;; amdgpu-corpus repo=ROCm/rocSOLVER kind=compiled arch=gfx1250 opt=O3
	.amdgcn_target "amdgcn-amd-amdhsa--gfx1250"
	.amdhsa_code_object_version 6
	.section	.text._ZN9rocsolver6v33100L18getf2_small_kernelILi1E19rocblas_complex_numIfEiiPS3_EEvT1_T3_lS5_lPS5_llPT2_S5_S5_S7_l,"axG",@progbits,_ZN9rocsolver6v33100L18getf2_small_kernelILi1E19rocblas_complex_numIfEiiPS3_EEvT1_T3_lS5_lPS5_llPT2_S5_S5_S7_l,comdat
	.globl	_ZN9rocsolver6v33100L18getf2_small_kernelILi1E19rocblas_complex_numIfEiiPS3_EEvT1_T3_lS5_lPS5_llPT2_S5_S5_S7_l ; -- Begin function _ZN9rocsolver6v33100L18getf2_small_kernelILi1E19rocblas_complex_numIfEiiPS3_EEvT1_T3_lS5_lPS5_llPT2_S5_S5_S7_l
	.p2align	8
	.type	_ZN9rocsolver6v33100L18getf2_small_kernelILi1E19rocblas_complex_numIfEiiPS3_EEvT1_T3_lS5_lPS5_llPT2_S5_S5_S7_l,@function
_ZN9rocsolver6v33100L18getf2_small_kernelILi1E19rocblas_complex_numIfEiiPS3_EEvT1_T3_lS5_lPS5_llPT2_S5_S5_S7_l: ; @_ZN9rocsolver6v33100L18getf2_small_kernelILi1E19rocblas_complex_numIfEiiPS3_EEvT1_T3_lS5_lPS5_llPT2_S5_S5_S7_l
; %bb.0:
	s_clause 0x1
	s_load_u16 s4, s[0:1], 0x6e
	s_load_b64 s[2:3], s[0:1], 0x48
	s_bfe_u32 s5, ttmp6, 0x40010
	s_bfe_u32 s6, ttmp6, 0x40004
	s_add_co_i32 s5, s5, 1
	s_getreg_b32 s7, hwreg(HW_REG_IB_STS2, 6, 4)
	s_mul_i32 s5, ttmp7, s5
	v_bfe_u32 v6, v0, 10, 10
	s_add_co_i32 s6, s6, s5
	s_cmp_eq_u32 s7, 0
	s_cselect_b32 s5, ttmp7, s6
	s_wait_kmcnt 0x0
	v_mad_u32 v2, s5, s4, v6
	s_delay_alu instid0(VALU_DEP_1)
	v_cmp_gt_i32_e32 vcc_lo, s2, v2
	s_and_saveexec_b32 s2, vcc_lo
	s_cbranch_execz .LBB0_27
; %bb.1:
	s_load_b128 s[4:7], s[0:1], 0x50
	v_ashrrev_i32_e32 v3, 31, v2
	s_wait_kmcnt 0x0
	s_cmp_lg_u64 s[4:5], 0
	s_cselect_b32 s2, -1, 0
	s_cmp_eq_u64 s[4:5], 0
	s_cbranch_scc1 .LBB0_3
; %bb.2:
	v_mul_u64_e32 v[4:5], s[6:7], v[2:3]
	s_delay_alu instid0(VALU_DEP_1)
	v_lshl_add_u64 v[8:9], v[4:5], 2, s[4:5]
	s_branch .LBB0_4
.LBB0_3:
	v_mov_b64_e32 v[8:9], 0
.LBB0_4:
	s_clause 0x1
	s_load_b256 s[4:11], s[0:1], 0x20
	s_load_b128 s[12:15], s[0:1], 0x8
	v_and_b32_e32 v12, 0x3ff, v0
	s_delay_alu instid0(VALU_DEP_1) | instskip(SKIP_2) | instid1(VALU_DEP_1)
	v_dual_mov_b32 v11, 0 :: v_dual_lshlrev_b32 v10, 3, v12
	s_wait_kmcnt 0x0
	v_mul_u64_e32 v[4:5], s[4:5], v[2:3]
	v_lshl_add_u64 v[0:1], v[4:5], 3, s[12:13]
	s_load_b32 s12, s[0:1], 0x0
	s_delay_alu instid0(VALU_DEP_1) | instskip(NEXT) | instid1(VALU_DEP_1)
	v_lshl_add_u64 v[0:1], s[14:15], 3, v[0:1]
	v_add_nc_u64_e32 v[4:5], v[0:1], v[10:11]
	global_load_b64 v[4:5], v[4:5], off
	s_wait_kmcnt 0x0
	s_max_i32 s4, s12, 1
	s_cmp_lt_i32 s12, 2
	v_mul_lo_u32 v13, s4, v6
	s_load_b64 s[4:5], s[0:1], 0x40
	s_wait_xcnt 0x0
	s_mov_b32 s0, 1
	s_delay_alu instid0(VALU_DEP_1) | instskip(NEXT) | instid1(VALU_DEP_1)
	v_lshl_add_u32 v6, v13, 3, 0
	v_add_nc_u32_e32 v7, v6, v10
	s_wait_loadcnt 0x0
	ds_store_b64 v7, v[4:5]
	s_wait_dscnt 0x0
	s_barrier_signal -1
	s_barrier_wait -1
	ds_load_b64 v[6:7], v6
	s_cbranch_scc1 .LBB0_7
; %bb.5:
	v_dual_mov_b32 v11, 0 :: v_dual_lshlrev_b32 v10, 3, v13
	s_delay_alu instid0(VALU_DEP_1)
	v_add3_u32 v10, v10, 0, 8
.LBB0_6:                                ; =>This Inner Loop Header: Depth=1
	ds_load_b64 v[14:15], v10
	s_wait_dscnt 0x1
	v_cmp_gt_f32_e32 vcc_lo, 0, v6
	v_cndmask_b32_e64 v16, v6, -v6, vcc_lo
	v_cmp_gt_f32_e32 vcc_lo, 0, v7
	v_cndmask_b32_e64 v18, v7, -v7, vcc_lo
	s_wait_dscnt 0x0
	v_cmp_gt_f32_e32 vcc_lo, 0, v15
	v_cndmask_b32_e64 v19, v15, -v15, vcc_lo
	v_cmp_gt_f32_e32 vcc_lo, 0, v14
	v_cndmask_b32_e64 v17, v14, -v14, vcc_lo
	s_delay_alu instid0(VALU_DEP_1) | instskip(NEXT) | instid1(VALU_DEP_1)
	v_pk_add_f32 v[16:17], v[16:17], v[18:19]
	v_cmp_lt_f32_e32 vcc_lo, v16, v17
	v_dual_cndmask_b32 v7, v7, v15 :: v_dual_add_nc_u32 v10, 8, v10
	v_cndmask_b32_e32 v6, v6, v14, vcc_lo
	v_cndmask_b32_e64 v11, v11, s0, vcc_lo
	s_add_co_i32 s0, s0, 1
	s_delay_alu instid0(SALU_CYCLE_1)
	s_cmp_eq_u32 s12, s0
	s_cbranch_scc0 .LBB0_6
.LBB0_7:
	s_wait_dscnt 0x0
	v_cmp_eq_f32_e32 vcc_lo, 0, v6
	v_cmp_eq_f32_e64 s0, 0, v7
	s_and_b32 s0, vcc_lo, s0
	s_delay_alu instid0(SALU_CYCLE_1) | instskip(NEXT) | instid1(SALU_CYCLE_1)
	s_xor_b32 s12, s0, -1
	s_and_saveexec_b32 s1, s12
	s_cbranch_execz .LBB0_13
; %bb.8:
	v_cmp_ngt_f32_e64 s12, |v6|, |v7|
	s_and_saveexec_b32 s13, s12
	s_delay_alu instid0(SALU_CYCLE_1)
	s_xor_b32 s12, exec_lo, s13
	s_cbranch_execz .LBB0_10
; %bb.9:
	v_div_scale_f32 v10, null, v7, v7, v6
	v_div_scale_f32 v15, vcc_lo, v6, v7, v6
	s_delay_alu instid0(VALU_DEP_2) | instskip(SKIP_1) | instid1(TRANS32_DEP_1)
	v_rcp_f32_e32 v13, v10
	v_nop
	v_fma_f32 v14, -v10, v13, 1.0
	s_delay_alu instid0(VALU_DEP_1) | instskip(NEXT) | instid1(VALU_DEP_1)
	v_fmac_f32_e32 v13, v14, v13
	v_mul_f32_e32 v14, v15, v13
	s_delay_alu instid0(VALU_DEP_1) | instskip(NEXT) | instid1(VALU_DEP_1)
	v_fma_f32 v16, -v10, v14, v15
	v_fmac_f32_e32 v14, v16, v13
	s_delay_alu instid0(VALU_DEP_1) | instskip(NEXT) | instid1(VALU_DEP_1)
	v_fma_f32 v10, -v10, v14, v15
	v_div_fmas_f32 v10, v10, v13, v14
	s_delay_alu instid0(VALU_DEP_1) | instskip(NEXT) | instid1(VALU_DEP_1)
	v_div_fixup_f32 v10, v10, v7, v6
	v_fmac_f32_e32 v7, v6, v10
	s_delay_alu instid0(VALU_DEP_1) | instskip(SKIP_1) | instid1(VALU_DEP_2)
	v_div_scale_f32 v6, null, v7, v7, 1.0
	v_div_scale_f32 v15, vcc_lo, 1.0, v7, 1.0
	v_rcp_f32_e32 v13, v6
	v_nop
	s_delay_alu instid0(TRANS32_DEP_1) | instskip(NEXT) | instid1(VALU_DEP_1)
	v_fma_f32 v14, -v6, v13, 1.0
	v_fmac_f32_e32 v13, v14, v13
	s_delay_alu instid0(VALU_DEP_1) | instskip(NEXT) | instid1(VALU_DEP_1)
	v_mul_f32_e32 v14, v15, v13
	v_fma_f32 v16, -v6, v14, v15
	s_delay_alu instid0(VALU_DEP_1) | instskip(NEXT) | instid1(VALU_DEP_1)
	v_fmac_f32_e32 v14, v16, v13
	v_fma_f32 v6, -v6, v14, v15
	s_delay_alu instid0(VALU_DEP_1) | instskip(NEXT) | instid1(VALU_DEP_1)
	v_div_fmas_f32 v6, v6, v13, v14
	v_div_fixup_f32 v7, v6, v7, 1.0
	s_delay_alu instid0(VALU_DEP_1)
	v_mul_f32_e32 v6, v10, v7
	v_xor_b32_e32 v7, 0x80000000, v7
.LBB0_10:
	s_and_not1_saveexec_b32 s12, s12
	s_cbranch_execz .LBB0_12
; %bb.11:
	s_delay_alu instid0(VALU_DEP_1) | instskip(SKIP_1) | instid1(VALU_DEP_2)
	v_div_scale_f32 v10, null, v6, v6, v7
	v_div_scale_f32 v15, vcc_lo, v7, v6, v7
	v_rcp_f32_e32 v13, v10
	v_nop
	s_delay_alu instid0(TRANS32_DEP_1) | instskip(NEXT) | instid1(VALU_DEP_1)
	v_fma_f32 v14, -v10, v13, 1.0
	v_fmac_f32_e32 v13, v14, v13
	s_delay_alu instid0(VALU_DEP_1) | instskip(NEXT) | instid1(VALU_DEP_1)
	v_mul_f32_e32 v14, v15, v13
	v_fma_f32 v16, -v10, v14, v15
	s_delay_alu instid0(VALU_DEP_1) | instskip(NEXT) | instid1(VALU_DEP_1)
	v_fmac_f32_e32 v14, v16, v13
	v_fma_f32 v10, -v10, v14, v15
	s_delay_alu instid0(VALU_DEP_1) | instskip(NEXT) | instid1(VALU_DEP_1)
	v_div_fmas_f32 v10, v10, v13, v14
	v_div_fixup_f32 v10, v10, v6, v7
	s_delay_alu instid0(VALU_DEP_1) | instskip(NEXT) | instid1(VALU_DEP_1)
	v_fmac_f32_e32 v6, v7, v10
	v_div_scale_f32 v7, null, v6, v6, 1.0
	s_delay_alu instid0(VALU_DEP_1) | instskip(SKIP_1) | instid1(TRANS32_DEP_1)
	v_rcp_f32_e32 v13, v7
	v_nop
	v_fma_f32 v14, -v7, v13, 1.0
	s_delay_alu instid0(VALU_DEP_1) | instskip(SKIP_1) | instid1(VALU_DEP_1)
	v_fmac_f32_e32 v13, v14, v13
	v_div_scale_f32 v14, vcc_lo, 1.0, v6, 1.0
	v_mul_f32_e32 v15, v14, v13
	s_delay_alu instid0(VALU_DEP_1) | instskip(NEXT) | instid1(VALU_DEP_1)
	v_fma_f32 v16, -v7, v15, v14
	v_fmac_f32_e32 v15, v16, v13
	s_delay_alu instid0(VALU_DEP_1) | instskip(NEXT) | instid1(VALU_DEP_1)
	v_fma_f32 v7, -v7, v15, v14
	v_div_fmas_f32 v7, v7, v13, v15
	s_delay_alu instid0(VALU_DEP_1) | instskip(NEXT) | instid1(VALU_DEP_1)
	v_div_fixup_f32 v6, v7, v6, 1.0
	v_mul_f32_e64 v7, v10, -v6
.LBB0_12:
	s_or_b32 exec_lo, exec_lo, s12
.LBB0_13:
	s_delay_alu instid0(SALU_CYCLE_1)
	s_or_b32 exec_lo, exec_lo, s1
	v_dual_mov_b32 v10, 0 :: v_dual_add_nc_u32 v13, 1, v12
	s_mov_b32 s1, exec_lo
	v_cmpx_ne_u32_e64 v12, v11
	s_cbranch_execz .LBB0_21
; %bb.14:
	s_mov_b32 s12, exec_lo
	v_cmpx_eq_u32_e32 0, v12
	s_cbranch_execz .LBB0_20
; %bb.15:
	v_add_nc_u32_e32 v13, 1, v11
	s_and_not1_b32 vcc_lo, exec_lo, s2
	s_cbranch_vccnz .LBB0_19
; %bb.16:
	v_dual_mov_b32 v10, 0 :: v_dual_mov_b32 v12, 1
	s_mov_b32 s2, exec_lo
	v_cmpx_ne_u32_e32 0, v11
	s_cbranch_execz .LBB0_18
; %bb.17:
	v_dual_mov_b32 v15, 0 :: v_dual_mov_b32 v14, v11
	v_dual_mov_b32 v10, v11 :: v_dual_mov_b32 v12, v13
	s_delay_alu instid0(VALU_DEP_2)
	v_lshl_add_u64 v[14:15], v[14:15], 2, v[8:9]
	s_clause 0x1
	global_load_b32 v16, v[14:15], off
	global_load_b32 v17, v[8:9], off
	s_wait_loadcnt 0x1
	global_store_b32 v[8:9], v16, off
	s_wait_loadcnt 0x0
	global_store_b32 v[14:15], v17, off
.LBB0_18:
	s_wait_xcnt 0x0
	s_or_b32 exec_lo, exec_lo, s2
	v_dual_mov_b32 v11, v10 :: v_dual_mov_b32 v13, v12
.LBB0_19:
	s_delay_alu instid0(VALU_DEP_1)
	v_mov_b32_e32 v12, v11
.LBB0_20:
	s_or_b32 exec_lo, exec_lo, s12
	s_delay_alu instid0(VALU_DEP_1)
	v_mov_b32_e32 v10, v12
.LBB0_21:
	s_or_b32 exec_lo, exec_lo, s1
	s_delay_alu instid0(VALU_DEP_1)
	v_ashrrev_i32_e32 v11, 31, v10
	s_mov_b32 s1, exec_lo
	s_wait_storecnt 0x0
	s_barrier_signal -1
	s_barrier_wait -1
	s_barrier_signal -1
	s_barrier_wait -1
	v_cmpx_gt_i32_e32 1, v10
	s_cbranch_execz .LBB0_23
; %bb.22:
	v_mul_u64_e32 v[8:9], s[10:11], v[2:3]
	v_add_nc_u32_e32 v12, s3, v13
	s_delay_alu instid0(VALU_DEP_2) | instskip(NEXT) | instid1(VALU_DEP_1)
	v_lshl_add_u64 v[8:9], v[8:9], 2, s[6:7]
	v_lshl_add_u64 v[8:9], s[8:9], 2, v[8:9]
	s_delay_alu instid0(VALU_DEP_1)
	v_lshl_add_u64 v[8:9], v[10:11], 2, v[8:9]
	global_store_b32 v[8:9], v12, off
.LBB0_23:
	s_wait_xcnt 0x0
	s_or_b32 exec_lo, exec_lo, s1
	s_delay_alu instid0(SALU_CYCLE_1)
	s_mov_b32 s1, exec_lo
	v_cmpx_eq_u32_e32 0, v10
	s_cbranch_execz .LBB0_26
; %bb.24:
	s_wait_kmcnt 0x0
	v_lshl_add_u64 v[2:3], v[2:3], 2, s[4:5]
	global_load_b32 v8, v[2:3], off
	s_wait_loadcnt 0x0
	v_cmp_eq_u32_e32 vcc_lo, 0, v8
	s_and_b32 s0, vcc_lo, s0
	s_wait_xcnt 0x0
	s_and_b32 exec_lo, exec_lo, s0
	s_cbranch_execz .LBB0_26
; %bb.25:
	s_add_co_i32 s0, s3, 1
	s_delay_alu instid0(SALU_CYCLE_1)
	v_mov_b32_e32 v8, s0
	global_store_b32 v[2:3], v8, off
.LBB0_26:
	s_wait_xcnt 0x0
	s_or_b32 exec_lo, exec_lo, s1
	v_dual_mul_f32 v2, v5, v7 :: v_dual_mul_f32 v3, v4, v7
	v_cmp_lt_i32_e32 vcc_lo, 0, v10
	v_lshl_add_u64 v[0:1], v[10:11], 3, v[0:1]
	s_delay_alu instid0(VALU_DEP_3) | instskip(NEXT) | instid1(VALU_DEP_1)
	v_dual_fma_f32 v2, v4, v6, -v2 :: v_dual_fmac_f32 v3, v5, v6
	v_dual_cndmask_b32 v2, v4, v2 :: v_dual_cndmask_b32 v3, v5, v3
	global_store_b64 v[0:1], v[2:3], off
.LBB0_27:
	s_endpgm
	.section	.rodata,"a",@progbits
	.p2align	6, 0x0
	.amdhsa_kernel _ZN9rocsolver6v33100L18getf2_small_kernelILi1E19rocblas_complex_numIfEiiPS3_EEvT1_T3_lS5_lPS5_llPT2_S5_S5_S7_l
		.amdhsa_group_segment_fixed_size 0
		.amdhsa_private_segment_fixed_size 0
		.amdhsa_kernarg_size 352
		.amdhsa_user_sgpr_count 2
		.amdhsa_user_sgpr_dispatch_ptr 0
		.amdhsa_user_sgpr_queue_ptr 0
		.amdhsa_user_sgpr_kernarg_segment_ptr 1
		.amdhsa_user_sgpr_dispatch_id 0
		.amdhsa_user_sgpr_kernarg_preload_length 0
		.amdhsa_user_sgpr_kernarg_preload_offset 0
		.amdhsa_user_sgpr_private_segment_size 0
		.amdhsa_wavefront_size32 1
		.amdhsa_uses_dynamic_stack 0
		.amdhsa_enable_private_segment 0
		.amdhsa_system_sgpr_workgroup_id_x 1
		.amdhsa_system_sgpr_workgroup_id_y 1
		.amdhsa_system_sgpr_workgroup_id_z 0
		.amdhsa_system_sgpr_workgroup_info 0
		.amdhsa_system_vgpr_workitem_id 1
		.amdhsa_next_free_vgpr 20
		.amdhsa_next_free_sgpr 16
		.amdhsa_named_barrier_count 0
		.amdhsa_reserve_vcc 1
		.amdhsa_float_round_mode_32 0
		.amdhsa_float_round_mode_16_64 0
		.amdhsa_float_denorm_mode_32 3
		.amdhsa_float_denorm_mode_16_64 3
		.amdhsa_fp16_overflow 0
		.amdhsa_memory_ordered 1
		.amdhsa_forward_progress 1
		.amdhsa_inst_pref_size 12
		.amdhsa_round_robin_scheduling 0
		.amdhsa_exception_fp_ieee_invalid_op 0
		.amdhsa_exception_fp_denorm_src 0
		.amdhsa_exception_fp_ieee_div_zero 0
		.amdhsa_exception_fp_ieee_overflow 0
		.amdhsa_exception_fp_ieee_underflow 0
		.amdhsa_exception_fp_ieee_inexact 0
		.amdhsa_exception_int_div_zero 0
	.end_amdhsa_kernel
	.section	.text._ZN9rocsolver6v33100L18getf2_small_kernelILi1E19rocblas_complex_numIfEiiPS3_EEvT1_T3_lS5_lPS5_llPT2_S5_S5_S7_l,"axG",@progbits,_ZN9rocsolver6v33100L18getf2_small_kernelILi1E19rocblas_complex_numIfEiiPS3_EEvT1_T3_lS5_lPS5_llPT2_S5_S5_S7_l,comdat
.Lfunc_end0:
	.size	_ZN9rocsolver6v33100L18getf2_small_kernelILi1E19rocblas_complex_numIfEiiPS3_EEvT1_T3_lS5_lPS5_llPT2_S5_S5_S7_l, .Lfunc_end0-_ZN9rocsolver6v33100L18getf2_small_kernelILi1E19rocblas_complex_numIfEiiPS3_EEvT1_T3_lS5_lPS5_llPT2_S5_S5_S7_l
                                        ; -- End function
	.set _ZN9rocsolver6v33100L18getf2_small_kernelILi1E19rocblas_complex_numIfEiiPS3_EEvT1_T3_lS5_lPS5_llPT2_S5_S5_S7_l.num_vgpr, 20
	.set _ZN9rocsolver6v33100L18getf2_small_kernelILi1E19rocblas_complex_numIfEiiPS3_EEvT1_T3_lS5_lPS5_llPT2_S5_S5_S7_l.num_agpr, 0
	.set _ZN9rocsolver6v33100L18getf2_small_kernelILi1E19rocblas_complex_numIfEiiPS3_EEvT1_T3_lS5_lPS5_llPT2_S5_S5_S7_l.numbered_sgpr, 16
	.set _ZN9rocsolver6v33100L18getf2_small_kernelILi1E19rocblas_complex_numIfEiiPS3_EEvT1_T3_lS5_lPS5_llPT2_S5_S5_S7_l.num_named_barrier, 0
	.set _ZN9rocsolver6v33100L18getf2_small_kernelILi1E19rocblas_complex_numIfEiiPS3_EEvT1_T3_lS5_lPS5_llPT2_S5_S5_S7_l.private_seg_size, 0
	.set _ZN9rocsolver6v33100L18getf2_small_kernelILi1E19rocblas_complex_numIfEiiPS3_EEvT1_T3_lS5_lPS5_llPT2_S5_S5_S7_l.uses_vcc, 1
	.set _ZN9rocsolver6v33100L18getf2_small_kernelILi1E19rocblas_complex_numIfEiiPS3_EEvT1_T3_lS5_lPS5_llPT2_S5_S5_S7_l.uses_flat_scratch, 0
	.set _ZN9rocsolver6v33100L18getf2_small_kernelILi1E19rocblas_complex_numIfEiiPS3_EEvT1_T3_lS5_lPS5_llPT2_S5_S5_S7_l.has_dyn_sized_stack, 0
	.set _ZN9rocsolver6v33100L18getf2_small_kernelILi1E19rocblas_complex_numIfEiiPS3_EEvT1_T3_lS5_lPS5_llPT2_S5_S5_S7_l.has_recursion, 0
	.set _ZN9rocsolver6v33100L18getf2_small_kernelILi1E19rocblas_complex_numIfEiiPS3_EEvT1_T3_lS5_lPS5_llPT2_S5_S5_S7_l.has_indirect_call, 0
	.section	.AMDGPU.csdata,"",@progbits
; Kernel info:
; codeLenInByte = 1432
; TotalNumSgprs: 18
; NumVgprs: 20
; ScratchSize: 0
; MemoryBound: 0
; FloatMode: 240
; IeeeMode: 1
; LDSByteSize: 0 bytes/workgroup (compile time only)
; SGPRBlocks: 0
; VGPRBlocks: 1
; NumSGPRsForWavesPerEU: 18
; NumVGPRsForWavesPerEU: 20
; NamedBarCnt: 0
; Occupancy: 16
; WaveLimiterHint : 0
; COMPUTE_PGM_RSRC2:SCRATCH_EN: 0
; COMPUTE_PGM_RSRC2:USER_SGPR: 2
; COMPUTE_PGM_RSRC2:TRAP_HANDLER: 0
; COMPUTE_PGM_RSRC2:TGID_X_EN: 1
; COMPUTE_PGM_RSRC2:TGID_Y_EN: 1
; COMPUTE_PGM_RSRC2:TGID_Z_EN: 0
; COMPUTE_PGM_RSRC2:TIDIG_COMP_CNT: 1
	.section	.text._ZN9rocsolver6v33100L23getf2_npvt_small_kernelILi1E19rocblas_complex_numIfEiiPS3_EEvT1_T3_lS5_lPT2_S5_S5_,"axG",@progbits,_ZN9rocsolver6v33100L23getf2_npvt_small_kernelILi1E19rocblas_complex_numIfEiiPS3_EEvT1_T3_lS5_lPT2_S5_S5_,comdat
	.globl	_ZN9rocsolver6v33100L23getf2_npvt_small_kernelILi1E19rocblas_complex_numIfEiiPS3_EEvT1_T3_lS5_lPT2_S5_S5_ ; -- Begin function _ZN9rocsolver6v33100L23getf2_npvt_small_kernelILi1E19rocblas_complex_numIfEiiPS3_EEvT1_T3_lS5_lPT2_S5_S5_
	.p2align	8
	.type	_ZN9rocsolver6v33100L23getf2_npvt_small_kernelILi1E19rocblas_complex_numIfEiiPS3_EEvT1_T3_lS5_lPT2_S5_S5_,@function
_ZN9rocsolver6v33100L23getf2_npvt_small_kernelILi1E19rocblas_complex_numIfEiiPS3_EEvT1_T3_lS5_lPT2_S5_S5_: ; @_ZN9rocsolver6v33100L23getf2_npvt_small_kernelILi1E19rocblas_complex_numIfEiiPS3_EEvT1_T3_lS5_lPT2_S5_S5_
; %bb.0:
	s_clause 0x1
	s_load_u16 s8, s[0:1], 0x46
	s_load_b64 s[2:3], s[0:1], 0x30
	s_bfe_u32 s4, ttmp6, 0x40010
	s_bfe_u32 s5, ttmp6, 0x40004
	s_add_co_i32 s4, s4, 1
	s_getreg_b32 s6, hwreg(HW_REG_IB_STS2, 6, 4)
	s_mul_i32 s4, ttmp7, s4
	v_bfe_u32 v6, v0, 10, 10
	s_add_co_i32 s5, s5, s4
	s_cmp_eq_u32 s6, 0
	s_cselect_b32 s4, ttmp7, s5
	s_wait_kmcnt 0x0
	v_mad_u32 v2, s4, s8, v6
	s_delay_alu instid0(VALU_DEP_1)
	v_cmp_gt_i32_e32 vcc_lo, s2, v2
	s_and_saveexec_b32 s2, vcc_lo
	s_cbranch_execz .LBB1_12
; %bb.1:
	s_clause 0x1
	s_load_b128 s[4:7], s[0:1], 0x20
	s_load_b128 s[12:15], s[0:1], 0x8
	v_and_b32_e32 v7, 0x3ff, v0
	v_ashrrev_i32_e32 v3, 31, v2
	s_wait_xcnt 0x0
	s_lshl_b32 s1, s8, 3
	v_lshlrev_b32_e32 v6, 3, v6
	v_cmp_eq_u32_e64 s0, 0, v7
	s_delay_alu instid0(VALU_DEP_2) | instskip(SKIP_2) | instid1(VALU_DEP_1)
	v_add3_u32 v8, 0, s1, v6
	s_wait_kmcnt 0x0
	v_mul_u64_e32 v[4:5], s[4:5], v[2:3]
	v_lshl_add_u64 v[0:1], v[4:5], 3, s[12:13]
	v_dual_mov_b32 v5, 0 :: v_dual_lshlrev_b32 v4, 3, v7
	s_delay_alu instid0(VALU_DEP_2) | instskip(NEXT) | instid1(VALU_DEP_1)
	v_lshl_add_u64 v[0:1], s[14:15], 3, v[0:1]
	v_add_nc_u64_e32 v[0:1], v[0:1], v[4:5]
	global_load_b64 v[4:5], v[0:1], off
	s_wait_xcnt 0x0
	s_and_saveexec_b32 s2, s0
	s_cbranch_execz .LBB1_8
; %bb.2:
	s_wait_loadcnt 0x0
	v_cmp_neq_f32_e32 vcc_lo, 0, v4
	v_cmp_neq_f32_e64 s1, 0, v5
	ds_store_b64 v8, v[4:5]
	s_or_b32 s1, vcc_lo, s1
	s_delay_alu instid0(SALU_CYCLE_1)
	s_and_b32 exec_lo, exec_lo, s1
	s_cbranch_execz .LBB1_8
; %bb.3:
	v_cmp_ngt_f32_e64 s1, |v4|, |v5|
                                        ; implicit-def: $vgpr6_vgpr7
	s_and_saveexec_b32 s4, s1
	s_delay_alu instid0(SALU_CYCLE_1)
	s_xor_b32 s1, exec_lo, s4
	s_cbranch_execz .LBB1_5
; %bb.4:
	v_div_scale_f32 v6, null, v5, v5, v4
	v_div_scale_f32 v10, vcc_lo, v4, v5, v4
	s_delay_alu instid0(VALU_DEP_2) | instskip(SKIP_1) | instid1(TRANS32_DEP_1)
	v_rcp_f32_e32 v7, v6
	v_nop
	v_fma_f32 v9, -v6, v7, 1.0
	s_delay_alu instid0(VALU_DEP_1) | instskip(NEXT) | instid1(VALU_DEP_1)
	v_fmac_f32_e32 v7, v9, v7
	v_mul_f32_e32 v9, v10, v7
	s_delay_alu instid0(VALU_DEP_1) | instskip(NEXT) | instid1(VALU_DEP_1)
	v_fma_f32 v11, -v6, v9, v10
	v_fmac_f32_e32 v9, v11, v7
	s_delay_alu instid0(VALU_DEP_1) | instskip(NEXT) | instid1(VALU_DEP_1)
	v_fma_f32 v6, -v6, v9, v10
	v_div_fmas_f32 v6, v6, v7, v9
	s_delay_alu instid0(VALU_DEP_1) | instskip(NEXT) | instid1(VALU_DEP_1)
	v_div_fixup_f32 v6, v6, v5, v4
	v_fma_f32 v7, v4, v6, v5
	s_delay_alu instid0(VALU_DEP_1) | instskip(SKIP_1) | instid1(VALU_DEP_2)
	v_div_scale_f32 v9, null, v7, v7, 1.0
	v_div_scale_f32 v12, vcc_lo, 1.0, v7, 1.0
	v_rcp_f32_e32 v10, v9
	v_nop
	s_delay_alu instid0(TRANS32_DEP_1) | instskip(NEXT) | instid1(VALU_DEP_1)
	v_fma_f32 v11, -v9, v10, 1.0
	v_fmac_f32_e32 v10, v11, v10
	s_delay_alu instid0(VALU_DEP_1) | instskip(NEXT) | instid1(VALU_DEP_1)
	v_mul_f32_e32 v11, v12, v10
	v_fma_f32 v13, -v9, v11, v12
	s_delay_alu instid0(VALU_DEP_1) | instskip(NEXT) | instid1(VALU_DEP_1)
	v_fmac_f32_e32 v11, v13, v10
	v_fma_f32 v9, -v9, v11, v12
	s_delay_alu instid0(VALU_DEP_1) | instskip(NEXT) | instid1(VALU_DEP_1)
	v_div_fmas_f32 v9, v9, v10, v11
	v_div_fixup_f32 v7, v9, v7, 1.0
	s_delay_alu instid0(VALU_DEP_1)
	v_mul_f32_e32 v6, v6, v7
	v_xor_b32_e32 v7, 0x80000000, v7
.LBB1_5:
	s_and_not1_saveexec_b32 s1, s1
	s_cbranch_execz .LBB1_7
; %bb.6:
	v_div_scale_f32 v6, null, v4, v4, v5
	v_div_scale_f32 v10, vcc_lo, v5, v4, v5
	s_delay_alu instid0(VALU_DEP_2) | instskip(SKIP_1) | instid1(TRANS32_DEP_1)
	v_rcp_f32_e32 v7, v6
	v_nop
	v_fma_f32 v9, -v6, v7, 1.0
	s_delay_alu instid0(VALU_DEP_1) | instskip(NEXT) | instid1(VALU_DEP_1)
	v_fmac_f32_e32 v7, v9, v7
	v_mul_f32_e32 v9, v10, v7
	s_delay_alu instid0(VALU_DEP_1) | instskip(NEXT) | instid1(VALU_DEP_1)
	v_fma_f32 v11, -v6, v9, v10
	v_fmac_f32_e32 v9, v11, v7
	s_delay_alu instid0(VALU_DEP_1) | instskip(NEXT) | instid1(VALU_DEP_1)
	v_fma_f32 v6, -v6, v9, v10
	v_div_fmas_f32 v6, v6, v7, v9
	s_delay_alu instid0(VALU_DEP_1) | instskip(NEXT) | instid1(VALU_DEP_1)
	v_div_fixup_f32 v7, v6, v4, v5
	v_fma_f32 v6, v5, v7, v4
	s_delay_alu instid0(VALU_DEP_1) | instskip(NEXT) | instid1(VALU_DEP_1)
	v_div_scale_f32 v9, null, v6, v6, 1.0
	v_rcp_f32_e32 v10, v9
	v_nop
	s_delay_alu instid0(TRANS32_DEP_1) | instskip(NEXT) | instid1(VALU_DEP_1)
	v_fma_f32 v11, -v9, v10, 1.0
	v_fmac_f32_e32 v10, v11, v10
	v_div_scale_f32 v11, vcc_lo, 1.0, v6, 1.0
	s_delay_alu instid0(VALU_DEP_1) | instskip(NEXT) | instid1(VALU_DEP_1)
	v_mul_f32_e32 v12, v11, v10
	v_fma_f32 v13, -v9, v12, v11
	s_delay_alu instid0(VALU_DEP_1) | instskip(NEXT) | instid1(VALU_DEP_1)
	v_fmac_f32_e32 v12, v13, v10
	v_fma_f32 v9, -v9, v12, v11
	s_delay_alu instid0(VALU_DEP_1) | instskip(NEXT) | instid1(VALU_DEP_1)
	v_div_fmas_f32 v9, v9, v10, v12
	v_div_fixup_f32 v6, v9, v6, 1.0
	s_delay_alu instid0(VALU_DEP_1)
	v_mul_f32_e64 v7, v7, -v6
.LBB1_7:
	s_or_b32 exec_lo, exec_lo, s1
	ds_store_b64 v8, v[6:7]
.LBB1_8:
	s_or_b32 exec_lo, exec_lo, s2
	s_wait_loadcnt_dscnt 0x0
	s_barrier_signal -1
	s_barrier_wait -1
	ds_load_b64 v[6:7], v8
	s_wait_dscnt 0x0
	s_barrier_signal -1
	s_barrier_wait -1
	s_and_saveexec_b32 s4, s0
	s_cbranch_execz .LBB1_11
; %bb.9:
	v_lshl_add_u64 v[2:3], v[2:3], 2, s[6:7]
	v_cmp_eq_f32_e32 vcc_lo, 0, v6
	v_cmp_eq_f32_e64 s1, 0, v7
	global_load_b32 v8, v[2:3], off
	s_and_b32 s1, vcc_lo, s1
	s_wait_loadcnt 0x0
	v_cmp_eq_u32_e64 s2, 0, v8
	s_and_b32 s1, s1, s2
	s_delay_alu instid0(SALU_CYCLE_1)
	s_and_b32 exec_lo, exec_lo, s1
	s_cbranch_execz .LBB1_11
; %bb.10:
	s_add_co_i32 s1, s3, 1
	s_delay_alu instid0(SALU_CYCLE_1)
	v_mov_b32_e32 v8, s1
	global_store_b32 v[2:3], v8, off
.LBB1_11:
	s_wait_xcnt 0x0
	s_or_b32 exec_lo, exec_lo, s4
	v_dual_mul_f32 v2, v5, v7 :: v_dual_mul_f32 v3, v4, v7
	s_delay_alu instid0(VALU_DEP_1) | instskip(NEXT) | instid1(VALU_DEP_1)
	v_dual_fma_f32 v2, v4, v6, -v2 :: v_dual_fmac_f32 v3, v5, v6
	v_dual_cndmask_b32 v2, v2, v4, s0 :: v_dual_cndmask_b32 v3, v3, v5, s0
	global_store_b64 v[0:1], v[2:3], off
.LBB1_12:
	s_endpgm
	.section	.rodata,"a",@progbits
	.p2align	6, 0x0
	.amdhsa_kernel _ZN9rocsolver6v33100L23getf2_npvt_small_kernelILi1E19rocblas_complex_numIfEiiPS3_EEvT1_T3_lS5_lPT2_S5_S5_
		.amdhsa_group_segment_fixed_size 0
		.amdhsa_private_segment_fixed_size 0
		.amdhsa_kernarg_size 312
		.amdhsa_user_sgpr_count 2
		.amdhsa_user_sgpr_dispatch_ptr 0
		.amdhsa_user_sgpr_queue_ptr 0
		.amdhsa_user_sgpr_kernarg_segment_ptr 1
		.amdhsa_user_sgpr_dispatch_id 0
		.amdhsa_user_sgpr_kernarg_preload_length 0
		.amdhsa_user_sgpr_kernarg_preload_offset 0
		.amdhsa_user_sgpr_private_segment_size 0
		.amdhsa_wavefront_size32 1
		.amdhsa_uses_dynamic_stack 0
		.amdhsa_enable_private_segment 0
		.amdhsa_system_sgpr_workgroup_id_x 1
		.amdhsa_system_sgpr_workgroup_id_y 1
		.amdhsa_system_sgpr_workgroup_id_z 0
		.amdhsa_system_sgpr_workgroup_info 0
		.amdhsa_system_vgpr_workitem_id 1
		.amdhsa_next_free_vgpr 14
		.amdhsa_next_free_sgpr 16
		.amdhsa_named_barrier_count 0
		.amdhsa_reserve_vcc 1
		.amdhsa_float_round_mode_32 0
		.amdhsa_float_round_mode_16_64 0
		.amdhsa_float_denorm_mode_32 3
		.amdhsa_float_denorm_mode_16_64 3
		.amdhsa_fp16_overflow 0
		.amdhsa_memory_ordered 1
		.amdhsa_forward_progress 1
		.amdhsa_inst_pref_size 8
		.amdhsa_round_robin_scheduling 0
		.amdhsa_exception_fp_ieee_invalid_op 0
		.amdhsa_exception_fp_denorm_src 0
		.amdhsa_exception_fp_ieee_div_zero 0
		.amdhsa_exception_fp_ieee_overflow 0
		.amdhsa_exception_fp_ieee_underflow 0
		.amdhsa_exception_fp_ieee_inexact 0
		.amdhsa_exception_int_div_zero 0
	.end_amdhsa_kernel
	.section	.text._ZN9rocsolver6v33100L23getf2_npvt_small_kernelILi1E19rocblas_complex_numIfEiiPS3_EEvT1_T3_lS5_lPT2_S5_S5_,"axG",@progbits,_ZN9rocsolver6v33100L23getf2_npvt_small_kernelILi1E19rocblas_complex_numIfEiiPS3_EEvT1_T3_lS5_lPT2_S5_S5_,comdat
.Lfunc_end1:
	.size	_ZN9rocsolver6v33100L23getf2_npvt_small_kernelILi1E19rocblas_complex_numIfEiiPS3_EEvT1_T3_lS5_lPT2_S5_S5_, .Lfunc_end1-_ZN9rocsolver6v33100L23getf2_npvt_small_kernelILi1E19rocblas_complex_numIfEiiPS3_EEvT1_T3_lS5_lPT2_S5_S5_
                                        ; -- End function
	.set _ZN9rocsolver6v33100L23getf2_npvt_small_kernelILi1E19rocblas_complex_numIfEiiPS3_EEvT1_T3_lS5_lPT2_S5_S5_.num_vgpr, 14
	.set _ZN9rocsolver6v33100L23getf2_npvt_small_kernelILi1E19rocblas_complex_numIfEiiPS3_EEvT1_T3_lS5_lPT2_S5_S5_.num_agpr, 0
	.set _ZN9rocsolver6v33100L23getf2_npvt_small_kernelILi1E19rocblas_complex_numIfEiiPS3_EEvT1_T3_lS5_lPT2_S5_S5_.numbered_sgpr, 16
	.set _ZN9rocsolver6v33100L23getf2_npvt_small_kernelILi1E19rocblas_complex_numIfEiiPS3_EEvT1_T3_lS5_lPT2_S5_S5_.num_named_barrier, 0
	.set _ZN9rocsolver6v33100L23getf2_npvt_small_kernelILi1E19rocblas_complex_numIfEiiPS3_EEvT1_T3_lS5_lPT2_S5_S5_.private_seg_size, 0
	.set _ZN9rocsolver6v33100L23getf2_npvt_small_kernelILi1E19rocblas_complex_numIfEiiPS3_EEvT1_T3_lS5_lPT2_S5_S5_.uses_vcc, 1
	.set _ZN9rocsolver6v33100L23getf2_npvt_small_kernelILi1E19rocblas_complex_numIfEiiPS3_EEvT1_T3_lS5_lPT2_S5_S5_.uses_flat_scratch, 0
	.set _ZN9rocsolver6v33100L23getf2_npvt_small_kernelILi1E19rocblas_complex_numIfEiiPS3_EEvT1_T3_lS5_lPT2_S5_S5_.has_dyn_sized_stack, 0
	.set _ZN9rocsolver6v33100L23getf2_npvt_small_kernelILi1E19rocblas_complex_numIfEiiPS3_EEvT1_T3_lS5_lPT2_S5_S5_.has_recursion, 0
	.set _ZN9rocsolver6v33100L23getf2_npvt_small_kernelILi1E19rocblas_complex_numIfEiiPS3_EEvT1_T3_lS5_lPT2_S5_S5_.has_indirect_call, 0
	.section	.AMDGPU.csdata,"",@progbits
; Kernel info:
; codeLenInByte = 928
; TotalNumSgprs: 18
; NumVgprs: 14
; ScratchSize: 0
; MemoryBound: 0
; FloatMode: 240
; IeeeMode: 1
; LDSByteSize: 0 bytes/workgroup (compile time only)
; SGPRBlocks: 0
; VGPRBlocks: 0
; NumSGPRsForWavesPerEU: 18
; NumVGPRsForWavesPerEU: 14
; NamedBarCnt: 0
; Occupancy: 16
; WaveLimiterHint : 0
; COMPUTE_PGM_RSRC2:SCRATCH_EN: 0
; COMPUTE_PGM_RSRC2:USER_SGPR: 2
; COMPUTE_PGM_RSRC2:TRAP_HANDLER: 0
; COMPUTE_PGM_RSRC2:TGID_X_EN: 1
; COMPUTE_PGM_RSRC2:TGID_Y_EN: 1
; COMPUTE_PGM_RSRC2:TGID_Z_EN: 0
; COMPUTE_PGM_RSRC2:TIDIG_COMP_CNT: 1
	.section	.text._ZN9rocsolver6v33100L18getf2_small_kernelILi2E19rocblas_complex_numIfEiiPS3_EEvT1_T3_lS5_lPS5_llPT2_S5_S5_S7_l,"axG",@progbits,_ZN9rocsolver6v33100L18getf2_small_kernelILi2E19rocblas_complex_numIfEiiPS3_EEvT1_T3_lS5_lPS5_llPT2_S5_S5_S7_l,comdat
	.globl	_ZN9rocsolver6v33100L18getf2_small_kernelILi2E19rocblas_complex_numIfEiiPS3_EEvT1_T3_lS5_lPS5_llPT2_S5_S5_S7_l ; -- Begin function _ZN9rocsolver6v33100L18getf2_small_kernelILi2E19rocblas_complex_numIfEiiPS3_EEvT1_T3_lS5_lPS5_llPT2_S5_S5_S7_l
	.p2align	8
	.type	_ZN9rocsolver6v33100L18getf2_small_kernelILi2E19rocblas_complex_numIfEiiPS3_EEvT1_T3_lS5_lPS5_llPT2_S5_S5_S7_l,@function
_ZN9rocsolver6v33100L18getf2_small_kernelILi2E19rocblas_complex_numIfEiiPS3_EEvT1_T3_lS5_lPS5_llPT2_S5_S5_S7_l: ; @_ZN9rocsolver6v33100L18getf2_small_kernelILi2E19rocblas_complex_numIfEiiPS3_EEvT1_T3_lS5_lPS5_llPT2_S5_S5_S7_l
; %bb.0:
	s_clause 0x1
	s_load_u16 s4, s[0:1], 0x6e
	s_load_b64 s[2:3], s[0:1], 0x48
	s_bfe_u32 s5, ttmp6, 0x40010
	s_bfe_u32 s6, ttmp6, 0x40004
	s_add_co_i32 s5, s5, 1
	s_getreg_b32 s7, hwreg(HW_REG_IB_STS2, 6, 4)
	s_mul_i32 s5, ttmp7, s5
	v_bfe_u32 v10, v0, 10, 10
	s_add_co_i32 s6, s6, s5
	s_cmp_eq_u32 s7, 0
	s_cselect_b32 s5, ttmp7, s6
	s_wait_kmcnt 0x0
	v_mad_u32 v2, s5, s4, v10
	s_delay_alu instid0(VALU_DEP_1)
	v_cmp_gt_i32_e32 vcc_lo, s2, v2
	s_and_saveexec_b32 s2, vcc_lo
	s_cbranch_execz .LBB2_43
; %bb.1:
	s_load_b128 s[4:7], s[0:1], 0x50
	v_mov_b64_e32 v[8:9], 0
	v_ashrrev_i32_e32 v3, 31, v2
	s_wait_kmcnt 0x0
	s_cmp_eq_u64 s[4:5], 0
	s_cselect_b32 s2, -1, 0
	s_delay_alu instid0(SALU_CYCLE_1)
	s_and_b32 vcc_lo, exec_lo, s2
	s_cbranch_vccnz .LBB2_3
; %bb.2:
	v_mul_u64_e32 v[4:5], s[6:7], v[2:3]
	s_delay_alu instid0(VALU_DEP_1)
	v_lshl_add_u64 v[8:9], v[4:5], 2, s[4:5]
.LBB2_3:
	s_load_b256 s[4:11], s[0:1], 0x20
	v_and_b32_e32 v16, 0x3ff, v0
	s_delay_alu instid0(VALU_DEP_1)
	v_dual_mov_b32 v13, 0 :: v_dual_lshlrev_b32 v12, 3, v16
	s_wait_kmcnt 0x0
	v_mul_u64_e32 v[4:5], s[4:5], v[2:3]
	s_clause 0x1
	s_load_b128 s[12:15], s[0:1], 0x8
	s_load_b32 s4, s[0:1], 0x18
	s_wait_kmcnt 0x0
	s_ashr_i32 s5, s4, 31
	s_delay_alu instid0(VALU_DEP_1) | instskip(NEXT) | instid1(VALU_DEP_1)
	v_lshl_add_u64 v[0:1], v[4:5], 3, s[12:13]
	v_lshl_add_u64 v[0:1], s[14:15], 3, v[0:1]
	s_load_b32 s14, s[0:1], 0x0
	s_delay_alu instid0(VALU_DEP_1)
	v_add_nc_u64_e32 v[4:5], v[0:1], v[12:13]
	global_load_b64 v[6:7], v[4:5], off
	s_wait_xcnt 0x0
	v_lshl_add_u64 v[4:5], s[4:5], 3, v[4:5]
	global_load_b64 v[4:5], v[4:5], off
	s_wait_kmcnt 0x0
	s_max_i32 s12, s14, 2
	s_cmp_lt_i32 s14, 2
	v_mul_lo_u32 v15, s12, v10
	s_load_b64 s[12:13], s[0:1], 0x40
	s_delay_alu instid0(VALU_DEP_1) | instskip(NEXT) | instid1(VALU_DEP_1)
	v_lshl_add_u32 v14, v15, 3, 0
	v_dual_lshlrev_b32 v15, 3, v15 :: v_dual_add_nc_u32 v10, v14, v12
	s_wait_loadcnt 0x1
	ds_store_b64 v10, v[6:7]
	s_wait_loadcnt_dscnt 0x0
	s_barrier_signal -1
	s_barrier_wait -1
	ds_load_b64 v[10:11], v14
	s_cbranch_scc1 .LBB2_6
; %bb.4:
	v_add3_u32 v12, v15, 0, 8
	v_mov_b32_e32 v13, 0
	s_wait_xcnt 0x0
	s_mov_b32 s0, 1
.LBB2_5:                                ; =>This Inner Loop Header: Depth=1
	ds_load_b64 v[18:19], v12
	s_wait_dscnt 0x1
	v_cmp_gt_f32_e32 vcc_lo, 0, v10
	v_cndmask_b32_e64 v20, v10, -v10, vcc_lo
	v_cmp_gt_f32_e32 vcc_lo, 0, v11
	v_cndmask_b32_e64 v22, v11, -v11, vcc_lo
	s_wait_dscnt 0x0
	v_cmp_gt_f32_e32 vcc_lo, 0, v18
	v_cndmask_b32_e64 v21, v18, -v18, vcc_lo
	v_cmp_gt_f32_e32 vcc_lo, 0, v19
	v_cndmask_b32_e64 v23, v19, -v19, vcc_lo
	s_delay_alu instid0(VALU_DEP_1) | instskip(NEXT) | instid1(VALU_DEP_1)
	v_pk_add_f32 v[20:21], v[20:21], v[22:23]
	v_cmp_lt_f32_e32 vcc_lo, v20, v21
	v_dual_cndmask_b32 v11, v11, v19 :: v_dual_add_nc_u32 v12, 8, v12
	v_cndmask_b32_e32 v10, v10, v18, vcc_lo
	v_cndmask_b32_e64 v13, v13, s0, vcc_lo
	s_add_co_i32 s0, s0, 1
	s_delay_alu instid0(SALU_CYCLE_1)
	s_cmp_eq_u32 s14, s0
	s_cbranch_scc0 .LBB2_5
.LBB2_6:
	s_wait_dscnt 0x0
	v_cmp_neq_f32_e32 vcc_lo, 0, v10
	s_wait_xcnt 0x0
	v_cmp_neq_f32_e64 s0, 0, v11
	v_dual_mov_b32 v17, 1 :: v_dual_mov_b32 v18, 1
	s_or_b32 s1, vcc_lo, s0
	s_delay_alu instid0(SALU_CYCLE_1)
	s_and_saveexec_b32 s0, s1
	s_cbranch_execz .LBB2_12
; %bb.7:
	v_cmp_ngt_f32_e64 s1, |v10|, |v11|
	s_and_saveexec_b32 s15, s1
	s_delay_alu instid0(SALU_CYCLE_1)
	s_xor_b32 s1, exec_lo, s15
	s_cbranch_execz .LBB2_9
; %bb.8:
	v_div_scale_f32 v12, null, v11, v11, v10
	v_div_scale_f32 v19, vcc_lo, v10, v11, v10
	s_delay_alu instid0(VALU_DEP_2) | instskip(SKIP_1) | instid1(TRANS32_DEP_1)
	v_rcp_f32_e32 v17, v12
	v_nop
	v_fma_f32 v18, -v12, v17, 1.0
	s_delay_alu instid0(VALU_DEP_1) | instskip(NEXT) | instid1(VALU_DEP_1)
	v_fmac_f32_e32 v17, v18, v17
	v_mul_f32_e32 v18, v19, v17
	s_delay_alu instid0(VALU_DEP_1) | instskip(NEXT) | instid1(VALU_DEP_1)
	v_fma_f32 v20, -v12, v18, v19
	v_fmac_f32_e32 v18, v20, v17
	s_delay_alu instid0(VALU_DEP_1) | instskip(NEXT) | instid1(VALU_DEP_1)
	v_fma_f32 v12, -v12, v18, v19
	v_div_fmas_f32 v12, v12, v17, v18
	s_delay_alu instid0(VALU_DEP_1) | instskip(NEXT) | instid1(VALU_DEP_1)
	v_div_fixup_f32 v12, v12, v11, v10
	v_fmac_f32_e32 v11, v10, v12
	s_delay_alu instid0(VALU_DEP_1) | instskip(SKIP_1) | instid1(VALU_DEP_2)
	v_div_scale_f32 v10, null, v11, v11, 1.0
	v_div_scale_f32 v19, vcc_lo, 1.0, v11, 1.0
	v_rcp_f32_e32 v17, v10
	v_nop
	s_delay_alu instid0(TRANS32_DEP_1) | instskip(NEXT) | instid1(VALU_DEP_1)
	v_fma_f32 v18, -v10, v17, 1.0
	v_fmac_f32_e32 v17, v18, v17
	s_delay_alu instid0(VALU_DEP_1) | instskip(NEXT) | instid1(VALU_DEP_1)
	v_mul_f32_e32 v18, v19, v17
	v_fma_f32 v20, -v10, v18, v19
	s_delay_alu instid0(VALU_DEP_1) | instskip(NEXT) | instid1(VALU_DEP_1)
	v_fmac_f32_e32 v18, v20, v17
	v_fma_f32 v10, -v10, v18, v19
	s_delay_alu instid0(VALU_DEP_1) | instskip(NEXT) | instid1(VALU_DEP_1)
	v_div_fmas_f32 v10, v10, v17, v18
	v_div_fixup_f32 v11, v10, v11, 1.0
	s_delay_alu instid0(VALU_DEP_1)
	v_mul_f32_e32 v10, v12, v11
	v_xor_b32_e32 v11, 0x80000000, v11
.LBB2_9:
	s_and_not1_saveexec_b32 s1, s1
	s_cbranch_execz .LBB2_11
; %bb.10:
	s_delay_alu instid0(VALU_DEP_1) | instskip(SKIP_1) | instid1(VALU_DEP_2)
	v_div_scale_f32 v12, null, v10, v10, v11
	v_div_scale_f32 v19, vcc_lo, v11, v10, v11
	v_rcp_f32_e32 v17, v12
	v_nop
	s_delay_alu instid0(TRANS32_DEP_1) | instskip(NEXT) | instid1(VALU_DEP_1)
	v_fma_f32 v18, -v12, v17, 1.0
	v_fmac_f32_e32 v17, v18, v17
	s_delay_alu instid0(VALU_DEP_1) | instskip(NEXT) | instid1(VALU_DEP_1)
	v_mul_f32_e32 v18, v19, v17
	v_fma_f32 v20, -v12, v18, v19
	s_delay_alu instid0(VALU_DEP_1) | instskip(NEXT) | instid1(VALU_DEP_1)
	v_fmac_f32_e32 v18, v20, v17
	v_fma_f32 v12, -v12, v18, v19
	s_delay_alu instid0(VALU_DEP_1) | instskip(NEXT) | instid1(VALU_DEP_1)
	v_div_fmas_f32 v12, v12, v17, v18
	v_div_fixup_f32 v12, v12, v10, v11
	s_delay_alu instid0(VALU_DEP_1) | instskip(NEXT) | instid1(VALU_DEP_1)
	v_fmac_f32_e32 v10, v11, v12
	v_div_scale_f32 v11, null, v10, v10, 1.0
	s_delay_alu instid0(VALU_DEP_1) | instskip(SKIP_1) | instid1(TRANS32_DEP_1)
	v_rcp_f32_e32 v17, v11
	v_nop
	v_fma_f32 v18, -v11, v17, 1.0
	s_delay_alu instid0(VALU_DEP_1) | instskip(SKIP_1) | instid1(VALU_DEP_1)
	v_fmac_f32_e32 v17, v18, v17
	v_div_scale_f32 v18, vcc_lo, 1.0, v10, 1.0
	v_mul_f32_e32 v19, v18, v17
	s_delay_alu instid0(VALU_DEP_1) | instskip(NEXT) | instid1(VALU_DEP_1)
	v_fma_f32 v20, -v11, v19, v18
	v_fmac_f32_e32 v19, v20, v17
	s_delay_alu instid0(VALU_DEP_1) | instskip(NEXT) | instid1(VALU_DEP_1)
	v_fma_f32 v11, -v11, v19, v18
	v_div_fmas_f32 v11, v11, v17, v19
	s_delay_alu instid0(VALU_DEP_1) | instskip(NEXT) | instid1(VALU_DEP_1)
	v_div_fixup_f32 v10, v11, v10, 1.0
	v_mul_f32_e64 v11, v12, -v10
.LBB2_11:
	s_or_b32 exec_lo, exec_lo, s1
	v_dual_mov_b32 v18, 0 :: v_dual_mov_b32 v17, 2
.LBB2_12:
	s_or_b32 exec_lo, exec_lo, s0
	s_delay_alu instid0(SALU_CYCLE_1)
	s_mov_b32 s0, exec_lo
	v_cmpx_ne_u32_e64 v16, v13
	s_xor_b32 s0, exec_lo, s0
	s_cbranch_execz .LBB2_18
; %bb.13:
	s_mov_b32 s1, exec_lo
	v_cmpx_eq_u32_e32 0, v16
	s_cbranch_execz .LBB2_17
; %bb.14:
	v_cmp_ne_u32_e32 vcc_lo, 0, v13
	s_xor_b32 s15, s2, -1
	s_delay_alu instid0(SALU_CYCLE_1) | instskip(NEXT) | instid1(SALU_CYCLE_1)
	s_and_b32 s16, s15, vcc_lo
	s_and_saveexec_b32 s15, s16
	s_cbranch_execz .LBB2_16
; %bb.15:
	v_dual_mov_b32 v20, v13 :: v_dual_ashrrev_i32 v21, 31, v13
	s_delay_alu instid0(VALU_DEP_1)
	v_lshl_add_u64 v[20:21], v[20:21], 2, v[8:9]
	s_clause 0x1
	global_load_b32 v12, v[20:21], off
	global_load_b32 v16, v[8:9], off
	s_wait_loadcnt 0x1
	global_store_b32 v[8:9], v12, off
	s_wait_loadcnt 0x0
	global_store_b32 v[20:21], v16, off
.LBB2_16:
	s_wait_xcnt 0x0
	s_or_b32 exec_lo, exec_lo, s15
	v_mov_b32_e32 v16, v13
.LBB2_17:
	s_or_b32 exec_lo, exec_lo, s1
.LBB2_18:
	s_or_saveexec_b32 s0, s0
	s_delay_alu instid0(VALU_DEP_1)
	v_mov_b32_e32 v13, v16
	s_xor_b32 exec_lo, exec_lo, s0
; %bb.19:
	v_mov_b32_e32 v13, 0
	ds_store_b64 v14, v[4:5] offset:8
; %bb.20:
	s_or_b32 exec_lo, exec_lo, s0
	s_delay_alu instid0(SALU_CYCLE_1)
	s_mov_b32 s0, exec_lo
	s_wait_storecnt_dscnt 0x0
	s_barrier_signal -1
	s_barrier_wait -1
	v_cmpx_lt_i32_e32 0, v13
	s_cbranch_execz .LBB2_22
; %bb.21:
	ds_load_b64 v[20:21], v14 offset:8
	v_pk_mul_f32 v[22:23], v[10:11], v[6:7] op_sel:[1,1] op_sel_hi:[0,1]
	s_delay_alu instid0(VALU_DEP_1) | instskip(SKIP_2) | instid1(VALU_DEP_2)
	v_pk_fma_f32 v[24:25], v[10:11], v[6:7], v[22:23] op_sel_hi:[1,0,1]
	v_pk_fma_f32 v[6:7], v[10:11], v[6:7], v[22:23] op_sel_hi:[1,0,1] neg_lo:[0,0,1] neg_hi:[0,0,1]
	s_wait_dscnt 0x0
	v_pk_mul_f32 v[10:11], v[20:21], v[24:25] op_sel:[1,1] op_sel_hi:[0,1]
	s_delay_alu instid0(VALU_DEP_1) | instskip(SKIP_1) | instid1(VALU_DEP_2)
	v_pk_fma_f32 v[22:23], v[20:21], v[6:7], v[10:11] op_sel_hi:[1,0,1]
	v_pk_fma_f32 v[10:11], v[20:21], v[6:7], v[10:11] neg_lo:[0,0,1] neg_hi:[0,0,1]
	v_dual_mov_b32 v7, v25 :: v_dual_mov_b32 v11, v23
	s_delay_alu instid0(VALU_DEP_1)
	v_pk_add_f32 v[4:5], v[4:5], v[10:11] neg_lo:[0,1] neg_hi:[0,1]
.LBB2_22:
	s_or_b32 exec_lo, exec_lo, s0
	v_lshl_add_u32 v10, v13, 3, v14
	s_barrier_signal -1
	s_barrier_wait -1
	ds_store_b64 v10, v[4:5]
	s_wait_dscnt 0x0
	s_barrier_signal -1
	s_barrier_wait -1
	ds_load_b64 v[10:11], v14 offset:8
	v_mov_b32_e32 v12, 1
	s_cmp_lt_i32 s14, 3
	s_cbranch_scc1 .LBB2_25
; %bb.23:
	v_add3_u32 v14, v15, 0, 16
	v_mov_b32_e32 v12, 1
	s_mov_b32 s0, 2
.LBB2_24:                               ; =>This Inner Loop Header: Depth=1
	ds_load_b64 v[20:21], v14
	s_wait_dscnt 0x1
	v_cmp_gt_f32_e32 vcc_lo, 0, v10
	v_cndmask_b32_e64 v22, v10, -v10, vcc_lo
	v_cmp_gt_f32_e32 vcc_lo, 0, v11
	v_cndmask_b32_e64 v24, v11, -v11, vcc_lo
	s_wait_dscnt 0x0
	v_cmp_gt_f32_e32 vcc_lo, 0, v20
	v_cndmask_b32_e64 v23, v20, -v20, vcc_lo
	v_cmp_gt_f32_e32 vcc_lo, 0, v21
	v_cndmask_b32_e64 v25, v21, -v21, vcc_lo
	s_delay_alu instid0(VALU_DEP_1) | instskip(NEXT) | instid1(VALU_DEP_1)
	v_pk_add_f32 v[22:23], v[22:23], v[24:25]
	v_cmp_lt_f32_e32 vcc_lo, v22, v23
	v_dual_cndmask_b32 v11, v11, v21 :: v_dual_add_nc_u32 v14, 8, v14
	v_cndmask_b32_e32 v10, v10, v20, vcc_lo
	v_cndmask_b32_e64 v12, v12, s0, vcc_lo
	s_add_co_i32 s0, s0, 1
	s_delay_alu instid0(SALU_CYCLE_1)
	s_cmp_lg_u32 s14, s0
	s_cbranch_scc1 .LBB2_24
.LBB2_25:
	s_wait_dscnt 0x0
	v_cmp_neq_f32_e32 vcc_lo, 0, v10
	v_cmp_neq_f32_e64 s0, 0, v11
	s_or_b32 s1, vcc_lo, s0
	s_delay_alu instid0(SALU_CYCLE_1)
	s_and_saveexec_b32 s0, s1
	s_cbranch_execz .LBB2_31
; %bb.26:
	v_cmp_ngt_f32_e64 s1, |v10|, |v11|
	s_and_saveexec_b32 s14, s1
	s_delay_alu instid0(SALU_CYCLE_1)
	s_xor_b32 s1, exec_lo, s14
	s_cbranch_execz .LBB2_28
; %bb.27:
	v_div_scale_f32 v14, null, v11, v11, v10
	v_div_scale_f32 v19, vcc_lo, v10, v11, v10
	s_delay_alu instid0(VALU_DEP_2) | instskip(SKIP_1) | instid1(TRANS32_DEP_1)
	v_rcp_f32_e32 v15, v14
	v_nop
	v_fma_f32 v17, -v14, v15, 1.0
	s_delay_alu instid0(VALU_DEP_1) | instskip(NEXT) | instid1(VALU_DEP_1)
	v_fmac_f32_e32 v15, v17, v15
	v_mul_f32_e32 v17, v19, v15
	s_delay_alu instid0(VALU_DEP_1) | instskip(NEXT) | instid1(VALU_DEP_1)
	v_fma_f32 v20, -v14, v17, v19
	v_fmac_f32_e32 v17, v20, v15
	s_delay_alu instid0(VALU_DEP_1) | instskip(NEXT) | instid1(VALU_DEP_1)
	v_fma_f32 v14, -v14, v17, v19
	v_div_fmas_f32 v14, v14, v15, v17
	s_delay_alu instid0(VALU_DEP_1) | instskip(NEXT) | instid1(VALU_DEP_1)
	v_div_fixup_f32 v14, v14, v11, v10
	v_fmac_f32_e32 v11, v10, v14
	s_delay_alu instid0(VALU_DEP_1) | instskip(SKIP_1) | instid1(VALU_DEP_2)
	v_div_scale_f32 v10, null, v11, v11, 1.0
	v_div_scale_f32 v19, vcc_lo, 1.0, v11, 1.0
	v_rcp_f32_e32 v15, v10
	v_nop
	s_delay_alu instid0(TRANS32_DEP_1) | instskip(NEXT) | instid1(VALU_DEP_1)
	v_fma_f32 v17, -v10, v15, 1.0
	v_fmac_f32_e32 v15, v17, v15
	s_delay_alu instid0(VALU_DEP_1) | instskip(NEXT) | instid1(VALU_DEP_1)
	v_mul_f32_e32 v17, v19, v15
	v_fma_f32 v20, -v10, v17, v19
	s_delay_alu instid0(VALU_DEP_1) | instskip(NEXT) | instid1(VALU_DEP_1)
	v_fmac_f32_e32 v17, v20, v15
	v_fma_f32 v10, -v10, v17, v19
	s_delay_alu instid0(VALU_DEP_1) | instskip(NEXT) | instid1(VALU_DEP_1)
	v_div_fmas_f32 v10, v10, v15, v17
	v_div_fixup_f32 v11, v10, v11, 1.0
	s_delay_alu instid0(VALU_DEP_1)
	v_mul_f32_e32 v10, v14, v11
	v_xor_b32_e32 v11, 0x80000000, v11
.LBB2_28:
	s_and_not1_saveexec_b32 s1, s1
	s_cbranch_execz .LBB2_30
; %bb.29:
	s_delay_alu instid0(VALU_DEP_1) | instskip(SKIP_1) | instid1(VALU_DEP_2)
	v_div_scale_f32 v14, null, v10, v10, v11
	v_div_scale_f32 v19, vcc_lo, v11, v10, v11
	v_rcp_f32_e32 v15, v14
	v_nop
	s_delay_alu instid0(TRANS32_DEP_1) | instskip(NEXT) | instid1(VALU_DEP_1)
	v_fma_f32 v17, -v14, v15, 1.0
	v_fmac_f32_e32 v15, v17, v15
	s_delay_alu instid0(VALU_DEP_1) | instskip(NEXT) | instid1(VALU_DEP_1)
	v_mul_f32_e32 v17, v19, v15
	v_fma_f32 v20, -v14, v17, v19
	s_delay_alu instid0(VALU_DEP_1) | instskip(NEXT) | instid1(VALU_DEP_1)
	v_fmac_f32_e32 v17, v20, v15
	v_fma_f32 v14, -v14, v17, v19
	s_delay_alu instid0(VALU_DEP_1) | instskip(NEXT) | instid1(VALU_DEP_1)
	v_div_fmas_f32 v14, v14, v15, v17
	v_div_fixup_f32 v14, v14, v10, v11
	s_delay_alu instid0(VALU_DEP_1) | instskip(NEXT) | instid1(VALU_DEP_1)
	v_fmac_f32_e32 v10, v11, v14
	v_div_scale_f32 v11, null, v10, v10, 1.0
	s_delay_alu instid0(VALU_DEP_1) | instskip(SKIP_1) | instid1(TRANS32_DEP_1)
	v_rcp_f32_e32 v15, v11
	v_nop
	v_fma_f32 v17, -v11, v15, 1.0
	s_delay_alu instid0(VALU_DEP_1) | instskip(SKIP_1) | instid1(VALU_DEP_1)
	v_fmac_f32_e32 v15, v17, v15
	v_div_scale_f32 v17, vcc_lo, 1.0, v10, 1.0
	v_mul_f32_e32 v19, v17, v15
	s_delay_alu instid0(VALU_DEP_1) | instskip(NEXT) | instid1(VALU_DEP_1)
	v_fma_f32 v20, -v11, v19, v17
	v_fmac_f32_e32 v19, v20, v15
	s_delay_alu instid0(VALU_DEP_1) | instskip(NEXT) | instid1(VALU_DEP_1)
	v_fma_f32 v11, -v11, v19, v17
	v_div_fmas_f32 v11, v11, v15, v19
	s_delay_alu instid0(VALU_DEP_1) | instskip(NEXT) | instid1(VALU_DEP_1)
	v_div_fixup_f32 v10, v11, v10, 1.0
	v_mul_f32_e64 v11, v14, -v10
.LBB2_30:
	s_or_b32 exec_lo, exec_lo, s1
	v_mov_b32_e32 v17, v18
.LBB2_31:
	s_or_b32 exec_lo, exec_lo, s0
	v_mov_b32_e32 v14, 1
	s_mov_b32 s0, exec_lo
	v_cmpx_ne_u32_e64 v13, v12
	s_cbranch_execz .LBB2_37
; %bb.32:
	s_mov_b32 s1, exec_lo
	v_cmpx_eq_u32_e32 1, v13
	s_cbranch_execz .LBB2_36
; %bb.33:
	v_cmp_ne_u32_e32 vcc_lo, 1, v12
	s_xor_b32 s2, s2, -1
	s_delay_alu instid0(SALU_CYCLE_1) | instskip(NEXT) | instid1(SALU_CYCLE_1)
	s_and_b32 s14, s2, vcc_lo
	s_and_saveexec_b32 s2, s14
	s_cbranch_execz .LBB2_35
; %bb.34:
	v_ashrrev_i32_e32 v13, 31, v12
	s_delay_alu instid0(VALU_DEP_1)
	v_lshl_add_u64 v[14:15], v[12:13], 2, v[8:9]
	s_clause 0x1
	global_load_b32 v13, v[14:15], off
	global_load_b32 v16, v[8:9], off offset:4
	s_wait_loadcnt 0x1
	global_store_b32 v[8:9], v13, off offset:4
	s_wait_loadcnt 0x0
	global_store_b32 v[14:15], v16, off
.LBB2_35:
	s_wait_xcnt 0x0
	s_or_b32 exec_lo, exec_lo, s2
	v_dual_mov_b32 v13, v12 :: v_dual_mov_b32 v16, v12
.LBB2_36:
	s_or_b32 exec_lo, exec_lo, s1
	s_delay_alu instid0(VALU_DEP_1)
	v_mov_b32_e32 v14, v13
.LBB2_37:
	s_or_b32 exec_lo, exec_lo, s0
	s_delay_alu instid0(VALU_DEP_1)
	v_ashrrev_i32_e32 v15, 31, v14
	s_mov_b32 s0, exec_lo
	s_wait_storecnt 0x0
	s_barrier_signal -1
	s_barrier_wait -1
	s_barrier_signal -1
	s_barrier_wait -1
	v_cmpx_gt_i32_e32 2, v14
	s_cbranch_execz .LBB2_39
; %bb.38:
	v_mul_u64_e32 v[8:9], s[10:11], v[2:3]
	v_add3_u32 v12, v16, s3, 1
	s_delay_alu instid0(VALU_DEP_2) | instskip(NEXT) | instid1(VALU_DEP_1)
	v_lshl_add_u64 v[8:9], v[8:9], 2, s[6:7]
	v_lshl_add_u64 v[8:9], s[8:9], 2, v[8:9]
	s_delay_alu instid0(VALU_DEP_1)
	v_lshl_add_u64 v[8:9], v[14:15], 2, v[8:9]
	global_store_b32 v[8:9], v12, off
.LBB2_39:
	s_wait_xcnt 0x0
	s_or_b32 exec_lo, exec_lo, s0
	s_delay_alu instid0(SALU_CYCLE_1)
	s_mov_b32 s1, exec_lo
	v_cmpx_eq_u32_e32 0, v14
	s_cbranch_execz .LBB2_42
; %bb.40:
	s_wait_kmcnt 0x0
	v_lshl_add_u64 v[2:3], v[2:3], 2, s[12:13]
	v_cmp_ne_u32_e64 s0, 0, v17
	global_load_b32 v8, v[2:3], off
	s_wait_loadcnt 0x0
	v_cmp_eq_u32_e32 vcc_lo, 0, v8
	s_and_b32 s0, vcc_lo, s0
	s_wait_xcnt 0x0
	s_and_b32 exec_lo, exec_lo, s0
	s_cbranch_execz .LBB2_42
; %bb.41:
	v_add_nc_u32_e32 v8, s3, v17
	global_store_b32 v[2:3], v8, off
.LBB2_42:
	s_wait_xcnt 0x0
	s_or_b32 exec_lo, exec_lo, s1
	v_pk_mul_f32 v[2:3], v[10:11], v[4:5] op_sel:[1,1] op_sel_hi:[0,1]
	v_cmp_lt_i32_e32 vcc_lo, 1, v14
	v_lshl_add_u64 v[0:1], v[14:15], 3, v[0:1]
	s_delay_alu instid0(VALU_DEP_3) | instskip(SKIP_1) | instid1(VALU_DEP_1)
	v_pk_fma_f32 v[8:9], v[10:11], v[4:5], v[2:3] op_sel_hi:[1,0,1]
	v_pk_fma_f32 v[2:3], v[10:11], v[4:5], v[2:3] neg_lo:[0,0,1] neg_hi:[0,0,1]
	v_dual_cndmask_b32 v3, v5, v9 :: v_dual_cndmask_b32 v2, v4, v2
	s_delay_alu instid0(VALU_DEP_4)
	v_lshl_add_u64 v[4:5], s[4:5], 3, v[0:1]
	s_clause 0x1
	global_store_b64 v[0:1], v[6:7], off
	global_store_b64 v[4:5], v[2:3], off
.LBB2_43:
	s_endpgm
	.section	.rodata,"a",@progbits
	.p2align	6, 0x0
	.amdhsa_kernel _ZN9rocsolver6v33100L18getf2_small_kernelILi2E19rocblas_complex_numIfEiiPS3_EEvT1_T3_lS5_lPS5_llPT2_S5_S5_S7_l
		.amdhsa_group_segment_fixed_size 0
		.amdhsa_private_segment_fixed_size 0
		.amdhsa_kernarg_size 352
		.amdhsa_user_sgpr_count 2
		.amdhsa_user_sgpr_dispatch_ptr 0
		.amdhsa_user_sgpr_queue_ptr 0
		.amdhsa_user_sgpr_kernarg_segment_ptr 1
		.amdhsa_user_sgpr_dispatch_id 0
		.amdhsa_user_sgpr_kernarg_preload_length 0
		.amdhsa_user_sgpr_kernarg_preload_offset 0
		.amdhsa_user_sgpr_private_segment_size 0
		.amdhsa_wavefront_size32 1
		.amdhsa_uses_dynamic_stack 0
		.amdhsa_enable_private_segment 0
		.amdhsa_system_sgpr_workgroup_id_x 1
		.amdhsa_system_sgpr_workgroup_id_y 1
		.amdhsa_system_sgpr_workgroup_id_z 0
		.amdhsa_system_sgpr_workgroup_info 0
		.amdhsa_system_vgpr_workitem_id 1
		.amdhsa_next_free_vgpr 26
		.amdhsa_next_free_sgpr 17
		.amdhsa_named_barrier_count 0
		.amdhsa_reserve_vcc 1
		.amdhsa_float_round_mode_32 0
		.amdhsa_float_round_mode_16_64 0
		.amdhsa_float_denorm_mode_32 3
		.amdhsa_float_denorm_mode_16_64 3
		.amdhsa_fp16_overflow 0
		.amdhsa_memory_ordered 1
		.amdhsa_forward_progress 1
		.amdhsa_inst_pref_size 20
		.amdhsa_round_robin_scheduling 0
		.amdhsa_exception_fp_ieee_invalid_op 0
		.amdhsa_exception_fp_denorm_src 0
		.amdhsa_exception_fp_ieee_div_zero 0
		.amdhsa_exception_fp_ieee_overflow 0
		.amdhsa_exception_fp_ieee_underflow 0
		.amdhsa_exception_fp_ieee_inexact 0
		.amdhsa_exception_int_div_zero 0
	.end_amdhsa_kernel
	.section	.text._ZN9rocsolver6v33100L18getf2_small_kernelILi2E19rocblas_complex_numIfEiiPS3_EEvT1_T3_lS5_lPS5_llPT2_S5_S5_S7_l,"axG",@progbits,_ZN9rocsolver6v33100L18getf2_small_kernelILi2E19rocblas_complex_numIfEiiPS3_EEvT1_T3_lS5_lPS5_llPT2_S5_S5_S7_l,comdat
.Lfunc_end2:
	.size	_ZN9rocsolver6v33100L18getf2_small_kernelILi2E19rocblas_complex_numIfEiiPS3_EEvT1_T3_lS5_lPS5_llPT2_S5_S5_S7_l, .Lfunc_end2-_ZN9rocsolver6v33100L18getf2_small_kernelILi2E19rocblas_complex_numIfEiiPS3_EEvT1_T3_lS5_lPS5_llPT2_S5_S5_S7_l
                                        ; -- End function
	.set _ZN9rocsolver6v33100L18getf2_small_kernelILi2E19rocblas_complex_numIfEiiPS3_EEvT1_T3_lS5_lPS5_llPT2_S5_S5_S7_l.num_vgpr, 26
	.set _ZN9rocsolver6v33100L18getf2_small_kernelILi2E19rocblas_complex_numIfEiiPS3_EEvT1_T3_lS5_lPS5_llPT2_S5_S5_S7_l.num_agpr, 0
	.set _ZN9rocsolver6v33100L18getf2_small_kernelILi2E19rocblas_complex_numIfEiiPS3_EEvT1_T3_lS5_lPS5_llPT2_S5_S5_S7_l.numbered_sgpr, 17
	.set _ZN9rocsolver6v33100L18getf2_small_kernelILi2E19rocblas_complex_numIfEiiPS3_EEvT1_T3_lS5_lPS5_llPT2_S5_S5_S7_l.num_named_barrier, 0
	.set _ZN9rocsolver6v33100L18getf2_small_kernelILi2E19rocblas_complex_numIfEiiPS3_EEvT1_T3_lS5_lPS5_llPT2_S5_S5_S7_l.private_seg_size, 0
	.set _ZN9rocsolver6v33100L18getf2_small_kernelILi2E19rocblas_complex_numIfEiiPS3_EEvT1_T3_lS5_lPS5_llPT2_S5_S5_S7_l.uses_vcc, 1
	.set _ZN9rocsolver6v33100L18getf2_small_kernelILi2E19rocblas_complex_numIfEiiPS3_EEvT1_T3_lS5_lPS5_llPT2_S5_S5_S7_l.uses_flat_scratch, 0
	.set _ZN9rocsolver6v33100L18getf2_small_kernelILi2E19rocblas_complex_numIfEiiPS3_EEvT1_T3_lS5_lPS5_llPT2_S5_S5_S7_l.has_dyn_sized_stack, 0
	.set _ZN9rocsolver6v33100L18getf2_small_kernelILi2E19rocblas_complex_numIfEiiPS3_EEvT1_T3_lS5_lPS5_llPT2_S5_S5_S7_l.has_recursion, 0
	.set _ZN9rocsolver6v33100L18getf2_small_kernelILi2E19rocblas_complex_numIfEiiPS3_EEvT1_T3_lS5_lPS5_llPT2_S5_S5_S7_l.has_indirect_call, 0
	.section	.AMDGPU.csdata,"",@progbits
; Kernel info:
; codeLenInByte = 2476
; TotalNumSgprs: 19
; NumVgprs: 26
; ScratchSize: 0
; MemoryBound: 0
; FloatMode: 240
; IeeeMode: 1
; LDSByteSize: 0 bytes/workgroup (compile time only)
; SGPRBlocks: 0
; VGPRBlocks: 1
; NumSGPRsForWavesPerEU: 19
; NumVGPRsForWavesPerEU: 26
; NamedBarCnt: 0
; Occupancy: 16
; WaveLimiterHint : 0
; COMPUTE_PGM_RSRC2:SCRATCH_EN: 0
; COMPUTE_PGM_RSRC2:USER_SGPR: 2
; COMPUTE_PGM_RSRC2:TRAP_HANDLER: 0
; COMPUTE_PGM_RSRC2:TGID_X_EN: 1
; COMPUTE_PGM_RSRC2:TGID_Y_EN: 1
; COMPUTE_PGM_RSRC2:TGID_Z_EN: 0
; COMPUTE_PGM_RSRC2:TIDIG_COMP_CNT: 1
	.section	.text._ZN9rocsolver6v33100L23getf2_npvt_small_kernelILi2E19rocblas_complex_numIfEiiPS3_EEvT1_T3_lS5_lPT2_S5_S5_,"axG",@progbits,_ZN9rocsolver6v33100L23getf2_npvt_small_kernelILi2E19rocblas_complex_numIfEiiPS3_EEvT1_T3_lS5_lPT2_S5_S5_,comdat
	.globl	_ZN9rocsolver6v33100L23getf2_npvt_small_kernelILi2E19rocblas_complex_numIfEiiPS3_EEvT1_T3_lS5_lPT2_S5_S5_ ; -- Begin function _ZN9rocsolver6v33100L23getf2_npvt_small_kernelILi2E19rocblas_complex_numIfEiiPS3_EEvT1_T3_lS5_lPT2_S5_S5_
	.p2align	8
	.type	_ZN9rocsolver6v33100L23getf2_npvt_small_kernelILi2E19rocblas_complex_numIfEiiPS3_EEvT1_T3_lS5_lPT2_S5_S5_,@function
_ZN9rocsolver6v33100L23getf2_npvt_small_kernelILi2E19rocblas_complex_numIfEiiPS3_EEvT1_T3_lS5_lPT2_S5_S5_: ; @_ZN9rocsolver6v33100L23getf2_npvt_small_kernelILi2E19rocblas_complex_numIfEiiPS3_EEvT1_T3_lS5_lPT2_S5_S5_
; %bb.0:
	s_clause 0x1
	s_load_u16 s8, s[0:1], 0x46
	s_load_b64 s[2:3], s[0:1], 0x30
	s_bfe_u32 s4, ttmp6, 0x40010
	s_bfe_u32 s5, ttmp6, 0x40004
	s_add_co_i32 s4, s4, 1
	s_getreg_b32 s6, hwreg(HW_REG_IB_STS2, 6, 4)
	s_mul_i32 s4, ttmp7, s4
	v_bfe_u32 v10, v0, 10, 10
	s_add_co_i32 s5, s5, s4
	s_cmp_eq_u32 s6, 0
	s_cselect_b32 s4, ttmp7, s5
	s_wait_kmcnt 0x0
	v_mad_u32 v2, s4, s8, v10
	s_delay_alu instid0(VALU_DEP_1)
	v_cmp_gt_i32_e32 vcc_lo, s2, v2
	s_and_saveexec_b32 s2, vcc_lo
	s_cbranch_execz .LBB3_22
; %bb.1:
	s_load_b128 s[4:7], s[0:1], 0x20
	v_ashrrev_i32_e32 v3, 31, v2
	v_and_b32_e32 v14, 0x3ff, v0
	v_dual_lshlrev_b32 v11, 3, v10 :: v_dual_lshlrev_b32 v10, 4, v10
	s_delay_alu instid0(VALU_DEP_1)
	v_add_nc_u32_e32 v16, 0, v10
	s_wait_kmcnt 0x0
	v_mul_u64_e32 v[4:5], s[4:5], v[2:3]
	s_clause 0x1
	s_load_b128 s[12:15], s[0:1], 0x8
	s_load_b32 s4, s[0:1], 0x18
	s_wait_xcnt 0x0
	s_lshl_b32 s0, s8, 4
	v_cmp_ne_u32_e64 s1, 0, v14
	v_add3_u32 v15, 0, s0, v11
	v_cmp_eq_u32_e64 s0, 0, v14
	s_wait_kmcnt 0x0
	s_ashr_i32 s5, s4, 31
	v_lshl_add_u64 v[0:1], v[4:5], 3, s[12:13]
	v_dual_mov_b32 v5, 0 :: v_dual_lshlrev_b32 v4, 3, v14
	s_delay_alu instid0(VALU_DEP_2) | instskip(NEXT) | instid1(VALU_DEP_1)
	v_lshl_add_u64 v[0:1], s[14:15], 3, v[0:1]
	v_add_nc_u64_e32 v[0:1], v[0:1], v[4:5]
	s_delay_alu instid0(VALU_DEP_1)
	v_lshl_add_u64 v[4:5], s[4:5], 3, v[0:1]
	s_clause 0x1
	global_load_b64 v[8:9], v[0:1], off
	global_load_b64 v[6:7], v[4:5], off
	s_wait_xcnt 0x0
	s_and_saveexec_b32 s4, s0
	s_cbranch_execz .LBB3_8
; %bb.2:
	s_wait_loadcnt 0x1
	ds_store_b64 v15, v[8:9]
	s_wait_loadcnt 0x0
	ds_store_b64 v16, v[6:7] offset:8
	ds_load_b64 v[10:11], v15
	s_wait_dscnt 0x0
	v_cmp_neq_f32_e32 vcc_lo, 0, v10
	v_cmp_neq_f32_e64 s2, 0, v11
	s_or_b32 s2, vcc_lo, s2
	s_delay_alu instid0(SALU_CYCLE_1)
	s_and_b32 exec_lo, exec_lo, s2
	s_cbranch_execz .LBB3_8
; %bb.3:
	v_cmp_ngt_f32_e64 s2, |v10|, |v11|
                                        ; implicit-def: $vgpr12_vgpr13
	s_and_saveexec_b32 s5, s2
	s_delay_alu instid0(SALU_CYCLE_1)
	s_xor_b32 s2, exec_lo, s5
	s_cbranch_execz .LBB3_5
; %bb.4:
	v_div_scale_f32 v12, null, v11, v11, v10
	v_div_scale_f32 v18, vcc_lo, v10, v11, v10
	s_delay_alu instid0(VALU_DEP_2) | instskip(SKIP_1) | instid1(TRANS32_DEP_1)
	v_rcp_f32_e32 v13, v12
	v_nop
	v_fma_f32 v17, -v12, v13, 1.0
	s_delay_alu instid0(VALU_DEP_1) | instskip(NEXT) | instid1(VALU_DEP_1)
	v_fmac_f32_e32 v13, v17, v13
	v_mul_f32_e32 v17, v18, v13
	s_delay_alu instid0(VALU_DEP_1) | instskip(NEXT) | instid1(VALU_DEP_1)
	v_fma_f32 v19, -v12, v17, v18
	v_fmac_f32_e32 v17, v19, v13
	s_delay_alu instid0(VALU_DEP_1) | instskip(NEXT) | instid1(VALU_DEP_1)
	v_fma_f32 v12, -v12, v17, v18
	v_div_fmas_f32 v12, v12, v13, v17
	s_delay_alu instid0(VALU_DEP_1) | instskip(NEXT) | instid1(VALU_DEP_1)
	v_div_fixup_f32 v12, v12, v11, v10
	v_fmac_f32_e32 v11, v10, v12
	s_delay_alu instid0(VALU_DEP_1) | instskip(SKIP_1) | instid1(VALU_DEP_2)
	v_div_scale_f32 v10, null, v11, v11, 1.0
	v_div_scale_f32 v18, vcc_lo, 1.0, v11, 1.0
	v_rcp_f32_e32 v13, v10
	v_nop
	s_delay_alu instid0(TRANS32_DEP_1) | instskip(NEXT) | instid1(VALU_DEP_1)
	v_fma_f32 v17, -v10, v13, 1.0
	v_fmac_f32_e32 v13, v17, v13
	s_delay_alu instid0(VALU_DEP_1) | instskip(NEXT) | instid1(VALU_DEP_1)
	v_mul_f32_e32 v17, v18, v13
	v_fma_f32 v19, -v10, v17, v18
	s_delay_alu instid0(VALU_DEP_1) | instskip(NEXT) | instid1(VALU_DEP_1)
	v_fmac_f32_e32 v17, v19, v13
	v_fma_f32 v10, -v10, v17, v18
	s_delay_alu instid0(VALU_DEP_1) | instskip(NEXT) | instid1(VALU_DEP_1)
	v_div_fmas_f32 v10, v10, v13, v17
	v_div_fixup_f32 v10, v10, v11, 1.0
	s_delay_alu instid0(VALU_DEP_1)
	v_mul_f32_e32 v12, v12, v10
	v_xor_b32_e32 v13, 0x80000000, v10
                                        ; implicit-def: $vgpr10_vgpr11
.LBB3_5:
	s_and_not1_saveexec_b32 s2, s2
	s_cbranch_execz .LBB3_7
; %bb.6:
	v_div_scale_f32 v12, null, v10, v10, v11
	v_div_scale_f32 v18, vcc_lo, v11, v10, v11
	s_delay_alu instid0(VALU_DEP_2) | instskip(SKIP_1) | instid1(TRANS32_DEP_1)
	v_rcp_f32_e32 v13, v12
	v_nop
	v_fma_f32 v17, -v12, v13, 1.0
	s_delay_alu instid0(VALU_DEP_1) | instskip(NEXT) | instid1(VALU_DEP_1)
	v_fmac_f32_e32 v13, v17, v13
	v_mul_f32_e32 v17, v18, v13
	s_delay_alu instid0(VALU_DEP_1) | instskip(NEXT) | instid1(VALU_DEP_1)
	v_fma_f32 v19, -v12, v17, v18
	v_fmac_f32_e32 v17, v19, v13
	s_delay_alu instid0(VALU_DEP_1) | instskip(NEXT) | instid1(VALU_DEP_1)
	v_fma_f32 v12, -v12, v17, v18
	v_div_fmas_f32 v12, v12, v13, v17
	s_delay_alu instid0(VALU_DEP_1) | instskip(NEXT) | instid1(VALU_DEP_1)
	v_div_fixup_f32 v13, v12, v10, v11
	v_fmac_f32_e32 v10, v11, v13
	s_delay_alu instid0(VALU_DEP_1) | instskip(NEXT) | instid1(VALU_DEP_1)
	v_div_scale_f32 v11, null, v10, v10, 1.0
	v_rcp_f32_e32 v12, v11
	v_nop
	s_delay_alu instid0(TRANS32_DEP_1) | instskip(NEXT) | instid1(VALU_DEP_1)
	v_fma_f32 v17, -v11, v12, 1.0
	v_fmac_f32_e32 v12, v17, v12
	v_div_scale_f32 v17, vcc_lo, 1.0, v10, 1.0
	s_delay_alu instid0(VALU_DEP_1) | instskip(NEXT) | instid1(VALU_DEP_1)
	v_mul_f32_e32 v18, v17, v12
	v_fma_f32 v19, -v11, v18, v17
	s_delay_alu instid0(VALU_DEP_1) | instskip(NEXT) | instid1(VALU_DEP_1)
	v_fmac_f32_e32 v18, v19, v12
	v_fma_f32 v11, -v11, v18, v17
	s_delay_alu instid0(VALU_DEP_1) | instskip(NEXT) | instid1(VALU_DEP_1)
	v_div_fmas_f32 v11, v11, v12, v18
	v_div_fixup_f32 v12, v11, v10, 1.0
	s_delay_alu instid0(VALU_DEP_1)
	v_mul_f32_e64 v13, v13, -v12
.LBB3_7:
	s_or_b32 exec_lo, exec_lo, s2
	ds_store_b64 v15, v[12:13]
.LBB3_8:
	s_or_b32 exec_lo, exec_lo, s4
	s_wait_loadcnt_dscnt 0x0
	s_barrier_signal -1
	s_barrier_wait -1
	ds_load_b64 v[10:11], v15
	s_and_saveexec_b32 s2, s1
	s_cbranch_execz .LBB3_10
; %bb.9:
	ds_load_b64 v[12:13], v16 offset:8
	s_wait_dscnt 0x1
	v_pk_mul_f32 v[16:17], v[10:11], v[8:9] op_sel:[1,1] op_sel_hi:[0,1]
	s_delay_alu instid0(VALU_DEP_1) | instskip(SKIP_2) | instid1(VALU_DEP_2)
	v_pk_fma_f32 v[18:19], v[10:11], v[8:9], v[16:17] op_sel_hi:[1,0,1]
	v_pk_fma_f32 v[8:9], v[10:11], v[8:9], v[16:17] op_sel_hi:[1,0,1] neg_lo:[0,0,1] neg_hi:[0,0,1]
	s_wait_dscnt 0x0
	v_pk_mul_f32 v[16:17], v[12:13], v[18:19] op_sel:[1,1] op_sel_hi:[0,1]
	s_delay_alu instid0(VALU_DEP_1) | instskip(SKIP_1) | instid1(VALU_DEP_2)
	v_pk_fma_f32 v[20:21], v[12:13], v[8:9], v[16:17] op_sel_hi:[1,0,1]
	v_pk_fma_f32 v[12:13], v[12:13], v[8:9], v[16:17] neg_lo:[0,0,1] neg_hi:[0,0,1]
	v_dual_mov_b32 v9, v19 :: v_dual_mov_b32 v13, v21
	s_delay_alu instid0(VALU_DEP_1)
	v_pk_add_f32 v[6:7], v[6:7], v[12:13] neg_lo:[0,1] neg_hi:[0,1]
.LBB3_10:
	s_or_b32 exec_lo, exec_lo, s2
	s_wait_dscnt 0x0
	s_barrier_signal -1
	s_barrier_wait -1
	s_mov_b32 s1, exec_lo
	v_cmpx_ne_u32_e32 1, v14
	s_xor_b32 s1, exec_lo, s1
	s_delay_alu instid0(SALU_CYCLE_1)
	s_and_not1_saveexec_b32 s2, s1
	s_cbranch_execz .LBB3_18
; %bb.11:
	v_cmp_neq_f32_e32 vcc_lo, 0, v6
	v_cmp_neq_f32_e64 s1, 0, v7
	ds_store_b64 v15, v[6:7]
	s_or_b32 s4, vcc_lo, s1
	s_delay_alu instid0(SALU_CYCLE_1)
	s_and_saveexec_b32 s1, s4
	s_cbranch_execz .LBB3_17
; %bb.12:
	v_cmp_ngt_f32_e64 s4, |v6|, |v7|
                                        ; implicit-def: $vgpr12_vgpr13
	s_and_saveexec_b32 s5, s4
	s_delay_alu instid0(SALU_CYCLE_1)
	s_xor_b32 s4, exec_lo, s5
	s_cbranch_execz .LBB3_14
; %bb.13:
	v_div_scale_f32 v12, null, v7, v7, v6
	v_div_scale_f32 v17, vcc_lo, v6, v7, v6
	s_delay_alu instid0(VALU_DEP_2) | instskip(SKIP_1) | instid1(TRANS32_DEP_1)
	v_rcp_f32_e32 v13, v12
	v_nop
	v_fma_f32 v16, -v12, v13, 1.0
	s_delay_alu instid0(VALU_DEP_1) | instskip(NEXT) | instid1(VALU_DEP_1)
	v_fmac_f32_e32 v13, v16, v13
	v_mul_f32_e32 v16, v17, v13
	s_delay_alu instid0(VALU_DEP_1) | instskip(NEXT) | instid1(VALU_DEP_1)
	v_fma_f32 v18, -v12, v16, v17
	v_fmac_f32_e32 v16, v18, v13
	s_delay_alu instid0(VALU_DEP_1) | instskip(NEXT) | instid1(VALU_DEP_1)
	v_fma_f32 v12, -v12, v16, v17
	v_div_fmas_f32 v12, v12, v13, v16
	s_delay_alu instid0(VALU_DEP_1) | instskip(NEXT) | instid1(VALU_DEP_1)
	v_div_fixup_f32 v12, v12, v7, v6
	v_fma_f32 v13, v12, v6, v7
	s_delay_alu instid0(VALU_DEP_1) | instskip(SKIP_1) | instid1(VALU_DEP_2)
	v_div_scale_f32 v16, null, v13, v13, 1.0
	v_div_scale_f32 v19, vcc_lo, 1.0, v13, 1.0
	v_rcp_f32_e32 v17, v16
	v_nop
	s_delay_alu instid0(TRANS32_DEP_1) | instskip(NEXT) | instid1(VALU_DEP_1)
	v_fma_f32 v18, -v16, v17, 1.0
	v_fmac_f32_e32 v17, v18, v17
	s_delay_alu instid0(VALU_DEP_1) | instskip(NEXT) | instid1(VALU_DEP_1)
	v_mul_f32_e32 v18, v19, v17
	v_fma_f32 v20, -v16, v18, v19
	s_delay_alu instid0(VALU_DEP_1) | instskip(NEXT) | instid1(VALU_DEP_1)
	v_fmac_f32_e32 v18, v20, v17
	v_fma_f32 v16, -v16, v18, v19
	s_delay_alu instid0(VALU_DEP_1) | instskip(NEXT) | instid1(VALU_DEP_1)
	v_div_fmas_f32 v16, v16, v17, v18
	v_div_fixup_f32 v13, v16, v13, 1.0
	s_delay_alu instid0(VALU_DEP_1)
	v_mul_f32_e32 v12, v12, v13
	v_xor_b32_e32 v13, 0x80000000, v13
.LBB3_14:
	s_and_not1_saveexec_b32 s4, s4
	s_cbranch_execz .LBB3_16
; %bb.15:
	v_div_scale_f32 v12, null, v6, v6, v7
	v_div_scale_f32 v17, vcc_lo, v7, v6, v7
	s_delay_alu instid0(VALU_DEP_2) | instskip(SKIP_1) | instid1(TRANS32_DEP_1)
	v_rcp_f32_e32 v13, v12
	v_nop
	v_fma_f32 v16, -v12, v13, 1.0
	s_delay_alu instid0(VALU_DEP_1) | instskip(NEXT) | instid1(VALU_DEP_1)
	v_fmac_f32_e32 v13, v16, v13
	v_mul_f32_e32 v16, v17, v13
	s_delay_alu instid0(VALU_DEP_1) | instskip(NEXT) | instid1(VALU_DEP_1)
	v_fma_f32 v18, -v12, v16, v17
	v_fmac_f32_e32 v16, v18, v13
	s_delay_alu instid0(VALU_DEP_1) | instskip(NEXT) | instid1(VALU_DEP_1)
	v_fma_f32 v12, -v12, v16, v17
	v_div_fmas_f32 v12, v12, v13, v16
	s_delay_alu instid0(VALU_DEP_1) | instskip(NEXT) | instid1(VALU_DEP_1)
	v_div_fixup_f32 v13, v12, v6, v7
	v_fma_f32 v12, v13, v7, v6
	s_delay_alu instid0(VALU_DEP_1) | instskip(NEXT) | instid1(VALU_DEP_1)
	v_div_scale_f32 v16, null, v12, v12, 1.0
	v_rcp_f32_e32 v17, v16
	v_nop
	s_delay_alu instid0(TRANS32_DEP_1) | instskip(NEXT) | instid1(VALU_DEP_1)
	v_fma_f32 v18, -v16, v17, 1.0
	v_fmac_f32_e32 v17, v18, v17
	v_div_scale_f32 v18, vcc_lo, 1.0, v12, 1.0
	s_delay_alu instid0(VALU_DEP_1) | instskip(NEXT) | instid1(VALU_DEP_1)
	v_mul_f32_e32 v19, v18, v17
	v_fma_f32 v20, -v16, v19, v18
	s_delay_alu instid0(VALU_DEP_1) | instskip(NEXT) | instid1(VALU_DEP_1)
	v_fmac_f32_e32 v19, v20, v17
	v_fma_f32 v16, -v16, v19, v18
	s_delay_alu instid0(VALU_DEP_1) | instskip(NEXT) | instid1(VALU_DEP_1)
	v_div_fmas_f32 v16, v16, v17, v19
	v_div_fixup_f32 v12, v16, v12, 1.0
	s_delay_alu instid0(VALU_DEP_1)
	v_mul_f32_e64 v13, v13, -v12
.LBB3_16:
	s_or_b32 exec_lo, exec_lo, s4
	ds_store_b64 v15, v[12:13]
.LBB3_17:
	s_or_b32 exec_lo, exec_lo, s1
.LBB3_18:
	s_delay_alu instid0(SALU_CYCLE_1)
	s_or_b32 exec_lo, exec_lo, s2
	s_wait_dscnt 0x0
	s_barrier_signal -1
	s_barrier_wait -1
	ds_load_b64 v[12:13], v15
	s_wait_dscnt 0x0
	s_barrier_signal -1
	s_barrier_wait -1
	s_and_saveexec_b32 s4, s0
	s_cbranch_execz .LBB3_21
; %bb.19:
	v_lshl_add_u64 v[2:3], v[2:3], 2, s[6:7]
	v_cmp_eq_f32_e32 vcc_lo, 0, v10
	v_cmp_eq_f32_e64 s0, 0, v11
	v_cmp_neq_f32_e64 s1, 0, v12
	v_cmp_neq_f32_e64 s2, 0, v13
	global_load_b32 v15, v[2:3], off
	s_and_b32 s5, vcc_lo, s0
	s_or_b32 s0, s1, s2
	s_delay_alu instid0(SALU_CYCLE_1) | instskip(NEXT) | instid1(SALU_CYCLE_1)
	s_or_b32 vcc_lo, s0, s5
	s_xor_b32 s1, vcc_lo, -1
	s_delay_alu instid0(SALU_CYCLE_1) | instskip(SKIP_3) | instid1(SALU_CYCLE_1)
	s_or_b32 s1, s1, s5
	s_wait_loadcnt 0x0
	v_cmp_eq_u32_e64 s0, 0, v15
	s_and_b32 s0, s0, s1
	s_and_b32 exec_lo, exec_lo, s0
	s_cbranch_execz .LBB3_21
; %bb.20:
	v_cndmask_b32_e64 v10, 0, 1, s5
	s_delay_alu instid0(VALU_DEP_1) | instskip(NEXT) | instid1(VALU_DEP_1)
	v_cndmask_b32_e32 v10, 2, v10, vcc_lo
	v_add_nc_u32_e32 v10, s3, v10
	global_store_b32 v[2:3], v10, off
.LBB3_21:
	s_wait_xcnt 0x0
	s_or_b32 exec_lo, exec_lo, s4
	v_pk_mul_f32 v[2:3], v[12:13], v[6:7] op_sel:[1,1] op_sel_hi:[0,1]
	v_cmp_lt_u32_e32 vcc_lo, 1, v14
	s_delay_alu instid0(VALU_DEP_2) | instskip(SKIP_1) | instid1(VALU_DEP_1)
	v_pk_fma_f32 v[10:11], v[12:13], v[6:7], v[2:3] neg_lo:[0,0,1] neg_hi:[0,0,1]
	v_pk_fma_f32 v[2:3], v[12:13], v[6:7], v[2:3] op_sel_hi:[1,0,1]
	v_dual_cndmask_b32 v2, v6, v10 :: v_dual_cndmask_b32 v3, v7, v3
	s_clause 0x1
	global_store_b64 v[0:1], v[8:9], off
	global_store_b64 v[4:5], v[2:3], off
.LBB3_22:
	s_endpgm
	.section	.rodata,"a",@progbits
	.p2align	6, 0x0
	.amdhsa_kernel _ZN9rocsolver6v33100L23getf2_npvt_small_kernelILi2E19rocblas_complex_numIfEiiPS3_EEvT1_T3_lS5_lPT2_S5_S5_
		.amdhsa_group_segment_fixed_size 0
		.amdhsa_private_segment_fixed_size 0
		.amdhsa_kernarg_size 312
		.amdhsa_user_sgpr_count 2
		.amdhsa_user_sgpr_dispatch_ptr 0
		.amdhsa_user_sgpr_queue_ptr 0
		.amdhsa_user_sgpr_kernarg_segment_ptr 1
		.amdhsa_user_sgpr_dispatch_id 0
		.amdhsa_user_sgpr_kernarg_preload_length 0
		.amdhsa_user_sgpr_kernarg_preload_offset 0
		.amdhsa_user_sgpr_private_segment_size 0
		.amdhsa_wavefront_size32 1
		.amdhsa_uses_dynamic_stack 0
		.amdhsa_enable_private_segment 0
		.amdhsa_system_sgpr_workgroup_id_x 1
		.amdhsa_system_sgpr_workgroup_id_y 1
		.amdhsa_system_sgpr_workgroup_id_z 0
		.amdhsa_system_sgpr_workgroup_info 0
		.amdhsa_system_vgpr_workitem_id 1
		.amdhsa_next_free_vgpr 22
		.amdhsa_next_free_sgpr 16
		.amdhsa_named_barrier_count 0
		.amdhsa_reserve_vcc 1
		.amdhsa_float_round_mode_32 0
		.amdhsa_float_round_mode_16_64 0
		.amdhsa_float_denorm_mode_32 3
		.amdhsa_float_denorm_mode_16_64 3
		.amdhsa_fp16_overflow 0
		.amdhsa_memory_ordered 1
		.amdhsa_forward_progress 1
		.amdhsa_inst_pref_size 14
		.amdhsa_round_robin_scheduling 0
		.amdhsa_exception_fp_ieee_invalid_op 0
		.amdhsa_exception_fp_denorm_src 0
		.amdhsa_exception_fp_ieee_div_zero 0
		.amdhsa_exception_fp_ieee_overflow 0
		.amdhsa_exception_fp_ieee_underflow 0
		.amdhsa_exception_fp_ieee_inexact 0
		.amdhsa_exception_int_div_zero 0
	.end_amdhsa_kernel
	.section	.text._ZN9rocsolver6v33100L23getf2_npvt_small_kernelILi2E19rocblas_complex_numIfEiiPS3_EEvT1_T3_lS5_lPT2_S5_S5_,"axG",@progbits,_ZN9rocsolver6v33100L23getf2_npvt_small_kernelILi2E19rocblas_complex_numIfEiiPS3_EEvT1_T3_lS5_lPT2_S5_S5_,comdat
.Lfunc_end3:
	.size	_ZN9rocsolver6v33100L23getf2_npvt_small_kernelILi2E19rocblas_complex_numIfEiiPS3_EEvT1_T3_lS5_lPT2_S5_S5_, .Lfunc_end3-_ZN9rocsolver6v33100L23getf2_npvt_small_kernelILi2E19rocblas_complex_numIfEiiPS3_EEvT1_T3_lS5_lPT2_S5_S5_
                                        ; -- End function
	.set _ZN9rocsolver6v33100L23getf2_npvt_small_kernelILi2E19rocblas_complex_numIfEiiPS3_EEvT1_T3_lS5_lPT2_S5_S5_.num_vgpr, 22
	.set _ZN9rocsolver6v33100L23getf2_npvt_small_kernelILi2E19rocblas_complex_numIfEiiPS3_EEvT1_T3_lS5_lPT2_S5_S5_.num_agpr, 0
	.set _ZN9rocsolver6v33100L23getf2_npvt_small_kernelILi2E19rocblas_complex_numIfEiiPS3_EEvT1_T3_lS5_lPT2_S5_S5_.numbered_sgpr, 16
	.set _ZN9rocsolver6v33100L23getf2_npvt_small_kernelILi2E19rocblas_complex_numIfEiiPS3_EEvT1_T3_lS5_lPT2_S5_S5_.num_named_barrier, 0
	.set _ZN9rocsolver6v33100L23getf2_npvt_small_kernelILi2E19rocblas_complex_numIfEiiPS3_EEvT1_T3_lS5_lPT2_S5_S5_.private_seg_size, 0
	.set _ZN9rocsolver6v33100L23getf2_npvt_small_kernelILi2E19rocblas_complex_numIfEiiPS3_EEvT1_T3_lS5_lPT2_S5_S5_.uses_vcc, 1
	.set _ZN9rocsolver6v33100L23getf2_npvt_small_kernelILi2E19rocblas_complex_numIfEiiPS3_EEvT1_T3_lS5_lPT2_S5_S5_.uses_flat_scratch, 0
	.set _ZN9rocsolver6v33100L23getf2_npvt_small_kernelILi2E19rocblas_complex_numIfEiiPS3_EEvT1_T3_lS5_lPT2_S5_S5_.has_dyn_sized_stack, 0
	.set _ZN9rocsolver6v33100L23getf2_npvt_small_kernelILi2E19rocblas_complex_numIfEiiPS3_EEvT1_T3_lS5_lPT2_S5_S5_.has_recursion, 0
	.set _ZN9rocsolver6v33100L23getf2_npvt_small_kernelILi2E19rocblas_complex_numIfEiiPS3_EEvT1_T3_lS5_lPT2_S5_S5_.has_indirect_call, 0
	.section	.AMDGPU.csdata,"",@progbits
; Kernel info:
; codeLenInByte = 1756
; TotalNumSgprs: 18
; NumVgprs: 22
; ScratchSize: 0
; MemoryBound: 0
; FloatMode: 240
; IeeeMode: 1
; LDSByteSize: 0 bytes/workgroup (compile time only)
; SGPRBlocks: 0
; VGPRBlocks: 1
; NumSGPRsForWavesPerEU: 18
; NumVGPRsForWavesPerEU: 22
; NamedBarCnt: 0
; Occupancy: 16
; WaveLimiterHint : 0
; COMPUTE_PGM_RSRC2:SCRATCH_EN: 0
; COMPUTE_PGM_RSRC2:USER_SGPR: 2
; COMPUTE_PGM_RSRC2:TRAP_HANDLER: 0
; COMPUTE_PGM_RSRC2:TGID_X_EN: 1
; COMPUTE_PGM_RSRC2:TGID_Y_EN: 1
; COMPUTE_PGM_RSRC2:TGID_Z_EN: 0
; COMPUTE_PGM_RSRC2:TIDIG_COMP_CNT: 1
	.section	.text._ZN9rocsolver6v33100L18getf2_small_kernelILi3E19rocblas_complex_numIfEiiPS3_EEvT1_T3_lS5_lPS5_llPT2_S5_S5_S7_l,"axG",@progbits,_ZN9rocsolver6v33100L18getf2_small_kernelILi3E19rocblas_complex_numIfEiiPS3_EEvT1_T3_lS5_lPS5_llPT2_S5_S5_S7_l,comdat
	.globl	_ZN9rocsolver6v33100L18getf2_small_kernelILi3E19rocblas_complex_numIfEiiPS3_EEvT1_T3_lS5_lPS5_llPT2_S5_S5_S7_l ; -- Begin function _ZN9rocsolver6v33100L18getf2_small_kernelILi3E19rocblas_complex_numIfEiiPS3_EEvT1_T3_lS5_lPS5_llPT2_S5_S5_S7_l
	.p2align	8
	.type	_ZN9rocsolver6v33100L18getf2_small_kernelILi3E19rocblas_complex_numIfEiiPS3_EEvT1_T3_lS5_lPS5_llPT2_S5_S5_S7_l,@function
_ZN9rocsolver6v33100L18getf2_small_kernelILi3E19rocblas_complex_numIfEiiPS3_EEvT1_T3_lS5_lPS5_llPT2_S5_S5_S7_l: ; @_ZN9rocsolver6v33100L18getf2_small_kernelILi3E19rocblas_complex_numIfEiiPS3_EEvT1_T3_lS5_lPS5_llPT2_S5_S5_S7_l
; %bb.0:
	s_clause 0x1
	s_load_u16 s4, s[0:1], 0x6e
	s_load_b64 s[2:3], s[0:1], 0x48
	s_bfe_u32 s5, ttmp6, 0x40010
	s_bfe_u32 s6, ttmp6, 0x40004
	s_add_co_i32 s5, s5, 1
	s_getreg_b32 s7, hwreg(HW_REG_IB_STS2, 6, 4)
	s_mul_i32 s5, ttmp7, s5
	v_bfe_u32 v12, v0, 10, 10
	s_add_co_i32 s6, s6, s5
	s_cmp_eq_u32 s7, 0
	s_cselect_b32 s5, ttmp7, s6
	s_wait_kmcnt 0x0
	v_mad_u32 v2, s5, s4, v12
	s_delay_alu instid0(VALU_DEP_1)
	v_cmp_gt_i32_e32 vcc_lo, s2, v2
	s_and_saveexec_b32 s2, vcc_lo
	s_cbranch_execz .LBB4_64
; %bb.1:
	s_load_b128 s[4:7], s[0:1], 0x50
	v_mov_b64_e32 v[10:11], 0
	v_ashrrev_i32_e32 v3, 31, v2
	s_wait_kmcnt 0x0
	s_cmp_eq_u64 s[4:5], 0
	s_cselect_b32 s2, -1, 0
	s_delay_alu instid0(SALU_CYCLE_1)
	s_and_b32 vcc_lo, exec_lo, s2
	s_cbranch_vccnz .LBB4_3
; %bb.2:
	v_mul_u64_e32 v[4:5], s[6:7], v[2:3]
	s_delay_alu instid0(VALU_DEP_1)
	v_lshl_add_u64 v[10:11], v[4:5], 2, s[4:5]
.LBB4_3:
	s_load_b256 s[4:11], s[0:1], 0x20
	v_and_b32_e32 v18, 0x3ff, v0
	s_delay_alu instid0(VALU_DEP_1)
	v_dual_mov_b32 v15, 0 :: v_dual_lshlrev_b32 v14, 3, v18
	s_wait_kmcnt 0x0
	v_mul_u64_e32 v[4:5], s[4:5], v[2:3]
	s_clause 0x1
	s_load_b128 s[12:15], s[0:1], 0x8
	s_load_b32 s4, s[0:1], 0x18
	s_wait_kmcnt 0x0
	s_ashr_i32 s5, s4, 31
	s_delay_alu instid0(VALU_DEP_1) | instskip(SKIP_1) | instid1(VALU_DEP_2)
	v_lshl_add_u64 v[0:1], v[4:5], 3, s[12:13]
	v_add3_u32 v4, s4, s4, v18
	v_lshl_add_u64 v[0:1], s[14:15], 3, v[0:1]
	s_delay_alu instid0(VALU_DEP_2) | instskip(SKIP_1) | instid1(VALU_DEP_2)
	v_ashrrev_i32_e32 v5, 31, v4
	s_load_b32 s14, s[0:1], 0x0
	v_add_nc_u64_e32 v[6:7], v[0:1], v[14:15]
	s_delay_alu instid0(VALU_DEP_2)
	v_lshl_add_u64 v[16:17], v[4:5], 3, v[0:1]
	s_clause 0x1
	global_load_b64 v[4:5], v[16:17], off
	global_load_b64 v[8:9], v[6:7], off
	s_wait_xcnt 0x0
	v_lshl_add_u64 v[6:7], s[4:5], 3, v[6:7]
	global_load_b64 v[6:7], v[6:7], off
	s_wait_kmcnt 0x0
	s_max_i32 s12, s14, 3
	s_cmp_lt_i32 s14, 2
	v_mul_lo_u32 v17, s12, v12
	s_load_b64 s[12:13], s[0:1], 0x40
	s_delay_alu instid0(VALU_DEP_1) | instskip(NEXT) | instid1(VALU_DEP_1)
	v_lshl_add_u32 v16, v17, 3, 0
	v_dual_lshlrev_b32 v17, 3, v17 :: v_dual_add_nc_u32 v12, v16, v14
	s_wait_loadcnt 0x1
	ds_store_b64 v12, v[8:9]
	s_wait_loadcnt_dscnt 0x0
	s_barrier_signal -1
	s_barrier_wait -1
	ds_load_b64 v[12:13], v16
	s_cbranch_scc1 .LBB4_6
; %bb.4:
	v_add3_u32 v14, v17, 0, 8
	v_mov_b32_e32 v15, 0
	s_wait_xcnt 0x0
	s_mov_b32 s0, 1
.LBB4_5:                                ; =>This Inner Loop Header: Depth=1
	ds_load_b64 v[20:21], v14
	s_wait_dscnt 0x1
	v_cmp_gt_f32_e32 vcc_lo, 0, v12
	v_cndmask_b32_e64 v22, v12, -v12, vcc_lo
	v_cmp_gt_f32_e32 vcc_lo, 0, v13
	v_cndmask_b32_e64 v24, v13, -v13, vcc_lo
	s_wait_dscnt 0x0
	v_cmp_gt_f32_e32 vcc_lo, 0, v20
	v_cndmask_b32_e64 v23, v20, -v20, vcc_lo
	v_cmp_gt_f32_e32 vcc_lo, 0, v21
	v_cndmask_b32_e64 v25, v21, -v21, vcc_lo
	s_delay_alu instid0(VALU_DEP_1) | instskip(NEXT) | instid1(VALU_DEP_1)
	v_pk_add_f32 v[22:23], v[22:23], v[24:25]
	v_cmp_lt_f32_e32 vcc_lo, v22, v23
	v_dual_cndmask_b32 v13, v13, v21 :: v_dual_add_nc_u32 v14, 8, v14
	v_cndmask_b32_e32 v12, v12, v20, vcc_lo
	v_cndmask_b32_e64 v15, v15, s0, vcc_lo
	s_add_co_i32 s0, s0, 1
	s_delay_alu instid0(SALU_CYCLE_1)
	s_cmp_eq_u32 s14, s0
	s_cbranch_scc0 .LBB4_5
.LBB4_6:
	s_wait_dscnt 0x0
	v_cmp_neq_f32_e32 vcc_lo, 0, v12
	s_wait_xcnt 0x0
	v_cmp_neq_f32_e64 s0, 0, v13
	v_dual_mov_b32 v19, 1 :: v_dual_mov_b32 v20, 1
	s_or_b32 s1, vcc_lo, s0
	s_delay_alu instid0(SALU_CYCLE_1)
	s_and_saveexec_b32 s0, s1
	s_cbranch_execz .LBB4_12
; %bb.7:
	v_cmp_ngt_f32_e64 s1, |v12|, |v13|
	s_and_saveexec_b32 s15, s1
	s_delay_alu instid0(SALU_CYCLE_1)
	s_xor_b32 s1, exec_lo, s15
	s_cbranch_execz .LBB4_9
; %bb.8:
	v_div_scale_f32 v14, null, v13, v13, v12
	v_div_scale_f32 v21, vcc_lo, v12, v13, v12
	s_delay_alu instid0(VALU_DEP_2) | instskip(SKIP_1) | instid1(TRANS32_DEP_1)
	v_rcp_f32_e32 v19, v14
	v_nop
	v_fma_f32 v20, -v14, v19, 1.0
	s_delay_alu instid0(VALU_DEP_1) | instskip(NEXT) | instid1(VALU_DEP_1)
	v_fmac_f32_e32 v19, v20, v19
	v_mul_f32_e32 v20, v21, v19
	s_delay_alu instid0(VALU_DEP_1) | instskip(NEXT) | instid1(VALU_DEP_1)
	v_fma_f32 v22, -v14, v20, v21
	v_fmac_f32_e32 v20, v22, v19
	s_delay_alu instid0(VALU_DEP_1) | instskip(NEXT) | instid1(VALU_DEP_1)
	v_fma_f32 v14, -v14, v20, v21
	v_div_fmas_f32 v14, v14, v19, v20
	s_delay_alu instid0(VALU_DEP_1) | instskip(NEXT) | instid1(VALU_DEP_1)
	v_div_fixup_f32 v14, v14, v13, v12
	v_fmac_f32_e32 v13, v12, v14
	s_delay_alu instid0(VALU_DEP_1) | instskip(SKIP_1) | instid1(VALU_DEP_2)
	v_div_scale_f32 v12, null, v13, v13, 1.0
	v_div_scale_f32 v21, vcc_lo, 1.0, v13, 1.0
	v_rcp_f32_e32 v19, v12
	v_nop
	s_delay_alu instid0(TRANS32_DEP_1) | instskip(NEXT) | instid1(VALU_DEP_1)
	v_fma_f32 v20, -v12, v19, 1.0
	v_fmac_f32_e32 v19, v20, v19
	s_delay_alu instid0(VALU_DEP_1) | instskip(NEXT) | instid1(VALU_DEP_1)
	v_mul_f32_e32 v20, v21, v19
	v_fma_f32 v22, -v12, v20, v21
	s_delay_alu instid0(VALU_DEP_1) | instskip(NEXT) | instid1(VALU_DEP_1)
	v_fmac_f32_e32 v20, v22, v19
	v_fma_f32 v12, -v12, v20, v21
	s_delay_alu instid0(VALU_DEP_1) | instskip(NEXT) | instid1(VALU_DEP_1)
	v_div_fmas_f32 v12, v12, v19, v20
	v_div_fixup_f32 v13, v12, v13, 1.0
	s_delay_alu instid0(VALU_DEP_1)
	v_mul_f32_e32 v12, v14, v13
	v_xor_b32_e32 v13, 0x80000000, v13
.LBB4_9:
	s_and_not1_saveexec_b32 s1, s1
	s_cbranch_execz .LBB4_11
; %bb.10:
	s_delay_alu instid0(VALU_DEP_1) | instskip(SKIP_1) | instid1(VALU_DEP_2)
	v_div_scale_f32 v14, null, v12, v12, v13
	v_div_scale_f32 v21, vcc_lo, v13, v12, v13
	v_rcp_f32_e32 v19, v14
	v_nop
	s_delay_alu instid0(TRANS32_DEP_1) | instskip(NEXT) | instid1(VALU_DEP_1)
	v_fma_f32 v20, -v14, v19, 1.0
	v_fmac_f32_e32 v19, v20, v19
	s_delay_alu instid0(VALU_DEP_1) | instskip(NEXT) | instid1(VALU_DEP_1)
	v_mul_f32_e32 v20, v21, v19
	v_fma_f32 v22, -v14, v20, v21
	s_delay_alu instid0(VALU_DEP_1) | instskip(NEXT) | instid1(VALU_DEP_1)
	v_fmac_f32_e32 v20, v22, v19
	v_fma_f32 v14, -v14, v20, v21
	s_delay_alu instid0(VALU_DEP_1) | instskip(NEXT) | instid1(VALU_DEP_1)
	v_div_fmas_f32 v14, v14, v19, v20
	v_div_fixup_f32 v14, v14, v12, v13
	s_delay_alu instid0(VALU_DEP_1) | instskip(NEXT) | instid1(VALU_DEP_1)
	v_fmac_f32_e32 v12, v13, v14
	v_div_scale_f32 v13, null, v12, v12, 1.0
	s_delay_alu instid0(VALU_DEP_1) | instskip(SKIP_1) | instid1(TRANS32_DEP_1)
	v_rcp_f32_e32 v19, v13
	v_nop
	v_fma_f32 v20, -v13, v19, 1.0
	s_delay_alu instid0(VALU_DEP_1) | instskip(SKIP_1) | instid1(VALU_DEP_1)
	v_fmac_f32_e32 v19, v20, v19
	v_div_scale_f32 v20, vcc_lo, 1.0, v12, 1.0
	v_mul_f32_e32 v21, v20, v19
	s_delay_alu instid0(VALU_DEP_1) | instskip(NEXT) | instid1(VALU_DEP_1)
	v_fma_f32 v22, -v13, v21, v20
	v_fmac_f32_e32 v21, v22, v19
	s_delay_alu instid0(VALU_DEP_1) | instskip(NEXT) | instid1(VALU_DEP_1)
	v_fma_f32 v13, -v13, v21, v20
	v_div_fmas_f32 v13, v13, v19, v21
	s_delay_alu instid0(VALU_DEP_1) | instskip(NEXT) | instid1(VALU_DEP_1)
	v_div_fixup_f32 v12, v13, v12, 1.0
	v_mul_f32_e64 v13, v14, -v12
.LBB4_11:
	s_or_b32 exec_lo, exec_lo, s1
	v_dual_mov_b32 v20, 0 :: v_dual_mov_b32 v19, 2
.LBB4_12:
	s_or_b32 exec_lo, exec_lo, s0
	s_delay_alu instid0(SALU_CYCLE_1)
	s_mov_b32 s0, exec_lo
	v_cmpx_ne_u32_e64 v18, v15
	s_xor_b32 s0, exec_lo, s0
	s_cbranch_execz .LBB4_18
; %bb.13:
	s_mov_b32 s1, exec_lo
	v_cmpx_eq_u32_e32 0, v18
	s_cbranch_execz .LBB4_17
; %bb.14:
	v_cmp_ne_u32_e32 vcc_lo, 0, v15
	s_xor_b32 s15, s2, -1
	s_delay_alu instid0(SALU_CYCLE_1) | instskip(NEXT) | instid1(SALU_CYCLE_1)
	s_and_b32 s16, s15, vcc_lo
	s_and_saveexec_b32 s15, s16
	s_cbranch_execz .LBB4_16
; %bb.15:
	v_dual_mov_b32 v22, v15 :: v_dual_ashrrev_i32 v23, 31, v15
	s_delay_alu instid0(VALU_DEP_1)
	v_lshl_add_u64 v[22:23], v[22:23], 2, v[10:11]
	s_clause 0x1
	global_load_b32 v14, v[22:23], off
	global_load_b32 v18, v[10:11], off
	s_wait_loadcnt 0x1
	global_store_b32 v[10:11], v14, off
	s_wait_loadcnt 0x0
	global_store_b32 v[22:23], v18, off
.LBB4_16:
	s_wait_xcnt 0x0
	s_or_b32 exec_lo, exec_lo, s15
	v_mov_b32_e32 v18, v15
.LBB4_17:
	s_or_b32 exec_lo, exec_lo, s1
.LBB4_18:
	s_or_saveexec_b32 s0, s0
	s_delay_alu instid0(VALU_DEP_1)
	v_mov_b32_e32 v15, v18
	s_xor_b32 exec_lo, exec_lo, s0
; %bb.19:
	v_mov_b32_e32 v15, 0
	ds_store_2addr_b64 v16, v[6:7], v[4:5] offset0:1 offset1:2
; %bb.20:
	s_or_b32 exec_lo, exec_lo, s0
	s_delay_alu instid0(SALU_CYCLE_1)
	s_mov_b32 s0, exec_lo
	s_wait_storecnt_dscnt 0x0
	s_barrier_signal -1
	s_barrier_wait -1
	v_cmpx_lt_i32_e32 0, v15
	s_cbranch_execz .LBB4_22
; %bb.21:
	ds_load_2addr_b64 v[22:25], v16 offset0:1 offset1:2
	v_pk_mul_f32 v[26:27], v[12:13], v[8:9] op_sel:[1,1] op_sel_hi:[0,1]
	s_delay_alu instid0(VALU_DEP_1) | instskip(SKIP_3) | instid1(VALU_DEP_3)
	v_pk_fma_f32 v[28:29], v[12:13], v[8:9], v[26:27] op_sel_hi:[1,0,1]
	v_pk_fma_f32 v[8:9], v[12:13], v[8:9], v[26:27] op_sel_hi:[1,0,1] neg_lo:[0,0,1] neg_hi:[0,0,1]
	s_wait_dscnt 0x0
	v_dual_mov_b32 v30, v25 :: v_dual_mov_b32 v31, v24
	v_pk_mul_f32 v[12:13], v[22:23], v[28:29] op_sel:[0,1]
	s_delay_alu instid0(VALU_DEP_2) | instskip(NEXT) | instid1(VALU_DEP_2)
	v_pk_mul_f32 v[26:27], v[30:31], v[28:29] op_sel:[0,1]
	v_pk_fma_f32 v[30:31], v[22:23], v[8:9], v[12:13] op_sel:[0,0,1] op_sel_hi:[1,0,0]
	v_pk_fma_f32 v[12:13], v[22:23], v[8:9], v[12:13] op_sel:[0,0,1] op_sel_hi:[1,1,0] neg_lo:[0,0,1] neg_hi:[0,0,1]
	s_delay_alu instid0(VALU_DEP_3) | instskip(SKIP_1) | instid1(VALU_DEP_4)
	v_pk_fma_f32 v[32:33], v[24:25], v[8:9], v[26:27] op_sel_hi:[1,0,1]
	v_pk_fma_f32 v[22:23], v[24:25], v[8:9], v[26:27] neg_lo:[0,0,1] neg_hi:[0,0,1]
	v_dual_mov_b32 v13, v31 :: v_dual_mov_b32 v9, v29
	s_delay_alu instid0(VALU_DEP_3) | instskip(NEXT) | instid1(VALU_DEP_2)
	v_mov_b32_e32 v23, v33
	v_pk_add_f32 v[6:7], v[6:7], v[12:13] neg_lo:[0,1] neg_hi:[0,1]
	s_delay_alu instid0(VALU_DEP_2)
	v_pk_add_f32 v[4:5], v[4:5], v[22:23] neg_lo:[0,1] neg_hi:[0,1]
.LBB4_22:
	s_or_b32 exec_lo, exec_lo, s0
	v_lshl_add_u32 v12, v15, 3, v16
	s_barrier_signal -1
	s_barrier_wait -1
	ds_store_b64 v12, v[6:7]
	s_wait_dscnt 0x0
	s_barrier_signal -1
	s_barrier_wait -1
	ds_load_b64 v[12:13], v16 offset:8
	v_mov_b32_e32 v14, 1
	s_cmp_lt_i32 s14, 3
	s_cbranch_scc1 .LBB4_25
; %bb.23:
	v_add3_u32 v21, v17, 0, 16
	v_mov_b32_e32 v14, 1
	s_mov_b32 s0, 2
.LBB4_24:                               ; =>This Inner Loop Header: Depth=1
	ds_load_b64 v[22:23], v21
	s_wait_dscnt 0x1
	v_cmp_gt_f32_e32 vcc_lo, 0, v12
	v_cndmask_b32_e64 v24, v12, -v12, vcc_lo
	v_cmp_gt_f32_e32 vcc_lo, 0, v13
	v_cndmask_b32_e64 v26, v13, -v13, vcc_lo
	s_wait_dscnt 0x0
	v_cmp_gt_f32_e32 vcc_lo, 0, v22
	v_cndmask_b32_e64 v25, v22, -v22, vcc_lo
	v_cmp_gt_f32_e32 vcc_lo, 0, v23
	v_cndmask_b32_e64 v27, v23, -v23, vcc_lo
	s_delay_alu instid0(VALU_DEP_1) | instskip(NEXT) | instid1(VALU_DEP_1)
	v_pk_add_f32 v[24:25], v[24:25], v[26:27]
	v_cmp_lt_f32_e32 vcc_lo, v24, v25
	v_dual_add_nc_u32 v21, 8, v21 :: v_dual_cndmask_b32 v13, v13, v23, vcc_lo
	v_cndmask_b32_e32 v12, v12, v22, vcc_lo
	v_cndmask_b32_e64 v14, v14, s0, vcc_lo
	s_add_co_i32 s0, s0, 1
	s_delay_alu instid0(SALU_CYCLE_1)
	s_cmp_lg_u32 s14, s0
	s_cbranch_scc1 .LBB4_24
.LBB4_25:
	s_wait_dscnt 0x0
	v_cmp_neq_f32_e32 vcc_lo, 0, v12
	v_cmp_neq_f32_e64 s0, 0, v13
	s_or_b32 s1, vcc_lo, s0
	s_delay_alu instid0(SALU_CYCLE_1)
	s_and_saveexec_b32 s0, s1
	s_cbranch_execz .LBB4_31
; %bb.26:
	v_cmp_ngt_f32_e64 s1, |v12|, |v13|
	s_and_saveexec_b32 s15, s1
	s_delay_alu instid0(SALU_CYCLE_1)
	s_xor_b32 s1, exec_lo, s15
	s_cbranch_execz .LBB4_28
; %bb.27:
	v_div_scale_f32 v19, null, v13, v13, v12
	v_div_scale_f32 v23, vcc_lo, v12, v13, v12
	s_delay_alu instid0(VALU_DEP_2) | instskip(SKIP_1) | instid1(TRANS32_DEP_1)
	v_rcp_f32_e32 v21, v19
	v_nop
	v_fma_f32 v22, -v19, v21, 1.0
	s_delay_alu instid0(VALU_DEP_1) | instskip(NEXT) | instid1(VALU_DEP_1)
	v_fmac_f32_e32 v21, v22, v21
	v_mul_f32_e32 v22, v23, v21
	s_delay_alu instid0(VALU_DEP_1) | instskip(NEXT) | instid1(VALU_DEP_1)
	v_fma_f32 v24, -v19, v22, v23
	v_fmac_f32_e32 v22, v24, v21
	s_delay_alu instid0(VALU_DEP_1) | instskip(NEXT) | instid1(VALU_DEP_1)
	v_fma_f32 v19, -v19, v22, v23
	v_div_fmas_f32 v19, v19, v21, v22
	s_delay_alu instid0(VALU_DEP_1) | instskip(NEXT) | instid1(VALU_DEP_1)
	v_div_fixup_f32 v19, v19, v13, v12
	v_fmac_f32_e32 v13, v12, v19
	s_delay_alu instid0(VALU_DEP_1) | instskip(SKIP_1) | instid1(VALU_DEP_2)
	v_div_scale_f32 v12, null, v13, v13, 1.0
	v_div_scale_f32 v23, vcc_lo, 1.0, v13, 1.0
	v_rcp_f32_e32 v21, v12
	v_nop
	s_delay_alu instid0(TRANS32_DEP_1) | instskip(NEXT) | instid1(VALU_DEP_1)
	v_fma_f32 v22, -v12, v21, 1.0
	v_fmac_f32_e32 v21, v22, v21
	s_delay_alu instid0(VALU_DEP_1) | instskip(NEXT) | instid1(VALU_DEP_1)
	v_mul_f32_e32 v22, v23, v21
	v_fma_f32 v24, -v12, v22, v23
	s_delay_alu instid0(VALU_DEP_1) | instskip(NEXT) | instid1(VALU_DEP_1)
	v_fmac_f32_e32 v22, v24, v21
	v_fma_f32 v12, -v12, v22, v23
	s_delay_alu instid0(VALU_DEP_1) | instskip(NEXT) | instid1(VALU_DEP_1)
	v_div_fmas_f32 v12, v12, v21, v22
	v_div_fixup_f32 v13, v12, v13, 1.0
	s_delay_alu instid0(VALU_DEP_1)
	v_mul_f32_e32 v12, v19, v13
	v_xor_b32_e32 v13, 0x80000000, v13
.LBB4_28:
	s_and_not1_saveexec_b32 s1, s1
	s_cbranch_execz .LBB4_30
; %bb.29:
	s_delay_alu instid0(VALU_DEP_1) | instskip(SKIP_1) | instid1(VALU_DEP_2)
	v_div_scale_f32 v19, null, v12, v12, v13
	v_div_scale_f32 v23, vcc_lo, v13, v12, v13
	v_rcp_f32_e32 v21, v19
	v_nop
	s_delay_alu instid0(TRANS32_DEP_1) | instskip(NEXT) | instid1(VALU_DEP_1)
	v_fma_f32 v22, -v19, v21, 1.0
	v_fmac_f32_e32 v21, v22, v21
	s_delay_alu instid0(VALU_DEP_1) | instskip(NEXT) | instid1(VALU_DEP_1)
	v_mul_f32_e32 v22, v23, v21
	v_fma_f32 v24, -v19, v22, v23
	s_delay_alu instid0(VALU_DEP_1) | instskip(NEXT) | instid1(VALU_DEP_1)
	v_fmac_f32_e32 v22, v24, v21
	v_fma_f32 v19, -v19, v22, v23
	s_delay_alu instid0(VALU_DEP_1) | instskip(NEXT) | instid1(VALU_DEP_1)
	v_div_fmas_f32 v19, v19, v21, v22
	v_div_fixup_f32 v19, v19, v12, v13
	s_delay_alu instid0(VALU_DEP_1) | instskip(NEXT) | instid1(VALU_DEP_1)
	v_fmac_f32_e32 v12, v13, v19
	v_div_scale_f32 v13, null, v12, v12, 1.0
	s_delay_alu instid0(VALU_DEP_1) | instskip(SKIP_1) | instid1(TRANS32_DEP_1)
	v_rcp_f32_e32 v21, v13
	v_nop
	v_fma_f32 v22, -v13, v21, 1.0
	s_delay_alu instid0(VALU_DEP_1) | instskip(SKIP_1) | instid1(VALU_DEP_1)
	v_fmac_f32_e32 v21, v22, v21
	v_div_scale_f32 v22, vcc_lo, 1.0, v12, 1.0
	v_mul_f32_e32 v23, v22, v21
	s_delay_alu instid0(VALU_DEP_1) | instskip(NEXT) | instid1(VALU_DEP_1)
	v_fma_f32 v24, -v13, v23, v22
	v_fmac_f32_e32 v23, v24, v21
	s_delay_alu instid0(VALU_DEP_1) | instskip(NEXT) | instid1(VALU_DEP_1)
	v_fma_f32 v13, -v13, v23, v22
	v_div_fmas_f32 v13, v13, v21, v23
	s_delay_alu instid0(VALU_DEP_1) | instskip(NEXT) | instid1(VALU_DEP_1)
	v_div_fixup_f32 v12, v13, v12, 1.0
	v_mul_f32_e64 v13, v19, -v12
.LBB4_30:
	s_or_b32 exec_lo, exec_lo, s1
	v_mov_b32_e32 v19, v20
.LBB4_31:
	s_or_b32 exec_lo, exec_lo, s0
	s_delay_alu instid0(SALU_CYCLE_1)
	s_mov_b32 s0, exec_lo
	v_cmpx_ne_u32_e64 v15, v14
	s_xor_b32 s0, exec_lo, s0
	s_cbranch_execz .LBB4_37
; %bb.32:
	s_mov_b32 s1, exec_lo
	v_cmpx_eq_u32_e32 1, v15
	s_cbranch_execz .LBB4_36
; %bb.33:
	v_cmp_ne_u32_e32 vcc_lo, 1, v14
	s_xor_b32 s15, s2, -1
	s_delay_alu instid0(SALU_CYCLE_1) | instskip(NEXT) | instid1(SALU_CYCLE_1)
	s_and_b32 s16, s15, vcc_lo
	s_and_saveexec_b32 s15, s16
	s_cbranch_execz .LBB4_35
; %bb.34:
	v_ashrrev_i32_e32 v15, 31, v14
	s_delay_alu instid0(VALU_DEP_1)
	v_lshl_add_u64 v[20:21], v[14:15], 2, v[10:11]
	s_clause 0x1
	global_load_b32 v15, v[20:21], off
	global_load_b32 v18, v[10:11], off offset:4
	s_wait_loadcnt 0x1
	global_store_b32 v[10:11], v15, off offset:4
	s_wait_loadcnt 0x0
	global_store_b32 v[20:21], v18, off
.LBB4_35:
	s_wait_xcnt 0x0
	s_or_b32 exec_lo, exec_lo, s15
	v_dual_mov_b32 v15, v14 :: v_dual_mov_b32 v18, v14
.LBB4_36:
	s_or_b32 exec_lo, exec_lo, s1
.LBB4_37:
	s_and_not1_saveexec_b32 s0, s0
; %bb.38:
	v_mov_b32_e32 v15, 1
	ds_store_b64 v16, v[4:5] offset:16
; %bb.39:
	s_or_b32 exec_lo, exec_lo, s0
	s_delay_alu instid0(SALU_CYCLE_1)
	s_mov_b32 s0, exec_lo
	s_wait_storecnt_dscnt 0x0
	s_barrier_signal -1
	s_barrier_wait -1
	v_cmpx_lt_i32_e32 1, v15
	s_cbranch_execz .LBB4_41
; %bb.40:
	ds_load_b64 v[20:21], v16 offset:16
	v_pk_mul_f32 v[22:23], v[12:13], v[6:7] op_sel:[1,1] op_sel_hi:[0,1]
	s_delay_alu instid0(VALU_DEP_1) | instskip(SKIP_2) | instid1(VALU_DEP_2)
	v_pk_fma_f32 v[24:25], v[12:13], v[6:7], v[22:23] op_sel_hi:[1,0,1]
	v_pk_fma_f32 v[6:7], v[12:13], v[6:7], v[22:23] op_sel_hi:[1,0,1] neg_lo:[0,0,1] neg_hi:[0,0,1]
	s_wait_dscnt 0x0
	v_pk_mul_f32 v[12:13], v[20:21], v[24:25] op_sel:[1,1] op_sel_hi:[0,1]
	s_delay_alu instid0(VALU_DEP_1) | instskip(SKIP_1) | instid1(VALU_DEP_2)
	v_pk_fma_f32 v[22:23], v[20:21], v[6:7], v[12:13] op_sel_hi:[1,0,1]
	v_pk_fma_f32 v[12:13], v[20:21], v[6:7], v[12:13] neg_lo:[0,0,1] neg_hi:[0,0,1]
	v_dual_mov_b32 v7, v25 :: v_dual_mov_b32 v13, v23
	s_delay_alu instid0(VALU_DEP_1)
	v_pk_add_f32 v[4:5], v[4:5], v[12:13] neg_lo:[0,1] neg_hi:[0,1]
.LBB4_41:
	s_or_b32 exec_lo, exec_lo, s0
	v_lshl_add_u32 v12, v15, 3, v16
	s_barrier_signal -1
	s_barrier_wait -1
	ds_store_b64 v12, v[4:5]
	s_wait_dscnt 0x0
	s_barrier_signal -1
	s_barrier_wait -1
	ds_load_b64 v[12:13], v16 offset:16
	v_mov_b32_e32 v14, 2
	s_cmp_lt_i32 s14, 4
	s_mov_b32 s0, 3
	s_cbranch_scc1 .LBB4_44
; %bb.42:
	v_add3_u32 v16, v17, 0, 24
	v_mov_b32_e32 v14, 2
.LBB4_43:                               ; =>This Inner Loop Header: Depth=1
	ds_load_b64 v[20:21], v16
	s_wait_dscnt 0x1
	v_cmp_gt_f32_e32 vcc_lo, 0, v12
	v_cndmask_b32_e64 v22, v12, -v12, vcc_lo
	v_cmp_gt_f32_e32 vcc_lo, 0, v13
	v_cndmask_b32_e64 v24, v13, -v13, vcc_lo
	s_wait_dscnt 0x0
	v_cmp_gt_f32_e32 vcc_lo, 0, v20
	v_cndmask_b32_e64 v23, v20, -v20, vcc_lo
	v_cmp_gt_f32_e32 vcc_lo, 0, v21
	v_cndmask_b32_e64 v25, v21, -v21, vcc_lo
	s_delay_alu instid0(VALU_DEP_1) | instskip(NEXT) | instid1(VALU_DEP_1)
	v_pk_add_f32 v[22:23], v[22:23], v[24:25]
	v_cmp_lt_f32_e32 vcc_lo, v22, v23
	v_dual_cndmask_b32 v13, v13, v21 :: v_dual_add_nc_u32 v16, 8, v16
	v_cndmask_b32_e32 v12, v12, v20, vcc_lo
	v_cndmask_b32_e64 v14, v14, s0, vcc_lo
	s_add_co_i32 s0, s0, 1
	s_delay_alu instid0(SALU_CYCLE_1)
	s_cmp_lg_u32 s14, s0
	s_cbranch_scc1 .LBB4_43
.LBB4_44:
	s_wait_dscnt 0x0
	v_cmp_eq_f32_e32 vcc_lo, 0, v12
	v_cmp_eq_f32_e64 s0, 0, v13
	s_and_b32 s0, vcc_lo, s0
	s_delay_alu instid0(SALU_CYCLE_1) | instskip(NEXT) | instid1(SALU_CYCLE_1)
	s_and_saveexec_b32 s1, s0
	s_xor_b32 s0, exec_lo, s1
; %bb.45:
	v_cmp_ne_u32_e32 vcc_lo, 0, v19
	v_cndmask_b32_e32 v19, 3, v19, vcc_lo
; %bb.46:
	s_and_not1_saveexec_b32 s0, s0
	s_cbranch_execz .LBB4_52
; %bb.47:
	v_cmp_ngt_f32_e64 s1, |v12|, |v13|
	s_and_saveexec_b32 s14, s1
	s_delay_alu instid0(SALU_CYCLE_1)
	s_xor_b32 s1, exec_lo, s14
	s_cbranch_execz .LBB4_49
; %bb.48:
	v_div_scale_f32 v16, null, v13, v13, v12
	v_div_scale_f32 v21, vcc_lo, v12, v13, v12
	s_delay_alu instid0(VALU_DEP_2) | instskip(SKIP_1) | instid1(TRANS32_DEP_1)
	v_rcp_f32_e32 v17, v16
	v_nop
	v_fma_f32 v20, -v16, v17, 1.0
	s_delay_alu instid0(VALU_DEP_1) | instskip(NEXT) | instid1(VALU_DEP_1)
	v_fmac_f32_e32 v17, v20, v17
	v_mul_f32_e32 v20, v21, v17
	s_delay_alu instid0(VALU_DEP_1) | instskip(NEXT) | instid1(VALU_DEP_1)
	v_fma_f32 v22, -v16, v20, v21
	v_fmac_f32_e32 v20, v22, v17
	s_delay_alu instid0(VALU_DEP_1) | instskip(NEXT) | instid1(VALU_DEP_1)
	v_fma_f32 v16, -v16, v20, v21
	v_div_fmas_f32 v16, v16, v17, v20
	s_delay_alu instid0(VALU_DEP_1) | instskip(NEXT) | instid1(VALU_DEP_1)
	v_div_fixup_f32 v16, v16, v13, v12
	v_fmac_f32_e32 v13, v12, v16
	s_delay_alu instid0(VALU_DEP_1) | instskip(SKIP_1) | instid1(VALU_DEP_2)
	v_div_scale_f32 v12, null, v13, v13, 1.0
	v_div_scale_f32 v21, vcc_lo, 1.0, v13, 1.0
	v_rcp_f32_e32 v17, v12
	v_nop
	s_delay_alu instid0(TRANS32_DEP_1) | instskip(NEXT) | instid1(VALU_DEP_1)
	v_fma_f32 v20, -v12, v17, 1.0
	v_fmac_f32_e32 v17, v20, v17
	s_delay_alu instid0(VALU_DEP_1) | instskip(NEXT) | instid1(VALU_DEP_1)
	v_mul_f32_e32 v20, v21, v17
	v_fma_f32 v22, -v12, v20, v21
	s_delay_alu instid0(VALU_DEP_1) | instskip(NEXT) | instid1(VALU_DEP_1)
	v_fmac_f32_e32 v20, v22, v17
	v_fma_f32 v12, -v12, v20, v21
	s_delay_alu instid0(VALU_DEP_1) | instskip(NEXT) | instid1(VALU_DEP_1)
	v_div_fmas_f32 v12, v12, v17, v20
	v_div_fixup_f32 v13, v12, v13, 1.0
	s_delay_alu instid0(VALU_DEP_1)
	v_mul_f32_e32 v12, v16, v13
	v_xor_b32_e32 v13, 0x80000000, v13
.LBB4_49:
	s_and_not1_saveexec_b32 s1, s1
	s_cbranch_execz .LBB4_51
; %bb.50:
	s_delay_alu instid0(VALU_DEP_1) | instskip(SKIP_1) | instid1(VALU_DEP_2)
	v_div_scale_f32 v16, null, v12, v12, v13
	v_div_scale_f32 v21, vcc_lo, v13, v12, v13
	v_rcp_f32_e32 v17, v16
	v_nop
	s_delay_alu instid0(TRANS32_DEP_1) | instskip(NEXT) | instid1(VALU_DEP_1)
	v_fma_f32 v20, -v16, v17, 1.0
	v_fmac_f32_e32 v17, v20, v17
	s_delay_alu instid0(VALU_DEP_1) | instskip(NEXT) | instid1(VALU_DEP_1)
	v_mul_f32_e32 v20, v21, v17
	v_fma_f32 v22, -v16, v20, v21
	s_delay_alu instid0(VALU_DEP_1) | instskip(NEXT) | instid1(VALU_DEP_1)
	v_fmac_f32_e32 v20, v22, v17
	v_fma_f32 v16, -v16, v20, v21
	s_delay_alu instid0(VALU_DEP_1) | instskip(NEXT) | instid1(VALU_DEP_1)
	v_div_fmas_f32 v16, v16, v17, v20
	v_div_fixup_f32 v16, v16, v12, v13
	s_delay_alu instid0(VALU_DEP_1) | instskip(NEXT) | instid1(VALU_DEP_1)
	v_fmac_f32_e32 v12, v13, v16
	v_div_scale_f32 v13, null, v12, v12, 1.0
	s_delay_alu instid0(VALU_DEP_1) | instskip(SKIP_1) | instid1(TRANS32_DEP_1)
	v_rcp_f32_e32 v17, v13
	v_nop
	v_fma_f32 v20, -v13, v17, 1.0
	s_delay_alu instid0(VALU_DEP_1) | instskip(SKIP_1) | instid1(VALU_DEP_1)
	v_fmac_f32_e32 v17, v20, v17
	v_div_scale_f32 v20, vcc_lo, 1.0, v12, 1.0
	v_mul_f32_e32 v21, v20, v17
	s_delay_alu instid0(VALU_DEP_1) | instskip(NEXT) | instid1(VALU_DEP_1)
	v_fma_f32 v22, -v13, v21, v20
	v_fmac_f32_e32 v21, v22, v17
	s_delay_alu instid0(VALU_DEP_1) | instskip(NEXT) | instid1(VALU_DEP_1)
	v_fma_f32 v13, -v13, v21, v20
	v_div_fmas_f32 v13, v13, v17, v21
	s_delay_alu instid0(VALU_DEP_1) | instskip(NEXT) | instid1(VALU_DEP_1)
	v_div_fixup_f32 v12, v13, v12, 1.0
	v_mul_f32_e64 v13, v16, -v12
.LBB4_51:
	s_or_b32 exec_lo, exec_lo, s1
.LBB4_52:
	s_delay_alu instid0(SALU_CYCLE_1)
	s_or_b32 exec_lo, exec_lo, s0
	v_mov_b32_e32 v16, 2
	s_mov_b32 s0, exec_lo
	v_cmpx_ne_u32_e64 v15, v14
	s_cbranch_execz .LBB4_58
; %bb.53:
	s_mov_b32 s1, exec_lo
	v_cmpx_eq_u32_e32 2, v15
	s_cbranch_execz .LBB4_57
; %bb.54:
	v_cmp_ne_u32_e32 vcc_lo, 2, v14
	s_xor_b32 s2, s2, -1
	s_delay_alu instid0(SALU_CYCLE_1) | instskip(NEXT) | instid1(SALU_CYCLE_1)
	s_and_b32 s14, s2, vcc_lo
	s_and_saveexec_b32 s2, s14
	s_cbranch_execz .LBB4_56
; %bb.55:
	v_ashrrev_i32_e32 v15, 31, v14
	s_delay_alu instid0(VALU_DEP_1)
	v_lshl_add_u64 v[16:17], v[14:15], 2, v[10:11]
	s_clause 0x1
	global_load_b32 v15, v[16:17], off
	global_load_b32 v18, v[10:11], off offset:8
	s_wait_loadcnt 0x1
	global_store_b32 v[10:11], v15, off offset:8
	s_wait_loadcnt 0x0
	global_store_b32 v[16:17], v18, off
.LBB4_56:
	s_wait_xcnt 0x0
	s_or_b32 exec_lo, exec_lo, s2
	v_dual_mov_b32 v15, v14 :: v_dual_mov_b32 v18, v14
.LBB4_57:
	s_or_b32 exec_lo, exec_lo, s1
	s_delay_alu instid0(VALU_DEP_1)
	v_mov_b32_e32 v16, v15
.LBB4_58:
	s_or_b32 exec_lo, exec_lo, s0
	s_delay_alu instid0(VALU_DEP_1)
	v_ashrrev_i32_e32 v17, 31, v16
	s_mov_b32 s0, exec_lo
	s_wait_storecnt 0x0
	s_barrier_signal -1
	s_barrier_wait -1
	s_barrier_signal -1
	s_barrier_wait -1
	v_cmpx_gt_i32_e32 3, v16
	s_cbranch_execz .LBB4_60
; %bb.59:
	v_mul_u64_e32 v[10:11], s[10:11], v[2:3]
	v_add3_u32 v14, v18, s3, 1
	s_delay_alu instid0(VALU_DEP_2) | instskip(NEXT) | instid1(VALU_DEP_1)
	v_lshl_add_u64 v[10:11], v[10:11], 2, s[6:7]
	v_lshl_add_u64 v[10:11], s[8:9], 2, v[10:11]
	s_delay_alu instid0(VALU_DEP_1)
	v_lshl_add_u64 v[10:11], v[16:17], 2, v[10:11]
	global_store_b32 v[10:11], v14, off
.LBB4_60:
	s_wait_xcnt 0x0
	s_or_b32 exec_lo, exec_lo, s0
	s_delay_alu instid0(SALU_CYCLE_1)
	s_mov_b32 s1, exec_lo
	v_cmpx_eq_u32_e32 0, v16
	s_cbranch_execz .LBB4_63
; %bb.61:
	s_wait_kmcnt 0x0
	v_lshl_add_u64 v[2:3], v[2:3], 2, s[12:13]
	v_cmp_ne_u32_e64 s0, 0, v19
	global_load_b32 v10, v[2:3], off
	s_wait_loadcnt 0x0
	v_cmp_eq_u32_e32 vcc_lo, 0, v10
	s_and_b32 s0, vcc_lo, s0
	s_wait_xcnt 0x0
	s_and_b32 exec_lo, exec_lo, s0
	s_cbranch_execz .LBB4_63
; %bb.62:
	v_add_nc_u32_e32 v10, s3, v19
	global_store_b32 v[2:3], v10, off
.LBB4_63:
	s_wait_xcnt 0x0
	s_or_b32 exec_lo, exec_lo, s1
	v_pk_mul_f32 v[2:3], v[12:13], v[4:5] op_sel:[1,1] op_sel_hi:[0,1]
	v_add3_u32 v10, s4, s4, v16
	v_lshl_add_u64 v[14:15], v[16:17], 3, v[0:1]
	v_cmp_lt_i32_e32 vcc_lo, 2, v16
	s_delay_alu instid0(VALU_DEP_4) | instskip(SKIP_3) | instid1(VALU_DEP_3)
	v_pk_fma_f32 v[18:19], v[12:13], v[4:5], v[2:3] op_sel_hi:[1,0,1]
	v_pk_fma_f32 v[2:3], v[12:13], v[4:5], v[2:3] neg_lo:[0,0,1] neg_hi:[0,0,1]
	v_ashrrev_i32_e32 v11, 31, v10
	v_lshl_add_u64 v[12:13], s[4:5], 3, v[14:15]
	v_dual_cndmask_b32 v3, v5, v19 :: v_dual_cndmask_b32 v2, v4, v2
	s_delay_alu instid0(VALU_DEP_3)
	v_lshl_add_u64 v[0:1], v[10:11], 3, v[0:1]
	s_clause 0x2
	global_store_b64 v[14:15], v[8:9], off
	global_store_b64 v[12:13], v[6:7], off
	;; [unrolled: 1-line block ×3, first 2 shown]
.LBB4_64:
	s_endpgm
	.section	.rodata,"a",@progbits
	.p2align	6, 0x0
	.amdhsa_kernel _ZN9rocsolver6v33100L18getf2_small_kernelILi3E19rocblas_complex_numIfEiiPS3_EEvT1_T3_lS5_lPS5_llPT2_S5_S5_S7_l
		.amdhsa_group_segment_fixed_size 0
		.amdhsa_private_segment_fixed_size 0
		.amdhsa_kernarg_size 352
		.amdhsa_user_sgpr_count 2
		.amdhsa_user_sgpr_dispatch_ptr 0
		.amdhsa_user_sgpr_queue_ptr 0
		.amdhsa_user_sgpr_kernarg_segment_ptr 1
		.amdhsa_user_sgpr_dispatch_id 0
		.amdhsa_user_sgpr_kernarg_preload_length 0
		.amdhsa_user_sgpr_kernarg_preload_offset 0
		.amdhsa_user_sgpr_private_segment_size 0
		.amdhsa_wavefront_size32 1
		.amdhsa_uses_dynamic_stack 0
		.amdhsa_enable_private_segment 0
		.amdhsa_system_sgpr_workgroup_id_x 1
		.amdhsa_system_sgpr_workgroup_id_y 1
		.amdhsa_system_sgpr_workgroup_id_z 0
		.amdhsa_system_sgpr_workgroup_info 0
		.amdhsa_system_vgpr_workitem_id 1
		.amdhsa_next_free_vgpr 34
		.amdhsa_next_free_sgpr 17
		.amdhsa_named_barrier_count 0
		.amdhsa_reserve_vcc 1
		.amdhsa_float_round_mode_32 0
		.amdhsa_float_round_mode_16_64 0
		.amdhsa_float_denorm_mode_32 3
		.amdhsa_float_denorm_mode_16_64 3
		.amdhsa_fp16_overflow 0
		.amdhsa_memory_ordered 1
		.amdhsa_forward_progress 1
		.amdhsa_inst_pref_size 29
		.amdhsa_round_robin_scheduling 0
		.amdhsa_exception_fp_ieee_invalid_op 0
		.amdhsa_exception_fp_denorm_src 0
		.amdhsa_exception_fp_ieee_div_zero 0
		.amdhsa_exception_fp_ieee_overflow 0
		.amdhsa_exception_fp_ieee_underflow 0
		.amdhsa_exception_fp_ieee_inexact 0
		.amdhsa_exception_int_div_zero 0
	.end_amdhsa_kernel
	.section	.text._ZN9rocsolver6v33100L18getf2_small_kernelILi3E19rocblas_complex_numIfEiiPS3_EEvT1_T3_lS5_lPS5_llPT2_S5_S5_S7_l,"axG",@progbits,_ZN9rocsolver6v33100L18getf2_small_kernelILi3E19rocblas_complex_numIfEiiPS3_EEvT1_T3_lS5_lPS5_llPT2_S5_S5_S7_l,comdat
.Lfunc_end4:
	.size	_ZN9rocsolver6v33100L18getf2_small_kernelILi3E19rocblas_complex_numIfEiiPS3_EEvT1_T3_lS5_lPS5_llPT2_S5_S5_S7_l, .Lfunc_end4-_ZN9rocsolver6v33100L18getf2_small_kernelILi3E19rocblas_complex_numIfEiiPS3_EEvT1_T3_lS5_lPS5_llPT2_S5_S5_S7_l
                                        ; -- End function
	.set _ZN9rocsolver6v33100L18getf2_small_kernelILi3E19rocblas_complex_numIfEiiPS3_EEvT1_T3_lS5_lPS5_llPT2_S5_S5_S7_l.num_vgpr, 34
	.set _ZN9rocsolver6v33100L18getf2_small_kernelILi3E19rocblas_complex_numIfEiiPS3_EEvT1_T3_lS5_lPS5_llPT2_S5_S5_S7_l.num_agpr, 0
	.set _ZN9rocsolver6v33100L18getf2_small_kernelILi3E19rocblas_complex_numIfEiiPS3_EEvT1_T3_lS5_lPS5_llPT2_S5_S5_S7_l.numbered_sgpr, 17
	.set _ZN9rocsolver6v33100L18getf2_small_kernelILi3E19rocblas_complex_numIfEiiPS3_EEvT1_T3_lS5_lPS5_llPT2_S5_S5_S7_l.num_named_barrier, 0
	.set _ZN9rocsolver6v33100L18getf2_small_kernelILi3E19rocblas_complex_numIfEiiPS3_EEvT1_T3_lS5_lPS5_llPT2_S5_S5_S7_l.private_seg_size, 0
	.set _ZN9rocsolver6v33100L18getf2_small_kernelILi3E19rocblas_complex_numIfEiiPS3_EEvT1_T3_lS5_lPS5_llPT2_S5_S5_S7_l.uses_vcc, 1
	.set _ZN9rocsolver6v33100L18getf2_small_kernelILi3E19rocblas_complex_numIfEiiPS3_EEvT1_T3_lS5_lPS5_llPT2_S5_S5_S7_l.uses_flat_scratch, 0
	.set _ZN9rocsolver6v33100L18getf2_small_kernelILi3E19rocblas_complex_numIfEiiPS3_EEvT1_T3_lS5_lPS5_llPT2_S5_S5_S7_l.has_dyn_sized_stack, 0
	.set _ZN9rocsolver6v33100L18getf2_small_kernelILi3E19rocblas_complex_numIfEiiPS3_EEvT1_T3_lS5_lPS5_llPT2_S5_S5_S7_l.has_recursion, 0
	.set _ZN9rocsolver6v33100L18getf2_small_kernelILi3E19rocblas_complex_numIfEiiPS3_EEvT1_T3_lS5_lPS5_llPT2_S5_S5_S7_l.has_indirect_call, 0
	.section	.AMDGPU.csdata,"",@progbits
; Kernel info:
; codeLenInByte = 3604
; TotalNumSgprs: 19
; NumVgprs: 34
; ScratchSize: 0
; MemoryBound: 0
; FloatMode: 240
; IeeeMode: 1
; LDSByteSize: 0 bytes/workgroup (compile time only)
; SGPRBlocks: 0
; VGPRBlocks: 2
; NumSGPRsForWavesPerEU: 19
; NumVGPRsForWavesPerEU: 34
; NamedBarCnt: 0
; Occupancy: 16
; WaveLimiterHint : 0
; COMPUTE_PGM_RSRC2:SCRATCH_EN: 0
; COMPUTE_PGM_RSRC2:USER_SGPR: 2
; COMPUTE_PGM_RSRC2:TRAP_HANDLER: 0
; COMPUTE_PGM_RSRC2:TGID_X_EN: 1
; COMPUTE_PGM_RSRC2:TGID_Y_EN: 1
; COMPUTE_PGM_RSRC2:TGID_Z_EN: 0
; COMPUTE_PGM_RSRC2:TIDIG_COMP_CNT: 1
	.section	.text._ZN9rocsolver6v33100L23getf2_npvt_small_kernelILi3E19rocblas_complex_numIfEiiPS3_EEvT1_T3_lS5_lPT2_S5_S5_,"axG",@progbits,_ZN9rocsolver6v33100L23getf2_npvt_small_kernelILi3E19rocblas_complex_numIfEiiPS3_EEvT1_T3_lS5_lPT2_S5_S5_,comdat
	.globl	_ZN9rocsolver6v33100L23getf2_npvt_small_kernelILi3E19rocblas_complex_numIfEiiPS3_EEvT1_T3_lS5_lPT2_S5_S5_ ; -- Begin function _ZN9rocsolver6v33100L23getf2_npvt_small_kernelILi3E19rocblas_complex_numIfEiiPS3_EEvT1_T3_lS5_lPT2_S5_S5_
	.p2align	8
	.type	_ZN9rocsolver6v33100L23getf2_npvt_small_kernelILi3E19rocblas_complex_numIfEiiPS3_EEvT1_T3_lS5_lPT2_S5_S5_,@function
_ZN9rocsolver6v33100L23getf2_npvt_small_kernelILi3E19rocblas_complex_numIfEiiPS3_EEvT1_T3_lS5_lPT2_S5_S5_: ; @_ZN9rocsolver6v33100L23getf2_npvt_small_kernelILi3E19rocblas_complex_numIfEiiPS3_EEvT1_T3_lS5_lPT2_S5_S5_
; %bb.0:
	s_clause 0x1
	s_load_u16 s8, s[0:1], 0x46
	s_load_b64 s[2:3], s[0:1], 0x30
	s_bfe_u32 s4, ttmp6, 0x40010
	s_bfe_u32 s5, ttmp6, 0x40004
	s_add_co_i32 s4, s4, 1
	s_getreg_b32 s6, hwreg(HW_REG_IB_STS2, 6, 4)
	s_mul_i32 s4, ttmp7, s4
	v_bfe_u32 v14, v0, 10, 10
	s_add_co_i32 s5, s5, s4
	s_cmp_eq_u32 s6, 0
	s_cselect_b32 s4, ttmp7, s5
	s_wait_kmcnt 0x0
	v_mad_u32 v2, s4, s8, v14
	s_delay_alu instid0(VALU_DEP_1)
	v_cmp_gt_i32_e32 vcc_lo, s2, v2
	s_and_saveexec_b32 s2, vcc_lo
	s_cbranch_execz .LBB5_30
; %bb.1:
	s_load_b128 s[4:7], s[0:1], 0x20
	v_ashrrev_i32_e32 v3, 31, v2
	v_and_b32_e32 v20, 0x3ff, v0
	s_mul_i32 s8, s8, 24
	v_lshlrev_b32_e32 v15, 3, v14
	v_mul_u32_u24_e32 v14, 24, v14
	s_delay_alu instid0(VALU_DEP_2) | instskip(NEXT) | instid1(VALU_DEP_2)
	v_add3_u32 v21, 0, s8, v15
	v_add_nc_u32_e32 v22, 0, v14
	s_wait_kmcnt 0x0
	v_mul_u64_e32 v[4:5], s[4:5], v[2:3]
	s_clause 0x1
	s_load_b128 s[12:15], s[0:1], 0x8
	s_load_b32 s4, s[0:1], 0x18
	s_wait_xcnt 0x0
	v_cmp_ne_u32_e64 s1, 0, v20
	v_cmp_eq_u32_e64 s0, 0, v20
	s_wait_kmcnt 0x0
	v_add3_u32 v8, s4, s4, v20
	s_ashr_i32 s5, s4, 31
	s_delay_alu instid0(VALU_DEP_1) | instskip(SKIP_2) | instid1(VALU_DEP_2)
	v_ashrrev_i32_e32 v9, 31, v8
	v_lshl_add_u64 v[0:1], v[4:5], 3, s[12:13]
	v_dual_mov_b32 v5, 0 :: v_dual_lshlrev_b32 v4, 3, v20
	v_lshl_add_u64 v[6:7], s[14:15], 3, v[0:1]
	s_delay_alu instid0(VALU_DEP_1) | instskip(SKIP_1) | instid1(VALU_DEP_2)
	v_add_nc_u64_e32 v[0:1], v[6:7], v[4:5]
	v_lshl_add_u64 v[6:7], v[8:9], 3, v[6:7]
	v_lshl_add_u64 v[4:5], s[4:5], 3, v[0:1]
	s_clause 0x2
	global_load_b64 v[12:13], v[0:1], off
	global_load_b64 v[10:11], v[4:5], off
	;; [unrolled: 1-line block ×3, first 2 shown]
	s_wait_xcnt 0x0
	s_and_saveexec_b32 s4, s0
	s_cbranch_execz .LBB5_8
; %bb.2:
	s_wait_loadcnt 0x2
	ds_store_b64 v21, v[12:13]
	s_wait_loadcnt 0x0
	ds_store_2addr_b64 v22, v[10:11], v[8:9] offset0:1 offset1:2
	ds_load_b64 v[14:15], v21
	s_wait_dscnt 0x0
	v_cmp_neq_f32_e32 vcc_lo, 0, v14
	v_cmp_neq_f32_e64 s2, 0, v15
	s_or_b32 s2, vcc_lo, s2
	s_delay_alu instid0(SALU_CYCLE_1)
	s_and_b32 exec_lo, exec_lo, s2
	s_cbranch_execz .LBB5_8
; %bb.3:
	v_cmp_ngt_f32_e64 s2, |v14|, |v15|
                                        ; implicit-def: $vgpr16_vgpr17
	s_and_saveexec_b32 s5, s2
	s_delay_alu instid0(SALU_CYCLE_1)
	s_xor_b32 s2, exec_lo, s5
	s_cbranch_execz .LBB5_5
; %bb.4:
	v_div_scale_f32 v16, null, v15, v15, v14
	v_div_scale_f32 v19, vcc_lo, v14, v15, v14
	s_delay_alu instid0(VALU_DEP_2) | instskip(SKIP_1) | instid1(TRANS32_DEP_1)
	v_rcp_f32_e32 v17, v16
	v_nop
	v_fma_f32 v18, -v16, v17, 1.0
	s_delay_alu instid0(VALU_DEP_1) | instskip(NEXT) | instid1(VALU_DEP_1)
	v_fmac_f32_e32 v17, v18, v17
	v_mul_f32_e32 v18, v19, v17
	s_delay_alu instid0(VALU_DEP_1) | instskip(NEXT) | instid1(VALU_DEP_1)
	v_fma_f32 v23, -v16, v18, v19
	v_fmac_f32_e32 v18, v23, v17
	s_delay_alu instid0(VALU_DEP_1) | instskip(NEXT) | instid1(VALU_DEP_1)
	v_fma_f32 v16, -v16, v18, v19
	v_div_fmas_f32 v16, v16, v17, v18
	s_delay_alu instid0(VALU_DEP_1) | instskip(NEXT) | instid1(VALU_DEP_1)
	v_div_fixup_f32 v16, v16, v15, v14
	v_fmac_f32_e32 v15, v14, v16
	s_delay_alu instid0(VALU_DEP_1) | instskip(SKIP_1) | instid1(VALU_DEP_2)
	v_div_scale_f32 v14, null, v15, v15, 1.0
	v_div_scale_f32 v19, vcc_lo, 1.0, v15, 1.0
	v_rcp_f32_e32 v17, v14
	v_nop
	s_delay_alu instid0(TRANS32_DEP_1) | instskip(NEXT) | instid1(VALU_DEP_1)
	v_fma_f32 v18, -v14, v17, 1.0
	v_fmac_f32_e32 v17, v18, v17
	s_delay_alu instid0(VALU_DEP_1) | instskip(NEXT) | instid1(VALU_DEP_1)
	v_mul_f32_e32 v18, v19, v17
	v_fma_f32 v23, -v14, v18, v19
	s_delay_alu instid0(VALU_DEP_1) | instskip(NEXT) | instid1(VALU_DEP_1)
	v_fmac_f32_e32 v18, v23, v17
	v_fma_f32 v14, -v14, v18, v19
	s_delay_alu instid0(VALU_DEP_1) | instskip(NEXT) | instid1(VALU_DEP_1)
	v_div_fmas_f32 v14, v14, v17, v18
	v_div_fixup_f32 v14, v14, v15, 1.0
	s_delay_alu instid0(VALU_DEP_1)
	v_mul_f32_e32 v16, v16, v14
	v_xor_b32_e32 v17, 0x80000000, v14
                                        ; implicit-def: $vgpr14_vgpr15
.LBB5_5:
	s_and_not1_saveexec_b32 s2, s2
	s_cbranch_execz .LBB5_7
; %bb.6:
	v_div_scale_f32 v16, null, v14, v14, v15
	v_div_scale_f32 v19, vcc_lo, v15, v14, v15
	s_delay_alu instid0(VALU_DEP_2) | instskip(SKIP_1) | instid1(TRANS32_DEP_1)
	v_rcp_f32_e32 v17, v16
	v_nop
	v_fma_f32 v18, -v16, v17, 1.0
	s_delay_alu instid0(VALU_DEP_1) | instskip(NEXT) | instid1(VALU_DEP_1)
	v_fmac_f32_e32 v17, v18, v17
	v_mul_f32_e32 v18, v19, v17
	s_delay_alu instid0(VALU_DEP_1) | instskip(NEXT) | instid1(VALU_DEP_1)
	v_fma_f32 v23, -v16, v18, v19
	v_fmac_f32_e32 v18, v23, v17
	s_delay_alu instid0(VALU_DEP_1) | instskip(NEXT) | instid1(VALU_DEP_1)
	v_fma_f32 v16, -v16, v18, v19
	v_div_fmas_f32 v16, v16, v17, v18
	s_delay_alu instid0(VALU_DEP_1) | instskip(NEXT) | instid1(VALU_DEP_1)
	v_div_fixup_f32 v17, v16, v14, v15
	v_fmac_f32_e32 v14, v15, v17
	s_delay_alu instid0(VALU_DEP_1) | instskip(NEXT) | instid1(VALU_DEP_1)
	v_div_scale_f32 v15, null, v14, v14, 1.0
	v_rcp_f32_e32 v16, v15
	v_nop
	s_delay_alu instid0(TRANS32_DEP_1) | instskip(NEXT) | instid1(VALU_DEP_1)
	v_fma_f32 v18, -v15, v16, 1.0
	v_fmac_f32_e32 v16, v18, v16
	v_div_scale_f32 v18, vcc_lo, 1.0, v14, 1.0
	s_delay_alu instid0(VALU_DEP_1) | instskip(NEXT) | instid1(VALU_DEP_1)
	v_mul_f32_e32 v19, v18, v16
	v_fma_f32 v23, -v15, v19, v18
	s_delay_alu instid0(VALU_DEP_1) | instskip(NEXT) | instid1(VALU_DEP_1)
	v_fmac_f32_e32 v19, v23, v16
	v_fma_f32 v15, -v15, v19, v18
	s_delay_alu instid0(VALU_DEP_1) | instskip(NEXT) | instid1(VALU_DEP_1)
	v_div_fmas_f32 v15, v15, v16, v19
	v_div_fixup_f32 v16, v15, v14, 1.0
	s_delay_alu instid0(VALU_DEP_1)
	v_mul_f32_e64 v17, v17, -v16
.LBB5_7:
	s_or_b32 exec_lo, exec_lo, s2
	ds_store_b64 v21, v[16:17]
.LBB5_8:
	s_or_b32 exec_lo, exec_lo, s4
	s_wait_loadcnt_dscnt 0x0
	s_barrier_signal -1
	s_barrier_wait -1
	ds_load_b64 v[14:15], v21
	s_and_saveexec_b32 s2, s1
	s_cbranch_execz .LBB5_10
; %bb.9:
	ds_load_2addr_b64 v[16:19], v22 offset0:1 offset1:2
	s_wait_dscnt 0x1
	v_pk_mul_f32 v[24:25], v[14:15], v[12:13] op_sel:[1,1] op_sel_hi:[0,1]
	s_delay_alu instid0(VALU_DEP_1) | instskip(SKIP_3) | instid1(VALU_DEP_3)
	v_pk_fma_f32 v[26:27], v[14:15], v[12:13], v[24:25] op_sel_hi:[1,0,1]
	v_pk_fma_f32 v[12:13], v[14:15], v[12:13], v[24:25] op_sel_hi:[1,0,1] neg_lo:[0,0,1] neg_hi:[0,0,1]
	s_wait_dscnt 0x0
	v_dual_mov_b32 v28, v19 :: v_dual_mov_b32 v29, v18
	v_pk_mul_f32 v[24:25], v[16:17], v[26:27] op_sel:[0,1]
	s_delay_alu instid0(VALU_DEP_2) | instskip(NEXT) | instid1(VALU_DEP_2)
	v_pk_mul_f32 v[28:29], v[28:29], v[26:27] op_sel:[0,1]
	v_pk_fma_f32 v[30:31], v[16:17], v[12:13], v[24:25] op_sel:[0,0,1] op_sel_hi:[1,0,0]
	v_pk_fma_f32 v[16:17], v[16:17], v[12:13], v[24:25] op_sel:[0,0,1] op_sel_hi:[1,1,0] neg_lo:[0,0,1] neg_hi:[0,0,1]
	s_delay_alu instid0(VALU_DEP_3) | instskip(SKIP_1) | instid1(VALU_DEP_4)
	v_pk_fma_f32 v[32:33], v[18:19], v[12:13], v[28:29] op_sel_hi:[1,0,1]
	v_pk_fma_f32 v[18:19], v[18:19], v[12:13], v[28:29] neg_lo:[0,0,1] neg_hi:[0,0,1]
	v_dual_mov_b32 v17, v31 :: v_dual_mov_b32 v13, v27
	s_delay_alu instid0(VALU_DEP_3) | instskip(NEXT) | instid1(VALU_DEP_2)
	v_mov_b32_e32 v19, v33
	v_pk_add_f32 v[10:11], v[10:11], v[16:17] neg_lo:[0,1] neg_hi:[0,1]
	s_delay_alu instid0(VALU_DEP_2)
	v_pk_add_f32 v[8:9], v[8:9], v[18:19] neg_lo:[0,1] neg_hi:[0,1]
.LBB5_10:
	s_or_b32 exec_lo, exec_lo, s2
	s_delay_alu instid0(SALU_CYCLE_1)
	s_mov_b32 s2, exec_lo
	s_wait_dscnt 0x0
	s_barrier_signal -1
	s_barrier_wait -1
	v_cmpx_eq_u32_e32 1, v20
	s_cbranch_execz .LBB5_17
; %bb.11:
	ds_store_b64 v21, v[10:11]
	ds_store_b64 v22, v[8:9] offset:16
	ds_load_b64 v[16:17], v21
	s_wait_dscnt 0x0
	v_cmp_neq_f32_e32 vcc_lo, 0, v16
	v_cmp_neq_f32_e64 s1, 0, v17
	s_or_b32 s1, vcc_lo, s1
	s_delay_alu instid0(SALU_CYCLE_1)
	s_and_b32 exec_lo, exec_lo, s1
	s_cbranch_execz .LBB5_17
; %bb.12:
	v_cmp_ngt_f32_e64 s1, |v16|, |v17|
                                        ; implicit-def: $vgpr18_vgpr19
	s_and_saveexec_b32 s4, s1
	s_delay_alu instid0(SALU_CYCLE_1)
	s_xor_b32 s1, exec_lo, s4
	s_cbranch_execz .LBB5_14
; %bb.13:
	v_div_scale_f32 v18, null, v17, v17, v16
	v_div_scale_f32 v24, vcc_lo, v16, v17, v16
	s_delay_alu instid0(VALU_DEP_2) | instskip(SKIP_1) | instid1(TRANS32_DEP_1)
	v_rcp_f32_e32 v19, v18
	v_nop
	v_fma_f32 v23, -v18, v19, 1.0
	s_delay_alu instid0(VALU_DEP_1) | instskip(NEXT) | instid1(VALU_DEP_1)
	v_fmac_f32_e32 v19, v23, v19
	v_mul_f32_e32 v23, v24, v19
	s_delay_alu instid0(VALU_DEP_1) | instskip(NEXT) | instid1(VALU_DEP_1)
	v_fma_f32 v25, -v18, v23, v24
	v_fmac_f32_e32 v23, v25, v19
	s_delay_alu instid0(VALU_DEP_1) | instskip(NEXT) | instid1(VALU_DEP_1)
	v_fma_f32 v18, -v18, v23, v24
	v_div_fmas_f32 v18, v18, v19, v23
	s_delay_alu instid0(VALU_DEP_1) | instskip(NEXT) | instid1(VALU_DEP_1)
	v_div_fixup_f32 v18, v18, v17, v16
	v_fmac_f32_e32 v17, v16, v18
	s_delay_alu instid0(VALU_DEP_1) | instskip(SKIP_1) | instid1(VALU_DEP_2)
	v_div_scale_f32 v16, null, v17, v17, 1.0
	v_div_scale_f32 v24, vcc_lo, 1.0, v17, 1.0
	v_rcp_f32_e32 v19, v16
	v_nop
	s_delay_alu instid0(TRANS32_DEP_1) | instskip(NEXT) | instid1(VALU_DEP_1)
	v_fma_f32 v23, -v16, v19, 1.0
	v_fmac_f32_e32 v19, v23, v19
	s_delay_alu instid0(VALU_DEP_1) | instskip(NEXT) | instid1(VALU_DEP_1)
	v_mul_f32_e32 v23, v24, v19
	v_fma_f32 v25, -v16, v23, v24
	s_delay_alu instid0(VALU_DEP_1) | instskip(NEXT) | instid1(VALU_DEP_1)
	v_fmac_f32_e32 v23, v25, v19
	v_fma_f32 v16, -v16, v23, v24
	s_delay_alu instid0(VALU_DEP_1) | instskip(NEXT) | instid1(VALU_DEP_1)
	v_div_fmas_f32 v16, v16, v19, v23
	v_div_fixup_f32 v16, v16, v17, 1.0
	s_delay_alu instid0(VALU_DEP_1)
	v_mul_f32_e32 v18, v18, v16
	v_xor_b32_e32 v19, 0x80000000, v16
                                        ; implicit-def: $vgpr16_vgpr17
.LBB5_14:
	s_and_not1_saveexec_b32 s1, s1
	s_cbranch_execz .LBB5_16
; %bb.15:
	v_div_scale_f32 v18, null, v16, v16, v17
	v_div_scale_f32 v24, vcc_lo, v17, v16, v17
	s_delay_alu instid0(VALU_DEP_2) | instskip(SKIP_1) | instid1(TRANS32_DEP_1)
	v_rcp_f32_e32 v19, v18
	v_nop
	v_fma_f32 v23, -v18, v19, 1.0
	s_delay_alu instid0(VALU_DEP_1) | instskip(NEXT) | instid1(VALU_DEP_1)
	v_fmac_f32_e32 v19, v23, v19
	v_mul_f32_e32 v23, v24, v19
	s_delay_alu instid0(VALU_DEP_1) | instskip(NEXT) | instid1(VALU_DEP_1)
	v_fma_f32 v25, -v18, v23, v24
	v_fmac_f32_e32 v23, v25, v19
	s_delay_alu instid0(VALU_DEP_1) | instskip(NEXT) | instid1(VALU_DEP_1)
	v_fma_f32 v18, -v18, v23, v24
	v_div_fmas_f32 v18, v18, v19, v23
	s_delay_alu instid0(VALU_DEP_1) | instskip(NEXT) | instid1(VALU_DEP_1)
	v_div_fixup_f32 v19, v18, v16, v17
	v_fmac_f32_e32 v16, v17, v19
	s_delay_alu instid0(VALU_DEP_1) | instskip(NEXT) | instid1(VALU_DEP_1)
	v_div_scale_f32 v17, null, v16, v16, 1.0
	v_rcp_f32_e32 v18, v17
	v_nop
	s_delay_alu instid0(TRANS32_DEP_1) | instskip(NEXT) | instid1(VALU_DEP_1)
	v_fma_f32 v23, -v17, v18, 1.0
	v_fmac_f32_e32 v18, v23, v18
	v_div_scale_f32 v23, vcc_lo, 1.0, v16, 1.0
	s_delay_alu instid0(VALU_DEP_1) | instskip(NEXT) | instid1(VALU_DEP_1)
	v_mul_f32_e32 v24, v23, v18
	v_fma_f32 v25, -v17, v24, v23
	s_delay_alu instid0(VALU_DEP_1) | instskip(NEXT) | instid1(VALU_DEP_1)
	v_fmac_f32_e32 v24, v25, v18
	v_fma_f32 v17, -v17, v24, v23
	s_delay_alu instid0(VALU_DEP_1) | instskip(NEXT) | instid1(VALU_DEP_1)
	v_div_fmas_f32 v17, v17, v18, v24
	v_div_fixup_f32 v18, v17, v16, 1.0
	s_delay_alu instid0(VALU_DEP_1)
	v_mul_f32_e64 v19, v19, -v18
.LBB5_16:
	s_or_b32 exec_lo, exec_lo, s1
	ds_store_b64 v21, v[18:19]
.LBB5_17:
	s_or_b32 exec_lo, exec_lo, s2
	s_wait_dscnt 0x0
	s_barrier_signal -1
	s_barrier_wait -1
	ds_load_b64 v[16:17], v21
	s_mov_b32 s1, exec_lo
	v_cmpx_lt_u32_e32 1, v20
	s_cbranch_execz .LBB5_19
; %bb.18:
	ds_load_b64 v[18:19], v22 offset:16
	s_wait_dscnt 0x1
	v_pk_mul_f32 v[22:23], v[16:17], v[10:11] op_sel:[1,1] op_sel_hi:[0,1]
	s_delay_alu instid0(VALU_DEP_1) | instskip(SKIP_2) | instid1(VALU_DEP_2)
	v_pk_fma_f32 v[24:25], v[16:17], v[10:11], v[22:23] op_sel_hi:[1,0,1]
	v_pk_fma_f32 v[10:11], v[16:17], v[10:11], v[22:23] op_sel_hi:[1,0,1] neg_lo:[0,0,1] neg_hi:[0,0,1]
	s_wait_dscnt 0x0
	v_pk_mul_f32 v[22:23], v[18:19], v[24:25] op_sel:[1,1] op_sel_hi:[0,1]
	s_delay_alu instid0(VALU_DEP_1) | instskip(SKIP_1) | instid1(VALU_DEP_2)
	v_pk_fma_f32 v[26:27], v[18:19], v[10:11], v[22:23] op_sel_hi:[1,0,1]
	v_pk_fma_f32 v[18:19], v[18:19], v[10:11], v[22:23] neg_lo:[0,0,1] neg_hi:[0,0,1]
	v_dual_mov_b32 v11, v25 :: v_dual_mov_b32 v19, v27
	s_delay_alu instid0(VALU_DEP_1)
	v_pk_add_f32 v[8:9], v[8:9], v[18:19] neg_lo:[0,1] neg_hi:[0,1]
.LBB5_19:
	s_or_b32 exec_lo, exec_lo, s1
	s_delay_alu instid0(SALU_CYCLE_1)
	s_mov_b32 s2, exec_lo
	s_wait_dscnt 0x0
	s_barrier_signal -1
	s_barrier_wait -1
	v_cmpx_eq_u32_e32 2, v20
	s_cbranch_execz .LBB5_26
; %bb.20:
	v_cmp_neq_f32_e32 vcc_lo, 0, v8
	v_cmp_neq_f32_e64 s1, 0, v9
	ds_store_b64 v21, v[8:9]
	s_or_b32 s1, vcc_lo, s1
	s_delay_alu instid0(SALU_CYCLE_1)
	s_and_b32 exec_lo, exec_lo, s1
	s_cbranch_execz .LBB5_26
; %bb.21:
	v_cmp_ngt_f32_e64 s1, |v8|, |v9|
                                        ; implicit-def: $vgpr18_vgpr19
	s_and_saveexec_b32 s4, s1
	s_delay_alu instid0(SALU_CYCLE_1)
	s_xor_b32 s1, exec_lo, s4
	s_cbranch_execz .LBB5_23
; %bb.22:
	v_div_scale_f32 v18, null, v9, v9, v8
	v_div_scale_f32 v23, vcc_lo, v8, v9, v8
	s_delay_alu instid0(VALU_DEP_2) | instskip(SKIP_1) | instid1(TRANS32_DEP_1)
	v_rcp_f32_e32 v19, v18
	v_nop
	v_fma_f32 v22, -v18, v19, 1.0
	s_delay_alu instid0(VALU_DEP_1) | instskip(NEXT) | instid1(VALU_DEP_1)
	v_fmac_f32_e32 v19, v22, v19
	v_mul_f32_e32 v22, v23, v19
	s_delay_alu instid0(VALU_DEP_1) | instskip(NEXT) | instid1(VALU_DEP_1)
	v_fma_f32 v24, -v18, v22, v23
	v_fmac_f32_e32 v22, v24, v19
	s_delay_alu instid0(VALU_DEP_1) | instskip(NEXT) | instid1(VALU_DEP_1)
	v_fma_f32 v18, -v18, v22, v23
	v_div_fmas_f32 v18, v18, v19, v22
	s_delay_alu instid0(VALU_DEP_1) | instskip(NEXT) | instid1(VALU_DEP_1)
	v_div_fixup_f32 v18, v18, v9, v8
	v_fma_f32 v19, v8, v18, v9
	s_delay_alu instid0(VALU_DEP_1) | instskip(SKIP_1) | instid1(VALU_DEP_2)
	v_div_scale_f32 v22, null, v19, v19, 1.0
	v_div_scale_f32 v25, vcc_lo, 1.0, v19, 1.0
	v_rcp_f32_e32 v23, v22
	v_nop
	s_delay_alu instid0(TRANS32_DEP_1) | instskip(NEXT) | instid1(VALU_DEP_1)
	v_fma_f32 v24, -v22, v23, 1.0
	v_fmac_f32_e32 v23, v24, v23
	s_delay_alu instid0(VALU_DEP_1) | instskip(NEXT) | instid1(VALU_DEP_1)
	v_mul_f32_e32 v24, v25, v23
	v_fma_f32 v26, -v22, v24, v25
	s_delay_alu instid0(VALU_DEP_1) | instskip(NEXT) | instid1(VALU_DEP_1)
	v_fmac_f32_e32 v24, v26, v23
	v_fma_f32 v22, -v22, v24, v25
	s_delay_alu instid0(VALU_DEP_1) | instskip(NEXT) | instid1(VALU_DEP_1)
	v_div_fmas_f32 v22, v22, v23, v24
	v_div_fixup_f32 v19, v22, v19, 1.0
	s_delay_alu instid0(VALU_DEP_1)
	v_mul_f32_e32 v18, v18, v19
	v_xor_b32_e32 v19, 0x80000000, v19
.LBB5_23:
	s_and_not1_saveexec_b32 s1, s1
	s_cbranch_execz .LBB5_25
; %bb.24:
	v_div_scale_f32 v18, null, v8, v8, v9
	v_div_scale_f32 v23, vcc_lo, v9, v8, v9
	s_delay_alu instid0(VALU_DEP_2) | instskip(SKIP_1) | instid1(TRANS32_DEP_1)
	v_rcp_f32_e32 v19, v18
	v_nop
	v_fma_f32 v22, -v18, v19, 1.0
	s_delay_alu instid0(VALU_DEP_1) | instskip(NEXT) | instid1(VALU_DEP_1)
	v_fmac_f32_e32 v19, v22, v19
	v_mul_f32_e32 v22, v23, v19
	s_delay_alu instid0(VALU_DEP_1) | instskip(NEXT) | instid1(VALU_DEP_1)
	v_fma_f32 v24, -v18, v22, v23
	v_fmac_f32_e32 v22, v24, v19
	s_delay_alu instid0(VALU_DEP_1) | instskip(NEXT) | instid1(VALU_DEP_1)
	v_fma_f32 v18, -v18, v22, v23
	v_div_fmas_f32 v18, v18, v19, v22
	s_delay_alu instid0(VALU_DEP_1) | instskip(NEXT) | instid1(VALU_DEP_1)
	v_div_fixup_f32 v19, v18, v8, v9
	v_fma_f32 v18, v9, v19, v8
	s_delay_alu instid0(VALU_DEP_1) | instskip(NEXT) | instid1(VALU_DEP_1)
	v_div_scale_f32 v22, null, v18, v18, 1.0
	v_rcp_f32_e32 v23, v22
	v_nop
	s_delay_alu instid0(TRANS32_DEP_1) | instskip(NEXT) | instid1(VALU_DEP_1)
	v_fma_f32 v24, -v22, v23, 1.0
	v_fmac_f32_e32 v23, v24, v23
	v_div_scale_f32 v24, vcc_lo, 1.0, v18, 1.0
	s_delay_alu instid0(VALU_DEP_1) | instskip(NEXT) | instid1(VALU_DEP_1)
	v_mul_f32_e32 v25, v24, v23
	v_fma_f32 v26, -v22, v25, v24
	s_delay_alu instid0(VALU_DEP_1) | instskip(NEXT) | instid1(VALU_DEP_1)
	v_fmac_f32_e32 v25, v26, v23
	v_fma_f32 v22, -v22, v25, v24
	s_delay_alu instid0(VALU_DEP_1) | instskip(NEXT) | instid1(VALU_DEP_1)
	v_div_fmas_f32 v22, v22, v23, v25
	v_div_fixup_f32 v18, v22, v18, 1.0
	s_delay_alu instid0(VALU_DEP_1)
	v_mul_f32_e64 v19, v19, -v18
.LBB5_25:
	s_or_b32 exec_lo, exec_lo, s1
	ds_store_b64 v21, v[18:19]
.LBB5_26:
	s_or_b32 exec_lo, exec_lo, s2
	s_wait_dscnt 0x0
	s_barrier_signal -1
	s_barrier_wait -1
	ds_load_b64 v[18:19], v21
	s_wait_dscnt 0x0
	s_barrier_signal -1
	s_barrier_wait -1
	s_and_saveexec_b32 s4, s0
	s_cbranch_execz .LBB5_29
; %bb.27:
	v_lshl_add_u64 v[2:3], v[2:3], 2, s[6:7]
	v_cmp_eq_f32_e32 vcc_lo, 0, v14
	v_cmp_eq_f32_e64 s0, 0, v15
	v_cmp_neq_f32_e64 s1, 0, v16
	v_cmp_neq_f32_e64 s2, 0, v17
	global_load_b32 v21, v[2:3], off
	s_and_b32 s0, vcc_lo, s0
	s_delay_alu instid0(SALU_CYCLE_1) | instskip(SKIP_1) | instid1(SALU_CYCLE_1)
	v_cndmask_b32_e64 v14, 0, 1, s0
	s_or_b32 s1, s1, s2
	s_or_b32 vcc_lo, s1, s0
	v_cmp_eq_f32_e64 s0, 0, v19
	s_delay_alu instid0(VALU_DEP_2) | instskip(SKIP_1) | instid1(VALU_DEP_2)
	v_cndmask_b32_e32 v14, 2, v14, vcc_lo
	v_cmp_eq_f32_e32 vcc_lo, 0, v18
	v_cmp_eq_u32_e64 s1, 0, v14
	s_and_b32 s0, vcc_lo, s0
	s_delay_alu instid0(SALU_CYCLE_1) | instskip(NEXT) | instid1(SALU_CYCLE_1)
	s_and_b32 s0, s0, s1
	v_cndmask_b32_e64 v14, v14, 3, s0
	s_delay_alu instid0(VALU_DEP_1) | instskip(SKIP_3) | instid1(SALU_CYCLE_1)
	v_cmp_ne_u32_e64 s0, 0, v14
	s_wait_loadcnt 0x0
	v_cmp_eq_u32_e32 vcc_lo, 0, v21
	s_and_b32 s0, vcc_lo, s0
	s_and_b32 exec_lo, exec_lo, s0
	s_cbranch_execz .LBB5_29
; %bb.28:
	v_add_nc_u32_e32 v14, s3, v14
	global_store_b32 v[2:3], v14, off
.LBB5_29:
	s_wait_xcnt 0x0
	s_or_b32 exec_lo, exec_lo, s4
	v_pk_mul_f32 v[2:3], v[18:19], v[8:9] op_sel:[1,1] op_sel_hi:[0,1]
	v_cmp_lt_u32_e32 vcc_lo, 2, v20
	s_delay_alu instid0(VALU_DEP_2) | instskip(SKIP_1) | instid1(VALU_DEP_1)
	v_pk_fma_f32 v[14:15], v[18:19], v[8:9], v[2:3] neg_lo:[0,0,1] neg_hi:[0,0,1]
	v_pk_fma_f32 v[2:3], v[18:19], v[8:9], v[2:3] op_sel_hi:[1,0,1]
	v_dual_cndmask_b32 v2, v8, v14 :: v_dual_cndmask_b32 v3, v9, v3
	s_clause 0x2
	global_store_b64 v[0:1], v[12:13], off
	global_store_b64 v[4:5], v[10:11], off
	;; [unrolled: 1-line block ×3, first 2 shown]
.LBB5_30:
	s_endpgm
	.section	.rodata,"a",@progbits
	.p2align	6, 0x0
	.amdhsa_kernel _ZN9rocsolver6v33100L23getf2_npvt_small_kernelILi3E19rocblas_complex_numIfEiiPS3_EEvT1_T3_lS5_lPT2_S5_S5_
		.amdhsa_group_segment_fixed_size 0
		.amdhsa_private_segment_fixed_size 0
		.amdhsa_kernarg_size 312
		.amdhsa_user_sgpr_count 2
		.amdhsa_user_sgpr_dispatch_ptr 0
		.amdhsa_user_sgpr_queue_ptr 0
		.amdhsa_user_sgpr_kernarg_segment_ptr 1
		.amdhsa_user_sgpr_dispatch_id 0
		.amdhsa_user_sgpr_kernarg_preload_length 0
		.amdhsa_user_sgpr_kernarg_preload_offset 0
		.amdhsa_user_sgpr_private_segment_size 0
		.amdhsa_wavefront_size32 1
		.amdhsa_uses_dynamic_stack 0
		.amdhsa_enable_private_segment 0
		.amdhsa_system_sgpr_workgroup_id_x 1
		.amdhsa_system_sgpr_workgroup_id_y 1
		.amdhsa_system_sgpr_workgroup_id_z 0
		.amdhsa_system_sgpr_workgroup_info 0
		.amdhsa_system_vgpr_workitem_id 1
		.amdhsa_next_free_vgpr 34
		.amdhsa_next_free_sgpr 16
		.amdhsa_named_barrier_count 0
		.amdhsa_reserve_vcc 1
		.amdhsa_float_round_mode_32 0
		.amdhsa_float_round_mode_16_64 0
		.amdhsa_float_denorm_mode_32 3
		.amdhsa_float_denorm_mode_16_64 3
		.amdhsa_fp16_overflow 0
		.amdhsa_memory_ordered 1
		.amdhsa_forward_progress 1
		.amdhsa_inst_pref_size 20
		.amdhsa_round_robin_scheduling 0
		.amdhsa_exception_fp_ieee_invalid_op 0
		.amdhsa_exception_fp_denorm_src 0
		.amdhsa_exception_fp_ieee_div_zero 0
		.amdhsa_exception_fp_ieee_overflow 0
		.amdhsa_exception_fp_ieee_underflow 0
		.amdhsa_exception_fp_ieee_inexact 0
		.amdhsa_exception_int_div_zero 0
	.end_amdhsa_kernel
	.section	.text._ZN9rocsolver6v33100L23getf2_npvt_small_kernelILi3E19rocblas_complex_numIfEiiPS3_EEvT1_T3_lS5_lPT2_S5_S5_,"axG",@progbits,_ZN9rocsolver6v33100L23getf2_npvt_small_kernelILi3E19rocblas_complex_numIfEiiPS3_EEvT1_T3_lS5_lPT2_S5_S5_,comdat
.Lfunc_end5:
	.size	_ZN9rocsolver6v33100L23getf2_npvt_small_kernelILi3E19rocblas_complex_numIfEiiPS3_EEvT1_T3_lS5_lPT2_S5_S5_, .Lfunc_end5-_ZN9rocsolver6v33100L23getf2_npvt_small_kernelILi3E19rocblas_complex_numIfEiiPS3_EEvT1_T3_lS5_lPT2_S5_S5_
                                        ; -- End function
	.set _ZN9rocsolver6v33100L23getf2_npvt_small_kernelILi3E19rocblas_complex_numIfEiiPS3_EEvT1_T3_lS5_lPT2_S5_S5_.num_vgpr, 34
	.set _ZN9rocsolver6v33100L23getf2_npvt_small_kernelILi3E19rocblas_complex_numIfEiiPS3_EEvT1_T3_lS5_lPT2_S5_S5_.num_agpr, 0
	.set _ZN9rocsolver6v33100L23getf2_npvt_small_kernelILi3E19rocblas_complex_numIfEiiPS3_EEvT1_T3_lS5_lPT2_S5_S5_.numbered_sgpr, 16
	.set _ZN9rocsolver6v33100L23getf2_npvt_small_kernelILi3E19rocblas_complex_numIfEiiPS3_EEvT1_T3_lS5_lPT2_S5_S5_.num_named_barrier, 0
	.set _ZN9rocsolver6v33100L23getf2_npvt_small_kernelILi3E19rocblas_complex_numIfEiiPS3_EEvT1_T3_lS5_lPT2_S5_S5_.private_seg_size, 0
	.set _ZN9rocsolver6v33100L23getf2_npvt_small_kernelILi3E19rocblas_complex_numIfEiiPS3_EEvT1_T3_lS5_lPT2_S5_S5_.uses_vcc, 1
	.set _ZN9rocsolver6v33100L23getf2_npvt_small_kernelILi3E19rocblas_complex_numIfEiiPS3_EEvT1_T3_lS5_lPT2_S5_S5_.uses_flat_scratch, 0
	.set _ZN9rocsolver6v33100L23getf2_npvt_small_kernelILi3E19rocblas_complex_numIfEiiPS3_EEvT1_T3_lS5_lPT2_S5_S5_.has_dyn_sized_stack, 0
	.set _ZN9rocsolver6v33100L23getf2_npvt_small_kernelILi3E19rocblas_complex_numIfEiiPS3_EEvT1_T3_lS5_lPT2_S5_S5_.has_recursion, 0
	.set _ZN9rocsolver6v33100L23getf2_npvt_small_kernelILi3E19rocblas_complex_numIfEiiPS3_EEvT1_T3_lS5_lPT2_S5_S5_.has_indirect_call, 0
	.section	.AMDGPU.csdata,"",@progbits
; Kernel info:
; codeLenInByte = 2552
; TotalNumSgprs: 18
; NumVgprs: 34
; ScratchSize: 0
; MemoryBound: 0
; FloatMode: 240
; IeeeMode: 1
; LDSByteSize: 0 bytes/workgroup (compile time only)
; SGPRBlocks: 0
; VGPRBlocks: 2
; NumSGPRsForWavesPerEU: 18
; NumVGPRsForWavesPerEU: 34
; NamedBarCnt: 0
; Occupancy: 16
; WaveLimiterHint : 0
; COMPUTE_PGM_RSRC2:SCRATCH_EN: 0
; COMPUTE_PGM_RSRC2:USER_SGPR: 2
; COMPUTE_PGM_RSRC2:TRAP_HANDLER: 0
; COMPUTE_PGM_RSRC2:TGID_X_EN: 1
; COMPUTE_PGM_RSRC2:TGID_Y_EN: 1
; COMPUTE_PGM_RSRC2:TGID_Z_EN: 0
; COMPUTE_PGM_RSRC2:TIDIG_COMP_CNT: 1
	.section	.text._ZN9rocsolver6v33100L18getf2_small_kernelILi4E19rocblas_complex_numIfEiiPS3_EEvT1_T3_lS5_lPS5_llPT2_S5_S5_S7_l,"axG",@progbits,_ZN9rocsolver6v33100L18getf2_small_kernelILi4E19rocblas_complex_numIfEiiPS3_EEvT1_T3_lS5_lPS5_llPT2_S5_S5_S7_l,comdat
	.globl	_ZN9rocsolver6v33100L18getf2_small_kernelILi4E19rocblas_complex_numIfEiiPS3_EEvT1_T3_lS5_lPS5_llPT2_S5_S5_S7_l ; -- Begin function _ZN9rocsolver6v33100L18getf2_small_kernelILi4E19rocblas_complex_numIfEiiPS3_EEvT1_T3_lS5_lPS5_llPT2_S5_S5_S7_l
	.p2align	8
	.type	_ZN9rocsolver6v33100L18getf2_small_kernelILi4E19rocblas_complex_numIfEiiPS3_EEvT1_T3_lS5_lPS5_llPT2_S5_S5_S7_l,@function
_ZN9rocsolver6v33100L18getf2_small_kernelILi4E19rocblas_complex_numIfEiiPS3_EEvT1_T3_lS5_lPS5_llPT2_S5_S5_S7_l: ; @_ZN9rocsolver6v33100L18getf2_small_kernelILi4E19rocblas_complex_numIfEiiPS3_EEvT1_T3_lS5_lPS5_llPT2_S5_S5_S7_l
; %bb.0:
	s_clause 0x1
	s_load_u16 s4, s[0:1], 0x6e
	s_load_b64 s[2:3], s[0:1], 0x48
	s_bfe_u32 s5, ttmp6, 0x40010
	s_bfe_u32 s6, ttmp6, 0x40004
	s_add_co_i32 s5, s5, 1
	s_getreg_b32 s7, hwreg(HW_REG_IB_STS2, 6, 4)
	s_mul_i32 s5, ttmp7, s5
	v_bfe_u32 v14, v0, 10, 10
	s_add_co_i32 s6, s6, s5
	s_cmp_eq_u32 s7, 0
	s_cselect_b32 s5, ttmp7, s6
	s_wait_kmcnt 0x0
	v_mad_u32 v2, s5, s4, v14
	s_delay_alu instid0(VALU_DEP_1)
	v_cmp_gt_i32_e32 vcc_lo, s2, v2
	s_and_saveexec_b32 s2, vcc_lo
	s_cbranch_execz .LBB6_85
; %bb.1:
	s_load_b128 s[4:7], s[0:1], 0x50
	v_mov_b64_e32 v[12:13], 0
	v_ashrrev_i32_e32 v3, 31, v2
	s_wait_kmcnt 0x0
	s_cmp_eq_u64 s[4:5], 0
	s_cselect_b32 s2, -1, 0
	s_delay_alu instid0(SALU_CYCLE_1)
	s_and_b32 vcc_lo, exec_lo, s2
	s_cbranch_vccnz .LBB6_3
; %bb.2:
	v_mul_u64_e32 v[4:5], s[6:7], v[2:3]
	s_delay_alu instid0(VALU_DEP_1)
	v_lshl_add_u64 v[12:13], v[4:5], 2, s[4:5]
.LBB6_3:
	s_load_b256 s[4:11], s[0:1], 0x20
	v_and_b32_e32 v20, 0x3ff, v0
	v_mov_b32_e32 v17, 0
	s_wait_kmcnt 0x0
	v_mul_u64_e32 v[4:5], s[4:5], v[2:3]
	s_clause 0x1
	s_load_b32 s4, s[0:1], 0x18
	s_load_b128 s[12:15], s[0:1], 0x8
	s_wait_kmcnt 0x0
	v_add3_u32 v6, s4, s4, v20
	v_lshlrev_b32_e32 v16, 3, v20
	s_ashr_i32 s5, s4, 31
	s_delay_alu instid0(VALU_DEP_2) | instskip(NEXT) | instid1(VALU_DEP_4)
	v_ashrrev_i32_e32 v7, 31, v6
	v_lshl_add_u64 v[0:1], v[4:5], 3, s[12:13]
	v_add_nc_u32_e32 v4, s4, v6
	s_delay_alu instid0(VALU_DEP_2) | instskip(NEXT) | instid1(VALU_DEP_2)
	v_lshl_add_u64 v[0:1], s[14:15], 3, v[0:1]
	v_ashrrev_i32_e32 v5, 31, v4
	s_load_b32 s14, s[0:1], 0x0
	s_delay_alu instid0(VALU_DEP_2) | instskip(SKIP_1) | instid1(VALU_DEP_3)
	v_add_nc_u64_e32 v[10:11], v[0:1], v[16:17]
	v_lshl_add_u64 v[18:19], v[6:7], 3, v[0:1]
	v_lshl_add_u64 v[22:23], v[4:5], 3, v[0:1]
	s_clause 0x2
	global_load_b64 v[4:5], v[18:19], off
	global_load_b64 v[6:7], v[22:23], off
	;; [unrolled: 1-line block ×3, first 2 shown]
	s_wait_xcnt 0x0
	v_lshl_add_u64 v[10:11], s[4:5], 3, v[10:11]
	global_load_b64 v[10:11], v[10:11], off
	s_wait_kmcnt 0x0
	s_max_i32 s12, s14, 4
	s_cmp_lt_i32 s14, 2
	v_mul_lo_u32 v19, s12, v14
	s_load_b64 s[12:13], s[0:1], 0x40
	s_delay_alu instid0(VALU_DEP_1) | instskip(NEXT) | instid1(VALU_DEP_1)
	v_lshl_add_u32 v18, v19, 3, 0
	v_dual_lshlrev_b32 v19, 3, v19 :: v_dual_add_nc_u32 v14, v18, v16
	s_wait_loadcnt 0x1
	ds_store_b64 v14, v[8:9]
	s_wait_loadcnt_dscnt 0x0
	s_barrier_signal -1
	s_barrier_wait -1
	ds_load_b64 v[14:15], v18
	s_cbranch_scc1 .LBB6_6
; %bb.4:
	v_add3_u32 v16, v19, 0, 8
	v_mov_b32_e32 v17, 0
	s_wait_xcnt 0x0
	s_mov_b32 s0, 1
.LBB6_5:                                ; =>This Inner Loop Header: Depth=1
	ds_load_b64 v[22:23], v16
	s_wait_dscnt 0x1
	v_cmp_gt_f32_e32 vcc_lo, 0, v14
	v_cndmask_b32_e64 v24, v14, -v14, vcc_lo
	v_cmp_gt_f32_e32 vcc_lo, 0, v15
	v_cndmask_b32_e64 v26, v15, -v15, vcc_lo
	s_wait_dscnt 0x0
	v_cmp_gt_f32_e32 vcc_lo, 0, v22
	v_cndmask_b32_e64 v25, v22, -v22, vcc_lo
	v_cmp_gt_f32_e32 vcc_lo, 0, v23
	v_cndmask_b32_e64 v27, v23, -v23, vcc_lo
	s_delay_alu instid0(VALU_DEP_1) | instskip(NEXT) | instid1(VALU_DEP_1)
	v_pk_add_f32 v[24:25], v[24:25], v[26:27]
	v_cmp_lt_f32_e32 vcc_lo, v24, v25
	v_dual_cndmask_b32 v15, v15, v23 :: v_dual_add_nc_u32 v16, 8, v16
	v_cndmask_b32_e32 v14, v14, v22, vcc_lo
	v_cndmask_b32_e64 v17, v17, s0, vcc_lo
	s_add_co_i32 s0, s0, 1
	s_delay_alu instid0(SALU_CYCLE_1)
	s_cmp_eq_u32 s14, s0
	s_cbranch_scc0 .LBB6_5
.LBB6_6:
	s_wait_dscnt 0x0
	v_cmp_neq_f32_e32 vcc_lo, 0, v14
	s_wait_xcnt 0x0
	v_cmp_neq_f32_e64 s0, 0, v15
	v_dual_mov_b32 v21, 1 :: v_dual_mov_b32 v22, 1
	s_or_b32 s1, vcc_lo, s0
	s_delay_alu instid0(SALU_CYCLE_1)
	s_and_saveexec_b32 s0, s1
	s_cbranch_execz .LBB6_12
; %bb.7:
	v_cmp_ngt_f32_e64 s1, |v14|, |v15|
	s_and_saveexec_b32 s15, s1
	s_delay_alu instid0(SALU_CYCLE_1)
	s_xor_b32 s1, exec_lo, s15
	s_cbranch_execz .LBB6_9
; %bb.8:
	v_div_scale_f32 v16, null, v15, v15, v14
	v_div_scale_f32 v23, vcc_lo, v14, v15, v14
	s_delay_alu instid0(VALU_DEP_2) | instskip(SKIP_1) | instid1(TRANS32_DEP_1)
	v_rcp_f32_e32 v21, v16
	v_nop
	v_fma_f32 v22, -v16, v21, 1.0
	s_delay_alu instid0(VALU_DEP_1) | instskip(NEXT) | instid1(VALU_DEP_1)
	v_fmac_f32_e32 v21, v22, v21
	v_mul_f32_e32 v22, v23, v21
	s_delay_alu instid0(VALU_DEP_1) | instskip(NEXT) | instid1(VALU_DEP_1)
	v_fma_f32 v24, -v16, v22, v23
	v_fmac_f32_e32 v22, v24, v21
	s_delay_alu instid0(VALU_DEP_1) | instskip(NEXT) | instid1(VALU_DEP_1)
	v_fma_f32 v16, -v16, v22, v23
	v_div_fmas_f32 v16, v16, v21, v22
	s_delay_alu instid0(VALU_DEP_1) | instskip(NEXT) | instid1(VALU_DEP_1)
	v_div_fixup_f32 v16, v16, v15, v14
	v_fmac_f32_e32 v15, v14, v16
	s_delay_alu instid0(VALU_DEP_1) | instskip(SKIP_1) | instid1(VALU_DEP_2)
	v_div_scale_f32 v14, null, v15, v15, 1.0
	v_div_scale_f32 v23, vcc_lo, 1.0, v15, 1.0
	v_rcp_f32_e32 v21, v14
	v_nop
	s_delay_alu instid0(TRANS32_DEP_1) | instskip(NEXT) | instid1(VALU_DEP_1)
	v_fma_f32 v22, -v14, v21, 1.0
	v_fmac_f32_e32 v21, v22, v21
	s_delay_alu instid0(VALU_DEP_1) | instskip(NEXT) | instid1(VALU_DEP_1)
	v_mul_f32_e32 v22, v23, v21
	v_fma_f32 v24, -v14, v22, v23
	s_delay_alu instid0(VALU_DEP_1) | instskip(NEXT) | instid1(VALU_DEP_1)
	v_fmac_f32_e32 v22, v24, v21
	v_fma_f32 v14, -v14, v22, v23
	s_delay_alu instid0(VALU_DEP_1) | instskip(NEXT) | instid1(VALU_DEP_1)
	v_div_fmas_f32 v14, v14, v21, v22
	v_div_fixup_f32 v15, v14, v15, 1.0
	s_delay_alu instid0(VALU_DEP_1)
	v_mul_f32_e32 v14, v16, v15
	v_xor_b32_e32 v15, 0x80000000, v15
.LBB6_9:
	s_and_not1_saveexec_b32 s1, s1
	s_cbranch_execz .LBB6_11
; %bb.10:
	s_delay_alu instid0(VALU_DEP_1) | instskip(SKIP_1) | instid1(VALU_DEP_2)
	v_div_scale_f32 v16, null, v14, v14, v15
	v_div_scale_f32 v23, vcc_lo, v15, v14, v15
	v_rcp_f32_e32 v21, v16
	v_nop
	s_delay_alu instid0(TRANS32_DEP_1) | instskip(NEXT) | instid1(VALU_DEP_1)
	v_fma_f32 v22, -v16, v21, 1.0
	v_fmac_f32_e32 v21, v22, v21
	s_delay_alu instid0(VALU_DEP_1) | instskip(NEXT) | instid1(VALU_DEP_1)
	v_mul_f32_e32 v22, v23, v21
	v_fma_f32 v24, -v16, v22, v23
	s_delay_alu instid0(VALU_DEP_1) | instskip(NEXT) | instid1(VALU_DEP_1)
	v_fmac_f32_e32 v22, v24, v21
	v_fma_f32 v16, -v16, v22, v23
	s_delay_alu instid0(VALU_DEP_1) | instskip(NEXT) | instid1(VALU_DEP_1)
	v_div_fmas_f32 v16, v16, v21, v22
	v_div_fixup_f32 v16, v16, v14, v15
	s_delay_alu instid0(VALU_DEP_1) | instskip(NEXT) | instid1(VALU_DEP_1)
	v_fmac_f32_e32 v14, v15, v16
	v_div_scale_f32 v15, null, v14, v14, 1.0
	s_delay_alu instid0(VALU_DEP_1) | instskip(SKIP_1) | instid1(TRANS32_DEP_1)
	v_rcp_f32_e32 v21, v15
	v_nop
	v_fma_f32 v22, -v15, v21, 1.0
	s_delay_alu instid0(VALU_DEP_1) | instskip(SKIP_1) | instid1(VALU_DEP_1)
	v_fmac_f32_e32 v21, v22, v21
	v_div_scale_f32 v22, vcc_lo, 1.0, v14, 1.0
	v_mul_f32_e32 v23, v22, v21
	s_delay_alu instid0(VALU_DEP_1) | instskip(NEXT) | instid1(VALU_DEP_1)
	v_fma_f32 v24, -v15, v23, v22
	v_fmac_f32_e32 v23, v24, v21
	s_delay_alu instid0(VALU_DEP_1) | instskip(NEXT) | instid1(VALU_DEP_1)
	v_fma_f32 v15, -v15, v23, v22
	v_div_fmas_f32 v15, v15, v21, v23
	s_delay_alu instid0(VALU_DEP_1) | instskip(NEXT) | instid1(VALU_DEP_1)
	v_div_fixup_f32 v14, v15, v14, 1.0
	v_mul_f32_e64 v15, v16, -v14
.LBB6_11:
	s_or_b32 exec_lo, exec_lo, s1
	v_dual_mov_b32 v22, 0 :: v_dual_mov_b32 v21, 2
.LBB6_12:
	s_or_b32 exec_lo, exec_lo, s0
	s_delay_alu instid0(SALU_CYCLE_1)
	s_mov_b32 s0, exec_lo
	v_cmpx_ne_u32_e64 v20, v17
	s_xor_b32 s0, exec_lo, s0
	s_cbranch_execz .LBB6_18
; %bb.13:
	s_mov_b32 s1, exec_lo
	v_cmpx_eq_u32_e32 0, v20
	s_cbranch_execz .LBB6_17
; %bb.14:
	v_cmp_ne_u32_e32 vcc_lo, 0, v17
	s_xor_b32 s15, s2, -1
	s_delay_alu instid0(SALU_CYCLE_1) | instskip(NEXT) | instid1(SALU_CYCLE_1)
	s_and_b32 s16, s15, vcc_lo
	s_and_saveexec_b32 s15, s16
	s_cbranch_execz .LBB6_16
; %bb.15:
	v_dual_mov_b32 v24, v17 :: v_dual_ashrrev_i32 v25, 31, v17
	s_delay_alu instid0(VALU_DEP_1)
	v_lshl_add_u64 v[24:25], v[24:25], 2, v[12:13]
	s_clause 0x1
	global_load_b32 v16, v[24:25], off
	global_load_b32 v20, v[12:13], off
	s_wait_loadcnt 0x1
	global_store_b32 v[12:13], v16, off
	s_wait_loadcnt 0x0
	global_store_b32 v[24:25], v20, off
.LBB6_16:
	s_wait_xcnt 0x0
	s_or_b32 exec_lo, exec_lo, s15
	v_mov_b32_e32 v20, v17
.LBB6_17:
	s_or_b32 exec_lo, exec_lo, s1
.LBB6_18:
	s_or_saveexec_b32 s0, s0
	s_delay_alu instid0(VALU_DEP_1)
	v_mov_b32_e32 v17, v20
	s_xor_b32 exec_lo, exec_lo, s0
	s_cbranch_execz .LBB6_20
; %bb.19:
	v_mov_b32_e32 v17, 0
	ds_store_2addr_b64 v18, v[10:11], v[4:5] offset0:1 offset1:2
	ds_store_b64 v18, v[6:7] offset:24
.LBB6_20:
	s_or_b32 exec_lo, exec_lo, s0
	s_delay_alu instid0(SALU_CYCLE_1)
	s_mov_b32 s0, exec_lo
	s_wait_storecnt_dscnt 0x0
	s_barrier_signal -1
	s_barrier_wait -1
	v_cmpx_lt_i32_e32 0, v17
	s_cbranch_execz .LBB6_22
; %bb.21:
	ds_load_2addr_b64 v[24:27], v18 offset0:1 offset1:2
	ds_load_b64 v[28:29], v18 offset:24
	v_pk_mul_f32 v[30:31], v[14:15], v[8:9] op_sel:[1,1] op_sel_hi:[0,1]
	s_delay_alu instid0(VALU_DEP_1) | instskip(SKIP_2) | instid1(VALU_DEP_2)
	v_pk_fma_f32 v[32:33], v[14:15], v[8:9], v[30:31] op_sel_hi:[1,0,1]
	v_pk_fma_f32 v[8:9], v[14:15], v[8:9], v[30:31] op_sel_hi:[1,0,1] neg_lo:[0,0,1] neg_hi:[0,0,1]
	s_wait_dscnt 0x1
	v_pk_mul_f32 v[14:15], v[24:25], v[32:33] op_sel:[0,1]
	v_pk_mul_f32 v[30:31], v[26:27], v[32:33] op_sel:[0,1]
	s_wait_dscnt 0x0
	v_pk_mul_f32 v[34:35], v[28:29], v[32:33] op_sel:[1,1] op_sel_hi:[0,1]
	s_delay_alu instid0(VALU_DEP_3) | instskip(SKIP_2) | instid1(VALU_DEP_4)
	v_pk_fma_f32 v[36:37], v[24:25], v[8:9], v[14:15] op_sel:[0,0,1] op_sel_hi:[1,1,0] neg_lo:[0,0,1] neg_hi:[0,0,1]
	v_pk_fma_f32 v[14:15], v[24:25], v[8:9], v[14:15] op_sel:[0,0,1] op_sel_hi:[1,0,0]
	v_pk_fma_f32 v[24:25], v[26:27], v[8:9], v[30:31] op_sel:[0,0,1] op_sel_hi:[1,0,0]
	v_pk_fma_f32 v[38:39], v[28:29], v[8:9], v[34:35] op_sel_hi:[1,0,1]
	v_pk_fma_f32 v[26:27], v[26:27], v[8:9], v[30:31] op_sel:[0,0,1] op_sel_hi:[1,1,0] neg_lo:[0,0,1] neg_hi:[0,0,1]
	v_pk_fma_f32 v[28:29], v[28:29], v[8:9], v[34:35] neg_lo:[0,0,1] neg_hi:[0,0,1]
	s_delay_alu instid0(VALU_DEP_4) | instskip(NEXT) | instid1(VALU_DEP_4)
	v_dual_mov_b32 v37, v15 :: v_dual_mov_b32 v27, v25
	v_dual_mov_b32 v29, v39 :: v_dual_mov_b32 v9, v33
	s_delay_alu instid0(VALU_DEP_2) | instskip(NEXT) | instid1(VALU_DEP_3)
	v_pk_add_f32 v[10:11], v[10:11], v[36:37] neg_lo:[0,1] neg_hi:[0,1]
	v_pk_add_f32 v[4:5], v[4:5], v[26:27] neg_lo:[0,1] neg_hi:[0,1]
	s_delay_alu instid0(VALU_DEP_3)
	v_pk_add_f32 v[6:7], v[6:7], v[28:29] neg_lo:[0,1] neg_hi:[0,1]
.LBB6_22:
	s_or_b32 exec_lo, exec_lo, s0
	v_lshl_add_u32 v14, v17, 3, v18
	s_barrier_signal -1
	s_barrier_wait -1
	ds_store_b64 v14, v[10:11]
	s_wait_dscnt 0x0
	s_barrier_signal -1
	s_barrier_wait -1
	ds_load_b64 v[14:15], v18 offset:8
	v_mov_b32_e32 v16, 1
	s_cmp_lt_i32 s14, 3
	s_cbranch_scc1 .LBB6_25
; %bb.23:
	v_add3_u32 v23, v19, 0, 16
	v_mov_b32_e32 v16, 1
	s_mov_b32 s0, 2
.LBB6_24:                               ; =>This Inner Loop Header: Depth=1
	ds_load_b64 v[24:25], v23
	s_wait_dscnt 0x1
	v_cmp_gt_f32_e32 vcc_lo, 0, v14
	v_cndmask_b32_e64 v26, v14, -v14, vcc_lo
	v_cmp_gt_f32_e32 vcc_lo, 0, v15
	v_cndmask_b32_e64 v28, v15, -v15, vcc_lo
	s_wait_dscnt 0x0
	v_cmp_gt_f32_e32 vcc_lo, 0, v24
	v_cndmask_b32_e64 v27, v24, -v24, vcc_lo
	v_cmp_gt_f32_e32 vcc_lo, 0, v25
	v_cndmask_b32_e64 v29, v25, -v25, vcc_lo
	s_delay_alu instid0(VALU_DEP_1) | instskip(NEXT) | instid1(VALU_DEP_1)
	v_pk_add_f32 v[26:27], v[26:27], v[28:29]
	v_cmp_lt_f32_e32 vcc_lo, v26, v27
	v_dual_add_nc_u32 v23, 8, v23 :: v_dual_cndmask_b32 v15, v15, v25, vcc_lo
	v_cndmask_b32_e32 v14, v14, v24, vcc_lo
	v_cndmask_b32_e64 v16, v16, s0, vcc_lo
	s_add_co_i32 s0, s0, 1
	s_delay_alu instid0(SALU_CYCLE_1)
	s_cmp_lg_u32 s14, s0
	s_cbranch_scc1 .LBB6_24
.LBB6_25:
	s_wait_dscnt 0x0
	v_cmp_neq_f32_e32 vcc_lo, 0, v14
	v_cmp_neq_f32_e64 s0, 0, v15
	s_or_b32 s1, vcc_lo, s0
	s_delay_alu instid0(SALU_CYCLE_1)
	s_and_saveexec_b32 s0, s1
	s_cbranch_execz .LBB6_31
; %bb.26:
	v_cmp_ngt_f32_e64 s1, |v14|, |v15|
	s_and_saveexec_b32 s15, s1
	s_delay_alu instid0(SALU_CYCLE_1)
	s_xor_b32 s1, exec_lo, s15
	s_cbranch_execz .LBB6_28
; %bb.27:
	v_div_scale_f32 v21, null, v15, v15, v14
	v_div_scale_f32 v25, vcc_lo, v14, v15, v14
	s_delay_alu instid0(VALU_DEP_2) | instskip(SKIP_1) | instid1(TRANS32_DEP_1)
	v_rcp_f32_e32 v23, v21
	v_nop
	v_fma_f32 v24, -v21, v23, 1.0
	s_delay_alu instid0(VALU_DEP_1) | instskip(NEXT) | instid1(VALU_DEP_1)
	v_fmac_f32_e32 v23, v24, v23
	v_mul_f32_e32 v24, v25, v23
	s_delay_alu instid0(VALU_DEP_1) | instskip(NEXT) | instid1(VALU_DEP_1)
	v_fma_f32 v26, -v21, v24, v25
	v_fmac_f32_e32 v24, v26, v23
	s_delay_alu instid0(VALU_DEP_1) | instskip(NEXT) | instid1(VALU_DEP_1)
	v_fma_f32 v21, -v21, v24, v25
	v_div_fmas_f32 v21, v21, v23, v24
	s_delay_alu instid0(VALU_DEP_1) | instskip(NEXT) | instid1(VALU_DEP_1)
	v_div_fixup_f32 v21, v21, v15, v14
	v_fmac_f32_e32 v15, v14, v21
	s_delay_alu instid0(VALU_DEP_1) | instskip(SKIP_1) | instid1(VALU_DEP_2)
	v_div_scale_f32 v14, null, v15, v15, 1.0
	v_div_scale_f32 v25, vcc_lo, 1.0, v15, 1.0
	v_rcp_f32_e32 v23, v14
	v_nop
	s_delay_alu instid0(TRANS32_DEP_1) | instskip(NEXT) | instid1(VALU_DEP_1)
	v_fma_f32 v24, -v14, v23, 1.0
	v_fmac_f32_e32 v23, v24, v23
	s_delay_alu instid0(VALU_DEP_1) | instskip(NEXT) | instid1(VALU_DEP_1)
	v_mul_f32_e32 v24, v25, v23
	v_fma_f32 v26, -v14, v24, v25
	s_delay_alu instid0(VALU_DEP_1) | instskip(NEXT) | instid1(VALU_DEP_1)
	v_fmac_f32_e32 v24, v26, v23
	v_fma_f32 v14, -v14, v24, v25
	s_delay_alu instid0(VALU_DEP_1) | instskip(NEXT) | instid1(VALU_DEP_1)
	v_div_fmas_f32 v14, v14, v23, v24
	v_div_fixup_f32 v15, v14, v15, 1.0
	s_delay_alu instid0(VALU_DEP_1)
	v_mul_f32_e32 v14, v21, v15
	v_xor_b32_e32 v15, 0x80000000, v15
.LBB6_28:
	s_and_not1_saveexec_b32 s1, s1
	s_cbranch_execz .LBB6_30
; %bb.29:
	s_delay_alu instid0(VALU_DEP_1) | instskip(SKIP_1) | instid1(VALU_DEP_2)
	v_div_scale_f32 v21, null, v14, v14, v15
	v_div_scale_f32 v25, vcc_lo, v15, v14, v15
	v_rcp_f32_e32 v23, v21
	v_nop
	s_delay_alu instid0(TRANS32_DEP_1) | instskip(NEXT) | instid1(VALU_DEP_1)
	v_fma_f32 v24, -v21, v23, 1.0
	v_fmac_f32_e32 v23, v24, v23
	s_delay_alu instid0(VALU_DEP_1) | instskip(NEXT) | instid1(VALU_DEP_1)
	v_mul_f32_e32 v24, v25, v23
	v_fma_f32 v26, -v21, v24, v25
	s_delay_alu instid0(VALU_DEP_1) | instskip(NEXT) | instid1(VALU_DEP_1)
	v_fmac_f32_e32 v24, v26, v23
	v_fma_f32 v21, -v21, v24, v25
	s_delay_alu instid0(VALU_DEP_1) | instskip(NEXT) | instid1(VALU_DEP_1)
	v_div_fmas_f32 v21, v21, v23, v24
	v_div_fixup_f32 v21, v21, v14, v15
	s_delay_alu instid0(VALU_DEP_1) | instskip(NEXT) | instid1(VALU_DEP_1)
	v_fmac_f32_e32 v14, v15, v21
	v_div_scale_f32 v15, null, v14, v14, 1.0
	s_delay_alu instid0(VALU_DEP_1) | instskip(SKIP_1) | instid1(TRANS32_DEP_1)
	v_rcp_f32_e32 v23, v15
	v_nop
	v_fma_f32 v24, -v15, v23, 1.0
	s_delay_alu instid0(VALU_DEP_1) | instskip(SKIP_1) | instid1(VALU_DEP_1)
	v_fmac_f32_e32 v23, v24, v23
	v_div_scale_f32 v24, vcc_lo, 1.0, v14, 1.0
	v_mul_f32_e32 v25, v24, v23
	s_delay_alu instid0(VALU_DEP_1) | instskip(NEXT) | instid1(VALU_DEP_1)
	v_fma_f32 v26, -v15, v25, v24
	v_fmac_f32_e32 v25, v26, v23
	s_delay_alu instid0(VALU_DEP_1) | instskip(NEXT) | instid1(VALU_DEP_1)
	v_fma_f32 v15, -v15, v25, v24
	v_div_fmas_f32 v15, v15, v23, v25
	s_delay_alu instid0(VALU_DEP_1) | instskip(NEXT) | instid1(VALU_DEP_1)
	v_div_fixup_f32 v14, v15, v14, 1.0
	v_mul_f32_e64 v15, v21, -v14
.LBB6_30:
	s_or_b32 exec_lo, exec_lo, s1
	v_mov_b32_e32 v21, v22
.LBB6_31:
	s_or_b32 exec_lo, exec_lo, s0
	s_delay_alu instid0(SALU_CYCLE_1)
	s_mov_b32 s0, exec_lo
	v_cmpx_ne_u32_e64 v17, v16
	s_xor_b32 s0, exec_lo, s0
	s_cbranch_execz .LBB6_37
; %bb.32:
	s_mov_b32 s1, exec_lo
	v_cmpx_eq_u32_e32 1, v17
	s_cbranch_execz .LBB6_36
; %bb.33:
	v_cmp_ne_u32_e32 vcc_lo, 1, v16
	s_xor_b32 s15, s2, -1
	s_delay_alu instid0(SALU_CYCLE_1) | instskip(NEXT) | instid1(SALU_CYCLE_1)
	s_and_b32 s16, s15, vcc_lo
	s_and_saveexec_b32 s15, s16
	s_cbranch_execz .LBB6_35
; %bb.34:
	v_ashrrev_i32_e32 v17, 31, v16
	s_delay_alu instid0(VALU_DEP_1)
	v_lshl_add_u64 v[22:23], v[16:17], 2, v[12:13]
	s_clause 0x1
	global_load_b32 v17, v[22:23], off
	global_load_b32 v20, v[12:13], off offset:4
	s_wait_loadcnt 0x1
	global_store_b32 v[12:13], v17, off offset:4
	s_wait_loadcnt 0x0
	global_store_b32 v[22:23], v20, off
.LBB6_35:
	s_wait_xcnt 0x0
	s_or_b32 exec_lo, exec_lo, s15
	v_dual_mov_b32 v17, v16 :: v_dual_mov_b32 v20, v16
.LBB6_36:
	s_or_b32 exec_lo, exec_lo, s1
.LBB6_37:
	s_and_not1_saveexec_b32 s0, s0
; %bb.38:
	v_dual_mov_b32 v22, v4 :: v_dual_mov_b32 v23, v5
	v_mov_b32_e32 v17, 1
	ds_store_2addr_b64 v18, v[22:23], v[6:7] offset0:2 offset1:3
; %bb.39:
	s_or_b32 exec_lo, exec_lo, s0
	s_delay_alu instid0(SALU_CYCLE_1)
	s_mov_b32 s0, exec_lo
	s_wait_storecnt_dscnt 0x0
	s_barrier_signal -1
	s_barrier_wait -1
	v_cmpx_lt_i32_e32 1, v17
	s_cbranch_execz .LBB6_41
; %bb.40:
	ds_load_2addr_b64 v[22:25], v18 offset0:2 offset1:3
	v_pk_mul_f32 v[26:27], v[14:15], v[10:11] op_sel:[1,1] op_sel_hi:[0,1]
	s_delay_alu instid0(VALU_DEP_1) | instskip(SKIP_3) | instid1(VALU_DEP_3)
	v_pk_fma_f32 v[28:29], v[14:15], v[10:11], v[26:27] op_sel_hi:[1,0,1]
	v_pk_fma_f32 v[10:11], v[14:15], v[10:11], v[26:27] op_sel_hi:[1,0,1] neg_lo:[0,0,1] neg_hi:[0,0,1]
	s_wait_dscnt 0x0
	v_dual_mov_b32 v30, v25 :: v_dual_mov_b32 v31, v24
	v_pk_mul_f32 v[14:15], v[22:23], v[28:29] op_sel:[0,1]
	s_delay_alu instid0(VALU_DEP_2) | instskip(NEXT) | instid1(VALU_DEP_2)
	v_pk_mul_f32 v[26:27], v[30:31], v[28:29] op_sel:[0,1]
	v_pk_fma_f32 v[30:31], v[22:23], v[10:11], v[14:15] op_sel:[0,0,1] op_sel_hi:[1,0,0]
	v_pk_fma_f32 v[14:15], v[22:23], v[10:11], v[14:15] op_sel:[0,0,1] op_sel_hi:[1,1,0] neg_lo:[0,0,1] neg_hi:[0,0,1]
	s_delay_alu instid0(VALU_DEP_3) | instskip(SKIP_1) | instid1(VALU_DEP_4)
	v_pk_fma_f32 v[32:33], v[24:25], v[10:11], v[26:27] op_sel_hi:[1,0,1]
	v_pk_fma_f32 v[22:23], v[24:25], v[10:11], v[26:27] neg_lo:[0,0,1] neg_hi:[0,0,1]
	v_dual_mov_b32 v15, v31 :: v_dual_mov_b32 v11, v29
	s_delay_alu instid0(VALU_DEP_3) | instskip(NEXT) | instid1(VALU_DEP_2)
	v_mov_b32_e32 v23, v33
	v_pk_add_f32 v[4:5], v[4:5], v[14:15] neg_lo:[0,1] neg_hi:[0,1]
	s_delay_alu instid0(VALU_DEP_2)
	v_pk_add_f32 v[6:7], v[6:7], v[22:23] neg_lo:[0,1] neg_hi:[0,1]
.LBB6_41:
	s_or_b32 exec_lo, exec_lo, s0
	v_lshl_add_u32 v14, v17, 3, v18
	s_barrier_signal -1
	s_barrier_wait -1
	ds_store_b64 v14, v[4:5]
	s_wait_dscnt 0x0
	s_barrier_signal -1
	s_barrier_wait -1
	ds_load_b64 v[14:15], v18 offset:16
	v_mov_b32_e32 v16, 2
	s_cmp_lt_i32 s14, 4
	s_mov_b32 s0, 3
	s_cbranch_scc1 .LBB6_44
; %bb.42:
	v_add3_u32 v22, v19, 0, 24
	v_mov_b32_e32 v16, 2
.LBB6_43:                               ; =>This Inner Loop Header: Depth=1
	ds_load_b64 v[24:25], v22
	s_wait_dscnt 0x1
	v_cmp_gt_f32_e32 vcc_lo, 0, v14
	v_cndmask_b32_e64 v26, v14, -v14, vcc_lo
	v_cmp_gt_f32_e32 vcc_lo, 0, v15
	v_cndmask_b32_e64 v28, v15, -v15, vcc_lo
	s_wait_dscnt 0x0
	v_cmp_gt_f32_e32 vcc_lo, 0, v24
	v_cndmask_b32_e64 v27, v24, -v24, vcc_lo
	v_cmp_gt_f32_e32 vcc_lo, 0, v25
	v_cndmask_b32_e64 v29, v25, -v25, vcc_lo
	s_delay_alu instid0(VALU_DEP_1) | instskip(NEXT) | instid1(VALU_DEP_1)
	v_pk_add_f32 v[26:27], v[26:27], v[28:29]
	v_cmp_lt_f32_e32 vcc_lo, v26, v27
	v_dual_cndmask_b32 v15, v15, v25 :: v_dual_add_nc_u32 v22, 8, v22
	v_cndmask_b32_e32 v14, v14, v24, vcc_lo
	v_cndmask_b32_e64 v16, v16, s0, vcc_lo
	s_add_co_i32 s0, s0, 1
	s_delay_alu instid0(SALU_CYCLE_1)
	s_cmp_lg_u32 s14, s0
	s_cbranch_scc1 .LBB6_43
.LBB6_44:
	s_wait_dscnt 0x0
	v_cmp_eq_f32_e32 vcc_lo, 0, v14
	v_cmp_eq_f32_e64 s0, 0, v15
	s_and_b32 s0, vcc_lo, s0
	s_delay_alu instid0(SALU_CYCLE_1) | instskip(NEXT) | instid1(SALU_CYCLE_1)
	s_and_saveexec_b32 s1, s0
	s_xor_b32 s0, exec_lo, s1
; %bb.45:
	v_cmp_ne_u32_e32 vcc_lo, 0, v21
	v_cndmask_b32_e32 v21, 3, v21, vcc_lo
; %bb.46:
	s_and_not1_saveexec_b32 s0, s0
	s_cbranch_execz .LBB6_52
; %bb.47:
	v_cmp_ngt_f32_e64 s1, |v14|, |v15|
	s_and_saveexec_b32 s15, s1
	s_delay_alu instid0(SALU_CYCLE_1)
	s_xor_b32 s1, exec_lo, s15
	s_cbranch_execz .LBB6_49
; %bb.48:
	v_div_scale_f32 v22, null, v15, v15, v14
	v_div_scale_f32 v25, vcc_lo, v14, v15, v14
	s_delay_alu instid0(VALU_DEP_2) | instskip(SKIP_1) | instid1(TRANS32_DEP_1)
	v_rcp_f32_e32 v23, v22
	v_nop
	v_fma_f32 v24, -v22, v23, 1.0
	s_delay_alu instid0(VALU_DEP_1) | instskip(NEXT) | instid1(VALU_DEP_1)
	v_fmac_f32_e32 v23, v24, v23
	v_mul_f32_e32 v24, v25, v23
	s_delay_alu instid0(VALU_DEP_1) | instskip(NEXT) | instid1(VALU_DEP_1)
	v_fma_f32 v26, -v22, v24, v25
	v_fmac_f32_e32 v24, v26, v23
	s_delay_alu instid0(VALU_DEP_1) | instskip(NEXT) | instid1(VALU_DEP_1)
	v_fma_f32 v22, -v22, v24, v25
	v_div_fmas_f32 v22, v22, v23, v24
	s_delay_alu instid0(VALU_DEP_1) | instskip(NEXT) | instid1(VALU_DEP_1)
	v_div_fixup_f32 v22, v22, v15, v14
	v_fmac_f32_e32 v15, v14, v22
	s_delay_alu instid0(VALU_DEP_1) | instskip(SKIP_1) | instid1(VALU_DEP_2)
	v_div_scale_f32 v14, null, v15, v15, 1.0
	v_div_scale_f32 v25, vcc_lo, 1.0, v15, 1.0
	v_rcp_f32_e32 v23, v14
	v_nop
	s_delay_alu instid0(TRANS32_DEP_1) | instskip(NEXT) | instid1(VALU_DEP_1)
	v_fma_f32 v24, -v14, v23, 1.0
	v_fmac_f32_e32 v23, v24, v23
	s_delay_alu instid0(VALU_DEP_1) | instskip(NEXT) | instid1(VALU_DEP_1)
	v_mul_f32_e32 v24, v25, v23
	v_fma_f32 v26, -v14, v24, v25
	s_delay_alu instid0(VALU_DEP_1) | instskip(NEXT) | instid1(VALU_DEP_1)
	v_fmac_f32_e32 v24, v26, v23
	v_fma_f32 v14, -v14, v24, v25
	s_delay_alu instid0(VALU_DEP_1) | instskip(NEXT) | instid1(VALU_DEP_1)
	v_div_fmas_f32 v14, v14, v23, v24
	v_div_fixup_f32 v15, v14, v15, 1.0
	s_delay_alu instid0(VALU_DEP_1)
	v_mul_f32_e32 v14, v22, v15
	v_xor_b32_e32 v15, 0x80000000, v15
.LBB6_49:
	s_and_not1_saveexec_b32 s1, s1
	s_cbranch_execz .LBB6_51
; %bb.50:
	s_delay_alu instid0(VALU_DEP_1) | instskip(SKIP_1) | instid1(VALU_DEP_2)
	v_div_scale_f32 v22, null, v14, v14, v15
	v_div_scale_f32 v25, vcc_lo, v15, v14, v15
	v_rcp_f32_e32 v23, v22
	v_nop
	s_delay_alu instid0(TRANS32_DEP_1) | instskip(NEXT) | instid1(VALU_DEP_1)
	v_fma_f32 v24, -v22, v23, 1.0
	v_fmac_f32_e32 v23, v24, v23
	s_delay_alu instid0(VALU_DEP_1) | instskip(NEXT) | instid1(VALU_DEP_1)
	v_mul_f32_e32 v24, v25, v23
	v_fma_f32 v26, -v22, v24, v25
	s_delay_alu instid0(VALU_DEP_1) | instskip(NEXT) | instid1(VALU_DEP_1)
	v_fmac_f32_e32 v24, v26, v23
	v_fma_f32 v22, -v22, v24, v25
	s_delay_alu instid0(VALU_DEP_1) | instskip(NEXT) | instid1(VALU_DEP_1)
	v_div_fmas_f32 v22, v22, v23, v24
	v_div_fixup_f32 v22, v22, v14, v15
	s_delay_alu instid0(VALU_DEP_1) | instskip(NEXT) | instid1(VALU_DEP_1)
	v_fmac_f32_e32 v14, v15, v22
	v_div_scale_f32 v15, null, v14, v14, 1.0
	s_delay_alu instid0(VALU_DEP_1) | instskip(SKIP_1) | instid1(TRANS32_DEP_1)
	v_rcp_f32_e32 v23, v15
	v_nop
	v_fma_f32 v24, -v15, v23, 1.0
	s_delay_alu instid0(VALU_DEP_1) | instskip(SKIP_1) | instid1(VALU_DEP_1)
	v_fmac_f32_e32 v23, v24, v23
	v_div_scale_f32 v24, vcc_lo, 1.0, v14, 1.0
	v_mul_f32_e32 v25, v24, v23
	s_delay_alu instid0(VALU_DEP_1) | instskip(NEXT) | instid1(VALU_DEP_1)
	v_fma_f32 v26, -v15, v25, v24
	v_fmac_f32_e32 v25, v26, v23
	s_delay_alu instid0(VALU_DEP_1) | instskip(NEXT) | instid1(VALU_DEP_1)
	v_fma_f32 v15, -v15, v25, v24
	v_div_fmas_f32 v15, v15, v23, v25
	s_delay_alu instid0(VALU_DEP_1) | instskip(NEXT) | instid1(VALU_DEP_1)
	v_div_fixup_f32 v14, v15, v14, 1.0
	v_mul_f32_e64 v15, v22, -v14
.LBB6_51:
	s_or_b32 exec_lo, exec_lo, s1
.LBB6_52:
	s_delay_alu instid0(SALU_CYCLE_1) | instskip(NEXT) | instid1(SALU_CYCLE_1)
	s_or_b32 exec_lo, exec_lo, s0
	s_mov_b32 s0, exec_lo
	v_cmpx_ne_u32_e64 v17, v16
	s_xor_b32 s0, exec_lo, s0
	s_cbranch_execz .LBB6_58
; %bb.53:
	s_mov_b32 s1, exec_lo
	v_cmpx_eq_u32_e32 2, v17
	s_cbranch_execz .LBB6_57
; %bb.54:
	v_cmp_ne_u32_e32 vcc_lo, 2, v16
	s_xor_b32 s15, s2, -1
	s_delay_alu instid0(SALU_CYCLE_1) | instskip(NEXT) | instid1(SALU_CYCLE_1)
	s_and_b32 s16, s15, vcc_lo
	s_and_saveexec_b32 s15, s16
	s_cbranch_execz .LBB6_56
; %bb.55:
	v_ashrrev_i32_e32 v17, 31, v16
	s_delay_alu instid0(VALU_DEP_1)
	v_lshl_add_u64 v[22:23], v[16:17], 2, v[12:13]
	s_clause 0x1
	global_load_b32 v17, v[22:23], off
	global_load_b32 v20, v[12:13], off offset:8
	s_wait_loadcnt 0x1
	global_store_b32 v[12:13], v17, off offset:8
	s_wait_loadcnt 0x0
	global_store_b32 v[22:23], v20, off
.LBB6_56:
	s_wait_xcnt 0x0
	s_or_b32 exec_lo, exec_lo, s15
	v_dual_mov_b32 v17, v16 :: v_dual_mov_b32 v20, v16
.LBB6_57:
	s_or_b32 exec_lo, exec_lo, s1
.LBB6_58:
	s_and_not1_saveexec_b32 s0, s0
; %bb.59:
	v_mov_b32_e32 v17, 2
	ds_store_b64 v18, v[6:7] offset:24
; %bb.60:
	s_or_b32 exec_lo, exec_lo, s0
	s_delay_alu instid0(SALU_CYCLE_1)
	s_mov_b32 s0, exec_lo
	s_wait_storecnt_dscnt 0x0
	s_barrier_signal -1
	s_barrier_wait -1
	v_cmpx_lt_i32_e32 2, v17
	s_cbranch_execz .LBB6_62
; %bb.61:
	ds_load_b64 v[22:23], v18 offset:24
	v_pk_mul_f32 v[24:25], v[14:15], v[4:5] op_sel:[1,1] op_sel_hi:[0,1]
	s_delay_alu instid0(VALU_DEP_1) | instskip(SKIP_2) | instid1(VALU_DEP_2)
	v_pk_fma_f32 v[26:27], v[14:15], v[4:5], v[24:25] op_sel_hi:[1,0,1]
	v_pk_fma_f32 v[4:5], v[14:15], v[4:5], v[24:25] op_sel_hi:[1,0,1] neg_lo:[0,0,1] neg_hi:[0,0,1]
	s_wait_dscnt 0x0
	v_pk_mul_f32 v[14:15], v[22:23], v[26:27] op_sel:[1,1] op_sel_hi:[0,1]
	s_delay_alu instid0(VALU_DEP_1) | instskip(SKIP_1) | instid1(VALU_DEP_2)
	v_pk_fma_f32 v[24:25], v[22:23], v[4:5], v[14:15] op_sel_hi:[1,0,1]
	v_pk_fma_f32 v[14:15], v[22:23], v[4:5], v[14:15] neg_lo:[0,0,1] neg_hi:[0,0,1]
	v_dual_mov_b32 v5, v27 :: v_dual_mov_b32 v15, v25
	s_delay_alu instid0(VALU_DEP_1)
	v_pk_add_f32 v[6:7], v[6:7], v[14:15] neg_lo:[0,1] neg_hi:[0,1]
.LBB6_62:
	s_or_b32 exec_lo, exec_lo, s0
	v_lshl_add_u32 v14, v17, 3, v18
	s_barrier_signal -1
	s_barrier_wait -1
	ds_store_b64 v14, v[6:7]
	s_wait_dscnt 0x0
	s_barrier_signal -1
	s_barrier_wait -1
	ds_load_b64 v[14:15], v18 offset:24
	v_mov_b32_e32 v16, 3
	s_cmp_lt_i32 s14, 5
	s_cbranch_scc1 .LBB6_65
; %bb.63:
	v_mov_b32_e32 v16, 3
	v_add3_u32 v18, v19, 0, 32
	s_mov_b32 s0, 4
.LBB6_64:                               ; =>This Inner Loop Header: Depth=1
	ds_load_b64 v[22:23], v18
	s_wait_dscnt 0x1
	v_cmp_gt_f32_e32 vcc_lo, 0, v14
	v_cndmask_b32_e64 v24, v14, -v14, vcc_lo
	v_cmp_gt_f32_e32 vcc_lo, 0, v15
	v_cndmask_b32_e64 v26, v15, -v15, vcc_lo
	s_wait_dscnt 0x0
	v_cmp_gt_f32_e32 vcc_lo, 0, v22
	v_cndmask_b32_e64 v25, v22, -v22, vcc_lo
	v_cmp_gt_f32_e32 vcc_lo, 0, v23
	v_cndmask_b32_e64 v27, v23, -v23, vcc_lo
	s_delay_alu instid0(VALU_DEP_1) | instskip(NEXT) | instid1(VALU_DEP_1)
	v_pk_add_f32 v[24:25], v[24:25], v[26:27]
	v_cmp_lt_f32_e32 vcc_lo, v24, v25
	v_dual_cndmask_b32 v15, v15, v23 :: v_dual_add_nc_u32 v18, 8, v18
	v_cndmask_b32_e32 v14, v14, v22, vcc_lo
	v_cndmask_b32_e64 v16, v16, s0, vcc_lo
	s_add_co_i32 s0, s0, 1
	s_delay_alu instid0(SALU_CYCLE_1)
	s_cmp_lg_u32 s14, s0
	s_cbranch_scc1 .LBB6_64
.LBB6_65:
	s_wait_dscnt 0x0
	v_cmp_eq_f32_e32 vcc_lo, 0, v14
	v_cmp_eq_f32_e64 s0, 0, v15
	s_and_b32 s0, vcc_lo, s0
	s_delay_alu instid0(SALU_CYCLE_1) | instskip(NEXT) | instid1(SALU_CYCLE_1)
	s_and_saveexec_b32 s1, s0
	s_xor_b32 s0, exec_lo, s1
; %bb.66:
	v_cmp_ne_u32_e32 vcc_lo, 0, v21
	v_cndmask_b32_e32 v21, 4, v21, vcc_lo
; %bb.67:
	s_and_not1_saveexec_b32 s0, s0
	s_cbranch_execz .LBB6_73
; %bb.68:
	v_cmp_ngt_f32_e64 s1, |v14|, |v15|
	s_and_saveexec_b32 s14, s1
	s_delay_alu instid0(SALU_CYCLE_1)
	s_xor_b32 s1, exec_lo, s14
	s_cbranch_execz .LBB6_70
; %bb.69:
	v_div_scale_f32 v18, null, v15, v15, v14
	v_div_scale_f32 v23, vcc_lo, v14, v15, v14
	s_delay_alu instid0(VALU_DEP_2) | instskip(SKIP_1) | instid1(TRANS32_DEP_1)
	v_rcp_f32_e32 v19, v18
	v_nop
	v_fma_f32 v22, -v18, v19, 1.0
	s_delay_alu instid0(VALU_DEP_1) | instskip(NEXT) | instid1(VALU_DEP_1)
	v_fmac_f32_e32 v19, v22, v19
	v_mul_f32_e32 v22, v23, v19
	s_delay_alu instid0(VALU_DEP_1) | instskip(NEXT) | instid1(VALU_DEP_1)
	v_fma_f32 v24, -v18, v22, v23
	v_fmac_f32_e32 v22, v24, v19
	s_delay_alu instid0(VALU_DEP_1) | instskip(NEXT) | instid1(VALU_DEP_1)
	v_fma_f32 v18, -v18, v22, v23
	v_div_fmas_f32 v18, v18, v19, v22
	s_delay_alu instid0(VALU_DEP_1) | instskip(NEXT) | instid1(VALU_DEP_1)
	v_div_fixup_f32 v18, v18, v15, v14
	v_fmac_f32_e32 v15, v14, v18
	s_delay_alu instid0(VALU_DEP_1) | instskip(SKIP_1) | instid1(VALU_DEP_2)
	v_div_scale_f32 v14, null, v15, v15, 1.0
	v_div_scale_f32 v23, vcc_lo, 1.0, v15, 1.0
	v_rcp_f32_e32 v19, v14
	v_nop
	s_delay_alu instid0(TRANS32_DEP_1) | instskip(NEXT) | instid1(VALU_DEP_1)
	v_fma_f32 v22, -v14, v19, 1.0
	v_fmac_f32_e32 v19, v22, v19
	s_delay_alu instid0(VALU_DEP_1) | instskip(NEXT) | instid1(VALU_DEP_1)
	v_mul_f32_e32 v22, v23, v19
	v_fma_f32 v24, -v14, v22, v23
	s_delay_alu instid0(VALU_DEP_1) | instskip(NEXT) | instid1(VALU_DEP_1)
	v_fmac_f32_e32 v22, v24, v19
	v_fma_f32 v14, -v14, v22, v23
	s_delay_alu instid0(VALU_DEP_1) | instskip(NEXT) | instid1(VALU_DEP_1)
	v_div_fmas_f32 v14, v14, v19, v22
	v_div_fixup_f32 v15, v14, v15, 1.0
	s_delay_alu instid0(VALU_DEP_1)
	v_mul_f32_e32 v14, v18, v15
	v_xor_b32_e32 v15, 0x80000000, v15
.LBB6_70:
	s_and_not1_saveexec_b32 s1, s1
	s_cbranch_execz .LBB6_72
; %bb.71:
	s_delay_alu instid0(VALU_DEP_1) | instskip(SKIP_1) | instid1(VALU_DEP_2)
	v_div_scale_f32 v18, null, v14, v14, v15
	v_div_scale_f32 v23, vcc_lo, v15, v14, v15
	v_rcp_f32_e32 v19, v18
	v_nop
	s_delay_alu instid0(TRANS32_DEP_1) | instskip(NEXT) | instid1(VALU_DEP_1)
	v_fma_f32 v22, -v18, v19, 1.0
	v_fmac_f32_e32 v19, v22, v19
	s_delay_alu instid0(VALU_DEP_1) | instskip(NEXT) | instid1(VALU_DEP_1)
	v_mul_f32_e32 v22, v23, v19
	v_fma_f32 v24, -v18, v22, v23
	s_delay_alu instid0(VALU_DEP_1) | instskip(NEXT) | instid1(VALU_DEP_1)
	v_fmac_f32_e32 v22, v24, v19
	v_fma_f32 v18, -v18, v22, v23
	s_delay_alu instid0(VALU_DEP_1) | instskip(NEXT) | instid1(VALU_DEP_1)
	v_div_fmas_f32 v18, v18, v19, v22
	v_div_fixup_f32 v18, v18, v14, v15
	s_delay_alu instid0(VALU_DEP_1) | instskip(NEXT) | instid1(VALU_DEP_1)
	v_fmac_f32_e32 v14, v15, v18
	v_div_scale_f32 v15, null, v14, v14, 1.0
	s_delay_alu instid0(VALU_DEP_1) | instskip(SKIP_1) | instid1(TRANS32_DEP_1)
	v_rcp_f32_e32 v19, v15
	v_nop
	v_fma_f32 v22, -v15, v19, 1.0
	s_delay_alu instid0(VALU_DEP_1) | instskip(SKIP_1) | instid1(VALU_DEP_1)
	v_fmac_f32_e32 v19, v22, v19
	v_div_scale_f32 v22, vcc_lo, 1.0, v14, 1.0
	v_mul_f32_e32 v23, v22, v19
	s_delay_alu instid0(VALU_DEP_1) | instskip(NEXT) | instid1(VALU_DEP_1)
	v_fma_f32 v24, -v15, v23, v22
	v_fmac_f32_e32 v23, v24, v19
	s_delay_alu instid0(VALU_DEP_1) | instskip(NEXT) | instid1(VALU_DEP_1)
	v_fma_f32 v15, -v15, v23, v22
	v_div_fmas_f32 v15, v15, v19, v23
	s_delay_alu instid0(VALU_DEP_1) | instskip(NEXT) | instid1(VALU_DEP_1)
	v_div_fixup_f32 v14, v15, v14, 1.0
	v_mul_f32_e64 v15, v18, -v14
.LBB6_72:
	s_or_b32 exec_lo, exec_lo, s1
.LBB6_73:
	s_delay_alu instid0(SALU_CYCLE_1)
	s_or_b32 exec_lo, exec_lo, s0
	v_mov_b32_e32 v18, 3
	s_mov_b32 s0, exec_lo
	v_cmpx_ne_u32_e64 v17, v16
	s_cbranch_execz .LBB6_79
; %bb.74:
	s_mov_b32 s1, exec_lo
	v_cmpx_eq_u32_e32 3, v17
	s_cbranch_execz .LBB6_78
; %bb.75:
	v_cmp_ne_u32_e32 vcc_lo, 3, v16
	s_xor_b32 s2, s2, -1
	s_delay_alu instid0(SALU_CYCLE_1) | instskip(NEXT) | instid1(SALU_CYCLE_1)
	s_and_b32 s14, s2, vcc_lo
	s_and_saveexec_b32 s2, s14
	s_cbranch_execz .LBB6_77
; %bb.76:
	v_ashrrev_i32_e32 v17, 31, v16
	s_delay_alu instid0(VALU_DEP_1)
	v_lshl_add_u64 v[18:19], v[16:17], 2, v[12:13]
	s_clause 0x1
	global_load_b32 v17, v[18:19], off
	global_load_b32 v20, v[12:13], off offset:12
	s_wait_loadcnt 0x1
	global_store_b32 v[12:13], v17, off offset:12
	s_wait_loadcnt 0x0
	global_store_b32 v[18:19], v20, off
.LBB6_77:
	s_wait_xcnt 0x0
	s_or_b32 exec_lo, exec_lo, s2
	v_dual_mov_b32 v17, v16 :: v_dual_mov_b32 v20, v16
.LBB6_78:
	s_or_b32 exec_lo, exec_lo, s1
	s_delay_alu instid0(VALU_DEP_1)
	v_mov_b32_e32 v18, v17
.LBB6_79:
	s_or_b32 exec_lo, exec_lo, s0
	s_delay_alu instid0(VALU_DEP_1)
	v_ashrrev_i32_e32 v19, 31, v18
	s_mov_b32 s0, exec_lo
	s_wait_storecnt 0x0
	s_barrier_signal -1
	s_barrier_wait -1
	s_barrier_signal -1
	s_barrier_wait -1
	v_cmpx_gt_i32_e32 4, v18
	s_cbranch_execz .LBB6_81
; %bb.80:
	v_mul_u64_e32 v[12:13], s[10:11], v[2:3]
	v_add3_u32 v16, v20, s3, 1
	s_delay_alu instid0(VALU_DEP_2) | instskip(NEXT) | instid1(VALU_DEP_1)
	v_lshl_add_u64 v[12:13], v[12:13], 2, s[6:7]
	v_lshl_add_u64 v[12:13], s[8:9], 2, v[12:13]
	s_delay_alu instid0(VALU_DEP_1)
	v_lshl_add_u64 v[12:13], v[18:19], 2, v[12:13]
	global_store_b32 v[12:13], v16, off
.LBB6_81:
	s_wait_xcnt 0x0
	s_or_b32 exec_lo, exec_lo, s0
	s_delay_alu instid0(SALU_CYCLE_1)
	s_mov_b32 s1, exec_lo
	v_cmpx_eq_u32_e32 0, v18
	s_cbranch_execz .LBB6_84
; %bb.82:
	s_wait_kmcnt 0x0
	v_lshl_add_u64 v[2:3], v[2:3], 2, s[12:13]
	v_cmp_ne_u32_e64 s0, 0, v21
	global_load_b32 v12, v[2:3], off
	s_wait_loadcnt 0x0
	v_cmp_eq_u32_e32 vcc_lo, 0, v12
	s_and_b32 s0, vcc_lo, s0
	s_wait_xcnt 0x0
	s_and_b32 exec_lo, exec_lo, s0
	s_cbranch_execz .LBB6_84
; %bb.83:
	v_add_nc_u32_e32 v12, s3, v21
	global_store_b32 v[2:3], v12, off
.LBB6_84:
	s_wait_xcnt 0x0
	s_or_b32 exec_lo, exec_lo, s1
	v_add3_u32 v12, s4, s4, v18
	v_pk_mul_f32 v[2:3], v[14:15], v[6:7] op_sel:[1,1] op_sel_hi:[0,1]
	v_cmp_lt_i32_e32 vcc_lo, 3, v18
	s_delay_alu instid0(VALU_DEP_3) | instskip(NEXT) | instid1(VALU_DEP_3)
	v_dual_add_nc_u32 v20, s4, v12 :: v_dual_ashrrev_i32 v13, 31, v12
	v_pk_fma_f32 v[16:17], v[14:15], v[6:7], v[2:3] op_sel_hi:[1,0,1]
	v_pk_fma_f32 v[2:3], v[14:15], v[6:7], v[2:3] neg_lo:[0,0,1] neg_hi:[0,0,1]
	v_lshl_add_u64 v[14:15], v[18:19], 3, v[0:1]
	s_delay_alu instid0(VALU_DEP_4) | instskip(SKIP_1) | instid1(VALU_DEP_4)
	v_ashrrev_i32_e32 v21, 31, v20
	v_lshl_add_u64 v[12:13], v[12:13], 3, v[0:1]
	v_dual_cndmask_b32 v3, v7, v17 :: v_dual_cndmask_b32 v2, v6, v2
	s_delay_alu instid0(VALU_DEP_4) | instskip(NEXT) | instid1(VALU_DEP_4)
	v_lshl_add_u64 v[6:7], s[4:5], 3, v[14:15]
	v_lshl_add_u64 v[0:1], v[20:21], 3, v[0:1]
	s_clause 0x3
	global_store_b64 v[14:15], v[8:9], off
	global_store_b64 v[6:7], v[10:11], off
	;; [unrolled: 1-line block ×4, first 2 shown]
.LBB6_85:
	s_endpgm
	.section	.rodata,"a",@progbits
	.p2align	6, 0x0
	.amdhsa_kernel _ZN9rocsolver6v33100L18getf2_small_kernelILi4E19rocblas_complex_numIfEiiPS3_EEvT1_T3_lS5_lPS5_llPT2_S5_S5_S7_l
		.amdhsa_group_segment_fixed_size 0
		.amdhsa_private_segment_fixed_size 0
		.amdhsa_kernarg_size 352
		.amdhsa_user_sgpr_count 2
		.amdhsa_user_sgpr_dispatch_ptr 0
		.amdhsa_user_sgpr_queue_ptr 0
		.amdhsa_user_sgpr_kernarg_segment_ptr 1
		.amdhsa_user_sgpr_dispatch_id 0
		.amdhsa_user_sgpr_kernarg_preload_length 0
		.amdhsa_user_sgpr_kernarg_preload_offset 0
		.amdhsa_user_sgpr_private_segment_size 0
		.amdhsa_wavefront_size32 1
		.amdhsa_uses_dynamic_stack 0
		.amdhsa_enable_private_segment 0
		.amdhsa_system_sgpr_workgroup_id_x 1
		.amdhsa_system_sgpr_workgroup_id_y 1
		.amdhsa_system_sgpr_workgroup_id_z 0
		.amdhsa_system_sgpr_workgroup_info 0
		.amdhsa_system_vgpr_workitem_id 1
		.amdhsa_next_free_vgpr 40
		.amdhsa_next_free_sgpr 17
		.amdhsa_named_barrier_count 0
		.amdhsa_reserve_vcc 1
		.amdhsa_float_round_mode_32 0
		.amdhsa_float_round_mode_16_64 0
		.amdhsa_float_denorm_mode_32 3
		.amdhsa_float_denorm_mode_16_64 3
		.amdhsa_fp16_overflow 0
		.amdhsa_memory_ordered 1
		.amdhsa_forward_progress 1
		.amdhsa_inst_pref_size 38
		.amdhsa_round_robin_scheduling 0
		.amdhsa_exception_fp_ieee_invalid_op 0
		.amdhsa_exception_fp_denorm_src 0
		.amdhsa_exception_fp_ieee_div_zero 0
		.amdhsa_exception_fp_ieee_overflow 0
		.amdhsa_exception_fp_ieee_underflow 0
		.amdhsa_exception_fp_ieee_inexact 0
		.amdhsa_exception_int_div_zero 0
	.end_amdhsa_kernel
	.section	.text._ZN9rocsolver6v33100L18getf2_small_kernelILi4E19rocblas_complex_numIfEiiPS3_EEvT1_T3_lS5_lPS5_llPT2_S5_S5_S7_l,"axG",@progbits,_ZN9rocsolver6v33100L18getf2_small_kernelILi4E19rocblas_complex_numIfEiiPS3_EEvT1_T3_lS5_lPS5_llPT2_S5_S5_S7_l,comdat
.Lfunc_end6:
	.size	_ZN9rocsolver6v33100L18getf2_small_kernelILi4E19rocblas_complex_numIfEiiPS3_EEvT1_T3_lS5_lPS5_llPT2_S5_S5_S7_l, .Lfunc_end6-_ZN9rocsolver6v33100L18getf2_small_kernelILi4E19rocblas_complex_numIfEiiPS3_EEvT1_T3_lS5_lPS5_llPT2_S5_S5_S7_l
                                        ; -- End function
	.set _ZN9rocsolver6v33100L18getf2_small_kernelILi4E19rocblas_complex_numIfEiiPS3_EEvT1_T3_lS5_lPS5_llPT2_S5_S5_S7_l.num_vgpr, 40
	.set _ZN9rocsolver6v33100L18getf2_small_kernelILi4E19rocblas_complex_numIfEiiPS3_EEvT1_T3_lS5_lPS5_llPT2_S5_S5_S7_l.num_agpr, 0
	.set _ZN9rocsolver6v33100L18getf2_small_kernelILi4E19rocblas_complex_numIfEiiPS3_EEvT1_T3_lS5_lPS5_llPT2_S5_S5_S7_l.numbered_sgpr, 17
	.set _ZN9rocsolver6v33100L18getf2_small_kernelILi4E19rocblas_complex_numIfEiiPS3_EEvT1_T3_lS5_lPS5_llPT2_S5_S5_S7_l.num_named_barrier, 0
	.set _ZN9rocsolver6v33100L18getf2_small_kernelILi4E19rocblas_complex_numIfEiiPS3_EEvT1_T3_lS5_lPS5_llPT2_S5_S5_S7_l.private_seg_size, 0
	.set _ZN9rocsolver6v33100L18getf2_small_kernelILi4E19rocblas_complex_numIfEiiPS3_EEvT1_T3_lS5_lPS5_llPT2_S5_S5_S7_l.uses_vcc, 1
	.set _ZN9rocsolver6v33100L18getf2_small_kernelILi4E19rocblas_complex_numIfEiiPS3_EEvT1_T3_lS5_lPS5_llPT2_S5_S5_S7_l.uses_flat_scratch, 0
	.set _ZN9rocsolver6v33100L18getf2_small_kernelILi4E19rocblas_complex_numIfEiiPS3_EEvT1_T3_lS5_lPS5_llPT2_S5_S5_S7_l.has_dyn_sized_stack, 0
	.set _ZN9rocsolver6v33100L18getf2_small_kernelILi4E19rocblas_complex_numIfEiiPS3_EEvT1_T3_lS5_lPS5_llPT2_S5_S5_S7_l.has_recursion, 0
	.set _ZN9rocsolver6v33100L18getf2_small_kernelILi4E19rocblas_complex_numIfEiiPS3_EEvT1_T3_lS5_lPS5_llPT2_S5_S5_S7_l.has_indirect_call, 0
	.section	.AMDGPU.csdata,"",@progbits
; Kernel info:
; codeLenInByte = 4776
; TotalNumSgprs: 19
; NumVgprs: 40
; ScratchSize: 0
; MemoryBound: 0
; FloatMode: 240
; IeeeMode: 1
; LDSByteSize: 0 bytes/workgroup (compile time only)
; SGPRBlocks: 0
; VGPRBlocks: 2
; NumSGPRsForWavesPerEU: 19
; NumVGPRsForWavesPerEU: 40
; NamedBarCnt: 0
; Occupancy: 16
; WaveLimiterHint : 0
; COMPUTE_PGM_RSRC2:SCRATCH_EN: 0
; COMPUTE_PGM_RSRC2:USER_SGPR: 2
; COMPUTE_PGM_RSRC2:TRAP_HANDLER: 0
; COMPUTE_PGM_RSRC2:TGID_X_EN: 1
; COMPUTE_PGM_RSRC2:TGID_Y_EN: 1
; COMPUTE_PGM_RSRC2:TGID_Z_EN: 0
; COMPUTE_PGM_RSRC2:TIDIG_COMP_CNT: 1
	.section	.text._ZN9rocsolver6v33100L23getf2_npvt_small_kernelILi4E19rocblas_complex_numIfEiiPS3_EEvT1_T3_lS5_lPT2_S5_S5_,"axG",@progbits,_ZN9rocsolver6v33100L23getf2_npvt_small_kernelILi4E19rocblas_complex_numIfEiiPS3_EEvT1_T3_lS5_lPT2_S5_S5_,comdat
	.globl	_ZN9rocsolver6v33100L23getf2_npvt_small_kernelILi4E19rocblas_complex_numIfEiiPS3_EEvT1_T3_lS5_lPT2_S5_S5_ ; -- Begin function _ZN9rocsolver6v33100L23getf2_npvt_small_kernelILi4E19rocblas_complex_numIfEiiPS3_EEvT1_T3_lS5_lPT2_S5_S5_
	.p2align	8
	.type	_ZN9rocsolver6v33100L23getf2_npvt_small_kernelILi4E19rocblas_complex_numIfEiiPS3_EEvT1_T3_lS5_lPT2_S5_S5_,@function
_ZN9rocsolver6v33100L23getf2_npvt_small_kernelILi4E19rocblas_complex_numIfEiiPS3_EEvT1_T3_lS5_lPT2_S5_S5_: ; @_ZN9rocsolver6v33100L23getf2_npvt_small_kernelILi4E19rocblas_complex_numIfEiiPS3_EEvT1_T3_lS5_lPT2_S5_S5_
; %bb.0:
	s_clause 0x1
	s_load_u16 s8, s[0:1], 0x46
	s_load_b64 s[2:3], s[0:1], 0x30
	s_bfe_u32 s4, ttmp6, 0x40010
	s_bfe_u32 s5, ttmp6, 0x40004
	s_add_co_i32 s4, s4, 1
	s_getreg_b32 s6, hwreg(HW_REG_IB_STS2, 6, 4)
	s_mul_i32 s4, ttmp7, s4
	v_bfe_u32 v18, v0, 10, 10
	s_add_co_i32 s5, s5, s4
	s_cmp_eq_u32 s6, 0
	s_cselect_b32 s4, ttmp7, s5
	s_wait_kmcnt 0x0
	v_mad_u32 v2, s4, s8, v18
	s_delay_alu instid0(VALU_DEP_1)
	v_cmp_gt_i32_e32 vcc_lo, s2, v2
	s_and_saveexec_b32 s2, vcc_lo
	s_cbranch_execz .LBB7_39
; %bb.1:
	s_load_b128 s[4:7], s[0:1], 0x20
	v_ashrrev_i32_e32 v3, 31, v2
	v_and_b32_e32 v26, 0x3ff, v0
	v_dual_lshlrev_b32 v19, 3, v18 :: v_dual_lshlrev_b32 v18, 5, v18
	s_delay_alu instid0(VALU_DEP_1)
	v_add_nc_u32_e32 v28, 0, v18
	s_wait_kmcnt 0x0
	v_mul_u64_e32 v[4:5], s[4:5], v[2:3]
	s_clause 0x1
	s_load_b128 s[12:15], s[0:1], 0x8
	s_load_b32 s4, s[0:1], 0x18
	s_wait_xcnt 0x0
	s_lshl_b32 s0, s8, 5
	v_cmp_ne_u32_e64 s1, 0, v26
	v_add3_u32 v27, 0, s0, v19
	v_cmp_eq_u32_e64 s0, 0, v26
	s_wait_kmcnt 0x0
	v_add3_u32 v6, s4, s4, v26
	s_ashr_i32 s5, s4, 31
	s_delay_alu instid0(VALU_DEP_1) | instskip(NEXT) | instid1(VALU_DEP_1)
	v_dual_add_nc_u32 v10, s4, v6 :: v_dual_ashrrev_i32 v7, 31, v6
	v_ashrrev_i32_e32 v11, 31, v10
	v_lshl_add_u64 v[0:1], v[4:5], 3, s[12:13]
	v_dual_mov_b32 v5, 0 :: v_dual_lshlrev_b32 v4, 3, v26
	s_delay_alu instid0(VALU_DEP_2) | instskip(NEXT) | instid1(VALU_DEP_1)
	v_lshl_add_u64 v[8:9], s[14:15], 3, v[0:1]
	v_add_nc_u64_e32 v[0:1], v[8:9], v[4:5]
	v_lshl_add_u64 v[6:7], v[6:7], 3, v[8:9]
	v_lshl_add_u64 v[8:9], v[10:11], 3, v[8:9]
	s_delay_alu instid0(VALU_DEP_3)
	v_lshl_add_u64 v[4:5], s[4:5], 3, v[0:1]
	s_clause 0x3
	global_load_b64 v[16:17], v[0:1], off
	global_load_b64 v[14:15], v[4:5], off
	;; [unrolled: 1-line block ×4, first 2 shown]
	s_wait_xcnt 0x0
	s_and_saveexec_b32 s4, s0
	s_cbranch_execz .LBB7_8
; %bb.2:
	s_wait_loadcnt 0x3
	ds_store_b64 v27, v[16:17]
	s_wait_loadcnt 0x1
	ds_store_2addr_b64 v28, v[14:15], v[12:13] offset0:1 offset1:2
	s_wait_loadcnt 0x0
	ds_store_b64 v28, v[10:11] offset:24
	ds_load_b64 v[18:19], v27
	s_wait_dscnt 0x0
	v_cmp_neq_f32_e32 vcc_lo, 0, v18
	v_cmp_neq_f32_e64 s2, 0, v19
	s_or_b32 s2, vcc_lo, s2
	s_delay_alu instid0(SALU_CYCLE_1)
	s_and_b32 exec_lo, exec_lo, s2
	s_cbranch_execz .LBB7_8
; %bb.3:
	v_cmp_ngt_f32_e64 s2, |v18|, |v19|
                                        ; implicit-def: $vgpr20_vgpr21
	s_and_saveexec_b32 s5, s2
	s_delay_alu instid0(SALU_CYCLE_1)
	s_xor_b32 s2, exec_lo, s5
	s_cbranch_execz .LBB7_5
; %bb.4:
	v_div_scale_f32 v20, null, v19, v19, v18
	v_div_scale_f32 v23, vcc_lo, v18, v19, v18
	s_delay_alu instid0(VALU_DEP_2) | instskip(SKIP_1) | instid1(TRANS32_DEP_1)
	v_rcp_f32_e32 v21, v20
	v_nop
	v_fma_f32 v22, -v20, v21, 1.0
	s_delay_alu instid0(VALU_DEP_1) | instskip(NEXT) | instid1(VALU_DEP_1)
	v_fmac_f32_e32 v21, v22, v21
	v_mul_f32_e32 v22, v23, v21
	s_delay_alu instid0(VALU_DEP_1) | instskip(NEXT) | instid1(VALU_DEP_1)
	v_fma_f32 v24, -v20, v22, v23
	v_fmac_f32_e32 v22, v24, v21
	s_delay_alu instid0(VALU_DEP_1) | instskip(NEXT) | instid1(VALU_DEP_1)
	v_fma_f32 v20, -v20, v22, v23
	v_div_fmas_f32 v20, v20, v21, v22
	s_delay_alu instid0(VALU_DEP_1) | instskip(NEXT) | instid1(VALU_DEP_1)
	v_div_fixup_f32 v20, v20, v19, v18
	v_fmac_f32_e32 v19, v18, v20
	s_delay_alu instid0(VALU_DEP_1) | instskip(SKIP_1) | instid1(VALU_DEP_2)
	v_div_scale_f32 v18, null, v19, v19, 1.0
	v_div_scale_f32 v23, vcc_lo, 1.0, v19, 1.0
	v_rcp_f32_e32 v21, v18
	v_nop
	s_delay_alu instid0(TRANS32_DEP_1) | instskip(NEXT) | instid1(VALU_DEP_1)
	v_fma_f32 v22, -v18, v21, 1.0
	v_fmac_f32_e32 v21, v22, v21
	s_delay_alu instid0(VALU_DEP_1) | instskip(NEXT) | instid1(VALU_DEP_1)
	v_mul_f32_e32 v22, v23, v21
	v_fma_f32 v24, -v18, v22, v23
	s_delay_alu instid0(VALU_DEP_1) | instskip(NEXT) | instid1(VALU_DEP_1)
	v_fmac_f32_e32 v22, v24, v21
	v_fma_f32 v18, -v18, v22, v23
	s_delay_alu instid0(VALU_DEP_1) | instskip(NEXT) | instid1(VALU_DEP_1)
	v_div_fmas_f32 v18, v18, v21, v22
	v_div_fixup_f32 v18, v18, v19, 1.0
	s_delay_alu instid0(VALU_DEP_1)
	v_mul_f32_e32 v20, v20, v18
	v_xor_b32_e32 v21, 0x80000000, v18
                                        ; implicit-def: $vgpr18_vgpr19
.LBB7_5:
	s_and_not1_saveexec_b32 s2, s2
	s_cbranch_execz .LBB7_7
; %bb.6:
	v_div_scale_f32 v20, null, v18, v18, v19
	v_div_scale_f32 v23, vcc_lo, v19, v18, v19
	s_delay_alu instid0(VALU_DEP_2) | instskip(SKIP_1) | instid1(TRANS32_DEP_1)
	v_rcp_f32_e32 v21, v20
	v_nop
	v_fma_f32 v22, -v20, v21, 1.0
	s_delay_alu instid0(VALU_DEP_1) | instskip(NEXT) | instid1(VALU_DEP_1)
	v_fmac_f32_e32 v21, v22, v21
	v_mul_f32_e32 v22, v23, v21
	s_delay_alu instid0(VALU_DEP_1) | instskip(NEXT) | instid1(VALU_DEP_1)
	v_fma_f32 v24, -v20, v22, v23
	v_fmac_f32_e32 v22, v24, v21
	s_delay_alu instid0(VALU_DEP_1) | instskip(NEXT) | instid1(VALU_DEP_1)
	v_fma_f32 v20, -v20, v22, v23
	v_div_fmas_f32 v20, v20, v21, v22
	s_delay_alu instid0(VALU_DEP_1) | instskip(NEXT) | instid1(VALU_DEP_1)
	v_div_fixup_f32 v21, v20, v18, v19
	v_fmac_f32_e32 v18, v19, v21
	s_delay_alu instid0(VALU_DEP_1) | instskip(NEXT) | instid1(VALU_DEP_1)
	v_div_scale_f32 v19, null, v18, v18, 1.0
	v_rcp_f32_e32 v20, v19
	v_nop
	s_delay_alu instid0(TRANS32_DEP_1) | instskip(NEXT) | instid1(VALU_DEP_1)
	v_fma_f32 v22, -v19, v20, 1.0
	v_fmac_f32_e32 v20, v22, v20
	v_div_scale_f32 v22, vcc_lo, 1.0, v18, 1.0
	s_delay_alu instid0(VALU_DEP_1) | instskip(NEXT) | instid1(VALU_DEP_1)
	v_mul_f32_e32 v23, v22, v20
	v_fma_f32 v24, -v19, v23, v22
	s_delay_alu instid0(VALU_DEP_1) | instskip(NEXT) | instid1(VALU_DEP_1)
	v_fmac_f32_e32 v23, v24, v20
	v_fma_f32 v19, -v19, v23, v22
	s_delay_alu instid0(VALU_DEP_1) | instskip(NEXT) | instid1(VALU_DEP_1)
	v_div_fmas_f32 v19, v19, v20, v23
	v_div_fixup_f32 v20, v19, v18, 1.0
	s_delay_alu instid0(VALU_DEP_1)
	v_mul_f32_e64 v21, v21, -v20
.LBB7_7:
	s_or_b32 exec_lo, exec_lo, s2
	ds_store_b64 v27, v[20:21]
.LBB7_8:
	s_or_b32 exec_lo, exec_lo, s4
	s_wait_loadcnt_dscnt 0x0
	s_barrier_signal -1
	s_barrier_wait -1
	ds_load_b64 v[18:19], v27
	s_and_saveexec_b32 s2, s1
	s_cbranch_execz .LBB7_10
; %bb.9:
	ds_load_2addr_b64 v[20:23], v28 offset0:1 offset1:2
	ds_load_b64 v[24:25], v28 offset:24
	s_wait_dscnt 0x2
	v_pk_mul_f32 v[30:31], v[18:19], v[16:17] op_sel:[1,1] op_sel_hi:[0,1]
	s_delay_alu instid0(VALU_DEP_1) | instskip(SKIP_2) | instid1(VALU_DEP_2)
	v_pk_fma_f32 v[32:33], v[18:19], v[16:17], v[30:31] op_sel_hi:[1,0,1]
	v_pk_fma_f32 v[16:17], v[18:19], v[16:17], v[30:31] op_sel_hi:[1,0,1] neg_lo:[0,0,1] neg_hi:[0,0,1]
	s_wait_dscnt 0x1
	v_pk_mul_f32 v[30:31], v[20:21], v[32:33] op_sel:[0,1]
	v_pk_mul_f32 v[34:35], v[22:23], v[32:33] op_sel:[0,1]
	s_wait_dscnt 0x0
	v_pk_mul_f32 v[36:37], v[24:25], v[32:33] op_sel:[1,1] op_sel_hi:[0,1]
	s_delay_alu instid0(VALU_DEP_3) | instskip(SKIP_2) | instid1(VALU_DEP_4)
	v_pk_fma_f32 v[38:39], v[20:21], v[16:17], v[30:31] op_sel:[0,0,1] op_sel_hi:[1,1,0] neg_lo:[0,0,1] neg_hi:[0,0,1]
	v_pk_fma_f32 v[20:21], v[20:21], v[16:17], v[30:31] op_sel:[0,0,1] op_sel_hi:[1,0,0]
	v_pk_fma_f32 v[30:31], v[22:23], v[16:17], v[34:35] op_sel:[0,0,1] op_sel_hi:[1,0,0]
	v_pk_fma_f32 v[40:41], v[24:25], v[16:17], v[36:37] op_sel_hi:[1,0,1]
	v_pk_fma_f32 v[22:23], v[22:23], v[16:17], v[34:35] op_sel:[0,0,1] op_sel_hi:[1,1,0] neg_lo:[0,0,1] neg_hi:[0,0,1]
	v_pk_fma_f32 v[24:25], v[24:25], v[16:17], v[36:37] neg_lo:[0,0,1] neg_hi:[0,0,1]
	s_delay_alu instid0(VALU_DEP_4) | instskip(NEXT) | instid1(VALU_DEP_4)
	v_dual_mov_b32 v39, v21 :: v_dual_mov_b32 v23, v31
	v_dual_mov_b32 v25, v41 :: v_dual_mov_b32 v17, v33
	s_delay_alu instid0(VALU_DEP_2) | instskip(NEXT) | instid1(VALU_DEP_3)
	v_pk_add_f32 v[14:15], v[14:15], v[38:39] neg_lo:[0,1] neg_hi:[0,1]
	v_pk_add_f32 v[12:13], v[12:13], v[22:23] neg_lo:[0,1] neg_hi:[0,1]
	s_delay_alu instid0(VALU_DEP_3)
	v_pk_add_f32 v[10:11], v[10:11], v[24:25] neg_lo:[0,1] neg_hi:[0,1]
.LBB7_10:
	s_or_b32 exec_lo, exec_lo, s2
	s_delay_alu instid0(SALU_CYCLE_1)
	s_mov_b32 s2, exec_lo
	s_wait_dscnt 0x0
	s_barrier_signal -1
	s_barrier_wait -1
	v_cmpx_eq_u32_e32 1, v26
	s_cbranch_execz .LBB7_17
; %bb.11:
	v_dual_mov_b32 v20, v12 :: v_dual_mov_b32 v21, v13
	ds_store_b64 v27, v[14:15]
	ds_store_2addr_b64 v28, v[20:21], v[10:11] offset0:2 offset1:3
	ds_load_b64 v[20:21], v27
	s_wait_dscnt 0x0
	v_cmp_neq_f32_e32 vcc_lo, 0, v20
	v_cmp_neq_f32_e64 s1, 0, v21
	s_or_b32 s1, vcc_lo, s1
	s_delay_alu instid0(SALU_CYCLE_1)
	s_and_b32 exec_lo, exec_lo, s1
	s_cbranch_execz .LBB7_17
; %bb.12:
	v_cmp_ngt_f32_e64 s1, |v20|, |v21|
                                        ; implicit-def: $vgpr22_vgpr23
	s_and_saveexec_b32 s4, s1
	s_delay_alu instid0(SALU_CYCLE_1)
	s_xor_b32 s1, exec_lo, s4
	s_cbranch_execz .LBB7_14
; %bb.13:
	v_div_scale_f32 v22, null, v21, v21, v20
	v_div_scale_f32 v25, vcc_lo, v20, v21, v20
	s_delay_alu instid0(VALU_DEP_2) | instskip(SKIP_1) | instid1(TRANS32_DEP_1)
	v_rcp_f32_e32 v23, v22
	v_nop
	v_fma_f32 v24, -v22, v23, 1.0
	s_delay_alu instid0(VALU_DEP_1) | instskip(NEXT) | instid1(VALU_DEP_1)
	v_fmac_f32_e32 v23, v24, v23
	v_mul_f32_e32 v24, v25, v23
	s_delay_alu instid0(VALU_DEP_1) | instskip(NEXT) | instid1(VALU_DEP_1)
	v_fma_f32 v29, -v22, v24, v25
	v_fmac_f32_e32 v24, v29, v23
	s_delay_alu instid0(VALU_DEP_1) | instskip(NEXT) | instid1(VALU_DEP_1)
	v_fma_f32 v22, -v22, v24, v25
	v_div_fmas_f32 v22, v22, v23, v24
	s_delay_alu instid0(VALU_DEP_1) | instskip(NEXT) | instid1(VALU_DEP_1)
	v_div_fixup_f32 v22, v22, v21, v20
	v_fmac_f32_e32 v21, v20, v22
	s_delay_alu instid0(VALU_DEP_1) | instskip(SKIP_1) | instid1(VALU_DEP_2)
	v_div_scale_f32 v20, null, v21, v21, 1.0
	v_div_scale_f32 v25, vcc_lo, 1.0, v21, 1.0
	v_rcp_f32_e32 v23, v20
	v_nop
	s_delay_alu instid0(TRANS32_DEP_1) | instskip(NEXT) | instid1(VALU_DEP_1)
	v_fma_f32 v24, -v20, v23, 1.0
	v_fmac_f32_e32 v23, v24, v23
	s_delay_alu instid0(VALU_DEP_1) | instskip(NEXT) | instid1(VALU_DEP_1)
	v_mul_f32_e32 v24, v25, v23
	v_fma_f32 v29, -v20, v24, v25
	s_delay_alu instid0(VALU_DEP_1) | instskip(NEXT) | instid1(VALU_DEP_1)
	v_fmac_f32_e32 v24, v29, v23
	v_fma_f32 v20, -v20, v24, v25
	s_delay_alu instid0(VALU_DEP_1) | instskip(NEXT) | instid1(VALU_DEP_1)
	v_div_fmas_f32 v20, v20, v23, v24
	v_div_fixup_f32 v20, v20, v21, 1.0
	s_delay_alu instid0(VALU_DEP_1)
	v_mul_f32_e32 v22, v22, v20
	v_xor_b32_e32 v23, 0x80000000, v20
                                        ; implicit-def: $vgpr20_vgpr21
.LBB7_14:
	s_and_not1_saveexec_b32 s1, s1
	s_cbranch_execz .LBB7_16
; %bb.15:
	v_div_scale_f32 v22, null, v20, v20, v21
	v_div_scale_f32 v25, vcc_lo, v21, v20, v21
	s_delay_alu instid0(VALU_DEP_2) | instskip(SKIP_1) | instid1(TRANS32_DEP_1)
	v_rcp_f32_e32 v23, v22
	v_nop
	v_fma_f32 v24, -v22, v23, 1.0
	s_delay_alu instid0(VALU_DEP_1) | instskip(NEXT) | instid1(VALU_DEP_1)
	v_fmac_f32_e32 v23, v24, v23
	v_mul_f32_e32 v24, v25, v23
	s_delay_alu instid0(VALU_DEP_1) | instskip(NEXT) | instid1(VALU_DEP_1)
	v_fma_f32 v29, -v22, v24, v25
	v_fmac_f32_e32 v24, v29, v23
	s_delay_alu instid0(VALU_DEP_1) | instskip(NEXT) | instid1(VALU_DEP_1)
	v_fma_f32 v22, -v22, v24, v25
	v_div_fmas_f32 v22, v22, v23, v24
	s_delay_alu instid0(VALU_DEP_1) | instskip(NEXT) | instid1(VALU_DEP_1)
	v_div_fixup_f32 v23, v22, v20, v21
	v_fmac_f32_e32 v20, v21, v23
	s_delay_alu instid0(VALU_DEP_1) | instskip(NEXT) | instid1(VALU_DEP_1)
	v_div_scale_f32 v21, null, v20, v20, 1.0
	v_rcp_f32_e32 v22, v21
	v_nop
	s_delay_alu instid0(TRANS32_DEP_1) | instskip(NEXT) | instid1(VALU_DEP_1)
	v_fma_f32 v24, -v21, v22, 1.0
	v_fmac_f32_e32 v22, v24, v22
	v_div_scale_f32 v24, vcc_lo, 1.0, v20, 1.0
	s_delay_alu instid0(VALU_DEP_1) | instskip(NEXT) | instid1(VALU_DEP_1)
	v_mul_f32_e32 v25, v24, v22
	v_fma_f32 v29, -v21, v25, v24
	s_delay_alu instid0(VALU_DEP_1) | instskip(NEXT) | instid1(VALU_DEP_1)
	v_fmac_f32_e32 v25, v29, v22
	v_fma_f32 v21, -v21, v25, v24
	s_delay_alu instid0(VALU_DEP_1) | instskip(NEXT) | instid1(VALU_DEP_1)
	v_div_fmas_f32 v21, v21, v22, v25
	v_div_fixup_f32 v22, v21, v20, 1.0
	s_delay_alu instid0(VALU_DEP_1)
	v_mul_f32_e64 v23, v23, -v22
.LBB7_16:
	s_or_b32 exec_lo, exec_lo, s1
	ds_store_b64 v27, v[22:23]
.LBB7_17:
	s_or_b32 exec_lo, exec_lo, s2
	s_wait_dscnt 0x0
	s_barrier_signal -1
	s_barrier_wait -1
	ds_load_b64 v[20:21], v27
	s_mov_b32 s1, exec_lo
	v_cmpx_lt_u32_e32 1, v26
	s_cbranch_execz .LBB7_19
; %bb.18:
	ds_load_2addr_b64 v[22:25], v28 offset0:2 offset1:3
	s_wait_dscnt 0x1
	v_pk_mul_f32 v[30:31], v[20:21], v[14:15] op_sel:[1,1] op_sel_hi:[0,1]
	s_delay_alu instid0(VALU_DEP_1) | instskip(SKIP_3) | instid1(VALU_DEP_3)
	v_pk_fma_f32 v[32:33], v[20:21], v[14:15], v[30:31] op_sel_hi:[1,0,1]
	v_pk_fma_f32 v[14:15], v[20:21], v[14:15], v[30:31] op_sel_hi:[1,0,1] neg_lo:[0,0,1] neg_hi:[0,0,1]
	s_wait_dscnt 0x0
	v_dual_mov_b32 v34, v25 :: v_dual_mov_b32 v35, v24
	v_pk_mul_f32 v[30:31], v[22:23], v[32:33] op_sel:[0,1]
	s_delay_alu instid0(VALU_DEP_2) | instskip(NEXT) | instid1(VALU_DEP_2)
	v_pk_mul_f32 v[34:35], v[34:35], v[32:33] op_sel:[0,1]
	v_pk_fma_f32 v[36:37], v[22:23], v[14:15], v[30:31] op_sel:[0,0,1] op_sel_hi:[1,0,0]
	v_pk_fma_f32 v[22:23], v[22:23], v[14:15], v[30:31] op_sel:[0,0,1] op_sel_hi:[1,1,0] neg_lo:[0,0,1] neg_hi:[0,0,1]
	s_delay_alu instid0(VALU_DEP_3) | instskip(SKIP_1) | instid1(VALU_DEP_4)
	v_pk_fma_f32 v[38:39], v[24:25], v[14:15], v[34:35] op_sel_hi:[1,0,1]
	v_pk_fma_f32 v[24:25], v[24:25], v[14:15], v[34:35] neg_lo:[0,0,1] neg_hi:[0,0,1]
	v_dual_mov_b32 v23, v37 :: v_dual_mov_b32 v15, v33
	s_delay_alu instid0(VALU_DEP_3) | instskip(NEXT) | instid1(VALU_DEP_2)
	v_mov_b32_e32 v25, v39
	v_pk_add_f32 v[12:13], v[12:13], v[22:23] neg_lo:[0,1] neg_hi:[0,1]
	s_delay_alu instid0(VALU_DEP_2)
	v_pk_add_f32 v[10:11], v[10:11], v[24:25] neg_lo:[0,1] neg_hi:[0,1]
.LBB7_19:
	s_or_b32 exec_lo, exec_lo, s1
	s_delay_alu instid0(SALU_CYCLE_1)
	s_mov_b32 s2, exec_lo
	s_wait_dscnt 0x0
	s_barrier_signal -1
	s_barrier_wait -1
	v_cmpx_eq_u32_e32 2, v26
	s_cbranch_execz .LBB7_26
; %bb.20:
	ds_store_b64 v27, v[12:13]
	ds_store_b64 v28, v[10:11] offset:24
	ds_load_b64 v[22:23], v27
	s_wait_dscnt 0x0
	v_cmp_neq_f32_e32 vcc_lo, 0, v22
	v_cmp_neq_f32_e64 s1, 0, v23
	s_or_b32 s1, vcc_lo, s1
	s_delay_alu instid0(SALU_CYCLE_1)
	s_and_b32 exec_lo, exec_lo, s1
	s_cbranch_execz .LBB7_26
; %bb.21:
	v_cmp_ngt_f32_e64 s1, |v22|, |v23|
                                        ; implicit-def: $vgpr24_vgpr25
	s_and_saveexec_b32 s4, s1
	s_delay_alu instid0(SALU_CYCLE_1)
	s_xor_b32 s1, exec_lo, s4
	s_cbranch_execz .LBB7_23
; %bb.22:
	v_div_scale_f32 v24, null, v23, v23, v22
	v_div_scale_f32 v30, vcc_lo, v22, v23, v22
	s_delay_alu instid0(VALU_DEP_2) | instskip(SKIP_1) | instid1(TRANS32_DEP_1)
	v_rcp_f32_e32 v25, v24
	v_nop
	v_fma_f32 v29, -v24, v25, 1.0
	s_delay_alu instid0(VALU_DEP_1) | instskip(NEXT) | instid1(VALU_DEP_1)
	v_fmac_f32_e32 v25, v29, v25
	v_mul_f32_e32 v29, v30, v25
	s_delay_alu instid0(VALU_DEP_1) | instskip(NEXT) | instid1(VALU_DEP_1)
	v_fma_f32 v31, -v24, v29, v30
	v_fmac_f32_e32 v29, v31, v25
	s_delay_alu instid0(VALU_DEP_1) | instskip(NEXT) | instid1(VALU_DEP_1)
	v_fma_f32 v24, -v24, v29, v30
	v_div_fmas_f32 v24, v24, v25, v29
	s_delay_alu instid0(VALU_DEP_1) | instskip(NEXT) | instid1(VALU_DEP_1)
	v_div_fixup_f32 v24, v24, v23, v22
	v_fmac_f32_e32 v23, v22, v24
	s_delay_alu instid0(VALU_DEP_1) | instskip(SKIP_1) | instid1(VALU_DEP_2)
	v_div_scale_f32 v22, null, v23, v23, 1.0
	v_div_scale_f32 v30, vcc_lo, 1.0, v23, 1.0
	v_rcp_f32_e32 v25, v22
	v_nop
	s_delay_alu instid0(TRANS32_DEP_1) | instskip(NEXT) | instid1(VALU_DEP_1)
	v_fma_f32 v29, -v22, v25, 1.0
	v_fmac_f32_e32 v25, v29, v25
	s_delay_alu instid0(VALU_DEP_1) | instskip(NEXT) | instid1(VALU_DEP_1)
	v_mul_f32_e32 v29, v30, v25
	v_fma_f32 v31, -v22, v29, v30
	s_delay_alu instid0(VALU_DEP_1) | instskip(NEXT) | instid1(VALU_DEP_1)
	v_fmac_f32_e32 v29, v31, v25
	v_fma_f32 v22, -v22, v29, v30
	s_delay_alu instid0(VALU_DEP_1) | instskip(NEXT) | instid1(VALU_DEP_1)
	v_div_fmas_f32 v22, v22, v25, v29
	v_div_fixup_f32 v22, v22, v23, 1.0
	s_delay_alu instid0(VALU_DEP_1)
	v_mul_f32_e32 v24, v24, v22
	v_xor_b32_e32 v25, 0x80000000, v22
                                        ; implicit-def: $vgpr22_vgpr23
.LBB7_23:
	s_and_not1_saveexec_b32 s1, s1
	s_cbranch_execz .LBB7_25
; %bb.24:
	v_div_scale_f32 v24, null, v22, v22, v23
	v_div_scale_f32 v30, vcc_lo, v23, v22, v23
	s_delay_alu instid0(VALU_DEP_2) | instskip(SKIP_1) | instid1(TRANS32_DEP_1)
	v_rcp_f32_e32 v25, v24
	v_nop
	v_fma_f32 v29, -v24, v25, 1.0
	s_delay_alu instid0(VALU_DEP_1) | instskip(NEXT) | instid1(VALU_DEP_1)
	v_fmac_f32_e32 v25, v29, v25
	v_mul_f32_e32 v29, v30, v25
	s_delay_alu instid0(VALU_DEP_1) | instskip(NEXT) | instid1(VALU_DEP_1)
	v_fma_f32 v31, -v24, v29, v30
	v_fmac_f32_e32 v29, v31, v25
	s_delay_alu instid0(VALU_DEP_1) | instskip(NEXT) | instid1(VALU_DEP_1)
	v_fma_f32 v24, -v24, v29, v30
	v_div_fmas_f32 v24, v24, v25, v29
	s_delay_alu instid0(VALU_DEP_1) | instskip(NEXT) | instid1(VALU_DEP_1)
	v_div_fixup_f32 v25, v24, v22, v23
	v_fmac_f32_e32 v22, v23, v25
	s_delay_alu instid0(VALU_DEP_1) | instskip(NEXT) | instid1(VALU_DEP_1)
	v_div_scale_f32 v23, null, v22, v22, 1.0
	v_rcp_f32_e32 v24, v23
	v_nop
	s_delay_alu instid0(TRANS32_DEP_1) | instskip(NEXT) | instid1(VALU_DEP_1)
	v_fma_f32 v29, -v23, v24, 1.0
	v_fmac_f32_e32 v24, v29, v24
	v_div_scale_f32 v29, vcc_lo, 1.0, v22, 1.0
	s_delay_alu instid0(VALU_DEP_1) | instskip(NEXT) | instid1(VALU_DEP_1)
	v_mul_f32_e32 v30, v29, v24
	v_fma_f32 v31, -v23, v30, v29
	s_delay_alu instid0(VALU_DEP_1) | instskip(NEXT) | instid1(VALU_DEP_1)
	v_fmac_f32_e32 v30, v31, v24
	v_fma_f32 v23, -v23, v30, v29
	s_delay_alu instid0(VALU_DEP_1) | instskip(NEXT) | instid1(VALU_DEP_1)
	v_div_fmas_f32 v23, v23, v24, v30
	v_div_fixup_f32 v24, v23, v22, 1.0
	s_delay_alu instid0(VALU_DEP_1)
	v_mul_f32_e64 v25, v25, -v24
.LBB7_25:
	s_or_b32 exec_lo, exec_lo, s1
	ds_store_b64 v27, v[24:25]
.LBB7_26:
	s_or_b32 exec_lo, exec_lo, s2
	s_wait_dscnt 0x0
	s_barrier_signal -1
	s_barrier_wait -1
	ds_load_b64 v[22:23], v27
	s_mov_b32 s1, exec_lo
	v_cmpx_lt_u32_e32 2, v26
	s_cbranch_execz .LBB7_28
; %bb.27:
	ds_load_b64 v[24:25], v28 offset:24
	s_wait_dscnt 0x1
	v_pk_mul_f32 v[28:29], v[22:23], v[12:13] op_sel:[1,1] op_sel_hi:[0,1]
	s_delay_alu instid0(VALU_DEP_1) | instskip(SKIP_2) | instid1(VALU_DEP_2)
	v_pk_fma_f32 v[30:31], v[22:23], v[12:13], v[28:29] op_sel_hi:[1,0,1]
	v_pk_fma_f32 v[12:13], v[22:23], v[12:13], v[28:29] op_sel_hi:[1,0,1] neg_lo:[0,0,1] neg_hi:[0,0,1]
	s_wait_dscnt 0x0
	v_pk_mul_f32 v[28:29], v[24:25], v[30:31] op_sel:[1,1] op_sel_hi:[0,1]
	s_delay_alu instid0(VALU_DEP_1) | instskip(SKIP_1) | instid1(VALU_DEP_2)
	v_pk_fma_f32 v[32:33], v[24:25], v[12:13], v[28:29] op_sel_hi:[1,0,1]
	v_pk_fma_f32 v[24:25], v[24:25], v[12:13], v[28:29] neg_lo:[0,0,1] neg_hi:[0,0,1]
	v_dual_mov_b32 v13, v31 :: v_dual_mov_b32 v25, v33
	s_delay_alu instid0(VALU_DEP_1)
	v_pk_add_f32 v[10:11], v[10:11], v[24:25] neg_lo:[0,1] neg_hi:[0,1]
.LBB7_28:
	s_or_b32 exec_lo, exec_lo, s1
	s_delay_alu instid0(SALU_CYCLE_1)
	s_mov_b32 s2, exec_lo
	s_wait_dscnt 0x0
	s_barrier_signal -1
	s_barrier_wait -1
	v_cmpx_eq_u32_e32 3, v26
	s_cbranch_execz .LBB7_35
; %bb.29:
	v_cmp_neq_f32_e32 vcc_lo, 0, v10
	v_cmp_neq_f32_e64 s1, 0, v11
	ds_store_b64 v27, v[10:11]
	s_or_b32 s1, vcc_lo, s1
	s_delay_alu instid0(SALU_CYCLE_1)
	s_and_b32 exec_lo, exec_lo, s1
	s_cbranch_execz .LBB7_35
; %bb.30:
	v_cmp_ngt_f32_e64 s1, |v10|, |v11|
                                        ; implicit-def: $vgpr24_vgpr25
	s_and_saveexec_b32 s4, s1
	s_delay_alu instid0(SALU_CYCLE_1)
	s_xor_b32 s1, exec_lo, s4
	s_cbranch_execz .LBB7_32
; %bb.31:
	v_div_scale_f32 v24, null, v11, v11, v10
	v_div_scale_f32 v29, vcc_lo, v10, v11, v10
	s_delay_alu instid0(VALU_DEP_2) | instskip(SKIP_1) | instid1(TRANS32_DEP_1)
	v_rcp_f32_e32 v25, v24
	v_nop
	v_fma_f32 v28, -v24, v25, 1.0
	s_delay_alu instid0(VALU_DEP_1) | instskip(NEXT) | instid1(VALU_DEP_1)
	v_fmac_f32_e32 v25, v28, v25
	v_mul_f32_e32 v28, v29, v25
	s_delay_alu instid0(VALU_DEP_1) | instskip(NEXT) | instid1(VALU_DEP_1)
	v_fma_f32 v30, -v24, v28, v29
	v_fmac_f32_e32 v28, v30, v25
	s_delay_alu instid0(VALU_DEP_1) | instskip(NEXT) | instid1(VALU_DEP_1)
	v_fma_f32 v24, -v24, v28, v29
	v_div_fmas_f32 v24, v24, v25, v28
	s_delay_alu instid0(VALU_DEP_1) | instskip(NEXT) | instid1(VALU_DEP_1)
	v_div_fixup_f32 v24, v24, v11, v10
	v_fma_f32 v25, v10, v24, v11
	s_delay_alu instid0(VALU_DEP_1) | instskip(SKIP_1) | instid1(VALU_DEP_2)
	v_div_scale_f32 v28, null, v25, v25, 1.0
	v_div_scale_f32 v31, vcc_lo, 1.0, v25, 1.0
	v_rcp_f32_e32 v29, v28
	v_nop
	s_delay_alu instid0(TRANS32_DEP_1) | instskip(NEXT) | instid1(VALU_DEP_1)
	v_fma_f32 v30, -v28, v29, 1.0
	v_fmac_f32_e32 v29, v30, v29
	s_delay_alu instid0(VALU_DEP_1) | instskip(NEXT) | instid1(VALU_DEP_1)
	v_mul_f32_e32 v30, v31, v29
	v_fma_f32 v32, -v28, v30, v31
	s_delay_alu instid0(VALU_DEP_1) | instskip(NEXT) | instid1(VALU_DEP_1)
	v_fmac_f32_e32 v30, v32, v29
	v_fma_f32 v28, -v28, v30, v31
	s_delay_alu instid0(VALU_DEP_1) | instskip(NEXT) | instid1(VALU_DEP_1)
	v_div_fmas_f32 v28, v28, v29, v30
	v_div_fixup_f32 v25, v28, v25, 1.0
	s_delay_alu instid0(VALU_DEP_1)
	v_mul_f32_e32 v24, v24, v25
	v_xor_b32_e32 v25, 0x80000000, v25
.LBB7_32:
	s_and_not1_saveexec_b32 s1, s1
	s_cbranch_execz .LBB7_34
; %bb.33:
	v_div_scale_f32 v24, null, v10, v10, v11
	v_div_scale_f32 v29, vcc_lo, v11, v10, v11
	s_delay_alu instid0(VALU_DEP_2) | instskip(SKIP_1) | instid1(TRANS32_DEP_1)
	v_rcp_f32_e32 v25, v24
	v_nop
	v_fma_f32 v28, -v24, v25, 1.0
	s_delay_alu instid0(VALU_DEP_1) | instskip(NEXT) | instid1(VALU_DEP_1)
	v_fmac_f32_e32 v25, v28, v25
	v_mul_f32_e32 v28, v29, v25
	s_delay_alu instid0(VALU_DEP_1) | instskip(NEXT) | instid1(VALU_DEP_1)
	v_fma_f32 v30, -v24, v28, v29
	v_fmac_f32_e32 v28, v30, v25
	s_delay_alu instid0(VALU_DEP_1) | instskip(NEXT) | instid1(VALU_DEP_1)
	v_fma_f32 v24, -v24, v28, v29
	v_div_fmas_f32 v24, v24, v25, v28
	s_delay_alu instid0(VALU_DEP_1) | instskip(NEXT) | instid1(VALU_DEP_1)
	v_div_fixup_f32 v25, v24, v10, v11
	v_fma_f32 v24, v11, v25, v10
	s_delay_alu instid0(VALU_DEP_1) | instskip(NEXT) | instid1(VALU_DEP_1)
	v_div_scale_f32 v28, null, v24, v24, 1.0
	v_rcp_f32_e32 v29, v28
	v_nop
	s_delay_alu instid0(TRANS32_DEP_1) | instskip(NEXT) | instid1(VALU_DEP_1)
	v_fma_f32 v30, -v28, v29, 1.0
	v_fmac_f32_e32 v29, v30, v29
	v_div_scale_f32 v30, vcc_lo, 1.0, v24, 1.0
	s_delay_alu instid0(VALU_DEP_1) | instskip(NEXT) | instid1(VALU_DEP_1)
	v_mul_f32_e32 v31, v30, v29
	v_fma_f32 v32, -v28, v31, v30
	s_delay_alu instid0(VALU_DEP_1) | instskip(NEXT) | instid1(VALU_DEP_1)
	v_fmac_f32_e32 v31, v32, v29
	v_fma_f32 v28, -v28, v31, v30
	s_delay_alu instid0(VALU_DEP_1) | instskip(NEXT) | instid1(VALU_DEP_1)
	v_div_fmas_f32 v28, v28, v29, v31
	v_div_fixup_f32 v24, v28, v24, 1.0
	s_delay_alu instid0(VALU_DEP_1)
	v_mul_f32_e64 v25, v25, -v24
.LBB7_34:
	s_or_b32 exec_lo, exec_lo, s1
	ds_store_b64 v27, v[24:25]
.LBB7_35:
	s_or_b32 exec_lo, exec_lo, s2
	s_wait_dscnt 0x0
	s_barrier_signal -1
	s_barrier_wait -1
	ds_load_b64 v[24:25], v27
	s_wait_dscnt 0x0
	s_barrier_signal -1
	s_barrier_wait -1
	s_and_saveexec_b32 s4, s0
	s_cbranch_execz .LBB7_38
; %bb.36:
	v_lshl_add_u64 v[2:3], v[2:3], 2, s[6:7]
	v_cmp_eq_f32_e32 vcc_lo, 0, v18
	v_cmp_eq_f32_e64 s0, 0, v19
	v_cmp_neq_f32_e64 s1, 0, v20
	v_cmp_neq_f32_e64 s2, 0, v21
	global_load_b32 v27, v[2:3], off
	s_and_b32 s0, vcc_lo, s0
	s_delay_alu instid0(SALU_CYCLE_1) | instskip(SKIP_1) | instid1(SALU_CYCLE_1)
	v_cndmask_b32_e64 v18, 0, 1, s0
	s_or_b32 s1, s1, s2
	s_or_b32 vcc_lo, s1, s0
	v_cmp_eq_f32_e64 s0, 0, v23
	s_delay_alu instid0(VALU_DEP_2) | instskip(SKIP_1) | instid1(VALU_DEP_2)
	v_cndmask_b32_e32 v18, 2, v18, vcc_lo
	v_cmp_eq_f32_e32 vcc_lo, 0, v22
	v_cmp_eq_u32_e64 s1, 0, v18
	s_and_b32 s0, vcc_lo, s0
	v_cmp_eq_f32_e32 vcc_lo, 0, v24
	s_and_b32 s0, s0, s1
	s_delay_alu instid0(SALU_CYCLE_1) | instskip(SKIP_1) | instid1(VALU_DEP_2)
	v_cndmask_b32_e64 v18, v18, 3, s0
	v_cmp_eq_f32_e64 s0, 0, v25
	v_cmp_eq_u32_e64 s1, 0, v18
	s_and_b32 s0, vcc_lo, s0
	s_delay_alu instid0(SALU_CYCLE_1) | instskip(NEXT) | instid1(SALU_CYCLE_1)
	s_and_b32 s0, s0, s1
	v_cndmask_b32_e64 v18, v18, 4, s0
	s_delay_alu instid0(VALU_DEP_1) | instskip(SKIP_3) | instid1(SALU_CYCLE_1)
	v_cmp_ne_u32_e64 s0, 0, v18
	s_wait_loadcnt 0x0
	v_cmp_eq_u32_e32 vcc_lo, 0, v27
	s_and_b32 s0, vcc_lo, s0
	s_and_b32 exec_lo, exec_lo, s0
	s_cbranch_execz .LBB7_38
; %bb.37:
	v_add_nc_u32_e32 v18, s3, v18
	global_store_b32 v[2:3], v18, off
.LBB7_38:
	s_wait_xcnt 0x0
	s_or_b32 exec_lo, exec_lo, s4
	v_pk_mul_f32 v[2:3], v[24:25], v[10:11] op_sel:[1,1] op_sel_hi:[0,1]
	v_cmp_lt_u32_e32 vcc_lo, 3, v26
	s_delay_alu instid0(VALU_DEP_2) | instskip(SKIP_1) | instid1(VALU_DEP_1)
	v_pk_fma_f32 v[18:19], v[24:25], v[10:11], v[2:3] neg_lo:[0,0,1] neg_hi:[0,0,1]
	v_pk_fma_f32 v[2:3], v[24:25], v[10:11], v[2:3] op_sel_hi:[1,0,1]
	v_dual_cndmask_b32 v2, v10, v18 :: v_dual_cndmask_b32 v3, v11, v3
	s_clause 0x3
	global_store_b64 v[0:1], v[16:17], off
	global_store_b64 v[4:5], v[14:15], off
	;; [unrolled: 1-line block ×4, first 2 shown]
.LBB7_39:
	s_endpgm
	.section	.rodata,"a",@progbits
	.p2align	6, 0x0
	.amdhsa_kernel _ZN9rocsolver6v33100L23getf2_npvt_small_kernelILi4E19rocblas_complex_numIfEiiPS3_EEvT1_T3_lS5_lPT2_S5_S5_
		.amdhsa_group_segment_fixed_size 0
		.amdhsa_private_segment_fixed_size 0
		.amdhsa_kernarg_size 312
		.amdhsa_user_sgpr_count 2
		.amdhsa_user_sgpr_dispatch_ptr 0
		.amdhsa_user_sgpr_queue_ptr 0
		.amdhsa_user_sgpr_kernarg_segment_ptr 1
		.amdhsa_user_sgpr_dispatch_id 0
		.amdhsa_user_sgpr_kernarg_preload_length 0
		.amdhsa_user_sgpr_kernarg_preload_offset 0
		.amdhsa_user_sgpr_private_segment_size 0
		.amdhsa_wavefront_size32 1
		.amdhsa_uses_dynamic_stack 0
		.amdhsa_enable_private_segment 0
		.amdhsa_system_sgpr_workgroup_id_x 1
		.amdhsa_system_sgpr_workgroup_id_y 1
		.amdhsa_system_sgpr_workgroup_id_z 0
		.amdhsa_system_sgpr_workgroup_info 0
		.amdhsa_system_vgpr_workitem_id 1
		.amdhsa_next_free_vgpr 42
		.amdhsa_next_free_sgpr 16
		.amdhsa_named_barrier_count 0
		.amdhsa_reserve_vcc 1
		.amdhsa_float_round_mode_32 0
		.amdhsa_float_round_mode_16_64 0
		.amdhsa_float_denorm_mode_32 3
		.amdhsa_float_denorm_mode_16_64 3
		.amdhsa_fp16_overflow 0
		.amdhsa_memory_ordered 1
		.amdhsa_forward_progress 1
		.amdhsa_inst_pref_size 27
		.amdhsa_round_robin_scheduling 0
		.amdhsa_exception_fp_ieee_invalid_op 0
		.amdhsa_exception_fp_denorm_src 0
		.amdhsa_exception_fp_ieee_div_zero 0
		.amdhsa_exception_fp_ieee_overflow 0
		.amdhsa_exception_fp_ieee_underflow 0
		.amdhsa_exception_fp_ieee_inexact 0
		.amdhsa_exception_int_div_zero 0
	.end_amdhsa_kernel
	.section	.text._ZN9rocsolver6v33100L23getf2_npvt_small_kernelILi4E19rocblas_complex_numIfEiiPS3_EEvT1_T3_lS5_lPT2_S5_S5_,"axG",@progbits,_ZN9rocsolver6v33100L23getf2_npvt_small_kernelILi4E19rocblas_complex_numIfEiiPS3_EEvT1_T3_lS5_lPT2_S5_S5_,comdat
.Lfunc_end7:
	.size	_ZN9rocsolver6v33100L23getf2_npvt_small_kernelILi4E19rocblas_complex_numIfEiiPS3_EEvT1_T3_lS5_lPT2_S5_S5_, .Lfunc_end7-_ZN9rocsolver6v33100L23getf2_npvt_small_kernelILi4E19rocblas_complex_numIfEiiPS3_EEvT1_T3_lS5_lPT2_S5_S5_
                                        ; -- End function
	.set _ZN9rocsolver6v33100L23getf2_npvt_small_kernelILi4E19rocblas_complex_numIfEiiPS3_EEvT1_T3_lS5_lPT2_S5_S5_.num_vgpr, 42
	.set _ZN9rocsolver6v33100L23getf2_npvt_small_kernelILi4E19rocblas_complex_numIfEiiPS3_EEvT1_T3_lS5_lPT2_S5_S5_.num_agpr, 0
	.set _ZN9rocsolver6v33100L23getf2_npvt_small_kernelILi4E19rocblas_complex_numIfEiiPS3_EEvT1_T3_lS5_lPT2_S5_S5_.numbered_sgpr, 16
	.set _ZN9rocsolver6v33100L23getf2_npvt_small_kernelILi4E19rocblas_complex_numIfEiiPS3_EEvT1_T3_lS5_lPT2_S5_S5_.num_named_barrier, 0
	.set _ZN9rocsolver6v33100L23getf2_npvt_small_kernelILi4E19rocblas_complex_numIfEiiPS3_EEvT1_T3_lS5_lPT2_S5_S5_.private_seg_size, 0
	.set _ZN9rocsolver6v33100L23getf2_npvt_small_kernelILi4E19rocblas_complex_numIfEiiPS3_EEvT1_T3_lS5_lPT2_S5_S5_.uses_vcc, 1
	.set _ZN9rocsolver6v33100L23getf2_npvt_small_kernelILi4E19rocblas_complex_numIfEiiPS3_EEvT1_T3_lS5_lPT2_S5_S5_.uses_flat_scratch, 0
	.set _ZN9rocsolver6v33100L23getf2_npvt_small_kernelILi4E19rocblas_complex_numIfEiiPS3_EEvT1_T3_lS5_lPT2_S5_S5_.has_dyn_sized_stack, 0
	.set _ZN9rocsolver6v33100L23getf2_npvt_small_kernelILi4E19rocblas_complex_numIfEiiPS3_EEvT1_T3_lS5_lPT2_S5_S5_.has_recursion, 0
	.set _ZN9rocsolver6v33100L23getf2_npvt_small_kernelILi4E19rocblas_complex_numIfEiiPS3_EEvT1_T3_lS5_lPT2_S5_S5_.has_indirect_call, 0
	.section	.AMDGPU.csdata,"",@progbits
; Kernel info:
; codeLenInByte = 3444
; TotalNumSgprs: 18
; NumVgprs: 42
; ScratchSize: 0
; MemoryBound: 0
; FloatMode: 240
; IeeeMode: 1
; LDSByteSize: 0 bytes/workgroup (compile time only)
; SGPRBlocks: 0
; VGPRBlocks: 2
; NumSGPRsForWavesPerEU: 18
; NumVGPRsForWavesPerEU: 42
; NamedBarCnt: 0
; Occupancy: 16
; WaveLimiterHint : 0
; COMPUTE_PGM_RSRC2:SCRATCH_EN: 0
; COMPUTE_PGM_RSRC2:USER_SGPR: 2
; COMPUTE_PGM_RSRC2:TRAP_HANDLER: 0
; COMPUTE_PGM_RSRC2:TGID_X_EN: 1
; COMPUTE_PGM_RSRC2:TGID_Y_EN: 1
; COMPUTE_PGM_RSRC2:TGID_Z_EN: 0
; COMPUTE_PGM_RSRC2:TIDIG_COMP_CNT: 1
	.section	.text._ZN9rocsolver6v33100L18getf2_small_kernelILi5E19rocblas_complex_numIfEiiPS3_EEvT1_T3_lS5_lPS5_llPT2_S5_S5_S7_l,"axG",@progbits,_ZN9rocsolver6v33100L18getf2_small_kernelILi5E19rocblas_complex_numIfEiiPS3_EEvT1_T3_lS5_lPS5_llPT2_S5_S5_S7_l,comdat
	.globl	_ZN9rocsolver6v33100L18getf2_small_kernelILi5E19rocblas_complex_numIfEiiPS3_EEvT1_T3_lS5_lPS5_llPT2_S5_S5_S7_l ; -- Begin function _ZN9rocsolver6v33100L18getf2_small_kernelILi5E19rocblas_complex_numIfEiiPS3_EEvT1_T3_lS5_lPS5_llPT2_S5_S5_S7_l
	.p2align	8
	.type	_ZN9rocsolver6v33100L18getf2_small_kernelILi5E19rocblas_complex_numIfEiiPS3_EEvT1_T3_lS5_lPS5_llPT2_S5_S5_S7_l,@function
_ZN9rocsolver6v33100L18getf2_small_kernelILi5E19rocblas_complex_numIfEiiPS3_EEvT1_T3_lS5_lPS5_llPT2_S5_S5_S7_l: ; @_ZN9rocsolver6v33100L18getf2_small_kernelILi5E19rocblas_complex_numIfEiiPS3_EEvT1_T3_lS5_lPS5_llPT2_S5_S5_S7_l
; %bb.0:
	s_clause 0x1
	s_load_u16 s4, s[0:1], 0x6e
	s_load_b64 s[2:3], s[0:1], 0x48
	s_bfe_u32 s5, ttmp6, 0x40010
	s_bfe_u32 s6, ttmp6, 0x40004
	s_add_co_i32 s5, s5, 1
	s_getreg_b32 s7, hwreg(HW_REG_IB_STS2, 6, 4)
	s_mul_i32 s5, ttmp7, s5
	v_bfe_u32 v16, v0, 10, 10
	s_add_co_i32 s6, s6, s5
	s_cmp_eq_u32 s7, 0
	s_cselect_b32 s5, ttmp7, s6
	s_wait_kmcnt 0x0
	v_mad_u32 v2, s5, s4, v16
	s_delay_alu instid0(VALU_DEP_1)
	v_cmp_gt_i32_e32 vcc_lo, s2, v2
	s_and_saveexec_b32 s2, vcc_lo
	s_cbranch_execz .LBB8_106
; %bb.1:
	s_load_b128 s[4:7], s[0:1], 0x50
	v_mov_b64_e32 v[14:15], 0
	v_ashrrev_i32_e32 v3, 31, v2
	s_wait_kmcnt 0x0
	s_cmp_eq_u64 s[4:5], 0
	s_cselect_b32 s2, -1, 0
	s_delay_alu instid0(SALU_CYCLE_1)
	s_and_b32 vcc_lo, exec_lo, s2
	s_cbranch_vccnz .LBB8_3
; %bb.2:
	v_mul_u64_e32 v[4:5], s[6:7], v[2:3]
	s_delay_alu instid0(VALU_DEP_1)
	v_lshl_add_u64 v[14:15], v[4:5], 2, s[4:5]
.LBB8_3:
	s_load_b256 s[4:11], s[0:1], 0x20
	v_and_b32_e32 v22, 0x3ff, v0
	s_delay_alu instid0(VALU_DEP_1)
	v_dual_mov_b32 v19, 0 :: v_dual_lshlrev_b32 v18, 3, v22
	s_wait_kmcnt 0x0
	v_mul_u64_e32 v[4:5], s[4:5], v[2:3]
	s_clause 0x1
	s_load_b32 s4, s[0:1], 0x18
	s_load_b128 s[12:15], s[0:1], 0x8
	s_wait_kmcnt 0x0
	v_add3_u32 v6, s4, s4, v22
	s_ashr_i32 s5, s4, 31
	s_delay_alu instid0(VALU_DEP_1) | instskip(NEXT) | instid1(VALU_DEP_1)
	v_dual_add_nc_u32 v10, s4, v6 :: v_dual_ashrrev_i32 v7, 31, v6
	v_ashrrev_i32_e32 v11, 31, v10
	s_delay_alu instid0(VALU_DEP_4) | instskip(NEXT) | instid1(VALU_DEP_1)
	v_lshl_add_u64 v[0:1], v[4:5], 3, s[12:13]
	v_lshl_add_u64 v[0:1], s[14:15], 3, v[0:1]
	s_load_b32 s14, s[0:1], 0x0
	s_delay_alu instid0(VALU_DEP_1)
	v_add_nc_u64_e32 v[12:13], v[0:1], v[18:19]
	v_lshl_add_u64 v[20:21], v[6:7], 3, v[0:1]
	v_lshl_add_u64 v[24:25], v[10:11], 3, v[0:1]
	v_add_nc_u32_e32 v10, s4, v10
	s_clause 0x2
	global_load_b64 v[6:7], v[20:21], off
	global_load_b64 v[4:5], v[24:25], off
	;; [unrolled: 1-line block ×3, first 2 shown]
	s_wait_xcnt 0x2
	v_lshl_add_u64 v[20:21], s[4:5], 3, v[12:13]
	v_ashrrev_i32_e32 v11, 31, v10
	s_wait_xcnt 0x1
	s_delay_alu instid0(VALU_DEP_1)
	v_lshl_add_u64 v[24:25], v[10:11], 3, v[0:1]
	s_clause 0x1
	global_load_b64 v[12:13], v[20:21], off
	global_load_b64 v[10:11], v[24:25], off
	s_wait_kmcnt 0x0
	s_max_i32 s12, s14, 5
	s_cmp_lt_i32 s14, 2
	s_wait_xcnt 0x1
	v_mul_lo_u32 v21, s12, v16
	s_load_b64 s[12:13], s[0:1], 0x40
	s_delay_alu instid0(VALU_DEP_1) | instskip(NEXT) | instid1(VALU_DEP_1)
	v_lshl_add_u32 v20, v21, 3, 0
	v_dual_lshlrev_b32 v21, 3, v21 :: v_dual_add_nc_u32 v16, v20, v18
	s_wait_loadcnt 0x2
	ds_store_b64 v16, v[8:9]
	s_wait_loadcnt_dscnt 0x0
	s_barrier_signal -1
	s_barrier_wait -1
	ds_load_b64 v[16:17], v20
	s_cbranch_scc1 .LBB8_6
; %bb.4:
	v_add3_u32 v18, v21, 0, 8
	v_mov_b32_e32 v19, 0
	s_wait_xcnt 0x0
	s_mov_b32 s0, 1
.LBB8_5:                                ; =>This Inner Loop Header: Depth=1
	ds_load_b64 v[24:25], v18
	s_wait_dscnt 0x1
	v_cmp_gt_f32_e32 vcc_lo, 0, v16
	v_cndmask_b32_e64 v26, v16, -v16, vcc_lo
	v_cmp_gt_f32_e32 vcc_lo, 0, v17
	v_cndmask_b32_e64 v28, v17, -v17, vcc_lo
	s_wait_dscnt 0x0
	v_cmp_gt_f32_e32 vcc_lo, 0, v24
	v_cndmask_b32_e64 v27, v24, -v24, vcc_lo
	v_cmp_gt_f32_e32 vcc_lo, 0, v25
	v_cndmask_b32_e64 v29, v25, -v25, vcc_lo
	s_delay_alu instid0(VALU_DEP_1) | instskip(NEXT) | instid1(VALU_DEP_1)
	v_pk_add_f32 v[26:27], v[26:27], v[28:29]
	v_cmp_lt_f32_e32 vcc_lo, v26, v27
	v_dual_cndmask_b32 v17, v17, v25 :: v_dual_add_nc_u32 v18, 8, v18
	v_cndmask_b32_e32 v16, v16, v24, vcc_lo
	v_cndmask_b32_e64 v19, v19, s0, vcc_lo
	s_add_co_i32 s0, s0, 1
	s_delay_alu instid0(SALU_CYCLE_1)
	s_cmp_eq_u32 s14, s0
	s_cbranch_scc0 .LBB8_5
.LBB8_6:
	s_wait_dscnt 0x0
	v_cmp_neq_f32_e32 vcc_lo, 0, v16
	s_wait_xcnt 0x0
	v_cmp_neq_f32_e64 s0, 0, v17
	v_dual_mov_b32 v23, 1 :: v_dual_mov_b32 v24, 1
	s_or_b32 s1, vcc_lo, s0
	s_delay_alu instid0(SALU_CYCLE_1)
	s_and_saveexec_b32 s0, s1
	s_cbranch_execz .LBB8_12
; %bb.7:
	v_cmp_ngt_f32_e64 s1, |v16|, |v17|
	s_and_saveexec_b32 s15, s1
	s_delay_alu instid0(SALU_CYCLE_1)
	s_xor_b32 s1, exec_lo, s15
	s_cbranch_execz .LBB8_9
; %bb.8:
	v_div_scale_f32 v18, null, v17, v17, v16
	v_div_scale_f32 v25, vcc_lo, v16, v17, v16
	s_delay_alu instid0(VALU_DEP_2) | instskip(SKIP_1) | instid1(TRANS32_DEP_1)
	v_rcp_f32_e32 v23, v18
	v_nop
	v_fma_f32 v24, -v18, v23, 1.0
	s_delay_alu instid0(VALU_DEP_1) | instskip(NEXT) | instid1(VALU_DEP_1)
	v_fmac_f32_e32 v23, v24, v23
	v_mul_f32_e32 v24, v25, v23
	s_delay_alu instid0(VALU_DEP_1) | instskip(NEXT) | instid1(VALU_DEP_1)
	v_fma_f32 v26, -v18, v24, v25
	v_fmac_f32_e32 v24, v26, v23
	s_delay_alu instid0(VALU_DEP_1) | instskip(NEXT) | instid1(VALU_DEP_1)
	v_fma_f32 v18, -v18, v24, v25
	v_div_fmas_f32 v18, v18, v23, v24
	s_delay_alu instid0(VALU_DEP_1) | instskip(NEXT) | instid1(VALU_DEP_1)
	v_div_fixup_f32 v18, v18, v17, v16
	v_fmac_f32_e32 v17, v16, v18
	s_delay_alu instid0(VALU_DEP_1) | instskip(SKIP_1) | instid1(VALU_DEP_2)
	v_div_scale_f32 v16, null, v17, v17, 1.0
	v_div_scale_f32 v25, vcc_lo, 1.0, v17, 1.0
	v_rcp_f32_e32 v23, v16
	v_nop
	s_delay_alu instid0(TRANS32_DEP_1) | instskip(NEXT) | instid1(VALU_DEP_1)
	v_fma_f32 v24, -v16, v23, 1.0
	v_fmac_f32_e32 v23, v24, v23
	s_delay_alu instid0(VALU_DEP_1) | instskip(NEXT) | instid1(VALU_DEP_1)
	v_mul_f32_e32 v24, v25, v23
	v_fma_f32 v26, -v16, v24, v25
	s_delay_alu instid0(VALU_DEP_1) | instskip(NEXT) | instid1(VALU_DEP_1)
	v_fmac_f32_e32 v24, v26, v23
	v_fma_f32 v16, -v16, v24, v25
	s_delay_alu instid0(VALU_DEP_1) | instskip(NEXT) | instid1(VALU_DEP_1)
	v_div_fmas_f32 v16, v16, v23, v24
	v_div_fixup_f32 v17, v16, v17, 1.0
	s_delay_alu instid0(VALU_DEP_1)
	v_mul_f32_e32 v16, v18, v17
	v_xor_b32_e32 v17, 0x80000000, v17
.LBB8_9:
	s_and_not1_saveexec_b32 s1, s1
	s_cbranch_execz .LBB8_11
; %bb.10:
	s_delay_alu instid0(VALU_DEP_1) | instskip(SKIP_1) | instid1(VALU_DEP_2)
	v_div_scale_f32 v18, null, v16, v16, v17
	v_div_scale_f32 v25, vcc_lo, v17, v16, v17
	v_rcp_f32_e32 v23, v18
	v_nop
	s_delay_alu instid0(TRANS32_DEP_1) | instskip(NEXT) | instid1(VALU_DEP_1)
	v_fma_f32 v24, -v18, v23, 1.0
	v_fmac_f32_e32 v23, v24, v23
	s_delay_alu instid0(VALU_DEP_1) | instskip(NEXT) | instid1(VALU_DEP_1)
	v_mul_f32_e32 v24, v25, v23
	v_fma_f32 v26, -v18, v24, v25
	s_delay_alu instid0(VALU_DEP_1) | instskip(NEXT) | instid1(VALU_DEP_1)
	v_fmac_f32_e32 v24, v26, v23
	v_fma_f32 v18, -v18, v24, v25
	s_delay_alu instid0(VALU_DEP_1) | instskip(NEXT) | instid1(VALU_DEP_1)
	v_div_fmas_f32 v18, v18, v23, v24
	v_div_fixup_f32 v18, v18, v16, v17
	s_delay_alu instid0(VALU_DEP_1) | instskip(NEXT) | instid1(VALU_DEP_1)
	v_fmac_f32_e32 v16, v17, v18
	v_div_scale_f32 v17, null, v16, v16, 1.0
	s_delay_alu instid0(VALU_DEP_1) | instskip(SKIP_1) | instid1(TRANS32_DEP_1)
	v_rcp_f32_e32 v23, v17
	v_nop
	v_fma_f32 v24, -v17, v23, 1.0
	s_delay_alu instid0(VALU_DEP_1) | instskip(SKIP_1) | instid1(VALU_DEP_1)
	v_fmac_f32_e32 v23, v24, v23
	v_div_scale_f32 v24, vcc_lo, 1.0, v16, 1.0
	v_mul_f32_e32 v25, v24, v23
	s_delay_alu instid0(VALU_DEP_1) | instskip(NEXT) | instid1(VALU_DEP_1)
	v_fma_f32 v26, -v17, v25, v24
	v_fmac_f32_e32 v25, v26, v23
	s_delay_alu instid0(VALU_DEP_1) | instskip(NEXT) | instid1(VALU_DEP_1)
	v_fma_f32 v17, -v17, v25, v24
	v_div_fmas_f32 v17, v17, v23, v25
	s_delay_alu instid0(VALU_DEP_1) | instskip(NEXT) | instid1(VALU_DEP_1)
	v_div_fixup_f32 v16, v17, v16, 1.0
	v_mul_f32_e64 v17, v18, -v16
.LBB8_11:
	s_or_b32 exec_lo, exec_lo, s1
	v_dual_mov_b32 v24, 0 :: v_dual_mov_b32 v23, 2
.LBB8_12:
	s_or_b32 exec_lo, exec_lo, s0
	s_delay_alu instid0(SALU_CYCLE_1)
	s_mov_b32 s0, exec_lo
	v_cmpx_ne_u32_e64 v22, v19
	s_xor_b32 s0, exec_lo, s0
	s_cbranch_execz .LBB8_18
; %bb.13:
	s_mov_b32 s1, exec_lo
	v_cmpx_eq_u32_e32 0, v22
	s_cbranch_execz .LBB8_17
; %bb.14:
	v_cmp_ne_u32_e32 vcc_lo, 0, v19
	s_xor_b32 s15, s2, -1
	s_delay_alu instid0(SALU_CYCLE_1) | instskip(NEXT) | instid1(SALU_CYCLE_1)
	s_and_b32 s16, s15, vcc_lo
	s_and_saveexec_b32 s15, s16
	s_cbranch_execz .LBB8_16
; %bb.15:
	v_dual_mov_b32 v26, v19 :: v_dual_ashrrev_i32 v27, 31, v19
	s_delay_alu instid0(VALU_DEP_1)
	v_lshl_add_u64 v[26:27], v[26:27], 2, v[14:15]
	s_clause 0x1
	global_load_b32 v18, v[26:27], off
	global_load_b32 v22, v[14:15], off
	s_wait_loadcnt 0x1
	global_store_b32 v[14:15], v18, off
	s_wait_loadcnt 0x0
	global_store_b32 v[26:27], v22, off
.LBB8_16:
	s_wait_xcnt 0x0
	s_or_b32 exec_lo, exec_lo, s15
	v_mov_b32_e32 v22, v19
.LBB8_17:
	s_or_b32 exec_lo, exec_lo, s1
.LBB8_18:
	s_or_saveexec_b32 s0, s0
	s_delay_alu instid0(VALU_DEP_1)
	v_mov_b32_e32 v19, v22
	s_xor_b32 exec_lo, exec_lo, s0
	s_cbranch_execz .LBB8_20
; %bb.19:
	v_mov_b32_e32 v19, 0
	ds_store_2addr_b64 v20, v[12:13], v[6:7] offset0:1 offset1:2
	ds_store_2addr_b64 v20, v[4:5], v[10:11] offset0:3 offset1:4
.LBB8_20:
	s_or_b32 exec_lo, exec_lo, s0
	s_delay_alu instid0(SALU_CYCLE_1)
	s_mov_b32 s0, exec_lo
	s_wait_storecnt_dscnt 0x0
	s_barrier_signal -1
	s_barrier_wait -1
	v_cmpx_lt_i32_e32 0, v19
	s_cbranch_execz .LBB8_22
; %bb.21:
	ds_load_2addr_b64 v[26:29], v20 offset0:1 offset1:2
	ds_load_2addr_b64 v[30:33], v20 offset0:3 offset1:4
	v_pk_mul_f32 v[34:35], v[16:17], v[8:9] op_sel:[1,1] op_sel_hi:[0,1]
	s_delay_alu instid0(VALU_DEP_1) | instskip(SKIP_1) | instid1(VALU_DEP_1)
	v_pk_fma_f32 v[36:37], v[16:17], v[8:9], v[34:35] op_sel_hi:[1,0,1] neg_lo:[0,0,1] neg_hi:[0,0,1]
	v_pk_fma_f32 v[16:17], v[16:17], v[8:9], v[34:35] op_sel_hi:[1,0,1]
	v_dual_mov_b32 v8, v36 :: v_dual_mov_b32 v9, v17
	s_wait_dscnt 0x1
	s_delay_alu instid0(VALU_DEP_2)
	v_pk_mul_f32 v[34:35], v[26:27], v[16:17] op_sel:[0,1]
	s_wait_dscnt 0x0
	v_mov_b32_e32 v38, v33
	v_pk_mul_f32 v[40:41], v[28:29], v[16:17] op_sel:[0,1]
	v_pk_mul_f32 v[42:43], v[30:31], v[16:17] op_sel:[0,1]
	v_pk_fma_f32 v[44:45], v[26:27], v[36:37], v[34:35] op_sel:[0,0,1] op_sel_hi:[1,1,0] neg_lo:[0,0,1] neg_hi:[0,0,1]
	v_pk_fma_f32 v[26:27], v[26:27], v[36:37], v[34:35] op_sel:[0,0,1] op_sel_hi:[1,0,0]
	s_delay_alu instid0(VALU_DEP_1) | instskip(NEXT) | instid1(VALU_DEP_1)
	v_dual_mov_b32 v39, v32 :: v_dual_mov_b32 v45, v27
	v_pk_mul_f32 v[34:35], v[38:39], v[16:17] op_sel:[0,1]
	v_pk_fma_f32 v[38:39], v[28:29], v[36:37], v[40:41] op_sel:[0,0,1] op_sel_hi:[1,0,0]
	v_pk_fma_f32 v[28:29], v[28:29], v[36:37], v[40:41] op_sel:[0,0,1] op_sel_hi:[1,1,0] neg_lo:[0,0,1] neg_hi:[0,0,1]
	v_pk_fma_f32 v[40:41], v[30:31], v[36:37], v[42:43] op_sel:[0,0,1] op_sel_hi:[1,0,0]
	v_pk_fma_f32 v[30:31], v[30:31], v[36:37], v[42:43] op_sel:[0,0,1] op_sel_hi:[1,1,0] neg_lo:[0,0,1] neg_hi:[0,0,1]
	v_pk_fma_f32 v[26:27], v[32:33], v[36:37], v[34:35] op_sel_hi:[1,0,1]
	v_pk_fma_f32 v[32:33], v[32:33], v[36:37], v[34:35] neg_lo:[0,0,1] neg_hi:[0,0,1]
	s_delay_alu instid0(VALU_DEP_4) | instskip(SKIP_1) | instid1(VALU_DEP_4)
	v_dual_mov_b32 v29, v39 :: v_dual_mov_b32 v31, v41
	v_pk_add_f32 v[12:13], v[12:13], v[44:45] neg_lo:[0,1] neg_hi:[0,1]
	v_mov_b32_e32 v33, v27
	s_delay_alu instid0(VALU_DEP_3) | instskip(NEXT) | instid1(VALU_DEP_4)
	v_pk_add_f32 v[6:7], v[6:7], v[28:29] neg_lo:[0,1] neg_hi:[0,1]
	v_pk_add_f32 v[4:5], v[4:5], v[30:31] neg_lo:[0,1] neg_hi:[0,1]
	s_delay_alu instid0(VALU_DEP_3)
	v_pk_add_f32 v[10:11], v[10:11], v[32:33] neg_lo:[0,1] neg_hi:[0,1]
.LBB8_22:
	s_or_b32 exec_lo, exec_lo, s0
	v_lshl_add_u32 v16, v19, 3, v20
	s_barrier_signal -1
	s_barrier_wait -1
	ds_store_b64 v16, v[12:13]
	s_wait_dscnt 0x0
	s_barrier_signal -1
	s_barrier_wait -1
	ds_load_b64 v[16:17], v20 offset:8
	v_mov_b32_e32 v18, 1
	s_cmp_lt_i32 s14, 3
	s_cbranch_scc1 .LBB8_25
; %bb.23:
	v_add3_u32 v25, v21, 0, 16
	v_mov_b32_e32 v18, 1
	s_mov_b32 s0, 2
.LBB8_24:                               ; =>This Inner Loop Header: Depth=1
	ds_load_b64 v[26:27], v25
	s_wait_dscnt 0x1
	v_cmp_gt_f32_e32 vcc_lo, 0, v16
	v_cndmask_b32_e64 v28, v16, -v16, vcc_lo
	v_cmp_gt_f32_e32 vcc_lo, 0, v17
	v_cndmask_b32_e64 v30, v17, -v17, vcc_lo
	s_wait_dscnt 0x0
	v_cmp_gt_f32_e32 vcc_lo, 0, v26
	v_cndmask_b32_e64 v29, v26, -v26, vcc_lo
	v_cmp_gt_f32_e32 vcc_lo, 0, v27
	v_cndmask_b32_e64 v31, v27, -v27, vcc_lo
	s_delay_alu instid0(VALU_DEP_1) | instskip(NEXT) | instid1(VALU_DEP_1)
	v_pk_add_f32 v[28:29], v[28:29], v[30:31]
	v_cmp_lt_f32_e32 vcc_lo, v28, v29
	v_dual_add_nc_u32 v25, 8, v25 :: v_dual_cndmask_b32 v17, v17, v27, vcc_lo
	v_cndmask_b32_e32 v16, v16, v26, vcc_lo
	v_cndmask_b32_e64 v18, v18, s0, vcc_lo
	s_add_co_i32 s0, s0, 1
	s_delay_alu instid0(SALU_CYCLE_1)
	s_cmp_lg_u32 s14, s0
	s_cbranch_scc1 .LBB8_24
.LBB8_25:
	s_wait_dscnt 0x0
	v_cmp_neq_f32_e32 vcc_lo, 0, v16
	v_cmp_neq_f32_e64 s0, 0, v17
	s_or_b32 s1, vcc_lo, s0
	s_delay_alu instid0(SALU_CYCLE_1)
	s_and_saveexec_b32 s0, s1
	s_cbranch_execz .LBB8_31
; %bb.26:
	v_cmp_ngt_f32_e64 s1, |v16|, |v17|
	s_and_saveexec_b32 s15, s1
	s_delay_alu instid0(SALU_CYCLE_1)
	s_xor_b32 s1, exec_lo, s15
	s_cbranch_execz .LBB8_28
; %bb.27:
	v_div_scale_f32 v23, null, v17, v17, v16
	v_div_scale_f32 v27, vcc_lo, v16, v17, v16
	s_delay_alu instid0(VALU_DEP_2) | instskip(SKIP_1) | instid1(TRANS32_DEP_1)
	v_rcp_f32_e32 v25, v23
	v_nop
	v_fma_f32 v26, -v23, v25, 1.0
	s_delay_alu instid0(VALU_DEP_1) | instskip(NEXT) | instid1(VALU_DEP_1)
	v_fmac_f32_e32 v25, v26, v25
	v_mul_f32_e32 v26, v27, v25
	s_delay_alu instid0(VALU_DEP_1) | instskip(NEXT) | instid1(VALU_DEP_1)
	v_fma_f32 v28, -v23, v26, v27
	v_fmac_f32_e32 v26, v28, v25
	s_delay_alu instid0(VALU_DEP_1) | instskip(NEXT) | instid1(VALU_DEP_1)
	v_fma_f32 v23, -v23, v26, v27
	v_div_fmas_f32 v23, v23, v25, v26
	s_delay_alu instid0(VALU_DEP_1) | instskip(NEXT) | instid1(VALU_DEP_1)
	v_div_fixup_f32 v23, v23, v17, v16
	v_fmac_f32_e32 v17, v16, v23
	s_delay_alu instid0(VALU_DEP_1) | instskip(SKIP_1) | instid1(VALU_DEP_2)
	v_div_scale_f32 v16, null, v17, v17, 1.0
	v_div_scale_f32 v27, vcc_lo, 1.0, v17, 1.0
	v_rcp_f32_e32 v25, v16
	v_nop
	s_delay_alu instid0(TRANS32_DEP_1) | instskip(NEXT) | instid1(VALU_DEP_1)
	v_fma_f32 v26, -v16, v25, 1.0
	v_fmac_f32_e32 v25, v26, v25
	s_delay_alu instid0(VALU_DEP_1) | instskip(NEXT) | instid1(VALU_DEP_1)
	v_mul_f32_e32 v26, v27, v25
	v_fma_f32 v28, -v16, v26, v27
	s_delay_alu instid0(VALU_DEP_1) | instskip(NEXT) | instid1(VALU_DEP_1)
	v_fmac_f32_e32 v26, v28, v25
	v_fma_f32 v16, -v16, v26, v27
	s_delay_alu instid0(VALU_DEP_1) | instskip(NEXT) | instid1(VALU_DEP_1)
	v_div_fmas_f32 v16, v16, v25, v26
	v_div_fixup_f32 v17, v16, v17, 1.0
	s_delay_alu instid0(VALU_DEP_1)
	v_mul_f32_e32 v16, v23, v17
	v_xor_b32_e32 v17, 0x80000000, v17
.LBB8_28:
	s_and_not1_saveexec_b32 s1, s1
	s_cbranch_execz .LBB8_30
; %bb.29:
	s_delay_alu instid0(VALU_DEP_1) | instskip(SKIP_1) | instid1(VALU_DEP_2)
	v_div_scale_f32 v23, null, v16, v16, v17
	v_div_scale_f32 v27, vcc_lo, v17, v16, v17
	v_rcp_f32_e32 v25, v23
	v_nop
	s_delay_alu instid0(TRANS32_DEP_1) | instskip(NEXT) | instid1(VALU_DEP_1)
	v_fma_f32 v26, -v23, v25, 1.0
	v_fmac_f32_e32 v25, v26, v25
	s_delay_alu instid0(VALU_DEP_1) | instskip(NEXT) | instid1(VALU_DEP_1)
	v_mul_f32_e32 v26, v27, v25
	v_fma_f32 v28, -v23, v26, v27
	s_delay_alu instid0(VALU_DEP_1) | instskip(NEXT) | instid1(VALU_DEP_1)
	v_fmac_f32_e32 v26, v28, v25
	v_fma_f32 v23, -v23, v26, v27
	s_delay_alu instid0(VALU_DEP_1) | instskip(NEXT) | instid1(VALU_DEP_1)
	v_div_fmas_f32 v23, v23, v25, v26
	v_div_fixup_f32 v23, v23, v16, v17
	s_delay_alu instid0(VALU_DEP_1) | instskip(NEXT) | instid1(VALU_DEP_1)
	v_fmac_f32_e32 v16, v17, v23
	v_div_scale_f32 v17, null, v16, v16, 1.0
	s_delay_alu instid0(VALU_DEP_1) | instskip(SKIP_1) | instid1(TRANS32_DEP_1)
	v_rcp_f32_e32 v25, v17
	v_nop
	v_fma_f32 v26, -v17, v25, 1.0
	s_delay_alu instid0(VALU_DEP_1) | instskip(SKIP_1) | instid1(VALU_DEP_1)
	v_fmac_f32_e32 v25, v26, v25
	v_div_scale_f32 v26, vcc_lo, 1.0, v16, 1.0
	v_mul_f32_e32 v27, v26, v25
	s_delay_alu instid0(VALU_DEP_1) | instskip(NEXT) | instid1(VALU_DEP_1)
	v_fma_f32 v28, -v17, v27, v26
	v_fmac_f32_e32 v27, v28, v25
	s_delay_alu instid0(VALU_DEP_1) | instskip(NEXT) | instid1(VALU_DEP_1)
	v_fma_f32 v17, -v17, v27, v26
	v_div_fmas_f32 v17, v17, v25, v27
	s_delay_alu instid0(VALU_DEP_1) | instskip(NEXT) | instid1(VALU_DEP_1)
	v_div_fixup_f32 v16, v17, v16, 1.0
	v_mul_f32_e64 v17, v23, -v16
.LBB8_30:
	s_or_b32 exec_lo, exec_lo, s1
	v_mov_b32_e32 v23, v24
.LBB8_31:
	s_or_b32 exec_lo, exec_lo, s0
	s_delay_alu instid0(SALU_CYCLE_1)
	s_mov_b32 s0, exec_lo
	v_cmpx_ne_u32_e64 v19, v18
	s_xor_b32 s0, exec_lo, s0
	s_cbranch_execz .LBB8_37
; %bb.32:
	s_mov_b32 s1, exec_lo
	v_cmpx_eq_u32_e32 1, v19
	s_cbranch_execz .LBB8_36
; %bb.33:
	v_cmp_ne_u32_e32 vcc_lo, 1, v18
	s_xor_b32 s15, s2, -1
	s_delay_alu instid0(SALU_CYCLE_1) | instskip(NEXT) | instid1(SALU_CYCLE_1)
	s_and_b32 s16, s15, vcc_lo
	s_and_saveexec_b32 s15, s16
	s_cbranch_execz .LBB8_35
; %bb.34:
	v_ashrrev_i32_e32 v19, 31, v18
	s_delay_alu instid0(VALU_DEP_1)
	v_lshl_add_u64 v[24:25], v[18:19], 2, v[14:15]
	s_clause 0x1
	global_load_b32 v19, v[24:25], off
	global_load_b32 v22, v[14:15], off offset:4
	s_wait_loadcnt 0x1
	global_store_b32 v[14:15], v19, off offset:4
	s_wait_loadcnt 0x0
	global_store_b32 v[24:25], v22, off
.LBB8_35:
	s_wait_xcnt 0x0
	s_or_b32 exec_lo, exec_lo, s15
	v_dual_mov_b32 v19, v18 :: v_dual_mov_b32 v22, v18
.LBB8_36:
	s_or_b32 exec_lo, exec_lo, s1
.LBB8_37:
	s_and_not1_saveexec_b32 s0, s0
	s_cbranch_execz .LBB8_39
; %bb.38:
	v_dual_mov_b32 v24, v6 :: v_dual_mov_b32 v25, v7
	v_dual_mov_b32 v26, v4 :: v_dual_mov_b32 v27, v5
	v_mov_b32_e32 v19, 1
	ds_store_2addr_b64 v20, v[24:25], v[26:27] offset0:2 offset1:3
	ds_store_b64 v20, v[10:11] offset:32
.LBB8_39:
	s_or_b32 exec_lo, exec_lo, s0
	s_delay_alu instid0(SALU_CYCLE_1)
	s_mov_b32 s0, exec_lo
	s_wait_storecnt_dscnt 0x0
	s_barrier_signal -1
	s_barrier_wait -1
	v_cmpx_lt_i32_e32 1, v19
	s_cbranch_execz .LBB8_41
; %bb.40:
	ds_load_2addr_b64 v[24:27], v20 offset0:2 offset1:3
	ds_load_b64 v[28:29], v20 offset:32
	v_pk_mul_f32 v[30:31], v[16:17], v[12:13] op_sel:[1,1] op_sel_hi:[0,1]
	s_delay_alu instid0(VALU_DEP_1) | instskip(SKIP_2) | instid1(VALU_DEP_2)
	v_pk_fma_f32 v[32:33], v[16:17], v[12:13], v[30:31] op_sel_hi:[1,0,1]
	v_pk_fma_f32 v[12:13], v[16:17], v[12:13], v[30:31] op_sel_hi:[1,0,1] neg_lo:[0,0,1] neg_hi:[0,0,1]
	s_wait_dscnt 0x1
	v_pk_mul_f32 v[16:17], v[24:25], v[32:33] op_sel:[0,1]
	v_pk_mul_f32 v[30:31], v[26:27], v[32:33] op_sel:[0,1]
	s_wait_dscnt 0x0
	v_pk_mul_f32 v[34:35], v[28:29], v[32:33] op_sel:[1,1] op_sel_hi:[0,1]
	s_delay_alu instid0(VALU_DEP_3) | instskip(SKIP_2) | instid1(VALU_DEP_4)
	v_pk_fma_f32 v[36:37], v[24:25], v[12:13], v[16:17] op_sel:[0,0,1] op_sel_hi:[1,1,0] neg_lo:[0,0,1] neg_hi:[0,0,1]
	v_pk_fma_f32 v[16:17], v[24:25], v[12:13], v[16:17] op_sel:[0,0,1] op_sel_hi:[1,0,0]
	v_pk_fma_f32 v[24:25], v[26:27], v[12:13], v[30:31] op_sel:[0,0,1] op_sel_hi:[1,0,0]
	v_pk_fma_f32 v[38:39], v[28:29], v[12:13], v[34:35] op_sel_hi:[1,0,1]
	v_pk_fma_f32 v[26:27], v[26:27], v[12:13], v[30:31] op_sel:[0,0,1] op_sel_hi:[1,1,0] neg_lo:[0,0,1] neg_hi:[0,0,1]
	v_pk_fma_f32 v[28:29], v[28:29], v[12:13], v[34:35] neg_lo:[0,0,1] neg_hi:[0,0,1]
	s_delay_alu instid0(VALU_DEP_4) | instskip(NEXT) | instid1(VALU_DEP_4)
	v_dual_mov_b32 v37, v17 :: v_dual_mov_b32 v27, v25
	v_dual_mov_b32 v29, v39 :: v_dual_mov_b32 v13, v33
	s_delay_alu instid0(VALU_DEP_2) | instskip(NEXT) | instid1(VALU_DEP_3)
	v_pk_add_f32 v[6:7], v[6:7], v[36:37] neg_lo:[0,1] neg_hi:[0,1]
	v_pk_add_f32 v[4:5], v[4:5], v[26:27] neg_lo:[0,1] neg_hi:[0,1]
	s_delay_alu instid0(VALU_DEP_3)
	v_pk_add_f32 v[10:11], v[10:11], v[28:29] neg_lo:[0,1] neg_hi:[0,1]
.LBB8_41:
	s_or_b32 exec_lo, exec_lo, s0
	v_lshl_add_u32 v16, v19, 3, v20
	s_barrier_signal -1
	s_barrier_wait -1
	ds_store_b64 v16, v[6:7]
	s_wait_dscnt 0x0
	s_barrier_signal -1
	s_barrier_wait -1
	ds_load_b64 v[16:17], v20 offset:16
	v_mov_b32_e32 v18, 2
	s_cmp_lt_i32 s14, 4
	s_mov_b32 s0, 3
	s_cbranch_scc1 .LBB8_44
; %bb.42:
	v_add3_u32 v24, v21, 0, 24
	v_mov_b32_e32 v18, 2
.LBB8_43:                               ; =>This Inner Loop Header: Depth=1
	ds_load_b64 v[26:27], v24
	s_wait_dscnt 0x1
	v_cmp_gt_f32_e32 vcc_lo, 0, v16
	v_cndmask_b32_e64 v28, v16, -v16, vcc_lo
	v_cmp_gt_f32_e32 vcc_lo, 0, v17
	v_cndmask_b32_e64 v30, v17, -v17, vcc_lo
	s_wait_dscnt 0x0
	v_cmp_gt_f32_e32 vcc_lo, 0, v26
	v_cndmask_b32_e64 v29, v26, -v26, vcc_lo
	v_cmp_gt_f32_e32 vcc_lo, 0, v27
	v_cndmask_b32_e64 v31, v27, -v27, vcc_lo
	s_delay_alu instid0(VALU_DEP_1) | instskip(NEXT) | instid1(VALU_DEP_1)
	v_pk_add_f32 v[28:29], v[28:29], v[30:31]
	v_cmp_lt_f32_e32 vcc_lo, v28, v29
	v_dual_cndmask_b32 v17, v17, v27 :: v_dual_add_nc_u32 v24, 8, v24
	v_cndmask_b32_e32 v16, v16, v26, vcc_lo
	v_cndmask_b32_e64 v18, v18, s0, vcc_lo
	s_add_co_i32 s0, s0, 1
	s_delay_alu instid0(SALU_CYCLE_1)
	s_cmp_lg_u32 s14, s0
	s_cbranch_scc1 .LBB8_43
.LBB8_44:
	s_wait_dscnt 0x0
	v_cmp_eq_f32_e32 vcc_lo, 0, v16
	v_cmp_eq_f32_e64 s0, 0, v17
	s_and_b32 s0, vcc_lo, s0
	s_delay_alu instid0(SALU_CYCLE_1) | instskip(NEXT) | instid1(SALU_CYCLE_1)
	s_and_saveexec_b32 s1, s0
	s_xor_b32 s0, exec_lo, s1
; %bb.45:
	v_cmp_ne_u32_e32 vcc_lo, 0, v23
	v_cndmask_b32_e32 v23, 3, v23, vcc_lo
; %bb.46:
	s_and_not1_saveexec_b32 s0, s0
	s_cbranch_execz .LBB8_52
; %bb.47:
	v_cmp_ngt_f32_e64 s1, |v16|, |v17|
	s_and_saveexec_b32 s15, s1
	s_delay_alu instid0(SALU_CYCLE_1)
	s_xor_b32 s1, exec_lo, s15
	s_cbranch_execz .LBB8_49
; %bb.48:
	v_div_scale_f32 v24, null, v17, v17, v16
	v_div_scale_f32 v27, vcc_lo, v16, v17, v16
	s_delay_alu instid0(VALU_DEP_2) | instskip(SKIP_1) | instid1(TRANS32_DEP_1)
	v_rcp_f32_e32 v25, v24
	v_nop
	v_fma_f32 v26, -v24, v25, 1.0
	s_delay_alu instid0(VALU_DEP_1) | instskip(NEXT) | instid1(VALU_DEP_1)
	v_fmac_f32_e32 v25, v26, v25
	v_mul_f32_e32 v26, v27, v25
	s_delay_alu instid0(VALU_DEP_1) | instskip(NEXT) | instid1(VALU_DEP_1)
	v_fma_f32 v28, -v24, v26, v27
	v_fmac_f32_e32 v26, v28, v25
	s_delay_alu instid0(VALU_DEP_1) | instskip(NEXT) | instid1(VALU_DEP_1)
	v_fma_f32 v24, -v24, v26, v27
	v_div_fmas_f32 v24, v24, v25, v26
	s_delay_alu instid0(VALU_DEP_1) | instskip(NEXT) | instid1(VALU_DEP_1)
	v_div_fixup_f32 v24, v24, v17, v16
	v_fmac_f32_e32 v17, v16, v24
	s_delay_alu instid0(VALU_DEP_1) | instskip(SKIP_1) | instid1(VALU_DEP_2)
	v_div_scale_f32 v16, null, v17, v17, 1.0
	v_div_scale_f32 v27, vcc_lo, 1.0, v17, 1.0
	v_rcp_f32_e32 v25, v16
	v_nop
	s_delay_alu instid0(TRANS32_DEP_1) | instskip(NEXT) | instid1(VALU_DEP_1)
	v_fma_f32 v26, -v16, v25, 1.0
	v_fmac_f32_e32 v25, v26, v25
	s_delay_alu instid0(VALU_DEP_1) | instskip(NEXT) | instid1(VALU_DEP_1)
	v_mul_f32_e32 v26, v27, v25
	v_fma_f32 v28, -v16, v26, v27
	s_delay_alu instid0(VALU_DEP_1) | instskip(NEXT) | instid1(VALU_DEP_1)
	v_fmac_f32_e32 v26, v28, v25
	v_fma_f32 v16, -v16, v26, v27
	s_delay_alu instid0(VALU_DEP_1) | instskip(NEXT) | instid1(VALU_DEP_1)
	v_div_fmas_f32 v16, v16, v25, v26
	v_div_fixup_f32 v17, v16, v17, 1.0
	s_delay_alu instid0(VALU_DEP_1)
	v_mul_f32_e32 v16, v24, v17
	v_xor_b32_e32 v17, 0x80000000, v17
.LBB8_49:
	s_and_not1_saveexec_b32 s1, s1
	s_cbranch_execz .LBB8_51
; %bb.50:
	s_delay_alu instid0(VALU_DEP_1) | instskip(SKIP_1) | instid1(VALU_DEP_2)
	v_div_scale_f32 v24, null, v16, v16, v17
	v_div_scale_f32 v27, vcc_lo, v17, v16, v17
	v_rcp_f32_e32 v25, v24
	v_nop
	s_delay_alu instid0(TRANS32_DEP_1) | instskip(NEXT) | instid1(VALU_DEP_1)
	v_fma_f32 v26, -v24, v25, 1.0
	v_fmac_f32_e32 v25, v26, v25
	s_delay_alu instid0(VALU_DEP_1) | instskip(NEXT) | instid1(VALU_DEP_1)
	v_mul_f32_e32 v26, v27, v25
	v_fma_f32 v28, -v24, v26, v27
	s_delay_alu instid0(VALU_DEP_1) | instskip(NEXT) | instid1(VALU_DEP_1)
	v_fmac_f32_e32 v26, v28, v25
	v_fma_f32 v24, -v24, v26, v27
	s_delay_alu instid0(VALU_DEP_1) | instskip(NEXT) | instid1(VALU_DEP_1)
	v_div_fmas_f32 v24, v24, v25, v26
	v_div_fixup_f32 v24, v24, v16, v17
	s_delay_alu instid0(VALU_DEP_1) | instskip(NEXT) | instid1(VALU_DEP_1)
	v_fmac_f32_e32 v16, v17, v24
	v_div_scale_f32 v17, null, v16, v16, 1.0
	s_delay_alu instid0(VALU_DEP_1) | instskip(SKIP_1) | instid1(TRANS32_DEP_1)
	v_rcp_f32_e32 v25, v17
	v_nop
	v_fma_f32 v26, -v17, v25, 1.0
	s_delay_alu instid0(VALU_DEP_1) | instskip(SKIP_1) | instid1(VALU_DEP_1)
	v_fmac_f32_e32 v25, v26, v25
	v_div_scale_f32 v26, vcc_lo, 1.0, v16, 1.0
	v_mul_f32_e32 v27, v26, v25
	s_delay_alu instid0(VALU_DEP_1) | instskip(NEXT) | instid1(VALU_DEP_1)
	v_fma_f32 v28, -v17, v27, v26
	v_fmac_f32_e32 v27, v28, v25
	s_delay_alu instid0(VALU_DEP_1) | instskip(NEXT) | instid1(VALU_DEP_1)
	v_fma_f32 v17, -v17, v27, v26
	v_div_fmas_f32 v17, v17, v25, v27
	s_delay_alu instid0(VALU_DEP_1) | instskip(NEXT) | instid1(VALU_DEP_1)
	v_div_fixup_f32 v16, v17, v16, 1.0
	v_mul_f32_e64 v17, v24, -v16
.LBB8_51:
	s_or_b32 exec_lo, exec_lo, s1
.LBB8_52:
	s_delay_alu instid0(SALU_CYCLE_1) | instskip(NEXT) | instid1(SALU_CYCLE_1)
	s_or_b32 exec_lo, exec_lo, s0
	s_mov_b32 s0, exec_lo
	v_cmpx_ne_u32_e64 v19, v18
	s_xor_b32 s0, exec_lo, s0
	s_cbranch_execz .LBB8_58
; %bb.53:
	s_mov_b32 s1, exec_lo
	v_cmpx_eq_u32_e32 2, v19
	s_cbranch_execz .LBB8_57
; %bb.54:
	v_cmp_ne_u32_e32 vcc_lo, 2, v18
	s_xor_b32 s15, s2, -1
	s_delay_alu instid0(SALU_CYCLE_1) | instskip(NEXT) | instid1(SALU_CYCLE_1)
	s_and_b32 s16, s15, vcc_lo
	s_and_saveexec_b32 s15, s16
	s_cbranch_execz .LBB8_56
; %bb.55:
	v_ashrrev_i32_e32 v19, 31, v18
	s_delay_alu instid0(VALU_DEP_1)
	v_lshl_add_u64 v[24:25], v[18:19], 2, v[14:15]
	s_clause 0x1
	global_load_b32 v19, v[24:25], off
	global_load_b32 v22, v[14:15], off offset:8
	s_wait_loadcnt 0x1
	global_store_b32 v[14:15], v19, off offset:8
	s_wait_loadcnt 0x0
	global_store_b32 v[24:25], v22, off
.LBB8_56:
	s_wait_xcnt 0x0
	s_or_b32 exec_lo, exec_lo, s15
	v_dual_mov_b32 v19, v18 :: v_dual_mov_b32 v22, v18
.LBB8_57:
	s_or_b32 exec_lo, exec_lo, s1
.LBB8_58:
	s_and_not1_saveexec_b32 s0, s0
; %bb.59:
	v_mov_b32_e32 v19, 2
	ds_store_2addr_b64 v20, v[4:5], v[10:11] offset0:3 offset1:4
; %bb.60:
	s_or_b32 exec_lo, exec_lo, s0
	s_delay_alu instid0(SALU_CYCLE_1)
	s_mov_b32 s0, exec_lo
	s_wait_storecnt_dscnt 0x0
	s_barrier_signal -1
	s_barrier_wait -1
	v_cmpx_lt_i32_e32 2, v19
	s_cbranch_execz .LBB8_62
; %bb.61:
	ds_load_2addr_b64 v[24:27], v20 offset0:3 offset1:4
	v_pk_mul_f32 v[28:29], v[16:17], v[6:7] op_sel:[1,1] op_sel_hi:[0,1]
	s_delay_alu instid0(VALU_DEP_1) | instskip(SKIP_3) | instid1(VALU_DEP_3)
	v_pk_fma_f32 v[30:31], v[16:17], v[6:7], v[28:29] op_sel_hi:[1,0,1]
	v_pk_fma_f32 v[6:7], v[16:17], v[6:7], v[28:29] op_sel_hi:[1,0,1] neg_lo:[0,0,1] neg_hi:[0,0,1]
	s_wait_dscnt 0x0
	v_dual_mov_b32 v32, v27 :: v_dual_mov_b32 v33, v26
	v_pk_mul_f32 v[16:17], v[24:25], v[30:31] op_sel:[0,1]
	s_delay_alu instid0(VALU_DEP_2) | instskip(NEXT) | instid1(VALU_DEP_2)
	v_pk_mul_f32 v[28:29], v[32:33], v[30:31] op_sel:[0,1]
	v_pk_fma_f32 v[32:33], v[24:25], v[6:7], v[16:17] op_sel:[0,0,1] op_sel_hi:[1,0,0]
	v_pk_fma_f32 v[16:17], v[24:25], v[6:7], v[16:17] op_sel:[0,0,1] op_sel_hi:[1,1,0] neg_lo:[0,0,1] neg_hi:[0,0,1]
	s_delay_alu instid0(VALU_DEP_3) | instskip(SKIP_1) | instid1(VALU_DEP_4)
	v_pk_fma_f32 v[34:35], v[26:27], v[6:7], v[28:29] op_sel_hi:[1,0,1]
	v_pk_fma_f32 v[24:25], v[26:27], v[6:7], v[28:29] neg_lo:[0,0,1] neg_hi:[0,0,1]
	v_dual_mov_b32 v17, v33 :: v_dual_mov_b32 v7, v31
	s_delay_alu instid0(VALU_DEP_3) | instskip(NEXT) | instid1(VALU_DEP_2)
	v_mov_b32_e32 v25, v35
	v_pk_add_f32 v[4:5], v[4:5], v[16:17] neg_lo:[0,1] neg_hi:[0,1]
	s_delay_alu instid0(VALU_DEP_2)
	v_pk_add_f32 v[10:11], v[10:11], v[24:25] neg_lo:[0,1] neg_hi:[0,1]
.LBB8_62:
	s_or_b32 exec_lo, exec_lo, s0
	v_lshl_add_u32 v16, v19, 3, v20
	s_barrier_signal -1
	s_barrier_wait -1
	ds_store_b64 v16, v[4:5]
	s_wait_dscnt 0x0
	s_barrier_signal -1
	s_barrier_wait -1
	ds_load_b64 v[16:17], v20 offset:24
	v_mov_b32_e32 v18, 3
	s_cmp_lt_i32 s14, 5
	s_cbranch_scc1 .LBB8_65
; %bb.63:
	v_mov_b32_e32 v18, 3
	v_add3_u32 v24, v21, 0, 32
	s_mov_b32 s0, 4
.LBB8_64:                               ; =>This Inner Loop Header: Depth=1
	ds_load_b64 v[26:27], v24
	s_wait_dscnt 0x1
	v_cmp_gt_f32_e32 vcc_lo, 0, v16
	v_cndmask_b32_e64 v28, v16, -v16, vcc_lo
	v_cmp_gt_f32_e32 vcc_lo, 0, v17
	v_cndmask_b32_e64 v30, v17, -v17, vcc_lo
	s_wait_dscnt 0x0
	v_cmp_gt_f32_e32 vcc_lo, 0, v26
	v_cndmask_b32_e64 v29, v26, -v26, vcc_lo
	v_cmp_gt_f32_e32 vcc_lo, 0, v27
	v_cndmask_b32_e64 v31, v27, -v27, vcc_lo
	s_delay_alu instid0(VALU_DEP_1) | instskip(NEXT) | instid1(VALU_DEP_1)
	v_pk_add_f32 v[28:29], v[28:29], v[30:31]
	v_cmp_lt_f32_e32 vcc_lo, v28, v29
	v_dual_cndmask_b32 v17, v17, v27 :: v_dual_add_nc_u32 v24, 8, v24
	v_cndmask_b32_e32 v16, v16, v26, vcc_lo
	v_cndmask_b32_e64 v18, v18, s0, vcc_lo
	s_add_co_i32 s0, s0, 1
	s_delay_alu instid0(SALU_CYCLE_1)
	s_cmp_lg_u32 s14, s0
	s_cbranch_scc1 .LBB8_64
.LBB8_65:
	s_wait_dscnt 0x0
	v_cmp_eq_f32_e32 vcc_lo, 0, v16
	v_cmp_eq_f32_e64 s0, 0, v17
	s_and_b32 s0, vcc_lo, s0
	s_delay_alu instid0(SALU_CYCLE_1) | instskip(NEXT) | instid1(SALU_CYCLE_1)
	s_and_saveexec_b32 s1, s0
	s_xor_b32 s0, exec_lo, s1
; %bb.66:
	v_cmp_ne_u32_e32 vcc_lo, 0, v23
	v_cndmask_b32_e32 v23, 4, v23, vcc_lo
; %bb.67:
	s_and_not1_saveexec_b32 s0, s0
	s_cbranch_execz .LBB8_73
; %bb.68:
	v_cmp_ngt_f32_e64 s1, |v16|, |v17|
	s_and_saveexec_b32 s15, s1
	s_delay_alu instid0(SALU_CYCLE_1)
	s_xor_b32 s1, exec_lo, s15
	s_cbranch_execz .LBB8_70
; %bb.69:
	v_div_scale_f32 v24, null, v17, v17, v16
	v_div_scale_f32 v27, vcc_lo, v16, v17, v16
	s_delay_alu instid0(VALU_DEP_2) | instskip(SKIP_1) | instid1(TRANS32_DEP_1)
	v_rcp_f32_e32 v25, v24
	v_nop
	v_fma_f32 v26, -v24, v25, 1.0
	s_delay_alu instid0(VALU_DEP_1) | instskip(NEXT) | instid1(VALU_DEP_1)
	v_fmac_f32_e32 v25, v26, v25
	v_mul_f32_e32 v26, v27, v25
	s_delay_alu instid0(VALU_DEP_1) | instskip(NEXT) | instid1(VALU_DEP_1)
	v_fma_f32 v28, -v24, v26, v27
	v_fmac_f32_e32 v26, v28, v25
	s_delay_alu instid0(VALU_DEP_1) | instskip(NEXT) | instid1(VALU_DEP_1)
	v_fma_f32 v24, -v24, v26, v27
	v_div_fmas_f32 v24, v24, v25, v26
	s_delay_alu instid0(VALU_DEP_1) | instskip(NEXT) | instid1(VALU_DEP_1)
	v_div_fixup_f32 v24, v24, v17, v16
	v_fmac_f32_e32 v17, v16, v24
	s_delay_alu instid0(VALU_DEP_1) | instskip(SKIP_1) | instid1(VALU_DEP_2)
	v_div_scale_f32 v16, null, v17, v17, 1.0
	v_div_scale_f32 v27, vcc_lo, 1.0, v17, 1.0
	v_rcp_f32_e32 v25, v16
	v_nop
	s_delay_alu instid0(TRANS32_DEP_1) | instskip(NEXT) | instid1(VALU_DEP_1)
	v_fma_f32 v26, -v16, v25, 1.0
	v_fmac_f32_e32 v25, v26, v25
	s_delay_alu instid0(VALU_DEP_1) | instskip(NEXT) | instid1(VALU_DEP_1)
	v_mul_f32_e32 v26, v27, v25
	v_fma_f32 v28, -v16, v26, v27
	s_delay_alu instid0(VALU_DEP_1) | instskip(NEXT) | instid1(VALU_DEP_1)
	v_fmac_f32_e32 v26, v28, v25
	v_fma_f32 v16, -v16, v26, v27
	s_delay_alu instid0(VALU_DEP_1) | instskip(NEXT) | instid1(VALU_DEP_1)
	v_div_fmas_f32 v16, v16, v25, v26
	v_div_fixup_f32 v17, v16, v17, 1.0
	s_delay_alu instid0(VALU_DEP_1)
	v_mul_f32_e32 v16, v24, v17
	v_xor_b32_e32 v17, 0x80000000, v17
.LBB8_70:
	s_and_not1_saveexec_b32 s1, s1
	s_cbranch_execz .LBB8_72
; %bb.71:
	s_delay_alu instid0(VALU_DEP_1) | instskip(SKIP_1) | instid1(VALU_DEP_2)
	v_div_scale_f32 v24, null, v16, v16, v17
	v_div_scale_f32 v27, vcc_lo, v17, v16, v17
	v_rcp_f32_e32 v25, v24
	v_nop
	s_delay_alu instid0(TRANS32_DEP_1) | instskip(NEXT) | instid1(VALU_DEP_1)
	v_fma_f32 v26, -v24, v25, 1.0
	v_fmac_f32_e32 v25, v26, v25
	s_delay_alu instid0(VALU_DEP_1) | instskip(NEXT) | instid1(VALU_DEP_1)
	v_mul_f32_e32 v26, v27, v25
	v_fma_f32 v28, -v24, v26, v27
	s_delay_alu instid0(VALU_DEP_1) | instskip(NEXT) | instid1(VALU_DEP_1)
	v_fmac_f32_e32 v26, v28, v25
	v_fma_f32 v24, -v24, v26, v27
	s_delay_alu instid0(VALU_DEP_1) | instskip(NEXT) | instid1(VALU_DEP_1)
	v_div_fmas_f32 v24, v24, v25, v26
	v_div_fixup_f32 v24, v24, v16, v17
	s_delay_alu instid0(VALU_DEP_1) | instskip(NEXT) | instid1(VALU_DEP_1)
	v_fmac_f32_e32 v16, v17, v24
	v_div_scale_f32 v17, null, v16, v16, 1.0
	s_delay_alu instid0(VALU_DEP_1) | instskip(SKIP_1) | instid1(TRANS32_DEP_1)
	v_rcp_f32_e32 v25, v17
	v_nop
	v_fma_f32 v26, -v17, v25, 1.0
	s_delay_alu instid0(VALU_DEP_1) | instskip(SKIP_1) | instid1(VALU_DEP_1)
	v_fmac_f32_e32 v25, v26, v25
	v_div_scale_f32 v26, vcc_lo, 1.0, v16, 1.0
	v_mul_f32_e32 v27, v26, v25
	s_delay_alu instid0(VALU_DEP_1) | instskip(NEXT) | instid1(VALU_DEP_1)
	v_fma_f32 v28, -v17, v27, v26
	v_fmac_f32_e32 v27, v28, v25
	s_delay_alu instid0(VALU_DEP_1) | instskip(NEXT) | instid1(VALU_DEP_1)
	v_fma_f32 v17, -v17, v27, v26
	v_div_fmas_f32 v17, v17, v25, v27
	s_delay_alu instid0(VALU_DEP_1) | instskip(NEXT) | instid1(VALU_DEP_1)
	v_div_fixup_f32 v16, v17, v16, 1.0
	v_mul_f32_e64 v17, v24, -v16
.LBB8_72:
	s_or_b32 exec_lo, exec_lo, s1
.LBB8_73:
	s_delay_alu instid0(SALU_CYCLE_1) | instskip(NEXT) | instid1(SALU_CYCLE_1)
	s_or_b32 exec_lo, exec_lo, s0
	s_mov_b32 s0, exec_lo
	v_cmpx_ne_u32_e64 v19, v18
	s_xor_b32 s0, exec_lo, s0
	s_cbranch_execz .LBB8_79
; %bb.74:
	s_mov_b32 s1, exec_lo
	v_cmpx_eq_u32_e32 3, v19
	s_cbranch_execz .LBB8_78
; %bb.75:
	v_cmp_ne_u32_e32 vcc_lo, 3, v18
	s_xor_b32 s15, s2, -1
	s_delay_alu instid0(SALU_CYCLE_1) | instskip(NEXT) | instid1(SALU_CYCLE_1)
	s_and_b32 s16, s15, vcc_lo
	s_and_saveexec_b32 s15, s16
	s_cbranch_execz .LBB8_77
; %bb.76:
	v_ashrrev_i32_e32 v19, 31, v18
	s_delay_alu instid0(VALU_DEP_1)
	v_lshl_add_u64 v[24:25], v[18:19], 2, v[14:15]
	s_clause 0x1
	global_load_b32 v19, v[24:25], off
	global_load_b32 v22, v[14:15], off offset:12
	s_wait_loadcnt 0x1
	global_store_b32 v[14:15], v19, off offset:12
	s_wait_loadcnt 0x0
	global_store_b32 v[24:25], v22, off
.LBB8_77:
	s_wait_xcnt 0x0
	s_or_b32 exec_lo, exec_lo, s15
	v_dual_mov_b32 v19, v18 :: v_dual_mov_b32 v22, v18
.LBB8_78:
	s_or_b32 exec_lo, exec_lo, s1
.LBB8_79:
	s_and_not1_saveexec_b32 s0, s0
; %bb.80:
	v_mov_b32_e32 v19, 3
	ds_store_b64 v20, v[10:11] offset:32
; %bb.81:
	s_or_b32 exec_lo, exec_lo, s0
	s_delay_alu instid0(SALU_CYCLE_1)
	s_mov_b32 s0, exec_lo
	s_wait_storecnt_dscnt 0x0
	s_barrier_signal -1
	s_barrier_wait -1
	v_cmpx_lt_i32_e32 3, v19
	s_cbranch_execz .LBB8_83
; %bb.82:
	ds_load_b64 v[24:25], v20 offset:32
	v_pk_mul_f32 v[26:27], v[16:17], v[4:5] op_sel:[1,1] op_sel_hi:[0,1]
	s_delay_alu instid0(VALU_DEP_1) | instskip(SKIP_2) | instid1(VALU_DEP_2)
	v_pk_fma_f32 v[28:29], v[16:17], v[4:5], v[26:27] op_sel_hi:[1,0,1]
	v_pk_fma_f32 v[4:5], v[16:17], v[4:5], v[26:27] op_sel_hi:[1,0,1] neg_lo:[0,0,1] neg_hi:[0,0,1]
	s_wait_dscnt 0x0
	v_pk_mul_f32 v[16:17], v[24:25], v[28:29] op_sel:[1,1] op_sel_hi:[0,1]
	s_delay_alu instid0(VALU_DEP_1) | instskip(SKIP_1) | instid1(VALU_DEP_2)
	v_pk_fma_f32 v[26:27], v[24:25], v[4:5], v[16:17] op_sel_hi:[1,0,1]
	v_pk_fma_f32 v[16:17], v[24:25], v[4:5], v[16:17] neg_lo:[0,0,1] neg_hi:[0,0,1]
	v_dual_mov_b32 v5, v29 :: v_dual_mov_b32 v17, v27
	s_delay_alu instid0(VALU_DEP_1)
	v_pk_add_f32 v[10:11], v[10:11], v[16:17] neg_lo:[0,1] neg_hi:[0,1]
.LBB8_83:
	s_or_b32 exec_lo, exec_lo, s0
	v_lshl_add_u32 v16, v19, 3, v20
	s_barrier_signal -1
	s_barrier_wait -1
	ds_store_b64 v16, v[10:11]
	s_wait_dscnt 0x0
	s_barrier_signal -1
	s_barrier_wait -1
	ds_load_b64 v[16:17], v20 offset:32
	v_mov_b32_e32 v18, 4
	s_cmp_lt_i32 s14, 6
	s_cbranch_scc1 .LBB8_86
; %bb.84:
	v_add3_u32 v20, v21, 0, 40
	v_mov_b32_e32 v18, 4
	s_mov_b32 s0, 5
.LBB8_85:                               ; =>This Inner Loop Header: Depth=1
	ds_load_b64 v[24:25], v20
	s_wait_dscnt 0x1
	v_cmp_gt_f32_e32 vcc_lo, 0, v16
	v_cndmask_b32_e64 v26, v16, -v16, vcc_lo
	v_cmp_gt_f32_e32 vcc_lo, 0, v17
	v_cndmask_b32_e64 v28, v17, -v17, vcc_lo
	s_wait_dscnt 0x0
	v_cmp_gt_f32_e32 vcc_lo, 0, v24
	v_cndmask_b32_e64 v27, v24, -v24, vcc_lo
	v_cmp_gt_f32_e32 vcc_lo, 0, v25
	v_cndmask_b32_e64 v29, v25, -v25, vcc_lo
	s_delay_alu instid0(VALU_DEP_1) | instskip(NEXT) | instid1(VALU_DEP_1)
	v_pk_add_f32 v[26:27], v[26:27], v[28:29]
	v_cmp_lt_f32_e32 vcc_lo, v26, v27
	v_dual_cndmask_b32 v17, v17, v25 :: v_dual_add_nc_u32 v20, 8, v20
	v_cndmask_b32_e32 v16, v16, v24, vcc_lo
	v_cndmask_b32_e64 v18, v18, s0, vcc_lo
	s_add_co_i32 s0, s0, 1
	s_delay_alu instid0(SALU_CYCLE_1)
	s_cmp_lg_u32 s14, s0
	s_cbranch_scc1 .LBB8_85
.LBB8_86:
	s_wait_dscnt 0x0
	v_cmp_eq_f32_e32 vcc_lo, 0, v16
	v_cmp_eq_f32_e64 s0, 0, v17
	s_and_b32 s0, vcc_lo, s0
	s_delay_alu instid0(SALU_CYCLE_1) | instskip(NEXT) | instid1(SALU_CYCLE_1)
	s_and_saveexec_b32 s1, s0
	s_xor_b32 s0, exec_lo, s1
; %bb.87:
	v_cmp_ne_u32_e32 vcc_lo, 0, v23
	v_cndmask_b32_e32 v23, 5, v23, vcc_lo
; %bb.88:
	s_and_not1_saveexec_b32 s0, s0
	s_cbranch_execz .LBB8_94
; %bb.89:
	v_cmp_ngt_f32_e64 s1, |v16|, |v17|
	s_and_saveexec_b32 s14, s1
	s_delay_alu instid0(SALU_CYCLE_1)
	s_xor_b32 s1, exec_lo, s14
	s_cbranch_execz .LBB8_91
; %bb.90:
	v_div_scale_f32 v20, null, v17, v17, v16
	v_div_scale_f32 v25, vcc_lo, v16, v17, v16
	s_delay_alu instid0(VALU_DEP_2) | instskip(SKIP_1) | instid1(TRANS32_DEP_1)
	v_rcp_f32_e32 v21, v20
	v_nop
	v_fma_f32 v24, -v20, v21, 1.0
	s_delay_alu instid0(VALU_DEP_1) | instskip(NEXT) | instid1(VALU_DEP_1)
	v_fmac_f32_e32 v21, v24, v21
	v_mul_f32_e32 v24, v25, v21
	s_delay_alu instid0(VALU_DEP_1) | instskip(NEXT) | instid1(VALU_DEP_1)
	v_fma_f32 v26, -v20, v24, v25
	v_fmac_f32_e32 v24, v26, v21
	s_delay_alu instid0(VALU_DEP_1) | instskip(NEXT) | instid1(VALU_DEP_1)
	v_fma_f32 v20, -v20, v24, v25
	v_div_fmas_f32 v20, v20, v21, v24
	s_delay_alu instid0(VALU_DEP_1) | instskip(NEXT) | instid1(VALU_DEP_1)
	v_div_fixup_f32 v20, v20, v17, v16
	v_fmac_f32_e32 v17, v16, v20
	s_delay_alu instid0(VALU_DEP_1) | instskip(SKIP_1) | instid1(VALU_DEP_2)
	v_div_scale_f32 v16, null, v17, v17, 1.0
	v_div_scale_f32 v25, vcc_lo, 1.0, v17, 1.0
	v_rcp_f32_e32 v21, v16
	v_nop
	s_delay_alu instid0(TRANS32_DEP_1) | instskip(NEXT) | instid1(VALU_DEP_1)
	v_fma_f32 v24, -v16, v21, 1.0
	v_fmac_f32_e32 v21, v24, v21
	s_delay_alu instid0(VALU_DEP_1) | instskip(NEXT) | instid1(VALU_DEP_1)
	v_mul_f32_e32 v24, v25, v21
	v_fma_f32 v26, -v16, v24, v25
	s_delay_alu instid0(VALU_DEP_1) | instskip(NEXT) | instid1(VALU_DEP_1)
	v_fmac_f32_e32 v24, v26, v21
	v_fma_f32 v16, -v16, v24, v25
	s_delay_alu instid0(VALU_DEP_1) | instskip(NEXT) | instid1(VALU_DEP_1)
	v_div_fmas_f32 v16, v16, v21, v24
	v_div_fixup_f32 v17, v16, v17, 1.0
	s_delay_alu instid0(VALU_DEP_1)
	v_mul_f32_e32 v16, v20, v17
	v_xor_b32_e32 v17, 0x80000000, v17
.LBB8_91:
	s_and_not1_saveexec_b32 s1, s1
	s_cbranch_execz .LBB8_93
; %bb.92:
	s_delay_alu instid0(VALU_DEP_1) | instskip(SKIP_1) | instid1(VALU_DEP_2)
	v_div_scale_f32 v20, null, v16, v16, v17
	v_div_scale_f32 v25, vcc_lo, v17, v16, v17
	v_rcp_f32_e32 v21, v20
	v_nop
	s_delay_alu instid0(TRANS32_DEP_1) | instskip(NEXT) | instid1(VALU_DEP_1)
	v_fma_f32 v24, -v20, v21, 1.0
	v_fmac_f32_e32 v21, v24, v21
	s_delay_alu instid0(VALU_DEP_1) | instskip(NEXT) | instid1(VALU_DEP_1)
	v_mul_f32_e32 v24, v25, v21
	v_fma_f32 v26, -v20, v24, v25
	s_delay_alu instid0(VALU_DEP_1) | instskip(NEXT) | instid1(VALU_DEP_1)
	v_fmac_f32_e32 v24, v26, v21
	v_fma_f32 v20, -v20, v24, v25
	s_delay_alu instid0(VALU_DEP_1) | instskip(NEXT) | instid1(VALU_DEP_1)
	v_div_fmas_f32 v20, v20, v21, v24
	v_div_fixup_f32 v20, v20, v16, v17
	s_delay_alu instid0(VALU_DEP_1) | instskip(NEXT) | instid1(VALU_DEP_1)
	v_fmac_f32_e32 v16, v17, v20
	v_div_scale_f32 v17, null, v16, v16, 1.0
	s_delay_alu instid0(VALU_DEP_1) | instskip(SKIP_1) | instid1(TRANS32_DEP_1)
	v_rcp_f32_e32 v21, v17
	v_nop
	v_fma_f32 v24, -v17, v21, 1.0
	s_delay_alu instid0(VALU_DEP_1) | instskip(SKIP_1) | instid1(VALU_DEP_1)
	v_fmac_f32_e32 v21, v24, v21
	v_div_scale_f32 v24, vcc_lo, 1.0, v16, 1.0
	v_mul_f32_e32 v25, v24, v21
	s_delay_alu instid0(VALU_DEP_1) | instskip(NEXT) | instid1(VALU_DEP_1)
	v_fma_f32 v26, -v17, v25, v24
	v_fmac_f32_e32 v25, v26, v21
	s_delay_alu instid0(VALU_DEP_1) | instskip(NEXT) | instid1(VALU_DEP_1)
	v_fma_f32 v17, -v17, v25, v24
	v_div_fmas_f32 v17, v17, v21, v25
	s_delay_alu instid0(VALU_DEP_1) | instskip(NEXT) | instid1(VALU_DEP_1)
	v_div_fixup_f32 v16, v17, v16, 1.0
	v_mul_f32_e64 v17, v20, -v16
.LBB8_93:
	s_or_b32 exec_lo, exec_lo, s1
.LBB8_94:
	s_delay_alu instid0(SALU_CYCLE_1)
	s_or_b32 exec_lo, exec_lo, s0
	v_mov_b32_e32 v20, 4
	s_mov_b32 s0, exec_lo
	v_cmpx_ne_u32_e64 v19, v18
	s_cbranch_execz .LBB8_100
; %bb.95:
	s_mov_b32 s1, exec_lo
	v_cmpx_eq_u32_e32 4, v19
	s_cbranch_execz .LBB8_99
; %bb.96:
	v_cmp_ne_u32_e32 vcc_lo, 4, v18
	s_xor_b32 s2, s2, -1
	s_delay_alu instid0(SALU_CYCLE_1) | instskip(NEXT) | instid1(SALU_CYCLE_1)
	s_and_b32 s14, s2, vcc_lo
	s_and_saveexec_b32 s2, s14
	s_cbranch_execz .LBB8_98
; %bb.97:
	v_ashrrev_i32_e32 v19, 31, v18
	s_delay_alu instid0(VALU_DEP_1)
	v_lshl_add_u64 v[20:21], v[18:19], 2, v[14:15]
	s_clause 0x1
	global_load_b32 v19, v[20:21], off
	global_load_b32 v22, v[14:15], off offset:16
	s_wait_loadcnt 0x1
	global_store_b32 v[14:15], v19, off offset:16
	s_wait_loadcnt 0x0
	global_store_b32 v[20:21], v22, off
.LBB8_98:
	s_wait_xcnt 0x0
	s_or_b32 exec_lo, exec_lo, s2
	v_dual_mov_b32 v19, v18 :: v_dual_mov_b32 v22, v18
.LBB8_99:
	s_or_b32 exec_lo, exec_lo, s1
	s_delay_alu instid0(VALU_DEP_1)
	v_mov_b32_e32 v20, v19
.LBB8_100:
	s_or_b32 exec_lo, exec_lo, s0
	s_delay_alu instid0(VALU_DEP_1)
	v_ashrrev_i32_e32 v21, 31, v20
	s_mov_b32 s0, exec_lo
	s_wait_storecnt 0x0
	s_barrier_signal -1
	s_barrier_wait -1
	s_barrier_signal -1
	s_barrier_wait -1
	v_cmpx_gt_i32_e32 5, v20
	s_cbranch_execz .LBB8_102
; %bb.101:
	v_mul_u64_e32 v[14:15], s[10:11], v[2:3]
	v_add3_u32 v18, v22, s3, 1
	s_delay_alu instid0(VALU_DEP_2) | instskip(NEXT) | instid1(VALU_DEP_1)
	v_lshl_add_u64 v[14:15], v[14:15], 2, s[6:7]
	v_lshl_add_u64 v[14:15], s[8:9], 2, v[14:15]
	s_delay_alu instid0(VALU_DEP_1)
	v_lshl_add_u64 v[14:15], v[20:21], 2, v[14:15]
	global_store_b32 v[14:15], v18, off
.LBB8_102:
	s_wait_xcnt 0x0
	s_or_b32 exec_lo, exec_lo, s0
	s_delay_alu instid0(SALU_CYCLE_1)
	s_mov_b32 s1, exec_lo
	v_cmpx_eq_u32_e32 0, v20
	s_cbranch_execz .LBB8_105
; %bb.103:
	s_wait_kmcnt 0x0
	v_lshl_add_u64 v[2:3], v[2:3], 2, s[12:13]
	v_cmp_ne_u32_e64 s0, 0, v23
	global_load_b32 v14, v[2:3], off
	s_wait_loadcnt 0x0
	v_cmp_eq_u32_e32 vcc_lo, 0, v14
	s_and_b32 s0, vcc_lo, s0
	s_wait_xcnt 0x0
	s_and_b32 exec_lo, exec_lo, s0
	s_cbranch_execz .LBB8_105
; %bb.104:
	v_add_nc_u32_e32 v14, s3, v23
	global_store_b32 v[2:3], v14, off
.LBB8_105:
	s_wait_xcnt 0x0
	s_or_b32 exec_lo, exec_lo, s1
	v_add3_u32 v2, s4, s4, v20
	v_pk_mul_f32 v[14:15], v[16:17], v[10:11] op_sel:[1,1] op_sel_hi:[0,1]
	v_cmp_lt_i32_e32 vcc_lo, 4, v20
	v_lshl_add_u64 v[20:21], v[20:21], 3, v[0:1]
	s_delay_alu instid0(VALU_DEP_3) | instskip(SKIP_2) | instid1(VALU_DEP_2)
	v_pk_fma_f32 v[22:23], v[16:17], v[10:11], v[14:15] op_sel_hi:[1,0,1]
	v_add_nc_u32_e32 v18, s4, v2
	v_pk_fma_f32 v[14:15], v[16:17], v[10:11], v[14:15] neg_lo:[0,0,1] neg_hi:[0,0,1]
	v_dual_cndmask_b32 v11, v11, v23 :: v_dual_add_nc_u32 v16, s4, v18
	v_ashrrev_i32_e32 v19, 31, v18
	v_ashrrev_i32_e32 v3, 31, v2
	s_delay_alu instid0(VALU_DEP_4) | instskip(SKIP_4) | instid1(VALU_DEP_3)
	v_cndmask_b32_e32 v10, v10, v14, vcc_lo
	v_lshl_add_u64 v[14:15], s[4:5], 3, v[20:21]
	v_ashrrev_i32_e32 v17, 31, v16
	v_lshl_add_u64 v[18:19], v[18:19], 3, v[0:1]
	v_lshl_add_u64 v[2:3], v[2:3], 3, v[0:1]
	;; [unrolled: 1-line block ×3, first 2 shown]
	s_clause 0x4
	global_store_b64 v[20:21], v[8:9], off
	global_store_b64 v[14:15], v[12:13], off
	;; [unrolled: 1-line block ×5, first 2 shown]
.LBB8_106:
	s_endpgm
	.section	.rodata,"a",@progbits
	.p2align	6, 0x0
	.amdhsa_kernel _ZN9rocsolver6v33100L18getf2_small_kernelILi5E19rocblas_complex_numIfEiiPS3_EEvT1_T3_lS5_lPS5_llPT2_S5_S5_S7_l
		.amdhsa_group_segment_fixed_size 0
		.amdhsa_private_segment_fixed_size 0
		.amdhsa_kernarg_size 352
		.amdhsa_user_sgpr_count 2
		.amdhsa_user_sgpr_dispatch_ptr 0
		.amdhsa_user_sgpr_queue_ptr 0
		.amdhsa_user_sgpr_kernarg_segment_ptr 1
		.amdhsa_user_sgpr_dispatch_id 0
		.amdhsa_user_sgpr_kernarg_preload_length 0
		.amdhsa_user_sgpr_kernarg_preload_offset 0
		.amdhsa_user_sgpr_private_segment_size 0
		.amdhsa_wavefront_size32 1
		.amdhsa_uses_dynamic_stack 0
		.amdhsa_enable_private_segment 0
		.amdhsa_system_sgpr_workgroup_id_x 1
		.amdhsa_system_sgpr_workgroup_id_y 1
		.amdhsa_system_sgpr_workgroup_id_z 0
		.amdhsa_system_sgpr_workgroup_info 0
		.amdhsa_system_vgpr_workitem_id 1
		.amdhsa_next_free_vgpr 46
		.amdhsa_next_free_sgpr 17
		.amdhsa_named_barrier_count 0
		.amdhsa_reserve_vcc 1
		.amdhsa_float_round_mode_32 0
		.amdhsa_float_round_mode_16_64 0
		.amdhsa_float_denorm_mode_32 3
		.amdhsa_float_denorm_mode_16_64 3
		.amdhsa_fp16_overflow 0
		.amdhsa_memory_ordered 1
		.amdhsa_forward_progress 1
		.amdhsa_inst_pref_size 47
		.amdhsa_round_robin_scheduling 0
		.amdhsa_exception_fp_ieee_invalid_op 0
		.amdhsa_exception_fp_denorm_src 0
		.amdhsa_exception_fp_ieee_div_zero 0
		.amdhsa_exception_fp_ieee_overflow 0
		.amdhsa_exception_fp_ieee_underflow 0
		.amdhsa_exception_fp_ieee_inexact 0
		.amdhsa_exception_int_div_zero 0
	.end_amdhsa_kernel
	.section	.text._ZN9rocsolver6v33100L18getf2_small_kernelILi5E19rocblas_complex_numIfEiiPS3_EEvT1_T3_lS5_lPS5_llPT2_S5_S5_S7_l,"axG",@progbits,_ZN9rocsolver6v33100L18getf2_small_kernelILi5E19rocblas_complex_numIfEiiPS3_EEvT1_T3_lS5_lPS5_llPT2_S5_S5_S7_l,comdat
.Lfunc_end8:
	.size	_ZN9rocsolver6v33100L18getf2_small_kernelILi5E19rocblas_complex_numIfEiiPS3_EEvT1_T3_lS5_lPS5_llPT2_S5_S5_S7_l, .Lfunc_end8-_ZN9rocsolver6v33100L18getf2_small_kernelILi5E19rocblas_complex_numIfEiiPS3_EEvT1_T3_lS5_lPS5_llPT2_S5_S5_S7_l
                                        ; -- End function
	.set _ZN9rocsolver6v33100L18getf2_small_kernelILi5E19rocblas_complex_numIfEiiPS3_EEvT1_T3_lS5_lPS5_llPT2_S5_S5_S7_l.num_vgpr, 46
	.set _ZN9rocsolver6v33100L18getf2_small_kernelILi5E19rocblas_complex_numIfEiiPS3_EEvT1_T3_lS5_lPS5_llPT2_S5_S5_S7_l.num_agpr, 0
	.set _ZN9rocsolver6v33100L18getf2_small_kernelILi5E19rocblas_complex_numIfEiiPS3_EEvT1_T3_lS5_lPS5_llPT2_S5_S5_S7_l.numbered_sgpr, 17
	.set _ZN9rocsolver6v33100L18getf2_small_kernelILi5E19rocblas_complex_numIfEiiPS3_EEvT1_T3_lS5_lPS5_llPT2_S5_S5_S7_l.num_named_barrier, 0
	.set _ZN9rocsolver6v33100L18getf2_small_kernelILi5E19rocblas_complex_numIfEiiPS3_EEvT1_T3_lS5_lPS5_llPT2_S5_S5_S7_l.private_seg_size, 0
	.set _ZN9rocsolver6v33100L18getf2_small_kernelILi5E19rocblas_complex_numIfEiiPS3_EEvT1_T3_lS5_lPS5_llPT2_S5_S5_S7_l.uses_vcc, 1
	.set _ZN9rocsolver6v33100L18getf2_small_kernelILi5E19rocblas_complex_numIfEiiPS3_EEvT1_T3_lS5_lPS5_llPT2_S5_S5_S7_l.uses_flat_scratch, 0
	.set _ZN9rocsolver6v33100L18getf2_small_kernelILi5E19rocblas_complex_numIfEiiPS3_EEvT1_T3_lS5_lPS5_llPT2_S5_S5_S7_l.has_dyn_sized_stack, 0
	.set _ZN9rocsolver6v33100L18getf2_small_kernelILi5E19rocblas_complex_numIfEiiPS3_EEvT1_T3_lS5_lPS5_llPT2_S5_S5_S7_l.has_recursion, 0
	.set _ZN9rocsolver6v33100L18getf2_small_kernelILi5E19rocblas_complex_numIfEiiPS3_EEvT1_T3_lS5_lPS5_llPT2_S5_S5_S7_l.has_indirect_call, 0
	.section	.AMDGPU.csdata,"",@progbits
; Kernel info:
; codeLenInByte = 6012
; TotalNumSgprs: 19
; NumVgprs: 46
; ScratchSize: 0
; MemoryBound: 0
; FloatMode: 240
; IeeeMode: 1
; LDSByteSize: 0 bytes/workgroup (compile time only)
; SGPRBlocks: 0
; VGPRBlocks: 2
; NumSGPRsForWavesPerEU: 19
; NumVGPRsForWavesPerEU: 46
; NamedBarCnt: 0
; Occupancy: 16
; WaveLimiterHint : 0
; COMPUTE_PGM_RSRC2:SCRATCH_EN: 0
; COMPUTE_PGM_RSRC2:USER_SGPR: 2
; COMPUTE_PGM_RSRC2:TRAP_HANDLER: 0
; COMPUTE_PGM_RSRC2:TGID_X_EN: 1
; COMPUTE_PGM_RSRC2:TGID_Y_EN: 1
; COMPUTE_PGM_RSRC2:TGID_Z_EN: 0
; COMPUTE_PGM_RSRC2:TIDIG_COMP_CNT: 1
	.section	.text._ZN9rocsolver6v33100L23getf2_npvt_small_kernelILi5E19rocblas_complex_numIfEiiPS3_EEvT1_T3_lS5_lPT2_S5_S5_,"axG",@progbits,_ZN9rocsolver6v33100L23getf2_npvt_small_kernelILi5E19rocblas_complex_numIfEiiPS3_EEvT1_T3_lS5_lPT2_S5_S5_,comdat
	.globl	_ZN9rocsolver6v33100L23getf2_npvt_small_kernelILi5E19rocblas_complex_numIfEiiPS3_EEvT1_T3_lS5_lPT2_S5_S5_ ; -- Begin function _ZN9rocsolver6v33100L23getf2_npvt_small_kernelILi5E19rocblas_complex_numIfEiiPS3_EEvT1_T3_lS5_lPT2_S5_S5_
	.p2align	8
	.type	_ZN9rocsolver6v33100L23getf2_npvt_small_kernelILi5E19rocblas_complex_numIfEiiPS3_EEvT1_T3_lS5_lPT2_S5_S5_,@function
_ZN9rocsolver6v33100L23getf2_npvt_small_kernelILi5E19rocblas_complex_numIfEiiPS3_EEvT1_T3_lS5_lPT2_S5_S5_: ; @_ZN9rocsolver6v33100L23getf2_npvt_small_kernelILi5E19rocblas_complex_numIfEiiPS3_EEvT1_T3_lS5_lPT2_S5_S5_
; %bb.0:
	s_clause 0x1
	s_load_u16 s8, s[0:1], 0x46
	s_load_b64 s[2:3], s[0:1], 0x30
	s_bfe_u32 s4, ttmp6, 0x40010
	s_bfe_u32 s5, ttmp6, 0x40004
	s_add_co_i32 s4, s4, 1
	s_getreg_b32 s6, hwreg(HW_REG_IB_STS2, 6, 4)
	s_mul_i32 s4, ttmp7, s4
	v_bfe_u32 v22, v0, 10, 10
	s_add_co_i32 s5, s5, s4
	s_cmp_eq_u32 s6, 0
	s_cselect_b32 s4, ttmp7, s5
	s_wait_kmcnt 0x0
	v_mad_u32 v2, s4, s8, v22
	s_delay_alu instid0(VALU_DEP_1)
	v_cmp_gt_i32_e32 vcc_lo, s2, v2
	s_and_saveexec_b32 s2, vcc_lo
	s_cbranch_execz .LBB9_48
; %bb.1:
	s_load_b128 s[4:7], s[0:1], 0x20
	v_ashrrev_i32_e32 v3, 31, v2
	v_and_b32_e32 v32, 0x3ff, v0
	s_mul_i32 s8, s8, 40
	v_lshlrev_b32_e32 v23, 3, v22
	v_mul_u32_u24_e32 v22, 40, v22
	s_delay_alu instid0(VALU_DEP_2) | instskip(NEXT) | instid1(VALU_DEP_2)
	v_add3_u32 v33, 0, s8, v23
	v_add_nc_u32_e32 v34, 0, v22
	s_wait_kmcnt 0x0
	v_mul_u64_e32 v[4:5], s[4:5], v[2:3]
	s_clause 0x1
	s_load_b32 s4, s[0:1], 0x18
	s_load_b128 s[12:15], s[0:1], 0x8
	s_wait_xcnt 0x0
	v_cmp_ne_u32_e64 s1, 0, v32
	v_cmp_eq_u32_e64 s0, 0, v32
	s_wait_kmcnt 0x0
	v_add3_u32 v6, s4, s4, v32
	s_ashr_i32 s5, s4, 31
	s_delay_alu instid0(VALU_DEP_1) | instskip(NEXT) | instid1(VALU_DEP_1)
	v_dual_add_nc_u32 v8, s4, v6 :: v_dual_ashrrev_i32 v7, 31, v6
	v_dual_add_nc_u32 v12, s4, v8 :: v_dual_ashrrev_i32 v9, 31, v8
	v_lshl_add_u64 v[0:1], v[4:5], 3, s[12:13]
	v_dual_mov_b32 v5, 0 :: v_dual_lshlrev_b32 v4, 3, v32
	s_delay_alu instid0(VALU_DEP_3) | instskip(NEXT) | instid1(VALU_DEP_3)
	v_ashrrev_i32_e32 v13, 31, v12
	v_lshl_add_u64 v[10:11], s[14:15], 3, v[0:1]
	s_delay_alu instid0(VALU_DEP_1) | instskip(SKIP_3) | instid1(VALU_DEP_4)
	v_add_nc_u64_e32 v[0:1], v[10:11], v[4:5]
	v_lshl_add_u64 v[6:7], v[6:7], 3, v[10:11]
	v_lshl_add_u64 v[8:9], v[8:9], 3, v[10:11]
	;; [unrolled: 1-line block ×4, first 2 shown]
	s_clause 0x4
	global_load_b64 v[12:13], v[0:1], off
	global_load_b64 v[20:21], v[4:5], off
	;; [unrolled: 1-line block ×5, first 2 shown]
	s_wait_xcnt 0x0
	s_and_saveexec_b32 s4, s0
	s_cbranch_execz .LBB9_8
; %bb.2:
	s_wait_loadcnt 0x4
	ds_store_b64 v33, v[12:13]
	s_wait_loadcnt 0x2
	ds_store_2addr_b64 v34, v[20:21], v[18:19] offset0:1 offset1:2
	s_wait_loadcnt 0x0
	ds_store_2addr_b64 v34, v[16:17], v[14:15] offset0:3 offset1:4
	ds_load_b64 v[22:23], v33
	s_wait_dscnt 0x0
	v_cmp_neq_f32_e32 vcc_lo, 0, v22
	v_cmp_neq_f32_e64 s2, 0, v23
	s_or_b32 s2, vcc_lo, s2
	s_delay_alu instid0(SALU_CYCLE_1)
	s_and_b32 exec_lo, exec_lo, s2
	s_cbranch_execz .LBB9_8
; %bb.3:
	v_cmp_ngt_f32_e64 s2, |v22|, |v23|
                                        ; implicit-def: $vgpr24_vgpr25
	s_and_saveexec_b32 s5, s2
	s_delay_alu instid0(SALU_CYCLE_1)
	s_xor_b32 s2, exec_lo, s5
	s_cbranch_execz .LBB9_5
; %bb.4:
	v_div_scale_f32 v24, null, v23, v23, v22
	v_div_scale_f32 v27, vcc_lo, v22, v23, v22
	s_delay_alu instid0(VALU_DEP_2) | instskip(SKIP_1) | instid1(TRANS32_DEP_1)
	v_rcp_f32_e32 v25, v24
	v_nop
	v_fma_f32 v26, -v24, v25, 1.0
	s_delay_alu instid0(VALU_DEP_1) | instskip(NEXT) | instid1(VALU_DEP_1)
	v_fmac_f32_e32 v25, v26, v25
	v_mul_f32_e32 v26, v27, v25
	s_delay_alu instid0(VALU_DEP_1) | instskip(NEXT) | instid1(VALU_DEP_1)
	v_fma_f32 v28, -v24, v26, v27
	v_fmac_f32_e32 v26, v28, v25
	s_delay_alu instid0(VALU_DEP_1) | instskip(NEXT) | instid1(VALU_DEP_1)
	v_fma_f32 v24, -v24, v26, v27
	v_div_fmas_f32 v24, v24, v25, v26
	s_delay_alu instid0(VALU_DEP_1) | instskip(NEXT) | instid1(VALU_DEP_1)
	v_div_fixup_f32 v24, v24, v23, v22
	v_fmac_f32_e32 v23, v22, v24
	s_delay_alu instid0(VALU_DEP_1) | instskip(SKIP_1) | instid1(VALU_DEP_2)
	v_div_scale_f32 v22, null, v23, v23, 1.0
	v_div_scale_f32 v27, vcc_lo, 1.0, v23, 1.0
	v_rcp_f32_e32 v25, v22
	v_nop
	s_delay_alu instid0(TRANS32_DEP_1) | instskip(NEXT) | instid1(VALU_DEP_1)
	v_fma_f32 v26, -v22, v25, 1.0
	v_fmac_f32_e32 v25, v26, v25
	s_delay_alu instid0(VALU_DEP_1) | instskip(NEXT) | instid1(VALU_DEP_1)
	v_mul_f32_e32 v26, v27, v25
	v_fma_f32 v28, -v22, v26, v27
	s_delay_alu instid0(VALU_DEP_1) | instskip(NEXT) | instid1(VALU_DEP_1)
	v_fmac_f32_e32 v26, v28, v25
	v_fma_f32 v22, -v22, v26, v27
	s_delay_alu instid0(VALU_DEP_1) | instskip(NEXT) | instid1(VALU_DEP_1)
	v_div_fmas_f32 v22, v22, v25, v26
	v_div_fixup_f32 v22, v22, v23, 1.0
	s_delay_alu instid0(VALU_DEP_1)
	v_mul_f32_e32 v24, v24, v22
	v_xor_b32_e32 v25, 0x80000000, v22
                                        ; implicit-def: $vgpr22_vgpr23
.LBB9_5:
	s_and_not1_saveexec_b32 s2, s2
	s_cbranch_execz .LBB9_7
; %bb.6:
	v_div_scale_f32 v24, null, v22, v22, v23
	v_div_scale_f32 v27, vcc_lo, v23, v22, v23
	s_delay_alu instid0(VALU_DEP_2) | instskip(SKIP_1) | instid1(TRANS32_DEP_1)
	v_rcp_f32_e32 v25, v24
	v_nop
	v_fma_f32 v26, -v24, v25, 1.0
	s_delay_alu instid0(VALU_DEP_1) | instskip(NEXT) | instid1(VALU_DEP_1)
	v_fmac_f32_e32 v25, v26, v25
	v_mul_f32_e32 v26, v27, v25
	s_delay_alu instid0(VALU_DEP_1) | instskip(NEXT) | instid1(VALU_DEP_1)
	v_fma_f32 v28, -v24, v26, v27
	v_fmac_f32_e32 v26, v28, v25
	s_delay_alu instid0(VALU_DEP_1) | instskip(NEXT) | instid1(VALU_DEP_1)
	v_fma_f32 v24, -v24, v26, v27
	v_div_fmas_f32 v24, v24, v25, v26
	s_delay_alu instid0(VALU_DEP_1) | instskip(NEXT) | instid1(VALU_DEP_1)
	v_div_fixup_f32 v25, v24, v22, v23
	v_fmac_f32_e32 v22, v23, v25
	s_delay_alu instid0(VALU_DEP_1) | instskip(NEXT) | instid1(VALU_DEP_1)
	v_div_scale_f32 v23, null, v22, v22, 1.0
	v_rcp_f32_e32 v24, v23
	v_nop
	s_delay_alu instid0(TRANS32_DEP_1) | instskip(NEXT) | instid1(VALU_DEP_1)
	v_fma_f32 v26, -v23, v24, 1.0
	v_fmac_f32_e32 v24, v26, v24
	v_div_scale_f32 v26, vcc_lo, 1.0, v22, 1.0
	s_delay_alu instid0(VALU_DEP_1) | instskip(NEXT) | instid1(VALU_DEP_1)
	v_mul_f32_e32 v27, v26, v24
	v_fma_f32 v28, -v23, v27, v26
	s_delay_alu instid0(VALU_DEP_1) | instskip(NEXT) | instid1(VALU_DEP_1)
	v_fmac_f32_e32 v27, v28, v24
	v_fma_f32 v23, -v23, v27, v26
	s_delay_alu instid0(VALU_DEP_1) | instskip(NEXT) | instid1(VALU_DEP_1)
	v_div_fmas_f32 v23, v23, v24, v27
	v_div_fixup_f32 v24, v23, v22, 1.0
	s_delay_alu instid0(VALU_DEP_1)
	v_mul_f32_e64 v25, v25, -v24
.LBB9_7:
	s_or_b32 exec_lo, exec_lo, s2
	ds_store_b64 v33, v[24:25]
.LBB9_8:
	s_or_b32 exec_lo, exec_lo, s4
	s_wait_loadcnt_dscnt 0x0
	s_barrier_signal -1
	s_barrier_wait -1
	ds_load_b64 v[22:23], v33
	s_and_saveexec_b32 s2, s1
	s_cbranch_execz .LBB9_10
; %bb.9:
	ds_load_2addr_b64 v[24:27], v34 offset0:1 offset1:2
	ds_load_2addr_b64 v[28:31], v34 offset0:3 offset1:4
	s_wait_dscnt 0x2
	v_pk_mul_f32 v[36:37], v[22:23], v[12:13] op_sel:[1,1] op_sel_hi:[0,1]
	s_delay_alu instid0(VALU_DEP_1) | instskip(SKIP_1) | instid1(VALU_DEP_1)
	v_pk_fma_f32 v[38:39], v[22:23], v[12:13], v[36:37] op_sel_hi:[1,0,1] neg_lo:[0,0,1] neg_hi:[0,0,1]
	v_pk_fma_f32 v[36:37], v[22:23], v[12:13], v[36:37] op_sel_hi:[1,0,1]
	v_dual_mov_b32 v12, v38 :: v_dual_mov_b32 v13, v37
	s_wait_dscnt 0x1
	s_delay_alu instid0(VALU_DEP_2)
	v_pk_mul_f32 v[40:41], v[24:25], v[36:37] op_sel:[0,1]
	s_wait_dscnt 0x0
	v_mov_b32_e32 v42, v31
	v_pk_mul_f32 v[44:45], v[26:27], v[36:37] op_sel:[0,1]
	v_pk_mul_f32 v[46:47], v[28:29], v[36:37] op_sel:[0,1]
	v_pk_fma_f32 v[48:49], v[24:25], v[38:39], v[40:41] op_sel:[0,0,1] op_sel_hi:[1,1,0] neg_lo:[0,0,1] neg_hi:[0,0,1]
	v_pk_fma_f32 v[24:25], v[24:25], v[38:39], v[40:41] op_sel:[0,0,1] op_sel_hi:[1,0,0]
	s_delay_alu instid0(VALU_DEP_1) | instskip(NEXT) | instid1(VALU_DEP_1)
	v_dual_mov_b32 v43, v30 :: v_dual_mov_b32 v49, v25
	v_pk_mul_f32 v[40:41], v[42:43], v[36:37] op_sel:[0,1]
	v_pk_fma_f32 v[42:43], v[26:27], v[38:39], v[44:45] op_sel:[0,0,1] op_sel_hi:[1,0,0]
	v_pk_fma_f32 v[26:27], v[26:27], v[38:39], v[44:45] op_sel:[0,0,1] op_sel_hi:[1,1,0] neg_lo:[0,0,1] neg_hi:[0,0,1]
	v_pk_fma_f32 v[44:45], v[28:29], v[38:39], v[46:47] op_sel:[0,0,1] op_sel_hi:[1,0,0]
	v_pk_fma_f32 v[28:29], v[28:29], v[38:39], v[46:47] op_sel:[0,0,1] op_sel_hi:[1,1,0] neg_lo:[0,0,1] neg_hi:[0,0,1]
	v_pk_fma_f32 v[24:25], v[30:31], v[38:39], v[40:41] op_sel_hi:[1,0,1]
	v_pk_fma_f32 v[30:31], v[30:31], v[38:39], v[40:41] neg_lo:[0,0,1] neg_hi:[0,0,1]
	s_delay_alu instid0(VALU_DEP_4) | instskip(SKIP_1) | instid1(VALU_DEP_4)
	v_dual_mov_b32 v27, v43 :: v_dual_mov_b32 v29, v45
	v_pk_add_f32 v[20:21], v[20:21], v[48:49] neg_lo:[0,1] neg_hi:[0,1]
	v_mov_b32_e32 v31, v25
	s_delay_alu instid0(VALU_DEP_3) | instskip(NEXT) | instid1(VALU_DEP_4)
	v_pk_add_f32 v[18:19], v[18:19], v[26:27] neg_lo:[0,1] neg_hi:[0,1]
	v_pk_add_f32 v[16:17], v[16:17], v[28:29] neg_lo:[0,1] neg_hi:[0,1]
	s_delay_alu instid0(VALU_DEP_3)
	v_pk_add_f32 v[14:15], v[14:15], v[30:31] neg_lo:[0,1] neg_hi:[0,1]
.LBB9_10:
	s_or_b32 exec_lo, exec_lo, s2
	s_delay_alu instid0(SALU_CYCLE_1)
	s_mov_b32 s2, exec_lo
	s_wait_dscnt 0x0
	s_barrier_signal -1
	s_barrier_wait -1
	v_cmpx_eq_u32_e32 1, v32
	s_cbranch_execz .LBB9_17
; %bb.11:
	v_dual_mov_b32 v24, v18 :: v_dual_mov_b32 v25, v19
	v_dual_mov_b32 v26, v16 :: v_dual_mov_b32 v27, v17
	ds_store_b64 v33, v[20:21]
	ds_store_2addr_b64 v34, v[24:25], v[26:27] offset0:2 offset1:3
	ds_store_b64 v34, v[14:15] offset:32
	ds_load_b64 v[24:25], v33
	s_wait_dscnt 0x0
	v_cmp_neq_f32_e32 vcc_lo, 0, v24
	v_cmp_neq_f32_e64 s1, 0, v25
	s_or_b32 s1, vcc_lo, s1
	s_delay_alu instid0(SALU_CYCLE_1)
	s_and_b32 exec_lo, exec_lo, s1
	s_cbranch_execz .LBB9_17
; %bb.12:
	v_cmp_ngt_f32_e64 s1, |v24|, |v25|
                                        ; implicit-def: $vgpr26_vgpr27
	s_and_saveexec_b32 s4, s1
	s_delay_alu instid0(SALU_CYCLE_1)
	s_xor_b32 s1, exec_lo, s4
	s_cbranch_execz .LBB9_14
; %bb.13:
	v_div_scale_f32 v26, null, v25, v25, v24
	v_div_scale_f32 v29, vcc_lo, v24, v25, v24
	s_delay_alu instid0(VALU_DEP_2) | instskip(SKIP_1) | instid1(TRANS32_DEP_1)
	v_rcp_f32_e32 v27, v26
	v_nop
	v_fma_f32 v28, -v26, v27, 1.0
	s_delay_alu instid0(VALU_DEP_1) | instskip(NEXT) | instid1(VALU_DEP_1)
	v_fmac_f32_e32 v27, v28, v27
	v_mul_f32_e32 v28, v29, v27
	s_delay_alu instid0(VALU_DEP_1) | instskip(NEXT) | instid1(VALU_DEP_1)
	v_fma_f32 v30, -v26, v28, v29
	v_fmac_f32_e32 v28, v30, v27
	s_delay_alu instid0(VALU_DEP_1) | instskip(NEXT) | instid1(VALU_DEP_1)
	v_fma_f32 v26, -v26, v28, v29
	v_div_fmas_f32 v26, v26, v27, v28
	s_delay_alu instid0(VALU_DEP_1) | instskip(NEXT) | instid1(VALU_DEP_1)
	v_div_fixup_f32 v26, v26, v25, v24
	v_fmac_f32_e32 v25, v24, v26
	s_delay_alu instid0(VALU_DEP_1) | instskip(SKIP_1) | instid1(VALU_DEP_2)
	v_div_scale_f32 v24, null, v25, v25, 1.0
	v_div_scale_f32 v29, vcc_lo, 1.0, v25, 1.0
	v_rcp_f32_e32 v27, v24
	v_nop
	s_delay_alu instid0(TRANS32_DEP_1) | instskip(NEXT) | instid1(VALU_DEP_1)
	v_fma_f32 v28, -v24, v27, 1.0
	v_fmac_f32_e32 v27, v28, v27
	s_delay_alu instid0(VALU_DEP_1) | instskip(NEXT) | instid1(VALU_DEP_1)
	v_mul_f32_e32 v28, v29, v27
	v_fma_f32 v30, -v24, v28, v29
	s_delay_alu instid0(VALU_DEP_1) | instskip(NEXT) | instid1(VALU_DEP_1)
	v_fmac_f32_e32 v28, v30, v27
	v_fma_f32 v24, -v24, v28, v29
	s_delay_alu instid0(VALU_DEP_1) | instskip(NEXT) | instid1(VALU_DEP_1)
	v_div_fmas_f32 v24, v24, v27, v28
	v_div_fixup_f32 v24, v24, v25, 1.0
	s_delay_alu instid0(VALU_DEP_1)
	v_mul_f32_e32 v26, v26, v24
	v_xor_b32_e32 v27, 0x80000000, v24
                                        ; implicit-def: $vgpr24_vgpr25
.LBB9_14:
	s_and_not1_saveexec_b32 s1, s1
	s_cbranch_execz .LBB9_16
; %bb.15:
	v_div_scale_f32 v26, null, v24, v24, v25
	v_div_scale_f32 v29, vcc_lo, v25, v24, v25
	s_delay_alu instid0(VALU_DEP_2) | instskip(SKIP_1) | instid1(TRANS32_DEP_1)
	v_rcp_f32_e32 v27, v26
	v_nop
	v_fma_f32 v28, -v26, v27, 1.0
	s_delay_alu instid0(VALU_DEP_1) | instskip(NEXT) | instid1(VALU_DEP_1)
	v_fmac_f32_e32 v27, v28, v27
	v_mul_f32_e32 v28, v29, v27
	s_delay_alu instid0(VALU_DEP_1) | instskip(NEXT) | instid1(VALU_DEP_1)
	v_fma_f32 v30, -v26, v28, v29
	v_fmac_f32_e32 v28, v30, v27
	s_delay_alu instid0(VALU_DEP_1) | instskip(NEXT) | instid1(VALU_DEP_1)
	v_fma_f32 v26, -v26, v28, v29
	v_div_fmas_f32 v26, v26, v27, v28
	s_delay_alu instid0(VALU_DEP_1) | instskip(NEXT) | instid1(VALU_DEP_1)
	v_div_fixup_f32 v27, v26, v24, v25
	v_fmac_f32_e32 v24, v25, v27
	s_delay_alu instid0(VALU_DEP_1) | instskip(NEXT) | instid1(VALU_DEP_1)
	v_div_scale_f32 v25, null, v24, v24, 1.0
	v_rcp_f32_e32 v26, v25
	v_nop
	s_delay_alu instid0(TRANS32_DEP_1) | instskip(NEXT) | instid1(VALU_DEP_1)
	v_fma_f32 v28, -v25, v26, 1.0
	v_fmac_f32_e32 v26, v28, v26
	v_div_scale_f32 v28, vcc_lo, 1.0, v24, 1.0
	s_delay_alu instid0(VALU_DEP_1) | instskip(NEXT) | instid1(VALU_DEP_1)
	v_mul_f32_e32 v29, v28, v26
	v_fma_f32 v30, -v25, v29, v28
	s_delay_alu instid0(VALU_DEP_1) | instskip(NEXT) | instid1(VALU_DEP_1)
	v_fmac_f32_e32 v29, v30, v26
	v_fma_f32 v25, -v25, v29, v28
	s_delay_alu instid0(VALU_DEP_1) | instskip(NEXT) | instid1(VALU_DEP_1)
	v_div_fmas_f32 v25, v25, v26, v29
	v_div_fixup_f32 v26, v25, v24, 1.0
	s_delay_alu instid0(VALU_DEP_1)
	v_mul_f32_e64 v27, v27, -v26
.LBB9_16:
	s_or_b32 exec_lo, exec_lo, s1
	ds_store_b64 v33, v[26:27]
.LBB9_17:
	s_or_b32 exec_lo, exec_lo, s2
	s_wait_dscnt 0x0
	s_barrier_signal -1
	s_barrier_wait -1
	ds_load_b64 v[24:25], v33
	s_mov_b32 s1, exec_lo
	v_cmpx_lt_u32_e32 1, v32
	s_cbranch_execz .LBB9_19
; %bb.18:
	ds_load_2addr_b64 v[26:29], v34 offset0:2 offset1:3
	ds_load_b64 v[30:31], v34 offset:32
	s_wait_dscnt 0x2
	v_pk_mul_f32 v[36:37], v[24:25], v[20:21] op_sel:[1,1] op_sel_hi:[0,1]
	s_delay_alu instid0(VALU_DEP_1) | instskip(SKIP_2) | instid1(VALU_DEP_2)
	v_pk_fma_f32 v[38:39], v[24:25], v[20:21], v[36:37] op_sel_hi:[1,0,1]
	v_pk_fma_f32 v[20:21], v[24:25], v[20:21], v[36:37] op_sel_hi:[1,0,1] neg_lo:[0,0,1] neg_hi:[0,0,1]
	s_wait_dscnt 0x1
	v_pk_mul_f32 v[36:37], v[26:27], v[38:39] op_sel:[0,1]
	v_pk_mul_f32 v[40:41], v[28:29], v[38:39] op_sel:[0,1]
	s_wait_dscnt 0x0
	v_pk_mul_f32 v[42:43], v[30:31], v[38:39] op_sel:[1,1] op_sel_hi:[0,1]
	s_delay_alu instid0(VALU_DEP_3) | instskip(SKIP_2) | instid1(VALU_DEP_4)
	v_pk_fma_f32 v[44:45], v[26:27], v[20:21], v[36:37] op_sel:[0,0,1] op_sel_hi:[1,1,0] neg_lo:[0,0,1] neg_hi:[0,0,1]
	v_pk_fma_f32 v[26:27], v[26:27], v[20:21], v[36:37] op_sel:[0,0,1] op_sel_hi:[1,0,0]
	v_pk_fma_f32 v[36:37], v[28:29], v[20:21], v[40:41] op_sel:[0,0,1] op_sel_hi:[1,0,0]
	v_pk_fma_f32 v[46:47], v[30:31], v[20:21], v[42:43] op_sel_hi:[1,0,1]
	v_pk_fma_f32 v[28:29], v[28:29], v[20:21], v[40:41] op_sel:[0,0,1] op_sel_hi:[1,1,0] neg_lo:[0,0,1] neg_hi:[0,0,1]
	v_pk_fma_f32 v[30:31], v[30:31], v[20:21], v[42:43] neg_lo:[0,0,1] neg_hi:[0,0,1]
	s_delay_alu instid0(VALU_DEP_4) | instskip(NEXT) | instid1(VALU_DEP_4)
	v_dual_mov_b32 v45, v27 :: v_dual_mov_b32 v29, v37
	v_dual_mov_b32 v31, v47 :: v_dual_mov_b32 v21, v39
	s_delay_alu instid0(VALU_DEP_2) | instskip(NEXT) | instid1(VALU_DEP_3)
	v_pk_add_f32 v[18:19], v[18:19], v[44:45] neg_lo:[0,1] neg_hi:[0,1]
	v_pk_add_f32 v[16:17], v[16:17], v[28:29] neg_lo:[0,1] neg_hi:[0,1]
	s_delay_alu instid0(VALU_DEP_3)
	v_pk_add_f32 v[14:15], v[14:15], v[30:31] neg_lo:[0,1] neg_hi:[0,1]
.LBB9_19:
	s_or_b32 exec_lo, exec_lo, s1
	s_delay_alu instid0(SALU_CYCLE_1)
	s_mov_b32 s2, exec_lo
	s_wait_dscnt 0x0
	s_barrier_signal -1
	s_barrier_wait -1
	v_cmpx_eq_u32_e32 2, v32
	s_cbranch_execz .LBB9_26
; %bb.20:
	ds_store_b64 v33, v[18:19]
	ds_store_2addr_b64 v34, v[16:17], v[14:15] offset0:3 offset1:4
	ds_load_b64 v[26:27], v33
	s_wait_dscnt 0x0
	v_cmp_neq_f32_e32 vcc_lo, 0, v26
	v_cmp_neq_f32_e64 s1, 0, v27
	s_or_b32 s1, vcc_lo, s1
	s_delay_alu instid0(SALU_CYCLE_1)
	s_and_b32 exec_lo, exec_lo, s1
	s_cbranch_execz .LBB9_26
; %bb.21:
	v_cmp_ngt_f32_e64 s1, |v26|, |v27|
                                        ; implicit-def: $vgpr28_vgpr29
	s_and_saveexec_b32 s4, s1
	s_delay_alu instid0(SALU_CYCLE_1)
	s_xor_b32 s1, exec_lo, s4
	s_cbranch_execz .LBB9_23
; %bb.22:
	v_div_scale_f32 v28, null, v27, v27, v26
	v_div_scale_f32 v31, vcc_lo, v26, v27, v26
	s_delay_alu instid0(VALU_DEP_2) | instskip(SKIP_1) | instid1(TRANS32_DEP_1)
	v_rcp_f32_e32 v29, v28
	v_nop
	v_fma_f32 v30, -v28, v29, 1.0
	s_delay_alu instid0(VALU_DEP_1) | instskip(NEXT) | instid1(VALU_DEP_1)
	v_fmac_f32_e32 v29, v30, v29
	v_mul_f32_e32 v30, v31, v29
	s_delay_alu instid0(VALU_DEP_1) | instskip(NEXT) | instid1(VALU_DEP_1)
	v_fma_f32 v35, -v28, v30, v31
	v_fmac_f32_e32 v30, v35, v29
	s_delay_alu instid0(VALU_DEP_1) | instskip(NEXT) | instid1(VALU_DEP_1)
	v_fma_f32 v28, -v28, v30, v31
	v_div_fmas_f32 v28, v28, v29, v30
	s_delay_alu instid0(VALU_DEP_1) | instskip(NEXT) | instid1(VALU_DEP_1)
	v_div_fixup_f32 v28, v28, v27, v26
	v_fmac_f32_e32 v27, v26, v28
	s_delay_alu instid0(VALU_DEP_1) | instskip(SKIP_1) | instid1(VALU_DEP_2)
	v_div_scale_f32 v26, null, v27, v27, 1.0
	v_div_scale_f32 v31, vcc_lo, 1.0, v27, 1.0
	v_rcp_f32_e32 v29, v26
	v_nop
	s_delay_alu instid0(TRANS32_DEP_1) | instskip(NEXT) | instid1(VALU_DEP_1)
	v_fma_f32 v30, -v26, v29, 1.0
	v_fmac_f32_e32 v29, v30, v29
	s_delay_alu instid0(VALU_DEP_1) | instskip(NEXT) | instid1(VALU_DEP_1)
	v_mul_f32_e32 v30, v31, v29
	v_fma_f32 v35, -v26, v30, v31
	s_delay_alu instid0(VALU_DEP_1) | instskip(NEXT) | instid1(VALU_DEP_1)
	v_fmac_f32_e32 v30, v35, v29
	v_fma_f32 v26, -v26, v30, v31
	s_delay_alu instid0(VALU_DEP_1) | instskip(NEXT) | instid1(VALU_DEP_1)
	v_div_fmas_f32 v26, v26, v29, v30
	v_div_fixup_f32 v26, v26, v27, 1.0
	s_delay_alu instid0(VALU_DEP_1)
	v_mul_f32_e32 v28, v28, v26
	v_xor_b32_e32 v29, 0x80000000, v26
                                        ; implicit-def: $vgpr26_vgpr27
.LBB9_23:
	s_and_not1_saveexec_b32 s1, s1
	s_cbranch_execz .LBB9_25
; %bb.24:
	v_div_scale_f32 v28, null, v26, v26, v27
	v_div_scale_f32 v31, vcc_lo, v27, v26, v27
	s_delay_alu instid0(VALU_DEP_2) | instskip(SKIP_1) | instid1(TRANS32_DEP_1)
	v_rcp_f32_e32 v29, v28
	v_nop
	v_fma_f32 v30, -v28, v29, 1.0
	s_delay_alu instid0(VALU_DEP_1) | instskip(NEXT) | instid1(VALU_DEP_1)
	v_fmac_f32_e32 v29, v30, v29
	v_mul_f32_e32 v30, v31, v29
	s_delay_alu instid0(VALU_DEP_1) | instskip(NEXT) | instid1(VALU_DEP_1)
	v_fma_f32 v35, -v28, v30, v31
	v_fmac_f32_e32 v30, v35, v29
	s_delay_alu instid0(VALU_DEP_1) | instskip(NEXT) | instid1(VALU_DEP_1)
	v_fma_f32 v28, -v28, v30, v31
	v_div_fmas_f32 v28, v28, v29, v30
	s_delay_alu instid0(VALU_DEP_1) | instskip(NEXT) | instid1(VALU_DEP_1)
	v_div_fixup_f32 v29, v28, v26, v27
	v_fmac_f32_e32 v26, v27, v29
	s_delay_alu instid0(VALU_DEP_1) | instskip(NEXT) | instid1(VALU_DEP_1)
	v_div_scale_f32 v27, null, v26, v26, 1.0
	v_rcp_f32_e32 v28, v27
	v_nop
	s_delay_alu instid0(TRANS32_DEP_1) | instskip(NEXT) | instid1(VALU_DEP_1)
	v_fma_f32 v30, -v27, v28, 1.0
	v_fmac_f32_e32 v28, v30, v28
	v_div_scale_f32 v30, vcc_lo, 1.0, v26, 1.0
	s_delay_alu instid0(VALU_DEP_1) | instskip(NEXT) | instid1(VALU_DEP_1)
	v_mul_f32_e32 v31, v30, v28
	v_fma_f32 v35, -v27, v31, v30
	s_delay_alu instid0(VALU_DEP_1) | instskip(NEXT) | instid1(VALU_DEP_1)
	v_fmac_f32_e32 v31, v35, v28
	v_fma_f32 v27, -v27, v31, v30
	s_delay_alu instid0(VALU_DEP_1) | instskip(NEXT) | instid1(VALU_DEP_1)
	v_div_fmas_f32 v27, v27, v28, v31
	v_div_fixup_f32 v28, v27, v26, 1.0
	s_delay_alu instid0(VALU_DEP_1)
	v_mul_f32_e64 v29, v29, -v28
.LBB9_25:
	s_or_b32 exec_lo, exec_lo, s1
	ds_store_b64 v33, v[28:29]
.LBB9_26:
	s_or_b32 exec_lo, exec_lo, s2
	s_wait_dscnt 0x0
	s_barrier_signal -1
	s_barrier_wait -1
	ds_load_b64 v[26:27], v33
	s_mov_b32 s1, exec_lo
	v_cmpx_lt_u32_e32 2, v32
	s_cbranch_execz .LBB9_28
; %bb.27:
	ds_load_2addr_b64 v[28:31], v34 offset0:3 offset1:4
	s_wait_dscnt 0x1
	v_pk_mul_f32 v[36:37], v[26:27], v[18:19] op_sel:[1,1] op_sel_hi:[0,1]
	s_delay_alu instid0(VALU_DEP_1) | instskip(SKIP_3) | instid1(VALU_DEP_3)
	v_pk_fma_f32 v[38:39], v[26:27], v[18:19], v[36:37] op_sel_hi:[1,0,1]
	v_pk_fma_f32 v[18:19], v[26:27], v[18:19], v[36:37] op_sel_hi:[1,0,1] neg_lo:[0,0,1] neg_hi:[0,0,1]
	s_wait_dscnt 0x0
	v_dual_mov_b32 v40, v31 :: v_dual_mov_b32 v41, v30
	v_pk_mul_f32 v[36:37], v[28:29], v[38:39] op_sel:[0,1]
	s_delay_alu instid0(VALU_DEP_2) | instskip(NEXT) | instid1(VALU_DEP_2)
	v_pk_mul_f32 v[40:41], v[40:41], v[38:39] op_sel:[0,1]
	v_pk_fma_f32 v[42:43], v[28:29], v[18:19], v[36:37] op_sel:[0,0,1] op_sel_hi:[1,0,0]
	v_pk_fma_f32 v[28:29], v[28:29], v[18:19], v[36:37] op_sel:[0,0,1] op_sel_hi:[1,1,0] neg_lo:[0,0,1] neg_hi:[0,0,1]
	s_delay_alu instid0(VALU_DEP_3) | instskip(SKIP_1) | instid1(VALU_DEP_4)
	v_pk_fma_f32 v[44:45], v[30:31], v[18:19], v[40:41] op_sel_hi:[1,0,1]
	v_pk_fma_f32 v[30:31], v[30:31], v[18:19], v[40:41] neg_lo:[0,0,1] neg_hi:[0,0,1]
	v_dual_mov_b32 v29, v43 :: v_dual_mov_b32 v19, v39
	s_delay_alu instid0(VALU_DEP_3) | instskip(NEXT) | instid1(VALU_DEP_2)
	v_mov_b32_e32 v31, v45
	v_pk_add_f32 v[16:17], v[16:17], v[28:29] neg_lo:[0,1] neg_hi:[0,1]
	s_delay_alu instid0(VALU_DEP_2)
	v_pk_add_f32 v[14:15], v[14:15], v[30:31] neg_lo:[0,1] neg_hi:[0,1]
.LBB9_28:
	s_or_b32 exec_lo, exec_lo, s1
	s_delay_alu instid0(SALU_CYCLE_1)
	s_mov_b32 s2, exec_lo
	s_wait_dscnt 0x0
	s_barrier_signal -1
	s_barrier_wait -1
	v_cmpx_eq_u32_e32 3, v32
	s_cbranch_execz .LBB9_35
; %bb.29:
	ds_store_b64 v33, v[16:17]
	ds_store_b64 v34, v[14:15] offset:32
	ds_load_b64 v[28:29], v33
	s_wait_dscnt 0x0
	v_cmp_neq_f32_e32 vcc_lo, 0, v28
	v_cmp_neq_f32_e64 s1, 0, v29
	s_or_b32 s1, vcc_lo, s1
	s_delay_alu instid0(SALU_CYCLE_1)
	s_and_b32 exec_lo, exec_lo, s1
	s_cbranch_execz .LBB9_35
; %bb.30:
	v_cmp_ngt_f32_e64 s1, |v28|, |v29|
                                        ; implicit-def: $vgpr30_vgpr31
	s_and_saveexec_b32 s4, s1
	s_delay_alu instid0(SALU_CYCLE_1)
	s_xor_b32 s1, exec_lo, s4
	s_cbranch_execz .LBB9_32
; %bb.31:
	v_div_scale_f32 v30, null, v29, v29, v28
	v_div_scale_f32 v36, vcc_lo, v28, v29, v28
	s_delay_alu instid0(VALU_DEP_2) | instskip(SKIP_1) | instid1(TRANS32_DEP_1)
	v_rcp_f32_e32 v31, v30
	v_nop
	v_fma_f32 v35, -v30, v31, 1.0
	s_delay_alu instid0(VALU_DEP_1) | instskip(NEXT) | instid1(VALU_DEP_1)
	v_fmac_f32_e32 v31, v35, v31
	v_mul_f32_e32 v35, v36, v31
	s_delay_alu instid0(VALU_DEP_1) | instskip(NEXT) | instid1(VALU_DEP_1)
	v_fma_f32 v37, -v30, v35, v36
	v_fmac_f32_e32 v35, v37, v31
	s_delay_alu instid0(VALU_DEP_1) | instskip(NEXT) | instid1(VALU_DEP_1)
	v_fma_f32 v30, -v30, v35, v36
	v_div_fmas_f32 v30, v30, v31, v35
	s_delay_alu instid0(VALU_DEP_1) | instskip(NEXT) | instid1(VALU_DEP_1)
	v_div_fixup_f32 v30, v30, v29, v28
	v_fmac_f32_e32 v29, v28, v30
	s_delay_alu instid0(VALU_DEP_1) | instskip(SKIP_1) | instid1(VALU_DEP_2)
	v_div_scale_f32 v28, null, v29, v29, 1.0
	v_div_scale_f32 v36, vcc_lo, 1.0, v29, 1.0
	v_rcp_f32_e32 v31, v28
	v_nop
	s_delay_alu instid0(TRANS32_DEP_1) | instskip(NEXT) | instid1(VALU_DEP_1)
	v_fma_f32 v35, -v28, v31, 1.0
	v_fmac_f32_e32 v31, v35, v31
	s_delay_alu instid0(VALU_DEP_1) | instskip(NEXT) | instid1(VALU_DEP_1)
	v_mul_f32_e32 v35, v36, v31
	v_fma_f32 v37, -v28, v35, v36
	s_delay_alu instid0(VALU_DEP_1) | instskip(NEXT) | instid1(VALU_DEP_1)
	v_fmac_f32_e32 v35, v37, v31
	v_fma_f32 v28, -v28, v35, v36
	s_delay_alu instid0(VALU_DEP_1) | instskip(NEXT) | instid1(VALU_DEP_1)
	v_div_fmas_f32 v28, v28, v31, v35
	v_div_fixup_f32 v28, v28, v29, 1.0
	s_delay_alu instid0(VALU_DEP_1)
	v_mul_f32_e32 v30, v30, v28
	v_xor_b32_e32 v31, 0x80000000, v28
                                        ; implicit-def: $vgpr28_vgpr29
.LBB9_32:
	s_and_not1_saveexec_b32 s1, s1
	s_cbranch_execz .LBB9_34
; %bb.33:
	v_div_scale_f32 v30, null, v28, v28, v29
	v_div_scale_f32 v36, vcc_lo, v29, v28, v29
	s_delay_alu instid0(VALU_DEP_2) | instskip(SKIP_1) | instid1(TRANS32_DEP_1)
	v_rcp_f32_e32 v31, v30
	v_nop
	v_fma_f32 v35, -v30, v31, 1.0
	s_delay_alu instid0(VALU_DEP_1) | instskip(NEXT) | instid1(VALU_DEP_1)
	v_fmac_f32_e32 v31, v35, v31
	v_mul_f32_e32 v35, v36, v31
	s_delay_alu instid0(VALU_DEP_1) | instskip(NEXT) | instid1(VALU_DEP_1)
	v_fma_f32 v37, -v30, v35, v36
	v_fmac_f32_e32 v35, v37, v31
	s_delay_alu instid0(VALU_DEP_1) | instskip(NEXT) | instid1(VALU_DEP_1)
	v_fma_f32 v30, -v30, v35, v36
	v_div_fmas_f32 v30, v30, v31, v35
	s_delay_alu instid0(VALU_DEP_1) | instskip(NEXT) | instid1(VALU_DEP_1)
	v_div_fixup_f32 v31, v30, v28, v29
	v_fmac_f32_e32 v28, v29, v31
	s_delay_alu instid0(VALU_DEP_1) | instskip(NEXT) | instid1(VALU_DEP_1)
	v_div_scale_f32 v29, null, v28, v28, 1.0
	v_rcp_f32_e32 v30, v29
	v_nop
	s_delay_alu instid0(TRANS32_DEP_1) | instskip(NEXT) | instid1(VALU_DEP_1)
	v_fma_f32 v35, -v29, v30, 1.0
	v_fmac_f32_e32 v30, v35, v30
	v_div_scale_f32 v35, vcc_lo, 1.0, v28, 1.0
	s_delay_alu instid0(VALU_DEP_1) | instskip(NEXT) | instid1(VALU_DEP_1)
	v_mul_f32_e32 v36, v35, v30
	v_fma_f32 v37, -v29, v36, v35
	s_delay_alu instid0(VALU_DEP_1) | instskip(NEXT) | instid1(VALU_DEP_1)
	v_fmac_f32_e32 v36, v37, v30
	v_fma_f32 v29, -v29, v36, v35
	s_delay_alu instid0(VALU_DEP_1) | instskip(NEXT) | instid1(VALU_DEP_1)
	v_div_fmas_f32 v29, v29, v30, v36
	v_div_fixup_f32 v30, v29, v28, 1.0
	s_delay_alu instid0(VALU_DEP_1)
	v_mul_f32_e64 v31, v31, -v30
.LBB9_34:
	s_or_b32 exec_lo, exec_lo, s1
	ds_store_b64 v33, v[30:31]
.LBB9_35:
	s_or_b32 exec_lo, exec_lo, s2
	s_wait_dscnt 0x0
	s_barrier_signal -1
	s_barrier_wait -1
	ds_load_b64 v[28:29], v33
	s_mov_b32 s1, exec_lo
	v_cmpx_lt_u32_e32 3, v32
	s_cbranch_execz .LBB9_37
; %bb.36:
	ds_load_b64 v[30:31], v34 offset:32
	s_wait_dscnt 0x1
	v_pk_mul_f32 v[34:35], v[28:29], v[16:17] op_sel:[1,1] op_sel_hi:[0,1]
	s_delay_alu instid0(VALU_DEP_1) | instskip(SKIP_2) | instid1(VALU_DEP_2)
	v_pk_fma_f32 v[36:37], v[28:29], v[16:17], v[34:35] op_sel_hi:[1,0,1]
	v_pk_fma_f32 v[16:17], v[28:29], v[16:17], v[34:35] op_sel_hi:[1,0,1] neg_lo:[0,0,1] neg_hi:[0,0,1]
	s_wait_dscnt 0x0
	v_pk_mul_f32 v[34:35], v[30:31], v[36:37] op_sel:[1,1] op_sel_hi:[0,1]
	s_delay_alu instid0(VALU_DEP_1) | instskip(SKIP_1) | instid1(VALU_DEP_2)
	v_pk_fma_f32 v[38:39], v[30:31], v[16:17], v[34:35] op_sel_hi:[1,0,1]
	v_pk_fma_f32 v[30:31], v[30:31], v[16:17], v[34:35] neg_lo:[0,0,1] neg_hi:[0,0,1]
	v_dual_mov_b32 v17, v37 :: v_dual_mov_b32 v31, v39
	s_delay_alu instid0(VALU_DEP_1)
	v_pk_add_f32 v[14:15], v[14:15], v[30:31] neg_lo:[0,1] neg_hi:[0,1]
.LBB9_37:
	s_or_b32 exec_lo, exec_lo, s1
	s_delay_alu instid0(SALU_CYCLE_1)
	s_mov_b32 s2, exec_lo
	s_wait_dscnt 0x0
	s_barrier_signal -1
	s_barrier_wait -1
	v_cmpx_eq_u32_e32 4, v32
	s_cbranch_execz .LBB9_44
; %bb.38:
	v_cmp_neq_f32_e32 vcc_lo, 0, v14
	v_cmp_neq_f32_e64 s1, 0, v15
	ds_store_b64 v33, v[14:15]
	s_or_b32 s1, vcc_lo, s1
	s_delay_alu instid0(SALU_CYCLE_1)
	s_and_b32 exec_lo, exec_lo, s1
	s_cbranch_execz .LBB9_44
; %bb.39:
	v_cmp_ngt_f32_e64 s1, |v14|, |v15|
                                        ; implicit-def: $vgpr30_vgpr31
	s_and_saveexec_b32 s4, s1
	s_delay_alu instid0(SALU_CYCLE_1)
	s_xor_b32 s1, exec_lo, s4
	s_cbranch_execz .LBB9_41
; %bb.40:
	v_div_scale_f32 v30, null, v15, v15, v14
	v_div_scale_f32 v35, vcc_lo, v14, v15, v14
	s_delay_alu instid0(VALU_DEP_2) | instskip(SKIP_1) | instid1(TRANS32_DEP_1)
	v_rcp_f32_e32 v31, v30
	v_nop
	v_fma_f32 v34, -v30, v31, 1.0
	s_delay_alu instid0(VALU_DEP_1) | instskip(NEXT) | instid1(VALU_DEP_1)
	v_fmac_f32_e32 v31, v34, v31
	v_mul_f32_e32 v34, v35, v31
	s_delay_alu instid0(VALU_DEP_1) | instskip(NEXT) | instid1(VALU_DEP_1)
	v_fma_f32 v36, -v30, v34, v35
	v_fmac_f32_e32 v34, v36, v31
	s_delay_alu instid0(VALU_DEP_1) | instskip(NEXT) | instid1(VALU_DEP_1)
	v_fma_f32 v30, -v30, v34, v35
	v_div_fmas_f32 v30, v30, v31, v34
	s_delay_alu instid0(VALU_DEP_1) | instskip(NEXT) | instid1(VALU_DEP_1)
	v_div_fixup_f32 v30, v30, v15, v14
	v_fma_f32 v31, v14, v30, v15
	s_delay_alu instid0(VALU_DEP_1) | instskip(SKIP_1) | instid1(VALU_DEP_2)
	v_div_scale_f32 v34, null, v31, v31, 1.0
	v_div_scale_f32 v37, vcc_lo, 1.0, v31, 1.0
	v_rcp_f32_e32 v35, v34
	v_nop
	s_delay_alu instid0(TRANS32_DEP_1) | instskip(NEXT) | instid1(VALU_DEP_1)
	v_fma_f32 v36, -v34, v35, 1.0
	v_fmac_f32_e32 v35, v36, v35
	s_delay_alu instid0(VALU_DEP_1) | instskip(NEXT) | instid1(VALU_DEP_1)
	v_mul_f32_e32 v36, v37, v35
	v_fma_f32 v38, -v34, v36, v37
	s_delay_alu instid0(VALU_DEP_1) | instskip(NEXT) | instid1(VALU_DEP_1)
	v_fmac_f32_e32 v36, v38, v35
	v_fma_f32 v34, -v34, v36, v37
	s_delay_alu instid0(VALU_DEP_1) | instskip(NEXT) | instid1(VALU_DEP_1)
	v_div_fmas_f32 v34, v34, v35, v36
	v_div_fixup_f32 v31, v34, v31, 1.0
	s_delay_alu instid0(VALU_DEP_1)
	v_mul_f32_e32 v30, v30, v31
	v_xor_b32_e32 v31, 0x80000000, v31
.LBB9_41:
	s_and_not1_saveexec_b32 s1, s1
	s_cbranch_execz .LBB9_43
; %bb.42:
	v_div_scale_f32 v30, null, v14, v14, v15
	v_div_scale_f32 v35, vcc_lo, v15, v14, v15
	s_delay_alu instid0(VALU_DEP_2) | instskip(SKIP_1) | instid1(TRANS32_DEP_1)
	v_rcp_f32_e32 v31, v30
	v_nop
	v_fma_f32 v34, -v30, v31, 1.0
	s_delay_alu instid0(VALU_DEP_1) | instskip(NEXT) | instid1(VALU_DEP_1)
	v_fmac_f32_e32 v31, v34, v31
	v_mul_f32_e32 v34, v35, v31
	s_delay_alu instid0(VALU_DEP_1) | instskip(NEXT) | instid1(VALU_DEP_1)
	v_fma_f32 v36, -v30, v34, v35
	v_fmac_f32_e32 v34, v36, v31
	s_delay_alu instid0(VALU_DEP_1) | instskip(NEXT) | instid1(VALU_DEP_1)
	v_fma_f32 v30, -v30, v34, v35
	v_div_fmas_f32 v30, v30, v31, v34
	s_delay_alu instid0(VALU_DEP_1) | instskip(NEXT) | instid1(VALU_DEP_1)
	v_div_fixup_f32 v31, v30, v14, v15
	v_fma_f32 v30, v15, v31, v14
	s_delay_alu instid0(VALU_DEP_1) | instskip(NEXT) | instid1(VALU_DEP_1)
	v_div_scale_f32 v34, null, v30, v30, 1.0
	v_rcp_f32_e32 v35, v34
	v_nop
	s_delay_alu instid0(TRANS32_DEP_1) | instskip(NEXT) | instid1(VALU_DEP_1)
	v_fma_f32 v36, -v34, v35, 1.0
	v_fmac_f32_e32 v35, v36, v35
	v_div_scale_f32 v36, vcc_lo, 1.0, v30, 1.0
	s_delay_alu instid0(VALU_DEP_1) | instskip(NEXT) | instid1(VALU_DEP_1)
	v_mul_f32_e32 v37, v36, v35
	v_fma_f32 v38, -v34, v37, v36
	s_delay_alu instid0(VALU_DEP_1) | instskip(NEXT) | instid1(VALU_DEP_1)
	v_fmac_f32_e32 v37, v38, v35
	v_fma_f32 v34, -v34, v37, v36
	s_delay_alu instid0(VALU_DEP_1) | instskip(NEXT) | instid1(VALU_DEP_1)
	v_div_fmas_f32 v34, v34, v35, v37
	v_div_fixup_f32 v30, v34, v30, 1.0
	s_delay_alu instid0(VALU_DEP_1)
	v_mul_f32_e64 v31, v31, -v30
.LBB9_43:
	s_or_b32 exec_lo, exec_lo, s1
	ds_store_b64 v33, v[30:31]
.LBB9_44:
	s_or_b32 exec_lo, exec_lo, s2
	s_wait_dscnt 0x0
	s_barrier_signal -1
	s_barrier_wait -1
	ds_load_b64 v[30:31], v33
	s_wait_dscnt 0x0
	s_barrier_signal -1
	s_barrier_wait -1
	s_and_saveexec_b32 s4, s0
	s_cbranch_execz .LBB9_47
; %bb.45:
	v_lshl_add_u64 v[2:3], v[2:3], 2, s[6:7]
	v_cmp_eq_f32_e32 vcc_lo, 0, v22
	v_cmp_eq_f32_e64 s0, 0, v23
	v_cmp_neq_f32_e64 s1, 0, v24
	v_cmp_neq_f32_e64 s2, 0, v25
	global_load_b32 v33, v[2:3], off
	s_and_b32 s0, vcc_lo, s0
	s_delay_alu instid0(SALU_CYCLE_1) | instskip(SKIP_1) | instid1(SALU_CYCLE_1)
	v_cndmask_b32_e64 v22, 0, 1, s0
	s_or_b32 s1, s1, s2
	s_or_b32 vcc_lo, s1, s0
	v_cmp_eq_f32_e64 s0, 0, v27
	s_delay_alu instid0(VALU_DEP_2) | instskip(SKIP_1) | instid1(VALU_DEP_2)
	v_cndmask_b32_e32 v22, 2, v22, vcc_lo
	v_cmp_eq_f32_e32 vcc_lo, 0, v26
	v_cmp_eq_u32_e64 s1, 0, v22
	s_and_b32 s0, vcc_lo, s0
	v_cmp_eq_f32_e32 vcc_lo, 0, v28
	s_and_b32 s0, s0, s1
	s_delay_alu instid0(SALU_CYCLE_1) | instskip(SKIP_1) | instid1(VALU_DEP_2)
	v_cndmask_b32_e64 v22, v22, 3, s0
	v_cmp_eq_f32_e64 s0, 0, v29
	v_cmp_eq_u32_e64 s1, 0, v22
	s_and_b32 s0, vcc_lo, s0
	v_cmp_eq_f32_e32 vcc_lo, 0, v30
	s_and_b32 s0, s0, s1
	s_delay_alu instid0(SALU_CYCLE_1) | instskip(SKIP_1) | instid1(VALU_DEP_2)
	v_cndmask_b32_e64 v22, v22, 4, s0
	v_cmp_eq_f32_e64 s0, 0, v31
	v_cmp_eq_u32_e64 s1, 0, v22
	s_and_b32 s0, vcc_lo, s0
	s_delay_alu instid0(SALU_CYCLE_1) | instskip(NEXT) | instid1(SALU_CYCLE_1)
	s_and_b32 s0, s0, s1
	v_cndmask_b32_e64 v22, v22, 5, s0
	s_delay_alu instid0(VALU_DEP_1) | instskip(SKIP_3) | instid1(SALU_CYCLE_1)
	v_cmp_ne_u32_e64 s0, 0, v22
	s_wait_loadcnt 0x0
	v_cmp_eq_u32_e32 vcc_lo, 0, v33
	s_and_b32 s0, vcc_lo, s0
	s_and_b32 exec_lo, exec_lo, s0
	s_cbranch_execz .LBB9_47
; %bb.46:
	v_add_nc_u32_e32 v22, s3, v22
	global_store_b32 v[2:3], v22, off
.LBB9_47:
	s_wait_xcnt 0x0
	s_or_b32 exec_lo, exec_lo, s4
	v_pk_mul_f32 v[2:3], v[30:31], v[14:15] op_sel:[1,1] op_sel_hi:[0,1]
	v_cmp_lt_u32_e32 vcc_lo, 4, v32
	s_delay_alu instid0(VALU_DEP_2) | instskip(SKIP_1) | instid1(VALU_DEP_1)
	v_pk_fma_f32 v[22:23], v[30:31], v[14:15], v[2:3] neg_lo:[0,0,1] neg_hi:[0,0,1]
	v_pk_fma_f32 v[2:3], v[30:31], v[14:15], v[2:3] op_sel_hi:[1,0,1]
	v_dual_cndmask_b32 v2, v14, v22 :: v_dual_cndmask_b32 v3, v15, v3
	s_clause 0x4
	global_store_b64 v[0:1], v[12:13], off
	global_store_b64 v[4:5], v[20:21], off
	;; [unrolled: 1-line block ×5, first 2 shown]
.LBB9_48:
	s_endpgm
	.section	.rodata,"a",@progbits
	.p2align	6, 0x0
	.amdhsa_kernel _ZN9rocsolver6v33100L23getf2_npvt_small_kernelILi5E19rocblas_complex_numIfEiiPS3_EEvT1_T3_lS5_lPT2_S5_S5_
		.amdhsa_group_segment_fixed_size 0
		.amdhsa_private_segment_fixed_size 0
		.amdhsa_kernarg_size 312
		.amdhsa_user_sgpr_count 2
		.amdhsa_user_sgpr_dispatch_ptr 0
		.amdhsa_user_sgpr_queue_ptr 0
		.amdhsa_user_sgpr_kernarg_segment_ptr 1
		.amdhsa_user_sgpr_dispatch_id 0
		.amdhsa_user_sgpr_kernarg_preload_length 0
		.amdhsa_user_sgpr_kernarg_preload_offset 0
		.amdhsa_user_sgpr_private_segment_size 0
		.amdhsa_wavefront_size32 1
		.amdhsa_uses_dynamic_stack 0
		.amdhsa_enable_private_segment 0
		.amdhsa_system_sgpr_workgroup_id_x 1
		.amdhsa_system_sgpr_workgroup_id_y 1
		.amdhsa_system_sgpr_workgroup_id_z 0
		.amdhsa_system_sgpr_workgroup_info 0
		.amdhsa_system_vgpr_workitem_id 1
		.amdhsa_next_free_vgpr 50
		.amdhsa_next_free_sgpr 16
		.amdhsa_named_barrier_count 0
		.amdhsa_reserve_vcc 1
		.amdhsa_float_round_mode_32 0
		.amdhsa_float_round_mode_16_64 0
		.amdhsa_float_denorm_mode_32 3
		.amdhsa_float_denorm_mode_16_64 3
		.amdhsa_fp16_overflow 0
		.amdhsa_memory_ordered 1
		.amdhsa_forward_progress 1
		.amdhsa_inst_pref_size 35
		.amdhsa_round_robin_scheduling 0
		.amdhsa_exception_fp_ieee_invalid_op 0
		.amdhsa_exception_fp_denorm_src 0
		.amdhsa_exception_fp_ieee_div_zero 0
		.amdhsa_exception_fp_ieee_overflow 0
		.amdhsa_exception_fp_ieee_underflow 0
		.amdhsa_exception_fp_ieee_inexact 0
		.amdhsa_exception_int_div_zero 0
	.end_amdhsa_kernel
	.section	.text._ZN9rocsolver6v33100L23getf2_npvt_small_kernelILi5E19rocblas_complex_numIfEiiPS3_EEvT1_T3_lS5_lPT2_S5_S5_,"axG",@progbits,_ZN9rocsolver6v33100L23getf2_npvt_small_kernelILi5E19rocblas_complex_numIfEiiPS3_EEvT1_T3_lS5_lPT2_S5_S5_,comdat
.Lfunc_end9:
	.size	_ZN9rocsolver6v33100L23getf2_npvt_small_kernelILi5E19rocblas_complex_numIfEiiPS3_EEvT1_T3_lS5_lPT2_S5_S5_, .Lfunc_end9-_ZN9rocsolver6v33100L23getf2_npvt_small_kernelILi5E19rocblas_complex_numIfEiiPS3_EEvT1_T3_lS5_lPT2_S5_S5_
                                        ; -- End function
	.set _ZN9rocsolver6v33100L23getf2_npvt_small_kernelILi5E19rocblas_complex_numIfEiiPS3_EEvT1_T3_lS5_lPT2_S5_S5_.num_vgpr, 50
	.set _ZN9rocsolver6v33100L23getf2_npvt_small_kernelILi5E19rocblas_complex_numIfEiiPS3_EEvT1_T3_lS5_lPT2_S5_S5_.num_agpr, 0
	.set _ZN9rocsolver6v33100L23getf2_npvt_small_kernelILi5E19rocblas_complex_numIfEiiPS3_EEvT1_T3_lS5_lPT2_S5_S5_.numbered_sgpr, 16
	.set _ZN9rocsolver6v33100L23getf2_npvt_small_kernelILi5E19rocblas_complex_numIfEiiPS3_EEvT1_T3_lS5_lPT2_S5_S5_.num_named_barrier, 0
	.set _ZN9rocsolver6v33100L23getf2_npvt_small_kernelILi5E19rocblas_complex_numIfEiiPS3_EEvT1_T3_lS5_lPT2_S5_S5_.private_seg_size, 0
	.set _ZN9rocsolver6v33100L23getf2_npvt_small_kernelILi5E19rocblas_complex_numIfEiiPS3_EEvT1_T3_lS5_lPT2_S5_S5_.uses_vcc, 1
	.set _ZN9rocsolver6v33100L23getf2_npvt_small_kernelILi5E19rocblas_complex_numIfEiiPS3_EEvT1_T3_lS5_lPT2_S5_S5_.uses_flat_scratch, 0
	.set _ZN9rocsolver6v33100L23getf2_npvt_small_kernelILi5E19rocblas_complex_numIfEiiPS3_EEvT1_T3_lS5_lPT2_S5_S5_.has_dyn_sized_stack, 0
	.set _ZN9rocsolver6v33100L23getf2_npvt_small_kernelILi5E19rocblas_complex_numIfEiiPS3_EEvT1_T3_lS5_lPT2_S5_S5_.has_recursion, 0
	.set _ZN9rocsolver6v33100L23getf2_npvt_small_kernelILi5E19rocblas_complex_numIfEiiPS3_EEvT1_T3_lS5_lPT2_S5_S5_.has_indirect_call, 0
	.section	.AMDGPU.csdata,"",@progbits
; Kernel info:
; codeLenInByte = 4372
; TotalNumSgprs: 18
; NumVgprs: 50
; ScratchSize: 0
; MemoryBound: 0
; FloatMode: 240
; IeeeMode: 1
; LDSByteSize: 0 bytes/workgroup (compile time only)
; SGPRBlocks: 0
; VGPRBlocks: 3
; NumSGPRsForWavesPerEU: 18
; NumVGPRsForWavesPerEU: 50
; NamedBarCnt: 0
; Occupancy: 16
; WaveLimiterHint : 0
; COMPUTE_PGM_RSRC2:SCRATCH_EN: 0
; COMPUTE_PGM_RSRC2:USER_SGPR: 2
; COMPUTE_PGM_RSRC2:TRAP_HANDLER: 0
; COMPUTE_PGM_RSRC2:TGID_X_EN: 1
; COMPUTE_PGM_RSRC2:TGID_Y_EN: 1
; COMPUTE_PGM_RSRC2:TGID_Z_EN: 0
; COMPUTE_PGM_RSRC2:TIDIG_COMP_CNT: 1
	.section	.text._ZN9rocsolver6v33100L18getf2_small_kernelILi6E19rocblas_complex_numIfEiiPS3_EEvT1_T3_lS5_lPS5_llPT2_S5_S5_S7_l,"axG",@progbits,_ZN9rocsolver6v33100L18getf2_small_kernelILi6E19rocblas_complex_numIfEiiPS3_EEvT1_T3_lS5_lPS5_llPT2_S5_S5_S7_l,comdat
	.globl	_ZN9rocsolver6v33100L18getf2_small_kernelILi6E19rocblas_complex_numIfEiiPS3_EEvT1_T3_lS5_lPS5_llPT2_S5_S5_S7_l ; -- Begin function _ZN9rocsolver6v33100L18getf2_small_kernelILi6E19rocblas_complex_numIfEiiPS3_EEvT1_T3_lS5_lPS5_llPT2_S5_S5_S7_l
	.p2align	8
	.type	_ZN9rocsolver6v33100L18getf2_small_kernelILi6E19rocblas_complex_numIfEiiPS3_EEvT1_T3_lS5_lPS5_llPT2_S5_S5_S7_l,@function
_ZN9rocsolver6v33100L18getf2_small_kernelILi6E19rocblas_complex_numIfEiiPS3_EEvT1_T3_lS5_lPS5_llPT2_S5_S5_S7_l: ; @_ZN9rocsolver6v33100L18getf2_small_kernelILi6E19rocblas_complex_numIfEiiPS3_EEvT1_T3_lS5_lPS5_llPT2_S5_S5_S7_l
; %bb.0:
	s_clause 0x1
	s_load_u16 s4, s[0:1], 0x6e
	s_load_b64 s[2:3], s[0:1], 0x48
	s_bfe_u32 s5, ttmp6, 0x40010
	s_bfe_u32 s6, ttmp6, 0x40004
	s_add_co_i32 s5, s5, 1
	s_getreg_b32 s7, hwreg(HW_REG_IB_STS2, 6, 4)
	s_mul_i32 s5, ttmp7, s5
	v_bfe_u32 v18, v0, 10, 10
	s_add_co_i32 s6, s6, s5
	s_cmp_eq_u32 s7, 0
	s_cselect_b32 s5, ttmp7, s6
	s_wait_kmcnt 0x0
	v_mad_u32 v2, s5, s4, v18
	s_delay_alu instid0(VALU_DEP_1)
	v_cmp_gt_i32_e32 vcc_lo, s2, v2
	s_and_saveexec_b32 s2, vcc_lo
	s_cbranch_execz .LBB10_127
; %bb.1:
	s_load_b128 s[4:7], s[0:1], 0x50
	v_mov_b64_e32 v[16:17], 0
	v_ashrrev_i32_e32 v3, 31, v2
	s_wait_kmcnt 0x0
	s_cmp_eq_u64 s[4:5], 0
	s_cselect_b32 s2, -1, 0
	s_delay_alu instid0(SALU_CYCLE_1)
	s_and_b32 vcc_lo, exec_lo, s2
	s_cbranch_vccnz .LBB10_3
; %bb.2:
	v_mul_u64_e32 v[4:5], s[6:7], v[2:3]
	s_delay_alu instid0(VALU_DEP_1)
	v_lshl_add_u64 v[16:17], v[4:5], 2, s[4:5]
.LBB10_3:
	s_load_b256 s[4:11], s[0:1], 0x20
	v_and_b32_e32 v24, 0x3ff, v0
	v_mov_b32_e32 v21, 0
	s_wait_kmcnt 0x0
	v_mul_u64_e32 v[4:5], s[4:5], v[2:3]
	s_clause 0x1
	s_load_b32 s4, s[0:1], 0x18
	s_load_b128 s[12:15], s[0:1], 0x8
	s_wait_kmcnt 0x0
	v_add3_u32 v6, s4, s4, v24
	v_lshlrev_b32_e32 v20, 3, v24
	s_ashr_i32 s5, s4, 31
	s_delay_alu instid0(VALU_DEP_2) | instskip(NEXT) | instid1(VALU_DEP_1)
	v_dual_add_nc_u32 v8, s4, v6 :: v_dual_ashrrev_i32 v7, 31, v6
	v_ashrrev_i32_e32 v9, 31, v8
	v_lshl_add_u64 v[0:1], v[4:5], 3, s[12:13]
	s_delay_alu instid0(VALU_DEP_1) | instskip(SKIP_1) | instid1(VALU_DEP_1)
	v_lshl_add_u64 v[0:1], s[14:15], 3, v[0:1]
	s_load_b32 s14, s[0:1], 0x0
	v_add_nc_u64_e32 v[12:13], v[0:1], v[20:21]
	v_lshl_add_u64 v[14:15], v[6:7], 3, v[0:1]
	v_lshl_add_u64 v[22:23], v[8:9], 3, v[0:1]
	v_add_nc_u32_e32 v8, s4, v8
	s_clause 0x2
	global_load_b64 v[6:7], v[14:15], off
	global_load_b64 v[4:5], v[22:23], off
	;; [unrolled: 1-line block ×3, first 2 shown]
	s_wait_xcnt 0x1
	v_lshl_add_u64 v[22:23], s[4:5], 3, v[12:13]
	v_dual_add_nc_u32 v14, s4, v8 :: v_dual_ashrrev_i32 v9, 31, v8
	s_delay_alu instid0(VALU_DEP_1) | instskip(NEXT) | instid1(VALU_DEP_2)
	v_ashrrev_i32_e32 v15, 31, v14
	v_lshl_add_u64 v[26:27], v[8:9], 3, v[0:1]
	s_wait_kmcnt 0x0
	s_max_i32 s12, s14, 6
	s_cmp_lt_i32 s14, 2
	v_lshl_add_u64 v[28:29], v[14:15], 3, v[0:1]
	s_clause 0x2
	global_load_b64 v[8:9], v[22:23], off
	global_load_b64 v[12:13], v[26:27], off
	;; [unrolled: 1-line block ×3, first 2 shown]
	s_wait_xcnt 0x2
	v_mul_lo_u32 v23, s12, v18
	s_load_b64 s[12:13], s[0:1], 0x40
	s_delay_alu instid0(VALU_DEP_1) | instskip(NEXT) | instid1(VALU_DEP_1)
	v_lshl_add_u32 v22, v23, 3, 0
	v_dual_lshlrev_b32 v23, 3, v23 :: v_dual_add_nc_u32 v18, v22, v20
	s_wait_loadcnt 0x3
	ds_store_b64 v18, v[10:11]
	s_wait_loadcnt_dscnt 0x0
	s_barrier_signal -1
	s_barrier_wait -1
	ds_load_b64 v[18:19], v22
	s_cbranch_scc1 .LBB10_6
; %bb.4:
	v_add3_u32 v20, v23, 0, 8
	v_mov_b32_e32 v21, 0
	s_wait_xcnt 0x0
	s_mov_b32 s0, 1
.LBB10_5:                               ; =>This Inner Loop Header: Depth=1
	ds_load_b64 v[26:27], v20
	s_wait_dscnt 0x1
	v_cmp_gt_f32_e32 vcc_lo, 0, v18
	v_cndmask_b32_e64 v28, v18, -v18, vcc_lo
	v_cmp_gt_f32_e32 vcc_lo, 0, v19
	v_cndmask_b32_e64 v30, v19, -v19, vcc_lo
	s_wait_dscnt 0x0
	v_cmp_gt_f32_e32 vcc_lo, 0, v26
	v_cndmask_b32_e64 v29, v26, -v26, vcc_lo
	v_cmp_gt_f32_e32 vcc_lo, 0, v27
	v_cndmask_b32_e64 v31, v27, -v27, vcc_lo
	s_delay_alu instid0(VALU_DEP_1) | instskip(NEXT) | instid1(VALU_DEP_1)
	v_pk_add_f32 v[28:29], v[28:29], v[30:31]
	v_cmp_lt_f32_e32 vcc_lo, v28, v29
	v_dual_cndmask_b32 v19, v19, v27 :: v_dual_add_nc_u32 v20, 8, v20
	v_cndmask_b32_e32 v18, v18, v26, vcc_lo
	v_cndmask_b32_e64 v21, v21, s0, vcc_lo
	s_add_co_i32 s0, s0, 1
	s_delay_alu instid0(SALU_CYCLE_1)
	s_cmp_eq_u32 s14, s0
	s_cbranch_scc0 .LBB10_5
.LBB10_6:
	s_wait_dscnt 0x0
	v_cmp_neq_f32_e32 vcc_lo, 0, v18
	s_wait_xcnt 0x0
	v_cmp_neq_f32_e64 s0, 0, v19
	v_dual_mov_b32 v25, 1 :: v_dual_mov_b32 v26, 1
	s_or_b32 s1, vcc_lo, s0
	s_delay_alu instid0(SALU_CYCLE_1)
	s_and_saveexec_b32 s0, s1
	s_cbranch_execz .LBB10_12
; %bb.7:
	v_cmp_ngt_f32_e64 s1, |v18|, |v19|
	s_and_saveexec_b32 s15, s1
	s_delay_alu instid0(SALU_CYCLE_1)
	s_xor_b32 s1, exec_lo, s15
	s_cbranch_execz .LBB10_9
; %bb.8:
	v_div_scale_f32 v20, null, v19, v19, v18
	v_div_scale_f32 v27, vcc_lo, v18, v19, v18
	s_delay_alu instid0(VALU_DEP_2) | instskip(SKIP_1) | instid1(TRANS32_DEP_1)
	v_rcp_f32_e32 v25, v20
	v_nop
	v_fma_f32 v26, -v20, v25, 1.0
	s_delay_alu instid0(VALU_DEP_1) | instskip(NEXT) | instid1(VALU_DEP_1)
	v_fmac_f32_e32 v25, v26, v25
	v_mul_f32_e32 v26, v27, v25
	s_delay_alu instid0(VALU_DEP_1) | instskip(NEXT) | instid1(VALU_DEP_1)
	v_fma_f32 v28, -v20, v26, v27
	v_fmac_f32_e32 v26, v28, v25
	s_delay_alu instid0(VALU_DEP_1) | instskip(NEXT) | instid1(VALU_DEP_1)
	v_fma_f32 v20, -v20, v26, v27
	v_div_fmas_f32 v20, v20, v25, v26
	s_delay_alu instid0(VALU_DEP_1) | instskip(NEXT) | instid1(VALU_DEP_1)
	v_div_fixup_f32 v20, v20, v19, v18
	v_fmac_f32_e32 v19, v18, v20
	s_delay_alu instid0(VALU_DEP_1) | instskip(SKIP_1) | instid1(VALU_DEP_2)
	v_div_scale_f32 v18, null, v19, v19, 1.0
	v_div_scale_f32 v27, vcc_lo, 1.0, v19, 1.0
	v_rcp_f32_e32 v25, v18
	v_nop
	s_delay_alu instid0(TRANS32_DEP_1) | instskip(NEXT) | instid1(VALU_DEP_1)
	v_fma_f32 v26, -v18, v25, 1.0
	v_fmac_f32_e32 v25, v26, v25
	s_delay_alu instid0(VALU_DEP_1) | instskip(NEXT) | instid1(VALU_DEP_1)
	v_mul_f32_e32 v26, v27, v25
	v_fma_f32 v28, -v18, v26, v27
	s_delay_alu instid0(VALU_DEP_1) | instskip(NEXT) | instid1(VALU_DEP_1)
	v_fmac_f32_e32 v26, v28, v25
	v_fma_f32 v18, -v18, v26, v27
	s_delay_alu instid0(VALU_DEP_1) | instskip(NEXT) | instid1(VALU_DEP_1)
	v_div_fmas_f32 v18, v18, v25, v26
	v_div_fixup_f32 v19, v18, v19, 1.0
	s_delay_alu instid0(VALU_DEP_1)
	v_mul_f32_e32 v18, v20, v19
	v_xor_b32_e32 v19, 0x80000000, v19
.LBB10_9:
	s_and_not1_saveexec_b32 s1, s1
	s_cbranch_execz .LBB10_11
; %bb.10:
	s_delay_alu instid0(VALU_DEP_1) | instskip(SKIP_1) | instid1(VALU_DEP_2)
	v_div_scale_f32 v20, null, v18, v18, v19
	v_div_scale_f32 v27, vcc_lo, v19, v18, v19
	v_rcp_f32_e32 v25, v20
	v_nop
	s_delay_alu instid0(TRANS32_DEP_1) | instskip(NEXT) | instid1(VALU_DEP_1)
	v_fma_f32 v26, -v20, v25, 1.0
	v_fmac_f32_e32 v25, v26, v25
	s_delay_alu instid0(VALU_DEP_1) | instskip(NEXT) | instid1(VALU_DEP_1)
	v_mul_f32_e32 v26, v27, v25
	v_fma_f32 v28, -v20, v26, v27
	s_delay_alu instid0(VALU_DEP_1) | instskip(NEXT) | instid1(VALU_DEP_1)
	v_fmac_f32_e32 v26, v28, v25
	v_fma_f32 v20, -v20, v26, v27
	s_delay_alu instid0(VALU_DEP_1) | instskip(NEXT) | instid1(VALU_DEP_1)
	v_div_fmas_f32 v20, v20, v25, v26
	v_div_fixup_f32 v20, v20, v18, v19
	s_delay_alu instid0(VALU_DEP_1) | instskip(NEXT) | instid1(VALU_DEP_1)
	v_fmac_f32_e32 v18, v19, v20
	v_div_scale_f32 v19, null, v18, v18, 1.0
	s_delay_alu instid0(VALU_DEP_1) | instskip(SKIP_1) | instid1(TRANS32_DEP_1)
	v_rcp_f32_e32 v25, v19
	v_nop
	v_fma_f32 v26, -v19, v25, 1.0
	s_delay_alu instid0(VALU_DEP_1) | instskip(SKIP_1) | instid1(VALU_DEP_1)
	v_fmac_f32_e32 v25, v26, v25
	v_div_scale_f32 v26, vcc_lo, 1.0, v18, 1.0
	v_mul_f32_e32 v27, v26, v25
	s_delay_alu instid0(VALU_DEP_1) | instskip(NEXT) | instid1(VALU_DEP_1)
	v_fma_f32 v28, -v19, v27, v26
	v_fmac_f32_e32 v27, v28, v25
	s_delay_alu instid0(VALU_DEP_1) | instskip(NEXT) | instid1(VALU_DEP_1)
	v_fma_f32 v19, -v19, v27, v26
	v_div_fmas_f32 v19, v19, v25, v27
	s_delay_alu instid0(VALU_DEP_1) | instskip(NEXT) | instid1(VALU_DEP_1)
	v_div_fixup_f32 v18, v19, v18, 1.0
	v_mul_f32_e64 v19, v20, -v18
.LBB10_11:
	s_or_b32 exec_lo, exec_lo, s1
	v_dual_mov_b32 v26, 0 :: v_dual_mov_b32 v25, 2
.LBB10_12:
	s_or_b32 exec_lo, exec_lo, s0
	s_delay_alu instid0(SALU_CYCLE_1)
	s_mov_b32 s0, exec_lo
	v_cmpx_ne_u32_e64 v24, v21
	s_xor_b32 s0, exec_lo, s0
	s_cbranch_execz .LBB10_18
; %bb.13:
	s_mov_b32 s1, exec_lo
	v_cmpx_eq_u32_e32 0, v24
	s_cbranch_execz .LBB10_17
; %bb.14:
	v_cmp_ne_u32_e32 vcc_lo, 0, v21
	s_xor_b32 s15, s2, -1
	s_delay_alu instid0(SALU_CYCLE_1) | instskip(NEXT) | instid1(SALU_CYCLE_1)
	s_and_b32 s16, s15, vcc_lo
	s_and_saveexec_b32 s15, s16
	s_cbranch_execz .LBB10_16
; %bb.15:
	v_dual_mov_b32 v28, v21 :: v_dual_ashrrev_i32 v29, 31, v21
	s_delay_alu instid0(VALU_DEP_1)
	v_lshl_add_u64 v[28:29], v[28:29], 2, v[16:17]
	s_clause 0x1
	global_load_b32 v20, v[28:29], off
	global_load_b32 v24, v[16:17], off
	s_wait_loadcnt 0x1
	global_store_b32 v[16:17], v20, off
	s_wait_loadcnt 0x0
	global_store_b32 v[28:29], v24, off
.LBB10_16:
	s_wait_xcnt 0x0
	s_or_b32 exec_lo, exec_lo, s15
	v_mov_b32_e32 v24, v21
.LBB10_17:
	s_or_b32 exec_lo, exec_lo, s1
.LBB10_18:
	s_or_saveexec_b32 s0, s0
	s_delay_alu instid0(VALU_DEP_1)
	v_mov_b32_e32 v21, v24
	s_xor_b32 exec_lo, exec_lo, s0
	s_cbranch_execz .LBB10_20
; %bb.19:
	v_mov_b32_e32 v21, 0
	ds_store_2addr_b64 v22, v[8:9], v[6:7] offset0:1 offset1:2
	ds_store_2addr_b64 v22, v[4:5], v[12:13] offset0:3 offset1:4
	ds_store_b64 v22, v[14:15] offset:40
.LBB10_20:
	s_or_b32 exec_lo, exec_lo, s0
	s_delay_alu instid0(SALU_CYCLE_1)
	s_mov_b32 s0, exec_lo
	s_wait_storecnt_dscnt 0x0
	s_barrier_signal -1
	s_barrier_wait -1
	v_cmpx_lt_i32_e32 0, v21
	s_cbranch_execz .LBB10_22
; %bb.21:
	ds_load_2addr_b64 v[28:31], v22 offset0:1 offset1:2
	ds_load_2addr_b64 v[32:35], v22 offset0:3 offset1:4
	ds_load_b64 v[36:37], v22 offset:40
	v_pk_mul_f32 v[38:39], v[18:19], v[10:11] op_sel:[1,1] op_sel_hi:[0,1]
	s_delay_alu instid0(VALU_DEP_1) | instskip(SKIP_1) | instid1(VALU_DEP_1)
	v_pk_fma_f32 v[40:41], v[18:19], v[10:11], v[38:39] op_sel_hi:[1,0,1] neg_lo:[0,0,1] neg_hi:[0,0,1]
	v_pk_fma_f32 v[18:19], v[18:19], v[10:11], v[38:39] op_sel_hi:[1,0,1]
	v_dual_mov_b32 v10, v40 :: v_dual_mov_b32 v11, v19
	s_wait_dscnt 0x2
	s_delay_alu instid0(VALU_DEP_2)
	v_pk_mul_f32 v[38:39], v[28:29], v[18:19] op_sel:[0,1]
	v_pk_mul_f32 v[42:43], v[30:31], v[18:19] op_sel:[0,1]
	s_wait_dscnt 0x1
	v_pk_mul_f32 v[44:45], v[32:33], v[18:19] op_sel:[0,1]
	v_dual_mov_b32 v46, v35 :: v_dual_mov_b32 v47, v34
	v_dual_mul_f32 v20, v35, v19 :: v_dual_mul_f32 v48, v35, v40
	s_wait_dscnt 0x0
	v_pk_mul_f32 v[18:19], v[36:37], v[18:19] op_sel:[0,1]
	v_pk_fma_f32 v[50:51], v[28:29], v[40:41], v[38:39] op_sel:[0,0,1] op_sel_hi:[1,1,0] neg_lo:[0,0,1] neg_hi:[0,0,1]
	v_pk_fma_f32 v[28:29], v[28:29], v[40:41], v[38:39] op_sel:[0,0,1] op_sel_hi:[1,0,0]
	v_pk_fma_f32 v[38:39], v[30:31], v[40:41], v[42:43] op_sel:[0,0,1] op_sel_hi:[1,1,0] neg_lo:[0,0,1] neg_hi:[0,0,1]
	v_pk_fma_f32 v[30:31], v[30:31], v[40:41], v[42:43] op_sel:[0,0,1] op_sel_hi:[1,0,0]
	;; [unrolled: 2-line block ×3, first 2 shown]
	v_pk_fma_f32 v[44:45], v[46:47], v[10:11], v[48:49] op_sel_hi:[1,1,0]
	v_pk_fma_f32 v[46:47], v[36:37], v[40:41], v[18:19] op_sel:[0,0,1] op_sel_hi:[1,1,0] neg_lo:[0,0,1] neg_hi:[0,0,1]
	v_pk_fma_f32 v[18:19], v[36:37], v[40:41], v[18:19] op_sel:[0,0,1] op_sel_hi:[1,0,0]
	v_pk_fma_f32 v[34:35], v[34:35], v[10:11], v[20:21] op_sel_hi:[1,1,0] neg_lo:[0,0,1] neg_hi:[0,0,1]
	v_dual_mov_b32 v51, v29 :: v_dual_mov_b32 v39, v31
	v_dual_mov_b32 v43, v33 :: v_dual_mov_b32 v35, v45
	s_delay_alu instid0(VALU_DEP_4) | instskip(NEXT) | instid1(VALU_DEP_3)
	v_mov_b32_e32 v47, v19
	v_pk_add_f32 v[8:9], v[8:9], v[50:51] neg_lo:[0,1] neg_hi:[0,1]
	s_delay_alu instid0(VALU_DEP_4) | instskip(NEXT) | instid1(VALU_DEP_4)
	v_pk_add_f32 v[6:7], v[6:7], v[38:39] neg_lo:[0,1] neg_hi:[0,1]
	v_pk_add_f32 v[4:5], v[4:5], v[42:43] neg_lo:[0,1] neg_hi:[0,1]
	;; [unrolled: 1-line block ×4, first 2 shown]
.LBB10_22:
	s_or_b32 exec_lo, exec_lo, s0
	v_lshl_add_u32 v18, v21, 3, v22
	s_barrier_signal -1
	s_barrier_wait -1
	ds_store_b64 v18, v[8:9]
	s_wait_dscnt 0x0
	s_barrier_signal -1
	s_barrier_wait -1
	ds_load_b64 v[18:19], v22 offset:8
	v_mov_b32_e32 v20, 1
	s_cmp_lt_i32 s14, 3
	s_cbranch_scc1 .LBB10_25
; %bb.23:
	v_add3_u32 v27, v23, 0, 16
	v_mov_b32_e32 v20, 1
	s_mov_b32 s0, 2
.LBB10_24:                              ; =>This Inner Loop Header: Depth=1
	ds_load_b64 v[28:29], v27
	s_wait_dscnt 0x1
	v_cmp_gt_f32_e32 vcc_lo, 0, v18
	v_cndmask_b32_e64 v30, v18, -v18, vcc_lo
	v_cmp_gt_f32_e32 vcc_lo, 0, v19
	v_cndmask_b32_e64 v32, v19, -v19, vcc_lo
	s_wait_dscnt 0x0
	v_cmp_gt_f32_e32 vcc_lo, 0, v28
	v_cndmask_b32_e64 v31, v28, -v28, vcc_lo
	v_cmp_gt_f32_e32 vcc_lo, 0, v29
	v_cndmask_b32_e64 v33, v29, -v29, vcc_lo
	s_delay_alu instid0(VALU_DEP_1) | instskip(NEXT) | instid1(VALU_DEP_1)
	v_pk_add_f32 v[30:31], v[30:31], v[32:33]
	v_cmp_lt_f32_e32 vcc_lo, v30, v31
	v_dual_add_nc_u32 v27, 8, v27 :: v_dual_cndmask_b32 v19, v19, v29, vcc_lo
	v_cndmask_b32_e32 v18, v18, v28, vcc_lo
	v_cndmask_b32_e64 v20, v20, s0, vcc_lo
	s_add_co_i32 s0, s0, 1
	s_delay_alu instid0(SALU_CYCLE_1)
	s_cmp_lg_u32 s14, s0
	s_cbranch_scc1 .LBB10_24
.LBB10_25:
	s_wait_dscnt 0x0
	v_cmp_neq_f32_e32 vcc_lo, 0, v18
	v_cmp_neq_f32_e64 s0, 0, v19
	s_or_b32 s1, vcc_lo, s0
	s_delay_alu instid0(SALU_CYCLE_1)
	s_and_saveexec_b32 s0, s1
	s_cbranch_execz .LBB10_31
; %bb.26:
	v_cmp_ngt_f32_e64 s1, |v18|, |v19|
	s_and_saveexec_b32 s15, s1
	s_delay_alu instid0(SALU_CYCLE_1)
	s_xor_b32 s1, exec_lo, s15
	s_cbranch_execz .LBB10_28
; %bb.27:
	v_div_scale_f32 v25, null, v19, v19, v18
	v_div_scale_f32 v29, vcc_lo, v18, v19, v18
	s_delay_alu instid0(VALU_DEP_2) | instskip(SKIP_1) | instid1(TRANS32_DEP_1)
	v_rcp_f32_e32 v27, v25
	v_nop
	v_fma_f32 v28, -v25, v27, 1.0
	s_delay_alu instid0(VALU_DEP_1) | instskip(NEXT) | instid1(VALU_DEP_1)
	v_fmac_f32_e32 v27, v28, v27
	v_mul_f32_e32 v28, v29, v27
	s_delay_alu instid0(VALU_DEP_1) | instskip(NEXT) | instid1(VALU_DEP_1)
	v_fma_f32 v30, -v25, v28, v29
	v_fmac_f32_e32 v28, v30, v27
	s_delay_alu instid0(VALU_DEP_1) | instskip(NEXT) | instid1(VALU_DEP_1)
	v_fma_f32 v25, -v25, v28, v29
	v_div_fmas_f32 v25, v25, v27, v28
	s_delay_alu instid0(VALU_DEP_1) | instskip(NEXT) | instid1(VALU_DEP_1)
	v_div_fixup_f32 v25, v25, v19, v18
	v_fmac_f32_e32 v19, v18, v25
	s_delay_alu instid0(VALU_DEP_1) | instskip(SKIP_1) | instid1(VALU_DEP_2)
	v_div_scale_f32 v18, null, v19, v19, 1.0
	v_div_scale_f32 v29, vcc_lo, 1.0, v19, 1.0
	v_rcp_f32_e32 v27, v18
	v_nop
	s_delay_alu instid0(TRANS32_DEP_1) | instskip(NEXT) | instid1(VALU_DEP_1)
	v_fma_f32 v28, -v18, v27, 1.0
	v_fmac_f32_e32 v27, v28, v27
	s_delay_alu instid0(VALU_DEP_1) | instskip(NEXT) | instid1(VALU_DEP_1)
	v_mul_f32_e32 v28, v29, v27
	v_fma_f32 v30, -v18, v28, v29
	s_delay_alu instid0(VALU_DEP_1) | instskip(NEXT) | instid1(VALU_DEP_1)
	v_fmac_f32_e32 v28, v30, v27
	v_fma_f32 v18, -v18, v28, v29
	s_delay_alu instid0(VALU_DEP_1) | instskip(NEXT) | instid1(VALU_DEP_1)
	v_div_fmas_f32 v18, v18, v27, v28
	v_div_fixup_f32 v19, v18, v19, 1.0
	s_delay_alu instid0(VALU_DEP_1)
	v_mul_f32_e32 v18, v25, v19
	v_xor_b32_e32 v19, 0x80000000, v19
.LBB10_28:
	s_and_not1_saveexec_b32 s1, s1
	s_cbranch_execz .LBB10_30
; %bb.29:
	s_delay_alu instid0(VALU_DEP_1) | instskip(SKIP_1) | instid1(VALU_DEP_2)
	v_div_scale_f32 v25, null, v18, v18, v19
	v_div_scale_f32 v29, vcc_lo, v19, v18, v19
	v_rcp_f32_e32 v27, v25
	v_nop
	s_delay_alu instid0(TRANS32_DEP_1) | instskip(NEXT) | instid1(VALU_DEP_1)
	v_fma_f32 v28, -v25, v27, 1.0
	v_fmac_f32_e32 v27, v28, v27
	s_delay_alu instid0(VALU_DEP_1) | instskip(NEXT) | instid1(VALU_DEP_1)
	v_mul_f32_e32 v28, v29, v27
	v_fma_f32 v30, -v25, v28, v29
	s_delay_alu instid0(VALU_DEP_1) | instskip(NEXT) | instid1(VALU_DEP_1)
	v_fmac_f32_e32 v28, v30, v27
	v_fma_f32 v25, -v25, v28, v29
	s_delay_alu instid0(VALU_DEP_1) | instskip(NEXT) | instid1(VALU_DEP_1)
	v_div_fmas_f32 v25, v25, v27, v28
	v_div_fixup_f32 v25, v25, v18, v19
	s_delay_alu instid0(VALU_DEP_1) | instskip(NEXT) | instid1(VALU_DEP_1)
	v_fmac_f32_e32 v18, v19, v25
	v_div_scale_f32 v19, null, v18, v18, 1.0
	s_delay_alu instid0(VALU_DEP_1) | instskip(SKIP_1) | instid1(TRANS32_DEP_1)
	v_rcp_f32_e32 v27, v19
	v_nop
	v_fma_f32 v28, -v19, v27, 1.0
	s_delay_alu instid0(VALU_DEP_1) | instskip(SKIP_1) | instid1(VALU_DEP_1)
	v_fmac_f32_e32 v27, v28, v27
	v_div_scale_f32 v28, vcc_lo, 1.0, v18, 1.0
	v_mul_f32_e32 v29, v28, v27
	s_delay_alu instid0(VALU_DEP_1) | instskip(NEXT) | instid1(VALU_DEP_1)
	v_fma_f32 v30, -v19, v29, v28
	v_fmac_f32_e32 v29, v30, v27
	s_delay_alu instid0(VALU_DEP_1) | instskip(NEXT) | instid1(VALU_DEP_1)
	v_fma_f32 v19, -v19, v29, v28
	v_div_fmas_f32 v19, v19, v27, v29
	s_delay_alu instid0(VALU_DEP_1) | instskip(NEXT) | instid1(VALU_DEP_1)
	v_div_fixup_f32 v18, v19, v18, 1.0
	v_mul_f32_e64 v19, v25, -v18
.LBB10_30:
	s_or_b32 exec_lo, exec_lo, s1
	v_mov_b32_e32 v25, v26
.LBB10_31:
	s_or_b32 exec_lo, exec_lo, s0
	s_delay_alu instid0(SALU_CYCLE_1)
	s_mov_b32 s0, exec_lo
	v_cmpx_ne_u32_e64 v21, v20
	s_xor_b32 s0, exec_lo, s0
	s_cbranch_execz .LBB10_37
; %bb.32:
	s_mov_b32 s1, exec_lo
	v_cmpx_eq_u32_e32 1, v21
	s_cbranch_execz .LBB10_36
; %bb.33:
	v_cmp_ne_u32_e32 vcc_lo, 1, v20
	s_xor_b32 s15, s2, -1
	s_delay_alu instid0(SALU_CYCLE_1) | instskip(NEXT) | instid1(SALU_CYCLE_1)
	s_and_b32 s16, s15, vcc_lo
	s_and_saveexec_b32 s15, s16
	s_cbranch_execz .LBB10_35
; %bb.34:
	v_ashrrev_i32_e32 v21, 31, v20
	s_delay_alu instid0(VALU_DEP_1)
	v_lshl_add_u64 v[26:27], v[20:21], 2, v[16:17]
	s_clause 0x1
	global_load_b32 v21, v[26:27], off
	global_load_b32 v24, v[16:17], off offset:4
	s_wait_loadcnt 0x1
	global_store_b32 v[16:17], v21, off offset:4
	s_wait_loadcnt 0x0
	global_store_b32 v[26:27], v24, off
.LBB10_35:
	s_wait_xcnt 0x0
	s_or_b32 exec_lo, exec_lo, s15
	v_dual_mov_b32 v21, v20 :: v_dual_mov_b32 v24, v20
.LBB10_36:
	s_or_b32 exec_lo, exec_lo, s1
.LBB10_37:
	s_and_not1_saveexec_b32 s0, s0
	s_cbranch_execz .LBB10_39
; %bb.38:
	v_dual_mov_b32 v26, v6 :: v_dual_mov_b32 v27, v7
	v_dual_mov_b32 v28, v4 :: v_dual_mov_b32 v29, v5
	v_dual_mov_b32 v21, 1 :: v_dual_mov_b32 v30, v12
	v_mov_b32_e32 v31, v13
	ds_store_2addr_b64 v22, v[26:27], v[28:29] offset0:2 offset1:3
	ds_store_2addr_b64 v22, v[30:31], v[14:15] offset0:4 offset1:5
.LBB10_39:
	s_or_b32 exec_lo, exec_lo, s0
	s_delay_alu instid0(SALU_CYCLE_1)
	s_mov_b32 s0, exec_lo
	s_wait_storecnt_dscnt 0x0
	s_barrier_signal -1
	s_barrier_wait -1
	v_cmpx_lt_i32_e32 1, v21
	s_cbranch_execz .LBB10_41
; %bb.40:
	ds_load_2addr_b64 v[26:29], v22 offset0:2 offset1:3
	ds_load_2addr_b64 v[30:33], v22 offset0:4 offset1:5
	v_pk_mul_f32 v[34:35], v[18:19], v[8:9] op_sel:[1,1] op_sel_hi:[0,1]
	s_delay_alu instid0(VALU_DEP_1) | instskip(SKIP_1) | instid1(VALU_DEP_1)
	v_pk_fma_f32 v[36:37], v[18:19], v[8:9], v[34:35] op_sel_hi:[1,0,1] neg_lo:[0,0,1] neg_hi:[0,0,1]
	v_pk_fma_f32 v[18:19], v[18:19], v[8:9], v[34:35] op_sel_hi:[1,0,1]
	v_dual_mov_b32 v8, v36 :: v_dual_mov_b32 v9, v19
	s_wait_dscnt 0x1
	s_delay_alu instid0(VALU_DEP_2)
	v_pk_mul_f32 v[34:35], v[26:27], v[18:19] op_sel:[0,1]
	s_wait_dscnt 0x0
	v_mov_b32_e32 v38, v33
	v_pk_mul_f32 v[40:41], v[28:29], v[18:19] op_sel:[0,1]
	v_pk_mul_f32 v[42:43], v[30:31], v[18:19] op_sel:[0,1]
	v_pk_fma_f32 v[44:45], v[26:27], v[36:37], v[34:35] op_sel:[0,0,1] op_sel_hi:[1,1,0] neg_lo:[0,0,1] neg_hi:[0,0,1]
	v_pk_fma_f32 v[26:27], v[26:27], v[36:37], v[34:35] op_sel:[0,0,1] op_sel_hi:[1,0,0]
	s_delay_alu instid0(VALU_DEP_1) | instskip(NEXT) | instid1(VALU_DEP_1)
	v_dual_mov_b32 v39, v32 :: v_dual_mov_b32 v45, v27
	v_pk_mul_f32 v[34:35], v[38:39], v[18:19] op_sel:[0,1]
	v_pk_fma_f32 v[38:39], v[28:29], v[36:37], v[40:41] op_sel:[0,0,1] op_sel_hi:[1,0,0]
	v_pk_fma_f32 v[28:29], v[28:29], v[36:37], v[40:41] op_sel:[0,0,1] op_sel_hi:[1,1,0] neg_lo:[0,0,1] neg_hi:[0,0,1]
	v_pk_fma_f32 v[40:41], v[30:31], v[36:37], v[42:43] op_sel:[0,0,1] op_sel_hi:[1,0,0]
	v_pk_fma_f32 v[30:31], v[30:31], v[36:37], v[42:43] op_sel:[0,0,1] op_sel_hi:[1,1,0] neg_lo:[0,0,1] neg_hi:[0,0,1]
	v_pk_fma_f32 v[26:27], v[32:33], v[36:37], v[34:35] op_sel_hi:[1,0,1]
	v_pk_fma_f32 v[32:33], v[32:33], v[36:37], v[34:35] neg_lo:[0,0,1] neg_hi:[0,0,1]
	s_delay_alu instid0(VALU_DEP_4) | instskip(SKIP_1) | instid1(VALU_DEP_4)
	v_dual_mov_b32 v29, v39 :: v_dual_mov_b32 v31, v41
	v_pk_add_f32 v[6:7], v[6:7], v[44:45] neg_lo:[0,1] neg_hi:[0,1]
	v_mov_b32_e32 v33, v27
	s_delay_alu instid0(VALU_DEP_3) | instskip(NEXT) | instid1(VALU_DEP_4)
	v_pk_add_f32 v[4:5], v[4:5], v[28:29] neg_lo:[0,1] neg_hi:[0,1]
	v_pk_add_f32 v[12:13], v[12:13], v[30:31] neg_lo:[0,1] neg_hi:[0,1]
	s_delay_alu instid0(VALU_DEP_3)
	v_pk_add_f32 v[14:15], v[14:15], v[32:33] neg_lo:[0,1] neg_hi:[0,1]
.LBB10_41:
	s_or_b32 exec_lo, exec_lo, s0
	v_lshl_add_u32 v18, v21, 3, v22
	s_barrier_signal -1
	s_barrier_wait -1
	ds_store_b64 v18, v[6:7]
	s_wait_dscnt 0x0
	s_barrier_signal -1
	s_barrier_wait -1
	ds_load_b64 v[18:19], v22 offset:16
	v_mov_b32_e32 v20, 2
	s_cmp_lt_i32 s14, 4
	s_mov_b32 s0, 3
	s_cbranch_scc1 .LBB10_44
; %bb.42:
	v_add3_u32 v26, v23, 0, 24
	v_mov_b32_e32 v20, 2
.LBB10_43:                              ; =>This Inner Loop Header: Depth=1
	ds_load_b64 v[28:29], v26
	s_wait_dscnt 0x1
	v_cmp_gt_f32_e32 vcc_lo, 0, v18
	v_cndmask_b32_e64 v30, v18, -v18, vcc_lo
	v_cmp_gt_f32_e32 vcc_lo, 0, v19
	v_cndmask_b32_e64 v32, v19, -v19, vcc_lo
	s_wait_dscnt 0x0
	v_cmp_gt_f32_e32 vcc_lo, 0, v28
	v_cndmask_b32_e64 v31, v28, -v28, vcc_lo
	v_cmp_gt_f32_e32 vcc_lo, 0, v29
	v_cndmask_b32_e64 v33, v29, -v29, vcc_lo
	s_delay_alu instid0(VALU_DEP_1) | instskip(NEXT) | instid1(VALU_DEP_1)
	v_pk_add_f32 v[30:31], v[30:31], v[32:33]
	v_cmp_lt_f32_e32 vcc_lo, v30, v31
	v_dual_cndmask_b32 v19, v19, v29 :: v_dual_add_nc_u32 v26, 8, v26
	v_cndmask_b32_e32 v18, v18, v28, vcc_lo
	v_cndmask_b32_e64 v20, v20, s0, vcc_lo
	s_add_co_i32 s0, s0, 1
	s_delay_alu instid0(SALU_CYCLE_1)
	s_cmp_lg_u32 s14, s0
	s_cbranch_scc1 .LBB10_43
.LBB10_44:
	s_wait_dscnt 0x0
	v_cmp_eq_f32_e32 vcc_lo, 0, v18
	v_cmp_eq_f32_e64 s0, 0, v19
	s_and_b32 s0, vcc_lo, s0
	s_delay_alu instid0(SALU_CYCLE_1) | instskip(NEXT) | instid1(SALU_CYCLE_1)
	s_and_saveexec_b32 s1, s0
	s_xor_b32 s0, exec_lo, s1
; %bb.45:
	v_cmp_ne_u32_e32 vcc_lo, 0, v25
	v_cndmask_b32_e32 v25, 3, v25, vcc_lo
; %bb.46:
	s_and_not1_saveexec_b32 s0, s0
	s_cbranch_execz .LBB10_52
; %bb.47:
	v_cmp_ngt_f32_e64 s1, |v18|, |v19|
	s_and_saveexec_b32 s15, s1
	s_delay_alu instid0(SALU_CYCLE_1)
	s_xor_b32 s1, exec_lo, s15
	s_cbranch_execz .LBB10_49
; %bb.48:
	v_div_scale_f32 v26, null, v19, v19, v18
	v_div_scale_f32 v29, vcc_lo, v18, v19, v18
	s_delay_alu instid0(VALU_DEP_2) | instskip(SKIP_1) | instid1(TRANS32_DEP_1)
	v_rcp_f32_e32 v27, v26
	v_nop
	v_fma_f32 v28, -v26, v27, 1.0
	s_delay_alu instid0(VALU_DEP_1) | instskip(NEXT) | instid1(VALU_DEP_1)
	v_fmac_f32_e32 v27, v28, v27
	v_mul_f32_e32 v28, v29, v27
	s_delay_alu instid0(VALU_DEP_1) | instskip(NEXT) | instid1(VALU_DEP_1)
	v_fma_f32 v30, -v26, v28, v29
	v_fmac_f32_e32 v28, v30, v27
	s_delay_alu instid0(VALU_DEP_1) | instskip(NEXT) | instid1(VALU_DEP_1)
	v_fma_f32 v26, -v26, v28, v29
	v_div_fmas_f32 v26, v26, v27, v28
	s_delay_alu instid0(VALU_DEP_1) | instskip(NEXT) | instid1(VALU_DEP_1)
	v_div_fixup_f32 v26, v26, v19, v18
	v_fmac_f32_e32 v19, v18, v26
	s_delay_alu instid0(VALU_DEP_1) | instskip(SKIP_1) | instid1(VALU_DEP_2)
	v_div_scale_f32 v18, null, v19, v19, 1.0
	v_div_scale_f32 v29, vcc_lo, 1.0, v19, 1.0
	v_rcp_f32_e32 v27, v18
	v_nop
	s_delay_alu instid0(TRANS32_DEP_1) | instskip(NEXT) | instid1(VALU_DEP_1)
	v_fma_f32 v28, -v18, v27, 1.0
	v_fmac_f32_e32 v27, v28, v27
	s_delay_alu instid0(VALU_DEP_1) | instskip(NEXT) | instid1(VALU_DEP_1)
	v_mul_f32_e32 v28, v29, v27
	v_fma_f32 v30, -v18, v28, v29
	s_delay_alu instid0(VALU_DEP_1) | instskip(NEXT) | instid1(VALU_DEP_1)
	v_fmac_f32_e32 v28, v30, v27
	v_fma_f32 v18, -v18, v28, v29
	s_delay_alu instid0(VALU_DEP_1) | instskip(NEXT) | instid1(VALU_DEP_1)
	v_div_fmas_f32 v18, v18, v27, v28
	v_div_fixup_f32 v19, v18, v19, 1.0
	s_delay_alu instid0(VALU_DEP_1)
	v_mul_f32_e32 v18, v26, v19
	v_xor_b32_e32 v19, 0x80000000, v19
.LBB10_49:
	s_and_not1_saveexec_b32 s1, s1
	s_cbranch_execz .LBB10_51
; %bb.50:
	s_delay_alu instid0(VALU_DEP_1) | instskip(SKIP_1) | instid1(VALU_DEP_2)
	v_div_scale_f32 v26, null, v18, v18, v19
	v_div_scale_f32 v29, vcc_lo, v19, v18, v19
	v_rcp_f32_e32 v27, v26
	v_nop
	s_delay_alu instid0(TRANS32_DEP_1) | instskip(NEXT) | instid1(VALU_DEP_1)
	v_fma_f32 v28, -v26, v27, 1.0
	v_fmac_f32_e32 v27, v28, v27
	s_delay_alu instid0(VALU_DEP_1) | instskip(NEXT) | instid1(VALU_DEP_1)
	v_mul_f32_e32 v28, v29, v27
	v_fma_f32 v30, -v26, v28, v29
	s_delay_alu instid0(VALU_DEP_1) | instskip(NEXT) | instid1(VALU_DEP_1)
	v_fmac_f32_e32 v28, v30, v27
	v_fma_f32 v26, -v26, v28, v29
	s_delay_alu instid0(VALU_DEP_1) | instskip(NEXT) | instid1(VALU_DEP_1)
	v_div_fmas_f32 v26, v26, v27, v28
	v_div_fixup_f32 v26, v26, v18, v19
	s_delay_alu instid0(VALU_DEP_1) | instskip(NEXT) | instid1(VALU_DEP_1)
	v_fmac_f32_e32 v18, v19, v26
	v_div_scale_f32 v19, null, v18, v18, 1.0
	s_delay_alu instid0(VALU_DEP_1) | instskip(SKIP_1) | instid1(TRANS32_DEP_1)
	v_rcp_f32_e32 v27, v19
	v_nop
	v_fma_f32 v28, -v19, v27, 1.0
	s_delay_alu instid0(VALU_DEP_1) | instskip(SKIP_1) | instid1(VALU_DEP_1)
	v_fmac_f32_e32 v27, v28, v27
	v_div_scale_f32 v28, vcc_lo, 1.0, v18, 1.0
	v_mul_f32_e32 v29, v28, v27
	s_delay_alu instid0(VALU_DEP_1) | instskip(NEXT) | instid1(VALU_DEP_1)
	v_fma_f32 v30, -v19, v29, v28
	v_fmac_f32_e32 v29, v30, v27
	s_delay_alu instid0(VALU_DEP_1) | instskip(NEXT) | instid1(VALU_DEP_1)
	v_fma_f32 v19, -v19, v29, v28
	v_div_fmas_f32 v19, v19, v27, v29
	s_delay_alu instid0(VALU_DEP_1) | instskip(NEXT) | instid1(VALU_DEP_1)
	v_div_fixup_f32 v18, v19, v18, 1.0
	v_mul_f32_e64 v19, v26, -v18
.LBB10_51:
	s_or_b32 exec_lo, exec_lo, s1
.LBB10_52:
	s_delay_alu instid0(SALU_CYCLE_1) | instskip(NEXT) | instid1(SALU_CYCLE_1)
	s_or_b32 exec_lo, exec_lo, s0
	s_mov_b32 s0, exec_lo
	v_cmpx_ne_u32_e64 v21, v20
	s_xor_b32 s0, exec_lo, s0
	s_cbranch_execz .LBB10_58
; %bb.53:
	s_mov_b32 s1, exec_lo
	v_cmpx_eq_u32_e32 2, v21
	s_cbranch_execz .LBB10_57
; %bb.54:
	v_cmp_ne_u32_e32 vcc_lo, 2, v20
	s_xor_b32 s15, s2, -1
	s_delay_alu instid0(SALU_CYCLE_1) | instskip(NEXT) | instid1(SALU_CYCLE_1)
	s_and_b32 s16, s15, vcc_lo
	s_and_saveexec_b32 s15, s16
	s_cbranch_execz .LBB10_56
; %bb.55:
	v_ashrrev_i32_e32 v21, 31, v20
	s_delay_alu instid0(VALU_DEP_1)
	v_lshl_add_u64 v[26:27], v[20:21], 2, v[16:17]
	s_clause 0x1
	global_load_b32 v21, v[26:27], off
	global_load_b32 v24, v[16:17], off offset:8
	s_wait_loadcnt 0x1
	global_store_b32 v[16:17], v21, off offset:8
	s_wait_loadcnt 0x0
	global_store_b32 v[26:27], v24, off
.LBB10_56:
	s_wait_xcnt 0x0
	s_or_b32 exec_lo, exec_lo, s15
	v_dual_mov_b32 v21, v20 :: v_dual_mov_b32 v24, v20
.LBB10_57:
	s_or_b32 exec_lo, exec_lo, s1
.LBB10_58:
	s_and_not1_saveexec_b32 s0, s0
	s_cbranch_execz .LBB10_60
; %bb.59:
	v_mov_b32_e32 v21, 2
	ds_store_2addr_b64 v22, v[4:5], v[12:13] offset0:3 offset1:4
	ds_store_b64 v22, v[14:15] offset:40
.LBB10_60:
	s_or_b32 exec_lo, exec_lo, s0
	s_delay_alu instid0(SALU_CYCLE_1)
	s_mov_b32 s0, exec_lo
	s_wait_storecnt_dscnt 0x0
	s_barrier_signal -1
	s_barrier_wait -1
	v_cmpx_lt_i32_e32 2, v21
	s_cbranch_execz .LBB10_62
; %bb.61:
	ds_load_2addr_b64 v[26:29], v22 offset0:3 offset1:4
	ds_load_b64 v[30:31], v22 offset:40
	v_pk_mul_f32 v[32:33], v[18:19], v[6:7] op_sel:[1,1] op_sel_hi:[0,1]
	s_delay_alu instid0(VALU_DEP_1) | instskip(SKIP_2) | instid1(VALU_DEP_2)
	v_pk_fma_f32 v[34:35], v[18:19], v[6:7], v[32:33] op_sel_hi:[1,0,1]
	v_pk_fma_f32 v[6:7], v[18:19], v[6:7], v[32:33] op_sel_hi:[1,0,1] neg_lo:[0,0,1] neg_hi:[0,0,1]
	s_wait_dscnt 0x1
	v_pk_mul_f32 v[18:19], v[26:27], v[34:35] op_sel:[0,1]
	v_pk_mul_f32 v[32:33], v[28:29], v[34:35] op_sel:[0,1]
	s_wait_dscnt 0x0
	v_pk_mul_f32 v[36:37], v[30:31], v[34:35] op_sel:[1,1] op_sel_hi:[0,1]
	s_delay_alu instid0(VALU_DEP_3) | instskip(SKIP_2) | instid1(VALU_DEP_4)
	v_pk_fma_f32 v[38:39], v[26:27], v[6:7], v[18:19] op_sel:[0,0,1] op_sel_hi:[1,1,0] neg_lo:[0,0,1] neg_hi:[0,0,1]
	v_pk_fma_f32 v[18:19], v[26:27], v[6:7], v[18:19] op_sel:[0,0,1] op_sel_hi:[1,0,0]
	v_pk_fma_f32 v[26:27], v[28:29], v[6:7], v[32:33] op_sel:[0,0,1] op_sel_hi:[1,0,0]
	v_pk_fma_f32 v[40:41], v[30:31], v[6:7], v[36:37] op_sel_hi:[1,0,1]
	v_pk_fma_f32 v[28:29], v[28:29], v[6:7], v[32:33] op_sel:[0,0,1] op_sel_hi:[1,1,0] neg_lo:[0,0,1] neg_hi:[0,0,1]
	v_pk_fma_f32 v[30:31], v[30:31], v[6:7], v[36:37] neg_lo:[0,0,1] neg_hi:[0,0,1]
	s_delay_alu instid0(VALU_DEP_4) | instskip(NEXT) | instid1(VALU_DEP_4)
	v_dual_mov_b32 v39, v19 :: v_dual_mov_b32 v29, v27
	v_dual_mov_b32 v31, v41 :: v_dual_mov_b32 v7, v35
	s_delay_alu instid0(VALU_DEP_2) | instskip(NEXT) | instid1(VALU_DEP_3)
	v_pk_add_f32 v[4:5], v[4:5], v[38:39] neg_lo:[0,1] neg_hi:[0,1]
	v_pk_add_f32 v[12:13], v[12:13], v[28:29] neg_lo:[0,1] neg_hi:[0,1]
	s_delay_alu instid0(VALU_DEP_3)
	v_pk_add_f32 v[14:15], v[14:15], v[30:31] neg_lo:[0,1] neg_hi:[0,1]
.LBB10_62:
	s_or_b32 exec_lo, exec_lo, s0
	v_lshl_add_u32 v18, v21, 3, v22
	s_barrier_signal -1
	s_barrier_wait -1
	ds_store_b64 v18, v[4:5]
	s_wait_dscnt 0x0
	s_barrier_signal -1
	s_barrier_wait -1
	ds_load_b64 v[18:19], v22 offset:24
	v_mov_b32_e32 v20, 3
	s_cmp_lt_i32 s14, 5
	s_cbranch_scc1 .LBB10_65
; %bb.63:
	v_mov_b32_e32 v20, 3
	v_add3_u32 v26, v23, 0, 32
	s_mov_b32 s0, 4
.LBB10_64:                              ; =>This Inner Loop Header: Depth=1
	ds_load_b64 v[28:29], v26
	s_wait_dscnt 0x1
	v_cmp_gt_f32_e32 vcc_lo, 0, v18
	v_cndmask_b32_e64 v30, v18, -v18, vcc_lo
	v_cmp_gt_f32_e32 vcc_lo, 0, v19
	v_cndmask_b32_e64 v32, v19, -v19, vcc_lo
	s_wait_dscnt 0x0
	v_cmp_gt_f32_e32 vcc_lo, 0, v28
	v_cndmask_b32_e64 v31, v28, -v28, vcc_lo
	v_cmp_gt_f32_e32 vcc_lo, 0, v29
	v_cndmask_b32_e64 v33, v29, -v29, vcc_lo
	s_delay_alu instid0(VALU_DEP_1) | instskip(NEXT) | instid1(VALU_DEP_1)
	v_pk_add_f32 v[30:31], v[30:31], v[32:33]
	v_cmp_lt_f32_e32 vcc_lo, v30, v31
	v_dual_cndmask_b32 v19, v19, v29 :: v_dual_add_nc_u32 v26, 8, v26
	v_cndmask_b32_e32 v18, v18, v28, vcc_lo
	v_cndmask_b32_e64 v20, v20, s0, vcc_lo
	s_add_co_i32 s0, s0, 1
	s_delay_alu instid0(SALU_CYCLE_1)
	s_cmp_lg_u32 s14, s0
	s_cbranch_scc1 .LBB10_64
.LBB10_65:
	s_wait_dscnt 0x0
	v_cmp_eq_f32_e32 vcc_lo, 0, v18
	v_cmp_eq_f32_e64 s0, 0, v19
	s_and_b32 s0, vcc_lo, s0
	s_delay_alu instid0(SALU_CYCLE_1) | instskip(NEXT) | instid1(SALU_CYCLE_1)
	s_and_saveexec_b32 s1, s0
	s_xor_b32 s0, exec_lo, s1
; %bb.66:
	v_cmp_ne_u32_e32 vcc_lo, 0, v25
	v_cndmask_b32_e32 v25, 4, v25, vcc_lo
; %bb.67:
	s_and_not1_saveexec_b32 s0, s0
	s_cbranch_execz .LBB10_73
; %bb.68:
	v_cmp_ngt_f32_e64 s1, |v18|, |v19|
	s_and_saveexec_b32 s15, s1
	s_delay_alu instid0(SALU_CYCLE_1)
	s_xor_b32 s1, exec_lo, s15
	s_cbranch_execz .LBB10_70
; %bb.69:
	v_div_scale_f32 v26, null, v19, v19, v18
	v_div_scale_f32 v29, vcc_lo, v18, v19, v18
	s_delay_alu instid0(VALU_DEP_2) | instskip(SKIP_1) | instid1(TRANS32_DEP_1)
	v_rcp_f32_e32 v27, v26
	v_nop
	v_fma_f32 v28, -v26, v27, 1.0
	s_delay_alu instid0(VALU_DEP_1) | instskip(NEXT) | instid1(VALU_DEP_1)
	v_fmac_f32_e32 v27, v28, v27
	v_mul_f32_e32 v28, v29, v27
	s_delay_alu instid0(VALU_DEP_1) | instskip(NEXT) | instid1(VALU_DEP_1)
	v_fma_f32 v30, -v26, v28, v29
	v_fmac_f32_e32 v28, v30, v27
	s_delay_alu instid0(VALU_DEP_1) | instskip(NEXT) | instid1(VALU_DEP_1)
	v_fma_f32 v26, -v26, v28, v29
	v_div_fmas_f32 v26, v26, v27, v28
	s_delay_alu instid0(VALU_DEP_1) | instskip(NEXT) | instid1(VALU_DEP_1)
	v_div_fixup_f32 v26, v26, v19, v18
	v_fmac_f32_e32 v19, v18, v26
	s_delay_alu instid0(VALU_DEP_1) | instskip(SKIP_1) | instid1(VALU_DEP_2)
	v_div_scale_f32 v18, null, v19, v19, 1.0
	v_div_scale_f32 v29, vcc_lo, 1.0, v19, 1.0
	v_rcp_f32_e32 v27, v18
	v_nop
	s_delay_alu instid0(TRANS32_DEP_1) | instskip(NEXT) | instid1(VALU_DEP_1)
	v_fma_f32 v28, -v18, v27, 1.0
	v_fmac_f32_e32 v27, v28, v27
	s_delay_alu instid0(VALU_DEP_1) | instskip(NEXT) | instid1(VALU_DEP_1)
	v_mul_f32_e32 v28, v29, v27
	v_fma_f32 v30, -v18, v28, v29
	s_delay_alu instid0(VALU_DEP_1) | instskip(NEXT) | instid1(VALU_DEP_1)
	v_fmac_f32_e32 v28, v30, v27
	v_fma_f32 v18, -v18, v28, v29
	s_delay_alu instid0(VALU_DEP_1) | instskip(NEXT) | instid1(VALU_DEP_1)
	v_div_fmas_f32 v18, v18, v27, v28
	v_div_fixup_f32 v19, v18, v19, 1.0
	s_delay_alu instid0(VALU_DEP_1)
	v_mul_f32_e32 v18, v26, v19
	v_xor_b32_e32 v19, 0x80000000, v19
.LBB10_70:
	s_and_not1_saveexec_b32 s1, s1
	s_cbranch_execz .LBB10_72
; %bb.71:
	s_delay_alu instid0(VALU_DEP_1) | instskip(SKIP_1) | instid1(VALU_DEP_2)
	v_div_scale_f32 v26, null, v18, v18, v19
	v_div_scale_f32 v29, vcc_lo, v19, v18, v19
	v_rcp_f32_e32 v27, v26
	v_nop
	s_delay_alu instid0(TRANS32_DEP_1) | instskip(NEXT) | instid1(VALU_DEP_1)
	v_fma_f32 v28, -v26, v27, 1.0
	v_fmac_f32_e32 v27, v28, v27
	s_delay_alu instid0(VALU_DEP_1) | instskip(NEXT) | instid1(VALU_DEP_1)
	v_mul_f32_e32 v28, v29, v27
	v_fma_f32 v30, -v26, v28, v29
	s_delay_alu instid0(VALU_DEP_1) | instskip(NEXT) | instid1(VALU_DEP_1)
	v_fmac_f32_e32 v28, v30, v27
	v_fma_f32 v26, -v26, v28, v29
	s_delay_alu instid0(VALU_DEP_1) | instskip(NEXT) | instid1(VALU_DEP_1)
	v_div_fmas_f32 v26, v26, v27, v28
	v_div_fixup_f32 v26, v26, v18, v19
	s_delay_alu instid0(VALU_DEP_1) | instskip(NEXT) | instid1(VALU_DEP_1)
	v_fmac_f32_e32 v18, v19, v26
	v_div_scale_f32 v19, null, v18, v18, 1.0
	s_delay_alu instid0(VALU_DEP_1) | instskip(SKIP_1) | instid1(TRANS32_DEP_1)
	v_rcp_f32_e32 v27, v19
	v_nop
	v_fma_f32 v28, -v19, v27, 1.0
	s_delay_alu instid0(VALU_DEP_1) | instskip(SKIP_1) | instid1(VALU_DEP_1)
	v_fmac_f32_e32 v27, v28, v27
	v_div_scale_f32 v28, vcc_lo, 1.0, v18, 1.0
	v_mul_f32_e32 v29, v28, v27
	s_delay_alu instid0(VALU_DEP_1) | instskip(NEXT) | instid1(VALU_DEP_1)
	v_fma_f32 v30, -v19, v29, v28
	v_fmac_f32_e32 v29, v30, v27
	s_delay_alu instid0(VALU_DEP_1) | instskip(NEXT) | instid1(VALU_DEP_1)
	v_fma_f32 v19, -v19, v29, v28
	v_div_fmas_f32 v19, v19, v27, v29
	s_delay_alu instid0(VALU_DEP_1) | instskip(NEXT) | instid1(VALU_DEP_1)
	v_div_fixup_f32 v18, v19, v18, 1.0
	v_mul_f32_e64 v19, v26, -v18
.LBB10_72:
	s_or_b32 exec_lo, exec_lo, s1
.LBB10_73:
	s_delay_alu instid0(SALU_CYCLE_1) | instskip(NEXT) | instid1(SALU_CYCLE_1)
	s_or_b32 exec_lo, exec_lo, s0
	s_mov_b32 s0, exec_lo
	v_cmpx_ne_u32_e64 v21, v20
	s_xor_b32 s0, exec_lo, s0
	s_cbranch_execz .LBB10_79
; %bb.74:
	s_mov_b32 s1, exec_lo
	v_cmpx_eq_u32_e32 3, v21
	s_cbranch_execz .LBB10_78
; %bb.75:
	v_cmp_ne_u32_e32 vcc_lo, 3, v20
	s_xor_b32 s15, s2, -1
	s_delay_alu instid0(SALU_CYCLE_1) | instskip(NEXT) | instid1(SALU_CYCLE_1)
	s_and_b32 s16, s15, vcc_lo
	s_and_saveexec_b32 s15, s16
	s_cbranch_execz .LBB10_77
; %bb.76:
	v_ashrrev_i32_e32 v21, 31, v20
	s_delay_alu instid0(VALU_DEP_1)
	v_lshl_add_u64 v[26:27], v[20:21], 2, v[16:17]
	s_clause 0x1
	global_load_b32 v21, v[26:27], off
	global_load_b32 v24, v[16:17], off offset:12
	s_wait_loadcnt 0x1
	global_store_b32 v[16:17], v21, off offset:12
	s_wait_loadcnt 0x0
	global_store_b32 v[26:27], v24, off
.LBB10_77:
	s_wait_xcnt 0x0
	s_or_b32 exec_lo, exec_lo, s15
	v_dual_mov_b32 v21, v20 :: v_dual_mov_b32 v24, v20
.LBB10_78:
	s_or_b32 exec_lo, exec_lo, s1
.LBB10_79:
	s_and_not1_saveexec_b32 s0, s0
; %bb.80:
	v_dual_mov_b32 v26, v12 :: v_dual_mov_b32 v27, v13
	v_mov_b32_e32 v21, 3
	ds_store_2addr_b64 v22, v[26:27], v[14:15] offset0:4 offset1:5
; %bb.81:
	s_or_b32 exec_lo, exec_lo, s0
	s_delay_alu instid0(SALU_CYCLE_1)
	s_mov_b32 s0, exec_lo
	s_wait_storecnt_dscnt 0x0
	s_barrier_signal -1
	s_barrier_wait -1
	v_cmpx_lt_i32_e32 3, v21
	s_cbranch_execz .LBB10_83
; %bb.82:
	ds_load_2addr_b64 v[26:29], v22 offset0:4 offset1:5
	v_pk_mul_f32 v[30:31], v[18:19], v[4:5] op_sel:[1,1] op_sel_hi:[0,1]
	s_delay_alu instid0(VALU_DEP_1) | instskip(SKIP_3) | instid1(VALU_DEP_3)
	v_pk_fma_f32 v[32:33], v[18:19], v[4:5], v[30:31] op_sel_hi:[1,0,1]
	v_pk_fma_f32 v[4:5], v[18:19], v[4:5], v[30:31] op_sel_hi:[1,0,1] neg_lo:[0,0,1] neg_hi:[0,0,1]
	s_wait_dscnt 0x0
	v_dual_mov_b32 v34, v29 :: v_dual_mov_b32 v35, v28
	v_pk_mul_f32 v[18:19], v[26:27], v[32:33] op_sel:[0,1]
	s_delay_alu instid0(VALU_DEP_2) | instskip(NEXT) | instid1(VALU_DEP_2)
	v_pk_mul_f32 v[30:31], v[34:35], v[32:33] op_sel:[0,1]
	v_pk_fma_f32 v[34:35], v[26:27], v[4:5], v[18:19] op_sel:[0,0,1] op_sel_hi:[1,0,0]
	v_pk_fma_f32 v[18:19], v[26:27], v[4:5], v[18:19] op_sel:[0,0,1] op_sel_hi:[1,1,0] neg_lo:[0,0,1] neg_hi:[0,0,1]
	s_delay_alu instid0(VALU_DEP_3) | instskip(SKIP_1) | instid1(VALU_DEP_4)
	v_pk_fma_f32 v[36:37], v[28:29], v[4:5], v[30:31] op_sel_hi:[1,0,1]
	v_pk_fma_f32 v[26:27], v[28:29], v[4:5], v[30:31] neg_lo:[0,0,1] neg_hi:[0,0,1]
	v_dual_mov_b32 v19, v35 :: v_dual_mov_b32 v5, v33
	s_delay_alu instid0(VALU_DEP_3) | instskip(NEXT) | instid1(VALU_DEP_2)
	v_mov_b32_e32 v27, v37
	v_pk_add_f32 v[12:13], v[12:13], v[18:19] neg_lo:[0,1] neg_hi:[0,1]
	s_delay_alu instid0(VALU_DEP_2)
	v_pk_add_f32 v[14:15], v[14:15], v[26:27] neg_lo:[0,1] neg_hi:[0,1]
.LBB10_83:
	s_or_b32 exec_lo, exec_lo, s0
	v_lshl_add_u32 v18, v21, 3, v22
	s_barrier_signal -1
	s_barrier_wait -1
	ds_store_b64 v18, v[12:13]
	s_wait_dscnt 0x0
	s_barrier_signal -1
	s_barrier_wait -1
	ds_load_b64 v[18:19], v22 offset:32
	v_mov_b32_e32 v20, 4
	s_cmp_lt_i32 s14, 6
	s_cbranch_scc1 .LBB10_86
; %bb.84:
	v_add3_u32 v26, v23, 0, 40
	v_mov_b32_e32 v20, 4
	s_mov_b32 s0, 5
.LBB10_85:                              ; =>This Inner Loop Header: Depth=1
	ds_load_b64 v[28:29], v26
	s_wait_dscnt 0x1
	v_cmp_gt_f32_e32 vcc_lo, 0, v18
	v_cndmask_b32_e64 v30, v18, -v18, vcc_lo
	v_cmp_gt_f32_e32 vcc_lo, 0, v19
	v_cndmask_b32_e64 v32, v19, -v19, vcc_lo
	s_wait_dscnt 0x0
	v_cmp_gt_f32_e32 vcc_lo, 0, v28
	v_cndmask_b32_e64 v31, v28, -v28, vcc_lo
	v_cmp_gt_f32_e32 vcc_lo, 0, v29
	v_cndmask_b32_e64 v33, v29, -v29, vcc_lo
	s_delay_alu instid0(VALU_DEP_1) | instskip(NEXT) | instid1(VALU_DEP_1)
	v_pk_add_f32 v[30:31], v[30:31], v[32:33]
	v_cmp_lt_f32_e32 vcc_lo, v30, v31
	v_dual_cndmask_b32 v19, v19, v29 :: v_dual_add_nc_u32 v26, 8, v26
	v_cndmask_b32_e32 v18, v18, v28, vcc_lo
	v_cndmask_b32_e64 v20, v20, s0, vcc_lo
	s_add_co_i32 s0, s0, 1
	s_delay_alu instid0(SALU_CYCLE_1)
	s_cmp_lg_u32 s14, s0
	s_cbranch_scc1 .LBB10_85
.LBB10_86:
	s_wait_dscnt 0x0
	v_cmp_eq_f32_e32 vcc_lo, 0, v18
	v_cmp_eq_f32_e64 s0, 0, v19
	s_and_b32 s0, vcc_lo, s0
	s_delay_alu instid0(SALU_CYCLE_1) | instskip(NEXT) | instid1(SALU_CYCLE_1)
	s_and_saveexec_b32 s1, s0
	s_xor_b32 s0, exec_lo, s1
; %bb.87:
	v_cmp_ne_u32_e32 vcc_lo, 0, v25
	v_cndmask_b32_e32 v25, 5, v25, vcc_lo
; %bb.88:
	s_and_not1_saveexec_b32 s0, s0
	s_cbranch_execz .LBB10_94
; %bb.89:
	v_cmp_ngt_f32_e64 s1, |v18|, |v19|
	s_and_saveexec_b32 s15, s1
	s_delay_alu instid0(SALU_CYCLE_1)
	s_xor_b32 s1, exec_lo, s15
	s_cbranch_execz .LBB10_91
; %bb.90:
	v_div_scale_f32 v26, null, v19, v19, v18
	v_div_scale_f32 v29, vcc_lo, v18, v19, v18
	s_delay_alu instid0(VALU_DEP_2) | instskip(SKIP_1) | instid1(TRANS32_DEP_1)
	v_rcp_f32_e32 v27, v26
	v_nop
	v_fma_f32 v28, -v26, v27, 1.0
	s_delay_alu instid0(VALU_DEP_1) | instskip(NEXT) | instid1(VALU_DEP_1)
	v_fmac_f32_e32 v27, v28, v27
	v_mul_f32_e32 v28, v29, v27
	s_delay_alu instid0(VALU_DEP_1) | instskip(NEXT) | instid1(VALU_DEP_1)
	v_fma_f32 v30, -v26, v28, v29
	v_fmac_f32_e32 v28, v30, v27
	s_delay_alu instid0(VALU_DEP_1) | instskip(NEXT) | instid1(VALU_DEP_1)
	v_fma_f32 v26, -v26, v28, v29
	v_div_fmas_f32 v26, v26, v27, v28
	s_delay_alu instid0(VALU_DEP_1) | instskip(NEXT) | instid1(VALU_DEP_1)
	v_div_fixup_f32 v26, v26, v19, v18
	v_fmac_f32_e32 v19, v18, v26
	s_delay_alu instid0(VALU_DEP_1) | instskip(SKIP_1) | instid1(VALU_DEP_2)
	v_div_scale_f32 v18, null, v19, v19, 1.0
	v_div_scale_f32 v29, vcc_lo, 1.0, v19, 1.0
	v_rcp_f32_e32 v27, v18
	v_nop
	s_delay_alu instid0(TRANS32_DEP_1) | instskip(NEXT) | instid1(VALU_DEP_1)
	v_fma_f32 v28, -v18, v27, 1.0
	v_fmac_f32_e32 v27, v28, v27
	s_delay_alu instid0(VALU_DEP_1) | instskip(NEXT) | instid1(VALU_DEP_1)
	v_mul_f32_e32 v28, v29, v27
	v_fma_f32 v30, -v18, v28, v29
	s_delay_alu instid0(VALU_DEP_1) | instskip(NEXT) | instid1(VALU_DEP_1)
	v_fmac_f32_e32 v28, v30, v27
	v_fma_f32 v18, -v18, v28, v29
	s_delay_alu instid0(VALU_DEP_1) | instskip(NEXT) | instid1(VALU_DEP_1)
	v_div_fmas_f32 v18, v18, v27, v28
	v_div_fixup_f32 v19, v18, v19, 1.0
	s_delay_alu instid0(VALU_DEP_1)
	v_mul_f32_e32 v18, v26, v19
	v_xor_b32_e32 v19, 0x80000000, v19
.LBB10_91:
	s_and_not1_saveexec_b32 s1, s1
	s_cbranch_execz .LBB10_93
; %bb.92:
	s_delay_alu instid0(VALU_DEP_1) | instskip(SKIP_1) | instid1(VALU_DEP_2)
	v_div_scale_f32 v26, null, v18, v18, v19
	v_div_scale_f32 v29, vcc_lo, v19, v18, v19
	v_rcp_f32_e32 v27, v26
	v_nop
	s_delay_alu instid0(TRANS32_DEP_1) | instskip(NEXT) | instid1(VALU_DEP_1)
	v_fma_f32 v28, -v26, v27, 1.0
	v_fmac_f32_e32 v27, v28, v27
	s_delay_alu instid0(VALU_DEP_1) | instskip(NEXT) | instid1(VALU_DEP_1)
	v_mul_f32_e32 v28, v29, v27
	v_fma_f32 v30, -v26, v28, v29
	s_delay_alu instid0(VALU_DEP_1) | instskip(NEXT) | instid1(VALU_DEP_1)
	v_fmac_f32_e32 v28, v30, v27
	v_fma_f32 v26, -v26, v28, v29
	s_delay_alu instid0(VALU_DEP_1) | instskip(NEXT) | instid1(VALU_DEP_1)
	v_div_fmas_f32 v26, v26, v27, v28
	v_div_fixup_f32 v26, v26, v18, v19
	s_delay_alu instid0(VALU_DEP_1) | instskip(NEXT) | instid1(VALU_DEP_1)
	v_fmac_f32_e32 v18, v19, v26
	v_div_scale_f32 v19, null, v18, v18, 1.0
	s_delay_alu instid0(VALU_DEP_1) | instskip(SKIP_1) | instid1(TRANS32_DEP_1)
	v_rcp_f32_e32 v27, v19
	v_nop
	v_fma_f32 v28, -v19, v27, 1.0
	s_delay_alu instid0(VALU_DEP_1) | instskip(SKIP_1) | instid1(VALU_DEP_1)
	v_fmac_f32_e32 v27, v28, v27
	v_div_scale_f32 v28, vcc_lo, 1.0, v18, 1.0
	v_mul_f32_e32 v29, v28, v27
	s_delay_alu instid0(VALU_DEP_1) | instskip(NEXT) | instid1(VALU_DEP_1)
	v_fma_f32 v30, -v19, v29, v28
	v_fmac_f32_e32 v29, v30, v27
	s_delay_alu instid0(VALU_DEP_1) | instskip(NEXT) | instid1(VALU_DEP_1)
	v_fma_f32 v19, -v19, v29, v28
	v_div_fmas_f32 v19, v19, v27, v29
	s_delay_alu instid0(VALU_DEP_1) | instskip(NEXT) | instid1(VALU_DEP_1)
	v_div_fixup_f32 v18, v19, v18, 1.0
	v_mul_f32_e64 v19, v26, -v18
.LBB10_93:
	s_or_b32 exec_lo, exec_lo, s1
.LBB10_94:
	s_delay_alu instid0(SALU_CYCLE_1) | instskip(NEXT) | instid1(SALU_CYCLE_1)
	s_or_b32 exec_lo, exec_lo, s0
	s_mov_b32 s0, exec_lo
	v_cmpx_ne_u32_e64 v21, v20
	s_xor_b32 s0, exec_lo, s0
	s_cbranch_execz .LBB10_100
; %bb.95:
	s_mov_b32 s1, exec_lo
	v_cmpx_eq_u32_e32 4, v21
	s_cbranch_execz .LBB10_99
; %bb.96:
	v_cmp_ne_u32_e32 vcc_lo, 4, v20
	s_xor_b32 s15, s2, -1
	s_delay_alu instid0(SALU_CYCLE_1) | instskip(NEXT) | instid1(SALU_CYCLE_1)
	s_and_b32 s16, s15, vcc_lo
	s_and_saveexec_b32 s15, s16
	s_cbranch_execz .LBB10_98
; %bb.97:
	v_ashrrev_i32_e32 v21, 31, v20
	s_delay_alu instid0(VALU_DEP_1)
	v_lshl_add_u64 v[26:27], v[20:21], 2, v[16:17]
	s_clause 0x1
	global_load_b32 v21, v[26:27], off
	global_load_b32 v24, v[16:17], off offset:16
	s_wait_loadcnt 0x1
	global_store_b32 v[16:17], v21, off offset:16
	s_wait_loadcnt 0x0
	global_store_b32 v[26:27], v24, off
.LBB10_98:
	s_wait_xcnt 0x0
	s_or_b32 exec_lo, exec_lo, s15
	v_dual_mov_b32 v21, v20 :: v_dual_mov_b32 v24, v20
.LBB10_99:
	s_or_b32 exec_lo, exec_lo, s1
.LBB10_100:
	s_and_not1_saveexec_b32 s0, s0
; %bb.101:
	v_mov_b32_e32 v21, 4
	ds_store_b64 v22, v[14:15] offset:40
; %bb.102:
	s_or_b32 exec_lo, exec_lo, s0
	s_delay_alu instid0(SALU_CYCLE_1)
	s_mov_b32 s0, exec_lo
	s_wait_storecnt_dscnt 0x0
	s_barrier_signal -1
	s_barrier_wait -1
	v_cmpx_lt_i32_e32 4, v21
	s_cbranch_execz .LBB10_104
; %bb.103:
	ds_load_b64 v[26:27], v22 offset:40
	v_pk_mul_f32 v[28:29], v[18:19], v[12:13] op_sel:[1,1] op_sel_hi:[0,1]
	s_delay_alu instid0(VALU_DEP_1) | instskip(SKIP_2) | instid1(VALU_DEP_2)
	v_pk_fma_f32 v[30:31], v[18:19], v[12:13], v[28:29] op_sel_hi:[1,0,1]
	v_pk_fma_f32 v[12:13], v[18:19], v[12:13], v[28:29] op_sel_hi:[1,0,1] neg_lo:[0,0,1] neg_hi:[0,0,1]
	s_wait_dscnt 0x0
	v_pk_mul_f32 v[18:19], v[26:27], v[30:31] op_sel:[1,1] op_sel_hi:[0,1]
	s_delay_alu instid0(VALU_DEP_1) | instskip(SKIP_1) | instid1(VALU_DEP_2)
	v_pk_fma_f32 v[28:29], v[26:27], v[12:13], v[18:19] op_sel_hi:[1,0,1]
	v_pk_fma_f32 v[18:19], v[26:27], v[12:13], v[18:19] neg_lo:[0,0,1] neg_hi:[0,0,1]
	v_dual_mov_b32 v13, v31 :: v_dual_mov_b32 v19, v29
	s_delay_alu instid0(VALU_DEP_1)
	v_pk_add_f32 v[14:15], v[14:15], v[18:19] neg_lo:[0,1] neg_hi:[0,1]
.LBB10_104:
	s_or_b32 exec_lo, exec_lo, s0
	v_lshl_add_u32 v18, v21, 3, v22
	s_barrier_signal -1
	s_barrier_wait -1
	ds_store_b64 v18, v[14:15]
	s_wait_dscnt 0x0
	s_barrier_signal -1
	s_barrier_wait -1
	ds_load_b64 v[18:19], v22 offset:40
	v_mov_b32_e32 v20, 5
	s_cmp_lt_i32 s14, 7
	s_cbranch_scc1 .LBB10_107
; %bb.105:
	v_add3_u32 v22, v23, 0, 48
	v_mov_b32_e32 v20, 5
	s_mov_b32 s0, 6
.LBB10_106:                             ; =>This Inner Loop Header: Depth=1
	ds_load_b64 v[26:27], v22
	s_wait_dscnt 0x1
	v_cmp_gt_f32_e32 vcc_lo, 0, v18
	v_cndmask_b32_e64 v28, v18, -v18, vcc_lo
	v_cmp_gt_f32_e32 vcc_lo, 0, v19
	v_cndmask_b32_e64 v30, v19, -v19, vcc_lo
	s_wait_dscnt 0x0
	v_cmp_gt_f32_e32 vcc_lo, 0, v26
	v_cndmask_b32_e64 v29, v26, -v26, vcc_lo
	v_cmp_gt_f32_e32 vcc_lo, 0, v27
	v_cndmask_b32_e64 v31, v27, -v27, vcc_lo
	s_delay_alu instid0(VALU_DEP_1) | instskip(NEXT) | instid1(VALU_DEP_1)
	v_pk_add_f32 v[28:29], v[28:29], v[30:31]
	v_cmp_lt_f32_e32 vcc_lo, v28, v29
	v_dual_cndmask_b32 v19, v19, v27 :: v_dual_add_nc_u32 v22, 8, v22
	v_cndmask_b32_e32 v18, v18, v26, vcc_lo
	v_cndmask_b32_e64 v20, v20, s0, vcc_lo
	s_add_co_i32 s0, s0, 1
	s_delay_alu instid0(SALU_CYCLE_1)
	s_cmp_lg_u32 s14, s0
	s_cbranch_scc1 .LBB10_106
.LBB10_107:
	s_wait_dscnt 0x0
	v_cmp_eq_f32_e32 vcc_lo, 0, v18
	v_cmp_eq_f32_e64 s0, 0, v19
	s_and_b32 s0, vcc_lo, s0
	s_delay_alu instid0(SALU_CYCLE_1) | instskip(NEXT) | instid1(SALU_CYCLE_1)
	s_and_saveexec_b32 s1, s0
	s_xor_b32 s0, exec_lo, s1
; %bb.108:
	v_cmp_ne_u32_e32 vcc_lo, 0, v25
	v_cndmask_b32_e32 v25, 6, v25, vcc_lo
; %bb.109:
	s_and_not1_saveexec_b32 s0, s0
	s_cbranch_execz .LBB10_115
; %bb.110:
	v_cmp_ngt_f32_e64 s1, |v18|, |v19|
	s_and_saveexec_b32 s14, s1
	s_delay_alu instid0(SALU_CYCLE_1)
	s_xor_b32 s1, exec_lo, s14
	s_cbranch_execz .LBB10_112
; %bb.111:
	v_div_scale_f32 v22, null, v19, v19, v18
	v_div_scale_f32 v27, vcc_lo, v18, v19, v18
	s_delay_alu instid0(VALU_DEP_2) | instskip(SKIP_1) | instid1(TRANS32_DEP_1)
	v_rcp_f32_e32 v23, v22
	v_nop
	v_fma_f32 v26, -v22, v23, 1.0
	s_delay_alu instid0(VALU_DEP_1) | instskip(NEXT) | instid1(VALU_DEP_1)
	v_fmac_f32_e32 v23, v26, v23
	v_mul_f32_e32 v26, v27, v23
	s_delay_alu instid0(VALU_DEP_1) | instskip(NEXT) | instid1(VALU_DEP_1)
	v_fma_f32 v28, -v22, v26, v27
	v_fmac_f32_e32 v26, v28, v23
	s_delay_alu instid0(VALU_DEP_1) | instskip(NEXT) | instid1(VALU_DEP_1)
	v_fma_f32 v22, -v22, v26, v27
	v_div_fmas_f32 v22, v22, v23, v26
	s_delay_alu instid0(VALU_DEP_1) | instskip(NEXT) | instid1(VALU_DEP_1)
	v_div_fixup_f32 v22, v22, v19, v18
	v_fmac_f32_e32 v19, v18, v22
	s_delay_alu instid0(VALU_DEP_1) | instskip(SKIP_1) | instid1(VALU_DEP_2)
	v_div_scale_f32 v18, null, v19, v19, 1.0
	v_div_scale_f32 v27, vcc_lo, 1.0, v19, 1.0
	v_rcp_f32_e32 v23, v18
	v_nop
	s_delay_alu instid0(TRANS32_DEP_1) | instskip(NEXT) | instid1(VALU_DEP_1)
	v_fma_f32 v26, -v18, v23, 1.0
	v_fmac_f32_e32 v23, v26, v23
	s_delay_alu instid0(VALU_DEP_1) | instskip(NEXT) | instid1(VALU_DEP_1)
	v_mul_f32_e32 v26, v27, v23
	v_fma_f32 v28, -v18, v26, v27
	s_delay_alu instid0(VALU_DEP_1) | instskip(NEXT) | instid1(VALU_DEP_1)
	v_fmac_f32_e32 v26, v28, v23
	v_fma_f32 v18, -v18, v26, v27
	s_delay_alu instid0(VALU_DEP_1) | instskip(NEXT) | instid1(VALU_DEP_1)
	v_div_fmas_f32 v18, v18, v23, v26
	v_div_fixup_f32 v19, v18, v19, 1.0
	s_delay_alu instid0(VALU_DEP_1)
	v_mul_f32_e32 v18, v22, v19
	v_xor_b32_e32 v19, 0x80000000, v19
.LBB10_112:
	s_and_not1_saveexec_b32 s1, s1
	s_cbranch_execz .LBB10_114
; %bb.113:
	s_delay_alu instid0(VALU_DEP_1) | instskip(SKIP_1) | instid1(VALU_DEP_2)
	v_div_scale_f32 v22, null, v18, v18, v19
	v_div_scale_f32 v27, vcc_lo, v19, v18, v19
	v_rcp_f32_e32 v23, v22
	v_nop
	s_delay_alu instid0(TRANS32_DEP_1) | instskip(NEXT) | instid1(VALU_DEP_1)
	v_fma_f32 v26, -v22, v23, 1.0
	v_fmac_f32_e32 v23, v26, v23
	s_delay_alu instid0(VALU_DEP_1) | instskip(NEXT) | instid1(VALU_DEP_1)
	v_mul_f32_e32 v26, v27, v23
	v_fma_f32 v28, -v22, v26, v27
	s_delay_alu instid0(VALU_DEP_1) | instskip(NEXT) | instid1(VALU_DEP_1)
	v_fmac_f32_e32 v26, v28, v23
	v_fma_f32 v22, -v22, v26, v27
	s_delay_alu instid0(VALU_DEP_1) | instskip(NEXT) | instid1(VALU_DEP_1)
	v_div_fmas_f32 v22, v22, v23, v26
	v_div_fixup_f32 v22, v22, v18, v19
	s_delay_alu instid0(VALU_DEP_1) | instskip(NEXT) | instid1(VALU_DEP_1)
	v_fmac_f32_e32 v18, v19, v22
	v_div_scale_f32 v19, null, v18, v18, 1.0
	s_delay_alu instid0(VALU_DEP_1) | instskip(SKIP_1) | instid1(TRANS32_DEP_1)
	v_rcp_f32_e32 v23, v19
	v_nop
	v_fma_f32 v26, -v19, v23, 1.0
	s_delay_alu instid0(VALU_DEP_1) | instskip(SKIP_1) | instid1(VALU_DEP_1)
	v_fmac_f32_e32 v23, v26, v23
	v_div_scale_f32 v26, vcc_lo, 1.0, v18, 1.0
	v_mul_f32_e32 v27, v26, v23
	s_delay_alu instid0(VALU_DEP_1) | instskip(NEXT) | instid1(VALU_DEP_1)
	v_fma_f32 v28, -v19, v27, v26
	v_fmac_f32_e32 v27, v28, v23
	s_delay_alu instid0(VALU_DEP_1) | instskip(NEXT) | instid1(VALU_DEP_1)
	v_fma_f32 v19, -v19, v27, v26
	v_div_fmas_f32 v19, v19, v23, v27
	s_delay_alu instid0(VALU_DEP_1) | instskip(NEXT) | instid1(VALU_DEP_1)
	v_div_fixup_f32 v18, v19, v18, 1.0
	v_mul_f32_e64 v19, v22, -v18
.LBB10_114:
	s_or_b32 exec_lo, exec_lo, s1
.LBB10_115:
	s_delay_alu instid0(SALU_CYCLE_1)
	s_or_b32 exec_lo, exec_lo, s0
	v_mov_b32_e32 v22, 5
	s_mov_b32 s0, exec_lo
	v_cmpx_ne_u32_e64 v21, v20
	s_cbranch_execz .LBB10_121
; %bb.116:
	s_mov_b32 s1, exec_lo
	v_cmpx_eq_u32_e32 5, v21
	s_cbranch_execz .LBB10_120
; %bb.117:
	v_cmp_ne_u32_e32 vcc_lo, 5, v20
	s_xor_b32 s2, s2, -1
	s_delay_alu instid0(SALU_CYCLE_1) | instskip(NEXT) | instid1(SALU_CYCLE_1)
	s_and_b32 s14, s2, vcc_lo
	s_and_saveexec_b32 s2, s14
	s_cbranch_execz .LBB10_119
; %bb.118:
	v_ashrrev_i32_e32 v21, 31, v20
	s_delay_alu instid0(VALU_DEP_1)
	v_lshl_add_u64 v[22:23], v[20:21], 2, v[16:17]
	s_clause 0x1
	global_load_b32 v21, v[22:23], off
	global_load_b32 v24, v[16:17], off offset:20
	s_wait_loadcnt 0x1
	global_store_b32 v[16:17], v21, off offset:20
	s_wait_loadcnt 0x0
	global_store_b32 v[22:23], v24, off
.LBB10_119:
	s_wait_xcnt 0x0
	s_or_b32 exec_lo, exec_lo, s2
	v_dual_mov_b32 v21, v20 :: v_dual_mov_b32 v24, v20
.LBB10_120:
	s_or_b32 exec_lo, exec_lo, s1
	s_delay_alu instid0(VALU_DEP_1)
	v_mov_b32_e32 v22, v21
.LBB10_121:
	s_or_b32 exec_lo, exec_lo, s0
	s_delay_alu instid0(VALU_DEP_1)
	v_ashrrev_i32_e32 v23, 31, v22
	s_mov_b32 s0, exec_lo
	s_wait_storecnt 0x0
	s_barrier_signal -1
	s_barrier_wait -1
	s_barrier_signal -1
	s_barrier_wait -1
	v_cmpx_gt_i32_e32 6, v22
	s_cbranch_execz .LBB10_123
; %bb.122:
	v_mul_u64_e32 v[16:17], s[10:11], v[2:3]
	v_add3_u32 v20, v24, s3, 1
	s_delay_alu instid0(VALU_DEP_2) | instskip(NEXT) | instid1(VALU_DEP_1)
	v_lshl_add_u64 v[16:17], v[16:17], 2, s[6:7]
	v_lshl_add_u64 v[16:17], s[8:9], 2, v[16:17]
	s_delay_alu instid0(VALU_DEP_1)
	v_lshl_add_u64 v[16:17], v[22:23], 2, v[16:17]
	global_store_b32 v[16:17], v20, off
.LBB10_123:
	s_wait_xcnt 0x0
	s_or_b32 exec_lo, exec_lo, s0
	s_delay_alu instid0(SALU_CYCLE_1)
	s_mov_b32 s1, exec_lo
	v_cmpx_eq_u32_e32 0, v22
	s_cbranch_execz .LBB10_126
; %bb.124:
	s_wait_kmcnt 0x0
	v_lshl_add_u64 v[2:3], v[2:3], 2, s[12:13]
	v_cmp_ne_u32_e64 s0, 0, v25
	global_load_b32 v16, v[2:3], off
	s_wait_loadcnt 0x0
	v_cmp_eq_u32_e32 vcc_lo, 0, v16
	s_and_b32 s0, vcc_lo, s0
	s_wait_xcnt 0x0
	s_and_b32 exec_lo, exec_lo, s0
	s_cbranch_execz .LBB10_126
; %bb.125:
	v_add_nc_u32_e32 v16, s3, v25
	global_store_b32 v[2:3], v16, off
.LBB10_126:
	s_wait_xcnt 0x0
	s_or_b32 exec_lo, exec_lo, s1
	v_add3_u32 v2, s4, s4, v22
	v_pk_mul_f32 v[16:17], v[18:19], v[14:15] op_sel:[1,1] op_sel_hi:[0,1]
	v_cmp_lt_i32_e32 vcc_lo, 5, v22
	v_lshl_add_u64 v[22:23], v[22:23], 3, v[0:1]
	s_delay_alu instid0(VALU_DEP_4) | instskip(NEXT) | instid1(VALU_DEP_4)
	v_ashrrev_i32_e32 v3, 31, v2
	v_pk_fma_f32 v[24:25], v[18:19], v[14:15], v[16:17] op_sel_hi:[1,0,1]
	v_add_nc_u32_e32 v20, s4, v2
	v_pk_fma_f32 v[16:17], v[18:19], v[14:15], v[16:17] neg_lo:[0,0,1] neg_hi:[0,0,1]
	global_store_b64 v[22:23], v[10:11], off
	s_wait_xcnt 0x0
	v_lshl_add_u64 v[10:11], s[4:5], 3, v[22:23]
	v_dual_cndmask_b32 v15, v15, v25 :: v_dual_add_nc_u32 v18, s4, v20
	v_cndmask_b32_e32 v14, v14, v16, vcc_lo
	v_ashrrev_i32_e32 v21, 31, v20
	v_lshl_add_u64 v[2:3], v[2:3], 3, v[0:1]
	s_delay_alu instid0(VALU_DEP_4) | instskip(NEXT) | instid1(VALU_DEP_3)
	v_dual_add_nc_u32 v16, s4, v18 :: v_dual_ashrrev_i32 v19, 31, v18
	v_lshl_add_u64 v[20:21], v[20:21], 3, v[0:1]
	s_delay_alu instid0(VALU_DEP_2) | instskip(NEXT) | instid1(VALU_DEP_3)
	v_ashrrev_i32_e32 v17, 31, v16
	v_lshl_add_u64 v[18:19], v[18:19], 3, v[0:1]
	s_delay_alu instid0(VALU_DEP_2)
	v_lshl_add_u64 v[0:1], v[16:17], 3, v[0:1]
	s_clause 0x4
	global_store_b64 v[10:11], v[8:9], off
	global_store_b64 v[2:3], v[6:7], off
	global_store_b64 v[20:21], v[4:5], off
	global_store_b64 v[18:19], v[12:13], off
	global_store_b64 v[0:1], v[14:15], off
.LBB10_127:
	s_endpgm
	.section	.rodata,"a",@progbits
	.p2align	6, 0x0
	.amdhsa_kernel _ZN9rocsolver6v33100L18getf2_small_kernelILi6E19rocblas_complex_numIfEiiPS3_EEvT1_T3_lS5_lPS5_llPT2_S5_S5_S7_l
		.amdhsa_group_segment_fixed_size 0
		.amdhsa_private_segment_fixed_size 0
		.amdhsa_kernarg_size 352
		.amdhsa_user_sgpr_count 2
		.amdhsa_user_sgpr_dispatch_ptr 0
		.amdhsa_user_sgpr_queue_ptr 0
		.amdhsa_user_sgpr_kernarg_segment_ptr 1
		.amdhsa_user_sgpr_dispatch_id 0
		.amdhsa_user_sgpr_kernarg_preload_length 0
		.amdhsa_user_sgpr_kernarg_preload_offset 0
		.amdhsa_user_sgpr_private_segment_size 0
		.amdhsa_wavefront_size32 1
		.amdhsa_uses_dynamic_stack 0
		.amdhsa_enable_private_segment 0
		.amdhsa_system_sgpr_workgroup_id_x 1
		.amdhsa_system_sgpr_workgroup_id_y 1
		.amdhsa_system_sgpr_workgroup_id_z 0
		.amdhsa_system_sgpr_workgroup_info 0
		.amdhsa_system_vgpr_workitem_id 1
		.amdhsa_next_free_vgpr 52
		.amdhsa_next_free_sgpr 17
		.amdhsa_named_barrier_count 0
		.amdhsa_reserve_vcc 1
		.amdhsa_float_round_mode_32 0
		.amdhsa_float_round_mode_16_64 0
		.amdhsa_float_denorm_mode_32 3
		.amdhsa_float_denorm_mode_16_64 3
		.amdhsa_fp16_overflow 0
		.amdhsa_memory_ordered 1
		.amdhsa_forward_progress 1
		.amdhsa_inst_pref_size 58
		.amdhsa_round_robin_scheduling 0
		.amdhsa_exception_fp_ieee_invalid_op 0
		.amdhsa_exception_fp_denorm_src 0
		.amdhsa_exception_fp_ieee_div_zero 0
		.amdhsa_exception_fp_ieee_overflow 0
		.amdhsa_exception_fp_ieee_underflow 0
		.amdhsa_exception_fp_ieee_inexact 0
		.amdhsa_exception_int_div_zero 0
	.end_amdhsa_kernel
	.section	.text._ZN9rocsolver6v33100L18getf2_small_kernelILi6E19rocblas_complex_numIfEiiPS3_EEvT1_T3_lS5_lPS5_llPT2_S5_S5_S7_l,"axG",@progbits,_ZN9rocsolver6v33100L18getf2_small_kernelILi6E19rocblas_complex_numIfEiiPS3_EEvT1_T3_lS5_lPS5_llPT2_S5_S5_S7_l,comdat
.Lfunc_end10:
	.size	_ZN9rocsolver6v33100L18getf2_small_kernelILi6E19rocblas_complex_numIfEiiPS3_EEvT1_T3_lS5_lPS5_llPT2_S5_S5_S7_l, .Lfunc_end10-_ZN9rocsolver6v33100L18getf2_small_kernelILi6E19rocblas_complex_numIfEiiPS3_EEvT1_T3_lS5_lPS5_llPT2_S5_S5_S7_l
                                        ; -- End function
	.set _ZN9rocsolver6v33100L18getf2_small_kernelILi6E19rocblas_complex_numIfEiiPS3_EEvT1_T3_lS5_lPS5_llPT2_S5_S5_S7_l.num_vgpr, 52
	.set _ZN9rocsolver6v33100L18getf2_small_kernelILi6E19rocblas_complex_numIfEiiPS3_EEvT1_T3_lS5_lPS5_llPT2_S5_S5_S7_l.num_agpr, 0
	.set _ZN9rocsolver6v33100L18getf2_small_kernelILi6E19rocblas_complex_numIfEiiPS3_EEvT1_T3_lS5_lPS5_llPT2_S5_S5_S7_l.numbered_sgpr, 17
	.set _ZN9rocsolver6v33100L18getf2_small_kernelILi6E19rocblas_complex_numIfEiiPS3_EEvT1_T3_lS5_lPS5_llPT2_S5_S5_S7_l.num_named_barrier, 0
	.set _ZN9rocsolver6v33100L18getf2_small_kernelILi6E19rocblas_complex_numIfEiiPS3_EEvT1_T3_lS5_lPS5_llPT2_S5_S5_S7_l.private_seg_size, 0
	.set _ZN9rocsolver6v33100L18getf2_small_kernelILi6E19rocblas_complex_numIfEiiPS3_EEvT1_T3_lS5_lPS5_llPT2_S5_S5_S7_l.uses_vcc, 1
	.set _ZN9rocsolver6v33100L18getf2_small_kernelILi6E19rocblas_complex_numIfEiiPS3_EEvT1_T3_lS5_lPS5_llPT2_S5_S5_S7_l.uses_flat_scratch, 0
	.set _ZN9rocsolver6v33100L18getf2_small_kernelILi6E19rocblas_complex_numIfEiiPS3_EEvT1_T3_lS5_lPS5_llPT2_S5_S5_S7_l.has_dyn_sized_stack, 0
	.set _ZN9rocsolver6v33100L18getf2_small_kernelILi6E19rocblas_complex_numIfEiiPS3_EEvT1_T3_lS5_lPS5_llPT2_S5_S5_S7_l.has_recursion, 0
	.set _ZN9rocsolver6v33100L18getf2_small_kernelILi6E19rocblas_complex_numIfEiiPS3_EEvT1_T3_lS5_lPS5_llPT2_S5_S5_S7_l.has_indirect_call, 0
	.section	.AMDGPU.csdata,"",@progbits
; Kernel info:
; codeLenInByte = 7300
; TotalNumSgprs: 19
; NumVgprs: 52
; ScratchSize: 0
; MemoryBound: 0
; FloatMode: 240
; IeeeMode: 1
; LDSByteSize: 0 bytes/workgroup (compile time only)
; SGPRBlocks: 0
; VGPRBlocks: 3
; NumSGPRsForWavesPerEU: 19
; NumVGPRsForWavesPerEU: 52
; NamedBarCnt: 0
; Occupancy: 16
; WaveLimiterHint : 0
; COMPUTE_PGM_RSRC2:SCRATCH_EN: 0
; COMPUTE_PGM_RSRC2:USER_SGPR: 2
; COMPUTE_PGM_RSRC2:TRAP_HANDLER: 0
; COMPUTE_PGM_RSRC2:TGID_X_EN: 1
; COMPUTE_PGM_RSRC2:TGID_Y_EN: 1
; COMPUTE_PGM_RSRC2:TGID_Z_EN: 0
; COMPUTE_PGM_RSRC2:TIDIG_COMP_CNT: 1
	.section	.text._ZN9rocsolver6v33100L23getf2_npvt_small_kernelILi6E19rocblas_complex_numIfEiiPS3_EEvT1_T3_lS5_lPT2_S5_S5_,"axG",@progbits,_ZN9rocsolver6v33100L23getf2_npvt_small_kernelILi6E19rocblas_complex_numIfEiiPS3_EEvT1_T3_lS5_lPT2_S5_S5_,comdat
	.globl	_ZN9rocsolver6v33100L23getf2_npvt_small_kernelILi6E19rocblas_complex_numIfEiiPS3_EEvT1_T3_lS5_lPT2_S5_S5_ ; -- Begin function _ZN9rocsolver6v33100L23getf2_npvt_small_kernelILi6E19rocblas_complex_numIfEiiPS3_EEvT1_T3_lS5_lPT2_S5_S5_
	.p2align	8
	.type	_ZN9rocsolver6v33100L23getf2_npvt_small_kernelILi6E19rocblas_complex_numIfEiiPS3_EEvT1_T3_lS5_lPT2_S5_S5_,@function
_ZN9rocsolver6v33100L23getf2_npvt_small_kernelILi6E19rocblas_complex_numIfEiiPS3_EEvT1_T3_lS5_lPT2_S5_S5_: ; @_ZN9rocsolver6v33100L23getf2_npvt_small_kernelILi6E19rocblas_complex_numIfEiiPS3_EEvT1_T3_lS5_lPT2_S5_S5_
; %bb.0:
	s_clause 0x1
	s_load_u16 s8, s[0:1], 0x46
	s_load_b64 s[2:3], s[0:1], 0x30
	s_bfe_u32 s4, ttmp6, 0x40010
	s_bfe_u32 s5, ttmp6, 0x40004
	s_add_co_i32 s4, s4, 1
	s_getreg_b32 s6, hwreg(HW_REG_IB_STS2, 6, 4)
	s_mul_i32 s4, ttmp7, s4
	v_bfe_u32 v26, v0, 10, 10
	s_add_co_i32 s5, s5, s4
	s_cmp_eq_u32 s6, 0
	s_cselect_b32 s4, ttmp7, s5
	s_wait_kmcnt 0x0
	v_mad_u32 v2, s4, s8, v26
	s_delay_alu instid0(VALU_DEP_1)
	v_cmp_gt_i32_e32 vcc_lo, s2, v2
	s_and_saveexec_b32 s2, vcc_lo
	s_cbranch_execz .LBB11_57
; %bb.1:
	s_load_b128 s[4:7], s[0:1], 0x20
	v_ashrrev_i32_e32 v3, 31, v2
	v_and_b32_e32 v38, 0x3ff, v0
	v_lshlrev_b32_e32 v27, 3, v26
	v_mul_u32_u24_e32 v26, 48, v26
	s_mul_i32 s8, s8, 48
	s_delay_alu instid0(VALU_DEP_1) | instskip(NEXT) | instid1(VALU_DEP_3)
	v_add_nc_u32_e32 v40, 0, v26
	v_add3_u32 v39, 0, s8, v27
	s_wait_kmcnt 0x0
	v_mul_u64_e32 v[4:5], s[4:5], v[2:3]
	s_clause 0x1
	s_load_b32 s4, s[0:1], 0x18
	s_load_b128 s[12:15], s[0:1], 0x8
	s_wait_xcnt 0x0
	v_cmp_ne_u32_e64 s1, 0, v38
	v_cmp_eq_u32_e64 s0, 0, v38
	s_wait_kmcnt 0x0
	v_add3_u32 v6, s4, s4, v38
	s_ashr_i32 s5, s4, 31
	s_delay_alu instid0(VALU_DEP_1) | instskip(NEXT) | instid1(VALU_DEP_1)
	v_dual_add_nc_u32 v8, s4, v6 :: v_dual_ashrrev_i32 v7, 31, v6
	v_dual_add_nc_u32 v10, s4, v8 :: v_dual_ashrrev_i32 v9, 31, v8
	v_lshl_add_u64 v[0:1], v[4:5], 3, s[12:13]
	v_dual_mov_b32 v5, 0 :: v_dual_lshlrev_b32 v4, 3, v38
	s_delay_alu instid0(VALU_DEP_3) | instskip(NEXT) | instid1(VALU_DEP_3)
	v_dual_add_nc_u32 v16, s4, v10 :: v_dual_ashrrev_i32 v11, 31, v10
	v_lshl_add_u64 v[14:15], s[14:15], 3, v[0:1]
	s_delay_alu instid0(VALU_DEP_2) | instskip(NEXT) | instid1(VALU_DEP_2)
	v_ashrrev_i32_e32 v17, 31, v16
	v_add_nc_u64_e32 v[0:1], v[14:15], v[4:5]
	v_lshl_add_u64 v[4:5], v[6:7], 3, v[14:15]
	v_lshl_add_u64 v[6:7], v[8:9], 3, v[14:15]
	;; [unrolled: 1-line block ×5, first 2 shown]
	s_clause 0x5
	global_load_b64 v[14:15], v[0:1], off
	global_load_b64 v[16:17], v[12:13], off
	;; [unrolled: 1-line block ×6, first 2 shown]
	s_wait_xcnt 0x0
	s_and_saveexec_b32 s4, s0
	s_cbranch_execz .LBB11_8
; %bb.2:
	s_wait_loadcnt 0x5
	ds_store_b64 v39, v[14:15]
	s_wait_loadcnt 0x3
	ds_store_2addr_b64 v40, v[16:17], v[24:25] offset0:1 offset1:2
	s_wait_loadcnt 0x1
	ds_store_2addr_b64 v40, v[22:23], v[20:21] offset0:3 offset1:4
	s_wait_loadcnt 0x0
	ds_store_b64 v40, v[18:19] offset:40
	ds_load_b64 v[26:27], v39
	s_wait_dscnt 0x0
	v_cmp_neq_f32_e32 vcc_lo, 0, v26
	v_cmp_neq_f32_e64 s2, 0, v27
	s_or_b32 s2, vcc_lo, s2
	s_delay_alu instid0(SALU_CYCLE_1)
	s_and_b32 exec_lo, exec_lo, s2
	s_cbranch_execz .LBB11_8
; %bb.3:
	v_cmp_ngt_f32_e64 s2, |v26|, |v27|
                                        ; implicit-def: $vgpr28_vgpr29
	s_and_saveexec_b32 s5, s2
	s_delay_alu instid0(SALU_CYCLE_1)
	s_xor_b32 s2, exec_lo, s5
	s_cbranch_execz .LBB11_5
; %bb.4:
	v_div_scale_f32 v28, null, v27, v27, v26
	v_div_scale_f32 v31, vcc_lo, v26, v27, v26
	s_delay_alu instid0(VALU_DEP_2) | instskip(SKIP_1) | instid1(TRANS32_DEP_1)
	v_rcp_f32_e32 v29, v28
	v_nop
	v_fma_f32 v30, -v28, v29, 1.0
	s_delay_alu instid0(VALU_DEP_1) | instskip(NEXT) | instid1(VALU_DEP_1)
	v_fmac_f32_e32 v29, v30, v29
	v_mul_f32_e32 v30, v31, v29
	s_delay_alu instid0(VALU_DEP_1) | instskip(NEXT) | instid1(VALU_DEP_1)
	v_fma_f32 v32, -v28, v30, v31
	v_fmac_f32_e32 v30, v32, v29
	s_delay_alu instid0(VALU_DEP_1) | instskip(NEXT) | instid1(VALU_DEP_1)
	v_fma_f32 v28, -v28, v30, v31
	v_div_fmas_f32 v28, v28, v29, v30
	s_delay_alu instid0(VALU_DEP_1) | instskip(NEXT) | instid1(VALU_DEP_1)
	v_div_fixup_f32 v28, v28, v27, v26
	v_fmac_f32_e32 v27, v26, v28
	s_delay_alu instid0(VALU_DEP_1) | instskip(SKIP_1) | instid1(VALU_DEP_2)
	v_div_scale_f32 v26, null, v27, v27, 1.0
	v_div_scale_f32 v31, vcc_lo, 1.0, v27, 1.0
	v_rcp_f32_e32 v29, v26
	v_nop
	s_delay_alu instid0(TRANS32_DEP_1) | instskip(NEXT) | instid1(VALU_DEP_1)
	v_fma_f32 v30, -v26, v29, 1.0
	v_fmac_f32_e32 v29, v30, v29
	s_delay_alu instid0(VALU_DEP_1) | instskip(NEXT) | instid1(VALU_DEP_1)
	v_mul_f32_e32 v30, v31, v29
	v_fma_f32 v32, -v26, v30, v31
	s_delay_alu instid0(VALU_DEP_1) | instskip(NEXT) | instid1(VALU_DEP_1)
	v_fmac_f32_e32 v30, v32, v29
	v_fma_f32 v26, -v26, v30, v31
	s_delay_alu instid0(VALU_DEP_1) | instskip(NEXT) | instid1(VALU_DEP_1)
	v_div_fmas_f32 v26, v26, v29, v30
	v_div_fixup_f32 v26, v26, v27, 1.0
	s_delay_alu instid0(VALU_DEP_1)
	v_mul_f32_e32 v28, v28, v26
	v_xor_b32_e32 v29, 0x80000000, v26
                                        ; implicit-def: $vgpr26_vgpr27
.LBB11_5:
	s_and_not1_saveexec_b32 s2, s2
	s_cbranch_execz .LBB11_7
; %bb.6:
	v_div_scale_f32 v28, null, v26, v26, v27
	v_div_scale_f32 v31, vcc_lo, v27, v26, v27
	s_delay_alu instid0(VALU_DEP_2) | instskip(SKIP_1) | instid1(TRANS32_DEP_1)
	v_rcp_f32_e32 v29, v28
	v_nop
	v_fma_f32 v30, -v28, v29, 1.0
	s_delay_alu instid0(VALU_DEP_1) | instskip(NEXT) | instid1(VALU_DEP_1)
	v_fmac_f32_e32 v29, v30, v29
	v_mul_f32_e32 v30, v31, v29
	s_delay_alu instid0(VALU_DEP_1) | instskip(NEXT) | instid1(VALU_DEP_1)
	v_fma_f32 v32, -v28, v30, v31
	v_fmac_f32_e32 v30, v32, v29
	s_delay_alu instid0(VALU_DEP_1) | instskip(NEXT) | instid1(VALU_DEP_1)
	v_fma_f32 v28, -v28, v30, v31
	v_div_fmas_f32 v28, v28, v29, v30
	s_delay_alu instid0(VALU_DEP_1) | instskip(NEXT) | instid1(VALU_DEP_1)
	v_div_fixup_f32 v29, v28, v26, v27
	v_fmac_f32_e32 v26, v27, v29
	s_delay_alu instid0(VALU_DEP_1) | instskip(NEXT) | instid1(VALU_DEP_1)
	v_div_scale_f32 v27, null, v26, v26, 1.0
	v_rcp_f32_e32 v28, v27
	v_nop
	s_delay_alu instid0(TRANS32_DEP_1) | instskip(NEXT) | instid1(VALU_DEP_1)
	v_fma_f32 v30, -v27, v28, 1.0
	v_fmac_f32_e32 v28, v30, v28
	v_div_scale_f32 v30, vcc_lo, 1.0, v26, 1.0
	s_delay_alu instid0(VALU_DEP_1) | instskip(NEXT) | instid1(VALU_DEP_1)
	v_mul_f32_e32 v31, v30, v28
	v_fma_f32 v32, -v27, v31, v30
	s_delay_alu instid0(VALU_DEP_1) | instskip(NEXT) | instid1(VALU_DEP_1)
	v_fmac_f32_e32 v31, v32, v28
	v_fma_f32 v27, -v27, v31, v30
	s_delay_alu instid0(VALU_DEP_1) | instskip(NEXT) | instid1(VALU_DEP_1)
	v_div_fmas_f32 v27, v27, v28, v31
	v_div_fixup_f32 v28, v27, v26, 1.0
	s_delay_alu instid0(VALU_DEP_1)
	v_mul_f32_e64 v29, v29, -v28
.LBB11_7:
	s_or_b32 exec_lo, exec_lo, s2
	ds_store_b64 v39, v[28:29]
.LBB11_8:
	s_or_b32 exec_lo, exec_lo, s4
	s_wait_loadcnt_dscnt 0x0
	s_barrier_signal -1
	s_barrier_wait -1
	ds_load_b64 v[26:27], v39
	s_and_saveexec_b32 s2, s1
	s_cbranch_execz .LBB11_10
; %bb.9:
	ds_load_2addr_b64 v[28:31], v40 offset0:1 offset1:2
	ds_load_2addr_b64 v[32:35], v40 offset0:3 offset1:4
	ds_load_b64 v[36:37], v40 offset:40
	s_wait_dscnt 0x3
	v_pk_mul_f32 v[42:43], v[26:27], v[14:15] op_sel:[1,1] op_sel_hi:[0,1]
	s_delay_alu instid0(VALU_DEP_1) | instskip(SKIP_1) | instid1(VALU_DEP_1)
	v_pk_fma_f32 v[44:45], v[26:27], v[14:15], v[42:43] op_sel_hi:[1,0,1] neg_lo:[0,0,1] neg_hi:[0,0,1]
	v_pk_fma_f32 v[42:43], v[26:27], v[14:15], v[42:43] op_sel_hi:[1,0,1]
	v_dual_mov_b32 v14, v44 :: v_dual_mov_b32 v15, v43
	s_wait_dscnt 0x2
	s_delay_alu instid0(VALU_DEP_2)
	v_pk_mul_f32 v[46:47], v[28:29], v[42:43] op_sel:[0,1]
	v_pk_mul_f32 v[48:49], v[30:31], v[42:43] op_sel:[0,1]
	s_wait_dscnt 0x1
	v_pk_mul_f32 v[50:51], v[32:33], v[42:43] op_sel:[0,1]
	v_dual_mov_b32 v52, v35 :: v_dual_mov_b32 v53, v34
	v_dual_mul_f32 v54, v35, v43 :: v_dual_mul_f32 v56, v35, v44
	s_wait_dscnt 0x0
	v_pk_mul_f32 v[42:43], v[36:37], v[42:43] op_sel:[0,1]
	v_pk_fma_f32 v[58:59], v[28:29], v[44:45], v[46:47] op_sel:[0,0,1] op_sel_hi:[1,1,0] neg_lo:[0,0,1] neg_hi:[0,0,1]
	v_pk_fma_f32 v[28:29], v[28:29], v[44:45], v[46:47] op_sel:[0,0,1] op_sel_hi:[1,0,0]
	v_pk_fma_f32 v[46:47], v[30:31], v[44:45], v[48:49] op_sel:[0,0,1] op_sel_hi:[1,1,0] neg_lo:[0,0,1] neg_hi:[0,0,1]
	v_pk_fma_f32 v[30:31], v[30:31], v[44:45], v[48:49] op_sel:[0,0,1] op_sel_hi:[1,0,0]
	;; [unrolled: 2-line block ×3, first 2 shown]
	v_pk_fma_f32 v[50:51], v[52:53], v[14:15], v[56:57] op_sel_hi:[1,1,0]
	v_pk_fma_f32 v[52:53], v[36:37], v[44:45], v[42:43] op_sel:[0,0,1] op_sel_hi:[1,1,0] neg_lo:[0,0,1] neg_hi:[0,0,1]
	v_pk_fma_f32 v[36:37], v[36:37], v[44:45], v[42:43] op_sel:[0,0,1] op_sel_hi:[1,0,0]
	v_pk_fma_f32 v[34:35], v[34:35], v[14:15], v[54:55] op_sel_hi:[1,1,0] neg_lo:[0,0,1] neg_hi:[0,0,1]
	v_dual_mov_b32 v59, v29 :: v_dual_mov_b32 v47, v31
	v_dual_mov_b32 v49, v33 :: v_dual_mov_b32 v35, v51
	s_delay_alu instid0(VALU_DEP_4) | instskip(NEXT) | instid1(VALU_DEP_3)
	v_mov_b32_e32 v53, v37
	v_pk_add_f32 v[16:17], v[16:17], v[58:59] neg_lo:[0,1] neg_hi:[0,1]
	s_delay_alu instid0(VALU_DEP_4) | instskip(NEXT) | instid1(VALU_DEP_4)
	v_pk_add_f32 v[24:25], v[24:25], v[46:47] neg_lo:[0,1] neg_hi:[0,1]
	v_pk_add_f32 v[22:23], v[22:23], v[48:49] neg_lo:[0,1] neg_hi:[0,1]
	v_pk_add_f32 v[20:21], v[20:21], v[34:35] neg_lo:[0,1] neg_hi:[0,1]
	v_pk_add_f32 v[18:19], v[18:19], v[52:53] neg_lo:[0,1] neg_hi:[0,1]
.LBB11_10:
	s_or_b32 exec_lo, exec_lo, s2
	s_delay_alu instid0(SALU_CYCLE_1)
	s_mov_b32 s2, exec_lo
	s_wait_dscnt 0x0
	s_barrier_signal -1
	s_barrier_wait -1
	v_cmpx_eq_u32_e32 1, v38
	s_cbranch_execz .LBB11_17
; %bb.11:
	v_dual_mov_b32 v28, v24 :: v_dual_mov_b32 v29, v25
	v_dual_mov_b32 v30, v22 :: v_dual_mov_b32 v31, v23
	;; [unrolled: 1-line block ×3, first 2 shown]
	ds_store_b64 v39, v[16:17]
	ds_store_2addr_b64 v40, v[28:29], v[30:31] offset0:2 offset1:3
	ds_store_2addr_b64 v40, v[32:33], v[18:19] offset0:4 offset1:5
	ds_load_b64 v[28:29], v39
	s_wait_dscnt 0x0
	v_cmp_neq_f32_e32 vcc_lo, 0, v28
	v_cmp_neq_f32_e64 s1, 0, v29
	s_or_b32 s1, vcc_lo, s1
	s_delay_alu instid0(SALU_CYCLE_1)
	s_and_b32 exec_lo, exec_lo, s1
	s_cbranch_execz .LBB11_17
; %bb.12:
	v_cmp_ngt_f32_e64 s1, |v28|, |v29|
                                        ; implicit-def: $vgpr30_vgpr31
	s_and_saveexec_b32 s4, s1
	s_delay_alu instid0(SALU_CYCLE_1)
	s_xor_b32 s1, exec_lo, s4
	s_cbranch_execz .LBB11_14
; %bb.13:
	v_div_scale_f32 v30, null, v29, v29, v28
	v_div_scale_f32 v33, vcc_lo, v28, v29, v28
	s_delay_alu instid0(VALU_DEP_2) | instskip(SKIP_1) | instid1(TRANS32_DEP_1)
	v_rcp_f32_e32 v31, v30
	v_nop
	v_fma_f32 v32, -v30, v31, 1.0
	s_delay_alu instid0(VALU_DEP_1) | instskip(NEXT) | instid1(VALU_DEP_1)
	v_fmac_f32_e32 v31, v32, v31
	v_mul_f32_e32 v32, v33, v31
	s_delay_alu instid0(VALU_DEP_1) | instskip(NEXT) | instid1(VALU_DEP_1)
	v_fma_f32 v34, -v30, v32, v33
	v_fmac_f32_e32 v32, v34, v31
	s_delay_alu instid0(VALU_DEP_1) | instskip(NEXT) | instid1(VALU_DEP_1)
	v_fma_f32 v30, -v30, v32, v33
	v_div_fmas_f32 v30, v30, v31, v32
	s_delay_alu instid0(VALU_DEP_1) | instskip(NEXT) | instid1(VALU_DEP_1)
	v_div_fixup_f32 v30, v30, v29, v28
	v_fmac_f32_e32 v29, v28, v30
	s_delay_alu instid0(VALU_DEP_1) | instskip(SKIP_1) | instid1(VALU_DEP_2)
	v_div_scale_f32 v28, null, v29, v29, 1.0
	v_div_scale_f32 v33, vcc_lo, 1.0, v29, 1.0
	v_rcp_f32_e32 v31, v28
	v_nop
	s_delay_alu instid0(TRANS32_DEP_1) | instskip(NEXT) | instid1(VALU_DEP_1)
	v_fma_f32 v32, -v28, v31, 1.0
	v_fmac_f32_e32 v31, v32, v31
	s_delay_alu instid0(VALU_DEP_1) | instskip(NEXT) | instid1(VALU_DEP_1)
	v_mul_f32_e32 v32, v33, v31
	v_fma_f32 v34, -v28, v32, v33
	s_delay_alu instid0(VALU_DEP_1) | instskip(NEXT) | instid1(VALU_DEP_1)
	v_fmac_f32_e32 v32, v34, v31
	v_fma_f32 v28, -v28, v32, v33
	s_delay_alu instid0(VALU_DEP_1) | instskip(NEXT) | instid1(VALU_DEP_1)
	v_div_fmas_f32 v28, v28, v31, v32
	v_div_fixup_f32 v28, v28, v29, 1.0
	s_delay_alu instid0(VALU_DEP_1)
	v_mul_f32_e32 v30, v30, v28
	v_xor_b32_e32 v31, 0x80000000, v28
                                        ; implicit-def: $vgpr28_vgpr29
.LBB11_14:
	s_and_not1_saveexec_b32 s1, s1
	s_cbranch_execz .LBB11_16
; %bb.15:
	v_div_scale_f32 v30, null, v28, v28, v29
	v_div_scale_f32 v33, vcc_lo, v29, v28, v29
	s_delay_alu instid0(VALU_DEP_2) | instskip(SKIP_1) | instid1(TRANS32_DEP_1)
	v_rcp_f32_e32 v31, v30
	v_nop
	v_fma_f32 v32, -v30, v31, 1.0
	s_delay_alu instid0(VALU_DEP_1) | instskip(NEXT) | instid1(VALU_DEP_1)
	v_fmac_f32_e32 v31, v32, v31
	v_mul_f32_e32 v32, v33, v31
	s_delay_alu instid0(VALU_DEP_1) | instskip(NEXT) | instid1(VALU_DEP_1)
	v_fma_f32 v34, -v30, v32, v33
	v_fmac_f32_e32 v32, v34, v31
	s_delay_alu instid0(VALU_DEP_1) | instskip(NEXT) | instid1(VALU_DEP_1)
	v_fma_f32 v30, -v30, v32, v33
	v_div_fmas_f32 v30, v30, v31, v32
	s_delay_alu instid0(VALU_DEP_1) | instskip(NEXT) | instid1(VALU_DEP_1)
	v_div_fixup_f32 v31, v30, v28, v29
	v_fmac_f32_e32 v28, v29, v31
	s_delay_alu instid0(VALU_DEP_1) | instskip(NEXT) | instid1(VALU_DEP_1)
	v_div_scale_f32 v29, null, v28, v28, 1.0
	v_rcp_f32_e32 v30, v29
	v_nop
	s_delay_alu instid0(TRANS32_DEP_1) | instskip(NEXT) | instid1(VALU_DEP_1)
	v_fma_f32 v32, -v29, v30, 1.0
	v_fmac_f32_e32 v30, v32, v30
	v_div_scale_f32 v32, vcc_lo, 1.0, v28, 1.0
	s_delay_alu instid0(VALU_DEP_1) | instskip(NEXT) | instid1(VALU_DEP_1)
	v_mul_f32_e32 v33, v32, v30
	v_fma_f32 v34, -v29, v33, v32
	s_delay_alu instid0(VALU_DEP_1) | instskip(NEXT) | instid1(VALU_DEP_1)
	v_fmac_f32_e32 v33, v34, v30
	v_fma_f32 v29, -v29, v33, v32
	s_delay_alu instid0(VALU_DEP_1) | instskip(NEXT) | instid1(VALU_DEP_1)
	v_div_fmas_f32 v29, v29, v30, v33
	v_div_fixup_f32 v30, v29, v28, 1.0
	s_delay_alu instid0(VALU_DEP_1)
	v_mul_f32_e64 v31, v31, -v30
.LBB11_16:
	s_or_b32 exec_lo, exec_lo, s1
	ds_store_b64 v39, v[30:31]
.LBB11_17:
	s_or_b32 exec_lo, exec_lo, s2
	s_wait_dscnt 0x0
	s_barrier_signal -1
	s_barrier_wait -1
	ds_load_b64 v[28:29], v39
	s_mov_b32 s1, exec_lo
	v_cmpx_lt_u32_e32 1, v38
	s_cbranch_execz .LBB11_19
; %bb.18:
	ds_load_2addr_b64 v[30:33], v40 offset0:2 offset1:3
	ds_load_2addr_b64 v[34:37], v40 offset0:4 offset1:5
	s_wait_dscnt 0x2
	v_pk_mul_f32 v[42:43], v[28:29], v[16:17] op_sel:[1,1] op_sel_hi:[0,1]
	s_delay_alu instid0(VALU_DEP_1) | instskip(SKIP_1) | instid1(VALU_DEP_1)
	v_pk_fma_f32 v[44:45], v[28:29], v[16:17], v[42:43] op_sel_hi:[1,0,1] neg_lo:[0,0,1] neg_hi:[0,0,1]
	v_pk_fma_f32 v[42:43], v[28:29], v[16:17], v[42:43] op_sel_hi:[1,0,1]
	v_dual_mov_b32 v16, v44 :: v_dual_mov_b32 v17, v43
	s_wait_dscnt 0x1
	s_delay_alu instid0(VALU_DEP_2)
	v_pk_mul_f32 v[46:47], v[30:31], v[42:43] op_sel:[0,1]
	s_wait_dscnt 0x0
	v_mov_b32_e32 v48, v37
	v_pk_mul_f32 v[50:51], v[32:33], v[42:43] op_sel:[0,1]
	v_pk_mul_f32 v[52:53], v[34:35], v[42:43] op_sel:[0,1]
	v_pk_fma_f32 v[54:55], v[30:31], v[44:45], v[46:47] op_sel:[0,0,1] op_sel_hi:[1,1,0] neg_lo:[0,0,1] neg_hi:[0,0,1]
	v_pk_fma_f32 v[30:31], v[30:31], v[44:45], v[46:47] op_sel:[0,0,1] op_sel_hi:[1,0,0]
	s_delay_alu instid0(VALU_DEP_1) | instskip(NEXT) | instid1(VALU_DEP_1)
	v_dual_mov_b32 v49, v36 :: v_dual_mov_b32 v55, v31
	v_pk_mul_f32 v[46:47], v[48:49], v[42:43] op_sel:[0,1]
	v_pk_fma_f32 v[48:49], v[32:33], v[44:45], v[50:51] op_sel:[0,0,1] op_sel_hi:[1,0,0]
	v_pk_fma_f32 v[32:33], v[32:33], v[44:45], v[50:51] op_sel:[0,0,1] op_sel_hi:[1,1,0] neg_lo:[0,0,1] neg_hi:[0,0,1]
	v_pk_fma_f32 v[50:51], v[34:35], v[44:45], v[52:53] op_sel:[0,0,1] op_sel_hi:[1,0,0]
	v_pk_fma_f32 v[34:35], v[34:35], v[44:45], v[52:53] op_sel:[0,0,1] op_sel_hi:[1,1,0] neg_lo:[0,0,1] neg_hi:[0,0,1]
	v_pk_fma_f32 v[30:31], v[36:37], v[44:45], v[46:47] op_sel_hi:[1,0,1]
	v_pk_fma_f32 v[36:37], v[36:37], v[44:45], v[46:47] neg_lo:[0,0,1] neg_hi:[0,0,1]
	s_delay_alu instid0(VALU_DEP_4) | instskip(SKIP_1) | instid1(VALU_DEP_4)
	v_dual_mov_b32 v33, v49 :: v_dual_mov_b32 v35, v51
	v_pk_add_f32 v[24:25], v[24:25], v[54:55] neg_lo:[0,1] neg_hi:[0,1]
	v_mov_b32_e32 v37, v31
	s_delay_alu instid0(VALU_DEP_3) | instskip(NEXT) | instid1(VALU_DEP_4)
	v_pk_add_f32 v[22:23], v[22:23], v[32:33] neg_lo:[0,1] neg_hi:[0,1]
	v_pk_add_f32 v[20:21], v[20:21], v[34:35] neg_lo:[0,1] neg_hi:[0,1]
	s_delay_alu instid0(VALU_DEP_3)
	v_pk_add_f32 v[18:19], v[18:19], v[36:37] neg_lo:[0,1] neg_hi:[0,1]
.LBB11_19:
	s_or_b32 exec_lo, exec_lo, s1
	s_delay_alu instid0(SALU_CYCLE_1)
	s_mov_b32 s2, exec_lo
	s_wait_dscnt 0x0
	s_barrier_signal -1
	s_barrier_wait -1
	v_cmpx_eq_u32_e32 2, v38
	s_cbranch_execz .LBB11_26
; %bb.20:
	ds_store_b64 v39, v[24:25]
	ds_store_2addr_b64 v40, v[22:23], v[20:21] offset0:3 offset1:4
	ds_store_b64 v40, v[18:19] offset:40
	ds_load_b64 v[30:31], v39
	s_wait_dscnt 0x0
	v_cmp_neq_f32_e32 vcc_lo, 0, v30
	v_cmp_neq_f32_e64 s1, 0, v31
	s_or_b32 s1, vcc_lo, s1
	s_delay_alu instid0(SALU_CYCLE_1)
	s_and_b32 exec_lo, exec_lo, s1
	s_cbranch_execz .LBB11_26
; %bb.21:
	v_cmp_ngt_f32_e64 s1, |v30|, |v31|
                                        ; implicit-def: $vgpr32_vgpr33
	s_and_saveexec_b32 s4, s1
	s_delay_alu instid0(SALU_CYCLE_1)
	s_xor_b32 s1, exec_lo, s4
	s_cbranch_execz .LBB11_23
; %bb.22:
	v_div_scale_f32 v32, null, v31, v31, v30
	v_div_scale_f32 v35, vcc_lo, v30, v31, v30
	s_delay_alu instid0(VALU_DEP_2) | instskip(SKIP_1) | instid1(TRANS32_DEP_1)
	v_rcp_f32_e32 v33, v32
	v_nop
	v_fma_f32 v34, -v32, v33, 1.0
	s_delay_alu instid0(VALU_DEP_1) | instskip(NEXT) | instid1(VALU_DEP_1)
	v_fmac_f32_e32 v33, v34, v33
	v_mul_f32_e32 v34, v35, v33
	s_delay_alu instid0(VALU_DEP_1) | instskip(NEXT) | instid1(VALU_DEP_1)
	v_fma_f32 v36, -v32, v34, v35
	v_fmac_f32_e32 v34, v36, v33
	s_delay_alu instid0(VALU_DEP_1) | instskip(NEXT) | instid1(VALU_DEP_1)
	v_fma_f32 v32, -v32, v34, v35
	v_div_fmas_f32 v32, v32, v33, v34
	s_delay_alu instid0(VALU_DEP_1) | instskip(NEXT) | instid1(VALU_DEP_1)
	v_div_fixup_f32 v32, v32, v31, v30
	v_fmac_f32_e32 v31, v30, v32
	s_delay_alu instid0(VALU_DEP_1) | instskip(SKIP_1) | instid1(VALU_DEP_2)
	v_div_scale_f32 v30, null, v31, v31, 1.0
	v_div_scale_f32 v35, vcc_lo, 1.0, v31, 1.0
	v_rcp_f32_e32 v33, v30
	v_nop
	s_delay_alu instid0(TRANS32_DEP_1) | instskip(NEXT) | instid1(VALU_DEP_1)
	v_fma_f32 v34, -v30, v33, 1.0
	v_fmac_f32_e32 v33, v34, v33
	s_delay_alu instid0(VALU_DEP_1) | instskip(NEXT) | instid1(VALU_DEP_1)
	v_mul_f32_e32 v34, v35, v33
	v_fma_f32 v36, -v30, v34, v35
	s_delay_alu instid0(VALU_DEP_1) | instskip(NEXT) | instid1(VALU_DEP_1)
	v_fmac_f32_e32 v34, v36, v33
	v_fma_f32 v30, -v30, v34, v35
	s_delay_alu instid0(VALU_DEP_1) | instskip(NEXT) | instid1(VALU_DEP_1)
	v_div_fmas_f32 v30, v30, v33, v34
	v_div_fixup_f32 v30, v30, v31, 1.0
	s_delay_alu instid0(VALU_DEP_1)
	v_mul_f32_e32 v32, v32, v30
	v_xor_b32_e32 v33, 0x80000000, v30
                                        ; implicit-def: $vgpr30_vgpr31
.LBB11_23:
	s_and_not1_saveexec_b32 s1, s1
	s_cbranch_execz .LBB11_25
; %bb.24:
	v_div_scale_f32 v32, null, v30, v30, v31
	v_div_scale_f32 v35, vcc_lo, v31, v30, v31
	s_delay_alu instid0(VALU_DEP_2) | instskip(SKIP_1) | instid1(TRANS32_DEP_1)
	v_rcp_f32_e32 v33, v32
	v_nop
	v_fma_f32 v34, -v32, v33, 1.0
	s_delay_alu instid0(VALU_DEP_1) | instskip(NEXT) | instid1(VALU_DEP_1)
	v_fmac_f32_e32 v33, v34, v33
	v_mul_f32_e32 v34, v35, v33
	s_delay_alu instid0(VALU_DEP_1) | instskip(NEXT) | instid1(VALU_DEP_1)
	v_fma_f32 v36, -v32, v34, v35
	v_fmac_f32_e32 v34, v36, v33
	s_delay_alu instid0(VALU_DEP_1) | instskip(NEXT) | instid1(VALU_DEP_1)
	v_fma_f32 v32, -v32, v34, v35
	v_div_fmas_f32 v32, v32, v33, v34
	s_delay_alu instid0(VALU_DEP_1) | instskip(NEXT) | instid1(VALU_DEP_1)
	v_div_fixup_f32 v33, v32, v30, v31
	v_fmac_f32_e32 v30, v31, v33
	s_delay_alu instid0(VALU_DEP_1) | instskip(NEXT) | instid1(VALU_DEP_1)
	v_div_scale_f32 v31, null, v30, v30, 1.0
	v_rcp_f32_e32 v32, v31
	v_nop
	s_delay_alu instid0(TRANS32_DEP_1) | instskip(NEXT) | instid1(VALU_DEP_1)
	v_fma_f32 v34, -v31, v32, 1.0
	v_fmac_f32_e32 v32, v34, v32
	v_div_scale_f32 v34, vcc_lo, 1.0, v30, 1.0
	s_delay_alu instid0(VALU_DEP_1) | instskip(NEXT) | instid1(VALU_DEP_1)
	v_mul_f32_e32 v35, v34, v32
	v_fma_f32 v36, -v31, v35, v34
	s_delay_alu instid0(VALU_DEP_1) | instskip(NEXT) | instid1(VALU_DEP_1)
	v_fmac_f32_e32 v35, v36, v32
	v_fma_f32 v31, -v31, v35, v34
	s_delay_alu instid0(VALU_DEP_1) | instskip(NEXT) | instid1(VALU_DEP_1)
	v_div_fmas_f32 v31, v31, v32, v35
	v_div_fixup_f32 v32, v31, v30, 1.0
	s_delay_alu instid0(VALU_DEP_1)
	v_mul_f32_e64 v33, v33, -v32
.LBB11_25:
	s_or_b32 exec_lo, exec_lo, s1
	ds_store_b64 v39, v[32:33]
.LBB11_26:
	s_or_b32 exec_lo, exec_lo, s2
	s_wait_dscnt 0x0
	s_barrier_signal -1
	s_barrier_wait -1
	ds_load_b64 v[30:31], v39
	s_mov_b32 s1, exec_lo
	v_cmpx_lt_u32_e32 2, v38
	s_cbranch_execz .LBB11_28
; %bb.27:
	ds_load_2addr_b64 v[32:35], v40 offset0:3 offset1:4
	ds_load_b64 v[36:37], v40 offset:40
	s_wait_dscnt 0x2
	v_pk_mul_f32 v[42:43], v[30:31], v[24:25] op_sel:[1,1] op_sel_hi:[0,1]
	s_delay_alu instid0(VALU_DEP_1) | instskip(SKIP_2) | instid1(VALU_DEP_2)
	v_pk_fma_f32 v[44:45], v[30:31], v[24:25], v[42:43] op_sel_hi:[1,0,1]
	v_pk_fma_f32 v[24:25], v[30:31], v[24:25], v[42:43] op_sel_hi:[1,0,1] neg_lo:[0,0,1] neg_hi:[0,0,1]
	s_wait_dscnt 0x1
	v_pk_mul_f32 v[42:43], v[32:33], v[44:45] op_sel:[0,1]
	v_pk_mul_f32 v[46:47], v[34:35], v[44:45] op_sel:[0,1]
	s_wait_dscnt 0x0
	v_pk_mul_f32 v[48:49], v[36:37], v[44:45] op_sel:[1,1] op_sel_hi:[0,1]
	s_delay_alu instid0(VALU_DEP_3) | instskip(SKIP_2) | instid1(VALU_DEP_4)
	v_pk_fma_f32 v[50:51], v[32:33], v[24:25], v[42:43] op_sel:[0,0,1] op_sel_hi:[1,1,0] neg_lo:[0,0,1] neg_hi:[0,0,1]
	v_pk_fma_f32 v[32:33], v[32:33], v[24:25], v[42:43] op_sel:[0,0,1] op_sel_hi:[1,0,0]
	v_pk_fma_f32 v[42:43], v[34:35], v[24:25], v[46:47] op_sel:[0,0,1] op_sel_hi:[1,0,0]
	v_pk_fma_f32 v[52:53], v[36:37], v[24:25], v[48:49] op_sel_hi:[1,0,1]
	v_pk_fma_f32 v[34:35], v[34:35], v[24:25], v[46:47] op_sel:[0,0,1] op_sel_hi:[1,1,0] neg_lo:[0,0,1] neg_hi:[0,0,1]
	v_pk_fma_f32 v[36:37], v[36:37], v[24:25], v[48:49] neg_lo:[0,0,1] neg_hi:[0,0,1]
	s_delay_alu instid0(VALU_DEP_4) | instskip(NEXT) | instid1(VALU_DEP_4)
	v_dual_mov_b32 v51, v33 :: v_dual_mov_b32 v35, v43
	v_dual_mov_b32 v37, v53 :: v_dual_mov_b32 v25, v45
	s_delay_alu instid0(VALU_DEP_2) | instskip(NEXT) | instid1(VALU_DEP_3)
	v_pk_add_f32 v[22:23], v[22:23], v[50:51] neg_lo:[0,1] neg_hi:[0,1]
	v_pk_add_f32 v[20:21], v[20:21], v[34:35] neg_lo:[0,1] neg_hi:[0,1]
	s_delay_alu instid0(VALU_DEP_3)
	v_pk_add_f32 v[18:19], v[18:19], v[36:37] neg_lo:[0,1] neg_hi:[0,1]
.LBB11_28:
	s_or_b32 exec_lo, exec_lo, s1
	s_delay_alu instid0(SALU_CYCLE_1)
	s_mov_b32 s2, exec_lo
	s_wait_dscnt 0x0
	s_barrier_signal -1
	s_barrier_wait -1
	v_cmpx_eq_u32_e32 3, v38
	s_cbranch_execz .LBB11_35
; %bb.29:
	v_dual_mov_b32 v32, v20 :: v_dual_mov_b32 v33, v21
	ds_store_b64 v39, v[22:23]
	ds_store_2addr_b64 v40, v[32:33], v[18:19] offset0:4 offset1:5
	ds_load_b64 v[32:33], v39
	s_wait_dscnt 0x0
	v_cmp_neq_f32_e32 vcc_lo, 0, v32
	v_cmp_neq_f32_e64 s1, 0, v33
	s_or_b32 s1, vcc_lo, s1
	s_delay_alu instid0(SALU_CYCLE_1)
	s_and_b32 exec_lo, exec_lo, s1
	s_cbranch_execz .LBB11_35
; %bb.30:
	v_cmp_ngt_f32_e64 s1, |v32|, |v33|
                                        ; implicit-def: $vgpr34_vgpr35
	s_and_saveexec_b32 s4, s1
	s_delay_alu instid0(SALU_CYCLE_1)
	s_xor_b32 s1, exec_lo, s4
	s_cbranch_execz .LBB11_32
; %bb.31:
	v_div_scale_f32 v34, null, v33, v33, v32
	v_div_scale_f32 v37, vcc_lo, v32, v33, v32
	s_delay_alu instid0(VALU_DEP_2) | instskip(SKIP_1) | instid1(TRANS32_DEP_1)
	v_rcp_f32_e32 v35, v34
	v_nop
	v_fma_f32 v36, -v34, v35, 1.0
	s_delay_alu instid0(VALU_DEP_1) | instskip(NEXT) | instid1(VALU_DEP_1)
	v_fmac_f32_e32 v35, v36, v35
	v_mul_f32_e32 v36, v37, v35
	s_delay_alu instid0(VALU_DEP_1) | instskip(NEXT) | instid1(VALU_DEP_1)
	v_fma_f32 v41, -v34, v36, v37
	v_fmac_f32_e32 v36, v41, v35
	s_delay_alu instid0(VALU_DEP_1) | instskip(NEXT) | instid1(VALU_DEP_1)
	v_fma_f32 v34, -v34, v36, v37
	v_div_fmas_f32 v34, v34, v35, v36
	s_delay_alu instid0(VALU_DEP_1) | instskip(NEXT) | instid1(VALU_DEP_1)
	v_div_fixup_f32 v34, v34, v33, v32
	v_fmac_f32_e32 v33, v32, v34
	s_delay_alu instid0(VALU_DEP_1) | instskip(SKIP_1) | instid1(VALU_DEP_2)
	v_div_scale_f32 v32, null, v33, v33, 1.0
	v_div_scale_f32 v37, vcc_lo, 1.0, v33, 1.0
	v_rcp_f32_e32 v35, v32
	v_nop
	s_delay_alu instid0(TRANS32_DEP_1) | instskip(NEXT) | instid1(VALU_DEP_1)
	v_fma_f32 v36, -v32, v35, 1.0
	v_fmac_f32_e32 v35, v36, v35
	s_delay_alu instid0(VALU_DEP_1) | instskip(NEXT) | instid1(VALU_DEP_1)
	v_mul_f32_e32 v36, v37, v35
	v_fma_f32 v41, -v32, v36, v37
	s_delay_alu instid0(VALU_DEP_1) | instskip(NEXT) | instid1(VALU_DEP_1)
	v_fmac_f32_e32 v36, v41, v35
	v_fma_f32 v32, -v32, v36, v37
	s_delay_alu instid0(VALU_DEP_1) | instskip(NEXT) | instid1(VALU_DEP_1)
	v_div_fmas_f32 v32, v32, v35, v36
	v_div_fixup_f32 v32, v32, v33, 1.0
	s_delay_alu instid0(VALU_DEP_1)
	v_mul_f32_e32 v34, v34, v32
	v_xor_b32_e32 v35, 0x80000000, v32
                                        ; implicit-def: $vgpr32_vgpr33
.LBB11_32:
	s_and_not1_saveexec_b32 s1, s1
	s_cbranch_execz .LBB11_34
; %bb.33:
	v_div_scale_f32 v34, null, v32, v32, v33
	v_div_scale_f32 v37, vcc_lo, v33, v32, v33
	s_delay_alu instid0(VALU_DEP_2) | instskip(SKIP_1) | instid1(TRANS32_DEP_1)
	v_rcp_f32_e32 v35, v34
	v_nop
	v_fma_f32 v36, -v34, v35, 1.0
	s_delay_alu instid0(VALU_DEP_1) | instskip(NEXT) | instid1(VALU_DEP_1)
	v_fmac_f32_e32 v35, v36, v35
	v_mul_f32_e32 v36, v37, v35
	s_delay_alu instid0(VALU_DEP_1) | instskip(NEXT) | instid1(VALU_DEP_1)
	v_fma_f32 v41, -v34, v36, v37
	v_fmac_f32_e32 v36, v41, v35
	s_delay_alu instid0(VALU_DEP_1) | instskip(NEXT) | instid1(VALU_DEP_1)
	v_fma_f32 v34, -v34, v36, v37
	v_div_fmas_f32 v34, v34, v35, v36
	s_delay_alu instid0(VALU_DEP_1) | instskip(NEXT) | instid1(VALU_DEP_1)
	v_div_fixup_f32 v35, v34, v32, v33
	v_fmac_f32_e32 v32, v33, v35
	s_delay_alu instid0(VALU_DEP_1) | instskip(NEXT) | instid1(VALU_DEP_1)
	v_div_scale_f32 v33, null, v32, v32, 1.0
	v_rcp_f32_e32 v34, v33
	v_nop
	s_delay_alu instid0(TRANS32_DEP_1) | instskip(NEXT) | instid1(VALU_DEP_1)
	v_fma_f32 v36, -v33, v34, 1.0
	v_fmac_f32_e32 v34, v36, v34
	v_div_scale_f32 v36, vcc_lo, 1.0, v32, 1.0
	s_delay_alu instid0(VALU_DEP_1) | instskip(NEXT) | instid1(VALU_DEP_1)
	v_mul_f32_e32 v37, v36, v34
	v_fma_f32 v41, -v33, v37, v36
	s_delay_alu instid0(VALU_DEP_1) | instskip(NEXT) | instid1(VALU_DEP_1)
	v_fmac_f32_e32 v37, v41, v34
	v_fma_f32 v33, -v33, v37, v36
	s_delay_alu instid0(VALU_DEP_1) | instskip(NEXT) | instid1(VALU_DEP_1)
	v_div_fmas_f32 v33, v33, v34, v37
	v_div_fixup_f32 v34, v33, v32, 1.0
	s_delay_alu instid0(VALU_DEP_1)
	v_mul_f32_e64 v35, v35, -v34
.LBB11_34:
	s_or_b32 exec_lo, exec_lo, s1
	ds_store_b64 v39, v[34:35]
.LBB11_35:
	s_or_b32 exec_lo, exec_lo, s2
	s_wait_dscnt 0x0
	s_barrier_signal -1
	s_barrier_wait -1
	ds_load_b64 v[32:33], v39
	s_mov_b32 s1, exec_lo
	v_cmpx_lt_u32_e32 3, v38
	s_cbranch_execz .LBB11_37
; %bb.36:
	ds_load_2addr_b64 v[34:37], v40 offset0:4 offset1:5
	s_wait_dscnt 0x1
	v_pk_mul_f32 v[42:43], v[32:33], v[22:23] op_sel:[1,1] op_sel_hi:[0,1]
	s_delay_alu instid0(VALU_DEP_1) | instskip(SKIP_3) | instid1(VALU_DEP_3)
	v_pk_fma_f32 v[44:45], v[32:33], v[22:23], v[42:43] op_sel_hi:[1,0,1]
	v_pk_fma_f32 v[22:23], v[32:33], v[22:23], v[42:43] op_sel_hi:[1,0,1] neg_lo:[0,0,1] neg_hi:[0,0,1]
	s_wait_dscnt 0x0
	v_dual_mov_b32 v46, v37 :: v_dual_mov_b32 v47, v36
	v_pk_mul_f32 v[42:43], v[34:35], v[44:45] op_sel:[0,1]
	s_delay_alu instid0(VALU_DEP_2) | instskip(NEXT) | instid1(VALU_DEP_2)
	v_pk_mul_f32 v[46:47], v[46:47], v[44:45] op_sel:[0,1]
	v_pk_fma_f32 v[48:49], v[34:35], v[22:23], v[42:43] op_sel:[0,0,1] op_sel_hi:[1,0,0]
	v_pk_fma_f32 v[34:35], v[34:35], v[22:23], v[42:43] op_sel:[0,0,1] op_sel_hi:[1,1,0] neg_lo:[0,0,1] neg_hi:[0,0,1]
	s_delay_alu instid0(VALU_DEP_3) | instskip(SKIP_1) | instid1(VALU_DEP_4)
	v_pk_fma_f32 v[50:51], v[36:37], v[22:23], v[46:47] op_sel_hi:[1,0,1]
	v_pk_fma_f32 v[36:37], v[36:37], v[22:23], v[46:47] neg_lo:[0,0,1] neg_hi:[0,0,1]
	v_dual_mov_b32 v35, v49 :: v_dual_mov_b32 v23, v45
	s_delay_alu instid0(VALU_DEP_3) | instskip(NEXT) | instid1(VALU_DEP_2)
	v_mov_b32_e32 v37, v51
	v_pk_add_f32 v[20:21], v[20:21], v[34:35] neg_lo:[0,1] neg_hi:[0,1]
	s_delay_alu instid0(VALU_DEP_2)
	v_pk_add_f32 v[18:19], v[18:19], v[36:37] neg_lo:[0,1] neg_hi:[0,1]
.LBB11_37:
	s_or_b32 exec_lo, exec_lo, s1
	s_delay_alu instid0(SALU_CYCLE_1)
	s_mov_b32 s2, exec_lo
	s_wait_dscnt 0x0
	s_barrier_signal -1
	s_barrier_wait -1
	v_cmpx_eq_u32_e32 4, v38
	s_cbranch_execz .LBB11_44
; %bb.38:
	ds_store_b64 v39, v[20:21]
	ds_store_b64 v40, v[18:19] offset:40
	ds_load_b64 v[34:35], v39
	s_wait_dscnt 0x0
	v_cmp_neq_f32_e32 vcc_lo, 0, v34
	v_cmp_neq_f32_e64 s1, 0, v35
	s_or_b32 s1, vcc_lo, s1
	s_delay_alu instid0(SALU_CYCLE_1)
	s_and_b32 exec_lo, exec_lo, s1
	s_cbranch_execz .LBB11_44
; %bb.39:
	v_cmp_ngt_f32_e64 s1, |v34|, |v35|
                                        ; implicit-def: $vgpr36_vgpr37
	s_and_saveexec_b32 s4, s1
	s_delay_alu instid0(SALU_CYCLE_1)
	s_xor_b32 s1, exec_lo, s4
	s_cbranch_execz .LBB11_41
; %bb.40:
	v_div_scale_f32 v36, null, v35, v35, v34
	v_div_scale_f32 v42, vcc_lo, v34, v35, v34
	s_delay_alu instid0(VALU_DEP_2) | instskip(SKIP_1) | instid1(TRANS32_DEP_1)
	v_rcp_f32_e32 v37, v36
	v_nop
	v_fma_f32 v41, -v36, v37, 1.0
	s_delay_alu instid0(VALU_DEP_1) | instskip(NEXT) | instid1(VALU_DEP_1)
	v_fmac_f32_e32 v37, v41, v37
	v_mul_f32_e32 v41, v42, v37
	s_delay_alu instid0(VALU_DEP_1) | instskip(NEXT) | instid1(VALU_DEP_1)
	v_fma_f32 v43, -v36, v41, v42
	v_fmac_f32_e32 v41, v43, v37
	s_delay_alu instid0(VALU_DEP_1) | instskip(NEXT) | instid1(VALU_DEP_1)
	v_fma_f32 v36, -v36, v41, v42
	v_div_fmas_f32 v36, v36, v37, v41
	s_delay_alu instid0(VALU_DEP_1) | instskip(NEXT) | instid1(VALU_DEP_1)
	v_div_fixup_f32 v36, v36, v35, v34
	v_fmac_f32_e32 v35, v34, v36
	s_delay_alu instid0(VALU_DEP_1) | instskip(SKIP_1) | instid1(VALU_DEP_2)
	v_div_scale_f32 v34, null, v35, v35, 1.0
	v_div_scale_f32 v42, vcc_lo, 1.0, v35, 1.0
	v_rcp_f32_e32 v37, v34
	v_nop
	s_delay_alu instid0(TRANS32_DEP_1) | instskip(NEXT) | instid1(VALU_DEP_1)
	v_fma_f32 v41, -v34, v37, 1.0
	v_fmac_f32_e32 v37, v41, v37
	s_delay_alu instid0(VALU_DEP_1) | instskip(NEXT) | instid1(VALU_DEP_1)
	v_mul_f32_e32 v41, v42, v37
	v_fma_f32 v43, -v34, v41, v42
	s_delay_alu instid0(VALU_DEP_1) | instskip(NEXT) | instid1(VALU_DEP_1)
	v_fmac_f32_e32 v41, v43, v37
	v_fma_f32 v34, -v34, v41, v42
	s_delay_alu instid0(VALU_DEP_1) | instskip(NEXT) | instid1(VALU_DEP_1)
	v_div_fmas_f32 v34, v34, v37, v41
	v_div_fixup_f32 v34, v34, v35, 1.0
	s_delay_alu instid0(VALU_DEP_1)
	v_mul_f32_e32 v36, v36, v34
	v_xor_b32_e32 v37, 0x80000000, v34
                                        ; implicit-def: $vgpr34_vgpr35
.LBB11_41:
	s_and_not1_saveexec_b32 s1, s1
	s_cbranch_execz .LBB11_43
; %bb.42:
	v_div_scale_f32 v36, null, v34, v34, v35
	v_div_scale_f32 v42, vcc_lo, v35, v34, v35
	s_delay_alu instid0(VALU_DEP_2) | instskip(SKIP_1) | instid1(TRANS32_DEP_1)
	v_rcp_f32_e32 v37, v36
	v_nop
	v_fma_f32 v41, -v36, v37, 1.0
	s_delay_alu instid0(VALU_DEP_1) | instskip(NEXT) | instid1(VALU_DEP_1)
	v_fmac_f32_e32 v37, v41, v37
	v_mul_f32_e32 v41, v42, v37
	s_delay_alu instid0(VALU_DEP_1) | instskip(NEXT) | instid1(VALU_DEP_1)
	v_fma_f32 v43, -v36, v41, v42
	v_fmac_f32_e32 v41, v43, v37
	s_delay_alu instid0(VALU_DEP_1) | instskip(NEXT) | instid1(VALU_DEP_1)
	v_fma_f32 v36, -v36, v41, v42
	v_div_fmas_f32 v36, v36, v37, v41
	s_delay_alu instid0(VALU_DEP_1) | instskip(NEXT) | instid1(VALU_DEP_1)
	v_div_fixup_f32 v37, v36, v34, v35
	v_fmac_f32_e32 v34, v35, v37
	s_delay_alu instid0(VALU_DEP_1) | instskip(NEXT) | instid1(VALU_DEP_1)
	v_div_scale_f32 v35, null, v34, v34, 1.0
	v_rcp_f32_e32 v36, v35
	v_nop
	s_delay_alu instid0(TRANS32_DEP_1) | instskip(NEXT) | instid1(VALU_DEP_1)
	v_fma_f32 v41, -v35, v36, 1.0
	v_fmac_f32_e32 v36, v41, v36
	v_div_scale_f32 v41, vcc_lo, 1.0, v34, 1.0
	s_delay_alu instid0(VALU_DEP_1) | instskip(NEXT) | instid1(VALU_DEP_1)
	v_mul_f32_e32 v42, v41, v36
	v_fma_f32 v43, -v35, v42, v41
	s_delay_alu instid0(VALU_DEP_1) | instskip(NEXT) | instid1(VALU_DEP_1)
	v_fmac_f32_e32 v42, v43, v36
	v_fma_f32 v35, -v35, v42, v41
	s_delay_alu instid0(VALU_DEP_1) | instskip(NEXT) | instid1(VALU_DEP_1)
	v_div_fmas_f32 v35, v35, v36, v42
	v_div_fixup_f32 v36, v35, v34, 1.0
	s_delay_alu instid0(VALU_DEP_1)
	v_mul_f32_e64 v37, v37, -v36
.LBB11_43:
	s_or_b32 exec_lo, exec_lo, s1
	ds_store_b64 v39, v[36:37]
.LBB11_44:
	s_or_b32 exec_lo, exec_lo, s2
	s_wait_dscnt 0x0
	s_barrier_signal -1
	s_barrier_wait -1
	ds_load_b64 v[34:35], v39
	s_mov_b32 s1, exec_lo
	v_cmpx_lt_u32_e32 4, v38
	s_cbranch_execz .LBB11_46
; %bb.45:
	ds_load_b64 v[36:37], v40 offset:40
	s_wait_dscnt 0x1
	v_pk_mul_f32 v[40:41], v[34:35], v[20:21] op_sel:[1,1] op_sel_hi:[0,1]
	s_delay_alu instid0(VALU_DEP_1) | instskip(SKIP_2) | instid1(VALU_DEP_2)
	v_pk_fma_f32 v[42:43], v[34:35], v[20:21], v[40:41] op_sel_hi:[1,0,1]
	v_pk_fma_f32 v[20:21], v[34:35], v[20:21], v[40:41] op_sel_hi:[1,0,1] neg_lo:[0,0,1] neg_hi:[0,0,1]
	s_wait_dscnt 0x0
	v_pk_mul_f32 v[40:41], v[36:37], v[42:43] op_sel:[1,1] op_sel_hi:[0,1]
	s_delay_alu instid0(VALU_DEP_1) | instskip(SKIP_1) | instid1(VALU_DEP_2)
	v_pk_fma_f32 v[44:45], v[36:37], v[20:21], v[40:41] op_sel_hi:[1,0,1]
	v_pk_fma_f32 v[36:37], v[36:37], v[20:21], v[40:41] neg_lo:[0,0,1] neg_hi:[0,0,1]
	v_dual_mov_b32 v21, v43 :: v_dual_mov_b32 v37, v45
	s_delay_alu instid0(VALU_DEP_1)
	v_pk_add_f32 v[18:19], v[18:19], v[36:37] neg_lo:[0,1] neg_hi:[0,1]
.LBB11_46:
	s_or_b32 exec_lo, exec_lo, s1
	s_delay_alu instid0(SALU_CYCLE_1)
	s_mov_b32 s2, exec_lo
	s_wait_dscnt 0x0
	s_barrier_signal -1
	s_barrier_wait -1
	v_cmpx_eq_u32_e32 5, v38
	s_cbranch_execz .LBB11_53
; %bb.47:
	v_cmp_neq_f32_e32 vcc_lo, 0, v18
	v_cmp_neq_f32_e64 s1, 0, v19
	ds_store_b64 v39, v[18:19]
	s_or_b32 s1, vcc_lo, s1
	s_delay_alu instid0(SALU_CYCLE_1)
	s_and_b32 exec_lo, exec_lo, s1
	s_cbranch_execz .LBB11_53
; %bb.48:
	v_cmp_ngt_f32_e64 s1, |v18|, |v19|
                                        ; implicit-def: $vgpr36_vgpr37
	s_and_saveexec_b32 s4, s1
	s_delay_alu instid0(SALU_CYCLE_1)
	s_xor_b32 s1, exec_lo, s4
	s_cbranch_execz .LBB11_50
; %bb.49:
	v_div_scale_f32 v36, null, v19, v19, v18
	v_div_scale_f32 v41, vcc_lo, v18, v19, v18
	s_delay_alu instid0(VALU_DEP_2) | instskip(SKIP_1) | instid1(TRANS32_DEP_1)
	v_rcp_f32_e32 v37, v36
	v_nop
	v_fma_f32 v40, -v36, v37, 1.0
	s_delay_alu instid0(VALU_DEP_1) | instskip(NEXT) | instid1(VALU_DEP_1)
	v_fmac_f32_e32 v37, v40, v37
	v_mul_f32_e32 v40, v41, v37
	s_delay_alu instid0(VALU_DEP_1) | instskip(NEXT) | instid1(VALU_DEP_1)
	v_fma_f32 v42, -v36, v40, v41
	v_fmac_f32_e32 v40, v42, v37
	s_delay_alu instid0(VALU_DEP_1) | instskip(NEXT) | instid1(VALU_DEP_1)
	v_fma_f32 v36, -v36, v40, v41
	v_div_fmas_f32 v36, v36, v37, v40
	s_delay_alu instid0(VALU_DEP_1) | instskip(NEXT) | instid1(VALU_DEP_1)
	v_div_fixup_f32 v36, v36, v19, v18
	v_fma_f32 v37, v18, v36, v19
	s_delay_alu instid0(VALU_DEP_1) | instskip(SKIP_1) | instid1(VALU_DEP_2)
	v_div_scale_f32 v40, null, v37, v37, 1.0
	v_div_scale_f32 v43, vcc_lo, 1.0, v37, 1.0
	v_rcp_f32_e32 v41, v40
	v_nop
	s_delay_alu instid0(TRANS32_DEP_1) | instskip(NEXT) | instid1(VALU_DEP_1)
	v_fma_f32 v42, -v40, v41, 1.0
	v_fmac_f32_e32 v41, v42, v41
	s_delay_alu instid0(VALU_DEP_1) | instskip(NEXT) | instid1(VALU_DEP_1)
	v_mul_f32_e32 v42, v43, v41
	v_fma_f32 v44, -v40, v42, v43
	s_delay_alu instid0(VALU_DEP_1) | instskip(NEXT) | instid1(VALU_DEP_1)
	v_fmac_f32_e32 v42, v44, v41
	v_fma_f32 v40, -v40, v42, v43
	s_delay_alu instid0(VALU_DEP_1) | instskip(NEXT) | instid1(VALU_DEP_1)
	v_div_fmas_f32 v40, v40, v41, v42
	v_div_fixup_f32 v37, v40, v37, 1.0
	s_delay_alu instid0(VALU_DEP_1)
	v_mul_f32_e32 v36, v36, v37
	v_xor_b32_e32 v37, 0x80000000, v37
.LBB11_50:
	s_and_not1_saveexec_b32 s1, s1
	s_cbranch_execz .LBB11_52
; %bb.51:
	v_div_scale_f32 v36, null, v18, v18, v19
	v_div_scale_f32 v41, vcc_lo, v19, v18, v19
	s_delay_alu instid0(VALU_DEP_2) | instskip(SKIP_1) | instid1(TRANS32_DEP_1)
	v_rcp_f32_e32 v37, v36
	v_nop
	v_fma_f32 v40, -v36, v37, 1.0
	s_delay_alu instid0(VALU_DEP_1) | instskip(NEXT) | instid1(VALU_DEP_1)
	v_fmac_f32_e32 v37, v40, v37
	v_mul_f32_e32 v40, v41, v37
	s_delay_alu instid0(VALU_DEP_1) | instskip(NEXT) | instid1(VALU_DEP_1)
	v_fma_f32 v42, -v36, v40, v41
	v_fmac_f32_e32 v40, v42, v37
	s_delay_alu instid0(VALU_DEP_1) | instskip(NEXT) | instid1(VALU_DEP_1)
	v_fma_f32 v36, -v36, v40, v41
	v_div_fmas_f32 v36, v36, v37, v40
	s_delay_alu instid0(VALU_DEP_1) | instskip(NEXT) | instid1(VALU_DEP_1)
	v_div_fixup_f32 v37, v36, v18, v19
	v_fma_f32 v36, v19, v37, v18
	s_delay_alu instid0(VALU_DEP_1) | instskip(NEXT) | instid1(VALU_DEP_1)
	v_div_scale_f32 v40, null, v36, v36, 1.0
	v_rcp_f32_e32 v41, v40
	v_nop
	s_delay_alu instid0(TRANS32_DEP_1) | instskip(NEXT) | instid1(VALU_DEP_1)
	v_fma_f32 v42, -v40, v41, 1.0
	v_fmac_f32_e32 v41, v42, v41
	v_div_scale_f32 v42, vcc_lo, 1.0, v36, 1.0
	s_delay_alu instid0(VALU_DEP_1) | instskip(NEXT) | instid1(VALU_DEP_1)
	v_mul_f32_e32 v43, v42, v41
	v_fma_f32 v44, -v40, v43, v42
	s_delay_alu instid0(VALU_DEP_1) | instskip(NEXT) | instid1(VALU_DEP_1)
	v_fmac_f32_e32 v43, v44, v41
	v_fma_f32 v40, -v40, v43, v42
	s_delay_alu instid0(VALU_DEP_1) | instskip(NEXT) | instid1(VALU_DEP_1)
	v_div_fmas_f32 v40, v40, v41, v43
	v_div_fixup_f32 v36, v40, v36, 1.0
	s_delay_alu instid0(VALU_DEP_1)
	v_mul_f32_e64 v37, v37, -v36
.LBB11_52:
	s_or_b32 exec_lo, exec_lo, s1
	ds_store_b64 v39, v[36:37]
.LBB11_53:
	s_or_b32 exec_lo, exec_lo, s2
	s_wait_dscnt 0x0
	s_barrier_signal -1
	s_barrier_wait -1
	ds_load_b64 v[36:37], v39
	s_wait_dscnt 0x0
	s_barrier_signal -1
	s_barrier_wait -1
	s_and_saveexec_b32 s4, s0
	s_cbranch_execz .LBB11_56
; %bb.54:
	v_lshl_add_u64 v[2:3], v[2:3], 2, s[6:7]
	v_cmp_eq_f32_e32 vcc_lo, 0, v26
	v_cmp_eq_f32_e64 s0, 0, v27
	v_cmp_neq_f32_e64 s1, 0, v28
	v_cmp_neq_f32_e64 s2, 0, v29
	global_load_b32 v39, v[2:3], off
	s_and_b32 s0, vcc_lo, s0
	s_delay_alu instid0(SALU_CYCLE_1) | instskip(SKIP_1) | instid1(SALU_CYCLE_1)
	v_cndmask_b32_e64 v26, 0, 1, s0
	s_or_b32 s1, s1, s2
	s_or_b32 vcc_lo, s1, s0
	v_cmp_eq_f32_e64 s0, 0, v31
	s_delay_alu instid0(VALU_DEP_2) | instskip(SKIP_1) | instid1(VALU_DEP_2)
	v_cndmask_b32_e32 v26, 2, v26, vcc_lo
	v_cmp_eq_f32_e32 vcc_lo, 0, v30
	v_cmp_eq_u32_e64 s1, 0, v26
	s_and_b32 s0, vcc_lo, s0
	v_cmp_eq_f32_e32 vcc_lo, 0, v32
	s_and_b32 s0, s0, s1
	s_delay_alu instid0(SALU_CYCLE_1) | instskip(SKIP_1) | instid1(VALU_DEP_2)
	v_cndmask_b32_e64 v26, v26, 3, s0
	v_cmp_eq_f32_e64 s0, 0, v33
	v_cmp_eq_u32_e64 s1, 0, v26
	s_and_b32 s0, vcc_lo, s0
	v_cmp_eq_f32_e32 vcc_lo, 0, v34
	s_and_b32 s0, s0, s1
	s_delay_alu instid0(SALU_CYCLE_1) | instskip(SKIP_1) | instid1(VALU_DEP_2)
	v_cndmask_b32_e64 v26, v26, 4, s0
	v_cmp_eq_f32_e64 s0, 0, v35
	;; [unrolled: 7-line block ×3, first 2 shown]
	v_cmp_eq_u32_e64 s1, 0, v26
	s_and_b32 s0, vcc_lo, s0
	s_delay_alu instid0(SALU_CYCLE_1) | instskip(NEXT) | instid1(SALU_CYCLE_1)
	s_and_b32 s0, s0, s1
	v_cndmask_b32_e64 v26, v26, 6, s0
	s_delay_alu instid0(VALU_DEP_1) | instskip(SKIP_3) | instid1(SALU_CYCLE_1)
	v_cmp_ne_u32_e64 s0, 0, v26
	s_wait_loadcnt 0x0
	v_cmp_eq_u32_e32 vcc_lo, 0, v39
	s_and_b32 s0, vcc_lo, s0
	s_and_b32 exec_lo, exec_lo, s0
	s_cbranch_execz .LBB11_56
; %bb.55:
	v_add_nc_u32_e32 v26, s3, v26
	global_store_b32 v[2:3], v26, off
.LBB11_56:
	s_wait_xcnt 0x0
	s_or_b32 exec_lo, exec_lo, s4
	v_pk_mul_f32 v[2:3], v[36:37], v[18:19] op_sel:[1,1] op_sel_hi:[0,1]
	v_cmp_lt_u32_e32 vcc_lo, 5, v38
	s_delay_alu instid0(VALU_DEP_2) | instskip(SKIP_1) | instid1(VALU_DEP_1)
	v_pk_fma_f32 v[26:27], v[36:37], v[18:19], v[2:3] neg_lo:[0,0,1] neg_hi:[0,0,1]
	v_pk_fma_f32 v[2:3], v[36:37], v[18:19], v[2:3] op_sel_hi:[1,0,1]
	v_dual_cndmask_b32 v2, v18, v26 :: v_dual_cndmask_b32 v3, v19, v3
	s_clause 0x5
	global_store_b64 v[0:1], v[14:15], off
	global_store_b64 v[12:13], v[16:17], off
	;; [unrolled: 1-line block ×6, first 2 shown]
.LBB11_57:
	s_endpgm
	.section	.rodata,"a",@progbits
	.p2align	6, 0x0
	.amdhsa_kernel _ZN9rocsolver6v33100L23getf2_npvt_small_kernelILi6E19rocblas_complex_numIfEiiPS3_EEvT1_T3_lS5_lPT2_S5_S5_
		.amdhsa_group_segment_fixed_size 0
		.amdhsa_private_segment_fixed_size 0
		.amdhsa_kernarg_size 312
		.amdhsa_user_sgpr_count 2
		.amdhsa_user_sgpr_dispatch_ptr 0
		.amdhsa_user_sgpr_queue_ptr 0
		.amdhsa_user_sgpr_kernarg_segment_ptr 1
		.amdhsa_user_sgpr_dispatch_id 0
		.amdhsa_user_sgpr_kernarg_preload_length 0
		.amdhsa_user_sgpr_kernarg_preload_offset 0
		.amdhsa_user_sgpr_private_segment_size 0
		.amdhsa_wavefront_size32 1
		.amdhsa_uses_dynamic_stack 0
		.amdhsa_enable_private_segment 0
		.amdhsa_system_sgpr_workgroup_id_x 1
		.amdhsa_system_sgpr_workgroup_id_y 1
		.amdhsa_system_sgpr_workgroup_id_z 0
		.amdhsa_system_sgpr_workgroup_info 0
		.amdhsa_system_vgpr_workitem_id 1
		.amdhsa_next_free_vgpr 60
		.amdhsa_next_free_sgpr 16
		.amdhsa_named_barrier_count 0
		.amdhsa_reserve_vcc 1
		.amdhsa_float_round_mode_32 0
		.amdhsa_float_round_mode_16_64 0
		.amdhsa_float_denorm_mode_32 3
		.amdhsa_float_denorm_mode_16_64 3
		.amdhsa_fp16_overflow 0
		.amdhsa_memory_ordered 1
		.amdhsa_forward_progress 1
		.amdhsa_inst_pref_size 42
		.amdhsa_round_robin_scheduling 0
		.amdhsa_exception_fp_ieee_invalid_op 0
		.amdhsa_exception_fp_denorm_src 0
		.amdhsa_exception_fp_ieee_div_zero 0
		.amdhsa_exception_fp_ieee_overflow 0
		.amdhsa_exception_fp_ieee_underflow 0
		.amdhsa_exception_fp_ieee_inexact 0
		.amdhsa_exception_int_div_zero 0
	.end_amdhsa_kernel
	.section	.text._ZN9rocsolver6v33100L23getf2_npvt_small_kernelILi6E19rocblas_complex_numIfEiiPS3_EEvT1_T3_lS5_lPT2_S5_S5_,"axG",@progbits,_ZN9rocsolver6v33100L23getf2_npvt_small_kernelILi6E19rocblas_complex_numIfEiiPS3_EEvT1_T3_lS5_lPT2_S5_S5_,comdat
.Lfunc_end11:
	.size	_ZN9rocsolver6v33100L23getf2_npvt_small_kernelILi6E19rocblas_complex_numIfEiiPS3_EEvT1_T3_lS5_lPT2_S5_S5_, .Lfunc_end11-_ZN9rocsolver6v33100L23getf2_npvt_small_kernelILi6E19rocblas_complex_numIfEiiPS3_EEvT1_T3_lS5_lPT2_S5_S5_
                                        ; -- End function
	.set _ZN9rocsolver6v33100L23getf2_npvt_small_kernelILi6E19rocblas_complex_numIfEiiPS3_EEvT1_T3_lS5_lPT2_S5_S5_.num_vgpr, 60
	.set _ZN9rocsolver6v33100L23getf2_npvt_small_kernelILi6E19rocblas_complex_numIfEiiPS3_EEvT1_T3_lS5_lPT2_S5_S5_.num_agpr, 0
	.set _ZN9rocsolver6v33100L23getf2_npvt_small_kernelILi6E19rocblas_complex_numIfEiiPS3_EEvT1_T3_lS5_lPT2_S5_S5_.numbered_sgpr, 16
	.set _ZN9rocsolver6v33100L23getf2_npvt_small_kernelILi6E19rocblas_complex_numIfEiiPS3_EEvT1_T3_lS5_lPT2_S5_S5_.num_named_barrier, 0
	.set _ZN9rocsolver6v33100L23getf2_npvt_small_kernelILi6E19rocblas_complex_numIfEiiPS3_EEvT1_T3_lS5_lPT2_S5_S5_.private_seg_size, 0
	.set _ZN9rocsolver6v33100L23getf2_npvt_small_kernelILi6E19rocblas_complex_numIfEiiPS3_EEvT1_T3_lS5_lPT2_S5_S5_.uses_vcc, 1
	.set _ZN9rocsolver6v33100L23getf2_npvt_small_kernelILi6E19rocblas_complex_numIfEiiPS3_EEvT1_T3_lS5_lPT2_S5_S5_.uses_flat_scratch, 0
	.set _ZN9rocsolver6v33100L23getf2_npvt_small_kernelILi6E19rocblas_complex_numIfEiiPS3_EEvT1_T3_lS5_lPT2_S5_S5_.has_dyn_sized_stack, 0
	.set _ZN9rocsolver6v33100L23getf2_npvt_small_kernelILi6E19rocblas_complex_numIfEiiPS3_EEvT1_T3_lS5_lPT2_S5_S5_.has_recursion, 0
	.set _ZN9rocsolver6v33100L23getf2_npvt_small_kernelILi6E19rocblas_complex_numIfEiiPS3_EEvT1_T3_lS5_lPT2_S5_S5_.has_indirect_call, 0
	.section	.AMDGPU.csdata,"",@progbits
; Kernel info:
; codeLenInByte = 5368
; TotalNumSgprs: 18
; NumVgprs: 60
; ScratchSize: 0
; MemoryBound: 0
; FloatMode: 240
; IeeeMode: 1
; LDSByteSize: 0 bytes/workgroup (compile time only)
; SGPRBlocks: 0
; VGPRBlocks: 3
; NumSGPRsForWavesPerEU: 18
; NumVGPRsForWavesPerEU: 60
; NamedBarCnt: 0
; Occupancy: 16
; WaveLimiterHint : 0
; COMPUTE_PGM_RSRC2:SCRATCH_EN: 0
; COMPUTE_PGM_RSRC2:USER_SGPR: 2
; COMPUTE_PGM_RSRC2:TRAP_HANDLER: 0
; COMPUTE_PGM_RSRC2:TGID_X_EN: 1
; COMPUTE_PGM_RSRC2:TGID_Y_EN: 1
; COMPUTE_PGM_RSRC2:TGID_Z_EN: 0
; COMPUTE_PGM_RSRC2:TIDIG_COMP_CNT: 1
	.section	.text._ZN9rocsolver6v33100L18getf2_small_kernelILi7E19rocblas_complex_numIfEiiPS3_EEvT1_T3_lS5_lPS5_llPT2_S5_S5_S7_l,"axG",@progbits,_ZN9rocsolver6v33100L18getf2_small_kernelILi7E19rocblas_complex_numIfEiiPS3_EEvT1_T3_lS5_lPS5_llPT2_S5_S5_S7_l,comdat
	.globl	_ZN9rocsolver6v33100L18getf2_small_kernelILi7E19rocblas_complex_numIfEiiPS3_EEvT1_T3_lS5_lPS5_llPT2_S5_S5_S7_l ; -- Begin function _ZN9rocsolver6v33100L18getf2_small_kernelILi7E19rocblas_complex_numIfEiiPS3_EEvT1_T3_lS5_lPS5_llPT2_S5_S5_S7_l
	.p2align	8
	.type	_ZN9rocsolver6v33100L18getf2_small_kernelILi7E19rocblas_complex_numIfEiiPS3_EEvT1_T3_lS5_lPS5_llPT2_S5_S5_S7_l,@function
_ZN9rocsolver6v33100L18getf2_small_kernelILi7E19rocblas_complex_numIfEiiPS3_EEvT1_T3_lS5_lPS5_llPT2_S5_S5_S7_l: ; @_ZN9rocsolver6v33100L18getf2_small_kernelILi7E19rocblas_complex_numIfEiiPS3_EEvT1_T3_lS5_lPS5_llPT2_S5_S5_S7_l
; %bb.0:
	s_clause 0x1
	s_load_u16 s4, s[0:1], 0x6e
	s_load_b64 s[2:3], s[0:1], 0x48
	s_bfe_u32 s5, ttmp6, 0x40010
	s_bfe_u32 s6, ttmp6, 0x40004
	s_add_co_i32 s5, s5, 1
	s_getreg_b32 s7, hwreg(HW_REG_IB_STS2, 6, 4)
	s_mul_i32 s5, ttmp7, s5
	v_bfe_u32 v20, v0, 10, 10
	s_add_co_i32 s6, s6, s5
	s_cmp_eq_u32 s7, 0
	s_cselect_b32 s5, ttmp7, s6
	s_wait_kmcnt 0x0
	v_mad_u32 v2, s5, s4, v20
	s_delay_alu instid0(VALU_DEP_1)
	v_cmp_gt_i32_e32 vcc_lo, s2, v2
	s_and_saveexec_b32 s2, vcc_lo
	s_cbranch_execz .LBB12_148
; %bb.1:
	s_load_b128 s[4:7], s[0:1], 0x50
	v_mov_b64_e32 v[18:19], 0
	v_ashrrev_i32_e32 v3, 31, v2
	s_wait_kmcnt 0x0
	s_cmp_eq_u64 s[4:5], 0
	s_cselect_b32 s2, -1, 0
	s_delay_alu instid0(SALU_CYCLE_1)
	s_and_b32 vcc_lo, exec_lo, s2
	s_cbranch_vccnz .LBB12_3
; %bb.2:
	v_mul_u64_e32 v[4:5], s[6:7], v[2:3]
	s_delay_alu instid0(VALU_DEP_1)
	v_lshl_add_u64 v[18:19], v[4:5], 2, s[4:5]
.LBB12_3:
	s_load_b256 s[4:11], s[0:1], 0x20
	v_and_b32_e32 v26, 0x3ff, v0
	v_mov_b32_e32 v23, 0
	s_wait_kmcnt 0x0
	v_mul_u64_e32 v[4:5], s[4:5], v[2:3]
	s_clause 0x1
	s_load_b32 s4, s[0:1], 0x18
	s_load_b128 s[12:15], s[0:1], 0x8
	s_wait_kmcnt 0x0
	v_add3_u32 v6, s4, s4, v26
	s_ashr_i32 s5, s4, 31
	s_delay_alu instid0(VALU_DEP_2) | instskip(NEXT) | instid1(VALU_DEP_2)
	v_lshl_add_u64 v[0:1], v[4:5], 3, s[12:13]
	v_add_nc_u32_e32 v4, s4, v6
	v_lshlrev_b32_e32 v22, 3, v26
	v_ashrrev_i32_e32 v7, 31, v6
	s_delay_alu instid0(VALU_DEP_4) | instskip(NEXT) | instid1(VALU_DEP_4)
	v_lshl_add_u64 v[0:1], s[14:15], 3, v[0:1]
	v_dual_ashrrev_i32 v5, 31, v4 :: v_dual_add_nc_u32 v16, s4, v4
	s_load_b32 s14, s[0:1], 0x0
	s_delay_alu instid0(VALU_DEP_2) | instskip(SKIP_1) | instid1(VALU_DEP_3)
	v_add_nc_u64_e32 v[8:9], v[0:1], v[22:23]
	v_lshl_add_u64 v[12:13], v[6:7], 3, v[0:1]
	v_lshl_add_u64 v[14:15], v[4:5], 3, v[0:1]
	s_clause 0x2
	global_load_b64 v[4:5], v[12:13], off
	global_load_b64 v[6:7], v[14:15], off
	;; [unrolled: 1-line block ×3, first 2 shown]
	s_wait_xcnt 0x2
	v_dual_add_nc_u32 v12, s4, v16 :: v_dual_ashrrev_i32 v17, 31, v16
	v_lshl_add_u64 v[24:25], s[4:5], 3, v[8:9]
	s_wait_xcnt 0x1
	s_delay_alu instid0(VALU_DEP_2) | instskip(NEXT) | instid1(VALU_DEP_3)
	v_dual_add_nc_u32 v14, s4, v12 :: v_dual_ashrrev_i32 v13, 31, v12
	v_lshl_add_u64 v[28:29], v[16:17], 3, v[0:1]
	s_delay_alu instid0(VALU_DEP_2) | instskip(NEXT) | instid1(VALU_DEP_3)
	v_ashrrev_i32_e32 v15, 31, v14
	v_lshl_add_u64 v[30:31], v[12:13], 3, v[0:1]
	s_wait_kmcnt 0x0
	s_max_i32 s12, s14, 7
	s_cmp_lt_i32 s14, 2
	v_lshl_add_u64 v[32:33], v[14:15], 3, v[0:1]
	s_clause 0x3
	global_load_b64 v[14:15], v[24:25], off
	global_load_b64 v[12:13], v[28:29], off
	global_load_b64 v[8:9], v[30:31], off
	global_load_b64 v[16:17], v[32:33], off
	s_wait_xcnt 0x3
	v_mul_lo_u32 v25, s12, v20
	s_load_b64 s[12:13], s[0:1], 0x40
	s_delay_alu instid0(VALU_DEP_1) | instskip(NEXT) | instid1(VALU_DEP_1)
	v_lshl_add_u32 v24, v25, 3, 0
	v_dual_lshlrev_b32 v25, 3, v25 :: v_dual_add_nc_u32 v20, v24, v22
	s_wait_loadcnt 0x4
	ds_store_b64 v20, v[10:11]
	s_wait_loadcnt_dscnt 0x0
	s_barrier_signal -1
	s_barrier_wait -1
	ds_load_b64 v[20:21], v24
	s_cbranch_scc1 .LBB12_6
; %bb.4:
	v_add3_u32 v22, v25, 0, 8
	v_mov_b32_e32 v23, 0
	s_wait_xcnt 0x0
	s_mov_b32 s0, 1
.LBB12_5:                               ; =>This Inner Loop Header: Depth=1
	ds_load_b64 v[28:29], v22
	s_wait_dscnt 0x1
	v_cmp_gt_f32_e32 vcc_lo, 0, v20
	v_cndmask_b32_e64 v30, v20, -v20, vcc_lo
	v_cmp_gt_f32_e32 vcc_lo, 0, v21
	v_cndmask_b32_e64 v32, v21, -v21, vcc_lo
	s_wait_dscnt 0x0
	v_cmp_gt_f32_e32 vcc_lo, 0, v28
	v_cndmask_b32_e64 v31, v28, -v28, vcc_lo
	v_cmp_gt_f32_e32 vcc_lo, 0, v29
	v_cndmask_b32_e64 v33, v29, -v29, vcc_lo
	s_delay_alu instid0(VALU_DEP_1) | instskip(NEXT) | instid1(VALU_DEP_1)
	v_pk_add_f32 v[30:31], v[30:31], v[32:33]
	v_cmp_lt_f32_e32 vcc_lo, v30, v31
	v_dual_cndmask_b32 v21, v21, v29 :: v_dual_add_nc_u32 v22, 8, v22
	v_cndmask_b32_e32 v20, v20, v28, vcc_lo
	v_cndmask_b32_e64 v23, v23, s0, vcc_lo
	s_add_co_i32 s0, s0, 1
	s_delay_alu instid0(SALU_CYCLE_1)
	s_cmp_eq_u32 s14, s0
	s_cbranch_scc0 .LBB12_5
.LBB12_6:
	s_wait_dscnt 0x0
	v_cmp_neq_f32_e32 vcc_lo, 0, v20
	s_wait_xcnt 0x0
	v_cmp_neq_f32_e64 s0, 0, v21
	v_dual_mov_b32 v27, 1 :: v_dual_mov_b32 v28, 1
	s_or_b32 s1, vcc_lo, s0
	s_delay_alu instid0(SALU_CYCLE_1)
	s_and_saveexec_b32 s0, s1
	s_cbranch_execz .LBB12_12
; %bb.7:
	v_cmp_ngt_f32_e64 s1, |v20|, |v21|
	s_and_saveexec_b32 s15, s1
	s_delay_alu instid0(SALU_CYCLE_1)
	s_xor_b32 s1, exec_lo, s15
	s_cbranch_execz .LBB12_9
; %bb.8:
	v_div_scale_f32 v22, null, v21, v21, v20
	v_div_scale_f32 v29, vcc_lo, v20, v21, v20
	s_delay_alu instid0(VALU_DEP_2) | instskip(SKIP_1) | instid1(TRANS32_DEP_1)
	v_rcp_f32_e32 v27, v22
	v_nop
	v_fma_f32 v28, -v22, v27, 1.0
	s_delay_alu instid0(VALU_DEP_1) | instskip(NEXT) | instid1(VALU_DEP_1)
	v_fmac_f32_e32 v27, v28, v27
	v_mul_f32_e32 v28, v29, v27
	s_delay_alu instid0(VALU_DEP_1) | instskip(NEXT) | instid1(VALU_DEP_1)
	v_fma_f32 v30, -v22, v28, v29
	v_fmac_f32_e32 v28, v30, v27
	s_delay_alu instid0(VALU_DEP_1) | instskip(NEXT) | instid1(VALU_DEP_1)
	v_fma_f32 v22, -v22, v28, v29
	v_div_fmas_f32 v22, v22, v27, v28
	s_delay_alu instid0(VALU_DEP_1) | instskip(NEXT) | instid1(VALU_DEP_1)
	v_div_fixup_f32 v22, v22, v21, v20
	v_fmac_f32_e32 v21, v20, v22
	s_delay_alu instid0(VALU_DEP_1) | instskip(SKIP_1) | instid1(VALU_DEP_2)
	v_div_scale_f32 v20, null, v21, v21, 1.0
	v_div_scale_f32 v29, vcc_lo, 1.0, v21, 1.0
	v_rcp_f32_e32 v27, v20
	v_nop
	s_delay_alu instid0(TRANS32_DEP_1) | instskip(NEXT) | instid1(VALU_DEP_1)
	v_fma_f32 v28, -v20, v27, 1.0
	v_fmac_f32_e32 v27, v28, v27
	s_delay_alu instid0(VALU_DEP_1) | instskip(NEXT) | instid1(VALU_DEP_1)
	v_mul_f32_e32 v28, v29, v27
	v_fma_f32 v30, -v20, v28, v29
	s_delay_alu instid0(VALU_DEP_1) | instskip(NEXT) | instid1(VALU_DEP_1)
	v_fmac_f32_e32 v28, v30, v27
	v_fma_f32 v20, -v20, v28, v29
	s_delay_alu instid0(VALU_DEP_1) | instskip(NEXT) | instid1(VALU_DEP_1)
	v_div_fmas_f32 v20, v20, v27, v28
	v_div_fixup_f32 v21, v20, v21, 1.0
	s_delay_alu instid0(VALU_DEP_1)
	v_mul_f32_e32 v20, v22, v21
	v_xor_b32_e32 v21, 0x80000000, v21
.LBB12_9:
	s_and_not1_saveexec_b32 s1, s1
	s_cbranch_execz .LBB12_11
; %bb.10:
	s_delay_alu instid0(VALU_DEP_1) | instskip(SKIP_1) | instid1(VALU_DEP_2)
	v_div_scale_f32 v22, null, v20, v20, v21
	v_div_scale_f32 v29, vcc_lo, v21, v20, v21
	v_rcp_f32_e32 v27, v22
	v_nop
	s_delay_alu instid0(TRANS32_DEP_1) | instskip(NEXT) | instid1(VALU_DEP_1)
	v_fma_f32 v28, -v22, v27, 1.0
	v_fmac_f32_e32 v27, v28, v27
	s_delay_alu instid0(VALU_DEP_1) | instskip(NEXT) | instid1(VALU_DEP_1)
	v_mul_f32_e32 v28, v29, v27
	v_fma_f32 v30, -v22, v28, v29
	s_delay_alu instid0(VALU_DEP_1) | instskip(NEXT) | instid1(VALU_DEP_1)
	v_fmac_f32_e32 v28, v30, v27
	v_fma_f32 v22, -v22, v28, v29
	s_delay_alu instid0(VALU_DEP_1) | instskip(NEXT) | instid1(VALU_DEP_1)
	v_div_fmas_f32 v22, v22, v27, v28
	v_div_fixup_f32 v22, v22, v20, v21
	s_delay_alu instid0(VALU_DEP_1) | instskip(NEXT) | instid1(VALU_DEP_1)
	v_fmac_f32_e32 v20, v21, v22
	v_div_scale_f32 v21, null, v20, v20, 1.0
	s_delay_alu instid0(VALU_DEP_1) | instskip(SKIP_1) | instid1(TRANS32_DEP_1)
	v_rcp_f32_e32 v27, v21
	v_nop
	v_fma_f32 v28, -v21, v27, 1.0
	s_delay_alu instid0(VALU_DEP_1) | instskip(SKIP_1) | instid1(VALU_DEP_1)
	v_fmac_f32_e32 v27, v28, v27
	v_div_scale_f32 v28, vcc_lo, 1.0, v20, 1.0
	v_mul_f32_e32 v29, v28, v27
	s_delay_alu instid0(VALU_DEP_1) | instskip(NEXT) | instid1(VALU_DEP_1)
	v_fma_f32 v30, -v21, v29, v28
	v_fmac_f32_e32 v29, v30, v27
	s_delay_alu instid0(VALU_DEP_1) | instskip(NEXT) | instid1(VALU_DEP_1)
	v_fma_f32 v21, -v21, v29, v28
	v_div_fmas_f32 v21, v21, v27, v29
	s_delay_alu instid0(VALU_DEP_1) | instskip(NEXT) | instid1(VALU_DEP_1)
	v_div_fixup_f32 v20, v21, v20, 1.0
	v_mul_f32_e64 v21, v22, -v20
.LBB12_11:
	s_or_b32 exec_lo, exec_lo, s1
	v_dual_mov_b32 v28, 0 :: v_dual_mov_b32 v27, 2
.LBB12_12:
	s_or_b32 exec_lo, exec_lo, s0
	s_delay_alu instid0(SALU_CYCLE_1)
	s_mov_b32 s0, exec_lo
	v_cmpx_ne_u32_e64 v26, v23
	s_xor_b32 s0, exec_lo, s0
	s_cbranch_execz .LBB12_18
; %bb.13:
	s_mov_b32 s1, exec_lo
	v_cmpx_eq_u32_e32 0, v26
	s_cbranch_execz .LBB12_17
; %bb.14:
	v_cmp_ne_u32_e32 vcc_lo, 0, v23
	s_xor_b32 s15, s2, -1
	s_delay_alu instid0(SALU_CYCLE_1) | instskip(NEXT) | instid1(SALU_CYCLE_1)
	s_and_b32 s16, s15, vcc_lo
	s_and_saveexec_b32 s15, s16
	s_cbranch_execz .LBB12_16
; %bb.15:
	v_dual_mov_b32 v30, v23 :: v_dual_ashrrev_i32 v31, 31, v23
	s_delay_alu instid0(VALU_DEP_1)
	v_lshl_add_u64 v[30:31], v[30:31], 2, v[18:19]
	s_clause 0x1
	global_load_b32 v22, v[30:31], off
	global_load_b32 v26, v[18:19], off
	s_wait_loadcnt 0x1
	global_store_b32 v[18:19], v22, off
	s_wait_loadcnt 0x0
	global_store_b32 v[30:31], v26, off
.LBB12_16:
	s_wait_xcnt 0x0
	s_or_b32 exec_lo, exec_lo, s15
	v_mov_b32_e32 v26, v23
.LBB12_17:
	s_or_b32 exec_lo, exec_lo, s1
.LBB12_18:
	s_or_saveexec_b32 s0, s0
	s_delay_alu instid0(VALU_DEP_1)
	v_mov_b32_e32 v23, v26
	s_xor_b32 exec_lo, exec_lo, s0
	s_cbranch_execz .LBB12_20
; %bb.19:
	v_mov_b32_e32 v23, 0
	ds_store_2addr_b64 v24, v[14:15], v[4:5] offset0:1 offset1:2
	ds_store_2addr_b64 v24, v[6:7], v[12:13] offset0:3 offset1:4
	ds_store_2addr_b64 v24, v[8:9], v[16:17] offset0:5 offset1:6
.LBB12_20:
	s_or_b32 exec_lo, exec_lo, s0
	s_delay_alu instid0(SALU_CYCLE_1)
	s_mov_b32 s0, exec_lo
	s_wait_storecnt_dscnt 0x0
	s_barrier_signal -1
	s_barrier_wait -1
	v_cmpx_lt_i32_e32 0, v23
	s_cbranch_execz .LBB12_22
; %bb.21:
	ds_load_2addr_b64 v[30:33], v24 offset0:1 offset1:2
	ds_load_2addr_b64 v[34:37], v24 offset0:3 offset1:4
	;; [unrolled: 1-line block ×3, first 2 shown]
	v_pk_mul_f32 v[42:43], v[20:21], v[10:11] op_sel:[1,1] op_sel_hi:[0,1]
	s_delay_alu instid0(VALU_DEP_1) | instskip(SKIP_1) | instid1(VALU_DEP_1)
	v_pk_fma_f32 v[44:45], v[20:21], v[10:11], v[42:43] op_sel_hi:[1,0,1] neg_lo:[0,0,1] neg_hi:[0,0,1]
	v_pk_fma_f32 v[20:21], v[20:21], v[10:11], v[42:43] op_sel_hi:[1,0,1]
	v_dual_mov_b32 v10, v44 :: v_dual_mov_b32 v11, v21
	s_wait_dscnt 0x2
	s_delay_alu instid0(VALU_DEP_2)
	v_pk_mul_f32 v[42:43], v[30:31], v[20:21] op_sel:[0,1]
	v_pk_mul_f32 v[46:47], v[32:33], v[20:21] op_sel:[0,1]
	s_wait_dscnt 0x1
	v_pk_mul_f32 v[48:49], v[34:35], v[20:21] op_sel:[0,1]
	v_dual_mov_b32 v50, v37 :: v_dual_mov_b32 v51, v36
	v_dual_mul_f32 v22, v37, v21 :: v_dual_mul_f32 v52, v37, v44
	s_wait_dscnt 0x0
	v_pk_mul_f32 v[54:55], v[38:39], v[20:21] op_sel:[0,1]
	v_dual_mov_b32 v56, v41 :: v_dual_mov_b32 v57, v40
	v_dual_mul_f32 v20, v41, v21 :: v_dual_mul_f32 v58, v41, v44
	v_pk_fma_f32 v[60:61], v[30:31], v[44:45], v[42:43] op_sel:[0,0,1] op_sel_hi:[1,1,0] neg_lo:[0,0,1] neg_hi:[0,0,1]
	v_pk_fma_f32 v[30:31], v[30:31], v[44:45], v[42:43] op_sel:[0,0,1] op_sel_hi:[1,0,0]
	v_pk_fma_f32 v[42:43], v[32:33], v[44:45], v[46:47] op_sel:[0,0,1] op_sel_hi:[1,1,0] neg_lo:[0,0,1] neg_hi:[0,0,1]
	v_pk_fma_f32 v[32:33], v[32:33], v[44:45], v[46:47] op_sel:[0,0,1] op_sel_hi:[1,0,0]
	;; [unrolled: 2-line block ×3, first 2 shown]
	v_pk_fma_f32 v[48:49], v[50:51], v[10:11], v[52:53] op_sel_hi:[1,1,0]
	v_pk_fma_f32 v[50:51], v[38:39], v[44:45], v[54:55] op_sel:[0,0,1] op_sel_hi:[1,1,0] neg_lo:[0,0,1] neg_hi:[0,0,1]
	v_pk_fma_f32 v[38:39], v[38:39], v[44:45], v[54:55] op_sel:[0,0,1] op_sel_hi:[1,0,0]
	v_dual_mov_b32 v61, v31 :: v_dual_mov_b32 v43, v33
	v_pk_fma_f32 v[30:31], v[56:57], v[10:11], v[58:59] op_sel_hi:[1,1,0]
	v_pk_fma_f32 v[36:37], v[36:37], v[10:11], v[22:23] op_sel_hi:[1,1,0] neg_lo:[0,0,1] neg_hi:[0,0,1]
	v_pk_fma_f32 v[20:21], v[40:41], v[10:11], v[20:21] op_sel_hi:[1,1,0] neg_lo:[0,0,1] neg_hi:[0,0,1]
	v_dual_mov_b32 v47, v35 :: v_dual_mov_b32 v37, v49
	s_delay_alu instid0(VALU_DEP_4) | instskip(SKIP_2) | instid1(VALU_DEP_4)
	v_dual_mov_b32 v51, v39 :: v_dual_mov_b32 v21, v31
	v_pk_add_f32 v[14:15], v[14:15], v[60:61] neg_lo:[0,1] neg_hi:[0,1]
	v_pk_add_f32 v[4:5], v[4:5], v[42:43] neg_lo:[0,1] neg_hi:[0,1]
	;; [unrolled: 1-line block ×6, first 2 shown]
.LBB12_22:
	s_or_b32 exec_lo, exec_lo, s0
	v_lshl_add_u32 v20, v23, 3, v24
	s_barrier_signal -1
	s_barrier_wait -1
	ds_store_b64 v20, v[14:15]
	s_wait_dscnt 0x0
	s_barrier_signal -1
	s_barrier_wait -1
	ds_load_b64 v[20:21], v24 offset:8
	v_mov_b32_e32 v22, 1
	s_cmp_lt_i32 s14, 3
	s_cbranch_scc1 .LBB12_25
; %bb.23:
	v_add3_u32 v29, v25, 0, 16
	v_mov_b32_e32 v22, 1
	s_mov_b32 s0, 2
.LBB12_24:                              ; =>This Inner Loop Header: Depth=1
	ds_load_b64 v[30:31], v29
	s_wait_dscnt 0x1
	v_cmp_gt_f32_e32 vcc_lo, 0, v20
	v_cndmask_b32_e64 v32, v20, -v20, vcc_lo
	v_cmp_gt_f32_e32 vcc_lo, 0, v21
	v_cndmask_b32_e64 v34, v21, -v21, vcc_lo
	s_wait_dscnt 0x0
	v_cmp_gt_f32_e32 vcc_lo, 0, v30
	v_cndmask_b32_e64 v33, v30, -v30, vcc_lo
	v_cmp_gt_f32_e32 vcc_lo, 0, v31
	v_cndmask_b32_e64 v35, v31, -v31, vcc_lo
	s_delay_alu instid0(VALU_DEP_1) | instskip(NEXT) | instid1(VALU_DEP_1)
	v_pk_add_f32 v[32:33], v[32:33], v[34:35]
	v_cmp_lt_f32_e32 vcc_lo, v32, v33
	v_dual_add_nc_u32 v29, 8, v29 :: v_dual_cndmask_b32 v21, v21, v31, vcc_lo
	v_cndmask_b32_e32 v20, v20, v30, vcc_lo
	v_cndmask_b32_e64 v22, v22, s0, vcc_lo
	s_add_co_i32 s0, s0, 1
	s_delay_alu instid0(SALU_CYCLE_1)
	s_cmp_lg_u32 s14, s0
	s_cbranch_scc1 .LBB12_24
.LBB12_25:
	s_wait_dscnt 0x0
	v_cmp_neq_f32_e32 vcc_lo, 0, v20
	v_cmp_neq_f32_e64 s0, 0, v21
	s_or_b32 s1, vcc_lo, s0
	s_delay_alu instid0(SALU_CYCLE_1)
	s_and_saveexec_b32 s0, s1
	s_cbranch_execz .LBB12_31
; %bb.26:
	v_cmp_ngt_f32_e64 s1, |v20|, |v21|
	s_and_saveexec_b32 s15, s1
	s_delay_alu instid0(SALU_CYCLE_1)
	s_xor_b32 s1, exec_lo, s15
	s_cbranch_execz .LBB12_28
; %bb.27:
	v_div_scale_f32 v27, null, v21, v21, v20
	v_div_scale_f32 v31, vcc_lo, v20, v21, v20
	s_delay_alu instid0(VALU_DEP_2) | instskip(SKIP_1) | instid1(TRANS32_DEP_1)
	v_rcp_f32_e32 v29, v27
	v_nop
	v_fma_f32 v30, -v27, v29, 1.0
	s_delay_alu instid0(VALU_DEP_1) | instskip(NEXT) | instid1(VALU_DEP_1)
	v_fmac_f32_e32 v29, v30, v29
	v_mul_f32_e32 v30, v31, v29
	s_delay_alu instid0(VALU_DEP_1) | instskip(NEXT) | instid1(VALU_DEP_1)
	v_fma_f32 v32, -v27, v30, v31
	v_fmac_f32_e32 v30, v32, v29
	s_delay_alu instid0(VALU_DEP_1) | instskip(NEXT) | instid1(VALU_DEP_1)
	v_fma_f32 v27, -v27, v30, v31
	v_div_fmas_f32 v27, v27, v29, v30
	s_delay_alu instid0(VALU_DEP_1) | instskip(NEXT) | instid1(VALU_DEP_1)
	v_div_fixup_f32 v27, v27, v21, v20
	v_fmac_f32_e32 v21, v20, v27
	s_delay_alu instid0(VALU_DEP_1) | instskip(SKIP_1) | instid1(VALU_DEP_2)
	v_div_scale_f32 v20, null, v21, v21, 1.0
	v_div_scale_f32 v31, vcc_lo, 1.0, v21, 1.0
	v_rcp_f32_e32 v29, v20
	v_nop
	s_delay_alu instid0(TRANS32_DEP_1) | instskip(NEXT) | instid1(VALU_DEP_1)
	v_fma_f32 v30, -v20, v29, 1.0
	v_fmac_f32_e32 v29, v30, v29
	s_delay_alu instid0(VALU_DEP_1) | instskip(NEXT) | instid1(VALU_DEP_1)
	v_mul_f32_e32 v30, v31, v29
	v_fma_f32 v32, -v20, v30, v31
	s_delay_alu instid0(VALU_DEP_1) | instskip(NEXT) | instid1(VALU_DEP_1)
	v_fmac_f32_e32 v30, v32, v29
	v_fma_f32 v20, -v20, v30, v31
	s_delay_alu instid0(VALU_DEP_1) | instskip(NEXT) | instid1(VALU_DEP_1)
	v_div_fmas_f32 v20, v20, v29, v30
	v_div_fixup_f32 v21, v20, v21, 1.0
	s_delay_alu instid0(VALU_DEP_1)
	v_mul_f32_e32 v20, v27, v21
	v_xor_b32_e32 v21, 0x80000000, v21
.LBB12_28:
	s_and_not1_saveexec_b32 s1, s1
	s_cbranch_execz .LBB12_30
; %bb.29:
	s_delay_alu instid0(VALU_DEP_1) | instskip(SKIP_1) | instid1(VALU_DEP_2)
	v_div_scale_f32 v27, null, v20, v20, v21
	v_div_scale_f32 v31, vcc_lo, v21, v20, v21
	v_rcp_f32_e32 v29, v27
	v_nop
	s_delay_alu instid0(TRANS32_DEP_1) | instskip(NEXT) | instid1(VALU_DEP_1)
	v_fma_f32 v30, -v27, v29, 1.0
	v_fmac_f32_e32 v29, v30, v29
	s_delay_alu instid0(VALU_DEP_1) | instskip(NEXT) | instid1(VALU_DEP_1)
	v_mul_f32_e32 v30, v31, v29
	v_fma_f32 v32, -v27, v30, v31
	s_delay_alu instid0(VALU_DEP_1) | instskip(NEXT) | instid1(VALU_DEP_1)
	v_fmac_f32_e32 v30, v32, v29
	v_fma_f32 v27, -v27, v30, v31
	s_delay_alu instid0(VALU_DEP_1) | instskip(NEXT) | instid1(VALU_DEP_1)
	v_div_fmas_f32 v27, v27, v29, v30
	v_div_fixup_f32 v27, v27, v20, v21
	s_delay_alu instid0(VALU_DEP_1) | instskip(NEXT) | instid1(VALU_DEP_1)
	v_fmac_f32_e32 v20, v21, v27
	v_div_scale_f32 v21, null, v20, v20, 1.0
	s_delay_alu instid0(VALU_DEP_1) | instskip(SKIP_1) | instid1(TRANS32_DEP_1)
	v_rcp_f32_e32 v29, v21
	v_nop
	v_fma_f32 v30, -v21, v29, 1.0
	s_delay_alu instid0(VALU_DEP_1) | instskip(SKIP_1) | instid1(VALU_DEP_1)
	v_fmac_f32_e32 v29, v30, v29
	v_div_scale_f32 v30, vcc_lo, 1.0, v20, 1.0
	v_mul_f32_e32 v31, v30, v29
	s_delay_alu instid0(VALU_DEP_1) | instskip(NEXT) | instid1(VALU_DEP_1)
	v_fma_f32 v32, -v21, v31, v30
	v_fmac_f32_e32 v31, v32, v29
	s_delay_alu instid0(VALU_DEP_1) | instskip(NEXT) | instid1(VALU_DEP_1)
	v_fma_f32 v21, -v21, v31, v30
	v_div_fmas_f32 v21, v21, v29, v31
	s_delay_alu instid0(VALU_DEP_1) | instskip(NEXT) | instid1(VALU_DEP_1)
	v_div_fixup_f32 v20, v21, v20, 1.0
	v_mul_f32_e64 v21, v27, -v20
.LBB12_30:
	s_or_b32 exec_lo, exec_lo, s1
	v_mov_b32_e32 v27, v28
.LBB12_31:
	s_or_b32 exec_lo, exec_lo, s0
	s_delay_alu instid0(SALU_CYCLE_1)
	s_mov_b32 s0, exec_lo
	v_cmpx_ne_u32_e64 v23, v22
	s_xor_b32 s0, exec_lo, s0
	s_cbranch_execz .LBB12_37
; %bb.32:
	s_mov_b32 s1, exec_lo
	v_cmpx_eq_u32_e32 1, v23
	s_cbranch_execz .LBB12_36
; %bb.33:
	v_cmp_ne_u32_e32 vcc_lo, 1, v22
	s_xor_b32 s15, s2, -1
	s_delay_alu instid0(SALU_CYCLE_1) | instskip(NEXT) | instid1(SALU_CYCLE_1)
	s_and_b32 s16, s15, vcc_lo
	s_and_saveexec_b32 s15, s16
	s_cbranch_execz .LBB12_35
; %bb.34:
	v_ashrrev_i32_e32 v23, 31, v22
	s_delay_alu instid0(VALU_DEP_1)
	v_lshl_add_u64 v[28:29], v[22:23], 2, v[18:19]
	s_clause 0x1
	global_load_b32 v23, v[28:29], off
	global_load_b32 v26, v[18:19], off offset:4
	s_wait_loadcnt 0x1
	global_store_b32 v[18:19], v23, off offset:4
	s_wait_loadcnt 0x0
	global_store_b32 v[28:29], v26, off
.LBB12_35:
	s_wait_xcnt 0x0
	s_or_b32 exec_lo, exec_lo, s15
	v_dual_mov_b32 v23, v22 :: v_dual_mov_b32 v26, v22
.LBB12_36:
	s_or_b32 exec_lo, exec_lo, s1
.LBB12_37:
	s_and_not1_saveexec_b32 s0, s0
	s_cbranch_execz .LBB12_39
; %bb.38:
	v_dual_mov_b32 v28, v4 :: v_dual_mov_b32 v29, v5
	v_dual_mov_b32 v30, v6 :: v_dual_mov_b32 v31, v7
	;; [unrolled: 1-line block ×4, first 2 shown]
	v_mov_b32_e32 v35, v9
	ds_store_2addr_b64 v24, v[28:29], v[30:31] offset0:2 offset1:3
	ds_store_2addr_b64 v24, v[32:33], v[34:35] offset0:4 offset1:5
	ds_store_b64 v24, v[16:17] offset:48
.LBB12_39:
	s_or_b32 exec_lo, exec_lo, s0
	s_delay_alu instid0(SALU_CYCLE_1)
	s_mov_b32 s0, exec_lo
	s_wait_storecnt_dscnt 0x0
	s_barrier_signal -1
	s_barrier_wait -1
	v_cmpx_lt_i32_e32 1, v23
	s_cbranch_execz .LBB12_41
; %bb.40:
	ds_load_2addr_b64 v[28:31], v24 offset0:2 offset1:3
	ds_load_2addr_b64 v[32:35], v24 offset0:4 offset1:5
	ds_load_b64 v[36:37], v24 offset:48
	v_pk_mul_f32 v[38:39], v[20:21], v[14:15] op_sel:[1,1] op_sel_hi:[0,1]
	s_delay_alu instid0(VALU_DEP_1) | instskip(SKIP_1) | instid1(VALU_DEP_1)
	v_pk_fma_f32 v[40:41], v[20:21], v[14:15], v[38:39] op_sel_hi:[1,0,1] neg_lo:[0,0,1] neg_hi:[0,0,1]
	v_pk_fma_f32 v[20:21], v[20:21], v[14:15], v[38:39] op_sel_hi:[1,0,1]
	v_dual_mov_b32 v14, v40 :: v_dual_mov_b32 v15, v21
	s_wait_dscnt 0x2
	s_delay_alu instid0(VALU_DEP_2)
	v_pk_mul_f32 v[38:39], v[28:29], v[20:21] op_sel:[0,1]
	v_pk_mul_f32 v[42:43], v[30:31], v[20:21] op_sel:[0,1]
	s_wait_dscnt 0x1
	v_pk_mul_f32 v[44:45], v[32:33], v[20:21] op_sel:[0,1]
	v_dual_mov_b32 v46, v35 :: v_dual_mov_b32 v47, v34
	v_dual_mul_f32 v22, v35, v21 :: v_dual_mul_f32 v48, v35, v40
	s_wait_dscnt 0x0
	v_pk_mul_f32 v[20:21], v[36:37], v[20:21] op_sel:[0,1]
	v_pk_fma_f32 v[50:51], v[28:29], v[40:41], v[38:39] op_sel:[0,0,1] op_sel_hi:[1,1,0] neg_lo:[0,0,1] neg_hi:[0,0,1]
	v_pk_fma_f32 v[28:29], v[28:29], v[40:41], v[38:39] op_sel:[0,0,1] op_sel_hi:[1,0,0]
	v_pk_fma_f32 v[38:39], v[30:31], v[40:41], v[42:43] op_sel:[0,0,1] op_sel_hi:[1,1,0] neg_lo:[0,0,1] neg_hi:[0,0,1]
	v_pk_fma_f32 v[30:31], v[30:31], v[40:41], v[42:43] op_sel:[0,0,1] op_sel_hi:[1,0,0]
	;; [unrolled: 2-line block ×3, first 2 shown]
	v_pk_fma_f32 v[44:45], v[46:47], v[14:15], v[48:49] op_sel_hi:[1,1,0]
	v_pk_fma_f32 v[46:47], v[36:37], v[40:41], v[20:21] op_sel:[0,0,1] op_sel_hi:[1,1,0] neg_lo:[0,0,1] neg_hi:[0,0,1]
	v_pk_fma_f32 v[20:21], v[36:37], v[40:41], v[20:21] op_sel:[0,0,1] op_sel_hi:[1,0,0]
	v_pk_fma_f32 v[34:35], v[34:35], v[14:15], v[22:23] op_sel_hi:[1,1,0] neg_lo:[0,0,1] neg_hi:[0,0,1]
	v_dual_mov_b32 v51, v29 :: v_dual_mov_b32 v39, v31
	v_dual_mov_b32 v43, v33 :: v_dual_mov_b32 v35, v45
	s_delay_alu instid0(VALU_DEP_4) | instskip(NEXT) | instid1(VALU_DEP_3)
	v_mov_b32_e32 v47, v21
	v_pk_add_f32 v[4:5], v[4:5], v[50:51] neg_lo:[0,1] neg_hi:[0,1]
	s_delay_alu instid0(VALU_DEP_4) | instskip(NEXT) | instid1(VALU_DEP_4)
	v_pk_add_f32 v[6:7], v[6:7], v[38:39] neg_lo:[0,1] neg_hi:[0,1]
	v_pk_add_f32 v[12:13], v[12:13], v[42:43] neg_lo:[0,1] neg_hi:[0,1]
	;; [unrolled: 1-line block ×4, first 2 shown]
.LBB12_41:
	s_or_b32 exec_lo, exec_lo, s0
	v_lshl_add_u32 v20, v23, 3, v24
	s_barrier_signal -1
	s_barrier_wait -1
	ds_store_b64 v20, v[4:5]
	s_wait_dscnt 0x0
	s_barrier_signal -1
	s_barrier_wait -1
	ds_load_b64 v[20:21], v24 offset:16
	v_mov_b32_e32 v22, 2
	s_cmp_lt_i32 s14, 4
	s_mov_b32 s0, 3
	s_cbranch_scc1 .LBB12_44
; %bb.42:
	v_add3_u32 v28, v25, 0, 24
	v_mov_b32_e32 v22, 2
.LBB12_43:                              ; =>This Inner Loop Header: Depth=1
	ds_load_b64 v[30:31], v28
	s_wait_dscnt 0x1
	v_cmp_gt_f32_e32 vcc_lo, 0, v20
	v_cndmask_b32_e64 v32, v20, -v20, vcc_lo
	v_cmp_gt_f32_e32 vcc_lo, 0, v21
	v_cndmask_b32_e64 v34, v21, -v21, vcc_lo
	s_wait_dscnt 0x0
	v_cmp_gt_f32_e32 vcc_lo, 0, v30
	v_cndmask_b32_e64 v33, v30, -v30, vcc_lo
	v_cmp_gt_f32_e32 vcc_lo, 0, v31
	v_cndmask_b32_e64 v35, v31, -v31, vcc_lo
	s_delay_alu instid0(VALU_DEP_1) | instskip(NEXT) | instid1(VALU_DEP_1)
	v_pk_add_f32 v[32:33], v[32:33], v[34:35]
	v_cmp_lt_f32_e32 vcc_lo, v32, v33
	v_dual_cndmask_b32 v21, v21, v31 :: v_dual_add_nc_u32 v28, 8, v28
	v_cndmask_b32_e32 v20, v20, v30, vcc_lo
	v_cndmask_b32_e64 v22, v22, s0, vcc_lo
	s_add_co_i32 s0, s0, 1
	s_delay_alu instid0(SALU_CYCLE_1)
	s_cmp_lg_u32 s14, s0
	s_cbranch_scc1 .LBB12_43
.LBB12_44:
	s_wait_dscnt 0x0
	v_cmp_eq_f32_e32 vcc_lo, 0, v20
	v_cmp_eq_f32_e64 s0, 0, v21
	s_and_b32 s0, vcc_lo, s0
	s_delay_alu instid0(SALU_CYCLE_1) | instskip(NEXT) | instid1(SALU_CYCLE_1)
	s_and_saveexec_b32 s1, s0
	s_xor_b32 s0, exec_lo, s1
; %bb.45:
	v_cmp_ne_u32_e32 vcc_lo, 0, v27
	v_cndmask_b32_e32 v27, 3, v27, vcc_lo
; %bb.46:
	s_and_not1_saveexec_b32 s0, s0
	s_cbranch_execz .LBB12_52
; %bb.47:
	v_cmp_ngt_f32_e64 s1, |v20|, |v21|
	s_and_saveexec_b32 s15, s1
	s_delay_alu instid0(SALU_CYCLE_1)
	s_xor_b32 s1, exec_lo, s15
	s_cbranch_execz .LBB12_49
; %bb.48:
	v_div_scale_f32 v28, null, v21, v21, v20
	v_div_scale_f32 v31, vcc_lo, v20, v21, v20
	s_delay_alu instid0(VALU_DEP_2) | instskip(SKIP_1) | instid1(TRANS32_DEP_1)
	v_rcp_f32_e32 v29, v28
	v_nop
	v_fma_f32 v30, -v28, v29, 1.0
	s_delay_alu instid0(VALU_DEP_1) | instskip(NEXT) | instid1(VALU_DEP_1)
	v_fmac_f32_e32 v29, v30, v29
	v_mul_f32_e32 v30, v31, v29
	s_delay_alu instid0(VALU_DEP_1) | instskip(NEXT) | instid1(VALU_DEP_1)
	v_fma_f32 v32, -v28, v30, v31
	v_fmac_f32_e32 v30, v32, v29
	s_delay_alu instid0(VALU_DEP_1) | instskip(NEXT) | instid1(VALU_DEP_1)
	v_fma_f32 v28, -v28, v30, v31
	v_div_fmas_f32 v28, v28, v29, v30
	s_delay_alu instid0(VALU_DEP_1) | instskip(NEXT) | instid1(VALU_DEP_1)
	v_div_fixup_f32 v28, v28, v21, v20
	v_fmac_f32_e32 v21, v20, v28
	s_delay_alu instid0(VALU_DEP_1) | instskip(SKIP_1) | instid1(VALU_DEP_2)
	v_div_scale_f32 v20, null, v21, v21, 1.0
	v_div_scale_f32 v31, vcc_lo, 1.0, v21, 1.0
	v_rcp_f32_e32 v29, v20
	v_nop
	s_delay_alu instid0(TRANS32_DEP_1) | instskip(NEXT) | instid1(VALU_DEP_1)
	v_fma_f32 v30, -v20, v29, 1.0
	v_fmac_f32_e32 v29, v30, v29
	s_delay_alu instid0(VALU_DEP_1) | instskip(NEXT) | instid1(VALU_DEP_1)
	v_mul_f32_e32 v30, v31, v29
	v_fma_f32 v32, -v20, v30, v31
	s_delay_alu instid0(VALU_DEP_1) | instskip(NEXT) | instid1(VALU_DEP_1)
	v_fmac_f32_e32 v30, v32, v29
	v_fma_f32 v20, -v20, v30, v31
	s_delay_alu instid0(VALU_DEP_1) | instskip(NEXT) | instid1(VALU_DEP_1)
	v_div_fmas_f32 v20, v20, v29, v30
	v_div_fixup_f32 v21, v20, v21, 1.0
	s_delay_alu instid0(VALU_DEP_1)
	v_mul_f32_e32 v20, v28, v21
	v_xor_b32_e32 v21, 0x80000000, v21
.LBB12_49:
	s_and_not1_saveexec_b32 s1, s1
	s_cbranch_execz .LBB12_51
; %bb.50:
	s_delay_alu instid0(VALU_DEP_1) | instskip(SKIP_1) | instid1(VALU_DEP_2)
	v_div_scale_f32 v28, null, v20, v20, v21
	v_div_scale_f32 v31, vcc_lo, v21, v20, v21
	v_rcp_f32_e32 v29, v28
	v_nop
	s_delay_alu instid0(TRANS32_DEP_1) | instskip(NEXT) | instid1(VALU_DEP_1)
	v_fma_f32 v30, -v28, v29, 1.0
	v_fmac_f32_e32 v29, v30, v29
	s_delay_alu instid0(VALU_DEP_1) | instskip(NEXT) | instid1(VALU_DEP_1)
	v_mul_f32_e32 v30, v31, v29
	v_fma_f32 v32, -v28, v30, v31
	s_delay_alu instid0(VALU_DEP_1) | instskip(NEXT) | instid1(VALU_DEP_1)
	v_fmac_f32_e32 v30, v32, v29
	v_fma_f32 v28, -v28, v30, v31
	s_delay_alu instid0(VALU_DEP_1) | instskip(NEXT) | instid1(VALU_DEP_1)
	v_div_fmas_f32 v28, v28, v29, v30
	v_div_fixup_f32 v28, v28, v20, v21
	s_delay_alu instid0(VALU_DEP_1) | instskip(NEXT) | instid1(VALU_DEP_1)
	v_fmac_f32_e32 v20, v21, v28
	v_div_scale_f32 v21, null, v20, v20, 1.0
	s_delay_alu instid0(VALU_DEP_1) | instskip(SKIP_1) | instid1(TRANS32_DEP_1)
	v_rcp_f32_e32 v29, v21
	v_nop
	v_fma_f32 v30, -v21, v29, 1.0
	s_delay_alu instid0(VALU_DEP_1) | instskip(SKIP_1) | instid1(VALU_DEP_1)
	v_fmac_f32_e32 v29, v30, v29
	v_div_scale_f32 v30, vcc_lo, 1.0, v20, 1.0
	v_mul_f32_e32 v31, v30, v29
	s_delay_alu instid0(VALU_DEP_1) | instskip(NEXT) | instid1(VALU_DEP_1)
	v_fma_f32 v32, -v21, v31, v30
	v_fmac_f32_e32 v31, v32, v29
	s_delay_alu instid0(VALU_DEP_1) | instskip(NEXT) | instid1(VALU_DEP_1)
	v_fma_f32 v21, -v21, v31, v30
	v_div_fmas_f32 v21, v21, v29, v31
	s_delay_alu instid0(VALU_DEP_1) | instskip(NEXT) | instid1(VALU_DEP_1)
	v_div_fixup_f32 v20, v21, v20, 1.0
	v_mul_f32_e64 v21, v28, -v20
.LBB12_51:
	s_or_b32 exec_lo, exec_lo, s1
.LBB12_52:
	s_delay_alu instid0(SALU_CYCLE_1) | instskip(NEXT) | instid1(SALU_CYCLE_1)
	s_or_b32 exec_lo, exec_lo, s0
	s_mov_b32 s0, exec_lo
	v_cmpx_ne_u32_e64 v23, v22
	s_xor_b32 s0, exec_lo, s0
	s_cbranch_execz .LBB12_58
; %bb.53:
	s_mov_b32 s1, exec_lo
	v_cmpx_eq_u32_e32 2, v23
	s_cbranch_execz .LBB12_57
; %bb.54:
	v_cmp_ne_u32_e32 vcc_lo, 2, v22
	s_xor_b32 s15, s2, -1
	s_delay_alu instid0(SALU_CYCLE_1) | instskip(NEXT) | instid1(SALU_CYCLE_1)
	s_and_b32 s16, s15, vcc_lo
	s_and_saveexec_b32 s15, s16
	s_cbranch_execz .LBB12_56
; %bb.55:
	v_ashrrev_i32_e32 v23, 31, v22
	s_delay_alu instid0(VALU_DEP_1)
	v_lshl_add_u64 v[28:29], v[22:23], 2, v[18:19]
	s_clause 0x1
	global_load_b32 v23, v[28:29], off
	global_load_b32 v26, v[18:19], off offset:8
	s_wait_loadcnt 0x1
	global_store_b32 v[18:19], v23, off offset:8
	s_wait_loadcnt 0x0
	global_store_b32 v[28:29], v26, off
.LBB12_56:
	s_wait_xcnt 0x0
	s_or_b32 exec_lo, exec_lo, s15
	v_dual_mov_b32 v23, v22 :: v_dual_mov_b32 v26, v22
.LBB12_57:
	s_or_b32 exec_lo, exec_lo, s1
.LBB12_58:
	s_and_not1_saveexec_b32 s0, s0
	s_cbranch_execz .LBB12_60
; %bb.59:
	v_mov_b32_e32 v23, 2
	ds_store_2addr_b64 v24, v[6:7], v[12:13] offset0:3 offset1:4
	ds_store_2addr_b64 v24, v[8:9], v[16:17] offset0:5 offset1:6
.LBB12_60:
	s_or_b32 exec_lo, exec_lo, s0
	s_delay_alu instid0(SALU_CYCLE_1)
	s_mov_b32 s0, exec_lo
	s_wait_storecnt_dscnt 0x0
	s_barrier_signal -1
	s_barrier_wait -1
	v_cmpx_lt_i32_e32 2, v23
	s_cbranch_execz .LBB12_62
; %bb.61:
	ds_load_2addr_b64 v[28:31], v24 offset0:3 offset1:4
	ds_load_2addr_b64 v[32:35], v24 offset0:5 offset1:6
	v_pk_mul_f32 v[36:37], v[20:21], v[4:5] op_sel:[1,1] op_sel_hi:[0,1]
	s_delay_alu instid0(VALU_DEP_1) | instskip(SKIP_1) | instid1(VALU_DEP_1)
	v_pk_fma_f32 v[38:39], v[20:21], v[4:5], v[36:37] op_sel_hi:[1,0,1] neg_lo:[0,0,1] neg_hi:[0,0,1]
	v_pk_fma_f32 v[20:21], v[20:21], v[4:5], v[36:37] op_sel_hi:[1,0,1]
	v_dual_mov_b32 v4, v38 :: v_dual_mov_b32 v5, v21
	s_wait_dscnt 0x1
	s_delay_alu instid0(VALU_DEP_2)
	v_pk_mul_f32 v[36:37], v[28:29], v[20:21] op_sel:[0,1]
	s_wait_dscnt 0x0
	v_mov_b32_e32 v40, v35
	v_pk_mul_f32 v[42:43], v[30:31], v[20:21] op_sel:[0,1]
	v_pk_mul_f32 v[44:45], v[32:33], v[20:21] op_sel:[0,1]
	v_pk_fma_f32 v[46:47], v[28:29], v[38:39], v[36:37] op_sel:[0,0,1] op_sel_hi:[1,1,0] neg_lo:[0,0,1] neg_hi:[0,0,1]
	v_pk_fma_f32 v[28:29], v[28:29], v[38:39], v[36:37] op_sel:[0,0,1] op_sel_hi:[1,0,0]
	s_delay_alu instid0(VALU_DEP_1) | instskip(NEXT) | instid1(VALU_DEP_1)
	v_dual_mov_b32 v41, v34 :: v_dual_mov_b32 v47, v29
	v_pk_mul_f32 v[36:37], v[40:41], v[20:21] op_sel:[0,1]
	v_pk_fma_f32 v[40:41], v[30:31], v[38:39], v[42:43] op_sel:[0,0,1] op_sel_hi:[1,0,0]
	v_pk_fma_f32 v[30:31], v[30:31], v[38:39], v[42:43] op_sel:[0,0,1] op_sel_hi:[1,1,0] neg_lo:[0,0,1] neg_hi:[0,0,1]
	v_pk_fma_f32 v[42:43], v[32:33], v[38:39], v[44:45] op_sel:[0,0,1] op_sel_hi:[1,0,0]
	v_pk_fma_f32 v[32:33], v[32:33], v[38:39], v[44:45] op_sel:[0,0,1] op_sel_hi:[1,1,0] neg_lo:[0,0,1] neg_hi:[0,0,1]
	v_pk_fma_f32 v[28:29], v[34:35], v[38:39], v[36:37] op_sel_hi:[1,0,1]
	v_pk_fma_f32 v[34:35], v[34:35], v[38:39], v[36:37] neg_lo:[0,0,1] neg_hi:[0,0,1]
	s_delay_alu instid0(VALU_DEP_4) | instskip(SKIP_1) | instid1(VALU_DEP_4)
	v_dual_mov_b32 v31, v41 :: v_dual_mov_b32 v33, v43
	v_pk_add_f32 v[6:7], v[6:7], v[46:47] neg_lo:[0,1] neg_hi:[0,1]
	v_mov_b32_e32 v35, v29
	s_delay_alu instid0(VALU_DEP_3) | instskip(NEXT) | instid1(VALU_DEP_4)
	v_pk_add_f32 v[12:13], v[12:13], v[30:31] neg_lo:[0,1] neg_hi:[0,1]
	v_pk_add_f32 v[8:9], v[8:9], v[32:33] neg_lo:[0,1] neg_hi:[0,1]
	s_delay_alu instid0(VALU_DEP_3)
	v_pk_add_f32 v[16:17], v[16:17], v[34:35] neg_lo:[0,1] neg_hi:[0,1]
.LBB12_62:
	s_or_b32 exec_lo, exec_lo, s0
	v_lshl_add_u32 v20, v23, 3, v24
	s_barrier_signal -1
	s_barrier_wait -1
	ds_store_b64 v20, v[6:7]
	s_wait_dscnt 0x0
	s_barrier_signal -1
	s_barrier_wait -1
	ds_load_b64 v[20:21], v24 offset:24
	v_mov_b32_e32 v22, 3
	s_cmp_lt_i32 s14, 5
	s_cbranch_scc1 .LBB12_65
; %bb.63:
	v_mov_b32_e32 v22, 3
	v_add3_u32 v28, v25, 0, 32
	s_mov_b32 s0, 4
.LBB12_64:                              ; =>This Inner Loop Header: Depth=1
	ds_load_b64 v[30:31], v28
	s_wait_dscnt 0x1
	v_cmp_gt_f32_e32 vcc_lo, 0, v20
	v_cndmask_b32_e64 v32, v20, -v20, vcc_lo
	v_cmp_gt_f32_e32 vcc_lo, 0, v21
	v_cndmask_b32_e64 v34, v21, -v21, vcc_lo
	s_wait_dscnt 0x0
	v_cmp_gt_f32_e32 vcc_lo, 0, v30
	v_cndmask_b32_e64 v33, v30, -v30, vcc_lo
	v_cmp_gt_f32_e32 vcc_lo, 0, v31
	v_cndmask_b32_e64 v35, v31, -v31, vcc_lo
	s_delay_alu instid0(VALU_DEP_1) | instskip(NEXT) | instid1(VALU_DEP_1)
	v_pk_add_f32 v[32:33], v[32:33], v[34:35]
	v_cmp_lt_f32_e32 vcc_lo, v32, v33
	v_dual_cndmask_b32 v21, v21, v31 :: v_dual_add_nc_u32 v28, 8, v28
	v_cndmask_b32_e32 v20, v20, v30, vcc_lo
	v_cndmask_b32_e64 v22, v22, s0, vcc_lo
	s_add_co_i32 s0, s0, 1
	s_delay_alu instid0(SALU_CYCLE_1)
	s_cmp_lg_u32 s14, s0
	s_cbranch_scc1 .LBB12_64
.LBB12_65:
	s_wait_dscnt 0x0
	v_cmp_eq_f32_e32 vcc_lo, 0, v20
	v_cmp_eq_f32_e64 s0, 0, v21
	s_and_b32 s0, vcc_lo, s0
	s_delay_alu instid0(SALU_CYCLE_1) | instskip(NEXT) | instid1(SALU_CYCLE_1)
	s_and_saveexec_b32 s1, s0
	s_xor_b32 s0, exec_lo, s1
; %bb.66:
	v_cmp_ne_u32_e32 vcc_lo, 0, v27
	v_cndmask_b32_e32 v27, 4, v27, vcc_lo
; %bb.67:
	s_and_not1_saveexec_b32 s0, s0
	s_cbranch_execz .LBB12_73
; %bb.68:
	v_cmp_ngt_f32_e64 s1, |v20|, |v21|
	s_and_saveexec_b32 s15, s1
	s_delay_alu instid0(SALU_CYCLE_1)
	s_xor_b32 s1, exec_lo, s15
	s_cbranch_execz .LBB12_70
; %bb.69:
	v_div_scale_f32 v28, null, v21, v21, v20
	v_div_scale_f32 v31, vcc_lo, v20, v21, v20
	s_delay_alu instid0(VALU_DEP_2) | instskip(SKIP_1) | instid1(TRANS32_DEP_1)
	v_rcp_f32_e32 v29, v28
	v_nop
	v_fma_f32 v30, -v28, v29, 1.0
	s_delay_alu instid0(VALU_DEP_1) | instskip(NEXT) | instid1(VALU_DEP_1)
	v_fmac_f32_e32 v29, v30, v29
	v_mul_f32_e32 v30, v31, v29
	s_delay_alu instid0(VALU_DEP_1) | instskip(NEXT) | instid1(VALU_DEP_1)
	v_fma_f32 v32, -v28, v30, v31
	v_fmac_f32_e32 v30, v32, v29
	s_delay_alu instid0(VALU_DEP_1) | instskip(NEXT) | instid1(VALU_DEP_1)
	v_fma_f32 v28, -v28, v30, v31
	v_div_fmas_f32 v28, v28, v29, v30
	s_delay_alu instid0(VALU_DEP_1) | instskip(NEXT) | instid1(VALU_DEP_1)
	v_div_fixup_f32 v28, v28, v21, v20
	v_fmac_f32_e32 v21, v20, v28
	s_delay_alu instid0(VALU_DEP_1) | instskip(SKIP_1) | instid1(VALU_DEP_2)
	v_div_scale_f32 v20, null, v21, v21, 1.0
	v_div_scale_f32 v31, vcc_lo, 1.0, v21, 1.0
	v_rcp_f32_e32 v29, v20
	v_nop
	s_delay_alu instid0(TRANS32_DEP_1) | instskip(NEXT) | instid1(VALU_DEP_1)
	v_fma_f32 v30, -v20, v29, 1.0
	v_fmac_f32_e32 v29, v30, v29
	s_delay_alu instid0(VALU_DEP_1) | instskip(NEXT) | instid1(VALU_DEP_1)
	v_mul_f32_e32 v30, v31, v29
	v_fma_f32 v32, -v20, v30, v31
	s_delay_alu instid0(VALU_DEP_1) | instskip(NEXT) | instid1(VALU_DEP_1)
	v_fmac_f32_e32 v30, v32, v29
	v_fma_f32 v20, -v20, v30, v31
	s_delay_alu instid0(VALU_DEP_1) | instskip(NEXT) | instid1(VALU_DEP_1)
	v_div_fmas_f32 v20, v20, v29, v30
	v_div_fixup_f32 v21, v20, v21, 1.0
	s_delay_alu instid0(VALU_DEP_1)
	v_mul_f32_e32 v20, v28, v21
	v_xor_b32_e32 v21, 0x80000000, v21
.LBB12_70:
	s_and_not1_saveexec_b32 s1, s1
	s_cbranch_execz .LBB12_72
; %bb.71:
	s_delay_alu instid0(VALU_DEP_1) | instskip(SKIP_1) | instid1(VALU_DEP_2)
	v_div_scale_f32 v28, null, v20, v20, v21
	v_div_scale_f32 v31, vcc_lo, v21, v20, v21
	v_rcp_f32_e32 v29, v28
	v_nop
	s_delay_alu instid0(TRANS32_DEP_1) | instskip(NEXT) | instid1(VALU_DEP_1)
	v_fma_f32 v30, -v28, v29, 1.0
	v_fmac_f32_e32 v29, v30, v29
	s_delay_alu instid0(VALU_DEP_1) | instskip(NEXT) | instid1(VALU_DEP_1)
	v_mul_f32_e32 v30, v31, v29
	v_fma_f32 v32, -v28, v30, v31
	s_delay_alu instid0(VALU_DEP_1) | instskip(NEXT) | instid1(VALU_DEP_1)
	v_fmac_f32_e32 v30, v32, v29
	v_fma_f32 v28, -v28, v30, v31
	s_delay_alu instid0(VALU_DEP_1) | instskip(NEXT) | instid1(VALU_DEP_1)
	v_div_fmas_f32 v28, v28, v29, v30
	v_div_fixup_f32 v28, v28, v20, v21
	s_delay_alu instid0(VALU_DEP_1) | instskip(NEXT) | instid1(VALU_DEP_1)
	v_fmac_f32_e32 v20, v21, v28
	v_div_scale_f32 v21, null, v20, v20, 1.0
	s_delay_alu instid0(VALU_DEP_1) | instskip(SKIP_1) | instid1(TRANS32_DEP_1)
	v_rcp_f32_e32 v29, v21
	v_nop
	v_fma_f32 v30, -v21, v29, 1.0
	s_delay_alu instid0(VALU_DEP_1) | instskip(SKIP_1) | instid1(VALU_DEP_1)
	v_fmac_f32_e32 v29, v30, v29
	v_div_scale_f32 v30, vcc_lo, 1.0, v20, 1.0
	v_mul_f32_e32 v31, v30, v29
	s_delay_alu instid0(VALU_DEP_1) | instskip(NEXT) | instid1(VALU_DEP_1)
	v_fma_f32 v32, -v21, v31, v30
	v_fmac_f32_e32 v31, v32, v29
	s_delay_alu instid0(VALU_DEP_1) | instskip(NEXT) | instid1(VALU_DEP_1)
	v_fma_f32 v21, -v21, v31, v30
	v_div_fmas_f32 v21, v21, v29, v31
	s_delay_alu instid0(VALU_DEP_1) | instskip(NEXT) | instid1(VALU_DEP_1)
	v_div_fixup_f32 v20, v21, v20, 1.0
	v_mul_f32_e64 v21, v28, -v20
.LBB12_72:
	s_or_b32 exec_lo, exec_lo, s1
.LBB12_73:
	s_delay_alu instid0(SALU_CYCLE_1) | instskip(NEXT) | instid1(SALU_CYCLE_1)
	s_or_b32 exec_lo, exec_lo, s0
	s_mov_b32 s0, exec_lo
	v_cmpx_ne_u32_e64 v23, v22
	s_xor_b32 s0, exec_lo, s0
	s_cbranch_execz .LBB12_79
; %bb.74:
	s_mov_b32 s1, exec_lo
	v_cmpx_eq_u32_e32 3, v23
	s_cbranch_execz .LBB12_78
; %bb.75:
	v_cmp_ne_u32_e32 vcc_lo, 3, v22
	s_xor_b32 s15, s2, -1
	s_delay_alu instid0(SALU_CYCLE_1) | instskip(NEXT) | instid1(SALU_CYCLE_1)
	s_and_b32 s16, s15, vcc_lo
	s_and_saveexec_b32 s15, s16
	s_cbranch_execz .LBB12_77
; %bb.76:
	v_ashrrev_i32_e32 v23, 31, v22
	s_delay_alu instid0(VALU_DEP_1)
	v_lshl_add_u64 v[28:29], v[22:23], 2, v[18:19]
	s_clause 0x1
	global_load_b32 v23, v[28:29], off
	global_load_b32 v26, v[18:19], off offset:12
	s_wait_loadcnt 0x1
	global_store_b32 v[18:19], v23, off offset:12
	s_wait_loadcnt 0x0
	global_store_b32 v[28:29], v26, off
.LBB12_77:
	s_wait_xcnt 0x0
	s_or_b32 exec_lo, exec_lo, s15
	v_dual_mov_b32 v23, v22 :: v_dual_mov_b32 v26, v22
.LBB12_78:
	s_or_b32 exec_lo, exec_lo, s1
.LBB12_79:
	s_and_not1_saveexec_b32 s0, s0
	s_cbranch_execz .LBB12_81
; %bb.80:
	v_dual_mov_b32 v28, v12 :: v_dual_mov_b32 v29, v13
	v_dual_mov_b32 v30, v8 :: v_dual_mov_b32 v31, v9
	v_mov_b32_e32 v23, 3
	ds_store_2addr_b64 v24, v[28:29], v[30:31] offset0:4 offset1:5
	ds_store_b64 v24, v[16:17] offset:48
.LBB12_81:
	s_or_b32 exec_lo, exec_lo, s0
	s_delay_alu instid0(SALU_CYCLE_1)
	s_mov_b32 s0, exec_lo
	s_wait_storecnt_dscnt 0x0
	s_barrier_signal -1
	s_barrier_wait -1
	v_cmpx_lt_i32_e32 3, v23
	s_cbranch_execz .LBB12_83
; %bb.82:
	ds_load_2addr_b64 v[28:31], v24 offset0:4 offset1:5
	ds_load_b64 v[32:33], v24 offset:48
	v_pk_mul_f32 v[34:35], v[20:21], v[6:7] op_sel:[1,1] op_sel_hi:[0,1]
	s_delay_alu instid0(VALU_DEP_1) | instskip(SKIP_2) | instid1(VALU_DEP_2)
	v_pk_fma_f32 v[36:37], v[20:21], v[6:7], v[34:35] op_sel_hi:[1,0,1]
	v_pk_fma_f32 v[6:7], v[20:21], v[6:7], v[34:35] op_sel_hi:[1,0,1] neg_lo:[0,0,1] neg_hi:[0,0,1]
	s_wait_dscnt 0x1
	v_pk_mul_f32 v[20:21], v[28:29], v[36:37] op_sel:[0,1]
	v_pk_mul_f32 v[34:35], v[30:31], v[36:37] op_sel:[0,1]
	s_wait_dscnt 0x0
	v_pk_mul_f32 v[38:39], v[32:33], v[36:37] op_sel:[1,1] op_sel_hi:[0,1]
	s_delay_alu instid0(VALU_DEP_3) | instskip(SKIP_2) | instid1(VALU_DEP_4)
	v_pk_fma_f32 v[40:41], v[28:29], v[6:7], v[20:21] op_sel:[0,0,1] op_sel_hi:[1,1,0] neg_lo:[0,0,1] neg_hi:[0,0,1]
	v_pk_fma_f32 v[20:21], v[28:29], v[6:7], v[20:21] op_sel:[0,0,1] op_sel_hi:[1,0,0]
	v_pk_fma_f32 v[28:29], v[30:31], v[6:7], v[34:35] op_sel:[0,0,1] op_sel_hi:[1,0,0]
	v_pk_fma_f32 v[42:43], v[32:33], v[6:7], v[38:39] op_sel_hi:[1,0,1]
	v_pk_fma_f32 v[30:31], v[30:31], v[6:7], v[34:35] op_sel:[0,0,1] op_sel_hi:[1,1,0] neg_lo:[0,0,1] neg_hi:[0,0,1]
	v_pk_fma_f32 v[32:33], v[32:33], v[6:7], v[38:39] neg_lo:[0,0,1] neg_hi:[0,0,1]
	s_delay_alu instid0(VALU_DEP_4) | instskip(NEXT) | instid1(VALU_DEP_4)
	v_dual_mov_b32 v41, v21 :: v_dual_mov_b32 v31, v29
	v_dual_mov_b32 v33, v43 :: v_dual_mov_b32 v7, v37
	s_delay_alu instid0(VALU_DEP_2) | instskip(NEXT) | instid1(VALU_DEP_3)
	v_pk_add_f32 v[12:13], v[12:13], v[40:41] neg_lo:[0,1] neg_hi:[0,1]
	v_pk_add_f32 v[8:9], v[8:9], v[30:31] neg_lo:[0,1] neg_hi:[0,1]
	s_delay_alu instid0(VALU_DEP_3)
	v_pk_add_f32 v[16:17], v[16:17], v[32:33] neg_lo:[0,1] neg_hi:[0,1]
.LBB12_83:
	s_or_b32 exec_lo, exec_lo, s0
	v_lshl_add_u32 v20, v23, 3, v24
	s_barrier_signal -1
	s_barrier_wait -1
	ds_store_b64 v20, v[12:13]
	s_wait_dscnt 0x0
	s_barrier_signal -1
	s_barrier_wait -1
	ds_load_b64 v[20:21], v24 offset:32
	v_mov_b32_e32 v22, 4
	s_cmp_lt_i32 s14, 6
	s_cbranch_scc1 .LBB12_86
; %bb.84:
	v_add3_u32 v28, v25, 0, 40
	v_mov_b32_e32 v22, 4
	s_mov_b32 s0, 5
.LBB12_85:                              ; =>This Inner Loop Header: Depth=1
	ds_load_b64 v[30:31], v28
	s_wait_dscnt 0x1
	v_cmp_gt_f32_e32 vcc_lo, 0, v20
	v_cndmask_b32_e64 v32, v20, -v20, vcc_lo
	v_cmp_gt_f32_e32 vcc_lo, 0, v21
	v_cndmask_b32_e64 v34, v21, -v21, vcc_lo
	s_wait_dscnt 0x0
	v_cmp_gt_f32_e32 vcc_lo, 0, v30
	v_cndmask_b32_e64 v33, v30, -v30, vcc_lo
	v_cmp_gt_f32_e32 vcc_lo, 0, v31
	v_cndmask_b32_e64 v35, v31, -v31, vcc_lo
	s_delay_alu instid0(VALU_DEP_1) | instskip(NEXT) | instid1(VALU_DEP_1)
	v_pk_add_f32 v[32:33], v[32:33], v[34:35]
	v_cmp_lt_f32_e32 vcc_lo, v32, v33
	v_dual_cndmask_b32 v21, v21, v31 :: v_dual_add_nc_u32 v28, 8, v28
	v_cndmask_b32_e32 v20, v20, v30, vcc_lo
	v_cndmask_b32_e64 v22, v22, s0, vcc_lo
	s_add_co_i32 s0, s0, 1
	s_delay_alu instid0(SALU_CYCLE_1)
	s_cmp_lg_u32 s14, s0
	s_cbranch_scc1 .LBB12_85
.LBB12_86:
	s_wait_dscnt 0x0
	v_cmp_eq_f32_e32 vcc_lo, 0, v20
	v_cmp_eq_f32_e64 s0, 0, v21
	s_and_b32 s0, vcc_lo, s0
	s_delay_alu instid0(SALU_CYCLE_1) | instskip(NEXT) | instid1(SALU_CYCLE_1)
	s_and_saveexec_b32 s1, s0
	s_xor_b32 s0, exec_lo, s1
; %bb.87:
	v_cmp_ne_u32_e32 vcc_lo, 0, v27
	v_cndmask_b32_e32 v27, 5, v27, vcc_lo
; %bb.88:
	s_and_not1_saveexec_b32 s0, s0
	s_cbranch_execz .LBB12_94
; %bb.89:
	v_cmp_ngt_f32_e64 s1, |v20|, |v21|
	s_and_saveexec_b32 s15, s1
	s_delay_alu instid0(SALU_CYCLE_1)
	s_xor_b32 s1, exec_lo, s15
	s_cbranch_execz .LBB12_91
; %bb.90:
	v_div_scale_f32 v28, null, v21, v21, v20
	v_div_scale_f32 v31, vcc_lo, v20, v21, v20
	s_delay_alu instid0(VALU_DEP_2) | instskip(SKIP_1) | instid1(TRANS32_DEP_1)
	v_rcp_f32_e32 v29, v28
	v_nop
	v_fma_f32 v30, -v28, v29, 1.0
	s_delay_alu instid0(VALU_DEP_1) | instskip(NEXT) | instid1(VALU_DEP_1)
	v_fmac_f32_e32 v29, v30, v29
	v_mul_f32_e32 v30, v31, v29
	s_delay_alu instid0(VALU_DEP_1) | instskip(NEXT) | instid1(VALU_DEP_1)
	v_fma_f32 v32, -v28, v30, v31
	v_fmac_f32_e32 v30, v32, v29
	s_delay_alu instid0(VALU_DEP_1) | instskip(NEXT) | instid1(VALU_DEP_1)
	v_fma_f32 v28, -v28, v30, v31
	v_div_fmas_f32 v28, v28, v29, v30
	s_delay_alu instid0(VALU_DEP_1) | instskip(NEXT) | instid1(VALU_DEP_1)
	v_div_fixup_f32 v28, v28, v21, v20
	v_fmac_f32_e32 v21, v20, v28
	s_delay_alu instid0(VALU_DEP_1) | instskip(SKIP_1) | instid1(VALU_DEP_2)
	v_div_scale_f32 v20, null, v21, v21, 1.0
	v_div_scale_f32 v31, vcc_lo, 1.0, v21, 1.0
	v_rcp_f32_e32 v29, v20
	v_nop
	s_delay_alu instid0(TRANS32_DEP_1) | instskip(NEXT) | instid1(VALU_DEP_1)
	v_fma_f32 v30, -v20, v29, 1.0
	v_fmac_f32_e32 v29, v30, v29
	s_delay_alu instid0(VALU_DEP_1) | instskip(NEXT) | instid1(VALU_DEP_1)
	v_mul_f32_e32 v30, v31, v29
	v_fma_f32 v32, -v20, v30, v31
	s_delay_alu instid0(VALU_DEP_1) | instskip(NEXT) | instid1(VALU_DEP_1)
	v_fmac_f32_e32 v30, v32, v29
	v_fma_f32 v20, -v20, v30, v31
	s_delay_alu instid0(VALU_DEP_1) | instskip(NEXT) | instid1(VALU_DEP_1)
	v_div_fmas_f32 v20, v20, v29, v30
	v_div_fixup_f32 v21, v20, v21, 1.0
	s_delay_alu instid0(VALU_DEP_1)
	v_mul_f32_e32 v20, v28, v21
	v_xor_b32_e32 v21, 0x80000000, v21
.LBB12_91:
	s_and_not1_saveexec_b32 s1, s1
	s_cbranch_execz .LBB12_93
; %bb.92:
	s_delay_alu instid0(VALU_DEP_1) | instskip(SKIP_1) | instid1(VALU_DEP_2)
	v_div_scale_f32 v28, null, v20, v20, v21
	v_div_scale_f32 v31, vcc_lo, v21, v20, v21
	v_rcp_f32_e32 v29, v28
	v_nop
	s_delay_alu instid0(TRANS32_DEP_1) | instskip(NEXT) | instid1(VALU_DEP_1)
	v_fma_f32 v30, -v28, v29, 1.0
	v_fmac_f32_e32 v29, v30, v29
	s_delay_alu instid0(VALU_DEP_1) | instskip(NEXT) | instid1(VALU_DEP_1)
	v_mul_f32_e32 v30, v31, v29
	v_fma_f32 v32, -v28, v30, v31
	s_delay_alu instid0(VALU_DEP_1) | instskip(NEXT) | instid1(VALU_DEP_1)
	v_fmac_f32_e32 v30, v32, v29
	v_fma_f32 v28, -v28, v30, v31
	s_delay_alu instid0(VALU_DEP_1) | instskip(NEXT) | instid1(VALU_DEP_1)
	v_div_fmas_f32 v28, v28, v29, v30
	v_div_fixup_f32 v28, v28, v20, v21
	s_delay_alu instid0(VALU_DEP_1) | instskip(NEXT) | instid1(VALU_DEP_1)
	v_fmac_f32_e32 v20, v21, v28
	v_div_scale_f32 v21, null, v20, v20, 1.0
	s_delay_alu instid0(VALU_DEP_1) | instskip(SKIP_1) | instid1(TRANS32_DEP_1)
	v_rcp_f32_e32 v29, v21
	v_nop
	v_fma_f32 v30, -v21, v29, 1.0
	s_delay_alu instid0(VALU_DEP_1) | instskip(SKIP_1) | instid1(VALU_DEP_1)
	v_fmac_f32_e32 v29, v30, v29
	v_div_scale_f32 v30, vcc_lo, 1.0, v20, 1.0
	v_mul_f32_e32 v31, v30, v29
	s_delay_alu instid0(VALU_DEP_1) | instskip(NEXT) | instid1(VALU_DEP_1)
	v_fma_f32 v32, -v21, v31, v30
	v_fmac_f32_e32 v31, v32, v29
	s_delay_alu instid0(VALU_DEP_1) | instskip(NEXT) | instid1(VALU_DEP_1)
	v_fma_f32 v21, -v21, v31, v30
	v_div_fmas_f32 v21, v21, v29, v31
	s_delay_alu instid0(VALU_DEP_1) | instskip(NEXT) | instid1(VALU_DEP_1)
	v_div_fixup_f32 v20, v21, v20, 1.0
	v_mul_f32_e64 v21, v28, -v20
.LBB12_93:
	s_or_b32 exec_lo, exec_lo, s1
.LBB12_94:
	s_delay_alu instid0(SALU_CYCLE_1) | instskip(NEXT) | instid1(SALU_CYCLE_1)
	s_or_b32 exec_lo, exec_lo, s0
	s_mov_b32 s0, exec_lo
	v_cmpx_ne_u32_e64 v23, v22
	s_xor_b32 s0, exec_lo, s0
	s_cbranch_execz .LBB12_100
; %bb.95:
	s_mov_b32 s1, exec_lo
	v_cmpx_eq_u32_e32 4, v23
	s_cbranch_execz .LBB12_99
; %bb.96:
	v_cmp_ne_u32_e32 vcc_lo, 4, v22
	s_xor_b32 s15, s2, -1
	s_delay_alu instid0(SALU_CYCLE_1) | instskip(NEXT) | instid1(SALU_CYCLE_1)
	s_and_b32 s16, s15, vcc_lo
	s_and_saveexec_b32 s15, s16
	s_cbranch_execz .LBB12_98
; %bb.97:
	v_ashrrev_i32_e32 v23, 31, v22
	s_delay_alu instid0(VALU_DEP_1)
	v_lshl_add_u64 v[28:29], v[22:23], 2, v[18:19]
	s_clause 0x1
	global_load_b32 v23, v[28:29], off
	global_load_b32 v26, v[18:19], off offset:16
	s_wait_loadcnt 0x1
	global_store_b32 v[18:19], v23, off offset:16
	s_wait_loadcnt 0x0
	global_store_b32 v[28:29], v26, off
.LBB12_98:
	s_wait_xcnt 0x0
	s_or_b32 exec_lo, exec_lo, s15
	v_dual_mov_b32 v23, v22 :: v_dual_mov_b32 v26, v22
.LBB12_99:
	s_or_b32 exec_lo, exec_lo, s1
.LBB12_100:
	s_and_not1_saveexec_b32 s0, s0
; %bb.101:
	v_mov_b32_e32 v23, 4
	ds_store_2addr_b64 v24, v[8:9], v[16:17] offset0:5 offset1:6
; %bb.102:
	s_or_b32 exec_lo, exec_lo, s0
	s_delay_alu instid0(SALU_CYCLE_1)
	s_mov_b32 s0, exec_lo
	s_wait_storecnt_dscnt 0x0
	s_barrier_signal -1
	s_barrier_wait -1
	v_cmpx_lt_i32_e32 4, v23
	s_cbranch_execz .LBB12_104
; %bb.103:
	ds_load_2addr_b64 v[28:31], v24 offset0:5 offset1:6
	v_pk_mul_f32 v[32:33], v[20:21], v[12:13] op_sel:[1,1] op_sel_hi:[0,1]
	s_delay_alu instid0(VALU_DEP_1) | instskip(SKIP_3) | instid1(VALU_DEP_3)
	v_pk_fma_f32 v[34:35], v[20:21], v[12:13], v[32:33] op_sel_hi:[1,0,1]
	v_pk_fma_f32 v[12:13], v[20:21], v[12:13], v[32:33] op_sel_hi:[1,0,1] neg_lo:[0,0,1] neg_hi:[0,0,1]
	s_wait_dscnt 0x0
	v_dual_mov_b32 v36, v31 :: v_dual_mov_b32 v37, v30
	v_pk_mul_f32 v[20:21], v[28:29], v[34:35] op_sel:[0,1]
	s_delay_alu instid0(VALU_DEP_2) | instskip(NEXT) | instid1(VALU_DEP_2)
	v_pk_mul_f32 v[32:33], v[36:37], v[34:35] op_sel:[0,1]
	v_pk_fma_f32 v[36:37], v[28:29], v[12:13], v[20:21] op_sel:[0,0,1] op_sel_hi:[1,0,0]
	v_pk_fma_f32 v[20:21], v[28:29], v[12:13], v[20:21] op_sel:[0,0,1] op_sel_hi:[1,1,0] neg_lo:[0,0,1] neg_hi:[0,0,1]
	s_delay_alu instid0(VALU_DEP_3) | instskip(SKIP_1) | instid1(VALU_DEP_4)
	v_pk_fma_f32 v[38:39], v[30:31], v[12:13], v[32:33] op_sel_hi:[1,0,1]
	v_pk_fma_f32 v[28:29], v[30:31], v[12:13], v[32:33] neg_lo:[0,0,1] neg_hi:[0,0,1]
	v_dual_mov_b32 v21, v37 :: v_dual_mov_b32 v13, v35
	s_delay_alu instid0(VALU_DEP_3) | instskip(NEXT) | instid1(VALU_DEP_2)
	v_mov_b32_e32 v29, v39
	v_pk_add_f32 v[8:9], v[8:9], v[20:21] neg_lo:[0,1] neg_hi:[0,1]
	s_delay_alu instid0(VALU_DEP_2)
	v_pk_add_f32 v[16:17], v[16:17], v[28:29] neg_lo:[0,1] neg_hi:[0,1]
.LBB12_104:
	s_or_b32 exec_lo, exec_lo, s0
	v_lshl_add_u32 v20, v23, 3, v24
	s_barrier_signal -1
	s_barrier_wait -1
	ds_store_b64 v20, v[8:9]
	s_wait_dscnt 0x0
	s_barrier_signal -1
	s_barrier_wait -1
	ds_load_b64 v[20:21], v24 offset:40
	v_mov_b32_e32 v22, 5
	s_cmp_lt_i32 s14, 7
	s_cbranch_scc1 .LBB12_107
; %bb.105:
	v_add3_u32 v28, v25, 0, 48
	v_mov_b32_e32 v22, 5
	s_mov_b32 s0, 6
.LBB12_106:                             ; =>This Inner Loop Header: Depth=1
	ds_load_b64 v[30:31], v28
	s_wait_dscnt 0x1
	v_cmp_gt_f32_e32 vcc_lo, 0, v20
	v_cndmask_b32_e64 v32, v20, -v20, vcc_lo
	v_cmp_gt_f32_e32 vcc_lo, 0, v21
	v_cndmask_b32_e64 v34, v21, -v21, vcc_lo
	s_wait_dscnt 0x0
	v_cmp_gt_f32_e32 vcc_lo, 0, v30
	v_cndmask_b32_e64 v33, v30, -v30, vcc_lo
	v_cmp_gt_f32_e32 vcc_lo, 0, v31
	v_cndmask_b32_e64 v35, v31, -v31, vcc_lo
	s_delay_alu instid0(VALU_DEP_1) | instskip(NEXT) | instid1(VALU_DEP_1)
	v_pk_add_f32 v[32:33], v[32:33], v[34:35]
	v_cmp_lt_f32_e32 vcc_lo, v32, v33
	v_dual_cndmask_b32 v21, v21, v31 :: v_dual_add_nc_u32 v28, 8, v28
	v_cndmask_b32_e32 v20, v20, v30, vcc_lo
	v_cndmask_b32_e64 v22, v22, s0, vcc_lo
	s_add_co_i32 s0, s0, 1
	s_delay_alu instid0(SALU_CYCLE_1)
	s_cmp_lg_u32 s14, s0
	s_cbranch_scc1 .LBB12_106
.LBB12_107:
	s_wait_dscnt 0x0
	v_cmp_eq_f32_e32 vcc_lo, 0, v20
	v_cmp_eq_f32_e64 s0, 0, v21
	s_and_b32 s0, vcc_lo, s0
	s_delay_alu instid0(SALU_CYCLE_1) | instskip(NEXT) | instid1(SALU_CYCLE_1)
	s_and_saveexec_b32 s1, s0
	s_xor_b32 s0, exec_lo, s1
; %bb.108:
	v_cmp_ne_u32_e32 vcc_lo, 0, v27
	v_cndmask_b32_e32 v27, 6, v27, vcc_lo
; %bb.109:
	s_and_not1_saveexec_b32 s0, s0
	s_cbranch_execz .LBB12_115
; %bb.110:
	v_cmp_ngt_f32_e64 s1, |v20|, |v21|
	s_and_saveexec_b32 s15, s1
	s_delay_alu instid0(SALU_CYCLE_1)
	s_xor_b32 s1, exec_lo, s15
	s_cbranch_execz .LBB12_112
; %bb.111:
	v_div_scale_f32 v28, null, v21, v21, v20
	v_div_scale_f32 v31, vcc_lo, v20, v21, v20
	s_delay_alu instid0(VALU_DEP_2) | instskip(SKIP_1) | instid1(TRANS32_DEP_1)
	v_rcp_f32_e32 v29, v28
	v_nop
	v_fma_f32 v30, -v28, v29, 1.0
	s_delay_alu instid0(VALU_DEP_1) | instskip(NEXT) | instid1(VALU_DEP_1)
	v_fmac_f32_e32 v29, v30, v29
	v_mul_f32_e32 v30, v31, v29
	s_delay_alu instid0(VALU_DEP_1) | instskip(NEXT) | instid1(VALU_DEP_1)
	v_fma_f32 v32, -v28, v30, v31
	v_fmac_f32_e32 v30, v32, v29
	s_delay_alu instid0(VALU_DEP_1) | instskip(NEXT) | instid1(VALU_DEP_1)
	v_fma_f32 v28, -v28, v30, v31
	v_div_fmas_f32 v28, v28, v29, v30
	s_delay_alu instid0(VALU_DEP_1) | instskip(NEXT) | instid1(VALU_DEP_1)
	v_div_fixup_f32 v28, v28, v21, v20
	v_fmac_f32_e32 v21, v20, v28
	s_delay_alu instid0(VALU_DEP_1) | instskip(SKIP_1) | instid1(VALU_DEP_2)
	v_div_scale_f32 v20, null, v21, v21, 1.0
	v_div_scale_f32 v31, vcc_lo, 1.0, v21, 1.0
	v_rcp_f32_e32 v29, v20
	v_nop
	s_delay_alu instid0(TRANS32_DEP_1) | instskip(NEXT) | instid1(VALU_DEP_1)
	v_fma_f32 v30, -v20, v29, 1.0
	v_fmac_f32_e32 v29, v30, v29
	s_delay_alu instid0(VALU_DEP_1) | instskip(NEXT) | instid1(VALU_DEP_1)
	v_mul_f32_e32 v30, v31, v29
	v_fma_f32 v32, -v20, v30, v31
	s_delay_alu instid0(VALU_DEP_1) | instskip(NEXT) | instid1(VALU_DEP_1)
	v_fmac_f32_e32 v30, v32, v29
	v_fma_f32 v20, -v20, v30, v31
	s_delay_alu instid0(VALU_DEP_1) | instskip(NEXT) | instid1(VALU_DEP_1)
	v_div_fmas_f32 v20, v20, v29, v30
	v_div_fixup_f32 v21, v20, v21, 1.0
	s_delay_alu instid0(VALU_DEP_1)
	v_mul_f32_e32 v20, v28, v21
	v_xor_b32_e32 v21, 0x80000000, v21
.LBB12_112:
	s_and_not1_saveexec_b32 s1, s1
	s_cbranch_execz .LBB12_114
; %bb.113:
	s_delay_alu instid0(VALU_DEP_1) | instskip(SKIP_1) | instid1(VALU_DEP_2)
	v_div_scale_f32 v28, null, v20, v20, v21
	v_div_scale_f32 v31, vcc_lo, v21, v20, v21
	v_rcp_f32_e32 v29, v28
	v_nop
	s_delay_alu instid0(TRANS32_DEP_1) | instskip(NEXT) | instid1(VALU_DEP_1)
	v_fma_f32 v30, -v28, v29, 1.0
	v_fmac_f32_e32 v29, v30, v29
	s_delay_alu instid0(VALU_DEP_1) | instskip(NEXT) | instid1(VALU_DEP_1)
	v_mul_f32_e32 v30, v31, v29
	v_fma_f32 v32, -v28, v30, v31
	s_delay_alu instid0(VALU_DEP_1) | instskip(NEXT) | instid1(VALU_DEP_1)
	v_fmac_f32_e32 v30, v32, v29
	v_fma_f32 v28, -v28, v30, v31
	s_delay_alu instid0(VALU_DEP_1) | instskip(NEXT) | instid1(VALU_DEP_1)
	v_div_fmas_f32 v28, v28, v29, v30
	v_div_fixup_f32 v28, v28, v20, v21
	s_delay_alu instid0(VALU_DEP_1) | instskip(NEXT) | instid1(VALU_DEP_1)
	v_fmac_f32_e32 v20, v21, v28
	v_div_scale_f32 v21, null, v20, v20, 1.0
	s_delay_alu instid0(VALU_DEP_1) | instskip(SKIP_1) | instid1(TRANS32_DEP_1)
	v_rcp_f32_e32 v29, v21
	v_nop
	v_fma_f32 v30, -v21, v29, 1.0
	s_delay_alu instid0(VALU_DEP_1) | instskip(SKIP_1) | instid1(VALU_DEP_1)
	v_fmac_f32_e32 v29, v30, v29
	v_div_scale_f32 v30, vcc_lo, 1.0, v20, 1.0
	v_mul_f32_e32 v31, v30, v29
	s_delay_alu instid0(VALU_DEP_1) | instskip(NEXT) | instid1(VALU_DEP_1)
	v_fma_f32 v32, -v21, v31, v30
	v_fmac_f32_e32 v31, v32, v29
	s_delay_alu instid0(VALU_DEP_1) | instskip(NEXT) | instid1(VALU_DEP_1)
	v_fma_f32 v21, -v21, v31, v30
	v_div_fmas_f32 v21, v21, v29, v31
	s_delay_alu instid0(VALU_DEP_1) | instskip(NEXT) | instid1(VALU_DEP_1)
	v_div_fixup_f32 v20, v21, v20, 1.0
	v_mul_f32_e64 v21, v28, -v20
.LBB12_114:
	s_or_b32 exec_lo, exec_lo, s1
.LBB12_115:
	s_delay_alu instid0(SALU_CYCLE_1) | instskip(NEXT) | instid1(SALU_CYCLE_1)
	s_or_b32 exec_lo, exec_lo, s0
	s_mov_b32 s0, exec_lo
	v_cmpx_ne_u32_e64 v23, v22
	s_xor_b32 s0, exec_lo, s0
	s_cbranch_execz .LBB12_121
; %bb.116:
	s_mov_b32 s1, exec_lo
	v_cmpx_eq_u32_e32 5, v23
	s_cbranch_execz .LBB12_120
; %bb.117:
	v_cmp_ne_u32_e32 vcc_lo, 5, v22
	s_xor_b32 s15, s2, -1
	s_delay_alu instid0(SALU_CYCLE_1) | instskip(NEXT) | instid1(SALU_CYCLE_1)
	s_and_b32 s16, s15, vcc_lo
	s_and_saveexec_b32 s15, s16
	s_cbranch_execz .LBB12_119
; %bb.118:
	v_ashrrev_i32_e32 v23, 31, v22
	s_delay_alu instid0(VALU_DEP_1)
	v_lshl_add_u64 v[28:29], v[22:23], 2, v[18:19]
	s_clause 0x1
	global_load_b32 v23, v[28:29], off
	global_load_b32 v26, v[18:19], off offset:20
	s_wait_loadcnt 0x1
	global_store_b32 v[18:19], v23, off offset:20
	s_wait_loadcnt 0x0
	global_store_b32 v[28:29], v26, off
.LBB12_119:
	s_wait_xcnt 0x0
	s_or_b32 exec_lo, exec_lo, s15
	v_dual_mov_b32 v23, v22 :: v_dual_mov_b32 v26, v22
.LBB12_120:
	s_or_b32 exec_lo, exec_lo, s1
.LBB12_121:
	s_and_not1_saveexec_b32 s0, s0
; %bb.122:
	v_mov_b32_e32 v23, 5
	ds_store_b64 v24, v[16:17] offset:48
; %bb.123:
	s_or_b32 exec_lo, exec_lo, s0
	s_delay_alu instid0(SALU_CYCLE_1)
	s_mov_b32 s0, exec_lo
	s_wait_storecnt_dscnt 0x0
	s_barrier_signal -1
	s_barrier_wait -1
	v_cmpx_lt_i32_e32 5, v23
	s_cbranch_execz .LBB12_125
; %bb.124:
	ds_load_b64 v[28:29], v24 offset:48
	v_pk_mul_f32 v[30:31], v[20:21], v[8:9] op_sel:[1,1] op_sel_hi:[0,1]
	s_delay_alu instid0(VALU_DEP_1) | instskip(SKIP_2) | instid1(VALU_DEP_2)
	v_pk_fma_f32 v[32:33], v[20:21], v[8:9], v[30:31] op_sel_hi:[1,0,1]
	v_pk_fma_f32 v[8:9], v[20:21], v[8:9], v[30:31] op_sel_hi:[1,0,1] neg_lo:[0,0,1] neg_hi:[0,0,1]
	s_wait_dscnt 0x0
	v_pk_mul_f32 v[20:21], v[28:29], v[32:33] op_sel:[1,1] op_sel_hi:[0,1]
	s_delay_alu instid0(VALU_DEP_1) | instskip(SKIP_1) | instid1(VALU_DEP_2)
	v_pk_fma_f32 v[30:31], v[28:29], v[8:9], v[20:21] op_sel_hi:[1,0,1]
	v_pk_fma_f32 v[20:21], v[28:29], v[8:9], v[20:21] neg_lo:[0,0,1] neg_hi:[0,0,1]
	v_dual_mov_b32 v9, v33 :: v_dual_mov_b32 v21, v31
	s_delay_alu instid0(VALU_DEP_1)
	v_pk_add_f32 v[16:17], v[16:17], v[20:21] neg_lo:[0,1] neg_hi:[0,1]
.LBB12_125:
	s_or_b32 exec_lo, exec_lo, s0
	v_lshl_add_u32 v20, v23, 3, v24
	s_barrier_signal -1
	s_barrier_wait -1
	ds_store_b64 v20, v[16:17]
	s_wait_dscnt 0x0
	s_barrier_signal -1
	s_barrier_wait -1
	ds_load_b64 v[20:21], v24 offset:48
	v_mov_b32_e32 v22, 6
	s_cmp_lt_i32 s14, 8
	s_cbranch_scc1 .LBB12_128
; %bb.126:
	v_add3_u32 v24, v25, 0, 56
	v_mov_b32_e32 v22, 6
	s_mov_b32 s0, 7
.LBB12_127:                             ; =>This Inner Loop Header: Depth=1
	ds_load_b64 v[28:29], v24
	s_wait_dscnt 0x1
	v_cmp_gt_f32_e32 vcc_lo, 0, v20
	v_cndmask_b32_e64 v30, v20, -v20, vcc_lo
	v_cmp_gt_f32_e32 vcc_lo, 0, v21
	v_cndmask_b32_e64 v32, v21, -v21, vcc_lo
	s_wait_dscnt 0x0
	v_cmp_gt_f32_e32 vcc_lo, 0, v28
	v_cndmask_b32_e64 v31, v28, -v28, vcc_lo
	v_cmp_gt_f32_e32 vcc_lo, 0, v29
	v_cndmask_b32_e64 v33, v29, -v29, vcc_lo
	s_delay_alu instid0(VALU_DEP_1) | instskip(NEXT) | instid1(VALU_DEP_1)
	v_pk_add_f32 v[30:31], v[30:31], v[32:33]
	v_cmp_lt_f32_e32 vcc_lo, v30, v31
	v_dual_cndmask_b32 v21, v21, v29 :: v_dual_add_nc_u32 v24, 8, v24
	v_cndmask_b32_e32 v20, v20, v28, vcc_lo
	v_cndmask_b32_e64 v22, v22, s0, vcc_lo
	s_add_co_i32 s0, s0, 1
	s_delay_alu instid0(SALU_CYCLE_1)
	s_cmp_lg_u32 s14, s0
	s_cbranch_scc1 .LBB12_127
.LBB12_128:
	s_wait_dscnt 0x0
	v_cmp_eq_f32_e32 vcc_lo, 0, v20
	v_cmp_eq_f32_e64 s0, 0, v21
	s_and_b32 s0, vcc_lo, s0
	s_delay_alu instid0(SALU_CYCLE_1) | instskip(NEXT) | instid1(SALU_CYCLE_1)
	s_and_saveexec_b32 s1, s0
	s_xor_b32 s0, exec_lo, s1
; %bb.129:
	v_cmp_ne_u32_e32 vcc_lo, 0, v27
	v_cndmask_b32_e32 v27, 7, v27, vcc_lo
; %bb.130:
	s_and_not1_saveexec_b32 s0, s0
	s_cbranch_execz .LBB12_136
; %bb.131:
	v_cmp_ngt_f32_e64 s1, |v20|, |v21|
	s_and_saveexec_b32 s14, s1
	s_delay_alu instid0(SALU_CYCLE_1)
	s_xor_b32 s1, exec_lo, s14
	s_cbranch_execz .LBB12_133
; %bb.132:
	v_div_scale_f32 v24, null, v21, v21, v20
	v_div_scale_f32 v29, vcc_lo, v20, v21, v20
	s_delay_alu instid0(VALU_DEP_2) | instskip(SKIP_1) | instid1(TRANS32_DEP_1)
	v_rcp_f32_e32 v25, v24
	v_nop
	v_fma_f32 v28, -v24, v25, 1.0
	s_delay_alu instid0(VALU_DEP_1) | instskip(NEXT) | instid1(VALU_DEP_1)
	v_fmac_f32_e32 v25, v28, v25
	v_mul_f32_e32 v28, v29, v25
	s_delay_alu instid0(VALU_DEP_1) | instskip(NEXT) | instid1(VALU_DEP_1)
	v_fma_f32 v30, -v24, v28, v29
	v_fmac_f32_e32 v28, v30, v25
	s_delay_alu instid0(VALU_DEP_1) | instskip(NEXT) | instid1(VALU_DEP_1)
	v_fma_f32 v24, -v24, v28, v29
	v_div_fmas_f32 v24, v24, v25, v28
	s_delay_alu instid0(VALU_DEP_1) | instskip(NEXT) | instid1(VALU_DEP_1)
	v_div_fixup_f32 v24, v24, v21, v20
	v_fmac_f32_e32 v21, v20, v24
	s_delay_alu instid0(VALU_DEP_1) | instskip(SKIP_1) | instid1(VALU_DEP_2)
	v_div_scale_f32 v20, null, v21, v21, 1.0
	v_div_scale_f32 v29, vcc_lo, 1.0, v21, 1.0
	v_rcp_f32_e32 v25, v20
	v_nop
	s_delay_alu instid0(TRANS32_DEP_1) | instskip(NEXT) | instid1(VALU_DEP_1)
	v_fma_f32 v28, -v20, v25, 1.0
	v_fmac_f32_e32 v25, v28, v25
	s_delay_alu instid0(VALU_DEP_1) | instskip(NEXT) | instid1(VALU_DEP_1)
	v_mul_f32_e32 v28, v29, v25
	v_fma_f32 v30, -v20, v28, v29
	s_delay_alu instid0(VALU_DEP_1) | instskip(NEXT) | instid1(VALU_DEP_1)
	v_fmac_f32_e32 v28, v30, v25
	v_fma_f32 v20, -v20, v28, v29
	s_delay_alu instid0(VALU_DEP_1) | instskip(NEXT) | instid1(VALU_DEP_1)
	v_div_fmas_f32 v20, v20, v25, v28
	v_div_fixup_f32 v21, v20, v21, 1.0
	s_delay_alu instid0(VALU_DEP_1)
	v_mul_f32_e32 v20, v24, v21
	v_xor_b32_e32 v21, 0x80000000, v21
.LBB12_133:
	s_and_not1_saveexec_b32 s1, s1
	s_cbranch_execz .LBB12_135
; %bb.134:
	s_delay_alu instid0(VALU_DEP_1) | instskip(SKIP_1) | instid1(VALU_DEP_2)
	v_div_scale_f32 v24, null, v20, v20, v21
	v_div_scale_f32 v29, vcc_lo, v21, v20, v21
	v_rcp_f32_e32 v25, v24
	v_nop
	s_delay_alu instid0(TRANS32_DEP_1) | instskip(NEXT) | instid1(VALU_DEP_1)
	v_fma_f32 v28, -v24, v25, 1.0
	v_fmac_f32_e32 v25, v28, v25
	s_delay_alu instid0(VALU_DEP_1) | instskip(NEXT) | instid1(VALU_DEP_1)
	v_mul_f32_e32 v28, v29, v25
	v_fma_f32 v30, -v24, v28, v29
	s_delay_alu instid0(VALU_DEP_1) | instskip(NEXT) | instid1(VALU_DEP_1)
	v_fmac_f32_e32 v28, v30, v25
	v_fma_f32 v24, -v24, v28, v29
	s_delay_alu instid0(VALU_DEP_1) | instskip(NEXT) | instid1(VALU_DEP_1)
	v_div_fmas_f32 v24, v24, v25, v28
	v_div_fixup_f32 v24, v24, v20, v21
	s_delay_alu instid0(VALU_DEP_1) | instskip(NEXT) | instid1(VALU_DEP_1)
	v_fmac_f32_e32 v20, v21, v24
	v_div_scale_f32 v21, null, v20, v20, 1.0
	s_delay_alu instid0(VALU_DEP_1) | instskip(SKIP_1) | instid1(TRANS32_DEP_1)
	v_rcp_f32_e32 v25, v21
	v_nop
	v_fma_f32 v28, -v21, v25, 1.0
	s_delay_alu instid0(VALU_DEP_1) | instskip(SKIP_1) | instid1(VALU_DEP_1)
	v_fmac_f32_e32 v25, v28, v25
	v_div_scale_f32 v28, vcc_lo, 1.0, v20, 1.0
	v_mul_f32_e32 v29, v28, v25
	s_delay_alu instid0(VALU_DEP_1) | instskip(NEXT) | instid1(VALU_DEP_1)
	v_fma_f32 v30, -v21, v29, v28
	v_fmac_f32_e32 v29, v30, v25
	s_delay_alu instid0(VALU_DEP_1) | instskip(NEXT) | instid1(VALU_DEP_1)
	v_fma_f32 v21, -v21, v29, v28
	v_div_fmas_f32 v21, v21, v25, v29
	s_delay_alu instid0(VALU_DEP_1) | instskip(NEXT) | instid1(VALU_DEP_1)
	v_div_fixup_f32 v20, v21, v20, 1.0
	v_mul_f32_e64 v21, v24, -v20
.LBB12_135:
	s_or_b32 exec_lo, exec_lo, s1
.LBB12_136:
	s_delay_alu instid0(SALU_CYCLE_1)
	s_or_b32 exec_lo, exec_lo, s0
	v_mov_b32_e32 v24, 6
	s_mov_b32 s0, exec_lo
	v_cmpx_ne_u32_e64 v23, v22
	s_cbranch_execz .LBB12_142
; %bb.137:
	s_mov_b32 s1, exec_lo
	v_cmpx_eq_u32_e32 6, v23
	s_cbranch_execz .LBB12_141
; %bb.138:
	v_cmp_ne_u32_e32 vcc_lo, 6, v22
	s_xor_b32 s2, s2, -1
	s_delay_alu instid0(SALU_CYCLE_1) | instskip(NEXT) | instid1(SALU_CYCLE_1)
	s_and_b32 s14, s2, vcc_lo
	s_and_saveexec_b32 s2, s14
	s_cbranch_execz .LBB12_140
; %bb.139:
	v_ashrrev_i32_e32 v23, 31, v22
	s_delay_alu instid0(VALU_DEP_1)
	v_lshl_add_u64 v[24:25], v[22:23], 2, v[18:19]
	s_clause 0x1
	global_load_b32 v23, v[24:25], off
	global_load_b32 v26, v[18:19], off offset:24
	s_wait_loadcnt 0x1
	global_store_b32 v[18:19], v23, off offset:24
	s_wait_loadcnt 0x0
	global_store_b32 v[24:25], v26, off
.LBB12_140:
	s_wait_xcnt 0x0
	s_or_b32 exec_lo, exec_lo, s2
	v_dual_mov_b32 v23, v22 :: v_dual_mov_b32 v26, v22
.LBB12_141:
	s_or_b32 exec_lo, exec_lo, s1
	s_delay_alu instid0(VALU_DEP_1)
	v_mov_b32_e32 v24, v23
.LBB12_142:
	s_or_b32 exec_lo, exec_lo, s0
	s_delay_alu instid0(VALU_DEP_1)
	v_ashrrev_i32_e32 v25, 31, v24
	s_mov_b32 s0, exec_lo
	s_wait_storecnt 0x0
	s_barrier_signal -1
	s_barrier_wait -1
	s_barrier_signal -1
	s_barrier_wait -1
	v_cmpx_gt_i32_e32 7, v24
	s_cbranch_execz .LBB12_144
; %bb.143:
	v_mul_u64_e32 v[18:19], s[10:11], v[2:3]
	v_add3_u32 v22, v26, s3, 1
	s_delay_alu instid0(VALU_DEP_2) | instskip(NEXT) | instid1(VALU_DEP_1)
	v_lshl_add_u64 v[18:19], v[18:19], 2, s[6:7]
	v_lshl_add_u64 v[18:19], s[8:9], 2, v[18:19]
	s_delay_alu instid0(VALU_DEP_1)
	v_lshl_add_u64 v[18:19], v[24:25], 2, v[18:19]
	global_store_b32 v[18:19], v22, off
.LBB12_144:
	s_wait_xcnt 0x0
	s_or_b32 exec_lo, exec_lo, s0
	s_delay_alu instid0(SALU_CYCLE_1)
	s_mov_b32 s1, exec_lo
	v_cmpx_eq_u32_e32 0, v24
	s_cbranch_execz .LBB12_147
; %bb.145:
	s_wait_kmcnt 0x0
	v_lshl_add_u64 v[2:3], v[2:3], 2, s[12:13]
	v_cmp_ne_u32_e64 s0, 0, v27
	global_load_b32 v18, v[2:3], off
	s_wait_loadcnt 0x0
	v_cmp_eq_u32_e32 vcc_lo, 0, v18
	s_and_b32 s0, vcc_lo, s0
	s_wait_xcnt 0x0
	s_and_b32 exec_lo, exec_lo, s0
	s_cbranch_execz .LBB12_147
; %bb.146:
	v_add_nc_u32_e32 v18, s3, v27
	global_store_b32 v[2:3], v18, off
.LBB12_147:
	s_wait_xcnt 0x0
	s_or_b32 exec_lo, exec_lo, s1
	v_add3_u32 v2, s4, s4, v24
	v_pk_mul_f32 v[18:19], v[20:21], v[16:17] op_sel:[1,1] op_sel_hi:[0,1]
	v_cmp_lt_i32_e32 vcc_lo, 6, v24
	v_lshl_add_u64 v[28:29], v[24:25], 3, v[0:1]
	s_delay_alu instid0(VALU_DEP_4) | instskip(NEXT) | instid1(VALU_DEP_4)
	v_ashrrev_i32_e32 v3, 31, v2
	v_pk_fma_f32 v[26:27], v[20:21], v[16:17], v[18:19] op_sel_hi:[1,0,1]
	v_add_nc_u32_e32 v22, s4, v2
	v_pk_fma_f32 v[18:19], v[20:21], v[16:17], v[18:19] neg_lo:[0,0,1] neg_hi:[0,0,1]
	v_lshl_add_u64 v[20:21], s[4:5], 3, v[28:29]
	s_clause 0x1
	global_store_b64 v[28:29], v[10:11], off
	global_store_b64 v[20:21], v[14:15], off
	v_dual_cndmask_b32 v17, v17, v27 :: v_dual_add_nc_u32 v26, s4, v22
	v_ashrrev_i32_e32 v23, 31, v22
	v_lshl_add_u64 v[2:3], v[2:3], 3, v[0:1]
	s_delay_alu instid0(VALU_DEP_3) | instskip(SKIP_1) | instid1(VALU_DEP_3)
	v_add_nc_u32_e32 v24, s4, v26
	s_wait_xcnt 0x0
	v_lshl_add_u64 v[14:15], v[22:23], 3, v[0:1]
	s_delay_alu instid0(VALU_DEP_2) | instskip(SKIP_1) | instid1(VALU_DEP_2)
	v_dual_add_nc_u32 v10, s4, v24 :: v_dual_ashrrev_i32 v27, 31, v26
	v_dual_cndmask_b32 v16, v16, v18 :: v_dual_ashrrev_i32 v25, 31, v24
	v_ashrrev_i32_e32 v11, 31, v10
	s_delay_alu instid0(VALU_DEP_3) | instskip(NEXT) | instid1(VALU_DEP_3)
	v_lshl_add_u64 v[18:19], v[26:27], 3, v[0:1]
	v_lshl_add_u64 v[20:21], v[24:25], 3, v[0:1]
	s_delay_alu instid0(VALU_DEP_3)
	v_lshl_add_u64 v[0:1], v[10:11], 3, v[0:1]
	s_clause 0x4
	global_store_b64 v[2:3], v[4:5], off
	global_store_b64 v[14:15], v[6:7], off
	;; [unrolled: 1-line block ×5, first 2 shown]
.LBB12_148:
	s_endpgm
	.section	.rodata,"a",@progbits
	.p2align	6, 0x0
	.amdhsa_kernel _ZN9rocsolver6v33100L18getf2_small_kernelILi7E19rocblas_complex_numIfEiiPS3_EEvT1_T3_lS5_lPS5_llPT2_S5_S5_S7_l
		.amdhsa_group_segment_fixed_size 0
		.amdhsa_private_segment_fixed_size 0
		.amdhsa_kernarg_size 352
		.amdhsa_user_sgpr_count 2
		.amdhsa_user_sgpr_dispatch_ptr 0
		.amdhsa_user_sgpr_queue_ptr 0
		.amdhsa_user_sgpr_kernarg_segment_ptr 1
		.amdhsa_user_sgpr_dispatch_id 0
		.amdhsa_user_sgpr_kernarg_preload_length 0
		.amdhsa_user_sgpr_kernarg_preload_offset 0
		.amdhsa_user_sgpr_private_segment_size 0
		.amdhsa_wavefront_size32 1
		.amdhsa_uses_dynamic_stack 0
		.amdhsa_enable_private_segment 0
		.amdhsa_system_sgpr_workgroup_id_x 1
		.amdhsa_system_sgpr_workgroup_id_y 1
		.amdhsa_system_sgpr_workgroup_id_z 0
		.amdhsa_system_sgpr_workgroup_info 0
		.amdhsa_system_vgpr_workitem_id 1
		.amdhsa_next_free_vgpr 62
		.amdhsa_next_free_sgpr 17
		.amdhsa_named_barrier_count 0
		.amdhsa_reserve_vcc 1
		.amdhsa_float_round_mode_32 0
		.amdhsa_float_round_mode_16_64 0
		.amdhsa_float_denorm_mode_32 3
		.amdhsa_float_denorm_mode_16_64 3
		.amdhsa_fp16_overflow 0
		.amdhsa_memory_ordered 1
		.amdhsa_forward_progress 1
		.amdhsa_inst_pref_size 68
		.amdhsa_round_robin_scheduling 0
		.amdhsa_exception_fp_ieee_invalid_op 0
		.amdhsa_exception_fp_denorm_src 0
		.amdhsa_exception_fp_ieee_div_zero 0
		.amdhsa_exception_fp_ieee_overflow 0
		.amdhsa_exception_fp_ieee_underflow 0
		.amdhsa_exception_fp_ieee_inexact 0
		.amdhsa_exception_int_div_zero 0
	.end_amdhsa_kernel
	.section	.text._ZN9rocsolver6v33100L18getf2_small_kernelILi7E19rocblas_complex_numIfEiiPS3_EEvT1_T3_lS5_lPS5_llPT2_S5_S5_S7_l,"axG",@progbits,_ZN9rocsolver6v33100L18getf2_small_kernelILi7E19rocblas_complex_numIfEiiPS3_EEvT1_T3_lS5_lPS5_llPT2_S5_S5_S7_l,comdat
.Lfunc_end12:
	.size	_ZN9rocsolver6v33100L18getf2_small_kernelILi7E19rocblas_complex_numIfEiiPS3_EEvT1_T3_lS5_lPS5_llPT2_S5_S5_S7_l, .Lfunc_end12-_ZN9rocsolver6v33100L18getf2_small_kernelILi7E19rocblas_complex_numIfEiiPS3_EEvT1_T3_lS5_lPS5_llPT2_S5_S5_S7_l
                                        ; -- End function
	.set _ZN9rocsolver6v33100L18getf2_small_kernelILi7E19rocblas_complex_numIfEiiPS3_EEvT1_T3_lS5_lPS5_llPT2_S5_S5_S7_l.num_vgpr, 62
	.set _ZN9rocsolver6v33100L18getf2_small_kernelILi7E19rocblas_complex_numIfEiiPS3_EEvT1_T3_lS5_lPS5_llPT2_S5_S5_S7_l.num_agpr, 0
	.set _ZN9rocsolver6v33100L18getf2_small_kernelILi7E19rocblas_complex_numIfEiiPS3_EEvT1_T3_lS5_lPS5_llPT2_S5_S5_S7_l.numbered_sgpr, 17
	.set _ZN9rocsolver6v33100L18getf2_small_kernelILi7E19rocblas_complex_numIfEiiPS3_EEvT1_T3_lS5_lPS5_llPT2_S5_S5_S7_l.num_named_barrier, 0
	.set _ZN9rocsolver6v33100L18getf2_small_kernelILi7E19rocblas_complex_numIfEiiPS3_EEvT1_T3_lS5_lPS5_llPT2_S5_S5_S7_l.private_seg_size, 0
	.set _ZN9rocsolver6v33100L18getf2_small_kernelILi7E19rocblas_complex_numIfEiiPS3_EEvT1_T3_lS5_lPS5_llPT2_S5_S5_S7_l.uses_vcc, 1
	.set _ZN9rocsolver6v33100L18getf2_small_kernelILi7E19rocblas_complex_numIfEiiPS3_EEvT1_T3_lS5_lPS5_llPT2_S5_S5_S7_l.uses_flat_scratch, 0
	.set _ZN9rocsolver6v33100L18getf2_small_kernelILi7E19rocblas_complex_numIfEiiPS3_EEvT1_T3_lS5_lPS5_llPT2_S5_S5_S7_l.has_dyn_sized_stack, 0
	.set _ZN9rocsolver6v33100L18getf2_small_kernelILi7E19rocblas_complex_numIfEiiPS3_EEvT1_T3_lS5_lPS5_llPT2_S5_S5_S7_l.has_recursion, 0
	.set _ZN9rocsolver6v33100L18getf2_small_kernelILi7E19rocblas_complex_numIfEiiPS3_EEvT1_T3_lS5_lPS5_llPT2_S5_S5_S7_l.has_indirect_call, 0
	.section	.AMDGPU.csdata,"",@progbits
; Kernel info:
; codeLenInByte = 8652
; TotalNumSgprs: 19
; NumVgprs: 62
; ScratchSize: 0
; MemoryBound: 0
; FloatMode: 240
; IeeeMode: 1
; LDSByteSize: 0 bytes/workgroup (compile time only)
; SGPRBlocks: 0
; VGPRBlocks: 3
; NumSGPRsForWavesPerEU: 19
; NumVGPRsForWavesPerEU: 62
; NamedBarCnt: 0
; Occupancy: 16
; WaveLimiterHint : 0
; COMPUTE_PGM_RSRC2:SCRATCH_EN: 0
; COMPUTE_PGM_RSRC2:USER_SGPR: 2
; COMPUTE_PGM_RSRC2:TRAP_HANDLER: 0
; COMPUTE_PGM_RSRC2:TGID_X_EN: 1
; COMPUTE_PGM_RSRC2:TGID_Y_EN: 1
; COMPUTE_PGM_RSRC2:TGID_Z_EN: 0
; COMPUTE_PGM_RSRC2:TIDIG_COMP_CNT: 1
	.section	.text._ZN9rocsolver6v33100L23getf2_npvt_small_kernelILi7E19rocblas_complex_numIfEiiPS3_EEvT1_T3_lS5_lPT2_S5_S5_,"axG",@progbits,_ZN9rocsolver6v33100L23getf2_npvt_small_kernelILi7E19rocblas_complex_numIfEiiPS3_EEvT1_T3_lS5_lPT2_S5_S5_,comdat
	.globl	_ZN9rocsolver6v33100L23getf2_npvt_small_kernelILi7E19rocblas_complex_numIfEiiPS3_EEvT1_T3_lS5_lPT2_S5_S5_ ; -- Begin function _ZN9rocsolver6v33100L23getf2_npvt_small_kernelILi7E19rocblas_complex_numIfEiiPS3_EEvT1_T3_lS5_lPT2_S5_S5_
	.p2align	8
	.type	_ZN9rocsolver6v33100L23getf2_npvt_small_kernelILi7E19rocblas_complex_numIfEiiPS3_EEvT1_T3_lS5_lPT2_S5_S5_,@function
_ZN9rocsolver6v33100L23getf2_npvt_small_kernelILi7E19rocblas_complex_numIfEiiPS3_EEvT1_T3_lS5_lPT2_S5_S5_: ; @_ZN9rocsolver6v33100L23getf2_npvt_small_kernelILi7E19rocblas_complex_numIfEiiPS3_EEvT1_T3_lS5_lPT2_S5_S5_
; %bb.0:
	s_clause 0x1
	s_load_u16 s8, s[0:1], 0x46
	s_load_b64 s[2:3], s[0:1], 0x30
	s_bfe_u32 s4, ttmp6, 0x40010
	s_bfe_u32 s5, ttmp6, 0x40004
	s_add_co_i32 s4, s4, 1
	s_getreg_b32 s6, hwreg(HW_REG_IB_STS2, 6, 4)
	s_mul_i32 s4, ttmp7, s4
	v_bfe_u32 v30, v0, 10, 10
	s_add_co_i32 s5, s5, s4
	s_cmp_eq_u32 s6, 0
	s_cselect_b32 s4, ttmp7, s5
	s_wait_kmcnt 0x0
	v_mad_u32 v2, s4, s8, v30
	s_delay_alu instid0(VALU_DEP_1)
	v_cmp_gt_i32_e32 vcc_lo, s2, v2
	s_and_saveexec_b32 s2, vcc_lo
	s_cbranch_execz .LBB13_66
; %bb.1:
	s_load_b128 s[4:7], s[0:1], 0x20
	v_ashrrev_i32_e32 v3, 31, v2
	v_and_b32_e32 v44, 0x3ff, v0
	v_lshlrev_b32_e32 v31, 3, v30
	v_mul_u32_u24_e32 v30, 56, v30
	s_mul_i32 s8, s8, 56
	s_delay_alu instid0(VALU_DEP_1) | instskip(NEXT) | instid1(VALU_DEP_3)
	v_add_nc_u32_e32 v46, 0, v30
	v_add3_u32 v45, 0, s8, v31
	s_wait_kmcnt 0x0
	v_mul_u64_e32 v[4:5], s[4:5], v[2:3]
	s_clause 0x1
	s_load_b32 s4, s[0:1], 0x18
	s_load_b128 s[12:15], s[0:1], 0x8
	s_wait_xcnt 0x0
	v_cmp_ne_u32_e64 s1, 0, v44
	v_cmp_eq_u32_e64 s0, 0, v44
	s_wait_kmcnt 0x0
	v_add3_u32 v6, s4, s4, v44
	s_ashr_i32 s5, s4, 31
	s_delay_alu instid0(VALU_DEP_1) | instskip(SKIP_1) | instid1(VALU_DEP_2)
	v_add_nc_u32_e32 v8, s4, v6
	v_lshl_add_u64 v[0:1], v[4:5], 3, s[12:13]
	v_dual_mov_b32 v5, 0 :: v_dual_add_nc_u32 v10, s4, v8
	v_lshlrev_b32_e32 v4, 3, v44
	v_ashrrev_i32_e32 v9, 31, v8
	s_delay_alu instid0(VALU_DEP_4) | instskip(NEXT) | instid1(VALU_DEP_4)
	v_lshl_add_u64 v[16:17], s[14:15], 3, v[0:1]
	v_add_nc_u32_e32 v12, s4, v10
	v_ashrrev_i32_e32 v7, 31, v6
	v_ashrrev_i32_e32 v11, 31, v10
	s_delay_alu instid0(VALU_DEP_4) | instskip(NEXT) | instid1(VALU_DEP_4)
	v_add_nc_u64_e32 v[0:1], v[16:17], v[4:5]
	v_dual_add_nc_u32 v18, s4, v12 :: v_dual_ashrrev_i32 v13, 31, v12
	s_delay_alu instid0(VALU_DEP_4) | instskip(SKIP_2) | instid1(VALU_DEP_4)
	v_lshl_add_u64 v[4:5], v[6:7], 3, v[16:17]
	v_lshl_add_u64 v[6:7], v[8:9], 3, v[16:17]
	v_lshl_add_u64 v[8:9], v[10:11], 3, v[16:17]
	v_ashrrev_i32_e32 v19, 31, v18
	v_lshl_add_u64 v[14:15], s[4:5], 3, v[0:1]
	v_lshl_add_u64 v[10:11], v[12:13], 3, v[16:17]
	s_delay_alu instid0(VALU_DEP_3)
	v_lshl_add_u64 v[12:13], v[18:19], 3, v[16:17]
	s_clause 0x6
	global_load_b64 v[20:21], v[0:1], off
	global_load_b64 v[16:17], v[14:15], off
	;; [unrolled: 1-line block ×7, first 2 shown]
	s_wait_xcnt 0x0
	s_and_saveexec_b32 s4, s0
	s_cbranch_execz .LBB13_8
; %bb.2:
	s_wait_loadcnt 0x6
	ds_store_b64 v45, v[20:21]
	s_wait_loadcnt 0x4
	ds_store_2addr_b64 v46, v[16:17], v[18:19] offset0:1 offset1:2
	s_wait_loadcnt 0x2
	ds_store_2addr_b64 v46, v[28:29], v[26:27] offset0:3 offset1:4
	;; [unrolled: 2-line block ×3, first 2 shown]
	ds_load_b64 v[30:31], v45
	s_wait_dscnt 0x0
	v_cmp_neq_f32_e32 vcc_lo, 0, v30
	v_cmp_neq_f32_e64 s2, 0, v31
	s_or_b32 s2, vcc_lo, s2
	s_delay_alu instid0(SALU_CYCLE_1)
	s_and_b32 exec_lo, exec_lo, s2
	s_cbranch_execz .LBB13_8
; %bb.3:
	v_cmp_ngt_f32_e64 s2, |v30|, |v31|
                                        ; implicit-def: $vgpr32_vgpr33
	s_and_saveexec_b32 s5, s2
	s_delay_alu instid0(SALU_CYCLE_1)
	s_xor_b32 s2, exec_lo, s5
	s_cbranch_execz .LBB13_5
; %bb.4:
	v_div_scale_f32 v32, null, v31, v31, v30
	v_div_scale_f32 v35, vcc_lo, v30, v31, v30
	s_delay_alu instid0(VALU_DEP_2) | instskip(SKIP_1) | instid1(TRANS32_DEP_1)
	v_rcp_f32_e32 v33, v32
	v_nop
	v_fma_f32 v34, -v32, v33, 1.0
	s_delay_alu instid0(VALU_DEP_1) | instskip(NEXT) | instid1(VALU_DEP_1)
	v_fmac_f32_e32 v33, v34, v33
	v_mul_f32_e32 v34, v35, v33
	s_delay_alu instid0(VALU_DEP_1) | instskip(NEXT) | instid1(VALU_DEP_1)
	v_fma_f32 v36, -v32, v34, v35
	v_fmac_f32_e32 v34, v36, v33
	s_delay_alu instid0(VALU_DEP_1) | instskip(NEXT) | instid1(VALU_DEP_1)
	v_fma_f32 v32, -v32, v34, v35
	v_div_fmas_f32 v32, v32, v33, v34
	s_delay_alu instid0(VALU_DEP_1) | instskip(NEXT) | instid1(VALU_DEP_1)
	v_div_fixup_f32 v32, v32, v31, v30
	v_fmac_f32_e32 v31, v30, v32
	s_delay_alu instid0(VALU_DEP_1) | instskip(SKIP_1) | instid1(VALU_DEP_2)
	v_div_scale_f32 v30, null, v31, v31, 1.0
	v_div_scale_f32 v35, vcc_lo, 1.0, v31, 1.0
	v_rcp_f32_e32 v33, v30
	v_nop
	s_delay_alu instid0(TRANS32_DEP_1) | instskip(NEXT) | instid1(VALU_DEP_1)
	v_fma_f32 v34, -v30, v33, 1.0
	v_fmac_f32_e32 v33, v34, v33
	s_delay_alu instid0(VALU_DEP_1) | instskip(NEXT) | instid1(VALU_DEP_1)
	v_mul_f32_e32 v34, v35, v33
	v_fma_f32 v36, -v30, v34, v35
	s_delay_alu instid0(VALU_DEP_1) | instskip(NEXT) | instid1(VALU_DEP_1)
	v_fmac_f32_e32 v34, v36, v33
	v_fma_f32 v30, -v30, v34, v35
	s_delay_alu instid0(VALU_DEP_1) | instskip(NEXT) | instid1(VALU_DEP_1)
	v_div_fmas_f32 v30, v30, v33, v34
	v_div_fixup_f32 v30, v30, v31, 1.0
	s_delay_alu instid0(VALU_DEP_1)
	v_mul_f32_e32 v32, v32, v30
	v_xor_b32_e32 v33, 0x80000000, v30
                                        ; implicit-def: $vgpr30_vgpr31
.LBB13_5:
	s_and_not1_saveexec_b32 s2, s2
	s_cbranch_execz .LBB13_7
; %bb.6:
	v_div_scale_f32 v32, null, v30, v30, v31
	v_div_scale_f32 v35, vcc_lo, v31, v30, v31
	s_delay_alu instid0(VALU_DEP_2) | instskip(SKIP_1) | instid1(TRANS32_DEP_1)
	v_rcp_f32_e32 v33, v32
	v_nop
	v_fma_f32 v34, -v32, v33, 1.0
	s_delay_alu instid0(VALU_DEP_1) | instskip(NEXT) | instid1(VALU_DEP_1)
	v_fmac_f32_e32 v33, v34, v33
	v_mul_f32_e32 v34, v35, v33
	s_delay_alu instid0(VALU_DEP_1) | instskip(NEXT) | instid1(VALU_DEP_1)
	v_fma_f32 v36, -v32, v34, v35
	v_fmac_f32_e32 v34, v36, v33
	s_delay_alu instid0(VALU_DEP_1) | instskip(NEXT) | instid1(VALU_DEP_1)
	v_fma_f32 v32, -v32, v34, v35
	v_div_fmas_f32 v32, v32, v33, v34
	s_delay_alu instid0(VALU_DEP_1) | instskip(NEXT) | instid1(VALU_DEP_1)
	v_div_fixup_f32 v33, v32, v30, v31
	v_fmac_f32_e32 v30, v31, v33
	s_delay_alu instid0(VALU_DEP_1) | instskip(NEXT) | instid1(VALU_DEP_1)
	v_div_scale_f32 v31, null, v30, v30, 1.0
	v_rcp_f32_e32 v32, v31
	v_nop
	s_delay_alu instid0(TRANS32_DEP_1) | instskip(NEXT) | instid1(VALU_DEP_1)
	v_fma_f32 v34, -v31, v32, 1.0
	v_fmac_f32_e32 v32, v34, v32
	v_div_scale_f32 v34, vcc_lo, 1.0, v30, 1.0
	s_delay_alu instid0(VALU_DEP_1) | instskip(NEXT) | instid1(VALU_DEP_1)
	v_mul_f32_e32 v35, v34, v32
	v_fma_f32 v36, -v31, v35, v34
	s_delay_alu instid0(VALU_DEP_1) | instskip(NEXT) | instid1(VALU_DEP_1)
	v_fmac_f32_e32 v35, v36, v32
	v_fma_f32 v31, -v31, v35, v34
	s_delay_alu instid0(VALU_DEP_1) | instskip(NEXT) | instid1(VALU_DEP_1)
	v_div_fmas_f32 v31, v31, v32, v35
	v_div_fixup_f32 v32, v31, v30, 1.0
	s_delay_alu instid0(VALU_DEP_1)
	v_mul_f32_e64 v33, v33, -v32
.LBB13_7:
	s_or_b32 exec_lo, exec_lo, s2
	ds_store_b64 v45, v[32:33]
.LBB13_8:
	s_or_b32 exec_lo, exec_lo, s4
	s_wait_loadcnt_dscnt 0x0
	s_barrier_signal -1
	s_barrier_wait -1
	ds_load_b64 v[30:31], v45
	s_and_saveexec_b32 s2, s1
	s_cbranch_execz .LBB13_10
; %bb.9:
	s_wait_dscnt 0x0
	v_pk_mul_f32 v[32:33], v[30:31], v[20:21] op_sel:[1,1] op_sel_hi:[0,1]
	s_delay_alu instid0(VALU_DEP_1)
	v_pk_fma_f32 v[36:37], v[30:31], v[20:21], v[32:33] op_sel_hi:[1,0,1] neg_lo:[0,0,1] neg_hi:[0,0,1]
	v_pk_fma_f32 v[38:39], v[30:31], v[20:21], v[32:33] op_sel_hi:[1,0,1]
	ds_load_2addr_b64 v[32:35], v46 offset0:1 offset1:2
	v_dual_mov_b32 v20, v36 :: v_dual_mov_b32 v21, v39
	s_wait_dscnt 0x0
	v_pk_mul_f32 v[40:41], v[32:33], v[38:39] op_sel:[0,1]
	s_delay_alu instid0(VALU_DEP_1) | instskip(SKIP_1) | instid1(VALU_DEP_1)
	v_pk_fma_f32 v[42:43], v[32:33], v[36:37], v[40:41] op_sel:[0,0,1] op_sel_hi:[1,1,0] neg_lo:[0,0,1] neg_hi:[0,0,1]
	v_pk_fma_f32 v[32:33], v[32:33], v[36:37], v[40:41] op_sel:[0,0,1] op_sel_hi:[1,0,0]
	v_mov_b32_e32 v43, v33
	v_pk_mul_f32 v[32:33], v[34:35], v[38:39] op_sel:[0,1]
	s_delay_alu instid0(VALU_DEP_1) | instskip(SKIP_1) | instid1(VALU_DEP_1)
	v_pk_fma_f32 v[40:41], v[34:35], v[36:37], v[32:33] op_sel:[0,0,1] op_sel_hi:[1,1,0] neg_lo:[0,0,1] neg_hi:[0,0,1]
	v_pk_fma_f32 v[32:33], v[34:35], v[36:37], v[32:33] op_sel:[0,0,1] op_sel_hi:[1,0,0]
	v_mov_b32_e32 v41, v33
	ds_load_2addr_b64 v[32:35], v46 offset0:3 offset1:4
	v_pk_add_f32 v[16:17], v[16:17], v[42:43] neg_lo:[0,1] neg_hi:[0,1]
	v_pk_add_f32 v[18:19], v[18:19], v[40:41] neg_lo:[0,1] neg_hi:[0,1]
	s_wait_dscnt 0x0
	v_pk_mul_f32 v[40:41], v[32:33], v[38:39] op_sel:[0,1]
	s_delay_alu instid0(VALU_DEP_1) | instskip(SKIP_2) | instid1(VALU_DEP_2)
	v_pk_fma_f32 v[42:43], v[32:33], v[36:37], v[40:41] op_sel:[0,0,1] op_sel_hi:[1,1,0] neg_lo:[0,0,1] neg_hi:[0,0,1]
	v_pk_fma_f32 v[32:33], v[32:33], v[36:37], v[40:41] op_sel:[0,0,1] op_sel_hi:[1,0,0]
	v_dual_mul_f32 v40, v35, v39 :: v_dual_mov_b32 v32, v35
	v_dual_mov_b32 v43, v33 :: v_dual_mov_b32 v33, v34
	s_delay_alu instid0(VALU_DEP_2) | instskip(SKIP_1) | instid1(VALU_DEP_3)
	v_pk_fma_f32 v[40:41], v[34:35], v[20:21], v[40:41] op_sel_hi:[1,1,0] neg_lo:[0,0,1] neg_hi:[0,0,1]
	v_mul_f32_e32 v34, v35, v36
	v_pk_add_f32 v[28:29], v[28:29], v[42:43] neg_lo:[0,1] neg_hi:[0,1]
	s_delay_alu instid0(VALU_DEP_2) | instskip(NEXT) | instid1(VALU_DEP_1)
	v_pk_fma_f32 v[32:33], v[32:33], v[20:21], v[34:35] op_sel_hi:[1,1,0]
	v_mov_b32_e32 v41, v33
	ds_load_2addr_b64 v[32:35], v46 offset0:5 offset1:6
	v_pk_add_f32 v[26:27], v[26:27], v[40:41] neg_lo:[0,1] neg_hi:[0,1]
	s_wait_dscnt 0x0
	v_pk_mul_f32 v[40:41], v[32:33], v[38:39] op_sel:[0,1]
	v_mul_f32_e32 v38, v35, v39
	s_delay_alu instid0(VALU_DEP_2) | instskip(SKIP_2) | instid1(VALU_DEP_4)
	v_pk_fma_f32 v[42:43], v[32:33], v[36:37], v[40:41] op_sel:[0,0,1] op_sel_hi:[1,1,0] neg_lo:[0,0,1] neg_hi:[0,0,1]
	v_pk_fma_f32 v[32:33], v[32:33], v[36:37], v[40:41] op_sel:[0,0,1] op_sel_hi:[1,0,0]
	v_mov_b32_e32 v32, v35
	v_pk_fma_f32 v[38:39], v[34:35], v[20:21], v[38:39] op_sel_hi:[1,1,0] neg_lo:[0,0,1] neg_hi:[0,0,1]
	s_delay_alu instid0(VALU_DEP_3) | instskip(SKIP_1) | instid1(VALU_DEP_2)
	v_dual_mov_b32 v43, v33 :: v_dual_mov_b32 v33, v34
	v_mul_f32_e32 v34, v35, v36
	v_pk_add_f32 v[24:25], v[24:25], v[42:43] neg_lo:[0,1] neg_hi:[0,1]
	s_delay_alu instid0(VALU_DEP_2) | instskip(NEXT) | instid1(VALU_DEP_1)
	v_pk_fma_f32 v[32:33], v[32:33], v[20:21], v[34:35] op_sel_hi:[1,1,0]
	v_mov_b32_e32 v39, v33
	s_delay_alu instid0(VALU_DEP_1)
	v_pk_add_f32 v[22:23], v[22:23], v[38:39] neg_lo:[0,1] neg_hi:[0,1]
.LBB13_10:
	s_or_b32 exec_lo, exec_lo, s2
	s_delay_alu instid0(SALU_CYCLE_1)
	s_mov_b32 s2, exec_lo
	s_wait_dscnt 0x0
	s_barrier_signal -1
	s_barrier_wait -1
	v_cmpx_eq_u32_e32 1, v44
	s_cbranch_execz .LBB13_17
; %bb.11:
	v_dual_mov_b32 v32, v18 :: v_dual_mov_b32 v33, v19
	v_dual_mov_b32 v34, v28 :: v_dual_mov_b32 v35, v29
	;; [unrolled: 1-line block ×4, first 2 shown]
	ds_store_b64 v45, v[16:17]
	ds_store_2addr_b64 v46, v[32:33], v[34:35] offset0:2 offset1:3
	ds_store_2addr_b64 v46, v[36:37], v[38:39] offset0:4 offset1:5
	ds_store_b64 v46, v[22:23] offset:48
	ds_load_b64 v[32:33], v45
	s_wait_dscnt 0x0
	v_cmp_neq_f32_e32 vcc_lo, 0, v32
	v_cmp_neq_f32_e64 s1, 0, v33
	s_or_b32 s1, vcc_lo, s1
	s_delay_alu instid0(SALU_CYCLE_1)
	s_and_b32 exec_lo, exec_lo, s1
	s_cbranch_execz .LBB13_17
; %bb.12:
	v_cmp_ngt_f32_e64 s1, |v32|, |v33|
                                        ; implicit-def: $vgpr34_vgpr35
	s_and_saveexec_b32 s4, s1
	s_delay_alu instid0(SALU_CYCLE_1)
	s_xor_b32 s1, exec_lo, s4
	s_cbranch_execz .LBB13_14
; %bb.13:
	v_div_scale_f32 v34, null, v33, v33, v32
	v_div_scale_f32 v37, vcc_lo, v32, v33, v32
	s_delay_alu instid0(VALU_DEP_2) | instskip(SKIP_1) | instid1(TRANS32_DEP_1)
	v_rcp_f32_e32 v35, v34
	v_nop
	v_fma_f32 v36, -v34, v35, 1.0
	s_delay_alu instid0(VALU_DEP_1) | instskip(NEXT) | instid1(VALU_DEP_1)
	v_fmac_f32_e32 v35, v36, v35
	v_mul_f32_e32 v36, v37, v35
	s_delay_alu instid0(VALU_DEP_1) | instskip(NEXT) | instid1(VALU_DEP_1)
	v_fma_f32 v38, -v34, v36, v37
	v_fmac_f32_e32 v36, v38, v35
	s_delay_alu instid0(VALU_DEP_1) | instskip(NEXT) | instid1(VALU_DEP_1)
	v_fma_f32 v34, -v34, v36, v37
	v_div_fmas_f32 v34, v34, v35, v36
	s_delay_alu instid0(VALU_DEP_1) | instskip(NEXT) | instid1(VALU_DEP_1)
	v_div_fixup_f32 v34, v34, v33, v32
	v_fmac_f32_e32 v33, v32, v34
	s_delay_alu instid0(VALU_DEP_1) | instskip(SKIP_1) | instid1(VALU_DEP_2)
	v_div_scale_f32 v32, null, v33, v33, 1.0
	v_div_scale_f32 v37, vcc_lo, 1.0, v33, 1.0
	v_rcp_f32_e32 v35, v32
	v_nop
	s_delay_alu instid0(TRANS32_DEP_1) | instskip(NEXT) | instid1(VALU_DEP_1)
	v_fma_f32 v36, -v32, v35, 1.0
	v_fmac_f32_e32 v35, v36, v35
	s_delay_alu instid0(VALU_DEP_1) | instskip(NEXT) | instid1(VALU_DEP_1)
	v_mul_f32_e32 v36, v37, v35
	v_fma_f32 v38, -v32, v36, v37
	s_delay_alu instid0(VALU_DEP_1) | instskip(NEXT) | instid1(VALU_DEP_1)
	v_fmac_f32_e32 v36, v38, v35
	v_fma_f32 v32, -v32, v36, v37
	s_delay_alu instid0(VALU_DEP_1) | instskip(NEXT) | instid1(VALU_DEP_1)
	v_div_fmas_f32 v32, v32, v35, v36
	v_div_fixup_f32 v32, v32, v33, 1.0
	s_delay_alu instid0(VALU_DEP_1)
	v_mul_f32_e32 v34, v34, v32
	v_xor_b32_e32 v35, 0x80000000, v32
                                        ; implicit-def: $vgpr32_vgpr33
.LBB13_14:
	s_and_not1_saveexec_b32 s1, s1
	s_cbranch_execz .LBB13_16
; %bb.15:
	v_div_scale_f32 v34, null, v32, v32, v33
	v_div_scale_f32 v37, vcc_lo, v33, v32, v33
	s_delay_alu instid0(VALU_DEP_2) | instskip(SKIP_1) | instid1(TRANS32_DEP_1)
	v_rcp_f32_e32 v35, v34
	v_nop
	v_fma_f32 v36, -v34, v35, 1.0
	s_delay_alu instid0(VALU_DEP_1) | instskip(NEXT) | instid1(VALU_DEP_1)
	v_fmac_f32_e32 v35, v36, v35
	v_mul_f32_e32 v36, v37, v35
	s_delay_alu instid0(VALU_DEP_1) | instskip(NEXT) | instid1(VALU_DEP_1)
	v_fma_f32 v38, -v34, v36, v37
	v_fmac_f32_e32 v36, v38, v35
	s_delay_alu instid0(VALU_DEP_1) | instskip(NEXT) | instid1(VALU_DEP_1)
	v_fma_f32 v34, -v34, v36, v37
	v_div_fmas_f32 v34, v34, v35, v36
	s_delay_alu instid0(VALU_DEP_1) | instskip(NEXT) | instid1(VALU_DEP_1)
	v_div_fixup_f32 v35, v34, v32, v33
	v_fmac_f32_e32 v32, v33, v35
	s_delay_alu instid0(VALU_DEP_1) | instskip(NEXT) | instid1(VALU_DEP_1)
	v_div_scale_f32 v33, null, v32, v32, 1.0
	v_rcp_f32_e32 v34, v33
	v_nop
	s_delay_alu instid0(TRANS32_DEP_1) | instskip(NEXT) | instid1(VALU_DEP_1)
	v_fma_f32 v36, -v33, v34, 1.0
	v_fmac_f32_e32 v34, v36, v34
	v_div_scale_f32 v36, vcc_lo, 1.0, v32, 1.0
	s_delay_alu instid0(VALU_DEP_1) | instskip(NEXT) | instid1(VALU_DEP_1)
	v_mul_f32_e32 v37, v36, v34
	v_fma_f32 v38, -v33, v37, v36
	s_delay_alu instid0(VALU_DEP_1) | instskip(NEXT) | instid1(VALU_DEP_1)
	v_fmac_f32_e32 v37, v38, v34
	v_fma_f32 v33, -v33, v37, v36
	s_delay_alu instid0(VALU_DEP_1) | instskip(NEXT) | instid1(VALU_DEP_1)
	v_div_fmas_f32 v33, v33, v34, v37
	v_div_fixup_f32 v34, v33, v32, 1.0
	s_delay_alu instid0(VALU_DEP_1)
	v_mul_f32_e64 v35, v35, -v34
.LBB13_16:
	s_or_b32 exec_lo, exec_lo, s1
	ds_store_b64 v45, v[34:35]
.LBB13_17:
	s_or_b32 exec_lo, exec_lo, s2
	s_wait_dscnt 0x0
	s_barrier_signal -1
	s_barrier_wait -1
	ds_load_b64 v[32:33], v45
	s_mov_b32 s1, exec_lo
	v_cmpx_lt_u32_e32 1, v44
	s_cbranch_execz .LBB13_19
; %bb.18:
	ds_load_2addr_b64 v[34:37], v46 offset0:2 offset1:3
	ds_load_2addr_b64 v[38:41], v46 offset0:4 offset1:5
	ds_load_b64 v[42:43], v46 offset:48
	s_wait_dscnt 0x3
	v_pk_mul_f32 v[48:49], v[32:33], v[16:17] op_sel:[1,1] op_sel_hi:[0,1]
	s_delay_alu instid0(VALU_DEP_1) | instskip(SKIP_1) | instid1(VALU_DEP_1)
	v_pk_fma_f32 v[50:51], v[32:33], v[16:17], v[48:49] op_sel_hi:[1,0,1] neg_lo:[0,0,1] neg_hi:[0,0,1]
	v_pk_fma_f32 v[48:49], v[32:33], v[16:17], v[48:49] op_sel_hi:[1,0,1]
	v_dual_mov_b32 v16, v50 :: v_dual_mov_b32 v17, v49
	s_wait_dscnt 0x2
	s_delay_alu instid0(VALU_DEP_2)
	v_pk_mul_f32 v[52:53], v[34:35], v[48:49] op_sel:[0,1]
	v_pk_mul_f32 v[54:55], v[36:37], v[48:49] op_sel:[0,1]
	s_wait_dscnt 0x1
	v_pk_mul_f32 v[56:57], v[38:39], v[48:49] op_sel:[0,1]
	v_dual_mov_b32 v58, v41 :: v_dual_mov_b32 v59, v40
	v_dual_mul_f32 v60, v41, v49 :: v_dual_mul_f32 v62, v41, v50
	s_wait_dscnt 0x0
	v_pk_mul_f32 v[48:49], v[42:43], v[48:49] op_sel:[0,1]
	v_pk_fma_f32 v[64:65], v[34:35], v[50:51], v[52:53] op_sel:[0,0,1] op_sel_hi:[1,1,0] neg_lo:[0,0,1] neg_hi:[0,0,1]
	v_pk_fma_f32 v[34:35], v[34:35], v[50:51], v[52:53] op_sel:[0,0,1] op_sel_hi:[1,0,0]
	v_pk_fma_f32 v[52:53], v[36:37], v[50:51], v[54:55] op_sel:[0,0,1] op_sel_hi:[1,1,0] neg_lo:[0,0,1] neg_hi:[0,0,1]
	v_pk_fma_f32 v[36:37], v[36:37], v[50:51], v[54:55] op_sel:[0,0,1] op_sel_hi:[1,0,0]
	;; [unrolled: 2-line block ×3, first 2 shown]
	v_pk_fma_f32 v[56:57], v[58:59], v[16:17], v[62:63] op_sel_hi:[1,1,0]
	v_pk_fma_f32 v[58:59], v[42:43], v[50:51], v[48:49] op_sel:[0,0,1] op_sel_hi:[1,1,0] neg_lo:[0,0,1] neg_hi:[0,0,1]
	v_pk_fma_f32 v[42:43], v[42:43], v[50:51], v[48:49] op_sel:[0,0,1] op_sel_hi:[1,0,0]
	v_pk_fma_f32 v[40:41], v[40:41], v[16:17], v[60:61] op_sel_hi:[1,1,0] neg_lo:[0,0,1] neg_hi:[0,0,1]
	v_dual_mov_b32 v65, v35 :: v_dual_mov_b32 v53, v37
	v_dual_mov_b32 v55, v39 :: v_dual_mov_b32 v41, v57
	s_delay_alu instid0(VALU_DEP_4) | instskip(NEXT) | instid1(VALU_DEP_3)
	v_mov_b32_e32 v59, v43
	v_pk_add_f32 v[18:19], v[18:19], v[64:65] neg_lo:[0,1] neg_hi:[0,1]
	s_delay_alu instid0(VALU_DEP_4) | instskip(NEXT) | instid1(VALU_DEP_4)
	v_pk_add_f32 v[28:29], v[28:29], v[52:53] neg_lo:[0,1] neg_hi:[0,1]
	v_pk_add_f32 v[26:27], v[26:27], v[54:55] neg_lo:[0,1] neg_hi:[0,1]
	;; [unrolled: 1-line block ×4, first 2 shown]
.LBB13_19:
	s_or_b32 exec_lo, exec_lo, s1
	s_delay_alu instid0(SALU_CYCLE_1)
	s_mov_b32 s2, exec_lo
	s_wait_dscnt 0x0
	s_barrier_signal -1
	s_barrier_wait -1
	v_cmpx_eq_u32_e32 2, v44
	s_cbranch_execz .LBB13_26
; %bb.20:
	ds_store_b64 v45, v[18:19]
	ds_store_2addr_b64 v46, v[28:29], v[26:27] offset0:3 offset1:4
	ds_store_2addr_b64 v46, v[24:25], v[22:23] offset0:5 offset1:6
	ds_load_b64 v[34:35], v45
	s_wait_dscnt 0x0
	v_cmp_neq_f32_e32 vcc_lo, 0, v34
	v_cmp_neq_f32_e64 s1, 0, v35
	s_or_b32 s1, vcc_lo, s1
	s_delay_alu instid0(SALU_CYCLE_1)
	s_and_b32 exec_lo, exec_lo, s1
	s_cbranch_execz .LBB13_26
; %bb.21:
	v_cmp_ngt_f32_e64 s1, |v34|, |v35|
                                        ; implicit-def: $vgpr36_vgpr37
	s_and_saveexec_b32 s4, s1
	s_delay_alu instid0(SALU_CYCLE_1)
	s_xor_b32 s1, exec_lo, s4
	s_cbranch_execz .LBB13_23
; %bb.22:
	v_div_scale_f32 v36, null, v35, v35, v34
	v_div_scale_f32 v39, vcc_lo, v34, v35, v34
	s_delay_alu instid0(VALU_DEP_2) | instskip(SKIP_1) | instid1(TRANS32_DEP_1)
	v_rcp_f32_e32 v37, v36
	v_nop
	v_fma_f32 v38, -v36, v37, 1.0
	s_delay_alu instid0(VALU_DEP_1) | instskip(NEXT) | instid1(VALU_DEP_1)
	v_fmac_f32_e32 v37, v38, v37
	v_mul_f32_e32 v38, v39, v37
	s_delay_alu instid0(VALU_DEP_1) | instskip(NEXT) | instid1(VALU_DEP_1)
	v_fma_f32 v40, -v36, v38, v39
	v_fmac_f32_e32 v38, v40, v37
	s_delay_alu instid0(VALU_DEP_1) | instskip(NEXT) | instid1(VALU_DEP_1)
	v_fma_f32 v36, -v36, v38, v39
	v_div_fmas_f32 v36, v36, v37, v38
	s_delay_alu instid0(VALU_DEP_1) | instskip(NEXT) | instid1(VALU_DEP_1)
	v_div_fixup_f32 v36, v36, v35, v34
	v_fmac_f32_e32 v35, v34, v36
	s_delay_alu instid0(VALU_DEP_1) | instskip(SKIP_1) | instid1(VALU_DEP_2)
	v_div_scale_f32 v34, null, v35, v35, 1.0
	v_div_scale_f32 v39, vcc_lo, 1.0, v35, 1.0
	v_rcp_f32_e32 v37, v34
	v_nop
	s_delay_alu instid0(TRANS32_DEP_1) | instskip(NEXT) | instid1(VALU_DEP_1)
	v_fma_f32 v38, -v34, v37, 1.0
	v_fmac_f32_e32 v37, v38, v37
	s_delay_alu instid0(VALU_DEP_1) | instskip(NEXT) | instid1(VALU_DEP_1)
	v_mul_f32_e32 v38, v39, v37
	v_fma_f32 v40, -v34, v38, v39
	s_delay_alu instid0(VALU_DEP_1) | instskip(NEXT) | instid1(VALU_DEP_1)
	v_fmac_f32_e32 v38, v40, v37
	v_fma_f32 v34, -v34, v38, v39
	s_delay_alu instid0(VALU_DEP_1) | instskip(NEXT) | instid1(VALU_DEP_1)
	v_div_fmas_f32 v34, v34, v37, v38
	v_div_fixup_f32 v34, v34, v35, 1.0
	s_delay_alu instid0(VALU_DEP_1)
	v_mul_f32_e32 v36, v36, v34
	v_xor_b32_e32 v37, 0x80000000, v34
                                        ; implicit-def: $vgpr34_vgpr35
.LBB13_23:
	s_and_not1_saveexec_b32 s1, s1
	s_cbranch_execz .LBB13_25
; %bb.24:
	v_div_scale_f32 v36, null, v34, v34, v35
	v_div_scale_f32 v39, vcc_lo, v35, v34, v35
	s_delay_alu instid0(VALU_DEP_2) | instskip(SKIP_1) | instid1(TRANS32_DEP_1)
	v_rcp_f32_e32 v37, v36
	v_nop
	v_fma_f32 v38, -v36, v37, 1.0
	s_delay_alu instid0(VALU_DEP_1) | instskip(NEXT) | instid1(VALU_DEP_1)
	v_fmac_f32_e32 v37, v38, v37
	v_mul_f32_e32 v38, v39, v37
	s_delay_alu instid0(VALU_DEP_1) | instskip(NEXT) | instid1(VALU_DEP_1)
	v_fma_f32 v40, -v36, v38, v39
	v_fmac_f32_e32 v38, v40, v37
	s_delay_alu instid0(VALU_DEP_1) | instskip(NEXT) | instid1(VALU_DEP_1)
	v_fma_f32 v36, -v36, v38, v39
	v_div_fmas_f32 v36, v36, v37, v38
	s_delay_alu instid0(VALU_DEP_1) | instskip(NEXT) | instid1(VALU_DEP_1)
	v_div_fixup_f32 v37, v36, v34, v35
	v_fmac_f32_e32 v34, v35, v37
	s_delay_alu instid0(VALU_DEP_1) | instskip(NEXT) | instid1(VALU_DEP_1)
	v_div_scale_f32 v35, null, v34, v34, 1.0
	v_rcp_f32_e32 v36, v35
	v_nop
	s_delay_alu instid0(TRANS32_DEP_1) | instskip(NEXT) | instid1(VALU_DEP_1)
	v_fma_f32 v38, -v35, v36, 1.0
	v_fmac_f32_e32 v36, v38, v36
	v_div_scale_f32 v38, vcc_lo, 1.0, v34, 1.0
	s_delay_alu instid0(VALU_DEP_1) | instskip(NEXT) | instid1(VALU_DEP_1)
	v_mul_f32_e32 v39, v38, v36
	v_fma_f32 v40, -v35, v39, v38
	s_delay_alu instid0(VALU_DEP_1) | instskip(NEXT) | instid1(VALU_DEP_1)
	v_fmac_f32_e32 v39, v40, v36
	v_fma_f32 v35, -v35, v39, v38
	s_delay_alu instid0(VALU_DEP_1) | instskip(NEXT) | instid1(VALU_DEP_1)
	v_div_fmas_f32 v35, v35, v36, v39
	v_div_fixup_f32 v36, v35, v34, 1.0
	s_delay_alu instid0(VALU_DEP_1)
	v_mul_f32_e64 v37, v37, -v36
.LBB13_25:
	s_or_b32 exec_lo, exec_lo, s1
	ds_store_b64 v45, v[36:37]
.LBB13_26:
	s_or_b32 exec_lo, exec_lo, s2
	s_wait_dscnt 0x0
	s_barrier_signal -1
	s_barrier_wait -1
	ds_load_b64 v[34:35], v45
	s_mov_b32 s1, exec_lo
	v_cmpx_lt_u32_e32 2, v44
	s_cbranch_execz .LBB13_28
; %bb.27:
	ds_load_2addr_b64 v[36:39], v46 offset0:3 offset1:4
	ds_load_2addr_b64 v[40:43], v46 offset0:5 offset1:6
	s_wait_dscnt 0x2
	v_pk_mul_f32 v[48:49], v[34:35], v[18:19] op_sel:[1,1] op_sel_hi:[0,1]
	s_delay_alu instid0(VALU_DEP_1) | instskip(SKIP_1) | instid1(VALU_DEP_1)
	v_pk_fma_f32 v[50:51], v[34:35], v[18:19], v[48:49] op_sel_hi:[1,0,1] neg_lo:[0,0,1] neg_hi:[0,0,1]
	v_pk_fma_f32 v[48:49], v[34:35], v[18:19], v[48:49] op_sel_hi:[1,0,1]
	v_dual_mov_b32 v18, v50 :: v_dual_mov_b32 v19, v49
	s_wait_dscnt 0x1
	s_delay_alu instid0(VALU_DEP_2)
	v_pk_mul_f32 v[52:53], v[36:37], v[48:49] op_sel:[0,1]
	s_wait_dscnt 0x0
	v_mov_b32_e32 v54, v43
	v_pk_mul_f32 v[56:57], v[38:39], v[48:49] op_sel:[0,1]
	v_pk_mul_f32 v[58:59], v[40:41], v[48:49] op_sel:[0,1]
	v_pk_fma_f32 v[60:61], v[36:37], v[50:51], v[52:53] op_sel:[0,0,1] op_sel_hi:[1,1,0] neg_lo:[0,0,1] neg_hi:[0,0,1]
	v_pk_fma_f32 v[36:37], v[36:37], v[50:51], v[52:53] op_sel:[0,0,1] op_sel_hi:[1,0,0]
	s_delay_alu instid0(VALU_DEP_1) | instskip(NEXT) | instid1(VALU_DEP_1)
	v_dual_mov_b32 v55, v42 :: v_dual_mov_b32 v61, v37
	v_pk_mul_f32 v[52:53], v[54:55], v[48:49] op_sel:[0,1]
	v_pk_fma_f32 v[54:55], v[38:39], v[50:51], v[56:57] op_sel:[0,0,1] op_sel_hi:[1,0,0]
	v_pk_fma_f32 v[38:39], v[38:39], v[50:51], v[56:57] op_sel:[0,0,1] op_sel_hi:[1,1,0] neg_lo:[0,0,1] neg_hi:[0,0,1]
	v_pk_fma_f32 v[56:57], v[40:41], v[50:51], v[58:59] op_sel:[0,0,1] op_sel_hi:[1,0,0]
	v_pk_fma_f32 v[40:41], v[40:41], v[50:51], v[58:59] op_sel:[0,0,1] op_sel_hi:[1,1,0] neg_lo:[0,0,1] neg_hi:[0,0,1]
	v_pk_fma_f32 v[36:37], v[42:43], v[50:51], v[52:53] op_sel_hi:[1,0,1]
	v_pk_fma_f32 v[42:43], v[42:43], v[50:51], v[52:53] neg_lo:[0,0,1] neg_hi:[0,0,1]
	s_delay_alu instid0(VALU_DEP_4) | instskip(SKIP_1) | instid1(VALU_DEP_4)
	v_dual_mov_b32 v39, v55 :: v_dual_mov_b32 v41, v57
	v_pk_add_f32 v[28:29], v[28:29], v[60:61] neg_lo:[0,1] neg_hi:[0,1]
	v_mov_b32_e32 v43, v37
	s_delay_alu instid0(VALU_DEP_3) | instskip(NEXT) | instid1(VALU_DEP_4)
	v_pk_add_f32 v[26:27], v[26:27], v[38:39] neg_lo:[0,1] neg_hi:[0,1]
	v_pk_add_f32 v[24:25], v[24:25], v[40:41] neg_lo:[0,1] neg_hi:[0,1]
	s_delay_alu instid0(VALU_DEP_3)
	v_pk_add_f32 v[22:23], v[22:23], v[42:43] neg_lo:[0,1] neg_hi:[0,1]
.LBB13_28:
	s_or_b32 exec_lo, exec_lo, s1
	s_delay_alu instid0(SALU_CYCLE_1)
	s_mov_b32 s2, exec_lo
	s_wait_dscnt 0x0
	s_barrier_signal -1
	s_barrier_wait -1
	v_cmpx_eq_u32_e32 3, v44
	s_cbranch_execz .LBB13_35
; %bb.29:
	v_dual_mov_b32 v36, v26 :: v_dual_mov_b32 v37, v27
	v_dual_mov_b32 v38, v24 :: v_dual_mov_b32 v39, v25
	ds_store_b64 v45, v[28:29]
	ds_store_2addr_b64 v46, v[36:37], v[38:39] offset0:4 offset1:5
	ds_store_b64 v46, v[22:23] offset:48
	ds_load_b64 v[36:37], v45
	s_wait_dscnt 0x0
	v_cmp_neq_f32_e32 vcc_lo, 0, v36
	v_cmp_neq_f32_e64 s1, 0, v37
	s_or_b32 s1, vcc_lo, s1
	s_delay_alu instid0(SALU_CYCLE_1)
	s_and_b32 exec_lo, exec_lo, s1
	s_cbranch_execz .LBB13_35
; %bb.30:
	v_cmp_ngt_f32_e64 s1, |v36|, |v37|
                                        ; implicit-def: $vgpr38_vgpr39
	s_and_saveexec_b32 s4, s1
	s_delay_alu instid0(SALU_CYCLE_1)
	s_xor_b32 s1, exec_lo, s4
	s_cbranch_execz .LBB13_32
; %bb.31:
	v_div_scale_f32 v38, null, v37, v37, v36
	v_div_scale_f32 v41, vcc_lo, v36, v37, v36
	s_delay_alu instid0(VALU_DEP_2) | instskip(SKIP_1) | instid1(TRANS32_DEP_1)
	v_rcp_f32_e32 v39, v38
	v_nop
	v_fma_f32 v40, -v38, v39, 1.0
	s_delay_alu instid0(VALU_DEP_1) | instskip(NEXT) | instid1(VALU_DEP_1)
	v_fmac_f32_e32 v39, v40, v39
	v_mul_f32_e32 v40, v41, v39
	s_delay_alu instid0(VALU_DEP_1) | instskip(NEXT) | instid1(VALU_DEP_1)
	v_fma_f32 v42, -v38, v40, v41
	v_fmac_f32_e32 v40, v42, v39
	s_delay_alu instid0(VALU_DEP_1) | instskip(NEXT) | instid1(VALU_DEP_1)
	v_fma_f32 v38, -v38, v40, v41
	v_div_fmas_f32 v38, v38, v39, v40
	s_delay_alu instid0(VALU_DEP_1) | instskip(NEXT) | instid1(VALU_DEP_1)
	v_div_fixup_f32 v38, v38, v37, v36
	v_fmac_f32_e32 v37, v36, v38
	s_delay_alu instid0(VALU_DEP_1) | instskip(SKIP_1) | instid1(VALU_DEP_2)
	v_div_scale_f32 v36, null, v37, v37, 1.0
	v_div_scale_f32 v41, vcc_lo, 1.0, v37, 1.0
	v_rcp_f32_e32 v39, v36
	v_nop
	s_delay_alu instid0(TRANS32_DEP_1) | instskip(NEXT) | instid1(VALU_DEP_1)
	v_fma_f32 v40, -v36, v39, 1.0
	v_fmac_f32_e32 v39, v40, v39
	s_delay_alu instid0(VALU_DEP_1) | instskip(NEXT) | instid1(VALU_DEP_1)
	v_mul_f32_e32 v40, v41, v39
	v_fma_f32 v42, -v36, v40, v41
	s_delay_alu instid0(VALU_DEP_1) | instskip(NEXT) | instid1(VALU_DEP_1)
	v_fmac_f32_e32 v40, v42, v39
	v_fma_f32 v36, -v36, v40, v41
	s_delay_alu instid0(VALU_DEP_1) | instskip(NEXT) | instid1(VALU_DEP_1)
	v_div_fmas_f32 v36, v36, v39, v40
	v_div_fixup_f32 v36, v36, v37, 1.0
	s_delay_alu instid0(VALU_DEP_1)
	v_mul_f32_e32 v38, v38, v36
	v_xor_b32_e32 v39, 0x80000000, v36
                                        ; implicit-def: $vgpr36_vgpr37
.LBB13_32:
	s_and_not1_saveexec_b32 s1, s1
	s_cbranch_execz .LBB13_34
; %bb.33:
	v_div_scale_f32 v38, null, v36, v36, v37
	v_div_scale_f32 v41, vcc_lo, v37, v36, v37
	s_delay_alu instid0(VALU_DEP_2) | instskip(SKIP_1) | instid1(TRANS32_DEP_1)
	v_rcp_f32_e32 v39, v38
	v_nop
	v_fma_f32 v40, -v38, v39, 1.0
	s_delay_alu instid0(VALU_DEP_1) | instskip(NEXT) | instid1(VALU_DEP_1)
	v_fmac_f32_e32 v39, v40, v39
	v_mul_f32_e32 v40, v41, v39
	s_delay_alu instid0(VALU_DEP_1) | instskip(NEXT) | instid1(VALU_DEP_1)
	v_fma_f32 v42, -v38, v40, v41
	v_fmac_f32_e32 v40, v42, v39
	s_delay_alu instid0(VALU_DEP_1) | instskip(NEXT) | instid1(VALU_DEP_1)
	v_fma_f32 v38, -v38, v40, v41
	v_div_fmas_f32 v38, v38, v39, v40
	s_delay_alu instid0(VALU_DEP_1) | instskip(NEXT) | instid1(VALU_DEP_1)
	v_div_fixup_f32 v39, v38, v36, v37
	v_fmac_f32_e32 v36, v37, v39
	s_delay_alu instid0(VALU_DEP_1) | instskip(NEXT) | instid1(VALU_DEP_1)
	v_div_scale_f32 v37, null, v36, v36, 1.0
	v_rcp_f32_e32 v38, v37
	v_nop
	s_delay_alu instid0(TRANS32_DEP_1) | instskip(NEXT) | instid1(VALU_DEP_1)
	v_fma_f32 v40, -v37, v38, 1.0
	v_fmac_f32_e32 v38, v40, v38
	v_div_scale_f32 v40, vcc_lo, 1.0, v36, 1.0
	s_delay_alu instid0(VALU_DEP_1) | instskip(NEXT) | instid1(VALU_DEP_1)
	v_mul_f32_e32 v41, v40, v38
	v_fma_f32 v42, -v37, v41, v40
	s_delay_alu instid0(VALU_DEP_1) | instskip(NEXT) | instid1(VALU_DEP_1)
	v_fmac_f32_e32 v41, v42, v38
	v_fma_f32 v37, -v37, v41, v40
	s_delay_alu instid0(VALU_DEP_1) | instskip(NEXT) | instid1(VALU_DEP_1)
	v_div_fmas_f32 v37, v37, v38, v41
	v_div_fixup_f32 v38, v37, v36, 1.0
	s_delay_alu instid0(VALU_DEP_1)
	v_mul_f32_e64 v39, v39, -v38
.LBB13_34:
	s_or_b32 exec_lo, exec_lo, s1
	ds_store_b64 v45, v[38:39]
.LBB13_35:
	s_or_b32 exec_lo, exec_lo, s2
	s_wait_dscnt 0x0
	s_barrier_signal -1
	s_barrier_wait -1
	ds_load_b64 v[36:37], v45
	s_mov_b32 s1, exec_lo
	v_cmpx_lt_u32_e32 3, v44
	s_cbranch_execz .LBB13_37
; %bb.36:
	ds_load_2addr_b64 v[38:41], v46 offset0:4 offset1:5
	ds_load_b64 v[42:43], v46 offset:48
	s_wait_dscnt 0x2
	v_pk_mul_f32 v[48:49], v[36:37], v[28:29] op_sel:[1,1] op_sel_hi:[0,1]
	s_delay_alu instid0(VALU_DEP_1) | instskip(SKIP_2) | instid1(VALU_DEP_2)
	v_pk_fma_f32 v[50:51], v[36:37], v[28:29], v[48:49] op_sel_hi:[1,0,1]
	v_pk_fma_f32 v[28:29], v[36:37], v[28:29], v[48:49] op_sel_hi:[1,0,1] neg_lo:[0,0,1] neg_hi:[0,0,1]
	s_wait_dscnt 0x1
	v_pk_mul_f32 v[48:49], v[38:39], v[50:51] op_sel:[0,1]
	v_pk_mul_f32 v[52:53], v[40:41], v[50:51] op_sel:[0,1]
	s_wait_dscnt 0x0
	v_pk_mul_f32 v[54:55], v[42:43], v[50:51] op_sel:[1,1] op_sel_hi:[0,1]
	s_delay_alu instid0(VALU_DEP_3) | instskip(SKIP_2) | instid1(VALU_DEP_4)
	v_pk_fma_f32 v[56:57], v[38:39], v[28:29], v[48:49] op_sel:[0,0,1] op_sel_hi:[1,1,0] neg_lo:[0,0,1] neg_hi:[0,0,1]
	v_pk_fma_f32 v[38:39], v[38:39], v[28:29], v[48:49] op_sel:[0,0,1] op_sel_hi:[1,0,0]
	v_pk_fma_f32 v[48:49], v[40:41], v[28:29], v[52:53] op_sel:[0,0,1] op_sel_hi:[1,0,0]
	v_pk_fma_f32 v[58:59], v[42:43], v[28:29], v[54:55] op_sel_hi:[1,0,1]
	v_pk_fma_f32 v[40:41], v[40:41], v[28:29], v[52:53] op_sel:[0,0,1] op_sel_hi:[1,1,0] neg_lo:[0,0,1] neg_hi:[0,0,1]
	v_pk_fma_f32 v[42:43], v[42:43], v[28:29], v[54:55] neg_lo:[0,0,1] neg_hi:[0,0,1]
	s_delay_alu instid0(VALU_DEP_4) | instskip(NEXT) | instid1(VALU_DEP_4)
	v_dual_mov_b32 v57, v39 :: v_dual_mov_b32 v41, v49
	v_dual_mov_b32 v43, v59 :: v_dual_mov_b32 v29, v51
	s_delay_alu instid0(VALU_DEP_2) | instskip(NEXT) | instid1(VALU_DEP_3)
	v_pk_add_f32 v[26:27], v[26:27], v[56:57] neg_lo:[0,1] neg_hi:[0,1]
	v_pk_add_f32 v[24:25], v[24:25], v[40:41] neg_lo:[0,1] neg_hi:[0,1]
	s_delay_alu instid0(VALU_DEP_3)
	v_pk_add_f32 v[22:23], v[22:23], v[42:43] neg_lo:[0,1] neg_hi:[0,1]
.LBB13_37:
	s_or_b32 exec_lo, exec_lo, s1
	s_delay_alu instid0(SALU_CYCLE_1)
	s_mov_b32 s2, exec_lo
	s_wait_dscnt 0x0
	s_barrier_signal -1
	s_barrier_wait -1
	v_cmpx_eq_u32_e32 4, v44
	s_cbranch_execz .LBB13_44
; %bb.38:
	ds_store_b64 v45, v[26:27]
	ds_store_2addr_b64 v46, v[24:25], v[22:23] offset0:5 offset1:6
	ds_load_b64 v[38:39], v45
	s_wait_dscnt 0x0
	v_cmp_neq_f32_e32 vcc_lo, 0, v38
	v_cmp_neq_f32_e64 s1, 0, v39
	s_or_b32 s1, vcc_lo, s1
	s_delay_alu instid0(SALU_CYCLE_1)
	s_and_b32 exec_lo, exec_lo, s1
	s_cbranch_execz .LBB13_44
; %bb.39:
	v_cmp_ngt_f32_e64 s1, |v38|, |v39|
                                        ; implicit-def: $vgpr40_vgpr41
	s_and_saveexec_b32 s4, s1
	s_delay_alu instid0(SALU_CYCLE_1)
	s_xor_b32 s1, exec_lo, s4
	s_cbranch_execz .LBB13_41
; %bb.40:
	v_div_scale_f32 v40, null, v39, v39, v38
	v_div_scale_f32 v43, vcc_lo, v38, v39, v38
	s_delay_alu instid0(VALU_DEP_2) | instskip(SKIP_1) | instid1(TRANS32_DEP_1)
	v_rcp_f32_e32 v41, v40
	v_nop
	v_fma_f32 v42, -v40, v41, 1.0
	s_delay_alu instid0(VALU_DEP_1) | instskip(NEXT) | instid1(VALU_DEP_1)
	v_fmac_f32_e32 v41, v42, v41
	v_mul_f32_e32 v42, v43, v41
	s_delay_alu instid0(VALU_DEP_1) | instskip(NEXT) | instid1(VALU_DEP_1)
	v_fma_f32 v47, -v40, v42, v43
	v_fmac_f32_e32 v42, v47, v41
	s_delay_alu instid0(VALU_DEP_1) | instskip(NEXT) | instid1(VALU_DEP_1)
	v_fma_f32 v40, -v40, v42, v43
	v_div_fmas_f32 v40, v40, v41, v42
	s_delay_alu instid0(VALU_DEP_1) | instskip(NEXT) | instid1(VALU_DEP_1)
	v_div_fixup_f32 v40, v40, v39, v38
	v_fmac_f32_e32 v39, v38, v40
	s_delay_alu instid0(VALU_DEP_1) | instskip(SKIP_1) | instid1(VALU_DEP_2)
	v_div_scale_f32 v38, null, v39, v39, 1.0
	v_div_scale_f32 v43, vcc_lo, 1.0, v39, 1.0
	v_rcp_f32_e32 v41, v38
	v_nop
	s_delay_alu instid0(TRANS32_DEP_1) | instskip(NEXT) | instid1(VALU_DEP_1)
	v_fma_f32 v42, -v38, v41, 1.0
	v_fmac_f32_e32 v41, v42, v41
	s_delay_alu instid0(VALU_DEP_1) | instskip(NEXT) | instid1(VALU_DEP_1)
	v_mul_f32_e32 v42, v43, v41
	v_fma_f32 v47, -v38, v42, v43
	s_delay_alu instid0(VALU_DEP_1) | instskip(NEXT) | instid1(VALU_DEP_1)
	v_fmac_f32_e32 v42, v47, v41
	v_fma_f32 v38, -v38, v42, v43
	s_delay_alu instid0(VALU_DEP_1) | instskip(NEXT) | instid1(VALU_DEP_1)
	v_div_fmas_f32 v38, v38, v41, v42
	v_div_fixup_f32 v38, v38, v39, 1.0
	s_delay_alu instid0(VALU_DEP_1)
	v_mul_f32_e32 v40, v40, v38
	v_xor_b32_e32 v41, 0x80000000, v38
                                        ; implicit-def: $vgpr38_vgpr39
.LBB13_41:
	s_and_not1_saveexec_b32 s1, s1
	s_cbranch_execz .LBB13_43
; %bb.42:
	v_div_scale_f32 v40, null, v38, v38, v39
	v_div_scale_f32 v43, vcc_lo, v39, v38, v39
	s_delay_alu instid0(VALU_DEP_2) | instskip(SKIP_1) | instid1(TRANS32_DEP_1)
	v_rcp_f32_e32 v41, v40
	v_nop
	v_fma_f32 v42, -v40, v41, 1.0
	s_delay_alu instid0(VALU_DEP_1) | instskip(NEXT) | instid1(VALU_DEP_1)
	v_fmac_f32_e32 v41, v42, v41
	v_mul_f32_e32 v42, v43, v41
	s_delay_alu instid0(VALU_DEP_1) | instskip(NEXT) | instid1(VALU_DEP_1)
	v_fma_f32 v47, -v40, v42, v43
	v_fmac_f32_e32 v42, v47, v41
	s_delay_alu instid0(VALU_DEP_1) | instskip(NEXT) | instid1(VALU_DEP_1)
	v_fma_f32 v40, -v40, v42, v43
	v_div_fmas_f32 v40, v40, v41, v42
	s_delay_alu instid0(VALU_DEP_1) | instskip(NEXT) | instid1(VALU_DEP_1)
	v_div_fixup_f32 v41, v40, v38, v39
	v_fmac_f32_e32 v38, v39, v41
	s_delay_alu instid0(VALU_DEP_1) | instskip(NEXT) | instid1(VALU_DEP_1)
	v_div_scale_f32 v39, null, v38, v38, 1.0
	v_rcp_f32_e32 v40, v39
	v_nop
	s_delay_alu instid0(TRANS32_DEP_1) | instskip(NEXT) | instid1(VALU_DEP_1)
	v_fma_f32 v42, -v39, v40, 1.0
	v_fmac_f32_e32 v40, v42, v40
	v_div_scale_f32 v42, vcc_lo, 1.0, v38, 1.0
	s_delay_alu instid0(VALU_DEP_1) | instskip(NEXT) | instid1(VALU_DEP_1)
	v_mul_f32_e32 v43, v42, v40
	v_fma_f32 v47, -v39, v43, v42
	s_delay_alu instid0(VALU_DEP_1) | instskip(NEXT) | instid1(VALU_DEP_1)
	v_fmac_f32_e32 v43, v47, v40
	v_fma_f32 v39, -v39, v43, v42
	s_delay_alu instid0(VALU_DEP_1) | instskip(NEXT) | instid1(VALU_DEP_1)
	v_div_fmas_f32 v39, v39, v40, v43
	v_div_fixup_f32 v40, v39, v38, 1.0
	s_delay_alu instid0(VALU_DEP_1)
	v_mul_f32_e64 v41, v41, -v40
.LBB13_43:
	s_or_b32 exec_lo, exec_lo, s1
	ds_store_b64 v45, v[40:41]
.LBB13_44:
	s_or_b32 exec_lo, exec_lo, s2
	s_wait_dscnt 0x0
	s_barrier_signal -1
	s_barrier_wait -1
	ds_load_b64 v[38:39], v45
	s_mov_b32 s1, exec_lo
	v_cmpx_lt_u32_e32 4, v44
	s_cbranch_execz .LBB13_46
; %bb.45:
	ds_load_2addr_b64 v[40:43], v46 offset0:5 offset1:6
	s_wait_dscnt 0x1
	v_pk_mul_f32 v[48:49], v[38:39], v[26:27] op_sel:[1,1] op_sel_hi:[0,1]
	s_delay_alu instid0(VALU_DEP_1) | instskip(SKIP_3) | instid1(VALU_DEP_3)
	v_pk_fma_f32 v[50:51], v[38:39], v[26:27], v[48:49] op_sel_hi:[1,0,1]
	v_pk_fma_f32 v[26:27], v[38:39], v[26:27], v[48:49] op_sel_hi:[1,0,1] neg_lo:[0,0,1] neg_hi:[0,0,1]
	s_wait_dscnt 0x0
	v_dual_mov_b32 v52, v43 :: v_dual_mov_b32 v53, v42
	v_pk_mul_f32 v[48:49], v[40:41], v[50:51] op_sel:[0,1]
	s_delay_alu instid0(VALU_DEP_2) | instskip(NEXT) | instid1(VALU_DEP_2)
	v_pk_mul_f32 v[52:53], v[52:53], v[50:51] op_sel:[0,1]
	v_pk_fma_f32 v[54:55], v[40:41], v[26:27], v[48:49] op_sel:[0,0,1] op_sel_hi:[1,0,0]
	v_pk_fma_f32 v[40:41], v[40:41], v[26:27], v[48:49] op_sel:[0,0,1] op_sel_hi:[1,1,0] neg_lo:[0,0,1] neg_hi:[0,0,1]
	s_delay_alu instid0(VALU_DEP_3) | instskip(SKIP_1) | instid1(VALU_DEP_4)
	v_pk_fma_f32 v[56:57], v[42:43], v[26:27], v[52:53] op_sel_hi:[1,0,1]
	v_pk_fma_f32 v[42:43], v[42:43], v[26:27], v[52:53] neg_lo:[0,0,1] neg_hi:[0,0,1]
	v_dual_mov_b32 v41, v55 :: v_dual_mov_b32 v27, v51
	s_delay_alu instid0(VALU_DEP_3) | instskip(NEXT) | instid1(VALU_DEP_2)
	v_mov_b32_e32 v43, v57
	v_pk_add_f32 v[24:25], v[24:25], v[40:41] neg_lo:[0,1] neg_hi:[0,1]
	s_delay_alu instid0(VALU_DEP_2)
	v_pk_add_f32 v[22:23], v[22:23], v[42:43] neg_lo:[0,1] neg_hi:[0,1]
.LBB13_46:
	s_or_b32 exec_lo, exec_lo, s1
	s_delay_alu instid0(SALU_CYCLE_1)
	s_mov_b32 s2, exec_lo
	s_wait_dscnt 0x0
	s_barrier_signal -1
	s_barrier_wait -1
	v_cmpx_eq_u32_e32 5, v44
	s_cbranch_execz .LBB13_53
; %bb.47:
	ds_store_b64 v45, v[24:25]
	ds_store_b64 v46, v[22:23] offset:48
	ds_load_b64 v[40:41], v45
	s_wait_dscnt 0x0
	v_cmp_neq_f32_e32 vcc_lo, 0, v40
	v_cmp_neq_f32_e64 s1, 0, v41
	s_or_b32 s1, vcc_lo, s1
	s_delay_alu instid0(SALU_CYCLE_1)
	s_and_b32 exec_lo, exec_lo, s1
	s_cbranch_execz .LBB13_53
; %bb.48:
	v_cmp_ngt_f32_e64 s1, |v40|, |v41|
                                        ; implicit-def: $vgpr42_vgpr43
	s_and_saveexec_b32 s4, s1
	s_delay_alu instid0(SALU_CYCLE_1)
	s_xor_b32 s1, exec_lo, s4
	s_cbranch_execz .LBB13_50
; %bb.49:
	v_div_scale_f32 v42, null, v41, v41, v40
	v_div_scale_f32 v48, vcc_lo, v40, v41, v40
	s_delay_alu instid0(VALU_DEP_2) | instskip(SKIP_1) | instid1(TRANS32_DEP_1)
	v_rcp_f32_e32 v43, v42
	v_nop
	v_fma_f32 v47, -v42, v43, 1.0
	s_delay_alu instid0(VALU_DEP_1) | instskip(NEXT) | instid1(VALU_DEP_1)
	v_fmac_f32_e32 v43, v47, v43
	v_mul_f32_e32 v47, v48, v43
	s_delay_alu instid0(VALU_DEP_1) | instskip(NEXT) | instid1(VALU_DEP_1)
	v_fma_f32 v49, -v42, v47, v48
	v_fmac_f32_e32 v47, v49, v43
	s_delay_alu instid0(VALU_DEP_1) | instskip(NEXT) | instid1(VALU_DEP_1)
	v_fma_f32 v42, -v42, v47, v48
	v_div_fmas_f32 v42, v42, v43, v47
	s_delay_alu instid0(VALU_DEP_1) | instskip(NEXT) | instid1(VALU_DEP_1)
	v_div_fixup_f32 v42, v42, v41, v40
	v_fmac_f32_e32 v41, v40, v42
	s_delay_alu instid0(VALU_DEP_1) | instskip(SKIP_1) | instid1(VALU_DEP_2)
	v_div_scale_f32 v40, null, v41, v41, 1.0
	v_div_scale_f32 v48, vcc_lo, 1.0, v41, 1.0
	v_rcp_f32_e32 v43, v40
	v_nop
	s_delay_alu instid0(TRANS32_DEP_1) | instskip(NEXT) | instid1(VALU_DEP_1)
	v_fma_f32 v47, -v40, v43, 1.0
	v_fmac_f32_e32 v43, v47, v43
	s_delay_alu instid0(VALU_DEP_1) | instskip(NEXT) | instid1(VALU_DEP_1)
	v_mul_f32_e32 v47, v48, v43
	v_fma_f32 v49, -v40, v47, v48
	s_delay_alu instid0(VALU_DEP_1) | instskip(NEXT) | instid1(VALU_DEP_1)
	v_fmac_f32_e32 v47, v49, v43
	v_fma_f32 v40, -v40, v47, v48
	s_delay_alu instid0(VALU_DEP_1) | instskip(NEXT) | instid1(VALU_DEP_1)
	v_div_fmas_f32 v40, v40, v43, v47
	v_div_fixup_f32 v40, v40, v41, 1.0
	s_delay_alu instid0(VALU_DEP_1)
	v_mul_f32_e32 v42, v42, v40
	v_xor_b32_e32 v43, 0x80000000, v40
                                        ; implicit-def: $vgpr40_vgpr41
.LBB13_50:
	s_and_not1_saveexec_b32 s1, s1
	s_cbranch_execz .LBB13_52
; %bb.51:
	v_div_scale_f32 v42, null, v40, v40, v41
	v_div_scale_f32 v48, vcc_lo, v41, v40, v41
	s_delay_alu instid0(VALU_DEP_2) | instskip(SKIP_1) | instid1(TRANS32_DEP_1)
	v_rcp_f32_e32 v43, v42
	v_nop
	v_fma_f32 v47, -v42, v43, 1.0
	s_delay_alu instid0(VALU_DEP_1) | instskip(NEXT) | instid1(VALU_DEP_1)
	v_fmac_f32_e32 v43, v47, v43
	v_mul_f32_e32 v47, v48, v43
	s_delay_alu instid0(VALU_DEP_1) | instskip(NEXT) | instid1(VALU_DEP_1)
	v_fma_f32 v49, -v42, v47, v48
	v_fmac_f32_e32 v47, v49, v43
	s_delay_alu instid0(VALU_DEP_1) | instskip(NEXT) | instid1(VALU_DEP_1)
	v_fma_f32 v42, -v42, v47, v48
	v_div_fmas_f32 v42, v42, v43, v47
	s_delay_alu instid0(VALU_DEP_1) | instskip(NEXT) | instid1(VALU_DEP_1)
	v_div_fixup_f32 v43, v42, v40, v41
	v_fmac_f32_e32 v40, v41, v43
	s_delay_alu instid0(VALU_DEP_1) | instskip(NEXT) | instid1(VALU_DEP_1)
	v_div_scale_f32 v41, null, v40, v40, 1.0
	v_rcp_f32_e32 v42, v41
	v_nop
	s_delay_alu instid0(TRANS32_DEP_1) | instskip(NEXT) | instid1(VALU_DEP_1)
	v_fma_f32 v47, -v41, v42, 1.0
	v_fmac_f32_e32 v42, v47, v42
	v_div_scale_f32 v47, vcc_lo, 1.0, v40, 1.0
	s_delay_alu instid0(VALU_DEP_1) | instskip(NEXT) | instid1(VALU_DEP_1)
	v_mul_f32_e32 v48, v47, v42
	v_fma_f32 v49, -v41, v48, v47
	s_delay_alu instid0(VALU_DEP_1) | instskip(NEXT) | instid1(VALU_DEP_1)
	v_fmac_f32_e32 v48, v49, v42
	v_fma_f32 v41, -v41, v48, v47
	s_delay_alu instid0(VALU_DEP_1) | instskip(NEXT) | instid1(VALU_DEP_1)
	v_div_fmas_f32 v41, v41, v42, v48
	v_div_fixup_f32 v42, v41, v40, 1.0
	s_delay_alu instid0(VALU_DEP_1)
	v_mul_f32_e64 v43, v43, -v42
.LBB13_52:
	s_or_b32 exec_lo, exec_lo, s1
	ds_store_b64 v45, v[42:43]
.LBB13_53:
	s_or_b32 exec_lo, exec_lo, s2
	s_wait_dscnt 0x0
	s_barrier_signal -1
	s_barrier_wait -1
	ds_load_b64 v[40:41], v45
	s_mov_b32 s1, exec_lo
	v_cmpx_lt_u32_e32 5, v44
	s_cbranch_execz .LBB13_55
; %bb.54:
	ds_load_b64 v[42:43], v46 offset:48
	s_wait_dscnt 0x1
	v_pk_mul_f32 v[46:47], v[40:41], v[24:25] op_sel:[1,1] op_sel_hi:[0,1]
	s_delay_alu instid0(VALU_DEP_1) | instskip(SKIP_2) | instid1(VALU_DEP_2)
	v_pk_fma_f32 v[48:49], v[40:41], v[24:25], v[46:47] op_sel_hi:[1,0,1]
	v_pk_fma_f32 v[24:25], v[40:41], v[24:25], v[46:47] op_sel_hi:[1,0,1] neg_lo:[0,0,1] neg_hi:[0,0,1]
	s_wait_dscnt 0x0
	v_pk_mul_f32 v[46:47], v[42:43], v[48:49] op_sel:[1,1] op_sel_hi:[0,1]
	s_delay_alu instid0(VALU_DEP_1) | instskip(SKIP_1) | instid1(VALU_DEP_2)
	v_pk_fma_f32 v[50:51], v[42:43], v[24:25], v[46:47] op_sel_hi:[1,0,1]
	v_pk_fma_f32 v[42:43], v[42:43], v[24:25], v[46:47] neg_lo:[0,0,1] neg_hi:[0,0,1]
	v_dual_mov_b32 v25, v49 :: v_dual_mov_b32 v43, v51
	s_delay_alu instid0(VALU_DEP_1)
	v_pk_add_f32 v[22:23], v[22:23], v[42:43] neg_lo:[0,1] neg_hi:[0,1]
.LBB13_55:
	s_or_b32 exec_lo, exec_lo, s1
	s_delay_alu instid0(SALU_CYCLE_1)
	s_mov_b32 s2, exec_lo
	s_wait_dscnt 0x0
	s_barrier_signal -1
	s_barrier_wait -1
	v_cmpx_eq_u32_e32 6, v44
	s_cbranch_execz .LBB13_62
; %bb.56:
	v_cmp_neq_f32_e32 vcc_lo, 0, v22
	v_cmp_neq_f32_e64 s1, 0, v23
	ds_store_b64 v45, v[22:23]
	s_or_b32 s1, vcc_lo, s1
	s_delay_alu instid0(SALU_CYCLE_1)
	s_and_b32 exec_lo, exec_lo, s1
	s_cbranch_execz .LBB13_62
; %bb.57:
	v_cmp_ngt_f32_e64 s1, |v22|, |v23|
                                        ; implicit-def: $vgpr42_vgpr43
	s_and_saveexec_b32 s4, s1
	s_delay_alu instid0(SALU_CYCLE_1)
	s_xor_b32 s1, exec_lo, s4
	s_cbranch_execz .LBB13_59
; %bb.58:
	v_div_scale_f32 v42, null, v23, v23, v22
	v_div_scale_f32 v47, vcc_lo, v22, v23, v22
	s_delay_alu instid0(VALU_DEP_2) | instskip(SKIP_1) | instid1(TRANS32_DEP_1)
	v_rcp_f32_e32 v43, v42
	v_nop
	v_fma_f32 v46, -v42, v43, 1.0
	s_delay_alu instid0(VALU_DEP_1) | instskip(NEXT) | instid1(VALU_DEP_1)
	v_fmac_f32_e32 v43, v46, v43
	v_mul_f32_e32 v46, v47, v43
	s_delay_alu instid0(VALU_DEP_1) | instskip(NEXT) | instid1(VALU_DEP_1)
	v_fma_f32 v48, -v42, v46, v47
	v_fmac_f32_e32 v46, v48, v43
	s_delay_alu instid0(VALU_DEP_1) | instskip(NEXT) | instid1(VALU_DEP_1)
	v_fma_f32 v42, -v42, v46, v47
	v_div_fmas_f32 v42, v42, v43, v46
	s_delay_alu instid0(VALU_DEP_1) | instskip(NEXT) | instid1(VALU_DEP_1)
	v_div_fixup_f32 v42, v42, v23, v22
	v_fma_f32 v43, v22, v42, v23
	s_delay_alu instid0(VALU_DEP_1) | instskip(SKIP_1) | instid1(VALU_DEP_2)
	v_div_scale_f32 v46, null, v43, v43, 1.0
	v_div_scale_f32 v49, vcc_lo, 1.0, v43, 1.0
	v_rcp_f32_e32 v47, v46
	v_nop
	s_delay_alu instid0(TRANS32_DEP_1) | instskip(NEXT) | instid1(VALU_DEP_1)
	v_fma_f32 v48, -v46, v47, 1.0
	v_fmac_f32_e32 v47, v48, v47
	s_delay_alu instid0(VALU_DEP_1) | instskip(NEXT) | instid1(VALU_DEP_1)
	v_mul_f32_e32 v48, v49, v47
	v_fma_f32 v50, -v46, v48, v49
	s_delay_alu instid0(VALU_DEP_1) | instskip(NEXT) | instid1(VALU_DEP_1)
	v_fmac_f32_e32 v48, v50, v47
	v_fma_f32 v46, -v46, v48, v49
	s_delay_alu instid0(VALU_DEP_1) | instskip(NEXT) | instid1(VALU_DEP_1)
	v_div_fmas_f32 v46, v46, v47, v48
	v_div_fixup_f32 v43, v46, v43, 1.0
	s_delay_alu instid0(VALU_DEP_1)
	v_mul_f32_e32 v42, v42, v43
	v_xor_b32_e32 v43, 0x80000000, v43
.LBB13_59:
	s_and_not1_saveexec_b32 s1, s1
	s_cbranch_execz .LBB13_61
; %bb.60:
	v_div_scale_f32 v42, null, v22, v22, v23
	v_div_scale_f32 v47, vcc_lo, v23, v22, v23
	s_delay_alu instid0(VALU_DEP_2) | instskip(SKIP_1) | instid1(TRANS32_DEP_1)
	v_rcp_f32_e32 v43, v42
	v_nop
	v_fma_f32 v46, -v42, v43, 1.0
	s_delay_alu instid0(VALU_DEP_1) | instskip(NEXT) | instid1(VALU_DEP_1)
	v_fmac_f32_e32 v43, v46, v43
	v_mul_f32_e32 v46, v47, v43
	s_delay_alu instid0(VALU_DEP_1) | instskip(NEXT) | instid1(VALU_DEP_1)
	v_fma_f32 v48, -v42, v46, v47
	v_fmac_f32_e32 v46, v48, v43
	s_delay_alu instid0(VALU_DEP_1) | instskip(NEXT) | instid1(VALU_DEP_1)
	v_fma_f32 v42, -v42, v46, v47
	v_div_fmas_f32 v42, v42, v43, v46
	s_delay_alu instid0(VALU_DEP_1) | instskip(NEXT) | instid1(VALU_DEP_1)
	v_div_fixup_f32 v43, v42, v22, v23
	v_fma_f32 v42, v23, v43, v22
	s_delay_alu instid0(VALU_DEP_1) | instskip(NEXT) | instid1(VALU_DEP_1)
	v_div_scale_f32 v46, null, v42, v42, 1.0
	v_rcp_f32_e32 v47, v46
	v_nop
	s_delay_alu instid0(TRANS32_DEP_1) | instskip(NEXT) | instid1(VALU_DEP_1)
	v_fma_f32 v48, -v46, v47, 1.0
	v_fmac_f32_e32 v47, v48, v47
	v_div_scale_f32 v48, vcc_lo, 1.0, v42, 1.0
	s_delay_alu instid0(VALU_DEP_1) | instskip(NEXT) | instid1(VALU_DEP_1)
	v_mul_f32_e32 v49, v48, v47
	v_fma_f32 v50, -v46, v49, v48
	s_delay_alu instid0(VALU_DEP_1) | instskip(NEXT) | instid1(VALU_DEP_1)
	v_fmac_f32_e32 v49, v50, v47
	v_fma_f32 v46, -v46, v49, v48
	s_delay_alu instid0(VALU_DEP_1) | instskip(NEXT) | instid1(VALU_DEP_1)
	v_div_fmas_f32 v46, v46, v47, v49
	v_div_fixup_f32 v42, v46, v42, 1.0
	s_delay_alu instid0(VALU_DEP_1)
	v_mul_f32_e64 v43, v43, -v42
.LBB13_61:
	s_or_b32 exec_lo, exec_lo, s1
	ds_store_b64 v45, v[42:43]
.LBB13_62:
	s_or_b32 exec_lo, exec_lo, s2
	s_wait_dscnt 0x0
	s_barrier_signal -1
	s_barrier_wait -1
	ds_load_b64 v[42:43], v45
	s_wait_dscnt 0x0
	s_barrier_signal -1
	s_barrier_wait -1
	s_and_saveexec_b32 s4, s0
	s_cbranch_execz .LBB13_65
; %bb.63:
	v_lshl_add_u64 v[2:3], v[2:3], 2, s[6:7]
	v_cmp_eq_f32_e32 vcc_lo, 0, v30
	v_cmp_eq_f32_e64 s0, 0, v31
	v_cmp_neq_f32_e64 s1, 0, v32
	v_cmp_neq_f32_e64 s2, 0, v33
	global_load_b32 v45, v[2:3], off
	s_and_b32 s0, vcc_lo, s0
	s_delay_alu instid0(SALU_CYCLE_1) | instskip(SKIP_1) | instid1(SALU_CYCLE_1)
	v_cndmask_b32_e64 v30, 0, 1, s0
	s_or_b32 s1, s1, s2
	s_or_b32 vcc_lo, s1, s0
	v_cmp_eq_f32_e64 s0, 0, v35
	s_delay_alu instid0(VALU_DEP_2) | instskip(SKIP_1) | instid1(VALU_DEP_2)
	v_cndmask_b32_e32 v30, 2, v30, vcc_lo
	v_cmp_eq_f32_e32 vcc_lo, 0, v34
	v_cmp_eq_u32_e64 s1, 0, v30
	s_and_b32 s0, vcc_lo, s0
	v_cmp_eq_f32_e32 vcc_lo, 0, v36
	s_and_b32 s0, s0, s1
	s_delay_alu instid0(SALU_CYCLE_1) | instskip(SKIP_1) | instid1(VALU_DEP_2)
	v_cndmask_b32_e64 v30, v30, 3, s0
	v_cmp_eq_f32_e64 s0, 0, v37
	v_cmp_eq_u32_e64 s1, 0, v30
	s_and_b32 s0, vcc_lo, s0
	v_cmp_eq_f32_e32 vcc_lo, 0, v38
	s_and_b32 s0, s0, s1
	s_delay_alu instid0(SALU_CYCLE_1) | instskip(SKIP_1) | instid1(VALU_DEP_2)
	v_cndmask_b32_e64 v30, v30, 4, s0
	v_cmp_eq_f32_e64 s0, 0, v39
	;; [unrolled: 7-line block ×4, first 2 shown]
	v_cmp_eq_u32_e64 s1, 0, v30
	s_and_b32 s0, vcc_lo, s0
	s_delay_alu instid0(SALU_CYCLE_1) | instskip(NEXT) | instid1(SALU_CYCLE_1)
	s_and_b32 s0, s0, s1
	v_cndmask_b32_e64 v30, v30, 7, s0
	s_delay_alu instid0(VALU_DEP_1) | instskip(SKIP_3) | instid1(SALU_CYCLE_1)
	v_cmp_ne_u32_e64 s0, 0, v30
	s_wait_loadcnt 0x0
	v_cmp_eq_u32_e32 vcc_lo, 0, v45
	s_and_b32 s0, vcc_lo, s0
	s_and_b32 exec_lo, exec_lo, s0
	s_cbranch_execz .LBB13_65
; %bb.64:
	v_add_nc_u32_e32 v30, s3, v30
	global_store_b32 v[2:3], v30, off
.LBB13_65:
	s_wait_xcnt 0x0
	s_or_b32 exec_lo, exec_lo, s4
	v_pk_mul_f32 v[2:3], v[42:43], v[22:23] op_sel:[1,1] op_sel_hi:[0,1]
	v_cmp_lt_u32_e32 vcc_lo, 6, v44
	global_store_b64 v[0:1], v[20:21], off
	v_pk_fma_f32 v[30:31], v[42:43], v[22:23], v[2:3] op_sel_hi:[1,0,1]
	v_pk_fma_f32 v[2:3], v[42:43], v[22:23], v[2:3] neg_lo:[0,0,1] neg_hi:[0,0,1]
	s_wait_xcnt 0x0
	s_delay_alu instid0(VALU_DEP_1)
	v_dual_cndmask_b32 v1, v23, v31 :: v_dual_cndmask_b32 v0, v22, v2
	s_clause 0x5
	global_store_b64 v[14:15], v[16:17], off
	global_store_b64 v[4:5], v[18:19], off
	;; [unrolled: 1-line block ×6, first 2 shown]
.LBB13_66:
	s_sendmsg sendmsg(MSG_DEALLOC_VGPRS)
	s_endpgm
	.section	.rodata,"a",@progbits
	.p2align	6, 0x0
	.amdhsa_kernel _ZN9rocsolver6v33100L23getf2_npvt_small_kernelILi7E19rocblas_complex_numIfEiiPS3_EEvT1_T3_lS5_lPT2_S5_S5_
		.amdhsa_group_segment_fixed_size 0
		.amdhsa_private_segment_fixed_size 0
		.amdhsa_kernarg_size 312
		.amdhsa_user_sgpr_count 2
		.amdhsa_user_sgpr_dispatch_ptr 0
		.amdhsa_user_sgpr_queue_ptr 0
		.amdhsa_user_sgpr_kernarg_segment_ptr 1
		.amdhsa_user_sgpr_dispatch_id 0
		.amdhsa_user_sgpr_kernarg_preload_length 0
		.amdhsa_user_sgpr_kernarg_preload_offset 0
		.amdhsa_user_sgpr_private_segment_size 0
		.amdhsa_wavefront_size32 1
		.amdhsa_uses_dynamic_stack 0
		.amdhsa_enable_private_segment 0
		.amdhsa_system_sgpr_workgroup_id_x 1
		.amdhsa_system_sgpr_workgroup_id_y 1
		.amdhsa_system_sgpr_workgroup_id_z 0
		.amdhsa_system_sgpr_workgroup_info 0
		.amdhsa_system_vgpr_workitem_id 1
		.amdhsa_next_free_vgpr 66
		.amdhsa_next_free_sgpr 16
		.amdhsa_named_barrier_count 0
		.amdhsa_reserve_vcc 1
		.amdhsa_float_round_mode_32 0
		.amdhsa_float_round_mode_16_64 0
		.amdhsa_float_denorm_mode_32 3
		.amdhsa_float_denorm_mode_16_64 3
		.amdhsa_fp16_overflow 0
		.amdhsa_memory_ordered 1
		.amdhsa_forward_progress 1
		.amdhsa_inst_pref_size 51
		.amdhsa_round_robin_scheduling 0
		.amdhsa_exception_fp_ieee_invalid_op 0
		.amdhsa_exception_fp_denorm_src 0
		.amdhsa_exception_fp_ieee_div_zero 0
		.amdhsa_exception_fp_ieee_overflow 0
		.amdhsa_exception_fp_ieee_underflow 0
		.amdhsa_exception_fp_ieee_inexact 0
		.amdhsa_exception_int_div_zero 0
	.end_amdhsa_kernel
	.section	.text._ZN9rocsolver6v33100L23getf2_npvt_small_kernelILi7E19rocblas_complex_numIfEiiPS3_EEvT1_T3_lS5_lPT2_S5_S5_,"axG",@progbits,_ZN9rocsolver6v33100L23getf2_npvt_small_kernelILi7E19rocblas_complex_numIfEiiPS3_EEvT1_T3_lS5_lPT2_S5_S5_,comdat
.Lfunc_end13:
	.size	_ZN9rocsolver6v33100L23getf2_npvt_small_kernelILi7E19rocblas_complex_numIfEiiPS3_EEvT1_T3_lS5_lPT2_S5_S5_, .Lfunc_end13-_ZN9rocsolver6v33100L23getf2_npvt_small_kernelILi7E19rocblas_complex_numIfEiiPS3_EEvT1_T3_lS5_lPT2_S5_S5_
                                        ; -- End function
	.set _ZN9rocsolver6v33100L23getf2_npvt_small_kernelILi7E19rocblas_complex_numIfEiiPS3_EEvT1_T3_lS5_lPT2_S5_S5_.num_vgpr, 66
	.set _ZN9rocsolver6v33100L23getf2_npvt_small_kernelILi7E19rocblas_complex_numIfEiiPS3_EEvT1_T3_lS5_lPT2_S5_S5_.num_agpr, 0
	.set _ZN9rocsolver6v33100L23getf2_npvt_small_kernelILi7E19rocblas_complex_numIfEiiPS3_EEvT1_T3_lS5_lPT2_S5_S5_.numbered_sgpr, 16
	.set _ZN9rocsolver6v33100L23getf2_npvt_small_kernelILi7E19rocblas_complex_numIfEiiPS3_EEvT1_T3_lS5_lPT2_S5_S5_.num_named_barrier, 0
	.set _ZN9rocsolver6v33100L23getf2_npvt_small_kernelILi7E19rocblas_complex_numIfEiiPS3_EEvT1_T3_lS5_lPT2_S5_S5_.private_seg_size, 0
	.set _ZN9rocsolver6v33100L23getf2_npvt_small_kernelILi7E19rocblas_complex_numIfEiiPS3_EEvT1_T3_lS5_lPT2_S5_S5_.uses_vcc, 1
	.set _ZN9rocsolver6v33100L23getf2_npvt_small_kernelILi7E19rocblas_complex_numIfEiiPS3_EEvT1_T3_lS5_lPT2_S5_S5_.uses_flat_scratch, 0
	.set _ZN9rocsolver6v33100L23getf2_npvt_small_kernelILi7E19rocblas_complex_numIfEiiPS3_EEvT1_T3_lS5_lPT2_S5_S5_.has_dyn_sized_stack, 0
	.set _ZN9rocsolver6v33100L23getf2_npvt_small_kernelILi7E19rocblas_complex_numIfEiiPS3_EEvT1_T3_lS5_lPT2_S5_S5_.has_recursion, 0
	.set _ZN9rocsolver6v33100L23getf2_npvt_small_kernelILi7E19rocblas_complex_numIfEiiPS3_EEvT1_T3_lS5_lPT2_S5_S5_.has_indirect_call, 0
	.section	.AMDGPU.csdata,"",@progbits
; Kernel info:
; codeLenInByte = 6432
; TotalNumSgprs: 18
; NumVgprs: 66
; ScratchSize: 0
; MemoryBound: 0
; FloatMode: 240
; IeeeMode: 1
; LDSByteSize: 0 bytes/workgroup (compile time only)
; SGPRBlocks: 0
; VGPRBlocks: 4
; NumSGPRsForWavesPerEU: 18
; NumVGPRsForWavesPerEU: 66
; NamedBarCnt: 0
; Occupancy: 12
; WaveLimiterHint : 0
; COMPUTE_PGM_RSRC2:SCRATCH_EN: 0
; COMPUTE_PGM_RSRC2:USER_SGPR: 2
; COMPUTE_PGM_RSRC2:TRAP_HANDLER: 0
; COMPUTE_PGM_RSRC2:TGID_X_EN: 1
; COMPUTE_PGM_RSRC2:TGID_Y_EN: 1
; COMPUTE_PGM_RSRC2:TGID_Z_EN: 0
; COMPUTE_PGM_RSRC2:TIDIG_COMP_CNT: 1
	.section	.text._ZN9rocsolver6v33100L18getf2_small_kernelILi8E19rocblas_complex_numIfEiiPS3_EEvT1_T3_lS5_lPS5_llPT2_S5_S5_S7_l,"axG",@progbits,_ZN9rocsolver6v33100L18getf2_small_kernelILi8E19rocblas_complex_numIfEiiPS3_EEvT1_T3_lS5_lPS5_llPT2_S5_S5_S7_l,comdat
	.globl	_ZN9rocsolver6v33100L18getf2_small_kernelILi8E19rocblas_complex_numIfEiiPS3_EEvT1_T3_lS5_lPS5_llPT2_S5_S5_S7_l ; -- Begin function _ZN9rocsolver6v33100L18getf2_small_kernelILi8E19rocblas_complex_numIfEiiPS3_EEvT1_T3_lS5_lPS5_llPT2_S5_S5_S7_l
	.p2align	8
	.type	_ZN9rocsolver6v33100L18getf2_small_kernelILi8E19rocblas_complex_numIfEiiPS3_EEvT1_T3_lS5_lPS5_llPT2_S5_S5_S7_l,@function
_ZN9rocsolver6v33100L18getf2_small_kernelILi8E19rocblas_complex_numIfEiiPS3_EEvT1_T3_lS5_lPS5_llPT2_S5_S5_S7_l: ; @_ZN9rocsolver6v33100L18getf2_small_kernelILi8E19rocblas_complex_numIfEiiPS3_EEvT1_T3_lS5_lPS5_llPT2_S5_S5_S7_l
; %bb.0:
	s_clause 0x1
	s_load_u16 s2, s[0:1], 0x6e
	s_load_b64 s[12:13], s[0:1], 0x48
	s_bfe_u32 s3, ttmp6, 0x40010
	s_bfe_u32 s4, ttmp6, 0x40004
	s_add_co_i32 s3, s3, 1
	s_getreg_b32 s5, hwreg(HW_REG_IB_STS2, 6, 4)
	s_mul_i32 s3, ttmp7, s3
	v_bfe_u32 v22, v0, 10, 10
	s_add_co_i32 s4, s4, s3
	s_cmp_eq_u32 s5, 0
	s_cselect_b32 s3, ttmp7, s4
	s_wait_kmcnt 0x0
	v_mad_u32 v2, s3, s2, v22
	s_mov_b32 s2, exec_lo
	s_delay_alu instid0(VALU_DEP_1)
	v_cmpx_gt_i32_e64 s12, v2
	s_cbranch_execz .LBB14_169
; %bb.1:
	s_load_b128 s[4:7], s[0:1], 0x50
	v_mov_b64_e32 v[20:21], 0
	v_ashrrev_i32_e32 v3, 31, v2
	s_wait_kmcnt 0x0
	s_cmp_eq_u64 s[4:5], 0
	s_cselect_b32 s12, -1, 0
	s_delay_alu instid0(SALU_CYCLE_1)
	s_and_b32 vcc_lo, exec_lo, s12
	s_cbranch_vccnz .LBB14_3
; %bb.2:
	v_mul_u64_e32 v[4:5], s[6:7], v[2:3]
	s_delay_alu instid0(VALU_DEP_1)
	v_lshl_add_u64 v[20:21], v[4:5], 2, s[4:5]
.LBB14_3:
	s_clause 0x2
	s_load_b256 s[4:11], s[0:1], 0x20
	s_load_b32 s2, s[0:1], 0x18
	s_load_b128 s[16:19], s[0:1], 0x8
	v_and_b32_e32 v28, 0x3ff, v0
	s_load_b32 s14, s[0:1], 0x0
	v_mov_b32_e32 v25, 0
	s_wait_kmcnt 0x0
	v_mul_u64_e32 v[4:5], s[4:5], v[2:3]
	v_add3_u32 v6, s2, s2, v28
	v_lshlrev_b32_e32 v24, 3, v28
	s_ashr_i32 s3, s2, 31
	s_max_i32 s4, s14, 8
	s_cmp_lt_i32 s14, 2
	v_ashrrev_i32_e32 v7, 31, v6
	s_delay_alu instid0(VALU_DEP_4) | instskip(SKIP_1) | instid1(VALU_DEP_2)
	v_lshl_add_u64 v[0:1], v[4:5], 3, s[16:17]
	v_add_nc_u32_e32 v4, s2, v6
	v_lshl_add_u64 v[0:1], s[18:19], 3, v[0:1]
	s_delay_alu instid0(VALU_DEP_2) | instskip(NEXT) | instid1(VALU_DEP_2)
	v_dual_ashrrev_i32 v5, 31, v4 :: v_dual_add_nc_u32 v10, s2, v4
	v_add_nc_u64_e32 v[12:13], v[0:1], v[24:25]
	v_lshl_add_u64 v[14:15], v[6:7], 3, v[0:1]
	s_delay_alu instid0(VALU_DEP_3) | instskip(NEXT) | instid1(VALU_DEP_4)
	v_lshl_add_u64 v[16:17], v[4:5], 3, v[0:1]
	v_dual_add_nc_u32 v18, s2, v10 :: v_dual_ashrrev_i32 v11, 31, v10
	s_clause 0x2
	global_load_b64 v[6:7], v[14:15], off
	global_load_b64 v[4:5], v[16:17], off
	;; [unrolled: 1-line block ×3, first 2 shown]
	v_lshl_add_u64 v[26:27], s[2:3], 3, v[12:13]
	s_wait_xcnt 0x2
	v_dual_add_nc_u32 v14, s2, v18 :: v_dual_ashrrev_i32 v19, 31, v18
	v_lshl_add_u64 v[30:31], v[10:11], 3, v[0:1]
	s_wait_xcnt 0x1
	s_delay_alu instid0(VALU_DEP_2) | instskip(NEXT) | instid1(VALU_DEP_3)
	v_dual_add_nc_u32 v16, s2, v14 :: v_dual_ashrrev_i32 v15, 31, v14
	v_lshl_add_u64 v[32:33], v[18:19], 3, v[0:1]
	s_delay_alu instid0(VALU_DEP_2) | instskip(NEXT) | instid1(VALU_DEP_3)
	v_ashrrev_i32_e32 v17, 31, v16
	v_lshl_add_u64 v[34:35], v[14:15], 3, v[0:1]
	s_delay_alu instid0(VALU_DEP_2)
	v_lshl_add_u64 v[36:37], v[16:17], 3, v[0:1]
	s_clause 0x4
	global_load_b64 v[16:17], v[26:27], off
	global_load_b64 v[14:15], v[30:31], off
	;; [unrolled: 1-line block ×5, first 2 shown]
	s_wait_xcnt 0x4
	v_mul_lo_u32 v27, s4, v22
	s_load_b64 s[4:5], s[0:1], 0x40
	s_delay_alu instid0(VALU_DEP_1) | instskip(NEXT) | instid1(VALU_DEP_1)
	v_lshl_add_u32 v26, v27, 3, 0
	v_dual_lshlrev_b32 v27, 3, v27 :: v_dual_add_nc_u32 v22, v26, v24
	s_wait_loadcnt 0x5
	ds_store_b64 v22, v[8:9]
	s_wait_loadcnt_dscnt 0x0
	s_barrier_signal -1
	s_barrier_wait -1
	ds_load_b64 v[22:23], v26
	s_cbranch_scc1 .LBB14_6
; %bb.4:
	v_add3_u32 v24, v27, 0, 8
	v_mov_b32_e32 v25, 0
	s_wait_xcnt 0x0
	s_mov_b32 s0, 1
.LBB14_5:                               ; =>This Inner Loop Header: Depth=1
	ds_load_b64 v[30:31], v24
	s_wait_dscnt 0x1
	v_cmp_gt_f32_e32 vcc_lo, 0, v22
	v_cndmask_b32_e64 v32, v22, -v22, vcc_lo
	v_cmp_gt_f32_e32 vcc_lo, 0, v23
	v_cndmask_b32_e64 v34, v23, -v23, vcc_lo
	s_wait_dscnt 0x0
	v_cmp_gt_f32_e32 vcc_lo, 0, v30
	v_cndmask_b32_e64 v33, v30, -v30, vcc_lo
	v_cmp_gt_f32_e32 vcc_lo, 0, v31
	v_cndmask_b32_e64 v35, v31, -v31, vcc_lo
	s_delay_alu instid0(VALU_DEP_1) | instskip(NEXT) | instid1(VALU_DEP_1)
	v_pk_add_f32 v[32:33], v[32:33], v[34:35]
	v_cmp_lt_f32_e32 vcc_lo, v32, v33
	v_dual_cndmask_b32 v23, v23, v31 :: v_dual_add_nc_u32 v24, 8, v24
	v_cndmask_b32_e32 v22, v22, v30, vcc_lo
	v_cndmask_b32_e64 v25, v25, s0, vcc_lo
	s_add_co_i32 s0, s0, 1
	s_delay_alu instid0(SALU_CYCLE_1)
	s_cmp_eq_u32 s14, s0
	s_cbranch_scc0 .LBB14_5
.LBB14_6:
	s_wait_dscnt 0x0
	v_cmp_neq_f32_e32 vcc_lo, 0, v22
	s_wait_xcnt 0x0
	v_cmp_neq_f32_e64 s0, 0, v23
	v_dual_mov_b32 v29, 1 :: v_dual_mov_b32 v30, 1
	s_or_b32 s1, vcc_lo, s0
	s_delay_alu instid0(SALU_CYCLE_1)
	s_and_saveexec_b32 s0, s1
	s_cbranch_execz .LBB14_12
; %bb.7:
	v_cmp_ngt_f32_e64 s1, |v22|, |v23|
	s_and_saveexec_b32 s15, s1
	s_delay_alu instid0(SALU_CYCLE_1)
	s_xor_b32 s1, exec_lo, s15
	s_cbranch_execz .LBB14_9
; %bb.8:
	v_div_scale_f32 v24, null, v23, v23, v22
	v_div_scale_f32 v31, vcc_lo, v22, v23, v22
	s_delay_alu instid0(VALU_DEP_2) | instskip(SKIP_1) | instid1(TRANS32_DEP_1)
	v_rcp_f32_e32 v29, v24
	v_nop
	v_fma_f32 v30, -v24, v29, 1.0
	s_delay_alu instid0(VALU_DEP_1) | instskip(NEXT) | instid1(VALU_DEP_1)
	v_fmac_f32_e32 v29, v30, v29
	v_mul_f32_e32 v30, v31, v29
	s_delay_alu instid0(VALU_DEP_1) | instskip(NEXT) | instid1(VALU_DEP_1)
	v_fma_f32 v32, -v24, v30, v31
	v_fmac_f32_e32 v30, v32, v29
	s_delay_alu instid0(VALU_DEP_1) | instskip(NEXT) | instid1(VALU_DEP_1)
	v_fma_f32 v24, -v24, v30, v31
	v_div_fmas_f32 v24, v24, v29, v30
	s_delay_alu instid0(VALU_DEP_1) | instskip(NEXT) | instid1(VALU_DEP_1)
	v_div_fixup_f32 v24, v24, v23, v22
	v_fmac_f32_e32 v23, v22, v24
	s_delay_alu instid0(VALU_DEP_1) | instskip(SKIP_1) | instid1(VALU_DEP_2)
	v_div_scale_f32 v22, null, v23, v23, 1.0
	v_div_scale_f32 v31, vcc_lo, 1.0, v23, 1.0
	v_rcp_f32_e32 v29, v22
	v_nop
	s_delay_alu instid0(TRANS32_DEP_1) | instskip(NEXT) | instid1(VALU_DEP_1)
	v_fma_f32 v30, -v22, v29, 1.0
	v_fmac_f32_e32 v29, v30, v29
	s_delay_alu instid0(VALU_DEP_1) | instskip(NEXT) | instid1(VALU_DEP_1)
	v_mul_f32_e32 v30, v31, v29
	v_fma_f32 v32, -v22, v30, v31
	s_delay_alu instid0(VALU_DEP_1) | instskip(NEXT) | instid1(VALU_DEP_1)
	v_fmac_f32_e32 v30, v32, v29
	v_fma_f32 v22, -v22, v30, v31
	s_delay_alu instid0(VALU_DEP_1) | instskip(NEXT) | instid1(VALU_DEP_1)
	v_div_fmas_f32 v22, v22, v29, v30
	v_div_fixup_f32 v23, v22, v23, 1.0
	s_delay_alu instid0(VALU_DEP_1)
	v_mul_f32_e32 v22, v24, v23
	v_xor_b32_e32 v23, 0x80000000, v23
.LBB14_9:
	s_and_not1_saveexec_b32 s1, s1
	s_cbranch_execz .LBB14_11
; %bb.10:
	s_delay_alu instid0(VALU_DEP_1) | instskip(SKIP_1) | instid1(VALU_DEP_2)
	v_div_scale_f32 v24, null, v22, v22, v23
	v_div_scale_f32 v31, vcc_lo, v23, v22, v23
	v_rcp_f32_e32 v29, v24
	v_nop
	s_delay_alu instid0(TRANS32_DEP_1) | instskip(NEXT) | instid1(VALU_DEP_1)
	v_fma_f32 v30, -v24, v29, 1.0
	v_fmac_f32_e32 v29, v30, v29
	s_delay_alu instid0(VALU_DEP_1) | instskip(NEXT) | instid1(VALU_DEP_1)
	v_mul_f32_e32 v30, v31, v29
	v_fma_f32 v32, -v24, v30, v31
	s_delay_alu instid0(VALU_DEP_1) | instskip(NEXT) | instid1(VALU_DEP_1)
	v_fmac_f32_e32 v30, v32, v29
	v_fma_f32 v24, -v24, v30, v31
	s_delay_alu instid0(VALU_DEP_1) | instskip(NEXT) | instid1(VALU_DEP_1)
	v_div_fmas_f32 v24, v24, v29, v30
	v_div_fixup_f32 v24, v24, v22, v23
	s_delay_alu instid0(VALU_DEP_1) | instskip(NEXT) | instid1(VALU_DEP_1)
	v_fmac_f32_e32 v22, v23, v24
	v_div_scale_f32 v23, null, v22, v22, 1.0
	s_delay_alu instid0(VALU_DEP_1) | instskip(SKIP_1) | instid1(TRANS32_DEP_1)
	v_rcp_f32_e32 v29, v23
	v_nop
	v_fma_f32 v30, -v23, v29, 1.0
	s_delay_alu instid0(VALU_DEP_1) | instskip(SKIP_1) | instid1(VALU_DEP_1)
	v_fmac_f32_e32 v29, v30, v29
	v_div_scale_f32 v30, vcc_lo, 1.0, v22, 1.0
	v_mul_f32_e32 v31, v30, v29
	s_delay_alu instid0(VALU_DEP_1) | instskip(NEXT) | instid1(VALU_DEP_1)
	v_fma_f32 v32, -v23, v31, v30
	v_fmac_f32_e32 v31, v32, v29
	s_delay_alu instid0(VALU_DEP_1) | instskip(NEXT) | instid1(VALU_DEP_1)
	v_fma_f32 v23, -v23, v31, v30
	v_div_fmas_f32 v23, v23, v29, v31
	s_delay_alu instid0(VALU_DEP_1) | instskip(NEXT) | instid1(VALU_DEP_1)
	v_div_fixup_f32 v22, v23, v22, 1.0
	v_mul_f32_e64 v23, v24, -v22
.LBB14_11:
	s_or_b32 exec_lo, exec_lo, s1
	v_dual_mov_b32 v30, 0 :: v_dual_mov_b32 v29, 2
.LBB14_12:
	s_or_b32 exec_lo, exec_lo, s0
	s_delay_alu instid0(SALU_CYCLE_1)
	s_mov_b32 s0, exec_lo
	v_cmpx_ne_u32_e64 v28, v25
	s_xor_b32 s0, exec_lo, s0
	s_cbranch_execz .LBB14_18
; %bb.13:
	s_mov_b32 s1, exec_lo
	v_cmpx_eq_u32_e32 0, v28
	s_cbranch_execz .LBB14_17
; %bb.14:
	v_cmp_ne_u32_e32 vcc_lo, 0, v25
	s_xor_b32 s15, s12, -1
	s_delay_alu instid0(SALU_CYCLE_1) | instskip(NEXT) | instid1(SALU_CYCLE_1)
	s_and_b32 s16, s15, vcc_lo
	s_and_saveexec_b32 s15, s16
	s_cbranch_execz .LBB14_16
; %bb.15:
	v_dual_mov_b32 v32, v25 :: v_dual_ashrrev_i32 v33, 31, v25
	s_delay_alu instid0(VALU_DEP_1)
	v_lshl_add_u64 v[32:33], v[32:33], 2, v[20:21]
	s_clause 0x1
	global_load_b32 v24, v[32:33], off
	global_load_b32 v28, v[20:21], off
	s_wait_loadcnt 0x1
	global_store_b32 v[20:21], v24, off
	s_wait_loadcnt 0x0
	global_store_b32 v[32:33], v28, off
.LBB14_16:
	s_wait_xcnt 0x0
	s_or_b32 exec_lo, exec_lo, s15
	v_mov_b32_e32 v28, v25
.LBB14_17:
	s_or_b32 exec_lo, exec_lo, s1
.LBB14_18:
	s_or_saveexec_b32 s0, s0
	s_delay_alu instid0(VALU_DEP_1)
	v_mov_b32_e32 v25, v28
	s_xor_b32 exec_lo, exec_lo, s0
	s_cbranch_execz .LBB14_20
; %bb.19:
	v_mov_b32_e32 v25, 0
	ds_store_2addr_b64 v26, v[16:17], v[6:7] offset0:1 offset1:2
	ds_store_2addr_b64 v26, v[4:5], v[14:15] offset0:3 offset1:4
	;; [unrolled: 1-line block ×3, first 2 shown]
	ds_store_b64 v26, v[18:19] offset:56
.LBB14_20:
	s_or_b32 exec_lo, exec_lo, s0
	s_delay_alu instid0(SALU_CYCLE_1)
	s_mov_b32 s0, exec_lo
	s_wait_storecnt_dscnt 0x0
	s_barrier_signal -1
	s_barrier_wait -1
	v_cmpx_lt_i32_e32 0, v25
	s_cbranch_execz .LBB14_22
; %bb.21:
	ds_load_2addr_b64 v[32:35], v26 offset0:1 offset1:2
	ds_load_2addr_b64 v[36:39], v26 offset0:3 offset1:4
	;; [unrolled: 1-line block ×3, first 2 shown]
	ds_load_b64 v[46:47], v26 offset:56
	v_pk_mul_f32 v[44:45], v[22:23], v[8:9] op_sel:[1,1] op_sel_hi:[0,1]
	s_delay_alu instid0(VALU_DEP_1) | instskip(SKIP_1) | instid1(VALU_DEP_1)
	v_pk_fma_f32 v[48:49], v[22:23], v[8:9], v[44:45] op_sel_hi:[1,0,1] neg_lo:[0,0,1] neg_hi:[0,0,1]
	v_pk_fma_f32 v[22:23], v[22:23], v[8:9], v[44:45] op_sel_hi:[1,0,1]
	v_dual_mov_b32 v8, v48 :: v_dual_mov_b32 v9, v23
	s_wait_dscnt 0x3
	s_delay_alu instid0(VALU_DEP_2)
	v_pk_mul_f32 v[44:45], v[32:33], v[22:23] op_sel:[0,1]
	v_pk_mul_f32 v[50:51], v[34:35], v[22:23] op_sel:[0,1]
	s_wait_dscnt 0x2
	v_pk_mul_f32 v[52:53], v[36:37], v[22:23] op_sel:[0,1]
	v_dual_mov_b32 v54, v39 :: v_dual_mov_b32 v55, v38
	v_dual_mul_f32 v24, v39, v23 :: v_dual_mul_f32 v56, v39, v48
	s_wait_dscnt 0x1
	v_pk_mul_f32 v[58:59], v[40:41], v[22:23] op_sel:[0,1]
	v_pk_mul_f32 v[60:61], v[42:43], v[22:23] op_sel:[0,1]
	s_wait_dscnt 0x0
	v_pk_mul_f32 v[22:23], v[46:47], v[22:23] op_sel:[0,1]
	v_pk_fma_f32 v[62:63], v[32:33], v[48:49], v[44:45] op_sel:[0,0,1] op_sel_hi:[1,1,0] neg_lo:[0,0,1] neg_hi:[0,0,1]
	v_pk_fma_f32 v[32:33], v[32:33], v[48:49], v[44:45] op_sel:[0,0,1] op_sel_hi:[1,0,0]
	v_pk_fma_f32 v[44:45], v[34:35], v[48:49], v[50:51] op_sel:[0,0,1] op_sel_hi:[1,1,0] neg_lo:[0,0,1] neg_hi:[0,0,1]
	v_pk_fma_f32 v[34:35], v[34:35], v[48:49], v[50:51] op_sel:[0,0,1] op_sel_hi:[1,0,0]
	;; [unrolled: 2-line block ×3, first 2 shown]
	v_pk_fma_f32 v[52:53], v[54:55], v[8:9], v[56:57] op_sel_hi:[1,1,0]
	v_pk_fma_f32 v[54:55], v[40:41], v[48:49], v[58:59] op_sel:[0,0,1] op_sel_hi:[1,1,0] neg_lo:[0,0,1] neg_hi:[0,0,1]
	v_pk_fma_f32 v[40:41], v[40:41], v[48:49], v[58:59] op_sel:[0,0,1] op_sel_hi:[1,0,0]
	v_dual_mov_b32 v63, v33 :: v_dual_mov_b32 v45, v35
	v_pk_fma_f32 v[32:33], v[42:43], v[48:49], v[60:61] op_sel:[0,0,1] op_sel_hi:[1,0,0]
	v_pk_fma_f32 v[34:35], v[46:47], v[48:49], v[22:23] op_sel:[0,0,1] op_sel_hi:[1,0,0]
	v_pk_fma_f32 v[38:39], v[38:39], v[8:9], v[24:25] op_sel_hi:[1,1,0] neg_lo:[0,0,1] neg_hi:[0,0,1]
	v_dual_mov_b32 v51, v37 :: v_dual_mov_b32 v39, v53
	v_pk_fma_f32 v[36:37], v[42:43], v[48:49], v[60:61] op_sel:[0,0,1] op_sel_hi:[1,1,0] neg_lo:[0,0,1] neg_hi:[0,0,1]
	v_pk_fma_f32 v[22:23], v[46:47], v[48:49], v[22:23] op_sel:[0,0,1] op_sel_hi:[1,1,0] neg_lo:[0,0,1] neg_hi:[0,0,1]
	v_dual_mov_b32 v55, v41 :: v_dual_mov_b32 v37, v33
	v_mov_b32_e32 v23, v35
	v_pk_add_f32 v[16:17], v[16:17], v[62:63] neg_lo:[0,1] neg_hi:[0,1]
	v_pk_add_f32 v[6:7], v[6:7], v[44:45] neg_lo:[0,1] neg_hi:[0,1]
	;; [unrolled: 1-line block ×7, first 2 shown]
.LBB14_22:
	s_or_b32 exec_lo, exec_lo, s0
	v_lshl_add_u32 v22, v25, 3, v26
	s_barrier_signal -1
	s_barrier_wait -1
	ds_store_b64 v22, v[16:17]
	s_wait_dscnt 0x0
	s_barrier_signal -1
	s_barrier_wait -1
	ds_load_b64 v[22:23], v26 offset:8
	v_mov_b32_e32 v24, 1
	s_cmp_lt_i32 s14, 3
	s_cbranch_scc1 .LBB14_25
; %bb.23:
	v_add3_u32 v31, v27, 0, 16
	v_mov_b32_e32 v24, 1
	s_mov_b32 s0, 2
.LBB14_24:                              ; =>This Inner Loop Header: Depth=1
	ds_load_b64 v[32:33], v31
	s_wait_dscnt 0x1
	v_cmp_gt_f32_e32 vcc_lo, 0, v22
	v_cndmask_b32_e64 v34, v22, -v22, vcc_lo
	v_cmp_gt_f32_e32 vcc_lo, 0, v23
	v_cndmask_b32_e64 v36, v23, -v23, vcc_lo
	s_wait_dscnt 0x0
	v_cmp_gt_f32_e32 vcc_lo, 0, v32
	v_cndmask_b32_e64 v35, v32, -v32, vcc_lo
	v_cmp_gt_f32_e32 vcc_lo, 0, v33
	v_cndmask_b32_e64 v37, v33, -v33, vcc_lo
	s_delay_alu instid0(VALU_DEP_1) | instskip(NEXT) | instid1(VALU_DEP_1)
	v_pk_add_f32 v[34:35], v[34:35], v[36:37]
	v_cmp_lt_f32_e32 vcc_lo, v34, v35
	v_dual_add_nc_u32 v31, 8, v31 :: v_dual_cndmask_b32 v23, v23, v33, vcc_lo
	v_cndmask_b32_e32 v22, v22, v32, vcc_lo
	v_cndmask_b32_e64 v24, v24, s0, vcc_lo
	s_add_co_i32 s0, s0, 1
	s_delay_alu instid0(SALU_CYCLE_1)
	s_cmp_lg_u32 s14, s0
	s_cbranch_scc1 .LBB14_24
.LBB14_25:
	s_wait_dscnt 0x0
	v_cmp_neq_f32_e32 vcc_lo, 0, v22
	v_cmp_neq_f32_e64 s0, 0, v23
	s_or_b32 s1, vcc_lo, s0
	s_delay_alu instid0(SALU_CYCLE_1)
	s_and_saveexec_b32 s0, s1
	s_cbranch_execz .LBB14_31
; %bb.26:
	v_cmp_ngt_f32_e64 s1, |v22|, |v23|
	s_and_saveexec_b32 s15, s1
	s_delay_alu instid0(SALU_CYCLE_1)
	s_xor_b32 s1, exec_lo, s15
	s_cbranch_execz .LBB14_28
; %bb.27:
	v_div_scale_f32 v29, null, v23, v23, v22
	v_div_scale_f32 v33, vcc_lo, v22, v23, v22
	s_delay_alu instid0(VALU_DEP_2) | instskip(SKIP_1) | instid1(TRANS32_DEP_1)
	v_rcp_f32_e32 v31, v29
	v_nop
	v_fma_f32 v32, -v29, v31, 1.0
	s_delay_alu instid0(VALU_DEP_1) | instskip(NEXT) | instid1(VALU_DEP_1)
	v_fmac_f32_e32 v31, v32, v31
	v_mul_f32_e32 v32, v33, v31
	s_delay_alu instid0(VALU_DEP_1) | instskip(NEXT) | instid1(VALU_DEP_1)
	v_fma_f32 v34, -v29, v32, v33
	v_fmac_f32_e32 v32, v34, v31
	s_delay_alu instid0(VALU_DEP_1) | instskip(NEXT) | instid1(VALU_DEP_1)
	v_fma_f32 v29, -v29, v32, v33
	v_div_fmas_f32 v29, v29, v31, v32
	s_delay_alu instid0(VALU_DEP_1) | instskip(NEXT) | instid1(VALU_DEP_1)
	v_div_fixup_f32 v29, v29, v23, v22
	v_fmac_f32_e32 v23, v22, v29
	s_delay_alu instid0(VALU_DEP_1) | instskip(SKIP_1) | instid1(VALU_DEP_2)
	v_div_scale_f32 v22, null, v23, v23, 1.0
	v_div_scale_f32 v33, vcc_lo, 1.0, v23, 1.0
	v_rcp_f32_e32 v31, v22
	v_nop
	s_delay_alu instid0(TRANS32_DEP_1) | instskip(NEXT) | instid1(VALU_DEP_1)
	v_fma_f32 v32, -v22, v31, 1.0
	v_fmac_f32_e32 v31, v32, v31
	s_delay_alu instid0(VALU_DEP_1) | instskip(NEXT) | instid1(VALU_DEP_1)
	v_mul_f32_e32 v32, v33, v31
	v_fma_f32 v34, -v22, v32, v33
	s_delay_alu instid0(VALU_DEP_1) | instskip(NEXT) | instid1(VALU_DEP_1)
	v_fmac_f32_e32 v32, v34, v31
	v_fma_f32 v22, -v22, v32, v33
	s_delay_alu instid0(VALU_DEP_1) | instskip(NEXT) | instid1(VALU_DEP_1)
	v_div_fmas_f32 v22, v22, v31, v32
	v_div_fixup_f32 v23, v22, v23, 1.0
	s_delay_alu instid0(VALU_DEP_1)
	v_mul_f32_e32 v22, v29, v23
	v_xor_b32_e32 v23, 0x80000000, v23
.LBB14_28:
	s_and_not1_saveexec_b32 s1, s1
	s_cbranch_execz .LBB14_30
; %bb.29:
	s_delay_alu instid0(VALU_DEP_1) | instskip(SKIP_1) | instid1(VALU_DEP_2)
	v_div_scale_f32 v29, null, v22, v22, v23
	v_div_scale_f32 v33, vcc_lo, v23, v22, v23
	v_rcp_f32_e32 v31, v29
	v_nop
	s_delay_alu instid0(TRANS32_DEP_1) | instskip(NEXT) | instid1(VALU_DEP_1)
	v_fma_f32 v32, -v29, v31, 1.0
	v_fmac_f32_e32 v31, v32, v31
	s_delay_alu instid0(VALU_DEP_1) | instskip(NEXT) | instid1(VALU_DEP_1)
	v_mul_f32_e32 v32, v33, v31
	v_fma_f32 v34, -v29, v32, v33
	s_delay_alu instid0(VALU_DEP_1) | instskip(NEXT) | instid1(VALU_DEP_1)
	v_fmac_f32_e32 v32, v34, v31
	v_fma_f32 v29, -v29, v32, v33
	s_delay_alu instid0(VALU_DEP_1) | instskip(NEXT) | instid1(VALU_DEP_1)
	v_div_fmas_f32 v29, v29, v31, v32
	v_div_fixup_f32 v29, v29, v22, v23
	s_delay_alu instid0(VALU_DEP_1) | instskip(NEXT) | instid1(VALU_DEP_1)
	v_fmac_f32_e32 v22, v23, v29
	v_div_scale_f32 v23, null, v22, v22, 1.0
	s_delay_alu instid0(VALU_DEP_1) | instskip(SKIP_1) | instid1(TRANS32_DEP_1)
	v_rcp_f32_e32 v31, v23
	v_nop
	v_fma_f32 v32, -v23, v31, 1.0
	s_delay_alu instid0(VALU_DEP_1) | instskip(SKIP_1) | instid1(VALU_DEP_1)
	v_fmac_f32_e32 v31, v32, v31
	v_div_scale_f32 v32, vcc_lo, 1.0, v22, 1.0
	v_mul_f32_e32 v33, v32, v31
	s_delay_alu instid0(VALU_DEP_1) | instskip(NEXT) | instid1(VALU_DEP_1)
	v_fma_f32 v34, -v23, v33, v32
	v_fmac_f32_e32 v33, v34, v31
	s_delay_alu instid0(VALU_DEP_1) | instskip(NEXT) | instid1(VALU_DEP_1)
	v_fma_f32 v23, -v23, v33, v32
	v_div_fmas_f32 v23, v23, v31, v33
	s_delay_alu instid0(VALU_DEP_1) | instskip(NEXT) | instid1(VALU_DEP_1)
	v_div_fixup_f32 v22, v23, v22, 1.0
	v_mul_f32_e64 v23, v29, -v22
.LBB14_30:
	s_or_b32 exec_lo, exec_lo, s1
	v_mov_b32_e32 v29, v30
.LBB14_31:
	s_or_b32 exec_lo, exec_lo, s0
	s_delay_alu instid0(SALU_CYCLE_1)
	s_mov_b32 s0, exec_lo
	v_cmpx_ne_u32_e64 v25, v24
	s_xor_b32 s0, exec_lo, s0
	s_cbranch_execz .LBB14_37
; %bb.32:
	s_mov_b32 s1, exec_lo
	v_cmpx_eq_u32_e32 1, v25
	s_cbranch_execz .LBB14_36
; %bb.33:
	v_cmp_ne_u32_e32 vcc_lo, 1, v24
	s_xor_b32 s15, s12, -1
	s_delay_alu instid0(SALU_CYCLE_1) | instskip(NEXT) | instid1(SALU_CYCLE_1)
	s_and_b32 s16, s15, vcc_lo
	s_and_saveexec_b32 s15, s16
	s_cbranch_execz .LBB14_35
; %bb.34:
	v_ashrrev_i32_e32 v25, 31, v24
	s_delay_alu instid0(VALU_DEP_1)
	v_lshl_add_u64 v[30:31], v[24:25], 2, v[20:21]
	s_clause 0x1
	global_load_b32 v25, v[30:31], off
	global_load_b32 v28, v[20:21], off offset:4
	s_wait_loadcnt 0x1
	global_store_b32 v[20:21], v25, off offset:4
	s_wait_loadcnt 0x0
	global_store_b32 v[30:31], v28, off
.LBB14_35:
	s_wait_xcnt 0x0
	s_or_b32 exec_lo, exec_lo, s15
	v_dual_mov_b32 v25, v24 :: v_dual_mov_b32 v28, v24
.LBB14_36:
	s_or_b32 exec_lo, exec_lo, s1
.LBB14_37:
	s_and_not1_saveexec_b32 s0, s0
	s_cbranch_execz .LBB14_39
; %bb.38:
	v_dual_mov_b32 v30, v6 :: v_dual_mov_b32 v31, v7
	v_dual_mov_b32 v32, v4 :: v_dual_mov_b32 v33, v5
	;; [unrolled: 1-line block ×5, first 2 shown]
	v_mov_b32_e32 v39, v11
	ds_store_2addr_b64 v26, v[30:31], v[32:33] offset0:2 offset1:3
	ds_store_2addr_b64 v26, v[34:35], v[36:37] offset0:4 offset1:5
	;; [unrolled: 1-line block ×3, first 2 shown]
.LBB14_39:
	s_or_b32 exec_lo, exec_lo, s0
	s_delay_alu instid0(SALU_CYCLE_1)
	s_mov_b32 s0, exec_lo
	s_wait_storecnt_dscnt 0x0
	s_barrier_signal -1
	s_barrier_wait -1
	v_cmpx_lt_i32_e32 1, v25
	s_cbranch_execz .LBB14_41
; %bb.40:
	ds_load_2addr_b64 v[30:33], v26 offset0:2 offset1:3
	ds_load_2addr_b64 v[34:37], v26 offset0:4 offset1:5
	;; [unrolled: 1-line block ×3, first 2 shown]
	v_pk_mul_f32 v[42:43], v[22:23], v[16:17] op_sel:[1,1] op_sel_hi:[0,1]
	s_delay_alu instid0(VALU_DEP_1) | instskip(SKIP_1) | instid1(VALU_DEP_1)
	v_pk_fma_f32 v[44:45], v[22:23], v[16:17], v[42:43] op_sel_hi:[1,0,1] neg_lo:[0,0,1] neg_hi:[0,0,1]
	v_pk_fma_f32 v[22:23], v[22:23], v[16:17], v[42:43] op_sel_hi:[1,0,1]
	v_dual_mov_b32 v16, v44 :: v_dual_mov_b32 v17, v23
	s_wait_dscnt 0x2
	s_delay_alu instid0(VALU_DEP_2)
	v_pk_mul_f32 v[42:43], v[30:31], v[22:23] op_sel:[0,1]
	v_pk_mul_f32 v[46:47], v[32:33], v[22:23] op_sel:[0,1]
	s_wait_dscnt 0x1
	v_pk_mul_f32 v[48:49], v[34:35], v[22:23] op_sel:[0,1]
	v_dual_mov_b32 v50, v37 :: v_dual_mov_b32 v51, v36
	v_dual_mul_f32 v24, v37, v23 :: v_dual_mul_f32 v52, v37, v44
	s_wait_dscnt 0x0
	v_pk_mul_f32 v[54:55], v[38:39], v[22:23] op_sel:[0,1]
	v_dual_mov_b32 v56, v41 :: v_dual_mov_b32 v57, v40
	v_dual_mul_f32 v22, v41, v23 :: v_dual_mul_f32 v58, v41, v44
	v_pk_fma_f32 v[60:61], v[30:31], v[44:45], v[42:43] op_sel:[0,0,1] op_sel_hi:[1,1,0] neg_lo:[0,0,1] neg_hi:[0,0,1]
	v_pk_fma_f32 v[30:31], v[30:31], v[44:45], v[42:43] op_sel:[0,0,1] op_sel_hi:[1,0,0]
	v_pk_fma_f32 v[42:43], v[32:33], v[44:45], v[46:47] op_sel:[0,0,1] op_sel_hi:[1,1,0] neg_lo:[0,0,1] neg_hi:[0,0,1]
	v_pk_fma_f32 v[32:33], v[32:33], v[44:45], v[46:47] op_sel:[0,0,1] op_sel_hi:[1,0,0]
	;; [unrolled: 2-line block ×3, first 2 shown]
	v_pk_fma_f32 v[48:49], v[50:51], v[16:17], v[52:53] op_sel_hi:[1,1,0]
	v_pk_fma_f32 v[50:51], v[38:39], v[44:45], v[54:55] op_sel:[0,0,1] op_sel_hi:[1,1,0] neg_lo:[0,0,1] neg_hi:[0,0,1]
	v_pk_fma_f32 v[38:39], v[38:39], v[44:45], v[54:55] op_sel:[0,0,1] op_sel_hi:[1,0,0]
	v_dual_mov_b32 v61, v31 :: v_dual_mov_b32 v43, v33
	v_pk_fma_f32 v[30:31], v[56:57], v[16:17], v[58:59] op_sel_hi:[1,1,0]
	v_pk_fma_f32 v[36:37], v[36:37], v[16:17], v[24:25] op_sel_hi:[1,1,0] neg_lo:[0,0,1] neg_hi:[0,0,1]
	v_pk_fma_f32 v[22:23], v[40:41], v[16:17], v[22:23] op_sel_hi:[1,1,0] neg_lo:[0,0,1] neg_hi:[0,0,1]
	v_dual_mov_b32 v47, v35 :: v_dual_mov_b32 v37, v49
	s_delay_alu instid0(VALU_DEP_4) | instskip(SKIP_2) | instid1(VALU_DEP_4)
	v_dual_mov_b32 v51, v39 :: v_dual_mov_b32 v23, v31
	v_pk_add_f32 v[6:7], v[6:7], v[60:61] neg_lo:[0,1] neg_hi:[0,1]
	v_pk_add_f32 v[4:5], v[4:5], v[42:43] neg_lo:[0,1] neg_hi:[0,1]
	;; [unrolled: 1-line block ×6, first 2 shown]
.LBB14_41:
	s_or_b32 exec_lo, exec_lo, s0
	v_lshl_add_u32 v22, v25, 3, v26
	s_barrier_signal -1
	s_barrier_wait -1
	ds_store_b64 v22, v[6:7]
	s_wait_dscnt 0x0
	s_barrier_signal -1
	s_barrier_wait -1
	ds_load_b64 v[22:23], v26 offset:16
	v_mov_b32_e32 v24, 2
	s_cmp_lt_i32 s14, 4
	s_mov_b32 s0, 3
	s_cbranch_scc1 .LBB14_44
; %bb.42:
	v_add3_u32 v30, v27, 0, 24
	v_mov_b32_e32 v24, 2
.LBB14_43:                              ; =>This Inner Loop Header: Depth=1
	ds_load_b64 v[32:33], v30
	s_wait_dscnt 0x1
	v_cmp_gt_f32_e32 vcc_lo, 0, v22
	v_cndmask_b32_e64 v34, v22, -v22, vcc_lo
	v_cmp_gt_f32_e32 vcc_lo, 0, v23
	v_cndmask_b32_e64 v36, v23, -v23, vcc_lo
	s_wait_dscnt 0x0
	v_cmp_gt_f32_e32 vcc_lo, 0, v32
	v_cndmask_b32_e64 v35, v32, -v32, vcc_lo
	v_cmp_gt_f32_e32 vcc_lo, 0, v33
	v_cndmask_b32_e64 v37, v33, -v33, vcc_lo
	s_delay_alu instid0(VALU_DEP_1) | instskip(NEXT) | instid1(VALU_DEP_1)
	v_pk_add_f32 v[34:35], v[34:35], v[36:37]
	v_cmp_lt_f32_e32 vcc_lo, v34, v35
	v_dual_cndmask_b32 v23, v23, v33 :: v_dual_add_nc_u32 v30, 8, v30
	v_cndmask_b32_e32 v22, v22, v32, vcc_lo
	v_cndmask_b32_e64 v24, v24, s0, vcc_lo
	s_add_co_i32 s0, s0, 1
	s_delay_alu instid0(SALU_CYCLE_1)
	s_cmp_lg_u32 s14, s0
	s_cbranch_scc1 .LBB14_43
.LBB14_44:
	s_wait_dscnt 0x0
	v_cmp_eq_f32_e32 vcc_lo, 0, v22
	v_cmp_eq_f32_e64 s0, 0, v23
	s_and_b32 s0, vcc_lo, s0
	s_delay_alu instid0(SALU_CYCLE_1) | instskip(NEXT) | instid1(SALU_CYCLE_1)
	s_and_saveexec_b32 s1, s0
	s_xor_b32 s0, exec_lo, s1
; %bb.45:
	v_cmp_ne_u32_e32 vcc_lo, 0, v29
	v_cndmask_b32_e32 v29, 3, v29, vcc_lo
; %bb.46:
	s_and_not1_saveexec_b32 s0, s0
	s_cbranch_execz .LBB14_52
; %bb.47:
	v_cmp_ngt_f32_e64 s1, |v22|, |v23|
	s_and_saveexec_b32 s15, s1
	s_delay_alu instid0(SALU_CYCLE_1)
	s_xor_b32 s1, exec_lo, s15
	s_cbranch_execz .LBB14_49
; %bb.48:
	v_div_scale_f32 v30, null, v23, v23, v22
	v_div_scale_f32 v33, vcc_lo, v22, v23, v22
	s_delay_alu instid0(VALU_DEP_2) | instskip(SKIP_1) | instid1(TRANS32_DEP_1)
	v_rcp_f32_e32 v31, v30
	v_nop
	v_fma_f32 v32, -v30, v31, 1.0
	s_delay_alu instid0(VALU_DEP_1) | instskip(NEXT) | instid1(VALU_DEP_1)
	v_fmac_f32_e32 v31, v32, v31
	v_mul_f32_e32 v32, v33, v31
	s_delay_alu instid0(VALU_DEP_1) | instskip(NEXT) | instid1(VALU_DEP_1)
	v_fma_f32 v34, -v30, v32, v33
	v_fmac_f32_e32 v32, v34, v31
	s_delay_alu instid0(VALU_DEP_1) | instskip(NEXT) | instid1(VALU_DEP_1)
	v_fma_f32 v30, -v30, v32, v33
	v_div_fmas_f32 v30, v30, v31, v32
	s_delay_alu instid0(VALU_DEP_1) | instskip(NEXT) | instid1(VALU_DEP_1)
	v_div_fixup_f32 v30, v30, v23, v22
	v_fmac_f32_e32 v23, v22, v30
	s_delay_alu instid0(VALU_DEP_1) | instskip(SKIP_1) | instid1(VALU_DEP_2)
	v_div_scale_f32 v22, null, v23, v23, 1.0
	v_div_scale_f32 v33, vcc_lo, 1.0, v23, 1.0
	v_rcp_f32_e32 v31, v22
	v_nop
	s_delay_alu instid0(TRANS32_DEP_1) | instskip(NEXT) | instid1(VALU_DEP_1)
	v_fma_f32 v32, -v22, v31, 1.0
	v_fmac_f32_e32 v31, v32, v31
	s_delay_alu instid0(VALU_DEP_1) | instskip(NEXT) | instid1(VALU_DEP_1)
	v_mul_f32_e32 v32, v33, v31
	v_fma_f32 v34, -v22, v32, v33
	s_delay_alu instid0(VALU_DEP_1) | instskip(NEXT) | instid1(VALU_DEP_1)
	v_fmac_f32_e32 v32, v34, v31
	v_fma_f32 v22, -v22, v32, v33
	s_delay_alu instid0(VALU_DEP_1) | instskip(NEXT) | instid1(VALU_DEP_1)
	v_div_fmas_f32 v22, v22, v31, v32
	v_div_fixup_f32 v23, v22, v23, 1.0
	s_delay_alu instid0(VALU_DEP_1)
	v_mul_f32_e32 v22, v30, v23
	v_xor_b32_e32 v23, 0x80000000, v23
.LBB14_49:
	s_and_not1_saveexec_b32 s1, s1
	s_cbranch_execz .LBB14_51
; %bb.50:
	s_delay_alu instid0(VALU_DEP_1) | instskip(SKIP_1) | instid1(VALU_DEP_2)
	v_div_scale_f32 v30, null, v22, v22, v23
	v_div_scale_f32 v33, vcc_lo, v23, v22, v23
	v_rcp_f32_e32 v31, v30
	v_nop
	s_delay_alu instid0(TRANS32_DEP_1) | instskip(NEXT) | instid1(VALU_DEP_1)
	v_fma_f32 v32, -v30, v31, 1.0
	v_fmac_f32_e32 v31, v32, v31
	s_delay_alu instid0(VALU_DEP_1) | instskip(NEXT) | instid1(VALU_DEP_1)
	v_mul_f32_e32 v32, v33, v31
	v_fma_f32 v34, -v30, v32, v33
	s_delay_alu instid0(VALU_DEP_1) | instskip(NEXT) | instid1(VALU_DEP_1)
	v_fmac_f32_e32 v32, v34, v31
	v_fma_f32 v30, -v30, v32, v33
	s_delay_alu instid0(VALU_DEP_1) | instskip(NEXT) | instid1(VALU_DEP_1)
	v_div_fmas_f32 v30, v30, v31, v32
	v_div_fixup_f32 v30, v30, v22, v23
	s_delay_alu instid0(VALU_DEP_1) | instskip(NEXT) | instid1(VALU_DEP_1)
	v_fmac_f32_e32 v22, v23, v30
	v_div_scale_f32 v23, null, v22, v22, 1.0
	s_delay_alu instid0(VALU_DEP_1) | instskip(SKIP_1) | instid1(TRANS32_DEP_1)
	v_rcp_f32_e32 v31, v23
	v_nop
	v_fma_f32 v32, -v23, v31, 1.0
	s_delay_alu instid0(VALU_DEP_1) | instskip(SKIP_1) | instid1(VALU_DEP_1)
	v_fmac_f32_e32 v31, v32, v31
	v_div_scale_f32 v32, vcc_lo, 1.0, v22, 1.0
	v_mul_f32_e32 v33, v32, v31
	s_delay_alu instid0(VALU_DEP_1) | instskip(NEXT) | instid1(VALU_DEP_1)
	v_fma_f32 v34, -v23, v33, v32
	v_fmac_f32_e32 v33, v34, v31
	s_delay_alu instid0(VALU_DEP_1) | instskip(NEXT) | instid1(VALU_DEP_1)
	v_fma_f32 v23, -v23, v33, v32
	v_div_fmas_f32 v23, v23, v31, v33
	s_delay_alu instid0(VALU_DEP_1) | instskip(NEXT) | instid1(VALU_DEP_1)
	v_div_fixup_f32 v22, v23, v22, 1.0
	v_mul_f32_e64 v23, v30, -v22
.LBB14_51:
	s_or_b32 exec_lo, exec_lo, s1
.LBB14_52:
	s_delay_alu instid0(SALU_CYCLE_1) | instskip(NEXT) | instid1(SALU_CYCLE_1)
	s_or_b32 exec_lo, exec_lo, s0
	s_mov_b32 s0, exec_lo
	v_cmpx_ne_u32_e64 v25, v24
	s_xor_b32 s0, exec_lo, s0
	s_cbranch_execz .LBB14_58
; %bb.53:
	s_mov_b32 s1, exec_lo
	v_cmpx_eq_u32_e32 2, v25
	s_cbranch_execz .LBB14_57
; %bb.54:
	v_cmp_ne_u32_e32 vcc_lo, 2, v24
	s_xor_b32 s15, s12, -1
	s_delay_alu instid0(SALU_CYCLE_1) | instskip(NEXT) | instid1(SALU_CYCLE_1)
	s_and_b32 s16, s15, vcc_lo
	s_and_saveexec_b32 s15, s16
	s_cbranch_execz .LBB14_56
; %bb.55:
	v_ashrrev_i32_e32 v25, 31, v24
	s_delay_alu instid0(VALU_DEP_1)
	v_lshl_add_u64 v[30:31], v[24:25], 2, v[20:21]
	s_clause 0x1
	global_load_b32 v25, v[30:31], off
	global_load_b32 v28, v[20:21], off offset:8
	s_wait_loadcnt 0x1
	global_store_b32 v[20:21], v25, off offset:8
	s_wait_loadcnt 0x0
	global_store_b32 v[30:31], v28, off
.LBB14_56:
	s_wait_xcnt 0x0
	s_or_b32 exec_lo, exec_lo, s15
	v_dual_mov_b32 v25, v24 :: v_dual_mov_b32 v28, v24
.LBB14_57:
	s_or_b32 exec_lo, exec_lo, s1
.LBB14_58:
	s_and_not1_saveexec_b32 s0, s0
	s_cbranch_execz .LBB14_60
; %bb.59:
	v_mov_b32_e32 v25, 2
	ds_store_2addr_b64 v26, v[4:5], v[14:15] offset0:3 offset1:4
	ds_store_2addr_b64 v26, v[12:13], v[10:11] offset0:5 offset1:6
	ds_store_b64 v26, v[18:19] offset:56
.LBB14_60:
	s_or_b32 exec_lo, exec_lo, s0
	s_delay_alu instid0(SALU_CYCLE_1)
	s_mov_b32 s0, exec_lo
	s_wait_storecnt_dscnt 0x0
	s_barrier_signal -1
	s_barrier_wait -1
	v_cmpx_lt_i32_e32 2, v25
	s_cbranch_execz .LBB14_62
; %bb.61:
	ds_load_2addr_b64 v[30:33], v26 offset0:3 offset1:4
	ds_load_2addr_b64 v[34:37], v26 offset0:5 offset1:6
	ds_load_b64 v[38:39], v26 offset:56
	v_pk_mul_f32 v[40:41], v[22:23], v[6:7] op_sel:[1,1] op_sel_hi:[0,1]
	s_delay_alu instid0(VALU_DEP_1) | instskip(SKIP_1) | instid1(VALU_DEP_1)
	v_pk_fma_f32 v[42:43], v[22:23], v[6:7], v[40:41] op_sel_hi:[1,0,1] neg_lo:[0,0,1] neg_hi:[0,0,1]
	v_pk_fma_f32 v[22:23], v[22:23], v[6:7], v[40:41] op_sel_hi:[1,0,1]
	v_dual_mov_b32 v6, v42 :: v_dual_mov_b32 v7, v23
	s_wait_dscnt 0x2
	s_delay_alu instid0(VALU_DEP_2)
	v_pk_mul_f32 v[40:41], v[30:31], v[22:23] op_sel:[0,1]
	v_pk_mul_f32 v[44:45], v[32:33], v[22:23] op_sel:[0,1]
	s_wait_dscnt 0x1
	v_pk_mul_f32 v[46:47], v[34:35], v[22:23] op_sel:[0,1]
	v_dual_mov_b32 v48, v37 :: v_dual_mov_b32 v49, v36
	v_dual_mul_f32 v24, v37, v23 :: v_dual_mul_f32 v50, v37, v42
	s_wait_dscnt 0x0
	v_pk_mul_f32 v[22:23], v[38:39], v[22:23] op_sel:[0,1]
	v_pk_fma_f32 v[52:53], v[30:31], v[42:43], v[40:41] op_sel:[0,0,1] op_sel_hi:[1,1,0] neg_lo:[0,0,1] neg_hi:[0,0,1]
	v_pk_fma_f32 v[30:31], v[30:31], v[42:43], v[40:41] op_sel:[0,0,1] op_sel_hi:[1,0,0]
	v_pk_fma_f32 v[40:41], v[32:33], v[42:43], v[44:45] op_sel:[0,0,1] op_sel_hi:[1,1,0] neg_lo:[0,0,1] neg_hi:[0,0,1]
	v_pk_fma_f32 v[32:33], v[32:33], v[42:43], v[44:45] op_sel:[0,0,1] op_sel_hi:[1,0,0]
	;; [unrolled: 2-line block ×3, first 2 shown]
	v_pk_fma_f32 v[46:47], v[48:49], v[6:7], v[50:51] op_sel_hi:[1,1,0]
	v_pk_fma_f32 v[48:49], v[38:39], v[42:43], v[22:23] op_sel:[0,0,1] op_sel_hi:[1,1,0] neg_lo:[0,0,1] neg_hi:[0,0,1]
	v_pk_fma_f32 v[22:23], v[38:39], v[42:43], v[22:23] op_sel:[0,0,1] op_sel_hi:[1,0,0]
	v_pk_fma_f32 v[36:37], v[36:37], v[6:7], v[24:25] op_sel_hi:[1,1,0] neg_lo:[0,0,1] neg_hi:[0,0,1]
	v_dual_mov_b32 v53, v31 :: v_dual_mov_b32 v41, v33
	v_dual_mov_b32 v45, v35 :: v_dual_mov_b32 v37, v47
	s_delay_alu instid0(VALU_DEP_4) | instskip(NEXT) | instid1(VALU_DEP_3)
	v_mov_b32_e32 v49, v23
	v_pk_add_f32 v[4:5], v[4:5], v[52:53] neg_lo:[0,1] neg_hi:[0,1]
	s_delay_alu instid0(VALU_DEP_4) | instskip(NEXT) | instid1(VALU_DEP_4)
	v_pk_add_f32 v[14:15], v[14:15], v[40:41] neg_lo:[0,1] neg_hi:[0,1]
	v_pk_add_f32 v[12:13], v[12:13], v[44:45] neg_lo:[0,1] neg_hi:[0,1]
	;; [unrolled: 1-line block ×4, first 2 shown]
.LBB14_62:
	s_or_b32 exec_lo, exec_lo, s0
	v_lshl_add_u32 v22, v25, 3, v26
	s_barrier_signal -1
	s_barrier_wait -1
	ds_store_b64 v22, v[4:5]
	s_wait_dscnt 0x0
	s_barrier_signal -1
	s_barrier_wait -1
	ds_load_b64 v[22:23], v26 offset:24
	v_mov_b32_e32 v24, 3
	s_cmp_lt_i32 s14, 5
	s_cbranch_scc1 .LBB14_65
; %bb.63:
	v_mov_b32_e32 v24, 3
	v_add3_u32 v30, v27, 0, 32
	s_mov_b32 s0, 4
.LBB14_64:                              ; =>This Inner Loop Header: Depth=1
	ds_load_b64 v[32:33], v30
	s_wait_dscnt 0x1
	v_cmp_gt_f32_e32 vcc_lo, 0, v22
	v_cndmask_b32_e64 v34, v22, -v22, vcc_lo
	v_cmp_gt_f32_e32 vcc_lo, 0, v23
	v_cndmask_b32_e64 v36, v23, -v23, vcc_lo
	s_wait_dscnt 0x0
	v_cmp_gt_f32_e32 vcc_lo, 0, v32
	v_cndmask_b32_e64 v35, v32, -v32, vcc_lo
	v_cmp_gt_f32_e32 vcc_lo, 0, v33
	v_cndmask_b32_e64 v37, v33, -v33, vcc_lo
	s_delay_alu instid0(VALU_DEP_1) | instskip(NEXT) | instid1(VALU_DEP_1)
	v_pk_add_f32 v[34:35], v[34:35], v[36:37]
	v_cmp_lt_f32_e32 vcc_lo, v34, v35
	v_dual_cndmask_b32 v23, v23, v33 :: v_dual_add_nc_u32 v30, 8, v30
	v_cndmask_b32_e32 v22, v22, v32, vcc_lo
	v_cndmask_b32_e64 v24, v24, s0, vcc_lo
	s_add_co_i32 s0, s0, 1
	s_delay_alu instid0(SALU_CYCLE_1)
	s_cmp_lg_u32 s14, s0
	s_cbranch_scc1 .LBB14_64
.LBB14_65:
	s_wait_dscnt 0x0
	v_cmp_eq_f32_e32 vcc_lo, 0, v22
	v_cmp_eq_f32_e64 s0, 0, v23
	s_and_b32 s0, vcc_lo, s0
	s_delay_alu instid0(SALU_CYCLE_1) | instskip(NEXT) | instid1(SALU_CYCLE_1)
	s_and_saveexec_b32 s1, s0
	s_xor_b32 s0, exec_lo, s1
; %bb.66:
	v_cmp_ne_u32_e32 vcc_lo, 0, v29
	v_cndmask_b32_e32 v29, 4, v29, vcc_lo
; %bb.67:
	s_and_not1_saveexec_b32 s0, s0
	s_cbranch_execz .LBB14_73
; %bb.68:
	v_cmp_ngt_f32_e64 s1, |v22|, |v23|
	s_and_saveexec_b32 s15, s1
	s_delay_alu instid0(SALU_CYCLE_1)
	s_xor_b32 s1, exec_lo, s15
	s_cbranch_execz .LBB14_70
; %bb.69:
	v_div_scale_f32 v30, null, v23, v23, v22
	v_div_scale_f32 v33, vcc_lo, v22, v23, v22
	s_delay_alu instid0(VALU_DEP_2) | instskip(SKIP_1) | instid1(TRANS32_DEP_1)
	v_rcp_f32_e32 v31, v30
	v_nop
	v_fma_f32 v32, -v30, v31, 1.0
	s_delay_alu instid0(VALU_DEP_1) | instskip(NEXT) | instid1(VALU_DEP_1)
	v_fmac_f32_e32 v31, v32, v31
	v_mul_f32_e32 v32, v33, v31
	s_delay_alu instid0(VALU_DEP_1) | instskip(NEXT) | instid1(VALU_DEP_1)
	v_fma_f32 v34, -v30, v32, v33
	v_fmac_f32_e32 v32, v34, v31
	s_delay_alu instid0(VALU_DEP_1) | instskip(NEXT) | instid1(VALU_DEP_1)
	v_fma_f32 v30, -v30, v32, v33
	v_div_fmas_f32 v30, v30, v31, v32
	s_delay_alu instid0(VALU_DEP_1) | instskip(NEXT) | instid1(VALU_DEP_1)
	v_div_fixup_f32 v30, v30, v23, v22
	v_fmac_f32_e32 v23, v22, v30
	s_delay_alu instid0(VALU_DEP_1) | instskip(SKIP_1) | instid1(VALU_DEP_2)
	v_div_scale_f32 v22, null, v23, v23, 1.0
	v_div_scale_f32 v33, vcc_lo, 1.0, v23, 1.0
	v_rcp_f32_e32 v31, v22
	v_nop
	s_delay_alu instid0(TRANS32_DEP_1) | instskip(NEXT) | instid1(VALU_DEP_1)
	v_fma_f32 v32, -v22, v31, 1.0
	v_fmac_f32_e32 v31, v32, v31
	s_delay_alu instid0(VALU_DEP_1) | instskip(NEXT) | instid1(VALU_DEP_1)
	v_mul_f32_e32 v32, v33, v31
	v_fma_f32 v34, -v22, v32, v33
	s_delay_alu instid0(VALU_DEP_1) | instskip(NEXT) | instid1(VALU_DEP_1)
	v_fmac_f32_e32 v32, v34, v31
	v_fma_f32 v22, -v22, v32, v33
	s_delay_alu instid0(VALU_DEP_1) | instskip(NEXT) | instid1(VALU_DEP_1)
	v_div_fmas_f32 v22, v22, v31, v32
	v_div_fixup_f32 v23, v22, v23, 1.0
	s_delay_alu instid0(VALU_DEP_1)
	v_mul_f32_e32 v22, v30, v23
	v_xor_b32_e32 v23, 0x80000000, v23
.LBB14_70:
	s_and_not1_saveexec_b32 s1, s1
	s_cbranch_execz .LBB14_72
; %bb.71:
	s_delay_alu instid0(VALU_DEP_1) | instskip(SKIP_1) | instid1(VALU_DEP_2)
	v_div_scale_f32 v30, null, v22, v22, v23
	v_div_scale_f32 v33, vcc_lo, v23, v22, v23
	v_rcp_f32_e32 v31, v30
	v_nop
	s_delay_alu instid0(TRANS32_DEP_1) | instskip(NEXT) | instid1(VALU_DEP_1)
	v_fma_f32 v32, -v30, v31, 1.0
	v_fmac_f32_e32 v31, v32, v31
	s_delay_alu instid0(VALU_DEP_1) | instskip(NEXT) | instid1(VALU_DEP_1)
	v_mul_f32_e32 v32, v33, v31
	v_fma_f32 v34, -v30, v32, v33
	s_delay_alu instid0(VALU_DEP_1) | instskip(NEXT) | instid1(VALU_DEP_1)
	v_fmac_f32_e32 v32, v34, v31
	v_fma_f32 v30, -v30, v32, v33
	s_delay_alu instid0(VALU_DEP_1) | instskip(NEXT) | instid1(VALU_DEP_1)
	v_div_fmas_f32 v30, v30, v31, v32
	v_div_fixup_f32 v30, v30, v22, v23
	s_delay_alu instid0(VALU_DEP_1) | instskip(NEXT) | instid1(VALU_DEP_1)
	v_fmac_f32_e32 v22, v23, v30
	v_div_scale_f32 v23, null, v22, v22, 1.0
	s_delay_alu instid0(VALU_DEP_1) | instskip(SKIP_1) | instid1(TRANS32_DEP_1)
	v_rcp_f32_e32 v31, v23
	v_nop
	v_fma_f32 v32, -v23, v31, 1.0
	s_delay_alu instid0(VALU_DEP_1) | instskip(SKIP_1) | instid1(VALU_DEP_1)
	v_fmac_f32_e32 v31, v32, v31
	v_div_scale_f32 v32, vcc_lo, 1.0, v22, 1.0
	v_mul_f32_e32 v33, v32, v31
	s_delay_alu instid0(VALU_DEP_1) | instskip(NEXT) | instid1(VALU_DEP_1)
	v_fma_f32 v34, -v23, v33, v32
	v_fmac_f32_e32 v33, v34, v31
	s_delay_alu instid0(VALU_DEP_1) | instskip(NEXT) | instid1(VALU_DEP_1)
	v_fma_f32 v23, -v23, v33, v32
	v_div_fmas_f32 v23, v23, v31, v33
	s_delay_alu instid0(VALU_DEP_1) | instskip(NEXT) | instid1(VALU_DEP_1)
	v_div_fixup_f32 v22, v23, v22, 1.0
	v_mul_f32_e64 v23, v30, -v22
.LBB14_72:
	s_or_b32 exec_lo, exec_lo, s1
.LBB14_73:
	s_delay_alu instid0(SALU_CYCLE_1) | instskip(NEXT) | instid1(SALU_CYCLE_1)
	s_or_b32 exec_lo, exec_lo, s0
	s_mov_b32 s0, exec_lo
	v_cmpx_ne_u32_e64 v25, v24
	s_xor_b32 s0, exec_lo, s0
	s_cbranch_execz .LBB14_79
; %bb.74:
	s_mov_b32 s1, exec_lo
	v_cmpx_eq_u32_e32 3, v25
	s_cbranch_execz .LBB14_78
; %bb.75:
	v_cmp_ne_u32_e32 vcc_lo, 3, v24
	s_xor_b32 s15, s12, -1
	s_delay_alu instid0(SALU_CYCLE_1) | instskip(NEXT) | instid1(SALU_CYCLE_1)
	s_and_b32 s16, s15, vcc_lo
	s_and_saveexec_b32 s15, s16
	s_cbranch_execz .LBB14_77
; %bb.76:
	v_ashrrev_i32_e32 v25, 31, v24
	s_delay_alu instid0(VALU_DEP_1)
	v_lshl_add_u64 v[30:31], v[24:25], 2, v[20:21]
	s_clause 0x1
	global_load_b32 v25, v[30:31], off
	global_load_b32 v28, v[20:21], off offset:12
	s_wait_loadcnt 0x1
	global_store_b32 v[20:21], v25, off offset:12
	s_wait_loadcnt 0x0
	global_store_b32 v[30:31], v28, off
.LBB14_77:
	s_wait_xcnt 0x0
	s_or_b32 exec_lo, exec_lo, s15
	v_dual_mov_b32 v25, v24 :: v_dual_mov_b32 v28, v24
.LBB14_78:
	s_or_b32 exec_lo, exec_lo, s1
.LBB14_79:
	s_and_not1_saveexec_b32 s0, s0
	s_cbranch_execz .LBB14_81
; %bb.80:
	v_dual_mov_b32 v30, v14 :: v_dual_mov_b32 v31, v15
	v_dual_mov_b32 v32, v12 :: v_dual_mov_b32 v33, v13
	;; [unrolled: 1-line block ×3, first 2 shown]
	v_mov_b32_e32 v35, v11
	ds_store_2addr_b64 v26, v[30:31], v[32:33] offset0:4 offset1:5
	ds_store_2addr_b64 v26, v[34:35], v[18:19] offset0:6 offset1:7
.LBB14_81:
	s_or_b32 exec_lo, exec_lo, s0
	s_delay_alu instid0(SALU_CYCLE_1)
	s_mov_b32 s0, exec_lo
	s_wait_storecnt_dscnt 0x0
	s_barrier_signal -1
	s_barrier_wait -1
	v_cmpx_lt_i32_e32 3, v25
	s_cbranch_execz .LBB14_83
; %bb.82:
	ds_load_2addr_b64 v[30:33], v26 offset0:4 offset1:5
	ds_load_2addr_b64 v[34:37], v26 offset0:6 offset1:7
	v_pk_mul_f32 v[38:39], v[22:23], v[4:5] op_sel:[1,1] op_sel_hi:[0,1]
	s_delay_alu instid0(VALU_DEP_1) | instskip(SKIP_1) | instid1(VALU_DEP_1)
	v_pk_fma_f32 v[40:41], v[22:23], v[4:5], v[38:39] op_sel_hi:[1,0,1] neg_lo:[0,0,1] neg_hi:[0,0,1]
	v_pk_fma_f32 v[22:23], v[22:23], v[4:5], v[38:39] op_sel_hi:[1,0,1]
	v_dual_mov_b32 v4, v40 :: v_dual_mov_b32 v5, v23
	s_wait_dscnt 0x1
	s_delay_alu instid0(VALU_DEP_2)
	v_pk_mul_f32 v[38:39], v[30:31], v[22:23] op_sel:[0,1]
	s_wait_dscnt 0x0
	v_mov_b32_e32 v42, v37
	v_pk_mul_f32 v[44:45], v[32:33], v[22:23] op_sel:[0,1]
	v_pk_mul_f32 v[46:47], v[34:35], v[22:23] op_sel:[0,1]
	v_pk_fma_f32 v[48:49], v[30:31], v[40:41], v[38:39] op_sel:[0,0,1] op_sel_hi:[1,1,0] neg_lo:[0,0,1] neg_hi:[0,0,1]
	v_pk_fma_f32 v[30:31], v[30:31], v[40:41], v[38:39] op_sel:[0,0,1] op_sel_hi:[1,0,0]
	s_delay_alu instid0(VALU_DEP_1) | instskip(NEXT) | instid1(VALU_DEP_1)
	v_dual_mov_b32 v43, v36 :: v_dual_mov_b32 v49, v31
	v_pk_mul_f32 v[38:39], v[42:43], v[22:23] op_sel:[0,1]
	v_pk_fma_f32 v[42:43], v[32:33], v[40:41], v[44:45] op_sel:[0,0,1] op_sel_hi:[1,0,0]
	v_pk_fma_f32 v[32:33], v[32:33], v[40:41], v[44:45] op_sel:[0,0,1] op_sel_hi:[1,1,0] neg_lo:[0,0,1] neg_hi:[0,0,1]
	v_pk_fma_f32 v[44:45], v[34:35], v[40:41], v[46:47] op_sel:[0,0,1] op_sel_hi:[1,0,0]
	v_pk_fma_f32 v[34:35], v[34:35], v[40:41], v[46:47] op_sel:[0,0,1] op_sel_hi:[1,1,0] neg_lo:[0,0,1] neg_hi:[0,0,1]
	v_pk_fma_f32 v[30:31], v[36:37], v[40:41], v[38:39] op_sel_hi:[1,0,1]
	v_pk_fma_f32 v[36:37], v[36:37], v[40:41], v[38:39] neg_lo:[0,0,1] neg_hi:[0,0,1]
	s_delay_alu instid0(VALU_DEP_4) | instskip(SKIP_1) | instid1(VALU_DEP_4)
	v_dual_mov_b32 v33, v43 :: v_dual_mov_b32 v35, v45
	v_pk_add_f32 v[14:15], v[14:15], v[48:49] neg_lo:[0,1] neg_hi:[0,1]
	v_mov_b32_e32 v37, v31
	s_delay_alu instid0(VALU_DEP_3) | instskip(NEXT) | instid1(VALU_DEP_4)
	v_pk_add_f32 v[12:13], v[12:13], v[32:33] neg_lo:[0,1] neg_hi:[0,1]
	v_pk_add_f32 v[10:11], v[10:11], v[34:35] neg_lo:[0,1] neg_hi:[0,1]
	s_delay_alu instid0(VALU_DEP_3)
	v_pk_add_f32 v[18:19], v[18:19], v[36:37] neg_lo:[0,1] neg_hi:[0,1]
.LBB14_83:
	s_or_b32 exec_lo, exec_lo, s0
	v_lshl_add_u32 v22, v25, 3, v26
	s_barrier_signal -1
	s_barrier_wait -1
	ds_store_b64 v22, v[14:15]
	s_wait_dscnt 0x0
	s_barrier_signal -1
	s_barrier_wait -1
	ds_load_b64 v[22:23], v26 offset:32
	v_mov_b32_e32 v24, 4
	s_cmp_lt_i32 s14, 6
	s_cbranch_scc1 .LBB14_86
; %bb.84:
	v_add3_u32 v30, v27, 0, 40
	v_mov_b32_e32 v24, 4
	s_mov_b32 s0, 5
.LBB14_85:                              ; =>This Inner Loop Header: Depth=1
	ds_load_b64 v[32:33], v30
	s_wait_dscnt 0x1
	v_cmp_gt_f32_e32 vcc_lo, 0, v22
	v_cndmask_b32_e64 v34, v22, -v22, vcc_lo
	v_cmp_gt_f32_e32 vcc_lo, 0, v23
	v_cndmask_b32_e64 v36, v23, -v23, vcc_lo
	s_wait_dscnt 0x0
	v_cmp_gt_f32_e32 vcc_lo, 0, v32
	v_cndmask_b32_e64 v35, v32, -v32, vcc_lo
	v_cmp_gt_f32_e32 vcc_lo, 0, v33
	v_cndmask_b32_e64 v37, v33, -v33, vcc_lo
	s_delay_alu instid0(VALU_DEP_1) | instskip(NEXT) | instid1(VALU_DEP_1)
	v_pk_add_f32 v[34:35], v[34:35], v[36:37]
	v_cmp_lt_f32_e32 vcc_lo, v34, v35
	v_dual_cndmask_b32 v23, v23, v33 :: v_dual_add_nc_u32 v30, 8, v30
	v_cndmask_b32_e32 v22, v22, v32, vcc_lo
	v_cndmask_b32_e64 v24, v24, s0, vcc_lo
	s_add_co_i32 s0, s0, 1
	s_delay_alu instid0(SALU_CYCLE_1)
	s_cmp_lg_u32 s14, s0
	s_cbranch_scc1 .LBB14_85
.LBB14_86:
	s_wait_dscnt 0x0
	v_cmp_eq_f32_e32 vcc_lo, 0, v22
	v_cmp_eq_f32_e64 s0, 0, v23
	s_and_b32 s0, vcc_lo, s0
	s_delay_alu instid0(SALU_CYCLE_1) | instskip(NEXT) | instid1(SALU_CYCLE_1)
	s_and_saveexec_b32 s1, s0
	s_xor_b32 s0, exec_lo, s1
; %bb.87:
	v_cmp_ne_u32_e32 vcc_lo, 0, v29
	v_cndmask_b32_e32 v29, 5, v29, vcc_lo
; %bb.88:
	s_and_not1_saveexec_b32 s0, s0
	s_cbranch_execz .LBB14_94
; %bb.89:
	v_cmp_ngt_f32_e64 s1, |v22|, |v23|
	s_and_saveexec_b32 s15, s1
	s_delay_alu instid0(SALU_CYCLE_1)
	s_xor_b32 s1, exec_lo, s15
	s_cbranch_execz .LBB14_91
; %bb.90:
	v_div_scale_f32 v30, null, v23, v23, v22
	v_div_scale_f32 v33, vcc_lo, v22, v23, v22
	s_delay_alu instid0(VALU_DEP_2) | instskip(SKIP_1) | instid1(TRANS32_DEP_1)
	v_rcp_f32_e32 v31, v30
	v_nop
	v_fma_f32 v32, -v30, v31, 1.0
	s_delay_alu instid0(VALU_DEP_1) | instskip(NEXT) | instid1(VALU_DEP_1)
	v_fmac_f32_e32 v31, v32, v31
	v_mul_f32_e32 v32, v33, v31
	s_delay_alu instid0(VALU_DEP_1) | instskip(NEXT) | instid1(VALU_DEP_1)
	v_fma_f32 v34, -v30, v32, v33
	v_fmac_f32_e32 v32, v34, v31
	s_delay_alu instid0(VALU_DEP_1) | instskip(NEXT) | instid1(VALU_DEP_1)
	v_fma_f32 v30, -v30, v32, v33
	v_div_fmas_f32 v30, v30, v31, v32
	s_delay_alu instid0(VALU_DEP_1) | instskip(NEXT) | instid1(VALU_DEP_1)
	v_div_fixup_f32 v30, v30, v23, v22
	v_fmac_f32_e32 v23, v22, v30
	s_delay_alu instid0(VALU_DEP_1) | instskip(SKIP_1) | instid1(VALU_DEP_2)
	v_div_scale_f32 v22, null, v23, v23, 1.0
	v_div_scale_f32 v33, vcc_lo, 1.0, v23, 1.0
	v_rcp_f32_e32 v31, v22
	v_nop
	s_delay_alu instid0(TRANS32_DEP_1) | instskip(NEXT) | instid1(VALU_DEP_1)
	v_fma_f32 v32, -v22, v31, 1.0
	v_fmac_f32_e32 v31, v32, v31
	s_delay_alu instid0(VALU_DEP_1) | instskip(NEXT) | instid1(VALU_DEP_1)
	v_mul_f32_e32 v32, v33, v31
	v_fma_f32 v34, -v22, v32, v33
	s_delay_alu instid0(VALU_DEP_1) | instskip(NEXT) | instid1(VALU_DEP_1)
	v_fmac_f32_e32 v32, v34, v31
	v_fma_f32 v22, -v22, v32, v33
	s_delay_alu instid0(VALU_DEP_1) | instskip(NEXT) | instid1(VALU_DEP_1)
	v_div_fmas_f32 v22, v22, v31, v32
	v_div_fixup_f32 v23, v22, v23, 1.0
	s_delay_alu instid0(VALU_DEP_1)
	v_mul_f32_e32 v22, v30, v23
	v_xor_b32_e32 v23, 0x80000000, v23
.LBB14_91:
	s_and_not1_saveexec_b32 s1, s1
	s_cbranch_execz .LBB14_93
; %bb.92:
	s_delay_alu instid0(VALU_DEP_1) | instskip(SKIP_1) | instid1(VALU_DEP_2)
	v_div_scale_f32 v30, null, v22, v22, v23
	v_div_scale_f32 v33, vcc_lo, v23, v22, v23
	v_rcp_f32_e32 v31, v30
	v_nop
	s_delay_alu instid0(TRANS32_DEP_1) | instskip(NEXT) | instid1(VALU_DEP_1)
	v_fma_f32 v32, -v30, v31, 1.0
	v_fmac_f32_e32 v31, v32, v31
	s_delay_alu instid0(VALU_DEP_1) | instskip(NEXT) | instid1(VALU_DEP_1)
	v_mul_f32_e32 v32, v33, v31
	v_fma_f32 v34, -v30, v32, v33
	s_delay_alu instid0(VALU_DEP_1) | instskip(NEXT) | instid1(VALU_DEP_1)
	v_fmac_f32_e32 v32, v34, v31
	v_fma_f32 v30, -v30, v32, v33
	s_delay_alu instid0(VALU_DEP_1) | instskip(NEXT) | instid1(VALU_DEP_1)
	v_div_fmas_f32 v30, v30, v31, v32
	v_div_fixup_f32 v30, v30, v22, v23
	s_delay_alu instid0(VALU_DEP_1) | instskip(NEXT) | instid1(VALU_DEP_1)
	v_fmac_f32_e32 v22, v23, v30
	v_div_scale_f32 v23, null, v22, v22, 1.0
	s_delay_alu instid0(VALU_DEP_1) | instskip(SKIP_1) | instid1(TRANS32_DEP_1)
	v_rcp_f32_e32 v31, v23
	v_nop
	v_fma_f32 v32, -v23, v31, 1.0
	s_delay_alu instid0(VALU_DEP_1) | instskip(SKIP_1) | instid1(VALU_DEP_1)
	v_fmac_f32_e32 v31, v32, v31
	v_div_scale_f32 v32, vcc_lo, 1.0, v22, 1.0
	v_mul_f32_e32 v33, v32, v31
	s_delay_alu instid0(VALU_DEP_1) | instskip(NEXT) | instid1(VALU_DEP_1)
	v_fma_f32 v34, -v23, v33, v32
	v_fmac_f32_e32 v33, v34, v31
	s_delay_alu instid0(VALU_DEP_1) | instskip(NEXT) | instid1(VALU_DEP_1)
	v_fma_f32 v23, -v23, v33, v32
	v_div_fmas_f32 v23, v23, v31, v33
	s_delay_alu instid0(VALU_DEP_1) | instskip(NEXT) | instid1(VALU_DEP_1)
	v_div_fixup_f32 v22, v23, v22, 1.0
	v_mul_f32_e64 v23, v30, -v22
.LBB14_93:
	s_or_b32 exec_lo, exec_lo, s1
.LBB14_94:
	s_delay_alu instid0(SALU_CYCLE_1) | instskip(NEXT) | instid1(SALU_CYCLE_1)
	s_or_b32 exec_lo, exec_lo, s0
	s_mov_b32 s0, exec_lo
	v_cmpx_ne_u32_e64 v25, v24
	s_xor_b32 s0, exec_lo, s0
	s_cbranch_execz .LBB14_100
; %bb.95:
	s_mov_b32 s1, exec_lo
	v_cmpx_eq_u32_e32 4, v25
	s_cbranch_execz .LBB14_99
; %bb.96:
	v_cmp_ne_u32_e32 vcc_lo, 4, v24
	s_xor_b32 s15, s12, -1
	s_delay_alu instid0(SALU_CYCLE_1) | instskip(NEXT) | instid1(SALU_CYCLE_1)
	s_and_b32 s16, s15, vcc_lo
	s_and_saveexec_b32 s15, s16
	s_cbranch_execz .LBB14_98
; %bb.97:
	v_ashrrev_i32_e32 v25, 31, v24
	s_delay_alu instid0(VALU_DEP_1)
	v_lshl_add_u64 v[30:31], v[24:25], 2, v[20:21]
	s_clause 0x1
	global_load_b32 v25, v[30:31], off
	global_load_b32 v28, v[20:21], off offset:16
	s_wait_loadcnt 0x1
	global_store_b32 v[20:21], v25, off offset:16
	s_wait_loadcnt 0x0
	global_store_b32 v[30:31], v28, off
.LBB14_98:
	s_wait_xcnt 0x0
	s_or_b32 exec_lo, exec_lo, s15
	v_dual_mov_b32 v25, v24 :: v_dual_mov_b32 v28, v24
.LBB14_99:
	s_or_b32 exec_lo, exec_lo, s1
.LBB14_100:
	s_and_not1_saveexec_b32 s0, s0
	s_cbranch_execz .LBB14_102
; %bb.101:
	v_mov_b32_e32 v25, 4
	ds_store_2addr_b64 v26, v[12:13], v[10:11] offset0:5 offset1:6
	ds_store_b64 v26, v[18:19] offset:56
.LBB14_102:
	s_or_b32 exec_lo, exec_lo, s0
	s_delay_alu instid0(SALU_CYCLE_1)
	s_mov_b32 s0, exec_lo
	s_wait_storecnt_dscnt 0x0
	s_barrier_signal -1
	s_barrier_wait -1
	v_cmpx_lt_i32_e32 4, v25
	s_cbranch_execz .LBB14_104
; %bb.103:
	ds_load_2addr_b64 v[30:33], v26 offset0:5 offset1:6
	ds_load_b64 v[34:35], v26 offset:56
	v_pk_mul_f32 v[36:37], v[22:23], v[14:15] op_sel:[1,1] op_sel_hi:[0,1]
	s_delay_alu instid0(VALU_DEP_1) | instskip(SKIP_2) | instid1(VALU_DEP_2)
	v_pk_fma_f32 v[38:39], v[22:23], v[14:15], v[36:37] op_sel_hi:[1,0,1]
	v_pk_fma_f32 v[14:15], v[22:23], v[14:15], v[36:37] op_sel_hi:[1,0,1] neg_lo:[0,0,1] neg_hi:[0,0,1]
	s_wait_dscnt 0x1
	v_pk_mul_f32 v[22:23], v[30:31], v[38:39] op_sel:[0,1]
	v_pk_mul_f32 v[36:37], v[32:33], v[38:39] op_sel:[0,1]
	s_wait_dscnt 0x0
	v_pk_mul_f32 v[40:41], v[34:35], v[38:39] op_sel:[1,1] op_sel_hi:[0,1]
	s_delay_alu instid0(VALU_DEP_3) | instskip(SKIP_2) | instid1(VALU_DEP_4)
	v_pk_fma_f32 v[42:43], v[30:31], v[14:15], v[22:23] op_sel:[0,0,1] op_sel_hi:[1,1,0] neg_lo:[0,0,1] neg_hi:[0,0,1]
	v_pk_fma_f32 v[22:23], v[30:31], v[14:15], v[22:23] op_sel:[0,0,1] op_sel_hi:[1,0,0]
	v_pk_fma_f32 v[30:31], v[32:33], v[14:15], v[36:37] op_sel:[0,0,1] op_sel_hi:[1,0,0]
	v_pk_fma_f32 v[44:45], v[34:35], v[14:15], v[40:41] op_sel_hi:[1,0,1]
	v_pk_fma_f32 v[32:33], v[32:33], v[14:15], v[36:37] op_sel:[0,0,1] op_sel_hi:[1,1,0] neg_lo:[0,0,1] neg_hi:[0,0,1]
	v_pk_fma_f32 v[34:35], v[34:35], v[14:15], v[40:41] neg_lo:[0,0,1] neg_hi:[0,0,1]
	s_delay_alu instid0(VALU_DEP_4) | instskip(NEXT) | instid1(VALU_DEP_4)
	v_dual_mov_b32 v43, v23 :: v_dual_mov_b32 v33, v31
	v_dual_mov_b32 v35, v45 :: v_dual_mov_b32 v15, v39
	s_delay_alu instid0(VALU_DEP_2) | instskip(NEXT) | instid1(VALU_DEP_3)
	v_pk_add_f32 v[12:13], v[12:13], v[42:43] neg_lo:[0,1] neg_hi:[0,1]
	v_pk_add_f32 v[10:11], v[10:11], v[32:33] neg_lo:[0,1] neg_hi:[0,1]
	s_delay_alu instid0(VALU_DEP_3)
	v_pk_add_f32 v[18:19], v[18:19], v[34:35] neg_lo:[0,1] neg_hi:[0,1]
.LBB14_104:
	s_or_b32 exec_lo, exec_lo, s0
	v_lshl_add_u32 v22, v25, 3, v26
	s_barrier_signal -1
	s_barrier_wait -1
	ds_store_b64 v22, v[12:13]
	s_wait_dscnt 0x0
	s_barrier_signal -1
	s_barrier_wait -1
	ds_load_b64 v[22:23], v26 offset:40
	v_mov_b32_e32 v24, 5
	s_cmp_lt_i32 s14, 7
	s_cbranch_scc1 .LBB14_107
; %bb.105:
	v_add3_u32 v30, v27, 0, 48
	v_mov_b32_e32 v24, 5
	s_mov_b32 s0, 6
.LBB14_106:                             ; =>This Inner Loop Header: Depth=1
	ds_load_b64 v[32:33], v30
	s_wait_dscnt 0x1
	v_cmp_gt_f32_e32 vcc_lo, 0, v22
	v_cndmask_b32_e64 v34, v22, -v22, vcc_lo
	v_cmp_gt_f32_e32 vcc_lo, 0, v23
	v_cndmask_b32_e64 v36, v23, -v23, vcc_lo
	s_wait_dscnt 0x0
	v_cmp_gt_f32_e32 vcc_lo, 0, v32
	v_cndmask_b32_e64 v35, v32, -v32, vcc_lo
	v_cmp_gt_f32_e32 vcc_lo, 0, v33
	v_cndmask_b32_e64 v37, v33, -v33, vcc_lo
	s_delay_alu instid0(VALU_DEP_1) | instskip(NEXT) | instid1(VALU_DEP_1)
	v_pk_add_f32 v[34:35], v[34:35], v[36:37]
	v_cmp_lt_f32_e32 vcc_lo, v34, v35
	v_dual_cndmask_b32 v23, v23, v33 :: v_dual_add_nc_u32 v30, 8, v30
	v_cndmask_b32_e32 v22, v22, v32, vcc_lo
	v_cndmask_b32_e64 v24, v24, s0, vcc_lo
	s_add_co_i32 s0, s0, 1
	s_delay_alu instid0(SALU_CYCLE_1)
	s_cmp_lg_u32 s14, s0
	s_cbranch_scc1 .LBB14_106
.LBB14_107:
	s_wait_dscnt 0x0
	v_cmp_eq_f32_e32 vcc_lo, 0, v22
	v_cmp_eq_f32_e64 s0, 0, v23
	s_and_b32 s0, vcc_lo, s0
	s_delay_alu instid0(SALU_CYCLE_1) | instskip(NEXT) | instid1(SALU_CYCLE_1)
	s_and_saveexec_b32 s1, s0
	s_xor_b32 s0, exec_lo, s1
; %bb.108:
	v_cmp_ne_u32_e32 vcc_lo, 0, v29
	v_cndmask_b32_e32 v29, 6, v29, vcc_lo
; %bb.109:
	s_and_not1_saveexec_b32 s0, s0
	s_cbranch_execz .LBB14_115
; %bb.110:
	v_cmp_ngt_f32_e64 s1, |v22|, |v23|
	s_and_saveexec_b32 s15, s1
	s_delay_alu instid0(SALU_CYCLE_1)
	s_xor_b32 s1, exec_lo, s15
	s_cbranch_execz .LBB14_112
; %bb.111:
	v_div_scale_f32 v30, null, v23, v23, v22
	v_div_scale_f32 v33, vcc_lo, v22, v23, v22
	s_delay_alu instid0(VALU_DEP_2) | instskip(SKIP_1) | instid1(TRANS32_DEP_1)
	v_rcp_f32_e32 v31, v30
	v_nop
	v_fma_f32 v32, -v30, v31, 1.0
	s_delay_alu instid0(VALU_DEP_1) | instskip(NEXT) | instid1(VALU_DEP_1)
	v_fmac_f32_e32 v31, v32, v31
	v_mul_f32_e32 v32, v33, v31
	s_delay_alu instid0(VALU_DEP_1) | instskip(NEXT) | instid1(VALU_DEP_1)
	v_fma_f32 v34, -v30, v32, v33
	v_fmac_f32_e32 v32, v34, v31
	s_delay_alu instid0(VALU_DEP_1) | instskip(NEXT) | instid1(VALU_DEP_1)
	v_fma_f32 v30, -v30, v32, v33
	v_div_fmas_f32 v30, v30, v31, v32
	s_delay_alu instid0(VALU_DEP_1) | instskip(NEXT) | instid1(VALU_DEP_1)
	v_div_fixup_f32 v30, v30, v23, v22
	v_fmac_f32_e32 v23, v22, v30
	s_delay_alu instid0(VALU_DEP_1) | instskip(SKIP_1) | instid1(VALU_DEP_2)
	v_div_scale_f32 v22, null, v23, v23, 1.0
	v_div_scale_f32 v33, vcc_lo, 1.0, v23, 1.0
	v_rcp_f32_e32 v31, v22
	v_nop
	s_delay_alu instid0(TRANS32_DEP_1) | instskip(NEXT) | instid1(VALU_DEP_1)
	v_fma_f32 v32, -v22, v31, 1.0
	v_fmac_f32_e32 v31, v32, v31
	s_delay_alu instid0(VALU_DEP_1) | instskip(NEXT) | instid1(VALU_DEP_1)
	v_mul_f32_e32 v32, v33, v31
	v_fma_f32 v34, -v22, v32, v33
	s_delay_alu instid0(VALU_DEP_1) | instskip(NEXT) | instid1(VALU_DEP_1)
	v_fmac_f32_e32 v32, v34, v31
	v_fma_f32 v22, -v22, v32, v33
	s_delay_alu instid0(VALU_DEP_1) | instskip(NEXT) | instid1(VALU_DEP_1)
	v_div_fmas_f32 v22, v22, v31, v32
	v_div_fixup_f32 v23, v22, v23, 1.0
	s_delay_alu instid0(VALU_DEP_1)
	v_mul_f32_e32 v22, v30, v23
	v_xor_b32_e32 v23, 0x80000000, v23
.LBB14_112:
	s_and_not1_saveexec_b32 s1, s1
	s_cbranch_execz .LBB14_114
; %bb.113:
	s_delay_alu instid0(VALU_DEP_1) | instskip(SKIP_1) | instid1(VALU_DEP_2)
	v_div_scale_f32 v30, null, v22, v22, v23
	v_div_scale_f32 v33, vcc_lo, v23, v22, v23
	v_rcp_f32_e32 v31, v30
	v_nop
	s_delay_alu instid0(TRANS32_DEP_1) | instskip(NEXT) | instid1(VALU_DEP_1)
	v_fma_f32 v32, -v30, v31, 1.0
	v_fmac_f32_e32 v31, v32, v31
	s_delay_alu instid0(VALU_DEP_1) | instskip(NEXT) | instid1(VALU_DEP_1)
	v_mul_f32_e32 v32, v33, v31
	v_fma_f32 v34, -v30, v32, v33
	s_delay_alu instid0(VALU_DEP_1) | instskip(NEXT) | instid1(VALU_DEP_1)
	v_fmac_f32_e32 v32, v34, v31
	v_fma_f32 v30, -v30, v32, v33
	s_delay_alu instid0(VALU_DEP_1) | instskip(NEXT) | instid1(VALU_DEP_1)
	v_div_fmas_f32 v30, v30, v31, v32
	v_div_fixup_f32 v30, v30, v22, v23
	s_delay_alu instid0(VALU_DEP_1) | instskip(NEXT) | instid1(VALU_DEP_1)
	v_fmac_f32_e32 v22, v23, v30
	v_div_scale_f32 v23, null, v22, v22, 1.0
	s_delay_alu instid0(VALU_DEP_1) | instskip(SKIP_1) | instid1(TRANS32_DEP_1)
	v_rcp_f32_e32 v31, v23
	v_nop
	v_fma_f32 v32, -v23, v31, 1.0
	s_delay_alu instid0(VALU_DEP_1) | instskip(SKIP_1) | instid1(VALU_DEP_1)
	v_fmac_f32_e32 v31, v32, v31
	v_div_scale_f32 v32, vcc_lo, 1.0, v22, 1.0
	v_mul_f32_e32 v33, v32, v31
	s_delay_alu instid0(VALU_DEP_1) | instskip(NEXT) | instid1(VALU_DEP_1)
	v_fma_f32 v34, -v23, v33, v32
	v_fmac_f32_e32 v33, v34, v31
	s_delay_alu instid0(VALU_DEP_1) | instskip(NEXT) | instid1(VALU_DEP_1)
	v_fma_f32 v23, -v23, v33, v32
	v_div_fmas_f32 v23, v23, v31, v33
	s_delay_alu instid0(VALU_DEP_1) | instskip(NEXT) | instid1(VALU_DEP_1)
	v_div_fixup_f32 v22, v23, v22, 1.0
	v_mul_f32_e64 v23, v30, -v22
.LBB14_114:
	s_or_b32 exec_lo, exec_lo, s1
.LBB14_115:
	s_delay_alu instid0(SALU_CYCLE_1) | instskip(NEXT) | instid1(SALU_CYCLE_1)
	s_or_b32 exec_lo, exec_lo, s0
	s_mov_b32 s0, exec_lo
	v_cmpx_ne_u32_e64 v25, v24
	s_xor_b32 s0, exec_lo, s0
	s_cbranch_execz .LBB14_121
; %bb.116:
	s_mov_b32 s1, exec_lo
	v_cmpx_eq_u32_e32 5, v25
	s_cbranch_execz .LBB14_120
; %bb.117:
	v_cmp_ne_u32_e32 vcc_lo, 5, v24
	s_xor_b32 s15, s12, -1
	s_delay_alu instid0(SALU_CYCLE_1) | instskip(NEXT) | instid1(SALU_CYCLE_1)
	s_and_b32 s16, s15, vcc_lo
	s_and_saveexec_b32 s15, s16
	s_cbranch_execz .LBB14_119
; %bb.118:
	v_ashrrev_i32_e32 v25, 31, v24
	s_delay_alu instid0(VALU_DEP_1)
	v_lshl_add_u64 v[30:31], v[24:25], 2, v[20:21]
	s_clause 0x1
	global_load_b32 v25, v[30:31], off
	global_load_b32 v28, v[20:21], off offset:20
	s_wait_loadcnt 0x1
	global_store_b32 v[20:21], v25, off offset:20
	s_wait_loadcnt 0x0
	global_store_b32 v[30:31], v28, off
.LBB14_119:
	s_wait_xcnt 0x0
	s_or_b32 exec_lo, exec_lo, s15
	v_dual_mov_b32 v25, v24 :: v_dual_mov_b32 v28, v24
.LBB14_120:
	s_or_b32 exec_lo, exec_lo, s1
.LBB14_121:
	s_and_not1_saveexec_b32 s0, s0
; %bb.122:
	v_dual_mov_b32 v30, v10 :: v_dual_mov_b32 v31, v11
	v_mov_b32_e32 v25, 5
	ds_store_2addr_b64 v26, v[30:31], v[18:19] offset0:6 offset1:7
; %bb.123:
	s_or_b32 exec_lo, exec_lo, s0
	s_delay_alu instid0(SALU_CYCLE_1)
	s_mov_b32 s0, exec_lo
	s_wait_storecnt_dscnt 0x0
	s_barrier_signal -1
	s_barrier_wait -1
	v_cmpx_lt_i32_e32 5, v25
	s_cbranch_execz .LBB14_125
; %bb.124:
	ds_load_2addr_b64 v[30:33], v26 offset0:6 offset1:7
	v_pk_mul_f32 v[34:35], v[22:23], v[12:13] op_sel:[1,1] op_sel_hi:[0,1]
	s_delay_alu instid0(VALU_DEP_1) | instskip(SKIP_3) | instid1(VALU_DEP_3)
	v_pk_fma_f32 v[36:37], v[22:23], v[12:13], v[34:35] op_sel_hi:[1,0,1]
	v_pk_fma_f32 v[12:13], v[22:23], v[12:13], v[34:35] op_sel_hi:[1,0,1] neg_lo:[0,0,1] neg_hi:[0,0,1]
	s_wait_dscnt 0x0
	v_dual_mov_b32 v38, v33 :: v_dual_mov_b32 v39, v32
	v_pk_mul_f32 v[22:23], v[30:31], v[36:37] op_sel:[0,1]
	s_delay_alu instid0(VALU_DEP_2) | instskip(NEXT) | instid1(VALU_DEP_2)
	v_pk_mul_f32 v[34:35], v[38:39], v[36:37] op_sel:[0,1]
	v_pk_fma_f32 v[38:39], v[30:31], v[12:13], v[22:23] op_sel:[0,0,1] op_sel_hi:[1,0,0]
	v_pk_fma_f32 v[22:23], v[30:31], v[12:13], v[22:23] op_sel:[0,0,1] op_sel_hi:[1,1,0] neg_lo:[0,0,1] neg_hi:[0,0,1]
	s_delay_alu instid0(VALU_DEP_3) | instskip(SKIP_1) | instid1(VALU_DEP_4)
	v_pk_fma_f32 v[40:41], v[32:33], v[12:13], v[34:35] op_sel_hi:[1,0,1]
	v_pk_fma_f32 v[30:31], v[32:33], v[12:13], v[34:35] neg_lo:[0,0,1] neg_hi:[0,0,1]
	v_dual_mov_b32 v23, v39 :: v_dual_mov_b32 v13, v37
	s_delay_alu instid0(VALU_DEP_3) | instskip(NEXT) | instid1(VALU_DEP_2)
	v_mov_b32_e32 v31, v41
	v_pk_add_f32 v[10:11], v[10:11], v[22:23] neg_lo:[0,1] neg_hi:[0,1]
	s_delay_alu instid0(VALU_DEP_2)
	v_pk_add_f32 v[18:19], v[18:19], v[30:31] neg_lo:[0,1] neg_hi:[0,1]
.LBB14_125:
	s_or_b32 exec_lo, exec_lo, s0
	v_lshl_add_u32 v22, v25, 3, v26
	s_barrier_signal -1
	s_barrier_wait -1
	ds_store_b64 v22, v[10:11]
	s_wait_dscnt 0x0
	s_barrier_signal -1
	s_barrier_wait -1
	ds_load_b64 v[22:23], v26 offset:48
	v_mov_b32_e32 v24, 6
	s_cmp_lt_i32 s14, 8
	s_cbranch_scc1 .LBB14_128
; %bb.126:
	v_add3_u32 v30, v27, 0, 56
	v_mov_b32_e32 v24, 6
	s_mov_b32 s0, 7
.LBB14_127:                             ; =>This Inner Loop Header: Depth=1
	ds_load_b64 v[32:33], v30
	s_wait_dscnt 0x1
	v_cmp_gt_f32_e32 vcc_lo, 0, v22
	v_cndmask_b32_e64 v34, v22, -v22, vcc_lo
	v_cmp_gt_f32_e32 vcc_lo, 0, v23
	v_cndmask_b32_e64 v36, v23, -v23, vcc_lo
	s_wait_dscnt 0x0
	v_cmp_gt_f32_e32 vcc_lo, 0, v32
	v_cndmask_b32_e64 v35, v32, -v32, vcc_lo
	v_cmp_gt_f32_e32 vcc_lo, 0, v33
	v_cndmask_b32_e64 v37, v33, -v33, vcc_lo
	s_delay_alu instid0(VALU_DEP_1) | instskip(NEXT) | instid1(VALU_DEP_1)
	v_pk_add_f32 v[34:35], v[34:35], v[36:37]
	v_cmp_lt_f32_e32 vcc_lo, v34, v35
	v_dual_cndmask_b32 v23, v23, v33 :: v_dual_add_nc_u32 v30, 8, v30
	v_cndmask_b32_e32 v22, v22, v32, vcc_lo
	v_cndmask_b32_e64 v24, v24, s0, vcc_lo
	s_add_co_i32 s0, s0, 1
	s_delay_alu instid0(SALU_CYCLE_1)
	s_cmp_lg_u32 s14, s0
	s_cbranch_scc1 .LBB14_127
.LBB14_128:
	s_wait_dscnt 0x0
	v_cmp_eq_f32_e32 vcc_lo, 0, v22
	v_cmp_eq_f32_e64 s0, 0, v23
	s_and_b32 s0, vcc_lo, s0
	s_delay_alu instid0(SALU_CYCLE_1) | instskip(NEXT) | instid1(SALU_CYCLE_1)
	s_and_saveexec_b32 s1, s0
	s_xor_b32 s0, exec_lo, s1
; %bb.129:
	v_cmp_ne_u32_e32 vcc_lo, 0, v29
	v_cndmask_b32_e32 v29, 7, v29, vcc_lo
; %bb.130:
	s_and_not1_saveexec_b32 s0, s0
	s_cbranch_execz .LBB14_136
; %bb.131:
	v_cmp_ngt_f32_e64 s1, |v22|, |v23|
	s_and_saveexec_b32 s15, s1
	s_delay_alu instid0(SALU_CYCLE_1)
	s_xor_b32 s1, exec_lo, s15
	s_cbranch_execz .LBB14_133
; %bb.132:
	v_div_scale_f32 v30, null, v23, v23, v22
	v_div_scale_f32 v33, vcc_lo, v22, v23, v22
	s_delay_alu instid0(VALU_DEP_2) | instskip(SKIP_1) | instid1(TRANS32_DEP_1)
	v_rcp_f32_e32 v31, v30
	v_nop
	v_fma_f32 v32, -v30, v31, 1.0
	s_delay_alu instid0(VALU_DEP_1) | instskip(NEXT) | instid1(VALU_DEP_1)
	v_fmac_f32_e32 v31, v32, v31
	v_mul_f32_e32 v32, v33, v31
	s_delay_alu instid0(VALU_DEP_1) | instskip(NEXT) | instid1(VALU_DEP_1)
	v_fma_f32 v34, -v30, v32, v33
	v_fmac_f32_e32 v32, v34, v31
	s_delay_alu instid0(VALU_DEP_1) | instskip(NEXT) | instid1(VALU_DEP_1)
	v_fma_f32 v30, -v30, v32, v33
	v_div_fmas_f32 v30, v30, v31, v32
	s_delay_alu instid0(VALU_DEP_1) | instskip(NEXT) | instid1(VALU_DEP_1)
	v_div_fixup_f32 v30, v30, v23, v22
	v_fmac_f32_e32 v23, v22, v30
	s_delay_alu instid0(VALU_DEP_1) | instskip(SKIP_1) | instid1(VALU_DEP_2)
	v_div_scale_f32 v22, null, v23, v23, 1.0
	v_div_scale_f32 v33, vcc_lo, 1.0, v23, 1.0
	v_rcp_f32_e32 v31, v22
	v_nop
	s_delay_alu instid0(TRANS32_DEP_1) | instskip(NEXT) | instid1(VALU_DEP_1)
	v_fma_f32 v32, -v22, v31, 1.0
	v_fmac_f32_e32 v31, v32, v31
	s_delay_alu instid0(VALU_DEP_1) | instskip(NEXT) | instid1(VALU_DEP_1)
	v_mul_f32_e32 v32, v33, v31
	v_fma_f32 v34, -v22, v32, v33
	s_delay_alu instid0(VALU_DEP_1) | instskip(NEXT) | instid1(VALU_DEP_1)
	v_fmac_f32_e32 v32, v34, v31
	v_fma_f32 v22, -v22, v32, v33
	s_delay_alu instid0(VALU_DEP_1) | instskip(NEXT) | instid1(VALU_DEP_1)
	v_div_fmas_f32 v22, v22, v31, v32
	v_div_fixup_f32 v23, v22, v23, 1.0
	s_delay_alu instid0(VALU_DEP_1)
	v_mul_f32_e32 v22, v30, v23
	v_xor_b32_e32 v23, 0x80000000, v23
.LBB14_133:
	s_and_not1_saveexec_b32 s1, s1
	s_cbranch_execz .LBB14_135
; %bb.134:
	s_delay_alu instid0(VALU_DEP_1) | instskip(SKIP_1) | instid1(VALU_DEP_2)
	v_div_scale_f32 v30, null, v22, v22, v23
	v_div_scale_f32 v33, vcc_lo, v23, v22, v23
	v_rcp_f32_e32 v31, v30
	v_nop
	s_delay_alu instid0(TRANS32_DEP_1) | instskip(NEXT) | instid1(VALU_DEP_1)
	v_fma_f32 v32, -v30, v31, 1.0
	v_fmac_f32_e32 v31, v32, v31
	s_delay_alu instid0(VALU_DEP_1) | instskip(NEXT) | instid1(VALU_DEP_1)
	v_mul_f32_e32 v32, v33, v31
	v_fma_f32 v34, -v30, v32, v33
	s_delay_alu instid0(VALU_DEP_1) | instskip(NEXT) | instid1(VALU_DEP_1)
	v_fmac_f32_e32 v32, v34, v31
	v_fma_f32 v30, -v30, v32, v33
	s_delay_alu instid0(VALU_DEP_1) | instskip(NEXT) | instid1(VALU_DEP_1)
	v_div_fmas_f32 v30, v30, v31, v32
	v_div_fixup_f32 v30, v30, v22, v23
	s_delay_alu instid0(VALU_DEP_1) | instskip(NEXT) | instid1(VALU_DEP_1)
	v_fmac_f32_e32 v22, v23, v30
	v_div_scale_f32 v23, null, v22, v22, 1.0
	s_delay_alu instid0(VALU_DEP_1) | instskip(SKIP_1) | instid1(TRANS32_DEP_1)
	v_rcp_f32_e32 v31, v23
	v_nop
	v_fma_f32 v32, -v23, v31, 1.0
	s_delay_alu instid0(VALU_DEP_1) | instskip(SKIP_1) | instid1(VALU_DEP_1)
	v_fmac_f32_e32 v31, v32, v31
	v_div_scale_f32 v32, vcc_lo, 1.0, v22, 1.0
	v_mul_f32_e32 v33, v32, v31
	s_delay_alu instid0(VALU_DEP_1) | instskip(NEXT) | instid1(VALU_DEP_1)
	v_fma_f32 v34, -v23, v33, v32
	v_fmac_f32_e32 v33, v34, v31
	s_delay_alu instid0(VALU_DEP_1) | instskip(NEXT) | instid1(VALU_DEP_1)
	v_fma_f32 v23, -v23, v33, v32
	v_div_fmas_f32 v23, v23, v31, v33
	s_delay_alu instid0(VALU_DEP_1) | instskip(NEXT) | instid1(VALU_DEP_1)
	v_div_fixup_f32 v22, v23, v22, 1.0
	v_mul_f32_e64 v23, v30, -v22
.LBB14_135:
	s_or_b32 exec_lo, exec_lo, s1
.LBB14_136:
	s_delay_alu instid0(SALU_CYCLE_1) | instskip(NEXT) | instid1(SALU_CYCLE_1)
	s_or_b32 exec_lo, exec_lo, s0
	s_mov_b32 s0, exec_lo
	v_cmpx_ne_u32_e64 v25, v24
	s_xor_b32 s0, exec_lo, s0
	s_cbranch_execz .LBB14_142
; %bb.137:
	s_mov_b32 s1, exec_lo
	v_cmpx_eq_u32_e32 6, v25
	s_cbranch_execz .LBB14_141
; %bb.138:
	v_cmp_ne_u32_e32 vcc_lo, 6, v24
	s_xor_b32 s15, s12, -1
	s_delay_alu instid0(SALU_CYCLE_1) | instskip(NEXT) | instid1(SALU_CYCLE_1)
	s_and_b32 s16, s15, vcc_lo
	s_and_saveexec_b32 s15, s16
	s_cbranch_execz .LBB14_140
; %bb.139:
	v_ashrrev_i32_e32 v25, 31, v24
	s_delay_alu instid0(VALU_DEP_1)
	v_lshl_add_u64 v[30:31], v[24:25], 2, v[20:21]
	s_clause 0x1
	global_load_b32 v25, v[30:31], off
	global_load_b32 v28, v[20:21], off offset:24
	s_wait_loadcnt 0x1
	global_store_b32 v[20:21], v25, off offset:24
	s_wait_loadcnt 0x0
	global_store_b32 v[30:31], v28, off
.LBB14_140:
	s_wait_xcnt 0x0
	s_or_b32 exec_lo, exec_lo, s15
	v_dual_mov_b32 v25, v24 :: v_dual_mov_b32 v28, v24
.LBB14_141:
	s_or_b32 exec_lo, exec_lo, s1
.LBB14_142:
	s_and_not1_saveexec_b32 s0, s0
; %bb.143:
	v_mov_b32_e32 v25, 6
	ds_store_b64 v26, v[18:19] offset:56
; %bb.144:
	s_or_b32 exec_lo, exec_lo, s0
	s_delay_alu instid0(SALU_CYCLE_1)
	s_mov_b32 s0, exec_lo
	s_wait_storecnt_dscnt 0x0
	s_barrier_signal -1
	s_barrier_wait -1
	v_cmpx_lt_i32_e32 6, v25
	s_cbranch_execz .LBB14_146
; %bb.145:
	ds_load_b64 v[30:31], v26 offset:56
	v_pk_mul_f32 v[32:33], v[22:23], v[10:11] op_sel:[1,1] op_sel_hi:[0,1]
	s_delay_alu instid0(VALU_DEP_1) | instskip(SKIP_2) | instid1(VALU_DEP_2)
	v_pk_fma_f32 v[34:35], v[22:23], v[10:11], v[32:33] op_sel_hi:[1,0,1]
	v_pk_fma_f32 v[10:11], v[22:23], v[10:11], v[32:33] op_sel_hi:[1,0,1] neg_lo:[0,0,1] neg_hi:[0,0,1]
	s_wait_dscnt 0x0
	v_pk_mul_f32 v[22:23], v[30:31], v[34:35] op_sel:[1,1] op_sel_hi:[0,1]
	s_delay_alu instid0(VALU_DEP_1) | instskip(SKIP_1) | instid1(VALU_DEP_2)
	v_pk_fma_f32 v[32:33], v[30:31], v[10:11], v[22:23] op_sel_hi:[1,0,1]
	v_pk_fma_f32 v[22:23], v[30:31], v[10:11], v[22:23] neg_lo:[0,0,1] neg_hi:[0,0,1]
	v_dual_mov_b32 v11, v35 :: v_dual_mov_b32 v23, v33
	s_delay_alu instid0(VALU_DEP_1)
	v_pk_add_f32 v[18:19], v[18:19], v[22:23] neg_lo:[0,1] neg_hi:[0,1]
.LBB14_146:
	s_or_b32 exec_lo, exec_lo, s0
	v_lshl_add_u32 v22, v25, 3, v26
	s_barrier_signal -1
	s_barrier_wait -1
	ds_store_b64 v22, v[18:19]
	s_wait_dscnt 0x0
	s_barrier_signal -1
	s_barrier_wait -1
	ds_load_b64 v[22:23], v26 offset:56
	v_mov_b32_e32 v24, 7
	s_cmp_lt_i32 s14, 9
	s_cbranch_scc1 .LBB14_149
; %bb.147:
	v_add3_u32 v26, v27, 0, 64
	v_mov_b32_e32 v24, 7
	s_mov_b32 s0, 8
.LBB14_148:                             ; =>This Inner Loop Header: Depth=1
	ds_load_b64 v[30:31], v26
	s_wait_dscnt 0x1
	v_cmp_gt_f32_e32 vcc_lo, 0, v22
	v_cndmask_b32_e64 v32, v22, -v22, vcc_lo
	v_cmp_gt_f32_e32 vcc_lo, 0, v23
	v_cndmask_b32_e64 v34, v23, -v23, vcc_lo
	s_wait_dscnt 0x0
	v_cmp_gt_f32_e32 vcc_lo, 0, v30
	v_cndmask_b32_e64 v33, v30, -v30, vcc_lo
	v_cmp_gt_f32_e32 vcc_lo, 0, v31
	v_cndmask_b32_e64 v35, v31, -v31, vcc_lo
	s_delay_alu instid0(VALU_DEP_1) | instskip(NEXT) | instid1(VALU_DEP_1)
	v_pk_add_f32 v[32:33], v[32:33], v[34:35]
	v_cmp_lt_f32_e32 vcc_lo, v32, v33
	v_dual_cndmask_b32 v23, v23, v31 :: v_dual_add_nc_u32 v26, 8, v26
	v_cndmask_b32_e32 v22, v22, v30, vcc_lo
	v_cndmask_b32_e64 v24, v24, s0, vcc_lo
	s_add_co_i32 s0, s0, 1
	s_delay_alu instid0(SALU_CYCLE_1)
	s_cmp_lg_u32 s14, s0
	s_cbranch_scc1 .LBB14_148
.LBB14_149:
	s_wait_dscnt 0x0
	v_cmp_eq_f32_e32 vcc_lo, 0, v22
	v_cmp_eq_f32_e64 s0, 0, v23
	s_and_b32 s0, vcc_lo, s0
	s_delay_alu instid0(SALU_CYCLE_1) | instskip(NEXT) | instid1(SALU_CYCLE_1)
	s_and_saveexec_b32 s1, s0
	s_xor_b32 s0, exec_lo, s1
; %bb.150:
	v_cmp_ne_u32_e32 vcc_lo, 0, v29
	v_cndmask_b32_e32 v29, 8, v29, vcc_lo
; %bb.151:
	s_and_not1_saveexec_b32 s0, s0
	s_cbranch_execz .LBB14_157
; %bb.152:
	v_cmp_ngt_f32_e64 s1, |v22|, |v23|
	s_and_saveexec_b32 s14, s1
	s_delay_alu instid0(SALU_CYCLE_1)
	s_xor_b32 s1, exec_lo, s14
	s_cbranch_execz .LBB14_154
; %bb.153:
	v_div_scale_f32 v26, null, v23, v23, v22
	v_div_scale_f32 v31, vcc_lo, v22, v23, v22
	s_delay_alu instid0(VALU_DEP_2) | instskip(SKIP_1) | instid1(TRANS32_DEP_1)
	v_rcp_f32_e32 v27, v26
	v_nop
	v_fma_f32 v30, -v26, v27, 1.0
	s_delay_alu instid0(VALU_DEP_1) | instskip(NEXT) | instid1(VALU_DEP_1)
	v_fmac_f32_e32 v27, v30, v27
	v_mul_f32_e32 v30, v31, v27
	s_delay_alu instid0(VALU_DEP_1) | instskip(NEXT) | instid1(VALU_DEP_1)
	v_fma_f32 v32, -v26, v30, v31
	v_fmac_f32_e32 v30, v32, v27
	s_delay_alu instid0(VALU_DEP_1) | instskip(NEXT) | instid1(VALU_DEP_1)
	v_fma_f32 v26, -v26, v30, v31
	v_div_fmas_f32 v26, v26, v27, v30
	s_delay_alu instid0(VALU_DEP_1) | instskip(NEXT) | instid1(VALU_DEP_1)
	v_div_fixup_f32 v26, v26, v23, v22
	v_fmac_f32_e32 v23, v22, v26
	s_delay_alu instid0(VALU_DEP_1) | instskip(SKIP_1) | instid1(VALU_DEP_2)
	v_div_scale_f32 v22, null, v23, v23, 1.0
	v_div_scale_f32 v31, vcc_lo, 1.0, v23, 1.0
	v_rcp_f32_e32 v27, v22
	v_nop
	s_delay_alu instid0(TRANS32_DEP_1) | instskip(NEXT) | instid1(VALU_DEP_1)
	v_fma_f32 v30, -v22, v27, 1.0
	v_fmac_f32_e32 v27, v30, v27
	s_delay_alu instid0(VALU_DEP_1) | instskip(NEXT) | instid1(VALU_DEP_1)
	v_mul_f32_e32 v30, v31, v27
	v_fma_f32 v32, -v22, v30, v31
	s_delay_alu instid0(VALU_DEP_1) | instskip(NEXT) | instid1(VALU_DEP_1)
	v_fmac_f32_e32 v30, v32, v27
	v_fma_f32 v22, -v22, v30, v31
	s_delay_alu instid0(VALU_DEP_1) | instskip(NEXT) | instid1(VALU_DEP_1)
	v_div_fmas_f32 v22, v22, v27, v30
	v_div_fixup_f32 v23, v22, v23, 1.0
	s_delay_alu instid0(VALU_DEP_1)
	v_mul_f32_e32 v22, v26, v23
	v_xor_b32_e32 v23, 0x80000000, v23
.LBB14_154:
	s_and_not1_saveexec_b32 s1, s1
	s_cbranch_execz .LBB14_156
; %bb.155:
	s_delay_alu instid0(VALU_DEP_1) | instskip(SKIP_1) | instid1(VALU_DEP_2)
	v_div_scale_f32 v26, null, v22, v22, v23
	v_div_scale_f32 v31, vcc_lo, v23, v22, v23
	v_rcp_f32_e32 v27, v26
	v_nop
	s_delay_alu instid0(TRANS32_DEP_1) | instskip(NEXT) | instid1(VALU_DEP_1)
	v_fma_f32 v30, -v26, v27, 1.0
	v_fmac_f32_e32 v27, v30, v27
	s_delay_alu instid0(VALU_DEP_1) | instskip(NEXT) | instid1(VALU_DEP_1)
	v_mul_f32_e32 v30, v31, v27
	v_fma_f32 v32, -v26, v30, v31
	s_delay_alu instid0(VALU_DEP_1) | instskip(NEXT) | instid1(VALU_DEP_1)
	v_fmac_f32_e32 v30, v32, v27
	v_fma_f32 v26, -v26, v30, v31
	s_delay_alu instid0(VALU_DEP_1) | instskip(NEXT) | instid1(VALU_DEP_1)
	v_div_fmas_f32 v26, v26, v27, v30
	v_div_fixup_f32 v26, v26, v22, v23
	s_delay_alu instid0(VALU_DEP_1) | instskip(NEXT) | instid1(VALU_DEP_1)
	v_fmac_f32_e32 v22, v23, v26
	v_div_scale_f32 v23, null, v22, v22, 1.0
	s_delay_alu instid0(VALU_DEP_1) | instskip(SKIP_1) | instid1(TRANS32_DEP_1)
	v_rcp_f32_e32 v27, v23
	v_nop
	v_fma_f32 v30, -v23, v27, 1.0
	s_delay_alu instid0(VALU_DEP_1) | instskip(SKIP_1) | instid1(VALU_DEP_1)
	v_fmac_f32_e32 v27, v30, v27
	v_div_scale_f32 v30, vcc_lo, 1.0, v22, 1.0
	v_mul_f32_e32 v31, v30, v27
	s_delay_alu instid0(VALU_DEP_1) | instskip(NEXT) | instid1(VALU_DEP_1)
	v_fma_f32 v32, -v23, v31, v30
	v_fmac_f32_e32 v31, v32, v27
	s_delay_alu instid0(VALU_DEP_1) | instskip(NEXT) | instid1(VALU_DEP_1)
	v_fma_f32 v23, -v23, v31, v30
	v_div_fmas_f32 v23, v23, v27, v31
	s_delay_alu instid0(VALU_DEP_1) | instskip(NEXT) | instid1(VALU_DEP_1)
	v_div_fixup_f32 v22, v23, v22, 1.0
	v_mul_f32_e64 v23, v26, -v22
.LBB14_156:
	s_or_b32 exec_lo, exec_lo, s1
.LBB14_157:
	s_delay_alu instid0(SALU_CYCLE_1)
	s_or_b32 exec_lo, exec_lo, s0
	v_mov_b32_e32 v26, 7
	s_mov_b32 s0, exec_lo
	v_cmpx_ne_u32_e64 v25, v24
	s_cbranch_execz .LBB14_163
; %bb.158:
	s_mov_b32 s1, exec_lo
	v_cmpx_eq_u32_e32 7, v25
	s_cbranch_execz .LBB14_162
; %bb.159:
	v_cmp_ne_u32_e32 vcc_lo, 7, v24
	s_xor_b32 s12, s12, -1
	s_delay_alu instid0(SALU_CYCLE_1) | instskip(NEXT) | instid1(SALU_CYCLE_1)
	s_and_b32 s14, s12, vcc_lo
	s_and_saveexec_b32 s12, s14
	s_cbranch_execz .LBB14_161
; %bb.160:
	v_ashrrev_i32_e32 v25, 31, v24
	s_delay_alu instid0(VALU_DEP_1)
	v_lshl_add_u64 v[26:27], v[24:25], 2, v[20:21]
	s_clause 0x1
	global_load_b32 v25, v[26:27], off
	global_load_b32 v28, v[20:21], off offset:28
	s_wait_loadcnt 0x1
	global_store_b32 v[20:21], v25, off offset:28
	s_wait_loadcnt 0x0
	global_store_b32 v[26:27], v28, off
.LBB14_161:
	s_wait_xcnt 0x0
	s_or_b32 exec_lo, exec_lo, s12
	v_dual_mov_b32 v25, v24 :: v_dual_mov_b32 v28, v24
.LBB14_162:
	s_or_b32 exec_lo, exec_lo, s1
	s_delay_alu instid0(VALU_DEP_1)
	v_mov_b32_e32 v26, v25
.LBB14_163:
	s_or_b32 exec_lo, exec_lo, s0
	s_delay_alu instid0(VALU_DEP_1)
	v_ashrrev_i32_e32 v27, 31, v26
	s_mov_b32 s0, exec_lo
	s_wait_storecnt 0x0
	s_barrier_signal -1
	s_barrier_wait -1
	s_barrier_signal -1
	s_barrier_wait -1
	v_cmpx_gt_i32_e32 8, v26
	s_cbranch_execz .LBB14_165
; %bb.164:
	v_mul_u64_e32 v[20:21], s[10:11], v[2:3]
	v_add3_u32 v24, v28, s13, 1
	s_delay_alu instid0(VALU_DEP_2) | instskip(NEXT) | instid1(VALU_DEP_1)
	v_lshl_add_u64 v[20:21], v[20:21], 2, s[6:7]
	v_lshl_add_u64 v[20:21], s[8:9], 2, v[20:21]
	s_delay_alu instid0(VALU_DEP_1)
	v_lshl_add_u64 v[20:21], v[26:27], 2, v[20:21]
	global_store_b32 v[20:21], v24, off
.LBB14_165:
	s_wait_xcnt 0x0
	s_or_b32 exec_lo, exec_lo, s0
	s_delay_alu instid0(SALU_CYCLE_1)
	s_mov_b32 s1, exec_lo
	v_cmpx_eq_u32_e32 0, v26
	s_cbranch_execz .LBB14_168
; %bb.166:
	s_wait_kmcnt 0x0
	v_lshl_add_u64 v[2:3], v[2:3], 2, s[4:5]
	v_cmp_ne_u32_e64 s0, 0, v29
	global_load_b32 v20, v[2:3], off
	s_wait_loadcnt 0x0
	v_cmp_eq_u32_e32 vcc_lo, 0, v20
	s_and_b32 s0, vcc_lo, s0
	s_wait_xcnt 0x0
	s_and_b32 exec_lo, exec_lo, s0
	s_cbranch_execz .LBB14_168
; %bb.167:
	v_add_nc_u32_e32 v20, s13, v29
	global_store_b32 v[2:3], v20, off
.LBB14_168:
	s_wait_xcnt 0x0
	s_or_b32 exec_lo, exec_lo, s1
	v_add3_u32 v2, s2, s2, v26
	v_pk_mul_f32 v[24:25], v[22:23], v[18:19] op_sel:[1,1] op_sel_hi:[0,1]
	v_cmp_lt_i32_e32 vcc_lo, 7, v26
	s_delay_alu instid0(VALU_DEP_3) | instskip(NEXT) | instid1(VALU_DEP_3)
	v_dual_add_nc_u32 v20, s2, v2 :: v_dual_ashrrev_i32 v3, 31, v2
	v_pk_fma_f32 v[30:31], v[22:23], v[18:19], v[24:25] neg_lo:[0,0,1] neg_hi:[0,0,1]
	v_pk_fma_f32 v[22:23], v[22:23], v[18:19], v[24:25] op_sel_hi:[1,0,1]
	v_lshl_add_u64 v[24:25], v[26:27], 3, v[0:1]
	s_delay_alu instid0(VALU_DEP_4) | instskip(SKIP_1) | instid1(VALU_DEP_4)
	v_add_nc_u32_e32 v28, s2, v20
	v_lshl_add_u64 v[2:3], v[2:3], 3, v[0:1]
	v_dual_cndmask_b32 v18, v18, v30 :: v_dual_cndmask_b32 v19, v19, v23
	s_delay_alu instid0(VALU_DEP_4) | instskip(NEXT) | instid1(VALU_DEP_4)
	v_lshl_add_u64 v[26:27], s[2:3], 3, v[24:25]
	v_add_nc_u32_e32 v22, s2, v28
	s_clause 0x2
	global_store_b64 v[24:25], v[8:9], off
	global_store_b64 v[26:27], v[16:17], off
	;; [unrolled: 1-line block ×3, first 2 shown]
	v_dual_ashrrev_i32 v21, 31, v20 :: v_dual_add_nc_u32 v32, s2, v22
	v_ashrrev_i32_e32 v23, 31, v22
	s_wait_xcnt 0x0
	s_delay_alu instid0(VALU_DEP_2) | instskip(NEXT) | instid1(VALU_DEP_3)
	v_lshl_add_u64 v[6:7], v[20:21], 3, v[0:1]
	v_add_nc_u32_e32 v2, s2, v32
	v_ashrrev_i32_e32 v29, 31, v28
	v_ashrrev_i32_e32 v33, 31, v32
	v_lshl_add_u64 v[16:17], v[22:23], 3, v[0:1]
	s_delay_alu instid0(VALU_DEP_4) | instskip(NEXT) | instid1(VALU_DEP_4)
	v_ashrrev_i32_e32 v3, 31, v2
	v_lshl_add_u64 v[8:9], v[28:29], 3, v[0:1]
	s_delay_alu instid0(VALU_DEP_4) | instskip(NEXT) | instid1(VALU_DEP_3)
	v_lshl_add_u64 v[20:21], v[32:33], 3, v[0:1]
	v_lshl_add_u64 v[0:1], v[2:3], 3, v[0:1]
	s_clause 0x4
	global_store_b64 v[6:7], v[4:5], off
	global_store_b64 v[8:9], v[14:15], off
	;; [unrolled: 1-line block ×5, first 2 shown]
.LBB14_169:
	s_endpgm
	.section	.rodata,"a",@progbits
	.p2align	6, 0x0
	.amdhsa_kernel _ZN9rocsolver6v33100L18getf2_small_kernelILi8E19rocblas_complex_numIfEiiPS3_EEvT1_T3_lS5_lPS5_llPT2_S5_S5_S7_l
		.amdhsa_group_segment_fixed_size 0
		.amdhsa_private_segment_fixed_size 0
		.amdhsa_kernarg_size 352
		.amdhsa_user_sgpr_count 2
		.amdhsa_user_sgpr_dispatch_ptr 0
		.amdhsa_user_sgpr_queue_ptr 0
		.amdhsa_user_sgpr_kernarg_segment_ptr 1
		.amdhsa_user_sgpr_dispatch_id 0
		.amdhsa_user_sgpr_kernarg_preload_length 0
		.amdhsa_user_sgpr_kernarg_preload_offset 0
		.amdhsa_user_sgpr_private_segment_size 0
		.amdhsa_wavefront_size32 1
		.amdhsa_uses_dynamic_stack 0
		.amdhsa_enable_private_segment 0
		.amdhsa_system_sgpr_workgroup_id_x 1
		.amdhsa_system_sgpr_workgroup_id_y 1
		.amdhsa_system_sgpr_workgroup_id_z 0
		.amdhsa_system_sgpr_workgroup_info 0
		.amdhsa_system_vgpr_workitem_id 1
		.amdhsa_next_free_vgpr 64
		.amdhsa_next_free_sgpr 20
		.amdhsa_named_barrier_count 0
		.amdhsa_reserve_vcc 1
		.amdhsa_float_round_mode_32 0
		.amdhsa_float_round_mode_16_64 0
		.amdhsa_float_denorm_mode_32 3
		.amdhsa_float_denorm_mode_16_64 3
		.amdhsa_fp16_overflow 0
		.amdhsa_memory_ordered 1
		.amdhsa_forward_progress 1
		.amdhsa_inst_pref_size 79
		.amdhsa_round_robin_scheduling 0
		.amdhsa_exception_fp_ieee_invalid_op 0
		.amdhsa_exception_fp_denorm_src 0
		.amdhsa_exception_fp_ieee_div_zero 0
		.amdhsa_exception_fp_ieee_overflow 0
		.amdhsa_exception_fp_ieee_underflow 0
		.amdhsa_exception_fp_ieee_inexact 0
		.amdhsa_exception_int_div_zero 0
	.end_amdhsa_kernel
	.section	.text._ZN9rocsolver6v33100L18getf2_small_kernelILi8E19rocblas_complex_numIfEiiPS3_EEvT1_T3_lS5_lPS5_llPT2_S5_S5_S7_l,"axG",@progbits,_ZN9rocsolver6v33100L18getf2_small_kernelILi8E19rocblas_complex_numIfEiiPS3_EEvT1_T3_lS5_lPS5_llPT2_S5_S5_S7_l,comdat
.Lfunc_end14:
	.size	_ZN9rocsolver6v33100L18getf2_small_kernelILi8E19rocblas_complex_numIfEiiPS3_EEvT1_T3_lS5_lPS5_llPT2_S5_S5_S7_l, .Lfunc_end14-_ZN9rocsolver6v33100L18getf2_small_kernelILi8E19rocblas_complex_numIfEiiPS3_EEvT1_T3_lS5_lPS5_llPT2_S5_S5_S7_l
                                        ; -- End function
	.set _ZN9rocsolver6v33100L18getf2_small_kernelILi8E19rocblas_complex_numIfEiiPS3_EEvT1_T3_lS5_lPS5_llPT2_S5_S5_S7_l.num_vgpr, 64
	.set _ZN9rocsolver6v33100L18getf2_small_kernelILi8E19rocblas_complex_numIfEiiPS3_EEvT1_T3_lS5_lPS5_llPT2_S5_S5_S7_l.num_agpr, 0
	.set _ZN9rocsolver6v33100L18getf2_small_kernelILi8E19rocblas_complex_numIfEiiPS3_EEvT1_T3_lS5_lPS5_llPT2_S5_S5_S7_l.numbered_sgpr, 20
	.set _ZN9rocsolver6v33100L18getf2_small_kernelILi8E19rocblas_complex_numIfEiiPS3_EEvT1_T3_lS5_lPS5_llPT2_S5_S5_S7_l.num_named_barrier, 0
	.set _ZN9rocsolver6v33100L18getf2_small_kernelILi8E19rocblas_complex_numIfEiiPS3_EEvT1_T3_lS5_lPS5_llPT2_S5_S5_S7_l.private_seg_size, 0
	.set _ZN9rocsolver6v33100L18getf2_small_kernelILi8E19rocblas_complex_numIfEiiPS3_EEvT1_T3_lS5_lPS5_llPT2_S5_S5_S7_l.uses_vcc, 1
	.set _ZN9rocsolver6v33100L18getf2_small_kernelILi8E19rocblas_complex_numIfEiiPS3_EEvT1_T3_lS5_lPS5_llPT2_S5_S5_S7_l.uses_flat_scratch, 0
	.set _ZN9rocsolver6v33100L18getf2_small_kernelILi8E19rocblas_complex_numIfEiiPS3_EEvT1_T3_lS5_lPS5_llPT2_S5_S5_S7_l.has_dyn_sized_stack, 0
	.set _ZN9rocsolver6v33100L18getf2_small_kernelILi8E19rocblas_complex_numIfEiiPS3_EEvT1_T3_lS5_lPS5_llPT2_S5_S5_S7_l.has_recursion, 0
	.set _ZN9rocsolver6v33100L18getf2_small_kernelILi8E19rocblas_complex_numIfEiiPS3_EEvT1_T3_lS5_lPS5_llPT2_S5_S5_S7_l.has_indirect_call, 0
	.section	.AMDGPU.csdata,"",@progbits
; Kernel info:
; codeLenInByte = 10040
; TotalNumSgprs: 22
; NumVgprs: 64
; ScratchSize: 0
; MemoryBound: 0
; FloatMode: 240
; IeeeMode: 1
; LDSByteSize: 0 bytes/workgroup (compile time only)
; SGPRBlocks: 0
; VGPRBlocks: 3
; NumSGPRsForWavesPerEU: 22
; NumVGPRsForWavesPerEU: 64
; NamedBarCnt: 0
; Occupancy: 16
; WaveLimiterHint : 0
; COMPUTE_PGM_RSRC2:SCRATCH_EN: 0
; COMPUTE_PGM_RSRC2:USER_SGPR: 2
; COMPUTE_PGM_RSRC2:TRAP_HANDLER: 0
; COMPUTE_PGM_RSRC2:TGID_X_EN: 1
; COMPUTE_PGM_RSRC2:TGID_Y_EN: 1
; COMPUTE_PGM_RSRC2:TGID_Z_EN: 0
; COMPUTE_PGM_RSRC2:TIDIG_COMP_CNT: 1
	.section	.text._ZN9rocsolver6v33100L23getf2_npvt_small_kernelILi8E19rocblas_complex_numIfEiiPS3_EEvT1_T3_lS5_lPT2_S5_S5_,"axG",@progbits,_ZN9rocsolver6v33100L23getf2_npvt_small_kernelILi8E19rocblas_complex_numIfEiiPS3_EEvT1_T3_lS5_lPT2_S5_S5_,comdat
	.globl	_ZN9rocsolver6v33100L23getf2_npvt_small_kernelILi8E19rocblas_complex_numIfEiiPS3_EEvT1_T3_lS5_lPT2_S5_S5_ ; -- Begin function _ZN9rocsolver6v33100L23getf2_npvt_small_kernelILi8E19rocblas_complex_numIfEiiPS3_EEvT1_T3_lS5_lPT2_S5_S5_
	.p2align	8
	.type	_ZN9rocsolver6v33100L23getf2_npvt_small_kernelILi8E19rocblas_complex_numIfEiiPS3_EEvT1_T3_lS5_lPT2_S5_S5_,@function
_ZN9rocsolver6v33100L23getf2_npvt_small_kernelILi8E19rocblas_complex_numIfEiiPS3_EEvT1_T3_lS5_lPT2_S5_S5_: ; @_ZN9rocsolver6v33100L23getf2_npvt_small_kernelILi8E19rocblas_complex_numIfEiiPS3_EEvT1_T3_lS5_lPT2_S5_S5_
; %bb.0:
	s_clause 0x1
	s_load_u16 s8, s[0:1], 0x46
	s_load_b64 s[2:3], s[0:1], 0x30
	s_bfe_u32 s4, ttmp6, 0x40010
	s_bfe_u32 s5, ttmp6, 0x40004
	s_add_co_i32 s4, s4, 1
	s_getreg_b32 s6, hwreg(HW_REG_IB_STS2, 6, 4)
	s_mul_i32 s4, ttmp7, s4
	v_bfe_u32 v34, v0, 10, 10
	s_add_co_i32 s5, s5, s4
	s_cmp_eq_u32 s6, 0
	s_cselect_b32 s4, ttmp7, s5
	s_wait_kmcnt 0x0
	v_mad_u32 v2, s4, s8, v34
	s_delay_alu instid0(VALU_DEP_1)
	v_cmp_gt_i32_e32 vcc_lo, s2, v2
	s_and_saveexec_b32 s2, vcc_lo
	s_cbranch_execz .LBB15_75
; %bb.1:
	s_clause 0x1
	s_load_b128 s[4:7], s[0:1], 0x20
	s_load_b32 s10, s[0:1], 0x18
	v_and_b32_e32 v50, 0x3ff, v0
	s_load_b128 s[12:15], s[0:1], 0x8
	v_lshlrev_b32_e32 v35, 3, v34
	s_wait_xcnt 0x0
	s_lshl_b32 s0, s8, 6
	v_lshl_add_u32 v52, v34, 6, 0
	v_cmp_ne_u32_e64 s1, 0, v50
	v_add3_u32 v51, 0, s0, v35
	v_cmp_eq_u32_e64 s0, 0, v50
	s_wait_kmcnt 0x0
	v_add3_u32 v6, s10, s10, v50
	s_ashr_i32 s11, s10, 31
	s_delay_alu instid0(VALU_DEP_1) | instskip(NEXT) | instid1(VALU_DEP_1)
	v_add_nc_u32_e32 v8, s10, v6
	v_dual_ashrrev_i32 v3, 31, v2 :: v_dual_add_nc_u32 v10, s10, v8
	s_delay_alu instid0(VALU_DEP_1) | instskip(NEXT) | instid1(VALU_DEP_1)
	v_mul_u64_e32 v[4:5], s[4:5], v[2:3]
	v_lshl_add_u64 v[0:1], v[4:5], 3, s[12:13]
	s_delay_alu instid0(VALU_DEP_3) | instskip(SKIP_1) | instid1(VALU_DEP_3)
	v_dual_mov_b32 v5, 0 :: v_dual_add_nc_u32 v12, s10, v10
	v_dual_ashrrev_i32 v9, 31, v8 :: v_dual_lshlrev_b32 v4, 3, v50
	v_lshl_add_u64 v[18:19], s[14:15], 3, v[0:1]
	s_delay_alu instid0(VALU_DEP_3) | instskip(SKIP_1) | instid1(VALU_DEP_3)
	v_dual_ashrrev_i32 v7, 31, v6 :: v_dual_ashrrev_i32 v13, 31, v12
	v_add_nc_u32_e32 v14, s10, v12
	v_add_nc_u64_e32 v[0:1], v[18:19], v[4:5]
	s_delay_alu instid0(VALU_DEP_3) | instskip(SKIP_1) | instid1(VALU_DEP_4)
	v_lshl_add_u64 v[4:5], v[6:7], 3, v[18:19]
	v_lshl_add_u64 v[6:7], v[8:9], 3, v[18:19]
	v_dual_add_nc_u32 v20, s10, v14 :: v_dual_ashrrev_i32 v15, 31, v14
	v_ashrrev_i32_e32 v11, 31, v10
	v_lshl_add_u64 v[16:17], s[10:11], 3, v[0:1]
	s_delay_alu instid0(VALU_DEP_3) | instskip(NEXT) | instid1(VALU_DEP_3)
	v_ashrrev_i32_e32 v21, 31, v20
	v_lshl_add_u64 v[8:9], v[10:11], 3, v[18:19]
	v_lshl_add_u64 v[10:11], v[12:13], 3, v[18:19]
	;; [unrolled: 1-line block ×3, first 2 shown]
	s_delay_alu instid0(VALU_DEP_4)
	v_lshl_add_u64 v[14:15], v[20:21], 3, v[18:19]
	s_clause 0x7
	global_load_b64 v[22:23], v[0:1], off
	global_load_b64 v[24:25], v[16:17], off
	;; [unrolled: 1-line block ×8, first 2 shown]
	s_wait_xcnt 0x0
	s_and_saveexec_b32 s4, s0
	s_cbranch_execz .LBB15_8
; %bb.2:
	s_wait_loadcnt 0x7
	ds_store_b64 v51, v[22:23]
	s_wait_loadcnt 0x5
	ds_store_2addr_b64 v52, v[24:25], v[20:21] offset0:1 offset1:2
	s_wait_loadcnt 0x3
	ds_store_2addr_b64 v52, v[18:19], v[32:33] offset0:3 offset1:4
	;; [unrolled: 2-line block ×3, first 2 shown]
	s_wait_loadcnt 0x0
	ds_store_b64 v52, v[26:27] offset:56
	ds_load_b64 v[34:35], v51
	s_wait_dscnt 0x0
	v_cmp_neq_f32_e32 vcc_lo, 0, v34
	v_cmp_neq_f32_e64 s2, 0, v35
	s_or_b32 s2, vcc_lo, s2
	s_delay_alu instid0(SALU_CYCLE_1)
	s_and_b32 exec_lo, exec_lo, s2
	s_cbranch_execz .LBB15_8
; %bb.3:
	v_cmp_ngt_f32_e64 s2, |v34|, |v35|
                                        ; implicit-def: $vgpr36_vgpr37
	s_and_saveexec_b32 s5, s2
	s_delay_alu instid0(SALU_CYCLE_1)
	s_xor_b32 s2, exec_lo, s5
	s_cbranch_execz .LBB15_5
; %bb.4:
	v_div_scale_f32 v36, null, v35, v35, v34
	v_div_scale_f32 v39, vcc_lo, v34, v35, v34
	s_delay_alu instid0(VALU_DEP_2) | instskip(SKIP_1) | instid1(TRANS32_DEP_1)
	v_rcp_f32_e32 v37, v36
	v_nop
	v_fma_f32 v38, -v36, v37, 1.0
	s_delay_alu instid0(VALU_DEP_1) | instskip(NEXT) | instid1(VALU_DEP_1)
	v_fmac_f32_e32 v37, v38, v37
	v_mul_f32_e32 v38, v39, v37
	s_delay_alu instid0(VALU_DEP_1) | instskip(NEXT) | instid1(VALU_DEP_1)
	v_fma_f32 v40, -v36, v38, v39
	v_fmac_f32_e32 v38, v40, v37
	s_delay_alu instid0(VALU_DEP_1) | instskip(NEXT) | instid1(VALU_DEP_1)
	v_fma_f32 v36, -v36, v38, v39
	v_div_fmas_f32 v36, v36, v37, v38
	s_delay_alu instid0(VALU_DEP_1) | instskip(NEXT) | instid1(VALU_DEP_1)
	v_div_fixup_f32 v36, v36, v35, v34
	v_fmac_f32_e32 v35, v34, v36
	s_delay_alu instid0(VALU_DEP_1) | instskip(SKIP_1) | instid1(VALU_DEP_2)
	v_div_scale_f32 v34, null, v35, v35, 1.0
	v_div_scale_f32 v39, vcc_lo, 1.0, v35, 1.0
	v_rcp_f32_e32 v37, v34
	v_nop
	s_delay_alu instid0(TRANS32_DEP_1) | instskip(NEXT) | instid1(VALU_DEP_1)
	v_fma_f32 v38, -v34, v37, 1.0
	v_fmac_f32_e32 v37, v38, v37
	s_delay_alu instid0(VALU_DEP_1) | instskip(NEXT) | instid1(VALU_DEP_1)
	v_mul_f32_e32 v38, v39, v37
	v_fma_f32 v40, -v34, v38, v39
	s_delay_alu instid0(VALU_DEP_1) | instskip(NEXT) | instid1(VALU_DEP_1)
	v_fmac_f32_e32 v38, v40, v37
	v_fma_f32 v34, -v34, v38, v39
	s_delay_alu instid0(VALU_DEP_1) | instskip(NEXT) | instid1(VALU_DEP_1)
	v_div_fmas_f32 v34, v34, v37, v38
	v_div_fixup_f32 v34, v34, v35, 1.0
	s_delay_alu instid0(VALU_DEP_1)
	v_mul_f32_e32 v36, v36, v34
	v_xor_b32_e32 v37, 0x80000000, v34
                                        ; implicit-def: $vgpr34_vgpr35
.LBB15_5:
	s_and_not1_saveexec_b32 s2, s2
	s_cbranch_execz .LBB15_7
; %bb.6:
	v_div_scale_f32 v36, null, v34, v34, v35
	v_div_scale_f32 v39, vcc_lo, v35, v34, v35
	s_delay_alu instid0(VALU_DEP_2) | instskip(SKIP_1) | instid1(TRANS32_DEP_1)
	v_rcp_f32_e32 v37, v36
	v_nop
	v_fma_f32 v38, -v36, v37, 1.0
	s_delay_alu instid0(VALU_DEP_1) | instskip(NEXT) | instid1(VALU_DEP_1)
	v_fmac_f32_e32 v37, v38, v37
	v_mul_f32_e32 v38, v39, v37
	s_delay_alu instid0(VALU_DEP_1) | instskip(NEXT) | instid1(VALU_DEP_1)
	v_fma_f32 v40, -v36, v38, v39
	v_fmac_f32_e32 v38, v40, v37
	s_delay_alu instid0(VALU_DEP_1) | instskip(NEXT) | instid1(VALU_DEP_1)
	v_fma_f32 v36, -v36, v38, v39
	v_div_fmas_f32 v36, v36, v37, v38
	s_delay_alu instid0(VALU_DEP_1) | instskip(NEXT) | instid1(VALU_DEP_1)
	v_div_fixup_f32 v37, v36, v34, v35
	v_fmac_f32_e32 v34, v35, v37
	s_delay_alu instid0(VALU_DEP_1) | instskip(NEXT) | instid1(VALU_DEP_1)
	v_div_scale_f32 v35, null, v34, v34, 1.0
	v_rcp_f32_e32 v36, v35
	v_nop
	s_delay_alu instid0(TRANS32_DEP_1) | instskip(NEXT) | instid1(VALU_DEP_1)
	v_fma_f32 v38, -v35, v36, 1.0
	v_fmac_f32_e32 v36, v38, v36
	v_div_scale_f32 v38, vcc_lo, 1.0, v34, 1.0
	s_delay_alu instid0(VALU_DEP_1) | instskip(NEXT) | instid1(VALU_DEP_1)
	v_mul_f32_e32 v39, v38, v36
	v_fma_f32 v40, -v35, v39, v38
	s_delay_alu instid0(VALU_DEP_1) | instskip(NEXT) | instid1(VALU_DEP_1)
	v_fmac_f32_e32 v39, v40, v36
	v_fma_f32 v35, -v35, v39, v38
	s_delay_alu instid0(VALU_DEP_1) | instskip(NEXT) | instid1(VALU_DEP_1)
	v_div_fmas_f32 v35, v35, v36, v39
	v_div_fixup_f32 v36, v35, v34, 1.0
	s_delay_alu instid0(VALU_DEP_1)
	v_mul_f32_e64 v37, v37, -v36
.LBB15_7:
	s_or_b32 exec_lo, exec_lo, s2
	ds_store_b64 v51, v[36:37]
.LBB15_8:
	s_or_b32 exec_lo, exec_lo, s4
	s_wait_loadcnt_dscnt 0x0
	s_barrier_signal -1
	s_barrier_wait -1
	ds_load_b64 v[34:35], v51
	s_and_saveexec_b32 s2, s1
	s_cbranch_execz .LBB15_10
; %bb.9:
	s_wait_dscnt 0x0
	v_pk_mul_f32 v[36:37], v[34:35], v[22:23] op_sel:[1,1] op_sel_hi:[0,1]
	s_delay_alu instid0(VALU_DEP_1)
	v_pk_fma_f32 v[40:41], v[34:35], v[22:23], v[36:37] op_sel_hi:[1,0,1] neg_lo:[0,0,1] neg_hi:[0,0,1]
	v_pk_fma_f32 v[42:43], v[34:35], v[22:23], v[36:37] op_sel_hi:[1,0,1]
	ds_load_2addr_b64 v[36:39], v52 offset0:1 offset1:2
	v_dual_mov_b32 v22, v40 :: v_dual_mov_b32 v23, v43
	s_wait_dscnt 0x0
	v_pk_mul_f32 v[44:45], v[36:37], v[42:43] op_sel:[0,1]
	s_delay_alu instid0(VALU_DEP_1) | instskip(SKIP_1) | instid1(VALU_DEP_1)
	v_pk_fma_f32 v[46:47], v[36:37], v[40:41], v[44:45] op_sel:[0,0,1] op_sel_hi:[1,1,0] neg_lo:[0,0,1] neg_hi:[0,0,1]
	v_pk_fma_f32 v[36:37], v[36:37], v[40:41], v[44:45] op_sel:[0,0,1] op_sel_hi:[1,0,0]
	v_mov_b32_e32 v47, v37
	v_pk_mul_f32 v[36:37], v[38:39], v[42:43] op_sel:[0,1]
	s_delay_alu instid0(VALU_DEP_1) | instskip(SKIP_1) | instid1(VALU_DEP_1)
	v_pk_fma_f32 v[44:45], v[38:39], v[40:41], v[36:37] op_sel:[0,0,1] op_sel_hi:[1,1,0] neg_lo:[0,0,1] neg_hi:[0,0,1]
	v_pk_fma_f32 v[36:37], v[38:39], v[40:41], v[36:37] op_sel:[0,0,1] op_sel_hi:[1,0,0]
	v_mov_b32_e32 v45, v37
	ds_load_2addr_b64 v[36:39], v52 offset0:3 offset1:4
	v_pk_add_f32 v[24:25], v[24:25], v[46:47] neg_lo:[0,1] neg_hi:[0,1]
	v_pk_add_f32 v[20:21], v[20:21], v[44:45] neg_lo:[0,1] neg_hi:[0,1]
	s_wait_dscnt 0x0
	v_pk_mul_f32 v[44:45], v[36:37], v[42:43] op_sel:[0,1]
	s_delay_alu instid0(VALU_DEP_1) | instskip(SKIP_2) | instid1(VALU_DEP_2)
	v_pk_fma_f32 v[46:47], v[36:37], v[40:41], v[44:45] op_sel:[0,0,1] op_sel_hi:[1,1,0] neg_lo:[0,0,1] neg_hi:[0,0,1]
	v_pk_fma_f32 v[36:37], v[36:37], v[40:41], v[44:45] op_sel:[0,0,1] op_sel_hi:[1,0,0]
	v_dual_mul_f32 v44, v39, v43 :: v_dual_mov_b32 v36, v39
	v_dual_mov_b32 v47, v37 :: v_dual_mov_b32 v37, v38
	s_delay_alu instid0(VALU_DEP_2) | instskip(SKIP_1) | instid1(VALU_DEP_3)
	v_pk_fma_f32 v[44:45], v[38:39], v[22:23], v[44:45] op_sel_hi:[1,1,0] neg_lo:[0,0,1] neg_hi:[0,0,1]
	v_mul_f32_e32 v38, v39, v40
	v_pk_add_f32 v[18:19], v[18:19], v[46:47] neg_lo:[0,1] neg_hi:[0,1]
	s_delay_alu instid0(VALU_DEP_2) | instskip(NEXT) | instid1(VALU_DEP_1)
	v_pk_fma_f32 v[36:37], v[36:37], v[22:23], v[38:39] op_sel_hi:[1,1,0]
	v_mov_b32_e32 v45, v37
	ds_load_2addr_b64 v[36:39], v52 offset0:5 offset1:6
	v_pk_add_f32 v[32:33], v[32:33], v[44:45] neg_lo:[0,1] neg_hi:[0,1]
	s_wait_dscnt 0x0
	v_pk_mul_f32 v[44:45], v[36:37], v[42:43] op_sel:[0,1]
	s_delay_alu instid0(VALU_DEP_1) | instskip(SKIP_1) | instid1(VALU_DEP_1)
	v_pk_fma_f32 v[46:47], v[36:37], v[40:41], v[44:45] op_sel:[0,0,1] op_sel_hi:[1,1,0] neg_lo:[0,0,1] neg_hi:[0,0,1]
	v_pk_fma_f32 v[36:37], v[36:37], v[40:41], v[44:45] op_sel:[0,0,1] op_sel_hi:[1,0,0]
	v_mov_b32_e32 v47, v37
	v_pk_mul_f32 v[36:37], v[38:39], v[42:43] op_sel:[0,1]
	s_delay_alu instid0(VALU_DEP_1) | instskip(SKIP_1) | instid1(VALU_DEP_1)
	v_pk_fma_f32 v[44:45], v[38:39], v[40:41], v[36:37] op_sel:[0,0,1] op_sel_hi:[1,1,0] neg_lo:[0,0,1] neg_hi:[0,0,1]
	v_pk_fma_f32 v[36:37], v[38:39], v[40:41], v[36:37] op_sel:[0,0,1] op_sel_hi:[1,0,0]
	v_mov_b32_e32 v45, v37
	ds_load_b64 v[36:37], v52 offset:56
	v_pk_add_f32 v[30:31], v[30:31], v[46:47] neg_lo:[0,1] neg_hi:[0,1]
	v_pk_add_f32 v[28:29], v[28:29], v[44:45] neg_lo:[0,1] neg_hi:[0,1]
	s_wait_dscnt 0x0
	v_pk_mul_f32 v[38:39], v[36:37], v[42:43] op_sel:[0,1]
	s_delay_alu instid0(VALU_DEP_1) | instskip(SKIP_1) | instid1(VALU_DEP_1)
	v_pk_fma_f32 v[42:43], v[36:37], v[40:41], v[38:39] op_sel:[0,0,1] op_sel_hi:[1,1,0] neg_lo:[0,0,1] neg_hi:[0,0,1]
	v_pk_fma_f32 v[36:37], v[36:37], v[40:41], v[38:39] op_sel:[0,0,1] op_sel_hi:[1,0,0]
	v_mov_b32_e32 v43, v37
	s_delay_alu instid0(VALU_DEP_1)
	v_pk_add_f32 v[26:27], v[26:27], v[42:43] neg_lo:[0,1] neg_hi:[0,1]
.LBB15_10:
	s_or_b32 exec_lo, exec_lo, s2
	s_delay_alu instid0(SALU_CYCLE_1)
	s_mov_b32 s2, exec_lo
	s_wait_dscnt 0x0
	s_barrier_signal -1
	s_barrier_wait -1
	v_cmpx_eq_u32_e32 1, v50
	s_cbranch_execz .LBB15_17
; %bb.11:
	v_dual_mov_b32 v36, v20 :: v_dual_mov_b32 v37, v21
	v_dual_mov_b32 v38, v18 :: v_dual_mov_b32 v39, v19
	;; [unrolled: 1-line block ×5, first 2 shown]
	ds_store_b64 v51, v[24:25]
	ds_store_2addr_b64 v52, v[36:37], v[38:39] offset0:2 offset1:3
	ds_store_2addr_b64 v52, v[40:41], v[42:43] offset0:4 offset1:5
	;; [unrolled: 1-line block ×3, first 2 shown]
	ds_load_b64 v[36:37], v51
	s_wait_dscnt 0x0
	v_cmp_neq_f32_e32 vcc_lo, 0, v36
	v_cmp_neq_f32_e64 s1, 0, v37
	s_or_b32 s1, vcc_lo, s1
	s_delay_alu instid0(SALU_CYCLE_1)
	s_and_b32 exec_lo, exec_lo, s1
	s_cbranch_execz .LBB15_17
; %bb.12:
	v_cmp_ngt_f32_e64 s1, |v36|, |v37|
                                        ; implicit-def: $vgpr38_vgpr39
	s_and_saveexec_b32 s4, s1
	s_delay_alu instid0(SALU_CYCLE_1)
	s_xor_b32 s1, exec_lo, s4
	s_cbranch_execz .LBB15_14
; %bb.13:
	v_div_scale_f32 v38, null, v37, v37, v36
	v_div_scale_f32 v41, vcc_lo, v36, v37, v36
	s_delay_alu instid0(VALU_DEP_2) | instskip(SKIP_1) | instid1(TRANS32_DEP_1)
	v_rcp_f32_e32 v39, v38
	v_nop
	v_fma_f32 v40, -v38, v39, 1.0
	s_delay_alu instid0(VALU_DEP_1) | instskip(NEXT) | instid1(VALU_DEP_1)
	v_fmac_f32_e32 v39, v40, v39
	v_mul_f32_e32 v40, v41, v39
	s_delay_alu instid0(VALU_DEP_1) | instskip(NEXT) | instid1(VALU_DEP_1)
	v_fma_f32 v42, -v38, v40, v41
	v_fmac_f32_e32 v40, v42, v39
	s_delay_alu instid0(VALU_DEP_1) | instskip(NEXT) | instid1(VALU_DEP_1)
	v_fma_f32 v38, -v38, v40, v41
	v_div_fmas_f32 v38, v38, v39, v40
	s_delay_alu instid0(VALU_DEP_1) | instskip(NEXT) | instid1(VALU_DEP_1)
	v_div_fixup_f32 v38, v38, v37, v36
	v_fmac_f32_e32 v37, v36, v38
	s_delay_alu instid0(VALU_DEP_1) | instskip(SKIP_1) | instid1(VALU_DEP_2)
	v_div_scale_f32 v36, null, v37, v37, 1.0
	v_div_scale_f32 v41, vcc_lo, 1.0, v37, 1.0
	v_rcp_f32_e32 v39, v36
	v_nop
	s_delay_alu instid0(TRANS32_DEP_1) | instskip(NEXT) | instid1(VALU_DEP_1)
	v_fma_f32 v40, -v36, v39, 1.0
	v_fmac_f32_e32 v39, v40, v39
	s_delay_alu instid0(VALU_DEP_1) | instskip(NEXT) | instid1(VALU_DEP_1)
	v_mul_f32_e32 v40, v41, v39
	v_fma_f32 v42, -v36, v40, v41
	s_delay_alu instid0(VALU_DEP_1) | instskip(NEXT) | instid1(VALU_DEP_1)
	v_fmac_f32_e32 v40, v42, v39
	v_fma_f32 v36, -v36, v40, v41
	s_delay_alu instid0(VALU_DEP_1) | instskip(NEXT) | instid1(VALU_DEP_1)
	v_div_fmas_f32 v36, v36, v39, v40
	v_div_fixup_f32 v36, v36, v37, 1.0
	s_delay_alu instid0(VALU_DEP_1)
	v_mul_f32_e32 v38, v38, v36
	v_xor_b32_e32 v39, 0x80000000, v36
                                        ; implicit-def: $vgpr36_vgpr37
.LBB15_14:
	s_and_not1_saveexec_b32 s1, s1
	s_cbranch_execz .LBB15_16
; %bb.15:
	v_div_scale_f32 v38, null, v36, v36, v37
	v_div_scale_f32 v41, vcc_lo, v37, v36, v37
	s_delay_alu instid0(VALU_DEP_2) | instskip(SKIP_1) | instid1(TRANS32_DEP_1)
	v_rcp_f32_e32 v39, v38
	v_nop
	v_fma_f32 v40, -v38, v39, 1.0
	s_delay_alu instid0(VALU_DEP_1) | instskip(NEXT) | instid1(VALU_DEP_1)
	v_fmac_f32_e32 v39, v40, v39
	v_mul_f32_e32 v40, v41, v39
	s_delay_alu instid0(VALU_DEP_1) | instskip(NEXT) | instid1(VALU_DEP_1)
	v_fma_f32 v42, -v38, v40, v41
	v_fmac_f32_e32 v40, v42, v39
	s_delay_alu instid0(VALU_DEP_1) | instskip(NEXT) | instid1(VALU_DEP_1)
	v_fma_f32 v38, -v38, v40, v41
	v_div_fmas_f32 v38, v38, v39, v40
	s_delay_alu instid0(VALU_DEP_1) | instskip(NEXT) | instid1(VALU_DEP_1)
	v_div_fixup_f32 v39, v38, v36, v37
	v_fmac_f32_e32 v36, v37, v39
	s_delay_alu instid0(VALU_DEP_1) | instskip(NEXT) | instid1(VALU_DEP_1)
	v_div_scale_f32 v37, null, v36, v36, 1.0
	v_rcp_f32_e32 v38, v37
	v_nop
	s_delay_alu instid0(TRANS32_DEP_1) | instskip(NEXT) | instid1(VALU_DEP_1)
	v_fma_f32 v40, -v37, v38, 1.0
	v_fmac_f32_e32 v38, v40, v38
	v_div_scale_f32 v40, vcc_lo, 1.0, v36, 1.0
	s_delay_alu instid0(VALU_DEP_1) | instskip(NEXT) | instid1(VALU_DEP_1)
	v_mul_f32_e32 v41, v40, v38
	v_fma_f32 v42, -v37, v41, v40
	s_delay_alu instid0(VALU_DEP_1) | instskip(NEXT) | instid1(VALU_DEP_1)
	v_fmac_f32_e32 v41, v42, v38
	v_fma_f32 v37, -v37, v41, v40
	s_delay_alu instid0(VALU_DEP_1) | instskip(NEXT) | instid1(VALU_DEP_1)
	v_div_fmas_f32 v37, v37, v38, v41
	v_div_fixup_f32 v38, v37, v36, 1.0
	s_delay_alu instid0(VALU_DEP_1)
	v_mul_f32_e64 v39, v39, -v38
.LBB15_16:
	s_or_b32 exec_lo, exec_lo, s1
	ds_store_b64 v51, v[38:39]
.LBB15_17:
	s_or_b32 exec_lo, exec_lo, s2
	s_wait_dscnt 0x0
	s_barrier_signal -1
	s_barrier_wait -1
	ds_load_b64 v[36:37], v51
	s_mov_b32 s1, exec_lo
	v_cmpx_lt_u32_e32 1, v50
	s_cbranch_execz .LBB15_19
; %bb.18:
	s_wait_dscnt 0x0
	v_pk_mul_f32 v[38:39], v[36:37], v[24:25] op_sel:[1,1] op_sel_hi:[0,1]
	s_delay_alu instid0(VALU_DEP_1)
	v_pk_fma_f32 v[42:43], v[36:37], v[24:25], v[38:39] op_sel_hi:[1,0,1] neg_lo:[0,0,1] neg_hi:[0,0,1]
	v_pk_fma_f32 v[44:45], v[36:37], v[24:25], v[38:39] op_sel_hi:[1,0,1]
	ds_load_2addr_b64 v[38:41], v52 offset0:2 offset1:3
	v_dual_mov_b32 v24, v42 :: v_dual_mov_b32 v25, v45
	s_wait_dscnt 0x0
	v_pk_mul_f32 v[46:47], v[38:39], v[44:45] op_sel:[0,1]
	s_delay_alu instid0(VALU_DEP_1) | instskip(SKIP_1) | instid1(VALU_DEP_1)
	v_pk_fma_f32 v[48:49], v[38:39], v[42:43], v[46:47] op_sel:[0,0,1] op_sel_hi:[1,1,0] neg_lo:[0,0,1] neg_hi:[0,0,1]
	v_pk_fma_f32 v[38:39], v[38:39], v[42:43], v[46:47] op_sel:[0,0,1] op_sel_hi:[1,0,0]
	v_mov_b32_e32 v49, v39
	v_pk_mul_f32 v[38:39], v[40:41], v[44:45] op_sel:[0,1]
	s_delay_alu instid0(VALU_DEP_1) | instskip(SKIP_1) | instid1(VALU_DEP_1)
	v_pk_fma_f32 v[46:47], v[40:41], v[42:43], v[38:39] op_sel:[0,0,1] op_sel_hi:[1,1,0] neg_lo:[0,0,1] neg_hi:[0,0,1]
	v_pk_fma_f32 v[38:39], v[40:41], v[42:43], v[38:39] op_sel:[0,0,1] op_sel_hi:[1,0,0]
	v_mov_b32_e32 v47, v39
	ds_load_2addr_b64 v[38:41], v52 offset0:4 offset1:5
	v_pk_add_f32 v[20:21], v[20:21], v[48:49] neg_lo:[0,1] neg_hi:[0,1]
	v_pk_add_f32 v[18:19], v[18:19], v[46:47] neg_lo:[0,1] neg_hi:[0,1]
	s_wait_dscnt 0x0
	v_pk_mul_f32 v[46:47], v[38:39], v[44:45] op_sel:[0,1]
	s_delay_alu instid0(VALU_DEP_1) | instskip(SKIP_2) | instid1(VALU_DEP_2)
	v_pk_fma_f32 v[48:49], v[38:39], v[42:43], v[46:47] op_sel:[0,0,1] op_sel_hi:[1,1,0] neg_lo:[0,0,1] neg_hi:[0,0,1]
	v_pk_fma_f32 v[38:39], v[38:39], v[42:43], v[46:47] op_sel:[0,0,1] op_sel_hi:[1,0,0]
	v_dual_mul_f32 v46, v41, v45 :: v_dual_mov_b32 v38, v41
	v_dual_mov_b32 v49, v39 :: v_dual_mov_b32 v39, v40
	s_delay_alu instid0(VALU_DEP_2) | instskip(SKIP_1) | instid1(VALU_DEP_3)
	v_pk_fma_f32 v[46:47], v[40:41], v[24:25], v[46:47] op_sel_hi:[1,1,0] neg_lo:[0,0,1] neg_hi:[0,0,1]
	v_mul_f32_e32 v40, v41, v42
	v_pk_add_f32 v[32:33], v[32:33], v[48:49] neg_lo:[0,1] neg_hi:[0,1]
	s_delay_alu instid0(VALU_DEP_2) | instskip(NEXT) | instid1(VALU_DEP_1)
	v_pk_fma_f32 v[38:39], v[38:39], v[24:25], v[40:41] op_sel_hi:[1,1,0]
	v_mov_b32_e32 v47, v39
	ds_load_2addr_b64 v[38:41], v52 offset0:6 offset1:7
	v_pk_add_f32 v[30:31], v[30:31], v[46:47] neg_lo:[0,1] neg_hi:[0,1]
	s_wait_dscnt 0x0
	v_pk_mul_f32 v[46:47], v[38:39], v[44:45] op_sel:[0,1]
	v_mul_f32_e32 v44, v41, v45
	s_delay_alu instid0(VALU_DEP_2) | instskip(SKIP_2) | instid1(VALU_DEP_4)
	v_pk_fma_f32 v[48:49], v[38:39], v[42:43], v[46:47] op_sel:[0,0,1] op_sel_hi:[1,1,0] neg_lo:[0,0,1] neg_hi:[0,0,1]
	v_pk_fma_f32 v[38:39], v[38:39], v[42:43], v[46:47] op_sel:[0,0,1] op_sel_hi:[1,0,0]
	v_mov_b32_e32 v38, v41
	v_pk_fma_f32 v[44:45], v[40:41], v[24:25], v[44:45] op_sel_hi:[1,1,0] neg_lo:[0,0,1] neg_hi:[0,0,1]
	s_delay_alu instid0(VALU_DEP_3) | instskip(SKIP_1) | instid1(VALU_DEP_2)
	v_dual_mov_b32 v49, v39 :: v_dual_mov_b32 v39, v40
	v_mul_f32_e32 v40, v41, v42
	v_pk_add_f32 v[28:29], v[28:29], v[48:49] neg_lo:[0,1] neg_hi:[0,1]
	s_delay_alu instid0(VALU_DEP_2) | instskip(NEXT) | instid1(VALU_DEP_1)
	v_pk_fma_f32 v[38:39], v[38:39], v[24:25], v[40:41] op_sel_hi:[1,1,0]
	v_mov_b32_e32 v45, v39
	s_delay_alu instid0(VALU_DEP_1)
	v_pk_add_f32 v[26:27], v[26:27], v[44:45] neg_lo:[0,1] neg_hi:[0,1]
.LBB15_19:
	s_or_b32 exec_lo, exec_lo, s1
	s_delay_alu instid0(SALU_CYCLE_1)
	s_mov_b32 s2, exec_lo
	s_wait_dscnt 0x0
	s_barrier_signal -1
	s_barrier_wait -1
	v_cmpx_eq_u32_e32 2, v50
	s_cbranch_execz .LBB15_26
; %bb.20:
	ds_store_b64 v51, v[20:21]
	ds_store_2addr_b64 v52, v[18:19], v[32:33] offset0:3 offset1:4
	ds_store_2addr_b64 v52, v[30:31], v[28:29] offset0:5 offset1:6
	ds_store_b64 v52, v[26:27] offset:56
	ds_load_b64 v[38:39], v51
	s_wait_dscnt 0x0
	v_cmp_neq_f32_e32 vcc_lo, 0, v38
	v_cmp_neq_f32_e64 s1, 0, v39
	s_or_b32 s1, vcc_lo, s1
	s_delay_alu instid0(SALU_CYCLE_1)
	s_and_b32 exec_lo, exec_lo, s1
	s_cbranch_execz .LBB15_26
; %bb.21:
	v_cmp_ngt_f32_e64 s1, |v38|, |v39|
                                        ; implicit-def: $vgpr40_vgpr41
	s_and_saveexec_b32 s4, s1
	s_delay_alu instid0(SALU_CYCLE_1)
	s_xor_b32 s1, exec_lo, s4
	s_cbranch_execz .LBB15_23
; %bb.22:
	v_div_scale_f32 v40, null, v39, v39, v38
	v_div_scale_f32 v43, vcc_lo, v38, v39, v38
	s_delay_alu instid0(VALU_DEP_2) | instskip(SKIP_1) | instid1(TRANS32_DEP_1)
	v_rcp_f32_e32 v41, v40
	v_nop
	v_fma_f32 v42, -v40, v41, 1.0
	s_delay_alu instid0(VALU_DEP_1) | instskip(NEXT) | instid1(VALU_DEP_1)
	v_fmac_f32_e32 v41, v42, v41
	v_mul_f32_e32 v42, v43, v41
	s_delay_alu instid0(VALU_DEP_1) | instskip(NEXT) | instid1(VALU_DEP_1)
	v_fma_f32 v44, -v40, v42, v43
	v_fmac_f32_e32 v42, v44, v41
	s_delay_alu instid0(VALU_DEP_1) | instskip(NEXT) | instid1(VALU_DEP_1)
	v_fma_f32 v40, -v40, v42, v43
	v_div_fmas_f32 v40, v40, v41, v42
	s_delay_alu instid0(VALU_DEP_1) | instskip(NEXT) | instid1(VALU_DEP_1)
	v_div_fixup_f32 v40, v40, v39, v38
	v_fmac_f32_e32 v39, v38, v40
	s_delay_alu instid0(VALU_DEP_1) | instskip(SKIP_1) | instid1(VALU_DEP_2)
	v_div_scale_f32 v38, null, v39, v39, 1.0
	v_div_scale_f32 v43, vcc_lo, 1.0, v39, 1.0
	v_rcp_f32_e32 v41, v38
	v_nop
	s_delay_alu instid0(TRANS32_DEP_1) | instskip(NEXT) | instid1(VALU_DEP_1)
	v_fma_f32 v42, -v38, v41, 1.0
	v_fmac_f32_e32 v41, v42, v41
	s_delay_alu instid0(VALU_DEP_1) | instskip(NEXT) | instid1(VALU_DEP_1)
	v_mul_f32_e32 v42, v43, v41
	v_fma_f32 v44, -v38, v42, v43
	s_delay_alu instid0(VALU_DEP_1) | instskip(NEXT) | instid1(VALU_DEP_1)
	v_fmac_f32_e32 v42, v44, v41
	v_fma_f32 v38, -v38, v42, v43
	s_delay_alu instid0(VALU_DEP_1) | instskip(NEXT) | instid1(VALU_DEP_1)
	v_div_fmas_f32 v38, v38, v41, v42
	v_div_fixup_f32 v38, v38, v39, 1.0
	s_delay_alu instid0(VALU_DEP_1)
	v_mul_f32_e32 v40, v40, v38
	v_xor_b32_e32 v41, 0x80000000, v38
                                        ; implicit-def: $vgpr38_vgpr39
.LBB15_23:
	s_and_not1_saveexec_b32 s1, s1
	s_cbranch_execz .LBB15_25
; %bb.24:
	v_div_scale_f32 v40, null, v38, v38, v39
	v_div_scale_f32 v43, vcc_lo, v39, v38, v39
	s_delay_alu instid0(VALU_DEP_2) | instskip(SKIP_1) | instid1(TRANS32_DEP_1)
	v_rcp_f32_e32 v41, v40
	v_nop
	v_fma_f32 v42, -v40, v41, 1.0
	s_delay_alu instid0(VALU_DEP_1) | instskip(NEXT) | instid1(VALU_DEP_1)
	v_fmac_f32_e32 v41, v42, v41
	v_mul_f32_e32 v42, v43, v41
	s_delay_alu instid0(VALU_DEP_1) | instskip(NEXT) | instid1(VALU_DEP_1)
	v_fma_f32 v44, -v40, v42, v43
	v_fmac_f32_e32 v42, v44, v41
	s_delay_alu instid0(VALU_DEP_1) | instskip(NEXT) | instid1(VALU_DEP_1)
	v_fma_f32 v40, -v40, v42, v43
	v_div_fmas_f32 v40, v40, v41, v42
	s_delay_alu instid0(VALU_DEP_1) | instskip(NEXT) | instid1(VALU_DEP_1)
	v_div_fixup_f32 v41, v40, v38, v39
	v_fmac_f32_e32 v38, v39, v41
	s_delay_alu instid0(VALU_DEP_1) | instskip(NEXT) | instid1(VALU_DEP_1)
	v_div_scale_f32 v39, null, v38, v38, 1.0
	v_rcp_f32_e32 v40, v39
	v_nop
	s_delay_alu instid0(TRANS32_DEP_1) | instskip(NEXT) | instid1(VALU_DEP_1)
	v_fma_f32 v42, -v39, v40, 1.0
	v_fmac_f32_e32 v40, v42, v40
	v_div_scale_f32 v42, vcc_lo, 1.0, v38, 1.0
	s_delay_alu instid0(VALU_DEP_1) | instskip(NEXT) | instid1(VALU_DEP_1)
	v_mul_f32_e32 v43, v42, v40
	v_fma_f32 v44, -v39, v43, v42
	s_delay_alu instid0(VALU_DEP_1) | instskip(NEXT) | instid1(VALU_DEP_1)
	v_fmac_f32_e32 v43, v44, v40
	v_fma_f32 v39, -v39, v43, v42
	s_delay_alu instid0(VALU_DEP_1) | instskip(NEXT) | instid1(VALU_DEP_1)
	v_div_fmas_f32 v39, v39, v40, v43
	v_div_fixup_f32 v40, v39, v38, 1.0
	s_delay_alu instid0(VALU_DEP_1)
	v_mul_f32_e64 v41, v41, -v40
.LBB15_25:
	s_or_b32 exec_lo, exec_lo, s1
	ds_store_b64 v51, v[40:41]
.LBB15_26:
	s_or_b32 exec_lo, exec_lo, s2
	s_wait_dscnt 0x0
	s_barrier_signal -1
	s_barrier_wait -1
	ds_load_b64 v[38:39], v51
	s_mov_b32 s1, exec_lo
	v_cmpx_lt_u32_e32 2, v50
	s_cbranch_execz .LBB15_28
; %bb.27:
	s_wait_dscnt 0x0
	v_pk_mul_f32 v[40:41], v[38:39], v[20:21] op_sel:[1,1] op_sel_hi:[0,1]
	s_delay_alu instid0(VALU_DEP_1)
	v_pk_fma_f32 v[44:45], v[38:39], v[20:21], v[40:41] op_sel_hi:[1,0,1] neg_lo:[0,0,1] neg_hi:[0,0,1]
	v_pk_fma_f32 v[46:47], v[38:39], v[20:21], v[40:41] op_sel_hi:[1,0,1]
	ds_load_2addr_b64 v[40:43], v52 offset0:3 offset1:4
	v_dual_mov_b32 v20, v44 :: v_dual_mov_b32 v21, v47
	s_wait_dscnt 0x0
	v_pk_mul_f32 v[48:49], v[40:41], v[46:47] op_sel:[0,1]
	s_delay_alu instid0(VALU_DEP_1) | instskip(SKIP_1) | instid1(VALU_DEP_1)
	v_pk_fma_f32 v[54:55], v[40:41], v[44:45], v[48:49] op_sel:[0,0,1] op_sel_hi:[1,1,0] neg_lo:[0,0,1] neg_hi:[0,0,1]
	v_pk_fma_f32 v[40:41], v[40:41], v[44:45], v[48:49] op_sel:[0,0,1] op_sel_hi:[1,0,0]
	v_mov_b32_e32 v55, v41
	v_pk_mul_f32 v[40:41], v[42:43], v[46:47] op_sel:[0,1]
	s_delay_alu instid0(VALU_DEP_1) | instskip(SKIP_1) | instid1(VALU_DEP_1)
	v_pk_fma_f32 v[48:49], v[42:43], v[44:45], v[40:41] op_sel:[0,0,1] op_sel_hi:[1,1,0] neg_lo:[0,0,1] neg_hi:[0,0,1]
	v_pk_fma_f32 v[40:41], v[42:43], v[44:45], v[40:41] op_sel:[0,0,1] op_sel_hi:[1,0,0]
	v_mov_b32_e32 v49, v41
	ds_load_2addr_b64 v[40:43], v52 offset0:5 offset1:6
	v_pk_add_f32 v[18:19], v[18:19], v[54:55] neg_lo:[0,1] neg_hi:[0,1]
	v_pk_add_f32 v[32:33], v[32:33], v[48:49] neg_lo:[0,1] neg_hi:[0,1]
	s_wait_dscnt 0x0
	v_pk_mul_f32 v[48:49], v[40:41], v[46:47] op_sel:[0,1]
	s_delay_alu instid0(VALU_DEP_1) | instskip(SKIP_2) | instid1(VALU_DEP_2)
	v_pk_fma_f32 v[54:55], v[40:41], v[44:45], v[48:49] op_sel:[0,0,1] op_sel_hi:[1,1,0] neg_lo:[0,0,1] neg_hi:[0,0,1]
	v_pk_fma_f32 v[40:41], v[40:41], v[44:45], v[48:49] op_sel:[0,0,1] op_sel_hi:[1,0,0]
	v_dual_mul_f32 v48, v43, v47 :: v_dual_mov_b32 v40, v43
	v_dual_mov_b32 v55, v41 :: v_dual_mov_b32 v41, v42
	s_delay_alu instid0(VALU_DEP_2) | instskip(SKIP_1) | instid1(VALU_DEP_3)
	v_pk_fma_f32 v[48:49], v[42:43], v[20:21], v[48:49] op_sel_hi:[1,1,0] neg_lo:[0,0,1] neg_hi:[0,0,1]
	v_mul_f32_e32 v42, v43, v44
	v_pk_add_f32 v[30:31], v[30:31], v[54:55] neg_lo:[0,1] neg_hi:[0,1]
	s_delay_alu instid0(VALU_DEP_2) | instskip(NEXT) | instid1(VALU_DEP_1)
	v_pk_fma_f32 v[40:41], v[40:41], v[20:21], v[42:43] op_sel_hi:[1,1,0]
	v_mov_b32_e32 v49, v41
	ds_load_b64 v[40:41], v52 offset:56
	v_pk_add_f32 v[28:29], v[28:29], v[48:49] neg_lo:[0,1] neg_hi:[0,1]
	s_wait_dscnt 0x0
	v_pk_mul_f32 v[42:43], v[40:41], v[46:47] op_sel:[0,1]
	s_delay_alu instid0(VALU_DEP_1) | instskip(SKIP_1) | instid1(VALU_DEP_1)
	v_pk_fma_f32 v[46:47], v[40:41], v[44:45], v[42:43] op_sel:[0,0,1] op_sel_hi:[1,1,0] neg_lo:[0,0,1] neg_hi:[0,0,1]
	v_pk_fma_f32 v[40:41], v[40:41], v[44:45], v[42:43] op_sel:[0,0,1] op_sel_hi:[1,0,0]
	v_mov_b32_e32 v47, v41
	s_delay_alu instid0(VALU_DEP_1)
	v_pk_add_f32 v[26:27], v[26:27], v[46:47] neg_lo:[0,1] neg_hi:[0,1]
.LBB15_28:
	s_or_b32 exec_lo, exec_lo, s1
	s_delay_alu instid0(SALU_CYCLE_1)
	s_mov_b32 s2, exec_lo
	s_wait_dscnt 0x0
	s_barrier_signal -1
	s_barrier_wait -1
	v_cmpx_eq_u32_e32 3, v50
	s_cbranch_execz .LBB15_35
; %bb.29:
	v_dual_mov_b32 v40, v32 :: v_dual_mov_b32 v41, v33
	v_dual_mov_b32 v42, v30 :: v_dual_mov_b32 v43, v31
	;; [unrolled: 1-line block ×3, first 2 shown]
	ds_store_b64 v51, v[18:19]
	ds_store_2addr_b64 v52, v[40:41], v[42:43] offset0:4 offset1:5
	ds_store_2addr_b64 v52, v[44:45], v[26:27] offset0:6 offset1:7
	ds_load_b64 v[40:41], v51
	s_wait_dscnt 0x0
	v_cmp_neq_f32_e32 vcc_lo, 0, v40
	v_cmp_neq_f32_e64 s1, 0, v41
	s_or_b32 s1, vcc_lo, s1
	s_delay_alu instid0(SALU_CYCLE_1)
	s_and_b32 exec_lo, exec_lo, s1
	s_cbranch_execz .LBB15_35
; %bb.30:
	v_cmp_ngt_f32_e64 s1, |v40|, |v41|
                                        ; implicit-def: $vgpr42_vgpr43
	s_and_saveexec_b32 s4, s1
	s_delay_alu instid0(SALU_CYCLE_1)
	s_xor_b32 s1, exec_lo, s4
	s_cbranch_execz .LBB15_32
; %bb.31:
	v_div_scale_f32 v42, null, v41, v41, v40
	v_div_scale_f32 v45, vcc_lo, v40, v41, v40
	s_delay_alu instid0(VALU_DEP_2) | instskip(SKIP_1) | instid1(TRANS32_DEP_1)
	v_rcp_f32_e32 v43, v42
	v_nop
	v_fma_f32 v44, -v42, v43, 1.0
	s_delay_alu instid0(VALU_DEP_1) | instskip(NEXT) | instid1(VALU_DEP_1)
	v_fmac_f32_e32 v43, v44, v43
	v_mul_f32_e32 v44, v45, v43
	s_delay_alu instid0(VALU_DEP_1) | instskip(NEXT) | instid1(VALU_DEP_1)
	v_fma_f32 v46, -v42, v44, v45
	v_fmac_f32_e32 v44, v46, v43
	s_delay_alu instid0(VALU_DEP_1) | instskip(NEXT) | instid1(VALU_DEP_1)
	v_fma_f32 v42, -v42, v44, v45
	v_div_fmas_f32 v42, v42, v43, v44
	s_delay_alu instid0(VALU_DEP_1) | instskip(NEXT) | instid1(VALU_DEP_1)
	v_div_fixup_f32 v42, v42, v41, v40
	v_fmac_f32_e32 v41, v40, v42
	s_delay_alu instid0(VALU_DEP_1) | instskip(SKIP_1) | instid1(VALU_DEP_2)
	v_div_scale_f32 v40, null, v41, v41, 1.0
	v_div_scale_f32 v45, vcc_lo, 1.0, v41, 1.0
	v_rcp_f32_e32 v43, v40
	v_nop
	s_delay_alu instid0(TRANS32_DEP_1) | instskip(NEXT) | instid1(VALU_DEP_1)
	v_fma_f32 v44, -v40, v43, 1.0
	v_fmac_f32_e32 v43, v44, v43
	s_delay_alu instid0(VALU_DEP_1) | instskip(NEXT) | instid1(VALU_DEP_1)
	v_mul_f32_e32 v44, v45, v43
	v_fma_f32 v46, -v40, v44, v45
	s_delay_alu instid0(VALU_DEP_1) | instskip(NEXT) | instid1(VALU_DEP_1)
	v_fmac_f32_e32 v44, v46, v43
	v_fma_f32 v40, -v40, v44, v45
	s_delay_alu instid0(VALU_DEP_1) | instskip(NEXT) | instid1(VALU_DEP_1)
	v_div_fmas_f32 v40, v40, v43, v44
	v_div_fixup_f32 v40, v40, v41, 1.0
	s_delay_alu instid0(VALU_DEP_1)
	v_mul_f32_e32 v42, v42, v40
	v_xor_b32_e32 v43, 0x80000000, v40
                                        ; implicit-def: $vgpr40_vgpr41
.LBB15_32:
	s_and_not1_saveexec_b32 s1, s1
	s_cbranch_execz .LBB15_34
; %bb.33:
	v_div_scale_f32 v42, null, v40, v40, v41
	v_div_scale_f32 v45, vcc_lo, v41, v40, v41
	s_delay_alu instid0(VALU_DEP_2) | instskip(SKIP_1) | instid1(TRANS32_DEP_1)
	v_rcp_f32_e32 v43, v42
	v_nop
	v_fma_f32 v44, -v42, v43, 1.0
	s_delay_alu instid0(VALU_DEP_1) | instskip(NEXT) | instid1(VALU_DEP_1)
	v_fmac_f32_e32 v43, v44, v43
	v_mul_f32_e32 v44, v45, v43
	s_delay_alu instid0(VALU_DEP_1) | instskip(NEXT) | instid1(VALU_DEP_1)
	v_fma_f32 v46, -v42, v44, v45
	v_fmac_f32_e32 v44, v46, v43
	s_delay_alu instid0(VALU_DEP_1) | instskip(NEXT) | instid1(VALU_DEP_1)
	v_fma_f32 v42, -v42, v44, v45
	v_div_fmas_f32 v42, v42, v43, v44
	s_delay_alu instid0(VALU_DEP_1) | instskip(NEXT) | instid1(VALU_DEP_1)
	v_div_fixup_f32 v43, v42, v40, v41
	v_fmac_f32_e32 v40, v41, v43
	s_delay_alu instid0(VALU_DEP_1) | instskip(NEXT) | instid1(VALU_DEP_1)
	v_div_scale_f32 v41, null, v40, v40, 1.0
	v_rcp_f32_e32 v42, v41
	v_nop
	s_delay_alu instid0(TRANS32_DEP_1) | instskip(NEXT) | instid1(VALU_DEP_1)
	v_fma_f32 v44, -v41, v42, 1.0
	v_fmac_f32_e32 v42, v44, v42
	v_div_scale_f32 v44, vcc_lo, 1.0, v40, 1.0
	s_delay_alu instid0(VALU_DEP_1) | instskip(NEXT) | instid1(VALU_DEP_1)
	v_mul_f32_e32 v45, v44, v42
	v_fma_f32 v46, -v41, v45, v44
	s_delay_alu instid0(VALU_DEP_1) | instskip(NEXT) | instid1(VALU_DEP_1)
	v_fmac_f32_e32 v45, v46, v42
	v_fma_f32 v41, -v41, v45, v44
	s_delay_alu instid0(VALU_DEP_1) | instskip(NEXT) | instid1(VALU_DEP_1)
	v_div_fmas_f32 v41, v41, v42, v45
	v_div_fixup_f32 v42, v41, v40, 1.0
	s_delay_alu instid0(VALU_DEP_1)
	v_mul_f32_e64 v43, v43, -v42
.LBB15_34:
	s_or_b32 exec_lo, exec_lo, s1
	ds_store_b64 v51, v[42:43]
.LBB15_35:
	s_or_b32 exec_lo, exec_lo, s2
	s_wait_dscnt 0x0
	s_barrier_signal -1
	s_barrier_wait -1
	ds_load_b64 v[40:41], v51
	s_mov_b32 s1, exec_lo
	v_cmpx_lt_u32_e32 3, v50
	s_cbranch_execz .LBB15_37
; %bb.36:
	s_wait_dscnt 0x0
	v_pk_mul_f32 v[42:43], v[40:41], v[18:19] op_sel:[1,1] op_sel_hi:[0,1]
	s_delay_alu instid0(VALU_DEP_1)
	v_pk_fma_f32 v[46:47], v[40:41], v[18:19], v[42:43] op_sel_hi:[1,0,1] neg_lo:[0,0,1] neg_hi:[0,0,1]
	v_pk_fma_f32 v[48:49], v[40:41], v[18:19], v[42:43] op_sel_hi:[1,0,1]
	ds_load_2addr_b64 v[42:45], v52 offset0:4 offset1:5
	v_dual_mov_b32 v18, v46 :: v_dual_mov_b32 v19, v49
	s_wait_dscnt 0x0
	v_pk_mul_f32 v[54:55], v[42:43], v[48:49] op_sel:[0,1]
	s_delay_alu instid0(VALU_DEP_1) | instskip(SKIP_1) | instid1(VALU_DEP_1)
	v_pk_fma_f32 v[56:57], v[42:43], v[46:47], v[54:55] op_sel:[0,0,1] op_sel_hi:[1,1,0] neg_lo:[0,0,1] neg_hi:[0,0,1]
	v_pk_fma_f32 v[42:43], v[42:43], v[46:47], v[54:55] op_sel:[0,0,1] op_sel_hi:[1,0,0]
	v_mov_b32_e32 v57, v43
	v_pk_mul_f32 v[42:43], v[44:45], v[48:49] op_sel:[0,1]
	s_delay_alu instid0(VALU_DEP_1) | instskip(SKIP_1) | instid1(VALU_DEP_1)
	v_pk_fma_f32 v[54:55], v[44:45], v[46:47], v[42:43] op_sel:[0,0,1] op_sel_hi:[1,1,0] neg_lo:[0,0,1] neg_hi:[0,0,1]
	v_pk_fma_f32 v[42:43], v[44:45], v[46:47], v[42:43] op_sel:[0,0,1] op_sel_hi:[1,0,0]
	v_mov_b32_e32 v55, v43
	ds_load_2addr_b64 v[42:45], v52 offset0:6 offset1:7
	v_pk_add_f32 v[32:33], v[32:33], v[56:57] neg_lo:[0,1] neg_hi:[0,1]
	v_pk_add_f32 v[30:31], v[30:31], v[54:55] neg_lo:[0,1] neg_hi:[0,1]
	s_wait_dscnt 0x0
	v_pk_mul_f32 v[54:55], v[42:43], v[48:49] op_sel:[0,1]
	s_delay_alu instid0(VALU_DEP_1) | instskip(SKIP_1) | instid1(VALU_DEP_1)
	v_pk_fma_f32 v[56:57], v[42:43], v[46:47], v[54:55] op_sel:[0,0,1] op_sel_hi:[1,1,0] neg_lo:[0,0,1] neg_hi:[0,0,1]
	v_pk_fma_f32 v[42:43], v[42:43], v[46:47], v[54:55] op_sel:[0,0,1] op_sel_hi:[1,0,0]
	v_dual_mov_b32 v42, v45 :: v_dual_mov_b32 v57, v43
	v_mov_b32_e32 v43, v44
	s_delay_alu instid0(VALU_DEP_2) | instskip(NEXT) | instid1(VALU_DEP_2)
	v_pk_add_f32 v[28:29], v[28:29], v[56:57] neg_lo:[0,1] neg_hi:[0,1]
	v_pk_mul_f32 v[42:43], v[42:43], v[48:49] op_sel:[0,1]
	s_delay_alu instid0(VALU_DEP_1) | instskip(SKIP_1) | instid1(VALU_DEP_1)
	v_pk_fma_f32 v[48:49], v[44:45], v[46:47], v[42:43] neg_lo:[0,0,1] neg_hi:[0,0,1]
	v_pk_fma_f32 v[42:43], v[44:45], v[46:47], v[42:43] op_sel_hi:[1,0,1]
	v_mov_b32_e32 v49, v43
	s_delay_alu instid0(VALU_DEP_1)
	v_pk_add_f32 v[26:27], v[26:27], v[48:49] neg_lo:[0,1] neg_hi:[0,1]
.LBB15_37:
	s_or_b32 exec_lo, exec_lo, s1
	s_delay_alu instid0(SALU_CYCLE_1)
	s_mov_b32 s2, exec_lo
	s_wait_dscnt 0x0
	s_barrier_signal -1
	s_barrier_wait -1
	v_cmpx_eq_u32_e32 4, v50
	s_cbranch_execz .LBB15_44
; %bb.38:
	ds_store_b64 v51, v[32:33]
	ds_store_2addr_b64 v52, v[30:31], v[28:29] offset0:5 offset1:6
	ds_store_b64 v52, v[26:27] offset:56
	ds_load_b64 v[42:43], v51
	s_wait_dscnt 0x0
	v_cmp_neq_f32_e32 vcc_lo, 0, v42
	v_cmp_neq_f32_e64 s1, 0, v43
	s_or_b32 s1, vcc_lo, s1
	s_delay_alu instid0(SALU_CYCLE_1)
	s_and_b32 exec_lo, exec_lo, s1
	s_cbranch_execz .LBB15_44
; %bb.39:
	v_cmp_ngt_f32_e64 s1, |v42|, |v43|
                                        ; implicit-def: $vgpr44_vgpr45
	s_and_saveexec_b32 s4, s1
	s_delay_alu instid0(SALU_CYCLE_1)
	s_xor_b32 s1, exec_lo, s4
	s_cbranch_execz .LBB15_41
; %bb.40:
	v_div_scale_f32 v44, null, v43, v43, v42
	v_div_scale_f32 v47, vcc_lo, v42, v43, v42
	s_delay_alu instid0(VALU_DEP_2) | instskip(SKIP_1) | instid1(TRANS32_DEP_1)
	v_rcp_f32_e32 v45, v44
	v_nop
	v_fma_f32 v46, -v44, v45, 1.0
	s_delay_alu instid0(VALU_DEP_1) | instskip(NEXT) | instid1(VALU_DEP_1)
	v_fmac_f32_e32 v45, v46, v45
	v_mul_f32_e32 v46, v47, v45
	s_delay_alu instid0(VALU_DEP_1) | instskip(NEXT) | instid1(VALU_DEP_1)
	v_fma_f32 v48, -v44, v46, v47
	v_fmac_f32_e32 v46, v48, v45
	s_delay_alu instid0(VALU_DEP_1) | instskip(NEXT) | instid1(VALU_DEP_1)
	v_fma_f32 v44, -v44, v46, v47
	v_div_fmas_f32 v44, v44, v45, v46
	s_delay_alu instid0(VALU_DEP_1) | instskip(NEXT) | instid1(VALU_DEP_1)
	v_div_fixup_f32 v44, v44, v43, v42
	v_fmac_f32_e32 v43, v42, v44
	s_delay_alu instid0(VALU_DEP_1) | instskip(SKIP_1) | instid1(VALU_DEP_2)
	v_div_scale_f32 v42, null, v43, v43, 1.0
	v_div_scale_f32 v47, vcc_lo, 1.0, v43, 1.0
	v_rcp_f32_e32 v45, v42
	v_nop
	s_delay_alu instid0(TRANS32_DEP_1) | instskip(NEXT) | instid1(VALU_DEP_1)
	v_fma_f32 v46, -v42, v45, 1.0
	v_fmac_f32_e32 v45, v46, v45
	s_delay_alu instid0(VALU_DEP_1) | instskip(NEXT) | instid1(VALU_DEP_1)
	v_mul_f32_e32 v46, v47, v45
	v_fma_f32 v48, -v42, v46, v47
	s_delay_alu instid0(VALU_DEP_1) | instskip(NEXT) | instid1(VALU_DEP_1)
	v_fmac_f32_e32 v46, v48, v45
	v_fma_f32 v42, -v42, v46, v47
	s_delay_alu instid0(VALU_DEP_1) | instskip(NEXT) | instid1(VALU_DEP_1)
	v_div_fmas_f32 v42, v42, v45, v46
	v_div_fixup_f32 v42, v42, v43, 1.0
	s_delay_alu instid0(VALU_DEP_1)
	v_mul_f32_e32 v44, v44, v42
	v_xor_b32_e32 v45, 0x80000000, v42
                                        ; implicit-def: $vgpr42_vgpr43
.LBB15_41:
	s_and_not1_saveexec_b32 s1, s1
	s_cbranch_execz .LBB15_43
; %bb.42:
	v_div_scale_f32 v44, null, v42, v42, v43
	v_div_scale_f32 v47, vcc_lo, v43, v42, v43
	s_delay_alu instid0(VALU_DEP_2) | instskip(SKIP_1) | instid1(TRANS32_DEP_1)
	v_rcp_f32_e32 v45, v44
	v_nop
	v_fma_f32 v46, -v44, v45, 1.0
	s_delay_alu instid0(VALU_DEP_1) | instskip(NEXT) | instid1(VALU_DEP_1)
	v_fmac_f32_e32 v45, v46, v45
	v_mul_f32_e32 v46, v47, v45
	s_delay_alu instid0(VALU_DEP_1) | instskip(NEXT) | instid1(VALU_DEP_1)
	v_fma_f32 v48, -v44, v46, v47
	v_fmac_f32_e32 v46, v48, v45
	s_delay_alu instid0(VALU_DEP_1) | instskip(NEXT) | instid1(VALU_DEP_1)
	v_fma_f32 v44, -v44, v46, v47
	v_div_fmas_f32 v44, v44, v45, v46
	s_delay_alu instid0(VALU_DEP_1) | instskip(NEXT) | instid1(VALU_DEP_1)
	v_div_fixup_f32 v45, v44, v42, v43
	v_fmac_f32_e32 v42, v43, v45
	s_delay_alu instid0(VALU_DEP_1) | instskip(NEXT) | instid1(VALU_DEP_1)
	v_div_scale_f32 v43, null, v42, v42, 1.0
	v_rcp_f32_e32 v44, v43
	v_nop
	s_delay_alu instid0(TRANS32_DEP_1) | instskip(NEXT) | instid1(VALU_DEP_1)
	v_fma_f32 v46, -v43, v44, 1.0
	v_fmac_f32_e32 v44, v46, v44
	v_div_scale_f32 v46, vcc_lo, 1.0, v42, 1.0
	s_delay_alu instid0(VALU_DEP_1) | instskip(NEXT) | instid1(VALU_DEP_1)
	v_mul_f32_e32 v47, v46, v44
	v_fma_f32 v48, -v43, v47, v46
	s_delay_alu instid0(VALU_DEP_1) | instskip(NEXT) | instid1(VALU_DEP_1)
	v_fmac_f32_e32 v47, v48, v44
	v_fma_f32 v43, -v43, v47, v46
	s_delay_alu instid0(VALU_DEP_1) | instskip(NEXT) | instid1(VALU_DEP_1)
	v_div_fmas_f32 v43, v43, v44, v47
	v_div_fixup_f32 v44, v43, v42, 1.0
	s_delay_alu instid0(VALU_DEP_1)
	v_mul_f32_e64 v45, v45, -v44
.LBB15_43:
	s_or_b32 exec_lo, exec_lo, s1
	ds_store_b64 v51, v[44:45]
.LBB15_44:
	s_or_b32 exec_lo, exec_lo, s2
	s_wait_dscnt 0x0
	s_barrier_signal -1
	s_barrier_wait -1
	ds_load_b64 v[42:43], v51
	s_mov_b32 s1, exec_lo
	v_cmpx_lt_u32_e32 4, v50
	s_cbranch_execz .LBB15_46
; %bb.45:
	ds_load_2addr_b64 v[44:47], v52 offset0:5 offset1:6
	ds_load_b64 v[48:49], v52 offset:56
	s_wait_dscnt 0x2
	v_pk_mul_f32 v[54:55], v[42:43], v[32:33] op_sel:[1,1] op_sel_hi:[0,1]
	s_delay_alu instid0(VALU_DEP_1) | instskip(SKIP_2) | instid1(VALU_DEP_2)
	v_pk_fma_f32 v[56:57], v[42:43], v[32:33], v[54:55] op_sel_hi:[1,0,1]
	v_pk_fma_f32 v[32:33], v[42:43], v[32:33], v[54:55] op_sel_hi:[1,0,1] neg_lo:[0,0,1] neg_hi:[0,0,1]
	s_wait_dscnt 0x1
	v_pk_mul_f32 v[54:55], v[44:45], v[56:57] op_sel:[0,1]
	v_pk_mul_f32 v[58:59], v[46:47], v[56:57] op_sel:[0,1]
	s_wait_dscnt 0x0
	v_pk_mul_f32 v[60:61], v[48:49], v[56:57] op_sel:[1,1] op_sel_hi:[0,1]
	s_delay_alu instid0(VALU_DEP_3) | instskip(SKIP_2) | instid1(VALU_DEP_4)
	v_pk_fma_f32 v[62:63], v[44:45], v[32:33], v[54:55] op_sel:[0,0,1] op_sel_hi:[1,1,0] neg_lo:[0,0,1] neg_hi:[0,0,1]
	v_pk_fma_f32 v[44:45], v[44:45], v[32:33], v[54:55] op_sel:[0,0,1] op_sel_hi:[1,0,0]
	v_pk_fma_f32 v[54:55], v[46:47], v[32:33], v[58:59] op_sel:[0,0,1] op_sel_hi:[1,0,0]
	v_pk_fma_f32 v[64:65], v[48:49], v[32:33], v[60:61] op_sel_hi:[1,0,1]
	v_pk_fma_f32 v[46:47], v[46:47], v[32:33], v[58:59] op_sel:[0,0,1] op_sel_hi:[1,1,0] neg_lo:[0,0,1] neg_hi:[0,0,1]
	v_pk_fma_f32 v[48:49], v[48:49], v[32:33], v[60:61] neg_lo:[0,0,1] neg_hi:[0,0,1]
	s_delay_alu instid0(VALU_DEP_4) | instskip(NEXT) | instid1(VALU_DEP_4)
	v_dual_mov_b32 v63, v45 :: v_dual_mov_b32 v47, v55
	v_dual_mov_b32 v49, v65 :: v_dual_mov_b32 v33, v57
	s_delay_alu instid0(VALU_DEP_2) | instskip(NEXT) | instid1(VALU_DEP_3)
	v_pk_add_f32 v[30:31], v[30:31], v[62:63] neg_lo:[0,1] neg_hi:[0,1]
	v_pk_add_f32 v[28:29], v[28:29], v[46:47] neg_lo:[0,1] neg_hi:[0,1]
	s_delay_alu instid0(VALU_DEP_3)
	v_pk_add_f32 v[26:27], v[26:27], v[48:49] neg_lo:[0,1] neg_hi:[0,1]
.LBB15_46:
	s_or_b32 exec_lo, exec_lo, s1
	s_delay_alu instid0(SALU_CYCLE_1)
	s_mov_b32 s2, exec_lo
	s_wait_dscnt 0x0
	s_barrier_signal -1
	s_barrier_wait -1
	v_cmpx_eq_u32_e32 5, v50
	s_cbranch_execz .LBB15_53
; %bb.47:
	v_dual_mov_b32 v44, v28 :: v_dual_mov_b32 v45, v29
	ds_store_b64 v51, v[30:31]
	ds_store_2addr_b64 v52, v[44:45], v[26:27] offset0:6 offset1:7
	ds_load_b64 v[44:45], v51
	s_wait_dscnt 0x0
	v_cmp_neq_f32_e32 vcc_lo, 0, v44
	v_cmp_neq_f32_e64 s1, 0, v45
	s_or_b32 s1, vcc_lo, s1
	s_delay_alu instid0(SALU_CYCLE_1)
	s_and_b32 exec_lo, exec_lo, s1
	s_cbranch_execz .LBB15_53
; %bb.48:
	v_cmp_ngt_f32_e64 s1, |v44|, |v45|
                                        ; implicit-def: $vgpr46_vgpr47
	s_and_saveexec_b32 s4, s1
	s_delay_alu instid0(SALU_CYCLE_1)
	s_xor_b32 s1, exec_lo, s4
	s_cbranch_execz .LBB15_50
; %bb.49:
	v_div_scale_f32 v46, null, v45, v45, v44
	v_div_scale_f32 v49, vcc_lo, v44, v45, v44
	s_delay_alu instid0(VALU_DEP_2) | instskip(SKIP_1) | instid1(TRANS32_DEP_1)
	v_rcp_f32_e32 v47, v46
	v_nop
	v_fma_f32 v48, -v46, v47, 1.0
	s_delay_alu instid0(VALU_DEP_1) | instskip(NEXT) | instid1(VALU_DEP_1)
	v_fmac_f32_e32 v47, v48, v47
	v_mul_f32_e32 v48, v49, v47
	s_delay_alu instid0(VALU_DEP_1) | instskip(NEXT) | instid1(VALU_DEP_1)
	v_fma_f32 v53, -v46, v48, v49
	v_fmac_f32_e32 v48, v53, v47
	s_delay_alu instid0(VALU_DEP_1) | instskip(NEXT) | instid1(VALU_DEP_1)
	v_fma_f32 v46, -v46, v48, v49
	v_div_fmas_f32 v46, v46, v47, v48
	s_delay_alu instid0(VALU_DEP_1) | instskip(NEXT) | instid1(VALU_DEP_1)
	v_div_fixup_f32 v46, v46, v45, v44
	v_fmac_f32_e32 v45, v44, v46
	s_delay_alu instid0(VALU_DEP_1) | instskip(SKIP_1) | instid1(VALU_DEP_2)
	v_div_scale_f32 v44, null, v45, v45, 1.0
	v_div_scale_f32 v49, vcc_lo, 1.0, v45, 1.0
	v_rcp_f32_e32 v47, v44
	v_nop
	s_delay_alu instid0(TRANS32_DEP_1) | instskip(NEXT) | instid1(VALU_DEP_1)
	v_fma_f32 v48, -v44, v47, 1.0
	v_fmac_f32_e32 v47, v48, v47
	s_delay_alu instid0(VALU_DEP_1) | instskip(NEXT) | instid1(VALU_DEP_1)
	v_mul_f32_e32 v48, v49, v47
	v_fma_f32 v53, -v44, v48, v49
	s_delay_alu instid0(VALU_DEP_1) | instskip(NEXT) | instid1(VALU_DEP_1)
	v_fmac_f32_e32 v48, v53, v47
	v_fma_f32 v44, -v44, v48, v49
	s_delay_alu instid0(VALU_DEP_1) | instskip(NEXT) | instid1(VALU_DEP_1)
	v_div_fmas_f32 v44, v44, v47, v48
	v_div_fixup_f32 v44, v44, v45, 1.0
	s_delay_alu instid0(VALU_DEP_1)
	v_mul_f32_e32 v46, v46, v44
	v_xor_b32_e32 v47, 0x80000000, v44
                                        ; implicit-def: $vgpr44_vgpr45
.LBB15_50:
	s_and_not1_saveexec_b32 s1, s1
	s_cbranch_execz .LBB15_52
; %bb.51:
	v_div_scale_f32 v46, null, v44, v44, v45
	v_div_scale_f32 v49, vcc_lo, v45, v44, v45
	s_delay_alu instid0(VALU_DEP_2) | instskip(SKIP_1) | instid1(TRANS32_DEP_1)
	v_rcp_f32_e32 v47, v46
	v_nop
	v_fma_f32 v48, -v46, v47, 1.0
	s_delay_alu instid0(VALU_DEP_1) | instskip(NEXT) | instid1(VALU_DEP_1)
	v_fmac_f32_e32 v47, v48, v47
	v_mul_f32_e32 v48, v49, v47
	s_delay_alu instid0(VALU_DEP_1) | instskip(NEXT) | instid1(VALU_DEP_1)
	v_fma_f32 v53, -v46, v48, v49
	v_fmac_f32_e32 v48, v53, v47
	s_delay_alu instid0(VALU_DEP_1) | instskip(NEXT) | instid1(VALU_DEP_1)
	v_fma_f32 v46, -v46, v48, v49
	v_div_fmas_f32 v46, v46, v47, v48
	s_delay_alu instid0(VALU_DEP_1) | instskip(NEXT) | instid1(VALU_DEP_1)
	v_div_fixup_f32 v47, v46, v44, v45
	v_fmac_f32_e32 v44, v45, v47
	s_delay_alu instid0(VALU_DEP_1) | instskip(NEXT) | instid1(VALU_DEP_1)
	v_div_scale_f32 v45, null, v44, v44, 1.0
	v_rcp_f32_e32 v46, v45
	v_nop
	s_delay_alu instid0(TRANS32_DEP_1) | instskip(NEXT) | instid1(VALU_DEP_1)
	v_fma_f32 v48, -v45, v46, 1.0
	v_fmac_f32_e32 v46, v48, v46
	v_div_scale_f32 v48, vcc_lo, 1.0, v44, 1.0
	s_delay_alu instid0(VALU_DEP_1) | instskip(NEXT) | instid1(VALU_DEP_1)
	v_mul_f32_e32 v49, v48, v46
	v_fma_f32 v53, -v45, v49, v48
	s_delay_alu instid0(VALU_DEP_1) | instskip(NEXT) | instid1(VALU_DEP_1)
	v_fmac_f32_e32 v49, v53, v46
	v_fma_f32 v45, -v45, v49, v48
	s_delay_alu instid0(VALU_DEP_1) | instskip(NEXT) | instid1(VALU_DEP_1)
	v_div_fmas_f32 v45, v45, v46, v49
	v_div_fixup_f32 v46, v45, v44, 1.0
	s_delay_alu instid0(VALU_DEP_1)
	v_mul_f32_e64 v47, v47, -v46
.LBB15_52:
	s_or_b32 exec_lo, exec_lo, s1
	ds_store_b64 v51, v[46:47]
.LBB15_53:
	s_or_b32 exec_lo, exec_lo, s2
	s_wait_dscnt 0x0
	s_barrier_signal -1
	s_barrier_wait -1
	ds_load_b64 v[44:45], v51
	s_mov_b32 s1, exec_lo
	v_cmpx_lt_u32_e32 5, v50
	s_cbranch_execz .LBB15_55
; %bb.54:
	ds_load_2addr_b64 v[46:49], v52 offset0:6 offset1:7
	s_wait_dscnt 0x1
	v_pk_mul_f32 v[54:55], v[44:45], v[30:31] op_sel:[1,1] op_sel_hi:[0,1]
	s_delay_alu instid0(VALU_DEP_1) | instskip(SKIP_3) | instid1(VALU_DEP_3)
	v_pk_fma_f32 v[56:57], v[44:45], v[30:31], v[54:55] op_sel_hi:[1,0,1]
	v_pk_fma_f32 v[30:31], v[44:45], v[30:31], v[54:55] op_sel_hi:[1,0,1] neg_lo:[0,0,1] neg_hi:[0,0,1]
	s_wait_dscnt 0x0
	v_dual_mov_b32 v58, v49 :: v_dual_mov_b32 v59, v48
	v_pk_mul_f32 v[54:55], v[46:47], v[56:57] op_sel:[0,1]
	s_delay_alu instid0(VALU_DEP_2) | instskip(NEXT) | instid1(VALU_DEP_2)
	v_pk_mul_f32 v[58:59], v[58:59], v[56:57] op_sel:[0,1]
	v_pk_fma_f32 v[60:61], v[46:47], v[30:31], v[54:55] op_sel:[0,0,1] op_sel_hi:[1,0,0]
	v_pk_fma_f32 v[46:47], v[46:47], v[30:31], v[54:55] op_sel:[0,0,1] op_sel_hi:[1,1,0] neg_lo:[0,0,1] neg_hi:[0,0,1]
	s_delay_alu instid0(VALU_DEP_3) | instskip(SKIP_1) | instid1(VALU_DEP_4)
	v_pk_fma_f32 v[62:63], v[48:49], v[30:31], v[58:59] op_sel_hi:[1,0,1]
	v_pk_fma_f32 v[48:49], v[48:49], v[30:31], v[58:59] neg_lo:[0,0,1] neg_hi:[0,0,1]
	v_dual_mov_b32 v47, v61 :: v_dual_mov_b32 v31, v57
	s_delay_alu instid0(VALU_DEP_3) | instskip(NEXT) | instid1(VALU_DEP_2)
	v_mov_b32_e32 v49, v63
	v_pk_add_f32 v[28:29], v[28:29], v[46:47] neg_lo:[0,1] neg_hi:[0,1]
	s_delay_alu instid0(VALU_DEP_2)
	v_pk_add_f32 v[26:27], v[26:27], v[48:49] neg_lo:[0,1] neg_hi:[0,1]
.LBB15_55:
	s_or_b32 exec_lo, exec_lo, s1
	s_delay_alu instid0(SALU_CYCLE_1)
	s_mov_b32 s2, exec_lo
	s_wait_dscnt 0x0
	s_barrier_signal -1
	s_barrier_wait -1
	v_cmpx_eq_u32_e32 6, v50
	s_cbranch_execz .LBB15_62
; %bb.56:
	ds_store_b64 v51, v[28:29]
	ds_store_b64 v52, v[26:27] offset:56
	ds_load_b64 v[46:47], v51
	s_wait_dscnt 0x0
	v_cmp_neq_f32_e32 vcc_lo, 0, v46
	v_cmp_neq_f32_e64 s1, 0, v47
	s_or_b32 s1, vcc_lo, s1
	s_delay_alu instid0(SALU_CYCLE_1)
	s_and_b32 exec_lo, exec_lo, s1
	s_cbranch_execz .LBB15_62
; %bb.57:
	v_cmp_ngt_f32_e64 s1, |v46|, |v47|
                                        ; implicit-def: $vgpr48_vgpr49
	s_and_saveexec_b32 s4, s1
	s_delay_alu instid0(SALU_CYCLE_1)
	s_xor_b32 s1, exec_lo, s4
	s_cbranch_execz .LBB15_59
; %bb.58:
	v_div_scale_f32 v48, null, v47, v47, v46
	v_div_scale_f32 v54, vcc_lo, v46, v47, v46
	s_delay_alu instid0(VALU_DEP_2) | instskip(SKIP_1) | instid1(TRANS32_DEP_1)
	v_rcp_f32_e32 v49, v48
	v_nop
	v_fma_f32 v53, -v48, v49, 1.0
	s_delay_alu instid0(VALU_DEP_1) | instskip(NEXT) | instid1(VALU_DEP_1)
	v_fmac_f32_e32 v49, v53, v49
	v_mul_f32_e32 v53, v54, v49
	s_delay_alu instid0(VALU_DEP_1) | instskip(NEXT) | instid1(VALU_DEP_1)
	v_fma_f32 v55, -v48, v53, v54
	v_fmac_f32_e32 v53, v55, v49
	s_delay_alu instid0(VALU_DEP_1) | instskip(NEXT) | instid1(VALU_DEP_1)
	v_fma_f32 v48, -v48, v53, v54
	v_div_fmas_f32 v48, v48, v49, v53
	s_delay_alu instid0(VALU_DEP_1) | instskip(NEXT) | instid1(VALU_DEP_1)
	v_div_fixup_f32 v48, v48, v47, v46
	v_fmac_f32_e32 v47, v46, v48
	s_delay_alu instid0(VALU_DEP_1) | instskip(SKIP_1) | instid1(VALU_DEP_2)
	v_div_scale_f32 v46, null, v47, v47, 1.0
	v_div_scale_f32 v54, vcc_lo, 1.0, v47, 1.0
	v_rcp_f32_e32 v49, v46
	v_nop
	s_delay_alu instid0(TRANS32_DEP_1) | instskip(NEXT) | instid1(VALU_DEP_1)
	v_fma_f32 v53, -v46, v49, 1.0
	v_fmac_f32_e32 v49, v53, v49
	s_delay_alu instid0(VALU_DEP_1) | instskip(NEXT) | instid1(VALU_DEP_1)
	v_mul_f32_e32 v53, v54, v49
	v_fma_f32 v55, -v46, v53, v54
	s_delay_alu instid0(VALU_DEP_1) | instskip(NEXT) | instid1(VALU_DEP_1)
	v_fmac_f32_e32 v53, v55, v49
	v_fma_f32 v46, -v46, v53, v54
	s_delay_alu instid0(VALU_DEP_1) | instskip(NEXT) | instid1(VALU_DEP_1)
	v_div_fmas_f32 v46, v46, v49, v53
	v_div_fixup_f32 v46, v46, v47, 1.0
	s_delay_alu instid0(VALU_DEP_1)
	v_mul_f32_e32 v48, v48, v46
	v_xor_b32_e32 v49, 0x80000000, v46
                                        ; implicit-def: $vgpr46_vgpr47
.LBB15_59:
	s_and_not1_saveexec_b32 s1, s1
	s_cbranch_execz .LBB15_61
; %bb.60:
	v_div_scale_f32 v48, null, v46, v46, v47
	v_div_scale_f32 v54, vcc_lo, v47, v46, v47
	s_delay_alu instid0(VALU_DEP_2) | instskip(SKIP_1) | instid1(TRANS32_DEP_1)
	v_rcp_f32_e32 v49, v48
	v_nop
	v_fma_f32 v53, -v48, v49, 1.0
	s_delay_alu instid0(VALU_DEP_1) | instskip(NEXT) | instid1(VALU_DEP_1)
	v_fmac_f32_e32 v49, v53, v49
	v_mul_f32_e32 v53, v54, v49
	s_delay_alu instid0(VALU_DEP_1) | instskip(NEXT) | instid1(VALU_DEP_1)
	v_fma_f32 v55, -v48, v53, v54
	v_fmac_f32_e32 v53, v55, v49
	s_delay_alu instid0(VALU_DEP_1) | instskip(NEXT) | instid1(VALU_DEP_1)
	v_fma_f32 v48, -v48, v53, v54
	v_div_fmas_f32 v48, v48, v49, v53
	s_delay_alu instid0(VALU_DEP_1) | instskip(NEXT) | instid1(VALU_DEP_1)
	v_div_fixup_f32 v49, v48, v46, v47
	v_fmac_f32_e32 v46, v47, v49
	s_delay_alu instid0(VALU_DEP_1) | instskip(NEXT) | instid1(VALU_DEP_1)
	v_div_scale_f32 v47, null, v46, v46, 1.0
	v_rcp_f32_e32 v48, v47
	v_nop
	s_delay_alu instid0(TRANS32_DEP_1) | instskip(NEXT) | instid1(VALU_DEP_1)
	v_fma_f32 v53, -v47, v48, 1.0
	v_fmac_f32_e32 v48, v53, v48
	v_div_scale_f32 v53, vcc_lo, 1.0, v46, 1.0
	s_delay_alu instid0(VALU_DEP_1) | instskip(NEXT) | instid1(VALU_DEP_1)
	v_mul_f32_e32 v54, v53, v48
	v_fma_f32 v55, -v47, v54, v53
	s_delay_alu instid0(VALU_DEP_1) | instskip(NEXT) | instid1(VALU_DEP_1)
	v_fmac_f32_e32 v54, v55, v48
	v_fma_f32 v47, -v47, v54, v53
	s_delay_alu instid0(VALU_DEP_1) | instskip(NEXT) | instid1(VALU_DEP_1)
	v_div_fmas_f32 v47, v47, v48, v54
	v_div_fixup_f32 v48, v47, v46, 1.0
	s_delay_alu instid0(VALU_DEP_1)
	v_mul_f32_e64 v49, v49, -v48
.LBB15_61:
	s_or_b32 exec_lo, exec_lo, s1
	ds_store_b64 v51, v[48:49]
.LBB15_62:
	s_or_b32 exec_lo, exec_lo, s2
	s_wait_dscnt 0x0
	s_barrier_signal -1
	s_barrier_wait -1
	ds_load_b64 v[46:47], v51
	s_mov_b32 s1, exec_lo
	v_cmpx_lt_u32_e32 6, v50
	s_cbranch_execz .LBB15_64
; %bb.63:
	ds_load_b64 v[48:49], v52 offset:56
	s_wait_dscnt 0x1
	v_pk_mul_f32 v[52:53], v[46:47], v[28:29] op_sel:[1,1] op_sel_hi:[0,1]
	s_delay_alu instid0(VALU_DEP_1) | instskip(SKIP_2) | instid1(VALU_DEP_2)
	v_pk_fma_f32 v[54:55], v[46:47], v[28:29], v[52:53] op_sel_hi:[1,0,1]
	v_pk_fma_f32 v[28:29], v[46:47], v[28:29], v[52:53] op_sel_hi:[1,0,1] neg_lo:[0,0,1] neg_hi:[0,0,1]
	s_wait_dscnt 0x0
	v_pk_mul_f32 v[52:53], v[48:49], v[54:55] op_sel:[1,1] op_sel_hi:[0,1]
	s_delay_alu instid0(VALU_DEP_1) | instskip(SKIP_1) | instid1(VALU_DEP_2)
	v_pk_fma_f32 v[56:57], v[48:49], v[28:29], v[52:53] op_sel_hi:[1,0,1]
	v_pk_fma_f32 v[48:49], v[48:49], v[28:29], v[52:53] neg_lo:[0,0,1] neg_hi:[0,0,1]
	v_dual_mov_b32 v29, v55 :: v_dual_mov_b32 v49, v57
	s_delay_alu instid0(VALU_DEP_1)
	v_pk_add_f32 v[26:27], v[26:27], v[48:49] neg_lo:[0,1] neg_hi:[0,1]
.LBB15_64:
	s_or_b32 exec_lo, exec_lo, s1
	s_delay_alu instid0(SALU_CYCLE_1)
	s_mov_b32 s2, exec_lo
	s_wait_dscnt 0x0
	s_barrier_signal -1
	s_barrier_wait -1
	v_cmpx_eq_u32_e32 7, v50
	s_cbranch_execz .LBB15_71
; %bb.65:
	v_cmp_neq_f32_e32 vcc_lo, 0, v26
	v_cmp_neq_f32_e64 s1, 0, v27
	ds_store_b64 v51, v[26:27]
	s_or_b32 s1, vcc_lo, s1
	s_delay_alu instid0(SALU_CYCLE_1)
	s_and_b32 exec_lo, exec_lo, s1
	s_cbranch_execz .LBB15_71
; %bb.66:
	v_cmp_ngt_f32_e64 s1, |v26|, |v27|
                                        ; implicit-def: $vgpr48_vgpr49
	s_and_saveexec_b32 s4, s1
	s_delay_alu instid0(SALU_CYCLE_1)
	s_xor_b32 s1, exec_lo, s4
	s_cbranch_execz .LBB15_68
; %bb.67:
	v_div_scale_f32 v48, null, v27, v27, v26
	v_div_scale_f32 v53, vcc_lo, v26, v27, v26
	s_delay_alu instid0(VALU_DEP_2) | instskip(SKIP_1) | instid1(TRANS32_DEP_1)
	v_rcp_f32_e32 v49, v48
	v_nop
	v_fma_f32 v52, -v48, v49, 1.0
	s_delay_alu instid0(VALU_DEP_1) | instskip(NEXT) | instid1(VALU_DEP_1)
	v_fmac_f32_e32 v49, v52, v49
	v_mul_f32_e32 v52, v53, v49
	s_delay_alu instid0(VALU_DEP_1) | instskip(NEXT) | instid1(VALU_DEP_1)
	v_fma_f32 v54, -v48, v52, v53
	v_fmac_f32_e32 v52, v54, v49
	s_delay_alu instid0(VALU_DEP_1) | instskip(NEXT) | instid1(VALU_DEP_1)
	v_fma_f32 v48, -v48, v52, v53
	v_div_fmas_f32 v48, v48, v49, v52
	s_delay_alu instid0(VALU_DEP_1) | instskip(NEXT) | instid1(VALU_DEP_1)
	v_div_fixup_f32 v48, v48, v27, v26
	v_fma_f32 v49, v26, v48, v27
	s_delay_alu instid0(VALU_DEP_1) | instskip(SKIP_1) | instid1(VALU_DEP_2)
	v_div_scale_f32 v52, null, v49, v49, 1.0
	v_div_scale_f32 v55, vcc_lo, 1.0, v49, 1.0
	v_rcp_f32_e32 v53, v52
	v_nop
	s_delay_alu instid0(TRANS32_DEP_1) | instskip(NEXT) | instid1(VALU_DEP_1)
	v_fma_f32 v54, -v52, v53, 1.0
	v_fmac_f32_e32 v53, v54, v53
	s_delay_alu instid0(VALU_DEP_1) | instskip(NEXT) | instid1(VALU_DEP_1)
	v_mul_f32_e32 v54, v55, v53
	v_fma_f32 v56, -v52, v54, v55
	s_delay_alu instid0(VALU_DEP_1) | instskip(NEXT) | instid1(VALU_DEP_1)
	v_fmac_f32_e32 v54, v56, v53
	v_fma_f32 v52, -v52, v54, v55
	s_delay_alu instid0(VALU_DEP_1) | instskip(NEXT) | instid1(VALU_DEP_1)
	v_div_fmas_f32 v52, v52, v53, v54
	v_div_fixup_f32 v49, v52, v49, 1.0
	s_delay_alu instid0(VALU_DEP_1)
	v_mul_f32_e32 v48, v48, v49
	v_xor_b32_e32 v49, 0x80000000, v49
.LBB15_68:
	s_and_not1_saveexec_b32 s1, s1
	s_cbranch_execz .LBB15_70
; %bb.69:
	v_div_scale_f32 v48, null, v26, v26, v27
	v_div_scale_f32 v53, vcc_lo, v27, v26, v27
	s_delay_alu instid0(VALU_DEP_2) | instskip(SKIP_1) | instid1(TRANS32_DEP_1)
	v_rcp_f32_e32 v49, v48
	v_nop
	v_fma_f32 v52, -v48, v49, 1.0
	s_delay_alu instid0(VALU_DEP_1) | instskip(NEXT) | instid1(VALU_DEP_1)
	v_fmac_f32_e32 v49, v52, v49
	v_mul_f32_e32 v52, v53, v49
	s_delay_alu instid0(VALU_DEP_1) | instskip(NEXT) | instid1(VALU_DEP_1)
	v_fma_f32 v54, -v48, v52, v53
	v_fmac_f32_e32 v52, v54, v49
	s_delay_alu instid0(VALU_DEP_1) | instskip(NEXT) | instid1(VALU_DEP_1)
	v_fma_f32 v48, -v48, v52, v53
	v_div_fmas_f32 v48, v48, v49, v52
	s_delay_alu instid0(VALU_DEP_1) | instskip(NEXT) | instid1(VALU_DEP_1)
	v_div_fixup_f32 v49, v48, v26, v27
	v_fma_f32 v48, v27, v49, v26
	s_delay_alu instid0(VALU_DEP_1) | instskip(NEXT) | instid1(VALU_DEP_1)
	v_div_scale_f32 v52, null, v48, v48, 1.0
	v_rcp_f32_e32 v53, v52
	v_nop
	s_delay_alu instid0(TRANS32_DEP_1) | instskip(NEXT) | instid1(VALU_DEP_1)
	v_fma_f32 v54, -v52, v53, 1.0
	v_fmac_f32_e32 v53, v54, v53
	v_div_scale_f32 v54, vcc_lo, 1.0, v48, 1.0
	s_delay_alu instid0(VALU_DEP_1) | instskip(NEXT) | instid1(VALU_DEP_1)
	v_mul_f32_e32 v55, v54, v53
	v_fma_f32 v56, -v52, v55, v54
	s_delay_alu instid0(VALU_DEP_1) | instskip(NEXT) | instid1(VALU_DEP_1)
	v_fmac_f32_e32 v55, v56, v53
	v_fma_f32 v52, -v52, v55, v54
	s_delay_alu instid0(VALU_DEP_1) | instskip(NEXT) | instid1(VALU_DEP_1)
	v_div_fmas_f32 v52, v52, v53, v55
	v_div_fixup_f32 v48, v52, v48, 1.0
	s_delay_alu instid0(VALU_DEP_1)
	v_mul_f32_e64 v49, v49, -v48
.LBB15_70:
	s_or_b32 exec_lo, exec_lo, s1
	ds_store_b64 v51, v[48:49]
.LBB15_71:
	s_or_b32 exec_lo, exec_lo, s2
	s_wait_dscnt 0x0
	s_barrier_signal -1
	s_barrier_wait -1
	ds_load_b64 v[48:49], v51
	s_wait_dscnt 0x0
	s_barrier_signal -1
	s_barrier_wait -1
	s_and_saveexec_b32 s4, s0
	s_cbranch_execz .LBB15_74
; %bb.72:
	v_lshl_add_u64 v[2:3], v[2:3], 2, s[6:7]
	v_cmp_eq_f32_e32 vcc_lo, 0, v34
	v_cmp_eq_f32_e64 s0, 0, v35
	v_cmp_neq_f32_e64 s1, 0, v36
	v_cmp_neq_f32_e64 s2, 0, v37
	global_load_b32 v51, v[2:3], off
	s_and_b32 s0, vcc_lo, s0
	s_delay_alu instid0(SALU_CYCLE_1) | instskip(SKIP_1) | instid1(SALU_CYCLE_1)
	v_cndmask_b32_e64 v34, 0, 1, s0
	s_or_b32 s1, s1, s2
	s_or_b32 vcc_lo, s1, s0
	v_cmp_eq_f32_e64 s0, 0, v39
	s_delay_alu instid0(VALU_DEP_2) | instskip(SKIP_1) | instid1(VALU_DEP_2)
	v_cndmask_b32_e32 v34, 2, v34, vcc_lo
	v_cmp_eq_f32_e32 vcc_lo, 0, v38
	v_cmp_eq_u32_e64 s1, 0, v34
	s_and_b32 s0, vcc_lo, s0
	v_cmp_eq_f32_e32 vcc_lo, 0, v40
	s_and_b32 s0, s0, s1
	s_delay_alu instid0(SALU_CYCLE_1) | instskip(SKIP_1) | instid1(VALU_DEP_2)
	v_cndmask_b32_e64 v34, v34, 3, s0
	v_cmp_eq_f32_e64 s0, 0, v41
	v_cmp_eq_u32_e64 s1, 0, v34
	s_and_b32 s0, vcc_lo, s0
	v_cmp_eq_f32_e32 vcc_lo, 0, v42
	s_and_b32 s0, s0, s1
	s_delay_alu instid0(SALU_CYCLE_1) | instskip(SKIP_1) | instid1(VALU_DEP_2)
	v_cndmask_b32_e64 v34, v34, 4, s0
	v_cmp_eq_f32_e64 s0, 0, v43
	;; [unrolled: 7-line block ×5, first 2 shown]
	v_cmp_eq_u32_e64 s1, 0, v34
	s_and_b32 s0, vcc_lo, s0
	s_delay_alu instid0(SALU_CYCLE_1) | instskip(NEXT) | instid1(SALU_CYCLE_1)
	s_and_b32 s0, s0, s1
	v_cndmask_b32_e64 v34, v34, 8, s0
	s_delay_alu instid0(VALU_DEP_1) | instskip(SKIP_3) | instid1(SALU_CYCLE_1)
	v_cmp_ne_u32_e64 s0, 0, v34
	s_wait_loadcnt 0x0
	v_cmp_eq_u32_e32 vcc_lo, 0, v51
	s_and_b32 s0, vcc_lo, s0
	s_and_b32 exec_lo, exec_lo, s0
	s_cbranch_execz .LBB15_74
; %bb.73:
	v_add_nc_u32_e32 v34, s3, v34
	global_store_b32 v[2:3], v34, off
.LBB15_74:
	s_wait_xcnt 0x0
	s_or_b32 exec_lo, exec_lo, s4
	v_pk_mul_f32 v[2:3], v[48:49], v[26:27] op_sel:[1,1] op_sel_hi:[0,1]
	v_cmp_lt_u32_e32 vcc_lo, 7, v50
	s_clause 0x1
	global_store_b64 v[0:1], v[22:23], off
	global_store_b64 v[16:17], v[24:25], off
	v_pk_fma_f32 v[34:35], v[48:49], v[26:27], v[2:3] op_sel_hi:[1,0,1]
	v_pk_fma_f32 v[2:3], v[48:49], v[26:27], v[2:3] neg_lo:[0,0,1] neg_hi:[0,0,1]
	s_wait_xcnt 0x1
	s_delay_alu instid0(VALU_DEP_1)
	v_dual_cndmask_b32 v1, v27, v35 :: v_dual_cndmask_b32 v0, v26, v2
	s_clause 0x5
	global_store_b64 v[4:5], v[20:21], off
	global_store_b64 v[6:7], v[18:19], off
	;; [unrolled: 1-line block ×6, first 2 shown]
.LBB15_75:
	s_sendmsg sendmsg(MSG_DEALLOC_VGPRS)
	s_endpgm
	.section	.rodata,"a",@progbits
	.p2align	6, 0x0
	.amdhsa_kernel _ZN9rocsolver6v33100L23getf2_npvt_small_kernelILi8E19rocblas_complex_numIfEiiPS3_EEvT1_T3_lS5_lPT2_S5_S5_
		.amdhsa_group_segment_fixed_size 0
		.amdhsa_private_segment_fixed_size 0
		.amdhsa_kernarg_size 312
		.amdhsa_user_sgpr_count 2
		.amdhsa_user_sgpr_dispatch_ptr 0
		.amdhsa_user_sgpr_queue_ptr 0
		.amdhsa_user_sgpr_kernarg_segment_ptr 1
		.amdhsa_user_sgpr_dispatch_id 0
		.amdhsa_user_sgpr_kernarg_preload_length 0
		.amdhsa_user_sgpr_kernarg_preload_offset 0
		.amdhsa_user_sgpr_private_segment_size 0
		.amdhsa_wavefront_size32 1
		.amdhsa_uses_dynamic_stack 0
		.amdhsa_enable_private_segment 0
		.amdhsa_system_sgpr_workgroup_id_x 1
		.amdhsa_system_sgpr_workgroup_id_y 1
		.amdhsa_system_sgpr_workgroup_id_z 0
		.amdhsa_system_sgpr_workgroup_info 0
		.amdhsa_system_vgpr_workitem_id 1
		.amdhsa_next_free_vgpr 66
		.amdhsa_next_free_sgpr 16
		.amdhsa_named_barrier_count 0
		.amdhsa_reserve_vcc 1
		.amdhsa_float_round_mode_32 0
		.amdhsa_float_round_mode_16_64 0
		.amdhsa_float_denorm_mode_32 3
		.amdhsa_float_denorm_mode_16_64 3
		.amdhsa_fp16_overflow 0
		.amdhsa_memory_ordered 1
		.amdhsa_forward_progress 1
		.amdhsa_inst_pref_size 60
		.amdhsa_round_robin_scheduling 0
		.amdhsa_exception_fp_ieee_invalid_op 0
		.amdhsa_exception_fp_denorm_src 0
		.amdhsa_exception_fp_ieee_div_zero 0
		.amdhsa_exception_fp_ieee_overflow 0
		.amdhsa_exception_fp_ieee_underflow 0
		.amdhsa_exception_fp_ieee_inexact 0
		.amdhsa_exception_int_div_zero 0
	.end_amdhsa_kernel
	.section	.text._ZN9rocsolver6v33100L23getf2_npvt_small_kernelILi8E19rocblas_complex_numIfEiiPS3_EEvT1_T3_lS5_lPT2_S5_S5_,"axG",@progbits,_ZN9rocsolver6v33100L23getf2_npvt_small_kernelILi8E19rocblas_complex_numIfEiiPS3_EEvT1_T3_lS5_lPT2_S5_S5_,comdat
.Lfunc_end15:
	.size	_ZN9rocsolver6v33100L23getf2_npvt_small_kernelILi8E19rocblas_complex_numIfEiiPS3_EEvT1_T3_lS5_lPT2_S5_S5_, .Lfunc_end15-_ZN9rocsolver6v33100L23getf2_npvt_small_kernelILi8E19rocblas_complex_numIfEiiPS3_EEvT1_T3_lS5_lPT2_S5_S5_
                                        ; -- End function
	.set _ZN9rocsolver6v33100L23getf2_npvt_small_kernelILi8E19rocblas_complex_numIfEiiPS3_EEvT1_T3_lS5_lPT2_S5_S5_.num_vgpr, 66
	.set _ZN9rocsolver6v33100L23getf2_npvt_small_kernelILi8E19rocblas_complex_numIfEiiPS3_EEvT1_T3_lS5_lPT2_S5_S5_.num_agpr, 0
	.set _ZN9rocsolver6v33100L23getf2_npvt_small_kernelILi8E19rocblas_complex_numIfEiiPS3_EEvT1_T3_lS5_lPT2_S5_S5_.numbered_sgpr, 16
	.set _ZN9rocsolver6v33100L23getf2_npvt_small_kernelILi8E19rocblas_complex_numIfEiiPS3_EEvT1_T3_lS5_lPT2_S5_S5_.num_named_barrier, 0
	.set _ZN9rocsolver6v33100L23getf2_npvt_small_kernelILi8E19rocblas_complex_numIfEiiPS3_EEvT1_T3_lS5_lPT2_S5_S5_.private_seg_size, 0
	.set _ZN9rocsolver6v33100L23getf2_npvt_small_kernelILi8E19rocblas_complex_numIfEiiPS3_EEvT1_T3_lS5_lPT2_S5_S5_.uses_vcc, 1
	.set _ZN9rocsolver6v33100L23getf2_npvt_small_kernelILi8E19rocblas_complex_numIfEiiPS3_EEvT1_T3_lS5_lPT2_S5_S5_.uses_flat_scratch, 0
	.set _ZN9rocsolver6v33100L23getf2_npvt_small_kernelILi8E19rocblas_complex_numIfEiiPS3_EEvT1_T3_lS5_lPT2_S5_S5_.has_dyn_sized_stack, 0
	.set _ZN9rocsolver6v33100L23getf2_npvt_small_kernelILi8E19rocblas_complex_numIfEiiPS3_EEvT1_T3_lS5_lPT2_S5_S5_.has_recursion, 0
	.set _ZN9rocsolver6v33100L23getf2_npvt_small_kernelILi8E19rocblas_complex_numIfEiiPS3_EEvT1_T3_lS5_lPT2_S5_S5_.has_indirect_call, 0
	.section	.AMDGPU.csdata,"",@progbits
; Kernel info:
; codeLenInByte = 7568
; TotalNumSgprs: 18
; NumVgprs: 66
; ScratchSize: 0
; MemoryBound: 0
; FloatMode: 240
; IeeeMode: 1
; LDSByteSize: 0 bytes/workgroup (compile time only)
; SGPRBlocks: 0
; VGPRBlocks: 4
; NumSGPRsForWavesPerEU: 18
; NumVGPRsForWavesPerEU: 66
; NamedBarCnt: 0
; Occupancy: 12
; WaveLimiterHint : 0
; COMPUTE_PGM_RSRC2:SCRATCH_EN: 0
; COMPUTE_PGM_RSRC2:USER_SGPR: 2
; COMPUTE_PGM_RSRC2:TRAP_HANDLER: 0
; COMPUTE_PGM_RSRC2:TGID_X_EN: 1
; COMPUTE_PGM_RSRC2:TGID_Y_EN: 1
; COMPUTE_PGM_RSRC2:TGID_Z_EN: 0
; COMPUTE_PGM_RSRC2:TIDIG_COMP_CNT: 1
	.section	.text._ZN9rocsolver6v33100L18getf2_small_kernelILi9E19rocblas_complex_numIfEiiPS3_EEvT1_T3_lS5_lPS5_llPT2_S5_S5_S7_l,"axG",@progbits,_ZN9rocsolver6v33100L18getf2_small_kernelILi9E19rocblas_complex_numIfEiiPS3_EEvT1_T3_lS5_lPS5_llPT2_S5_S5_S7_l,comdat
	.globl	_ZN9rocsolver6v33100L18getf2_small_kernelILi9E19rocblas_complex_numIfEiiPS3_EEvT1_T3_lS5_lPS5_llPT2_S5_S5_S7_l ; -- Begin function _ZN9rocsolver6v33100L18getf2_small_kernelILi9E19rocblas_complex_numIfEiiPS3_EEvT1_T3_lS5_lPS5_llPT2_S5_S5_S7_l
	.p2align	8
	.type	_ZN9rocsolver6v33100L18getf2_small_kernelILi9E19rocblas_complex_numIfEiiPS3_EEvT1_T3_lS5_lPS5_llPT2_S5_S5_S7_l,@function
_ZN9rocsolver6v33100L18getf2_small_kernelILi9E19rocblas_complex_numIfEiiPS3_EEvT1_T3_lS5_lPS5_llPT2_S5_S5_S7_l: ; @_ZN9rocsolver6v33100L18getf2_small_kernelILi9E19rocblas_complex_numIfEiiPS3_EEvT1_T3_lS5_lPS5_llPT2_S5_S5_S7_l
; %bb.0:
	s_clause 0x1
	s_load_u16 s2, s[0:1], 0x6e
	s_load_b64 s[12:13], s[0:1], 0x48
	s_bfe_u32 s3, ttmp6, 0x40010
	s_bfe_u32 s4, ttmp6, 0x40004
	s_add_co_i32 s3, s3, 1
	s_getreg_b32 s5, hwreg(HW_REG_IB_STS2, 6, 4)
	s_mul_i32 s3, ttmp7, s3
	v_bfe_u32 v26, v0, 10, 10
	s_add_co_i32 s4, s4, s3
	s_cmp_eq_u32 s5, 0
	s_cselect_b32 s3, ttmp7, s4
	s_wait_kmcnt 0x0
	v_mad_u32 v2, s3, s2, v26
	s_mov_b32 s2, exec_lo
	s_delay_alu instid0(VALU_DEP_1)
	v_cmpx_gt_i32_e64 s12, v2
	s_cbranch_execz .LBB16_190
; %bb.1:
	s_load_b128 s[4:7], s[0:1], 0x50
	v_mov_b64_e32 v[22:23], 0
	v_ashrrev_i32_e32 v3, 31, v2
	s_wait_kmcnt 0x0
	s_cmp_eq_u64 s[4:5], 0
	s_cselect_b32 s12, -1, 0
	s_delay_alu instid0(SALU_CYCLE_1)
	s_and_b32 vcc_lo, exec_lo, s12
	s_cbranch_vccnz .LBB16_3
; %bb.2:
	v_mul_u64_e32 v[4:5], s[6:7], v[2:3]
	s_delay_alu instid0(VALU_DEP_1)
	v_lshl_add_u64 v[22:23], v[4:5], 2, s[4:5]
.LBB16_3:
	s_clause 0x2
	s_load_b256 s[4:11], s[0:1], 0x20
	s_load_b32 s2, s[0:1], 0x18
	s_load_b128 s[16:19], s[0:1], 0x8
	v_and_b32_e32 v30, 0x3ff, v0
	s_load_b32 s14, s[0:1], 0x0
	v_mov_b32_e32 v25, 0
	s_wait_kmcnt 0x0
	v_mul_u64_e32 v[4:5], s[4:5], v[2:3]
	v_add3_u32 v6, s2, s2, v30
	s_ashr_i32 s3, s2, 31
	s_max_i32 s4, s14, 9
	s_cmp_lt_i32 s14, 2
	s_delay_alu instid0(VALU_DEP_1) | instskip(SKIP_1) | instid1(VALU_DEP_2)
	v_add_nc_u32_e32 v8, s2, v6
	v_lshlrev_b32_e32 v24, 3, v30
	v_dual_ashrrev_i32 v7, 31, v6 :: v_dual_ashrrev_i32 v9, 31, v8
	v_add_nc_u32_e32 v12, s2, v8
	s_delay_alu instid0(VALU_DEP_1) | instskip(NEXT) | instid1(VALU_DEP_1)
	v_add_nc_u32_e32 v16, s2, v12
	v_add_nc_u32_e32 v20, s2, v16
	v_lshl_add_u64 v[0:1], v[4:5], 3, s[16:17]
	s_delay_alu instid0(VALU_DEP_1) | instskip(NEXT) | instid1(VALU_DEP_1)
	v_lshl_add_u64 v[0:1], s[18:19], 3, v[0:1]
	v_add_nc_u64_e32 v[14:15], v[0:1], v[24:25]
	v_lshl_add_u64 v[18:19], v[6:7], 3, v[0:1]
	v_lshl_add_u64 v[8:9], v[8:9], 3, v[0:1]
	s_clause 0x2
	global_load_b64 v[6:7], v[18:19], off
	global_load_b64 v[4:5], v[8:9], off
	;; [unrolled: 1-line block ×3, first 2 shown]
	s_wait_xcnt 0x1
	v_lshl_add_u64 v[8:9], s[2:3], 3, v[14:15]
	v_add_nc_u32_e32 v18, s2, v20
	global_load_b64 v[14:15], v[8:9], off
	s_wait_xcnt 0x0
	v_dual_add_nc_u32 v8, s2, v18 :: v_dual_ashrrev_i32 v17, 31, v16
	v_ashrrev_i32_e32 v21, 31, v20
	v_dual_ashrrev_i32 v13, 31, v12 :: v_dual_ashrrev_i32 v19, 31, v18
	s_delay_alu instid0(VALU_DEP_3) | instskip(NEXT) | instid1(VALU_DEP_4)
	v_ashrrev_i32_e32 v9, 31, v8
	v_lshl_add_u64 v[32:33], v[16:17], 3, v[0:1]
	s_delay_alu instid0(VALU_DEP_4) | instskip(NEXT) | instid1(VALU_DEP_4)
	v_lshl_add_u64 v[34:35], v[20:21], 3, v[0:1]
	v_lshl_add_u64 v[28:29], v[12:13], 3, v[0:1]
	;; [unrolled: 1-line block ×4, first 2 shown]
	s_clause 0x4
	global_load_b64 v[8:9], v[28:29], off
	global_load_b64 v[18:19], v[32:33], off
	;; [unrolled: 1-line block ×5, first 2 shown]
	s_wait_xcnt 0x4
	v_mul_lo_u32 v29, s4, v26
	s_load_b64 s[4:5], s[0:1], 0x40
	s_delay_alu instid0(VALU_DEP_1) | instskip(NEXT) | instid1(VALU_DEP_1)
	v_lshl_add_u32 v28, v29, 3, 0
	v_dual_lshlrev_b32 v29, 3, v29 :: v_dual_add_nc_u32 v24, v28, v24
	s_wait_loadcnt 0x6
	ds_store_b64 v24, v[10:11]
	s_wait_loadcnt_dscnt 0x0
	s_barrier_signal -1
	s_barrier_wait -1
	ds_load_b64 v[26:27], v28
	s_cbranch_scc1 .LBB16_6
; %bb.4:
	v_add3_u32 v24, v29, 0, 8
	v_mov_b32_e32 v25, 0
	s_wait_xcnt 0x0
	s_mov_b32 s0, 1
.LBB16_5:                               ; =>This Inner Loop Header: Depth=1
	ds_load_b64 v[32:33], v24
	s_wait_dscnt 0x1
	v_cmp_gt_f32_e32 vcc_lo, 0, v26
	v_cndmask_b32_e64 v34, v26, -v26, vcc_lo
	v_cmp_gt_f32_e32 vcc_lo, 0, v27
	v_cndmask_b32_e64 v36, v27, -v27, vcc_lo
	s_wait_dscnt 0x0
	v_cmp_gt_f32_e32 vcc_lo, 0, v32
	v_cndmask_b32_e64 v35, v32, -v32, vcc_lo
	v_cmp_gt_f32_e32 vcc_lo, 0, v33
	v_cndmask_b32_e64 v37, v33, -v33, vcc_lo
	s_delay_alu instid0(VALU_DEP_1) | instskip(NEXT) | instid1(VALU_DEP_1)
	v_pk_add_f32 v[34:35], v[34:35], v[36:37]
	v_cmp_lt_f32_e32 vcc_lo, v34, v35
	v_dual_cndmask_b32 v27, v27, v33 :: v_dual_add_nc_u32 v24, 8, v24
	v_cndmask_b32_e32 v26, v26, v32, vcc_lo
	v_cndmask_b32_e64 v25, v25, s0, vcc_lo
	s_add_co_i32 s0, s0, 1
	s_delay_alu instid0(SALU_CYCLE_1)
	s_cmp_eq_u32 s14, s0
	s_cbranch_scc0 .LBB16_5
.LBB16_6:
	s_wait_dscnt 0x0
	v_cmp_neq_f32_e32 vcc_lo, 0, v26
	s_wait_xcnt 0x0
	v_cmp_neq_f32_e64 s0, 0, v27
	v_dual_mov_b32 v31, 1 :: v_dual_mov_b32 v33, 1
	s_or_b32 s1, vcc_lo, s0
	s_delay_alu instid0(SALU_CYCLE_1)
	s_and_saveexec_b32 s0, s1
	s_cbranch_execz .LBB16_12
; %bb.7:
	v_cmp_ngt_f32_e64 s1, |v26|, |v27|
	s_and_saveexec_b32 s15, s1
	s_delay_alu instid0(SALU_CYCLE_1)
	s_xor_b32 s1, exec_lo, s15
	s_cbranch_execz .LBB16_9
; %bb.8:
	v_div_scale_f32 v24, null, v27, v27, v26
	v_div_scale_f32 v33, vcc_lo, v26, v27, v26
	s_delay_alu instid0(VALU_DEP_2) | instskip(SKIP_1) | instid1(TRANS32_DEP_1)
	v_rcp_f32_e32 v31, v24
	v_nop
	v_fma_f32 v32, -v24, v31, 1.0
	s_delay_alu instid0(VALU_DEP_1) | instskip(NEXT) | instid1(VALU_DEP_1)
	v_fmac_f32_e32 v31, v32, v31
	v_mul_f32_e32 v32, v33, v31
	s_delay_alu instid0(VALU_DEP_1) | instskip(NEXT) | instid1(VALU_DEP_1)
	v_fma_f32 v34, -v24, v32, v33
	v_fmac_f32_e32 v32, v34, v31
	s_delay_alu instid0(VALU_DEP_1) | instskip(NEXT) | instid1(VALU_DEP_1)
	v_fma_f32 v24, -v24, v32, v33
	v_div_fmas_f32 v24, v24, v31, v32
	s_delay_alu instid0(VALU_DEP_1) | instskip(NEXT) | instid1(VALU_DEP_1)
	v_div_fixup_f32 v24, v24, v27, v26
	v_fmac_f32_e32 v27, v26, v24
	s_delay_alu instid0(VALU_DEP_1) | instskip(SKIP_1) | instid1(VALU_DEP_2)
	v_div_scale_f32 v26, null, v27, v27, 1.0
	v_div_scale_f32 v33, vcc_lo, 1.0, v27, 1.0
	v_rcp_f32_e32 v31, v26
	v_nop
	s_delay_alu instid0(TRANS32_DEP_1) | instskip(NEXT) | instid1(VALU_DEP_1)
	v_fma_f32 v32, -v26, v31, 1.0
	v_fmac_f32_e32 v31, v32, v31
	s_delay_alu instid0(VALU_DEP_1) | instskip(NEXT) | instid1(VALU_DEP_1)
	v_mul_f32_e32 v32, v33, v31
	v_fma_f32 v34, -v26, v32, v33
	s_delay_alu instid0(VALU_DEP_1) | instskip(NEXT) | instid1(VALU_DEP_1)
	v_fmac_f32_e32 v32, v34, v31
	v_fma_f32 v26, -v26, v32, v33
	s_delay_alu instid0(VALU_DEP_1) | instskip(NEXT) | instid1(VALU_DEP_1)
	v_div_fmas_f32 v26, v26, v31, v32
	v_div_fixup_f32 v27, v26, v27, 1.0
	s_delay_alu instid0(VALU_DEP_1)
	v_mul_f32_e32 v26, v24, v27
	v_xor_b32_e32 v27, 0x80000000, v27
.LBB16_9:
	s_and_not1_saveexec_b32 s1, s1
	s_cbranch_execz .LBB16_11
; %bb.10:
	s_delay_alu instid0(VALU_DEP_1) | instskip(SKIP_1) | instid1(VALU_DEP_2)
	v_div_scale_f32 v24, null, v26, v26, v27
	v_div_scale_f32 v33, vcc_lo, v27, v26, v27
	v_rcp_f32_e32 v31, v24
	v_nop
	s_delay_alu instid0(TRANS32_DEP_1) | instskip(NEXT) | instid1(VALU_DEP_1)
	v_fma_f32 v32, -v24, v31, 1.0
	v_fmac_f32_e32 v31, v32, v31
	s_delay_alu instid0(VALU_DEP_1) | instskip(NEXT) | instid1(VALU_DEP_1)
	v_mul_f32_e32 v32, v33, v31
	v_fma_f32 v34, -v24, v32, v33
	s_delay_alu instid0(VALU_DEP_1) | instskip(NEXT) | instid1(VALU_DEP_1)
	v_fmac_f32_e32 v32, v34, v31
	v_fma_f32 v24, -v24, v32, v33
	s_delay_alu instid0(VALU_DEP_1) | instskip(NEXT) | instid1(VALU_DEP_1)
	v_div_fmas_f32 v24, v24, v31, v32
	v_div_fixup_f32 v24, v24, v26, v27
	s_delay_alu instid0(VALU_DEP_1) | instskip(NEXT) | instid1(VALU_DEP_1)
	v_fmac_f32_e32 v26, v27, v24
	v_div_scale_f32 v27, null, v26, v26, 1.0
	s_delay_alu instid0(VALU_DEP_1) | instskip(SKIP_1) | instid1(TRANS32_DEP_1)
	v_rcp_f32_e32 v31, v27
	v_nop
	v_fma_f32 v32, -v27, v31, 1.0
	s_delay_alu instid0(VALU_DEP_1) | instskip(SKIP_1) | instid1(VALU_DEP_1)
	v_fmac_f32_e32 v31, v32, v31
	v_div_scale_f32 v32, vcc_lo, 1.0, v26, 1.0
	v_mul_f32_e32 v33, v32, v31
	s_delay_alu instid0(VALU_DEP_1) | instskip(NEXT) | instid1(VALU_DEP_1)
	v_fma_f32 v34, -v27, v33, v32
	v_fmac_f32_e32 v33, v34, v31
	s_delay_alu instid0(VALU_DEP_1) | instskip(NEXT) | instid1(VALU_DEP_1)
	v_fma_f32 v27, -v27, v33, v32
	v_div_fmas_f32 v27, v27, v31, v33
	s_delay_alu instid0(VALU_DEP_1) | instskip(NEXT) | instid1(VALU_DEP_1)
	v_div_fixup_f32 v26, v27, v26, 1.0
	v_mul_f32_e64 v27, v24, -v26
.LBB16_11:
	s_or_b32 exec_lo, exec_lo, s1
	v_dual_mov_b32 v33, 0 :: v_dual_mov_b32 v31, 2
.LBB16_12:
	s_or_b32 exec_lo, exec_lo, s0
	s_delay_alu instid0(SALU_CYCLE_1)
	s_mov_b32 s0, exec_lo
	v_cmpx_ne_u32_e64 v30, v25
	s_xor_b32 s0, exec_lo, s0
	s_cbranch_execz .LBB16_18
; %bb.13:
	s_mov_b32 s1, exec_lo
	v_cmpx_eq_u32_e32 0, v30
	s_cbranch_execz .LBB16_17
; %bb.14:
	v_cmp_ne_u32_e32 vcc_lo, 0, v25
	s_xor_b32 s15, s12, -1
	s_delay_alu instid0(SALU_CYCLE_1) | instskip(NEXT) | instid1(SALU_CYCLE_1)
	s_and_b32 s16, s15, vcc_lo
	s_and_saveexec_b32 s15, s16
	s_cbranch_execz .LBB16_16
; %bb.15:
	v_dual_mov_b32 v34, v25 :: v_dual_ashrrev_i32 v35, 31, v25
	s_delay_alu instid0(VALU_DEP_1)
	v_lshl_add_u64 v[34:35], v[34:35], 2, v[22:23]
	s_clause 0x1
	global_load_b32 v24, v[34:35], off
	global_load_b32 v30, v[22:23], off
	s_wait_loadcnt 0x1
	global_store_b32 v[22:23], v24, off
	s_wait_loadcnt 0x0
	global_store_b32 v[34:35], v30, off
.LBB16_16:
	s_wait_xcnt 0x0
	s_or_b32 exec_lo, exec_lo, s15
	v_mov_b32_e32 v30, v25
.LBB16_17:
	s_or_b32 exec_lo, exec_lo, s1
.LBB16_18:
	s_or_saveexec_b32 s0, s0
	s_delay_alu instid0(VALU_DEP_1)
	v_mov_b32_e32 v32, v30
	s_xor_b32 exec_lo, exec_lo, s0
	s_cbranch_execz .LBB16_20
; %bb.19:
	v_mov_b32_e32 v32, 0
	ds_store_2addr_b64 v28, v[14:15], v[6:7] offset0:1 offset1:2
	ds_store_2addr_b64 v28, v[4:5], v[8:9] offset0:3 offset1:4
	;; [unrolled: 1-line block ×4, first 2 shown]
.LBB16_20:
	s_or_b32 exec_lo, exec_lo, s0
	s_delay_alu instid0(SALU_CYCLE_1)
	s_mov_b32 s0, exec_lo
	s_wait_storecnt_dscnt 0x0
	s_barrier_signal -1
	s_barrier_wait -1
	v_cmpx_lt_i32_e32 0, v32
	s_cbranch_execz .LBB16_22
; %bb.21:
	v_pk_mul_f32 v[24:25], v[26:27], v[10:11] op_sel:[1,1] op_sel_hi:[0,1]
	s_delay_alu instid0(VALU_DEP_1)
	v_pk_fma_f32 v[34:35], v[26:27], v[10:11], v[24:25] op_sel_hi:[1,0,1] neg_lo:[0,0,1] neg_hi:[0,0,1]
	v_pk_fma_f32 v[36:37], v[26:27], v[10:11], v[24:25] op_sel_hi:[1,0,1]
	ds_load_2addr_b64 v[24:27], v28 offset0:1 offset1:2
	v_dual_mov_b32 v10, v34 :: v_dual_mov_b32 v11, v37
	s_wait_dscnt 0x0
	v_pk_mul_f32 v[38:39], v[24:25], v[36:37] op_sel:[0,1]
	s_delay_alu instid0(VALU_DEP_1) | instskip(SKIP_1) | instid1(VALU_DEP_1)
	v_pk_fma_f32 v[40:41], v[24:25], v[34:35], v[38:39] op_sel:[0,0,1] op_sel_hi:[1,1,0] neg_lo:[0,0,1] neg_hi:[0,0,1]
	v_pk_fma_f32 v[24:25], v[24:25], v[34:35], v[38:39] op_sel:[0,0,1] op_sel_hi:[1,0,0]
	v_mov_b32_e32 v41, v25
	v_pk_mul_f32 v[24:25], v[26:27], v[36:37] op_sel:[0,1]
	s_delay_alu instid0(VALU_DEP_1) | instskip(SKIP_1) | instid1(VALU_DEP_1)
	v_pk_fma_f32 v[38:39], v[26:27], v[34:35], v[24:25] op_sel:[0,0,1] op_sel_hi:[1,1,0] neg_lo:[0,0,1] neg_hi:[0,0,1]
	v_pk_fma_f32 v[24:25], v[26:27], v[34:35], v[24:25] op_sel:[0,0,1] op_sel_hi:[1,0,0]
	v_mov_b32_e32 v39, v25
	ds_load_2addr_b64 v[24:27], v28 offset0:3 offset1:4
	v_pk_add_f32 v[14:15], v[14:15], v[40:41] neg_lo:[0,1] neg_hi:[0,1]
	v_pk_add_f32 v[6:7], v[6:7], v[38:39] neg_lo:[0,1] neg_hi:[0,1]
	s_wait_dscnt 0x0
	v_pk_mul_f32 v[38:39], v[24:25], v[36:37] op_sel:[0,1]
	s_delay_alu instid0(VALU_DEP_1) | instskip(SKIP_2) | instid1(VALU_DEP_2)
	v_pk_fma_f32 v[40:41], v[24:25], v[34:35], v[38:39] op_sel:[0,0,1] op_sel_hi:[1,1,0] neg_lo:[0,0,1] neg_hi:[0,0,1]
	v_pk_fma_f32 v[24:25], v[24:25], v[34:35], v[38:39] op_sel:[0,0,1] op_sel_hi:[1,0,0]
	v_dual_mul_f32 v38, v27, v37 :: v_dual_mov_b32 v24, v27
	v_dual_mov_b32 v41, v25 :: v_dual_mov_b32 v25, v26
	s_delay_alu instid0(VALU_DEP_2) | instskip(SKIP_1) | instid1(VALU_DEP_3)
	v_pk_fma_f32 v[38:39], v[26:27], v[10:11], v[38:39] op_sel_hi:[1,1,0] neg_lo:[0,0,1] neg_hi:[0,0,1]
	v_mul_f32_e32 v26, v27, v34
	v_pk_add_f32 v[4:5], v[4:5], v[40:41] neg_lo:[0,1] neg_hi:[0,1]
	s_delay_alu instid0(VALU_DEP_2) | instskip(NEXT) | instid1(VALU_DEP_1)
	v_pk_fma_f32 v[24:25], v[24:25], v[10:11], v[26:27] op_sel_hi:[1,1,0]
	v_mov_b32_e32 v39, v25
	ds_load_2addr_b64 v[24:27], v28 offset0:5 offset1:6
	v_pk_add_f32 v[8:9], v[8:9], v[38:39] neg_lo:[0,1] neg_hi:[0,1]
	s_wait_dscnt 0x0
	v_pk_mul_f32 v[38:39], v[24:25], v[36:37] op_sel:[0,1]
	s_delay_alu instid0(VALU_DEP_1) | instskip(SKIP_1) | instid1(VALU_DEP_1)
	v_pk_fma_f32 v[40:41], v[24:25], v[34:35], v[38:39] op_sel:[0,0,1] op_sel_hi:[1,1,0] neg_lo:[0,0,1] neg_hi:[0,0,1]
	v_pk_fma_f32 v[24:25], v[24:25], v[34:35], v[38:39] op_sel:[0,0,1] op_sel_hi:[1,0,0]
	v_mov_b32_e32 v41, v25
	v_pk_mul_f32 v[24:25], v[26:27], v[36:37] op_sel:[0,1]
	s_delay_alu instid0(VALU_DEP_1) | instskip(SKIP_1) | instid1(VALU_DEP_1)
	v_pk_fma_f32 v[38:39], v[26:27], v[34:35], v[24:25] op_sel:[0,0,1] op_sel_hi:[1,1,0] neg_lo:[0,0,1] neg_hi:[0,0,1]
	v_pk_fma_f32 v[24:25], v[26:27], v[34:35], v[24:25] op_sel:[0,0,1] op_sel_hi:[1,0,0]
	v_mov_b32_e32 v39, v25
	ds_load_2addr_b64 v[24:27], v28 offset0:7 offset1:8
	v_pk_add_f32 v[18:19], v[18:19], v[40:41] neg_lo:[0,1] neg_hi:[0,1]
	v_pk_add_f32 v[16:17], v[16:17], v[38:39] neg_lo:[0,1] neg_hi:[0,1]
	s_wait_dscnt 0x0
	v_pk_mul_f32 v[38:39], v[24:25], v[36:37] op_sel:[0,1]
	s_delay_alu instid0(VALU_DEP_1) | instskip(SKIP_1) | instid1(VALU_DEP_1)
	v_pk_fma_f32 v[40:41], v[24:25], v[34:35], v[38:39] op_sel:[0,0,1] op_sel_hi:[1,1,0] neg_lo:[0,0,1] neg_hi:[0,0,1]
	v_pk_fma_f32 v[24:25], v[24:25], v[34:35], v[38:39] op_sel:[0,0,1] op_sel_hi:[1,0,0]
	v_mov_b32_e32 v41, v25
	v_pk_mul_f32 v[24:25], v[26:27], v[36:37] op_sel:[0,1]
	s_delay_alu instid0(VALU_DEP_1) | instskip(SKIP_1) | instid1(VALU_DEP_1)
	v_pk_fma_f32 v[36:37], v[26:27], v[34:35], v[24:25] op_sel:[0,0,1] op_sel_hi:[1,1,0] neg_lo:[0,0,1] neg_hi:[0,0,1]
	v_pk_fma_f32 v[24:25], v[26:27], v[34:35], v[24:25] op_sel:[0,0,1] op_sel_hi:[1,0,0]
	v_mov_b32_e32 v37, v25
	v_pk_add_f32 v[12:13], v[12:13], v[40:41] neg_lo:[0,1] neg_hi:[0,1]
	s_delay_alu instid0(VALU_DEP_2)
	v_pk_add_f32 v[20:21], v[20:21], v[36:37] neg_lo:[0,1] neg_hi:[0,1]
.LBB16_22:
	s_or_b32 exec_lo, exec_lo, s0
	v_lshl_add_u32 v24, v32, 3, v28
	s_barrier_signal -1
	s_barrier_wait -1
	ds_store_b64 v24, v[14:15]
	s_wait_dscnt 0x0
	s_barrier_signal -1
	s_barrier_wait -1
	ds_load_b64 v[24:25], v28 offset:8
	v_mov_b32_e32 v26, 1
	s_cmp_lt_i32 s14, 3
	s_cbranch_scc1 .LBB16_25
; %bb.23:
	v_add3_u32 v27, v29, 0, 16
	v_mov_b32_e32 v26, 1
	s_mov_b32 s0, 2
.LBB16_24:                              ; =>This Inner Loop Header: Depth=1
	ds_load_b64 v[34:35], v27
	s_wait_dscnt 0x1
	v_cmp_gt_f32_e32 vcc_lo, 0, v24
	v_cndmask_b32_e64 v36, v24, -v24, vcc_lo
	v_cmp_gt_f32_e32 vcc_lo, 0, v25
	v_cndmask_b32_e64 v38, v25, -v25, vcc_lo
	s_wait_dscnt 0x0
	v_cmp_gt_f32_e32 vcc_lo, 0, v34
	v_cndmask_b32_e64 v37, v34, -v34, vcc_lo
	v_cmp_gt_f32_e32 vcc_lo, 0, v35
	v_cndmask_b32_e64 v39, v35, -v35, vcc_lo
	s_delay_alu instid0(VALU_DEP_1) | instskip(NEXT) | instid1(VALU_DEP_1)
	v_pk_add_f32 v[36:37], v[36:37], v[38:39]
	v_cmp_lt_f32_e32 vcc_lo, v36, v37
	v_dual_cndmask_b32 v24, v24, v34 :: v_dual_add_nc_u32 v27, 8, v27
	v_cndmask_b32_e32 v25, v25, v35, vcc_lo
	v_cndmask_b32_e64 v26, v26, s0, vcc_lo
	s_add_co_i32 s0, s0, 1
	s_delay_alu instid0(SALU_CYCLE_1)
	s_cmp_lg_u32 s14, s0
	s_cbranch_scc1 .LBB16_24
.LBB16_25:
	s_wait_dscnt 0x0
	v_cmp_neq_f32_e32 vcc_lo, 0, v24
	v_cmp_neq_f32_e64 s0, 0, v25
	s_or_b32 s1, vcc_lo, s0
	s_delay_alu instid0(SALU_CYCLE_1)
	s_and_saveexec_b32 s0, s1
	s_cbranch_execz .LBB16_31
; %bb.26:
	v_cmp_ngt_f32_e64 s1, |v24|, |v25|
	s_and_saveexec_b32 s15, s1
	s_delay_alu instid0(SALU_CYCLE_1)
	s_xor_b32 s1, exec_lo, s15
	s_cbranch_execz .LBB16_28
; %bb.27:
	v_div_scale_f32 v27, null, v25, v25, v24
	v_div_scale_f32 v35, vcc_lo, v24, v25, v24
	s_delay_alu instid0(VALU_DEP_2) | instskip(SKIP_1) | instid1(TRANS32_DEP_1)
	v_rcp_f32_e32 v31, v27
	v_nop
	v_fma_f32 v34, -v27, v31, 1.0
	s_delay_alu instid0(VALU_DEP_1) | instskip(NEXT) | instid1(VALU_DEP_1)
	v_fmac_f32_e32 v31, v34, v31
	v_mul_f32_e32 v34, v35, v31
	s_delay_alu instid0(VALU_DEP_1) | instskip(NEXT) | instid1(VALU_DEP_1)
	v_fma_f32 v36, -v27, v34, v35
	v_fmac_f32_e32 v34, v36, v31
	s_delay_alu instid0(VALU_DEP_1) | instskip(NEXT) | instid1(VALU_DEP_1)
	v_fma_f32 v27, -v27, v34, v35
	v_div_fmas_f32 v27, v27, v31, v34
	s_delay_alu instid0(VALU_DEP_1) | instskip(NEXT) | instid1(VALU_DEP_1)
	v_div_fixup_f32 v27, v27, v25, v24
	v_fmac_f32_e32 v25, v24, v27
	s_delay_alu instid0(VALU_DEP_1) | instskip(SKIP_1) | instid1(VALU_DEP_2)
	v_div_scale_f32 v24, null, v25, v25, 1.0
	v_div_scale_f32 v35, vcc_lo, 1.0, v25, 1.0
	v_rcp_f32_e32 v31, v24
	v_nop
	s_delay_alu instid0(TRANS32_DEP_1) | instskip(NEXT) | instid1(VALU_DEP_1)
	v_fma_f32 v34, -v24, v31, 1.0
	v_fmac_f32_e32 v31, v34, v31
	s_delay_alu instid0(VALU_DEP_1) | instskip(NEXT) | instid1(VALU_DEP_1)
	v_mul_f32_e32 v34, v35, v31
	v_fma_f32 v36, -v24, v34, v35
	s_delay_alu instid0(VALU_DEP_1) | instskip(NEXT) | instid1(VALU_DEP_1)
	v_fmac_f32_e32 v34, v36, v31
	v_fma_f32 v24, -v24, v34, v35
	s_delay_alu instid0(VALU_DEP_1) | instskip(NEXT) | instid1(VALU_DEP_1)
	v_div_fmas_f32 v24, v24, v31, v34
	v_div_fixup_f32 v25, v24, v25, 1.0
	s_delay_alu instid0(VALU_DEP_1)
	v_mul_f32_e32 v24, v27, v25
	v_xor_b32_e32 v25, 0x80000000, v25
.LBB16_28:
	s_and_not1_saveexec_b32 s1, s1
	s_cbranch_execz .LBB16_30
; %bb.29:
	s_delay_alu instid0(VALU_DEP_1) | instskip(SKIP_1) | instid1(VALU_DEP_2)
	v_div_scale_f32 v27, null, v24, v24, v25
	v_div_scale_f32 v35, vcc_lo, v25, v24, v25
	v_rcp_f32_e32 v31, v27
	v_nop
	s_delay_alu instid0(TRANS32_DEP_1) | instskip(NEXT) | instid1(VALU_DEP_1)
	v_fma_f32 v34, -v27, v31, 1.0
	v_fmac_f32_e32 v31, v34, v31
	s_delay_alu instid0(VALU_DEP_1) | instskip(NEXT) | instid1(VALU_DEP_1)
	v_mul_f32_e32 v34, v35, v31
	v_fma_f32 v36, -v27, v34, v35
	s_delay_alu instid0(VALU_DEP_1) | instskip(NEXT) | instid1(VALU_DEP_1)
	v_fmac_f32_e32 v34, v36, v31
	v_fma_f32 v27, -v27, v34, v35
	s_delay_alu instid0(VALU_DEP_1) | instskip(NEXT) | instid1(VALU_DEP_1)
	v_div_fmas_f32 v27, v27, v31, v34
	v_div_fixup_f32 v27, v27, v24, v25
	s_delay_alu instid0(VALU_DEP_1) | instskip(NEXT) | instid1(VALU_DEP_1)
	v_fmac_f32_e32 v24, v25, v27
	v_div_scale_f32 v25, null, v24, v24, 1.0
	s_delay_alu instid0(VALU_DEP_1) | instskip(SKIP_1) | instid1(TRANS32_DEP_1)
	v_rcp_f32_e32 v31, v25
	v_nop
	v_fma_f32 v34, -v25, v31, 1.0
	s_delay_alu instid0(VALU_DEP_1) | instskip(SKIP_1) | instid1(VALU_DEP_1)
	v_fmac_f32_e32 v31, v34, v31
	v_div_scale_f32 v34, vcc_lo, 1.0, v24, 1.0
	v_mul_f32_e32 v35, v34, v31
	s_delay_alu instid0(VALU_DEP_1) | instskip(NEXT) | instid1(VALU_DEP_1)
	v_fma_f32 v36, -v25, v35, v34
	v_fmac_f32_e32 v35, v36, v31
	s_delay_alu instid0(VALU_DEP_1) | instskip(NEXT) | instid1(VALU_DEP_1)
	v_fma_f32 v25, -v25, v35, v34
	v_div_fmas_f32 v25, v25, v31, v35
	s_delay_alu instid0(VALU_DEP_1) | instskip(NEXT) | instid1(VALU_DEP_1)
	v_div_fixup_f32 v24, v25, v24, 1.0
	v_mul_f32_e64 v25, v27, -v24
.LBB16_30:
	s_or_b32 exec_lo, exec_lo, s1
	v_mov_b32_e32 v31, v33
.LBB16_31:
	s_or_b32 exec_lo, exec_lo, s0
	s_delay_alu instid0(SALU_CYCLE_1)
	s_mov_b32 s0, exec_lo
	v_cmpx_ne_u32_e64 v32, v26
	s_xor_b32 s0, exec_lo, s0
	s_cbranch_execz .LBB16_37
; %bb.32:
	s_mov_b32 s1, exec_lo
	v_cmpx_eq_u32_e32 1, v32
	s_cbranch_execz .LBB16_36
; %bb.33:
	v_cmp_ne_u32_e32 vcc_lo, 1, v26
	s_xor_b32 s15, s12, -1
	s_delay_alu instid0(SALU_CYCLE_1) | instskip(NEXT) | instid1(SALU_CYCLE_1)
	s_and_b32 s16, s15, vcc_lo
	s_and_saveexec_b32 s15, s16
	s_cbranch_execz .LBB16_35
; %bb.34:
	v_ashrrev_i32_e32 v27, 31, v26
	s_delay_alu instid0(VALU_DEP_1)
	v_lshl_add_u64 v[32:33], v[26:27], 2, v[22:23]
	s_clause 0x1
	global_load_b32 v27, v[32:33], off
	global_load_b32 v30, v[22:23], off offset:4
	s_wait_loadcnt 0x1
	global_store_b32 v[22:23], v27, off offset:4
	s_wait_loadcnt 0x0
	global_store_b32 v[32:33], v30, off
.LBB16_35:
	s_wait_xcnt 0x0
	s_or_b32 exec_lo, exec_lo, s15
	v_dual_mov_b32 v32, v26 :: v_dual_mov_b32 v30, v26
.LBB16_36:
	s_or_b32 exec_lo, exec_lo, s1
.LBB16_37:
	s_and_not1_saveexec_b32 s0, s0
	s_cbranch_execz .LBB16_39
; %bb.38:
	v_dual_mov_b32 v26, v6 :: v_dual_mov_b32 v27, v7
	v_dual_mov_b32 v34, v4 :: v_dual_mov_b32 v35, v5
	;; [unrolled: 1-line block ×6, first 2 shown]
	v_mov_b32_e32 v43, v13
	ds_store_2addr_b64 v28, v[26:27], v[34:35] offset0:2 offset1:3
	ds_store_2addr_b64 v28, v[36:37], v[38:39] offset0:4 offset1:5
	;; [unrolled: 1-line block ×3, first 2 shown]
	ds_store_b64 v28, v[20:21] offset:64
.LBB16_39:
	s_or_b32 exec_lo, exec_lo, s0
	s_delay_alu instid0(SALU_CYCLE_1)
	s_mov_b32 s0, exec_lo
	s_wait_storecnt_dscnt 0x0
	s_barrier_signal -1
	s_barrier_wait -1
	v_cmpx_lt_i32_e32 1, v32
	s_cbranch_execz .LBB16_41
; %bb.40:
	ds_load_2addr_b64 v[34:37], v28 offset0:2 offset1:3
	ds_load_2addr_b64 v[38:41], v28 offset0:4 offset1:5
	ds_load_2addr_b64 v[42:45], v28 offset0:6 offset1:7
	v_pk_mul_f32 v[26:27], v[24:25], v[14:15] op_sel:[1,1] op_sel_hi:[0,1]
	ds_load_b64 v[46:47], v28 offset:64
	v_pk_fma_f32 v[48:49], v[24:25], v[14:15], v[26:27] op_sel_hi:[1,0,1] neg_lo:[0,0,1] neg_hi:[0,0,1]
	v_pk_fma_f32 v[24:25], v[24:25], v[14:15], v[26:27] op_sel_hi:[1,0,1]
	s_delay_alu instid0(VALU_DEP_1) | instskip(SKIP_1) | instid1(VALU_DEP_2)
	v_dual_mov_b32 v14, v48 :: v_dual_mov_b32 v15, v25
	s_wait_dscnt 0x3
	v_pk_mul_f32 v[26:27], v[34:35], v[24:25] op_sel:[0,1]
	v_pk_mul_f32 v[50:51], v[36:37], v[24:25] op_sel:[0,1]
	s_wait_dscnt 0x2
	v_pk_mul_f32 v[52:53], v[38:39], v[24:25] op_sel:[0,1]
	v_dual_mov_b32 v54, v41 :: v_dual_mov_b32 v55, v40
	v_pk_fma_f32 v[64:65], v[34:35], v[48:49], v[26:27] op_sel:[0,0,1] op_sel_hi:[1,1,0] neg_lo:[0,0,1] neg_hi:[0,0,1]
	v_pk_fma_f32 v[26:27], v[34:35], v[48:49], v[26:27] op_sel:[0,0,1] op_sel_hi:[1,0,0]
	v_pk_fma_f32 v[34:35], v[36:37], v[48:49], v[50:51] op_sel:[0,0,1] op_sel_hi:[1,1,0] neg_lo:[0,0,1] neg_hi:[0,0,1]
	v_pk_fma_f32 v[36:37], v[36:37], v[48:49], v[50:51] op_sel:[0,0,1] op_sel_hi:[1,0,0]
	v_dual_mul_f32 v56, v41, v25 :: v_dual_mul_f32 v58, v41, v48
	s_wait_dscnt 0x1
	v_pk_mul_f32 v[60:61], v[42:43], v[24:25] op_sel:[0,1]
	v_pk_mul_f32 v[62:63], v[44:45], v[24:25] op_sel:[0,1]
	s_wait_dscnt 0x0
	v_pk_mul_f32 v[24:25], v[46:47], v[24:25] op_sel:[0,1]
	v_dual_mov_b32 v65, v27 :: v_dual_mov_b32 v35, v37
	v_pk_fma_f32 v[50:51], v[38:39], v[48:49], v[52:53] op_sel:[0,0,1] op_sel_hi:[1,1,0] neg_lo:[0,0,1] neg_hi:[0,0,1]
	v_pk_fma_f32 v[38:39], v[38:39], v[48:49], v[52:53] op_sel:[0,0,1] op_sel_hi:[1,0,0]
	v_pk_fma_f32 v[52:53], v[54:55], v[14:15], v[58:59] op_sel_hi:[1,1,0]
	v_pk_fma_f32 v[54:55], v[42:43], v[48:49], v[60:61] op_sel:[0,0,1] op_sel_hi:[1,1,0] neg_lo:[0,0,1] neg_hi:[0,0,1]
	v_pk_fma_f32 v[42:43], v[42:43], v[48:49], v[60:61] op_sel:[0,0,1] op_sel_hi:[1,0,0]
	v_pk_fma_f32 v[26:27], v[44:45], v[48:49], v[62:63] op_sel:[0,0,1] op_sel_hi:[1,0,0]
	v_pk_add_f32 v[4:5], v[4:5], v[34:35] neg_lo:[0,1] neg_hi:[0,1]
	v_pk_fma_f32 v[34:35], v[46:47], v[48:49], v[24:25] op_sel:[0,0,1] op_sel_hi:[1,0,0]
	v_pk_fma_f32 v[40:41], v[40:41], v[14:15], v[56:57] op_sel_hi:[1,1,0] neg_lo:[0,0,1] neg_hi:[0,0,1]
	v_pk_fma_f32 v[36:37], v[44:45], v[48:49], v[62:63] op_sel:[0,0,1] op_sel_hi:[1,1,0] neg_lo:[0,0,1] neg_hi:[0,0,1]
	v_pk_fma_f32 v[24:25], v[46:47], v[48:49], v[24:25] op_sel:[0,0,1] op_sel_hi:[1,1,0] neg_lo:[0,0,1] neg_hi:[0,0,1]
	v_dual_mov_b32 v51, v39 :: v_dual_mov_b32 v41, v53
	v_dual_mov_b32 v55, v43 :: v_dual_mov_b32 v37, v27
	v_mov_b32_e32 v25, v35
	v_pk_add_f32 v[6:7], v[6:7], v[64:65] neg_lo:[0,1] neg_hi:[0,1]
	s_delay_alu instid0(VALU_DEP_4)
	v_pk_add_f32 v[8:9], v[8:9], v[50:51] neg_lo:[0,1] neg_hi:[0,1]
	v_pk_add_f32 v[18:19], v[18:19], v[40:41] neg_lo:[0,1] neg_hi:[0,1]
	v_pk_add_f32 v[16:17], v[16:17], v[54:55] neg_lo:[0,1] neg_hi:[0,1]
	v_pk_add_f32 v[12:13], v[12:13], v[36:37] neg_lo:[0,1] neg_hi:[0,1]
	v_pk_add_f32 v[20:21], v[20:21], v[24:25] neg_lo:[0,1] neg_hi:[0,1]
.LBB16_41:
	s_or_b32 exec_lo, exec_lo, s0
	v_lshl_add_u32 v24, v32, 3, v28
	s_barrier_signal -1
	s_barrier_wait -1
	ds_store_b64 v24, v[6:7]
	s_wait_dscnt 0x0
	s_barrier_signal -1
	s_barrier_wait -1
	ds_load_b64 v[24:25], v28 offset:16
	v_mov_b32_e32 v26, 2
	s_cmp_lt_i32 s14, 4
	s_mov_b32 s0, 3
	s_cbranch_scc1 .LBB16_44
; %bb.42:
	v_add3_u32 v27, v29, 0, 24
	v_mov_b32_e32 v26, 2
.LBB16_43:                              ; =>This Inner Loop Header: Depth=1
	ds_load_b64 v[34:35], v27
	s_wait_dscnt 0x1
	v_cmp_gt_f32_e32 vcc_lo, 0, v24
	v_cndmask_b32_e64 v36, v24, -v24, vcc_lo
	v_cmp_gt_f32_e32 vcc_lo, 0, v25
	v_cndmask_b32_e64 v38, v25, -v25, vcc_lo
	s_wait_dscnt 0x0
	v_cmp_gt_f32_e32 vcc_lo, 0, v34
	v_cndmask_b32_e64 v37, v34, -v34, vcc_lo
	v_cmp_gt_f32_e32 vcc_lo, 0, v35
	v_cndmask_b32_e64 v39, v35, -v35, vcc_lo
	s_delay_alu instid0(VALU_DEP_1) | instskip(NEXT) | instid1(VALU_DEP_1)
	v_pk_add_f32 v[36:37], v[36:37], v[38:39]
	v_cmp_lt_f32_e32 vcc_lo, v36, v37
	v_dual_cndmask_b32 v24, v24, v34 :: v_dual_add_nc_u32 v27, 8, v27
	v_cndmask_b32_e32 v25, v25, v35, vcc_lo
	v_cndmask_b32_e64 v26, v26, s0, vcc_lo
	s_add_co_i32 s0, s0, 1
	s_delay_alu instid0(SALU_CYCLE_1)
	s_cmp_lg_u32 s14, s0
	s_cbranch_scc1 .LBB16_43
.LBB16_44:
	s_wait_dscnt 0x0
	v_cmp_eq_f32_e32 vcc_lo, 0, v24
	v_cmp_eq_f32_e64 s0, 0, v25
	s_and_b32 s0, vcc_lo, s0
	s_delay_alu instid0(SALU_CYCLE_1) | instskip(NEXT) | instid1(SALU_CYCLE_1)
	s_and_saveexec_b32 s1, s0
	s_xor_b32 s0, exec_lo, s1
; %bb.45:
	v_cmp_ne_u32_e32 vcc_lo, 0, v31
	v_cndmask_b32_e32 v31, 3, v31, vcc_lo
; %bb.46:
	s_and_not1_saveexec_b32 s0, s0
	s_cbranch_execz .LBB16_52
; %bb.47:
	v_cmp_ngt_f32_e64 s1, |v24|, |v25|
	s_and_saveexec_b32 s15, s1
	s_delay_alu instid0(SALU_CYCLE_1)
	s_xor_b32 s1, exec_lo, s15
	s_cbranch_execz .LBB16_49
; %bb.48:
	v_div_scale_f32 v27, null, v25, v25, v24
	v_div_scale_f32 v35, vcc_lo, v24, v25, v24
	s_delay_alu instid0(VALU_DEP_2) | instskip(SKIP_1) | instid1(TRANS32_DEP_1)
	v_rcp_f32_e32 v33, v27
	v_nop
	v_fma_f32 v34, -v27, v33, 1.0
	s_delay_alu instid0(VALU_DEP_1) | instskip(NEXT) | instid1(VALU_DEP_1)
	v_fmac_f32_e32 v33, v34, v33
	v_mul_f32_e32 v34, v35, v33
	s_delay_alu instid0(VALU_DEP_1) | instskip(NEXT) | instid1(VALU_DEP_1)
	v_fma_f32 v36, -v27, v34, v35
	v_fmac_f32_e32 v34, v36, v33
	s_delay_alu instid0(VALU_DEP_1) | instskip(NEXT) | instid1(VALU_DEP_1)
	v_fma_f32 v27, -v27, v34, v35
	v_div_fmas_f32 v27, v27, v33, v34
	s_delay_alu instid0(VALU_DEP_1) | instskip(NEXT) | instid1(VALU_DEP_1)
	v_div_fixup_f32 v27, v27, v25, v24
	v_fmac_f32_e32 v25, v24, v27
	s_delay_alu instid0(VALU_DEP_1) | instskip(SKIP_1) | instid1(VALU_DEP_2)
	v_div_scale_f32 v24, null, v25, v25, 1.0
	v_div_scale_f32 v35, vcc_lo, 1.0, v25, 1.0
	v_rcp_f32_e32 v33, v24
	v_nop
	s_delay_alu instid0(TRANS32_DEP_1) | instskip(NEXT) | instid1(VALU_DEP_1)
	v_fma_f32 v34, -v24, v33, 1.0
	v_fmac_f32_e32 v33, v34, v33
	s_delay_alu instid0(VALU_DEP_1) | instskip(NEXT) | instid1(VALU_DEP_1)
	v_mul_f32_e32 v34, v35, v33
	v_fma_f32 v36, -v24, v34, v35
	s_delay_alu instid0(VALU_DEP_1) | instskip(NEXT) | instid1(VALU_DEP_1)
	v_fmac_f32_e32 v34, v36, v33
	v_fma_f32 v24, -v24, v34, v35
	s_delay_alu instid0(VALU_DEP_1) | instskip(NEXT) | instid1(VALU_DEP_1)
	v_div_fmas_f32 v24, v24, v33, v34
	v_div_fixup_f32 v25, v24, v25, 1.0
	s_delay_alu instid0(VALU_DEP_1)
	v_mul_f32_e32 v24, v27, v25
	v_xor_b32_e32 v25, 0x80000000, v25
.LBB16_49:
	s_and_not1_saveexec_b32 s1, s1
	s_cbranch_execz .LBB16_51
; %bb.50:
	s_delay_alu instid0(VALU_DEP_1) | instskip(SKIP_1) | instid1(VALU_DEP_2)
	v_div_scale_f32 v27, null, v24, v24, v25
	v_div_scale_f32 v35, vcc_lo, v25, v24, v25
	v_rcp_f32_e32 v33, v27
	v_nop
	s_delay_alu instid0(TRANS32_DEP_1) | instskip(NEXT) | instid1(VALU_DEP_1)
	v_fma_f32 v34, -v27, v33, 1.0
	v_fmac_f32_e32 v33, v34, v33
	s_delay_alu instid0(VALU_DEP_1) | instskip(NEXT) | instid1(VALU_DEP_1)
	v_mul_f32_e32 v34, v35, v33
	v_fma_f32 v36, -v27, v34, v35
	s_delay_alu instid0(VALU_DEP_1) | instskip(NEXT) | instid1(VALU_DEP_1)
	v_fmac_f32_e32 v34, v36, v33
	v_fma_f32 v27, -v27, v34, v35
	s_delay_alu instid0(VALU_DEP_1) | instskip(NEXT) | instid1(VALU_DEP_1)
	v_div_fmas_f32 v27, v27, v33, v34
	v_div_fixup_f32 v27, v27, v24, v25
	s_delay_alu instid0(VALU_DEP_1) | instskip(NEXT) | instid1(VALU_DEP_1)
	v_fmac_f32_e32 v24, v25, v27
	v_div_scale_f32 v25, null, v24, v24, 1.0
	s_delay_alu instid0(VALU_DEP_1) | instskip(SKIP_1) | instid1(TRANS32_DEP_1)
	v_rcp_f32_e32 v33, v25
	v_nop
	v_fma_f32 v34, -v25, v33, 1.0
	s_delay_alu instid0(VALU_DEP_1) | instskip(SKIP_1) | instid1(VALU_DEP_1)
	v_fmac_f32_e32 v33, v34, v33
	v_div_scale_f32 v34, vcc_lo, 1.0, v24, 1.0
	v_mul_f32_e32 v35, v34, v33
	s_delay_alu instid0(VALU_DEP_1) | instskip(NEXT) | instid1(VALU_DEP_1)
	v_fma_f32 v36, -v25, v35, v34
	v_fmac_f32_e32 v35, v36, v33
	s_delay_alu instid0(VALU_DEP_1) | instskip(NEXT) | instid1(VALU_DEP_1)
	v_fma_f32 v25, -v25, v35, v34
	v_div_fmas_f32 v25, v25, v33, v35
	s_delay_alu instid0(VALU_DEP_1) | instskip(NEXT) | instid1(VALU_DEP_1)
	v_div_fixup_f32 v24, v25, v24, 1.0
	v_mul_f32_e64 v25, v27, -v24
.LBB16_51:
	s_or_b32 exec_lo, exec_lo, s1
.LBB16_52:
	s_delay_alu instid0(SALU_CYCLE_1) | instskip(NEXT) | instid1(SALU_CYCLE_1)
	s_or_b32 exec_lo, exec_lo, s0
	s_mov_b32 s0, exec_lo
	v_cmpx_ne_u32_e64 v32, v26
	s_xor_b32 s0, exec_lo, s0
	s_cbranch_execz .LBB16_58
; %bb.53:
	s_mov_b32 s1, exec_lo
	v_cmpx_eq_u32_e32 2, v32
	s_cbranch_execz .LBB16_57
; %bb.54:
	v_cmp_ne_u32_e32 vcc_lo, 2, v26
	s_xor_b32 s15, s12, -1
	s_delay_alu instid0(SALU_CYCLE_1) | instskip(NEXT) | instid1(SALU_CYCLE_1)
	s_and_b32 s16, s15, vcc_lo
	s_and_saveexec_b32 s15, s16
	s_cbranch_execz .LBB16_56
; %bb.55:
	v_ashrrev_i32_e32 v27, 31, v26
	s_delay_alu instid0(VALU_DEP_1)
	v_lshl_add_u64 v[32:33], v[26:27], 2, v[22:23]
	s_clause 0x1
	global_load_b32 v27, v[32:33], off
	global_load_b32 v30, v[22:23], off offset:8
	s_wait_loadcnt 0x1
	global_store_b32 v[22:23], v27, off offset:8
	s_wait_loadcnt 0x0
	global_store_b32 v[32:33], v30, off
.LBB16_56:
	s_wait_xcnt 0x0
	s_or_b32 exec_lo, exec_lo, s15
	v_dual_mov_b32 v32, v26 :: v_dual_mov_b32 v30, v26
.LBB16_57:
	s_or_b32 exec_lo, exec_lo, s1
.LBB16_58:
	s_and_not1_saveexec_b32 s0, s0
	s_cbranch_execz .LBB16_60
; %bb.59:
	v_mov_b32_e32 v32, 2
	ds_store_2addr_b64 v28, v[4:5], v[8:9] offset0:3 offset1:4
	ds_store_2addr_b64 v28, v[18:19], v[16:17] offset0:5 offset1:6
	;; [unrolled: 1-line block ×3, first 2 shown]
.LBB16_60:
	s_or_b32 exec_lo, exec_lo, s0
	s_delay_alu instid0(SALU_CYCLE_1)
	s_mov_b32 s0, exec_lo
	s_wait_storecnt_dscnt 0x0
	s_barrier_signal -1
	s_barrier_wait -1
	v_cmpx_lt_i32_e32 2, v32
	s_cbranch_execz .LBB16_62
; %bb.61:
	ds_load_2addr_b64 v[34:37], v28 offset0:3 offset1:4
	ds_load_2addr_b64 v[38:41], v28 offset0:5 offset1:6
	;; [unrolled: 1-line block ×3, first 2 shown]
	v_pk_mul_f32 v[26:27], v[24:25], v[6:7] op_sel:[1,1] op_sel_hi:[0,1]
	s_delay_alu instid0(VALU_DEP_1) | instskip(SKIP_1) | instid1(VALU_DEP_1)
	v_pk_fma_f32 v[46:47], v[24:25], v[6:7], v[26:27] op_sel_hi:[1,0,1] neg_lo:[0,0,1] neg_hi:[0,0,1]
	v_pk_fma_f32 v[24:25], v[24:25], v[6:7], v[26:27] op_sel_hi:[1,0,1]
	v_dual_mov_b32 v6, v46 :: v_dual_mov_b32 v7, v25
	s_wait_dscnt 0x2
	s_delay_alu instid0(VALU_DEP_2)
	v_pk_mul_f32 v[26:27], v[34:35], v[24:25] op_sel:[0,1]
	v_pk_mul_f32 v[48:49], v[36:37], v[24:25] op_sel:[0,1]
	s_wait_dscnt 0x1
	v_pk_mul_f32 v[50:51], v[38:39], v[24:25] op_sel:[0,1]
	v_dual_mov_b32 v52, v41 :: v_dual_mov_b32 v53, v40
	v_dual_mul_f32 v54, v41, v25 :: v_dual_mul_f32 v56, v41, v46
	s_wait_dscnt 0x0
	v_pk_mul_f32 v[58:59], v[42:43], v[24:25] op_sel:[0,1]
	v_dual_mov_b32 v60, v45 :: v_dual_mov_b32 v61, v44
	v_dual_mul_f32 v24, v45, v25 :: v_dual_mul_f32 v62, v45, v46
	v_pk_fma_f32 v[64:65], v[34:35], v[46:47], v[26:27] op_sel:[0,0,1] op_sel_hi:[1,1,0] neg_lo:[0,0,1] neg_hi:[0,0,1]
	v_pk_fma_f32 v[26:27], v[34:35], v[46:47], v[26:27] op_sel:[0,0,1] op_sel_hi:[1,0,0]
	v_pk_fma_f32 v[34:35], v[36:37], v[46:47], v[48:49] op_sel:[0,0,1] op_sel_hi:[1,1,0] neg_lo:[0,0,1] neg_hi:[0,0,1]
	v_pk_fma_f32 v[36:37], v[36:37], v[46:47], v[48:49] op_sel:[0,0,1] op_sel_hi:[1,0,0]
	;; [unrolled: 2-line block ×3, first 2 shown]
	v_pk_fma_f32 v[50:51], v[52:53], v[6:7], v[56:57] op_sel_hi:[1,1,0]
	v_pk_fma_f32 v[52:53], v[42:43], v[46:47], v[58:59] op_sel:[0,0,1] op_sel_hi:[1,1,0] neg_lo:[0,0,1] neg_hi:[0,0,1]
	v_pk_fma_f32 v[42:43], v[42:43], v[46:47], v[58:59] op_sel:[0,0,1] op_sel_hi:[1,0,0]
	v_dual_mov_b32 v65, v27 :: v_dual_mov_b32 v35, v37
	v_pk_fma_f32 v[26:27], v[60:61], v[6:7], v[62:63] op_sel_hi:[1,1,0]
	v_pk_fma_f32 v[40:41], v[40:41], v[6:7], v[54:55] op_sel_hi:[1,1,0] neg_lo:[0,0,1] neg_hi:[0,0,1]
	v_pk_fma_f32 v[24:25], v[44:45], v[6:7], v[24:25] op_sel_hi:[1,1,0] neg_lo:[0,0,1] neg_hi:[0,0,1]
	v_dual_mov_b32 v49, v39 :: v_dual_mov_b32 v41, v51
	s_delay_alu instid0(VALU_DEP_4) | instskip(SKIP_2) | instid1(VALU_DEP_4)
	v_dual_mov_b32 v53, v43 :: v_dual_mov_b32 v25, v27
	v_pk_add_f32 v[4:5], v[4:5], v[64:65] neg_lo:[0,1] neg_hi:[0,1]
	v_pk_add_f32 v[8:9], v[8:9], v[34:35] neg_lo:[0,1] neg_hi:[0,1]
	;; [unrolled: 1-line block ×6, first 2 shown]
.LBB16_62:
	s_or_b32 exec_lo, exec_lo, s0
	v_lshl_add_u32 v24, v32, 3, v28
	s_barrier_signal -1
	s_barrier_wait -1
	ds_store_b64 v24, v[4:5]
	s_wait_dscnt 0x0
	s_barrier_signal -1
	s_barrier_wait -1
	ds_load_b64 v[24:25], v28 offset:24
	v_mov_b32_e32 v26, 3
	s_cmp_lt_i32 s14, 5
	s_cbranch_scc1 .LBB16_65
; %bb.63:
	v_mov_b32_e32 v26, 3
	v_add3_u32 v27, v29, 0, 32
	s_mov_b32 s0, 4
.LBB16_64:                              ; =>This Inner Loop Header: Depth=1
	ds_load_b64 v[34:35], v27
	s_wait_dscnt 0x1
	v_cmp_gt_f32_e32 vcc_lo, 0, v24
	v_cndmask_b32_e64 v36, v24, -v24, vcc_lo
	v_cmp_gt_f32_e32 vcc_lo, 0, v25
	v_cndmask_b32_e64 v38, v25, -v25, vcc_lo
	s_wait_dscnt 0x0
	v_cmp_gt_f32_e32 vcc_lo, 0, v34
	v_cndmask_b32_e64 v37, v34, -v34, vcc_lo
	v_cmp_gt_f32_e32 vcc_lo, 0, v35
	v_cndmask_b32_e64 v39, v35, -v35, vcc_lo
	s_delay_alu instid0(VALU_DEP_1) | instskip(NEXT) | instid1(VALU_DEP_1)
	v_pk_add_f32 v[36:37], v[36:37], v[38:39]
	v_cmp_lt_f32_e32 vcc_lo, v36, v37
	v_dual_cndmask_b32 v24, v24, v34 :: v_dual_add_nc_u32 v27, 8, v27
	v_cndmask_b32_e32 v25, v25, v35, vcc_lo
	v_cndmask_b32_e64 v26, v26, s0, vcc_lo
	s_add_co_i32 s0, s0, 1
	s_delay_alu instid0(SALU_CYCLE_1)
	s_cmp_lg_u32 s14, s0
	s_cbranch_scc1 .LBB16_64
.LBB16_65:
	s_wait_dscnt 0x0
	v_cmp_eq_f32_e32 vcc_lo, 0, v24
	v_cmp_eq_f32_e64 s0, 0, v25
	s_and_b32 s0, vcc_lo, s0
	s_delay_alu instid0(SALU_CYCLE_1) | instskip(NEXT) | instid1(SALU_CYCLE_1)
	s_and_saveexec_b32 s1, s0
	s_xor_b32 s0, exec_lo, s1
; %bb.66:
	v_cmp_ne_u32_e32 vcc_lo, 0, v31
	v_cndmask_b32_e32 v31, 4, v31, vcc_lo
; %bb.67:
	s_and_not1_saveexec_b32 s0, s0
	s_cbranch_execz .LBB16_73
; %bb.68:
	v_cmp_ngt_f32_e64 s1, |v24|, |v25|
	s_and_saveexec_b32 s15, s1
	s_delay_alu instid0(SALU_CYCLE_1)
	s_xor_b32 s1, exec_lo, s15
	s_cbranch_execz .LBB16_70
; %bb.69:
	v_div_scale_f32 v27, null, v25, v25, v24
	v_div_scale_f32 v35, vcc_lo, v24, v25, v24
	s_delay_alu instid0(VALU_DEP_2) | instskip(SKIP_1) | instid1(TRANS32_DEP_1)
	v_rcp_f32_e32 v33, v27
	v_nop
	v_fma_f32 v34, -v27, v33, 1.0
	s_delay_alu instid0(VALU_DEP_1) | instskip(NEXT) | instid1(VALU_DEP_1)
	v_fmac_f32_e32 v33, v34, v33
	v_mul_f32_e32 v34, v35, v33
	s_delay_alu instid0(VALU_DEP_1) | instskip(NEXT) | instid1(VALU_DEP_1)
	v_fma_f32 v36, -v27, v34, v35
	v_fmac_f32_e32 v34, v36, v33
	s_delay_alu instid0(VALU_DEP_1) | instskip(NEXT) | instid1(VALU_DEP_1)
	v_fma_f32 v27, -v27, v34, v35
	v_div_fmas_f32 v27, v27, v33, v34
	s_delay_alu instid0(VALU_DEP_1) | instskip(NEXT) | instid1(VALU_DEP_1)
	v_div_fixup_f32 v27, v27, v25, v24
	v_fmac_f32_e32 v25, v24, v27
	s_delay_alu instid0(VALU_DEP_1) | instskip(SKIP_1) | instid1(VALU_DEP_2)
	v_div_scale_f32 v24, null, v25, v25, 1.0
	v_div_scale_f32 v35, vcc_lo, 1.0, v25, 1.0
	v_rcp_f32_e32 v33, v24
	v_nop
	s_delay_alu instid0(TRANS32_DEP_1) | instskip(NEXT) | instid1(VALU_DEP_1)
	v_fma_f32 v34, -v24, v33, 1.0
	v_fmac_f32_e32 v33, v34, v33
	s_delay_alu instid0(VALU_DEP_1) | instskip(NEXT) | instid1(VALU_DEP_1)
	v_mul_f32_e32 v34, v35, v33
	v_fma_f32 v36, -v24, v34, v35
	s_delay_alu instid0(VALU_DEP_1) | instskip(NEXT) | instid1(VALU_DEP_1)
	v_fmac_f32_e32 v34, v36, v33
	v_fma_f32 v24, -v24, v34, v35
	s_delay_alu instid0(VALU_DEP_1) | instskip(NEXT) | instid1(VALU_DEP_1)
	v_div_fmas_f32 v24, v24, v33, v34
	v_div_fixup_f32 v25, v24, v25, 1.0
	s_delay_alu instid0(VALU_DEP_1)
	v_mul_f32_e32 v24, v27, v25
	v_xor_b32_e32 v25, 0x80000000, v25
.LBB16_70:
	s_and_not1_saveexec_b32 s1, s1
	s_cbranch_execz .LBB16_72
; %bb.71:
	s_delay_alu instid0(VALU_DEP_1) | instskip(SKIP_1) | instid1(VALU_DEP_2)
	v_div_scale_f32 v27, null, v24, v24, v25
	v_div_scale_f32 v35, vcc_lo, v25, v24, v25
	v_rcp_f32_e32 v33, v27
	v_nop
	s_delay_alu instid0(TRANS32_DEP_1) | instskip(NEXT) | instid1(VALU_DEP_1)
	v_fma_f32 v34, -v27, v33, 1.0
	v_fmac_f32_e32 v33, v34, v33
	s_delay_alu instid0(VALU_DEP_1) | instskip(NEXT) | instid1(VALU_DEP_1)
	v_mul_f32_e32 v34, v35, v33
	v_fma_f32 v36, -v27, v34, v35
	s_delay_alu instid0(VALU_DEP_1) | instskip(NEXT) | instid1(VALU_DEP_1)
	v_fmac_f32_e32 v34, v36, v33
	v_fma_f32 v27, -v27, v34, v35
	s_delay_alu instid0(VALU_DEP_1) | instskip(NEXT) | instid1(VALU_DEP_1)
	v_div_fmas_f32 v27, v27, v33, v34
	v_div_fixup_f32 v27, v27, v24, v25
	s_delay_alu instid0(VALU_DEP_1) | instskip(NEXT) | instid1(VALU_DEP_1)
	v_fmac_f32_e32 v24, v25, v27
	v_div_scale_f32 v25, null, v24, v24, 1.0
	s_delay_alu instid0(VALU_DEP_1) | instskip(SKIP_1) | instid1(TRANS32_DEP_1)
	v_rcp_f32_e32 v33, v25
	v_nop
	v_fma_f32 v34, -v25, v33, 1.0
	s_delay_alu instid0(VALU_DEP_1) | instskip(SKIP_1) | instid1(VALU_DEP_1)
	v_fmac_f32_e32 v33, v34, v33
	v_div_scale_f32 v34, vcc_lo, 1.0, v24, 1.0
	v_mul_f32_e32 v35, v34, v33
	s_delay_alu instid0(VALU_DEP_1) | instskip(NEXT) | instid1(VALU_DEP_1)
	v_fma_f32 v36, -v25, v35, v34
	v_fmac_f32_e32 v35, v36, v33
	s_delay_alu instid0(VALU_DEP_1) | instskip(NEXT) | instid1(VALU_DEP_1)
	v_fma_f32 v25, -v25, v35, v34
	v_div_fmas_f32 v25, v25, v33, v35
	s_delay_alu instid0(VALU_DEP_1) | instskip(NEXT) | instid1(VALU_DEP_1)
	v_div_fixup_f32 v24, v25, v24, 1.0
	v_mul_f32_e64 v25, v27, -v24
.LBB16_72:
	s_or_b32 exec_lo, exec_lo, s1
.LBB16_73:
	s_delay_alu instid0(SALU_CYCLE_1) | instskip(NEXT) | instid1(SALU_CYCLE_1)
	s_or_b32 exec_lo, exec_lo, s0
	s_mov_b32 s0, exec_lo
	v_cmpx_ne_u32_e64 v32, v26
	s_xor_b32 s0, exec_lo, s0
	s_cbranch_execz .LBB16_79
; %bb.74:
	s_mov_b32 s1, exec_lo
	v_cmpx_eq_u32_e32 3, v32
	s_cbranch_execz .LBB16_78
; %bb.75:
	v_cmp_ne_u32_e32 vcc_lo, 3, v26
	s_xor_b32 s15, s12, -1
	s_delay_alu instid0(SALU_CYCLE_1) | instskip(NEXT) | instid1(SALU_CYCLE_1)
	s_and_b32 s16, s15, vcc_lo
	s_and_saveexec_b32 s15, s16
	s_cbranch_execz .LBB16_77
; %bb.76:
	v_ashrrev_i32_e32 v27, 31, v26
	s_delay_alu instid0(VALU_DEP_1)
	v_lshl_add_u64 v[32:33], v[26:27], 2, v[22:23]
	s_clause 0x1
	global_load_b32 v27, v[32:33], off
	global_load_b32 v30, v[22:23], off offset:12
	s_wait_loadcnt 0x1
	global_store_b32 v[22:23], v27, off offset:12
	s_wait_loadcnt 0x0
	global_store_b32 v[32:33], v30, off
.LBB16_77:
	s_wait_xcnt 0x0
	s_or_b32 exec_lo, exec_lo, s15
	v_dual_mov_b32 v32, v26 :: v_dual_mov_b32 v30, v26
.LBB16_78:
	s_or_b32 exec_lo, exec_lo, s1
.LBB16_79:
	s_and_not1_saveexec_b32 s0, s0
	s_cbranch_execz .LBB16_81
; %bb.80:
	v_dual_mov_b32 v26, v8 :: v_dual_mov_b32 v27, v9
	v_dual_mov_b32 v34, v18 :: v_dual_mov_b32 v35, v19
	;; [unrolled: 1-line block ×4, first 2 shown]
	v_mov_b32_e32 v39, v13
	ds_store_2addr_b64 v28, v[26:27], v[34:35] offset0:4 offset1:5
	ds_store_2addr_b64 v28, v[36:37], v[38:39] offset0:6 offset1:7
	ds_store_b64 v28, v[20:21] offset:64
.LBB16_81:
	s_or_b32 exec_lo, exec_lo, s0
	s_delay_alu instid0(SALU_CYCLE_1)
	s_mov_b32 s0, exec_lo
	s_wait_storecnt_dscnt 0x0
	s_barrier_signal -1
	s_barrier_wait -1
	v_cmpx_lt_i32_e32 3, v32
	s_cbranch_execz .LBB16_83
; %bb.82:
	ds_load_2addr_b64 v[34:37], v28 offset0:4 offset1:5
	ds_load_2addr_b64 v[38:41], v28 offset0:6 offset1:7
	ds_load_b64 v[26:27], v28 offset:64
	v_pk_mul_f32 v[42:43], v[24:25], v[4:5] op_sel:[1,1] op_sel_hi:[0,1]
	s_delay_alu instid0(VALU_DEP_1) | instskip(SKIP_1) | instid1(VALU_DEP_1)
	v_pk_fma_f32 v[44:45], v[24:25], v[4:5], v[42:43] op_sel_hi:[1,0,1] neg_lo:[0,0,1] neg_hi:[0,0,1]
	v_pk_fma_f32 v[24:25], v[24:25], v[4:5], v[42:43] op_sel_hi:[1,0,1]
	v_dual_mov_b32 v4, v44 :: v_dual_mov_b32 v5, v25
	s_wait_dscnt 0x2
	s_delay_alu instid0(VALU_DEP_2)
	v_pk_mul_f32 v[42:43], v[34:35], v[24:25] op_sel:[0,1]
	v_pk_mul_f32 v[46:47], v[36:37], v[24:25] op_sel:[0,1]
	s_wait_dscnt 0x1
	v_pk_mul_f32 v[48:49], v[38:39], v[24:25] op_sel:[0,1]
	v_dual_mov_b32 v50, v41 :: v_dual_mov_b32 v51, v40
	v_dual_mul_f32 v52, v41, v25 :: v_dual_mul_f32 v54, v41, v44
	s_wait_dscnt 0x0
	v_pk_mul_f32 v[24:25], v[26:27], v[24:25] op_sel:[0,1]
	v_pk_fma_f32 v[56:57], v[34:35], v[44:45], v[42:43] op_sel:[0,0,1] op_sel_hi:[1,1,0] neg_lo:[0,0,1] neg_hi:[0,0,1]
	v_pk_fma_f32 v[34:35], v[34:35], v[44:45], v[42:43] op_sel:[0,0,1] op_sel_hi:[1,0,0]
	v_pk_fma_f32 v[42:43], v[36:37], v[44:45], v[46:47] op_sel:[0,0,1] op_sel_hi:[1,1,0] neg_lo:[0,0,1] neg_hi:[0,0,1]
	v_pk_fma_f32 v[36:37], v[36:37], v[44:45], v[46:47] op_sel:[0,0,1] op_sel_hi:[1,0,0]
	;; [unrolled: 2-line block ×3, first 2 shown]
	v_pk_fma_f32 v[48:49], v[50:51], v[4:5], v[54:55] op_sel_hi:[1,1,0]
	v_pk_fma_f32 v[50:51], v[26:27], v[44:45], v[24:25] op_sel:[0,0,1] op_sel_hi:[1,1,0] neg_lo:[0,0,1] neg_hi:[0,0,1]
	v_pk_fma_f32 v[24:25], v[26:27], v[44:45], v[24:25] op_sel:[0,0,1] op_sel_hi:[1,0,0]
	v_pk_fma_f32 v[40:41], v[40:41], v[4:5], v[52:53] op_sel_hi:[1,1,0] neg_lo:[0,0,1] neg_hi:[0,0,1]
	v_dual_mov_b32 v57, v35 :: v_dual_mov_b32 v43, v37
	v_dual_mov_b32 v47, v39 :: v_dual_mov_b32 v41, v49
	s_delay_alu instid0(VALU_DEP_4) | instskip(NEXT) | instid1(VALU_DEP_3)
	v_mov_b32_e32 v51, v25
	v_pk_add_f32 v[8:9], v[8:9], v[56:57] neg_lo:[0,1] neg_hi:[0,1]
	s_delay_alu instid0(VALU_DEP_4) | instskip(NEXT) | instid1(VALU_DEP_4)
	v_pk_add_f32 v[18:19], v[18:19], v[42:43] neg_lo:[0,1] neg_hi:[0,1]
	v_pk_add_f32 v[16:17], v[16:17], v[46:47] neg_lo:[0,1] neg_hi:[0,1]
	;; [unrolled: 1-line block ×4, first 2 shown]
.LBB16_83:
	s_or_b32 exec_lo, exec_lo, s0
	v_lshl_add_u32 v24, v32, 3, v28
	s_barrier_signal -1
	s_barrier_wait -1
	ds_store_b64 v24, v[8:9]
	s_wait_dscnt 0x0
	s_barrier_signal -1
	s_barrier_wait -1
	ds_load_b64 v[24:25], v28 offset:32
	v_mov_b32_e32 v26, 4
	s_cmp_lt_i32 s14, 6
	s_cbranch_scc1 .LBB16_86
; %bb.84:
	v_add3_u32 v27, v29, 0, 40
	v_mov_b32_e32 v26, 4
	s_mov_b32 s0, 5
.LBB16_85:                              ; =>This Inner Loop Header: Depth=1
	ds_load_b64 v[34:35], v27
	s_wait_dscnt 0x1
	v_cmp_gt_f32_e32 vcc_lo, 0, v24
	v_cndmask_b32_e64 v36, v24, -v24, vcc_lo
	v_cmp_gt_f32_e32 vcc_lo, 0, v25
	v_cndmask_b32_e64 v38, v25, -v25, vcc_lo
	s_wait_dscnt 0x0
	v_cmp_gt_f32_e32 vcc_lo, 0, v34
	v_cndmask_b32_e64 v37, v34, -v34, vcc_lo
	v_cmp_gt_f32_e32 vcc_lo, 0, v35
	v_cndmask_b32_e64 v39, v35, -v35, vcc_lo
	s_delay_alu instid0(VALU_DEP_1) | instskip(NEXT) | instid1(VALU_DEP_1)
	v_pk_add_f32 v[36:37], v[36:37], v[38:39]
	v_cmp_lt_f32_e32 vcc_lo, v36, v37
	v_dual_cndmask_b32 v24, v24, v34 :: v_dual_add_nc_u32 v27, 8, v27
	v_cndmask_b32_e32 v25, v25, v35, vcc_lo
	v_cndmask_b32_e64 v26, v26, s0, vcc_lo
	s_add_co_i32 s0, s0, 1
	s_delay_alu instid0(SALU_CYCLE_1)
	s_cmp_lg_u32 s14, s0
	s_cbranch_scc1 .LBB16_85
.LBB16_86:
	s_wait_dscnt 0x0
	v_cmp_eq_f32_e32 vcc_lo, 0, v24
	v_cmp_eq_f32_e64 s0, 0, v25
	s_and_b32 s0, vcc_lo, s0
	s_delay_alu instid0(SALU_CYCLE_1) | instskip(NEXT) | instid1(SALU_CYCLE_1)
	s_and_saveexec_b32 s1, s0
	s_xor_b32 s0, exec_lo, s1
; %bb.87:
	v_cmp_ne_u32_e32 vcc_lo, 0, v31
	v_cndmask_b32_e32 v31, 5, v31, vcc_lo
; %bb.88:
	s_and_not1_saveexec_b32 s0, s0
	s_cbranch_execz .LBB16_94
; %bb.89:
	v_cmp_ngt_f32_e64 s1, |v24|, |v25|
	s_and_saveexec_b32 s15, s1
	s_delay_alu instid0(SALU_CYCLE_1)
	s_xor_b32 s1, exec_lo, s15
	s_cbranch_execz .LBB16_91
; %bb.90:
	v_div_scale_f32 v27, null, v25, v25, v24
	v_div_scale_f32 v35, vcc_lo, v24, v25, v24
	s_delay_alu instid0(VALU_DEP_2) | instskip(SKIP_1) | instid1(TRANS32_DEP_1)
	v_rcp_f32_e32 v33, v27
	v_nop
	v_fma_f32 v34, -v27, v33, 1.0
	s_delay_alu instid0(VALU_DEP_1) | instskip(NEXT) | instid1(VALU_DEP_1)
	v_fmac_f32_e32 v33, v34, v33
	v_mul_f32_e32 v34, v35, v33
	s_delay_alu instid0(VALU_DEP_1) | instskip(NEXT) | instid1(VALU_DEP_1)
	v_fma_f32 v36, -v27, v34, v35
	v_fmac_f32_e32 v34, v36, v33
	s_delay_alu instid0(VALU_DEP_1) | instskip(NEXT) | instid1(VALU_DEP_1)
	v_fma_f32 v27, -v27, v34, v35
	v_div_fmas_f32 v27, v27, v33, v34
	s_delay_alu instid0(VALU_DEP_1) | instskip(NEXT) | instid1(VALU_DEP_1)
	v_div_fixup_f32 v27, v27, v25, v24
	v_fmac_f32_e32 v25, v24, v27
	s_delay_alu instid0(VALU_DEP_1) | instskip(SKIP_1) | instid1(VALU_DEP_2)
	v_div_scale_f32 v24, null, v25, v25, 1.0
	v_div_scale_f32 v35, vcc_lo, 1.0, v25, 1.0
	v_rcp_f32_e32 v33, v24
	v_nop
	s_delay_alu instid0(TRANS32_DEP_1) | instskip(NEXT) | instid1(VALU_DEP_1)
	v_fma_f32 v34, -v24, v33, 1.0
	v_fmac_f32_e32 v33, v34, v33
	s_delay_alu instid0(VALU_DEP_1) | instskip(NEXT) | instid1(VALU_DEP_1)
	v_mul_f32_e32 v34, v35, v33
	v_fma_f32 v36, -v24, v34, v35
	s_delay_alu instid0(VALU_DEP_1) | instskip(NEXT) | instid1(VALU_DEP_1)
	v_fmac_f32_e32 v34, v36, v33
	v_fma_f32 v24, -v24, v34, v35
	s_delay_alu instid0(VALU_DEP_1) | instskip(NEXT) | instid1(VALU_DEP_1)
	v_div_fmas_f32 v24, v24, v33, v34
	v_div_fixup_f32 v25, v24, v25, 1.0
	s_delay_alu instid0(VALU_DEP_1)
	v_mul_f32_e32 v24, v27, v25
	v_xor_b32_e32 v25, 0x80000000, v25
.LBB16_91:
	s_and_not1_saveexec_b32 s1, s1
	s_cbranch_execz .LBB16_93
; %bb.92:
	s_delay_alu instid0(VALU_DEP_1) | instskip(SKIP_1) | instid1(VALU_DEP_2)
	v_div_scale_f32 v27, null, v24, v24, v25
	v_div_scale_f32 v35, vcc_lo, v25, v24, v25
	v_rcp_f32_e32 v33, v27
	v_nop
	s_delay_alu instid0(TRANS32_DEP_1) | instskip(NEXT) | instid1(VALU_DEP_1)
	v_fma_f32 v34, -v27, v33, 1.0
	v_fmac_f32_e32 v33, v34, v33
	s_delay_alu instid0(VALU_DEP_1) | instskip(NEXT) | instid1(VALU_DEP_1)
	v_mul_f32_e32 v34, v35, v33
	v_fma_f32 v36, -v27, v34, v35
	s_delay_alu instid0(VALU_DEP_1) | instskip(NEXT) | instid1(VALU_DEP_1)
	v_fmac_f32_e32 v34, v36, v33
	v_fma_f32 v27, -v27, v34, v35
	s_delay_alu instid0(VALU_DEP_1) | instskip(NEXT) | instid1(VALU_DEP_1)
	v_div_fmas_f32 v27, v27, v33, v34
	v_div_fixup_f32 v27, v27, v24, v25
	s_delay_alu instid0(VALU_DEP_1) | instskip(NEXT) | instid1(VALU_DEP_1)
	v_fmac_f32_e32 v24, v25, v27
	v_div_scale_f32 v25, null, v24, v24, 1.0
	s_delay_alu instid0(VALU_DEP_1) | instskip(SKIP_1) | instid1(TRANS32_DEP_1)
	v_rcp_f32_e32 v33, v25
	v_nop
	v_fma_f32 v34, -v25, v33, 1.0
	s_delay_alu instid0(VALU_DEP_1) | instskip(SKIP_1) | instid1(VALU_DEP_1)
	v_fmac_f32_e32 v33, v34, v33
	v_div_scale_f32 v34, vcc_lo, 1.0, v24, 1.0
	v_mul_f32_e32 v35, v34, v33
	s_delay_alu instid0(VALU_DEP_1) | instskip(NEXT) | instid1(VALU_DEP_1)
	v_fma_f32 v36, -v25, v35, v34
	v_fmac_f32_e32 v35, v36, v33
	s_delay_alu instid0(VALU_DEP_1) | instskip(NEXT) | instid1(VALU_DEP_1)
	v_fma_f32 v25, -v25, v35, v34
	v_div_fmas_f32 v25, v25, v33, v35
	s_delay_alu instid0(VALU_DEP_1) | instskip(NEXT) | instid1(VALU_DEP_1)
	v_div_fixup_f32 v24, v25, v24, 1.0
	v_mul_f32_e64 v25, v27, -v24
.LBB16_93:
	s_or_b32 exec_lo, exec_lo, s1
.LBB16_94:
	s_delay_alu instid0(SALU_CYCLE_1) | instskip(NEXT) | instid1(SALU_CYCLE_1)
	s_or_b32 exec_lo, exec_lo, s0
	s_mov_b32 s0, exec_lo
	v_cmpx_ne_u32_e64 v32, v26
	s_xor_b32 s0, exec_lo, s0
	s_cbranch_execz .LBB16_100
; %bb.95:
	s_mov_b32 s1, exec_lo
	v_cmpx_eq_u32_e32 4, v32
	s_cbranch_execz .LBB16_99
; %bb.96:
	v_cmp_ne_u32_e32 vcc_lo, 4, v26
	s_xor_b32 s15, s12, -1
	s_delay_alu instid0(SALU_CYCLE_1) | instskip(NEXT) | instid1(SALU_CYCLE_1)
	s_and_b32 s16, s15, vcc_lo
	s_and_saveexec_b32 s15, s16
	s_cbranch_execz .LBB16_98
; %bb.97:
	v_ashrrev_i32_e32 v27, 31, v26
	s_delay_alu instid0(VALU_DEP_1)
	v_lshl_add_u64 v[32:33], v[26:27], 2, v[22:23]
	s_clause 0x1
	global_load_b32 v27, v[32:33], off
	global_load_b32 v30, v[22:23], off offset:16
	s_wait_loadcnt 0x1
	global_store_b32 v[22:23], v27, off offset:16
	s_wait_loadcnt 0x0
	global_store_b32 v[32:33], v30, off
.LBB16_98:
	s_wait_xcnt 0x0
	s_or_b32 exec_lo, exec_lo, s15
	v_dual_mov_b32 v32, v26 :: v_dual_mov_b32 v30, v26
.LBB16_99:
	s_or_b32 exec_lo, exec_lo, s1
.LBB16_100:
	s_and_not1_saveexec_b32 s0, s0
	s_cbranch_execz .LBB16_102
; %bb.101:
	v_mov_b32_e32 v32, 4
	ds_store_2addr_b64 v28, v[18:19], v[16:17] offset0:5 offset1:6
	ds_store_2addr_b64 v28, v[12:13], v[20:21] offset0:7 offset1:8
.LBB16_102:
	s_or_b32 exec_lo, exec_lo, s0
	s_delay_alu instid0(SALU_CYCLE_1)
	s_mov_b32 s0, exec_lo
	s_wait_storecnt_dscnt 0x0
	s_barrier_signal -1
	s_barrier_wait -1
	v_cmpx_lt_i32_e32 4, v32
	s_cbranch_execz .LBB16_104
; %bb.103:
	ds_load_2addr_b64 v[34:37], v28 offset0:5 offset1:6
	ds_load_2addr_b64 v[38:41], v28 offset0:7 offset1:8
	v_pk_mul_f32 v[26:27], v[24:25], v[8:9] op_sel:[1,1] op_sel_hi:[0,1]
	s_delay_alu instid0(VALU_DEP_1) | instskip(SKIP_1) | instid1(VALU_DEP_1)
	v_pk_fma_f32 v[42:43], v[24:25], v[8:9], v[26:27] op_sel_hi:[1,0,1] neg_lo:[0,0,1] neg_hi:[0,0,1]
	v_pk_fma_f32 v[24:25], v[24:25], v[8:9], v[26:27] op_sel_hi:[1,0,1]
	v_dual_mov_b32 v8, v42 :: v_dual_mov_b32 v9, v25
	s_wait_dscnt 0x1
	s_delay_alu instid0(VALU_DEP_2)
	v_pk_mul_f32 v[26:27], v[34:35], v[24:25] op_sel:[0,1]
	s_wait_dscnt 0x0
	v_mov_b32_e32 v44, v41
	v_pk_mul_f32 v[46:47], v[36:37], v[24:25] op_sel:[0,1]
	v_pk_mul_f32 v[48:49], v[38:39], v[24:25] op_sel:[0,1]
	v_pk_fma_f32 v[50:51], v[34:35], v[42:43], v[26:27] op_sel:[0,0,1] op_sel_hi:[1,1,0] neg_lo:[0,0,1] neg_hi:[0,0,1]
	v_pk_fma_f32 v[26:27], v[34:35], v[42:43], v[26:27] op_sel:[0,0,1] op_sel_hi:[1,0,0]
	s_delay_alu instid0(VALU_DEP_1) | instskip(NEXT) | instid1(VALU_DEP_1)
	v_dual_mov_b32 v45, v40 :: v_dual_mov_b32 v51, v27
	v_pk_mul_f32 v[34:35], v[44:45], v[24:25] op_sel:[0,1]
	v_pk_fma_f32 v[44:45], v[36:37], v[42:43], v[46:47] op_sel:[0,0,1] op_sel_hi:[1,0,0]
	v_pk_fma_f32 v[36:37], v[36:37], v[42:43], v[46:47] op_sel:[0,0,1] op_sel_hi:[1,1,0] neg_lo:[0,0,1] neg_hi:[0,0,1]
	v_pk_fma_f32 v[46:47], v[38:39], v[42:43], v[48:49] op_sel:[0,0,1] op_sel_hi:[1,0,0]
	v_pk_fma_f32 v[38:39], v[38:39], v[42:43], v[48:49] op_sel:[0,0,1] op_sel_hi:[1,1,0] neg_lo:[0,0,1] neg_hi:[0,0,1]
	v_pk_fma_f32 v[26:27], v[40:41], v[42:43], v[34:35] op_sel_hi:[1,0,1]
	v_pk_fma_f32 v[34:35], v[40:41], v[42:43], v[34:35] neg_lo:[0,0,1] neg_hi:[0,0,1]
	s_delay_alu instid0(VALU_DEP_4) | instskip(SKIP_1) | instid1(VALU_DEP_4)
	v_dual_mov_b32 v37, v45 :: v_dual_mov_b32 v39, v47
	v_pk_add_f32 v[18:19], v[18:19], v[50:51] neg_lo:[0,1] neg_hi:[0,1]
	v_mov_b32_e32 v35, v27
	s_delay_alu instid0(VALU_DEP_3) | instskip(NEXT) | instid1(VALU_DEP_4)
	v_pk_add_f32 v[16:17], v[16:17], v[36:37] neg_lo:[0,1] neg_hi:[0,1]
	v_pk_add_f32 v[12:13], v[12:13], v[38:39] neg_lo:[0,1] neg_hi:[0,1]
	s_delay_alu instid0(VALU_DEP_3)
	v_pk_add_f32 v[20:21], v[20:21], v[34:35] neg_lo:[0,1] neg_hi:[0,1]
.LBB16_104:
	s_or_b32 exec_lo, exec_lo, s0
	v_lshl_add_u32 v24, v32, 3, v28
	s_barrier_signal -1
	s_barrier_wait -1
	ds_store_b64 v24, v[18:19]
	s_wait_dscnt 0x0
	s_barrier_signal -1
	s_barrier_wait -1
	ds_load_b64 v[24:25], v28 offset:40
	v_mov_b32_e32 v26, 5
	s_cmp_lt_i32 s14, 7
	s_cbranch_scc1 .LBB16_107
; %bb.105:
	v_add3_u32 v27, v29, 0, 48
	v_mov_b32_e32 v26, 5
	s_mov_b32 s0, 6
.LBB16_106:                             ; =>This Inner Loop Header: Depth=1
	ds_load_b64 v[34:35], v27
	s_wait_dscnt 0x1
	v_cmp_gt_f32_e32 vcc_lo, 0, v24
	v_cndmask_b32_e64 v36, v24, -v24, vcc_lo
	v_cmp_gt_f32_e32 vcc_lo, 0, v25
	v_cndmask_b32_e64 v38, v25, -v25, vcc_lo
	s_wait_dscnt 0x0
	v_cmp_gt_f32_e32 vcc_lo, 0, v34
	v_cndmask_b32_e64 v37, v34, -v34, vcc_lo
	v_cmp_gt_f32_e32 vcc_lo, 0, v35
	v_cndmask_b32_e64 v39, v35, -v35, vcc_lo
	s_delay_alu instid0(VALU_DEP_1) | instskip(NEXT) | instid1(VALU_DEP_1)
	v_pk_add_f32 v[36:37], v[36:37], v[38:39]
	v_cmp_lt_f32_e32 vcc_lo, v36, v37
	v_dual_cndmask_b32 v24, v24, v34 :: v_dual_add_nc_u32 v27, 8, v27
	v_cndmask_b32_e32 v25, v25, v35, vcc_lo
	v_cndmask_b32_e64 v26, v26, s0, vcc_lo
	s_add_co_i32 s0, s0, 1
	s_delay_alu instid0(SALU_CYCLE_1)
	s_cmp_lg_u32 s14, s0
	s_cbranch_scc1 .LBB16_106
.LBB16_107:
	s_wait_dscnt 0x0
	v_cmp_eq_f32_e32 vcc_lo, 0, v24
	v_cmp_eq_f32_e64 s0, 0, v25
	s_and_b32 s0, vcc_lo, s0
	s_delay_alu instid0(SALU_CYCLE_1) | instskip(NEXT) | instid1(SALU_CYCLE_1)
	s_and_saveexec_b32 s1, s0
	s_xor_b32 s0, exec_lo, s1
; %bb.108:
	v_cmp_ne_u32_e32 vcc_lo, 0, v31
	v_cndmask_b32_e32 v31, 6, v31, vcc_lo
; %bb.109:
	s_and_not1_saveexec_b32 s0, s0
	s_cbranch_execz .LBB16_115
; %bb.110:
	v_cmp_ngt_f32_e64 s1, |v24|, |v25|
	s_and_saveexec_b32 s15, s1
	s_delay_alu instid0(SALU_CYCLE_1)
	s_xor_b32 s1, exec_lo, s15
	s_cbranch_execz .LBB16_112
; %bb.111:
	v_div_scale_f32 v27, null, v25, v25, v24
	v_div_scale_f32 v35, vcc_lo, v24, v25, v24
	s_delay_alu instid0(VALU_DEP_2) | instskip(SKIP_1) | instid1(TRANS32_DEP_1)
	v_rcp_f32_e32 v33, v27
	v_nop
	v_fma_f32 v34, -v27, v33, 1.0
	s_delay_alu instid0(VALU_DEP_1) | instskip(NEXT) | instid1(VALU_DEP_1)
	v_fmac_f32_e32 v33, v34, v33
	v_mul_f32_e32 v34, v35, v33
	s_delay_alu instid0(VALU_DEP_1) | instskip(NEXT) | instid1(VALU_DEP_1)
	v_fma_f32 v36, -v27, v34, v35
	v_fmac_f32_e32 v34, v36, v33
	s_delay_alu instid0(VALU_DEP_1) | instskip(NEXT) | instid1(VALU_DEP_1)
	v_fma_f32 v27, -v27, v34, v35
	v_div_fmas_f32 v27, v27, v33, v34
	s_delay_alu instid0(VALU_DEP_1) | instskip(NEXT) | instid1(VALU_DEP_1)
	v_div_fixup_f32 v27, v27, v25, v24
	v_fmac_f32_e32 v25, v24, v27
	s_delay_alu instid0(VALU_DEP_1) | instskip(SKIP_1) | instid1(VALU_DEP_2)
	v_div_scale_f32 v24, null, v25, v25, 1.0
	v_div_scale_f32 v35, vcc_lo, 1.0, v25, 1.0
	v_rcp_f32_e32 v33, v24
	v_nop
	s_delay_alu instid0(TRANS32_DEP_1) | instskip(NEXT) | instid1(VALU_DEP_1)
	v_fma_f32 v34, -v24, v33, 1.0
	v_fmac_f32_e32 v33, v34, v33
	s_delay_alu instid0(VALU_DEP_1) | instskip(NEXT) | instid1(VALU_DEP_1)
	v_mul_f32_e32 v34, v35, v33
	v_fma_f32 v36, -v24, v34, v35
	s_delay_alu instid0(VALU_DEP_1) | instskip(NEXT) | instid1(VALU_DEP_1)
	v_fmac_f32_e32 v34, v36, v33
	v_fma_f32 v24, -v24, v34, v35
	s_delay_alu instid0(VALU_DEP_1) | instskip(NEXT) | instid1(VALU_DEP_1)
	v_div_fmas_f32 v24, v24, v33, v34
	v_div_fixup_f32 v25, v24, v25, 1.0
	s_delay_alu instid0(VALU_DEP_1)
	v_mul_f32_e32 v24, v27, v25
	v_xor_b32_e32 v25, 0x80000000, v25
.LBB16_112:
	s_and_not1_saveexec_b32 s1, s1
	s_cbranch_execz .LBB16_114
; %bb.113:
	s_delay_alu instid0(VALU_DEP_1) | instskip(SKIP_1) | instid1(VALU_DEP_2)
	v_div_scale_f32 v27, null, v24, v24, v25
	v_div_scale_f32 v35, vcc_lo, v25, v24, v25
	v_rcp_f32_e32 v33, v27
	v_nop
	s_delay_alu instid0(TRANS32_DEP_1) | instskip(NEXT) | instid1(VALU_DEP_1)
	v_fma_f32 v34, -v27, v33, 1.0
	v_fmac_f32_e32 v33, v34, v33
	s_delay_alu instid0(VALU_DEP_1) | instskip(NEXT) | instid1(VALU_DEP_1)
	v_mul_f32_e32 v34, v35, v33
	v_fma_f32 v36, -v27, v34, v35
	s_delay_alu instid0(VALU_DEP_1) | instskip(NEXT) | instid1(VALU_DEP_1)
	v_fmac_f32_e32 v34, v36, v33
	v_fma_f32 v27, -v27, v34, v35
	s_delay_alu instid0(VALU_DEP_1) | instskip(NEXT) | instid1(VALU_DEP_1)
	v_div_fmas_f32 v27, v27, v33, v34
	v_div_fixup_f32 v27, v27, v24, v25
	s_delay_alu instid0(VALU_DEP_1) | instskip(NEXT) | instid1(VALU_DEP_1)
	v_fmac_f32_e32 v24, v25, v27
	v_div_scale_f32 v25, null, v24, v24, 1.0
	s_delay_alu instid0(VALU_DEP_1) | instskip(SKIP_1) | instid1(TRANS32_DEP_1)
	v_rcp_f32_e32 v33, v25
	v_nop
	v_fma_f32 v34, -v25, v33, 1.0
	s_delay_alu instid0(VALU_DEP_1) | instskip(SKIP_1) | instid1(VALU_DEP_1)
	v_fmac_f32_e32 v33, v34, v33
	v_div_scale_f32 v34, vcc_lo, 1.0, v24, 1.0
	v_mul_f32_e32 v35, v34, v33
	s_delay_alu instid0(VALU_DEP_1) | instskip(NEXT) | instid1(VALU_DEP_1)
	v_fma_f32 v36, -v25, v35, v34
	v_fmac_f32_e32 v35, v36, v33
	s_delay_alu instid0(VALU_DEP_1) | instskip(NEXT) | instid1(VALU_DEP_1)
	v_fma_f32 v25, -v25, v35, v34
	v_div_fmas_f32 v25, v25, v33, v35
	s_delay_alu instid0(VALU_DEP_1) | instskip(NEXT) | instid1(VALU_DEP_1)
	v_div_fixup_f32 v24, v25, v24, 1.0
	v_mul_f32_e64 v25, v27, -v24
.LBB16_114:
	s_or_b32 exec_lo, exec_lo, s1
.LBB16_115:
	s_delay_alu instid0(SALU_CYCLE_1) | instskip(NEXT) | instid1(SALU_CYCLE_1)
	s_or_b32 exec_lo, exec_lo, s0
	s_mov_b32 s0, exec_lo
	v_cmpx_ne_u32_e64 v32, v26
	s_xor_b32 s0, exec_lo, s0
	s_cbranch_execz .LBB16_121
; %bb.116:
	s_mov_b32 s1, exec_lo
	v_cmpx_eq_u32_e32 5, v32
	s_cbranch_execz .LBB16_120
; %bb.117:
	v_cmp_ne_u32_e32 vcc_lo, 5, v26
	s_xor_b32 s15, s12, -1
	s_delay_alu instid0(SALU_CYCLE_1) | instskip(NEXT) | instid1(SALU_CYCLE_1)
	s_and_b32 s16, s15, vcc_lo
	s_and_saveexec_b32 s15, s16
	s_cbranch_execz .LBB16_119
; %bb.118:
	v_ashrrev_i32_e32 v27, 31, v26
	s_delay_alu instid0(VALU_DEP_1)
	v_lshl_add_u64 v[32:33], v[26:27], 2, v[22:23]
	s_clause 0x1
	global_load_b32 v27, v[32:33], off
	global_load_b32 v30, v[22:23], off offset:20
	s_wait_loadcnt 0x1
	global_store_b32 v[22:23], v27, off offset:20
	s_wait_loadcnt 0x0
	global_store_b32 v[32:33], v30, off
.LBB16_119:
	s_wait_xcnt 0x0
	s_or_b32 exec_lo, exec_lo, s15
	v_dual_mov_b32 v32, v26 :: v_dual_mov_b32 v30, v26
.LBB16_120:
	s_or_b32 exec_lo, exec_lo, s1
.LBB16_121:
	s_and_not1_saveexec_b32 s0, s0
	s_cbranch_execz .LBB16_123
; %bb.122:
	v_dual_mov_b32 v26, v16 :: v_dual_mov_b32 v27, v17
	v_dual_mov_b32 v34, v12 :: v_dual_mov_b32 v35, v13
	v_mov_b32_e32 v32, 5
	ds_store_2addr_b64 v28, v[26:27], v[34:35] offset0:6 offset1:7
	ds_store_b64 v28, v[20:21] offset:64
.LBB16_123:
	s_or_b32 exec_lo, exec_lo, s0
	s_delay_alu instid0(SALU_CYCLE_1)
	s_mov_b32 s0, exec_lo
	s_wait_storecnt_dscnt 0x0
	s_barrier_signal -1
	s_barrier_wait -1
	v_cmpx_lt_i32_e32 5, v32
	s_cbranch_execz .LBB16_125
; %bb.124:
	ds_load_2addr_b64 v[34:37], v28 offset0:6 offset1:7
	ds_load_b64 v[26:27], v28 offset:64
	v_pk_mul_f32 v[38:39], v[24:25], v[18:19] op_sel:[1,1] op_sel_hi:[0,1]
	s_delay_alu instid0(VALU_DEP_1) | instskip(SKIP_2) | instid1(VALU_DEP_2)
	v_pk_fma_f32 v[40:41], v[24:25], v[18:19], v[38:39] op_sel_hi:[1,0,1]
	v_pk_fma_f32 v[18:19], v[24:25], v[18:19], v[38:39] op_sel_hi:[1,0,1] neg_lo:[0,0,1] neg_hi:[0,0,1]
	s_wait_dscnt 0x1
	v_pk_mul_f32 v[24:25], v[34:35], v[40:41] op_sel:[0,1]
	v_pk_mul_f32 v[38:39], v[36:37], v[40:41] op_sel:[0,1]
	s_wait_dscnt 0x0
	v_pk_mul_f32 v[42:43], v[26:27], v[40:41] op_sel:[1,1] op_sel_hi:[0,1]
	s_delay_alu instid0(VALU_DEP_3) | instskip(SKIP_2) | instid1(VALU_DEP_4)
	v_pk_fma_f32 v[44:45], v[34:35], v[18:19], v[24:25] op_sel:[0,0,1] op_sel_hi:[1,1,0] neg_lo:[0,0,1] neg_hi:[0,0,1]
	v_pk_fma_f32 v[24:25], v[34:35], v[18:19], v[24:25] op_sel:[0,0,1] op_sel_hi:[1,0,0]
	v_pk_fma_f32 v[34:35], v[36:37], v[18:19], v[38:39] op_sel:[0,0,1] op_sel_hi:[1,0,0]
	v_pk_fma_f32 v[46:47], v[26:27], v[18:19], v[42:43] op_sel_hi:[1,0,1]
	v_pk_fma_f32 v[36:37], v[36:37], v[18:19], v[38:39] op_sel:[0,0,1] op_sel_hi:[1,1,0] neg_lo:[0,0,1] neg_hi:[0,0,1]
	v_pk_fma_f32 v[26:27], v[26:27], v[18:19], v[42:43] neg_lo:[0,0,1] neg_hi:[0,0,1]
	s_delay_alu instid0(VALU_DEP_4) | instskip(NEXT) | instid1(VALU_DEP_4)
	v_dual_mov_b32 v45, v25 :: v_dual_mov_b32 v37, v35
	v_dual_mov_b32 v27, v47 :: v_dual_mov_b32 v19, v41
	s_delay_alu instid0(VALU_DEP_2) | instskip(NEXT) | instid1(VALU_DEP_3)
	v_pk_add_f32 v[16:17], v[16:17], v[44:45] neg_lo:[0,1] neg_hi:[0,1]
	v_pk_add_f32 v[12:13], v[12:13], v[36:37] neg_lo:[0,1] neg_hi:[0,1]
	s_delay_alu instid0(VALU_DEP_3)
	v_pk_add_f32 v[20:21], v[20:21], v[26:27] neg_lo:[0,1] neg_hi:[0,1]
.LBB16_125:
	s_or_b32 exec_lo, exec_lo, s0
	v_lshl_add_u32 v24, v32, 3, v28
	s_barrier_signal -1
	s_barrier_wait -1
	ds_store_b64 v24, v[16:17]
	s_wait_dscnt 0x0
	s_barrier_signal -1
	s_barrier_wait -1
	ds_load_b64 v[24:25], v28 offset:48
	v_mov_b32_e32 v26, 6
	s_cmp_lt_i32 s14, 8
	s_cbranch_scc1 .LBB16_128
; %bb.126:
	v_add3_u32 v27, v29, 0, 56
	v_mov_b32_e32 v26, 6
	s_mov_b32 s0, 7
.LBB16_127:                             ; =>This Inner Loop Header: Depth=1
	ds_load_b64 v[34:35], v27
	s_wait_dscnt 0x1
	v_cmp_gt_f32_e32 vcc_lo, 0, v24
	v_cndmask_b32_e64 v36, v24, -v24, vcc_lo
	v_cmp_gt_f32_e32 vcc_lo, 0, v25
	v_cndmask_b32_e64 v38, v25, -v25, vcc_lo
	s_wait_dscnt 0x0
	v_cmp_gt_f32_e32 vcc_lo, 0, v34
	v_cndmask_b32_e64 v37, v34, -v34, vcc_lo
	v_cmp_gt_f32_e32 vcc_lo, 0, v35
	v_cndmask_b32_e64 v39, v35, -v35, vcc_lo
	s_delay_alu instid0(VALU_DEP_1) | instskip(NEXT) | instid1(VALU_DEP_1)
	v_pk_add_f32 v[36:37], v[36:37], v[38:39]
	v_cmp_lt_f32_e32 vcc_lo, v36, v37
	v_dual_cndmask_b32 v24, v24, v34 :: v_dual_add_nc_u32 v27, 8, v27
	v_cndmask_b32_e32 v25, v25, v35, vcc_lo
	v_cndmask_b32_e64 v26, v26, s0, vcc_lo
	s_add_co_i32 s0, s0, 1
	s_delay_alu instid0(SALU_CYCLE_1)
	s_cmp_lg_u32 s14, s0
	s_cbranch_scc1 .LBB16_127
.LBB16_128:
	s_wait_dscnt 0x0
	v_cmp_eq_f32_e32 vcc_lo, 0, v24
	v_cmp_eq_f32_e64 s0, 0, v25
	s_and_b32 s0, vcc_lo, s0
	s_delay_alu instid0(SALU_CYCLE_1) | instskip(NEXT) | instid1(SALU_CYCLE_1)
	s_and_saveexec_b32 s1, s0
	s_xor_b32 s0, exec_lo, s1
; %bb.129:
	v_cmp_ne_u32_e32 vcc_lo, 0, v31
	v_cndmask_b32_e32 v31, 7, v31, vcc_lo
; %bb.130:
	s_and_not1_saveexec_b32 s0, s0
	s_cbranch_execz .LBB16_136
; %bb.131:
	v_cmp_ngt_f32_e64 s1, |v24|, |v25|
	s_and_saveexec_b32 s15, s1
	s_delay_alu instid0(SALU_CYCLE_1)
	s_xor_b32 s1, exec_lo, s15
	s_cbranch_execz .LBB16_133
; %bb.132:
	v_div_scale_f32 v27, null, v25, v25, v24
	v_div_scale_f32 v35, vcc_lo, v24, v25, v24
	s_delay_alu instid0(VALU_DEP_2) | instskip(SKIP_1) | instid1(TRANS32_DEP_1)
	v_rcp_f32_e32 v33, v27
	v_nop
	v_fma_f32 v34, -v27, v33, 1.0
	s_delay_alu instid0(VALU_DEP_1) | instskip(NEXT) | instid1(VALU_DEP_1)
	v_fmac_f32_e32 v33, v34, v33
	v_mul_f32_e32 v34, v35, v33
	s_delay_alu instid0(VALU_DEP_1) | instskip(NEXT) | instid1(VALU_DEP_1)
	v_fma_f32 v36, -v27, v34, v35
	v_fmac_f32_e32 v34, v36, v33
	s_delay_alu instid0(VALU_DEP_1) | instskip(NEXT) | instid1(VALU_DEP_1)
	v_fma_f32 v27, -v27, v34, v35
	v_div_fmas_f32 v27, v27, v33, v34
	s_delay_alu instid0(VALU_DEP_1) | instskip(NEXT) | instid1(VALU_DEP_1)
	v_div_fixup_f32 v27, v27, v25, v24
	v_fmac_f32_e32 v25, v24, v27
	s_delay_alu instid0(VALU_DEP_1) | instskip(SKIP_1) | instid1(VALU_DEP_2)
	v_div_scale_f32 v24, null, v25, v25, 1.0
	v_div_scale_f32 v35, vcc_lo, 1.0, v25, 1.0
	v_rcp_f32_e32 v33, v24
	v_nop
	s_delay_alu instid0(TRANS32_DEP_1) | instskip(NEXT) | instid1(VALU_DEP_1)
	v_fma_f32 v34, -v24, v33, 1.0
	v_fmac_f32_e32 v33, v34, v33
	s_delay_alu instid0(VALU_DEP_1) | instskip(NEXT) | instid1(VALU_DEP_1)
	v_mul_f32_e32 v34, v35, v33
	v_fma_f32 v36, -v24, v34, v35
	s_delay_alu instid0(VALU_DEP_1) | instskip(NEXT) | instid1(VALU_DEP_1)
	v_fmac_f32_e32 v34, v36, v33
	v_fma_f32 v24, -v24, v34, v35
	s_delay_alu instid0(VALU_DEP_1) | instskip(NEXT) | instid1(VALU_DEP_1)
	v_div_fmas_f32 v24, v24, v33, v34
	v_div_fixup_f32 v25, v24, v25, 1.0
	s_delay_alu instid0(VALU_DEP_1)
	v_mul_f32_e32 v24, v27, v25
	v_xor_b32_e32 v25, 0x80000000, v25
.LBB16_133:
	s_and_not1_saveexec_b32 s1, s1
	s_cbranch_execz .LBB16_135
; %bb.134:
	s_delay_alu instid0(VALU_DEP_1) | instskip(SKIP_1) | instid1(VALU_DEP_2)
	v_div_scale_f32 v27, null, v24, v24, v25
	v_div_scale_f32 v35, vcc_lo, v25, v24, v25
	v_rcp_f32_e32 v33, v27
	v_nop
	s_delay_alu instid0(TRANS32_DEP_1) | instskip(NEXT) | instid1(VALU_DEP_1)
	v_fma_f32 v34, -v27, v33, 1.0
	v_fmac_f32_e32 v33, v34, v33
	s_delay_alu instid0(VALU_DEP_1) | instskip(NEXT) | instid1(VALU_DEP_1)
	v_mul_f32_e32 v34, v35, v33
	v_fma_f32 v36, -v27, v34, v35
	s_delay_alu instid0(VALU_DEP_1) | instskip(NEXT) | instid1(VALU_DEP_1)
	v_fmac_f32_e32 v34, v36, v33
	v_fma_f32 v27, -v27, v34, v35
	s_delay_alu instid0(VALU_DEP_1) | instskip(NEXT) | instid1(VALU_DEP_1)
	v_div_fmas_f32 v27, v27, v33, v34
	v_div_fixup_f32 v27, v27, v24, v25
	s_delay_alu instid0(VALU_DEP_1) | instskip(NEXT) | instid1(VALU_DEP_1)
	v_fmac_f32_e32 v24, v25, v27
	v_div_scale_f32 v25, null, v24, v24, 1.0
	s_delay_alu instid0(VALU_DEP_1) | instskip(SKIP_1) | instid1(TRANS32_DEP_1)
	v_rcp_f32_e32 v33, v25
	v_nop
	v_fma_f32 v34, -v25, v33, 1.0
	s_delay_alu instid0(VALU_DEP_1) | instskip(SKIP_1) | instid1(VALU_DEP_1)
	v_fmac_f32_e32 v33, v34, v33
	v_div_scale_f32 v34, vcc_lo, 1.0, v24, 1.0
	v_mul_f32_e32 v35, v34, v33
	s_delay_alu instid0(VALU_DEP_1) | instskip(NEXT) | instid1(VALU_DEP_1)
	v_fma_f32 v36, -v25, v35, v34
	v_fmac_f32_e32 v35, v36, v33
	s_delay_alu instid0(VALU_DEP_1) | instskip(NEXT) | instid1(VALU_DEP_1)
	v_fma_f32 v25, -v25, v35, v34
	v_div_fmas_f32 v25, v25, v33, v35
	s_delay_alu instid0(VALU_DEP_1) | instskip(NEXT) | instid1(VALU_DEP_1)
	v_div_fixup_f32 v24, v25, v24, 1.0
	v_mul_f32_e64 v25, v27, -v24
.LBB16_135:
	s_or_b32 exec_lo, exec_lo, s1
.LBB16_136:
	s_delay_alu instid0(SALU_CYCLE_1) | instskip(NEXT) | instid1(SALU_CYCLE_1)
	s_or_b32 exec_lo, exec_lo, s0
	s_mov_b32 s0, exec_lo
	v_cmpx_ne_u32_e64 v32, v26
	s_xor_b32 s0, exec_lo, s0
	s_cbranch_execz .LBB16_142
; %bb.137:
	s_mov_b32 s1, exec_lo
	v_cmpx_eq_u32_e32 6, v32
	s_cbranch_execz .LBB16_141
; %bb.138:
	v_cmp_ne_u32_e32 vcc_lo, 6, v26
	s_xor_b32 s15, s12, -1
	s_delay_alu instid0(SALU_CYCLE_1) | instskip(NEXT) | instid1(SALU_CYCLE_1)
	s_and_b32 s16, s15, vcc_lo
	s_and_saveexec_b32 s15, s16
	s_cbranch_execz .LBB16_140
; %bb.139:
	v_ashrrev_i32_e32 v27, 31, v26
	s_delay_alu instid0(VALU_DEP_1)
	v_lshl_add_u64 v[32:33], v[26:27], 2, v[22:23]
	s_clause 0x1
	global_load_b32 v27, v[32:33], off
	global_load_b32 v30, v[22:23], off offset:24
	s_wait_loadcnt 0x1
	global_store_b32 v[22:23], v27, off offset:24
	s_wait_loadcnt 0x0
	global_store_b32 v[32:33], v30, off
.LBB16_140:
	s_wait_xcnt 0x0
	s_or_b32 exec_lo, exec_lo, s15
	v_dual_mov_b32 v32, v26 :: v_dual_mov_b32 v30, v26
.LBB16_141:
	s_or_b32 exec_lo, exec_lo, s1
.LBB16_142:
	s_and_not1_saveexec_b32 s0, s0
; %bb.143:
	v_mov_b32_e32 v32, 6
	ds_store_2addr_b64 v28, v[12:13], v[20:21] offset0:7 offset1:8
; %bb.144:
	s_or_b32 exec_lo, exec_lo, s0
	s_delay_alu instid0(SALU_CYCLE_1)
	s_mov_b32 s0, exec_lo
	s_wait_storecnt_dscnt 0x0
	s_barrier_signal -1
	s_barrier_wait -1
	v_cmpx_lt_i32_e32 6, v32
	s_cbranch_execz .LBB16_146
; %bb.145:
	ds_load_2addr_b64 v[34:37], v28 offset0:7 offset1:8
	v_pk_mul_f32 v[26:27], v[24:25], v[16:17] op_sel:[1,1] op_sel_hi:[0,1]
	s_delay_alu instid0(VALU_DEP_1) | instskip(SKIP_3) | instid1(VALU_DEP_3)
	v_pk_fma_f32 v[38:39], v[24:25], v[16:17], v[26:27] op_sel_hi:[1,0,1]
	v_pk_fma_f32 v[16:17], v[24:25], v[16:17], v[26:27] op_sel_hi:[1,0,1] neg_lo:[0,0,1] neg_hi:[0,0,1]
	s_wait_dscnt 0x0
	v_dual_mov_b32 v40, v37 :: v_dual_mov_b32 v41, v36
	v_pk_mul_f32 v[24:25], v[34:35], v[38:39] op_sel:[0,1]
	s_delay_alu instid0(VALU_DEP_2) | instskip(NEXT) | instid1(VALU_DEP_2)
	v_pk_mul_f32 v[26:27], v[40:41], v[38:39] op_sel:[0,1]
	v_pk_fma_f32 v[40:41], v[34:35], v[16:17], v[24:25] op_sel:[0,0,1] op_sel_hi:[1,0,0]
	v_pk_fma_f32 v[24:25], v[34:35], v[16:17], v[24:25] op_sel:[0,0,1] op_sel_hi:[1,1,0] neg_lo:[0,0,1] neg_hi:[0,0,1]
	s_delay_alu instid0(VALU_DEP_3) | instskip(SKIP_1) | instid1(VALU_DEP_4)
	v_pk_fma_f32 v[42:43], v[36:37], v[16:17], v[26:27] op_sel_hi:[1,0,1]
	v_pk_fma_f32 v[26:27], v[36:37], v[16:17], v[26:27] neg_lo:[0,0,1] neg_hi:[0,0,1]
	v_dual_mov_b32 v25, v41 :: v_dual_mov_b32 v17, v39
	s_delay_alu instid0(VALU_DEP_3) | instskip(NEXT) | instid1(VALU_DEP_2)
	v_mov_b32_e32 v27, v43
	v_pk_add_f32 v[12:13], v[12:13], v[24:25] neg_lo:[0,1] neg_hi:[0,1]
	s_delay_alu instid0(VALU_DEP_2)
	v_pk_add_f32 v[20:21], v[20:21], v[26:27] neg_lo:[0,1] neg_hi:[0,1]
.LBB16_146:
	s_or_b32 exec_lo, exec_lo, s0
	v_lshl_add_u32 v24, v32, 3, v28
	s_barrier_signal -1
	s_barrier_wait -1
	ds_store_b64 v24, v[12:13]
	s_wait_dscnt 0x0
	s_barrier_signal -1
	s_barrier_wait -1
	ds_load_b64 v[24:25], v28 offset:56
	v_mov_b32_e32 v26, 7
	s_cmp_lt_i32 s14, 9
	s_cbranch_scc1 .LBB16_149
; %bb.147:
	v_add3_u32 v27, v29, 0, 64
	v_mov_b32_e32 v26, 7
	s_mov_b32 s0, 8
.LBB16_148:                             ; =>This Inner Loop Header: Depth=1
	ds_load_b64 v[34:35], v27
	s_wait_dscnt 0x1
	v_cmp_gt_f32_e32 vcc_lo, 0, v24
	v_cndmask_b32_e64 v36, v24, -v24, vcc_lo
	v_cmp_gt_f32_e32 vcc_lo, 0, v25
	v_cndmask_b32_e64 v38, v25, -v25, vcc_lo
	s_wait_dscnt 0x0
	v_cmp_gt_f32_e32 vcc_lo, 0, v34
	v_cndmask_b32_e64 v37, v34, -v34, vcc_lo
	v_cmp_gt_f32_e32 vcc_lo, 0, v35
	v_cndmask_b32_e64 v39, v35, -v35, vcc_lo
	s_delay_alu instid0(VALU_DEP_1) | instskip(NEXT) | instid1(VALU_DEP_1)
	v_pk_add_f32 v[36:37], v[36:37], v[38:39]
	v_cmp_lt_f32_e32 vcc_lo, v36, v37
	v_dual_cndmask_b32 v24, v24, v34 :: v_dual_add_nc_u32 v27, 8, v27
	v_cndmask_b32_e32 v25, v25, v35, vcc_lo
	v_cndmask_b32_e64 v26, v26, s0, vcc_lo
	s_add_co_i32 s0, s0, 1
	s_delay_alu instid0(SALU_CYCLE_1)
	s_cmp_lg_u32 s14, s0
	s_cbranch_scc1 .LBB16_148
.LBB16_149:
	s_wait_dscnt 0x0
	v_cmp_eq_f32_e32 vcc_lo, 0, v24
	v_cmp_eq_f32_e64 s0, 0, v25
	s_and_b32 s0, vcc_lo, s0
	s_delay_alu instid0(SALU_CYCLE_1) | instskip(NEXT) | instid1(SALU_CYCLE_1)
	s_and_saveexec_b32 s1, s0
	s_xor_b32 s0, exec_lo, s1
; %bb.150:
	v_cmp_ne_u32_e32 vcc_lo, 0, v31
	v_cndmask_b32_e32 v31, 8, v31, vcc_lo
; %bb.151:
	s_and_not1_saveexec_b32 s0, s0
	s_cbranch_execz .LBB16_157
; %bb.152:
	v_cmp_ngt_f32_e64 s1, |v24|, |v25|
	s_and_saveexec_b32 s15, s1
	s_delay_alu instid0(SALU_CYCLE_1)
	s_xor_b32 s1, exec_lo, s15
	s_cbranch_execz .LBB16_154
; %bb.153:
	v_div_scale_f32 v27, null, v25, v25, v24
	v_div_scale_f32 v35, vcc_lo, v24, v25, v24
	s_delay_alu instid0(VALU_DEP_2) | instskip(SKIP_1) | instid1(TRANS32_DEP_1)
	v_rcp_f32_e32 v33, v27
	v_nop
	v_fma_f32 v34, -v27, v33, 1.0
	s_delay_alu instid0(VALU_DEP_1) | instskip(NEXT) | instid1(VALU_DEP_1)
	v_fmac_f32_e32 v33, v34, v33
	v_mul_f32_e32 v34, v35, v33
	s_delay_alu instid0(VALU_DEP_1) | instskip(NEXT) | instid1(VALU_DEP_1)
	v_fma_f32 v36, -v27, v34, v35
	v_fmac_f32_e32 v34, v36, v33
	s_delay_alu instid0(VALU_DEP_1) | instskip(NEXT) | instid1(VALU_DEP_1)
	v_fma_f32 v27, -v27, v34, v35
	v_div_fmas_f32 v27, v27, v33, v34
	s_delay_alu instid0(VALU_DEP_1) | instskip(NEXT) | instid1(VALU_DEP_1)
	v_div_fixup_f32 v27, v27, v25, v24
	v_fmac_f32_e32 v25, v24, v27
	s_delay_alu instid0(VALU_DEP_1) | instskip(SKIP_1) | instid1(VALU_DEP_2)
	v_div_scale_f32 v24, null, v25, v25, 1.0
	v_div_scale_f32 v35, vcc_lo, 1.0, v25, 1.0
	v_rcp_f32_e32 v33, v24
	v_nop
	s_delay_alu instid0(TRANS32_DEP_1) | instskip(NEXT) | instid1(VALU_DEP_1)
	v_fma_f32 v34, -v24, v33, 1.0
	v_fmac_f32_e32 v33, v34, v33
	s_delay_alu instid0(VALU_DEP_1) | instskip(NEXT) | instid1(VALU_DEP_1)
	v_mul_f32_e32 v34, v35, v33
	v_fma_f32 v36, -v24, v34, v35
	s_delay_alu instid0(VALU_DEP_1) | instskip(NEXT) | instid1(VALU_DEP_1)
	v_fmac_f32_e32 v34, v36, v33
	v_fma_f32 v24, -v24, v34, v35
	s_delay_alu instid0(VALU_DEP_1) | instskip(NEXT) | instid1(VALU_DEP_1)
	v_div_fmas_f32 v24, v24, v33, v34
	v_div_fixup_f32 v25, v24, v25, 1.0
	s_delay_alu instid0(VALU_DEP_1)
	v_mul_f32_e32 v24, v27, v25
	v_xor_b32_e32 v25, 0x80000000, v25
.LBB16_154:
	s_and_not1_saveexec_b32 s1, s1
	s_cbranch_execz .LBB16_156
; %bb.155:
	s_delay_alu instid0(VALU_DEP_1) | instskip(SKIP_1) | instid1(VALU_DEP_2)
	v_div_scale_f32 v27, null, v24, v24, v25
	v_div_scale_f32 v35, vcc_lo, v25, v24, v25
	v_rcp_f32_e32 v33, v27
	v_nop
	s_delay_alu instid0(TRANS32_DEP_1) | instskip(NEXT) | instid1(VALU_DEP_1)
	v_fma_f32 v34, -v27, v33, 1.0
	v_fmac_f32_e32 v33, v34, v33
	s_delay_alu instid0(VALU_DEP_1) | instskip(NEXT) | instid1(VALU_DEP_1)
	v_mul_f32_e32 v34, v35, v33
	v_fma_f32 v36, -v27, v34, v35
	s_delay_alu instid0(VALU_DEP_1) | instskip(NEXT) | instid1(VALU_DEP_1)
	v_fmac_f32_e32 v34, v36, v33
	v_fma_f32 v27, -v27, v34, v35
	s_delay_alu instid0(VALU_DEP_1) | instskip(NEXT) | instid1(VALU_DEP_1)
	v_div_fmas_f32 v27, v27, v33, v34
	v_div_fixup_f32 v27, v27, v24, v25
	s_delay_alu instid0(VALU_DEP_1) | instskip(NEXT) | instid1(VALU_DEP_1)
	v_fmac_f32_e32 v24, v25, v27
	v_div_scale_f32 v25, null, v24, v24, 1.0
	s_delay_alu instid0(VALU_DEP_1) | instskip(SKIP_1) | instid1(TRANS32_DEP_1)
	v_rcp_f32_e32 v33, v25
	v_nop
	v_fma_f32 v34, -v25, v33, 1.0
	s_delay_alu instid0(VALU_DEP_1) | instskip(SKIP_1) | instid1(VALU_DEP_1)
	v_fmac_f32_e32 v33, v34, v33
	v_div_scale_f32 v34, vcc_lo, 1.0, v24, 1.0
	v_mul_f32_e32 v35, v34, v33
	s_delay_alu instid0(VALU_DEP_1) | instskip(NEXT) | instid1(VALU_DEP_1)
	v_fma_f32 v36, -v25, v35, v34
	v_fmac_f32_e32 v35, v36, v33
	s_delay_alu instid0(VALU_DEP_1) | instskip(NEXT) | instid1(VALU_DEP_1)
	v_fma_f32 v25, -v25, v35, v34
	v_div_fmas_f32 v25, v25, v33, v35
	s_delay_alu instid0(VALU_DEP_1) | instskip(NEXT) | instid1(VALU_DEP_1)
	v_div_fixup_f32 v24, v25, v24, 1.0
	v_mul_f32_e64 v25, v27, -v24
.LBB16_156:
	s_or_b32 exec_lo, exec_lo, s1
.LBB16_157:
	s_delay_alu instid0(SALU_CYCLE_1) | instskip(NEXT) | instid1(SALU_CYCLE_1)
	s_or_b32 exec_lo, exec_lo, s0
	s_mov_b32 s0, exec_lo
	v_cmpx_ne_u32_e64 v32, v26
	s_xor_b32 s0, exec_lo, s0
	s_cbranch_execz .LBB16_163
; %bb.158:
	s_mov_b32 s1, exec_lo
	v_cmpx_eq_u32_e32 7, v32
	s_cbranch_execz .LBB16_162
; %bb.159:
	v_cmp_ne_u32_e32 vcc_lo, 7, v26
	s_xor_b32 s15, s12, -1
	s_delay_alu instid0(SALU_CYCLE_1) | instskip(NEXT) | instid1(SALU_CYCLE_1)
	s_and_b32 s16, s15, vcc_lo
	s_and_saveexec_b32 s15, s16
	s_cbranch_execz .LBB16_161
; %bb.160:
	v_ashrrev_i32_e32 v27, 31, v26
	s_delay_alu instid0(VALU_DEP_1)
	v_lshl_add_u64 v[32:33], v[26:27], 2, v[22:23]
	s_clause 0x1
	global_load_b32 v27, v[32:33], off
	global_load_b32 v30, v[22:23], off offset:28
	s_wait_loadcnt 0x1
	global_store_b32 v[22:23], v27, off offset:28
	s_wait_loadcnt 0x0
	global_store_b32 v[32:33], v30, off
.LBB16_161:
	s_wait_xcnt 0x0
	s_or_b32 exec_lo, exec_lo, s15
	v_dual_mov_b32 v32, v26 :: v_dual_mov_b32 v30, v26
.LBB16_162:
	s_or_b32 exec_lo, exec_lo, s1
.LBB16_163:
	s_and_not1_saveexec_b32 s0, s0
; %bb.164:
	v_mov_b32_e32 v32, 7
	ds_store_b64 v28, v[20:21] offset:64
; %bb.165:
	s_or_b32 exec_lo, exec_lo, s0
	s_delay_alu instid0(SALU_CYCLE_1)
	s_mov_b32 s0, exec_lo
	s_wait_storecnt_dscnt 0x0
	s_barrier_signal -1
	s_barrier_wait -1
	v_cmpx_lt_i32_e32 7, v32
	s_cbranch_execz .LBB16_167
; %bb.166:
	ds_load_b64 v[26:27], v28 offset:64
	v_pk_mul_f32 v[34:35], v[24:25], v[12:13] op_sel:[1,1] op_sel_hi:[0,1]
	s_delay_alu instid0(VALU_DEP_1) | instskip(SKIP_2) | instid1(VALU_DEP_2)
	v_pk_fma_f32 v[36:37], v[24:25], v[12:13], v[34:35] op_sel_hi:[1,0,1]
	v_pk_fma_f32 v[12:13], v[24:25], v[12:13], v[34:35] op_sel_hi:[1,0,1] neg_lo:[0,0,1] neg_hi:[0,0,1]
	s_wait_dscnt 0x0
	v_pk_mul_f32 v[24:25], v[26:27], v[36:37] op_sel:[1,1] op_sel_hi:[0,1]
	s_delay_alu instid0(VALU_DEP_1) | instskip(SKIP_1) | instid1(VALU_DEP_2)
	v_pk_fma_f32 v[34:35], v[26:27], v[12:13], v[24:25] op_sel_hi:[1,0,1]
	v_pk_fma_f32 v[24:25], v[26:27], v[12:13], v[24:25] neg_lo:[0,0,1] neg_hi:[0,0,1]
	v_dual_mov_b32 v13, v37 :: v_dual_mov_b32 v25, v35
	s_delay_alu instid0(VALU_DEP_1)
	v_pk_add_f32 v[20:21], v[20:21], v[24:25] neg_lo:[0,1] neg_hi:[0,1]
.LBB16_167:
	s_or_b32 exec_lo, exec_lo, s0
	v_lshl_add_u32 v24, v32, 3, v28
	s_barrier_signal -1
	s_barrier_wait -1
	ds_store_b64 v24, v[20:21]
	s_wait_dscnt 0x0
	s_barrier_signal -1
	s_barrier_wait -1
	ds_load_b64 v[24:25], v28 offset:64
	v_mov_b32_e32 v26, 8
	s_cmp_lt_i32 s14, 10
	s_cbranch_scc1 .LBB16_170
; %bb.168:
	v_add3_u32 v27, v29, 0, 0x48
	v_mov_b32_e32 v26, 8
	s_mov_b32 s0, 9
.LBB16_169:                             ; =>This Inner Loop Header: Depth=1
	ds_load_b64 v[28:29], v27
	s_wait_dscnt 0x1
	v_cmp_gt_f32_e32 vcc_lo, 0, v24
	v_cndmask_b32_e64 v34, v24, -v24, vcc_lo
	v_cmp_gt_f32_e32 vcc_lo, 0, v25
	v_cndmask_b32_e64 v36, v25, -v25, vcc_lo
	s_wait_dscnt 0x0
	v_cmp_gt_f32_e32 vcc_lo, 0, v28
	v_cndmask_b32_e64 v35, v28, -v28, vcc_lo
	v_cmp_gt_f32_e32 vcc_lo, 0, v29
	v_cndmask_b32_e64 v37, v29, -v29, vcc_lo
	s_delay_alu instid0(VALU_DEP_1) | instskip(NEXT) | instid1(VALU_DEP_1)
	v_pk_add_f32 v[34:35], v[34:35], v[36:37]
	v_cmp_lt_f32_e32 vcc_lo, v34, v35
	v_dual_add_nc_u32 v27, 8, v27 :: v_dual_cndmask_b32 v25, v25, v29, vcc_lo
	v_cndmask_b32_e32 v24, v24, v28, vcc_lo
	v_cndmask_b32_e64 v26, v26, s0, vcc_lo
	s_add_co_i32 s0, s0, 1
	s_delay_alu instid0(SALU_CYCLE_1)
	s_cmp_lg_u32 s14, s0
	s_cbranch_scc1 .LBB16_169
.LBB16_170:
	s_wait_dscnt 0x0
	v_cmp_eq_f32_e32 vcc_lo, 0, v24
	v_cmp_eq_f32_e64 s0, 0, v25
	s_and_b32 s0, vcc_lo, s0
	s_delay_alu instid0(SALU_CYCLE_1) | instskip(NEXT) | instid1(SALU_CYCLE_1)
	s_and_saveexec_b32 s1, s0
	s_xor_b32 s0, exec_lo, s1
; %bb.171:
	v_cmp_ne_u32_e32 vcc_lo, 0, v31
	v_cndmask_b32_e32 v31, 9, v31, vcc_lo
; %bb.172:
	s_and_not1_saveexec_b32 s0, s0
	s_cbranch_execz .LBB16_178
; %bb.173:
	v_cmp_ngt_f32_e64 s1, |v24|, |v25|
	s_and_saveexec_b32 s14, s1
	s_delay_alu instid0(SALU_CYCLE_1)
	s_xor_b32 s1, exec_lo, s14
	s_cbranch_execz .LBB16_175
; %bb.174:
	v_div_scale_f32 v27, null, v25, v25, v24
	v_div_scale_f32 v33, vcc_lo, v24, v25, v24
	s_delay_alu instid0(VALU_DEP_2) | instskip(SKIP_1) | instid1(TRANS32_DEP_1)
	v_rcp_f32_e32 v28, v27
	v_nop
	v_fma_f32 v29, -v27, v28, 1.0
	s_delay_alu instid0(VALU_DEP_1) | instskip(NEXT) | instid1(VALU_DEP_1)
	v_fmac_f32_e32 v28, v29, v28
	v_mul_f32_e32 v29, v33, v28
	s_delay_alu instid0(VALU_DEP_1) | instskip(NEXT) | instid1(VALU_DEP_1)
	v_fma_f32 v34, -v27, v29, v33
	v_fmac_f32_e32 v29, v34, v28
	s_delay_alu instid0(VALU_DEP_1) | instskip(NEXT) | instid1(VALU_DEP_1)
	v_fma_f32 v27, -v27, v29, v33
	v_div_fmas_f32 v27, v27, v28, v29
	s_delay_alu instid0(VALU_DEP_1) | instskip(NEXT) | instid1(VALU_DEP_1)
	v_div_fixup_f32 v27, v27, v25, v24
	v_fmac_f32_e32 v25, v24, v27
	s_delay_alu instid0(VALU_DEP_1) | instskip(SKIP_1) | instid1(VALU_DEP_2)
	v_div_scale_f32 v24, null, v25, v25, 1.0
	v_div_scale_f32 v33, vcc_lo, 1.0, v25, 1.0
	v_rcp_f32_e32 v28, v24
	v_nop
	s_delay_alu instid0(TRANS32_DEP_1) | instskip(NEXT) | instid1(VALU_DEP_1)
	v_fma_f32 v29, -v24, v28, 1.0
	v_fmac_f32_e32 v28, v29, v28
	s_delay_alu instid0(VALU_DEP_1) | instskip(NEXT) | instid1(VALU_DEP_1)
	v_mul_f32_e32 v29, v33, v28
	v_fma_f32 v34, -v24, v29, v33
	s_delay_alu instid0(VALU_DEP_1) | instskip(NEXT) | instid1(VALU_DEP_1)
	v_fmac_f32_e32 v29, v34, v28
	v_fma_f32 v24, -v24, v29, v33
	s_delay_alu instid0(VALU_DEP_1) | instskip(NEXT) | instid1(VALU_DEP_1)
	v_div_fmas_f32 v24, v24, v28, v29
	v_div_fixup_f32 v25, v24, v25, 1.0
	s_delay_alu instid0(VALU_DEP_1)
	v_mul_f32_e32 v24, v27, v25
	v_xor_b32_e32 v25, 0x80000000, v25
.LBB16_175:
	s_and_not1_saveexec_b32 s1, s1
	s_cbranch_execz .LBB16_177
; %bb.176:
	s_delay_alu instid0(VALU_DEP_1) | instskip(SKIP_1) | instid1(VALU_DEP_2)
	v_div_scale_f32 v27, null, v24, v24, v25
	v_div_scale_f32 v33, vcc_lo, v25, v24, v25
	v_rcp_f32_e32 v28, v27
	v_nop
	s_delay_alu instid0(TRANS32_DEP_1) | instskip(NEXT) | instid1(VALU_DEP_1)
	v_fma_f32 v29, -v27, v28, 1.0
	v_fmac_f32_e32 v28, v29, v28
	s_delay_alu instid0(VALU_DEP_1) | instskip(NEXT) | instid1(VALU_DEP_1)
	v_mul_f32_e32 v29, v33, v28
	v_fma_f32 v34, -v27, v29, v33
	s_delay_alu instid0(VALU_DEP_1) | instskip(NEXT) | instid1(VALU_DEP_1)
	v_fmac_f32_e32 v29, v34, v28
	v_fma_f32 v27, -v27, v29, v33
	s_delay_alu instid0(VALU_DEP_1) | instskip(NEXT) | instid1(VALU_DEP_1)
	v_div_fmas_f32 v27, v27, v28, v29
	v_div_fixup_f32 v27, v27, v24, v25
	s_delay_alu instid0(VALU_DEP_1) | instskip(NEXT) | instid1(VALU_DEP_1)
	v_fmac_f32_e32 v24, v25, v27
	v_div_scale_f32 v25, null, v24, v24, 1.0
	s_delay_alu instid0(VALU_DEP_1) | instskip(SKIP_1) | instid1(TRANS32_DEP_1)
	v_rcp_f32_e32 v28, v25
	v_nop
	v_fma_f32 v29, -v25, v28, 1.0
	s_delay_alu instid0(VALU_DEP_1) | instskip(SKIP_1) | instid1(VALU_DEP_1)
	v_fmac_f32_e32 v28, v29, v28
	v_div_scale_f32 v29, vcc_lo, 1.0, v24, 1.0
	v_mul_f32_e32 v33, v29, v28
	s_delay_alu instid0(VALU_DEP_1) | instskip(NEXT) | instid1(VALU_DEP_1)
	v_fma_f32 v34, -v25, v33, v29
	v_fmac_f32_e32 v33, v34, v28
	s_delay_alu instid0(VALU_DEP_1) | instskip(NEXT) | instid1(VALU_DEP_1)
	v_fma_f32 v25, -v25, v33, v29
	v_div_fmas_f32 v25, v25, v28, v33
	s_delay_alu instid0(VALU_DEP_1) | instskip(NEXT) | instid1(VALU_DEP_1)
	v_div_fixup_f32 v24, v25, v24, 1.0
	v_mul_f32_e64 v25, v27, -v24
.LBB16_177:
	s_or_b32 exec_lo, exec_lo, s1
.LBB16_178:
	s_delay_alu instid0(SALU_CYCLE_1)
	s_or_b32 exec_lo, exec_lo, s0
	v_mov_b32_e32 v28, 8
	s_mov_b32 s0, exec_lo
	v_cmpx_ne_u32_e64 v32, v26
	s_cbranch_execz .LBB16_184
; %bb.179:
	s_mov_b32 s1, exec_lo
	v_cmpx_eq_u32_e32 8, v32
	s_cbranch_execz .LBB16_183
; %bb.180:
	v_cmp_ne_u32_e32 vcc_lo, 8, v26
	s_xor_b32 s12, s12, -1
	s_delay_alu instid0(SALU_CYCLE_1) | instskip(NEXT) | instid1(SALU_CYCLE_1)
	s_and_b32 s14, s12, vcc_lo
	s_and_saveexec_b32 s12, s14
	s_cbranch_execz .LBB16_182
; %bb.181:
	v_ashrrev_i32_e32 v27, 31, v26
	s_delay_alu instid0(VALU_DEP_1)
	v_lshl_add_u64 v[28:29], v[26:27], 2, v[22:23]
	s_clause 0x1
	global_load_b32 v27, v[28:29], off
	global_load_b32 v30, v[22:23], off offset:32
	s_wait_loadcnt 0x1
	global_store_b32 v[22:23], v27, off offset:32
	s_wait_loadcnt 0x0
	global_store_b32 v[28:29], v30, off
.LBB16_182:
	s_wait_xcnt 0x0
	s_or_b32 exec_lo, exec_lo, s12
	v_dual_mov_b32 v32, v26 :: v_dual_mov_b32 v30, v26
.LBB16_183:
	s_or_b32 exec_lo, exec_lo, s1
	s_delay_alu instid0(VALU_DEP_1)
	v_mov_b32_e32 v28, v32
.LBB16_184:
	s_or_b32 exec_lo, exec_lo, s0
	s_delay_alu instid0(VALU_DEP_1)
	v_ashrrev_i32_e32 v29, 31, v28
	s_mov_b32 s0, exec_lo
	s_wait_storecnt 0x0
	s_barrier_signal -1
	s_barrier_wait -1
	s_barrier_signal -1
	s_barrier_wait -1
	v_cmpx_gt_i32_e32 9, v28
	s_cbranch_execz .LBB16_186
; %bb.185:
	v_mul_u64_e32 v[22:23], s[10:11], v[2:3]
	v_add3_u32 v26, v30, s13, 1
	s_delay_alu instid0(VALU_DEP_2) | instskip(NEXT) | instid1(VALU_DEP_1)
	v_lshl_add_u64 v[22:23], v[22:23], 2, s[6:7]
	v_lshl_add_u64 v[22:23], s[8:9], 2, v[22:23]
	s_delay_alu instid0(VALU_DEP_1)
	v_lshl_add_u64 v[22:23], v[28:29], 2, v[22:23]
	global_store_b32 v[22:23], v26, off
.LBB16_186:
	s_wait_xcnt 0x0
	s_or_b32 exec_lo, exec_lo, s0
	s_delay_alu instid0(SALU_CYCLE_1)
	s_mov_b32 s1, exec_lo
	v_cmpx_eq_u32_e32 0, v28
	s_cbranch_execz .LBB16_189
; %bb.187:
	s_wait_kmcnt 0x0
	v_lshl_add_u64 v[2:3], v[2:3], 2, s[4:5]
	v_cmp_ne_u32_e64 s0, 0, v31
	global_load_b32 v22, v[2:3], off
	s_wait_loadcnt 0x0
	v_cmp_eq_u32_e32 vcc_lo, 0, v22
	s_and_b32 s0, vcc_lo, s0
	s_wait_xcnt 0x0
	s_and_b32 exec_lo, exec_lo, s0
	s_cbranch_execz .LBB16_189
; %bb.188:
	v_add_nc_u32_e32 v22, s13, v31
	global_store_b32 v[2:3], v22, off
.LBB16_189:
	s_wait_xcnt 0x0
	s_or_b32 exec_lo, exec_lo, s1
	v_add3_u32 v2, s2, s2, v28
	v_pk_mul_f32 v[26:27], v[24:25], v[20:21] op_sel:[1,1] op_sel_hi:[0,1]
	v_cmp_lt_i32_e32 vcc_lo, 8, v28
	v_lshl_add_u64 v[28:29], v[28:29], 3, v[0:1]
	s_delay_alu instid0(VALU_DEP_3) | instskip(SKIP_2) | instid1(VALU_DEP_2)
	v_pk_fma_f32 v[32:33], v[24:25], v[20:21], v[26:27] op_sel_hi:[1,0,1]
	v_add_nc_u32_e32 v22, s2, v2
	v_pk_fma_f32 v[24:25], v[24:25], v[20:21], v[26:27] neg_lo:[0,0,1] neg_hi:[0,0,1]
	v_dual_cndmask_b32 v21, v21, v33 :: v_dual_add_nc_u32 v30, s2, v22
	s_delay_alu instid0(VALU_DEP_2) | instskip(SKIP_1) | instid1(VALU_DEP_3)
	v_dual_cndmask_b32 v20, v20, v24 :: v_dual_ashrrev_i32 v23, 31, v22
	v_lshl_add_u64 v[24:25], s[2:3], 3, v[28:29]
	v_add_nc_u32_e32 v26, s2, v30
	s_delay_alu instid0(VALU_DEP_3) | instskip(SKIP_1) | instid1(VALU_DEP_3)
	v_lshl_add_u64 v[22:23], v[22:23], 3, v[0:1]
	v_ashrrev_i32_e32 v31, 31, v30
	v_dual_add_nc_u32 v32, s2, v26 :: v_dual_ashrrev_i32 v27, 31, v26
	s_delay_alu instid0(VALU_DEP_1) | instskip(SKIP_1) | instid1(VALU_DEP_2)
	v_dual_ashrrev_i32 v3, 31, v2 :: v_dual_add_nc_u32 v34, s2, v32
	v_ashrrev_i32_e32 v33, 31, v32
	v_lshl_add_u64 v[2:3], v[2:3], 3, v[0:1]
	s_clause 0x3
	global_store_b64 v[28:29], v[10:11], off
	global_store_b64 v[24:25], v[14:15], off
	;; [unrolled: 1-line block ×4, first 2 shown]
	s_wait_xcnt 0x1
	v_dual_add_nc_u32 v2, s2, v34 :: v_dual_ashrrev_i32 v35, 31, v34
	s_wait_xcnt 0x0
	v_lshl_add_u64 v[4:5], v[30:31], 3, v[0:1]
	v_lshl_add_u64 v[6:7], v[26:27], 3, v[0:1]
	;; [unrolled: 1-line block ×3, first 2 shown]
	v_ashrrev_i32_e32 v3, 31, v2
	v_lshl_add_u64 v[14:15], v[34:35], 3, v[0:1]
	s_delay_alu instid0(VALU_DEP_2)
	v_lshl_add_u64 v[0:1], v[2:3], 3, v[0:1]
	s_clause 0x4
	global_store_b64 v[4:5], v[8:9], off
	global_store_b64 v[6:7], v[18:19], off
	;; [unrolled: 1-line block ×5, first 2 shown]
.LBB16_190:
	s_sendmsg sendmsg(MSG_DEALLOC_VGPRS)
	s_endpgm
	.section	.rodata,"a",@progbits
	.p2align	6, 0x0
	.amdhsa_kernel _ZN9rocsolver6v33100L18getf2_small_kernelILi9E19rocblas_complex_numIfEiiPS3_EEvT1_T3_lS5_lPS5_llPT2_S5_S5_S7_l
		.amdhsa_group_segment_fixed_size 0
		.amdhsa_private_segment_fixed_size 0
		.amdhsa_kernarg_size 352
		.amdhsa_user_sgpr_count 2
		.amdhsa_user_sgpr_dispatch_ptr 0
		.amdhsa_user_sgpr_queue_ptr 0
		.amdhsa_user_sgpr_kernarg_segment_ptr 1
		.amdhsa_user_sgpr_dispatch_id 0
		.amdhsa_user_sgpr_kernarg_preload_length 0
		.amdhsa_user_sgpr_kernarg_preload_offset 0
		.amdhsa_user_sgpr_private_segment_size 0
		.amdhsa_wavefront_size32 1
		.amdhsa_uses_dynamic_stack 0
		.amdhsa_enable_private_segment 0
		.amdhsa_system_sgpr_workgroup_id_x 1
		.amdhsa_system_sgpr_workgroup_id_y 1
		.amdhsa_system_sgpr_workgroup_id_z 0
		.amdhsa_system_sgpr_workgroup_info 0
		.amdhsa_system_vgpr_workitem_id 1
		.amdhsa_next_free_vgpr 66
		.amdhsa_next_free_sgpr 20
		.amdhsa_named_barrier_count 0
		.amdhsa_reserve_vcc 1
		.amdhsa_float_round_mode_32 0
		.amdhsa_float_round_mode_16_64 0
		.amdhsa_float_denorm_mode_32 3
		.amdhsa_float_denorm_mode_16_64 3
		.amdhsa_fp16_overflow 0
		.amdhsa_memory_ordered 1
		.amdhsa_forward_progress 1
		.amdhsa_inst_pref_size 91
		.amdhsa_round_robin_scheduling 0
		.amdhsa_exception_fp_ieee_invalid_op 0
		.amdhsa_exception_fp_denorm_src 0
		.amdhsa_exception_fp_ieee_div_zero 0
		.amdhsa_exception_fp_ieee_overflow 0
		.amdhsa_exception_fp_ieee_underflow 0
		.amdhsa_exception_fp_ieee_inexact 0
		.amdhsa_exception_int_div_zero 0
	.end_amdhsa_kernel
	.section	.text._ZN9rocsolver6v33100L18getf2_small_kernelILi9E19rocblas_complex_numIfEiiPS3_EEvT1_T3_lS5_lPS5_llPT2_S5_S5_S7_l,"axG",@progbits,_ZN9rocsolver6v33100L18getf2_small_kernelILi9E19rocblas_complex_numIfEiiPS3_EEvT1_T3_lS5_lPS5_llPT2_S5_S5_S7_l,comdat
.Lfunc_end16:
	.size	_ZN9rocsolver6v33100L18getf2_small_kernelILi9E19rocblas_complex_numIfEiiPS3_EEvT1_T3_lS5_lPS5_llPT2_S5_S5_S7_l, .Lfunc_end16-_ZN9rocsolver6v33100L18getf2_small_kernelILi9E19rocblas_complex_numIfEiiPS3_EEvT1_T3_lS5_lPS5_llPT2_S5_S5_S7_l
                                        ; -- End function
	.set _ZN9rocsolver6v33100L18getf2_small_kernelILi9E19rocblas_complex_numIfEiiPS3_EEvT1_T3_lS5_lPS5_llPT2_S5_S5_S7_l.num_vgpr, 66
	.set _ZN9rocsolver6v33100L18getf2_small_kernelILi9E19rocblas_complex_numIfEiiPS3_EEvT1_T3_lS5_lPS5_llPT2_S5_S5_S7_l.num_agpr, 0
	.set _ZN9rocsolver6v33100L18getf2_small_kernelILi9E19rocblas_complex_numIfEiiPS3_EEvT1_T3_lS5_lPS5_llPT2_S5_S5_S7_l.numbered_sgpr, 20
	.set _ZN9rocsolver6v33100L18getf2_small_kernelILi9E19rocblas_complex_numIfEiiPS3_EEvT1_T3_lS5_lPS5_llPT2_S5_S5_S7_l.num_named_barrier, 0
	.set _ZN9rocsolver6v33100L18getf2_small_kernelILi9E19rocblas_complex_numIfEiiPS3_EEvT1_T3_lS5_lPS5_llPT2_S5_S5_S7_l.private_seg_size, 0
	.set _ZN9rocsolver6v33100L18getf2_small_kernelILi9E19rocblas_complex_numIfEiiPS3_EEvT1_T3_lS5_lPS5_llPT2_S5_S5_S7_l.uses_vcc, 1
	.set _ZN9rocsolver6v33100L18getf2_small_kernelILi9E19rocblas_complex_numIfEiiPS3_EEvT1_T3_lS5_lPS5_llPT2_S5_S5_S7_l.uses_flat_scratch, 0
	.set _ZN9rocsolver6v33100L18getf2_small_kernelILi9E19rocblas_complex_numIfEiiPS3_EEvT1_T3_lS5_lPS5_llPT2_S5_S5_S7_l.has_dyn_sized_stack, 0
	.set _ZN9rocsolver6v33100L18getf2_small_kernelILi9E19rocblas_complex_numIfEiiPS3_EEvT1_T3_lS5_lPS5_llPT2_S5_S5_S7_l.has_recursion, 0
	.set _ZN9rocsolver6v33100L18getf2_small_kernelILi9E19rocblas_complex_numIfEiiPS3_EEvT1_T3_lS5_lPS5_llPT2_S5_S5_S7_l.has_indirect_call, 0
	.section	.AMDGPU.csdata,"",@progbits
; Kernel info:
; codeLenInByte = 11532
; TotalNumSgprs: 22
; NumVgprs: 66
; ScratchSize: 0
; MemoryBound: 0
; FloatMode: 240
; IeeeMode: 1
; LDSByteSize: 0 bytes/workgroup (compile time only)
; SGPRBlocks: 0
; VGPRBlocks: 4
; NumSGPRsForWavesPerEU: 22
; NumVGPRsForWavesPerEU: 66
; NamedBarCnt: 0
; Occupancy: 12
; WaveLimiterHint : 0
; COMPUTE_PGM_RSRC2:SCRATCH_EN: 0
; COMPUTE_PGM_RSRC2:USER_SGPR: 2
; COMPUTE_PGM_RSRC2:TRAP_HANDLER: 0
; COMPUTE_PGM_RSRC2:TGID_X_EN: 1
; COMPUTE_PGM_RSRC2:TGID_Y_EN: 1
; COMPUTE_PGM_RSRC2:TGID_Z_EN: 0
; COMPUTE_PGM_RSRC2:TIDIG_COMP_CNT: 1
	.section	.text._ZN9rocsolver6v33100L23getf2_npvt_small_kernelILi9E19rocblas_complex_numIfEiiPS3_EEvT1_T3_lS5_lPT2_S5_S5_,"axG",@progbits,_ZN9rocsolver6v33100L23getf2_npvt_small_kernelILi9E19rocblas_complex_numIfEiiPS3_EEvT1_T3_lS5_lPT2_S5_S5_,comdat
	.globl	_ZN9rocsolver6v33100L23getf2_npvt_small_kernelILi9E19rocblas_complex_numIfEiiPS3_EEvT1_T3_lS5_lPT2_S5_S5_ ; -- Begin function _ZN9rocsolver6v33100L23getf2_npvt_small_kernelILi9E19rocblas_complex_numIfEiiPS3_EEvT1_T3_lS5_lPT2_S5_S5_
	.p2align	8
	.type	_ZN9rocsolver6v33100L23getf2_npvt_small_kernelILi9E19rocblas_complex_numIfEiiPS3_EEvT1_T3_lS5_lPT2_S5_S5_,@function
_ZN9rocsolver6v33100L23getf2_npvt_small_kernelILi9E19rocblas_complex_numIfEiiPS3_EEvT1_T3_lS5_lPT2_S5_S5_: ; @_ZN9rocsolver6v33100L23getf2_npvt_small_kernelILi9E19rocblas_complex_numIfEiiPS3_EEvT1_T3_lS5_lPT2_S5_S5_
; %bb.0:
	s_clause 0x1
	s_load_u16 s8, s[0:1], 0x46
	s_load_b64 s[2:3], s[0:1], 0x30
	s_bfe_u32 s4, ttmp6, 0x40010
	s_bfe_u32 s5, ttmp6, 0x40004
	s_add_co_i32 s4, s4, 1
	s_getreg_b32 s6, hwreg(HW_REG_IB_STS2, 6, 4)
	s_mul_i32 s4, ttmp7, s4
	v_bfe_u32 v38, v0, 10, 10
	s_add_co_i32 s5, s5, s4
	s_cmp_eq_u32 s6, 0
	s_cselect_b32 s4, ttmp7, s5
	s_wait_kmcnt 0x0
	v_mad_u32 v2, s4, s8, v38
	s_delay_alu instid0(VALU_DEP_1)
	v_cmp_gt_i32_e32 vcc_lo, s2, v2
	s_and_saveexec_b32 s2, vcc_lo
	s_cbranch_execz .LBB17_84
; %bb.1:
	s_clause 0x1
	s_load_b128 s[4:7], s[0:1], 0x20
	s_load_b32 s10, s[0:1], 0x18
	v_and_b32_e32 v56, 0x3ff, v0
	s_load_b128 s[12:15], s[0:1], 0x8
	s_mulk_i32 s8, 0x48
	v_mad_u32_u24 v58, 0x48, v38, 0
	v_mov_b32_e32 v15, 0
	s_wait_xcnt 0x0
	v_cmp_ne_u32_e64 s1, 0, v56
	v_cmp_eq_u32_e64 s0, 0, v56
	v_dual_lshlrev_b32 v14, 3, v56 :: v_dual_lshlrev_b32 v39, 3, v38
	s_delay_alu instid0(VALU_DEP_1) | instskip(SKIP_4) | instid1(VALU_DEP_2)
	v_add3_u32 v57, 0, s8, v39
	s_wait_kmcnt 0x0
	v_add3_u32 v0, s10, s10, v56
	v_ashrrev_i32_e32 v3, 31, v2
	s_ashr_i32 s11, s10, 31
	v_add_nc_u32_e32 v6, s10, v0
	s_delay_alu instid0(VALU_DEP_2) | instskip(NEXT) | instid1(VALU_DEP_2)
	v_mul_u64_e32 v[4:5], s[4:5], v[2:3]
	v_dual_add_nc_u32 v8, s10, v6 :: v_dual_ashrrev_i32 v7, 31, v6
	s_delay_alu instid0(VALU_DEP_1) | instskip(NEXT) | instid1(VALU_DEP_1)
	v_add_nc_u32_e32 v10, s10, v8
	v_dual_add_nc_u32 v12, s10, v10 :: v_dual_ashrrev_i32 v11, 31, v10
	s_delay_alu instid0(VALU_DEP_1) | instskip(SKIP_2) | instid1(VALU_DEP_3)
	v_add_nc_u32_e32 v18, s10, v12
	v_ashrrev_i32_e32 v1, 31, v0
	v_ashrrev_i32_e32 v9, 31, v8
	v_dual_ashrrev_i32 v13, 31, v12 :: v_dual_add_nc_u32 v20, s10, v18
	s_delay_alu instid0(VALU_DEP_1) | instskip(SKIP_1) | instid1(VALU_DEP_1)
	v_dual_ashrrev_i32 v19, 31, v18 :: v_dual_ashrrev_i32 v21, 31, v20
	v_lshl_add_u64 v[4:5], v[4:5], 3, s[12:13]
	v_lshl_add_u64 v[22:23], s[14:15], 3, v[4:5]
	s_delay_alu instid0(VALU_DEP_1)
	v_add_nc_u64_e32 v[16:17], v[22:23], v[14:15]
	v_lshl_add_u64 v[4:5], v[8:9], 3, v[22:23]
	v_lshl_add_u64 v[14:15], v[0:1], 3, v[22:23]
	v_lshl_add_u64 v[0:1], v[6:7], 3, v[22:23]
	v_lshl_add_u64 v[6:7], v[10:11], 3, v[22:23]
	v_lshl_add_u64 v[8:9], v[12:13], 3, v[22:23]
	v_lshl_add_u64 v[10:11], v[18:19], 3, v[22:23]
	v_lshl_add_u64 v[12:13], v[20:21], 3, v[22:23]
	v_lshl_add_u64 v[20:21], s[10:11], 3, v[16:17]
	s_clause 0x8
	global_load_b64 v[18:19], v[4:5], off
	global_load_b64 v[36:37], v[6:7], off
	;; [unrolled: 1-line block ×9, first 2 shown]
	s_wait_xcnt 0x0
	s_and_saveexec_b32 s4, s0
	s_cbranch_execz .LBB17_8
; %bb.2:
	s_wait_loadcnt 0x4
	ds_store_b64 v57, v[28:29]
	s_wait_loadcnt 0x2
	ds_store_2addr_b64 v58, v[30:31], v[34:35] offset0:1 offset1:2
	s_wait_loadcnt 0x1
	ds_store_2addr_b64 v58, v[24:25], v[18:19] offset0:3 offset1:4
	ds_store_2addr_b64 v58, v[36:37], v[32:33] offset0:5 offset1:6
	s_wait_loadcnt 0x0
	ds_store_2addr_b64 v58, v[22:23], v[26:27] offset0:7 offset1:8
	ds_load_b64 v[38:39], v57
	s_wait_dscnt 0x0
	v_cmp_neq_f32_e32 vcc_lo, 0, v38
	v_cmp_neq_f32_e64 s2, 0, v39
	s_or_b32 s2, vcc_lo, s2
	s_delay_alu instid0(SALU_CYCLE_1)
	s_and_b32 exec_lo, exec_lo, s2
	s_cbranch_execz .LBB17_8
; %bb.3:
	v_cmp_ngt_f32_e64 s2, |v38|, |v39|
                                        ; implicit-def: $vgpr40_vgpr41
	s_and_saveexec_b32 s5, s2
	s_delay_alu instid0(SALU_CYCLE_1)
	s_xor_b32 s2, exec_lo, s5
	s_cbranch_execz .LBB17_5
; %bb.4:
	v_div_scale_f32 v40, null, v39, v39, v38
	v_div_scale_f32 v43, vcc_lo, v38, v39, v38
	s_delay_alu instid0(VALU_DEP_2) | instskip(SKIP_1) | instid1(TRANS32_DEP_1)
	v_rcp_f32_e32 v41, v40
	v_nop
	v_fma_f32 v42, -v40, v41, 1.0
	s_delay_alu instid0(VALU_DEP_1) | instskip(NEXT) | instid1(VALU_DEP_1)
	v_fmac_f32_e32 v41, v42, v41
	v_mul_f32_e32 v42, v43, v41
	s_delay_alu instid0(VALU_DEP_1) | instskip(NEXT) | instid1(VALU_DEP_1)
	v_fma_f32 v44, -v40, v42, v43
	v_fmac_f32_e32 v42, v44, v41
	s_delay_alu instid0(VALU_DEP_1) | instskip(NEXT) | instid1(VALU_DEP_1)
	v_fma_f32 v40, -v40, v42, v43
	v_div_fmas_f32 v40, v40, v41, v42
	s_delay_alu instid0(VALU_DEP_1) | instskip(NEXT) | instid1(VALU_DEP_1)
	v_div_fixup_f32 v40, v40, v39, v38
	v_fmac_f32_e32 v39, v38, v40
	s_delay_alu instid0(VALU_DEP_1) | instskip(SKIP_1) | instid1(VALU_DEP_2)
	v_div_scale_f32 v38, null, v39, v39, 1.0
	v_div_scale_f32 v43, vcc_lo, 1.0, v39, 1.0
	v_rcp_f32_e32 v41, v38
	v_nop
	s_delay_alu instid0(TRANS32_DEP_1) | instskip(NEXT) | instid1(VALU_DEP_1)
	v_fma_f32 v42, -v38, v41, 1.0
	v_fmac_f32_e32 v41, v42, v41
	s_delay_alu instid0(VALU_DEP_1) | instskip(NEXT) | instid1(VALU_DEP_1)
	v_mul_f32_e32 v42, v43, v41
	v_fma_f32 v44, -v38, v42, v43
	s_delay_alu instid0(VALU_DEP_1) | instskip(NEXT) | instid1(VALU_DEP_1)
	v_fmac_f32_e32 v42, v44, v41
	v_fma_f32 v38, -v38, v42, v43
	s_delay_alu instid0(VALU_DEP_1) | instskip(NEXT) | instid1(VALU_DEP_1)
	v_div_fmas_f32 v38, v38, v41, v42
	v_div_fixup_f32 v38, v38, v39, 1.0
	s_delay_alu instid0(VALU_DEP_1)
	v_mul_f32_e32 v40, v40, v38
	v_xor_b32_e32 v41, 0x80000000, v38
                                        ; implicit-def: $vgpr38_vgpr39
.LBB17_5:
	s_and_not1_saveexec_b32 s2, s2
	s_cbranch_execz .LBB17_7
; %bb.6:
	v_div_scale_f32 v40, null, v38, v38, v39
	v_div_scale_f32 v43, vcc_lo, v39, v38, v39
	s_delay_alu instid0(VALU_DEP_2) | instskip(SKIP_1) | instid1(TRANS32_DEP_1)
	v_rcp_f32_e32 v41, v40
	v_nop
	v_fma_f32 v42, -v40, v41, 1.0
	s_delay_alu instid0(VALU_DEP_1) | instskip(NEXT) | instid1(VALU_DEP_1)
	v_fmac_f32_e32 v41, v42, v41
	v_mul_f32_e32 v42, v43, v41
	s_delay_alu instid0(VALU_DEP_1) | instskip(NEXT) | instid1(VALU_DEP_1)
	v_fma_f32 v44, -v40, v42, v43
	v_fmac_f32_e32 v42, v44, v41
	s_delay_alu instid0(VALU_DEP_1) | instskip(NEXT) | instid1(VALU_DEP_1)
	v_fma_f32 v40, -v40, v42, v43
	v_div_fmas_f32 v40, v40, v41, v42
	s_delay_alu instid0(VALU_DEP_1) | instskip(NEXT) | instid1(VALU_DEP_1)
	v_div_fixup_f32 v41, v40, v38, v39
	v_fmac_f32_e32 v38, v39, v41
	s_delay_alu instid0(VALU_DEP_1) | instskip(NEXT) | instid1(VALU_DEP_1)
	v_div_scale_f32 v39, null, v38, v38, 1.0
	v_rcp_f32_e32 v40, v39
	v_nop
	s_delay_alu instid0(TRANS32_DEP_1) | instskip(NEXT) | instid1(VALU_DEP_1)
	v_fma_f32 v42, -v39, v40, 1.0
	v_fmac_f32_e32 v40, v42, v40
	v_div_scale_f32 v42, vcc_lo, 1.0, v38, 1.0
	s_delay_alu instid0(VALU_DEP_1) | instskip(NEXT) | instid1(VALU_DEP_1)
	v_mul_f32_e32 v43, v42, v40
	v_fma_f32 v44, -v39, v43, v42
	s_delay_alu instid0(VALU_DEP_1) | instskip(NEXT) | instid1(VALU_DEP_1)
	v_fmac_f32_e32 v43, v44, v40
	v_fma_f32 v39, -v39, v43, v42
	s_delay_alu instid0(VALU_DEP_1) | instskip(NEXT) | instid1(VALU_DEP_1)
	v_div_fmas_f32 v39, v39, v40, v43
	v_div_fixup_f32 v40, v39, v38, 1.0
	s_delay_alu instid0(VALU_DEP_1)
	v_mul_f32_e64 v41, v41, -v40
.LBB17_7:
	s_or_b32 exec_lo, exec_lo, s2
	ds_store_b64 v57, v[40:41]
.LBB17_8:
	s_or_b32 exec_lo, exec_lo, s4
	s_wait_loadcnt_dscnt 0x0
	s_barrier_signal -1
	s_barrier_wait -1
	ds_load_b64 v[38:39], v57
	s_and_saveexec_b32 s2, s1
	s_cbranch_execz .LBB17_10
; %bb.9:
	s_wait_dscnt 0x0
	v_pk_mul_f32 v[40:41], v[38:39], v[28:29] op_sel:[1,1] op_sel_hi:[0,1]
	s_delay_alu instid0(VALU_DEP_1)
	v_pk_fma_f32 v[44:45], v[38:39], v[28:29], v[40:41] op_sel_hi:[1,0,1] neg_lo:[0,0,1] neg_hi:[0,0,1]
	v_pk_fma_f32 v[46:47], v[38:39], v[28:29], v[40:41] op_sel_hi:[1,0,1]
	ds_load_2addr_b64 v[40:43], v58 offset0:1 offset1:2
	v_dual_mov_b32 v28, v44 :: v_dual_mov_b32 v29, v47
	s_wait_dscnt 0x0
	v_pk_mul_f32 v[48:49], v[40:41], v[46:47] op_sel:[0,1]
	s_delay_alu instid0(VALU_DEP_1) | instskip(SKIP_1) | instid1(VALU_DEP_1)
	v_pk_fma_f32 v[50:51], v[40:41], v[44:45], v[48:49] op_sel:[0,0,1] op_sel_hi:[1,1,0] neg_lo:[0,0,1] neg_hi:[0,0,1]
	v_pk_fma_f32 v[40:41], v[40:41], v[44:45], v[48:49] op_sel:[0,0,1] op_sel_hi:[1,0,0]
	v_mov_b32_e32 v51, v41
	v_pk_mul_f32 v[40:41], v[42:43], v[46:47] op_sel:[0,1]
	s_delay_alu instid0(VALU_DEP_1) | instskip(SKIP_1) | instid1(VALU_DEP_1)
	v_pk_fma_f32 v[48:49], v[42:43], v[44:45], v[40:41] op_sel:[0,0,1] op_sel_hi:[1,1,0] neg_lo:[0,0,1] neg_hi:[0,0,1]
	v_pk_fma_f32 v[40:41], v[42:43], v[44:45], v[40:41] op_sel:[0,0,1] op_sel_hi:[1,0,0]
	v_mov_b32_e32 v49, v41
	ds_load_2addr_b64 v[40:43], v58 offset0:3 offset1:4
	v_pk_add_f32 v[30:31], v[30:31], v[50:51] neg_lo:[0,1] neg_hi:[0,1]
	v_pk_add_f32 v[34:35], v[34:35], v[48:49] neg_lo:[0,1] neg_hi:[0,1]
	s_wait_dscnt 0x0
	v_pk_mul_f32 v[48:49], v[40:41], v[46:47] op_sel:[0,1]
	s_delay_alu instid0(VALU_DEP_1) | instskip(SKIP_2) | instid1(VALU_DEP_2)
	v_pk_fma_f32 v[50:51], v[40:41], v[44:45], v[48:49] op_sel:[0,0,1] op_sel_hi:[1,1,0] neg_lo:[0,0,1] neg_hi:[0,0,1]
	v_pk_fma_f32 v[40:41], v[40:41], v[44:45], v[48:49] op_sel:[0,0,1] op_sel_hi:[1,0,0]
	v_dual_mul_f32 v48, v43, v47 :: v_dual_mov_b32 v40, v43
	v_dual_mov_b32 v51, v41 :: v_dual_mov_b32 v41, v42
	s_delay_alu instid0(VALU_DEP_2) | instskip(SKIP_1) | instid1(VALU_DEP_3)
	v_pk_fma_f32 v[48:49], v[42:43], v[28:29], v[48:49] op_sel_hi:[1,1,0] neg_lo:[0,0,1] neg_hi:[0,0,1]
	v_mul_f32_e32 v42, v43, v44
	v_pk_add_f32 v[24:25], v[24:25], v[50:51] neg_lo:[0,1] neg_hi:[0,1]
	s_delay_alu instid0(VALU_DEP_2) | instskip(NEXT) | instid1(VALU_DEP_1)
	v_pk_fma_f32 v[40:41], v[40:41], v[28:29], v[42:43] op_sel_hi:[1,1,0]
	v_mov_b32_e32 v49, v41
	ds_load_2addr_b64 v[40:43], v58 offset0:5 offset1:6
	v_pk_add_f32 v[18:19], v[18:19], v[48:49] neg_lo:[0,1] neg_hi:[0,1]
	s_wait_dscnt 0x0
	v_pk_mul_f32 v[48:49], v[40:41], v[46:47] op_sel:[0,1]
	s_delay_alu instid0(VALU_DEP_1) | instskip(SKIP_1) | instid1(VALU_DEP_1)
	v_pk_fma_f32 v[50:51], v[40:41], v[44:45], v[48:49] op_sel:[0,0,1] op_sel_hi:[1,1,0] neg_lo:[0,0,1] neg_hi:[0,0,1]
	v_pk_fma_f32 v[40:41], v[40:41], v[44:45], v[48:49] op_sel:[0,0,1] op_sel_hi:[1,0,0]
	v_mov_b32_e32 v51, v41
	v_pk_mul_f32 v[40:41], v[42:43], v[46:47] op_sel:[0,1]
	s_delay_alu instid0(VALU_DEP_1) | instskip(SKIP_1) | instid1(VALU_DEP_1)
	v_pk_fma_f32 v[48:49], v[42:43], v[44:45], v[40:41] op_sel:[0,0,1] op_sel_hi:[1,1,0] neg_lo:[0,0,1] neg_hi:[0,0,1]
	v_pk_fma_f32 v[40:41], v[42:43], v[44:45], v[40:41] op_sel:[0,0,1] op_sel_hi:[1,0,0]
	v_mov_b32_e32 v49, v41
	ds_load_2addr_b64 v[40:43], v58 offset0:7 offset1:8
	v_pk_add_f32 v[36:37], v[36:37], v[50:51] neg_lo:[0,1] neg_hi:[0,1]
	v_pk_add_f32 v[32:33], v[32:33], v[48:49] neg_lo:[0,1] neg_hi:[0,1]
	s_wait_dscnt 0x0
	v_pk_mul_f32 v[48:49], v[40:41], v[46:47] op_sel:[0,1]
	s_delay_alu instid0(VALU_DEP_1) | instskip(SKIP_1) | instid1(VALU_DEP_1)
	v_pk_fma_f32 v[50:51], v[40:41], v[44:45], v[48:49] op_sel:[0,0,1] op_sel_hi:[1,1,0] neg_lo:[0,0,1] neg_hi:[0,0,1]
	v_pk_fma_f32 v[40:41], v[40:41], v[44:45], v[48:49] op_sel:[0,0,1] op_sel_hi:[1,0,0]
	v_mov_b32_e32 v51, v41
	v_pk_mul_f32 v[40:41], v[42:43], v[46:47] op_sel:[0,1]
	s_delay_alu instid0(VALU_DEP_1) | instskip(SKIP_1) | instid1(VALU_DEP_1)
	v_pk_fma_f32 v[46:47], v[42:43], v[44:45], v[40:41] op_sel:[0,0,1] op_sel_hi:[1,1,0] neg_lo:[0,0,1] neg_hi:[0,0,1]
	v_pk_fma_f32 v[40:41], v[42:43], v[44:45], v[40:41] op_sel:[0,0,1] op_sel_hi:[1,0,0]
	v_mov_b32_e32 v47, v41
	v_pk_add_f32 v[22:23], v[22:23], v[50:51] neg_lo:[0,1] neg_hi:[0,1]
	s_delay_alu instid0(VALU_DEP_2)
	v_pk_add_f32 v[26:27], v[26:27], v[46:47] neg_lo:[0,1] neg_hi:[0,1]
.LBB17_10:
	s_or_b32 exec_lo, exec_lo, s2
	s_delay_alu instid0(SALU_CYCLE_1)
	s_mov_b32 s2, exec_lo
	s_wait_dscnt 0x0
	s_barrier_signal -1
	s_barrier_wait -1
	v_cmpx_eq_u32_e32 1, v56
	s_cbranch_execz .LBB17_17
; %bb.11:
	v_dual_mov_b32 v40, v34 :: v_dual_mov_b32 v41, v35
	v_dual_mov_b32 v42, v24 :: v_dual_mov_b32 v43, v25
	;; [unrolled: 1-line block ×6, first 2 shown]
	ds_store_b64 v57, v[30:31]
	ds_store_2addr_b64 v58, v[40:41], v[42:43] offset0:2 offset1:3
	ds_store_2addr_b64 v58, v[44:45], v[46:47] offset0:4 offset1:5
	;; [unrolled: 1-line block ×3, first 2 shown]
	ds_store_b64 v58, v[26:27] offset:64
	ds_load_b64 v[40:41], v57
	s_wait_dscnt 0x0
	v_cmp_neq_f32_e32 vcc_lo, 0, v40
	v_cmp_neq_f32_e64 s1, 0, v41
	s_or_b32 s1, vcc_lo, s1
	s_delay_alu instid0(SALU_CYCLE_1)
	s_and_b32 exec_lo, exec_lo, s1
	s_cbranch_execz .LBB17_17
; %bb.12:
	v_cmp_ngt_f32_e64 s1, |v40|, |v41|
                                        ; implicit-def: $vgpr42_vgpr43
	s_and_saveexec_b32 s4, s1
	s_delay_alu instid0(SALU_CYCLE_1)
	s_xor_b32 s1, exec_lo, s4
	s_cbranch_execz .LBB17_14
; %bb.13:
	v_div_scale_f32 v42, null, v41, v41, v40
	v_div_scale_f32 v45, vcc_lo, v40, v41, v40
	s_delay_alu instid0(VALU_DEP_2) | instskip(SKIP_1) | instid1(TRANS32_DEP_1)
	v_rcp_f32_e32 v43, v42
	v_nop
	v_fma_f32 v44, -v42, v43, 1.0
	s_delay_alu instid0(VALU_DEP_1) | instskip(NEXT) | instid1(VALU_DEP_1)
	v_fmac_f32_e32 v43, v44, v43
	v_mul_f32_e32 v44, v45, v43
	s_delay_alu instid0(VALU_DEP_1) | instskip(NEXT) | instid1(VALU_DEP_1)
	v_fma_f32 v46, -v42, v44, v45
	v_fmac_f32_e32 v44, v46, v43
	s_delay_alu instid0(VALU_DEP_1) | instskip(NEXT) | instid1(VALU_DEP_1)
	v_fma_f32 v42, -v42, v44, v45
	v_div_fmas_f32 v42, v42, v43, v44
	s_delay_alu instid0(VALU_DEP_1) | instskip(NEXT) | instid1(VALU_DEP_1)
	v_div_fixup_f32 v42, v42, v41, v40
	v_fmac_f32_e32 v41, v40, v42
	s_delay_alu instid0(VALU_DEP_1) | instskip(SKIP_1) | instid1(VALU_DEP_2)
	v_div_scale_f32 v40, null, v41, v41, 1.0
	v_div_scale_f32 v45, vcc_lo, 1.0, v41, 1.0
	v_rcp_f32_e32 v43, v40
	v_nop
	s_delay_alu instid0(TRANS32_DEP_1) | instskip(NEXT) | instid1(VALU_DEP_1)
	v_fma_f32 v44, -v40, v43, 1.0
	v_fmac_f32_e32 v43, v44, v43
	s_delay_alu instid0(VALU_DEP_1) | instskip(NEXT) | instid1(VALU_DEP_1)
	v_mul_f32_e32 v44, v45, v43
	v_fma_f32 v46, -v40, v44, v45
	s_delay_alu instid0(VALU_DEP_1) | instskip(NEXT) | instid1(VALU_DEP_1)
	v_fmac_f32_e32 v44, v46, v43
	v_fma_f32 v40, -v40, v44, v45
	s_delay_alu instid0(VALU_DEP_1) | instskip(NEXT) | instid1(VALU_DEP_1)
	v_div_fmas_f32 v40, v40, v43, v44
	v_div_fixup_f32 v40, v40, v41, 1.0
	s_delay_alu instid0(VALU_DEP_1)
	v_mul_f32_e32 v42, v42, v40
	v_xor_b32_e32 v43, 0x80000000, v40
                                        ; implicit-def: $vgpr40_vgpr41
.LBB17_14:
	s_and_not1_saveexec_b32 s1, s1
	s_cbranch_execz .LBB17_16
; %bb.15:
	v_div_scale_f32 v42, null, v40, v40, v41
	v_div_scale_f32 v45, vcc_lo, v41, v40, v41
	s_delay_alu instid0(VALU_DEP_2) | instskip(SKIP_1) | instid1(TRANS32_DEP_1)
	v_rcp_f32_e32 v43, v42
	v_nop
	v_fma_f32 v44, -v42, v43, 1.0
	s_delay_alu instid0(VALU_DEP_1) | instskip(NEXT) | instid1(VALU_DEP_1)
	v_fmac_f32_e32 v43, v44, v43
	v_mul_f32_e32 v44, v45, v43
	s_delay_alu instid0(VALU_DEP_1) | instskip(NEXT) | instid1(VALU_DEP_1)
	v_fma_f32 v46, -v42, v44, v45
	v_fmac_f32_e32 v44, v46, v43
	s_delay_alu instid0(VALU_DEP_1) | instskip(NEXT) | instid1(VALU_DEP_1)
	v_fma_f32 v42, -v42, v44, v45
	v_div_fmas_f32 v42, v42, v43, v44
	s_delay_alu instid0(VALU_DEP_1) | instskip(NEXT) | instid1(VALU_DEP_1)
	v_div_fixup_f32 v43, v42, v40, v41
	v_fmac_f32_e32 v40, v41, v43
	s_delay_alu instid0(VALU_DEP_1) | instskip(NEXT) | instid1(VALU_DEP_1)
	v_div_scale_f32 v41, null, v40, v40, 1.0
	v_rcp_f32_e32 v42, v41
	v_nop
	s_delay_alu instid0(TRANS32_DEP_1) | instskip(NEXT) | instid1(VALU_DEP_1)
	v_fma_f32 v44, -v41, v42, 1.0
	v_fmac_f32_e32 v42, v44, v42
	v_div_scale_f32 v44, vcc_lo, 1.0, v40, 1.0
	s_delay_alu instid0(VALU_DEP_1) | instskip(NEXT) | instid1(VALU_DEP_1)
	v_mul_f32_e32 v45, v44, v42
	v_fma_f32 v46, -v41, v45, v44
	s_delay_alu instid0(VALU_DEP_1) | instskip(NEXT) | instid1(VALU_DEP_1)
	v_fmac_f32_e32 v45, v46, v42
	v_fma_f32 v41, -v41, v45, v44
	s_delay_alu instid0(VALU_DEP_1) | instskip(NEXT) | instid1(VALU_DEP_1)
	v_div_fmas_f32 v41, v41, v42, v45
	v_div_fixup_f32 v42, v41, v40, 1.0
	s_delay_alu instid0(VALU_DEP_1)
	v_mul_f32_e64 v43, v43, -v42
.LBB17_16:
	s_or_b32 exec_lo, exec_lo, s1
	ds_store_b64 v57, v[42:43]
.LBB17_17:
	s_or_b32 exec_lo, exec_lo, s2
	s_wait_dscnt 0x0
	s_barrier_signal -1
	s_barrier_wait -1
	ds_load_b64 v[40:41], v57
	s_mov_b32 s1, exec_lo
	v_cmpx_lt_u32_e32 1, v56
	s_cbranch_execz .LBB17_19
; %bb.18:
	s_wait_dscnt 0x0
	v_pk_mul_f32 v[42:43], v[40:41], v[30:31] op_sel:[1,1] op_sel_hi:[0,1]
	s_delay_alu instid0(VALU_DEP_1)
	v_pk_fma_f32 v[46:47], v[40:41], v[30:31], v[42:43] op_sel_hi:[1,0,1] neg_lo:[0,0,1] neg_hi:[0,0,1]
	v_pk_fma_f32 v[48:49], v[40:41], v[30:31], v[42:43] op_sel_hi:[1,0,1]
	ds_load_2addr_b64 v[42:45], v58 offset0:2 offset1:3
	v_dual_mov_b32 v30, v46 :: v_dual_mov_b32 v31, v49
	s_wait_dscnt 0x0
	v_pk_mul_f32 v[50:51], v[42:43], v[48:49] op_sel:[0,1]
	s_delay_alu instid0(VALU_DEP_1) | instskip(SKIP_1) | instid1(VALU_DEP_1)
	v_pk_fma_f32 v[52:53], v[42:43], v[46:47], v[50:51] op_sel:[0,0,1] op_sel_hi:[1,1,0] neg_lo:[0,0,1] neg_hi:[0,0,1]
	v_pk_fma_f32 v[42:43], v[42:43], v[46:47], v[50:51] op_sel:[0,0,1] op_sel_hi:[1,0,0]
	v_mov_b32_e32 v53, v43
	v_pk_mul_f32 v[42:43], v[44:45], v[48:49] op_sel:[0,1]
	s_delay_alu instid0(VALU_DEP_1) | instskip(SKIP_1) | instid1(VALU_DEP_1)
	v_pk_fma_f32 v[50:51], v[44:45], v[46:47], v[42:43] op_sel:[0,0,1] op_sel_hi:[1,1,0] neg_lo:[0,0,1] neg_hi:[0,0,1]
	v_pk_fma_f32 v[42:43], v[44:45], v[46:47], v[42:43] op_sel:[0,0,1] op_sel_hi:[1,0,0]
	v_mov_b32_e32 v51, v43
	ds_load_2addr_b64 v[42:45], v58 offset0:4 offset1:5
	v_pk_add_f32 v[34:35], v[34:35], v[52:53] neg_lo:[0,1] neg_hi:[0,1]
	v_pk_add_f32 v[24:25], v[24:25], v[50:51] neg_lo:[0,1] neg_hi:[0,1]
	s_wait_dscnt 0x0
	v_pk_mul_f32 v[50:51], v[42:43], v[48:49] op_sel:[0,1]
	s_delay_alu instid0(VALU_DEP_1) | instskip(SKIP_2) | instid1(VALU_DEP_2)
	v_pk_fma_f32 v[52:53], v[42:43], v[46:47], v[50:51] op_sel:[0,0,1] op_sel_hi:[1,1,0] neg_lo:[0,0,1] neg_hi:[0,0,1]
	v_pk_fma_f32 v[42:43], v[42:43], v[46:47], v[50:51] op_sel:[0,0,1] op_sel_hi:[1,0,0]
	v_dual_mul_f32 v50, v45, v49 :: v_dual_mov_b32 v42, v45
	v_dual_mov_b32 v53, v43 :: v_dual_mov_b32 v43, v44
	s_delay_alu instid0(VALU_DEP_2) | instskip(SKIP_1) | instid1(VALU_DEP_3)
	v_pk_fma_f32 v[50:51], v[44:45], v[30:31], v[50:51] op_sel_hi:[1,1,0] neg_lo:[0,0,1] neg_hi:[0,0,1]
	v_mul_f32_e32 v44, v45, v46
	v_pk_add_f32 v[18:19], v[18:19], v[52:53] neg_lo:[0,1] neg_hi:[0,1]
	s_delay_alu instid0(VALU_DEP_2) | instskip(NEXT) | instid1(VALU_DEP_1)
	v_pk_fma_f32 v[42:43], v[42:43], v[30:31], v[44:45] op_sel_hi:[1,1,0]
	v_mov_b32_e32 v51, v43
	ds_load_2addr_b64 v[42:45], v58 offset0:6 offset1:7
	v_pk_add_f32 v[36:37], v[36:37], v[50:51] neg_lo:[0,1] neg_hi:[0,1]
	s_wait_dscnt 0x0
	v_pk_mul_f32 v[50:51], v[42:43], v[48:49] op_sel:[0,1]
	s_delay_alu instid0(VALU_DEP_1) | instskip(SKIP_1) | instid1(VALU_DEP_1)
	v_pk_fma_f32 v[52:53], v[42:43], v[46:47], v[50:51] op_sel:[0,0,1] op_sel_hi:[1,1,0] neg_lo:[0,0,1] neg_hi:[0,0,1]
	v_pk_fma_f32 v[42:43], v[42:43], v[46:47], v[50:51] op_sel:[0,0,1] op_sel_hi:[1,0,0]
	v_mov_b32_e32 v53, v43
	v_pk_mul_f32 v[42:43], v[44:45], v[48:49] op_sel:[0,1]
	s_delay_alu instid0(VALU_DEP_1) | instskip(SKIP_1) | instid1(VALU_DEP_1)
	v_pk_fma_f32 v[50:51], v[44:45], v[46:47], v[42:43] op_sel:[0,0,1] op_sel_hi:[1,1,0] neg_lo:[0,0,1] neg_hi:[0,0,1]
	v_pk_fma_f32 v[42:43], v[44:45], v[46:47], v[42:43] op_sel:[0,0,1] op_sel_hi:[1,0,0]
	v_mov_b32_e32 v51, v43
	ds_load_b64 v[42:43], v58 offset:64
	v_pk_add_f32 v[32:33], v[32:33], v[52:53] neg_lo:[0,1] neg_hi:[0,1]
	v_pk_add_f32 v[22:23], v[22:23], v[50:51] neg_lo:[0,1] neg_hi:[0,1]
	s_wait_dscnt 0x0
	v_pk_mul_f32 v[44:45], v[42:43], v[48:49] op_sel:[0,1]
	s_delay_alu instid0(VALU_DEP_1) | instskip(SKIP_1) | instid1(VALU_DEP_1)
	v_pk_fma_f32 v[48:49], v[42:43], v[46:47], v[44:45] op_sel:[0,0,1] op_sel_hi:[1,1,0] neg_lo:[0,0,1] neg_hi:[0,0,1]
	v_pk_fma_f32 v[42:43], v[42:43], v[46:47], v[44:45] op_sel:[0,0,1] op_sel_hi:[1,0,0]
	v_mov_b32_e32 v49, v43
	s_delay_alu instid0(VALU_DEP_1)
	v_pk_add_f32 v[26:27], v[26:27], v[48:49] neg_lo:[0,1] neg_hi:[0,1]
.LBB17_19:
	s_or_b32 exec_lo, exec_lo, s1
	s_delay_alu instid0(SALU_CYCLE_1)
	s_mov_b32 s2, exec_lo
	s_wait_dscnt 0x0
	s_barrier_signal -1
	s_barrier_wait -1
	v_cmpx_eq_u32_e32 2, v56
	s_cbranch_execz .LBB17_26
; %bb.20:
	ds_store_b64 v57, v[34:35]
	ds_store_2addr_b64 v58, v[24:25], v[18:19] offset0:3 offset1:4
	ds_store_2addr_b64 v58, v[36:37], v[32:33] offset0:5 offset1:6
	ds_store_2addr_b64 v58, v[22:23], v[26:27] offset0:7 offset1:8
	ds_load_b64 v[42:43], v57
	s_wait_dscnt 0x0
	v_cmp_neq_f32_e32 vcc_lo, 0, v42
	v_cmp_neq_f32_e64 s1, 0, v43
	s_or_b32 s1, vcc_lo, s1
	s_delay_alu instid0(SALU_CYCLE_1)
	s_and_b32 exec_lo, exec_lo, s1
	s_cbranch_execz .LBB17_26
; %bb.21:
	v_cmp_ngt_f32_e64 s1, |v42|, |v43|
                                        ; implicit-def: $vgpr44_vgpr45
	s_and_saveexec_b32 s4, s1
	s_delay_alu instid0(SALU_CYCLE_1)
	s_xor_b32 s1, exec_lo, s4
	s_cbranch_execz .LBB17_23
; %bb.22:
	v_div_scale_f32 v44, null, v43, v43, v42
	v_div_scale_f32 v47, vcc_lo, v42, v43, v42
	s_delay_alu instid0(VALU_DEP_2) | instskip(SKIP_1) | instid1(TRANS32_DEP_1)
	v_rcp_f32_e32 v45, v44
	v_nop
	v_fma_f32 v46, -v44, v45, 1.0
	s_delay_alu instid0(VALU_DEP_1) | instskip(NEXT) | instid1(VALU_DEP_1)
	v_fmac_f32_e32 v45, v46, v45
	v_mul_f32_e32 v46, v47, v45
	s_delay_alu instid0(VALU_DEP_1) | instskip(NEXT) | instid1(VALU_DEP_1)
	v_fma_f32 v48, -v44, v46, v47
	v_fmac_f32_e32 v46, v48, v45
	s_delay_alu instid0(VALU_DEP_1) | instskip(NEXT) | instid1(VALU_DEP_1)
	v_fma_f32 v44, -v44, v46, v47
	v_div_fmas_f32 v44, v44, v45, v46
	s_delay_alu instid0(VALU_DEP_1) | instskip(NEXT) | instid1(VALU_DEP_1)
	v_div_fixup_f32 v44, v44, v43, v42
	v_fmac_f32_e32 v43, v42, v44
	s_delay_alu instid0(VALU_DEP_1) | instskip(SKIP_1) | instid1(VALU_DEP_2)
	v_div_scale_f32 v42, null, v43, v43, 1.0
	v_div_scale_f32 v47, vcc_lo, 1.0, v43, 1.0
	v_rcp_f32_e32 v45, v42
	v_nop
	s_delay_alu instid0(TRANS32_DEP_1) | instskip(NEXT) | instid1(VALU_DEP_1)
	v_fma_f32 v46, -v42, v45, 1.0
	v_fmac_f32_e32 v45, v46, v45
	s_delay_alu instid0(VALU_DEP_1) | instskip(NEXT) | instid1(VALU_DEP_1)
	v_mul_f32_e32 v46, v47, v45
	v_fma_f32 v48, -v42, v46, v47
	s_delay_alu instid0(VALU_DEP_1) | instskip(NEXT) | instid1(VALU_DEP_1)
	v_fmac_f32_e32 v46, v48, v45
	v_fma_f32 v42, -v42, v46, v47
	s_delay_alu instid0(VALU_DEP_1) | instskip(NEXT) | instid1(VALU_DEP_1)
	v_div_fmas_f32 v42, v42, v45, v46
	v_div_fixup_f32 v42, v42, v43, 1.0
	s_delay_alu instid0(VALU_DEP_1)
	v_mul_f32_e32 v44, v44, v42
	v_xor_b32_e32 v45, 0x80000000, v42
                                        ; implicit-def: $vgpr42_vgpr43
.LBB17_23:
	s_and_not1_saveexec_b32 s1, s1
	s_cbranch_execz .LBB17_25
; %bb.24:
	v_div_scale_f32 v44, null, v42, v42, v43
	v_div_scale_f32 v47, vcc_lo, v43, v42, v43
	s_delay_alu instid0(VALU_DEP_2) | instskip(SKIP_1) | instid1(TRANS32_DEP_1)
	v_rcp_f32_e32 v45, v44
	v_nop
	v_fma_f32 v46, -v44, v45, 1.0
	s_delay_alu instid0(VALU_DEP_1) | instskip(NEXT) | instid1(VALU_DEP_1)
	v_fmac_f32_e32 v45, v46, v45
	v_mul_f32_e32 v46, v47, v45
	s_delay_alu instid0(VALU_DEP_1) | instskip(NEXT) | instid1(VALU_DEP_1)
	v_fma_f32 v48, -v44, v46, v47
	v_fmac_f32_e32 v46, v48, v45
	s_delay_alu instid0(VALU_DEP_1) | instskip(NEXT) | instid1(VALU_DEP_1)
	v_fma_f32 v44, -v44, v46, v47
	v_div_fmas_f32 v44, v44, v45, v46
	s_delay_alu instid0(VALU_DEP_1) | instskip(NEXT) | instid1(VALU_DEP_1)
	v_div_fixup_f32 v45, v44, v42, v43
	v_fmac_f32_e32 v42, v43, v45
	s_delay_alu instid0(VALU_DEP_1) | instskip(NEXT) | instid1(VALU_DEP_1)
	v_div_scale_f32 v43, null, v42, v42, 1.0
	v_rcp_f32_e32 v44, v43
	v_nop
	s_delay_alu instid0(TRANS32_DEP_1) | instskip(NEXT) | instid1(VALU_DEP_1)
	v_fma_f32 v46, -v43, v44, 1.0
	v_fmac_f32_e32 v44, v46, v44
	v_div_scale_f32 v46, vcc_lo, 1.0, v42, 1.0
	s_delay_alu instid0(VALU_DEP_1) | instskip(NEXT) | instid1(VALU_DEP_1)
	v_mul_f32_e32 v47, v46, v44
	v_fma_f32 v48, -v43, v47, v46
	s_delay_alu instid0(VALU_DEP_1) | instskip(NEXT) | instid1(VALU_DEP_1)
	v_fmac_f32_e32 v47, v48, v44
	v_fma_f32 v43, -v43, v47, v46
	s_delay_alu instid0(VALU_DEP_1) | instskip(NEXT) | instid1(VALU_DEP_1)
	v_div_fmas_f32 v43, v43, v44, v47
	v_div_fixup_f32 v44, v43, v42, 1.0
	s_delay_alu instid0(VALU_DEP_1)
	v_mul_f32_e64 v45, v45, -v44
.LBB17_25:
	s_or_b32 exec_lo, exec_lo, s1
	ds_store_b64 v57, v[44:45]
.LBB17_26:
	s_or_b32 exec_lo, exec_lo, s2
	s_wait_dscnt 0x0
	s_barrier_signal -1
	s_barrier_wait -1
	ds_load_b64 v[42:43], v57
	s_mov_b32 s1, exec_lo
	v_cmpx_lt_u32_e32 2, v56
	s_cbranch_execz .LBB17_28
; %bb.27:
	s_wait_dscnt 0x0
	v_pk_mul_f32 v[44:45], v[42:43], v[34:35] op_sel:[1,1] op_sel_hi:[0,1]
	s_delay_alu instid0(VALU_DEP_1)
	v_pk_fma_f32 v[48:49], v[42:43], v[34:35], v[44:45] op_sel_hi:[1,0,1] neg_lo:[0,0,1] neg_hi:[0,0,1]
	v_pk_fma_f32 v[50:51], v[42:43], v[34:35], v[44:45] op_sel_hi:[1,0,1]
	ds_load_2addr_b64 v[44:47], v58 offset0:3 offset1:4
	v_dual_mov_b32 v34, v48 :: v_dual_mov_b32 v35, v51
	s_wait_dscnt 0x0
	v_pk_mul_f32 v[52:53], v[44:45], v[50:51] op_sel:[0,1]
	s_delay_alu instid0(VALU_DEP_1) | instskip(SKIP_1) | instid1(VALU_DEP_1)
	v_pk_fma_f32 v[54:55], v[44:45], v[48:49], v[52:53] op_sel:[0,0,1] op_sel_hi:[1,1,0] neg_lo:[0,0,1] neg_hi:[0,0,1]
	v_pk_fma_f32 v[44:45], v[44:45], v[48:49], v[52:53] op_sel:[0,0,1] op_sel_hi:[1,0,0]
	v_mov_b32_e32 v55, v45
	v_pk_mul_f32 v[44:45], v[46:47], v[50:51] op_sel:[0,1]
	s_delay_alu instid0(VALU_DEP_1) | instskip(SKIP_1) | instid1(VALU_DEP_1)
	v_pk_fma_f32 v[52:53], v[46:47], v[48:49], v[44:45] op_sel:[0,0,1] op_sel_hi:[1,1,0] neg_lo:[0,0,1] neg_hi:[0,0,1]
	v_pk_fma_f32 v[44:45], v[46:47], v[48:49], v[44:45] op_sel:[0,0,1] op_sel_hi:[1,0,0]
	v_mov_b32_e32 v53, v45
	ds_load_2addr_b64 v[44:47], v58 offset0:5 offset1:6
	v_pk_add_f32 v[24:25], v[24:25], v[54:55] neg_lo:[0,1] neg_hi:[0,1]
	v_pk_add_f32 v[18:19], v[18:19], v[52:53] neg_lo:[0,1] neg_hi:[0,1]
	s_wait_dscnt 0x0
	v_pk_mul_f32 v[52:53], v[44:45], v[50:51] op_sel:[0,1]
	s_delay_alu instid0(VALU_DEP_1) | instskip(SKIP_2) | instid1(VALU_DEP_2)
	v_pk_fma_f32 v[54:55], v[44:45], v[48:49], v[52:53] op_sel:[0,0,1] op_sel_hi:[1,1,0] neg_lo:[0,0,1] neg_hi:[0,0,1]
	v_pk_fma_f32 v[44:45], v[44:45], v[48:49], v[52:53] op_sel:[0,0,1] op_sel_hi:[1,0,0]
	v_dual_mul_f32 v52, v47, v51 :: v_dual_mov_b32 v44, v47
	v_dual_mov_b32 v55, v45 :: v_dual_mov_b32 v45, v46
	s_delay_alu instid0(VALU_DEP_2) | instskip(SKIP_1) | instid1(VALU_DEP_3)
	v_pk_fma_f32 v[52:53], v[46:47], v[34:35], v[52:53] op_sel_hi:[1,1,0] neg_lo:[0,0,1] neg_hi:[0,0,1]
	v_mul_f32_e32 v46, v47, v48
	v_pk_add_f32 v[36:37], v[36:37], v[54:55] neg_lo:[0,1] neg_hi:[0,1]
	s_delay_alu instid0(VALU_DEP_2) | instskip(NEXT) | instid1(VALU_DEP_1)
	v_pk_fma_f32 v[44:45], v[44:45], v[34:35], v[46:47] op_sel_hi:[1,1,0]
	v_mov_b32_e32 v53, v45
	ds_load_2addr_b64 v[44:47], v58 offset0:7 offset1:8
	v_pk_add_f32 v[32:33], v[32:33], v[52:53] neg_lo:[0,1] neg_hi:[0,1]
	s_wait_dscnt 0x0
	v_pk_mul_f32 v[52:53], v[44:45], v[50:51] op_sel:[0,1]
	v_mul_f32_e32 v50, v47, v51
	s_delay_alu instid0(VALU_DEP_2) | instskip(SKIP_2) | instid1(VALU_DEP_4)
	v_pk_fma_f32 v[54:55], v[44:45], v[48:49], v[52:53] op_sel:[0,0,1] op_sel_hi:[1,1,0] neg_lo:[0,0,1] neg_hi:[0,0,1]
	v_pk_fma_f32 v[44:45], v[44:45], v[48:49], v[52:53] op_sel:[0,0,1] op_sel_hi:[1,0,0]
	v_mov_b32_e32 v44, v47
	v_pk_fma_f32 v[50:51], v[46:47], v[34:35], v[50:51] op_sel_hi:[1,1,0] neg_lo:[0,0,1] neg_hi:[0,0,1]
	s_delay_alu instid0(VALU_DEP_3) | instskip(SKIP_1) | instid1(VALU_DEP_2)
	v_dual_mov_b32 v55, v45 :: v_dual_mov_b32 v45, v46
	v_mul_f32_e32 v46, v47, v48
	v_pk_add_f32 v[22:23], v[22:23], v[54:55] neg_lo:[0,1] neg_hi:[0,1]
	s_delay_alu instid0(VALU_DEP_2) | instskip(NEXT) | instid1(VALU_DEP_1)
	v_pk_fma_f32 v[44:45], v[44:45], v[34:35], v[46:47] op_sel_hi:[1,1,0]
	v_mov_b32_e32 v51, v45
	s_delay_alu instid0(VALU_DEP_1)
	v_pk_add_f32 v[26:27], v[26:27], v[50:51] neg_lo:[0,1] neg_hi:[0,1]
.LBB17_28:
	s_or_b32 exec_lo, exec_lo, s1
	s_delay_alu instid0(SALU_CYCLE_1)
	s_mov_b32 s2, exec_lo
	s_wait_dscnt 0x0
	s_barrier_signal -1
	s_barrier_wait -1
	v_cmpx_eq_u32_e32 3, v56
	s_cbranch_execz .LBB17_35
; %bb.29:
	v_dual_mov_b32 v44, v18 :: v_dual_mov_b32 v45, v19
	v_dual_mov_b32 v46, v36 :: v_dual_mov_b32 v47, v37
	;; [unrolled: 1-line block ×4, first 2 shown]
	ds_store_b64 v57, v[24:25]
	ds_store_2addr_b64 v58, v[44:45], v[46:47] offset0:4 offset1:5
	ds_store_2addr_b64 v58, v[48:49], v[50:51] offset0:6 offset1:7
	ds_store_b64 v58, v[26:27] offset:64
	ds_load_b64 v[44:45], v57
	s_wait_dscnt 0x0
	v_cmp_neq_f32_e32 vcc_lo, 0, v44
	v_cmp_neq_f32_e64 s1, 0, v45
	s_or_b32 s1, vcc_lo, s1
	s_delay_alu instid0(SALU_CYCLE_1)
	s_and_b32 exec_lo, exec_lo, s1
	s_cbranch_execz .LBB17_35
; %bb.30:
	v_cmp_ngt_f32_e64 s1, |v44|, |v45|
                                        ; implicit-def: $vgpr46_vgpr47
	s_and_saveexec_b32 s4, s1
	s_delay_alu instid0(SALU_CYCLE_1)
	s_xor_b32 s1, exec_lo, s4
	s_cbranch_execz .LBB17_32
; %bb.31:
	v_div_scale_f32 v46, null, v45, v45, v44
	v_div_scale_f32 v49, vcc_lo, v44, v45, v44
	s_delay_alu instid0(VALU_DEP_2) | instskip(SKIP_1) | instid1(TRANS32_DEP_1)
	v_rcp_f32_e32 v47, v46
	v_nop
	v_fma_f32 v48, -v46, v47, 1.0
	s_delay_alu instid0(VALU_DEP_1) | instskip(NEXT) | instid1(VALU_DEP_1)
	v_fmac_f32_e32 v47, v48, v47
	v_mul_f32_e32 v48, v49, v47
	s_delay_alu instid0(VALU_DEP_1) | instskip(NEXT) | instid1(VALU_DEP_1)
	v_fma_f32 v50, -v46, v48, v49
	v_fmac_f32_e32 v48, v50, v47
	s_delay_alu instid0(VALU_DEP_1) | instskip(NEXT) | instid1(VALU_DEP_1)
	v_fma_f32 v46, -v46, v48, v49
	v_div_fmas_f32 v46, v46, v47, v48
	s_delay_alu instid0(VALU_DEP_1) | instskip(NEXT) | instid1(VALU_DEP_1)
	v_div_fixup_f32 v46, v46, v45, v44
	v_fmac_f32_e32 v45, v44, v46
	s_delay_alu instid0(VALU_DEP_1) | instskip(SKIP_1) | instid1(VALU_DEP_2)
	v_div_scale_f32 v44, null, v45, v45, 1.0
	v_div_scale_f32 v49, vcc_lo, 1.0, v45, 1.0
	v_rcp_f32_e32 v47, v44
	v_nop
	s_delay_alu instid0(TRANS32_DEP_1) | instskip(NEXT) | instid1(VALU_DEP_1)
	v_fma_f32 v48, -v44, v47, 1.0
	v_fmac_f32_e32 v47, v48, v47
	s_delay_alu instid0(VALU_DEP_1) | instskip(NEXT) | instid1(VALU_DEP_1)
	v_mul_f32_e32 v48, v49, v47
	v_fma_f32 v50, -v44, v48, v49
	s_delay_alu instid0(VALU_DEP_1) | instskip(NEXT) | instid1(VALU_DEP_1)
	v_fmac_f32_e32 v48, v50, v47
	v_fma_f32 v44, -v44, v48, v49
	s_delay_alu instid0(VALU_DEP_1) | instskip(NEXT) | instid1(VALU_DEP_1)
	v_div_fmas_f32 v44, v44, v47, v48
	v_div_fixup_f32 v44, v44, v45, 1.0
	s_delay_alu instid0(VALU_DEP_1)
	v_mul_f32_e32 v46, v46, v44
	v_xor_b32_e32 v47, 0x80000000, v44
                                        ; implicit-def: $vgpr44_vgpr45
.LBB17_32:
	s_and_not1_saveexec_b32 s1, s1
	s_cbranch_execz .LBB17_34
; %bb.33:
	v_div_scale_f32 v46, null, v44, v44, v45
	v_div_scale_f32 v49, vcc_lo, v45, v44, v45
	s_delay_alu instid0(VALU_DEP_2) | instskip(SKIP_1) | instid1(TRANS32_DEP_1)
	v_rcp_f32_e32 v47, v46
	v_nop
	v_fma_f32 v48, -v46, v47, 1.0
	s_delay_alu instid0(VALU_DEP_1) | instskip(NEXT) | instid1(VALU_DEP_1)
	v_fmac_f32_e32 v47, v48, v47
	v_mul_f32_e32 v48, v49, v47
	s_delay_alu instid0(VALU_DEP_1) | instskip(NEXT) | instid1(VALU_DEP_1)
	v_fma_f32 v50, -v46, v48, v49
	v_fmac_f32_e32 v48, v50, v47
	s_delay_alu instid0(VALU_DEP_1) | instskip(NEXT) | instid1(VALU_DEP_1)
	v_fma_f32 v46, -v46, v48, v49
	v_div_fmas_f32 v46, v46, v47, v48
	s_delay_alu instid0(VALU_DEP_1) | instskip(NEXT) | instid1(VALU_DEP_1)
	v_div_fixup_f32 v47, v46, v44, v45
	v_fmac_f32_e32 v44, v45, v47
	s_delay_alu instid0(VALU_DEP_1) | instskip(NEXT) | instid1(VALU_DEP_1)
	v_div_scale_f32 v45, null, v44, v44, 1.0
	v_rcp_f32_e32 v46, v45
	v_nop
	s_delay_alu instid0(TRANS32_DEP_1) | instskip(NEXT) | instid1(VALU_DEP_1)
	v_fma_f32 v48, -v45, v46, 1.0
	v_fmac_f32_e32 v46, v48, v46
	v_div_scale_f32 v48, vcc_lo, 1.0, v44, 1.0
	s_delay_alu instid0(VALU_DEP_1) | instskip(NEXT) | instid1(VALU_DEP_1)
	v_mul_f32_e32 v49, v48, v46
	v_fma_f32 v50, -v45, v49, v48
	s_delay_alu instid0(VALU_DEP_1) | instskip(NEXT) | instid1(VALU_DEP_1)
	v_fmac_f32_e32 v49, v50, v46
	v_fma_f32 v45, -v45, v49, v48
	s_delay_alu instid0(VALU_DEP_1) | instskip(NEXT) | instid1(VALU_DEP_1)
	v_div_fmas_f32 v45, v45, v46, v49
	v_div_fixup_f32 v46, v45, v44, 1.0
	s_delay_alu instid0(VALU_DEP_1)
	v_mul_f32_e64 v47, v47, -v46
.LBB17_34:
	s_or_b32 exec_lo, exec_lo, s1
	ds_store_b64 v57, v[46:47]
.LBB17_35:
	s_or_b32 exec_lo, exec_lo, s2
	s_wait_dscnt 0x0
	s_barrier_signal -1
	s_barrier_wait -1
	ds_load_b64 v[44:45], v57
	s_mov_b32 s1, exec_lo
	v_cmpx_lt_u32_e32 3, v56
	s_cbranch_execz .LBB17_37
; %bb.36:
	s_wait_dscnt 0x0
	v_pk_mul_f32 v[46:47], v[44:45], v[24:25] op_sel:[1,1] op_sel_hi:[0,1]
	s_delay_alu instid0(VALU_DEP_1)
	v_pk_fma_f32 v[50:51], v[44:45], v[24:25], v[46:47] op_sel_hi:[1,0,1] neg_lo:[0,0,1] neg_hi:[0,0,1]
	v_pk_fma_f32 v[52:53], v[44:45], v[24:25], v[46:47] op_sel_hi:[1,0,1]
	ds_load_2addr_b64 v[46:49], v58 offset0:4 offset1:5
	v_dual_mov_b32 v24, v50 :: v_dual_mov_b32 v25, v53
	s_wait_dscnt 0x0
	v_pk_mul_f32 v[54:55], v[46:47], v[52:53] op_sel:[0,1]
	s_delay_alu instid0(VALU_DEP_1) | instskip(SKIP_1) | instid1(VALU_DEP_1)
	v_pk_fma_f32 v[60:61], v[46:47], v[50:51], v[54:55] op_sel:[0,0,1] op_sel_hi:[1,1,0] neg_lo:[0,0,1] neg_hi:[0,0,1]
	v_pk_fma_f32 v[46:47], v[46:47], v[50:51], v[54:55] op_sel:[0,0,1] op_sel_hi:[1,0,0]
	v_mov_b32_e32 v61, v47
	v_pk_mul_f32 v[46:47], v[48:49], v[52:53] op_sel:[0,1]
	s_delay_alu instid0(VALU_DEP_1) | instskip(SKIP_1) | instid1(VALU_DEP_1)
	v_pk_fma_f32 v[54:55], v[48:49], v[50:51], v[46:47] op_sel:[0,0,1] op_sel_hi:[1,1,0] neg_lo:[0,0,1] neg_hi:[0,0,1]
	v_pk_fma_f32 v[46:47], v[48:49], v[50:51], v[46:47] op_sel:[0,0,1] op_sel_hi:[1,0,0]
	v_mov_b32_e32 v55, v47
	ds_load_2addr_b64 v[46:49], v58 offset0:6 offset1:7
	v_pk_add_f32 v[18:19], v[18:19], v[60:61] neg_lo:[0,1] neg_hi:[0,1]
	v_pk_add_f32 v[36:37], v[36:37], v[54:55] neg_lo:[0,1] neg_hi:[0,1]
	s_wait_dscnt 0x0
	v_pk_mul_f32 v[54:55], v[46:47], v[52:53] op_sel:[0,1]
	s_delay_alu instid0(VALU_DEP_1) | instskip(SKIP_2) | instid1(VALU_DEP_2)
	v_pk_fma_f32 v[60:61], v[46:47], v[50:51], v[54:55] op_sel:[0,0,1] op_sel_hi:[1,1,0] neg_lo:[0,0,1] neg_hi:[0,0,1]
	v_pk_fma_f32 v[46:47], v[46:47], v[50:51], v[54:55] op_sel:[0,0,1] op_sel_hi:[1,0,0]
	v_dual_mul_f32 v54, v49, v53 :: v_dual_mov_b32 v46, v49
	v_dual_mov_b32 v61, v47 :: v_dual_mov_b32 v47, v48
	s_delay_alu instid0(VALU_DEP_2) | instskip(SKIP_1) | instid1(VALU_DEP_3)
	v_pk_fma_f32 v[54:55], v[48:49], v[24:25], v[54:55] op_sel_hi:[1,1,0] neg_lo:[0,0,1] neg_hi:[0,0,1]
	v_mul_f32_e32 v48, v49, v50
	v_pk_add_f32 v[32:33], v[32:33], v[60:61] neg_lo:[0,1] neg_hi:[0,1]
	s_delay_alu instid0(VALU_DEP_2) | instskip(NEXT) | instid1(VALU_DEP_1)
	v_pk_fma_f32 v[46:47], v[46:47], v[24:25], v[48:49] op_sel_hi:[1,1,0]
	v_mov_b32_e32 v55, v47
	ds_load_b64 v[46:47], v58 offset:64
	v_pk_add_f32 v[22:23], v[22:23], v[54:55] neg_lo:[0,1] neg_hi:[0,1]
	s_wait_dscnt 0x0
	v_pk_mul_f32 v[48:49], v[46:47], v[52:53] op_sel:[0,1]
	s_delay_alu instid0(VALU_DEP_1) | instskip(SKIP_1) | instid1(VALU_DEP_1)
	v_pk_fma_f32 v[52:53], v[46:47], v[50:51], v[48:49] op_sel:[0,0,1] op_sel_hi:[1,1,0] neg_lo:[0,0,1] neg_hi:[0,0,1]
	v_pk_fma_f32 v[46:47], v[46:47], v[50:51], v[48:49] op_sel:[0,0,1] op_sel_hi:[1,0,0]
	v_mov_b32_e32 v53, v47
	s_delay_alu instid0(VALU_DEP_1)
	v_pk_add_f32 v[26:27], v[26:27], v[52:53] neg_lo:[0,1] neg_hi:[0,1]
.LBB17_37:
	s_or_b32 exec_lo, exec_lo, s1
	s_delay_alu instid0(SALU_CYCLE_1)
	s_mov_b32 s2, exec_lo
	s_wait_dscnt 0x0
	s_barrier_signal -1
	s_barrier_wait -1
	v_cmpx_eq_u32_e32 4, v56
	s_cbranch_execz .LBB17_44
; %bb.38:
	ds_store_b64 v57, v[18:19]
	ds_store_2addr_b64 v58, v[36:37], v[32:33] offset0:5 offset1:6
	ds_store_2addr_b64 v58, v[22:23], v[26:27] offset0:7 offset1:8
	ds_load_b64 v[46:47], v57
	s_wait_dscnt 0x0
	v_cmp_neq_f32_e32 vcc_lo, 0, v46
	v_cmp_neq_f32_e64 s1, 0, v47
	s_or_b32 s1, vcc_lo, s1
	s_delay_alu instid0(SALU_CYCLE_1)
	s_and_b32 exec_lo, exec_lo, s1
	s_cbranch_execz .LBB17_44
; %bb.39:
	v_cmp_ngt_f32_e64 s1, |v46|, |v47|
                                        ; implicit-def: $vgpr48_vgpr49
	s_and_saveexec_b32 s4, s1
	s_delay_alu instid0(SALU_CYCLE_1)
	s_xor_b32 s1, exec_lo, s4
	s_cbranch_execz .LBB17_41
; %bb.40:
	v_div_scale_f32 v48, null, v47, v47, v46
	v_div_scale_f32 v51, vcc_lo, v46, v47, v46
	s_delay_alu instid0(VALU_DEP_2) | instskip(SKIP_1) | instid1(TRANS32_DEP_1)
	v_rcp_f32_e32 v49, v48
	v_nop
	v_fma_f32 v50, -v48, v49, 1.0
	s_delay_alu instid0(VALU_DEP_1) | instskip(NEXT) | instid1(VALU_DEP_1)
	v_fmac_f32_e32 v49, v50, v49
	v_mul_f32_e32 v50, v51, v49
	s_delay_alu instid0(VALU_DEP_1) | instskip(NEXT) | instid1(VALU_DEP_1)
	v_fma_f32 v52, -v48, v50, v51
	v_fmac_f32_e32 v50, v52, v49
	s_delay_alu instid0(VALU_DEP_1) | instskip(NEXT) | instid1(VALU_DEP_1)
	v_fma_f32 v48, -v48, v50, v51
	v_div_fmas_f32 v48, v48, v49, v50
	s_delay_alu instid0(VALU_DEP_1) | instskip(NEXT) | instid1(VALU_DEP_1)
	v_div_fixup_f32 v48, v48, v47, v46
	v_fmac_f32_e32 v47, v46, v48
	s_delay_alu instid0(VALU_DEP_1) | instskip(SKIP_1) | instid1(VALU_DEP_2)
	v_div_scale_f32 v46, null, v47, v47, 1.0
	v_div_scale_f32 v51, vcc_lo, 1.0, v47, 1.0
	v_rcp_f32_e32 v49, v46
	v_nop
	s_delay_alu instid0(TRANS32_DEP_1) | instskip(NEXT) | instid1(VALU_DEP_1)
	v_fma_f32 v50, -v46, v49, 1.0
	v_fmac_f32_e32 v49, v50, v49
	s_delay_alu instid0(VALU_DEP_1) | instskip(NEXT) | instid1(VALU_DEP_1)
	v_mul_f32_e32 v50, v51, v49
	v_fma_f32 v52, -v46, v50, v51
	s_delay_alu instid0(VALU_DEP_1) | instskip(NEXT) | instid1(VALU_DEP_1)
	v_fmac_f32_e32 v50, v52, v49
	v_fma_f32 v46, -v46, v50, v51
	s_delay_alu instid0(VALU_DEP_1) | instskip(NEXT) | instid1(VALU_DEP_1)
	v_div_fmas_f32 v46, v46, v49, v50
	v_div_fixup_f32 v46, v46, v47, 1.0
	s_delay_alu instid0(VALU_DEP_1)
	v_mul_f32_e32 v48, v48, v46
	v_xor_b32_e32 v49, 0x80000000, v46
                                        ; implicit-def: $vgpr46_vgpr47
.LBB17_41:
	s_and_not1_saveexec_b32 s1, s1
	s_cbranch_execz .LBB17_43
; %bb.42:
	v_div_scale_f32 v48, null, v46, v46, v47
	v_div_scale_f32 v51, vcc_lo, v47, v46, v47
	s_delay_alu instid0(VALU_DEP_2) | instskip(SKIP_1) | instid1(TRANS32_DEP_1)
	v_rcp_f32_e32 v49, v48
	v_nop
	v_fma_f32 v50, -v48, v49, 1.0
	s_delay_alu instid0(VALU_DEP_1) | instskip(NEXT) | instid1(VALU_DEP_1)
	v_fmac_f32_e32 v49, v50, v49
	v_mul_f32_e32 v50, v51, v49
	s_delay_alu instid0(VALU_DEP_1) | instskip(NEXT) | instid1(VALU_DEP_1)
	v_fma_f32 v52, -v48, v50, v51
	v_fmac_f32_e32 v50, v52, v49
	s_delay_alu instid0(VALU_DEP_1) | instskip(NEXT) | instid1(VALU_DEP_1)
	v_fma_f32 v48, -v48, v50, v51
	v_div_fmas_f32 v48, v48, v49, v50
	s_delay_alu instid0(VALU_DEP_1) | instskip(NEXT) | instid1(VALU_DEP_1)
	v_div_fixup_f32 v49, v48, v46, v47
	v_fmac_f32_e32 v46, v47, v49
	s_delay_alu instid0(VALU_DEP_1) | instskip(NEXT) | instid1(VALU_DEP_1)
	v_div_scale_f32 v47, null, v46, v46, 1.0
	v_rcp_f32_e32 v48, v47
	v_nop
	s_delay_alu instid0(TRANS32_DEP_1) | instskip(NEXT) | instid1(VALU_DEP_1)
	v_fma_f32 v50, -v47, v48, 1.0
	v_fmac_f32_e32 v48, v50, v48
	v_div_scale_f32 v50, vcc_lo, 1.0, v46, 1.0
	s_delay_alu instid0(VALU_DEP_1) | instskip(NEXT) | instid1(VALU_DEP_1)
	v_mul_f32_e32 v51, v50, v48
	v_fma_f32 v52, -v47, v51, v50
	s_delay_alu instid0(VALU_DEP_1) | instskip(NEXT) | instid1(VALU_DEP_1)
	v_fmac_f32_e32 v51, v52, v48
	v_fma_f32 v47, -v47, v51, v50
	s_delay_alu instid0(VALU_DEP_1) | instskip(NEXT) | instid1(VALU_DEP_1)
	v_div_fmas_f32 v47, v47, v48, v51
	v_div_fixup_f32 v48, v47, v46, 1.0
	s_delay_alu instid0(VALU_DEP_1)
	v_mul_f32_e64 v49, v49, -v48
.LBB17_43:
	s_or_b32 exec_lo, exec_lo, s1
	ds_store_b64 v57, v[48:49]
.LBB17_44:
	s_or_b32 exec_lo, exec_lo, s2
	s_wait_dscnt 0x0
	s_barrier_signal -1
	s_barrier_wait -1
	ds_load_b64 v[46:47], v57
	s_mov_b32 s1, exec_lo
	v_cmpx_lt_u32_e32 4, v56
	s_cbranch_execz .LBB17_46
; %bb.45:
	s_wait_dscnt 0x0
	v_pk_mul_f32 v[48:49], v[46:47], v[18:19] op_sel:[1,1] op_sel_hi:[0,1]
	s_delay_alu instid0(VALU_DEP_1)
	v_pk_fma_f32 v[52:53], v[46:47], v[18:19], v[48:49] op_sel_hi:[1,0,1] neg_lo:[0,0,1] neg_hi:[0,0,1]
	v_pk_fma_f32 v[54:55], v[46:47], v[18:19], v[48:49] op_sel_hi:[1,0,1]
	ds_load_2addr_b64 v[48:51], v58 offset0:5 offset1:6
	v_dual_mov_b32 v18, v52 :: v_dual_mov_b32 v19, v55
	s_wait_dscnt 0x0
	v_pk_mul_f32 v[60:61], v[48:49], v[54:55] op_sel:[0,1]
	s_delay_alu instid0(VALU_DEP_1) | instskip(SKIP_1) | instid1(VALU_DEP_1)
	v_pk_fma_f32 v[62:63], v[48:49], v[52:53], v[60:61] op_sel:[0,0,1] op_sel_hi:[1,1,0] neg_lo:[0,0,1] neg_hi:[0,0,1]
	v_pk_fma_f32 v[48:49], v[48:49], v[52:53], v[60:61] op_sel:[0,0,1] op_sel_hi:[1,0,0]
	v_mov_b32_e32 v63, v49
	v_pk_mul_f32 v[48:49], v[50:51], v[54:55] op_sel:[0,1]
	s_delay_alu instid0(VALU_DEP_1) | instskip(SKIP_1) | instid1(VALU_DEP_1)
	v_pk_fma_f32 v[60:61], v[50:51], v[52:53], v[48:49] op_sel:[0,0,1] op_sel_hi:[1,1,0] neg_lo:[0,0,1] neg_hi:[0,0,1]
	v_pk_fma_f32 v[48:49], v[50:51], v[52:53], v[48:49] op_sel:[0,0,1] op_sel_hi:[1,0,0]
	v_mov_b32_e32 v61, v49
	ds_load_2addr_b64 v[48:51], v58 offset0:7 offset1:8
	v_pk_add_f32 v[36:37], v[36:37], v[62:63] neg_lo:[0,1] neg_hi:[0,1]
	v_pk_add_f32 v[32:33], v[32:33], v[60:61] neg_lo:[0,1] neg_hi:[0,1]
	s_wait_dscnt 0x0
	v_pk_mul_f32 v[60:61], v[48:49], v[54:55] op_sel:[0,1]
	s_delay_alu instid0(VALU_DEP_1) | instskip(SKIP_1) | instid1(VALU_DEP_1)
	v_pk_fma_f32 v[62:63], v[48:49], v[52:53], v[60:61] op_sel:[0,0,1] op_sel_hi:[1,1,0] neg_lo:[0,0,1] neg_hi:[0,0,1]
	v_pk_fma_f32 v[48:49], v[48:49], v[52:53], v[60:61] op_sel:[0,0,1] op_sel_hi:[1,0,0]
	v_dual_mov_b32 v48, v51 :: v_dual_mov_b32 v63, v49
	v_mov_b32_e32 v49, v50
	s_delay_alu instid0(VALU_DEP_2) | instskip(NEXT) | instid1(VALU_DEP_2)
	v_pk_add_f32 v[22:23], v[22:23], v[62:63] neg_lo:[0,1] neg_hi:[0,1]
	v_pk_mul_f32 v[48:49], v[48:49], v[54:55] op_sel:[0,1]
	s_delay_alu instid0(VALU_DEP_1) | instskip(SKIP_1) | instid1(VALU_DEP_1)
	v_pk_fma_f32 v[54:55], v[50:51], v[52:53], v[48:49] neg_lo:[0,0,1] neg_hi:[0,0,1]
	v_pk_fma_f32 v[48:49], v[50:51], v[52:53], v[48:49] op_sel_hi:[1,0,1]
	v_mov_b32_e32 v55, v49
	s_delay_alu instid0(VALU_DEP_1)
	v_pk_add_f32 v[26:27], v[26:27], v[54:55] neg_lo:[0,1] neg_hi:[0,1]
.LBB17_46:
	s_or_b32 exec_lo, exec_lo, s1
	s_delay_alu instid0(SALU_CYCLE_1)
	s_mov_b32 s2, exec_lo
	s_wait_dscnt 0x0
	s_barrier_signal -1
	s_barrier_wait -1
	v_cmpx_eq_u32_e32 5, v56
	s_cbranch_execz .LBB17_53
; %bb.47:
	v_dual_mov_b32 v48, v32 :: v_dual_mov_b32 v49, v33
	v_dual_mov_b32 v50, v22 :: v_dual_mov_b32 v51, v23
	ds_store_b64 v57, v[36:37]
	ds_store_2addr_b64 v58, v[48:49], v[50:51] offset0:6 offset1:7
	ds_store_b64 v58, v[26:27] offset:64
	ds_load_b64 v[48:49], v57
	s_wait_dscnt 0x0
	v_cmp_neq_f32_e32 vcc_lo, 0, v48
	v_cmp_neq_f32_e64 s1, 0, v49
	s_or_b32 s1, vcc_lo, s1
	s_delay_alu instid0(SALU_CYCLE_1)
	s_and_b32 exec_lo, exec_lo, s1
	s_cbranch_execz .LBB17_53
; %bb.48:
	v_cmp_ngt_f32_e64 s1, |v48|, |v49|
                                        ; implicit-def: $vgpr50_vgpr51
	s_and_saveexec_b32 s4, s1
	s_delay_alu instid0(SALU_CYCLE_1)
	s_xor_b32 s1, exec_lo, s4
	s_cbranch_execz .LBB17_50
; %bb.49:
	v_div_scale_f32 v50, null, v49, v49, v48
	v_div_scale_f32 v53, vcc_lo, v48, v49, v48
	s_delay_alu instid0(VALU_DEP_2) | instskip(SKIP_1) | instid1(TRANS32_DEP_1)
	v_rcp_f32_e32 v51, v50
	v_nop
	v_fma_f32 v52, -v50, v51, 1.0
	s_delay_alu instid0(VALU_DEP_1) | instskip(NEXT) | instid1(VALU_DEP_1)
	v_fmac_f32_e32 v51, v52, v51
	v_mul_f32_e32 v52, v53, v51
	s_delay_alu instid0(VALU_DEP_1) | instskip(NEXT) | instid1(VALU_DEP_1)
	v_fma_f32 v54, -v50, v52, v53
	v_fmac_f32_e32 v52, v54, v51
	s_delay_alu instid0(VALU_DEP_1) | instskip(NEXT) | instid1(VALU_DEP_1)
	v_fma_f32 v50, -v50, v52, v53
	v_div_fmas_f32 v50, v50, v51, v52
	s_delay_alu instid0(VALU_DEP_1) | instskip(NEXT) | instid1(VALU_DEP_1)
	v_div_fixup_f32 v50, v50, v49, v48
	v_fmac_f32_e32 v49, v48, v50
	s_delay_alu instid0(VALU_DEP_1) | instskip(SKIP_1) | instid1(VALU_DEP_2)
	v_div_scale_f32 v48, null, v49, v49, 1.0
	v_div_scale_f32 v53, vcc_lo, 1.0, v49, 1.0
	v_rcp_f32_e32 v51, v48
	v_nop
	s_delay_alu instid0(TRANS32_DEP_1) | instskip(NEXT) | instid1(VALU_DEP_1)
	v_fma_f32 v52, -v48, v51, 1.0
	v_fmac_f32_e32 v51, v52, v51
	s_delay_alu instid0(VALU_DEP_1) | instskip(NEXT) | instid1(VALU_DEP_1)
	v_mul_f32_e32 v52, v53, v51
	v_fma_f32 v54, -v48, v52, v53
	s_delay_alu instid0(VALU_DEP_1) | instskip(NEXT) | instid1(VALU_DEP_1)
	v_fmac_f32_e32 v52, v54, v51
	v_fma_f32 v48, -v48, v52, v53
	s_delay_alu instid0(VALU_DEP_1) | instskip(NEXT) | instid1(VALU_DEP_1)
	v_div_fmas_f32 v48, v48, v51, v52
	v_div_fixup_f32 v48, v48, v49, 1.0
	s_delay_alu instid0(VALU_DEP_1)
	v_mul_f32_e32 v50, v50, v48
	v_xor_b32_e32 v51, 0x80000000, v48
                                        ; implicit-def: $vgpr48_vgpr49
.LBB17_50:
	s_and_not1_saveexec_b32 s1, s1
	s_cbranch_execz .LBB17_52
; %bb.51:
	v_div_scale_f32 v50, null, v48, v48, v49
	v_div_scale_f32 v53, vcc_lo, v49, v48, v49
	s_delay_alu instid0(VALU_DEP_2) | instskip(SKIP_1) | instid1(TRANS32_DEP_1)
	v_rcp_f32_e32 v51, v50
	v_nop
	v_fma_f32 v52, -v50, v51, 1.0
	s_delay_alu instid0(VALU_DEP_1) | instskip(NEXT) | instid1(VALU_DEP_1)
	v_fmac_f32_e32 v51, v52, v51
	v_mul_f32_e32 v52, v53, v51
	s_delay_alu instid0(VALU_DEP_1) | instskip(NEXT) | instid1(VALU_DEP_1)
	v_fma_f32 v54, -v50, v52, v53
	v_fmac_f32_e32 v52, v54, v51
	s_delay_alu instid0(VALU_DEP_1) | instskip(NEXT) | instid1(VALU_DEP_1)
	v_fma_f32 v50, -v50, v52, v53
	v_div_fmas_f32 v50, v50, v51, v52
	s_delay_alu instid0(VALU_DEP_1) | instskip(NEXT) | instid1(VALU_DEP_1)
	v_div_fixup_f32 v51, v50, v48, v49
	v_fmac_f32_e32 v48, v49, v51
	s_delay_alu instid0(VALU_DEP_1) | instskip(NEXT) | instid1(VALU_DEP_1)
	v_div_scale_f32 v49, null, v48, v48, 1.0
	v_rcp_f32_e32 v50, v49
	v_nop
	s_delay_alu instid0(TRANS32_DEP_1) | instskip(NEXT) | instid1(VALU_DEP_1)
	v_fma_f32 v52, -v49, v50, 1.0
	v_fmac_f32_e32 v50, v52, v50
	v_div_scale_f32 v52, vcc_lo, 1.0, v48, 1.0
	s_delay_alu instid0(VALU_DEP_1) | instskip(NEXT) | instid1(VALU_DEP_1)
	v_mul_f32_e32 v53, v52, v50
	v_fma_f32 v54, -v49, v53, v52
	s_delay_alu instid0(VALU_DEP_1) | instskip(NEXT) | instid1(VALU_DEP_1)
	v_fmac_f32_e32 v53, v54, v50
	v_fma_f32 v49, -v49, v53, v52
	s_delay_alu instid0(VALU_DEP_1) | instskip(NEXT) | instid1(VALU_DEP_1)
	v_div_fmas_f32 v49, v49, v50, v53
	v_div_fixup_f32 v50, v49, v48, 1.0
	s_delay_alu instid0(VALU_DEP_1)
	v_mul_f32_e64 v51, v51, -v50
.LBB17_52:
	s_or_b32 exec_lo, exec_lo, s1
	ds_store_b64 v57, v[50:51]
.LBB17_53:
	s_or_b32 exec_lo, exec_lo, s2
	s_wait_dscnt 0x0
	s_barrier_signal -1
	s_barrier_wait -1
	ds_load_b64 v[48:49], v57
	s_mov_b32 s1, exec_lo
	v_cmpx_lt_u32_e32 5, v56
	s_cbranch_execz .LBB17_55
; %bb.54:
	ds_load_2addr_b64 v[50:53], v58 offset0:6 offset1:7
	ds_load_b64 v[54:55], v58 offset:64
	s_wait_dscnt 0x2
	v_pk_mul_f32 v[60:61], v[48:49], v[36:37] op_sel:[1,1] op_sel_hi:[0,1]
	s_delay_alu instid0(VALU_DEP_1) | instskip(SKIP_2) | instid1(VALU_DEP_2)
	v_pk_fma_f32 v[62:63], v[48:49], v[36:37], v[60:61] op_sel_hi:[1,0,1]
	v_pk_fma_f32 v[36:37], v[48:49], v[36:37], v[60:61] op_sel_hi:[1,0,1] neg_lo:[0,0,1] neg_hi:[0,0,1]
	s_wait_dscnt 0x1
	v_pk_mul_f32 v[60:61], v[50:51], v[62:63] op_sel:[0,1]
	v_pk_mul_f32 v[64:65], v[52:53], v[62:63] op_sel:[0,1]
	s_wait_dscnt 0x0
	v_pk_mul_f32 v[66:67], v[54:55], v[62:63] op_sel:[1,1] op_sel_hi:[0,1]
	s_delay_alu instid0(VALU_DEP_3) | instskip(SKIP_2) | instid1(VALU_DEP_4)
	v_pk_fma_f32 v[68:69], v[50:51], v[36:37], v[60:61] op_sel:[0,0,1] op_sel_hi:[1,1,0] neg_lo:[0,0,1] neg_hi:[0,0,1]
	v_pk_fma_f32 v[50:51], v[50:51], v[36:37], v[60:61] op_sel:[0,0,1] op_sel_hi:[1,0,0]
	v_pk_fma_f32 v[60:61], v[52:53], v[36:37], v[64:65] op_sel:[0,0,1] op_sel_hi:[1,0,0]
	v_pk_fma_f32 v[70:71], v[54:55], v[36:37], v[66:67] op_sel_hi:[1,0,1]
	v_pk_fma_f32 v[52:53], v[52:53], v[36:37], v[64:65] op_sel:[0,0,1] op_sel_hi:[1,1,0] neg_lo:[0,0,1] neg_hi:[0,0,1]
	v_pk_fma_f32 v[54:55], v[54:55], v[36:37], v[66:67] neg_lo:[0,0,1] neg_hi:[0,0,1]
	s_delay_alu instid0(VALU_DEP_4) | instskip(NEXT) | instid1(VALU_DEP_4)
	v_dual_mov_b32 v69, v51 :: v_dual_mov_b32 v53, v61
	v_dual_mov_b32 v55, v71 :: v_dual_mov_b32 v37, v63
	s_delay_alu instid0(VALU_DEP_2) | instskip(NEXT) | instid1(VALU_DEP_3)
	v_pk_add_f32 v[32:33], v[32:33], v[68:69] neg_lo:[0,1] neg_hi:[0,1]
	v_pk_add_f32 v[22:23], v[22:23], v[52:53] neg_lo:[0,1] neg_hi:[0,1]
	s_delay_alu instid0(VALU_DEP_3)
	v_pk_add_f32 v[26:27], v[26:27], v[54:55] neg_lo:[0,1] neg_hi:[0,1]
.LBB17_55:
	s_or_b32 exec_lo, exec_lo, s1
	s_delay_alu instid0(SALU_CYCLE_1)
	s_mov_b32 s2, exec_lo
	s_wait_dscnt 0x0
	s_barrier_signal -1
	s_barrier_wait -1
	v_cmpx_eq_u32_e32 6, v56
	s_cbranch_execz .LBB17_62
; %bb.56:
	ds_store_b64 v57, v[32:33]
	ds_store_2addr_b64 v58, v[22:23], v[26:27] offset0:7 offset1:8
	ds_load_b64 v[50:51], v57
	s_wait_dscnt 0x0
	v_cmp_neq_f32_e32 vcc_lo, 0, v50
	v_cmp_neq_f32_e64 s1, 0, v51
	s_or_b32 s1, vcc_lo, s1
	s_delay_alu instid0(SALU_CYCLE_1)
	s_and_b32 exec_lo, exec_lo, s1
	s_cbranch_execz .LBB17_62
; %bb.57:
	v_cmp_ngt_f32_e64 s1, |v50|, |v51|
                                        ; implicit-def: $vgpr52_vgpr53
	s_and_saveexec_b32 s4, s1
	s_delay_alu instid0(SALU_CYCLE_1)
	s_xor_b32 s1, exec_lo, s4
	s_cbranch_execz .LBB17_59
; %bb.58:
	v_div_scale_f32 v52, null, v51, v51, v50
	v_div_scale_f32 v55, vcc_lo, v50, v51, v50
	s_delay_alu instid0(VALU_DEP_2) | instskip(SKIP_1) | instid1(TRANS32_DEP_1)
	v_rcp_f32_e32 v53, v52
	v_nop
	v_fma_f32 v54, -v52, v53, 1.0
	s_delay_alu instid0(VALU_DEP_1) | instskip(NEXT) | instid1(VALU_DEP_1)
	v_fmac_f32_e32 v53, v54, v53
	v_mul_f32_e32 v54, v55, v53
	s_delay_alu instid0(VALU_DEP_1) | instskip(NEXT) | instid1(VALU_DEP_1)
	v_fma_f32 v59, -v52, v54, v55
	v_fmac_f32_e32 v54, v59, v53
	s_delay_alu instid0(VALU_DEP_1) | instskip(NEXT) | instid1(VALU_DEP_1)
	v_fma_f32 v52, -v52, v54, v55
	v_div_fmas_f32 v52, v52, v53, v54
	s_delay_alu instid0(VALU_DEP_1) | instskip(NEXT) | instid1(VALU_DEP_1)
	v_div_fixup_f32 v52, v52, v51, v50
	v_fmac_f32_e32 v51, v50, v52
	s_delay_alu instid0(VALU_DEP_1) | instskip(SKIP_1) | instid1(VALU_DEP_2)
	v_div_scale_f32 v50, null, v51, v51, 1.0
	v_div_scale_f32 v55, vcc_lo, 1.0, v51, 1.0
	v_rcp_f32_e32 v53, v50
	v_nop
	s_delay_alu instid0(TRANS32_DEP_1) | instskip(NEXT) | instid1(VALU_DEP_1)
	v_fma_f32 v54, -v50, v53, 1.0
	v_fmac_f32_e32 v53, v54, v53
	s_delay_alu instid0(VALU_DEP_1) | instskip(NEXT) | instid1(VALU_DEP_1)
	v_mul_f32_e32 v54, v55, v53
	v_fma_f32 v59, -v50, v54, v55
	s_delay_alu instid0(VALU_DEP_1) | instskip(NEXT) | instid1(VALU_DEP_1)
	v_fmac_f32_e32 v54, v59, v53
	v_fma_f32 v50, -v50, v54, v55
	s_delay_alu instid0(VALU_DEP_1) | instskip(NEXT) | instid1(VALU_DEP_1)
	v_div_fmas_f32 v50, v50, v53, v54
	v_div_fixup_f32 v50, v50, v51, 1.0
	s_delay_alu instid0(VALU_DEP_1)
	v_mul_f32_e32 v52, v52, v50
	v_xor_b32_e32 v53, 0x80000000, v50
                                        ; implicit-def: $vgpr50_vgpr51
.LBB17_59:
	s_and_not1_saveexec_b32 s1, s1
	s_cbranch_execz .LBB17_61
; %bb.60:
	v_div_scale_f32 v52, null, v50, v50, v51
	v_div_scale_f32 v55, vcc_lo, v51, v50, v51
	s_delay_alu instid0(VALU_DEP_2) | instskip(SKIP_1) | instid1(TRANS32_DEP_1)
	v_rcp_f32_e32 v53, v52
	v_nop
	v_fma_f32 v54, -v52, v53, 1.0
	s_delay_alu instid0(VALU_DEP_1) | instskip(NEXT) | instid1(VALU_DEP_1)
	v_fmac_f32_e32 v53, v54, v53
	v_mul_f32_e32 v54, v55, v53
	s_delay_alu instid0(VALU_DEP_1) | instskip(NEXT) | instid1(VALU_DEP_1)
	v_fma_f32 v59, -v52, v54, v55
	v_fmac_f32_e32 v54, v59, v53
	s_delay_alu instid0(VALU_DEP_1) | instskip(NEXT) | instid1(VALU_DEP_1)
	v_fma_f32 v52, -v52, v54, v55
	v_div_fmas_f32 v52, v52, v53, v54
	s_delay_alu instid0(VALU_DEP_1) | instskip(NEXT) | instid1(VALU_DEP_1)
	v_div_fixup_f32 v53, v52, v50, v51
	v_fmac_f32_e32 v50, v51, v53
	s_delay_alu instid0(VALU_DEP_1) | instskip(NEXT) | instid1(VALU_DEP_1)
	v_div_scale_f32 v51, null, v50, v50, 1.0
	v_rcp_f32_e32 v52, v51
	v_nop
	s_delay_alu instid0(TRANS32_DEP_1) | instskip(NEXT) | instid1(VALU_DEP_1)
	v_fma_f32 v54, -v51, v52, 1.0
	v_fmac_f32_e32 v52, v54, v52
	v_div_scale_f32 v54, vcc_lo, 1.0, v50, 1.0
	s_delay_alu instid0(VALU_DEP_1) | instskip(NEXT) | instid1(VALU_DEP_1)
	v_mul_f32_e32 v55, v54, v52
	v_fma_f32 v59, -v51, v55, v54
	s_delay_alu instid0(VALU_DEP_1) | instskip(NEXT) | instid1(VALU_DEP_1)
	v_fmac_f32_e32 v55, v59, v52
	v_fma_f32 v51, -v51, v55, v54
	s_delay_alu instid0(VALU_DEP_1) | instskip(NEXT) | instid1(VALU_DEP_1)
	v_div_fmas_f32 v51, v51, v52, v55
	v_div_fixup_f32 v52, v51, v50, 1.0
	s_delay_alu instid0(VALU_DEP_1)
	v_mul_f32_e64 v53, v53, -v52
.LBB17_61:
	s_or_b32 exec_lo, exec_lo, s1
	ds_store_b64 v57, v[52:53]
.LBB17_62:
	s_or_b32 exec_lo, exec_lo, s2
	s_wait_dscnt 0x0
	s_barrier_signal -1
	s_barrier_wait -1
	ds_load_b64 v[50:51], v57
	s_mov_b32 s1, exec_lo
	v_cmpx_lt_u32_e32 6, v56
	s_cbranch_execz .LBB17_64
; %bb.63:
	ds_load_2addr_b64 v[52:55], v58 offset0:7 offset1:8
	s_wait_dscnt 0x1
	v_pk_mul_f32 v[60:61], v[50:51], v[32:33] op_sel:[1,1] op_sel_hi:[0,1]
	s_delay_alu instid0(VALU_DEP_1) | instskip(SKIP_3) | instid1(VALU_DEP_3)
	v_pk_fma_f32 v[62:63], v[50:51], v[32:33], v[60:61] op_sel_hi:[1,0,1]
	v_pk_fma_f32 v[32:33], v[50:51], v[32:33], v[60:61] op_sel_hi:[1,0,1] neg_lo:[0,0,1] neg_hi:[0,0,1]
	s_wait_dscnt 0x0
	v_dual_mov_b32 v64, v55 :: v_dual_mov_b32 v65, v54
	v_pk_mul_f32 v[60:61], v[52:53], v[62:63] op_sel:[0,1]
	s_delay_alu instid0(VALU_DEP_2) | instskip(NEXT) | instid1(VALU_DEP_2)
	v_pk_mul_f32 v[64:65], v[64:65], v[62:63] op_sel:[0,1]
	v_pk_fma_f32 v[66:67], v[52:53], v[32:33], v[60:61] op_sel:[0,0,1] op_sel_hi:[1,0,0]
	v_pk_fma_f32 v[52:53], v[52:53], v[32:33], v[60:61] op_sel:[0,0,1] op_sel_hi:[1,1,0] neg_lo:[0,0,1] neg_hi:[0,0,1]
	s_delay_alu instid0(VALU_DEP_3) | instskip(SKIP_1) | instid1(VALU_DEP_4)
	v_pk_fma_f32 v[68:69], v[54:55], v[32:33], v[64:65] op_sel_hi:[1,0,1]
	v_pk_fma_f32 v[54:55], v[54:55], v[32:33], v[64:65] neg_lo:[0,0,1] neg_hi:[0,0,1]
	v_dual_mov_b32 v53, v67 :: v_dual_mov_b32 v33, v63
	s_delay_alu instid0(VALU_DEP_3) | instskip(NEXT) | instid1(VALU_DEP_2)
	v_mov_b32_e32 v55, v69
	v_pk_add_f32 v[22:23], v[22:23], v[52:53] neg_lo:[0,1] neg_hi:[0,1]
	s_delay_alu instid0(VALU_DEP_2)
	v_pk_add_f32 v[26:27], v[26:27], v[54:55] neg_lo:[0,1] neg_hi:[0,1]
.LBB17_64:
	s_or_b32 exec_lo, exec_lo, s1
	s_delay_alu instid0(SALU_CYCLE_1)
	s_mov_b32 s2, exec_lo
	s_wait_dscnt 0x0
	s_barrier_signal -1
	s_barrier_wait -1
	v_cmpx_eq_u32_e32 7, v56
	s_cbranch_execz .LBB17_71
; %bb.65:
	ds_store_b64 v57, v[22:23]
	ds_store_b64 v58, v[26:27] offset:64
	ds_load_b64 v[52:53], v57
	s_wait_dscnt 0x0
	v_cmp_neq_f32_e32 vcc_lo, 0, v52
	v_cmp_neq_f32_e64 s1, 0, v53
	s_or_b32 s1, vcc_lo, s1
	s_delay_alu instid0(SALU_CYCLE_1)
	s_and_b32 exec_lo, exec_lo, s1
	s_cbranch_execz .LBB17_71
; %bb.66:
	v_cmp_ngt_f32_e64 s1, |v52|, |v53|
                                        ; implicit-def: $vgpr54_vgpr55
	s_and_saveexec_b32 s4, s1
	s_delay_alu instid0(SALU_CYCLE_1)
	s_xor_b32 s1, exec_lo, s4
	s_cbranch_execz .LBB17_68
; %bb.67:
	v_div_scale_f32 v54, null, v53, v53, v52
	v_div_scale_f32 v60, vcc_lo, v52, v53, v52
	s_delay_alu instid0(VALU_DEP_2) | instskip(SKIP_1) | instid1(TRANS32_DEP_1)
	v_rcp_f32_e32 v55, v54
	v_nop
	v_fma_f32 v59, -v54, v55, 1.0
	s_delay_alu instid0(VALU_DEP_1) | instskip(NEXT) | instid1(VALU_DEP_1)
	v_fmac_f32_e32 v55, v59, v55
	v_mul_f32_e32 v59, v60, v55
	s_delay_alu instid0(VALU_DEP_1) | instskip(NEXT) | instid1(VALU_DEP_1)
	v_fma_f32 v61, -v54, v59, v60
	v_fmac_f32_e32 v59, v61, v55
	s_delay_alu instid0(VALU_DEP_1) | instskip(NEXT) | instid1(VALU_DEP_1)
	v_fma_f32 v54, -v54, v59, v60
	v_div_fmas_f32 v54, v54, v55, v59
	s_delay_alu instid0(VALU_DEP_1) | instskip(NEXT) | instid1(VALU_DEP_1)
	v_div_fixup_f32 v54, v54, v53, v52
	v_fmac_f32_e32 v53, v52, v54
	s_delay_alu instid0(VALU_DEP_1) | instskip(SKIP_1) | instid1(VALU_DEP_2)
	v_div_scale_f32 v52, null, v53, v53, 1.0
	v_div_scale_f32 v60, vcc_lo, 1.0, v53, 1.0
	v_rcp_f32_e32 v55, v52
	v_nop
	s_delay_alu instid0(TRANS32_DEP_1) | instskip(NEXT) | instid1(VALU_DEP_1)
	v_fma_f32 v59, -v52, v55, 1.0
	v_fmac_f32_e32 v55, v59, v55
	s_delay_alu instid0(VALU_DEP_1) | instskip(NEXT) | instid1(VALU_DEP_1)
	v_mul_f32_e32 v59, v60, v55
	v_fma_f32 v61, -v52, v59, v60
	s_delay_alu instid0(VALU_DEP_1) | instskip(NEXT) | instid1(VALU_DEP_1)
	v_fmac_f32_e32 v59, v61, v55
	v_fma_f32 v52, -v52, v59, v60
	s_delay_alu instid0(VALU_DEP_1) | instskip(NEXT) | instid1(VALU_DEP_1)
	v_div_fmas_f32 v52, v52, v55, v59
	v_div_fixup_f32 v52, v52, v53, 1.0
	s_delay_alu instid0(VALU_DEP_1)
	v_mul_f32_e32 v54, v54, v52
	v_xor_b32_e32 v55, 0x80000000, v52
                                        ; implicit-def: $vgpr52_vgpr53
.LBB17_68:
	s_and_not1_saveexec_b32 s1, s1
	s_cbranch_execz .LBB17_70
; %bb.69:
	v_div_scale_f32 v54, null, v52, v52, v53
	v_div_scale_f32 v60, vcc_lo, v53, v52, v53
	s_delay_alu instid0(VALU_DEP_2) | instskip(SKIP_1) | instid1(TRANS32_DEP_1)
	v_rcp_f32_e32 v55, v54
	v_nop
	v_fma_f32 v59, -v54, v55, 1.0
	s_delay_alu instid0(VALU_DEP_1) | instskip(NEXT) | instid1(VALU_DEP_1)
	v_fmac_f32_e32 v55, v59, v55
	v_mul_f32_e32 v59, v60, v55
	s_delay_alu instid0(VALU_DEP_1) | instskip(NEXT) | instid1(VALU_DEP_1)
	v_fma_f32 v61, -v54, v59, v60
	v_fmac_f32_e32 v59, v61, v55
	s_delay_alu instid0(VALU_DEP_1) | instskip(NEXT) | instid1(VALU_DEP_1)
	v_fma_f32 v54, -v54, v59, v60
	v_div_fmas_f32 v54, v54, v55, v59
	s_delay_alu instid0(VALU_DEP_1) | instskip(NEXT) | instid1(VALU_DEP_1)
	v_div_fixup_f32 v55, v54, v52, v53
	v_fmac_f32_e32 v52, v53, v55
	s_delay_alu instid0(VALU_DEP_1) | instskip(NEXT) | instid1(VALU_DEP_1)
	v_div_scale_f32 v53, null, v52, v52, 1.0
	v_rcp_f32_e32 v54, v53
	v_nop
	s_delay_alu instid0(TRANS32_DEP_1) | instskip(NEXT) | instid1(VALU_DEP_1)
	v_fma_f32 v59, -v53, v54, 1.0
	v_fmac_f32_e32 v54, v59, v54
	v_div_scale_f32 v59, vcc_lo, 1.0, v52, 1.0
	s_delay_alu instid0(VALU_DEP_1) | instskip(NEXT) | instid1(VALU_DEP_1)
	v_mul_f32_e32 v60, v59, v54
	v_fma_f32 v61, -v53, v60, v59
	s_delay_alu instid0(VALU_DEP_1) | instskip(NEXT) | instid1(VALU_DEP_1)
	v_fmac_f32_e32 v60, v61, v54
	v_fma_f32 v53, -v53, v60, v59
	s_delay_alu instid0(VALU_DEP_1) | instskip(NEXT) | instid1(VALU_DEP_1)
	v_div_fmas_f32 v53, v53, v54, v60
	v_div_fixup_f32 v54, v53, v52, 1.0
	s_delay_alu instid0(VALU_DEP_1)
	v_mul_f32_e64 v55, v55, -v54
.LBB17_70:
	s_or_b32 exec_lo, exec_lo, s1
	ds_store_b64 v57, v[54:55]
.LBB17_71:
	s_or_b32 exec_lo, exec_lo, s2
	s_wait_dscnt 0x0
	s_barrier_signal -1
	s_barrier_wait -1
	ds_load_b64 v[52:53], v57
	s_mov_b32 s1, exec_lo
	v_cmpx_lt_u32_e32 7, v56
	s_cbranch_execz .LBB17_73
; %bb.72:
	ds_load_b64 v[54:55], v58 offset:64
	s_wait_dscnt 0x1
	v_pk_mul_f32 v[58:59], v[52:53], v[22:23] op_sel:[1,1] op_sel_hi:[0,1]
	s_delay_alu instid0(VALU_DEP_1) | instskip(SKIP_2) | instid1(VALU_DEP_2)
	v_pk_fma_f32 v[60:61], v[52:53], v[22:23], v[58:59] op_sel_hi:[1,0,1]
	v_pk_fma_f32 v[22:23], v[52:53], v[22:23], v[58:59] op_sel_hi:[1,0,1] neg_lo:[0,0,1] neg_hi:[0,0,1]
	s_wait_dscnt 0x0
	v_pk_mul_f32 v[58:59], v[54:55], v[60:61] op_sel:[1,1] op_sel_hi:[0,1]
	s_delay_alu instid0(VALU_DEP_1) | instskip(SKIP_1) | instid1(VALU_DEP_2)
	v_pk_fma_f32 v[62:63], v[54:55], v[22:23], v[58:59] op_sel_hi:[1,0,1]
	v_pk_fma_f32 v[54:55], v[54:55], v[22:23], v[58:59] neg_lo:[0,0,1] neg_hi:[0,0,1]
	v_dual_mov_b32 v23, v61 :: v_dual_mov_b32 v55, v63
	s_delay_alu instid0(VALU_DEP_1)
	v_pk_add_f32 v[26:27], v[26:27], v[54:55] neg_lo:[0,1] neg_hi:[0,1]
.LBB17_73:
	s_or_b32 exec_lo, exec_lo, s1
	s_delay_alu instid0(SALU_CYCLE_1)
	s_mov_b32 s2, exec_lo
	s_wait_dscnt 0x0
	s_barrier_signal -1
	s_barrier_wait -1
	v_cmpx_eq_u32_e32 8, v56
	s_cbranch_execz .LBB17_80
; %bb.74:
	v_cmp_neq_f32_e32 vcc_lo, 0, v26
	v_cmp_neq_f32_e64 s1, 0, v27
	ds_store_b64 v57, v[26:27]
	s_or_b32 s1, vcc_lo, s1
	s_delay_alu instid0(SALU_CYCLE_1)
	s_and_b32 exec_lo, exec_lo, s1
	s_cbranch_execz .LBB17_80
; %bb.75:
	v_cmp_ngt_f32_e64 s1, |v26|, |v27|
                                        ; implicit-def: $vgpr54_vgpr55
	s_and_saveexec_b32 s4, s1
	s_delay_alu instid0(SALU_CYCLE_1)
	s_xor_b32 s1, exec_lo, s4
	s_cbranch_execz .LBB17_77
; %bb.76:
	v_div_scale_f32 v54, null, v27, v27, v26
	v_div_scale_f32 v59, vcc_lo, v26, v27, v26
	s_delay_alu instid0(VALU_DEP_2) | instskip(SKIP_1) | instid1(TRANS32_DEP_1)
	v_rcp_f32_e32 v55, v54
	v_nop
	v_fma_f32 v58, -v54, v55, 1.0
	s_delay_alu instid0(VALU_DEP_1) | instskip(NEXT) | instid1(VALU_DEP_1)
	v_fmac_f32_e32 v55, v58, v55
	v_mul_f32_e32 v58, v59, v55
	s_delay_alu instid0(VALU_DEP_1) | instskip(NEXT) | instid1(VALU_DEP_1)
	v_fma_f32 v60, -v54, v58, v59
	v_fmac_f32_e32 v58, v60, v55
	s_delay_alu instid0(VALU_DEP_1) | instskip(NEXT) | instid1(VALU_DEP_1)
	v_fma_f32 v54, -v54, v58, v59
	v_div_fmas_f32 v54, v54, v55, v58
	s_delay_alu instid0(VALU_DEP_1) | instskip(NEXT) | instid1(VALU_DEP_1)
	v_div_fixup_f32 v54, v54, v27, v26
	v_fma_f32 v55, v26, v54, v27
	s_delay_alu instid0(VALU_DEP_1) | instskip(SKIP_1) | instid1(VALU_DEP_2)
	v_div_scale_f32 v58, null, v55, v55, 1.0
	v_div_scale_f32 v61, vcc_lo, 1.0, v55, 1.0
	v_rcp_f32_e32 v59, v58
	v_nop
	s_delay_alu instid0(TRANS32_DEP_1) | instskip(NEXT) | instid1(VALU_DEP_1)
	v_fma_f32 v60, -v58, v59, 1.0
	v_fmac_f32_e32 v59, v60, v59
	s_delay_alu instid0(VALU_DEP_1) | instskip(NEXT) | instid1(VALU_DEP_1)
	v_mul_f32_e32 v60, v61, v59
	v_fma_f32 v62, -v58, v60, v61
	s_delay_alu instid0(VALU_DEP_1) | instskip(NEXT) | instid1(VALU_DEP_1)
	v_fmac_f32_e32 v60, v62, v59
	v_fma_f32 v58, -v58, v60, v61
	s_delay_alu instid0(VALU_DEP_1) | instskip(NEXT) | instid1(VALU_DEP_1)
	v_div_fmas_f32 v58, v58, v59, v60
	v_div_fixup_f32 v55, v58, v55, 1.0
	s_delay_alu instid0(VALU_DEP_1)
	v_mul_f32_e32 v54, v54, v55
	v_xor_b32_e32 v55, 0x80000000, v55
.LBB17_77:
	s_and_not1_saveexec_b32 s1, s1
	s_cbranch_execz .LBB17_79
; %bb.78:
	v_div_scale_f32 v54, null, v26, v26, v27
	v_div_scale_f32 v59, vcc_lo, v27, v26, v27
	s_delay_alu instid0(VALU_DEP_2) | instskip(SKIP_1) | instid1(TRANS32_DEP_1)
	v_rcp_f32_e32 v55, v54
	v_nop
	v_fma_f32 v58, -v54, v55, 1.0
	s_delay_alu instid0(VALU_DEP_1) | instskip(NEXT) | instid1(VALU_DEP_1)
	v_fmac_f32_e32 v55, v58, v55
	v_mul_f32_e32 v58, v59, v55
	s_delay_alu instid0(VALU_DEP_1) | instskip(NEXT) | instid1(VALU_DEP_1)
	v_fma_f32 v60, -v54, v58, v59
	v_fmac_f32_e32 v58, v60, v55
	s_delay_alu instid0(VALU_DEP_1) | instskip(NEXT) | instid1(VALU_DEP_1)
	v_fma_f32 v54, -v54, v58, v59
	v_div_fmas_f32 v54, v54, v55, v58
	s_delay_alu instid0(VALU_DEP_1) | instskip(NEXT) | instid1(VALU_DEP_1)
	v_div_fixup_f32 v55, v54, v26, v27
	v_fma_f32 v54, v27, v55, v26
	s_delay_alu instid0(VALU_DEP_1) | instskip(NEXT) | instid1(VALU_DEP_1)
	v_div_scale_f32 v58, null, v54, v54, 1.0
	v_rcp_f32_e32 v59, v58
	v_nop
	s_delay_alu instid0(TRANS32_DEP_1) | instskip(NEXT) | instid1(VALU_DEP_1)
	v_fma_f32 v60, -v58, v59, 1.0
	v_fmac_f32_e32 v59, v60, v59
	v_div_scale_f32 v60, vcc_lo, 1.0, v54, 1.0
	s_delay_alu instid0(VALU_DEP_1) | instskip(NEXT) | instid1(VALU_DEP_1)
	v_mul_f32_e32 v61, v60, v59
	v_fma_f32 v62, -v58, v61, v60
	s_delay_alu instid0(VALU_DEP_1) | instskip(NEXT) | instid1(VALU_DEP_1)
	v_fmac_f32_e32 v61, v62, v59
	v_fma_f32 v58, -v58, v61, v60
	s_delay_alu instid0(VALU_DEP_1) | instskip(NEXT) | instid1(VALU_DEP_1)
	v_div_fmas_f32 v58, v58, v59, v61
	v_div_fixup_f32 v54, v58, v54, 1.0
	s_delay_alu instid0(VALU_DEP_1)
	v_mul_f32_e64 v55, v55, -v54
.LBB17_79:
	s_or_b32 exec_lo, exec_lo, s1
	ds_store_b64 v57, v[54:55]
.LBB17_80:
	s_or_b32 exec_lo, exec_lo, s2
	s_wait_dscnt 0x0
	s_barrier_signal -1
	s_barrier_wait -1
	ds_load_b64 v[54:55], v57
	s_wait_dscnt 0x0
	s_barrier_signal -1
	s_barrier_wait -1
	s_and_saveexec_b32 s4, s0
	s_cbranch_execz .LBB17_83
; %bb.81:
	v_lshl_add_u64 v[2:3], v[2:3], 2, s[6:7]
	v_cmp_eq_f32_e32 vcc_lo, 0, v38
	v_cmp_eq_f32_e64 s0, 0, v39
	v_cmp_neq_f32_e64 s1, 0, v40
	v_cmp_neq_f32_e64 s2, 0, v41
	global_load_b32 v57, v[2:3], off
	s_and_b32 s0, vcc_lo, s0
	s_delay_alu instid0(SALU_CYCLE_1) | instskip(SKIP_1) | instid1(SALU_CYCLE_1)
	v_cndmask_b32_e64 v38, 0, 1, s0
	s_or_b32 s1, s1, s2
	s_or_b32 vcc_lo, s1, s0
	v_cmp_eq_f32_e64 s0, 0, v43
	s_delay_alu instid0(VALU_DEP_2) | instskip(SKIP_1) | instid1(VALU_DEP_2)
	v_cndmask_b32_e32 v38, 2, v38, vcc_lo
	v_cmp_eq_f32_e32 vcc_lo, 0, v42
	v_cmp_eq_u32_e64 s1, 0, v38
	s_and_b32 s0, vcc_lo, s0
	v_cmp_eq_f32_e32 vcc_lo, 0, v44
	s_and_b32 s0, s0, s1
	s_delay_alu instid0(SALU_CYCLE_1) | instskip(SKIP_1) | instid1(VALU_DEP_2)
	v_cndmask_b32_e64 v38, v38, 3, s0
	v_cmp_eq_f32_e64 s0, 0, v45
	v_cmp_eq_u32_e64 s1, 0, v38
	s_and_b32 s0, vcc_lo, s0
	v_cmp_eq_f32_e32 vcc_lo, 0, v46
	s_and_b32 s0, s0, s1
	s_delay_alu instid0(SALU_CYCLE_1) | instskip(SKIP_1) | instid1(VALU_DEP_2)
	v_cndmask_b32_e64 v38, v38, 4, s0
	v_cmp_eq_f32_e64 s0, 0, v47
	;; [unrolled: 7-line block ×6, first 2 shown]
	v_cmp_eq_u32_e64 s1, 0, v38
	s_and_b32 s0, vcc_lo, s0
	s_delay_alu instid0(SALU_CYCLE_1) | instskip(NEXT) | instid1(SALU_CYCLE_1)
	s_and_b32 s0, s0, s1
	v_cndmask_b32_e64 v38, v38, 9, s0
	s_delay_alu instid0(VALU_DEP_1) | instskip(SKIP_3) | instid1(SALU_CYCLE_1)
	v_cmp_ne_u32_e64 s0, 0, v38
	s_wait_loadcnt 0x0
	v_cmp_eq_u32_e32 vcc_lo, 0, v57
	s_and_b32 s0, vcc_lo, s0
	s_and_b32 exec_lo, exec_lo, s0
	s_cbranch_execz .LBB17_83
; %bb.82:
	v_add_nc_u32_e32 v38, s3, v38
	global_store_b32 v[2:3], v38, off
.LBB17_83:
	s_wait_xcnt 0x0
	s_or_b32 exec_lo, exec_lo, s4
	v_pk_mul_f32 v[2:3], v[54:55], v[26:27] op_sel:[1,1] op_sel_hi:[0,1]
	v_cmp_lt_u32_e32 vcc_lo, 8, v56
	s_clause 0x2
	global_store_b64 v[16:17], v[28:29], off
	global_store_b64 v[20:21], v[30:31], off
	;; [unrolled: 1-line block ×3, first 2 shown]
	v_pk_fma_f32 v[38:39], v[54:55], v[26:27], v[2:3] op_sel_hi:[1,0,1]
	v_pk_fma_f32 v[2:3], v[54:55], v[26:27], v[2:3] neg_lo:[0,0,1] neg_hi:[0,0,1]
	s_delay_alu instid0(VALU_DEP_1)
	v_dual_cndmask_b32 v3, v27, v39 :: v_dual_cndmask_b32 v2, v26, v2
	s_clause 0x5
	global_store_b64 v[0:1], v[24:25], off
	global_store_b64 v[4:5], v[18:19], off
	;; [unrolled: 1-line block ×6, first 2 shown]
.LBB17_84:
	s_sendmsg sendmsg(MSG_DEALLOC_VGPRS)
	s_endpgm
	.section	.rodata,"a",@progbits
	.p2align	6, 0x0
	.amdhsa_kernel _ZN9rocsolver6v33100L23getf2_npvt_small_kernelILi9E19rocblas_complex_numIfEiiPS3_EEvT1_T3_lS5_lPT2_S5_S5_
		.amdhsa_group_segment_fixed_size 0
		.amdhsa_private_segment_fixed_size 0
		.amdhsa_kernarg_size 312
		.amdhsa_user_sgpr_count 2
		.amdhsa_user_sgpr_dispatch_ptr 0
		.amdhsa_user_sgpr_queue_ptr 0
		.amdhsa_user_sgpr_kernarg_segment_ptr 1
		.amdhsa_user_sgpr_dispatch_id 0
		.amdhsa_user_sgpr_kernarg_preload_length 0
		.amdhsa_user_sgpr_kernarg_preload_offset 0
		.amdhsa_user_sgpr_private_segment_size 0
		.amdhsa_wavefront_size32 1
		.amdhsa_uses_dynamic_stack 0
		.amdhsa_enable_private_segment 0
		.amdhsa_system_sgpr_workgroup_id_x 1
		.amdhsa_system_sgpr_workgroup_id_y 1
		.amdhsa_system_sgpr_workgroup_id_z 0
		.amdhsa_system_sgpr_workgroup_info 0
		.amdhsa_system_vgpr_workitem_id 1
		.amdhsa_next_free_vgpr 72
		.amdhsa_next_free_sgpr 16
		.amdhsa_named_barrier_count 0
		.amdhsa_reserve_vcc 1
		.amdhsa_float_round_mode_32 0
		.amdhsa_float_round_mode_16_64 0
		.amdhsa_float_denorm_mode_32 3
		.amdhsa_float_denorm_mode_16_64 3
		.amdhsa_fp16_overflow 0
		.amdhsa_memory_ordered 1
		.amdhsa_forward_progress 1
		.amdhsa_inst_pref_size 69
		.amdhsa_round_robin_scheduling 0
		.amdhsa_exception_fp_ieee_invalid_op 0
		.amdhsa_exception_fp_denorm_src 0
		.amdhsa_exception_fp_ieee_div_zero 0
		.amdhsa_exception_fp_ieee_overflow 0
		.amdhsa_exception_fp_ieee_underflow 0
		.amdhsa_exception_fp_ieee_inexact 0
		.amdhsa_exception_int_div_zero 0
	.end_amdhsa_kernel
	.section	.text._ZN9rocsolver6v33100L23getf2_npvt_small_kernelILi9E19rocblas_complex_numIfEiiPS3_EEvT1_T3_lS5_lPT2_S5_S5_,"axG",@progbits,_ZN9rocsolver6v33100L23getf2_npvt_small_kernelILi9E19rocblas_complex_numIfEiiPS3_EEvT1_T3_lS5_lPT2_S5_S5_,comdat
.Lfunc_end17:
	.size	_ZN9rocsolver6v33100L23getf2_npvt_small_kernelILi9E19rocblas_complex_numIfEiiPS3_EEvT1_T3_lS5_lPT2_S5_S5_, .Lfunc_end17-_ZN9rocsolver6v33100L23getf2_npvt_small_kernelILi9E19rocblas_complex_numIfEiiPS3_EEvT1_T3_lS5_lPT2_S5_S5_
                                        ; -- End function
	.set _ZN9rocsolver6v33100L23getf2_npvt_small_kernelILi9E19rocblas_complex_numIfEiiPS3_EEvT1_T3_lS5_lPT2_S5_S5_.num_vgpr, 72
	.set _ZN9rocsolver6v33100L23getf2_npvt_small_kernelILi9E19rocblas_complex_numIfEiiPS3_EEvT1_T3_lS5_lPT2_S5_S5_.num_agpr, 0
	.set _ZN9rocsolver6v33100L23getf2_npvt_small_kernelILi9E19rocblas_complex_numIfEiiPS3_EEvT1_T3_lS5_lPT2_S5_S5_.numbered_sgpr, 16
	.set _ZN9rocsolver6v33100L23getf2_npvt_small_kernelILi9E19rocblas_complex_numIfEiiPS3_EEvT1_T3_lS5_lPT2_S5_S5_.num_named_barrier, 0
	.set _ZN9rocsolver6v33100L23getf2_npvt_small_kernelILi9E19rocblas_complex_numIfEiiPS3_EEvT1_T3_lS5_lPT2_S5_S5_.private_seg_size, 0
	.set _ZN9rocsolver6v33100L23getf2_npvt_small_kernelILi9E19rocblas_complex_numIfEiiPS3_EEvT1_T3_lS5_lPT2_S5_S5_.uses_vcc, 1
	.set _ZN9rocsolver6v33100L23getf2_npvt_small_kernelILi9E19rocblas_complex_numIfEiiPS3_EEvT1_T3_lS5_lPT2_S5_S5_.uses_flat_scratch, 0
	.set _ZN9rocsolver6v33100L23getf2_npvt_small_kernelILi9E19rocblas_complex_numIfEiiPS3_EEvT1_T3_lS5_lPT2_S5_S5_.has_dyn_sized_stack, 0
	.set _ZN9rocsolver6v33100L23getf2_npvt_small_kernelILi9E19rocblas_complex_numIfEiiPS3_EEvT1_T3_lS5_lPT2_S5_S5_.has_recursion, 0
	.set _ZN9rocsolver6v33100L23getf2_npvt_small_kernelILi9E19rocblas_complex_numIfEiiPS3_EEvT1_T3_lS5_lPT2_S5_S5_.has_indirect_call, 0
	.section	.AMDGPU.csdata,"",@progbits
; Kernel info:
; codeLenInByte = 8712
; TotalNumSgprs: 18
; NumVgprs: 72
; ScratchSize: 0
; MemoryBound: 0
; FloatMode: 240
; IeeeMode: 1
; LDSByteSize: 0 bytes/workgroup (compile time only)
; SGPRBlocks: 0
; VGPRBlocks: 4
; NumSGPRsForWavesPerEU: 18
; NumVGPRsForWavesPerEU: 72
; NamedBarCnt: 0
; Occupancy: 12
; WaveLimiterHint : 0
; COMPUTE_PGM_RSRC2:SCRATCH_EN: 0
; COMPUTE_PGM_RSRC2:USER_SGPR: 2
; COMPUTE_PGM_RSRC2:TRAP_HANDLER: 0
; COMPUTE_PGM_RSRC2:TGID_X_EN: 1
; COMPUTE_PGM_RSRC2:TGID_Y_EN: 1
; COMPUTE_PGM_RSRC2:TGID_Z_EN: 0
; COMPUTE_PGM_RSRC2:TIDIG_COMP_CNT: 1
	.section	.text._ZN9rocsolver6v33100L18getf2_small_kernelILi10E19rocblas_complex_numIfEiiPS3_EEvT1_T3_lS5_lPS5_llPT2_S5_S5_S7_l,"axG",@progbits,_ZN9rocsolver6v33100L18getf2_small_kernelILi10E19rocblas_complex_numIfEiiPS3_EEvT1_T3_lS5_lPS5_llPT2_S5_S5_S7_l,comdat
	.globl	_ZN9rocsolver6v33100L18getf2_small_kernelILi10E19rocblas_complex_numIfEiiPS3_EEvT1_T3_lS5_lPS5_llPT2_S5_S5_S7_l ; -- Begin function _ZN9rocsolver6v33100L18getf2_small_kernelILi10E19rocblas_complex_numIfEiiPS3_EEvT1_T3_lS5_lPS5_llPT2_S5_S5_S7_l
	.p2align	8
	.type	_ZN9rocsolver6v33100L18getf2_small_kernelILi10E19rocblas_complex_numIfEiiPS3_EEvT1_T3_lS5_lPS5_llPT2_S5_S5_S7_l,@function
_ZN9rocsolver6v33100L18getf2_small_kernelILi10E19rocblas_complex_numIfEiiPS3_EEvT1_T3_lS5_lPS5_llPT2_S5_S5_S7_l: ; @_ZN9rocsolver6v33100L18getf2_small_kernelILi10E19rocblas_complex_numIfEiiPS3_EEvT1_T3_lS5_lPS5_llPT2_S5_S5_S7_l
; %bb.0:
	s_clause 0x1
	s_load_u16 s2, s[0:1], 0x6e
	s_load_b64 s[12:13], s[0:1], 0x48
	s_bfe_u32 s3, ttmp6, 0x40010
	s_bfe_u32 s4, ttmp6, 0x40004
	s_add_co_i32 s3, s3, 1
	s_getreg_b32 s5, hwreg(HW_REG_IB_STS2, 6, 4)
	s_mul_i32 s3, ttmp7, s3
	v_bfe_u32 v28, v0, 10, 10
	s_add_co_i32 s4, s4, s3
	s_cmp_eq_u32 s5, 0
	s_cselect_b32 s3, ttmp7, s4
	s_wait_kmcnt 0x0
	v_mad_u32 v2, s3, s2, v28
	s_mov_b32 s2, exec_lo
	s_delay_alu instid0(VALU_DEP_1)
	v_cmpx_gt_i32_e64 s12, v2
	s_cbranch_execz .LBB18_211
; %bb.1:
	s_load_b128 s[4:7], s[0:1], 0x50
	v_mov_b64_e32 v[22:23], 0
	v_ashrrev_i32_e32 v3, 31, v2
	s_wait_kmcnt 0x0
	s_cmp_eq_u64 s[4:5], 0
	s_cselect_b32 s12, -1, 0
	s_delay_alu instid0(SALU_CYCLE_1)
	s_and_b32 vcc_lo, exec_lo, s12
	s_cbranch_vccnz .LBB18_3
; %bb.2:
	v_mul_u64_e32 v[4:5], s[6:7], v[2:3]
	s_delay_alu instid0(VALU_DEP_1)
	v_lshl_add_u64 v[22:23], v[4:5], 2, s[4:5]
.LBB18_3:
	s_clause 0x2
	s_load_b256 s[4:11], s[0:1], 0x20
	s_load_b32 s2, s[0:1], 0x18
	s_load_b128 s[16:19], s[0:1], 0x8
	v_and_b32_e32 v32, 0x3ff, v0
	s_load_b32 s14, s[0:1], 0x0
	v_mov_b32_e32 v27, 0
	s_wait_kmcnt 0x0
	v_mul_u64_e32 v[4:5], s[4:5], v[2:3]
	v_add3_u32 v6, s2, s2, v32
	s_ashr_i32 s3, s2, 31
	s_max_i32 s4, s14, 10
	s_cmp_lt_i32 s14, 2
	s_delay_alu instid0(VALU_DEP_1) | instskip(NEXT) | instid1(VALU_DEP_1)
	v_dual_add_nc_u32 v8, s2, v6 :: v_dual_ashrrev_i32 v7, 31, v6
	v_add_nc_u32_e32 v10, s2, v8
	s_delay_alu instid0(VALU_DEP_1) | instskip(SKIP_1) | instid1(VALU_DEP_2)
	v_dual_lshlrev_b32 v26, 3, v32 :: v_dual_add_nc_u32 v14, s2, v10
	v_dual_ashrrev_i32 v9, 31, v8 :: v_dual_ashrrev_i32 v11, 31, v10
	v_dual_add_nc_u32 v16, s2, v14 :: v_dual_ashrrev_i32 v15, 31, v14
	s_delay_alu instid0(VALU_DEP_1) | instskip(SKIP_1) | instid1(VALU_DEP_1)
	v_dual_add_nc_u32 v24, s2, v16 :: v_dual_ashrrev_i32 v17, 31, v16
	v_lshl_add_u64 v[0:1], v[4:5], 3, s[16:17]
	v_lshl_add_u64 v[0:1], s[18:19], 3, v[0:1]
	s_delay_alu instid0(VALU_DEP_1)
	v_add_nc_u64_e32 v[12:13], v[0:1], v[26:27]
	v_lshl_add_u64 v[18:19], v[6:7], 3, v[0:1]
	v_lshl_add_u64 v[8:9], v[8:9], 3, v[0:1]
	s_clause 0x2
	global_load_b64 v[6:7], v[18:19], off
	global_load_b64 v[4:5], v[8:9], off
	;; [unrolled: 1-line block ×3, first 2 shown]
	s_wait_xcnt 0x1
	v_lshl_add_u64 v[8:9], s[2:3], 3, v[12:13]
	v_dual_add_nc_u32 v18, s2, v24 :: v_dual_ashrrev_i32 v25, 31, v24
	v_lshl_add_u64 v[30:31], v[10:11], 3, v[0:1]
	v_lshl_add_u64 v[34:35], v[14:15], 3, v[0:1]
	global_load_b64 v[12:13], v[8:9], off
	s_wait_xcnt 0x0
	v_dual_add_nc_u32 v8, s2, v18 :: v_dual_ashrrev_i32 v19, 31, v18
	v_lshl_add_u64 v[38:39], v[24:25], 3, v[0:1]
	v_lshl_add_u64 v[36:37], v[16:17], 3, v[0:1]
	s_delay_alu instid0(VALU_DEP_3) | instskip(NEXT) | instid1(VALU_DEP_4)
	v_ashrrev_i32_e32 v9, 31, v8
	v_lshl_add_u64 v[40:41], v[18:19], 3, v[0:1]
	s_delay_alu instid0(VALU_DEP_2)
	v_lshl_add_u64 v[42:43], v[8:9], 3, v[0:1]
	s_clause 0x5
	global_load_b64 v[18:19], v[30:31], off
	global_load_b64 v[8:9], v[34:35], off
	;; [unrolled: 1-line block ×6, first 2 shown]
	s_wait_xcnt 0x5
	v_mul_lo_u32 v31, s4, v28
	s_load_b64 s[4:5], s[0:1], 0x40
	s_delay_alu instid0(VALU_DEP_1) | instskip(NEXT) | instid1(VALU_DEP_1)
	v_lshl_add_u32 v30, v31, 3, 0
	v_dual_lshlrev_b32 v31, 3, v31 :: v_dual_add_nc_u32 v26, v30, v26
	s_wait_loadcnt 0x7
	ds_store_b64 v26, v[20:21]
	s_wait_loadcnt_dscnt 0x0
	s_barrier_signal -1
	s_barrier_wait -1
	ds_load_b64 v[28:29], v30
	s_cbranch_scc1 .LBB18_6
; %bb.4:
	v_add3_u32 v26, v31, 0, 8
	v_mov_b32_e32 v27, 0
	s_wait_xcnt 0x0
	s_mov_b32 s0, 1
.LBB18_5:                               ; =>This Inner Loop Header: Depth=1
	ds_load_b64 v[34:35], v26
	s_wait_dscnt 0x1
	v_cmp_gt_f32_e32 vcc_lo, 0, v28
	v_cndmask_b32_e64 v36, v28, -v28, vcc_lo
	v_cmp_gt_f32_e32 vcc_lo, 0, v29
	v_cndmask_b32_e64 v38, v29, -v29, vcc_lo
	s_wait_dscnt 0x0
	v_cmp_gt_f32_e32 vcc_lo, 0, v34
	v_cndmask_b32_e64 v37, v34, -v34, vcc_lo
	v_cmp_gt_f32_e32 vcc_lo, 0, v35
	v_cndmask_b32_e64 v39, v35, -v35, vcc_lo
	s_delay_alu instid0(VALU_DEP_1) | instskip(NEXT) | instid1(VALU_DEP_1)
	v_pk_add_f32 v[36:37], v[36:37], v[38:39]
	v_cmp_lt_f32_e32 vcc_lo, v36, v37
	v_dual_cndmask_b32 v29, v29, v35 :: v_dual_add_nc_u32 v26, 8, v26
	v_cndmask_b32_e32 v28, v28, v34, vcc_lo
	v_cndmask_b32_e64 v27, v27, s0, vcc_lo
	s_add_co_i32 s0, s0, 1
	s_delay_alu instid0(SALU_CYCLE_1)
	s_cmp_eq_u32 s14, s0
	s_cbranch_scc0 .LBB18_5
.LBB18_6:
	s_wait_dscnt 0x0
	v_cmp_neq_f32_e32 vcc_lo, 0, v28
	s_wait_xcnt 0x0
	v_cmp_neq_f32_e64 s0, 0, v29
	v_dual_mov_b32 v33, 1 :: v_dual_mov_b32 v35, 1
	s_or_b32 s1, vcc_lo, s0
	s_delay_alu instid0(SALU_CYCLE_1)
	s_and_saveexec_b32 s0, s1
	s_cbranch_execz .LBB18_12
; %bb.7:
	v_cmp_ngt_f32_e64 s1, |v28|, |v29|
	s_and_saveexec_b32 s15, s1
	s_delay_alu instid0(SALU_CYCLE_1)
	s_xor_b32 s1, exec_lo, s15
	s_cbranch_execz .LBB18_9
; %bb.8:
	v_div_scale_f32 v26, null, v29, v29, v28
	v_div_scale_f32 v35, vcc_lo, v28, v29, v28
	s_delay_alu instid0(VALU_DEP_2) | instskip(SKIP_1) | instid1(TRANS32_DEP_1)
	v_rcp_f32_e32 v33, v26
	v_nop
	v_fma_f32 v34, -v26, v33, 1.0
	s_delay_alu instid0(VALU_DEP_1) | instskip(NEXT) | instid1(VALU_DEP_1)
	v_fmac_f32_e32 v33, v34, v33
	v_mul_f32_e32 v34, v35, v33
	s_delay_alu instid0(VALU_DEP_1) | instskip(NEXT) | instid1(VALU_DEP_1)
	v_fma_f32 v36, -v26, v34, v35
	v_fmac_f32_e32 v34, v36, v33
	s_delay_alu instid0(VALU_DEP_1) | instskip(NEXT) | instid1(VALU_DEP_1)
	v_fma_f32 v26, -v26, v34, v35
	v_div_fmas_f32 v26, v26, v33, v34
	s_delay_alu instid0(VALU_DEP_1) | instskip(NEXT) | instid1(VALU_DEP_1)
	v_div_fixup_f32 v26, v26, v29, v28
	v_fmac_f32_e32 v29, v28, v26
	s_delay_alu instid0(VALU_DEP_1) | instskip(SKIP_1) | instid1(VALU_DEP_2)
	v_div_scale_f32 v28, null, v29, v29, 1.0
	v_div_scale_f32 v35, vcc_lo, 1.0, v29, 1.0
	v_rcp_f32_e32 v33, v28
	v_nop
	s_delay_alu instid0(TRANS32_DEP_1) | instskip(NEXT) | instid1(VALU_DEP_1)
	v_fma_f32 v34, -v28, v33, 1.0
	v_fmac_f32_e32 v33, v34, v33
	s_delay_alu instid0(VALU_DEP_1) | instskip(NEXT) | instid1(VALU_DEP_1)
	v_mul_f32_e32 v34, v35, v33
	v_fma_f32 v36, -v28, v34, v35
	s_delay_alu instid0(VALU_DEP_1) | instskip(NEXT) | instid1(VALU_DEP_1)
	v_fmac_f32_e32 v34, v36, v33
	v_fma_f32 v28, -v28, v34, v35
	s_delay_alu instid0(VALU_DEP_1) | instskip(NEXT) | instid1(VALU_DEP_1)
	v_div_fmas_f32 v28, v28, v33, v34
	v_div_fixup_f32 v29, v28, v29, 1.0
	s_delay_alu instid0(VALU_DEP_1)
	v_mul_f32_e32 v28, v26, v29
	v_xor_b32_e32 v29, 0x80000000, v29
.LBB18_9:
	s_and_not1_saveexec_b32 s1, s1
	s_cbranch_execz .LBB18_11
; %bb.10:
	s_delay_alu instid0(VALU_DEP_1) | instskip(SKIP_1) | instid1(VALU_DEP_2)
	v_div_scale_f32 v26, null, v28, v28, v29
	v_div_scale_f32 v35, vcc_lo, v29, v28, v29
	v_rcp_f32_e32 v33, v26
	v_nop
	s_delay_alu instid0(TRANS32_DEP_1) | instskip(NEXT) | instid1(VALU_DEP_1)
	v_fma_f32 v34, -v26, v33, 1.0
	v_fmac_f32_e32 v33, v34, v33
	s_delay_alu instid0(VALU_DEP_1) | instskip(NEXT) | instid1(VALU_DEP_1)
	v_mul_f32_e32 v34, v35, v33
	v_fma_f32 v36, -v26, v34, v35
	s_delay_alu instid0(VALU_DEP_1) | instskip(NEXT) | instid1(VALU_DEP_1)
	v_fmac_f32_e32 v34, v36, v33
	v_fma_f32 v26, -v26, v34, v35
	s_delay_alu instid0(VALU_DEP_1) | instskip(NEXT) | instid1(VALU_DEP_1)
	v_div_fmas_f32 v26, v26, v33, v34
	v_div_fixup_f32 v26, v26, v28, v29
	s_delay_alu instid0(VALU_DEP_1) | instskip(NEXT) | instid1(VALU_DEP_1)
	v_fmac_f32_e32 v28, v29, v26
	v_div_scale_f32 v29, null, v28, v28, 1.0
	s_delay_alu instid0(VALU_DEP_1) | instskip(SKIP_1) | instid1(TRANS32_DEP_1)
	v_rcp_f32_e32 v33, v29
	v_nop
	v_fma_f32 v34, -v29, v33, 1.0
	s_delay_alu instid0(VALU_DEP_1) | instskip(SKIP_1) | instid1(VALU_DEP_1)
	v_fmac_f32_e32 v33, v34, v33
	v_div_scale_f32 v34, vcc_lo, 1.0, v28, 1.0
	v_mul_f32_e32 v35, v34, v33
	s_delay_alu instid0(VALU_DEP_1) | instskip(NEXT) | instid1(VALU_DEP_1)
	v_fma_f32 v36, -v29, v35, v34
	v_fmac_f32_e32 v35, v36, v33
	s_delay_alu instid0(VALU_DEP_1) | instskip(NEXT) | instid1(VALU_DEP_1)
	v_fma_f32 v29, -v29, v35, v34
	v_div_fmas_f32 v29, v29, v33, v35
	s_delay_alu instid0(VALU_DEP_1) | instskip(NEXT) | instid1(VALU_DEP_1)
	v_div_fixup_f32 v28, v29, v28, 1.0
	v_mul_f32_e64 v29, v26, -v28
.LBB18_11:
	s_or_b32 exec_lo, exec_lo, s1
	v_dual_mov_b32 v35, 0 :: v_dual_mov_b32 v33, 2
.LBB18_12:
	s_or_b32 exec_lo, exec_lo, s0
	s_delay_alu instid0(SALU_CYCLE_1)
	s_mov_b32 s0, exec_lo
	v_cmpx_ne_u32_e64 v32, v27
	s_xor_b32 s0, exec_lo, s0
	s_cbranch_execz .LBB18_18
; %bb.13:
	s_mov_b32 s1, exec_lo
	v_cmpx_eq_u32_e32 0, v32
	s_cbranch_execz .LBB18_17
; %bb.14:
	v_cmp_ne_u32_e32 vcc_lo, 0, v27
	s_xor_b32 s15, s12, -1
	s_delay_alu instid0(SALU_CYCLE_1) | instskip(NEXT) | instid1(SALU_CYCLE_1)
	s_and_b32 s16, s15, vcc_lo
	s_and_saveexec_b32 s15, s16
	s_cbranch_execz .LBB18_16
; %bb.15:
	v_dual_mov_b32 v36, v27 :: v_dual_ashrrev_i32 v37, 31, v27
	s_delay_alu instid0(VALU_DEP_1)
	v_lshl_add_u64 v[36:37], v[36:37], 2, v[22:23]
	s_clause 0x1
	global_load_b32 v26, v[36:37], off
	global_load_b32 v32, v[22:23], off
	s_wait_loadcnt 0x1
	global_store_b32 v[22:23], v26, off
	s_wait_loadcnt 0x0
	global_store_b32 v[36:37], v32, off
.LBB18_16:
	s_wait_xcnt 0x0
	s_or_b32 exec_lo, exec_lo, s15
	v_mov_b32_e32 v32, v27
.LBB18_17:
	s_or_b32 exec_lo, exec_lo, s1
.LBB18_18:
	s_or_saveexec_b32 s0, s0
	s_delay_alu instid0(VALU_DEP_1)
	v_mov_b32_e32 v34, v32
	s_xor_b32 exec_lo, exec_lo, s0
	s_cbranch_execz .LBB18_20
; %bb.19:
	v_mov_b32_e32 v34, 0
	ds_store_2addr_b64 v30, v[12:13], v[6:7] offset0:1 offset1:2
	ds_store_2addr_b64 v30, v[4:5], v[18:19] offset0:3 offset1:4
	;; [unrolled: 1-line block ×4, first 2 shown]
	ds_store_b64 v30, v[24:25] offset:72
.LBB18_20:
	s_or_b32 exec_lo, exec_lo, s0
	s_delay_alu instid0(SALU_CYCLE_1)
	s_mov_b32 s0, exec_lo
	s_wait_storecnt_dscnt 0x0
	s_barrier_signal -1
	s_barrier_wait -1
	v_cmpx_lt_i32_e32 0, v34
	s_cbranch_execz .LBB18_22
; %bb.21:
	v_pk_mul_f32 v[26:27], v[28:29], v[20:21] op_sel:[1,1] op_sel_hi:[0,1]
	s_delay_alu instid0(VALU_DEP_1)
	v_pk_fma_f32 v[36:37], v[28:29], v[20:21], v[26:27] op_sel_hi:[1,0,1] neg_lo:[0,0,1] neg_hi:[0,0,1]
	v_pk_fma_f32 v[38:39], v[28:29], v[20:21], v[26:27] op_sel_hi:[1,0,1]
	ds_load_2addr_b64 v[26:29], v30 offset0:1 offset1:2
	v_dual_mov_b32 v20, v36 :: v_dual_mov_b32 v21, v39
	s_wait_dscnt 0x0
	v_pk_mul_f32 v[40:41], v[26:27], v[38:39] op_sel:[0,1]
	s_delay_alu instid0(VALU_DEP_1) | instskip(SKIP_1) | instid1(VALU_DEP_1)
	v_pk_fma_f32 v[42:43], v[26:27], v[36:37], v[40:41] op_sel:[0,0,1] op_sel_hi:[1,1,0] neg_lo:[0,0,1] neg_hi:[0,0,1]
	v_pk_fma_f32 v[26:27], v[26:27], v[36:37], v[40:41] op_sel:[0,0,1] op_sel_hi:[1,0,0]
	v_mov_b32_e32 v43, v27
	v_pk_mul_f32 v[26:27], v[28:29], v[38:39] op_sel:[0,1]
	s_delay_alu instid0(VALU_DEP_1) | instskip(SKIP_1) | instid1(VALU_DEP_1)
	v_pk_fma_f32 v[40:41], v[28:29], v[36:37], v[26:27] op_sel:[0,0,1] op_sel_hi:[1,1,0] neg_lo:[0,0,1] neg_hi:[0,0,1]
	v_pk_fma_f32 v[26:27], v[28:29], v[36:37], v[26:27] op_sel:[0,0,1] op_sel_hi:[1,0,0]
	v_mov_b32_e32 v41, v27
	ds_load_2addr_b64 v[26:29], v30 offset0:3 offset1:4
	v_pk_add_f32 v[12:13], v[12:13], v[42:43] neg_lo:[0,1] neg_hi:[0,1]
	v_pk_add_f32 v[6:7], v[6:7], v[40:41] neg_lo:[0,1] neg_hi:[0,1]
	s_wait_dscnt 0x0
	v_pk_mul_f32 v[40:41], v[26:27], v[38:39] op_sel:[0,1]
	s_delay_alu instid0(VALU_DEP_1) | instskip(SKIP_2) | instid1(VALU_DEP_2)
	v_pk_fma_f32 v[42:43], v[26:27], v[36:37], v[40:41] op_sel:[0,0,1] op_sel_hi:[1,1,0] neg_lo:[0,0,1] neg_hi:[0,0,1]
	v_pk_fma_f32 v[26:27], v[26:27], v[36:37], v[40:41] op_sel:[0,0,1] op_sel_hi:[1,0,0]
	v_dual_mul_f32 v40, v29, v39 :: v_dual_mov_b32 v26, v29
	v_dual_mov_b32 v43, v27 :: v_dual_mov_b32 v27, v28
	s_delay_alu instid0(VALU_DEP_2) | instskip(SKIP_1) | instid1(VALU_DEP_3)
	v_pk_fma_f32 v[40:41], v[28:29], v[20:21], v[40:41] op_sel_hi:[1,1,0] neg_lo:[0,0,1] neg_hi:[0,0,1]
	v_mul_f32_e32 v28, v29, v36
	v_pk_add_f32 v[4:5], v[4:5], v[42:43] neg_lo:[0,1] neg_hi:[0,1]
	s_delay_alu instid0(VALU_DEP_2) | instskip(NEXT) | instid1(VALU_DEP_1)
	v_pk_fma_f32 v[26:27], v[26:27], v[20:21], v[28:29] op_sel_hi:[1,1,0]
	v_mov_b32_e32 v41, v27
	ds_load_2addr_b64 v[26:29], v30 offset0:5 offset1:6
	v_pk_add_f32 v[18:19], v[18:19], v[40:41] neg_lo:[0,1] neg_hi:[0,1]
	s_wait_dscnt 0x0
	v_pk_mul_f32 v[40:41], v[26:27], v[38:39] op_sel:[0,1]
	s_delay_alu instid0(VALU_DEP_1) | instskip(SKIP_1) | instid1(VALU_DEP_1)
	v_pk_fma_f32 v[42:43], v[26:27], v[36:37], v[40:41] op_sel:[0,0,1] op_sel_hi:[1,1,0] neg_lo:[0,0,1] neg_hi:[0,0,1]
	v_pk_fma_f32 v[26:27], v[26:27], v[36:37], v[40:41] op_sel:[0,0,1] op_sel_hi:[1,0,0]
	v_mov_b32_e32 v43, v27
	v_pk_mul_f32 v[26:27], v[28:29], v[38:39] op_sel:[0,1]
	s_delay_alu instid0(VALU_DEP_1) | instskip(SKIP_1) | instid1(VALU_DEP_1)
	v_pk_fma_f32 v[40:41], v[28:29], v[36:37], v[26:27] op_sel:[0,0,1] op_sel_hi:[1,1,0] neg_lo:[0,0,1] neg_hi:[0,0,1]
	v_pk_fma_f32 v[26:27], v[28:29], v[36:37], v[26:27] op_sel:[0,0,1] op_sel_hi:[1,0,0]
	v_mov_b32_e32 v41, v27
	ds_load_2addr_b64 v[26:29], v30 offset0:7 offset1:8
	v_pk_add_f32 v[8:9], v[8:9], v[42:43] neg_lo:[0,1] neg_hi:[0,1]
	v_pk_add_f32 v[16:17], v[16:17], v[40:41] neg_lo:[0,1] neg_hi:[0,1]
	s_wait_dscnt 0x0
	v_pk_mul_f32 v[40:41], v[26:27], v[38:39] op_sel:[0,1]
	s_delay_alu instid0(VALU_DEP_1) | instskip(SKIP_1) | instid1(VALU_DEP_1)
	v_pk_fma_f32 v[42:43], v[26:27], v[36:37], v[40:41] op_sel:[0,0,1] op_sel_hi:[1,1,0] neg_lo:[0,0,1] neg_hi:[0,0,1]
	v_pk_fma_f32 v[26:27], v[26:27], v[36:37], v[40:41] op_sel:[0,0,1] op_sel_hi:[1,0,0]
	v_mov_b32_e32 v43, v27
	v_pk_mul_f32 v[26:27], v[28:29], v[38:39] op_sel:[0,1]
	s_delay_alu instid0(VALU_DEP_1) | instskip(SKIP_1) | instid1(VALU_DEP_1)
	v_pk_fma_f32 v[40:41], v[28:29], v[36:37], v[26:27] op_sel:[0,0,1] op_sel_hi:[1,1,0] neg_lo:[0,0,1] neg_hi:[0,0,1]
	v_pk_fma_f32 v[26:27], v[28:29], v[36:37], v[26:27] op_sel:[0,0,1] op_sel_hi:[1,0,0]
	v_mov_b32_e32 v41, v27
	ds_load_b64 v[26:27], v30 offset:72
	v_pk_add_f32 v[14:15], v[14:15], v[42:43] neg_lo:[0,1] neg_hi:[0,1]
	v_pk_add_f32 v[10:11], v[10:11], v[40:41] neg_lo:[0,1] neg_hi:[0,1]
	s_wait_dscnt 0x0
	v_pk_mul_f32 v[28:29], v[26:27], v[38:39] op_sel:[0,1]
	s_delay_alu instid0(VALU_DEP_1) | instskip(SKIP_1) | instid1(VALU_DEP_1)
	v_pk_fma_f32 v[38:39], v[26:27], v[36:37], v[28:29] op_sel:[0,0,1] op_sel_hi:[1,1,0] neg_lo:[0,0,1] neg_hi:[0,0,1]
	v_pk_fma_f32 v[26:27], v[26:27], v[36:37], v[28:29] op_sel:[0,0,1] op_sel_hi:[1,0,0]
	v_mov_b32_e32 v39, v27
	s_delay_alu instid0(VALU_DEP_1)
	v_pk_add_f32 v[24:25], v[24:25], v[38:39] neg_lo:[0,1] neg_hi:[0,1]
.LBB18_22:
	s_or_b32 exec_lo, exec_lo, s0
	v_lshl_add_u32 v26, v34, 3, v30
	s_barrier_signal -1
	s_barrier_wait -1
	ds_store_b64 v26, v[12:13]
	s_wait_dscnt 0x0
	s_barrier_signal -1
	s_barrier_wait -1
	ds_load_b64 v[26:27], v30 offset:8
	v_mov_b32_e32 v28, 1
	s_cmp_lt_i32 s14, 3
	s_cbranch_scc1 .LBB18_25
; %bb.23:
	v_add3_u32 v29, v31, 0, 16
	v_mov_b32_e32 v28, 1
	s_mov_b32 s0, 2
.LBB18_24:                              ; =>This Inner Loop Header: Depth=1
	ds_load_b64 v[36:37], v29
	s_wait_dscnt 0x1
	v_cmp_gt_f32_e32 vcc_lo, 0, v26
	v_cndmask_b32_e64 v38, v26, -v26, vcc_lo
	v_cmp_gt_f32_e32 vcc_lo, 0, v27
	v_cndmask_b32_e64 v40, v27, -v27, vcc_lo
	s_wait_dscnt 0x0
	v_cmp_gt_f32_e32 vcc_lo, 0, v36
	v_cndmask_b32_e64 v39, v36, -v36, vcc_lo
	v_cmp_gt_f32_e32 vcc_lo, 0, v37
	v_cndmask_b32_e64 v41, v37, -v37, vcc_lo
	s_delay_alu instid0(VALU_DEP_1) | instskip(NEXT) | instid1(VALU_DEP_1)
	v_pk_add_f32 v[38:39], v[38:39], v[40:41]
	v_cmp_lt_f32_e32 vcc_lo, v38, v39
	v_dual_cndmask_b32 v26, v26, v36 :: v_dual_add_nc_u32 v29, 8, v29
	v_cndmask_b32_e32 v27, v27, v37, vcc_lo
	v_cndmask_b32_e64 v28, v28, s0, vcc_lo
	s_add_co_i32 s0, s0, 1
	s_delay_alu instid0(SALU_CYCLE_1)
	s_cmp_lg_u32 s14, s0
	s_cbranch_scc1 .LBB18_24
.LBB18_25:
	s_wait_dscnt 0x0
	v_cmp_neq_f32_e32 vcc_lo, 0, v26
	v_cmp_neq_f32_e64 s0, 0, v27
	s_or_b32 s1, vcc_lo, s0
	s_delay_alu instid0(SALU_CYCLE_1)
	s_and_saveexec_b32 s0, s1
	s_cbranch_execz .LBB18_31
; %bb.26:
	v_cmp_ngt_f32_e64 s1, |v26|, |v27|
	s_and_saveexec_b32 s15, s1
	s_delay_alu instid0(SALU_CYCLE_1)
	s_xor_b32 s1, exec_lo, s15
	s_cbranch_execz .LBB18_28
; %bb.27:
	v_div_scale_f32 v29, null, v27, v27, v26
	v_div_scale_f32 v37, vcc_lo, v26, v27, v26
	s_delay_alu instid0(VALU_DEP_2) | instskip(SKIP_1) | instid1(TRANS32_DEP_1)
	v_rcp_f32_e32 v33, v29
	v_nop
	v_fma_f32 v36, -v29, v33, 1.0
	s_delay_alu instid0(VALU_DEP_1) | instskip(NEXT) | instid1(VALU_DEP_1)
	v_fmac_f32_e32 v33, v36, v33
	v_mul_f32_e32 v36, v37, v33
	s_delay_alu instid0(VALU_DEP_1) | instskip(NEXT) | instid1(VALU_DEP_1)
	v_fma_f32 v38, -v29, v36, v37
	v_fmac_f32_e32 v36, v38, v33
	s_delay_alu instid0(VALU_DEP_1) | instskip(NEXT) | instid1(VALU_DEP_1)
	v_fma_f32 v29, -v29, v36, v37
	v_div_fmas_f32 v29, v29, v33, v36
	s_delay_alu instid0(VALU_DEP_1) | instskip(NEXT) | instid1(VALU_DEP_1)
	v_div_fixup_f32 v29, v29, v27, v26
	v_fmac_f32_e32 v27, v26, v29
	s_delay_alu instid0(VALU_DEP_1) | instskip(SKIP_1) | instid1(VALU_DEP_2)
	v_div_scale_f32 v26, null, v27, v27, 1.0
	v_div_scale_f32 v37, vcc_lo, 1.0, v27, 1.0
	v_rcp_f32_e32 v33, v26
	v_nop
	s_delay_alu instid0(TRANS32_DEP_1) | instskip(NEXT) | instid1(VALU_DEP_1)
	v_fma_f32 v36, -v26, v33, 1.0
	v_fmac_f32_e32 v33, v36, v33
	s_delay_alu instid0(VALU_DEP_1) | instskip(NEXT) | instid1(VALU_DEP_1)
	v_mul_f32_e32 v36, v37, v33
	v_fma_f32 v38, -v26, v36, v37
	s_delay_alu instid0(VALU_DEP_1) | instskip(NEXT) | instid1(VALU_DEP_1)
	v_fmac_f32_e32 v36, v38, v33
	v_fma_f32 v26, -v26, v36, v37
	s_delay_alu instid0(VALU_DEP_1) | instskip(NEXT) | instid1(VALU_DEP_1)
	v_div_fmas_f32 v26, v26, v33, v36
	v_div_fixup_f32 v27, v26, v27, 1.0
	s_delay_alu instid0(VALU_DEP_1)
	v_mul_f32_e32 v26, v29, v27
	v_xor_b32_e32 v27, 0x80000000, v27
.LBB18_28:
	s_and_not1_saveexec_b32 s1, s1
	s_cbranch_execz .LBB18_30
; %bb.29:
	s_delay_alu instid0(VALU_DEP_1) | instskip(SKIP_1) | instid1(VALU_DEP_2)
	v_div_scale_f32 v29, null, v26, v26, v27
	v_div_scale_f32 v37, vcc_lo, v27, v26, v27
	v_rcp_f32_e32 v33, v29
	v_nop
	s_delay_alu instid0(TRANS32_DEP_1) | instskip(NEXT) | instid1(VALU_DEP_1)
	v_fma_f32 v36, -v29, v33, 1.0
	v_fmac_f32_e32 v33, v36, v33
	s_delay_alu instid0(VALU_DEP_1) | instskip(NEXT) | instid1(VALU_DEP_1)
	v_mul_f32_e32 v36, v37, v33
	v_fma_f32 v38, -v29, v36, v37
	s_delay_alu instid0(VALU_DEP_1) | instskip(NEXT) | instid1(VALU_DEP_1)
	v_fmac_f32_e32 v36, v38, v33
	v_fma_f32 v29, -v29, v36, v37
	s_delay_alu instid0(VALU_DEP_1) | instskip(NEXT) | instid1(VALU_DEP_1)
	v_div_fmas_f32 v29, v29, v33, v36
	v_div_fixup_f32 v29, v29, v26, v27
	s_delay_alu instid0(VALU_DEP_1) | instskip(NEXT) | instid1(VALU_DEP_1)
	v_fmac_f32_e32 v26, v27, v29
	v_div_scale_f32 v27, null, v26, v26, 1.0
	s_delay_alu instid0(VALU_DEP_1) | instskip(SKIP_1) | instid1(TRANS32_DEP_1)
	v_rcp_f32_e32 v33, v27
	v_nop
	v_fma_f32 v36, -v27, v33, 1.0
	s_delay_alu instid0(VALU_DEP_1) | instskip(SKIP_1) | instid1(VALU_DEP_1)
	v_fmac_f32_e32 v33, v36, v33
	v_div_scale_f32 v36, vcc_lo, 1.0, v26, 1.0
	v_mul_f32_e32 v37, v36, v33
	s_delay_alu instid0(VALU_DEP_1) | instskip(NEXT) | instid1(VALU_DEP_1)
	v_fma_f32 v38, -v27, v37, v36
	v_fmac_f32_e32 v37, v38, v33
	s_delay_alu instid0(VALU_DEP_1) | instskip(NEXT) | instid1(VALU_DEP_1)
	v_fma_f32 v27, -v27, v37, v36
	v_div_fmas_f32 v27, v27, v33, v37
	s_delay_alu instid0(VALU_DEP_1) | instskip(NEXT) | instid1(VALU_DEP_1)
	v_div_fixup_f32 v26, v27, v26, 1.0
	v_mul_f32_e64 v27, v29, -v26
.LBB18_30:
	s_or_b32 exec_lo, exec_lo, s1
	v_mov_b32_e32 v33, v35
.LBB18_31:
	s_or_b32 exec_lo, exec_lo, s0
	s_delay_alu instid0(SALU_CYCLE_1)
	s_mov_b32 s0, exec_lo
	v_cmpx_ne_u32_e64 v34, v28
	s_xor_b32 s0, exec_lo, s0
	s_cbranch_execz .LBB18_37
; %bb.32:
	s_mov_b32 s1, exec_lo
	v_cmpx_eq_u32_e32 1, v34
	s_cbranch_execz .LBB18_36
; %bb.33:
	v_cmp_ne_u32_e32 vcc_lo, 1, v28
	s_xor_b32 s15, s12, -1
	s_delay_alu instid0(SALU_CYCLE_1) | instskip(NEXT) | instid1(SALU_CYCLE_1)
	s_and_b32 s16, s15, vcc_lo
	s_and_saveexec_b32 s15, s16
	s_cbranch_execz .LBB18_35
; %bb.34:
	v_ashrrev_i32_e32 v29, 31, v28
	s_delay_alu instid0(VALU_DEP_1)
	v_lshl_add_u64 v[34:35], v[28:29], 2, v[22:23]
	s_clause 0x1
	global_load_b32 v29, v[34:35], off
	global_load_b32 v32, v[22:23], off offset:4
	s_wait_loadcnt 0x1
	global_store_b32 v[22:23], v29, off offset:4
	s_wait_loadcnt 0x0
	global_store_b32 v[34:35], v32, off
.LBB18_35:
	s_wait_xcnt 0x0
	s_or_b32 exec_lo, exec_lo, s15
	v_dual_mov_b32 v34, v28 :: v_dual_mov_b32 v32, v28
.LBB18_36:
	s_or_b32 exec_lo, exec_lo, s1
.LBB18_37:
	s_and_not1_saveexec_b32 s0, s0
	s_cbranch_execz .LBB18_39
; %bb.38:
	v_dual_mov_b32 v28, v6 :: v_dual_mov_b32 v29, v7
	v_dual_mov_b32 v36, v4 :: v_dual_mov_b32 v37, v5
	;; [unrolled: 1-line block ×7, first 2 shown]
	v_mov_b32_e32 v47, v11
	ds_store_2addr_b64 v30, v[28:29], v[36:37] offset0:2 offset1:3
	ds_store_2addr_b64 v30, v[38:39], v[40:41] offset0:4 offset1:5
	ds_store_2addr_b64 v30, v[42:43], v[44:45] offset0:6 offset1:7
	ds_store_2addr_b64 v30, v[46:47], v[24:25] offset0:8 offset1:9
.LBB18_39:
	s_or_b32 exec_lo, exec_lo, s0
	s_delay_alu instid0(SALU_CYCLE_1)
	s_mov_b32 s0, exec_lo
	s_wait_storecnt_dscnt 0x0
	s_barrier_signal -1
	s_barrier_wait -1
	v_cmpx_lt_i32_e32 1, v34
	s_cbranch_execz .LBB18_41
; %bb.40:
	v_pk_mul_f32 v[28:29], v[26:27], v[12:13] op_sel:[1,1] op_sel_hi:[0,1]
	s_delay_alu instid0(VALU_DEP_1)
	v_pk_fma_f32 v[36:37], v[26:27], v[12:13], v[28:29] op_sel_hi:[1,0,1] neg_lo:[0,0,1] neg_hi:[0,0,1]
	v_pk_fma_f32 v[38:39], v[26:27], v[12:13], v[28:29] op_sel_hi:[1,0,1]
	ds_load_2addr_b64 v[26:29], v30 offset0:2 offset1:3
	v_dual_mov_b32 v12, v36 :: v_dual_mov_b32 v13, v39
	s_wait_dscnt 0x0
	v_pk_mul_f32 v[40:41], v[26:27], v[38:39] op_sel:[0,1]
	s_delay_alu instid0(VALU_DEP_1) | instskip(SKIP_1) | instid1(VALU_DEP_1)
	v_pk_fma_f32 v[42:43], v[26:27], v[36:37], v[40:41] op_sel:[0,0,1] op_sel_hi:[1,1,0] neg_lo:[0,0,1] neg_hi:[0,0,1]
	v_pk_fma_f32 v[26:27], v[26:27], v[36:37], v[40:41] op_sel:[0,0,1] op_sel_hi:[1,0,0]
	v_mov_b32_e32 v43, v27
	v_pk_mul_f32 v[26:27], v[28:29], v[38:39] op_sel:[0,1]
	s_delay_alu instid0(VALU_DEP_1) | instskip(SKIP_1) | instid1(VALU_DEP_1)
	v_pk_fma_f32 v[40:41], v[28:29], v[36:37], v[26:27] op_sel:[0,0,1] op_sel_hi:[1,1,0] neg_lo:[0,0,1] neg_hi:[0,0,1]
	v_pk_fma_f32 v[26:27], v[28:29], v[36:37], v[26:27] op_sel:[0,0,1] op_sel_hi:[1,0,0]
	v_mov_b32_e32 v41, v27
	ds_load_2addr_b64 v[26:29], v30 offset0:4 offset1:5
	v_pk_add_f32 v[6:7], v[6:7], v[42:43] neg_lo:[0,1] neg_hi:[0,1]
	v_pk_add_f32 v[4:5], v[4:5], v[40:41] neg_lo:[0,1] neg_hi:[0,1]
	s_wait_dscnt 0x0
	v_pk_mul_f32 v[40:41], v[26:27], v[38:39] op_sel:[0,1]
	s_delay_alu instid0(VALU_DEP_1) | instskip(SKIP_2) | instid1(VALU_DEP_2)
	v_pk_fma_f32 v[42:43], v[26:27], v[36:37], v[40:41] op_sel:[0,0,1] op_sel_hi:[1,1,0] neg_lo:[0,0,1] neg_hi:[0,0,1]
	v_pk_fma_f32 v[26:27], v[26:27], v[36:37], v[40:41] op_sel:[0,0,1] op_sel_hi:[1,0,0]
	v_dual_mul_f32 v40, v29, v39 :: v_dual_mov_b32 v26, v29
	v_dual_mov_b32 v43, v27 :: v_dual_mov_b32 v27, v28
	s_delay_alu instid0(VALU_DEP_2) | instskip(SKIP_1) | instid1(VALU_DEP_3)
	v_pk_fma_f32 v[40:41], v[28:29], v[12:13], v[40:41] op_sel_hi:[1,1,0] neg_lo:[0,0,1] neg_hi:[0,0,1]
	v_mul_f32_e32 v28, v29, v36
	v_pk_add_f32 v[18:19], v[18:19], v[42:43] neg_lo:[0,1] neg_hi:[0,1]
	s_delay_alu instid0(VALU_DEP_2) | instskip(NEXT) | instid1(VALU_DEP_1)
	v_pk_fma_f32 v[26:27], v[26:27], v[12:13], v[28:29] op_sel_hi:[1,1,0]
	v_mov_b32_e32 v41, v27
	ds_load_2addr_b64 v[26:29], v30 offset0:6 offset1:7
	v_pk_add_f32 v[8:9], v[8:9], v[40:41] neg_lo:[0,1] neg_hi:[0,1]
	s_wait_dscnt 0x0
	v_pk_mul_f32 v[40:41], v[26:27], v[38:39] op_sel:[0,1]
	s_delay_alu instid0(VALU_DEP_1) | instskip(SKIP_1) | instid1(VALU_DEP_1)
	v_pk_fma_f32 v[42:43], v[26:27], v[36:37], v[40:41] op_sel:[0,0,1] op_sel_hi:[1,1,0] neg_lo:[0,0,1] neg_hi:[0,0,1]
	v_pk_fma_f32 v[26:27], v[26:27], v[36:37], v[40:41] op_sel:[0,0,1] op_sel_hi:[1,0,0]
	v_mov_b32_e32 v43, v27
	v_pk_mul_f32 v[26:27], v[28:29], v[38:39] op_sel:[0,1]
	s_delay_alu instid0(VALU_DEP_1) | instskip(SKIP_1) | instid1(VALU_DEP_1)
	v_pk_fma_f32 v[40:41], v[28:29], v[36:37], v[26:27] op_sel:[0,0,1] op_sel_hi:[1,1,0] neg_lo:[0,0,1] neg_hi:[0,0,1]
	v_pk_fma_f32 v[26:27], v[28:29], v[36:37], v[26:27] op_sel:[0,0,1] op_sel_hi:[1,0,0]
	v_mov_b32_e32 v41, v27
	ds_load_2addr_b64 v[26:29], v30 offset0:8 offset1:9
	v_pk_add_f32 v[16:17], v[16:17], v[42:43] neg_lo:[0,1] neg_hi:[0,1]
	v_pk_add_f32 v[14:15], v[14:15], v[40:41] neg_lo:[0,1] neg_hi:[0,1]
	s_wait_dscnt 0x0
	v_pk_mul_f32 v[40:41], v[26:27], v[38:39] op_sel:[0,1]
	s_delay_alu instid0(VALU_DEP_1) | instskip(SKIP_1) | instid1(VALU_DEP_1)
	v_pk_fma_f32 v[42:43], v[26:27], v[36:37], v[40:41] op_sel:[0,0,1] op_sel_hi:[1,1,0] neg_lo:[0,0,1] neg_hi:[0,0,1]
	v_pk_fma_f32 v[26:27], v[26:27], v[36:37], v[40:41] op_sel:[0,0,1] op_sel_hi:[1,0,0]
	v_mov_b32_e32 v43, v27
	v_pk_mul_f32 v[26:27], v[28:29], v[38:39] op_sel:[0,1]
	s_delay_alu instid0(VALU_DEP_1) | instskip(SKIP_1) | instid1(VALU_DEP_1)
	v_pk_fma_f32 v[38:39], v[28:29], v[36:37], v[26:27] op_sel:[0,0,1] op_sel_hi:[1,1,0] neg_lo:[0,0,1] neg_hi:[0,0,1]
	v_pk_fma_f32 v[26:27], v[28:29], v[36:37], v[26:27] op_sel:[0,0,1] op_sel_hi:[1,0,0]
	v_mov_b32_e32 v39, v27
	v_pk_add_f32 v[10:11], v[10:11], v[42:43] neg_lo:[0,1] neg_hi:[0,1]
	s_delay_alu instid0(VALU_DEP_2)
	v_pk_add_f32 v[24:25], v[24:25], v[38:39] neg_lo:[0,1] neg_hi:[0,1]
.LBB18_41:
	s_or_b32 exec_lo, exec_lo, s0
	v_lshl_add_u32 v26, v34, 3, v30
	s_barrier_signal -1
	s_barrier_wait -1
	ds_store_b64 v26, v[6:7]
	s_wait_dscnt 0x0
	s_barrier_signal -1
	s_barrier_wait -1
	ds_load_b64 v[26:27], v30 offset:16
	v_mov_b32_e32 v28, 2
	s_cmp_lt_i32 s14, 4
	s_mov_b32 s0, 3
	s_cbranch_scc1 .LBB18_44
; %bb.42:
	v_add3_u32 v29, v31, 0, 24
	v_mov_b32_e32 v28, 2
.LBB18_43:                              ; =>This Inner Loop Header: Depth=1
	ds_load_b64 v[36:37], v29
	s_wait_dscnt 0x1
	v_cmp_gt_f32_e32 vcc_lo, 0, v26
	v_cndmask_b32_e64 v38, v26, -v26, vcc_lo
	v_cmp_gt_f32_e32 vcc_lo, 0, v27
	v_cndmask_b32_e64 v40, v27, -v27, vcc_lo
	s_wait_dscnt 0x0
	v_cmp_gt_f32_e32 vcc_lo, 0, v36
	v_cndmask_b32_e64 v39, v36, -v36, vcc_lo
	v_cmp_gt_f32_e32 vcc_lo, 0, v37
	v_cndmask_b32_e64 v41, v37, -v37, vcc_lo
	s_delay_alu instid0(VALU_DEP_1) | instskip(NEXT) | instid1(VALU_DEP_1)
	v_pk_add_f32 v[38:39], v[38:39], v[40:41]
	v_cmp_lt_f32_e32 vcc_lo, v38, v39
	v_dual_cndmask_b32 v26, v26, v36 :: v_dual_add_nc_u32 v29, 8, v29
	v_cndmask_b32_e32 v27, v27, v37, vcc_lo
	v_cndmask_b32_e64 v28, v28, s0, vcc_lo
	s_add_co_i32 s0, s0, 1
	s_delay_alu instid0(SALU_CYCLE_1)
	s_cmp_lg_u32 s14, s0
	s_cbranch_scc1 .LBB18_43
.LBB18_44:
	s_wait_dscnt 0x0
	v_cmp_eq_f32_e32 vcc_lo, 0, v26
	v_cmp_eq_f32_e64 s0, 0, v27
	s_and_b32 s0, vcc_lo, s0
	s_delay_alu instid0(SALU_CYCLE_1) | instskip(NEXT) | instid1(SALU_CYCLE_1)
	s_and_saveexec_b32 s1, s0
	s_xor_b32 s0, exec_lo, s1
; %bb.45:
	v_cmp_ne_u32_e32 vcc_lo, 0, v33
	v_cndmask_b32_e32 v33, 3, v33, vcc_lo
; %bb.46:
	s_and_not1_saveexec_b32 s0, s0
	s_cbranch_execz .LBB18_52
; %bb.47:
	v_cmp_ngt_f32_e64 s1, |v26|, |v27|
	s_and_saveexec_b32 s15, s1
	s_delay_alu instid0(SALU_CYCLE_1)
	s_xor_b32 s1, exec_lo, s15
	s_cbranch_execz .LBB18_49
; %bb.48:
	v_div_scale_f32 v29, null, v27, v27, v26
	v_div_scale_f32 v37, vcc_lo, v26, v27, v26
	s_delay_alu instid0(VALU_DEP_2) | instskip(SKIP_1) | instid1(TRANS32_DEP_1)
	v_rcp_f32_e32 v35, v29
	v_nop
	v_fma_f32 v36, -v29, v35, 1.0
	s_delay_alu instid0(VALU_DEP_1) | instskip(NEXT) | instid1(VALU_DEP_1)
	v_fmac_f32_e32 v35, v36, v35
	v_mul_f32_e32 v36, v37, v35
	s_delay_alu instid0(VALU_DEP_1) | instskip(NEXT) | instid1(VALU_DEP_1)
	v_fma_f32 v38, -v29, v36, v37
	v_fmac_f32_e32 v36, v38, v35
	s_delay_alu instid0(VALU_DEP_1) | instskip(NEXT) | instid1(VALU_DEP_1)
	v_fma_f32 v29, -v29, v36, v37
	v_div_fmas_f32 v29, v29, v35, v36
	s_delay_alu instid0(VALU_DEP_1) | instskip(NEXT) | instid1(VALU_DEP_1)
	v_div_fixup_f32 v29, v29, v27, v26
	v_fmac_f32_e32 v27, v26, v29
	s_delay_alu instid0(VALU_DEP_1) | instskip(SKIP_1) | instid1(VALU_DEP_2)
	v_div_scale_f32 v26, null, v27, v27, 1.0
	v_div_scale_f32 v37, vcc_lo, 1.0, v27, 1.0
	v_rcp_f32_e32 v35, v26
	v_nop
	s_delay_alu instid0(TRANS32_DEP_1) | instskip(NEXT) | instid1(VALU_DEP_1)
	v_fma_f32 v36, -v26, v35, 1.0
	v_fmac_f32_e32 v35, v36, v35
	s_delay_alu instid0(VALU_DEP_1) | instskip(NEXT) | instid1(VALU_DEP_1)
	v_mul_f32_e32 v36, v37, v35
	v_fma_f32 v38, -v26, v36, v37
	s_delay_alu instid0(VALU_DEP_1) | instskip(NEXT) | instid1(VALU_DEP_1)
	v_fmac_f32_e32 v36, v38, v35
	v_fma_f32 v26, -v26, v36, v37
	s_delay_alu instid0(VALU_DEP_1) | instskip(NEXT) | instid1(VALU_DEP_1)
	v_div_fmas_f32 v26, v26, v35, v36
	v_div_fixup_f32 v27, v26, v27, 1.0
	s_delay_alu instid0(VALU_DEP_1)
	v_mul_f32_e32 v26, v29, v27
	v_xor_b32_e32 v27, 0x80000000, v27
.LBB18_49:
	s_and_not1_saveexec_b32 s1, s1
	s_cbranch_execz .LBB18_51
; %bb.50:
	s_delay_alu instid0(VALU_DEP_1) | instskip(SKIP_1) | instid1(VALU_DEP_2)
	v_div_scale_f32 v29, null, v26, v26, v27
	v_div_scale_f32 v37, vcc_lo, v27, v26, v27
	v_rcp_f32_e32 v35, v29
	v_nop
	s_delay_alu instid0(TRANS32_DEP_1) | instskip(NEXT) | instid1(VALU_DEP_1)
	v_fma_f32 v36, -v29, v35, 1.0
	v_fmac_f32_e32 v35, v36, v35
	s_delay_alu instid0(VALU_DEP_1) | instskip(NEXT) | instid1(VALU_DEP_1)
	v_mul_f32_e32 v36, v37, v35
	v_fma_f32 v38, -v29, v36, v37
	s_delay_alu instid0(VALU_DEP_1) | instskip(NEXT) | instid1(VALU_DEP_1)
	v_fmac_f32_e32 v36, v38, v35
	v_fma_f32 v29, -v29, v36, v37
	s_delay_alu instid0(VALU_DEP_1) | instskip(NEXT) | instid1(VALU_DEP_1)
	v_div_fmas_f32 v29, v29, v35, v36
	v_div_fixup_f32 v29, v29, v26, v27
	s_delay_alu instid0(VALU_DEP_1) | instskip(NEXT) | instid1(VALU_DEP_1)
	v_fmac_f32_e32 v26, v27, v29
	v_div_scale_f32 v27, null, v26, v26, 1.0
	s_delay_alu instid0(VALU_DEP_1) | instskip(SKIP_1) | instid1(TRANS32_DEP_1)
	v_rcp_f32_e32 v35, v27
	v_nop
	v_fma_f32 v36, -v27, v35, 1.0
	s_delay_alu instid0(VALU_DEP_1) | instskip(SKIP_1) | instid1(VALU_DEP_1)
	v_fmac_f32_e32 v35, v36, v35
	v_div_scale_f32 v36, vcc_lo, 1.0, v26, 1.0
	v_mul_f32_e32 v37, v36, v35
	s_delay_alu instid0(VALU_DEP_1) | instskip(NEXT) | instid1(VALU_DEP_1)
	v_fma_f32 v38, -v27, v37, v36
	v_fmac_f32_e32 v37, v38, v35
	s_delay_alu instid0(VALU_DEP_1) | instskip(NEXT) | instid1(VALU_DEP_1)
	v_fma_f32 v27, -v27, v37, v36
	v_div_fmas_f32 v27, v27, v35, v37
	s_delay_alu instid0(VALU_DEP_1) | instskip(NEXT) | instid1(VALU_DEP_1)
	v_div_fixup_f32 v26, v27, v26, 1.0
	v_mul_f32_e64 v27, v29, -v26
.LBB18_51:
	s_or_b32 exec_lo, exec_lo, s1
.LBB18_52:
	s_delay_alu instid0(SALU_CYCLE_1) | instskip(NEXT) | instid1(SALU_CYCLE_1)
	s_or_b32 exec_lo, exec_lo, s0
	s_mov_b32 s0, exec_lo
	v_cmpx_ne_u32_e64 v34, v28
	s_xor_b32 s0, exec_lo, s0
	s_cbranch_execz .LBB18_58
; %bb.53:
	s_mov_b32 s1, exec_lo
	v_cmpx_eq_u32_e32 2, v34
	s_cbranch_execz .LBB18_57
; %bb.54:
	v_cmp_ne_u32_e32 vcc_lo, 2, v28
	s_xor_b32 s15, s12, -1
	s_delay_alu instid0(SALU_CYCLE_1) | instskip(NEXT) | instid1(SALU_CYCLE_1)
	s_and_b32 s16, s15, vcc_lo
	s_and_saveexec_b32 s15, s16
	s_cbranch_execz .LBB18_56
; %bb.55:
	v_ashrrev_i32_e32 v29, 31, v28
	s_delay_alu instid0(VALU_DEP_1)
	v_lshl_add_u64 v[34:35], v[28:29], 2, v[22:23]
	s_clause 0x1
	global_load_b32 v29, v[34:35], off
	global_load_b32 v32, v[22:23], off offset:8
	s_wait_loadcnt 0x1
	global_store_b32 v[22:23], v29, off offset:8
	s_wait_loadcnt 0x0
	global_store_b32 v[34:35], v32, off
.LBB18_56:
	s_wait_xcnt 0x0
	s_or_b32 exec_lo, exec_lo, s15
	v_dual_mov_b32 v34, v28 :: v_dual_mov_b32 v32, v28
.LBB18_57:
	s_or_b32 exec_lo, exec_lo, s1
.LBB18_58:
	s_and_not1_saveexec_b32 s0, s0
	s_cbranch_execz .LBB18_60
; %bb.59:
	v_mov_b32_e32 v34, 2
	ds_store_2addr_b64 v30, v[4:5], v[18:19] offset0:3 offset1:4
	ds_store_2addr_b64 v30, v[8:9], v[16:17] offset0:5 offset1:6
	;; [unrolled: 1-line block ×3, first 2 shown]
	ds_store_b64 v30, v[24:25] offset:72
.LBB18_60:
	s_or_b32 exec_lo, exec_lo, s0
	s_delay_alu instid0(SALU_CYCLE_1)
	s_mov_b32 s0, exec_lo
	s_wait_storecnt_dscnt 0x0
	s_barrier_signal -1
	s_barrier_wait -1
	v_cmpx_lt_i32_e32 2, v34
	s_cbranch_execz .LBB18_62
; %bb.61:
	v_pk_mul_f32 v[28:29], v[26:27], v[6:7] op_sel:[1,1] op_sel_hi:[0,1]
	s_delay_alu instid0(VALU_DEP_1)
	v_pk_fma_f32 v[36:37], v[26:27], v[6:7], v[28:29] op_sel_hi:[1,0,1] neg_lo:[0,0,1] neg_hi:[0,0,1]
	v_pk_fma_f32 v[38:39], v[26:27], v[6:7], v[28:29] op_sel_hi:[1,0,1]
	ds_load_2addr_b64 v[26:29], v30 offset0:3 offset1:4
	v_dual_mov_b32 v6, v36 :: v_dual_mov_b32 v7, v39
	s_wait_dscnt 0x0
	v_pk_mul_f32 v[40:41], v[26:27], v[38:39] op_sel:[0,1]
	s_delay_alu instid0(VALU_DEP_1) | instskip(SKIP_1) | instid1(VALU_DEP_1)
	v_pk_fma_f32 v[42:43], v[26:27], v[36:37], v[40:41] op_sel:[0,0,1] op_sel_hi:[1,1,0] neg_lo:[0,0,1] neg_hi:[0,0,1]
	v_pk_fma_f32 v[26:27], v[26:27], v[36:37], v[40:41] op_sel:[0,0,1] op_sel_hi:[1,0,0]
	v_mov_b32_e32 v43, v27
	v_pk_mul_f32 v[26:27], v[28:29], v[38:39] op_sel:[0,1]
	s_delay_alu instid0(VALU_DEP_1) | instskip(SKIP_1) | instid1(VALU_DEP_1)
	v_pk_fma_f32 v[40:41], v[28:29], v[36:37], v[26:27] op_sel:[0,0,1] op_sel_hi:[1,1,0] neg_lo:[0,0,1] neg_hi:[0,0,1]
	v_pk_fma_f32 v[26:27], v[28:29], v[36:37], v[26:27] op_sel:[0,0,1] op_sel_hi:[1,0,0]
	v_mov_b32_e32 v41, v27
	ds_load_2addr_b64 v[26:29], v30 offset0:5 offset1:6
	v_pk_add_f32 v[4:5], v[4:5], v[42:43] neg_lo:[0,1] neg_hi:[0,1]
	v_pk_add_f32 v[18:19], v[18:19], v[40:41] neg_lo:[0,1] neg_hi:[0,1]
	s_wait_dscnt 0x0
	v_pk_mul_f32 v[40:41], v[26:27], v[38:39] op_sel:[0,1]
	s_delay_alu instid0(VALU_DEP_1) | instskip(SKIP_2) | instid1(VALU_DEP_2)
	v_pk_fma_f32 v[42:43], v[26:27], v[36:37], v[40:41] op_sel:[0,0,1] op_sel_hi:[1,1,0] neg_lo:[0,0,1] neg_hi:[0,0,1]
	v_pk_fma_f32 v[26:27], v[26:27], v[36:37], v[40:41] op_sel:[0,0,1] op_sel_hi:[1,0,0]
	v_dual_mul_f32 v40, v29, v39 :: v_dual_mov_b32 v26, v29
	v_dual_mov_b32 v43, v27 :: v_dual_mov_b32 v27, v28
	s_delay_alu instid0(VALU_DEP_2) | instskip(SKIP_1) | instid1(VALU_DEP_3)
	v_pk_fma_f32 v[40:41], v[28:29], v[6:7], v[40:41] op_sel_hi:[1,1,0] neg_lo:[0,0,1] neg_hi:[0,0,1]
	v_mul_f32_e32 v28, v29, v36
	v_pk_add_f32 v[8:9], v[8:9], v[42:43] neg_lo:[0,1] neg_hi:[0,1]
	s_delay_alu instid0(VALU_DEP_2) | instskip(NEXT) | instid1(VALU_DEP_1)
	v_pk_fma_f32 v[26:27], v[26:27], v[6:7], v[28:29] op_sel_hi:[1,1,0]
	v_mov_b32_e32 v41, v27
	ds_load_2addr_b64 v[26:29], v30 offset0:7 offset1:8
	v_pk_add_f32 v[16:17], v[16:17], v[40:41] neg_lo:[0,1] neg_hi:[0,1]
	s_wait_dscnt 0x0
	v_pk_mul_f32 v[40:41], v[26:27], v[38:39] op_sel:[0,1]
	s_delay_alu instid0(VALU_DEP_1) | instskip(SKIP_1) | instid1(VALU_DEP_1)
	v_pk_fma_f32 v[42:43], v[26:27], v[36:37], v[40:41] op_sel:[0,0,1] op_sel_hi:[1,1,0] neg_lo:[0,0,1] neg_hi:[0,0,1]
	v_pk_fma_f32 v[26:27], v[26:27], v[36:37], v[40:41] op_sel:[0,0,1] op_sel_hi:[1,0,0]
	v_mov_b32_e32 v43, v27
	v_pk_mul_f32 v[26:27], v[28:29], v[38:39] op_sel:[0,1]
	s_delay_alu instid0(VALU_DEP_1) | instskip(SKIP_1) | instid1(VALU_DEP_1)
	v_pk_fma_f32 v[40:41], v[28:29], v[36:37], v[26:27] op_sel:[0,0,1] op_sel_hi:[1,1,0] neg_lo:[0,0,1] neg_hi:[0,0,1]
	v_pk_fma_f32 v[26:27], v[28:29], v[36:37], v[26:27] op_sel:[0,0,1] op_sel_hi:[1,0,0]
	v_mov_b32_e32 v41, v27
	ds_load_b64 v[26:27], v30 offset:72
	v_pk_add_f32 v[14:15], v[14:15], v[42:43] neg_lo:[0,1] neg_hi:[0,1]
	v_pk_add_f32 v[10:11], v[10:11], v[40:41] neg_lo:[0,1] neg_hi:[0,1]
	s_wait_dscnt 0x0
	v_pk_mul_f32 v[28:29], v[26:27], v[38:39] op_sel:[0,1]
	s_delay_alu instid0(VALU_DEP_1) | instskip(SKIP_1) | instid1(VALU_DEP_1)
	v_pk_fma_f32 v[38:39], v[26:27], v[36:37], v[28:29] op_sel:[0,0,1] op_sel_hi:[1,1,0] neg_lo:[0,0,1] neg_hi:[0,0,1]
	v_pk_fma_f32 v[26:27], v[26:27], v[36:37], v[28:29] op_sel:[0,0,1] op_sel_hi:[1,0,0]
	v_mov_b32_e32 v39, v27
	s_delay_alu instid0(VALU_DEP_1)
	v_pk_add_f32 v[24:25], v[24:25], v[38:39] neg_lo:[0,1] neg_hi:[0,1]
.LBB18_62:
	s_or_b32 exec_lo, exec_lo, s0
	v_lshl_add_u32 v26, v34, 3, v30
	s_barrier_signal -1
	s_barrier_wait -1
	ds_store_b64 v26, v[4:5]
	s_wait_dscnt 0x0
	s_barrier_signal -1
	s_barrier_wait -1
	ds_load_b64 v[26:27], v30 offset:24
	v_mov_b32_e32 v28, 3
	s_cmp_lt_i32 s14, 5
	s_cbranch_scc1 .LBB18_65
; %bb.63:
	v_mov_b32_e32 v28, 3
	v_add3_u32 v29, v31, 0, 32
	s_mov_b32 s0, 4
.LBB18_64:                              ; =>This Inner Loop Header: Depth=1
	ds_load_b64 v[36:37], v29
	s_wait_dscnt 0x1
	v_cmp_gt_f32_e32 vcc_lo, 0, v26
	v_cndmask_b32_e64 v38, v26, -v26, vcc_lo
	v_cmp_gt_f32_e32 vcc_lo, 0, v27
	v_cndmask_b32_e64 v40, v27, -v27, vcc_lo
	s_wait_dscnt 0x0
	v_cmp_gt_f32_e32 vcc_lo, 0, v36
	v_cndmask_b32_e64 v39, v36, -v36, vcc_lo
	v_cmp_gt_f32_e32 vcc_lo, 0, v37
	v_cndmask_b32_e64 v41, v37, -v37, vcc_lo
	s_delay_alu instid0(VALU_DEP_1) | instskip(NEXT) | instid1(VALU_DEP_1)
	v_pk_add_f32 v[38:39], v[38:39], v[40:41]
	v_cmp_lt_f32_e32 vcc_lo, v38, v39
	v_dual_cndmask_b32 v26, v26, v36 :: v_dual_add_nc_u32 v29, 8, v29
	v_cndmask_b32_e32 v27, v27, v37, vcc_lo
	v_cndmask_b32_e64 v28, v28, s0, vcc_lo
	s_add_co_i32 s0, s0, 1
	s_delay_alu instid0(SALU_CYCLE_1)
	s_cmp_lg_u32 s14, s0
	s_cbranch_scc1 .LBB18_64
.LBB18_65:
	s_wait_dscnt 0x0
	v_cmp_eq_f32_e32 vcc_lo, 0, v26
	v_cmp_eq_f32_e64 s0, 0, v27
	s_and_b32 s0, vcc_lo, s0
	s_delay_alu instid0(SALU_CYCLE_1) | instskip(NEXT) | instid1(SALU_CYCLE_1)
	s_and_saveexec_b32 s1, s0
	s_xor_b32 s0, exec_lo, s1
; %bb.66:
	v_cmp_ne_u32_e32 vcc_lo, 0, v33
	v_cndmask_b32_e32 v33, 4, v33, vcc_lo
; %bb.67:
	s_and_not1_saveexec_b32 s0, s0
	s_cbranch_execz .LBB18_73
; %bb.68:
	v_cmp_ngt_f32_e64 s1, |v26|, |v27|
	s_and_saveexec_b32 s15, s1
	s_delay_alu instid0(SALU_CYCLE_1)
	s_xor_b32 s1, exec_lo, s15
	s_cbranch_execz .LBB18_70
; %bb.69:
	v_div_scale_f32 v29, null, v27, v27, v26
	v_div_scale_f32 v37, vcc_lo, v26, v27, v26
	s_delay_alu instid0(VALU_DEP_2) | instskip(SKIP_1) | instid1(TRANS32_DEP_1)
	v_rcp_f32_e32 v35, v29
	v_nop
	v_fma_f32 v36, -v29, v35, 1.0
	s_delay_alu instid0(VALU_DEP_1) | instskip(NEXT) | instid1(VALU_DEP_1)
	v_fmac_f32_e32 v35, v36, v35
	v_mul_f32_e32 v36, v37, v35
	s_delay_alu instid0(VALU_DEP_1) | instskip(NEXT) | instid1(VALU_DEP_1)
	v_fma_f32 v38, -v29, v36, v37
	v_fmac_f32_e32 v36, v38, v35
	s_delay_alu instid0(VALU_DEP_1) | instskip(NEXT) | instid1(VALU_DEP_1)
	v_fma_f32 v29, -v29, v36, v37
	v_div_fmas_f32 v29, v29, v35, v36
	s_delay_alu instid0(VALU_DEP_1) | instskip(NEXT) | instid1(VALU_DEP_1)
	v_div_fixup_f32 v29, v29, v27, v26
	v_fmac_f32_e32 v27, v26, v29
	s_delay_alu instid0(VALU_DEP_1) | instskip(SKIP_1) | instid1(VALU_DEP_2)
	v_div_scale_f32 v26, null, v27, v27, 1.0
	v_div_scale_f32 v37, vcc_lo, 1.0, v27, 1.0
	v_rcp_f32_e32 v35, v26
	v_nop
	s_delay_alu instid0(TRANS32_DEP_1) | instskip(NEXT) | instid1(VALU_DEP_1)
	v_fma_f32 v36, -v26, v35, 1.0
	v_fmac_f32_e32 v35, v36, v35
	s_delay_alu instid0(VALU_DEP_1) | instskip(NEXT) | instid1(VALU_DEP_1)
	v_mul_f32_e32 v36, v37, v35
	v_fma_f32 v38, -v26, v36, v37
	s_delay_alu instid0(VALU_DEP_1) | instskip(NEXT) | instid1(VALU_DEP_1)
	v_fmac_f32_e32 v36, v38, v35
	v_fma_f32 v26, -v26, v36, v37
	s_delay_alu instid0(VALU_DEP_1) | instskip(NEXT) | instid1(VALU_DEP_1)
	v_div_fmas_f32 v26, v26, v35, v36
	v_div_fixup_f32 v27, v26, v27, 1.0
	s_delay_alu instid0(VALU_DEP_1)
	v_mul_f32_e32 v26, v29, v27
	v_xor_b32_e32 v27, 0x80000000, v27
.LBB18_70:
	s_and_not1_saveexec_b32 s1, s1
	s_cbranch_execz .LBB18_72
; %bb.71:
	s_delay_alu instid0(VALU_DEP_1) | instskip(SKIP_1) | instid1(VALU_DEP_2)
	v_div_scale_f32 v29, null, v26, v26, v27
	v_div_scale_f32 v37, vcc_lo, v27, v26, v27
	v_rcp_f32_e32 v35, v29
	v_nop
	s_delay_alu instid0(TRANS32_DEP_1) | instskip(NEXT) | instid1(VALU_DEP_1)
	v_fma_f32 v36, -v29, v35, 1.0
	v_fmac_f32_e32 v35, v36, v35
	s_delay_alu instid0(VALU_DEP_1) | instskip(NEXT) | instid1(VALU_DEP_1)
	v_mul_f32_e32 v36, v37, v35
	v_fma_f32 v38, -v29, v36, v37
	s_delay_alu instid0(VALU_DEP_1) | instskip(NEXT) | instid1(VALU_DEP_1)
	v_fmac_f32_e32 v36, v38, v35
	v_fma_f32 v29, -v29, v36, v37
	s_delay_alu instid0(VALU_DEP_1) | instskip(NEXT) | instid1(VALU_DEP_1)
	v_div_fmas_f32 v29, v29, v35, v36
	v_div_fixup_f32 v29, v29, v26, v27
	s_delay_alu instid0(VALU_DEP_1) | instskip(NEXT) | instid1(VALU_DEP_1)
	v_fmac_f32_e32 v26, v27, v29
	v_div_scale_f32 v27, null, v26, v26, 1.0
	s_delay_alu instid0(VALU_DEP_1) | instskip(SKIP_1) | instid1(TRANS32_DEP_1)
	v_rcp_f32_e32 v35, v27
	v_nop
	v_fma_f32 v36, -v27, v35, 1.0
	s_delay_alu instid0(VALU_DEP_1) | instskip(SKIP_1) | instid1(VALU_DEP_1)
	v_fmac_f32_e32 v35, v36, v35
	v_div_scale_f32 v36, vcc_lo, 1.0, v26, 1.0
	v_mul_f32_e32 v37, v36, v35
	s_delay_alu instid0(VALU_DEP_1) | instskip(NEXT) | instid1(VALU_DEP_1)
	v_fma_f32 v38, -v27, v37, v36
	v_fmac_f32_e32 v37, v38, v35
	s_delay_alu instid0(VALU_DEP_1) | instskip(NEXT) | instid1(VALU_DEP_1)
	v_fma_f32 v27, -v27, v37, v36
	v_div_fmas_f32 v27, v27, v35, v37
	s_delay_alu instid0(VALU_DEP_1) | instskip(NEXT) | instid1(VALU_DEP_1)
	v_div_fixup_f32 v26, v27, v26, 1.0
	v_mul_f32_e64 v27, v29, -v26
.LBB18_72:
	s_or_b32 exec_lo, exec_lo, s1
.LBB18_73:
	s_delay_alu instid0(SALU_CYCLE_1) | instskip(NEXT) | instid1(SALU_CYCLE_1)
	s_or_b32 exec_lo, exec_lo, s0
	s_mov_b32 s0, exec_lo
	v_cmpx_ne_u32_e64 v34, v28
	s_xor_b32 s0, exec_lo, s0
	s_cbranch_execz .LBB18_79
; %bb.74:
	s_mov_b32 s1, exec_lo
	v_cmpx_eq_u32_e32 3, v34
	s_cbranch_execz .LBB18_78
; %bb.75:
	v_cmp_ne_u32_e32 vcc_lo, 3, v28
	s_xor_b32 s15, s12, -1
	s_delay_alu instid0(SALU_CYCLE_1) | instskip(NEXT) | instid1(SALU_CYCLE_1)
	s_and_b32 s16, s15, vcc_lo
	s_and_saveexec_b32 s15, s16
	s_cbranch_execz .LBB18_77
; %bb.76:
	v_ashrrev_i32_e32 v29, 31, v28
	s_delay_alu instid0(VALU_DEP_1)
	v_lshl_add_u64 v[34:35], v[28:29], 2, v[22:23]
	s_clause 0x1
	global_load_b32 v29, v[34:35], off
	global_load_b32 v32, v[22:23], off offset:12
	s_wait_loadcnt 0x1
	global_store_b32 v[22:23], v29, off offset:12
	s_wait_loadcnt 0x0
	global_store_b32 v[34:35], v32, off
.LBB18_77:
	s_wait_xcnt 0x0
	s_or_b32 exec_lo, exec_lo, s15
	v_dual_mov_b32 v34, v28 :: v_dual_mov_b32 v32, v28
.LBB18_78:
	s_or_b32 exec_lo, exec_lo, s1
.LBB18_79:
	s_and_not1_saveexec_b32 s0, s0
	s_cbranch_execz .LBB18_81
; %bb.80:
	v_dual_mov_b32 v28, v18 :: v_dual_mov_b32 v29, v19
	v_dual_mov_b32 v36, v8 :: v_dual_mov_b32 v37, v9
	;; [unrolled: 1-line block ×5, first 2 shown]
	v_mov_b32_e32 v43, v11
	ds_store_2addr_b64 v30, v[28:29], v[36:37] offset0:4 offset1:5
	ds_store_2addr_b64 v30, v[38:39], v[40:41] offset0:6 offset1:7
	;; [unrolled: 1-line block ×3, first 2 shown]
.LBB18_81:
	s_or_b32 exec_lo, exec_lo, s0
	s_delay_alu instid0(SALU_CYCLE_1)
	s_mov_b32 s0, exec_lo
	s_wait_storecnt_dscnt 0x0
	s_barrier_signal -1
	s_barrier_wait -1
	v_cmpx_lt_i32_e32 3, v34
	s_cbranch_execz .LBB18_83
; %bb.82:
	ds_load_2addr_b64 v[36:39], v30 offset0:4 offset1:5
	ds_load_2addr_b64 v[40:43], v30 offset0:6 offset1:7
	;; [unrolled: 1-line block ×3, first 2 shown]
	v_pk_mul_f32 v[28:29], v[26:27], v[4:5] op_sel:[1,1] op_sel_hi:[0,1]
	s_delay_alu instid0(VALU_DEP_1) | instskip(SKIP_1) | instid1(VALU_DEP_1)
	v_pk_fma_f32 v[48:49], v[26:27], v[4:5], v[28:29] op_sel_hi:[1,0,1] neg_lo:[0,0,1] neg_hi:[0,0,1]
	v_pk_fma_f32 v[26:27], v[26:27], v[4:5], v[28:29] op_sel_hi:[1,0,1]
	v_dual_mov_b32 v4, v48 :: v_dual_mov_b32 v5, v27
	s_wait_dscnt 0x2
	s_delay_alu instid0(VALU_DEP_2)
	v_pk_mul_f32 v[28:29], v[36:37], v[26:27] op_sel:[0,1]
	v_pk_mul_f32 v[50:51], v[38:39], v[26:27] op_sel:[0,1]
	s_wait_dscnt 0x1
	v_pk_mul_f32 v[52:53], v[40:41], v[26:27] op_sel:[0,1]
	v_dual_mov_b32 v54, v43 :: v_dual_mov_b32 v55, v42
	v_dual_mul_f32 v56, v43, v27 :: v_dual_mul_f32 v58, v43, v48
	s_wait_dscnt 0x0
	v_pk_mul_f32 v[60:61], v[44:45], v[26:27] op_sel:[0,1]
	v_dual_mov_b32 v62, v47 :: v_dual_mov_b32 v63, v46
	v_dual_mul_f32 v26, v47, v27 :: v_dual_mul_f32 v64, v47, v48
	v_pk_fma_f32 v[66:67], v[36:37], v[48:49], v[28:29] op_sel:[0,0,1] op_sel_hi:[1,1,0] neg_lo:[0,0,1] neg_hi:[0,0,1]
	v_pk_fma_f32 v[28:29], v[36:37], v[48:49], v[28:29] op_sel:[0,0,1] op_sel_hi:[1,0,0]
	v_pk_fma_f32 v[36:37], v[38:39], v[48:49], v[50:51] op_sel:[0,0,1] op_sel_hi:[1,1,0] neg_lo:[0,0,1] neg_hi:[0,0,1]
	v_pk_fma_f32 v[38:39], v[38:39], v[48:49], v[50:51] op_sel:[0,0,1] op_sel_hi:[1,0,0]
	;; [unrolled: 2-line block ×3, first 2 shown]
	v_pk_fma_f32 v[52:53], v[54:55], v[4:5], v[58:59] op_sel_hi:[1,1,0]
	v_pk_fma_f32 v[54:55], v[44:45], v[48:49], v[60:61] op_sel:[0,0,1] op_sel_hi:[1,1,0] neg_lo:[0,0,1] neg_hi:[0,0,1]
	v_pk_fma_f32 v[44:45], v[44:45], v[48:49], v[60:61] op_sel:[0,0,1] op_sel_hi:[1,0,0]
	v_dual_mov_b32 v67, v29 :: v_dual_mov_b32 v37, v39
	v_pk_fma_f32 v[28:29], v[62:63], v[4:5], v[64:65] op_sel_hi:[1,1,0]
	v_pk_fma_f32 v[42:43], v[42:43], v[4:5], v[56:57] op_sel_hi:[1,1,0] neg_lo:[0,0,1] neg_hi:[0,0,1]
	v_pk_fma_f32 v[26:27], v[46:47], v[4:5], v[26:27] op_sel_hi:[1,1,0] neg_lo:[0,0,1] neg_hi:[0,0,1]
	v_dual_mov_b32 v51, v41 :: v_dual_mov_b32 v43, v53
	s_delay_alu instid0(VALU_DEP_4) | instskip(SKIP_2) | instid1(VALU_DEP_4)
	v_dual_mov_b32 v55, v45 :: v_dual_mov_b32 v27, v29
	v_pk_add_f32 v[18:19], v[18:19], v[66:67] neg_lo:[0,1] neg_hi:[0,1]
	v_pk_add_f32 v[8:9], v[8:9], v[36:37] neg_lo:[0,1] neg_hi:[0,1]
	v_pk_add_f32 v[16:17], v[16:17], v[50:51] neg_lo:[0,1] neg_hi:[0,1]
	v_pk_add_f32 v[14:15], v[14:15], v[42:43] neg_lo:[0,1] neg_hi:[0,1]
	v_pk_add_f32 v[10:11], v[10:11], v[54:55] neg_lo:[0,1] neg_hi:[0,1]
	v_pk_add_f32 v[24:25], v[24:25], v[26:27] neg_lo:[0,1] neg_hi:[0,1]
.LBB18_83:
	s_or_b32 exec_lo, exec_lo, s0
	v_lshl_add_u32 v26, v34, 3, v30
	s_barrier_signal -1
	s_barrier_wait -1
	ds_store_b64 v26, v[18:19]
	s_wait_dscnt 0x0
	s_barrier_signal -1
	s_barrier_wait -1
	ds_load_b64 v[26:27], v30 offset:32
	v_mov_b32_e32 v28, 4
	s_cmp_lt_i32 s14, 6
	s_cbranch_scc1 .LBB18_86
; %bb.84:
	v_add3_u32 v29, v31, 0, 40
	v_mov_b32_e32 v28, 4
	s_mov_b32 s0, 5
.LBB18_85:                              ; =>This Inner Loop Header: Depth=1
	ds_load_b64 v[36:37], v29
	s_wait_dscnt 0x1
	v_cmp_gt_f32_e32 vcc_lo, 0, v26
	v_cndmask_b32_e64 v38, v26, -v26, vcc_lo
	v_cmp_gt_f32_e32 vcc_lo, 0, v27
	v_cndmask_b32_e64 v40, v27, -v27, vcc_lo
	s_wait_dscnt 0x0
	v_cmp_gt_f32_e32 vcc_lo, 0, v36
	v_cndmask_b32_e64 v39, v36, -v36, vcc_lo
	v_cmp_gt_f32_e32 vcc_lo, 0, v37
	v_cndmask_b32_e64 v41, v37, -v37, vcc_lo
	s_delay_alu instid0(VALU_DEP_1) | instskip(NEXT) | instid1(VALU_DEP_1)
	v_pk_add_f32 v[38:39], v[38:39], v[40:41]
	v_cmp_lt_f32_e32 vcc_lo, v38, v39
	v_dual_cndmask_b32 v26, v26, v36 :: v_dual_add_nc_u32 v29, 8, v29
	v_cndmask_b32_e32 v27, v27, v37, vcc_lo
	v_cndmask_b32_e64 v28, v28, s0, vcc_lo
	s_add_co_i32 s0, s0, 1
	s_delay_alu instid0(SALU_CYCLE_1)
	s_cmp_lg_u32 s14, s0
	s_cbranch_scc1 .LBB18_85
.LBB18_86:
	s_wait_dscnt 0x0
	v_cmp_eq_f32_e32 vcc_lo, 0, v26
	v_cmp_eq_f32_e64 s0, 0, v27
	s_and_b32 s0, vcc_lo, s0
	s_delay_alu instid0(SALU_CYCLE_1) | instskip(NEXT) | instid1(SALU_CYCLE_1)
	s_and_saveexec_b32 s1, s0
	s_xor_b32 s0, exec_lo, s1
; %bb.87:
	v_cmp_ne_u32_e32 vcc_lo, 0, v33
	v_cndmask_b32_e32 v33, 5, v33, vcc_lo
; %bb.88:
	s_and_not1_saveexec_b32 s0, s0
	s_cbranch_execz .LBB18_94
; %bb.89:
	v_cmp_ngt_f32_e64 s1, |v26|, |v27|
	s_and_saveexec_b32 s15, s1
	s_delay_alu instid0(SALU_CYCLE_1)
	s_xor_b32 s1, exec_lo, s15
	s_cbranch_execz .LBB18_91
; %bb.90:
	v_div_scale_f32 v29, null, v27, v27, v26
	v_div_scale_f32 v37, vcc_lo, v26, v27, v26
	s_delay_alu instid0(VALU_DEP_2) | instskip(SKIP_1) | instid1(TRANS32_DEP_1)
	v_rcp_f32_e32 v35, v29
	v_nop
	v_fma_f32 v36, -v29, v35, 1.0
	s_delay_alu instid0(VALU_DEP_1) | instskip(NEXT) | instid1(VALU_DEP_1)
	v_fmac_f32_e32 v35, v36, v35
	v_mul_f32_e32 v36, v37, v35
	s_delay_alu instid0(VALU_DEP_1) | instskip(NEXT) | instid1(VALU_DEP_1)
	v_fma_f32 v38, -v29, v36, v37
	v_fmac_f32_e32 v36, v38, v35
	s_delay_alu instid0(VALU_DEP_1) | instskip(NEXT) | instid1(VALU_DEP_1)
	v_fma_f32 v29, -v29, v36, v37
	v_div_fmas_f32 v29, v29, v35, v36
	s_delay_alu instid0(VALU_DEP_1) | instskip(NEXT) | instid1(VALU_DEP_1)
	v_div_fixup_f32 v29, v29, v27, v26
	v_fmac_f32_e32 v27, v26, v29
	s_delay_alu instid0(VALU_DEP_1) | instskip(SKIP_1) | instid1(VALU_DEP_2)
	v_div_scale_f32 v26, null, v27, v27, 1.0
	v_div_scale_f32 v37, vcc_lo, 1.0, v27, 1.0
	v_rcp_f32_e32 v35, v26
	v_nop
	s_delay_alu instid0(TRANS32_DEP_1) | instskip(NEXT) | instid1(VALU_DEP_1)
	v_fma_f32 v36, -v26, v35, 1.0
	v_fmac_f32_e32 v35, v36, v35
	s_delay_alu instid0(VALU_DEP_1) | instskip(NEXT) | instid1(VALU_DEP_1)
	v_mul_f32_e32 v36, v37, v35
	v_fma_f32 v38, -v26, v36, v37
	s_delay_alu instid0(VALU_DEP_1) | instskip(NEXT) | instid1(VALU_DEP_1)
	v_fmac_f32_e32 v36, v38, v35
	v_fma_f32 v26, -v26, v36, v37
	s_delay_alu instid0(VALU_DEP_1) | instskip(NEXT) | instid1(VALU_DEP_1)
	v_div_fmas_f32 v26, v26, v35, v36
	v_div_fixup_f32 v27, v26, v27, 1.0
	s_delay_alu instid0(VALU_DEP_1)
	v_mul_f32_e32 v26, v29, v27
	v_xor_b32_e32 v27, 0x80000000, v27
.LBB18_91:
	s_and_not1_saveexec_b32 s1, s1
	s_cbranch_execz .LBB18_93
; %bb.92:
	s_delay_alu instid0(VALU_DEP_1) | instskip(SKIP_1) | instid1(VALU_DEP_2)
	v_div_scale_f32 v29, null, v26, v26, v27
	v_div_scale_f32 v37, vcc_lo, v27, v26, v27
	v_rcp_f32_e32 v35, v29
	v_nop
	s_delay_alu instid0(TRANS32_DEP_1) | instskip(NEXT) | instid1(VALU_DEP_1)
	v_fma_f32 v36, -v29, v35, 1.0
	v_fmac_f32_e32 v35, v36, v35
	s_delay_alu instid0(VALU_DEP_1) | instskip(NEXT) | instid1(VALU_DEP_1)
	v_mul_f32_e32 v36, v37, v35
	v_fma_f32 v38, -v29, v36, v37
	s_delay_alu instid0(VALU_DEP_1) | instskip(NEXT) | instid1(VALU_DEP_1)
	v_fmac_f32_e32 v36, v38, v35
	v_fma_f32 v29, -v29, v36, v37
	s_delay_alu instid0(VALU_DEP_1) | instskip(NEXT) | instid1(VALU_DEP_1)
	v_div_fmas_f32 v29, v29, v35, v36
	v_div_fixup_f32 v29, v29, v26, v27
	s_delay_alu instid0(VALU_DEP_1) | instskip(NEXT) | instid1(VALU_DEP_1)
	v_fmac_f32_e32 v26, v27, v29
	v_div_scale_f32 v27, null, v26, v26, 1.0
	s_delay_alu instid0(VALU_DEP_1) | instskip(SKIP_1) | instid1(TRANS32_DEP_1)
	v_rcp_f32_e32 v35, v27
	v_nop
	v_fma_f32 v36, -v27, v35, 1.0
	s_delay_alu instid0(VALU_DEP_1) | instskip(SKIP_1) | instid1(VALU_DEP_1)
	v_fmac_f32_e32 v35, v36, v35
	v_div_scale_f32 v36, vcc_lo, 1.0, v26, 1.0
	v_mul_f32_e32 v37, v36, v35
	s_delay_alu instid0(VALU_DEP_1) | instskip(NEXT) | instid1(VALU_DEP_1)
	v_fma_f32 v38, -v27, v37, v36
	v_fmac_f32_e32 v37, v38, v35
	s_delay_alu instid0(VALU_DEP_1) | instskip(NEXT) | instid1(VALU_DEP_1)
	v_fma_f32 v27, -v27, v37, v36
	v_div_fmas_f32 v27, v27, v35, v37
	s_delay_alu instid0(VALU_DEP_1) | instskip(NEXT) | instid1(VALU_DEP_1)
	v_div_fixup_f32 v26, v27, v26, 1.0
	v_mul_f32_e64 v27, v29, -v26
.LBB18_93:
	s_or_b32 exec_lo, exec_lo, s1
.LBB18_94:
	s_delay_alu instid0(SALU_CYCLE_1) | instskip(NEXT) | instid1(SALU_CYCLE_1)
	s_or_b32 exec_lo, exec_lo, s0
	s_mov_b32 s0, exec_lo
	v_cmpx_ne_u32_e64 v34, v28
	s_xor_b32 s0, exec_lo, s0
	s_cbranch_execz .LBB18_100
; %bb.95:
	s_mov_b32 s1, exec_lo
	v_cmpx_eq_u32_e32 4, v34
	s_cbranch_execz .LBB18_99
; %bb.96:
	v_cmp_ne_u32_e32 vcc_lo, 4, v28
	s_xor_b32 s15, s12, -1
	s_delay_alu instid0(SALU_CYCLE_1) | instskip(NEXT) | instid1(SALU_CYCLE_1)
	s_and_b32 s16, s15, vcc_lo
	s_and_saveexec_b32 s15, s16
	s_cbranch_execz .LBB18_98
; %bb.97:
	v_ashrrev_i32_e32 v29, 31, v28
	s_delay_alu instid0(VALU_DEP_1)
	v_lshl_add_u64 v[34:35], v[28:29], 2, v[22:23]
	s_clause 0x1
	global_load_b32 v29, v[34:35], off
	global_load_b32 v32, v[22:23], off offset:16
	s_wait_loadcnt 0x1
	global_store_b32 v[22:23], v29, off offset:16
	s_wait_loadcnt 0x0
	global_store_b32 v[34:35], v32, off
.LBB18_98:
	s_wait_xcnt 0x0
	s_or_b32 exec_lo, exec_lo, s15
	v_dual_mov_b32 v34, v28 :: v_dual_mov_b32 v32, v28
.LBB18_99:
	s_or_b32 exec_lo, exec_lo, s1
.LBB18_100:
	s_and_not1_saveexec_b32 s0, s0
	s_cbranch_execz .LBB18_102
; %bb.101:
	v_mov_b32_e32 v34, 4
	ds_store_2addr_b64 v30, v[8:9], v[16:17] offset0:5 offset1:6
	ds_store_2addr_b64 v30, v[14:15], v[10:11] offset0:7 offset1:8
	ds_store_b64 v30, v[24:25] offset:72
.LBB18_102:
	s_or_b32 exec_lo, exec_lo, s0
	s_delay_alu instid0(SALU_CYCLE_1)
	s_mov_b32 s0, exec_lo
	s_wait_storecnt_dscnt 0x0
	s_barrier_signal -1
	s_barrier_wait -1
	v_cmpx_lt_i32_e32 4, v34
	s_cbranch_execz .LBB18_104
; %bb.103:
	ds_load_2addr_b64 v[36:39], v30 offset0:5 offset1:6
	ds_load_2addr_b64 v[40:43], v30 offset0:7 offset1:8
	ds_load_b64 v[28:29], v30 offset:72
	v_pk_mul_f32 v[44:45], v[26:27], v[18:19] op_sel:[1,1] op_sel_hi:[0,1]
	s_delay_alu instid0(VALU_DEP_1) | instskip(SKIP_1) | instid1(VALU_DEP_1)
	v_pk_fma_f32 v[46:47], v[26:27], v[18:19], v[44:45] op_sel_hi:[1,0,1] neg_lo:[0,0,1] neg_hi:[0,0,1]
	v_pk_fma_f32 v[26:27], v[26:27], v[18:19], v[44:45] op_sel_hi:[1,0,1]
	v_dual_mov_b32 v18, v46 :: v_dual_mov_b32 v19, v27
	s_wait_dscnt 0x2
	s_delay_alu instid0(VALU_DEP_2)
	v_pk_mul_f32 v[44:45], v[36:37], v[26:27] op_sel:[0,1]
	v_pk_mul_f32 v[48:49], v[38:39], v[26:27] op_sel:[0,1]
	s_wait_dscnt 0x1
	v_pk_mul_f32 v[50:51], v[40:41], v[26:27] op_sel:[0,1]
	v_dual_mov_b32 v52, v43 :: v_dual_mov_b32 v53, v42
	v_dual_mul_f32 v54, v43, v27 :: v_dual_mul_f32 v56, v43, v46
	s_wait_dscnt 0x0
	v_pk_mul_f32 v[26:27], v[28:29], v[26:27] op_sel:[0,1]
	v_pk_fma_f32 v[58:59], v[36:37], v[46:47], v[44:45] op_sel:[0,0,1] op_sel_hi:[1,1,0] neg_lo:[0,0,1] neg_hi:[0,0,1]
	v_pk_fma_f32 v[36:37], v[36:37], v[46:47], v[44:45] op_sel:[0,0,1] op_sel_hi:[1,0,0]
	v_pk_fma_f32 v[44:45], v[38:39], v[46:47], v[48:49] op_sel:[0,0,1] op_sel_hi:[1,1,0] neg_lo:[0,0,1] neg_hi:[0,0,1]
	v_pk_fma_f32 v[38:39], v[38:39], v[46:47], v[48:49] op_sel:[0,0,1] op_sel_hi:[1,0,0]
	;; [unrolled: 2-line block ×3, first 2 shown]
	v_pk_fma_f32 v[50:51], v[52:53], v[18:19], v[56:57] op_sel_hi:[1,1,0]
	v_pk_fma_f32 v[52:53], v[28:29], v[46:47], v[26:27] op_sel:[0,0,1] op_sel_hi:[1,1,0] neg_lo:[0,0,1] neg_hi:[0,0,1]
	v_pk_fma_f32 v[26:27], v[28:29], v[46:47], v[26:27] op_sel:[0,0,1] op_sel_hi:[1,0,0]
	v_pk_fma_f32 v[42:43], v[42:43], v[18:19], v[54:55] op_sel_hi:[1,1,0] neg_lo:[0,0,1] neg_hi:[0,0,1]
	v_dual_mov_b32 v59, v37 :: v_dual_mov_b32 v45, v39
	v_dual_mov_b32 v49, v41 :: v_dual_mov_b32 v43, v51
	s_delay_alu instid0(VALU_DEP_4) | instskip(NEXT) | instid1(VALU_DEP_3)
	v_mov_b32_e32 v53, v27
	v_pk_add_f32 v[8:9], v[8:9], v[58:59] neg_lo:[0,1] neg_hi:[0,1]
	s_delay_alu instid0(VALU_DEP_4) | instskip(NEXT) | instid1(VALU_DEP_4)
	v_pk_add_f32 v[16:17], v[16:17], v[44:45] neg_lo:[0,1] neg_hi:[0,1]
	v_pk_add_f32 v[14:15], v[14:15], v[48:49] neg_lo:[0,1] neg_hi:[0,1]
	;; [unrolled: 1-line block ×4, first 2 shown]
.LBB18_104:
	s_or_b32 exec_lo, exec_lo, s0
	v_lshl_add_u32 v26, v34, 3, v30
	s_barrier_signal -1
	s_barrier_wait -1
	ds_store_b64 v26, v[8:9]
	s_wait_dscnt 0x0
	s_barrier_signal -1
	s_barrier_wait -1
	ds_load_b64 v[26:27], v30 offset:40
	v_mov_b32_e32 v28, 5
	s_cmp_lt_i32 s14, 7
	s_cbranch_scc1 .LBB18_107
; %bb.105:
	v_add3_u32 v29, v31, 0, 48
	v_mov_b32_e32 v28, 5
	s_mov_b32 s0, 6
.LBB18_106:                             ; =>This Inner Loop Header: Depth=1
	ds_load_b64 v[36:37], v29
	s_wait_dscnt 0x1
	v_cmp_gt_f32_e32 vcc_lo, 0, v26
	v_cndmask_b32_e64 v38, v26, -v26, vcc_lo
	v_cmp_gt_f32_e32 vcc_lo, 0, v27
	v_cndmask_b32_e64 v40, v27, -v27, vcc_lo
	s_wait_dscnt 0x0
	v_cmp_gt_f32_e32 vcc_lo, 0, v36
	v_cndmask_b32_e64 v39, v36, -v36, vcc_lo
	v_cmp_gt_f32_e32 vcc_lo, 0, v37
	v_cndmask_b32_e64 v41, v37, -v37, vcc_lo
	s_delay_alu instid0(VALU_DEP_1) | instskip(NEXT) | instid1(VALU_DEP_1)
	v_pk_add_f32 v[38:39], v[38:39], v[40:41]
	v_cmp_lt_f32_e32 vcc_lo, v38, v39
	v_dual_cndmask_b32 v26, v26, v36 :: v_dual_add_nc_u32 v29, 8, v29
	v_cndmask_b32_e32 v27, v27, v37, vcc_lo
	v_cndmask_b32_e64 v28, v28, s0, vcc_lo
	s_add_co_i32 s0, s0, 1
	s_delay_alu instid0(SALU_CYCLE_1)
	s_cmp_lg_u32 s14, s0
	s_cbranch_scc1 .LBB18_106
.LBB18_107:
	s_wait_dscnt 0x0
	v_cmp_eq_f32_e32 vcc_lo, 0, v26
	v_cmp_eq_f32_e64 s0, 0, v27
	s_and_b32 s0, vcc_lo, s0
	s_delay_alu instid0(SALU_CYCLE_1) | instskip(NEXT) | instid1(SALU_CYCLE_1)
	s_and_saveexec_b32 s1, s0
	s_xor_b32 s0, exec_lo, s1
; %bb.108:
	v_cmp_ne_u32_e32 vcc_lo, 0, v33
	v_cndmask_b32_e32 v33, 6, v33, vcc_lo
; %bb.109:
	s_and_not1_saveexec_b32 s0, s0
	s_cbranch_execz .LBB18_115
; %bb.110:
	v_cmp_ngt_f32_e64 s1, |v26|, |v27|
	s_and_saveexec_b32 s15, s1
	s_delay_alu instid0(SALU_CYCLE_1)
	s_xor_b32 s1, exec_lo, s15
	s_cbranch_execz .LBB18_112
; %bb.111:
	v_div_scale_f32 v29, null, v27, v27, v26
	v_div_scale_f32 v37, vcc_lo, v26, v27, v26
	s_delay_alu instid0(VALU_DEP_2) | instskip(SKIP_1) | instid1(TRANS32_DEP_1)
	v_rcp_f32_e32 v35, v29
	v_nop
	v_fma_f32 v36, -v29, v35, 1.0
	s_delay_alu instid0(VALU_DEP_1) | instskip(NEXT) | instid1(VALU_DEP_1)
	v_fmac_f32_e32 v35, v36, v35
	v_mul_f32_e32 v36, v37, v35
	s_delay_alu instid0(VALU_DEP_1) | instskip(NEXT) | instid1(VALU_DEP_1)
	v_fma_f32 v38, -v29, v36, v37
	v_fmac_f32_e32 v36, v38, v35
	s_delay_alu instid0(VALU_DEP_1) | instskip(NEXT) | instid1(VALU_DEP_1)
	v_fma_f32 v29, -v29, v36, v37
	v_div_fmas_f32 v29, v29, v35, v36
	s_delay_alu instid0(VALU_DEP_1) | instskip(NEXT) | instid1(VALU_DEP_1)
	v_div_fixup_f32 v29, v29, v27, v26
	v_fmac_f32_e32 v27, v26, v29
	s_delay_alu instid0(VALU_DEP_1) | instskip(SKIP_1) | instid1(VALU_DEP_2)
	v_div_scale_f32 v26, null, v27, v27, 1.0
	v_div_scale_f32 v37, vcc_lo, 1.0, v27, 1.0
	v_rcp_f32_e32 v35, v26
	v_nop
	s_delay_alu instid0(TRANS32_DEP_1) | instskip(NEXT) | instid1(VALU_DEP_1)
	v_fma_f32 v36, -v26, v35, 1.0
	v_fmac_f32_e32 v35, v36, v35
	s_delay_alu instid0(VALU_DEP_1) | instskip(NEXT) | instid1(VALU_DEP_1)
	v_mul_f32_e32 v36, v37, v35
	v_fma_f32 v38, -v26, v36, v37
	s_delay_alu instid0(VALU_DEP_1) | instskip(NEXT) | instid1(VALU_DEP_1)
	v_fmac_f32_e32 v36, v38, v35
	v_fma_f32 v26, -v26, v36, v37
	s_delay_alu instid0(VALU_DEP_1) | instskip(NEXT) | instid1(VALU_DEP_1)
	v_div_fmas_f32 v26, v26, v35, v36
	v_div_fixup_f32 v27, v26, v27, 1.0
	s_delay_alu instid0(VALU_DEP_1)
	v_mul_f32_e32 v26, v29, v27
	v_xor_b32_e32 v27, 0x80000000, v27
.LBB18_112:
	s_and_not1_saveexec_b32 s1, s1
	s_cbranch_execz .LBB18_114
; %bb.113:
	s_delay_alu instid0(VALU_DEP_1) | instskip(SKIP_1) | instid1(VALU_DEP_2)
	v_div_scale_f32 v29, null, v26, v26, v27
	v_div_scale_f32 v37, vcc_lo, v27, v26, v27
	v_rcp_f32_e32 v35, v29
	v_nop
	s_delay_alu instid0(TRANS32_DEP_1) | instskip(NEXT) | instid1(VALU_DEP_1)
	v_fma_f32 v36, -v29, v35, 1.0
	v_fmac_f32_e32 v35, v36, v35
	s_delay_alu instid0(VALU_DEP_1) | instskip(NEXT) | instid1(VALU_DEP_1)
	v_mul_f32_e32 v36, v37, v35
	v_fma_f32 v38, -v29, v36, v37
	s_delay_alu instid0(VALU_DEP_1) | instskip(NEXT) | instid1(VALU_DEP_1)
	v_fmac_f32_e32 v36, v38, v35
	v_fma_f32 v29, -v29, v36, v37
	s_delay_alu instid0(VALU_DEP_1) | instskip(NEXT) | instid1(VALU_DEP_1)
	v_div_fmas_f32 v29, v29, v35, v36
	v_div_fixup_f32 v29, v29, v26, v27
	s_delay_alu instid0(VALU_DEP_1) | instskip(NEXT) | instid1(VALU_DEP_1)
	v_fmac_f32_e32 v26, v27, v29
	v_div_scale_f32 v27, null, v26, v26, 1.0
	s_delay_alu instid0(VALU_DEP_1) | instskip(SKIP_1) | instid1(TRANS32_DEP_1)
	v_rcp_f32_e32 v35, v27
	v_nop
	v_fma_f32 v36, -v27, v35, 1.0
	s_delay_alu instid0(VALU_DEP_1) | instskip(SKIP_1) | instid1(VALU_DEP_1)
	v_fmac_f32_e32 v35, v36, v35
	v_div_scale_f32 v36, vcc_lo, 1.0, v26, 1.0
	v_mul_f32_e32 v37, v36, v35
	s_delay_alu instid0(VALU_DEP_1) | instskip(NEXT) | instid1(VALU_DEP_1)
	v_fma_f32 v38, -v27, v37, v36
	v_fmac_f32_e32 v37, v38, v35
	s_delay_alu instid0(VALU_DEP_1) | instskip(NEXT) | instid1(VALU_DEP_1)
	v_fma_f32 v27, -v27, v37, v36
	v_div_fmas_f32 v27, v27, v35, v37
	s_delay_alu instid0(VALU_DEP_1) | instskip(NEXT) | instid1(VALU_DEP_1)
	v_div_fixup_f32 v26, v27, v26, 1.0
	v_mul_f32_e64 v27, v29, -v26
.LBB18_114:
	s_or_b32 exec_lo, exec_lo, s1
.LBB18_115:
	s_delay_alu instid0(SALU_CYCLE_1) | instskip(NEXT) | instid1(SALU_CYCLE_1)
	s_or_b32 exec_lo, exec_lo, s0
	s_mov_b32 s0, exec_lo
	v_cmpx_ne_u32_e64 v34, v28
	s_xor_b32 s0, exec_lo, s0
	s_cbranch_execz .LBB18_121
; %bb.116:
	s_mov_b32 s1, exec_lo
	v_cmpx_eq_u32_e32 5, v34
	s_cbranch_execz .LBB18_120
; %bb.117:
	v_cmp_ne_u32_e32 vcc_lo, 5, v28
	s_xor_b32 s15, s12, -1
	s_delay_alu instid0(SALU_CYCLE_1) | instskip(NEXT) | instid1(SALU_CYCLE_1)
	s_and_b32 s16, s15, vcc_lo
	s_and_saveexec_b32 s15, s16
	s_cbranch_execz .LBB18_119
; %bb.118:
	v_ashrrev_i32_e32 v29, 31, v28
	s_delay_alu instid0(VALU_DEP_1)
	v_lshl_add_u64 v[34:35], v[28:29], 2, v[22:23]
	s_clause 0x1
	global_load_b32 v29, v[34:35], off
	global_load_b32 v32, v[22:23], off offset:20
	s_wait_loadcnt 0x1
	global_store_b32 v[22:23], v29, off offset:20
	s_wait_loadcnt 0x0
	global_store_b32 v[34:35], v32, off
.LBB18_119:
	s_wait_xcnt 0x0
	s_or_b32 exec_lo, exec_lo, s15
	v_dual_mov_b32 v34, v28 :: v_dual_mov_b32 v32, v28
.LBB18_120:
	s_or_b32 exec_lo, exec_lo, s1
.LBB18_121:
	s_and_not1_saveexec_b32 s0, s0
	s_cbranch_execz .LBB18_123
; %bb.122:
	v_dual_mov_b32 v28, v16 :: v_dual_mov_b32 v29, v17
	v_dual_mov_b32 v36, v14 :: v_dual_mov_b32 v37, v15
	;; [unrolled: 1-line block ×3, first 2 shown]
	v_mov_b32_e32 v39, v11
	ds_store_2addr_b64 v30, v[28:29], v[36:37] offset0:6 offset1:7
	ds_store_2addr_b64 v30, v[38:39], v[24:25] offset0:8 offset1:9
.LBB18_123:
	s_or_b32 exec_lo, exec_lo, s0
	s_delay_alu instid0(SALU_CYCLE_1)
	s_mov_b32 s0, exec_lo
	s_wait_storecnt_dscnt 0x0
	s_barrier_signal -1
	s_barrier_wait -1
	v_cmpx_lt_i32_e32 5, v34
	s_cbranch_execz .LBB18_125
; %bb.124:
	ds_load_2addr_b64 v[36:39], v30 offset0:6 offset1:7
	ds_load_2addr_b64 v[40:43], v30 offset0:8 offset1:9
	v_pk_mul_f32 v[28:29], v[26:27], v[8:9] op_sel:[1,1] op_sel_hi:[0,1]
	s_delay_alu instid0(VALU_DEP_1) | instskip(SKIP_1) | instid1(VALU_DEP_1)
	v_pk_fma_f32 v[44:45], v[26:27], v[8:9], v[28:29] op_sel_hi:[1,0,1] neg_lo:[0,0,1] neg_hi:[0,0,1]
	v_pk_fma_f32 v[26:27], v[26:27], v[8:9], v[28:29] op_sel_hi:[1,0,1]
	v_dual_mov_b32 v8, v44 :: v_dual_mov_b32 v9, v27
	s_wait_dscnt 0x1
	s_delay_alu instid0(VALU_DEP_2)
	v_pk_mul_f32 v[28:29], v[36:37], v[26:27] op_sel:[0,1]
	s_wait_dscnt 0x0
	v_mov_b32_e32 v46, v43
	v_pk_mul_f32 v[48:49], v[38:39], v[26:27] op_sel:[0,1]
	v_pk_mul_f32 v[50:51], v[40:41], v[26:27] op_sel:[0,1]
	v_pk_fma_f32 v[52:53], v[36:37], v[44:45], v[28:29] op_sel:[0,0,1] op_sel_hi:[1,1,0] neg_lo:[0,0,1] neg_hi:[0,0,1]
	v_pk_fma_f32 v[28:29], v[36:37], v[44:45], v[28:29] op_sel:[0,0,1] op_sel_hi:[1,0,0]
	s_delay_alu instid0(VALU_DEP_1) | instskip(NEXT) | instid1(VALU_DEP_1)
	v_dual_mov_b32 v47, v42 :: v_dual_mov_b32 v53, v29
	v_pk_mul_f32 v[36:37], v[46:47], v[26:27] op_sel:[0,1]
	v_pk_fma_f32 v[46:47], v[38:39], v[44:45], v[48:49] op_sel:[0,0,1] op_sel_hi:[1,0,0]
	v_pk_fma_f32 v[38:39], v[38:39], v[44:45], v[48:49] op_sel:[0,0,1] op_sel_hi:[1,1,0] neg_lo:[0,0,1] neg_hi:[0,0,1]
	v_pk_fma_f32 v[48:49], v[40:41], v[44:45], v[50:51] op_sel:[0,0,1] op_sel_hi:[1,0,0]
	v_pk_fma_f32 v[40:41], v[40:41], v[44:45], v[50:51] op_sel:[0,0,1] op_sel_hi:[1,1,0] neg_lo:[0,0,1] neg_hi:[0,0,1]
	v_pk_fma_f32 v[28:29], v[42:43], v[44:45], v[36:37] op_sel_hi:[1,0,1]
	v_pk_fma_f32 v[36:37], v[42:43], v[44:45], v[36:37] neg_lo:[0,0,1] neg_hi:[0,0,1]
	s_delay_alu instid0(VALU_DEP_4) | instskip(SKIP_1) | instid1(VALU_DEP_4)
	v_dual_mov_b32 v39, v47 :: v_dual_mov_b32 v41, v49
	v_pk_add_f32 v[16:17], v[16:17], v[52:53] neg_lo:[0,1] neg_hi:[0,1]
	v_mov_b32_e32 v37, v29
	s_delay_alu instid0(VALU_DEP_3) | instskip(NEXT) | instid1(VALU_DEP_4)
	v_pk_add_f32 v[14:15], v[14:15], v[38:39] neg_lo:[0,1] neg_hi:[0,1]
	v_pk_add_f32 v[10:11], v[10:11], v[40:41] neg_lo:[0,1] neg_hi:[0,1]
	s_delay_alu instid0(VALU_DEP_3)
	v_pk_add_f32 v[24:25], v[24:25], v[36:37] neg_lo:[0,1] neg_hi:[0,1]
.LBB18_125:
	s_or_b32 exec_lo, exec_lo, s0
	v_lshl_add_u32 v26, v34, 3, v30
	s_barrier_signal -1
	s_barrier_wait -1
	ds_store_b64 v26, v[16:17]
	s_wait_dscnt 0x0
	s_barrier_signal -1
	s_barrier_wait -1
	ds_load_b64 v[26:27], v30 offset:48
	v_mov_b32_e32 v28, 6
	s_cmp_lt_i32 s14, 8
	s_cbranch_scc1 .LBB18_128
; %bb.126:
	v_add3_u32 v29, v31, 0, 56
	v_mov_b32_e32 v28, 6
	s_mov_b32 s0, 7
.LBB18_127:                             ; =>This Inner Loop Header: Depth=1
	ds_load_b64 v[36:37], v29
	s_wait_dscnt 0x1
	v_cmp_gt_f32_e32 vcc_lo, 0, v26
	v_cndmask_b32_e64 v38, v26, -v26, vcc_lo
	v_cmp_gt_f32_e32 vcc_lo, 0, v27
	v_cndmask_b32_e64 v40, v27, -v27, vcc_lo
	s_wait_dscnt 0x0
	v_cmp_gt_f32_e32 vcc_lo, 0, v36
	v_cndmask_b32_e64 v39, v36, -v36, vcc_lo
	v_cmp_gt_f32_e32 vcc_lo, 0, v37
	v_cndmask_b32_e64 v41, v37, -v37, vcc_lo
	s_delay_alu instid0(VALU_DEP_1) | instskip(NEXT) | instid1(VALU_DEP_1)
	v_pk_add_f32 v[38:39], v[38:39], v[40:41]
	v_cmp_lt_f32_e32 vcc_lo, v38, v39
	v_dual_cndmask_b32 v26, v26, v36 :: v_dual_add_nc_u32 v29, 8, v29
	v_cndmask_b32_e32 v27, v27, v37, vcc_lo
	v_cndmask_b32_e64 v28, v28, s0, vcc_lo
	s_add_co_i32 s0, s0, 1
	s_delay_alu instid0(SALU_CYCLE_1)
	s_cmp_lg_u32 s14, s0
	s_cbranch_scc1 .LBB18_127
.LBB18_128:
	s_wait_dscnt 0x0
	v_cmp_eq_f32_e32 vcc_lo, 0, v26
	v_cmp_eq_f32_e64 s0, 0, v27
	s_and_b32 s0, vcc_lo, s0
	s_delay_alu instid0(SALU_CYCLE_1) | instskip(NEXT) | instid1(SALU_CYCLE_1)
	s_and_saveexec_b32 s1, s0
	s_xor_b32 s0, exec_lo, s1
; %bb.129:
	v_cmp_ne_u32_e32 vcc_lo, 0, v33
	v_cndmask_b32_e32 v33, 7, v33, vcc_lo
; %bb.130:
	s_and_not1_saveexec_b32 s0, s0
	s_cbranch_execz .LBB18_136
; %bb.131:
	v_cmp_ngt_f32_e64 s1, |v26|, |v27|
	s_and_saveexec_b32 s15, s1
	s_delay_alu instid0(SALU_CYCLE_1)
	s_xor_b32 s1, exec_lo, s15
	s_cbranch_execz .LBB18_133
; %bb.132:
	v_div_scale_f32 v29, null, v27, v27, v26
	v_div_scale_f32 v37, vcc_lo, v26, v27, v26
	s_delay_alu instid0(VALU_DEP_2) | instskip(SKIP_1) | instid1(TRANS32_DEP_1)
	v_rcp_f32_e32 v35, v29
	v_nop
	v_fma_f32 v36, -v29, v35, 1.0
	s_delay_alu instid0(VALU_DEP_1) | instskip(NEXT) | instid1(VALU_DEP_1)
	v_fmac_f32_e32 v35, v36, v35
	v_mul_f32_e32 v36, v37, v35
	s_delay_alu instid0(VALU_DEP_1) | instskip(NEXT) | instid1(VALU_DEP_1)
	v_fma_f32 v38, -v29, v36, v37
	v_fmac_f32_e32 v36, v38, v35
	s_delay_alu instid0(VALU_DEP_1) | instskip(NEXT) | instid1(VALU_DEP_1)
	v_fma_f32 v29, -v29, v36, v37
	v_div_fmas_f32 v29, v29, v35, v36
	s_delay_alu instid0(VALU_DEP_1) | instskip(NEXT) | instid1(VALU_DEP_1)
	v_div_fixup_f32 v29, v29, v27, v26
	v_fmac_f32_e32 v27, v26, v29
	s_delay_alu instid0(VALU_DEP_1) | instskip(SKIP_1) | instid1(VALU_DEP_2)
	v_div_scale_f32 v26, null, v27, v27, 1.0
	v_div_scale_f32 v37, vcc_lo, 1.0, v27, 1.0
	v_rcp_f32_e32 v35, v26
	v_nop
	s_delay_alu instid0(TRANS32_DEP_1) | instskip(NEXT) | instid1(VALU_DEP_1)
	v_fma_f32 v36, -v26, v35, 1.0
	v_fmac_f32_e32 v35, v36, v35
	s_delay_alu instid0(VALU_DEP_1) | instskip(NEXT) | instid1(VALU_DEP_1)
	v_mul_f32_e32 v36, v37, v35
	v_fma_f32 v38, -v26, v36, v37
	s_delay_alu instid0(VALU_DEP_1) | instskip(NEXT) | instid1(VALU_DEP_1)
	v_fmac_f32_e32 v36, v38, v35
	v_fma_f32 v26, -v26, v36, v37
	s_delay_alu instid0(VALU_DEP_1) | instskip(NEXT) | instid1(VALU_DEP_1)
	v_div_fmas_f32 v26, v26, v35, v36
	v_div_fixup_f32 v27, v26, v27, 1.0
	s_delay_alu instid0(VALU_DEP_1)
	v_mul_f32_e32 v26, v29, v27
	v_xor_b32_e32 v27, 0x80000000, v27
.LBB18_133:
	s_and_not1_saveexec_b32 s1, s1
	s_cbranch_execz .LBB18_135
; %bb.134:
	s_delay_alu instid0(VALU_DEP_1) | instskip(SKIP_1) | instid1(VALU_DEP_2)
	v_div_scale_f32 v29, null, v26, v26, v27
	v_div_scale_f32 v37, vcc_lo, v27, v26, v27
	v_rcp_f32_e32 v35, v29
	v_nop
	s_delay_alu instid0(TRANS32_DEP_1) | instskip(NEXT) | instid1(VALU_DEP_1)
	v_fma_f32 v36, -v29, v35, 1.0
	v_fmac_f32_e32 v35, v36, v35
	s_delay_alu instid0(VALU_DEP_1) | instskip(NEXT) | instid1(VALU_DEP_1)
	v_mul_f32_e32 v36, v37, v35
	v_fma_f32 v38, -v29, v36, v37
	s_delay_alu instid0(VALU_DEP_1) | instskip(NEXT) | instid1(VALU_DEP_1)
	v_fmac_f32_e32 v36, v38, v35
	v_fma_f32 v29, -v29, v36, v37
	s_delay_alu instid0(VALU_DEP_1) | instskip(NEXT) | instid1(VALU_DEP_1)
	v_div_fmas_f32 v29, v29, v35, v36
	v_div_fixup_f32 v29, v29, v26, v27
	s_delay_alu instid0(VALU_DEP_1) | instskip(NEXT) | instid1(VALU_DEP_1)
	v_fmac_f32_e32 v26, v27, v29
	v_div_scale_f32 v27, null, v26, v26, 1.0
	s_delay_alu instid0(VALU_DEP_1) | instskip(SKIP_1) | instid1(TRANS32_DEP_1)
	v_rcp_f32_e32 v35, v27
	v_nop
	v_fma_f32 v36, -v27, v35, 1.0
	s_delay_alu instid0(VALU_DEP_1) | instskip(SKIP_1) | instid1(VALU_DEP_1)
	v_fmac_f32_e32 v35, v36, v35
	v_div_scale_f32 v36, vcc_lo, 1.0, v26, 1.0
	v_mul_f32_e32 v37, v36, v35
	s_delay_alu instid0(VALU_DEP_1) | instskip(NEXT) | instid1(VALU_DEP_1)
	v_fma_f32 v38, -v27, v37, v36
	v_fmac_f32_e32 v37, v38, v35
	s_delay_alu instid0(VALU_DEP_1) | instskip(NEXT) | instid1(VALU_DEP_1)
	v_fma_f32 v27, -v27, v37, v36
	v_div_fmas_f32 v27, v27, v35, v37
	s_delay_alu instid0(VALU_DEP_1) | instskip(NEXT) | instid1(VALU_DEP_1)
	v_div_fixup_f32 v26, v27, v26, 1.0
	v_mul_f32_e64 v27, v29, -v26
.LBB18_135:
	s_or_b32 exec_lo, exec_lo, s1
.LBB18_136:
	s_delay_alu instid0(SALU_CYCLE_1) | instskip(NEXT) | instid1(SALU_CYCLE_1)
	s_or_b32 exec_lo, exec_lo, s0
	s_mov_b32 s0, exec_lo
	v_cmpx_ne_u32_e64 v34, v28
	s_xor_b32 s0, exec_lo, s0
	s_cbranch_execz .LBB18_142
; %bb.137:
	s_mov_b32 s1, exec_lo
	v_cmpx_eq_u32_e32 6, v34
	s_cbranch_execz .LBB18_141
; %bb.138:
	v_cmp_ne_u32_e32 vcc_lo, 6, v28
	s_xor_b32 s15, s12, -1
	s_delay_alu instid0(SALU_CYCLE_1) | instskip(NEXT) | instid1(SALU_CYCLE_1)
	s_and_b32 s16, s15, vcc_lo
	s_and_saveexec_b32 s15, s16
	s_cbranch_execz .LBB18_140
; %bb.139:
	v_ashrrev_i32_e32 v29, 31, v28
	s_delay_alu instid0(VALU_DEP_1)
	v_lshl_add_u64 v[34:35], v[28:29], 2, v[22:23]
	s_clause 0x1
	global_load_b32 v29, v[34:35], off
	global_load_b32 v32, v[22:23], off offset:24
	s_wait_loadcnt 0x1
	global_store_b32 v[22:23], v29, off offset:24
	s_wait_loadcnt 0x0
	global_store_b32 v[34:35], v32, off
.LBB18_140:
	s_wait_xcnt 0x0
	s_or_b32 exec_lo, exec_lo, s15
	v_dual_mov_b32 v34, v28 :: v_dual_mov_b32 v32, v28
.LBB18_141:
	s_or_b32 exec_lo, exec_lo, s1
.LBB18_142:
	s_and_not1_saveexec_b32 s0, s0
	s_cbranch_execz .LBB18_144
; %bb.143:
	v_mov_b32_e32 v34, 6
	ds_store_2addr_b64 v30, v[14:15], v[10:11] offset0:7 offset1:8
	ds_store_b64 v30, v[24:25] offset:72
.LBB18_144:
	s_or_b32 exec_lo, exec_lo, s0
	s_delay_alu instid0(SALU_CYCLE_1)
	s_mov_b32 s0, exec_lo
	s_wait_storecnt_dscnt 0x0
	s_barrier_signal -1
	s_barrier_wait -1
	v_cmpx_lt_i32_e32 6, v34
	s_cbranch_execz .LBB18_146
; %bb.145:
	ds_load_2addr_b64 v[36:39], v30 offset0:7 offset1:8
	ds_load_b64 v[28:29], v30 offset:72
	v_pk_mul_f32 v[40:41], v[26:27], v[16:17] op_sel:[1,1] op_sel_hi:[0,1]
	s_delay_alu instid0(VALU_DEP_1) | instskip(SKIP_2) | instid1(VALU_DEP_2)
	v_pk_fma_f32 v[42:43], v[26:27], v[16:17], v[40:41] op_sel_hi:[1,0,1]
	v_pk_fma_f32 v[16:17], v[26:27], v[16:17], v[40:41] op_sel_hi:[1,0,1] neg_lo:[0,0,1] neg_hi:[0,0,1]
	s_wait_dscnt 0x1
	v_pk_mul_f32 v[26:27], v[36:37], v[42:43] op_sel:[0,1]
	v_pk_mul_f32 v[40:41], v[38:39], v[42:43] op_sel:[0,1]
	s_wait_dscnt 0x0
	v_pk_mul_f32 v[44:45], v[28:29], v[42:43] op_sel:[1,1] op_sel_hi:[0,1]
	s_delay_alu instid0(VALU_DEP_3) | instskip(SKIP_2) | instid1(VALU_DEP_4)
	v_pk_fma_f32 v[46:47], v[36:37], v[16:17], v[26:27] op_sel:[0,0,1] op_sel_hi:[1,1,0] neg_lo:[0,0,1] neg_hi:[0,0,1]
	v_pk_fma_f32 v[26:27], v[36:37], v[16:17], v[26:27] op_sel:[0,0,1] op_sel_hi:[1,0,0]
	v_pk_fma_f32 v[36:37], v[38:39], v[16:17], v[40:41] op_sel:[0,0,1] op_sel_hi:[1,0,0]
	v_pk_fma_f32 v[48:49], v[28:29], v[16:17], v[44:45] op_sel_hi:[1,0,1]
	v_pk_fma_f32 v[38:39], v[38:39], v[16:17], v[40:41] op_sel:[0,0,1] op_sel_hi:[1,1,0] neg_lo:[0,0,1] neg_hi:[0,0,1]
	v_pk_fma_f32 v[28:29], v[28:29], v[16:17], v[44:45] neg_lo:[0,0,1] neg_hi:[0,0,1]
	s_delay_alu instid0(VALU_DEP_4) | instskip(NEXT) | instid1(VALU_DEP_4)
	v_dual_mov_b32 v47, v27 :: v_dual_mov_b32 v39, v37
	v_dual_mov_b32 v29, v49 :: v_dual_mov_b32 v17, v43
	s_delay_alu instid0(VALU_DEP_2) | instskip(NEXT) | instid1(VALU_DEP_3)
	v_pk_add_f32 v[14:15], v[14:15], v[46:47] neg_lo:[0,1] neg_hi:[0,1]
	v_pk_add_f32 v[10:11], v[10:11], v[38:39] neg_lo:[0,1] neg_hi:[0,1]
	s_delay_alu instid0(VALU_DEP_3)
	v_pk_add_f32 v[24:25], v[24:25], v[28:29] neg_lo:[0,1] neg_hi:[0,1]
.LBB18_146:
	s_or_b32 exec_lo, exec_lo, s0
	v_lshl_add_u32 v26, v34, 3, v30
	s_barrier_signal -1
	s_barrier_wait -1
	ds_store_b64 v26, v[14:15]
	s_wait_dscnt 0x0
	s_barrier_signal -1
	s_barrier_wait -1
	ds_load_b64 v[26:27], v30 offset:56
	v_mov_b32_e32 v28, 7
	s_cmp_lt_i32 s14, 9
	s_cbranch_scc1 .LBB18_149
; %bb.147:
	v_add3_u32 v29, v31, 0, 64
	v_mov_b32_e32 v28, 7
	s_mov_b32 s0, 8
.LBB18_148:                             ; =>This Inner Loop Header: Depth=1
	ds_load_b64 v[36:37], v29
	s_wait_dscnt 0x1
	v_cmp_gt_f32_e32 vcc_lo, 0, v26
	v_cndmask_b32_e64 v38, v26, -v26, vcc_lo
	v_cmp_gt_f32_e32 vcc_lo, 0, v27
	v_cndmask_b32_e64 v40, v27, -v27, vcc_lo
	s_wait_dscnt 0x0
	v_cmp_gt_f32_e32 vcc_lo, 0, v36
	v_cndmask_b32_e64 v39, v36, -v36, vcc_lo
	v_cmp_gt_f32_e32 vcc_lo, 0, v37
	v_cndmask_b32_e64 v41, v37, -v37, vcc_lo
	s_delay_alu instid0(VALU_DEP_1) | instskip(NEXT) | instid1(VALU_DEP_1)
	v_pk_add_f32 v[38:39], v[38:39], v[40:41]
	v_cmp_lt_f32_e32 vcc_lo, v38, v39
	v_dual_cndmask_b32 v26, v26, v36 :: v_dual_add_nc_u32 v29, 8, v29
	v_cndmask_b32_e32 v27, v27, v37, vcc_lo
	v_cndmask_b32_e64 v28, v28, s0, vcc_lo
	s_add_co_i32 s0, s0, 1
	s_delay_alu instid0(SALU_CYCLE_1)
	s_cmp_lg_u32 s14, s0
	s_cbranch_scc1 .LBB18_148
.LBB18_149:
	s_wait_dscnt 0x0
	v_cmp_eq_f32_e32 vcc_lo, 0, v26
	v_cmp_eq_f32_e64 s0, 0, v27
	s_and_b32 s0, vcc_lo, s0
	s_delay_alu instid0(SALU_CYCLE_1) | instskip(NEXT) | instid1(SALU_CYCLE_1)
	s_and_saveexec_b32 s1, s0
	s_xor_b32 s0, exec_lo, s1
; %bb.150:
	v_cmp_ne_u32_e32 vcc_lo, 0, v33
	v_cndmask_b32_e32 v33, 8, v33, vcc_lo
; %bb.151:
	s_and_not1_saveexec_b32 s0, s0
	s_cbranch_execz .LBB18_157
; %bb.152:
	v_cmp_ngt_f32_e64 s1, |v26|, |v27|
	s_and_saveexec_b32 s15, s1
	s_delay_alu instid0(SALU_CYCLE_1)
	s_xor_b32 s1, exec_lo, s15
	s_cbranch_execz .LBB18_154
; %bb.153:
	v_div_scale_f32 v29, null, v27, v27, v26
	v_div_scale_f32 v37, vcc_lo, v26, v27, v26
	s_delay_alu instid0(VALU_DEP_2) | instskip(SKIP_1) | instid1(TRANS32_DEP_1)
	v_rcp_f32_e32 v35, v29
	v_nop
	v_fma_f32 v36, -v29, v35, 1.0
	s_delay_alu instid0(VALU_DEP_1) | instskip(NEXT) | instid1(VALU_DEP_1)
	v_fmac_f32_e32 v35, v36, v35
	v_mul_f32_e32 v36, v37, v35
	s_delay_alu instid0(VALU_DEP_1) | instskip(NEXT) | instid1(VALU_DEP_1)
	v_fma_f32 v38, -v29, v36, v37
	v_fmac_f32_e32 v36, v38, v35
	s_delay_alu instid0(VALU_DEP_1) | instskip(NEXT) | instid1(VALU_DEP_1)
	v_fma_f32 v29, -v29, v36, v37
	v_div_fmas_f32 v29, v29, v35, v36
	s_delay_alu instid0(VALU_DEP_1) | instskip(NEXT) | instid1(VALU_DEP_1)
	v_div_fixup_f32 v29, v29, v27, v26
	v_fmac_f32_e32 v27, v26, v29
	s_delay_alu instid0(VALU_DEP_1) | instskip(SKIP_1) | instid1(VALU_DEP_2)
	v_div_scale_f32 v26, null, v27, v27, 1.0
	v_div_scale_f32 v37, vcc_lo, 1.0, v27, 1.0
	v_rcp_f32_e32 v35, v26
	v_nop
	s_delay_alu instid0(TRANS32_DEP_1) | instskip(NEXT) | instid1(VALU_DEP_1)
	v_fma_f32 v36, -v26, v35, 1.0
	v_fmac_f32_e32 v35, v36, v35
	s_delay_alu instid0(VALU_DEP_1) | instskip(NEXT) | instid1(VALU_DEP_1)
	v_mul_f32_e32 v36, v37, v35
	v_fma_f32 v38, -v26, v36, v37
	s_delay_alu instid0(VALU_DEP_1) | instskip(NEXT) | instid1(VALU_DEP_1)
	v_fmac_f32_e32 v36, v38, v35
	v_fma_f32 v26, -v26, v36, v37
	s_delay_alu instid0(VALU_DEP_1) | instskip(NEXT) | instid1(VALU_DEP_1)
	v_div_fmas_f32 v26, v26, v35, v36
	v_div_fixup_f32 v27, v26, v27, 1.0
	s_delay_alu instid0(VALU_DEP_1)
	v_mul_f32_e32 v26, v29, v27
	v_xor_b32_e32 v27, 0x80000000, v27
.LBB18_154:
	s_and_not1_saveexec_b32 s1, s1
	s_cbranch_execz .LBB18_156
; %bb.155:
	s_delay_alu instid0(VALU_DEP_1) | instskip(SKIP_1) | instid1(VALU_DEP_2)
	v_div_scale_f32 v29, null, v26, v26, v27
	v_div_scale_f32 v37, vcc_lo, v27, v26, v27
	v_rcp_f32_e32 v35, v29
	v_nop
	s_delay_alu instid0(TRANS32_DEP_1) | instskip(NEXT) | instid1(VALU_DEP_1)
	v_fma_f32 v36, -v29, v35, 1.0
	v_fmac_f32_e32 v35, v36, v35
	s_delay_alu instid0(VALU_DEP_1) | instskip(NEXT) | instid1(VALU_DEP_1)
	v_mul_f32_e32 v36, v37, v35
	v_fma_f32 v38, -v29, v36, v37
	s_delay_alu instid0(VALU_DEP_1) | instskip(NEXT) | instid1(VALU_DEP_1)
	v_fmac_f32_e32 v36, v38, v35
	v_fma_f32 v29, -v29, v36, v37
	s_delay_alu instid0(VALU_DEP_1) | instskip(NEXT) | instid1(VALU_DEP_1)
	v_div_fmas_f32 v29, v29, v35, v36
	v_div_fixup_f32 v29, v29, v26, v27
	s_delay_alu instid0(VALU_DEP_1) | instskip(NEXT) | instid1(VALU_DEP_1)
	v_fmac_f32_e32 v26, v27, v29
	v_div_scale_f32 v27, null, v26, v26, 1.0
	s_delay_alu instid0(VALU_DEP_1) | instskip(SKIP_1) | instid1(TRANS32_DEP_1)
	v_rcp_f32_e32 v35, v27
	v_nop
	v_fma_f32 v36, -v27, v35, 1.0
	s_delay_alu instid0(VALU_DEP_1) | instskip(SKIP_1) | instid1(VALU_DEP_1)
	v_fmac_f32_e32 v35, v36, v35
	v_div_scale_f32 v36, vcc_lo, 1.0, v26, 1.0
	v_mul_f32_e32 v37, v36, v35
	s_delay_alu instid0(VALU_DEP_1) | instskip(NEXT) | instid1(VALU_DEP_1)
	v_fma_f32 v38, -v27, v37, v36
	v_fmac_f32_e32 v37, v38, v35
	s_delay_alu instid0(VALU_DEP_1) | instskip(NEXT) | instid1(VALU_DEP_1)
	v_fma_f32 v27, -v27, v37, v36
	v_div_fmas_f32 v27, v27, v35, v37
	s_delay_alu instid0(VALU_DEP_1) | instskip(NEXT) | instid1(VALU_DEP_1)
	v_div_fixup_f32 v26, v27, v26, 1.0
	v_mul_f32_e64 v27, v29, -v26
.LBB18_156:
	s_or_b32 exec_lo, exec_lo, s1
.LBB18_157:
	s_delay_alu instid0(SALU_CYCLE_1) | instskip(NEXT) | instid1(SALU_CYCLE_1)
	s_or_b32 exec_lo, exec_lo, s0
	s_mov_b32 s0, exec_lo
	v_cmpx_ne_u32_e64 v34, v28
	s_xor_b32 s0, exec_lo, s0
	s_cbranch_execz .LBB18_163
; %bb.158:
	s_mov_b32 s1, exec_lo
	v_cmpx_eq_u32_e32 7, v34
	s_cbranch_execz .LBB18_162
; %bb.159:
	v_cmp_ne_u32_e32 vcc_lo, 7, v28
	s_xor_b32 s15, s12, -1
	s_delay_alu instid0(SALU_CYCLE_1) | instskip(NEXT) | instid1(SALU_CYCLE_1)
	s_and_b32 s16, s15, vcc_lo
	s_and_saveexec_b32 s15, s16
	s_cbranch_execz .LBB18_161
; %bb.160:
	v_ashrrev_i32_e32 v29, 31, v28
	s_delay_alu instid0(VALU_DEP_1)
	v_lshl_add_u64 v[34:35], v[28:29], 2, v[22:23]
	s_clause 0x1
	global_load_b32 v29, v[34:35], off
	global_load_b32 v32, v[22:23], off offset:28
	s_wait_loadcnt 0x1
	global_store_b32 v[22:23], v29, off offset:28
	s_wait_loadcnt 0x0
	global_store_b32 v[34:35], v32, off
.LBB18_161:
	s_wait_xcnt 0x0
	s_or_b32 exec_lo, exec_lo, s15
	v_dual_mov_b32 v34, v28 :: v_dual_mov_b32 v32, v28
.LBB18_162:
	s_or_b32 exec_lo, exec_lo, s1
.LBB18_163:
	s_and_not1_saveexec_b32 s0, s0
; %bb.164:
	v_dual_mov_b32 v28, v10 :: v_dual_mov_b32 v29, v11
	v_mov_b32_e32 v34, 7
	ds_store_2addr_b64 v30, v[28:29], v[24:25] offset0:8 offset1:9
; %bb.165:
	s_or_b32 exec_lo, exec_lo, s0
	s_delay_alu instid0(SALU_CYCLE_1)
	s_mov_b32 s0, exec_lo
	s_wait_storecnt_dscnt 0x0
	s_barrier_signal -1
	s_barrier_wait -1
	v_cmpx_lt_i32_e32 7, v34
	s_cbranch_execz .LBB18_167
; %bb.166:
	ds_load_2addr_b64 v[36:39], v30 offset0:8 offset1:9
	v_pk_mul_f32 v[28:29], v[26:27], v[14:15] op_sel:[1,1] op_sel_hi:[0,1]
	s_delay_alu instid0(VALU_DEP_1) | instskip(SKIP_3) | instid1(VALU_DEP_3)
	v_pk_fma_f32 v[40:41], v[26:27], v[14:15], v[28:29] op_sel_hi:[1,0,1]
	v_pk_fma_f32 v[14:15], v[26:27], v[14:15], v[28:29] op_sel_hi:[1,0,1] neg_lo:[0,0,1] neg_hi:[0,0,1]
	s_wait_dscnt 0x0
	v_dual_mov_b32 v42, v39 :: v_dual_mov_b32 v43, v38
	v_pk_mul_f32 v[26:27], v[36:37], v[40:41] op_sel:[0,1]
	s_delay_alu instid0(VALU_DEP_2) | instskip(NEXT) | instid1(VALU_DEP_2)
	v_pk_mul_f32 v[28:29], v[42:43], v[40:41] op_sel:[0,1]
	v_pk_fma_f32 v[42:43], v[36:37], v[14:15], v[26:27] op_sel:[0,0,1] op_sel_hi:[1,0,0]
	v_pk_fma_f32 v[26:27], v[36:37], v[14:15], v[26:27] op_sel:[0,0,1] op_sel_hi:[1,1,0] neg_lo:[0,0,1] neg_hi:[0,0,1]
	s_delay_alu instid0(VALU_DEP_3) | instskip(SKIP_1) | instid1(VALU_DEP_4)
	v_pk_fma_f32 v[44:45], v[38:39], v[14:15], v[28:29] op_sel_hi:[1,0,1]
	v_pk_fma_f32 v[28:29], v[38:39], v[14:15], v[28:29] neg_lo:[0,0,1] neg_hi:[0,0,1]
	v_dual_mov_b32 v27, v43 :: v_dual_mov_b32 v15, v41
	s_delay_alu instid0(VALU_DEP_3) | instskip(NEXT) | instid1(VALU_DEP_2)
	v_mov_b32_e32 v29, v45
	v_pk_add_f32 v[10:11], v[10:11], v[26:27] neg_lo:[0,1] neg_hi:[0,1]
	s_delay_alu instid0(VALU_DEP_2)
	v_pk_add_f32 v[24:25], v[24:25], v[28:29] neg_lo:[0,1] neg_hi:[0,1]
.LBB18_167:
	s_or_b32 exec_lo, exec_lo, s0
	v_lshl_add_u32 v26, v34, 3, v30
	s_barrier_signal -1
	s_barrier_wait -1
	ds_store_b64 v26, v[10:11]
	s_wait_dscnt 0x0
	s_barrier_signal -1
	s_barrier_wait -1
	ds_load_b64 v[26:27], v30 offset:64
	v_mov_b32_e32 v28, 8
	s_cmp_lt_i32 s14, 10
	s_cbranch_scc1 .LBB18_170
; %bb.168:
	v_add3_u32 v29, v31, 0, 0x48
	v_mov_b32_e32 v28, 8
	s_mov_b32 s0, 9
.LBB18_169:                             ; =>This Inner Loop Header: Depth=1
	ds_load_b64 v[36:37], v29
	s_wait_dscnt 0x1
	v_cmp_gt_f32_e32 vcc_lo, 0, v26
	v_cndmask_b32_e64 v38, v26, -v26, vcc_lo
	v_cmp_gt_f32_e32 vcc_lo, 0, v27
	v_cndmask_b32_e64 v40, v27, -v27, vcc_lo
	s_wait_dscnt 0x0
	v_cmp_gt_f32_e32 vcc_lo, 0, v36
	v_cndmask_b32_e64 v39, v36, -v36, vcc_lo
	v_cmp_gt_f32_e32 vcc_lo, 0, v37
	v_cndmask_b32_e64 v41, v37, -v37, vcc_lo
	s_delay_alu instid0(VALU_DEP_1) | instskip(NEXT) | instid1(VALU_DEP_1)
	v_pk_add_f32 v[38:39], v[38:39], v[40:41]
	v_cmp_lt_f32_e32 vcc_lo, v38, v39
	v_dual_cndmask_b32 v26, v26, v36 :: v_dual_add_nc_u32 v29, 8, v29
	v_cndmask_b32_e32 v27, v27, v37, vcc_lo
	v_cndmask_b32_e64 v28, v28, s0, vcc_lo
	s_add_co_i32 s0, s0, 1
	s_delay_alu instid0(SALU_CYCLE_1)
	s_cmp_lg_u32 s14, s0
	s_cbranch_scc1 .LBB18_169
.LBB18_170:
	s_wait_dscnt 0x0
	v_cmp_eq_f32_e32 vcc_lo, 0, v26
	v_cmp_eq_f32_e64 s0, 0, v27
	s_and_b32 s0, vcc_lo, s0
	s_delay_alu instid0(SALU_CYCLE_1) | instskip(NEXT) | instid1(SALU_CYCLE_1)
	s_and_saveexec_b32 s1, s0
	s_xor_b32 s0, exec_lo, s1
; %bb.171:
	v_cmp_ne_u32_e32 vcc_lo, 0, v33
	v_cndmask_b32_e32 v33, 9, v33, vcc_lo
; %bb.172:
	s_and_not1_saveexec_b32 s0, s0
	s_cbranch_execz .LBB18_178
; %bb.173:
	v_cmp_ngt_f32_e64 s1, |v26|, |v27|
	s_and_saveexec_b32 s15, s1
	s_delay_alu instid0(SALU_CYCLE_1)
	s_xor_b32 s1, exec_lo, s15
	s_cbranch_execz .LBB18_175
; %bb.174:
	v_div_scale_f32 v29, null, v27, v27, v26
	v_div_scale_f32 v37, vcc_lo, v26, v27, v26
	s_delay_alu instid0(VALU_DEP_2) | instskip(SKIP_1) | instid1(TRANS32_DEP_1)
	v_rcp_f32_e32 v35, v29
	v_nop
	v_fma_f32 v36, -v29, v35, 1.0
	s_delay_alu instid0(VALU_DEP_1) | instskip(NEXT) | instid1(VALU_DEP_1)
	v_fmac_f32_e32 v35, v36, v35
	v_mul_f32_e32 v36, v37, v35
	s_delay_alu instid0(VALU_DEP_1) | instskip(NEXT) | instid1(VALU_DEP_1)
	v_fma_f32 v38, -v29, v36, v37
	v_fmac_f32_e32 v36, v38, v35
	s_delay_alu instid0(VALU_DEP_1) | instskip(NEXT) | instid1(VALU_DEP_1)
	v_fma_f32 v29, -v29, v36, v37
	v_div_fmas_f32 v29, v29, v35, v36
	s_delay_alu instid0(VALU_DEP_1) | instskip(NEXT) | instid1(VALU_DEP_1)
	v_div_fixup_f32 v29, v29, v27, v26
	v_fmac_f32_e32 v27, v26, v29
	s_delay_alu instid0(VALU_DEP_1) | instskip(SKIP_1) | instid1(VALU_DEP_2)
	v_div_scale_f32 v26, null, v27, v27, 1.0
	v_div_scale_f32 v37, vcc_lo, 1.0, v27, 1.0
	v_rcp_f32_e32 v35, v26
	v_nop
	s_delay_alu instid0(TRANS32_DEP_1) | instskip(NEXT) | instid1(VALU_DEP_1)
	v_fma_f32 v36, -v26, v35, 1.0
	v_fmac_f32_e32 v35, v36, v35
	s_delay_alu instid0(VALU_DEP_1) | instskip(NEXT) | instid1(VALU_DEP_1)
	v_mul_f32_e32 v36, v37, v35
	v_fma_f32 v38, -v26, v36, v37
	s_delay_alu instid0(VALU_DEP_1) | instskip(NEXT) | instid1(VALU_DEP_1)
	v_fmac_f32_e32 v36, v38, v35
	v_fma_f32 v26, -v26, v36, v37
	s_delay_alu instid0(VALU_DEP_1) | instskip(NEXT) | instid1(VALU_DEP_1)
	v_div_fmas_f32 v26, v26, v35, v36
	v_div_fixup_f32 v27, v26, v27, 1.0
	s_delay_alu instid0(VALU_DEP_1)
	v_mul_f32_e32 v26, v29, v27
	v_xor_b32_e32 v27, 0x80000000, v27
.LBB18_175:
	s_and_not1_saveexec_b32 s1, s1
	s_cbranch_execz .LBB18_177
; %bb.176:
	s_delay_alu instid0(VALU_DEP_1) | instskip(SKIP_1) | instid1(VALU_DEP_2)
	v_div_scale_f32 v29, null, v26, v26, v27
	v_div_scale_f32 v37, vcc_lo, v27, v26, v27
	v_rcp_f32_e32 v35, v29
	v_nop
	s_delay_alu instid0(TRANS32_DEP_1) | instskip(NEXT) | instid1(VALU_DEP_1)
	v_fma_f32 v36, -v29, v35, 1.0
	v_fmac_f32_e32 v35, v36, v35
	s_delay_alu instid0(VALU_DEP_1) | instskip(NEXT) | instid1(VALU_DEP_1)
	v_mul_f32_e32 v36, v37, v35
	v_fma_f32 v38, -v29, v36, v37
	s_delay_alu instid0(VALU_DEP_1) | instskip(NEXT) | instid1(VALU_DEP_1)
	v_fmac_f32_e32 v36, v38, v35
	v_fma_f32 v29, -v29, v36, v37
	s_delay_alu instid0(VALU_DEP_1) | instskip(NEXT) | instid1(VALU_DEP_1)
	v_div_fmas_f32 v29, v29, v35, v36
	v_div_fixup_f32 v29, v29, v26, v27
	s_delay_alu instid0(VALU_DEP_1) | instskip(NEXT) | instid1(VALU_DEP_1)
	v_fmac_f32_e32 v26, v27, v29
	v_div_scale_f32 v27, null, v26, v26, 1.0
	s_delay_alu instid0(VALU_DEP_1) | instskip(SKIP_1) | instid1(TRANS32_DEP_1)
	v_rcp_f32_e32 v35, v27
	v_nop
	v_fma_f32 v36, -v27, v35, 1.0
	s_delay_alu instid0(VALU_DEP_1) | instskip(SKIP_1) | instid1(VALU_DEP_1)
	v_fmac_f32_e32 v35, v36, v35
	v_div_scale_f32 v36, vcc_lo, 1.0, v26, 1.0
	v_mul_f32_e32 v37, v36, v35
	s_delay_alu instid0(VALU_DEP_1) | instskip(NEXT) | instid1(VALU_DEP_1)
	v_fma_f32 v38, -v27, v37, v36
	v_fmac_f32_e32 v37, v38, v35
	s_delay_alu instid0(VALU_DEP_1) | instskip(NEXT) | instid1(VALU_DEP_1)
	v_fma_f32 v27, -v27, v37, v36
	v_div_fmas_f32 v27, v27, v35, v37
	s_delay_alu instid0(VALU_DEP_1) | instskip(NEXT) | instid1(VALU_DEP_1)
	v_div_fixup_f32 v26, v27, v26, 1.0
	v_mul_f32_e64 v27, v29, -v26
.LBB18_177:
	s_or_b32 exec_lo, exec_lo, s1
.LBB18_178:
	s_delay_alu instid0(SALU_CYCLE_1) | instskip(NEXT) | instid1(SALU_CYCLE_1)
	s_or_b32 exec_lo, exec_lo, s0
	s_mov_b32 s0, exec_lo
	v_cmpx_ne_u32_e64 v34, v28
	s_xor_b32 s0, exec_lo, s0
	s_cbranch_execz .LBB18_184
; %bb.179:
	s_mov_b32 s1, exec_lo
	v_cmpx_eq_u32_e32 8, v34
	s_cbranch_execz .LBB18_183
; %bb.180:
	v_cmp_ne_u32_e32 vcc_lo, 8, v28
	s_xor_b32 s15, s12, -1
	s_delay_alu instid0(SALU_CYCLE_1) | instskip(NEXT) | instid1(SALU_CYCLE_1)
	s_and_b32 s16, s15, vcc_lo
	s_and_saveexec_b32 s15, s16
	s_cbranch_execz .LBB18_182
; %bb.181:
	v_ashrrev_i32_e32 v29, 31, v28
	s_delay_alu instid0(VALU_DEP_1)
	v_lshl_add_u64 v[34:35], v[28:29], 2, v[22:23]
	s_clause 0x1
	global_load_b32 v29, v[34:35], off
	global_load_b32 v32, v[22:23], off offset:32
	s_wait_loadcnt 0x1
	global_store_b32 v[22:23], v29, off offset:32
	s_wait_loadcnt 0x0
	global_store_b32 v[34:35], v32, off
.LBB18_182:
	s_wait_xcnt 0x0
	s_or_b32 exec_lo, exec_lo, s15
	v_dual_mov_b32 v34, v28 :: v_dual_mov_b32 v32, v28
.LBB18_183:
	s_or_b32 exec_lo, exec_lo, s1
.LBB18_184:
	s_and_not1_saveexec_b32 s0, s0
; %bb.185:
	v_mov_b32_e32 v34, 8
	ds_store_b64 v30, v[24:25] offset:72
; %bb.186:
	s_or_b32 exec_lo, exec_lo, s0
	s_delay_alu instid0(SALU_CYCLE_1)
	s_mov_b32 s0, exec_lo
	s_wait_storecnt_dscnt 0x0
	s_barrier_signal -1
	s_barrier_wait -1
	v_cmpx_lt_i32_e32 8, v34
	s_cbranch_execz .LBB18_188
; %bb.187:
	ds_load_b64 v[28:29], v30 offset:72
	v_pk_mul_f32 v[36:37], v[26:27], v[10:11] op_sel:[1,1] op_sel_hi:[0,1]
	s_delay_alu instid0(VALU_DEP_1) | instskip(SKIP_2) | instid1(VALU_DEP_2)
	v_pk_fma_f32 v[38:39], v[26:27], v[10:11], v[36:37] op_sel_hi:[1,0,1]
	v_pk_fma_f32 v[10:11], v[26:27], v[10:11], v[36:37] op_sel_hi:[1,0,1] neg_lo:[0,0,1] neg_hi:[0,0,1]
	s_wait_dscnt 0x0
	v_pk_mul_f32 v[26:27], v[28:29], v[38:39] op_sel:[1,1] op_sel_hi:[0,1]
	s_delay_alu instid0(VALU_DEP_1) | instskip(SKIP_1) | instid1(VALU_DEP_2)
	v_pk_fma_f32 v[36:37], v[28:29], v[10:11], v[26:27] op_sel_hi:[1,0,1]
	v_pk_fma_f32 v[26:27], v[28:29], v[10:11], v[26:27] neg_lo:[0,0,1] neg_hi:[0,0,1]
	v_dual_mov_b32 v11, v39 :: v_dual_mov_b32 v27, v37
	s_delay_alu instid0(VALU_DEP_1)
	v_pk_add_f32 v[24:25], v[24:25], v[26:27] neg_lo:[0,1] neg_hi:[0,1]
.LBB18_188:
	s_or_b32 exec_lo, exec_lo, s0
	v_lshl_add_u32 v26, v34, 3, v30
	s_barrier_signal -1
	s_barrier_wait -1
	ds_store_b64 v26, v[24:25]
	s_wait_dscnt 0x0
	s_barrier_signal -1
	s_barrier_wait -1
	ds_load_b64 v[26:27], v30 offset:72
	v_mov_b32_e32 v28, 9
	s_cmp_lt_i32 s14, 11
	s_cbranch_scc1 .LBB18_191
; %bb.189:
	v_add3_u32 v29, v31, 0, 0x50
	v_mov_b32_e32 v28, 9
	s_mov_b32 s0, 10
.LBB18_190:                             ; =>This Inner Loop Header: Depth=1
	ds_load_b64 v[30:31], v29
	s_wait_dscnt 0x1
	v_cmp_gt_f32_e32 vcc_lo, 0, v26
	v_cndmask_b32_e64 v36, v26, -v26, vcc_lo
	v_cmp_gt_f32_e32 vcc_lo, 0, v27
	v_cndmask_b32_e64 v38, v27, -v27, vcc_lo
	s_wait_dscnt 0x0
	v_cmp_gt_f32_e32 vcc_lo, 0, v30
	v_cndmask_b32_e64 v37, v30, -v30, vcc_lo
	v_cmp_gt_f32_e32 vcc_lo, 0, v31
	v_cndmask_b32_e64 v39, v31, -v31, vcc_lo
	s_delay_alu instid0(VALU_DEP_1) | instskip(NEXT) | instid1(VALU_DEP_1)
	v_pk_add_f32 v[36:37], v[36:37], v[38:39]
	v_cmp_lt_f32_e32 vcc_lo, v36, v37
	v_dual_add_nc_u32 v29, 8, v29 :: v_dual_cndmask_b32 v27, v27, v31, vcc_lo
	v_cndmask_b32_e32 v26, v26, v30, vcc_lo
	v_cndmask_b32_e64 v28, v28, s0, vcc_lo
	s_add_co_i32 s0, s0, 1
	s_delay_alu instid0(SALU_CYCLE_1)
	s_cmp_lg_u32 s14, s0
	s_cbranch_scc1 .LBB18_190
.LBB18_191:
	s_wait_dscnt 0x0
	v_cmp_eq_f32_e32 vcc_lo, 0, v26
	v_cmp_eq_f32_e64 s0, 0, v27
	s_and_b32 s0, vcc_lo, s0
	s_delay_alu instid0(SALU_CYCLE_1) | instskip(NEXT) | instid1(SALU_CYCLE_1)
	s_and_saveexec_b32 s1, s0
	s_xor_b32 s0, exec_lo, s1
; %bb.192:
	v_cmp_ne_u32_e32 vcc_lo, 0, v33
	v_cndmask_b32_e32 v33, 10, v33, vcc_lo
; %bb.193:
	s_and_not1_saveexec_b32 s0, s0
	s_cbranch_execz .LBB18_199
; %bb.194:
	v_cmp_ngt_f32_e64 s1, |v26|, |v27|
	s_and_saveexec_b32 s14, s1
	s_delay_alu instid0(SALU_CYCLE_1)
	s_xor_b32 s1, exec_lo, s14
	s_cbranch_execz .LBB18_196
; %bb.195:
	v_div_scale_f32 v29, null, v27, v27, v26
	v_div_scale_f32 v35, vcc_lo, v26, v27, v26
	s_delay_alu instid0(VALU_DEP_2) | instskip(SKIP_1) | instid1(TRANS32_DEP_1)
	v_rcp_f32_e32 v30, v29
	v_nop
	v_fma_f32 v31, -v29, v30, 1.0
	s_delay_alu instid0(VALU_DEP_1) | instskip(NEXT) | instid1(VALU_DEP_1)
	v_fmac_f32_e32 v30, v31, v30
	v_mul_f32_e32 v31, v35, v30
	s_delay_alu instid0(VALU_DEP_1) | instskip(NEXT) | instid1(VALU_DEP_1)
	v_fma_f32 v36, -v29, v31, v35
	v_fmac_f32_e32 v31, v36, v30
	s_delay_alu instid0(VALU_DEP_1) | instskip(NEXT) | instid1(VALU_DEP_1)
	v_fma_f32 v29, -v29, v31, v35
	v_div_fmas_f32 v29, v29, v30, v31
	s_delay_alu instid0(VALU_DEP_1) | instskip(NEXT) | instid1(VALU_DEP_1)
	v_div_fixup_f32 v29, v29, v27, v26
	v_fmac_f32_e32 v27, v26, v29
	s_delay_alu instid0(VALU_DEP_1) | instskip(SKIP_1) | instid1(VALU_DEP_2)
	v_div_scale_f32 v26, null, v27, v27, 1.0
	v_div_scale_f32 v35, vcc_lo, 1.0, v27, 1.0
	v_rcp_f32_e32 v30, v26
	v_nop
	s_delay_alu instid0(TRANS32_DEP_1) | instskip(NEXT) | instid1(VALU_DEP_1)
	v_fma_f32 v31, -v26, v30, 1.0
	v_fmac_f32_e32 v30, v31, v30
	s_delay_alu instid0(VALU_DEP_1) | instskip(NEXT) | instid1(VALU_DEP_1)
	v_mul_f32_e32 v31, v35, v30
	v_fma_f32 v36, -v26, v31, v35
	s_delay_alu instid0(VALU_DEP_1) | instskip(NEXT) | instid1(VALU_DEP_1)
	v_fmac_f32_e32 v31, v36, v30
	v_fma_f32 v26, -v26, v31, v35
	s_delay_alu instid0(VALU_DEP_1) | instskip(NEXT) | instid1(VALU_DEP_1)
	v_div_fmas_f32 v26, v26, v30, v31
	v_div_fixup_f32 v27, v26, v27, 1.0
	s_delay_alu instid0(VALU_DEP_1)
	v_mul_f32_e32 v26, v29, v27
	v_xor_b32_e32 v27, 0x80000000, v27
.LBB18_196:
	s_and_not1_saveexec_b32 s1, s1
	s_cbranch_execz .LBB18_198
; %bb.197:
	s_delay_alu instid0(VALU_DEP_1) | instskip(SKIP_1) | instid1(VALU_DEP_2)
	v_div_scale_f32 v29, null, v26, v26, v27
	v_div_scale_f32 v35, vcc_lo, v27, v26, v27
	v_rcp_f32_e32 v30, v29
	v_nop
	s_delay_alu instid0(TRANS32_DEP_1) | instskip(NEXT) | instid1(VALU_DEP_1)
	v_fma_f32 v31, -v29, v30, 1.0
	v_fmac_f32_e32 v30, v31, v30
	s_delay_alu instid0(VALU_DEP_1) | instskip(NEXT) | instid1(VALU_DEP_1)
	v_mul_f32_e32 v31, v35, v30
	v_fma_f32 v36, -v29, v31, v35
	s_delay_alu instid0(VALU_DEP_1) | instskip(NEXT) | instid1(VALU_DEP_1)
	v_fmac_f32_e32 v31, v36, v30
	v_fma_f32 v29, -v29, v31, v35
	s_delay_alu instid0(VALU_DEP_1) | instskip(NEXT) | instid1(VALU_DEP_1)
	v_div_fmas_f32 v29, v29, v30, v31
	v_div_fixup_f32 v29, v29, v26, v27
	s_delay_alu instid0(VALU_DEP_1) | instskip(NEXT) | instid1(VALU_DEP_1)
	v_fmac_f32_e32 v26, v27, v29
	v_div_scale_f32 v27, null, v26, v26, 1.0
	s_delay_alu instid0(VALU_DEP_1) | instskip(SKIP_1) | instid1(TRANS32_DEP_1)
	v_rcp_f32_e32 v30, v27
	v_nop
	v_fma_f32 v31, -v27, v30, 1.0
	s_delay_alu instid0(VALU_DEP_1) | instskip(SKIP_1) | instid1(VALU_DEP_1)
	v_fmac_f32_e32 v30, v31, v30
	v_div_scale_f32 v31, vcc_lo, 1.0, v26, 1.0
	v_mul_f32_e32 v35, v31, v30
	s_delay_alu instid0(VALU_DEP_1) | instskip(NEXT) | instid1(VALU_DEP_1)
	v_fma_f32 v36, -v27, v35, v31
	v_fmac_f32_e32 v35, v36, v30
	s_delay_alu instid0(VALU_DEP_1) | instskip(NEXT) | instid1(VALU_DEP_1)
	v_fma_f32 v27, -v27, v35, v31
	v_div_fmas_f32 v27, v27, v30, v35
	s_delay_alu instid0(VALU_DEP_1) | instskip(NEXT) | instid1(VALU_DEP_1)
	v_div_fixup_f32 v26, v27, v26, 1.0
	v_mul_f32_e64 v27, v29, -v26
.LBB18_198:
	s_or_b32 exec_lo, exec_lo, s1
.LBB18_199:
	s_delay_alu instid0(SALU_CYCLE_1)
	s_or_b32 exec_lo, exec_lo, s0
	v_mov_b32_e32 v30, 9
	s_mov_b32 s0, exec_lo
	v_cmpx_ne_u32_e64 v34, v28
	s_cbranch_execz .LBB18_205
; %bb.200:
	s_mov_b32 s1, exec_lo
	v_cmpx_eq_u32_e32 9, v34
	s_cbranch_execz .LBB18_204
; %bb.201:
	v_cmp_ne_u32_e32 vcc_lo, 9, v28
	s_xor_b32 s12, s12, -1
	s_delay_alu instid0(SALU_CYCLE_1) | instskip(NEXT) | instid1(SALU_CYCLE_1)
	s_and_b32 s14, s12, vcc_lo
	s_and_saveexec_b32 s12, s14
	s_cbranch_execz .LBB18_203
; %bb.202:
	v_ashrrev_i32_e32 v29, 31, v28
	s_delay_alu instid0(VALU_DEP_1)
	v_lshl_add_u64 v[30:31], v[28:29], 2, v[22:23]
	s_clause 0x1
	global_load_b32 v29, v[30:31], off
	global_load_b32 v32, v[22:23], off offset:36
	s_wait_loadcnt 0x1
	global_store_b32 v[22:23], v29, off offset:36
	s_wait_loadcnt 0x0
	global_store_b32 v[30:31], v32, off
.LBB18_203:
	s_wait_xcnt 0x0
	s_or_b32 exec_lo, exec_lo, s12
	v_dual_mov_b32 v34, v28 :: v_dual_mov_b32 v32, v28
.LBB18_204:
	s_or_b32 exec_lo, exec_lo, s1
	s_delay_alu instid0(VALU_DEP_1)
	v_mov_b32_e32 v30, v34
.LBB18_205:
	s_or_b32 exec_lo, exec_lo, s0
	s_delay_alu instid0(VALU_DEP_1)
	v_ashrrev_i32_e32 v31, 31, v30
	s_mov_b32 s0, exec_lo
	s_wait_storecnt 0x0
	s_barrier_signal -1
	s_barrier_wait -1
	s_barrier_signal -1
	s_barrier_wait -1
	v_cmpx_gt_i32_e32 10, v30
	s_cbranch_execz .LBB18_207
; %bb.206:
	v_mul_u64_e32 v[22:23], s[10:11], v[2:3]
	v_add3_u32 v28, v32, s13, 1
	s_delay_alu instid0(VALU_DEP_2) | instskip(NEXT) | instid1(VALU_DEP_1)
	v_lshl_add_u64 v[22:23], v[22:23], 2, s[6:7]
	v_lshl_add_u64 v[22:23], s[8:9], 2, v[22:23]
	s_delay_alu instid0(VALU_DEP_1)
	v_lshl_add_u64 v[22:23], v[30:31], 2, v[22:23]
	global_store_b32 v[22:23], v28, off
.LBB18_207:
	s_wait_xcnt 0x0
	s_or_b32 exec_lo, exec_lo, s0
	s_delay_alu instid0(SALU_CYCLE_1)
	s_mov_b32 s1, exec_lo
	v_cmpx_eq_u32_e32 0, v30
	s_cbranch_execz .LBB18_210
; %bb.208:
	s_wait_kmcnt 0x0
	v_lshl_add_u64 v[2:3], v[2:3], 2, s[4:5]
	v_cmp_ne_u32_e64 s0, 0, v33
	global_load_b32 v22, v[2:3], off
	s_wait_loadcnt 0x0
	v_cmp_eq_u32_e32 vcc_lo, 0, v22
	s_and_b32 s0, vcc_lo, s0
	s_wait_xcnt 0x0
	s_and_b32 exec_lo, exec_lo, s0
	s_cbranch_execz .LBB18_210
; %bb.209:
	v_add_nc_u32_e32 v22, s13, v33
	global_store_b32 v[2:3], v22, off
.LBB18_210:
	s_wait_xcnt 0x0
	s_or_b32 exec_lo, exec_lo, s1
	v_add3_u32 v2, s2, s2, v30
	v_pk_mul_f32 v[28:29], v[26:27], v[24:25] op_sel:[1,1] op_sel_hi:[0,1]
	v_cmp_lt_i32_e32 vcc_lo, 9, v30
	v_lshl_add_u64 v[30:31], v[30:31], 3, v[0:1]
	s_delay_alu instid0(VALU_DEP_4) | instskip(NEXT) | instid1(VALU_DEP_4)
	v_add_nc_u32_e32 v22, s2, v2
	v_pk_fma_f32 v[34:35], v[26:27], v[24:25], v[28:29] op_sel_hi:[1,0,1]
	v_pk_fma_f32 v[26:27], v[26:27], v[24:25], v[28:29] neg_lo:[0,0,1] neg_hi:[0,0,1]
	global_store_b64 v[30:31], v[20:21], off
	s_wait_xcnt 0x0
	v_lshl_add_u64 v[30:31], s[2:3], 3, v[30:31]
	v_dual_cndmask_b32 v25, v25, v35 :: v_dual_add_nc_u32 v32, s2, v22
	s_delay_alu instid0(VALU_DEP_1) | instskip(SKIP_1) | instid1(VALU_DEP_2)
	v_dual_ashrrev_i32 v3, 31, v2 :: v_dual_ashrrev_i32 v33, 31, v32
	v_dual_add_nc_u32 v28, s2, v32 :: v_dual_cndmask_b32 v24, v24, v26, vcc_lo
	v_lshl_add_u64 v[2:3], v[2:3], 3, v[0:1]
	s_delay_alu instid0(VALU_DEP_3) | instskip(NEXT) | instid1(VALU_DEP_3)
	v_lshl_add_u64 v[32:33], v[32:33], 3, v[0:1]
	v_dual_add_nc_u32 v26, s2, v28 :: v_dual_ashrrev_i32 v29, 31, v28
	s_delay_alu instid0(VALU_DEP_1) | instskip(SKIP_1) | instid1(VALU_DEP_2)
	v_add_nc_u32_e32 v20, s2, v26
	v_ashrrev_i32_e32 v23, 31, v22
	v_dual_ashrrev_i32 v27, 31, v26 :: v_dual_add_nc_u32 v34, s2, v20
	s_delay_alu instid0(VALU_DEP_2)
	v_lshl_add_u64 v[22:23], v[22:23], 3, v[0:1]
	s_clause 0x3
	global_store_b64 v[30:31], v[12:13], off
	global_store_b64 v[2:3], v[6:7], off
	global_store_b64 v[22:23], v[4:5], off
	global_store_b64 v[32:33], v[18:19], off
	s_wait_xcnt 0x2
	v_dual_add_nc_u32 v2, s2, v34 :: v_dual_ashrrev_i32 v21, 31, v20
	v_ashrrev_i32_e32 v35, 31, v34
	s_wait_xcnt 0x1
	v_lshl_add_u64 v[4:5], v[28:29], 3, v[0:1]
	v_lshl_add_u64 v[6:7], v[26:27], 3, v[0:1]
	v_ashrrev_i32_e32 v3, 31, v2
	v_lshl_add_u64 v[12:13], v[20:21], 3, v[0:1]
	s_wait_xcnt 0x0
	v_lshl_add_u64 v[18:19], v[34:35], 3, v[0:1]
	s_delay_alu instid0(VALU_DEP_3)
	v_lshl_add_u64 v[0:1], v[2:3], 3, v[0:1]
	s_clause 0x4
	global_store_b64 v[4:5], v[8:9], off
	global_store_b64 v[6:7], v[16:17], off
	;; [unrolled: 1-line block ×5, first 2 shown]
.LBB18_211:
	s_sendmsg sendmsg(MSG_DEALLOC_VGPRS)
	s_endpgm
	.section	.rodata,"a",@progbits
	.p2align	6, 0x0
	.amdhsa_kernel _ZN9rocsolver6v33100L18getf2_small_kernelILi10E19rocblas_complex_numIfEiiPS3_EEvT1_T3_lS5_lPS5_llPT2_S5_S5_S7_l
		.amdhsa_group_segment_fixed_size 0
		.amdhsa_private_segment_fixed_size 0
		.amdhsa_kernarg_size 352
		.amdhsa_user_sgpr_count 2
		.amdhsa_user_sgpr_dispatch_ptr 0
		.amdhsa_user_sgpr_queue_ptr 0
		.amdhsa_user_sgpr_kernarg_segment_ptr 1
		.amdhsa_user_sgpr_dispatch_id 0
		.amdhsa_user_sgpr_kernarg_preload_length 0
		.amdhsa_user_sgpr_kernarg_preload_offset 0
		.amdhsa_user_sgpr_private_segment_size 0
		.amdhsa_wavefront_size32 1
		.amdhsa_uses_dynamic_stack 0
		.amdhsa_enable_private_segment 0
		.amdhsa_system_sgpr_workgroup_id_x 1
		.amdhsa_system_sgpr_workgroup_id_y 1
		.amdhsa_system_sgpr_workgroup_id_z 0
		.amdhsa_system_sgpr_workgroup_info 0
		.amdhsa_system_vgpr_workitem_id 1
		.amdhsa_next_free_vgpr 68
		.amdhsa_next_free_sgpr 20
		.amdhsa_named_barrier_count 0
		.amdhsa_reserve_vcc 1
		.amdhsa_float_round_mode_32 0
		.amdhsa_float_round_mode_16_64 0
		.amdhsa_float_denorm_mode_32 3
		.amdhsa_float_denorm_mode_16_64 3
		.amdhsa_fp16_overflow 0
		.amdhsa_memory_ordered 1
		.amdhsa_forward_progress 1
		.amdhsa_inst_pref_size 103
		.amdhsa_round_robin_scheduling 0
		.amdhsa_exception_fp_ieee_invalid_op 0
		.amdhsa_exception_fp_denorm_src 0
		.amdhsa_exception_fp_ieee_div_zero 0
		.amdhsa_exception_fp_ieee_overflow 0
		.amdhsa_exception_fp_ieee_underflow 0
		.amdhsa_exception_fp_ieee_inexact 0
		.amdhsa_exception_int_div_zero 0
	.end_amdhsa_kernel
	.section	.text._ZN9rocsolver6v33100L18getf2_small_kernelILi10E19rocblas_complex_numIfEiiPS3_EEvT1_T3_lS5_lPS5_llPT2_S5_S5_S7_l,"axG",@progbits,_ZN9rocsolver6v33100L18getf2_small_kernelILi10E19rocblas_complex_numIfEiiPS3_EEvT1_T3_lS5_lPS5_llPT2_S5_S5_S7_l,comdat
.Lfunc_end18:
	.size	_ZN9rocsolver6v33100L18getf2_small_kernelILi10E19rocblas_complex_numIfEiiPS3_EEvT1_T3_lS5_lPS5_llPT2_S5_S5_S7_l, .Lfunc_end18-_ZN9rocsolver6v33100L18getf2_small_kernelILi10E19rocblas_complex_numIfEiiPS3_EEvT1_T3_lS5_lPS5_llPT2_S5_S5_S7_l
                                        ; -- End function
	.set _ZN9rocsolver6v33100L18getf2_small_kernelILi10E19rocblas_complex_numIfEiiPS3_EEvT1_T3_lS5_lPS5_llPT2_S5_S5_S7_l.num_vgpr, 68
	.set _ZN9rocsolver6v33100L18getf2_small_kernelILi10E19rocblas_complex_numIfEiiPS3_EEvT1_T3_lS5_lPS5_llPT2_S5_S5_S7_l.num_agpr, 0
	.set _ZN9rocsolver6v33100L18getf2_small_kernelILi10E19rocblas_complex_numIfEiiPS3_EEvT1_T3_lS5_lPS5_llPT2_S5_S5_S7_l.numbered_sgpr, 20
	.set _ZN9rocsolver6v33100L18getf2_small_kernelILi10E19rocblas_complex_numIfEiiPS3_EEvT1_T3_lS5_lPS5_llPT2_S5_S5_S7_l.num_named_barrier, 0
	.set _ZN9rocsolver6v33100L18getf2_small_kernelILi10E19rocblas_complex_numIfEiiPS3_EEvT1_T3_lS5_lPS5_llPT2_S5_S5_S7_l.private_seg_size, 0
	.set _ZN9rocsolver6v33100L18getf2_small_kernelILi10E19rocblas_complex_numIfEiiPS3_EEvT1_T3_lS5_lPS5_llPT2_S5_S5_S7_l.uses_vcc, 1
	.set _ZN9rocsolver6v33100L18getf2_small_kernelILi10E19rocblas_complex_numIfEiiPS3_EEvT1_T3_lS5_lPS5_llPT2_S5_S5_S7_l.uses_flat_scratch, 0
	.set _ZN9rocsolver6v33100L18getf2_small_kernelILi10E19rocblas_complex_numIfEiiPS3_EEvT1_T3_lS5_lPS5_llPT2_S5_S5_S7_l.has_dyn_sized_stack, 0
	.set _ZN9rocsolver6v33100L18getf2_small_kernelILi10E19rocblas_complex_numIfEiiPS3_EEvT1_T3_lS5_lPS5_llPT2_S5_S5_S7_l.has_recursion, 0
	.set _ZN9rocsolver6v33100L18getf2_small_kernelILi10E19rocblas_complex_numIfEiiPS3_EEvT1_T3_lS5_lPS5_llPT2_S5_S5_S7_l.has_indirect_call, 0
	.section	.AMDGPU.csdata,"",@progbits
; Kernel info:
; codeLenInByte = 13116
; TotalNumSgprs: 22
; NumVgprs: 68
; ScratchSize: 0
; MemoryBound: 0
; FloatMode: 240
; IeeeMode: 1
; LDSByteSize: 0 bytes/workgroup (compile time only)
; SGPRBlocks: 0
; VGPRBlocks: 4
; NumSGPRsForWavesPerEU: 22
; NumVGPRsForWavesPerEU: 68
; NamedBarCnt: 0
; Occupancy: 12
; WaveLimiterHint : 0
; COMPUTE_PGM_RSRC2:SCRATCH_EN: 0
; COMPUTE_PGM_RSRC2:USER_SGPR: 2
; COMPUTE_PGM_RSRC2:TRAP_HANDLER: 0
; COMPUTE_PGM_RSRC2:TGID_X_EN: 1
; COMPUTE_PGM_RSRC2:TGID_Y_EN: 1
; COMPUTE_PGM_RSRC2:TGID_Z_EN: 0
; COMPUTE_PGM_RSRC2:TIDIG_COMP_CNT: 1
	.section	.text._ZN9rocsolver6v33100L23getf2_npvt_small_kernelILi10E19rocblas_complex_numIfEiiPS3_EEvT1_T3_lS5_lPT2_S5_S5_,"axG",@progbits,_ZN9rocsolver6v33100L23getf2_npvt_small_kernelILi10E19rocblas_complex_numIfEiiPS3_EEvT1_T3_lS5_lPT2_S5_S5_,comdat
	.globl	_ZN9rocsolver6v33100L23getf2_npvt_small_kernelILi10E19rocblas_complex_numIfEiiPS3_EEvT1_T3_lS5_lPT2_S5_S5_ ; -- Begin function _ZN9rocsolver6v33100L23getf2_npvt_small_kernelILi10E19rocblas_complex_numIfEiiPS3_EEvT1_T3_lS5_lPT2_S5_S5_
	.p2align	8
	.type	_ZN9rocsolver6v33100L23getf2_npvt_small_kernelILi10E19rocblas_complex_numIfEiiPS3_EEvT1_T3_lS5_lPT2_S5_S5_,@function
_ZN9rocsolver6v33100L23getf2_npvt_small_kernelILi10E19rocblas_complex_numIfEiiPS3_EEvT1_T3_lS5_lPT2_S5_S5_: ; @_ZN9rocsolver6v33100L23getf2_npvt_small_kernelILi10E19rocblas_complex_numIfEiiPS3_EEvT1_T3_lS5_lPT2_S5_S5_
; %bb.0:
	s_clause 0x1
	s_load_u16 s8, s[0:1], 0x46
	s_load_b64 s[2:3], s[0:1], 0x30
	s_bfe_u32 s4, ttmp6, 0x40010
	s_bfe_u32 s5, ttmp6, 0x40004
	s_add_co_i32 s4, s4, 1
	s_getreg_b32 s6, hwreg(HW_REG_IB_STS2, 6, 4)
	s_mul_i32 s4, ttmp7, s4
	v_bfe_u32 v42, v0, 10, 10
	s_add_co_i32 s5, s5, s4
	s_cmp_eq_u32 s6, 0
	s_cselect_b32 s4, ttmp7, s5
	s_wait_kmcnt 0x0
	v_mad_u32 v2, s4, s8, v42
	s_delay_alu instid0(VALU_DEP_1)
	v_cmp_gt_i32_e32 vcc_lo, s2, v2
	s_and_saveexec_b32 s2, vcc_lo
	s_cbranch_execz .LBB19_93
; %bb.1:
	s_clause 0x1
	s_load_b128 s[4:7], s[0:1], 0x20
	s_load_b32 s10, s[0:1], 0x18
	v_and_b32_e32 v62, 0x3ff, v0
	s_load_b128 s[12:15], s[0:1], 0x8
	v_lshlrev_b32_e32 v43, 3, v42
	s_mulk_i32 s8, 0x50
	v_mad_u32_u24 v64, 0x50, v42, 0
	s_wait_xcnt 0x0
	v_cmp_ne_u32_e64 s1, 0, v62
	v_cmp_eq_u32_e64 s0, 0, v62
	v_add3_u32 v63, 0, s8, v43
	v_mov_b32_e32 v15, 0
	s_wait_kmcnt 0x0
	v_add3_u32 v4, s10, s10, v62
	v_ashrrev_i32_e32 v3, 31, v2
	s_ashr_i32 s11, s10, 31
	s_delay_alu instid0(VALU_DEP_2) | instskip(NEXT) | instid1(VALU_DEP_2)
	v_add_nc_u32_e32 v6, s10, v4
	v_mul_u64_e32 v[0:1], s[4:5], v[2:3]
	s_delay_alu instid0(VALU_DEP_2) | instskip(NEXT) | instid1(VALU_DEP_1)
	v_dual_ashrrev_i32 v5, 31, v4 :: v_dual_add_nc_u32 v8, s10, v6
	v_add_nc_u32_e32 v10, s10, v8
	s_delay_alu instid0(VALU_DEP_1) | instskip(NEXT) | instid1(VALU_DEP_1)
	v_dual_add_nc_u32 v12, s10, v10 :: v_dual_ashrrev_i32 v11, 31, v10
	v_dual_ashrrev_i32 v13, 31, v12 :: v_dual_add_nc_u32 v20, s10, v12
	v_lshlrev_b32_e32 v14, 3, v62
	v_dual_ashrrev_i32 v7, 31, v6 :: v_dual_ashrrev_i32 v9, 31, v8
	s_delay_alu instid0(VALU_DEP_3) | instskip(NEXT) | instid1(VALU_DEP_1)
	v_dual_add_nc_u32 v22, s10, v20 :: v_dual_ashrrev_i32 v21, 31, v20
	v_dual_add_nc_u32 v24, s10, v22 :: v_dual_ashrrev_i32 v23, 31, v22
	v_lshl_add_u64 v[0:1], v[0:1], 3, s[12:13]
	s_delay_alu instid0(VALU_DEP_2) | instskip(NEXT) | instid1(VALU_DEP_2)
	v_ashrrev_i32_e32 v25, 31, v24
	v_lshl_add_u64 v[26:27], s[14:15], 3, v[0:1]
	s_delay_alu instid0(VALU_DEP_1)
	v_add_nc_u64_e32 v[18:19], v[26:27], v[14:15]
	v_lshl_add_u64 v[0:1], v[8:9], 3, v[26:27]
	v_lshl_add_u64 v[14:15], v[4:5], 3, v[26:27]
	;; [unrolled: 1-line block ×9, first 2 shown]
	s_clause 0x9
	global_load_b64 v[22:23], v[0:1], off
	global_load_b64 v[20:21], v[4:5], off
	;; [unrolled: 1-line block ×10, first 2 shown]
	s_wait_xcnt 0x0
	s_and_saveexec_b32 s4, s0
	s_cbranch_execz .LBB19_8
; %bb.2:
	s_wait_loadcnt 0x5
	ds_store_b64 v63, v[38:39]
	s_wait_loadcnt 0x3
	ds_store_2addr_b64 v64, v[32:33], v[36:37] offset0:1 offset1:2
	s_wait_loadcnt 0x2
	ds_store_2addr_b64 v64, v[30:31], v[22:23] offset0:3 offset1:4
	ds_store_2addr_b64 v64, v[20:21], v[40:41] offset0:5 offset1:6
	s_wait_loadcnt 0x1
	ds_store_2addr_b64 v64, v[28:29], v[34:35] offset0:7 offset1:8
	s_wait_loadcnt 0x0
	ds_store_b64 v64, v[26:27] offset:72
	ds_load_b64 v[42:43], v63
	s_wait_dscnt 0x0
	v_cmp_neq_f32_e32 vcc_lo, 0, v42
	v_cmp_neq_f32_e64 s2, 0, v43
	s_or_b32 s2, vcc_lo, s2
	s_delay_alu instid0(SALU_CYCLE_1)
	s_and_b32 exec_lo, exec_lo, s2
	s_cbranch_execz .LBB19_8
; %bb.3:
	v_cmp_ngt_f32_e64 s2, |v42|, |v43|
                                        ; implicit-def: $vgpr44_vgpr45
	s_and_saveexec_b32 s5, s2
	s_delay_alu instid0(SALU_CYCLE_1)
	s_xor_b32 s2, exec_lo, s5
	s_cbranch_execz .LBB19_5
; %bb.4:
	v_div_scale_f32 v44, null, v43, v43, v42
	v_div_scale_f32 v47, vcc_lo, v42, v43, v42
	s_delay_alu instid0(VALU_DEP_2) | instskip(SKIP_1) | instid1(TRANS32_DEP_1)
	v_rcp_f32_e32 v45, v44
	v_nop
	v_fma_f32 v46, -v44, v45, 1.0
	s_delay_alu instid0(VALU_DEP_1) | instskip(NEXT) | instid1(VALU_DEP_1)
	v_fmac_f32_e32 v45, v46, v45
	v_mul_f32_e32 v46, v47, v45
	s_delay_alu instid0(VALU_DEP_1) | instskip(NEXT) | instid1(VALU_DEP_1)
	v_fma_f32 v48, -v44, v46, v47
	v_fmac_f32_e32 v46, v48, v45
	s_delay_alu instid0(VALU_DEP_1) | instskip(NEXT) | instid1(VALU_DEP_1)
	v_fma_f32 v44, -v44, v46, v47
	v_div_fmas_f32 v44, v44, v45, v46
	s_delay_alu instid0(VALU_DEP_1) | instskip(NEXT) | instid1(VALU_DEP_1)
	v_div_fixup_f32 v44, v44, v43, v42
	v_fmac_f32_e32 v43, v42, v44
	s_delay_alu instid0(VALU_DEP_1) | instskip(SKIP_1) | instid1(VALU_DEP_2)
	v_div_scale_f32 v42, null, v43, v43, 1.0
	v_div_scale_f32 v47, vcc_lo, 1.0, v43, 1.0
	v_rcp_f32_e32 v45, v42
	v_nop
	s_delay_alu instid0(TRANS32_DEP_1) | instskip(NEXT) | instid1(VALU_DEP_1)
	v_fma_f32 v46, -v42, v45, 1.0
	v_fmac_f32_e32 v45, v46, v45
	s_delay_alu instid0(VALU_DEP_1) | instskip(NEXT) | instid1(VALU_DEP_1)
	v_mul_f32_e32 v46, v47, v45
	v_fma_f32 v48, -v42, v46, v47
	s_delay_alu instid0(VALU_DEP_1) | instskip(NEXT) | instid1(VALU_DEP_1)
	v_fmac_f32_e32 v46, v48, v45
	v_fma_f32 v42, -v42, v46, v47
	s_delay_alu instid0(VALU_DEP_1) | instskip(NEXT) | instid1(VALU_DEP_1)
	v_div_fmas_f32 v42, v42, v45, v46
	v_div_fixup_f32 v42, v42, v43, 1.0
	s_delay_alu instid0(VALU_DEP_1)
	v_mul_f32_e32 v44, v44, v42
	v_xor_b32_e32 v45, 0x80000000, v42
                                        ; implicit-def: $vgpr42_vgpr43
.LBB19_5:
	s_and_not1_saveexec_b32 s2, s2
	s_cbranch_execz .LBB19_7
; %bb.6:
	v_div_scale_f32 v44, null, v42, v42, v43
	v_div_scale_f32 v47, vcc_lo, v43, v42, v43
	s_delay_alu instid0(VALU_DEP_2) | instskip(SKIP_1) | instid1(TRANS32_DEP_1)
	v_rcp_f32_e32 v45, v44
	v_nop
	v_fma_f32 v46, -v44, v45, 1.0
	s_delay_alu instid0(VALU_DEP_1) | instskip(NEXT) | instid1(VALU_DEP_1)
	v_fmac_f32_e32 v45, v46, v45
	v_mul_f32_e32 v46, v47, v45
	s_delay_alu instid0(VALU_DEP_1) | instskip(NEXT) | instid1(VALU_DEP_1)
	v_fma_f32 v48, -v44, v46, v47
	v_fmac_f32_e32 v46, v48, v45
	s_delay_alu instid0(VALU_DEP_1) | instskip(NEXT) | instid1(VALU_DEP_1)
	v_fma_f32 v44, -v44, v46, v47
	v_div_fmas_f32 v44, v44, v45, v46
	s_delay_alu instid0(VALU_DEP_1) | instskip(NEXT) | instid1(VALU_DEP_1)
	v_div_fixup_f32 v45, v44, v42, v43
	v_fmac_f32_e32 v42, v43, v45
	s_delay_alu instid0(VALU_DEP_1) | instskip(NEXT) | instid1(VALU_DEP_1)
	v_div_scale_f32 v43, null, v42, v42, 1.0
	v_rcp_f32_e32 v44, v43
	v_nop
	s_delay_alu instid0(TRANS32_DEP_1) | instskip(NEXT) | instid1(VALU_DEP_1)
	v_fma_f32 v46, -v43, v44, 1.0
	v_fmac_f32_e32 v44, v46, v44
	v_div_scale_f32 v46, vcc_lo, 1.0, v42, 1.0
	s_delay_alu instid0(VALU_DEP_1) | instskip(NEXT) | instid1(VALU_DEP_1)
	v_mul_f32_e32 v47, v46, v44
	v_fma_f32 v48, -v43, v47, v46
	s_delay_alu instid0(VALU_DEP_1) | instskip(NEXT) | instid1(VALU_DEP_1)
	v_fmac_f32_e32 v47, v48, v44
	v_fma_f32 v43, -v43, v47, v46
	s_delay_alu instid0(VALU_DEP_1) | instskip(NEXT) | instid1(VALU_DEP_1)
	v_div_fmas_f32 v43, v43, v44, v47
	v_div_fixup_f32 v44, v43, v42, 1.0
	s_delay_alu instid0(VALU_DEP_1)
	v_mul_f32_e64 v45, v45, -v44
.LBB19_7:
	s_or_b32 exec_lo, exec_lo, s2
	ds_store_b64 v63, v[44:45]
.LBB19_8:
	s_or_b32 exec_lo, exec_lo, s4
	s_wait_loadcnt_dscnt 0x0
	s_barrier_signal -1
	s_barrier_wait -1
	ds_load_b64 v[42:43], v63
	s_and_saveexec_b32 s2, s1
	s_cbranch_execz .LBB19_10
; %bb.9:
	s_wait_dscnt 0x0
	v_pk_mul_f32 v[44:45], v[42:43], v[38:39] op_sel:[1,1] op_sel_hi:[0,1]
	s_delay_alu instid0(VALU_DEP_1)
	v_pk_fma_f32 v[48:49], v[42:43], v[38:39], v[44:45] op_sel_hi:[1,0,1] neg_lo:[0,0,1] neg_hi:[0,0,1]
	v_pk_fma_f32 v[50:51], v[42:43], v[38:39], v[44:45] op_sel_hi:[1,0,1]
	ds_load_2addr_b64 v[44:47], v64 offset0:1 offset1:2
	v_dual_mov_b32 v38, v48 :: v_dual_mov_b32 v39, v51
	s_wait_dscnt 0x0
	v_pk_mul_f32 v[52:53], v[44:45], v[50:51] op_sel:[0,1]
	s_delay_alu instid0(VALU_DEP_1) | instskip(SKIP_1) | instid1(VALU_DEP_1)
	v_pk_fma_f32 v[54:55], v[44:45], v[48:49], v[52:53] op_sel:[0,0,1] op_sel_hi:[1,1,0] neg_lo:[0,0,1] neg_hi:[0,0,1]
	v_pk_fma_f32 v[44:45], v[44:45], v[48:49], v[52:53] op_sel:[0,0,1] op_sel_hi:[1,0,0]
	v_mov_b32_e32 v55, v45
	v_pk_mul_f32 v[44:45], v[46:47], v[50:51] op_sel:[0,1]
	s_delay_alu instid0(VALU_DEP_1) | instskip(SKIP_1) | instid1(VALU_DEP_1)
	v_pk_fma_f32 v[52:53], v[46:47], v[48:49], v[44:45] op_sel:[0,0,1] op_sel_hi:[1,1,0] neg_lo:[0,0,1] neg_hi:[0,0,1]
	v_pk_fma_f32 v[44:45], v[46:47], v[48:49], v[44:45] op_sel:[0,0,1] op_sel_hi:[1,0,0]
	v_mov_b32_e32 v53, v45
	ds_load_2addr_b64 v[44:47], v64 offset0:3 offset1:4
	v_pk_add_f32 v[32:33], v[32:33], v[54:55] neg_lo:[0,1] neg_hi:[0,1]
	v_pk_add_f32 v[36:37], v[36:37], v[52:53] neg_lo:[0,1] neg_hi:[0,1]
	s_wait_dscnt 0x0
	v_pk_mul_f32 v[52:53], v[44:45], v[50:51] op_sel:[0,1]
	s_delay_alu instid0(VALU_DEP_1) | instskip(SKIP_2) | instid1(VALU_DEP_2)
	v_pk_fma_f32 v[54:55], v[44:45], v[48:49], v[52:53] op_sel:[0,0,1] op_sel_hi:[1,1,0] neg_lo:[0,0,1] neg_hi:[0,0,1]
	v_pk_fma_f32 v[44:45], v[44:45], v[48:49], v[52:53] op_sel:[0,0,1] op_sel_hi:[1,0,0]
	v_dual_mul_f32 v52, v47, v51 :: v_dual_mov_b32 v44, v47
	v_dual_mov_b32 v55, v45 :: v_dual_mov_b32 v45, v46
	s_delay_alu instid0(VALU_DEP_2) | instskip(SKIP_1) | instid1(VALU_DEP_3)
	v_pk_fma_f32 v[52:53], v[46:47], v[38:39], v[52:53] op_sel_hi:[1,1,0] neg_lo:[0,0,1] neg_hi:[0,0,1]
	v_mul_f32_e32 v46, v47, v48
	v_pk_add_f32 v[30:31], v[30:31], v[54:55] neg_lo:[0,1] neg_hi:[0,1]
	s_delay_alu instid0(VALU_DEP_2) | instskip(NEXT) | instid1(VALU_DEP_1)
	v_pk_fma_f32 v[44:45], v[44:45], v[38:39], v[46:47] op_sel_hi:[1,1,0]
	v_mov_b32_e32 v53, v45
	ds_load_2addr_b64 v[44:47], v64 offset0:5 offset1:6
	v_pk_add_f32 v[22:23], v[22:23], v[52:53] neg_lo:[0,1] neg_hi:[0,1]
	s_wait_dscnt 0x0
	v_pk_mul_f32 v[52:53], v[44:45], v[50:51] op_sel:[0,1]
	s_delay_alu instid0(VALU_DEP_1) | instskip(SKIP_1) | instid1(VALU_DEP_1)
	v_pk_fma_f32 v[54:55], v[44:45], v[48:49], v[52:53] op_sel:[0,0,1] op_sel_hi:[1,1,0] neg_lo:[0,0,1] neg_hi:[0,0,1]
	v_pk_fma_f32 v[44:45], v[44:45], v[48:49], v[52:53] op_sel:[0,0,1] op_sel_hi:[1,0,0]
	v_mov_b32_e32 v55, v45
	v_pk_mul_f32 v[44:45], v[46:47], v[50:51] op_sel:[0,1]
	s_delay_alu instid0(VALU_DEP_1) | instskip(SKIP_1) | instid1(VALU_DEP_1)
	v_pk_fma_f32 v[52:53], v[46:47], v[48:49], v[44:45] op_sel:[0,0,1] op_sel_hi:[1,1,0] neg_lo:[0,0,1] neg_hi:[0,0,1]
	v_pk_fma_f32 v[44:45], v[46:47], v[48:49], v[44:45] op_sel:[0,0,1] op_sel_hi:[1,0,0]
	v_mov_b32_e32 v53, v45
	ds_load_2addr_b64 v[44:47], v64 offset0:7 offset1:8
	v_pk_add_f32 v[20:21], v[20:21], v[54:55] neg_lo:[0,1] neg_hi:[0,1]
	v_pk_add_f32 v[40:41], v[40:41], v[52:53] neg_lo:[0,1] neg_hi:[0,1]
	s_wait_dscnt 0x0
	v_pk_mul_f32 v[52:53], v[44:45], v[50:51] op_sel:[0,1]
	s_delay_alu instid0(VALU_DEP_1) | instskip(SKIP_1) | instid1(VALU_DEP_1)
	v_pk_fma_f32 v[54:55], v[44:45], v[48:49], v[52:53] op_sel:[0,0,1] op_sel_hi:[1,1,0] neg_lo:[0,0,1] neg_hi:[0,0,1]
	v_pk_fma_f32 v[44:45], v[44:45], v[48:49], v[52:53] op_sel:[0,0,1] op_sel_hi:[1,0,0]
	v_mov_b32_e32 v55, v45
	v_pk_mul_f32 v[44:45], v[46:47], v[50:51] op_sel:[0,1]
	s_delay_alu instid0(VALU_DEP_1) | instskip(SKIP_1) | instid1(VALU_DEP_1)
	v_pk_fma_f32 v[52:53], v[46:47], v[48:49], v[44:45] op_sel:[0,0,1] op_sel_hi:[1,1,0] neg_lo:[0,0,1] neg_hi:[0,0,1]
	v_pk_fma_f32 v[44:45], v[46:47], v[48:49], v[44:45] op_sel:[0,0,1] op_sel_hi:[1,0,0]
	v_mov_b32_e32 v53, v45
	ds_load_b64 v[44:45], v64 offset:72
	v_pk_add_f32 v[28:29], v[28:29], v[54:55] neg_lo:[0,1] neg_hi:[0,1]
	v_pk_add_f32 v[34:35], v[34:35], v[52:53] neg_lo:[0,1] neg_hi:[0,1]
	s_wait_dscnt 0x0
	v_pk_mul_f32 v[46:47], v[44:45], v[50:51] op_sel:[0,1]
	s_delay_alu instid0(VALU_DEP_1) | instskip(SKIP_1) | instid1(VALU_DEP_1)
	v_pk_fma_f32 v[50:51], v[44:45], v[48:49], v[46:47] op_sel:[0,0,1] op_sel_hi:[1,1,0] neg_lo:[0,0,1] neg_hi:[0,0,1]
	v_pk_fma_f32 v[44:45], v[44:45], v[48:49], v[46:47] op_sel:[0,0,1] op_sel_hi:[1,0,0]
	v_mov_b32_e32 v51, v45
	s_delay_alu instid0(VALU_DEP_1)
	v_pk_add_f32 v[26:27], v[26:27], v[50:51] neg_lo:[0,1] neg_hi:[0,1]
.LBB19_10:
	s_or_b32 exec_lo, exec_lo, s2
	s_delay_alu instid0(SALU_CYCLE_1)
	s_mov_b32 s2, exec_lo
	s_wait_dscnt 0x0
	s_barrier_signal -1
	s_barrier_wait -1
	v_cmpx_eq_u32_e32 1, v62
	s_cbranch_execz .LBB19_17
; %bb.11:
	v_dual_mov_b32 v44, v36 :: v_dual_mov_b32 v45, v37
	v_dual_mov_b32 v46, v30 :: v_dual_mov_b32 v47, v31
	;; [unrolled: 1-line block ×7, first 2 shown]
	ds_store_b64 v63, v[32:33]
	ds_store_2addr_b64 v64, v[44:45], v[46:47] offset0:2 offset1:3
	ds_store_2addr_b64 v64, v[48:49], v[50:51] offset0:4 offset1:5
	;; [unrolled: 1-line block ×4, first 2 shown]
	ds_load_b64 v[44:45], v63
	s_wait_dscnt 0x0
	v_cmp_neq_f32_e32 vcc_lo, 0, v44
	v_cmp_neq_f32_e64 s1, 0, v45
	s_or_b32 s1, vcc_lo, s1
	s_delay_alu instid0(SALU_CYCLE_1)
	s_and_b32 exec_lo, exec_lo, s1
	s_cbranch_execz .LBB19_17
; %bb.12:
	v_cmp_ngt_f32_e64 s1, |v44|, |v45|
                                        ; implicit-def: $vgpr46_vgpr47
	s_and_saveexec_b32 s4, s1
	s_delay_alu instid0(SALU_CYCLE_1)
	s_xor_b32 s1, exec_lo, s4
	s_cbranch_execz .LBB19_14
; %bb.13:
	v_div_scale_f32 v46, null, v45, v45, v44
	v_div_scale_f32 v49, vcc_lo, v44, v45, v44
	s_delay_alu instid0(VALU_DEP_2) | instskip(SKIP_1) | instid1(TRANS32_DEP_1)
	v_rcp_f32_e32 v47, v46
	v_nop
	v_fma_f32 v48, -v46, v47, 1.0
	s_delay_alu instid0(VALU_DEP_1) | instskip(NEXT) | instid1(VALU_DEP_1)
	v_fmac_f32_e32 v47, v48, v47
	v_mul_f32_e32 v48, v49, v47
	s_delay_alu instid0(VALU_DEP_1) | instskip(NEXT) | instid1(VALU_DEP_1)
	v_fma_f32 v50, -v46, v48, v49
	v_fmac_f32_e32 v48, v50, v47
	s_delay_alu instid0(VALU_DEP_1) | instskip(NEXT) | instid1(VALU_DEP_1)
	v_fma_f32 v46, -v46, v48, v49
	v_div_fmas_f32 v46, v46, v47, v48
	s_delay_alu instid0(VALU_DEP_1) | instskip(NEXT) | instid1(VALU_DEP_1)
	v_div_fixup_f32 v46, v46, v45, v44
	v_fmac_f32_e32 v45, v44, v46
	s_delay_alu instid0(VALU_DEP_1) | instskip(SKIP_1) | instid1(VALU_DEP_2)
	v_div_scale_f32 v44, null, v45, v45, 1.0
	v_div_scale_f32 v49, vcc_lo, 1.0, v45, 1.0
	v_rcp_f32_e32 v47, v44
	v_nop
	s_delay_alu instid0(TRANS32_DEP_1) | instskip(NEXT) | instid1(VALU_DEP_1)
	v_fma_f32 v48, -v44, v47, 1.0
	v_fmac_f32_e32 v47, v48, v47
	s_delay_alu instid0(VALU_DEP_1) | instskip(NEXT) | instid1(VALU_DEP_1)
	v_mul_f32_e32 v48, v49, v47
	v_fma_f32 v50, -v44, v48, v49
	s_delay_alu instid0(VALU_DEP_1) | instskip(NEXT) | instid1(VALU_DEP_1)
	v_fmac_f32_e32 v48, v50, v47
	v_fma_f32 v44, -v44, v48, v49
	s_delay_alu instid0(VALU_DEP_1) | instskip(NEXT) | instid1(VALU_DEP_1)
	v_div_fmas_f32 v44, v44, v47, v48
	v_div_fixup_f32 v44, v44, v45, 1.0
	s_delay_alu instid0(VALU_DEP_1)
	v_mul_f32_e32 v46, v46, v44
	v_xor_b32_e32 v47, 0x80000000, v44
                                        ; implicit-def: $vgpr44_vgpr45
.LBB19_14:
	s_and_not1_saveexec_b32 s1, s1
	s_cbranch_execz .LBB19_16
; %bb.15:
	v_div_scale_f32 v46, null, v44, v44, v45
	v_div_scale_f32 v49, vcc_lo, v45, v44, v45
	s_delay_alu instid0(VALU_DEP_2) | instskip(SKIP_1) | instid1(TRANS32_DEP_1)
	v_rcp_f32_e32 v47, v46
	v_nop
	v_fma_f32 v48, -v46, v47, 1.0
	s_delay_alu instid0(VALU_DEP_1) | instskip(NEXT) | instid1(VALU_DEP_1)
	v_fmac_f32_e32 v47, v48, v47
	v_mul_f32_e32 v48, v49, v47
	s_delay_alu instid0(VALU_DEP_1) | instskip(NEXT) | instid1(VALU_DEP_1)
	v_fma_f32 v50, -v46, v48, v49
	v_fmac_f32_e32 v48, v50, v47
	s_delay_alu instid0(VALU_DEP_1) | instskip(NEXT) | instid1(VALU_DEP_1)
	v_fma_f32 v46, -v46, v48, v49
	v_div_fmas_f32 v46, v46, v47, v48
	s_delay_alu instid0(VALU_DEP_1) | instskip(NEXT) | instid1(VALU_DEP_1)
	v_div_fixup_f32 v47, v46, v44, v45
	v_fmac_f32_e32 v44, v45, v47
	s_delay_alu instid0(VALU_DEP_1) | instskip(NEXT) | instid1(VALU_DEP_1)
	v_div_scale_f32 v45, null, v44, v44, 1.0
	v_rcp_f32_e32 v46, v45
	v_nop
	s_delay_alu instid0(TRANS32_DEP_1) | instskip(NEXT) | instid1(VALU_DEP_1)
	v_fma_f32 v48, -v45, v46, 1.0
	v_fmac_f32_e32 v46, v48, v46
	v_div_scale_f32 v48, vcc_lo, 1.0, v44, 1.0
	s_delay_alu instid0(VALU_DEP_1) | instskip(NEXT) | instid1(VALU_DEP_1)
	v_mul_f32_e32 v49, v48, v46
	v_fma_f32 v50, -v45, v49, v48
	s_delay_alu instid0(VALU_DEP_1) | instskip(NEXT) | instid1(VALU_DEP_1)
	v_fmac_f32_e32 v49, v50, v46
	v_fma_f32 v45, -v45, v49, v48
	s_delay_alu instid0(VALU_DEP_1) | instskip(NEXT) | instid1(VALU_DEP_1)
	v_div_fmas_f32 v45, v45, v46, v49
	v_div_fixup_f32 v46, v45, v44, 1.0
	s_delay_alu instid0(VALU_DEP_1)
	v_mul_f32_e64 v47, v47, -v46
.LBB19_16:
	s_or_b32 exec_lo, exec_lo, s1
	ds_store_b64 v63, v[46:47]
.LBB19_17:
	s_or_b32 exec_lo, exec_lo, s2
	s_wait_dscnt 0x0
	s_barrier_signal -1
	s_barrier_wait -1
	ds_load_b64 v[44:45], v63
	s_mov_b32 s1, exec_lo
	v_cmpx_lt_u32_e32 1, v62
	s_cbranch_execz .LBB19_19
; %bb.18:
	s_wait_dscnt 0x0
	v_pk_mul_f32 v[46:47], v[44:45], v[32:33] op_sel:[1,1] op_sel_hi:[0,1]
	s_delay_alu instid0(VALU_DEP_1)
	v_pk_fma_f32 v[50:51], v[44:45], v[32:33], v[46:47] op_sel_hi:[1,0,1] neg_lo:[0,0,1] neg_hi:[0,0,1]
	v_pk_fma_f32 v[52:53], v[44:45], v[32:33], v[46:47] op_sel_hi:[1,0,1]
	ds_load_2addr_b64 v[46:49], v64 offset0:2 offset1:3
	v_dual_mov_b32 v32, v50 :: v_dual_mov_b32 v33, v53
	s_wait_dscnt 0x0
	v_pk_mul_f32 v[54:55], v[46:47], v[52:53] op_sel:[0,1]
	s_delay_alu instid0(VALU_DEP_1) | instskip(SKIP_1) | instid1(VALU_DEP_1)
	v_pk_fma_f32 v[56:57], v[46:47], v[50:51], v[54:55] op_sel:[0,0,1] op_sel_hi:[1,1,0] neg_lo:[0,0,1] neg_hi:[0,0,1]
	v_pk_fma_f32 v[46:47], v[46:47], v[50:51], v[54:55] op_sel:[0,0,1] op_sel_hi:[1,0,0]
	v_mov_b32_e32 v57, v47
	v_pk_mul_f32 v[46:47], v[48:49], v[52:53] op_sel:[0,1]
	s_delay_alu instid0(VALU_DEP_1) | instskip(SKIP_1) | instid1(VALU_DEP_1)
	v_pk_fma_f32 v[54:55], v[48:49], v[50:51], v[46:47] op_sel:[0,0,1] op_sel_hi:[1,1,0] neg_lo:[0,0,1] neg_hi:[0,0,1]
	v_pk_fma_f32 v[46:47], v[48:49], v[50:51], v[46:47] op_sel:[0,0,1] op_sel_hi:[1,0,0]
	v_mov_b32_e32 v55, v47
	ds_load_2addr_b64 v[46:49], v64 offset0:4 offset1:5
	v_pk_add_f32 v[36:37], v[36:37], v[56:57] neg_lo:[0,1] neg_hi:[0,1]
	v_pk_add_f32 v[30:31], v[30:31], v[54:55] neg_lo:[0,1] neg_hi:[0,1]
	s_wait_dscnt 0x0
	v_pk_mul_f32 v[54:55], v[46:47], v[52:53] op_sel:[0,1]
	s_delay_alu instid0(VALU_DEP_1) | instskip(SKIP_2) | instid1(VALU_DEP_2)
	v_pk_fma_f32 v[56:57], v[46:47], v[50:51], v[54:55] op_sel:[0,0,1] op_sel_hi:[1,1,0] neg_lo:[0,0,1] neg_hi:[0,0,1]
	v_pk_fma_f32 v[46:47], v[46:47], v[50:51], v[54:55] op_sel:[0,0,1] op_sel_hi:[1,0,0]
	v_dual_mul_f32 v54, v49, v53 :: v_dual_mov_b32 v46, v49
	v_dual_mov_b32 v57, v47 :: v_dual_mov_b32 v47, v48
	s_delay_alu instid0(VALU_DEP_2) | instskip(SKIP_1) | instid1(VALU_DEP_3)
	v_pk_fma_f32 v[54:55], v[48:49], v[32:33], v[54:55] op_sel_hi:[1,1,0] neg_lo:[0,0,1] neg_hi:[0,0,1]
	v_mul_f32_e32 v48, v49, v50
	v_pk_add_f32 v[22:23], v[22:23], v[56:57] neg_lo:[0,1] neg_hi:[0,1]
	s_delay_alu instid0(VALU_DEP_2) | instskip(NEXT) | instid1(VALU_DEP_1)
	v_pk_fma_f32 v[46:47], v[46:47], v[32:33], v[48:49] op_sel_hi:[1,1,0]
	v_mov_b32_e32 v55, v47
	ds_load_2addr_b64 v[46:49], v64 offset0:6 offset1:7
	v_pk_add_f32 v[20:21], v[20:21], v[54:55] neg_lo:[0,1] neg_hi:[0,1]
	s_wait_dscnt 0x0
	v_pk_mul_f32 v[54:55], v[46:47], v[52:53] op_sel:[0,1]
	s_delay_alu instid0(VALU_DEP_1) | instskip(SKIP_1) | instid1(VALU_DEP_1)
	v_pk_fma_f32 v[56:57], v[46:47], v[50:51], v[54:55] op_sel:[0,0,1] op_sel_hi:[1,1,0] neg_lo:[0,0,1] neg_hi:[0,0,1]
	v_pk_fma_f32 v[46:47], v[46:47], v[50:51], v[54:55] op_sel:[0,0,1] op_sel_hi:[1,0,0]
	v_mov_b32_e32 v57, v47
	v_pk_mul_f32 v[46:47], v[48:49], v[52:53] op_sel:[0,1]
	s_delay_alu instid0(VALU_DEP_1) | instskip(SKIP_1) | instid1(VALU_DEP_1)
	v_pk_fma_f32 v[54:55], v[48:49], v[50:51], v[46:47] op_sel:[0,0,1] op_sel_hi:[1,1,0] neg_lo:[0,0,1] neg_hi:[0,0,1]
	v_pk_fma_f32 v[46:47], v[48:49], v[50:51], v[46:47] op_sel:[0,0,1] op_sel_hi:[1,0,0]
	v_mov_b32_e32 v55, v47
	ds_load_2addr_b64 v[46:49], v64 offset0:8 offset1:9
	v_pk_add_f32 v[40:41], v[40:41], v[56:57] neg_lo:[0,1] neg_hi:[0,1]
	v_pk_add_f32 v[28:29], v[28:29], v[54:55] neg_lo:[0,1] neg_hi:[0,1]
	s_wait_dscnt 0x0
	v_pk_mul_f32 v[54:55], v[46:47], v[52:53] op_sel:[0,1]
	s_delay_alu instid0(VALU_DEP_1) | instskip(SKIP_1) | instid1(VALU_DEP_1)
	v_pk_fma_f32 v[56:57], v[46:47], v[50:51], v[54:55] op_sel:[0,0,1] op_sel_hi:[1,1,0] neg_lo:[0,0,1] neg_hi:[0,0,1]
	v_pk_fma_f32 v[46:47], v[46:47], v[50:51], v[54:55] op_sel:[0,0,1] op_sel_hi:[1,0,0]
	v_mov_b32_e32 v57, v47
	v_pk_mul_f32 v[46:47], v[48:49], v[52:53] op_sel:[0,1]
	s_delay_alu instid0(VALU_DEP_1) | instskip(SKIP_1) | instid1(VALU_DEP_1)
	v_pk_fma_f32 v[52:53], v[48:49], v[50:51], v[46:47] op_sel:[0,0,1] op_sel_hi:[1,1,0] neg_lo:[0,0,1] neg_hi:[0,0,1]
	v_pk_fma_f32 v[46:47], v[48:49], v[50:51], v[46:47] op_sel:[0,0,1] op_sel_hi:[1,0,0]
	v_mov_b32_e32 v53, v47
	v_pk_add_f32 v[34:35], v[34:35], v[56:57] neg_lo:[0,1] neg_hi:[0,1]
	s_delay_alu instid0(VALU_DEP_2)
	v_pk_add_f32 v[26:27], v[26:27], v[52:53] neg_lo:[0,1] neg_hi:[0,1]
.LBB19_19:
	s_or_b32 exec_lo, exec_lo, s1
	s_delay_alu instid0(SALU_CYCLE_1)
	s_mov_b32 s2, exec_lo
	s_wait_dscnt 0x0
	s_barrier_signal -1
	s_barrier_wait -1
	v_cmpx_eq_u32_e32 2, v62
	s_cbranch_execz .LBB19_26
; %bb.20:
	ds_store_b64 v63, v[36:37]
	ds_store_2addr_b64 v64, v[30:31], v[22:23] offset0:3 offset1:4
	ds_store_2addr_b64 v64, v[20:21], v[40:41] offset0:5 offset1:6
	;; [unrolled: 1-line block ×3, first 2 shown]
	ds_store_b64 v64, v[26:27] offset:72
	ds_load_b64 v[46:47], v63
	s_wait_dscnt 0x0
	v_cmp_neq_f32_e32 vcc_lo, 0, v46
	v_cmp_neq_f32_e64 s1, 0, v47
	s_or_b32 s1, vcc_lo, s1
	s_delay_alu instid0(SALU_CYCLE_1)
	s_and_b32 exec_lo, exec_lo, s1
	s_cbranch_execz .LBB19_26
; %bb.21:
	v_cmp_ngt_f32_e64 s1, |v46|, |v47|
                                        ; implicit-def: $vgpr48_vgpr49
	s_and_saveexec_b32 s4, s1
	s_delay_alu instid0(SALU_CYCLE_1)
	s_xor_b32 s1, exec_lo, s4
	s_cbranch_execz .LBB19_23
; %bb.22:
	v_div_scale_f32 v48, null, v47, v47, v46
	v_div_scale_f32 v51, vcc_lo, v46, v47, v46
	s_delay_alu instid0(VALU_DEP_2) | instskip(SKIP_1) | instid1(TRANS32_DEP_1)
	v_rcp_f32_e32 v49, v48
	v_nop
	v_fma_f32 v50, -v48, v49, 1.0
	s_delay_alu instid0(VALU_DEP_1) | instskip(NEXT) | instid1(VALU_DEP_1)
	v_fmac_f32_e32 v49, v50, v49
	v_mul_f32_e32 v50, v51, v49
	s_delay_alu instid0(VALU_DEP_1) | instskip(NEXT) | instid1(VALU_DEP_1)
	v_fma_f32 v52, -v48, v50, v51
	v_fmac_f32_e32 v50, v52, v49
	s_delay_alu instid0(VALU_DEP_1) | instskip(NEXT) | instid1(VALU_DEP_1)
	v_fma_f32 v48, -v48, v50, v51
	v_div_fmas_f32 v48, v48, v49, v50
	s_delay_alu instid0(VALU_DEP_1) | instskip(NEXT) | instid1(VALU_DEP_1)
	v_div_fixup_f32 v48, v48, v47, v46
	v_fmac_f32_e32 v47, v46, v48
	s_delay_alu instid0(VALU_DEP_1) | instskip(SKIP_1) | instid1(VALU_DEP_2)
	v_div_scale_f32 v46, null, v47, v47, 1.0
	v_div_scale_f32 v51, vcc_lo, 1.0, v47, 1.0
	v_rcp_f32_e32 v49, v46
	v_nop
	s_delay_alu instid0(TRANS32_DEP_1) | instskip(NEXT) | instid1(VALU_DEP_1)
	v_fma_f32 v50, -v46, v49, 1.0
	v_fmac_f32_e32 v49, v50, v49
	s_delay_alu instid0(VALU_DEP_1) | instskip(NEXT) | instid1(VALU_DEP_1)
	v_mul_f32_e32 v50, v51, v49
	v_fma_f32 v52, -v46, v50, v51
	s_delay_alu instid0(VALU_DEP_1) | instskip(NEXT) | instid1(VALU_DEP_1)
	v_fmac_f32_e32 v50, v52, v49
	v_fma_f32 v46, -v46, v50, v51
	s_delay_alu instid0(VALU_DEP_1) | instskip(NEXT) | instid1(VALU_DEP_1)
	v_div_fmas_f32 v46, v46, v49, v50
	v_div_fixup_f32 v46, v46, v47, 1.0
	s_delay_alu instid0(VALU_DEP_1)
	v_mul_f32_e32 v48, v48, v46
	v_xor_b32_e32 v49, 0x80000000, v46
                                        ; implicit-def: $vgpr46_vgpr47
.LBB19_23:
	s_and_not1_saveexec_b32 s1, s1
	s_cbranch_execz .LBB19_25
; %bb.24:
	v_div_scale_f32 v48, null, v46, v46, v47
	v_div_scale_f32 v51, vcc_lo, v47, v46, v47
	s_delay_alu instid0(VALU_DEP_2) | instskip(SKIP_1) | instid1(TRANS32_DEP_1)
	v_rcp_f32_e32 v49, v48
	v_nop
	v_fma_f32 v50, -v48, v49, 1.0
	s_delay_alu instid0(VALU_DEP_1) | instskip(NEXT) | instid1(VALU_DEP_1)
	v_fmac_f32_e32 v49, v50, v49
	v_mul_f32_e32 v50, v51, v49
	s_delay_alu instid0(VALU_DEP_1) | instskip(NEXT) | instid1(VALU_DEP_1)
	v_fma_f32 v52, -v48, v50, v51
	v_fmac_f32_e32 v50, v52, v49
	s_delay_alu instid0(VALU_DEP_1) | instskip(NEXT) | instid1(VALU_DEP_1)
	v_fma_f32 v48, -v48, v50, v51
	v_div_fmas_f32 v48, v48, v49, v50
	s_delay_alu instid0(VALU_DEP_1) | instskip(NEXT) | instid1(VALU_DEP_1)
	v_div_fixup_f32 v49, v48, v46, v47
	v_fmac_f32_e32 v46, v47, v49
	s_delay_alu instid0(VALU_DEP_1) | instskip(NEXT) | instid1(VALU_DEP_1)
	v_div_scale_f32 v47, null, v46, v46, 1.0
	v_rcp_f32_e32 v48, v47
	v_nop
	s_delay_alu instid0(TRANS32_DEP_1) | instskip(NEXT) | instid1(VALU_DEP_1)
	v_fma_f32 v50, -v47, v48, 1.0
	v_fmac_f32_e32 v48, v50, v48
	v_div_scale_f32 v50, vcc_lo, 1.0, v46, 1.0
	s_delay_alu instid0(VALU_DEP_1) | instskip(NEXT) | instid1(VALU_DEP_1)
	v_mul_f32_e32 v51, v50, v48
	v_fma_f32 v52, -v47, v51, v50
	s_delay_alu instid0(VALU_DEP_1) | instskip(NEXT) | instid1(VALU_DEP_1)
	v_fmac_f32_e32 v51, v52, v48
	v_fma_f32 v47, -v47, v51, v50
	s_delay_alu instid0(VALU_DEP_1) | instskip(NEXT) | instid1(VALU_DEP_1)
	v_div_fmas_f32 v47, v47, v48, v51
	v_div_fixup_f32 v48, v47, v46, 1.0
	s_delay_alu instid0(VALU_DEP_1)
	v_mul_f32_e64 v49, v49, -v48
.LBB19_25:
	s_or_b32 exec_lo, exec_lo, s1
	ds_store_b64 v63, v[48:49]
.LBB19_26:
	s_or_b32 exec_lo, exec_lo, s2
	s_wait_dscnt 0x0
	s_barrier_signal -1
	s_barrier_wait -1
	ds_load_b64 v[46:47], v63
	s_mov_b32 s1, exec_lo
	v_cmpx_lt_u32_e32 2, v62
	s_cbranch_execz .LBB19_28
; %bb.27:
	s_wait_dscnt 0x0
	v_pk_mul_f32 v[48:49], v[46:47], v[36:37] op_sel:[1,1] op_sel_hi:[0,1]
	s_delay_alu instid0(VALU_DEP_1)
	v_pk_fma_f32 v[52:53], v[46:47], v[36:37], v[48:49] op_sel_hi:[1,0,1] neg_lo:[0,0,1] neg_hi:[0,0,1]
	v_pk_fma_f32 v[54:55], v[46:47], v[36:37], v[48:49] op_sel_hi:[1,0,1]
	ds_load_2addr_b64 v[48:51], v64 offset0:3 offset1:4
	v_dual_mov_b32 v36, v52 :: v_dual_mov_b32 v37, v55
	s_wait_dscnt 0x0
	v_pk_mul_f32 v[56:57], v[48:49], v[54:55] op_sel:[0,1]
	s_delay_alu instid0(VALU_DEP_1) | instskip(SKIP_1) | instid1(VALU_DEP_1)
	v_pk_fma_f32 v[58:59], v[48:49], v[52:53], v[56:57] op_sel:[0,0,1] op_sel_hi:[1,1,0] neg_lo:[0,0,1] neg_hi:[0,0,1]
	v_pk_fma_f32 v[48:49], v[48:49], v[52:53], v[56:57] op_sel:[0,0,1] op_sel_hi:[1,0,0]
	v_mov_b32_e32 v59, v49
	v_pk_mul_f32 v[48:49], v[50:51], v[54:55] op_sel:[0,1]
	s_delay_alu instid0(VALU_DEP_1) | instskip(SKIP_1) | instid1(VALU_DEP_1)
	v_pk_fma_f32 v[56:57], v[50:51], v[52:53], v[48:49] op_sel:[0,0,1] op_sel_hi:[1,1,0] neg_lo:[0,0,1] neg_hi:[0,0,1]
	v_pk_fma_f32 v[48:49], v[50:51], v[52:53], v[48:49] op_sel:[0,0,1] op_sel_hi:[1,0,0]
	v_mov_b32_e32 v57, v49
	ds_load_2addr_b64 v[48:51], v64 offset0:5 offset1:6
	v_pk_add_f32 v[30:31], v[30:31], v[58:59] neg_lo:[0,1] neg_hi:[0,1]
	v_pk_add_f32 v[22:23], v[22:23], v[56:57] neg_lo:[0,1] neg_hi:[0,1]
	s_wait_dscnt 0x0
	v_pk_mul_f32 v[56:57], v[48:49], v[54:55] op_sel:[0,1]
	s_delay_alu instid0(VALU_DEP_1) | instskip(SKIP_2) | instid1(VALU_DEP_2)
	v_pk_fma_f32 v[58:59], v[48:49], v[52:53], v[56:57] op_sel:[0,0,1] op_sel_hi:[1,1,0] neg_lo:[0,0,1] neg_hi:[0,0,1]
	v_pk_fma_f32 v[48:49], v[48:49], v[52:53], v[56:57] op_sel:[0,0,1] op_sel_hi:[1,0,0]
	v_dual_mul_f32 v56, v51, v55 :: v_dual_mov_b32 v48, v51
	v_dual_mov_b32 v59, v49 :: v_dual_mov_b32 v49, v50
	s_delay_alu instid0(VALU_DEP_2) | instskip(SKIP_1) | instid1(VALU_DEP_3)
	v_pk_fma_f32 v[56:57], v[50:51], v[36:37], v[56:57] op_sel_hi:[1,1,0] neg_lo:[0,0,1] neg_hi:[0,0,1]
	v_mul_f32_e32 v50, v51, v52
	v_pk_add_f32 v[20:21], v[20:21], v[58:59] neg_lo:[0,1] neg_hi:[0,1]
	s_delay_alu instid0(VALU_DEP_2) | instskip(NEXT) | instid1(VALU_DEP_1)
	v_pk_fma_f32 v[48:49], v[48:49], v[36:37], v[50:51] op_sel_hi:[1,1,0]
	v_mov_b32_e32 v57, v49
	ds_load_2addr_b64 v[48:51], v64 offset0:7 offset1:8
	v_pk_add_f32 v[40:41], v[40:41], v[56:57] neg_lo:[0,1] neg_hi:[0,1]
	s_wait_dscnt 0x0
	v_pk_mul_f32 v[56:57], v[48:49], v[54:55] op_sel:[0,1]
	s_delay_alu instid0(VALU_DEP_1) | instskip(SKIP_1) | instid1(VALU_DEP_1)
	v_pk_fma_f32 v[58:59], v[48:49], v[52:53], v[56:57] op_sel:[0,0,1] op_sel_hi:[1,1,0] neg_lo:[0,0,1] neg_hi:[0,0,1]
	v_pk_fma_f32 v[48:49], v[48:49], v[52:53], v[56:57] op_sel:[0,0,1] op_sel_hi:[1,0,0]
	v_mov_b32_e32 v59, v49
	v_pk_mul_f32 v[48:49], v[50:51], v[54:55] op_sel:[0,1]
	s_delay_alu instid0(VALU_DEP_1) | instskip(SKIP_1) | instid1(VALU_DEP_1)
	v_pk_fma_f32 v[56:57], v[50:51], v[52:53], v[48:49] op_sel:[0,0,1] op_sel_hi:[1,1,0] neg_lo:[0,0,1] neg_hi:[0,0,1]
	v_pk_fma_f32 v[48:49], v[50:51], v[52:53], v[48:49] op_sel:[0,0,1] op_sel_hi:[1,0,0]
	v_mov_b32_e32 v57, v49
	ds_load_b64 v[48:49], v64 offset:72
	v_pk_add_f32 v[28:29], v[28:29], v[58:59] neg_lo:[0,1] neg_hi:[0,1]
	v_pk_add_f32 v[34:35], v[34:35], v[56:57] neg_lo:[0,1] neg_hi:[0,1]
	s_wait_dscnt 0x0
	v_pk_mul_f32 v[50:51], v[48:49], v[54:55] op_sel:[0,1]
	s_delay_alu instid0(VALU_DEP_1) | instskip(SKIP_1) | instid1(VALU_DEP_1)
	v_pk_fma_f32 v[54:55], v[48:49], v[52:53], v[50:51] op_sel:[0,0,1] op_sel_hi:[1,1,0] neg_lo:[0,0,1] neg_hi:[0,0,1]
	v_pk_fma_f32 v[48:49], v[48:49], v[52:53], v[50:51] op_sel:[0,0,1] op_sel_hi:[1,0,0]
	v_mov_b32_e32 v55, v49
	s_delay_alu instid0(VALU_DEP_1)
	v_pk_add_f32 v[26:27], v[26:27], v[54:55] neg_lo:[0,1] neg_hi:[0,1]
.LBB19_28:
	s_or_b32 exec_lo, exec_lo, s1
	s_delay_alu instid0(SALU_CYCLE_1)
	s_mov_b32 s2, exec_lo
	s_wait_dscnt 0x0
	s_barrier_signal -1
	s_barrier_wait -1
	v_cmpx_eq_u32_e32 3, v62
	s_cbranch_execz .LBB19_35
; %bb.29:
	v_dual_mov_b32 v48, v22 :: v_dual_mov_b32 v49, v23
	v_dual_mov_b32 v50, v20 :: v_dual_mov_b32 v51, v21
	;; [unrolled: 1-line block ×5, first 2 shown]
	ds_store_b64 v63, v[30:31]
	ds_store_2addr_b64 v64, v[48:49], v[50:51] offset0:4 offset1:5
	ds_store_2addr_b64 v64, v[52:53], v[54:55] offset0:6 offset1:7
	;; [unrolled: 1-line block ×3, first 2 shown]
	ds_load_b64 v[48:49], v63
	s_wait_dscnt 0x0
	v_cmp_neq_f32_e32 vcc_lo, 0, v48
	v_cmp_neq_f32_e64 s1, 0, v49
	s_or_b32 s1, vcc_lo, s1
	s_delay_alu instid0(SALU_CYCLE_1)
	s_and_b32 exec_lo, exec_lo, s1
	s_cbranch_execz .LBB19_35
; %bb.30:
	v_cmp_ngt_f32_e64 s1, |v48|, |v49|
                                        ; implicit-def: $vgpr50_vgpr51
	s_and_saveexec_b32 s4, s1
	s_delay_alu instid0(SALU_CYCLE_1)
	s_xor_b32 s1, exec_lo, s4
	s_cbranch_execz .LBB19_32
; %bb.31:
	v_div_scale_f32 v50, null, v49, v49, v48
	v_div_scale_f32 v53, vcc_lo, v48, v49, v48
	s_delay_alu instid0(VALU_DEP_2) | instskip(SKIP_1) | instid1(TRANS32_DEP_1)
	v_rcp_f32_e32 v51, v50
	v_nop
	v_fma_f32 v52, -v50, v51, 1.0
	s_delay_alu instid0(VALU_DEP_1) | instskip(NEXT) | instid1(VALU_DEP_1)
	v_fmac_f32_e32 v51, v52, v51
	v_mul_f32_e32 v52, v53, v51
	s_delay_alu instid0(VALU_DEP_1) | instskip(NEXT) | instid1(VALU_DEP_1)
	v_fma_f32 v54, -v50, v52, v53
	v_fmac_f32_e32 v52, v54, v51
	s_delay_alu instid0(VALU_DEP_1) | instskip(NEXT) | instid1(VALU_DEP_1)
	v_fma_f32 v50, -v50, v52, v53
	v_div_fmas_f32 v50, v50, v51, v52
	s_delay_alu instid0(VALU_DEP_1) | instskip(NEXT) | instid1(VALU_DEP_1)
	v_div_fixup_f32 v50, v50, v49, v48
	v_fmac_f32_e32 v49, v48, v50
	s_delay_alu instid0(VALU_DEP_1) | instskip(SKIP_1) | instid1(VALU_DEP_2)
	v_div_scale_f32 v48, null, v49, v49, 1.0
	v_div_scale_f32 v53, vcc_lo, 1.0, v49, 1.0
	v_rcp_f32_e32 v51, v48
	v_nop
	s_delay_alu instid0(TRANS32_DEP_1) | instskip(NEXT) | instid1(VALU_DEP_1)
	v_fma_f32 v52, -v48, v51, 1.0
	v_fmac_f32_e32 v51, v52, v51
	s_delay_alu instid0(VALU_DEP_1) | instskip(NEXT) | instid1(VALU_DEP_1)
	v_mul_f32_e32 v52, v53, v51
	v_fma_f32 v54, -v48, v52, v53
	s_delay_alu instid0(VALU_DEP_1) | instskip(NEXT) | instid1(VALU_DEP_1)
	v_fmac_f32_e32 v52, v54, v51
	v_fma_f32 v48, -v48, v52, v53
	s_delay_alu instid0(VALU_DEP_1) | instskip(NEXT) | instid1(VALU_DEP_1)
	v_div_fmas_f32 v48, v48, v51, v52
	v_div_fixup_f32 v48, v48, v49, 1.0
	s_delay_alu instid0(VALU_DEP_1)
	v_mul_f32_e32 v50, v50, v48
	v_xor_b32_e32 v51, 0x80000000, v48
                                        ; implicit-def: $vgpr48_vgpr49
.LBB19_32:
	s_and_not1_saveexec_b32 s1, s1
	s_cbranch_execz .LBB19_34
; %bb.33:
	v_div_scale_f32 v50, null, v48, v48, v49
	v_div_scale_f32 v53, vcc_lo, v49, v48, v49
	s_delay_alu instid0(VALU_DEP_2) | instskip(SKIP_1) | instid1(TRANS32_DEP_1)
	v_rcp_f32_e32 v51, v50
	v_nop
	v_fma_f32 v52, -v50, v51, 1.0
	s_delay_alu instid0(VALU_DEP_1) | instskip(NEXT) | instid1(VALU_DEP_1)
	v_fmac_f32_e32 v51, v52, v51
	v_mul_f32_e32 v52, v53, v51
	s_delay_alu instid0(VALU_DEP_1) | instskip(NEXT) | instid1(VALU_DEP_1)
	v_fma_f32 v54, -v50, v52, v53
	v_fmac_f32_e32 v52, v54, v51
	s_delay_alu instid0(VALU_DEP_1) | instskip(NEXT) | instid1(VALU_DEP_1)
	v_fma_f32 v50, -v50, v52, v53
	v_div_fmas_f32 v50, v50, v51, v52
	s_delay_alu instid0(VALU_DEP_1) | instskip(NEXT) | instid1(VALU_DEP_1)
	v_div_fixup_f32 v51, v50, v48, v49
	v_fmac_f32_e32 v48, v49, v51
	s_delay_alu instid0(VALU_DEP_1) | instskip(NEXT) | instid1(VALU_DEP_1)
	v_div_scale_f32 v49, null, v48, v48, 1.0
	v_rcp_f32_e32 v50, v49
	v_nop
	s_delay_alu instid0(TRANS32_DEP_1) | instskip(NEXT) | instid1(VALU_DEP_1)
	v_fma_f32 v52, -v49, v50, 1.0
	v_fmac_f32_e32 v50, v52, v50
	v_div_scale_f32 v52, vcc_lo, 1.0, v48, 1.0
	s_delay_alu instid0(VALU_DEP_1) | instskip(NEXT) | instid1(VALU_DEP_1)
	v_mul_f32_e32 v53, v52, v50
	v_fma_f32 v54, -v49, v53, v52
	s_delay_alu instid0(VALU_DEP_1) | instskip(NEXT) | instid1(VALU_DEP_1)
	v_fmac_f32_e32 v53, v54, v50
	v_fma_f32 v49, -v49, v53, v52
	s_delay_alu instid0(VALU_DEP_1) | instskip(NEXT) | instid1(VALU_DEP_1)
	v_div_fmas_f32 v49, v49, v50, v53
	v_div_fixup_f32 v50, v49, v48, 1.0
	s_delay_alu instid0(VALU_DEP_1)
	v_mul_f32_e64 v51, v51, -v50
.LBB19_34:
	s_or_b32 exec_lo, exec_lo, s1
	ds_store_b64 v63, v[50:51]
.LBB19_35:
	s_or_b32 exec_lo, exec_lo, s2
	s_wait_dscnt 0x0
	s_barrier_signal -1
	s_barrier_wait -1
	ds_load_b64 v[48:49], v63
	s_mov_b32 s1, exec_lo
	v_cmpx_lt_u32_e32 3, v62
	s_cbranch_execz .LBB19_37
; %bb.36:
	s_wait_dscnt 0x0
	v_pk_mul_f32 v[50:51], v[48:49], v[30:31] op_sel:[1,1] op_sel_hi:[0,1]
	s_delay_alu instid0(VALU_DEP_1)
	v_pk_fma_f32 v[54:55], v[48:49], v[30:31], v[50:51] op_sel_hi:[1,0,1] neg_lo:[0,0,1] neg_hi:[0,0,1]
	v_pk_fma_f32 v[56:57], v[48:49], v[30:31], v[50:51] op_sel_hi:[1,0,1]
	ds_load_2addr_b64 v[50:53], v64 offset0:4 offset1:5
	v_dual_mov_b32 v30, v54 :: v_dual_mov_b32 v31, v57
	s_wait_dscnt 0x0
	v_pk_mul_f32 v[58:59], v[50:51], v[56:57] op_sel:[0,1]
	s_delay_alu instid0(VALU_DEP_1) | instskip(SKIP_1) | instid1(VALU_DEP_1)
	v_pk_fma_f32 v[60:61], v[50:51], v[54:55], v[58:59] op_sel:[0,0,1] op_sel_hi:[1,1,0] neg_lo:[0,0,1] neg_hi:[0,0,1]
	v_pk_fma_f32 v[50:51], v[50:51], v[54:55], v[58:59] op_sel:[0,0,1] op_sel_hi:[1,0,0]
	v_mov_b32_e32 v61, v51
	v_pk_mul_f32 v[50:51], v[52:53], v[56:57] op_sel:[0,1]
	s_delay_alu instid0(VALU_DEP_1) | instskip(SKIP_1) | instid1(VALU_DEP_1)
	v_pk_fma_f32 v[58:59], v[52:53], v[54:55], v[50:51] op_sel:[0,0,1] op_sel_hi:[1,1,0] neg_lo:[0,0,1] neg_hi:[0,0,1]
	v_pk_fma_f32 v[50:51], v[52:53], v[54:55], v[50:51] op_sel:[0,0,1] op_sel_hi:[1,0,0]
	v_mov_b32_e32 v59, v51
	ds_load_2addr_b64 v[50:53], v64 offset0:6 offset1:7
	v_pk_add_f32 v[22:23], v[22:23], v[60:61] neg_lo:[0,1] neg_hi:[0,1]
	v_pk_add_f32 v[20:21], v[20:21], v[58:59] neg_lo:[0,1] neg_hi:[0,1]
	s_wait_dscnt 0x0
	v_pk_mul_f32 v[58:59], v[50:51], v[56:57] op_sel:[0,1]
	s_delay_alu instid0(VALU_DEP_1) | instskip(SKIP_2) | instid1(VALU_DEP_2)
	v_pk_fma_f32 v[60:61], v[50:51], v[54:55], v[58:59] op_sel:[0,0,1] op_sel_hi:[1,1,0] neg_lo:[0,0,1] neg_hi:[0,0,1]
	v_pk_fma_f32 v[50:51], v[50:51], v[54:55], v[58:59] op_sel:[0,0,1] op_sel_hi:[1,0,0]
	v_dual_mul_f32 v58, v53, v57 :: v_dual_mov_b32 v50, v53
	v_dual_mov_b32 v61, v51 :: v_dual_mov_b32 v51, v52
	s_delay_alu instid0(VALU_DEP_2) | instskip(SKIP_1) | instid1(VALU_DEP_3)
	v_pk_fma_f32 v[58:59], v[52:53], v[30:31], v[58:59] op_sel_hi:[1,1,0] neg_lo:[0,0,1] neg_hi:[0,0,1]
	v_mul_f32_e32 v52, v53, v54
	v_pk_add_f32 v[40:41], v[40:41], v[60:61] neg_lo:[0,1] neg_hi:[0,1]
	s_delay_alu instid0(VALU_DEP_2) | instskip(NEXT) | instid1(VALU_DEP_1)
	v_pk_fma_f32 v[50:51], v[50:51], v[30:31], v[52:53] op_sel_hi:[1,1,0]
	v_mov_b32_e32 v59, v51
	ds_load_2addr_b64 v[50:53], v64 offset0:8 offset1:9
	v_pk_add_f32 v[28:29], v[28:29], v[58:59] neg_lo:[0,1] neg_hi:[0,1]
	s_wait_dscnt 0x0
	v_pk_mul_f32 v[58:59], v[50:51], v[56:57] op_sel:[0,1]
	v_mul_f32_e32 v56, v53, v57
	s_delay_alu instid0(VALU_DEP_2) | instskip(SKIP_2) | instid1(VALU_DEP_4)
	v_pk_fma_f32 v[60:61], v[50:51], v[54:55], v[58:59] op_sel:[0,0,1] op_sel_hi:[1,1,0] neg_lo:[0,0,1] neg_hi:[0,0,1]
	v_pk_fma_f32 v[50:51], v[50:51], v[54:55], v[58:59] op_sel:[0,0,1] op_sel_hi:[1,0,0]
	v_mov_b32_e32 v50, v53
	v_pk_fma_f32 v[56:57], v[52:53], v[30:31], v[56:57] op_sel_hi:[1,1,0] neg_lo:[0,0,1] neg_hi:[0,0,1]
	s_delay_alu instid0(VALU_DEP_3) | instskip(SKIP_1) | instid1(VALU_DEP_2)
	v_dual_mov_b32 v61, v51 :: v_dual_mov_b32 v51, v52
	v_mul_f32_e32 v52, v53, v54
	v_pk_add_f32 v[34:35], v[34:35], v[60:61] neg_lo:[0,1] neg_hi:[0,1]
	s_delay_alu instid0(VALU_DEP_2) | instskip(NEXT) | instid1(VALU_DEP_1)
	v_pk_fma_f32 v[50:51], v[50:51], v[30:31], v[52:53] op_sel_hi:[1,1,0]
	v_mov_b32_e32 v57, v51
	s_delay_alu instid0(VALU_DEP_1)
	v_pk_add_f32 v[26:27], v[26:27], v[56:57] neg_lo:[0,1] neg_hi:[0,1]
.LBB19_37:
	s_or_b32 exec_lo, exec_lo, s1
	s_delay_alu instid0(SALU_CYCLE_1)
	s_mov_b32 s2, exec_lo
	s_wait_dscnt 0x0
	s_barrier_signal -1
	s_barrier_wait -1
	v_cmpx_eq_u32_e32 4, v62
	s_cbranch_execz .LBB19_44
; %bb.38:
	ds_store_b64 v63, v[22:23]
	ds_store_2addr_b64 v64, v[20:21], v[40:41] offset0:5 offset1:6
	ds_store_2addr_b64 v64, v[28:29], v[34:35] offset0:7 offset1:8
	ds_store_b64 v64, v[26:27] offset:72
	ds_load_b64 v[50:51], v63
	s_wait_dscnt 0x0
	v_cmp_neq_f32_e32 vcc_lo, 0, v50
	v_cmp_neq_f32_e64 s1, 0, v51
	s_or_b32 s1, vcc_lo, s1
	s_delay_alu instid0(SALU_CYCLE_1)
	s_and_b32 exec_lo, exec_lo, s1
	s_cbranch_execz .LBB19_44
; %bb.39:
	v_cmp_ngt_f32_e64 s1, |v50|, |v51|
                                        ; implicit-def: $vgpr52_vgpr53
	s_and_saveexec_b32 s4, s1
	s_delay_alu instid0(SALU_CYCLE_1)
	s_xor_b32 s1, exec_lo, s4
	s_cbranch_execz .LBB19_41
; %bb.40:
	v_div_scale_f32 v52, null, v51, v51, v50
	v_div_scale_f32 v55, vcc_lo, v50, v51, v50
	s_delay_alu instid0(VALU_DEP_2) | instskip(SKIP_1) | instid1(TRANS32_DEP_1)
	v_rcp_f32_e32 v53, v52
	v_nop
	v_fma_f32 v54, -v52, v53, 1.0
	s_delay_alu instid0(VALU_DEP_1) | instskip(NEXT) | instid1(VALU_DEP_1)
	v_fmac_f32_e32 v53, v54, v53
	v_mul_f32_e32 v54, v55, v53
	s_delay_alu instid0(VALU_DEP_1) | instskip(NEXT) | instid1(VALU_DEP_1)
	v_fma_f32 v56, -v52, v54, v55
	v_fmac_f32_e32 v54, v56, v53
	s_delay_alu instid0(VALU_DEP_1) | instskip(NEXT) | instid1(VALU_DEP_1)
	v_fma_f32 v52, -v52, v54, v55
	v_div_fmas_f32 v52, v52, v53, v54
	s_delay_alu instid0(VALU_DEP_1) | instskip(NEXT) | instid1(VALU_DEP_1)
	v_div_fixup_f32 v52, v52, v51, v50
	v_fmac_f32_e32 v51, v50, v52
	s_delay_alu instid0(VALU_DEP_1) | instskip(SKIP_1) | instid1(VALU_DEP_2)
	v_div_scale_f32 v50, null, v51, v51, 1.0
	v_div_scale_f32 v55, vcc_lo, 1.0, v51, 1.0
	v_rcp_f32_e32 v53, v50
	v_nop
	s_delay_alu instid0(TRANS32_DEP_1) | instskip(NEXT) | instid1(VALU_DEP_1)
	v_fma_f32 v54, -v50, v53, 1.0
	v_fmac_f32_e32 v53, v54, v53
	s_delay_alu instid0(VALU_DEP_1) | instskip(NEXT) | instid1(VALU_DEP_1)
	v_mul_f32_e32 v54, v55, v53
	v_fma_f32 v56, -v50, v54, v55
	s_delay_alu instid0(VALU_DEP_1) | instskip(NEXT) | instid1(VALU_DEP_1)
	v_fmac_f32_e32 v54, v56, v53
	v_fma_f32 v50, -v50, v54, v55
	s_delay_alu instid0(VALU_DEP_1) | instskip(NEXT) | instid1(VALU_DEP_1)
	v_div_fmas_f32 v50, v50, v53, v54
	v_div_fixup_f32 v50, v50, v51, 1.0
	s_delay_alu instid0(VALU_DEP_1)
	v_mul_f32_e32 v52, v52, v50
	v_xor_b32_e32 v53, 0x80000000, v50
                                        ; implicit-def: $vgpr50_vgpr51
.LBB19_41:
	s_and_not1_saveexec_b32 s1, s1
	s_cbranch_execz .LBB19_43
; %bb.42:
	v_div_scale_f32 v52, null, v50, v50, v51
	v_div_scale_f32 v55, vcc_lo, v51, v50, v51
	s_delay_alu instid0(VALU_DEP_2) | instskip(SKIP_1) | instid1(TRANS32_DEP_1)
	v_rcp_f32_e32 v53, v52
	v_nop
	v_fma_f32 v54, -v52, v53, 1.0
	s_delay_alu instid0(VALU_DEP_1) | instskip(NEXT) | instid1(VALU_DEP_1)
	v_fmac_f32_e32 v53, v54, v53
	v_mul_f32_e32 v54, v55, v53
	s_delay_alu instid0(VALU_DEP_1) | instskip(NEXT) | instid1(VALU_DEP_1)
	v_fma_f32 v56, -v52, v54, v55
	v_fmac_f32_e32 v54, v56, v53
	s_delay_alu instid0(VALU_DEP_1) | instskip(NEXT) | instid1(VALU_DEP_1)
	v_fma_f32 v52, -v52, v54, v55
	v_div_fmas_f32 v52, v52, v53, v54
	s_delay_alu instid0(VALU_DEP_1) | instskip(NEXT) | instid1(VALU_DEP_1)
	v_div_fixup_f32 v53, v52, v50, v51
	v_fmac_f32_e32 v50, v51, v53
	s_delay_alu instid0(VALU_DEP_1) | instskip(NEXT) | instid1(VALU_DEP_1)
	v_div_scale_f32 v51, null, v50, v50, 1.0
	v_rcp_f32_e32 v52, v51
	v_nop
	s_delay_alu instid0(TRANS32_DEP_1) | instskip(NEXT) | instid1(VALU_DEP_1)
	v_fma_f32 v54, -v51, v52, 1.0
	v_fmac_f32_e32 v52, v54, v52
	v_div_scale_f32 v54, vcc_lo, 1.0, v50, 1.0
	s_delay_alu instid0(VALU_DEP_1) | instskip(NEXT) | instid1(VALU_DEP_1)
	v_mul_f32_e32 v55, v54, v52
	v_fma_f32 v56, -v51, v55, v54
	s_delay_alu instid0(VALU_DEP_1) | instskip(NEXT) | instid1(VALU_DEP_1)
	v_fmac_f32_e32 v55, v56, v52
	v_fma_f32 v51, -v51, v55, v54
	s_delay_alu instid0(VALU_DEP_1) | instskip(NEXT) | instid1(VALU_DEP_1)
	v_div_fmas_f32 v51, v51, v52, v55
	v_div_fixup_f32 v52, v51, v50, 1.0
	s_delay_alu instid0(VALU_DEP_1)
	v_mul_f32_e64 v53, v53, -v52
.LBB19_43:
	s_or_b32 exec_lo, exec_lo, s1
	ds_store_b64 v63, v[52:53]
.LBB19_44:
	s_or_b32 exec_lo, exec_lo, s2
	s_wait_dscnt 0x0
	s_barrier_signal -1
	s_barrier_wait -1
	ds_load_b64 v[50:51], v63
	s_mov_b32 s1, exec_lo
	v_cmpx_lt_u32_e32 4, v62
	s_cbranch_execz .LBB19_46
; %bb.45:
	s_wait_dscnt 0x0
	v_pk_mul_f32 v[52:53], v[50:51], v[22:23] op_sel:[1,1] op_sel_hi:[0,1]
	s_delay_alu instid0(VALU_DEP_1)
	v_pk_fma_f32 v[56:57], v[50:51], v[22:23], v[52:53] op_sel_hi:[1,0,1] neg_lo:[0,0,1] neg_hi:[0,0,1]
	v_pk_fma_f32 v[58:59], v[50:51], v[22:23], v[52:53] op_sel_hi:[1,0,1]
	ds_load_2addr_b64 v[52:55], v64 offset0:5 offset1:6
	v_dual_mov_b32 v22, v56 :: v_dual_mov_b32 v23, v59
	s_wait_dscnt 0x0
	v_pk_mul_f32 v[60:61], v[52:53], v[58:59] op_sel:[0,1]
	s_delay_alu instid0(VALU_DEP_1) | instskip(SKIP_1) | instid1(VALU_DEP_1)
	v_pk_fma_f32 v[66:67], v[52:53], v[56:57], v[60:61] op_sel:[0,0,1] op_sel_hi:[1,1,0] neg_lo:[0,0,1] neg_hi:[0,0,1]
	v_pk_fma_f32 v[52:53], v[52:53], v[56:57], v[60:61] op_sel:[0,0,1] op_sel_hi:[1,0,0]
	v_mov_b32_e32 v67, v53
	v_pk_mul_f32 v[52:53], v[54:55], v[58:59] op_sel:[0,1]
	s_delay_alu instid0(VALU_DEP_1) | instskip(SKIP_1) | instid1(VALU_DEP_1)
	v_pk_fma_f32 v[60:61], v[54:55], v[56:57], v[52:53] op_sel:[0,0,1] op_sel_hi:[1,1,0] neg_lo:[0,0,1] neg_hi:[0,0,1]
	v_pk_fma_f32 v[52:53], v[54:55], v[56:57], v[52:53] op_sel:[0,0,1] op_sel_hi:[1,0,0]
	v_mov_b32_e32 v61, v53
	ds_load_2addr_b64 v[52:55], v64 offset0:7 offset1:8
	v_pk_add_f32 v[20:21], v[20:21], v[66:67] neg_lo:[0,1] neg_hi:[0,1]
	v_pk_add_f32 v[40:41], v[40:41], v[60:61] neg_lo:[0,1] neg_hi:[0,1]
	s_wait_dscnt 0x0
	v_pk_mul_f32 v[60:61], v[52:53], v[58:59] op_sel:[0,1]
	s_delay_alu instid0(VALU_DEP_1) | instskip(SKIP_2) | instid1(VALU_DEP_2)
	v_pk_fma_f32 v[66:67], v[52:53], v[56:57], v[60:61] op_sel:[0,0,1] op_sel_hi:[1,1,0] neg_lo:[0,0,1] neg_hi:[0,0,1]
	v_pk_fma_f32 v[52:53], v[52:53], v[56:57], v[60:61] op_sel:[0,0,1] op_sel_hi:[1,0,0]
	v_dual_mul_f32 v60, v55, v59 :: v_dual_mov_b32 v52, v55
	v_dual_mov_b32 v67, v53 :: v_dual_mov_b32 v53, v54
	s_delay_alu instid0(VALU_DEP_2) | instskip(SKIP_1) | instid1(VALU_DEP_3)
	v_pk_fma_f32 v[60:61], v[54:55], v[22:23], v[60:61] op_sel_hi:[1,1,0] neg_lo:[0,0,1] neg_hi:[0,0,1]
	v_mul_f32_e32 v54, v55, v56
	v_pk_add_f32 v[28:29], v[28:29], v[66:67] neg_lo:[0,1] neg_hi:[0,1]
	s_delay_alu instid0(VALU_DEP_2) | instskip(NEXT) | instid1(VALU_DEP_1)
	v_pk_fma_f32 v[52:53], v[52:53], v[22:23], v[54:55] op_sel_hi:[1,1,0]
	v_mov_b32_e32 v61, v53
	ds_load_b64 v[52:53], v64 offset:72
	v_pk_add_f32 v[34:35], v[34:35], v[60:61] neg_lo:[0,1] neg_hi:[0,1]
	s_wait_dscnt 0x0
	v_pk_mul_f32 v[54:55], v[52:53], v[58:59] op_sel:[0,1]
	s_delay_alu instid0(VALU_DEP_1) | instskip(SKIP_1) | instid1(VALU_DEP_1)
	v_pk_fma_f32 v[58:59], v[52:53], v[56:57], v[54:55] op_sel:[0,0,1] op_sel_hi:[1,1,0] neg_lo:[0,0,1] neg_hi:[0,0,1]
	v_pk_fma_f32 v[52:53], v[52:53], v[56:57], v[54:55] op_sel:[0,0,1] op_sel_hi:[1,0,0]
	v_mov_b32_e32 v59, v53
	s_delay_alu instid0(VALU_DEP_1)
	v_pk_add_f32 v[26:27], v[26:27], v[58:59] neg_lo:[0,1] neg_hi:[0,1]
.LBB19_46:
	s_or_b32 exec_lo, exec_lo, s1
	s_delay_alu instid0(SALU_CYCLE_1)
	s_mov_b32 s2, exec_lo
	s_wait_dscnt 0x0
	s_barrier_signal -1
	s_barrier_wait -1
	v_cmpx_eq_u32_e32 5, v62
	s_cbranch_execz .LBB19_53
; %bb.47:
	v_dual_mov_b32 v52, v40 :: v_dual_mov_b32 v53, v41
	v_dual_mov_b32 v54, v28 :: v_dual_mov_b32 v55, v29
	;; [unrolled: 1-line block ×3, first 2 shown]
	ds_store_b64 v63, v[20:21]
	ds_store_2addr_b64 v64, v[52:53], v[54:55] offset0:6 offset1:7
	ds_store_2addr_b64 v64, v[56:57], v[26:27] offset0:8 offset1:9
	ds_load_b64 v[52:53], v63
	s_wait_dscnt 0x0
	v_cmp_neq_f32_e32 vcc_lo, 0, v52
	v_cmp_neq_f32_e64 s1, 0, v53
	s_or_b32 s1, vcc_lo, s1
	s_delay_alu instid0(SALU_CYCLE_1)
	s_and_b32 exec_lo, exec_lo, s1
	s_cbranch_execz .LBB19_53
; %bb.48:
	v_cmp_ngt_f32_e64 s1, |v52|, |v53|
                                        ; implicit-def: $vgpr54_vgpr55
	s_and_saveexec_b32 s4, s1
	s_delay_alu instid0(SALU_CYCLE_1)
	s_xor_b32 s1, exec_lo, s4
	s_cbranch_execz .LBB19_50
; %bb.49:
	v_div_scale_f32 v54, null, v53, v53, v52
	v_div_scale_f32 v57, vcc_lo, v52, v53, v52
	s_delay_alu instid0(VALU_DEP_2) | instskip(SKIP_1) | instid1(TRANS32_DEP_1)
	v_rcp_f32_e32 v55, v54
	v_nop
	v_fma_f32 v56, -v54, v55, 1.0
	s_delay_alu instid0(VALU_DEP_1) | instskip(NEXT) | instid1(VALU_DEP_1)
	v_fmac_f32_e32 v55, v56, v55
	v_mul_f32_e32 v56, v57, v55
	s_delay_alu instid0(VALU_DEP_1) | instskip(NEXT) | instid1(VALU_DEP_1)
	v_fma_f32 v58, -v54, v56, v57
	v_fmac_f32_e32 v56, v58, v55
	s_delay_alu instid0(VALU_DEP_1) | instskip(NEXT) | instid1(VALU_DEP_1)
	v_fma_f32 v54, -v54, v56, v57
	v_div_fmas_f32 v54, v54, v55, v56
	s_delay_alu instid0(VALU_DEP_1) | instskip(NEXT) | instid1(VALU_DEP_1)
	v_div_fixup_f32 v54, v54, v53, v52
	v_fmac_f32_e32 v53, v52, v54
	s_delay_alu instid0(VALU_DEP_1) | instskip(SKIP_1) | instid1(VALU_DEP_2)
	v_div_scale_f32 v52, null, v53, v53, 1.0
	v_div_scale_f32 v57, vcc_lo, 1.0, v53, 1.0
	v_rcp_f32_e32 v55, v52
	v_nop
	s_delay_alu instid0(TRANS32_DEP_1) | instskip(NEXT) | instid1(VALU_DEP_1)
	v_fma_f32 v56, -v52, v55, 1.0
	v_fmac_f32_e32 v55, v56, v55
	s_delay_alu instid0(VALU_DEP_1) | instskip(NEXT) | instid1(VALU_DEP_1)
	v_mul_f32_e32 v56, v57, v55
	v_fma_f32 v58, -v52, v56, v57
	s_delay_alu instid0(VALU_DEP_1) | instskip(NEXT) | instid1(VALU_DEP_1)
	v_fmac_f32_e32 v56, v58, v55
	v_fma_f32 v52, -v52, v56, v57
	s_delay_alu instid0(VALU_DEP_1) | instskip(NEXT) | instid1(VALU_DEP_1)
	v_div_fmas_f32 v52, v52, v55, v56
	v_div_fixup_f32 v52, v52, v53, 1.0
	s_delay_alu instid0(VALU_DEP_1)
	v_mul_f32_e32 v54, v54, v52
	v_xor_b32_e32 v55, 0x80000000, v52
                                        ; implicit-def: $vgpr52_vgpr53
.LBB19_50:
	s_and_not1_saveexec_b32 s1, s1
	s_cbranch_execz .LBB19_52
; %bb.51:
	v_div_scale_f32 v54, null, v52, v52, v53
	v_div_scale_f32 v57, vcc_lo, v53, v52, v53
	s_delay_alu instid0(VALU_DEP_2) | instskip(SKIP_1) | instid1(TRANS32_DEP_1)
	v_rcp_f32_e32 v55, v54
	v_nop
	v_fma_f32 v56, -v54, v55, 1.0
	s_delay_alu instid0(VALU_DEP_1) | instskip(NEXT) | instid1(VALU_DEP_1)
	v_fmac_f32_e32 v55, v56, v55
	v_mul_f32_e32 v56, v57, v55
	s_delay_alu instid0(VALU_DEP_1) | instskip(NEXT) | instid1(VALU_DEP_1)
	v_fma_f32 v58, -v54, v56, v57
	v_fmac_f32_e32 v56, v58, v55
	s_delay_alu instid0(VALU_DEP_1) | instskip(NEXT) | instid1(VALU_DEP_1)
	v_fma_f32 v54, -v54, v56, v57
	v_div_fmas_f32 v54, v54, v55, v56
	s_delay_alu instid0(VALU_DEP_1) | instskip(NEXT) | instid1(VALU_DEP_1)
	v_div_fixup_f32 v55, v54, v52, v53
	v_fmac_f32_e32 v52, v53, v55
	s_delay_alu instid0(VALU_DEP_1) | instskip(NEXT) | instid1(VALU_DEP_1)
	v_div_scale_f32 v53, null, v52, v52, 1.0
	v_rcp_f32_e32 v54, v53
	v_nop
	s_delay_alu instid0(TRANS32_DEP_1) | instskip(NEXT) | instid1(VALU_DEP_1)
	v_fma_f32 v56, -v53, v54, 1.0
	v_fmac_f32_e32 v54, v56, v54
	v_div_scale_f32 v56, vcc_lo, 1.0, v52, 1.0
	s_delay_alu instid0(VALU_DEP_1) | instskip(NEXT) | instid1(VALU_DEP_1)
	v_mul_f32_e32 v57, v56, v54
	v_fma_f32 v58, -v53, v57, v56
	s_delay_alu instid0(VALU_DEP_1) | instskip(NEXT) | instid1(VALU_DEP_1)
	v_fmac_f32_e32 v57, v58, v54
	v_fma_f32 v53, -v53, v57, v56
	s_delay_alu instid0(VALU_DEP_1) | instskip(NEXT) | instid1(VALU_DEP_1)
	v_div_fmas_f32 v53, v53, v54, v57
	v_div_fixup_f32 v54, v53, v52, 1.0
	s_delay_alu instid0(VALU_DEP_1)
	v_mul_f32_e64 v55, v55, -v54
.LBB19_52:
	s_or_b32 exec_lo, exec_lo, s1
	ds_store_b64 v63, v[54:55]
.LBB19_53:
	s_or_b32 exec_lo, exec_lo, s2
	s_wait_dscnt 0x0
	s_barrier_signal -1
	s_barrier_wait -1
	ds_load_b64 v[52:53], v63
	s_mov_b32 s1, exec_lo
	v_cmpx_lt_u32_e32 5, v62
	s_cbranch_execz .LBB19_55
; %bb.54:
	ds_load_2addr_b64 v[54:57], v64 offset0:6 offset1:7
	ds_load_2addr_b64 v[58:61], v64 offset0:8 offset1:9
	s_wait_dscnt 0x2
	v_pk_mul_f32 v[66:67], v[52:53], v[20:21] op_sel:[1,1] op_sel_hi:[0,1]
	s_delay_alu instid0(VALU_DEP_1) | instskip(SKIP_1) | instid1(VALU_DEP_1)
	v_pk_fma_f32 v[68:69], v[52:53], v[20:21], v[66:67] op_sel_hi:[1,0,1] neg_lo:[0,0,1] neg_hi:[0,0,1]
	v_pk_fma_f32 v[66:67], v[52:53], v[20:21], v[66:67] op_sel_hi:[1,0,1]
	v_dual_mov_b32 v20, v68 :: v_dual_mov_b32 v21, v67
	s_wait_dscnt 0x1
	s_delay_alu instid0(VALU_DEP_2)
	v_pk_mul_f32 v[70:71], v[54:55], v[66:67] op_sel:[0,1]
	s_wait_dscnt 0x0
	v_mov_b32_e32 v72, v61
	v_pk_mul_f32 v[74:75], v[56:57], v[66:67] op_sel:[0,1]
	v_pk_mul_f32 v[76:77], v[58:59], v[66:67] op_sel:[0,1]
	v_pk_fma_f32 v[78:79], v[54:55], v[68:69], v[70:71] op_sel:[0,0,1] op_sel_hi:[1,1,0] neg_lo:[0,0,1] neg_hi:[0,0,1]
	v_pk_fma_f32 v[54:55], v[54:55], v[68:69], v[70:71] op_sel:[0,0,1] op_sel_hi:[1,0,0]
	s_delay_alu instid0(VALU_DEP_1) | instskip(NEXT) | instid1(VALU_DEP_1)
	v_dual_mov_b32 v73, v60 :: v_dual_mov_b32 v79, v55
	v_pk_mul_f32 v[70:71], v[72:73], v[66:67] op_sel:[0,1]
	v_pk_fma_f32 v[72:73], v[56:57], v[68:69], v[74:75] op_sel:[0,0,1] op_sel_hi:[1,0,0]
	v_pk_fma_f32 v[56:57], v[56:57], v[68:69], v[74:75] op_sel:[0,0,1] op_sel_hi:[1,1,0] neg_lo:[0,0,1] neg_hi:[0,0,1]
	v_pk_fma_f32 v[74:75], v[58:59], v[68:69], v[76:77] op_sel:[0,0,1] op_sel_hi:[1,0,0]
	v_pk_fma_f32 v[58:59], v[58:59], v[68:69], v[76:77] op_sel:[0,0,1] op_sel_hi:[1,1,0] neg_lo:[0,0,1] neg_hi:[0,0,1]
	v_pk_fma_f32 v[54:55], v[60:61], v[68:69], v[70:71] op_sel_hi:[1,0,1]
	v_pk_fma_f32 v[60:61], v[60:61], v[68:69], v[70:71] neg_lo:[0,0,1] neg_hi:[0,0,1]
	s_delay_alu instid0(VALU_DEP_4) | instskip(SKIP_1) | instid1(VALU_DEP_4)
	v_dual_mov_b32 v57, v73 :: v_dual_mov_b32 v59, v75
	v_pk_add_f32 v[40:41], v[40:41], v[78:79] neg_lo:[0,1] neg_hi:[0,1]
	v_mov_b32_e32 v61, v55
	s_delay_alu instid0(VALU_DEP_3) | instskip(NEXT) | instid1(VALU_DEP_4)
	v_pk_add_f32 v[28:29], v[28:29], v[56:57] neg_lo:[0,1] neg_hi:[0,1]
	v_pk_add_f32 v[34:35], v[34:35], v[58:59] neg_lo:[0,1] neg_hi:[0,1]
	s_delay_alu instid0(VALU_DEP_3)
	v_pk_add_f32 v[26:27], v[26:27], v[60:61] neg_lo:[0,1] neg_hi:[0,1]
.LBB19_55:
	s_or_b32 exec_lo, exec_lo, s1
	s_delay_alu instid0(SALU_CYCLE_1)
	s_mov_b32 s2, exec_lo
	s_wait_dscnt 0x0
	s_barrier_signal -1
	s_barrier_wait -1
	v_cmpx_eq_u32_e32 6, v62
	s_cbranch_execz .LBB19_62
; %bb.56:
	ds_store_b64 v63, v[40:41]
	ds_store_2addr_b64 v64, v[28:29], v[34:35] offset0:7 offset1:8
	ds_store_b64 v64, v[26:27] offset:72
	ds_load_b64 v[54:55], v63
	s_wait_dscnt 0x0
	v_cmp_neq_f32_e32 vcc_lo, 0, v54
	v_cmp_neq_f32_e64 s1, 0, v55
	s_or_b32 s1, vcc_lo, s1
	s_delay_alu instid0(SALU_CYCLE_1)
	s_and_b32 exec_lo, exec_lo, s1
	s_cbranch_execz .LBB19_62
; %bb.57:
	v_cmp_ngt_f32_e64 s1, |v54|, |v55|
                                        ; implicit-def: $vgpr56_vgpr57
	s_and_saveexec_b32 s4, s1
	s_delay_alu instid0(SALU_CYCLE_1)
	s_xor_b32 s1, exec_lo, s4
	s_cbranch_execz .LBB19_59
; %bb.58:
	v_div_scale_f32 v56, null, v55, v55, v54
	v_div_scale_f32 v59, vcc_lo, v54, v55, v54
	s_delay_alu instid0(VALU_DEP_2) | instskip(SKIP_1) | instid1(TRANS32_DEP_1)
	v_rcp_f32_e32 v57, v56
	v_nop
	v_fma_f32 v58, -v56, v57, 1.0
	s_delay_alu instid0(VALU_DEP_1) | instskip(NEXT) | instid1(VALU_DEP_1)
	v_fmac_f32_e32 v57, v58, v57
	v_mul_f32_e32 v58, v59, v57
	s_delay_alu instid0(VALU_DEP_1) | instskip(NEXT) | instid1(VALU_DEP_1)
	v_fma_f32 v60, -v56, v58, v59
	v_fmac_f32_e32 v58, v60, v57
	s_delay_alu instid0(VALU_DEP_1) | instskip(NEXT) | instid1(VALU_DEP_1)
	v_fma_f32 v56, -v56, v58, v59
	v_div_fmas_f32 v56, v56, v57, v58
	s_delay_alu instid0(VALU_DEP_1) | instskip(NEXT) | instid1(VALU_DEP_1)
	v_div_fixup_f32 v56, v56, v55, v54
	v_fmac_f32_e32 v55, v54, v56
	s_delay_alu instid0(VALU_DEP_1) | instskip(SKIP_1) | instid1(VALU_DEP_2)
	v_div_scale_f32 v54, null, v55, v55, 1.0
	v_div_scale_f32 v59, vcc_lo, 1.0, v55, 1.0
	v_rcp_f32_e32 v57, v54
	v_nop
	s_delay_alu instid0(TRANS32_DEP_1) | instskip(NEXT) | instid1(VALU_DEP_1)
	v_fma_f32 v58, -v54, v57, 1.0
	v_fmac_f32_e32 v57, v58, v57
	s_delay_alu instid0(VALU_DEP_1) | instskip(NEXT) | instid1(VALU_DEP_1)
	v_mul_f32_e32 v58, v59, v57
	v_fma_f32 v60, -v54, v58, v59
	s_delay_alu instid0(VALU_DEP_1) | instskip(NEXT) | instid1(VALU_DEP_1)
	v_fmac_f32_e32 v58, v60, v57
	v_fma_f32 v54, -v54, v58, v59
	s_delay_alu instid0(VALU_DEP_1) | instskip(NEXT) | instid1(VALU_DEP_1)
	v_div_fmas_f32 v54, v54, v57, v58
	v_div_fixup_f32 v54, v54, v55, 1.0
	s_delay_alu instid0(VALU_DEP_1)
	v_mul_f32_e32 v56, v56, v54
	v_xor_b32_e32 v57, 0x80000000, v54
                                        ; implicit-def: $vgpr54_vgpr55
.LBB19_59:
	s_and_not1_saveexec_b32 s1, s1
	s_cbranch_execz .LBB19_61
; %bb.60:
	v_div_scale_f32 v56, null, v54, v54, v55
	v_div_scale_f32 v59, vcc_lo, v55, v54, v55
	s_delay_alu instid0(VALU_DEP_2) | instskip(SKIP_1) | instid1(TRANS32_DEP_1)
	v_rcp_f32_e32 v57, v56
	v_nop
	v_fma_f32 v58, -v56, v57, 1.0
	s_delay_alu instid0(VALU_DEP_1) | instskip(NEXT) | instid1(VALU_DEP_1)
	v_fmac_f32_e32 v57, v58, v57
	v_mul_f32_e32 v58, v59, v57
	s_delay_alu instid0(VALU_DEP_1) | instskip(NEXT) | instid1(VALU_DEP_1)
	v_fma_f32 v60, -v56, v58, v59
	v_fmac_f32_e32 v58, v60, v57
	s_delay_alu instid0(VALU_DEP_1) | instskip(NEXT) | instid1(VALU_DEP_1)
	v_fma_f32 v56, -v56, v58, v59
	v_div_fmas_f32 v56, v56, v57, v58
	s_delay_alu instid0(VALU_DEP_1) | instskip(NEXT) | instid1(VALU_DEP_1)
	v_div_fixup_f32 v57, v56, v54, v55
	v_fmac_f32_e32 v54, v55, v57
	s_delay_alu instid0(VALU_DEP_1) | instskip(NEXT) | instid1(VALU_DEP_1)
	v_div_scale_f32 v55, null, v54, v54, 1.0
	v_rcp_f32_e32 v56, v55
	v_nop
	s_delay_alu instid0(TRANS32_DEP_1) | instskip(NEXT) | instid1(VALU_DEP_1)
	v_fma_f32 v58, -v55, v56, 1.0
	v_fmac_f32_e32 v56, v58, v56
	v_div_scale_f32 v58, vcc_lo, 1.0, v54, 1.0
	s_delay_alu instid0(VALU_DEP_1) | instskip(NEXT) | instid1(VALU_DEP_1)
	v_mul_f32_e32 v59, v58, v56
	v_fma_f32 v60, -v55, v59, v58
	s_delay_alu instid0(VALU_DEP_1) | instskip(NEXT) | instid1(VALU_DEP_1)
	v_fmac_f32_e32 v59, v60, v56
	v_fma_f32 v55, -v55, v59, v58
	s_delay_alu instid0(VALU_DEP_1) | instskip(NEXT) | instid1(VALU_DEP_1)
	v_div_fmas_f32 v55, v55, v56, v59
	v_div_fixup_f32 v56, v55, v54, 1.0
	s_delay_alu instid0(VALU_DEP_1)
	v_mul_f32_e64 v57, v57, -v56
.LBB19_61:
	s_or_b32 exec_lo, exec_lo, s1
	ds_store_b64 v63, v[56:57]
.LBB19_62:
	s_or_b32 exec_lo, exec_lo, s2
	s_wait_dscnt 0x0
	s_barrier_signal -1
	s_barrier_wait -1
	ds_load_b64 v[54:55], v63
	s_mov_b32 s1, exec_lo
	v_cmpx_lt_u32_e32 6, v62
	s_cbranch_execz .LBB19_64
; %bb.63:
	ds_load_2addr_b64 v[56:59], v64 offset0:7 offset1:8
	ds_load_b64 v[60:61], v64 offset:72
	s_wait_dscnt 0x2
	v_pk_mul_f32 v[66:67], v[54:55], v[40:41] op_sel:[1,1] op_sel_hi:[0,1]
	s_delay_alu instid0(VALU_DEP_1) | instskip(SKIP_2) | instid1(VALU_DEP_2)
	v_pk_fma_f32 v[68:69], v[54:55], v[40:41], v[66:67] op_sel_hi:[1,0,1]
	v_pk_fma_f32 v[40:41], v[54:55], v[40:41], v[66:67] op_sel_hi:[1,0,1] neg_lo:[0,0,1] neg_hi:[0,0,1]
	s_wait_dscnt 0x1
	v_pk_mul_f32 v[66:67], v[56:57], v[68:69] op_sel:[0,1]
	v_pk_mul_f32 v[70:71], v[58:59], v[68:69] op_sel:[0,1]
	s_wait_dscnt 0x0
	v_pk_mul_f32 v[72:73], v[60:61], v[68:69] op_sel:[1,1] op_sel_hi:[0,1]
	s_delay_alu instid0(VALU_DEP_3) | instskip(SKIP_2) | instid1(VALU_DEP_4)
	v_pk_fma_f32 v[74:75], v[56:57], v[40:41], v[66:67] op_sel:[0,0,1] op_sel_hi:[1,1,0] neg_lo:[0,0,1] neg_hi:[0,0,1]
	v_pk_fma_f32 v[56:57], v[56:57], v[40:41], v[66:67] op_sel:[0,0,1] op_sel_hi:[1,0,0]
	v_pk_fma_f32 v[66:67], v[58:59], v[40:41], v[70:71] op_sel:[0,0,1] op_sel_hi:[1,0,0]
	v_pk_fma_f32 v[76:77], v[60:61], v[40:41], v[72:73] op_sel_hi:[1,0,1]
	v_pk_fma_f32 v[58:59], v[58:59], v[40:41], v[70:71] op_sel:[0,0,1] op_sel_hi:[1,1,0] neg_lo:[0,0,1] neg_hi:[0,0,1]
	v_pk_fma_f32 v[60:61], v[60:61], v[40:41], v[72:73] neg_lo:[0,0,1] neg_hi:[0,0,1]
	s_delay_alu instid0(VALU_DEP_4) | instskip(NEXT) | instid1(VALU_DEP_4)
	v_dual_mov_b32 v75, v57 :: v_dual_mov_b32 v59, v67
	v_dual_mov_b32 v61, v77 :: v_dual_mov_b32 v41, v69
	s_delay_alu instid0(VALU_DEP_2) | instskip(NEXT) | instid1(VALU_DEP_3)
	v_pk_add_f32 v[28:29], v[28:29], v[74:75] neg_lo:[0,1] neg_hi:[0,1]
	v_pk_add_f32 v[34:35], v[34:35], v[58:59] neg_lo:[0,1] neg_hi:[0,1]
	s_delay_alu instid0(VALU_DEP_3)
	v_pk_add_f32 v[26:27], v[26:27], v[60:61] neg_lo:[0,1] neg_hi:[0,1]
.LBB19_64:
	s_or_b32 exec_lo, exec_lo, s1
	s_delay_alu instid0(SALU_CYCLE_1)
	s_mov_b32 s2, exec_lo
	s_wait_dscnt 0x0
	s_barrier_signal -1
	s_barrier_wait -1
	v_cmpx_eq_u32_e32 7, v62
	s_cbranch_execz .LBB19_71
; %bb.65:
	v_dual_mov_b32 v56, v34 :: v_dual_mov_b32 v57, v35
	ds_store_b64 v63, v[28:29]
	ds_store_2addr_b64 v64, v[56:57], v[26:27] offset0:8 offset1:9
	ds_load_b64 v[56:57], v63
	s_wait_dscnt 0x0
	v_cmp_neq_f32_e32 vcc_lo, 0, v56
	v_cmp_neq_f32_e64 s1, 0, v57
	s_or_b32 s1, vcc_lo, s1
	s_delay_alu instid0(SALU_CYCLE_1)
	s_and_b32 exec_lo, exec_lo, s1
	s_cbranch_execz .LBB19_71
; %bb.66:
	v_cmp_ngt_f32_e64 s1, |v56|, |v57|
                                        ; implicit-def: $vgpr58_vgpr59
	s_and_saveexec_b32 s4, s1
	s_delay_alu instid0(SALU_CYCLE_1)
	s_xor_b32 s1, exec_lo, s4
	s_cbranch_execz .LBB19_68
; %bb.67:
	v_div_scale_f32 v58, null, v57, v57, v56
	v_div_scale_f32 v61, vcc_lo, v56, v57, v56
	s_delay_alu instid0(VALU_DEP_2) | instskip(SKIP_1) | instid1(TRANS32_DEP_1)
	v_rcp_f32_e32 v59, v58
	v_nop
	v_fma_f32 v60, -v58, v59, 1.0
	s_delay_alu instid0(VALU_DEP_1) | instskip(NEXT) | instid1(VALU_DEP_1)
	v_fmac_f32_e32 v59, v60, v59
	v_mul_f32_e32 v60, v61, v59
	s_delay_alu instid0(VALU_DEP_1) | instskip(NEXT) | instid1(VALU_DEP_1)
	v_fma_f32 v65, -v58, v60, v61
	v_fmac_f32_e32 v60, v65, v59
	s_delay_alu instid0(VALU_DEP_1) | instskip(NEXT) | instid1(VALU_DEP_1)
	v_fma_f32 v58, -v58, v60, v61
	v_div_fmas_f32 v58, v58, v59, v60
	s_delay_alu instid0(VALU_DEP_1) | instskip(NEXT) | instid1(VALU_DEP_1)
	v_div_fixup_f32 v58, v58, v57, v56
	v_fmac_f32_e32 v57, v56, v58
	s_delay_alu instid0(VALU_DEP_1) | instskip(SKIP_1) | instid1(VALU_DEP_2)
	v_div_scale_f32 v56, null, v57, v57, 1.0
	v_div_scale_f32 v61, vcc_lo, 1.0, v57, 1.0
	v_rcp_f32_e32 v59, v56
	v_nop
	s_delay_alu instid0(TRANS32_DEP_1) | instskip(NEXT) | instid1(VALU_DEP_1)
	v_fma_f32 v60, -v56, v59, 1.0
	v_fmac_f32_e32 v59, v60, v59
	s_delay_alu instid0(VALU_DEP_1) | instskip(NEXT) | instid1(VALU_DEP_1)
	v_mul_f32_e32 v60, v61, v59
	v_fma_f32 v65, -v56, v60, v61
	s_delay_alu instid0(VALU_DEP_1) | instskip(NEXT) | instid1(VALU_DEP_1)
	v_fmac_f32_e32 v60, v65, v59
	v_fma_f32 v56, -v56, v60, v61
	s_delay_alu instid0(VALU_DEP_1) | instskip(NEXT) | instid1(VALU_DEP_1)
	v_div_fmas_f32 v56, v56, v59, v60
	v_div_fixup_f32 v56, v56, v57, 1.0
	s_delay_alu instid0(VALU_DEP_1)
	v_mul_f32_e32 v58, v58, v56
	v_xor_b32_e32 v59, 0x80000000, v56
                                        ; implicit-def: $vgpr56_vgpr57
.LBB19_68:
	s_and_not1_saveexec_b32 s1, s1
	s_cbranch_execz .LBB19_70
; %bb.69:
	v_div_scale_f32 v58, null, v56, v56, v57
	v_div_scale_f32 v61, vcc_lo, v57, v56, v57
	s_delay_alu instid0(VALU_DEP_2) | instskip(SKIP_1) | instid1(TRANS32_DEP_1)
	v_rcp_f32_e32 v59, v58
	v_nop
	v_fma_f32 v60, -v58, v59, 1.0
	s_delay_alu instid0(VALU_DEP_1) | instskip(NEXT) | instid1(VALU_DEP_1)
	v_fmac_f32_e32 v59, v60, v59
	v_mul_f32_e32 v60, v61, v59
	s_delay_alu instid0(VALU_DEP_1) | instskip(NEXT) | instid1(VALU_DEP_1)
	v_fma_f32 v65, -v58, v60, v61
	v_fmac_f32_e32 v60, v65, v59
	s_delay_alu instid0(VALU_DEP_1) | instskip(NEXT) | instid1(VALU_DEP_1)
	v_fma_f32 v58, -v58, v60, v61
	v_div_fmas_f32 v58, v58, v59, v60
	s_delay_alu instid0(VALU_DEP_1) | instskip(NEXT) | instid1(VALU_DEP_1)
	v_div_fixup_f32 v59, v58, v56, v57
	v_fmac_f32_e32 v56, v57, v59
	s_delay_alu instid0(VALU_DEP_1) | instskip(NEXT) | instid1(VALU_DEP_1)
	v_div_scale_f32 v57, null, v56, v56, 1.0
	v_rcp_f32_e32 v58, v57
	v_nop
	s_delay_alu instid0(TRANS32_DEP_1) | instskip(NEXT) | instid1(VALU_DEP_1)
	v_fma_f32 v60, -v57, v58, 1.0
	v_fmac_f32_e32 v58, v60, v58
	v_div_scale_f32 v60, vcc_lo, 1.0, v56, 1.0
	s_delay_alu instid0(VALU_DEP_1) | instskip(NEXT) | instid1(VALU_DEP_1)
	v_mul_f32_e32 v61, v60, v58
	v_fma_f32 v65, -v57, v61, v60
	s_delay_alu instid0(VALU_DEP_1) | instskip(NEXT) | instid1(VALU_DEP_1)
	v_fmac_f32_e32 v61, v65, v58
	v_fma_f32 v57, -v57, v61, v60
	s_delay_alu instid0(VALU_DEP_1) | instskip(NEXT) | instid1(VALU_DEP_1)
	v_div_fmas_f32 v57, v57, v58, v61
	v_div_fixup_f32 v58, v57, v56, 1.0
	s_delay_alu instid0(VALU_DEP_1)
	v_mul_f32_e64 v59, v59, -v58
.LBB19_70:
	s_or_b32 exec_lo, exec_lo, s1
	ds_store_b64 v63, v[58:59]
.LBB19_71:
	s_or_b32 exec_lo, exec_lo, s2
	s_wait_dscnt 0x0
	s_barrier_signal -1
	s_barrier_wait -1
	ds_load_b64 v[56:57], v63
	s_mov_b32 s1, exec_lo
	v_cmpx_lt_u32_e32 7, v62
	s_cbranch_execz .LBB19_73
; %bb.72:
	ds_load_2addr_b64 v[58:61], v64 offset0:8 offset1:9
	s_wait_dscnt 0x1
	v_pk_mul_f32 v[66:67], v[56:57], v[28:29] op_sel:[1,1] op_sel_hi:[0,1]
	s_delay_alu instid0(VALU_DEP_1) | instskip(SKIP_3) | instid1(VALU_DEP_3)
	v_pk_fma_f32 v[68:69], v[56:57], v[28:29], v[66:67] op_sel_hi:[1,0,1]
	v_pk_fma_f32 v[28:29], v[56:57], v[28:29], v[66:67] op_sel_hi:[1,0,1] neg_lo:[0,0,1] neg_hi:[0,0,1]
	s_wait_dscnt 0x0
	v_dual_mov_b32 v70, v61 :: v_dual_mov_b32 v71, v60
	v_pk_mul_f32 v[66:67], v[58:59], v[68:69] op_sel:[0,1]
	s_delay_alu instid0(VALU_DEP_2) | instskip(NEXT) | instid1(VALU_DEP_2)
	v_pk_mul_f32 v[70:71], v[70:71], v[68:69] op_sel:[0,1]
	v_pk_fma_f32 v[72:73], v[58:59], v[28:29], v[66:67] op_sel:[0,0,1] op_sel_hi:[1,0,0]
	v_pk_fma_f32 v[58:59], v[58:59], v[28:29], v[66:67] op_sel:[0,0,1] op_sel_hi:[1,1,0] neg_lo:[0,0,1] neg_hi:[0,0,1]
	s_delay_alu instid0(VALU_DEP_3) | instskip(SKIP_1) | instid1(VALU_DEP_4)
	v_pk_fma_f32 v[74:75], v[60:61], v[28:29], v[70:71] op_sel_hi:[1,0,1]
	v_pk_fma_f32 v[60:61], v[60:61], v[28:29], v[70:71] neg_lo:[0,0,1] neg_hi:[0,0,1]
	v_dual_mov_b32 v59, v73 :: v_dual_mov_b32 v29, v69
	s_delay_alu instid0(VALU_DEP_3) | instskip(NEXT) | instid1(VALU_DEP_2)
	v_mov_b32_e32 v61, v75
	v_pk_add_f32 v[34:35], v[34:35], v[58:59] neg_lo:[0,1] neg_hi:[0,1]
	s_delay_alu instid0(VALU_DEP_2)
	v_pk_add_f32 v[26:27], v[26:27], v[60:61] neg_lo:[0,1] neg_hi:[0,1]
.LBB19_73:
	s_or_b32 exec_lo, exec_lo, s1
	s_delay_alu instid0(SALU_CYCLE_1)
	s_mov_b32 s2, exec_lo
	s_wait_dscnt 0x0
	s_barrier_signal -1
	s_barrier_wait -1
	v_cmpx_eq_u32_e32 8, v62
	s_cbranch_execz .LBB19_80
; %bb.74:
	ds_store_b64 v63, v[34:35]
	ds_store_b64 v64, v[26:27] offset:72
	ds_load_b64 v[58:59], v63
	s_wait_dscnt 0x0
	v_cmp_neq_f32_e32 vcc_lo, 0, v58
	v_cmp_neq_f32_e64 s1, 0, v59
	s_or_b32 s1, vcc_lo, s1
	s_delay_alu instid0(SALU_CYCLE_1)
	s_and_b32 exec_lo, exec_lo, s1
	s_cbranch_execz .LBB19_80
; %bb.75:
	v_cmp_ngt_f32_e64 s1, |v58|, |v59|
                                        ; implicit-def: $vgpr60_vgpr61
	s_and_saveexec_b32 s4, s1
	s_delay_alu instid0(SALU_CYCLE_1)
	s_xor_b32 s1, exec_lo, s4
	s_cbranch_execz .LBB19_77
; %bb.76:
	v_div_scale_f32 v60, null, v59, v59, v58
	v_div_scale_f32 v66, vcc_lo, v58, v59, v58
	s_delay_alu instid0(VALU_DEP_2) | instskip(SKIP_1) | instid1(TRANS32_DEP_1)
	v_rcp_f32_e32 v61, v60
	v_nop
	v_fma_f32 v65, -v60, v61, 1.0
	s_delay_alu instid0(VALU_DEP_1) | instskip(NEXT) | instid1(VALU_DEP_1)
	v_fmac_f32_e32 v61, v65, v61
	v_mul_f32_e32 v65, v66, v61
	s_delay_alu instid0(VALU_DEP_1) | instskip(NEXT) | instid1(VALU_DEP_1)
	v_fma_f32 v67, -v60, v65, v66
	v_fmac_f32_e32 v65, v67, v61
	s_delay_alu instid0(VALU_DEP_1) | instskip(NEXT) | instid1(VALU_DEP_1)
	v_fma_f32 v60, -v60, v65, v66
	v_div_fmas_f32 v60, v60, v61, v65
	s_delay_alu instid0(VALU_DEP_1) | instskip(NEXT) | instid1(VALU_DEP_1)
	v_div_fixup_f32 v60, v60, v59, v58
	v_fmac_f32_e32 v59, v58, v60
	s_delay_alu instid0(VALU_DEP_1) | instskip(SKIP_1) | instid1(VALU_DEP_2)
	v_div_scale_f32 v58, null, v59, v59, 1.0
	v_div_scale_f32 v66, vcc_lo, 1.0, v59, 1.0
	v_rcp_f32_e32 v61, v58
	v_nop
	s_delay_alu instid0(TRANS32_DEP_1) | instskip(NEXT) | instid1(VALU_DEP_1)
	v_fma_f32 v65, -v58, v61, 1.0
	v_fmac_f32_e32 v61, v65, v61
	s_delay_alu instid0(VALU_DEP_1) | instskip(NEXT) | instid1(VALU_DEP_1)
	v_mul_f32_e32 v65, v66, v61
	v_fma_f32 v67, -v58, v65, v66
	s_delay_alu instid0(VALU_DEP_1) | instskip(NEXT) | instid1(VALU_DEP_1)
	v_fmac_f32_e32 v65, v67, v61
	v_fma_f32 v58, -v58, v65, v66
	s_delay_alu instid0(VALU_DEP_1) | instskip(NEXT) | instid1(VALU_DEP_1)
	v_div_fmas_f32 v58, v58, v61, v65
	v_div_fixup_f32 v58, v58, v59, 1.0
	s_delay_alu instid0(VALU_DEP_1)
	v_mul_f32_e32 v60, v60, v58
	v_xor_b32_e32 v61, 0x80000000, v58
                                        ; implicit-def: $vgpr58_vgpr59
.LBB19_77:
	s_and_not1_saveexec_b32 s1, s1
	s_cbranch_execz .LBB19_79
; %bb.78:
	v_div_scale_f32 v60, null, v58, v58, v59
	v_div_scale_f32 v66, vcc_lo, v59, v58, v59
	s_delay_alu instid0(VALU_DEP_2) | instskip(SKIP_1) | instid1(TRANS32_DEP_1)
	v_rcp_f32_e32 v61, v60
	v_nop
	v_fma_f32 v65, -v60, v61, 1.0
	s_delay_alu instid0(VALU_DEP_1) | instskip(NEXT) | instid1(VALU_DEP_1)
	v_fmac_f32_e32 v61, v65, v61
	v_mul_f32_e32 v65, v66, v61
	s_delay_alu instid0(VALU_DEP_1) | instskip(NEXT) | instid1(VALU_DEP_1)
	v_fma_f32 v67, -v60, v65, v66
	v_fmac_f32_e32 v65, v67, v61
	s_delay_alu instid0(VALU_DEP_1) | instskip(NEXT) | instid1(VALU_DEP_1)
	v_fma_f32 v60, -v60, v65, v66
	v_div_fmas_f32 v60, v60, v61, v65
	s_delay_alu instid0(VALU_DEP_1) | instskip(NEXT) | instid1(VALU_DEP_1)
	v_div_fixup_f32 v61, v60, v58, v59
	v_fmac_f32_e32 v58, v59, v61
	s_delay_alu instid0(VALU_DEP_1) | instskip(NEXT) | instid1(VALU_DEP_1)
	v_div_scale_f32 v59, null, v58, v58, 1.0
	v_rcp_f32_e32 v60, v59
	v_nop
	s_delay_alu instid0(TRANS32_DEP_1) | instskip(NEXT) | instid1(VALU_DEP_1)
	v_fma_f32 v65, -v59, v60, 1.0
	v_fmac_f32_e32 v60, v65, v60
	v_div_scale_f32 v65, vcc_lo, 1.0, v58, 1.0
	s_delay_alu instid0(VALU_DEP_1) | instskip(NEXT) | instid1(VALU_DEP_1)
	v_mul_f32_e32 v66, v65, v60
	v_fma_f32 v67, -v59, v66, v65
	s_delay_alu instid0(VALU_DEP_1) | instskip(NEXT) | instid1(VALU_DEP_1)
	v_fmac_f32_e32 v66, v67, v60
	v_fma_f32 v59, -v59, v66, v65
	s_delay_alu instid0(VALU_DEP_1) | instskip(NEXT) | instid1(VALU_DEP_1)
	v_div_fmas_f32 v59, v59, v60, v66
	v_div_fixup_f32 v60, v59, v58, 1.0
	s_delay_alu instid0(VALU_DEP_1)
	v_mul_f32_e64 v61, v61, -v60
.LBB19_79:
	s_or_b32 exec_lo, exec_lo, s1
	ds_store_b64 v63, v[60:61]
.LBB19_80:
	s_or_b32 exec_lo, exec_lo, s2
	s_wait_dscnt 0x0
	s_barrier_signal -1
	s_barrier_wait -1
	ds_load_b64 v[58:59], v63
	s_mov_b32 s1, exec_lo
	v_cmpx_lt_u32_e32 8, v62
	s_cbranch_execz .LBB19_82
; %bb.81:
	ds_load_b64 v[60:61], v64 offset:72
	s_wait_dscnt 0x1
	v_pk_mul_f32 v[64:65], v[58:59], v[34:35] op_sel:[1,1] op_sel_hi:[0,1]
	s_delay_alu instid0(VALU_DEP_1) | instskip(SKIP_2) | instid1(VALU_DEP_2)
	v_pk_fma_f32 v[66:67], v[58:59], v[34:35], v[64:65] op_sel_hi:[1,0,1]
	v_pk_fma_f32 v[34:35], v[58:59], v[34:35], v[64:65] op_sel_hi:[1,0,1] neg_lo:[0,0,1] neg_hi:[0,0,1]
	s_wait_dscnt 0x0
	v_pk_mul_f32 v[64:65], v[60:61], v[66:67] op_sel:[1,1] op_sel_hi:[0,1]
	s_delay_alu instid0(VALU_DEP_1) | instskip(SKIP_1) | instid1(VALU_DEP_2)
	v_pk_fma_f32 v[68:69], v[60:61], v[34:35], v[64:65] op_sel_hi:[1,0,1]
	v_pk_fma_f32 v[60:61], v[60:61], v[34:35], v[64:65] neg_lo:[0,0,1] neg_hi:[0,0,1]
	v_dual_mov_b32 v35, v67 :: v_dual_mov_b32 v61, v69
	s_delay_alu instid0(VALU_DEP_1)
	v_pk_add_f32 v[26:27], v[26:27], v[60:61] neg_lo:[0,1] neg_hi:[0,1]
.LBB19_82:
	s_or_b32 exec_lo, exec_lo, s1
	s_delay_alu instid0(SALU_CYCLE_1)
	s_mov_b32 s2, exec_lo
	s_wait_dscnt 0x0
	s_barrier_signal -1
	s_barrier_wait -1
	v_cmpx_eq_u32_e32 9, v62
	s_cbranch_execz .LBB19_89
; %bb.83:
	v_cmp_neq_f32_e32 vcc_lo, 0, v26
	v_cmp_neq_f32_e64 s1, 0, v27
	ds_store_b64 v63, v[26:27]
	s_or_b32 s1, vcc_lo, s1
	s_delay_alu instid0(SALU_CYCLE_1)
	s_and_b32 exec_lo, exec_lo, s1
	s_cbranch_execz .LBB19_89
; %bb.84:
	v_cmp_ngt_f32_e64 s1, |v26|, |v27|
                                        ; implicit-def: $vgpr60_vgpr61
	s_and_saveexec_b32 s4, s1
	s_delay_alu instid0(SALU_CYCLE_1)
	s_xor_b32 s1, exec_lo, s4
	s_cbranch_execz .LBB19_86
; %bb.85:
	v_div_scale_f32 v60, null, v27, v27, v26
	v_div_scale_f32 v65, vcc_lo, v26, v27, v26
	s_delay_alu instid0(VALU_DEP_2) | instskip(SKIP_1) | instid1(TRANS32_DEP_1)
	v_rcp_f32_e32 v61, v60
	v_nop
	v_fma_f32 v64, -v60, v61, 1.0
	s_delay_alu instid0(VALU_DEP_1) | instskip(NEXT) | instid1(VALU_DEP_1)
	v_fmac_f32_e32 v61, v64, v61
	v_mul_f32_e32 v64, v65, v61
	s_delay_alu instid0(VALU_DEP_1) | instskip(NEXT) | instid1(VALU_DEP_1)
	v_fma_f32 v66, -v60, v64, v65
	v_fmac_f32_e32 v64, v66, v61
	s_delay_alu instid0(VALU_DEP_1) | instskip(NEXT) | instid1(VALU_DEP_1)
	v_fma_f32 v60, -v60, v64, v65
	v_div_fmas_f32 v60, v60, v61, v64
	s_delay_alu instid0(VALU_DEP_1) | instskip(NEXT) | instid1(VALU_DEP_1)
	v_div_fixup_f32 v60, v60, v27, v26
	v_fma_f32 v61, v26, v60, v27
	s_delay_alu instid0(VALU_DEP_1) | instskip(SKIP_1) | instid1(VALU_DEP_2)
	v_div_scale_f32 v64, null, v61, v61, 1.0
	v_div_scale_f32 v67, vcc_lo, 1.0, v61, 1.0
	v_rcp_f32_e32 v65, v64
	v_nop
	s_delay_alu instid0(TRANS32_DEP_1) | instskip(NEXT) | instid1(VALU_DEP_1)
	v_fma_f32 v66, -v64, v65, 1.0
	v_fmac_f32_e32 v65, v66, v65
	s_delay_alu instid0(VALU_DEP_1) | instskip(NEXT) | instid1(VALU_DEP_1)
	v_mul_f32_e32 v66, v67, v65
	v_fma_f32 v68, -v64, v66, v67
	s_delay_alu instid0(VALU_DEP_1) | instskip(NEXT) | instid1(VALU_DEP_1)
	v_fmac_f32_e32 v66, v68, v65
	v_fma_f32 v64, -v64, v66, v67
	s_delay_alu instid0(VALU_DEP_1) | instskip(NEXT) | instid1(VALU_DEP_1)
	v_div_fmas_f32 v64, v64, v65, v66
	v_div_fixup_f32 v61, v64, v61, 1.0
	s_delay_alu instid0(VALU_DEP_1)
	v_mul_f32_e32 v60, v60, v61
	v_xor_b32_e32 v61, 0x80000000, v61
.LBB19_86:
	s_and_not1_saveexec_b32 s1, s1
	s_cbranch_execz .LBB19_88
; %bb.87:
	v_div_scale_f32 v60, null, v26, v26, v27
	v_div_scale_f32 v65, vcc_lo, v27, v26, v27
	s_delay_alu instid0(VALU_DEP_2) | instskip(SKIP_1) | instid1(TRANS32_DEP_1)
	v_rcp_f32_e32 v61, v60
	v_nop
	v_fma_f32 v64, -v60, v61, 1.0
	s_delay_alu instid0(VALU_DEP_1) | instskip(NEXT) | instid1(VALU_DEP_1)
	v_fmac_f32_e32 v61, v64, v61
	v_mul_f32_e32 v64, v65, v61
	s_delay_alu instid0(VALU_DEP_1) | instskip(NEXT) | instid1(VALU_DEP_1)
	v_fma_f32 v66, -v60, v64, v65
	v_fmac_f32_e32 v64, v66, v61
	s_delay_alu instid0(VALU_DEP_1) | instskip(NEXT) | instid1(VALU_DEP_1)
	v_fma_f32 v60, -v60, v64, v65
	v_div_fmas_f32 v60, v60, v61, v64
	s_delay_alu instid0(VALU_DEP_1) | instskip(NEXT) | instid1(VALU_DEP_1)
	v_div_fixup_f32 v61, v60, v26, v27
	v_fma_f32 v60, v27, v61, v26
	s_delay_alu instid0(VALU_DEP_1) | instskip(NEXT) | instid1(VALU_DEP_1)
	v_div_scale_f32 v64, null, v60, v60, 1.0
	v_rcp_f32_e32 v65, v64
	v_nop
	s_delay_alu instid0(TRANS32_DEP_1) | instskip(NEXT) | instid1(VALU_DEP_1)
	v_fma_f32 v66, -v64, v65, 1.0
	v_fmac_f32_e32 v65, v66, v65
	v_div_scale_f32 v66, vcc_lo, 1.0, v60, 1.0
	s_delay_alu instid0(VALU_DEP_1) | instskip(NEXT) | instid1(VALU_DEP_1)
	v_mul_f32_e32 v67, v66, v65
	v_fma_f32 v68, -v64, v67, v66
	s_delay_alu instid0(VALU_DEP_1) | instskip(NEXT) | instid1(VALU_DEP_1)
	v_fmac_f32_e32 v67, v68, v65
	v_fma_f32 v64, -v64, v67, v66
	s_delay_alu instid0(VALU_DEP_1) | instskip(NEXT) | instid1(VALU_DEP_1)
	v_div_fmas_f32 v64, v64, v65, v67
	v_div_fixup_f32 v60, v64, v60, 1.0
	s_delay_alu instid0(VALU_DEP_1)
	v_mul_f32_e64 v61, v61, -v60
.LBB19_88:
	s_or_b32 exec_lo, exec_lo, s1
	ds_store_b64 v63, v[60:61]
.LBB19_89:
	s_or_b32 exec_lo, exec_lo, s2
	s_wait_dscnt 0x0
	s_barrier_signal -1
	s_barrier_wait -1
	ds_load_b64 v[60:61], v63
	s_wait_dscnt 0x0
	s_barrier_signal -1
	s_barrier_wait -1
	s_and_saveexec_b32 s4, s0
	s_cbranch_execz .LBB19_92
; %bb.90:
	v_lshl_add_u64 v[2:3], v[2:3], 2, s[6:7]
	v_cmp_eq_f32_e32 vcc_lo, 0, v42
	v_cmp_eq_f32_e64 s0, 0, v43
	v_cmp_neq_f32_e64 s1, 0, v44
	v_cmp_neq_f32_e64 s2, 0, v45
	global_load_b32 v63, v[2:3], off
	s_and_b32 s0, vcc_lo, s0
	s_delay_alu instid0(SALU_CYCLE_1) | instskip(SKIP_1) | instid1(SALU_CYCLE_1)
	v_cndmask_b32_e64 v42, 0, 1, s0
	s_or_b32 s1, s1, s2
	s_or_b32 vcc_lo, s1, s0
	v_cmp_eq_f32_e64 s0, 0, v47
	s_delay_alu instid0(VALU_DEP_2) | instskip(SKIP_1) | instid1(VALU_DEP_2)
	v_cndmask_b32_e32 v42, 2, v42, vcc_lo
	v_cmp_eq_f32_e32 vcc_lo, 0, v46
	v_cmp_eq_u32_e64 s1, 0, v42
	s_and_b32 s0, vcc_lo, s0
	v_cmp_eq_f32_e32 vcc_lo, 0, v48
	s_and_b32 s0, s0, s1
	s_delay_alu instid0(SALU_CYCLE_1) | instskip(SKIP_1) | instid1(VALU_DEP_2)
	v_cndmask_b32_e64 v42, v42, 3, s0
	v_cmp_eq_f32_e64 s0, 0, v49
	v_cmp_eq_u32_e64 s1, 0, v42
	s_and_b32 s0, vcc_lo, s0
	v_cmp_eq_f32_e32 vcc_lo, 0, v50
	s_and_b32 s0, s0, s1
	s_delay_alu instid0(SALU_CYCLE_1) | instskip(SKIP_1) | instid1(VALU_DEP_2)
	v_cndmask_b32_e64 v42, v42, 4, s0
	v_cmp_eq_f32_e64 s0, 0, v51
	;; [unrolled: 7-line block ×7, first 2 shown]
	v_cmp_eq_u32_e64 s1, 0, v42
	s_and_b32 s0, vcc_lo, s0
	s_delay_alu instid0(SALU_CYCLE_1) | instskip(NEXT) | instid1(SALU_CYCLE_1)
	s_and_b32 s0, s0, s1
	v_cndmask_b32_e64 v42, v42, 10, s0
	s_delay_alu instid0(VALU_DEP_1) | instskip(SKIP_3) | instid1(SALU_CYCLE_1)
	v_cmp_ne_u32_e64 s0, 0, v42
	s_wait_loadcnt 0x0
	v_cmp_eq_u32_e32 vcc_lo, 0, v63
	s_and_b32 s0, vcc_lo, s0
	s_and_b32 exec_lo, exec_lo, s0
	s_cbranch_execz .LBB19_92
; %bb.91:
	v_add_nc_u32_e32 v42, s3, v42
	global_store_b32 v[2:3], v42, off
.LBB19_92:
	s_wait_xcnt 0x0
	s_or_b32 exec_lo, exec_lo, s4
	v_pk_mul_f32 v[2:3], v[60:61], v[26:27] op_sel:[1,1] op_sel_hi:[0,1]
	global_store_b64 v[18:19], v[38:39], off
	v_cmp_lt_u32_e32 vcc_lo, 9, v62
	s_clause 0x2
	global_store_b64 v[24:25], v[32:33], off
	global_store_b64 v[14:15], v[36:37], off
	;; [unrolled: 1-line block ×3, first 2 shown]
	s_wait_xcnt 0x3
	v_pk_fma_f32 v[18:19], v[60:61], v[26:27], v[2:3] op_sel_hi:[1,0,1]
	v_pk_fma_f32 v[2:3], v[60:61], v[26:27], v[2:3] neg_lo:[0,0,1] neg_hi:[0,0,1]
	s_delay_alu instid0(VALU_DEP_1)
	v_dual_cndmask_b32 v3, v27, v19 :: v_dual_cndmask_b32 v2, v26, v2
	s_clause 0x5
	global_store_b64 v[0:1], v[22:23], off
	global_store_b64 v[4:5], v[20:21], off
	global_store_b64 v[6:7], v[40:41], off
	global_store_b64 v[8:9], v[28:29], off
	global_store_b64 v[10:11], v[34:35], off
	global_store_b64 v[12:13], v[2:3], off
.LBB19_93:
	s_sendmsg sendmsg(MSG_DEALLOC_VGPRS)
	s_endpgm
	.section	.rodata,"a",@progbits
	.p2align	6, 0x0
	.amdhsa_kernel _ZN9rocsolver6v33100L23getf2_npvt_small_kernelILi10E19rocblas_complex_numIfEiiPS3_EEvT1_T3_lS5_lPT2_S5_S5_
		.amdhsa_group_segment_fixed_size 0
		.amdhsa_private_segment_fixed_size 0
		.amdhsa_kernarg_size 312
		.amdhsa_user_sgpr_count 2
		.amdhsa_user_sgpr_dispatch_ptr 0
		.amdhsa_user_sgpr_queue_ptr 0
		.amdhsa_user_sgpr_kernarg_segment_ptr 1
		.amdhsa_user_sgpr_dispatch_id 0
		.amdhsa_user_sgpr_kernarg_preload_length 0
		.amdhsa_user_sgpr_kernarg_preload_offset 0
		.amdhsa_user_sgpr_private_segment_size 0
		.amdhsa_wavefront_size32 1
		.amdhsa_uses_dynamic_stack 0
		.amdhsa_enable_private_segment 0
		.amdhsa_system_sgpr_workgroup_id_x 1
		.amdhsa_system_sgpr_workgroup_id_y 1
		.amdhsa_system_sgpr_workgroup_id_z 0
		.amdhsa_system_sgpr_workgroup_info 0
		.amdhsa_system_vgpr_workitem_id 1
		.amdhsa_next_free_vgpr 80
		.amdhsa_next_free_sgpr 16
		.amdhsa_named_barrier_count 0
		.amdhsa_reserve_vcc 1
		.amdhsa_float_round_mode_32 0
		.amdhsa_float_round_mode_16_64 0
		.amdhsa_float_denorm_mode_32 3
		.amdhsa_float_denorm_mode_16_64 3
		.amdhsa_fp16_overflow 0
		.amdhsa_memory_ordered 1
		.amdhsa_forward_progress 1
		.amdhsa_inst_pref_size 78
		.amdhsa_round_robin_scheduling 0
		.amdhsa_exception_fp_ieee_invalid_op 0
		.amdhsa_exception_fp_denorm_src 0
		.amdhsa_exception_fp_ieee_div_zero 0
		.amdhsa_exception_fp_ieee_overflow 0
		.amdhsa_exception_fp_ieee_underflow 0
		.amdhsa_exception_fp_ieee_inexact 0
		.amdhsa_exception_int_div_zero 0
	.end_amdhsa_kernel
	.section	.text._ZN9rocsolver6v33100L23getf2_npvt_small_kernelILi10E19rocblas_complex_numIfEiiPS3_EEvT1_T3_lS5_lPT2_S5_S5_,"axG",@progbits,_ZN9rocsolver6v33100L23getf2_npvt_small_kernelILi10E19rocblas_complex_numIfEiiPS3_EEvT1_T3_lS5_lPT2_S5_S5_,comdat
.Lfunc_end19:
	.size	_ZN9rocsolver6v33100L23getf2_npvt_small_kernelILi10E19rocblas_complex_numIfEiiPS3_EEvT1_T3_lS5_lPT2_S5_S5_, .Lfunc_end19-_ZN9rocsolver6v33100L23getf2_npvt_small_kernelILi10E19rocblas_complex_numIfEiiPS3_EEvT1_T3_lS5_lPT2_S5_S5_
                                        ; -- End function
	.set _ZN9rocsolver6v33100L23getf2_npvt_small_kernelILi10E19rocblas_complex_numIfEiiPS3_EEvT1_T3_lS5_lPT2_S5_S5_.num_vgpr, 80
	.set _ZN9rocsolver6v33100L23getf2_npvt_small_kernelILi10E19rocblas_complex_numIfEiiPS3_EEvT1_T3_lS5_lPT2_S5_S5_.num_agpr, 0
	.set _ZN9rocsolver6v33100L23getf2_npvt_small_kernelILi10E19rocblas_complex_numIfEiiPS3_EEvT1_T3_lS5_lPT2_S5_S5_.numbered_sgpr, 16
	.set _ZN9rocsolver6v33100L23getf2_npvt_small_kernelILi10E19rocblas_complex_numIfEiiPS3_EEvT1_T3_lS5_lPT2_S5_S5_.num_named_barrier, 0
	.set _ZN9rocsolver6v33100L23getf2_npvt_small_kernelILi10E19rocblas_complex_numIfEiiPS3_EEvT1_T3_lS5_lPT2_S5_S5_.private_seg_size, 0
	.set _ZN9rocsolver6v33100L23getf2_npvt_small_kernelILi10E19rocblas_complex_numIfEiiPS3_EEvT1_T3_lS5_lPT2_S5_S5_.uses_vcc, 1
	.set _ZN9rocsolver6v33100L23getf2_npvt_small_kernelILi10E19rocblas_complex_numIfEiiPS3_EEvT1_T3_lS5_lPT2_S5_S5_.uses_flat_scratch, 0
	.set _ZN9rocsolver6v33100L23getf2_npvt_small_kernelILi10E19rocblas_complex_numIfEiiPS3_EEvT1_T3_lS5_lPT2_S5_S5_.has_dyn_sized_stack, 0
	.set _ZN9rocsolver6v33100L23getf2_npvt_small_kernelILi10E19rocblas_complex_numIfEiiPS3_EEvT1_T3_lS5_lPT2_S5_S5_.has_recursion, 0
	.set _ZN9rocsolver6v33100L23getf2_npvt_small_kernelILi10E19rocblas_complex_numIfEiiPS3_EEvT1_T3_lS5_lPT2_S5_S5_.has_indirect_call, 0
	.section	.AMDGPU.csdata,"",@progbits
; Kernel info:
; codeLenInByte = 9944
; TotalNumSgprs: 18
; NumVgprs: 80
; ScratchSize: 0
; MemoryBound: 0
; FloatMode: 240
; IeeeMode: 1
; LDSByteSize: 0 bytes/workgroup (compile time only)
; SGPRBlocks: 0
; VGPRBlocks: 4
; NumSGPRsForWavesPerEU: 18
; NumVGPRsForWavesPerEU: 80
; NamedBarCnt: 0
; Occupancy: 12
; WaveLimiterHint : 0
; COMPUTE_PGM_RSRC2:SCRATCH_EN: 0
; COMPUTE_PGM_RSRC2:USER_SGPR: 2
; COMPUTE_PGM_RSRC2:TRAP_HANDLER: 0
; COMPUTE_PGM_RSRC2:TGID_X_EN: 1
; COMPUTE_PGM_RSRC2:TGID_Y_EN: 1
; COMPUTE_PGM_RSRC2:TGID_Z_EN: 0
; COMPUTE_PGM_RSRC2:TIDIG_COMP_CNT: 1
	.section	.text._ZN9rocsolver6v33100L18getf2_small_kernelILi11E19rocblas_complex_numIfEiiPS3_EEvT1_T3_lS5_lPS5_llPT2_S5_S5_S7_l,"axG",@progbits,_ZN9rocsolver6v33100L18getf2_small_kernelILi11E19rocblas_complex_numIfEiiPS3_EEvT1_T3_lS5_lPS5_llPT2_S5_S5_S7_l,comdat
	.globl	_ZN9rocsolver6v33100L18getf2_small_kernelILi11E19rocblas_complex_numIfEiiPS3_EEvT1_T3_lS5_lPS5_llPT2_S5_S5_S7_l ; -- Begin function _ZN9rocsolver6v33100L18getf2_small_kernelILi11E19rocblas_complex_numIfEiiPS3_EEvT1_T3_lS5_lPS5_llPT2_S5_S5_S7_l
	.p2align	8
	.type	_ZN9rocsolver6v33100L18getf2_small_kernelILi11E19rocblas_complex_numIfEiiPS3_EEvT1_T3_lS5_lPS5_llPT2_S5_S5_S7_l,@function
_ZN9rocsolver6v33100L18getf2_small_kernelILi11E19rocblas_complex_numIfEiiPS3_EEvT1_T3_lS5_lPS5_llPT2_S5_S5_S7_l: ; @_ZN9rocsolver6v33100L18getf2_small_kernelILi11E19rocblas_complex_numIfEiiPS3_EEvT1_T3_lS5_lPS5_llPT2_S5_S5_S7_l
; %bb.0:
	s_clause 0x1
	s_load_u16 s2, s[0:1], 0x6e
	s_load_b64 s[12:13], s[0:1], 0x48
	s_bfe_u32 s3, ttmp6, 0x40010
	s_bfe_u32 s4, ttmp6, 0x40004
	s_add_co_i32 s3, s3, 1
	s_getreg_b32 s5, hwreg(HW_REG_IB_STS2, 6, 4)
	s_mul_i32 s3, ttmp7, s3
	v_bfe_u32 v30, v0, 10, 10
	s_add_co_i32 s4, s4, s3
	s_cmp_eq_u32 s5, 0
	s_cselect_b32 s3, ttmp7, s4
	s_wait_kmcnt 0x0
	v_mad_u32 v2, s3, s2, v30
	s_mov_b32 s2, exec_lo
	s_delay_alu instid0(VALU_DEP_1)
	v_cmpx_gt_i32_e64 s12, v2
	s_cbranch_execz .LBB20_232
; %bb.1:
	s_load_b128 s[4:7], s[0:1], 0x50
	v_mov_b64_e32 v[24:25], 0
	v_ashrrev_i32_e32 v3, 31, v2
	s_wait_kmcnt 0x0
	s_cmp_eq_u64 s[4:5], 0
	s_cselect_b32 s12, -1, 0
	s_delay_alu instid0(SALU_CYCLE_1)
	s_and_b32 vcc_lo, exec_lo, s12
	s_cbranch_vccnz .LBB20_3
; %bb.2:
	v_mul_u64_e32 v[4:5], s[6:7], v[2:3]
	s_delay_alu instid0(VALU_DEP_1)
	v_lshl_add_u64 v[24:25], v[4:5], 2, s[4:5]
.LBB20_3:
	s_clause 0x1
	s_load_b256 s[4:11], s[0:1], 0x20
	s_load_b32 s2, s[0:1], 0x18
	v_and_b32_e32 v34, 0x3ff, v0
	s_clause 0x1
	s_load_b128 s[16:19], s[0:1], 0x8
	s_load_b32 s14, s[0:1], 0x0
	s_delay_alu instid0(VALU_DEP_1)
	v_dual_mov_b32 v29, 0 :: v_dual_lshlrev_b32 v28, 3, v34
	s_wait_kmcnt 0x0
	v_mul_u64_e32 v[4:5], s[4:5], v[2:3]
	v_add3_u32 v6, s2, s2, v34
	s_ashr_i32 s3, s2, 31
	s_max_i32 s4, s14, 11
	s_cmp_lt_i32 s14, 2
	s_delay_alu instid0(VALU_DEP_1) | instskip(NEXT) | instid1(VALU_DEP_1)
	v_dual_add_nc_u32 v8, s2, v6 :: v_dual_ashrrev_i32 v7, 31, v6
	v_dual_add_nc_u32 v10, s2, v8 :: v_dual_ashrrev_i32 v9, 31, v8
	s_delay_alu instid0(VALU_DEP_1) | instskip(NEXT) | instid1(VALU_DEP_1)
	v_add_nc_u32_e32 v12, s2, v10
	v_dual_add_nc_u32 v14, s2, v12 :: v_dual_ashrrev_i32 v13, 31, v12
	s_delay_alu instid0(VALU_DEP_1) | instskip(NEXT) | instid1(VALU_DEP_1)
	v_add_nc_u32_e32 v18, s2, v14
	v_add_nc_u32_e32 v32, s2, v18
	v_lshl_add_u64 v[0:1], v[4:5], 3, s[16:17]
	s_delay_alu instid0(VALU_DEP_2) | instskip(NEXT) | instid1(VALU_DEP_2)
	v_dual_ashrrev_i32 v15, 31, v14 :: v_dual_ashrrev_i32 v33, 31, v32
	v_lshl_add_u64 v[0:1], s[18:19], 3, v[0:1]
	s_delay_alu instid0(VALU_DEP_1)
	v_add_nc_u64_e32 v[16:17], v[0:1], v[28:29]
	v_lshl_add_u64 v[26:27], v[6:7], 3, v[0:1]
	v_lshl_add_u64 v[8:9], v[8:9], 3, v[0:1]
	;; [unrolled: 1-line block ×5, first 2 shown]
	s_clause 0x3
	global_load_b64 v[6:7], v[26:27], off
	global_load_b64 v[4:5], v[8:9], off
	;; [unrolled: 1-line block ×4, first 2 shown]
	s_wait_xcnt 0x2
	v_dual_add_nc_u32 v8, s2, v32 :: v_dual_ashrrev_i32 v11, 31, v10
	v_ashrrev_i32_e32 v19, 31, v18
	v_lshl_add_u64 v[32:33], v[32:33], 3, v[0:1]
	s_wait_xcnt 0x1
	s_delay_alu instid0(VALU_DEP_3) | instskip(SKIP_3) | instid1(VALU_DEP_3)
	v_dual_add_nc_u32 v16, s2, v8 :: v_dual_ashrrev_i32 v9, 31, v8
	s_wait_xcnt 0x0
	v_lshl_add_u64 v[36:37], v[10:11], 3, v[0:1]
	v_lshl_add_u64 v[42:43], v[18:19], 3, v[0:1]
	v_ashrrev_i32_e32 v17, 31, v16
	v_lshl_add_u64 v[44:45], v[8:9], 3, v[0:1]
	s_delay_alu instid0(VALU_DEP_2)
	v_lshl_add_u64 v[46:47], v[16:17], 3, v[0:1]
	s_clause 0x6
	global_load_b64 v[18:19], v[36:37], off
	global_load_b64 v[16:17], v[38:39], off
	;; [unrolled: 1-line block ×7, first 2 shown]
	s_wait_xcnt 0x2
	v_mul_lo_u32 v33, s4, v30
	s_load_b64 s[4:5], s[0:1], 0x40
	s_delay_alu instid0(VALU_DEP_1) | instskip(NEXT) | instid1(VALU_DEP_1)
	v_lshl_add_u32 v32, v33, 3, 0
	v_dual_lshlrev_b32 v33, 3, v33 :: v_dual_add_nc_u32 v28, v32, v28
	s_wait_loadcnt 0x8
	ds_store_b64 v28, v[20:21]
	s_wait_loadcnt_dscnt 0x0
	s_barrier_signal -1
	s_barrier_wait -1
	ds_load_b64 v[30:31], v32
	s_cbranch_scc1 .LBB20_6
; %bb.4:
	v_add3_u32 v28, v33, 0, 8
	v_mov_b32_e32 v29, 0
	s_wait_xcnt 0x0
	s_mov_b32 s0, 1
.LBB20_5:                               ; =>This Inner Loop Header: Depth=1
	ds_load_b64 v[36:37], v28
	s_wait_dscnt 0x1
	v_cmp_gt_f32_e32 vcc_lo, 0, v30
	v_cndmask_b32_e64 v38, v30, -v30, vcc_lo
	v_cmp_gt_f32_e32 vcc_lo, 0, v31
	v_cndmask_b32_e64 v40, v31, -v31, vcc_lo
	s_wait_dscnt 0x0
	v_cmp_gt_f32_e32 vcc_lo, 0, v36
	v_cndmask_b32_e64 v39, v36, -v36, vcc_lo
	v_cmp_gt_f32_e32 vcc_lo, 0, v37
	v_cndmask_b32_e64 v41, v37, -v37, vcc_lo
	s_delay_alu instid0(VALU_DEP_1) | instskip(NEXT) | instid1(VALU_DEP_1)
	v_pk_add_f32 v[38:39], v[38:39], v[40:41]
	v_cmp_lt_f32_e32 vcc_lo, v38, v39
	v_dual_cndmask_b32 v31, v31, v37 :: v_dual_add_nc_u32 v28, 8, v28
	v_cndmask_b32_e32 v30, v30, v36, vcc_lo
	v_cndmask_b32_e64 v29, v29, s0, vcc_lo
	s_add_co_i32 s0, s0, 1
	s_delay_alu instid0(SALU_CYCLE_1)
	s_cmp_eq_u32 s14, s0
	s_cbranch_scc0 .LBB20_5
.LBB20_6:
	s_wait_dscnt 0x0
	v_cmp_neq_f32_e32 vcc_lo, 0, v30
	s_wait_xcnt 0x0
	v_cmp_neq_f32_e64 s0, 0, v31
	v_dual_mov_b32 v35, 1 :: v_dual_mov_b32 v37, 1
	s_or_b32 s1, vcc_lo, s0
	s_delay_alu instid0(SALU_CYCLE_1)
	s_and_saveexec_b32 s0, s1
	s_cbranch_execz .LBB20_12
; %bb.7:
	v_cmp_ngt_f32_e64 s1, |v30|, |v31|
	s_and_saveexec_b32 s15, s1
	s_delay_alu instid0(SALU_CYCLE_1)
	s_xor_b32 s1, exec_lo, s15
	s_cbranch_execz .LBB20_9
; %bb.8:
	v_div_scale_f32 v28, null, v31, v31, v30
	v_div_scale_f32 v37, vcc_lo, v30, v31, v30
	s_delay_alu instid0(VALU_DEP_2) | instskip(SKIP_1) | instid1(TRANS32_DEP_1)
	v_rcp_f32_e32 v35, v28
	v_nop
	v_fma_f32 v36, -v28, v35, 1.0
	s_delay_alu instid0(VALU_DEP_1) | instskip(NEXT) | instid1(VALU_DEP_1)
	v_fmac_f32_e32 v35, v36, v35
	v_mul_f32_e32 v36, v37, v35
	s_delay_alu instid0(VALU_DEP_1) | instskip(NEXT) | instid1(VALU_DEP_1)
	v_fma_f32 v38, -v28, v36, v37
	v_fmac_f32_e32 v36, v38, v35
	s_delay_alu instid0(VALU_DEP_1) | instskip(NEXT) | instid1(VALU_DEP_1)
	v_fma_f32 v28, -v28, v36, v37
	v_div_fmas_f32 v28, v28, v35, v36
	s_delay_alu instid0(VALU_DEP_1) | instskip(NEXT) | instid1(VALU_DEP_1)
	v_div_fixup_f32 v28, v28, v31, v30
	v_fmac_f32_e32 v31, v30, v28
	s_delay_alu instid0(VALU_DEP_1) | instskip(SKIP_1) | instid1(VALU_DEP_2)
	v_div_scale_f32 v30, null, v31, v31, 1.0
	v_div_scale_f32 v37, vcc_lo, 1.0, v31, 1.0
	v_rcp_f32_e32 v35, v30
	v_nop
	s_delay_alu instid0(TRANS32_DEP_1) | instskip(NEXT) | instid1(VALU_DEP_1)
	v_fma_f32 v36, -v30, v35, 1.0
	v_fmac_f32_e32 v35, v36, v35
	s_delay_alu instid0(VALU_DEP_1) | instskip(NEXT) | instid1(VALU_DEP_1)
	v_mul_f32_e32 v36, v37, v35
	v_fma_f32 v38, -v30, v36, v37
	s_delay_alu instid0(VALU_DEP_1) | instskip(NEXT) | instid1(VALU_DEP_1)
	v_fmac_f32_e32 v36, v38, v35
	v_fma_f32 v30, -v30, v36, v37
	s_delay_alu instid0(VALU_DEP_1) | instskip(NEXT) | instid1(VALU_DEP_1)
	v_div_fmas_f32 v30, v30, v35, v36
	v_div_fixup_f32 v31, v30, v31, 1.0
	s_delay_alu instid0(VALU_DEP_1)
	v_mul_f32_e32 v30, v28, v31
	v_xor_b32_e32 v31, 0x80000000, v31
.LBB20_9:
	s_and_not1_saveexec_b32 s1, s1
	s_cbranch_execz .LBB20_11
; %bb.10:
	s_delay_alu instid0(VALU_DEP_1) | instskip(SKIP_1) | instid1(VALU_DEP_2)
	v_div_scale_f32 v28, null, v30, v30, v31
	v_div_scale_f32 v37, vcc_lo, v31, v30, v31
	v_rcp_f32_e32 v35, v28
	v_nop
	s_delay_alu instid0(TRANS32_DEP_1) | instskip(NEXT) | instid1(VALU_DEP_1)
	v_fma_f32 v36, -v28, v35, 1.0
	v_fmac_f32_e32 v35, v36, v35
	s_delay_alu instid0(VALU_DEP_1) | instskip(NEXT) | instid1(VALU_DEP_1)
	v_mul_f32_e32 v36, v37, v35
	v_fma_f32 v38, -v28, v36, v37
	s_delay_alu instid0(VALU_DEP_1) | instskip(NEXT) | instid1(VALU_DEP_1)
	v_fmac_f32_e32 v36, v38, v35
	v_fma_f32 v28, -v28, v36, v37
	s_delay_alu instid0(VALU_DEP_1) | instskip(NEXT) | instid1(VALU_DEP_1)
	v_div_fmas_f32 v28, v28, v35, v36
	v_div_fixup_f32 v28, v28, v30, v31
	s_delay_alu instid0(VALU_DEP_1) | instskip(NEXT) | instid1(VALU_DEP_1)
	v_fmac_f32_e32 v30, v31, v28
	v_div_scale_f32 v31, null, v30, v30, 1.0
	s_delay_alu instid0(VALU_DEP_1) | instskip(SKIP_1) | instid1(TRANS32_DEP_1)
	v_rcp_f32_e32 v35, v31
	v_nop
	v_fma_f32 v36, -v31, v35, 1.0
	s_delay_alu instid0(VALU_DEP_1) | instskip(SKIP_1) | instid1(VALU_DEP_1)
	v_fmac_f32_e32 v35, v36, v35
	v_div_scale_f32 v36, vcc_lo, 1.0, v30, 1.0
	v_mul_f32_e32 v37, v36, v35
	s_delay_alu instid0(VALU_DEP_1) | instskip(NEXT) | instid1(VALU_DEP_1)
	v_fma_f32 v38, -v31, v37, v36
	v_fmac_f32_e32 v37, v38, v35
	s_delay_alu instid0(VALU_DEP_1) | instskip(NEXT) | instid1(VALU_DEP_1)
	v_fma_f32 v31, -v31, v37, v36
	v_div_fmas_f32 v31, v31, v35, v37
	s_delay_alu instid0(VALU_DEP_1) | instskip(NEXT) | instid1(VALU_DEP_1)
	v_div_fixup_f32 v30, v31, v30, 1.0
	v_mul_f32_e64 v31, v28, -v30
.LBB20_11:
	s_or_b32 exec_lo, exec_lo, s1
	v_dual_mov_b32 v37, 0 :: v_dual_mov_b32 v35, 2
.LBB20_12:
	s_or_b32 exec_lo, exec_lo, s0
	s_delay_alu instid0(SALU_CYCLE_1)
	s_mov_b32 s0, exec_lo
	v_cmpx_ne_u32_e64 v34, v29
	s_xor_b32 s0, exec_lo, s0
	s_cbranch_execz .LBB20_18
; %bb.13:
	s_mov_b32 s1, exec_lo
	v_cmpx_eq_u32_e32 0, v34
	s_cbranch_execz .LBB20_17
; %bb.14:
	v_cmp_ne_u32_e32 vcc_lo, 0, v29
	s_xor_b32 s15, s12, -1
	s_delay_alu instid0(SALU_CYCLE_1) | instskip(NEXT) | instid1(SALU_CYCLE_1)
	s_and_b32 s16, s15, vcc_lo
	s_and_saveexec_b32 s15, s16
	s_cbranch_execz .LBB20_16
; %bb.15:
	v_dual_mov_b32 v38, v29 :: v_dual_ashrrev_i32 v39, 31, v29
	s_delay_alu instid0(VALU_DEP_1)
	v_lshl_add_u64 v[38:39], v[38:39], 2, v[24:25]
	s_clause 0x1
	global_load_b32 v28, v[38:39], off
	global_load_b32 v34, v[24:25], off
	s_wait_loadcnt 0x1
	global_store_b32 v[24:25], v28, off
	s_wait_loadcnt 0x0
	global_store_b32 v[38:39], v34, off
.LBB20_16:
	s_wait_xcnt 0x0
	s_or_b32 exec_lo, exec_lo, s15
	v_mov_b32_e32 v34, v29
.LBB20_17:
	s_or_b32 exec_lo, exec_lo, s1
.LBB20_18:
	s_or_saveexec_b32 s0, s0
	s_delay_alu instid0(VALU_DEP_1)
	v_mov_b32_e32 v36, v34
	s_xor_b32 exec_lo, exec_lo, s0
	s_cbranch_execz .LBB20_20
; %bb.19:
	v_mov_b32_e32 v36, 0
	ds_store_2addr_b64 v32, v[22:23], v[6:7] offset0:1 offset1:2
	ds_store_2addr_b64 v32, v[4:5], v[18:19] offset0:3 offset1:4
	;; [unrolled: 1-line block ×5, first 2 shown]
.LBB20_20:
	s_or_b32 exec_lo, exec_lo, s0
	s_delay_alu instid0(SALU_CYCLE_1)
	s_mov_b32 s0, exec_lo
	s_wait_storecnt_dscnt 0x0
	s_barrier_signal -1
	s_barrier_wait -1
	v_cmpx_lt_i32_e32 0, v36
	s_cbranch_execz .LBB20_22
; %bb.21:
	v_pk_mul_f32 v[28:29], v[30:31], v[20:21] op_sel:[1,1] op_sel_hi:[0,1]
	s_delay_alu instid0(VALU_DEP_1)
	v_pk_fma_f32 v[38:39], v[30:31], v[20:21], v[28:29] op_sel_hi:[1,0,1] neg_lo:[0,0,1] neg_hi:[0,0,1]
	v_pk_fma_f32 v[40:41], v[30:31], v[20:21], v[28:29] op_sel_hi:[1,0,1]
	ds_load_2addr_b64 v[28:31], v32 offset0:1 offset1:2
	v_dual_mov_b32 v20, v38 :: v_dual_mov_b32 v21, v41
	s_wait_dscnt 0x0
	v_pk_mul_f32 v[42:43], v[28:29], v[40:41] op_sel:[0,1]
	s_delay_alu instid0(VALU_DEP_1) | instskip(SKIP_1) | instid1(VALU_DEP_1)
	v_pk_fma_f32 v[44:45], v[28:29], v[38:39], v[42:43] op_sel:[0,0,1] op_sel_hi:[1,1,0] neg_lo:[0,0,1] neg_hi:[0,0,1]
	v_pk_fma_f32 v[28:29], v[28:29], v[38:39], v[42:43] op_sel:[0,0,1] op_sel_hi:[1,0,0]
	v_mov_b32_e32 v45, v29
	v_pk_mul_f32 v[28:29], v[30:31], v[40:41] op_sel:[0,1]
	s_delay_alu instid0(VALU_DEP_1) | instskip(SKIP_1) | instid1(VALU_DEP_1)
	v_pk_fma_f32 v[42:43], v[30:31], v[38:39], v[28:29] op_sel:[0,0,1] op_sel_hi:[1,1,0] neg_lo:[0,0,1] neg_hi:[0,0,1]
	v_pk_fma_f32 v[28:29], v[30:31], v[38:39], v[28:29] op_sel:[0,0,1] op_sel_hi:[1,0,0]
	v_mov_b32_e32 v43, v29
	ds_load_2addr_b64 v[28:31], v32 offset0:3 offset1:4
	v_pk_add_f32 v[22:23], v[22:23], v[44:45] neg_lo:[0,1] neg_hi:[0,1]
	v_pk_add_f32 v[6:7], v[6:7], v[42:43] neg_lo:[0,1] neg_hi:[0,1]
	s_wait_dscnt 0x0
	v_pk_mul_f32 v[42:43], v[28:29], v[40:41] op_sel:[0,1]
	s_delay_alu instid0(VALU_DEP_1) | instskip(SKIP_2) | instid1(VALU_DEP_2)
	v_pk_fma_f32 v[44:45], v[28:29], v[38:39], v[42:43] op_sel:[0,0,1] op_sel_hi:[1,1,0] neg_lo:[0,0,1] neg_hi:[0,0,1]
	v_pk_fma_f32 v[28:29], v[28:29], v[38:39], v[42:43] op_sel:[0,0,1] op_sel_hi:[1,0,0]
	v_dual_mul_f32 v42, v31, v41 :: v_dual_mov_b32 v28, v31
	v_dual_mov_b32 v45, v29 :: v_dual_mov_b32 v29, v30
	s_delay_alu instid0(VALU_DEP_2) | instskip(SKIP_1) | instid1(VALU_DEP_3)
	v_pk_fma_f32 v[42:43], v[30:31], v[20:21], v[42:43] op_sel_hi:[1,1,0] neg_lo:[0,0,1] neg_hi:[0,0,1]
	v_mul_f32_e32 v30, v31, v38
	v_pk_add_f32 v[4:5], v[4:5], v[44:45] neg_lo:[0,1] neg_hi:[0,1]
	s_delay_alu instid0(VALU_DEP_2) | instskip(NEXT) | instid1(VALU_DEP_1)
	v_pk_fma_f32 v[28:29], v[28:29], v[20:21], v[30:31] op_sel_hi:[1,1,0]
	v_mov_b32_e32 v43, v29
	ds_load_2addr_b64 v[28:31], v32 offset0:5 offset1:6
	v_pk_add_f32 v[18:19], v[18:19], v[42:43] neg_lo:[0,1] neg_hi:[0,1]
	s_wait_dscnt 0x0
	v_pk_mul_f32 v[42:43], v[28:29], v[40:41] op_sel:[0,1]
	s_delay_alu instid0(VALU_DEP_1) | instskip(SKIP_1) | instid1(VALU_DEP_1)
	v_pk_fma_f32 v[44:45], v[28:29], v[38:39], v[42:43] op_sel:[0,0,1] op_sel_hi:[1,1,0] neg_lo:[0,0,1] neg_hi:[0,0,1]
	v_pk_fma_f32 v[28:29], v[28:29], v[38:39], v[42:43] op_sel:[0,0,1] op_sel_hi:[1,0,0]
	v_mov_b32_e32 v45, v29
	v_pk_mul_f32 v[28:29], v[30:31], v[40:41] op_sel:[0,1]
	s_delay_alu instid0(VALU_DEP_1) | instskip(SKIP_1) | instid1(VALU_DEP_1)
	v_pk_fma_f32 v[42:43], v[30:31], v[38:39], v[28:29] op_sel:[0,0,1] op_sel_hi:[1,1,0] neg_lo:[0,0,1] neg_hi:[0,0,1]
	v_pk_fma_f32 v[28:29], v[30:31], v[38:39], v[28:29] op_sel:[0,0,1] op_sel_hi:[1,0,0]
	v_mov_b32_e32 v43, v29
	ds_load_2addr_b64 v[28:31], v32 offset0:7 offset1:8
	v_pk_add_f32 v[16:17], v[16:17], v[44:45] neg_lo:[0,1] neg_hi:[0,1]
	v_pk_add_f32 v[8:9], v[8:9], v[42:43] neg_lo:[0,1] neg_hi:[0,1]
	s_wait_dscnt 0x0
	v_pk_mul_f32 v[42:43], v[28:29], v[40:41] op_sel:[0,1]
	s_delay_alu instid0(VALU_DEP_1) | instskip(SKIP_1) | instid1(VALU_DEP_1)
	v_pk_fma_f32 v[44:45], v[28:29], v[38:39], v[42:43] op_sel:[0,0,1] op_sel_hi:[1,1,0] neg_lo:[0,0,1] neg_hi:[0,0,1]
	v_pk_fma_f32 v[28:29], v[28:29], v[38:39], v[42:43] op_sel:[0,0,1] op_sel_hi:[1,0,0]
	v_mov_b32_e32 v45, v29
	v_pk_mul_f32 v[28:29], v[30:31], v[40:41] op_sel:[0,1]
	s_delay_alu instid0(VALU_DEP_1) | instskip(SKIP_1) | instid1(VALU_DEP_1)
	v_pk_fma_f32 v[42:43], v[30:31], v[38:39], v[28:29] op_sel:[0,0,1] op_sel_hi:[1,1,0] neg_lo:[0,0,1] neg_hi:[0,0,1]
	v_pk_fma_f32 v[28:29], v[30:31], v[38:39], v[28:29] op_sel:[0,0,1] op_sel_hi:[1,0,0]
	v_mov_b32_e32 v43, v29
	ds_load_2addr_b64 v[28:31], v32 offset0:9 offset1:10
	v_pk_add_f32 v[14:15], v[14:15], v[44:45] neg_lo:[0,1] neg_hi:[0,1]
	v_pk_add_f32 v[12:13], v[12:13], v[42:43] neg_lo:[0,1] neg_hi:[0,1]
	s_wait_dscnt 0x0
	v_dual_mul_f32 v42, v29, v41 :: v_dual_mul_f32 v44, v29, v38
	s_delay_alu instid0(VALU_DEP_1) | instskip(NEXT) | instid1(VALU_DEP_2)
	v_pk_fma_f32 v[42:43], v[28:29], v[20:21], v[42:43] op_sel_hi:[1,1,0] neg_lo:[0,0,1] neg_hi:[0,0,1]
	v_pk_fma_f32 v[28:29], v[28:29], v[20:21], v[44:45] op_sel:[1,0,0] op_sel_hi:[0,1,0]
	s_delay_alu instid0(VALU_DEP_1) | instskip(SKIP_1) | instid1(VALU_DEP_1)
	v_mov_b32_e32 v43, v29
	v_pk_mul_f32 v[28:29], v[30:31], v[40:41] op_sel:[0,1]
	v_pk_fma_f32 v[40:41], v[30:31], v[38:39], v[28:29] op_sel:[0,0,1] op_sel_hi:[1,1,0] neg_lo:[0,0,1] neg_hi:[0,0,1]
	v_pk_fma_f32 v[28:29], v[30:31], v[38:39], v[28:29] op_sel:[0,0,1] op_sel_hi:[1,0,0]
	s_delay_alu instid0(VALU_DEP_1) | instskip(SKIP_1) | instid1(VALU_DEP_2)
	v_mov_b32_e32 v41, v29
	v_pk_add_f32 v[10:11], v[10:11], v[42:43] neg_lo:[0,1] neg_hi:[0,1]
	v_pk_add_f32 v[26:27], v[26:27], v[40:41] neg_lo:[0,1] neg_hi:[0,1]
.LBB20_22:
	s_or_b32 exec_lo, exec_lo, s0
	v_lshl_add_u32 v28, v36, 3, v32
	s_barrier_signal -1
	s_barrier_wait -1
	ds_store_b64 v28, v[22:23]
	s_wait_dscnt 0x0
	s_barrier_signal -1
	s_barrier_wait -1
	ds_load_b64 v[28:29], v32 offset:8
	v_mov_b32_e32 v30, 1
	s_cmp_lt_i32 s14, 3
	s_cbranch_scc1 .LBB20_25
; %bb.23:
	v_add3_u32 v31, v33, 0, 16
	v_mov_b32_e32 v30, 1
	s_mov_b32 s0, 2
.LBB20_24:                              ; =>This Inner Loop Header: Depth=1
	ds_load_b64 v[38:39], v31
	s_wait_dscnt 0x1
	v_cmp_gt_f32_e32 vcc_lo, 0, v28
	v_cndmask_b32_e64 v40, v28, -v28, vcc_lo
	v_cmp_gt_f32_e32 vcc_lo, 0, v29
	v_cndmask_b32_e64 v42, v29, -v29, vcc_lo
	s_wait_dscnt 0x0
	v_cmp_gt_f32_e32 vcc_lo, 0, v38
	v_cndmask_b32_e64 v41, v38, -v38, vcc_lo
	v_cmp_gt_f32_e32 vcc_lo, 0, v39
	v_cndmask_b32_e64 v43, v39, -v39, vcc_lo
	s_delay_alu instid0(VALU_DEP_1) | instskip(NEXT) | instid1(VALU_DEP_1)
	v_pk_add_f32 v[40:41], v[40:41], v[42:43]
	v_cmp_lt_f32_e32 vcc_lo, v40, v41
	v_dual_cndmask_b32 v28, v28, v38 :: v_dual_add_nc_u32 v31, 8, v31
	v_cndmask_b32_e32 v29, v29, v39, vcc_lo
	v_cndmask_b32_e64 v30, v30, s0, vcc_lo
	s_add_co_i32 s0, s0, 1
	s_delay_alu instid0(SALU_CYCLE_1)
	s_cmp_lg_u32 s14, s0
	s_cbranch_scc1 .LBB20_24
.LBB20_25:
	s_wait_dscnt 0x0
	v_cmp_neq_f32_e32 vcc_lo, 0, v28
	v_cmp_neq_f32_e64 s0, 0, v29
	s_or_b32 s1, vcc_lo, s0
	s_delay_alu instid0(SALU_CYCLE_1)
	s_and_saveexec_b32 s0, s1
	s_cbranch_execz .LBB20_31
; %bb.26:
	v_cmp_ngt_f32_e64 s1, |v28|, |v29|
	s_and_saveexec_b32 s15, s1
	s_delay_alu instid0(SALU_CYCLE_1)
	s_xor_b32 s1, exec_lo, s15
	s_cbranch_execz .LBB20_28
; %bb.27:
	v_div_scale_f32 v31, null, v29, v29, v28
	v_div_scale_f32 v39, vcc_lo, v28, v29, v28
	s_delay_alu instid0(VALU_DEP_2) | instskip(SKIP_1) | instid1(TRANS32_DEP_1)
	v_rcp_f32_e32 v35, v31
	v_nop
	v_fma_f32 v38, -v31, v35, 1.0
	s_delay_alu instid0(VALU_DEP_1) | instskip(NEXT) | instid1(VALU_DEP_1)
	v_fmac_f32_e32 v35, v38, v35
	v_mul_f32_e32 v38, v39, v35
	s_delay_alu instid0(VALU_DEP_1) | instskip(NEXT) | instid1(VALU_DEP_1)
	v_fma_f32 v40, -v31, v38, v39
	v_fmac_f32_e32 v38, v40, v35
	s_delay_alu instid0(VALU_DEP_1) | instskip(NEXT) | instid1(VALU_DEP_1)
	v_fma_f32 v31, -v31, v38, v39
	v_div_fmas_f32 v31, v31, v35, v38
	s_delay_alu instid0(VALU_DEP_1) | instskip(NEXT) | instid1(VALU_DEP_1)
	v_div_fixup_f32 v31, v31, v29, v28
	v_fmac_f32_e32 v29, v28, v31
	s_delay_alu instid0(VALU_DEP_1) | instskip(SKIP_1) | instid1(VALU_DEP_2)
	v_div_scale_f32 v28, null, v29, v29, 1.0
	v_div_scale_f32 v39, vcc_lo, 1.0, v29, 1.0
	v_rcp_f32_e32 v35, v28
	v_nop
	s_delay_alu instid0(TRANS32_DEP_1) | instskip(NEXT) | instid1(VALU_DEP_1)
	v_fma_f32 v38, -v28, v35, 1.0
	v_fmac_f32_e32 v35, v38, v35
	s_delay_alu instid0(VALU_DEP_1) | instskip(NEXT) | instid1(VALU_DEP_1)
	v_mul_f32_e32 v38, v39, v35
	v_fma_f32 v40, -v28, v38, v39
	s_delay_alu instid0(VALU_DEP_1) | instskip(NEXT) | instid1(VALU_DEP_1)
	v_fmac_f32_e32 v38, v40, v35
	v_fma_f32 v28, -v28, v38, v39
	s_delay_alu instid0(VALU_DEP_1) | instskip(NEXT) | instid1(VALU_DEP_1)
	v_div_fmas_f32 v28, v28, v35, v38
	v_div_fixup_f32 v29, v28, v29, 1.0
	s_delay_alu instid0(VALU_DEP_1)
	v_mul_f32_e32 v28, v31, v29
	v_xor_b32_e32 v29, 0x80000000, v29
.LBB20_28:
	s_and_not1_saveexec_b32 s1, s1
	s_cbranch_execz .LBB20_30
; %bb.29:
	s_delay_alu instid0(VALU_DEP_1) | instskip(SKIP_1) | instid1(VALU_DEP_2)
	v_div_scale_f32 v31, null, v28, v28, v29
	v_div_scale_f32 v39, vcc_lo, v29, v28, v29
	v_rcp_f32_e32 v35, v31
	v_nop
	s_delay_alu instid0(TRANS32_DEP_1) | instskip(NEXT) | instid1(VALU_DEP_1)
	v_fma_f32 v38, -v31, v35, 1.0
	v_fmac_f32_e32 v35, v38, v35
	s_delay_alu instid0(VALU_DEP_1) | instskip(NEXT) | instid1(VALU_DEP_1)
	v_mul_f32_e32 v38, v39, v35
	v_fma_f32 v40, -v31, v38, v39
	s_delay_alu instid0(VALU_DEP_1) | instskip(NEXT) | instid1(VALU_DEP_1)
	v_fmac_f32_e32 v38, v40, v35
	v_fma_f32 v31, -v31, v38, v39
	s_delay_alu instid0(VALU_DEP_1) | instskip(NEXT) | instid1(VALU_DEP_1)
	v_div_fmas_f32 v31, v31, v35, v38
	v_div_fixup_f32 v31, v31, v28, v29
	s_delay_alu instid0(VALU_DEP_1) | instskip(NEXT) | instid1(VALU_DEP_1)
	v_fmac_f32_e32 v28, v29, v31
	v_div_scale_f32 v29, null, v28, v28, 1.0
	s_delay_alu instid0(VALU_DEP_1) | instskip(SKIP_1) | instid1(TRANS32_DEP_1)
	v_rcp_f32_e32 v35, v29
	v_nop
	v_fma_f32 v38, -v29, v35, 1.0
	s_delay_alu instid0(VALU_DEP_1) | instskip(SKIP_1) | instid1(VALU_DEP_1)
	v_fmac_f32_e32 v35, v38, v35
	v_div_scale_f32 v38, vcc_lo, 1.0, v28, 1.0
	v_mul_f32_e32 v39, v38, v35
	s_delay_alu instid0(VALU_DEP_1) | instskip(NEXT) | instid1(VALU_DEP_1)
	v_fma_f32 v40, -v29, v39, v38
	v_fmac_f32_e32 v39, v40, v35
	s_delay_alu instid0(VALU_DEP_1) | instskip(NEXT) | instid1(VALU_DEP_1)
	v_fma_f32 v29, -v29, v39, v38
	v_div_fmas_f32 v29, v29, v35, v39
	s_delay_alu instid0(VALU_DEP_1) | instskip(NEXT) | instid1(VALU_DEP_1)
	v_div_fixup_f32 v28, v29, v28, 1.0
	v_mul_f32_e64 v29, v31, -v28
.LBB20_30:
	s_or_b32 exec_lo, exec_lo, s1
	v_mov_b32_e32 v35, v37
.LBB20_31:
	s_or_b32 exec_lo, exec_lo, s0
	s_delay_alu instid0(SALU_CYCLE_1)
	s_mov_b32 s0, exec_lo
	v_cmpx_ne_u32_e64 v36, v30
	s_xor_b32 s0, exec_lo, s0
	s_cbranch_execz .LBB20_37
; %bb.32:
	s_mov_b32 s1, exec_lo
	v_cmpx_eq_u32_e32 1, v36
	s_cbranch_execz .LBB20_36
; %bb.33:
	v_cmp_ne_u32_e32 vcc_lo, 1, v30
	s_xor_b32 s15, s12, -1
	s_delay_alu instid0(SALU_CYCLE_1) | instskip(NEXT) | instid1(SALU_CYCLE_1)
	s_and_b32 s16, s15, vcc_lo
	s_and_saveexec_b32 s15, s16
	s_cbranch_execz .LBB20_35
; %bb.34:
	v_ashrrev_i32_e32 v31, 31, v30
	s_delay_alu instid0(VALU_DEP_1)
	v_lshl_add_u64 v[36:37], v[30:31], 2, v[24:25]
	s_clause 0x1
	global_load_b32 v31, v[36:37], off
	global_load_b32 v34, v[24:25], off offset:4
	s_wait_loadcnt 0x1
	global_store_b32 v[24:25], v31, off offset:4
	s_wait_loadcnt 0x0
	global_store_b32 v[36:37], v34, off
.LBB20_35:
	s_wait_xcnt 0x0
	s_or_b32 exec_lo, exec_lo, s15
	v_dual_mov_b32 v36, v30 :: v_dual_mov_b32 v34, v30
.LBB20_36:
	s_or_b32 exec_lo, exec_lo, s1
.LBB20_37:
	s_and_not1_saveexec_b32 s0, s0
	s_cbranch_execz .LBB20_39
; %bb.38:
	v_dual_mov_b32 v30, v6 :: v_dual_mov_b32 v31, v7
	v_dual_mov_b32 v38, v4 :: v_dual_mov_b32 v39, v5
	;; [unrolled: 1-line block ×8, first 2 shown]
	v_mov_b32_e32 v51, v11
	ds_store_2addr_b64 v32, v[30:31], v[38:39] offset0:2 offset1:3
	ds_store_2addr_b64 v32, v[40:41], v[42:43] offset0:4 offset1:5
	;; [unrolled: 1-line block ×4, first 2 shown]
	ds_store_b64 v32, v[26:27] offset:80
.LBB20_39:
	s_or_b32 exec_lo, exec_lo, s0
	s_delay_alu instid0(SALU_CYCLE_1)
	s_mov_b32 s0, exec_lo
	s_wait_storecnt_dscnt 0x0
	s_barrier_signal -1
	s_barrier_wait -1
	v_cmpx_lt_i32_e32 1, v36
	s_cbranch_execz .LBB20_41
; %bb.40:
	v_pk_mul_f32 v[30:31], v[28:29], v[22:23] op_sel:[1,1] op_sel_hi:[0,1]
	s_delay_alu instid0(VALU_DEP_1)
	v_pk_fma_f32 v[38:39], v[28:29], v[22:23], v[30:31] op_sel_hi:[1,0,1] neg_lo:[0,0,1] neg_hi:[0,0,1]
	v_pk_fma_f32 v[40:41], v[28:29], v[22:23], v[30:31] op_sel_hi:[1,0,1]
	ds_load_2addr_b64 v[28:31], v32 offset0:2 offset1:3
	v_dual_mov_b32 v22, v38 :: v_dual_mov_b32 v23, v41
	s_wait_dscnt 0x0
	v_pk_mul_f32 v[42:43], v[28:29], v[40:41] op_sel:[0,1]
	s_delay_alu instid0(VALU_DEP_1) | instskip(SKIP_1) | instid1(VALU_DEP_1)
	v_pk_fma_f32 v[44:45], v[28:29], v[38:39], v[42:43] op_sel:[0,0,1] op_sel_hi:[1,1,0] neg_lo:[0,0,1] neg_hi:[0,0,1]
	v_pk_fma_f32 v[28:29], v[28:29], v[38:39], v[42:43] op_sel:[0,0,1] op_sel_hi:[1,0,0]
	v_mov_b32_e32 v45, v29
	v_pk_mul_f32 v[28:29], v[30:31], v[40:41] op_sel:[0,1]
	s_delay_alu instid0(VALU_DEP_1) | instskip(SKIP_1) | instid1(VALU_DEP_1)
	v_pk_fma_f32 v[42:43], v[30:31], v[38:39], v[28:29] op_sel:[0,0,1] op_sel_hi:[1,1,0] neg_lo:[0,0,1] neg_hi:[0,0,1]
	v_pk_fma_f32 v[28:29], v[30:31], v[38:39], v[28:29] op_sel:[0,0,1] op_sel_hi:[1,0,0]
	v_mov_b32_e32 v43, v29
	ds_load_2addr_b64 v[28:31], v32 offset0:4 offset1:5
	v_pk_add_f32 v[6:7], v[6:7], v[44:45] neg_lo:[0,1] neg_hi:[0,1]
	v_pk_add_f32 v[4:5], v[4:5], v[42:43] neg_lo:[0,1] neg_hi:[0,1]
	s_wait_dscnt 0x0
	v_pk_mul_f32 v[42:43], v[28:29], v[40:41] op_sel:[0,1]
	s_delay_alu instid0(VALU_DEP_1) | instskip(SKIP_2) | instid1(VALU_DEP_2)
	v_pk_fma_f32 v[44:45], v[28:29], v[38:39], v[42:43] op_sel:[0,0,1] op_sel_hi:[1,1,0] neg_lo:[0,0,1] neg_hi:[0,0,1]
	v_pk_fma_f32 v[28:29], v[28:29], v[38:39], v[42:43] op_sel:[0,0,1] op_sel_hi:[1,0,0]
	v_dual_mul_f32 v42, v31, v41 :: v_dual_mov_b32 v28, v31
	v_dual_mov_b32 v45, v29 :: v_dual_mov_b32 v29, v30
	s_delay_alu instid0(VALU_DEP_2) | instskip(SKIP_1) | instid1(VALU_DEP_3)
	v_pk_fma_f32 v[42:43], v[30:31], v[22:23], v[42:43] op_sel_hi:[1,1,0] neg_lo:[0,0,1] neg_hi:[0,0,1]
	v_mul_f32_e32 v30, v31, v38
	v_pk_add_f32 v[18:19], v[18:19], v[44:45] neg_lo:[0,1] neg_hi:[0,1]
	s_delay_alu instid0(VALU_DEP_2) | instskip(NEXT) | instid1(VALU_DEP_1)
	v_pk_fma_f32 v[28:29], v[28:29], v[22:23], v[30:31] op_sel_hi:[1,1,0]
	v_mov_b32_e32 v43, v29
	ds_load_2addr_b64 v[28:31], v32 offset0:6 offset1:7
	v_pk_add_f32 v[16:17], v[16:17], v[42:43] neg_lo:[0,1] neg_hi:[0,1]
	s_wait_dscnt 0x0
	v_pk_mul_f32 v[42:43], v[28:29], v[40:41] op_sel:[0,1]
	s_delay_alu instid0(VALU_DEP_1) | instskip(SKIP_1) | instid1(VALU_DEP_1)
	v_pk_fma_f32 v[44:45], v[28:29], v[38:39], v[42:43] op_sel:[0,0,1] op_sel_hi:[1,1,0] neg_lo:[0,0,1] neg_hi:[0,0,1]
	v_pk_fma_f32 v[28:29], v[28:29], v[38:39], v[42:43] op_sel:[0,0,1] op_sel_hi:[1,0,0]
	v_mov_b32_e32 v45, v29
	v_pk_mul_f32 v[28:29], v[30:31], v[40:41] op_sel:[0,1]
	s_delay_alu instid0(VALU_DEP_1) | instskip(SKIP_1) | instid1(VALU_DEP_1)
	v_pk_fma_f32 v[42:43], v[30:31], v[38:39], v[28:29] op_sel:[0,0,1] op_sel_hi:[1,1,0] neg_lo:[0,0,1] neg_hi:[0,0,1]
	v_pk_fma_f32 v[28:29], v[30:31], v[38:39], v[28:29] op_sel:[0,0,1] op_sel_hi:[1,0,0]
	v_mov_b32_e32 v43, v29
	ds_load_2addr_b64 v[28:31], v32 offset0:8 offset1:9
	v_pk_add_f32 v[8:9], v[8:9], v[44:45] neg_lo:[0,1] neg_hi:[0,1]
	v_pk_add_f32 v[14:15], v[14:15], v[42:43] neg_lo:[0,1] neg_hi:[0,1]
	s_wait_dscnt 0x0
	v_pk_mul_f32 v[42:43], v[28:29], v[40:41] op_sel:[0,1]
	s_delay_alu instid0(VALU_DEP_1) | instskip(SKIP_1) | instid1(VALU_DEP_1)
	v_pk_fma_f32 v[44:45], v[28:29], v[38:39], v[42:43] op_sel:[0,0,1] op_sel_hi:[1,1,0] neg_lo:[0,0,1] neg_hi:[0,0,1]
	v_pk_fma_f32 v[28:29], v[28:29], v[38:39], v[42:43] op_sel:[0,0,1] op_sel_hi:[1,0,0]
	v_mov_b32_e32 v45, v29
	v_pk_mul_f32 v[28:29], v[30:31], v[40:41] op_sel:[0,1]
	s_delay_alu instid0(VALU_DEP_1) | instskip(SKIP_1) | instid1(VALU_DEP_1)
	v_pk_fma_f32 v[42:43], v[30:31], v[38:39], v[28:29] op_sel:[0,0,1] op_sel_hi:[1,1,0] neg_lo:[0,0,1] neg_hi:[0,0,1]
	v_pk_fma_f32 v[28:29], v[30:31], v[38:39], v[28:29] op_sel:[0,0,1] op_sel_hi:[1,0,0]
	v_mov_b32_e32 v43, v29
	ds_load_b64 v[28:29], v32 offset:80
	v_pk_add_f32 v[12:13], v[12:13], v[44:45] neg_lo:[0,1] neg_hi:[0,1]
	v_pk_add_f32 v[10:11], v[10:11], v[42:43] neg_lo:[0,1] neg_hi:[0,1]
	s_wait_dscnt 0x0
	v_pk_mul_f32 v[30:31], v[28:29], v[40:41] op_sel:[0,1]
	s_delay_alu instid0(VALU_DEP_1) | instskip(SKIP_1) | instid1(VALU_DEP_1)
	v_pk_fma_f32 v[40:41], v[28:29], v[38:39], v[30:31] op_sel:[0,0,1] op_sel_hi:[1,1,0] neg_lo:[0,0,1] neg_hi:[0,0,1]
	v_pk_fma_f32 v[28:29], v[28:29], v[38:39], v[30:31] op_sel:[0,0,1] op_sel_hi:[1,0,0]
	v_mov_b32_e32 v41, v29
	s_delay_alu instid0(VALU_DEP_1)
	v_pk_add_f32 v[26:27], v[26:27], v[40:41] neg_lo:[0,1] neg_hi:[0,1]
.LBB20_41:
	s_or_b32 exec_lo, exec_lo, s0
	v_lshl_add_u32 v28, v36, 3, v32
	s_barrier_signal -1
	s_barrier_wait -1
	ds_store_b64 v28, v[6:7]
	s_wait_dscnt 0x0
	s_barrier_signal -1
	s_barrier_wait -1
	ds_load_b64 v[28:29], v32 offset:16
	v_mov_b32_e32 v30, 2
	s_cmp_lt_i32 s14, 4
	s_mov_b32 s0, 3
	s_cbranch_scc1 .LBB20_44
; %bb.42:
	v_add3_u32 v31, v33, 0, 24
	v_mov_b32_e32 v30, 2
.LBB20_43:                              ; =>This Inner Loop Header: Depth=1
	ds_load_b64 v[38:39], v31
	s_wait_dscnt 0x1
	v_cmp_gt_f32_e32 vcc_lo, 0, v28
	v_cndmask_b32_e64 v40, v28, -v28, vcc_lo
	v_cmp_gt_f32_e32 vcc_lo, 0, v29
	v_cndmask_b32_e64 v42, v29, -v29, vcc_lo
	s_wait_dscnt 0x0
	v_cmp_gt_f32_e32 vcc_lo, 0, v38
	v_cndmask_b32_e64 v41, v38, -v38, vcc_lo
	v_cmp_gt_f32_e32 vcc_lo, 0, v39
	v_cndmask_b32_e64 v43, v39, -v39, vcc_lo
	s_delay_alu instid0(VALU_DEP_1) | instskip(NEXT) | instid1(VALU_DEP_1)
	v_pk_add_f32 v[40:41], v[40:41], v[42:43]
	v_cmp_lt_f32_e32 vcc_lo, v40, v41
	v_dual_cndmask_b32 v28, v28, v38 :: v_dual_add_nc_u32 v31, 8, v31
	v_cndmask_b32_e32 v29, v29, v39, vcc_lo
	v_cndmask_b32_e64 v30, v30, s0, vcc_lo
	s_add_co_i32 s0, s0, 1
	s_delay_alu instid0(SALU_CYCLE_1)
	s_cmp_lg_u32 s14, s0
	s_cbranch_scc1 .LBB20_43
.LBB20_44:
	s_wait_dscnt 0x0
	v_cmp_eq_f32_e32 vcc_lo, 0, v28
	v_cmp_eq_f32_e64 s0, 0, v29
	s_and_b32 s0, vcc_lo, s0
	s_delay_alu instid0(SALU_CYCLE_1) | instskip(NEXT) | instid1(SALU_CYCLE_1)
	s_and_saveexec_b32 s1, s0
	s_xor_b32 s0, exec_lo, s1
; %bb.45:
	v_cmp_ne_u32_e32 vcc_lo, 0, v35
	v_cndmask_b32_e32 v35, 3, v35, vcc_lo
; %bb.46:
	s_and_not1_saveexec_b32 s0, s0
	s_cbranch_execz .LBB20_52
; %bb.47:
	v_cmp_ngt_f32_e64 s1, |v28|, |v29|
	s_and_saveexec_b32 s15, s1
	s_delay_alu instid0(SALU_CYCLE_1)
	s_xor_b32 s1, exec_lo, s15
	s_cbranch_execz .LBB20_49
; %bb.48:
	v_div_scale_f32 v31, null, v29, v29, v28
	v_div_scale_f32 v39, vcc_lo, v28, v29, v28
	s_delay_alu instid0(VALU_DEP_2) | instskip(SKIP_1) | instid1(TRANS32_DEP_1)
	v_rcp_f32_e32 v37, v31
	v_nop
	v_fma_f32 v38, -v31, v37, 1.0
	s_delay_alu instid0(VALU_DEP_1) | instskip(NEXT) | instid1(VALU_DEP_1)
	v_fmac_f32_e32 v37, v38, v37
	v_mul_f32_e32 v38, v39, v37
	s_delay_alu instid0(VALU_DEP_1) | instskip(NEXT) | instid1(VALU_DEP_1)
	v_fma_f32 v40, -v31, v38, v39
	v_fmac_f32_e32 v38, v40, v37
	s_delay_alu instid0(VALU_DEP_1) | instskip(NEXT) | instid1(VALU_DEP_1)
	v_fma_f32 v31, -v31, v38, v39
	v_div_fmas_f32 v31, v31, v37, v38
	s_delay_alu instid0(VALU_DEP_1) | instskip(NEXT) | instid1(VALU_DEP_1)
	v_div_fixup_f32 v31, v31, v29, v28
	v_fmac_f32_e32 v29, v28, v31
	s_delay_alu instid0(VALU_DEP_1) | instskip(SKIP_1) | instid1(VALU_DEP_2)
	v_div_scale_f32 v28, null, v29, v29, 1.0
	v_div_scale_f32 v39, vcc_lo, 1.0, v29, 1.0
	v_rcp_f32_e32 v37, v28
	v_nop
	s_delay_alu instid0(TRANS32_DEP_1) | instskip(NEXT) | instid1(VALU_DEP_1)
	v_fma_f32 v38, -v28, v37, 1.0
	v_fmac_f32_e32 v37, v38, v37
	s_delay_alu instid0(VALU_DEP_1) | instskip(NEXT) | instid1(VALU_DEP_1)
	v_mul_f32_e32 v38, v39, v37
	v_fma_f32 v40, -v28, v38, v39
	s_delay_alu instid0(VALU_DEP_1) | instskip(NEXT) | instid1(VALU_DEP_1)
	v_fmac_f32_e32 v38, v40, v37
	v_fma_f32 v28, -v28, v38, v39
	s_delay_alu instid0(VALU_DEP_1) | instskip(NEXT) | instid1(VALU_DEP_1)
	v_div_fmas_f32 v28, v28, v37, v38
	v_div_fixup_f32 v29, v28, v29, 1.0
	s_delay_alu instid0(VALU_DEP_1)
	v_mul_f32_e32 v28, v31, v29
	v_xor_b32_e32 v29, 0x80000000, v29
.LBB20_49:
	s_and_not1_saveexec_b32 s1, s1
	s_cbranch_execz .LBB20_51
; %bb.50:
	s_delay_alu instid0(VALU_DEP_1) | instskip(SKIP_1) | instid1(VALU_DEP_2)
	v_div_scale_f32 v31, null, v28, v28, v29
	v_div_scale_f32 v39, vcc_lo, v29, v28, v29
	v_rcp_f32_e32 v37, v31
	v_nop
	s_delay_alu instid0(TRANS32_DEP_1) | instskip(NEXT) | instid1(VALU_DEP_1)
	v_fma_f32 v38, -v31, v37, 1.0
	v_fmac_f32_e32 v37, v38, v37
	s_delay_alu instid0(VALU_DEP_1) | instskip(NEXT) | instid1(VALU_DEP_1)
	v_mul_f32_e32 v38, v39, v37
	v_fma_f32 v40, -v31, v38, v39
	s_delay_alu instid0(VALU_DEP_1) | instskip(NEXT) | instid1(VALU_DEP_1)
	v_fmac_f32_e32 v38, v40, v37
	v_fma_f32 v31, -v31, v38, v39
	s_delay_alu instid0(VALU_DEP_1) | instskip(NEXT) | instid1(VALU_DEP_1)
	v_div_fmas_f32 v31, v31, v37, v38
	v_div_fixup_f32 v31, v31, v28, v29
	s_delay_alu instid0(VALU_DEP_1) | instskip(NEXT) | instid1(VALU_DEP_1)
	v_fmac_f32_e32 v28, v29, v31
	v_div_scale_f32 v29, null, v28, v28, 1.0
	s_delay_alu instid0(VALU_DEP_1) | instskip(SKIP_1) | instid1(TRANS32_DEP_1)
	v_rcp_f32_e32 v37, v29
	v_nop
	v_fma_f32 v38, -v29, v37, 1.0
	s_delay_alu instid0(VALU_DEP_1) | instskip(SKIP_1) | instid1(VALU_DEP_1)
	v_fmac_f32_e32 v37, v38, v37
	v_div_scale_f32 v38, vcc_lo, 1.0, v28, 1.0
	v_mul_f32_e32 v39, v38, v37
	s_delay_alu instid0(VALU_DEP_1) | instskip(NEXT) | instid1(VALU_DEP_1)
	v_fma_f32 v40, -v29, v39, v38
	v_fmac_f32_e32 v39, v40, v37
	s_delay_alu instid0(VALU_DEP_1) | instskip(NEXT) | instid1(VALU_DEP_1)
	v_fma_f32 v29, -v29, v39, v38
	v_div_fmas_f32 v29, v29, v37, v39
	s_delay_alu instid0(VALU_DEP_1) | instskip(NEXT) | instid1(VALU_DEP_1)
	v_div_fixup_f32 v28, v29, v28, 1.0
	v_mul_f32_e64 v29, v31, -v28
.LBB20_51:
	s_or_b32 exec_lo, exec_lo, s1
.LBB20_52:
	s_delay_alu instid0(SALU_CYCLE_1) | instskip(NEXT) | instid1(SALU_CYCLE_1)
	s_or_b32 exec_lo, exec_lo, s0
	s_mov_b32 s0, exec_lo
	v_cmpx_ne_u32_e64 v36, v30
	s_xor_b32 s0, exec_lo, s0
	s_cbranch_execz .LBB20_58
; %bb.53:
	s_mov_b32 s1, exec_lo
	v_cmpx_eq_u32_e32 2, v36
	s_cbranch_execz .LBB20_57
; %bb.54:
	v_cmp_ne_u32_e32 vcc_lo, 2, v30
	s_xor_b32 s15, s12, -1
	s_delay_alu instid0(SALU_CYCLE_1) | instskip(NEXT) | instid1(SALU_CYCLE_1)
	s_and_b32 s16, s15, vcc_lo
	s_and_saveexec_b32 s15, s16
	s_cbranch_execz .LBB20_56
; %bb.55:
	v_ashrrev_i32_e32 v31, 31, v30
	s_delay_alu instid0(VALU_DEP_1)
	v_lshl_add_u64 v[36:37], v[30:31], 2, v[24:25]
	s_clause 0x1
	global_load_b32 v31, v[36:37], off
	global_load_b32 v34, v[24:25], off offset:8
	s_wait_loadcnt 0x1
	global_store_b32 v[24:25], v31, off offset:8
	s_wait_loadcnt 0x0
	global_store_b32 v[36:37], v34, off
.LBB20_56:
	s_wait_xcnt 0x0
	s_or_b32 exec_lo, exec_lo, s15
	v_dual_mov_b32 v36, v30 :: v_dual_mov_b32 v34, v30
.LBB20_57:
	s_or_b32 exec_lo, exec_lo, s1
.LBB20_58:
	s_and_not1_saveexec_b32 s0, s0
	s_cbranch_execz .LBB20_60
; %bb.59:
	v_mov_b32_e32 v36, 2
	ds_store_2addr_b64 v32, v[4:5], v[18:19] offset0:3 offset1:4
	ds_store_2addr_b64 v32, v[16:17], v[8:9] offset0:5 offset1:6
	;; [unrolled: 1-line block ×4, first 2 shown]
.LBB20_60:
	s_or_b32 exec_lo, exec_lo, s0
	s_delay_alu instid0(SALU_CYCLE_1)
	s_mov_b32 s0, exec_lo
	s_wait_storecnt_dscnt 0x0
	s_barrier_signal -1
	s_barrier_wait -1
	v_cmpx_lt_i32_e32 2, v36
	s_cbranch_execz .LBB20_62
; %bb.61:
	v_pk_mul_f32 v[30:31], v[28:29], v[6:7] op_sel:[1,1] op_sel_hi:[0,1]
	s_delay_alu instid0(VALU_DEP_1)
	v_pk_fma_f32 v[38:39], v[28:29], v[6:7], v[30:31] op_sel_hi:[1,0,1] neg_lo:[0,0,1] neg_hi:[0,0,1]
	v_pk_fma_f32 v[40:41], v[28:29], v[6:7], v[30:31] op_sel_hi:[1,0,1]
	ds_load_2addr_b64 v[28:31], v32 offset0:3 offset1:4
	v_dual_mov_b32 v6, v38 :: v_dual_mov_b32 v7, v41
	s_wait_dscnt 0x0
	v_pk_mul_f32 v[42:43], v[28:29], v[40:41] op_sel:[0,1]
	s_delay_alu instid0(VALU_DEP_1) | instskip(SKIP_1) | instid1(VALU_DEP_1)
	v_pk_fma_f32 v[44:45], v[28:29], v[38:39], v[42:43] op_sel:[0,0,1] op_sel_hi:[1,1,0] neg_lo:[0,0,1] neg_hi:[0,0,1]
	v_pk_fma_f32 v[28:29], v[28:29], v[38:39], v[42:43] op_sel:[0,0,1] op_sel_hi:[1,0,0]
	v_mov_b32_e32 v45, v29
	v_pk_mul_f32 v[28:29], v[30:31], v[40:41] op_sel:[0,1]
	s_delay_alu instid0(VALU_DEP_1) | instskip(SKIP_1) | instid1(VALU_DEP_1)
	v_pk_fma_f32 v[42:43], v[30:31], v[38:39], v[28:29] op_sel:[0,0,1] op_sel_hi:[1,1,0] neg_lo:[0,0,1] neg_hi:[0,0,1]
	v_pk_fma_f32 v[28:29], v[30:31], v[38:39], v[28:29] op_sel:[0,0,1] op_sel_hi:[1,0,0]
	v_mov_b32_e32 v43, v29
	ds_load_2addr_b64 v[28:31], v32 offset0:5 offset1:6
	v_pk_add_f32 v[4:5], v[4:5], v[44:45] neg_lo:[0,1] neg_hi:[0,1]
	v_pk_add_f32 v[18:19], v[18:19], v[42:43] neg_lo:[0,1] neg_hi:[0,1]
	s_wait_dscnt 0x0
	v_pk_mul_f32 v[42:43], v[28:29], v[40:41] op_sel:[0,1]
	s_delay_alu instid0(VALU_DEP_1) | instskip(SKIP_2) | instid1(VALU_DEP_2)
	v_pk_fma_f32 v[44:45], v[28:29], v[38:39], v[42:43] op_sel:[0,0,1] op_sel_hi:[1,1,0] neg_lo:[0,0,1] neg_hi:[0,0,1]
	v_pk_fma_f32 v[28:29], v[28:29], v[38:39], v[42:43] op_sel:[0,0,1] op_sel_hi:[1,0,0]
	v_dual_mul_f32 v42, v31, v41 :: v_dual_mov_b32 v28, v31
	v_dual_mov_b32 v45, v29 :: v_dual_mov_b32 v29, v30
	s_delay_alu instid0(VALU_DEP_2) | instskip(SKIP_1) | instid1(VALU_DEP_3)
	v_pk_fma_f32 v[42:43], v[30:31], v[6:7], v[42:43] op_sel_hi:[1,1,0] neg_lo:[0,0,1] neg_hi:[0,0,1]
	v_mul_f32_e32 v30, v31, v38
	v_pk_add_f32 v[16:17], v[16:17], v[44:45] neg_lo:[0,1] neg_hi:[0,1]
	s_delay_alu instid0(VALU_DEP_2) | instskip(NEXT) | instid1(VALU_DEP_1)
	v_pk_fma_f32 v[28:29], v[28:29], v[6:7], v[30:31] op_sel_hi:[1,1,0]
	v_mov_b32_e32 v43, v29
	ds_load_2addr_b64 v[28:31], v32 offset0:7 offset1:8
	v_pk_add_f32 v[8:9], v[8:9], v[42:43] neg_lo:[0,1] neg_hi:[0,1]
	s_wait_dscnt 0x0
	v_pk_mul_f32 v[42:43], v[28:29], v[40:41] op_sel:[0,1]
	s_delay_alu instid0(VALU_DEP_1) | instskip(SKIP_1) | instid1(VALU_DEP_1)
	v_pk_fma_f32 v[44:45], v[28:29], v[38:39], v[42:43] op_sel:[0,0,1] op_sel_hi:[1,1,0] neg_lo:[0,0,1] neg_hi:[0,0,1]
	v_pk_fma_f32 v[28:29], v[28:29], v[38:39], v[42:43] op_sel:[0,0,1] op_sel_hi:[1,0,0]
	v_mov_b32_e32 v45, v29
	v_pk_mul_f32 v[28:29], v[30:31], v[40:41] op_sel:[0,1]
	s_delay_alu instid0(VALU_DEP_1) | instskip(SKIP_1) | instid1(VALU_DEP_1)
	v_pk_fma_f32 v[42:43], v[30:31], v[38:39], v[28:29] op_sel:[0,0,1] op_sel_hi:[1,1,0] neg_lo:[0,0,1] neg_hi:[0,0,1]
	v_pk_fma_f32 v[28:29], v[30:31], v[38:39], v[28:29] op_sel:[0,0,1] op_sel_hi:[1,0,0]
	v_mov_b32_e32 v43, v29
	ds_load_2addr_b64 v[28:31], v32 offset0:9 offset1:10
	v_pk_add_f32 v[14:15], v[14:15], v[44:45] neg_lo:[0,1] neg_hi:[0,1]
	v_pk_add_f32 v[12:13], v[12:13], v[42:43] neg_lo:[0,1] neg_hi:[0,1]
	s_wait_dscnt 0x0
	v_pk_mul_f32 v[42:43], v[28:29], v[40:41] op_sel:[0,1]
	s_delay_alu instid0(VALU_DEP_1) | instskip(SKIP_1) | instid1(VALU_DEP_1)
	v_pk_fma_f32 v[44:45], v[28:29], v[38:39], v[42:43] op_sel:[0,0,1] op_sel_hi:[1,1,0] neg_lo:[0,0,1] neg_hi:[0,0,1]
	v_pk_fma_f32 v[28:29], v[28:29], v[38:39], v[42:43] op_sel:[0,0,1] op_sel_hi:[1,0,0]
	v_mov_b32_e32 v45, v29
	v_pk_mul_f32 v[28:29], v[30:31], v[40:41] op_sel:[0,1]
	s_delay_alu instid0(VALU_DEP_1) | instskip(SKIP_1) | instid1(VALU_DEP_1)
	v_pk_fma_f32 v[40:41], v[30:31], v[38:39], v[28:29] op_sel:[0,0,1] op_sel_hi:[1,1,0] neg_lo:[0,0,1] neg_hi:[0,0,1]
	v_pk_fma_f32 v[28:29], v[30:31], v[38:39], v[28:29] op_sel:[0,0,1] op_sel_hi:[1,0,0]
	v_mov_b32_e32 v41, v29
	v_pk_add_f32 v[10:11], v[10:11], v[44:45] neg_lo:[0,1] neg_hi:[0,1]
	s_delay_alu instid0(VALU_DEP_2)
	v_pk_add_f32 v[26:27], v[26:27], v[40:41] neg_lo:[0,1] neg_hi:[0,1]
.LBB20_62:
	s_or_b32 exec_lo, exec_lo, s0
	v_lshl_add_u32 v28, v36, 3, v32
	s_barrier_signal -1
	s_barrier_wait -1
	ds_store_b64 v28, v[4:5]
	s_wait_dscnt 0x0
	s_barrier_signal -1
	s_barrier_wait -1
	ds_load_b64 v[28:29], v32 offset:24
	v_mov_b32_e32 v30, 3
	s_cmp_lt_i32 s14, 5
	s_cbranch_scc1 .LBB20_65
; %bb.63:
	v_mov_b32_e32 v30, 3
	v_add3_u32 v31, v33, 0, 32
	s_mov_b32 s0, 4
.LBB20_64:                              ; =>This Inner Loop Header: Depth=1
	ds_load_b64 v[38:39], v31
	s_wait_dscnt 0x1
	v_cmp_gt_f32_e32 vcc_lo, 0, v28
	v_cndmask_b32_e64 v40, v28, -v28, vcc_lo
	v_cmp_gt_f32_e32 vcc_lo, 0, v29
	v_cndmask_b32_e64 v42, v29, -v29, vcc_lo
	s_wait_dscnt 0x0
	v_cmp_gt_f32_e32 vcc_lo, 0, v38
	v_cndmask_b32_e64 v41, v38, -v38, vcc_lo
	v_cmp_gt_f32_e32 vcc_lo, 0, v39
	v_cndmask_b32_e64 v43, v39, -v39, vcc_lo
	s_delay_alu instid0(VALU_DEP_1) | instskip(NEXT) | instid1(VALU_DEP_1)
	v_pk_add_f32 v[40:41], v[40:41], v[42:43]
	v_cmp_lt_f32_e32 vcc_lo, v40, v41
	v_dual_cndmask_b32 v28, v28, v38 :: v_dual_add_nc_u32 v31, 8, v31
	v_cndmask_b32_e32 v29, v29, v39, vcc_lo
	v_cndmask_b32_e64 v30, v30, s0, vcc_lo
	s_add_co_i32 s0, s0, 1
	s_delay_alu instid0(SALU_CYCLE_1)
	s_cmp_lg_u32 s14, s0
	s_cbranch_scc1 .LBB20_64
.LBB20_65:
	s_wait_dscnt 0x0
	v_cmp_eq_f32_e32 vcc_lo, 0, v28
	v_cmp_eq_f32_e64 s0, 0, v29
	s_and_b32 s0, vcc_lo, s0
	s_delay_alu instid0(SALU_CYCLE_1) | instskip(NEXT) | instid1(SALU_CYCLE_1)
	s_and_saveexec_b32 s1, s0
	s_xor_b32 s0, exec_lo, s1
; %bb.66:
	v_cmp_ne_u32_e32 vcc_lo, 0, v35
	v_cndmask_b32_e32 v35, 4, v35, vcc_lo
; %bb.67:
	s_and_not1_saveexec_b32 s0, s0
	s_cbranch_execz .LBB20_73
; %bb.68:
	v_cmp_ngt_f32_e64 s1, |v28|, |v29|
	s_and_saveexec_b32 s15, s1
	s_delay_alu instid0(SALU_CYCLE_1)
	s_xor_b32 s1, exec_lo, s15
	s_cbranch_execz .LBB20_70
; %bb.69:
	v_div_scale_f32 v31, null, v29, v29, v28
	v_div_scale_f32 v39, vcc_lo, v28, v29, v28
	s_delay_alu instid0(VALU_DEP_2) | instskip(SKIP_1) | instid1(TRANS32_DEP_1)
	v_rcp_f32_e32 v37, v31
	v_nop
	v_fma_f32 v38, -v31, v37, 1.0
	s_delay_alu instid0(VALU_DEP_1) | instskip(NEXT) | instid1(VALU_DEP_1)
	v_fmac_f32_e32 v37, v38, v37
	v_mul_f32_e32 v38, v39, v37
	s_delay_alu instid0(VALU_DEP_1) | instskip(NEXT) | instid1(VALU_DEP_1)
	v_fma_f32 v40, -v31, v38, v39
	v_fmac_f32_e32 v38, v40, v37
	s_delay_alu instid0(VALU_DEP_1) | instskip(NEXT) | instid1(VALU_DEP_1)
	v_fma_f32 v31, -v31, v38, v39
	v_div_fmas_f32 v31, v31, v37, v38
	s_delay_alu instid0(VALU_DEP_1) | instskip(NEXT) | instid1(VALU_DEP_1)
	v_div_fixup_f32 v31, v31, v29, v28
	v_fmac_f32_e32 v29, v28, v31
	s_delay_alu instid0(VALU_DEP_1) | instskip(SKIP_1) | instid1(VALU_DEP_2)
	v_div_scale_f32 v28, null, v29, v29, 1.0
	v_div_scale_f32 v39, vcc_lo, 1.0, v29, 1.0
	v_rcp_f32_e32 v37, v28
	v_nop
	s_delay_alu instid0(TRANS32_DEP_1) | instskip(NEXT) | instid1(VALU_DEP_1)
	v_fma_f32 v38, -v28, v37, 1.0
	v_fmac_f32_e32 v37, v38, v37
	s_delay_alu instid0(VALU_DEP_1) | instskip(NEXT) | instid1(VALU_DEP_1)
	v_mul_f32_e32 v38, v39, v37
	v_fma_f32 v40, -v28, v38, v39
	s_delay_alu instid0(VALU_DEP_1) | instskip(NEXT) | instid1(VALU_DEP_1)
	v_fmac_f32_e32 v38, v40, v37
	v_fma_f32 v28, -v28, v38, v39
	s_delay_alu instid0(VALU_DEP_1) | instskip(NEXT) | instid1(VALU_DEP_1)
	v_div_fmas_f32 v28, v28, v37, v38
	v_div_fixup_f32 v29, v28, v29, 1.0
	s_delay_alu instid0(VALU_DEP_1)
	v_mul_f32_e32 v28, v31, v29
	v_xor_b32_e32 v29, 0x80000000, v29
.LBB20_70:
	s_and_not1_saveexec_b32 s1, s1
	s_cbranch_execz .LBB20_72
; %bb.71:
	s_delay_alu instid0(VALU_DEP_1) | instskip(SKIP_1) | instid1(VALU_DEP_2)
	v_div_scale_f32 v31, null, v28, v28, v29
	v_div_scale_f32 v39, vcc_lo, v29, v28, v29
	v_rcp_f32_e32 v37, v31
	v_nop
	s_delay_alu instid0(TRANS32_DEP_1) | instskip(NEXT) | instid1(VALU_DEP_1)
	v_fma_f32 v38, -v31, v37, 1.0
	v_fmac_f32_e32 v37, v38, v37
	s_delay_alu instid0(VALU_DEP_1) | instskip(NEXT) | instid1(VALU_DEP_1)
	v_mul_f32_e32 v38, v39, v37
	v_fma_f32 v40, -v31, v38, v39
	s_delay_alu instid0(VALU_DEP_1) | instskip(NEXT) | instid1(VALU_DEP_1)
	v_fmac_f32_e32 v38, v40, v37
	v_fma_f32 v31, -v31, v38, v39
	s_delay_alu instid0(VALU_DEP_1) | instskip(NEXT) | instid1(VALU_DEP_1)
	v_div_fmas_f32 v31, v31, v37, v38
	v_div_fixup_f32 v31, v31, v28, v29
	s_delay_alu instid0(VALU_DEP_1) | instskip(NEXT) | instid1(VALU_DEP_1)
	v_fmac_f32_e32 v28, v29, v31
	v_div_scale_f32 v29, null, v28, v28, 1.0
	s_delay_alu instid0(VALU_DEP_1) | instskip(SKIP_1) | instid1(TRANS32_DEP_1)
	v_rcp_f32_e32 v37, v29
	v_nop
	v_fma_f32 v38, -v29, v37, 1.0
	s_delay_alu instid0(VALU_DEP_1) | instskip(SKIP_1) | instid1(VALU_DEP_1)
	v_fmac_f32_e32 v37, v38, v37
	v_div_scale_f32 v38, vcc_lo, 1.0, v28, 1.0
	v_mul_f32_e32 v39, v38, v37
	s_delay_alu instid0(VALU_DEP_1) | instskip(NEXT) | instid1(VALU_DEP_1)
	v_fma_f32 v40, -v29, v39, v38
	v_fmac_f32_e32 v39, v40, v37
	s_delay_alu instid0(VALU_DEP_1) | instskip(NEXT) | instid1(VALU_DEP_1)
	v_fma_f32 v29, -v29, v39, v38
	v_div_fmas_f32 v29, v29, v37, v39
	s_delay_alu instid0(VALU_DEP_1) | instskip(NEXT) | instid1(VALU_DEP_1)
	v_div_fixup_f32 v28, v29, v28, 1.0
	v_mul_f32_e64 v29, v31, -v28
.LBB20_72:
	s_or_b32 exec_lo, exec_lo, s1
.LBB20_73:
	s_delay_alu instid0(SALU_CYCLE_1) | instskip(NEXT) | instid1(SALU_CYCLE_1)
	s_or_b32 exec_lo, exec_lo, s0
	s_mov_b32 s0, exec_lo
	v_cmpx_ne_u32_e64 v36, v30
	s_xor_b32 s0, exec_lo, s0
	s_cbranch_execz .LBB20_79
; %bb.74:
	s_mov_b32 s1, exec_lo
	v_cmpx_eq_u32_e32 3, v36
	s_cbranch_execz .LBB20_78
; %bb.75:
	v_cmp_ne_u32_e32 vcc_lo, 3, v30
	s_xor_b32 s15, s12, -1
	s_delay_alu instid0(SALU_CYCLE_1) | instskip(NEXT) | instid1(SALU_CYCLE_1)
	s_and_b32 s16, s15, vcc_lo
	s_and_saveexec_b32 s15, s16
	s_cbranch_execz .LBB20_77
; %bb.76:
	v_ashrrev_i32_e32 v31, 31, v30
	s_delay_alu instid0(VALU_DEP_1)
	v_lshl_add_u64 v[36:37], v[30:31], 2, v[24:25]
	s_clause 0x1
	global_load_b32 v31, v[36:37], off
	global_load_b32 v34, v[24:25], off offset:12
	s_wait_loadcnt 0x1
	global_store_b32 v[24:25], v31, off offset:12
	s_wait_loadcnt 0x0
	global_store_b32 v[36:37], v34, off
.LBB20_77:
	s_wait_xcnt 0x0
	s_or_b32 exec_lo, exec_lo, s15
	v_dual_mov_b32 v36, v30 :: v_dual_mov_b32 v34, v30
.LBB20_78:
	s_or_b32 exec_lo, exec_lo, s1
.LBB20_79:
	s_and_not1_saveexec_b32 s0, s0
	s_cbranch_execz .LBB20_81
; %bb.80:
	v_dual_mov_b32 v30, v18 :: v_dual_mov_b32 v31, v19
	v_dual_mov_b32 v38, v16 :: v_dual_mov_b32 v39, v17
	;; [unrolled: 1-line block ×6, first 2 shown]
	v_mov_b32_e32 v47, v11
	ds_store_2addr_b64 v32, v[30:31], v[38:39] offset0:4 offset1:5
	ds_store_2addr_b64 v32, v[40:41], v[42:43] offset0:6 offset1:7
	;; [unrolled: 1-line block ×3, first 2 shown]
	ds_store_b64 v32, v[26:27] offset:80
.LBB20_81:
	s_or_b32 exec_lo, exec_lo, s0
	s_delay_alu instid0(SALU_CYCLE_1)
	s_mov_b32 s0, exec_lo
	s_wait_storecnt_dscnt 0x0
	s_barrier_signal -1
	s_barrier_wait -1
	v_cmpx_lt_i32_e32 3, v36
	s_cbranch_execz .LBB20_83
; %bb.82:
	v_pk_mul_f32 v[30:31], v[28:29], v[4:5] op_sel:[1,1] op_sel_hi:[0,1]
	s_delay_alu instid0(VALU_DEP_1)
	v_pk_fma_f32 v[38:39], v[28:29], v[4:5], v[30:31] op_sel_hi:[1,0,1] neg_lo:[0,0,1] neg_hi:[0,0,1]
	v_pk_fma_f32 v[40:41], v[28:29], v[4:5], v[30:31] op_sel_hi:[1,0,1]
	ds_load_2addr_b64 v[28:31], v32 offset0:4 offset1:5
	v_dual_mov_b32 v4, v38 :: v_dual_mov_b32 v5, v41
	s_wait_dscnt 0x0
	v_pk_mul_f32 v[42:43], v[28:29], v[40:41] op_sel:[0,1]
	s_delay_alu instid0(VALU_DEP_1) | instskip(SKIP_1) | instid1(VALU_DEP_1)
	v_pk_fma_f32 v[44:45], v[28:29], v[38:39], v[42:43] op_sel:[0,0,1] op_sel_hi:[1,1,0] neg_lo:[0,0,1] neg_hi:[0,0,1]
	v_pk_fma_f32 v[28:29], v[28:29], v[38:39], v[42:43] op_sel:[0,0,1] op_sel_hi:[1,0,0]
	v_mov_b32_e32 v45, v29
	v_pk_mul_f32 v[28:29], v[30:31], v[40:41] op_sel:[0,1]
	s_delay_alu instid0(VALU_DEP_1) | instskip(SKIP_1) | instid1(VALU_DEP_1)
	v_pk_fma_f32 v[42:43], v[30:31], v[38:39], v[28:29] op_sel:[0,0,1] op_sel_hi:[1,1,0] neg_lo:[0,0,1] neg_hi:[0,0,1]
	v_pk_fma_f32 v[28:29], v[30:31], v[38:39], v[28:29] op_sel:[0,0,1] op_sel_hi:[1,0,0]
	v_mov_b32_e32 v43, v29
	ds_load_2addr_b64 v[28:31], v32 offset0:6 offset1:7
	v_pk_add_f32 v[18:19], v[18:19], v[44:45] neg_lo:[0,1] neg_hi:[0,1]
	v_pk_add_f32 v[16:17], v[16:17], v[42:43] neg_lo:[0,1] neg_hi:[0,1]
	s_wait_dscnt 0x0
	v_pk_mul_f32 v[42:43], v[28:29], v[40:41] op_sel:[0,1]
	s_delay_alu instid0(VALU_DEP_1) | instskip(SKIP_2) | instid1(VALU_DEP_2)
	v_pk_fma_f32 v[44:45], v[28:29], v[38:39], v[42:43] op_sel:[0,0,1] op_sel_hi:[1,1,0] neg_lo:[0,0,1] neg_hi:[0,0,1]
	v_pk_fma_f32 v[28:29], v[28:29], v[38:39], v[42:43] op_sel:[0,0,1] op_sel_hi:[1,0,0]
	v_dual_mul_f32 v42, v31, v41 :: v_dual_mov_b32 v28, v31
	v_dual_mov_b32 v45, v29 :: v_dual_mov_b32 v29, v30
	s_delay_alu instid0(VALU_DEP_2) | instskip(SKIP_1) | instid1(VALU_DEP_3)
	v_pk_fma_f32 v[42:43], v[30:31], v[4:5], v[42:43] op_sel_hi:[1,1,0] neg_lo:[0,0,1] neg_hi:[0,0,1]
	v_mul_f32_e32 v30, v31, v38
	v_pk_add_f32 v[8:9], v[8:9], v[44:45] neg_lo:[0,1] neg_hi:[0,1]
	s_delay_alu instid0(VALU_DEP_2) | instskip(NEXT) | instid1(VALU_DEP_1)
	v_pk_fma_f32 v[28:29], v[28:29], v[4:5], v[30:31] op_sel_hi:[1,1,0]
	v_mov_b32_e32 v43, v29
	ds_load_2addr_b64 v[28:31], v32 offset0:8 offset1:9
	v_pk_add_f32 v[14:15], v[14:15], v[42:43] neg_lo:[0,1] neg_hi:[0,1]
	s_wait_dscnt 0x0
	v_pk_mul_f32 v[42:43], v[28:29], v[40:41] op_sel:[0,1]
	s_delay_alu instid0(VALU_DEP_1) | instskip(SKIP_1) | instid1(VALU_DEP_1)
	v_pk_fma_f32 v[44:45], v[28:29], v[38:39], v[42:43] op_sel:[0,0,1] op_sel_hi:[1,1,0] neg_lo:[0,0,1] neg_hi:[0,0,1]
	v_pk_fma_f32 v[28:29], v[28:29], v[38:39], v[42:43] op_sel:[0,0,1] op_sel_hi:[1,0,0]
	v_mov_b32_e32 v45, v29
	v_pk_mul_f32 v[28:29], v[30:31], v[40:41] op_sel:[0,1]
	s_delay_alu instid0(VALU_DEP_1) | instskip(SKIP_1) | instid1(VALU_DEP_1)
	v_pk_fma_f32 v[42:43], v[30:31], v[38:39], v[28:29] op_sel:[0,0,1] op_sel_hi:[1,1,0] neg_lo:[0,0,1] neg_hi:[0,0,1]
	v_pk_fma_f32 v[28:29], v[30:31], v[38:39], v[28:29] op_sel:[0,0,1] op_sel_hi:[1,0,0]
	v_mov_b32_e32 v43, v29
	ds_load_b64 v[28:29], v32 offset:80
	v_pk_add_f32 v[12:13], v[12:13], v[44:45] neg_lo:[0,1] neg_hi:[0,1]
	v_pk_add_f32 v[10:11], v[10:11], v[42:43] neg_lo:[0,1] neg_hi:[0,1]
	s_wait_dscnt 0x0
	v_pk_mul_f32 v[30:31], v[28:29], v[40:41] op_sel:[0,1]
	s_delay_alu instid0(VALU_DEP_1) | instskip(SKIP_1) | instid1(VALU_DEP_1)
	v_pk_fma_f32 v[40:41], v[28:29], v[38:39], v[30:31] op_sel:[0,0,1] op_sel_hi:[1,1,0] neg_lo:[0,0,1] neg_hi:[0,0,1]
	v_pk_fma_f32 v[28:29], v[28:29], v[38:39], v[30:31] op_sel:[0,0,1] op_sel_hi:[1,0,0]
	v_mov_b32_e32 v41, v29
	s_delay_alu instid0(VALU_DEP_1)
	v_pk_add_f32 v[26:27], v[26:27], v[40:41] neg_lo:[0,1] neg_hi:[0,1]
.LBB20_83:
	s_or_b32 exec_lo, exec_lo, s0
	v_lshl_add_u32 v28, v36, 3, v32
	s_barrier_signal -1
	s_barrier_wait -1
	ds_store_b64 v28, v[18:19]
	s_wait_dscnt 0x0
	s_barrier_signal -1
	s_barrier_wait -1
	ds_load_b64 v[28:29], v32 offset:32
	v_mov_b32_e32 v30, 4
	s_cmp_lt_i32 s14, 6
	s_cbranch_scc1 .LBB20_86
; %bb.84:
	v_add3_u32 v31, v33, 0, 40
	v_mov_b32_e32 v30, 4
	s_mov_b32 s0, 5
.LBB20_85:                              ; =>This Inner Loop Header: Depth=1
	ds_load_b64 v[38:39], v31
	s_wait_dscnt 0x1
	v_cmp_gt_f32_e32 vcc_lo, 0, v28
	v_cndmask_b32_e64 v40, v28, -v28, vcc_lo
	v_cmp_gt_f32_e32 vcc_lo, 0, v29
	v_cndmask_b32_e64 v42, v29, -v29, vcc_lo
	s_wait_dscnt 0x0
	v_cmp_gt_f32_e32 vcc_lo, 0, v38
	v_cndmask_b32_e64 v41, v38, -v38, vcc_lo
	v_cmp_gt_f32_e32 vcc_lo, 0, v39
	v_cndmask_b32_e64 v43, v39, -v39, vcc_lo
	s_delay_alu instid0(VALU_DEP_1) | instskip(NEXT) | instid1(VALU_DEP_1)
	v_pk_add_f32 v[40:41], v[40:41], v[42:43]
	v_cmp_lt_f32_e32 vcc_lo, v40, v41
	v_dual_cndmask_b32 v28, v28, v38 :: v_dual_add_nc_u32 v31, 8, v31
	v_cndmask_b32_e32 v29, v29, v39, vcc_lo
	v_cndmask_b32_e64 v30, v30, s0, vcc_lo
	s_add_co_i32 s0, s0, 1
	s_delay_alu instid0(SALU_CYCLE_1)
	s_cmp_lg_u32 s14, s0
	s_cbranch_scc1 .LBB20_85
.LBB20_86:
	s_wait_dscnt 0x0
	v_cmp_eq_f32_e32 vcc_lo, 0, v28
	v_cmp_eq_f32_e64 s0, 0, v29
	s_and_b32 s0, vcc_lo, s0
	s_delay_alu instid0(SALU_CYCLE_1) | instskip(NEXT) | instid1(SALU_CYCLE_1)
	s_and_saveexec_b32 s1, s0
	s_xor_b32 s0, exec_lo, s1
; %bb.87:
	v_cmp_ne_u32_e32 vcc_lo, 0, v35
	v_cndmask_b32_e32 v35, 5, v35, vcc_lo
; %bb.88:
	s_and_not1_saveexec_b32 s0, s0
	s_cbranch_execz .LBB20_94
; %bb.89:
	v_cmp_ngt_f32_e64 s1, |v28|, |v29|
	s_and_saveexec_b32 s15, s1
	s_delay_alu instid0(SALU_CYCLE_1)
	s_xor_b32 s1, exec_lo, s15
	s_cbranch_execz .LBB20_91
; %bb.90:
	v_div_scale_f32 v31, null, v29, v29, v28
	v_div_scale_f32 v39, vcc_lo, v28, v29, v28
	s_delay_alu instid0(VALU_DEP_2) | instskip(SKIP_1) | instid1(TRANS32_DEP_1)
	v_rcp_f32_e32 v37, v31
	v_nop
	v_fma_f32 v38, -v31, v37, 1.0
	s_delay_alu instid0(VALU_DEP_1) | instskip(NEXT) | instid1(VALU_DEP_1)
	v_fmac_f32_e32 v37, v38, v37
	v_mul_f32_e32 v38, v39, v37
	s_delay_alu instid0(VALU_DEP_1) | instskip(NEXT) | instid1(VALU_DEP_1)
	v_fma_f32 v40, -v31, v38, v39
	v_fmac_f32_e32 v38, v40, v37
	s_delay_alu instid0(VALU_DEP_1) | instskip(NEXT) | instid1(VALU_DEP_1)
	v_fma_f32 v31, -v31, v38, v39
	v_div_fmas_f32 v31, v31, v37, v38
	s_delay_alu instid0(VALU_DEP_1) | instskip(NEXT) | instid1(VALU_DEP_1)
	v_div_fixup_f32 v31, v31, v29, v28
	v_fmac_f32_e32 v29, v28, v31
	s_delay_alu instid0(VALU_DEP_1) | instskip(SKIP_1) | instid1(VALU_DEP_2)
	v_div_scale_f32 v28, null, v29, v29, 1.0
	v_div_scale_f32 v39, vcc_lo, 1.0, v29, 1.0
	v_rcp_f32_e32 v37, v28
	v_nop
	s_delay_alu instid0(TRANS32_DEP_1) | instskip(NEXT) | instid1(VALU_DEP_1)
	v_fma_f32 v38, -v28, v37, 1.0
	v_fmac_f32_e32 v37, v38, v37
	s_delay_alu instid0(VALU_DEP_1) | instskip(NEXT) | instid1(VALU_DEP_1)
	v_mul_f32_e32 v38, v39, v37
	v_fma_f32 v40, -v28, v38, v39
	s_delay_alu instid0(VALU_DEP_1) | instskip(NEXT) | instid1(VALU_DEP_1)
	v_fmac_f32_e32 v38, v40, v37
	v_fma_f32 v28, -v28, v38, v39
	s_delay_alu instid0(VALU_DEP_1) | instskip(NEXT) | instid1(VALU_DEP_1)
	v_div_fmas_f32 v28, v28, v37, v38
	v_div_fixup_f32 v29, v28, v29, 1.0
	s_delay_alu instid0(VALU_DEP_1)
	v_mul_f32_e32 v28, v31, v29
	v_xor_b32_e32 v29, 0x80000000, v29
.LBB20_91:
	s_and_not1_saveexec_b32 s1, s1
	s_cbranch_execz .LBB20_93
; %bb.92:
	s_delay_alu instid0(VALU_DEP_1) | instskip(SKIP_1) | instid1(VALU_DEP_2)
	v_div_scale_f32 v31, null, v28, v28, v29
	v_div_scale_f32 v39, vcc_lo, v29, v28, v29
	v_rcp_f32_e32 v37, v31
	v_nop
	s_delay_alu instid0(TRANS32_DEP_1) | instskip(NEXT) | instid1(VALU_DEP_1)
	v_fma_f32 v38, -v31, v37, 1.0
	v_fmac_f32_e32 v37, v38, v37
	s_delay_alu instid0(VALU_DEP_1) | instskip(NEXT) | instid1(VALU_DEP_1)
	v_mul_f32_e32 v38, v39, v37
	v_fma_f32 v40, -v31, v38, v39
	s_delay_alu instid0(VALU_DEP_1) | instskip(NEXT) | instid1(VALU_DEP_1)
	v_fmac_f32_e32 v38, v40, v37
	v_fma_f32 v31, -v31, v38, v39
	s_delay_alu instid0(VALU_DEP_1) | instskip(NEXT) | instid1(VALU_DEP_1)
	v_div_fmas_f32 v31, v31, v37, v38
	v_div_fixup_f32 v31, v31, v28, v29
	s_delay_alu instid0(VALU_DEP_1) | instskip(NEXT) | instid1(VALU_DEP_1)
	v_fmac_f32_e32 v28, v29, v31
	v_div_scale_f32 v29, null, v28, v28, 1.0
	s_delay_alu instid0(VALU_DEP_1) | instskip(SKIP_1) | instid1(TRANS32_DEP_1)
	v_rcp_f32_e32 v37, v29
	v_nop
	v_fma_f32 v38, -v29, v37, 1.0
	s_delay_alu instid0(VALU_DEP_1) | instskip(SKIP_1) | instid1(VALU_DEP_1)
	v_fmac_f32_e32 v37, v38, v37
	v_div_scale_f32 v38, vcc_lo, 1.0, v28, 1.0
	v_mul_f32_e32 v39, v38, v37
	s_delay_alu instid0(VALU_DEP_1) | instskip(NEXT) | instid1(VALU_DEP_1)
	v_fma_f32 v40, -v29, v39, v38
	v_fmac_f32_e32 v39, v40, v37
	s_delay_alu instid0(VALU_DEP_1) | instskip(NEXT) | instid1(VALU_DEP_1)
	v_fma_f32 v29, -v29, v39, v38
	v_div_fmas_f32 v29, v29, v37, v39
	s_delay_alu instid0(VALU_DEP_1) | instskip(NEXT) | instid1(VALU_DEP_1)
	v_div_fixup_f32 v28, v29, v28, 1.0
	v_mul_f32_e64 v29, v31, -v28
.LBB20_93:
	s_or_b32 exec_lo, exec_lo, s1
.LBB20_94:
	s_delay_alu instid0(SALU_CYCLE_1) | instskip(NEXT) | instid1(SALU_CYCLE_1)
	s_or_b32 exec_lo, exec_lo, s0
	s_mov_b32 s0, exec_lo
	v_cmpx_ne_u32_e64 v36, v30
	s_xor_b32 s0, exec_lo, s0
	s_cbranch_execz .LBB20_100
; %bb.95:
	s_mov_b32 s1, exec_lo
	v_cmpx_eq_u32_e32 4, v36
	s_cbranch_execz .LBB20_99
; %bb.96:
	v_cmp_ne_u32_e32 vcc_lo, 4, v30
	s_xor_b32 s15, s12, -1
	s_delay_alu instid0(SALU_CYCLE_1) | instskip(NEXT) | instid1(SALU_CYCLE_1)
	s_and_b32 s16, s15, vcc_lo
	s_and_saveexec_b32 s15, s16
	s_cbranch_execz .LBB20_98
; %bb.97:
	v_ashrrev_i32_e32 v31, 31, v30
	s_delay_alu instid0(VALU_DEP_1)
	v_lshl_add_u64 v[36:37], v[30:31], 2, v[24:25]
	s_clause 0x1
	global_load_b32 v31, v[36:37], off
	global_load_b32 v34, v[24:25], off offset:16
	s_wait_loadcnt 0x1
	global_store_b32 v[24:25], v31, off offset:16
	s_wait_loadcnt 0x0
	global_store_b32 v[36:37], v34, off
.LBB20_98:
	s_wait_xcnt 0x0
	s_or_b32 exec_lo, exec_lo, s15
	v_dual_mov_b32 v36, v30 :: v_dual_mov_b32 v34, v30
.LBB20_99:
	s_or_b32 exec_lo, exec_lo, s1
.LBB20_100:
	s_and_not1_saveexec_b32 s0, s0
	s_cbranch_execz .LBB20_102
; %bb.101:
	v_mov_b32_e32 v36, 4
	ds_store_2addr_b64 v32, v[16:17], v[8:9] offset0:5 offset1:6
	ds_store_2addr_b64 v32, v[14:15], v[12:13] offset0:7 offset1:8
	;; [unrolled: 1-line block ×3, first 2 shown]
.LBB20_102:
	s_or_b32 exec_lo, exec_lo, s0
	s_delay_alu instid0(SALU_CYCLE_1)
	s_mov_b32 s0, exec_lo
	s_wait_storecnt_dscnt 0x0
	s_barrier_signal -1
	s_barrier_wait -1
	v_cmpx_lt_i32_e32 4, v36
	s_cbranch_execz .LBB20_104
; %bb.103:
	v_pk_mul_f32 v[30:31], v[28:29], v[18:19] op_sel:[1,1] op_sel_hi:[0,1]
	s_delay_alu instid0(VALU_DEP_1)
	v_pk_fma_f32 v[38:39], v[28:29], v[18:19], v[30:31] op_sel_hi:[1,0,1] neg_lo:[0,0,1] neg_hi:[0,0,1]
	v_pk_fma_f32 v[40:41], v[28:29], v[18:19], v[30:31] op_sel_hi:[1,0,1]
	ds_load_2addr_b64 v[28:31], v32 offset0:5 offset1:6
	v_dual_mov_b32 v18, v38 :: v_dual_mov_b32 v19, v41
	s_wait_dscnt 0x0
	v_pk_mul_f32 v[42:43], v[28:29], v[40:41] op_sel:[0,1]
	s_delay_alu instid0(VALU_DEP_1) | instskip(SKIP_1) | instid1(VALU_DEP_1)
	v_pk_fma_f32 v[44:45], v[28:29], v[38:39], v[42:43] op_sel:[0,0,1] op_sel_hi:[1,1,0] neg_lo:[0,0,1] neg_hi:[0,0,1]
	v_pk_fma_f32 v[28:29], v[28:29], v[38:39], v[42:43] op_sel:[0,0,1] op_sel_hi:[1,0,0]
	v_mov_b32_e32 v45, v29
	v_pk_mul_f32 v[28:29], v[30:31], v[40:41] op_sel:[0,1]
	s_delay_alu instid0(VALU_DEP_1) | instskip(SKIP_1) | instid1(VALU_DEP_1)
	v_pk_fma_f32 v[42:43], v[30:31], v[38:39], v[28:29] op_sel:[0,0,1] op_sel_hi:[1,1,0] neg_lo:[0,0,1] neg_hi:[0,0,1]
	v_pk_fma_f32 v[28:29], v[30:31], v[38:39], v[28:29] op_sel:[0,0,1] op_sel_hi:[1,0,0]
	v_mov_b32_e32 v43, v29
	ds_load_2addr_b64 v[28:31], v32 offset0:7 offset1:8
	v_pk_add_f32 v[16:17], v[16:17], v[44:45] neg_lo:[0,1] neg_hi:[0,1]
	v_pk_add_f32 v[8:9], v[8:9], v[42:43] neg_lo:[0,1] neg_hi:[0,1]
	s_wait_dscnt 0x0
	v_pk_mul_f32 v[42:43], v[28:29], v[40:41] op_sel:[0,1]
	s_delay_alu instid0(VALU_DEP_1) | instskip(SKIP_2) | instid1(VALU_DEP_2)
	v_pk_fma_f32 v[44:45], v[28:29], v[38:39], v[42:43] op_sel:[0,0,1] op_sel_hi:[1,1,0] neg_lo:[0,0,1] neg_hi:[0,0,1]
	v_pk_fma_f32 v[28:29], v[28:29], v[38:39], v[42:43] op_sel:[0,0,1] op_sel_hi:[1,0,0]
	v_dual_mul_f32 v42, v31, v41 :: v_dual_mov_b32 v28, v31
	v_dual_mov_b32 v45, v29 :: v_dual_mov_b32 v29, v30
	s_delay_alu instid0(VALU_DEP_2) | instskip(SKIP_1) | instid1(VALU_DEP_3)
	v_pk_fma_f32 v[42:43], v[30:31], v[18:19], v[42:43] op_sel_hi:[1,1,0] neg_lo:[0,0,1] neg_hi:[0,0,1]
	v_mul_f32_e32 v30, v31, v38
	v_pk_add_f32 v[14:15], v[14:15], v[44:45] neg_lo:[0,1] neg_hi:[0,1]
	s_delay_alu instid0(VALU_DEP_2) | instskip(NEXT) | instid1(VALU_DEP_1)
	v_pk_fma_f32 v[28:29], v[28:29], v[18:19], v[30:31] op_sel_hi:[1,1,0]
	v_mov_b32_e32 v43, v29
	ds_load_2addr_b64 v[28:31], v32 offset0:9 offset1:10
	v_pk_add_f32 v[12:13], v[12:13], v[42:43] neg_lo:[0,1] neg_hi:[0,1]
	s_wait_dscnt 0x0
	v_pk_mul_f32 v[42:43], v[28:29], v[40:41] op_sel:[0,1]
	v_mul_f32_e32 v40, v31, v41
	s_delay_alu instid0(VALU_DEP_2) | instskip(SKIP_2) | instid1(VALU_DEP_4)
	v_pk_fma_f32 v[44:45], v[28:29], v[38:39], v[42:43] op_sel:[0,0,1] op_sel_hi:[1,1,0] neg_lo:[0,0,1] neg_hi:[0,0,1]
	v_pk_fma_f32 v[28:29], v[28:29], v[38:39], v[42:43] op_sel:[0,0,1] op_sel_hi:[1,0,0]
	v_mov_b32_e32 v28, v31
	v_pk_fma_f32 v[40:41], v[30:31], v[18:19], v[40:41] op_sel_hi:[1,1,0] neg_lo:[0,0,1] neg_hi:[0,0,1]
	s_delay_alu instid0(VALU_DEP_3) | instskip(SKIP_1) | instid1(VALU_DEP_2)
	v_dual_mov_b32 v45, v29 :: v_dual_mov_b32 v29, v30
	v_mul_f32_e32 v30, v31, v38
	v_pk_add_f32 v[10:11], v[10:11], v[44:45] neg_lo:[0,1] neg_hi:[0,1]
	s_delay_alu instid0(VALU_DEP_2) | instskip(NEXT) | instid1(VALU_DEP_1)
	v_pk_fma_f32 v[28:29], v[28:29], v[18:19], v[30:31] op_sel_hi:[1,1,0]
	v_mov_b32_e32 v41, v29
	s_delay_alu instid0(VALU_DEP_1)
	v_pk_add_f32 v[26:27], v[26:27], v[40:41] neg_lo:[0,1] neg_hi:[0,1]
.LBB20_104:
	s_or_b32 exec_lo, exec_lo, s0
	v_lshl_add_u32 v28, v36, 3, v32
	s_barrier_signal -1
	s_barrier_wait -1
	ds_store_b64 v28, v[16:17]
	s_wait_dscnt 0x0
	s_barrier_signal -1
	s_barrier_wait -1
	ds_load_b64 v[28:29], v32 offset:40
	v_mov_b32_e32 v30, 5
	s_cmp_lt_i32 s14, 7
	s_cbranch_scc1 .LBB20_107
; %bb.105:
	v_add3_u32 v31, v33, 0, 48
	v_mov_b32_e32 v30, 5
	s_mov_b32 s0, 6
.LBB20_106:                             ; =>This Inner Loop Header: Depth=1
	ds_load_b64 v[38:39], v31
	s_wait_dscnt 0x1
	v_cmp_gt_f32_e32 vcc_lo, 0, v28
	v_cndmask_b32_e64 v40, v28, -v28, vcc_lo
	v_cmp_gt_f32_e32 vcc_lo, 0, v29
	v_cndmask_b32_e64 v42, v29, -v29, vcc_lo
	s_wait_dscnt 0x0
	v_cmp_gt_f32_e32 vcc_lo, 0, v38
	v_cndmask_b32_e64 v41, v38, -v38, vcc_lo
	v_cmp_gt_f32_e32 vcc_lo, 0, v39
	v_cndmask_b32_e64 v43, v39, -v39, vcc_lo
	s_delay_alu instid0(VALU_DEP_1) | instskip(NEXT) | instid1(VALU_DEP_1)
	v_pk_add_f32 v[40:41], v[40:41], v[42:43]
	v_cmp_lt_f32_e32 vcc_lo, v40, v41
	v_dual_cndmask_b32 v28, v28, v38 :: v_dual_add_nc_u32 v31, 8, v31
	v_cndmask_b32_e32 v29, v29, v39, vcc_lo
	v_cndmask_b32_e64 v30, v30, s0, vcc_lo
	s_add_co_i32 s0, s0, 1
	s_delay_alu instid0(SALU_CYCLE_1)
	s_cmp_lg_u32 s14, s0
	s_cbranch_scc1 .LBB20_106
.LBB20_107:
	s_wait_dscnt 0x0
	v_cmp_eq_f32_e32 vcc_lo, 0, v28
	v_cmp_eq_f32_e64 s0, 0, v29
	s_and_b32 s0, vcc_lo, s0
	s_delay_alu instid0(SALU_CYCLE_1) | instskip(NEXT) | instid1(SALU_CYCLE_1)
	s_and_saveexec_b32 s1, s0
	s_xor_b32 s0, exec_lo, s1
; %bb.108:
	v_cmp_ne_u32_e32 vcc_lo, 0, v35
	v_cndmask_b32_e32 v35, 6, v35, vcc_lo
; %bb.109:
	s_and_not1_saveexec_b32 s0, s0
	s_cbranch_execz .LBB20_115
; %bb.110:
	v_cmp_ngt_f32_e64 s1, |v28|, |v29|
	s_and_saveexec_b32 s15, s1
	s_delay_alu instid0(SALU_CYCLE_1)
	s_xor_b32 s1, exec_lo, s15
	s_cbranch_execz .LBB20_112
; %bb.111:
	v_div_scale_f32 v31, null, v29, v29, v28
	v_div_scale_f32 v39, vcc_lo, v28, v29, v28
	s_delay_alu instid0(VALU_DEP_2) | instskip(SKIP_1) | instid1(TRANS32_DEP_1)
	v_rcp_f32_e32 v37, v31
	v_nop
	v_fma_f32 v38, -v31, v37, 1.0
	s_delay_alu instid0(VALU_DEP_1) | instskip(NEXT) | instid1(VALU_DEP_1)
	v_fmac_f32_e32 v37, v38, v37
	v_mul_f32_e32 v38, v39, v37
	s_delay_alu instid0(VALU_DEP_1) | instskip(NEXT) | instid1(VALU_DEP_1)
	v_fma_f32 v40, -v31, v38, v39
	v_fmac_f32_e32 v38, v40, v37
	s_delay_alu instid0(VALU_DEP_1) | instskip(NEXT) | instid1(VALU_DEP_1)
	v_fma_f32 v31, -v31, v38, v39
	v_div_fmas_f32 v31, v31, v37, v38
	s_delay_alu instid0(VALU_DEP_1) | instskip(NEXT) | instid1(VALU_DEP_1)
	v_div_fixup_f32 v31, v31, v29, v28
	v_fmac_f32_e32 v29, v28, v31
	s_delay_alu instid0(VALU_DEP_1) | instskip(SKIP_1) | instid1(VALU_DEP_2)
	v_div_scale_f32 v28, null, v29, v29, 1.0
	v_div_scale_f32 v39, vcc_lo, 1.0, v29, 1.0
	v_rcp_f32_e32 v37, v28
	v_nop
	s_delay_alu instid0(TRANS32_DEP_1) | instskip(NEXT) | instid1(VALU_DEP_1)
	v_fma_f32 v38, -v28, v37, 1.0
	v_fmac_f32_e32 v37, v38, v37
	s_delay_alu instid0(VALU_DEP_1) | instskip(NEXT) | instid1(VALU_DEP_1)
	v_mul_f32_e32 v38, v39, v37
	v_fma_f32 v40, -v28, v38, v39
	s_delay_alu instid0(VALU_DEP_1) | instskip(NEXT) | instid1(VALU_DEP_1)
	v_fmac_f32_e32 v38, v40, v37
	v_fma_f32 v28, -v28, v38, v39
	s_delay_alu instid0(VALU_DEP_1) | instskip(NEXT) | instid1(VALU_DEP_1)
	v_div_fmas_f32 v28, v28, v37, v38
	v_div_fixup_f32 v29, v28, v29, 1.0
	s_delay_alu instid0(VALU_DEP_1)
	v_mul_f32_e32 v28, v31, v29
	v_xor_b32_e32 v29, 0x80000000, v29
.LBB20_112:
	s_and_not1_saveexec_b32 s1, s1
	s_cbranch_execz .LBB20_114
; %bb.113:
	s_delay_alu instid0(VALU_DEP_1) | instskip(SKIP_1) | instid1(VALU_DEP_2)
	v_div_scale_f32 v31, null, v28, v28, v29
	v_div_scale_f32 v39, vcc_lo, v29, v28, v29
	v_rcp_f32_e32 v37, v31
	v_nop
	s_delay_alu instid0(TRANS32_DEP_1) | instskip(NEXT) | instid1(VALU_DEP_1)
	v_fma_f32 v38, -v31, v37, 1.0
	v_fmac_f32_e32 v37, v38, v37
	s_delay_alu instid0(VALU_DEP_1) | instskip(NEXT) | instid1(VALU_DEP_1)
	v_mul_f32_e32 v38, v39, v37
	v_fma_f32 v40, -v31, v38, v39
	s_delay_alu instid0(VALU_DEP_1) | instskip(NEXT) | instid1(VALU_DEP_1)
	v_fmac_f32_e32 v38, v40, v37
	v_fma_f32 v31, -v31, v38, v39
	s_delay_alu instid0(VALU_DEP_1) | instskip(NEXT) | instid1(VALU_DEP_1)
	v_div_fmas_f32 v31, v31, v37, v38
	v_div_fixup_f32 v31, v31, v28, v29
	s_delay_alu instid0(VALU_DEP_1) | instskip(NEXT) | instid1(VALU_DEP_1)
	v_fmac_f32_e32 v28, v29, v31
	v_div_scale_f32 v29, null, v28, v28, 1.0
	s_delay_alu instid0(VALU_DEP_1) | instskip(SKIP_1) | instid1(TRANS32_DEP_1)
	v_rcp_f32_e32 v37, v29
	v_nop
	v_fma_f32 v38, -v29, v37, 1.0
	s_delay_alu instid0(VALU_DEP_1) | instskip(SKIP_1) | instid1(VALU_DEP_1)
	v_fmac_f32_e32 v37, v38, v37
	v_div_scale_f32 v38, vcc_lo, 1.0, v28, 1.0
	v_mul_f32_e32 v39, v38, v37
	s_delay_alu instid0(VALU_DEP_1) | instskip(NEXT) | instid1(VALU_DEP_1)
	v_fma_f32 v40, -v29, v39, v38
	v_fmac_f32_e32 v39, v40, v37
	s_delay_alu instid0(VALU_DEP_1) | instskip(NEXT) | instid1(VALU_DEP_1)
	v_fma_f32 v29, -v29, v39, v38
	v_div_fmas_f32 v29, v29, v37, v39
	s_delay_alu instid0(VALU_DEP_1) | instskip(NEXT) | instid1(VALU_DEP_1)
	v_div_fixup_f32 v28, v29, v28, 1.0
	v_mul_f32_e64 v29, v31, -v28
.LBB20_114:
	s_or_b32 exec_lo, exec_lo, s1
.LBB20_115:
	s_delay_alu instid0(SALU_CYCLE_1) | instskip(NEXT) | instid1(SALU_CYCLE_1)
	s_or_b32 exec_lo, exec_lo, s0
	s_mov_b32 s0, exec_lo
	v_cmpx_ne_u32_e64 v36, v30
	s_xor_b32 s0, exec_lo, s0
	s_cbranch_execz .LBB20_121
; %bb.116:
	s_mov_b32 s1, exec_lo
	v_cmpx_eq_u32_e32 5, v36
	s_cbranch_execz .LBB20_120
; %bb.117:
	v_cmp_ne_u32_e32 vcc_lo, 5, v30
	s_xor_b32 s15, s12, -1
	s_delay_alu instid0(SALU_CYCLE_1) | instskip(NEXT) | instid1(SALU_CYCLE_1)
	s_and_b32 s16, s15, vcc_lo
	s_and_saveexec_b32 s15, s16
	s_cbranch_execz .LBB20_119
; %bb.118:
	v_ashrrev_i32_e32 v31, 31, v30
	s_delay_alu instid0(VALU_DEP_1)
	v_lshl_add_u64 v[36:37], v[30:31], 2, v[24:25]
	s_clause 0x1
	global_load_b32 v31, v[36:37], off
	global_load_b32 v34, v[24:25], off offset:20
	s_wait_loadcnt 0x1
	global_store_b32 v[24:25], v31, off offset:20
	s_wait_loadcnt 0x0
	global_store_b32 v[36:37], v34, off
.LBB20_119:
	s_wait_xcnt 0x0
	s_or_b32 exec_lo, exec_lo, s15
	v_dual_mov_b32 v36, v30 :: v_dual_mov_b32 v34, v30
.LBB20_120:
	s_or_b32 exec_lo, exec_lo, s1
.LBB20_121:
	s_and_not1_saveexec_b32 s0, s0
	s_cbranch_execz .LBB20_123
; %bb.122:
	v_dual_mov_b32 v30, v8 :: v_dual_mov_b32 v31, v9
	v_dual_mov_b32 v38, v14 :: v_dual_mov_b32 v39, v15
	;; [unrolled: 1-line block ×4, first 2 shown]
	v_mov_b32_e32 v43, v11
	ds_store_2addr_b64 v32, v[30:31], v[38:39] offset0:6 offset1:7
	ds_store_2addr_b64 v32, v[40:41], v[42:43] offset0:8 offset1:9
	ds_store_b64 v32, v[26:27] offset:80
.LBB20_123:
	s_or_b32 exec_lo, exec_lo, s0
	s_delay_alu instid0(SALU_CYCLE_1)
	s_mov_b32 s0, exec_lo
	s_wait_storecnt_dscnt 0x0
	s_barrier_signal -1
	s_barrier_wait -1
	v_cmpx_lt_i32_e32 5, v36
	s_cbranch_execz .LBB20_125
; %bb.124:
	ds_load_2addr_b64 v[38:41], v32 offset0:6 offset1:7
	ds_load_2addr_b64 v[42:45], v32 offset0:8 offset1:9
	ds_load_b64 v[30:31], v32 offset:80
	v_pk_mul_f32 v[46:47], v[28:29], v[16:17] op_sel:[1,1] op_sel_hi:[0,1]
	s_delay_alu instid0(VALU_DEP_1) | instskip(SKIP_1) | instid1(VALU_DEP_1)
	v_pk_fma_f32 v[48:49], v[28:29], v[16:17], v[46:47] op_sel_hi:[1,0,1] neg_lo:[0,0,1] neg_hi:[0,0,1]
	v_pk_fma_f32 v[28:29], v[28:29], v[16:17], v[46:47] op_sel_hi:[1,0,1]
	v_dual_mov_b32 v16, v48 :: v_dual_mov_b32 v17, v29
	s_wait_dscnt 0x2
	s_delay_alu instid0(VALU_DEP_2)
	v_pk_mul_f32 v[46:47], v[38:39], v[28:29] op_sel:[0,1]
	v_pk_mul_f32 v[50:51], v[40:41], v[28:29] op_sel:[0,1]
	s_wait_dscnt 0x1
	v_pk_mul_f32 v[52:53], v[42:43], v[28:29] op_sel:[0,1]
	v_dual_mov_b32 v54, v45 :: v_dual_mov_b32 v55, v44
	v_dual_mul_f32 v56, v45, v29 :: v_dual_mul_f32 v58, v45, v48
	s_wait_dscnt 0x0
	v_pk_mul_f32 v[28:29], v[30:31], v[28:29] op_sel:[0,1]
	v_pk_fma_f32 v[60:61], v[38:39], v[48:49], v[46:47] op_sel:[0,0,1] op_sel_hi:[1,1,0] neg_lo:[0,0,1] neg_hi:[0,0,1]
	v_pk_fma_f32 v[38:39], v[38:39], v[48:49], v[46:47] op_sel:[0,0,1] op_sel_hi:[1,0,0]
	v_pk_fma_f32 v[46:47], v[40:41], v[48:49], v[50:51] op_sel:[0,0,1] op_sel_hi:[1,1,0] neg_lo:[0,0,1] neg_hi:[0,0,1]
	v_pk_fma_f32 v[40:41], v[40:41], v[48:49], v[50:51] op_sel:[0,0,1] op_sel_hi:[1,0,0]
	;; [unrolled: 2-line block ×3, first 2 shown]
	v_pk_fma_f32 v[52:53], v[54:55], v[16:17], v[58:59] op_sel_hi:[1,1,0]
	v_pk_fma_f32 v[54:55], v[30:31], v[48:49], v[28:29] op_sel:[0,0,1] op_sel_hi:[1,1,0] neg_lo:[0,0,1] neg_hi:[0,0,1]
	v_pk_fma_f32 v[28:29], v[30:31], v[48:49], v[28:29] op_sel:[0,0,1] op_sel_hi:[1,0,0]
	v_pk_fma_f32 v[44:45], v[44:45], v[16:17], v[56:57] op_sel_hi:[1,1,0] neg_lo:[0,0,1] neg_hi:[0,0,1]
	v_dual_mov_b32 v61, v39 :: v_dual_mov_b32 v47, v41
	v_dual_mov_b32 v51, v43 :: v_dual_mov_b32 v45, v53
	s_delay_alu instid0(VALU_DEP_4) | instskip(NEXT) | instid1(VALU_DEP_3)
	v_mov_b32_e32 v55, v29
	v_pk_add_f32 v[8:9], v[8:9], v[60:61] neg_lo:[0,1] neg_hi:[0,1]
	s_delay_alu instid0(VALU_DEP_4) | instskip(NEXT) | instid1(VALU_DEP_4)
	v_pk_add_f32 v[14:15], v[14:15], v[46:47] neg_lo:[0,1] neg_hi:[0,1]
	v_pk_add_f32 v[12:13], v[12:13], v[50:51] neg_lo:[0,1] neg_hi:[0,1]
	;; [unrolled: 1-line block ×4, first 2 shown]
.LBB20_125:
	s_or_b32 exec_lo, exec_lo, s0
	v_lshl_add_u32 v28, v36, 3, v32
	s_barrier_signal -1
	s_barrier_wait -1
	ds_store_b64 v28, v[8:9]
	s_wait_dscnt 0x0
	s_barrier_signal -1
	s_barrier_wait -1
	ds_load_b64 v[28:29], v32 offset:48
	v_mov_b32_e32 v30, 6
	s_cmp_lt_i32 s14, 8
	s_cbranch_scc1 .LBB20_128
; %bb.126:
	v_add3_u32 v31, v33, 0, 56
	v_mov_b32_e32 v30, 6
	s_mov_b32 s0, 7
.LBB20_127:                             ; =>This Inner Loop Header: Depth=1
	ds_load_b64 v[38:39], v31
	s_wait_dscnt 0x1
	v_cmp_gt_f32_e32 vcc_lo, 0, v28
	v_cndmask_b32_e64 v40, v28, -v28, vcc_lo
	v_cmp_gt_f32_e32 vcc_lo, 0, v29
	v_cndmask_b32_e64 v42, v29, -v29, vcc_lo
	s_wait_dscnt 0x0
	v_cmp_gt_f32_e32 vcc_lo, 0, v38
	v_cndmask_b32_e64 v41, v38, -v38, vcc_lo
	v_cmp_gt_f32_e32 vcc_lo, 0, v39
	v_cndmask_b32_e64 v43, v39, -v39, vcc_lo
	s_delay_alu instid0(VALU_DEP_1) | instskip(NEXT) | instid1(VALU_DEP_1)
	v_pk_add_f32 v[40:41], v[40:41], v[42:43]
	v_cmp_lt_f32_e32 vcc_lo, v40, v41
	v_dual_cndmask_b32 v28, v28, v38 :: v_dual_add_nc_u32 v31, 8, v31
	v_cndmask_b32_e32 v29, v29, v39, vcc_lo
	v_cndmask_b32_e64 v30, v30, s0, vcc_lo
	s_add_co_i32 s0, s0, 1
	s_delay_alu instid0(SALU_CYCLE_1)
	s_cmp_lg_u32 s14, s0
	s_cbranch_scc1 .LBB20_127
.LBB20_128:
	s_wait_dscnt 0x0
	v_cmp_eq_f32_e32 vcc_lo, 0, v28
	v_cmp_eq_f32_e64 s0, 0, v29
	s_and_b32 s0, vcc_lo, s0
	s_delay_alu instid0(SALU_CYCLE_1) | instskip(NEXT) | instid1(SALU_CYCLE_1)
	s_and_saveexec_b32 s1, s0
	s_xor_b32 s0, exec_lo, s1
; %bb.129:
	v_cmp_ne_u32_e32 vcc_lo, 0, v35
	v_cndmask_b32_e32 v35, 7, v35, vcc_lo
; %bb.130:
	s_and_not1_saveexec_b32 s0, s0
	s_cbranch_execz .LBB20_136
; %bb.131:
	v_cmp_ngt_f32_e64 s1, |v28|, |v29|
	s_and_saveexec_b32 s15, s1
	s_delay_alu instid0(SALU_CYCLE_1)
	s_xor_b32 s1, exec_lo, s15
	s_cbranch_execz .LBB20_133
; %bb.132:
	v_div_scale_f32 v31, null, v29, v29, v28
	v_div_scale_f32 v39, vcc_lo, v28, v29, v28
	s_delay_alu instid0(VALU_DEP_2) | instskip(SKIP_1) | instid1(TRANS32_DEP_1)
	v_rcp_f32_e32 v37, v31
	v_nop
	v_fma_f32 v38, -v31, v37, 1.0
	s_delay_alu instid0(VALU_DEP_1) | instskip(NEXT) | instid1(VALU_DEP_1)
	v_fmac_f32_e32 v37, v38, v37
	v_mul_f32_e32 v38, v39, v37
	s_delay_alu instid0(VALU_DEP_1) | instskip(NEXT) | instid1(VALU_DEP_1)
	v_fma_f32 v40, -v31, v38, v39
	v_fmac_f32_e32 v38, v40, v37
	s_delay_alu instid0(VALU_DEP_1) | instskip(NEXT) | instid1(VALU_DEP_1)
	v_fma_f32 v31, -v31, v38, v39
	v_div_fmas_f32 v31, v31, v37, v38
	s_delay_alu instid0(VALU_DEP_1) | instskip(NEXT) | instid1(VALU_DEP_1)
	v_div_fixup_f32 v31, v31, v29, v28
	v_fmac_f32_e32 v29, v28, v31
	s_delay_alu instid0(VALU_DEP_1) | instskip(SKIP_1) | instid1(VALU_DEP_2)
	v_div_scale_f32 v28, null, v29, v29, 1.0
	v_div_scale_f32 v39, vcc_lo, 1.0, v29, 1.0
	v_rcp_f32_e32 v37, v28
	v_nop
	s_delay_alu instid0(TRANS32_DEP_1) | instskip(NEXT) | instid1(VALU_DEP_1)
	v_fma_f32 v38, -v28, v37, 1.0
	v_fmac_f32_e32 v37, v38, v37
	s_delay_alu instid0(VALU_DEP_1) | instskip(NEXT) | instid1(VALU_DEP_1)
	v_mul_f32_e32 v38, v39, v37
	v_fma_f32 v40, -v28, v38, v39
	s_delay_alu instid0(VALU_DEP_1) | instskip(NEXT) | instid1(VALU_DEP_1)
	v_fmac_f32_e32 v38, v40, v37
	v_fma_f32 v28, -v28, v38, v39
	s_delay_alu instid0(VALU_DEP_1) | instskip(NEXT) | instid1(VALU_DEP_1)
	v_div_fmas_f32 v28, v28, v37, v38
	v_div_fixup_f32 v29, v28, v29, 1.0
	s_delay_alu instid0(VALU_DEP_1)
	v_mul_f32_e32 v28, v31, v29
	v_xor_b32_e32 v29, 0x80000000, v29
.LBB20_133:
	s_and_not1_saveexec_b32 s1, s1
	s_cbranch_execz .LBB20_135
; %bb.134:
	s_delay_alu instid0(VALU_DEP_1) | instskip(SKIP_1) | instid1(VALU_DEP_2)
	v_div_scale_f32 v31, null, v28, v28, v29
	v_div_scale_f32 v39, vcc_lo, v29, v28, v29
	v_rcp_f32_e32 v37, v31
	v_nop
	s_delay_alu instid0(TRANS32_DEP_1) | instskip(NEXT) | instid1(VALU_DEP_1)
	v_fma_f32 v38, -v31, v37, 1.0
	v_fmac_f32_e32 v37, v38, v37
	s_delay_alu instid0(VALU_DEP_1) | instskip(NEXT) | instid1(VALU_DEP_1)
	v_mul_f32_e32 v38, v39, v37
	v_fma_f32 v40, -v31, v38, v39
	s_delay_alu instid0(VALU_DEP_1) | instskip(NEXT) | instid1(VALU_DEP_1)
	v_fmac_f32_e32 v38, v40, v37
	v_fma_f32 v31, -v31, v38, v39
	s_delay_alu instid0(VALU_DEP_1) | instskip(NEXT) | instid1(VALU_DEP_1)
	v_div_fmas_f32 v31, v31, v37, v38
	v_div_fixup_f32 v31, v31, v28, v29
	s_delay_alu instid0(VALU_DEP_1) | instskip(NEXT) | instid1(VALU_DEP_1)
	v_fmac_f32_e32 v28, v29, v31
	v_div_scale_f32 v29, null, v28, v28, 1.0
	s_delay_alu instid0(VALU_DEP_1) | instskip(SKIP_1) | instid1(TRANS32_DEP_1)
	v_rcp_f32_e32 v37, v29
	v_nop
	v_fma_f32 v38, -v29, v37, 1.0
	s_delay_alu instid0(VALU_DEP_1) | instskip(SKIP_1) | instid1(VALU_DEP_1)
	v_fmac_f32_e32 v37, v38, v37
	v_div_scale_f32 v38, vcc_lo, 1.0, v28, 1.0
	v_mul_f32_e32 v39, v38, v37
	s_delay_alu instid0(VALU_DEP_1) | instskip(NEXT) | instid1(VALU_DEP_1)
	v_fma_f32 v40, -v29, v39, v38
	v_fmac_f32_e32 v39, v40, v37
	s_delay_alu instid0(VALU_DEP_1) | instskip(NEXT) | instid1(VALU_DEP_1)
	v_fma_f32 v29, -v29, v39, v38
	v_div_fmas_f32 v29, v29, v37, v39
	s_delay_alu instid0(VALU_DEP_1) | instskip(NEXT) | instid1(VALU_DEP_1)
	v_div_fixup_f32 v28, v29, v28, 1.0
	v_mul_f32_e64 v29, v31, -v28
.LBB20_135:
	s_or_b32 exec_lo, exec_lo, s1
.LBB20_136:
	s_delay_alu instid0(SALU_CYCLE_1) | instskip(NEXT) | instid1(SALU_CYCLE_1)
	s_or_b32 exec_lo, exec_lo, s0
	s_mov_b32 s0, exec_lo
	v_cmpx_ne_u32_e64 v36, v30
	s_xor_b32 s0, exec_lo, s0
	s_cbranch_execz .LBB20_142
; %bb.137:
	s_mov_b32 s1, exec_lo
	v_cmpx_eq_u32_e32 6, v36
	s_cbranch_execz .LBB20_141
; %bb.138:
	v_cmp_ne_u32_e32 vcc_lo, 6, v30
	s_xor_b32 s15, s12, -1
	s_delay_alu instid0(SALU_CYCLE_1) | instskip(NEXT) | instid1(SALU_CYCLE_1)
	s_and_b32 s16, s15, vcc_lo
	s_and_saveexec_b32 s15, s16
	s_cbranch_execz .LBB20_140
; %bb.139:
	v_ashrrev_i32_e32 v31, 31, v30
	s_delay_alu instid0(VALU_DEP_1)
	v_lshl_add_u64 v[36:37], v[30:31], 2, v[24:25]
	s_clause 0x1
	global_load_b32 v31, v[36:37], off
	global_load_b32 v34, v[24:25], off offset:24
	s_wait_loadcnt 0x1
	global_store_b32 v[24:25], v31, off offset:24
	s_wait_loadcnt 0x0
	global_store_b32 v[36:37], v34, off
.LBB20_140:
	s_wait_xcnt 0x0
	s_or_b32 exec_lo, exec_lo, s15
	v_dual_mov_b32 v36, v30 :: v_dual_mov_b32 v34, v30
.LBB20_141:
	s_or_b32 exec_lo, exec_lo, s1
.LBB20_142:
	s_and_not1_saveexec_b32 s0, s0
	s_cbranch_execz .LBB20_144
; %bb.143:
	v_mov_b32_e32 v36, 6
	ds_store_2addr_b64 v32, v[14:15], v[12:13] offset0:7 offset1:8
	ds_store_2addr_b64 v32, v[10:11], v[26:27] offset0:9 offset1:10
.LBB20_144:
	s_or_b32 exec_lo, exec_lo, s0
	s_delay_alu instid0(SALU_CYCLE_1)
	s_mov_b32 s0, exec_lo
	s_wait_storecnt_dscnt 0x0
	s_barrier_signal -1
	s_barrier_wait -1
	v_cmpx_lt_i32_e32 6, v36
	s_cbranch_execz .LBB20_146
; %bb.145:
	ds_load_2addr_b64 v[38:41], v32 offset0:7 offset1:8
	ds_load_2addr_b64 v[42:45], v32 offset0:9 offset1:10
	v_pk_mul_f32 v[30:31], v[28:29], v[8:9] op_sel:[1,1] op_sel_hi:[0,1]
	s_delay_alu instid0(VALU_DEP_1) | instskip(SKIP_1) | instid1(VALU_DEP_1)
	v_pk_fma_f32 v[46:47], v[28:29], v[8:9], v[30:31] op_sel_hi:[1,0,1] neg_lo:[0,0,1] neg_hi:[0,0,1]
	v_pk_fma_f32 v[28:29], v[28:29], v[8:9], v[30:31] op_sel_hi:[1,0,1]
	v_dual_mov_b32 v8, v46 :: v_dual_mov_b32 v9, v29
	s_wait_dscnt 0x1
	s_delay_alu instid0(VALU_DEP_2)
	v_pk_mul_f32 v[30:31], v[38:39], v[28:29] op_sel:[0,1]
	s_wait_dscnt 0x0
	v_mov_b32_e32 v48, v45
	v_pk_mul_f32 v[50:51], v[40:41], v[28:29] op_sel:[0,1]
	v_pk_mul_f32 v[52:53], v[42:43], v[28:29] op_sel:[0,1]
	v_pk_fma_f32 v[54:55], v[38:39], v[46:47], v[30:31] op_sel:[0,0,1] op_sel_hi:[1,1,0] neg_lo:[0,0,1] neg_hi:[0,0,1]
	v_pk_fma_f32 v[30:31], v[38:39], v[46:47], v[30:31] op_sel:[0,0,1] op_sel_hi:[1,0,0]
	s_delay_alu instid0(VALU_DEP_1) | instskip(NEXT) | instid1(VALU_DEP_1)
	v_dual_mov_b32 v49, v44 :: v_dual_mov_b32 v55, v31
	v_pk_mul_f32 v[38:39], v[48:49], v[28:29] op_sel:[0,1]
	v_pk_fma_f32 v[48:49], v[40:41], v[46:47], v[50:51] op_sel:[0,0,1] op_sel_hi:[1,0,0]
	v_pk_fma_f32 v[40:41], v[40:41], v[46:47], v[50:51] op_sel:[0,0,1] op_sel_hi:[1,1,0] neg_lo:[0,0,1] neg_hi:[0,0,1]
	v_pk_fma_f32 v[50:51], v[42:43], v[46:47], v[52:53] op_sel:[0,0,1] op_sel_hi:[1,0,0]
	v_pk_fma_f32 v[42:43], v[42:43], v[46:47], v[52:53] op_sel:[0,0,1] op_sel_hi:[1,1,0] neg_lo:[0,0,1] neg_hi:[0,0,1]
	v_pk_fma_f32 v[30:31], v[44:45], v[46:47], v[38:39] op_sel_hi:[1,0,1]
	v_pk_fma_f32 v[38:39], v[44:45], v[46:47], v[38:39] neg_lo:[0,0,1] neg_hi:[0,0,1]
	s_delay_alu instid0(VALU_DEP_4) | instskip(SKIP_1) | instid1(VALU_DEP_4)
	v_dual_mov_b32 v41, v49 :: v_dual_mov_b32 v43, v51
	v_pk_add_f32 v[14:15], v[14:15], v[54:55] neg_lo:[0,1] neg_hi:[0,1]
	v_mov_b32_e32 v39, v31
	s_delay_alu instid0(VALU_DEP_3) | instskip(NEXT) | instid1(VALU_DEP_4)
	v_pk_add_f32 v[12:13], v[12:13], v[40:41] neg_lo:[0,1] neg_hi:[0,1]
	v_pk_add_f32 v[10:11], v[10:11], v[42:43] neg_lo:[0,1] neg_hi:[0,1]
	s_delay_alu instid0(VALU_DEP_3)
	v_pk_add_f32 v[26:27], v[26:27], v[38:39] neg_lo:[0,1] neg_hi:[0,1]
.LBB20_146:
	s_or_b32 exec_lo, exec_lo, s0
	v_lshl_add_u32 v28, v36, 3, v32
	s_barrier_signal -1
	s_barrier_wait -1
	ds_store_b64 v28, v[14:15]
	s_wait_dscnt 0x0
	s_barrier_signal -1
	s_barrier_wait -1
	ds_load_b64 v[28:29], v32 offset:56
	v_mov_b32_e32 v30, 7
	s_cmp_lt_i32 s14, 9
	s_cbranch_scc1 .LBB20_149
; %bb.147:
	v_add3_u32 v31, v33, 0, 64
	v_mov_b32_e32 v30, 7
	s_mov_b32 s0, 8
.LBB20_148:                             ; =>This Inner Loop Header: Depth=1
	ds_load_b64 v[38:39], v31
	s_wait_dscnt 0x1
	v_cmp_gt_f32_e32 vcc_lo, 0, v28
	v_cndmask_b32_e64 v40, v28, -v28, vcc_lo
	v_cmp_gt_f32_e32 vcc_lo, 0, v29
	v_cndmask_b32_e64 v42, v29, -v29, vcc_lo
	s_wait_dscnt 0x0
	v_cmp_gt_f32_e32 vcc_lo, 0, v38
	v_cndmask_b32_e64 v41, v38, -v38, vcc_lo
	v_cmp_gt_f32_e32 vcc_lo, 0, v39
	v_cndmask_b32_e64 v43, v39, -v39, vcc_lo
	s_delay_alu instid0(VALU_DEP_1) | instskip(NEXT) | instid1(VALU_DEP_1)
	v_pk_add_f32 v[40:41], v[40:41], v[42:43]
	v_cmp_lt_f32_e32 vcc_lo, v40, v41
	v_dual_cndmask_b32 v28, v28, v38 :: v_dual_add_nc_u32 v31, 8, v31
	v_cndmask_b32_e32 v29, v29, v39, vcc_lo
	v_cndmask_b32_e64 v30, v30, s0, vcc_lo
	s_add_co_i32 s0, s0, 1
	s_delay_alu instid0(SALU_CYCLE_1)
	s_cmp_lg_u32 s14, s0
	s_cbranch_scc1 .LBB20_148
.LBB20_149:
	s_wait_dscnt 0x0
	v_cmp_eq_f32_e32 vcc_lo, 0, v28
	v_cmp_eq_f32_e64 s0, 0, v29
	s_and_b32 s0, vcc_lo, s0
	s_delay_alu instid0(SALU_CYCLE_1) | instskip(NEXT) | instid1(SALU_CYCLE_1)
	s_and_saveexec_b32 s1, s0
	s_xor_b32 s0, exec_lo, s1
; %bb.150:
	v_cmp_ne_u32_e32 vcc_lo, 0, v35
	v_cndmask_b32_e32 v35, 8, v35, vcc_lo
; %bb.151:
	s_and_not1_saveexec_b32 s0, s0
	s_cbranch_execz .LBB20_157
; %bb.152:
	v_cmp_ngt_f32_e64 s1, |v28|, |v29|
	s_and_saveexec_b32 s15, s1
	s_delay_alu instid0(SALU_CYCLE_1)
	s_xor_b32 s1, exec_lo, s15
	s_cbranch_execz .LBB20_154
; %bb.153:
	v_div_scale_f32 v31, null, v29, v29, v28
	v_div_scale_f32 v39, vcc_lo, v28, v29, v28
	s_delay_alu instid0(VALU_DEP_2) | instskip(SKIP_1) | instid1(TRANS32_DEP_1)
	v_rcp_f32_e32 v37, v31
	v_nop
	v_fma_f32 v38, -v31, v37, 1.0
	s_delay_alu instid0(VALU_DEP_1) | instskip(NEXT) | instid1(VALU_DEP_1)
	v_fmac_f32_e32 v37, v38, v37
	v_mul_f32_e32 v38, v39, v37
	s_delay_alu instid0(VALU_DEP_1) | instskip(NEXT) | instid1(VALU_DEP_1)
	v_fma_f32 v40, -v31, v38, v39
	v_fmac_f32_e32 v38, v40, v37
	s_delay_alu instid0(VALU_DEP_1) | instskip(NEXT) | instid1(VALU_DEP_1)
	v_fma_f32 v31, -v31, v38, v39
	v_div_fmas_f32 v31, v31, v37, v38
	s_delay_alu instid0(VALU_DEP_1) | instskip(NEXT) | instid1(VALU_DEP_1)
	v_div_fixup_f32 v31, v31, v29, v28
	v_fmac_f32_e32 v29, v28, v31
	s_delay_alu instid0(VALU_DEP_1) | instskip(SKIP_1) | instid1(VALU_DEP_2)
	v_div_scale_f32 v28, null, v29, v29, 1.0
	v_div_scale_f32 v39, vcc_lo, 1.0, v29, 1.0
	v_rcp_f32_e32 v37, v28
	v_nop
	s_delay_alu instid0(TRANS32_DEP_1) | instskip(NEXT) | instid1(VALU_DEP_1)
	v_fma_f32 v38, -v28, v37, 1.0
	v_fmac_f32_e32 v37, v38, v37
	s_delay_alu instid0(VALU_DEP_1) | instskip(NEXT) | instid1(VALU_DEP_1)
	v_mul_f32_e32 v38, v39, v37
	v_fma_f32 v40, -v28, v38, v39
	s_delay_alu instid0(VALU_DEP_1) | instskip(NEXT) | instid1(VALU_DEP_1)
	v_fmac_f32_e32 v38, v40, v37
	v_fma_f32 v28, -v28, v38, v39
	s_delay_alu instid0(VALU_DEP_1) | instskip(NEXT) | instid1(VALU_DEP_1)
	v_div_fmas_f32 v28, v28, v37, v38
	v_div_fixup_f32 v29, v28, v29, 1.0
	s_delay_alu instid0(VALU_DEP_1)
	v_mul_f32_e32 v28, v31, v29
	v_xor_b32_e32 v29, 0x80000000, v29
.LBB20_154:
	s_and_not1_saveexec_b32 s1, s1
	s_cbranch_execz .LBB20_156
; %bb.155:
	s_delay_alu instid0(VALU_DEP_1) | instskip(SKIP_1) | instid1(VALU_DEP_2)
	v_div_scale_f32 v31, null, v28, v28, v29
	v_div_scale_f32 v39, vcc_lo, v29, v28, v29
	v_rcp_f32_e32 v37, v31
	v_nop
	s_delay_alu instid0(TRANS32_DEP_1) | instskip(NEXT) | instid1(VALU_DEP_1)
	v_fma_f32 v38, -v31, v37, 1.0
	v_fmac_f32_e32 v37, v38, v37
	s_delay_alu instid0(VALU_DEP_1) | instskip(NEXT) | instid1(VALU_DEP_1)
	v_mul_f32_e32 v38, v39, v37
	v_fma_f32 v40, -v31, v38, v39
	s_delay_alu instid0(VALU_DEP_1) | instskip(NEXT) | instid1(VALU_DEP_1)
	v_fmac_f32_e32 v38, v40, v37
	v_fma_f32 v31, -v31, v38, v39
	s_delay_alu instid0(VALU_DEP_1) | instskip(NEXT) | instid1(VALU_DEP_1)
	v_div_fmas_f32 v31, v31, v37, v38
	v_div_fixup_f32 v31, v31, v28, v29
	s_delay_alu instid0(VALU_DEP_1) | instskip(NEXT) | instid1(VALU_DEP_1)
	v_fmac_f32_e32 v28, v29, v31
	v_div_scale_f32 v29, null, v28, v28, 1.0
	s_delay_alu instid0(VALU_DEP_1) | instskip(SKIP_1) | instid1(TRANS32_DEP_1)
	v_rcp_f32_e32 v37, v29
	v_nop
	v_fma_f32 v38, -v29, v37, 1.0
	s_delay_alu instid0(VALU_DEP_1) | instskip(SKIP_1) | instid1(VALU_DEP_1)
	v_fmac_f32_e32 v37, v38, v37
	v_div_scale_f32 v38, vcc_lo, 1.0, v28, 1.0
	v_mul_f32_e32 v39, v38, v37
	s_delay_alu instid0(VALU_DEP_1) | instskip(NEXT) | instid1(VALU_DEP_1)
	v_fma_f32 v40, -v29, v39, v38
	v_fmac_f32_e32 v39, v40, v37
	s_delay_alu instid0(VALU_DEP_1) | instskip(NEXT) | instid1(VALU_DEP_1)
	v_fma_f32 v29, -v29, v39, v38
	v_div_fmas_f32 v29, v29, v37, v39
	s_delay_alu instid0(VALU_DEP_1) | instskip(NEXT) | instid1(VALU_DEP_1)
	v_div_fixup_f32 v28, v29, v28, 1.0
	v_mul_f32_e64 v29, v31, -v28
.LBB20_156:
	s_or_b32 exec_lo, exec_lo, s1
.LBB20_157:
	s_delay_alu instid0(SALU_CYCLE_1) | instskip(NEXT) | instid1(SALU_CYCLE_1)
	s_or_b32 exec_lo, exec_lo, s0
	s_mov_b32 s0, exec_lo
	v_cmpx_ne_u32_e64 v36, v30
	s_xor_b32 s0, exec_lo, s0
	s_cbranch_execz .LBB20_163
; %bb.158:
	s_mov_b32 s1, exec_lo
	v_cmpx_eq_u32_e32 7, v36
	s_cbranch_execz .LBB20_162
; %bb.159:
	v_cmp_ne_u32_e32 vcc_lo, 7, v30
	s_xor_b32 s15, s12, -1
	s_delay_alu instid0(SALU_CYCLE_1) | instskip(NEXT) | instid1(SALU_CYCLE_1)
	s_and_b32 s16, s15, vcc_lo
	s_and_saveexec_b32 s15, s16
	s_cbranch_execz .LBB20_161
; %bb.160:
	v_ashrrev_i32_e32 v31, 31, v30
	s_delay_alu instid0(VALU_DEP_1)
	v_lshl_add_u64 v[36:37], v[30:31], 2, v[24:25]
	s_clause 0x1
	global_load_b32 v31, v[36:37], off
	global_load_b32 v34, v[24:25], off offset:28
	s_wait_loadcnt 0x1
	global_store_b32 v[24:25], v31, off offset:28
	s_wait_loadcnt 0x0
	global_store_b32 v[36:37], v34, off
.LBB20_161:
	s_wait_xcnt 0x0
	s_or_b32 exec_lo, exec_lo, s15
	v_dual_mov_b32 v36, v30 :: v_dual_mov_b32 v34, v30
.LBB20_162:
	s_or_b32 exec_lo, exec_lo, s1
.LBB20_163:
	s_and_not1_saveexec_b32 s0, s0
	s_cbranch_execz .LBB20_165
; %bb.164:
	v_dual_mov_b32 v30, v12 :: v_dual_mov_b32 v31, v13
	v_dual_mov_b32 v38, v10 :: v_dual_mov_b32 v39, v11
	v_mov_b32_e32 v36, 7
	ds_store_2addr_b64 v32, v[30:31], v[38:39] offset0:8 offset1:9
	ds_store_b64 v32, v[26:27] offset:80
.LBB20_165:
	s_or_b32 exec_lo, exec_lo, s0
	s_delay_alu instid0(SALU_CYCLE_1)
	s_mov_b32 s0, exec_lo
	s_wait_storecnt_dscnt 0x0
	s_barrier_signal -1
	s_barrier_wait -1
	v_cmpx_lt_i32_e32 7, v36
	s_cbranch_execz .LBB20_167
; %bb.166:
	ds_load_2addr_b64 v[38:41], v32 offset0:8 offset1:9
	ds_load_b64 v[30:31], v32 offset:80
	v_pk_mul_f32 v[42:43], v[28:29], v[14:15] op_sel:[1,1] op_sel_hi:[0,1]
	s_delay_alu instid0(VALU_DEP_1) | instskip(SKIP_2) | instid1(VALU_DEP_2)
	v_pk_fma_f32 v[44:45], v[28:29], v[14:15], v[42:43] op_sel_hi:[1,0,1]
	v_pk_fma_f32 v[14:15], v[28:29], v[14:15], v[42:43] op_sel_hi:[1,0,1] neg_lo:[0,0,1] neg_hi:[0,0,1]
	s_wait_dscnt 0x1
	v_pk_mul_f32 v[28:29], v[38:39], v[44:45] op_sel:[0,1]
	v_pk_mul_f32 v[42:43], v[40:41], v[44:45] op_sel:[0,1]
	s_wait_dscnt 0x0
	v_pk_mul_f32 v[46:47], v[30:31], v[44:45] op_sel:[1,1] op_sel_hi:[0,1]
	s_delay_alu instid0(VALU_DEP_3) | instskip(SKIP_2) | instid1(VALU_DEP_4)
	v_pk_fma_f32 v[48:49], v[38:39], v[14:15], v[28:29] op_sel:[0,0,1] op_sel_hi:[1,1,0] neg_lo:[0,0,1] neg_hi:[0,0,1]
	v_pk_fma_f32 v[28:29], v[38:39], v[14:15], v[28:29] op_sel:[0,0,1] op_sel_hi:[1,0,0]
	v_pk_fma_f32 v[38:39], v[40:41], v[14:15], v[42:43] op_sel:[0,0,1] op_sel_hi:[1,0,0]
	v_pk_fma_f32 v[50:51], v[30:31], v[14:15], v[46:47] op_sel_hi:[1,0,1]
	v_pk_fma_f32 v[40:41], v[40:41], v[14:15], v[42:43] op_sel:[0,0,1] op_sel_hi:[1,1,0] neg_lo:[0,0,1] neg_hi:[0,0,1]
	v_pk_fma_f32 v[30:31], v[30:31], v[14:15], v[46:47] neg_lo:[0,0,1] neg_hi:[0,0,1]
	s_delay_alu instid0(VALU_DEP_4) | instskip(NEXT) | instid1(VALU_DEP_4)
	v_dual_mov_b32 v49, v29 :: v_dual_mov_b32 v41, v39
	v_dual_mov_b32 v31, v51 :: v_dual_mov_b32 v15, v45
	s_delay_alu instid0(VALU_DEP_2) | instskip(NEXT) | instid1(VALU_DEP_3)
	v_pk_add_f32 v[12:13], v[12:13], v[48:49] neg_lo:[0,1] neg_hi:[0,1]
	v_pk_add_f32 v[10:11], v[10:11], v[40:41] neg_lo:[0,1] neg_hi:[0,1]
	s_delay_alu instid0(VALU_DEP_3)
	v_pk_add_f32 v[26:27], v[26:27], v[30:31] neg_lo:[0,1] neg_hi:[0,1]
.LBB20_167:
	s_or_b32 exec_lo, exec_lo, s0
	v_lshl_add_u32 v28, v36, 3, v32
	s_barrier_signal -1
	s_barrier_wait -1
	ds_store_b64 v28, v[12:13]
	s_wait_dscnt 0x0
	s_barrier_signal -1
	s_barrier_wait -1
	ds_load_b64 v[28:29], v32 offset:64
	v_mov_b32_e32 v30, 8
	s_cmp_lt_i32 s14, 10
	s_cbranch_scc1 .LBB20_170
; %bb.168:
	v_add3_u32 v31, v33, 0, 0x48
	v_mov_b32_e32 v30, 8
	s_mov_b32 s0, 9
.LBB20_169:                             ; =>This Inner Loop Header: Depth=1
	ds_load_b64 v[38:39], v31
	s_wait_dscnt 0x1
	v_cmp_gt_f32_e32 vcc_lo, 0, v28
	v_cndmask_b32_e64 v40, v28, -v28, vcc_lo
	v_cmp_gt_f32_e32 vcc_lo, 0, v29
	v_cndmask_b32_e64 v42, v29, -v29, vcc_lo
	s_wait_dscnt 0x0
	v_cmp_gt_f32_e32 vcc_lo, 0, v38
	v_cndmask_b32_e64 v41, v38, -v38, vcc_lo
	v_cmp_gt_f32_e32 vcc_lo, 0, v39
	v_cndmask_b32_e64 v43, v39, -v39, vcc_lo
	s_delay_alu instid0(VALU_DEP_1) | instskip(NEXT) | instid1(VALU_DEP_1)
	v_pk_add_f32 v[40:41], v[40:41], v[42:43]
	v_cmp_lt_f32_e32 vcc_lo, v40, v41
	v_dual_cndmask_b32 v28, v28, v38 :: v_dual_add_nc_u32 v31, 8, v31
	v_cndmask_b32_e32 v29, v29, v39, vcc_lo
	v_cndmask_b32_e64 v30, v30, s0, vcc_lo
	s_add_co_i32 s0, s0, 1
	s_delay_alu instid0(SALU_CYCLE_1)
	s_cmp_lg_u32 s14, s0
	s_cbranch_scc1 .LBB20_169
.LBB20_170:
	s_wait_dscnt 0x0
	v_cmp_eq_f32_e32 vcc_lo, 0, v28
	v_cmp_eq_f32_e64 s0, 0, v29
	s_and_b32 s0, vcc_lo, s0
	s_delay_alu instid0(SALU_CYCLE_1) | instskip(NEXT) | instid1(SALU_CYCLE_1)
	s_and_saveexec_b32 s1, s0
	s_xor_b32 s0, exec_lo, s1
; %bb.171:
	v_cmp_ne_u32_e32 vcc_lo, 0, v35
	v_cndmask_b32_e32 v35, 9, v35, vcc_lo
; %bb.172:
	s_and_not1_saveexec_b32 s0, s0
	s_cbranch_execz .LBB20_178
; %bb.173:
	v_cmp_ngt_f32_e64 s1, |v28|, |v29|
	s_and_saveexec_b32 s15, s1
	s_delay_alu instid0(SALU_CYCLE_1)
	s_xor_b32 s1, exec_lo, s15
	s_cbranch_execz .LBB20_175
; %bb.174:
	v_div_scale_f32 v31, null, v29, v29, v28
	v_div_scale_f32 v39, vcc_lo, v28, v29, v28
	s_delay_alu instid0(VALU_DEP_2) | instskip(SKIP_1) | instid1(TRANS32_DEP_1)
	v_rcp_f32_e32 v37, v31
	v_nop
	v_fma_f32 v38, -v31, v37, 1.0
	s_delay_alu instid0(VALU_DEP_1) | instskip(NEXT) | instid1(VALU_DEP_1)
	v_fmac_f32_e32 v37, v38, v37
	v_mul_f32_e32 v38, v39, v37
	s_delay_alu instid0(VALU_DEP_1) | instskip(NEXT) | instid1(VALU_DEP_1)
	v_fma_f32 v40, -v31, v38, v39
	v_fmac_f32_e32 v38, v40, v37
	s_delay_alu instid0(VALU_DEP_1) | instskip(NEXT) | instid1(VALU_DEP_1)
	v_fma_f32 v31, -v31, v38, v39
	v_div_fmas_f32 v31, v31, v37, v38
	s_delay_alu instid0(VALU_DEP_1) | instskip(NEXT) | instid1(VALU_DEP_1)
	v_div_fixup_f32 v31, v31, v29, v28
	v_fmac_f32_e32 v29, v28, v31
	s_delay_alu instid0(VALU_DEP_1) | instskip(SKIP_1) | instid1(VALU_DEP_2)
	v_div_scale_f32 v28, null, v29, v29, 1.0
	v_div_scale_f32 v39, vcc_lo, 1.0, v29, 1.0
	v_rcp_f32_e32 v37, v28
	v_nop
	s_delay_alu instid0(TRANS32_DEP_1) | instskip(NEXT) | instid1(VALU_DEP_1)
	v_fma_f32 v38, -v28, v37, 1.0
	v_fmac_f32_e32 v37, v38, v37
	s_delay_alu instid0(VALU_DEP_1) | instskip(NEXT) | instid1(VALU_DEP_1)
	v_mul_f32_e32 v38, v39, v37
	v_fma_f32 v40, -v28, v38, v39
	s_delay_alu instid0(VALU_DEP_1) | instskip(NEXT) | instid1(VALU_DEP_1)
	v_fmac_f32_e32 v38, v40, v37
	v_fma_f32 v28, -v28, v38, v39
	s_delay_alu instid0(VALU_DEP_1) | instskip(NEXT) | instid1(VALU_DEP_1)
	v_div_fmas_f32 v28, v28, v37, v38
	v_div_fixup_f32 v29, v28, v29, 1.0
	s_delay_alu instid0(VALU_DEP_1)
	v_mul_f32_e32 v28, v31, v29
	v_xor_b32_e32 v29, 0x80000000, v29
.LBB20_175:
	s_and_not1_saveexec_b32 s1, s1
	s_cbranch_execz .LBB20_177
; %bb.176:
	s_delay_alu instid0(VALU_DEP_1) | instskip(SKIP_1) | instid1(VALU_DEP_2)
	v_div_scale_f32 v31, null, v28, v28, v29
	v_div_scale_f32 v39, vcc_lo, v29, v28, v29
	v_rcp_f32_e32 v37, v31
	v_nop
	s_delay_alu instid0(TRANS32_DEP_1) | instskip(NEXT) | instid1(VALU_DEP_1)
	v_fma_f32 v38, -v31, v37, 1.0
	v_fmac_f32_e32 v37, v38, v37
	s_delay_alu instid0(VALU_DEP_1) | instskip(NEXT) | instid1(VALU_DEP_1)
	v_mul_f32_e32 v38, v39, v37
	v_fma_f32 v40, -v31, v38, v39
	s_delay_alu instid0(VALU_DEP_1) | instskip(NEXT) | instid1(VALU_DEP_1)
	v_fmac_f32_e32 v38, v40, v37
	v_fma_f32 v31, -v31, v38, v39
	s_delay_alu instid0(VALU_DEP_1) | instskip(NEXT) | instid1(VALU_DEP_1)
	v_div_fmas_f32 v31, v31, v37, v38
	v_div_fixup_f32 v31, v31, v28, v29
	s_delay_alu instid0(VALU_DEP_1) | instskip(NEXT) | instid1(VALU_DEP_1)
	v_fmac_f32_e32 v28, v29, v31
	v_div_scale_f32 v29, null, v28, v28, 1.0
	s_delay_alu instid0(VALU_DEP_1) | instskip(SKIP_1) | instid1(TRANS32_DEP_1)
	v_rcp_f32_e32 v37, v29
	v_nop
	v_fma_f32 v38, -v29, v37, 1.0
	s_delay_alu instid0(VALU_DEP_1) | instskip(SKIP_1) | instid1(VALU_DEP_1)
	v_fmac_f32_e32 v37, v38, v37
	v_div_scale_f32 v38, vcc_lo, 1.0, v28, 1.0
	v_mul_f32_e32 v39, v38, v37
	s_delay_alu instid0(VALU_DEP_1) | instskip(NEXT) | instid1(VALU_DEP_1)
	v_fma_f32 v40, -v29, v39, v38
	v_fmac_f32_e32 v39, v40, v37
	s_delay_alu instid0(VALU_DEP_1) | instskip(NEXT) | instid1(VALU_DEP_1)
	v_fma_f32 v29, -v29, v39, v38
	v_div_fmas_f32 v29, v29, v37, v39
	s_delay_alu instid0(VALU_DEP_1) | instskip(NEXT) | instid1(VALU_DEP_1)
	v_div_fixup_f32 v28, v29, v28, 1.0
	v_mul_f32_e64 v29, v31, -v28
.LBB20_177:
	s_or_b32 exec_lo, exec_lo, s1
.LBB20_178:
	s_delay_alu instid0(SALU_CYCLE_1) | instskip(NEXT) | instid1(SALU_CYCLE_1)
	s_or_b32 exec_lo, exec_lo, s0
	s_mov_b32 s0, exec_lo
	v_cmpx_ne_u32_e64 v36, v30
	s_xor_b32 s0, exec_lo, s0
	s_cbranch_execz .LBB20_184
; %bb.179:
	s_mov_b32 s1, exec_lo
	v_cmpx_eq_u32_e32 8, v36
	s_cbranch_execz .LBB20_183
; %bb.180:
	v_cmp_ne_u32_e32 vcc_lo, 8, v30
	s_xor_b32 s15, s12, -1
	s_delay_alu instid0(SALU_CYCLE_1) | instskip(NEXT) | instid1(SALU_CYCLE_1)
	s_and_b32 s16, s15, vcc_lo
	s_and_saveexec_b32 s15, s16
	s_cbranch_execz .LBB20_182
; %bb.181:
	v_ashrrev_i32_e32 v31, 31, v30
	s_delay_alu instid0(VALU_DEP_1)
	v_lshl_add_u64 v[36:37], v[30:31], 2, v[24:25]
	s_clause 0x1
	global_load_b32 v31, v[36:37], off
	global_load_b32 v34, v[24:25], off offset:32
	s_wait_loadcnt 0x1
	global_store_b32 v[24:25], v31, off offset:32
	s_wait_loadcnt 0x0
	global_store_b32 v[36:37], v34, off
.LBB20_182:
	s_wait_xcnt 0x0
	s_or_b32 exec_lo, exec_lo, s15
	v_dual_mov_b32 v36, v30 :: v_dual_mov_b32 v34, v30
.LBB20_183:
	s_or_b32 exec_lo, exec_lo, s1
.LBB20_184:
	s_and_not1_saveexec_b32 s0, s0
; %bb.185:
	v_mov_b32_e32 v36, 8
	ds_store_2addr_b64 v32, v[10:11], v[26:27] offset0:9 offset1:10
; %bb.186:
	s_or_b32 exec_lo, exec_lo, s0
	s_delay_alu instid0(SALU_CYCLE_1)
	s_mov_b32 s0, exec_lo
	s_wait_storecnt_dscnt 0x0
	s_barrier_signal -1
	s_barrier_wait -1
	v_cmpx_lt_i32_e32 8, v36
	s_cbranch_execz .LBB20_188
; %bb.187:
	ds_load_2addr_b64 v[38:41], v32 offset0:9 offset1:10
	v_pk_mul_f32 v[30:31], v[28:29], v[12:13] op_sel:[1,1] op_sel_hi:[0,1]
	s_delay_alu instid0(VALU_DEP_1) | instskip(SKIP_3) | instid1(VALU_DEP_3)
	v_pk_fma_f32 v[42:43], v[28:29], v[12:13], v[30:31] op_sel_hi:[1,0,1]
	v_pk_fma_f32 v[12:13], v[28:29], v[12:13], v[30:31] op_sel_hi:[1,0,1] neg_lo:[0,0,1] neg_hi:[0,0,1]
	s_wait_dscnt 0x0
	v_dual_mov_b32 v44, v41 :: v_dual_mov_b32 v45, v40
	v_pk_mul_f32 v[28:29], v[38:39], v[42:43] op_sel:[0,1]
	s_delay_alu instid0(VALU_DEP_2) | instskip(NEXT) | instid1(VALU_DEP_2)
	v_pk_mul_f32 v[30:31], v[44:45], v[42:43] op_sel:[0,1]
	v_pk_fma_f32 v[44:45], v[38:39], v[12:13], v[28:29] op_sel:[0,0,1] op_sel_hi:[1,0,0]
	v_pk_fma_f32 v[28:29], v[38:39], v[12:13], v[28:29] op_sel:[0,0,1] op_sel_hi:[1,1,0] neg_lo:[0,0,1] neg_hi:[0,0,1]
	s_delay_alu instid0(VALU_DEP_3) | instskip(SKIP_1) | instid1(VALU_DEP_4)
	v_pk_fma_f32 v[46:47], v[40:41], v[12:13], v[30:31] op_sel_hi:[1,0,1]
	v_pk_fma_f32 v[30:31], v[40:41], v[12:13], v[30:31] neg_lo:[0,0,1] neg_hi:[0,0,1]
	v_dual_mov_b32 v29, v45 :: v_dual_mov_b32 v13, v43
	s_delay_alu instid0(VALU_DEP_3) | instskip(NEXT) | instid1(VALU_DEP_2)
	v_mov_b32_e32 v31, v47
	v_pk_add_f32 v[10:11], v[10:11], v[28:29] neg_lo:[0,1] neg_hi:[0,1]
	s_delay_alu instid0(VALU_DEP_2)
	v_pk_add_f32 v[26:27], v[26:27], v[30:31] neg_lo:[0,1] neg_hi:[0,1]
.LBB20_188:
	s_or_b32 exec_lo, exec_lo, s0
	v_lshl_add_u32 v28, v36, 3, v32
	s_barrier_signal -1
	s_barrier_wait -1
	ds_store_b64 v28, v[10:11]
	s_wait_dscnt 0x0
	s_barrier_signal -1
	s_barrier_wait -1
	ds_load_b64 v[28:29], v32 offset:72
	v_mov_b32_e32 v30, 9
	s_cmp_lt_i32 s14, 11
	s_cbranch_scc1 .LBB20_191
; %bb.189:
	v_add3_u32 v31, v33, 0, 0x50
	v_mov_b32_e32 v30, 9
	s_mov_b32 s0, 10
.LBB20_190:                             ; =>This Inner Loop Header: Depth=1
	ds_load_b64 v[38:39], v31
	s_wait_dscnt 0x1
	v_cmp_gt_f32_e32 vcc_lo, 0, v28
	v_cndmask_b32_e64 v40, v28, -v28, vcc_lo
	v_cmp_gt_f32_e32 vcc_lo, 0, v29
	v_cndmask_b32_e64 v42, v29, -v29, vcc_lo
	s_wait_dscnt 0x0
	v_cmp_gt_f32_e32 vcc_lo, 0, v38
	v_cndmask_b32_e64 v41, v38, -v38, vcc_lo
	v_cmp_gt_f32_e32 vcc_lo, 0, v39
	v_cndmask_b32_e64 v43, v39, -v39, vcc_lo
	s_delay_alu instid0(VALU_DEP_1) | instskip(NEXT) | instid1(VALU_DEP_1)
	v_pk_add_f32 v[40:41], v[40:41], v[42:43]
	v_cmp_lt_f32_e32 vcc_lo, v40, v41
	v_dual_cndmask_b32 v28, v28, v38 :: v_dual_add_nc_u32 v31, 8, v31
	v_cndmask_b32_e32 v29, v29, v39, vcc_lo
	v_cndmask_b32_e64 v30, v30, s0, vcc_lo
	s_add_co_i32 s0, s0, 1
	s_delay_alu instid0(SALU_CYCLE_1)
	s_cmp_lg_u32 s14, s0
	s_cbranch_scc1 .LBB20_190
.LBB20_191:
	s_wait_dscnt 0x0
	v_cmp_eq_f32_e32 vcc_lo, 0, v28
	v_cmp_eq_f32_e64 s0, 0, v29
	s_and_b32 s0, vcc_lo, s0
	s_delay_alu instid0(SALU_CYCLE_1) | instskip(NEXT) | instid1(SALU_CYCLE_1)
	s_and_saveexec_b32 s1, s0
	s_xor_b32 s0, exec_lo, s1
; %bb.192:
	v_cmp_ne_u32_e32 vcc_lo, 0, v35
	v_cndmask_b32_e32 v35, 10, v35, vcc_lo
; %bb.193:
	s_and_not1_saveexec_b32 s0, s0
	s_cbranch_execz .LBB20_199
; %bb.194:
	v_cmp_ngt_f32_e64 s1, |v28|, |v29|
	s_and_saveexec_b32 s15, s1
	s_delay_alu instid0(SALU_CYCLE_1)
	s_xor_b32 s1, exec_lo, s15
	s_cbranch_execz .LBB20_196
; %bb.195:
	v_div_scale_f32 v31, null, v29, v29, v28
	v_div_scale_f32 v39, vcc_lo, v28, v29, v28
	s_delay_alu instid0(VALU_DEP_2) | instskip(SKIP_1) | instid1(TRANS32_DEP_1)
	v_rcp_f32_e32 v37, v31
	v_nop
	v_fma_f32 v38, -v31, v37, 1.0
	s_delay_alu instid0(VALU_DEP_1) | instskip(NEXT) | instid1(VALU_DEP_1)
	v_fmac_f32_e32 v37, v38, v37
	v_mul_f32_e32 v38, v39, v37
	s_delay_alu instid0(VALU_DEP_1) | instskip(NEXT) | instid1(VALU_DEP_1)
	v_fma_f32 v40, -v31, v38, v39
	v_fmac_f32_e32 v38, v40, v37
	s_delay_alu instid0(VALU_DEP_1) | instskip(NEXT) | instid1(VALU_DEP_1)
	v_fma_f32 v31, -v31, v38, v39
	v_div_fmas_f32 v31, v31, v37, v38
	s_delay_alu instid0(VALU_DEP_1) | instskip(NEXT) | instid1(VALU_DEP_1)
	v_div_fixup_f32 v31, v31, v29, v28
	v_fmac_f32_e32 v29, v28, v31
	s_delay_alu instid0(VALU_DEP_1) | instskip(SKIP_1) | instid1(VALU_DEP_2)
	v_div_scale_f32 v28, null, v29, v29, 1.0
	v_div_scale_f32 v39, vcc_lo, 1.0, v29, 1.0
	v_rcp_f32_e32 v37, v28
	v_nop
	s_delay_alu instid0(TRANS32_DEP_1) | instskip(NEXT) | instid1(VALU_DEP_1)
	v_fma_f32 v38, -v28, v37, 1.0
	v_fmac_f32_e32 v37, v38, v37
	s_delay_alu instid0(VALU_DEP_1) | instskip(NEXT) | instid1(VALU_DEP_1)
	v_mul_f32_e32 v38, v39, v37
	v_fma_f32 v40, -v28, v38, v39
	s_delay_alu instid0(VALU_DEP_1) | instskip(NEXT) | instid1(VALU_DEP_1)
	v_fmac_f32_e32 v38, v40, v37
	v_fma_f32 v28, -v28, v38, v39
	s_delay_alu instid0(VALU_DEP_1) | instskip(NEXT) | instid1(VALU_DEP_1)
	v_div_fmas_f32 v28, v28, v37, v38
	v_div_fixup_f32 v29, v28, v29, 1.0
	s_delay_alu instid0(VALU_DEP_1)
	v_mul_f32_e32 v28, v31, v29
	v_xor_b32_e32 v29, 0x80000000, v29
.LBB20_196:
	s_and_not1_saveexec_b32 s1, s1
	s_cbranch_execz .LBB20_198
; %bb.197:
	s_delay_alu instid0(VALU_DEP_1) | instskip(SKIP_1) | instid1(VALU_DEP_2)
	v_div_scale_f32 v31, null, v28, v28, v29
	v_div_scale_f32 v39, vcc_lo, v29, v28, v29
	v_rcp_f32_e32 v37, v31
	v_nop
	s_delay_alu instid0(TRANS32_DEP_1) | instskip(NEXT) | instid1(VALU_DEP_1)
	v_fma_f32 v38, -v31, v37, 1.0
	v_fmac_f32_e32 v37, v38, v37
	s_delay_alu instid0(VALU_DEP_1) | instskip(NEXT) | instid1(VALU_DEP_1)
	v_mul_f32_e32 v38, v39, v37
	v_fma_f32 v40, -v31, v38, v39
	s_delay_alu instid0(VALU_DEP_1) | instskip(NEXT) | instid1(VALU_DEP_1)
	v_fmac_f32_e32 v38, v40, v37
	v_fma_f32 v31, -v31, v38, v39
	s_delay_alu instid0(VALU_DEP_1) | instskip(NEXT) | instid1(VALU_DEP_1)
	v_div_fmas_f32 v31, v31, v37, v38
	v_div_fixup_f32 v31, v31, v28, v29
	s_delay_alu instid0(VALU_DEP_1) | instskip(NEXT) | instid1(VALU_DEP_1)
	v_fmac_f32_e32 v28, v29, v31
	v_div_scale_f32 v29, null, v28, v28, 1.0
	s_delay_alu instid0(VALU_DEP_1) | instskip(SKIP_1) | instid1(TRANS32_DEP_1)
	v_rcp_f32_e32 v37, v29
	v_nop
	v_fma_f32 v38, -v29, v37, 1.0
	s_delay_alu instid0(VALU_DEP_1) | instskip(SKIP_1) | instid1(VALU_DEP_1)
	v_fmac_f32_e32 v37, v38, v37
	v_div_scale_f32 v38, vcc_lo, 1.0, v28, 1.0
	v_mul_f32_e32 v39, v38, v37
	s_delay_alu instid0(VALU_DEP_1) | instskip(NEXT) | instid1(VALU_DEP_1)
	v_fma_f32 v40, -v29, v39, v38
	v_fmac_f32_e32 v39, v40, v37
	s_delay_alu instid0(VALU_DEP_1) | instskip(NEXT) | instid1(VALU_DEP_1)
	v_fma_f32 v29, -v29, v39, v38
	v_div_fmas_f32 v29, v29, v37, v39
	s_delay_alu instid0(VALU_DEP_1) | instskip(NEXT) | instid1(VALU_DEP_1)
	v_div_fixup_f32 v28, v29, v28, 1.0
	v_mul_f32_e64 v29, v31, -v28
.LBB20_198:
	s_or_b32 exec_lo, exec_lo, s1
.LBB20_199:
	s_delay_alu instid0(SALU_CYCLE_1) | instskip(NEXT) | instid1(SALU_CYCLE_1)
	s_or_b32 exec_lo, exec_lo, s0
	s_mov_b32 s0, exec_lo
	v_cmpx_ne_u32_e64 v36, v30
	s_xor_b32 s0, exec_lo, s0
	s_cbranch_execz .LBB20_205
; %bb.200:
	s_mov_b32 s1, exec_lo
	v_cmpx_eq_u32_e32 9, v36
	s_cbranch_execz .LBB20_204
; %bb.201:
	v_cmp_ne_u32_e32 vcc_lo, 9, v30
	s_xor_b32 s15, s12, -1
	s_delay_alu instid0(SALU_CYCLE_1) | instskip(NEXT) | instid1(SALU_CYCLE_1)
	s_and_b32 s16, s15, vcc_lo
	s_and_saveexec_b32 s15, s16
	s_cbranch_execz .LBB20_203
; %bb.202:
	v_ashrrev_i32_e32 v31, 31, v30
	s_delay_alu instid0(VALU_DEP_1)
	v_lshl_add_u64 v[36:37], v[30:31], 2, v[24:25]
	s_clause 0x1
	global_load_b32 v31, v[36:37], off
	global_load_b32 v34, v[24:25], off offset:36
	s_wait_loadcnt 0x1
	global_store_b32 v[24:25], v31, off offset:36
	s_wait_loadcnt 0x0
	global_store_b32 v[36:37], v34, off
.LBB20_203:
	s_wait_xcnt 0x0
	s_or_b32 exec_lo, exec_lo, s15
	v_dual_mov_b32 v36, v30 :: v_dual_mov_b32 v34, v30
.LBB20_204:
	s_or_b32 exec_lo, exec_lo, s1
.LBB20_205:
	s_and_not1_saveexec_b32 s0, s0
; %bb.206:
	v_mov_b32_e32 v36, 9
	ds_store_b64 v32, v[26:27] offset:80
; %bb.207:
	s_or_b32 exec_lo, exec_lo, s0
	s_delay_alu instid0(SALU_CYCLE_1)
	s_mov_b32 s0, exec_lo
	s_wait_storecnt_dscnt 0x0
	s_barrier_signal -1
	s_barrier_wait -1
	v_cmpx_lt_i32_e32 9, v36
	s_cbranch_execz .LBB20_209
; %bb.208:
	ds_load_b64 v[30:31], v32 offset:80
	v_pk_mul_f32 v[38:39], v[28:29], v[10:11] op_sel:[1,1] op_sel_hi:[0,1]
	s_delay_alu instid0(VALU_DEP_1) | instskip(SKIP_2) | instid1(VALU_DEP_2)
	v_pk_fma_f32 v[40:41], v[28:29], v[10:11], v[38:39] op_sel_hi:[1,0,1]
	v_pk_fma_f32 v[10:11], v[28:29], v[10:11], v[38:39] op_sel_hi:[1,0,1] neg_lo:[0,0,1] neg_hi:[0,0,1]
	s_wait_dscnt 0x0
	v_pk_mul_f32 v[28:29], v[30:31], v[40:41] op_sel:[1,1] op_sel_hi:[0,1]
	s_delay_alu instid0(VALU_DEP_1) | instskip(SKIP_1) | instid1(VALU_DEP_2)
	v_pk_fma_f32 v[38:39], v[30:31], v[10:11], v[28:29] op_sel_hi:[1,0,1]
	v_pk_fma_f32 v[28:29], v[30:31], v[10:11], v[28:29] neg_lo:[0,0,1] neg_hi:[0,0,1]
	v_dual_mov_b32 v11, v41 :: v_dual_mov_b32 v29, v39
	s_delay_alu instid0(VALU_DEP_1)
	v_pk_add_f32 v[26:27], v[26:27], v[28:29] neg_lo:[0,1] neg_hi:[0,1]
.LBB20_209:
	s_or_b32 exec_lo, exec_lo, s0
	v_lshl_add_u32 v28, v36, 3, v32
	s_barrier_signal -1
	s_barrier_wait -1
	ds_store_b64 v28, v[26:27]
	s_wait_dscnt 0x0
	s_barrier_signal -1
	s_barrier_wait -1
	ds_load_b64 v[28:29], v32 offset:80
	v_mov_b32_e32 v30, 10
	s_cmp_lt_i32 s14, 12
	s_cbranch_scc1 .LBB20_212
; %bb.210:
	v_add3_u32 v31, v33, 0, 0x58
	v_mov_b32_e32 v30, 10
	s_mov_b32 s0, 11
.LBB20_211:                             ; =>This Inner Loop Header: Depth=1
	ds_load_b64 v[32:33], v31
	s_wait_dscnt 0x1
	v_cmp_gt_f32_e32 vcc_lo, 0, v28
	v_cndmask_b32_e64 v38, v28, -v28, vcc_lo
	v_cmp_gt_f32_e32 vcc_lo, 0, v29
	v_cndmask_b32_e64 v40, v29, -v29, vcc_lo
	s_wait_dscnt 0x0
	v_cmp_gt_f32_e32 vcc_lo, 0, v32
	v_cndmask_b32_e64 v39, v32, -v32, vcc_lo
	v_cmp_gt_f32_e32 vcc_lo, 0, v33
	v_cndmask_b32_e64 v41, v33, -v33, vcc_lo
	s_delay_alu instid0(VALU_DEP_1) | instskip(NEXT) | instid1(VALU_DEP_1)
	v_pk_add_f32 v[38:39], v[38:39], v[40:41]
	v_cmp_lt_f32_e32 vcc_lo, v38, v39
	v_dual_add_nc_u32 v31, 8, v31 :: v_dual_cndmask_b32 v29, v29, v33, vcc_lo
	v_cndmask_b32_e32 v28, v28, v32, vcc_lo
	v_cndmask_b32_e64 v30, v30, s0, vcc_lo
	s_add_co_i32 s0, s0, 1
	s_delay_alu instid0(SALU_CYCLE_1)
	s_cmp_lg_u32 s14, s0
	s_cbranch_scc1 .LBB20_211
.LBB20_212:
	s_wait_dscnt 0x0
	v_cmp_eq_f32_e32 vcc_lo, 0, v28
	v_cmp_eq_f32_e64 s0, 0, v29
	s_and_b32 s0, vcc_lo, s0
	s_delay_alu instid0(SALU_CYCLE_1) | instskip(NEXT) | instid1(SALU_CYCLE_1)
	s_and_saveexec_b32 s1, s0
	s_xor_b32 s0, exec_lo, s1
; %bb.213:
	v_cmp_ne_u32_e32 vcc_lo, 0, v35
	v_cndmask_b32_e32 v35, 11, v35, vcc_lo
; %bb.214:
	s_and_not1_saveexec_b32 s0, s0
	s_cbranch_execz .LBB20_220
; %bb.215:
	v_cmp_ngt_f32_e64 s1, |v28|, |v29|
	s_and_saveexec_b32 s14, s1
	s_delay_alu instid0(SALU_CYCLE_1)
	s_xor_b32 s1, exec_lo, s14
	s_cbranch_execz .LBB20_217
; %bb.216:
	v_div_scale_f32 v31, null, v29, v29, v28
	v_div_scale_f32 v37, vcc_lo, v28, v29, v28
	s_delay_alu instid0(VALU_DEP_2) | instskip(SKIP_1) | instid1(TRANS32_DEP_1)
	v_rcp_f32_e32 v32, v31
	v_nop
	v_fma_f32 v33, -v31, v32, 1.0
	s_delay_alu instid0(VALU_DEP_1) | instskip(NEXT) | instid1(VALU_DEP_1)
	v_fmac_f32_e32 v32, v33, v32
	v_mul_f32_e32 v33, v37, v32
	s_delay_alu instid0(VALU_DEP_1) | instskip(NEXT) | instid1(VALU_DEP_1)
	v_fma_f32 v38, -v31, v33, v37
	v_fmac_f32_e32 v33, v38, v32
	s_delay_alu instid0(VALU_DEP_1) | instskip(NEXT) | instid1(VALU_DEP_1)
	v_fma_f32 v31, -v31, v33, v37
	v_div_fmas_f32 v31, v31, v32, v33
	s_delay_alu instid0(VALU_DEP_1) | instskip(NEXT) | instid1(VALU_DEP_1)
	v_div_fixup_f32 v31, v31, v29, v28
	v_fmac_f32_e32 v29, v28, v31
	s_delay_alu instid0(VALU_DEP_1) | instskip(SKIP_1) | instid1(VALU_DEP_2)
	v_div_scale_f32 v28, null, v29, v29, 1.0
	v_div_scale_f32 v37, vcc_lo, 1.0, v29, 1.0
	v_rcp_f32_e32 v32, v28
	v_nop
	s_delay_alu instid0(TRANS32_DEP_1) | instskip(NEXT) | instid1(VALU_DEP_1)
	v_fma_f32 v33, -v28, v32, 1.0
	v_fmac_f32_e32 v32, v33, v32
	s_delay_alu instid0(VALU_DEP_1) | instskip(NEXT) | instid1(VALU_DEP_1)
	v_mul_f32_e32 v33, v37, v32
	v_fma_f32 v38, -v28, v33, v37
	s_delay_alu instid0(VALU_DEP_1) | instskip(NEXT) | instid1(VALU_DEP_1)
	v_fmac_f32_e32 v33, v38, v32
	v_fma_f32 v28, -v28, v33, v37
	s_delay_alu instid0(VALU_DEP_1) | instskip(NEXT) | instid1(VALU_DEP_1)
	v_div_fmas_f32 v28, v28, v32, v33
	v_div_fixup_f32 v29, v28, v29, 1.0
	s_delay_alu instid0(VALU_DEP_1)
	v_mul_f32_e32 v28, v31, v29
	v_xor_b32_e32 v29, 0x80000000, v29
.LBB20_217:
	s_and_not1_saveexec_b32 s1, s1
	s_cbranch_execz .LBB20_219
; %bb.218:
	s_delay_alu instid0(VALU_DEP_1) | instskip(SKIP_1) | instid1(VALU_DEP_2)
	v_div_scale_f32 v31, null, v28, v28, v29
	v_div_scale_f32 v37, vcc_lo, v29, v28, v29
	v_rcp_f32_e32 v32, v31
	v_nop
	s_delay_alu instid0(TRANS32_DEP_1) | instskip(NEXT) | instid1(VALU_DEP_1)
	v_fma_f32 v33, -v31, v32, 1.0
	v_fmac_f32_e32 v32, v33, v32
	s_delay_alu instid0(VALU_DEP_1) | instskip(NEXT) | instid1(VALU_DEP_1)
	v_mul_f32_e32 v33, v37, v32
	v_fma_f32 v38, -v31, v33, v37
	s_delay_alu instid0(VALU_DEP_1) | instskip(NEXT) | instid1(VALU_DEP_1)
	v_fmac_f32_e32 v33, v38, v32
	v_fma_f32 v31, -v31, v33, v37
	s_delay_alu instid0(VALU_DEP_1) | instskip(NEXT) | instid1(VALU_DEP_1)
	v_div_fmas_f32 v31, v31, v32, v33
	v_div_fixup_f32 v31, v31, v28, v29
	s_delay_alu instid0(VALU_DEP_1) | instskip(NEXT) | instid1(VALU_DEP_1)
	v_fmac_f32_e32 v28, v29, v31
	v_div_scale_f32 v29, null, v28, v28, 1.0
	s_delay_alu instid0(VALU_DEP_1) | instskip(SKIP_1) | instid1(TRANS32_DEP_1)
	v_rcp_f32_e32 v32, v29
	v_nop
	v_fma_f32 v33, -v29, v32, 1.0
	s_delay_alu instid0(VALU_DEP_1) | instskip(SKIP_1) | instid1(VALU_DEP_1)
	v_fmac_f32_e32 v32, v33, v32
	v_div_scale_f32 v33, vcc_lo, 1.0, v28, 1.0
	v_mul_f32_e32 v37, v33, v32
	s_delay_alu instid0(VALU_DEP_1) | instskip(NEXT) | instid1(VALU_DEP_1)
	v_fma_f32 v38, -v29, v37, v33
	v_fmac_f32_e32 v37, v38, v32
	s_delay_alu instid0(VALU_DEP_1) | instskip(NEXT) | instid1(VALU_DEP_1)
	v_fma_f32 v29, -v29, v37, v33
	v_div_fmas_f32 v29, v29, v32, v37
	s_delay_alu instid0(VALU_DEP_1) | instskip(NEXT) | instid1(VALU_DEP_1)
	v_div_fixup_f32 v28, v29, v28, 1.0
	v_mul_f32_e64 v29, v31, -v28
.LBB20_219:
	s_or_b32 exec_lo, exec_lo, s1
.LBB20_220:
	s_delay_alu instid0(SALU_CYCLE_1)
	s_or_b32 exec_lo, exec_lo, s0
	v_mov_b32_e32 v32, 10
	s_mov_b32 s0, exec_lo
	v_cmpx_ne_u32_e64 v36, v30
	s_cbranch_execz .LBB20_226
; %bb.221:
	s_mov_b32 s1, exec_lo
	v_cmpx_eq_u32_e32 10, v36
	s_cbranch_execz .LBB20_225
; %bb.222:
	v_cmp_ne_u32_e32 vcc_lo, 10, v30
	s_xor_b32 s12, s12, -1
	s_delay_alu instid0(SALU_CYCLE_1) | instskip(NEXT) | instid1(SALU_CYCLE_1)
	s_and_b32 s14, s12, vcc_lo
	s_and_saveexec_b32 s12, s14
	s_cbranch_execz .LBB20_224
; %bb.223:
	v_ashrrev_i32_e32 v31, 31, v30
	s_delay_alu instid0(VALU_DEP_1)
	v_lshl_add_u64 v[32:33], v[30:31], 2, v[24:25]
	s_clause 0x1
	global_load_b32 v31, v[32:33], off
	global_load_b32 v34, v[24:25], off offset:40
	s_wait_loadcnt 0x1
	global_store_b32 v[24:25], v31, off offset:40
	s_wait_loadcnt 0x0
	global_store_b32 v[32:33], v34, off
.LBB20_224:
	s_wait_xcnt 0x0
	s_or_b32 exec_lo, exec_lo, s12
	v_dual_mov_b32 v36, v30 :: v_dual_mov_b32 v34, v30
.LBB20_225:
	s_or_b32 exec_lo, exec_lo, s1
	s_delay_alu instid0(VALU_DEP_1)
	v_mov_b32_e32 v32, v36
.LBB20_226:
	s_or_b32 exec_lo, exec_lo, s0
	s_delay_alu instid0(VALU_DEP_1)
	v_ashrrev_i32_e32 v33, 31, v32
	s_mov_b32 s0, exec_lo
	s_wait_storecnt 0x0
	s_barrier_signal -1
	s_barrier_wait -1
	s_barrier_signal -1
	s_barrier_wait -1
	v_cmpx_gt_i32_e32 11, v32
	s_cbranch_execz .LBB20_228
; %bb.227:
	v_mul_u64_e32 v[24:25], s[10:11], v[2:3]
	v_add3_u32 v30, v34, s13, 1
	s_delay_alu instid0(VALU_DEP_2) | instskip(NEXT) | instid1(VALU_DEP_1)
	v_lshl_add_u64 v[24:25], v[24:25], 2, s[6:7]
	v_lshl_add_u64 v[24:25], s[8:9], 2, v[24:25]
	s_delay_alu instid0(VALU_DEP_1)
	v_lshl_add_u64 v[24:25], v[32:33], 2, v[24:25]
	global_store_b32 v[24:25], v30, off
.LBB20_228:
	s_wait_xcnt 0x0
	s_or_b32 exec_lo, exec_lo, s0
	s_delay_alu instid0(SALU_CYCLE_1)
	s_mov_b32 s1, exec_lo
	v_cmpx_eq_u32_e32 0, v32
	s_cbranch_execz .LBB20_231
; %bb.229:
	s_wait_kmcnt 0x0
	v_lshl_add_u64 v[2:3], v[2:3], 2, s[4:5]
	v_cmp_ne_u32_e64 s0, 0, v35
	global_load_b32 v24, v[2:3], off
	s_wait_loadcnt 0x0
	v_cmp_eq_u32_e32 vcc_lo, 0, v24
	s_and_b32 s0, vcc_lo, s0
	s_wait_xcnt 0x0
	s_and_b32 exec_lo, exec_lo, s0
	s_cbranch_execz .LBB20_231
; %bb.230:
	v_add_nc_u32_e32 v24, s13, v35
	global_store_b32 v[2:3], v24, off
.LBB20_231:
	s_wait_xcnt 0x0
	s_or_b32 exec_lo, exec_lo, s1
	v_add3_u32 v2, s2, s2, v32
	v_pk_mul_f32 v[30:31], v[28:29], v[26:27] op_sel:[1,1] op_sel_hi:[0,1]
	v_cmp_lt_i32_e32 vcc_lo, 10, v32
	v_lshl_add_u64 v[38:39], v[32:33], 3, v[0:1]
	s_delay_alu instid0(VALU_DEP_4) | instskip(NEXT) | instid1(VALU_DEP_4)
	v_add_nc_u32_e32 v24, s2, v2
	v_pk_fma_f32 v[36:37], v[28:29], v[26:27], v[30:31] op_sel_hi:[1,0,1]
	v_pk_fma_f32 v[28:29], v[28:29], v[26:27], v[30:31] neg_lo:[0,0,1] neg_hi:[0,0,1]
	s_delay_alu instid0(VALU_DEP_4)
	v_lshl_add_u64 v[30:31], s[2:3], 3, v[38:39]
	s_clause 0x1
	global_store_b64 v[38:39], v[20:21], off
	global_store_b64 v[30:31], v[22:23], off
	v_dual_cndmask_b32 v27, v27, v37 :: v_dual_add_nc_u32 v34, s2, v24
	v_dual_cndmask_b32 v26, v26, v28 :: v_dual_ashrrev_i32 v3, 31, v2
	s_delay_alu instid0(VALU_DEP_2) | instskip(NEXT) | instid1(VALU_DEP_2)
	v_dual_add_nc_u32 v36, s2, v34 :: v_dual_ashrrev_i32 v35, 31, v34
	v_lshl_add_u64 v[2:3], v[2:3], 3, v[0:1]
	s_delay_alu instid0(VALU_DEP_2) | instskip(SKIP_1) | instid1(VALU_DEP_4)
	v_add_nc_u32_e32 v32, s2, v36
	v_ashrrev_i32_e32 v25, 31, v24
	v_lshl_add_u64 v[28:29], v[34:35], 3, v[0:1]
	s_wait_xcnt 0x1
	s_delay_alu instid0(VALU_DEP_3) | instskip(NEXT) | instid1(VALU_DEP_3)
	v_add_nc_u32_e32 v20, s2, v32
	v_lshl_add_u64 v[24:25], v[24:25], 3, v[0:1]
	s_wait_xcnt 0x0
	s_delay_alu instid0(VALU_DEP_2) | instskip(NEXT) | instid1(VALU_DEP_1)
	v_add_nc_u32_e32 v22, s2, v20
	v_dual_ashrrev_i32 v37, 31, v36 :: v_dual_add_nc_u32 v34, s2, v22
	s_delay_alu instid0(VALU_DEP_1)
	v_lshl_add_u64 v[30:31], v[36:37], 3, v[0:1]
	s_clause 0x3
	global_store_b64 v[2:3], v[6:7], off
	global_store_b64 v[24:25], v[4:5], off
	;; [unrolled: 1-line block ×4, first 2 shown]
	v_dual_ashrrev_i32 v21, 31, v20 :: v_dual_ashrrev_i32 v35, 31, v34
	s_wait_xcnt 0x3
	v_dual_add_nc_u32 v2, s2, v34 :: v_dual_ashrrev_i32 v33, 31, v32
	v_ashrrev_i32_e32 v23, 31, v22
	s_delay_alu instid0(VALU_DEP_3)
	v_lshl_add_u64 v[6:7], v[20:21], 3, v[0:1]
	s_wait_xcnt 0x1
	v_lshl_add_u64 v[18:19], v[34:35], 3, v[0:1]
	v_ashrrev_i32_e32 v3, 31, v2
	v_lshl_add_u64 v[4:5], v[32:33], 3, v[0:1]
	s_wait_xcnt 0x0
	v_lshl_add_u64 v[16:17], v[22:23], 3, v[0:1]
	s_delay_alu instid0(VALU_DEP_3)
	v_lshl_add_u64 v[0:1], v[2:3], 3, v[0:1]
	s_clause 0x4
	global_store_b64 v[4:5], v[8:9], off
	global_store_b64 v[6:7], v[14:15], off
	;; [unrolled: 1-line block ×5, first 2 shown]
.LBB20_232:
	s_endpgm
	.section	.rodata,"a",@progbits
	.p2align	6, 0x0
	.amdhsa_kernel _ZN9rocsolver6v33100L18getf2_small_kernelILi11E19rocblas_complex_numIfEiiPS3_EEvT1_T3_lS5_lPS5_llPT2_S5_S5_S7_l
		.amdhsa_group_segment_fixed_size 0
		.amdhsa_private_segment_fixed_size 0
		.amdhsa_kernarg_size 352
		.amdhsa_user_sgpr_count 2
		.amdhsa_user_sgpr_dispatch_ptr 0
		.amdhsa_user_sgpr_queue_ptr 0
		.amdhsa_user_sgpr_kernarg_segment_ptr 1
		.amdhsa_user_sgpr_dispatch_id 0
		.amdhsa_user_sgpr_kernarg_preload_length 0
		.amdhsa_user_sgpr_kernarg_preload_offset 0
		.amdhsa_user_sgpr_private_segment_size 0
		.amdhsa_wavefront_size32 1
		.amdhsa_uses_dynamic_stack 0
		.amdhsa_enable_private_segment 0
		.amdhsa_system_sgpr_workgroup_id_x 1
		.amdhsa_system_sgpr_workgroup_id_y 1
		.amdhsa_system_sgpr_workgroup_id_z 0
		.amdhsa_system_sgpr_workgroup_info 0
		.amdhsa_system_vgpr_workitem_id 1
		.amdhsa_next_free_vgpr 62
		.amdhsa_next_free_sgpr 20
		.amdhsa_named_barrier_count 0
		.amdhsa_reserve_vcc 1
		.amdhsa_float_round_mode_32 0
		.amdhsa_float_round_mode_16_64 0
		.amdhsa_float_denorm_mode_32 3
		.amdhsa_float_denorm_mode_16_64 3
		.amdhsa_fp16_overflow 0
		.amdhsa_memory_ordered 1
		.amdhsa_forward_progress 1
		.amdhsa_inst_pref_size 115
		.amdhsa_round_robin_scheduling 0
		.amdhsa_exception_fp_ieee_invalid_op 0
		.amdhsa_exception_fp_denorm_src 0
		.amdhsa_exception_fp_ieee_div_zero 0
		.amdhsa_exception_fp_ieee_overflow 0
		.amdhsa_exception_fp_ieee_underflow 0
		.amdhsa_exception_fp_ieee_inexact 0
		.amdhsa_exception_int_div_zero 0
	.end_amdhsa_kernel
	.section	.text._ZN9rocsolver6v33100L18getf2_small_kernelILi11E19rocblas_complex_numIfEiiPS3_EEvT1_T3_lS5_lPS5_llPT2_S5_S5_S7_l,"axG",@progbits,_ZN9rocsolver6v33100L18getf2_small_kernelILi11E19rocblas_complex_numIfEiiPS3_EEvT1_T3_lS5_lPS5_llPT2_S5_S5_S7_l,comdat
.Lfunc_end20:
	.size	_ZN9rocsolver6v33100L18getf2_small_kernelILi11E19rocblas_complex_numIfEiiPS3_EEvT1_T3_lS5_lPS5_llPT2_S5_S5_S7_l, .Lfunc_end20-_ZN9rocsolver6v33100L18getf2_small_kernelILi11E19rocblas_complex_numIfEiiPS3_EEvT1_T3_lS5_lPS5_llPT2_S5_S5_S7_l
                                        ; -- End function
	.set _ZN9rocsolver6v33100L18getf2_small_kernelILi11E19rocblas_complex_numIfEiiPS3_EEvT1_T3_lS5_lPS5_llPT2_S5_S5_S7_l.num_vgpr, 62
	.set _ZN9rocsolver6v33100L18getf2_small_kernelILi11E19rocblas_complex_numIfEiiPS3_EEvT1_T3_lS5_lPS5_llPT2_S5_S5_S7_l.num_agpr, 0
	.set _ZN9rocsolver6v33100L18getf2_small_kernelILi11E19rocblas_complex_numIfEiiPS3_EEvT1_T3_lS5_lPS5_llPT2_S5_S5_S7_l.numbered_sgpr, 20
	.set _ZN9rocsolver6v33100L18getf2_small_kernelILi11E19rocblas_complex_numIfEiiPS3_EEvT1_T3_lS5_lPS5_llPT2_S5_S5_S7_l.num_named_barrier, 0
	.set _ZN9rocsolver6v33100L18getf2_small_kernelILi11E19rocblas_complex_numIfEiiPS3_EEvT1_T3_lS5_lPS5_llPT2_S5_S5_S7_l.private_seg_size, 0
	.set _ZN9rocsolver6v33100L18getf2_small_kernelILi11E19rocblas_complex_numIfEiiPS3_EEvT1_T3_lS5_lPS5_llPT2_S5_S5_S7_l.uses_vcc, 1
	.set _ZN9rocsolver6v33100L18getf2_small_kernelILi11E19rocblas_complex_numIfEiiPS3_EEvT1_T3_lS5_lPS5_llPT2_S5_S5_S7_l.uses_flat_scratch, 0
	.set _ZN9rocsolver6v33100L18getf2_small_kernelILi11E19rocblas_complex_numIfEiiPS3_EEvT1_T3_lS5_lPS5_llPT2_S5_S5_S7_l.has_dyn_sized_stack, 0
	.set _ZN9rocsolver6v33100L18getf2_small_kernelILi11E19rocblas_complex_numIfEiiPS3_EEvT1_T3_lS5_lPS5_llPT2_S5_S5_S7_l.has_recursion, 0
	.set _ZN9rocsolver6v33100L18getf2_small_kernelILi11E19rocblas_complex_numIfEiiPS3_EEvT1_T3_lS5_lPS5_llPT2_S5_S5_S7_l.has_indirect_call, 0
	.section	.AMDGPU.csdata,"",@progbits
; Kernel info:
; codeLenInByte = 14720
; TotalNumSgprs: 22
; NumVgprs: 62
; ScratchSize: 0
; MemoryBound: 0
; FloatMode: 240
; IeeeMode: 1
; LDSByteSize: 0 bytes/workgroup (compile time only)
; SGPRBlocks: 0
; VGPRBlocks: 3
; NumSGPRsForWavesPerEU: 22
; NumVGPRsForWavesPerEU: 62
; NamedBarCnt: 0
; Occupancy: 16
; WaveLimiterHint : 0
; COMPUTE_PGM_RSRC2:SCRATCH_EN: 0
; COMPUTE_PGM_RSRC2:USER_SGPR: 2
; COMPUTE_PGM_RSRC2:TRAP_HANDLER: 0
; COMPUTE_PGM_RSRC2:TGID_X_EN: 1
; COMPUTE_PGM_RSRC2:TGID_Y_EN: 1
; COMPUTE_PGM_RSRC2:TGID_Z_EN: 0
; COMPUTE_PGM_RSRC2:TIDIG_COMP_CNT: 1
	.section	.text._ZN9rocsolver6v33100L23getf2_npvt_small_kernelILi11E19rocblas_complex_numIfEiiPS3_EEvT1_T3_lS5_lPT2_S5_S5_,"axG",@progbits,_ZN9rocsolver6v33100L23getf2_npvt_small_kernelILi11E19rocblas_complex_numIfEiiPS3_EEvT1_T3_lS5_lPT2_S5_S5_,comdat
	.globl	_ZN9rocsolver6v33100L23getf2_npvt_small_kernelILi11E19rocblas_complex_numIfEiiPS3_EEvT1_T3_lS5_lPT2_S5_S5_ ; -- Begin function _ZN9rocsolver6v33100L23getf2_npvt_small_kernelILi11E19rocblas_complex_numIfEiiPS3_EEvT1_T3_lS5_lPT2_S5_S5_
	.p2align	8
	.type	_ZN9rocsolver6v33100L23getf2_npvt_small_kernelILi11E19rocblas_complex_numIfEiiPS3_EEvT1_T3_lS5_lPT2_S5_S5_,@function
_ZN9rocsolver6v33100L23getf2_npvt_small_kernelILi11E19rocblas_complex_numIfEiiPS3_EEvT1_T3_lS5_lPT2_S5_S5_: ; @_ZN9rocsolver6v33100L23getf2_npvt_small_kernelILi11E19rocblas_complex_numIfEiiPS3_EEvT1_T3_lS5_lPT2_S5_S5_
; %bb.0:
	s_clause 0x1
	s_load_u16 s8, s[0:1], 0x46
	s_load_b64 s[2:3], s[0:1], 0x30
	s_bfe_u32 s4, ttmp6, 0x40010
	s_bfe_u32 s5, ttmp6, 0x40004
	s_add_co_i32 s4, s4, 1
	s_getreg_b32 s6, hwreg(HW_REG_IB_STS2, 6, 4)
	s_mul_i32 s4, ttmp7, s4
	v_bfe_u32 v46, v0, 10, 10
	s_add_co_i32 s5, s5, s4
	s_cmp_eq_u32 s6, 0
	s_cselect_b32 s4, ttmp7, s5
	s_wait_kmcnt 0x0
	v_mad_u32 v2, s4, s8, v46
	s_delay_alu instid0(VALU_DEP_1)
	v_cmp_gt_i32_e32 vcc_lo, s2, v2
	s_and_saveexec_b32 s2, vcc_lo
	s_cbranch_execz .LBB21_102
; %bb.1:
	s_clause 0x1
	s_load_b128 s[4:7], s[0:1], 0x20
	s_load_b32 s10, s[0:1], 0x18
	v_and_b32_e32 v68, 0x3ff, v0
	s_load_b128 s[12:15], s[0:1], 0x8
	v_lshlrev_b32_e32 v47, 3, v46
	s_mulk_i32 s8, 0x58
	v_mad_u32_u24 v70, 0x58, v46, 0
	s_wait_xcnt 0x0
	v_cmp_ne_u32_e64 s1, 0, v68
	v_cmp_eq_u32_e64 s0, 0, v68
	v_add3_u32 v69, 0, s8, v47
	v_dual_mov_b32 v13, 0 :: v_dual_lshlrev_b32 v12, 3, v68
	s_wait_kmcnt 0x0
	v_add3_u32 v4, s10, s10, v68
	v_ashrrev_i32_e32 v3, 31, v2
	s_ashr_i32 s11, s10, 31
	s_delay_alu instid0(VALU_DEP_2) | instskip(NEXT) | instid1(VALU_DEP_2)
	v_add_nc_u32_e32 v6, s10, v4
	v_mul_u64_e32 v[0:1], s[4:5], v[2:3]
	s_delay_alu instid0(VALU_DEP_2) | instskip(NEXT) | instid1(VALU_DEP_1)
	v_add_nc_u32_e32 v8, s10, v6
	v_add_nc_u32_e32 v10, s10, v8
	s_delay_alu instid0(VALU_DEP_1) | instskip(NEXT) | instid1(VALU_DEP_1)
	v_add_nc_u32_e32 v20, s10, v10
	v_add_nc_u32_e32 v22, s10, v20
	v_dual_ashrrev_i32 v5, 31, v4 :: v_dual_ashrrev_i32 v7, 31, v6
	v_ashrrev_i32_e32 v9, 31, v8
	s_delay_alu instid0(VALU_DEP_3) | instskip(SKIP_1) | instid1(VALU_DEP_1)
	v_dual_ashrrev_i32 v21, 31, v20 :: v_dual_ashrrev_i32 v23, 31, v22
	v_add_nc_u32_e32 v24, s10, v22
	v_dual_ashrrev_i32 v11, 31, v10 :: v_dual_add_nc_u32 v26, s10, v24
	v_ashrrev_i32_e32 v25, 31, v24
	v_lshl_add_u64 v[0:1], v[0:1], 3, s[12:13]
	s_delay_alu instid0(VALU_DEP_3) | instskip(NEXT) | instid1(VALU_DEP_2)
	v_dual_add_nc_u32 v34, s10, v26 :: v_dual_ashrrev_i32 v27, 31, v26
	v_lshl_add_u64 v[32:33], s[14:15], 3, v[0:1]
	s_delay_alu instid0(VALU_DEP_2) | instskip(NEXT) | instid1(VALU_DEP_2)
	v_ashrrev_i32_e32 v35, 31, v34
	v_add_nc_u64_e32 v[18:19], v[32:33], v[12:13]
	v_lshl_add_u64 v[16:17], v[8:9], 3, v[32:33]
	v_lshl_add_u64 v[0:1], v[10:11], 3, v[32:33]
	;; [unrolled: 1-line block ×9, first 2 shown]
	s_clause 0x3
	global_load_b64 v[28:29], v[16:17], off
	global_load_b64 v[24:25], v[0:1], off
	;; [unrolled: 1-line block ×4, first 2 shown]
	v_lshl_add_u64 v[20:21], v[34:35], 3, v[32:33]
	s_clause 0x6
	global_load_b64 v[40:41], v[18:19], off
	global_load_b64 v[42:43], v[30:31], off
	global_load_b64 v[38:39], v[12:13], off
	global_load_b64 v[36:37], v[14:15], off
	global_load_b64 v[44:45], v[8:9], off
	global_load_b64 v[34:35], v[10:11], off
	global_load_b64 v[32:33], v[20:21], off
	s_wait_xcnt 0x0
	s_and_saveexec_b32 s4, s0
	s_cbranch_execz .LBB21_8
; %bb.2:
	s_wait_loadcnt 0x6
	ds_store_b64 v69, v[40:41]
	s_wait_loadcnt 0x4
	ds_store_2addr_b64 v70, v[42:43], v[38:39] offset0:1 offset1:2
	s_wait_loadcnt 0x3
	ds_store_2addr_b64 v70, v[36:37], v[28:29] offset0:3 offset1:4
	ds_store_2addr_b64 v70, v[24:25], v[26:27] offset0:5 offset1:6
	s_wait_loadcnt 0x2
	ds_store_2addr_b64 v70, v[22:23], v[44:45] offset0:7 offset1:8
	s_wait_loadcnt 0x0
	ds_store_2addr_b64 v70, v[34:35], v[32:33] offset0:9 offset1:10
	ds_load_b64 v[46:47], v69
	s_wait_dscnt 0x0
	v_cmp_neq_f32_e32 vcc_lo, 0, v46
	v_cmp_neq_f32_e64 s2, 0, v47
	s_or_b32 s2, vcc_lo, s2
	s_delay_alu instid0(SALU_CYCLE_1)
	s_and_b32 exec_lo, exec_lo, s2
	s_cbranch_execz .LBB21_8
; %bb.3:
	v_cmp_ngt_f32_e64 s2, |v46|, |v47|
                                        ; implicit-def: $vgpr48_vgpr49
	s_and_saveexec_b32 s5, s2
	s_delay_alu instid0(SALU_CYCLE_1)
	s_xor_b32 s2, exec_lo, s5
	s_cbranch_execz .LBB21_5
; %bb.4:
	v_div_scale_f32 v48, null, v47, v47, v46
	v_div_scale_f32 v51, vcc_lo, v46, v47, v46
	s_delay_alu instid0(VALU_DEP_2) | instskip(SKIP_1) | instid1(TRANS32_DEP_1)
	v_rcp_f32_e32 v49, v48
	v_nop
	v_fma_f32 v50, -v48, v49, 1.0
	s_delay_alu instid0(VALU_DEP_1) | instskip(NEXT) | instid1(VALU_DEP_1)
	v_fmac_f32_e32 v49, v50, v49
	v_mul_f32_e32 v50, v51, v49
	s_delay_alu instid0(VALU_DEP_1) | instskip(NEXT) | instid1(VALU_DEP_1)
	v_fma_f32 v52, -v48, v50, v51
	v_fmac_f32_e32 v50, v52, v49
	s_delay_alu instid0(VALU_DEP_1) | instskip(NEXT) | instid1(VALU_DEP_1)
	v_fma_f32 v48, -v48, v50, v51
	v_div_fmas_f32 v48, v48, v49, v50
	s_delay_alu instid0(VALU_DEP_1) | instskip(NEXT) | instid1(VALU_DEP_1)
	v_div_fixup_f32 v48, v48, v47, v46
	v_fmac_f32_e32 v47, v46, v48
	s_delay_alu instid0(VALU_DEP_1) | instskip(SKIP_1) | instid1(VALU_DEP_2)
	v_div_scale_f32 v46, null, v47, v47, 1.0
	v_div_scale_f32 v51, vcc_lo, 1.0, v47, 1.0
	v_rcp_f32_e32 v49, v46
	v_nop
	s_delay_alu instid0(TRANS32_DEP_1) | instskip(NEXT) | instid1(VALU_DEP_1)
	v_fma_f32 v50, -v46, v49, 1.0
	v_fmac_f32_e32 v49, v50, v49
	s_delay_alu instid0(VALU_DEP_1) | instskip(NEXT) | instid1(VALU_DEP_1)
	v_mul_f32_e32 v50, v51, v49
	v_fma_f32 v52, -v46, v50, v51
	s_delay_alu instid0(VALU_DEP_1) | instskip(NEXT) | instid1(VALU_DEP_1)
	v_fmac_f32_e32 v50, v52, v49
	v_fma_f32 v46, -v46, v50, v51
	s_delay_alu instid0(VALU_DEP_1) | instskip(NEXT) | instid1(VALU_DEP_1)
	v_div_fmas_f32 v46, v46, v49, v50
	v_div_fixup_f32 v46, v46, v47, 1.0
	s_delay_alu instid0(VALU_DEP_1)
	v_mul_f32_e32 v48, v48, v46
	v_xor_b32_e32 v49, 0x80000000, v46
                                        ; implicit-def: $vgpr46_vgpr47
.LBB21_5:
	s_and_not1_saveexec_b32 s2, s2
	s_cbranch_execz .LBB21_7
; %bb.6:
	v_div_scale_f32 v48, null, v46, v46, v47
	v_div_scale_f32 v51, vcc_lo, v47, v46, v47
	s_delay_alu instid0(VALU_DEP_2) | instskip(SKIP_1) | instid1(TRANS32_DEP_1)
	v_rcp_f32_e32 v49, v48
	v_nop
	v_fma_f32 v50, -v48, v49, 1.0
	s_delay_alu instid0(VALU_DEP_1) | instskip(NEXT) | instid1(VALU_DEP_1)
	v_fmac_f32_e32 v49, v50, v49
	v_mul_f32_e32 v50, v51, v49
	s_delay_alu instid0(VALU_DEP_1) | instskip(NEXT) | instid1(VALU_DEP_1)
	v_fma_f32 v52, -v48, v50, v51
	v_fmac_f32_e32 v50, v52, v49
	s_delay_alu instid0(VALU_DEP_1) | instskip(NEXT) | instid1(VALU_DEP_1)
	v_fma_f32 v48, -v48, v50, v51
	v_div_fmas_f32 v48, v48, v49, v50
	s_delay_alu instid0(VALU_DEP_1) | instskip(NEXT) | instid1(VALU_DEP_1)
	v_div_fixup_f32 v49, v48, v46, v47
	v_fmac_f32_e32 v46, v47, v49
	s_delay_alu instid0(VALU_DEP_1) | instskip(NEXT) | instid1(VALU_DEP_1)
	v_div_scale_f32 v47, null, v46, v46, 1.0
	v_rcp_f32_e32 v48, v47
	v_nop
	s_delay_alu instid0(TRANS32_DEP_1) | instskip(NEXT) | instid1(VALU_DEP_1)
	v_fma_f32 v50, -v47, v48, 1.0
	v_fmac_f32_e32 v48, v50, v48
	v_div_scale_f32 v50, vcc_lo, 1.0, v46, 1.0
	s_delay_alu instid0(VALU_DEP_1) | instskip(NEXT) | instid1(VALU_DEP_1)
	v_mul_f32_e32 v51, v50, v48
	v_fma_f32 v52, -v47, v51, v50
	s_delay_alu instid0(VALU_DEP_1) | instskip(NEXT) | instid1(VALU_DEP_1)
	v_fmac_f32_e32 v51, v52, v48
	v_fma_f32 v47, -v47, v51, v50
	s_delay_alu instid0(VALU_DEP_1) | instskip(NEXT) | instid1(VALU_DEP_1)
	v_div_fmas_f32 v47, v47, v48, v51
	v_div_fixup_f32 v48, v47, v46, 1.0
	s_delay_alu instid0(VALU_DEP_1)
	v_mul_f32_e64 v49, v49, -v48
.LBB21_7:
	s_or_b32 exec_lo, exec_lo, s2
	ds_store_b64 v69, v[48:49]
.LBB21_8:
	s_or_b32 exec_lo, exec_lo, s4
	s_wait_loadcnt_dscnt 0x0
	s_barrier_signal -1
	s_barrier_wait -1
	ds_load_b64 v[46:47], v69
	s_and_saveexec_b32 s2, s1
	s_cbranch_execz .LBB21_10
; %bb.9:
	ds_load_2addr_b64 v[52:55], v70 offset0:1 offset1:2
	s_wait_dscnt 0x1
	v_pk_mul_f32 v[50:51], v[46:47], v[40:41] op_sel:[1,1] op_sel_hi:[0,1]
	s_delay_alu instid0(VALU_DEP_1) | instskip(SKIP_1) | instid1(VALU_DEP_1)
	v_pk_fma_f32 v[48:49], v[46:47], v[40:41], v[50:51] op_sel_hi:[1,0,1] neg_lo:[0,0,1] neg_hi:[0,0,1]
	v_pk_fma_f32 v[50:51], v[46:47], v[40:41], v[50:51] op_sel_hi:[1,0,1]
	v_dual_mov_b32 v40, v48 :: v_dual_mov_b32 v41, v51
	s_wait_dscnt 0x0
	s_delay_alu instid0(VALU_DEP_2) | instskip(NEXT) | instid1(VALU_DEP_1)
	v_pk_mul_f32 v[56:57], v[52:53], v[50:51] op_sel:[0,1]
	v_pk_fma_f32 v[58:59], v[52:53], v[48:49], v[56:57] op_sel:[0,0,1] op_sel_hi:[1,1,0] neg_lo:[0,0,1] neg_hi:[0,0,1]
	v_pk_fma_f32 v[52:53], v[52:53], v[48:49], v[56:57] op_sel:[0,0,1] op_sel_hi:[1,0,0]
	s_delay_alu instid0(VALU_DEP_1) | instskip(SKIP_1) | instid1(VALU_DEP_1)
	v_mov_b32_e32 v59, v53
	v_pk_mul_f32 v[52:53], v[54:55], v[50:51] op_sel:[0,1]
	v_pk_fma_f32 v[56:57], v[54:55], v[48:49], v[52:53] op_sel:[0,0,1] op_sel_hi:[1,1,0] neg_lo:[0,0,1] neg_hi:[0,0,1]
	v_pk_fma_f32 v[52:53], v[54:55], v[48:49], v[52:53] op_sel:[0,0,1] op_sel_hi:[1,0,0]
	s_delay_alu instid0(VALU_DEP_1)
	v_mov_b32_e32 v57, v53
	ds_load_2addr_b64 v[52:55], v70 offset0:3 offset1:4
	v_pk_add_f32 v[42:43], v[42:43], v[58:59] neg_lo:[0,1] neg_hi:[0,1]
	v_pk_add_f32 v[38:39], v[38:39], v[56:57] neg_lo:[0,1] neg_hi:[0,1]
	s_wait_dscnt 0x0
	v_pk_mul_f32 v[56:57], v[52:53], v[50:51] op_sel:[0,1]
	s_delay_alu instid0(VALU_DEP_1) | instskip(SKIP_2) | instid1(VALU_DEP_2)
	v_pk_fma_f32 v[58:59], v[52:53], v[48:49], v[56:57] op_sel:[0,0,1] op_sel_hi:[1,1,0] neg_lo:[0,0,1] neg_hi:[0,0,1]
	v_pk_fma_f32 v[52:53], v[52:53], v[48:49], v[56:57] op_sel:[0,0,1] op_sel_hi:[1,0,0]
	v_dual_mul_f32 v56, v55, v51 :: v_dual_mov_b32 v52, v55
	v_dual_mov_b32 v59, v53 :: v_dual_mov_b32 v53, v54
	s_delay_alu instid0(VALU_DEP_2) | instskip(SKIP_1) | instid1(VALU_DEP_3)
	v_pk_fma_f32 v[56:57], v[54:55], v[40:41], v[56:57] op_sel_hi:[1,1,0] neg_lo:[0,0,1] neg_hi:[0,0,1]
	v_mul_f32_e32 v54, v55, v48
	v_pk_add_f32 v[36:37], v[36:37], v[58:59] neg_lo:[0,1] neg_hi:[0,1]
	s_delay_alu instid0(VALU_DEP_2) | instskip(NEXT) | instid1(VALU_DEP_1)
	v_pk_fma_f32 v[52:53], v[52:53], v[40:41], v[54:55] op_sel_hi:[1,1,0]
	v_mov_b32_e32 v57, v53
	ds_load_2addr_b64 v[52:55], v70 offset0:5 offset1:6
	v_pk_add_f32 v[28:29], v[28:29], v[56:57] neg_lo:[0,1] neg_hi:[0,1]
	s_wait_dscnt 0x0
	v_pk_mul_f32 v[56:57], v[52:53], v[50:51] op_sel:[0,1]
	s_delay_alu instid0(VALU_DEP_1) | instskip(SKIP_1) | instid1(VALU_DEP_1)
	v_pk_fma_f32 v[58:59], v[52:53], v[48:49], v[56:57] op_sel:[0,0,1] op_sel_hi:[1,1,0] neg_lo:[0,0,1] neg_hi:[0,0,1]
	v_pk_fma_f32 v[52:53], v[52:53], v[48:49], v[56:57] op_sel:[0,0,1] op_sel_hi:[1,0,0]
	v_mov_b32_e32 v59, v53
	v_pk_mul_f32 v[52:53], v[54:55], v[50:51] op_sel:[0,1]
	s_delay_alu instid0(VALU_DEP_1) | instskip(SKIP_1) | instid1(VALU_DEP_1)
	v_pk_fma_f32 v[56:57], v[54:55], v[48:49], v[52:53] op_sel:[0,0,1] op_sel_hi:[1,1,0] neg_lo:[0,0,1] neg_hi:[0,0,1]
	v_pk_fma_f32 v[52:53], v[54:55], v[48:49], v[52:53] op_sel:[0,0,1] op_sel_hi:[1,0,0]
	v_mov_b32_e32 v57, v53
	ds_load_2addr_b64 v[52:55], v70 offset0:7 offset1:8
	v_pk_add_f32 v[24:25], v[24:25], v[58:59] neg_lo:[0,1] neg_hi:[0,1]
	v_pk_add_f32 v[26:27], v[26:27], v[56:57] neg_lo:[0,1] neg_hi:[0,1]
	s_wait_dscnt 0x0
	v_pk_mul_f32 v[56:57], v[52:53], v[50:51] op_sel:[0,1]
	s_delay_alu instid0(VALU_DEP_1) | instskip(SKIP_1) | instid1(VALU_DEP_1)
	v_pk_fma_f32 v[58:59], v[52:53], v[48:49], v[56:57] op_sel:[0,0,1] op_sel_hi:[1,1,0] neg_lo:[0,0,1] neg_hi:[0,0,1]
	v_pk_fma_f32 v[52:53], v[52:53], v[48:49], v[56:57] op_sel:[0,0,1] op_sel_hi:[1,0,0]
	v_mov_b32_e32 v59, v53
	v_pk_mul_f32 v[52:53], v[54:55], v[50:51] op_sel:[0,1]
	s_delay_alu instid0(VALU_DEP_1) | instskip(SKIP_1) | instid1(VALU_DEP_1)
	v_pk_fma_f32 v[56:57], v[54:55], v[48:49], v[52:53] op_sel:[0,0,1] op_sel_hi:[1,1,0] neg_lo:[0,0,1] neg_hi:[0,0,1]
	v_pk_fma_f32 v[52:53], v[54:55], v[48:49], v[52:53] op_sel:[0,0,1] op_sel_hi:[1,0,0]
	v_mov_b32_e32 v57, v53
	ds_load_2addr_b64 v[52:55], v70 offset0:9 offset1:10
	v_pk_add_f32 v[22:23], v[22:23], v[58:59] neg_lo:[0,1] neg_hi:[0,1]
	v_pk_add_f32 v[44:45], v[44:45], v[56:57] neg_lo:[0,1] neg_hi:[0,1]
	s_wait_dscnt 0x0
	v_dual_mul_f32 v56, v53, v51 :: v_dual_mul_f32 v58, v53, v48
	v_pk_mul_f32 v[50:51], v[54:55], v[50:51] op_sel:[0,1]
	s_delay_alu instid0(VALU_DEP_2) | instskip(NEXT) | instid1(VALU_DEP_3)
	v_pk_fma_f32 v[56:57], v[52:53], v[40:41], v[56:57] op_sel_hi:[1,1,0] neg_lo:[0,0,1] neg_hi:[0,0,1]
	v_pk_fma_f32 v[52:53], v[52:53], v[40:41], v[58:59] op_sel:[1,0,0] op_sel_hi:[0,1,0]
	s_delay_alu instid0(VALU_DEP_1) | instskip(NEXT) | instid1(VALU_DEP_4)
	v_mov_b32_e32 v57, v53
	v_pk_fma_f32 v[52:53], v[54:55], v[48:49], v[50:51] op_sel:[0,0,1] op_sel_hi:[1,1,0] neg_lo:[0,0,1] neg_hi:[0,0,1]
	v_pk_fma_f32 v[48:49], v[54:55], v[48:49], v[50:51] op_sel:[0,0,1] op_sel_hi:[1,0,0]
	s_delay_alu instid0(VALU_DEP_1) | instskip(NEXT) | instid1(VALU_DEP_4)
	v_mov_b32_e32 v53, v49
	v_pk_add_f32 v[34:35], v[34:35], v[56:57] neg_lo:[0,1] neg_hi:[0,1]
	s_delay_alu instid0(VALU_DEP_2)
	v_pk_add_f32 v[32:33], v[32:33], v[52:53] neg_lo:[0,1] neg_hi:[0,1]
.LBB21_10:
	s_or_b32 exec_lo, exec_lo, s2
	s_delay_alu instid0(SALU_CYCLE_1)
	s_mov_b32 s2, exec_lo
	s_wait_dscnt 0x0
	s_barrier_signal -1
	s_barrier_wait -1
	v_cmpx_eq_u32_e32 1, v68
	s_cbranch_execz .LBB21_17
; %bb.11:
	v_dual_mov_b32 v48, v38 :: v_dual_mov_b32 v49, v39
	v_dual_mov_b32 v50, v36 :: v_dual_mov_b32 v51, v37
	ds_store_b64 v69, v[42:43]
	ds_store_2addr_b64 v70, v[48:49], v[50:51] offset0:2 offset1:3
	v_dual_mov_b32 v48, v28 :: v_dual_mov_b32 v49, v29
	v_dual_mov_b32 v50, v24 :: v_dual_mov_b32 v51, v25
	ds_store_2addr_b64 v70, v[48:49], v[50:51] offset0:4 offset1:5
	v_dual_mov_b32 v48, v26 :: v_dual_mov_b32 v49, v27
	v_dual_mov_b32 v50, v22 :: v_dual_mov_b32 v51, v23
	;; [unrolled: 3-line block ×3, first 2 shown]
	ds_store_2addr_b64 v70, v[48:49], v[50:51] offset0:8 offset1:9
	ds_store_b64 v70, v[32:33] offset:80
	ds_load_b64 v[48:49], v69
	s_wait_dscnt 0x0
	v_cmp_neq_f32_e32 vcc_lo, 0, v48
	v_cmp_neq_f32_e64 s1, 0, v49
	s_or_b32 s1, vcc_lo, s1
	s_delay_alu instid0(SALU_CYCLE_1)
	s_and_b32 exec_lo, exec_lo, s1
	s_cbranch_execz .LBB21_17
; %bb.12:
	v_cmp_ngt_f32_e64 s1, |v48|, |v49|
                                        ; implicit-def: $vgpr50_vgpr51
	s_and_saveexec_b32 s4, s1
	s_delay_alu instid0(SALU_CYCLE_1)
	s_xor_b32 s1, exec_lo, s4
	s_cbranch_execz .LBB21_14
; %bb.13:
	v_div_scale_f32 v50, null, v49, v49, v48
	v_div_scale_f32 v53, vcc_lo, v48, v49, v48
	s_delay_alu instid0(VALU_DEP_2) | instskip(SKIP_1) | instid1(TRANS32_DEP_1)
	v_rcp_f32_e32 v51, v50
	v_nop
	v_fma_f32 v52, -v50, v51, 1.0
	s_delay_alu instid0(VALU_DEP_1) | instskip(NEXT) | instid1(VALU_DEP_1)
	v_fmac_f32_e32 v51, v52, v51
	v_mul_f32_e32 v52, v53, v51
	s_delay_alu instid0(VALU_DEP_1) | instskip(NEXT) | instid1(VALU_DEP_1)
	v_fma_f32 v54, -v50, v52, v53
	v_fmac_f32_e32 v52, v54, v51
	s_delay_alu instid0(VALU_DEP_1) | instskip(NEXT) | instid1(VALU_DEP_1)
	v_fma_f32 v50, -v50, v52, v53
	v_div_fmas_f32 v50, v50, v51, v52
	s_delay_alu instid0(VALU_DEP_1) | instskip(NEXT) | instid1(VALU_DEP_1)
	v_div_fixup_f32 v50, v50, v49, v48
	v_fmac_f32_e32 v49, v48, v50
	s_delay_alu instid0(VALU_DEP_1) | instskip(SKIP_1) | instid1(VALU_DEP_2)
	v_div_scale_f32 v48, null, v49, v49, 1.0
	v_div_scale_f32 v53, vcc_lo, 1.0, v49, 1.0
	v_rcp_f32_e32 v51, v48
	v_nop
	s_delay_alu instid0(TRANS32_DEP_1) | instskip(NEXT) | instid1(VALU_DEP_1)
	v_fma_f32 v52, -v48, v51, 1.0
	v_fmac_f32_e32 v51, v52, v51
	s_delay_alu instid0(VALU_DEP_1) | instskip(NEXT) | instid1(VALU_DEP_1)
	v_mul_f32_e32 v52, v53, v51
	v_fma_f32 v54, -v48, v52, v53
	s_delay_alu instid0(VALU_DEP_1) | instskip(NEXT) | instid1(VALU_DEP_1)
	v_fmac_f32_e32 v52, v54, v51
	v_fma_f32 v48, -v48, v52, v53
	s_delay_alu instid0(VALU_DEP_1) | instskip(NEXT) | instid1(VALU_DEP_1)
	v_div_fmas_f32 v48, v48, v51, v52
	v_div_fixup_f32 v48, v48, v49, 1.0
	s_delay_alu instid0(VALU_DEP_1)
	v_mul_f32_e32 v50, v50, v48
	v_xor_b32_e32 v51, 0x80000000, v48
                                        ; implicit-def: $vgpr48_vgpr49
.LBB21_14:
	s_and_not1_saveexec_b32 s1, s1
	s_cbranch_execz .LBB21_16
; %bb.15:
	v_div_scale_f32 v50, null, v48, v48, v49
	v_div_scale_f32 v53, vcc_lo, v49, v48, v49
	s_delay_alu instid0(VALU_DEP_2) | instskip(SKIP_1) | instid1(TRANS32_DEP_1)
	v_rcp_f32_e32 v51, v50
	v_nop
	v_fma_f32 v52, -v50, v51, 1.0
	s_delay_alu instid0(VALU_DEP_1) | instskip(NEXT) | instid1(VALU_DEP_1)
	v_fmac_f32_e32 v51, v52, v51
	v_mul_f32_e32 v52, v53, v51
	s_delay_alu instid0(VALU_DEP_1) | instskip(NEXT) | instid1(VALU_DEP_1)
	v_fma_f32 v54, -v50, v52, v53
	v_fmac_f32_e32 v52, v54, v51
	s_delay_alu instid0(VALU_DEP_1) | instskip(NEXT) | instid1(VALU_DEP_1)
	v_fma_f32 v50, -v50, v52, v53
	v_div_fmas_f32 v50, v50, v51, v52
	s_delay_alu instid0(VALU_DEP_1) | instskip(NEXT) | instid1(VALU_DEP_1)
	v_div_fixup_f32 v51, v50, v48, v49
	v_fmac_f32_e32 v48, v49, v51
	s_delay_alu instid0(VALU_DEP_1) | instskip(NEXT) | instid1(VALU_DEP_1)
	v_div_scale_f32 v49, null, v48, v48, 1.0
	v_rcp_f32_e32 v50, v49
	v_nop
	s_delay_alu instid0(TRANS32_DEP_1) | instskip(NEXT) | instid1(VALU_DEP_1)
	v_fma_f32 v52, -v49, v50, 1.0
	v_fmac_f32_e32 v50, v52, v50
	v_div_scale_f32 v52, vcc_lo, 1.0, v48, 1.0
	s_delay_alu instid0(VALU_DEP_1) | instskip(NEXT) | instid1(VALU_DEP_1)
	v_mul_f32_e32 v53, v52, v50
	v_fma_f32 v54, -v49, v53, v52
	s_delay_alu instid0(VALU_DEP_1) | instskip(NEXT) | instid1(VALU_DEP_1)
	v_fmac_f32_e32 v53, v54, v50
	v_fma_f32 v49, -v49, v53, v52
	s_delay_alu instid0(VALU_DEP_1) | instskip(NEXT) | instid1(VALU_DEP_1)
	v_div_fmas_f32 v49, v49, v50, v53
	v_div_fixup_f32 v50, v49, v48, 1.0
	s_delay_alu instid0(VALU_DEP_1)
	v_mul_f32_e64 v51, v51, -v50
.LBB21_16:
	s_or_b32 exec_lo, exec_lo, s1
	ds_store_b64 v69, v[50:51]
.LBB21_17:
	s_or_b32 exec_lo, exec_lo, s2
	s_wait_dscnt 0x0
	s_barrier_signal -1
	s_barrier_wait -1
	ds_load_b64 v[48:49], v69
	s_mov_b32 s1, exec_lo
	v_cmpx_lt_u32_e32 1, v68
	s_cbranch_execz .LBB21_19
; %bb.18:
	ds_load_2addr_b64 v[54:57], v70 offset0:2 offset1:3
	s_wait_dscnt 0x1
	v_pk_mul_f32 v[52:53], v[48:49], v[42:43] op_sel:[1,1] op_sel_hi:[0,1]
	s_delay_alu instid0(VALU_DEP_1) | instskip(SKIP_1) | instid1(VALU_DEP_1)
	v_pk_fma_f32 v[50:51], v[48:49], v[42:43], v[52:53] op_sel_hi:[1,0,1] neg_lo:[0,0,1] neg_hi:[0,0,1]
	v_pk_fma_f32 v[52:53], v[48:49], v[42:43], v[52:53] op_sel_hi:[1,0,1]
	v_dual_mov_b32 v42, v50 :: v_dual_mov_b32 v43, v53
	s_wait_dscnt 0x0
	s_delay_alu instid0(VALU_DEP_2) | instskip(NEXT) | instid1(VALU_DEP_1)
	v_pk_mul_f32 v[58:59], v[54:55], v[52:53] op_sel:[0,1]
	v_pk_fma_f32 v[60:61], v[54:55], v[50:51], v[58:59] op_sel:[0,0,1] op_sel_hi:[1,1,0] neg_lo:[0,0,1] neg_hi:[0,0,1]
	v_pk_fma_f32 v[54:55], v[54:55], v[50:51], v[58:59] op_sel:[0,0,1] op_sel_hi:[1,0,0]
	s_delay_alu instid0(VALU_DEP_1) | instskip(SKIP_1) | instid1(VALU_DEP_1)
	v_mov_b32_e32 v61, v55
	v_pk_mul_f32 v[54:55], v[56:57], v[52:53] op_sel:[0,1]
	v_pk_fma_f32 v[58:59], v[56:57], v[50:51], v[54:55] op_sel:[0,0,1] op_sel_hi:[1,1,0] neg_lo:[0,0,1] neg_hi:[0,0,1]
	v_pk_fma_f32 v[54:55], v[56:57], v[50:51], v[54:55] op_sel:[0,0,1] op_sel_hi:[1,0,0]
	s_delay_alu instid0(VALU_DEP_1)
	v_mov_b32_e32 v59, v55
	ds_load_2addr_b64 v[54:57], v70 offset0:4 offset1:5
	v_pk_add_f32 v[38:39], v[38:39], v[60:61] neg_lo:[0,1] neg_hi:[0,1]
	v_pk_add_f32 v[36:37], v[36:37], v[58:59] neg_lo:[0,1] neg_hi:[0,1]
	s_wait_dscnt 0x0
	v_pk_mul_f32 v[58:59], v[54:55], v[52:53] op_sel:[0,1]
	s_delay_alu instid0(VALU_DEP_1) | instskip(SKIP_2) | instid1(VALU_DEP_2)
	v_pk_fma_f32 v[60:61], v[54:55], v[50:51], v[58:59] op_sel:[0,0,1] op_sel_hi:[1,1,0] neg_lo:[0,0,1] neg_hi:[0,0,1]
	v_pk_fma_f32 v[54:55], v[54:55], v[50:51], v[58:59] op_sel:[0,0,1] op_sel_hi:[1,0,0]
	v_dual_mul_f32 v58, v57, v53 :: v_dual_mov_b32 v54, v57
	v_dual_mov_b32 v61, v55 :: v_dual_mov_b32 v55, v56
	s_delay_alu instid0(VALU_DEP_2) | instskip(SKIP_1) | instid1(VALU_DEP_3)
	v_pk_fma_f32 v[58:59], v[56:57], v[42:43], v[58:59] op_sel_hi:[1,1,0] neg_lo:[0,0,1] neg_hi:[0,0,1]
	v_mul_f32_e32 v56, v57, v50
	v_pk_add_f32 v[28:29], v[28:29], v[60:61] neg_lo:[0,1] neg_hi:[0,1]
	s_delay_alu instid0(VALU_DEP_2) | instskip(NEXT) | instid1(VALU_DEP_1)
	v_pk_fma_f32 v[54:55], v[54:55], v[42:43], v[56:57] op_sel_hi:[1,1,0]
	v_mov_b32_e32 v59, v55
	ds_load_2addr_b64 v[54:57], v70 offset0:6 offset1:7
	v_pk_add_f32 v[24:25], v[24:25], v[58:59] neg_lo:[0,1] neg_hi:[0,1]
	s_wait_dscnt 0x0
	v_pk_mul_f32 v[58:59], v[54:55], v[52:53] op_sel:[0,1]
	s_delay_alu instid0(VALU_DEP_1) | instskip(SKIP_1) | instid1(VALU_DEP_1)
	v_pk_fma_f32 v[60:61], v[54:55], v[50:51], v[58:59] op_sel:[0,0,1] op_sel_hi:[1,1,0] neg_lo:[0,0,1] neg_hi:[0,0,1]
	v_pk_fma_f32 v[54:55], v[54:55], v[50:51], v[58:59] op_sel:[0,0,1] op_sel_hi:[1,0,0]
	v_mov_b32_e32 v61, v55
	v_pk_mul_f32 v[54:55], v[56:57], v[52:53] op_sel:[0,1]
	s_delay_alu instid0(VALU_DEP_1) | instskip(SKIP_1) | instid1(VALU_DEP_1)
	v_pk_fma_f32 v[58:59], v[56:57], v[50:51], v[54:55] op_sel:[0,0,1] op_sel_hi:[1,1,0] neg_lo:[0,0,1] neg_hi:[0,0,1]
	v_pk_fma_f32 v[54:55], v[56:57], v[50:51], v[54:55] op_sel:[0,0,1] op_sel_hi:[1,0,0]
	v_mov_b32_e32 v59, v55
	ds_load_2addr_b64 v[54:57], v70 offset0:8 offset1:9
	v_pk_add_f32 v[26:27], v[26:27], v[60:61] neg_lo:[0,1] neg_hi:[0,1]
	v_pk_add_f32 v[22:23], v[22:23], v[58:59] neg_lo:[0,1] neg_hi:[0,1]
	s_wait_dscnt 0x0
	v_pk_mul_f32 v[58:59], v[54:55], v[52:53] op_sel:[0,1]
	s_delay_alu instid0(VALU_DEP_1) | instskip(SKIP_1) | instid1(VALU_DEP_1)
	v_pk_fma_f32 v[60:61], v[54:55], v[50:51], v[58:59] op_sel:[0,0,1] op_sel_hi:[1,1,0] neg_lo:[0,0,1] neg_hi:[0,0,1]
	v_pk_fma_f32 v[54:55], v[54:55], v[50:51], v[58:59] op_sel:[0,0,1] op_sel_hi:[1,0,0]
	v_mov_b32_e32 v61, v55
	v_pk_mul_f32 v[54:55], v[56:57], v[52:53] op_sel:[0,1]
	s_delay_alu instid0(VALU_DEP_1) | instskip(SKIP_1) | instid1(VALU_DEP_1)
	v_pk_fma_f32 v[58:59], v[56:57], v[50:51], v[54:55] op_sel:[0,0,1] op_sel_hi:[1,1,0] neg_lo:[0,0,1] neg_hi:[0,0,1]
	v_pk_fma_f32 v[54:55], v[56:57], v[50:51], v[54:55] op_sel:[0,0,1] op_sel_hi:[1,0,0]
	v_mov_b32_e32 v59, v55
	ds_load_b64 v[54:55], v70 offset:80
	v_pk_add_f32 v[44:45], v[44:45], v[60:61] neg_lo:[0,1] neg_hi:[0,1]
	v_pk_add_f32 v[34:35], v[34:35], v[58:59] neg_lo:[0,1] neg_hi:[0,1]
	s_wait_dscnt 0x0
	v_pk_mul_f32 v[52:53], v[54:55], v[52:53] op_sel:[0,1]
	s_delay_alu instid0(VALU_DEP_1) | instskip(SKIP_1) | instid1(VALU_DEP_1)
	v_pk_fma_f32 v[56:57], v[54:55], v[50:51], v[52:53] op_sel:[0,0,1] op_sel_hi:[1,1,0] neg_lo:[0,0,1] neg_hi:[0,0,1]
	v_pk_fma_f32 v[50:51], v[54:55], v[50:51], v[52:53] op_sel:[0,0,1] op_sel_hi:[1,0,0]
	v_mov_b32_e32 v57, v51
	s_delay_alu instid0(VALU_DEP_1)
	v_pk_add_f32 v[32:33], v[32:33], v[56:57] neg_lo:[0,1] neg_hi:[0,1]
.LBB21_19:
	s_or_b32 exec_lo, exec_lo, s1
	s_delay_alu instid0(SALU_CYCLE_1)
	s_mov_b32 s2, exec_lo
	s_wait_dscnt 0x0
	s_barrier_signal -1
	s_barrier_wait -1
	v_cmpx_eq_u32_e32 2, v68
	s_cbranch_execz .LBB21_26
; %bb.20:
	ds_store_b64 v69, v[38:39]
	ds_store_2addr_b64 v70, v[36:37], v[28:29] offset0:3 offset1:4
	ds_store_2addr_b64 v70, v[24:25], v[26:27] offset0:5 offset1:6
	;; [unrolled: 1-line block ×4, first 2 shown]
	ds_load_b64 v[50:51], v69
	s_wait_dscnt 0x0
	v_cmp_neq_f32_e32 vcc_lo, 0, v50
	v_cmp_neq_f32_e64 s1, 0, v51
	s_or_b32 s1, vcc_lo, s1
	s_delay_alu instid0(SALU_CYCLE_1)
	s_and_b32 exec_lo, exec_lo, s1
	s_cbranch_execz .LBB21_26
; %bb.21:
	v_cmp_ngt_f32_e64 s1, |v50|, |v51|
                                        ; implicit-def: $vgpr52_vgpr53
	s_and_saveexec_b32 s4, s1
	s_delay_alu instid0(SALU_CYCLE_1)
	s_xor_b32 s1, exec_lo, s4
	s_cbranch_execz .LBB21_23
; %bb.22:
	v_div_scale_f32 v52, null, v51, v51, v50
	v_div_scale_f32 v55, vcc_lo, v50, v51, v50
	s_delay_alu instid0(VALU_DEP_2) | instskip(SKIP_1) | instid1(TRANS32_DEP_1)
	v_rcp_f32_e32 v53, v52
	v_nop
	v_fma_f32 v54, -v52, v53, 1.0
	s_delay_alu instid0(VALU_DEP_1) | instskip(NEXT) | instid1(VALU_DEP_1)
	v_fmac_f32_e32 v53, v54, v53
	v_mul_f32_e32 v54, v55, v53
	s_delay_alu instid0(VALU_DEP_1) | instskip(NEXT) | instid1(VALU_DEP_1)
	v_fma_f32 v56, -v52, v54, v55
	v_fmac_f32_e32 v54, v56, v53
	s_delay_alu instid0(VALU_DEP_1) | instskip(NEXT) | instid1(VALU_DEP_1)
	v_fma_f32 v52, -v52, v54, v55
	v_div_fmas_f32 v52, v52, v53, v54
	s_delay_alu instid0(VALU_DEP_1) | instskip(NEXT) | instid1(VALU_DEP_1)
	v_div_fixup_f32 v52, v52, v51, v50
	v_fmac_f32_e32 v51, v50, v52
	s_delay_alu instid0(VALU_DEP_1) | instskip(SKIP_1) | instid1(VALU_DEP_2)
	v_div_scale_f32 v50, null, v51, v51, 1.0
	v_div_scale_f32 v55, vcc_lo, 1.0, v51, 1.0
	v_rcp_f32_e32 v53, v50
	v_nop
	s_delay_alu instid0(TRANS32_DEP_1) | instskip(NEXT) | instid1(VALU_DEP_1)
	v_fma_f32 v54, -v50, v53, 1.0
	v_fmac_f32_e32 v53, v54, v53
	s_delay_alu instid0(VALU_DEP_1) | instskip(NEXT) | instid1(VALU_DEP_1)
	v_mul_f32_e32 v54, v55, v53
	v_fma_f32 v56, -v50, v54, v55
	s_delay_alu instid0(VALU_DEP_1) | instskip(NEXT) | instid1(VALU_DEP_1)
	v_fmac_f32_e32 v54, v56, v53
	v_fma_f32 v50, -v50, v54, v55
	s_delay_alu instid0(VALU_DEP_1) | instskip(NEXT) | instid1(VALU_DEP_1)
	v_div_fmas_f32 v50, v50, v53, v54
	v_div_fixup_f32 v50, v50, v51, 1.0
	s_delay_alu instid0(VALU_DEP_1)
	v_mul_f32_e32 v52, v52, v50
	v_xor_b32_e32 v53, 0x80000000, v50
                                        ; implicit-def: $vgpr50_vgpr51
.LBB21_23:
	s_and_not1_saveexec_b32 s1, s1
	s_cbranch_execz .LBB21_25
; %bb.24:
	v_div_scale_f32 v52, null, v50, v50, v51
	v_div_scale_f32 v55, vcc_lo, v51, v50, v51
	s_delay_alu instid0(VALU_DEP_2) | instskip(SKIP_1) | instid1(TRANS32_DEP_1)
	v_rcp_f32_e32 v53, v52
	v_nop
	v_fma_f32 v54, -v52, v53, 1.0
	s_delay_alu instid0(VALU_DEP_1) | instskip(NEXT) | instid1(VALU_DEP_1)
	v_fmac_f32_e32 v53, v54, v53
	v_mul_f32_e32 v54, v55, v53
	s_delay_alu instid0(VALU_DEP_1) | instskip(NEXT) | instid1(VALU_DEP_1)
	v_fma_f32 v56, -v52, v54, v55
	v_fmac_f32_e32 v54, v56, v53
	s_delay_alu instid0(VALU_DEP_1) | instskip(NEXT) | instid1(VALU_DEP_1)
	v_fma_f32 v52, -v52, v54, v55
	v_div_fmas_f32 v52, v52, v53, v54
	s_delay_alu instid0(VALU_DEP_1) | instskip(NEXT) | instid1(VALU_DEP_1)
	v_div_fixup_f32 v53, v52, v50, v51
	v_fmac_f32_e32 v50, v51, v53
	s_delay_alu instid0(VALU_DEP_1) | instskip(NEXT) | instid1(VALU_DEP_1)
	v_div_scale_f32 v51, null, v50, v50, 1.0
	v_rcp_f32_e32 v52, v51
	v_nop
	s_delay_alu instid0(TRANS32_DEP_1) | instskip(NEXT) | instid1(VALU_DEP_1)
	v_fma_f32 v54, -v51, v52, 1.0
	v_fmac_f32_e32 v52, v54, v52
	v_div_scale_f32 v54, vcc_lo, 1.0, v50, 1.0
	s_delay_alu instid0(VALU_DEP_1) | instskip(NEXT) | instid1(VALU_DEP_1)
	v_mul_f32_e32 v55, v54, v52
	v_fma_f32 v56, -v51, v55, v54
	s_delay_alu instid0(VALU_DEP_1) | instskip(NEXT) | instid1(VALU_DEP_1)
	v_fmac_f32_e32 v55, v56, v52
	v_fma_f32 v51, -v51, v55, v54
	s_delay_alu instid0(VALU_DEP_1) | instskip(NEXT) | instid1(VALU_DEP_1)
	v_div_fmas_f32 v51, v51, v52, v55
	v_div_fixup_f32 v52, v51, v50, 1.0
	s_delay_alu instid0(VALU_DEP_1)
	v_mul_f32_e64 v53, v53, -v52
.LBB21_25:
	s_or_b32 exec_lo, exec_lo, s1
	ds_store_b64 v69, v[52:53]
.LBB21_26:
	s_or_b32 exec_lo, exec_lo, s2
	s_wait_dscnt 0x0
	s_barrier_signal -1
	s_barrier_wait -1
	ds_load_b64 v[50:51], v69
	s_mov_b32 s1, exec_lo
	v_cmpx_lt_u32_e32 2, v68
	s_cbranch_execz .LBB21_28
; %bb.27:
	s_wait_dscnt 0x0
	v_pk_mul_f32 v[52:53], v[50:51], v[38:39] op_sel:[1,1] op_sel_hi:[0,1]
	s_delay_alu instid0(VALU_DEP_1)
	v_pk_fma_f32 v[56:57], v[50:51], v[38:39], v[52:53] op_sel_hi:[1,0,1] neg_lo:[0,0,1] neg_hi:[0,0,1]
	v_pk_fma_f32 v[58:59], v[50:51], v[38:39], v[52:53] op_sel_hi:[1,0,1]
	ds_load_2addr_b64 v[52:55], v70 offset0:3 offset1:4
	v_dual_mov_b32 v38, v56 :: v_dual_mov_b32 v39, v59
	s_wait_dscnt 0x0
	v_pk_mul_f32 v[60:61], v[52:53], v[58:59] op_sel:[0,1]
	s_delay_alu instid0(VALU_DEP_1) | instskip(SKIP_1) | instid1(VALU_DEP_1)
	v_pk_fma_f32 v[62:63], v[52:53], v[56:57], v[60:61] op_sel:[0,0,1] op_sel_hi:[1,1,0] neg_lo:[0,0,1] neg_hi:[0,0,1]
	v_pk_fma_f32 v[52:53], v[52:53], v[56:57], v[60:61] op_sel:[0,0,1] op_sel_hi:[1,0,0]
	v_mov_b32_e32 v63, v53
	v_pk_mul_f32 v[52:53], v[54:55], v[58:59] op_sel:[0,1]
	s_delay_alu instid0(VALU_DEP_1) | instskip(SKIP_1) | instid1(VALU_DEP_1)
	v_pk_fma_f32 v[60:61], v[54:55], v[56:57], v[52:53] op_sel:[0,0,1] op_sel_hi:[1,1,0] neg_lo:[0,0,1] neg_hi:[0,0,1]
	v_pk_fma_f32 v[52:53], v[54:55], v[56:57], v[52:53] op_sel:[0,0,1] op_sel_hi:[1,0,0]
	v_mov_b32_e32 v61, v53
	ds_load_2addr_b64 v[52:55], v70 offset0:5 offset1:6
	v_pk_add_f32 v[36:37], v[36:37], v[62:63] neg_lo:[0,1] neg_hi:[0,1]
	v_pk_add_f32 v[28:29], v[28:29], v[60:61] neg_lo:[0,1] neg_hi:[0,1]
	s_wait_dscnt 0x0
	v_pk_mul_f32 v[60:61], v[52:53], v[58:59] op_sel:[0,1]
	s_delay_alu instid0(VALU_DEP_1) | instskip(SKIP_2) | instid1(VALU_DEP_2)
	v_pk_fma_f32 v[62:63], v[52:53], v[56:57], v[60:61] op_sel:[0,0,1] op_sel_hi:[1,1,0] neg_lo:[0,0,1] neg_hi:[0,0,1]
	v_pk_fma_f32 v[52:53], v[52:53], v[56:57], v[60:61] op_sel:[0,0,1] op_sel_hi:[1,0,0]
	v_dual_mul_f32 v60, v55, v59 :: v_dual_mov_b32 v52, v55
	v_dual_mov_b32 v63, v53 :: v_dual_mov_b32 v53, v54
	s_delay_alu instid0(VALU_DEP_2) | instskip(SKIP_1) | instid1(VALU_DEP_3)
	v_pk_fma_f32 v[60:61], v[54:55], v[38:39], v[60:61] op_sel_hi:[1,1,0] neg_lo:[0,0,1] neg_hi:[0,0,1]
	v_mul_f32_e32 v54, v55, v56
	v_pk_add_f32 v[24:25], v[24:25], v[62:63] neg_lo:[0,1] neg_hi:[0,1]
	s_delay_alu instid0(VALU_DEP_2) | instskip(NEXT) | instid1(VALU_DEP_1)
	v_pk_fma_f32 v[52:53], v[52:53], v[38:39], v[54:55] op_sel_hi:[1,1,0]
	v_mov_b32_e32 v61, v53
	ds_load_2addr_b64 v[52:55], v70 offset0:7 offset1:8
	v_pk_add_f32 v[26:27], v[26:27], v[60:61] neg_lo:[0,1] neg_hi:[0,1]
	s_wait_dscnt 0x0
	v_pk_mul_f32 v[60:61], v[52:53], v[58:59] op_sel:[0,1]
	s_delay_alu instid0(VALU_DEP_1) | instskip(SKIP_1) | instid1(VALU_DEP_1)
	v_pk_fma_f32 v[62:63], v[52:53], v[56:57], v[60:61] op_sel:[0,0,1] op_sel_hi:[1,1,0] neg_lo:[0,0,1] neg_hi:[0,0,1]
	v_pk_fma_f32 v[52:53], v[52:53], v[56:57], v[60:61] op_sel:[0,0,1] op_sel_hi:[1,0,0]
	v_mov_b32_e32 v63, v53
	v_pk_mul_f32 v[52:53], v[54:55], v[58:59] op_sel:[0,1]
	s_delay_alu instid0(VALU_DEP_1) | instskip(SKIP_1) | instid1(VALU_DEP_1)
	v_pk_fma_f32 v[60:61], v[54:55], v[56:57], v[52:53] op_sel:[0,0,1] op_sel_hi:[1,1,0] neg_lo:[0,0,1] neg_hi:[0,0,1]
	v_pk_fma_f32 v[52:53], v[54:55], v[56:57], v[52:53] op_sel:[0,0,1] op_sel_hi:[1,0,0]
	v_mov_b32_e32 v61, v53
	ds_load_2addr_b64 v[52:55], v70 offset0:9 offset1:10
	v_pk_add_f32 v[22:23], v[22:23], v[62:63] neg_lo:[0,1] neg_hi:[0,1]
	v_pk_add_f32 v[44:45], v[44:45], v[60:61] neg_lo:[0,1] neg_hi:[0,1]
	s_wait_dscnt 0x0
	v_pk_mul_f32 v[60:61], v[52:53], v[58:59] op_sel:[0,1]
	s_delay_alu instid0(VALU_DEP_1) | instskip(SKIP_1) | instid1(VALU_DEP_1)
	v_pk_fma_f32 v[62:63], v[52:53], v[56:57], v[60:61] op_sel:[0,0,1] op_sel_hi:[1,1,0] neg_lo:[0,0,1] neg_hi:[0,0,1]
	v_pk_fma_f32 v[52:53], v[52:53], v[56:57], v[60:61] op_sel:[0,0,1] op_sel_hi:[1,0,0]
	v_mov_b32_e32 v63, v53
	v_pk_mul_f32 v[52:53], v[54:55], v[58:59] op_sel:[0,1]
	s_delay_alu instid0(VALU_DEP_1) | instskip(SKIP_1) | instid1(VALU_DEP_1)
	v_pk_fma_f32 v[58:59], v[54:55], v[56:57], v[52:53] op_sel:[0,0,1] op_sel_hi:[1,1,0] neg_lo:[0,0,1] neg_hi:[0,0,1]
	v_pk_fma_f32 v[52:53], v[54:55], v[56:57], v[52:53] op_sel:[0,0,1] op_sel_hi:[1,0,0]
	v_mov_b32_e32 v59, v53
	v_pk_add_f32 v[34:35], v[34:35], v[62:63] neg_lo:[0,1] neg_hi:[0,1]
	s_delay_alu instid0(VALU_DEP_2)
	v_pk_add_f32 v[32:33], v[32:33], v[58:59] neg_lo:[0,1] neg_hi:[0,1]
.LBB21_28:
	s_or_b32 exec_lo, exec_lo, s1
	s_delay_alu instid0(SALU_CYCLE_1)
	s_mov_b32 s2, exec_lo
	s_wait_dscnt 0x0
	s_barrier_signal -1
	s_barrier_wait -1
	v_cmpx_eq_u32_e32 3, v68
	s_cbranch_execz .LBB21_35
; %bb.29:
	v_dual_mov_b32 v52, v28 :: v_dual_mov_b32 v53, v29
	v_dual_mov_b32 v54, v24 :: v_dual_mov_b32 v55, v25
	;; [unrolled: 1-line block ×6, first 2 shown]
	ds_store_b64 v69, v[36:37]
	ds_store_2addr_b64 v70, v[52:53], v[54:55] offset0:4 offset1:5
	ds_store_2addr_b64 v70, v[56:57], v[58:59] offset0:6 offset1:7
	;; [unrolled: 1-line block ×3, first 2 shown]
	ds_store_b64 v70, v[32:33] offset:80
	ds_load_b64 v[52:53], v69
	s_wait_dscnt 0x0
	v_cmp_neq_f32_e32 vcc_lo, 0, v52
	v_cmp_neq_f32_e64 s1, 0, v53
	s_or_b32 s1, vcc_lo, s1
	s_delay_alu instid0(SALU_CYCLE_1)
	s_and_b32 exec_lo, exec_lo, s1
	s_cbranch_execz .LBB21_35
; %bb.30:
	v_cmp_ngt_f32_e64 s1, |v52|, |v53|
                                        ; implicit-def: $vgpr54_vgpr55
	s_and_saveexec_b32 s4, s1
	s_delay_alu instid0(SALU_CYCLE_1)
	s_xor_b32 s1, exec_lo, s4
	s_cbranch_execz .LBB21_32
; %bb.31:
	v_div_scale_f32 v54, null, v53, v53, v52
	v_div_scale_f32 v57, vcc_lo, v52, v53, v52
	s_delay_alu instid0(VALU_DEP_2) | instskip(SKIP_1) | instid1(TRANS32_DEP_1)
	v_rcp_f32_e32 v55, v54
	v_nop
	v_fma_f32 v56, -v54, v55, 1.0
	s_delay_alu instid0(VALU_DEP_1) | instskip(NEXT) | instid1(VALU_DEP_1)
	v_fmac_f32_e32 v55, v56, v55
	v_mul_f32_e32 v56, v57, v55
	s_delay_alu instid0(VALU_DEP_1) | instskip(NEXT) | instid1(VALU_DEP_1)
	v_fma_f32 v58, -v54, v56, v57
	v_fmac_f32_e32 v56, v58, v55
	s_delay_alu instid0(VALU_DEP_1) | instskip(NEXT) | instid1(VALU_DEP_1)
	v_fma_f32 v54, -v54, v56, v57
	v_div_fmas_f32 v54, v54, v55, v56
	s_delay_alu instid0(VALU_DEP_1) | instskip(NEXT) | instid1(VALU_DEP_1)
	v_div_fixup_f32 v54, v54, v53, v52
	v_fmac_f32_e32 v53, v52, v54
	s_delay_alu instid0(VALU_DEP_1) | instskip(SKIP_1) | instid1(VALU_DEP_2)
	v_div_scale_f32 v52, null, v53, v53, 1.0
	v_div_scale_f32 v57, vcc_lo, 1.0, v53, 1.0
	v_rcp_f32_e32 v55, v52
	v_nop
	s_delay_alu instid0(TRANS32_DEP_1) | instskip(NEXT) | instid1(VALU_DEP_1)
	v_fma_f32 v56, -v52, v55, 1.0
	v_fmac_f32_e32 v55, v56, v55
	s_delay_alu instid0(VALU_DEP_1) | instskip(NEXT) | instid1(VALU_DEP_1)
	v_mul_f32_e32 v56, v57, v55
	v_fma_f32 v58, -v52, v56, v57
	s_delay_alu instid0(VALU_DEP_1) | instskip(NEXT) | instid1(VALU_DEP_1)
	v_fmac_f32_e32 v56, v58, v55
	v_fma_f32 v52, -v52, v56, v57
	s_delay_alu instid0(VALU_DEP_1) | instskip(NEXT) | instid1(VALU_DEP_1)
	v_div_fmas_f32 v52, v52, v55, v56
	v_div_fixup_f32 v52, v52, v53, 1.0
	s_delay_alu instid0(VALU_DEP_1)
	v_mul_f32_e32 v54, v54, v52
	v_xor_b32_e32 v55, 0x80000000, v52
                                        ; implicit-def: $vgpr52_vgpr53
.LBB21_32:
	s_and_not1_saveexec_b32 s1, s1
	s_cbranch_execz .LBB21_34
; %bb.33:
	v_div_scale_f32 v54, null, v52, v52, v53
	v_div_scale_f32 v57, vcc_lo, v53, v52, v53
	s_delay_alu instid0(VALU_DEP_2) | instskip(SKIP_1) | instid1(TRANS32_DEP_1)
	v_rcp_f32_e32 v55, v54
	v_nop
	v_fma_f32 v56, -v54, v55, 1.0
	s_delay_alu instid0(VALU_DEP_1) | instskip(NEXT) | instid1(VALU_DEP_1)
	v_fmac_f32_e32 v55, v56, v55
	v_mul_f32_e32 v56, v57, v55
	s_delay_alu instid0(VALU_DEP_1) | instskip(NEXT) | instid1(VALU_DEP_1)
	v_fma_f32 v58, -v54, v56, v57
	v_fmac_f32_e32 v56, v58, v55
	s_delay_alu instid0(VALU_DEP_1) | instskip(NEXT) | instid1(VALU_DEP_1)
	v_fma_f32 v54, -v54, v56, v57
	v_div_fmas_f32 v54, v54, v55, v56
	s_delay_alu instid0(VALU_DEP_1) | instskip(NEXT) | instid1(VALU_DEP_1)
	v_div_fixup_f32 v55, v54, v52, v53
	v_fmac_f32_e32 v52, v53, v55
	s_delay_alu instid0(VALU_DEP_1) | instskip(NEXT) | instid1(VALU_DEP_1)
	v_div_scale_f32 v53, null, v52, v52, 1.0
	v_rcp_f32_e32 v54, v53
	v_nop
	s_delay_alu instid0(TRANS32_DEP_1) | instskip(NEXT) | instid1(VALU_DEP_1)
	v_fma_f32 v56, -v53, v54, 1.0
	v_fmac_f32_e32 v54, v56, v54
	v_div_scale_f32 v56, vcc_lo, 1.0, v52, 1.0
	s_delay_alu instid0(VALU_DEP_1) | instskip(NEXT) | instid1(VALU_DEP_1)
	v_mul_f32_e32 v57, v56, v54
	v_fma_f32 v58, -v53, v57, v56
	s_delay_alu instid0(VALU_DEP_1) | instskip(NEXT) | instid1(VALU_DEP_1)
	v_fmac_f32_e32 v57, v58, v54
	v_fma_f32 v53, -v53, v57, v56
	s_delay_alu instid0(VALU_DEP_1) | instskip(NEXT) | instid1(VALU_DEP_1)
	v_div_fmas_f32 v53, v53, v54, v57
	v_div_fixup_f32 v54, v53, v52, 1.0
	s_delay_alu instid0(VALU_DEP_1)
	v_mul_f32_e64 v55, v55, -v54
.LBB21_34:
	s_or_b32 exec_lo, exec_lo, s1
	ds_store_b64 v69, v[54:55]
.LBB21_35:
	s_or_b32 exec_lo, exec_lo, s2
	s_wait_dscnt 0x0
	s_barrier_signal -1
	s_barrier_wait -1
	ds_load_b64 v[52:53], v69
	s_mov_b32 s1, exec_lo
	v_cmpx_lt_u32_e32 3, v68
	s_cbranch_execz .LBB21_37
; %bb.36:
	s_wait_dscnt 0x0
	v_pk_mul_f32 v[54:55], v[52:53], v[36:37] op_sel:[1,1] op_sel_hi:[0,1]
	s_delay_alu instid0(VALU_DEP_1)
	v_pk_fma_f32 v[58:59], v[52:53], v[36:37], v[54:55] op_sel_hi:[1,0,1] neg_lo:[0,0,1] neg_hi:[0,0,1]
	v_pk_fma_f32 v[60:61], v[52:53], v[36:37], v[54:55] op_sel_hi:[1,0,1]
	ds_load_2addr_b64 v[54:57], v70 offset0:4 offset1:5
	v_dual_mov_b32 v36, v58 :: v_dual_mov_b32 v37, v61
	s_wait_dscnt 0x0
	v_pk_mul_f32 v[62:63], v[54:55], v[60:61] op_sel:[0,1]
	s_delay_alu instid0(VALU_DEP_1) | instskip(SKIP_1) | instid1(VALU_DEP_1)
	v_pk_fma_f32 v[64:65], v[54:55], v[58:59], v[62:63] op_sel:[0,0,1] op_sel_hi:[1,1,0] neg_lo:[0,0,1] neg_hi:[0,0,1]
	v_pk_fma_f32 v[54:55], v[54:55], v[58:59], v[62:63] op_sel:[0,0,1] op_sel_hi:[1,0,0]
	v_mov_b32_e32 v65, v55
	v_pk_mul_f32 v[54:55], v[56:57], v[60:61] op_sel:[0,1]
	s_delay_alu instid0(VALU_DEP_1) | instskip(SKIP_1) | instid1(VALU_DEP_1)
	v_pk_fma_f32 v[62:63], v[56:57], v[58:59], v[54:55] op_sel:[0,0,1] op_sel_hi:[1,1,0] neg_lo:[0,0,1] neg_hi:[0,0,1]
	v_pk_fma_f32 v[54:55], v[56:57], v[58:59], v[54:55] op_sel:[0,0,1] op_sel_hi:[1,0,0]
	v_mov_b32_e32 v63, v55
	ds_load_2addr_b64 v[54:57], v70 offset0:6 offset1:7
	v_pk_add_f32 v[28:29], v[28:29], v[64:65] neg_lo:[0,1] neg_hi:[0,1]
	v_pk_add_f32 v[24:25], v[24:25], v[62:63] neg_lo:[0,1] neg_hi:[0,1]
	s_wait_dscnt 0x0
	v_pk_mul_f32 v[62:63], v[54:55], v[60:61] op_sel:[0,1]
	s_delay_alu instid0(VALU_DEP_1) | instskip(SKIP_2) | instid1(VALU_DEP_2)
	v_pk_fma_f32 v[64:65], v[54:55], v[58:59], v[62:63] op_sel:[0,0,1] op_sel_hi:[1,1,0] neg_lo:[0,0,1] neg_hi:[0,0,1]
	v_pk_fma_f32 v[54:55], v[54:55], v[58:59], v[62:63] op_sel:[0,0,1] op_sel_hi:[1,0,0]
	v_dual_mul_f32 v62, v57, v61 :: v_dual_mov_b32 v54, v57
	v_dual_mov_b32 v65, v55 :: v_dual_mov_b32 v55, v56
	s_delay_alu instid0(VALU_DEP_2) | instskip(SKIP_1) | instid1(VALU_DEP_3)
	v_pk_fma_f32 v[62:63], v[56:57], v[36:37], v[62:63] op_sel_hi:[1,1,0] neg_lo:[0,0,1] neg_hi:[0,0,1]
	v_mul_f32_e32 v56, v57, v58
	v_pk_add_f32 v[26:27], v[26:27], v[64:65] neg_lo:[0,1] neg_hi:[0,1]
	s_delay_alu instid0(VALU_DEP_2) | instskip(NEXT) | instid1(VALU_DEP_1)
	v_pk_fma_f32 v[54:55], v[54:55], v[36:37], v[56:57] op_sel_hi:[1,1,0]
	v_mov_b32_e32 v63, v55
	ds_load_2addr_b64 v[54:57], v70 offset0:8 offset1:9
	v_pk_add_f32 v[22:23], v[22:23], v[62:63] neg_lo:[0,1] neg_hi:[0,1]
	s_wait_dscnt 0x0
	v_pk_mul_f32 v[62:63], v[54:55], v[60:61] op_sel:[0,1]
	s_delay_alu instid0(VALU_DEP_1) | instskip(SKIP_1) | instid1(VALU_DEP_1)
	v_pk_fma_f32 v[64:65], v[54:55], v[58:59], v[62:63] op_sel:[0,0,1] op_sel_hi:[1,1,0] neg_lo:[0,0,1] neg_hi:[0,0,1]
	v_pk_fma_f32 v[54:55], v[54:55], v[58:59], v[62:63] op_sel:[0,0,1] op_sel_hi:[1,0,0]
	v_mov_b32_e32 v65, v55
	v_pk_mul_f32 v[54:55], v[56:57], v[60:61] op_sel:[0,1]
	s_delay_alu instid0(VALU_DEP_1) | instskip(SKIP_1) | instid1(VALU_DEP_1)
	v_pk_fma_f32 v[62:63], v[56:57], v[58:59], v[54:55] op_sel:[0,0,1] op_sel_hi:[1,1,0] neg_lo:[0,0,1] neg_hi:[0,0,1]
	v_pk_fma_f32 v[54:55], v[56:57], v[58:59], v[54:55] op_sel:[0,0,1] op_sel_hi:[1,0,0]
	v_mov_b32_e32 v63, v55
	ds_load_b64 v[54:55], v70 offset:80
	v_pk_add_f32 v[44:45], v[44:45], v[64:65] neg_lo:[0,1] neg_hi:[0,1]
	v_pk_add_f32 v[34:35], v[34:35], v[62:63] neg_lo:[0,1] neg_hi:[0,1]
	s_wait_dscnt 0x0
	v_pk_mul_f32 v[56:57], v[54:55], v[60:61] op_sel:[0,1]
	s_delay_alu instid0(VALU_DEP_1) | instskip(SKIP_1) | instid1(VALU_DEP_1)
	v_pk_fma_f32 v[60:61], v[54:55], v[58:59], v[56:57] op_sel:[0,0,1] op_sel_hi:[1,1,0] neg_lo:[0,0,1] neg_hi:[0,0,1]
	v_pk_fma_f32 v[54:55], v[54:55], v[58:59], v[56:57] op_sel:[0,0,1] op_sel_hi:[1,0,0]
	v_mov_b32_e32 v61, v55
	s_delay_alu instid0(VALU_DEP_1)
	v_pk_add_f32 v[32:33], v[32:33], v[60:61] neg_lo:[0,1] neg_hi:[0,1]
.LBB21_37:
	s_or_b32 exec_lo, exec_lo, s1
	s_delay_alu instid0(SALU_CYCLE_1)
	s_mov_b32 s2, exec_lo
	s_wait_dscnt 0x0
	s_barrier_signal -1
	s_barrier_wait -1
	v_cmpx_eq_u32_e32 4, v68
	s_cbranch_execz .LBB21_44
; %bb.38:
	ds_store_b64 v69, v[28:29]
	ds_store_2addr_b64 v70, v[24:25], v[26:27] offset0:5 offset1:6
	ds_store_2addr_b64 v70, v[22:23], v[44:45] offset0:7 offset1:8
	ds_store_2addr_b64 v70, v[34:35], v[32:33] offset0:9 offset1:10
	ds_load_b64 v[54:55], v69
	s_wait_dscnt 0x0
	v_cmp_neq_f32_e32 vcc_lo, 0, v54
	v_cmp_neq_f32_e64 s1, 0, v55
	s_or_b32 s1, vcc_lo, s1
	s_delay_alu instid0(SALU_CYCLE_1)
	s_and_b32 exec_lo, exec_lo, s1
	s_cbranch_execz .LBB21_44
; %bb.39:
	v_cmp_ngt_f32_e64 s1, |v54|, |v55|
                                        ; implicit-def: $vgpr56_vgpr57
	s_and_saveexec_b32 s4, s1
	s_delay_alu instid0(SALU_CYCLE_1)
	s_xor_b32 s1, exec_lo, s4
	s_cbranch_execz .LBB21_41
; %bb.40:
	v_div_scale_f32 v56, null, v55, v55, v54
	v_div_scale_f32 v59, vcc_lo, v54, v55, v54
	s_delay_alu instid0(VALU_DEP_2) | instskip(SKIP_1) | instid1(TRANS32_DEP_1)
	v_rcp_f32_e32 v57, v56
	v_nop
	v_fma_f32 v58, -v56, v57, 1.0
	s_delay_alu instid0(VALU_DEP_1) | instskip(NEXT) | instid1(VALU_DEP_1)
	v_fmac_f32_e32 v57, v58, v57
	v_mul_f32_e32 v58, v59, v57
	s_delay_alu instid0(VALU_DEP_1) | instskip(NEXT) | instid1(VALU_DEP_1)
	v_fma_f32 v60, -v56, v58, v59
	v_fmac_f32_e32 v58, v60, v57
	s_delay_alu instid0(VALU_DEP_1) | instskip(NEXT) | instid1(VALU_DEP_1)
	v_fma_f32 v56, -v56, v58, v59
	v_div_fmas_f32 v56, v56, v57, v58
	s_delay_alu instid0(VALU_DEP_1) | instskip(NEXT) | instid1(VALU_DEP_1)
	v_div_fixup_f32 v56, v56, v55, v54
	v_fmac_f32_e32 v55, v54, v56
	s_delay_alu instid0(VALU_DEP_1) | instskip(SKIP_1) | instid1(VALU_DEP_2)
	v_div_scale_f32 v54, null, v55, v55, 1.0
	v_div_scale_f32 v59, vcc_lo, 1.0, v55, 1.0
	v_rcp_f32_e32 v57, v54
	v_nop
	s_delay_alu instid0(TRANS32_DEP_1) | instskip(NEXT) | instid1(VALU_DEP_1)
	v_fma_f32 v58, -v54, v57, 1.0
	v_fmac_f32_e32 v57, v58, v57
	s_delay_alu instid0(VALU_DEP_1) | instskip(NEXT) | instid1(VALU_DEP_1)
	v_mul_f32_e32 v58, v59, v57
	v_fma_f32 v60, -v54, v58, v59
	s_delay_alu instid0(VALU_DEP_1) | instskip(NEXT) | instid1(VALU_DEP_1)
	v_fmac_f32_e32 v58, v60, v57
	v_fma_f32 v54, -v54, v58, v59
	s_delay_alu instid0(VALU_DEP_1) | instskip(NEXT) | instid1(VALU_DEP_1)
	v_div_fmas_f32 v54, v54, v57, v58
	v_div_fixup_f32 v54, v54, v55, 1.0
	s_delay_alu instid0(VALU_DEP_1)
	v_mul_f32_e32 v56, v56, v54
	v_xor_b32_e32 v57, 0x80000000, v54
                                        ; implicit-def: $vgpr54_vgpr55
.LBB21_41:
	s_and_not1_saveexec_b32 s1, s1
	s_cbranch_execz .LBB21_43
; %bb.42:
	v_div_scale_f32 v56, null, v54, v54, v55
	v_div_scale_f32 v59, vcc_lo, v55, v54, v55
	s_delay_alu instid0(VALU_DEP_2) | instskip(SKIP_1) | instid1(TRANS32_DEP_1)
	v_rcp_f32_e32 v57, v56
	v_nop
	v_fma_f32 v58, -v56, v57, 1.0
	s_delay_alu instid0(VALU_DEP_1) | instskip(NEXT) | instid1(VALU_DEP_1)
	v_fmac_f32_e32 v57, v58, v57
	v_mul_f32_e32 v58, v59, v57
	s_delay_alu instid0(VALU_DEP_1) | instskip(NEXT) | instid1(VALU_DEP_1)
	v_fma_f32 v60, -v56, v58, v59
	v_fmac_f32_e32 v58, v60, v57
	s_delay_alu instid0(VALU_DEP_1) | instskip(NEXT) | instid1(VALU_DEP_1)
	v_fma_f32 v56, -v56, v58, v59
	v_div_fmas_f32 v56, v56, v57, v58
	s_delay_alu instid0(VALU_DEP_1) | instskip(NEXT) | instid1(VALU_DEP_1)
	v_div_fixup_f32 v57, v56, v54, v55
	v_fmac_f32_e32 v54, v55, v57
	s_delay_alu instid0(VALU_DEP_1) | instskip(NEXT) | instid1(VALU_DEP_1)
	v_div_scale_f32 v55, null, v54, v54, 1.0
	v_rcp_f32_e32 v56, v55
	v_nop
	s_delay_alu instid0(TRANS32_DEP_1) | instskip(NEXT) | instid1(VALU_DEP_1)
	v_fma_f32 v58, -v55, v56, 1.0
	v_fmac_f32_e32 v56, v58, v56
	v_div_scale_f32 v58, vcc_lo, 1.0, v54, 1.0
	s_delay_alu instid0(VALU_DEP_1) | instskip(NEXT) | instid1(VALU_DEP_1)
	v_mul_f32_e32 v59, v58, v56
	v_fma_f32 v60, -v55, v59, v58
	s_delay_alu instid0(VALU_DEP_1) | instskip(NEXT) | instid1(VALU_DEP_1)
	v_fmac_f32_e32 v59, v60, v56
	v_fma_f32 v55, -v55, v59, v58
	s_delay_alu instid0(VALU_DEP_1) | instskip(NEXT) | instid1(VALU_DEP_1)
	v_div_fmas_f32 v55, v55, v56, v59
	v_div_fixup_f32 v56, v55, v54, 1.0
	s_delay_alu instid0(VALU_DEP_1)
	v_mul_f32_e64 v57, v57, -v56
.LBB21_43:
	s_or_b32 exec_lo, exec_lo, s1
	ds_store_b64 v69, v[56:57]
.LBB21_44:
	s_or_b32 exec_lo, exec_lo, s2
	s_wait_dscnt 0x0
	s_barrier_signal -1
	s_barrier_wait -1
	ds_load_b64 v[54:55], v69
	s_mov_b32 s1, exec_lo
	v_cmpx_lt_u32_e32 4, v68
	s_cbranch_execz .LBB21_46
; %bb.45:
	s_wait_dscnt 0x0
	v_pk_mul_f32 v[56:57], v[54:55], v[28:29] op_sel:[1,1] op_sel_hi:[0,1]
	s_delay_alu instid0(VALU_DEP_1)
	v_pk_fma_f32 v[60:61], v[54:55], v[28:29], v[56:57] op_sel_hi:[1,0,1] neg_lo:[0,0,1] neg_hi:[0,0,1]
	v_pk_fma_f32 v[62:63], v[54:55], v[28:29], v[56:57] op_sel_hi:[1,0,1]
	ds_load_2addr_b64 v[56:59], v70 offset0:5 offset1:6
	v_dual_mov_b32 v28, v60 :: v_dual_mov_b32 v29, v63
	s_wait_dscnt 0x0
	v_pk_mul_f32 v[64:65], v[56:57], v[62:63] op_sel:[0,1]
	s_delay_alu instid0(VALU_DEP_1) | instskip(SKIP_1) | instid1(VALU_DEP_1)
	v_pk_fma_f32 v[66:67], v[56:57], v[60:61], v[64:65] op_sel:[0,0,1] op_sel_hi:[1,1,0] neg_lo:[0,0,1] neg_hi:[0,0,1]
	v_pk_fma_f32 v[56:57], v[56:57], v[60:61], v[64:65] op_sel:[0,0,1] op_sel_hi:[1,0,0]
	v_mov_b32_e32 v67, v57
	v_pk_mul_f32 v[56:57], v[58:59], v[62:63] op_sel:[0,1]
	s_delay_alu instid0(VALU_DEP_1) | instskip(SKIP_1) | instid1(VALU_DEP_1)
	v_pk_fma_f32 v[64:65], v[58:59], v[60:61], v[56:57] op_sel:[0,0,1] op_sel_hi:[1,1,0] neg_lo:[0,0,1] neg_hi:[0,0,1]
	v_pk_fma_f32 v[56:57], v[58:59], v[60:61], v[56:57] op_sel:[0,0,1] op_sel_hi:[1,0,0]
	v_mov_b32_e32 v65, v57
	ds_load_2addr_b64 v[56:59], v70 offset0:7 offset1:8
	v_pk_add_f32 v[24:25], v[24:25], v[66:67] neg_lo:[0,1] neg_hi:[0,1]
	v_pk_add_f32 v[26:27], v[26:27], v[64:65] neg_lo:[0,1] neg_hi:[0,1]
	s_wait_dscnt 0x0
	v_pk_mul_f32 v[64:65], v[56:57], v[62:63] op_sel:[0,1]
	s_delay_alu instid0(VALU_DEP_1) | instskip(SKIP_2) | instid1(VALU_DEP_2)
	v_pk_fma_f32 v[66:67], v[56:57], v[60:61], v[64:65] op_sel:[0,0,1] op_sel_hi:[1,1,0] neg_lo:[0,0,1] neg_hi:[0,0,1]
	v_pk_fma_f32 v[56:57], v[56:57], v[60:61], v[64:65] op_sel:[0,0,1] op_sel_hi:[1,0,0]
	v_dual_mul_f32 v64, v59, v63 :: v_dual_mov_b32 v56, v59
	v_dual_mov_b32 v67, v57 :: v_dual_mov_b32 v57, v58
	s_delay_alu instid0(VALU_DEP_2) | instskip(SKIP_1) | instid1(VALU_DEP_3)
	v_pk_fma_f32 v[64:65], v[58:59], v[28:29], v[64:65] op_sel_hi:[1,1,0] neg_lo:[0,0,1] neg_hi:[0,0,1]
	v_mul_f32_e32 v58, v59, v60
	v_pk_add_f32 v[22:23], v[22:23], v[66:67] neg_lo:[0,1] neg_hi:[0,1]
	s_delay_alu instid0(VALU_DEP_2) | instskip(NEXT) | instid1(VALU_DEP_1)
	v_pk_fma_f32 v[56:57], v[56:57], v[28:29], v[58:59] op_sel_hi:[1,1,0]
	v_mov_b32_e32 v65, v57
	ds_load_2addr_b64 v[56:59], v70 offset0:9 offset1:10
	v_pk_add_f32 v[44:45], v[44:45], v[64:65] neg_lo:[0,1] neg_hi:[0,1]
	s_wait_dscnt 0x0
	v_pk_mul_f32 v[64:65], v[56:57], v[62:63] op_sel:[0,1]
	v_mul_f32_e32 v62, v59, v63
	s_delay_alu instid0(VALU_DEP_2) | instskip(SKIP_2) | instid1(VALU_DEP_4)
	v_pk_fma_f32 v[66:67], v[56:57], v[60:61], v[64:65] op_sel:[0,0,1] op_sel_hi:[1,1,0] neg_lo:[0,0,1] neg_hi:[0,0,1]
	v_pk_fma_f32 v[56:57], v[56:57], v[60:61], v[64:65] op_sel:[0,0,1] op_sel_hi:[1,0,0]
	v_mov_b32_e32 v56, v59
	v_pk_fma_f32 v[62:63], v[58:59], v[28:29], v[62:63] op_sel_hi:[1,1,0] neg_lo:[0,0,1] neg_hi:[0,0,1]
	s_delay_alu instid0(VALU_DEP_3) | instskip(SKIP_1) | instid1(VALU_DEP_2)
	v_dual_mov_b32 v67, v57 :: v_dual_mov_b32 v57, v58
	v_mul_f32_e32 v58, v59, v60
	v_pk_add_f32 v[34:35], v[34:35], v[66:67] neg_lo:[0,1] neg_hi:[0,1]
	s_delay_alu instid0(VALU_DEP_2) | instskip(NEXT) | instid1(VALU_DEP_1)
	v_pk_fma_f32 v[56:57], v[56:57], v[28:29], v[58:59] op_sel_hi:[1,1,0]
	v_mov_b32_e32 v63, v57
	s_delay_alu instid0(VALU_DEP_1)
	v_pk_add_f32 v[32:33], v[32:33], v[62:63] neg_lo:[0,1] neg_hi:[0,1]
.LBB21_46:
	s_or_b32 exec_lo, exec_lo, s1
	s_delay_alu instid0(SALU_CYCLE_1)
	s_mov_b32 s2, exec_lo
	s_wait_dscnt 0x0
	s_barrier_signal -1
	s_barrier_wait -1
	v_cmpx_eq_u32_e32 5, v68
	s_cbranch_execz .LBB21_53
; %bb.47:
	v_dual_mov_b32 v56, v26 :: v_dual_mov_b32 v57, v27
	v_dual_mov_b32 v58, v22 :: v_dual_mov_b32 v59, v23
	v_dual_mov_b32 v60, v44 :: v_dual_mov_b32 v61, v45
	v_dual_mov_b32 v62, v34 :: v_dual_mov_b32 v63, v35
	ds_store_b64 v69, v[24:25]
	ds_store_2addr_b64 v70, v[56:57], v[58:59] offset0:6 offset1:7
	ds_store_2addr_b64 v70, v[60:61], v[62:63] offset0:8 offset1:9
	ds_store_b64 v70, v[32:33] offset:80
	ds_load_b64 v[56:57], v69
	s_wait_dscnt 0x0
	v_cmp_neq_f32_e32 vcc_lo, 0, v56
	v_cmp_neq_f32_e64 s1, 0, v57
	s_or_b32 s1, vcc_lo, s1
	s_delay_alu instid0(SALU_CYCLE_1)
	s_and_b32 exec_lo, exec_lo, s1
	s_cbranch_execz .LBB21_53
; %bb.48:
	v_cmp_ngt_f32_e64 s1, |v56|, |v57|
                                        ; implicit-def: $vgpr58_vgpr59
	s_and_saveexec_b32 s4, s1
	s_delay_alu instid0(SALU_CYCLE_1)
	s_xor_b32 s1, exec_lo, s4
	s_cbranch_execz .LBB21_50
; %bb.49:
	v_div_scale_f32 v58, null, v57, v57, v56
	v_div_scale_f32 v61, vcc_lo, v56, v57, v56
	s_delay_alu instid0(VALU_DEP_2) | instskip(SKIP_1) | instid1(TRANS32_DEP_1)
	v_rcp_f32_e32 v59, v58
	v_nop
	v_fma_f32 v60, -v58, v59, 1.0
	s_delay_alu instid0(VALU_DEP_1) | instskip(NEXT) | instid1(VALU_DEP_1)
	v_fmac_f32_e32 v59, v60, v59
	v_mul_f32_e32 v60, v61, v59
	s_delay_alu instid0(VALU_DEP_1) | instskip(NEXT) | instid1(VALU_DEP_1)
	v_fma_f32 v62, -v58, v60, v61
	v_fmac_f32_e32 v60, v62, v59
	s_delay_alu instid0(VALU_DEP_1) | instskip(NEXT) | instid1(VALU_DEP_1)
	v_fma_f32 v58, -v58, v60, v61
	v_div_fmas_f32 v58, v58, v59, v60
	s_delay_alu instid0(VALU_DEP_1) | instskip(NEXT) | instid1(VALU_DEP_1)
	v_div_fixup_f32 v58, v58, v57, v56
	v_fmac_f32_e32 v57, v56, v58
	s_delay_alu instid0(VALU_DEP_1) | instskip(SKIP_1) | instid1(VALU_DEP_2)
	v_div_scale_f32 v56, null, v57, v57, 1.0
	v_div_scale_f32 v61, vcc_lo, 1.0, v57, 1.0
	v_rcp_f32_e32 v59, v56
	v_nop
	s_delay_alu instid0(TRANS32_DEP_1) | instskip(NEXT) | instid1(VALU_DEP_1)
	v_fma_f32 v60, -v56, v59, 1.0
	v_fmac_f32_e32 v59, v60, v59
	s_delay_alu instid0(VALU_DEP_1) | instskip(NEXT) | instid1(VALU_DEP_1)
	v_mul_f32_e32 v60, v61, v59
	v_fma_f32 v62, -v56, v60, v61
	s_delay_alu instid0(VALU_DEP_1) | instskip(NEXT) | instid1(VALU_DEP_1)
	v_fmac_f32_e32 v60, v62, v59
	v_fma_f32 v56, -v56, v60, v61
	s_delay_alu instid0(VALU_DEP_1) | instskip(NEXT) | instid1(VALU_DEP_1)
	v_div_fmas_f32 v56, v56, v59, v60
	v_div_fixup_f32 v56, v56, v57, 1.0
	s_delay_alu instid0(VALU_DEP_1)
	v_mul_f32_e32 v58, v58, v56
	v_xor_b32_e32 v59, 0x80000000, v56
                                        ; implicit-def: $vgpr56_vgpr57
.LBB21_50:
	s_and_not1_saveexec_b32 s1, s1
	s_cbranch_execz .LBB21_52
; %bb.51:
	v_div_scale_f32 v58, null, v56, v56, v57
	v_div_scale_f32 v61, vcc_lo, v57, v56, v57
	s_delay_alu instid0(VALU_DEP_2) | instskip(SKIP_1) | instid1(TRANS32_DEP_1)
	v_rcp_f32_e32 v59, v58
	v_nop
	v_fma_f32 v60, -v58, v59, 1.0
	s_delay_alu instid0(VALU_DEP_1) | instskip(NEXT) | instid1(VALU_DEP_1)
	v_fmac_f32_e32 v59, v60, v59
	v_mul_f32_e32 v60, v61, v59
	s_delay_alu instid0(VALU_DEP_1) | instskip(NEXT) | instid1(VALU_DEP_1)
	v_fma_f32 v62, -v58, v60, v61
	v_fmac_f32_e32 v60, v62, v59
	s_delay_alu instid0(VALU_DEP_1) | instskip(NEXT) | instid1(VALU_DEP_1)
	v_fma_f32 v58, -v58, v60, v61
	v_div_fmas_f32 v58, v58, v59, v60
	s_delay_alu instid0(VALU_DEP_1) | instskip(NEXT) | instid1(VALU_DEP_1)
	v_div_fixup_f32 v59, v58, v56, v57
	v_fmac_f32_e32 v56, v57, v59
	s_delay_alu instid0(VALU_DEP_1) | instskip(NEXT) | instid1(VALU_DEP_1)
	v_div_scale_f32 v57, null, v56, v56, 1.0
	v_rcp_f32_e32 v58, v57
	v_nop
	s_delay_alu instid0(TRANS32_DEP_1) | instskip(NEXT) | instid1(VALU_DEP_1)
	v_fma_f32 v60, -v57, v58, 1.0
	v_fmac_f32_e32 v58, v60, v58
	v_div_scale_f32 v60, vcc_lo, 1.0, v56, 1.0
	s_delay_alu instid0(VALU_DEP_1) | instskip(NEXT) | instid1(VALU_DEP_1)
	v_mul_f32_e32 v61, v60, v58
	v_fma_f32 v62, -v57, v61, v60
	s_delay_alu instid0(VALU_DEP_1) | instskip(NEXT) | instid1(VALU_DEP_1)
	v_fmac_f32_e32 v61, v62, v58
	v_fma_f32 v57, -v57, v61, v60
	s_delay_alu instid0(VALU_DEP_1) | instskip(NEXT) | instid1(VALU_DEP_1)
	v_div_fmas_f32 v57, v57, v58, v61
	v_div_fixup_f32 v58, v57, v56, 1.0
	s_delay_alu instid0(VALU_DEP_1)
	v_mul_f32_e64 v59, v59, -v58
.LBB21_52:
	s_or_b32 exec_lo, exec_lo, s1
	ds_store_b64 v69, v[58:59]
.LBB21_53:
	s_or_b32 exec_lo, exec_lo, s2
	s_wait_dscnt 0x0
	s_barrier_signal -1
	s_barrier_wait -1
	ds_load_b64 v[56:57], v69
	s_mov_b32 s1, exec_lo
	v_cmpx_lt_u32_e32 5, v68
	s_cbranch_execz .LBB21_55
; %bb.54:
	s_wait_dscnt 0x0
	v_pk_mul_f32 v[58:59], v[56:57], v[24:25] op_sel:[1,1] op_sel_hi:[0,1]
	s_delay_alu instid0(VALU_DEP_1)
	v_pk_fma_f32 v[62:63], v[56:57], v[24:25], v[58:59] op_sel_hi:[1,0,1] neg_lo:[0,0,1] neg_hi:[0,0,1]
	v_pk_fma_f32 v[64:65], v[56:57], v[24:25], v[58:59] op_sel_hi:[1,0,1]
	ds_load_2addr_b64 v[58:61], v70 offset0:6 offset1:7
	v_dual_mov_b32 v24, v62 :: v_dual_mov_b32 v25, v65
	s_wait_dscnt 0x0
	v_pk_mul_f32 v[66:67], v[58:59], v[64:65] op_sel:[0,1]
	s_delay_alu instid0(VALU_DEP_1) | instskip(SKIP_1) | instid1(VALU_DEP_1)
	v_pk_fma_f32 v[72:73], v[58:59], v[62:63], v[66:67] op_sel:[0,0,1] op_sel_hi:[1,1,0] neg_lo:[0,0,1] neg_hi:[0,0,1]
	v_pk_fma_f32 v[58:59], v[58:59], v[62:63], v[66:67] op_sel:[0,0,1] op_sel_hi:[1,0,0]
	v_mov_b32_e32 v73, v59
	v_pk_mul_f32 v[58:59], v[60:61], v[64:65] op_sel:[0,1]
	s_delay_alu instid0(VALU_DEP_1) | instskip(SKIP_1) | instid1(VALU_DEP_1)
	v_pk_fma_f32 v[66:67], v[60:61], v[62:63], v[58:59] op_sel:[0,0,1] op_sel_hi:[1,1,0] neg_lo:[0,0,1] neg_hi:[0,0,1]
	v_pk_fma_f32 v[58:59], v[60:61], v[62:63], v[58:59] op_sel:[0,0,1] op_sel_hi:[1,0,0]
	v_mov_b32_e32 v67, v59
	ds_load_2addr_b64 v[58:61], v70 offset0:8 offset1:9
	v_pk_add_f32 v[26:27], v[26:27], v[72:73] neg_lo:[0,1] neg_hi:[0,1]
	v_pk_add_f32 v[22:23], v[22:23], v[66:67] neg_lo:[0,1] neg_hi:[0,1]
	s_wait_dscnt 0x0
	v_pk_mul_f32 v[66:67], v[58:59], v[64:65] op_sel:[0,1]
	s_delay_alu instid0(VALU_DEP_1) | instskip(SKIP_2) | instid1(VALU_DEP_2)
	v_pk_fma_f32 v[72:73], v[58:59], v[62:63], v[66:67] op_sel:[0,0,1] op_sel_hi:[1,1,0] neg_lo:[0,0,1] neg_hi:[0,0,1]
	v_pk_fma_f32 v[58:59], v[58:59], v[62:63], v[66:67] op_sel:[0,0,1] op_sel_hi:[1,0,0]
	v_dual_mul_f32 v66, v61, v65 :: v_dual_mov_b32 v58, v61
	v_dual_mov_b32 v73, v59 :: v_dual_mov_b32 v59, v60
	s_delay_alu instid0(VALU_DEP_2) | instskip(SKIP_1) | instid1(VALU_DEP_3)
	v_pk_fma_f32 v[66:67], v[60:61], v[24:25], v[66:67] op_sel_hi:[1,1,0] neg_lo:[0,0,1] neg_hi:[0,0,1]
	v_mul_f32_e32 v60, v61, v62
	v_pk_add_f32 v[44:45], v[44:45], v[72:73] neg_lo:[0,1] neg_hi:[0,1]
	s_delay_alu instid0(VALU_DEP_2) | instskip(NEXT) | instid1(VALU_DEP_1)
	v_pk_fma_f32 v[58:59], v[58:59], v[24:25], v[60:61] op_sel_hi:[1,1,0]
	v_mov_b32_e32 v67, v59
	ds_load_b64 v[58:59], v70 offset:80
	v_pk_add_f32 v[34:35], v[34:35], v[66:67] neg_lo:[0,1] neg_hi:[0,1]
	s_wait_dscnt 0x0
	v_pk_mul_f32 v[60:61], v[58:59], v[64:65] op_sel:[0,1]
	s_delay_alu instid0(VALU_DEP_1) | instskip(SKIP_1) | instid1(VALU_DEP_1)
	v_pk_fma_f32 v[64:65], v[58:59], v[62:63], v[60:61] op_sel:[0,0,1] op_sel_hi:[1,1,0] neg_lo:[0,0,1] neg_hi:[0,0,1]
	v_pk_fma_f32 v[58:59], v[58:59], v[62:63], v[60:61] op_sel:[0,0,1] op_sel_hi:[1,0,0]
	v_mov_b32_e32 v65, v59
	s_delay_alu instid0(VALU_DEP_1)
	v_pk_add_f32 v[32:33], v[32:33], v[64:65] neg_lo:[0,1] neg_hi:[0,1]
.LBB21_55:
	s_or_b32 exec_lo, exec_lo, s1
	s_delay_alu instid0(SALU_CYCLE_1)
	s_mov_b32 s2, exec_lo
	s_wait_dscnt 0x0
	s_barrier_signal -1
	s_barrier_wait -1
	v_cmpx_eq_u32_e32 6, v68
	s_cbranch_execz .LBB21_62
; %bb.56:
	ds_store_b64 v69, v[26:27]
	ds_store_2addr_b64 v70, v[22:23], v[44:45] offset0:7 offset1:8
	ds_store_2addr_b64 v70, v[34:35], v[32:33] offset0:9 offset1:10
	ds_load_b64 v[58:59], v69
	s_wait_dscnt 0x0
	v_cmp_neq_f32_e32 vcc_lo, 0, v58
	v_cmp_neq_f32_e64 s1, 0, v59
	s_or_b32 s1, vcc_lo, s1
	s_delay_alu instid0(SALU_CYCLE_1)
	s_and_b32 exec_lo, exec_lo, s1
	s_cbranch_execz .LBB21_62
; %bb.57:
	v_cmp_ngt_f32_e64 s1, |v58|, |v59|
                                        ; implicit-def: $vgpr60_vgpr61
	s_and_saveexec_b32 s4, s1
	s_delay_alu instid0(SALU_CYCLE_1)
	s_xor_b32 s1, exec_lo, s4
	s_cbranch_execz .LBB21_59
; %bb.58:
	v_div_scale_f32 v60, null, v59, v59, v58
	v_div_scale_f32 v63, vcc_lo, v58, v59, v58
	s_delay_alu instid0(VALU_DEP_2) | instskip(SKIP_1) | instid1(TRANS32_DEP_1)
	v_rcp_f32_e32 v61, v60
	v_nop
	v_fma_f32 v62, -v60, v61, 1.0
	s_delay_alu instid0(VALU_DEP_1) | instskip(NEXT) | instid1(VALU_DEP_1)
	v_fmac_f32_e32 v61, v62, v61
	v_mul_f32_e32 v62, v63, v61
	s_delay_alu instid0(VALU_DEP_1) | instskip(NEXT) | instid1(VALU_DEP_1)
	v_fma_f32 v64, -v60, v62, v63
	v_fmac_f32_e32 v62, v64, v61
	s_delay_alu instid0(VALU_DEP_1) | instskip(NEXT) | instid1(VALU_DEP_1)
	v_fma_f32 v60, -v60, v62, v63
	v_div_fmas_f32 v60, v60, v61, v62
	s_delay_alu instid0(VALU_DEP_1) | instskip(NEXT) | instid1(VALU_DEP_1)
	v_div_fixup_f32 v60, v60, v59, v58
	v_fmac_f32_e32 v59, v58, v60
	s_delay_alu instid0(VALU_DEP_1) | instskip(SKIP_1) | instid1(VALU_DEP_2)
	v_div_scale_f32 v58, null, v59, v59, 1.0
	v_div_scale_f32 v63, vcc_lo, 1.0, v59, 1.0
	v_rcp_f32_e32 v61, v58
	v_nop
	s_delay_alu instid0(TRANS32_DEP_1) | instskip(NEXT) | instid1(VALU_DEP_1)
	v_fma_f32 v62, -v58, v61, 1.0
	v_fmac_f32_e32 v61, v62, v61
	s_delay_alu instid0(VALU_DEP_1) | instskip(NEXT) | instid1(VALU_DEP_1)
	v_mul_f32_e32 v62, v63, v61
	v_fma_f32 v64, -v58, v62, v63
	s_delay_alu instid0(VALU_DEP_1) | instskip(NEXT) | instid1(VALU_DEP_1)
	v_fmac_f32_e32 v62, v64, v61
	v_fma_f32 v58, -v58, v62, v63
	s_delay_alu instid0(VALU_DEP_1) | instskip(NEXT) | instid1(VALU_DEP_1)
	v_div_fmas_f32 v58, v58, v61, v62
	v_div_fixup_f32 v58, v58, v59, 1.0
	s_delay_alu instid0(VALU_DEP_1)
	v_mul_f32_e32 v60, v60, v58
	v_xor_b32_e32 v61, 0x80000000, v58
                                        ; implicit-def: $vgpr58_vgpr59
.LBB21_59:
	s_and_not1_saveexec_b32 s1, s1
	s_cbranch_execz .LBB21_61
; %bb.60:
	v_div_scale_f32 v60, null, v58, v58, v59
	v_div_scale_f32 v63, vcc_lo, v59, v58, v59
	s_delay_alu instid0(VALU_DEP_2) | instskip(SKIP_1) | instid1(TRANS32_DEP_1)
	v_rcp_f32_e32 v61, v60
	v_nop
	v_fma_f32 v62, -v60, v61, 1.0
	s_delay_alu instid0(VALU_DEP_1) | instskip(NEXT) | instid1(VALU_DEP_1)
	v_fmac_f32_e32 v61, v62, v61
	v_mul_f32_e32 v62, v63, v61
	s_delay_alu instid0(VALU_DEP_1) | instskip(NEXT) | instid1(VALU_DEP_1)
	v_fma_f32 v64, -v60, v62, v63
	v_fmac_f32_e32 v62, v64, v61
	s_delay_alu instid0(VALU_DEP_1) | instskip(NEXT) | instid1(VALU_DEP_1)
	v_fma_f32 v60, -v60, v62, v63
	v_div_fmas_f32 v60, v60, v61, v62
	s_delay_alu instid0(VALU_DEP_1) | instskip(NEXT) | instid1(VALU_DEP_1)
	v_div_fixup_f32 v61, v60, v58, v59
	v_fmac_f32_e32 v58, v59, v61
	s_delay_alu instid0(VALU_DEP_1) | instskip(NEXT) | instid1(VALU_DEP_1)
	v_div_scale_f32 v59, null, v58, v58, 1.0
	v_rcp_f32_e32 v60, v59
	v_nop
	s_delay_alu instid0(TRANS32_DEP_1) | instskip(NEXT) | instid1(VALU_DEP_1)
	v_fma_f32 v62, -v59, v60, 1.0
	v_fmac_f32_e32 v60, v62, v60
	v_div_scale_f32 v62, vcc_lo, 1.0, v58, 1.0
	s_delay_alu instid0(VALU_DEP_1) | instskip(NEXT) | instid1(VALU_DEP_1)
	v_mul_f32_e32 v63, v62, v60
	v_fma_f32 v64, -v59, v63, v62
	s_delay_alu instid0(VALU_DEP_1) | instskip(NEXT) | instid1(VALU_DEP_1)
	v_fmac_f32_e32 v63, v64, v60
	v_fma_f32 v59, -v59, v63, v62
	s_delay_alu instid0(VALU_DEP_1) | instskip(NEXT) | instid1(VALU_DEP_1)
	v_div_fmas_f32 v59, v59, v60, v63
	v_div_fixup_f32 v60, v59, v58, 1.0
	s_delay_alu instid0(VALU_DEP_1)
	v_mul_f32_e64 v61, v61, -v60
.LBB21_61:
	s_or_b32 exec_lo, exec_lo, s1
	ds_store_b64 v69, v[60:61]
.LBB21_62:
	s_or_b32 exec_lo, exec_lo, s2
	s_wait_dscnt 0x0
	s_barrier_signal -1
	s_barrier_wait -1
	ds_load_b64 v[58:59], v69
	s_mov_b32 s1, exec_lo
	v_cmpx_lt_u32_e32 6, v68
	s_cbranch_execz .LBB21_64
; %bb.63:
	s_wait_dscnt 0x0
	v_pk_mul_f32 v[60:61], v[58:59], v[26:27] op_sel:[1,1] op_sel_hi:[0,1]
	s_delay_alu instid0(VALU_DEP_1)
	v_pk_fma_f32 v[64:65], v[58:59], v[26:27], v[60:61] op_sel_hi:[1,0,1] neg_lo:[0,0,1] neg_hi:[0,0,1]
	v_pk_fma_f32 v[66:67], v[58:59], v[26:27], v[60:61] op_sel_hi:[1,0,1]
	ds_load_2addr_b64 v[60:63], v70 offset0:7 offset1:8
	v_dual_mov_b32 v26, v64 :: v_dual_mov_b32 v27, v67
	s_wait_dscnt 0x0
	v_pk_mul_f32 v[72:73], v[60:61], v[66:67] op_sel:[0,1]
	s_delay_alu instid0(VALU_DEP_1) | instskip(SKIP_1) | instid1(VALU_DEP_1)
	v_pk_fma_f32 v[74:75], v[60:61], v[64:65], v[72:73] op_sel:[0,0,1] op_sel_hi:[1,1,0] neg_lo:[0,0,1] neg_hi:[0,0,1]
	v_pk_fma_f32 v[60:61], v[60:61], v[64:65], v[72:73] op_sel:[0,0,1] op_sel_hi:[1,0,0]
	v_mov_b32_e32 v75, v61
	v_pk_mul_f32 v[60:61], v[62:63], v[66:67] op_sel:[0,1]
	s_delay_alu instid0(VALU_DEP_1) | instskip(SKIP_1) | instid1(VALU_DEP_1)
	v_pk_fma_f32 v[72:73], v[62:63], v[64:65], v[60:61] op_sel:[0,0,1] op_sel_hi:[1,1,0] neg_lo:[0,0,1] neg_hi:[0,0,1]
	v_pk_fma_f32 v[60:61], v[62:63], v[64:65], v[60:61] op_sel:[0,0,1] op_sel_hi:[1,0,0]
	v_mov_b32_e32 v73, v61
	ds_load_2addr_b64 v[60:63], v70 offset0:9 offset1:10
	v_pk_add_f32 v[22:23], v[22:23], v[74:75] neg_lo:[0,1] neg_hi:[0,1]
	v_pk_add_f32 v[44:45], v[44:45], v[72:73] neg_lo:[0,1] neg_hi:[0,1]
	s_wait_dscnt 0x0
	v_pk_mul_f32 v[72:73], v[60:61], v[66:67] op_sel:[0,1]
	s_delay_alu instid0(VALU_DEP_1) | instskip(SKIP_1) | instid1(VALU_DEP_1)
	v_pk_fma_f32 v[74:75], v[60:61], v[64:65], v[72:73] op_sel:[0,0,1] op_sel_hi:[1,1,0] neg_lo:[0,0,1] neg_hi:[0,0,1]
	v_pk_fma_f32 v[60:61], v[60:61], v[64:65], v[72:73] op_sel:[0,0,1] op_sel_hi:[1,0,0]
	v_dual_mov_b32 v60, v63 :: v_dual_mov_b32 v75, v61
	v_mov_b32_e32 v61, v62
	s_delay_alu instid0(VALU_DEP_2) | instskip(NEXT) | instid1(VALU_DEP_2)
	v_pk_add_f32 v[34:35], v[34:35], v[74:75] neg_lo:[0,1] neg_hi:[0,1]
	v_pk_mul_f32 v[60:61], v[60:61], v[66:67] op_sel:[0,1]
	s_delay_alu instid0(VALU_DEP_1) | instskip(SKIP_1) | instid1(VALU_DEP_1)
	v_pk_fma_f32 v[66:67], v[62:63], v[64:65], v[60:61] neg_lo:[0,0,1] neg_hi:[0,0,1]
	v_pk_fma_f32 v[60:61], v[62:63], v[64:65], v[60:61] op_sel_hi:[1,0,1]
	v_mov_b32_e32 v67, v61
	s_delay_alu instid0(VALU_DEP_1)
	v_pk_add_f32 v[32:33], v[32:33], v[66:67] neg_lo:[0,1] neg_hi:[0,1]
.LBB21_64:
	s_or_b32 exec_lo, exec_lo, s1
	s_delay_alu instid0(SALU_CYCLE_1)
	s_mov_b32 s2, exec_lo
	s_wait_dscnt 0x0
	s_barrier_signal -1
	s_barrier_wait -1
	v_cmpx_eq_u32_e32 7, v68
	s_cbranch_execz .LBB21_71
; %bb.65:
	v_dual_mov_b32 v60, v44 :: v_dual_mov_b32 v61, v45
	v_dual_mov_b32 v62, v34 :: v_dual_mov_b32 v63, v35
	ds_store_b64 v69, v[22:23]
	ds_store_2addr_b64 v70, v[60:61], v[62:63] offset0:8 offset1:9
	ds_store_b64 v70, v[32:33] offset:80
	ds_load_b64 v[60:61], v69
	s_wait_dscnt 0x0
	v_cmp_neq_f32_e32 vcc_lo, 0, v60
	v_cmp_neq_f32_e64 s1, 0, v61
	s_or_b32 s1, vcc_lo, s1
	s_delay_alu instid0(SALU_CYCLE_1)
	s_and_b32 exec_lo, exec_lo, s1
	s_cbranch_execz .LBB21_71
; %bb.66:
	v_cmp_ngt_f32_e64 s1, |v60|, |v61|
                                        ; implicit-def: $vgpr62_vgpr63
	s_and_saveexec_b32 s4, s1
	s_delay_alu instid0(SALU_CYCLE_1)
	s_xor_b32 s1, exec_lo, s4
	s_cbranch_execz .LBB21_68
; %bb.67:
	v_div_scale_f32 v62, null, v61, v61, v60
	v_div_scale_f32 v65, vcc_lo, v60, v61, v60
	s_delay_alu instid0(VALU_DEP_2) | instskip(SKIP_1) | instid1(TRANS32_DEP_1)
	v_rcp_f32_e32 v63, v62
	v_nop
	v_fma_f32 v64, -v62, v63, 1.0
	s_delay_alu instid0(VALU_DEP_1) | instskip(NEXT) | instid1(VALU_DEP_1)
	v_fmac_f32_e32 v63, v64, v63
	v_mul_f32_e32 v64, v65, v63
	s_delay_alu instid0(VALU_DEP_1) | instskip(NEXT) | instid1(VALU_DEP_1)
	v_fma_f32 v66, -v62, v64, v65
	v_fmac_f32_e32 v64, v66, v63
	s_delay_alu instid0(VALU_DEP_1) | instskip(NEXT) | instid1(VALU_DEP_1)
	v_fma_f32 v62, -v62, v64, v65
	v_div_fmas_f32 v62, v62, v63, v64
	s_delay_alu instid0(VALU_DEP_1) | instskip(NEXT) | instid1(VALU_DEP_1)
	v_div_fixup_f32 v62, v62, v61, v60
	v_fmac_f32_e32 v61, v60, v62
	s_delay_alu instid0(VALU_DEP_1) | instskip(SKIP_1) | instid1(VALU_DEP_2)
	v_div_scale_f32 v60, null, v61, v61, 1.0
	v_div_scale_f32 v65, vcc_lo, 1.0, v61, 1.0
	v_rcp_f32_e32 v63, v60
	v_nop
	s_delay_alu instid0(TRANS32_DEP_1) | instskip(NEXT) | instid1(VALU_DEP_1)
	v_fma_f32 v64, -v60, v63, 1.0
	v_fmac_f32_e32 v63, v64, v63
	s_delay_alu instid0(VALU_DEP_1) | instskip(NEXT) | instid1(VALU_DEP_1)
	v_mul_f32_e32 v64, v65, v63
	v_fma_f32 v66, -v60, v64, v65
	s_delay_alu instid0(VALU_DEP_1) | instskip(NEXT) | instid1(VALU_DEP_1)
	v_fmac_f32_e32 v64, v66, v63
	v_fma_f32 v60, -v60, v64, v65
	s_delay_alu instid0(VALU_DEP_1) | instskip(NEXT) | instid1(VALU_DEP_1)
	v_div_fmas_f32 v60, v60, v63, v64
	v_div_fixup_f32 v60, v60, v61, 1.0
	s_delay_alu instid0(VALU_DEP_1)
	v_mul_f32_e32 v62, v62, v60
	v_xor_b32_e32 v63, 0x80000000, v60
                                        ; implicit-def: $vgpr60_vgpr61
.LBB21_68:
	s_and_not1_saveexec_b32 s1, s1
	s_cbranch_execz .LBB21_70
; %bb.69:
	v_div_scale_f32 v62, null, v60, v60, v61
	v_div_scale_f32 v65, vcc_lo, v61, v60, v61
	s_delay_alu instid0(VALU_DEP_2) | instskip(SKIP_1) | instid1(TRANS32_DEP_1)
	v_rcp_f32_e32 v63, v62
	v_nop
	v_fma_f32 v64, -v62, v63, 1.0
	s_delay_alu instid0(VALU_DEP_1) | instskip(NEXT) | instid1(VALU_DEP_1)
	v_fmac_f32_e32 v63, v64, v63
	v_mul_f32_e32 v64, v65, v63
	s_delay_alu instid0(VALU_DEP_1) | instskip(NEXT) | instid1(VALU_DEP_1)
	v_fma_f32 v66, -v62, v64, v65
	v_fmac_f32_e32 v64, v66, v63
	s_delay_alu instid0(VALU_DEP_1) | instskip(NEXT) | instid1(VALU_DEP_1)
	v_fma_f32 v62, -v62, v64, v65
	v_div_fmas_f32 v62, v62, v63, v64
	s_delay_alu instid0(VALU_DEP_1) | instskip(NEXT) | instid1(VALU_DEP_1)
	v_div_fixup_f32 v63, v62, v60, v61
	v_fmac_f32_e32 v60, v61, v63
	s_delay_alu instid0(VALU_DEP_1) | instskip(NEXT) | instid1(VALU_DEP_1)
	v_div_scale_f32 v61, null, v60, v60, 1.0
	v_rcp_f32_e32 v62, v61
	v_nop
	s_delay_alu instid0(TRANS32_DEP_1) | instskip(NEXT) | instid1(VALU_DEP_1)
	v_fma_f32 v64, -v61, v62, 1.0
	v_fmac_f32_e32 v62, v64, v62
	v_div_scale_f32 v64, vcc_lo, 1.0, v60, 1.0
	s_delay_alu instid0(VALU_DEP_1) | instskip(NEXT) | instid1(VALU_DEP_1)
	v_mul_f32_e32 v65, v64, v62
	v_fma_f32 v66, -v61, v65, v64
	s_delay_alu instid0(VALU_DEP_1) | instskip(NEXT) | instid1(VALU_DEP_1)
	v_fmac_f32_e32 v65, v66, v62
	v_fma_f32 v61, -v61, v65, v64
	s_delay_alu instid0(VALU_DEP_1) | instskip(NEXT) | instid1(VALU_DEP_1)
	v_div_fmas_f32 v61, v61, v62, v65
	v_div_fixup_f32 v62, v61, v60, 1.0
	s_delay_alu instid0(VALU_DEP_1)
	v_mul_f32_e64 v63, v63, -v62
.LBB21_70:
	s_or_b32 exec_lo, exec_lo, s1
	ds_store_b64 v69, v[62:63]
.LBB21_71:
	s_or_b32 exec_lo, exec_lo, s2
	s_wait_dscnt 0x0
	s_barrier_signal -1
	s_barrier_wait -1
	ds_load_b64 v[60:61], v69
	s_mov_b32 s1, exec_lo
	v_cmpx_lt_u32_e32 7, v68
	s_cbranch_execz .LBB21_73
; %bb.72:
	s_wait_dscnt 0x0
	v_pk_mul_f32 v[62:63], v[60:61], v[22:23] op_sel:[1,1] op_sel_hi:[0,1]
	s_delay_alu instid0(VALU_DEP_1)
	v_pk_fma_f32 v[66:67], v[60:61], v[22:23], v[62:63] op_sel_hi:[1,0,1] neg_lo:[0,0,1] neg_hi:[0,0,1]
	v_pk_fma_f32 v[72:73], v[60:61], v[22:23], v[62:63] op_sel_hi:[1,0,1]
	ds_load_2addr_b64 v[62:65], v70 offset0:8 offset1:9
	v_dual_mov_b32 v22, v66 :: v_dual_mov_b32 v23, v73
	s_wait_dscnt 0x0
	v_pk_mul_f32 v[74:75], v[62:63], v[72:73] op_sel:[0,1]
	s_delay_alu instid0(VALU_DEP_1) | instskip(SKIP_1) | instid1(VALU_DEP_1)
	v_pk_fma_f32 v[76:77], v[62:63], v[66:67], v[74:75] op_sel:[0,0,1] op_sel_hi:[1,1,0] neg_lo:[0,0,1] neg_hi:[0,0,1]
	v_pk_fma_f32 v[62:63], v[62:63], v[66:67], v[74:75] op_sel:[0,0,1] op_sel_hi:[1,0,0]
	v_mov_b32_e32 v77, v63
	v_pk_mul_f32 v[62:63], v[64:65], v[72:73] op_sel:[0,1]
	s_delay_alu instid0(VALU_DEP_1) | instskip(SKIP_1) | instid1(VALU_DEP_1)
	v_pk_fma_f32 v[74:75], v[64:65], v[66:67], v[62:63] op_sel:[0,0,1] op_sel_hi:[1,1,0] neg_lo:[0,0,1] neg_hi:[0,0,1]
	v_pk_fma_f32 v[62:63], v[64:65], v[66:67], v[62:63] op_sel:[0,0,1] op_sel_hi:[1,0,0]
	v_mov_b32_e32 v75, v63
	ds_load_b64 v[62:63], v70 offset:80
	v_pk_add_f32 v[44:45], v[44:45], v[76:77] neg_lo:[0,1] neg_hi:[0,1]
	v_pk_add_f32 v[34:35], v[34:35], v[74:75] neg_lo:[0,1] neg_hi:[0,1]
	s_wait_dscnt 0x0
	v_pk_mul_f32 v[64:65], v[62:63], v[72:73] op_sel:[1,1] op_sel_hi:[0,1]
	s_delay_alu instid0(VALU_DEP_1) | instskip(SKIP_1) | instid1(VALU_DEP_1)
	v_pk_fma_f32 v[72:73], v[62:63], v[66:67], v[64:65] neg_lo:[0,0,1] neg_hi:[0,0,1]
	v_pk_fma_f32 v[62:63], v[62:63], v[66:67], v[64:65] op_sel_hi:[1,0,1]
	v_mov_b32_e32 v73, v63
	s_delay_alu instid0(VALU_DEP_1)
	v_pk_add_f32 v[32:33], v[32:33], v[72:73] neg_lo:[0,1] neg_hi:[0,1]
.LBB21_73:
	s_or_b32 exec_lo, exec_lo, s1
	s_delay_alu instid0(SALU_CYCLE_1)
	s_mov_b32 s2, exec_lo
	s_wait_dscnt 0x0
	s_barrier_signal -1
	s_barrier_wait -1
	v_cmpx_eq_u32_e32 8, v68
	s_cbranch_execz .LBB21_80
; %bb.74:
	ds_store_b64 v69, v[44:45]
	ds_store_2addr_b64 v70, v[34:35], v[32:33] offset0:9 offset1:10
	ds_load_b64 v[62:63], v69
	s_wait_dscnt 0x0
	v_cmp_neq_f32_e32 vcc_lo, 0, v62
	v_cmp_neq_f32_e64 s1, 0, v63
	s_or_b32 s1, vcc_lo, s1
	s_delay_alu instid0(SALU_CYCLE_1)
	s_and_b32 exec_lo, exec_lo, s1
	s_cbranch_execz .LBB21_80
; %bb.75:
	v_cmp_ngt_f32_e64 s1, |v62|, |v63|
                                        ; implicit-def: $vgpr64_vgpr65
	s_and_saveexec_b32 s4, s1
	s_delay_alu instid0(SALU_CYCLE_1)
	s_xor_b32 s1, exec_lo, s4
	s_cbranch_execz .LBB21_77
; %bb.76:
	v_div_scale_f32 v64, null, v63, v63, v62
	v_div_scale_f32 v67, vcc_lo, v62, v63, v62
	s_delay_alu instid0(VALU_DEP_2) | instskip(SKIP_1) | instid1(TRANS32_DEP_1)
	v_rcp_f32_e32 v65, v64
	v_nop
	v_fma_f32 v66, -v64, v65, 1.0
	s_delay_alu instid0(VALU_DEP_1) | instskip(NEXT) | instid1(VALU_DEP_1)
	v_fmac_f32_e32 v65, v66, v65
	v_mul_f32_e32 v66, v67, v65
	s_delay_alu instid0(VALU_DEP_1) | instskip(NEXT) | instid1(VALU_DEP_1)
	v_fma_f32 v71, -v64, v66, v67
	v_fmac_f32_e32 v66, v71, v65
	s_delay_alu instid0(VALU_DEP_1) | instskip(NEXT) | instid1(VALU_DEP_1)
	v_fma_f32 v64, -v64, v66, v67
	v_div_fmas_f32 v64, v64, v65, v66
	s_delay_alu instid0(VALU_DEP_1) | instskip(NEXT) | instid1(VALU_DEP_1)
	v_div_fixup_f32 v64, v64, v63, v62
	v_fmac_f32_e32 v63, v62, v64
	s_delay_alu instid0(VALU_DEP_1) | instskip(SKIP_1) | instid1(VALU_DEP_2)
	v_div_scale_f32 v62, null, v63, v63, 1.0
	v_div_scale_f32 v67, vcc_lo, 1.0, v63, 1.0
	v_rcp_f32_e32 v65, v62
	v_nop
	s_delay_alu instid0(TRANS32_DEP_1) | instskip(NEXT) | instid1(VALU_DEP_1)
	v_fma_f32 v66, -v62, v65, 1.0
	v_fmac_f32_e32 v65, v66, v65
	s_delay_alu instid0(VALU_DEP_1) | instskip(NEXT) | instid1(VALU_DEP_1)
	v_mul_f32_e32 v66, v67, v65
	v_fma_f32 v71, -v62, v66, v67
	s_delay_alu instid0(VALU_DEP_1) | instskip(NEXT) | instid1(VALU_DEP_1)
	v_fmac_f32_e32 v66, v71, v65
	v_fma_f32 v62, -v62, v66, v67
	s_delay_alu instid0(VALU_DEP_1) | instskip(NEXT) | instid1(VALU_DEP_1)
	v_div_fmas_f32 v62, v62, v65, v66
	v_div_fixup_f32 v62, v62, v63, 1.0
	s_delay_alu instid0(VALU_DEP_1)
	v_mul_f32_e32 v64, v64, v62
	v_xor_b32_e32 v65, 0x80000000, v62
                                        ; implicit-def: $vgpr62_vgpr63
.LBB21_77:
	s_and_not1_saveexec_b32 s1, s1
	s_cbranch_execz .LBB21_79
; %bb.78:
	v_div_scale_f32 v64, null, v62, v62, v63
	v_div_scale_f32 v67, vcc_lo, v63, v62, v63
	s_delay_alu instid0(VALU_DEP_2) | instskip(SKIP_1) | instid1(TRANS32_DEP_1)
	v_rcp_f32_e32 v65, v64
	v_nop
	v_fma_f32 v66, -v64, v65, 1.0
	s_delay_alu instid0(VALU_DEP_1) | instskip(NEXT) | instid1(VALU_DEP_1)
	v_fmac_f32_e32 v65, v66, v65
	v_mul_f32_e32 v66, v67, v65
	s_delay_alu instid0(VALU_DEP_1) | instskip(NEXT) | instid1(VALU_DEP_1)
	v_fma_f32 v71, -v64, v66, v67
	v_fmac_f32_e32 v66, v71, v65
	s_delay_alu instid0(VALU_DEP_1) | instskip(NEXT) | instid1(VALU_DEP_1)
	v_fma_f32 v64, -v64, v66, v67
	v_div_fmas_f32 v64, v64, v65, v66
	s_delay_alu instid0(VALU_DEP_1) | instskip(NEXT) | instid1(VALU_DEP_1)
	v_div_fixup_f32 v65, v64, v62, v63
	v_fmac_f32_e32 v62, v63, v65
	s_delay_alu instid0(VALU_DEP_1) | instskip(NEXT) | instid1(VALU_DEP_1)
	v_div_scale_f32 v63, null, v62, v62, 1.0
	v_rcp_f32_e32 v64, v63
	v_nop
	s_delay_alu instid0(TRANS32_DEP_1) | instskip(NEXT) | instid1(VALU_DEP_1)
	v_fma_f32 v66, -v63, v64, 1.0
	v_fmac_f32_e32 v64, v66, v64
	v_div_scale_f32 v66, vcc_lo, 1.0, v62, 1.0
	s_delay_alu instid0(VALU_DEP_1) | instskip(NEXT) | instid1(VALU_DEP_1)
	v_mul_f32_e32 v67, v66, v64
	v_fma_f32 v71, -v63, v67, v66
	s_delay_alu instid0(VALU_DEP_1) | instskip(NEXT) | instid1(VALU_DEP_1)
	v_fmac_f32_e32 v67, v71, v64
	v_fma_f32 v63, -v63, v67, v66
	s_delay_alu instid0(VALU_DEP_1) | instskip(NEXT) | instid1(VALU_DEP_1)
	v_div_fmas_f32 v63, v63, v64, v67
	v_div_fixup_f32 v64, v63, v62, 1.0
	s_delay_alu instid0(VALU_DEP_1)
	v_mul_f32_e64 v65, v65, -v64
.LBB21_79:
	s_or_b32 exec_lo, exec_lo, s1
	ds_store_b64 v69, v[64:65]
.LBB21_80:
	s_or_b32 exec_lo, exec_lo, s2
	s_wait_dscnt 0x0
	s_barrier_signal -1
	s_barrier_wait -1
	ds_load_b64 v[62:63], v69
	s_mov_b32 s1, exec_lo
	v_cmpx_lt_u32_e32 8, v68
	s_cbranch_execz .LBB21_82
; %bb.81:
	ds_load_2addr_b64 v[64:67], v70 offset0:9 offset1:10
	s_wait_dscnt 0x1
	v_pk_mul_f32 v[72:73], v[62:63], v[44:45] op_sel:[1,1] op_sel_hi:[0,1]
	s_delay_alu instid0(VALU_DEP_1) | instskip(SKIP_3) | instid1(VALU_DEP_3)
	v_pk_fma_f32 v[74:75], v[62:63], v[44:45], v[72:73] op_sel_hi:[1,0,1]
	v_pk_fma_f32 v[44:45], v[62:63], v[44:45], v[72:73] op_sel_hi:[1,0,1] neg_lo:[0,0,1] neg_hi:[0,0,1]
	s_wait_dscnt 0x0
	v_dual_mov_b32 v76, v67 :: v_dual_mov_b32 v77, v66
	v_pk_mul_f32 v[72:73], v[64:65], v[74:75] op_sel:[0,1]
	s_delay_alu instid0(VALU_DEP_2) | instskip(NEXT) | instid1(VALU_DEP_2)
	v_pk_mul_f32 v[76:77], v[76:77], v[74:75] op_sel:[0,1]
	v_pk_fma_f32 v[78:79], v[64:65], v[44:45], v[72:73] op_sel:[0,0,1] op_sel_hi:[1,0,0]
	v_pk_fma_f32 v[64:65], v[64:65], v[44:45], v[72:73] op_sel:[0,0,1] op_sel_hi:[1,1,0] neg_lo:[0,0,1] neg_hi:[0,0,1]
	s_delay_alu instid0(VALU_DEP_3) | instskip(SKIP_1) | instid1(VALU_DEP_4)
	v_pk_fma_f32 v[80:81], v[66:67], v[44:45], v[76:77] op_sel_hi:[1,0,1]
	v_pk_fma_f32 v[66:67], v[66:67], v[44:45], v[76:77] neg_lo:[0,0,1] neg_hi:[0,0,1]
	v_dual_mov_b32 v65, v79 :: v_dual_mov_b32 v45, v75
	s_delay_alu instid0(VALU_DEP_3) | instskip(NEXT) | instid1(VALU_DEP_2)
	v_mov_b32_e32 v67, v81
	v_pk_add_f32 v[34:35], v[34:35], v[64:65] neg_lo:[0,1] neg_hi:[0,1]
	s_delay_alu instid0(VALU_DEP_2)
	v_pk_add_f32 v[32:33], v[32:33], v[66:67] neg_lo:[0,1] neg_hi:[0,1]
.LBB21_82:
	s_or_b32 exec_lo, exec_lo, s1
	s_delay_alu instid0(SALU_CYCLE_1)
	s_mov_b32 s2, exec_lo
	s_wait_dscnt 0x0
	s_barrier_signal -1
	s_barrier_wait -1
	v_cmpx_eq_u32_e32 9, v68
	s_cbranch_execz .LBB21_89
; %bb.83:
	ds_store_b64 v69, v[34:35]
	ds_store_b64 v70, v[32:33] offset:80
	ds_load_b64 v[64:65], v69
	s_wait_dscnt 0x0
	v_cmp_neq_f32_e32 vcc_lo, 0, v64
	v_cmp_neq_f32_e64 s1, 0, v65
	s_or_b32 s1, vcc_lo, s1
	s_delay_alu instid0(SALU_CYCLE_1)
	s_and_b32 exec_lo, exec_lo, s1
	s_cbranch_execz .LBB21_89
; %bb.84:
	v_cmp_ngt_f32_e64 s1, |v64|, |v65|
                                        ; implicit-def: $vgpr66_vgpr67
	s_and_saveexec_b32 s4, s1
	s_delay_alu instid0(SALU_CYCLE_1)
	s_xor_b32 s1, exec_lo, s4
	s_cbranch_execz .LBB21_86
; %bb.85:
	v_div_scale_f32 v66, null, v65, v65, v64
	v_div_scale_f32 v72, vcc_lo, v64, v65, v64
	s_delay_alu instid0(VALU_DEP_2) | instskip(SKIP_1) | instid1(TRANS32_DEP_1)
	v_rcp_f32_e32 v67, v66
	v_nop
	v_fma_f32 v71, -v66, v67, 1.0
	s_delay_alu instid0(VALU_DEP_1) | instskip(NEXT) | instid1(VALU_DEP_1)
	v_fmac_f32_e32 v67, v71, v67
	v_mul_f32_e32 v71, v72, v67
	s_delay_alu instid0(VALU_DEP_1) | instskip(NEXT) | instid1(VALU_DEP_1)
	v_fma_f32 v73, -v66, v71, v72
	v_fmac_f32_e32 v71, v73, v67
	s_delay_alu instid0(VALU_DEP_1) | instskip(NEXT) | instid1(VALU_DEP_1)
	v_fma_f32 v66, -v66, v71, v72
	v_div_fmas_f32 v66, v66, v67, v71
	s_delay_alu instid0(VALU_DEP_1) | instskip(NEXT) | instid1(VALU_DEP_1)
	v_div_fixup_f32 v66, v66, v65, v64
	v_fmac_f32_e32 v65, v64, v66
	s_delay_alu instid0(VALU_DEP_1) | instskip(SKIP_1) | instid1(VALU_DEP_2)
	v_div_scale_f32 v64, null, v65, v65, 1.0
	v_div_scale_f32 v72, vcc_lo, 1.0, v65, 1.0
	v_rcp_f32_e32 v67, v64
	v_nop
	s_delay_alu instid0(TRANS32_DEP_1) | instskip(NEXT) | instid1(VALU_DEP_1)
	v_fma_f32 v71, -v64, v67, 1.0
	v_fmac_f32_e32 v67, v71, v67
	s_delay_alu instid0(VALU_DEP_1) | instskip(NEXT) | instid1(VALU_DEP_1)
	v_mul_f32_e32 v71, v72, v67
	v_fma_f32 v73, -v64, v71, v72
	s_delay_alu instid0(VALU_DEP_1) | instskip(NEXT) | instid1(VALU_DEP_1)
	v_fmac_f32_e32 v71, v73, v67
	v_fma_f32 v64, -v64, v71, v72
	s_delay_alu instid0(VALU_DEP_1) | instskip(NEXT) | instid1(VALU_DEP_1)
	v_div_fmas_f32 v64, v64, v67, v71
	v_div_fixup_f32 v64, v64, v65, 1.0
	s_delay_alu instid0(VALU_DEP_1)
	v_mul_f32_e32 v66, v66, v64
	v_xor_b32_e32 v67, 0x80000000, v64
                                        ; implicit-def: $vgpr64_vgpr65
.LBB21_86:
	s_and_not1_saveexec_b32 s1, s1
	s_cbranch_execz .LBB21_88
; %bb.87:
	v_div_scale_f32 v66, null, v64, v64, v65
	v_div_scale_f32 v72, vcc_lo, v65, v64, v65
	s_delay_alu instid0(VALU_DEP_2) | instskip(SKIP_1) | instid1(TRANS32_DEP_1)
	v_rcp_f32_e32 v67, v66
	v_nop
	v_fma_f32 v71, -v66, v67, 1.0
	s_delay_alu instid0(VALU_DEP_1) | instskip(NEXT) | instid1(VALU_DEP_1)
	v_fmac_f32_e32 v67, v71, v67
	v_mul_f32_e32 v71, v72, v67
	s_delay_alu instid0(VALU_DEP_1) | instskip(NEXT) | instid1(VALU_DEP_1)
	v_fma_f32 v73, -v66, v71, v72
	v_fmac_f32_e32 v71, v73, v67
	s_delay_alu instid0(VALU_DEP_1) | instskip(NEXT) | instid1(VALU_DEP_1)
	v_fma_f32 v66, -v66, v71, v72
	v_div_fmas_f32 v66, v66, v67, v71
	s_delay_alu instid0(VALU_DEP_1) | instskip(NEXT) | instid1(VALU_DEP_1)
	v_div_fixup_f32 v67, v66, v64, v65
	v_fmac_f32_e32 v64, v65, v67
	s_delay_alu instid0(VALU_DEP_1) | instskip(NEXT) | instid1(VALU_DEP_1)
	v_div_scale_f32 v65, null, v64, v64, 1.0
	v_rcp_f32_e32 v66, v65
	v_nop
	s_delay_alu instid0(TRANS32_DEP_1) | instskip(NEXT) | instid1(VALU_DEP_1)
	v_fma_f32 v71, -v65, v66, 1.0
	v_fmac_f32_e32 v66, v71, v66
	v_div_scale_f32 v71, vcc_lo, 1.0, v64, 1.0
	s_delay_alu instid0(VALU_DEP_1) | instskip(NEXT) | instid1(VALU_DEP_1)
	v_mul_f32_e32 v72, v71, v66
	v_fma_f32 v73, -v65, v72, v71
	s_delay_alu instid0(VALU_DEP_1) | instskip(NEXT) | instid1(VALU_DEP_1)
	v_fmac_f32_e32 v72, v73, v66
	v_fma_f32 v65, -v65, v72, v71
	s_delay_alu instid0(VALU_DEP_1) | instskip(NEXT) | instid1(VALU_DEP_1)
	v_div_fmas_f32 v65, v65, v66, v72
	v_div_fixup_f32 v66, v65, v64, 1.0
	s_delay_alu instid0(VALU_DEP_1)
	v_mul_f32_e64 v67, v67, -v66
.LBB21_88:
	s_or_b32 exec_lo, exec_lo, s1
	ds_store_b64 v69, v[66:67]
.LBB21_89:
	s_or_b32 exec_lo, exec_lo, s2
	s_wait_dscnt 0x0
	s_barrier_signal -1
	s_barrier_wait -1
	ds_load_b64 v[64:65], v69
	s_mov_b32 s1, exec_lo
	v_cmpx_lt_u32_e32 9, v68
	s_cbranch_execz .LBB21_91
; %bb.90:
	ds_load_b64 v[66:67], v70 offset:80
	s_wait_dscnt 0x1
	v_pk_mul_f32 v[70:71], v[64:65], v[34:35] op_sel:[1,1] op_sel_hi:[0,1]
	s_delay_alu instid0(VALU_DEP_1) | instskip(SKIP_2) | instid1(VALU_DEP_2)
	v_pk_fma_f32 v[72:73], v[64:65], v[34:35], v[70:71] op_sel_hi:[1,0,1]
	v_pk_fma_f32 v[34:35], v[64:65], v[34:35], v[70:71] op_sel_hi:[1,0,1] neg_lo:[0,0,1] neg_hi:[0,0,1]
	s_wait_dscnt 0x0
	v_pk_mul_f32 v[70:71], v[66:67], v[72:73] op_sel:[1,1] op_sel_hi:[0,1]
	s_delay_alu instid0(VALU_DEP_1) | instskip(SKIP_1) | instid1(VALU_DEP_2)
	v_pk_fma_f32 v[74:75], v[66:67], v[34:35], v[70:71] op_sel_hi:[1,0,1]
	v_pk_fma_f32 v[66:67], v[66:67], v[34:35], v[70:71] neg_lo:[0,0,1] neg_hi:[0,0,1]
	v_dual_mov_b32 v35, v73 :: v_dual_mov_b32 v67, v75
	s_delay_alu instid0(VALU_DEP_1)
	v_pk_add_f32 v[32:33], v[32:33], v[66:67] neg_lo:[0,1] neg_hi:[0,1]
.LBB21_91:
	s_or_b32 exec_lo, exec_lo, s1
	s_delay_alu instid0(SALU_CYCLE_1)
	s_mov_b32 s2, exec_lo
	s_wait_dscnt 0x0
	s_barrier_signal -1
	s_barrier_wait -1
	v_cmpx_eq_u32_e32 10, v68
	s_cbranch_execz .LBB21_98
; %bb.92:
	v_cmp_neq_f32_e32 vcc_lo, 0, v32
	v_cmp_neq_f32_e64 s1, 0, v33
	ds_store_b64 v69, v[32:33]
	s_or_b32 s1, vcc_lo, s1
	s_delay_alu instid0(SALU_CYCLE_1)
	s_and_b32 exec_lo, exec_lo, s1
	s_cbranch_execz .LBB21_98
; %bb.93:
	v_cmp_ngt_f32_e64 s1, |v32|, |v33|
                                        ; implicit-def: $vgpr66_vgpr67
	s_and_saveexec_b32 s4, s1
	s_delay_alu instid0(SALU_CYCLE_1)
	s_xor_b32 s1, exec_lo, s4
	s_cbranch_execz .LBB21_95
; %bb.94:
	v_div_scale_f32 v66, null, v33, v33, v32
	v_div_scale_f32 v71, vcc_lo, v32, v33, v32
	s_delay_alu instid0(VALU_DEP_2) | instskip(SKIP_1) | instid1(TRANS32_DEP_1)
	v_rcp_f32_e32 v67, v66
	v_nop
	v_fma_f32 v70, -v66, v67, 1.0
	s_delay_alu instid0(VALU_DEP_1) | instskip(NEXT) | instid1(VALU_DEP_1)
	v_fmac_f32_e32 v67, v70, v67
	v_mul_f32_e32 v70, v71, v67
	s_delay_alu instid0(VALU_DEP_1) | instskip(NEXT) | instid1(VALU_DEP_1)
	v_fma_f32 v72, -v66, v70, v71
	v_fmac_f32_e32 v70, v72, v67
	s_delay_alu instid0(VALU_DEP_1) | instskip(NEXT) | instid1(VALU_DEP_1)
	v_fma_f32 v66, -v66, v70, v71
	v_div_fmas_f32 v66, v66, v67, v70
	s_delay_alu instid0(VALU_DEP_1) | instskip(NEXT) | instid1(VALU_DEP_1)
	v_div_fixup_f32 v66, v66, v33, v32
	v_fma_f32 v67, v32, v66, v33
	s_delay_alu instid0(VALU_DEP_1) | instskip(SKIP_1) | instid1(VALU_DEP_2)
	v_div_scale_f32 v70, null, v67, v67, 1.0
	v_div_scale_f32 v73, vcc_lo, 1.0, v67, 1.0
	v_rcp_f32_e32 v71, v70
	v_nop
	s_delay_alu instid0(TRANS32_DEP_1) | instskip(NEXT) | instid1(VALU_DEP_1)
	v_fma_f32 v72, -v70, v71, 1.0
	v_fmac_f32_e32 v71, v72, v71
	s_delay_alu instid0(VALU_DEP_1) | instskip(NEXT) | instid1(VALU_DEP_1)
	v_mul_f32_e32 v72, v73, v71
	v_fma_f32 v74, -v70, v72, v73
	s_delay_alu instid0(VALU_DEP_1) | instskip(NEXT) | instid1(VALU_DEP_1)
	v_fmac_f32_e32 v72, v74, v71
	v_fma_f32 v70, -v70, v72, v73
	s_delay_alu instid0(VALU_DEP_1) | instskip(NEXT) | instid1(VALU_DEP_1)
	v_div_fmas_f32 v70, v70, v71, v72
	v_div_fixup_f32 v67, v70, v67, 1.0
	s_delay_alu instid0(VALU_DEP_1)
	v_mul_f32_e32 v66, v66, v67
	v_xor_b32_e32 v67, 0x80000000, v67
.LBB21_95:
	s_and_not1_saveexec_b32 s1, s1
	s_cbranch_execz .LBB21_97
; %bb.96:
	v_div_scale_f32 v66, null, v32, v32, v33
	v_div_scale_f32 v71, vcc_lo, v33, v32, v33
	s_delay_alu instid0(VALU_DEP_2) | instskip(SKIP_1) | instid1(TRANS32_DEP_1)
	v_rcp_f32_e32 v67, v66
	v_nop
	v_fma_f32 v70, -v66, v67, 1.0
	s_delay_alu instid0(VALU_DEP_1) | instskip(NEXT) | instid1(VALU_DEP_1)
	v_fmac_f32_e32 v67, v70, v67
	v_mul_f32_e32 v70, v71, v67
	s_delay_alu instid0(VALU_DEP_1) | instskip(NEXT) | instid1(VALU_DEP_1)
	v_fma_f32 v72, -v66, v70, v71
	v_fmac_f32_e32 v70, v72, v67
	s_delay_alu instid0(VALU_DEP_1) | instskip(NEXT) | instid1(VALU_DEP_1)
	v_fma_f32 v66, -v66, v70, v71
	v_div_fmas_f32 v66, v66, v67, v70
	s_delay_alu instid0(VALU_DEP_1) | instskip(NEXT) | instid1(VALU_DEP_1)
	v_div_fixup_f32 v67, v66, v32, v33
	v_fma_f32 v66, v33, v67, v32
	s_delay_alu instid0(VALU_DEP_1) | instskip(NEXT) | instid1(VALU_DEP_1)
	v_div_scale_f32 v70, null, v66, v66, 1.0
	v_rcp_f32_e32 v71, v70
	v_nop
	s_delay_alu instid0(TRANS32_DEP_1) | instskip(NEXT) | instid1(VALU_DEP_1)
	v_fma_f32 v72, -v70, v71, 1.0
	v_fmac_f32_e32 v71, v72, v71
	v_div_scale_f32 v72, vcc_lo, 1.0, v66, 1.0
	s_delay_alu instid0(VALU_DEP_1) | instskip(NEXT) | instid1(VALU_DEP_1)
	v_mul_f32_e32 v73, v72, v71
	v_fma_f32 v74, -v70, v73, v72
	s_delay_alu instid0(VALU_DEP_1) | instskip(NEXT) | instid1(VALU_DEP_1)
	v_fmac_f32_e32 v73, v74, v71
	v_fma_f32 v70, -v70, v73, v72
	s_delay_alu instid0(VALU_DEP_1) | instskip(NEXT) | instid1(VALU_DEP_1)
	v_div_fmas_f32 v70, v70, v71, v73
	v_div_fixup_f32 v66, v70, v66, 1.0
	s_delay_alu instid0(VALU_DEP_1)
	v_mul_f32_e64 v67, v67, -v66
.LBB21_97:
	s_or_b32 exec_lo, exec_lo, s1
	ds_store_b64 v69, v[66:67]
.LBB21_98:
	s_or_b32 exec_lo, exec_lo, s2
	s_wait_dscnt 0x0
	s_barrier_signal -1
	s_barrier_wait -1
	ds_load_b64 v[66:67], v69
	s_wait_dscnt 0x0
	s_barrier_signal -1
	s_barrier_wait -1
	s_and_saveexec_b32 s4, s0
	s_cbranch_execz .LBB21_101
; %bb.99:
	v_lshl_add_u64 v[2:3], v[2:3], 2, s[6:7]
	v_cmp_eq_f32_e32 vcc_lo, 0, v46
	v_cmp_eq_f32_e64 s0, 0, v47
	v_cmp_neq_f32_e64 s1, 0, v48
	v_cmp_neq_f32_e64 s2, 0, v49
	global_load_b32 v69, v[2:3], off
	s_and_b32 s0, vcc_lo, s0
	s_delay_alu instid0(SALU_CYCLE_1) | instskip(SKIP_1) | instid1(SALU_CYCLE_1)
	v_cndmask_b32_e64 v46, 0, 1, s0
	s_or_b32 s1, s1, s2
	s_or_b32 vcc_lo, s1, s0
	v_cmp_eq_f32_e64 s0, 0, v51
	s_delay_alu instid0(VALU_DEP_2) | instskip(SKIP_1) | instid1(VALU_DEP_2)
	v_cndmask_b32_e32 v46, 2, v46, vcc_lo
	v_cmp_eq_f32_e32 vcc_lo, 0, v50
	v_cmp_eq_u32_e64 s1, 0, v46
	s_and_b32 s0, vcc_lo, s0
	v_cmp_eq_f32_e32 vcc_lo, 0, v52
	s_and_b32 s0, s0, s1
	s_delay_alu instid0(SALU_CYCLE_1) | instskip(SKIP_1) | instid1(VALU_DEP_2)
	v_cndmask_b32_e64 v46, v46, 3, s0
	v_cmp_eq_f32_e64 s0, 0, v53
	v_cmp_eq_u32_e64 s1, 0, v46
	s_and_b32 s0, vcc_lo, s0
	v_cmp_eq_f32_e32 vcc_lo, 0, v54
	s_and_b32 s0, s0, s1
	s_delay_alu instid0(SALU_CYCLE_1) | instskip(SKIP_1) | instid1(VALU_DEP_2)
	v_cndmask_b32_e64 v46, v46, 4, s0
	v_cmp_eq_f32_e64 s0, 0, v55
	;; [unrolled: 7-line block ×8, first 2 shown]
	v_cmp_eq_u32_e64 s1, 0, v46
	s_and_b32 s0, vcc_lo, s0
	s_delay_alu instid0(SALU_CYCLE_1) | instskip(NEXT) | instid1(SALU_CYCLE_1)
	s_and_b32 s0, s0, s1
	v_cndmask_b32_e64 v46, v46, 11, s0
	s_delay_alu instid0(VALU_DEP_1) | instskip(SKIP_3) | instid1(SALU_CYCLE_1)
	v_cmp_ne_u32_e64 s0, 0, v46
	s_wait_loadcnt 0x0
	v_cmp_eq_u32_e32 vcc_lo, 0, v69
	s_and_b32 s0, vcc_lo, s0
	s_and_b32 exec_lo, exec_lo, s0
	s_cbranch_execz .LBB21_101
; %bb.100:
	v_add_nc_u32_e32 v46, s3, v46
	global_store_b32 v[2:3], v46, off
.LBB21_101:
	s_wait_xcnt 0x0
	s_or_b32 exec_lo, exec_lo, s4
	v_pk_mul_f32 v[2:3], v[66:67], v[32:33] op_sel:[1,1] op_sel_hi:[0,1]
	s_clause 0x1
	global_store_b64 v[18:19], v[40:41], off
	global_store_b64 v[30:31], v[42:43], off
	v_cmp_lt_u32_e32 vcc_lo, 10, v68
	s_clause 0x2
	global_store_b64 v[12:13], v[38:39], off
	global_store_b64 v[14:15], v[36:37], off
	;; [unrolled: 1-line block ×3, first 2 shown]
	s_wait_xcnt 0x4
	v_pk_fma_f32 v[18:19], v[66:67], v[32:33], v[2:3] op_sel_hi:[1,0,1]
	v_pk_fma_f32 v[2:3], v[66:67], v[32:33], v[2:3] neg_lo:[0,0,1] neg_hi:[0,0,1]
	s_delay_alu instid0(VALU_DEP_1)
	v_dual_cndmask_b32 v3, v33, v19 :: v_dual_cndmask_b32 v2, v32, v2
	s_clause 0x5
	global_store_b64 v[0:1], v[24:25], off
	global_store_b64 v[4:5], v[26:27], off
	;; [unrolled: 1-line block ×6, first 2 shown]
.LBB21_102:
	s_sendmsg sendmsg(MSG_DEALLOC_VGPRS)
	s_endpgm
	.section	.rodata,"a",@progbits
	.p2align	6, 0x0
	.amdhsa_kernel _ZN9rocsolver6v33100L23getf2_npvt_small_kernelILi11E19rocblas_complex_numIfEiiPS3_EEvT1_T3_lS5_lPT2_S5_S5_
		.amdhsa_group_segment_fixed_size 0
		.amdhsa_private_segment_fixed_size 0
		.amdhsa_kernarg_size 312
		.amdhsa_user_sgpr_count 2
		.amdhsa_user_sgpr_dispatch_ptr 0
		.amdhsa_user_sgpr_queue_ptr 0
		.amdhsa_user_sgpr_kernarg_segment_ptr 1
		.amdhsa_user_sgpr_dispatch_id 0
		.amdhsa_user_sgpr_kernarg_preload_length 0
		.amdhsa_user_sgpr_kernarg_preload_offset 0
		.amdhsa_user_sgpr_private_segment_size 0
		.amdhsa_wavefront_size32 1
		.amdhsa_uses_dynamic_stack 0
		.amdhsa_enable_private_segment 0
		.amdhsa_system_sgpr_workgroup_id_x 1
		.amdhsa_system_sgpr_workgroup_id_y 1
		.amdhsa_system_sgpr_workgroup_id_z 0
		.amdhsa_system_sgpr_workgroup_info 0
		.amdhsa_system_vgpr_workitem_id 1
		.amdhsa_next_free_vgpr 82
		.amdhsa_next_free_sgpr 16
		.amdhsa_named_barrier_count 0
		.amdhsa_reserve_vcc 1
		.amdhsa_float_round_mode_32 0
		.amdhsa_float_round_mode_16_64 0
		.amdhsa_float_denorm_mode_32 3
		.amdhsa_float_denorm_mode_16_64 3
		.amdhsa_fp16_overflow 0
		.amdhsa_memory_ordered 1
		.amdhsa_forward_progress 1
		.amdhsa_inst_pref_size 88
		.amdhsa_round_robin_scheduling 0
		.amdhsa_exception_fp_ieee_invalid_op 0
		.amdhsa_exception_fp_denorm_src 0
		.amdhsa_exception_fp_ieee_div_zero 0
		.amdhsa_exception_fp_ieee_overflow 0
		.amdhsa_exception_fp_ieee_underflow 0
		.amdhsa_exception_fp_ieee_inexact 0
		.amdhsa_exception_int_div_zero 0
	.end_amdhsa_kernel
	.section	.text._ZN9rocsolver6v33100L23getf2_npvt_small_kernelILi11E19rocblas_complex_numIfEiiPS3_EEvT1_T3_lS5_lPT2_S5_S5_,"axG",@progbits,_ZN9rocsolver6v33100L23getf2_npvt_small_kernelILi11E19rocblas_complex_numIfEiiPS3_EEvT1_T3_lS5_lPT2_S5_S5_,comdat
.Lfunc_end21:
	.size	_ZN9rocsolver6v33100L23getf2_npvt_small_kernelILi11E19rocblas_complex_numIfEiiPS3_EEvT1_T3_lS5_lPT2_S5_S5_, .Lfunc_end21-_ZN9rocsolver6v33100L23getf2_npvt_small_kernelILi11E19rocblas_complex_numIfEiiPS3_EEvT1_T3_lS5_lPT2_S5_S5_
                                        ; -- End function
	.set _ZN9rocsolver6v33100L23getf2_npvt_small_kernelILi11E19rocblas_complex_numIfEiiPS3_EEvT1_T3_lS5_lPT2_S5_S5_.num_vgpr, 82
	.set _ZN9rocsolver6v33100L23getf2_npvt_small_kernelILi11E19rocblas_complex_numIfEiiPS3_EEvT1_T3_lS5_lPT2_S5_S5_.num_agpr, 0
	.set _ZN9rocsolver6v33100L23getf2_npvt_small_kernelILi11E19rocblas_complex_numIfEiiPS3_EEvT1_T3_lS5_lPT2_S5_S5_.numbered_sgpr, 16
	.set _ZN9rocsolver6v33100L23getf2_npvt_small_kernelILi11E19rocblas_complex_numIfEiiPS3_EEvT1_T3_lS5_lPT2_S5_S5_.num_named_barrier, 0
	.set _ZN9rocsolver6v33100L23getf2_npvt_small_kernelILi11E19rocblas_complex_numIfEiiPS3_EEvT1_T3_lS5_lPT2_S5_S5_.private_seg_size, 0
	.set _ZN9rocsolver6v33100L23getf2_npvt_small_kernelILi11E19rocblas_complex_numIfEiiPS3_EEvT1_T3_lS5_lPT2_S5_S5_.uses_vcc, 1
	.set _ZN9rocsolver6v33100L23getf2_npvt_small_kernelILi11E19rocblas_complex_numIfEiiPS3_EEvT1_T3_lS5_lPT2_S5_S5_.uses_flat_scratch, 0
	.set _ZN9rocsolver6v33100L23getf2_npvt_small_kernelILi11E19rocblas_complex_numIfEiiPS3_EEvT1_T3_lS5_lPT2_S5_S5_.has_dyn_sized_stack, 0
	.set _ZN9rocsolver6v33100L23getf2_npvt_small_kernelILi11E19rocblas_complex_numIfEiiPS3_EEvT1_T3_lS5_lPT2_S5_S5_.has_recursion, 0
	.set _ZN9rocsolver6v33100L23getf2_npvt_small_kernelILi11E19rocblas_complex_numIfEiiPS3_EEvT1_T3_lS5_lPT2_S5_S5_.has_indirect_call, 0
	.section	.AMDGPU.csdata,"",@progbits
; Kernel info:
; codeLenInByte = 11208
; TotalNumSgprs: 18
; NumVgprs: 82
; ScratchSize: 0
; MemoryBound: 0
; FloatMode: 240
; IeeeMode: 1
; LDSByteSize: 0 bytes/workgroup (compile time only)
; SGPRBlocks: 0
; VGPRBlocks: 5
; NumSGPRsForWavesPerEU: 18
; NumVGPRsForWavesPerEU: 82
; NamedBarCnt: 0
; Occupancy: 10
; WaveLimiterHint : 0
; COMPUTE_PGM_RSRC2:SCRATCH_EN: 0
; COMPUTE_PGM_RSRC2:USER_SGPR: 2
; COMPUTE_PGM_RSRC2:TRAP_HANDLER: 0
; COMPUTE_PGM_RSRC2:TGID_X_EN: 1
; COMPUTE_PGM_RSRC2:TGID_Y_EN: 1
; COMPUTE_PGM_RSRC2:TGID_Z_EN: 0
; COMPUTE_PGM_RSRC2:TIDIG_COMP_CNT: 1
	.section	.text._ZN9rocsolver6v33100L18getf2_small_kernelILi12E19rocblas_complex_numIfEiiPS3_EEvT1_T3_lS5_lPS5_llPT2_S5_S5_S7_l,"axG",@progbits,_ZN9rocsolver6v33100L18getf2_small_kernelILi12E19rocblas_complex_numIfEiiPS3_EEvT1_T3_lS5_lPS5_llPT2_S5_S5_S7_l,comdat
	.globl	_ZN9rocsolver6v33100L18getf2_small_kernelILi12E19rocblas_complex_numIfEiiPS3_EEvT1_T3_lS5_lPS5_llPT2_S5_S5_S7_l ; -- Begin function _ZN9rocsolver6v33100L18getf2_small_kernelILi12E19rocblas_complex_numIfEiiPS3_EEvT1_T3_lS5_lPS5_llPT2_S5_S5_S7_l
	.p2align	8
	.type	_ZN9rocsolver6v33100L18getf2_small_kernelILi12E19rocblas_complex_numIfEiiPS3_EEvT1_T3_lS5_lPS5_llPT2_S5_S5_S7_l,@function
_ZN9rocsolver6v33100L18getf2_small_kernelILi12E19rocblas_complex_numIfEiiPS3_EEvT1_T3_lS5_lPS5_llPT2_S5_S5_S7_l: ; @_ZN9rocsolver6v33100L18getf2_small_kernelILi12E19rocblas_complex_numIfEiiPS3_EEvT1_T3_lS5_lPS5_llPT2_S5_S5_S7_l
; %bb.0:
	s_clause 0x1
	s_load_u16 s2, s[0:1], 0x6e
	s_load_b64 s[12:13], s[0:1], 0x48
	s_bfe_u32 s3, ttmp6, 0x40010
	s_bfe_u32 s4, ttmp6, 0x40004
	s_add_co_i32 s3, s3, 1
	s_getreg_b32 s5, hwreg(HW_REG_IB_STS2, 6, 4)
	s_mul_i32 s3, ttmp7, s3
	v_bfe_u32 v32, v0, 10, 10
	s_add_co_i32 s4, s4, s3
	s_cmp_eq_u32 s5, 0
	s_cselect_b32 s3, ttmp7, s4
	s_wait_kmcnt 0x0
	v_mad_u32 v2, s3, s2, v32
	s_mov_b32 s2, exec_lo
	s_delay_alu instid0(VALU_DEP_1)
	v_cmpx_gt_i32_e64 s12, v2
	s_cbranch_execz .LBB22_253
; %bb.1:
	s_load_b128 s[4:7], s[0:1], 0x50
	v_mov_b64_e32 v[26:27], 0
	v_ashrrev_i32_e32 v3, 31, v2
	s_wait_kmcnt 0x0
	s_cmp_eq_u64 s[4:5], 0
	s_cselect_b32 s12, -1, 0
	s_delay_alu instid0(SALU_CYCLE_1)
	s_and_b32 vcc_lo, exec_lo, s12
	s_cbranch_vccnz .LBB22_3
; %bb.2:
	v_mul_u64_e32 v[4:5], s[6:7], v[2:3]
	s_delay_alu instid0(VALU_DEP_1)
	v_lshl_add_u64 v[26:27], v[4:5], 2, s[4:5]
.LBB22_3:
	s_clause 0x1
	s_load_b256 s[4:11], s[0:1], 0x20
	s_load_b32 s2, s[0:1], 0x18
	v_and_b32_e32 v36, 0x3ff, v0
	s_clause 0x1
	s_load_b128 s[16:19], s[0:1], 0x8
	s_load_b32 s14, s[0:1], 0x0
	v_mov_b32_e32 v31, 0
	s_wait_kmcnt 0x0
	v_mul_u64_e32 v[4:5], s[4:5], v[2:3]
	v_add3_u32 v6, s2, s2, v36
	s_ashr_i32 s3, s2, 31
	s_max_i32 s4, s14, 12
	s_cmp_lt_i32 s14, 2
	s_delay_alu instid0(VALU_DEP_1) | instskip(NEXT) | instid1(VALU_DEP_1)
	v_dual_add_nc_u32 v8, s2, v6 :: v_dual_ashrrev_i32 v7, 31, v6
	v_add_nc_u32_e32 v12, s2, v8
	s_delay_alu instid0(VALU_DEP_1) | instskip(NEXT) | instid1(VALU_DEP_1)
	v_add_nc_u32_e32 v14, s2, v12
	v_dual_lshlrev_b32 v30, 3, v36 :: v_dual_add_nc_u32 v16, s2, v14
	s_delay_alu instid0(VALU_DEP_1) | instskip(NEXT) | instid1(VALU_DEP_1)
	v_dual_ashrrev_i32 v15, 31, v14 :: v_dual_add_nc_u32 v20, s2, v16
	v_add_nc_u32_e32 v22, s2, v20
	v_lshl_add_u64 v[0:1], v[4:5], 3, s[16:17]
	v_ashrrev_i32_e32 v9, 31, v8
	s_delay_alu instid0(VALU_DEP_3) | instskip(NEXT) | instid1(VALU_DEP_3)
	v_dual_ashrrev_i32 v17, 31, v16 :: v_dual_ashrrev_i32 v23, 31, v22
	v_lshl_add_u64 v[0:1], s[18:19], 3, v[0:1]
	v_dual_add_nc_u32 v38, s2, v22 :: v_dual_ashrrev_i32 v13, 31, v12
	v_ashrrev_i32_e32 v21, 31, v20
	s_delay_alu instid0(VALU_DEP_3)
	v_add_nc_u64_e32 v[18:19], v[0:1], v[30:31]
	v_lshl_add_u64 v[6:7], v[6:7], 3, v[0:1]
	v_lshl_add_u64 v[34:35], v[8:9], 3, v[0:1]
	v_ashrrev_i32_e32 v39, 31, v38
	v_lshl_add_u64 v[40:41], v[14:15], 3, v[0:1]
	v_lshl_add_u64 v[42:43], v[16:17], 3, v[0:1]
	;; [unrolled: 1-line block ×5, first 2 shown]
	s_clause 0x3
	global_load_b64 v[8:9], v[28:29], off
	global_load_b64 v[10:11], v[6:7], off
	;; [unrolled: 1-line block ×4, first 2 shown]
	s_wait_xcnt 0x2
	v_add_nc_u32_e32 v6, s2, v38
	s_wait_xcnt 0x1
	v_lshl_add_u64 v[34:35], v[12:13], 3, v[0:1]
	v_lshl_add_u64 v[38:39], v[38:39], 3, v[0:1]
	s_wait_xcnt 0x0
	v_dual_add_nc_u32 v18, s2, v6 :: v_dual_ashrrev_i32 v7, 31, v6
	s_delay_alu instid0(VALU_DEP_1) | instskip(NEXT) | instid1(VALU_DEP_2)
	v_ashrrev_i32_e32 v19, 31, v18
	v_lshl_add_u64 v[48:49], v[6:7], 3, v[0:1]
	s_delay_alu instid0(VALU_DEP_2)
	v_lshl_add_u64 v[50:51], v[18:19], 3, v[0:1]
	s_clause 0x7
	global_load_b64 v[22:23], v[34:35], off
	global_load_b64 v[18:19], v[40:41], off
	;; [unrolled: 1-line block ×8, first 2 shown]
	s_wait_xcnt 0x7
	v_mul_lo_u32 v35, s4, v32
	s_load_b64 s[4:5], s[0:1], 0x40
	s_delay_alu instid0(VALU_DEP_1) | instskip(NEXT) | instid1(VALU_DEP_1)
	v_lshl_add_u32 v34, v35, 3, 0
	v_dual_lshlrev_b32 v35, 3, v35 :: v_dual_add_nc_u32 v30, v34, v30
	s_wait_loadcnt 0x8
	ds_store_b64 v30, v[24:25]
	s_wait_loadcnt_dscnt 0x0
	s_barrier_signal -1
	s_barrier_wait -1
	ds_load_b64 v[32:33], v34
	s_cbranch_scc1 .LBB22_6
; %bb.4:
	v_add3_u32 v30, v35, 0, 8
	v_mov_b32_e32 v31, 0
	s_wait_xcnt 0x0
	s_mov_b32 s0, 1
.LBB22_5:                               ; =>This Inner Loop Header: Depth=1
	ds_load_b64 v[38:39], v30
	s_wait_dscnt 0x1
	v_cmp_gt_f32_e32 vcc_lo, 0, v32
	v_cndmask_b32_e64 v40, v32, -v32, vcc_lo
	v_cmp_gt_f32_e32 vcc_lo, 0, v33
	v_cndmask_b32_e64 v42, v33, -v33, vcc_lo
	s_wait_dscnt 0x0
	v_cmp_gt_f32_e32 vcc_lo, 0, v38
	v_cndmask_b32_e64 v41, v38, -v38, vcc_lo
	v_cmp_gt_f32_e32 vcc_lo, 0, v39
	v_cndmask_b32_e64 v43, v39, -v39, vcc_lo
	s_delay_alu instid0(VALU_DEP_1) | instskip(NEXT) | instid1(VALU_DEP_1)
	v_pk_add_f32 v[40:41], v[40:41], v[42:43]
	v_cmp_lt_f32_e32 vcc_lo, v40, v41
	v_dual_cndmask_b32 v33, v33, v39 :: v_dual_add_nc_u32 v30, 8, v30
	v_cndmask_b32_e32 v32, v32, v38, vcc_lo
	v_cndmask_b32_e64 v31, v31, s0, vcc_lo
	s_add_co_i32 s0, s0, 1
	s_delay_alu instid0(SALU_CYCLE_1)
	s_cmp_eq_u32 s14, s0
	s_cbranch_scc0 .LBB22_5
.LBB22_6:
	s_wait_dscnt 0x0
	v_cmp_neq_f32_e32 vcc_lo, 0, v32
	s_wait_xcnt 0x0
	v_cmp_neq_f32_e64 s0, 0, v33
	v_dual_mov_b32 v37, 1 :: v_dual_mov_b32 v39, 1
	s_or_b32 s1, vcc_lo, s0
	s_delay_alu instid0(SALU_CYCLE_1)
	s_and_saveexec_b32 s0, s1
	s_cbranch_execz .LBB22_12
; %bb.7:
	v_cmp_ngt_f32_e64 s1, |v32|, |v33|
	s_and_saveexec_b32 s15, s1
	s_delay_alu instid0(SALU_CYCLE_1)
	s_xor_b32 s1, exec_lo, s15
	s_cbranch_execz .LBB22_9
; %bb.8:
	v_div_scale_f32 v30, null, v33, v33, v32
	v_div_scale_f32 v39, vcc_lo, v32, v33, v32
	s_delay_alu instid0(VALU_DEP_2) | instskip(SKIP_1) | instid1(TRANS32_DEP_1)
	v_rcp_f32_e32 v37, v30
	v_nop
	v_fma_f32 v38, -v30, v37, 1.0
	s_delay_alu instid0(VALU_DEP_1) | instskip(NEXT) | instid1(VALU_DEP_1)
	v_fmac_f32_e32 v37, v38, v37
	v_mul_f32_e32 v38, v39, v37
	s_delay_alu instid0(VALU_DEP_1) | instskip(NEXT) | instid1(VALU_DEP_1)
	v_fma_f32 v40, -v30, v38, v39
	v_fmac_f32_e32 v38, v40, v37
	s_delay_alu instid0(VALU_DEP_1) | instskip(NEXT) | instid1(VALU_DEP_1)
	v_fma_f32 v30, -v30, v38, v39
	v_div_fmas_f32 v30, v30, v37, v38
	s_delay_alu instid0(VALU_DEP_1) | instskip(NEXT) | instid1(VALU_DEP_1)
	v_div_fixup_f32 v30, v30, v33, v32
	v_fmac_f32_e32 v33, v32, v30
	s_delay_alu instid0(VALU_DEP_1) | instskip(SKIP_1) | instid1(VALU_DEP_2)
	v_div_scale_f32 v32, null, v33, v33, 1.0
	v_div_scale_f32 v39, vcc_lo, 1.0, v33, 1.0
	v_rcp_f32_e32 v37, v32
	v_nop
	s_delay_alu instid0(TRANS32_DEP_1) | instskip(NEXT) | instid1(VALU_DEP_1)
	v_fma_f32 v38, -v32, v37, 1.0
	v_fmac_f32_e32 v37, v38, v37
	s_delay_alu instid0(VALU_DEP_1) | instskip(NEXT) | instid1(VALU_DEP_1)
	v_mul_f32_e32 v38, v39, v37
	v_fma_f32 v40, -v32, v38, v39
	s_delay_alu instid0(VALU_DEP_1) | instskip(NEXT) | instid1(VALU_DEP_1)
	v_fmac_f32_e32 v38, v40, v37
	v_fma_f32 v32, -v32, v38, v39
	s_delay_alu instid0(VALU_DEP_1) | instskip(NEXT) | instid1(VALU_DEP_1)
	v_div_fmas_f32 v32, v32, v37, v38
	v_div_fixup_f32 v33, v32, v33, 1.0
	s_delay_alu instid0(VALU_DEP_1)
	v_mul_f32_e32 v32, v30, v33
	v_xor_b32_e32 v33, 0x80000000, v33
.LBB22_9:
	s_and_not1_saveexec_b32 s1, s1
	s_cbranch_execz .LBB22_11
; %bb.10:
	s_delay_alu instid0(VALU_DEP_1) | instskip(SKIP_1) | instid1(VALU_DEP_2)
	v_div_scale_f32 v30, null, v32, v32, v33
	v_div_scale_f32 v39, vcc_lo, v33, v32, v33
	v_rcp_f32_e32 v37, v30
	v_nop
	s_delay_alu instid0(TRANS32_DEP_1) | instskip(NEXT) | instid1(VALU_DEP_1)
	v_fma_f32 v38, -v30, v37, 1.0
	v_fmac_f32_e32 v37, v38, v37
	s_delay_alu instid0(VALU_DEP_1) | instskip(NEXT) | instid1(VALU_DEP_1)
	v_mul_f32_e32 v38, v39, v37
	v_fma_f32 v40, -v30, v38, v39
	s_delay_alu instid0(VALU_DEP_1) | instskip(NEXT) | instid1(VALU_DEP_1)
	v_fmac_f32_e32 v38, v40, v37
	v_fma_f32 v30, -v30, v38, v39
	s_delay_alu instid0(VALU_DEP_1) | instskip(NEXT) | instid1(VALU_DEP_1)
	v_div_fmas_f32 v30, v30, v37, v38
	v_div_fixup_f32 v30, v30, v32, v33
	s_delay_alu instid0(VALU_DEP_1) | instskip(NEXT) | instid1(VALU_DEP_1)
	v_fmac_f32_e32 v32, v33, v30
	v_div_scale_f32 v33, null, v32, v32, 1.0
	s_delay_alu instid0(VALU_DEP_1) | instskip(SKIP_1) | instid1(TRANS32_DEP_1)
	v_rcp_f32_e32 v37, v33
	v_nop
	v_fma_f32 v38, -v33, v37, 1.0
	s_delay_alu instid0(VALU_DEP_1) | instskip(SKIP_1) | instid1(VALU_DEP_1)
	v_fmac_f32_e32 v37, v38, v37
	v_div_scale_f32 v38, vcc_lo, 1.0, v32, 1.0
	v_mul_f32_e32 v39, v38, v37
	s_delay_alu instid0(VALU_DEP_1) | instskip(NEXT) | instid1(VALU_DEP_1)
	v_fma_f32 v40, -v33, v39, v38
	v_fmac_f32_e32 v39, v40, v37
	s_delay_alu instid0(VALU_DEP_1) | instskip(NEXT) | instid1(VALU_DEP_1)
	v_fma_f32 v33, -v33, v39, v38
	v_div_fmas_f32 v33, v33, v37, v39
	s_delay_alu instid0(VALU_DEP_1) | instskip(NEXT) | instid1(VALU_DEP_1)
	v_div_fixup_f32 v32, v33, v32, 1.0
	v_mul_f32_e64 v33, v30, -v32
.LBB22_11:
	s_or_b32 exec_lo, exec_lo, s1
	v_dual_mov_b32 v39, 0 :: v_dual_mov_b32 v37, 2
.LBB22_12:
	s_or_b32 exec_lo, exec_lo, s0
	s_delay_alu instid0(SALU_CYCLE_1)
	s_mov_b32 s0, exec_lo
	v_cmpx_ne_u32_e64 v36, v31
	s_xor_b32 s0, exec_lo, s0
	s_cbranch_execz .LBB22_18
; %bb.13:
	s_mov_b32 s1, exec_lo
	v_cmpx_eq_u32_e32 0, v36
	s_cbranch_execz .LBB22_17
; %bb.14:
	v_cmp_ne_u32_e32 vcc_lo, 0, v31
	s_xor_b32 s15, s12, -1
	s_delay_alu instid0(SALU_CYCLE_1) | instskip(NEXT) | instid1(SALU_CYCLE_1)
	s_and_b32 s16, s15, vcc_lo
	s_and_saveexec_b32 s15, s16
	s_cbranch_execz .LBB22_16
; %bb.15:
	v_dual_mov_b32 v40, v31 :: v_dual_ashrrev_i32 v41, 31, v31
	s_delay_alu instid0(VALU_DEP_1)
	v_lshl_add_u64 v[40:41], v[40:41], 2, v[26:27]
	s_clause 0x1
	global_load_b32 v30, v[40:41], off
	global_load_b32 v36, v[26:27], off
	s_wait_loadcnt 0x1
	global_store_b32 v[26:27], v30, off
	s_wait_loadcnt 0x0
	global_store_b32 v[40:41], v36, off
.LBB22_16:
	s_wait_xcnt 0x0
	s_or_b32 exec_lo, exec_lo, s15
	v_mov_b32_e32 v36, v31
.LBB22_17:
	s_or_b32 exec_lo, exec_lo, s1
.LBB22_18:
	s_or_saveexec_b32 s0, s0
	s_delay_alu instid0(VALU_DEP_1)
	v_mov_b32_e32 v38, v36
	s_xor_b32 exec_lo, exec_lo, s0
	s_cbranch_execz .LBB22_20
; %bb.19:
	v_mov_b32_e32 v38, 0
	ds_store_2addr_b64 v34, v[8:9], v[10:11] offset0:1 offset1:2
	ds_store_2addr_b64 v34, v[4:5], v[22:23] offset0:3 offset1:4
	;; [unrolled: 1-line block ×5, first 2 shown]
	ds_store_b64 v34, v[28:29] offset:88
.LBB22_20:
	s_or_b32 exec_lo, exec_lo, s0
	s_delay_alu instid0(SALU_CYCLE_1)
	s_mov_b32 s0, exec_lo
	s_wait_storecnt_dscnt 0x0
	s_barrier_signal -1
	s_barrier_wait -1
	v_cmpx_lt_i32_e32 0, v38
	s_cbranch_execz .LBB22_22
; %bb.21:
	v_pk_mul_f32 v[30:31], v[32:33], v[24:25] op_sel:[1,1] op_sel_hi:[0,1]
	s_delay_alu instid0(VALU_DEP_1)
	v_pk_fma_f32 v[40:41], v[32:33], v[24:25], v[30:31] op_sel_hi:[1,0,1] neg_lo:[0,0,1] neg_hi:[0,0,1]
	v_pk_fma_f32 v[42:43], v[32:33], v[24:25], v[30:31] op_sel_hi:[1,0,1]
	ds_load_2addr_b64 v[30:33], v34 offset0:1 offset1:2
	v_dual_mov_b32 v24, v40 :: v_dual_mov_b32 v25, v43
	s_wait_dscnt 0x0
	v_pk_mul_f32 v[44:45], v[30:31], v[42:43] op_sel:[0,1]
	s_delay_alu instid0(VALU_DEP_1) | instskip(SKIP_1) | instid1(VALU_DEP_1)
	v_pk_fma_f32 v[46:47], v[30:31], v[40:41], v[44:45] op_sel:[0,0,1] op_sel_hi:[1,1,0] neg_lo:[0,0,1] neg_hi:[0,0,1]
	v_pk_fma_f32 v[30:31], v[30:31], v[40:41], v[44:45] op_sel:[0,0,1] op_sel_hi:[1,0,0]
	v_mov_b32_e32 v47, v31
	v_pk_mul_f32 v[30:31], v[32:33], v[42:43] op_sel:[0,1]
	s_delay_alu instid0(VALU_DEP_1) | instskip(SKIP_1) | instid1(VALU_DEP_1)
	v_pk_fma_f32 v[44:45], v[32:33], v[40:41], v[30:31] op_sel:[0,0,1] op_sel_hi:[1,1,0] neg_lo:[0,0,1] neg_hi:[0,0,1]
	v_pk_fma_f32 v[30:31], v[32:33], v[40:41], v[30:31] op_sel:[0,0,1] op_sel_hi:[1,0,0]
	v_mov_b32_e32 v45, v31
	ds_load_2addr_b64 v[30:33], v34 offset0:3 offset1:4
	v_pk_add_f32 v[8:9], v[8:9], v[46:47] neg_lo:[0,1] neg_hi:[0,1]
	v_pk_add_f32 v[10:11], v[10:11], v[44:45] neg_lo:[0,1] neg_hi:[0,1]
	s_wait_dscnt 0x0
	v_pk_mul_f32 v[44:45], v[30:31], v[42:43] op_sel:[0,1]
	s_delay_alu instid0(VALU_DEP_1) | instskip(SKIP_2) | instid1(VALU_DEP_2)
	v_pk_fma_f32 v[46:47], v[30:31], v[40:41], v[44:45] op_sel:[0,0,1] op_sel_hi:[1,1,0] neg_lo:[0,0,1] neg_hi:[0,0,1]
	v_pk_fma_f32 v[30:31], v[30:31], v[40:41], v[44:45] op_sel:[0,0,1] op_sel_hi:[1,0,0]
	v_dual_mul_f32 v44, v33, v43 :: v_dual_mov_b32 v30, v33
	v_dual_mov_b32 v47, v31 :: v_dual_mov_b32 v31, v32
	s_delay_alu instid0(VALU_DEP_2) | instskip(SKIP_1) | instid1(VALU_DEP_3)
	v_pk_fma_f32 v[44:45], v[32:33], v[24:25], v[44:45] op_sel_hi:[1,1,0] neg_lo:[0,0,1] neg_hi:[0,0,1]
	v_mul_f32_e32 v32, v33, v40
	v_pk_add_f32 v[4:5], v[4:5], v[46:47] neg_lo:[0,1] neg_hi:[0,1]
	s_delay_alu instid0(VALU_DEP_2) | instskip(NEXT) | instid1(VALU_DEP_1)
	v_pk_fma_f32 v[30:31], v[30:31], v[24:25], v[32:33] op_sel_hi:[1,1,0]
	v_mov_b32_e32 v45, v31
	ds_load_2addr_b64 v[30:33], v34 offset0:5 offset1:6
	v_pk_add_f32 v[22:23], v[22:23], v[44:45] neg_lo:[0,1] neg_hi:[0,1]
	s_wait_dscnt 0x0
	v_pk_mul_f32 v[44:45], v[30:31], v[42:43] op_sel:[0,1]
	s_delay_alu instid0(VALU_DEP_1) | instskip(SKIP_1) | instid1(VALU_DEP_1)
	v_pk_fma_f32 v[46:47], v[30:31], v[40:41], v[44:45] op_sel:[0,0,1] op_sel_hi:[1,1,0] neg_lo:[0,0,1] neg_hi:[0,0,1]
	v_pk_fma_f32 v[30:31], v[30:31], v[40:41], v[44:45] op_sel:[0,0,1] op_sel_hi:[1,0,0]
	v_mov_b32_e32 v47, v31
	v_pk_mul_f32 v[30:31], v[32:33], v[42:43] op_sel:[0,1]
	s_delay_alu instid0(VALU_DEP_1) | instskip(SKIP_1) | instid1(VALU_DEP_1)
	v_pk_fma_f32 v[44:45], v[32:33], v[40:41], v[30:31] op_sel:[0,0,1] op_sel_hi:[1,1,0] neg_lo:[0,0,1] neg_hi:[0,0,1]
	v_pk_fma_f32 v[30:31], v[32:33], v[40:41], v[30:31] op_sel:[0,0,1] op_sel_hi:[1,0,0]
	v_mov_b32_e32 v45, v31
	ds_load_2addr_b64 v[30:33], v34 offset0:7 offset1:8
	v_pk_add_f32 v[18:19], v[18:19], v[46:47] neg_lo:[0,1] neg_hi:[0,1]
	v_pk_add_f32 v[20:21], v[20:21], v[44:45] neg_lo:[0,1] neg_hi:[0,1]
	s_wait_dscnt 0x0
	v_pk_mul_f32 v[44:45], v[30:31], v[42:43] op_sel:[0,1]
	s_delay_alu instid0(VALU_DEP_1) | instskip(SKIP_1) | instid1(VALU_DEP_1)
	v_pk_fma_f32 v[46:47], v[30:31], v[40:41], v[44:45] op_sel:[0,0,1] op_sel_hi:[1,1,0] neg_lo:[0,0,1] neg_hi:[0,0,1]
	v_pk_fma_f32 v[30:31], v[30:31], v[40:41], v[44:45] op_sel:[0,0,1] op_sel_hi:[1,0,0]
	v_mov_b32_e32 v47, v31
	v_pk_mul_f32 v[30:31], v[32:33], v[42:43] op_sel:[0,1]
	s_delay_alu instid0(VALU_DEP_1) | instskip(SKIP_1) | instid1(VALU_DEP_1)
	v_pk_fma_f32 v[44:45], v[32:33], v[40:41], v[30:31] op_sel:[0,0,1] op_sel_hi:[1,1,0] neg_lo:[0,0,1] neg_hi:[0,0,1]
	v_pk_fma_f32 v[30:31], v[32:33], v[40:41], v[30:31] op_sel:[0,0,1] op_sel_hi:[1,0,0]
	v_mov_b32_e32 v45, v31
	ds_load_2addr_b64 v[30:33], v34 offset0:9 offset1:10
	v_pk_add_f32 v[6:7], v[6:7], v[46:47] neg_lo:[0,1] neg_hi:[0,1]
	v_pk_add_f32 v[16:17], v[16:17], v[44:45] neg_lo:[0,1] neg_hi:[0,1]
	s_wait_dscnt 0x0
	v_dual_mul_f32 v44, v31, v43 :: v_dual_mul_f32 v46, v31, v40
	s_delay_alu instid0(VALU_DEP_1) | instskip(NEXT) | instid1(VALU_DEP_2)
	v_pk_fma_f32 v[44:45], v[30:31], v[24:25], v[44:45] op_sel_hi:[1,1,0] neg_lo:[0,0,1] neg_hi:[0,0,1]
	v_pk_fma_f32 v[30:31], v[30:31], v[24:25], v[46:47] op_sel:[1,0,0] op_sel_hi:[0,1,0]
	s_delay_alu instid0(VALU_DEP_1) | instskip(SKIP_1) | instid1(VALU_DEP_2)
	v_mov_b32_e32 v45, v31
	v_pk_mul_f32 v[30:31], v[32:33], v[42:43] op_sel:[0,1]
	v_pk_add_f32 v[14:15], v[14:15], v[44:45] neg_lo:[0,1] neg_hi:[0,1]
	s_delay_alu instid0(VALU_DEP_2) | instskip(SKIP_1) | instid1(VALU_DEP_1)
	v_pk_fma_f32 v[44:45], v[32:33], v[40:41], v[30:31] op_sel:[0,0,1] op_sel_hi:[1,1,0] neg_lo:[0,0,1] neg_hi:[0,0,1]
	v_pk_fma_f32 v[30:31], v[32:33], v[40:41], v[30:31] op_sel:[0,0,1] op_sel_hi:[1,0,0]
	v_mov_b32_e32 v45, v31
	ds_load_b64 v[30:31], v34 offset:88
	v_pk_add_f32 v[12:13], v[12:13], v[44:45] neg_lo:[0,1] neg_hi:[0,1]
	s_wait_dscnt 0x0
	v_pk_mul_f32 v[32:33], v[30:31], v[42:43] op_sel:[0,1]
	s_delay_alu instid0(VALU_DEP_1) | instskip(SKIP_1) | instid1(VALU_DEP_1)
	v_pk_fma_f32 v[42:43], v[30:31], v[40:41], v[32:33] op_sel:[0,0,1] op_sel_hi:[1,1,0] neg_lo:[0,0,1] neg_hi:[0,0,1]
	v_pk_fma_f32 v[30:31], v[30:31], v[40:41], v[32:33] op_sel:[0,0,1] op_sel_hi:[1,0,0]
	v_mov_b32_e32 v43, v31
	s_delay_alu instid0(VALU_DEP_1)
	v_pk_add_f32 v[28:29], v[28:29], v[42:43] neg_lo:[0,1] neg_hi:[0,1]
.LBB22_22:
	s_or_b32 exec_lo, exec_lo, s0
	v_lshl_add_u32 v30, v38, 3, v34
	s_barrier_signal -1
	s_barrier_wait -1
	ds_store_b64 v30, v[8:9]
	s_wait_dscnt 0x0
	s_barrier_signal -1
	s_barrier_wait -1
	ds_load_b64 v[30:31], v34 offset:8
	v_mov_b32_e32 v32, 1
	s_cmp_lt_i32 s14, 3
	s_cbranch_scc1 .LBB22_25
; %bb.23:
	v_add3_u32 v33, v35, 0, 16
	v_mov_b32_e32 v32, 1
	s_mov_b32 s0, 2
.LBB22_24:                              ; =>This Inner Loop Header: Depth=1
	ds_load_b64 v[40:41], v33
	s_wait_dscnt 0x1
	v_cmp_gt_f32_e32 vcc_lo, 0, v30
	v_cndmask_b32_e64 v42, v30, -v30, vcc_lo
	v_cmp_gt_f32_e32 vcc_lo, 0, v31
	v_cndmask_b32_e64 v44, v31, -v31, vcc_lo
	s_wait_dscnt 0x0
	v_cmp_gt_f32_e32 vcc_lo, 0, v40
	v_cndmask_b32_e64 v43, v40, -v40, vcc_lo
	v_cmp_gt_f32_e32 vcc_lo, 0, v41
	v_cndmask_b32_e64 v45, v41, -v41, vcc_lo
	s_delay_alu instid0(VALU_DEP_1) | instskip(NEXT) | instid1(VALU_DEP_1)
	v_pk_add_f32 v[42:43], v[42:43], v[44:45]
	v_cmp_lt_f32_e32 vcc_lo, v42, v43
	v_dual_cndmask_b32 v30, v30, v40 :: v_dual_add_nc_u32 v33, 8, v33
	v_cndmask_b32_e32 v31, v31, v41, vcc_lo
	v_cndmask_b32_e64 v32, v32, s0, vcc_lo
	s_add_co_i32 s0, s0, 1
	s_delay_alu instid0(SALU_CYCLE_1)
	s_cmp_lg_u32 s14, s0
	s_cbranch_scc1 .LBB22_24
.LBB22_25:
	s_wait_dscnt 0x0
	v_cmp_neq_f32_e32 vcc_lo, 0, v30
	v_cmp_neq_f32_e64 s0, 0, v31
	s_or_b32 s1, vcc_lo, s0
	s_delay_alu instid0(SALU_CYCLE_1)
	s_and_saveexec_b32 s0, s1
	s_cbranch_execz .LBB22_31
; %bb.26:
	v_cmp_ngt_f32_e64 s1, |v30|, |v31|
	s_and_saveexec_b32 s15, s1
	s_delay_alu instid0(SALU_CYCLE_1)
	s_xor_b32 s1, exec_lo, s15
	s_cbranch_execz .LBB22_28
; %bb.27:
	v_div_scale_f32 v33, null, v31, v31, v30
	v_div_scale_f32 v41, vcc_lo, v30, v31, v30
	s_delay_alu instid0(VALU_DEP_2) | instskip(SKIP_1) | instid1(TRANS32_DEP_1)
	v_rcp_f32_e32 v37, v33
	v_nop
	v_fma_f32 v40, -v33, v37, 1.0
	s_delay_alu instid0(VALU_DEP_1) | instskip(NEXT) | instid1(VALU_DEP_1)
	v_fmac_f32_e32 v37, v40, v37
	v_mul_f32_e32 v40, v41, v37
	s_delay_alu instid0(VALU_DEP_1) | instskip(NEXT) | instid1(VALU_DEP_1)
	v_fma_f32 v42, -v33, v40, v41
	v_fmac_f32_e32 v40, v42, v37
	s_delay_alu instid0(VALU_DEP_1) | instskip(NEXT) | instid1(VALU_DEP_1)
	v_fma_f32 v33, -v33, v40, v41
	v_div_fmas_f32 v33, v33, v37, v40
	s_delay_alu instid0(VALU_DEP_1) | instskip(NEXT) | instid1(VALU_DEP_1)
	v_div_fixup_f32 v33, v33, v31, v30
	v_fmac_f32_e32 v31, v30, v33
	s_delay_alu instid0(VALU_DEP_1) | instskip(SKIP_1) | instid1(VALU_DEP_2)
	v_div_scale_f32 v30, null, v31, v31, 1.0
	v_div_scale_f32 v41, vcc_lo, 1.0, v31, 1.0
	v_rcp_f32_e32 v37, v30
	v_nop
	s_delay_alu instid0(TRANS32_DEP_1) | instskip(NEXT) | instid1(VALU_DEP_1)
	v_fma_f32 v40, -v30, v37, 1.0
	v_fmac_f32_e32 v37, v40, v37
	s_delay_alu instid0(VALU_DEP_1) | instskip(NEXT) | instid1(VALU_DEP_1)
	v_mul_f32_e32 v40, v41, v37
	v_fma_f32 v42, -v30, v40, v41
	s_delay_alu instid0(VALU_DEP_1) | instskip(NEXT) | instid1(VALU_DEP_1)
	v_fmac_f32_e32 v40, v42, v37
	v_fma_f32 v30, -v30, v40, v41
	s_delay_alu instid0(VALU_DEP_1) | instskip(NEXT) | instid1(VALU_DEP_1)
	v_div_fmas_f32 v30, v30, v37, v40
	v_div_fixup_f32 v31, v30, v31, 1.0
	s_delay_alu instid0(VALU_DEP_1)
	v_mul_f32_e32 v30, v33, v31
	v_xor_b32_e32 v31, 0x80000000, v31
.LBB22_28:
	s_and_not1_saveexec_b32 s1, s1
	s_cbranch_execz .LBB22_30
; %bb.29:
	s_delay_alu instid0(VALU_DEP_1) | instskip(SKIP_1) | instid1(VALU_DEP_2)
	v_div_scale_f32 v33, null, v30, v30, v31
	v_div_scale_f32 v41, vcc_lo, v31, v30, v31
	v_rcp_f32_e32 v37, v33
	v_nop
	s_delay_alu instid0(TRANS32_DEP_1) | instskip(NEXT) | instid1(VALU_DEP_1)
	v_fma_f32 v40, -v33, v37, 1.0
	v_fmac_f32_e32 v37, v40, v37
	s_delay_alu instid0(VALU_DEP_1) | instskip(NEXT) | instid1(VALU_DEP_1)
	v_mul_f32_e32 v40, v41, v37
	v_fma_f32 v42, -v33, v40, v41
	s_delay_alu instid0(VALU_DEP_1) | instskip(NEXT) | instid1(VALU_DEP_1)
	v_fmac_f32_e32 v40, v42, v37
	v_fma_f32 v33, -v33, v40, v41
	s_delay_alu instid0(VALU_DEP_1) | instskip(NEXT) | instid1(VALU_DEP_1)
	v_div_fmas_f32 v33, v33, v37, v40
	v_div_fixup_f32 v33, v33, v30, v31
	s_delay_alu instid0(VALU_DEP_1) | instskip(NEXT) | instid1(VALU_DEP_1)
	v_fmac_f32_e32 v30, v31, v33
	v_div_scale_f32 v31, null, v30, v30, 1.0
	s_delay_alu instid0(VALU_DEP_1) | instskip(SKIP_1) | instid1(TRANS32_DEP_1)
	v_rcp_f32_e32 v37, v31
	v_nop
	v_fma_f32 v40, -v31, v37, 1.0
	s_delay_alu instid0(VALU_DEP_1) | instskip(SKIP_1) | instid1(VALU_DEP_1)
	v_fmac_f32_e32 v37, v40, v37
	v_div_scale_f32 v40, vcc_lo, 1.0, v30, 1.0
	v_mul_f32_e32 v41, v40, v37
	s_delay_alu instid0(VALU_DEP_1) | instskip(NEXT) | instid1(VALU_DEP_1)
	v_fma_f32 v42, -v31, v41, v40
	v_fmac_f32_e32 v41, v42, v37
	s_delay_alu instid0(VALU_DEP_1) | instskip(NEXT) | instid1(VALU_DEP_1)
	v_fma_f32 v31, -v31, v41, v40
	v_div_fmas_f32 v31, v31, v37, v41
	s_delay_alu instid0(VALU_DEP_1) | instskip(NEXT) | instid1(VALU_DEP_1)
	v_div_fixup_f32 v30, v31, v30, 1.0
	v_mul_f32_e64 v31, v33, -v30
.LBB22_30:
	s_or_b32 exec_lo, exec_lo, s1
	v_mov_b32_e32 v37, v39
.LBB22_31:
	s_or_b32 exec_lo, exec_lo, s0
	s_delay_alu instid0(SALU_CYCLE_1)
	s_mov_b32 s0, exec_lo
	v_cmpx_ne_u32_e64 v38, v32
	s_xor_b32 s0, exec_lo, s0
	s_cbranch_execz .LBB22_37
; %bb.32:
	s_mov_b32 s1, exec_lo
	v_cmpx_eq_u32_e32 1, v38
	s_cbranch_execz .LBB22_36
; %bb.33:
	v_cmp_ne_u32_e32 vcc_lo, 1, v32
	s_xor_b32 s15, s12, -1
	s_delay_alu instid0(SALU_CYCLE_1) | instskip(NEXT) | instid1(SALU_CYCLE_1)
	s_and_b32 s16, s15, vcc_lo
	s_and_saveexec_b32 s15, s16
	s_cbranch_execz .LBB22_35
; %bb.34:
	v_ashrrev_i32_e32 v33, 31, v32
	s_delay_alu instid0(VALU_DEP_1)
	v_lshl_add_u64 v[38:39], v[32:33], 2, v[26:27]
	s_clause 0x1
	global_load_b32 v33, v[38:39], off
	global_load_b32 v36, v[26:27], off offset:4
	s_wait_loadcnt 0x1
	global_store_b32 v[26:27], v33, off offset:4
	s_wait_loadcnt 0x0
	global_store_b32 v[38:39], v36, off
.LBB22_35:
	s_wait_xcnt 0x0
	s_or_b32 exec_lo, exec_lo, s15
	v_dual_mov_b32 v38, v32 :: v_dual_mov_b32 v36, v32
.LBB22_36:
	s_or_b32 exec_lo, exec_lo, s1
.LBB22_37:
	s_and_not1_saveexec_b32 s0, s0
	s_cbranch_execz .LBB22_39
; %bb.38:
	v_dual_mov_b32 v32, v10 :: v_dual_mov_b32 v33, v11
	v_dual_mov_b32 v40, v4 :: v_dual_mov_b32 v41, v5
	;; [unrolled: 1-line block ×9, first 2 shown]
	v_mov_b32_e32 v55, v13
	ds_store_2addr_b64 v34, v[32:33], v[40:41] offset0:2 offset1:3
	ds_store_2addr_b64 v34, v[42:43], v[44:45] offset0:4 offset1:5
	;; [unrolled: 1-line block ×5, first 2 shown]
.LBB22_39:
	s_or_b32 exec_lo, exec_lo, s0
	s_delay_alu instid0(SALU_CYCLE_1)
	s_mov_b32 s0, exec_lo
	s_wait_storecnt_dscnt 0x0
	s_barrier_signal -1
	s_barrier_wait -1
	v_cmpx_lt_i32_e32 1, v38
	s_cbranch_execz .LBB22_41
; %bb.40:
	v_pk_mul_f32 v[32:33], v[30:31], v[8:9] op_sel:[1,1] op_sel_hi:[0,1]
	s_delay_alu instid0(VALU_DEP_1)
	v_pk_fma_f32 v[40:41], v[30:31], v[8:9], v[32:33] op_sel_hi:[1,0,1] neg_lo:[0,0,1] neg_hi:[0,0,1]
	v_pk_fma_f32 v[42:43], v[30:31], v[8:9], v[32:33] op_sel_hi:[1,0,1]
	ds_load_2addr_b64 v[30:33], v34 offset0:2 offset1:3
	v_dual_mov_b32 v8, v40 :: v_dual_mov_b32 v9, v43
	s_wait_dscnt 0x0
	v_pk_mul_f32 v[44:45], v[30:31], v[42:43] op_sel:[0,1]
	s_delay_alu instid0(VALU_DEP_1) | instskip(SKIP_1) | instid1(VALU_DEP_1)
	v_pk_fma_f32 v[46:47], v[30:31], v[40:41], v[44:45] op_sel:[0,0,1] op_sel_hi:[1,1,0] neg_lo:[0,0,1] neg_hi:[0,0,1]
	v_pk_fma_f32 v[30:31], v[30:31], v[40:41], v[44:45] op_sel:[0,0,1] op_sel_hi:[1,0,0]
	v_mov_b32_e32 v47, v31
	v_pk_mul_f32 v[30:31], v[32:33], v[42:43] op_sel:[0,1]
	s_delay_alu instid0(VALU_DEP_1) | instskip(SKIP_1) | instid1(VALU_DEP_1)
	v_pk_fma_f32 v[44:45], v[32:33], v[40:41], v[30:31] op_sel:[0,0,1] op_sel_hi:[1,1,0] neg_lo:[0,0,1] neg_hi:[0,0,1]
	v_pk_fma_f32 v[30:31], v[32:33], v[40:41], v[30:31] op_sel:[0,0,1] op_sel_hi:[1,0,0]
	v_mov_b32_e32 v45, v31
	ds_load_2addr_b64 v[30:33], v34 offset0:4 offset1:5
	v_pk_add_f32 v[10:11], v[10:11], v[46:47] neg_lo:[0,1] neg_hi:[0,1]
	v_pk_add_f32 v[4:5], v[4:5], v[44:45] neg_lo:[0,1] neg_hi:[0,1]
	s_wait_dscnt 0x0
	v_pk_mul_f32 v[44:45], v[30:31], v[42:43] op_sel:[0,1]
	s_delay_alu instid0(VALU_DEP_1) | instskip(SKIP_2) | instid1(VALU_DEP_2)
	v_pk_fma_f32 v[46:47], v[30:31], v[40:41], v[44:45] op_sel:[0,0,1] op_sel_hi:[1,1,0] neg_lo:[0,0,1] neg_hi:[0,0,1]
	v_pk_fma_f32 v[30:31], v[30:31], v[40:41], v[44:45] op_sel:[0,0,1] op_sel_hi:[1,0,0]
	v_dual_mul_f32 v44, v33, v43 :: v_dual_mov_b32 v30, v33
	v_dual_mov_b32 v47, v31 :: v_dual_mov_b32 v31, v32
	s_delay_alu instid0(VALU_DEP_2) | instskip(SKIP_1) | instid1(VALU_DEP_3)
	v_pk_fma_f32 v[44:45], v[32:33], v[8:9], v[44:45] op_sel_hi:[1,1,0] neg_lo:[0,0,1] neg_hi:[0,0,1]
	v_mul_f32_e32 v32, v33, v40
	v_pk_add_f32 v[22:23], v[22:23], v[46:47] neg_lo:[0,1] neg_hi:[0,1]
	s_delay_alu instid0(VALU_DEP_2) | instskip(NEXT) | instid1(VALU_DEP_1)
	v_pk_fma_f32 v[30:31], v[30:31], v[8:9], v[32:33] op_sel_hi:[1,1,0]
	v_mov_b32_e32 v45, v31
	ds_load_2addr_b64 v[30:33], v34 offset0:6 offset1:7
	v_pk_add_f32 v[18:19], v[18:19], v[44:45] neg_lo:[0,1] neg_hi:[0,1]
	s_wait_dscnt 0x0
	v_pk_mul_f32 v[44:45], v[30:31], v[42:43] op_sel:[0,1]
	s_delay_alu instid0(VALU_DEP_1) | instskip(SKIP_1) | instid1(VALU_DEP_1)
	v_pk_fma_f32 v[46:47], v[30:31], v[40:41], v[44:45] op_sel:[0,0,1] op_sel_hi:[1,1,0] neg_lo:[0,0,1] neg_hi:[0,0,1]
	v_pk_fma_f32 v[30:31], v[30:31], v[40:41], v[44:45] op_sel:[0,0,1] op_sel_hi:[1,0,0]
	v_mov_b32_e32 v47, v31
	v_pk_mul_f32 v[30:31], v[32:33], v[42:43] op_sel:[0,1]
	s_delay_alu instid0(VALU_DEP_1) | instskip(SKIP_1) | instid1(VALU_DEP_1)
	v_pk_fma_f32 v[44:45], v[32:33], v[40:41], v[30:31] op_sel:[0,0,1] op_sel_hi:[1,1,0] neg_lo:[0,0,1] neg_hi:[0,0,1]
	v_pk_fma_f32 v[30:31], v[32:33], v[40:41], v[30:31] op_sel:[0,0,1] op_sel_hi:[1,0,0]
	v_mov_b32_e32 v45, v31
	ds_load_2addr_b64 v[30:33], v34 offset0:8 offset1:9
	v_pk_add_f32 v[20:21], v[20:21], v[46:47] neg_lo:[0,1] neg_hi:[0,1]
	v_pk_add_f32 v[6:7], v[6:7], v[44:45] neg_lo:[0,1] neg_hi:[0,1]
	s_wait_dscnt 0x0
	v_pk_mul_f32 v[44:45], v[30:31], v[42:43] op_sel:[0,1]
	s_delay_alu instid0(VALU_DEP_1) | instskip(SKIP_1) | instid1(VALU_DEP_1)
	v_pk_fma_f32 v[46:47], v[30:31], v[40:41], v[44:45] op_sel:[0,0,1] op_sel_hi:[1,1,0] neg_lo:[0,0,1] neg_hi:[0,0,1]
	v_pk_fma_f32 v[30:31], v[30:31], v[40:41], v[44:45] op_sel:[0,0,1] op_sel_hi:[1,0,0]
	v_mov_b32_e32 v47, v31
	v_pk_mul_f32 v[30:31], v[32:33], v[42:43] op_sel:[0,1]
	s_delay_alu instid0(VALU_DEP_1) | instskip(SKIP_1) | instid1(VALU_DEP_1)
	v_pk_fma_f32 v[44:45], v[32:33], v[40:41], v[30:31] op_sel:[0,0,1] op_sel_hi:[1,1,0] neg_lo:[0,0,1] neg_hi:[0,0,1]
	v_pk_fma_f32 v[30:31], v[32:33], v[40:41], v[30:31] op_sel:[0,0,1] op_sel_hi:[1,0,0]
	v_mov_b32_e32 v45, v31
	ds_load_2addr_b64 v[30:33], v34 offset0:10 offset1:11
	v_pk_add_f32 v[16:17], v[16:17], v[46:47] neg_lo:[0,1] neg_hi:[0,1]
	v_pk_add_f32 v[14:15], v[14:15], v[44:45] neg_lo:[0,1] neg_hi:[0,1]
	s_wait_dscnt 0x0
	v_dual_mul_f32 v44, v31, v43 :: v_dual_mul_f32 v46, v31, v40
	s_delay_alu instid0(VALU_DEP_1) | instskip(NEXT) | instid1(VALU_DEP_2)
	v_pk_fma_f32 v[44:45], v[30:31], v[8:9], v[44:45] op_sel_hi:[1,1,0] neg_lo:[0,0,1] neg_hi:[0,0,1]
	v_pk_fma_f32 v[30:31], v[30:31], v[8:9], v[46:47] op_sel:[1,0,0] op_sel_hi:[0,1,0]
	s_delay_alu instid0(VALU_DEP_1) | instskip(SKIP_1) | instid1(VALU_DEP_1)
	v_mov_b32_e32 v45, v31
	v_pk_mul_f32 v[30:31], v[32:33], v[42:43] op_sel:[0,1]
	v_pk_fma_f32 v[42:43], v[32:33], v[40:41], v[30:31] op_sel:[0,0,1] op_sel_hi:[1,1,0] neg_lo:[0,0,1] neg_hi:[0,0,1]
	v_pk_fma_f32 v[30:31], v[32:33], v[40:41], v[30:31] op_sel:[0,0,1] op_sel_hi:[1,0,0]
	s_delay_alu instid0(VALU_DEP_1) | instskip(SKIP_1) | instid1(VALU_DEP_2)
	v_mov_b32_e32 v43, v31
	v_pk_add_f32 v[12:13], v[12:13], v[44:45] neg_lo:[0,1] neg_hi:[0,1]
	v_pk_add_f32 v[28:29], v[28:29], v[42:43] neg_lo:[0,1] neg_hi:[0,1]
.LBB22_41:
	s_or_b32 exec_lo, exec_lo, s0
	v_lshl_add_u32 v30, v38, 3, v34
	s_barrier_signal -1
	s_barrier_wait -1
	ds_store_b64 v30, v[10:11]
	s_wait_dscnt 0x0
	s_barrier_signal -1
	s_barrier_wait -1
	ds_load_b64 v[30:31], v34 offset:16
	v_mov_b32_e32 v32, 2
	s_cmp_lt_i32 s14, 4
	s_mov_b32 s0, 3
	s_cbranch_scc1 .LBB22_44
; %bb.42:
	v_add3_u32 v33, v35, 0, 24
	v_mov_b32_e32 v32, 2
.LBB22_43:                              ; =>This Inner Loop Header: Depth=1
	ds_load_b64 v[40:41], v33
	s_wait_dscnt 0x1
	v_cmp_gt_f32_e32 vcc_lo, 0, v30
	v_cndmask_b32_e64 v42, v30, -v30, vcc_lo
	v_cmp_gt_f32_e32 vcc_lo, 0, v31
	v_cndmask_b32_e64 v44, v31, -v31, vcc_lo
	s_wait_dscnt 0x0
	v_cmp_gt_f32_e32 vcc_lo, 0, v40
	v_cndmask_b32_e64 v43, v40, -v40, vcc_lo
	v_cmp_gt_f32_e32 vcc_lo, 0, v41
	v_cndmask_b32_e64 v45, v41, -v41, vcc_lo
	s_delay_alu instid0(VALU_DEP_1) | instskip(NEXT) | instid1(VALU_DEP_1)
	v_pk_add_f32 v[42:43], v[42:43], v[44:45]
	v_cmp_lt_f32_e32 vcc_lo, v42, v43
	v_dual_cndmask_b32 v30, v30, v40 :: v_dual_add_nc_u32 v33, 8, v33
	v_cndmask_b32_e32 v31, v31, v41, vcc_lo
	v_cndmask_b32_e64 v32, v32, s0, vcc_lo
	s_add_co_i32 s0, s0, 1
	s_delay_alu instid0(SALU_CYCLE_1)
	s_cmp_lg_u32 s14, s0
	s_cbranch_scc1 .LBB22_43
.LBB22_44:
	s_wait_dscnt 0x0
	v_cmp_eq_f32_e32 vcc_lo, 0, v30
	v_cmp_eq_f32_e64 s0, 0, v31
	s_and_b32 s0, vcc_lo, s0
	s_delay_alu instid0(SALU_CYCLE_1) | instskip(NEXT) | instid1(SALU_CYCLE_1)
	s_and_saveexec_b32 s1, s0
	s_xor_b32 s0, exec_lo, s1
; %bb.45:
	v_cmp_ne_u32_e32 vcc_lo, 0, v37
	v_cndmask_b32_e32 v37, 3, v37, vcc_lo
; %bb.46:
	s_and_not1_saveexec_b32 s0, s0
	s_cbranch_execz .LBB22_52
; %bb.47:
	v_cmp_ngt_f32_e64 s1, |v30|, |v31|
	s_and_saveexec_b32 s15, s1
	s_delay_alu instid0(SALU_CYCLE_1)
	s_xor_b32 s1, exec_lo, s15
	s_cbranch_execz .LBB22_49
; %bb.48:
	v_div_scale_f32 v33, null, v31, v31, v30
	v_div_scale_f32 v41, vcc_lo, v30, v31, v30
	s_delay_alu instid0(VALU_DEP_2) | instskip(SKIP_1) | instid1(TRANS32_DEP_1)
	v_rcp_f32_e32 v39, v33
	v_nop
	v_fma_f32 v40, -v33, v39, 1.0
	s_delay_alu instid0(VALU_DEP_1) | instskip(NEXT) | instid1(VALU_DEP_1)
	v_fmac_f32_e32 v39, v40, v39
	v_mul_f32_e32 v40, v41, v39
	s_delay_alu instid0(VALU_DEP_1) | instskip(NEXT) | instid1(VALU_DEP_1)
	v_fma_f32 v42, -v33, v40, v41
	v_fmac_f32_e32 v40, v42, v39
	s_delay_alu instid0(VALU_DEP_1) | instskip(NEXT) | instid1(VALU_DEP_1)
	v_fma_f32 v33, -v33, v40, v41
	v_div_fmas_f32 v33, v33, v39, v40
	s_delay_alu instid0(VALU_DEP_1) | instskip(NEXT) | instid1(VALU_DEP_1)
	v_div_fixup_f32 v33, v33, v31, v30
	v_fmac_f32_e32 v31, v30, v33
	s_delay_alu instid0(VALU_DEP_1) | instskip(SKIP_1) | instid1(VALU_DEP_2)
	v_div_scale_f32 v30, null, v31, v31, 1.0
	v_div_scale_f32 v41, vcc_lo, 1.0, v31, 1.0
	v_rcp_f32_e32 v39, v30
	v_nop
	s_delay_alu instid0(TRANS32_DEP_1) | instskip(NEXT) | instid1(VALU_DEP_1)
	v_fma_f32 v40, -v30, v39, 1.0
	v_fmac_f32_e32 v39, v40, v39
	s_delay_alu instid0(VALU_DEP_1) | instskip(NEXT) | instid1(VALU_DEP_1)
	v_mul_f32_e32 v40, v41, v39
	v_fma_f32 v42, -v30, v40, v41
	s_delay_alu instid0(VALU_DEP_1) | instskip(NEXT) | instid1(VALU_DEP_1)
	v_fmac_f32_e32 v40, v42, v39
	v_fma_f32 v30, -v30, v40, v41
	s_delay_alu instid0(VALU_DEP_1) | instskip(NEXT) | instid1(VALU_DEP_1)
	v_div_fmas_f32 v30, v30, v39, v40
	v_div_fixup_f32 v31, v30, v31, 1.0
	s_delay_alu instid0(VALU_DEP_1)
	v_mul_f32_e32 v30, v33, v31
	v_xor_b32_e32 v31, 0x80000000, v31
.LBB22_49:
	s_and_not1_saveexec_b32 s1, s1
	s_cbranch_execz .LBB22_51
; %bb.50:
	s_delay_alu instid0(VALU_DEP_1) | instskip(SKIP_1) | instid1(VALU_DEP_2)
	v_div_scale_f32 v33, null, v30, v30, v31
	v_div_scale_f32 v41, vcc_lo, v31, v30, v31
	v_rcp_f32_e32 v39, v33
	v_nop
	s_delay_alu instid0(TRANS32_DEP_1) | instskip(NEXT) | instid1(VALU_DEP_1)
	v_fma_f32 v40, -v33, v39, 1.0
	v_fmac_f32_e32 v39, v40, v39
	s_delay_alu instid0(VALU_DEP_1) | instskip(NEXT) | instid1(VALU_DEP_1)
	v_mul_f32_e32 v40, v41, v39
	v_fma_f32 v42, -v33, v40, v41
	s_delay_alu instid0(VALU_DEP_1) | instskip(NEXT) | instid1(VALU_DEP_1)
	v_fmac_f32_e32 v40, v42, v39
	v_fma_f32 v33, -v33, v40, v41
	s_delay_alu instid0(VALU_DEP_1) | instskip(NEXT) | instid1(VALU_DEP_1)
	v_div_fmas_f32 v33, v33, v39, v40
	v_div_fixup_f32 v33, v33, v30, v31
	s_delay_alu instid0(VALU_DEP_1) | instskip(NEXT) | instid1(VALU_DEP_1)
	v_fmac_f32_e32 v30, v31, v33
	v_div_scale_f32 v31, null, v30, v30, 1.0
	s_delay_alu instid0(VALU_DEP_1) | instskip(SKIP_1) | instid1(TRANS32_DEP_1)
	v_rcp_f32_e32 v39, v31
	v_nop
	v_fma_f32 v40, -v31, v39, 1.0
	s_delay_alu instid0(VALU_DEP_1) | instskip(SKIP_1) | instid1(VALU_DEP_1)
	v_fmac_f32_e32 v39, v40, v39
	v_div_scale_f32 v40, vcc_lo, 1.0, v30, 1.0
	v_mul_f32_e32 v41, v40, v39
	s_delay_alu instid0(VALU_DEP_1) | instskip(NEXT) | instid1(VALU_DEP_1)
	v_fma_f32 v42, -v31, v41, v40
	v_fmac_f32_e32 v41, v42, v39
	s_delay_alu instid0(VALU_DEP_1) | instskip(NEXT) | instid1(VALU_DEP_1)
	v_fma_f32 v31, -v31, v41, v40
	v_div_fmas_f32 v31, v31, v39, v41
	s_delay_alu instid0(VALU_DEP_1) | instskip(NEXT) | instid1(VALU_DEP_1)
	v_div_fixup_f32 v30, v31, v30, 1.0
	v_mul_f32_e64 v31, v33, -v30
.LBB22_51:
	s_or_b32 exec_lo, exec_lo, s1
.LBB22_52:
	s_delay_alu instid0(SALU_CYCLE_1) | instskip(NEXT) | instid1(SALU_CYCLE_1)
	s_or_b32 exec_lo, exec_lo, s0
	s_mov_b32 s0, exec_lo
	v_cmpx_ne_u32_e64 v38, v32
	s_xor_b32 s0, exec_lo, s0
	s_cbranch_execz .LBB22_58
; %bb.53:
	s_mov_b32 s1, exec_lo
	v_cmpx_eq_u32_e32 2, v38
	s_cbranch_execz .LBB22_57
; %bb.54:
	v_cmp_ne_u32_e32 vcc_lo, 2, v32
	s_xor_b32 s15, s12, -1
	s_delay_alu instid0(SALU_CYCLE_1) | instskip(NEXT) | instid1(SALU_CYCLE_1)
	s_and_b32 s16, s15, vcc_lo
	s_and_saveexec_b32 s15, s16
	s_cbranch_execz .LBB22_56
; %bb.55:
	v_ashrrev_i32_e32 v33, 31, v32
	s_delay_alu instid0(VALU_DEP_1)
	v_lshl_add_u64 v[38:39], v[32:33], 2, v[26:27]
	s_clause 0x1
	global_load_b32 v33, v[38:39], off
	global_load_b32 v36, v[26:27], off offset:8
	s_wait_loadcnt 0x1
	global_store_b32 v[26:27], v33, off offset:8
	s_wait_loadcnt 0x0
	global_store_b32 v[38:39], v36, off
.LBB22_56:
	s_wait_xcnt 0x0
	s_or_b32 exec_lo, exec_lo, s15
	v_dual_mov_b32 v38, v32 :: v_dual_mov_b32 v36, v32
.LBB22_57:
	s_or_b32 exec_lo, exec_lo, s1
.LBB22_58:
	s_and_not1_saveexec_b32 s0, s0
	s_cbranch_execz .LBB22_60
; %bb.59:
	v_mov_b32_e32 v38, 2
	ds_store_2addr_b64 v34, v[4:5], v[22:23] offset0:3 offset1:4
	ds_store_2addr_b64 v34, v[18:19], v[20:21] offset0:5 offset1:6
	;; [unrolled: 1-line block ×4, first 2 shown]
	ds_store_b64 v34, v[28:29] offset:88
.LBB22_60:
	s_or_b32 exec_lo, exec_lo, s0
	s_delay_alu instid0(SALU_CYCLE_1)
	s_mov_b32 s0, exec_lo
	s_wait_storecnt_dscnt 0x0
	s_barrier_signal -1
	s_barrier_wait -1
	v_cmpx_lt_i32_e32 2, v38
	s_cbranch_execz .LBB22_62
; %bb.61:
	v_pk_mul_f32 v[32:33], v[30:31], v[10:11] op_sel:[1,1] op_sel_hi:[0,1]
	s_delay_alu instid0(VALU_DEP_1)
	v_pk_fma_f32 v[40:41], v[30:31], v[10:11], v[32:33] op_sel_hi:[1,0,1] neg_lo:[0,0,1] neg_hi:[0,0,1]
	v_pk_fma_f32 v[42:43], v[30:31], v[10:11], v[32:33] op_sel_hi:[1,0,1]
	ds_load_2addr_b64 v[30:33], v34 offset0:3 offset1:4
	v_dual_mov_b32 v10, v40 :: v_dual_mov_b32 v11, v43
	s_wait_dscnt 0x0
	v_pk_mul_f32 v[44:45], v[30:31], v[42:43] op_sel:[0,1]
	s_delay_alu instid0(VALU_DEP_1) | instskip(SKIP_1) | instid1(VALU_DEP_1)
	v_pk_fma_f32 v[46:47], v[30:31], v[40:41], v[44:45] op_sel:[0,0,1] op_sel_hi:[1,1,0] neg_lo:[0,0,1] neg_hi:[0,0,1]
	v_pk_fma_f32 v[30:31], v[30:31], v[40:41], v[44:45] op_sel:[0,0,1] op_sel_hi:[1,0,0]
	v_mov_b32_e32 v47, v31
	v_pk_mul_f32 v[30:31], v[32:33], v[42:43] op_sel:[0,1]
	s_delay_alu instid0(VALU_DEP_1) | instskip(SKIP_1) | instid1(VALU_DEP_1)
	v_pk_fma_f32 v[44:45], v[32:33], v[40:41], v[30:31] op_sel:[0,0,1] op_sel_hi:[1,1,0] neg_lo:[0,0,1] neg_hi:[0,0,1]
	v_pk_fma_f32 v[30:31], v[32:33], v[40:41], v[30:31] op_sel:[0,0,1] op_sel_hi:[1,0,0]
	v_mov_b32_e32 v45, v31
	ds_load_2addr_b64 v[30:33], v34 offset0:5 offset1:6
	v_pk_add_f32 v[4:5], v[4:5], v[46:47] neg_lo:[0,1] neg_hi:[0,1]
	v_pk_add_f32 v[22:23], v[22:23], v[44:45] neg_lo:[0,1] neg_hi:[0,1]
	s_wait_dscnt 0x0
	v_pk_mul_f32 v[44:45], v[30:31], v[42:43] op_sel:[0,1]
	s_delay_alu instid0(VALU_DEP_1) | instskip(SKIP_2) | instid1(VALU_DEP_2)
	v_pk_fma_f32 v[46:47], v[30:31], v[40:41], v[44:45] op_sel:[0,0,1] op_sel_hi:[1,1,0] neg_lo:[0,0,1] neg_hi:[0,0,1]
	v_pk_fma_f32 v[30:31], v[30:31], v[40:41], v[44:45] op_sel:[0,0,1] op_sel_hi:[1,0,0]
	v_dual_mul_f32 v44, v33, v43 :: v_dual_mov_b32 v30, v33
	v_dual_mov_b32 v47, v31 :: v_dual_mov_b32 v31, v32
	s_delay_alu instid0(VALU_DEP_2) | instskip(SKIP_1) | instid1(VALU_DEP_3)
	v_pk_fma_f32 v[44:45], v[32:33], v[10:11], v[44:45] op_sel_hi:[1,1,0] neg_lo:[0,0,1] neg_hi:[0,0,1]
	v_mul_f32_e32 v32, v33, v40
	v_pk_add_f32 v[18:19], v[18:19], v[46:47] neg_lo:[0,1] neg_hi:[0,1]
	s_delay_alu instid0(VALU_DEP_2) | instskip(NEXT) | instid1(VALU_DEP_1)
	v_pk_fma_f32 v[30:31], v[30:31], v[10:11], v[32:33] op_sel_hi:[1,1,0]
	v_mov_b32_e32 v45, v31
	ds_load_2addr_b64 v[30:33], v34 offset0:7 offset1:8
	v_pk_add_f32 v[20:21], v[20:21], v[44:45] neg_lo:[0,1] neg_hi:[0,1]
	s_wait_dscnt 0x0
	v_pk_mul_f32 v[44:45], v[30:31], v[42:43] op_sel:[0,1]
	s_delay_alu instid0(VALU_DEP_1) | instskip(SKIP_1) | instid1(VALU_DEP_1)
	v_pk_fma_f32 v[46:47], v[30:31], v[40:41], v[44:45] op_sel:[0,0,1] op_sel_hi:[1,1,0] neg_lo:[0,0,1] neg_hi:[0,0,1]
	v_pk_fma_f32 v[30:31], v[30:31], v[40:41], v[44:45] op_sel:[0,0,1] op_sel_hi:[1,0,0]
	v_mov_b32_e32 v47, v31
	v_pk_mul_f32 v[30:31], v[32:33], v[42:43] op_sel:[0,1]
	s_delay_alu instid0(VALU_DEP_1) | instskip(SKIP_1) | instid1(VALU_DEP_1)
	v_pk_fma_f32 v[44:45], v[32:33], v[40:41], v[30:31] op_sel:[0,0,1] op_sel_hi:[1,1,0] neg_lo:[0,0,1] neg_hi:[0,0,1]
	v_pk_fma_f32 v[30:31], v[32:33], v[40:41], v[30:31] op_sel:[0,0,1] op_sel_hi:[1,0,0]
	v_mov_b32_e32 v45, v31
	ds_load_2addr_b64 v[30:33], v34 offset0:9 offset1:10
	v_pk_add_f32 v[6:7], v[6:7], v[46:47] neg_lo:[0,1] neg_hi:[0,1]
	v_pk_add_f32 v[16:17], v[16:17], v[44:45] neg_lo:[0,1] neg_hi:[0,1]
	s_wait_dscnt 0x0
	v_pk_mul_f32 v[44:45], v[30:31], v[42:43] op_sel:[0,1]
	s_delay_alu instid0(VALU_DEP_1) | instskip(SKIP_1) | instid1(VALU_DEP_1)
	v_pk_fma_f32 v[46:47], v[30:31], v[40:41], v[44:45] op_sel:[0,0,1] op_sel_hi:[1,1,0] neg_lo:[0,0,1] neg_hi:[0,0,1]
	v_pk_fma_f32 v[30:31], v[30:31], v[40:41], v[44:45] op_sel:[0,0,1] op_sel_hi:[1,0,0]
	v_mov_b32_e32 v47, v31
	v_pk_mul_f32 v[30:31], v[32:33], v[42:43] op_sel:[0,1]
	s_delay_alu instid0(VALU_DEP_1) | instskip(SKIP_1) | instid1(VALU_DEP_1)
	v_pk_fma_f32 v[44:45], v[32:33], v[40:41], v[30:31] op_sel:[0,0,1] op_sel_hi:[1,1,0] neg_lo:[0,0,1] neg_hi:[0,0,1]
	v_pk_fma_f32 v[30:31], v[32:33], v[40:41], v[30:31] op_sel:[0,0,1] op_sel_hi:[1,0,0]
	v_mov_b32_e32 v45, v31
	ds_load_b64 v[30:31], v34 offset:88
	v_pk_add_f32 v[14:15], v[14:15], v[46:47] neg_lo:[0,1] neg_hi:[0,1]
	v_pk_add_f32 v[12:13], v[12:13], v[44:45] neg_lo:[0,1] neg_hi:[0,1]
	s_wait_dscnt 0x0
	v_pk_mul_f32 v[32:33], v[30:31], v[42:43] op_sel:[0,1]
	s_delay_alu instid0(VALU_DEP_1) | instskip(SKIP_1) | instid1(VALU_DEP_1)
	v_pk_fma_f32 v[42:43], v[30:31], v[40:41], v[32:33] op_sel:[0,0,1] op_sel_hi:[1,1,0] neg_lo:[0,0,1] neg_hi:[0,0,1]
	v_pk_fma_f32 v[30:31], v[30:31], v[40:41], v[32:33] op_sel:[0,0,1] op_sel_hi:[1,0,0]
	v_mov_b32_e32 v43, v31
	s_delay_alu instid0(VALU_DEP_1)
	v_pk_add_f32 v[28:29], v[28:29], v[42:43] neg_lo:[0,1] neg_hi:[0,1]
.LBB22_62:
	s_or_b32 exec_lo, exec_lo, s0
	v_lshl_add_u32 v30, v38, 3, v34
	s_barrier_signal -1
	s_barrier_wait -1
	ds_store_b64 v30, v[4:5]
	s_wait_dscnt 0x0
	s_barrier_signal -1
	s_barrier_wait -1
	ds_load_b64 v[30:31], v34 offset:24
	v_mov_b32_e32 v32, 3
	s_cmp_lt_i32 s14, 5
	s_cbranch_scc1 .LBB22_65
; %bb.63:
	v_mov_b32_e32 v32, 3
	v_add3_u32 v33, v35, 0, 32
	s_mov_b32 s0, 4
.LBB22_64:                              ; =>This Inner Loop Header: Depth=1
	ds_load_b64 v[40:41], v33
	s_wait_dscnt 0x1
	v_cmp_gt_f32_e32 vcc_lo, 0, v30
	v_cndmask_b32_e64 v42, v30, -v30, vcc_lo
	v_cmp_gt_f32_e32 vcc_lo, 0, v31
	v_cndmask_b32_e64 v44, v31, -v31, vcc_lo
	s_wait_dscnt 0x0
	v_cmp_gt_f32_e32 vcc_lo, 0, v40
	v_cndmask_b32_e64 v43, v40, -v40, vcc_lo
	v_cmp_gt_f32_e32 vcc_lo, 0, v41
	v_cndmask_b32_e64 v45, v41, -v41, vcc_lo
	s_delay_alu instid0(VALU_DEP_1) | instskip(NEXT) | instid1(VALU_DEP_1)
	v_pk_add_f32 v[42:43], v[42:43], v[44:45]
	v_cmp_lt_f32_e32 vcc_lo, v42, v43
	v_dual_cndmask_b32 v30, v30, v40 :: v_dual_add_nc_u32 v33, 8, v33
	v_cndmask_b32_e32 v31, v31, v41, vcc_lo
	v_cndmask_b32_e64 v32, v32, s0, vcc_lo
	s_add_co_i32 s0, s0, 1
	s_delay_alu instid0(SALU_CYCLE_1)
	s_cmp_lg_u32 s14, s0
	s_cbranch_scc1 .LBB22_64
.LBB22_65:
	s_wait_dscnt 0x0
	v_cmp_eq_f32_e32 vcc_lo, 0, v30
	v_cmp_eq_f32_e64 s0, 0, v31
	s_and_b32 s0, vcc_lo, s0
	s_delay_alu instid0(SALU_CYCLE_1) | instskip(NEXT) | instid1(SALU_CYCLE_1)
	s_and_saveexec_b32 s1, s0
	s_xor_b32 s0, exec_lo, s1
; %bb.66:
	v_cmp_ne_u32_e32 vcc_lo, 0, v37
	v_cndmask_b32_e32 v37, 4, v37, vcc_lo
; %bb.67:
	s_and_not1_saveexec_b32 s0, s0
	s_cbranch_execz .LBB22_73
; %bb.68:
	v_cmp_ngt_f32_e64 s1, |v30|, |v31|
	s_and_saveexec_b32 s15, s1
	s_delay_alu instid0(SALU_CYCLE_1)
	s_xor_b32 s1, exec_lo, s15
	s_cbranch_execz .LBB22_70
; %bb.69:
	v_div_scale_f32 v33, null, v31, v31, v30
	v_div_scale_f32 v41, vcc_lo, v30, v31, v30
	s_delay_alu instid0(VALU_DEP_2) | instskip(SKIP_1) | instid1(TRANS32_DEP_1)
	v_rcp_f32_e32 v39, v33
	v_nop
	v_fma_f32 v40, -v33, v39, 1.0
	s_delay_alu instid0(VALU_DEP_1) | instskip(NEXT) | instid1(VALU_DEP_1)
	v_fmac_f32_e32 v39, v40, v39
	v_mul_f32_e32 v40, v41, v39
	s_delay_alu instid0(VALU_DEP_1) | instskip(NEXT) | instid1(VALU_DEP_1)
	v_fma_f32 v42, -v33, v40, v41
	v_fmac_f32_e32 v40, v42, v39
	s_delay_alu instid0(VALU_DEP_1) | instskip(NEXT) | instid1(VALU_DEP_1)
	v_fma_f32 v33, -v33, v40, v41
	v_div_fmas_f32 v33, v33, v39, v40
	s_delay_alu instid0(VALU_DEP_1) | instskip(NEXT) | instid1(VALU_DEP_1)
	v_div_fixup_f32 v33, v33, v31, v30
	v_fmac_f32_e32 v31, v30, v33
	s_delay_alu instid0(VALU_DEP_1) | instskip(SKIP_1) | instid1(VALU_DEP_2)
	v_div_scale_f32 v30, null, v31, v31, 1.0
	v_div_scale_f32 v41, vcc_lo, 1.0, v31, 1.0
	v_rcp_f32_e32 v39, v30
	v_nop
	s_delay_alu instid0(TRANS32_DEP_1) | instskip(NEXT) | instid1(VALU_DEP_1)
	v_fma_f32 v40, -v30, v39, 1.0
	v_fmac_f32_e32 v39, v40, v39
	s_delay_alu instid0(VALU_DEP_1) | instskip(NEXT) | instid1(VALU_DEP_1)
	v_mul_f32_e32 v40, v41, v39
	v_fma_f32 v42, -v30, v40, v41
	s_delay_alu instid0(VALU_DEP_1) | instskip(NEXT) | instid1(VALU_DEP_1)
	v_fmac_f32_e32 v40, v42, v39
	v_fma_f32 v30, -v30, v40, v41
	s_delay_alu instid0(VALU_DEP_1) | instskip(NEXT) | instid1(VALU_DEP_1)
	v_div_fmas_f32 v30, v30, v39, v40
	v_div_fixup_f32 v31, v30, v31, 1.0
	s_delay_alu instid0(VALU_DEP_1)
	v_mul_f32_e32 v30, v33, v31
	v_xor_b32_e32 v31, 0x80000000, v31
.LBB22_70:
	s_and_not1_saveexec_b32 s1, s1
	s_cbranch_execz .LBB22_72
; %bb.71:
	s_delay_alu instid0(VALU_DEP_1) | instskip(SKIP_1) | instid1(VALU_DEP_2)
	v_div_scale_f32 v33, null, v30, v30, v31
	v_div_scale_f32 v41, vcc_lo, v31, v30, v31
	v_rcp_f32_e32 v39, v33
	v_nop
	s_delay_alu instid0(TRANS32_DEP_1) | instskip(NEXT) | instid1(VALU_DEP_1)
	v_fma_f32 v40, -v33, v39, 1.0
	v_fmac_f32_e32 v39, v40, v39
	s_delay_alu instid0(VALU_DEP_1) | instskip(NEXT) | instid1(VALU_DEP_1)
	v_mul_f32_e32 v40, v41, v39
	v_fma_f32 v42, -v33, v40, v41
	s_delay_alu instid0(VALU_DEP_1) | instskip(NEXT) | instid1(VALU_DEP_1)
	v_fmac_f32_e32 v40, v42, v39
	v_fma_f32 v33, -v33, v40, v41
	s_delay_alu instid0(VALU_DEP_1) | instskip(NEXT) | instid1(VALU_DEP_1)
	v_div_fmas_f32 v33, v33, v39, v40
	v_div_fixup_f32 v33, v33, v30, v31
	s_delay_alu instid0(VALU_DEP_1) | instskip(NEXT) | instid1(VALU_DEP_1)
	v_fmac_f32_e32 v30, v31, v33
	v_div_scale_f32 v31, null, v30, v30, 1.0
	s_delay_alu instid0(VALU_DEP_1) | instskip(SKIP_1) | instid1(TRANS32_DEP_1)
	v_rcp_f32_e32 v39, v31
	v_nop
	v_fma_f32 v40, -v31, v39, 1.0
	s_delay_alu instid0(VALU_DEP_1) | instskip(SKIP_1) | instid1(VALU_DEP_1)
	v_fmac_f32_e32 v39, v40, v39
	v_div_scale_f32 v40, vcc_lo, 1.0, v30, 1.0
	v_mul_f32_e32 v41, v40, v39
	s_delay_alu instid0(VALU_DEP_1) | instskip(NEXT) | instid1(VALU_DEP_1)
	v_fma_f32 v42, -v31, v41, v40
	v_fmac_f32_e32 v41, v42, v39
	s_delay_alu instid0(VALU_DEP_1) | instskip(NEXT) | instid1(VALU_DEP_1)
	v_fma_f32 v31, -v31, v41, v40
	v_div_fmas_f32 v31, v31, v39, v41
	s_delay_alu instid0(VALU_DEP_1) | instskip(NEXT) | instid1(VALU_DEP_1)
	v_div_fixup_f32 v30, v31, v30, 1.0
	v_mul_f32_e64 v31, v33, -v30
.LBB22_72:
	s_or_b32 exec_lo, exec_lo, s1
.LBB22_73:
	s_delay_alu instid0(SALU_CYCLE_1) | instskip(NEXT) | instid1(SALU_CYCLE_1)
	s_or_b32 exec_lo, exec_lo, s0
	s_mov_b32 s0, exec_lo
	v_cmpx_ne_u32_e64 v38, v32
	s_xor_b32 s0, exec_lo, s0
	s_cbranch_execz .LBB22_79
; %bb.74:
	s_mov_b32 s1, exec_lo
	v_cmpx_eq_u32_e32 3, v38
	s_cbranch_execz .LBB22_78
; %bb.75:
	v_cmp_ne_u32_e32 vcc_lo, 3, v32
	s_xor_b32 s15, s12, -1
	s_delay_alu instid0(SALU_CYCLE_1) | instskip(NEXT) | instid1(SALU_CYCLE_1)
	s_and_b32 s16, s15, vcc_lo
	s_and_saveexec_b32 s15, s16
	s_cbranch_execz .LBB22_77
; %bb.76:
	v_ashrrev_i32_e32 v33, 31, v32
	s_delay_alu instid0(VALU_DEP_1)
	v_lshl_add_u64 v[38:39], v[32:33], 2, v[26:27]
	s_clause 0x1
	global_load_b32 v33, v[38:39], off
	global_load_b32 v36, v[26:27], off offset:12
	s_wait_loadcnt 0x1
	global_store_b32 v[26:27], v33, off offset:12
	s_wait_loadcnt 0x0
	global_store_b32 v[38:39], v36, off
.LBB22_77:
	s_wait_xcnt 0x0
	s_or_b32 exec_lo, exec_lo, s15
	v_dual_mov_b32 v38, v32 :: v_dual_mov_b32 v36, v32
.LBB22_78:
	s_or_b32 exec_lo, exec_lo, s1
.LBB22_79:
	s_and_not1_saveexec_b32 s0, s0
	s_cbranch_execz .LBB22_81
; %bb.80:
	v_dual_mov_b32 v32, v22 :: v_dual_mov_b32 v33, v23
	v_dual_mov_b32 v40, v18 :: v_dual_mov_b32 v41, v19
	;; [unrolled: 1-line block ×7, first 2 shown]
	v_mov_b32_e32 v51, v13
	ds_store_2addr_b64 v34, v[32:33], v[40:41] offset0:4 offset1:5
	ds_store_2addr_b64 v34, v[42:43], v[44:45] offset0:6 offset1:7
	;; [unrolled: 1-line block ×4, first 2 shown]
.LBB22_81:
	s_or_b32 exec_lo, exec_lo, s0
	s_delay_alu instid0(SALU_CYCLE_1)
	s_mov_b32 s0, exec_lo
	s_wait_storecnt_dscnt 0x0
	s_barrier_signal -1
	s_barrier_wait -1
	v_cmpx_lt_i32_e32 3, v38
	s_cbranch_execz .LBB22_83
; %bb.82:
	v_pk_mul_f32 v[32:33], v[30:31], v[4:5] op_sel:[1,1] op_sel_hi:[0,1]
	s_delay_alu instid0(VALU_DEP_1)
	v_pk_fma_f32 v[40:41], v[30:31], v[4:5], v[32:33] op_sel_hi:[1,0,1] neg_lo:[0,0,1] neg_hi:[0,0,1]
	v_pk_fma_f32 v[42:43], v[30:31], v[4:5], v[32:33] op_sel_hi:[1,0,1]
	ds_load_2addr_b64 v[30:33], v34 offset0:4 offset1:5
	v_dual_mov_b32 v4, v40 :: v_dual_mov_b32 v5, v43
	s_wait_dscnt 0x0
	v_pk_mul_f32 v[44:45], v[30:31], v[42:43] op_sel:[0,1]
	s_delay_alu instid0(VALU_DEP_1) | instskip(SKIP_1) | instid1(VALU_DEP_1)
	v_pk_fma_f32 v[46:47], v[30:31], v[40:41], v[44:45] op_sel:[0,0,1] op_sel_hi:[1,1,0] neg_lo:[0,0,1] neg_hi:[0,0,1]
	v_pk_fma_f32 v[30:31], v[30:31], v[40:41], v[44:45] op_sel:[0,0,1] op_sel_hi:[1,0,0]
	v_mov_b32_e32 v47, v31
	v_pk_mul_f32 v[30:31], v[32:33], v[42:43] op_sel:[0,1]
	s_delay_alu instid0(VALU_DEP_1) | instskip(SKIP_1) | instid1(VALU_DEP_1)
	v_pk_fma_f32 v[44:45], v[32:33], v[40:41], v[30:31] op_sel:[0,0,1] op_sel_hi:[1,1,0] neg_lo:[0,0,1] neg_hi:[0,0,1]
	v_pk_fma_f32 v[30:31], v[32:33], v[40:41], v[30:31] op_sel:[0,0,1] op_sel_hi:[1,0,0]
	v_mov_b32_e32 v45, v31
	ds_load_2addr_b64 v[30:33], v34 offset0:6 offset1:7
	v_pk_add_f32 v[22:23], v[22:23], v[46:47] neg_lo:[0,1] neg_hi:[0,1]
	v_pk_add_f32 v[18:19], v[18:19], v[44:45] neg_lo:[0,1] neg_hi:[0,1]
	s_wait_dscnt 0x0
	v_pk_mul_f32 v[44:45], v[30:31], v[42:43] op_sel:[0,1]
	s_delay_alu instid0(VALU_DEP_1) | instskip(SKIP_2) | instid1(VALU_DEP_2)
	v_pk_fma_f32 v[46:47], v[30:31], v[40:41], v[44:45] op_sel:[0,0,1] op_sel_hi:[1,1,0] neg_lo:[0,0,1] neg_hi:[0,0,1]
	v_pk_fma_f32 v[30:31], v[30:31], v[40:41], v[44:45] op_sel:[0,0,1] op_sel_hi:[1,0,0]
	v_dual_mul_f32 v44, v33, v43 :: v_dual_mov_b32 v30, v33
	v_dual_mov_b32 v47, v31 :: v_dual_mov_b32 v31, v32
	s_delay_alu instid0(VALU_DEP_2) | instskip(SKIP_1) | instid1(VALU_DEP_3)
	v_pk_fma_f32 v[44:45], v[32:33], v[4:5], v[44:45] op_sel_hi:[1,1,0] neg_lo:[0,0,1] neg_hi:[0,0,1]
	v_mul_f32_e32 v32, v33, v40
	v_pk_add_f32 v[20:21], v[20:21], v[46:47] neg_lo:[0,1] neg_hi:[0,1]
	s_delay_alu instid0(VALU_DEP_2) | instskip(NEXT) | instid1(VALU_DEP_1)
	v_pk_fma_f32 v[30:31], v[30:31], v[4:5], v[32:33] op_sel_hi:[1,1,0]
	v_mov_b32_e32 v45, v31
	ds_load_2addr_b64 v[30:33], v34 offset0:8 offset1:9
	v_pk_add_f32 v[6:7], v[6:7], v[44:45] neg_lo:[0,1] neg_hi:[0,1]
	s_wait_dscnt 0x0
	v_pk_mul_f32 v[44:45], v[30:31], v[42:43] op_sel:[0,1]
	s_delay_alu instid0(VALU_DEP_1) | instskip(SKIP_1) | instid1(VALU_DEP_1)
	v_pk_fma_f32 v[46:47], v[30:31], v[40:41], v[44:45] op_sel:[0,0,1] op_sel_hi:[1,1,0] neg_lo:[0,0,1] neg_hi:[0,0,1]
	v_pk_fma_f32 v[30:31], v[30:31], v[40:41], v[44:45] op_sel:[0,0,1] op_sel_hi:[1,0,0]
	v_mov_b32_e32 v47, v31
	v_pk_mul_f32 v[30:31], v[32:33], v[42:43] op_sel:[0,1]
	s_delay_alu instid0(VALU_DEP_1) | instskip(SKIP_1) | instid1(VALU_DEP_1)
	v_pk_fma_f32 v[44:45], v[32:33], v[40:41], v[30:31] op_sel:[0,0,1] op_sel_hi:[1,1,0] neg_lo:[0,0,1] neg_hi:[0,0,1]
	v_pk_fma_f32 v[30:31], v[32:33], v[40:41], v[30:31] op_sel:[0,0,1] op_sel_hi:[1,0,0]
	v_mov_b32_e32 v45, v31
	ds_load_2addr_b64 v[30:33], v34 offset0:10 offset1:11
	v_pk_add_f32 v[16:17], v[16:17], v[46:47] neg_lo:[0,1] neg_hi:[0,1]
	v_pk_add_f32 v[14:15], v[14:15], v[44:45] neg_lo:[0,1] neg_hi:[0,1]
	s_wait_dscnt 0x0
	v_pk_mul_f32 v[44:45], v[30:31], v[42:43] op_sel:[0,1]
	s_delay_alu instid0(VALU_DEP_1) | instskip(SKIP_1) | instid1(VALU_DEP_1)
	v_pk_fma_f32 v[46:47], v[30:31], v[40:41], v[44:45] op_sel:[0,0,1] op_sel_hi:[1,1,0] neg_lo:[0,0,1] neg_hi:[0,0,1]
	v_pk_fma_f32 v[30:31], v[30:31], v[40:41], v[44:45] op_sel:[0,0,1] op_sel_hi:[1,0,0]
	v_mov_b32_e32 v47, v31
	v_pk_mul_f32 v[30:31], v[32:33], v[42:43] op_sel:[0,1]
	s_delay_alu instid0(VALU_DEP_1) | instskip(SKIP_1) | instid1(VALU_DEP_1)
	v_pk_fma_f32 v[42:43], v[32:33], v[40:41], v[30:31] op_sel:[0,0,1] op_sel_hi:[1,1,0] neg_lo:[0,0,1] neg_hi:[0,0,1]
	v_pk_fma_f32 v[30:31], v[32:33], v[40:41], v[30:31] op_sel:[0,0,1] op_sel_hi:[1,0,0]
	v_mov_b32_e32 v43, v31
	v_pk_add_f32 v[12:13], v[12:13], v[46:47] neg_lo:[0,1] neg_hi:[0,1]
	s_delay_alu instid0(VALU_DEP_2)
	v_pk_add_f32 v[28:29], v[28:29], v[42:43] neg_lo:[0,1] neg_hi:[0,1]
.LBB22_83:
	s_or_b32 exec_lo, exec_lo, s0
	v_lshl_add_u32 v30, v38, 3, v34
	s_barrier_signal -1
	s_barrier_wait -1
	ds_store_b64 v30, v[22:23]
	s_wait_dscnt 0x0
	s_barrier_signal -1
	s_barrier_wait -1
	ds_load_b64 v[30:31], v34 offset:32
	v_mov_b32_e32 v32, 4
	s_cmp_lt_i32 s14, 6
	s_cbranch_scc1 .LBB22_86
; %bb.84:
	v_add3_u32 v33, v35, 0, 40
	v_mov_b32_e32 v32, 4
	s_mov_b32 s0, 5
.LBB22_85:                              ; =>This Inner Loop Header: Depth=1
	ds_load_b64 v[40:41], v33
	s_wait_dscnt 0x1
	v_cmp_gt_f32_e32 vcc_lo, 0, v30
	v_cndmask_b32_e64 v42, v30, -v30, vcc_lo
	v_cmp_gt_f32_e32 vcc_lo, 0, v31
	v_cndmask_b32_e64 v44, v31, -v31, vcc_lo
	s_wait_dscnt 0x0
	v_cmp_gt_f32_e32 vcc_lo, 0, v40
	v_cndmask_b32_e64 v43, v40, -v40, vcc_lo
	v_cmp_gt_f32_e32 vcc_lo, 0, v41
	v_cndmask_b32_e64 v45, v41, -v41, vcc_lo
	s_delay_alu instid0(VALU_DEP_1) | instskip(NEXT) | instid1(VALU_DEP_1)
	v_pk_add_f32 v[42:43], v[42:43], v[44:45]
	v_cmp_lt_f32_e32 vcc_lo, v42, v43
	v_dual_cndmask_b32 v30, v30, v40 :: v_dual_add_nc_u32 v33, 8, v33
	v_cndmask_b32_e32 v31, v31, v41, vcc_lo
	v_cndmask_b32_e64 v32, v32, s0, vcc_lo
	s_add_co_i32 s0, s0, 1
	s_delay_alu instid0(SALU_CYCLE_1)
	s_cmp_lg_u32 s14, s0
	s_cbranch_scc1 .LBB22_85
.LBB22_86:
	s_wait_dscnt 0x0
	v_cmp_eq_f32_e32 vcc_lo, 0, v30
	v_cmp_eq_f32_e64 s0, 0, v31
	s_and_b32 s0, vcc_lo, s0
	s_delay_alu instid0(SALU_CYCLE_1) | instskip(NEXT) | instid1(SALU_CYCLE_1)
	s_and_saveexec_b32 s1, s0
	s_xor_b32 s0, exec_lo, s1
; %bb.87:
	v_cmp_ne_u32_e32 vcc_lo, 0, v37
	v_cndmask_b32_e32 v37, 5, v37, vcc_lo
; %bb.88:
	s_and_not1_saveexec_b32 s0, s0
	s_cbranch_execz .LBB22_94
; %bb.89:
	v_cmp_ngt_f32_e64 s1, |v30|, |v31|
	s_and_saveexec_b32 s15, s1
	s_delay_alu instid0(SALU_CYCLE_1)
	s_xor_b32 s1, exec_lo, s15
	s_cbranch_execz .LBB22_91
; %bb.90:
	v_div_scale_f32 v33, null, v31, v31, v30
	v_div_scale_f32 v41, vcc_lo, v30, v31, v30
	s_delay_alu instid0(VALU_DEP_2) | instskip(SKIP_1) | instid1(TRANS32_DEP_1)
	v_rcp_f32_e32 v39, v33
	v_nop
	v_fma_f32 v40, -v33, v39, 1.0
	s_delay_alu instid0(VALU_DEP_1) | instskip(NEXT) | instid1(VALU_DEP_1)
	v_fmac_f32_e32 v39, v40, v39
	v_mul_f32_e32 v40, v41, v39
	s_delay_alu instid0(VALU_DEP_1) | instskip(NEXT) | instid1(VALU_DEP_1)
	v_fma_f32 v42, -v33, v40, v41
	v_fmac_f32_e32 v40, v42, v39
	s_delay_alu instid0(VALU_DEP_1) | instskip(NEXT) | instid1(VALU_DEP_1)
	v_fma_f32 v33, -v33, v40, v41
	v_div_fmas_f32 v33, v33, v39, v40
	s_delay_alu instid0(VALU_DEP_1) | instskip(NEXT) | instid1(VALU_DEP_1)
	v_div_fixup_f32 v33, v33, v31, v30
	v_fmac_f32_e32 v31, v30, v33
	s_delay_alu instid0(VALU_DEP_1) | instskip(SKIP_1) | instid1(VALU_DEP_2)
	v_div_scale_f32 v30, null, v31, v31, 1.0
	v_div_scale_f32 v41, vcc_lo, 1.0, v31, 1.0
	v_rcp_f32_e32 v39, v30
	v_nop
	s_delay_alu instid0(TRANS32_DEP_1) | instskip(NEXT) | instid1(VALU_DEP_1)
	v_fma_f32 v40, -v30, v39, 1.0
	v_fmac_f32_e32 v39, v40, v39
	s_delay_alu instid0(VALU_DEP_1) | instskip(NEXT) | instid1(VALU_DEP_1)
	v_mul_f32_e32 v40, v41, v39
	v_fma_f32 v42, -v30, v40, v41
	s_delay_alu instid0(VALU_DEP_1) | instskip(NEXT) | instid1(VALU_DEP_1)
	v_fmac_f32_e32 v40, v42, v39
	v_fma_f32 v30, -v30, v40, v41
	s_delay_alu instid0(VALU_DEP_1) | instskip(NEXT) | instid1(VALU_DEP_1)
	v_div_fmas_f32 v30, v30, v39, v40
	v_div_fixup_f32 v31, v30, v31, 1.0
	s_delay_alu instid0(VALU_DEP_1)
	v_mul_f32_e32 v30, v33, v31
	v_xor_b32_e32 v31, 0x80000000, v31
.LBB22_91:
	s_and_not1_saveexec_b32 s1, s1
	s_cbranch_execz .LBB22_93
; %bb.92:
	s_delay_alu instid0(VALU_DEP_1) | instskip(SKIP_1) | instid1(VALU_DEP_2)
	v_div_scale_f32 v33, null, v30, v30, v31
	v_div_scale_f32 v41, vcc_lo, v31, v30, v31
	v_rcp_f32_e32 v39, v33
	v_nop
	s_delay_alu instid0(TRANS32_DEP_1) | instskip(NEXT) | instid1(VALU_DEP_1)
	v_fma_f32 v40, -v33, v39, 1.0
	v_fmac_f32_e32 v39, v40, v39
	s_delay_alu instid0(VALU_DEP_1) | instskip(NEXT) | instid1(VALU_DEP_1)
	v_mul_f32_e32 v40, v41, v39
	v_fma_f32 v42, -v33, v40, v41
	s_delay_alu instid0(VALU_DEP_1) | instskip(NEXT) | instid1(VALU_DEP_1)
	v_fmac_f32_e32 v40, v42, v39
	v_fma_f32 v33, -v33, v40, v41
	s_delay_alu instid0(VALU_DEP_1) | instskip(NEXT) | instid1(VALU_DEP_1)
	v_div_fmas_f32 v33, v33, v39, v40
	v_div_fixup_f32 v33, v33, v30, v31
	s_delay_alu instid0(VALU_DEP_1) | instskip(NEXT) | instid1(VALU_DEP_1)
	v_fmac_f32_e32 v30, v31, v33
	v_div_scale_f32 v31, null, v30, v30, 1.0
	s_delay_alu instid0(VALU_DEP_1) | instskip(SKIP_1) | instid1(TRANS32_DEP_1)
	v_rcp_f32_e32 v39, v31
	v_nop
	v_fma_f32 v40, -v31, v39, 1.0
	s_delay_alu instid0(VALU_DEP_1) | instskip(SKIP_1) | instid1(VALU_DEP_1)
	v_fmac_f32_e32 v39, v40, v39
	v_div_scale_f32 v40, vcc_lo, 1.0, v30, 1.0
	v_mul_f32_e32 v41, v40, v39
	s_delay_alu instid0(VALU_DEP_1) | instskip(NEXT) | instid1(VALU_DEP_1)
	v_fma_f32 v42, -v31, v41, v40
	v_fmac_f32_e32 v41, v42, v39
	s_delay_alu instid0(VALU_DEP_1) | instskip(NEXT) | instid1(VALU_DEP_1)
	v_fma_f32 v31, -v31, v41, v40
	v_div_fmas_f32 v31, v31, v39, v41
	s_delay_alu instid0(VALU_DEP_1) | instskip(NEXT) | instid1(VALU_DEP_1)
	v_div_fixup_f32 v30, v31, v30, 1.0
	v_mul_f32_e64 v31, v33, -v30
.LBB22_93:
	s_or_b32 exec_lo, exec_lo, s1
.LBB22_94:
	s_delay_alu instid0(SALU_CYCLE_1) | instskip(NEXT) | instid1(SALU_CYCLE_1)
	s_or_b32 exec_lo, exec_lo, s0
	s_mov_b32 s0, exec_lo
	v_cmpx_ne_u32_e64 v38, v32
	s_xor_b32 s0, exec_lo, s0
	s_cbranch_execz .LBB22_100
; %bb.95:
	s_mov_b32 s1, exec_lo
	v_cmpx_eq_u32_e32 4, v38
	s_cbranch_execz .LBB22_99
; %bb.96:
	v_cmp_ne_u32_e32 vcc_lo, 4, v32
	s_xor_b32 s15, s12, -1
	s_delay_alu instid0(SALU_CYCLE_1) | instskip(NEXT) | instid1(SALU_CYCLE_1)
	s_and_b32 s16, s15, vcc_lo
	s_and_saveexec_b32 s15, s16
	s_cbranch_execz .LBB22_98
; %bb.97:
	v_ashrrev_i32_e32 v33, 31, v32
	s_delay_alu instid0(VALU_DEP_1)
	v_lshl_add_u64 v[38:39], v[32:33], 2, v[26:27]
	s_clause 0x1
	global_load_b32 v33, v[38:39], off
	global_load_b32 v36, v[26:27], off offset:16
	s_wait_loadcnt 0x1
	global_store_b32 v[26:27], v33, off offset:16
	s_wait_loadcnt 0x0
	global_store_b32 v[38:39], v36, off
.LBB22_98:
	s_wait_xcnt 0x0
	s_or_b32 exec_lo, exec_lo, s15
	v_dual_mov_b32 v38, v32 :: v_dual_mov_b32 v36, v32
.LBB22_99:
	s_or_b32 exec_lo, exec_lo, s1
.LBB22_100:
	s_and_not1_saveexec_b32 s0, s0
	s_cbranch_execz .LBB22_102
; %bb.101:
	v_mov_b32_e32 v38, 4
	ds_store_2addr_b64 v34, v[18:19], v[20:21] offset0:5 offset1:6
	ds_store_2addr_b64 v34, v[6:7], v[16:17] offset0:7 offset1:8
	;; [unrolled: 1-line block ×3, first 2 shown]
	ds_store_b64 v34, v[28:29] offset:88
.LBB22_102:
	s_or_b32 exec_lo, exec_lo, s0
	s_delay_alu instid0(SALU_CYCLE_1)
	s_mov_b32 s0, exec_lo
	s_wait_storecnt_dscnt 0x0
	s_barrier_signal -1
	s_barrier_wait -1
	v_cmpx_lt_i32_e32 4, v38
	s_cbranch_execz .LBB22_104
; %bb.103:
	v_pk_mul_f32 v[32:33], v[30:31], v[22:23] op_sel:[1,1] op_sel_hi:[0,1]
	s_delay_alu instid0(VALU_DEP_1)
	v_pk_fma_f32 v[40:41], v[30:31], v[22:23], v[32:33] op_sel_hi:[1,0,1] neg_lo:[0,0,1] neg_hi:[0,0,1]
	v_pk_fma_f32 v[42:43], v[30:31], v[22:23], v[32:33] op_sel_hi:[1,0,1]
	ds_load_2addr_b64 v[30:33], v34 offset0:5 offset1:6
	v_dual_mov_b32 v22, v40 :: v_dual_mov_b32 v23, v43
	s_wait_dscnt 0x0
	v_pk_mul_f32 v[44:45], v[30:31], v[42:43] op_sel:[0,1]
	s_delay_alu instid0(VALU_DEP_1) | instskip(SKIP_1) | instid1(VALU_DEP_1)
	v_pk_fma_f32 v[46:47], v[30:31], v[40:41], v[44:45] op_sel:[0,0,1] op_sel_hi:[1,1,0] neg_lo:[0,0,1] neg_hi:[0,0,1]
	v_pk_fma_f32 v[30:31], v[30:31], v[40:41], v[44:45] op_sel:[0,0,1] op_sel_hi:[1,0,0]
	v_mov_b32_e32 v47, v31
	v_pk_mul_f32 v[30:31], v[32:33], v[42:43] op_sel:[0,1]
	s_delay_alu instid0(VALU_DEP_1) | instskip(SKIP_1) | instid1(VALU_DEP_1)
	v_pk_fma_f32 v[44:45], v[32:33], v[40:41], v[30:31] op_sel:[0,0,1] op_sel_hi:[1,1,0] neg_lo:[0,0,1] neg_hi:[0,0,1]
	v_pk_fma_f32 v[30:31], v[32:33], v[40:41], v[30:31] op_sel:[0,0,1] op_sel_hi:[1,0,0]
	v_mov_b32_e32 v45, v31
	ds_load_2addr_b64 v[30:33], v34 offset0:7 offset1:8
	v_pk_add_f32 v[18:19], v[18:19], v[46:47] neg_lo:[0,1] neg_hi:[0,1]
	v_pk_add_f32 v[20:21], v[20:21], v[44:45] neg_lo:[0,1] neg_hi:[0,1]
	s_wait_dscnt 0x0
	v_pk_mul_f32 v[44:45], v[30:31], v[42:43] op_sel:[0,1]
	s_delay_alu instid0(VALU_DEP_1) | instskip(SKIP_2) | instid1(VALU_DEP_2)
	v_pk_fma_f32 v[46:47], v[30:31], v[40:41], v[44:45] op_sel:[0,0,1] op_sel_hi:[1,1,0] neg_lo:[0,0,1] neg_hi:[0,0,1]
	v_pk_fma_f32 v[30:31], v[30:31], v[40:41], v[44:45] op_sel:[0,0,1] op_sel_hi:[1,0,0]
	v_dual_mul_f32 v44, v33, v43 :: v_dual_mov_b32 v30, v33
	v_dual_mov_b32 v47, v31 :: v_dual_mov_b32 v31, v32
	s_delay_alu instid0(VALU_DEP_2) | instskip(SKIP_1) | instid1(VALU_DEP_3)
	v_pk_fma_f32 v[44:45], v[32:33], v[22:23], v[44:45] op_sel_hi:[1,1,0] neg_lo:[0,0,1] neg_hi:[0,0,1]
	v_mul_f32_e32 v32, v33, v40
	v_pk_add_f32 v[6:7], v[6:7], v[46:47] neg_lo:[0,1] neg_hi:[0,1]
	s_delay_alu instid0(VALU_DEP_2) | instskip(NEXT) | instid1(VALU_DEP_1)
	v_pk_fma_f32 v[30:31], v[30:31], v[22:23], v[32:33] op_sel_hi:[1,1,0]
	v_mov_b32_e32 v45, v31
	ds_load_2addr_b64 v[30:33], v34 offset0:9 offset1:10
	v_pk_add_f32 v[16:17], v[16:17], v[44:45] neg_lo:[0,1] neg_hi:[0,1]
	s_wait_dscnt 0x0
	v_pk_mul_f32 v[44:45], v[30:31], v[42:43] op_sel:[0,1]
	s_delay_alu instid0(VALU_DEP_1) | instskip(SKIP_1) | instid1(VALU_DEP_1)
	v_pk_fma_f32 v[46:47], v[30:31], v[40:41], v[44:45] op_sel:[0,0,1] op_sel_hi:[1,1,0] neg_lo:[0,0,1] neg_hi:[0,0,1]
	v_pk_fma_f32 v[30:31], v[30:31], v[40:41], v[44:45] op_sel:[0,0,1] op_sel_hi:[1,0,0]
	v_mov_b32_e32 v47, v31
	v_pk_mul_f32 v[30:31], v[32:33], v[42:43] op_sel:[0,1]
	s_delay_alu instid0(VALU_DEP_1) | instskip(SKIP_1) | instid1(VALU_DEP_1)
	v_pk_fma_f32 v[44:45], v[32:33], v[40:41], v[30:31] op_sel:[0,0,1] op_sel_hi:[1,1,0] neg_lo:[0,0,1] neg_hi:[0,0,1]
	v_pk_fma_f32 v[30:31], v[32:33], v[40:41], v[30:31] op_sel:[0,0,1] op_sel_hi:[1,0,0]
	v_mov_b32_e32 v45, v31
	ds_load_b64 v[30:31], v34 offset:88
	v_pk_add_f32 v[14:15], v[14:15], v[46:47] neg_lo:[0,1] neg_hi:[0,1]
	v_pk_add_f32 v[12:13], v[12:13], v[44:45] neg_lo:[0,1] neg_hi:[0,1]
	s_wait_dscnt 0x0
	v_pk_mul_f32 v[32:33], v[30:31], v[42:43] op_sel:[0,1]
	s_delay_alu instid0(VALU_DEP_1) | instskip(SKIP_1) | instid1(VALU_DEP_1)
	v_pk_fma_f32 v[42:43], v[30:31], v[40:41], v[32:33] op_sel:[0,0,1] op_sel_hi:[1,1,0] neg_lo:[0,0,1] neg_hi:[0,0,1]
	v_pk_fma_f32 v[30:31], v[30:31], v[40:41], v[32:33] op_sel:[0,0,1] op_sel_hi:[1,0,0]
	v_mov_b32_e32 v43, v31
	s_delay_alu instid0(VALU_DEP_1)
	v_pk_add_f32 v[28:29], v[28:29], v[42:43] neg_lo:[0,1] neg_hi:[0,1]
.LBB22_104:
	s_or_b32 exec_lo, exec_lo, s0
	v_lshl_add_u32 v30, v38, 3, v34
	s_barrier_signal -1
	s_barrier_wait -1
	ds_store_b64 v30, v[18:19]
	s_wait_dscnt 0x0
	s_barrier_signal -1
	s_barrier_wait -1
	ds_load_b64 v[30:31], v34 offset:40
	v_mov_b32_e32 v32, 5
	s_cmp_lt_i32 s14, 7
	s_cbranch_scc1 .LBB22_107
; %bb.105:
	v_add3_u32 v33, v35, 0, 48
	v_mov_b32_e32 v32, 5
	s_mov_b32 s0, 6
.LBB22_106:                             ; =>This Inner Loop Header: Depth=1
	ds_load_b64 v[40:41], v33
	s_wait_dscnt 0x1
	v_cmp_gt_f32_e32 vcc_lo, 0, v30
	v_cndmask_b32_e64 v42, v30, -v30, vcc_lo
	v_cmp_gt_f32_e32 vcc_lo, 0, v31
	v_cndmask_b32_e64 v44, v31, -v31, vcc_lo
	s_wait_dscnt 0x0
	v_cmp_gt_f32_e32 vcc_lo, 0, v40
	v_cndmask_b32_e64 v43, v40, -v40, vcc_lo
	v_cmp_gt_f32_e32 vcc_lo, 0, v41
	v_cndmask_b32_e64 v45, v41, -v41, vcc_lo
	s_delay_alu instid0(VALU_DEP_1) | instskip(NEXT) | instid1(VALU_DEP_1)
	v_pk_add_f32 v[42:43], v[42:43], v[44:45]
	v_cmp_lt_f32_e32 vcc_lo, v42, v43
	v_dual_cndmask_b32 v30, v30, v40 :: v_dual_add_nc_u32 v33, 8, v33
	v_cndmask_b32_e32 v31, v31, v41, vcc_lo
	v_cndmask_b32_e64 v32, v32, s0, vcc_lo
	s_add_co_i32 s0, s0, 1
	s_delay_alu instid0(SALU_CYCLE_1)
	s_cmp_lg_u32 s14, s0
	s_cbranch_scc1 .LBB22_106
.LBB22_107:
	s_wait_dscnt 0x0
	v_cmp_eq_f32_e32 vcc_lo, 0, v30
	v_cmp_eq_f32_e64 s0, 0, v31
	s_and_b32 s0, vcc_lo, s0
	s_delay_alu instid0(SALU_CYCLE_1) | instskip(NEXT) | instid1(SALU_CYCLE_1)
	s_and_saveexec_b32 s1, s0
	s_xor_b32 s0, exec_lo, s1
; %bb.108:
	v_cmp_ne_u32_e32 vcc_lo, 0, v37
	v_cndmask_b32_e32 v37, 6, v37, vcc_lo
; %bb.109:
	s_and_not1_saveexec_b32 s0, s0
	s_cbranch_execz .LBB22_115
; %bb.110:
	v_cmp_ngt_f32_e64 s1, |v30|, |v31|
	s_and_saveexec_b32 s15, s1
	s_delay_alu instid0(SALU_CYCLE_1)
	s_xor_b32 s1, exec_lo, s15
	s_cbranch_execz .LBB22_112
; %bb.111:
	v_div_scale_f32 v33, null, v31, v31, v30
	v_div_scale_f32 v41, vcc_lo, v30, v31, v30
	s_delay_alu instid0(VALU_DEP_2) | instskip(SKIP_1) | instid1(TRANS32_DEP_1)
	v_rcp_f32_e32 v39, v33
	v_nop
	v_fma_f32 v40, -v33, v39, 1.0
	s_delay_alu instid0(VALU_DEP_1) | instskip(NEXT) | instid1(VALU_DEP_1)
	v_fmac_f32_e32 v39, v40, v39
	v_mul_f32_e32 v40, v41, v39
	s_delay_alu instid0(VALU_DEP_1) | instskip(NEXT) | instid1(VALU_DEP_1)
	v_fma_f32 v42, -v33, v40, v41
	v_fmac_f32_e32 v40, v42, v39
	s_delay_alu instid0(VALU_DEP_1) | instskip(NEXT) | instid1(VALU_DEP_1)
	v_fma_f32 v33, -v33, v40, v41
	v_div_fmas_f32 v33, v33, v39, v40
	s_delay_alu instid0(VALU_DEP_1) | instskip(NEXT) | instid1(VALU_DEP_1)
	v_div_fixup_f32 v33, v33, v31, v30
	v_fmac_f32_e32 v31, v30, v33
	s_delay_alu instid0(VALU_DEP_1) | instskip(SKIP_1) | instid1(VALU_DEP_2)
	v_div_scale_f32 v30, null, v31, v31, 1.0
	v_div_scale_f32 v41, vcc_lo, 1.0, v31, 1.0
	v_rcp_f32_e32 v39, v30
	v_nop
	s_delay_alu instid0(TRANS32_DEP_1) | instskip(NEXT) | instid1(VALU_DEP_1)
	v_fma_f32 v40, -v30, v39, 1.0
	v_fmac_f32_e32 v39, v40, v39
	s_delay_alu instid0(VALU_DEP_1) | instskip(NEXT) | instid1(VALU_DEP_1)
	v_mul_f32_e32 v40, v41, v39
	v_fma_f32 v42, -v30, v40, v41
	s_delay_alu instid0(VALU_DEP_1) | instskip(NEXT) | instid1(VALU_DEP_1)
	v_fmac_f32_e32 v40, v42, v39
	v_fma_f32 v30, -v30, v40, v41
	s_delay_alu instid0(VALU_DEP_1) | instskip(NEXT) | instid1(VALU_DEP_1)
	v_div_fmas_f32 v30, v30, v39, v40
	v_div_fixup_f32 v31, v30, v31, 1.0
	s_delay_alu instid0(VALU_DEP_1)
	v_mul_f32_e32 v30, v33, v31
	v_xor_b32_e32 v31, 0x80000000, v31
.LBB22_112:
	s_and_not1_saveexec_b32 s1, s1
	s_cbranch_execz .LBB22_114
; %bb.113:
	s_delay_alu instid0(VALU_DEP_1) | instskip(SKIP_1) | instid1(VALU_DEP_2)
	v_div_scale_f32 v33, null, v30, v30, v31
	v_div_scale_f32 v41, vcc_lo, v31, v30, v31
	v_rcp_f32_e32 v39, v33
	v_nop
	s_delay_alu instid0(TRANS32_DEP_1) | instskip(NEXT) | instid1(VALU_DEP_1)
	v_fma_f32 v40, -v33, v39, 1.0
	v_fmac_f32_e32 v39, v40, v39
	s_delay_alu instid0(VALU_DEP_1) | instskip(NEXT) | instid1(VALU_DEP_1)
	v_mul_f32_e32 v40, v41, v39
	v_fma_f32 v42, -v33, v40, v41
	s_delay_alu instid0(VALU_DEP_1) | instskip(NEXT) | instid1(VALU_DEP_1)
	v_fmac_f32_e32 v40, v42, v39
	v_fma_f32 v33, -v33, v40, v41
	s_delay_alu instid0(VALU_DEP_1) | instskip(NEXT) | instid1(VALU_DEP_1)
	v_div_fmas_f32 v33, v33, v39, v40
	v_div_fixup_f32 v33, v33, v30, v31
	s_delay_alu instid0(VALU_DEP_1) | instskip(NEXT) | instid1(VALU_DEP_1)
	v_fmac_f32_e32 v30, v31, v33
	v_div_scale_f32 v31, null, v30, v30, 1.0
	s_delay_alu instid0(VALU_DEP_1) | instskip(SKIP_1) | instid1(TRANS32_DEP_1)
	v_rcp_f32_e32 v39, v31
	v_nop
	v_fma_f32 v40, -v31, v39, 1.0
	s_delay_alu instid0(VALU_DEP_1) | instskip(SKIP_1) | instid1(VALU_DEP_1)
	v_fmac_f32_e32 v39, v40, v39
	v_div_scale_f32 v40, vcc_lo, 1.0, v30, 1.0
	v_mul_f32_e32 v41, v40, v39
	s_delay_alu instid0(VALU_DEP_1) | instskip(NEXT) | instid1(VALU_DEP_1)
	v_fma_f32 v42, -v31, v41, v40
	v_fmac_f32_e32 v41, v42, v39
	s_delay_alu instid0(VALU_DEP_1) | instskip(NEXT) | instid1(VALU_DEP_1)
	v_fma_f32 v31, -v31, v41, v40
	v_div_fmas_f32 v31, v31, v39, v41
	s_delay_alu instid0(VALU_DEP_1) | instskip(NEXT) | instid1(VALU_DEP_1)
	v_div_fixup_f32 v30, v31, v30, 1.0
	v_mul_f32_e64 v31, v33, -v30
.LBB22_114:
	s_or_b32 exec_lo, exec_lo, s1
.LBB22_115:
	s_delay_alu instid0(SALU_CYCLE_1) | instskip(NEXT) | instid1(SALU_CYCLE_1)
	s_or_b32 exec_lo, exec_lo, s0
	s_mov_b32 s0, exec_lo
	v_cmpx_ne_u32_e64 v38, v32
	s_xor_b32 s0, exec_lo, s0
	s_cbranch_execz .LBB22_121
; %bb.116:
	s_mov_b32 s1, exec_lo
	v_cmpx_eq_u32_e32 5, v38
	s_cbranch_execz .LBB22_120
; %bb.117:
	v_cmp_ne_u32_e32 vcc_lo, 5, v32
	s_xor_b32 s15, s12, -1
	s_delay_alu instid0(SALU_CYCLE_1) | instskip(NEXT) | instid1(SALU_CYCLE_1)
	s_and_b32 s16, s15, vcc_lo
	s_and_saveexec_b32 s15, s16
	s_cbranch_execz .LBB22_119
; %bb.118:
	v_ashrrev_i32_e32 v33, 31, v32
	s_delay_alu instid0(VALU_DEP_1)
	v_lshl_add_u64 v[38:39], v[32:33], 2, v[26:27]
	s_clause 0x1
	global_load_b32 v33, v[38:39], off
	global_load_b32 v36, v[26:27], off offset:20
	s_wait_loadcnt 0x1
	global_store_b32 v[26:27], v33, off offset:20
	s_wait_loadcnt 0x0
	global_store_b32 v[38:39], v36, off
.LBB22_119:
	s_wait_xcnt 0x0
	s_or_b32 exec_lo, exec_lo, s15
	v_dual_mov_b32 v38, v32 :: v_dual_mov_b32 v36, v32
.LBB22_120:
	s_or_b32 exec_lo, exec_lo, s1
.LBB22_121:
	s_and_not1_saveexec_b32 s0, s0
	s_cbranch_execz .LBB22_123
; %bb.122:
	v_dual_mov_b32 v32, v20 :: v_dual_mov_b32 v33, v21
	v_dual_mov_b32 v40, v6 :: v_dual_mov_b32 v41, v7
	v_dual_mov_b32 v38, 5 :: v_dual_mov_b32 v42, v16
	v_dual_mov_b32 v43, v17 :: v_dual_mov_b32 v44, v14
	v_dual_mov_b32 v45, v15 :: v_dual_mov_b32 v46, v12
	v_mov_b32_e32 v47, v13
	ds_store_2addr_b64 v34, v[32:33], v[40:41] offset0:6 offset1:7
	ds_store_2addr_b64 v34, v[42:43], v[44:45] offset0:8 offset1:9
	;; [unrolled: 1-line block ×3, first 2 shown]
.LBB22_123:
	s_or_b32 exec_lo, exec_lo, s0
	s_delay_alu instid0(SALU_CYCLE_1)
	s_mov_b32 s0, exec_lo
	s_wait_storecnt_dscnt 0x0
	s_barrier_signal -1
	s_barrier_wait -1
	v_cmpx_lt_i32_e32 5, v38
	s_cbranch_execz .LBB22_125
; %bb.124:
	v_pk_mul_f32 v[32:33], v[30:31], v[18:19] op_sel:[1,1] op_sel_hi:[0,1]
	s_delay_alu instid0(VALU_DEP_1)
	v_pk_fma_f32 v[40:41], v[30:31], v[18:19], v[32:33] op_sel_hi:[1,0,1] neg_lo:[0,0,1] neg_hi:[0,0,1]
	v_pk_fma_f32 v[42:43], v[30:31], v[18:19], v[32:33] op_sel_hi:[1,0,1]
	ds_load_2addr_b64 v[30:33], v34 offset0:6 offset1:7
	v_dual_mov_b32 v18, v40 :: v_dual_mov_b32 v19, v43
	s_wait_dscnt 0x0
	v_pk_mul_f32 v[44:45], v[30:31], v[42:43] op_sel:[0,1]
	s_delay_alu instid0(VALU_DEP_1) | instskip(SKIP_1) | instid1(VALU_DEP_1)
	v_pk_fma_f32 v[46:47], v[30:31], v[40:41], v[44:45] op_sel:[0,0,1] op_sel_hi:[1,1,0] neg_lo:[0,0,1] neg_hi:[0,0,1]
	v_pk_fma_f32 v[30:31], v[30:31], v[40:41], v[44:45] op_sel:[0,0,1] op_sel_hi:[1,0,0]
	v_mov_b32_e32 v47, v31
	v_pk_mul_f32 v[30:31], v[32:33], v[42:43] op_sel:[0,1]
	s_delay_alu instid0(VALU_DEP_1) | instskip(SKIP_1) | instid1(VALU_DEP_1)
	v_pk_fma_f32 v[44:45], v[32:33], v[40:41], v[30:31] op_sel:[0,0,1] op_sel_hi:[1,1,0] neg_lo:[0,0,1] neg_hi:[0,0,1]
	v_pk_fma_f32 v[30:31], v[32:33], v[40:41], v[30:31] op_sel:[0,0,1] op_sel_hi:[1,0,0]
	v_mov_b32_e32 v45, v31
	ds_load_2addr_b64 v[30:33], v34 offset0:8 offset1:9
	v_pk_add_f32 v[20:21], v[20:21], v[46:47] neg_lo:[0,1] neg_hi:[0,1]
	v_pk_add_f32 v[6:7], v[6:7], v[44:45] neg_lo:[0,1] neg_hi:[0,1]
	s_wait_dscnt 0x0
	v_pk_mul_f32 v[44:45], v[30:31], v[42:43] op_sel:[0,1]
	s_delay_alu instid0(VALU_DEP_1) | instskip(SKIP_2) | instid1(VALU_DEP_2)
	v_pk_fma_f32 v[46:47], v[30:31], v[40:41], v[44:45] op_sel:[0,0,1] op_sel_hi:[1,1,0] neg_lo:[0,0,1] neg_hi:[0,0,1]
	v_pk_fma_f32 v[30:31], v[30:31], v[40:41], v[44:45] op_sel:[0,0,1] op_sel_hi:[1,0,0]
	v_dual_mul_f32 v44, v33, v43 :: v_dual_mov_b32 v30, v33
	v_dual_mov_b32 v47, v31 :: v_dual_mov_b32 v31, v32
	s_delay_alu instid0(VALU_DEP_2) | instskip(SKIP_1) | instid1(VALU_DEP_3)
	v_pk_fma_f32 v[44:45], v[32:33], v[18:19], v[44:45] op_sel_hi:[1,1,0] neg_lo:[0,0,1] neg_hi:[0,0,1]
	v_mul_f32_e32 v32, v33, v40
	v_pk_add_f32 v[16:17], v[16:17], v[46:47] neg_lo:[0,1] neg_hi:[0,1]
	s_delay_alu instid0(VALU_DEP_2) | instskip(NEXT) | instid1(VALU_DEP_1)
	v_pk_fma_f32 v[30:31], v[30:31], v[18:19], v[32:33] op_sel_hi:[1,1,0]
	v_mov_b32_e32 v45, v31
	ds_load_2addr_b64 v[30:33], v34 offset0:10 offset1:11
	v_pk_add_f32 v[14:15], v[14:15], v[44:45] neg_lo:[0,1] neg_hi:[0,1]
	s_wait_dscnt 0x0
	v_pk_mul_f32 v[44:45], v[30:31], v[42:43] op_sel:[0,1]
	v_mul_f32_e32 v42, v33, v43
	s_delay_alu instid0(VALU_DEP_2) | instskip(SKIP_2) | instid1(VALU_DEP_4)
	v_pk_fma_f32 v[46:47], v[30:31], v[40:41], v[44:45] op_sel:[0,0,1] op_sel_hi:[1,1,0] neg_lo:[0,0,1] neg_hi:[0,0,1]
	v_pk_fma_f32 v[30:31], v[30:31], v[40:41], v[44:45] op_sel:[0,0,1] op_sel_hi:[1,0,0]
	v_mov_b32_e32 v30, v33
	v_pk_fma_f32 v[42:43], v[32:33], v[18:19], v[42:43] op_sel_hi:[1,1,0] neg_lo:[0,0,1] neg_hi:[0,0,1]
	s_delay_alu instid0(VALU_DEP_3) | instskip(SKIP_1) | instid1(VALU_DEP_2)
	v_dual_mov_b32 v47, v31 :: v_dual_mov_b32 v31, v32
	v_mul_f32_e32 v32, v33, v40
	v_pk_add_f32 v[12:13], v[12:13], v[46:47] neg_lo:[0,1] neg_hi:[0,1]
	s_delay_alu instid0(VALU_DEP_2) | instskip(NEXT) | instid1(VALU_DEP_1)
	v_pk_fma_f32 v[30:31], v[30:31], v[18:19], v[32:33] op_sel_hi:[1,1,0]
	v_mov_b32_e32 v43, v31
	s_delay_alu instid0(VALU_DEP_1)
	v_pk_add_f32 v[28:29], v[28:29], v[42:43] neg_lo:[0,1] neg_hi:[0,1]
.LBB22_125:
	s_or_b32 exec_lo, exec_lo, s0
	v_lshl_add_u32 v30, v38, 3, v34
	s_barrier_signal -1
	s_barrier_wait -1
	ds_store_b64 v30, v[20:21]
	s_wait_dscnt 0x0
	s_barrier_signal -1
	s_barrier_wait -1
	ds_load_b64 v[30:31], v34 offset:48
	v_mov_b32_e32 v32, 6
	s_cmp_lt_i32 s14, 8
	s_cbranch_scc1 .LBB22_128
; %bb.126:
	v_add3_u32 v33, v35, 0, 56
	v_mov_b32_e32 v32, 6
	s_mov_b32 s0, 7
.LBB22_127:                             ; =>This Inner Loop Header: Depth=1
	ds_load_b64 v[40:41], v33
	s_wait_dscnt 0x1
	v_cmp_gt_f32_e32 vcc_lo, 0, v30
	v_cndmask_b32_e64 v42, v30, -v30, vcc_lo
	v_cmp_gt_f32_e32 vcc_lo, 0, v31
	v_cndmask_b32_e64 v44, v31, -v31, vcc_lo
	s_wait_dscnt 0x0
	v_cmp_gt_f32_e32 vcc_lo, 0, v40
	v_cndmask_b32_e64 v43, v40, -v40, vcc_lo
	v_cmp_gt_f32_e32 vcc_lo, 0, v41
	v_cndmask_b32_e64 v45, v41, -v41, vcc_lo
	s_delay_alu instid0(VALU_DEP_1) | instskip(NEXT) | instid1(VALU_DEP_1)
	v_pk_add_f32 v[42:43], v[42:43], v[44:45]
	v_cmp_lt_f32_e32 vcc_lo, v42, v43
	v_dual_cndmask_b32 v30, v30, v40 :: v_dual_add_nc_u32 v33, 8, v33
	v_cndmask_b32_e32 v31, v31, v41, vcc_lo
	v_cndmask_b32_e64 v32, v32, s0, vcc_lo
	s_add_co_i32 s0, s0, 1
	s_delay_alu instid0(SALU_CYCLE_1)
	s_cmp_lg_u32 s14, s0
	s_cbranch_scc1 .LBB22_127
.LBB22_128:
	s_wait_dscnt 0x0
	v_cmp_eq_f32_e32 vcc_lo, 0, v30
	v_cmp_eq_f32_e64 s0, 0, v31
	s_and_b32 s0, vcc_lo, s0
	s_delay_alu instid0(SALU_CYCLE_1) | instskip(NEXT) | instid1(SALU_CYCLE_1)
	s_and_saveexec_b32 s1, s0
	s_xor_b32 s0, exec_lo, s1
; %bb.129:
	v_cmp_ne_u32_e32 vcc_lo, 0, v37
	v_cndmask_b32_e32 v37, 7, v37, vcc_lo
; %bb.130:
	s_and_not1_saveexec_b32 s0, s0
	s_cbranch_execz .LBB22_136
; %bb.131:
	v_cmp_ngt_f32_e64 s1, |v30|, |v31|
	s_and_saveexec_b32 s15, s1
	s_delay_alu instid0(SALU_CYCLE_1)
	s_xor_b32 s1, exec_lo, s15
	s_cbranch_execz .LBB22_133
; %bb.132:
	v_div_scale_f32 v33, null, v31, v31, v30
	v_div_scale_f32 v41, vcc_lo, v30, v31, v30
	s_delay_alu instid0(VALU_DEP_2) | instskip(SKIP_1) | instid1(TRANS32_DEP_1)
	v_rcp_f32_e32 v39, v33
	v_nop
	v_fma_f32 v40, -v33, v39, 1.0
	s_delay_alu instid0(VALU_DEP_1) | instskip(NEXT) | instid1(VALU_DEP_1)
	v_fmac_f32_e32 v39, v40, v39
	v_mul_f32_e32 v40, v41, v39
	s_delay_alu instid0(VALU_DEP_1) | instskip(NEXT) | instid1(VALU_DEP_1)
	v_fma_f32 v42, -v33, v40, v41
	v_fmac_f32_e32 v40, v42, v39
	s_delay_alu instid0(VALU_DEP_1) | instskip(NEXT) | instid1(VALU_DEP_1)
	v_fma_f32 v33, -v33, v40, v41
	v_div_fmas_f32 v33, v33, v39, v40
	s_delay_alu instid0(VALU_DEP_1) | instskip(NEXT) | instid1(VALU_DEP_1)
	v_div_fixup_f32 v33, v33, v31, v30
	v_fmac_f32_e32 v31, v30, v33
	s_delay_alu instid0(VALU_DEP_1) | instskip(SKIP_1) | instid1(VALU_DEP_2)
	v_div_scale_f32 v30, null, v31, v31, 1.0
	v_div_scale_f32 v41, vcc_lo, 1.0, v31, 1.0
	v_rcp_f32_e32 v39, v30
	v_nop
	s_delay_alu instid0(TRANS32_DEP_1) | instskip(NEXT) | instid1(VALU_DEP_1)
	v_fma_f32 v40, -v30, v39, 1.0
	v_fmac_f32_e32 v39, v40, v39
	s_delay_alu instid0(VALU_DEP_1) | instskip(NEXT) | instid1(VALU_DEP_1)
	v_mul_f32_e32 v40, v41, v39
	v_fma_f32 v42, -v30, v40, v41
	s_delay_alu instid0(VALU_DEP_1) | instskip(NEXT) | instid1(VALU_DEP_1)
	v_fmac_f32_e32 v40, v42, v39
	v_fma_f32 v30, -v30, v40, v41
	s_delay_alu instid0(VALU_DEP_1) | instskip(NEXT) | instid1(VALU_DEP_1)
	v_div_fmas_f32 v30, v30, v39, v40
	v_div_fixup_f32 v31, v30, v31, 1.0
	s_delay_alu instid0(VALU_DEP_1)
	v_mul_f32_e32 v30, v33, v31
	v_xor_b32_e32 v31, 0x80000000, v31
.LBB22_133:
	s_and_not1_saveexec_b32 s1, s1
	s_cbranch_execz .LBB22_135
; %bb.134:
	s_delay_alu instid0(VALU_DEP_1) | instskip(SKIP_1) | instid1(VALU_DEP_2)
	v_div_scale_f32 v33, null, v30, v30, v31
	v_div_scale_f32 v41, vcc_lo, v31, v30, v31
	v_rcp_f32_e32 v39, v33
	v_nop
	s_delay_alu instid0(TRANS32_DEP_1) | instskip(NEXT) | instid1(VALU_DEP_1)
	v_fma_f32 v40, -v33, v39, 1.0
	v_fmac_f32_e32 v39, v40, v39
	s_delay_alu instid0(VALU_DEP_1) | instskip(NEXT) | instid1(VALU_DEP_1)
	v_mul_f32_e32 v40, v41, v39
	v_fma_f32 v42, -v33, v40, v41
	s_delay_alu instid0(VALU_DEP_1) | instskip(NEXT) | instid1(VALU_DEP_1)
	v_fmac_f32_e32 v40, v42, v39
	v_fma_f32 v33, -v33, v40, v41
	s_delay_alu instid0(VALU_DEP_1) | instskip(NEXT) | instid1(VALU_DEP_1)
	v_div_fmas_f32 v33, v33, v39, v40
	v_div_fixup_f32 v33, v33, v30, v31
	s_delay_alu instid0(VALU_DEP_1) | instskip(NEXT) | instid1(VALU_DEP_1)
	v_fmac_f32_e32 v30, v31, v33
	v_div_scale_f32 v31, null, v30, v30, 1.0
	s_delay_alu instid0(VALU_DEP_1) | instskip(SKIP_1) | instid1(TRANS32_DEP_1)
	v_rcp_f32_e32 v39, v31
	v_nop
	v_fma_f32 v40, -v31, v39, 1.0
	s_delay_alu instid0(VALU_DEP_1) | instskip(SKIP_1) | instid1(VALU_DEP_1)
	v_fmac_f32_e32 v39, v40, v39
	v_div_scale_f32 v40, vcc_lo, 1.0, v30, 1.0
	v_mul_f32_e32 v41, v40, v39
	s_delay_alu instid0(VALU_DEP_1) | instskip(NEXT) | instid1(VALU_DEP_1)
	v_fma_f32 v42, -v31, v41, v40
	v_fmac_f32_e32 v41, v42, v39
	s_delay_alu instid0(VALU_DEP_1) | instskip(NEXT) | instid1(VALU_DEP_1)
	v_fma_f32 v31, -v31, v41, v40
	v_div_fmas_f32 v31, v31, v39, v41
	s_delay_alu instid0(VALU_DEP_1) | instskip(NEXT) | instid1(VALU_DEP_1)
	v_div_fixup_f32 v30, v31, v30, 1.0
	v_mul_f32_e64 v31, v33, -v30
.LBB22_135:
	s_or_b32 exec_lo, exec_lo, s1
.LBB22_136:
	s_delay_alu instid0(SALU_CYCLE_1) | instskip(NEXT) | instid1(SALU_CYCLE_1)
	s_or_b32 exec_lo, exec_lo, s0
	s_mov_b32 s0, exec_lo
	v_cmpx_ne_u32_e64 v38, v32
	s_xor_b32 s0, exec_lo, s0
	s_cbranch_execz .LBB22_142
; %bb.137:
	s_mov_b32 s1, exec_lo
	v_cmpx_eq_u32_e32 6, v38
	s_cbranch_execz .LBB22_141
; %bb.138:
	v_cmp_ne_u32_e32 vcc_lo, 6, v32
	s_xor_b32 s15, s12, -1
	s_delay_alu instid0(SALU_CYCLE_1) | instskip(NEXT) | instid1(SALU_CYCLE_1)
	s_and_b32 s16, s15, vcc_lo
	s_and_saveexec_b32 s15, s16
	s_cbranch_execz .LBB22_140
; %bb.139:
	v_ashrrev_i32_e32 v33, 31, v32
	s_delay_alu instid0(VALU_DEP_1)
	v_lshl_add_u64 v[38:39], v[32:33], 2, v[26:27]
	s_clause 0x1
	global_load_b32 v33, v[38:39], off
	global_load_b32 v36, v[26:27], off offset:24
	s_wait_loadcnt 0x1
	global_store_b32 v[26:27], v33, off offset:24
	s_wait_loadcnt 0x0
	global_store_b32 v[38:39], v36, off
.LBB22_140:
	s_wait_xcnt 0x0
	s_or_b32 exec_lo, exec_lo, s15
	v_dual_mov_b32 v38, v32 :: v_dual_mov_b32 v36, v32
.LBB22_141:
	s_or_b32 exec_lo, exec_lo, s1
.LBB22_142:
	s_and_not1_saveexec_b32 s0, s0
	s_cbranch_execz .LBB22_144
; %bb.143:
	v_mov_b32_e32 v38, 6
	ds_store_2addr_b64 v34, v[6:7], v[16:17] offset0:7 offset1:8
	ds_store_2addr_b64 v34, v[14:15], v[12:13] offset0:9 offset1:10
	ds_store_b64 v34, v[28:29] offset:88
.LBB22_144:
	s_or_b32 exec_lo, exec_lo, s0
	s_delay_alu instid0(SALU_CYCLE_1)
	s_mov_b32 s0, exec_lo
	s_wait_storecnt_dscnt 0x0
	s_barrier_signal -1
	s_barrier_wait -1
	v_cmpx_lt_i32_e32 6, v38
	s_cbranch_execz .LBB22_146
; %bb.145:
	ds_load_2addr_b64 v[40:43], v34 offset0:7 offset1:8
	ds_load_2addr_b64 v[44:47], v34 offset0:9 offset1:10
	ds_load_b64 v[32:33], v34 offset:88
	v_pk_mul_f32 v[48:49], v[30:31], v[20:21] op_sel:[1,1] op_sel_hi:[0,1]
	s_delay_alu instid0(VALU_DEP_1) | instskip(SKIP_1) | instid1(VALU_DEP_1)
	v_pk_fma_f32 v[50:51], v[30:31], v[20:21], v[48:49] op_sel_hi:[1,0,1] neg_lo:[0,0,1] neg_hi:[0,0,1]
	v_pk_fma_f32 v[30:31], v[30:31], v[20:21], v[48:49] op_sel_hi:[1,0,1]
	v_dual_mov_b32 v20, v50 :: v_dual_mov_b32 v21, v31
	s_wait_dscnt 0x2
	s_delay_alu instid0(VALU_DEP_2)
	v_pk_mul_f32 v[48:49], v[40:41], v[30:31] op_sel:[0,1]
	v_pk_mul_f32 v[52:53], v[42:43], v[30:31] op_sel:[0,1]
	s_wait_dscnt 0x1
	v_pk_mul_f32 v[54:55], v[44:45], v[30:31] op_sel:[0,1]
	v_dual_mov_b32 v56, v47 :: v_dual_mov_b32 v57, v46
	v_dual_mul_f32 v58, v47, v31 :: v_dual_mul_f32 v60, v47, v50
	s_wait_dscnt 0x0
	v_pk_mul_f32 v[30:31], v[32:33], v[30:31] op_sel:[0,1]
	v_pk_fma_f32 v[62:63], v[40:41], v[50:51], v[48:49] op_sel:[0,0,1] op_sel_hi:[1,1,0] neg_lo:[0,0,1] neg_hi:[0,0,1]
	v_pk_fma_f32 v[40:41], v[40:41], v[50:51], v[48:49] op_sel:[0,0,1] op_sel_hi:[1,0,0]
	v_pk_fma_f32 v[48:49], v[42:43], v[50:51], v[52:53] op_sel:[0,0,1] op_sel_hi:[1,1,0] neg_lo:[0,0,1] neg_hi:[0,0,1]
	v_pk_fma_f32 v[42:43], v[42:43], v[50:51], v[52:53] op_sel:[0,0,1] op_sel_hi:[1,0,0]
	;; [unrolled: 2-line block ×3, first 2 shown]
	v_pk_fma_f32 v[54:55], v[56:57], v[20:21], v[60:61] op_sel_hi:[1,1,0]
	v_pk_fma_f32 v[56:57], v[32:33], v[50:51], v[30:31] op_sel:[0,0,1] op_sel_hi:[1,1,0] neg_lo:[0,0,1] neg_hi:[0,0,1]
	v_pk_fma_f32 v[30:31], v[32:33], v[50:51], v[30:31] op_sel:[0,0,1] op_sel_hi:[1,0,0]
	v_pk_fma_f32 v[46:47], v[46:47], v[20:21], v[58:59] op_sel_hi:[1,1,0] neg_lo:[0,0,1] neg_hi:[0,0,1]
	v_dual_mov_b32 v63, v41 :: v_dual_mov_b32 v49, v43
	v_dual_mov_b32 v53, v45 :: v_dual_mov_b32 v47, v55
	s_delay_alu instid0(VALU_DEP_4) | instskip(NEXT) | instid1(VALU_DEP_3)
	v_mov_b32_e32 v57, v31
	v_pk_add_f32 v[6:7], v[6:7], v[62:63] neg_lo:[0,1] neg_hi:[0,1]
	s_delay_alu instid0(VALU_DEP_4) | instskip(NEXT) | instid1(VALU_DEP_4)
	v_pk_add_f32 v[16:17], v[16:17], v[48:49] neg_lo:[0,1] neg_hi:[0,1]
	v_pk_add_f32 v[14:15], v[14:15], v[52:53] neg_lo:[0,1] neg_hi:[0,1]
	;; [unrolled: 1-line block ×4, first 2 shown]
.LBB22_146:
	s_or_b32 exec_lo, exec_lo, s0
	v_lshl_add_u32 v30, v38, 3, v34
	s_barrier_signal -1
	s_barrier_wait -1
	ds_store_b64 v30, v[6:7]
	s_wait_dscnt 0x0
	s_barrier_signal -1
	s_barrier_wait -1
	ds_load_b64 v[30:31], v34 offset:56
	v_mov_b32_e32 v32, 7
	s_cmp_lt_i32 s14, 9
	s_cbranch_scc1 .LBB22_149
; %bb.147:
	v_add3_u32 v33, v35, 0, 64
	v_mov_b32_e32 v32, 7
	s_mov_b32 s0, 8
.LBB22_148:                             ; =>This Inner Loop Header: Depth=1
	ds_load_b64 v[40:41], v33
	s_wait_dscnt 0x1
	v_cmp_gt_f32_e32 vcc_lo, 0, v30
	v_cndmask_b32_e64 v42, v30, -v30, vcc_lo
	v_cmp_gt_f32_e32 vcc_lo, 0, v31
	v_cndmask_b32_e64 v44, v31, -v31, vcc_lo
	s_wait_dscnt 0x0
	v_cmp_gt_f32_e32 vcc_lo, 0, v40
	v_cndmask_b32_e64 v43, v40, -v40, vcc_lo
	v_cmp_gt_f32_e32 vcc_lo, 0, v41
	v_cndmask_b32_e64 v45, v41, -v41, vcc_lo
	s_delay_alu instid0(VALU_DEP_1) | instskip(NEXT) | instid1(VALU_DEP_1)
	v_pk_add_f32 v[42:43], v[42:43], v[44:45]
	v_cmp_lt_f32_e32 vcc_lo, v42, v43
	v_dual_cndmask_b32 v30, v30, v40 :: v_dual_add_nc_u32 v33, 8, v33
	v_cndmask_b32_e32 v31, v31, v41, vcc_lo
	v_cndmask_b32_e64 v32, v32, s0, vcc_lo
	s_add_co_i32 s0, s0, 1
	s_delay_alu instid0(SALU_CYCLE_1)
	s_cmp_lg_u32 s14, s0
	s_cbranch_scc1 .LBB22_148
.LBB22_149:
	s_wait_dscnt 0x0
	v_cmp_eq_f32_e32 vcc_lo, 0, v30
	v_cmp_eq_f32_e64 s0, 0, v31
	s_and_b32 s0, vcc_lo, s0
	s_delay_alu instid0(SALU_CYCLE_1) | instskip(NEXT) | instid1(SALU_CYCLE_1)
	s_and_saveexec_b32 s1, s0
	s_xor_b32 s0, exec_lo, s1
; %bb.150:
	v_cmp_ne_u32_e32 vcc_lo, 0, v37
	v_cndmask_b32_e32 v37, 8, v37, vcc_lo
; %bb.151:
	s_and_not1_saveexec_b32 s0, s0
	s_cbranch_execz .LBB22_157
; %bb.152:
	v_cmp_ngt_f32_e64 s1, |v30|, |v31|
	s_and_saveexec_b32 s15, s1
	s_delay_alu instid0(SALU_CYCLE_1)
	s_xor_b32 s1, exec_lo, s15
	s_cbranch_execz .LBB22_154
; %bb.153:
	v_div_scale_f32 v33, null, v31, v31, v30
	v_div_scale_f32 v41, vcc_lo, v30, v31, v30
	s_delay_alu instid0(VALU_DEP_2) | instskip(SKIP_1) | instid1(TRANS32_DEP_1)
	v_rcp_f32_e32 v39, v33
	v_nop
	v_fma_f32 v40, -v33, v39, 1.0
	s_delay_alu instid0(VALU_DEP_1) | instskip(NEXT) | instid1(VALU_DEP_1)
	v_fmac_f32_e32 v39, v40, v39
	v_mul_f32_e32 v40, v41, v39
	s_delay_alu instid0(VALU_DEP_1) | instskip(NEXT) | instid1(VALU_DEP_1)
	v_fma_f32 v42, -v33, v40, v41
	v_fmac_f32_e32 v40, v42, v39
	s_delay_alu instid0(VALU_DEP_1) | instskip(NEXT) | instid1(VALU_DEP_1)
	v_fma_f32 v33, -v33, v40, v41
	v_div_fmas_f32 v33, v33, v39, v40
	s_delay_alu instid0(VALU_DEP_1) | instskip(NEXT) | instid1(VALU_DEP_1)
	v_div_fixup_f32 v33, v33, v31, v30
	v_fmac_f32_e32 v31, v30, v33
	s_delay_alu instid0(VALU_DEP_1) | instskip(SKIP_1) | instid1(VALU_DEP_2)
	v_div_scale_f32 v30, null, v31, v31, 1.0
	v_div_scale_f32 v41, vcc_lo, 1.0, v31, 1.0
	v_rcp_f32_e32 v39, v30
	v_nop
	s_delay_alu instid0(TRANS32_DEP_1) | instskip(NEXT) | instid1(VALU_DEP_1)
	v_fma_f32 v40, -v30, v39, 1.0
	v_fmac_f32_e32 v39, v40, v39
	s_delay_alu instid0(VALU_DEP_1) | instskip(NEXT) | instid1(VALU_DEP_1)
	v_mul_f32_e32 v40, v41, v39
	v_fma_f32 v42, -v30, v40, v41
	s_delay_alu instid0(VALU_DEP_1) | instskip(NEXT) | instid1(VALU_DEP_1)
	v_fmac_f32_e32 v40, v42, v39
	v_fma_f32 v30, -v30, v40, v41
	s_delay_alu instid0(VALU_DEP_1) | instskip(NEXT) | instid1(VALU_DEP_1)
	v_div_fmas_f32 v30, v30, v39, v40
	v_div_fixup_f32 v31, v30, v31, 1.0
	s_delay_alu instid0(VALU_DEP_1)
	v_mul_f32_e32 v30, v33, v31
	v_xor_b32_e32 v31, 0x80000000, v31
.LBB22_154:
	s_and_not1_saveexec_b32 s1, s1
	s_cbranch_execz .LBB22_156
; %bb.155:
	s_delay_alu instid0(VALU_DEP_1) | instskip(SKIP_1) | instid1(VALU_DEP_2)
	v_div_scale_f32 v33, null, v30, v30, v31
	v_div_scale_f32 v41, vcc_lo, v31, v30, v31
	v_rcp_f32_e32 v39, v33
	v_nop
	s_delay_alu instid0(TRANS32_DEP_1) | instskip(NEXT) | instid1(VALU_DEP_1)
	v_fma_f32 v40, -v33, v39, 1.0
	v_fmac_f32_e32 v39, v40, v39
	s_delay_alu instid0(VALU_DEP_1) | instskip(NEXT) | instid1(VALU_DEP_1)
	v_mul_f32_e32 v40, v41, v39
	v_fma_f32 v42, -v33, v40, v41
	s_delay_alu instid0(VALU_DEP_1) | instskip(NEXT) | instid1(VALU_DEP_1)
	v_fmac_f32_e32 v40, v42, v39
	v_fma_f32 v33, -v33, v40, v41
	s_delay_alu instid0(VALU_DEP_1) | instskip(NEXT) | instid1(VALU_DEP_1)
	v_div_fmas_f32 v33, v33, v39, v40
	v_div_fixup_f32 v33, v33, v30, v31
	s_delay_alu instid0(VALU_DEP_1) | instskip(NEXT) | instid1(VALU_DEP_1)
	v_fmac_f32_e32 v30, v31, v33
	v_div_scale_f32 v31, null, v30, v30, 1.0
	s_delay_alu instid0(VALU_DEP_1) | instskip(SKIP_1) | instid1(TRANS32_DEP_1)
	v_rcp_f32_e32 v39, v31
	v_nop
	v_fma_f32 v40, -v31, v39, 1.0
	s_delay_alu instid0(VALU_DEP_1) | instskip(SKIP_1) | instid1(VALU_DEP_1)
	v_fmac_f32_e32 v39, v40, v39
	v_div_scale_f32 v40, vcc_lo, 1.0, v30, 1.0
	v_mul_f32_e32 v41, v40, v39
	s_delay_alu instid0(VALU_DEP_1) | instskip(NEXT) | instid1(VALU_DEP_1)
	v_fma_f32 v42, -v31, v41, v40
	v_fmac_f32_e32 v41, v42, v39
	s_delay_alu instid0(VALU_DEP_1) | instskip(NEXT) | instid1(VALU_DEP_1)
	v_fma_f32 v31, -v31, v41, v40
	v_div_fmas_f32 v31, v31, v39, v41
	s_delay_alu instid0(VALU_DEP_1) | instskip(NEXT) | instid1(VALU_DEP_1)
	v_div_fixup_f32 v30, v31, v30, 1.0
	v_mul_f32_e64 v31, v33, -v30
.LBB22_156:
	s_or_b32 exec_lo, exec_lo, s1
.LBB22_157:
	s_delay_alu instid0(SALU_CYCLE_1) | instskip(NEXT) | instid1(SALU_CYCLE_1)
	s_or_b32 exec_lo, exec_lo, s0
	s_mov_b32 s0, exec_lo
	v_cmpx_ne_u32_e64 v38, v32
	s_xor_b32 s0, exec_lo, s0
	s_cbranch_execz .LBB22_163
; %bb.158:
	s_mov_b32 s1, exec_lo
	v_cmpx_eq_u32_e32 7, v38
	s_cbranch_execz .LBB22_162
; %bb.159:
	v_cmp_ne_u32_e32 vcc_lo, 7, v32
	s_xor_b32 s15, s12, -1
	s_delay_alu instid0(SALU_CYCLE_1) | instskip(NEXT) | instid1(SALU_CYCLE_1)
	s_and_b32 s16, s15, vcc_lo
	s_and_saveexec_b32 s15, s16
	s_cbranch_execz .LBB22_161
; %bb.160:
	v_ashrrev_i32_e32 v33, 31, v32
	s_delay_alu instid0(VALU_DEP_1)
	v_lshl_add_u64 v[38:39], v[32:33], 2, v[26:27]
	s_clause 0x1
	global_load_b32 v33, v[38:39], off
	global_load_b32 v36, v[26:27], off offset:28
	s_wait_loadcnt 0x1
	global_store_b32 v[26:27], v33, off offset:28
	s_wait_loadcnt 0x0
	global_store_b32 v[38:39], v36, off
.LBB22_161:
	s_wait_xcnt 0x0
	s_or_b32 exec_lo, exec_lo, s15
	v_dual_mov_b32 v38, v32 :: v_dual_mov_b32 v36, v32
.LBB22_162:
	s_or_b32 exec_lo, exec_lo, s1
.LBB22_163:
	s_and_not1_saveexec_b32 s0, s0
	s_cbranch_execz .LBB22_165
; %bb.164:
	v_dual_mov_b32 v32, v16 :: v_dual_mov_b32 v33, v17
	v_dual_mov_b32 v40, v14 :: v_dual_mov_b32 v41, v15
	;; [unrolled: 1-line block ×3, first 2 shown]
	v_mov_b32_e32 v43, v13
	ds_store_2addr_b64 v34, v[32:33], v[40:41] offset0:8 offset1:9
	ds_store_2addr_b64 v34, v[42:43], v[28:29] offset0:10 offset1:11
.LBB22_165:
	s_or_b32 exec_lo, exec_lo, s0
	s_delay_alu instid0(SALU_CYCLE_1)
	s_mov_b32 s0, exec_lo
	s_wait_storecnt_dscnt 0x0
	s_barrier_signal -1
	s_barrier_wait -1
	v_cmpx_lt_i32_e32 7, v38
	s_cbranch_execz .LBB22_167
; %bb.166:
	ds_load_2addr_b64 v[40:43], v34 offset0:8 offset1:9
	ds_load_2addr_b64 v[44:47], v34 offset0:10 offset1:11
	v_pk_mul_f32 v[32:33], v[30:31], v[6:7] op_sel:[1,1] op_sel_hi:[0,1]
	s_delay_alu instid0(VALU_DEP_1) | instskip(SKIP_1) | instid1(VALU_DEP_1)
	v_pk_fma_f32 v[48:49], v[30:31], v[6:7], v[32:33] op_sel_hi:[1,0,1] neg_lo:[0,0,1] neg_hi:[0,0,1]
	v_pk_fma_f32 v[30:31], v[30:31], v[6:7], v[32:33] op_sel_hi:[1,0,1]
	v_dual_mov_b32 v6, v48 :: v_dual_mov_b32 v7, v31
	s_wait_dscnt 0x1
	s_delay_alu instid0(VALU_DEP_2)
	v_pk_mul_f32 v[32:33], v[40:41], v[30:31] op_sel:[0,1]
	s_wait_dscnt 0x0
	v_mov_b32_e32 v50, v47
	v_pk_mul_f32 v[52:53], v[42:43], v[30:31] op_sel:[0,1]
	v_pk_mul_f32 v[54:55], v[44:45], v[30:31] op_sel:[0,1]
	v_pk_fma_f32 v[56:57], v[40:41], v[48:49], v[32:33] op_sel:[0,0,1] op_sel_hi:[1,1,0] neg_lo:[0,0,1] neg_hi:[0,0,1]
	v_pk_fma_f32 v[32:33], v[40:41], v[48:49], v[32:33] op_sel:[0,0,1] op_sel_hi:[1,0,0]
	s_delay_alu instid0(VALU_DEP_1) | instskip(NEXT) | instid1(VALU_DEP_1)
	v_dual_mov_b32 v51, v46 :: v_dual_mov_b32 v57, v33
	v_pk_mul_f32 v[40:41], v[50:51], v[30:31] op_sel:[0,1]
	v_pk_fma_f32 v[50:51], v[42:43], v[48:49], v[52:53] op_sel:[0,0,1] op_sel_hi:[1,0,0]
	v_pk_fma_f32 v[42:43], v[42:43], v[48:49], v[52:53] op_sel:[0,0,1] op_sel_hi:[1,1,0] neg_lo:[0,0,1] neg_hi:[0,0,1]
	v_pk_fma_f32 v[52:53], v[44:45], v[48:49], v[54:55] op_sel:[0,0,1] op_sel_hi:[1,0,0]
	v_pk_fma_f32 v[44:45], v[44:45], v[48:49], v[54:55] op_sel:[0,0,1] op_sel_hi:[1,1,0] neg_lo:[0,0,1] neg_hi:[0,0,1]
	v_pk_fma_f32 v[32:33], v[46:47], v[48:49], v[40:41] op_sel_hi:[1,0,1]
	v_pk_fma_f32 v[40:41], v[46:47], v[48:49], v[40:41] neg_lo:[0,0,1] neg_hi:[0,0,1]
	s_delay_alu instid0(VALU_DEP_4) | instskip(SKIP_1) | instid1(VALU_DEP_4)
	v_dual_mov_b32 v43, v51 :: v_dual_mov_b32 v45, v53
	v_pk_add_f32 v[16:17], v[16:17], v[56:57] neg_lo:[0,1] neg_hi:[0,1]
	v_mov_b32_e32 v41, v33
	s_delay_alu instid0(VALU_DEP_3) | instskip(NEXT) | instid1(VALU_DEP_4)
	v_pk_add_f32 v[14:15], v[14:15], v[42:43] neg_lo:[0,1] neg_hi:[0,1]
	v_pk_add_f32 v[12:13], v[12:13], v[44:45] neg_lo:[0,1] neg_hi:[0,1]
	s_delay_alu instid0(VALU_DEP_3)
	v_pk_add_f32 v[28:29], v[28:29], v[40:41] neg_lo:[0,1] neg_hi:[0,1]
.LBB22_167:
	s_or_b32 exec_lo, exec_lo, s0
	v_lshl_add_u32 v30, v38, 3, v34
	s_barrier_signal -1
	s_barrier_wait -1
	ds_store_b64 v30, v[16:17]
	s_wait_dscnt 0x0
	s_barrier_signal -1
	s_barrier_wait -1
	ds_load_b64 v[30:31], v34 offset:64
	v_mov_b32_e32 v32, 8
	s_cmp_lt_i32 s14, 10
	s_cbranch_scc1 .LBB22_170
; %bb.168:
	v_add3_u32 v33, v35, 0, 0x48
	v_mov_b32_e32 v32, 8
	s_mov_b32 s0, 9
.LBB22_169:                             ; =>This Inner Loop Header: Depth=1
	ds_load_b64 v[40:41], v33
	s_wait_dscnt 0x1
	v_cmp_gt_f32_e32 vcc_lo, 0, v30
	v_cndmask_b32_e64 v42, v30, -v30, vcc_lo
	v_cmp_gt_f32_e32 vcc_lo, 0, v31
	v_cndmask_b32_e64 v44, v31, -v31, vcc_lo
	s_wait_dscnt 0x0
	v_cmp_gt_f32_e32 vcc_lo, 0, v40
	v_cndmask_b32_e64 v43, v40, -v40, vcc_lo
	v_cmp_gt_f32_e32 vcc_lo, 0, v41
	v_cndmask_b32_e64 v45, v41, -v41, vcc_lo
	s_delay_alu instid0(VALU_DEP_1) | instskip(NEXT) | instid1(VALU_DEP_1)
	v_pk_add_f32 v[42:43], v[42:43], v[44:45]
	v_cmp_lt_f32_e32 vcc_lo, v42, v43
	v_dual_cndmask_b32 v30, v30, v40 :: v_dual_add_nc_u32 v33, 8, v33
	v_cndmask_b32_e32 v31, v31, v41, vcc_lo
	v_cndmask_b32_e64 v32, v32, s0, vcc_lo
	s_add_co_i32 s0, s0, 1
	s_delay_alu instid0(SALU_CYCLE_1)
	s_cmp_lg_u32 s14, s0
	s_cbranch_scc1 .LBB22_169
.LBB22_170:
	s_wait_dscnt 0x0
	v_cmp_eq_f32_e32 vcc_lo, 0, v30
	v_cmp_eq_f32_e64 s0, 0, v31
	s_and_b32 s0, vcc_lo, s0
	s_delay_alu instid0(SALU_CYCLE_1) | instskip(NEXT) | instid1(SALU_CYCLE_1)
	s_and_saveexec_b32 s1, s0
	s_xor_b32 s0, exec_lo, s1
; %bb.171:
	v_cmp_ne_u32_e32 vcc_lo, 0, v37
	v_cndmask_b32_e32 v37, 9, v37, vcc_lo
; %bb.172:
	s_and_not1_saveexec_b32 s0, s0
	s_cbranch_execz .LBB22_178
; %bb.173:
	v_cmp_ngt_f32_e64 s1, |v30|, |v31|
	s_and_saveexec_b32 s15, s1
	s_delay_alu instid0(SALU_CYCLE_1)
	s_xor_b32 s1, exec_lo, s15
	s_cbranch_execz .LBB22_175
; %bb.174:
	v_div_scale_f32 v33, null, v31, v31, v30
	v_div_scale_f32 v41, vcc_lo, v30, v31, v30
	s_delay_alu instid0(VALU_DEP_2) | instskip(SKIP_1) | instid1(TRANS32_DEP_1)
	v_rcp_f32_e32 v39, v33
	v_nop
	v_fma_f32 v40, -v33, v39, 1.0
	s_delay_alu instid0(VALU_DEP_1) | instskip(NEXT) | instid1(VALU_DEP_1)
	v_fmac_f32_e32 v39, v40, v39
	v_mul_f32_e32 v40, v41, v39
	s_delay_alu instid0(VALU_DEP_1) | instskip(NEXT) | instid1(VALU_DEP_1)
	v_fma_f32 v42, -v33, v40, v41
	v_fmac_f32_e32 v40, v42, v39
	s_delay_alu instid0(VALU_DEP_1) | instskip(NEXT) | instid1(VALU_DEP_1)
	v_fma_f32 v33, -v33, v40, v41
	v_div_fmas_f32 v33, v33, v39, v40
	s_delay_alu instid0(VALU_DEP_1) | instskip(NEXT) | instid1(VALU_DEP_1)
	v_div_fixup_f32 v33, v33, v31, v30
	v_fmac_f32_e32 v31, v30, v33
	s_delay_alu instid0(VALU_DEP_1) | instskip(SKIP_1) | instid1(VALU_DEP_2)
	v_div_scale_f32 v30, null, v31, v31, 1.0
	v_div_scale_f32 v41, vcc_lo, 1.0, v31, 1.0
	v_rcp_f32_e32 v39, v30
	v_nop
	s_delay_alu instid0(TRANS32_DEP_1) | instskip(NEXT) | instid1(VALU_DEP_1)
	v_fma_f32 v40, -v30, v39, 1.0
	v_fmac_f32_e32 v39, v40, v39
	s_delay_alu instid0(VALU_DEP_1) | instskip(NEXT) | instid1(VALU_DEP_1)
	v_mul_f32_e32 v40, v41, v39
	v_fma_f32 v42, -v30, v40, v41
	s_delay_alu instid0(VALU_DEP_1) | instskip(NEXT) | instid1(VALU_DEP_1)
	v_fmac_f32_e32 v40, v42, v39
	v_fma_f32 v30, -v30, v40, v41
	s_delay_alu instid0(VALU_DEP_1) | instskip(NEXT) | instid1(VALU_DEP_1)
	v_div_fmas_f32 v30, v30, v39, v40
	v_div_fixup_f32 v31, v30, v31, 1.0
	s_delay_alu instid0(VALU_DEP_1)
	v_mul_f32_e32 v30, v33, v31
	v_xor_b32_e32 v31, 0x80000000, v31
.LBB22_175:
	s_and_not1_saveexec_b32 s1, s1
	s_cbranch_execz .LBB22_177
; %bb.176:
	s_delay_alu instid0(VALU_DEP_1) | instskip(SKIP_1) | instid1(VALU_DEP_2)
	v_div_scale_f32 v33, null, v30, v30, v31
	v_div_scale_f32 v41, vcc_lo, v31, v30, v31
	v_rcp_f32_e32 v39, v33
	v_nop
	s_delay_alu instid0(TRANS32_DEP_1) | instskip(NEXT) | instid1(VALU_DEP_1)
	v_fma_f32 v40, -v33, v39, 1.0
	v_fmac_f32_e32 v39, v40, v39
	s_delay_alu instid0(VALU_DEP_1) | instskip(NEXT) | instid1(VALU_DEP_1)
	v_mul_f32_e32 v40, v41, v39
	v_fma_f32 v42, -v33, v40, v41
	s_delay_alu instid0(VALU_DEP_1) | instskip(NEXT) | instid1(VALU_DEP_1)
	v_fmac_f32_e32 v40, v42, v39
	v_fma_f32 v33, -v33, v40, v41
	s_delay_alu instid0(VALU_DEP_1) | instskip(NEXT) | instid1(VALU_DEP_1)
	v_div_fmas_f32 v33, v33, v39, v40
	v_div_fixup_f32 v33, v33, v30, v31
	s_delay_alu instid0(VALU_DEP_1) | instskip(NEXT) | instid1(VALU_DEP_1)
	v_fmac_f32_e32 v30, v31, v33
	v_div_scale_f32 v31, null, v30, v30, 1.0
	s_delay_alu instid0(VALU_DEP_1) | instskip(SKIP_1) | instid1(TRANS32_DEP_1)
	v_rcp_f32_e32 v39, v31
	v_nop
	v_fma_f32 v40, -v31, v39, 1.0
	s_delay_alu instid0(VALU_DEP_1) | instskip(SKIP_1) | instid1(VALU_DEP_1)
	v_fmac_f32_e32 v39, v40, v39
	v_div_scale_f32 v40, vcc_lo, 1.0, v30, 1.0
	v_mul_f32_e32 v41, v40, v39
	s_delay_alu instid0(VALU_DEP_1) | instskip(NEXT) | instid1(VALU_DEP_1)
	v_fma_f32 v42, -v31, v41, v40
	v_fmac_f32_e32 v41, v42, v39
	s_delay_alu instid0(VALU_DEP_1) | instskip(NEXT) | instid1(VALU_DEP_1)
	v_fma_f32 v31, -v31, v41, v40
	v_div_fmas_f32 v31, v31, v39, v41
	s_delay_alu instid0(VALU_DEP_1) | instskip(NEXT) | instid1(VALU_DEP_1)
	v_div_fixup_f32 v30, v31, v30, 1.0
	v_mul_f32_e64 v31, v33, -v30
.LBB22_177:
	s_or_b32 exec_lo, exec_lo, s1
.LBB22_178:
	s_delay_alu instid0(SALU_CYCLE_1) | instskip(NEXT) | instid1(SALU_CYCLE_1)
	s_or_b32 exec_lo, exec_lo, s0
	s_mov_b32 s0, exec_lo
	v_cmpx_ne_u32_e64 v38, v32
	s_xor_b32 s0, exec_lo, s0
	s_cbranch_execz .LBB22_184
; %bb.179:
	s_mov_b32 s1, exec_lo
	v_cmpx_eq_u32_e32 8, v38
	s_cbranch_execz .LBB22_183
; %bb.180:
	v_cmp_ne_u32_e32 vcc_lo, 8, v32
	s_xor_b32 s15, s12, -1
	s_delay_alu instid0(SALU_CYCLE_1) | instskip(NEXT) | instid1(SALU_CYCLE_1)
	s_and_b32 s16, s15, vcc_lo
	s_and_saveexec_b32 s15, s16
	s_cbranch_execz .LBB22_182
; %bb.181:
	v_ashrrev_i32_e32 v33, 31, v32
	s_delay_alu instid0(VALU_DEP_1)
	v_lshl_add_u64 v[38:39], v[32:33], 2, v[26:27]
	s_clause 0x1
	global_load_b32 v33, v[38:39], off
	global_load_b32 v36, v[26:27], off offset:32
	s_wait_loadcnt 0x1
	global_store_b32 v[26:27], v33, off offset:32
	s_wait_loadcnt 0x0
	global_store_b32 v[38:39], v36, off
.LBB22_182:
	s_wait_xcnt 0x0
	s_or_b32 exec_lo, exec_lo, s15
	v_dual_mov_b32 v38, v32 :: v_dual_mov_b32 v36, v32
.LBB22_183:
	s_or_b32 exec_lo, exec_lo, s1
.LBB22_184:
	s_and_not1_saveexec_b32 s0, s0
	s_cbranch_execz .LBB22_186
; %bb.185:
	v_mov_b32_e32 v38, 8
	ds_store_2addr_b64 v34, v[14:15], v[12:13] offset0:9 offset1:10
	ds_store_b64 v34, v[28:29] offset:88
.LBB22_186:
	s_or_b32 exec_lo, exec_lo, s0
	s_delay_alu instid0(SALU_CYCLE_1)
	s_mov_b32 s0, exec_lo
	s_wait_storecnt_dscnt 0x0
	s_barrier_signal -1
	s_barrier_wait -1
	v_cmpx_lt_i32_e32 8, v38
	s_cbranch_execz .LBB22_188
; %bb.187:
	ds_load_2addr_b64 v[40:43], v34 offset0:9 offset1:10
	ds_load_b64 v[32:33], v34 offset:88
	v_pk_mul_f32 v[44:45], v[30:31], v[16:17] op_sel:[1,1] op_sel_hi:[0,1]
	s_delay_alu instid0(VALU_DEP_1) | instskip(SKIP_2) | instid1(VALU_DEP_2)
	v_pk_fma_f32 v[46:47], v[30:31], v[16:17], v[44:45] op_sel_hi:[1,0,1]
	v_pk_fma_f32 v[16:17], v[30:31], v[16:17], v[44:45] op_sel_hi:[1,0,1] neg_lo:[0,0,1] neg_hi:[0,0,1]
	s_wait_dscnt 0x1
	v_pk_mul_f32 v[30:31], v[40:41], v[46:47] op_sel:[0,1]
	v_pk_mul_f32 v[44:45], v[42:43], v[46:47] op_sel:[0,1]
	s_wait_dscnt 0x0
	v_pk_mul_f32 v[48:49], v[32:33], v[46:47] op_sel:[1,1] op_sel_hi:[0,1]
	s_delay_alu instid0(VALU_DEP_3) | instskip(SKIP_2) | instid1(VALU_DEP_4)
	v_pk_fma_f32 v[50:51], v[40:41], v[16:17], v[30:31] op_sel:[0,0,1] op_sel_hi:[1,1,0] neg_lo:[0,0,1] neg_hi:[0,0,1]
	v_pk_fma_f32 v[30:31], v[40:41], v[16:17], v[30:31] op_sel:[0,0,1] op_sel_hi:[1,0,0]
	v_pk_fma_f32 v[40:41], v[42:43], v[16:17], v[44:45] op_sel:[0,0,1] op_sel_hi:[1,0,0]
	v_pk_fma_f32 v[52:53], v[32:33], v[16:17], v[48:49] op_sel_hi:[1,0,1]
	v_pk_fma_f32 v[42:43], v[42:43], v[16:17], v[44:45] op_sel:[0,0,1] op_sel_hi:[1,1,0] neg_lo:[0,0,1] neg_hi:[0,0,1]
	v_pk_fma_f32 v[32:33], v[32:33], v[16:17], v[48:49] neg_lo:[0,0,1] neg_hi:[0,0,1]
	s_delay_alu instid0(VALU_DEP_4) | instskip(NEXT) | instid1(VALU_DEP_4)
	v_dual_mov_b32 v51, v31 :: v_dual_mov_b32 v43, v41
	v_dual_mov_b32 v33, v53 :: v_dual_mov_b32 v17, v47
	s_delay_alu instid0(VALU_DEP_2) | instskip(NEXT) | instid1(VALU_DEP_3)
	v_pk_add_f32 v[14:15], v[14:15], v[50:51] neg_lo:[0,1] neg_hi:[0,1]
	v_pk_add_f32 v[12:13], v[12:13], v[42:43] neg_lo:[0,1] neg_hi:[0,1]
	s_delay_alu instid0(VALU_DEP_3)
	v_pk_add_f32 v[28:29], v[28:29], v[32:33] neg_lo:[0,1] neg_hi:[0,1]
.LBB22_188:
	s_or_b32 exec_lo, exec_lo, s0
	v_lshl_add_u32 v30, v38, 3, v34
	s_barrier_signal -1
	s_barrier_wait -1
	ds_store_b64 v30, v[14:15]
	s_wait_dscnt 0x0
	s_barrier_signal -1
	s_barrier_wait -1
	ds_load_b64 v[30:31], v34 offset:72
	v_mov_b32_e32 v32, 9
	s_cmp_lt_i32 s14, 11
	s_cbranch_scc1 .LBB22_191
; %bb.189:
	v_add3_u32 v33, v35, 0, 0x50
	v_mov_b32_e32 v32, 9
	s_mov_b32 s0, 10
.LBB22_190:                             ; =>This Inner Loop Header: Depth=1
	ds_load_b64 v[40:41], v33
	s_wait_dscnt 0x1
	v_cmp_gt_f32_e32 vcc_lo, 0, v30
	v_cndmask_b32_e64 v42, v30, -v30, vcc_lo
	v_cmp_gt_f32_e32 vcc_lo, 0, v31
	v_cndmask_b32_e64 v44, v31, -v31, vcc_lo
	s_wait_dscnt 0x0
	v_cmp_gt_f32_e32 vcc_lo, 0, v40
	v_cndmask_b32_e64 v43, v40, -v40, vcc_lo
	v_cmp_gt_f32_e32 vcc_lo, 0, v41
	v_cndmask_b32_e64 v45, v41, -v41, vcc_lo
	s_delay_alu instid0(VALU_DEP_1) | instskip(NEXT) | instid1(VALU_DEP_1)
	v_pk_add_f32 v[42:43], v[42:43], v[44:45]
	v_cmp_lt_f32_e32 vcc_lo, v42, v43
	v_dual_cndmask_b32 v30, v30, v40 :: v_dual_add_nc_u32 v33, 8, v33
	v_cndmask_b32_e32 v31, v31, v41, vcc_lo
	v_cndmask_b32_e64 v32, v32, s0, vcc_lo
	s_add_co_i32 s0, s0, 1
	s_delay_alu instid0(SALU_CYCLE_1)
	s_cmp_lg_u32 s14, s0
	s_cbranch_scc1 .LBB22_190
.LBB22_191:
	s_wait_dscnt 0x0
	v_cmp_eq_f32_e32 vcc_lo, 0, v30
	v_cmp_eq_f32_e64 s0, 0, v31
	s_and_b32 s0, vcc_lo, s0
	s_delay_alu instid0(SALU_CYCLE_1) | instskip(NEXT) | instid1(SALU_CYCLE_1)
	s_and_saveexec_b32 s1, s0
	s_xor_b32 s0, exec_lo, s1
; %bb.192:
	v_cmp_ne_u32_e32 vcc_lo, 0, v37
	v_cndmask_b32_e32 v37, 10, v37, vcc_lo
; %bb.193:
	s_and_not1_saveexec_b32 s0, s0
	s_cbranch_execz .LBB22_199
; %bb.194:
	v_cmp_ngt_f32_e64 s1, |v30|, |v31|
	s_and_saveexec_b32 s15, s1
	s_delay_alu instid0(SALU_CYCLE_1)
	s_xor_b32 s1, exec_lo, s15
	s_cbranch_execz .LBB22_196
; %bb.195:
	v_div_scale_f32 v33, null, v31, v31, v30
	v_div_scale_f32 v41, vcc_lo, v30, v31, v30
	s_delay_alu instid0(VALU_DEP_2) | instskip(SKIP_1) | instid1(TRANS32_DEP_1)
	v_rcp_f32_e32 v39, v33
	v_nop
	v_fma_f32 v40, -v33, v39, 1.0
	s_delay_alu instid0(VALU_DEP_1) | instskip(NEXT) | instid1(VALU_DEP_1)
	v_fmac_f32_e32 v39, v40, v39
	v_mul_f32_e32 v40, v41, v39
	s_delay_alu instid0(VALU_DEP_1) | instskip(NEXT) | instid1(VALU_DEP_1)
	v_fma_f32 v42, -v33, v40, v41
	v_fmac_f32_e32 v40, v42, v39
	s_delay_alu instid0(VALU_DEP_1) | instskip(NEXT) | instid1(VALU_DEP_1)
	v_fma_f32 v33, -v33, v40, v41
	v_div_fmas_f32 v33, v33, v39, v40
	s_delay_alu instid0(VALU_DEP_1) | instskip(NEXT) | instid1(VALU_DEP_1)
	v_div_fixup_f32 v33, v33, v31, v30
	v_fmac_f32_e32 v31, v30, v33
	s_delay_alu instid0(VALU_DEP_1) | instskip(SKIP_1) | instid1(VALU_DEP_2)
	v_div_scale_f32 v30, null, v31, v31, 1.0
	v_div_scale_f32 v41, vcc_lo, 1.0, v31, 1.0
	v_rcp_f32_e32 v39, v30
	v_nop
	s_delay_alu instid0(TRANS32_DEP_1) | instskip(NEXT) | instid1(VALU_DEP_1)
	v_fma_f32 v40, -v30, v39, 1.0
	v_fmac_f32_e32 v39, v40, v39
	s_delay_alu instid0(VALU_DEP_1) | instskip(NEXT) | instid1(VALU_DEP_1)
	v_mul_f32_e32 v40, v41, v39
	v_fma_f32 v42, -v30, v40, v41
	s_delay_alu instid0(VALU_DEP_1) | instskip(NEXT) | instid1(VALU_DEP_1)
	v_fmac_f32_e32 v40, v42, v39
	v_fma_f32 v30, -v30, v40, v41
	s_delay_alu instid0(VALU_DEP_1) | instskip(NEXT) | instid1(VALU_DEP_1)
	v_div_fmas_f32 v30, v30, v39, v40
	v_div_fixup_f32 v31, v30, v31, 1.0
	s_delay_alu instid0(VALU_DEP_1)
	v_mul_f32_e32 v30, v33, v31
	v_xor_b32_e32 v31, 0x80000000, v31
.LBB22_196:
	s_and_not1_saveexec_b32 s1, s1
	s_cbranch_execz .LBB22_198
; %bb.197:
	s_delay_alu instid0(VALU_DEP_1) | instskip(SKIP_1) | instid1(VALU_DEP_2)
	v_div_scale_f32 v33, null, v30, v30, v31
	v_div_scale_f32 v41, vcc_lo, v31, v30, v31
	v_rcp_f32_e32 v39, v33
	v_nop
	s_delay_alu instid0(TRANS32_DEP_1) | instskip(NEXT) | instid1(VALU_DEP_1)
	v_fma_f32 v40, -v33, v39, 1.0
	v_fmac_f32_e32 v39, v40, v39
	s_delay_alu instid0(VALU_DEP_1) | instskip(NEXT) | instid1(VALU_DEP_1)
	v_mul_f32_e32 v40, v41, v39
	v_fma_f32 v42, -v33, v40, v41
	s_delay_alu instid0(VALU_DEP_1) | instskip(NEXT) | instid1(VALU_DEP_1)
	v_fmac_f32_e32 v40, v42, v39
	v_fma_f32 v33, -v33, v40, v41
	s_delay_alu instid0(VALU_DEP_1) | instskip(NEXT) | instid1(VALU_DEP_1)
	v_div_fmas_f32 v33, v33, v39, v40
	v_div_fixup_f32 v33, v33, v30, v31
	s_delay_alu instid0(VALU_DEP_1) | instskip(NEXT) | instid1(VALU_DEP_1)
	v_fmac_f32_e32 v30, v31, v33
	v_div_scale_f32 v31, null, v30, v30, 1.0
	s_delay_alu instid0(VALU_DEP_1) | instskip(SKIP_1) | instid1(TRANS32_DEP_1)
	v_rcp_f32_e32 v39, v31
	v_nop
	v_fma_f32 v40, -v31, v39, 1.0
	s_delay_alu instid0(VALU_DEP_1) | instskip(SKIP_1) | instid1(VALU_DEP_1)
	v_fmac_f32_e32 v39, v40, v39
	v_div_scale_f32 v40, vcc_lo, 1.0, v30, 1.0
	v_mul_f32_e32 v41, v40, v39
	s_delay_alu instid0(VALU_DEP_1) | instskip(NEXT) | instid1(VALU_DEP_1)
	v_fma_f32 v42, -v31, v41, v40
	v_fmac_f32_e32 v41, v42, v39
	s_delay_alu instid0(VALU_DEP_1) | instskip(NEXT) | instid1(VALU_DEP_1)
	v_fma_f32 v31, -v31, v41, v40
	v_div_fmas_f32 v31, v31, v39, v41
	s_delay_alu instid0(VALU_DEP_1) | instskip(NEXT) | instid1(VALU_DEP_1)
	v_div_fixup_f32 v30, v31, v30, 1.0
	v_mul_f32_e64 v31, v33, -v30
.LBB22_198:
	s_or_b32 exec_lo, exec_lo, s1
.LBB22_199:
	s_delay_alu instid0(SALU_CYCLE_1) | instskip(NEXT) | instid1(SALU_CYCLE_1)
	s_or_b32 exec_lo, exec_lo, s0
	s_mov_b32 s0, exec_lo
	v_cmpx_ne_u32_e64 v38, v32
	s_xor_b32 s0, exec_lo, s0
	s_cbranch_execz .LBB22_205
; %bb.200:
	s_mov_b32 s1, exec_lo
	v_cmpx_eq_u32_e32 9, v38
	s_cbranch_execz .LBB22_204
; %bb.201:
	v_cmp_ne_u32_e32 vcc_lo, 9, v32
	s_xor_b32 s15, s12, -1
	s_delay_alu instid0(SALU_CYCLE_1) | instskip(NEXT) | instid1(SALU_CYCLE_1)
	s_and_b32 s16, s15, vcc_lo
	s_and_saveexec_b32 s15, s16
	s_cbranch_execz .LBB22_203
; %bb.202:
	v_ashrrev_i32_e32 v33, 31, v32
	s_delay_alu instid0(VALU_DEP_1)
	v_lshl_add_u64 v[38:39], v[32:33], 2, v[26:27]
	s_clause 0x1
	global_load_b32 v33, v[38:39], off
	global_load_b32 v36, v[26:27], off offset:36
	s_wait_loadcnt 0x1
	global_store_b32 v[26:27], v33, off offset:36
	s_wait_loadcnt 0x0
	global_store_b32 v[38:39], v36, off
.LBB22_203:
	s_wait_xcnt 0x0
	s_or_b32 exec_lo, exec_lo, s15
	v_dual_mov_b32 v38, v32 :: v_dual_mov_b32 v36, v32
.LBB22_204:
	s_or_b32 exec_lo, exec_lo, s1
.LBB22_205:
	s_and_not1_saveexec_b32 s0, s0
; %bb.206:
	v_dual_mov_b32 v32, v12 :: v_dual_mov_b32 v33, v13
	v_mov_b32_e32 v38, 9
	ds_store_2addr_b64 v34, v[32:33], v[28:29] offset0:10 offset1:11
; %bb.207:
	s_or_b32 exec_lo, exec_lo, s0
	s_delay_alu instid0(SALU_CYCLE_1)
	s_mov_b32 s0, exec_lo
	s_wait_storecnt_dscnt 0x0
	s_barrier_signal -1
	s_barrier_wait -1
	v_cmpx_lt_i32_e32 9, v38
	s_cbranch_execz .LBB22_209
; %bb.208:
	ds_load_2addr_b64 v[40:43], v34 offset0:10 offset1:11
	v_pk_mul_f32 v[32:33], v[30:31], v[14:15] op_sel:[1,1] op_sel_hi:[0,1]
	s_delay_alu instid0(VALU_DEP_1) | instskip(SKIP_3) | instid1(VALU_DEP_3)
	v_pk_fma_f32 v[44:45], v[30:31], v[14:15], v[32:33] op_sel_hi:[1,0,1]
	v_pk_fma_f32 v[14:15], v[30:31], v[14:15], v[32:33] op_sel_hi:[1,0,1] neg_lo:[0,0,1] neg_hi:[0,0,1]
	s_wait_dscnt 0x0
	v_dual_mov_b32 v46, v43 :: v_dual_mov_b32 v47, v42
	v_pk_mul_f32 v[30:31], v[40:41], v[44:45] op_sel:[0,1]
	s_delay_alu instid0(VALU_DEP_2) | instskip(NEXT) | instid1(VALU_DEP_2)
	v_pk_mul_f32 v[32:33], v[46:47], v[44:45] op_sel:[0,1]
	v_pk_fma_f32 v[46:47], v[40:41], v[14:15], v[30:31] op_sel:[0,0,1] op_sel_hi:[1,0,0]
	v_pk_fma_f32 v[30:31], v[40:41], v[14:15], v[30:31] op_sel:[0,0,1] op_sel_hi:[1,1,0] neg_lo:[0,0,1] neg_hi:[0,0,1]
	s_delay_alu instid0(VALU_DEP_3) | instskip(SKIP_1) | instid1(VALU_DEP_4)
	v_pk_fma_f32 v[48:49], v[42:43], v[14:15], v[32:33] op_sel_hi:[1,0,1]
	v_pk_fma_f32 v[32:33], v[42:43], v[14:15], v[32:33] neg_lo:[0,0,1] neg_hi:[0,0,1]
	v_dual_mov_b32 v31, v47 :: v_dual_mov_b32 v15, v45
	s_delay_alu instid0(VALU_DEP_3) | instskip(NEXT) | instid1(VALU_DEP_2)
	v_mov_b32_e32 v33, v49
	v_pk_add_f32 v[12:13], v[12:13], v[30:31] neg_lo:[0,1] neg_hi:[0,1]
	s_delay_alu instid0(VALU_DEP_2)
	v_pk_add_f32 v[28:29], v[28:29], v[32:33] neg_lo:[0,1] neg_hi:[0,1]
.LBB22_209:
	s_or_b32 exec_lo, exec_lo, s0
	v_lshl_add_u32 v30, v38, 3, v34
	s_barrier_signal -1
	s_barrier_wait -1
	ds_store_b64 v30, v[12:13]
	s_wait_dscnt 0x0
	s_barrier_signal -1
	s_barrier_wait -1
	ds_load_b64 v[30:31], v34 offset:80
	v_mov_b32_e32 v32, 10
	s_cmp_lt_i32 s14, 12
	s_cbranch_scc1 .LBB22_212
; %bb.210:
	v_add3_u32 v33, v35, 0, 0x58
	v_mov_b32_e32 v32, 10
	s_mov_b32 s0, 11
.LBB22_211:                             ; =>This Inner Loop Header: Depth=1
	ds_load_b64 v[40:41], v33
	s_wait_dscnt 0x1
	v_cmp_gt_f32_e32 vcc_lo, 0, v30
	v_cndmask_b32_e64 v42, v30, -v30, vcc_lo
	v_cmp_gt_f32_e32 vcc_lo, 0, v31
	v_cndmask_b32_e64 v44, v31, -v31, vcc_lo
	s_wait_dscnt 0x0
	v_cmp_gt_f32_e32 vcc_lo, 0, v40
	v_cndmask_b32_e64 v43, v40, -v40, vcc_lo
	v_cmp_gt_f32_e32 vcc_lo, 0, v41
	v_cndmask_b32_e64 v45, v41, -v41, vcc_lo
	s_delay_alu instid0(VALU_DEP_1) | instskip(NEXT) | instid1(VALU_DEP_1)
	v_pk_add_f32 v[42:43], v[42:43], v[44:45]
	v_cmp_lt_f32_e32 vcc_lo, v42, v43
	v_dual_cndmask_b32 v30, v30, v40 :: v_dual_add_nc_u32 v33, 8, v33
	v_cndmask_b32_e32 v31, v31, v41, vcc_lo
	v_cndmask_b32_e64 v32, v32, s0, vcc_lo
	s_add_co_i32 s0, s0, 1
	s_delay_alu instid0(SALU_CYCLE_1)
	s_cmp_lg_u32 s14, s0
	s_cbranch_scc1 .LBB22_211
.LBB22_212:
	s_wait_dscnt 0x0
	v_cmp_eq_f32_e32 vcc_lo, 0, v30
	v_cmp_eq_f32_e64 s0, 0, v31
	s_and_b32 s0, vcc_lo, s0
	s_delay_alu instid0(SALU_CYCLE_1) | instskip(NEXT) | instid1(SALU_CYCLE_1)
	s_and_saveexec_b32 s1, s0
	s_xor_b32 s0, exec_lo, s1
; %bb.213:
	v_cmp_ne_u32_e32 vcc_lo, 0, v37
	v_cndmask_b32_e32 v37, 11, v37, vcc_lo
; %bb.214:
	s_and_not1_saveexec_b32 s0, s0
	s_cbranch_execz .LBB22_220
; %bb.215:
	v_cmp_ngt_f32_e64 s1, |v30|, |v31|
	s_and_saveexec_b32 s15, s1
	s_delay_alu instid0(SALU_CYCLE_1)
	s_xor_b32 s1, exec_lo, s15
	s_cbranch_execz .LBB22_217
; %bb.216:
	v_div_scale_f32 v33, null, v31, v31, v30
	v_div_scale_f32 v41, vcc_lo, v30, v31, v30
	s_delay_alu instid0(VALU_DEP_2) | instskip(SKIP_1) | instid1(TRANS32_DEP_1)
	v_rcp_f32_e32 v39, v33
	v_nop
	v_fma_f32 v40, -v33, v39, 1.0
	s_delay_alu instid0(VALU_DEP_1) | instskip(NEXT) | instid1(VALU_DEP_1)
	v_fmac_f32_e32 v39, v40, v39
	v_mul_f32_e32 v40, v41, v39
	s_delay_alu instid0(VALU_DEP_1) | instskip(NEXT) | instid1(VALU_DEP_1)
	v_fma_f32 v42, -v33, v40, v41
	v_fmac_f32_e32 v40, v42, v39
	s_delay_alu instid0(VALU_DEP_1) | instskip(NEXT) | instid1(VALU_DEP_1)
	v_fma_f32 v33, -v33, v40, v41
	v_div_fmas_f32 v33, v33, v39, v40
	s_delay_alu instid0(VALU_DEP_1) | instskip(NEXT) | instid1(VALU_DEP_1)
	v_div_fixup_f32 v33, v33, v31, v30
	v_fmac_f32_e32 v31, v30, v33
	s_delay_alu instid0(VALU_DEP_1) | instskip(SKIP_1) | instid1(VALU_DEP_2)
	v_div_scale_f32 v30, null, v31, v31, 1.0
	v_div_scale_f32 v41, vcc_lo, 1.0, v31, 1.0
	v_rcp_f32_e32 v39, v30
	v_nop
	s_delay_alu instid0(TRANS32_DEP_1) | instskip(NEXT) | instid1(VALU_DEP_1)
	v_fma_f32 v40, -v30, v39, 1.0
	v_fmac_f32_e32 v39, v40, v39
	s_delay_alu instid0(VALU_DEP_1) | instskip(NEXT) | instid1(VALU_DEP_1)
	v_mul_f32_e32 v40, v41, v39
	v_fma_f32 v42, -v30, v40, v41
	s_delay_alu instid0(VALU_DEP_1) | instskip(NEXT) | instid1(VALU_DEP_1)
	v_fmac_f32_e32 v40, v42, v39
	v_fma_f32 v30, -v30, v40, v41
	s_delay_alu instid0(VALU_DEP_1) | instskip(NEXT) | instid1(VALU_DEP_1)
	v_div_fmas_f32 v30, v30, v39, v40
	v_div_fixup_f32 v31, v30, v31, 1.0
	s_delay_alu instid0(VALU_DEP_1)
	v_mul_f32_e32 v30, v33, v31
	v_xor_b32_e32 v31, 0x80000000, v31
.LBB22_217:
	s_and_not1_saveexec_b32 s1, s1
	s_cbranch_execz .LBB22_219
; %bb.218:
	s_delay_alu instid0(VALU_DEP_1) | instskip(SKIP_1) | instid1(VALU_DEP_2)
	v_div_scale_f32 v33, null, v30, v30, v31
	v_div_scale_f32 v41, vcc_lo, v31, v30, v31
	v_rcp_f32_e32 v39, v33
	v_nop
	s_delay_alu instid0(TRANS32_DEP_1) | instskip(NEXT) | instid1(VALU_DEP_1)
	v_fma_f32 v40, -v33, v39, 1.0
	v_fmac_f32_e32 v39, v40, v39
	s_delay_alu instid0(VALU_DEP_1) | instskip(NEXT) | instid1(VALU_DEP_1)
	v_mul_f32_e32 v40, v41, v39
	v_fma_f32 v42, -v33, v40, v41
	s_delay_alu instid0(VALU_DEP_1) | instskip(NEXT) | instid1(VALU_DEP_1)
	v_fmac_f32_e32 v40, v42, v39
	v_fma_f32 v33, -v33, v40, v41
	s_delay_alu instid0(VALU_DEP_1) | instskip(NEXT) | instid1(VALU_DEP_1)
	v_div_fmas_f32 v33, v33, v39, v40
	v_div_fixup_f32 v33, v33, v30, v31
	s_delay_alu instid0(VALU_DEP_1) | instskip(NEXT) | instid1(VALU_DEP_1)
	v_fmac_f32_e32 v30, v31, v33
	v_div_scale_f32 v31, null, v30, v30, 1.0
	s_delay_alu instid0(VALU_DEP_1) | instskip(SKIP_1) | instid1(TRANS32_DEP_1)
	v_rcp_f32_e32 v39, v31
	v_nop
	v_fma_f32 v40, -v31, v39, 1.0
	s_delay_alu instid0(VALU_DEP_1) | instskip(SKIP_1) | instid1(VALU_DEP_1)
	v_fmac_f32_e32 v39, v40, v39
	v_div_scale_f32 v40, vcc_lo, 1.0, v30, 1.0
	v_mul_f32_e32 v41, v40, v39
	s_delay_alu instid0(VALU_DEP_1) | instskip(NEXT) | instid1(VALU_DEP_1)
	v_fma_f32 v42, -v31, v41, v40
	v_fmac_f32_e32 v41, v42, v39
	s_delay_alu instid0(VALU_DEP_1) | instskip(NEXT) | instid1(VALU_DEP_1)
	v_fma_f32 v31, -v31, v41, v40
	v_div_fmas_f32 v31, v31, v39, v41
	s_delay_alu instid0(VALU_DEP_1) | instskip(NEXT) | instid1(VALU_DEP_1)
	v_div_fixup_f32 v30, v31, v30, 1.0
	v_mul_f32_e64 v31, v33, -v30
.LBB22_219:
	s_or_b32 exec_lo, exec_lo, s1
.LBB22_220:
	s_delay_alu instid0(SALU_CYCLE_1) | instskip(NEXT) | instid1(SALU_CYCLE_1)
	s_or_b32 exec_lo, exec_lo, s0
	s_mov_b32 s0, exec_lo
	v_cmpx_ne_u32_e64 v38, v32
	s_xor_b32 s0, exec_lo, s0
	s_cbranch_execz .LBB22_226
; %bb.221:
	s_mov_b32 s1, exec_lo
	v_cmpx_eq_u32_e32 10, v38
	s_cbranch_execz .LBB22_225
; %bb.222:
	v_cmp_ne_u32_e32 vcc_lo, 10, v32
	s_xor_b32 s15, s12, -1
	s_delay_alu instid0(SALU_CYCLE_1) | instskip(NEXT) | instid1(SALU_CYCLE_1)
	s_and_b32 s16, s15, vcc_lo
	s_and_saveexec_b32 s15, s16
	s_cbranch_execz .LBB22_224
; %bb.223:
	v_ashrrev_i32_e32 v33, 31, v32
	s_delay_alu instid0(VALU_DEP_1)
	v_lshl_add_u64 v[38:39], v[32:33], 2, v[26:27]
	s_clause 0x1
	global_load_b32 v33, v[38:39], off
	global_load_b32 v36, v[26:27], off offset:40
	s_wait_loadcnt 0x1
	global_store_b32 v[26:27], v33, off offset:40
	s_wait_loadcnt 0x0
	global_store_b32 v[38:39], v36, off
.LBB22_224:
	s_wait_xcnt 0x0
	s_or_b32 exec_lo, exec_lo, s15
	v_dual_mov_b32 v38, v32 :: v_dual_mov_b32 v36, v32
.LBB22_225:
	s_or_b32 exec_lo, exec_lo, s1
.LBB22_226:
	s_and_not1_saveexec_b32 s0, s0
; %bb.227:
	v_mov_b32_e32 v38, 10
	ds_store_b64 v34, v[28:29] offset:88
; %bb.228:
	s_or_b32 exec_lo, exec_lo, s0
	s_delay_alu instid0(SALU_CYCLE_1)
	s_mov_b32 s0, exec_lo
	s_wait_storecnt_dscnt 0x0
	s_barrier_signal -1
	s_barrier_wait -1
	v_cmpx_lt_i32_e32 10, v38
	s_cbranch_execz .LBB22_230
; %bb.229:
	ds_load_b64 v[32:33], v34 offset:88
	v_pk_mul_f32 v[40:41], v[30:31], v[12:13] op_sel:[1,1] op_sel_hi:[0,1]
	s_delay_alu instid0(VALU_DEP_1) | instskip(SKIP_2) | instid1(VALU_DEP_2)
	v_pk_fma_f32 v[42:43], v[30:31], v[12:13], v[40:41] op_sel_hi:[1,0,1]
	v_pk_fma_f32 v[12:13], v[30:31], v[12:13], v[40:41] op_sel_hi:[1,0,1] neg_lo:[0,0,1] neg_hi:[0,0,1]
	s_wait_dscnt 0x0
	v_pk_mul_f32 v[30:31], v[32:33], v[42:43] op_sel:[1,1] op_sel_hi:[0,1]
	s_delay_alu instid0(VALU_DEP_1) | instskip(SKIP_1) | instid1(VALU_DEP_2)
	v_pk_fma_f32 v[40:41], v[32:33], v[12:13], v[30:31] op_sel_hi:[1,0,1]
	v_pk_fma_f32 v[30:31], v[32:33], v[12:13], v[30:31] neg_lo:[0,0,1] neg_hi:[0,0,1]
	v_dual_mov_b32 v13, v43 :: v_dual_mov_b32 v31, v41
	s_delay_alu instid0(VALU_DEP_1)
	v_pk_add_f32 v[28:29], v[28:29], v[30:31] neg_lo:[0,1] neg_hi:[0,1]
.LBB22_230:
	s_or_b32 exec_lo, exec_lo, s0
	v_lshl_add_u32 v30, v38, 3, v34
	s_barrier_signal -1
	s_barrier_wait -1
	ds_store_b64 v30, v[28:29]
	s_wait_dscnt 0x0
	s_barrier_signal -1
	s_barrier_wait -1
	ds_load_b64 v[30:31], v34 offset:88
	v_mov_b32_e32 v32, 11
	s_cmp_lt_i32 s14, 13
	s_cbranch_scc1 .LBB22_233
; %bb.231:
	v_add3_u32 v33, v35, 0, 0x60
	v_mov_b32_e32 v32, 11
	s_mov_b32 s0, 12
.LBB22_232:                             ; =>This Inner Loop Header: Depth=1
	ds_load_b64 v[34:35], v33
	s_wait_dscnt 0x1
	v_cmp_gt_f32_e32 vcc_lo, 0, v30
	v_cndmask_b32_e64 v40, v30, -v30, vcc_lo
	v_cmp_gt_f32_e32 vcc_lo, 0, v31
	v_cndmask_b32_e64 v42, v31, -v31, vcc_lo
	s_wait_dscnt 0x0
	v_cmp_gt_f32_e32 vcc_lo, 0, v34
	v_cndmask_b32_e64 v41, v34, -v34, vcc_lo
	v_cmp_gt_f32_e32 vcc_lo, 0, v35
	v_cndmask_b32_e64 v43, v35, -v35, vcc_lo
	s_delay_alu instid0(VALU_DEP_1) | instskip(NEXT) | instid1(VALU_DEP_1)
	v_pk_add_f32 v[40:41], v[40:41], v[42:43]
	v_cmp_lt_f32_e32 vcc_lo, v40, v41
	v_dual_add_nc_u32 v33, 8, v33 :: v_dual_cndmask_b32 v31, v31, v35, vcc_lo
	v_cndmask_b32_e32 v30, v30, v34, vcc_lo
	v_cndmask_b32_e64 v32, v32, s0, vcc_lo
	s_add_co_i32 s0, s0, 1
	s_delay_alu instid0(SALU_CYCLE_1)
	s_cmp_lg_u32 s14, s0
	s_cbranch_scc1 .LBB22_232
.LBB22_233:
	s_wait_dscnt 0x0
	v_cmp_eq_f32_e32 vcc_lo, 0, v30
	v_cmp_eq_f32_e64 s0, 0, v31
	s_and_b32 s0, vcc_lo, s0
	s_delay_alu instid0(SALU_CYCLE_1) | instskip(NEXT) | instid1(SALU_CYCLE_1)
	s_and_saveexec_b32 s1, s0
	s_xor_b32 s0, exec_lo, s1
; %bb.234:
	v_cmp_ne_u32_e32 vcc_lo, 0, v37
	v_cndmask_b32_e32 v37, 12, v37, vcc_lo
; %bb.235:
	s_and_not1_saveexec_b32 s0, s0
	s_cbranch_execz .LBB22_241
; %bb.236:
	v_cmp_ngt_f32_e64 s1, |v30|, |v31|
	s_and_saveexec_b32 s14, s1
	s_delay_alu instid0(SALU_CYCLE_1)
	s_xor_b32 s1, exec_lo, s14
	s_cbranch_execz .LBB22_238
; %bb.237:
	v_div_scale_f32 v33, null, v31, v31, v30
	v_div_scale_f32 v39, vcc_lo, v30, v31, v30
	s_delay_alu instid0(VALU_DEP_2) | instskip(SKIP_1) | instid1(TRANS32_DEP_1)
	v_rcp_f32_e32 v34, v33
	v_nop
	v_fma_f32 v35, -v33, v34, 1.0
	s_delay_alu instid0(VALU_DEP_1) | instskip(NEXT) | instid1(VALU_DEP_1)
	v_fmac_f32_e32 v34, v35, v34
	v_mul_f32_e32 v35, v39, v34
	s_delay_alu instid0(VALU_DEP_1) | instskip(NEXT) | instid1(VALU_DEP_1)
	v_fma_f32 v40, -v33, v35, v39
	v_fmac_f32_e32 v35, v40, v34
	s_delay_alu instid0(VALU_DEP_1) | instskip(NEXT) | instid1(VALU_DEP_1)
	v_fma_f32 v33, -v33, v35, v39
	v_div_fmas_f32 v33, v33, v34, v35
	s_delay_alu instid0(VALU_DEP_1) | instskip(NEXT) | instid1(VALU_DEP_1)
	v_div_fixup_f32 v33, v33, v31, v30
	v_fmac_f32_e32 v31, v30, v33
	s_delay_alu instid0(VALU_DEP_1) | instskip(SKIP_1) | instid1(VALU_DEP_2)
	v_div_scale_f32 v30, null, v31, v31, 1.0
	v_div_scale_f32 v39, vcc_lo, 1.0, v31, 1.0
	v_rcp_f32_e32 v34, v30
	v_nop
	s_delay_alu instid0(TRANS32_DEP_1) | instskip(NEXT) | instid1(VALU_DEP_1)
	v_fma_f32 v35, -v30, v34, 1.0
	v_fmac_f32_e32 v34, v35, v34
	s_delay_alu instid0(VALU_DEP_1) | instskip(NEXT) | instid1(VALU_DEP_1)
	v_mul_f32_e32 v35, v39, v34
	v_fma_f32 v40, -v30, v35, v39
	s_delay_alu instid0(VALU_DEP_1) | instskip(NEXT) | instid1(VALU_DEP_1)
	v_fmac_f32_e32 v35, v40, v34
	v_fma_f32 v30, -v30, v35, v39
	s_delay_alu instid0(VALU_DEP_1) | instskip(NEXT) | instid1(VALU_DEP_1)
	v_div_fmas_f32 v30, v30, v34, v35
	v_div_fixup_f32 v31, v30, v31, 1.0
	s_delay_alu instid0(VALU_DEP_1)
	v_mul_f32_e32 v30, v33, v31
	v_xor_b32_e32 v31, 0x80000000, v31
.LBB22_238:
	s_and_not1_saveexec_b32 s1, s1
	s_cbranch_execz .LBB22_240
; %bb.239:
	s_delay_alu instid0(VALU_DEP_1) | instskip(SKIP_1) | instid1(VALU_DEP_2)
	v_div_scale_f32 v33, null, v30, v30, v31
	v_div_scale_f32 v39, vcc_lo, v31, v30, v31
	v_rcp_f32_e32 v34, v33
	v_nop
	s_delay_alu instid0(TRANS32_DEP_1) | instskip(NEXT) | instid1(VALU_DEP_1)
	v_fma_f32 v35, -v33, v34, 1.0
	v_fmac_f32_e32 v34, v35, v34
	s_delay_alu instid0(VALU_DEP_1) | instskip(NEXT) | instid1(VALU_DEP_1)
	v_mul_f32_e32 v35, v39, v34
	v_fma_f32 v40, -v33, v35, v39
	s_delay_alu instid0(VALU_DEP_1) | instskip(NEXT) | instid1(VALU_DEP_1)
	v_fmac_f32_e32 v35, v40, v34
	v_fma_f32 v33, -v33, v35, v39
	s_delay_alu instid0(VALU_DEP_1) | instskip(NEXT) | instid1(VALU_DEP_1)
	v_div_fmas_f32 v33, v33, v34, v35
	v_div_fixup_f32 v33, v33, v30, v31
	s_delay_alu instid0(VALU_DEP_1) | instskip(NEXT) | instid1(VALU_DEP_1)
	v_fmac_f32_e32 v30, v31, v33
	v_div_scale_f32 v31, null, v30, v30, 1.0
	s_delay_alu instid0(VALU_DEP_1) | instskip(SKIP_1) | instid1(TRANS32_DEP_1)
	v_rcp_f32_e32 v34, v31
	v_nop
	v_fma_f32 v35, -v31, v34, 1.0
	s_delay_alu instid0(VALU_DEP_1) | instskip(SKIP_1) | instid1(VALU_DEP_1)
	v_fmac_f32_e32 v34, v35, v34
	v_div_scale_f32 v35, vcc_lo, 1.0, v30, 1.0
	v_mul_f32_e32 v39, v35, v34
	s_delay_alu instid0(VALU_DEP_1) | instskip(NEXT) | instid1(VALU_DEP_1)
	v_fma_f32 v40, -v31, v39, v35
	v_fmac_f32_e32 v39, v40, v34
	s_delay_alu instid0(VALU_DEP_1) | instskip(NEXT) | instid1(VALU_DEP_1)
	v_fma_f32 v31, -v31, v39, v35
	v_div_fmas_f32 v31, v31, v34, v39
	s_delay_alu instid0(VALU_DEP_1) | instskip(NEXT) | instid1(VALU_DEP_1)
	v_div_fixup_f32 v30, v31, v30, 1.0
	v_mul_f32_e64 v31, v33, -v30
.LBB22_240:
	s_or_b32 exec_lo, exec_lo, s1
.LBB22_241:
	s_delay_alu instid0(SALU_CYCLE_1)
	s_or_b32 exec_lo, exec_lo, s0
	v_mov_b32_e32 v34, 11
	s_mov_b32 s0, exec_lo
	v_cmpx_ne_u32_e64 v38, v32
	s_cbranch_execz .LBB22_247
; %bb.242:
	s_mov_b32 s1, exec_lo
	v_cmpx_eq_u32_e32 11, v38
	s_cbranch_execz .LBB22_246
; %bb.243:
	v_cmp_ne_u32_e32 vcc_lo, 11, v32
	s_xor_b32 s12, s12, -1
	s_delay_alu instid0(SALU_CYCLE_1) | instskip(NEXT) | instid1(SALU_CYCLE_1)
	s_and_b32 s14, s12, vcc_lo
	s_and_saveexec_b32 s12, s14
	s_cbranch_execz .LBB22_245
; %bb.244:
	v_ashrrev_i32_e32 v33, 31, v32
	s_delay_alu instid0(VALU_DEP_1)
	v_lshl_add_u64 v[34:35], v[32:33], 2, v[26:27]
	s_clause 0x1
	global_load_b32 v33, v[34:35], off
	global_load_b32 v36, v[26:27], off offset:44
	s_wait_loadcnt 0x1
	global_store_b32 v[26:27], v33, off offset:44
	s_wait_loadcnt 0x0
	global_store_b32 v[34:35], v36, off
.LBB22_245:
	s_wait_xcnt 0x0
	s_or_b32 exec_lo, exec_lo, s12
	v_dual_mov_b32 v38, v32 :: v_dual_mov_b32 v36, v32
.LBB22_246:
	s_or_b32 exec_lo, exec_lo, s1
	s_delay_alu instid0(VALU_DEP_1)
	v_mov_b32_e32 v34, v38
.LBB22_247:
	s_or_b32 exec_lo, exec_lo, s0
	s_delay_alu instid0(VALU_DEP_1)
	v_ashrrev_i32_e32 v35, 31, v34
	s_mov_b32 s0, exec_lo
	s_wait_storecnt 0x0
	s_barrier_signal -1
	s_barrier_wait -1
	s_barrier_signal -1
	s_barrier_wait -1
	v_cmpx_gt_i32_e32 12, v34
	s_cbranch_execz .LBB22_249
; %bb.248:
	v_mul_u64_e32 v[26:27], s[10:11], v[2:3]
	v_add3_u32 v32, v36, s13, 1
	s_delay_alu instid0(VALU_DEP_2) | instskip(NEXT) | instid1(VALU_DEP_1)
	v_lshl_add_u64 v[26:27], v[26:27], 2, s[6:7]
	v_lshl_add_u64 v[26:27], s[8:9], 2, v[26:27]
	s_delay_alu instid0(VALU_DEP_1)
	v_lshl_add_u64 v[26:27], v[34:35], 2, v[26:27]
	global_store_b32 v[26:27], v32, off
.LBB22_249:
	s_wait_xcnt 0x0
	s_or_b32 exec_lo, exec_lo, s0
	s_delay_alu instid0(SALU_CYCLE_1)
	s_mov_b32 s1, exec_lo
	v_cmpx_eq_u32_e32 0, v34
	s_cbranch_execz .LBB22_252
; %bb.250:
	s_wait_kmcnt 0x0
	v_lshl_add_u64 v[2:3], v[2:3], 2, s[4:5]
	v_cmp_ne_u32_e64 s0, 0, v37
	global_load_b32 v26, v[2:3], off
	s_wait_loadcnt 0x0
	v_cmp_eq_u32_e32 vcc_lo, 0, v26
	s_and_b32 s0, vcc_lo, s0
	s_wait_xcnt 0x0
	s_and_b32 exec_lo, exec_lo, s0
	s_cbranch_execz .LBB22_252
; %bb.251:
	v_add_nc_u32_e32 v26, s13, v37
	global_store_b32 v[2:3], v26, off
.LBB22_252:
	s_wait_xcnt 0x0
	s_or_b32 exec_lo, exec_lo, s1
	v_add3_u32 v2, s2, s2, v34
	v_pk_mul_f32 v[36:37], v[30:31], v[28:29] op_sel:[1,1] op_sel_hi:[0,1]
	v_cmp_lt_i32_e32 vcc_lo, 11, v34
	s_delay_alu instid0(VALU_DEP_3) | instskip(NEXT) | instid1(VALU_DEP_3)
	v_add_nc_u32_e32 v26, s2, v2
	v_pk_fma_f32 v[40:41], v[30:31], v[28:29], v[36:37] neg_lo:[0,0,1] neg_hi:[0,0,1]
	v_pk_fma_f32 v[30:31], v[30:31], v[28:29], v[36:37] op_sel_hi:[1,0,1]
	v_lshl_add_u64 v[36:37], v[34:35], 3, v[0:1]
	v_ashrrev_i32_e32 v3, 31, v2
	s_delay_alu instid0(VALU_DEP_4) | instskip(NEXT) | instid1(VALU_DEP_4)
	v_dual_add_nc_u32 v32, s2, v26 :: v_dual_cndmask_b32 v28, v28, v40, vcc_lo
	v_cndmask_b32_e32 v29, v29, v31, vcc_lo
	s_delay_alu instid0(VALU_DEP_4) | instskip(NEXT) | instid1(VALU_DEP_4)
	v_lshl_add_u64 v[34:35], s[2:3], 3, v[36:37]
	v_lshl_add_u64 v[2:3], v[2:3], 3, v[0:1]
	s_delay_alu instid0(VALU_DEP_4)
	v_add_nc_u32_e32 v38, s2, v32
	s_clause 0x2
	global_store_b64 v[36:37], v[24:25], off
	global_store_b64 v[34:35], v[8:9], off
	;; [unrolled: 1-line block ×3, first 2 shown]
	v_dual_ashrrev_i32 v33, 31, v32 :: v_dual_add_nc_u32 v30, s2, v38
	s_wait_xcnt 0x2
	s_delay_alu instid0(VALU_DEP_1) | instskip(NEXT) | instid1(VALU_DEP_2)
	v_lshl_add_u64 v[24:25], v[32:33], 3, v[0:1]
	v_dual_add_nc_u32 v42, s2, v30 :: v_dual_ashrrev_i32 v31, 31, v30
	s_wait_xcnt 0x0
	s_delay_alu instid0(VALU_DEP_1) | instskip(NEXT) | instid1(VALU_DEP_2)
	v_add_nc_u32_e32 v2, s2, v42
	v_lshl_add_u64 v[30:31], v[30:31], 3, v[0:1]
	s_delay_alu instid0(VALU_DEP_2) | instskip(NEXT) | instid1(VALU_DEP_1)
	v_add_nc_u32_e32 v8, s2, v2
	v_dual_add_nc_u32 v32, s2, v8 :: v_dual_ashrrev_i32 v27, 31, v26
	v_ashrrev_i32_e32 v3, 31, v2
	v_dual_ashrrev_i32 v39, 31, v38 :: v_dual_ashrrev_i32 v9, 31, v8
	s_delay_alu instid0(VALU_DEP_3) | instskip(NEXT) | instid1(VALU_DEP_4)
	v_dual_ashrrev_i32 v43, 31, v42 :: v_dual_ashrrev_i32 v33, 31, v32
	v_lshl_add_u64 v[10:11], v[26:27], 3, v[0:1]
	s_delay_alu instid0(VALU_DEP_3)
	v_lshl_add_u64 v[26:27], v[38:39], 3, v[0:1]
	v_lshl_add_u64 v[2:3], v[2:3], 3, v[0:1]
	s_clause 0x3
	global_store_b64 v[10:11], v[4:5], off
	global_store_b64 v[24:25], v[22:23], off
	;; [unrolled: 1-line block ×4, first 2 shown]
	s_wait_xcnt 0x3
	v_add_nc_u32_e32 v4, s2, v32
	v_lshl_add_u64 v[10:11], v[42:43], 3, v[0:1]
	v_lshl_add_u64 v[8:9], v[8:9], 3, v[0:1]
	s_wait_xcnt 0x1
	v_lshl_add_u64 v[18:19], v[32:33], 3, v[0:1]
	v_ashrrev_i32_e32 v5, 31, v4
	s_delay_alu instid0(VALU_DEP_1)
	v_lshl_add_u64 v[0:1], v[4:5], 3, v[0:1]
	s_clause 0x4
	global_store_b64 v[10:11], v[6:7], off
	global_store_b64 v[2:3], v[16:17], off
	;; [unrolled: 1-line block ×5, first 2 shown]
.LBB22_253:
	s_endpgm
	.section	.rodata,"a",@progbits
	.p2align	6, 0x0
	.amdhsa_kernel _ZN9rocsolver6v33100L18getf2_small_kernelILi12E19rocblas_complex_numIfEiiPS3_EEvT1_T3_lS5_lPS5_llPT2_S5_S5_S7_l
		.amdhsa_group_segment_fixed_size 0
		.amdhsa_private_segment_fixed_size 0
		.amdhsa_kernarg_size 352
		.amdhsa_user_sgpr_count 2
		.amdhsa_user_sgpr_dispatch_ptr 0
		.amdhsa_user_sgpr_queue_ptr 0
		.amdhsa_user_sgpr_kernarg_segment_ptr 1
		.amdhsa_user_sgpr_dispatch_id 0
		.amdhsa_user_sgpr_kernarg_preload_length 0
		.amdhsa_user_sgpr_kernarg_preload_offset 0
		.amdhsa_user_sgpr_private_segment_size 0
		.amdhsa_wavefront_size32 1
		.amdhsa_uses_dynamic_stack 0
		.amdhsa_enable_private_segment 0
		.amdhsa_system_sgpr_workgroup_id_x 1
		.amdhsa_system_sgpr_workgroup_id_y 1
		.amdhsa_system_sgpr_workgroup_id_z 0
		.amdhsa_system_sgpr_workgroup_info 0
		.amdhsa_system_vgpr_workitem_id 1
		.amdhsa_next_free_vgpr 64
		.amdhsa_next_free_sgpr 20
		.amdhsa_named_barrier_count 0
		.amdhsa_reserve_vcc 1
		.amdhsa_float_round_mode_32 0
		.amdhsa_float_round_mode_16_64 0
		.amdhsa_float_denorm_mode_32 3
		.amdhsa_float_denorm_mode_16_64 3
		.amdhsa_fp16_overflow 0
		.amdhsa_memory_ordered 1
		.amdhsa_forward_progress 1
		.amdhsa_inst_pref_size 128
		.amdhsa_round_robin_scheduling 0
		.amdhsa_exception_fp_ieee_invalid_op 0
		.amdhsa_exception_fp_denorm_src 0
		.amdhsa_exception_fp_ieee_div_zero 0
		.amdhsa_exception_fp_ieee_overflow 0
		.amdhsa_exception_fp_ieee_underflow 0
		.amdhsa_exception_fp_ieee_inexact 0
		.amdhsa_exception_int_div_zero 0
	.end_amdhsa_kernel
	.section	.text._ZN9rocsolver6v33100L18getf2_small_kernelILi12E19rocblas_complex_numIfEiiPS3_EEvT1_T3_lS5_lPS5_llPT2_S5_S5_S7_l,"axG",@progbits,_ZN9rocsolver6v33100L18getf2_small_kernelILi12E19rocblas_complex_numIfEiiPS3_EEvT1_T3_lS5_lPS5_llPT2_S5_S5_S7_l,comdat
.Lfunc_end22:
	.size	_ZN9rocsolver6v33100L18getf2_small_kernelILi12E19rocblas_complex_numIfEiiPS3_EEvT1_T3_lS5_lPS5_llPT2_S5_S5_S7_l, .Lfunc_end22-_ZN9rocsolver6v33100L18getf2_small_kernelILi12E19rocblas_complex_numIfEiiPS3_EEvT1_T3_lS5_lPS5_llPT2_S5_S5_S7_l
                                        ; -- End function
	.set _ZN9rocsolver6v33100L18getf2_small_kernelILi12E19rocblas_complex_numIfEiiPS3_EEvT1_T3_lS5_lPS5_llPT2_S5_S5_S7_l.num_vgpr, 64
	.set _ZN9rocsolver6v33100L18getf2_small_kernelILi12E19rocblas_complex_numIfEiiPS3_EEvT1_T3_lS5_lPS5_llPT2_S5_S5_S7_l.num_agpr, 0
	.set _ZN9rocsolver6v33100L18getf2_small_kernelILi12E19rocblas_complex_numIfEiiPS3_EEvT1_T3_lS5_lPS5_llPT2_S5_S5_S7_l.numbered_sgpr, 20
	.set _ZN9rocsolver6v33100L18getf2_small_kernelILi12E19rocblas_complex_numIfEiiPS3_EEvT1_T3_lS5_lPS5_llPT2_S5_S5_S7_l.num_named_barrier, 0
	.set _ZN9rocsolver6v33100L18getf2_small_kernelILi12E19rocblas_complex_numIfEiiPS3_EEvT1_T3_lS5_lPS5_llPT2_S5_S5_S7_l.private_seg_size, 0
	.set _ZN9rocsolver6v33100L18getf2_small_kernelILi12E19rocblas_complex_numIfEiiPS3_EEvT1_T3_lS5_lPS5_llPT2_S5_S5_S7_l.uses_vcc, 1
	.set _ZN9rocsolver6v33100L18getf2_small_kernelILi12E19rocblas_complex_numIfEiiPS3_EEvT1_T3_lS5_lPS5_llPT2_S5_S5_S7_l.uses_flat_scratch, 0
	.set _ZN9rocsolver6v33100L18getf2_small_kernelILi12E19rocblas_complex_numIfEiiPS3_EEvT1_T3_lS5_lPS5_llPT2_S5_S5_S7_l.has_dyn_sized_stack, 0
	.set _ZN9rocsolver6v33100L18getf2_small_kernelILi12E19rocblas_complex_numIfEiiPS3_EEvT1_T3_lS5_lPS5_llPT2_S5_S5_S7_l.has_recursion, 0
	.set _ZN9rocsolver6v33100L18getf2_small_kernelILi12E19rocblas_complex_numIfEiiPS3_EEvT1_T3_lS5_lPS5_llPT2_S5_S5_S7_l.has_indirect_call, 0
	.section	.AMDGPU.csdata,"",@progbits
; Kernel info:
; codeLenInByte = 16360
; TotalNumSgprs: 22
; NumVgprs: 64
; ScratchSize: 0
; MemoryBound: 0
; FloatMode: 240
; IeeeMode: 1
; LDSByteSize: 0 bytes/workgroup (compile time only)
; SGPRBlocks: 0
; VGPRBlocks: 3
; NumSGPRsForWavesPerEU: 22
; NumVGPRsForWavesPerEU: 64
; NamedBarCnt: 0
; Occupancy: 16
; WaveLimiterHint : 0
; COMPUTE_PGM_RSRC2:SCRATCH_EN: 0
; COMPUTE_PGM_RSRC2:USER_SGPR: 2
; COMPUTE_PGM_RSRC2:TRAP_HANDLER: 0
; COMPUTE_PGM_RSRC2:TGID_X_EN: 1
; COMPUTE_PGM_RSRC2:TGID_Y_EN: 1
; COMPUTE_PGM_RSRC2:TGID_Z_EN: 0
; COMPUTE_PGM_RSRC2:TIDIG_COMP_CNT: 1
	.section	.text._ZN9rocsolver6v33100L23getf2_npvt_small_kernelILi12E19rocblas_complex_numIfEiiPS3_EEvT1_T3_lS5_lPT2_S5_S5_,"axG",@progbits,_ZN9rocsolver6v33100L23getf2_npvt_small_kernelILi12E19rocblas_complex_numIfEiiPS3_EEvT1_T3_lS5_lPT2_S5_S5_,comdat
	.globl	_ZN9rocsolver6v33100L23getf2_npvt_small_kernelILi12E19rocblas_complex_numIfEiiPS3_EEvT1_T3_lS5_lPT2_S5_S5_ ; -- Begin function _ZN9rocsolver6v33100L23getf2_npvt_small_kernelILi12E19rocblas_complex_numIfEiiPS3_EEvT1_T3_lS5_lPT2_S5_S5_
	.p2align	8
	.type	_ZN9rocsolver6v33100L23getf2_npvt_small_kernelILi12E19rocblas_complex_numIfEiiPS3_EEvT1_T3_lS5_lPT2_S5_S5_,@function
_ZN9rocsolver6v33100L23getf2_npvt_small_kernelILi12E19rocblas_complex_numIfEiiPS3_EEvT1_T3_lS5_lPT2_S5_S5_: ; @_ZN9rocsolver6v33100L23getf2_npvt_small_kernelILi12E19rocblas_complex_numIfEiiPS3_EEvT1_T3_lS5_lPT2_S5_S5_
; %bb.0:
	s_clause 0x1
	s_load_u16 s8, s[0:1], 0x46
	s_load_b64 s[2:3], s[0:1], 0x30
	s_bfe_u32 s4, ttmp6, 0x40010
	s_bfe_u32 s5, ttmp6, 0x40004
	s_add_co_i32 s4, s4, 1
	s_getreg_b32 s6, hwreg(HW_REG_IB_STS2, 6, 4)
	s_mul_i32 s4, ttmp7, s4
	v_bfe_u32 v50, v0, 10, 10
	s_add_co_i32 s5, s5, s4
	s_cmp_eq_u32 s6, 0
	s_cselect_b32 s4, ttmp7, s5
	s_wait_kmcnt 0x0
	v_mad_u32 v2, s4, s8, v50
	s_delay_alu instid0(VALU_DEP_1)
	v_cmp_gt_i32_e32 vcc_lo, s2, v2
	s_and_saveexec_b32 s2, vcc_lo
	s_cbranch_execz .LBB23_111
; %bb.1:
	s_clause 0x1
	s_load_b128 s[4:7], s[0:1], 0x20
	s_load_b32 s10, s[0:1], 0x18
	v_and_b32_e32 v74, 0x3ff, v0
	s_load_b128 s[12:15], s[0:1], 0x8
	v_mov_b32_e32 v9, 0
	s_mulk_i32 s8, 0x60
	v_mad_u32_u24 v76, 0x60, v50, 0
	v_lshlrev_b32_e32 v8, 3, v74
	s_wait_xcnt 0x0
	v_cmp_ne_u32_e64 s1, 0, v74
	v_cmp_eq_u32_e64 s0, 0, v74
	v_lshlrev_b32_e32 v51, 3, v50
	s_delay_alu instid0(VALU_DEP_1) | instskip(SKIP_4) | instid1(VALU_DEP_2)
	v_add3_u32 v75, 0, s8, v51
	s_wait_kmcnt 0x0
	v_add3_u32 v4, s10, s10, v74
	v_ashrrev_i32_e32 v3, 31, v2
	s_ashr_i32 s11, s10, 31
	v_add_nc_u32_e32 v6, s10, v4
	s_delay_alu instid0(VALU_DEP_2) | instskip(NEXT) | instid1(VALU_DEP_2)
	v_mul_u64_e32 v[0:1], s[4:5], v[2:3]
	v_dual_ashrrev_i32 v5, 31, v4 :: v_dual_ashrrev_i32 v7, 31, v6
	v_add_nc_u32_e32 v12, s10, v6
	s_delay_alu instid0(VALU_DEP_1) | instskip(NEXT) | instid1(VALU_DEP_1)
	v_add_nc_u32_e32 v16, s10, v12
	v_add_nc_u32_e32 v18, s10, v16
	s_delay_alu instid0(VALU_DEP_1) | instskip(NEXT) | instid1(VALU_DEP_1)
	v_dual_add_nc_u32 v20, s10, v18 :: v_dual_ashrrev_i32 v19, 31, v18
	v_add_nc_u32_e32 v22, s10, v20
	v_ashrrev_i32_e32 v13, 31, v12
	s_delay_alu instid0(VALU_DEP_2) | instskip(SKIP_2) | instid1(VALU_DEP_2)
	v_dual_ashrrev_i32 v17, 31, v16 :: v_dual_ashrrev_i32 v23, 31, v22
	v_add_nc_u32_e32 v26, s10, v22
	v_lshl_add_u64 v[0:1], v[0:1], 3, s[12:13]
	v_dual_ashrrev_i32 v21, 31, v20 :: v_dual_ashrrev_i32 v27, 31, v26
	s_delay_alu instid0(VALU_DEP_2) | instskip(SKIP_1) | instid1(VALU_DEP_2)
	v_lshl_add_u64 v[30:31], s[14:15], 3, v[0:1]
	v_add_nc_u32_e32 v28, s10, v26
	v_add_nc_u64_e32 v[14:15], v[30:31], v[8:9]
	s_delay_alu instid0(VALU_DEP_2)
	v_add_nc_u32_e32 v32, s10, v28
	v_lshl_add_u64 v[12:13], v[12:13], 3, v[30:31]
	v_lshl_add_u64 v[0:1], v[16:17], 3, v[30:31]
	;; [unrolled: 1-line block ×4, first 2 shown]
	v_ashrrev_i32_e32 v33, 31, v32
	v_ashrrev_i32_e32 v29, 31, v28
	v_lshl_add_u64 v[24:25], s[10:11], 3, v[14:15]
	v_lshl_add_u64 v[10:11], v[6:7], 3, v[30:31]
	;; [unrolled: 1-line block ×6, first 2 shown]
	s_clause 0x3
	global_load_b64 v[36:37], v[14:15], off
	global_load_b64 v[38:39], v[24:25], off
	;; [unrolled: 1-line block ×4, first 2 shown]
	v_lshl_add_u64 v[22:23], v[32:33], 3, v[30:31]
	s_clause 0x7
	global_load_b64 v[40:41], v[12:13], off
	global_load_b64 v[32:33], v[0:1], off
	;; [unrolled: 1-line block ×8, first 2 shown]
	s_wait_xcnt 0x0
	s_and_saveexec_b32 s4, s0
	s_cbranch_execz .LBB23_8
; %bb.2:
	s_wait_loadcnt 0xb
	ds_store_b64 v75, v[36:37]
	s_wait_loadcnt 0x9
	ds_store_2addr_b64 v76, v[38:39], v[28:29] offset0:1 offset1:2
	s_wait_loadcnt 0x7
	ds_store_2addr_b64 v76, v[26:27], v[40:41] offset0:3 offset1:4
	;; [unrolled: 2-line block ×5, first 2 shown]
	s_wait_loadcnt 0x0
	ds_store_b64 v76, v[42:43] offset:88
	ds_load_b64 v[50:51], v75
	s_wait_dscnt 0x0
	v_cmp_neq_f32_e32 vcc_lo, 0, v50
	v_cmp_neq_f32_e64 s2, 0, v51
	s_or_b32 s2, vcc_lo, s2
	s_delay_alu instid0(SALU_CYCLE_1)
	s_and_b32 exec_lo, exec_lo, s2
	s_cbranch_execz .LBB23_8
; %bb.3:
	v_cmp_ngt_f32_e64 s2, |v50|, |v51|
                                        ; implicit-def: $vgpr52_vgpr53
	s_and_saveexec_b32 s5, s2
	s_delay_alu instid0(SALU_CYCLE_1)
	s_xor_b32 s2, exec_lo, s5
	s_cbranch_execz .LBB23_5
; %bb.4:
	v_div_scale_f32 v52, null, v51, v51, v50
	v_div_scale_f32 v55, vcc_lo, v50, v51, v50
	s_delay_alu instid0(VALU_DEP_2) | instskip(SKIP_1) | instid1(TRANS32_DEP_1)
	v_rcp_f32_e32 v53, v52
	v_nop
	v_fma_f32 v54, -v52, v53, 1.0
	s_delay_alu instid0(VALU_DEP_1) | instskip(NEXT) | instid1(VALU_DEP_1)
	v_fmac_f32_e32 v53, v54, v53
	v_mul_f32_e32 v54, v55, v53
	s_delay_alu instid0(VALU_DEP_1) | instskip(NEXT) | instid1(VALU_DEP_1)
	v_fma_f32 v56, -v52, v54, v55
	v_fmac_f32_e32 v54, v56, v53
	s_delay_alu instid0(VALU_DEP_1) | instskip(NEXT) | instid1(VALU_DEP_1)
	v_fma_f32 v52, -v52, v54, v55
	v_div_fmas_f32 v52, v52, v53, v54
	s_delay_alu instid0(VALU_DEP_1) | instskip(NEXT) | instid1(VALU_DEP_1)
	v_div_fixup_f32 v52, v52, v51, v50
	v_fmac_f32_e32 v51, v50, v52
	s_delay_alu instid0(VALU_DEP_1) | instskip(SKIP_1) | instid1(VALU_DEP_2)
	v_div_scale_f32 v50, null, v51, v51, 1.0
	v_div_scale_f32 v55, vcc_lo, 1.0, v51, 1.0
	v_rcp_f32_e32 v53, v50
	v_nop
	s_delay_alu instid0(TRANS32_DEP_1) | instskip(NEXT) | instid1(VALU_DEP_1)
	v_fma_f32 v54, -v50, v53, 1.0
	v_fmac_f32_e32 v53, v54, v53
	s_delay_alu instid0(VALU_DEP_1) | instskip(NEXT) | instid1(VALU_DEP_1)
	v_mul_f32_e32 v54, v55, v53
	v_fma_f32 v56, -v50, v54, v55
	s_delay_alu instid0(VALU_DEP_1) | instskip(NEXT) | instid1(VALU_DEP_1)
	v_fmac_f32_e32 v54, v56, v53
	v_fma_f32 v50, -v50, v54, v55
	s_delay_alu instid0(VALU_DEP_1) | instskip(NEXT) | instid1(VALU_DEP_1)
	v_div_fmas_f32 v50, v50, v53, v54
	v_div_fixup_f32 v50, v50, v51, 1.0
	s_delay_alu instid0(VALU_DEP_1)
	v_mul_f32_e32 v52, v52, v50
	v_xor_b32_e32 v53, 0x80000000, v50
                                        ; implicit-def: $vgpr50_vgpr51
.LBB23_5:
	s_and_not1_saveexec_b32 s2, s2
	s_cbranch_execz .LBB23_7
; %bb.6:
	v_div_scale_f32 v52, null, v50, v50, v51
	v_div_scale_f32 v55, vcc_lo, v51, v50, v51
	s_delay_alu instid0(VALU_DEP_2) | instskip(SKIP_1) | instid1(TRANS32_DEP_1)
	v_rcp_f32_e32 v53, v52
	v_nop
	v_fma_f32 v54, -v52, v53, 1.0
	s_delay_alu instid0(VALU_DEP_1) | instskip(NEXT) | instid1(VALU_DEP_1)
	v_fmac_f32_e32 v53, v54, v53
	v_mul_f32_e32 v54, v55, v53
	s_delay_alu instid0(VALU_DEP_1) | instskip(NEXT) | instid1(VALU_DEP_1)
	v_fma_f32 v56, -v52, v54, v55
	v_fmac_f32_e32 v54, v56, v53
	s_delay_alu instid0(VALU_DEP_1) | instskip(NEXT) | instid1(VALU_DEP_1)
	v_fma_f32 v52, -v52, v54, v55
	v_div_fmas_f32 v52, v52, v53, v54
	s_delay_alu instid0(VALU_DEP_1) | instskip(NEXT) | instid1(VALU_DEP_1)
	v_div_fixup_f32 v53, v52, v50, v51
	v_fmac_f32_e32 v50, v51, v53
	s_delay_alu instid0(VALU_DEP_1) | instskip(NEXT) | instid1(VALU_DEP_1)
	v_div_scale_f32 v51, null, v50, v50, 1.0
	v_rcp_f32_e32 v52, v51
	v_nop
	s_delay_alu instid0(TRANS32_DEP_1) | instskip(NEXT) | instid1(VALU_DEP_1)
	v_fma_f32 v54, -v51, v52, 1.0
	v_fmac_f32_e32 v52, v54, v52
	v_div_scale_f32 v54, vcc_lo, 1.0, v50, 1.0
	s_delay_alu instid0(VALU_DEP_1) | instskip(NEXT) | instid1(VALU_DEP_1)
	v_mul_f32_e32 v55, v54, v52
	v_fma_f32 v56, -v51, v55, v54
	s_delay_alu instid0(VALU_DEP_1) | instskip(NEXT) | instid1(VALU_DEP_1)
	v_fmac_f32_e32 v55, v56, v52
	v_fma_f32 v51, -v51, v55, v54
	s_delay_alu instid0(VALU_DEP_1) | instskip(NEXT) | instid1(VALU_DEP_1)
	v_div_fmas_f32 v51, v51, v52, v55
	v_div_fixup_f32 v52, v51, v50, 1.0
	s_delay_alu instid0(VALU_DEP_1)
	v_mul_f32_e64 v53, v53, -v52
.LBB23_7:
	s_or_b32 exec_lo, exec_lo, s2
	ds_store_b64 v75, v[52:53]
.LBB23_8:
	s_or_b32 exec_lo, exec_lo, s4
	s_wait_loadcnt_dscnt 0x0
	s_barrier_signal -1
	s_barrier_wait -1
	ds_load_b64 v[50:51], v75
	s_and_saveexec_b32 s2, s1
	s_cbranch_execz .LBB23_10
; %bb.9:
	ds_load_2addr_b64 v[56:59], v76 offset0:1 offset1:2
	s_wait_dscnt 0x1
	v_pk_mul_f32 v[54:55], v[50:51], v[36:37] op_sel:[1,1] op_sel_hi:[0,1]
	s_delay_alu instid0(VALU_DEP_1) | instskip(SKIP_1) | instid1(VALU_DEP_1)
	v_pk_fma_f32 v[52:53], v[50:51], v[36:37], v[54:55] op_sel_hi:[1,0,1] neg_lo:[0,0,1] neg_hi:[0,0,1]
	v_pk_fma_f32 v[54:55], v[50:51], v[36:37], v[54:55] op_sel_hi:[1,0,1]
	v_dual_mov_b32 v36, v52 :: v_dual_mov_b32 v37, v55
	s_wait_dscnt 0x0
	s_delay_alu instid0(VALU_DEP_2) | instskip(NEXT) | instid1(VALU_DEP_1)
	v_pk_mul_f32 v[60:61], v[56:57], v[54:55] op_sel:[0,1]
	v_pk_fma_f32 v[62:63], v[56:57], v[52:53], v[60:61] op_sel:[0,0,1] op_sel_hi:[1,1,0] neg_lo:[0,0,1] neg_hi:[0,0,1]
	v_pk_fma_f32 v[56:57], v[56:57], v[52:53], v[60:61] op_sel:[0,0,1] op_sel_hi:[1,0,0]
	s_delay_alu instid0(VALU_DEP_1) | instskip(SKIP_1) | instid1(VALU_DEP_1)
	v_mov_b32_e32 v63, v57
	v_pk_mul_f32 v[56:57], v[58:59], v[54:55] op_sel:[0,1]
	v_pk_fma_f32 v[60:61], v[58:59], v[52:53], v[56:57] op_sel:[0,0,1] op_sel_hi:[1,1,0] neg_lo:[0,0,1] neg_hi:[0,0,1]
	v_pk_fma_f32 v[56:57], v[58:59], v[52:53], v[56:57] op_sel:[0,0,1] op_sel_hi:[1,0,0]
	s_delay_alu instid0(VALU_DEP_1)
	v_mov_b32_e32 v61, v57
	ds_load_2addr_b64 v[56:59], v76 offset0:3 offset1:4
	v_pk_add_f32 v[38:39], v[38:39], v[62:63] neg_lo:[0,1] neg_hi:[0,1]
	v_pk_add_f32 v[28:29], v[28:29], v[60:61] neg_lo:[0,1] neg_hi:[0,1]
	s_wait_dscnt 0x0
	v_pk_mul_f32 v[60:61], v[56:57], v[54:55] op_sel:[0,1]
	s_delay_alu instid0(VALU_DEP_1) | instskip(SKIP_2) | instid1(VALU_DEP_2)
	v_pk_fma_f32 v[62:63], v[56:57], v[52:53], v[60:61] op_sel:[0,0,1] op_sel_hi:[1,1,0] neg_lo:[0,0,1] neg_hi:[0,0,1]
	v_pk_fma_f32 v[56:57], v[56:57], v[52:53], v[60:61] op_sel:[0,0,1] op_sel_hi:[1,0,0]
	v_dual_mul_f32 v60, v59, v55 :: v_dual_mov_b32 v56, v59
	v_dual_mov_b32 v63, v57 :: v_dual_mov_b32 v57, v58
	s_delay_alu instid0(VALU_DEP_2) | instskip(SKIP_1) | instid1(VALU_DEP_3)
	v_pk_fma_f32 v[60:61], v[58:59], v[36:37], v[60:61] op_sel_hi:[1,1,0] neg_lo:[0,0,1] neg_hi:[0,0,1]
	v_mul_f32_e32 v58, v59, v52
	v_pk_add_f32 v[26:27], v[26:27], v[62:63] neg_lo:[0,1] neg_hi:[0,1]
	s_delay_alu instid0(VALU_DEP_2) | instskip(NEXT) | instid1(VALU_DEP_1)
	v_pk_fma_f32 v[56:57], v[56:57], v[36:37], v[58:59] op_sel_hi:[1,1,0]
	v_mov_b32_e32 v61, v57
	ds_load_2addr_b64 v[56:59], v76 offset0:5 offset1:6
	v_pk_add_f32 v[40:41], v[40:41], v[60:61] neg_lo:[0,1] neg_hi:[0,1]
	s_wait_dscnt 0x0
	v_pk_mul_f32 v[60:61], v[56:57], v[54:55] op_sel:[0,1]
	s_delay_alu instid0(VALU_DEP_1) | instskip(SKIP_1) | instid1(VALU_DEP_1)
	v_pk_fma_f32 v[62:63], v[56:57], v[52:53], v[60:61] op_sel:[0,0,1] op_sel_hi:[1,1,0] neg_lo:[0,0,1] neg_hi:[0,0,1]
	v_pk_fma_f32 v[56:57], v[56:57], v[52:53], v[60:61] op_sel:[0,0,1] op_sel_hi:[1,0,0]
	v_mov_b32_e32 v63, v57
	v_pk_mul_f32 v[56:57], v[58:59], v[54:55] op_sel:[0,1]
	s_delay_alu instid0(VALU_DEP_1) | instskip(SKIP_1) | instid1(VALU_DEP_1)
	v_pk_fma_f32 v[60:61], v[58:59], v[52:53], v[56:57] op_sel:[0,0,1] op_sel_hi:[1,1,0] neg_lo:[0,0,1] neg_hi:[0,0,1]
	v_pk_fma_f32 v[56:57], v[58:59], v[52:53], v[56:57] op_sel:[0,0,1] op_sel_hi:[1,0,0]
	v_mov_b32_e32 v61, v57
	ds_load_2addr_b64 v[56:59], v76 offset0:7 offset1:8
	v_pk_add_f32 v[32:33], v[32:33], v[62:63] neg_lo:[0,1] neg_hi:[0,1]
	v_pk_add_f32 v[34:35], v[34:35], v[60:61] neg_lo:[0,1] neg_hi:[0,1]
	s_wait_dscnt 0x0
	v_pk_mul_f32 v[60:61], v[56:57], v[54:55] op_sel:[0,1]
	s_delay_alu instid0(VALU_DEP_1) | instskip(SKIP_1) | instid1(VALU_DEP_1)
	v_pk_fma_f32 v[62:63], v[56:57], v[52:53], v[60:61] op_sel:[0,0,1] op_sel_hi:[1,1,0] neg_lo:[0,0,1] neg_hi:[0,0,1]
	v_pk_fma_f32 v[56:57], v[56:57], v[52:53], v[60:61] op_sel:[0,0,1] op_sel_hi:[1,0,0]
	v_mov_b32_e32 v63, v57
	v_pk_mul_f32 v[56:57], v[58:59], v[54:55] op_sel:[0,1]
	s_delay_alu instid0(VALU_DEP_1) | instskip(SKIP_1) | instid1(VALU_DEP_1)
	v_pk_fma_f32 v[60:61], v[58:59], v[52:53], v[56:57] op_sel:[0,0,1] op_sel_hi:[1,1,0] neg_lo:[0,0,1] neg_hi:[0,0,1]
	v_pk_fma_f32 v[56:57], v[58:59], v[52:53], v[56:57] op_sel:[0,0,1] op_sel_hi:[1,0,0]
	v_mov_b32_e32 v61, v57
	ds_load_2addr_b64 v[56:59], v76 offset0:9 offset1:10
	v_pk_add_f32 v[30:31], v[30:31], v[62:63] neg_lo:[0,1] neg_hi:[0,1]
	v_pk_add_f32 v[48:49], v[48:49], v[60:61] neg_lo:[0,1] neg_hi:[0,1]
	s_wait_dscnt 0x0
	v_dual_mul_f32 v60, v57, v55 :: v_dual_mul_f32 v62, v57, v52
	s_delay_alu instid0(VALU_DEP_1) | instskip(NEXT) | instid1(VALU_DEP_2)
	v_pk_fma_f32 v[60:61], v[56:57], v[36:37], v[60:61] op_sel_hi:[1,1,0] neg_lo:[0,0,1] neg_hi:[0,0,1]
	v_pk_fma_f32 v[56:57], v[56:57], v[36:37], v[62:63] op_sel:[1,0,0] op_sel_hi:[0,1,0]
	s_delay_alu instid0(VALU_DEP_1) | instskip(SKIP_1) | instid1(VALU_DEP_2)
	v_mov_b32_e32 v61, v57
	v_pk_mul_f32 v[56:57], v[58:59], v[54:55] op_sel:[0,1]
	v_pk_add_f32 v[46:47], v[46:47], v[60:61] neg_lo:[0,1] neg_hi:[0,1]
	s_delay_alu instid0(VALU_DEP_2) | instskip(SKIP_1) | instid1(VALU_DEP_1)
	v_pk_fma_f32 v[60:61], v[58:59], v[52:53], v[56:57] op_sel:[0,0,1] op_sel_hi:[1,1,0] neg_lo:[0,0,1] neg_hi:[0,0,1]
	v_pk_fma_f32 v[56:57], v[58:59], v[52:53], v[56:57] op_sel:[0,0,1] op_sel_hi:[1,0,0]
	v_mov_b32_e32 v61, v57
	ds_load_b64 v[56:57], v76 offset:88
	v_pk_add_f32 v[44:45], v[44:45], v[60:61] neg_lo:[0,1] neg_hi:[0,1]
	s_wait_dscnt 0x0
	v_pk_mul_f32 v[54:55], v[56:57], v[54:55] op_sel:[0,1]
	s_delay_alu instid0(VALU_DEP_1) | instskip(SKIP_1) | instid1(VALU_DEP_1)
	v_pk_fma_f32 v[58:59], v[56:57], v[52:53], v[54:55] op_sel:[0,0,1] op_sel_hi:[1,1,0] neg_lo:[0,0,1] neg_hi:[0,0,1]
	v_pk_fma_f32 v[52:53], v[56:57], v[52:53], v[54:55] op_sel:[0,0,1] op_sel_hi:[1,0,0]
	v_mov_b32_e32 v59, v53
	s_delay_alu instid0(VALU_DEP_1)
	v_pk_add_f32 v[42:43], v[42:43], v[58:59] neg_lo:[0,1] neg_hi:[0,1]
.LBB23_10:
	s_or_b32 exec_lo, exec_lo, s2
	s_delay_alu instid0(SALU_CYCLE_1)
	s_mov_b32 s2, exec_lo
	s_wait_dscnt 0x0
	s_barrier_signal -1
	s_barrier_wait -1
	v_cmpx_eq_u32_e32 1, v74
	s_cbranch_execz .LBB23_17
; %bb.11:
	v_dual_mov_b32 v52, v28 :: v_dual_mov_b32 v53, v29
	v_dual_mov_b32 v54, v26 :: v_dual_mov_b32 v55, v27
	;; [unrolled: 1-line block ×9, first 2 shown]
	ds_store_b64 v75, v[38:39]
	ds_store_2addr_b64 v76, v[52:53], v[54:55] offset0:2 offset1:3
	ds_store_2addr_b64 v76, v[56:57], v[58:59] offset0:4 offset1:5
	ds_store_2addr_b64 v76, v[60:61], v[62:63] offset0:6 offset1:7
	ds_store_2addr_b64 v76, v[64:65], v[66:67] offset0:8 offset1:9
	ds_store_2addr_b64 v76, v[68:69], v[42:43] offset0:10 offset1:11
	ds_load_b64 v[52:53], v75
	s_wait_dscnt 0x0
	v_cmp_neq_f32_e32 vcc_lo, 0, v52
	v_cmp_neq_f32_e64 s1, 0, v53
	s_or_b32 s1, vcc_lo, s1
	s_delay_alu instid0(SALU_CYCLE_1)
	s_and_b32 exec_lo, exec_lo, s1
	s_cbranch_execz .LBB23_17
; %bb.12:
	v_cmp_ngt_f32_e64 s1, |v52|, |v53|
                                        ; implicit-def: $vgpr54_vgpr55
	s_and_saveexec_b32 s4, s1
	s_delay_alu instid0(SALU_CYCLE_1)
	s_xor_b32 s1, exec_lo, s4
	s_cbranch_execz .LBB23_14
; %bb.13:
	v_div_scale_f32 v54, null, v53, v53, v52
	v_div_scale_f32 v57, vcc_lo, v52, v53, v52
	s_delay_alu instid0(VALU_DEP_2) | instskip(SKIP_1) | instid1(TRANS32_DEP_1)
	v_rcp_f32_e32 v55, v54
	v_nop
	v_fma_f32 v56, -v54, v55, 1.0
	s_delay_alu instid0(VALU_DEP_1) | instskip(NEXT) | instid1(VALU_DEP_1)
	v_fmac_f32_e32 v55, v56, v55
	v_mul_f32_e32 v56, v57, v55
	s_delay_alu instid0(VALU_DEP_1) | instskip(NEXT) | instid1(VALU_DEP_1)
	v_fma_f32 v58, -v54, v56, v57
	v_fmac_f32_e32 v56, v58, v55
	s_delay_alu instid0(VALU_DEP_1) | instskip(NEXT) | instid1(VALU_DEP_1)
	v_fma_f32 v54, -v54, v56, v57
	v_div_fmas_f32 v54, v54, v55, v56
	s_delay_alu instid0(VALU_DEP_1) | instskip(NEXT) | instid1(VALU_DEP_1)
	v_div_fixup_f32 v54, v54, v53, v52
	v_fmac_f32_e32 v53, v52, v54
	s_delay_alu instid0(VALU_DEP_1) | instskip(SKIP_1) | instid1(VALU_DEP_2)
	v_div_scale_f32 v52, null, v53, v53, 1.0
	v_div_scale_f32 v57, vcc_lo, 1.0, v53, 1.0
	v_rcp_f32_e32 v55, v52
	v_nop
	s_delay_alu instid0(TRANS32_DEP_1) | instskip(NEXT) | instid1(VALU_DEP_1)
	v_fma_f32 v56, -v52, v55, 1.0
	v_fmac_f32_e32 v55, v56, v55
	s_delay_alu instid0(VALU_DEP_1) | instskip(NEXT) | instid1(VALU_DEP_1)
	v_mul_f32_e32 v56, v57, v55
	v_fma_f32 v58, -v52, v56, v57
	s_delay_alu instid0(VALU_DEP_1) | instskip(NEXT) | instid1(VALU_DEP_1)
	v_fmac_f32_e32 v56, v58, v55
	v_fma_f32 v52, -v52, v56, v57
	s_delay_alu instid0(VALU_DEP_1) | instskip(NEXT) | instid1(VALU_DEP_1)
	v_div_fmas_f32 v52, v52, v55, v56
	v_div_fixup_f32 v52, v52, v53, 1.0
	s_delay_alu instid0(VALU_DEP_1)
	v_mul_f32_e32 v54, v54, v52
	v_xor_b32_e32 v55, 0x80000000, v52
                                        ; implicit-def: $vgpr52_vgpr53
.LBB23_14:
	s_and_not1_saveexec_b32 s1, s1
	s_cbranch_execz .LBB23_16
; %bb.15:
	v_div_scale_f32 v54, null, v52, v52, v53
	v_div_scale_f32 v57, vcc_lo, v53, v52, v53
	s_delay_alu instid0(VALU_DEP_2) | instskip(SKIP_1) | instid1(TRANS32_DEP_1)
	v_rcp_f32_e32 v55, v54
	v_nop
	v_fma_f32 v56, -v54, v55, 1.0
	s_delay_alu instid0(VALU_DEP_1) | instskip(NEXT) | instid1(VALU_DEP_1)
	v_fmac_f32_e32 v55, v56, v55
	v_mul_f32_e32 v56, v57, v55
	s_delay_alu instid0(VALU_DEP_1) | instskip(NEXT) | instid1(VALU_DEP_1)
	v_fma_f32 v58, -v54, v56, v57
	v_fmac_f32_e32 v56, v58, v55
	s_delay_alu instid0(VALU_DEP_1) | instskip(NEXT) | instid1(VALU_DEP_1)
	v_fma_f32 v54, -v54, v56, v57
	v_div_fmas_f32 v54, v54, v55, v56
	s_delay_alu instid0(VALU_DEP_1) | instskip(NEXT) | instid1(VALU_DEP_1)
	v_div_fixup_f32 v55, v54, v52, v53
	v_fmac_f32_e32 v52, v53, v55
	s_delay_alu instid0(VALU_DEP_1) | instskip(NEXT) | instid1(VALU_DEP_1)
	v_div_scale_f32 v53, null, v52, v52, 1.0
	v_rcp_f32_e32 v54, v53
	v_nop
	s_delay_alu instid0(TRANS32_DEP_1) | instskip(NEXT) | instid1(VALU_DEP_1)
	v_fma_f32 v56, -v53, v54, 1.0
	v_fmac_f32_e32 v54, v56, v54
	v_div_scale_f32 v56, vcc_lo, 1.0, v52, 1.0
	s_delay_alu instid0(VALU_DEP_1) | instskip(NEXT) | instid1(VALU_DEP_1)
	v_mul_f32_e32 v57, v56, v54
	v_fma_f32 v58, -v53, v57, v56
	s_delay_alu instid0(VALU_DEP_1) | instskip(NEXT) | instid1(VALU_DEP_1)
	v_fmac_f32_e32 v57, v58, v54
	v_fma_f32 v53, -v53, v57, v56
	s_delay_alu instid0(VALU_DEP_1) | instskip(NEXT) | instid1(VALU_DEP_1)
	v_div_fmas_f32 v53, v53, v54, v57
	v_div_fixup_f32 v54, v53, v52, 1.0
	s_delay_alu instid0(VALU_DEP_1)
	v_mul_f32_e64 v55, v55, -v54
.LBB23_16:
	s_or_b32 exec_lo, exec_lo, s1
	ds_store_b64 v75, v[54:55]
.LBB23_17:
	s_or_b32 exec_lo, exec_lo, s2
	s_wait_dscnt 0x0
	s_barrier_signal -1
	s_barrier_wait -1
	ds_load_b64 v[52:53], v75
	s_mov_b32 s1, exec_lo
	v_cmpx_lt_u32_e32 1, v74
	s_cbranch_execz .LBB23_19
; %bb.18:
	s_wait_dscnt 0x0
	v_pk_mul_f32 v[54:55], v[52:53], v[38:39] op_sel:[1,1] op_sel_hi:[0,1]
	s_delay_alu instid0(VALU_DEP_1)
	v_pk_fma_f32 v[58:59], v[52:53], v[38:39], v[54:55] op_sel_hi:[1,0,1] neg_lo:[0,0,1] neg_hi:[0,0,1]
	v_pk_fma_f32 v[60:61], v[52:53], v[38:39], v[54:55] op_sel_hi:[1,0,1]
	ds_load_2addr_b64 v[54:57], v76 offset0:2 offset1:3
	v_dual_mov_b32 v38, v58 :: v_dual_mov_b32 v39, v61
	s_wait_dscnt 0x0
	v_pk_mul_f32 v[62:63], v[54:55], v[60:61] op_sel:[0,1]
	s_delay_alu instid0(VALU_DEP_1) | instskip(SKIP_1) | instid1(VALU_DEP_1)
	v_pk_fma_f32 v[64:65], v[54:55], v[58:59], v[62:63] op_sel:[0,0,1] op_sel_hi:[1,1,0] neg_lo:[0,0,1] neg_hi:[0,0,1]
	v_pk_fma_f32 v[54:55], v[54:55], v[58:59], v[62:63] op_sel:[0,0,1] op_sel_hi:[1,0,0]
	v_mov_b32_e32 v65, v55
	v_pk_mul_f32 v[54:55], v[56:57], v[60:61] op_sel:[0,1]
	s_delay_alu instid0(VALU_DEP_1) | instskip(SKIP_1) | instid1(VALU_DEP_1)
	v_pk_fma_f32 v[62:63], v[56:57], v[58:59], v[54:55] op_sel:[0,0,1] op_sel_hi:[1,1,0] neg_lo:[0,0,1] neg_hi:[0,0,1]
	v_pk_fma_f32 v[54:55], v[56:57], v[58:59], v[54:55] op_sel:[0,0,1] op_sel_hi:[1,0,0]
	v_mov_b32_e32 v63, v55
	ds_load_2addr_b64 v[54:57], v76 offset0:4 offset1:5
	v_pk_add_f32 v[28:29], v[28:29], v[64:65] neg_lo:[0,1] neg_hi:[0,1]
	v_pk_add_f32 v[26:27], v[26:27], v[62:63] neg_lo:[0,1] neg_hi:[0,1]
	s_wait_dscnt 0x0
	v_pk_mul_f32 v[62:63], v[54:55], v[60:61] op_sel:[0,1]
	s_delay_alu instid0(VALU_DEP_1) | instskip(SKIP_2) | instid1(VALU_DEP_2)
	v_pk_fma_f32 v[64:65], v[54:55], v[58:59], v[62:63] op_sel:[0,0,1] op_sel_hi:[1,1,0] neg_lo:[0,0,1] neg_hi:[0,0,1]
	v_pk_fma_f32 v[54:55], v[54:55], v[58:59], v[62:63] op_sel:[0,0,1] op_sel_hi:[1,0,0]
	v_dual_mul_f32 v62, v57, v61 :: v_dual_mov_b32 v54, v57
	v_dual_mov_b32 v65, v55 :: v_dual_mov_b32 v55, v56
	s_delay_alu instid0(VALU_DEP_2) | instskip(SKIP_1) | instid1(VALU_DEP_3)
	v_pk_fma_f32 v[62:63], v[56:57], v[38:39], v[62:63] op_sel_hi:[1,1,0] neg_lo:[0,0,1] neg_hi:[0,0,1]
	v_mul_f32_e32 v56, v57, v58
	v_pk_add_f32 v[40:41], v[40:41], v[64:65] neg_lo:[0,1] neg_hi:[0,1]
	s_delay_alu instid0(VALU_DEP_2) | instskip(NEXT) | instid1(VALU_DEP_1)
	v_pk_fma_f32 v[54:55], v[54:55], v[38:39], v[56:57] op_sel_hi:[1,1,0]
	v_mov_b32_e32 v63, v55
	ds_load_2addr_b64 v[54:57], v76 offset0:6 offset1:7
	v_pk_add_f32 v[32:33], v[32:33], v[62:63] neg_lo:[0,1] neg_hi:[0,1]
	s_wait_dscnt 0x0
	v_pk_mul_f32 v[62:63], v[54:55], v[60:61] op_sel:[0,1]
	s_delay_alu instid0(VALU_DEP_1) | instskip(SKIP_1) | instid1(VALU_DEP_1)
	v_pk_fma_f32 v[64:65], v[54:55], v[58:59], v[62:63] op_sel:[0,0,1] op_sel_hi:[1,1,0] neg_lo:[0,0,1] neg_hi:[0,0,1]
	v_pk_fma_f32 v[54:55], v[54:55], v[58:59], v[62:63] op_sel:[0,0,1] op_sel_hi:[1,0,0]
	v_mov_b32_e32 v65, v55
	v_pk_mul_f32 v[54:55], v[56:57], v[60:61] op_sel:[0,1]
	s_delay_alu instid0(VALU_DEP_1) | instskip(SKIP_1) | instid1(VALU_DEP_1)
	v_pk_fma_f32 v[62:63], v[56:57], v[58:59], v[54:55] op_sel:[0,0,1] op_sel_hi:[1,1,0] neg_lo:[0,0,1] neg_hi:[0,0,1]
	v_pk_fma_f32 v[54:55], v[56:57], v[58:59], v[54:55] op_sel:[0,0,1] op_sel_hi:[1,0,0]
	v_mov_b32_e32 v63, v55
	ds_load_2addr_b64 v[54:57], v76 offset0:8 offset1:9
	v_pk_add_f32 v[34:35], v[34:35], v[64:65] neg_lo:[0,1] neg_hi:[0,1]
	v_pk_add_f32 v[30:31], v[30:31], v[62:63] neg_lo:[0,1] neg_hi:[0,1]
	s_wait_dscnt 0x0
	v_pk_mul_f32 v[62:63], v[54:55], v[60:61] op_sel:[0,1]
	s_delay_alu instid0(VALU_DEP_1) | instskip(SKIP_1) | instid1(VALU_DEP_1)
	v_pk_fma_f32 v[64:65], v[54:55], v[58:59], v[62:63] op_sel:[0,0,1] op_sel_hi:[1,1,0] neg_lo:[0,0,1] neg_hi:[0,0,1]
	v_pk_fma_f32 v[54:55], v[54:55], v[58:59], v[62:63] op_sel:[0,0,1] op_sel_hi:[1,0,0]
	v_mov_b32_e32 v65, v55
	v_pk_mul_f32 v[54:55], v[56:57], v[60:61] op_sel:[0,1]
	s_delay_alu instid0(VALU_DEP_1) | instskip(SKIP_1) | instid1(VALU_DEP_1)
	v_pk_fma_f32 v[62:63], v[56:57], v[58:59], v[54:55] op_sel:[0,0,1] op_sel_hi:[1,1,0] neg_lo:[0,0,1] neg_hi:[0,0,1]
	v_pk_fma_f32 v[54:55], v[56:57], v[58:59], v[54:55] op_sel:[0,0,1] op_sel_hi:[1,0,0]
	v_mov_b32_e32 v63, v55
	ds_load_2addr_b64 v[54:57], v76 offset0:10 offset1:11
	v_pk_add_f32 v[48:49], v[48:49], v[64:65] neg_lo:[0,1] neg_hi:[0,1]
	v_pk_add_f32 v[46:47], v[46:47], v[62:63] neg_lo:[0,1] neg_hi:[0,1]
	s_wait_dscnt 0x0
	v_dual_mul_f32 v62, v55, v61 :: v_dual_mul_f32 v64, v55, v58
	s_delay_alu instid0(VALU_DEP_1) | instskip(NEXT) | instid1(VALU_DEP_2)
	v_pk_fma_f32 v[62:63], v[54:55], v[38:39], v[62:63] op_sel_hi:[1,1,0] neg_lo:[0,0,1] neg_hi:[0,0,1]
	v_pk_fma_f32 v[54:55], v[54:55], v[38:39], v[64:65] op_sel:[1,0,0] op_sel_hi:[0,1,0]
	s_delay_alu instid0(VALU_DEP_1) | instskip(SKIP_1) | instid1(VALU_DEP_1)
	v_mov_b32_e32 v63, v55
	v_pk_mul_f32 v[54:55], v[56:57], v[60:61] op_sel:[0,1]
	v_pk_fma_f32 v[60:61], v[56:57], v[58:59], v[54:55] op_sel:[0,0,1] op_sel_hi:[1,1,0] neg_lo:[0,0,1] neg_hi:[0,0,1]
	v_pk_fma_f32 v[54:55], v[56:57], v[58:59], v[54:55] op_sel:[0,0,1] op_sel_hi:[1,0,0]
	s_delay_alu instid0(VALU_DEP_1) | instskip(SKIP_1) | instid1(VALU_DEP_2)
	v_mov_b32_e32 v61, v55
	v_pk_add_f32 v[44:45], v[44:45], v[62:63] neg_lo:[0,1] neg_hi:[0,1]
	v_pk_add_f32 v[42:43], v[42:43], v[60:61] neg_lo:[0,1] neg_hi:[0,1]
.LBB23_19:
	s_or_b32 exec_lo, exec_lo, s1
	s_delay_alu instid0(SALU_CYCLE_1)
	s_mov_b32 s2, exec_lo
	s_wait_dscnt 0x0
	s_barrier_signal -1
	s_barrier_wait -1
	v_cmpx_eq_u32_e32 2, v74
	s_cbranch_execz .LBB23_26
; %bb.20:
	ds_store_b64 v75, v[28:29]
	ds_store_2addr_b64 v76, v[26:27], v[40:41] offset0:3 offset1:4
	ds_store_2addr_b64 v76, v[32:33], v[34:35] offset0:5 offset1:6
	;; [unrolled: 1-line block ×4, first 2 shown]
	ds_store_b64 v76, v[42:43] offset:88
	ds_load_b64 v[54:55], v75
	s_wait_dscnt 0x0
	v_cmp_neq_f32_e32 vcc_lo, 0, v54
	v_cmp_neq_f32_e64 s1, 0, v55
	s_or_b32 s1, vcc_lo, s1
	s_delay_alu instid0(SALU_CYCLE_1)
	s_and_b32 exec_lo, exec_lo, s1
	s_cbranch_execz .LBB23_26
; %bb.21:
	v_cmp_ngt_f32_e64 s1, |v54|, |v55|
                                        ; implicit-def: $vgpr56_vgpr57
	s_and_saveexec_b32 s4, s1
	s_delay_alu instid0(SALU_CYCLE_1)
	s_xor_b32 s1, exec_lo, s4
	s_cbranch_execz .LBB23_23
; %bb.22:
	v_div_scale_f32 v56, null, v55, v55, v54
	v_div_scale_f32 v59, vcc_lo, v54, v55, v54
	s_delay_alu instid0(VALU_DEP_2) | instskip(SKIP_1) | instid1(TRANS32_DEP_1)
	v_rcp_f32_e32 v57, v56
	v_nop
	v_fma_f32 v58, -v56, v57, 1.0
	s_delay_alu instid0(VALU_DEP_1) | instskip(NEXT) | instid1(VALU_DEP_1)
	v_fmac_f32_e32 v57, v58, v57
	v_mul_f32_e32 v58, v59, v57
	s_delay_alu instid0(VALU_DEP_1) | instskip(NEXT) | instid1(VALU_DEP_1)
	v_fma_f32 v60, -v56, v58, v59
	v_fmac_f32_e32 v58, v60, v57
	s_delay_alu instid0(VALU_DEP_1) | instskip(NEXT) | instid1(VALU_DEP_1)
	v_fma_f32 v56, -v56, v58, v59
	v_div_fmas_f32 v56, v56, v57, v58
	s_delay_alu instid0(VALU_DEP_1) | instskip(NEXT) | instid1(VALU_DEP_1)
	v_div_fixup_f32 v56, v56, v55, v54
	v_fmac_f32_e32 v55, v54, v56
	s_delay_alu instid0(VALU_DEP_1) | instskip(SKIP_1) | instid1(VALU_DEP_2)
	v_div_scale_f32 v54, null, v55, v55, 1.0
	v_div_scale_f32 v59, vcc_lo, 1.0, v55, 1.0
	v_rcp_f32_e32 v57, v54
	v_nop
	s_delay_alu instid0(TRANS32_DEP_1) | instskip(NEXT) | instid1(VALU_DEP_1)
	v_fma_f32 v58, -v54, v57, 1.0
	v_fmac_f32_e32 v57, v58, v57
	s_delay_alu instid0(VALU_DEP_1) | instskip(NEXT) | instid1(VALU_DEP_1)
	v_mul_f32_e32 v58, v59, v57
	v_fma_f32 v60, -v54, v58, v59
	s_delay_alu instid0(VALU_DEP_1) | instskip(NEXT) | instid1(VALU_DEP_1)
	v_fmac_f32_e32 v58, v60, v57
	v_fma_f32 v54, -v54, v58, v59
	s_delay_alu instid0(VALU_DEP_1) | instskip(NEXT) | instid1(VALU_DEP_1)
	v_div_fmas_f32 v54, v54, v57, v58
	v_div_fixup_f32 v54, v54, v55, 1.0
	s_delay_alu instid0(VALU_DEP_1)
	v_mul_f32_e32 v56, v56, v54
	v_xor_b32_e32 v57, 0x80000000, v54
                                        ; implicit-def: $vgpr54_vgpr55
.LBB23_23:
	s_and_not1_saveexec_b32 s1, s1
	s_cbranch_execz .LBB23_25
; %bb.24:
	v_div_scale_f32 v56, null, v54, v54, v55
	v_div_scale_f32 v59, vcc_lo, v55, v54, v55
	s_delay_alu instid0(VALU_DEP_2) | instskip(SKIP_1) | instid1(TRANS32_DEP_1)
	v_rcp_f32_e32 v57, v56
	v_nop
	v_fma_f32 v58, -v56, v57, 1.0
	s_delay_alu instid0(VALU_DEP_1) | instskip(NEXT) | instid1(VALU_DEP_1)
	v_fmac_f32_e32 v57, v58, v57
	v_mul_f32_e32 v58, v59, v57
	s_delay_alu instid0(VALU_DEP_1) | instskip(NEXT) | instid1(VALU_DEP_1)
	v_fma_f32 v60, -v56, v58, v59
	v_fmac_f32_e32 v58, v60, v57
	s_delay_alu instid0(VALU_DEP_1) | instskip(NEXT) | instid1(VALU_DEP_1)
	v_fma_f32 v56, -v56, v58, v59
	v_div_fmas_f32 v56, v56, v57, v58
	s_delay_alu instid0(VALU_DEP_1) | instskip(NEXT) | instid1(VALU_DEP_1)
	v_div_fixup_f32 v57, v56, v54, v55
	v_fmac_f32_e32 v54, v55, v57
	s_delay_alu instid0(VALU_DEP_1) | instskip(NEXT) | instid1(VALU_DEP_1)
	v_div_scale_f32 v55, null, v54, v54, 1.0
	v_rcp_f32_e32 v56, v55
	v_nop
	s_delay_alu instid0(TRANS32_DEP_1) | instskip(NEXT) | instid1(VALU_DEP_1)
	v_fma_f32 v58, -v55, v56, 1.0
	v_fmac_f32_e32 v56, v58, v56
	v_div_scale_f32 v58, vcc_lo, 1.0, v54, 1.0
	s_delay_alu instid0(VALU_DEP_1) | instskip(NEXT) | instid1(VALU_DEP_1)
	v_mul_f32_e32 v59, v58, v56
	v_fma_f32 v60, -v55, v59, v58
	s_delay_alu instid0(VALU_DEP_1) | instskip(NEXT) | instid1(VALU_DEP_1)
	v_fmac_f32_e32 v59, v60, v56
	v_fma_f32 v55, -v55, v59, v58
	s_delay_alu instid0(VALU_DEP_1) | instskip(NEXT) | instid1(VALU_DEP_1)
	v_div_fmas_f32 v55, v55, v56, v59
	v_div_fixup_f32 v56, v55, v54, 1.0
	s_delay_alu instid0(VALU_DEP_1)
	v_mul_f32_e64 v57, v57, -v56
.LBB23_25:
	s_or_b32 exec_lo, exec_lo, s1
	ds_store_b64 v75, v[56:57]
.LBB23_26:
	s_or_b32 exec_lo, exec_lo, s2
	s_wait_dscnt 0x0
	s_barrier_signal -1
	s_barrier_wait -1
	ds_load_b64 v[54:55], v75
	s_mov_b32 s1, exec_lo
	v_cmpx_lt_u32_e32 2, v74
	s_cbranch_execz .LBB23_28
; %bb.27:
	s_wait_dscnt 0x0
	v_pk_mul_f32 v[56:57], v[54:55], v[28:29] op_sel:[1,1] op_sel_hi:[0,1]
	s_delay_alu instid0(VALU_DEP_1)
	v_pk_fma_f32 v[60:61], v[54:55], v[28:29], v[56:57] op_sel_hi:[1,0,1] neg_lo:[0,0,1] neg_hi:[0,0,1]
	v_pk_fma_f32 v[62:63], v[54:55], v[28:29], v[56:57] op_sel_hi:[1,0,1]
	ds_load_2addr_b64 v[56:59], v76 offset0:3 offset1:4
	v_dual_mov_b32 v28, v60 :: v_dual_mov_b32 v29, v63
	s_wait_dscnt 0x0
	v_pk_mul_f32 v[64:65], v[56:57], v[62:63] op_sel:[0,1]
	s_delay_alu instid0(VALU_DEP_1) | instskip(SKIP_1) | instid1(VALU_DEP_1)
	v_pk_fma_f32 v[66:67], v[56:57], v[60:61], v[64:65] op_sel:[0,0,1] op_sel_hi:[1,1,0] neg_lo:[0,0,1] neg_hi:[0,0,1]
	v_pk_fma_f32 v[56:57], v[56:57], v[60:61], v[64:65] op_sel:[0,0,1] op_sel_hi:[1,0,0]
	v_mov_b32_e32 v67, v57
	v_pk_mul_f32 v[56:57], v[58:59], v[62:63] op_sel:[0,1]
	s_delay_alu instid0(VALU_DEP_1) | instskip(SKIP_1) | instid1(VALU_DEP_1)
	v_pk_fma_f32 v[64:65], v[58:59], v[60:61], v[56:57] op_sel:[0,0,1] op_sel_hi:[1,1,0] neg_lo:[0,0,1] neg_hi:[0,0,1]
	v_pk_fma_f32 v[56:57], v[58:59], v[60:61], v[56:57] op_sel:[0,0,1] op_sel_hi:[1,0,0]
	v_mov_b32_e32 v65, v57
	ds_load_2addr_b64 v[56:59], v76 offset0:5 offset1:6
	v_pk_add_f32 v[26:27], v[26:27], v[66:67] neg_lo:[0,1] neg_hi:[0,1]
	v_pk_add_f32 v[40:41], v[40:41], v[64:65] neg_lo:[0,1] neg_hi:[0,1]
	s_wait_dscnt 0x0
	v_pk_mul_f32 v[64:65], v[56:57], v[62:63] op_sel:[0,1]
	s_delay_alu instid0(VALU_DEP_1) | instskip(SKIP_2) | instid1(VALU_DEP_2)
	v_pk_fma_f32 v[66:67], v[56:57], v[60:61], v[64:65] op_sel:[0,0,1] op_sel_hi:[1,1,0] neg_lo:[0,0,1] neg_hi:[0,0,1]
	v_pk_fma_f32 v[56:57], v[56:57], v[60:61], v[64:65] op_sel:[0,0,1] op_sel_hi:[1,0,0]
	v_dual_mul_f32 v64, v59, v63 :: v_dual_mov_b32 v56, v59
	v_dual_mov_b32 v67, v57 :: v_dual_mov_b32 v57, v58
	s_delay_alu instid0(VALU_DEP_2) | instskip(SKIP_1) | instid1(VALU_DEP_3)
	v_pk_fma_f32 v[64:65], v[58:59], v[28:29], v[64:65] op_sel_hi:[1,1,0] neg_lo:[0,0,1] neg_hi:[0,0,1]
	v_mul_f32_e32 v58, v59, v60
	v_pk_add_f32 v[32:33], v[32:33], v[66:67] neg_lo:[0,1] neg_hi:[0,1]
	s_delay_alu instid0(VALU_DEP_2) | instskip(NEXT) | instid1(VALU_DEP_1)
	v_pk_fma_f32 v[56:57], v[56:57], v[28:29], v[58:59] op_sel_hi:[1,1,0]
	v_mov_b32_e32 v65, v57
	ds_load_2addr_b64 v[56:59], v76 offset0:7 offset1:8
	v_pk_add_f32 v[34:35], v[34:35], v[64:65] neg_lo:[0,1] neg_hi:[0,1]
	s_wait_dscnt 0x0
	v_pk_mul_f32 v[64:65], v[56:57], v[62:63] op_sel:[0,1]
	s_delay_alu instid0(VALU_DEP_1) | instskip(SKIP_1) | instid1(VALU_DEP_1)
	v_pk_fma_f32 v[66:67], v[56:57], v[60:61], v[64:65] op_sel:[0,0,1] op_sel_hi:[1,1,0] neg_lo:[0,0,1] neg_hi:[0,0,1]
	v_pk_fma_f32 v[56:57], v[56:57], v[60:61], v[64:65] op_sel:[0,0,1] op_sel_hi:[1,0,0]
	v_mov_b32_e32 v67, v57
	v_pk_mul_f32 v[56:57], v[58:59], v[62:63] op_sel:[0,1]
	s_delay_alu instid0(VALU_DEP_1) | instskip(SKIP_1) | instid1(VALU_DEP_1)
	v_pk_fma_f32 v[64:65], v[58:59], v[60:61], v[56:57] op_sel:[0,0,1] op_sel_hi:[1,1,0] neg_lo:[0,0,1] neg_hi:[0,0,1]
	v_pk_fma_f32 v[56:57], v[58:59], v[60:61], v[56:57] op_sel:[0,0,1] op_sel_hi:[1,0,0]
	v_mov_b32_e32 v65, v57
	ds_load_2addr_b64 v[56:59], v76 offset0:9 offset1:10
	v_pk_add_f32 v[30:31], v[30:31], v[66:67] neg_lo:[0,1] neg_hi:[0,1]
	v_pk_add_f32 v[48:49], v[48:49], v[64:65] neg_lo:[0,1] neg_hi:[0,1]
	s_wait_dscnt 0x0
	v_pk_mul_f32 v[64:65], v[56:57], v[62:63] op_sel:[0,1]
	s_delay_alu instid0(VALU_DEP_1) | instskip(SKIP_1) | instid1(VALU_DEP_1)
	v_pk_fma_f32 v[66:67], v[56:57], v[60:61], v[64:65] op_sel:[0,0,1] op_sel_hi:[1,1,0] neg_lo:[0,0,1] neg_hi:[0,0,1]
	v_pk_fma_f32 v[56:57], v[56:57], v[60:61], v[64:65] op_sel:[0,0,1] op_sel_hi:[1,0,0]
	v_mov_b32_e32 v67, v57
	v_pk_mul_f32 v[56:57], v[58:59], v[62:63] op_sel:[0,1]
	s_delay_alu instid0(VALU_DEP_1) | instskip(SKIP_1) | instid1(VALU_DEP_1)
	v_pk_fma_f32 v[64:65], v[58:59], v[60:61], v[56:57] op_sel:[0,0,1] op_sel_hi:[1,1,0] neg_lo:[0,0,1] neg_hi:[0,0,1]
	v_pk_fma_f32 v[56:57], v[58:59], v[60:61], v[56:57] op_sel:[0,0,1] op_sel_hi:[1,0,0]
	v_mov_b32_e32 v65, v57
	ds_load_b64 v[56:57], v76 offset:88
	v_pk_add_f32 v[46:47], v[46:47], v[66:67] neg_lo:[0,1] neg_hi:[0,1]
	v_pk_add_f32 v[44:45], v[44:45], v[64:65] neg_lo:[0,1] neg_hi:[0,1]
	s_wait_dscnt 0x0
	v_pk_mul_f32 v[58:59], v[56:57], v[62:63] op_sel:[0,1]
	s_delay_alu instid0(VALU_DEP_1) | instskip(SKIP_1) | instid1(VALU_DEP_1)
	v_pk_fma_f32 v[62:63], v[56:57], v[60:61], v[58:59] op_sel:[0,0,1] op_sel_hi:[1,1,0] neg_lo:[0,0,1] neg_hi:[0,0,1]
	v_pk_fma_f32 v[56:57], v[56:57], v[60:61], v[58:59] op_sel:[0,0,1] op_sel_hi:[1,0,0]
	v_mov_b32_e32 v63, v57
	s_delay_alu instid0(VALU_DEP_1)
	v_pk_add_f32 v[42:43], v[42:43], v[62:63] neg_lo:[0,1] neg_hi:[0,1]
.LBB23_28:
	s_or_b32 exec_lo, exec_lo, s1
	s_delay_alu instid0(SALU_CYCLE_1)
	s_mov_b32 s2, exec_lo
	s_wait_dscnt 0x0
	s_barrier_signal -1
	s_barrier_wait -1
	v_cmpx_eq_u32_e32 3, v74
	s_cbranch_execz .LBB23_35
; %bb.29:
	v_dual_mov_b32 v56, v40 :: v_dual_mov_b32 v57, v41
	v_dual_mov_b32 v58, v32 :: v_dual_mov_b32 v59, v33
	v_dual_mov_b32 v60, v34 :: v_dual_mov_b32 v61, v35
	v_dual_mov_b32 v62, v30 :: v_dual_mov_b32 v63, v31
	v_dual_mov_b32 v64, v48 :: v_dual_mov_b32 v65, v49
	v_dual_mov_b32 v66, v46 :: v_dual_mov_b32 v67, v47
	v_dual_mov_b32 v68, v44 :: v_dual_mov_b32 v69, v45
	ds_store_b64 v75, v[26:27]
	ds_store_2addr_b64 v76, v[56:57], v[58:59] offset0:4 offset1:5
	ds_store_2addr_b64 v76, v[60:61], v[62:63] offset0:6 offset1:7
	;; [unrolled: 1-line block ×4, first 2 shown]
	ds_load_b64 v[56:57], v75
	s_wait_dscnt 0x0
	v_cmp_neq_f32_e32 vcc_lo, 0, v56
	v_cmp_neq_f32_e64 s1, 0, v57
	s_or_b32 s1, vcc_lo, s1
	s_delay_alu instid0(SALU_CYCLE_1)
	s_and_b32 exec_lo, exec_lo, s1
	s_cbranch_execz .LBB23_35
; %bb.30:
	v_cmp_ngt_f32_e64 s1, |v56|, |v57|
                                        ; implicit-def: $vgpr58_vgpr59
	s_and_saveexec_b32 s4, s1
	s_delay_alu instid0(SALU_CYCLE_1)
	s_xor_b32 s1, exec_lo, s4
	s_cbranch_execz .LBB23_32
; %bb.31:
	v_div_scale_f32 v58, null, v57, v57, v56
	v_div_scale_f32 v61, vcc_lo, v56, v57, v56
	s_delay_alu instid0(VALU_DEP_2) | instskip(SKIP_1) | instid1(TRANS32_DEP_1)
	v_rcp_f32_e32 v59, v58
	v_nop
	v_fma_f32 v60, -v58, v59, 1.0
	s_delay_alu instid0(VALU_DEP_1) | instskip(NEXT) | instid1(VALU_DEP_1)
	v_fmac_f32_e32 v59, v60, v59
	v_mul_f32_e32 v60, v61, v59
	s_delay_alu instid0(VALU_DEP_1) | instskip(NEXT) | instid1(VALU_DEP_1)
	v_fma_f32 v62, -v58, v60, v61
	v_fmac_f32_e32 v60, v62, v59
	s_delay_alu instid0(VALU_DEP_1) | instskip(NEXT) | instid1(VALU_DEP_1)
	v_fma_f32 v58, -v58, v60, v61
	v_div_fmas_f32 v58, v58, v59, v60
	s_delay_alu instid0(VALU_DEP_1) | instskip(NEXT) | instid1(VALU_DEP_1)
	v_div_fixup_f32 v58, v58, v57, v56
	v_fmac_f32_e32 v57, v56, v58
	s_delay_alu instid0(VALU_DEP_1) | instskip(SKIP_1) | instid1(VALU_DEP_2)
	v_div_scale_f32 v56, null, v57, v57, 1.0
	v_div_scale_f32 v61, vcc_lo, 1.0, v57, 1.0
	v_rcp_f32_e32 v59, v56
	v_nop
	s_delay_alu instid0(TRANS32_DEP_1) | instskip(NEXT) | instid1(VALU_DEP_1)
	v_fma_f32 v60, -v56, v59, 1.0
	v_fmac_f32_e32 v59, v60, v59
	s_delay_alu instid0(VALU_DEP_1) | instskip(NEXT) | instid1(VALU_DEP_1)
	v_mul_f32_e32 v60, v61, v59
	v_fma_f32 v62, -v56, v60, v61
	s_delay_alu instid0(VALU_DEP_1) | instskip(NEXT) | instid1(VALU_DEP_1)
	v_fmac_f32_e32 v60, v62, v59
	v_fma_f32 v56, -v56, v60, v61
	s_delay_alu instid0(VALU_DEP_1) | instskip(NEXT) | instid1(VALU_DEP_1)
	v_div_fmas_f32 v56, v56, v59, v60
	v_div_fixup_f32 v56, v56, v57, 1.0
	s_delay_alu instid0(VALU_DEP_1)
	v_mul_f32_e32 v58, v58, v56
	v_xor_b32_e32 v59, 0x80000000, v56
                                        ; implicit-def: $vgpr56_vgpr57
.LBB23_32:
	s_and_not1_saveexec_b32 s1, s1
	s_cbranch_execz .LBB23_34
; %bb.33:
	v_div_scale_f32 v58, null, v56, v56, v57
	v_div_scale_f32 v61, vcc_lo, v57, v56, v57
	s_delay_alu instid0(VALU_DEP_2) | instskip(SKIP_1) | instid1(TRANS32_DEP_1)
	v_rcp_f32_e32 v59, v58
	v_nop
	v_fma_f32 v60, -v58, v59, 1.0
	s_delay_alu instid0(VALU_DEP_1) | instskip(NEXT) | instid1(VALU_DEP_1)
	v_fmac_f32_e32 v59, v60, v59
	v_mul_f32_e32 v60, v61, v59
	s_delay_alu instid0(VALU_DEP_1) | instskip(NEXT) | instid1(VALU_DEP_1)
	v_fma_f32 v62, -v58, v60, v61
	v_fmac_f32_e32 v60, v62, v59
	s_delay_alu instid0(VALU_DEP_1) | instskip(NEXT) | instid1(VALU_DEP_1)
	v_fma_f32 v58, -v58, v60, v61
	v_div_fmas_f32 v58, v58, v59, v60
	s_delay_alu instid0(VALU_DEP_1) | instskip(NEXT) | instid1(VALU_DEP_1)
	v_div_fixup_f32 v59, v58, v56, v57
	v_fmac_f32_e32 v56, v57, v59
	s_delay_alu instid0(VALU_DEP_1) | instskip(NEXT) | instid1(VALU_DEP_1)
	v_div_scale_f32 v57, null, v56, v56, 1.0
	v_rcp_f32_e32 v58, v57
	v_nop
	s_delay_alu instid0(TRANS32_DEP_1) | instskip(NEXT) | instid1(VALU_DEP_1)
	v_fma_f32 v60, -v57, v58, 1.0
	v_fmac_f32_e32 v58, v60, v58
	v_div_scale_f32 v60, vcc_lo, 1.0, v56, 1.0
	s_delay_alu instid0(VALU_DEP_1) | instskip(NEXT) | instid1(VALU_DEP_1)
	v_mul_f32_e32 v61, v60, v58
	v_fma_f32 v62, -v57, v61, v60
	s_delay_alu instid0(VALU_DEP_1) | instskip(NEXT) | instid1(VALU_DEP_1)
	v_fmac_f32_e32 v61, v62, v58
	v_fma_f32 v57, -v57, v61, v60
	s_delay_alu instid0(VALU_DEP_1) | instskip(NEXT) | instid1(VALU_DEP_1)
	v_div_fmas_f32 v57, v57, v58, v61
	v_div_fixup_f32 v58, v57, v56, 1.0
	s_delay_alu instid0(VALU_DEP_1)
	v_mul_f32_e64 v59, v59, -v58
.LBB23_34:
	s_or_b32 exec_lo, exec_lo, s1
	ds_store_b64 v75, v[58:59]
.LBB23_35:
	s_or_b32 exec_lo, exec_lo, s2
	s_wait_dscnt 0x0
	s_barrier_signal -1
	s_barrier_wait -1
	ds_load_b64 v[56:57], v75
	s_mov_b32 s1, exec_lo
	v_cmpx_lt_u32_e32 3, v74
	s_cbranch_execz .LBB23_37
; %bb.36:
	s_wait_dscnt 0x0
	v_pk_mul_f32 v[58:59], v[56:57], v[26:27] op_sel:[1,1] op_sel_hi:[0,1]
	s_delay_alu instid0(VALU_DEP_1)
	v_pk_fma_f32 v[62:63], v[56:57], v[26:27], v[58:59] op_sel_hi:[1,0,1] neg_lo:[0,0,1] neg_hi:[0,0,1]
	v_pk_fma_f32 v[64:65], v[56:57], v[26:27], v[58:59] op_sel_hi:[1,0,1]
	ds_load_2addr_b64 v[58:61], v76 offset0:4 offset1:5
	v_dual_mov_b32 v26, v62 :: v_dual_mov_b32 v27, v65
	s_wait_dscnt 0x0
	v_pk_mul_f32 v[66:67], v[58:59], v[64:65] op_sel:[0,1]
	s_delay_alu instid0(VALU_DEP_1) | instskip(SKIP_1) | instid1(VALU_DEP_1)
	v_pk_fma_f32 v[68:69], v[58:59], v[62:63], v[66:67] op_sel:[0,0,1] op_sel_hi:[1,1,0] neg_lo:[0,0,1] neg_hi:[0,0,1]
	v_pk_fma_f32 v[58:59], v[58:59], v[62:63], v[66:67] op_sel:[0,0,1] op_sel_hi:[1,0,0]
	v_mov_b32_e32 v69, v59
	v_pk_mul_f32 v[58:59], v[60:61], v[64:65] op_sel:[0,1]
	s_delay_alu instid0(VALU_DEP_1) | instskip(SKIP_1) | instid1(VALU_DEP_1)
	v_pk_fma_f32 v[66:67], v[60:61], v[62:63], v[58:59] op_sel:[0,0,1] op_sel_hi:[1,1,0] neg_lo:[0,0,1] neg_hi:[0,0,1]
	v_pk_fma_f32 v[58:59], v[60:61], v[62:63], v[58:59] op_sel:[0,0,1] op_sel_hi:[1,0,0]
	v_mov_b32_e32 v67, v59
	ds_load_2addr_b64 v[58:61], v76 offset0:6 offset1:7
	v_pk_add_f32 v[40:41], v[40:41], v[68:69] neg_lo:[0,1] neg_hi:[0,1]
	v_pk_add_f32 v[32:33], v[32:33], v[66:67] neg_lo:[0,1] neg_hi:[0,1]
	s_wait_dscnt 0x0
	v_pk_mul_f32 v[66:67], v[58:59], v[64:65] op_sel:[0,1]
	s_delay_alu instid0(VALU_DEP_1) | instskip(SKIP_2) | instid1(VALU_DEP_2)
	v_pk_fma_f32 v[68:69], v[58:59], v[62:63], v[66:67] op_sel:[0,0,1] op_sel_hi:[1,1,0] neg_lo:[0,0,1] neg_hi:[0,0,1]
	v_pk_fma_f32 v[58:59], v[58:59], v[62:63], v[66:67] op_sel:[0,0,1] op_sel_hi:[1,0,0]
	v_dual_mul_f32 v66, v61, v65 :: v_dual_mov_b32 v58, v61
	v_dual_mov_b32 v69, v59 :: v_dual_mov_b32 v59, v60
	s_delay_alu instid0(VALU_DEP_2) | instskip(SKIP_1) | instid1(VALU_DEP_3)
	v_pk_fma_f32 v[66:67], v[60:61], v[26:27], v[66:67] op_sel_hi:[1,1,0] neg_lo:[0,0,1] neg_hi:[0,0,1]
	v_mul_f32_e32 v60, v61, v62
	v_pk_add_f32 v[34:35], v[34:35], v[68:69] neg_lo:[0,1] neg_hi:[0,1]
	s_delay_alu instid0(VALU_DEP_2) | instskip(NEXT) | instid1(VALU_DEP_1)
	v_pk_fma_f32 v[58:59], v[58:59], v[26:27], v[60:61] op_sel_hi:[1,1,0]
	v_mov_b32_e32 v67, v59
	ds_load_2addr_b64 v[58:61], v76 offset0:8 offset1:9
	v_pk_add_f32 v[30:31], v[30:31], v[66:67] neg_lo:[0,1] neg_hi:[0,1]
	s_wait_dscnt 0x0
	v_pk_mul_f32 v[66:67], v[58:59], v[64:65] op_sel:[0,1]
	s_delay_alu instid0(VALU_DEP_1) | instskip(SKIP_1) | instid1(VALU_DEP_1)
	v_pk_fma_f32 v[68:69], v[58:59], v[62:63], v[66:67] op_sel:[0,0,1] op_sel_hi:[1,1,0] neg_lo:[0,0,1] neg_hi:[0,0,1]
	v_pk_fma_f32 v[58:59], v[58:59], v[62:63], v[66:67] op_sel:[0,0,1] op_sel_hi:[1,0,0]
	v_mov_b32_e32 v69, v59
	v_pk_mul_f32 v[58:59], v[60:61], v[64:65] op_sel:[0,1]
	s_delay_alu instid0(VALU_DEP_1) | instskip(SKIP_1) | instid1(VALU_DEP_1)
	v_pk_fma_f32 v[66:67], v[60:61], v[62:63], v[58:59] op_sel:[0,0,1] op_sel_hi:[1,1,0] neg_lo:[0,0,1] neg_hi:[0,0,1]
	v_pk_fma_f32 v[58:59], v[60:61], v[62:63], v[58:59] op_sel:[0,0,1] op_sel_hi:[1,0,0]
	v_mov_b32_e32 v67, v59
	ds_load_2addr_b64 v[58:61], v76 offset0:10 offset1:11
	v_pk_add_f32 v[48:49], v[48:49], v[68:69] neg_lo:[0,1] neg_hi:[0,1]
	v_pk_add_f32 v[46:47], v[46:47], v[66:67] neg_lo:[0,1] neg_hi:[0,1]
	s_wait_dscnt 0x0
	v_pk_mul_f32 v[66:67], v[58:59], v[64:65] op_sel:[0,1]
	s_delay_alu instid0(VALU_DEP_1) | instskip(SKIP_1) | instid1(VALU_DEP_1)
	v_pk_fma_f32 v[68:69], v[58:59], v[62:63], v[66:67] op_sel:[0,0,1] op_sel_hi:[1,1,0] neg_lo:[0,0,1] neg_hi:[0,0,1]
	v_pk_fma_f32 v[58:59], v[58:59], v[62:63], v[66:67] op_sel:[0,0,1] op_sel_hi:[1,0,0]
	v_mov_b32_e32 v69, v59
	v_pk_mul_f32 v[58:59], v[60:61], v[64:65] op_sel:[0,1]
	s_delay_alu instid0(VALU_DEP_1) | instskip(SKIP_1) | instid1(VALU_DEP_1)
	v_pk_fma_f32 v[64:65], v[60:61], v[62:63], v[58:59] op_sel:[0,0,1] op_sel_hi:[1,1,0] neg_lo:[0,0,1] neg_hi:[0,0,1]
	v_pk_fma_f32 v[58:59], v[60:61], v[62:63], v[58:59] op_sel:[0,0,1] op_sel_hi:[1,0,0]
	v_mov_b32_e32 v65, v59
	v_pk_add_f32 v[44:45], v[44:45], v[68:69] neg_lo:[0,1] neg_hi:[0,1]
	s_delay_alu instid0(VALU_DEP_2)
	v_pk_add_f32 v[42:43], v[42:43], v[64:65] neg_lo:[0,1] neg_hi:[0,1]
.LBB23_37:
	s_or_b32 exec_lo, exec_lo, s1
	s_delay_alu instid0(SALU_CYCLE_1)
	s_mov_b32 s2, exec_lo
	s_wait_dscnt 0x0
	s_barrier_signal -1
	s_barrier_wait -1
	v_cmpx_eq_u32_e32 4, v74
	s_cbranch_execz .LBB23_44
; %bb.38:
	ds_store_b64 v75, v[40:41]
	ds_store_2addr_b64 v76, v[32:33], v[34:35] offset0:5 offset1:6
	ds_store_2addr_b64 v76, v[30:31], v[48:49] offset0:7 offset1:8
	;; [unrolled: 1-line block ×3, first 2 shown]
	ds_store_b64 v76, v[42:43] offset:88
	ds_load_b64 v[58:59], v75
	s_wait_dscnt 0x0
	v_cmp_neq_f32_e32 vcc_lo, 0, v58
	v_cmp_neq_f32_e64 s1, 0, v59
	s_or_b32 s1, vcc_lo, s1
	s_delay_alu instid0(SALU_CYCLE_1)
	s_and_b32 exec_lo, exec_lo, s1
	s_cbranch_execz .LBB23_44
; %bb.39:
	v_cmp_ngt_f32_e64 s1, |v58|, |v59|
                                        ; implicit-def: $vgpr60_vgpr61
	s_and_saveexec_b32 s4, s1
	s_delay_alu instid0(SALU_CYCLE_1)
	s_xor_b32 s1, exec_lo, s4
	s_cbranch_execz .LBB23_41
; %bb.40:
	v_div_scale_f32 v60, null, v59, v59, v58
	v_div_scale_f32 v63, vcc_lo, v58, v59, v58
	s_delay_alu instid0(VALU_DEP_2) | instskip(SKIP_1) | instid1(TRANS32_DEP_1)
	v_rcp_f32_e32 v61, v60
	v_nop
	v_fma_f32 v62, -v60, v61, 1.0
	s_delay_alu instid0(VALU_DEP_1) | instskip(NEXT) | instid1(VALU_DEP_1)
	v_fmac_f32_e32 v61, v62, v61
	v_mul_f32_e32 v62, v63, v61
	s_delay_alu instid0(VALU_DEP_1) | instskip(NEXT) | instid1(VALU_DEP_1)
	v_fma_f32 v64, -v60, v62, v63
	v_fmac_f32_e32 v62, v64, v61
	s_delay_alu instid0(VALU_DEP_1) | instskip(NEXT) | instid1(VALU_DEP_1)
	v_fma_f32 v60, -v60, v62, v63
	v_div_fmas_f32 v60, v60, v61, v62
	s_delay_alu instid0(VALU_DEP_1) | instskip(NEXT) | instid1(VALU_DEP_1)
	v_div_fixup_f32 v60, v60, v59, v58
	v_fmac_f32_e32 v59, v58, v60
	s_delay_alu instid0(VALU_DEP_1) | instskip(SKIP_1) | instid1(VALU_DEP_2)
	v_div_scale_f32 v58, null, v59, v59, 1.0
	v_div_scale_f32 v63, vcc_lo, 1.0, v59, 1.0
	v_rcp_f32_e32 v61, v58
	v_nop
	s_delay_alu instid0(TRANS32_DEP_1) | instskip(NEXT) | instid1(VALU_DEP_1)
	v_fma_f32 v62, -v58, v61, 1.0
	v_fmac_f32_e32 v61, v62, v61
	s_delay_alu instid0(VALU_DEP_1) | instskip(NEXT) | instid1(VALU_DEP_1)
	v_mul_f32_e32 v62, v63, v61
	v_fma_f32 v64, -v58, v62, v63
	s_delay_alu instid0(VALU_DEP_1) | instskip(NEXT) | instid1(VALU_DEP_1)
	v_fmac_f32_e32 v62, v64, v61
	v_fma_f32 v58, -v58, v62, v63
	s_delay_alu instid0(VALU_DEP_1) | instskip(NEXT) | instid1(VALU_DEP_1)
	v_div_fmas_f32 v58, v58, v61, v62
	v_div_fixup_f32 v58, v58, v59, 1.0
	s_delay_alu instid0(VALU_DEP_1)
	v_mul_f32_e32 v60, v60, v58
	v_xor_b32_e32 v61, 0x80000000, v58
                                        ; implicit-def: $vgpr58_vgpr59
.LBB23_41:
	s_and_not1_saveexec_b32 s1, s1
	s_cbranch_execz .LBB23_43
; %bb.42:
	v_div_scale_f32 v60, null, v58, v58, v59
	v_div_scale_f32 v63, vcc_lo, v59, v58, v59
	s_delay_alu instid0(VALU_DEP_2) | instskip(SKIP_1) | instid1(TRANS32_DEP_1)
	v_rcp_f32_e32 v61, v60
	v_nop
	v_fma_f32 v62, -v60, v61, 1.0
	s_delay_alu instid0(VALU_DEP_1) | instskip(NEXT) | instid1(VALU_DEP_1)
	v_fmac_f32_e32 v61, v62, v61
	v_mul_f32_e32 v62, v63, v61
	s_delay_alu instid0(VALU_DEP_1) | instskip(NEXT) | instid1(VALU_DEP_1)
	v_fma_f32 v64, -v60, v62, v63
	v_fmac_f32_e32 v62, v64, v61
	s_delay_alu instid0(VALU_DEP_1) | instskip(NEXT) | instid1(VALU_DEP_1)
	v_fma_f32 v60, -v60, v62, v63
	v_div_fmas_f32 v60, v60, v61, v62
	s_delay_alu instid0(VALU_DEP_1) | instskip(NEXT) | instid1(VALU_DEP_1)
	v_div_fixup_f32 v61, v60, v58, v59
	v_fmac_f32_e32 v58, v59, v61
	s_delay_alu instid0(VALU_DEP_1) | instskip(NEXT) | instid1(VALU_DEP_1)
	v_div_scale_f32 v59, null, v58, v58, 1.0
	v_rcp_f32_e32 v60, v59
	v_nop
	s_delay_alu instid0(TRANS32_DEP_1) | instskip(NEXT) | instid1(VALU_DEP_1)
	v_fma_f32 v62, -v59, v60, 1.0
	v_fmac_f32_e32 v60, v62, v60
	v_div_scale_f32 v62, vcc_lo, 1.0, v58, 1.0
	s_delay_alu instid0(VALU_DEP_1) | instskip(NEXT) | instid1(VALU_DEP_1)
	v_mul_f32_e32 v63, v62, v60
	v_fma_f32 v64, -v59, v63, v62
	s_delay_alu instid0(VALU_DEP_1) | instskip(NEXT) | instid1(VALU_DEP_1)
	v_fmac_f32_e32 v63, v64, v60
	v_fma_f32 v59, -v59, v63, v62
	s_delay_alu instid0(VALU_DEP_1) | instskip(NEXT) | instid1(VALU_DEP_1)
	v_div_fmas_f32 v59, v59, v60, v63
	v_div_fixup_f32 v60, v59, v58, 1.0
	s_delay_alu instid0(VALU_DEP_1)
	v_mul_f32_e64 v61, v61, -v60
.LBB23_43:
	s_or_b32 exec_lo, exec_lo, s1
	ds_store_b64 v75, v[60:61]
.LBB23_44:
	s_or_b32 exec_lo, exec_lo, s2
	s_wait_dscnt 0x0
	s_barrier_signal -1
	s_barrier_wait -1
	ds_load_b64 v[58:59], v75
	s_mov_b32 s1, exec_lo
	v_cmpx_lt_u32_e32 4, v74
	s_cbranch_execz .LBB23_46
; %bb.45:
	s_wait_dscnt 0x0
	v_pk_mul_f32 v[60:61], v[58:59], v[40:41] op_sel:[1,1] op_sel_hi:[0,1]
	s_delay_alu instid0(VALU_DEP_1)
	v_pk_fma_f32 v[64:65], v[58:59], v[40:41], v[60:61] op_sel_hi:[1,0,1] neg_lo:[0,0,1] neg_hi:[0,0,1]
	v_pk_fma_f32 v[66:67], v[58:59], v[40:41], v[60:61] op_sel_hi:[1,0,1]
	ds_load_2addr_b64 v[60:63], v76 offset0:5 offset1:6
	v_dual_mov_b32 v40, v64 :: v_dual_mov_b32 v41, v67
	s_wait_dscnt 0x0
	v_pk_mul_f32 v[68:69], v[60:61], v[66:67] op_sel:[0,1]
	s_delay_alu instid0(VALU_DEP_1) | instskip(SKIP_1) | instid1(VALU_DEP_1)
	v_pk_fma_f32 v[70:71], v[60:61], v[64:65], v[68:69] op_sel:[0,0,1] op_sel_hi:[1,1,0] neg_lo:[0,0,1] neg_hi:[0,0,1]
	v_pk_fma_f32 v[60:61], v[60:61], v[64:65], v[68:69] op_sel:[0,0,1] op_sel_hi:[1,0,0]
	v_mov_b32_e32 v71, v61
	v_pk_mul_f32 v[60:61], v[62:63], v[66:67] op_sel:[0,1]
	s_delay_alu instid0(VALU_DEP_1) | instskip(SKIP_1) | instid1(VALU_DEP_1)
	v_pk_fma_f32 v[68:69], v[62:63], v[64:65], v[60:61] op_sel:[0,0,1] op_sel_hi:[1,1,0] neg_lo:[0,0,1] neg_hi:[0,0,1]
	v_pk_fma_f32 v[60:61], v[62:63], v[64:65], v[60:61] op_sel:[0,0,1] op_sel_hi:[1,0,0]
	v_mov_b32_e32 v69, v61
	ds_load_2addr_b64 v[60:63], v76 offset0:7 offset1:8
	v_pk_add_f32 v[32:33], v[32:33], v[70:71] neg_lo:[0,1] neg_hi:[0,1]
	v_pk_add_f32 v[34:35], v[34:35], v[68:69] neg_lo:[0,1] neg_hi:[0,1]
	s_wait_dscnt 0x0
	v_pk_mul_f32 v[68:69], v[60:61], v[66:67] op_sel:[0,1]
	s_delay_alu instid0(VALU_DEP_1) | instskip(SKIP_2) | instid1(VALU_DEP_2)
	v_pk_fma_f32 v[70:71], v[60:61], v[64:65], v[68:69] op_sel:[0,0,1] op_sel_hi:[1,1,0] neg_lo:[0,0,1] neg_hi:[0,0,1]
	v_pk_fma_f32 v[60:61], v[60:61], v[64:65], v[68:69] op_sel:[0,0,1] op_sel_hi:[1,0,0]
	v_dual_mul_f32 v68, v63, v67 :: v_dual_mov_b32 v60, v63
	v_dual_mov_b32 v71, v61 :: v_dual_mov_b32 v61, v62
	s_delay_alu instid0(VALU_DEP_2) | instskip(SKIP_1) | instid1(VALU_DEP_3)
	v_pk_fma_f32 v[68:69], v[62:63], v[40:41], v[68:69] op_sel_hi:[1,1,0] neg_lo:[0,0,1] neg_hi:[0,0,1]
	v_mul_f32_e32 v62, v63, v64
	v_pk_add_f32 v[30:31], v[30:31], v[70:71] neg_lo:[0,1] neg_hi:[0,1]
	s_delay_alu instid0(VALU_DEP_2) | instskip(NEXT) | instid1(VALU_DEP_1)
	v_pk_fma_f32 v[60:61], v[60:61], v[40:41], v[62:63] op_sel_hi:[1,1,0]
	v_mov_b32_e32 v69, v61
	ds_load_2addr_b64 v[60:63], v76 offset0:9 offset1:10
	v_pk_add_f32 v[48:49], v[48:49], v[68:69] neg_lo:[0,1] neg_hi:[0,1]
	s_wait_dscnt 0x0
	v_pk_mul_f32 v[68:69], v[60:61], v[66:67] op_sel:[0,1]
	s_delay_alu instid0(VALU_DEP_1) | instskip(SKIP_1) | instid1(VALU_DEP_1)
	v_pk_fma_f32 v[70:71], v[60:61], v[64:65], v[68:69] op_sel:[0,0,1] op_sel_hi:[1,1,0] neg_lo:[0,0,1] neg_hi:[0,0,1]
	v_pk_fma_f32 v[60:61], v[60:61], v[64:65], v[68:69] op_sel:[0,0,1] op_sel_hi:[1,0,0]
	v_mov_b32_e32 v71, v61
	v_pk_mul_f32 v[60:61], v[62:63], v[66:67] op_sel:[0,1]
	s_delay_alu instid0(VALU_DEP_1) | instskip(SKIP_1) | instid1(VALU_DEP_1)
	v_pk_fma_f32 v[68:69], v[62:63], v[64:65], v[60:61] op_sel:[0,0,1] op_sel_hi:[1,1,0] neg_lo:[0,0,1] neg_hi:[0,0,1]
	v_pk_fma_f32 v[60:61], v[62:63], v[64:65], v[60:61] op_sel:[0,0,1] op_sel_hi:[1,0,0]
	v_mov_b32_e32 v69, v61
	ds_load_b64 v[60:61], v76 offset:88
	v_pk_add_f32 v[46:47], v[46:47], v[70:71] neg_lo:[0,1] neg_hi:[0,1]
	v_pk_add_f32 v[44:45], v[44:45], v[68:69] neg_lo:[0,1] neg_hi:[0,1]
	s_wait_dscnt 0x0
	v_pk_mul_f32 v[62:63], v[60:61], v[66:67] op_sel:[0,1]
	s_delay_alu instid0(VALU_DEP_1) | instskip(SKIP_1) | instid1(VALU_DEP_1)
	v_pk_fma_f32 v[66:67], v[60:61], v[64:65], v[62:63] op_sel:[0,0,1] op_sel_hi:[1,1,0] neg_lo:[0,0,1] neg_hi:[0,0,1]
	v_pk_fma_f32 v[60:61], v[60:61], v[64:65], v[62:63] op_sel:[0,0,1] op_sel_hi:[1,0,0]
	v_mov_b32_e32 v67, v61
	s_delay_alu instid0(VALU_DEP_1)
	v_pk_add_f32 v[42:43], v[42:43], v[66:67] neg_lo:[0,1] neg_hi:[0,1]
.LBB23_46:
	s_or_b32 exec_lo, exec_lo, s1
	s_delay_alu instid0(SALU_CYCLE_1)
	s_mov_b32 s2, exec_lo
	s_wait_dscnt 0x0
	s_barrier_signal -1
	s_barrier_wait -1
	v_cmpx_eq_u32_e32 5, v74
	s_cbranch_execz .LBB23_53
; %bb.47:
	v_dual_mov_b32 v60, v34 :: v_dual_mov_b32 v61, v35
	v_dual_mov_b32 v62, v30 :: v_dual_mov_b32 v63, v31
	;; [unrolled: 1-line block ×5, first 2 shown]
	ds_store_b64 v75, v[32:33]
	ds_store_2addr_b64 v76, v[60:61], v[62:63] offset0:6 offset1:7
	ds_store_2addr_b64 v76, v[64:65], v[66:67] offset0:8 offset1:9
	;; [unrolled: 1-line block ×3, first 2 shown]
	ds_load_b64 v[60:61], v75
	s_wait_dscnt 0x0
	v_cmp_neq_f32_e32 vcc_lo, 0, v60
	v_cmp_neq_f32_e64 s1, 0, v61
	s_or_b32 s1, vcc_lo, s1
	s_delay_alu instid0(SALU_CYCLE_1)
	s_and_b32 exec_lo, exec_lo, s1
	s_cbranch_execz .LBB23_53
; %bb.48:
	v_cmp_ngt_f32_e64 s1, |v60|, |v61|
                                        ; implicit-def: $vgpr62_vgpr63
	s_and_saveexec_b32 s4, s1
	s_delay_alu instid0(SALU_CYCLE_1)
	s_xor_b32 s1, exec_lo, s4
	s_cbranch_execz .LBB23_50
; %bb.49:
	v_div_scale_f32 v62, null, v61, v61, v60
	v_div_scale_f32 v65, vcc_lo, v60, v61, v60
	s_delay_alu instid0(VALU_DEP_2) | instskip(SKIP_1) | instid1(TRANS32_DEP_1)
	v_rcp_f32_e32 v63, v62
	v_nop
	v_fma_f32 v64, -v62, v63, 1.0
	s_delay_alu instid0(VALU_DEP_1) | instskip(NEXT) | instid1(VALU_DEP_1)
	v_fmac_f32_e32 v63, v64, v63
	v_mul_f32_e32 v64, v65, v63
	s_delay_alu instid0(VALU_DEP_1) | instskip(NEXT) | instid1(VALU_DEP_1)
	v_fma_f32 v66, -v62, v64, v65
	v_fmac_f32_e32 v64, v66, v63
	s_delay_alu instid0(VALU_DEP_1) | instskip(NEXT) | instid1(VALU_DEP_1)
	v_fma_f32 v62, -v62, v64, v65
	v_div_fmas_f32 v62, v62, v63, v64
	s_delay_alu instid0(VALU_DEP_1) | instskip(NEXT) | instid1(VALU_DEP_1)
	v_div_fixup_f32 v62, v62, v61, v60
	v_fmac_f32_e32 v61, v60, v62
	s_delay_alu instid0(VALU_DEP_1) | instskip(SKIP_1) | instid1(VALU_DEP_2)
	v_div_scale_f32 v60, null, v61, v61, 1.0
	v_div_scale_f32 v65, vcc_lo, 1.0, v61, 1.0
	v_rcp_f32_e32 v63, v60
	v_nop
	s_delay_alu instid0(TRANS32_DEP_1) | instskip(NEXT) | instid1(VALU_DEP_1)
	v_fma_f32 v64, -v60, v63, 1.0
	v_fmac_f32_e32 v63, v64, v63
	s_delay_alu instid0(VALU_DEP_1) | instskip(NEXT) | instid1(VALU_DEP_1)
	v_mul_f32_e32 v64, v65, v63
	v_fma_f32 v66, -v60, v64, v65
	s_delay_alu instid0(VALU_DEP_1) | instskip(NEXT) | instid1(VALU_DEP_1)
	v_fmac_f32_e32 v64, v66, v63
	v_fma_f32 v60, -v60, v64, v65
	s_delay_alu instid0(VALU_DEP_1) | instskip(NEXT) | instid1(VALU_DEP_1)
	v_div_fmas_f32 v60, v60, v63, v64
	v_div_fixup_f32 v60, v60, v61, 1.0
	s_delay_alu instid0(VALU_DEP_1)
	v_mul_f32_e32 v62, v62, v60
	v_xor_b32_e32 v63, 0x80000000, v60
                                        ; implicit-def: $vgpr60_vgpr61
.LBB23_50:
	s_and_not1_saveexec_b32 s1, s1
	s_cbranch_execz .LBB23_52
; %bb.51:
	v_div_scale_f32 v62, null, v60, v60, v61
	v_div_scale_f32 v65, vcc_lo, v61, v60, v61
	s_delay_alu instid0(VALU_DEP_2) | instskip(SKIP_1) | instid1(TRANS32_DEP_1)
	v_rcp_f32_e32 v63, v62
	v_nop
	v_fma_f32 v64, -v62, v63, 1.0
	s_delay_alu instid0(VALU_DEP_1) | instskip(NEXT) | instid1(VALU_DEP_1)
	v_fmac_f32_e32 v63, v64, v63
	v_mul_f32_e32 v64, v65, v63
	s_delay_alu instid0(VALU_DEP_1) | instskip(NEXT) | instid1(VALU_DEP_1)
	v_fma_f32 v66, -v62, v64, v65
	v_fmac_f32_e32 v64, v66, v63
	s_delay_alu instid0(VALU_DEP_1) | instskip(NEXT) | instid1(VALU_DEP_1)
	v_fma_f32 v62, -v62, v64, v65
	v_div_fmas_f32 v62, v62, v63, v64
	s_delay_alu instid0(VALU_DEP_1) | instskip(NEXT) | instid1(VALU_DEP_1)
	v_div_fixup_f32 v63, v62, v60, v61
	v_fmac_f32_e32 v60, v61, v63
	s_delay_alu instid0(VALU_DEP_1) | instskip(NEXT) | instid1(VALU_DEP_1)
	v_div_scale_f32 v61, null, v60, v60, 1.0
	v_rcp_f32_e32 v62, v61
	v_nop
	s_delay_alu instid0(TRANS32_DEP_1) | instskip(NEXT) | instid1(VALU_DEP_1)
	v_fma_f32 v64, -v61, v62, 1.0
	v_fmac_f32_e32 v62, v64, v62
	v_div_scale_f32 v64, vcc_lo, 1.0, v60, 1.0
	s_delay_alu instid0(VALU_DEP_1) | instskip(NEXT) | instid1(VALU_DEP_1)
	v_mul_f32_e32 v65, v64, v62
	v_fma_f32 v66, -v61, v65, v64
	s_delay_alu instid0(VALU_DEP_1) | instskip(NEXT) | instid1(VALU_DEP_1)
	v_fmac_f32_e32 v65, v66, v62
	v_fma_f32 v61, -v61, v65, v64
	s_delay_alu instid0(VALU_DEP_1) | instskip(NEXT) | instid1(VALU_DEP_1)
	v_div_fmas_f32 v61, v61, v62, v65
	v_div_fixup_f32 v62, v61, v60, 1.0
	s_delay_alu instid0(VALU_DEP_1)
	v_mul_f32_e64 v63, v63, -v62
.LBB23_52:
	s_or_b32 exec_lo, exec_lo, s1
	ds_store_b64 v75, v[62:63]
.LBB23_53:
	s_or_b32 exec_lo, exec_lo, s2
	s_wait_dscnt 0x0
	s_barrier_signal -1
	s_barrier_wait -1
	ds_load_b64 v[60:61], v75
	s_mov_b32 s1, exec_lo
	v_cmpx_lt_u32_e32 5, v74
	s_cbranch_execz .LBB23_55
; %bb.54:
	s_wait_dscnt 0x0
	v_pk_mul_f32 v[62:63], v[60:61], v[32:33] op_sel:[1,1] op_sel_hi:[0,1]
	s_delay_alu instid0(VALU_DEP_1)
	v_pk_fma_f32 v[66:67], v[60:61], v[32:33], v[62:63] op_sel_hi:[1,0,1] neg_lo:[0,0,1] neg_hi:[0,0,1]
	v_pk_fma_f32 v[68:69], v[60:61], v[32:33], v[62:63] op_sel_hi:[1,0,1]
	ds_load_2addr_b64 v[62:65], v76 offset0:6 offset1:7
	v_dual_mov_b32 v32, v66 :: v_dual_mov_b32 v33, v69
	s_wait_dscnt 0x0
	v_pk_mul_f32 v[70:71], v[62:63], v[68:69] op_sel:[0,1]
	s_delay_alu instid0(VALU_DEP_1) | instskip(SKIP_1) | instid1(VALU_DEP_1)
	v_pk_fma_f32 v[72:73], v[62:63], v[66:67], v[70:71] op_sel:[0,0,1] op_sel_hi:[1,1,0] neg_lo:[0,0,1] neg_hi:[0,0,1]
	v_pk_fma_f32 v[62:63], v[62:63], v[66:67], v[70:71] op_sel:[0,0,1] op_sel_hi:[1,0,0]
	v_mov_b32_e32 v73, v63
	v_pk_mul_f32 v[62:63], v[64:65], v[68:69] op_sel:[0,1]
	s_delay_alu instid0(VALU_DEP_1) | instskip(SKIP_1) | instid1(VALU_DEP_1)
	v_pk_fma_f32 v[70:71], v[64:65], v[66:67], v[62:63] op_sel:[0,0,1] op_sel_hi:[1,1,0] neg_lo:[0,0,1] neg_hi:[0,0,1]
	v_pk_fma_f32 v[62:63], v[64:65], v[66:67], v[62:63] op_sel:[0,0,1] op_sel_hi:[1,0,0]
	v_mov_b32_e32 v71, v63
	ds_load_2addr_b64 v[62:65], v76 offset0:8 offset1:9
	v_pk_add_f32 v[34:35], v[34:35], v[72:73] neg_lo:[0,1] neg_hi:[0,1]
	v_pk_add_f32 v[30:31], v[30:31], v[70:71] neg_lo:[0,1] neg_hi:[0,1]
	s_wait_dscnt 0x0
	v_pk_mul_f32 v[70:71], v[62:63], v[68:69] op_sel:[0,1]
	s_delay_alu instid0(VALU_DEP_1) | instskip(SKIP_2) | instid1(VALU_DEP_2)
	v_pk_fma_f32 v[72:73], v[62:63], v[66:67], v[70:71] op_sel:[0,0,1] op_sel_hi:[1,1,0] neg_lo:[0,0,1] neg_hi:[0,0,1]
	v_pk_fma_f32 v[62:63], v[62:63], v[66:67], v[70:71] op_sel:[0,0,1] op_sel_hi:[1,0,0]
	v_dual_mul_f32 v70, v65, v69 :: v_dual_mov_b32 v62, v65
	v_dual_mov_b32 v73, v63 :: v_dual_mov_b32 v63, v64
	s_delay_alu instid0(VALU_DEP_2) | instskip(SKIP_1) | instid1(VALU_DEP_3)
	v_pk_fma_f32 v[70:71], v[64:65], v[32:33], v[70:71] op_sel_hi:[1,1,0] neg_lo:[0,0,1] neg_hi:[0,0,1]
	v_mul_f32_e32 v64, v65, v66
	v_pk_add_f32 v[48:49], v[48:49], v[72:73] neg_lo:[0,1] neg_hi:[0,1]
	s_delay_alu instid0(VALU_DEP_2) | instskip(NEXT) | instid1(VALU_DEP_1)
	v_pk_fma_f32 v[62:63], v[62:63], v[32:33], v[64:65] op_sel_hi:[1,1,0]
	v_mov_b32_e32 v71, v63
	ds_load_2addr_b64 v[62:65], v76 offset0:10 offset1:11
	v_pk_add_f32 v[46:47], v[46:47], v[70:71] neg_lo:[0,1] neg_hi:[0,1]
	s_wait_dscnt 0x0
	v_pk_mul_f32 v[70:71], v[62:63], v[68:69] op_sel:[0,1]
	v_mul_f32_e32 v68, v65, v69
	s_delay_alu instid0(VALU_DEP_2) | instskip(SKIP_2) | instid1(VALU_DEP_4)
	v_pk_fma_f32 v[72:73], v[62:63], v[66:67], v[70:71] op_sel:[0,0,1] op_sel_hi:[1,1,0] neg_lo:[0,0,1] neg_hi:[0,0,1]
	v_pk_fma_f32 v[62:63], v[62:63], v[66:67], v[70:71] op_sel:[0,0,1] op_sel_hi:[1,0,0]
	v_mov_b32_e32 v62, v65
	v_pk_fma_f32 v[68:69], v[64:65], v[32:33], v[68:69] op_sel_hi:[1,1,0] neg_lo:[0,0,1] neg_hi:[0,0,1]
	s_delay_alu instid0(VALU_DEP_3) | instskip(SKIP_1) | instid1(VALU_DEP_2)
	v_dual_mov_b32 v73, v63 :: v_dual_mov_b32 v63, v64
	v_mul_f32_e32 v64, v65, v66
	v_pk_add_f32 v[44:45], v[44:45], v[72:73] neg_lo:[0,1] neg_hi:[0,1]
	s_delay_alu instid0(VALU_DEP_2) | instskip(NEXT) | instid1(VALU_DEP_1)
	v_pk_fma_f32 v[62:63], v[62:63], v[32:33], v[64:65] op_sel_hi:[1,1,0]
	v_mov_b32_e32 v69, v63
	s_delay_alu instid0(VALU_DEP_1)
	v_pk_add_f32 v[42:43], v[42:43], v[68:69] neg_lo:[0,1] neg_hi:[0,1]
.LBB23_55:
	s_or_b32 exec_lo, exec_lo, s1
	s_delay_alu instid0(SALU_CYCLE_1)
	s_mov_b32 s2, exec_lo
	s_wait_dscnt 0x0
	s_barrier_signal -1
	s_barrier_wait -1
	v_cmpx_eq_u32_e32 6, v74
	s_cbranch_execz .LBB23_62
; %bb.56:
	ds_store_b64 v75, v[34:35]
	ds_store_2addr_b64 v76, v[30:31], v[48:49] offset0:7 offset1:8
	ds_store_2addr_b64 v76, v[46:47], v[44:45] offset0:9 offset1:10
	ds_store_b64 v76, v[42:43] offset:88
	ds_load_b64 v[62:63], v75
	s_wait_dscnt 0x0
	v_cmp_neq_f32_e32 vcc_lo, 0, v62
	v_cmp_neq_f32_e64 s1, 0, v63
	s_or_b32 s1, vcc_lo, s1
	s_delay_alu instid0(SALU_CYCLE_1)
	s_and_b32 exec_lo, exec_lo, s1
	s_cbranch_execz .LBB23_62
; %bb.57:
	v_cmp_ngt_f32_e64 s1, |v62|, |v63|
                                        ; implicit-def: $vgpr64_vgpr65
	s_and_saveexec_b32 s4, s1
	s_delay_alu instid0(SALU_CYCLE_1)
	s_xor_b32 s1, exec_lo, s4
	s_cbranch_execz .LBB23_59
; %bb.58:
	v_div_scale_f32 v64, null, v63, v63, v62
	v_div_scale_f32 v67, vcc_lo, v62, v63, v62
	s_delay_alu instid0(VALU_DEP_2) | instskip(SKIP_1) | instid1(TRANS32_DEP_1)
	v_rcp_f32_e32 v65, v64
	v_nop
	v_fma_f32 v66, -v64, v65, 1.0
	s_delay_alu instid0(VALU_DEP_1) | instskip(NEXT) | instid1(VALU_DEP_1)
	v_fmac_f32_e32 v65, v66, v65
	v_mul_f32_e32 v66, v67, v65
	s_delay_alu instid0(VALU_DEP_1) | instskip(NEXT) | instid1(VALU_DEP_1)
	v_fma_f32 v68, -v64, v66, v67
	v_fmac_f32_e32 v66, v68, v65
	s_delay_alu instid0(VALU_DEP_1) | instskip(NEXT) | instid1(VALU_DEP_1)
	v_fma_f32 v64, -v64, v66, v67
	v_div_fmas_f32 v64, v64, v65, v66
	s_delay_alu instid0(VALU_DEP_1) | instskip(NEXT) | instid1(VALU_DEP_1)
	v_div_fixup_f32 v64, v64, v63, v62
	v_fmac_f32_e32 v63, v62, v64
	s_delay_alu instid0(VALU_DEP_1) | instskip(SKIP_1) | instid1(VALU_DEP_2)
	v_div_scale_f32 v62, null, v63, v63, 1.0
	v_div_scale_f32 v67, vcc_lo, 1.0, v63, 1.0
	v_rcp_f32_e32 v65, v62
	v_nop
	s_delay_alu instid0(TRANS32_DEP_1) | instskip(NEXT) | instid1(VALU_DEP_1)
	v_fma_f32 v66, -v62, v65, 1.0
	v_fmac_f32_e32 v65, v66, v65
	s_delay_alu instid0(VALU_DEP_1) | instskip(NEXT) | instid1(VALU_DEP_1)
	v_mul_f32_e32 v66, v67, v65
	v_fma_f32 v68, -v62, v66, v67
	s_delay_alu instid0(VALU_DEP_1) | instskip(NEXT) | instid1(VALU_DEP_1)
	v_fmac_f32_e32 v66, v68, v65
	v_fma_f32 v62, -v62, v66, v67
	s_delay_alu instid0(VALU_DEP_1) | instskip(NEXT) | instid1(VALU_DEP_1)
	v_div_fmas_f32 v62, v62, v65, v66
	v_div_fixup_f32 v62, v62, v63, 1.0
	s_delay_alu instid0(VALU_DEP_1)
	v_mul_f32_e32 v64, v64, v62
	v_xor_b32_e32 v65, 0x80000000, v62
                                        ; implicit-def: $vgpr62_vgpr63
.LBB23_59:
	s_and_not1_saveexec_b32 s1, s1
	s_cbranch_execz .LBB23_61
; %bb.60:
	v_div_scale_f32 v64, null, v62, v62, v63
	v_div_scale_f32 v67, vcc_lo, v63, v62, v63
	s_delay_alu instid0(VALU_DEP_2) | instskip(SKIP_1) | instid1(TRANS32_DEP_1)
	v_rcp_f32_e32 v65, v64
	v_nop
	v_fma_f32 v66, -v64, v65, 1.0
	s_delay_alu instid0(VALU_DEP_1) | instskip(NEXT) | instid1(VALU_DEP_1)
	v_fmac_f32_e32 v65, v66, v65
	v_mul_f32_e32 v66, v67, v65
	s_delay_alu instid0(VALU_DEP_1) | instskip(NEXT) | instid1(VALU_DEP_1)
	v_fma_f32 v68, -v64, v66, v67
	v_fmac_f32_e32 v66, v68, v65
	s_delay_alu instid0(VALU_DEP_1) | instskip(NEXT) | instid1(VALU_DEP_1)
	v_fma_f32 v64, -v64, v66, v67
	v_div_fmas_f32 v64, v64, v65, v66
	s_delay_alu instid0(VALU_DEP_1) | instskip(NEXT) | instid1(VALU_DEP_1)
	v_div_fixup_f32 v65, v64, v62, v63
	v_fmac_f32_e32 v62, v63, v65
	s_delay_alu instid0(VALU_DEP_1) | instskip(NEXT) | instid1(VALU_DEP_1)
	v_div_scale_f32 v63, null, v62, v62, 1.0
	v_rcp_f32_e32 v64, v63
	v_nop
	s_delay_alu instid0(TRANS32_DEP_1) | instskip(NEXT) | instid1(VALU_DEP_1)
	v_fma_f32 v66, -v63, v64, 1.0
	v_fmac_f32_e32 v64, v66, v64
	v_div_scale_f32 v66, vcc_lo, 1.0, v62, 1.0
	s_delay_alu instid0(VALU_DEP_1) | instskip(NEXT) | instid1(VALU_DEP_1)
	v_mul_f32_e32 v67, v66, v64
	v_fma_f32 v68, -v63, v67, v66
	s_delay_alu instid0(VALU_DEP_1) | instskip(NEXT) | instid1(VALU_DEP_1)
	v_fmac_f32_e32 v67, v68, v64
	v_fma_f32 v63, -v63, v67, v66
	s_delay_alu instid0(VALU_DEP_1) | instskip(NEXT) | instid1(VALU_DEP_1)
	v_div_fmas_f32 v63, v63, v64, v67
	v_div_fixup_f32 v64, v63, v62, 1.0
	s_delay_alu instid0(VALU_DEP_1)
	v_mul_f32_e64 v65, v65, -v64
.LBB23_61:
	s_or_b32 exec_lo, exec_lo, s1
	ds_store_b64 v75, v[64:65]
.LBB23_62:
	s_or_b32 exec_lo, exec_lo, s2
	s_wait_dscnt 0x0
	s_barrier_signal -1
	s_barrier_wait -1
	ds_load_b64 v[62:63], v75
	s_mov_b32 s1, exec_lo
	v_cmpx_lt_u32_e32 6, v74
	s_cbranch_execz .LBB23_64
; %bb.63:
	s_wait_dscnt 0x0
	v_pk_mul_f32 v[64:65], v[62:63], v[34:35] op_sel:[1,1] op_sel_hi:[0,1]
	s_delay_alu instid0(VALU_DEP_1)
	v_pk_fma_f32 v[68:69], v[62:63], v[34:35], v[64:65] op_sel_hi:[1,0,1] neg_lo:[0,0,1] neg_hi:[0,0,1]
	v_pk_fma_f32 v[70:71], v[62:63], v[34:35], v[64:65] op_sel_hi:[1,0,1]
	ds_load_2addr_b64 v[64:67], v76 offset0:7 offset1:8
	v_dual_mov_b32 v34, v68 :: v_dual_mov_b32 v35, v71
	s_wait_dscnt 0x0
	v_pk_mul_f32 v[72:73], v[64:65], v[70:71] op_sel:[0,1]
	s_delay_alu instid0(VALU_DEP_1) | instskip(SKIP_1) | instid1(VALU_DEP_1)
	v_pk_fma_f32 v[78:79], v[64:65], v[68:69], v[72:73] op_sel:[0,0,1] op_sel_hi:[1,1,0] neg_lo:[0,0,1] neg_hi:[0,0,1]
	v_pk_fma_f32 v[64:65], v[64:65], v[68:69], v[72:73] op_sel:[0,0,1] op_sel_hi:[1,0,0]
	v_mov_b32_e32 v79, v65
	v_pk_mul_f32 v[64:65], v[66:67], v[70:71] op_sel:[0,1]
	s_delay_alu instid0(VALU_DEP_1) | instskip(SKIP_1) | instid1(VALU_DEP_1)
	v_pk_fma_f32 v[72:73], v[66:67], v[68:69], v[64:65] op_sel:[0,0,1] op_sel_hi:[1,1,0] neg_lo:[0,0,1] neg_hi:[0,0,1]
	v_pk_fma_f32 v[64:65], v[66:67], v[68:69], v[64:65] op_sel:[0,0,1] op_sel_hi:[1,0,0]
	v_mov_b32_e32 v73, v65
	ds_load_2addr_b64 v[64:67], v76 offset0:9 offset1:10
	v_pk_add_f32 v[30:31], v[30:31], v[78:79] neg_lo:[0,1] neg_hi:[0,1]
	v_pk_add_f32 v[48:49], v[48:49], v[72:73] neg_lo:[0,1] neg_hi:[0,1]
	s_wait_dscnt 0x0
	v_pk_mul_f32 v[72:73], v[64:65], v[70:71] op_sel:[0,1]
	s_delay_alu instid0(VALU_DEP_1) | instskip(SKIP_2) | instid1(VALU_DEP_2)
	v_pk_fma_f32 v[78:79], v[64:65], v[68:69], v[72:73] op_sel:[0,0,1] op_sel_hi:[1,1,0] neg_lo:[0,0,1] neg_hi:[0,0,1]
	v_pk_fma_f32 v[64:65], v[64:65], v[68:69], v[72:73] op_sel:[0,0,1] op_sel_hi:[1,0,0]
	v_dual_mul_f32 v72, v67, v71 :: v_dual_mov_b32 v64, v67
	v_dual_mov_b32 v79, v65 :: v_dual_mov_b32 v65, v66
	s_delay_alu instid0(VALU_DEP_2) | instskip(SKIP_1) | instid1(VALU_DEP_3)
	v_pk_fma_f32 v[72:73], v[66:67], v[34:35], v[72:73] op_sel_hi:[1,1,0] neg_lo:[0,0,1] neg_hi:[0,0,1]
	v_mul_f32_e32 v66, v67, v68
	v_pk_add_f32 v[46:47], v[46:47], v[78:79] neg_lo:[0,1] neg_hi:[0,1]
	s_delay_alu instid0(VALU_DEP_2) | instskip(NEXT) | instid1(VALU_DEP_1)
	v_pk_fma_f32 v[64:65], v[64:65], v[34:35], v[66:67] op_sel_hi:[1,1,0]
	v_mov_b32_e32 v73, v65
	ds_load_b64 v[64:65], v76 offset:88
	v_pk_add_f32 v[44:45], v[44:45], v[72:73] neg_lo:[0,1] neg_hi:[0,1]
	s_wait_dscnt 0x0
	v_pk_mul_f32 v[66:67], v[64:65], v[70:71] op_sel:[0,1]
	s_delay_alu instid0(VALU_DEP_1) | instskip(SKIP_1) | instid1(VALU_DEP_1)
	v_pk_fma_f32 v[70:71], v[64:65], v[68:69], v[66:67] op_sel:[0,0,1] op_sel_hi:[1,1,0] neg_lo:[0,0,1] neg_hi:[0,0,1]
	v_pk_fma_f32 v[64:65], v[64:65], v[68:69], v[66:67] op_sel:[0,0,1] op_sel_hi:[1,0,0]
	v_mov_b32_e32 v71, v65
	s_delay_alu instid0(VALU_DEP_1)
	v_pk_add_f32 v[42:43], v[42:43], v[70:71] neg_lo:[0,1] neg_hi:[0,1]
.LBB23_64:
	s_or_b32 exec_lo, exec_lo, s1
	s_delay_alu instid0(SALU_CYCLE_1)
	s_mov_b32 s2, exec_lo
	s_wait_dscnt 0x0
	s_barrier_signal -1
	s_barrier_wait -1
	v_cmpx_eq_u32_e32 7, v74
	s_cbranch_execz .LBB23_71
; %bb.65:
	v_dual_mov_b32 v64, v48 :: v_dual_mov_b32 v65, v49
	v_dual_mov_b32 v66, v46 :: v_dual_mov_b32 v67, v47
	;; [unrolled: 1-line block ×3, first 2 shown]
	ds_store_b64 v75, v[30:31]
	ds_store_2addr_b64 v76, v[64:65], v[66:67] offset0:8 offset1:9
	ds_store_2addr_b64 v76, v[68:69], v[42:43] offset0:10 offset1:11
	ds_load_b64 v[64:65], v75
	s_wait_dscnt 0x0
	v_cmp_neq_f32_e32 vcc_lo, 0, v64
	v_cmp_neq_f32_e64 s1, 0, v65
	s_or_b32 s1, vcc_lo, s1
	s_delay_alu instid0(SALU_CYCLE_1)
	s_and_b32 exec_lo, exec_lo, s1
	s_cbranch_execz .LBB23_71
; %bb.66:
	v_cmp_ngt_f32_e64 s1, |v64|, |v65|
                                        ; implicit-def: $vgpr66_vgpr67
	s_and_saveexec_b32 s4, s1
	s_delay_alu instid0(SALU_CYCLE_1)
	s_xor_b32 s1, exec_lo, s4
	s_cbranch_execz .LBB23_68
; %bb.67:
	v_div_scale_f32 v66, null, v65, v65, v64
	v_div_scale_f32 v69, vcc_lo, v64, v65, v64
	s_delay_alu instid0(VALU_DEP_2) | instskip(SKIP_1) | instid1(TRANS32_DEP_1)
	v_rcp_f32_e32 v67, v66
	v_nop
	v_fma_f32 v68, -v66, v67, 1.0
	s_delay_alu instid0(VALU_DEP_1) | instskip(NEXT) | instid1(VALU_DEP_1)
	v_fmac_f32_e32 v67, v68, v67
	v_mul_f32_e32 v68, v69, v67
	s_delay_alu instid0(VALU_DEP_1) | instskip(NEXT) | instid1(VALU_DEP_1)
	v_fma_f32 v70, -v66, v68, v69
	v_fmac_f32_e32 v68, v70, v67
	s_delay_alu instid0(VALU_DEP_1) | instskip(NEXT) | instid1(VALU_DEP_1)
	v_fma_f32 v66, -v66, v68, v69
	v_div_fmas_f32 v66, v66, v67, v68
	s_delay_alu instid0(VALU_DEP_1) | instskip(NEXT) | instid1(VALU_DEP_1)
	v_div_fixup_f32 v66, v66, v65, v64
	v_fmac_f32_e32 v65, v64, v66
	s_delay_alu instid0(VALU_DEP_1) | instskip(SKIP_1) | instid1(VALU_DEP_2)
	v_div_scale_f32 v64, null, v65, v65, 1.0
	v_div_scale_f32 v69, vcc_lo, 1.0, v65, 1.0
	v_rcp_f32_e32 v67, v64
	v_nop
	s_delay_alu instid0(TRANS32_DEP_1) | instskip(NEXT) | instid1(VALU_DEP_1)
	v_fma_f32 v68, -v64, v67, 1.0
	v_fmac_f32_e32 v67, v68, v67
	s_delay_alu instid0(VALU_DEP_1) | instskip(NEXT) | instid1(VALU_DEP_1)
	v_mul_f32_e32 v68, v69, v67
	v_fma_f32 v70, -v64, v68, v69
	s_delay_alu instid0(VALU_DEP_1) | instskip(NEXT) | instid1(VALU_DEP_1)
	v_fmac_f32_e32 v68, v70, v67
	v_fma_f32 v64, -v64, v68, v69
	s_delay_alu instid0(VALU_DEP_1) | instskip(NEXT) | instid1(VALU_DEP_1)
	v_div_fmas_f32 v64, v64, v67, v68
	v_div_fixup_f32 v64, v64, v65, 1.0
	s_delay_alu instid0(VALU_DEP_1)
	v_mul_f32_e32 v66, v66, v64
	v_xor_b32_e32 v67, 0x80000000, v64
                                        ; implicit-def: $vgpr64_vgpr65
.LBB23_68:
	s_and_not1_saveexec_b32 s1, s1
	s_cbranch_execz .LBB23_70
; %bb.69:
	v_div_scale_f32 v66, null, v64, v64, v65
	v_div_scale_f32 v69, vcc_lo, v65, v64, v65
	s_delay_alu instid0(VALU_DEP_2) | instskip(SKIP_1) | instid1(TRANS32_DEP_1)
	v_rcp_f32_e32 v67, v66
	v_nop
	v_fma_f32 v68, -v66, v67, 1.0
	s_delay_alu instid0(VALU_DEP_1) | instskip(NEXT) | instid1(VALU_DEP_1)
	v_fmac_f32_e32 v67, v68, v67
	v_mul_f32_e32 v68, v69, v67
	s_delay_alu instid0(VALU_DEP_1) | instskip(NEXT) | instid1(VALU_DEP_1)
	v_fma_f32 v70, -v66, v68, v69
	v_fmac_f32_e32 v68, v70, v67
	s_delay_alu instid0(VALU_DEP_1) | instskip(NEXT) | instid1(VALU_DEP_1)
	v_fma_f32 v66, -v66, v68, v69
	v_div_fmas_f32 v66, v66, v67, v68
	s_delay_alu instid0(VALU_DEP_1) | instskip(NEXT) | instid1(VALU_DEP_1)
	v_div_fixup_f32 v67, v66, v64, v65
	v_fmac_f32_e32 v64, v65, v67
	s_delay_alu instid0(VALU_DEP_1) | instskip(NEXT) | instid1(VALU_DEP_1)
	v_div_scale_f32 v65, null, v64, v64, 1.0
	v_rcp_f32_e32 v66, v65
	v_nop
	s_delay_alu instid0(TRANS32_DEP_1) | instskip(NEXT) | instid1(VALU_DEP_1)
	v_fma_f32 v68, -v65, v66, 1.0
	v_fmac_f32_e32 v66, v68, v66
	v_div_scale_f32 v68, vcc_lo, 1.0, v64, 1.0
	s_delay_alu instid0(VALU_DEP_1) | instskip(NEXT) | instid1(VALU_DEP_1)
	v_mul_f32_e32 v69, v68, v66
	v_fma_f32 v70, -v65, v69, v68
	s_delay_alu instid0(VALU_DEP_1) | instskip(NEXT) | instid1(VALU_DEP_1)
	v_fmac_f32_e32 v69, v70, v66
	v_fma_f32 v65, -v65, v69, v68
	s_delay_alu instid0(VALU_DEP_1) | instskip(NEXT) | instid1(VALU_DEP_1)
	v_div_fmas_f32 v65, v65, v66, v69
	v_div_fixup_f32 v66, v65, v64, 1.0
	s_delay_alu instid0(VALU_DEP_1)
	v_mul_f32_e64 v67, v67, -v66
.LBB23_70:
	s_or_b32 exec_lo, exec_lo, s1
	ds_store_b64 v75, v[66:67]
.LBB23_71:
	s_or_b32 exec_lo, exec_lo, s2
	s_wait_dscnt 0x0
	s_barrier_signal -1
	s_barrier_wait -1
	ds_load_b64 v[64:65], v75
	s_mov_b32 s1, exec_lo
	v_cmpx_lt_u32_e32 7, v74
	s_cbranch_execz .LBB23_73
; %bb.72:
	ds_load_2addr_b64 v[66:69], v76 offset0:8 offset1:9
	ds_load_2addr_b64 v[70:73], v76 offset0:10 offset1:11
	s_wait_dscnt 0x2
	v_pk_mul_f32 v[78:79], v[64:65], v[30:31] op_sel:[1,1] op_sel_hi:[0,1]
	s_delay_alu instid0(VALU_DEP_1) | instskip(SKIP_1) | instid1(VALU_DEP_1)
	v_pk_fma_f32 v[80:81], v[64:65], v[30:31], v[78:79] op_sel_hi:[1,0,1] neg_lo:[0,0,1] neg_hi:[0,0,1]
	v_pk_fma_f32 v[78:79], v[64:65], v[30:31], v[78:79] op_sel_hi:[1,0,1]
	v_dual_mov_b32 v30, v80 :: v_dual_mov_b32 v31, v79
	s_wait_dscnt 0x1
	s_delay_alu instid0(VALU_DEP_2)
	v_pk_mul_f32 v[82:83], v[66:67], v[78:79] op_sel:[0,1]
	s_wait_dscnt 0x0
	v_mov_b32_e32 v84, v73
	v_pk_mul_f32 v[86:87], v[68:69], v[78:79] op_sel:[0,1]
	v_pk_mul_f32 v[88:89], v[70:71], v[78:79] op_sel:[0,1]
	v_pk_fma_f32 v[90:91], v[66:67], v[80:81], v[82:83] op_sel:[0,0,1] op_sel_hi:[1,1,0] neg_lo:[0,0,1] neg_hi:[0,0,1]
	v_pk_fma_f32 v[66:67], v[66:67], v[80:81], v[82:83] op_sel:[0,0,1] op_sel_hi:[1,0,0]
	s_delay_alu instid0(VALU_DEP_1) | instskip(NEXT) | instid1(VALU_DEP_1)
	v_dual_mov_b32 v85, v72 :: v_dual_mov_b32 v91, v67
	v_pk_mul_f32 v[82:83], v[84:85], v[78:79] op_sel:[0,1]
	v_pk_fma_f32 v[84:85], v[68:69], v[80:81], v[86:87] op_sel:[0,0,1] op_sel_hi:[1,0,0]
	v_pk_fma_f32 v[68:69], v[68:69], v[80:81], v[86:87] op_sel:[0,0,1] op_sel_hi:[1,1,0] neg_lo:[0,0,1] neg_hi:[0,0,1]
	v_pk_fma_f32 v[86:87], v[70:71], v[80:81], v[88:89] op_sel:[0,0,1] op_sel_hi:[1,0,0]
	v_pk_fma_f32 v[70:71], v[70:71], v[80:81], v[88:89] op_sel:[0,0,1] op_sel_hi:[1,1,0] neg_lo:[0,0,1] neg_hi:[0,0,1]
	v_pk_fma_f32 v[66:67], v[72:73], v[80:81], v[82:83] op_sel_hi:[1,0,1]
	v_pk_fma_f32 v[72:73], v[72:73], v[80:81], v[82:83] neg_lo:[0,0,1] neg_hi:[0,0,1]
	s_delay_alu instid0(VALU_DEP_4) | instskip(SKIP_1) | instid1(VALU_DEP_4)
	v_dual_mov_b32 v69, v85 :: v_dual_mov_b32 v71, v87
	v_pk_add_f32 v[48:49], v[48:49], v[90:91] neg_lo:[0,1] neg_hi:[0,1]
	v_mov_b32_e32 v73, v67
	s_delay_alu instid0(VALU_DEP_3) | instskip(NEXT) | instid1(VALU_DEP_4)
	v_pk_add_f32 v[46:47], v[46:47], v[68:69] neg_lo:[0,1] neg_hi:[0,1]
	v_pk_add_f32 v[44:45], v[44:45], v[70:71] neg_lo:[0,1] neg_hi:[0,1]
	s_delay_alu instid0(VALU_DEP_3)
	v_pk_add_f32 v[42:43], v[42:43], v[72:73] neg_lo:[0,1] neg_hi:[0,1]
.LBB23_73:
	s_or_b32 exec_lo, exec_lo, s1
	s_delay_alu instid0(SALU_CYCLE_1)
	s_mov_b32 s2, exec_lo
	s_wait_dscnt 0x0
	s_barrier_signal -1
	s_barrier_wait -1
	v_cmpx_eq_u32_e32 8, v74
	s_cbranch_execz .LBB23_80
; %bb.74:
	ds_store_b64 v75, v[48:49]
	ds_store_2addr_b64 v76, v[46:47], v[44:45] offset0:9 offset1:10
	ds_store_b64 v76, v[42:43] offset:88
	ds_load_b64 v[66:67], v75
	s_wait_dscnt 0x0
	v_cmp_neq_f32_e32 vcc_lo, 0, v66
	v_cmp_neq_f32_e64 s1, 0, v67
	s_or_b32 s1, vcc_lo, s1
	s_delay_alu instid0(SALU_CYCLE_1)
	s_and_b32 exec_lo, exec_lo, s1
	s_cbranch_execz .LBB23_80
; %bb.75:
	v_cmp_ngt_f32_e64 s1, |v66|, |v67|
                                        ; implicit-def: $vgpr68_vgpr69
	s_and_saveexec_b32 s4, s1
	s_delay_alu instid0(SALU_CYCLE_1)
	s_xor_b32 s1, exec_lo, s4
	s_cbranch_execz .LBB23_77
; %bb.76:
	v_div_scale_f32 v68, null, v67, v67, v66
	v_div_scale_f32 v71, vcc_lo, v66, v67, v66
	s_delay_alu instid0(VALU_DEP_2) | instskip(SKIP_1) | instid1(TRANS32_DEP_1)
	v_rcp_f32_e32 v69, v68
	v_nop
	v_fma_f32 v70, -v68, v69, 1.0
	s_delay_alu instid0(VALU_DEP_1) | instskip(NEXT) | instid1(VALU_DEP_1)
	v_fmac_f32_e32 v69, v70, v69
	v_mul_f32_e32 v70, v71, v69
	s_delay_alu instid0(VALU_DEP_1) | instskip(NEXT) | instid1(VALU_DEP_1)
	v_fma_f32 v72, -v68, v70, v71
	v_fmac_f32_e32 v70, v72, v69
	s_delay_alu instid0(VALU_DEP_1) | instskip(NEXT) | instid1(VALU_DEP_1)
	v_fma_f32 v68, -v68, v70, v71
	v_div_fmas_f32 v68, v68, v69, v70
	s_delay_alu instid0(VALU_DEP_1) | instskip(NEXT) | instid1(VALU_DEP_1)
	v_div_fixup_f32 v68, v68, v67, v66
	v_fmac_f32_e32 v67, v66, v68
	s_delay_alu instid0(VALU_DEP_1) | instskip(SKIP_1) | instid1(VALU_DEP_2)
	v_div_scale_f32 v66, null, v67, v67, 1.0
	v_div_scale_f32 v71, vcc_lo, 1.0, v67, 1.0
	v_rcp_f32_e32 v69, v66
	v_nop
	s_delay_alu instid0(TRANS32_DEP_1) | instskip(NEXT) | instid1(VALU_DEP_1)
	v_fma_f32 v70, -v66, v69, 1.0
	v_fmac_f32_e32 v69, v70, v69
	s_delay_alu instid0(VALU_DEP_1) | instskip(NEXT) | instid1(VALU_DEP_1)
	v_mul_f32_e32 v70, v71, v69
	v_fma_f32 v72, -v66, v70, v71
	s_delay_alu instid0(VALU_DEP_1) | instskip(NEXT) | instid1(VALU_DEP_1)
	v_fmac_f32_e32 v70, v72, v69
	v_fma_f32 v66, -v66, v70, v71
	s_delay_alu instid0(VALU_DEP_1) | instskip(NEXT) | instid1(VALU_DEP_1)
	v_div_fmas_f32 v66, v66, v69, v70
	v_div_fixup_f32 v66, v66, v67, 1.0
	s_delay_alu instid0(VALU_DEP_1)
	v_mul_f32_e32 v68, v68, v66
	v_xor_b32_e32 v69, 0x80000000, v66
                                        ; implicit-def: $vgpr66_vgpr67
.LBB23_77:
	s_and_not1_saveexec_b32 s1, s1
	s_cbranch_execz .LBB23_79
; %bb.78:
	v_div_scale_f32 v68, null, v66, v66, v67
	v_div_scale_f32 v71, vcc_lo, v67, v66, v67
	s_delay_alu instid0(VALU_DEP_2) | instskip(SKIP_1) | instid1(TRANS32_DEP_1)
	v_rcp_f32_e32 v69, v68
	v_nop
	v_fma_f32 v70, -v68, v69, 1.0
	s_delay_alu instid0(VALU_DEP_1) | instskip(NEXT) | instid1(VALU_DEP_1)
	v_fmac_f32_e32 v69, v70, v69
	v_mul_f32_e32 v70, v71, v69
	s_delay_alu instid0(VALU_DEP_1) | instskip(NEXT) | instid1(VALU_DEP_1)
	v_fma_f32 v72, -v68, v70, v71
	v_fmac_f32_e32 v70, v72, v69
	s_delay_alu instid0(VALU_DEP_1) | instskip(NEXT) | instid1(VALU_DEP_1)
	v_fma_f32 v68, -v68, v70, v71
	v_div_fmas_f32 v68, v68, v69, v70
	s_delay_alu instid0(VALU_DEP_1) | instskip(NEXT) | instid1(VALU_DEP_1)
	v_div_fixup_f32 v69, v68, v66, v67
	v_fmac_f32_e32 v66, v67, v69
	s_delay_alu instid0(VALU_DEP_1) | instskip(NEXT) | instid1(VALU_DEP_1)
	v_div_scale_f32 v67, null, v66, v66, 1.0
	v_rcp_f32_e32 v68, v67
	v_nop
	s_delay_alu instid0(TRANS32_DEP_1) | instskip(NEXT) | instid1(VALU_DEP_1)
	v_fma_f32 v70, -v67, v68, 1.0
	v_fmac_f32_e32 v68, v70, v68
	v_div_scale_f32 v70, vcc_lo, 1.0, v66, 1.0
	s_delay_alu instid0(VALU_DEP_1) | instskip(NEXT) | instid1(VALU_DEP_1)
	v_mul_f32_e32 v71, v70, v68
	v_fma_f32 v72, -v67, v71, v70
	s_delay_alu instid0(VALU_DEP_1) | instskip(NEXT) | instid1(VALU_DEP_1)
	v_fmac_f32_e32 v71, v72, v68
	v_fma_f32 v67, -v67, v71, v70
	s_delay_alu instid0(VALU_DEP_1) | instskip(NEXT) | instid1(VALU_DEP_1)
	v_div_fmas_f32 v67, v67, v68, v71
	v_div_fixup_f32 v68, v67, v66, 1.0
	s_delay_alu instid0(VALU_DEP_1)
	v_mul_f32_e64 v69, v69, -v68
.LBB23_79:
	s_or_b32 exec_lo, exec_lo, s1
	ds_store_b64 v75, v[68:69]
.LBB23_80:
	s_or_b32 exec_lo, exec_lo, s2
	s_wait_dscnt 0x0
	s_barrier_signal -1
	s_barrier_wait -1
	ds_load_b64 v[66:67], v75
	s_mov_b32 s1, exec_lo
	v_cmpx_lt_u32_e32 8, v74
	s_cbranch_execz .LBB23_82
; %bb.81:
	ds_load_2addr_b64 v[68:71], v76 offset0:9 offset1:10
	ds_load_b64 v[72:73], v76 offset:88
	s_wait_dscnt 0x2
	v_pk_mul_f32 v[78:79], v[66:67], v[48:49] op_sel:[1,1] op_sel_hi:[0,1]
	s_delay_alu instid0(VALU_DEP_1) | instskip(SKIP_2) | instid1(VALU_DEP_2)
	v_pk_fma_f32 v[80:81], v[66:67], v[48:49], v[78:79] op_sel_hi:[1,0,1]
	v_pk_fma_f32 v[48:49], v[66:67], v[48:49], v[78:79] op_sel_hi:[1,0,1] neg_lo:[0,0,1] neg_hi:[0,0,1]
	s_wait_dscnt 0x1
	v_pk_mul_f32 v[78:79], v[68:69], v[80:81] op_sel:[0,1]
	v_pk_mul_f32 v[82:83], v[70:71], v[80:81] op_sel:[0,1]
	s_wait_dscnt 0x0
	v_pk_mul_f32 v[84:85], v[72:73], v[80:81] op_sel:[1,1] op_sel_hi:[0,1]
	s_delay_alu instid0(VALU_DEP_3) | instskip(SKIP_2) | instid1(VALU_DEP_4)
	v_pk_fma_f32 v[86:87], v[68:69], v[48:49], v[78:79] op_sel:[0,0,1] op_sel_hi:[1,1,0] neg_lo:[0,0,1] neg_hi:[0,0,1]
	v_pk_fma_f32 v[68:69], v[68:69], v[48:49], v[78:79] op_sel:[0,0,1] op_sel_hi:[1,0,0]
	v_pk_fma_f32 v[78:79], v[70:71], v[48:49], v[82:83] op_sel:[0,0,1] op_sel_hi:[1,0,0]
	v_pk_fma_f32 v[88:89], v[72:73], v[48:49], v[84:85] op_sel_hi:[1,0,1]
	v_pk_fma_f32 v[70:71], v[70:71], v[48:49], v[82:83] op_sel:[0,0,1] op_sel_hi:[1,1,0] neg_lo:[0,0,1] neg_hi:[0,0,1]
	v_pk_fma_f32 v[72:73], v[72:73], v[48:49], v[84:85] neg_lo:[0,0,1] neg_hi:[0,0,1]
	s_delay_alu instid0(VALU_DEP_4) | instskip(NEXT) | instid1(VALU_DEP_4)
	v_dual_mov_b32 v87, v69 :: v_dual_mov_b32 v71, v79
	v_dual_mov_b32 v73, v89 :: v_dual_mov_b32 v49, v81
	s_delay_alu instid0(VALU_DEP_2) | instskip(NEXT) | instid1(VALU_DEP_3)
	v_pk_add_f32 v[46:47], v[46:47], v[86:87] neg_lo:[0,1] neg_hi:[0,1]
	v_pk_add_f32 v[44:45], v[44:45], v[70:71] neg_lo:[0,1] neg_hi:[0,1]
	s_delay_alu instid0(VALU_DEP_3)
	v_pk_add_f32 v[42:43], v[42:43], v[72:73] neg_lo:[0,1] neg_hi:[0,1]
.LBB23_82:
	s_or_b32 exec_lo, exec_lo, s1
	s_delay_alu instid0(SALU_CYCLE_1)
	s_mov_b32 s2, exec_lo
	s_wait_dscnt 0x0
	s_barrier_signal -1
	s_barrier_wait -1
	v_cmpx_eq_u32_e32 9, v74
	s_cbranch_execz .LBB23_89
; %bb.83:
	v_dual_mov_b32 v68, v44 :: v_dual_mov_b32 v69, v45
	ds_store_b64 v75, v[46:47]
	ds_store_2addr_b64 v76, v[68:69], v[42:43] offset0:10 offset1:11
	ds_load_b64 v[68:69], v75
	s_wait_dscnt 0x0
	v_cmp_neq_f32_e32 vcc_lo, 0, v68
	v_cmp_neq_f32_e64 s1, 0, v69
	s_or_b32 s1, vcc_lo, s1
	s_delay_alu instid0(SALU_CYCLE_1)
	s_and_b32 exec_lo, exec_lo, s1
	s_cbranch_execz .LBB23_89
; %bb.84:
	v_cmp_ngt_f32_e64 s1, |v68|, |v69|
                                        ; implicit-def: $vgpr70_vgpr71
	s_and_saveexec_b32 s4, s1
	s_delay_alu instid0(SALU_CYCLE_1)
	s_xor_b32 s1, exec_lo, s4
	s_cbranch_execz .LBB23_86
; %bb.85:
	v_div_scale_f32 v70, null, v69, v69, v68
	v_div_scale_f32 v73, vcc_lo, v68, v69, v68
	s_delay_alu instid0(VALU_DEP_2) | instskip(SKIP_1) | instid1(TRANS32_DEP_1)
	v_rcp_f32_e32 v71, v70
	v_nop
	v_fma_f32 v72, -v70, v71, 1.0
	s_delay_alu instid0(VALU_DEP_1) | instskip(NEXT) | instid1(VALU_DEP_1)
	v_fmac_f32_e32 v71, v72, v71
	v_mul_f32_e32 v72, v73, v71
	s_delay_alu instid0(VALU_DEP_1) | instskip(NEXT) | instid1(VALU_DEP_1)
	v_fma_f32 v77, -v70, v72, v73
	v_fmac_f32_e32 v72, v77, v71
	s_delay_alu instid0(VALU_DEP_1) | instskip(NEXT) | instid1(VALU_DEP_1)
	v_fma_f32 v70, -v70, v72, v73
	v_div_fmas_f32 v70, v70, v71, v72
	s_delay_alu instid0(VALU_DEP_1) | instskip(NEXT) | instid1(VALU_DEP_1)
	v_div_fixup_f32 v70, v70, v69, v68
	v_fmac_f32_e32 v69, v68, v70
	s_delay_alu instid0(VALU_DEP_1) | instskip(SKIP_1) | instid1(VALU_DEP_2)
	v_div_scale_f32 v68, null, v69, v69, 1.0
	v_div_scale_f32 v73, vcc_lo, 1.0, v69, 1.0
	v_rcp_f32_e32 v71, v68
	v_nop
	s_delay_alu instid0(TRANS32_DEP_1) | instskip(NEXT) | instid1(VALU_DEP_1)
	v_fma_f32 v72, -v68, v71, 1.0
	v_fmac_f32_e32 v71, v72, v71
	s_delay_alu instid0(VALU_DEP_1) | instskip(NEXT) | instid1(VALU_DEP_1)
	v_mul_f32_e32 v72, v73, v71
	v_fma_f32 v77, -v68, v72, v73
	s_delay_alu instid0(VALU_DEP_1) | instskip(NEXT) | instid1(VALU_DEP_1)
	v_fmac_f32_e32 v72, v77, v71
	v_fma_f32 v68, -v68, v72, v73
	s_delay_alu instid0(VALU_DEP_1) | instskip(NEXT) | instid1(VALU_DEP_1)
	v_div_fmas_f32 v68, v68, v71, v72
	v_div_fixup_f32 v68, v68, v69, 1.0
	s_delay_alu instid0(VALU_DEP_1)
	v_mul_f32_e32 v70, v70, v68
	v_xor_b32_e32 v71, 0x80000000, v68
                                        ; implicit-def: $vgpr68_vgpr69
.LBB23_86:
	s_and_not1_saveexec_b32 s1, s1
	s_cbranch_execz .LBB23_88
; %bb.87:
	v_div_scale_f32 v70, null, v68, v68, v69
	v_div_scale_f32 v73, vcc_lo, v69, v68, v69
	s_delay_alu instid0(VALU_DEP_2) | instskip(SKIP_1) | instid1(TRANS32_DEP_1)
	v_rcp_f32_e32 v71, v70
	v_nop
	v_fma_f32 v72, -v70, v71, 1.0
	s_delay_alu instid0(VALU_DEP_1) | instskip(NEXT) | instid1(VALU_DEP_1)
	v_fmac_f32_e32 v71, v72, v71
	v_mul_f32_e32 v72, v73, v71
	s_delay_alu instid0(VALU_DEP_1) | instskip(NEXT) | instid1(VALU_DEP_1)
	v_fma_f32 v77, -v70, v72, v73
	v_fmac_f32_e32 v72, v77, v71
	s_delay_alu instid0(VALU_DEP_1) | instskip(NEXT) | instid1(VALU_DEP_1)
	v_fma_f32 v70, -v70, v72, v73
	v_div_fmas_f32 v70, v70, v71, v72
	s_delay_alu instid0(VALU_DEP_1) | instskip(NEXT) | instid1(VALU_DEP_1)
	v_div_fixup_f32 v71, v70, v68, v69
	v_fmac_f32_e32 v68, v69, v71
	s_delay_alu instid0(VALU_DEP_1) | instskip(NEXT) | instid1(VALU_DEP_1)
	v_div_scale_f32 v69, null, v68, v68, 1.0
	v_rcp_f32_e32 v70, v69
	v_nop
	s_delay_alu instid0(TRANS32_DEP_1) | instskip(NEXT) | instid1(VALU_DEP_1)
	v_fma_f32 v72, -v69, v70, 1.0
	v_fmac_f32_e32 v70, v72, v70
	v_div_scale_f32 v72, vcc_lo, 1.0, v68, 1.0
	s_delay_alu instid0(VALU_DEP_1) | instskip(NEXT) | instid1(VALU_DEP_1)
	v_mul_f32_e32 v73, v72, v70
	v_fma_f32 v77, -v69, v73, v72
	s_delay_alu instid0(VALU_DEP_1) | instskip(NEXT) | instid1(VALU_DEP_1)
	v_fmac_f32_e32 v73, v77, v70
	v_fma_f32 v69, -v69, v73, v72
	s_delay_alu instid0(VALU_DEP_1) | instskip(NEXT) | instid1(VALU_DEP_1)
	v_div_fmas_f32 v69, v69, v70, v73
	v_div_fixup_f32 v70, v69, v68, 1.0
	s_delay_alu instid0(VALU_DEP_1)
	v_mul_f32_e64 v71, v71, -v70
.LBB23_88:
	s_or_b32 exec_lo, exec_lo, s1
	ds_store_b64 v75, v[70:71]
.LBB23_89:
	s_or_b32 exec_lo, exec_lo, s2
	s_wait_dscnt 0x0
	s_barrier_signal -1
	s_barrier_wait -1
	ds_load_b64 v[68:69], v75
	s_mov_b32 s1, exec_lo
	v_cmpx_lt_u32_e32 9, v74
	s_cbranch_execz .LBB23_91
; %bb.90:
	ds_load_2addr_b64 v[70:73], v76 offset0:10 offset1:11
	s_wait_dscnt 0x1
	v_pk_mul_f32 v[78:79], v[68:69], v[46:47] op_sel:[1,1] op_sel_hi:[0,1]
	s_delay_alu instid0(VALU_DEP_1) | instskip(SKIP_3) | instid1(VALU_DEP_3)
	v_pk_fma_f32 v[80:81], v[68:69], v[46:47], v[78:79] op_sel_hi:[1,0,1]
	v_pk_fma_f32 v[46:47], v[68:69], v[46:47], v[78:79] op_sel_hi:[1,0,1] neg_lo:[0,0,1] neg_hi:[0,0,1]
	s_wait_dscnt 0x0
	v_dual_mov_b32 v82, v73 :: v_dual_mov_b32 v83, v72
	v_pk_mul_f32 v[78:79], v[70:71], v[80:81] op_sel:[0,1]
	s_delay_alu instid0(VALU_DEP_2) | instskip(NEXT) | instid1(VALU_DEP_2)
	v_pk_mul_f32 v[82:83], v[82:83], v[80:81] op_sel:[0,1]
	v_pk_fma_f32 v[84:85], v[70:71], v[46:47], v[78:79] op_sel:[0,0,1] op_sel_hi:[1,0,0]
	v_pk_fma_f32 v[70:71], v[70:71], v[46:47], v[78:79] op_sel:[0,0,1] op_sel_hi:[1,1,0] neg_lo:[0,0,1] neg_hi:[0,0,1]
	s_delay_alu instid0(VALU_DEP_3) | instskip(SKIP_1) | instid1(VALU_DEP_4)
	v_pk_fma_f32 v[86:87], v[72:73], v[46:47], v[82:83] op_sel_hi:[1,0,1]
	v_pk_fma_f32 v[72:73], v[72:73], v[46:47], v[82:83] neg_lo:[0,0,1] neg_hi:[0,0,1]
	v_dual_mov_b32 v71, v85 :: v_dual_mov_b32 v47, v81
	s_delay_alu instid0(VALU_DEP_3) | instskip(NEXT) | instid1(VALU_DEP_2)
	v_mov_b32_e32 v73, v87
	v_pk_add_f32 v[44:45], v[44:45], v[70:71] neg_lo:[0,1] neg_hi:[0,1]
	s_delay_alu instid0(VALU_DEP_2)
	v_pk_add_f32 v[42:43], v[42:43], v[72:73] neg_lo:[0,1] neg_hi:[0,1]
.LBB23_91:
	s_or_b32 exec_lo, exec_lo, s1
	s_delay_alu instid0(SALU_CYCLE_1)
	s_mov_b32 s2, exec_lo
	s_wait_dscnt 0x0
	s_barrier_signal -1
	s_barrier_wait -1
	v_cmpx_eq_u32_e32 10, v74
	s_cbranch_execz .LBB23_98
; %bb.92:
	ds_store_b64 v75, v[44:45]
	ds_store_b64 v76, v[42:43] offset:88
	ds_load_b64 v[70:71], v75
	s_wait_dscnt 0x0
	v_cmp_neq_f32_e32 vcc_lo, 0, v70
	v_cmp_neq_f32_e64 s1, 0, v71
	s_or_b32 s1, vcc_lo, s1
	s_delay_alu instid0(SALU_CYCLE_1)
	s_and_b32 exec_lo, exec_lo, s1
	s_cbranch_execz .LBB23_98
; %bb.93:
	v_cmp_ngt_f32_e64 s1, |v70|, |v71|
                                        ; implicit-def: $vgpr72_vgpr73
	s_and_saveexec_b32 s4, s1
	s_delay_alu instid0(SALU_CYCLE_1)
	s_xor_b32 s1, exec_lo, s4
	s_cbranch_execz .LBB23_95
; %bb.94:
	v_div_scale_f32 v72, null, v71, v71, v70
	v_div_scale_f32 v78, vcc_lo, v70, v71, v70
	s_delay_alu instid0(VALU_DEP_2) | instskip(SKIP_1) | instid1(TRANS32_DEP_1)
	v_rcp_f32_e32 v73, v72
	v_nop
	v_fma_f32 v77, -v72, v73, 1.0
	s_delay_alu instid0(VALU_DEP_1) | instskip(NEXT) | instid1(VALU_DEP_1)
	v_fmac_f32_e32 v73, v77, v73
	v_mul_f32_e32 v77, v78, v73
	s_delay_alu instid0(VALU_DEP_1) | instskip(NEXT) | instid1(VALU_DEP_1)
	v_fma_f32 v79, -v72, v77, v78
	v_fmac_f32_e32 v77, v79, v73
	s_delay_alu instid0(VALU_DEP_1) | instskip(NEXT) | instid1(VALU_DEP_1)
	v_fma_f32 v72, -v72, v77, v78
	v_div_fmas_f32 v72, v72, v73, v77
	s_delay_alu instid0(VALU_DEP_1) | instskip(NEXT) | instid1(VALU_DEP_1)
	v_div_fixup_f32 v72, v72, v71, v70
	v_fmac_f32_e32 v71, v70, v72
	s_delay_alu instid0(VALU_DEP_1) | instskip(SKIP_1) | instid1(VALU_DEP_2)
	v_div_scale_f32 v70, null, v71, v71, 1.0
	v_div_scale_f32 v78, vcc_lo, 1.0, v71, 1.0
	v_rcp_f32_e32 v73, v70
	v_nop
	s_delay_alu instid0(TRANS32_DEP_1) | instskip(NEXT) | instid1(VALU_DEP_1)
	v_fma_f32 v77, -v70, v73, 1.0
	v_fmac_f32_e32 v73, v77, v73
	s_delay_alu instid0(VALU_DEP_1) | instskip(NEXT) | instid1(VALU_DEP_1)
	v_mul_f32_e32 v77, v78, v73
	v_fma_f32 v79, -v70, v77, v78
	s_delay_alu instid0(VALU_DEP_1) | instskip(NEXT) | instid1(VALU_DEP_1)
	v_fmac_f32_e32 v77, v79, v73
	v_fma_f32 v70, -v70, v77, v78
	s_delay_alu instid0(VALU_DEP_1) | instskip(NEXT) | instid1(VALU_DEP_1)
	v_div_fmas_f32 v70, v70, v73, v77
	v_div_fixup_f32 v70, v70, v71, 1.0
	s_delay_alu instid0(VALU_DEP_1)
	v_mul_f32_e32 v72, v72, v70
	v_xor_b32_e32 v73, 0x80000000, v70
                                        ; implicit-def: $vgpr70_vgpr71
.LBB23_95:
	s_and_not1_saveexec_b32 s1, s1
	s_cbranch_execz .LBB23_97
; %bb.96:
	v_div_scale_f32 v72, null, v70, v70, v71
	v_div_scale_f32 v78, vcc_lo, v71, v70, v71
	s_delay_alu instid0(VALU_DEP_2) | instskip(SKIP_1) | instid1(TRANS32_DEP_1)
	v_rcp_f32_e32 v73, v72
	v_nop
	v_fma_f32 v77, -v72, v73, 1.0
	s_delay_alu instid0(VALU_DEP_1) | instskip(NEXT) | instid1(VALU_DEP_1)
	v_fmac_f32_e32 v73, v77, v73
	v_mul_f32_e32 v77, v78, v73
	s_delay_alu instid0(VALU_DEP_1) | instskip(NEXT) | instid1(VALU_DEP_1)
	v_fma_f32 v79, -v72, v77, v78
	v_fmac_f32_e32 v77, v79, v73
	s_delay_alu instid0(VALU_DEP_1) | instskip(NEXT) | instid1(VALU_DEP_1)
	v_fma_f32 v72, -v72, v77, v78
	v_div_fmas_f32 v72, v72, v73, v77
	s_delay_alu instid0(VALU_DEP_1) | instskip(NEXT) | instid1(VALU_DEP_1)
	v_div_fixup_f32 v73, v72, v70, v71
	v_fmac_f32_e32 v70, v71, v73
	s_delay_alu instid0(VALU_DEP_1) | instskip(NEXT) | instid1(VALU_DEP_1)
	v_div_scale_f32 v71, null, v70, v70, 1.0
	v_rcp_f32_e32 v72, v71
	v_nop
	s_delay_alu instid0(TRANS32_DEP_1) | instskip(NEXT) | instid1(VALU_DEP_1)
	v_fma_f32 v77, -v71, v72, 1.0
	v_fmac_f32_e32 v72, v77, v72
	v_div_scale_f32 v77, vcc_lo, 1.0, v70, 1.0
	s_delay_alu instid0(VALU_DEP_1) | instskip(NEXT) | instid1(VALU_DEP_1)
	v_mul_f32_e32 v78, v77, v72
	v_fma_f32 v79, -v71, v78, v77
	s_delay_alu instid0(VALU_DEP_1) | instskip(NEXT) | instid1(VALU_DEP_1)
	v_fmac_f32_e32 v78, v79, v72
	v_fma_f32 v71, -v71, v78, v77
	s_delay_alu instid0(VALU_DEP_1) | instskip(NEXT) | instid1(VALU_DEP_1)
	v_div_fmas_f32 v71, v71, v72, v78
	v_div_fixup_f32 v72, v71, v70, 1.0
	s_delay_alu instid0(VALU_DEP_1)
	v_mul_f32_e64 v73, v73, -v72
.LBB23_97:
	s_or_b32 exec_lo, exec_lo, s1
	ds_store_b64 v75, v[72:73]
.LBB23_98:
	s_or_b32 exec_lo, exec_lo, s2
	s_wait_dscnt 0x0
	s_barrier_signal -1
	s_barrier_wait -1
	ds_load_b64 v[70:71], v75
	s_mov_b32 s1, exec_lo
	v_cmpx_lt_u32_e32 10, v74
	s_cbranch_execz .LBB23_100
; %bb.99:
	ds_load_b64 v[72:73], v76 offset:88
	s_wait_dscnt 0x1
	v_pk_mul_f32 v[76:77], v[70:71], v[44:45] op_sel:[1,1] op_sel_hi:[0,1]
	s_delay_alu instid0(VALU_DEP_1) | instskip(SKIP_2) | instid1(VALU_DEP_2)
	v_pk_fma_f32 v[78:79], v[70:71], v[44:45], v[76:77] op_sel_hi:[1,0,1]
	v_pk_fma_f32 v[44:45], v[70:71], v[44:45], v[76:77] op_sel_hi:[1,0,1] neg_lo:[0,0,1] neg_hi:[0,0,1]
	s_wait_dscnt 0x0
	v_pk_mul_f32 v[76:77], v[72:73], v[78:79] op_sel:[1,1] op_sel_hi:[0,1]
	s_delay_alu instid0(VALU_DEP_1) | instskip(SKIP_1) | instid1(VALU_DEP_2)
	v_pk_fma_f32 v[80:81], v[72:73], v[44:45], v[76:77] op_sel_hi:[1,0,1]
	v_pk_fma_f32 v[72:73], v[72:73], v[44:45], v[76:77] neg_lo:[0,0,1] neg_hi:[0,0,1]
	v_dual_mov_b32 v45, v79 :: v_dual_mov_b32 v73, v81
	s_delay_alu instid0(VALU_DEP_1)
	v_pk_add_f32 v[42:43], v[42:43], v[72:73] neg_lo:[0,1] neg_hi:[0,1]
.LBB23_100:
	s_or_b32 exec_lo, exec_lo, s1
	s_delay_alu instid0(SALU_CYCLE_1)
	s_mov_b32 s2, exec_lo
	s_wait_dscnt 0x0
	s_barrier_signal -1
	s_barrier_wait -1
	v_cmpx_eq_u32_e32 11, v74
	s_cbranch_execz .LBB23_107
; %bb.101:
	v_cmp_neq_f32_e32 vcc_lo, 0, v42
	v_cmp_neq_f32_e64 s1, 0, v43
	ds_store_b64 v75, v[42:43]
	s_or_b32 s1, vcc_lo, s1
	s_delay_alu instid0(SALU_CYCLE_1)
	s_and_b32 exec_lo, exec_lo, s1
	s_cbranch_execz .LBB23_107
; %bb.102:
	v_cmp_ngt_f32_e64 s1, |v42|, |v43|
                                        ; implicit-def: $vgpr72_vgpr73
	s_and_saveexec_b32 s4, s1
	s_delay_alu instid0(SALU_CYCLE_1)
	s_xor_b32 s1, exec_lo, s4
	s_cbranch_execz .LBB23_104
; %bb.103:
	v_div_scale_f32 v72, null, v43, v43, v42
	v_div_scale_f32 v77, vcc_lo, v42, v43, v42
	s_delay_alu instid0(VALU_DEP_2) | instskip(SKIP_1) | instid1(TRANS32_DEP_1)
	v_rcp_f32_e32 v73, v72
	v_nop
	v_fma_f32 v76, -v72, v73, 1.0
	s_delay_alu instid0(VALU_DEP_1) | instskip(NEXT) | instid1(VALU_DEP_1)
	v_fmac_f32_e32 v73, v76, v73
	v_mul_f32_e32 v76, v77, v73
	s_delay_alu instid0(VALU_DEP_1) | instskip(NEXT) | instid1(VALU_DEP_1)
	v_fma_f32 v78, -v72, v76, v77
	v_fmac_f32_e32 v76, v78, v73
	s_delay_alu instid0(VALU_DEP_1) | instskip(NEXT) | instid1(VALU_DEP_1)
	v_fma_f32 v72, -v72, v76, v77
	v_div_fmas_f32 v72, v72, v73, v76
	s_delay_alu instid0(VALU_DEP_1) | instskip(NEXT) | instid1(VALU_DEP_1)
	v_div_fixup_f32 v72, v72, v43, v42
	v_fma_f32 v73, v42, v72, v43
	s_delay_alu instid0(VALU_DEP_1) | instskip(SKIP_1) | instid1(VALU_DEP_2)
	v_div_scale_f32 v76, null, v73, v73, 1.0
	v_div_scale_f32 v79, vcc_lo, 1.0, v73, 1.0
	v_rcp_f32_e32 v77, v76
	v_nop
	s_delay_alu instid0(TRANS32_DEP_1) | instskip(NEXT) | instid1(VALU_DEP_1)
	v_fma_f32 v78, -v76, v77, 1.0
	v_fmac_f32_e32 v77, v78, v77
	s_delay_alu instid0(VALU_DEP_1) | instskip(NEXT) | instid1(VALU_DEP_1)
	v_mul_f32_e32 v78, v79, v77
	v_fma_f32 v80, -v76, v78, v79
	s_delay_alu instid0(VALU_DEP_1) | instskip(NEXT) | instid1(VALU_DEP_1)
	v_fmac_f32_e32 v78, v80, v77
	v_fma_f32 v76, -v76, v78, v79
	s_delay_alu instid0(VALU_DEP_1) | instskip(NEXT) | instid1(VALU_DEP_1)
	v_div_fmas_f32 v76, v76, v77, v78
	v_div_fixup_f32 v73, v76, v73, 1.0
	s_delay_alu instid0(VALU_DEP_1)
	v_mul_f32_e32 v72, v72, v73
	v_xor_b32_e32 v73, 0x80000000, v73
.LBB23_104:
	s_and_not1_saveexec_b32 s1, s1
	s_cbranch_execz .LBB23_106
; %bb.105:
	v_div_scale_f32 v72, null, v42, v42, v43
	v_div_scale_f32 v77, vcc_lo, v43, v42, v43
	s_delay_alu instid0(VALU_DEP_2) | instskip(SKIP_1) | instid1(TRANS32_DEP_1)
	v_rcp_f32_e32 v73, v72
	v_nop
	v_fma_f32 v76, -v72, v73, 1.0
	s_delay_alu instid0(VALU_DEP_1) | instskip(NEXT) | instid1(VALU_DEP_1)
	v_fmac_f32_e32 v73, v76, v73
	v_mul_f32_e32 v76, v77, v73
	s_delay_alu instid0(VALU_DEP_1) | instskip(NEXT) | instid1(VALU_DEP_1)
	v_fma_f32 v78, -v72, v76, v77
	v_fmac_f32_e32 v76, v78, v73
	s_delay_alu instid0(VALU_DEP_1) | instskip(NEXT) | instid1(VALU_DEP_1)
	v_fma_f32 v72, -v72, v76, v77
	v_div_fmas_f32 v72, v72, v73, v76
	s_delay_alu instid0(VALU_DEP_1) | instskip(NEXT) | instid1(VALU_DEP_1)
	v_div_fixup_f32 v73, v72, v42, v43
	v_fma_f32 v72, v43, v73, v42
	s_delay_alu instid0(VALU_DEP_1) | instskip(NEXT) | instid1(VALU_DEP_1)
	v_div_scale_f32 v76, null, v72, v72, 1.0
	v_rcp_f32_e32 v77, v76
	v_nop
	s_delay_alu instid0(TRANS32_DEP_1) | instskip(NEXT) | instid1(VALU_DEP_1)
	v_fma_f32 v78, -v76, v77, 1.0
	v_fmac_f32_e32 v77, v78, v77
	v_div_scale_f32 v78, vcc_lo, 1.0, v72, 1.0
	s_delay_alu instid0(VALU_DEP_1) | instskip(NEXT) | instid1(VALU_DEP_1)
	v_mul_f32_e32 v79, v78, v77
	v_fma_f32 v80, -v76, v79, v78
	s_delay_alu instid0(VALU_DEP_1) | instskip(NEXT) | instid1(VALU_DEP_1)
	v_fmac_f32_e32 v79, v80, v77
	v_fma_f32 v76, -v76, v79, v78
	s_delay_alu instid0(VALU_DEP_1) | instskip(NEXT) | instid1(VALU_DEP_1)
	v_div_fmas_f32 v76, v76, v77, v79
	v_div_fixup_f32 v72, v76, v72, 1.0
	s_delay_alu instid0(VALU_DEP_1)
	v_mul_f32_e64 v73, v73, -v72
.LBB23_106:
	s_or_b32 exec_lo, exec_lo, s1
	ds_store_b64 v75, v[72:73]
.LBB23_107:
	s_or_b32 exec_lo, exec_lo, s2
	s_wait_dscnt 0x0
	s_barrier_signal -1
	s_barrier_wait -1
	ds_load_b64 v[72:73], v75
	s_wait_dscnt 0x0
	s_barrier_signal -1
	s_barrier_wait -1
	s_and_saveexec_b32 s4, s0
	s_cbranch_execz .LBB23_110
; %bb.108:
	v_lshl_add_u64 v[2:3], v[2:3], 2, s[6:7]
	v_cmp_eq_f32_e32 vcc_lo, 0, v50
	v_cmp_eq_f32_e64 s0, 0, v51
	v_cmp_neq_f32_e64 s1, 0, v52
	v_cmp_neq_f32_e64 s2, 0, v53
	global_load_b32 v75, v[2:3], off
	s_and_b32 s0, vcc_lo, s0
	s_delay_alu instid0(SALU_CYCLE_1) | instskip(SKIP_1) | instid1(SALU_CYCLE_1)
	v_cndmask_b32_e64 v50, 0, 1, s0
	s_or_b32 s1, s1, s2
	s_or_b32 vcc_lo, s1, s0
	v_cmp_eq_f32_e64 s0, 0, v55
	s_delay_alu instid0(VALU_DEP_2) | instskip(SKIP_1) | instid1(VALU_DEP_2)
	v_cndmask_b32_e32 v50, 2, v50, vcc_lo
	v_cmp_eq_f32_e32 vcc_lo, 0, v54
	v_cmp_eq_u32_e64 s1, 0, v50
	s_and_b32 s0, vcc_lo, s0
	v_cmp_eq_f32_e32 vcc_lo, 0, v56
	s_and_b32 s0, s0, s1
	s_delay_alu instid0(SALU_CYCLE_1) | instskip(SKIP_1) | instid1(VALU_DEP_2)
	v_cndmask_b32_e64 v50, v50, 3, s0
	v_cmp_eq_f32_e64 s0, 0, v57
	v_cmp_eq_u32_e64 s1, 0, v50
	s_and_b32 s0, vcc_lo, s0
	v_cmp_eq_f32_e32 vcc_lo, 0, v58
	s_and_b32 s0, s0, s1
	s_delay_alu instid0(SALU_CYCLE_1) | instskip(SKIP_1) | instid1(VALU_DEP_2)
	v_cndmask_b32_e64 v50, v50, 4, s0
	v_cmp_eq_f32_e64 s0, 0, v59
	;; [unrolled: 7-line block ×9, first 2 shown]
	v_cmp_eq_u32_e64 s1, 0, v50
	s_and_b32 s0, vcc_lo, s0
	s_delay_alu instid0(SALU_CYCLE_1) | instskip(NEXT) | instid1(SALU_CYCLE_1)
	s_and_b32 s0, s0, s1
	v_cndmask_b32_e64 v50, v50, 12, s0
	s_delay_alu instid0(VALU_DEP_1) | instskip(SKIP_3) | instid1(SALU_CYCLE_1)
	v_cmp_ne_u32_e64 s0, 0, v50
	s_wait_loadcnt 0x0
	v_cmp_eq_u32_e32 vcc_lo, 0, v75
	s_and_b32 s0, vcc_lo, s0
	s_and_b32 exec_lo, exec_lo, s0
	s_cbranch_execz .LBB23_110
; %bb.109:
	v_add_nc_u32_e32 v50, s3, v50
	global_store_b32 v[2:3], v50, off
.LBB23_110:
	s_wait_xcnt 0x0
	s_or_b32 exec_lo, exec_lo, s4
	v_pk_mul_f32 v[2:3], v[72:73], v[42:43] op_sel:[1,1] op_sel_hi:[0,1]
	s_clause 0x1
	global_store_b64 v[14:15], v[36:37], off
	global_store_b64 v[24:25], v[38:39], off
	v_cmp_lt_u32_e32 vcc_lo, 11, v74
	s_clause 0x2
	global_store_b64 v[8:9], v[28:29], off
	global_store_b64 v[10:11], v[26:27], off
	;; [unrolled: 1-line block ×3, first 2 shown]
	s_wait_xcnt 0x4
	v_pk_fma_f32 v[14:15], v[72:73], v[42:43], v[2:3] op_sel_hi:[1,0,1]
	v_pk_fma_f32 v[2:3], v[72:73], v[42:43], v[2:3] neg_lo:[0,0,1] neg_hi:[0,0,1]
	s_delay_alu instid0(VALU_DEP_1)
	v_dual_cndmask_b32 v3, v43, v15 :: v_dual_cndmask_b32 v2, v42, v2
	s_clause 0x6
	global_store_b64 v[0:1], v[32:33], off
	global_store_b64 v[4:5], v[34:35], off
	;; [unrolled: 1-line block ×7, first 2 shown]
.LBB23_111:
	s_sendmsg sendmsg(MSG_DEALLOC_VGPRS)
	s_endpgm
	.section	.rodata,"a",@progbits
	.p2align	6, 0x0
	.amdhsa_kernel _ZN9rocsolver6v33100L23getf2_npvt_small_kernelILi12E19rocblas_complex_numIfEiiPS3_EEvT1_T3_lS5_lPT2_S5_S5_
		.amdhsa_group_segment_fixed_size 0
		.amdhsa_private_segment_fixed_size 0
		.amdhsa_kernarg_size 312
		.amdhsa_user_sgpr_count 2
		.amdhsa_user_sgpr_dispatch_ptr 0
		.amdhsa_user_sgpr_queue_ptr 0
		.amdhsa_user_sgpr_kernarg_segment_ptr 1
		.amdhsa_user_sgpr_dispatch_id 0
		.amdhsa_user_sgpr_kernarg_preload_length 0
		.amdhsa_user_sgpr_kernarg_preload_offset 0
		.amdhsa_user_sgpr_private_segment_size 0
		.amdhsa_wavefront_size32 1
		.amdhsa_uses_dynamic_stack 0
		.amdhsa_enable_private_segment 0
		.amdhsa_system_sgpr_workgroup_id_x 1
		.amdhsa_system_sgpr_workgroup_id_y 1
		.amdhsa_system_sgpr_workgroup_id_z 0
		.amdhsa_system_sgpr_workgroup_info 0
		.amdhsa_system_vgpr_workitem_id 1
		.amdhsa_next_free_vgpr 92
		.amdhsa_next_free_sgpr 16
		.amdhsa_named_barrier_count 0
		.amdhsa_reserve_vcc 1
		.amdhsa_float_round_mode_32 0
		.amdhsa_float_round_mode_16_64 0
		.amdhsa_float_denorm_mode_32 3
		.amdhsa_float_denorm_mode_16_64 3
		.amdhsa_fp16_overflow 0
		.amdhsa_memory_ordered 1
		.amdhsa_forward_progress 1
		.amdhsa_inst_pref_size 99
		.amdhsa_round_robin_scheduling 0
		.amdhsa_exception_fp_ieee_invalid_op 0
		.amdhsa_exception_fp_denorm_src 0
		.amdhsa_exception_fp_ieee_div_zero 0
		.amdhsa_exception_fp_ieee_overflow 0
		.amdhsa_exception_fp_ieee_underflow 0
		.amdhsa_exception_fp_ieee_inexact 0
		.amdhsa_exception_int_div_zero 0
	.end_amdhsa_kernel
	.section	.text._ZN9rocsolver6v33100L23getf2_npvt_small_kernelILi12E19rocblas_complex_numIfEiiPS3_EEvT1_T3_lS5_lPT2_S5_S5_,"axG",@progbits,_ZN9rocsolver6v33100L23getf2_npvt_small_kernelILi12E19rocblas_complex_numIfEiiPS3_EEvT1_T3_lS5_lPT2_S5_S5_,comdat
.Lfunc_end23:
	.size	_ZN9rocsolver6v33100L23getf2_npvt_small_kernelILi12E19rocblas_complex_numIfEiiPS3_EEvT1_T3_lS5_lPT2_S5_S5_, .Lfunc_end23-_ZN9rocsolver6v33100L23getf2_npvt_small_kernelILi12E19rocblas_complex_numIfEiiPS3_EEvT1_T3_lS5_lPT2_S5_S5_
                                        ; -- End function
	.set _ZN9rocsolver6v33100L23getf2_npvt_small_kernelILi12E19rocblas_complex_numIfEiiPS3_EEvT1_T3_lS5_lPT2_S5_S5_.num_vgpr, 92
	.set _ZN9rocsolver6v33100L23getf2_npvt_small_kernelILi12E19rocblas_complex_numIfEiiPS3_EEvT1_T3_lS5_lPT2_S5_S5_.num_agpr, 0
	.set _ZN9rocsolver6v33100L23getf2_npvt_small_kernelILi12E19rocblas_complex_numIfEiiPS3_EEvT1_T3_lS5_lPT2_S5_S5_.numbered_sgpr, 16
	.set _ZN9rocsolver6v33100L23getf2_npvt_small_kernelILi12E19rocblas_complex_numIfEiiPS3_EEvT1_T3_lS5_lPT2_S5_S5_.num_named_barrier, 0
	.set _ZN9rocsolver6v33100L23getf2_npvt_small_kernelILi12E19rocblas_complex_numIfEiiPS3_EEvT1_T3_lS5_lPT2_S5_S5_.private_seg_size, 0
	.set _ZN9rocsolver6v33100L23getf2_npvt_small_kernelILi12E19rocblas_complex_numIfEiiPS3_EEvT1_T3_lS5_lPT2_S5_S5_.uses_vcc, 1
	.set _ZN9rocsolver6v33100L23getf2_npvt_small_kernelILi12E19rocblas_complex_numIfEiiPS3_EEvT1_T3_lS5_lPT2_S5_S5_.uses_flat_scratch, 0
	.set _ZN9rocsolver6v33100L23getf2_npvt_small_kernelILi12E19rocblas_complex_numIfEiiPS3_EEvT1_T3_lS5_lPT2_S5_S5_.has_dyn_sized_stack, 0
	.set _ZN9rocsolver6v33100L23getf2_npvt_small_kernelILi12E19rocblas_complex_numIfEiiPS3_EEvT1_T3_lS5_lPT2_S5_S5_.has_recursion, 0
	.set _ZN9rocsolver6v33100L23getf2_npvt_small_kernelILi12E19rocblas_complex_numIfEiiPS3_EEvT1_T3_lS5_lPT2_S5_S5_.has_indirect_call, 0
	.section	.AMDGPU.csdata,"",@progbits
; Kernel info:
; codeLenInByte = 12552
; TotalNumSgprs: 18
; NumVgprs: 92
; ScratchSize: 0
; MemoryBound: 0
; FloatMode: 240
; IeeeMode: 1
; LDSByteSize: 0 bytes/workgroup (compile time only)
; SGPRBlocks: 0
; VGPRBlocks: 5
; NumSGPRsForWavesPerEU: 18
; NumVGPRsForWavesPerEU: 92
; NamedBarCnt: 0
; Occupancy: 10
; WaveLimiterHint : 0
; COMPUTE_PGM_RSRC2:SCRATCH_EN: 0
; COMPUTE_PGM_RSRC2:USER_SGPR: 2
; COMPUTE_PGM_RSRC2:TRAP_HANDLER: 0
; COMPUTE_PGM_RSRC2:TGID_X_EN: 1
; COMPUTE_PGM_RSRC2:TGID_Y_EN: 1
; COMPUTE_PGM_RSRC2:TGID_Z_EN: 0
; COMPUTE_PGM_RSRC2:TIDIG_COMP_CNT: 1
	.section	.text._ZN9rocsolver6v33100L18getf2_small_kernelILi13E19rocblas_complex_numIfEiiPS3_EEvT1_T3_lS5_lPS5_llPT2_S5_S5_S7_l,"axG",@progbits,_ZN9rocsolver6v33100L18getf2_small_kernelILi13E19rocblas_complex_numIfEiiPS3_EEvT1_T3_lS5_lPS5_llPT2_S5_S5_S7_l,comdat
	.globl	_ZN9rocsolver6v33100L18getf2_small_kernelILi13E19rocblas_complex_numIfEiiPS3_EEvT1_T3_lS5_lPS5_llPT2_S5_S5_S7_l ; -- Begin function _ZN9rocsolver6v33100L18getf2_small_kernelILi13E19rocblas_complex_numIfEiiPS3_EEvT1_T3_lS5_lPS5_llPT2_S5_S5_S7_l
	.p2align	8
	.type	_ZN9rocsolver6v33100L18getf2_small_kernelILi13E19rocblas_complex_numIfEiiPS3_EEvT1_T3_lS5_lPS5_llPT2_S5_S5_S7_l,@function
_ZN9rocsolver6v33100L18getf2_small_kernelILi13E19rocblas_complex_numIfEiiPS3_EEvT1_T3_lS5_lPS5_llPT2_S5_S5_S7_l: ; @_ZN9rocsolver6v33100L18getf2_small_kernelILi13E19rocblas_complex_numIfEiiPS3_EEvT1_T3_lS5_lPS5_llPT2_S5_S5_S7_l
; %bb.0:
	s_clause 0x1
	s_load_u16 s2, s[0:1], 0x6e
	s_load_b64 s[12:13], s[0:1], 0x48
	s_bfe_u32 s3, ttmp6, 0x40010
	s_bfe_u32 s4, ttmp6, 0x40004
	s_add_co_i32 s3, s3, 1
	s_getreg_b32 s5, hwreg(HW_REG_IB_STS2, 6, 4)
	s_mul_i32 s3, ttmp7, s3
	v_bfe_u32 v34, v0, 10, 10
	s_add_co_i32 s4, s4, s3
	s_cmp_eq_u32 s5, 0
	s_cselect_b32 s3, ttmp7, s4
	s_wait_kmcnt 0x0
	v_mad_u32 v2, s3, s2, v34
	s_mov_b32 s2, exec_lo
	s_delay_alu instid0(VALU_DEP_1)
	v_cmpx_gt_i32_e64 s12, v2
	s_cbranch_execz .LBB24_274
; %bb.1:
	s_load_b128 s[4:7], s[0:1], 0x50
	v_mov_b64_e32 v[28:29], 0
	v_ashrrev_i32_e32 v3, 31, v2
	s_wait_kmcnt 0x0
	s_cmp_eq_u64 s[4:5], 0
	s_cselect_b32 s12, -1, 0
	s_delay_alu instid0(SALU_CYCLE_1)
	s_and_b32 vcc_lo, exec_lo, s12
	s_cbranch_vccnz .LBB24_3
; %bb.2:
	v_mul_u64_e32 v[4:5], s[6:7], v[2:3]
	s_delay_alu instid0(VALU_DEP_1)
	v_lshl_add_u64 v[28:29], v[4:5], 2, s[4:5]
.LBB24_3:
	s_clause 0x1
	s_load_b256 s[4:11], s[0:1], 0x20
	s_load_b32 s2, s[0:1], 0x18
	v_and_b32_e32 v38, 0x3ff, v0
	s_clause 0x1
	s_load_b128 s[16:19], s[0:1], 0x8
	s_load_b32 s14, s[0:1], 0x0
	s_delay_alu instid0(VALU_DEP_1)
	v_dual_mov_b32 v33, 0 :: v_dual_lshlrev_b32 v32, 3, v38
	s_wait_kmcnt 0x0
	v_mul_u64_e32 v[4:5], s[4:5], v[2:3]
	v_add3_u32 v6, s2, s2, v38
	s_ashr_i32 s3, s2, 31
	s_max_i32 s4, s14, 13
	s_cmp_lt_i32 s14, 2
	s_delay_alu instid0(VALU_DEP_1) | instskip(NEXT) | instid1(VALU_DEP_1)
	v_dual_add_nc_u32 v8, s2, v6 :: v_dual_ashrrev_i32 v7, 31, v6
	v_add_nc_u32_e32 v12, s2, v8
	s_delay_alu instid0(VALU_DEP_1) | instskip(NEXT) | instid1(VALU_DEP_1)
	v_add_nc_u32_e32 v14, s2, v12
	v_ashrrev_i32_e32 v15, 31, v14
	v_lshl_add_u64 v[0:1], v[4:5], 3, s[16:17]
	v_add_nc_u32_e32 v4, s2, v14
	s_delay_alu instid0(VALU_DEP_2) | instskip(NEXT) | instid1(VALU_DEP_2)
	v_lshl_add_u64 v[0:1], s[18:19], 3, v[0:1]
	v_dual_add_nc_u32 v16, s2, v4 :: v_dual_ashrrev_i32 v5, 31, v4
	s_delay_alu instid0(VALU_DEP_2) | instskip(NEXT) | instid1(VALU_DEP_2)
	v_add_nc_u64_e32 v[18:19], v[0:1], v[32:33]
	v_add_nc_u32_e32 v20, s2, v16
	v_lshl_add_u64 v[30:31], v[6:7], 3, v[0:1]
	v_ashrrev_i32_e32 v17, 31, v16
	v_lshl_add_u64 v[4:5], v[4:5], 3, v[0:1]
	v_lshl_add_u64 v[14:15], v[14:15], 3, v[0:1]
	v_dual_add_nc_u32 v22, s2, v20 :: v_dual_ashrrev_i32 v21, 31, v20
	v_ashrrev_i32_e32 v9, 31, v8
	v_lshl_add_u64 v[24:25], s[2:3], 3, v[18:19]
	s_delay_alu instid0(VALU_DEP_3) | instskip(SKIP_1) | instid1(VALU_DEP_4)
	v_dual_ashrrev_i32 v13, 31, v12 :: v_dual_ashrrev_i32 v23, 31, v22
	v_add_nc_u32_e32 v40, s2, v22
	v_lshl_add_u64 v[36:37], v[8:9], 3, v[0:1]
	s_clause 0x3
	global_load_b64 v[8:9], v[24:25], off
	global_load_b64 v[10:11], v[30:31], off
	global_load_b64 v[6:7], v[36:37], off
	global_load_b64 v[26:27], v[18:19], off
	s_wait_xcnt 0x3
	v_dual_add_nc_u32 v24, s2, v40 :: v_dual_ashrrev_i32 v41, 31, v40
	v_lshl_add_u64 v[12:13], v[12:13], 3, v[0:1]
	v_lshl_add_u64 v[42:43], v[20:21], 3, v[0:1]
	;; [unrolled: 1-line block ×3, first 2 shown]
	s_wait_xcnt 0x1
	v_dual_add_nc_u32 v36, s2, v24 :: v_dual_ashrrev_i32 v25, 31, v24
	v_lshl_add_u64 v[40:41], v[40:41], 3, v[0:1]
	v_lshl_add_u64 v[30:31], v[16:17], 3, v[0:1]
	s_clause 0x3
	global_load_b64 v[22:23], v[12:13], off
	global_load_b64 v[18:19], v[14:15], off
	;; [unrolled: 1-line block ×4, first 2 shown]
	v_ashrrev_i32_e32 v37, 31, v36
	v_lshl_add_u64 v[46:47], v[24:25], 3, v[0:1]
	s_delay_alu instid0(VALU_DEP_2)
	v_lshl_add_u64 v[36:37], v[36:37], 3, v[0:1]
	s_clause 0x4
	global_load_b64 v[4:5], v[42:43], off
	global_load_b64 v[24:25], v[44:45], off
	global_load_b64 v[14:15], v[40:41], off
	global_load_b64 v[12:13], v[46:47], off
	global_load_b64 v[30:31], v[36:37], off
	s_wait_xcnt 0x0
	v_mul_lo_u32 v37, s4, v34
	s_load_b64 s[4:5], s[0:1], 0x40
	s_delay_alu instid0(VALU_DEP_1) | instskip(NEXT) | instid1(VALU_DEP_1)
	v_lshl_add_u32 v36, v37, 3, 0
	v_dual_lshlrev_b32 v37, 3, v37 :: v_dual_add_nc_u32 v32, v36, v32
	s_wait_loadcnt 0x9
	ds_store_b64 v32, v[26:27]
	s_wait_loadcnt_dscnt 0x0
	s_barrier_signal -1
	s_barrier_wait -1
	ds_load_b64 v[34:35], v36
	s_cbranch_scc1 .LBB24_6
; %bb.4:
	v_add3_u32 v32, v37, 0, 8
	v_mov_b32_e32 v33, 0
	s_wait_xcnt 0x0
	s_mov_b32 s0, 1
.LBB24_5:                               ; =>This Inner Loop Header: Depth=1
	ds_load_b64 v[40:41], v32
	s_wait_dscnt 0x1
	v_cmp_gt_f32_e32 vcc_lo, 0, v34
	v_cndmask_b32_e64 v42, v34, -v34, vcc_lo
	v_cmp_gt_f32_e32 vcc_lo, 0, v35
	v_cndmask_b32_e64 v44, v35, -v35, vcc_lo
	s_wait_dscnt 0x0
	v_cmp_gt_f32_e32 vcc_lo, 0, v40
	v_cndmask_b32_e64 v43, v40, -v40, vcc_lo
	v_cmp_gt_f32_e32 vcc_lo, 0, v41
	v_cndmask_b32_e64 v45, v41, -v41, vcc_lo
	s_delay_alu instid0(VALU_DEP_1) | instskip(NEXT) | instid1(VALU_DEP_1)
	v_pk_add_f32 v[42:43], v[42:43], v[44:45]
	v_cmp_lt_f32_e32 vcc_lo, v42, v43
	v_dual_cndmask_b32 v35, v35, v41 :: v_dual_add_nc_u32 v32, 8, v32
	v_cndmask_b32_e32 v34, v34, v40, vcc_lo
	v_cndmask_b32_e64 v33, v33, s0, vcc_lo
	s_add_co_i32 s0, s0, 1
	s_delay_alu instid0(SALU_CYCLE_1)
	s_cmp_eq_u32 s14, s0
	s_cbranch_scc0 .LBB24_5
.LBB24_6:
	s_wait_dscnt 0x0
	v_cmp_neq_f32_e32 vcc_lo, 0, v34
	s_wait_xcnt 0x0
	v_cmp_neq_f32_e64 s0, 0, v35
	v_dual_mov_b32 v39, 1 :: v_dual_mov_b32 v41, 1
	s_or_b32 s1, vcc_lo, s0
	s_delay_alu instid0(SALU_CYCLE_1)
	s_and_saveexec_b32 s0, s1
	s_cbranch_execz .LBB24_12
; %bb.7:
	v_cmp_ngt_f32_e64 s1, |v34|, |v35|
	s_and_saveexec_b32 s15, s1
	s_delay_alu instid0(SALU_CYCLE_1)
	s_xor_b32 s1, exec_lo, s15
	s_cbranch_execz .LBB24_9
; %bb.8:
	v_div_scale_f32 v32, null, v35, v35, v34
	v_div_scale_f32 v41, vcc_lo, v34, v35, v34
	s_delay_alu instid0(VALU_DEP_2) | instskip(SKIP_1) | instid1(TRANS32_DEP_1)
	v_rcp_f32_e32 v39, v32
	v_nop
	v_fma_f32 v40, -v32, v39, 1.0
	s_delay_alu instid0(VALU_DEP_1) | instskip(NEXT) | instid1(VALU_DEP_1)
	v_fmac_f32_e32 v39, v40, v39
	v_mul_f32_e32 v40, v41, v39
	s_delay_alu instid0(VALU_DEP_1) | instskip(NEXT) | instid1(VALU_DEP_1)
	v_fma_f32 v42, -v32, v40, v41
	v_fmac_f32_e32 v40, v42, v39
	s_delay_alu instid0(VALU_DEP_1) | instskip(NEXT) | instid1(VALU_DEP_1)
	v_fma_f32 v32, -v32, v40, v41
	v_div_fmas_f32 v32, v32, v39, v40
	s_delay_alu instid0(VALU_DEP_1) | instskip(NEXT) | instid1(VALU_DEP_1)
	v_div_fixup_f32 v32, v32, v35, v34
	v_fmac_f32_e32 v35, v34, v32
	s_delay_alu instid0(VALU_DEP_1) | instskip(SKIP_1) | instid1(VALU_DEP_2)
	v_div_scale_f32 v34, null, v35, v35, 1.0
	v_div_scale_f32 v41, vcc_lo, 1.0, v35, 1.0
	v_rcp_f32_e32 v39, v34
	v_nop
	s_delay_alu instid0(TRANS32_DEP_1) | instskip(NEXT) | instid1(VALU_DEP_1)
	v_fma_f32 v40, -v34, v39, 1.0
	v_fmac_f32_e32 v39, v40, v39
	s_delay_alu instid0(VALU_DEP_1) | instskip(NEXT) | instid1(VALU_DEP_1)
	v_mul_f32_e32 v40, v41, v39
	v_fma_f32 v42, -v34, v40, v41
	s_delay_alu instid0(VALU_DEP_1) | instskip(NEXT) | instid1(VALU_DEP_1)
	v_fmac_f32_e32 v40, v42, v39
	v_fma_f32 v34, -v34, v40, v41
	s_delay_alu instid0(VALU_DEP_1) | instskip(NEXT) | instid1(VALU_DEP_1)
	v_div_fmas_f32 v34, v34, v39, v40
	v_div_fixup_f32 v35, v34, v35, 1.0
	s_delay_alu instid0(VALU_DEP_1)
	v_mul_f32_e32 v34, v32, v35
	v_xor_b32_e32 v35, 0x80000000, v35
.LBB24_9:
	s_and_not1_saveexec_b32 s1, s1
	s_cbranch_execz .LBB24_11
; %bb.10:
	s_delay_alu instid0(VALU_DEP_1) | instskip(SKIP_1) | instid1(VALU_DEP_2)
	v_div_scale_f32 v32, null, v34, v34, v35
	v_div_scale_f32 v41, vcc_lo, v35, v34, v35
	v_rcp_f32_e32 v39, v32
	v_nop
	s_delay_alu instid0(TRANS32_DEP_1) | instskip(NEXT) | instid1(VALU_DEP_1)
	v_fma_f32 v40, -v32, v39, 1.0
	v_fmac_f32_e32 v39, v40, v39
	s_delay_alu instid0(VALU_DEP_1) | instskip(NEXT) | instid1(VALU_DEP_1)
	v_mul_f32_e32 v40, v41, v39
	v_fma_f32 v42, -v32, v40, v41
	s_delay_alu instid0(VALU_DEP_1) | instskip(NEXT) | instid1(VALU_DEP_1)
	v_fmac_f32_e32 v40, v42, v39
	v_fma_f32 v32, -v32, v40, v41
	s_delay_alu instid0(VALU_DEP_1) | instskip(NEXT) | instid1(VALU_DEP_1)
	v_div_fmas_f32 v32, v32, v39, v40
	v_div_fixup_f32 v32, v32, v34, v35
	s_delay_alu instid0(VALU_DEP_1) | instskip(NEXT) | instid1(VALU_DEP_1)
	v_fmac_f32_e32 v34, v35, v32
	v_div_scale_f32 v35, null, v34, v34, 1.0
	s_delay_alu instid0(VALU_DEP_1) | instskip(SKIP_1) | instid1(TRANS32_DEP_1)
	v_rcp_f32_e32 v39, v35
	v_nop
	v_fma_f32 v40, -v35, v39, 1.0
	s_delay_alu instid0(VALU_DEP_1) | instskip(SKIP_1) | instid1(VALU_DEP_1)
	v_fmac_f32_e32 v39, v40, v39
	v_div_scale_f32 v40, vcc_lo, 1.0, v34, 1.0
	v_mul_f32_e32 v41, v40, v39
	s_delay_alu instid0(VALU_DEP_1) | instskip(NEXT) | instid1(VALU_DEP_1)
	v_fma_f32 v42, -v35, v41, v40
	v_fmac_f32_e32 v41, v42, v39
	s_delay_alu instid0(VALU_DEP_1) | instskip(NEXT) | instid1(VALU_DEP_1)
	v_fma_f32 v35, -v35, v41, v40
	v_div_fmas_f32 v35, v35, v39, v41
	s_delay_alu instid0(VALU_DEP_1) | instskip(NEXT) | instid1(VALU_DEP_1)
	v_div_fixup_f32 v34, v35, v34, 1.0
	v_mul_f32_e64 v35, v32, -v34
.LBB24_11:
	s_or_b32 exec_lo, exec_lo, s1
	v_dual_mov_b32 v41, 0 :: v_dual_mov_b32 v39, 2
.LBB24_12:
	s_or_b32 exec_lo, exec_lo, s0
	s_delay_alu instid0(SALU_CYCLE_1)
	s_mov_b32 s0, exec_lo
	v_cmpx_ne_u32_e64 v38, v33
	s_xor_b32 s0, exec_lo, s0
	s_cbranch_execz .LBB24_18
; %bb.13:
	s_mov_b32 s1, exec_lo
	v_cmpx_eq_u32_e32 0, v38
	s_cbranch_execz .LBB24_17
; %bb.14:
	v_cmp_ne_u32_e32 vcc_lo, 0, v33
	s_xor_b32 s15, s12, -1
	s_delay_alu instid0(SALU_CYCLE_1) | instskip(NEXT) | instid1(SALU_CYCLE_1)
	s_and_b32 s16, s15, vcc_lo
	s_and_saveexec_b32 s15, s16
	s_cbranch_execz .LBB24_16
; %bb.15:
	v_dual_mov_b32 v42, v33 :: v_dual_ashrrev_i32 v43, 31, v33
	s_delay_alu instid0(VALU_DEP_1)
	v_lshl_add_u64 v[42:43], v[42:43], 2, v[28:29]
	s_clause 0x1
	global_load_b32 v32, v[42:43], off
	global_load_b32 v38, v[28:29], off
	s_wait_loadcnt 0x1
	global_store_b32 v[28:29], v32, off
	s_wait_loadcnt 0x0
	global_store_b32 v[42:43], v38, off
.LBB24_16:
	s_wait_xcnt 0x0
	s_or_b32 exec_lo, exec_lo, s15
	v_mov_b32_e32 v38, v33
.LBB24_17:
	s_or_b32 exec_lo, exec_lo, s1
.LBB24_18:
	s_or_saveexec_b32 s0, s0
	s_delay_alu instid0(VALU_DEP_1)
	v_mov_b32_e32 v40, v38
	s_xor_b32 exec_lo, exec_lo, s0
	s_cbranch_execz .LBB24_20
; %bb.19:
	v_mov_b32_e32 v40, 0
	ds_store_2addr_b64 v36, v[8:9], v[10:11] offset0:1 offset1:2
	ds_store_2addr_b64 v36, v[6:7], v[22:23] offset0:3 offset1:4
	;; [unrolled: 1-line block ×6, first 2 shown]
.LBB24_20:
	s_or_b32 exec_lo, exec_lo, s0
	s_delay_alu instid0(SALU_CYCLE_1)
	s_mov_b32 s0, exec_lo
	s_wait_storecnt_dscnt 0x0
	s_barrier_signal -1
	s_barrier_wait -1
	v_cmpx_lt_i32_e32 0, v40
	s_cbranch_execz .LBB24_22
; %bb.21:
	v_pk_mul_f32 v[32:33], v[34:35], v[26:27] op_sel:[1,1] op_sel_hi:[0,1]
	s_delay_alu instid0(VALU_DEP_1)
	v_pk_fma_f32 v[42:43], v[34:35], v[26:27], v[32:33] op_sel_hi:[1,0,1] neg_lo:[0,0,1] neg_hi:[0,0,1]
	v_pk_fma_f32 v[44:45], v[34:35], v[26:27], v[32:33] op_sel_hi:[1,0,1]
	ds_load_2addr_b64 v[32:35], v36 offset0:1 offset1:2
	v_dual_mov_b32 v26, v42 :: v_dual_mov_b32 v27, v45
	s_wait_dscnt 0x0
	v_pk_mul_f32 v[46:47], v[32:33], v[44:45] op_sel:[0,1]
	s_delay_alu instid0(VALU_DEP_1) | instskip(SKIP_1) | instid1(VALU_DEP_1)
	v_pk_fma_f32 v[48:49], v[32:33], v[42:43], v[46:47] op_sel:[0,0,1] op_sel_hi:[1,1,0] neg_lo:[0,0,1] neg_hi:[0,0,1]
	v_pk_fma_f32 v[32:33], v[32:33], v[42:43], v[46:47] op_sel:[0,0,1] op_sel_hi:[1,0,0]
	v_mov_b32_e32 v49, v33
	v_pk_mul_f32 v[32:33], v[34:35], v[44:45] op_sel:[0,1]
	s_delay_alu instid0(VALU_DEP_1) | instskip(SKIP_1) | instid1(VALU_DEP_1)
	v_pk_fma_f32 v[46:47], v[34:35], v[42:43], v[32:33] op_sel:[0,0,1] op_sel_hi:[1,1,0] neg_lo:[0,0,1] neg_hi:[0,0,1]
	v_pk_fma_f32 v[32:33], v[34:35], v[42:43], v[32:33] op_sel:[0,0,1] op_sel_hi:[1,0,0]
	v_mov_b32_e32 v47, v33
	ds_load_2addr_b64 v[32:35], v36 offset0:3 offset1:4
	v_pk_add_f32 v[8:9], v[8:9], v[48:49] neg_lo:[0,1] neg_hi:[0,1]
	v_pk_add_f32 v[10:11], v[10:11], v[46:47] neg_lo:[0,1] neg_hi:[0,1]
	s_wait_dscnt 0x0
	v_pk_mul_f32 v[46:47], v[32:33], v[44:45] op_sel:[0,1]
	s_delay_alu instid0(VALU_DEP_1) | instskip(SKIP_2) | instid1(VALU_DEP_2)
	v_pk_fma_f32 v[48:49], v[32:33], v[42:43], v[46:47] op_sel:[0,0,1] op_sel_hi:[1,1,0] neg_lo:[0,0,1] neg_hi:[0,0,1]
	v_pk_fma_f32 v[32:33], v[32:33], v[42:43], v[46:47] op_sel:[0,0,1] op_sel_hi:[1,0,0]
	v_dual_mul_f32 v46, v35, v45 :: v_dual_mov_b32 v32, v35
	v_dual_mov_b32 v49, v33 :: v_dual_mov_b32 v33, v34
	s_delay_alu instid0(VALU_DEP_2) | instskip(SKIP_1) | instid1(VALU_DEP_3)
	v_pk_fma_f32 v[46:47], v[34:35], v[26:27], v[46:47] op_sel_hi:[1,1,0] neg_lo:[0,0,1] neg_hi:[0,0,1]
	v_mul_f32_e32 v34, v35, v42
	v_pk_add_f32 v[6:7], v[6:7], v[48:49] neg_lo:[0,1] neg_hi:[0,1]
	s_delay_alu instid0(VALU_DEP_2) | instskip(NEXT) | instid1(VALU_DEP_1)
	v_pk_fma_f32 v[32:33], v[32:33], v[26:27], v[34:35] op_sel_hi:[1,1,0]
	v_mov_b32_e32 v47, v33
	ds_load_2addr_b64 v[32:35], v36 offset0:5 offset1:6
	v_pk_add_f32 v[22:23], v[22:23], v[46:47] neg_lo:[0,1] neg_hi:[0,1]
	s_wait_dscnt 0x0
	v_pk_mul_f32 v[46:47], v[32:33], v[44:45] op_sel:[0,1]
	s_delay_alu instid0(VALU_DEP_1) | instskip(SKIP_1) | instid1(VALU_DEP_1)
	v_pk_fma_f32 v[48:49], v[32:33], v[42:43], v[46:47] op_sel:[0,0,1] op_sel_hi:[1,1,0] neg_lo:[0,0,1] neg_hi:[0,0,1]
	v_pk_fma_f32 v[32:33], v[32:33], v[42:43], v[46:47] op_sel:[0,0,1] op_sel_hi:[1,0,0]
	v_mov_b32_e32 v49, v33
	v_pk_mul_f32 v[32:33], v[34:35], v[44:45] op_sel:[0,1]
	s_delay_alu instid0(VALU_DEP_1) | instskip(SKIP_1) | instid1(VALU_DEP_1)
	v_pk_fma_f32 v[46:47], v[34:35], v[42:43], v[32:33] op_sel:[0,0,1] op_sel_hi:[1,1,0] neg_lo:[0,0,1] neg_hi:[0,0,1]
	v_pk_fma_f32 v[32:33], v[34:35], v[42:43], v[32:33] op_sel:[0,0,1] op_sel_hi:[1,0,0]
	v_mov_b32_e32 v47, v33
	ds_load_2addr_b64 v[32:35], v36 offset0:7 offset1:8
	v_pk_add_f32 v[18:19], v[18:19], v[48:49] neg_lo:[0,1] neg_hi:[0,1]
	v_pk_add_f32 v[20:21], v[20:21], v[46:47] neg_lo:[0,1] neg_hi:[0,1]
	s_wait_dscnt 0x0
	v_pk_mul_f32 v[46:47], v[32:33], v[44:45] op_sel:[0,1]
	s_delay_alu instid0(VALU_DEP_1) | instskip(SKIP_1) | instid1(VALU_DEP_1)
	v_pk_fma_f32 v[48:49], v[32:33], v[42:43], v[46:47] op_sel:[0,0,1] op_sel_hi:[1,1,0] neg_lo:[0,0,1] neg_hi:[0,0,1]
	v_pk_fma_f32 v[32:33], v[32:33], v[42:43], v[46:47] op_sel:[0,0,1] op_sel_hi:[1,0,0]
	v_mov_b32_e32 v49, v33
	v_pk_mul_f32 v[32:33], v[34:35], v[44:45] op_sel:[0,1]
	s_delay_alu instid0(VALU_DEP_1) | instskip(SKIP_1) | instid1(VALU_DEP_1)
	v_pk_fma_f32 v[46:47], v[34:35], v[42:43], v[32:33] op_sel:[0,0,1] op_sel_hi:[1,1,0] neg_lo:[0,0,1] neg_hi:[0,0,1]
	v_pk_fma_f32 v[32:33], v[34:35], v[42:43], v[32:33] op_sel:[0,0,1] op_sel_hi:[1,0,0]
	v_mov_b32_e32 v47, v33
	ds_load_2addr_b64 v[32:35], v36 offset0:9 offset1:10
	v_pk_add_f32 v[16:17], v[16:17], v[48:49] neg_lo:[0,1] neg_hi:[0,1]
	v_pk_add_f32 v[4:5], v[4:5], v[46:47] neg_lo:[0,1] neg_hi:[0,1]
	s_wait_dscnt 0x0
	v_dual_mul_f32 v46, v33, v45 :: v_dual_mul_f32 v48, v33, v42
	s_delay_alu instid0(VALU_DEP_1) | instskip(NEXT) | instid1(VALU_DEP_2)
	v_pk_fma_f32 v[46:47], v[32:33], v[26:27], v[46:47] op_sel_hi:[1,1,0] neg_lo:[0,0,1] neg_hi:[0,0,1]
	v_pk_fma_f32 v[32:33], v[32:33], v[26:27], v[48:49] op_sel:[1,0,0] op_sel_hi:[0,1,0]
	s_delay_alu instid0(VALU_DEP_1) | instskip(SKIP_1) | instid1(VALU_DEP_2)
	v_mov_b32_e32 v47, v33
	v_pk_mul_f32 v[32:33], v[34:35], v[44:45] op_sel:[0,1]
	v_pk_add_f32 v[24:25], v[24:25], v[46:47] neg_lo:[0,1] neg_hi:[0,1]
	s_delay_alu instid0(VALU_DEP_2) | instskip(SKIP_1) | instid1(VALU_DEP_1)
	v_pk_fma_f32 v[46:47], v[34:35], v[42:43], v[32:33] op_sel:[0,0,1] op_sel_hi:[1,1,0] neg_lo:[0,0,1] neg_hi:[0,0,1]
	v_pk_fma_f32 v[32:33], v[34:35], v[42:43], v[32:33] op_sel:[0,0,1] op_sel_hi:[1,0,0]
	v_mov_b32_e32 v47, v33
	ds_load_2addr_b64 v[32:35], v36 offset0:11 offset1:12
	v_pk_add_f32 v[14:15], v[14:15], v[46:47] neg_lo:[0,1] neg_hi:[0,1]
	s_wait_dscnt 0x0
	v_pk_mul_f32 v[46:47], v[32:33], v[44:45] op_sel:[0,1]
	v_mul_f32_e32 v44, v35, v45
	s_delay_alu instid0(VALU_DEP_2) | instskip(SKIP_2) | instid1(VALU_DEP_4)
	v_pk_fma_f32 v[48:49], v[32:33], v[42:43], v[46:47] op_sel:[0,0,1] op_sel_hi:[1,1,0] neg_lo:[0,0,1] neg_hi:[0,0,1]
	v_pk_fma_f32 v[32:33], v[32:33], v[42:43], v[46:47] op_sel:[0,0,1] op_sel_hi:[1,0,0]
	v_mov_b32_e32 v32, v35
	v_pk_fma_f32 v[44:45], v[34:35], v[26:27], v[44:45] op_sel_hi:[1,1,0] neg_lo:[0,0,1] neg_hi:[0,0,1]
	s_delay_alu instid0(VALU_DEP_3) | instskip(SKIP_1) | instid1(VALU_DEP_2)
	v_dual_mov_b32 v49, v33 :: v_dual_mov_b32 v33, v34
	v_mul_f32_e32 v34, v35, v42
	v_pk_add_f32 v[12:13], v[12:13], v[48:49] neg_lo:[0,1] neg_hi:[0,1]
	s_delay_alu instid0(VALU_DEP_2) | instskip(NEXT) | instid1(VALU_DEP_1)
	v_pk_fma_f32 v[32:33], v[32:33], v[26:27], v[34:35] op_sel_hi:[1,1,0]
	v_mov_b32_e32 v45, v33
	s_delay_alu instid0(VALU_DEP_1)
	v_pk_add_f32 v[30:31], v[30:31], v[44:45] neg_lo:[0,1] neg_hi:[0,1]
.LBB24_22:
	s_or_b32 exec_lo, exec_lo, s0
	v_lshl_add_u32 v32, v40, 3, v36
	s_barrier_signal -1
	s_barrier_wait -1
	ds_store_b64 v32, v[8:9]
	s_wait_dscnt 0x0
	s_barrier_signal -1
	s_barrier_wait -1
	ds_load_b64 v[32:33], v36 offset:8
	v_mov_b32_e32 v34, 1
	s_cmp_lt_i32 s14, 3
	s_cbranch_scc1 .LBB24_25
; %bb.23:
	v_add3_u32 v35, v37, 0, 16
	v_mov_b32_e32 v34, 1
	s_mov_b32 s0, 2
.LBB24_24:                              ; =>This Inner Loop Header: Depth=1
	ds_load_b64 v[42:43], v35
	s_wait_dscnt 0x1
	v_cmp_gt_f32_e32 vcc_lo, 0, v32
	v_cndmask_b32_e64 v44, v32, -v32, vcc_lo
	v_cmp_gt_f32_e32 vcc_lo, 0, v33
	v_cndmask_b32_e64 v46, v33, -v33, vcc_lo
	s_wait_dscnt 0x0
	v_cmp_gt_f32_e32 vcc_lo, 0, v42
	v_cndmask_b32_e64 v45, v42, -v42, vcc_lo
	v_cmp_gt_f32_e32 vcc_lo, 0, v43
	v_cndmask_b32_e64 v47, v43, -v43, vcc_lo
	s_delay_alu instid0(VALU_DEP_1) | instskip(NEXT) | instid1(VALU_DEP_1)
	v_pk_add_f32 v[44:45], v[44:45], v[46:47]
	v_cmp_lt_f32_e32 vcc_lo, v44, v45
	v_dual_cndmask_b32 v32, v32, v42 :: v_dual_add_nc_u32 v35, 8, v35
	v_cndmask_b32_e32 v33, v33, v43, vcc_lo
	v_cndmask_b32_e64 v34, v34, s0, vcc_lo
	s_add_co_i32 s0, s0, 1
	s_delay_alu instid0(SALU_CYCLE_1)
	s_cmp_lg_u32 s14, s0
	s_cbranch_scc1 .LBB24_24
.LBB24_25:
	s_wait_dscnt 0x0
	v_cmp_neq_f32_e32 vcc_lo, 0, v32
	v_cmp_neq_f32_e64 s0, 0, v33
	s_or_b32 s1, vcc_lo, s0
	s_delay_alu instid0(SALU_CYCLE_1)
	s_and_saveexec_b32 s0, s1
	s_cbranch_execz .LBB24_31
; %bb.26:
	v_cmp_ngt_f32_e64 s1, |v32|, |v33|
	s_and_saveexec_b32 s15, s1
	s_delay_alu instid0(SALU_CYCLE_1)
	s_xor_b32 s1, exec_lo, s15
	s_cbranch_execz .LBB24_28
; %bb.27:
	v_div_scale_f32 v35, null, v33, v33, v32
	v_div_scale_f32 v43, vcc_lo, v32, v33, v32
	s_delay_alu instid0(VALU_DEP_2) | instskip(SKIP_1) | instid1(TRANS32_DEP_1)
	v_rcp_f32_e32 v39, v35
	v_nop
	v_fma_f32 v42, -v35, v39, 1.0
	s_delay_alu instid0(VALU_DEP_1) | instskip(NEXT) | instid1(VALU_DEP_1)
	v_fmac_f32_e32 v39, v42, v39
	v_mul_f32_e32 v42, v43, v39
	s_delay_alu instid0(VALU_DEP_1) | instskip(NEXT) | instid1(VALU_DEP_1)
	v_fma_f32 v44, -v35, v42, v43
	v_fmac_f32_e32 v42, v44, v39
	s_delay_alu instid0(VALU_DEP_1) | instskip(NEXT) | instid1(VALU_DEP_1)
	v_fma_f32 v35, -v35, v42, v43
	v_div_fmas_f32 v35, v35, v39, v42
	s_delay_alu instid0(VALU_DEP_1) | instskip(NEXT) | instid1(VALU_DEP_1)
	v_div_fixup_f32 v35, v35, v33, v32
	v_fmac_f32_e32 v33, v32, v35
	s_delay_alu instid0(VALU_DEP_1) | instskip(SKIP_1) | instid1(VALU_DEP_2)
	v_div_scale_f32 v32, null, v33, v33, 1.0
	v_div_scale_f32 v43, vcc_lo, 1.0, v33, 1.0
	v_rcp_f32_e32 v39, v32
	v_nop
	s_delay_alu instid0(TRANS32_DEP_1) | instskip(NEXT) | instid1(VALU_DEP_1)
	v_fma_f32 v42, -v32, v39, 1.0
	v_fmac_f32_e32 v39, v42, v39
	s_delay_alu instid0(VALU_DEP_1) | instskip(NEXT) | instid1(VALU_DEP_1)
	v_mul_f32_e32 v42, v43, v39
	v_fma_f32 v44, -v32, v42, v43
	s_delay_alu instid0(VALU_DEP_1) | instskip(NEXT) | instid1(VALU_DEP_1)
	v_fmac_f32_e32 v42, v44, v39
	v_fma_f32 v32, -v32, v42, v43
	s_delay_alu instid0(VALU_DEP_1) | instskip(NEXT) | instid1(VALU_DEP_1)
	v_div_fmas_f32 v32, v32, v39, v42
	v_div_fixup_f32 v33, v32, v33, 1.0
	s_delay_alu instid0(VALU_DEP_1)
	v_mul_f32_e32 v32, v35, v33
	v_xor_b32_e32 v33, 0x80000000, v33
.LBB24_28:
	s_and_not1_saveexec_b32 s1, s1
	s_cbranch_execz .LBB24_30
; %bb.29:
	s_delay_alu instid0(VALU_DEP_1) | instskip(SKIP_1) | instid1(VALU_DEP_2)
	v_div_scale_f32 v35, null, v32, v32, v33
	v_div_scale_f32 v43, vcc_lo, v33, v32, v33
	v_rcp_f32_e32 v39, v35
	v_nop
	s_delay_alu instid0(TRANS32_DEP_1) | instskip(NEXT) | instid1(VALU_DEP_1)
	v_fma_f32 v42, -v35, v39, 1.0
	v_fmac_f32_e32 v39, v42, v39
	s_delay_alu instid0(VALU_DEP_1) | instskip(NEXT) | instid1(VALU_DEP_1)
	v_mul_f32_e32 v42, v43, v39
	v_fma_f32 v44, -v35, v42, v43
	s_delay_alu instid0(VALU_DEP_1) | instskip(NEXT) | instid1(VALU_DEP_1)
	v_fmac_f32_e32 v42, v44, v39
	v_fma_f32 v35, -v35, v42, v43
	s_delay_alu instid0(VALU_DEP_1) | instskip(NEXT) | instid1(VALU_DEP_1)
	v_div_fmas_f32 v35, v35, v39, v42
	v_div_fixup_f32 v35, v35, v32, v33
	s_delay_alu instid0(VALU_DEP_1) | instskip(NEXT) | instid1(VALU_DEP_1)
	v_fmac_f32_e32 v32, v33, v35
	v_div_scale_f32 v33, null, v32, v32, 1.0
	s_delay_alu instid0(VALU_DEP_1) | instskip(SKIP_1) | instid1(TRANS32_DEP_1)
	v_rcp_f32_e32 v39, v33
	v_nop
	v_fma_f32 v42, -v33, v39, 1.0
	s_delay_alu instid0(VALU_DEP_1) | instskip(SKIP_1) | instid1(VALU_DEP_1)
	v_fmac_f32_e32 v39, v42, v39
	v_div_scale_f32 v42, vcc_lo, 1.0, v32, 1.0
	v_mul_f32_e32 v43, v42, v39
	s_delay_alu instid0(VALU_DEP_1) | instskip(NEXT) | instid1(VALU_DEP_1)
	v_fma_f32 v44, -v33, v43, v42
	v_fmac_f32_e32 v43, v44, v39
	s_delay_alu instid0(VALU_DEP_1) | instskip(NEXT) | instid1(VALU_DEP_1)
	v_fma_f32 v33, -v33, v43, v42
	v_div_fmas_f32 v33, v33, v39, v43
	s_delay_alu instid0(VALU_DEP_1) | instskip(NEXT) | instid1(VALU_DEP_1)
	v_div_fixup_f32 v32, v33, v32, 1.0
	v_mul_f32_e64 v33, v35, -v32
.LBB24_30:
	s_or_b32 exec_lo, exec_lo, s1
	v_mov_b32_e32 v39, v41
.LBB24_31:
	s_or_b32 exec_lo, exec_lo, s0
	s_delay_alu instid0(SALU_CYCLE_1)
	s_mov_b32 s0, exec_lo
	v_cmpx_ne_u32_e64 v40, v34
	s_xor_b32 s0, exec_lo, s0
	s_cbranch_execz .LBB24_37
; %bb.32:
	s_mov_b32 s1, exec_lo
	v_cmpx_eq_u32_e32 1, v40
	s_cbranch_execz .LBB24_36
; %bb.33:
	v_cmp_ne_u32_e32 vcc_lo, 1, v34
	s_xor_b32 s15, s12, -1
	s_delay_alu instid0(SALU_CYCLE_1) | instskip(NEXT) | instid1(SALU_CYCLE_1)
	s_and_b32 s16, s15, vcc_lo
	s_and_saveexec_b32 s15, s16
	s_cbranch_execz .LBB24_35
; %bb.34:
	v_ashrrev_i32_e32 v35, 31, v34
	s_delay_alu instid0(VALU_DEP_1)
	v_lshl_add_u64 v[40:41], v[34:35], 2, v[28:29]
	s_clause 0x1
	global_load_b32 v35, v[40:41], off
	global_load_b32 v38, v[28:29], off offset:4
	s_wait_loadcnt 0x1
	global_store_b32 v[28:29], v35, off offset:4
	s_wait_loadcnt 0x0
	global_store_b32 v[40:41], v38, off
.LBB24_35:
	s_wait_xcnt 0x0
	s_or_b32 exec_lo, exec_lo, s15
	v_dual_mov_b32 v40, v34 :: v_dual_mov_b32 v38, v34
.LBB24_36:
	s_or_b32 exec_lo, exec_lo, s1
.LBB24_37:
	s_and_not1_saveexec_b32 s0, s0
	s_cbranch_execz .LBB24_39
; %bb.38:
	v_dual_mov_b32 v34, v10 :: v_dual_mov_b32 v35, v11
	v_dual_mov_b32 v40, v6 :: v_dual_mov_b32 v41, v7
	;; [unrolled: 1-line block ×6, first 2 shown]
	ds_store_2addr_b64 v36, v[34:35], v[40:41] offset0:2 offset1:3
	ds_store_2addr_b64 v36, v[42:43], v[44:45] offset0:4 offset1:5
	v_dual_mov_b32 v40, 1 :: v_dual_mov_b32 v50, v4
	v_dual_mov_b32 v51, v5 :: v_dual_mov_b32 v52, v24
	;; [unrolled: 1-line block ×4, first 2 shown]
	v_mov_b32_e32 v57, v13
	ds_store_2addr_b64 v36, v[46:47], v[48:49] offset0:6 offset1:7
	ds_store_2addr_b64 v36, v[50:51], v[52:53] offset0:8 offset1:9
	;; [unrolled: 1-line block ×3, first 2 shown]
	ds_store_b64 v36, v[30:31] offset:96
.LBB24_39:
	s_or_b32 exec_lo, exec_lo, s0
	s_delay_alu instid0(SALU_CYCLE_1)
	s_mov_b32 s0, exec_lo
	s_wait_storecnt_dscnt 0x0
	s_barrier_signal -1
	s_barrier_wait -1
	v_cmpx_lt_i32_e32 1, v40
	s_cbranch_execz .LBB24_41
; %bb.40:
	v_pk_mul_f32 v[34:35], v[32:33], v[8:9] op_sel:[1,1] op_sel_hi:[0,1]
	s_delay_alu instid0(VALU_DEP_1)
	v_pk_fma_f32 v[42:43], v[32:33], v[8:9], v[34:35] op_sel_hi:[1,0,1] neg_lo:[0,0,1] neg_hi:[0,0,1]
	v_pk_fma_f32 v[44:45], v[32:33], v[8:9], v[34:35] op_sel_hi:[1,0,1]
	ds_load_2addr_b64 v[32:35], v36 offset0:2 offset1:3
	v_dual_mov_b32 v8, v42 :: v_dual_mov_b32 v9, v45
	s_wait_dscnt 0x0
	v_pk_mul_f32 v[46:47], v[32:33], v[44:45] op_sel:[0,1]
	s_delay_alu instid0(VALU_DEP_1) | instskip(SKIP_1) | instid1(VALU_DEP_1)
	v_pk_fma_f32 v[48:49], v[32:33], v[42:43], v[46:47] op_sel:[0,0,1] op_sel_hi:[1,1,0] neg_lo:[0,0,1] neg_hi:[0,0,1]
	v_pk_fma_f32 v[32:33], v[32:33], v[42:43], v[46:47] op_sel:[0,0,1] op_sel_hi:[1,0,0]
	v_mov_b32_e32 v49, v33
	v_pk_mul_f32 v[32:33], v[34:35], v[44:45] op_sel:[0,1]
	s_delay_alu instid0(VALU_DEP_1) | instskip(SKIP_1) | instid1(VALU_DEP_1)
	v_pk_fma_f32 v[46:47], v[34:35], v[42:43], v[32:33] op_sel:[0,0,1] op_sel_hi:[1,1,0] neg_lo:[0,0,1] neg_hi:[0,0,1]
	v_pk_fma_f32 v[32:33], v[34:35], v[42:43], v[32:33] op_sel:[0,0,1] op_sel_hi:[1,0,0]
	v_mov_b32_e32 v47, v33
	ds_load_2addr_b64 v[32:35], v36 offset0:4 offset1:5
	v_pk_add_f32 v[10:11], v[10:11], v[48:49] neg_lo:[0,1] neg_hi:[0,1]
	v_pk_add_f32 v[6:7], v[6:7], v[46:47] neg_lo:[0,1] neg_hi:[0,1]
	s_wait_dscnt 0x0
	v_pk_mul_f32 v[46:47], v[32:33], v[44:45] op_sel:[0,1]
	s_delay_alu instid0(VALU_DEP_1) | instskip(SKIP_2) | instid1(VALU_DEP_2)
	v_pk_fma_f32 v[48:49], v[32:33], v[42:43], v[46:47] op_sel:[0,0,1] op_sel_hi:[1,1,0] neg_lo:[0,0,1] neg_hi:[0,0,1]
	v_pk_fma_f32 v[32:33], v[32:33], v[42:43], v[46:47] op_sel:[0,0,1] op_sel_hi:[1,0,0]
	v_dual_mul_f32 v46, v35, v45 :: v_dual_mov_b32 v32, v35
	v_dual_mov_b32 v49, v33 :: v_dual_mov_b32 v33, v34
	s_delay_alu instid0(VALU_DEP_2) | instskip(SKIP_1) | instid1(VALU_DEP_3)
	v_pk_fma_f32 v[46:47], v[34:35], v[8:9], v[46:47] op_sel_hi:[1,1,0] neg_lo:[0,0,1] neg_hi:[0,0,1]
	v_mul_f32_e32 v34, v35, v42
	v_pk_add_f32 v[22:23], v[22:23], v[48:49] neg_lo:[0,1] neg_hi:[0,1]
	s_delay_alu instid0(VALU_DEP_2) | instskip(NEXT) | instid1(VALU_DEP_1)
	v_pk_fma_f32 v[32:33], v[32:33], v[8:9], v[34:35] op_sel_hi:[1,1,0]
	v_mov_b32_e32 v47, v33
	ds_load_2addr_b64 v[32:35], v36 offset0:6 offset1:7
	v_pk_add_f32 v[18:19], v[18:19], v[46:47] neg_lo:[0,1] neg_hi:[0,1]
	s_wait_dscnt 0x0
	v_pk_mul_f32 v[46:47], v[32:33], v[44:45] op_sel:[0,1]
	s_delay_alu instid0(VALU_DEP_1) | instskip(SKIP_1) | instid1(VALU_DEP_1)
	v_pk_fma_f32 v[48:49], v[32:33], v[42:43], v[46:47] op_sel:[0,0,1] op_sel_hi:[1,1,0] neg_lo:[0,0,1] neg_hi:[0,0,1]
	v_pk_fma_f32 v[32:33], v[32:33], v[42:43], v[46:47] op_sel:[0,0,1] op_sel_hi:[1,0,0]
	v_mov_b32_e32 v49, v33
	v_pk_mul_f32 v[32:33], v[34:35], v[44:45] op_sel:[0,1]
	s_delay_alu instid0(VALU_DEP_1) | instskip(SKIP_1) | instid1(VALU_DEP_1)
	v_pk_fma_f32 v[46:47], v[34:35], v[42:43], v[32:33] op_sel:[0,0,1] op_sel_hi:[1,1,0] neg_lo:[0,0,1] neg_hi:[0,0,1]
	v_pk_fma_f32 v[32:33], v[34:35], v[42:43], v[32:33] op_sel:[0,0,1] op_sel_hi:[1,0,0]
	v_mov_b32_e32 v47, v33
	ds_load_2addr_b64 v[32:35], v36 offset0:8 offset1:9
	v_pk_add_f32 v[20:21], v[20:21], v[48:49] neg_lo:[0,1] neg_hi:[0,1]
	v_pk_add_f32 v[16:17], v[16:17], v[46:47] neg_lo:[0,1] neg_hi:[0,1]
	s_wait_dscnt 0x0
	v_pk_mul_f32 v[46:47], v[32:33], v[44:45] op_sel:[0,1]
	s_delay_alu instid0(VALU_DEP_1) | instskip(SKIP_1) | instid1(VALU_DEP_1)
	v_pk_fma_f32 v[48:49], v[32:33], v[42:43], v[46:47] op_sel:[0,0,1] op_sel_hi:[1,1,0] neg_lo:[0,0,1] neg_hi:[0,0,1]
	v_pk_fma_f32 v[32:33], v[32:33], v[42:43], v[46:47] op_sel:[0,0,1] op_sel_hi:[1,0,0]
	v_mov_b32_e32 v49, v33
	v_pk_mul_f32 v[32:33], v[34:35], v[44:45] op_sel:[0,1]
	s_delay_alu instid0(VALU_DEP_1) | instskip(SKIP_1) | instid1(VALU_DEP_1)
	v_pk_fma_f32 v[46:47], v[34:35], v[42:43], v[32:33] op_sel:[0,0,1] op_sel_hi:[1,1,0] neg_lo:[0,0,1] neg_hi:[0,0,1]
	v_pk_fma_f32 v[32:33], v[34:35], v[42:43], v[32:33] op_sel:[0,0,1] op_sel_hi:[1,0,0]
	v_mov_b32_e32 v47, v33
	ds_load_2addr_b64 v[32:35], v36 offset0:10 offset1:11
	v_pk_add_f32 v[4:5], v[4:5], v[48:49] neg_lo:[0,1] neg_hi:[0,1]
	v_pk_add_f32 v[24:25], v[24:25], v[46:47] neg_lo:[0,1] neg_hi:[0,1]
	s_wait_dscnt 0x0
	v_dual_mul_f32 v46, v33, v45 :: v_dual_mul_f32 v48, v33, v42
	s_delay_alu instid0(VALU_DEP_1) | instskip(NEXT) | instid1(VALU_DEP_2)
	v_pk_fma_f32 v[46:47], v[32:33], v[8:9], v[46:47] op_sel_hi:[1,1,0] neg_lo:[0,0,1] neg_hi:[0,0,1]
	v_pk_fma_f32 v[32:33], v[32:33], v[8:9], v[48:49] op_sel:[1,0,0] op_sel_hi:[0,1,0]
	s_delay_alu instid0(VALU_DEP_1) | instskip(SKIP_1) | instid1(VALU_DEP_2)
	v_mov_b32_e32 v47, v33
	v_pk_mul_f32 v[32:33], v[34:35], v[44:45] op_sel:[0,1]
	v_pk_add_f32 v[14:15], v[14:15], v[46:47] neg_lo:[0,1] neg_hi:[0,1]
	s_delay_alu instid0(VALU_DEP_2) | instskip(SKIP_1) | instid1(VALU_DEP_1)
	v_pk_fma_f32 v[46:47], v[34:35], v[42:43], v[32:33] op_sel:[0,0,1] op_sel_hi:[1,1,0] neg_lo:[0,0,1] neg_hi:[0,0,1]
	v_pk_fma_f32 v[32:33], v[34:35], v[42:43], v[32:33] op_sel:[0,0,1] op_sel_hi:[1,0,0]
	v_mov_b32_e32 v47, v33
	ds_load_b64 v[32:33], v36 offset:96
	v_pk_add_f32 v[12:13], v[12:13], v[46:47] neg_lo:[0,1] neg_hi:[0,1]
	s_wait_dscnt 0x0
	v_pk_mul_f32 v[34:35], v[32:33], v[44:45] op_sel:[0,1]
	s_delay_alu instid0(VALU_DEP_1) | instskip(SKIP_1) | instid1(VALU_DEP_1)
	v_pk_fma_f32 v[44:45], v[32:33], v[42:43], v[34:35] op_sel:[0,0,1] op_sel_hi:[1,1,0] neg_lo:[0,0,1] neg_hi:[0,0,1]
	v_pk_fma_f32 v[32:33], v[32:33], v[42:43], v[34:35] op_sel:[0,0,1] op_sel_hi:[1,0,0]
	v_mov_b32_e32 v45, v33
	s_delay_alu instid0(VALU_DEP_1)
	v_pk_add_f32 v[30:31], v[30:31], v[44:45] neg_lo:[0,1] neg_hi:[0,1]
.LBB24_41:
	s_or_b32 exec_lo, exec_lo, s0
	v_lshl_add_u32 v32, v40, 3, v36
	s_barrier_signal -1
	s_barrier_wait -1
	ds_store_b64 v32, v[10:11]
	s_wait_dscnt 0x0
	s_barrier_signal -1
	s_barrier_wait -1
	ds_load_b64 v[32:33], v36 offset:16
	v_mov_b32_e32 v34, 2
	s_cmp_lt_i32 s14, 4
	s_mov_b32 s0, 3
	s_cbranch_scc1 .LBB24_44
; %bb.42:
	v_add3_u32 v35, v37, 0, 24
	v_mov_b32_e32 v34, 2
.LBB24_43:                              ; =>This Inner Loop Header: Depth=1
	ds_load_b64 v[42:43], v35
	s_wait_dscnt 0x1
	v_cmp_gt_f32_e32 vcc_lo, 0, v32
	v_cndmask_b32_e64 v44, v32, -v32, vcc_lo
	v_cmp_gt_f32_e32 vcc_lo, 0, v33
	v_cndmask_b32_e64 v46, v33, -v33, vcc_lo
	s_wait_dscnt 0x0
	v_cmp_gt_f32_e32 vcc_lo, 0, v42
	v_cndmask_b32_e64 v45, v42, -v42, vcc_lo
	v_cmp_gt_f32_e32 vcc_lo, 0, v43
	v_cndmask_b32_e64 v47, v43, -v43, vcc_lo
	s_delay_alu instid0(VALU_DEP_1) | instskip(NEXT) | instid1(VALU_DEP_1)
	v_pk_add_f32 v[44:45], v[44:45], v[46:47]
	v_cmp_lt_f32_e32 vcc_lo, v44, v45
	v_dual_cndmask_b32 v32, v32, v42 :: v_dual_add_nc_u32 v35, 8, v35
	v_cndmask_b32_e32 v33, v33, v43, vcc_lo
	v_cndmask_b32_e64 v34, v34, s0, vcc_lo
	s_add_co_i32 s0, s0, 1
	s_delay_alu instid0(SALU_CYCLE_1)
	s_cmp_lg_u32 s14, s0
	s_cbranch_scc1 .LBB24_43
.LBB24_44:
	s_wait_dscnt 0x0
	v_cmp_eq_f32_e32 vcc_lo, 0, v32
	v_cmp_eq_f32_e64 s0, 0, v33
	s_and_b32 s0, vcc_lo, s0
	s_delay_alu instid0(SALU_CYCLE_1) | instskip(NEXT) | instid1(SALU_CYCLE_1)
	s_and_saveexec_b32 s1, s0
	s_xor_b32 s0, exec_lo, s1
; %bb.45:
	v_cmp_ne_u32_e32 vcc_lo, 0, v39
	v_cndmask_b32_e32 v39, 3, v39, vcc_lo
; %bb.46:
	s_and_not1_saveexec_b32 s0, s0
	s_cbranch_execz .LBB24_52
; %bb.47:
	v_cmp_ngt_f32_e64 s1, |v32|, |v33|
	s_and_saveexec_b32 s15, s1
	s_delay_alu instid0(SALU_CYCLE_1)
	s_xor_b32 s1, exec_lo, s15
	s_cbranch_execz .LBB24_49
; %bb.48:
	v_div_scale_f32 v35, null, v33, v33, v32
	v_div_scale_f32 v43, vcc_lo, v32, v33, v32
	s_delay_alu instid0(VALU_DEP_2) | instskip(SKIP_1) | instid1(TRANS32_DEP_1)
	v_rcp_f32_e32 v41, v35
	v_nop
	v_fma_f32 v42, -v35, v41, 1.0
	s_delay_alu instid0(VALU_DEP_1) | instskip(NEXT) | instid1(VALU_DEP_1)
	v_fmac_f32_e32 v41, v42, v41
	v_mul_f32_e32 v42, v43, v41
	s_delay_alu instid0(VALU_DEP_1) | instskip(NEXT) | instid1(VALU_DEP_1)
	v_fma_f32 v44, -v35, v42, v43
	v_fmac_f32_e32 v42, v44, v41
	s_delay_alu instid0(VALU_DEP_1) | instskip(NEXT) | instid1(VALU_DEP_1)
	v_fma_f32 v35, -v35, v42, v43
	v_div_fmas_f32 v35, v35, v41, v42
	s_delay_alu instid0(VALU_DEP_1) | instskip(NEXT) | instid1(VALU_DEP_1)
	v_div_fixup_f32 v35, v35, v33, v32
	v_fmac_f32_e32 v33, v32, v35
	s_delay_alu instid0(VALU_DEP_1) | instskip(SKIP_1) | instid1(VALU_DEP_2)
	v_div_scale_f32 v32, null, v33, v33, 1.0
	v_div_scale_f32 v43, vcc_lo, 1.0, v33, 1.0
	v_rcp_f32_e32 v41, v32
	v_nop
	s_delay_alu instid0(TRANS32_DEP_1) | instskip(NEXT) | instid1(VALU_DEP_1)
	v_fma_f32 v42, -v32, v41, 1.0
	v_fmac_f32_e32 v41, v42, v41
	s_delay_alu instid0(VALU_DEP_1) | instskip(NEXT) | instid1(VALU_DEP_1)
	v_mul_f32_e32 v42, v43, v41
	v_fma_f32 v44, -v32, v42, v43
	s_delay_alu instid0(VALU_DEP_1) | instskip(NEXT) | instid1(VALU_DEP_1)
	v_fmac_f32_e32 v42, v44, v41
	v_fma_f32 v32, -v32, v42, v43
	s_delay_alu instid0(VALU_DEP_1) | instskip(NEXT) | instid1(VALU_DEP_1)
	v_div_fmas_f32 v32, v32, v41, v42
	v_div_fixup_f32 v33, v32, v33, 1.0
	s_delay_alu instid0(VALU_DEP_1)
	v_mul_f32_e32 v32, v35, v33
	v_xor_b32_e32 v33, 0x80000000, v33
.LBB24_49:
	s_and_not1_saveexec_b32 s1, s1
	s_cbranch_execz .LBB24_51
; %bb.50:
	s_delay_alu instid0(VALU_DEP_1) | instskip(SKIP_1) | instid1(VALU_DEP_2)
	v_div_scale_f32 v35, null, v32, v32, v33
	v_div_scale_f32 v43, vcc_lo, v33, v32, v33
	v_rcp_f32_e32 v41, v35
	v_nop
	s_delay_alu instid0(TRANS32_DEP_1) | instskip(NEXT) | instid1(VALU_DEP_1)
	v_fma_f32 v42, -v35, v41, 1.0
	v_fmac_f32_e32 v41, v42, v41
	s_delay_alu instid0(VALU_DEP_1) | instskip(NEXT) | instid1(VALU_DEP_1)
	v_mul_f32_e32 v42, v43, v41
	v_fma_f32 v44, -v35, v42, v43
	s_delay_alu instid0(VALU_DEP_1) | instskip(NEXT) | instid1(VALU_DEP_1)
	v_fmac_f32_e32 v42, v44, v41
	v_fma_f32 v35, -v35, v42, v43
	s_delay_alu instid0(VALU_DEP_1) | instskip(NEXT) | instid1(VALU_DEP_1)
	v_div_fmas_f32 v35, v35, v41, v42
	v_div_fixup_f32 v35, v35, v32, v33
	s_delay_alu instid0(VALU_DEP_1) | instskip(NEXT) | instid1(VALU_DEP_1)
	v_fmac_f32_e32 v32, v33, v35
	v_div_scale_f32 v33, null, v32, v32, 1.0
	s_delay_alu instid0(VALU_DEP_1) | instskip(SKIP_1) | instid1(TRANS32_DEP_1)
	v_rcp_f32_e32 v41, v33
	v_nop
	v_fma_f32 v42, -v33, v41, 1.0
	s_delay_alu instid0(VALU_DEP_1) | instskip(SKIP_1) | instid1(VALU_DEP_1)
	v_fmac_f32_e32 v41, v42, v41
	v_div_scale_f32 v42, vcc_lo, 1.0, v32, 1.0
	v_mul_f32_e32 v43, v42, v41
	s_delay_alu instid0(VALU_DEP_1) | instskip(NEXT) | instid1(VALU_DEP_1)
	v_fma_f32 v44, -v33, v43, v42
	v_fmac_f32_e32 v43, v44, v41
	s_delay_alu instid0(VALU_DEP_1) | instskip(NEXT) | instid1(VALU_DEP_1)
	v_fma_f32 v33, -v33, v43, v42
	v_div_fmas_f32 v33, v33, v41, v43
	s_delay_alu instid0(VALU_DEP_1) | instskip(NEXT) | instid1(VALU_DEP_1)
	v_div_fixup_f32 v32, v33, v32, 1.0
	v_mul_f32_e64 v33, v35, -v32
.LBB24_51:
	s_or_b32 exec_lo, exec_lo, s1
.LBB24_52:
	s_delay_alu instid0(SALU_CYCLE_1) | instskip(NEXT) | instid1(SALU_CYCLE_1)
	s_or_b32 exec_lo, exec_lo, s0
	s_mov_b32 s0, exec_lo
	v_cmpx_ne_u32_e64 v40, v34
	s_xor_b32 s0, exec_lo, s0
	s_cbranch_execz .LBB24_58
; %bb.53:
	s_mov_b32 s1, exec_lo
	v_cmpx_eq_u32_e32 2, v40
	s_cbranch_execz .LBB24_57
; %bb.54:
	v_cmp_ne_u32_e32 vcc_lo, 2, v34
	s_xor_b32 s15, s12, -1
	s_delay_alu instid0(SALU_CYCLE_1) | instskip(NEXT) | instid1(SALU_CYCLE_1)
	s_and_b32 s16, s15, vcc_lo
	s_and_saveexec_b32 s15, s16
	s_cbranch_execz .LBB24_56
; %bb.55:
	v_ashrrev_i32_e32 v35, 31, v34
	s_delay_alu instid0(VALU_DEP_1)
	v_lshl_add_u64 v[40:41], v[34:35], 2, v[28:29]
	s_clause 0x1
	global_load_b32 v35, v[40:41], off
	global_load_b32 v38, v[28:29], off offset:8
	s_wait_loadcnt 0x1
	global_store_b32 v[28:29], v35, off offset:8
	s_wait_loadcnt 0x0
	global_store_b32 v[40:41], v38, off
.LBB24_56:
	s_wait_xcnt 0x0
	s_or_b32 exec_lo, exec_lo, s15
	v_dual_mov_b32 v40, v34 :: v_dual_mov_b32 v38, v34
.LBB24_57:
	s_or_b32 exec_lo, exec_lo, s1
.LBB24_58:
	s_and_not1_saveexec_b32 s0, s0
	s_cbranch_execz .LBB24_60
; %bb.59:
	v_mov_b32_e32 v40, 2
	ds_store_2addr_b64 v36, v[6:7], v[22:23] offset0:3 offset1:4
	ds_store_2addr_b64 v36, v[18:19], v[20:21] offset0:5 offset1:6
	;; [unrolled: 1-line block ×5, first 2 shown]
.LBB24_60:
	s_or_b32 exec_lo, exec_lo, s0
	s_delay_alu instid0(SALU_CYCLE_1)
	s_mov_b32 s0, exec_lo
	s_wait_storecnt_dscnt 0x0
	s_barrier_signal -1
	s_barrier_wait -1
	v_cmpx_lt_i32_e32 2, v40
	s_cbranch_execz .LBB24_62
; %bb.61:
	v_pk_mul_f32 v[34:35], v[32:33], v[10:11] op_sel:[1,1] op_sel_hi:[0,1]
	s_delay_alu instid0(VALU_DEP_1)
	v_pk_fma_f32 v[42:43], v[32:33], v[10:11], v[34:35] op_sel_hi:[1,0,1] neg_lo:[0,0,1] neg_hi:[0,0,1]
	v_pk_fma_f32 v[44:45], v[32:33], v[10:11], v[34:35] op_sel_hi:[1,0,1]
	ds_load_2addr_b64 v[32:35], v36 offset0:3 offset1:4
	v_dual_mov_b32 v10, v42 :: v_dual_mov_b32 v11, v45
	s_wait_dscnt 0x0
	v_pk_mul_f32 v[46:47], v[32:33], v[44:45] op_sel:[0,1]
	s_delay_alu instid0(VALU_DEP_1) | instskip(SKIP_1) | instid1(VALU_DEP_1)
	v_pk_fma_f32 v[48:49], v[32:33], v[42:43], v[46:47] op_sel:[0,0,1] op_sel_hi:[1,1,0] neg_lo:[0,0,1] neg_hi:[0,0,1]
	v_pk_fma_f32 v[32:33], v[32:33], v[42:43], v[46:47] op_sel:[0,0,1] op_sel_hi:[1,0,0]
	v_mov_b32_e32 v49, v33
	v_pk_mul_f32 v[32:33], v[34:35], v[44:45] op_sel:[0,1]
	s_delay_alu instid0(VALU_DEP_1) | instskip(SKIP_1) | instid1(VALU_DEP_1)
	v_pk_fma_f32 v[46:47], v[34:35], v[42:43], v[32:33] op_sel:[0,0,1] op_sel_hi:[1,1,0] neg_lo:[0,0,1] neg_hi:[0,0,1]
	v_pk_fma_f32 v[32:33], v[34:35], v[42:43], v[32:33] op_sel:[0,0,1] op_sel_hi:[1,0,0]
	v_mov_b32_e32 v47, v33
	ds_load_2addr_b64 v[32:35], v36 offset0:5 offset1:6
	v_pk_add_f32 v[6:7], v[6:7], v[48:49] neg_lo:[0,1] neg_hi:[0,1]
	v_pk_add_f32 v[22:23], v[22:23], v[46:47] neg_lo:[0,1] neg_hi:[0,1]
	s_wait_dscnt 0x0
	v_pk_mul_f32 v[46:47], v[32:33], v[44:45] op_sel:[0,1]
	s_delay_alu instid0(VALU_DEP_1) | instskip(SKIP_2) | instid1(VALU_DEP_2)
	v_pk_fma_f32 v[48:49], v[32:33], v[42:43], v[46:47] op_sel:[0,0,1] op_sel_hi:[1,1,0] neg_lo:[0,0,1] neg_hi:[0,0,1]
	v_pk_fma_f32 v[32:33], v[32:33], v[42:43], v[46:47] op_sel:[0,0,1] op_sel_hi:[1,0,0]
	v_dual_mul_f32 v46, v35, v45 :: v_dual_mov_b32 v32, v35
	v_dual_mov_b32 v49, v33 :: v_dual_mov_b32 v33, v34
	s_delay_alu instid0(VALU_DEP_2) | instskip(SKIP_1) | instid1(VALU_DEP_3)
	v_pk_fma_f32 v[46:47], v[34:35], v[10:11], v[46:47] op_sel_hi:[1,1,0] neg_lo:[0,0,1] neg_hi:[0,0,1]
	v_mul_f32_e32 v34, v35, v42
	v_pk_add_f32 v[18:19], v[18:19], v[48:49] neg_lo:[0,1] neg_hi:[0,1]
	s_delay_alu instid0(VALU_DEP_2) | instskip(NEXT) | instid1(VALU_DEP_1)
	v_pk_fma_f32 v[32:33], v[32:33], v[10:11], v[34:35] op_sel_hi:[1,1,0]
	v_mov_b32_e32 v47, v33
	ds_load_2addr_b64 v[32:35], v36 offset0:7 offset1:8
	v_pk_add_f32 v[20:21], v[20:21], v[46:47] neg_lo:[0,1] neg_hi:[0,1]
	s_wait_dscnt 0x0
	v_pk_mul_f32 v[46:47], v[32:33], v[44:45] op_sel:[0,1]
	s_delay_alu instid0(VALU_DEP_1) | instskip(SKIP_1) | instid1(VALU_DEP_1)
	v_pk_fma_f32 v[48:49], v[32:33], v[42:43], v[46:47] op_sel:[0,0,1] op_sel_hi:[1,1,0] neg_lo:[0,0,1] neg_hi:[0,0,1]
	v_pk_fma_f32 v[32:33], v[32:33], v[42:43], v[46:47] op_sel:[0,0,1] op_sel_hi:[1,0,0]
	v_mov_b32_e32 v49, v33
	v_pk_mul_f32 v[32:33], v[34:35], v[44:45] op_sel:[0,1]
	s_delay_alu instid0(VALU_DEP_1) | instskip(SKIP_1) | instid1(VALU_DEP_1)
	v_pk_fma_f32 v[46:47], v[34:35], v[42:43], v[32:33] op_sel:[0,0,1] op_sel_hi:[1,1,0] neg_lo:[0,0,1] neg_hi:[0,0,1]
	v_pk_fma_f32 v[32:33], v[34:35], v[42:43], v[32:33] op_sel:[0,0,1] op_sel_hi:[1,0,0]
	v_mov_b32_e32 v47, v33
	ds_load_2addr_b64 v[32:35], v36 offset0:9 offset1:10
	v_pk_add_f32 v[16:17], v[16:17], v[48:49] neg_lo:[0,1] neg_hi:[0,1]
	v_pk_add_f32 v[4:5], v[4:5], v[46:47] neg_lo:[0,1] neg_hi:[0,1]
	s_wait_dscnt 0x0
	v_pk_mul_f32 v[46:47], v[32:33], v[44:45] op_sel:[0,1]
	s_delay_alu instid0(VALU_DEP_1) | instskip(SKIP_1) | instid1(VALU_DEP_1)
	v_pk_fma_f32 v[48:49], v[32:33], v[42:43], v[46:47] op_sel:[0,0,1] op_sel_hi:[1,1,0] neg_lo:[0,0,1] neg_hi:[0,0,1]
	v_pk_fma_f32 v[32:33], v[32:33], v[42:43], v[46:47] op_sel:[0,0,1] op_sel_hi:[1,0,0]
	v_mov_b32_e32 v49, v33
	v_pk_mul_f32 v[32:33], v[34:35], v[44:45] op_sel:[0,1]
	s_delay_alu instid0(VALU_DEP_1) | instskip(SKIP_1) | instid1(VALU_DEP_1)
	v_pk_fma_f32 v[46:47], v[34:35], v[42:43], v[32:33] op_sel:[0,0,1] op_sel_hi:[1,1,0] neg_lo:[0,0,1] neg_hi:[0,0,1]
	v_pk_fma_f32 v[32:33], v[34:35], v[42:43], v[32:33] op_sel:[0,0,1] op_sel_hi:[1,0,0]
	v_mov_b32_e32 v47, v33
	ds_load_2addr_b64 v[32:35], v36 offset0:11 offset1:12
	v_pk_add_f32 v[24:25], v[24:25], v[48:49] neg_lo:[0,1] neg_hi:[0,1]
	v_pk_add_f32 v[14:15], v[14:15], v[46:47] neg_lo:[0,1] neg_hi:[0,1]
	s_wait_dscnt 0x0
	v_dual_mul_f32 v46, v33, v45 :: v_dual_mul_f32 v48, v33, v42
	s_delay_alu instid0(VALU_DEP_1) | instskip(NEXT) | instid1(VALU_DEP_2)
	v_pk_fma_f32 v[46:47], v[32:33], v[10:11], v[46:47] op_sel_hi:[1,1,0] neg_lo:[0,0,1] neg_hi:[0,0,1]
	v_pk_fma_f32 v[32:33], v[32:33], v[10:11], v[48:49] op_sel:[1,0,0] op_sel_hi:[0,1,0]
	s_delay_alu instid0(VALU_DEP_1) | instskip(SKIP_1) | instid1(VALU_DEP_1)
	v_mov_b32_e32 v47, v33
	v_pk_mul_f32 v[32:33], v[34:35], v[44:45] op_sel:[0,1]
	v_pk_fma_f32 v[44:45], v[34:35], v[42:43], v[32:33] op_sel:[0,0,1] op_sel_hi:[1,1,0] neg_lo:[0,0,1] neg_hi:[0,0,1]
	v_pk_fma_f32 v[32:33], v[34:35], v[42:43], v[32:33] op_sel:[0,0,1] op_sel_hi:[1,0,0]
	s_delay_alu instid0(VALU_DEP_1) | instskip(SKIP_1) | instid1(VALU_DEP_2)
	v_mov_b32_e32 v45, v33
	v_pk_add_f32 v[12:13], v[12:13], v[46:47] neg_lo:[0,1] neg_hi:[0,1]
	v_pk_add_f32 v[30:31], v[30:31], v[44:45] neg_lo:[0,1] neg_hi:[0,1]
.LBB24_62:
	s_or_b32 exec_lo, exec_lo, s0
	v_lshl_add_u32 v32, v40, 3, v36
	s_barrier_signal -1
	s_barrier_wait -1
	ds_store_b64 v32, v[6:7]
	s_wait_dscnt 0x0
	s_barrier_signal -1
	s_barrier_wait -1
	ds_load_b64 v[32:33], v36 offset:24
	v_mov_b32_e32 v34, 3
	s_cmp_lt_i32 s14, 5
	s_cbranch_scc1 .LBB24_65
; %bb.63:
	v_mov_b32_e32 v34, 3
	v_add3_u32 v35, v37, 0, 32
	s_mov_b32 s0, 4
.LBB24_64:                              ; =>This Inner Loop Header: Depth=1
	ds_load_b64 v[42:43], v35
	s_wait_dscnt 0x1
	v_cmp_gt_f32_e32 vcc_lo, 0, v32
	v_cndmask_b32_e64 v44, v32, -v32, vcc_lo
	v_cmp_gt_f32_e32 vcc_lo, 0, v33
	v_cndmask_b32_e64 v46, v33, -v33, vcc_lo
	s_wait_dscnt 0x0
	v_cmp_gt_f32_e32 vcc_lo, 0, v42
	v_cndmask_b32_e64 v45, v42, -v42, vcc_lo
	v_cmp_gt_f32_e32 vcc_lo, 0, v43
	v_cndmask_b32_e64 v47, v43, -v43, vcc_lo
	s_delay_alu instid0(VALU_DEP_1) | instskip(NEXT) | instid1(VALU_DEP_1)
	v_pk_add_f32 v[44:45], v[44:45], v[46:47]
	v_cmp_lt_f32_e32 vcc_lo, v44, v45
	v_dual_cndmask_b32 v32, v32, v42 :: v_dual_add_nc_u32 v35, 8, v35
	v_cndmask_b32_e32 v33, v33, v43, vcc_lo
	v_cndmask_b32_e64 v34, v34, s0, vcc_lo
	s_add_co_i32 s0, s0, 1
	s_delay_alu instid0(SALU_CYCLE_1)
	s_cmp_lg_u32 s14, s0
	s_cbranch_scc1 .LBB24_64
.LBB24_65:
	s_wait_dscnt 0x0
	v_cmp_eq_f32_e32 vcc_lo, 0, v32
	v_cmp_eq_f32_e64 s0, 0, v33
	s_and_b32 s0, vcc_lo, s0
	s_delay_alu instid0(SALU_CYCLE_1) | instskip(NEXT) | instid1(SALU_CYCLE_1)
	s_and_saveexec_b32 s1, s0
	s_xor_b32 s0, exec_lo, s1
; %bb.66:
	v_cmp_ne_u32_e32 vcc_lo, 0, v39
	v_cndmask_b32_e32 v39, 4, v39, vcc_lo
; %bb.67:
	s_and_not1_saveexec_b32 s0, s0
	s_cbranch_execz .LBB24_73
; %bb.68:
	v_cmp_ngt_f32_e64 s1, |v32|, |v33|
	s_and_saveexec_b32 s15, s1
	s_delay_alu instid0(SALU_CYCLE_1)
	s_xor_b32 s1, exec_lo, s15
	s_cbranch_execz .LBB24_70
; %bb.69:
	v_div_scale_f32 v35, null, v33, v33, v32
	v_div_scale_f32 v43, vcc_lo, v32, v33, v32
	s_delay_alu instid0(VALU_DEP_2) | instskip(SKIP_1) | instid1(TRANS32_DEP_1)
	v_rcp_f32_e32 v41, v35
	v_nop
	v_fma_f32 v42, -v35, v41, 1.0
	s_delay_alu instid0(VALU_DEP_1) | instskip(NEXT) | instid1(VALU_DEP_1)
	v_fmac_f32_e32 v41, v42, v41
	v_mul_f32_e32 v42, v43, v41
	s_delay_alu instid0(VALU_DEP_1) | instskip(NEXT) | instid1(VALU_DEP_1)
	v_fma_f32 v44, -v35, v42, v43
	v_fmac_f32_e32 v42, v44, v41
	s_delay_alu instid0(VALU_DEP_1) | instskip(NEXT) | instid1(VALU_DEP_1)
	v_fma_f32 v35, -v35, v42, v43
	v_div_fmas_f32 v35, v35, v41, v42
	s_delay_alu instid0(VALU_DEP_1) | instskip(NEXT) | instid1(VALU_DEP_1)
	v_div_fixup_f32 v35, v35, v33, v32
	v_fmac_f32_e32 v33, v32, v35
	s_delay_alu instid0(VALU_DEP_1) | instskip(SKIP_1) | instid1(VALU_DEP_2)
	v_div_scale_f32 v32, null, v33, v33, 1.0
	v_div_scale_f32 v43, vcc_lo, 1.0, v33, 1.0
	v_rcp_f32_e32 v41, v32
	v_nop
	s_delay_alu instid0(TRANS32_DEP_1) | instskip(NEXT) | instid1(VALU_DEP_1)
	v_fma_f32 v42, -v32, v41, 1.0
	v_fmac_f32_e32 v41, v42, v41
	s_delay_alu instid0(VALU_DEP_1) | instskip(NEXT) | instid1(VALU_DEP_1)
	v_mul_f32_e32 v42, v43, v41
	v_fma_f32 v44, -v32, v42, v43
	s_delay_alu instid0(VALU_DEP_1) | instskip(NEXT) | instid1(VALU_DEP_1)
	v_fmac_f32_e32 v42, v44, v41
	v_fma_f32 v32, -v32, v42, v43
	s_delay_alu instid0(VALU_DEP_1) | instskip(NEXT) | instid1(VALU_DEP_1)
	v_div_fmas_f32 v32, v32, v41, v42
	v_div_fixup_f32 v33, v32, v33, 1.0
	s_delay_alu instid0(VALU_DEP_1)
	v_mul_f32_e32 v32, v35, v33
	v_xor_b32_e32 v33, 0x80000000, v33
.LBB24_70:
	s_and_not1_saveexec_b32 s1, s1
	s_cbranch_execz .LBB24_72
; %bb.71:
	s_delay_alu instid0(VALU_DEP_1) | instskip(SKIP_1) | instid1(VALU_DEP_2)
	v_div_scale_f32 v35, null, v32, v32, v33
	v_div_scale_f32 v43, vcc_lo, v33, v32, v33
	v_rcp_f32_e32 v41, v35
	v_nop
	s_delay_alu instid0(TRANS32_DEP_1) | instskip(NEXT) | instid1(VALU_DEP_1)
	v_fma_f32 v42, -v35, v41, 1.0
	v_fmac_f32_e32 v41, v42, v41
	s_delay_alu instid0(VALU_DEP_1) | instskip(NEXT) | instid1(VALU_DEP_1)
	v_mul_f32_e32 v42, v43, v41
	v_fma_f32 v44, -v35, v42, v43
	s_delay_alu instid0(VALU_DEP_1) | instskip(NEXT) | instid1(VALU_DEP_1)
	v_fmac_f32_e32 v42, v44, v41
	v_fma_f32 v35, -v35, v42, v43
	s_delay_alu instid0(VALU_DEP_1) | instskip(NEXT) | instid1(VALU_DEP_1)
	v_div_fmas_f32 v35, v35, v41, v42
	v_div_fixup_f32 v35, v35, v32, v33
	s_delay_alu instid0(VALU_DEP_1) | instskip(NEXT) | instid1(VALU_DEP_1)
	v_fmac_f32_e32 v32, v33, v35
	v_div_scale_f32 v33, null, v32, v32, 1.0
	s_delay_alu instid0(VALU_DEP_1) | instskip(SKIP_1) | instid1(TRANS32_DEP_1)
	v_rcp_f32_e32 v41, v33
	v_nop
	v_fma_f32 v42, -v33, v41, 1.0
	s_delay_alu instid0(VALU_DEP_1) | instskip(SKIP_1) | instid1(VALU_DEP_1)
	v_fmac_f32_e32 v41, v42, v41
	v_div_scale_f32 v42, vcc_lo, 1.0, v32, 1.0
	v_mul_f32_e32 v43, v42, v41
	s_delay_alu instid0(VALU_DEP_1) | instskip(NEXT) | instid1(VALU_DEP_1)
	v_fma_f32 v44, -v33, v43, v42
	v_fmac_f32_e32 v43, v44, v41
	s_delay_alu instid0(VALU_DEP_1) | instskip(NEXT) | instid1(VALU_DEP_1)
	v_fma_f32 v33, -v33, v43, v42
	v_div_fmas_f32 v33, v33, v41, v43
	s_delay_alu instid0(VALU_DEP_1) | instskip(NEXT) | instid1(VALU_DEP_1)
	v_div_fixup_f32 v32, v33, v32, 1.0
	v_mul_f32_e64 v33, v35, -v32
.LBB24_72:
	s_or_b32 exec_lo, exec_lo, s1
.LBB24_73:
	s_delay_alu instid0(SALU_CYCLE_1) | instskip(NEXT) | instid1(SALU_CYCLE_1)
	s_or_b32 exec_lo, exec_lo, s0
	s_mov_b32 s0, exec_lo
	v_cmpx_ne_u32_e64 v40, v34
	s_xor_b32 s0, exec_lo, s0
	s_cbranch_execz .LBB24_79
; %bb.74:
	s_mov_b32 s1, exec_lo
	v_cmpx_eq_u32_e32 3, v40
	s_cbranch_execz .LBB24_78
; %bb.75:
	v_cmp_ne_u32_e32 vcc_lo, 3, v34
	s_xor_b32 s15, s12, -1
	s_delay_alu instid0(SALU_CYCLE_1) | instskip(NEXT) | instid1(SALU_CYCLE_1)
	s_and_b32 s16, s15, vcc_lo
	s_and_saveexec_b32 s15, s16
	s_cbranch_execz .LBB24_77
; %bb.76:
	v_ashrrev_i32_e32 v35, 31, v34
	s_delay_alu instid0(VALU_DEP_1)
	v_lshl_add_u64 v[40:41], v[34:35], 2, v[28:29]
	s_clause 0x1
	global_load_b32 v35, v[40:41], off
	global_load_b32 v38, v[28:29], off offset:12
	s_wait_loadcnt 0x1
	global_store_b32 v[28:29], v35, off offset:12
	s_wait_loadcnt 0x0
	global_store_b32 v[40:41], v38, off
.LBB24_77:
	s_wait_xcnt 0x0
	s_or_b32 exec_lo, exec_lo, s15
	v_dual_mov_b32 v40, v34 :: v_dual_mov_b32 v38, v34
.LBB24_78:
	s_or_b32 exec_lo, exec_lo, s1
.LBB24_79:
	s_and_not1_saveexec_b32 s0, s0
	s_cbranch_execz .LBB24_81
; %bb.80:
	v_dual_mov_b32 v34, v22 :: v_dual_mov_b32 v35, v23
	v_dual_mov_b32 v42, v18 :: v_dual_mov_b32 v43, v19
	;; [unrolled: 1-line block ×8, first 2 shown]
	v_mov_b32_e32 v55, v13
	ds_store_2addr_b64 v36, v[34:35], v[42:43] offset0:4 offset1:5
	ds_store_2addr_b64 v36, v[44:45], v[46:47] offset0:6 offset1:7
	;; [unrolled: 1-line block ×4, first 2 shown]
	ds_store_b64 v36, v[30:31] offset:96
.LBB24_81:
	s_or_b32 exec_lo, exec_lo, s0
	s_delay_alu instid0(SALU_CYCLE_1)
	s_mov_b32 s0, exec_lo
	s_wait_storecnt_dscnt 0x0
	s_barrier_signal -1
	s_barrier_wait -1
	v_cmpx_lt_i32_e32 3, v40
	s_cbranch_execz .LBB24_83
; %bb.82:
	v_pk_mul_f32 v[34:35], v[32:33], v[6:7] op_sel:[1,1] op_sel_hi:[0,1]
	s_delay_alu instid0(VALU_DEP_1)
	v_pk_fma_f32 v[42:43], v[32:33], v[6:7], v[34:35] op_sel_hi:[1,0,1] neg_lo:[0,0,1] neg_hi:[0,0,1]
	v_pk_fma_f32 v[44:45], v[32:33], v[6:7], v[34:35] op_sel_hi:[1,0,1]
	ds_load_2addr_b64 v[32:35], v36 offset0:4 offset1:5
	v_dual_mov_b32 v6, v42 :: v_dual_mov_b32 v7, v45
	s_wait_dscnt 0x0
	v_pk_mul_f32 v[46:47], v[32:33], v[44:45] op_sel:[0,1]
	s_delay_alu instid0(VALU_DEP_1) | instskip(SKIP_1) | instid1(VALU_DEP_1)
	v_pk_fma_f32 v[48:49], v[32:33], v[42:43], v[46:47] op_sel:[0,0,1] op_sel_hi:[1,1,0] neg_lo:[0,0,1] neg_hi:[0,0,1]
	v_pk_fma_f32 v[32:33], v[32:33], v[42:43], v[46:47] op_sel:[0,0,1] op_sel_hi:[1,0,0]
	v_mov_b32_e32 v49, v33
	v_pk_mul_f32 v[32:33], v[34:35], v[44:45] op_sel:[0,1]
	s_delay_alu instid0(VALU_DEP_1) | instskip(SKIP_1) | instid1(VALU_DEP_1)
	v_pk_fma_f32 v[46:47], v[34:35], v[42:43], v[32:33] op_sel:[0,0,1] op_sel_hi:[1,1,0] neg_lo:[0,0,1] neg_hi:[0,0,1]
	v_pk_fma_f32 v[32:33], v[34:35], v[42:43], v[32:33] op_sel:[0,0,1] op_sel_hi:[1,0,0]
	v_mov_b32_e32 v47, v33
	ds_load_2addr_b64 v[32:35], v36 offset0:6 offset1:7
	v_pk_add_f32 v[22:23], v[22:23], v[48:49] neg_lo:[0,1] neg_hi:[0,1]
	v_pk_add_f32 v[18:19], v[18:19], v[46:47] neg_lo:[0,1] neg_hi:[0,1]
	s_wait_dscnt 0x0
	v_pk_mul_f32 v[46:47], v[32:33], v[44:45] op_sel:[0,1]
	s_delay_alu instid0(VALU_DEP_1) | instskip(SKIP_2) | instid1(VALU_DEP_2)
	v_pk_fma_f32 v[48:49], v[32:33], v[42:43], v[46:47] op_sel:[0,0,1] op_sel_hi:[1,1,0] neg_lo:[0,0,1] neg_hi:[0,0,1]
	v_pk_fma_f32 v[32:33], v[32:33], v[42:43], v[46:47] op_sel:[0,0,1] op_sel_hi:[1,0,0]
	v_dual_mul_f32 v46, v35, v45 :: v_dual_mov_b32 v32, v35
	v_dual_mov_b32 v49, v33 :: v_dual_mov_b32 v33, v34
	s_delay_alu instid0(VALU_DEP_2) | instskip(SKIP_1) | instid1(VALU_DEP_3)
	v_pk_fma_f32 v[46:47], v[34:35], v[6:7], v[46:47] op_sel_hi:[1,1,0] neg_lo:[0,0,1] neg_hi:[0,0,1]
	v_mul_f32_e32 v34, v35, v42
	v_pk_add_f32 v[20:21], v[20:21], v[48:49] neg_lo:[0,1] neg_hi:[0,1]
	s_delay_alu instid0(VALU_DEP_2) | instskip(NEXT) | instid1(VALU_DEP_1)
	v_pk_fma_f32 v[32:33], v[32:33], v[6:7], v[34:35] op_sel_hi:[1,1,0]
	v_mov_b32_e32 v47, v33
	ds_load_2addr_b64 v[32:35], v36 offset0:8 offset1:9
	v_pk_add_f32 v[16:17], v[16:17], v[46:47] neg_lo:[0,1] neg_hi:[0,1]
	s_wait_dscnt 0x0
	v_pk_mul_f32 v[46:47], v[32:33], v[44:45] op_sel:[0,1]
	s_delay_alu instid0(VALU_DEP_1) | instskip(SKIP_1) | instid1(VALU_DEP_1)
	v_pk_fma_f32 v[48:49], v[32:33], v[42:43], v[46:47] op_sel:[0,0,1] op_sel_hi:[1,1,0] neg_lo:[0,0,1] neg_hi:[0,0,1]
	v_pk_fma_f32 v[32:33], v[32:33], v[42:43], v[46:47] op_sel:[0,0,1] op_sel_hi:[1,0,0]
	v_mov_b32_e32 v49, v33
	v_pk_mul_f32 v[32:33], v[34:35], v[44:45] op_sel:[0,1]
	s_delay_alu instid0(VALU_DEP_1) | instskip(SKIP_1) | instid1(VALU_DEP_1)
	v_pk_fma_f32 v[46:47], v[34:35], v[42:43], v[32:33] op_sel:[0,0,1] op_sel_hi:[1,1,0] neg_lo:[0,0,1] neg_hi:[0,0,1]
	v_pk_fma_f32 v[32:33], v[34:35], v[42:43], v[32:33] op_sel:[0,0,1] op_sel_hi:[1,0,0]
	v_mov_b32_e32 v47, v33
	ds_load_2addr_b64 v[32:35], v36 offset0:10 offset1:11
	v_pk_add_f32 v[4:5], v[4:5], v[48:49] neg_lo:[0,1] neg_hi:[0,1]
	v_pk_add_f32 v[24:25], v[24:25], v[46:47] neg_lo:[0,1] neg_hi:[0,1]
	s_wait_dscnt 0x0
	v_pk_mul_f32 v[46:47], v[32:33], v[44:45] op_sel:[0,1]
	s_delay_alu instid0(VALU_DEP_1) | instskip(SKIP_1) | instid1(VALU_DEP_1)
	v_pk_fma_f32 v[48:49], v[32:33], v[42:43], v[46:47] op_sel:[0,0,1] op_sel_hi:[1,1,0] neg_lo:[0,0,1] neg_hi:[0,0,1]
	v_pk_fma_f32 v[32:33], v[32:33], v[42:43], v[46:47] op_sel:[0,0,1] op_sel_hi:[1,0,0]
	v_mov_b32_e32 v49, v33
	v_pk_mul_f32 v[32:33], v[34:35], v[44:45] op_sel:[0,1]
	s_delay_alu instid0(VALU_DEP_1) | instskip(SKIP_1) | instid1(VALU_DEP_1)
	v_pk_fma_f32 v[46:47], v[34:35], v[42:43], v[32:33] op_sel:[0,0,1] op_sel_hi:[1,1,0] neg_lo:[0,0,1] neg_hi:[0,0,1]
	v_pk_fma_f32 v[32:33], v[34:35], v[42:43], v[32:33] op_sel:[0,0,1] op_sel_hi:[1,0,0]
	v_mov_b32_e32 v47, v33
	ds_load_b64 v[32:33], v36 offset:96
	v_pk_add_f32 v[14:15], v[14:15], v[48:49] neg_lo:[0,1] neg_hi:[0,1]
	v_pk_add_f32 v[12:13], v[12:13], v[46:47] neg_lo:[0,1] neg_hi:[0,1]
	s_wait_dscnt 0x0
	v_pk_mul_f32 v[34:35], v[32:33], v[44:45] op_sel:[0,1]
	s_delay_alu instid0(VALU_DEP_1) | instskip(SKIP_1) | instid1(VALU_DEP_1)
	v_pk_fma_f32 v[44:45], v[32:33], v[42:43], v[34:35] op_sel:[0,0,1] op_sel_hi:[1,1,0] neg_lo:[0,0,1] neg_hi:[0,0,1]
	v_pk_fma_f32 v[32:33], v[32:33], v[42:43], v[34:35] op_sel:[0,0,1] op_sel_hi:[1,0,0]
	v_mov_b32_e32 v45, v33
	s_delay_alu instid0(VALU_DEP_1)
	v_pk_add_f32 v[30:31], v[30:31], v[44:45] neg_lo:[0,1] neg_hi:[0,1]
.LBB24_83:
	s_or_b32 exec_lo, exec_lo, s0
	v_lshl_add_u32 v32, v40, 3, v36
	s_barrier_signal -1
	s_barrier_wait -1
	ds_store_b64 v32, v[22:23]
	s_wait_dscnt 0x0
	s_barrier_signal -1
	s_barrier_wait -1
	ds_load_b64 v[32:33], v36 offset:32
	v_mov_b32_e32 v34, 4
	s_cmp_lt_i32 s14, 6
	s_cbranch_scc1 .LBB24_86
; %bb.84:
	v_add3_u32 v35, v37, 0, 40
	v_mov_b32_e32 v34, 4
	s_mov_b32 s0, 5
.LBB24_85:                              ; =>This Inner Loop Header: Depth=1
	ds_load_b64 v[42:43], v35
	s_wait_dscnt 0x1
	v_cmp_gt_f32_e32 vcc_lo, 0, v32
	v_cndmask_b32_e64 v44, v32, -v32, vcc_lo
	v_cmp_gt_f32_e32 vcc_lo, 0, v33
	v_cndmask_b32_e64 v46, v33, -v33, vcc_lo
	s_wait_dscnt 0x0
	v_cmp_gt_f32_e32 vcc_lo, 0, v42
	v_cndmask_b32_e64 v45, v42, -v42, vcc_lo
	v_cmp_gt_f32_e32 vcc_lo, 0, v43
	v_cndmask_b32_e64 v47, v43, -v43, vcc_lo
	s_delay_alu instid0(VALU_DEP_1) | instskip(NEXT) | instid1(VALU_DEP_1)
	v_pk_add_f32 v[44:45], v[44:45], v[46:47]
	v_cmp_lt_f32_e32 vcc_lo, v44, v45
	v_dual_cndmask_b32 v32, v32, v42 :: v_dual_add_nc_u32 v35, 8, v35
	v_cndmask_b32_e32 v33, v33, v43, vcc_lo
	v_cndmask_b32_e64 v34, v34, s0, vcc_lo
	s_add_co_i32 s0, s0, 1
	s_delay_alu instid0(SALU_CYCLE_1)
	s_cmp_lg_u32 s14, s0
	s_cbranch_scc1 .LBB24_85
.LBB24_86:
	s_wait_dscnt 0x0
	v_cmp_eq_f32_e32 vcc_lo, 0, v32
	v_cmp_eq_f32_e64 s0, 0, v33
	s_and_b32 s0, vcc_lo, s0
	s_delay_alu instid0(SALU_CYCLE_1) | instskip(NEXT) | instid1(SALU_CYCLE_1)
	s_and_saveexec_b32 s1, s0
	s_xor_b32 s0, exec_lo, s1
; %bb.87:
	v_cmp_ne_u32_e32 vcc_lo, 0, v39
	v_cndmask_b32_e32 v39, 5, v39, vcc_lo
; %bb.88:
	s_and_not1_saveexec_b32 s0, s0
	s_cbranch_execz .LBB24_94
; %bb.89:
	v_cmp_ngt_f32_e64 s1, |v32|, |v33|
	s_and_saveexec_b32 s15, s1
	s_delay_alu instid0(SALU_CYCLE_1)
	s_xor_b32 s1, exec_lo, s15
	s_cbranch_execz .LBB24_91
; %bb.90:
	v_div_scale_f32 v35, null, v33, v33, v32
	v_div_scale_f32 v43, vcc_lo, v32, v33, v32
	s_delay_alu instid0(VALU_DEP_2) | instskip(SKIP_1) | instid1(TRANS32_DEP_1)
	v_rcp_f32_e32 v41, v35
	v_nop
	v_fma_f32 v42, -v35, v41, 1.0
	s_delay_alu instid0(VALU_DEP_1) | instskip(NEXT) | instid1(VALU_DEP_1)
	v_fmac_f32_e32 v41, v42, v41
	v_mul_f32_e32 v42, v43, v41
	s_delay_alu instid0(VALU_DEP_1) | instskip(NEXT) | instid1(VALU_DEP_1)
	v_fma_f32 v44, -v35, v42, v43
	v_fmac_f32_e32 v42, v44, v41
	s_delay_alu instid0(VALU_DEP_1) | instskip(NEXT) | instid1(VALU_DEP_1)
	v_fma_f32 v35, -v35, v42, v43
	v_div_fmas_f32 v35, v35, v41, v42
	s_delay_alu instid0(VALU_DEP_1) | instskip(NEXT) | instid1(VALU_DEP_1)
	v_div_fixup_f32 v35, v35, v33, v32
	v_fmac_f32_e32 v33, v32, v35
	s_delay_alu instid0(VALU_DEP_1) | instskip(SKIP_1) | instid1(VALU_DEP_2)
	v_div_scale_f32 v32, null, v33, v33, 1.0
	v_div_scale_f32 v43, vcc_lo, 1.0, v33, 1.0
	v_rcp_f32_e32 v41, v32
	v_nop
	s_delay_alu instid0(TRANS32_DEP_1) | instskip(NEXT) | instid1(VALU_DEP_1)
	v_fma_f32 v42, -v32, v41, 1.0
	v_fmac_f32_e32 v41, v42, v41
	s_delay_alu instid0(VALU_DEP_1) | instskip(NEXT) | instid1(VALU_DEP_1)
	v_mul_f32_e32 v42, v43, v41
	v_fma_f32 v44, -v32, v42, v43
	s_delay_alu instid0(VALU_DEP_1) | instskip(NEXT) | instid1(VALU_DEP_1)
	v_fmac_f32_e32 v42, v44, v41
	v_fma_f32 v32, -v32, v42, v43
	s_delay_alu instid0(VALU_DEP_1) | instskip(NEXT) | instid1(VALU_DEP_1)
	v_div_fmas_f32 v32, v32, v41, v42
	v_div_fixup_f32 v33, v32, v33, 1.0
	s_delay_alu instid0(VALU_DEP_1)
	v_mul_f32_e32 v32, v35, v33
	v_xor_b32_e32 v33, 0x80000000, v33
.LBB24_91:
	s_and_not1_saveexec_b32 s1, s1
	s_cbranch_execz .LBB24_93
; %bb.92:
	s_delay_alu instid0(VALU_DEP_1) | instskip(SKIP_1) | instid1(VALU_DEP_2)
	v_div_scale_f32 v35, null, v32, v32, v33
	v_div_scale_f32 v43, vcc_lo, v33, v32, v33
	v_rcp_f32_e32 v41, v35
	v_nop
	s_delay_alu instid0(TRANS32_DEP_1) | instskip(NEXT) | instid1(VALU_DEP_1)
	v_fma_f32 v42, -v35, v41, 1.0
	v_fmac_f32_e32 v41, v42, v41
	s_delay_alu instid0(VALU_DEP_1) | instskip(NEXT) | instid1(VALU_DEP_1)
	v_mul_f32_e32 v42, v43, v41
	v_fma_f32 v44, -v35, v42, v43
	s_delay_alu instid0(VALU_DEP_1) | instskip(NEXT) | instid1(VALU_DEP_1)
	v_fmac_f32_e32 v42, v44, v41
	v_fma_f32 v35, -v35, v42, v43
	s_delay_alu instid0(VALU_DEP_1) | instskip(NEXT) | instid1(VALU_DEP_1)
	v_div_fmas_f32 v35, v35, v41, v42
	v_div_fixup_f32 v35, v35, v32, v33
	s_delay_alu instid0(VALU_DEP_1) | instskip(NEXT) | instid1(VALU_DEP_1)
	v_fmac_f32_e32 v32, v33, v35
	v_div_scale_f32 v33, null, v32, v32, 1.0
	s_delay_alu instid0(VALU_DEP_1) | instskip(SKIP_1) | instid1(TRANS32_DEP_1)
	v_rcp_f32_e32 v41, v33
	v_nop
	v_fma_f32 v42, -v33, v41, 1.0
	s_delay_alu instid0(VALU_DEP_1) | instskip(SKIP_1) | instid1(VALU_DEP_1)
	v_fmac_f32_e32 v41, v42, v41
	v_div_scale_f32 v42, vcc_lo, 1.0, v32, 1.0
	v_mul_f32_e32 v43, v42, v41
	s_delay_alu instid0(VALU_DEP_1) | instskip(NEXT) | instid1(VALU_DEP_1)
	v_fma_f32 v44, -v33, v43, v42
	v_fmac_f32_e32 v43, v44, v41
	s_delay_alu instid0(VALU_DEP_1) | instskip(NEXT) | instid1(VALU_DEP_1)
	v_fma_f32 v33, -v33, v43, v42
	v_div_fmas_f32 v33, v33, v41, v43
	s_delay_alu instid0(VALU_DEP_1) | instskip(NEXT) | instid1(VALU_DEP_1)
	v_div_fixup_f32 v32, v33, v32, 1.0
	v_mul_f32_e64 v33, v35, -v32
.LBB24_93:
	s_or_b32 exec_lo, exec_lo, s1
.LBB24_94:
	s_delay_alu instid0(SALU_CYCLE_1) | instskip(NEXT) | instid1(SALU_CYCLE_1)
	s_or_b32 exec_lo, exec_lo, s0
	s_mov_b32 s0, exec_lo
	v_cmpx_ne_u32_e64 v40, v34
	s_xor_b32 s0, exec_lo, s0
	s_cbranch_execz .LBB24_100
; %bb.95:
	s_mov_b32 s1, exec_lo
	v_cmpx_eq_u32_e32 4, v40
	s_cbranch_execz .LBB24_99
; %bb.96:
	v_cmp_ne_u32_e32 vcc_lo, 4, v34
	s_xor_b32 s15, s12, -1
	s_delay_alu instid0(SALU_CYCLE_1) | instskip(NEXT) | instid1(SALU_CYCLE_1)
	s_and_b32 s16, s15, vcc_lo
	s_and_saveexec_b32 s15, s16
	s_cbranch_execz .LBB24_98
; %bb.97:
	v_ashrrev_i32_e32 v35, 31, v34
	s_delay_alu instid0(VALU_DEP_1)
	v_lshl_add_u64 v[40:41], v[34:35], 2, v[28:29]
	s_clause 0x1
	global_load_b32 v35, v[40:41], off
	global_load_b32 v38, v[28:29], off offset:16
	s_wait_loadcnt 0x1
	global_store_b32 v[28:29], v35, off offset:16
	s_wait_loadcnt 0x0
	global_store_b32 v[40:41], v38, off
.LBB24_98:
	s_wait_xcnt 0x0
	s_or_b32 exec_lo, exec_lo, s15
	v_dual_mov_b32 v40, v34 :: v_dual_mov_b32 v38, v34
.LBB24_99:
	s_or_b32 exec_lo, exec_lo, s1
.LBB24_100:
	s_and_not1_saveexec_b32 s0, s0
	s_cbranch_execz .LBB24_102
; %bb.101:
	v_mov_b32_e32 v40, 4
	ds_store_2addr_b64 v36, v[18:19], v[20:21] offset0:5 offset1:6
	ds_store_2addr_b64 v36, v[16:17], v[4:5] offset0:7 offset1:8
	;; [unrolled: 1-line block ×4, first 2 shown]
.LBB24_102:
	s_or_b32 exec_lo, exec_lo, s0
	s_delay_alu instid0(SALU_CYCLE_1)
	s_mov_b32 s0, exec_lo
	s_wait_storecnt_dscnt 0x0
	s_barrier_signal -1
	s_barrier_wait -1
	v_cmpx_lt_i32_e32 4, v40
	s_cbranch_execz .LBB24_104
; %bb.103:
	v_pk_mul_f32 v[34:35], v[32:33], v[22:23] op_sel:[1,1] op_sel_hi:[0,1]
	s_delay_alu instid0(VALU_DEP_1)
	v_pk_fma_f32 v[42:43], v[32:33], v[22:23], v[34:35] op_sel_hi:[1,0,1] neg_lo:[0,0,1] neg_hi:[0,0,1]
	v_pk_fma_f32 v[44:45], v[32:33], v[22:23], v[34:35] op_sel_hi:[1,0,1]
	ds_load_2addr_b64 v[32:35], v36 offset0:5 offset1:6
	v_dual_mov_b32 v22, v42 :: v_dual_mov_b32 v23, v45
	s_wait_dscnt 0x0
	v_pk_mul_f32 v[46:47], v[32:33], v[44:45] op_sel:[0,1]
	s_delay_alu instid0(VALU_DEP_1) | instskip(SKIP_1) | instid1(VALU_DEP_1)
	v_pk_fma_f32 v[48:49], v[32:33], v[42:43], v[46:47] op_sel:[0,0,1] op_sel_hi:[1,1,0] neg_lo:[0,0,1] neg_hi:[0,0,1]
	v_pk_fma_f32 v[32:33], v[32:33], v[42:43], v[46:47] op_sel:[0,0,1] op_sel_hi:[1,0,0]
	v_mov_b32_e32 v49, v33
	v_pk_mul_f32 v[32:33], v[34:35], v[44:45] op_sel:[0,1]
	s_delay_alu instid0(VALU_DEP_1) | instskip(SKIP_1) | instid1(VALU_DEP_1)
	v_pk_fma_f32 v[46:47], v[34:35], v[42:43], v[32:33] op_sel:[0,0,1] op_sel_hi:[1,1,0] neg_lo:[0,0,1] neg_hi:[0,0,1]
	v_pk_fma_f32 v[32:33], v[34:35], v[42:43], v[32:33] op_sel:[0,0,1] op_sel_hi:[1,0,0]
	v_mov_b32_e32 v47, v33
	ds_load_2addr_b64 v[32:35], v36 offset0:7 offset1:8
	v_pk_add_f32 v[18:19], v[18:19], v[48:49] neg_lo:[0,1] neg_hi:[0,1]
	v_pk_add_f32 v[20:21], v[20:21], v[46:47] neg_lo:[0,1] neg_hi:[0,1]
	s_wait_dscnt 0x0
	v_pk_mul_f32 v[46:47], v[32:33], v[44:45] op_sel:[0,1]
	s_delay_alu instid0(VALU_DEP_1) | instskip(SKIP_2) | instid1(VALU_DEP_2)
	v_pk_fma_f32 v[48:49], v[32:33], v[42:43], v[46:47] op_sel:[0,0,1] op_sel_hi:[1,1,0] neg_lo:[0,0,1] neg_hi:[0,0,1]
	v_pk_fma_f32 v[32:33], v[32:33], v[42:43], v[46:47] op_sel:[0,0,1] op_sel_hi:[1,0,0]
	v_dual_mul_f32 v46, v35, v45 :: v_dual_mov_b32 v32, v35
	v_dual_mov_b32 v49, v33 :: v_dual_mov_b32 v33, v34
	s_delay_alu instid0(VALU_DEP_2) | instskip(SKIP_1) | instid1(VALU_DEP_3)
	v_pk_fma_f32 v[46:47], v[34:35], v[22:23], v[46:47] op_sel_hi:[1,1,0] neg_lo:[0,0,1] neg_hi:[0,0,1]
	v_mul_f32_e32 v34, v35, v42
	v_pk_add_f32 v[16:17], v[16:17], v[48:49] neg_lo:[0,1] neg_hi:[0,1]
	s_delay_alu instid0(VALU_DEP_2) | instskip(NEXT) | instid1(VALU_DEP_1)
	v_pk_fma_f32 v[32:33], v[32:33], v[22:23], v[34:35] op_sel_hi:[1,1,0]
	v_mov_b32_e32 v47, v33
	ds_load_2addr_b64 v[32:35], v36 offset0:9 offset1:10
	v_pk_add_f32 v[4:5], v[4:5], v[46:47] neg_lo:[0,1] neg_hi:[0,1]
	s_wait_dscnt 0x0
	v_pk_mul_f32 v[46:47], v[32:33], v[44:45] op_sel:[0,1]
	s_delay_alu instid0(VALU_DEP_1) | instskip(SKIP_1) | instid1(VALU_DEP_1)
	v_pk_fma_f32 v[48:49], v[32:33], v[42:43], v[46:47] op_sel:[0,0,1] op_sel_hi:[1,1,0] neg_lo:[0,0,1] neg_hi:[0,0,1]
	v_pk_fma_f32 v[32:33], v[32:33], v[42:43], v[46:47] op_sel:[0,0,1] op_sel_hi:[1,0,0]
	v_mov_b32_e32 v49, v33
	v_pk_mul_f32 v[32:33], v[34:35], v[44:45] op_sel:[0,1]
	s_delay_alu instid0(VALU_DEP_1) | instskip(SKIP_1) | instid1(VALU_DEP_1)
	v_pk_fma_f32 v[46:47], v[34:35], v[42:43], v[32:33] op_sel:[0,0,1] op_sel_hi:[1,1,0] neg_lo:[0,0,1] neg_hi:[0,0,1]
	v_pk_fma_f32 v[32:33], v[34:35], v[42:43], v[32:33] op_sel:[0,0,1] op_sel_hi:[1,0,0]
	v_mov_b32_e32 v47, v33
	ds_load_2addr_b64 v[32:35], v36 offset0:11 offset1:12
	v_pk_add_f32 v[24:25], v[24:25], v[48:49] neg_lo:[0,1] neg_hi:[0,1]
	v_pk_add_f32 v[14:15], v[14:15], v[46:47] neg_lo:[0,1] neg_hi:[0,1]
	s_wait_dscnt 0x0
	v_pk_mul_f32 v[46:47], v[32:33], v[44:45] op_sel:[0,1]
	s_delay_alu instid0(VALU_DEP_1) | instskip(SKIP_1) | instid1(VALU_DEP_1)
	v_pk_fma_f32 v[48:49], v[32:33], v[42:43], v[46:47] op_sel:[0,0,1] op_sel_hi:[1,1,0] neg_lo:[0,0,1] neg_hi:[0,0,1]
	v_pk_fma_f32 v[32:33], v[32:33], v[42:43], v[46:47] op_sel:[0,0,1] op_sel_hi:[1,0,0]
	v_mov_b32_e32 v49, v33
	v_pk_mul_f32 v[32:33], v[34:35], v[44:45] op_sel:[0,1]
	s_delay_alu instid0(VALU_DEP_1) | instskip(SKIP_1) | instid1(VALU_DEP_1)
	v_pk_fma_f32 v[44:45], v[34:35], v[42:43], v[32:33] op_sel:[0,0,1] op_sel_hi:[1,1,0] neg_lo:[0,0,1] neg_hi:[0,0,1]
	v_pk_fma_f32 v[32:33], v[34:35], v[42:43], v[32:33] op_sel:[0,0,1] op_sel_hi:[1,0,0]
	v_mov_b32_e32 v45, v33
	v_pk_add_f32 v[12:13], v[12:13], v[48:49] neg_lo:[0,1] neg_hi:[0,1]
	s_delay_alu instid0(VALU_DEP_2)
	v_pk_add_f32 v[30:31], v[30:31], v[44:45] neg_lo:[0,1] neg_hi:[0,1]
.LBB24_104:
	s_or_b32 exec_lo, exec_lo, s0
	v_lshl_add_u32 v32, v40, 3, v36
	s_barrier_signal -1
	s_barrier_wait -1
	ds_store_b64 v32, v[18:19]
	s_wait_dscnt 0x0
	s_barrier_signal -1
	s_barrier_wait -1
	ds_load_b64 v[32:33], v36 offset:40
	v_mov_b32_e32 v34, 5
	s_cmp_lt_i32 s14, 7
	s_cbranch_scc1 .LBB24_107
; %bb.105:
	v_add3_u32 v35, v37, 0, 48
	v_mov_b32_e32 v34, 5
	s_mov_b32 s0, 6
.LBB24_106:                             ; =>This Inner Loop Header: Depth=1
	ds_load_b64 v[42:43], v35
	s_wait_dscnt 0x1
	v_cmp_gt_f32_e32 vcc_lo, 0, v32
	v_cndmask_b32_e64 v44, v32, -v32, vcc_lo
	v_cmp_gt_f32_e32 vcc_lo, 0, v33
	v_cndmask_b32_e64 v46, v33, -v33, vcc_lo
	s_wait_dscnt 0x0
	v_cmp_gt_f32_e32 vcc_lo, 0, v42
	v_cndmask_b32_e64 v45, v42, -v42, vcc_lo
	v_cmp_gt_f32_e32 vcc_lo, 0, v43
	v_cndmask_b32_e64 v47, v43, -v43, vcc_lo
	s_delay_alu instid0(VALU_DEP_1) | instskip(NEXT) | instid1(VALU_DEP_1)
	v_pk_add_f32 v[44:45], v[44:45], v[46:47]
	v_cmp_lt_f32_e32 vcc_lo, v44, v45
	v_dual_cndmask_b32 v32, v32, v42 :: v_dual_add_nc_u32 v35, 8, v35
	v_cndmask_b32_e32 v33, v33, v43, vcc_lo
	v_cndmask_b32_e64 v34, v34, s0, vcc_lo
	s_add_co_i32 s0, s0, 1
	s_delay_alu instid0(SALU_CYCLE_1)
	s_cmp_lg_u32 s14, s0
	s_cbranch_scc1 .LBB24_106
.LBB24_107:
	s_wait_dscnt 0x0
	v_cmp_eq_f32_e32 vcc_lo, 0, v32
	v_cmp_eq_f32_e64 s0, 0, v33
	s_and_b32 s0, vcc_lo, s0
	s_delay_alu instid0(SALU_CYCLE_1) | instskip(NEXT) | instid1(SALU_CYCLE_1)
	s_and_saveexec_b32 s1, s0
	s_xor_b32 s0, exec_lo, s1
; %bb.108:
	v_cmp_ne_u32_e32 vcc_lo, 0, v39
	v_cndmask_b32_e32 v39, 6, v39, vcc_lo
; %bb.109:
	s_and_not1_saveexec_b32 s0, s0
	s_cbranch_execz .LBB24_115
; %bb.110:
	v_cmp_ngt_f32_e64 s1, |v32|, |v33|
	s_and_saveexec_b32 s15, s1
	s_delay_alu instid0(SALU_CYCLE_1)
	s_xor_b32 s1, exec_lo, s15
	s_cbranch_execz .LBB24_112
; %bb.111:
	v_div_scale_f32 v35, null, v33, v33, v32
	v_div_scale_f32 v43, vcc_lo, v32, v33, v32
	s_delay_alu instid0(VALU_DEP_2) | instskip(SKIP_1) | instid1(TRANS32_DEP_1)
	v_rcp_f32_e32 v41, v35
	v_nop
	v_fma_f32 v42, -v35, v41, 1.0
	s_delay_alu instid0(VALU_DEP_1) | instskip(NEXT) | instid1(VALU_DEP_1)
	v_fmac_f32_e32 v41, v42, v41
	v_mul_f32_e32 v42, v43, v41
	s_delay_alu instid0(VALU_DEP_1) | instskip(NEXT) | instid1(VALU_DEP_1)
	v_fma_f32 v44, -v35, v42, v43
	v_fmac_f32_e32 v42, v44, v41
	s_delay_alu instid0(VALU_DEP_1) | instskip(NEXT) | instid1(VALU_DEP_1)
	v_fma_f32 v35, -v35, v42, v43
	v_div_fmas_f32 v35, v35, v41, v42
	s_delay_alu instid0(VALU_DEP_1) | instskip(NEXT) | instid1(VALU_DEP_1)
	v_div_fixup_f32 v35, v35, v33, v32
	v_fmac_f32_e32 v33, v32, v35
	s_delay_alu instid0(VALU_DEP_1) | instskip(SKIP_1) | instid1(VALU_DEP_2)
	v_div_scale_f32 v32, null, v33, v33, 1.0
	v_div_scale_f32 v43, vcc_lo, 1.0, v33, 1.0
	v_rcp_f32_e32 v41, v32
	v_nop
	s_delay_alu instid0(TRANS32_DEP_1) | instskip(NEXT) | instid1(VALU_DEP_1)
	v_fma_f32 v42, -v32, v41, 1.0
	v_fmac_f32_e32 v41, v42, v41
	s_delay_alu instid0(VALU_DEP_1) | instskip(NEXT) | instid1(VALU_DEP_1)
	v_mul_f32_e32 v42, v43, v41
	v_fma_f32 v44, -v32, v42, v43
	s_delay_alu instid0(VALU_DEP_1) | instskip(NEXT) | instid1(VALU_DEP_1)
	v_fmac_f32_e32 v42, v44, v41
	v_fma_f32 v32, -v32, v42, v43
	s_delay_alu instid0(VALU_DEP_1) | instskip(NEXT) | instid1(VALU_DEP_1)
	v_div_fmas_f32 v32, v32, v41, v42
	v_div_fixup_f32 v33, v32, v33, 1.0
	s_delay_alu instid0(VALU_DEP_1)
	v_mul_f32_e32 v32, v35, v33
	v_xor_b32_e32 v33, 0x80000000, v33
.LBB24_112:
	s_and_not1_saveexec_b32 s1, s1
	s_cbranch_execz .LBB24_114
; %bb.113:
	s_delay_alu instid0(VALU_DEP_1) | instskip(SKIP_1) | instid1(VALU_DEP_2)
	v_div_scale_f32 v35, null, v32, v32, v33
	v_div_scale_f32 v43, vcc_lo, v33, v32, v33
	v_rcp_f32_e32 v41, v35
	v_nop
	s_delay_alu instid0(TRANS32_DEP_1) | instskip(NEXT) | instid1(VALU_DEP_1)
	v_fma_f32 v42, -v35, v41, 1.0
	v_fmac_f32_e32 v41, v42, v41
	s_delay_alu instid0(VALU_DEP_1) | instskip(NEXT) | instid1(VALU_DEP_1)
	v_mul_f32_e32 v42, v43, v41
	v_fma_f32 v44, -v35, v42, v43
	s_delay_alu instid0(VALU_DEP_1) | instskip(NEXT) | instid1(VALU_DEP_1)
	v_fmac_f32_e32 v42, v44, v41
	v_fma_f32 v35, -v35, v42, v43
	s_delay_alu instid0(VALU_DEP_1) | instskip(NEXT) | instid1(VALU_DEP_1)
	v_div_fmas_f32 v35, v35, v41, v42
	v_div_fixup_f32 v35, v35, v32, v33
	s_delay_alu instid0(VALU_DEP_1) | instskip(NEXT) | instid1(VALU_DEP_1)
	v_fmac_f32_e32 v32, v33, v35
	v_div_scale_f32 v33, null, v32, v32, 1.0
	s_delay_alu instid0(VALU_DEP_1) | instskip(SKIP_1) | instid1(TRANS32_DEP_1)
	v_rcp_f32_e32 v41, v33
	v_nop
	v_fma_f32 v42, -v33, v41, 1.0
	s_delay_alu instid0(VALU_DEP_1) | instskip(SKIP_1) | instid1(VALU_DEP_1)
	v_fmac_f32_e32 v41, v42, v41
	v_div_scale_f32 v42, vcc_lo, 1.0, v32, 1.0
	v_mul_f32_e32 v43, v42, v41
	s_delay_alu instid0(VALU_DEP_1) | instskip(NEXT) | instid1(VALU_DEP_1)
	v_fma_f32 v44, -v33, v43, v42
	v_fmac_f32_e32 v43, v44, v41
	s_delay_alu instid0(VALU_DEP_1) | instskip(NEXT) | instid1(VALU_DEP_1)
	v_fma_f32 v33, -v33, v43, v42
	v_div_fmas_f32 v33, v33, v41, v43
	s_delay_alu instid0(VALU_DEP_1) | instskip(NEXT) | instid1(VALU_DEP_1)
	v_div_fixup_f32 v32, v33, v32, 1.0
	v_mul_f32_e64 v33, v35, -v32
.LBB24_114:
	s_or_b32 exec_lo, exec_lo, s1
.LBB24_115:
	s_delay_alu instid0(SALU_CYCLE_1) | instskip(NEXT) | instid1(SALU_CYCLE_1)
	s_or_b32 exec_lo, exec_lo, s0
	s_mov_b32 s0, exec_lo
	v_cmpx_ne_u32_e64 v40, v34
	s_xor_b32 s0, exec_lo, s0
	s_cbranch_execz .LBB24_121
; %bb.116:
	s_mov_b32 s1, exec_lo
	v_cmpx_eq_u32_e32 5, v40
	s_cbranch_execz .LBB24_120
; %bb.117:
	v_cmp_ne_u32_e32 vcc_lo, 5, v34
	s_xor_b32 s15, s12, -1
	s_delay_alu instid0(SALU_CYCLE_1) | instskip(NEXT) | instid1(SALU_CYCLE_1)
	s_and_b32 s16, s15, vcc_lo
	s_and_saveexec_b32 s15, s16
	s_cbranch_execz .LBB24_119
; %bb.118:
	v_ashrrev_i32_e32 v35, 31, v34
	s_delay_alu instid0(VALU_DEP_1)
	v_lshl_add_u64 v[40:41], v[34:35], 2, v[28:29]
	s_clause 0x1
	global_load_b32 v35, v[40:41], off
	global_load_b32 v38, v[28:29], off offset:20
	s_wait_loadcnt 0x1
	global_store_b32 v[28:29], v35, off offset:20
	s_wait_loadcnt 0x0
	global_store_b32 v[40:41], v38, off
.LBB24_119:
	s_wait_xcnt 0x0
	s_or_b32 exec_lo, exec_lo, s15
	v_dual_mov_b32 v40, v34 :: v_dual_mov_b32 v38, v34
.LBB24_120:
	s_or_b32 exec_lo, exec_lo, s1
.LBB24_121:
	s_and_not1_saveexec_b32 s0, s0
	s_cbranch_execz .LBB24_123
; %bb.122:
	v_dual_mov_b32 v34, v20 :: v_dual_mov_b32 v35, v21
	v_dual_mov_b32 v42, v16 :: v_dual_mov_b32 v43, v17
	;; [unrolled: 1-line block ×6, first 2 shown]
	v_mov_b32_e32 v51, v13
	ds_store_2addr_b64 v36, v[34:35], v[42:43] offset0:6 offset1:7
	ds_store_2addr_b64 v36, v[44:45], v[46:47] offset0:8 offset1:9
	;; [unrolled: 1-line block ×3, first 2 shown]
	ds_store_b64 v36, v[30:31] offset:96
.LBB24_123:
	s_or_b32 exec_lo, exec_lo, s0
	s_delay_alu instid0(SALU_CYCLE_1)
	s_mov_b32 s0, exec_lo
	s_wait_storecnt_dscnt 0x0
	s_barrier_signal -1
	s_barrier_wait -1
	v_cmpx_lt_i32_e32 5, v40
	s_cbranch_execz .LBB24_125
; %bb.124:
	v_pk_mul_f32 v[34:35], v[32:33], v[18:19] op_sel:[1,1] op_sel_hi:[0,1]
	s_delay_alu instid0(VALU_DEP_1)
	v_pk_fma_f32 v[42:43], v[32:33], v[18:19], v[34:35] op_sel_hi:[1,0,1] neg_lo:[0,0,1] neg_hi:[0,0,1]
	v_pk_fma_f32 v[44:45], v[32:33], v[18:19], v[34:35] op_sel_hi:[1,0,1]
	ds_load_2addr_b64 v[32:35], v36 offset0:6 offset1:7
	v_dual_mov_b32 v18, v42 :: v_dual_mov_b32 v19, v45
	s_wait_dscnt 0x0
	v_pk_mul_f32 v[46:47], v[32:33], v[44:45] op_sel:[0,1]
	s_delay_alu instid0(VALU_DEP_1) | instskip(SKIP_1) | instid1(VALU_DEP_1)
	v_pk_fma_f32 v[48:49], v[32:33], v[42:43], v[46:47] op_sel:[0,0,1] op_sel_hi:[1,1,0] neg_lo:[0,0,1] neg_hi:[0,0,1]
	v_pk_fma_f32 v[32:33], v[32:33], v[42:43], v[46:47] op_sel:[0,0,1] op_sel_hi:[1,0,0]
	v_mov_b32_e32 v49, v33
	v_pk_mul_f32 v[32:33], v[34:35], v[44:45] op_sel:[0,1]
	s_delay_alu instid0(VALU_DEP_1) | instskip(SKIP_1) | instid1(VALU_DEP_1)
	v_pk_fma_f32 v[46:47], v[34:35], v[42:43], v[32:33] op_sel:[0,0,1] op_sel_hi:[1,1,0] neg_lo:[0,0,1] neg_hi:[0,0,1]
	v_pk_fma_f32 v[32:33], v[34:35], v[42:43], v[32:33] op_sel:[0,0,1] op_sel_hi:[1,0,0]
	v_mov_b32_e32 v47, v33
	ds_load_2addr_b64 v[32:35], v36 offset0:8 offset1:9
	v_pk_add_f32 v[20:21], v[20:21], v[48:49] neg_lo:[0,1] neg_hi:[0,1]
	v_pk_add_f32 v[16:17], v[16:17], v[46:47] neg_lo:[0,1] neg_hi:[0,1]
	s_wait_dscnt 0x0
	v_pk_mul_f32 v[46:47], v[32:33], v[44:45] op_sel:[0,1]
	s_delay_alu instid0(VALU_DEP_1) | instskip(SKIP_2) | instid1(VALU_DEP_2)
	v_pk_fma_f32 v[48:49], v[32:33], v[42:43], v[46:47] op_sel:[0,0,1] op_sel_hi:[1,1,0] neg_lo:[0,0,1] neg_hi:[0,0,1]
	v_pk_fma_f32 v[32:33], v[32:33], v[42:43], v[46:47] op_sel:[0,0,1] op_sel_hi:[1,0,0]
	v_dual_mul_f32 v46, v35, v45 :: v_dual_mov_b32 v32, v35
	v_dual_mov_b32 v49, v33 :: v_dual_mov_b32 v33, v34
	s_delay_alu instid0(VALU_DEP_2) | instskip(SKIP_1) | instid1(VALU_DEP_3)
	v_pk_fma_f32 v[46:47], v[34:35], v[18:19], v[46:47] op_sel_hi:[1,1,0] neg_lo:[0,0,1] neg_hi:[0,0,1]
	v_mul_f32_e32 v34, v35, v42
	v_pk_add_f32 v[4:5], v[4:5], v[48:49] neg_lo:[0,1] neg_hi:[0,1]
	s_delay_alu instid0(VALU_DEP_2) | instskip(NEXT) | instid1(VALU_DEP_1)
	v_pk_fma_f32 v[32:33], v[32:33], v[18:19], v[34:35] op_sel_hi:[1,1,0]
	v_mov_b32_e32 v47, v33
	ds_load_2addr_b64 v[32:35], v36 offset0:10 offset1:11
	v_pk_add_f32 v[24:25], v[24:25], v[46:47] neg_lo:[0,1] neg_hi:[0,1]
	s_wait_dscnt 0x0
	v_pk_mul_f32 v[46:47], v[32:33], v[44:45] op_sel:[0,1]
	s_delay_alu instid0(VALU_DEP_1) | instskip(SKIP_1) | instid1(VALU_DEP_1)
	v_pk_fma_f32 v[48:49], v[32:33], v[42:43], v[46:47] op_sel:[0,0,1] op_sel_hi:[1,1,0] neg_lo:[0,0,1] neg_hi:[0,0,1]
	v_pk_fma_f32 v[32:33], v[32:33], v[42:43], v[46:47] op_sel:[0,0,1] op_sel_hi:[1,0,0]
	v_mov_b32_e32 v49, v33
	v_pk_mul_f32 v[32:33], v[34:35], v[44:45] op_sel:[0,1]
	s_delay_alu instid0(VALU_DEP_1) | instskip(SKIP_1) | instid1(VALU_DEP_1)
	v_pk_fma_f32 v[46:47], v[34:35], v[42:43], v[32:33] op_sel:[0,0,1] op_sel_hi:[1,1,0] neg_lo:[0,0,1] neg_hi:[0,0,1]
	v_pk_fma_f32 v[32:33], v[34:35], v[42:43], v[32:33] op_sel:[0,0,1] op_sel_hi:[1,0,0]
	v_mov_b32_e32 v47, v33
	ds_load_b64 v[32:33], v36 offset:96
	v_pk_add_f32 v[14:15], v[14:15], v[48:49] neg_lo:[0,1] neg_hi:[0,1]
	v_pk_add_f32 v[12:13], v[12:13], v[46:47] neg_lo:[0,1] neg_hi:[0,1]
	s_wait_dscnt 0x0
	v_pk_mul_f32 v[34:35], v[32:33], v[44:45] op_sel:[0,1]
	s_delay_alu instid0(VALU_DEP_1) | instskip(SKIP_1) | instid1(VALU_DEP_1)
	v_pk_fma_f32 v[44:45], v[32:33], v[42:43], v[34:35] op_sel:[0,0,1] op_sel_hi:[1,1,0] neg_lo:[0,0,1] neg_hi:[0,0,1]
	v_pk_fma_f32 v[32:33], v[32:33], v[42:43], v[34:35] op_sel:[0,0,1] op_sel_hi:[1,0,0]
	v_mov_b32_e32 v45, v33
	s_delay_alu instid0(VALU_DEP_1)
	v_pk_add_f32 v[30:31], v[30:31], v[44:45] neg_lo:[0,1] neg_hi:[0,1]
.LBB24_125:
	s_or_b32 exec_lo, exec_lo, s0
	v_lshl_add_u32 v32, v40, 3, v36
	s_barrier_signal -1
	s_barrier_wait -1
	ds_store_b64 v32, v[20:21]
	s_wait_dscnt 0x0
	s_barrier_signal -1
	s_barrier_wait -1
	ds_load_b64 v[32:33], v36 offset:48
	v_mov_b32_e32 v34, 6
	s_cmp_lt_i32 s14, 8
	s_cbranch_scc1 .LBB24_128
; %bb.126:
	v_add3_u32 v35, v37, 0, 56
	v_mov_b32_e32 v34, 6
	s_mov_b32 s0, 7
.LBB24_127:                             ; =>This Inner Loop Header: Depth=1
	ds_load_b64 v[42:43], v35
	s_wait_dscnt 0x1
	v_cmp_gt_f32_e32 vcc_lo, 0, v32
	v_cndmask_b32_e64 v44, v32, -v32, vcc_lo
	v_cmp_gt_f32_e32 vcc_lo, 0, v33
	v_cndmask_b32_e64 v46, v33, -v33, vcc_lo
	s_wait_dscnt 0x0
	v_cmp_gt_f32_e32 vcc_lo, 0, v42
	v_cndmask_b32_e64 v45, v42, -v42, vcc_lo
	v_cmp_gt_f32_e32 vcc_lo, 0, v43
	v_cndmask_b32_e64 v47, v43, -v43, vcc_lo
	s_delay_alu instid0(VALU_DEP_1) | instskip(NEXT) | instid1(VALU_DEP_1)
	v_pk_add_f32 v[44:45], v[44:45], v[46:47]
	v_cmp_lt_f32_e32 vcc_lo, v44, v45
	v_dual_cndmask_b32 v32, v32, v42 :: v_dual_add_nc_u32 v35, 8, v35
	v_cndmask_b32_e32 v33, v33, v43, vcc_lo
	v_cndmask_b32_e64 v34, v34, s0, vcc_lo
	s_add_co_i32 s0, s0, 1
	s_delay_alu instid0(SALU_CYCLE_1)
	s_cmp_lg_u32 s14, s0
	s_cbranch_scc1 .LBB24_127
.LBB24_128:
	s_wait_dscnt 0x0
	v_cmp_eq_f32_e32 vcc_lo, 0, v32
	v_cmp_eq_f32_e64 s0, 0, v33
	s_and_b32 s0, vcc_lo, s0
	s_delay_alu instid0(SALU_CYCLE_1) | instskip(NEXT) | instid1(SALU_CYCLE_1)
	s_and_saveexec_b32 s1, s0
	s_xor_b32 s0, exec_lo, s1
; %bb.129:
	v_cmp_ne_u32_e32 vcc_lo, 0, v39
	v_cndmask_b32_e32 v39, 7, v39, vcc_lo
; %bb.130:
	s_and_not1_saveexec_b32 s0, s0
	s_cbranch_execz .LBB24_136
; %bb.131:
	v_cmp_ngt_f32_e64 s1, |v32|, |v33|
	s_and_saveexec_b32 s15, s1
	s_delay_alu instid0(SALU_CYCLE_1)
	s_xor_b32 s1, exec_lo, s15
	s_cbranch_execz .LBB24_133
; %bb.132:
	v_div_scale_f32 v35, null, v33, v33, v32
	v_div_scale_f32 v43, vcc_lo, v32, v33, v32
	s_delay_alu instid0(VALU_DEP_2) | instskip(SKIP_1) | instid1(TRANS32_DEP_1)
	v_rcp_f32_e32 v41, v35
	v_nop
	v_fma_f32 v42, -v35, v41, 1.0
	s_delay_alu instid0(VALU_DEP_1) | instskip(NEXT) | instid1(VALU_DEP_1)
	v_fmac_f32_e32 v41, v42, v41
	v_mul_f32_e32 v42, v43, v41
	s_delay_alu instid0(VALU_DEP_1) | instskip(NEXT) | instid1(VALU_DEP_1)
	v_fma_f32 v44, -v35, v42, v43
	v_fmac_f32_e32 v42, v44, v41
	s_delay_alu instid0(VALU_DEP_1) | instskip(NEXT) | instid1(VALU_DEP_1)
	v_fma_f32 v35, -v35, v42, v43
	v_div_fmas_f32 v35, v35, v41, v42
	s_delay_alu instid0(VALU_DEP_1) | instskip(NEXT) | instid1(VALU_DEP_1)
	v_div_fixup_f32 v35, v35, v33, v32
	v_fmac_f32_e32 v33, v32, v35
	s_delay_alu instid0(VALU_DEP_1) | instskip(SKIP_1) | instid1(VALU_DEP_2)
	v_div_scale_f32 v32, null, v33, v33, 1.0
	v_div_scale_f32 v43, vcc_lo, 1.0, v33, 1.0
	v_rcp_f32_e32 v41, v32
	v_nop
	s_delay_alu instid0(TRANS32_DEP_1) | instskip(NEXT) | instid1(VALU_DEP_1)
	v_fma_f32 v42, -v32, v41, 1.0
	v_fmac_f32_e32 v41, v42, v41
	s_delay_alu instid0(VALU_DEP_1) | instskip(NEXT) | instid1(VALU_DEP_1)
	v_mul_f32_e32 v42, v43, v41
	v_fma_f32 v44, -v32, v42, v43
	s_delay_alu instid0(VALU_DEP_1) | instskip(NEXT) | instid1(VALU_DEP_1)
	v_fmac_f32_e32 v42, v44, v41
	v_fma_f32 v32, -v32, v42, v43
	s_delay_alu instid0(VALU_DEP_1) | instskip(NEXT) | instid1(VALU_DEP_1)
	v_div_fmas_f32 v32, v32, v41, v42
	v_div_fixup_f32 v33, v32, v33, 1.0
	s_delay_alu instid0(VALU_DEP_1)
	v_mul_f32_e32 v32, v35, v33
	v_xor_b32_e32 v33, 0x80000000, v33
.LBB24_133:
	s_and_not1_saveexec_b32 s1, s1
	s_cbranch_execz .LBB24_135
; %bb.134:
	s_delay_alu instid0(VALU_DEP_1) | instskip(SKIP_1) | instid1(VALU_DEP_2)
	v_div_scale_f32 v35, null, v32, v32, v33
	v_div_scale_f32 v43, vcc_lo, v33, v32, v33
	v_rcp_f32_e32 v41, v35
	v_nop
	s_delay_alu instid0(TRANS32_DEP_1) | instskip(NEXT) | instid1(VALU_DEP_1)
	v_fma_f32 v42, -v35, v41, 1.0
	v_fmac_f32_e32 v41, v42, v41
	s_delay_alu instid0(VALU_DEP_1) | instskip(NEXT) | instid1(VALU_DEP_1)
	v_mul_f32_e32 v42, v43, v41
	v_fma_f32 v44, -v35, v42, v43
	s_delay_alu instid0(VALU_DEP_1) | instskip(NEXT) | instid1(VALU_DEP_1)
	v_fmac_f32_e32 v42, v44, v41
	v_fma_f32 v35, -v35, v42, v43
	s_delay_alu instid0(VALU_DEP_1) | instskip(NEXT) | instid1(VALU_DEP_1)
	v_div_fmas_f32 v35, v35, v41, v42
	v_div_fixup_f32 v35, v35, v32, v33
	s_delay_alu instid0(VALU_DEP_1) | instskip(NEXT) | instid1(VALU_DEP_1)
	v_fmac_f32_e32 v32, v33, v35
	v_div_scale_f32 v33, null, v32, v32, 1.0
	s_delay_alu instid0(VALU_DEP_1) | instskip(SKIP_1) | instid1(TRANS32_DEP_1)
	v_rcp_f32_e32 v41, v33
	v_nop
	v_fma_f32 v42, -v33, v41, 1.0
	s_delay_alu instid0(VALU_DEP_1) | instskip(SKIP_1) | instid1(VALU_DEP_1)
	v_fmac_f32_e32 v41, v42, v41
	v_div_scale_f32 v42, vcc_lo, 1.0, v32, 1.0
	v_mul_f32_e32 v43, v42, v41
	s_delay_alu instid0(VALU_DEP_1) | instskip(NEXT) | instid1(VALU_DEP_1)
	v_fma_f32 v44, -v33, v43, v42
	v_fmac_f32_e32 v43, v44, v41
	s_delay_alu instid0(VALU_DEP_1) | instskip(NEXT) | instid1(VALU_DEP_1)
	v_fma_f32 v33, -v33, v43, v42
	v_div_fmas_f32 v33, v33, v41, v43
	s_delay_alu instid0(VALU_DEP_1) | instskip(NEXT) | instid1(VALU_DEP_1)
	v_div_fixup_f32 v32, v33, v32, 1.0
	v_mul_f32_e64 v33, v35, -v32
.LBB24_135:
	s_or_b32 exec_lo, exec_lo, s1
.LBB24_136:
	s_delay_alu instid0(SALU_CYCLE_1) | instskip(NEXT) | instid1(SALU_CYCLE_1)
	s_or_b32 exec_lo, exec_lo, s0
	s_mov_b32 s0, exec_lo
	v_cmpx_ne_u32_e64 v40, v34
	s_xor_b32 s0, exec_lo, s0
	s_cbranch_execz .LBB24_142
; %bb.137:
	s_mov_b32 s1, exec_lo
	v_cmpx_eq_u32_e32 6, v40
	s_cbranch_execz .LBB24_141
; %bb.138:
	v_cmp_ne_u32_e32 vcc_lo, 6, v34
	s_xor_b32 s15, s12, -1
	s_delay_alu instid0(SALU_CYCLE_1) | instskip(NEXT) | instid1(SALU_CYCLE_1)
	s_and_b32 s16, s15, vcc_lo
	s_and_saveexec_b32 s15, s16
	s_cbranch_execz .LBB24_140
; %bb.139:
	v_ashrrev_i32_e32 v35, 31, v34
	s_delay_alu instid0(VALU_DEP_1)
	v_lshl_add_u64 v[40:41], v[34:35], 2, v[28:29]
	s_clause 0x1
	global_load_b32 v35, v[40:41], off
	global_load_b32 v38, v[28:29], off offset:24
	s_wait_loadcnt 0x1
	global_store_b32 v[28:29], v35, off offset:24
	s_wait_loadcnt 0x0
	global_store_b32 v[40:41], v38, off
.LBB24_140:
	s_wait_xcnt 0x0
	s_or_b32 exec_lo, exec_lo, s15
	v_dual_mov_b32 v40, v34 :: v_dual_mov_b32 v38, v34
.LBB24_141:
	s_or_b32 exec_lo, exec_lo, s1
.LBB24_142:
	s_and_not1_saveexec_b32 s0, s0
	s_cbranch_execz .LBB24_144
; %bb.143:
	v_mov_b32_e32 v40, 6
	ds_store_2addr_b64 v36, v[16:17], v[4:5] offset0:7 offset1:8
	ds_store_2addr_b64 v36, v[24:25], v[14:15] offset0:9 offset1:10
	;; [unrolled: 1-line block ×3, first 2 shown]
.LBB24_144:
	s_or_b32 exec_lo, exec_lo, s0
	s_delay_alu instid0(SALU_CYCLE_1)
	s_mov_b32 s0, exec_lo
	s_wait_storecnt_dscnt 0x0
	s_barrier_signal -1
	s_barrier_wait -1
	v_cmpx_lt_i32_e32 6, v40
	s_cbranch_execz .LBB24_146
; %bb.145:
	v_pk_mul_f32 v[34:35], v[32:33], v[20:21] op_sel:[1,1] op_sel_hi:[0,1]
	s_delay_alu instid0(VALU_DEP_1)
	v_pk_fma_f32 v[42:43], v[32:33], v[20:21], v[34:35] op_sel_hi:[1,0,1] neg_lo:[0,0,1] neg_hi:[0,0,1]
	v_pk_fma_f32 v[44:45], v[32:33], v[20:21], v[34:35] op_sel_hi:[1,0,1]
	ds_load_2addr_b64 v[32:35], v36 offset0:7 offset1:8
	v_dual_mov_b32 v20, v42 :: v_dual_mov_b32 v21, v45
	s_wait_dscnt 0x0
	v_pk_mul_f32 v[46:47], v[32:33], v[44:45] op_sel:[0,1]
	s_delay_alu instid0(VALU_DEP_1) | instskip(SKIP_1) | instid1(VALU_DEP_1)
	v_pk_fma_f32 v[48:49], v[32:33], v[42:43], v[46:47] op_sel:[0,0,1] op_sel_hi:[1,1,0] neg_lo:[0,0,1] neg_hi:[0,0,1]
	v_pk_fma_f32 v[32:33], v[32:33], v[42:43], v[46:47] op_sel:[0,0,1] op_sel_hi:[1,0,0]
	v_mov_b32_e32 v49, v33
	v_pk_mul_f32 v[32:33], v[34:35], v[44:45] op_sel:[0,1]
	s_delay_alu instid0(VALU_DEP_1) | instskip(SKIP_1) | instid1(VALU_DEP_1)
	v_pk_fma_f32 v[46:47], v[34:35], v[42:43], v[32:33] op_sel:[0,0,1] op_sel_hi:[1,1,0] neg_lo:[0,0,1] neg_hi:[0,0,1]
	v_pk_fma_f32 v[32:33], v[34:35], v[42:43], v[32:33] op_sel:[0,0,1] op_sel_hi:[1,0,0]
	v_mov_b32_e32 v47, v33
	ds_load_2addr_b64 v[32:35], v36 offset0:9 offset1:10
	v_pk_add_f32 v[16:17], v[16:17], v[48:49] neg_lo:[0,1] neg_hi:[0,1]
	v_pk_add_f32 v[4:5], v[4:5], v[46:47] neg_lo:[0,1] neg_hi:[0,1]
	s_wait_dscnt 0x0
	v_pk_mul_f32 v[46:47], v[32:33], v[44:45] op_sel:[0,1]
	s_delay_alu instid0(VALU_DEP_1) | instskip(SKIP_2) | instid1(VALU_DEP_2)
	v_pk_fma_f32 v[48:49], v[32:33], v[42:43], v[46:47] op_sel:[0,0,1] op_sel_hi:[1,1,0] neg_lo:[0,0,1] neg_hi:[0,0,1]
	v_pk_fma_f32 v[32:33], v[32:33], v[42:43], v[46:47] op_sel:[0,0,1] op_sel_hi:[1,0,0]
	v_dual_mul_f32 v46, v35, v45 :: v_dual_mov_b32 v32, v35
	v_dual_mov_b32 v49, v33 :: v_dual_mov_b32 v33, v34
	s_delay_alu instid0(VALU_DEP_2) | instskip(SKIP_1) | instid1(VALU_DEP_3)
	v_pk_fma_f32 v[46:47], v[34:35], v[20:21], v[46:47] op_sel_hi:[1,1,0] neg_lo:[0,0,1] neg_hi:[0,0,1]
	v_mul_f32_e32 v34, v35, v42
	v_pk_add_f32 v[24:25], v[24:25], v[48:49] neg_lo:[0,1] neg_hi:[0,1]
	s_delay_alu instid0(VALU_DEP_2) | instskip(NEXT) | instid1(VALU_DEP_1)
	v_pk_fma_f32 v[32:33], v[32:33], v[20:21], v[34:35] op_sel_hi:[1,1,0]
	v_mov_b32_e32 v47, v33
	ds_load_2addr_b64 v[32:35], v36 offset0:11 offset1:12
	v_pk_add_f32 v[14:15], v[14:15], v[46:47] neg_lo:[0,1] neg_hi:[0,1]
	s_wait_dscnt 0x0
	v_pk_mul_f32 v[46:47], v[32:33], v[44:45] op_sel:[0,1]
	v_mul_f32_e32 v44, v35, v45
	s_delay_alu instid0(VALU_DEP_2) | instskip(SKIP_2) | instid1(VALU_DEP_4)
	v_pk_fma_f32 v[48:49], v[32:33], v[42:43], v[46:47] op_sel:[0,0,1] op_sel_hi:[1,1,0] neg_lo:[0,0,1] neg_hi:[0,0,1]
	v_pk_fma_f32 v[32:33], v[32:33], v[42:43], v[46:47] op_sel:[0,0,1] op_sel_hi:[1,0,0]
	v_mov_b32_e32 v32, v35
	v_pk_fma_f32 v[44:45], v[34:35], v[20:21], v[44:45] op_sel_hi:[1,1,0] neg_lo:[0,0,1] neg_hi:[0,0,1]
	s_delay_alu instid0(VALU_DEP_3) | instskip(SKIP_1) | instid1(VALU_DEP_2)
	v_dual_mov_b32 v49, v33 :: v_dual_mov_b32 v33, v34
	v_mul_f32_e32 v34, v35, v42
	v_pk_add_f32 v[12:13], v[12:13], v[48:49] neg_lo:[0,1] neg_hi:[0,1]
	s_delay_alu instid0(VALU_DEP_2) | instskip(NEXT) | instid1(VALU_DEP_1)
	v_pk_fma_f32 v[32:33], v[32:33], v[20:21], v[34:35] op_sel_hi:[1,1,0]
	v_mov_b32_e32 v45, v33
	s_delay_alu instid0(VALU_DEP_1)
	v_pk_add_f32 v[30:31], v[30:31], v[44:45] neg_lo:[0,1] neg_hi:[0,1]
.LBB24_146:
	s_or_b32 exec_lo, exec_lo, s0
	v_lshl_add_u32 v32, v40, 3, v36
	s_barrier_signal -1
	s_barrier_wait -1
	ds_store_b64 v32, v[16:17]
	s_wait_dscnt 0x0
	s_barrier_signal -1
	s_barrier_wait -1
	ds_load_b64 v[32:33], v36 offset:56
	v_mov_b32_e32 v34, 7
	s_cmp_lt_i32 s14, 9
	s_cbranch_scc1 .LBB24_149
; %bb.147:
	v_add3_u32 v35, v37, 0, 64
	v_mov_b32_e32 v34, 7
	s_mov_b32 s0, 8
.LBB24_148:                             ; =>This Inner Loop Header: Depth=1
	ds_load_b64 v[42:43], v35
	s_wait_dscnt 0x1
	v_cmp_gt_f32_e32 vcc_lo, 0, v32
	v_cndmask_b32_e64 v44, v32, -v32, vcc_lo
	v_cmp_gt_f32_e32 vcc_lo, 0, v33
	v_cndmask_b32_e64 v46, v33, -v33, vcc_lo
	s_wait_dscnt 0x0
	v_cmp_gt_f32_e32 vcc_lo, 0, v42
	v_cndmask_b32_e64 v45, v42, -v42, vcc_lo
	v_cmp_gt_f32_e32 vcc_lo, 0, v43
	v_cndmask_b32_e64 v47, v43, -v43, vcc_lo
	s_delay_alu instid0(VALU_DEP_1) | instskip(NEXT) | instid1(VALU_DEP_1)
	v_pk_add_f32 v[44:45], v[44:45], v[46:47]
	v_cmp_lt_f32_e32 vcc_lo, v44, v45
	v_dual_cndmask_b32 v32, v32, v42 :: v_dual_add_nc_u32 v35, 8, v35
	v_cndmask_b32_e32 v33, v33, v43, vcc_lo
	v_cndmask_b32_e64 v34, v34, s0, vcc_lo
	s_add_co_i32 s0, s0, 1
	s_delay_alu instid0(SALU_CYCLE_1)
	s_cmp_lg_u32 s14, s0
	s_cbranch_scc1 .LBB24_148
.LBB24_149:
	s_wait_dscnt 0x0
	v_cmp_eq_f32_e32 vcc_lo, 0, v32
	v_cmp_eq_f32_e64 s0, 0, v33
	s_and_b32 s0, vcc_lo, s0
	s_delay_alu instid0(SALU_CYCLE_1) | instskip(NEXT) | instid1(SALU_CYCLE_1)
	s_and_saveexec_b32 s1, s0
	s_xor_b32 s0, exec_lo, s1
; %bb.150:
	v_cmp_ne_u32_e32 vcc_lo, 0, v39
	v_cndmask_b32_e32 v39, 8, v39, vcc_lo
; %bb.151:
	s_and_not1_saveexec_b32 s0, s0
	s_cbranch_execz .LBB24_157
; %bb.152:
	v_cmp_ngt_f32_e64 s1, |v32|, |v33|
	s_and_saveexec_b32 s15, s1
	s_delay_alu instid0(SALU_CYCLE_1)
	s_xor_b32 s1, exec_lo, s15
	s_cbranch_execz .LBB24_154
; %bb.153:
	v_div_scale_f32 v35, null, v33, v33, v32
	v_div_scale_f32 v43, vcc_lo, v32, v33, v32
	s_delay_alu instid0(VALU_DEP_2) | instskip(SKIP_1) | instid1(TRANS32_DEP_1)
	v_rcp_f32_e32 v41, v35
	v_nop
	v_fma_f32 v42, -v35, v41, 1.0
	s_delay_alu instid0(VALU_DEP_1) | instskip(NEXT) | instid1(VALU_DEP_1)
	v_fmac_f32_e32 v41, v42, v41
	v_mul_f32_e32 v42, v43, v41
	s_delay_alu instid0(VALU_DEP_1) | instskip(NEXT) | instid1(VALU_DEP_1)
	v_fma_f32 v44, -v35, v42, v43
	v_fmac_f32_e32 v42, v44, v41
	s_delay_alu instid0(VALU_DEP_1) | instskip(NEXT) | instid1(VALU_DEP_1)
	v_fma_f32 v35, -v35, v42, v43
	v_div_fmas_f32 v35, v35, v41, v42
	s_delay_alu instid0(VALU_DEP_1) | instskip(NEXT) | instid1(VALU_DEP_1)
	v_div_fixup_f32 v35, v35, v33, v32
	v_fmac_f32_e32 v33, v32, v35
	s_delay_alu instid0(VALU_DEP_1) | instskip(SKIP_1) | instid1(VALU_DEP_2)
	v_div_scale_f32 v32, null, v33, v33, 1.0
	v_div_scale_f32 v43, vcc_lo, 1.0, v33, 1.0
	v_rcp_f32_e32 v41, v32
	v_nop
	s_delay_alu instid0(TRANS32_DEP_1) | instskip(NEXT) | instid1(VALU_DEP_1)
	v_fma_f32 v42, -v32, v41, 1.0
	v_fmac_f32_e32 v41, v42, v41
	s_delay_alu instid0(VALU_DEP_1) | instskip(NEXT) | instid1(VALU_DEP_1)
	v_mul_f32_e32 v42, v43, v41
	v_fma_f32 v44, -v32, v42, v43
	s_delay_alu instid0(VALU_DEP_1) | instskip(NEXT) | instid1(VALU_DEP_1)
	v_fmac_f32_e32 v42, v44, v41
	v_fma_f32 v32, -v32, v42, v43
	s_delay_alu instid0(VALU_DEP_1) | instskip(NEXT) | instid1(VALU_DEP_1)
	v_div_fmas_f32 v32, v32, v41, v42
	v_div_fixup_f32 v33, v32, v33, 1.0
	s_delay_alu instid0(VALU_DEP_1)
	v_mul_f32_e32 v32, v35, v33
	v_xor_b32_e32 v33, 0x80000000, v33
.LBB24_154:
	s_and_not1_saveexec_b32 s1, s1
	s_cbranch_execz .LBB24_156
; %bb.155:
	s_delay_alu instid0(VALU_DEP_1) | instskip(SKIP_1) | instid1(VALU_DEP_2)
	v_div_scale_f32 v35, null, v32, v32, v33
	v_div_scale_f32 v43, vcc_lo, v33, v32, v33
	v_rcp_f32_e32 v41, v35
	v_nop
	s_delay_alu instid0(TRANS32_DEP_1) | instskip(NEXT) | instid1(VALU_DEP_1)
	v_fma_f32 v42, -v35, v41, 1.0
	v_fmac_f32_e32 v41, v42, v41
	s_delay_alu instid0(VALU_DEP_1) | instskip(NEXT) | instid1(VALU_DEP_1)
	v_mul_f32_e32 v42, v43, v41
	v_fma_f32 v44, -v35, v42, v43
	s_delay_alu instid0(VALU_DEP_1) | instskip(NEXT) | instid1(VALU_DEP_1)
	v_fmac_f32_e32 v42, v44, v41
	v_fma_f32 v35, -v35, v42, v43
	s_delay_alu instid0(VALU_DEP_1) | instskip(NEXT) | instid1(VALU_DEP_1)
	v_div_fmas_f32 v35, v35, v41, v42
	v_div_fixup_f32 v35, v35, v32, v33
	s_delay_alu instid0(VALU_DEP_1) | instskip(NEXT) | instid1(VALU_DEP_1)
	v_fmac_f32_e32 v32, v33, v35
	v_div_scale_f32 v33, null, v32, v32, 1.0
	s_delay_alu instid0(VALU_DEP_1) | instskip(SKIP_1) | instid1(TRANS32_DEP_1)
	v_rcp_f32_e32 v41, v33
	v_nop
	v_fma_f32 v42, -v33, v41, 1.0
	s_delay_alu instid0(VALU_DEP_1) | instskip(SKIP_1) | instid1(VALU_DEP_1)
	v_fmac_f32_e32 v41, v42, v41
	v_div_scale_f32 v42, vcc_lo, 1.0, v32, 1.0
	v_mul_f32_e32 v43, v42, v41
	s_delay_alu instid0(VALU_DEP_1) | instskip(NEXT) | instid1(VALU_DEP_1)
	v_fma_f32 v44, -v33, v43, v42
	v_fmac_f32_e32 v43, v44, v41
	s_delay_alu instid0(VALU_DEP_1) | instskip(NEXT) | instid1(VALU_DEP_1)
	v_fma_f32 v33, -v33, v43, v42
	v_div_fmas_f32 v33, v33, v41, v43
	s_delay_alu instid0(VALU_DEP_1) | instskip(NEXT) | instid1(VALU_DEP_1)
	v_div_fixup_f32 v32, v33, v32, 1.0
	v_mul_f32_e64 v33, v35, -v32
.LBB24_156:
	s_or_b32 exec_lo, exec_lo, s1
.LBB24_157:
	s_delay_alu instid0(SALU_CYCLE_1) | instskip(NEXT) | instid1(SALU_CYCLE_1)
	s_or_b32 exec_lo, exec_lo, s0
	s_mov_b32 s0, exec_lo
	v_cmpx_ne_u32_e64 v40, v34
	s_xor_b32 s0, exec_lo, s0
	s_cbranch_execz .LBB24_163
; %bb.158:
	s_mov_b32 s1, exec_lo
	v_cmpx_eq_u32_e32 7, v40
	s_cbranch_execz .LBB24_162
; %bb.159:
	v_cmp_ne_u32_e32 vcc_lo, 7, v34
	s_xor_b32 s15, s12, -1
	s_delay_alu instid0(SALU_CYCLE_1) | instskip(NEXT) | instid1(SALU_CYCLE_1)
	s_and_b32 s16, s15, vcc_lo
	s_and_saveexec_b32 s15, s16
	s_cbranch_execz .LBB24_161
; %bb.160:
	v_ashrrev_i32_e32 v35, 31, v34
	s_delay_alu instid0(VALU_DEP_1)
	v_lshl_add_u64 v[40:41], v[34:35], 2, v[28:29]
	s_clause 0x1
	global_load_b32 v35, v[40:41], off
	global_load_b32 v38, v[28:29], off offset:28
	s_wait_loadcnt 0x1
	global_store_b32 v[28:29], v35, off offset:28
	s_wait_loadcnt 0x0
	global_store_b32 v[40:41], v38, off
.LBB24_161:
	s_wait_xcnt 0x0
	s_or_b32 exec_lo, exec_lo, s15
	v_dual_mov_b32 v40, v34 :: v_dual_mov_b32 v38, v34
.LBB24_162:
	s_or_b32 exec_lo, exec_lo, s1
.LBB24_163:
	s_and_not1_saveexec_b32 s0, s0
	s_cbranch_execz .LBB24_165
; %bb.164:
	v_dual_mov_b32 v34, v4 :: v_dual_mov_b32 v35, v5
	v_dual_mov_b32 v42, v24 :: v_dual_mov_b32 v43, v25
	;; [unrolled: 1-line block ×4, first 2 shown]
	v_mov_b32_e32 v47, v13
	ds_store_2addr_b64 v36, v[34:35], v[42:43] offset0:8 offset1:9
	ds_store_2addr_b64 v36, v[44:45], v[46:47] offset0:10 offset1:11
	ds_store_b64 v36, v[30:31] offset:96
.LBB24_165:
	s_or_b32 exec_lo, exec_lo, s0
	s_delay_alu instid0(SALU_CYCLE_1)
	s_mov_b32 s0, exec_lo
	s_wait_storecnt_dscnt 0x0
	s_barrier_signal -1
	s_barrier_wait -1
	v_cmpx_lt_i32_e32 7, v40
	s_cbranch_execz .LBB24_167
; %bb.166:
	ds_load_2addr_b64 v[42:45], v36 offset0:8 offset1:9
	ds_load_2addr_b64 v[46:49], v36 offset0:10 offset1:11
	ds_load_b64 v[34:35], v36 offset:96
	v_pk_mul_f32 v[50:51], v[32:33], v[16:17] op_sel:[1,1] op_sel_hi:[0,1]
	s_delay_alu instid0(VALU_DEP_1) | instskip(SKIP_1) | instid1(VALU_DEP_1)
	v_pk_fma_f32 v[52:53], v[32:33], v[16:17], v[50:51] op_sel_hi:[1,0,1] neg_lo:[0,0,1] neg_hi:[0,0,1]
	v_pk_fma_f32 v[32:33], v[32:33], v[16:17], v[50:51] op_sel_hi:[1,0,1]
	v_dual_mov_b32 v16, v52 :: v_dual_mov_b32 v17, v33
	s_wait_dscnt 0x2
	s_delay_alu instid0(VALU_DEP_2)
	v_pk_mul_f32 v[50:51], v[42:43], v[32:33] op_sel:[0,1]
	v_pk_mul_f32 v[54:55], v[44:45], v[32:33] op_sel:[0,1]
	s_wait_dscnt 0x1
	v_pk_mul_f32 v[56:57], v[46:47], v[32:33] op_sel:[0,1]
	v_dual_mov_b32 v58, v49 :: v_dual_mov_b32 v59, v48
	v_dual_mul_f32 v60, v49, v33 :: v_dual_mul_f32 v62, v49, v52
	s_wait_dscnt 0x0
	v_pk_mul_f32 v[32:33], v[34:35], v[32:33] op_sel:[0,1]
	v_pk_fma_f32 v[64:65], v[42:43], v[52:53], v[50:51] op_sel:[0,0,1] op_sel_hi:[1,1,0] neg_lo:[0,0,1] neg_hi:[0,0,1]
	v_pk_fma_f32 v[42:43], v[42:43], v[52:53], v[50:51] op_sel:[0,0,1] op_sel_hi:[1,0,0]
	v_pk_fma_f32 v[50:51], v[44:45], v[52:53], v[54:55] op_sel:[0,0,1] op_sel_hi:[1,1,0] neg_lo:[0,0,1] neg_hi:[0,0,1]
	v_pk_fma_f32 v[44:45], v[44:45], v[52:53], v[54:55] op_sel:[0,0,1] op_sel_hi:[1,0,0]
	;; [unrolled: 2-line block ×3, first 2 shown]
	v_pk_fma_f32 v[56:57], v[58:59], v[16:17], v[62:63] op_sel_hi:[1,1,0]
	v_pk_fma_f32 v[58:59], v[34:35], v[52:53], v[32:33] op_sel:[0,0,1] op_sel_hi:[1,1,0] neg_lo:[0,0,1] neg_hi:[0,0,1]
	v_pk_fma_f32 v[32:33], v[34:35], v[52:53], v[32:33] op_sel:[0,0,1] op_sel_hi:[1,0,0]
	v_pk_fma_f32 v[48:49], v[48:49], v[16:17], v[60:61] op_sel_hi:[1,1,0] neg_lo:[0,0,1] neg_hi:[0,0,1]
	v_dual_mov_b32 v65, v43 :: v_dual_mov_b32 v51, v45
	v_dual_mov_b32 v55, v47 :: v_dual_mov_b32 v49, v57
	s_delay_alu instid0(VALU_DEP_4) | instskip(NEXT) | instid1(VALU_DEP_3)
	v_mov_b32_e32 v59, v33
	v_pk_add_f32 v[4:5], v[4:5], v[64:65] neg_lo:[0,1] neg_hi:[0,1]
	s_delay_alu instid0(VALU_DEP_4) | instskip(NEXT) | instid1(VALU_DEP_4)
	v_pk_add_f32 v[24:25], v[24:25], v[50:51] neg_lo:[0,1] neg_hi:[0,1]
	v_pk_add_f32 v[14:15], v[14:15], v[54:55] neg_lo:[0,1] neg_hi:[0,1]
	;; [unrolled: 1-line block ×4, first 2 shown]
.LBB24_167:
	s_or_b32 exec_lo, exec_lo, s0
	v_lshl_add_u32 v32, v40, 3, v36
	s_barrier_signal -1
	s_barrier_wait -1
	ds_store_b64 v32, v[4:5]
	s_wait_dscnt 0x0
	s_barrier_signal -1
	s_barrier_wait -1
	ds_load_b64 v[32:33], v36 offset:64
	v_mov_b32_e32 v34, 8
	s_cmp_lt_i32 s14, 10
	s_cbranch_scc1 .LBB24_170
; %bb.168:
	v_add3_u32 v35, v37, 0, 0x48
	v_mov_b32_e32 v34, 8
	s_mov_b32 s0, 9
.LBB24_169:                             ; =>This Inner Loop Header: Depth=1
	ds_load_b64 v[42:43], v35
	s_wait_dscnt 0x1
	v_cmp_gt_f32_e32 vcc_lo, 0, v32
	v_cndmask_b32_e64 v44, v32, -v32, vcc_lo
	v_cmp_gt_f32_e32 vcc_lo, 0, v33
	v_cndmask_b32_e64 v46, v33, -v33, vcc_lo
	s_wait_dscnt 0x0
	v_cmp_gt_f32_e32 vcc_lo, 0, v42
	v_cndmask_b32_e64 v45, v42, -v42, vcc_lo
	v_cmp_gt_f32_e32 vcc_lo, 0, v43
	v_cndmask_b32_e64 v47, v43, -v43, vcc_lo
	s_delay_alu instid0(VALU_DEP_1) | instskip(NEXT) | instid1(VALU_DEP_1)
	v_pk_add_f32 v[44:45], v[44:45], v[46:47]
	v_cmp_lt_f32_e32 vcc_lo, v44, v45
	v_dual_cndmask_b32 v32, v32, v42 :: v_dual_add_nc_u32 v35, 8, v35
	v_cndmask_b32_e32 v33, v33, v43, vcc_lo
	v_cndmask_b32_e64 v34, v34, s0, vcc_lo
	s_add_co_i32 s0, s0, 1
	s_delay_alu instid0(SALU_CYCLE_1)
	s_cmp_lg_u32 s14, s0
	s_cbranch_scc1 .LBB24_169
.LBB24_170:
	s_wait_dscnt 0x0
	v_cmp_eq_f32_e32 vcc_lo, 0, v32
	v_cmp_eq_f32_e64 s0, 0, v33
	s_and_b32 s0, vcc_lo, s0
	s_delay_alu instid0(SALU_CYCLE_1) | instskip(NEXT) | instid1(SALU_CYCLE_1)
	s_and_saveexec_b32 s1, s0
	s_xor_b32 s0, exec_lo, s1
; %bb.171:
	v_cmp_ne_u32_e32 vcc_lo, 0, v39
	v_cndmask_b32_e32 v39, 9, v39, vcc_lo
; %bb.172:
	s_and_not1_saveexec_b32 s0, s0
	s_cbranch_execz .LBB24_178
; %bb.173:
	v_cmp_ngt_f32_e64 s1, |v32|, |v33|
	s_and_saveexec_b32 s15, s1
	s_delay_alu instid0(SALU_CYCLE_1)
	s_xor_b32 s1, exec_lo, s15
	s_cbranch_execz .LBB24_175
; %bb.174:
	v_div_scale_f32 v35, null, v33, v33, v32
	v_div_scale_f32 v43, vcc_lo, v32, v33, v32
	s_delay_alu instid0(VALU_DEP_2) | instskip(SKIP_1) | instid1(TRANS32_DEP_1)
	v_rcp_f32_e32 v41, v35
	v_nop
	v_fma_f32 v42, -v35, v41, 1.0
	s_delay_alu instid0(VALU_DEP_1) | instskip(NEXT) | instid1(VALU_DEP_1)
	v_fmac_f32_e32 v41, v42, v41
	v_mul_f32_e32 v42, v43, v41
	s_delay_alu instid0(VALU_DEP_1) | instskip(NEXT) | instid1(VALU_DEP_1)
	v_fma_f32 v44, -v35, v42, v43
	v_fmac_f32_e32 v42, v44, v41
	s_delay_alu instid0(VALU_DEP_1) | instskip(NEXT) | instid1(VALU_DEP_1)
	v_fma_f32 v35, -v35, v42, v43
	v_div_fmas_f32 v35, v35, v41, v42
	s_delay_alu instid0(VALU_DEP_1) | instskip(NEXT) | instid1(VALU_DEP_1)
	v_div_fixup_f32 v35, v35, v33, v32
	v_fmac_f32_e32 v33, v32, v35
	s_delay_alu instid0(VALU_DEP_1) | instskip(SKIP_1) | instid1(VALU_DEP_2)
	v_div_scale_f32 v32, null, v33, v33, 1.0
	v_div_scale_f32 v43, vcc_lo, 1.0, v33, 1.0
	v_rcp_f32_e32 v41, v32
	v_nop
	s_delay_alu instid0(TRANS32_DEP_1) | instskip(NEXT) | instid1(VALU_DEP_1)
	v_fma_f32 v42, -v32, v41, 1.0
	v_fmac_f32_e32 v41, v42, v41
	s_delay_alu instid0(VALU_DEP_1) | instskip(NEXT) | instid1(VALU_DEP_1)
	v_mul_f32_e32 v42, v43, v41
	v_fma_f32 v44, -v32, v42, v43
	s_delay_alu instid0(VALU_DEP_1) | instskip(NEXT) | instid1(VALU_DEP_1)
	v_fmac_f32_e32 v42, v44, v41
	v_fma_f32 v32, -v32, v42, v43
	s_delay_alu instid0(VALU_DEP_1) | instskip(NEXT) | instid1(VALU_DEP_1)
	v_div_fmas_f32 v32, v32, v41, v42
	v_div_fixup_f32 v33, v32, v33, 1.0
	s_delay_alu instid0(VALU_DEP_1)
	v_mul_f32_e32 v32, v35, v33
	v_xor_b32_e32 v33, 0x80000000, v33
.LBB24_175:
	s_and_not1_saveexec_b32 s1, s1
	s_cbranch_execz .LBB24_177
; %bb.176:
	s_delay_alu instid0(VALU_DEP_1) | instskip(SKIP_1) | instid1(VALU_DEP_2)
	v_div_scale_f32 v35, null, v32, v32, v33
	v_div_scale_f32 v43, vcc_lo, v33, v32, v33
	v_rcp_f32_e32 v41, v35
	v_nop
	s_delay_alu instid0(TRANS32_DEP_1) | instskip(NEXT) | instid1(VALU_DEP_1)
	v_fma_f32 v42, -v35, v41, 1.0
	v_fmac_f32_e32 v41, v42, v41
	s_delay_alu instid0(VALU_DEP_1) | instskip(NEXT) | instid1(VALU_DEP_1)
	v_mul_f32_e32 v42, v43, v41
	v_fma_f32 v44, -v35, v42, v43
	s_delay_alu instid0(VALU_DEP_1) | instskip(NEXT) | instid1(VALU_DEP_1)
	v_fmac_f32_e32 v42, v44, v41
	v_fma_f32 v35, -v35, v42, v43
	s_delay_alu instid0(VALU_DEP_1) | instskip(NEXT) | instid1(VALU_DEP_1)
	v_div_fmas_f32 v35, v35, v41, v42
	v_div_fixup_f32 v35, v35, v32, v33
	s_delay_alu instid0(VALU_DEP_1) | instskip(NEXT) | instid1(VALU_DEP_1)
	v_fmac_f32_e32 v32, v33, v35
	v_div_scale_f32 v33, null, v32, v32, 1.0
	s_delay_alu instid0(VALU_DEP_1) | instskip(SKIP_1) | instid1(TRANS32_DEP_1)
	v_rcp_f32_e32 v41, v33
	v_nop
	v_fma_f32 v42, -v33, v41, 1.0
	s_delay_alu instid0(VALU_DEP_1) | instskip(SKIP_1) | instid1(VALU_DEP_1)
	v_fmac_f32_e32 v41, v42, v41
	v_div_scale_f32 v42, vcc_lo, 1.0, v32, 1.0
	v_mul_f32_e32 v43, v42, v41
	s_delay_alu instid0(VALU_DEP_1) | instskip(NEXT) | instid1(VALU_DEP_1)
	v_fma_f32 v44, -v33, v43, v42
	v_fmac_f32_e32 v43, v44, v41
	s_delay_alu instid0(VALU_DEP_1) | instskip(NEXT) | instid1(VALU_DEP_1)
	v_fma_f32 v33, -v33, v43, v42
	v_div_fmas_f32 v33, v33, v41, v43
	s_delay_alu instid0(VALU_DEP_1) | instskip(NEXT) | instid1(VALU_DEP_1)
	v_div_fixup_f32 v32, v33, v32, 1.0
	v_mul_f32_e64 v33, v35, -v32
.LBB24_177:
	s_or_b32 exec_lo, exec_lo, s1
.LBB24_178:
	s_delay_alu instid0(SALU_CYCLE_1) | instskip(NEXT) | instid1(SALU_CYCLE_1)
	s_or_b32 exec_lo, exec_lo, s0
	s_mov_b32 s0, exec_lo
	v_cmpx_ne_u32_e64 v40, v34
	s_xor_b32 s0, exec_lo, s0
	s_cbranch_execz .LBB24_184
; %bb.179:
	s_mov_b32 s1, exec_lo
	v_cmpx_eq_u32_e32 8, v40
	s_cbranch_execz .LBB24_183
; %bb.180:
	v_cmp_ne_u32_e32 vcc_lo, 8, v34
	s_xor_b32 s15, s12, -1
	s_delay_alu instid0(SALU_CYCLE_1) | instskip(NEXT) | instid1(SALU_CYCLE_1)
	s_and_b32 s16, s15, vcc_lo
	s_and_saveexec_b32 s15, s16
	s_cbranch_execz .LBB24_182
; %bb.181:
	v_ashrrev_i32_e32 v35, 31, v34
	s_delay_alu instid0(VALU_DEP_1)
	v_lshl_add_u64 v[40:41], v[34:35], 2, v[28:29]
	s_clause 0x1
	global_load_b32 v35, v[40:41], off
	global_load_b32 v38, v[28:29], off offset:32
	s_wait_loadcnt 0x1
	global_store_b32 v[28:29], v35, off offset:32
	s_wait_loadcnt 0x0
	global_store_b32 v[40:41], v38, off
.LBB24_182:
	s_wait_xcnt 0x0
	s_or_b32 exec_lo, exec_lo, s15
	v_dual_mov_b32 v40, v34 :: v_dual_mov_b32 v38, v34
.LBB24_183:
	s_or_b32 exec_lo, exec_lo, s1
.LBB24_184:
	s_and_not1_saveexec_b32 s0, s0
	s_cbranch_execz .LBB24_186
; %bb.185:
	v_mov_b32_e32 v40, 8
	ds_store_2addr_b64 v36, v[24:25], v[14:15] offset0:9 offset1:10
	ds_store_2addr_b64 v36, v[12:13], v[30:31] offset0:11 offset1:12
.LBB24_186:
	s_or_b32 exec_lo, exec_lo, s0
	s_delay_alu instid0(SALU_CYCLE_1)
	s_mov_b32 s0, exec_lo
	s_wait_storecnt_dscnt 0x0
	s_barrier_signal -1
	s_barrier_wait -1
	v_cmpx_lt_i32_e32 8, v40
	s_cbranch_execz .LBB24_188
; %bb.187:
	ds_load_2addr_b64 v[42:45], v36 offset0:9 offset1:10
	ds_load_2addr_b64 v[46:49], v36 offset0:11 offset1:12
	v_pk_mul_f32 v[34:35], v[32:33], v[4:5] op_sel:[1,1] op_sel_hi:[0,1]
	s_delay_alu instid0(VALU_DEP_1) | instskip(SKIP_1) | instid1(VALU_DEP_1)
	v_pk_fma_f32 v[50:51], v[32:33], v[4:5], v[34:35] op_sel_hi:[1,0,1] neg_lo:[0,0,1] neg_hi:[0,0,1]
	v_pk_fma_f32 v[32:33], v[32:33], v[4:5], v[34:35] op_sel_hi:[1,0,1]
	v_dual_mov_b32 v4, v50 :: v_dual_mov_b32 v5, v33
	s_wait_dscnt 0x1
	s_delay_alu instid0(VALU_DEP_2)
	v_pk_mul_f32 v[34:35], v[42:43], v[32:33] op_sel:[0,1]
	s_wait_dscnt 0x0
	v_mov_b32_e32 v52, v49
	v_pk_mul_f32 v[54:55], v[44:45], v[32:33] op_sel:[0,1]
	v_pk_mul_f32 v[56:57], v[46:47], v[32:33] op_sel:[0,1]
	v_pk_fma_f32 v[58:59], v[42:43], v[50:51], v[34:35] op_sel:[0,0,1] op_sel_hi:[1,1,0] neg_lo:[0,0,1] neg_hi:[0,0,1]
	v_pk_fma_f32 v[34:35], v[42:43], v[50:51], v[34:35] op_sel:[0,0,1] op_sel_hi:[1,0,0]
	s_delay_alu instid0(VALU_DEP_1) | instskip(NEXT) | instid1(VALU_DEP_1)
	v_dual_mov_b32 v53, v48 :: v_dual_mov_b32 v59, v35
	v_pk_mul_f32 v[42:43], v[52:53], v[32:33] op_sel:[0,1]
	v_pk_fma_f32 v[52:53], v[44:45], v[50:51], v[54:55] op_sel:[0,0,1] op_sel_hi:[1,0,0]
	v_pk_fma_f32 v[44:45], v[44:45], v[50:51], v[54:55] op_sel:[0,0,1] op_sel_hi:[1,1,0] neg_lo:[0,0,1] neg_hi:[0,0,1]
	v_pk_fma_f32 v[54:55], v[46:47], v[50:51], v[56:57] op_sel:[0,0,1] op_sel_hi:[1,0,0]
	v_pk_fma_f32 v[46:47], v[46:47], v[50:51], v[56:57] op_sel:[0,0,1] op_sel_hi:[1,1,0] neg_lo:[0,0,1] neg_hi:[0,0,1]
	v_pk_fma_f32 v[34:35], v[48:49], v[50:51], v[42:43] op_sel_hi:[1,0,1]
	v_pk_fma_f32 v[42:43], v[48:49], v[50:51], v[42:43] neg_lo:[0,0,1] neg_hi:[0,0,1]
	s_delay_alu instid0(VALU_DEP_4) | instskip(SKIP_1) | instid1(VALU_DEP_4)
	v_dual_mov_b32 v45, v53 :: v_dual_mov_b32 v47, v55
	v_pk_add_f32 v[24:25], v[24:25], v[58:59] neg_lo:[0,1] neg_hi:[0,1]
	v_mov_b32_e32 v43, v35
	s_delay_alu instid0(VALU_DEP_3) | instskip(NEXT) | instid1(VALU_DEP_4)
	v_pk_add_f32 v[14:15], v[14:15], v[44:45] neg_lo:[0,1] neg_hi:[0,1]
	v_pk_add_f32 v[12:13], v[12:13], v[46:47] neg_lo:[0,1] neg_hi:[0,1]
	s_delay_alu instid0(VALU_DEP_3)
	v_pk_add_f32 v[30:31], v[30:31], v[42:43] neg_lo:[0,1] neg_hi:[0,1]
.LBB24_188:
	s_or_b32 exec_lo, exec_lo, s0
	v_lshl_add_u32 v32, v40, 3, v36
	s_barrier_signal -1
	s_barrier_wait -1
	ds_store_b64 v32, v[24:25]
	s_wait_dscnt 0x0
	s_barrier_signal -1
	s_barrier_wait -1
	ds_load_b64 v[32:33], v36 offset:72
	v_mov_b32_e32 v34, 9
	s_cmp_lt_i32 s14, 11
	s_cbranch_scc1 .LBB24_191
; %bb.189:
	v_add3_u32 v35, v37, 0, 0x50
	v_mov_b32_e32 v34, 9
	s_mov_b32 s0, 10
.LBB24_190:                             ; =>This Inner Loop Header: Depth=1
	ds_load_b64 v[42:43], v35
	s_wait_dscnt 0x1
	v_cmp_gt_f32_e32 vcc_lo, 0, v32
	v_cndmask_b32_e64 v44, v32, -v32, vcc_lo
	v_cmp_gt_f32_e32 vcc_lo, 0, v33
	v_cndmask_b32_e64 v46, v33, -v33, vcc_lo
	s_wait_dscnt 0x0
	v_cmp_gt_f32_e32 vcc_lo, 0, v42
	v_cndmask_b32_e64 v45, v42, -v42, vcc_lo
	v_cmp_gt_f32_e32 vcc_lo, 0, v43
	v_cndmask_b32_e64 v47, v43, -v43, vcc_lo
	s_delay_alu instid0(VALU_DEP_1) | instskip(NEXT) | instid1(VALU_DEP_1)
	v_pk_add_f32 v[44:45], v[44:45], v[46:47]
	v_cmp_lt_f32_e32 vcc_lo, v44, v45
	v_dual_cndmask_b32 v32, v32, v42 :: v_dual_add_nc_u32 v35, 8, v35
	v_cndmask_b32_e32 v33, v33, v43, vcc_lo
	v_cndmask_b32_e64 v34, v34, s0, vcc_lo
	s_add_co_i32 s0, s0, 1
	s_delay_alu instid0(SALU_CYCLE_1)
	s_cmp_lg_u32 s14, s0
	s_cbranch_scc1 .LBB24_190
.LBB24_191:
	s_wait_dscnt 0x0
	v_cmp_eq_f32_e32 vcc_lo, 0, v32
	v_cmp_eq_f32_e64 s0, 0, v33
	s_and_b32 s0, vcc_lo, s0
	s_delay_alu instid0(SALU_CYCLE_1) | instskip(NEXT) | instid1(SALU_CYCLE_1)
	s_and_saveexec_b32 s1, s0
	s_xor_b32 s0, exec_lo, s1
; %bb.192:
	v_cmp_ne_u32_e32 vcc_lo, 0, v39
	v_cndmask_b32_e32 v39, 10, v39, vcc_lo
; %bb.193:
	s_and_not1_saveexec_b32 s0, s0
	s_cbranch_execz .LBB24_199
; %bb.194:
	v_cmp_ngt_f32_e64 s1, |v32|, |v33|
	s_and_saveexec_b32 s15, s1
	s_delay_alu instid0(SALU_CYCLE_1)
	s_xor_b32 s1, exec_lo, s15
	s_cbranch_execz .LBB24_196
; %bb.195:
	v_div_scale_f32 v35, null, v33, v33, v32
	v_div_scale_f32 v43, vcc_lo, v32, v33, v32
	s_delay_alu instid0(VALU_DEP_2) | instskip(SKIP_1) | instid1(TRANS32_DEP_1)
	v_rcp_f32_e32 v41, v35
	v_nop
	v_fma_f32 v42, -v35, v41, 1.0
	s_delay_alu instid0(VALU_DEP_1) | instskip(NEXT) | instid1(VALU_DEP_1)
	v_fmac_f32_e32 v41, v42, v41
	v_mul_f32_e32 v42, v43, v41
	s_delay_alu instid0(VALU_DEP_1) | instskip(NEXT) | instid1(VALU_DEP_1)
	v_fma_f32 v44, -v35, v42, v43
	v_fmac_f32_e32 v42, v44, v41
	s_delay_alu instid0(VALU_DEP_1) | instskip(NEXT) | instid1(VALU_DEP_1)
	v_fma_f32 v35, -v35, v42, v43
	v_div_fmas_f32 v35, v35, v41, v42
	s_delay_alu instid0(VALU_DEP_1) | instskip(NEXT) | instid1(VALU_DEP_1)
	v_div_fixup_f32 v35, v35, v33, v32
	v_fmac_f32_e32 v33, v32, v35
	s_delay_alu instid0(VALU_DEP_1) | instskip(SKIP_1) | instid1(VALU_DEP_2)
	v_div_scale_f32 v32, null, v33, v33, 1.0
	v_div_scale_f32 v43, vcc_lo, 1.0, v33, 1.0
	v_rcp_f32_e32 v41, v32
	v_nop
	s_delay_alu instid0(TRANS32_DEP_1) | instskip(NEXT) | instid1(VALU_DEP_1)
	v_fma_f32 v42, -v32, v41, 1.0
	v_fmac_f32_e32 v41, v42, v41
	s_delay_alu instid0(VALU_DEP_1) | instskip(NEXT) | instid1(VALU_DEP_1)
	v_mul_f32_e32 v42, v43, v41
	v_fma_f32 v44, -v32, v42, v43
	s_delay_alu instid0(VALU_DEP_1) | instskip(NEXT) | instid1(VALU_DEP_1)
	v_fmac_f32_e32 v42, v44, v41
	v_fma_f32 v32, -v32, v42, v43
	s_delay_alu instid0(VALU_DEP_1) | instskip(NEXT) | instid1(VALU_DEP_1)
	v_div_fmas_f32 v32, v32, v41, v42
	v_div_fixup_f32 v33, v32, v33, 1.0
	s_delay_alu instid0(VALU_DEP_1)
	v_mul_f32_e32 v32, v35, v33
	v_xor_b32_e32 v33, 0x80000000, v33
.LBB24_196:
	s_and_not1_saveexec_b32 s1, s1
	s_cbranch_execz .LBB24_198
; %bb.197:
	s_delay_alu instid0(VALU_DEP_1) | instskip(SKIP_1) | instid1(VALU_DEP_2)
	v_div_scale_f32 v35, null, v32, v32, v33
	v_div_scale_f32 v43, vcc_lo, v33, v32, v33
	v_rcp_f32_e32 v41, v35
	v_nop
	s_delay_alu instid0(TRANS32_DEP_1) | instskip(NEXT) | instid1(VALU_DEP_1)
	v_fma_f32 v42, -v35, v41, 1.0
	v_fmac_f32_e32 v41, v42, v41
	s_delay_alu instid0(VALU_DEP_1) | instskip(NEXT) | instid1(VALU_DEP_1)
	v_mul_f32_e32 v42, v43, v41
	v_fma_f32 v44, -v35, v42, v43
	s_delay_alu instid0(VALU_DEP_1) | instskip(NEXT) | instid1(VALU_DEP_1)
	v_fmac_f32_e32 v42, v44, v41
	v_fma_f32 v35, -v35, v42, v43
	s_delay_alu instid0(VALU_DEP_1) | instskip(NEXT) | instid1(VALU_DEP_1)
	v_div_fmas_f32 v35, v35, v41, v42
	v_div_fixup_f32 v35, v35, v32, v33
	s_delay_alu instid0(VALU_DEP_1) | instskip(NEXT) | instid1(VALU_DEP_1)
	v_fmac_f32_e32 v32, v33, v35
	v_div_scale_f32 v33, null, v32, v32, 1.0
	s_delay_alu instid0(VALU_DEP_1) | instskip(SKIP_1) | instid1(TRANS32_DEP_1)
	v_rcp_f32_e32 v41, v33
	v_nop
	v_fma_f32 v42, -v33, v41, 1.0
	s_delay_alu instid0(VALU_DEP_1) | instskip(SKIP_1) | instid1(VALU_DEP_1)
	v_fmac_f32_e32 v41, v42, v41
	v_div_scale_f32 v42, vcc_lo, 1.0, v32, 1.0
	v_mul_f32_e32 v43, v42, v41
	s_delay_alu instid0(VALU_DEP_1) | instskip(NEXT) | instid1(VALU_DEP_1)
	v_fma_f32 v44, -v33, v43, v42
	v_fmac_f32_e32 v43, v44, v41
	s_delay_alu instid0(VALU_DEP_1) | instskip(NEXT) | instid1(VALU_DEP_1)
	v_fma_f32 v33, -v33, v43, v42
	v_div_fmas_f32 v33, v33, v41, v43
	s_delay_alu instid0(VALU_DEP_1) | instskip(NEXT) | instid1(VALU_DEP_1)
	v_div_fixup_f32 v32, v33, v32, 1.0
	v_mul_f32_e64 v33, v35, -v32
.LBB24_198:
	s_or_b32 exec_lo, exec_lo, s1
.LBB24_199:
	s_delay_alu instid0(SALU_CYCLE_1) | instskip(NEXT) | instid1(SALU_CYCLE_1)
	s_or_b32 exec_lo, exec_lo, s0
	s_mov_b32 s0, exec_lo
	v_cmpx_ne_u32_e64 v40, v34
	s_xor_b32 s0, exec_lo, s0
	s_cbranch_execz .LBB24_205
; %bb.200:
	s_mov_b32 s1, exec_lo
	v_cmpx_eq_u32_e32 9, v40
	s_cbranch_execz .LBB24_204
; %bb.201:
	v_cmp_ne_u32_e32 vcc_lo, 9, v34
	s_xor_b32 s15, s12, -1
	s_delay_alu instid0(SALU_CYCLE_1) | instskip(NEXT) | instid1(SALU_CYCLE_1)
	s_and_b32 s16, s15, vcc_lo
	s_and_saveexec_b32 s15, s16
	s_cbranch_execz .LBB24_203
; %bb.202:
	v_ashrrev_i32_e32 v35, 31, v34
	s_delay_alu instid0(VALU_DEP_1)
	v_lshl_add_u64 v[40:41], v[34:35], 2, v[28:29]
	s_clause 0x1
	global_load_b32 v35, v[40:41], off
	global_load_b32 v38, v[28:29], off offset:36
	s_wait_loadcnt 0x1
	global_store_b32 v[28:29], v35, off offset:36
	s_wait_loadcnt 0x0
	global_store_b32 v[40:41], v38, off
.LBB24_203:
	s_wait_xcnt 0x0
	s_or_b32 exec_lo, exec_lo, s15
	v_dual_mov_b32 v40, v34 :: v_dual_mov_b32 v38, v34
.LBB24_204:
	s_or_b32 exec_lo, exec_lo, s1
.LBB24_205:
	s_and_not1_saveexec_b32 s0, s0
	s_cbranch_execz .LBB24_207
; %bb.206:
	v_dual_mov_b32 v34, v14 :: v_dual_mov_b32 v35, v15
	v_dual_mov_b32 v42, v12 :: v_dual_mov_b32 v43, v13
	v_mov_b32_e32 v40, 9
	ds_store_2addr_b64 v36, v[34:35], v[42:43] offset0:10 offset1:11
	ds_store_b64 v36, v[30:31] offset:96
.LBB24_207:
	s_or_b32 exec_lo, exec_lo, s0
	s_delay_alu instid0(SALU_CYCLE_1)
	s_mov_b32 s0, exec_lo
	s_wait_storecnt_dscnt 0x0
	s_barrier_signal -1
	s_barrier_wait -1
	v_cmpx_lt_i32_e32 9, v40
	s_cbranch_execz .LBB24_209
; %bb.208:
	ds_load_2addr_b64 v[42:45], v36 offset0:10 offset1:11
	ds_load_b64 v[34:35], v36 offset:96
	v_pk_mul_f32 v[46:47], v[32:33], v[24:25] op_sel:[1,1] op_sel_hi:[0,1]
	s_delay_alu instid0(VALU_DEP_1) | instskip(SKIP_2) | instid1(VALU_DEP_2)
	v_pk_fma_f32 v[48:49], v[32:33], v[24:25], v[46:47] op_sel_hi:[1,0,1]
	v_pk_fma_f32 v[24:25], v[32:33], v[24:25], v[46:47] op_sel_hi:[1,0,1] neg_lo:[0,0,1] neg_hi:[0,0,1]
	s_wait_dscnt 0x1
	v_pk_mul_f32 v[32:33], v[42:43], v[48:49] op_sel:[0,1]
	v_pk_mul_f32 v[46:47], v[44:45], v[48:49] op_sel:[0,1]
	s_wait_dscnt 0x0
	v_pk_mul_f32 v[50:51], v[34:35], v[48:49] op_sel:[1,1] op_sel_hi:[0,1]
	s_delay_alu instid0(VALU_DEP_3) | instskip(SKIP_2) | instid1(VALU_DEP_4)
	v_pk_fma_f32 v[52:53], v[42:43], v[24:25], v[32:33] op_sel:[0,0,1] op_sel_hi:[1,1,0] neg_lo:[0,0,1] neg_hi:[0,0,1]
	v_pk_fma_f32 v[32:33], v[42:43], v[24:25], v[32:33] op_sel:[0,0,1] op_sel_hi:[1,0,0]
	v_pk_fma_f32 v[42:43], v[44:45], v[24:25], v[46:47] op_sel:[0,0,1] op_sel_hi:[1,0,0]
	v_pk_fma_f32 v[54:55], v[34:35], v[24:25], v[50:51] op_sel_hi:[1,0,1]
	v_pk_fma_f32 v[44:45], v[44:45], v[24:25], v[46:47] op_sel:[0,0,1] op_sel_hi:[1,1,0] neg_lo:[0,0,1] neg_hi:[0,0,1]
	v_pk_fma_f32 v[34:35], v[34:35], v[24:25], v[50:51] neg_lo:[0,0,1] neg_hi:[0,0,1]
	s_delay_alu instid0(VALU_DEP_4) | instskip(NEXT) | instid1(VALU_DEP_4)
	v_dual_mov_b32 v53, v33 :: v_dual_mov_b32 v45, v43
	v_dual_mov_b32 v35, v55 :: v_dual_mov_b32 v25, v49
	s_delay_alu instid0(VALU_DEP_2) | instskip(NEXT) | instid1(VALU_DEP_3)
	v_pk_add_f32 v[14:15], v[14:15], v[52:53] neg_lo:[0,1] neg_hi:[0,1]
	v_pk_add_f32 v[12:13], v[12:13], v[44:45] neg_lo:[0,1] neg_hi:[0,1]
	s_delay_alu instid0(VALU_DEP_3)
	v_pk_add_f32 v[30:31], v[30:31], v[34:35] neg_lo:[0,1] neg_hi:[0,1]
.LBB24_209:
	s_or_b32 exec_lo, exec_lo, s0
	v_lshl_add_u32 v32, v40, 3, v36
	s_barrier_signal -1
	s_barrier_wait -1
	ds_store_b64 v32, v[14:15]
	s_wait_dscnt 0x0
	s_barrier_signal -1
	s_barrier_wait -1
	ds_load_b64 v[32:33], v36 offset:80
	v_mov_b32_e32 v34, 10
	s_cmp_lt_i32 s14, 12
	s_cbranch_scc1 .LBB24_212
; %bb.210:
	v_add3_u32 v35, v37, 0, 0x58
	v_mov_b32_e32 v34, 10
	s_mov_b32 s0, 11
.LBB24_211:                             ; =>This Inner Loop Header: Depth=1
	ds_load_b64 v[42:43], v35
	s_wait_dscnt 0x1
	v_cmp_gt_f32_e32 vcc_lo, 0, v32
	v_cndmask_b32_e64 v44, v32, -v32, vcc_lo
	v_cmp_gt_f32_e32 vcc_lo, 0, v33
	v_cndmask_b32_e64 v46, v33, -v33, vcc_lo
	s_wait_dscnt 0x0
	v_cmp_gt_f32_e32 vcc_lo, 0, v42
	v_cndmask_b32_e64 v45, v42, -v42, vcc_lo
	v_cmp_gt_f32_e32 vcc_lo, 0, v43
	v_cndmask_b32_e64 v47, v43, -v43, vcc_lo
	s_delay_alu instid0(VALU_DEP_1) | instskip(NEXT) | instid1(VALU_DEP_1)
	v_pk_add_f32 v[44:45], v[44:45], v[46:47]
	v_cmp_lt_f32_e32 vcc_lo, v44, v45
	v_dual_cndmask_b32 v32, v32, v42 :: v_dual_add_nc_u32 v35, 8, v35
	v_cndmask_b32_e32 v33, v33, v43, vcc_lo
	v_cndmask_b32_e64 v34, v34, s0, vcc_lo
	s_add_co_i32 s0, s0, 1
	s_delay_alu instid0(SALU_CYCLE_1)
	s_cmp_lg_u32 s14, s0
	s_cbranch_scc1 .LBB24_211
.LBB24_212:
	s_wait_dscnt 0x0
	v_cmp_eq_f32_e32 vcc_lo, 0, v32
	v_cmp_eq_f32_e64 s0, 0, v33
	s_and_b32 s0, vcc_lo, s0
	s_delay_alu instid0(SALU_CYCLE_1) | instskip(NEXT) | instid1(SALU_CYCLE_1)
	s_and_saveexec_b32 s1, s0
	s_xor_b32 s0, exec_lo, s1
; %bb.213:
	v_cmp_ne_u32_e32 vcc_lo, 0, v39
	v_cndmask_b32_e32 v39, 11, v39, vcc_lo
; %bb.214:
	s_and_not1_saveexec_b32 s0, s0
	s_cbranch_execz .LBB24_220
; %bb.215:
	v_cmp_ngt_f32_e64 s1, |v32|, |v33|
	s_and_saveexec_b32 s15, s1
	s_delay_alu instid0(SALU_CYCLE_1)
	s_xor_b32 s1, exec_lo, s15
	s_cbranch_execz .LBB24_217
; %bb.216:
	v_div_scale_f32 v35, null, v33, v33, v32
	v_div_scale_f32 v43, vcc_lo, v32, v33, v32
	s_delay_alu instid0(VALU_DEP_2) | instskip(SKIP_1) | instid1(TRANS32_DEP_1)
	v_rcp_f32_e32 v41, v35
	v_nop
	v_fma_f32 v42, -v35, v41, 1.0
	s_delay_alu instid0(VALU_DEP_1) | instskip(NEXT) | instid1(VALU_DEP_1)
	v_fmac_f32_e32 v41, v42, v41
	v_mul_f32_e32 v42, v43, v41
	s_delay_alu instid0(VALU_DEP_1) | instskip(NEXT) | instid1(VALU_DEP_1)
	v_fma_f32 v44, -v35, v42, v43
	v_fmac_f32_e32 v42, v44, v41
	s_delay_alu instid0(VALU_DEP_1) | instskip(NEXT) | instid1(VALU_DEP_1)
	v_fma_f32 v35, -v35, v42, v43
	v_div_fmas_f32 v35, v35, v41, v42
	s_delay_alu instid0(VALU_DEP_1) | instskip(NEXT) | instid1(VALU_DEP_1)
	v_div_fixup_f32 v35, v35, v33, v32
	v_fmac_f32_e32 v33, v32, v35
	s_delay_alu instid0(VALU_DEP_1) | instskip(SKIP_1) | instid1(VALU_DEP_2)
	v_div_scale_f32 v32, null, v33, v33, 1.0
	v_div_scale_f32 v43, vcc_lo, 1.0, v33, 1.0
	v_rcp_f32_e32 v41, v32
	v_nop
	s_delay_alu instid0(TRANS32_DEP_1) | instskip(NEXT) | instid1(VALU_DEP_1)
	v_fma_f32 v42, -v32, v41, 1.0
	v_fmac_f32_e32 v41, v42, v41
	s_delay_alu instid0(VALU_DEP_1) | instskip(NEXT) | instid1(VALU_DEP_1)
	v_mul_f32_e32 v42, v43, v41
	v_fma_f32 v44, -v32, v42, v43
	s_delay_alu instid0(VALU_DEP_1) | instskip(NEXT) | instid1(VALU_DEP_1)
	v_fmac_f32_e32 v42, v44, v41
	v_fma_f32 v32, -v32, v42, v43
	s_delay_alu instid0(VALU_DEP_1) | instskip(NEXT) | instid1(VALU_DEP_1)
	v_div_fmas_f32 v32, v32, v41, v42
	v_div_fixup_f32 v33, v32, v33, 1.0
	s_delay_alu instid0(VALU_DEP_1)
	v_mul_f32_e32 v32, v35, v33
	v_xor_b32_e32 v33, 0x80000000, v33
.LBB24_217:
	s_and_not1_saveexec_b32 s1, s1
	s_cbranch_execz .LBB24_219
; %bb.218:
	s_delay_alu instid0(VALU_DEP_1) | instskip(SKIP_1) | instid1(VALU_DEP_2)
	v_div_scale_f32 v35, null, v32, v32, v33
	v_div_scale_f32 v43, vcc_lo, v33, v32, v33
	v_rcp_f32_e32 v41, v35
	v_nop
	s_delay_alu instid0(TRANS32_DEP_1) | instskip(NEXT) | instid1(VALU_DEP_1)
	v_fma_f32 v42, -v35, v41, 1.0
	v_fmac_f32_e32 v41, v42, v41
	s_delay_alu instid0(VALU_DEP_1) | instskip(NEXT) | instid1(VALU_DEP_1)
	v_mul_f32_e32 v42, v43, v41
	v_fma_f32 v44, -v35, v42, v43
	s_delay_alu instid0(VALU_DEP_1) | instskip(NEXT) | instid1(VALU_DEP_1)
	v_fmac_f32_e32 v42, v44, v41
	v_fma_f32 v35, -v35, v42, v43
	s_delay_alu instid0(VALU_DEP_1) | instskip(NEXT) | instid1(VALU_DEP_1)
	v_div_fmas_f32 v35, v35, v41, v42
	v_div_fixup_f32 v35, v35, v32, v33
	s_delay_alu instid0(VALU_DEP_1) | instskip(NEXT) | instid1(VALU_DEP_1)
	v_fmac_f32_e32 v32, v33, v35
	v_div_scale_f32 v33, null, v32, v32, 1.0
	s_delay_alu instid0(VALU_DEP_1) | instskip(SKIP_1) | instid1(TRANS32_DEP_1)
	v_rcp_f32_e32 v41, v33
	v_nop
	v_fma_f32 v42, -v33, v41, 1.0
	s_delay_alu instid0(VALU_DEP_1) | instskip(SKIP_1) | instid1(VALU_DEP_1)
	v_fmac_f32_e32 v41, v42, v41
	v_div_scale_f32 v42, vcc_lo, 1.0, v32, 1.0
	v_mul_f32_e32 v43, v42, v41
	s_delay_alu instid0(VALU_DEP_1) | instskip(NEXT) | instid1(VALU_DEP_1)
	v_fma_f32 v44, -v33, v43, v42
	v_fmac_f32_e32 v43, v44, v41
	s_delay_alu instid0(VALU_DEP_1) | instskip(NEXT) | instid1(VALU_DEP_1)
	v_fma_f32 v33, -v33, v43, v42
	v_div_fmas_f32 v33, v33, v41, v43
	s_delay_alu instid0(VALU_DEP_1) | instskip(NEXT) | instid1(VALU_DEP_1)
	v_div_fixup_f32 v32, v33, v32, 1.0
	v_mul_f32_e64 v33, v35, -v32
.LBB24_219:
	s_or_b32 exec_lo, exec_lo, s1
.LBB24_220:
	s_delay_alu instid0(SALU_CYCLE_1) | instskip(NEXT) | instid1(SALU_CYCLE_1)
	s_or_b32 exec_lo, exec_lo, s0
	s_mov_b32 s0, exec_lo
	v_cmpx_ne_u32_e64 v40, v34
	s_xor_b32 s0, exec_lo, s0
	s_cbranch_execz .LBB24_226
; %bb.221:
	s_mov_b32 s1, exec_lo
	v_cmpx_eq_u32_e32 10, v40
	s_cbranch_execz .LBB24_225
; %bb.222:
	v_cmp_ne_u32_e32 vcc_lo, 10, v34
	s_xor_b32 s15, s12, -1
	s_delay_alu instid0(SALU_CYCLE_1) | instskip(NEXT) | instid1(SALU_CYCLE_1)
	s_and_b32 s16, s15, vcc_lo
	s_and_saveexec_b32 s15, s16
	s_cbranch_execz .LBB24_224
; %bb.223:
	v_ashrrev_i32_e32 v35, 31, v34
	s_delay_alu instid0(VALU_DEP_1)
	v_lshl_add_u64 v[40:41], v[34:35], 2, v[28:29]
	s_clause 0x1
	global_load_b32 v35, v[40:41], off
	global_load_b32 v38, v[28:29], off offset:40
	s_wait_loadcnt 0x1
	global_store_b32 v[28:29], v35, off offset:40
	s_wait_loadcnt 0x0
	global_store_b32 v[40:41], v38, off
.LBB24_224:
	s_wait_xcnt 0x0
	s_or_b32 exec_lo, exec_lo, s15
	v_dual_mov_b32 v40, v34 :: v_dual_mov_b32 v38, v34
.LBB24_225:
	s_or_b32 exec_lo, exec_lo, s1
.LBB24_226:
	s_and_not1_saveexec_b32 s0, s0
; %bb.227:
	v_mov_b32_e32 v40, 10
	ds_store_2addr_b64 v36, v[12:13], v[30:31] offset0:11 offset1:12
; %bb.228:
	s_or_b32 exec_lo, exec_lo, s0
	s_delay_alu instid0(SALU_CYCLE_1)
	s_mov_b32 s0, exec_lo
	s_wait_storecnt_dscnt 0x0
	s_barrier_signal -1
	s_barrier_wait -1
	v_cmpx_lt_i32_e32 10, v40
	s_cbranch_execz .LBB24_230
; %bb.229:
	ds_load_2addr_b64 v[42:45], v36 offset0:11 offset1:12
	v_pk_mul_f32 v[34:35], v[32:33], v[14:15] op_sel:[1,1] op_sel_hi:[0,1]
	s_delay_alu instid0(VALU_DEP_1) | instskip(SKIP_3) | instid1(VALU_DEP_3)
	v_pk_fma_f32 v[46:47], v[32:33], v[14:15], v[34:35] op_sel_hi:[1,0,1]
	v_pk_fma_f32 v[14:15], v[32:33], v[14:15], v[34:35] op_sel_hi:[1,0,1] neg_lo:[0,0,1] neg_hi:[0,0,1]
	s_wait_dscnt 0x0
	v_dual_mov_b32 v48, v45 :: v_dual_mov_b32 v49, v44
	v_pk_mul_f32 v[32:33], v[42:43], v[46:47] op_sel:[0,1]
	s_delay_alu instid0(VALU_DEP_2) | instskip(NEXT) | instid1(VALU_DEP_2)
	v_pk_mul_f32 v[34:35], v[48:49], v[46:47] op_sel:[0,1]
	v_pk_fma_f32 v[48:49], v[42:43], v[14:15], v[32:33] op_sel:[0,0,1] op_sel_hi:[1,0,0]
	v_pk_fma_f32 v[32:33], v[42:43], v[14:15], v[32:33] op_sel:[0,0,1] op_sel_hi:[1,1,0] neg_lo:[0,0,1] neg_hi:[0,0,1]
	s_delay_alu instid0(VALU_DEP_3) | instskip(SKIP_1) | instid1(VALU_DEP_4)
	v_pk_fma_f32 v[50:51], v[44:45], v[14:15], v[34:35] op_sel_hi:[1,0,1]
	v_pk_fma_f32 v[34:35], v[44:45], v[14:15], v[34:35] neg_lo:[0,0,1] neg_hi:[0,0,1]
	v_dual_mov_b32 v33, v49 :: v_dual_mov_b32 v15, v47
	s_delay_alu instid0(VALU_DEP_3) | instskip(NEXT) | instid1(VALU_DEP_2)
	v_mov_b32_e32 v35, v51
	v_pk_add_f32 v[12:13], v[12:13], v[32:33] neg_lo:[0,1] neg_hi:[0,1]
	s_delay_alu instid0(VALU_DEP_2)
	v_pk_add_f32 v[30:31], v[30:31], v[34:35] neg_lo:[0,1] neg_hi:[0,1]
.LBB24_230:
	s_or_b32 exec_lo, exec_lo, s0
	v_lshl_add_u32 v32, v40, 3, v36
	s_barrier_signal -1
	s_barrier_wait -1
	ds_store_b64 v32, v[12:13]
	s_wait_dscnt 0x0
	s_barrier_signal -1
	s_barrier_wait -1
	ds_load_b64 v[32:33], v36 offset:88
	v_mov_b32_e32 v34, 11
	s_cmp_lt_i32 s14, 13
	s_cbranch_scc1 .LBB24_233
; %bb.231:
	v_add3_u32 v35, v37, 0, 0x60
	v_mov_b32_e32 v34, 11
	s_mov_b32 s0, 12
.LBB24_232:                             ; =>This Inner Loop Header: Depth=1
	ds_load_b64 v[42:43], v35
	s_wait_dscnt 0x1
	v_cmp_gt_f32_e32 vcc_lo, 0, v32
	v_cndmask_b32_e64 v44, v32, -v32, vcc_lo
	v_cmp_gt_f32_e32 vcc_lo, 0, v33
	v_cndmask_b32_e64 v46, v33, -v33, vcc_lo
	s_wait_dscnt 0x0
	v_cmp_gt_f32_e32 vcc_lo, 0, v42
	v_cndmask_b32_e64 v45, v42, -v42, vcc_lo
	v_cmp_gt_f32_e32 vcc_lo, 0, v43
	v_cndmask_b32_e64 v47, v43, -v43, vcc_lo
	s_delay_alu instid0(VALU_DEP_1) | instskip(NEXT) | instid1(VALU_DEP_1)
	v_pk_add_f32 v[44:45], v[44:45], v[46:47]
	v_cmp_lt_f32_e32 vcc_lo, v44, v45
	v_dual_cndmask_b32 v32, v32, v42 :: v_dual_add_nc_u32 v35, 8, v35
	v_cndmask_b32_e32 v33, v33, v43, vcc_lo
	v_cndmask_b32_e64 v34, v34, s0, vcc_lo
	s_add_co_i32 s0, s0, 1
	s_delay_alu instid0(SALU_CYCLE_1)
	s_cmp_lg_u32 s14, s0
	s_cbranch_scc1 .LBB24_232
.LBB24_233:
	s_wait_dscnt 0x0
	v_cmp_eq_f32_e32 vcc_lo, 0, v32
	v_cmp_eq_f32_e64 s0, 0, v33
	s_and_b32 s0, vcc_lo, s0
	s_delay_alu instid0(SALU_CYCLE_1) | instskip(NEXT) | instid1(SALU_CYCLE_1)
	s_and_saveexec_b32 s1, s0
	s_xor_b32 s0, exec_lo, s1
; %bb.234:
	v_cmp_ne_u32_e32 vcc_lo, 0, v39
	v_cndmask_b32_e32 v39, 12, v39, vcc_lo
; %bb.235:
	s_and_not1_saveexec_b32 s0, s0
	s_cbranch_execz .LBB24_241
; %bb.236:
	v_cmp_ngt_f32_e64 s1, |v32|, |v33|
	s_and_saveexec_b32 s15, s1
	s_delay_alu instid0(SALU_CYCLE_1)
	s_xor_b32 s1, exec_lo, s15
	s_cbranch_execz .LBB24_238
; %bb.237:
	v_div_scale_f32 v35, null, v33, v33, v32
	v_div_scale_f32 v43, vcc_lo, v32, v33, v32
	s_delay_alu instid0(VALU_DEP_2) | instskip(SKIP_1) | instid1(TRANS32_DEP_1)
	v_rcp_f32_e32 v41, v35
	v_nop
	v_fma_f32 v42, -v35, v41, 1.0
	s_delay_alu instid0(VALU_DEP_1) | instskip(NEXT) | instid1(VALU_DEP_1)
	v_fmac_f32_e32 v41, v42, v41
	v_mul_f32_e32 v42, v43, v41
	s_delay_alu instid0(VALU_DEP_1) | instskip(NEXT) | instid1(VALU_DEP_1)
	v_fma_f32 v44, -v35, v42, v43
	v_fmac_f32_e32 v42, v44, v41
	s_delay_alu instid0(VALU_DEP_1) | instskip(NEXT) | instid1(VALU_DEP_1)
	v_fma_f32 v35, -v35, v42, v43
	v_div_fmas_f32 v35, v35, v41, v42
	s_delay_alu instid0(VALU_DEP_1) | instskip(NEXT) | instid1(VALU_DEP_1)
	v_div_fixup_f32 v35, v35, v33, v32
	v_fmac_f32_e32 v33, v32, v35
	s_delay_alu instid0(VALU_DEP_1) | instskip(SKIP_1) | instid1(VALU_DEP_2)
	v_div_scale_f32 v32, null, v33, v33, 1.0
	v_div_scale_f32 v43, vcc_lo, 1.0, v33, 1.0
	v_rcp_f32_e32 v41, v32
	v_nop
	s_delay_alu instid0(TRANS32_DEP_1) | instskip(NEXT) | instid1(VALU_DEP_1)
	v_fma_f32 v42, -v32, v41, 1.0
	v_fmac_f32_e32 v41, v42, v41
	s_delay_alu instid0(VALU_DEP_1) | instskip(NEXT) | instid1(VALU_DEP_1)
	v_mul_f32_e32 v42, v43, v41
	v_fma_f32 v44, -v32, v42, v43
	s_delay_alu instid0(VALU_DEP_1) | instskip(NEXT) | instid1(VALU_DEP_1)
	v_fmac_f32_e32 v42, v44, v41
	v_fma_f32 v32, -v32, v42, v43
	s_delay_alu instid0(VALU_DEP_1) | instskip(NEXT) | instid1(VALU_DEP_1)
	v_div_fmas_f32 v32, v32, v41, v42
	v_div_fixup_f32 v33, v32, v33, 1.0
	s_delay_alu instid0(VALU_DEP_1)
	v_mul_f32_e32 v32, v35, v33
	v_xor_b32_e32 v33, 0x80000000, v33
.LBB24_238:
	s_and_not1_saveexec_b32 s1, s1
	s_cbranch_execz .LBB24_240
; %bb.239:
	s_delay_alu instid0(VALU_DEP_1) | instskip(SKIP_1) | instid1(VALU_DEP_2)
	v_div_scale_f32 v35, null, v32, v32, v33
	v_div_scale_f32 v43, vcc_lo, v33, v32, v33
	v_rcp_f32_e32 v41, v35
	v_nop
	s_delay_alu instid0(TRANS32_DEP_1) | instskip(NEXT) | instid1(VALU_DEP_1)
	v_fma_f32 v42, -v35, v41, 1.0
	v_fmac_f32_e32 v41, v42, v41
	s_delay_alu instid0(VALU_DEP_1) | instskip(NEXT) | instid1(VALU_DEP_1)
	v_mul_f32_e32 v42, v43, v41
	v_fma_f32 v44, -v35, v42, v43
	s_delay_alu instid0(VALU_DEP_1) | instskip(NEXT) | instid1(VALU_DEP_1)
	v_fmac_f32_e32 v42, v44, v41
	v_fma_f32 v35, -v35, v42, v43
	s_delay_alu instid0(VALU_DEP_1) | instskip(NEXT) | instid1(VALU_DEP_1)
	v_div_fmas_f32 v35, v35, v41, v42
	v_div_fixup_f32 v35, v35, v32, v33
	s_delay_alu instid0(VALU_DEP_1) | instskip(NEXT) | instid1(VALU_DEP_1)
	v_fmac_f32_e32 v32, v33, v35
	v_div_scale_f32 v33, null, v32, v32, 1.0
	s_delay_alu instid0(VALU_DEP_1) | instskip(SKIP_1) | instid1(TRANS32_DEP_1)
	v_rcp_f32_e32 v41, v33
	v_nop
	v_fma_f32 v42, -v33, v41, 1.0
	s_delay_alu instid0(VALU_DEP_1) | instskip(SKIP_1) | instid1(VALU_DEP_1)
	v_fmac_f32_e32 v41, v42, v41
	v_div_scale_f32 v42, vcc_lo, 1.0, v32, 1.0
	v_mul_f32_e32 v43, v42, v41
	s_delay_alu instid0(VALU_DEP_1) | instskip(NEXT) | instid1(VALU_DEP_1)
	v_fma_f32 v44, -v33, v43, v42
	v_fmac_f32_e32 v43, v44, v41
	s_delay_alu instid0(VALU_DEP_1) | instskip(NEXT) | instid1(VALU_DEP_1)
	v_fma_f32 v33, -v33, v43, v42
	v_div_fmas_f32 v33, v33, v41, v43
	s_delay_alu instid0(VALU_DEP_1) | instskip(NEXT) | instid1(VALU_DEP_1)
	v_div_fixup_f32 v32, v33, v32, 1.0
	v_mul_f32_e64 v33, v35, -v32
.LBB24_240:
	s_or_b32 exec_lo, exec_lo, s1
.LBB24_241:
	s_delay_alu instid0(SALU_CYCLE_1) | instskip(NEXT) | instid1(SALU_CYCLE_1)
	s_or_b32 exec_lo, exec_lo, s0
	s_mov_b32 s0, exec_lo
	v_cmpx_ne_u32_e64 v40, v34
	s_xor_b32 s0, exec_lo, s0
	s_cbranch_execz .LBB24_247
; %bb.242:
	s_mov_b32 s1, exec_lo
	v_cmpx_eq_u32_e32 11, v40
	s_cbranch_execz .LBB24_246
; %bb.243:
	v_cmp_ne_u32_e32 vcc_lo, 11, v34
	s_xor_b32 s15, s12, -1
	s_delay_alu instid0(SALU_CYCLE_1) | instskip(NEXT) | instid1(SALU_CYCLE_1)
	s_and_b32 s16, s15, vcc_lo
	s_and_saveexec_b32 s15, s16
	s_cbranch_execz .LBB24_245
; %bb.244:
	v_ashrrev_i32_e32 v35, 31, v34
	s_delay_alu instid0(VALU_DEP_1)
	v_lshl_add_u64 v[40:41], v[34:35], 2, v[28:29]
	s_clause 0x1
	global_load_b32 v35, v[40:41], off
	global_load_b32 v38, v[28:29], off offset:44
	s_wait_loadcnt 0x1
	global_store_b32 v[28:29], v35, off offset:44
	s_wait_loadcnt 0x0
	global_store_b32 v[40:41], v38, off
.LBB24_245:
	s_wait_xcnt 0x0
	s_or_b32 exec_lo, exec_lo, s15
	v_dual_mov_b32 v40, v34 :: v_dual_mov_b32 v38, v34
.LBB24_246:
	s_or_b32 exec_lo, exec_lo, s1
.LBB24_247:
	s_and_not1_saveexec_b32 s0, s0
; %bb.248:
	v_mov_b32_e32 v40, 11
	ds_store_b64 v36, v[30:31] offset:96
; %bb.249:
	s_or_b32 exec_lo, exec_lo, s0
	s_delay_alu instid0(SALU_CYCLE_1)
	s_mov_b32 s0, exec_lo
	s_wait_storecnt_dscnt 0x0
	s_barrier_signal -1
	s_barrier_wait -1
	v_cmpx_lt_i32_e32 11, v40
	s_cbranch_execz .LBB24_251
; %bb.250:
	ds_load_b64 v[34:35], v36 offset:96
	v_pk_mul_f32 v[42:43], v[32:33], v[12:13] op_sel:[1,1] op_sel_hi:[0,1]
	s_delay_alu instid0(VALU_DEP_1) | instskip(SKIP_2) | instid1(VALU_DEP_2)
	v_pk_fma_f32 v[44:45], v[32:33], v[12:13], v[42:43] op_sel_hi:[1,0,1]
	v_pk_fma_f32 v[12:13], v[32:33], v[12:13], v[42:43] op_sel_hi:[1,0,1] neg_lo:[0,0,1] neg_hi:[0,0,1]
	s_wait_dscnt 0x0
	v_pk_mul_f32 v[32:33], v[34:35], v[44:45] op_sel:[1,1] op_sel_hi:[0,1]
	s_delay_alu instid0(VALU_DEP_1) | instskip(SKIP_1) | instid1(VALU_DEP_2)
	v_pk_fma_f32 v[42:43], v[34:35], v[12:13], v[32:33] op_sel_hi:[1,0,1]
	v_pk_fma_f32 v[32:33], v[34:35], v[12:13], v[32:33] neg_lo:[0,0,1] neg_hi:[0,0,1]
	v_dual_mov_b32 v13, v45 :: v_dual_mov_b32 v33, v43
	s_delay_alu instid0(VALU_DEP_1)
	v_pk_add_f32 v[30:31], v[30:31], v[32:33] neg_lo:[0,1] neg_hi:[0,1]
.LBB24_251:
	s_or_b32 exec_lo, exec_lo, s0
	v_lshl_add_u32 v32, v40, 3, v36
	s_barrier_signal -1
	s_barrier_wait -1
	ds_store_b64 v32, v[30:31]
	s_wait_dscnt 0x0
	s_barrier_signal -1
	s_barrier_wait -1
	ds_load_b64 v[32:33], v36 offset:96
	v_mov_b32_e32 v34, 12
	s_cmp_lt_i32 s14, 14
	s_cbranch_scc1 .LBB24_254
; %bb.252:
	v_add3_u32 v35, v37, 0, 0x68
	v_mov_b32_e32 v34, 12
	s_mov_b32 s0, 13
.LBB24_253:                             ; =>This Inner Loop Header: Depth=1
	ds_load_b64 v[36:37], v35
	s_wait_dscnt 0x1
	v_cmp_gt_f32_e32 vcc_lo, 0, v32
	v_cndmask_b32_e64 v42, v32, -v32, vcc_lo
	v_cmp_gt_f32_e32 vcc_lo, 0, v33
	v_cndmask_b32_e64 v44, v33, -v33, vcc_lo
	s_wait_dscnt 0x0
	v_cmp_gt_f32_e32 vcc_lo, 0, v36
	v_cndmask_b32_e64 v43, v36, -v36, vcc_lo
	v_cmp_gt_f32_e32 vcc_lo, 0, v37
	v_cndmask_b32_e64 v45, v37, -v37, vcc_lo
	s_delay_alu instid0(VALU_DEP_1) | instskip(NEXT) | instid1(VALU_DEP_1)
	v_pk_add_f32 v[42:43], v[42:43], v[44:45]
	v_cmp_lt_f32_e32 vcc_lo, v42, v43
	v_dual_add_nc_u32 v35, 8, v35 :: v_dual_cndmask_b32 v33, v33, v37, vcc_lo
	v_cndmask_b32_e32 v32, v32, v36, vcc_lo
	v_cndmask_b32_e64 v34, v34, s0, vcc_lo
	s_add_co_i32 s0, s0, 1
	s_delay_alu instid0(SALU_CYCLE_1)
	s_cmp_lg_u32 s14, s0
	s_cbranch_scc1 .LBB24_253
.LBB24_254:
	s_wait_dscnt 0x0
	v_cmp_eq_f32_e32 vcc_lo, 0, v32
	v_cmp_eq_f32_e64 s0, 0, v33
	s_and_b32 s0, vcc_lo, s0
	s_delay_alu instid0(SALU_CYCLE_1) | instskip(NEXT) | instid1(SALU_CYCLE_1)
	s_and_saveexec_b32 s1, s0
	s_xor_b32 s0, exec_lo, s1
; %bb.255:
	v_cmp_ne_u32_e32 vcc_lo, 0, v39
	v_cndmask_b32_e32 v39, 13, v39, vcc_lo
; %bb.256:
	s_and_not1_saveexec_b32 s0, s0
	s_cbranch_execz .LBB24_262
; %bb.257:
	v_cmp_ngt_f32_e64 s1, |v32|, |v33|
	s_and_saveexec_b32 s14, s1
	s_delay_alu instid0(SALU_CYCLE_1)
	s_xor_b32 s1, exec_lo, s14
	s_cbranch_execz .LBB24_259
; %bb.258:
	v_div_scale_f32 v35, null, v33, v33, v32
	v_div_scale_f32 v41, vcc_lo, v32, v33, v32
	s_delay_alu instid0(VALU_DEP_2) | instskip(SKIP_1) | instid1(TRANS32_DEP_1)
	v_rcp_f32_e32 v36, v35
	v_nop
	v_fma_f32 v37, -v35, v36, 1.0
	s_delay_alu instid0(VALU_DEP_1) | instskip(NEXT) | instid1(VALU_DEP_1)
	v_fmac_f32_e32 v36, v37, v36
	v_mul_f32_e32 v37, v41, v36
	s_delay_alu instid0(VALU_DEP_1) | instskip(NEXT) | instid1(VALU_DEP_1)
	v_fma_f32 v42, -v35, v37, v41
	v_fmac_f32_e32 v37, v42, v36
	s_delay_alu instid0(VALU_DEP_1) | instskip(NEXT) | instid1(VALU_DEP_1)
	v_fma_f32 v35, -v35, v37, v41
	v_div_fmas_f32 v35, v35, v36, v37
	s_delay_alu instid0(VALU_DEP_1) | instskip(NEXT) | instid1(VALU_DEP_1)
	v_div_fixup_f32 v35, v35, v33, v32
	v_fmac_f32_e32 v33, v32, v35
	s_delay_alu instid0(VALU_DEP_1) | instskip(SKIP_1) | instid1(VALU_DEP_2)
	v_div_scale_f32 v32, null, v33, v33, 1.0
	v_div_scale_f32 v41, vcc_lo, 1.0, v33, 1.0
	v_rcp_f32_e32 v36, v32
	v_nop
	s_delay_alu instid0(TRANS32_DEP_1) | instskip(NEXT) | instid1(VALU_DEP_1)
	v_fma_f32 v37, -v32, v36, 1.0
	v_fmac_f32_e32 v36, v37, v36
	s_delay_alu instid0(VALU_DEP_1) | instskip(NEXT) | instid1(VALU_DEP_1)
	v_mul_f32_e32 v37, v41, v36
	v_fma_f32 v42, -v32, v37, v41
	s_delay_alu instid0(VALU_DEP_1) | instskip(NEXT) | instid1(VALU_DEP_1)
	v_fmac_f32_e32 v37, v42, v36
	v_fma_f32 v32, -v32, v37, v41
	s_delay_alu instid0(VALU_DEP_1) | instskip(NEXT) | instid1(VALU_DEP_1)
	v_div_fmas_f32 v32, v32, v36, v37
	v_div_fixup_f32 v33, v32, v33, 1.0
	s_delay_alu instid0(VALU_DEP_1)
	v_mul_f32_e32 v32, v35, v33
	v_xor_b32_e32 v33, 0x80000000, v33
.LBB24_259:
	s_and_not1_saveexec_b32 s1, s1
	s_cbranch_execz .LBB24_261
; %bb.260:
	s_delay_alu instid0(VALU_DEP_1) | instskip(SKIP_1) | instid1(VALU_DEP_2)
	v_div_scale_f32 v35, null, v32, v32, v33
	v_div_scale_f32 v41, vcc_lo, v33, v32, v33
	v_rcp_f32_e32 v36, v35
	v_nop
	s_delay_alu instid0(TRANS32_DEP_1) | instskip(NEXT) | instid1(VALU_DEP_1)
	v_fma_f32 v37, -v35, v36, 1.0
	v_fmac_f32_e32 v36, v37, v36
	s_delay_alu instid0(VALU_DEP_1) | instskip(NEXT) | instid1(VALU_DEP_1)
	v_mul_f32_e32 v37, v41, v36
	v_fma_f32 v42, -v35, v37, v41
	s_delay_alu instid0(VALU_DEP_1) | instskip(NEXT) | instid1(VALU_DEP_1)
	v_fmac_f32_e32 v37, v42, v36
	v_fma_f32 v35, -v35, v37, v41
	s_delay_alu instid0(VALU_DEP_1) | instskip(NEXT) | instid1(VALU_DEP_1)
	v_div_fmas_f32 v35, v35, v36, v37
	v_div_fixup_f32 v35, v35, v32, v33
	s_delay_alu instid0(VALU_DEP_1) | instskip(NEXT) | instid1(VALU_DEP_1)
	v_fmac_f32_e32 v32, v33, v35
	v_div_scale_f32 v33, null, v32, v32, 1.0
	s_delay_alu instid0(VALU_DEP_1) | instskip(SKIP_1) | instid1(TRANS32_DEP_1)
	v_rcp_f32_e32 v36, v33
	v_nop
	v_fma_f32 v37, -v33, v36, 1.0
	s_delay_alu instid0(VALU_DEP_1) | instskip(SKIP_1) | instid1(VALU_DEP_1)
	v_fmac_f32_e32 v36, v37, v36
	v_div_scale_f32 v37, vcc_lo, 1.0, v32, 1.0
	v_mul_f32_e32 v41, v37, v36
	s_delay_alu instid0(VALU_DEP_1) | instskip(NEXT) | instid1(VALU_DEP_1)
	v_fma_f32 v42, -v33, v41, v37
	v_fmac_f32_e32 v41, v42, v36
	s_delay_alu instid0(VALU_DEP_1) | instskip(NEXT) | instid1(VALU_DEP_1)
	v_fma_f32 v33, -v33, v41, v37
	v_div_fmas_f32 v33, v33, v36, v41
	s_delay_alu instid0(VALU_DEP_1) | instskip(NEXT) | instid1(VALU_DEP_1)
	v_div_fixup_f32 v32, v33, v32, 1.0
	v_mul_f32_e64 v33, v35, -v32
.LBB24_261:
	s_or_b32 exec_lo, exec_lo, s1
.LBB24_262:
	s_delay_alu instid0(SALU_CYCLE_1)
	s_or_b32 exec_lo, exec_lo, s0
	v_mov_b32_e32 v36, 12
	s_mov_b32 s0, exec_lo
	v_cmpx_ne_u32_e64 v40, v34
	s_cbranch_execz .LBB24_268
; %bb.263:
	s_mov_b32 s1, exec_lo
	v_cmpx_eq_u32_e32 12, v40
	s_cbranch_execz .LBB24_267
; %bb.264:
	v_cmp_ne_u32_e32 vcc_lo, 12, v34
	s_xor_b32 s12, s12, -1
	s_delay_alu instid0(SALU_CYCLE_1) | instskip(NEXT) | instid1(SALU_CYCLE_1)
	s_and_b32 s14, s12, vcc_lo
	s_and_saveexec_b32 s12, s14
	s_cbranch_execz .LBB24_266
; %bb.265:
	v_ashrrev_i32_e32 v35, 31, v34
	s_delay_alu instid0(VALU_DEP_1)
	v_lshl_add_u64 v[36:37], v[34:35], 2, v[28:29]
	s_clause 0x1
	global_load_b32 v35, v[36:37], off
	global_load_b32 v38, v[28:29], off offset:48
	s_wait_loadcnt 0x1
	global_store_b32 v[28:29], v35, off offset:48
	s_wait_loadcnt 0x0
	global_store_b32 v[36:37], v38, off
.LBB24_266:
	s_wait_xcnt 0x0
	s_or_b32 exec_lo, exec_lo, s12
	v_dual_mov_b32 v40, v34 :: v_dual_mov_b32 v38, v34
.LBB24_267:
	s_or_b32 exec_lo, exec_lo, s1
	s_delay_alu instid0(VALU_DEP_1)
	v_mov_b32_e32 v36, v40
.LBB24_268:
	s_or_b32 exec_lo, exec_lo, s0
	s_delay_alu instid0(VALU_DEP_1)
	v_ashrrev_i32_e32 v37, 31, v36
	s_mov_b32 s0, exec_lo
	s_wait_storecnt 0x0
	s_barrier_signal -1
	s_barrier_wait -1
	s_barrier_signal -1
	s_barrier_wait -1
	v_cmpx_gt_i32_e32 13, v36
	s_cbranch_execz .LBB24_270
; %bb.269:
	v_mul_u64_e32 v[28:29], s[10:11], v[2:3]
	v_add3_u32 v34, v38, s13, 1
	s_delay_alu instid0(VALU_DEP_2) | instskip(NEXT) | instid1(VALU_DEP_1)
	v_lshl_add_u64 v[28:29], v[28:29], 2, s[6:7]
	v_lshl_add_u64 v[28:29], s[8:9], 2, v[28:29]
	s_delay_alu instid0(VALU_DEP_1)
	v_lshl_add_u64 v[28:29], v[36:37], 2, v[28:29]
	global_store_b32 v[28:29], v34, off
.LBB24_270:
	s_wait_xcnt 0x0
	s_or_b32 exec_lo, exec_lo, s0
	s_delay_alu instid0(SALU_CYCLE_1)
	s_mov_b32 s1, exec_lo
	v_cmpx_eq_u32_e32 0, v36
	s_cbranch_execz .LBB24_273
; %bb.271:
	s_wait_kmcnt 0x0
	v_lshl_add_u64 v[2:3], v[2:3], 2, s[4:5]
	v_cmp_ne_u32_e64 s0, 0, v39
	global_load_b32 v28, v[2:3], off
	s_wait_loadcnt 0x0
	v_cmp_eq_u32_e32 vcc_lo, 0, v28
	s_and_b32 s0, vcc_lo, s0
	s_wait_xcnt 0x0
	s_and_b32 exec_lo, exec_lo, s0
	s_cbranch_execz .LBB24_273
; %bb.272:
	v_add_nc_u32_e32 v28, s13, v39
	global_store_b32 v[2:3], v28, off
.LBB24_273:
	s_wait_xcnt 0x0
	s_or_b32 exec_lo, exec_lo, s1
	v_add3_u32 v2, s2, s2, v36
	v_pk_mul_f32 v[38:39], v[32:33], v[30:31] op_sel:[1,1] op_sel_hi:[0,1]
	v_cmp_lt_i32_e32 vcc_lo, 12, v36
	v_lshl_add_u64 v[36:37], v[36:37], 3, v[0:1]
	s_delay_alu instid0(VALU_DEP_4) | instskip(NEXT) | instid1(VALU_DEP_4)
	v_add_nc_u32_e32 v28, s2, v2
	v_pk_fma_f32 v[42:43], v[32:33], v[30:31], v[38:39] op_sel_hi:[1,0,1]
	v_pk_fma_f32 v[32:33], v[32:33], v[30:31], v[38:39] neg_lo:[0,0,1] neg_hi:[0,0,1]
	s_delay_alu instid0(VALU_DEP_3) | instskip(NEXT) | instid1(VALU_DEP_2)
	v_dual_ashrrev_i32 v3, 31, v2 :: v_dual_add_nc_u32 v34, s2, v28
	v_dual_cndmask_b32 v31, v31, v43 :: v_dual_cndmask_b32 v30, v30, v32
	v_lshl_add_u64 v[32:33], s[2:3], 3, v[36:37]
	s_delay_alu instid0(VALU_DEP_3) | instskip(NEXT) | instid1(VALU_DEP_4)
	v_lshl_add_u64 v[2:3], v[2:3], 3, v[0:1]
	v_add_nc_u32_e32 v40, s2, v34
	s_delay_alu instid0(VALU_DEP_1) | instskip(SKIP_1) | instid1(VALU_DEP_2)
	v_add_nc_u32_e32 v38, s2, v40
	v_ashrrev_i32_e32 v29, 31, v28
	v_dual_ashrrev_i32 v41, 31, v40 :: v_dual_add_nc_u32 v42, s2, v38
	s_delay_alu instid0(VALU_DEP_2)
	v_lshl_add_u64 v[28:29], v[28:29], 3, v[0:1]
	s_clause 0x3
	global_store_b64 v[36:37], v[26:27], off
	global_store_b64 v[32:33], v[8:9], off
	;; [unrolled: 1-line block ×4, first 2 shown]
	s_wait_xcnt 0x1
	v_lshl_add_u64 v[10:11], v[40:41], 3, v[0:1]
	v_add_nc_u32_e32 v44, s2, v42
	s_delay_alu instid0(VALU_DEP_1) | instskip(SKIP_1) | instid1(VALU_DEP_2)
	v_dual_ashrrev_i32 v39, 31, v38 :: v_dual_ashrrev_i32 v45, 31, v44
	v_add_nc_u32_e32 v2, s2, v44
	v_lshl_add_u64 v[26:27], v[38:39], 3, v[0:1]
	s_wait_xcnt 0x0
	s_delay_alu instid0(VALU_DEP_2) | instskip(NEXT) | instid1(VALU_DEP_1)
	v_dual_add_nc_u32 v6, s2, v2 :: v_dual_ashrrev_i32 v3, 31, v2
	v_dual_add_nc_u32 v32, s2, v6 :: v_dual_ashrrev_i32 v7, 31, v6
	v_ashrrev_i32_e32 v35, 31, v34
	v_ashrrev_i32_e32 v43, 31, v42
	s_delay_alu instid0(VALU_DEP_4) | instskip(NEXT) | instid1(VALU_DEP_4)
	v_lshl_add_u64 v[2:3], v[2:3], 3, v[0:1]
	v_ashrrev_i32_e32 v33, 31, v32
	v_lshl_add_u64 v[6:7], v[6:7], 3, v[0:1]
	v_lshl_add_u64 v[8:9], v[34:35], 3, v[0:1]
	;; [unrolled: 1-line block ×3, first 2 shown]
	s_clause 0x3
	global_store_b64 v[8:9], v[22:23], off
	global_store_b64 v[10:11], v[18:19], off
	;; [unrolled: 1-line block ×4, first 2 shown]
	s_wait_xcnt 0x3
	v_add_nc_u32_e32 v8, s2, v32
	s_wait_xcnt 0x2
	v_lshl_add_u64 v[10:11], v[44:45], 3, v[0:1]
	s_wait_xcnt 0x0
	v_lshl_add_u64 v[16:17], v[32:33], 3, v[0:1]
	v_ashrrev_i32_e32 v9, 31, v8
	s_delay_alu instid0(VALU_DEP_1)
	v_lshl_add_u64 v[0:1], v[8:9], 3, v[0:1]
	s_clause 0x4
	global_store_b64 v[10:11], v[4:5], off
	global_store_b64 v[2:3], v[24:25], off
	;; [unrolled: 1-line block ×5, first 2 shown]
.LBB24_274:
	s_sendmsg sendmsg(MSG_DEALLOC_VGPRS)
	s_endpgm
	.section	.rodata,"a",@progbits
	.p2align	6, 0x0
	.amdhsa_kernel _ZN9rocsolver6v33100L18getf2_small_kernelILi13E19rocblas_complex_numIfEiiPS3_EEvT1_T3_lS5_lPS5_llPT2_S5_S5_S7_l
		.amdhsa_group_segment_fixed_size 0
		.amdhsa_private_segment_fixed_size 0
		.amdhsa_kernarg_size 352
		.amdhsa_user_sgpr_count 2
		.amdhsa_user_sgpr_dispatch_ptr 0
		.amdhsa_user_sgpr_queue_ptr 0
		.amdhsa_user_sgpr_kernarg_segment_ptr 1
		.amdhsa_user_sgpr_dispatch_id 0
		.amdhsa_user_sgpr_kernarg_preload_length 0
		.amdhsa_user_sgpr_kernarg_preload_offset 0
		.amdhsa_user_sgpr_private_segment_size 0
		.amdhsa_wavefront_size32 1
		.amdhsa_uses_dynamic_stack 0
		.amdhsa_enable_private_segment 0
		.amdhsa_system_sgpr_workgroup_id_x 1
		.amdhsa_system_sgpr_workgroup_id_y 1
		.amdhsa_system_sgpr_workgroup_id_z 0
		.amdhsa_system_sgpr_workgroup_info 0
		.amdhsa_system_vgpr_workitem_id 1
		.amdhsa_next_free_vgpr 66
		.amdhsa_next_free_sgpr 20
		.amdhsa_named_barrier_count 0
		.amdhsa_reserve_vcc 1
		.amdhsa_float_round_mode_32 0
		.amdhsa_float_round_mode_16_64 0
		.amdhsa_float_denorm_mode_32 3
		.amdhsa_float_denorm_mode_16_64 3
		.amdhsa_fp16_overflow 0
		.amdhsa_memory_ordered 1
		.amdhsa_forward_progress 1
		.amdhsa_inst_pref_size 141
		.amdhsa_round_robin_scheduling 0
		.amdhsa_exception_fp_ieee_invalid_op 0
		.amdhsa_exception_fp_denorm_src 0
		.amdhsa_exception_fp_ieee_div_zero 0
		.amdhsa_exception_fp_ieee_overflow 0
		.amdhsa_exception_fp_ieee_underflow 0
		.amdhsa_exception_fp_ieee_inexact 0
		.amdhsa_exception_int_div_zero 0
	.end_amdhsa_kernel
	.section	.text._ZN9rocsolver6v33100L18getf2_small_kernelILi13E19rocblas_complex_numIfEiiPS3_EEvT1_T3_lS5_lPS5_llPT2_S5_S5_S7_l,"axG",@progbits,_ZN9rocsolver6v33100L18getf2_small_kernelILi13E19rocblas_complex_numIfEiiPS3_EEvT1_T3_lS5_lPS5_llPT2_S5_S5_S7_l,comdat
.Lfunc_end24:
	.size	_ZN9rocsolver6v33100L18getf2_small_kernelILi13E19rocblas_complex_numIfEiiPS3_EEvT1_T3_lS5_lPS5_llPT2_S5_S5_S7_l, .Lfunc_end24-_ZN9rocsolver6v33100L18getf2_small_kernelILi13E19rocblas_complex_numIfEiiPS3_EEvT1_T3_lS5_lPS5_llPT2_S5_S5_S7_l
                                        ; -- End function
	.set _ZN9rocsolver6v33100L18getf2_small_kernelILi13E19rocblas_complex_numIfEiiPS3_EEvT1_T3_lS5_lPS5_llPT2_S5_S5_S7_l.num_vgpr, 66
	.set _ZN9rocsolver6v33100L18getf2_small_kernelILi13E19rocblas_complex_numIfEiiPS3_EEvT1_T3_lS5_lPS5_llPT2_S5_S5_S7_l.num_agpr, 0
	.set _ZN9rocsolver6v33100L18getf2_small_kernelILi13E19rocblas_complex_numIfEiiPS3_EEvT1_T3_lS5_lPS5_llPT2_S5_S5_S7_l.numbered_sgpr, 20
	.set _ZN9rocsolver6v33100L18getf2_small_kernelILi13E19rocblas_complex_numIfEiiPS3_EEvT1_T3_lS5_lPS5_llPT2_S5_S5_S7_l.num_named_barrier, 0
	.set _ZN9rocsolver6v33100L18getf2_small_kernelILi13E19rocblas_complex_numIfEiiPS3_EEvT1_T3_lS5_lPS5_llPT2_S5_S5_S7_l.private_seg_size, 0
	.set _ZN9rocsolver6v33100L18getf2_small_kernelILi13E19rocblas_complex_numIfEiiPS3_EEvT1_T3_lS5_lPS5_llPT2_S5_S5_S7_l.uses_vcc, 1
	.set _ZN9rocsolver6v33100L18getf2_small_kernelILi13E19rocblas_complex_numIfEiiPS3_EEvT1_T3_lS5_lPS5_llPT2_S5_S5_S7_l.uses_flat_scratch, 0
	.set _ZN9rocsolver6v33100L18getf2_small_kernelILi13E19rocblas_complex_numIfEiiPS3_EEvT1_T3_lS5_lPS5_llPT2_S5_S5_S7_l.has_dyn_sized_stack, 0
	.set _ZN9rocsolver6v33100L18getf2_small_kernelILi13E19rocblas_complex_numIfEiiPS3_EEvT1_T3_lS5_lPS5_llPT2_S5_S5_S7_l.has_recursion, 0
	.set _ZN9rocsolver6v33100L18getf2_small_kernelILi13E19rocblas_complex_numIfEiiPS3_EEvT1_T3_lS5_lPS5_llPT2_S5_S5_S7_l.has_indirect_call, 0
	.section	.AMDGPU.csdata,"",@progbits
; Kernel info:
; codeLenInByte = 18048
; TotalNumSgprs: 22
; NumVgprs: 66
; ScratchSize: 0
; MemoryBound: 0
; FloatMode: 240
; IeeeMode: 1
; LDSByteSize: 0 bytes/workgroup (compile time only)
; SGPRBlocks: 0
; VGPRBlocks: 4
; NumSGPRsForWavesPerEU: 22
; NumVGPRsForWavesPerEU: 66
; NamedBarCnt: 0
; Occupancy: 12
; WaveLimiterHint : 0
; COMPUTE_PGM_RSRC2:SCRATCH_EN: 0
; COMPUTE_PGM_RSRC2:USER_SGPR: 2
; COMPUTE_PGM_RSRC2:TRAP_HANDLER: 0
; COMPUTE_PGM_RSRC2:TGID_X_EN: 1
; COMPUTE_PGM_RSRC2:TGID_Y_EN: 1
; COMPUTE_PGM_RSRC2:TGID_Z_EN: 0
; COMPUTE_PGM_RSRC2:TIDIG_COMP_CNT: 1
	.section	.text._ZN9rocsolver6v33100L23getf2_npvt_small_kernelILi13E19rocblas_complex_numIfEiiPS3_EEvT1_T3_lS5_lPT2_S5_S5_,"axG",@progbits,_ZN9rocsolver6v33100L23getf2_npvt_small_kernelILi13E19rocblas_complex_numIfEiiPS3_EEvT1_T3_lS5_lPT2_S5_S5_,comdat
	.globl	_ZN9rocsolver6v33100L23getf2_npvt_small_kernelILi13E19rocblas_complex_numIfEiiPS3_EEvT1_T3_lS5_lPT2_S5_S5_ ; -- Begin function _ZN9rocsolver6v33100L23getf2_npvt_small_kernelILi13E19rocblas_complex_numIfEiiPS3_EEvT1_T3_lS5_lPT2_S5_S5_
	.p2align	8
	.type	_ZN9rocsolver6v33100L23getf2_npvt_small_kernelILi13E19rocblas_complex_numIfEiiPS3_EEvT1_T3_lS5_lPT2_S5_S5_,@function
_ZN9rocsolver6v33100L23getf2_npvt_small_kernelILi13E19rocblas_complex_numIfEiiPS3_EEvT1_T3_lS5_lPT2_S5_S5_: ; @_ZN9rocsolver6v33100L23getf2_npvt_small_kernelILi13E19rocblas_complex_numIfEiiPS3_EEvT1_T3_lS5_lPT2_S5_S5_
; %bb.0:
	s_clause 0x1
	s_load_u16 s10, s[0:1], 0x46
	s_load_b64 s[2:3], s[0:1], 0x30
	s_bfe_u32 s4, ttmp6, 0x40010
	s_bfe_u32 s5, ttmp6, 0x40004
	s_add_co_i32 s4, s4, 1
	s_getreg_b32 s6, hwreg(HW_REG_IB_STS2, 6, 4)
	s_mul_i32 s4, ttmp7, s4
	v_bfe_u32 v54, v0, 10, 10
	s_add_co_i32 s5, s5, s4
	s_cmp_eq_u32 s6, 0
	s_cselect_b32 s4, ttmp7, s5
	s_wait_kmcnt 0x0
	v_mad_u32 v12, s4, s10, v54
	s_delay_alu instid0(VALU_DEP_1)
	v_cmp_gt_i32_e32 vcc_lo, s2, v12
	s_and_saveexec_b32 s2, vcc_lo
	s_cbranch_execz .LBB25_120
; %bb.1:
	s_clause 0x1
	s_load_b128 s[4:7], s[0:1], 0x20
	s_load_b32 s8, s[0:1], 0x18
	v_and_b32_e32 v80, 0x3ff, v0
	s_load_b128 s[12:15], s[0:1], 0x8
	v_lshlrev_b32_e32 v55, 3, v54
	s_mulk_i32 s10, 0x68
	v_mad_u32_u24 v82, 0x68, v54, 0
	s_wait_xcnt 0x0
	v_cmp_ne_u32_e64 s1, 0, v80
	v_cmp_eq_u32_e64 s0, 0, v80
	v_add3_u32 v81, 0, s10, v55
	v_mov_b32_e32 v7, 0
	s_wait_kmcnt 0x0
	v_add3_u32 v2, s8, s8, v80
	v_ashrrev_i32_e32 v13, 31, v12
	s_ashr_i32 s9, s8, 31
	s_delay_alu instid0(VALU_DEP_2) | instskip(NEXT) | instid1(VALU_DEP_2)
	v_add_nc_u32_e32 v4, s8, v2
	v_mul_u64_e32 v[0:1], s[4:5], v[12:13]
	s_delay_alu instid0(VALU_DEP_2) | instskip(NEXT) | instid1(VALU_DEP_1)
	v_dual_ashrrev_i32 v3, 31, v2 :: v_dual_add_nc_u32 v10, s8, v4
	v_add_nc_u32_e32 v16, s8, v10
	s_delay_alu instid0(VALU_DEP_1) | instskip(NEXT) | instid1(VALU_DEP_1)
	v_add_nc_u32_e32 v18, s8, v16
	v_dual_add_nc_u32 v20, s8, v18 :: v_dual_lshlrev_b32 v6, 3, v80
	v_ashrrev_i32_e32 v11, 31, v10
	s_delay_alu instid0(VALU_DEP_2) | instskip(SKIP_1) | instid1(VALU_DEP_2)
	v_dual_ashrrev_i32 v19, 31, v18 :: v_dual_add_nc_u32 v26, s8, v20
	v_ashrrev_i32_e32 v5, 31, v4
	v_dual_ashrrev_i32 v17, 31, v16 :: v_dual_ashrrev_i32 v27, 31, v26
	v_add_nc_u32_e32 v28, s8, v26
	v_lshl_add_u64 v[0:1], v[0:1], 3, s[12:13]
	s_delay_alu instid0(VALU_DEP_2) | instskip(NEXT) | instid1(VALU_DEP_2)
	v_dual_ashrrev_i32 v29, 31, v28 :: v_dual_add_nc_u32 v30, s8, v28
	v_lshl_add_u64 v[34:35], s[14:15], 3, v[0:1]
	s_delay_alu instid0(VALU_DEP_2) | instskip(SKIP_1) | instid1(VALU_DEP_3)
	v_dual_ashrrev_i32 v21, 31, v20 :: v_dual_ashrrev_i32 v31, 31, v30
	v_add_nc_u32_e32 v32, s8, v30
	v_add_nc_u64_e32 v[14:15], v[34:35], v[6:7]
	v_lshl_add_u64 v[10:11], v[10:11], 3, v[34:35]
	v_lshl_add_u64 v[26:27], v[26:27], 3, v[34:35]
	;; [unrolled: 1-line block ×3, first 2 shown]
	v_add_nc_u32_e32 v44, s8, v32
	v_lshl_add_u64 v[28:29], v[28:29], 3, v[34:35]
	v_lshl_add_u64 v[6:7], v[2:3], 3, v[34:35]
	;; [unrolled: 1-line block ×4, first 2 shown]
	v_ashrrev_i32_e32 v45, 31, v44
	v_ashrrev_i32_e32 v33, 31, v32
	v_lshl_add_u64 v[30:31], v[30:31], 3, v[34:35]
	v_lshl_add_u64 v[8:9], v[4:5], 3, v[34:35]
	;; [unrolled: 1-line block ×3, first 2 shown]
	s_clause 0x3
	global_load_b64 v[22:23], v[10:11], off
	global_load_b64 v[18:19], v[0:1], off
	;; [unrolled: 1-line block ×4, first 2 shown]
	v_lshl_add_u64 v[32:33], v[32:33], 3, v[34:35]
	v_lshl_add_u64 v[34:35], v[44:45], 3, v[34:35]
	s_clause 0x8
	global_load_b64 v[40:41], v[14:15], off
	global_load_b64 v[42:43], v[24:25], off
	;; [unrolled: 1-line block ×9, first 2 shown]
	s_wait_xcnt 0x0
	s_and_saveexec_b32 s4, s0
	s_cbranch_execz .LBB25_8
; %bb.2:
	s_wait_loadcnt 0x8
	ds_store_b64 v81, v[40:41]
	s_wait_loadcnt 0x6
	ds_store_2addr_b64 v82, v[42:43], v[38:39] offset0:1 offset1:2
	s_wait_loadcnt 0x5
	ds_store_2addr_b64 v82, v[36:37], v[22:23] offset0:3 offset1:4
	ds_store_2addr_b64 v82, v[18:19], v[20:21] offset0:5 offset1:6
	s_wait_loadcnt 0x4
	ds_store_2addr_b64 v82, v[16:17], v[44:45] offset0:7 offset1:8
	s_wait_loadcnt 0x2
	;; [unrolled: 2-line block ×3, first 2 shown]
	ds_store_2addr_b64 v82, v[46:47], v[48:49] offset0:11 offset1:12
	ds_load_b64 v[54:55], v81
	s_wait_dscnt 0x0
	v_cmp_neq_f32_e32 vcc_lo, 0, v54
	v_cmp_neq_f32_e64 s2, 0, v55
	s_or_b32 s2, vcc_lo, s2
	s_delay_alu instid0(SALU_CYCLE_1)
	s_and_b32 exec_lo, exec_lo, s2
	s_cbranch_execz .LBB25_8
; %bb.3:
	v_cmp_ngt_f32_e64 s2, |v54|, |v55|
                                        ; implicit-def: $vgpr56_vgpr57
	s_and_saveexec_b32 s5, s2
	s_delay_alu instid0(SALU_CYCLE_1)
	s_xor_b32 s2, exec_lo, s5
	s_cbranch_execz .LBB25_5
; %bb.4:
	v_div_scale_f32 v56, null, v55, v55, v54
	v_div_scale_f32 v59, vcc_lo, v54, v55, v54
	s_delay_alu instid0(VALU_DEP_2) | instskip(SKIP_1) | instid1(TRANS32_DEP_1)
	v_rcp_f32_e32 v57, v56
	v_nop
	v_fma_f32 v58, -v56, v57, 1.0
	s_delay_alu instid0(VALU_DEP_1) | instskip(NEXT) | instid1(VALU_DEP_1)
	v_fmac_f32_e32 v57, v58, v57
	v_mul_f32_e32 v58, v59, v57
	s_delay_alu instid0(VALU_DEP_1) | instskip(NEXT) | instid1(VALU_DEP_1)
	v_fma_f32 v60, -v56, v58, v59
	v_fmac_f32_e32 v58, v60, v57
	s_delay_alu instid0(VALU_DEP_1) | instskip(NEXT) | instid1(VALU_DEP_1)
	v_fma_f32 v56, -v56, v58, v59
	v_div_fmas_f32 v56, v56, v57, v58
	s_delay_alu instid0(VALU_DEP_1) | instskip(NEXT) | instid1(VALU_DEP_1)
	v_div_fixup_f32 v56, v56, v55, v54
	v_fmac_f32_e32 v55, v54, v56
	s_delay_alu instid0(VALU_DEP_1) | instskip(SKIP_1) | instid1(VALU_DEP_2)
	v_div_scale_f32 v54, null, v55, v55, 1.0
	v_div_scale_f32 v59, vcc_lo, 1.0, v55, 1.0
	v_rcp_f32_e32 v57, v54
	v_nop
	s_delay_alu instid0(TRANS32_DEP_1) | instskip(NEXT) | instid1(VALU_DEP_1)
	v_fma_f32 v58, -v54, v57, 1.0
	v_fmac_f32_e32 v57, v58, v57
	s_delay_alu instid0(VALU_DEP_1) | instskip(NEXT) | instid1(VALU_DEP_1)
	v_mul_f32_e32 v58, v59, v57
	v_fma_f32 v60, -v54, v58, v59
	s_delay_alu instid0(VALU_DEP_1) | instskip(NEXT) | instid1(VALU_DEP_1)
	v_fmac_f32_e32 v58, v60, v57
	v_fma_f32 v54, -v54, v58, v59
	s_delay_alu instid0(VALU_DEP_1) | instskip(NEXT) | instid1(VALU_DEP_1)
	v_div_fmas_f32 v54, v54, v57, v58
	v_div_fixup_f32 v54, v54, v55, 1.0
	s_delay_alu instid0(VALU_DEP_1)
	v_mul_f32_e32 v56, v56, v54
	v_xor_b32_e32 v57, 0x80000000, v54
                                        ; implicit-def: $vgpr54_vgpr55
.LBB25_5:
	s_and_not1_saveexec_b32 s2, s2
	s_cbranch_execz .LBB25_7
; %bb.6:
	v_div_scale_f32 v56, null, v54, v54, v55
	v_div_scale_f32 v59, vcc_lo, v55, v54, v55
	s_delay_alu instid0(VALU_DEP_2) | instskip(SKIP_1) | instid1(TRANS32_DEP_1)
	v_rcp_f32_e32 v57, v56
	v_nop
	v_fma_f32 v58, -v56, v57, 1.0
	s_delay_alu instid0(VALU_DEP_1) | instskip(NEXT) | instid1(VALU_DEP_1)
	v_fmac_f32_e32 v57, v58, v57
	v_mul_f32_e32 v58, v59, v57
	s_delay_alu instid0(VALU_DEP_1) | instskip(NEXT) | instid1(VALU_DEP_1)
	v_fma_f32 v60, -v56, v58, v59
	v_fmac_f32_e32 v58, v60, v57
	s_delay_alu instid0(VALU_DEP_1) | instskip(NEXT) | instid1(VALU_DEP_1)
	v_fma_f32 v56, -v56, v58, v59
	v_div_fmas_f32 v56, v56, v57, v58
	s_delay_alu instid0(VALU_DEP_1) | instskip(NEXT) | instid1(VALU_DEP_1)
	v_div_fixup_f32 v57, v56, v54, v55
	v_fmac_f32_e32 v54, v55, v57
	s_delay_alu instid0(VALU_DEP_1) | instskip(NEXT) | instid1(VALU_DEP_1)
	v_div_scale_f32 v55, null, v54, v54, 1.0
	v_rcp_f32_e32 v56, v55
	v_nop
	s_delay_alu instid0(TRANS32_DEP_1) | instskip(NEXT) | instid1(VALU_DEP_1)
	v_fma_f32 v58, -v55, v56, 1.0
	v_fmac_f32_e32 v56, v58, v56
	v_div_scale_f32 v58, vcc_lo, 1.0, v54, 1.0
	s_delay_alu instid0(VALU_DEP_1) | instskip(NEXT) | instid1(VALU_DEP_1)
	v_mul_f32_e32 v59, v58, v56
	v_fma_f32 v60, -v55, v59, v58
	s_delay_alu instid0(VALU_DEP_1) | instskip(NEXT) | instid1(VALU_DEP_1)
	v_fmac_f32_e32 v59, v60, v56
	v_fma_f32 v55, -v55, v59, v58
	s_delay_alu instid0(VALU_DEP_1) | instskip(NEXT) | instid1(VALU_DEP_1)
	v_div_fmas_f32 v55, v55, v56, v59
	v_div_fixup_f32 v56, v55, v54, 1.0
	s_delay_alu instid0(VALU_DEP_1)
	v_mul_f32_e64 v57, v57, -v56
.LBB25_7:
	s_or_b32 exec_lo, exec_lo, s2
	ds_store_b64 v81, v[56:57]
.LBB25_8:
	s_or_b32 exec_lo, exec_lo, s4
	s_wait_loadcnt_dscnt 0x0
	s_barrier_signal -1
	s_barrier_wait -1
	ds_load_b64 v[54:55], v81
	s_and_saveexec_b32 s2, s1
	s_cbranch_execz .LBB25_10
; %bb.9:
	ds_load_2addr_b64 v[60:63], v82 offset0:1 offset1:2
	s_wait_dscnt 0x1
	v_pk_mul_f32 v[58:59], v[54:55], v[40:41] op_sel:[1,1] op_sel_hi:[0,1]
	s_delay_alu instid0(VALU_DEP_1) | instskip(SKIP_1) | instid1(VALU_DEP_1)
	v_pk_fma_f32 v[56:57], v[54:55], v[40:41], v[58:59] op_sel_hi:[1,0,1] neg_lo:[0,0,1] neg_hi:[0,0,1]
	v_pk_fma_f32 v[58:59], v[54:55], v[40:41], v[58:59] op_sel_hi:[1,0,1]
	v_dual_mov_b32 v40, v56 :: v_dual_mov_b32 v41, v59
	s_wait_dscnt 0x0
	s_delay_alu instid0(VALU_DEP_2) | instskip(NEXT) | instid1(VALU_DEP_1)
	v_pk_mul_f32 v[64:65], v[60:61], v[58:59] op_sel:[0,1]
	v_pk_fma_f32 v[66:67], v[60:61], v[56:57], v[64:65] op_sel:[0,0,1] op_sel_hi:[1,1,0] neg_lo:[0,0,1] neg_hi:[0,0,1]
	v_pk_fma_f32 v[60:61], v[60:61], v[56:57], v[64:65] op_sel:[0,0,1] op_sel_hi:[1,0,0]
	s_delay_alu instid0(VALU_DEP_1) | instskip(SKIP_1) | instid1(VALU_DEP_1)
	v_mov_b32_e32 v67, v61
	v_pk_mul_f32 v[60:61], v[62:63], v[58:59] op_sel:[0,1]
	v_pk_fma_f32 v[64:65], v[62:63], v[56:57], v[60:61] op_sel:[0,0,1] op_sel_hi:[1,1,0] neg_lo:[0,0,1] neg_hi:[0,0,1]
	v_pk_fma_f32 v[60:61], v[62:63], v[56:57], v[60:61] op_sel:[0,0,1] op_sel_hi:[1,0,0]
	s_delay_alu instid0(VALU_DEP_1)
	v_mov_b32_e32 v65, v61
	ds_load_2addr_b64 v[60:63], v82 offset0:3 offset1:4
	v_pk_add_f32 v[42:43], v[42:43], v[66:67] neg_lo:[0,1] neg_hi:[0,1]
	v_pk_add_f32 v[38:39], v[38:39], v[64:65] neg_lo:[0,1] neg_hi:[0,1]
	s_wait_dscnt 0x0
	v_pk_mul_f32 v[64:65], v[60:61], v[58:59] op_sel:[0,1]
	s_delay_alu instid0(VALU_DEP_1) | instskip(SKIP_2) | instid1(VALU_DEP_2)
	v_pk_fma_f32 v[66:67], v[60:61], v[56:57], v[64:65] op_sel:[0,0,1] op_sel_hi:[1,1,0] neg_lo:[0,0,1] neg_hi:[0,0,1]
	v_pk_fma_f32 v[60:61], v[60:61], v[56:57], v[64:65] op_sel:[0,0,1] op_sel_hi:[1,0,0]
	v_dual_mul_f32 v64, v63, v59 :: v_dual_mov_b32 v60, v63
	v_dual_mov_b32 v67, v61 :: v_dual_mov_b32 v61, v62
	s_delay_alu instid0(VALU_DEP_2) | instskip(SKIP_1) | instid1(VALU_DEP_3)
	v_pk_fma_f32 v[64:65], v[62:63], v[40:41], v[64:65] op_sel_hi:[1,1,0] neg_lo:[0,0,1] neg_hi:[0,0,1]
	v_mul_f32_e32 v62, v63, v56
	v_pk_add_f32 v[36:37], v[36:37], v[66:67] neg_lo:[0,1] neg_hi:[0,1]
	s_delay_alu instid0(VALU_DEP_2) | instskip(NEXT) | instid1(VALU_DEP_1)
	v_pk_fma_f32 v[60:61], v[60:61], v[40:41], v[62:63] op_sel_hi:[1,1,0]
	v_mov_b32_e32 v65, v61
	ds_load_2addr_b64 v[60:63], v82 offset0:5 offset1:6
	v_pk_add_f32 v[22:23], v[22:23], v[64:65] neg_lo:[0,1] neg_hi:[0,1]
	s_wait_dscnt 0x0
	v_pk_mul_f32 v[64:65], v[60:61], v[58:59] op_sel:[0,1]
	s_delay_alu instid0(VALU_DEP_1) | instskip(SKIP_1) | instid1(VALU_DEP_1)
	v_pk_fma_f32 v[66:67], v[60:61], v[56:57], v[64:65] op_sel:[0,0,1] op_sel_hi:[1,1,0] neg_lo:[0,0,1] neg_hi:[0,0,1]
	v_pk_fma_f32 v[60:61], v[60:61], v[56:57], v[64:65] op_sel:[0,0,1] op_sel_hi:[1,0,0]
	v_mov_b32_e32 v67, v61
	v_pk_mul_f32 v[60:61], v[62:63], v[58:59] op_sel:[0,1]
	s_delay_alu instid0(VALU_DEP_1) | instskip(SKIP_1) | instid1(VALU_DEP_1)
	v_pk_fma_f32 v[64:65], v[62:63], v[56:57], v[60:61] op_sel:[0,0,1] op_sel_hi:[1,1,0] neg_lo:[0,0,1] neg_hi:[0,0,1]
	v_pk_fma_f32 v[60:61], v[62:63], v[56:57], v[60:61] op_sel:[0,0,1] op_sel_hi:[1,0,0]
	v_mov_b32_e32 v65, v61
	ds_load_2addr_b64 v[60:63], v82 offset0:7 offset1:8
	v_pk_add_f32 v[18:19], v[18:19], v[66:67] neg_lo:[0,1] neg_hi:[0,1]
	v_pk_add_f32 v[20:21], v[20:21], v[64:65] neg_lo:[0,1] neg_hi:[0,1]
	s_wait_dscnt 0x0
	v_pk_mul_f32 v[64:65], v[60:61], v[58:59] op_sel:[0,1]
	s_delay_alu instid0(VALU_DEP_1) | instskip(SKIP_1) | instid1(VALU_DEP_1)
	v_pk_fma_f32 v[66:67], v[60:61], v[56:57], v[64:65] op_sel:[0,0,1] op_sel_hi:[1,1,0] neg_lo:[0,0,1] neg_hi:[0,0,1]
	v_pk_fma_f32 v[60:61], v[60:61], v[56:57], v[64:65] op_sel:[0,0,1] op_sel_hi:[1,0,0]
	v_mov_b32_e32 v67, v61
	v_pk_mul_f32 v[60:61], v[62:63], v[58:59] op_sel:[0,1]
	s_delay_alu instid0(VALU_DEP_1) | instskip(SKIP_1) | instid1(VALU_DEP_1)
	v_pk_fma_f32 v[64:65], v[62:63], v[56:57], v[60:61] op_sel:[0,0,1] op_sel_hi:[1,1,0] neg_lo:[0,0,1] neg_hi:[0,0,1]
	v_pk_fma_f32 v[60:61], v[62:63], v[56:57], v[60:61] op_sel:[0,0,1] op_sel_hi:[1,0,0]
	v_mov_b32_e32 v65, v61
	ds_load_2addr_b64 v[60:63], v82 offset0:9 offset1:10
	v_pk_add_f32 v[16:17], v[16:17], v[66:67] neg_lo:[0,1] neg_hi:[0,1]
	v_pk_add_f32 v[44:45], v[44:45], v[64:65] neg_lo:[0,1] neg_hi:[0,1]
	s_wait_dscnt 0x0
	v_dual_mul_f32 v64, v61, v59 :: v_dual_mul_f32 v66, v61, v56
	s_delay_alu instid0(VALU_DEP_1) | instskip(NEXT) | instid1(VALU_DEP_2)
	v_pk_fma_f32 v[64:65], v[60:61], v[40:41], v[64:65] op_sel_hi:[1,1,0] neg_lo:[0,0,1] neg_hi:[0,0,1]
	v_pk_fma_f32 v[60:61], v[60:61], v[40:41], v[66:67] op_sel:[1,0,0] op_sel_hi:[0,1,0]
	s_delay_alu instid0(VALU_DEP_1) | instskip(SKIP_1) | instid1(VALU_DEP_2)
	v_mov_b32_e32 v65, v61
	v_pk_mul_f32 v[60:61], v[62:63], v[58:59] op_sel:[0,1]
	v_pk_add_f32 v[52:53], v[52:53], v[64:65] neg_lo:[0,1] neg_hi:[0,1]
	s_delay_alu instid0(VALU_DEP_2) | instskip(SKIP_1) | instid1(VALU_DEP_1)
	v_pk_fma_f32 v[64:65], v[62:63], v[56:57], v[60:61] op_sel:[0,0,1] op_sel_hi:[1,1,0] neg_lo:[0,0,1] neg_hi:[0,0,1]
	v_pk_fma_f32 v[60:61], v[62:63], v[56:57], v[60:61] op_sel:[0,0,1] op_sel_hi:[1,0,0]
	v_mov_b32_e32 v65, v61
	ds_load_2addr_b64 v[60:63], v82 offset0:11 offset1:12
	v_pk_add_f32 v[50:51], v[50:51], v[64:65] neg_lo:[0,1] neg_hi:[0,1]
	s_wait_dscnt 0x0
	v_pk_mul_f32 v[64:65], v[60:61], v[58:59] op_sel:[0,1]
	v_mul_f32_e32 v58, v63, v59
	s_delay_alu instid0(VALU_DEP_2) | instskip(SKIP_2) | instid1(VALU_DEP_4)
	v_pk_fma_f32 v[66:67], v[60:61], v[56:57], v[64:65] op_sel:[0,0,1] op_sel_hi:[1,1,0] neg_lo:[0,0,1] neg_hi:[0,0,1]
	v_pk_fma_f32 v[60:61], v[60:61], v[56:57], v[64:65] op_sel:[0,0,1] op_sel_hi:[1,0,0]
	v_dual_mov_b32 v60, v63 :: v_dual_mul_f32 v56, v63, v56
	v_pk_fma_f32 v[58:59], v[62:63], v[40:41], v[58:59] op_sel_hi:[1,1,0] neg_lo:[0,0,1] neg_hi:[0,0,1]
	s_delay_alu instid0(VALU_DEP_3) | instskip(NEXT) | instid1(VALU_DEP_1)
	v_dual_mov_b32 v67, v61 :: v_dual_mov_b32 v61, v62
	v_pk_add_f32 v[46:47], v[46:47], v[66:67] neg_lo:[0,1] neg_hi:[0,1]
	s_delay_alu instid0(VALU_DEP_2) | instskip(NEXT) | instid1(VALU_DEP_1)
	v_pk_fma_f32 v[56:57], v[60:61], v[40:41], v[56:57] op_sel_hi:[1,1,0]
	v_mov_b32_e32 v59, v57
	s_delay_alu instid0(VALU_DEP_1)
	v_pk_add_f32 v[48:49], v[48:49], v[58:59] neg_lo:[0,1] neg_hi:[0,1]
.LBB25_10:
	s_or_b32 exec_lo, exec_lo, s2
	s_delay_alu instid0(SALU_CYCLE_1)
	s_mov_b32 s2, exec_lo
	s_wait_dscnt 0x0
	s_barrier_signal -1
	s_barrier_wait -1
	v_cmpx_eq_u32_e32 1, v80
	s_cbranch_execz .LBB25_17
; %bb.11:
	v_dual_mov_b32 v56, v38 :: v_dual_mov_b32 v57, v39
	v_dual_mov_b32 v58, v36 :: v_dual_mov_b32 v59, v37
	;; [unrolled: 1-line block ×10, first 2 shown]
	ds_store_b64 v81, v[42:43]
	ds_store_2addr_b64 v82, v[56:57], v[58:59] offset0:2 offset1:3
	ds_store_2addr_b64 v82, v[60:61], v[62:63] offset0:4 offset1:5
	;; [unrolled: 1-line block ×5, first 2 shown]
	ds_store_b64 v82, v[48:49] offset:96
	ds_load_b64 v[56:57], v81
	s_wait_dscnt 0x0
	v_cmp_neq_f32_e32 vcc_lo, 0, v56
	v_cmp_neq_f32_e64 s1, 0, v57
	s_or_b32 s1, vcc_lo, s1
	s_delay_alu instid0(SALU_CYCLE_1)
	s_and_b32 exec_lo, exec_lo, s1
	s_cbranch_execz .LBB25_17
; %bb.12:
	v_cmp_ngt_f32_e64 s1, |v56|, |v57|
                                        ; implicit-def: $vgpr58_vgpr59
	s_and_saveexec_b32 s4, s1
	s_delay_alu instid0(SALU_CYCLE_1)
	s_xor_b32 s1, exec_lo, s4
	s_cbranch_execz .LBB25_14
; %bb.13:
	v_div_scale_f32 v58, null, v57, v57, v56
	v_div_scale_f32 v61, vcc_lo, v56, v57, v56
	s_delay_alu instid0(VALU_DEP_2) | instskip(SKIP_1) | instid1(TRANS32_DEP_1)
	v_rcp_f32_e32 v59, v58
	v_nop
	v_fma_f32 v60, -v58, v59, 1.0
	s_delay_alu instid0(VALU_DEP_1) | instskip(NEXT) | instid1(VALU_DEP_1)
	v_fmac_f32_e32 v59, v60, v59
	v_mul_f32_e32 v60, v61, v59
	s_delay_alu instid0(VALU_DEP_1) | instskip(NEXT) | instid1(VALU_DEP_1)
	v_fma_f32 v62, -v58, v60, v61
	v_fmac_f32_e32 v60, v62, v59
	s_delay_alu instid0(VALU_DEP_1) | instskip(NEXT) | instid1(VALU_DEP_1)
	v_fma_f32 v58, -v58, v60, v61
	v_div_fmas_f32 v58, v58, v59, v60
	s_delay_alu instid0(VALU_DEP_1) | instskip(NEXT) | instid1(VALU_DEP_1)
	v_div_fixup_f32 v58, v58, v57, v56
	v_fmac_f32_e32 v57, v56, v58
	s_delay_alu instid0(VALU_DEP_1) | instskip(SKIP_1) | instid1(VALU_DEP_2)
	v_div_scale_f32 v56, null, v57, v57, 1.0
	v_div_scale_f32 v61, vcc_lo, 1.0, v57, 1.0
	v_rcp_f32_e32 v59, v56
	v_nop
	s_delay_alu instid0(TRANS32_DEP_1) | instskip(NEXT) | instid1(VALU_DEP_1)
	v_fma_f32 v60, -v56, v59, 1.0
	v_fmac_f32_e32 v59, v60, v59
	s_delay_alu instid0(VALU_DEP_1) | instskip(NEXT) | instid1(VALU_DEP_1)
	v_mul_f32_e32 v60, v61, v59
	v_fma_f32 v62, -v56, v60, v61
	s_delay_alu instid0(VALU_DEP_1) | instskip(NEXT) | instid1(VALU_DEP_1)
	v_fmac_f32_e32 v60, v62, v59
	v_fma_f32 v56, -v56, v60, v61
	s_delay_alu instid0(VALU_DEP_1) | instskip(NEXT) | instid1(VALU_DEP_1)
	v_div_fmas_f32 v56, v56, v59, v60
	v_div_fixup_f32 v56, v56, v57, 1.0
	s_delay_alu instid0(VALU_DEP_1)
	v_mul_f32_e32 v58, v58, v56
	v_xor_b32_e32 v59, 0x80000000, v56
                                        ; implicit-def: $vgpr56_vgpr57
.LBB25_14:
	s_and_not1_saveexec_b32 s1, s1
	s_cbranch_execz .LBB25_16
; %bb.15:
	v_div_scale_f32 v58, null, v56, v56, v57
	v_div_scale_f32 v61, vcc_lo, v57, v56, v57
	s_delay_alu instid0(VALU_DEP_2) | instskip(SKIP_1) | instid1(TRANS32_DEP_1)
	v_rcp_f32_e32 v59, v58
	v_nop
	v_fma_f32 v60, -v58, v59, 1.0
	s_delay_alu instid0(VALU_DEP_1) | instskip(NEXT) | instid1(VALU_DEP_1)
	v_fmac_f32_e32 v59, v60, v59
	v_mul_f32_e32 v60, v61, v59
	s_delay_alu instid0(VALU_DEP_1) | instskip(NEXT) | instid1(VALU_DEP_1)
	v_fma_f32 v62, -v58, v60, v61
	v_fmac_f32_e32 v60, v62, v59
	s_delay_alu instid0(VALU_DEP_1) | instskip(NEXT) | instid1(VALU_DEP_1)
	v_fma_f32 v58, -v58, v60, v61
	v_div_fmas_f32 v58, v58, v59, v60
	s_delay_alu instid0(VALU_DEP_1) | instskip(NEXT) | instid1(VALU_DEP_1)
	v_div_fixup_f32 v59, v58, v56, v57
	v_fmac_f32_e32 v56, v57, v59
	s_delay_alu instid0(VALU_DEP_1) | instskip(NEXT) | instid1(VALU_DEP_1)
	v_div_scale_f32 v57, null, v56, v56, 1.0
	v_rcp_f32_e32 v58, v57
	v_nop
	s_delay_alu instid0(TRANS32_DEP_1) | instskip(NEXT) | instid1(VALU_DEP_1)
	v_fma_f32 v60, -v57, v58, 1.0
	v_fmac_f32_e32 v58, v60, v58
	v_div_scale_f32 v60, vcc_lo, 1.0, v56, 1.0
	s_delay_alu instid0(VALU_DEP_1) | instskip(NEXT) | instid1(VALU_DEP_1)
	v_mul_f32_e32 v61, v60, v58
	v_fma_f32 v62, -v57, v61, v60
	s_delay_alu instid0(VALU_DEP_1) | instskip(NEXT) | instid1(VALU_DEP_1)
	v_fmac_f32_e32 v61, v62, v58
	v_fma_f32 v57, -v57, v61, v60
	s_delay_alu instid0(VALU_DEP_1) | instskip(NEXT) | instid1(VALU_DEP_1)
	v_div_fmas_f32 v57, v57, v58, v61
	v_div_fixup_f32 v58, v57, v56, 1.0
	s_delay_alu instid0(VALU_DEP_1)
	v_mul_f32_e64 v59, v59, -v58
.LBB25_16:
	s_or_b32 exec_lo, exec_lo, s1
	ds_store_b64 v81, v[58:59]
.LBB25_17:
	s_or_b32 exec_lo, exec_lo, s2
	s_wait_dscnt 0x0
	s_barrier_signal -1
	s_barrier_wait -1
	ds_load_b64 v[56:57], v81
	s_mov_b32 s1, exec_lo
	v_cmpx_lt_u32_e32 1, v80
	s_cbranch_execz .LBB25_19
; %bb.18:
	s_wait_dscnt 0x0
	v_pk_mul_f32 v[58:59], v[56:57], v[42:43] op_sel:[1,1] op_sel_hi:[0,1]
	s_delay_alu instid0(VALU_DEP_1)
	v_pk_fma_f32 v[62:63], v[56:57], v[42:43], v[58:59] op_sel_hi:[1,0,1] neg_lo:[0,0,1] neg_hi:[0,0,1]
	v_pk_fma_f32 v[64:65], v[56:57], v[42:43], v[58:59] op_sel_hi:[1,0,1]
	ds_load_2addr_b64 v[58:61], v82 offset0:2 offset1:3
	v_dual_mov_b32 v42, v62 :: v_dual_mov_b32 v43, v65
	s_wait_dscnt 0x0
	v_pk_mul_f32 v[66:67], v[58:59], v[64:65] op_sel:[0,1]
	s_delay_alu instid0(VALU_DEP_1) | instskip(SKIP_1) | instid1(VALU_DEP_1)
	v_pk_fma_f32 v[68:69], v[58:59], v[62:63], v[66:67] op_sel:[0,0,1] op_sel_hi:[1,1,0] neg_lo:[0,0,1] neg_hi:[0,0,1]
	v_pk_fma_f32 v[58:59], v[58:59], v[62:63], v[66:67] op_sel:[0,0,1] op_sel_hi:[1,0,0]
	v_mov_b32_e32 v69, v59
	v_pk_mul_f32 v[58:59], v[60:61], v[64:65] op_sel:[0,1]
	s_delay_alu instid0(VALU_DEP_1) | instskip(SKIP_1) | instid1(VALU_DEP_1)
	v_pk_fma_f32 v[66:67], v[60:61], v[62:63], v[58:59] op_sel:[0,0,1] op_sel_hi:[1,1,0] neg_lo:[0,0,1] neg_hi:[0,0,1]
	v_pk_fma_f32 v[58:59], v[60:61], v[62:63], v[58:59] op_sel:[0,0,1] op_sel_hi:[1,0,0]
	v_mov_b32_e32 v67, v59
	ds_load_2addr_b64 v[58:61], v82 offset0:4 offset1:5
	v_pk_add_f32 v[38:39], v[38:39], v[68:69] neg_lo:[0,1] neg_hi:[0,1]
	v_pk_add_f32 v[36:37], v[36:37], v[66:67] neg_lo:[0,1] neg_hi:[0,1]
	s_wait_dscnt 0x0
	v_pk_mul_f32 v[66:67], v[58:59], v[64:65] op_sel:[0,1]
	s_delay_alu instid0(VALU_DEP_1) | instskip(SKIP_2) | instid1(VALU_DEP_2)
	v_pk_fma_f32 v[68:69], v[58:59], v[62:63], v[66:67] op_sel:[0,0,1] op_sel_hi:[1,1,0] neg_lo:[0,0,1] neg_hi:[0,0,1]
	v_pk_fma_f32 v[58:59], v[58:59], v[62:63], v[66:67] op_sel:[0,0,1] op_sel_hi:[1,0,0]
	v_dual_mul_f32 v66, v61, v65 :: v_dual_mov_b32 v58, v61
	v_dual_mov_b32 v69, v59 :: v_dual_mov_b32 v59, v60
	s_delay_alu instid0(VALU_DEP_2) | instskip(SKIP_1) | instid1(VALU_DEP_3)
	v_pk_fma_f32 v[66:67], v[60:61], v[42:43], v[66:67] op_sel_hi:[1,1,0] neg_lo:[0,0,1] neg_hi:[0,0,1]
	v_mul_f32_e32 v60, v61, v62
	v_pk_add_f32 v[22:23], v[22:23], v[68:69] neg_lo:[0,1] neg_hi:[0,1]
	s_delay_alu instid0(VALU_DEP_2) | instskip(NEXT) | instid1(VALU_DEP_1)
	v_pk_fma_f32 v[58:59], v[58:59], v[42:43], v[60:61] op_sel_hi:[1,1,0]
	v_mov_b32_e32 v67, v59
	ds_load_2addr_b64 v[58:61], v82 offset0:6 offset1:7
	v_pk_add_f32 v[18:19], v[18:19], v[66:67] neg_lo:[0,1] neg_hi:[0,1]
	s_wait_dscnt 0x0
	v_pk_mul_f32 v[66:67], v[58:59], v[64:65] op_sel:[0,1]
	s_delay_alu instid0(VALU_DEP_1) | instskip(SKIP_1) | instid1(VALU_DEP_1)
	v_pk_fma_f32 v[68:69], v[58:59], v[62:63], v[66:67] op_sel:[0,0,1] op_sel_hi:[1,1,0] neg_lo:[0,0,1] neg_hi:[0,0,1]
	v_pk_fma_f32 v[58:59], v[58:59], v[62:63], v[66:67] op_sel:[0,0,1] op_sel_hi:[1,0,0]
	v_mov_b32_e32 v69, v59
	v_pk_mul_f32 v[58:59], v[60:61], v[64:65] op_sel:[0,1]
	s_delay_alu instid0(VALU_DEP_1) | instskip(SKIP_1) | instid1(VALU_DEP_1)
	v_pk_fma_f32 v[66:67], v[60:61], v[62:63], v[58:59] op_sel:[0,0,1] op_sel_hi:[1,1,0] neg_lo:[0,0,1] neg_hi:[0,0,1]
	v_pk_fma_f32 v[58:59], v[60:61], v[62:63], v[58:59] op_sel:[0,0,1] op_sel_hi:[1,0,0]
	v_mov_b32_e32 v67, v59
	ds_load_2addr_b64 v[58:61], v82 offset0:8 offset1:9
	v_pk_add_f32 v[20:21], v[20:21], v[68:69] neg_lo:[0,1] neg_hi:[0,1]
	v_pk_add_f32 v[16:17], v[16:17], v[66:67] neg_lo:[0,1] neg_hi:[0,1]
	s_wait_dscnt 0x0
	v_pk_mul_f32 v[66:67], v[58:59], v[64:65] op_sel:[0,1]
	s_delay_alu instid0(VALU_DEP_1) | instskip(SKIP_1) | instid1(VALU_DEP_1)
	v_pk_fma_f32 v[68:69], v[58:59], v[62:63], v[66:67] op_sel:[0,0,1] op_sel_hi:[1,1,0] neg_lo:[0,0,1] neg_hi:[0,0,1]
	v_pk_fma_f32 v[58:59], v[58:59], v[62:63], v[66:67] op_sel:[0,0,1] op_sel_hi:[1,0,0]
	v_mov_b32_e32 v69, v59
	v_pk_mul_f32 v[58:59], v[60:61], v[64:65] op_sel:[0,1]
	s_delay_alu instid0(VALU_DEP_1) | instskip(SKIP_1) | instid1(VALU_DEP_1)
	v_pk_fma_f32 v[66:67], v[60:61], v[62:63], v[58:59] op_sel:[0,0,1] op_sel_hi:[1,1,0] neg_lo:[0,0,1] neg_hi:[0,0,1]
	v_pk_fma_f32 v[58:59], v[60:61], v[62:63], v[58:59] op_sel:[0,0,1] op_sel_hi:[1,0,0]
	v_mov_b32_e32 v67, v59
	ds_load_2addr_b64 v[58:61], v82 offset0:10 offset1:11
	v_pk_add_f32 v[44:45], v[44:45], v[68:69] neg_lo:[0,1] neg_hi:[0,1]
	v_pk_add_f32 v[52:53], v[52:53], v[66:67] neg_lo:[0,1] neg_hi:[0,1]
	s_wait_dscnt 0x0
	v_dual_mul_f32 v66, v59, v65 :: v_dual_mul_f32 v68, v59, v62
	s_delay_alu instid0(VALU_DEP_1) | instskip(NEXT) | instid1(VALU_DEP_2)
	v_pk_fma_f32 v[66:67], v[58:59], v[42:43], v[66:67] op_sel_hi:[1,1,0] neg_lo:[0,0,1] neg_hi:[0,0,1]
	v_pk_fma_f32 v[58:59], v[58:59], v[42:43], v[68:69] op_sel:[1,0,0] op_sel_hi:[0,1,0]
	s_delay_alu instid0(VALU_DEP_1) | instskip(SKIP_1) | instid1(VALU_DEP_2)
	v_mov_b32_e32 v67, v59
	v_pk_mul_f32 v[58:59], v[60:61], v[64:65] op_sel:[0,1]
	v_pk_add_f32 v[50:51], v[50:51], v[66:67] neg_lo:[0,1] neg_hi:[0,1]
	s_delay_alu instid0(VALU_DEP_2) | instskip(SKIP_1) | instid1(VALU_DEP_1)
	v_pk_fma_f32 v[66:67], v[60:61], v[62:63], v[58:59] op_sel:[0,0,1] op_sel_hi:[1,1,0] neg_lo:[0,0,1] neg_hi:[0,0,1]
	v_pk_fma_f32 v[58:59], v[60:61], v[62:63], v[58:59] op_sel:[0,0,1] op_sel_hi:[1,0,0]
	v_mov_b32_e32 v67, v59
	ds_load_b64 v[58:59], v82 offset:96
	v_pk_add_f32 v[46:47], v[46:47], v[66:67] neg_lo:[0,1] neg_hi:[0,1]
	s_wait_dscnt 0x0
	v_pk_mul_f32 v[60:61], v[58:59], v[64:65] op_sel:[0,1]
	s_delay_alu instid0(VALU_DEP_1) | instskip(SKIP_1) | instid1(VALU_DEP_1)
	v_pk_fma_f32 v[64:65], v[58:59], v[62:63], v[60:61] op_sel:[0,0,1] op_sel_hi:[1,1,0] neg_lo:[0,0,1] neg_hi:[0,0,1]
	v_pk_fma_f32 v[58:59], v[58:59], v[62:63], v[60:61] op_sel:[0,0,1] op_sel_hi:[1,0,0]
	v_mov_b32_e32 v65, v59
	s_delay_alu instid0(VALU_DEP_1)
	v_pk_add_f32 v[48:49], v[48:49], v[64:65] neg_lo:[0,1] neg_hi:[0,1]
.LBB25_19:
	s_or_b32 exec_lo, exec_lo, s1
	s_delay_alu instid0(SALU_CYCLE_1)
	s_mov_b32 s2, exec_lo
	s_wait_dscnt 0x0
	s_barrier_signal -1
	s_barrier_wait -1
	v_cmpx_eq_u32_e32 2, v80
	s_cbranch_execz .LBB25_26
; %bb.20:
	ds_store_b64 v81, v[38:39]
	ds_store_2addr_b64 v82, v[36:37], v[22:23] offset0:3 offset1:4
	ds_store_2addr_b64 v82, v[18:19], v[20:21] offset0:5 offset1:6
	;; [unrolled: 1-line block ×5, first 2 shown]
	ds_load_b64 v[58:59], v81
	s_wait_dscnt 0x0
	v_cmp_neq_f32_e32 vcc_lo, 0, v58
	v_cmp_neq_f32_e64 s1, 0, v59
	s_or_b32 s1, vcc_lo, s1
	s_delay_alu instid0(SALU_CYCLE_1)
	s_and_b32 exec_lo, exec_lo, s1
	s_cbranch_execz .LBB25_26
; %bb.21:
	v_cmp_ngt_f32_e64 s1, |v58|, |v59|
                                        ; implicit-def: $vgpr60_vgpr61
	s_and_saveexec_b32 s4, s1
	s_delay_alu instid0(SALU_CYCLE_1)
	s_xor_b32 s1, exec_lo, s4
	s_cbranch_execz .LBB25_23
; %bb.22:
	v_div_scale_f32 v60, null, v59, v59, v58
	v_div_scale_f32 v63, vcc_lo, v58, v59, v58
	s_delay_alu instid0(VALU_DEP_2) | instskip(SKIP_1) | instid1(TRANS32_DEP_1)
	v_rcp_f32_e32 v61, v60
	v_nop
	v_fma_f32 v62, -v60, v61, 1.0
	s_delay_alu instid0(VALU_DEP_1) | instskip(NEXT) | instid1(VALU_DEP_1)
	v_fmac_f32_e32 v61, v62, v61
	v_mul_f32_e32 v62, v63, v61
	s_delay_alu instid0(VALU_DEP_1) | instskip(NEXT) | instid1(VALU_DEP_1)
	v_fma_f32 v64, -v60, v62, v63
	v_fmac_f32_e32 v62, v64, v61
	s_delay_alu instid0(VALU_DEP_1) | instskip(NEXT) | instid1(VALU_DEP_1)
	v_fma_f32 v60, -v60, v62, v63
	v_div_fmas_f32 v60, v60, v61, v62
	s_delay_alu instid0(VALU_DEP_1) | instskip(NEXT) | instid1(VALU_DEP_1)
	v_div_fixup_f32 v60, v60, v59, v58
	v_fmac_f32_e32 v59, v58, v60
	s_delay_alu instid0(VALU_DEP_1) | instskip(SKIP_1) | instid1(VALU_DEP_2)
	v_div_scale_f32 v58, null, v59, v59, 1.0
	v_div_scale_f32 v63, vcc_lo, 1.0, v59, 1.0
	v_rcp_f32_e32 v61, v58
	v_nop
	s_delay_alu instid0(TRANS32_DEP_1) | instskip(NEXT) | instid1(VALU_DEP_1)
	v_fma_f32 v62, -v58, v61, 1.0
	v_fmac_f32_e32 v61, v62, v61
	s_delay_alu instid0(VALU_DEP_1) | instskip(NEXT) | instid1(VALU_DEP_1)
	v_mul_f32_e32 v62, v63, v61
	v_fma_f32 v64, -v58, v62, v63
	s_delay_alu instid0(VALU_DEP_1) | instskip(NEXT) | instid1(VALU_DEP_1)
	v_fmac_f32_e32 v62, v64, v61
	v_fma_f32 v58, -v58, v62, v63
	s_delay_alu instid0(VALU_DEP_1) | instskip(NEXT) | instid1(VALU_DEP_1)
	v_div_fmas_f32 v58, v58, v61, v62
	v_div_fixup_f32 v58, v58, v59, 1.0
	s_delay_alu instid0(VALU_DEP_1)
	v_mul_f32_e32 v60, v60, v58
	v_xor_b32_e32 v61, 0x80000000, v58
                                        ; implicit-def: $vgpr58_vgpr59
.LBB25_23:
	s_and_not1_saveexec_b32 s1, s1
	s_cbranch_execz .LBB25_25
; %bb.24:
	v_div_scale_f32 v60, null, v58, v58, v59
	v_div_scale_f32 v63, vcc_lo, v59, v58, v59
	s_delay_alu instid0(VALU_DEP_2) | instskip(SKIP_1) | instid1(TRANS32_DEP_1)
	v_rcp_f32_e32 v61, v60
	v_nop
	v_fma_f32 v62, -v60, v61, 1.0
	s_delay_alu instid0(VALU_DEP_1) | instskip(NEXT) | instid1(VALU_DEP_1)
	v_fmac_f32_e32 v61, v62, v61
	v_mul_f32_e32 v62, v63, v61
	s_delay_alu instid0(VALU_DEP_1) | instskip(NEXT) | instid1(VALU_DEP_1)
	v_fma_f32 v64, -v60, v62, v63
	v_fmac_f32_e32 v62, v64, v61
	s_delay_alu instid0(VALU_DEP_1) | instskip(NEXT) | instid1(VALU_DEP_1)
	v_fma_f32 v60, -v60, v62, v63
	v_div_fmas_f32 v60, v60, v61, v62
	s_delay_alu instid0(VALU_DEP_1) | instskip(NEXT) | instid1(VALU_DEP_1)
	v_div_fixup_f32 v61, v60, v58, v59
	v_fmac_f32_e32 v58, v59, v61
	s_delay_alu instid0(VALU_DEP_1) | instskip(NEXT) | instid1(VALU_DEP_1)
	v_div_scale_f32 v59, null, v58, v58, 1.0
	v_rcp_f32_e32 v60, v59
	v_nop
	s_delay_alu instid0(TRANS32_DEP_1) | instskip(NEXT) | instid1(VALU_DEP_1)
	v_fma_f32 v62, -v59, v60, 1.0
	v_fmac_f32_e32 v60, v62, v60
	v_div_scale_f32 v62, vcc_lo, 1.0, v58, 1.0
	s_delay_alu instid0(VALU_DEP_1) | instskip(NEXT) | instid1(VALU_DEP_1)
	v_mul_f32_e32 v63, v62, v60
	v_fma_f32 v64, -v59, v63, v62
	s_delay_alu instid0(VALU_DEP_1) | instskip(NEXT) | instid1(VALU_DEP_1)
	v_fmac_f32_e32 v63, v64, v60
	v_fma_f32 v59, -v59, v63, v62
	s_delay_alu instid0(VALU_DEP_1) | instskip(NEXT) | instid1(VALU_DEP_1)
	v_div_fmas_f32 v59, v59, v60, v63
	v_div_fixup_f32 v60, v59, v58, 1.0
	s_delay_alu instid0(VALU_DEP_1)
	v_mul_f32_e64 v61, v61, -v60
.LBB25_25:
	s_or_b32 exec_lo, exec_lo, s1
	ds_store_b64 v81, v[60:61]
.LBB25_26:
	s_or_b32 exec_lo, exec_lo, s2
	s_wait_dscnt 0x0
	s_barrier_signal -1
	s_barrier_wait -1
	ds_load_b64 v[58:59], v81
	s_mov_b32 s1, exec_lo
	v_cmpx_lt_u32_e32 2, v80
	s_cbranch_execz .LBB25_28
; %bb.27:
	s_wait_dscnt 0x0
	v_pk_mul_f32 v[60:61], v[58:59], v[38:39] op_sel:[1,1] op_sel_hi:[0,1]
	s_delay_alu instid0(VALU_DEP_1)
	v_pk_fma_f32 v[64:65], v[58:59], v[38:39], v[60:61] op_sel_hi:[1,0,1] neg_lo:[0,0,1] neg_hi:[0,0,1]
	v_pk_fma_f32 v[66:67], v[58:59], v[38:39], v[60:61] op_sel_hi:[1,0,1]
	ds_load_2addr_b64 v[60:63], v82 offset0:3 offset1:4
	v_dual_mov_b32 v38, v64 :: v_dual_mov_b32 v39, v67
	s_wait_dscnt 0x0
	v_pk_mul_f32 v[68:69], v[60:61], v[66:67] op_sel:[0,1]
	s_delay_alu instid0(VALU_DEP_1) | instskip(SKIP_1) | instid1(VALU_DEP_1)
	v_pk_fma_f32 v[70:71], v[60:61], v[64:65], v[68:69] op_sel:[0,0,1] op_sel_hi:[1,1,0] neg_lo:[0,0,1] neg_hi:[0,0,1]
	v_pk_fma_f32 v[60:61], v[60:61], v[64:65], v[68:69] op_sel:[0,0,1] op_sel_hi:[1,0,0]
	v_mov_b32_e32 v71, v61
	v_pk_mul_f32 v[60:61], v[62:63], v[66:67] op_sel:[0,1]
	s_delay_alu instid0(VALU_DEP_1) | instskip(SKIP_1) | instid1(VALU_DEP_1)
	v_pk_fma_f32 v[68:69], v[62:63], v[64:65], v[60:61] op_sel:[0,0,1] op_sel_hi:[1,1,0] neg_lo:[0,0,1] neg_hi:[0,0,1]
	v_pk_fma_f32 v[60:61], v[62:63], v[64:65], v[60:61] op_sel:[0,0,1] op_sel_hi:[1,0,0]
	v_mov_b32_e32 v69, v61
	ds_load_2addr_b64 v[60:63], v82 offset0:5 offset1:6
	v_pk_add_f32 v[36:37], v[36:37], v[70:71] neg_lo:[0,1] neg_hi:[0,1]
	v_pk_add_f32 v[22:23], v[22:23], v[68:69] neg_lo:[0,1] neg_hi:[0,1]
	s_wait_dscnt 0x0
	v_pk_mul_f32 v[68:69], v[60:61], v[66:67] op_sel:[0,1]
	s_delay_alu instid0(VALU_DEP_1) | instskip(SKIP_2) | instid1(VALU_DEP_2)
	v_pk_fma_f32 v[70:71], v[60:61], v[64:65], v[68:69] op_sel:[0,0,1] op_sel_hi:[1,1,0] neg_lo:[0,0,1] neg_hi:[0,0,1]
	v_pk_fma_f32 v[60:61], v[60:61], v[64:65], v[68:69] op_sel:[0,0,1] op_sel_hi:[1,0,0]
	v_dual_mul_f32 v68, v63, v67 :: v_dual_mov_b32 v60, v63
	v_dual_mov_b32 v71, v61 :: v_dual_mov_b32 v61, v62
	s_delay_alu instid0(VALU_DEP_2) | instskip(SKIP_1) | instid1(VALU_DEP_3)
	v_pk_fma_f32 v[68:69], v[62:63], v[38:39], v[68:69] op_sel_hi:[1,1,0] neg_lo:[0,0,1] neg_hi:[0,0,1]
	v_mul_f32_e32 v62, v63, v64
	v_pk_add_f32 v[18:19], v[18:19], v[70:71] neg_lo:[0,1] neg_hi:[0,1]
	s_delay_alu instid0(VALU_DEP_2) | instskip(NEXT) | instid1(VALU_DEP_1)
	v_pk_fma_f32 v[60:61], v[60:61], v[38:39], v[62:63] op_sel_hi:[1,1,0]
	v_mov_b32_e32 v69, v61
	ds_load_2addr_b64 v[60:63], v82 offset0:7 offset1:8
	v_pk_add_f32 v[20:21], v[20:21], v[68:69] neg_lo:[0,1] neg_hi:[0,1]
	s_wait_dscnt 0x0
	v_pk_mul_f32 v[68:69], v[60:61], v[66:67] op_sel:[0,1]
	s_delay_alu instid0(VALU_DEP_1) | instskip(SKIP_1) | instid1(VALU_DEP_1)
	v_pk_fma_f32 v[70:71], v[60:61], v[64:65], v[68:69] op_sel:[0,0,1] op_sel_hi:[1,1,0] neg_lo:[0,0,1] neg_hi:[0,0,1]
	v_pk_fma_f32 v[60:61], v[60:61], v[64:65], v[68:69] op_sel:[0,0,1] op_sel_hi:[1,0,0]
	v_mov_b32_e32 v71, v61
	v_pk_mul_f32 v[60:61], v[62:63], v[66:67] op_sel:[0,1]
	s_delay_alu instid0(VALU_DEP_1) | instskip(SKIP_1) | instid1(VALU_DEP_1)
	v_pk_fma_f32 v[68:69], v[62:63], v[64:65], v[60:61] op_sel:[0,0,1] op_sel_hi:[1,1,0] neg_lo:[0,0,1] neg_hi:[0,0,1]
	v_pk_fma_f32 v[60:61], v[62:63], v[64:65], v[60:61] op_sel:[0,0,1] op_sel_hi:[1,0,0]
	v_mov_b32_e32 v69, v61
	ds_load_2addr_b64 v[60:63], v82 offset0:9 offset1:10
	v_pk_add_f32 v[16:17], v[16:17], v[70:71] neg_lo:[0,1] neg_hi:[0,1]
	v_pk_add_f32 v[44:45], v[44:45], v[68:69] neg_lo:[0,1] neg_hi:[0,1]
	s_wait_dscnt 0x0
	v_pk_mul_f32 v[68:69], v[60:61], v[66:67] op_sel:[0,1]
	s_delay_alu instid0(VALU_DEP_1) | instskip(SKIP_1) | instid1(VALU_DEP_1)
	v_pk_fma_f32 v[70:71], v[60:61], v[64:65], v[68:69] op_sel:[0,0,1] op_sel_hi:[1,1,0] neg_lo:[0,0,1] neg_hi:[0,0,1]
	v_pk_fma_f32 v[60:61], v[60:61], v[64:65], v[68:69] op_sel:[0,0,1] op_sel_hi:[1,0,0]
	v_mov_b32_e32 v71, v61
	v_pk_mul_f32 v[60:61], v[62:63], v[66:67] op_sel:[0,1]
	s_delay_alu instid0(VALU_DEP_1) | instskip(SKIP_1) | instid1(VALU_DEP_1)
	v_pk_fma_f32 v[68:69], v[62:63], v[64:65], v[60:61] op_sel:[0,0,1] op_sel_hi:[1,1,0] neg_lo:[0,0,1] neg_hi:[0,0,1]
	v_pk_fma_f32 v[60:61], v[62:63], v[64:65], v[60:61] op_sel:[0,0,1] op_sel_hi:[1,0,0]
	v_mov_b32_e32 v69, v61
	ds_load_2addr_b64 v[60:63], v82 offset0:11 offset1:12
	v_pk_add_f32 v[52:53], v[52:53], v[70:71] neg_lo:[0,1] neg_hi:[0,1]
	v_pk_add_f32 v[50:51], v[50:51], v[68:69] neg_lo:[0,1] neg_hi:[0,1]
	s_wait_dscnt 0x0
	v_dual_mul_f32 v68, v61, v67 :: v_dual_mul_f32 v70, v61, v64
	s_delay_alu instid0(VALU_DEP_1) | instskip(NEXT) | instid1(VALU_DEP_2)
	v_pk_fma_f32 v[68:69], v[60:61], v[38:39], v[68:69] op_sel_hi:[1,1,0] neg_lo:[0,0,1] neg_hi:[0,0,1]
	v_pk_fma_f32 v[60:61], v[60:61], v[38:39], v[70:71] op_sel:[1,0,0] op_sel_hi:[0,1,0]
	s_delay_alu instid0(VALU_DEP_1) | instskip(SKIP_1) | instid1(VALU_DEP_1)
	v_mov_b32_e32 v69, v61
	v_pk_mul_f32 v[60:61], v[62:63], v[66:67] op_sel:[0,1]
	v_pk_fma_f32 v[66:67], v[62:63], v[64:65], v[60:61] op_sel:[0,0,1] op_sel_hi:[1,1,0] neg_lo:[0,0,1] neg_hi:[0,0,1]
	v_pk_fma_f32 v[60:61], v[62:63], v[64:65], v[60:61] op_sel:[0,0,1] op_sel_hi:[1,0,0]
	s_delay_alu instid0(VALU_DEP_1) | instskip(SKIP_1) | instid1(VALU_DEP_2)
	v_mov_b32_e32 v67, v61
	v_pk_add_f32 v[46:47], v[46:47], v[68:69] neg_lo:[0,1] neg_hi:[0,1]
	v_pk_add_f32 v[48:49], v[48:49], v[66:67] neg_lo:[0,1] neg_hi:[0,1]
.LBB25_28:
	s_or_b32 exec_lo, exec_lo, s1
	s_delay_alu instid0(SALU_CYCLE_1)
	s_mov_b32 s2, exec_lo
	s_wait_dscnt 0x0
	s_barrier_signal -1
	s_barrier_wait -1
	v_cmpx_eq_u32_e32 3, v80
	s_cbranch_execz .LBB25_35
; %bb.29:
	v_dual_mov_b32 v60, v22 :: v_dual_mov_b32 v61, v23
	v_dual_mov_b32 v62, v18 :: v_dual_mov_b32 v63, v19
	v_dual_mov_b32 v64, v20 :: v_dual_mov_b32 v65, v21
	v_dual_mov_b32 v66, v16 :: v_dual_mov_b32 v67, v17
	v_dual_mov_b32 v68, v44 :: v_dual_mov_b32 v69, v45
	v_dual_mov_b32 v70, v52 :: v_dual_mov_b32 v71, v53
	v_dual_mov_b32 v72, v50 :: v_dual_mov_b32 v73, v51
	v_dual_mov_b32 v74, v46 :: v_dual_mov_b32 v75, v47
	ds_store_b64 v81, v[36:37]
	ds_store_2addr_b64 v82, v[60:61], v[62:63] offset0:4 offset1:5
	ds_store_2addr_b64 v82, v[64:65], v[66:67] offset0:6 offset1:7
	;; [unrolled: 1-line block ×4, first 2 shown]
	ds_store_b64 v82, v[48:49] offset:96
	ds_load_b64 v[60:61], v81
	s_wait_dscnt 0x0
	v_cmp_neq_f32_e32 vcc_lo, 0, v60
	v_cmp_neq_f32_e64 s1, 0, v61
	s_or_b32 s1, vcc_lo, s1
	s_delay_alu instid0(SALU_CYCLE_1)
	s_and_b32 exec_lo, exec_lo, s1
	s_cbranch_execz .LBB25_35
; %bb.30:
	v_cmp_ngt_f32_e64 s1, |v60|, |v61|
                                        ; implicit-def: $vgpr62_vgpr63
	s_and_saveexec_b32 s4, s1
	s_delay_alu instid0(SALU_CYCLE_1)
	s_xor_b32 s1, exec_lo, s4
	s_cbranch_execz .LBB25_32
; %bb.31:
	v_div_scale_f32 v62, null, v61, v61, v60
	v_div_scale_f32 v65, vcc_lo, v60, v61, v60
	s_delay_alu instid0(VALU_DEP_2) | instskip(SKIP_1) | instid1(TRANS32_DEP_1)
	v_rcp_f32_e32 v63, v62
	v_nop
	v_fma_f32 v64, -v62, v63, 1.0
	s_delay_alu instid0(VALU_DEP_1) | instskip(NEXT) | instid1(VALU_DEP_1)
	v_fmac_f32_e32 v63, v64, v63
	v_mul_f32_e32 v64, v65, v63
	s_delay_alu instid0(VALU_DEP_1) | instskip(NEXT) | instid1(VALU_DEP_1)
	v_fma_f32 v66, -v62, v64, v65
	v_fmac_f32_e32 v64, v66, v63
	s_delay_alu instid0(VALU_DEP_1) | instskip(NEXT) | instid1(VALU_DEP_1)
	v_fma_f32 v62, -v62, v64, v65
	v_div_fmas_f32 v62, v62, v63, v64
	s_delay_alu instid0(VALU_DEP_1) | instskip(NEXT) | instid1(VALU_DEP_1)
	v_div_fixup_f32 v62, v62, v61, v60
	v_fmac_f32_e32 v61, v60, v62
	s_delay_alu instid0(VALU_DEP_1) | instskip(SKIP_1) | instid1(VALU_DEP_2)
	v_div_scale_f32 v60, null, v61, v61, 1.0
	v_div_scale_f32 v65, vcc_lo, 1.0, v61, 1.0
	v_rcp_f32_e32 v63, v60
	v_nop
	s_delay_alu instid0(TRANS32_DEP_1) | instskip(NEXT) | instid1(VALU_DEP_1)
	v_fma_f32 v64, -v60, v63, 1.0
	v_fmac_f32_e32 v63, v64, v63
	s_delay_alu instid0(VALU_DEP_1) | instskip(NEXT) | instid1(VALU_DEP_1)
	v_mul_f32_e32 v64, v65, v63
	v_fma_f32 v66, -v60, v64, v65
	s_delay_alu instid0(VALU_DEP_1) | instskip(NEXT) | instid1(VALU_DEP_1)
	v_fmac_f32_e32 v64, v66, v63
	v_fma_f32 v60, -v60, v64, v65
	s_delay_alu instid0(VALU_DEP_1) | instskip(NEXT) | instid1(VALU_DEP_1)
	v_div_fmas_f32 v60, v60, v63, v64
	v_div_fixup_f32 v60, v60, v61, 1.0
	s_delay_alu instid0(VALU_DEP_1)
	v_mul_f32_e32 v62, v62, v60
	v_xor_b32_e32 v63, 0x80000000, v60
                                        ; implicit-def: $vgpr60_vgpr61
.LBB25_32:
	s_and_not1_saveexec_b32 s1, s1
	s_cbranch_execz .LBB25_34
; %bb.33:
	v_div_scale_f32 v62, null, v60, v60, v61
	v_div_scale_f32 v65, vcc_lo, v61, v60, v61
	s_delay_alu instid0(VALU_DEP_2) | instskip(SKIP_1) | instid1(TRANS32_DEP_1)
	v_rcp_f32_e32 v63, v62
	v_nop
	v_fma_f32 v64, -v62, v63, 1.0
	s_delay_alu instid0(VALU_DEP_1) | instskip(NEXT) | instid1(VALU_DEP_1)
	v_fmac_f32_e32 v63, v64, v63
	v_mul_f32_e32 v64, v65, v63
	s_delay_alu instid0(VALU_DEP_1) | instskip(NEXT) | instid1(VALU_DEP_1)
	v_fma_f32 v66, -v62, v64, v65
	v_fmac_f32_e32 v64, v66, v63
	s_delay_alu instid0(VALU_DEP_1) | instskip(NEXT) | instid1(VALU_DEP_1)
	v_fma_f32 v62, -v62, v64, v65
	v_div_fmas_f32 v62, v62, v63, v64
	s_delay_alu instid0(VALU_DEP_1) | instskip(NEXT) | instid1(VALU_DEP_1)
	v_div_fixup_f32 v63, v62, v60, v61
	v_fmac_f32_e32 v60, v61, v63
	s_delay_alu instid0(VALU_DEP_1) | instskip(NEXT) | instid1(VALU_DEP_1)
	v_div_scale_f32 v61, null, v60, v60, 1.0
	v_rcp_f32_e32 v62, v61
	v_nop
	s_delay_alu instid0(TRANS32_DEP_1) | instskip(NEXT) | instid1(VALU_DEP_1)
	v_fma_f32 v64, -v61, v62, 1.0
	v_fmac_f32_e32 v62, v64, v62
	v_div_scale_f32 v64, vcc_lo, 1.0, v60, 1.0
	s_delay_alu instid0(VALU_DEP_1) | instskip(NEXT) | instid1(VALU_DEP_1)
	v_mul_f32_e32 v65, v64, v62
	v_fma_f32 v66, -v61, v65, v64
	s_delay_alu instid0(VALU_DEP_1) | instskip(NEXT) | instid1(VALU_DEP_1)
	v_fmac_f32_e32 v65, v66, v62
	v_fma_f32 v61, -v61, v65, v64
	s_delay_alu instid0(VALU_DEP_1) | instskip(NEXT) | instid1(VALU_DEP_1)
	v_div_fmas_f32 v61, v61, v62, v65
	v_div_fixup_f32 v62, v61, v60, 1.0
	s_delay_alu instid0(VALU_DEP_1)
	v_mul_f32_e64 v63, v63, -v62
.LBB25_34:
	s_or_b32 exec_lo, exec_lo, s1
	ds_store_b64 v81, v[62:63]
.LBB25_35:
	s_or_b32 exec_lo, exec_lo, s2
	s_wait_dscnt 0x0
	s_barrier_signal -1
	s_barrier_wait -1
	ds_load_b64 v[60:61], v81
	s_mov_b32 s1, exec_lo
	v_cmpx_lt_u32_e32 3, v80
	s_cbranch_execz .LBB25_37
; %bb.36:
	s_wait_dscnt 0x0
	v_pk_mul_f32 v[62:63], v[60:61], v[36:37] op_sel:[1,1] op_sel_hi:[0,1]
	s_delay_alu instid0(VALU_DEP_1)
	v_pk_fma_f32 v[66:67], v[60:61], v[36:37], v[62:63] op_sel_hi:[1,0,1] neg_lo:[0,0,1] neg_hi:[0,0,1]
	v_pk_fma_f32 v[68:69], v[60:61], v[36:37], v[62:63] op_sel_hi:[1,0,1]
	ds_load_2addr_b64 v[62:65], v82 offset0:4 offset1:5
	v_dual_mov_b32 v36, v66 :: v_dual_mov_b32 v37, v69
	s_wait_dscnt 0x0
	v_pk_mul_f32 v[70:71], v[62:63], v[68:69] op_sel:[0,1]
	s_delay_alu instid0(VALU_DEP_1) | instskip(SKIP_1) | instid1(VALU_DEP_1)
	v_pk_fma_f32 v[72:73], v[62:63], v[66:67], v[70:71] op_sel:[0,0,1] op_sel_hi:[1,1,0] neg_lo:[0,0,1] neg_hi:[0,0,1]
	v_pk_fma_f32 v[62:63], v[62:63], v[66:67], v[70:71] op_sel:[0,0,1] op_sel_hi:[1,0,0]
	v_mov_b32_e32 v73, v63
	v_pk_mul_f32 v[62:63], v[64:65], v[68:69] op_sel:[0,1]
	s_delay_alu instid0(VALU_DEP_1) | instskip(SKIP_1) | instid1(VALU_DEP_1)
	v_pk_fma_f32 v[70:71], v[64:65], v[66:67], v[62:63] op_sel:[0,0,1] op_sel_hi:[1,1,0] neg_lo:[0,0,1] neg_hi:[0,0,1]
	v_pk_fma_f32 v[62:63], v[64:65], v[66:67], v[62:63] op_sel:[0,0,1] op_sel_hi:[1,0,0]
	v_mov_b32_e32 v71, v63
	ds_load_2addr_b64 v[62:65], v82 offset0:6 offset1:7
	v_pk_add_f32 v[22:23], v[22:23], v[72:73] neg_lo:[0,1] neg_hi:[0,1]
	v_pk_add_f32 v[18:19], v[18:19], v[70:71] neg_lo:[0,1] neg_hi:[0,1]
	s_wait_dscnt 0x0
	v_pk_mul_f32 v[70:71], v[62:63], v[68:69] op_sel:[0,1]
	s_delay_alu instid0(VALU_DEP_1) | instskip(SKIP_2) | instid1(VALU_DEP_2)
	v_pk_fma_f32 v[72:73], v[62:63], v[66:67], v[70:71] op_sel:[0,0,1] op_sel_hi:[1,1,0] neg_lo:[0,0,1] neg_hi:[0,0,1]
	v_pk_fma_f32 v[62:63], v[62:63], v[66:67], v[70:71] op_sel:[0,0,1] op_sel_hi:[1,0,0]
	v_dual_mul_f32 v70, v65, v69 :: v_dual_mov_b32 v62, v65
	v_dual_mov_b32 v73, v63 :: v_dual_mov_b32 v63, v64
	s_delay_alu instid0(VALU_DEP_2) | instskip(SKIP_1) | instid1(VALU_DEP_3)
	v_pk_fma_f32 v[70:71], v[64:65], v[36:37], v[70:71] op_sel_hi:[1,1,0] neg_lo:[0,0,1] neg_hi:[0,0,1]
	v_mul_f32_e32 v64, v65, v66
	v_pk_add_f32 v[20:21], v[20:21], v[72:73] neg_lo:[0,1] neg_hi:[0,1]
	s_delay_alu instid0(VALU_DEP_2) | instskip(NEXT) | instid1(VALU_DEP_1)
	v_pk_fma_f32 v[62:63], v[62:63], v[36:37], v[64:65] op_sel_hi:[1,1,0]
	v_mov_b32_e32 v71, v63
	ds_load_2addr_b64 v[62:65], v82 offset0:8 offset1:9
	v_pk_add_f32 v[16:17], v[16:17], v[70:71] neg_lo:[0,1] neg_hi:[0,1]
	s_wait_dscnt 0x0
	v_pk_mul_f32 v[70:71], v[62:63], v[68:69] op_sel:[0,1]
	s_delay_alu instid0(VALU_DEP_1) | instskip(SKIP_1) | instid1(VALU_DEP_1)
	v_pk_fma_f32 v[72:73], v[62:63], v[66:67], v[70:71] op_sel:[0,0,1] op_sel_hi:[1,1,0] neg_lo:[0,0,1] neg_hi:[0,0,1]
	v_pk_fma_f32 v[62:63], v[62:63], v[66:67], v[70:71] op_sel:[0,0,1] op_sel_hi:[1,0,0]
	v_mov_b32_e32 v73, v63
	v_pk_mul_f32 v[62:63], v[64:65], v[68:69] op_sel:[0,1]
	s_delay_alu instid0(VALU_DEP_1) | instskip(SKIP_1) | instid1(VALU_DEP_1)
	v_pk_fma_f32 v[70:71], v[64:65], v[66:67], v[62:63] op_sel:[0,0,1] op_sel_hi:[1,1,0] neg_lo:[0,0,1] neg_hi:[0,0,1]
	v_pk_fma_f32 v[62:63], v[64:65], v[66:67], v[62:63] op_sel:[0,0,1] op_sel_hi:[1,0,0]
	v_mov_b32_e32 v71, v63
	ds_load_2addr_b64 v[62:65], v82 offset0:10 offset1:11
	v_pk_add_f32 v[44:45], v[44:45], v[72:73] neg_lo:[0,1] neg_hi:[0,1]
	v_pk_add_f32 v[52:53], v[52:53], v[70:71] neg_lo:[0,1] neg_hi:[0,1]
	s_wait_dscnt 0x0
	v_pk_mul_f32 v[70:71], v[62:63], v[68:69] op_sel:[0,1]
	s_delay_alu instid0(VALU_DEP_1) | instskip(SKIP_1) | instid1(VALU_DEP_1)
	v_pk_fma_f32 v[72:73], v[62:63], v[66:67], v[70:71] op_sel:[0,0,1] op_sel_hi:[1,1,0] neg_lo:[0,0,1] neg_hi:[0,0,1]
	v_pk_fma_f32 v[62:63], v[62:63], v[66:67], v[70:71] op_sel:[0,0,1] op_sel_hi:[1,0,0]
	v_mov_b32_e32 v73, v63
	v_pk_mul_f32 v[62:63], v[64:65], v[68:69] op_sel:[0,1]
	s_delay_alu instid0(VALU_DEP_1) | instskip(SKIP_1) | instid1(VALU_DEP_1)
	v_pk_fma_f32 v[70:71], v[64:65], v[66:67], v[62:63] op_sel:[0,0,1] op_sel_hi:[1,1,0] neg_lo:[0,0,1] neg_hi:[0,0,1]
	v_pk_fma_f32 v[62:63], v[64:65], v[66:67], v[62:63] op_sel:[0,0,1] op_sel_hi:[1,0,0]
	v_mov_b32_e32 v71, v63
	ds_load_b64 v[62:63], v82 offset:96
	v_pk_add_f32 v[50:51], v[50:51], v[72:73] neg_lo:[0,1] neg_hi:[0,1]
	v_pk_add_f32 v[46:47], v[46:47], v[70:71] neg_lo:[0,1] neg_hi:[0,1]
	s_wait_dscnt 0x0
	v_pk_mul_f32 v[64:65], v[62:63], v[68:69] op_sel:[0,1]
	s_delay_alu instid0(VALU_DEP_1) | instskip(SKIP_1) | instid1(VALU_DEP_1)
	v_pk_fma_f32 v[68:69], v[62:63], v[66:67], v[64:65] op_sel:[0,0,1] op_sel_hi:[1,1,0] neg_lo:[0,0,1] neg_hi:[0,0,1]
	v_pk_fma_f32 v[62:63], v[62:63], v[66:67], v[64:65] op_sel:[0,0,1] op_sel_hi:[1,0,0]
	v_mov_b32_e32 v69, v63
	s_delay_alu instid0(VALU_DEP_1)
	v_pk_add_f32 v[48:49], v[48:49], v[68:69] neg_lo:[0,1] neg_hi:[0,1]
.LBB25_37:
	s_or_b32 exec_lo, exec_lo, s1
	s_delay_alu instid0(SALU_CYCLE_1)
	s_mov_b32 s2, exec_lo
	s_wait_dscnt 0x0
	s_barrier_signal -1
	s_barrier_wait -1
	v_cmpx_eq_u32_e32 4, v80
	s_cbranch_execz .LBB25_44
; %bb.38:
	ds_store_b64 v81, v[22:23]
	ds_store_2addr_b64 v82, v[18:19], v[20:21] offset0:5 offset1:6
	ds_store_2addr_b64 v82, v[16:17], v[44:45] offset0:7 offset1:8
	;; [unrolled: 1-line block ×4, first 2 shown]
	ds_load_b64 v[62:63], v81
	s_wait_dscnt 0x0
	v_cmp_neq_f32_e32 vcc_lo, 0, v62
	v_cmp_neq_f32_e64 s1, 0, v63
	s_or_b32 s1, vcc_lo, s1
	s_delay_alu instid0(SALU_CYCLE_1)
	s_and_b32 exec_lo, exec_lo, s1
	s_cbranch_execz .LBB25_44
; %bb.39:
	v_cmp_ngt_f32_e64 s1, |v62|, |v63|
                                        ; implicit-def: $vgpr64_vgpr65
	s_and_saveexec_b32 s4, s1
	s_delay_alu instid0(SALU_CYCLE_1)
	s_xor_b32 s1, exec_lo, s4
	s_cbranch_execz .LBB25_41
; %bb.40:
	v_div_scale_f32 v64, null, v63, v63, v62
	v_div_scale_f32 v67, vcc_lo, v62, v63, v62
	s_delay_alu instid0(VALU_DEP_2) | instskip(SKIP_1) | instid1(TRANS32_DEP_1)
	v_rcp_f32_e32 v65, v64
	v_nop
	v_fma_f32 v66, -v64, v65, 1.0
	s_delay_alu instid0(VALU_DEP_1) | instskip(NEXT) | instid1(VALU_DEP_1)
	v_fmac_f32_e32 v65, v66, v65
	v_mul_f32_e32 v66, v67, v65
	s_delay_alu instid0(VALU_DEP_1) | instskip(NEXT) | instid1(VALU_DEP_1)
	v_fma_f32 v68, -v64, v66, v67
	v_fmac_f32_e32 v66, v68, v65
	s_delay_alu instid0(VALU_DEP_1) | instskip(NEXT) | instid1(VALU_DEP_1)
	v_fma_f32 v64, -v64, v66, v67
	v_div_fmas_f32 v64, v64, v65, v66
	s_delay_alu instid0(VALU_DEP_1) | instskip(NEXT) | instid1(VALU_DEP_1)
	v_div_fixup_f32 v64, v64, v63, v62
	v_fmac_f32_e32 v63, v62, v64
	s_delay_alu instid0(VALU_DEP_1) | instskip(SKIP_1) | instid1(VALU_DEP_2)
	v_div_scale_f32 v62, null, v63, v63, 1.0
	v_div_scale_f32 v67, vcc_lo, 1.0, v63, 1.0
	v_rcp_f32_e32 v65, v62
	v_nop
	s_delay_alu instid0(TRANS32_DEP_1) | instskip(NEXT) | instid1(VALU_DEP_1)
	v_fma_f32 v66, -v62, v65, 1.0
	v_fmac_f32_e32 v65, v66, v65
	s_delay_alu instid0(VALU_DEP_1) | instskip(NEXT) | instid1(VALU_DEP_1)
	v_mul_f32_e32 v66, v67, v65
	v_fma_f32 v68, -v62, v66, v67
	s_delay_alu instid0(VALU_DEP_1) | instskip(NEXT) | instid1(VALU_DEP_1)
	v_fmac_f32_e32 v66, v68, v65
	v_fma_f32 v62, -v62, v66, v67
	s_delay_alu instid0(VALU_DEP_1) | instskip(NEXT) | instid1(VALU_DEP_1)
	v_div_fmas_f32 v62, v62, v65, v66
	v_div_fixup_f32 v62, v62, v63, 1.0
	s_delay_alu instid0(VALU_DEP_1)
	v_mul_f32_e32 v64, v64, v62
	v_xor_b32_e32 v65, 0x80000000, v62
                                        ; implicit-def: $vgpr62_vgpr63
.LBB25_41:
	s_and_not1_saveexec_b32 s1, s1
	s_cbranch_execz .LBB25_43
; %bb.42:
	v_div_scale_f32 v64, null, v62, v62, v63
	v_div_scale_f32 v67, vcc_lo, v63, v62, v63
	s_delay_alu instid0(VALU_DEP_2) | instskip(SKIP_1) | instid1(TRANS32_DEP_1)
	v_rcp_f32_e32 v65, v64
	v_nop
	v_fma_f32 v66, -v64, v65, 1.0
	s_delay_alu instid0(VALU_DEP_1) | instskip(NEXT) | instid1(VALU_DEP_1)
	v_fmac_f32_e32 v65, v66, v65
	v_mul_f32_e32 v66, v67, v65
	s_delay_alu instid0(VALU_DEP_1) | instskip(NEXT) | instid1(VALU_DEP_1)
	v_fma_f32 v68, -v64, v66, v67
	v_fmac_f32_e32 v66, v68, v65
	s_delay_alu instid0(VALU_DEP_1) | instskip(NEXT) | instid1(VALU_DEP_1)
	v_fma_f32 v64, -v64, v66, v67
	v_div_fmas_f32 v64, v64, v65, v66
	s_delay_alu instid0(VALU_DEP_1) | instskip(NEXT) | instid1(VALU_DEP_1)
	v_div_fixup_f32 v65, v64, v62, v63
	v_fmac_f32_e32 v62, v63, v65
	s_delay_alu instid0(VALU_DEP_1) | instskip(NEXT) | instid1(VALU_DEP_1)
	v_div_scale_f32 v63, null, v62, v62, 1.0
	v_rcp_f32_e32 v64, v63
	v_nop
	s_delay_alu instid0(TRANS32_DEP_1) | instskip(NEXT) | instid1(VALU_DEP_1)
	v_fma_f32 v66, -v63, v64, 1.0
	v_fmac_f32_e32 v64, v66, v64
	v_div_scale_f32 v66, vcc_lo, 1.0, v62, 1.0
	s_delay_alu instid0(VALU_DEP_1) | instskip(NEXT) | instid1(VALU_DEP_1)
	v_mul_f32_e32 v67, v66, v64
	v_fma_f32 v68, -v63, v67, v66
	s_delay_alu instid0(VALU_DEP_1) | instskip(NEXT) | instid1(VALU_DEP_1)
	v_fmac_f32_e32 v67, v68, v64
	v_fma_f32 v63, -v63, v67, v66
	s_delay_alu instid0(VALU_DEP_1) | instskip(NEXT) | instid1(VALU_DEP_1)
	v_div_fmas_f32 v63, v63, v64, v67
	v_div_fixup_f32 v64, v63, v62, 1.0
	s_delay_alu instid0(VALU_DEP_1)
	v_mul_f32_e64 v65, v65, -v64
.LBB25_43:
	s_or_b32 exec_lo, exec_lo, s1
	ds_store_b64 v81, v[64:65]
.LBB25_44:
	s_or_b32 exec_lo, exec_lo, s2
	s_wait_dscnt 0x0
	s_barrier_signal -1
	s_barrier_wait -1
	ds_load_b64 v[62:63], v81
	s_mov_b32 s1, exec_lo
	v_cmpx_lt_u32_e32 4, v80
	s_cbranch_execz .LBB25_46
; %bb.45:
	s_wait_dscnt 0x0
	v_pk_mul_f32 v[64:65], v[62:63], v[22:23] op_sel:[1,1] op_sel_hi:[0,1]
	s_delay_alu instid0(VALU_DEP_1)
	v_pk_fma_f32 v[68:69], v[62:63], v[22:23], v[64:65] op_sel_hi:[1,0,1] neg_lo:[0,0,1] neg_hi:[0,0,1]
	v_pk_fma_f32 v[70:71], v[62:63], v[22:23], v[64:65] op_sel_hi:[1,0,1]
	ds_load_2addr_b64 v[64:67], v82 offset0:5 offset1:6
	v_dual_mov_b32 v22, v68 :: v_dual_mov_b32 v23, v71
	s_wait_dscnt 0x0
	v_pk_mul_f32 v[72:73], v[64:65], v[70:71] op_sel:[0,1]
	s_delay_alu instid0(VALU_DEP_1) | instskip(SKIP_1) | instid1(VALU_DEP_1)
	v_pk_fma_f32 v[74:75], v[64:65], v[68:69], v[72:73] op_sel:[0,0,1] op_sel_hi:[1,1,0] neg_lo:[0,0,1] neg_hi:[0,0,1]
	v_pk_fma_f32 v[64:65], v[64:65], v[68:69], v[72:73] op_sel:[0,0,1] op_sel_hi:[1,0,0]
	v_mov_b32_e32 v75, v65
	v_pk_mul_f32 v[64:65], v[66:67], v[70:71] op_sel:[0,1]
	s_delay_alu instid0(VALU_DEP_1) | instskip(SKIP_1) | instid1(VALU_DEP_1)
	v_pk_fma_f32 v[72:73], v[66:67], v[68:69], v[64:65] op_sel:[0,0,1] op_sel_hi:[1,1,0] neg_lo:[0,0,1] neg_hi:[0,0,1]
	v_pk_fma_f32 v[64:65], v[66:67], v[68:69], v[64:65] op_sel:[0,0,1] op_sel_hi:[1,0,0]
	v_mov_b32_e32 v73, v65
	ds_load_2addr_b64 v[64:67], v82 offset0:7 offset1:8
	v_pk_add_f32 v[18:19], v[18:19], v[74:75] neg_lo:[0,1] neg_hi:[0,1]
	v_pk_add_f32 v[20:21], v[20:21], v[72:73] neg_lo:[0,1] neg_hi:[0,1]
	s_wait_dscnt 0x0
	v_pk_mul_f32 v[72:73], v[64:65], v[70:71] op_sel:[0,1]
	s_delay_alu instid0(VALU_DEP_1) | instskip(SKIP_2) | instid1(VALU_DEP_2)
	v_pk_fma_f32 v[74:75], v[64:65], v[68:69], v[72:73] op_sel:[0,0,1] op_sel_hi:[1,1,0] neg_lo:[0,0,1] neg_hi:[0,0,1]
	v_pk_fma_f32 v[64:65], v[64:65], v[68:69], v[72:73] op_sel:[0,0,1] op_sel_hi:[1,0,0]
	v_dual_mul_f32 v72, v67, v71 :: v_dual_mov_b32 v64, v67
	v_dual_mov_b32 v75, v65 :: v_dual_mov_b32 v65, v66
	s_delay_alu instid0(VALU_DEP_2) | instskip(SKIP_1) | instid1(VALU_DEP_3)
	v_pk_fma_f32 v[72:73], v[66:67], v[22:23], v[72:73] op_sel_hi:[1,1,0] neg_lo:[0,0,1] neg_hi:[0,0,1]
	v_mul_f32_e32 v66, v67, v68
	v_pk_add_f32 v[16:17], v[16:17], v[74:75] neg_lo:[0,1] neg_hi:[0,1]
	s_delay_alu instid0(VALU_DEP_2) | instskip(NEXT) | instid1(VALU_DEP_1)
	v_pk_fma_f32 v[64:65], v[64:65], v[22:23], v[66:67] op_sel_hi:[1,1,0]
	v_mov_b32_e32 v73, v65
	ds_load_2addr_b64 v[64:67], v82 offset0:9 offset1:10
	v_pk_add_f32 v[44:45], v[44:45], v[72:73] neg_lo:[0,1] neg_hi:[0,1]
	s_wait_dscnt 0x0
	v_pk_mul_f32 v[72:73], v[64:65], v[70:71] op_sel:[0,1]
	s_delay_alu instid0(VALU_DEP_1) | instskip(SKIP_1) | instid1(VALU_DEP_1)
	v_pk_fma_f32 v[74:75], v[64:65], v[68:69], v[72:73] op_sel:[0,0,1] op_sel_hi:[1,1,0] neg_lo:[0,0,1] neg_hi:[0,0,1]
	v_pk_fma_f32 v[64:65], v[64:65], v[68:69], v[72:73] op_sel:[0,0,1] op_sel_hi:[1,0,0]
	v_mov_b32_e32 v75, v65
	v_pk_mul_f32 v[64:65], v[66:67], v[70:71] op_sel:[0,1]
	s_delay_alu instid0(VALU_DEP_1) | instskip(SKIP_1) | instid1(VALU_DEP_1)
	v_pk_fma_f32 v[72:73], v[66:67], v[68:69], v[64:65] op_sel:[0,0,1] op_sel_hi:[1,1,0] neg_lo:[0,0,1] neg_hi:[0,0,1]
	v_pk_fma_f32 v[64:65], v[66:67], v[68:69], v[64:65] op_sel:[0,0,1] op_sel_hi:[1,0,0]
	v_mov_b32_e32 v73, v65
	ds_load_2addr_b64 v[64:67], v82 offset0:11 offset1:12
	v_pk_add_f32 v[52:53], v[52:53], v[74:75] neg_lo:[0,1] neg_hi:[0,1]
	v_pk_add_f32 v[50:51], v[50:51], v[72:73] neg_lo:[0,1] neg_hi:[0,1]
	s_wait_dscnt 0x0
	v_pk_mul_f32 v[72:73], v[64:65], v[70:71] op_sel:[0,1]
	s_delay_alu instid0(VALU_DEP_1) | instskip(SKIP_1) | instid1(VALU_DEP_1)
	v_pk_fma_f32 v[74:75], v[64:65], v[68:69], v[72:73] op_sel:[0,0,1] op_sel_hi:[1,1,0] neg_lo:[0,0,1] neg_hi:[0,0,1]
	v_pk_fma_f32 v[64:65], v[64:65], v[68:69], v[72:73] op_sel:[0,0,1] op_sel_hi:[1,0,0]
	v_mov_b32_e32 v75, v65
	v_pk_mul_f32 v[64:65], v[66:67], v[70:71] op_sel:[0,1]
	s_delay_alu instid0(VALU_DEP_1) | instskip(SKIP_1) | instid1(VALU_DEP_1)
	v_pk_fma_f32 v[70:71], v[66:67], v[68:69], v[64:65] op_sel:[0,0,1] op_sel_hi:[1,1,0] neg_lo:[0,0,1] neg_hi:[0,0,1]
	v_pk_fma_f32 v[64:65], v[66:67], v[68:69], v[64:65] op_sel:[0,0,1] op_sel_hi:[1,0,0]
	v_mov_b32_e32 v71, v65
	v_pk_add_f32 v[46:47], v[46:47], v[74:75] neg_lo:[0,1] neg_hi:[0,1]
	s_delay_alu instid0(VALU_DEP_2)
	v_pk_add_f32 v[48:49], v[48:49], v[70:71] neg_lo:[0,1] neg_hi:[0,1]
.LBB25_46:
	s_or_b32 exec_lo, exec_lo, s1
	s_delay_alu instid0(SALU_CYCLE_1)
	s_mov_b32 s2, exec_lo
	s_wait_dscnt 0x0
	s_barrier_signal -1
	s_barrier_wait -1
	v_cmpx_eq_u32_e32 5, v80
	s_cbranch_execz .LBB25_53
; %bb.47:
	v_dual_mov_b32 v64, v20 :: v_dual_mov_b32 v65, v21
	v_dual_mov_b32 v66, v16 :: v_dual_mov_b32 v67, v17
	;; [unrolled: 1-line block ×6, first 2 shown]
	ds_store_b64 v81, v[18:19]
	ds_store_2addr_b64 v82, v[64:65], v[66:67] offset0:6 offset1:7
	ds_store_2addr_b64 v82, v[68:69], v[70:71] offset0:8 offset1:9
	;; [unrolled: 1-line block ×3, first 2 shown]
	ds_store_b64 v82, v[48:49] offset:96
	ds_load_b64 v[64:65], v81
	s_wait_dscnt 0x0
	v_cmp_neq_f32_e32 vcc_lo, 0, v64
	v_cmp_neq_f32_e64 s1, 0, v65
	s_or_b32 s1, vcc_lo, s1
	s_delay_alu instid0(SALU_CYCLE_1)
	s_and_b32 exec_lo, exec_lo, s1
	s_cbranch_execz .LBB25_53
; %bb.48:
	v_cmp_ngt_f32_e64 s1, |v64|, |v65|
                                        ; implicit-def: $vgpr66_vgpr67
	s_and_saveexec_b32 s4, s1
	s_delay_alu instid0(SALU_CYCLE_1)
	s_xor_b32 s1, exec_lo, s4
	s_cbranch_execz .LBB25_50
; %bb.49:
	v_div_scale_f32 v66, null, v65, v65, v64
	v_div_scale_f32 v69, vcc_lo, v64, v65, v64
	s_delay_alu instid0(VALU_DEP_2) | instskip(SKIP_1) | instid1(TRANS32_DEP_1)
	v_rcp_f32_e32 v67, v66
	v_nop
	v_fma_f32 v68, -v66, v67, 1.0
	s_delay_alu instid0(VALU_DEP_1) | instskip(NEXT) | instid1(VALU_DEP_1)
	v_fmac_f32_e32 v67, v68, v67
	v_mul_f32_e32 v68, v69, v67
	s_delay_alu instid0(VALU_DEP_1) | instskip(NEXT) | instid1(VALU_DEP_1)
	v_fma_f32 v70, -v66, v68, v69
	v_fmac_f32_e32 v68, v70, v67
	s_delay_alu instid0(VALU_DEP_1) | instskip(NEXT) | instid1(VALU_DEP_1)
	v_fma_f32 v66, -v66, v68, v69
	v_div_fmas_f32 v66, v66, v67, v68
	s_delay_alu instid0(VALU_DEP_1) | instskip(NEXT) | instid1(VALU_DEP_1)
	v_div_fixup_f32 v66, v66, v65, v64
	v_fmac_f32_e32 v65, v64, v66
	s_delay_alu instid0(VALU_DEP_1) | instskip(SKIP_1) | instid1(VALU_DEP_2)
	v_div_scale_f32 v64, null, v65, v65, 1.0
	v_div_scale_f32 v69, vcc_lo, 1.0, v65, 1.0
	v_rcp_f32_e32 v67, v64
	v_nop
	s_delay_alu instid0(TRANS32_DEP_1) | instskip(NEXT) | instid1(VALU_DEP_1)
	v_fma_f32 v68, -v64, v67, 1.0
	v_fmac_f32_e32 v67, v68, v67
	s_delay_alu instid0(VALU_DEP_1) | instskip(NEXT) | instid1(VALU_DEP_1)
	v_mul_f32_e32 v68, v69, v67
	v_fma_f32 v70, -v64, v68, v69
	s_delay_alu instid0(VALU_DEP_1) | instskip(NEXT) | instid1(VALU_DEP_1)
	v_fmac_f32_e32 v68, v70, v67
	v_fma_f32 v64, -v64, v68, v69
	s_delay_alu instid0(VALU_DEP_1) | instskip(NEXT) | instid1(VALU_DEP_1)
	v_div_fmas_f32 v64, v64, v67, v68
	v_div_fixup_f32 v64, v64, v65, 1.0
	s_delay_alu instid0(VALU_DEP_1)
	v_mul_f32_e32 v66, v66, v64
	v_xor_b32_e32 v67, 0x80000000, v64
                                        ; implicit-def: $vgpr64_vgpr65
.LBB25_50:
	s_and_not1_saveexec_b32 s1, s1
	s_cbranch_execz .LBB25_52
; %bb.51:
	v_div_scale_f32 v66, null, v64, v64, v65
	v_div_scale_f32 v69, vcc_lo, v65, v64, v65
	s_delay_alu instid0(VALU_DEP_2) | instskip(SKIP_1) | instid1(TRANS32_DEP_1)
	v_rcp_f32_e32 v67, v66
	v_nop
	v_fma_f32 v68, -v66, v67, 1.0
	s_delay_alu instid0(VALU_DEP_1) | instskip(NEXT) | instid1(VALU_DEP_1)
	v_fmac_f32_e32 v67, v68, v67
	v_mul_f32_e32 v68, v69, v67
	s_delay_alu instid0(VALU_DEP_1) | instskip(NEXT) | instid1(VALU_DEP_1)
	v_fma_f32 v70, -v66, v68, v69
	v_fmac_f32_e32 v68, v70, v67
	s_delay_alu instid0(VALU_DEP_1) | instskip(NEXT) | instid1(VALU_DEP_1)
	v_fma_f32 v66, -v66, v68, v69
	v_div_fmas_f32 v66, v66, v67, v68
	s_delay_alu instid0(VALU_DEP_1) | instskip(NEXT) | instid1(VALU_DEP_1)
	v_div_fixup_f32 v67, v66, v64, v65
	v_fmac_f32_e32 v64, v65, v67
	s_delay_alu instid0(VALU_DEP_1) | instskip(NEXT) | instid1(VALU_DEP_1)
	v_div_scale_f32 v65, null, v64, v64, 1.0
	v_rcp_f32_e32 v66, v65
	v_nop
	s_delay_alu instid0(TRANS32_DEP_1) | instskip(NEXT) | instid1(VALU_DEP_1)
	v_fma_f32 v68, -v65, v66, 1.0
	v_fmac_f32_e32 v66, v68, v66
	v_div_scale_f32 v68, vcc_lo, 1.0, v64, 1.0
	s_delay_alu instid0(VALU_DEP_1) | instskip(NEXT) | instid1(VALU_DEP_1)
	v_mul_f32_e32 v69, v68, v66
	v_fma_f32 v70, -v65, v69, v68
	s_delay_alu instid0(VALU_DEP_1) | instskip(NEXT) | instid1(VALU_DEP_1)
	v_fmac_f32_e32 v69, v70, v66
	v_fma_f32 v65, -v65, v69, v68
	s_delay_alu instid0(VALU_DEP_1) | instskip(NEXT) | instid1(VALU_DEP_1)
	v_div_fmas_f32 v65, v65, v66, v69
	v_div_fixup_f32 v66, v65, v64, 1.0
	s_delay_alu instid0(VALU_DEP_1)
	v_mul_f32_e64 v67, v67, -v66
.LBB25_52:
	s_or_b32 exec_lo, exec_lo, s1
	ds_store_b64 v81, v[66:67]
.LBB25_53:
	s_or_b32 exec_lo, exec_lo, s2
	s_wait_dscnt 0x0
	s_barrier_signal -1
	s_barrier_wait -1
	ds_load_b64 v[64:65], v81
	s_mov_b32 s1, exec_lo
	v_cmpx_lt_u32_e32 5, v80
	s_cbranch_execz .LBB25_55
; %bb.54:
	s_wait_dscnt 0x0
	v_pk_mul_f32 v[66:67], v[64:65], v[18:19] op_sel:[1,1] op_sel_hi:[0,1]
	s_delay_alu instid0(VALU_DEP_1)
	v_pk_fma_f32 v[70:71], v[64:65], v[18:19], v[66:67] op_sel_hi:[1,0,1] neg_lo:[0,0,1] neg_hi:[0,0,1]
	v_pk_fma_f32 v[72:73], v[64:65], v[18:19], v[66:67] op_sel_hi:[1,0,1]
	ds_load_2addr_b64 v[66:69], v82 offset0:6 offset1:7
	v_dual_mov_b32 v18, v70 :: v_dual_mov_b32 v19, v73
	s_wait_dscnt 0x0
	v_pk_mul_f32 v[74:75], v[66:67], v[72:73] op_sel:[0,1]
	s_delay_alu instid0(VALU_DEP_1) | instskip(SKIP_1) | instid1(VALU_DEP_1)
	v_pk_fma_f32 v[76:77], v[66:67], v[70:71], v[74:75] op_sel:[0,0,1] op_sel_hi:[1,1,0] neg_lo:[0,0,1] neg_hi:[0,0,1]
	v_pk_fma_f32 v[66:67], v[66:67], v[70:71], v[74:75] op_sel:[0,0,1] op_sel_hi:[1,0,0]
	v_mov_b32_e32 v77, v67
	v_pk_mul_f32 v[66:67], v[68:69], v[72:73] op_sel:[0,1]
	s_delay_alu instid0(VALU_DEP_1) | instskip(SKIP_1) | instid1(VALU_DEP_1)
	v_pk_fma_f32 v[74:75], v[68:69], v[70:71], v[66:67] op_sel:[0,0,1] op_sel_hi:[1,1,0] neg_lo:[0,0,1] neg_hi:[0,0,1]
	v_pk_fma_f32 v[66:67], v[68:69], v[70:71], v[66:67] op_sel:[0,0,1] op_sel_hi:[1,0,0]
	v_mov_b32_e32 v75, v67
	ds_load_2addr_b64 v[66:69], v82 offset0:8 offset1:9
	v_pk_add_f32 v[20:21], v[20:21], v[76:77] neg_lo:[0,1] neg_hi:[0,1]
	v_pk_add_f32 v[16:17], v[16:17], v[74:75] neg_lo:[0,1] neg_hi:[0,1]
	s_wait_dscnt 0x0
	v_pk_mul_f32 v[74:75], v[66:67], v[72:73] op_sel:[0,1]
	s_delay_alu instid0(VALU_DEP_1) | instskip(SKIP_2) | instid1(VALU_DEP_2)
	v_pk_fma_f32 v[76:77], v[66:67], v[70:71], v[74:75] op_sel:[0,0,1] op_sel_hi:[1,1,0] neg_lo:[0,0,1] neg_hi:[0,0,1]
	v_pk_fma_f32 v[66:67], v[66:67], v[70:71], v[74:75] op_sel:[0,0,1] op_sel_hi:[1,0,0]
	v_dual_mul_f32 v74, v69, v73 :: v_dual_mov_b32 v66, v69
	v_dual_mov_b32 v77, v67 :: v_dual_mov_b32 v67, v68
	s_delay_alu instid0(VALU_DEP_2) | instskip(SKIP_1) | instid1(VALU_DEP_3)
	v_pk_fma_f32 v[74:75], v[68:69], v[18:19], v[74:75] op_sel_hi:[1,1,0] neg_lo:[0,0,1] neg_hi:[0,0,1]
	v_mul_f32_e32 v68, v69, v70
	v_pk_add_f32 v[44:45], v[44:45], v[76:77] neg_lo:[0,1] neg_hi:[0,1]
	s_delay_alu instid0(VALU_DEP_2) | instskip(NEXT) | instid1(VALU_DEP_1)
	v_pk_fma_f32 v[66:67], v[66:67], v[18:19], v[68:69] op_sel_hi:[1,1,0]
	v_mov_b32_e32 v75, v67
	ds_load_2addr_b64 v[66:69], v82 offset0:10 offset1:11
	v_pk_add_f32 v[52:53], v[52:53], v[74:75] neg_lo:[0,1] neg_hi:[0,1]
	s_wait_dscnt 0x0
	v_pk_mul_f32 v[74:75], v[66:67], v[72:73] op_sel:[0,1]
	s_delay_alu instid0(VALU_DEP_1) | instskip(SKIP_1) | instid1(VALU_DEP_1)
	v_pk_fma_f32 v[76:77], v[66:67], v[70:71], v[74:75] op_sel:[0,0,1] op_sel_hi:[1,1,0] neg_lo:[0,0,1] neg_hi:[0,0,1]
	v_pk_fma_f32 v[66:67], v[66:67], v[70:71], v[74:75] op_sel:[0,0,1] op_sel_hi:[1,0,0]
	v_mov_b32_e32 v77, v67
	v_pk_mul_f32 v[66:67], v[68:69], v[72:73] op_sel:[0,1]
	s_delay_alu instid0(VALU_DEP_1) | instskip(SKIP_1) | instid1(VALU_DEP_1)
	v_pk_fma_f32 v[74:75], v[68:69], v[70:71], v[66:67] op_sel:[0,0,1] op_sel_hi:[1,1,0] neg_lo:[0,0,1] neg_hi:[0,0,1]
	v_pk_fma_f32 v[66:67], v[68:69], v[70:71], v[66:67] op_sel:[0,0,1] op_sel_hi:[1,0,0]
	v_mov_b32_e32 v75, v67
	ds_load_b64 v[66:67], v82 offset:96
	v_pk_add_f32 v[50:51], v[50:51], v[76:77] neg_lo:[0,1] neg_hi:[0,1]
	v_pk_add_f32 v[46:47], v[46:47], v[74:75] neg_lo:[0,1] neg_hi:[0,1]
	s_wait_dscnt 0x0
	v_pk_mul_f32 v[68:69], v[66:67], v[72:73] op_sel:[0,1]
	s_delay_alu instid0(VALU_DEP_1) | instskip(SKIP_1) | instid1(VALU_DEP_1)
	v_pk_fma_f32 v[72:73], v[66:67], v[70:71], v[68:69] op_sel:[0,0,1] op_sel_hi:[1,1,0] neg_lo:[0,0,1] neg_hi:[0,0,1]
	v_pk_fma_f32 v[66:67], v[66:67], v[70:71], v[68:69] op_sel:[0,0,1] op_sel_hi:[1,0,0]
	v_mov_b32_e32 v73, v67
	s_delay_alu instid0(VALU_DEP_1)
	v_pk_add_f32 v[48:49], v[48:49], v[72:73] neg_lo:[0,1] neg_hi:[0,1]
.LBB25_55:
	s_or_b32 exec_lo, exec_lo, s1
	s_delay_alu instid0(SALU_CYCLE_1)
	s_mov_b32 s2, exec_lo
	s_wait_dscnt 0x0
	s_barrier_signal -1
	s_barrier_wait -1
	v_cmpx_eq_u32_e32 6, v80
	s_cbranch_execz .LBB25_62
; %bb.56:
	ds_store_b64 v81, v[20:21]
	ds_store_2addr_b64 v82, v[16:17], v[44:45] offset0:7 offset1:8
	ds_store_2addr_b64 v82, v[52:53], v[50:51] offset0:9 offset1:10
	;; [unrolled: 1-line block ×3, first 2 shown]
	ds_load_b64 v[66:67], v81
	s_wait_dscnt 0x0
	v_cmp_neq_f32_e32 vcc_lo, 0, v66
	v_cmp_neq_f32_e64 s1, 0, v67
	s_or_b32 s1, vcc_lo, s1
	s_delay_alu instid0(SALU_CYCLE_1)
	s_and_b32 exec_lo, exec_lo, s1
	s_cbranch_execz .LBB25_62
; %bb.57:
	v_cmp_ngt_f32_e64 s1, |v66|, |v67|
                                        ; implicit-def: $vgpr68_vgpr69
	s_and_saveexec_b32 s4, s1
	s_delay_alu instid0(SALU_CYCLE_1)
	s_xor_b32 s1, exec_lo, s4
	s_cbranch_execz .LBB25_59
; %bb.58:
	v_div_scale_f32 v68, null, v67, v67, v66
	v_div_scale_f32 v71, vcc_lo, v66, v67, v66
	s_delay_alu instid0(VALU_DEP_2) | instskip(SKIP_1) | instid1(TRANS32_DEP_1)
	v_rcp_f32_e32 v69, v68
	v_nop
	v_fma_f32 v70, -v68, v69, 1.0
	s_delay_alu instid0(VALU_DEP_1) | instskip(NEXT) | instid1(VALU_DEP_1)
	v_fmac_f32_e32 v69, v70, v69
	v_mul_f32_e32 v70, v71, v69
	s_delay_alu instid0(VALU_DEP_1) | instskip(NEXT) | instid1(VALU_DEP_1)
	v_fma_f32 v72, -v68, v70, v71
	v_fmac_f32_e32 v70, v72, v69
	s_delay_alu instid0(VALU_DEP_1) | instskip(NEXT) | instid1(VALU_DEP_1)
	v_fma_f32 v68, -v68, v70, v71
	v_div_fmas_f32 v68, v68, v69, v70
	s_delay_alu instid0(VALU_DEP_1) | instskip(NEXT) | instid1(VALU_DEP_1)
	v_div_fixup_f32 v68, v68, v67, v66
	v_fmac_f32_e32 v67, v66, v68
	s_delay_alu instid0(VALU_DEP_1) | instskip(SKIP_1) | instid1(VALU_DEP_2)
	v_div_scale_f32 v66, null, v67, v67, 1.0
	v_div_scale_f32 v71, vcc_lo, 1.0, v67, 1.0
	v_rcp_f32_e32 v69, v66
	v_nop
	s_delay_alu instid0(TRANS32_DEP_1) | instskip(NEXT) | instid1(VALU_DEP_1)
	v_fma_f32 v70, -v66, v69, 1.0
	v_fmac_f32_e32 v69, v70, v69
	s_delay_alu instid0(VALU_DEP_1) | instskip(NEXT) | instid1(VALU_DEP_1)
	v_mul_f32_e32 v70, v71, v69
	v_fma_f32 v72, -v66, v70, v71
	s_delay_alu instid0(VALU_DEP_1) | instskip(NEXT) | instid1(VALU_DEP_1)
	v_fmac_f32_e32 v70, v72, v69
	v_fma_f32 v66, -v66, v70, v71
	s_delay_alu instid0(VALU_DEP_1) | instskip(NEXT) | instid1(VALU_DEP_1)
	v_div_fmas_f32 v66, v66, v69, v70
	v_div_fixup_f32 v66, v66, v67, 1.0
	s_delay_alu instid0(VALU_DEP_1)
	v_mul_f32_e32 v68, v68, v66
	v_xor_b32_e32 v69, 0x80000000, v66
                                        ; implicit-def: $vgpr66_vgpr67
.LBB25_59:
	s_and_not1_saveexec_b32 s1, s1
	s_cbranch_execz .LBB25_61
; %bb.60:
	v_div_scale_f32 v68, null, v66, v66, v67
	v_div_scale_f32 v71, vcc_lo, v67, v66, v67
	s_delay_alu instid0(VALU_DEP_2) | instskip(SKIP_1) | instid1(TRANS32_DEP_1)
	v_rcp_f32_e32 v69, v68
	v_nop
	v_fma_f32 v70, -v68, v69, 1.0
	s_delay_alu instid0(VALU_DEP_1) | instskip(NEXT) | instid1(VALU_DEP_1)
	v_fmac_f32_e32 v69, v70, v69
	v_mul_f32_e32 v70, v71, v69
	s_delay_alu instid0(VALU_DEP_1) | instskip(NEXT) | instid1(VALU_DEP_1)
	v_fma_f32 v72, -v68, v70, v71
	v_fmac_f32_e32 v70, v72, v69
	s_delay_alu instid0(VALU_DEP_1) | instskip(NEXT) | instid1(VALU_DEP_1)
	v_fma_f32 v68, -v68, v70, v71
	v_div_fmas_f32 v68, v68, v69, v70
	s_delay_alu instid0(VALU_DEP_1) | instskip(NEXT) | instid1(VALU_DEP_1)
	v_div_fixup_f32 v69, v68, v66, v67
	v_fmac_f32_e32 v66, v67, v69
	s_delay_alu instid0(VALU_DEP_1) | instskip(NEXT) | instid1(VALU_DEP_1)
	v_div_scale_f32 v67, null, v66, v66, 1.0
	v_rcp_f32_e32 v68, v67
	v_nop
	s_delay_alu instid0(TRANS32_DEP_1) | instskip(NEXT) | instid1(VALU_DEP_1)
	v_fma_f32 v70, -v67, v68, 1.0
	v_fmac_f32_e32 v68, v70, v68
	v_div_scale_f32 v70, vcc_lo, 1.0, v66, 1.0
	s_delay_alu instid0(VALU_DEP_1) | instskip(NEXT) | instid1(VALU_DEP_1)
	v_mul_f32_e32 v71, v70, v68
	v_fma_f32 v72, -v67, v71, v70
	s_delay_alu instid0(VALU_DEP_1) | instskip(NEXT) | instid1(VALU_DEP_1)
	v_fmac_f32_e32 v71, v72, v68
	v_fma_f32 v67, -v67, v71, v70
	s_delay_alu instid0(VALU_DEP_1) | instskip(NEXT) | instid1(VALU_DEP_1)
	v_div_fmas_f32 v67, v67, v68, v71
	v_div_fixup_f32 v68, v67, v66, 1.0
	s_delay_alu instid0(VALU_DEP_1)
	v_mul_f32_e64 v69, v69, -v68
.LBB25_61:
	s_or_b32 exec_lo, exec_lo, s1
	ds_store_b64 v81, v[68:69]
.LBB25_62:
	s_or_b32 exec_lo, exec_lo, s2
	s_wait_dscnt 0x0
	s_barrier_signal -1
	s_barrier_wait -1
	ds_load_b64 v[66:67], v81
	s_mov_b32 s1, exec_lo
	v_cmpx_lt_u32_e32 6, v80
	s_cbranch_execz .LBB25_64
; %bb.63:
	s_wait_dscnt 0x0
	v_pk_mul_f32 v[68:69], v[66:67], v[20:21] op_sel:[1,1] op_sel_hi:[0,1]
	s_delay_alu instid0(VALU_DEP_1)
	v_pk_fma_f32 v[72:73], v[66:67], v[20:21], v[68:69] op_sel_hi:[1,0,1] neg_lo:[0,0,1] neg_hi:[0,0,1]
	v_pk_fma_f32 v[74:75], v[66:67], v[20:21], v[68:69] op_sel_hi:[1,0,1]
	ds_load_2addr_b64 v[68:71], v82 offset0:7 offset1:8
	v_dual_mov_b32 v20, v72 :: v_dual_mov_b32 v21, v75
	s_wait_dscnt 0x0
	v_pk_mul_f32 v[76:77], v[68:69], v[74:75] op_sel:[0,1]
	s_delay_alu instid0(VALU_DEP_1) | instskip(SKIP_1) | instid1(VALU_DEP_1)
	v_pk_fma_f32 v[78:79], v[68:69], v[72:73], v[76:77] op_sel:[0,0,1] op_sel_hi:[1,1,0] neg_lo:[0,0,1] neg_hi:[0,0,1]
	v_pk_fma_f32 v[68:69], v[68:69], v[72:73], v[76:77] op_sel:[0,0,1] op_sel_hi:[1,0,0]
	v_mov_b32_e32 v79, v69
	v_pk_mul_f32 v[68:69], v[70:71], v[74:75] op_sel:[0,1]
	s_delay_alu instid0(VALU_DEP_1) | instskip(SKIP_1) | instid1(VALU_DEP_1)
	v_pk_fma_f32 v[76:77], v[70:71], v[72:73], v[68:69] op_sel:[0,0,1] op_sel_hi:[1,1,0] neg_lo:[0,0,1] neg_hi:[0,0,1]
	v_pk_fma_f32 v[68:69], v[70:71], v[72:73], v[68:69] op_sel:[0,0,1] op_sel_hi:[1,0,0]
	v_mov_b32_e32 v77, v69
	ds_load_2addr_b64 v[68:71], v82 offset0:9 offset1:10
	v_pk_add_f32 v[16:17], v[16:17], v[78:79] neg_lo:[0,1] neg_hi:[0,1]
	v_pk_add_f32 v[44:45], v[44:45], v[76:77] neg_lo:[0,1] neg_hi:[0,1]
	s_wait_dscnt 0x0
	v_pk_mul_f32 v[76:77], v[68:69], v[74:75] op_sel:[0,1]
	s_delay_alu instid0(VALU_DEP_1) | instskip(SKIP_2) | instid1(VALU_DEP_2)
	v_pk_fma_f32 v[78:79], v[68:69], v[72:73], v[76:77] op_sel:[0,0,1] op_sel_hi:[1,1,0] neg_lo:[0,0,1] neg_hi:[0,0,1]
	v_pk_fma_f32 v[68:69], v[68:69], v[72:73], v[76:77] op_sel:[0,0,1] op_sel_hi:[1,0,0]
	v_dual_mul_f32 v76, v71, v75 :: v_dual_mov_b32 v68, v71
	v_dual_mov_b32 v79, v69 :: v_dual_mov_b32 v69, v70
	s_delay_alu instid0(VALU_DEP_2) | instskip(SKIP_1) | instid1(VALU_DEP_3)
	v_pk_fma_f32 v[76:77], v[70:71], v[20:21], v[76:77] op_sel_hi:[1,1,0] neg_lo:[0,0,1] neg_hi:[0,0,1]
	v_mul_f32_e32 v70, v71, v72
	v_pk_add_f32 v[52:53], v[52:53], v[78:79] neg_lo:[0,1] neg_hi:[0,1]
	s_delay_alu instid0(VALU_DEP_2) | instskip(NEXT) | instid1(VALU_DEP_1)
	v_pk_fma_f32 v[68:69], v[68:69], v[20:21], v[70:71] op_sel_hi:[1,1,0]
	v_mov_b32_e32 v77, v69
	ds_load_2addr_b64 v[68:71], v82 offset0:11 offset1:12
	v_pk_add_f32 v[50:51], v[50:51], v[76:77] neg_lo:[0,1] neg_hi:[0,1]
	s_wait_dscnt 0x0
	v_pk_mul_f32 v[76:77], v[68:69], v[74:75] op_sel:[0,1]
	v_mul_f32_e32 v74, v71, v75
	s_delay_alu instid0(VALU_DEP_2) | instskip(SKIP_2) | instid1(VALU_DEP_4)
	v_pk_fma_f32 v[78:79], v[68:69], v[72:73], v[76:77] op_sel:[0,0,1] op_sel_hi:[1,1,0] neg_lo:[0,0,1] neg_hi:[0,0,1]
	v_pk_fma_f32 v[68:69], v[68:69], v[72:73], v[76:77] op_sel:[0,0,1] op_sel_hi:[1,0,0]
	v_mov_b32_e32 v68, v71
	v_pk_fma_f32 v[74:75], v[70:71], v[20:21], v[74:75] op_sel_hi:[1,1,0] neg_lo:[0,0,1] neg_hi:[0,0,1]
	s_delay_alu instid0(VALU_DEP_3) | instskip(SKIP_1) | instid1(VALU_DEP_2)
	v_dual_mov_b32 v79, v69 :: v_dual_mov_b32 v69, v70
	v_mul_f32_e32 v70, v71, v72
	v_pk_add_f32 v[46:47], v[46:47], v[78:79] neg_lo:[0,1] neg_hi:[0,1]
	s_delay_alu instid0(VALU_DEP_2) | instskip(NEXT) | instid1(VALU_DEP_1)
	v_pk_fma_f32 v[68:69], v[68:69], v[20:21], v[70:71] op_sel_hi:[1,1,0]
	v_mov_b32_e32 v75, v69
	s_delay_alu instid0(VALU_DEP_1)
	v_pk_add_f32 v[48:49], v[48:49], v[74:75] neg_lo:[0,1] neg_hi:[0,1]
.LBB25_64:
	s_or_b32 exec_lo, exec_lo, s1
	s_delay_alu instid0(SALU_CYCLE_1)
	s_mov_b32 s2, exec_lo
	s_wait_dscnt 0x0
	s_barrier_signal -1
	s_barrier_wait -1
	v_cmpx_eq_u32_e32 7, v80
	s_cbranch_execz .LBB25_71
; %bb.65:
	v_dual_mov_b32 v68, v44 :: v_dual_mov_b32 v69, v45
	v_dual_mov_b32 v70, v52 :: v_dual_mov_b32 v71, v53
	;; [unrolled: 1-line block ×4, first 2 shown]
	ds_store_b64 v81, v[16:17]
	ds_store_2addr_b64 v82, v[68:69], v[70:71] offset0:8 offset1:9
	ds_store_2addr_b64 v82, v[72:73], v[74:75] offset0:10 offset1:11
	ds_store_b64 v82, v[48:49] offset:96
	ds_load_b64 v[68:69], v81
	s_wait_dscnt 0x0
	v_cmp_neq_f32_e32 vcc_lo, 0, v68
	v_cmp_neq_f32_e64 s1, 0, v69
	s_or_b32 s1, vcc_lo, s1
	s_delay_alu instid0(SALU_CYCLE_1)
	s_and_b32 exec_lo, exec_lo, s1
	s_cbranch_execz .LBB25_71
; %bb.66:
	v_cmp_ngt_f32_e64 s1, |v68|, |v69|
                                        ; implicit-def: $vgpr70_vgpr71
	s_and_saveexec_b32 s4, s1
	s_delay_alu instid0(SALU_CYCLE_1)
	s_xor_b32 s1, exec_lo, s4
	s_cbranch_execz .LBB25_68
; %bb.67:
	v_div_scale_f32 v70, null, v69, v69, v68
	v_div_scale_f32 v73, vcc_lo, v68, v69, v68
	s_delay_alu instid0(VALU_DEP_2) | instskip(SKIP_1) | instid1(TRANS32_DEP_1)
	v_rcp_f32_e32 v71, v70
	v_nop
	v_fma_f32 v72, -v70, v71, 1.0
	s_delay_alu instid0(VALU_DEP_1) | instskip(NEXT) | instid1(VALU_DEP_1)
	v_fmac_f32_e32 v71, v72, v71
	v_mul_f32_e32 v72, v73, v71
	s_delay_alu instid0(VALU_DEP_1) | instskip(NEXT) | instid1(VALU_DEP_1)
	v_fma_f32 v74, -v70, v72, v73
	v_fmac_f32_e32 v72, v74, v71
	s_delay_alu instid0(VALU_DEP_1) | instskip(NEXT) | instid1(VALU_DEP_1)
	v_fma_f32 v70, -v70, v72, v73
	v_div_fmas_f32 v70, v70, v71, v72
	s_delay_alu instid0(VALU_DEP_1) | instskip(NEXT) | instid1(VALU_DEP_1)
	v_div_fixup_f32 v70, v70, v69, v68
	v_fmac_f32_e32 v69, v68, v70
	s_delay_alu instid0(VALU_DEP_1) | instskip(SKIP_1) | instid1(VALU_DEP_2)
	v_div_scale_f32 v68, null, v69, v69, 1.0
	v_div_scale_f32 v73, vcc_lo, 1.0, v69, 1.0
	v_rcp_f32_e32 v71, v68
	v_nop
	s_delay_alu instid0(TRANS32_DEP_1) | instskip(NEXT) | instid1(VALU_DEP_1)
	v_fma_f32 v72, -v68, v71, 1.0
	v_fmac_f32_e32 v71, v72, v71
	s_delay_alu instid0(VALU_DEP_1) | instskip(NEXT) | instid1(VALU_DEP_1)
	v_mul_f32_e32 v72, v73, v71
	v_fma_f32 v74, -v68, v72, v73
	s_delay_alu instid0(VALU_DEP_1) | instskip(NEXT) | instid1(VALU_DEP_1)
	v_fmac_f32_e32 v72, v74, v71
	v_fma_f32 v68, -v68, v72, v73
	s_delay_alu instid0(VALU_DEP_1) | instskip(NEXT) | instid1(VALU_DEP_1)
	v_div_fmas_f32 v68, v68, v71, v72
	v_div_fixup_f32 v68, v68, v69, 1.0
	s_delay_alu instid0(VALU_DEP_1)
	v_mul_f32_e32 v70, v70, v68
	v_xor_b32_e32 v71, 0x80000000, v68
                                        ; implicit-def: $vgpr68_vgpr69
.LBB25_68:
	s_and_not1_saveexec_b32 s1, s1
	s_cbranch_execz .LBB25_70
; %bb.69:
	v_div_scale_f32 v70, null, v68, v68, v69
	v_div_scale_f32 v73, vcc_lo, v69, v68, v69
	s_delay_alu instid0(VALU_DEP_2) | instskip(SKIP_1) | instid1(TRANS32_DEP_1)
	v_rcp_f32_e32 v71, v70
	v_nop
	v_fma_f32 v72, -v70, v71, 1.0
	s_delay_alu instid0(VALU_DEP_1) | instskip(NEXT) | instid1(VALU_DEP_1)
	v_fmac_f32_e32 v71, v72, v71
	v_mul_f32_e32 v72, v73, v71
	s_delay_alu instid0(VALU_DEP_1) | instskip(NEXT) | instid1(VALU_DEP_1)
	v_fma_f32 v74, -v70, v72, v73
	v_fmac_f32_e32 v72, v74, v71
	s_delay_alu instid0(VALU_DEP_1) | instskip(NEXT) | instid1(VALU_DEP_1)
	v_fma_f32 v70, -v70, v72, v73
	v_div_fmas_f32 v70, v70, v71, v72
	s_delay_alu instid0(VALU_DEP_1) | instskip(NEXT) | instid1(VALU_DEP_1)
	v_div_fixup_f32 v71, v70, v68, v69
	v_fmac_f32_e32 v68, v69, v71
	s_delay_alu instid0(VALU_DEP_1) | instskip(NEXT) | instid1(VALU_DEP_1)
	v_div_scale_f32 v69, null, v68, v68, 1.0
	v_rcp_f32_e32 v70, v69
	v_nop
	s_delay_alu instid0(TRANS32_DEP_1) | instskip(NEXT) | instid1(VALU_DEP_1)
	v_fma_f32 v72, -v69, v70, 1.0
	v_fmac_f32_e32 v70, v72, v70
	v_div_scale_f32 v72, vcc_lo, 1.0, v68, 1.0
	s_delay_alu instid0(VALU_DEP_1) | instskip(NEXT) | instid1(VALU_DEP_1)
	v_mul_f32_e32 v73, v72, v70
	v_fma_f32 v74, -v69, v73, v72
	s_delay_alu instid0(VALU_DEP_1) | instskip(NEXT) | instid1(VALU_DEP_1)
	v_fmac_f32_e32 v73, v74, v70
	v_fma_f32 v69, -v69, v73, v72
	s_delay_alu instid0(VALU_DEP_1) | instskip(NEXT) | instid1(VALU_DEP_1)
	v_div_fmas_f32 v69, v69, v70, v73
	v_div_fixup_f32 v70, v69, v68, 1.0
	s_delay_alu instid0(VALU_DEP_1)
	v_mul_f32_e64 v71, v71, -v70
.LBB25_70:
	s_or_b32 exec_lo, exec_lo, s1
	ds_store_b64 v81, v[70:71]
.LBB25_71:
	s_or_b32 exec_lo, exec_lo, s2
	s_wait_dscnt 0x0
	s_barrier_signal -1
	s_barrier_wait -1
	ds_load_b64 v[68:69], v81
	s_mov_b32 s1, exec_lo
	v_cmpx_lt_u32_e32 7, v80
	s_cbranch_execz .LBB25_73
; %bb.72:
	s_wait_dscnt 0x0
	v_pk_mul_f32 v[70:71], v[68:69], v[16:17] op_sel:[1,1] op_sel_hi:[0,1]
	s_delay_alu instid0(VALU_DEP_1)
	v_pk_fma_f32 v[74:75], v[68:69], v[16:17], v[70:71] op_sel_hi:[1,0,1] neg_lo:[0,0,1] neg_hi:[0,0,1]
	v_pk_fma_f32 v[76:77], v[68:69], v[16:17], v[70:71] op_sel_hi:[1,0,1]
	ds_load_2addr_b64 v[70:73], v82 offset0:8 offset1:9
	v_dual_mov_b32 v16, v74 :: v_dual_mov_b32 v17, v77
	s_wait_dscnt 0x0
	v_pk_mul_f32 v[78:79], v[70:71], v[76:77] op_sel:[0,1]
	s_delay_alu instid0(VALU_DEP_1) | instskip(SKIP_1) | instid1(VALU_DEP_1)
	v_pk_fma_f32 v[84:85], v[70:71], v[74:75], v[78:79] op_sel:[0,0,1] op_sel_hi:[1,1,0] neg_lo:[0,0,1] neg_hi:[0,0,1]
	v_pk_fma_f32 v[70:71], v[70:71], v[74:75], v[78:79] op_sel:[0,0,1] op_sel_hi:[1,0,0]
	v_mov_b32_e32 v85, v71
	v_pk_mul_f32 v[70:71], v[72:73], v[76:77] op_sel:[0,1]
	s_delay_alu instid0(VALU_DEP_1) | instskip(SKIP_1) | instid1(VALU_DEP_1)
	v_pk_fma_f32 v[78:79], v[72:73], v[74:75], v[70:71] op_sel:[0,0,1] op_sel_hi:[1,1,0] neg_lo:[0,0,1] neg_hi:[0,0,1]
	v_pk_fma_f32 v[70:71], v[72:73], v[74:75], v[70:71] op_sel:[0,0,1] op_sel_hi:[1,0,0]
	v_mov_b32_e32 v79, v71
	ds_load_2addr_b64 v[70:73], v82 offset0:10 offset1:11
	v_pk_add_f32 v[44:45], v[44:45], v[84:85] neg_lo:[0,1] neg_hi:[0,1]
	v_pk_add_f32 v[52:53], v[52:53], v[78:79] neg_lo:[0,1] neg_hi:[0,1]
	s_wait_dscnt 0x0
	v_pk_mul_f32 v[78:79], v[70:71], v[76:77] op_sel:[0,1]
	s_delay_alu instid0(VALU_DEP_1) | instskip(SKIP_2) | instid1(VALU_DEP_2)
	v_pk_fma_f32 v[84:85], v[70:71], v[74:75], v[78:79] op_sel:[0,0,1] op_sel_hi:[1,1,0] neg_lo:[0,0,1] neg_hi:[0,0,1]
	v_pk_fma_f32 v[70:71], v[70:71], v[74:75], v[78:79] op_sel:[0,0,1] op_sel_hi:[1,0,0]
	v_dual_mul_f32 v78, v73, v77 :: v_dual_mov_b32 v70, v73
	v_dual_mov_b32 v85, v71 :: v_dual_mov_b32 v71, v72
	s_delay_alu instid0(VALU_DEP_2) | instskip(SKIP_1) | instid1(VALU_DEP_3)
	v_pk_fma_f32 v[78:79], v[72:73], v[16:17], v[78:79] op_sel_hi:[1,1,0] neg_lo:[0,0,1] neg_hi:[0,0,1]
	v_mul_f32_e32 v72, v73, v74
	v_pk_add_f32 v[50:51], v[50:51], v[84:85] neg_lo:[0,1] neg_hi:[0,1]
	s_delay_alu instid0(VALU_DEP_2) | instskip(NEXT) | instid1(VALU_DEP_1)
	v_pk_fma_f32 v[70:71], v[70:71], v[16:17], v[72:73] op_sel_hi:[1,1,0]
	v_mov_b32_e32 v79, v71
	ds_load_b64 v[70:71], v82 offset:96
	v_pk_add_f32 v[46:47], v[46:47], v[78:79] neg_lo:[0,1] neg_hi:[0,1]
	s_wait_dscnt 0x0
	v_pk_mul_f32 v[72:73], v[70:71], v[76:77] op_sel:[0,1]
	s_delay_alu instid0(VALU_DEP_1) | instskip(SKIP_1) | instid1(VALU_DEP_1)
	v_pk_fma_f32 v[76:77], v[70:71], v[74:75], v[72:73] op_sel:[0,0,1] op_sel_hi:[1,1,0] neg_lo:[0,0,1] neg_hi:[0,0,1]
	v_pk_fma_f32 v[70:71], v[70:71], v[74:75], v[72:73] op_sel:[0,0,1] op_sel_hi:[1,0,0]
	v_mov_b32_e32 v77, v71
	s_delay_alu instid0(VALU_DEP_1)
	v_pk_add_f32 v[48:49], v[48:49], v[76:77] neg_lo:[0,1] neg_hi:[0,1]
.LBB25_73:
	s_or_b32 exec_lo, exec_lo, s1
	s_delay_alu instid0(SALU_CYCLE_1)
	s_mov_b32 s2, exec_lo
	s_wait_dscnt 0x0
	s_barrier_signal -1
	s_barrier_wait -1
	v_cmpx_eq_u32_e32 8, v80
	s_cbranch_execz .LBB25_80
; %bb.74:
	ds_store_b64 v81, v[44:45]
	ds_store_2addr_b64 v82, v[52:53], v[50:51] offset0:9 offset1:10
	ds_store_2addr_b64 v82, v[46:47], v[48:49] offset0:11 offset1:12
	ds_load_b64 v[70:71], v81
	s_wait_dscnt 0x0
	v_cmp_neq_f32_e32 vcc_lo, 0, v70
	v_cmp_neq_f32_e64 s1, 0, v71
	s_or_b32 s1, vcc_lo, s1
	s_delay_alu instid0(SALU_CYCLE_1)
	s_and_b32 exec_lo, exec_lo, s1
	s_cbranch_execz .LBB25_80
; %bb.75:
	v_cmp_ngt_f32_e64 s1, |v70|, |v71|
                                        ; implicit-def: $vgpr72_vgpr73
	s_and_saveexec_b32 s4, s1
	s_delay_alu instid0(SALU_CYCLE_1)
	s_xor_b32 s1, exec_lo, s4
	s_cbranch_execz .LBB25_77
; %bb.76:
	v_div_scale_f32 v72, null, v71, v71, v70
	v_div_scale_f32 v75, vcc_lo, v70, v71, v70
	s_delay_alu instid0(VALU_DEP_2) | instskip(SKIP_1) | instid1(TRANS32_DEP_1)
	v_rcp_f32_e32 v73, v72
	v_nop
	v_fma_f32 v74, -v72, v73, 1.0
	s_delay_alu instid0(VALU_DEP_1) | instskip(NEXT) | instid1(VALU_DEP_1)
	v_fmac_f32_e32 v73, v74, v73
	v_mul_f32_e32 v74, v75, v73
	s_delay_alu instid0(VALU_DEP_1) | instskip(NEXT) | instid1(VALU_DEP_1)
	v_fma_f32 v76, -v72, v74, v75
	v_fmac_f32_e32 v74, v76, v73
	s_delay_alu instid0(VALU_DEP_1) | instskip(NEXT) | instid1(VALU_DEP_1)
	v_fma_f32 v72, -v72, v74, v75
	v_div_fmas_f32 v72, v72, v73, v74
	s_delay_alu instid0(VALU_DEP_1) | instskip(NEXT) | instid1(VALU_DEP_1)
	v_div_fixup_f32 v72, v72, v71, v70
	v_fmac_f32_e32 v71, v70, v72
	s_delay_alu instid0(VALU_DEP_1) | instskip(SKIP_1) | instid1(VALU_DEP_2)
	v_div_scale_f32 v70, null, v71, v71, 1.0
	v_div_scale_f32 v75, vcc_lo, 1.0, v71, 1.0
	v_rcp_f32_e32 v73, v70
	v_nop
	s_delay_alu instid0(TRANS32_DEP_1) | instskip(NEXT) | instid1(VALU_DEP_1)
	v_fma_f32 v74, -v70, v73, 1.0
	v_fmac_f32_e32 v73, v74, v73
	s_delay_alu instid0(VALU_DEP_1) | instskip(NEXT) | instid1(VALU_DEP_1)
	v_mul_f32_e32 v74, v75, v73
	v_fma_f32 v76, -v70, v74, v75
	s_delay_alu instid0(VALU_DEP_1) | instskip(NEXT) | instid1(VALU_DEP_1)
	v_fmac_f32_e32 v74, v76, v73
	v_fma_f32 v70, -v70, v74, v75
	s_delay_alu instid0(VALU_DEP_1) | instskip(NEXT) | instid1(VALU_DEP_1)
	v_div_fmas_f32 v70, v70, v73, v74
	v_div_fixup_f32 v70, v70, v71, 1.0
	s_delay_alu instid0(VALU_DEP_1)
	v_mul_f32_e32 v72, v72, v70
	v_xor_b32_e32 v73, 0x80000000, v70
                                        ; implicit-def: $vgpr70_vgpr71
.LBB25_77:
	s_and_not1_saveexec_b32 s1, s1
	s_cbranch_execz .LBB25_79
; %bb.78:
	v_div_scale_f32 v72, null, v70, v70, v71
	v_div_scale_f32 v75, vcc_lo, v71, v70, v71
	s_delay_alu instid0(VALU_DEP_2) | instskip(SKIP_1) | instid1(TRANS32_DEP_1)
	v_rcp_f32_e32 v73, v72
	v_nop
	v_fma_f32 v74, -v72, v73, 1.0
	s_delay_alu instid0(VALU_DEP_1) | instskip(NEXT) | instid1(VALU_DEP_1)
	v_fmac_f32_e32 v73, v74, v73
	v_mul_f32_e32 v74, v75, v73
	s_delay_alu instid0(VALU_DEP_1) | instskip(NEXT) | instid1(VALU_DEP_1)
	v_fma_f32 v76, -v72, v74, v75
	v_fmac_f32_e32 v74, v76, v73
	s_delay_alu instid0(VALU_DEP_1) | instskip(NEXT) | instid1(VALU_DEP_1)
	v_fma_f32 v72, -v72, v74, v75
	v_div_fmas_f32 v72, v72, v73, v74
	s_delay_alu instid0(VALU_DEP_1) | instskip(NEXT) | instid1(VALU_DEP_1)
	v_div_fixup_f32 v73, v72, v70, v71
	v_fmac_f32_e32 v70, v71, v73
	s_delay_alu instid0(VALU_DEP_1) | instskip(NEXT) | instid1(VALU_DEP_1)
	v_div_scale_f32 v71, null, v70, v70, 1.0
	v_rcp_f32_e32 v72, v71
	v_nop
	s_delay_alu instid0(TRANS32_DEP_1) | instskip(NEXT) | instid1(VALU_DEP_1)
	v_fma_f32 v74, -v71, v72, 1.0
	v_fmac_f32_e32 v72, v74, v72
	v_div_scale_f32 v74, vcc_lo, 1.0, v70, 1.0
	s_delay_alu instid0(VALU_DEP_1) | instskip(NEXT) | instid1(VALU_DEP_1)
	v_mul_f32_e32 v75, v74, v72
	v_fma_f32 v76, -v71, v75, v74
	s_delay_alu instid0(VALU_DEP_1) | instskip(NEXT) | instid1(VALU_DEP_1)
	v_fmac_f32_e32 v75, v76, v72
	v_fma_f32 v71, -v71, v75, v74
	s_delay_alu instid0(VALU_DEP_1) | instskip(NEXT) | instid1(VALU_DEP_1)
	v_div_fmas_f32 v71, v71, v72, v75
	v_div_fixup_f32 v72, v71, v70, 1.0
	s_delay_alu instid0(VALU_DEP_1)
	v_mul_f32_e64 v73, v73, -v72
.LBB25_79:
	s_or_b32 exec_lo, exec_lo, s1
	ds_store_b64 v81, v[72:73]
.LBB25_80:
	s_or_b32 exec_lo, exec_lo, s2
	s_wait_dscnt 0x0
	s_barrier_signal -1
	s_barrier_wait -1
	ds_load_b64 v[70:71], v81
	s_mov_b32 s1, exec_lo
	v_cmpx_lt_u32_e32 8, v80
	s_cbranch_execz .LBB25_82
; %bb.81:
	s_wait_dscnt 0x0
	v_pk_mul_f32 v[72:73], v[70:71], v[44:45] op_sel:[1,1] op_sel_hi:[0,1]
	s_delay_alu instid0(VALU_DEP_1)
	v_pk_fma_f32 v[76:77], v[70:71], v[44:45], v[72:73] op_sel_hi:[1,0,1] neg_lo:[0,0,1] neg_hi:[0,0,1]
	v_pk_fma_f32 v[78:79], v[70:71], v[44:45], v[72:73] op_sel_hi:[1,0,1]
	ds_load_2addr_b64 v[72:75], v82 offset0:9 offset1:10
	v_dual_mov_b32 v44, v76 :: v_dual_mov_b32 v45, v79
	s_wait_dscnt 0x0
	v_pk_mul_f32 v[84:85], v[72:73], v[78:79] op_sel:[0,1]
	s_delay_alu instid0(VALU_DEP_1) | instskip(SKIP_1) | instid1(VALU_DEP_1)
	v_pk_fma_f32 v[86:87], v[72:73], v[76:77], v[84:85] op_sel:[0,0,1] op_sel_hi:[1,1,0] neg_lo:[0,0,1] neg_hi:[0,0,1]
	v_pk_fma_f32 v[72:73], v[72:73], v[76:77], v[84:85] op_sel:[0,0,1] op_sel_hi:[1,0,0]
	v_mov_b32_e32 v87, v73
	v_pk_mul_f32 v[72:73], v[74:75], v[78:79] op_sel:[0,1]
	s_delay_alu instid0(VALU_DEP_1) | instskip(SKIP_1) | instid1(VALU_DEP_1)
	v_pk_fma_f32 v[84:85], v[74:75], v[76:77], v[72:73] op_sel:[0,0,1] op_sel_hi:[1,1,0] neg_lo:[0,0,1] neg_hi:[0,0,1]
	v_pk_fma_f32 v[72:73], v[74:75], v[76:77], v[72:73] op_sel:[0,0,1] op_sel_hi:[1,0,0]
	v_mov_b32_e32 v85, v73
	ds_load_2addr_b64 v[72:75], v82 offset0:11 offset1:12
	v_pk_add_f32 v[52:53], v[52:53], v[86:87] neg_lo:[0,1] neg_hi:[0,1]
	v_pk_add_f32 v[50:51], v[50:51], v[84:85] neg_lo:[0,1] neg_hi:[0,1]
	s_wait_dscnt 0x0
	v_pk_mul_f32 v[84:85], v[72:73], v[78:79] op_sel:[0,1]
	s_delay_alu instid0(VALU_DEP_1) | instskip(SKIP_1) | instid1(VALU_DEP_1)
	v_pk_fma_f32 v[86:87], v[72:73], v[76:77], v[84:85] op_sel:[0,0,1] op_sel_hi:[1,1,0] neg_lo:[0,0,1] neg_hi:[0,0,1]
	v_pk_fma_f32 v[72:73], v[72:73], v[76:77], v[84:85] op_sel:[0,0,1] op_sel_hi:[1,0,0]
	v_dual_mov_b32 v72, v75 :: v_dual_mov_b32 v87, v73
	v_mov_b32_e32 v73, v74
	s_delay_alu instid0(VALU_DEP_2) | instskip(NEXT) | instid1(VALU_DEP_2)
	v_pk_add_f32 v[46:47], v[46:47], v[86:87] neg_lo:[0,1] neg_hi:[0,1]
	v_pk_mul_f32 v[72:73], v[72:73], v[78:79] op_sel:[0,1]
	s_delay_alu instid0(VALU_DEP_1) | instskip(SKIP_1) | instid1(VALU_DEP_1)
	v_pk_fma_f32 v[78:79], v[74:75], v[76:77], v[72:73] neg_lo:[0,0,1] neg_hi:[0,0,1]
	v_pk_fma_f32 v[72:73], v[74:75], v[76:77], v[72:73] op_sel_hi:[1,0,1]
	v_mov_b32_e32 v79, v73
	s_delay_alu instid0(VALU_DEP_1)
	v_pk_add_f32 v[48:49], v[48:49], v[78:79] neg_lo:[0,1] neg_hi:[0,1]
.LBB25_82:
	s_or_b32 exec_lo, exec_lo, s1
	s_delay_alu instid0(SALU_CYCLE_1)
	s_mov_b32 s2, exec_lo
	s_wait_dscnt 0x0
	s_barrier_signal -1
	s_barrier_wait -1
	v_cmpx_eq_u32_e32 9, v80
	s_cbranch_execz .LBB25_89
; %bb.83:
	v_dual_mov_b32 v72, v50 :: v_dual_mov_b32 v73, v51
	v_dual_mov_b32 v74, v46 :: v_dual_mov_b32 v75, v47
	ds_store_b64 v81, v[52:53]
	ds_store_2addr_b64 v82, v[72:73], v[74:75] offset0:10 offset1:11
	ds_store_b64 v82, v[48:49] offset:96
	ds_load_b64 v[72:73], v81
	s_wait_dscnt 0x0
	v_cmp_neq_f32_e32 vcc_lo, 0, v72
	v_cmp_neq_f32_e64 s1, 0, v73
	s_or_b32 s1, vcc_lo, s1
	s_delay_alu instid0(SALU_CYCLE_1)
	s_and_b32 exec_lo, exec_lo, s1
	s_cbranch_execz .LBB25_89
; %bb.84:
	v_cmp_ngt_f32_e64 s1, |v72|, |v73|
                                        ; implicit-def: $vgpr74_vgpr75
	s_and_saveexec_b32 s4, s1
	s_delay_alu instid0(SALU_CYCLE_1)
	s_xor_b32 s1, exec_lo, s4
	s_cbranch_execz .LBB25_86
; %bb.85:
	v_div_scale_f32 v74, null, v73, v73, v72
	v_div_scale_f32 v77, vcc_lo, v72, v73, v72
	s_delay_alu instid0(VALU_DEP_2) | instskip(SKIP_1) | instid1(TRANS32_DEP_1)
	v_rcp_f32_e32 v75, v74
	v_nop
	v_fma_f32 v76, -v74, v75, 1.0
	s_delay_alu instid0(VALU_DEP_1) | instskip(NEXT) | instid1(VALU_DEP_1)
	v_fmac_f32_e32 v75, v76, v75
	v_mul_f32_e32 v76, v77, v75
	s_delay_alu instid0(VALU_DEP_1) | instskip(NEXT) | instid1(VALU_DEP_1)
	v_fma_f32 v78, -v74, v76, v77
	v_fmac_f32_e32 v76, v78, v75
	s_delay_alu instid0(VALU_DEP_1) | instskip(NEXT) | instid1(VALU_DEP_1)
	v_fma_f32 v74, -v74, v76, v77
	v_div_fmas_f32 v74, v74, v75, v76
	s_delay_alu instid0(VALU_DEP_1) | instskip(NEXT) | instid1(VALU_DEP_1)
	v_div_fixup_f32 v74, v74, v73, v72
	v_fmac_f32_e32 v73, v72, v74
	s_delay_alu instid0(VALU_DEP_1) | instskip(SKIP_1) | instid1(VALU_DEP_2)
	v_div_scale_f32 v72, null, v73, v73, 1.0
	v_div_scale_f32 v77, vcc_lo, 1.0, v73, 1.0
	v_rcp_f32_e32 v75, v72
	v_nop
	s_delay_alu instid0(TRANS32_DEP_1) | instskip(NEXT) | instid1(VALU_DEP_1)
	v_fma_f32 v76, -v72, v75, 1.0
	v_fmac_f32_e32 v75, v76, v75
	s_delay_alu instid0(VALU_DEP_1) | instskip(NEXT) | instid1(VALU_DEP_1)
	v_mul_f32_e32 v76, v77, v75
	v_fma_f32 v78, -v72, v76, v77
	s_delay_alu instid0(VALU_DEP_1) | instskip(NEXT) | instid1(VALU_DEP_1)
	v_fmac_f32_e32 v76, v78, v75
	v_fma_f32 v72, -v72, v76, v77
	s_delay_alu instid0(VALU_DEP_1) | instskip(NEXT) | instid1(VALU_DEP_1)
	v_div_fmas_f32 v72, v72, v75, v76
	v_div_fixup_f32 v72, v72, v73, 1.0
	s_delay_alu instid0(VALU_DEP_1)
	v_mul_f32_e32 v74, v74, v72
	v_xor_b32_e32 v75, 0x80000000, v72
                                        ; implicit-def: $vgpr72_vgpr73
.LBB25_86:
	s_and_not1_saveexec_b32 s1, s1
	s_cbranch_execz .LBB25_88
; %bb.87:
	v_div_scale_f32 v74, null, v72, v72, v73
	v_div_scale_f32 v77, vcc_lo, v73, v72, v73
	s_delay_alu instid0(VALU_DEP_2) | instskip(SKIP_1) | instid1(TRANS32_DEP_1)
	v_rcp_f32_e32 v75, v74
	v_nop
	v_fma_f32 v76, -v74, v75, 1.0
	s_delay_alu instid0(VALU_DEP_1) | instskip(NEXT) | instid1(VALU_DEP_1)
	v_fmac_f32_e32 v75, v76, v75
	v_mul_f32_e32 v76, v77, v75
	s_delay_alu instid0(VALU_DEP_1) | instskip(NEXT) | instid1(VALU_DEP_1)
	v_fma_f32 v78, -v74, v76, v77
	v_fmac_f32_e32 v76, v78, v75
	s_delay_alu instid0(VALU_DEP_1) | instskip(NEXT) | instid1(VALU_DEP_1)
	v_fma_f32 v74, -v74, v76, v77
	v_div_fmas_f32 v74, v74, v75, v76
	s_delay_alu instid0(VALU_DEP_1) | instskip(NEXT) | instid1(VALU_DEP_1)
	v_div_fixup_f32 v75, v74, v72, v73
	v_fmac_f32_e32 v72, v73, v75
	s_delay_alu instid0(VALU_DEP_1) | instskip(NEXT) | instid1(VALU_DEP_1)
	v_div_scale_f32 v73, null, v72, v72, 1.0
	v_rcp_f32_e32 v74, v73
	v_nop
	s_delay_alu instid0(TRANS32_DEP_1) | instskip(NEXT) | instid1(VALU_DEP_1)
	v_fma_f32 v76, -v73, v74, 1.0
	v_fmac_f32_e32 v74, v76, v74
	v_div_scale_f32 v76, vcc_lo, 1.0, v72, 1.0
	s_delay_alu instid0(VALU_DEP_1) | instskip(NEXT) | instid1(VALU_DEP_1)
	v_mul_f32_e32 v77, v76, v74
	v_fma_f32 v78, -v73, v77, v76
	s_delay_alu instid0(VALU_DEP_1) | instskip(NEXT) | instid1(VALU_DEP_1)
	v_fmac_f32_e32 v77, v78, v74
	v_fma_f32 v73, -v73, v77, v76
	s_delay_alu instid0(VALU_DEP_1) | instskip(NEXT) | instid1(VALU_DEP_1)
	v_div_fmas_f32 v73, v73, v74, v77
	v_div_fixup_f32 v74, v73, v72, 1.0
	s_delay_alu instid0(VALU_DEP_1)
	v_mul_f32_e64 v75, v75, -v74
.LBB25_88:
	s_or_b32 exec_lo, exec_lo, s1
	ds_store_b64 v81, v[74:75]
.LBB25_89:
	s_or_b32 exec_lo, exec_lo, s2
	s_wait_dscnt 0x0
	s_barrier_signal -1
	s_barrier_wait -1
	ds_load_b64 v[72:73], v81
	s_mov_b32 s1, exec_lo
	v_cmpx_lt_u32_e32 9, v80
	s_cbranch_execz .LBB25_91
; %bb.90:
	ds_load_2addr_b64 v[74:77], v82 offset0:10 offset1:11
	ds_load_b64 v[78:79], v82 offset:96
	s_wait_dscnt 0x2
	v_pk_mul_f32 v[84:85], v[72:73], v[52:53] op_sel:[1,1] op_sel_hi:[0,1]
	s_delay_alu instid0(VALU_DEP_1) | instskip(SKIP_2) | instid1(VALU_DEP_2)
	v_pk_fma_f32 v[86:87], v[72:73], v[52:53], v[84:85] op_sel_hi:[1,0,1]
	v_pk_fma_f32 v[52:53], v[72:73], v[52:53], v[84:85] op_sel_hi:[1,0,1] neg_lo:[0,0,1] neg_hi:[0,0,1]
	s_wait_dscnt 0x1
	v_pk_mul_f32 v[84:85], v[74:75], v[86:87] op_sel:[0,1]
	v_pk_mul_f32 v[88:89], v[76:77], v[86:87] op_sel:[0,1]
	s_wait_dscnt 0x0
	v_pk_mul_f32 v[90:91], v[78:79], v[86:87] op_sel:[1,1] op_sel_hi:[0,1]
	s_delay_alu instid0(VALU_DEP_3) | instskip(SKIP_2) | instid1(VALU_DEP_4)
	v_pk_fma_f32 v[92:93], v[74:75], v[52:53], v[84:85] op_sel:[0,0,1] op_sel_hi:[1,1,0] neg_lo:[0,0,1] neg_hi:[0,0,1]
	v_pk_fma_f32 v[74:75], v[74:75], v[52:53], v[84:85] op_sel:[0,0,1] op_sel_hi:[1,0,0]
	v_pk_fma_f32 v[84:85], v[76:77], v[52:53], v[88:89] op_sel:[0,0,1] op_sel_hi:[1,0,0]
	v_pk_fma_f32 v[94:95], v[78:79], v[52:53], v[90:91] op_sel_hi:[1,0,1]
	v_pk_fma_f32 v[76:77], v[76:77], v[52:53], v[88:89] op_sel:[0,0,1] op_sel_hi:[1,1,0] neg_lo:[0,0,1] neg_hi:[0,0,1]
	v_pk_fma_f32 v[78:79], v[78:79], v[52:53], v[90:91] neg_lo:[0,0,1] neg_hi:[0,0,1]
	s_delay_alu instid0(VALU_DEP_4) | instskip(NEXT) | instid1(VALU_DEP_4)
	v_dual_mov_b32 v93, v75 :: v_dual_mov_b32 v77, v85
	v_dual_mov_b32 v79, v95 :: v_dual_mov_b32 v53, v87
	s_delay_alu instid0(VALU_DEP_2) | instskip(NEXT) | instid1(VALU_DEP_3)
	v_pk_add_f32 v[50:51], v[50:51], v[92:93] neg_lo:[0,1] neg_hi:[0,1]
	v_pk_add_f32 v[46:47], v[46:47], v[76:77] neg_lo:[0,1] neg_hi:[0,1]
	s_delay_alu instid0(VALU_DEP_3)
	v_pk_add_f32 v[48:49], v[48:49], v[78:79] neg_lo:[0,1] neg_hi:[0,1]
.LBB25_91:
	s_or_b32 exec_lo, exec_lo, s1
	s_delay_alu instid0(SALU_CYCLE_1)
	s_mov_b32 s2, exec_lo
	s_wait_dscnt 0x0
	s_barrier_signal -1
	s_barrier_wait -1
	v_cmpx_eq_u32_e32 10, v80
	s_cbranch_execz .LBB25_98
; %bb.92:
	ds_store_b64 v81, v[50:51]
	ds_store_2addr_b64 v82, v[46:47], v[48:49] offset0:11 offset1:12
	ds_load_b64 v[74:75], v81
	s_wait_dscnt 0x0
	v_cmp_neq_f32_e32 vcc_lo, 0, v74
	v_cmp_neq_f32_e64 s1, 0, v75
	s_or_b32 s1, vcc_lo, s1
	s_delay_alu instid0(SALU_CYCLE_1)
	s_and_b32 exec_lo, exec_lo, s1
	s_cbranch_execz .LBB25_98
; %bb.93:
	v_cmp_ngt_f32_e64 s1, |v74|, |v75|
                                        ; implicit-def: $vgpr76_vgpr77
	s_and_saveexec_b32 s4, s1
	s_delay_alu instid0(SALU_CYCLE_1)
	s_xor_b32 s1, exec_lo, s4
	s_cbranch_execz .LBB25_95
; %bb.94:
	v_div_scale_f32 v76, null, v75, v75, v74
	v_div_scale_f32 v79, vcc_lo, v74, v75, v74
	s_delay_alu instid0(VALU_DEP_2) | instskip(SKIP_1) | instid1(TRANS32_DEP_1)
	v_rcp_f32_e32 v77, v76
	v_nop
	v_fma_f32 v78, -v76, v77, 1.0
	s_delay_alu instid0(VALU_DEP_1) | instskip(NEXT) | instid1(VALU_DEP_1)
	v_fmac_f32_e32 v77, v78, v77
	v_mul_f32_e32 v78, v79, v77
	s_delay_alu instid0(VALU_DEP_1) | instskip(NEXT) | instid1(VALU_DEP_1)
	v_fma_f32 v83, -v76, v78, v79
	v_fmac_f32_e32 v78, v83, v77
	s_delay_alu instid0(VALU_DEP_1) | instskip(NEXT) | instid1(VALU_DEP_1)
	v_fma_f32 v76, -v76, v78, v79
	v_div_fmas_f32 v76, v76, v77, v78
	s_delay_alu instid0(VALU_DEP_1) | instskip(NEXT) | instid1(VALU_DEP_1)
	v_div_fixup_f32 v76, v76, v75, v74
	v_fmac_f32_e32 v75, v74, v76
	s_delay_alu instid0(VALU_DEP_1) | instskip(SKIP_1) | instid1(VALU_DEP_2)
	v_div_scale_f32 v74, null, v75, v75, 1.0
	v_div_scale_f32 v79, vcc_lo, 1.0, v75, 1.0
	v_rcp_f32_e32 v77, v74
	v_nop
	s_delay_alu instid0(TRANS32_DEP_1) | instskip(NEXT) | instid1(VALU_DEP_1)
	v_fma_f32 v78, -v74, v77, 1.0
	v_fmac_f32_e32 v77, v78, v77
	s_delay_alu instid0(VALU_DEP_1) | instskip(NEXT) | instid1(VALU_DEP_1)
	v_mul_f32_e32 v78, v79, v77
	v_fma_f32 v83, -v74, v78, v79
	s_delay_alu instid0(VALU_DEP_1) | instskip(NEXT) | instid1(VALU_DEP_1)
	v_fmac_f32_e32 v78, v83, v77
	v_fma_f32 v74, -v74, v78, v79
	s_delay_alu instid0(VALU_DEP_1) | instskip(NEXT) | instid1(VALU_DEP_1)
	v_div_fmas_f32 v74, v74, v77, v78
	v_div_fixup_f32 v74, v74, v75, 1.0
	s_delay_alu instid0(VALU_DEP_1)
	v_mul_f32_e32 v76, v76, v74
	v_xor_b32_e32 v77, 0x80000000, v74
                                        ; implicit-def: $vgpr74_vgpr75
.LBB25_95:
	s_and_not1_saveexec_b32 s1, s1
	s_cbranch_execz .LBB25_97
; %bb.96:
	v_div_scale_f32 v76, null, v74, v74, v75
	v_div_scale_f32 v79, vcc_lo, v75, v74, v75
	s_delay_alu instid0(VALU_DEP_2) | instskip(SKIP_1) | instid1(TRANS32_DEP_1)
	v_rcp_f32_e32 v77, v76
	v_nop
	v_fma_f32 v78, -v76, v77, 1.0
	s_delay_alu instid0(VALU_DEP_1) | instskip(NEXT) | instid1(VALU_DEP_1)
	v_fmac_f32_e32 v77, v78, v77
	v_mul_f32_e32 v78, v79, v77
	s_delay_alu instid0(VALU_DEP_1) | instskip(NEXT) | instid1(VALU_DEP_1)
	v_fma_f32 v83, -v76, v78, v79
	v_fmac_f32_e32 v78, v83, v77
	s_delay_alu instid0(VALU_DEP_1) | instskip(NEXT) | instid1(VALU_DEP_1)
	v_fma_f32 v76, -v76, v78, v79
	v_div_fmas_f32 v76, v76, v77, v78
	s_delay_alu instid0(VALU_DEP_1) | instskip(NEXT) | instid1(VALU_DEP_1)
	v_div_fixup_f32 v77, v76, v74, v75
	v_fmac_f32_e32 v74, v75, v77
	s_delay_alu instid0(VALU_DEP_1) | instskip(NEXT) | instid1(VALU_DEP_1)
	v_div_scale_f32 v75, null, v74, v74, 1.0
	v_rcp_f32_e32 v76, v75
	v_nop
	s_delay_alu instid0(TRANS32_DEP_1) | instskip(NEXT) | instid1(VALU_DEP_1)
	v_fma_f32 v78, -v75, v76, 1.0
	v_fmac_f32_e32 v76, v78, v76
	v_div_scale_f32 v78, vcc_lo, 1.0, v74, 1.0
	s_delay_alu instid0(VALU_DEP_1) | instskip(NEXT) | instid1(VALU_DEP_1)
	v_mul_f32_e32 v79, v78, v76
	v_fma_f32 v83, -v75, v79, v78
	s_delay_alu instid0(VALU_DEP_1) | instskip(NEXT) | instid1(VALU_DEP_1)
	v_fmac_f32_e32 v79, v83, v76
	v_fma_f32 v75, -v75, v79, v78
	s_delay_alu instid0(VALU_DEP_1) | instskip(NEXT) | instid1(VALU_DEP_1)
	v_div_fmas_f32 v75, v75, v76, v79
	v_div_fixup_f32 v76, v75, v74, 1.0
	s_delay_alu instid0(VALU_DEP_1)
	v_mul_f32_e64 v77, v77, -v76
.LBB25_97:
	s_or_b32 exec_lo, exec_lo, s1
	ds_store_b64 v81, v[76:77]
.LBB25_98:
	s_or_b32 exec_lo, exec_lo, s2
	s_wait_dscnt 0x0
	s_barrier_signal -1
	s_barrier_wait -1
	ds_load_b64 v[74:75], v81
	s_mov_b32 s1, exec_lo
	v_cmpx_lt_u32_e32 10, v80
	s_cbranch_execz .LBB25_100
; %bb.99:
	ds_load_2addr_b64 v[76:79], v82 offset0:11 offset1:12
	s_wait_dscnt 0x1
	v_pk_mul_f32 v[84:85], v[74:75], v[50:51] op_sel:[1,1] op_sel_hi:[0,1]
	s_delay_alu instid0(VALU_DEP_1) | instskip(SKIP_3) | instid1(VALU_DEP_3)
	v_pk_fma_f32 v[86:87], v[74:75], v[50:51], v[84:85] op_sel_hi:[1,0,1]
	v_pk_fma_f32 v[50:51], v[74:75], v[50:51], v[84:85] op_sel_hi:[1,0,1] neg_lo:[0,0,1] neg_hi:[0,0,1]
	s_wait_dscnt 0x0
	v_dual_mov_b32 v88, v79 :: v_dual_mov_b32 v89, v78
	v_pk_mul_f32 v[84:85], v[76:77], v[86:87] op_sel:[0,1]
	s_delay_alu instid0(VALU_DEP_2) | instskip(NEXT) | instid1(VALU_DEP_2)
	v_pk_mul_f32 v[88:89], v[88:89], v[86:87] op_sel:[0,1]
	v_pk_fma_f32 v[90:91], v[76:77], v[50:51], v[84:85] op_sel:[0,0,1] op_sel_hi:[1,0,0]
	v_pk_fma_f32 v[76:77], v[76:77], v[50:51], v[84:85] op_sel:[0,0,1] op_sel_hi:[1,1,0] neg_lo:[0,0,1] neg_hi:[0,0,1]
	s_delay_alu instid0(VALU_DEP_3) | instskip(SKIP_1) | instid1(VALU_DEP_4)
	v_pk_fma_f32 v[92:93], v[78:79], v[50:51], v[88:89] op_sel_hi:[1,0,1]
	v_pk_fma_f32 v[78:79], v[78:79], v[50:51], v[88:89] neg_lo:[0,0,1] neg_hi:[0,0,1]
	v_dual_mov_b32 v77, v91 :: v_dual_mov_b32 v51, v87
	s_delay_alu instid0(VALU_DEP_3) | instskip(NEXT) | instid1(VALU_DEP_2)
	v_mov_b32_e32 v79, v93
	v_pk_add_f32 v[46:47], v[46:47], v[76:77] neg_lo:[0,1] neg_hi:[0,1]
	s_delay_alu instid0(VALU_DEP_2)
	v_pk_add_f32 v[48:49], v[48:49], v[78:79] neg_lo:[0,1] neg_hi:[0,1]
.LBB25_100:
	s_or_b32 exec_lo, exec_lo, s1
	s_delay_alu instid0(SALU_CYCLE_1)
	s_mov_b32 s2, exec_lo
	s_wait_dscnt 0x0
	s_barrier_signal -1
	s_barrier_wait -1
	v_cmpx_eq_u32_e32 11, v80
	s_cbranch_execz .LBB25_107
; %bb.101:
	ds_store_b64 v81, v[46:47]
	ds_store_b64 v82, v[48:49] offset:96
	ds_load_b64 v[76:77], v81
	s_wait_dscnt 0x0
	v_cmp_neq_f32_e32 vcc_lo, 0, v76
	v_cmp_neq_f32_e64 s1, 0, v77
	s_or_b32 s1, vcc_lo, s1
	s_delay_alu instid0(SALU_CYCLE_1)
	s_and_b32 exec_lo, exec_lo, s1
	s_cbranch_execz .LBB25_107
; %bb.102:
	v_cmp_ngt_f32_e64 s1, |v76|, |v77|
                                        ; implicit-def: $vgpr78_vgpr79
	s_and_saveexec_b32 s4, s1
	s_delay_alu instid0(SALU_CYCLE_1)
	s_xor_b32 s1, exec_lo, s4
	s_cbranch_execz .LBB25_104
; %bb.103:
	v_div_scale_f32 v78, null, v77, v77, v76
	v_div_scale_f32 v84, vcc_lo, v76, v77, v76
	s_delay_alu instid0(VALU_DEP_2) | instskip(SKIP_1) | instid1(TRANS32_DEP_1)
	v_rcp_f32_e32 v79, v78
	v_nop
	v_fma_f32 v83, -v78, v79, 1.0
	s_delay_alu instid0(VALU_DEP_1) | instskip(NEXT) | instid1(VALU_DEP_1)
	v_fmac_f32_e32 v79, v83, v79
	v_mul_f32_e32 v83, v84, v79
	s_delay_alu instid0(VALU_DEP_1) | instskip(NEXT) | instid1(VALU_DEP_1)
	v_fma_f32 v85, -v78, v83, v84
	v_fmac_f32_e32 v83, v85, v79
	s_delay_alu instid0(VALU_DEP_1) | instskip(NEXT) | instid1(VALU_DEP_1)
	v_fma_f32 v78, -v78, v83, v84
	v_div_fmas_f32 v78, v78, v79, v83
	s_delay_alu instid0(VALU_DEP_1) | instskip(NEXT) | instid1(VALU_DEP_1)
	v_div_fixup_f32 v78, v78, v77, v76
	v_fmac_f32_e32 v77, v76, v78
	s_delay_alu instid0(VALU_DEP_1) | instskip(SKIP_1) | instid1(VALU_DEP_2)
	v_div_scale_f32 v76, null, v77, v77, 1.0
	v_div_scale_f32 v84, vcc_lo, 1.0, v77, 1.0
	v_rcp_f32_e32 v79, v76
	v_nop
	s_delay_alu instid0(TRANS32_DEP_1) | instskip(NEXT) | instid1(VALU_DEP_1)
	v_fma_f32 v83, -v76, v79, 1.0
	v_fmac_f32_e32 v79, v83, v79
	s_delay_alu instid0(VALU_DEP_1) | instskip(NEXT) | instid1(VALU_DEP_1)
	v_mul_f32_e32 v83, v84, v79
	v_fma_f32 v85, -v76, v83, v84
	s_delay_alu instid0(VALU_DEP_1) | instskip(NEXT) | instid1(VALU_DEP_1)
	v_fmac_f32_e32 v83, v85, v79
	v_fma_f32 v76, -v76, v83, v84
	s_delay_alu instid0(VALU_DEP_1) | instskip(NEXT) | instid1(VALU_DEP_1)
	v_div_fmas_f32 v76, v76, v79, v83
	v_div_fixup_f32 v76, v76, v77, 1.0
	s_delay_alu instid0(VALU_DEP_1)
	v_mul_f32_e32 v78, v78, v76
	v_xor_b32_e32 v79, 0x80000000, v76
                                        ; implicit-def: $vgpr76_vgpr77
.LBB25_104:
	s_and_not1_saveexec_b32 s1, s1
	s_cbranch_execz .LBB25_106
; %bb.105:
	v_div_scale_f32 v78, null, v76, v76, v77
	v_div_scale_f32 v84, vcc_lo, v77, v76, v77
	s_delay_alu instid0(VALU_DEP_2) | instskip(SKIP_1) | instid1(TRANS32_DEP_1)
	v_rcp_f32_e32 v79, v78
	v_nop
	v_fma_f32 v83, -v78, v79, 1.0
	s_delay_alu instid0(VALU_DEP_1) | instskip(NEXT) | instid1(VALU_DEP_1)
	v_fmac_f32_e32 v79, v83, v79
	v_mul_f32_e32 v83, v84, v79
	s_delay_alu instid0(VALU_DEP_1) | instskip(NEXT) | instid1(VALU_DEP_1)
	v_fma_f32 v85, -v78, v83, v84
	v_fmac_f32_e32 v83, v85, v79
	s_delay_alu instid0(VALU_DEP_1) | instskip(NEXT) | instid1(VALU_DEP_1)
	v_fma_f32 v78, -v78, v83, v84
	v_div_fmas_f32 v78, v78, v79, v83
	s_delay_alu instid0(VALU_DEP_1) | instskip(NEXT) | instid1(VALU_DEP_1)
	v_div_fixup_f32 v79, v78, v76, v77
	v_fmac_f32_e32 v76, v77, v79
	s_delay_alu instid0(VALU_DEP_1) | instskip(NEXT) | instid1(VALU_DEP_1)
	v_div_scale_f32 v77, null, v76, v76, 1.0
	v_rcp_f32_e32 v78, v77
	v_nop
	s_delay_alu instid0(TRANS32_DEP_1) | instskip(NEXT) | instid1(VALU_DEP_1)
	v_fma_f32 v83, -v77, v78, 1.0
	v_fmac_f32_e32 v78, v83, v78
	v_div_scale_f32 v83, vcc_lo, 1.0, v76, 1.0
	s_delay_alu instid0(VALU_DEP_1) | instskip(NEXT) | instid1(VALU_DEP_1)
	v_mul_f32_e32 v84, v83, v78
	v_fma_f32 v85, -v77, v84, v83
	s_delay_alu instid0(VALU_DEP_1) | instskip(NEXT) | instid1(VALU_DEP_1)
	v_fmac_f32_e32 v84, v85, v78
	v_fma_f32 v77, -v77, v84, v83
	s_delay_alu instid0(VALU_DEP_1) | instskip(NEXT) | instid1(VALU_DEP_1)
	v_div_fmas_f32 v77, v77, v78, v84
	v_div_fixup_f32 v78, v77, v76, 1.0
	s_delay_alu instid0(VALU_DEP_1)
	v_mul_f32_e64 v79, v79, -v78
.LBB25_106:
	s_or_b32 exec_lo, exec_lo, s1
	ds_store_b64 v81, v[78:79]
.LBB25_107:
	s_or_b32 exec_lo, exec_lo, s2
	s_wait_dscnt 0x0
	s_barrier_signal -1
	s_barrier_wait -1
	ds_load_b64 v[76:77], v81
	s_mov_b32 s1, exec_lo
	v_cmpx_lt_u32_e32 11, v80
	s_cbranch_execz .LBB25_109
; %bb.108:
	ds_load_b64 v[78:79], v82 offset:96
	s_wait_dscnt 0x1
	v_pk_mul_f32 v[82:83], v[76:77], v[46:47] op_sel:[1,1] op_sel_hi:[0,1]
	s_delay_alu instid0(VALU_DEP_1) | instskip(SKIP_2) | instid1(VALU_DEP_2)
	v_pk_fma_f32 v[84:85], v[76:77], v[46:47], v[82:83] op_sel_hi:[1,0,1]
	v_pk_fma_f32 v[46:47], v[76:77], v[46:47], v[82:83] op_sel_hi:[1,0,1] neg_lo:[0,0,1] neg_hi:[0,0,1]
	s_wait_dscnt 0x0
	v_pk_mul_f32 v[82:83], v[78:79], v[84:85] op_sel:[1,1] op_sel_hi:[0,1]
	s_delay_alu instid0(VALU_DEP_1) | instskip(SKIP_1) | instid1(VALU_DEP_2)
	v_pk_fma_f32 v[86:87], v[78:79], v[46:47], v[82:83] op_sel_hi:[1,0,1]
	v_pk_fma_f32 v[78:79], v[78:79], v[46:47], v[82:83] neg_lo:[0,0,1] neg_hi:[0,0,1]
	v_dual_mov_b32 v47, v85 :: v_dual_mov_b32 v79, v87
	s_delay_alu instid0(VALU_DEP_1)
	v_pk_add_f32 v[48:49], v[48:49], v[78:79] neg_lo:[0,1] neg_hi:[0,1]
.LBB25_109:
	s_or_b32 exec_lo, exec_lo, s1
	s_delay_alu instid0(SALU_CYCLE_1)
	s_mov_b32 s2, exec_lo
	s_wait_dscnt 0x0
	s_barrier_signal -1
	s_barrier_wait -1
	v_cmpx_eq_u32_e32 12, v80
	s_cbranch_execz .LBB25_116
; %bb.110:
	v_cmp_neq_f32_e32 vcc_lo, 0, v48
	v_cmp_neq_f32_e64 s1, 0, v49
	ds_store_b64 v81, v[48:49]
	s_or_b32 s1, vcc_lo, s1
	s_delay_alu instid0(SALU_CYCLE_1)
	s_and_b32 exec_lo, exec_lo, s1
	s_cbranch_execz .LBB25_116
; %bb.111:
	v_cmp_ngt_f32_e64 s1, |v48|, |v49|
                                        ; implicit-def: $vgpr78_vgpr79
	s_and_saveexec_b32 s4, s1
	s_delay_alu instid0(SALU_CYCLE_1)
	s_xor_b32 s1, exec_lo, s4
	s_cbranch_execz .LBB25_113
; %bb.112:
	v_div_scale_f32 v78, null, v49, v49, v48
	v_div_scale_f32 v83, vcc_lo, v48, v49, v48
	s_delay_alu instid0(VALU_DEP_2) | instskip(SKIP_1) | instid1(TRANS32_DEP_1)
	v_rcp_f32_e32 v79, v78
	v_nop
	v_fma_f32 v82, -v78, v79, 1.0
	s_delay_alu instid0(VALU_DEP_1) | instskip(NEXT) | instid1(VALU_DEP_1)
	v_fmac_f32_e32 v79, v82, v79
	v_mul_f32_e32 v82, v83, v79
	s_delay_alu instid0(VALU_DEP_1) | instskip(NEXT) | instid1(VALU_DEP_1)
	v_fma_f32 v84, -v78, v82, v83
	v_fmac_f32_e32 v82, v84, v79
	s_delay_alu instid0(VALU_DEP_1) | instskip(NEXT) | instid1(VALU_DEP_1)
	v_fma_f32 v78, -v78, v82, v83
	v_div_fmas_f32 v78, v78, v79, v82
	s_delay_alu instid0(VALU_DEP_1) | instskip(NEXT) | instid1(VALU_DEP_1)
	v_div_fixup_f32 v78, v78, v49, v48
	v_fma_f32 v79, v48, v78, v49
	s_delay_alu instid0(VALU_DEP_1) | instskip(SKIP_1) | instid1(VALU_DEP_2)
	v_div_scale_f32 v82, null, v79, v79, 1.0
	v_div_scale_f32 v85, vcc_lo, 1.0, v79, 1.0
	v_rcp_f32_e32 v83, v82
	v_nop
	s_delay_alu instid0(TRANS32_DEP_1) | instskip(NEXT) | instid1(VALU_DEP_1)
	v_fma_f32 v84, -v82, v83, 1.0
	v_fmac_f32_e32 v83, v84, v83
	s_delay_alu instid0(VALU_DEP_1) | instskip(NEXT) | instid1(VALU_DEP_1)
	v_mul_f32_e32 v84, v85, v83
	v_fma_f32 v86, -v82, v84, v85
	s_delay_alu instid0(VALU_DEP_1) | instskip(NEXT) | instid1(VALU_DEP_1)
	v_fmac_f32_e32 v84, v86, v83
	v_fma_f32 v82, -v82, v84, v85
	s_delay_alu instid0(VALU_DEP_1) | instskip(NEXT) | instid1(VALU_DEP_1)
	v_div_fmas_f32 v82, v82, v83, v84
	v_div_fixup_f32 v79, v82, v79, 1.0
	s_delay_alu instid0(VALU_DEP_1)
	v_mul_f32_e32 v78, v78, v79
	v_xor_b32_e32 v79, 0x80000000, v79
.LBB25_113:
	s_and_not1_saveexec_b32 s1, s1
	s_cbranch_execz .LBB25_115
; %bb.114:
	v_div_scale_f32 v78, null, v48, v48, v49
	v_div_scale_f32 v83, vcc_lo, v49, v48, v49
	s_delay_alu instid0(VALU_DEP_2) | instskip(SKIP_1) | instid1(TRANS32_DEP_1)
	v_rcp_f32_e32 v79, v78
	v_nop
	v_fma_f32 v82, -v78, v79, 1.0
	s_delay_alu instid0(VALU_DEP_1) | instskip(NEXT) | instid1(VALU_DEP_1)
	v_fmac_f32_e32 v79, v82, v79
	v_mul_f32_e32 v82, v83, v79
	s_delay_alu instid0(VALU_DEP_1) | instskip(NEXT) | instid1(VALU_DEP_1)
	v_fma_f32 v84, -v78, v82, v83
	v_fmac_f32_e32 v82, v84, v79
	s_delay_alu instid0(VALU_DEP_1) | instskip(NEXT) | instid1(VALU_DEP_1)
	v_fma_f32 v78, -v78, v82, v83
	v_div_fmas_f32 v78, v78, v79, v82
	s_delay_alu instid0(VALU_DEP_1) | instskip(NEXT) | instid1(VALU_DEP_1)
	v_div_fixup_f32 v79, v78, v48, v49
	v_fma_f32 v78, v49, v79, v48
	s_delay_alu instid0(VALU_DEP_1) | instskip(NEXT) | instid1(VALU_DEP_1)
	v_div_scale_f32 v82, null, v78, v78, 1.0
	v_rcp_f32_e32 v83, v82
	v_nop
	s_delay_alu instid0(TRANS32_DEP_1) | instskip(NEXT) | instid1(VALU_DEP_1)
	v_fma_f32 v84, -v82, v83, 1.0
	v_fmac_f32_e32 v83, v84, v83
	v_div_scale_f32 v84, vcc_lo, 1.0, v78, 1.0
	s_delay_alu instid0(VALU_DEP_1) | instskip(NEXT) | instid1(VALU_DEP_1)
	v_mul_f32_e32 v85, v84, v83
	v_fma_f32 v86, -v82, v85, v84
	s_delay_alu instid0(VALU_DEP_1) | instskip(NEXT) | instid1(VALU_DEP_1)
	v_fmac_f32_e32 v85, v86, v83
	v_fma_f32 v82, -v82, v85, v84
	s_delay_alu instid0(VALU_DEP_1) | instskip(NEXT) | instid1(VALU_DEP_1)
	v_div_fmas_f32 v82, v82, v83, v85
	v_div_fixup_f32 v78, v82, v78, 1.0
	s_delay_alu instid0(VALU_DEP_1)
	v_mul_f32_e64 v79, v79, -v78
.LBB25_115:
	s_or_b32 exec_lo, exec_lo, s1
	ds_store_b64 v81, v[78:79]
.LBB25_116:
	s_or_b32 exec_lo, exec_lo, s2
	s_wait_dscnt 0x0
	s_barrier_signal -1
	s_barrier_wait -1
	ds_load_b64 v[78:79], v81
	s_wait_dscnt 0x0
	s_barrier_signal -1
	s_barrier_wait -1
	s_and_saveexec_b32 s4, s0
	s_cbranch_execz .LBB25_119
; %bb.117:
	v_lshl_add_u64 v[12:13], v[12:13], 2, s[6:7]
	v_cmp_eq_f32_e32 vcc_lo, 0, v54
	v_cmp_eq_f32_e64 s0, 0, v55
	v_cmp_neq_f32_e64 s1, 0, v56
	v_cmp_neq_f32_e64 s2, 0, v57
	global_load_b32 v81, v[12:13], off
	s_and_b32 s0, vcc_lo, s0
	s_delay_alu instid0(SALU_CYCLE_1) | instskip(SKIP_1) | instid1(SALU_CYCLE_1)
	v_cndmask_b32_e64 v54, 0, 1, s0
	s_or_b32 s1, s1, s2
	s_or_b32 vcc_lo, s1, s0
	v_cmp_eq_f32_e64 s0, 0, v59
	s_delay_alu instid0(VALU_DEP_2) | instskip(SKIP_1) | instid1(VALU_DEP_2)
	v_cndmask_b32_e32 v54, 2, v54, vcc_lo
	v_cmp_eq_f32_e32 vcc_lo, 0, v58
	v_cmp_eq_u32_e64 s1, 0, v54
	s_and_b32 s0, vcc_lo, s0
	v_cmp_eq_f32_e32 vcc_lo, 0, v60
	s_and_b32 s0, s0, s1
	s_delay_alu instid0(SALU_CYCLE_1) | instskip(SKIP_1) | instid1(VALU_DEP_2)
	v_cndmask_b32_e64 v54, v54, 3, s0
	v_cmp_eq_f32_e64 s0, 0, v61
	v_cmp_eq_u32_e64 s1, 0, v54
	s_and_b32 s0, vcc_lo, s0
	v_cmp_eq_f32_e32 vcc_lo, 0, v62
	s_and_b32 s0, s0, s1
	s_delay_alu instid0(SALU_CYCLE_1) | instskip(SKIP_1) | instid1(VALU_DEP_2)
	v_cndmask_b32_e64 v54, v54, 4, s0
	v_cmp_eq_f32_e64 s0, 0, v63
	;; [unrolled: 7-line block ×10, first 2 shown]
	v_cmp_eq_u32_e64 s1, 0, v54
	s_and_b32 s0, vcc_lo, s0
	s_delay_alu instid0(SALU_CYCLE_1) | instskip(NEXT) | instid1(SALU_CYCLE_1)
	s_and_b32 s0, s0, s1
	v_cndmask_b32_e64 v54, v54, 13, s0
	s_delay_alu instid0(VALU_DEP_1) | instskip(SKIP_3) | instid1(SALU_CYCLE_1)
	v_cmp_ne_u32_e64 s0, 0, v54
	s_wait_loadcnt 0x0
	v_cmp_eq_u32_e32 vcc_lo, 0, v81
	s_and_b32 s0, vcc_lo, s0
	s_and_b32 exec_lo, exec_lo, s0
	s_cbranch_execz .LBB25_119
; %bb.118:
	v_add_nc_u32_e32 v54, s3, v54
	global_store_b32 v[12:13], v54, off
.LBB25_119:
	s_wait_xcnt 0x0
	s_or_b32 exec_lo, exec_lo, s4
	v_pk_mul_f32 v[12:13], v[78:79], v[48:49] op_sel:[1,1] op_sel_hi:[0,1]
	s_clause 0x1
	global_store_b64 v[14:15], v[40:41], off
	global_store_b64 v[24:25], v[42:43], off
	v_cmp_lt_u32_e32 vcc_lo, 12, v80
	s_clause 0x2
	global_store_b64 v[6:7], v[38:39], off
	global_store_b64 v[8:9], v[36:37], off
	;; [unrolled: 1-line block ×3, first 2 shown]
	s_wait_xcnt 0x4
	v_pk_fma_f32 v[14:15], v[78:79], v[48:49], v[12:13] op_sel_hi:[1,0,1]
	v_pk_fma_f32 v[12:13], v[78:79], v[48:49], v[12:13] neg_lo:[0,0,1] neg_hi:[0,0,1]
	s_wait_xcnt 0x2
	s_delay_alu instid0(VALU_DEP_1)
	v_dual_cndmask_b32 v7, v49, v15 :: v_dual_cndmask_b32 v6, v48, v12
	s_clause 0x7
	global_store_b64 v[0:1], v[18:19], off
	global_store_b64 v[2:3], v[20:21], off
	;; [unrolled: 1-line block ×8, first 2 shown]
.LBB25_120:
	s_sendmsg sendmsg(MSG_DEALLOC_VGPRS)
	s_endpgm
	.section	.rodata,"a",@progbits
	.p2align	6, 0x0
	.amdhsa_kernel _ZN9rocsolver6v33100L23getf2_npvt_small_kernelILi13E19rocblas_complex_numIfEiiPS3_EEvT1_T3_lS5_lPT2_S5_S5_
		.amdhsa_group_segment_fixed_size 0
		.amdhsa_private_segment_fixed_size 0
		.amdhsa_kernarg_size 312
		.amdhsa_user_sgpr_count 2
		.amdhsa_user_sgpr_dispatch_ptr 0
		.amdhsa_user_sgpr_queue_ptr 0
		.amdhsa_user_sgpr_kernarg_segment_ptr 1
		.amdhsa_user_sgpr_dispatch_id 0
		.amdhsa_user_sgpr_kernarg_preload_length 0
		.amdhsa_user_sgpr_kernarg_preload_offset 0
		.amdhsa_user_sgpr_private_segment_size 0
		.amdhsa_wavefront_size32 1
		.amdhsa_uses_dynamic_stack 0
		.amdhsa_enable_private_segment 0
		.amdhsa_system_sgpr_workgroup_id_x 1
		.amdhsa_system_sgpr_workgroup_id_y 1
		.amdhsa_system_sgpr_workgroup_id_z 0
		.amdhsa_system_sgpr_workgroup_info 0
		.amdhsa_system_vgpr_workitem_id 1
		.amdhsa_next_free_vgpr 96
		.amdhsa_next_free_sgpr 16
		.amdhsa_named_barrier_count 0
		.amdhsa_reserve_vcc 1
		.amdhsa_float_round_mode_32 0
		.amdhsa_float_round_mode_16_64 0
		.amdhsa_float_denorm_mode_32 3
		.amdhsa_float_denorm_mode_16_64 3
		.amdhsa_fp16_overflow 0
		.amdhsa_memory_ordered 1
		.amdhsa_forward_progress 1
		.amdhsa_inst_pref_size 109
		.amdhsa_round_robin_scheduling 0
		.amdhsa_exception_fp_ieee_invalid_op 0
		.amdhsa_exception_fp_denorm_src 0
		.amdhsa_exception_fp_ieee_div_zero 0
		.amdhsa_exception_fp_ieee_overflow 0
		.amdhsa_exception_fp_ieee_underflow 0
		.amdhsa_exception_fp_ieee_inexact 0
		.amdhsa_exception_int_div_zero 0
	.end_amdhsa_kernel
	.section	.text._ZN9rocsolver6v33100L23getf2_npvt_small_kernelILi13E19rocblas_complex_numIfEiiPS3_EEvT1_T3_lS5_lPT2_S5_S5_,"axG",@progbits,_ZN9rocsolver6v33100L23getf2_npvt_small_kernelILi13E19rocblas_complex_numIfEiiPS3_EEvT1_T3_lS5_lPT2_S5_S5_,comdat
.Lfunc_end25:
	.size	_ZN9rocsolver6v33100L23getf2_npvt_small_kernelILi13E19rocblas_complex_numIfEiiPS3_EEvT1_T3_lS5_lPT2_S5_S5_, .Lfunc_end25-_ZN9rocsolver6v33100L23getf2_npvt_small_kernelILi13E19rocblas_complex_numIfEiiPS3_EEvT1_T3_lS5_lPT2_S5_S5_
                                        ; -- End function
	.set _ZN9rocsolver6v33100L23getf2_npvt_small_kernelILi13E19rocblas_complex_numIfEiiPS3_EEvT1_T3_lS5_lPT2_S5_S5_.num_vgpr, 96
	.set _ZN9rocsolver6v33100L23getf2_npvt_small_kernelILi13E19rocblas_complex_numIfEiiPS3_EEvT1_T3_lS5_lPT2_S5_S5_.num_agpr, 0
	.set _ZN9rocsolver6v33100L23getf2_npvt_small_kernelILi13E19rocblas_complex_numIfEiiPS3_EEvT1_T3_lS5_lPT2_S5_S5_.numbered_sgpr, 16
	.set _ZN9rocsolver6v33100L23getf2_npvt_small_kernelILi13E19rocblas_complex_numIfEiiPS3_EEvT1_T3_lS5_lPT2_S5_S5_.num_named_barrier, 0
	.set _ZN9rocsolver6v33100L23getf2_npvt_small_kernelILi13E19rocblas_complex_numIfEiiPS3_EEvT1_T3_lS5_lPT2_S5_S5_.private_seg_size, 0
	.set _ZN9rocsolver6v33100L23getf2_npvt_small_kernelILi13E19rocblas_complex_numIfEiiPS3_EEvT1_T3_lS5_lPT2_S5_S5_.uses_vcc, 1
	.set _ZN9rocsolver6v33100L23getf2_npvt_small_kernelILi13E19rocblas_complex_numIfEiiPS3_EEvT1_T3_lS5_lPT2_S5_S5_.uses_flat_scratch, 0
	.set _ZN9rocsolver6v33100L23getf2_npvt_small_kernelILi13E19rocblas_complex_numIfEiiPS3_EEvT1_T3_lS5_lPT2_S5_S5_.has_dyn_sized_stack, 0
	.set _ZN9rocsolver6v33100L23getf2_npvt_small_kernelILi13E19rocblas_complex_numIfEiiPS3_EEvT1_T3_lS5_lPT2_S5_S5_.has_recursion, 0
	.set _ZN9rocsolver6v33100L23getf2_npvt_small_kernelILi13E19rocblas_complex_numIfEiiPS3_EEvT1_T3_lS5_lPT2_S5_S5_.has_indirect_call, 0
	.section	.AMDGPU.csdata,"",@progbits
; Kernel info:
; codeLenInByte = 13944
; TotalNumSgprs: 18
; NumVgprs: 96
; ScratchSize: 0
; MemoryBound: 0
; FloatMode: 240
; IeeeMode: 1
; LDSByteSize: 0 bytes/workgroup (compile time only)
; SGPRBlocks: 0
; VGPRBlocks: 5
; NumSGPRsForWavesPerEU: 18
; NumVGPRsForWavesPerEU: 96
; NamedBarCnt: 0
; Occupancy: 10
; WaveLimiterHint : 0
; COMPUTE_PGM_RSRC2:SCRATCH_EN: 0
; COMPUTE_PGM_RSRC2:USER_SGPR: 2
; COMPUTE_PGM_RSRC2:TRAP_HANDLER: 0
; COMPUTE_PGM_RSRC2:TGID_X_EN: 1
; COMPUTE_PGM_RSRC2:TGID_Y_EN: 1
; COMPUTE_PGM_RSRC2:TGID_Z_EN: 0
; COMPUTE_PGM_RSRC2:TIDIG_COMP_CNT: 1
	.section	.text._ZN9rocsolver6v33100L18getf2_small_kernelILi14E19rocblas_complex_numIfEiiPS3_EEvT1_T3_lS5_lPS5_llPT2_S5_S5_S7_l,"axG",@progbits,_ZN9rocsolver6v33100L18getf2_small_kernelILi14E19rocblas_complex_numIfEiiPS3_EEvT1_T3_lS5_lPS5_llPT2_S5_S5_S7_l,comdat
	.globl	_ZN9rocsolver6v33100L18getf2_small_kernelILi14E19rocblas_complex_numIfEiiPS3_EEvT1_T3_lS5_lPS5_llPT2_S5_S5_S7_l ; -- Begin function _ZN9rocsolver6v33100L18getf2_small_kernelILi14E19rocblas_complex_numIfEiiPS3_EEvT1_T3_lS5_lPS5_llPT2_S5_S5_S7_l
	.p2align	8
	.type	_ZN9rocsolver6v33100L18getf2_small_kernelILi14E19rocblas_complex_numIfEiiPS3_EEvT1_T3_lS5_lPS5_llPT2_S5_S5_S7_l,@function
_ZN9rocsolver6v33100L18getf2_small_kernelILi14E19rocblas_complex_numIfEiiPS3_EEvT1_T3_lS5_lPS5_llPT2_S5_S5_S7_l: ; @_ZN9rocsolver6v33100L18getf2_small_kernelILi14E19rocblas_complex_numIfEiiPS3_EEvT1_T3_lS5_lPS5_llPT2_S5_S5_S7_l
; %bb.0:
	s_clause 0x1
	s_load_u16 s2, s[0:1], 0x6e
	s_load_b64 s[12:13], s[0:1], 0x48
	s_bfe_u32 s3, ttmp6, 0x40010
	s_bfe_u32 s4, ttmp6, 0x40004
	s_add_co_i32 s3, s3, 1
	s_getreg_b32 s5, hwreg(HW_REG_IB_STS2, 6, 4)
	s_mul_i32 s3, ttmp7, s3
	v_bfe_u32 v36, v0, 10, 10
	s_add_co_i32 s4, s4, s3
	s_cmp_eq_u32 s5, 0
	s_cselect_b32 s3, ttmp7, s4
	s_wait_kmcnt 0x0
	v_mad_u32 v2, s3, s2, v36
	s_mov_b32 s2, exec_lo
	s_delay_alu instid0(VALU_DEP_1)
	v_cmpx_gt_i32_e64 s12, v2
	s_cbranch_execz .LBB26_295
; %bb.1:
	s_load_b128 s[4:7], s[0:1], 0x50
	v_mov_b64_e32 v[26:27], 0
	v_ashrrev_i32_e32 v3, 31, v2
	s_wait_kmcnt 0x0
	s_cmp_eq_u64 s[4:5], 0
	s_cselect_b32 s12, -1, 0
	s_delay_alu instid0(SALU_CYCLE_1)
	s_and_b32 vcc_lo, exec_lo, s12
	s_cbranch_vccnz .LBB26_3
; %bb.2:
	v_mul_u64_e32 v[4:5], s[6:7], v[2:3]
	s_delay_alu instid0(VALU_DEP_1)
	v_lshl_add_u64 v[26:27], v[4:5], 2, s[4:5]
.LBB26_3:
	s_clause 0x1
	s_load_b256 s[4:11], s[0:1], 0x20
	s_load_b32 s2, s[0:1], 0x18
	v_and_b32_e32 v40, 0x3ff, v0
	s_clause 0x1
	s_load_b128 s[16:19], s[0:1], 0x8
	s_load_b32 s14, s[0:1], 0x0
	v_mov_b32_e32 v35, 0
	s_wait_kmcnt 0x0
	v_mul_u64_e32 v[4:5], s[4:5], v[2:3]
	v_add3_u32 v6, s2, s2, v40
	v_lshlrev_b32_e32 v34, 3, v40
	s_ashr_i32 s3, s2, 31
	s_max_i32 s4, s14, 14
	s_cmp_lt_i32 s14, 2
	v_dual_add_nc_u32 v8, s2, v6 :: v_dual_ashrrev_i32 v7, 31, v6
	s_delay_alu instid0(VALU_DEP_1) | instskip(NEXT) | instid1(VALU_DEP_1)
	v_add_nc_u32_e32 v10, s2, v8
	v_add_nc_u32_e32 v12, s2, v10
	s_delay_alu instid0(VALU_DEP_1) | instskip(NEXT) | instid1(VALU_DEP_1)
	v_add_nc_u32_e32 v14, s2, v12
	v_dual_ashrrev_i32 v9, 31, v8 :: v_dual_ashrrev_i32 v15, 31, v14
	v_add_nc_u32_e32 v16, s2, v14
	v_ashrrev_i32_e32 v11, 31, v10
	v_lshl_add_u64 v[0:1], v[4:5], 3, s[16:17]
	s_delay_alu instid0(VALU_DEP_3) | instskip(NEXT) | instid1(VALU_DEP_2)
	v_add_nc_u32_e32 v4, s2, v16
	v_lshl_add_u64 v[0:1], s[18:19], 3, v[0:1]
	s_delay_alu instid0(VALU_DEP_2) | instskip(SKIP_2) | instid1(VALU_DEP_4)
	v_dual_add_nc_u32 v18, s2, v4 :: v_dual_ashrrev_i32 v5, 31, v4
	v_ashrrev_i32_e32 v17, 31, v16
	v_ashrrev_i32_e32 v13, 31, v12
	v_add_nc_u64_e32 v[20:21], v[0:1], v[34:35]
	s_delay_alu instid0(VALU_DEP_4)
	v_add_nc_u32_e32 v22, s2, v18
	v_lshl_add_u64 v[28:29], v[6:7], 3, v[0:1]
	v_lshl_add_u64 v[32:33], v[8:9], 3, v[0:1]
	;; [unrolled: 1-line block ×4, first 2 shown]
	v_add_nc_u32_e32 v42, s2, v22
	v_lshl_add_u64 v[24:25], s[2:3], 3, v[20:21]
	v_ashrrev_i32_e32 v19, 31, v18
	v_lshl_add_u64 v[12:13], v[12:13], 3, v[0:1]
	v_lshl_add_u64 v[14:15], v[14:15], 3, v[0:1]
	s_clause 0x3
	global_load_b64 v[8:9], v[24:25], off
	global_load_b64 v[10:11], v[28:29], off
	;; [unrolled: 1-line block ×4, first 2 shown]
	s_wait_xcnt 0x3
	v_add_nc_u32_e32 v24, s2, v42
	s_wait_xcnt 0x1
	v_lshl_add_u64 v[32:33], v[16:17], 3, v[0:1]
	v_lshl_add_u64 v[46:47], v[18:19], 3, v[0:1]
	s_clause 0x3
	global_load_b64 v[28:29], v[38:39], off
	global_load_b64 v[18:19], v[12:13], off
	;; [unrolled: 1-line block ×4, first 2 shown]
	v_dual_add_nc_u32 v4, s2, v24 :: v_dual_ashrrev_i32 v43, 31, v42
	v_dual_ashrrev_i32 v23, 31, v22 :: v_dual_ashrrev_i32 v25, 31, v24
	s_delay_alu instid0(VALU_DEP_2) | instskip(NEXT) | instid1(VALU_DEP_3)
	v_ashrrev_i32_e32 v5, 31, v4
	v_lshl_add_u64 v[42:43], v[42:43], 3, v[0:1]
	s_wait_xcnt 0x3
	s_delay_alu instid0(VALU_DEP_3)
	v_lshl_add_u64 v[38:39], v[22:23], 3, v[0:1]
	v_lshl_add_u64 v[48:49], v[24:25], 3, v[0:1]
	;; [unrolled: 1-line block ×3, first 2 shown]
	s_clause 0x5
	global_load_b64 v[24:25], v[44:45], off
	global_load_b64 v[4:5], v[46:47], off
	global_load_b64 v[22:23], v[38:39], off
	global_load_b64 v[14:15], v[42:43], off
	global_load_b64 v[12:13], v[48:49], off
	global_load_b64 v[32:33], v[50:51], off
	s_wait_xcnt 0x3
	v_mul_lo_u32 v39, s4, v36
	s_load_b64 s[4:5], s[0:1], 0x40
	s_delay_alu instid0(VALU_DEP_1) | instskip(NEXT) | instid1(VALU_DEP_1)
	v_lshl_add_u32 v38, v39, 3, 0
	v_dual_lshlrev_b32 v39, 3, v39 :: v_dual_add_nc_u32 v34, v38, v34
	s_wait_loadcnt 0xa
	ds_store_b64 v34, v[30:31]
	s_wait_loadcnt_dscnt 0x0
	s_barrier_signal -1
	s_barrier_wait -1
	ds_load_b64 v[36:37], v38
	s_cbranch_scc1 .LBB26_6
; %bb.4:
	v_add3_u32 v34, v39, 0, 8
	v_mov_b32_e32 v35, 0
	s_wait_xcnt 0x0
	s_mov_b32 s0, 1
.LBB26_5:                               ; =>This Inner Loop Header: Depth=1
	ds_load_b64 v[42:43], v34
	s_wait_dscnt 0x1
	v_cmp_gt_f32_e32 vcc_lo, 0, v36
	v_cndmask_b32_e64 v44, v36, -v36, vcc_lo
	v_cmp_gt_f32_e32 vcc_lo, 0, v37
	v_cndmask_b32_e64 v46, v37, -v37, vcc_lo
	s_wait_dscnt 0x0
	v_cmp_gt_f32_e32 vcc_lo, 0, v42
	v_cndmask_b32_e64 v45, v42, -v42, vcc_lo
	v_cmp_gt_f32_e32 vcc_lo, 0, v43
	v_cndmask_b32_e64 v47, v43, -v43, vcc_lo
	s_delay_alu instid0(VALU_DEP_1) | instskip(NEXT) | instid1(VALU_DEP_1)
	v_pk_add_f32 v[44:45], v[44:45], v[46:47]
	v_cmp_lt_f32_e32 vcc_lo, v44, v45
	v_dual_cndmask_b32 v37, v37, v43 :: v_dual_add_nc_u32 v34, 8, v34
	v_cndmask_b32_e32 v36, v36, v42, vcc_lo
	v_cndmask_b32_e64 v35, v35, s0, vcc_lo
	s_add_co_i32 s0, s0, 1
	s_delay_alu instid0(SALU_CYCLE_1)
	s_cmp_eq_u32 s14, s0
	s_cbranch_scc0 .LBB26_5
.LBB26_6:
	s_wait_dscnt 0x0
	v_cmp_neq_f32_e32 vcc_lo, 0, v36
	s_wait_xcnt 0x0
	v_cmp_neq_f32_e64 s0, 0, v37
	v_dual_mov_b32 v41, 1 :: v_dual_mov_b32 v43, 1
	s_or_b32 s1, vcc_lo, s0
	s_delay_alu instid0(SALU_CYCLE_1)
	s_and_saveexec_b32 s0, s1
	s_cbranch_execz .LBB26_12
; %bb.7:
	v_cmp_ngt_f32_e64 s1, |v36|, |v37|
	s_and_saveexec_b32 s15, s1
	s_delay_alu instid0(SALU_CYCLE_1)
	s_xor_b32 s1, exec_lo, s15
	s_cbranch_execz .LBB26_9
; %bb.8:
	v_div_scale_f32 v34, null, v37, v37, v36
	v_div_scale_f32 v43, vcc_lo, v36, v37, v36
	s_delay_alu instid0(VALU_DEP_2) | instskip(SKIP_1) | instid1(TRANS32_DEP_1)
	v_rcp_f32_e32 v41, v34
	v_nop
	v_fma_f32 v42, -v34, v41, 1.0
	s_delay_alu instid0(VALU_DEP_1) | instskip(NEXT) | instid1(VALU_DEP_1)
	v_fmac_f32_e32 v41, v42, v41
	v_mul_f32_e32 v42, v43, v41
	s_delay_alu instid0(VALU_DEP_1) | instskip(NEXT) | instid1(VALU_DEP_1)
	v_fma_f32 v44, -v34, v42, v43
	v_fmac_f32_e32 v42, v44, v41
	s_delay_alu instid0(VALU_DEP_1) | instskip(NEXT) | instid1(VALU_DEP_1)
	v_fma_f32 v34, -v34, v42, v43
	v_div_fmas_f32 v34, v34, v41, v42
	s_delay_alu instid0(VALU_DEP_1) | instskip(NEXT) | instid1(VALU_DEP_1)
	v_div_fixup_f32 v34, v34, v37, v36
	v_fmac_f32_e32 v37, v36, v34
	s_delay_alu instid0(VALU_DEP_1) | instskip(SKIP_1) | instid1(VALU_DEP_2)
	v_div_scale_f32 v36, null, v37, v37, 1.0
	v_div_scale_f32 v43, vcc_lo, 1.0, v37, 1.0
	v_rcp_f32_e32 v41, v36
	v_nop
	s_delay_alu instid0(TRANS32_DEP_1) | instskip(NEXT) | instid1(VALU_DEP_1)
	v_fma_f32 v42, -v36, v41, 1.0
	v_fmac_f32_e32 v41, v42, v41
	s_delay_alu instid0(VALU_DEP_1) | instskip(NEXT) | instid1(VALU_DEP_1)
	v_mul_f32_e32 v42, v43, v41
	v_fma_f32 v44, -v36, v42, v43
	s_delay_alu instid0(VALU_DEP_1) | instskip(NEXT) | instid1(VALU_DEP_1)
	v_fmac_f32_e32 v42, v44, v41
	v_fma_f32 v36, -v36, v42, v43
	s_delay_alu instid0(VALU_DEP_1) | instskip(NEXT) | instid1(VALU_DEP_1)
	v_div_fmas_f32 v36, v36, v41, v42
	v_div_fixup_f32 v37, v36, v37, 1.0
	s_delay_alu instid0(VALU_DEP_1)
	v_mul_f32_e32 v36, v34, v37
	v_xor_b32_e32 v37, 0x80000000, v37
.LBB26_9:
	s_and_not1_saveexec_b32 s1, s1
	s_cbranch_execz .LBB26_11
; %bb.10:
	s_delay_alu instid0(VALU_DEP_1) | instskip(SKIP_1) | instid1(VALU_DEP_2)
	v_div_scale_f32 v34, null, v36, v36, v37
	v_div_scale_f32 v43, vcc_lo, v37, v36, v37
	v_rcp_f32_e32 v41, v34
	v_nop
	s_delay_alu instid0(TRANS32_DEP_1) | instskip(NEXT) | instid1(VALU_DEP_1)
	v_fma_f32 v42, -v34, v41, 1.0
	v_fmac_f32_e32 v41, v42, v41
	s_delay_alu instid0(VALU_DEP_1) | instskip(NEXT) | instid1(VALU_DEP_1)
	v_mul_f32_e32 v42, v43, v41
	v_fma_f32 v44, -v34, v42, v43
	s_delay_alu instid0(VALU_DEP_1) | instskip(NEXT) | instid1(VALU_DEP_1)
	v_fmac_f32_e32 v42, v44, v41
	v_fma_f32 v34, -v34, v42, v43
	s_delay_alu instid0(VALU_DEP_1) | instskip(NEXT) | instid1(VALU_DEP_1)
	v_div_fmas_f32 v34, v34, v41, v42
	v_div_fixup_f32 v34, v34, v36, v37
	s_delay_alu instid0(VALU_DEP_1) | instskip(NEXT) | instid1(VALU_DEP_1)
	v_fmac_f32_e32 v36, v37, v34
	v_div_scale_f32 v37, null, v36, v36, 1.0
	s_delay_alu instid0(VALU_DEP_1) | instskip(SKIP_1) | instid1(TRANS32_DEP_1)
	v_rcp_f32_e32 v41, v37
	v_nop
	v_fma_f32 v42, -v37, v41, 1.0
	s_delay_alu instid0(VALU_DEP_1) | instskip(SKIP_1) | instid1(VALU_DEP_1)
	v_fmac_f32_e32 v41, v42, v41
	v_div_scale_f32 v42, vcc_lo, 1.0, v36, 1.0
	v_mul_f32_e32 v43, v42, v41
	s_delay_alu instid0(VALU_DEP_1) | instskip(NEXT) | instid1(VALU_DEP_1)
	v_fma_f32 v44, -v37, v43, v42
	v_fmac_f32_e32 v43, v44, v41
	s_delay_alu instid0(VALU_DEP_1) | instskip(NEXT) | instid1(VALU_DEP_1)
	v_fma_f32 v37, -v37, v43, v42
	v_div_fmas_f32 v37, v37, v41, v43
	s_delay_alu instid0(VALU_DEP_1) | instskip(NEXT) | instid1(VALU_DEP_1)
	v_div_fixup_f32 v36, v37, v36, 1.0
	v_mul_f32_e64 v37, v34, -v36
.LBB26_11:
	s_or_b32 exec_lo, exec_lo, s1
	v_dual_mov_b32 v43, 0 :: v_dual_mov_b32 v41, 2
.LBB26_12:
	s_or_b32 exec_lo, exec_lo, s0
	s_delay_alu instid0(SALU_CYCLE_1)
	s_mov_b32 s0, exec_lo
	v_cmpx_ne_u32_e64 v40, v35
	s_xor_b32 s0, exec_lo, s0
	s_cbranch_execz .LBB26_18
; %bb.13:
	s_mov_b32 s1, exec_lo
	v_cmpx_eq_u32_e32 0, v40
	s_cbranch_execz .LBB26_17
; %bb.14:
	v_cmp_ne_u32_e32 vcc_lo, 0, v35
	s_xor_b32 s15, s12, -1
	s_delay_alu instid0(SALU_CYCLE_1) | instskip(NEXT) | instid1(SALU_CYCLE_1)
	s_and_b32 s16, s15, vcc_lo
	s_and_saveexec_b32 s15, s16
	s_cbranch_execz .LBB26_16
; %bb.15:
	v_dual_mov_b32 v44, v35 :: v_dual_ashrrev_i32 v45, 31, v35
	s_delay_alu instid0(VALU_DEP_1)
	v_lshl_add_u64 v[44:45], v[44:45], 2, v[26:27]
	s_clause 0x1
	global_load_b32 v34, v[44:45], off
	global_load_b32 v40, v[26:27], off
	s_wait_loadcnt 0x1
	global_store_b32 v[26:27], v34, off
	s_wait_loadcnt 0x0
	global_store_b32 v[44:45], v40, off
.LBB26_16:
	s_wait_xcnt 0x0
	s_or_b32 exec_lo, exec_lo, s15
	v_mov_b32_e32 v40, v35
.LBB26_17:
	s_or_b32 exec_lo, exec_lo, s1
.LBB26_18:
	s_or_saveexec_b32 s0, s0
	s_delay_alu instid0(VALU_DEP_1)
	v_mov_b32_e32 v42, v40
	s_xor_b32 exec_lo, exec_lo, s0
	s_cbranch_execz .LBB26_20
; %bb.19:
	v_mov_b32_e32 v42, 0
	ds_store_2addr_b64 v38, v[8:9], v[10:11] offset0:1 offset1:2
	ds_store_2addr_b64 v38, v[6:7], v[28:29] offset0:3 offset1:4
	;; [unrolled: 1-line block ×6, first 2 shown]
	ds_store_b64 v38, v[32:33] offset:104
.LBB26_20:
	s_or_b32 exec_lo, exec_lo, s0
	s_delay_alu instid0(SALU_CYCLE_1)
	s_mov_b32 s0, exec_lo
	s_wait_storecnt_dscnt 0x0
	s_barrier_signal -1
	s_barrier_wait -1
	v_cmpx_lt_i32_e32 0, v42
	s_cbranch_execz .LBB26_22
; %bb.21:
	v_pk_mul_f32 v[34:35], v[36:37], v[30:31] op_sel:[1,1] op_sel_hi:[0,1]
	s_delay_alu instid0(VALU_DEP_1)
	v_pk_fma_f32 v[44:45], v[36:37], v[30:31], v[34:35] op_sel_hi:[1,0,1] neg_lo:[0,0,1] neg_hi:[0,0,1]
	v_pk_fma_f32 v[46:47], v[36:37], v[30:31], v[34:35] op_sel_hi:[1,0,1]
	ds_load_2addr_b64 v[34:37], v38 offset0:1 offset1:2
	v_dual_mov_b32 v30, v44 :: v_dual_mov_b32 v31, v47
	s_wait_dscnt 0x0
	v_pk_mul_f32 v[48:49], v[34:35], v[46:47] op_sel:[0,1]
	s_delay_alu instid0(VALU_DEP_1) | instskip(SKIP_1) | instid1(VALU_DEP_1)
	v_pk_fma_f32 v[50:51], v[34:35], v[44:45], v[48:49] op_sel:[0,0,1] op_sel_hi:[1,1,0] neg_lo:[0,0,1] neg_hi:[0,0,1]
	v_pk_fma_f32 v[34:35], v[34:35], v[44:45], v[48:49] op_sel:[0,0,1] op_sel_hi:[1,0,0]
	v_mov_b32_e32 v51, v35
	v_pk_mul_f32 v[34:35], v[36:37], v[46:47] op_sel:[0,1]
	s_delay_alu instid0(VALU_DEP_1) | instskip(SKIP_1) | instid1(VALU_DEP_1)
	v_pk_fma_f32 v[48:49], v[36:37], v[44:45], v[34:35] op_sel:[0,0,1] op_sel_hi:[1,1,0] neg_lo:[0,0,1] neg_hi:[0,0,1]
	v_pk_fma_f32 v[34:35], v[36:37], v[44:45], v[34:35] op_sel:[0,0,1] op_sel_hi:[1,0,0]
	v_mov_b32_e32 v49, v35
	ds_load_2addr_b64 v[34:37], v38 offset0:3 offset1:4
	v_pk_add_f32 v[8:9], v[8:9], v[50:51] neg_lo:[0,1] neg_hi:[0,1]
	v_pk_add_f32 v[10:11], v[10:11], v[48:49] neg_lo:[0,1] neg_hi:[0,1]
	s_wait_dscnt 0x0
	v_pk_mul_f32 v[48:49], v[34:35], v[46:47] op_sel:[0,1]
	s_delay_alu instid0(VALU_DEP_1) | instskip(SKIP_2) | instid1(VALU_DEP_2)
	v_pk_fma_f32 v[50:51], v[34:35], v[44:45], v[48:49] op_sel:[0,0,1] op_sel_hi:[1,1,0] neg_lo:[0,0,1] neg_hi:[0,0,1]
	v_pk_fma_f32 v[34:35], v[34:35], v[44:45], v[48:49] op_sel:[0,0,1] op_sel_hi:[1,0,0]
	v_dual_mul_f32 v48, v37, v47 :: v_dual_mov_b32 v34, v37
	v_dual_mov_b32 v51, v35 :: v_dual_mov_b32 v35, v36
	s_delay_alu instid0(VALU_DEP_2) | instskip(SKIP_1) | instid1(VALU_DEP_3)
	v_pk_fma_f32 v[48:49], v[36:37], v[30:31], v[48:49] op_sel_hi:[1,1,0] neg_lo:[0,0,1] neg_hi:[0,0,1]
	v_mul_f32_e32 v36, v37, v44
	v_pk_add_f32 v[6:7], v[6:7], v[50:51] neg_lo:[0,1] neg_hi:[0,1]
	s_delay_alu instid0(VALU_DEP_2) | instskip(NEXT) | instid1(VALU_DEP_1)
	v_pk_fma_f32 v[34:35], v[34:35], v[30:31], v[36:37] op_sel_hi:[1,1,0]
	v_mov_b32_e32 v49, v35
	ds_load_2addr_b64 v[34:37], v38 offset0:5 offset1:6
	v_pk_add_f32 v[28:29], v[28:29], v[48:49] neg_lo:[0,1] neg_hi:[0,1]
	s_wait_dscnt 0x0
	v_pk_mul_f32 v[48:49], v[34:35], v[46:47] op_sel:[0,1]
	s_delay_alu instid0(VALU_DEP_1) | instskip(SKIP_1) | instid1(VALU_DEP_1)
	v_pk_fma_f32 v[50:51], v[34:35], v[44:45], v[48:49] op_sel:[0,0,1] op_sel_hi:[1,1,0] neg_lo:[0,0,1] neg_hi:[0,0,1]
	v_pk_fma_f32 v[34:35], v[34:35], v[44:45], v[48:49] op_sel:[0,0,1] op_sel_hi:[1,0,0]
	v_mov_b32_e32 v51, v35
	v_pk_mul_f32 v[34:35], v[36:37], v[46:47] op_sel:[0,1]
	s_delay_alu instid0(VALU_DEP_1) | instskip(SKIP_1) | instid1(VALU_DEP_1)
	v_pk_fma_f32 v[48:49], v[36:37], v[44:45], v[34:35] op_sel:[0,0,1] op_sel_hi:[1,1,0] neg_lo:[0,0,1] neg_hi:[0,0,1]
	v_pk_fma_f32 v[34:35], v[36:37], v[44:45], v[34:35] op_sel:[0,0,1] op_sel_hi:[1,0,0]
	v_mov_b32_e32 v49, v35
	ds_load_2addr_b64 v[34:37], v38 offset0:7 offset1:8
	v_pk_add_f32 v[18:19], v[18:19], v[50:51] neg_lo:[0,1] neg_hi:[0,1]
	v_pk_add_f32 v[20:21], v[20:21], v[48:49] neg_lo:[0,1] neg_hi:[0,1]
	s_wait_dscnt 0x0
	v_pk_mul_f32 v[48:49], v[34:35], v[46:47] op_sel:[0,1]
	s_delay_alu instid0(VALU_DEP_1) | instskip(SKIP_1) | instid1(VALU_DEP_1)
	v_pk_fma_f32 v[50:51], v[34:35], v[44:45], v[48:49] op_sel:[0,0,1] op_sel_hi:[1,1,0] neg_lo:[0,0,1] neg_hi:[0,0,1]
	v_pk_fma_f32 v[34:35], v[34:35], v[44:45], v[48:49] op_sel:[0,0,1] op_sel_hi:[1,0,0]
	v_mov_b32_e32 v51, v35
	v_pk_mul_f32 v[34:35], v[36:37], v[46:47] op_sel:[0,1]
	s_delay_alu instid0(VALU_DEP_1) | instskip(SKIP_1) | instid1(VALU_DEP_1)
	v_pk_fma_f32 v[48:49], v[36:37], v[44:45], v[34:35] op_sel:[0,0,1] op_sel_hi:[1,1,0] neg_lo:[0,0,1] neg_hi:[0,0,1]
	v_pk_fma_f32 v[34:35], v[36:37], v[44:45], v[34:35] op_sel:[0,0,1] op_sel_hi:[1,0,0]
	v_mov_b32_e32 v49, v35
	ds_load_2addr_b64 v[34:37], v38 offset0:9 offset1:10
	v_pk_add_f32 v[16:17], v[16:17], v[50:51] neg_lo:[0,1] neg_hi:[0,1]
	v_pk_add_f32 v[24:25], v[24:25], v[48:49] neg_lo:[0,1] neg_hi:[0,1]
	s_wait_dscnt 0x0
	v_dual_mul_f32 v48, v35, v47 :: v_dual_mul_f32 v50, v35, v44
	s_delay_alu instid0(VALU_DEP_1) | instskip(NEXT) | instid1(VALU_DEP_2)
	v_pk_fma_f32 v[48:49], v[34:35], v[30:31], v[48:49] op_sel_hi:[1,1,0] neg_lo:[0,0,1] neg_hi:[0,0,1]
	v_pk_fma_f32 v[34:35], v[34:35], v[30:31], v[50:51] op_sel:[1,0,0] op_sel_hi:[0,1,0]
	s_delay_alu instid0(VALU_DEP_1) | instskip(SKIP_1) | instid1(VALU_DEP_2)
	v_mov_b32_e32 v49, v35
	v_pk_mul_f32 v[34:35], v[36:37], v[46:47] op_sel:[0,1]
	v_pk_add_f32 v[4:5], v[4:5], v[48:49] neg_lo:[0,1] neg_hi:[0,1]
	s_delay_alu instid0(VALU_DEP_2) | instskip(SKIP_1) | instid1(VALU_DEP_1)
	v_pk_fma_f32 v[48:49], v[36:37], v[44:45], v[34:35] op_sel:[0,0,1] op_sel_hi:[1,1,0] neg_lo:[0,0,1] neg_hi:[0,0,1]
	v_pk_fma_f32 v[34:35], v[36:37], v[44:45], v[34:35] op_sel:[0,0,1] op_sel_hi:[1,0,0]
	v_mov_b32_e32 v49, v35
	ds_load_2addr_b64 v[34:37], v38 offset0:11 offset1:12
	v_pk_add_f32 v[22:23], v[22:23], v[48:49] neg_lo:[0,1] neg_hi:[0,1]
	s_wait_dscnt 0x0
	v_pk_mul_f32 v[48:49], v[34:35], v[46:47] op_sel:[0,1]
	s_delay_alu instid0(VALU_DEP_1) | instskip(SKIP_1) | instid1(VALU_DEP_1)
	v_pk_fma_f32 v[50:51], v[34:35], v[44:45], v[48:49] op_sel:[0,0,1] op_sel_hi:[1,1,0] neg_lo:[0,0,1] neg_hi:[0,0,1]
	v_pk_fma_f32 v[34:35], v[34:35], v[44:45], v[48:49] op_sel:[0,0,1] op_sel_hi:[1,0,0]
	v_mov_b32_e32 v51, v35
	v_pk_mul_f32 v[34:35], v[36:37], v[46:47] op_sel:[0,1]
	s_delay_alu instid0(VALU_DEP_2) | instskip(NEXT) | instid1(VALU_DEP_2)
	v_pk_add_f32 v[14:15], v[14:15], v[50:51] neg_lo:[0,1] neg_hi:[0,1]
	v_pk_fma_f32 v[48:49], v[36:37], v[44:45], v[34:35] op_sel:[0,0,1] op_sel_hi:[1,1,0] neg_lo:[0,0,1] neg_hi:[0,0,1]
	v_pk_fma_f32 v[34:35], v[36:37], v[44:45], v[34:35] op_sel:[0,0,1] op_sel_hi:[1,0,0]
	s_delay_alu instid0(VALU_DEP_1) | instskip(SKIP_4) | instid1(VALU_DEP_1)
	v_mov_b32_e32 v49, v35
	ds_load_b64 v[34:35], v38 offset:104
	v_pk_add_f32 v[12:13], v[12:13], v[48:49] neg_lo:[0,1] neg_hi:[0,1]
	s_wait_dscnt 0x0
	v_pk_mul_f32 v[36:37], v[34:35], v[46:47] op_sel:[0,1]
	v_pk_fma_f32 v[46:47], v[34:35], v[44:45], v[36:37] op_sel:[0,0,1] op_sel_hi:[1,1,0] neg_lo:[0,0,1] neg_hi:[0,0,1]
	v_pk_fma_f32 v[34:35], v[34:35], v[44:45], v[36:37] op_sel:[0,0,1] op_sel_hi:[1,0,0]
	s_delay_alu instid0(VALU_DEP_1) | instskip(NEXT) | instid1(VALU_DEP_1)
	v_mov_b32_e32 v47, v35
	v_pk_add_f32 v[32:33], v[32:33], v[46:47] neg_lo:[0,1] neg_hi:[0,1]
.LBB26_22:
	s_or_b32 exec_lo, exec_lo, s0
	v_lshl_add_u32 v34, v42, 3, v38
	s_barrier_signal -1
	s_barrier_wait -1
	ds_store_b64 v34, v[8:9]
	s_wait_dscnt 0x0
	s_barrier_signal -1
	s_barrier_wait -1
	ds_load_b64 v[34:35], v38 offset:8
	v_mov_b32_e32 v36, 1
	s_cmp_lt_i32 s14, 3
	s_cbranch_scc1 .LBB26_25
; %bb.23:
	v_add3_u32 v37, v39, 0, 16
	v_mov_b32_e32 v36, 1
	s_mov_b32 s0, 2
.LBB26_24:                              ; =>This Inner Loop Header: Depth=1
	ds_load_b64 v[44:45], v37
	s_wait_dscnt 0x1
	v_cmp_gt_f32_e32 vcc_lo, 0, v34
	v_cndmask_b32_e64 v46, v34, -v34, vcc_lo
	v_cmp_gt_f32_e32 vcc_lo, 0, v35
	v_cndmask_b32_e64 v48, v35, -v35, vcc_lo
	s_wait_dscnt 0x0
	v_cmp_gt_f32_e32 vcc_lo, 0, v44
	v_cndmask_b32_e64 v47, v44, -v44, vcc_lo
	v_cmp_gt_f32_e32 vcc_lo, 0, v45
	v_cndmask_b32_e64 v49, v45, -v45, vcc_lo
	s_delay_alu instid0(VALU_DEP_1) | instskip(NEXT) | instid1(VALU_DEP_1)
	v_pk_add_f32 v[46:47], v[46:47], v[48:49]
	v_cmp_lt_f32_e32 vcc_lo, v46, v47
	v_dual_cndmask_b32 v34, v34, v44 :: v_dual_add_nc_u32 v37, 8, v37
	v_cndmask_b32_e32 v35, v35, v45, vcc_lo
	v_cndmask_b32_e64 v36, v36, s0, vcc_lo
	s_add_co_i32 s0, s0, 1
	s_delay_alu instid0(SALU_CYCLE_1)
	s_cmp_lg_u32 s14, s0
	s_cbranch_scc1 .LBB26_24
.LBB26_25:
	s_wait_dscnt 0x0
	v_cmp_neq_f32_e32 vcc_lo, 0, v34
	v_cmp_neq_f32_e64 s0, 0, v35
	s_or_b32 s1, vcc_lo, s0
	s_delay_alu instid0(SALU_CYCLE_1)
	s_and_saveexec_b32 s0, s1
	s_cbranch_execz .LBB26_31
; %bb.26:
	v_cmp_ngt_f32_e64 s1, |v34|, |v35|
	s_and_saveexec_b32 s15, s1
	s_delay_alu instid0(SALU_CYCLE_1)
	s_xor_b32 s1, exec_lo, s15
	s_cbranch_execz .LBB26_28
; %bb.27:
	v_div_scale_f32 v37, null, v35, v35, v34
	v_div_scale_f32 v45, vcc_lo, v34, v35, v34
	s_delay_alu instid0(VALU_DEP_2) | instskip(SKIP_1) | instid1(TRANS32_DEP_1)
	v_rcp_f32_e32 v41, v37
	v_nop
	v_fma_f32 v44, -v37, v41, 1.0
	s_delay_alu instid0(VALU_DEP_1) | instskip(NEXT) | instid1(VALU_DEP_1)
	v_fmac_f32_e32 v41, v44, v41
	v_mul_f32_e32 v44, v45, v41
	s_delay_alu instid0(VALU_DEP_1) | instskip(NEXT) | instid1(VALU_DEP_1)
	v_fma_f32 v46, -v37, v44, v45
	v_fmac_f32_e32 v44, v46, v41
	s_delay_alu instid0(VALU_DEP_1) | instskip(NEXT) | instid1(VALU_DEP_1)
	v_fma_f32 v37, -v37, v44, v45
	v_div_fmas_f32 v37, v37, v41, v44
	s_delay_alu instid0(VALU_DEP_1) | instskip(NEXT) | instid1(VALU_DEP_1)
	v_div_fixup_f32 v37, v37, v35, v34
	v_fmac_f32_e32 v35, v34, v37
	s_delay_alu instid0(VALU_DEP_1) | instskip(SKIP_1) | instid1(VALU_DEP_2)
	v_div_scale_f32 v34, null, v35, v35, 1.0
	v_div_scale_f32 v45, vcc_lo, 1.0, v35, 1.0
	v_rcp_f32_e32 v41, v34
	v_nop
	s_delay_alu instid0(TRANS32_DEP_1) | instskip(NEXT) | instid1(VALU_DEP_1)
	v_fma_f32 v44, -v34, v41, 1.0
	v_fmac_f32_e32 v41, v44, v41
	s_delay_alu instid0(VALU_DEP_1) | instskip(NEXT) | instid1(VALU_DEP_1)
	v_mul_f32_e32 v44, v45, v41
	v_fma_f32 v46, -v34, v44, v45
	s_delay_alu instid0(VALU_DEP_1) | instskip(NEXT) | instid1(VALU_DEP_1)
	v_fmac_f32_e32 v44, v46, v41
	v_fma_f32 v34, -v34, v44, v45
	s_delay_alu instid0(VALU_DEP_1) | instskip(NEXT) | instid1(VALU_DEP_1)
	v_div_fmas_f32 v34, v34, v41, v44
	v_div_fixup_f32 v35, v34, v35, 1.0
	s_delay_alu instid0(VALU_DEP_1)
	v_mul_f32_e32 v34, v37, v35
	v_xor_b32_e32 v35, 0x80000000, v35
.LBB26_28:
	s_and_not1_saveexec_b32 s1, s1
	s_cbranch_execz .LBB26_30
; %bb.29:
	s_delay_alu instid0(VALU_DEP_1) | instskip(SKIP_1) | instid1(VALU_DEP_2)
	v_div_scale_f32 v37, null, v34, v34, v35
	v_div_scale_f32 v45, vcc_lo, v35, v34, v35
	v_rcp_f32_e32 v41, v37
	v_nop
	s_delay_alu instid0(TRANS32_DEP_1) | instskip(NEXT) | instid1(VALU_DEP_1)
	v_fma_f32 v44, -v37, v41, 1.0
	v_fmac_f32_e32 v41, v44, v41
	s_delay_alu instid0(VALU_DEP_1) | instskip(NEXT) | instid1(VALU_DEP_1)
	v_mul_f32_e32 v44, v45, v41
	v_fma_f32 v46, -v37, v44, v45
	s_delay_alu instid0(VALU_DEP_1) | instskip(NEXT) | instid1(VALU_DEP_1)
	v_fmac_f32_e32 v44, v46, v41
	v_fma_f32 v37, -v37, v44, v45
	s_delay_alu instid0(VALU_DEP_1) | instskip(NEXT) | instid1(VALU_DEP_1)
	v_div_fmas_f32 v37, v37, v41, v44
	v_div_fixup_f32 v37, v37, v34, v35
	s_delay_alu instid0(VALU_DEP_1) | instskip(NEXT) | instid1(VALU_DEP_1)
	v_fmac_f32_e32 v34, v35, v37
	v_div_scale_f32 v35, null, v34, v34, 1.0
	s_delay_alu instid0(VALU_DEP_1) | instskip(SKIP_1) | instid1(TRANS32_DEP_1)
	v_rcp_f32_e32 v41, v35
	v_nop
	v_fma_f32 v44, -v35, v41, 1.0
	s_delay_alu instid0(VALU_DEP_1) | instskip(SKIP_1) | instid1(VALU_DEP_1)
	v_fmac_f32_e32 v41, v44, v41
	v_div_scale_f32 v44, vcc_lo, 1.0, v34, 1.0
	v_mul_f32_e32 v45, v44, v41
	s_delay_alu instid0(VALU_DEP_1) | instskip(NEXT) | instid1(VALU_DEP_1)
	v_fma_f32 v46, -v35, v45, v44
	v_fmac_f32_e32 v45, v46, v41
	s_delay_alu instid0(VALU_DEP_1) | instskip(NEXT) | instid1(VALU_DEP_1)
	v_fma_f32 v35, -v35, v45, v44
	v_div_fmas_f32 v35, v35, v41, v45
	s_delay_alu instid0(VALU_DEP_1) | instskip(NEXT) | instid1(VALU_DEP_1)
	v_div_fixup_f32 v34, v35, v34, 1.0
	v_mul_f32_e64 v35, v37, -v34
.LBB26_30:
	s_or_b32 exec_lo, exec_lo, s1
	v_mov_b32_e32 v41, v43
.LBB26_31:
	s_or_b32 exec_lo, exec_lo, s0
	s_delay_alu instid0(SALU_CYCLE_1)
	s_mov_b32 s0, exec_lo
	v_cmpx_ne_u32_e64 v42, v36
	s_xor_b32 s0, exec_lo, s0
	s_cbranch_execz .LBB26_37
; %bb.32:
	s_mov_b32 s1, exec_lo
	v_cmpx_eq_u32_e32 1, v42
	s_cbranch_execz .LBB26_36
; %bb.33:
	v_cmp_ne_u32_e32 vcc_lo, 1, v36
	s_xor_b32 s15, s12, -1
	s_delay_alu instid0(SALU_CYCLE_1) | instskip(NEXT) | instid1(SALU_CYCLE_1)
	s_and_b32 s16, s15, vcc_lo
	s_and_saveexec_b32 s15, s16
	s_cbranch_execz .LBB26_35
; %bb.34:
	v_ashrrev_i32_e32 v37, 31, v36
	s_delay_alu instid0(VALU_DEP_1)
	v_lshl_add_u64 v[42:43], v[36:37], 2, v[26:27]
	s_clause 0x1
	global_load_b32 v37, v[42:43], off
	global_load_b32 v40, v[26:27], off offset:4
	s_wait_loadcnt 0x1
	global_store_b32 v[26:27], v37, off offset:4
	s_wait_loadcnt 0x0
	global_store_b32 v[42:43], v40, off
.LBB26_35:
	s_wait_xcnt 0x0
	s_or_b32 exec_lo, exec_lo, s15
	v_dual_mov_b32 v42, v36 :: v_dual_mov_b32 v40, v36
.LBB26_36:
	s_or_b32 exec_lo, exec_lo, s1
.LBB26_37:
	s_and_not1_saveexec_b32 s0, s0
	s_cbranch_execz .LBB26_39
; %bb.38:
	v_dual_mov_b32 v36, v10 :: v_dual_mov_b32 v37, v11
	v_dual_mov_b32 v42, v6 :: v_dual_mov_b32 v43, v7
	;; [unrolled: 1-line block ×4, first 2 shown]
	ds_store_2addr_b64 v38, v[36:37], v[42:43] offset0:2 offset1:3
	ds_store_2addr_b64 v38, v[44:45], v[46:47] offset0:4 offset1:5
	v_dual_mov_b32 v36, v20 :: v_dual_mov_b32 v37, v21
	v_dual_mov_b32 v44, v16 :: v_dual_mov_b32 v45, v17
	;; [unrolled: 1-line block ×7, first 2 shown]
	v_mov_b32_e32 v55, v13
	ds_store_2addr_b64 v38, v[36:37], v[44:45] offset0:6 offset1:7
	ds_store_2addr_b64 v38, v[46:47], v[48:49] offset0:8 offset1:9
	;; [unrolled: 1-line block ×4, first 2 shown]
.LBB26_39:
	s_or_b32 exec_lo, exec_lo, s0
	s_delay_alu instid0(SALU_CYCLE_1)
	s_mov_b32 s0, exec_lo
	s_wait_storecnt_dscnt 0x0
	s_barrier_signal -1
	s_barrier_wait -1
	v_cmpx_lt_i32_e32 1, v42
	s_cbranch_execz .LBB26_41
; %bb.40:
	v_pk_mul_f32 v[36:37], v[34:35], v[8:9] op_sel:[1,1] op_sel_hi:[0,1]
	s_delay_alu instid0(VALU_DEP_1)
	v_pk_fma_f32 v[44:45], v[34:35], v[8:9], v[36:37] op_sel_hi:[1,0,1] neg_lo:[0,0,1] neg_hi:[0,0,1]
	v_pk_fma_f32 v[46:47], v[34:35], v[8:9], v[36:37] op_sel_hi:[1,0,1]
	ds_load_2addr_b64 v[34:37], v38 offset0:2 offset1:3
	v_dual_mov_b32 v8, v44 :: v_dual_mov_b32 v9, v47
	s_wait_dscnt 0x0
	v_pk_mul_f32 v[48:49], v[34:35], v[46:47] op_sel:[0,1]
	s_delay_alu instid0(VALU_DEP_1) | instskip(SKIP_1) | instid1(VALU_DEP_1)
	v_pk_fma_f32 v[50:51], v[34:35], v[44:45], v[48:49] op_sel:[0,0,1] op_sel_hi:[1,1,0] neg_lo:[0,0,1] neg_hi:[0,0,1]
	v_pk_fma_f32 v[34:35], v[34:35], v[44:45], v[48:49] op_sel:[0,0,1] op_sel_hi:[1,0,0]
	v_mov_b32_e32 v51, v35
	v_pk_mul_f32 v[34:35], v[36:37], v[46:47] op_sel:[0,1]
	s_delay_alu instid0(VALU_DEP_1) | instskip(SKIP_1) | instid1(VALU_DEP_1)
	v_pk_fma_f32 v[48:49], v[36:37], v[44:45], v[34:35] op_sel:[0,0,1] op_sel_hi:[1,1,0] neg_lo:[0,0,1] neg_hi:[0,0,1]
	v_pk_fma_f32 v[34:35], v[36:37], v[44:45], v[34:35] op_sel:[0,0,1] op_sel_hi:[1,0,0]
	v_mov_b32_e32 v49, v35
	ds_load_2addr_b64 v[34:37], v38 offset0:4 offset1:5
	v_pk_add_f32 v[10:11], v[10:11], v[50:51] neg_lo:[0,1] neg_hi:[0,1]
	v_pk_add_f32 v[6:7], v[6:7], v[48:49] neg_lo:[0,1] neg_hi:[0,1]
	s_wait_dscnt 0x0
	v_pk_mul_f32 v[48:49], v[34:35], v[46:47] op_sel:[0,1]
	s_delay_alu instid0(VALU_DEP_1) | instskip(SKIP_2) | instid1(VALU_DEP_2)
	v_pk_fma_f32 v[50:51], v[34:35], v[44:45], v[48:49] op_sel:[0,0,1] op_sel_hi:[1,1,0] neg_lo:[0,0,1] neg_hi:[0,0,1]
	v_pk_fma_f32 v[34:35], v[34:35], v[44:45], v[48:49] op_sel:[0,0,1] op_sel_hi:[1,0,0]
	v_dual_mul_f32 v48, v37, v47 :: v_dual_mov_b32 v34, v37
	v_dual_mov_b32 v51, v35 :: v_dual_mov_b32 v35, v36
	s_delay_alu instid0(VALU_DEP_2) | instskip(SKIP_1) | instid1(VALU_DEP_3)
	v_pk_fma_f32 v[48:49], v[36:37], v[8:9], v[48:49] op_sel_hi:[1,1,0] neg_lo:[0,0,1] neg_hi:[0,0,1]
	v_mul_f32_e32 v36, v37, v44
	v_pk_add_f32 v[28:29], v[28:29], v[50:51] neg_lo:[0,1] neg_hi:[0,1]
	s_delay_alu instid0(VALU_DEP_2) | instskip(NEXT) | instid1(VALU_DEP_1)
	v_pk_fma_f32 v[34:35], v[34:35], v[8:9], v[36:37] op_sel_hi:[1,1,0]
	v_mov_b32_e32 v49, v35
	ds_load_2addr_b64 v[34:37], v38 offset0:6 offset1:7
	v_pk_add_f32 v[18:19], v[18:19], v[48:49] neg_lo:[0,1] neg_hi:[0,1]
	s_wait_dscnt 0x0
	v_pk_mul_f32 v[48:49], v[34:35], v[46:47] op_sel:[0,1]
	s_delay_alu instid0(VALU_DEP_1) | instskip(SKIP_1) | instid1(VALU_DEP_1)
	v_pk_fma_f32 v[50:51], v[34:35], v[44:45], v[48:49] op_sel:[0,0,1] op_sel_hi:[1,1,0] neg_lo:[0,0,1] neg_hi:[0,0,1]
	v_pk_fma_f32 v[34:35], v[34:35], v[44:45], v[48:49] op_sel:[0,0,1] op_sel_hi:[1,0,0]
	v_mov_b32_e32 v51, v35
	v_pk_mul_f32 v[34:35], v[36:37], v[46:47] op_sel:[0,1]
	s_delay_alu instid0(VALU_DEP_1) | instskip(SKIP_1) | instid1(VALU_DEP_1)
	v_pk_fma_f32 v[48:49], v[36:37], v[44:45], v[34:35] op_sel:[0,0,1] op_sel_hi:[1,1,0] neg_lo:[0,0,1] neg_hi:[0,0,1]
	v_pk_fma_f32 v[34:35], v[36:37], v[44:45], v[34:35] op_sel:[0,0,1] op_sel_hi:[1,0,0]
	v_mov_b32_e32 v49, v35
	ds_load_2addr_b64 v[34:37], v38 offset0:8 offset1:9
	v_pk_add_f32 v[20:21], v[20:21], v[50:51] neg_lo:[0,1] neg_hi:[0,1]
	v_pk_add_f32 v[16:17], v[16:17], v[48:49] neg_lo:[0,1] neg_hi:[0,1]
	s_wait_dscnt 0x0
	v_pk_mul_f32 v[48:49], v[34:35], v[46:47] op_sel:[0,1]
	s_delay_alu instid0(VALU_DEP_1) | instskip(SKIP_1) | instid1(VALU_DEP_1)
	v_pk_fma_f32 v[50:51], v[34:35], v[44:45], v[48:49] op_sel:[0,0,1] op_sel_hi:[1,1,0] neg_lo:[0,0,1] neg_hi:[0,0,1]
	v_pk_fma_f32 v[34:35], v[34:35], v[44:45], v[48:49] op_sel:[0,0,1] op_sel_hi:[1,0,0]
	v_mov_b32_e32 v51, v35
	v_pk_mul_f32 v[34:35], v[36:37], v[46:47] op_sel:[0,1]
	s_delay_alu instid0(VALU_DEP_1) | instskip(SKIP_1) | instid1(VALU_DEP_1)
	v_pk_fma_f32 v[48:49], v[36:37], v[44:45], v[34:35] op_sel:[0,0,1] op_sel_hi:[1,1,0] neg_lo:[0,0,1] neg_hi:[0,0,1]
	v_pk_fma_f32 v[34:35], v[36:37], v[44:45], v[34:35] op_sel:[0,0,1] op_sel_hi:[1,0,0]
	v_mov_b32_e32 v49, v35
	ds_load_2addr_b64 v[34:37], v38 offset0:10 offset1:11
	v_pk_add_f32 v[24:25], v[24:25], v[50:51] neg_lo:[0,1] neg_hi:[0,1]
	v_pk_add_f32 v[4:5], v[4:5], v[48:49] neg_lo:[0,1] neg_hi:[0,1]
	s_wait_dscnt 0x0
	v_dual_mul_f32 v48, v35, v47 :: v_dual_mul_f32 v50, v35, v44
	s_delay_alu instid0(VALU_DEP_1) | instskip(NEXT) | instid1(VALU_DEP_2)
	v_pk_fma_f32 v[48:49], v[34:35], v[8:9], v[48:49] op_sel_hi:[1,1,0] neg_lo:[0,0,1] neg_hi:[0,0,1]
	v_pk_fma_f32 v[34:35], v[34:35], v[8:9], v[50:51] op_sel:[1,0,0] op_sel_hi:[0,1,0]
	s_delay_alu instid0(VALU_DEP_1) | instskip(SKIP_1) | instid1(VALU_DEP_2)
	v_mov_b32_e32 v49, v35
	v_pk_mul_f32 v[34:35], v[36:37], v[46:47] op_sel:[0,1]
	v_pk_add_f32 v[22:23], v[22:23], v[48:49] neg_lo:[0,1] neg_hi:[0,1]
	s_delay_alu instid0(VALU_DEP_2) | instskip(SKIP_1) | instid1(VALU_DEP_1)
	v_pk_fma_f32 v[48:49], v[36:37], v[44:45], v[34:35] op_sel:[0,0,1] op_sel_hi:[1,1,0] neg_lo:[0,0,1] neg_hi:[0,0,1]
	v_pk_fma_f32 v[34:35], v[36:37], v[44:45], v[34:35] op_sel:[0,0,1] op_sel_hi:[1,0,0]
	v_mov_b32_e32 v49, v35
	ds_load_2addr_b64 v[34:37], v38 offset0:12 offset1:13
	v_pk_add_f32 v[14:15], v[14:15], v[48:49] neg_lo:[0,1] neg_hi:[0,1]
	s_wait_dscnt 0x0
	v_pk_mul_f32 v[48:49], v[34:35], v[46:47] op_sel:[0,1]
	v_mul_f32_e32 v46, v37, v47
	s_delay_alu instid0(VALU_DEP_2) | instskip(SKIP_2) | instid1(VALU_DEP_4)
	v_pk_fma_f32 v[50:51], v[34:35], v[44:45], v[48:49] op_sel:[0,0,1] op_sel_hi:[1,1,0] neg_lo:[0,0,1] neg_hi:[0,0,1]
	v_pk_fma_f32 v[34:35], v[34:35], v[44:45], v[48:49] op_sel:[0,0,1] op_sel_hi:[1,0,0]
	v_mov_b32_e32 v34, v37
	v_pk_fma_f32 v[46:47], v[36:37], v[8:9], v[46:47] op_sel_hi:[1,1,0] neg_lo:[0,0,1] neg_hi:[0,0,1]
	s_delay_alu instid0(VALU_DEP_3) | instskip(SKIP_1) | instid1(VALU_DEP_2)
	v_dual_mov_b32 v51, v35 :: v_dual_mov_b32 v35, v36
	v_mul_f32_e32 v36, v37, v44
	v_pk_add_f32 v[12:13], v[12:13], v[50:51] neg_lo:[0,1] neg_hi:[0,1]
	s_delay_alu instid0(VALU_DEP_2) | instskip(NEXT) | instid1(VALU_DEP_1)
	v_pk_fma_f32 v[34:35], v[34:35], v[8:9], v[36:37] op_sel_hi:[1,1,0]
	v_mov_b32_e32 v47, v35
	s_delay_alu instid0(VALU_DEP_1)
	v_pk_add_f32 v[32:33], v[32:33], v[46:47] neg_lo:[0,1] neg_hi:[0,1]
.LBB26_41:
	s_or_b32 exec_lo, exec_lo, s0
	v_lshl_add_u32 v34, v42, 3, v38
	s_barrier_signal -1
	s_barrier_wait -1
	ds_store_b64 v34, v[10:11]
	s_wait_dscnt 0x0
	s_barrier_signal -1
	s_barrier_wait -1
	ds_load_b64 v[34:35], v38 offset:16
	v_mov_b32_e32 v36, 2
	s_cmp_lt_i32 s14, 4
	s_mov_b32 s0, 3
	s_cbranch_scc1 .LBB26_44
; %bb.42:
	v_add3_u32 v37, v39, 0, 24
	v_mov_b32_e32 v36, 2
.LBB26_43:                              ; =>This Inner Loop Header: Depth=1
	ds_load_b64 v[44:45], v37
	s_wait_dscnt 0x1
	v_cmp_gt_f32_e32 vcc_lo, 0, v34
	v_cndmask_b32_e64 v46, v34, -v34, vcc_lo
	v_cmp_gt_f32_e32 vcc_lo, 0, v35
	v_cndmask_b32_e64 v48, v35, -v35, vcc_lo
	s_wait_dscnt 0x0
	v_cmp_gt_f32_e32 vcc_lo, 0, v44
	v_cndmask_b32_e64 v47, v44, -v44, vcc_lo
	v_cmp_gt_f32_e32 vcc_lo, 0, v45
	v_cndmask_b32_e64 v49, v45, -v45, vcc_lo
	s_delay_alu instid0(VALU_DEP_1) | instskip(NEXT) | instid1(VALU_DEP_1)
	v_pk_add_f32 v[46:47], v[46:47], v[48:49]
	v_cmp_lt_f32_e32 vcc_lo, v46, v47
	v_dual_cndmask_b32 v34, v34, v44 :: v_dual_add_nc_u32 v37, 8, v37
	v_cndmask_b32_e32 v35, v35, v45, vcc_lo
	v_cndmask_b32_e64 v36, v36, s0, vcc_lo
	s_add_co_i32 s0, s0, 1
	s_delay_alu instid0(SALU_CYCLE_1)
	s_cmp_lg_u32 s14, s0
	s_cbranch_scc1 .LBB26_43
.LBB26_44:
	s_wait_dscnt 0x0
	v_cmp_eq_f32_e32 vcc_lo, 0, v34
	v_cmp_eq_f32_e64 s0, 0, v35
	s_and_b32 s0, vcc_lo, s0
	s_delay_alu instid0(SALU_CYCLE_1) | instskip(NEXT) | instid1(SALU_CYCLE_1)
	s_and_saveexec_b32 s1, s0
	s_xor_b32 s0, exec_lo, s1
; %bb.45:
	v_cmp_ne_u32_e32 vcc_lo, 0, v41
	v_cndmask_b32_e32 v41, 3, v41, vcc_lo
; %bb.46:
	s_and_not1_saveexec_b32 s0, s0
	s_cbranch_execz .LBB26_52
; %bb.47:
	v_cmp_ngt_f32_e64 s1, |v34|, |v35|
	s_and_saveexec_b32 s15, s1
	s_delay_alu instid0(SALU_CYCLE_1)
	s_xor_b32 s1, exec_lo, s15
	s_cbranch_execz .LBB26_49
; %bb.48:
	v_div_scale_f32 v37, null, v35, v35, v34
	v_div_scale_f32 v45, vcc_lo, v34, v35, v34
	s_delay_alu instid0(VALU_DEP_2) | instskip(SKIP_1) | instid1(TRANS32_DEP_1)
	v_rcp_f32_e32 v43, v37
	v_nop
	v_fma_f32 v44, -v37, v43, 1.0
	s_delay_alu instid0(VALU_DEP_1) | instskip(NEXT) | instid1(VALU_DEP_1)
	v_fmac_f32_e32 v43, v44, v43
	v_mul_f32_e32 v44, v45, v43
	s_delay_alu instid0(VALU_DEP_1) | instskip(NEXT) | instid1(VALU_DEP_1)
	v_fma_f32 v46, -v37, v44, v45
	v_fmac_f32_e32 v44, v46, v43
	s_delay_alu instid0(VALU_DEP_1) | instskip(NEXT) | instid1(VALU_DEP_1)
	v_fma_f32 v37, -v37, v44, v45
	v_div_fmas_f32 v37, v37, v43, v44
	s_delay_alu instid0(VALU_DEP_1) | instskip(NEXT) | instid1(VALU_DEP_1)
	v_div_fixup_f32 v37, v37, v35, v34
	v_fmac_f32_e32 v35, v34, v37
	s_delay_alu instid0(VALU_DEP_1) | instskip(SKIP_1) | instid1(VALU_DEP_2)
	v_div_scale_f32 v34, null, v35, v35, 1.0
	v_div_scale_f32 v45, vcc_lo, 1.0, v35, 1.0
	v_rcp_f32_e32 v43, v34
	v_nop
	s_delay_alu instid0(TRANS32_DEP_1) | instskip(NEXT) | instid1(VALU_DEP_1)
	v_fma_f32 v44, -v34, v43, 1.0
	v_fmac_f32_e32 v43, v44, v43
	s_delay_alu instid0(VALU_DEP_1) | instskip(NEXT) | instid1(VALU_DEP_1)
	v_mul_f32_e32 v44, v45, v43
	v_fma_f32 v46, -v34, v44, v45
	s_delay_alu instid0(VALU_DEP_1) | instskip(NEXT) | instid1(VALU_DEP_1)
	v_fmac_f32_e32 v44, v46, v43
	v_fma_f32 v34, -v34, v44, v45
	s_delay_alu instid0(VALU_DEP_1) | instskip(NEXT) | instid1(VALU_DEP_1)
	v_div_fmas_f32 v34, v34, v43, v44
	v_div_fixup_f32 v35, v34, v35, 1.0
	s_delay_alu instid0(VALU_DEP_1)
	v_mul_f32_e32 v34, v37, v35
	v_xor_b32_e32 v35, 0x80000000, v35
.LBB26_49:
	s_and_not1_saveexec_b32 s1, s1
	s_cbranch_execz .LBB26_51
; %bb.50:
	s_delay_alu instid0(VALU_DEP_1) | instskip(SKIP_1) | instid1(VALU_DEP_2)
	v_div_scale_f32 v37, null, v34, v34, v35
	v_div_scale_f32 v45, vcc_lo, v35, v34, v35
	v_rcp_f32_e32 v43, v37
	v_nop
	s_delay_alu instid0(TRANS32_DEP_1) | instskip(NEXT) | instid1(VALU_DEP_1)
	v_fma_f32 v44, -v37, v43, 1.0
	v_fmac_f32_e32 v43, v44, v43
	s_delay_alu instid0(VALU_DEP_1) | instskip(NEXT) | instid1(VALU_DEP_1)
	v_mul_f32_e32 v44, v45, v43
	v_fma_f32 v46, -v37, v44, v45
	s_delay_alu instid0(VALU_DEP_1) | instskip(NEXT) | instid1(VALU_DEP_1)
	v_fmac_f32_e32 v44, v46, v43
	v_fma_f32 v37, -v37, v44, v45
	s_delay_alu instid0(VALU_DEP_1) | instskip(NEXT) | instid1(VALU_DEP_1)
	v_div_fmas_f32 v37, v37, v43, v44
	v_div_fixup_f32 v37, v37, v34, v35
	s_delay_alu instid0(VALU_DEP_1) | instskip(NEXT) | instid1(VALU_DEP_1)
	v_fmac_f32_e32 v34, v35, v37
	v_div_scale_f32 v35, null, v34, v34, 1.0
	s_delay_alu instid0(VALU_DEP_1) | instskip(SKIP_1) | instid1(TRANS32_DEP_1)
	v_rcp_f32_e32 v43, v35
	v_nop
	v_fma_f32 v44, -v35, v43, 1.0
	s_delay_alu instid0(VALU_DEP_1) | instskip(SKIP_1) | instid1(VALU_DEP_1)
	v_fmac_f32_e32 v43, v44, v43
	v_div_scale_f32 v44, vcc_lo, 1.0, v34, 1.0
	v_mul_f32_e32 v45, v44, v43
	s_delay_alu instid0(VALU_DEP_1) | instskip(NEXT) | instid1(VALU_DEP_1)
	v_fma_f32 v46, -v35, v45, v44
	v_fmac_f32_e32 v45, v46, v43
	s_delay_alu instid0(VALU_DEP_1) | instskip(NEXT) | instid1(VALU_DEP_1)
	v_fma_f32 v35, -v35, v45, v44
	v_div_fmas_f32 v35, v35, v43, v45
	s_delay_alu instid0(VALU_DEP_1) | instskip(NEXT) | instid1(VALU_DEP_1)
	v_div_fixup_f32 v34, v35, v34, 1.0
	v_mul_f32_e64 v35, v37, -v34
.LBB26_51:
	s_or_b32 exec_lo, exec_lo, s1
.LBB26_52:
	s_delay_alu instid0(SALU_CYCLE_1) | instskip(NEXT) | instid1(SALU_CYCLE_1)
	s_or_b32 exec_lo, exec_lo, s0
	s_mov_b32 s0, exec_lo
	v_cmpx_ne_u32_e64 v42, v36
	s_xor_b32 s0, exec_lo, s0
	s_cbranch_execz .LBB26_58
; %bb.53:
	s_mov_b32 s1, exec_lo
	v_cmpx_eq_u32_e32 2, v42
	s_cbranch_execz .LBB26_57
; %bb.54:
	v_cmp_ne_u32_e32 vcc_lo, 2, v36
	s_xor_b32 s15, s12, -1
	s_delay_alu instid0(SALU_CYCLE_1) | instskip(NEXT) | instid1(SALU_CYCLE_1)
	s_and_b32 s16, s15, vcc_lo
	s_and_saveexec_b32 s15, s16
	s_cbranch_execz .LBB26_56
; %bb.55:
	v_ashrrev_i32_e32 v37, 31, v36
	s_delay_alu instid0(VALU_DEP_1)
	v_lshl_add_u64 v[42:43], v[36:37], 2, v[26:27]
	s_clause 0x1
	global_load_b32 v37, v[42:43], off
	global_load_b32 v40, v[26:27], off offset:8
	s_wait_loadcnt 0x1
	global_store_b32 v[26:27], v37, off offset:8
	s_wait_loadcnt 0x0
	global_store_b32 v[42:43], v40, off
.LBB26_56:
	s_wait_xcnt 0x0
	s_or_b32 exec_lo, exec_lo, s15
	v_dual_mov_b32 v42, v36 :: v_dual_mov_b32 v40, v36
.LBB26_57:
	s_or_b32 exec_lo, exec_lo, s1
.LBB26_58:
	s_and_not1_saveexec_b32 s0, s0
	s_cbranch_execz .LBB26_60
; %bb.59:
	v_mov_b32_e32 v42, 2
	ds_store_2addr_b64 v38, v[6:7], v[28:29] offset0:3 offset1:4
	ds_store_2addr_b64 v38, v[18:19], v[20:21] offset0:5 offset1:6
	ds_store_2addr_b64 v38, v[16:17], v[24:25] offset0:7 offset1:8
	ds_store_2addr_b64 v38, v[4:5], v[22:23] offset0:9 offset1:10
	ds_store_2addr_b64 v38, v[14:15], v[12:13] offset0:11 offset1:12
	ds_store_b64 v38, v[32:33] offset:104
.LBB26_60:
	s_or_b32 exec_lo, exec_lo, s0
	s_delay_alu instid0(SALU_CYCLE_1)
	s_mov_b32 s0, exec_lo
	s_wait_storecnt_dscnt 0x0
	s_barrier_signal -1
	s_barrier_wait -1
	v_cmpx_lt_i32_e32 2, v42
	s_cbranch_execz .LBB26_62
; %bb.61:
	v_pk_mul_f32 v[36:37], v[34:35], v[10:11] op_sel:[1,1] op_sel_hi:[0,1]
	s_delay_alu instid0(VALU_DEP_1)
	v_pk_fma_f32 v[44:45], v[34:35], v[10:11], v[36:37] op_sel_hi:[1,0,1] neg_lo:[0,0,1] neg_hi:[0,0,1]
	v_pk_fma_f32 v[46:47], v[34:35], v[10:11], v[36:37] op_sel_hi:[1,0,1]
	ds_load_2addr_b64 v[34:37], v38 offset0:3 offset1:4
	v_dual_mov_b32 v10, v44 :: v_dual_mov_b32 v11, v47
	s_wait_dscnt 0x0
	v_pk_mul_f32 v[48:49], v[34:35], v[46:47] op_sel:[0,1]
	s_delay_alu instid0(VALU_DEP_1) | instskip(SKIP_1) | instid1(VALU_DEP_1)
	v_pk_fma_f32 v[50:51], v[34:35], v[44:45], v[48:49] op_sel:[0,0,1] op_sel_hi:[1,1,0] neg_lo:[0,0,1] neg_hi:[0,0,1]
	v_pk_fma_f32 v[34:35], v[34:35], v[44:45], v[48:49] op_sel:[0,0,1] op_sel_hi:[1,0,0]
	v_mov_b32_e32 v51, v35
	v_pk_mul_f32 v[34:35], v[36:37], v[46:47] op_sel:[0,1]
	s_delay_alu instid0(VALU_DEP_1) | instskip(SKIP_1) | instid1(VALU_DEP_1)
	v_pk_fma_f32 v[48:49], v[36:37], v[44:45], v[34:35] op_sel:[0,0,1] op_sel_hi:[1,1,0] neg_lo:[0,0,1] neg_hi:[0,0,1]
	v_pk_fma_f32 v[34:35], v[36:37], v[44:45], v[34:35] op_sel:[0,0,1] op_sel_hi:[1,0,0]
	v_mov_b32_e32 v49, v35
	ds_load_2addr_b64 v[34:37], v38 offset0:5 offset1:6
	v_pk_add_f32 v[6:7], v[6:7], v[50:51] neg_lo:[0,1] neg_hi:[0,1]
	v_pk_add_f32 v[28:29], v[28:29], v[48:49] neg_lo:[0,1] neg_hi:[0,1]
	s_wait_dscnt 0x0
	v_pk_mul_f32 v[48:49], v[34:35], v[46:47] op_sel:[0,1]
	s_delay_alu instid0(VALU_DEP_1) | instskip(SKIP_2) | instid1(VALU_DEP_2)
	v_pk_fma_f32 v[50:51], v[34:35], v[44:45], v[48:49] op_sel:[0,0,1] op_sel_hi:[1,1,0] neg_lo:[0,0,1] neg_hi:[0,0,1]
	v_pk_fma_f32 v[34:35], v[34:35], v[44:45], v[48:49] op_sel:[0,0,1] op_sel_hi:[1,0,0]
	v_dual_mul_f32 v48, v37, v47 :: v_dual_mov_b32 v34, v37
	v_dual_mov_b32 v51, v35 :: v_dual_mov_b32 v35, v36
	s_delay_alu instid0(VALU_DEP_2) | instskip(SKIP_1) | instid1(VALU_DEP_3)
	v_pk_fma_f32 v[48:49], v[36:37], v[10:11], v[48:49] op_sel_hi:[1,1,0] neg_lo:[0,0,1] neg_hi:[0,0,1]
	v_mul_f32_e32 v36, v37, v44
	v_pk_add_f32 v[18:19], v[18:19], v[50:51] neg_lo:[0,1] neg_hi:[0,1]
	s_delay_alu instid0(VALU_DEP_2) | instskip(NEXT) | instid1(VALU_DEP_1)
	v_pk_fma_f32 v[34:35], v[34:35], v[10:11], v[36:37] op_sel_hi:[1,1,0]
	v_mov_b32_e32 v49, v35
	ds_load_2addr_b64 v[34:37], v38 offset0:7 offset1:8
	v_pk_add_f32 v[20:21], v[20:21], v[48:49] neg_lo:[0,1] neg_hi:[0,1]
	s_wait_dscnt 0x0
	v_pk_mul_f32 v[48:49], v[34:35], v[46:47] op_sel:[0,1]
	s_delay_alu instid0(VALU_DEP_1) | instskip(SKIP_1) | instid1(VALU_DEP_1)
	v_pk_fma_f32 v[50:51], v[34:35], v[44:45], v[48:49] op_sel:[0,0,1] op_sel_hi:[1,1,0] neg_lo:[0,0,1] neg_hi:[0,0,1]
	v_pk_fma_f32 v[34:35], v[34:35], v[44:45], v[48:49] op_sel:[0,0,1] op_sel_hi:[1,0,0]
	v_mov_b32_e32 v51, v35
	v_pk_mul_f32 v[34:35], v[36:37], v[46:47] op_sel:[0,1]
	s_delay_alu instid0(VALU_DEP_1) | instskip(SKIP_1) | instid1(VALU_DEP_1)
	v_pk_fma_f32 v[48:49], v[36:37], v[44:45], v[34:35] op_sel:[0,0,1] op_sel_hi:[1,1,0] neg_lo:[0,0,1] neg_hi:[0,0,1]
	v_pk_fma_f32 v[34:35], v[36:37], v[44:45], v[34:35] op_sel:[0,0,1] op_sel_hi:[1,0,0]
	v_mov_b32_e32 v49, v35
	ds_load_2addr_b64 v[34:37], v38 offset0:9 offset1:10
	v_pk_add_f32 v[16:17], v[16:17], v[50:51] neg_lo:[0,1] neg_hi:[0,1]
	v_pk_add_f32 v[24:25], v[24:25], v[48:49] neg_lo:[0,1] neg_hi:[0,1]
	s_wait_dscnt 0x0
	v_pk_mul_f32 v[48:49], v[34:35], v[46:47] op_sel:[0,1]
	s_delay_alu instid0(VALU_DEP_1) | instskip(SKIP_1) | instid1(VALU_DEP_1)
	v_pk_fma_f32 v[50:51], v[34:35], v[44:45], v[48:49] op_sel:[0,0,1] op_sel_hi:[1,1,0] neg_lo:[0,0,1] neg_hi:[0,0,1]
	v_pk_fma_f32 v[34:35], v[34:35], v[44:45], v[48:49] op_sel:[0,0,1] op_sel_hi:[1,0,0]
	v_mov_b32_e32 v51, v35
	v_pk_mul_f32 v[34:35], v[36:37], v[46:47] op_sel:[0,1]
	s_delay_alu instid0(VALU_DEP_1) | instskip(SKIP_1) | instid1(VALU_DEP_1)
	v_pk_fma_f32 v[48:49], v[36:37], v[44:45], v[34:35] op_sel:[0,0,1] op_sel_hi:[1,1,0] neg_lo:[0,0,1] neg_hi:[0,0,1]
	v_pk_fma_f32 v[34:35], v[36:37], v[44:45], v[34:35] op_sel:[0,0,1] op_sel_hi:[1,0,0]
	v_mov_b32_e32 v49, v35
	ds_load_2addr_b64 v[34:37], v38 offset0:11 offset1:12
	v_pk_add_f32 v[4:5], v[4:5], v[50:51] neg_lo:[0,1] neg_hi:[0,1]
	v_pk_add_f32 v[22:23], v[22:23], v[48:49] neg_lo:[0,1] neg_hi:[0,1]
	s_wait_dscnt 0x0
	v_dual_mul_f32 v48, v35, v47 :: v_dual_mul_f32 v50, v35, v44
	s_delay_alu instid0(VALU_DEP_1) | instskip(NEXT) | instid1(VALU_DEP_2)
	v_pk_fma_f32 v[48:49], v[34:35], v[10:11], v[48:49] op_sel_hi:[1,1,0] neg_lo:[0,0,1] neg_hi:[0,0,1]
	v_pk_fma_f32 v[34:35], v[34:35], v[10:11], v[50:51] op_sel:[1,0,0] op_sel_hi:[0,1,0]
	s_delay_alu instid0(VALU_DEP_1) | instskip(SKIP_1) | instid1(VALU_DEP_2)
	v_mov_b32_e32 v49, v35
	v_pk_mul_f32 v[34:35], v[36:37], v[46:47] op_sel:[0,1]
	v_pk_add_f32 v[14:15], v[14:15], v[48:49] neg_lo:[0,1] neg_hi:[0,1]
	s_delay_alu instid0(VALU_DEP_2) | instskip(SKIP_1) | instid1(VALU_DEP_1)
	v_pk_fma_f32 v[48:49], v[36:37], v[44:45], v[34:35] op_sel:[0,0,1] op_sel_hi:[1,1,0] neg_lo:[0,0,1] neg_hi:[0,0,1]
	v_pk_fma_f32 v[34:35], v[36:37], v[44:45], v[34:35] op_sel:[0,0,1] op_sel_hi:[1,0,0]
	v_mov_b32_e32 v49, v35
	ds_load_b64 v[34:35], v38 offset:104
	v_pk_add_f32 v[12:13], v[12:13], v[48:49] neg_lo:[0,1] neg_hi:[0,1]
	s_wait_dscnt 0x0
	v_pk_mul_f32 v[36:37], v[34:35], v[46:47] op_sel:[0,1]
	s_delay_alu instid0(VALU_DEP_1) | instskip(SKIP_1) | instid1(VALU_DEP_1)
	v_pk_fma_f32 v[46:47], v[34:35], v[44:45], v[36:37] op_sel:[0,0,1] op_sel_hi:[1,1,0] neg_lo:[0,0,1] neg_hi:[0,0,1]
	v_pk_fma_f32 v[34:35], v[34:35], v[44:45], v[36:37] op_sel:[0,0,1] op_sel_hi:[1,0,0]
	v_mov_b32_e32 v47, v35
	s_delay_alu instid0(VALU_DEP_1)
	v_pk_add_f32 v[32:33], v[32:33], v[46:47] neg_lo:[0,1] neg_hi:[0,1]
.LBB26_62:
	s_or_b32 exec_lo, exec_lo, s0
	v_lshl_add_u32 v34, v42, 3, v38
	s_barrier_signal -1
	s_barrier_wait -1
	ds_store_b64 v34, v[6:7]
	s_wait_dscnt 0x0
	s_barrier_signal -1
	s_barrier_wait -1
	ds_load_b64 v[34:35], v38 offset:24
	v_mov_b32_e32 v36, 3
	s_cmp_lt_i32 s14, 5
	s_cbranch_scc1 .LBB26_65
; %bb.63:
	v_mov_b32_e32 v36, 3
	v_add3_u32 v37, v39, 0, 32
	s_mov_b32 s0, 4
.LBB26_64:                              ; =>This Inner Loop Header: Depth=1
	ds_load_b64 v[44:45], v37
	s_wait_dscnt 0x1
	v_cmp_gt_f32_e32 vcc_lo, 0, v34
	v_cndmask_b32_e64 v46, v34, -v34, vcc_lo
	v_cmp_gt_f32_e32 vcc_lo, 0, v35
	v_cndmask_b32_e64 v48, v35, -v35, vcc_lo
	s_wait_dscnt 0x0
	v_cmp_gt_f32_e32 vcc_lo, 0, v44
	v_cndmask_b32_e64 v47, v44, -v44, vcc_lo
	v_cmp_gt_f32_e32 vcc_lo, 0, v45
	v_cndmask_b32_e64 v49, v45, -v45, vcc_lo
	s_delay_alu instid0(VALU_DEP_1) | instskip(NEXT) | instid1(VALU_DEP_1)
	v_pk_add_f32 v[46:47], v[46:47], v[48:49]
	v_cmp_lt_f32_e32 vcc_lo, v46, v47
	v_dual_cndmask_b32 v34, v34, v44 :: v_dual_add_nc_u32 v37, 8, v37
	v_cndmask_b32_e32 v35, v35, v45, vcc_lo
	v_cndmask_b32_e64 v36, v36, s0, vcc_lo
	s_add_co_i32 s0, s0, 1
	s_delay_alu instid0(SALU_CYCLE_1)
	s_cmp_lg_u32 s14, s0
	s_cbranch_scc1 .LBB26_64
.LBB26_65:
	s_wait_dscnt 0x0
	v_cmp_eq_f32_e32 vcc_lo, 0, v34
	v_cmp_eq_f32_e64 s0, 0, v35
	s_and_b32 s0, vcc_lo, s0
	s_delay_alu instid0(SALU_CYCLE_1) | instskip(NEXT) | instid1(SALU_CYCLE_1)
	s_and_saveexec_b32 s1, s0
	s_xor_b32 s0, exec_lo, s1
; %bb.66:
	v_cmp_ne_u32_e32 vcc_lo, 0, v41
	v_cndmask_b32_e32 v41, 4, v41, vcc_lo
; %bb.67:
	s_and_not1_saveexec_b32 s0, s0
	s_cbranch_execz .LBB26_73
; %bb.68:
	v_cmp_ngt_f32_e64 s1, |v34|, |v35|
	s_and_saveexec_b32 s15, s1
	s_delay_alu instid0(SALU_CYCLE_1)
	s_xor_b32 s1, exec_lo, s15
	s_cbranch_execz .LBB26_70
; %bb.69:
	v_div_scale_f32 v37, null, v35, v35, v34
	v_div_scale_f32 v45, vcc_lo, v34, v35, v34
	s_delay_alu instid0(VALU_DEP_2) | instskip(SKIP_1) | instid1(TRANS32_DEP_1)
	v_rcp_f32_e32 v43, v37
	v_nop
	v_fma_f32 v44, -v37, v43, 1.0
	s_delay_alu instid0(VALU_DEP_1) | instskip(NEXT) | instid1(VALU_DEP_1)
	v_fmac_f32_e32 v43, v44, v43
	v_mul_f32_e32 v44, v45, v43
	s_delay_alu instid0(VALU_DEP_1) | instskip(NEXT) | instid1(VALU_DEP_1)
	v_fma_f32 v46, -v37, v44, v45
	v_fmac_f32_e32 v44, v46, v43
	s_delay_alu instid0(VALU_DEP_1) | instskip(NEXT) | instid1(VALU_DEP_1)
	v_fma_f32 v37, -v37, v44, v45
	v_div_fmas_f32 v37, v37, v43, v44
	s_delay_alu instid0(VALU_DEP_1) | instskip(NEXT) | instid1(VALU_DEP_1)
	v_div_fixup_f32 v37, v37, v35, v34
	v_fmac_f32_e32 v35, v34, v37
	s_delay_alu instid0(VALU_DEP_1) | instskip(SKIP_1) | instid1(VALU_DEP_2)
	v_div_scale_f32 v34, null, v35, v35, 1.0
	v_div_scale_f32 v45, vcc_lo, 1.0, v35, 1.0
	v_rcp_f32_e32 v43, v34
	v_nop
	s_delay_alu instid0(TRANS32_DEP_1) | instskip(NEXT) | instid1(VALU_DEP_1)
	v_fma_f32 v44, -v34, v43, 1.0
	v_fmac_f32_e32 v43, v44, v43
	s_delay_alu instid0(VALU_DEP_1) | instskip(NEXT) | instid1(VALU_DEP_1)
	v_mul_f32_e32 v44, v45, v43
	v_fma_f32 v46, -v34, v44, v45
	s_delay_alu instid0(VALU_DEP_1) | instskip(NEXT) | instid1(VALU_DEP_1)
	v_fmac_f32_e32 v44, v46, v43
	v_fma_f32 v34, -v34, v44, v45
	s_delay_alu instid0(VALU_DEP_1) | instskip(NEXT) | instid1(VALU_DEP_1)
	v_div_fmas_f32 v34, v34, v43, v44
	v_div_fixup_f32 v35, v34, v35, 1.0
	s_delay_alu instid0(VALU_DEP_1)
	v_mul_f32_e32 v34, v37, v35
	v_xor_b32_e32 v35, 0x80000000, v35
.LBB26_70:
	s_and_not1_saveexec_b32 s1, s1
	s_cbranch_execz .LBB26_72
; %bb.71:
	s_delay_alu instid0(VALU_DEP_1) | instskip(SKIP_1) | instid1(VALU_DEP_2)
	v_div_scale_f32 v37, null, v34, v34, v35
	v_div_scale_f32 v45, vcc_lo, v35, v34, v35
	v_rcp_f32_e32 v43, v37
	v_nop
	s_delay_alu instid0(TRANS32_DEP_1) | instskip(NEXT) | instid1(VALU_DEP_1)
	v_fma_f32 v44, -v37, v43, 1.0
	v_fmac_f32_e32 v43, v44, v43
	s_delay_alu instid0(VALU_DEP_1) | instskip(NEXT) | instid1(VALU_DEP_1)
	v_mul_f32_e32 v44, v45, v43
	v_fma_f32 v46, -v37, v44, v45
	s_delay_alu instid0(VALU_DEP_1) | instskip(NEXT) | instid1(VALU_DEP_1)
	v_fmac_f32_e32 v44, v46, v43
	v_fma_f32 v37, -v37, v44, v45
	s_delay_alu instid0(VALU_DEP_1) | instskip(NEXT) | instid1(VALU_DEP_1)
	v_div_fmas_f32 v37, v37, v43, v44
	v_div_fixup_f32 v37, v37, v34, v35
	s_delay_alu instid0(VALU_DEP_1) | instskip(NEXT) | instid1(VALU_DEP_1)
	v_fmac_f32_e32 v34, v35, v37
	v_div_scale_f32 v35, null, v34, v34, 1.0
	s_delay_alu instid0(VALU_DEP_1) | instskip(SKIP_1) | instid1(TRANS32_DEP_1)
	v_rcp_f32_e32 v43, v35
	v_nop
	v_fma_f32 v44, -v35, v43, 1.0
	s_delay_alu instid0(VALU_DEP_1) | instskip(SKIP_1) | instid1(VALU_DEP_1)
	v_fmac_f32_e32 v43, v44, v43
	v_div_scale_f32 v44, vcc_lo, 1.0, v34, 1.0
	v_mul_f32_e32 v45, v44, v43
	s_delay_alu instid0(VALU_DEP_1) | instskip(NEXT) | instid1(VALU_DEP_1)
	v_fma_f32 v46, -v35, v45, v44
	v_fmac_f32_e32 v45, v46, v43
	s_delay_alu instid0(VALU_DEP_1) | instskip(NEXT) | instid1(VALU_DEP_1)
	v_fma_f32 v35, -v35, v45, v44
	v_div_fmas_f32 v35, v35, v43, v45
	s_delay_alu instid0(VALU_DEP_1) | instskip(NEXT) | instid1(VALU_DEP_1)
	v_div_fixup_f32 v34, v35, v34, 1.0
	v_mul_f32_e64 v35, v37, -v34
.LBB26_72:
	s_or_b32 exec_lo, exec_lo, s1
.LBB26_73:
	s_delay_alu instid0(SALU_CYCLE_1) | instskip(NEXT) | instid1(SALU_CYCLE_1)
	s_or_b32 exec_lo, exec_lo, s0
	s_mov_b32 s0, exec_lo
	v_cmpx_ne_u32_e64 v42, v36
	s_xor_b32 s0, exec_lo, s0
	s_cbranch_execz .LBB26_79
; %bb.74:
	s_mov_b32 s1, exec_lo
	v_cmpx_eq_u32_e32 3, v42
	s_cbranch_execz .LBB26_78
; %bb.75:
	v_cmp_ne_u32_e32 vcc_lo, 3, v36
	s_xor_b32 s15, s12, -1
	s_delay_alu instid0(SALU_CYCLE_1) | instskip(NEXT) | instid1(SALU_CYCLE_1)
	s_and_b32 s16, s15, vcc_lo
	s_and_saveexec_b32 s15, s16
	s_cbranch_execz .LBB26_77
; %bb.76:
	v_ashrrev_i32_e32 v37, 31, v36
	s_delay_alu instid0(VALU_DEP_1)
	v_lshl_add_u64 v[42:43], v[36:37], 2, v[26:27]
	s_clause 0x1
	global_load_b32 v37, v[42:43], off
	global_load_b32 v40, v[26:27], off offset:12
	s_wait_loadcnt 0x1
	global_store_b32 v[26:27], v37, off offset:12
	s_wait_loadcnt 0x0
	global_store_b32 v[42:43], v40, off
.LBB26_77:
	s_wait_xcnt 0x0
	s_or_b32 exec_lo, exec_lo, s15
	v_dual_mov_b32 v42, v36 :: v_dual_mov_b32 v40, v36
.LBB26_78:
	s_or_b32 exec_lo, exec_lo, s1
.LBB26_79:
	s_and_not1_saveexec_b32 s0, s0
	s_cbranch_execz .LBB26_81
; %bb.80:
	v_dual_mov_b32 v36, v28 :: v_dual_mov_b32 v37, v29
	v_dual_mov_b32 v44, v18 :: v_dual_mov_b32 v45, v19
	;; [unrolled: 1-line block ×9, first 2 shown]
	v_mov_b32_e32 v59, v13
	ds_store_2addr_b64 v38, v[36:37], v[44:45] offset0:4 offset1:5
	ds_store_2addr_b64 v38, v[46:47], v[48:49] offset0:6 offset1:7
	;; [unrolled: 1-line block ×5, first 2 shown]
.LBB26_81:
	s_or_b32 exec_lo, exec_lo, s0
	s_delay_alu instid0(SALU_CYCLE_1)
	s_mov_b32 s0, exec_lo
	s_wait_storecnt_dscnt 0x0
	s_barrier_signal -1
	s_barrier_wait -1
	v_cmpx_lt_i32_e32 3, v42
	s_cbranch_execz .LBB26_83
; %bb.82:
	v_pk_mul_f32 v[36:37], v[34:35], v[6:7] op_sel:[1,1] op_sel_hi:[0,1]
	s_delay_alu instid0(VALU_DEP_1)
	v_pk_fma_f32 v[44:45], v[34:35], v[6:7], v[36:37] op_sel_hi:[1,0,1] neg_lo:[0,0,1] neg_hi:[0,0,1]
	v_pk_fma_f32 v[46:47], v[34:35], v[6:7], v[36:37] op_sel_hi:[1,0,1]
	ds_load_2addr_b64 v[34:37], v38 offset0:4 offset1:5
	v_dual_mov_b32 v6, v44 :: v_dual_mov_b32 v7, v47
	s_wait_dscnt 0x0
	v_pk_mul_f32 v[48:49], v[34:35], v[46:47] op_sel:[0,1]
	s_delay_alu instid0(VALU_DEP_1) | instskip(SKIP_1) | instid1(VALU_DEP_1)
	v_pk_fma_f32 v[50:51], v[34:35], v[44:45], v[48:49] op_sel:[0,0,1] op_sel_hi:[1,1,0] neg_lo:[0,0,1] neg_hi:[0,0,1]
	v_pk_fma_f32 v[34:35], v[34:35], v[44:45], v[48:49] op_sel:[0,0,1] op_sel_hi:[1,0,0]
	v_mov_b32_e32 v51, v35
	v_pk_mul_f32 v[34:35], v[36:37], v[46:47] op_sel:[0,1]
	s_delay_alu instid0(VALU_DEP_1) | instskip(SKIP_1) | instid1(VALU_DEP_1)
	v_pk_fma_f32 v[48:49], v[36:37], v[44:45], v[34:35] op_sel:[0,0,1] op_sel_hi:[1,1,0] neg_lo:[0,0,1] neg_hi:[0,0,1]
	v_pk_fma_f32 v[34:35], v[36:37], v[44:45], v[34:35] op_sel:[0,0,1] op_sel_hi:[1,0,0]
	v_mov_b32_e32 v49, v35
	ds_load_2addr_b64 v[34:37], v38 offset0:6 offset1:7
	v_pk_add_f32 v[28:29], v[28:29], v[50:51] neg_lo:[0,1] neg_hi:[0,1]
	v_pk_add_f32 v[18:19], v[18:19], v[48:49] neg_lo:[0,1] neg_hi:[0,1]
	s_wait_dscnt 0x0
	v_pk_mul_f32 v[48:49], v[34:35], v[46:47] op_sel:[0,1]
	s_delay_alu instid0(VALU_DEP_1) | instskip(SKIP_2) | instid1(VALU_DEP_2)
	v_pk_fma_f32 v[50:51], v[34:35], v[44:45], v[48:49] op_sel:[0,0,1] op_sel_hi:[1,1,0] neg_lo:[0,0,1] neg_hi:[0,0,1]
	v_pk_fma_f32 v[34:35], v[34:35], v[44:45], v[48:49] op_sel:[0,0,1] op_sel_hi:[1,0,0]
	v_dual_mul_f32 v48, v37, v47 :: v_dual_mov_b32 v34, v37
	v_dual_mov_b32 v51, v35 :: v_dual_mov_b32 v35, v36
	s_delay_alu instid0(VALU_DEP_2) | instskip(SKIP_1) | instid1(VALU_DEP_3)
	v_pk_fma_f32 v[48:49], v[36:37], v[6:7], v[48:49] op_sel_hi:[1,1,0] neg_lo:[0,0,1] neg_hi:[0,0,1]
	v_mul_f32_e32 v36, v37, v44
	v_pk_add_f32 v[20:21], v[20:21], v[50:51] neg_lo:[0,1] neg_hi:[0,1]
	s_delay_alu instid0(VALU_DEP_2) | instskip(NEXT) | instid1(VALU_DEP_1)
	v_pk_fma_f32 v[34:35], v[34:35], v[6:7], v[36:37] op_sel_hi:[1,1,0]
	v_mov_b32_e32 v49, v35
	ds_load_2addr_b64 v[34:37], v38 offset0:8 offset1:9
	v_pk_add_f32 v[16:17], v[16:17], v[48:49] neg_lo:[0,1] neg_hi:[0,1]
	s_wait_dscnt 0x0
	v_pk_mul_f32 v[48:49], v[34:35], v[46:47] op_sel:[0,1]
	s_delay_alu instid0(VALU_DEP_1) | instskip(SKIP_1) | instid1(VALU_DEP_1)
	v_pk_fma_f32 v[50:51], v[34:35], v[44:45], v[48:49] op_sel:[0,0,1] op_sel_hi:[1,1,0] neg_lo:[0,0,1] neg_hi:[0,0,1]
	v_pk_fma_f32 v[34:35], v[34:35], v[44:45], v[48:49] op_sel:[0,0,1] op_sel_hi:[1,0,0]
	v_mov_b32_e32 v51, v35
	v_pk_mul_f32 v[34:35], v[36:37], v[46:47] op_sel:[0,1]
	s_delay_alu instid0(VALU_DEP_1) | instskip(SKIP_1) | instid1(VALU_DEP_1)
	v_pk_fma_f32 v[48:49], v[36:37], v[44:45], v[34:35] op_sel:[0,0,1] op_sel_hi:[1,1,0] neg_lo:[0,0,1] neg_hi:[0,0,1]
	v_pk_fma_f32 v[34:35], v[36:37], v[44:45], v[34:35] op_sel:[0,0,1] op_sel_hi:[1,0,0]
	v_mov_b32_e32 v49, v35
	ds_load_2addr_b64 v[34:37], v38 offset0:10 offset1:11
	v_pk_add_f32 v[24:25], v[24:25], v[50:51] neg_lo:[0,1] neg_hi:[0,1]
	v_pk_add_f32 v[4:5], v[4:5], v[48:49] neg_lo:[0,1] neg_hi:[0,1]
	s_wait_dscnt 0x0
	v_pk_mul_f32 v[48:49], v[34:35], v[46:47] op_sel:[0,1]
	s_delay_alu instid0(VALU_DEP_1) | instskip(SKIP_1) | instid1(VALU_DEP_1)
	v_pk_fma_f32 v[50:51], v[34:35], v[44:45], v[48:49] op_sel:[0,0,1] op_sel_hi:[1,1,0] neg_lo:[0,0,1] neg_hi:[0,0,1]
	v_pk_fma_f32 v[34:35], v[34:35], v[44:45], v[48:49] op_sel:[0,0,1] op_sel_hi:[1,0,0]
	v_mov_b32_e32 v51, v35
	v_pk_mul_f32 v[34:35], v[36:37], v[46:47] op_sel:[0,1]
	s_delay_alu instid0(VALU_DEP_1) | instskip(SKIP_1) | instid1(VALU_DEP_1)
	v_pk_fma_f32 v[48:49], v[36:37], v[44:45], v[34:35] op_sel:[0,0,1] op_sel_hi:[1,1,0] neg_lo:[0,0,1] neg_hi:[0,0,1]
	v_pk_fma_f32 v[34:35], v[36:37], v[44:45], v[34:35] op_sel:[0,0,1] op_sel_hi:[1,0,0]
	v_mov_b32_e32 v49, v35
	ds_load_2addr_b64 v[34:37], v38 offset0:12 offset1:13
	v_pk_add_f32 v[22:23], v[22:23], v[50:51] neg_lo:[0,1] neg_hi:[0,1]
	v_pk_add_f32 v[14:15], v[14:15], v[48:49] neg_lo:[0,1] neg_hi:[0,1]
	s_wait_dscnt 0x0
	v_dual_mul_f32 v48, v35, v47 :: v_dual_mul_f32 v50, v35, v44
	s_delay_alu instid0(VALU_DEP_1) | instskip(NEXT) | instid1(VALU_DEP_2)
	v_pk_fma_f32 v[48:49], v[34:35], v[6:7], v[48:49] op_sel_hi:[1,1,0] neg_lo:[0,0,1] neg_hi:[0,0,1]
	v_pk_fma_f32 v[34:35], v[34:35], v[6:7], v[50:51] op_sel:[1,0,0] op_sel_hi:[0,1,0]
	s_delay_alu instid0(VALU_DEP_1) | instskip(SKIP_1) | instid1(VALU_DEP_1)
	v_mov_b32_e32 v49, v35
	v_pk_mul_f32 v[34:35], v[36:37], v[46:47] op_sel:[0,1]
	v_pk_fma_f32 v[46:47], v[36:37], v[44:45], v[34:35] op_sel:[0,0,1] op_sel_hi:[1,1,0] neg_lo:[0,0,1] neg_hi:[0,0,1]
	v_pk_fma_f32 v[34:35], v[36:37], v[44:45], v[34:35] op_sel:[0,0,1] op_sel_hi:[1,0,0]
	s_delay_alu instid0(VALU_DEP_1) | instskip(SKIP_1) | instid1(VALU_DEP_2)
	v_mov_b32_e32 v47, v35
	v_pk_add_f32 v[12:13], v[12:13], v[48:49] neg_lo:[0,1] neg_hi:[0,1]
	v_pk_add_f32 v[32:33], v[32:33], v[46:47] neg_lo:[0,1] neg_hi:[0,1]
.LBB26_83:
	s_or_b32 exec_lo, exec_lo, s0
	v_lshl_add_u32 v34, v42, 3, v38
	s_barrier_signal -1
	s_barrier_wait -1
	ds_store_b64 v34, v[28:29]
	s_wait_dscnt 0x0
	s_barrier_signal -1
	s_barrier_wait -1
	ds_load_b64 v[34:35], v38 offset:32
	v_mov_b32_e32 v36, 4
	s_cmp_lt_i32 s14, 6
	s_cbranch_scc1 .LBB26_86
; %bb.84:
	v_add3_u32 v37, v39, 0, 40
	v_mov_b32_e32 v36, 4
	s_mov_b32 s0, 5
.LBB26_85:                              ; =>This Inner Loop Header: Depth=1
	ds_load_b64 v[44:45], v37
	s_wait_dscnt 0x1
	v_cmp_gt_f32_e32 vcc_lo, 0, v34
	v_cndmask_b32_e64 v46, v34, -v34, vcc_lo
	v_cmp_gt_f32_e32 vcc_lo, 0, v35
	v_cndmask_b32_e64 v48, v35, -v35, vcc_lo
	s_wait_dscnt 0x0
	v_cmp_gt_f32_e32 vcc_lo, 0, v44
	v_cndmask_b32_e64 v47, v44, -v44, vcc_lo
	v_cmp_gt_f32_e32 vcc_lo, 0, v45
	v_cndmask_b32_e64 v49, v45, -v45, vcc_lo
	s_delay_alu instid0(VALU_DEP_1) | instskip(NEXT) | instid1(VALU_DEP_1)
	v_pk_add_f32 v[46:47], v[46:47], v[48:49]
	v_cmp_lt_f32_e32 vcc_lo, v46, v47
	v_dual_cndmask_b32 v34, v34, v44 :: v_dual_add_nc_u32 v37, 8, v37
	v_cndmask_b32_e32 v35, v35, v45, vcc_lo
	v_cndmask_b32_e64 v36, v36, s0, vcc_lo
	s_add_co_i32 s0, s0, 1
	s_delay_alu instid0(SALU_CYCLE_1)
	s_cmp_lg_u32 s14, s0
	s_cbranch_scc1 .LBB26_85
.LBB26_86:
	s_wait_dscnt 0x0
	v_cmp_eq_f32_e32 vcc_lo, 0, v34
	v_cmp_eq_f32_e64 s0, 0, v35
	s_and_b32 s0, vcc_lo, s0
	s_delay_alu instid0(SALU_CYCLE_1) | instskip(NEXT) | instid1(SALU_CYCLE_1)
	s_and_saveexec_b32 s1, s0
	s_xor_b32 s0, exec_lo, s1
; %bb.87:
	v_cmp_ne_u32_e32 vcc_lo, 0, v41
	v_cndmask_b32_e32 v41, 5, v41, vcc_lo
; %bb.88:
	s_and_not1_saveexec_b32 s0, s0
	s_cbranch_execz .LBB26_94
; %bb.89:
	v_cmp_ngt_f32_e64 s1, |v34|, |v35|
	s_and_saveexec_b32 s15, s1
	s_delay_alu instid0(SALU_CYCLE_1)
	s_xor_b32 s1, exec_lo, s15
	s_cbranch_execz .LBB26_91
; %bb.90:
	v_div_scale_f32 v37, null, v35, v35, v34
	v_div_scale_f32 v45, vcc_lo, v34, v35, v34
	s_delay_alu instid0(VALU_DEP_2) | instskip(SKIP_1) | instid1(TRANS32_DEP_1)
	v_rcp_f32_e32 v43, v37
	v_nop
	v_fma_f32 v44, -v37, v43, 1.0
	s_delay_alu instid0(VALU_DEP_1) | instskip(NEXT) | instid1(VALU_DEP_1)
	v_fmac_f32_e32 v43, v44, v43
	v_mul_f32_e32 v44, v45, v43
	s_delay_alu instid0(VALU_DEP_1) | instskip(NEXT) | instid1(VALU_DEP_1)
	v_fma_f32 v46, -v37, v44, v45
	v_fmac_f32_e32 v44, v46, v43
	s_delay_alu instid0(VALU_DEP_1) | instskip(NEXT) | instid1(VALU_DEP_1)
	v_fma_f32 v37, -v37, v44, v45
	v_div_fmas_f32 v37, v37, v43, v44
	s_delay_alu instid0(VALU_DEP_1) | instskip(NEXT) | instid1(VALU_DEP_1)
	v_div_fixup_f32 v37, v37, v35, v34
	v_fmac_f32_e32 v35, v34, v37
	s_delay_alu instid0(VALU_DEP_1) | instskip(SKIP_1) | instid1(VALU_DEP_2)
	v_div_scale_f32 v34, null, v35, v35, 1.0
	v_div_scale_f32 v45, vcc_lo, 1.0, v35, 1.0
	v_rcp_f32_e32 v43, v34
	v_nop
	s_delay_alu instid0(TRANS32_DEP_1) | instskip(NEXT) | instid1(VALU_DEP_1)
	v_fma_f32 v44, -v34, v43, 1.0
	v_fmac_f32_e32 v43, v44, v43
	s_delay_alu instid0(VALU_DEP_1) | instskip(NEXT) | instid1(VALU_DEP_1)
	v_mul_f32_e32 v44, v45, v43
	v_fma_f32 v46, -v34, v44, v45
	s_delay_alu instid0(VALU_DEP_1) | instskip(NEXT) | instid1(VALU_DEP_1)
	v_fmac_f32_e32 v44, v46, v43
	v_fma_f32 v34, -v34, v44, v45
	s_delay_alu instid0(VALU_DEP_1) | instskip(NEXT) | instid1(VALU_DEP_1)
	v_div_fmas_f32 v34, v34, v43, v44
	v_div_fixup_f32 v35, v34, v35, 1.0
	s_delay_alu instid0(VALU_DEP_1)
	v_mul_f32_e32 v34, v37, v35
	v_xor_b32_e32 v35, 0x80000000, v35
.LBB26_91:
	s_and_not1_saveexec_b32 s1, s1
	s_cbranch_execz .LBB26_93
; %bb.92:
	s_delay_alu instid0(VALU_DEP_1) | instskip(SKIP_1) | instid1(VALU_DEP_2)
	v_div_scale_f32 v37, null, v34, v34, v35
	v_div_scale_f32 v45, vcc_lo, v35, v34, v35
	v_rcp_f32_e32 v43, v37
	v_nop
	s_delay_alu instid0(TRANS32_DEP_1) | instskip(NEXT) | instid1(VALU_DEP_1)
	v_fma_f32 v44, -v37, v43, 1.0
	v_fmac_f32_e32 v43, v44, v43
	s_delay_alu instid0(VALU_DEP_1) | instskip(NEXT) | instid1(VALU_DEP_1)
	v_mul_f32_e32 v44, v45, v43
	v_fma_f32 v46, -v37, v44, v45
	s_delay_alu instid0(VALU_DEP_1) | instskip(NEXT) | instid1(VALU_DEP_1)
	v_fmac_f32_e32 v44, v46, v43
	v_fma_f32 v37, -v37, v44, v45
	s_delay_alu instid0(VALU_DEP_1) | instskip(NEXT) | instid1(VALU_DEP_1)
	v_div_fmas_f32 v37, v37, v43, v44
	v_div_fixup_f32 v37, v37, v34, v35
	s_delay_alu instid0(VALU_DEP_1) | instskip(NEXT) | instid1(VALU_DEP_1)
	v_fmac_f32_e32 v34, v35, v37
	v_div_scale_f32 v35, null, v34, v34, 1.0
	s_delay_alu instid0(VALU_DEP_1) | instskip(SKIP_1) | instid1(TRANS32_DEP_1)
	v_rcp_f32_e32 v43, v35
	v_nop
	v_fma_f32 v44, -v35, v43, 1.0
	s_delay_alu instid0(VALU_DEP_1) | instskip(SKIP_1) | instid1(VALU_DEP_1)
	v_fmac_f32_e32 v43, v44, v43
	v_div_scale_f32 v44, vcc_lo, 1.0, v34, 1.0
	v_mul_f32_e32 v45, v44, v43
	s_delay_alu instid0(VALU_DEP_1) | instskip(NEXT) | instid1(VALU_DEP_1)
	v_fma_f32 v46, -v35, v45, v44
	v_fmac_f32_e32 v45, v46, v43
	s_delay_alu instid0(VALU_DEP_1) | instskip(NEXT) | instid1(VALU_DEP_1)
	v_fma_f32 v35, -v35, v45, v44
	v_div_fmas_f32 v35, v35, v43, v45
	s_delay_alu instid0(VALU_DEP_1) | instskip(NEXT) | instid1(VALU_DEP_1)
	v_div_fixup_f32 v34, v35, v34, 1.0
	v_mul_f32_e64 v35, v37, -v34
.LBB26_93:
	s_or_b32 exec_lo, exec_lo, s1
.LBB26_94:
	s_delay_alu instid0(SALU_CYCLE_1) | instskip(NEXT) | instid1(SALU_CYCLE_1)
	s_or_b32 exec_lo, exec_lo, s0
	s_mov_b32 s0, exec_lo
	v_cmpx_ne_u32_e64 v42, v36
	s_xor_b32 s0, exec_lo, s0
	s_cbranch_execz .LBB26_100
; %bb.95:
	s_mov_b32 s1, exec_lo
	v_cmpx_eq_u32_e32 4, v42
	s_cbranch_execz .LBB26_99
; %bb.96:
	v_cmp_ne_u32_e32 vcc_lo, 4, v36
	s_xor_b32 s15, s12, -1
	s_delay_alu instid0(SALU_CYCLE_1) | instskip(NEXT) | instid1(SALU_CYCLE_1)
	s_and_b32 s16, s15, vcc_lo
	s_and_saveexec_b32 s15, s16
	s_cbranch_execz .LBB26_98
; %bb.97:
	v_ashrrev_i32_e32 v37, 31, v36
	s_delay_alu instid0(VALU_DEP_1)
	v_lshl_add_u64 v[42:43], v[36:37], 2, v[26:27]
	s_clause 0x1
	global_load_b32 v37, v[42:43], off
	global_load_b32 v40, v[26:27], off offset:16
	s_wait_loadcnt 0x1
	global_store_b32 v[26:27], v37, off offset:16
	s_wait_loadcnt 0x0
	global_store_b32 v[42:43], v40, off
.LBB26_98:
	s_wait_xcnt 0x0
	s_or_b32 exec_lo, exec_lo, s15
	v_dual_mov_b32 v42, v36 :: v_dual_mov_b32 v40, v36
.LBB26_99:
	s_or_b32 exec_lo, exec_lo, s1
.LBB26_100:
	s_and_not1_saveexec_b32 s0, s0
	s_cbranch_execz .LBB26_102
; %bb.101:
	v_mov_b32_e32 v42, 4
	ds_store_2addr_b64 v38, v[18:19], v[20:21] offset0:5 offset1:6
	ds_store_2addr_b64 v38, v[16:17], v[24:25] offset0:7 offset1:8
	;; [unrolled: 1-line block ×4, first 2 shown]
	ds_store_b64 v38, v[32:33] offset:104
.LBB26_102:
	s_or_b32 exec_lo, exec_lo, s0
	s_delay_alu instid0(SALU_CYCLE_1)
	s_mov_b32 s0, exec_lo
	s_wait_storecnt_dscnt 0x0
	s_barrier_signal -1
	s_barrier_wait -1
	v_cmpx_lt_i32_e32 4, v42
	s_cbranch_execz .LBB26_104
; %bb.103:
	v_pk_mul_f32 v[36:37], v[34:35], v[28:29] op_sel:[1,1] op_sel_hi:[0,1]
	s_delay_alu instid0(VALU_DEP_1)
	v_pk_fma_f32 v[44:45], v[34:35], v[28:29], v[36:37] op_sel_hi:[1,0,1] neg_lo:[0,0,1] neg_hi:[0,0,1]
	v_pk_fma_f32 v[46:47], v[34:35], v[28:29], v[36:37] op_sel_hi:[1,0,1]
	ds_load_2addr_b64 v[34:37], v38 offset0:5 offset1:6
	v_dual_mov_b32 v28, v44 :: v_dual_mov_b32 v29, v47
	s_wait_dscnt 0x0
	v_pk_mul_f32 v[48:49], v[34:35], v[46:47] op_sel:[0,1]
	s_delay_alu instid0(VALU_DEP_1) | instskip(SKIP_1) | instid1(VALU_DEP_1)
	v_pk_fma_f32 v[50:51], v[34:35], v[44:45], v[48:49] op_sel:[0,0,1] op_sel_hi:[1,1,0] neg_lo:[0,0,1] neg_hi:[0,0,1]
	v_pk_fma_f32 v[34:35], v[34:35], v[44:45], v[48:49] op_sel:[0,0,1] op_sel_hi:[1,0,0]
	v_mov_b32_e32 v51, v35
	v_pk_mul_f32 v[34:35], v[36:37], v[46:47] op_sel:[0,1]
	s_delay_alu instid0(VALU_DEP_1) | instskip(SKIP_1) | instid1(VALU_DEP_1)
	v_pk_fma_f32 v[48:49], v[36:37], v[44:45], v[34:35] op_sel:[0,0,1] op_sel_hi:[1,1,0] neg_lo:[0,0,1] neg_hi:[0,0,1]
	v_pk_fma_f32 v[34:35], v[36:37], v[44:45], v[34:35] op_sel:[0,0,1] op_sel_hi:[1,0,0]
	v_mov_b32_e32 v49, v35
	ds_load_2addr_b64 v[34:37], v38 offset0:7 offset1:8
	v_pk_add_f32 v[18:19], v[18:19], v[50:51] neg_lo:[0,1] neg_hi:[0,1]
	v_pk_add_f32 v[20:21], v[20:21], v[48:49] neg_lo:[0,1] neg_hi:[0,1]
	s_wait_dscnt 0x0
	v_pk_mul_f32 v[48:49], v[34:35], v[46:47] op_sel:[0,1]
	s_delay_alu instid0(VALU_DEP_1) | instskip(SKIP_2) | instid1(VALU_DEP_2)
	v_pk_fma_f32 v[50:51], v[34:35], v[44:45], v[48:49] op_sel:[0,0,1] op_sel_hi:[1,1,0] neg_lo:[0,0,1] neg_hi:[0,0,1]
	v_pk_fma_f32 v[34:35], v[34:35], v[44:45], v[48:49] op_sel:[0,0,1] op_sel_hi:[1,0,0]
	v_dual_mul_f32 v48, v37, v47 :: v_dual_mov_b32 v34, v37
	v_dual_mov_b32 v51, v35 :: v_dual_mov_b32 v35, v36
	s_delay_alu instid0(VALU_DEP_2) | instskip(SKIP_1) | instid1(VALU_DEP_3)
	v_pk_fma_f32 v[48:49], v[36:37], v[28:29], v[48:49] op_sel_hi:[1,1,0] neg_lo:[0,0,1] neg_hi:[0,0,1]
	v_mul_f32_e32 v36, v37, v44
	v_pk_add_f32 v[16:17], v[16:17], v[50:51] neg_lo:[0,1] neg_hi:[0,1]
	s_delay_alu instid0(VALU_DEP_2) | instskip(NEXT) | instid1(VALU_DEP_1)
	v_pk_fma_f32 v[34:35], v[34:35], v[28:29], v[36:37] op_sel_hi:[1,1,0]
	v_mov_b32_e32 v49, v35
	ds_load_2addr_b64 v[34:37], v38 offset0:9 offset1:10
	v_pk_add_f32 v[24:25], v[24:25], v[48:49] neg_lo:[0,1] neg_hi:[0,1]
	s_wait_dscnt 0x0
	v_pk_mul_f32 v[48:49], v[34:35], v[46:47] op_sel:[0,1]
	s_delay_alu instid0(VALU_DEP_1) | instskip(SKIP_1) | instid1(VALU_DEP_1)
	v_pk_fma_f32 v[50:51], v[34:35], v[44:45], v[48:49] op_sel:[0,0,1] op_sel_hi:[1,1,0] neg_lo:[0,0,1] neg_hi:[0,0,1]
	v_pk_fma_f32 v[34:35], v[34:35], v[44:45], v[48:49] op_sel:[0,0,1] op_sel_hi:[1,0,0]
	v_mov_b32_e32 v51, v35
	v_pk_mul_f32 v[34:35], v[36:37], v[46:47] op_sel:[0,1]
	s_delay_alu instid0(VALU_DEP_1) | instskip(SKIP_1) | instid1(VALU_DEP_1)
	v_pk_fma_f32 v[48:49], v[36:37], v[44:45], v[34:35] op_sel:[0,0,1] op_sel_hi:[1,1,0] neg_lo:[0,0,1] neg_hi:[0,0,1]
	v_pk_fma_f32 v[34:35], v[36:37], v[44:45], v[34:35] op_sel:[0,0,1] op_sel_hi:[1,0,0]
	v_mov_b32_e32 v49, v35
	ds_load_2addr_b64 v[34:37], v38 offset0:11 offset1:12
	v_pk_add_f32 v[4:5], v[4:5], v[50:51] neg_lo:[0,1] neg_hi:[0,1]
	v_pk_add_f32 v[22:23], v[22:23], v[48:49] neg_lo:[0,1] neg_hi:[0,1]
	s_wait_dscnt 0x0
	v_pk_mul_f32 v[48:49], v[34:35], v[46:47] op_sel:[0,1]
	s_delay_alu instid0(VALU_DEP_1) | instskip(SKIP_1) | instid1(VALU_DEP_1)
	v_pk_fma_f32 v[50:51], v[34:35], v[44:45], v[48:49] op_sel:[0,0,1] op_sel_hi:[1,1,0] neg_lo:[0,0,1] neg_hi:[0,0,1]
	v_pk_fma_f32 v[34:35], v[34:35], v[44:45], v[48:49] op_sel:[0,0,1] op_sel_hi:[1,0,0]
	v_mov_b32_e32 v51, v35
	v_pk_mul_f32 v[34:35], v[36:37], v[46:47] op_sel:[0,1]
	s_delay_alu instid0(VALU_DEP_1) | instskip(SKIP_1) | instid1(VALU_DEP_1)
	v_pk_fma_f32 v[48:49], v[36:37], v[44:45], v[34:35] op_sel:[0,0,1] op_sel_hi:[1,1,0] neg_lo:[0,0,1] neg_hi:[0,0,1]
	v_pk_fma_f32 v[34:35], v[36:37], v[44:45], v[34:35] op_sel:[0,0,1] op_sel_hi:[1,0,0]
	v_mov_b32_e32 v49, v35
	ds_load_b64 v[34:35], v38 offset:104
	v_pk_add_f32 v[14:15], v[14:15], v[50:51] neg_lo:[0,1] neg_hi:[0,1]
	v_pk_add_f32 v[12:13], v[12:13], v[48:49] neg_lo:[0,1] neg_hi:[0,1]
	s_wait_dscnt 0x0
	v_pk_mul_f32 v[36:37], v[34:35], v[46:47] op_sel:[0,1]
	s_delay_alu instid0(VALU_DEP_1) | instskip(SKIP_1) | instid1(VALU_DEP_1)
	v_pk_fma_f32 v[46:47], v[34:35], v[44:45], v[36:37] op_sel:[0,0,1] op_sel_hi:[1,1,0] neg_lo:[0,0,1] neg_hi:[0,0,1]
	v_pk_fma_f32 v[34:35], v[34:35], v[44:45], v[36:37] op_sel:[0,0,1] op_sel_hi:[1,0,0]
	v_mov_b32_e32 v47, v35
	s_delay_alu instid0(VALU_DEP_1)
	v_pk_add_f32 v[32:33], v[32:33], v[46:47] neg_lo:[0,1] neg_hi:[0,1]
.LBB26_104:
	s_or_b32 exec_lo, exec_lo, s0
	v_lshl_add_u32 v34, v42, 3, v38
	s_barrier_signal -1
	s_barrier_wait -1
	ds_store_b64 v34, v[18:19]
	s_wait_dscnt 0x0
	s_barrier_signal -1
	s_barrier_wait -1
	ds_load_b64 v[34:35], v38 offset:40
	v_mov_b32_e32 v36, 5
	s_cmp_lt_i32 s14, 7
	s_cbranch_scc1 .LBB26_107
; %bb.105:
	v_add3_u32 v37, v39, 0, 48
	v_mov_b32_e32 v36, 5
	s_mov_b32 s0, 6
.LBB26_106:                             ; =>This Inner Loop Header: Depth=1
	ds_load_b64 v[44:45], v37
	s_wait_dscnt 0x1
	v_cmp_gt_f32_e32 vcc_lo, 0, v34
	v_cndmask_b32_e64 v46, v34, -v34, vcc_lo
	v_cmp_gt_f32_e32 vcc_lo, 0, v35
	v_cndmask_b32_e64 v48, v35, -v35, vcc_lo
	s_wait_dscnt 0x0
	v_cmp_gt_f32_e32 vcc_lo, 0, v44
	v_cndmask_b32_e64 v47, v44, -v44, vcc_lo
	v_cmp_gt_f32_e32 vcc_lo, 0, v45
	v_cndmask_b32_e64 v49, v45, -v45, vcc_lo
	s_delay_alu instid0(VALU_DEP_1) | instskip(NEXT) | instid1(VALU_DEP_1)
	v_pk_add_f32 v[46:47], v[46:47], v[48:49]
	v_cmp_lt_f32_e32 vcc_lo, v46, v47
	v_dual_cndmask_b32 v34, v34, v44 :: v_dual_add_nc_u32 v37, 8, v37
	v_cndmask_b32_e32 v35, v35, v45, vcc_lo
	v_cndmask_b32_e64 v36, v36, s0, vcc_lo
	s_add_co_i32 s0, s0, 1
	s_delay_alu instid0(SALU_CYCLE_1)
	s_cmp_lg_u32 s14, s0
	s_cbranch_scc1 .LBB26_106
.LBB26_107:
	s_wait_dscnt 0x0
	v_cmp_eq_f32_e32 vcc_lo, 0, v34
	v_cmp_eq_f32_e64 s0, 0, v35
	s_and_b32 s0, vcc_lo, s0
	s_delay_alu instid0(SALU_CYCLE_1) | instskip(NEXT) | instid1(SALU_CYCLE_1)
	s_and_saveexec_b32 s1, s0
	s_xor_b32 s0, exec_lo, s1
; %bb.108:
	v_cmp_ne_u32_e32 vcc_lo, 0, v41
	v_cndmask_b32_e32 v41, 6, v41, vcc_lo
; %bb.109:
	s_and_not1_saveexec_b32 s0, s0
	s_cbranch_execz .LBB26_115
; %bb.110:
	v_cmp_ngt_f32_e64 s1, |v34|, |v35|
	s_and_saveexec_b32 s15, s1
	s_delay_alu instid0(SALU_CYCLE_1)
	s_xor_b32 s1, exec_lo, s15
	s_cbranch_execz .LBB26_112
; %bb.111:
	v_div_scale_f32 v37, null, v35, v35, v34
	v_div_scale_f32 v45, vcc_lo, v34, v35, v34
	s_delay_alu instid0(VALU_DEP_2) | instskip(SKIP_1) | instid1(TRANS32_DEP_1)
	v_rcp_f32_e32 v43, v37
	v_nop
	v_fma_f32 v44, -v37, v43, 1.0
	s_delay_alu instid0(VALU_DEP_1) | instskip(NEXT) | instid1(VALU_DEP_1)
	v_fmac_f32_e32 v43, v44, v43
	v_mul_f32_e32 v44, v45, v43
	s_delay_alu instid0(VALU_DEP_1) | instskip(NEXT) | instid1(VALU_DEP_1)
	v_fma_f32 v46, -v37, v44, v45
	v_fmac_f32_e32 v44, v46, v43
	s_delay_alu instid0(VALU_DEP_1) | instskip(NEXT) | instid1(VALU_DEP_1)
	v_fma_f32 v37, -v37, v44, v45
	v_div_fmas_f32 v37, v37, v43, v44
	s_delay_alu instid0(VALU_DEP_1) | instskip(NEXT) | instid1(VALU_DEP_1)
	v_div_fixup_f32 v37, v37, v35, v34
	v_fmac_f32_e32 v35, v34, v37
	s_delay_alu instid0(VALU_DEP_1) | instskip(SKIP_1) | instid1(VALU_DEP_2)
	v_div_scale_f32 v34, null, v35, v35, 1.0
	v_div_scale_f32 v45, vcc_lo, 1.0, v35, 1.0
	v_rcp_f32_e32 v43, v34
	v_nop
	s_delay_alu instid0(TRANS32_DEP_1) | instskip(NEXT) | instid1(VALU_DEP_1)
	v_fma_f32 v44, -v34, v43, 1.0
	v_fmac_f32_e32 v43, v44, v43
	s_delay_alu instid0(VALU_DEP_1) | instskip(NEXT) | instid1(VALU_DEP_1)
	v_mul_f32_e32 v44, v45, v43
	v_fma_f32 v46, -v34, v44, v45
	s_delay_alu instid0(VALU_DEP_1) | instskip(NEXT) | instid1(VALU_DEP_1)
	v_fmac_f32_e32 v44, v46, v43
	v_fma_f32 v34, -v34, v44, v45
	s_delay_alu instid0(VALU_DEP_1) | instskip(NEXT) | instid1(VALU_DEP_1)
	v_div_fmas_f32 v34, v34, v43, v44
	v_div_fixup_f32 v35, v34, v35, 1.0
	s_delay_alu instid0(VALU_DEP_1)
	v_mul_f32_e32 v34, v37, v35
	v_xor_b32_e32 v35, 0x80000000, v35
.LBB26_112:
	s_and_not1_saveexec_b32 s1, s1
	s_cbranch_execz .LBB26_114
; %bb.113:
	s_delay_alu instid0(VALU_DEP_1) | instskip(SKIP_1) | instid1(VALU_DEP_2)
	v_div_scale_f32 v37, null, v34, v34, v35
	v_div_scale_f32 v45, vcc_lo, v35, v34, v35
	v_rcp_f32_e32 v43, v37
	v_nop
	s_delay_alu instid0(TRANS32_DEP_1) | instskip(NEXT) | instid1(VALU_DEP_1)
	v_fma_f32 v44, -v37, v43, 1.0
	v_fmac_f32_e32 v43, v44, v43
	s_delay_alu instid0(VALU_DEP_1) | instskip(NEXT) | instid1(VALU_DEP_1)
	v_mul_f32_e32 v44, v45, v43
	v_fma_f32 v46, -v37, v44, v45
	s_delay_alu instid0(VALU_DEP_1) | instskip(NEXT) | instid1(VALU_DEP_1)
	v_fmac_f32_e32 v44, v46, v43
	v_fma_f32 v37, -v37, v44, v45
	s_delay_alu instid0(VALU_DEP_1) | instskip(NEXT) | instid1(VALU_DEP_1)
	v_div_fmas_f32 v37, v37, v43, v44
	v_div_fixup_f32 v37, v37, v34, v35
	s_delay_alu instid0(VALU_DEP_1) | instskip(NEXT) | instid1(VALU_DEP_1)
	v_fmac_f32_e32 v34, v35, v37
	v_div_scale_f32 v35, null, v34, v34, 1.0
	s_delay_alu instid0(VALU_DEP_1) | instskip(SKIP_1) | instid1(TRANS32_DEP_1)
	v_rcp_f32_e32 v43, v35
	v_nop
	v_fma_f32 v44, -v35, v43, 1.0
	s_delay_alu instid0(VALU_DEP_1) | instskip(SKIP_1) | instid1(VALU_DEP_1)
	v_fmac_f32_e32 v43, v44, v43
	v_div_scale_f32 v44, vcc_lo, 1.0, v34, 1.0
	v_mul_f32_e32 v45, v44, v43
	s_delay_alu instid0(VALU_DEP_1) | instskip(NEXT) | instid1(VALU_DEP_1)
	v_fma_f32 v46, -v35, v45, v44
	v_fmac_f32_e32 v45, v46, v43
	s_delay_alu instid0(VALU_DEP_1) | instskip(NEXT) | instid1(VALU_DEP_1)
	v_fma_f32 v35, -v35, v45, v44
	v_div_fmas_f32 v35, v35, v43, v45
	s_delay_alu instid0(VALU_DEP_1) | instskip(NEXT) | instid1(VALU_DEP_1)
	v_div_fixup_f32 v34, v35, v34, 1.0
	v_mul_f32_e64 v35, v37, -v34
.LBB26_114:
	s_or_b32 exec_lo, exec_lo, s1
.LBB26_115:
	s_delay_alu instid0(SALU_CYCLE_1) | instskip(NEXT) | instid1(SALU_CYCLE_1)
	s_or_b32 exec_lo, exec_lo, s0
	s_mov_b32 s0, exec_lo
	v_cmpx_ne_u32_e64 v42, v36
	s_xor_b32 s0, exec_lo, s0
	s_cbranch_execz .LBB26_121
; %bb.116:
	s_mov_b32 s1, exec_lo
	v_cmpx_eq_u32_e32 5, v42
	s_cbranch_execz .LBB26_120
; %bb.117:
	v_cmp_ne_u32_e32 vcc_lo, 5, v36
	s_xor_b32 s15, s12, -1
	s_delay_alu instid0(SALU_CYCLE_1) | instskip(NEXT) | instid1(SALU_CYCLE_1)
	s_and_b32 s16, s15, vcc_lo
	s_and_saveexec_b32 s15, s16
	s_cbranch_execz .LBB26_119
; %bb.118:
	v_ashrrev_i32_e32 v37, 31, v36
	s_delay_alu instid0(VALU_DEP_1)
	v_lshl_add_u64 v[42:43], v[36:37], 2, v[26:27]
	s_clause 0x1
	global_load_b32 v37, v[42:43], off
	global_load_b32 v40, v[26:27], off offset:20
	s_wait_loadcnt 0x1
	global_store_b32 v[26:27], v37, off offset:20
	s_wait_loadcnt 0x0
	global_store_b32 v[42:43], v40, off
.LBB26_119:
	s_wait_xcnt 0x0
	s_or_b32 exec_lo, exec_lo, s15
	v_dual_mov_b32 v42, v36 :: v_dual_mov_b32 v40, v36
.LBB26_120:
	s_or_b32 exec_lo, exec_lo, s1
.LBB26_121:
	s_and_not1_saveexec_b32 s0, s0
	s_cbranch_execz .LBB26_123
; %bb.122:
	v_dual_mov_b32 v36, v20 :: v_dual_mov_b32 v37, v21
	v_dual_mov_b32 v44, v16 :: v_dual_mov_b32 v45, v17
	;; [unrolled: 1-line block ×7, first 2 shown]
	v_mov_b32_e32 v55, v13
	ds_store_2addr_b64 v38, v[36:37], v[44:45] offset0:6 offset1:7
	ds_store_2addr_b64 v38, v[46:47], v[48:49] offset0:8 offset1:9
	;; [unrolled: 1-line block ×4, first 2 shown]
.LBB26_123:
	s_or_b32 exec_lo, exec_lo, s0
	s_delay_alu instid0(SALU_CYCLE_1)
	s_mov_b32 s0, exec_lo
	s_wait_storecnt_dscnt 0x0
	s_barrier_signal -1
	s_barrier_wait -1
	v_cmpx_lt_i32_e32 5, v42
	s_cbranch_execz .LBB26_125
; %bb.124:
	v_pk_mul_f32 v[36:37], v[34:35], v[18:19] op_sel:[1,1] op_sel_hi:[0,1]
	s_delay_alu instid0(VALU_DEP_1)
	v_pk_fma_f32 v[44:45], v[34:35], v[18:19], v[36:37] op_sel_hi:[1,0,1] neg_lo:[0,0,1] neg_hi:[0,0,1]
	v_pk_fma_f32 v[46:47], v[34:35], v[18:19], v[36:37] op_sel_hi:[1,0,1]
	ds_load_2addr_b64 v[34:37], v38 offset0:6 offset1:7
	v_dual_mov_b32 v18, v44 :: v_dual_mov_b32 v19, v47
	s_wait_dscnt 0x0
	v_pk_mul_f32 v[48:49], v[34:35], v[46:47] op_sel:[0,1]
	s_delay_alu instid0(VALU_DEP_1) | instskip(SKIP_1) | instid1(VALU_DEP_1)
	v_pk_fma_f32 v[50:51], v[34:35], v[44:45], v[48:49] op_sel:[0,0,1] op_sel_hi:[1,1,0] neg_lo:[0,0,1] neg_hi:[0,0,1]
	v_pk_fma_f32 v[34:35], v[34:35], v[44:45], v[48:49] op_sel:[0,0,1] op_sel_hi:[1,0,0]
	v_mov_b32_e32 v51, v35
	v_pk_mul_f32 v[34:35], v[36:37], v[46:47] op_sel:[0,1]
	s_delay_alu instid0(VALU_DEP_1) | instskip(SKIP_1) | instid1(VALU_DEP_1)
	v_pk_fma_f32 v[48:49], v[36:37], v[44:45], v[34:35] op_sel:[0,0,1] op_sel_hi:[1,1,0] neg_lo:[0,0,1] neg_hi:[0,0,1]
	v_pk_fma_f32 v[34:35], v[36:37], v[44:45], v[34:35] op_sel:[0,0,1] op_sel_hi:[1,0,0]
	v_mov_b32_e32 v49, v35
	ds_load_2addr_b64 v[34:37], v38 offset0:8 offset1:9
	v_pk_add_f32 v[20:21], v[20:21], v[50:51] neg_lo:[0,1] neg_hi:[0,1]
	v_pk_add_f32 v[16:17], v[16:17], v[48:49] neg_lo:[0,1] neg_hi:[0,1]
	s_wait_dscnt 0x0
	v_pk_mul_f32 v[48:49], v[34:35], v[46:47] op_sel:[0,1]
	s_delay_alu instid0(VALU_DEP_1) | instskip(SKIP_2) | instid1(VALU_DEP_2)
	v_pk_fma_f32 v[50:51], v[34:35], v[44:45], v[48:49] op_sel:[0,0,1] op_sel_hi:[1,1,0] neg_lo:[0,0,1] neg_hi:[0,0,1]
	v_pk_fma_f32 v[34:35], v[34:35], v[44:45], v[48:49] op_sel:[0,0,1] op_sel_hi:[1,0,0]
	v_dual_mul_f32 v48, v37, v47 :: v_dual_mov_b32 v34, v37
	v_dual_mov_b32 v51, v35 :: v_dual_mov_b32 v35, v36
	s_delay_alu instid0(VALU_DEP_2) | instskip(SKIP_1) | instid1(VALU_DEP_3)
	v_pk_fma_f32 v[48:49], v[36:37], v[18:19], v[48:49] op_sel_hi:[1,1,0] neg_lo:[0,0,1] neg_hi:[0,0,1]
	v_mul_f32_e32 v36, v37, v44
	v_pk_add_f32 v[24:25], v[24:25], v[50:51] neg_lo:[0,1] neg_hi:[0,1]
	s_delay_alu instid0(VALU_DEP_2) | instskip(NEXT) | instid1(VALU_DEP_1)
	v_pk_fma_f32 v[34:35], v[34:35], v[18:19], v[36:37] op_sel_hi:[1,1,0]
	v_mov_b32_e32 v49, v35
	ds_load_2addr_b64 v[34:37], v38 offset0:10 offset1:11
	v_pk_add_f32 v[4:5], v[4:5], v[48:49] neg_lo:[0,1] neg_hi:[0,1]
	s_wait_dscnt 0x0
	v_pk_mul_f32 v[48:49], v[34:35], v[46:47] op_sel:[0,1]
	s_delay_alu instid0(VALU_DEP_1) | instskip(SKIP_1) | instid1(VALU_DEP_1)
	v_pk_fma_f32 v[50:51], v[34:35], v[44:45], v[48:49] op_sel:[0,0,1] op_sel_hi:[1,1,0] neg_lo:[0,0,1] neg_hi:[0,0,1]
	v_pk_fma_f32 v[34:35], v[34:35], v[44:45], v[48:49] op_sel:[0,0,1] op_sel_hi:[1,0,0]
	v_mov_b32_e32 v51, v35
	v_pk_mul_f32 v[34:35], v[36:37], v[46:47] op_sel:[0,1]
	s_delay_alu instid0(VALU_DEP_1) | instskip(SKIP_1) | instid1(VALU_DEP_1)
	v_pk_fma_f32 v[48:49], v[36:37], v[44:45], v[34:35] op_sel:[0,0,1] op_sel_hi:[1,1,0] neg_lo:[0,0,1] neg_hi:[0,0,1]
	v_pk_fma_f32 v[34:35], v[36:37], v[44:45], v[34:35] op_sel:[0,0,1] op_sel_hi:[1,0,0]
	v_mov_b32_e32 v49, v35
	ds_load_2addr_b64 v[34:37], v38 offset0:12 offset1:13
	v_pk_add_f32 v[22:23], v[22:23], v[50:51] neg_lo:[0,1] neg_hi:[0,1]
	v_pk_add_f32 v[14:15], v[14:15], v[48:49] neg_lo:[0,1] neg_hi:[0,1]
	s_wait_dscnt 0x0
	v_pk_mul_f32 v[48:49], v[34:35], v[46:47] op_sel:[0,1]
	s_delay_alu instid0(VALU_DEP_1) | instskip(SKIP_1) | instid1(VALU_DEP_1)
	v_pk_fma_f32 v[50:51], v[34:35], v[44:45], v[48:49] op_sel:[0,0,1] op_sel_hi:[1,1,0] neg_lo:[0,0,1] neg_hi:[0,0,1]
	v_pk_fma_f32 v[34:35], v[34:35], v[44:45], v[48:49] op_sel:[0,0,1] op_sel_hi:[1,0,0]
	v_mov_b32_e32 v51, v35
	v_pk_mul_f32 v[34:35], v[36:37], v[46:47] op_sel:[0,1]
	s_delay_alu instid0(VALU_DEP_1) | instskip(SKIP_1) | instid1(VALU_DEP_1)
	v_pk_fma_f32 v[46:47], v[36:37], v[44:45], v[34:35] op_sel:[0,0,1] op_sel_hi:[1,1,0] neg_lo:[0,0,1] neg_hi:[0,0,1]
	v_pk_fma_f32 v[34:35], v[36:37], v[44:45], v[34:35] op_sel:[0,0,1] op_sel_hi:[1,0,0]
	v_mov_b32_e32 v47, v35
	v_pk_add_f32 v[12:13], v[12:13], v[50:51] neg_lo:[0,1] neg_hi:[0,1]
	s_delay_alu instid0(VALU_DEP_2)
	v_pk_add_f32 v[32:33], v[32:33], v[46:47] neg_lo:[0,1] neg_hi:[0,1]
.LBB26_125:
	s_or_b32 exec_lo, exec_lo, s0
	v_lshl_add_u32 v34, v42, 3, v38
	s_barrier_signal -1
	s_barrier_wait -1
	ds_store_b64 v34, v[20:21]
	s_wait_dscnt 0x0
	s_barrier_signal -1
	s_barrier_wait -1
	ds_load_b64 v[34:35], v38 offset:48
	v_mov_b32_e32 v36, 6
	s_cmp_lt_i32 s14, 8
	s_cbranch_scc1 .LBB26_128
; %bb.126:
	v_add3_u32 v37, v39, 0, 56
	v_mov_b32_e32 v36, 6
	s_mov_b32 s0, 7
.LBB26_127:                             ; =>This Inner Loop Header: Depth=1
	ds_load_b64 v[44:45], v37
	s_wait_dscnt 0x1
	v_cmp_gt_f32_e32 vcc_lo, 0, v34
	v_cndmask_b32_e64 v46, v34, -v34, vcc_lo
	v_cmp_gt_f32_e32 vcc_lo, 0, v35
	v_cndmask_b32_e64 v48, v35, -v35, vcc_lo
	s_wait_dscnt 0x0
	v_cmp_gt_f32_e32 vcc_lo, 0, v44
	v_cndmask_b32_e64 v47, v44, -v44, vcc_lo
	v_cmp_gt_f32_e32 vcc_lo, 0, v45
	v_cndmask_b32_e64 v49, v45, -v45, vcc_lo
	s_delay_alu instid0(VALU_DEP_1) | instskip(NEXT) | instid1(VALU_DEP_1)
	v_pk_add_f32 v[46:47], v[46:47], v[48:49]
	v_cmp_lt_f32_e32 vcc_lo, v46, v47
	v_dual_cndmask_b32 v34, v34, v44 :: v_dual_add_nc_u32 v37, 8, v37
	v_cndmask_b32_e32 v35, v35, v45, vcc_lo
	v_cndmask_b32_e64 v36, v36, s0, vcc_lo
	s_add_co_i32 s0, s0, 1
	s_delay_alu instid0(SALU_CYCLE_1)
	s_cmp_lg_u32 s14, s0
	s_cbranch_scc1 .LBB26_127
.LBB26_128:
	s_wait_dscnt 0x0
	v_cmp_eq_f32_e32 vcc_lo, 0, v34
	v_cmp_eq_f32_e64 s0, 0, v35
	s_and_b32 s0, vcc_lo, s0
	s_delay_alu instid0(SALU_CYCLE_1) | instskip(NEXT) | instid1(SALU_CYCLE_1)
	s_and_saveexec_b32 s1, s0
	s_xor_b32 s0, exec_lo, s1
; %bb.129:
	v_cmp_ne_u32_e32 vcc_lo, 0, v41
	v_cndmask_b32_e32 v41, 7, v41, vcc_lo
; %bb.130:
	s_and_not1_saveexec_b32 s0, s0
	s_cbranch_execz .LBB26_136
; %bb.131:
	v_cmp_ngt_f32_e64 s1, |v34|, |v35|
	s_and_saveexec_b32 s15, s1
	s_delay_alu instid0(SALU_CYCLE_1)
	s_xor_b32 s1, exec_lo, s15
	s_cbranch_execz .LBB26_133
; %bb.132:
	v_div_scale_f32 v37, null, v35, v35, v34
	v_div_scale_f32 v45, vcc_lo, v34, v35, v34
	s_delay_alu instid0(VALU_DEP_2) | instskip(SKIP_1) | instid1(TRANS32_DEP_1)
	v_rcp_f32_e32 v43, v37
	v_nop
	v_fma_f32 v44, -v37, v43, 1.0
	s_delay_alu instid0(VALU_DEP_1) | instskip(NEXT) | instid1(VALU_DEP_1)
	v_fmac_f32_e32 v43, v44, v43
	v_mul_f32_e32 v44, v45, v43
	s_delay_alu instid0(VALU_DEP_1) | instskip(NEXT) | instid1(VALU_DEP_1)
	v_fma_f32 v46, -v37, v44, v45
	v_fmac_f32_e32 v44, v46, v43
	s_delay_alu instid0(VALU_DEP_1) | instskip(NEXT) | instid1(VALU_DEP_1)
	v_fma_f32 v37, -v37, v44, v45
	v_div_fmas_f32 v37, v37, v43, v44
	s_delay_alu instid0(VALU_DEP_1) | instskip(NEXT) | instid1(VALU_DEP_1)
	v_div_fixup_f32 v37, v37, v35, v34
	v_fmac_f32_e32 v35, v34, v37
	s_delay_alu instid0(VALU_DEP_1) | instskip(SKIP_1) | instid1(VALU_DEP_2)
	v_div_scale_f32 v34, null, v35, v35, 1.0
	v_div_scale_f32 v45, vcc_lo, 1.0, v35, 1.0
	v_rcp_f32_e32 v43, v34
	v_nop
	s_delay_alu instid0(TRANS32_DEP_1) | instskip(NEXT) | instid1(VALU_DEP_1)
	v_fma_f32 v44, -v34, v43, 1.0
	v_fmac_f32_e32 v43, v44, v43
	s_delay_alu instid0(VALU_DEP_1) | instskip(NEXT) | instid1(VALU_DEP_1)
	v_mul_f32_e32 v44, v45, v43
	v_fma_f32 v46, -v34, v44, v45
	s_delay_alu instid0(VALU_DEP_1) | instskip(NEXT) | instid1(VALU_DEP_1)
	v_fmac_f32_e32 v44, v46, v43
	v_fma_f32 v34, -v34, v44, v45
	s_delay_alu instid0(VALU_DEP_1) | instskip(NEXT) | instid1(VALU_DEP_1)
	v_div_fmas_f32 v34, v34, v43, v44
	v_div_fixup_f32 v35, v34, v35, 1.0
	s_delay_alu instid0(VALU_DEP_1)
	v_mul_f32_e32 v34, v37, v35
	v_xor_b32_e32 v35, 0x80000000, v35
.LBB26_133:
	s_and_not1_saveexec_b32 s1, s1
	s_cbranch_execz .LBB26_135
; %bb.134:
	s_delay_alu instid0(VALU_DEP_1) | instskip(SKIP_1) | instid1(VALU_DEP_2)
	v_div_scale_f32 v37, null, v34, v34, v35
	v_div_scale_f32 v45, vcc_lo, v35, v34, v35
	v_rcp_f32_e32 v43, v37
	v_nop
	s_delay_alu instid0(TRANS32_DEP_1) | instskip(NEXT) | instid1(VALU_DEP_1)
	v_fma_f32 v44, -v37, v43, 1.0
	v_fmac_f32_e32 v43, v44, v43
	s_delay_alu instid0(VALU_DEP_1) | instskip(NEXT) | instid1(VALU_DEP_1)
	v_mul_f32_e32 v44, v45, v43
	v_fma_f32 v46, -v37, v44, v45
	s_delay_alu instid0(VALU_DEP_1) | instskip(NEXT) | instid1(VALU_DEP_1)
	v_fmac_f32_e32 v44, v46, v43
	v_fma_f32 v37, -v37, v44, v45
	s_delay_alu instid0(VALU_DEP_1) | instskip(NEXT) | instid1(VALU_DEP_1)
	v_div_fmas_f32 v37, v37, v43, v44
	v_div_fixup_f32 v37, v37, v34, v35
	s_delay_alu instid0(VALU_DEP_1) | instskip(NEXT) | instid1(VALU_DEP_1)
	v_fmac_f32_e32 v34, v35, v37
	v_div_scale_f32 v35, null, v34, v34, 1.0
	s_delay_alu instid0(VALU_DEP_1) | instskip(SKIP_1) | instid1(TRANS32_DEP_1)
	v_rcp_f32_e32 v43, v35
	v_nop
	v_fma_f32 v44, -v35, v43, 1.0
	s_delay_alu instid0(VALU_DEP_1) | instskip(SKIP_1) | instid1(VALU_DEP_1)
	v_fmac_f32_e32 v43, v44, v43
	v_div_scale_f32 v44, vcc_lo, 1.0, v34, 1.0
	v_mul_f32_e32 v45, v44, v43
	s_delay_alu instid0(VALU_DEP_1) | instskip(NEXT) | instid1(VALU_DEP_1)
	v_fma_f32 v46, -v35, v45, v44
	v_fmac_f32_e32 v45, v46, v43
	s_delay_alu instid0(VALU_DEP_1) | instskip(NEXT) | instid1(VALU_DEP_1)
	v_fma_f32 v35, -v35, v45, v44
	v_div_fmas_f32 v35, v35, v43, v45
	s_delay_alu instid0(VALU_DEP_1) | instskip(NEXT) | instid1(VALU_DEP_1)
	v_div_fixup_f32 v34, v35, v34, 1.0
	v_mul_f32_e64 v35, v37, -v34
.LBB26_135:
	s_or_b32 exec_lo, exec_lo, s1
.LBB26_136:
	s_delay_alu instid0(SALU_CYCLE_1) | instskip(NEXT) | instid1(SALU_CYCLE_1)
	s_or_b32 exec_lo, exec_lo, s0
	s_mov_b32 s0, exec_lo
	v_cmpx_ne_u32_e64 v42, v36
	s_xor_b32 s0, exec_lo, s0
	s_cbranch_execz .LBB26_142
; %bb.137:
	s_mov_b32 s1, exec_lo
	v_cmpx_eq_u32_e32 6, v42
	s_cbranch_execz .LBB26_141
; %bb.138:
	v_cmp_ne_u32_e32 vcc_lo, 6, v36
	s_xor_b32 s15, s12, -1
	s_delay_alu instid0(SALU_CYCLE_1) | instskip(NEXT) | instid1(SALU_CYCLE_1)
	s_and_b32 s16, s15, vcc_lo
	s_and_saveexec_b32 s15, s16
	s_cbranch_execz .LBB26_140
; %bb.139:
	v_ashrrev_i32_e32 v37, 31, v36
	s_delay_alu instid0(VALU_DEP_1)
	v_lshl_add_u64 v[42:43], v[36:37], 2, v[26:27]
	s_clause 0x1
	global_load_b32 v37, v[42:43], off
	global_load_b32 v40, v[26:27], off offset:24
	s_wait_loadcnt 0x1
	global_store_b32 v[26:27], v37, off offset:24
	s_wait_loadcnt 0x0
	global_store_b32 v[42:43], v40, off
.LBB26_140:
	s_wait_xcnt 0x0
	s_or_b32 exec_lo, exec_lo, s15
	v_dual_mov_b32 v42, v36 :: v_dual_mov_b32 v40, v36
.LBB26_141:
	s_or_b32 exec_lo, exec_lo, s1
.LBB26_142:
	s_and_not1_saveexec_b32 s0, s0
	s_cbranch_execz .LBB26_144
; %bb.143:
	v_mov_b32_e32 v42, 6
	ds_store_2addr_b64 v38, v[16:17], v[24:25] offset0:7 offset1:8
	ds_store_2addr_b64 v38, v[4:5], v[22:23] offset0:9 offset1:10
	;; [unrolled: 1-line block ×3, first 2 shown]
	ds_store_b64 v38, v[32:33] offset:104
.LBB26_144:
	s_or_b32 exec_lo, exec_lo, s0
	s_delay_alu instid0(SALU_CYCLE_1)
	s_mov_b32 s0, exec_lo
	s_wait_storecnt_dscnt 0x0
	s_barrier_signal -1
	s_barrier_wait -1
	v_cmpx_lt_i32_e32 6, v42
	s_cbranch_execz .LBB26_146
; %bb.145:
	v_pk_mul_f32 v[36:37], v[34:35], v[20:21] op_sel:[1,1] op_sel_hi:[0,1]
	s_delay_alu instid0(VALU_DEP_1)
	v_pk_fma_f32 v[44:45], v[34:35], v[20:21], v[36:37] op_sel_hi:[1,0,1] neg_lo:[0,0,1] neg_hi:[0,0,1]
	v_pk_fma_f32 v[46:47], v[34:35], v[20:21], v[36:37] op_sel_hi:[1,0,1]
	ds_load_2addr_b64 v[34:37], v38 offset0:7 offset1:8
	v_dual_mov_b32 v20, v44 :: v_dual_mov_b32 v21, v47
	s_wait_dscnt 0x0
	v_pk_mul_f32 v[48:49], v[34:35], v[46:47] op_sel:[0,1]
	s_delay_alu instid0(VALU_DEP_1) | instskip(SKIP_1) | instid1(VALU_DEP_1)
	v_pk_fma_f32 v[50:51], v[34:35], v[44:45], v[48:49] op_sel:[0,0,1] op_sel_hi:[1,1,0] neg_lo:[0,0,1] neg_hi:[0,0,1]
	v_pk_fma_f32 v[34:35], v[34:35], v[44:45], v[48:49] op_sel:[0,0,1] op_sel_hi:[1,0,0]
	v_mov_b32_e32 v51, v35
	v_pk_mul_f32 v[34:35], v[36:37], v[46:47] op_sel:[0,1]
	s_delay_alu instid0(VALU_DEP_1) | instskip(SKIP_1) | instid1(VALU_DEP_1)
	v_pk_fma_f32 v[48:49], v[36:37], v[44:45], v[34:35] op_sel:[0,0,1] op_sel_hi:[1,1,0] neg_lo:[0,0,1] neg_hi:[0,0,1]
	v_pk_fma_f32 v[34:35], v[36:37], v[44:45], v[34:35] op_sel:[0,0,1] op_sel_hi:[1,0,0]
	v_mov_b32_e32 v49, v35
	ds_load_2addr_b64 v[34:37], v38 offset0:9 offset1:10
	v_pk_add_f32 v[16:17], v[16:17], v[50:51] neg_lo:[0,1] neg_hi:[0,1]
	v_pk_add_f32 v[24:25], v[24:25], v[48:49] neg_lo:[0,1] neg_hi:[0,1]
	s_wait_dscnt 0x0
	v_pk_mul_f32 v[48:49], v[34:35], v[46:47] op_sel:[0,1]
	s_delay_alu instid0(VALU_DEP_1) | instskip(SKIP_2) | instid1(VALU_DEP_2)
	v_pk_fma_f32 v[50:51], v[34:35], v[44:45], v[48:49] op_sel:[0,0,1] op_sel_hi:[1,1,0] neg_lo:[0,0,1] neg_hi:[0,0,1]
	v_pk_fma_f32 v[34:35], v[34:35], v[44:45], v[48:49] op_sel:[0,0,1] op_sel_hi:[1,0,0]
	v_dual_mul_f32 v48, v37, v47 :: v_dual_mov_b32 v34, v37
	v_dual_mov_b32 v51, v35 :: v_dual_mov_b32 v35, v36
	s_delay_alu instid0(VALU_DEP_2) | instskip(SKIP_1) | instid1(VALU_DEP_3)
	v_pk_fma_f32 v[48:49], v[36:37], v[20:21], v[48:49] op_sel_hi:[1,1,0] neg_lo:[0,0,1] neg_hi:[0,0,1]
	v_mul_f32_e32 v36, v37, v44
	v_pk_add_f32 v[4:5], v[4:5], v[50:51] neg_lo:[0,1] neg_hi:[0,1]
	s_delay_alu instid0(VALU_DEP_2) | instskip(NEXT) | instid1(VALU_DEP_1)
	v_pk_fma_f32 v[34:35], v[34:35], v[20:21], v[36:37] op_sel_hi:[1,1,0]
	v_mov_b32_e32 v49, v35
	ds_load_2addr_b64 v[34:37], v38 offset0:11 offset1:12
	v_pk_add_f32 v[22:23], v[22:23], v[48:49] neg_lo:[0,1] neg_hi:[0,1]
	s_wait_dscnt 0x0
	v_pk_mul_f32 v[48:49], v[34:35], v[46:47] op_sel:[0,1]
	s_delay_alu instid0(VALU_DEP_1) | instskip(SKIP_1) | instid1(VALU_DEP_1)
	v_pk_fma_f32 v[50:51], v[34:35], v[44:45], v[48:49] op_sel:[0,0,1] op_sel_hi:[1,1,0] neg_lo:[0,0,1] neg_hi:[0,0,1]
	v_pk_fma_f32 v[34:35], v[34:35], v[44:45], v[48:49] op_sel:[0,0,1] op_sel_hi:[1,0,0]
	v_mov_b32_e32 v51, v35
	v_pk_mul_f32 v[34:35], v[36:37], v[46:47] op_sel:[0,1]
	s_delay_alu instid0(VALU_DEP_1) | instskip(SKIP_1) | instid1(VALU_DEP_1)
	v_pk_fma_f32 v[48:49], v[36:37], v[44:45], v[34:35] op_sel:[0,0,1] op_sel_hi:[1,1,0] neg_lo:[0,0,1] neg_hi:[0,0,1]
	v_pk_fma_f32 v[34:35], v[36:37], v[44:45], v[34:35] op_sel:[0,0,1] op_sel_hi:[1,0,0]
	v_mov_b32_e32 v49, v35
	ds_load_b64 v[34:35], v38 offset:104
	v_pk_add_f32 v[14:15], v[14:15], v[50:51] neg_lo:[0,1] neg_hi:[0,1]
	v_pk_add_f32 v[12:13], v[12:13], v[48:49] neg_lo:[0,1] neg_hi:[0,1]
	s_wait_dscnt 0x0
	v_pk_mul_f32 v[36:37], v[34:35], v[46:47] op_sel:[0,1]
	s_delay_alu instid0(VALU_DEP_1) | instskip(SKIP_1) | instid1(VALU_DEP_1)
	v_pk_fma_f32 v[46:47], v[34:35], v[44:45], v[36:37] op_sel:[0,0,1] op_sel_hi:[1,1,0] neg_lo:[0,0,1] neg_hi:[0,0,1]
	v_pk_fma_f32 v[34:35], v[34:35], v[44:45], v[36:37] op_sel:[0,0,1] op_sel_hi:[1,0,0]
	v_mov_b32_e32 v47, v35
	s_delay_alu instid0(VALU_DEP_1)
	v_pk_add_f32 v[32:33], v[32:33], v[46:47] neg_lo:[0,1] neg_hi:[0,1]
.LBB26_146:
	s_or_b32 exec_lo, exec_lo, s0
	v_lshl_add_u32 v34, v42, 3, v38
	s_barrier_signal -1
	s_barrier_wait -1
	ds_store_b64 v34, v[16:17]
	s_wait_dscnt 0x0
	s_barrier_signal -1
	s_barrier_wait -1
	ds_load_b64 v[34:35], v38 offset:56
	v_mov_b32_e32 v36, 7
	s_cmp_lt_i32 s14, 9
	s_cbranch_scc1 .LBB26_149
; %bb.147:
	v_add3_u32 v37, v39, 0, 64
	v_mov_b32_e32 v36, 7
	s_mov_b32 s0, 8
.LBB26_148:                             ; =>This Inner Loop Header: Depth=1
	ds_load_b64 v[44:45], v37
	s_wait_dscnt 0x1
	v_cmp_gt_f32_e32 vcc_lo, 0, v34
	v_cndmask_b32_e64 v46, v34, -v34, vcc_lo
	v_cmp_gt_f32_e32 vcc_lo, 0, v35
	v_cndmask_b32_e64 v48, v35, -v35, vcc_lo
	s_wait_dscnt 0x0
	v_cmp_gt_f32_e32 vcc_lo, 0, v44
	v_cndmask_b32_e64 v47, v44, -v44, vcc_lo
	v_cmp_gt_f32_e32 vcc_lo, 0, v45
	v_cndmask_b32_e64 v49, v45, -v45, vcc_lo
	s_delay_alu instid0(VALU_DEP_1) | instskip(NEXT) | instid1(VALU_DEP_1)
	v_pk_add_f32 v[46:47], v[46:47], v[48:49]
	v_cmp_lt_f32_e32 vcc_lo, v46, v47
	v_dual_cndmask_b32 v34, v34, v44 :: v_dual_add_nc_u32 v37, 8, v37
	v_cndmask_b32_e32 v35, v35, v45, vcc_lo
	v_cndmask_b32_e64 v36, v36, s0, vcc_lo
	s_add_co_i32 s0, s0, 1
	s_delay_alu instid0(SALU_CYCLE_1)
	s_cmp_lg_u32 s14, s0
	s_cbranch_scc1 .LBB26_148
.LBB26_149:
	s_wait_dscnt 0x0
	v_cmp_eq_f32_e32 vcc_lo, 0, v34
	v_cmp_eq_f32_e64 s0, 0, v35
	s_and_b32 s0, vcc_lo, s0
	s_delay_alu instid0(SALU_CYCLE_1) | instskip(NEXT) | instid1(SALU_CYCLE_1)
	s_and_saveexec_b32 s1, s0
	s_xor_b32 s0, exec_lo, s1
; %bb.150:
	v_cmp_ne_u32_e32 vcc_lo, 0, v41
	v_cndmask_b32_e32 v41, 8, v41, vcc_lo
; %bb.151:
	s_and_not1_saveexec_b32 s0, s0
	s_cbranch_execz .LBB26_157
; %bb.152:
	v_cmp_ngt_f32_e64 s1, |v34|, |v35|
	s_and_saveexec_b32 s15, s1
	s_delay_alu instid0(SALU_CYCLE_1)
	s_xor_b32 s1, exec_lo, s15
	s_cbranch_execz .LBB26_154
; %bb.153:
	v_div_scale_f32 v37, null, v35, v35, v34
	v_div_scale_f32 v45, vcc_lo, v34, v35, v34
	s_delay_alu instid0(VALU_DEP_2) | instskip(SKIP_1) | instid1(TRANS32_DEP_1)
	v_rcp_f32_e32 v43, v37
	v_nop
	v_fma_f32 v44, -v37, v43, 1.0
	s_delay_alu instid0(VALU_DEP_1) | instskip(NEXT) | instid1(VALU_DEP_1)
	v_fmac_f32_e32 v43, v44, v43
	v_mul_f32_e32 v44, v45, v43
	s_delay_alu instid0(VALU_DEP_1) | instskip(NEXT) | instid1(VALU_DEP_1)
	v_fma_f32 v46, -v37, v44, v45
	v_fmac_f32_e32 v44, v46, v43
	s_delay_alu instid0(VALU_DEP_1) | instskip(NEXT) | instid1(VALU_DEP_1)
	v_fma_f32 v37, -v37, v44, v45
	v_div_fmas_f32 v37, v37, v43, v44
	s_delay_alu instid0(VALU_DEP_1) | instskip(NEXT) | instid1(VALU_DEP_1)
	v_div_fixup_f32 v37, v37, v35, v34
	v_fmac_f32_e32 v35, v34, v37
	s_delay_alu instid0(VALU_DEP_1) | instskip(SKIP_1) | instid1(VALU_DEP_2)
	v_div_scale_f32 v34, null, v35, v35, 1.0
	v_div_scale_f32 v45, vcc_lo, 1.0, v35, 1.0
	v_rcp_f32_e32 v43, v34
	v_nop
	s_delay_alu instid0(TRANS32_DEP_1) | instskip(NEXT) | instid1(VALU_DEP_1)
	v_fma_f32 v44, -v34, v43, 1.0
	v_fmac_f32_e32 v43, v44, v43
	s_delay_alu instid0(VALU_DEP_1) | instskip(NEXT) | instid1(VALU_DEP_1)
	v_mul_f32_e32 v44, v45, v43
	v_fma_f32 v46, -v34, v44, v45
	s_delay_alu instid0(VALU_DEP_1) | instskip(NEXT) | instid1(VALU_DEP_1)
	v_fmac_f32_e32 v44, v46, v43
	v_fma_f32 v34, -v34, v44, v45
	s_delay_alu instid0(VALU_DEP_1) | instskip(NEXT) | instid1(VALU_DEP_1)
	v_div_fmas_f32 v34, v34, v43, v44
	v_div_fixup_f32 v35, v34, v35, 1.0
	s_delay_alu instid0(VALU_DEP_1)
	v_mul_f32_e32 v34, v37, v35
	v_xor_b32_e32 v35, 0x80000000, v35
.LBB26_154:
	s_and_not1_saveexec_b32 s1, s1
	s_cbranch_execz .LBB26_156
; %bb.155:
	s_delay_alu instid0(VALU_DEP_1) | instskip(SKIP_1) | instid1(VALU_DEP_2)
	v_div_scale_f32 v37, null, v34, v34, v35
	v_div_scale_f32 v45, vcc_lo, v35, v34, v35
	v_rcp_f32_e32 v43, v37
	v_nop
	s_delay_alu instid0(TRANS32_DEP_1) | instskip(NEXT) | instid1(VALU_DEP_1)
	v_fma_f32 v44, -v37, v43, 1.0
	v_fmac_f32_e32 v43, v44, v43
	s_delay_alu instid0(VALU_DEP_1) | instskip(NEXT) | instid1(VALU_DEP_1)
	v_mul_f32_e32 v44, v45, v43
	v_fma_f32 v46, -v37, v44, v45
	s_delay_alu instid0(VALU_DEP_1) | instskip(NEXT) | instid1(VALU_DEP_1)
	v_fmac_f32_e32 v44, v46, v43
	v_fma_f32 v37, -v37, v44, v45
	s_delay_alu instid0(VALU_DEP_1) | instskip(NEXT) | instid1(VALU_DEP_1)
	v_div_fmas_f32 v37, v37, v43, v44
	v_div_fixup_f32 v37, v37, v34, v35
	s_delay_alu instid0(VALU_DEP_1) | instskip(NEXT) | instid1(VALU_DEP_1)
	v_fmac_f32_e32 v34, v35, v37
	v_div_scale_f32 v35, null, v34, v34, 1.0
	s_delay_alu instid0(VALU_DEP_1) | instskip(SKIP_1) | instid1(TRANS32_DEP_1)
	v_rcp_f32_e32 v43, v35
	v_nop
	v_fma_f32 v44, -v35, v43, 1.0
	s_delay_alu instid0(VALU_DEP_1) | instskip(SKIP_1) | instid1(VALU_DEP_1)
	v_fmac_f32_e32 v43, v44, v43
	v_div_scale_f32 v44, vcc_lo, 1.0, v34, 1.0
	v_mul_f32_e32 v45, v44, v43
	s_delay_alu instid0(VALU_DEP_1) | instskip(NEXT) | instid1(VALU_DEP_1)
	v_fma_f32 v46, -v35, v45, v44
	v_fmac_f32_e32 v45, v46, v43
	s_delay_alu instid0(VALU_DEP_1) | instskip(NEXT) | instid1(VALU_DEP_1)
	v_fma_f32 v35, -v35, v45, v44
	v_div_fmas_f32 v35, v35, v43, v45
	s_delay_alu instid0(VALU_DEP_1) | instskip(NEXT) | instid1(VALU_DEP_1)
	v_div_fixup_f32 v34, v35, v34, 1.0
	v_mul_f32_e64 v35, v37, -v34
.LBB26_156:
	s_or_b32 exec_lo, exec_lo, s1
.LBB26_157:
	s_delay_alu instid0(SALU_CYCLE_1) | instskip(NEXT) | instid1(SALU_CYCLE_1)
	s_or_b32 exec_lo, exec_lo, s0
	s_mov_b32 s0, exec_lo
	v_cmpx_ne_u32_e64 v42, v36
	s_xor_b32 s0, exec_lo, s0
	s_cbranch_execz .LBB26_163
; %bb.158:
	s_mov_b32 s1, exec_lo
	v_cmpx_eq_u32_e32 7, v42
	s_cbranch_execz .LBB26_162
; %bb.159:
	v_cmp_ne_u32_e32 vcc_lo, 7, v36
	s_xor_b32 s15, s12, -1
	s_delay_alu instid0(SALU_CYCLE_1) | instskip(NEXT) | instid1(SALU_CYCLE_1)
	s_and_b32 s16, s15, vcc_lo
	s_and_saveexec_b32 s15, s16
	s_cbranch_execz .LBB26_161
; %bb.160:
	v_ashrrev_i32_e32 v37, 31, v36
	s_delay_alu instid0(VALU_DEP_1)
	v_lshl_add_u64 v[42:43], v[36:37], 2, v[26:27]
	s_clause 0x1
	global_load_b32 v37, v[42:43], off
	global_load_b32 v40, v[26:27], off offset:28
	s_wait_loadcnt 0x1
	global_store_b32 v[26:27], v37, off offset:28
	s_wait_loadcnt 0x0
	global_store_b32 v[42:43], v40, off
.LBB26_161:
	s_wait_xcnt 0x0
	s_or_b32 exec_lo, exec_lo, s15
	v_dual_mov_b32 v42, v36 :: v_dual_mov_b32 v40, v36
.LBB26_162:
	s_or_b32 exec_lo, exec_lo, s1
.LBB26_163:
	s_and_not1_saveexec_b32 s0, s0
	s_cbranch_execz .LBB26_165
; %bb.164:
	v_dual_mov_b32 v36, v24 :: v_dual_mov_b32 v37, v25
	v_dual_mov_b32 v44, v4 :: v_dual_mov_b32 v45, v5
	;; [unrolled: 1-line block ×5, first 2 shown]
	v_mov_b32_e32 v51, v13
	ds_store_2addr_b64 v38, v[36:37], v[44:45] offset0:8 offset1:9
	ds_store_2addr_b64 v38, v[46:47], v[48:49] offset0:10 offset1:11
	;; [unrolled: 1-line block ×3, first 2 shown]
.LBB26_165:
	s_or_b32 exec_lo, exec_lo, s0
	s_delay_alu instid0(SALU_CYCLE_1)
	s_mov_b32 s0, exec_lo
	s_wait_storecnt_dscnt 0x0
	s_barrier_signal -1
	s_barrier_wait -1
	v_cmpx_lt_i32_e32 7, v42
	s_cbranch_execz .LBB26_167
; %bb.166:
	v_pk_mul_f32 v[36:37], v[34:35], v[16:17] op_sel:[1,1] op_sel_hi:[0,1]
	s_delay_alu instid0(VALU_DEP_1)
	v_pk_fma_f32 v[44:45], v[34:35], v[16:17], v[36:37] op_sel_hi:[1,0,1] neg_lo:[0,0,1] neg_hi:[0,0,1]
	v_pk_fma_f32 v[46:47], v[34:35], v[16:17], v[36:37] op_sel_hi:[1,0,1]
	ds_load_2addr_b64 v[34:37], v38 offset0:8 offset1:9
	v_dual_mov_b32 v16, v44 :: v_dual_mov_b32 v17, v47
	s_wait_dscnt 0x0
	v_pk_mul_f32 v[48:49], v[34:35], v[46:47] op_sel:[0,1]
	s_delay_alu instid0(VALU_DEP_1) | instskip(SKIP_1) | instid1(VALU_DEP_1)
	v_pk_fma_f32 v[50:51], v[34:35], v[44:45], v[48:49] op_sel:[0,0,1] op_sel_hi:[1,1,0] neg_lo:[0,0,1] neg_hi:[0,0,1]
	v_pk_fma_f32 v[34:35], v[34:35], v[44:45], v[48:49] op_sel:[0,0,1] op_sel_hi:[1,0,0]
	v_mov_b32_e32 v51, v35
	v_pk_mul_f32 v[34:35], v[36:37], v[46:47] op_sel:[0,1]
	s_delay_alu instid0(VALU_DEP_1) | instskip(SKIP_1) | instid1(VALU_DEP_1)
	v_pk_fma_f32 v[48:49], v[36:37], v[44:45], v[34:35] op_sel:[0,0,1] op_sel_hi:[1,1,0] neg_lo:[0,0,1] neg_hi:[0,0,1]
	v_pk_fma_f32 v[34:35], v[36:37], v[44:45], v[34:35] op_sel:[0,0,1] op_sel_hi:[1,0,0]
	v_mov_b32_e32 v49, v35
	ds_load_2addr_b64 v[34:37], v38 offset0:10 offset1:11
	v_pk_add_f32 v[24:25], v[24:25], v[50:51] neg_lo:[0,1] neg_hi:[0,1]
	v_pk_add_f32 v[4:5], v[4:5], v[48:49] neg_lo:[0,1] neg_hi:[0,1]
	s_wait_dscnt 0x0
	v_pk_mul_f32 v[48:49], v[34:35], v[46:47] op_sel:[0,1]
	s_delay_alu instid0(VALU_DEP_1) | instskip(SKIP_2) | instid1(VALU_DEP_2)
	v_pk_fma_f32 v[50:51], v[34:35], v[44:45], v[48:49] op_sel:[0,0,1] op_sel_hi:[1,1,0] neg_lo:[0,0,1] neg_hi:[0,0,1]
	v_pk_fma_f32 v[34:35], v[34:35], v[44:45], v[48:49] op_sel:[0,0,1] op_sel_hi:[1,0,0]
	v_dual_mul_f32 v48, v37, v47 :: v_dual_mov_b32 v34, v37
	v_dual_mov_b32 v51, v35 :: v_dual_mov_b32 v35, v36
	s_delay_alu instid0(VALU_DEP_2) | instskip(SKIP_1) | instid1(VALU_DEP_3)
	v_pk_fma_f32 v[48:49], v[36:37], v[16:17], v[48:49] op_sel_hi:[1,1,0] neg_lo:[0,0,1] neg_hi:[0,0,1]
	v_mul_f32_e32 v36, v37, v44
	v_pk_add_f32 v[22:23], v[22:23], v[50:51] neg_lo:[0,1] neg_hi:[0,1]
	s_delay_alu instid0(VALU_DEP_2) | instskip(NEXT) | instid1(VALU_DEP_1)
	v_pk_fma_f32 v[34:35], v[34:35], v[16:17], v[36:37] op_sel_hi:[1,1,0]
	v_mov_b32_e32 v49, v35
	ds_load_2addr_b64 v[34:37], v38 offset0:12 offset1:13
	v_pk_add_f32 v[14:15], v[14:15], v[48:49] neg_lo:[0,1] neg_hi:[0,1]
	s_wait_dscnt 0x0
	v_pk_mul_f32 v[48:49], v[34:35], v[46:47] op_sel:[0,1]
	v_mul_f32_e32 v46, v37, v47
	s_delay_alu instid0(VALU_DEP_2) | instskip(SKIP_2) | instid1(VALU_DEP_4)
	v_pk_fma_f32 v[50:51], v[34:35], v[44:45], v[48:49] op_sel:[0,0,1] op_sel_hi:[1,1,0] neg_lo:[0,0,1] neg_hi:[0,0,1]
	v_pk_fma_f32 v[34:35], v[34:35], v[44:45], v[48:49] op_sel:[0,0,1] op_sel_hi:[1,0,0]
	v_mov_b32_e32 v34, v37
	v_pk_fma_f32 v[46:47], v[36:37], v[16:17], v[46:47] op_sel_hi:[1,1,0] neg_lo:[0,0,1] neg_hi:[0,0,1]
	s_delay_alu instid0(VALU_DEP_3) | instskip(SKIP_1) | instid1(VALU_DEP_2)
	v_dual_mov_b32 v51, v35 :: v_dual_mov_b32 v35, v36
	v_mul_f32_e32 v36, v37, v44
	v_pk_add_f32 v[12:13], v[12:13], v[50:51] neg_lo:[0,1] neg_hi:[0,1]
	s_delay_alu instid0(VALU_DEP_2) | instskip(NEXT) | instid1(VALU_DEP_1)
	v_pk_fma_f32 v[34:35], v[34:35], v[16:17], v[36:37] op_sel_hi:[1,1,0]
	v_mov_b32_e32 v47, v35
	s_delay_alu instid0(VALU_DEP_1)
	v_pk_add_f32 v[32:33], v[32:33], v[46:47] neg_lo:[0,1] neg_hi:[0,1]
.LBB26_167:
	s_or_b32 exec_lo, exec_lo, s0
	v_lshl_add_u32 v34, v42, 3, v38
	s_barrier_signal -1
	s_barrier_wait -1
	ds_store_b64 v34, v[24:25]
	s_wait_dscnt 0x0
	s_barrier_signal -1
	s_barrier_wait -1
	ds_load_b64 v[34:35], v38 offset:64
	v_mov_b32_e32 v36, 8
	s_cmp_lt_i32 s14, 10
	s_cbranch_scc1 .LBB26_170
; %bb.168:
	v_add3_u32 v37, v39, 0, 0x48
	v_mov_b32_e32 v36, 8
	s_mov_b32 s0, 9
.LBB26_169:                             ; =>This Inner Loop Header: Depth=1
	ds_load_b64 v[44:45], v37
	s_wait_dscnt 0x1
	v_cmp_gt_f32_e32 vcc_lo, 0, v34
	v_cndmask_b32_e64 v46, v34, -v34, vcc_lo
	v_cmp_gt_f32_e32 vcc_lo, 0, v35
	v_cndmask_b32_e64 v48, v35, -v35, vcc_lo
	s_wait_dscnt 0x0
	v_cmp_gt_f32_e32 vcc_lo, 0, v44
	v_cndmask_b32_e64 v47, v44, -v44, vcc_lo
	v_cmp_gt_f32_e32 vcc_lo, 0, v45
	v_cndmask_b32_e64 v49, v45, -v45, vcc_lo
	s_delay_alu instid0(VALU_DEP_1) | instskip(NEXT) | instid1(VALU_DEP_1)
	v_pk_add_f32 v[46:47], v[46:47], v[48:49]
	v_cmp_lt_f32_e32 vcc_lo, v46, v47
	v_dual_cndmask_b32 v34, v34, v44 :: v_dual_add_nc_u32 v37, 8, v37
	v_cndmask_b32_e32 v35, v35, v45, vcc_lo
	v_cndmask_b32_e64 v36, v36, s0, vcc_lo
	s_add_co_i32 s0, s0, 1
	s_delay_alu instid0(SALU_CYCLE_1)
	s_cmp_lg_u32 s14, s0
	s_cbranch_scc1 .LBB26_169
.LBB26_170:
	s_wait_dscnt 0x0
	v_cmp_eq_f32_e32 vcc_lo, 0, v34
	v_cmp_eq_f32_e64 s0, 0, v35
	s_and_b32 s0, vcc_lo, s0
	s_delay_alu instid0(SALU_CYCLE_1) | instskip(NEXT) | instid1(SALU_CYCLE_1)
	s_and_saveexec_b32 s1, s0
	s_xor_b32 s0, exec_lo, s1
; %bb.171:
	v_cmp_ne_u32_e32 vcc_lo, 0, v41
	v_cndmask_b32_e32 v41, 9, v41, vcc_lo
; %bb.172:
	s_and_not1_saveexec_b32 s0, s0
	s_cbranch_execz .LBB26_178
; %bb.173:
	v_cmp_ngt_f32_e64 s1, |v34|, |v35|
	s_and_saveexec_b32 s15, s1
	s_delay_alu instid0(SALU_CYCLE_1)
	s_xor_b32 s1, exec_lo, s15
	s_cbranch_execz .LBB26_175
; %bb.174:
	v_div_scale_f32 v37, null, v35, v35, v34
	v_div_scale_f32 v45, vcc_lo, v34, v35, v34
	s_delay_alu instid0(VALU_DEP_2) | instskip(SKIP_1) | instid1(TRANS32_DEP_1)
	v_rcp_f32_e32 v43, v37
	v_nop
	v_fma_f32 v44, -v37, v43, 1.0
	s_delay_alu instid0(VALU_DEP_1) | instskip(NEXT) | instid1(VALU_DEP_1)
	v_fmac_f32_e32 v43, v44, v43
	v_mul_f32_e32 v44, v45, v43
	s_delay_alu instid0(VALU_DEP_1) | instskip(NEXT) | instid1(VALU_DEP_1)
	v_fma_f32 v46, -v37, v44, v45
	v_fmac_f32_e32 v44, v46, v43
	s_delay_alu instid0(VALU_DEP_1) | instskip(NEXT) | instid1(VALU_DEP_1)
	v_fma_f32 v37, -v37, v44, v45
	v_div_fmas_f32 v37, v37, v43, v44
	s_delay_alu instid0(VALU_DEP_1) | instskip(NEXT) | instid1(VALU_DEP_1)
	v_div_fixup_f32 v37, v37, v35, v34
	v_fmac_f32_e32 v35, v34, v37
	s_delay_alu instid0(VALU_DEP_1) | instskip(SKIP_1) | instid1(VALU_DEP_2)
	v_div_scale_f32 v34, null, v35, v35, 1.0
	v_div_scale_f32 v45, vcc_lo, 1.0, v35, 1.0
	v_rcp_f32_e32 v43, v34
	v_nop
	s_delay_alu instid0(TRANS32_DEP_1) | instskip(NEXT) | instid1(VALU_DEP_1)
	v_fma_f32 v44, -v34, v43, 1.0
	v_fmac_f32_e32 v43, v44, v43
	s_delay_alu instid0(VALU_DEP_1) | instskip(NEXT) | instid1(VALU_DEP_1)
	v_mul_f32_e32 v44, v45, v43
	v_fma_f32 v46, -v34, v44, v45
	s_delay_alu instid0(VALU_DEP_1) | instskip(NEXT) | instid1(VALU_DEP_1)
	v_fmac_f32_e32 v44, v46, v43
	v_fma_f32 v34, -v34, v44, v45
	s_delay_alu instid0(VALU_DEP_1) | instskip(NEXT) | instid1(VALU_DEP_1)
	v_div_fmas_f32 v34, v34, v43, v44
	v_div_fixup_f32 v35, v34, v35, 1.0
	s_delay_alu instid0(VALU_DEP_1)
	v_mul_f32_e32 v34, v37, v35
	v_xor_b32_e32 v35, 0x80000000, v35
.LBB26_175:
	s_and_not1_saveexec_b32 s1, s1
	s_cbranch_execz .LBB26_177
; %bb.176:
	s_delay_alu instid0(VALU_DEP_1) | instskip(SKIP_1) | instid1(VALU_DEP_2)
	v_div_scale_f32 v37, null, v34, v34, v35
	v_div_scale_f32 v45, vcc_lo, v35, v34, v35
	v_rcp_f32_e32 v43, v37
	v_nop
	s_delay_alu instid0(TRANS32_DEP_1) | instskip(NEXT) | instid1(VALU_DEP_1)
	v_fma_f32 v44, -v37, v43, 1.0
	v_fmac_f32_e32 v43, v44, v43
	s_delay_alu instid0(VALU_DEP_1) | instskip(NEXT) | instid1(VALU_DEP_1)
	v_mul_f32_e32 v44, v45, v43
	v_fma_f32 v46, -v37, v44, v45
	s_delay_alu instid0(VALU_DEP_1) | instskip(NEXT) | instid1(VALU_DEP_1)
	v_fmac_f32_e32 v44, v46, v43
	v_fma_f32 v37, -v37, v44, v45
	s_delay_alu instid0(VALU_DEP_1) | instskip(NEXT) | instid1(VALU_DEP_1)
	v_div_fmas_f32 v37, v37, v43, v44
	v_div_fixup_f32 v37, v37, v34, v35
	s_delay_alu instid0(VALU_DEP_1) | instskip(NEXT) | instid1(VALU_DEP_1)
	v_fmac_f32_e32 v34, v35, v37
	v_div_scale_f32 v35, null, v34, v34, 1.0
	s_delay_alu instid0(VALU_DEP_1) | instskip(SKIP_1) | instid1(TRANS32_DEP_1)
	v_rcp_f32_e32 v43, v35
	v_nop
	v_fma_f32 v44, -v35, v43, 1.0
	s_delay_alu instid0(VALU_DEP_1) | instskip(SKIP_1) | instid1(VALU_DEP_1)
	v_fmac_f32_e32 v43, v44, v43
	v_div_scale_f32 v44, vcc_lo, 1.0, v34, 1.0
	v_mul_f32_e32 v45, v44, v43
	s_delay_alu instid0(VALU_DEP_1) | instskip(NEXT) | instid1(VALU_DEP_1)
	v_fma_f32 v46, -v35, v45, v44
	v_fmac_f32_e32 v45, v46, v43
	s_delay_alu instid0(VALU_DEP_1) | instskip(NEXT) | instid1(VALU_DEP_1)
	v_fma_f32 v35, -v35, v45, v44
	v_div_fmas_f32 v35, v35, v43, v45
	s_delay_alu instid0(VALU_DEP_1) | instskip(NEXT) | instid1(VALU_DEP_1)
	v_div_fixup_f32 v34, v35, v34, 1.0
	v_mul_f32_e64 v35, v37, -v34
.LBB26_177:
	s_or_b32 exec_lo, exec_lo, s1
.LBB26_178:
	s_delay_alu instid0(SALU_CYCLE_1) | instskip(NEXT) | instid1(SALU_CYCLE_1)
	s_or_b32 exec_lo, exec_lo, s0
	s_mov_b32 s0, exec_lo
	v_cmpx_ne_u32_e64 v42, v36
	s_xor_b32 s0, exec_lo, s0
	s_cbranch_execz .LBB26_184
; %bb.179:
	s_mov_b32 s1, exec_lo
	v_cmpx_eq_u32_e32 8, v42
	s_cbranch_execz .LBB26_183
; %bb.180:
	v_cmp_ne_u32_e32 vcc_lo, 8, v36
	s_xor_b32 s15, s12, -1
	s_delay_alu instid0(SALU_CYCLE_1) | instskip(NEXT) | instid1(SALU_CYCLE_1)
	s_and_b32 s16, s15, vcc_lo
	s_and_saveexec_b32 s15, s16
	s_cbranch_execz .LBB26_182
; %bb.181:
	v_ashrrev_i32_e32 v37, 31, v36
	s_delay_alu instid0(VALU_DEP_1)
	v_lshl_add_u64 v[42:43], v[36:37], 2, v[26:27]
	s_clause 0x1
	global_load_b32 v37, v[42:43], off
	global_load_b32 v40, v[26:27], off offset:32
	s_wait_loadcnt 0x1
	global_store_b32 v[26:27], v37, off offset:32
	s_wait_loadcnt 0x0
	global_store_b32 v[42:43], v40, off
.LBB26_182:
	s_wait_xcnt 0x0
	s_or_b32 exec_lo, exec_lo, s15
	v_dual_mov_b32 v42, v36 :: v_dual_mov_b32 v40, v36
.LBB26_183:
	s_or_b32 exec_lo, exec_lo, s1
.LBB26_184:
	s_and_not1_saveexec_b32 s0, s0
	s_cbranch_execz .LBB26_186
; %bb.185:
	v_mov_b32_e32 v42, 8
	ds_store_2addr_b64 v38, v[4:5], v[22:23] offset0:9 offset1:10
	ds_store_2addr_b64 v38, v[14:15], v[12:13] offset0:11 offset1:12
	ds_store_b64 v38, v[32:33] offset:104
.LBB26_186:
	s_or_b32 exec_lo, exec_lo, s0
	s_delay_alu instid0(SALU_CYCLE_1)
	s_mov_b32 s0, exec_lo
	s_wait_storecnt_dscnt 0x0
	s_barrier_signal -1
	s_barrier_wait -1
	v_cmpx_lt_i32_e32 8, v42
	s_cbranch_execz .LBB26_188
; %bb.187:
	v_pk_mul_f32 v[36:37], v[34:35], v[24:25] op_sel:[1,1] op_sel_hi:[0,1]
	s_delay_alu instid0(VALU_DEP_1)
	v_pk_fma_f32 v[44:45], v[34:35], v[24:25], v[36:37] op_sel_hi:[1,0,1] neg_lo:[0,0,1] neg_hi:[0,0,1]
	v_pk_fma_f32 v[46:47], v[34:35], v[24:25], v[36:37] op_sel_hi:[1,0,1]
	ds_load_2addr_b64 v[34:37], v38 offset0:9 offset1:10
	v_dual_mov_b32 v24, v44 :: v_dual_mov_b32 v25, v47
	s_wait_dscnt 0x0
	v_pk_mul_f32 v[48:49], v[34:35], v[46:47] op_sel:[0,1]
	s_delay_alu instid0(VALU_DEP_1) | instskip(SKIP_1) | instid1(VALU_DEP_1)
	v_pk_fma_f32 v[50:51], v[34:35], v[44:45], v[48:49] op_sel:[0,0,1] op_sel_hi:[1,1,0] neg_lo:[0,0,1] neg_hi:[0,0,1]
	v_pk_fma_f32 v[34:35], v[34:35], v[44:45], v[48:49] op_sel:[0,0,1] op_sel_hi:[1,0,0]
	v_mov_b32_e32 v51, v35
	v_pk_mul_f32 v[34:35], v[36:37], v[46:47] op_sel:[0,1]
	s_delay_alu instid0(VALU_DEP_1) | instskip(SKIP_1) | instid1(VALU_DEP_1)
	v_pk_fma_f32 v[48:49], v[36:37], v[44:45], v[34:35] op_sel:[0,0,1] op_sel_hi:[1,1,0] neg_lo:[0,0,1] neg_hi:[0,0,1]
	v_pk_fma_f32 v[34:35], v[36:37], v[44:45], v[34:35] op_sel:[0,0,1] op_sel_hi:[1,0,0]
	v_mov_b32_e32 v49, v35
	ds_load_2addr_b64 v[34:37], v38 offset0:11 offset1:12
	v_pk_add_f32 v[4:5], v[4:5], v[50:51] neg_lo:[0,1] neg_hi:[0,1]
	v_pk_add_f32 v[22:23], v[22:23], v[48:49] neg_lo:[0,1] neg_hi:[0,1]
	s_wait_dscnt 0x0
	v_pk_mul_f32 v[48:49], v[34:35], v[46:47] op_sel:[0,1]
	s_delay_alu instid0(VALU_DEP_1) | instskip(SKIP_2) | instid1(VALU_DEP_2)
	v_pk_fma_f32 v[50:51], v[34:35], v[44:45], v[48:49] op_sel:[0,0,1] op_sel_hi:[1,1,0] neg_lo:[0,0,1] neg_hi:[0,0,1]
	v_pk_fma_f32 v[34:35], v[34:35], v[44:45], v[48:49] op_sel:[0,0,1] op_sel_hi:[1,0,0]
	v_dual_mul_f32 v48, v37, v47 :: v_dual_mov_b32 v34, v37
	v_dual_mov_b32 v51, v35 :: v_dual_mov_b32 v35, v36
	s_delay_alu instid0(VALU_DEP_2) | instskip(SKIP_1) | instid1(VALU_DEP_3)
	v_pk_fma_f32 v[48:49], v[36:37], v[24:25], v[48:49] op_sel_hi:[1,1,0] neg_lo:[0,0,1] neg_hi:[0,0,1]
	v_mul_f32_e32 v36, v37, v44
	v_pk_add_f32 v[14:15], v[14:15], v[50:51] neg_lo:[0,1] neg_hi:[0,1]
	s_delay_alu instid0(VALU_DEP_2) | instskip(NEXT) | instid1(VALU_DEP_1)
	v_pk_fma_f32 v[34:35], v[34:35], v[24:25], v[36:37] op_sel_hi:[1,1,0]
	v_mov_b32_e32 v49, v35
	ds_load_b64 v[34:35], v38 offset:104
	v_pk_add_f32 v[12:13], v[12:13], v[48:49] neg_lo:[0,1] neg_hi:[0,1]
	s_wait_dscnt 0x0
	v_pk_mul_f32 v[36:37], v[34:35], v[46:47] op_sel:[0,1]
	s_delay_alu instid0(VALU_DEP_1) | instskip(SKIP_1) | instid1(VALU_DEP_1)
	v_pk_fma_f32 v[46:47], v[34:35], v[44:45], v[36:37] op_sel:[0,0,1] op_sel_hi:[1,1,0] neg_lo:[0,0,1] neg_hi:[0,0,1]
	v_pk_fma_f32 v[34:35], v[34:35], v[44:45], v[36:37] op_sel:[0,0,1] op_sel_hi:[1,0,0]
	v_mov_b32_e32 v47, v35
	s_delay_alu instid0(VALU_DEP_1)
	v_pk_add_f32 v[32:33], v[32:33], v[46:47] neg_lo:[0,1] neg_hi:[0,1]
.LBB26_188:
	s_or_b32 exec_lo, exec_lo, s0
	v_lshl_add_u32 v34, v42, 3, v38
	s_barrier_signal -1
	s_barrier_wait -1
	ds_store_b64 v34, v[4:5]
	s_wait_dscnt 0x0
	s_barrier_signal -1
	s_barrier_wait -1
	ds_load_b64 v[34:35], v38 offset:72
	v_mov_b32_e32 v36, 9
	s_cmp_lt_i32 s14, 11
	s_cbranch_scc1 .LBB26_191
; %bb.189:
	v_add3_u32 v37, v39, 0, 0x50
	v_mov_b32_e32 v36, 9
	s_mov_b32 s0, 10
.LBB26_190:                             ; =>This Inner Loop Header: Depth=1
	ds_load_b64 v[44:45], v37
	s_wait_dscnt 0x1
	v_cmp_gt_f32_e32 vcc_lo, 0, v34
	v_cndmask_b32_e64 v46, v34, -v34, vcc_lo
	v_cmp_gt_f32_e32 vcc_lo, 0, v35
	v_cndmask_b32_e64 v48, v35, -v35, vcc_lo
	s_wait_dscnt 0x0
	v_cmp_gt_f32_e32 vcc_lo, 0, v44
	v_cndmask_b32_e64 v47, v44, -v44, vcc_lo
	v_cmp_gt_f32_e32 vcc_lo, 0, v45
	v_cndmask_b32_e64 v49, v45, -v45, vcc_lo
	s_delay_alu instid0(VALU_DEP_1) | instskip(NEXT) | instid1(VALU_DEP_1)
	v_pk_add_f32 v[46:47], v[46:47], v[48:49]
	v_cmp_lt_f32_e32 vcc_lo, v46, v47
	v_dual_cndmask_b32 v34, v34, v44 :: v_dual_add_nc_u32 v37, 8, v37
	v_cndmask_b32_e32 v35, v35, v45, vcc_lo
	v_cndmask_b32_e64 v36, v36, s0, vcc_lo
	s_add_co_i32 s0, s0, 1
	s_delay_alu instid0(SALU_CYCLE_1)
	s_cmp_lg_u32 s14, s0
	s_cbranch_scc1 .LBB26_190
.LBB26_191:
	s_wait_dscnt 0x0
	v_cmp_eq_f32_e32 vcc_lo, 0, v34
	v_cmp_eq_f32_e64 s0, 0, v35
	s_and_b32 s0, vcc_lo, s0
	s_delay_alu instid0(SALU_CYCLE_1) | instskip(NEXT) | instid1(SALU_CYCLE_1)
	s_and_saveexec_b32 s1, s0
	s_xor_b32 s0, exec_lo, s1
; %bb.192:
	v_cmp_ne_u32_e32 vcc_lo, 0, v41
	v_cndmask_b32_e32 v41, 10, v41, vcc_lo
; %bb.193:
	s_and_not1_saveexec_b32 s0, s0
	s_cbranch_execz .LBB26_199
; %bb.194:
	v_cmp_ngt_f32_e64 s1, |v34|, |v35|
	s_and_saveexec_b32 s15, s1
	s_delay_alu instid0(SALU_CYCLE_1)
	s_xor_b32 s1, exec_lo, s15
	s_cbranch_execz .LBB26_196
; %bb.195:
	v_div_scale_f32 v37, null, v35, v35, v34
	v_div_scale_f32 v45, vcc_lo, v34, v35, v34
	s_delay_alu instid0(VALU_DEP_2) | instskip(SKIP_1) | instid1(TRANS32_DEP_1)
	v_rcp_f32_e32 v43, v37
	v_nop
	v_fma_f32 v44, -v37, v43, 1.0
	s_delay_alu instid0(VALU_DEP_1) | instskip(NEXT) | instid1(VALU_DEP_1)
	v_fmac_f32_e32 v43, v44, v43
	v_mul_f32_e32 v44, v45, v43
	s_delay_alu instid0(VALU_DEP_1) | instskip(NEXT) | instid1(VALU_DEP_1)
	v_fma_f32 v46, -v37, v44, v45
	v_fmac_f32_e32 v44, v46, v43
	s_delay_alu instid0(VALU_DEP_1) | instskip(NEXT) | instid1(VALU_DEP_1)
	v_fma_f32 v37, -v37, v44, v45
	v_div_fmas_f32 v37, v37, v43, v44
	s_delay_alu instid0(VALU_DEP_1) | instskip(NEXT) | instid1(VALU_DEP_1)
	v_div_fixup_f32 v37, v37, v35, v34
	v_fmac_f32_e32 v35, v34, v37
	s_delay_alu instid0(VALU_DEP_1) | instskip(SKIP_1) | instid1(VALU_DEP_2)
	v_div_scale_f32 v34, null, v35, v35, 1.0
	v_div_scale_f32 v45, vcc_lo, 1.0, v35, 1.0
	v_rcp_f32_e32 v43, v34
	v_nop
	s_delay_alu instid0(TRANS32_DEP_1) | instskip(NEXT) | instid1(VALU_DEP_1)
	v_fma_f32 v44, -v34, v43, 1.0
	v_fmac_f32_e32 v43, v44, v43
	s_delay_alu instid0(VALU_DEP_1) | instskip(NEXT) | instid1(VALU_DEP_1)
	v_mul_f32_e32 v44, v45, v43
	v_fma_f32 v46, -v34, v44, v45
	s_delay_alu instid0(VALU_DEP_1) | instskip(NEXT) | instid1(VALU_DEP_1)
	v_fmac_f32_e32 v44, v46, v43
	v_fma_f32 v34, -v34, v44, v45
	s_delay_alu instid0(VALU_DEP_1) | instskip(NEXT) | instid1(VALU_DEP_1)
	v_div_fmas_f32 v34, v34, v43, v44
	v_div_fixup_f32 v35, v34, v35, 1.0
	s_delay_alu instid0(VALU_DEP_1)
	v_mul_f32_e32 v34, v37, v35
	v_xor_b32_e32 v35, 0x80000000, v35
.LBB26_196:
	s_and_not1_saveexec_b32 s1, s1
	s_cbranch_execz .LBB26_198
; %bb.197:
	s_delay_alu instid0(VALU_DEP_1) | instskip(SKIP_1) | instid1(VALU_DEP_2)
	v_div_scale_f32 v37, null, v34, v34, v35
	v_div_scale_f32 v45, vcc_lo, v35, v34, v35
	v_rcp_f32_e32 v43, v37
	v_nop
	s_delay_alu instid0(TRANS32_DEP_1) | instskip(NEXT) | instid1(VALU_DEP_1)
	v_fma_f32 v44, -v37, v43, 1.0
	v_fmac_f32_e32 v43, v44, v43
	s_delay_alu instid0(VALU_DEP_1) | instskip(NEXT) | instid1(VALU_DEP_1)
	v_mul_f32_e32 v44, v45, v43
	v_fma_f32 v46, -v37, v44, v45
	s_delay_alu instid0(VALU_DEP_1) | instskip(NEXT) | instid1(VALU_DEP_1)
	v_fmac_f32_e32 v44, v46, v43
	v_fma_f32 v37, -v37, v44, v45
	s_delay_alu instid0(VALU_DEP_1) | instskip(NEXT) | instid1(VALU_DEP_1)
	v_div_fmas_f32 v37, v37, v43, v44
	v_div_fixup_f32 v37, v37, v34, v35
	s_delay_alu instid0(VALU_DEP_1) | instskip(NEXT) | instid1(VALU_DEP_1)
	v_fmac_f32_e32 v34, v35, v37
	v_div_scale_f32 v35, null, v34, v34, 1.0
	s_delay_alu instid0(VALU_DEP_1) | instskip(SKIP_1) | instid1(TRANS32_DEP_1)
	v_rcp_f32_e32 v43, v35
	v_nop
	v_fma_f32 v44, -v35, v43, 1.0
	s_delay_alu instid0(VALU_DEP_1) | instskip(SKIP_1) | instid1(VALU_DEP_1)
	v_fmac_f32_e32 v43, v44, v43
	v_div_scale_f32 v44, vcc_lo, 1.0, v34, 1.0
	v_mul_f32_e32 v45, v44, v43
	s_delay_alu instid0(VALU_DEP_1) | instskip(NEXT) | instid1(VALU_DEP_1)
	v_fma_f32 v46, -v35, v45, v44
	v_fmac_f32_e32 v45, v46, v43
	s_delay_alu instid0(VALU_DEP_1) | instskip(NEXT) | instid1(VALU_DEP_1)
	v_fma_f32 v35, -v35, v45, v44
	v_div_fmas_f32 v35, v35, v43, v45
	s_delay_alu instid0(VALU_DEP_1) | instskip(NEXT) | instid1(VALU_DEP_1)
	v_div_fixup_f32 v34, v35, v34, 1.0
	v_mul_f32_e64 v35, v37, -v34
.LBB26_198:
	s_or_b32 exec_lo, exec_lo, s1
.LBB26_199:
	s_delay_alu instid0(SALU_CYCLE_1) | instskip(NEXT) | instid1(SALU_CYCLE_1)
	s_or_b32 exec_lo, exec_lo, s0
	s_mov_b32 s0, exec_lo
	v_cmpx_ne_u32_e64 v42, v36
	s_xor_b32 s0, exec_lo, s0
	s_cbranch_execz .LBB26_205
; %bb.200:
	s_mov_b32 s1, exec_lo
	v_cmpx_eq_u32_e32 9, v42
	s_cbranch_execz .LBB26_204
; %bb.201:
	v_cmp_ne_u32_e32 vcc_lo, 9, v36
	s_xor_b32 s15, s12, -1
	s_delay_alu instid0(SALU_CYCLE_1) | instskip(NEXT) | instid1(SALU_CYCLE_1)
	s_and_b32 s16, s15, vcc_lo
	s_and_saveexec_b32 s15, s16
	s_cbranch_execz .LBB26_203
; %bb.202:
	v_ashrrev_i32_e32 v37, 31, v36
	s_delay_alu instid0(VALU_DEP_1)
	v_lshl_add_u64 v[42:43], v[36:37], 2, v[26:27]
	s_clause 0x1
	global_load_b32 v37, v[42:43], off
	global_load_b32 v40, v[26:27], off offset:36
	s_wait_loadcnt 0x1
	global_store_b32 v[26:27], v37, off offset:36
	s_wait_loadcnt 0x0
	global_store_b32 v[42:43], v40, off
.LBB26_203:
	s_wait_xcnt 0x0
	s_or_b32 exec_lo, exec_lo, s15
	v_dual_mov_b32 v42, v36 :: v_dual_mov_b32 v40, v36
.LBB26_204:
	s_or_b32 exec_lo, exec_lo, s1
.LBB26_205:
	s_and_not1_saveexec_b32 s0, s0
	s_cbranch_execz .LBB26_207
; %bb.206:
	v_dual_mov_b32 v36, v22 :: v_dual_mov_b32 v37, v23
	v_dual_mov_b32 v44, v14 :: v_dual_mov_b32 v45, v15
	;; [unrolled: 1-line block ×3, first 2 shown]
	v_mov_b32_e32 v47, v13
	ds_store_2addr_b64 v38, v[36:37], v[44:45] offset0:10 offset1:11
	ds_store_2addr_b64 v38, v[46:47], v[32:33] offset0:12 offset1:13
.LBB26_207:
	s_or_b32 exec_lo, exec_lo, s0
	s_delay_alu instid0(SALU_CYCLE_1)
	s_mov_b32 s0, exec_lo
	s_wait_storecnt_dscnt 0x0
	s_barrier_signal -1
	s_barrier_wait -1
	v_cmpx_lt_i32_e32 9, v42
	s_cbranch_execz .LBB26_209
; %bb.208:
	ds_load_2addr_b64 v[44:47], v38 offset0:10 offset1:11
	ds_load_2addr_b64 v[48:51], v38 offset0:12 offset1:13
	v_pk_mul_f32 v[36:37], v[34:35], v[4:5] op_sel:[1,1] op_sel_hi:[0,1]
	s_delay_alu instid0(VALU_DEP_1) | instskip(SKIP_1) | instid1(VALU_DEP_1)
	v_pk_fma_f32 v[52:53], v[34:35], v[4:5], v[36:37] op_sel_hi:[1,0,1] neg_lo:[0,0,1] neg_hi:[0,0,1]
	v_pk_fma_f32 v[34:35], v[34:35], v[4:5], v[36:37] op_sel_hi:[1,0,1]
	v_dual_mov_b32 v4, v52 :: v_dual_mov_b32 v5, v35
	s_wait_dscnt 0x1
	s_delay_alu instid0(VALU_DEP_2)
	v_pk_mul_f32 v[36:37], v[44:45], v[34:35] op_sel:[0,1]
	s_wait_dscnt 0x0
	v_mov_b32_e32 v54, v51
	v_pk_mul_f32 v[56:57], v[46:47], v[34:35] op_sel:[0,1]
	v_pk_mul_f32 v[58:59], v[48:49], v[34:35] op_sel:[0,1]
	v_pk_fma_f32 v[60:61], v[44:45], v[52:53], v[36:37] op_sel:[0,0,1] op_sel_hi:[1,1,0] neg_lo:[0,0,1] neg_hi:[0,0,1]
	v_pk_fma_f32 v[36:37], v[44:45], v[52:53], v[36:37] op_sel:[0,0,1] op_sel_hi:[1,0,0]
	s_delay_alu instid0(VALU_DEP_1) | instskip(NEXT) | instid1(VALU_DEP_1)
	v_dual_mov_b32 v55, v50 :: v_dual_mov_b32 v61, v37
	v_pk_mul_f32 v[44:45], v[54:55], v[34:35] op_sel:[0,1]
	v_pk_fma_f32 v[54:55], v[46:47], v[52:53], v[56:57] op_sel:[0,0,1] op_sel_hi:[1,0,0]
	v_pk_fma_f32 v[46:47], v[46:47], v[52:53], v[56:57] op_sel:[0,0,1] op_sel_hi:[1,1,0] neg_lo:[0,0,1] neg_hi:[0,0,1]
	v_pk_fma_f32 v[56:57], v[48:49], v[52:53], v[58:59] op_sel:[0,0,1] op_sel_hi:[1,0,0]
	v_pk_fma_f32 v[48:49], v[48:49], v[52:53], v[58:59] op_sel:[0,0,1] op_sel_hi:[1,1,0] neg_lo:[0,0,1] neg_hi:[0,0,1]
	v_pk_fma_f32 v[36:37], v[50:51], v[52:53], v[44:45] op_sel_hi:[1,0,1]
	v_pk_fma_f32 v[44:45], v[50:51], v[52:53], v[44:45] neg_lo:[0,0,1] neg_hi:[0,0,1]
	s_delay_alu instid0(VALU_DEP_4) | instskip(SKIP_1) | instid1(VALU_DEP_4)
	v_dual_mov_b32 v47, v55 :: v_dual_mov_b32 v49, v57
	v_pk_add_f32 v[22:23], v[22:23], v[60:61] neg_lo:[0,1] neg_hi:[0,1]
	v_mov_b32_e32 v45, v37
	s_delay_alu instid0(VALU_DEP_3) | instskip(NEXT) | instid1(VALU_DEP_4)
	v_pk_add_f32 v[14:15], v[14:15], v[46:47] neg_lo:[0,1] neg_hi:[0,1]
	v_pk_add_f32 v[12:13], v[12:13], v[48:49] neg_lo:[0,1] neg_hi:[0,1]
	s_delay_alu instid0(VALU_DEP_3)
	v_pk_add_f32 v[32:33], v[32:33], v[44:45] neg_lo:[0,1] neg_hi:[0,1]
.LBB26_209:
	s_or_b32 exec_lo, exec_lo, s0
	v_lshl_add_u32 v34, v42, 3, v38
	s_barrier_signal -1
	s_barrier_wait -1
	ds_store_b64 v34, v[22:23]
	s_wait_dscnt 0x0
	s_barrier_signal -1
	s_barrier_wait -1
	ds_load_b64 v[34:35], v38 offset:80
	v_mov_b32_e32 v36, 10
	s_cmp_lt_i32 s14, 12
	s_cbranch_scc1 .LBB26_212
; %bb.210:
	v_add3_u32 v37, v39, 0, 0x58
	v_mov_b32_e32 v36, 10
	s_mov_b32 s0, 11
.LBB26_211:                             ; =>This Inner Loop Header: Depth=1
	ds_load_b64 v[44:45], v37
	s_wait_dscnt 0x1
	v_cmp_gt_f32_e32 vcc_lo, 0, v34
	v_cndmask_b32_e64 v46, v34, -v34, vcc_lo
	v_cmp_gt_f32_e32 vcc_lo, 0, v35
	v_cndmask_b32_e64 v48, v35, -v35, vcc_lo
	s_wait_dscnt 0x0
	v_cmp_gt_f32_e32 vcc_lo, 0, v44
	v_cndmask_b32_e64 v47, v44, -v44, vcc_lo
	v_cmp_gt_f32_e32 vcc_lo, 0, v45
	v_cndmask_b32_e64 v49, v45, -v45, vcc_lo
	s_delay_alu instid0(VALU_DEP_1) | instskip(NEXT) | instid1(VALU_DEP_1)
	v_pk_add_f32 v[46:47], v[46:47], v[48:49]
	v_cmp_lt_f32_e32 vcc_lo, v46, v47
	v_dual_cndmask_b32 v34, v34, v44 :: v_dual_add_nc_u32 v37, 8, v37
	v_cndmask_b32_e32 v35, v35, v45, vcc_lo
	v_cndmask_b32_e64 v36, v36, s0, vcc_lo
	s_add_co_i32 s0, s0, 1
	s_delay_alu instid0(SALU_CYCLE_1)
	s_cmp_lg_u32 s14, s0
	s_cbranch_scc1 .LBB26_211
.LBB26_212:
	s_wait_dscnt 0x0
	v_cmp_eq_f32_e32 vcc_lo, 0, v34
	v_cmp_eq_f32_e64 s0, 0, v35
	s_and_b32 s0, vcc_lo, s0
	s_delay_alu instid0(SALU_CYCLE_1) | instskip(NEXT) | instid1(SALU_CYCLE_1)
	s_and_saveexec_b32 s1, s0
	s_xor_b32 s0, exec_lo, s1
; %bb.213:
	v_cmp_ne_u32_e32 vcc_lo, 0, v41
	v_cndmask_b32_e32 v41, 11, v41, vcc_lo
; %bb.214:
	s_and_not1_saveexec_b32 s0, s0
	s_cbranch_execz .LBB26_220
; %bb.215:
	v_cmp_ngt_f32_e64 s1, |v34|, |v35|
	s_and_saveexec_b32 s15, s1
	s_delay_alu instid0(SALU_CYCLE_1)
	s_xor_b32 s1, exec_lo, s15
	s_cbranch_execz .LBB26_217
; %bb.216:
	v_div_scale_f32 v37, null, v35, v35, v34
	v_div_scale_f32 v45, vcc_lo, v34, v35, v34
	s_delay_alu instid0(VALU_DEP_2) | instskip(SKIP_1) | instid1(TRANS32_DEP_1)
	v_rcp_f32_e32 v43, v37
	v_nop
	v_fma_f32 v44, -v37, v43, 1.0
	s_delay_alu instid0(VALU_DEP_1) | instskip(NEXT) | instid1(VALU_DEP_1)
	v_fmac_f32_e32 v43, v44, v43
	v_mul_f32_e32 v44, v45, v43
	s_delay_alu instid0(VALU_DEP_1) | instskip(NEXT) | instid1(VALU_DEP_1)
	v_fma_f32 v46, -v37, v44, v45
	v_fmac_f32_e32 v44, v46, v43
	s_delay_alu instid0(VALU_DEP_1) | instskip(NEXT) | instid1(VALU_DEP_1)
	v_fma_f32 v37, -v37, v44, v45
	v_div_fmas_f32 v37, v37, v43, v44
	s_delay_alu instid0(VALU_DEP_1) | instskip(NEXT) | instid1(VALU_DEP_1)
	v_div_fixup_f32 v37, v37, v35, v34
	v_fmac_f32_e32 v35, v34, v37
	s_delay_alu instid0(VALU_DEP_1) | instskip(SKIP_1) | instid1(VALU_DEP_2)
	v_div_scale_f32 v34, null, v35, v35, 1.0
	v_div_scale_f32 v45, vcc_lo, 1.0, v35, 1.0
	v_rcp_f32_e32 v43, v34
	v_nop
	s_delay_alu instid0(TRANS32_DEP_1) | instskip(NEXT) | instid1(VALU_DEP_1)
	v_fma_f32 v44, -v34, v43, 1.0
	v_fmac_f32_e32 v43, v44, v43
	s_delay_alu instid0(VALU_DEP_1) | instskip(NEXT) | instid1(VALU_DEP_1)
	v_mul_f32_e32 v44, v45, v43
	v_fma_f32 v46, -v34, v44, v45
	s_delay_alu instid0(VALU_DEP_1) | instskip(NEXT) | instid1(VALU_DEP_1)
	v_fmac_f32_e32 v44, v46, v43
	v_fma_f32 v34, -v34, v44, v45
	s_delay_alu instid0(VALU_DEP_1) | instskip(NEXT) | instid1(VALU_DEP_1)
	v_div_fmas_f32 v34, v34, v43, v44
	v_div_fixup_f32 v35, v34, v35, 1.0
	s_delay_alu instid0(VALU_DEP_1)
	v_mul_f32_e32 v34, v37, v35
	v_xor_b32_e32 v35, 0x80000000, v35
.LBB26_217:
	s_and_not1_saveexec_b32 s1, s1
	s_cbranch_execz .LBB26_219
; %bb.218:
	s_delay_alu instid0(VALU_DEP_1) | instskip(SKIP_1) | instid1(VALU_DEP_2)
	v_div_scale_f32 v37, null, v34, v34, v35
	v_div_scale_f32 v45, vcc_lo, v35, v34, v35
	v_rcp_f32_e32 v43, v37
	v_nop
	s_delay_alu instid0(TRANS32_DEP_1) | instskip(NEXT) | instid1(VALU_DEP_1)
	v_fma_f32 v44, -v37, v43, 1.0
	v_fmac_f32_e32 v43, v44, v43
	s_delay_alu instid0(VALU_DEP_1) | instskip(NEXT) | instid1(VALU_DEP_1)
	v_mul_f32_e32 v44, v45, v43
	v_fma_f32 v46, -v37, v44, v45
	s_delay_alu instid0(VALU_DEP_1) | instskip(NEXT) | instid1(VALU_DEP_1)
	v_fmac_f32_e32 v44, v46, v43
	v_fma_f32 v37, -v37, v44, v45
	s_delay_alu instid0(VALU_DEP_1) | instskip(NEXT) | instid1(VALU_DEP_1)
	v_div_fmas_f32 v37, v37, v43, v44
	v_div_fixup_f32 v37, v37, v34, v35
	s_delay_alu instid0(VALU_DEP_1) | instskip(NEXT) | instid1(VALU_DEP_1)
	v_fmac_f32_e32 v34, v35, v37
	v_div_scale_f32 v35, null, v34, v34, 1.0
	s_delay_alu instid0(VALU_DEP_1) | instskip(SKIP_1) | instid1(TRANS32_DEP_1)
	v_rcp_f32_e32 v43, v35
	v_nop
	v_fma_f32 v44, -v35, v43, 1.0
	s_delay_alu instid0(VALU_DEP_1) | instskip(SKIP_1) | instid1(VALU_DEP_1)
	v_fmac_f32_e32 v43, v44, v43
	v_div_scale_f32 v44, vcc_lo, 1.0, v34, 1.0
	v_mul_f32_e32 v45, v44, v43
	s_delay_alu instid0(VALU_DEP_1) | instskip(NEXT) | instid1(VALU_DEP_1)
	v_fma_f32 v46, -v35, v45, v44
	v_fmac_f32_e32 v45, v46, v43
	s_delay_alu instid0(VALU_DEP_1) | instskip(NEXT) | instid1(VALU_DEP_1)
	v_fma_f32 v35, -v35, v45, v44
	v_div_fmas_f32 v35, v35, v43, v45
	s_delay_alu instid0(VALU_DEP_1) | instskip(NEXT) | instid1(VALU_DEP_1)
	v_div_fixup_f32 v34, v35, v34, 1.0
	v_mul_f32_e64 v35, v37, -v34
.LBB26_219:
	s_or_b32 exec_lo, exec_lo, s1
.LBB26_220:
	s_delay_alu instid0(SALU_CYCLE_1) | instskip(NEXT) | instid1(SALU_CYCLE_1)
	s_or_b32 exec_lo, exec_lo, s0
	s_mov_b32 s0, exec_lo
	v_cmpx_ne_u32_e64 v42, v36
	s_xor_b32 s0, exec_lo, s0
	s_cbranch_execz .LBB26_226
; %bb.221:
	s_mov_b32 s1, exec_lo
	v_cmpx_eq_u32_e32 10, v42
	s_cbranch_execz .LBB26_225
; %bb.222:
	v_cmp_ne_u32_e32 vcc_lo, 10, v36
	s_xor_b32 s15, s12, -1
	s_delay_alu instid0(SALU_CYCLE_1) | instskip(NEXT) | instid1(SALU_CYCLE_1)
	s_and_b32 s16, s15, vcc_lo
	s_and_saveexec_b32 s15, s16
	s_cbranch_execz .LBB26_224
; %bb.223:
	v_ashrrev_i32_e32 v37, 31, v36
	s_delay_alu instid0(VALU_DEP_1)
	v_lshl_add_u64 v[42:43], v[36:37], 2, v[26:27]
	s_clause 0x1
	global_load_b32 v37, v[42:43], off
	global_load_b32 v40, v[26:27], off offset:40
	s_wait_loadcnt 0x1
	global_store_b32 v[26:27], v37, off offset:40
	s_wait_loadcnt 0x0
	global_store_b32 v[42:43], v40, off
.LBB26_224:
	s_wait_xcnt 0x0
	s_or_b32 exec_lo, exec_lo, s15
	v_dual_mov_b32 v42, v36 :: v_dual_mov_b32 v40, v36
.LBB26_225:
	s_or_b32 exec_lo, exec_lo, s1
.LBB26_226:
	s_and_not1_saveexec_b32 s0, s0
	s_cbranch_execz .LBB26_228
; %bb.227:
	v_mov_b32_e32 v42, 10
	ds_store_2addr_b64 v38, v[14:15], v[12:13] offset0:11 offset1:12
	ds_store_b64 v38, v[32:33] offset:104
.LBB26_228:
	s_or_b32 exec_lo, exec_lo, s0
	s_delay_alu instid0(SALU_CYCLE_1)
	s_mov_b32 s0, exec_lo
	s_wait_storecnt_dscnt 0x0
	s_barrier_signal -1
	s_barrier_wait -1
	v_cmpx_lt_i32_e32 10, v42
	s_cbranch_execz .LBB26_230
; %bb.229:
	ds_load_2addr_b64 v[44:47], v38 offset0:11 offset1:12
	ds_load_b64 v[36:37], v38 offset:104
	v_pk_mul_f32 v[48:49], v[34:35], v[22:23] op_sel:[1,1] op_sel_hi:[0,1]
	s_delay_alu instid0(VALU_DEP_1) | instskip(SKIP_2) | instid1(VALU_DEP_2)
	v_pk_fma_f32 v[50:51], v[34:35], v[22:23], v[48:49] op_sel_hi:[1,0,1]
	v_pk_fma_f32 v[22:23], v[34:35], v[22:23], v[48:49] op_sel_hi:[1,0,1] neg_lo:[0,0,1] neg_hi:[0,0,1]
	s_wait_dscnt 0x1
	v_pk_mul_f32 v[34:35], v[44:45], v[50:51] op_sel:[0,1]
	v_pk_mul_f32 v[48:49], v[46:47], v[50:51] op_sel:[0,1]
	s_wait_dscnt 0x0
	v_pk_mul_f32 v[52:53], v[36:37], v[50:51] op_sel:[1,1] op_sel_hi:[0,1]
	s_delay_alu instid0(VALU_DEP_3) | instskip(SKIP_2) | instid1(VALU_DEP_4)
	v_pk_fma_f32 v[54:55], v[44:45], v[22:23], v[34:35] op_sel:[0,0,1] op_sel_hi:[1,1,0] neg_lo:[0,0,1] neg_hi:[0,0,1]
	v_pk_fma_f32 v[34:35], v[44:45], v[22:23], v[34:35] op_sel:[0,0,1] op_sel_hi:[1,0,0]
	v_pk_fma_f32 v[44:45], v[46:47], v[22:23], v[48:49] op_sel:[0,0,1] op_sel_hi:[1,0,0]
	v_pk_fma_f32 v[56:57], v[36:37], v[22:23], v[52:53] op_sel_hi:[1,0,1]
	v_pk_fma_f32 v[46:47], v[46:47], v[22:23], v[48:49] op_sel:[0,0,1] op_sel_hi:[1,1,0] neg_lo:[0,0,1] neg_hi:[0,0,1]
	v_pk_fma_f32 v[36:37], v[36:37], v[22:23], v[52:53] neg_lo:[0,0,1] neg_hi:[0,0,1]
	s_delay_alu instid0(VALU_DEP_4) | instskip(NEXT) | instid1(VALU_DEP_4)
	v_dual_mov_b32 v55, v35 :: v_dual_mov_b32 v47, v45
	v_dual_mov_b32 v37, v57 :: v_dual_mov_b32 v23, v51
	s_delay_alu instid0(VALU_DEP_2) | instskip(NEXT) | instid1(VALU_DEP_3)
	v_pk_add_f32 v[14:15], v[14:15], v[54:55] neg_lo:[0,1] neg_hi:[0,1]
	v_pk_add_f32 v[12:13], v[12:13], v[46:47] neg_lo:[0,1] neg_hi:[0,1]
	s_delay_alu instid0(VALU_DEP_3)
	v_pk_add_f32 v[32:33], v[32:33], v[36:37] neg_lo:[0,1] neg_hi:[0,1]
.LBB26_230:
	s_or_b32 exec_lo, exec_lo, s0
	v_lshl_add_u32 v34, v42, 3, v38
	s_barrier_signal -1
	s_barrier_wait -1
	ds_store_b64 v34, v[14:15]
	s_wait_dscnt 0x0
	s_barrier_signal -1
	s_barrier_wait -1
	ds_load_b64 v[34:35], v38 offset:88
	v_mov_b32_e32 v36, 11
	s_cmp_lt_i32 s14, 13
	s_cbranch_scc1 .LBB26_233
; %bb.231:
	v_add3_u32 v37, v39, 0, 0x60
	v_mov_b32_e32 v36, 11
	s_mov_b32 s0, 12
.LBB26_232:                             ; =>This Inner Loop Header: Depth=1
	ds_load_b64 v[44:45], v37
	s_wait_dscnt 0x1
	v_cmp_gt_f32_e32 vcc_lo, 0, v34
	v_cndmask_b32_e64 v46, v34, -v34, vcc_lo
	v_cmp_gt_f32_e32 vcc_lo, 0, v35
	v_cndmask_b32_e64 v48, v35, -v35, vcc_lo
	s_wait_dscnt 0x0
	v_cmp_gt_f32_e32 vcc_lo, 0, v44
	v_cndmask_b32_e64 v47, v44, -v44, vcc_lo
	v_cmp_gt_f32_e32 vcc_lo, 0, v45
	v_cndmask_b32_e64 v49, v45, -v45, vcc_lo
	s_delay_alu instid0(VALU_DEP_1) | instskip(NEXT) | instid1(VALU_DEP_1)
	v_pk_add_f32 v[46:47], v[46:47], v[48:49]
	v_cmp_lt_f32_e32 vcc_lo, v46, v47
	v_dual_cndmask_b32 v34, v34, v44 :: v_dual_add_nc_u32 v37, 8, v37
	v_cndmask_b32_e32 v35, v35, v45, vcc_lo
	v_cndmask_b32_e64 v36, v36, s0, vcc_lo
	s_add_co_i32 s0, s0, 1
	s_delay_alu instid0(SALU_CYCLE_1)
	s_cmp_lg_u32 s14, s0
	s_cbranch_scc1 .LBB26_232
.LBB26_233:
	s_wait_dscnt 0x0
	v_cmp_eq_f32_e32 vcc_lo, 0, v34
	v_cmp_eq_f32_e64 s0, 0, v35
	s_and_b32 s0, vcc_lo, s0
	s_delay_alu instid0(SALU_CYCLE_1) | instskip(NEXT) | instid1(SALU_CYCLE_1)
	s_and_saveexec_b32 s1, s0
	s_xor_b32 s0, exec_lo, s1
; %bb.234:
	v_cmp_ne_u32_e32 vcc_lo, 0, v41
	v_cndmask_b32_e32 v41, 12, v41, vcc_lo
; %bb.235:
	s_and_not1_saveexec_b32 s0, s0
	s_cbranch_execz .LBB26_241
; %bb.236:
	v_cmp_ngt_f32_e64 s1, |v34|, |v35|
	s_and_saveexec_b32 s15, s1
	s_delay_alu instid0(SALU_CYCLE_1)
	s_xor_b32 s1, exec_lo, s15
	s_cbranch_execz .LBB26_238
; %bb.237:
	v_div_scale_f32 v37, null, v35, v35, v34
	v_div_scale_f32 v45, vcc_lo, v34, v35, v34
	s_delay_alu instid0(VALU_DEP_2) | instskip(SKIP_1) | instid1(TRANS32_DEP_1)
	v_rcp_f32_e32 v43, v37
	v_nop
	v_fma_f32 v44, -v37, v43, 1.0
	s_delay_alu instid0(VALU_DEP_1) | instskip(NEXT) | instid1(VALU_DEP_1)
	v_fmac_f32_e32 v43, v44, v43
	v_mul_f32_e32 v44, v45, v43
	s_delay_alu instid0(VALU_DEP_1) | instskip(NEXT) | instid1(VALU_DEP_1)
	v_fma_f32 v46, -v37, v44, v45
	v_fmac_f32_e32 v44, v46, v43
	s_delay_alu instid0(VALU_DEP_1) | instskip(NEXT) | instid1(VALU_DEP_1)
	v_fma_f32 v37, -v37, v44, v45
	v_div_fmas_f32 v37, v37, v43, v44
	s_delay_alu instid0(VALU_DEP_1) | instskip(NEXT) | instid1(VALU_DEP_1)
	v_div_fixup_f32 v37, v37, v35, v34
	v_fmac_f32_e32 v35, v34, v37
	s_delay_alu instid0(VALU_DEP_1) | instskip(SKIP_1) | instid1(VALU_DEP_2)
	v_div_scale_f32 v34, null, v35, v35, 1.0
	v_div_scale_f32 v45, vcc_lo, 1.0, v35, 1.0
	v_rcp_f32_e32 v43, v34
	v_nop
	s_delay_alu instid0(TRANS32_DEP_1) | instskip(NEXT) | instid1(VALU_DEP_1)
	v_fma_f32 v44, -v34, v43, 1.0
	v_fmac_f32_e32 v43, v44, v43
	s_delay_alu instid0(VALU_DEP_1) | instskip(NEXT) | instid1(VALU_DEP_1)
	v_mul_f32_e32 v44, v45, v43
	v_fma_f32 v46, -v34, v44, v45
	s_delay_alu instid0(VALU_DEP_1) | instskip(NEXT) | instid1(VALU_DEP_1)
	v_fmac_f32_e32 v44, v46, v43
	v_fma_f32 v34, -v34, v44, v45
	s_delay_alu instid0(VALU_DEP_1) | instskip(NEXT) | instid1(VALU_DEP_1)
	v_div_fmas_f32 v34, v34, v43, v44
	v_div_fixup_f32 v35, v34, v35, 1.0
	s_delay_alu instid0(VALU_DEP_1)
	v_mul_f32_e32 v34, v37, v35
	v_xor_b32_e32 v35, 0x80000000, v35
.LBB26_238:
	s_and_not1_saveexec_b32 s1, s1
	s_cbranch_execz .LBB26_240
; %bb.239:
	s_delay_alu instid0(VALU_DEP_1) | instskip(SKIP_1) | instid1(VALU_DEP_2)
	v_div_scale_f32 v37, null, v34, v34, v35
	v_div_scale_f32 v45, vcc_lo, v35, v34, v35
	v_rcp_f32_e32 v43, v37
	v_nop
	s_delay_alu instid0(TRANS32_DEP_1) | instskip(NEXT) | instid1(VALU_DEP_1)
	v_fma_f32 v44, -v37, v43, 1.0
	v_fmac_f32_e32 v43, v44, v43
	s_delay_alu instid0(VALU_DEP_1) | instskip(NEXT) | instid1(VALU_DEP_1)
	v_mul_f32_e32 v44, v45, v43
	v_fma_f32 v46, -v37, v44, v45
	s_delay_alu instid0(VALU_DEP_1) | instskip(NEXT) | instid1(VALU_DEP_1)
	v_fmac_f32_e32 v44, v46, v43
	v_fma_f32 v37, -v37, v44, v45
	s_delay_alu instid0(VALU_DEP_1) | instskip(NEXT) | instid1(VALU_DEP_1)
	v_div_fmas_f32 v37, v37, v43, v44
	v_div_fixup_f32 v37, v37, v34, v35
	s_delay_alu instid0(VALU_DEP_1) | instskip(NEXT) | instid1(VALU_DEP_1)
	v_fmac_f32_e32 v34, v35, v37
	v_div_scale_f32 v35, null, v34, v34, 1.0
	s_delay_alu instid0(VALU_DEP_1) | instskip(SKIP_1) | instid1(TRANS32_DEP_1)
	v_rcp_f32_e32 v43, v35
	v_nop
	v_fma_f32 v44, -v35, v43, 1.0
	s_delay_alu instid0(VALU_DEP_1) | instskip(SKIP_1) | instid1(VALU_DEP_1)
	v_fmac_f32_e32 v43, v44, v43
	v_div_scale_f32 v44, vcc_lo, 1.0, v34, 1.0
	v_mul_f32_e32 v45, v44, v43
	s_delay_alu instid0(VALU_DEP_1) | instskip(NEXT) | instid1(VALU_DEP_1)
	v_fma_f32 v46, -v35, v45, v44
	v_fmac_f32_e32 v45, v46, v43
	s_delay_alu instid0(VALU_DEP_1) | instskip(NEXT) | instid1(VALU_DEP_1)
	v_fma_f32 v35, -v35, v45, v44
	v_div_fmas_f32 v35, v35, v43, v45
	s_delay_alu instid0(VALU_DEP_1) | instskip(NEXT) | instid1(VALU_DEP_1)
	v_div_fixup_f32 v34, v35, v34, 1.0
	v_mul_f32_e64 v35, v37, -v34
.LBB26_240:
	s_or_b32 exec_lo, exec_lo, s1
.LBB26_241:
	s_delay_alu instid0(SALU_CYCLE_1) | instskip(NEXT) | instid1(SALU_CYCLE_1)
	s_or_b32 exec_lo, exec_lo, s0
	s_mov_b32 s0, exec_lo
	v_cmpx_ne_u32_e64 v42, v36
	s_xor_b32 s0, exec_lo, s0
	s_cbranch_execz .LBB26_247
; %bb.242:
	s_mov_b32 s1, exec_lo
	v_cmpx_eq_u32_e32 11, v42
	s_cbranch_execz .LBB26_246
; %bb.243:
	v_cmp_ne_u32_e32 vcc_lo, 11, v36
	s_xor_b32 s15, s12, -1
	s_delay_alu instid0(SALU_CYCLE_1) | instskip(NEXT) | instid1(SALU_CYCLE_1)
	s_and_b32 s16, s15, vcc_lo
	s_and_saveexec_b32 s15, s16
	s_cbranch_execz .LBB26_245
; %bb.244:
	v_ashrrev_i32_e32 v37, 31, v36
	s_delay_alu instid0(VALU_DEP_1)
	v_lshl_add_u64 v[42:43], v[36:37], 2, v[26:27]
	s_clause 0x1
	global_load_b32 v37, v[42:43], off
	global_load_b32 v40, v[26:27], off offset:44
	s_wait_loadcnt 0x1
	global_store_b32 v[26:27], v37, off offset:44
	s_wait_loadcnt 0x0
	global_store_b32 v[42:43], v40, off
.LBB26_245:
	s_wait_xcnt 0x0
	s_or_b32 exec_lo, exec_lo, s15
	v_dual_mov_b32 v42, v36 :: v_dual_mov_b32 v40, v36
.LBB26_246:
	s_or_b32 exec_lo, exec_lo, s1
.LBB26_247:
	s_and_not1_saveexec_b32 s0, s0
; %bb.248:
	v_dual_mov_b32 v36, v12 :: v_dual_mov_b32 v37, v13
	v_mov_b32_e32 v42, 11
	ds_store_2addr_b64 v38, v[36:37], v[32:33] offset0:12 offset1:13
; %bb.249:
	s_or_b32 exec_lo, exec_lo, s0
	s_delay_alu instid0(SALU_CYCLE_1)
	s_mov_b32 s0, exec_lo
	s_wait_storecnt_dscnt 0x0
	s_barrier_signal -1
	s_barrier_wait -1
	v_cmpx_lt_i32_e32 11, v42
	s_cbranch_execz .LBB26_251
; %bb.250:
	ds_load_2addr_b64 v[44:47], v38 offset0:12 offset1:13
	v_pk_mul_f32 v[36:37], v[34:35], v[14:15] op_sel:[1,1] op_sel_hi:[0,1]
	s_delay_alu instid0(VALU_DEP_1) | instskip(SKIP_3) | instid1(VALU_DEP_3)
	v_pk_fma_f32 v[48:49], v[34:35], v[14:15], v[36:37] op_sel_hi:[1,0,1]
	v_pk_fma_f32 v[14:15], v[34:35], v[14:15], v[36:37] op_sel_hi:[1,0,1] neg_lo:[0,0,1] neg_hi:[0,0,1]
	s_wait_dscnt 0x0
	v_dual_mov_b32 v50, v47 :: v_dual_mov_b32 v51, v46
	v_pk_mul_f32 v[34:35], v[44:45], v[48:49] op_sel:[0,1]
	s_delay_alu instid0(VALU_DEP_2) | instskip(NEXT) | instid1(VALU_DEP_2)
	v_pk_mul_f32 v[36:37], v[50:51], v[48:49] op_sel:[0,1]
	v_pk_fma_f32 v[50:51], v[44:45], v[14:15], v[34:35] op_sel:[0,0,1] op_sel_hi:[1,0,0]
	v_pk_fma_f32 v[34:35], v[44:45], v[14:15], v[34:35] op_sel:[0,0,1] op_sel_hi:[1,1,0] neg_lo:[0,0,1] neg_hi:[0,0,1]
	s_delay_alu instid0(VALU_DEP_3) | instskip(SKIP_1) | instid1(VALU_DEP_4)
	v_pk_fma_f32 v[52:53], v[46:47], v[14:15], v[36:37] op_sel_hi:[1,0,1]
	v_pk_fma_f32 v[36:37], v[46:47], v[14:15], v[36:37] neg_lo:[0,0,1] neg_hi:[0,0,1]
	v_dual_mov_b32 v35, v51 :: v_dual_mov_b32 v15, v49
	s_delay_alu instid0(VALU_DEP_3) | instskip(NEXT) | instid1(VALU_DEP_2)
	v_mov_b32_e32 v37, v53
	v_pk_add_f32 v[12:13], v[12:13], v[34:35] neg_lo:[0,1] neg_hi:[0,1]
	s_delay_alu instid0(VALU_DEP_2)
	v_pk_add_f32 v[32:33], v[32:33], v[36:37] neg_lo:[0,1] neg_hi:[0,1]
.LBB26_251:
	s_or_b32 exec_lo, exec_lo, s0
	v_lshl_add_u32 v34, v42, 3, v38
	s_barrier_signal -1
	s_barrier_wait -1
	ds_store_b64 v34, v[12:13]
	s_wait_dscnt 0x0
	s_barrier_signal -1
	s_barrier_wait -1
	ds_load_b64 v[34:35], v38 offset:96
	v_mov_b32_e32 v36, 12
	s_cmp_lt_i32 s14, 14
	s_cbranch_scc1 .LBB26_254
; %bb.252:
	v_add3_u32 v37, v39, 0, 0x68
	v_mov_b32_e32 v36, 12
	s_mov_b32 s0, 13
.LBB26_253:                             ; =>This Inner Loop Header: Depth=1
	ds_load_b64 v[44:45], v37
	s_wait_dscnt 0x1
	v_cmp_gt_f32_e32 vcc_lo, 0, v34
	v_cndmask_b32_e64 v46, v34, -v34, vcc_lo
	v_cmp_gt_f32_e32 vcc_lo, 0, v35
	v_cndmask_b32_e64 v48, v35, -v35, vcc_lo
	s_wait_dscnt 0x0
	v_cmp_gt_f32_e32 vcc_lo, 0, v44
	v_cndmask_b32_e64 v47, v44, -v44, vcc_lo
	v_cmp_gt_f32_e32 vcc_lo, 0, v45
	v_cndmask_b32_e64 v49, v45, -v45, vcc_lo
	s_delay_alu instid0(VALU_DEP_1) | instskip(NEXT) | instid1(VALU_DEP_1)
	v_pk_add_f32 v[46:47], v[46:47], v[48:49]
	v_cmp_lt_f32_e32 vcc_lo, v46, v47
	v_dual_cndmask_b32 v34, v34, v44 :: v_dual_add_nc_u32 v37, 8, v37
	v_cndmask_b32_e32 v35, v35, v45, vcc_lo
	v_cndmask_b32_e64 v36, v36, s0, vcc_lo
	s_add_co_i32 s0, s0, 1
	s_delay_alu instid0(SALU_CYCLE_1)
	s_cmp_lg_u32 s14, s0
	s_cbranch_scc1 .LBB26_253
.LBB26_254:
	s_wait_dscnt 0x0
	v_cmp_eq_f32_e32 vcc_lo, 0, v34
	v_cmp_eq_f32_e64 s0, 0, v35
	s_and_b32 s0, vcc_lo, s0
	s_delay_alu instid0(SALU_CYCLE_1) | instskip(NEXT) | instid1(SALU_CYCLE_1)
	s_and_saveexec_b32 s1, s0
	s_xor_b32 s0, exec_lo, s1
; %bb.255:
	v_cmp_ne_u32_e32 vcc_lo, 0, v41
	v_cndmask_b32_e32 v41, 13, v41, vcc_lo
; %bb.256:
	s_and_not1_saveexec_b32 s0, s0
	s_cbranch_execz .LBB26_262
; %bb.257:
	v_cmp_ngt_f32_e64 s1, |v34|, |v35|
	s_and_saveexec_b32 s15, s1
	s_delay_alu instid0(SALU_CYCLE_1)
	s_xor_b32 s1, exec_lo, s15
	s_cbranch_execz .LBB26_259
; %bb.258:
	v_div_scale_f32 v37, null, v35, v35, v34
	v_div_scale_f32 v45, vcc_lo, v34, v35, v34
	s_delay_alu instid0(VALU_DEP_2) | instskip(SKIP_1) | instid1(TRANS32_DEP_1)
	v_rcp_f32_e32 v43, v37
	v_nop
	v_fma_f32 v44, -v37, v43, 1.0
	s_delay_alu instid0(VALU_DEP_1) | instskip(NEXT) | instid1(VALU_DEP_1)
	v_fmac_f32_e32 v43, v44, v43
	v_mul_f32_e32 v44, v45, v43
	s_delay_alu instid0(VALU_DEP_1) | instskip(NEXT) | instid1(VALU_DEP_1)
	v_fma_f32 v46, -v37, v44, v45
	v_fmac_f32_e32 v44, v46, v43
	s_delay_alu instid0(VALU_DEP_1) | instskip(NEXT) | instid1(VALU_DEP_1)
	v_fma_f32 v37, -v37, v44, v45
	v_div_fmas_f32 v37, v37, v43, v44
	s_delay_alu instid0(VALU_DEP_1) | instskip(NEXT) | instid1(VALU_DEP_1)
	v_div_fixup_f32 v37, v37, v35, v34
	v_fmac_f32_e32 v35, v34, v37
	s_delay_alu instid0(VALU_DEP_1) | instskip(SKIP_1) | instid1(VALU_DEP_2)
	v_div_scale_f32 v34, null, v35, v35, 1.0
	v_div_scale_f32 v45, vcc_lo, 1.0, v35, 1.0
	v_rcp_f32_e32 v43, v34
	v_nop
	s_delay_alu instid0(TRANS32_DEP_1) | instskip(NEXT) | instid1(VALU_DEP_1)
	v_fma_f32 v44, -v34, v43, 1.0
	v_fmac_f32_e32 v43, v44, v43
	s_delay_alu instid0(VALU_DEP_1) | instskip(NEXT) | instid1(VALU_DEP_1)
	v_mul_f32_e32 v44, v45, v43
	v_fma_f32 v46, -v34, v44, v45
	s_delay_alu instid0(VALU_DEP_1) | instskip(NEXT) | instid1(VALU_DEP_1)
	v_fmac_f32_e32 v44, v46, v43
	v_fma_f32 v34, -v34, v44, v45
	s_delay_alu instid0(VALU_DEP_1) | instskip(NEXT) | instid1(VALU_DEP_1)
	v_div_fmas_f32 v34, v34, v43, v44
	v_div_fixup_f32 v35, v34, v35, 1.0
	s_delay_alu instid0(VALU_DEP_1)
	v_mul_f32_e32 v34, v37, v35
	v_xor_b32_e32 v35, 0x80000000, v35
.LBB26_259:
	s_and_not1_saveexec_b32 s1, s1
	s_cbranch_execz .LBB26_261
; %bb.260:
	s_delay_alu instid0(VALU_DEP_1) | instskip(SKIP_1) | instid1(VALU_DEP_2)
	v_div_scale_f32 v37, null, v34, v34, v35
	v_div_scale_f32 v45, vcc_lo, v35, v34, v35
	v_rcp_f32_e32 v43, v37
	v_nop
	s_delay_alu instid0(TRANS32_DEP_1) | instskip(NEXT) | instid1(VALU_DEP_1)
	v_fma_f32 v44, -v37, v43, 1.0
	v_fmac_f32_e32 v43, v44, v43
	s_delay_alu instid0(VALU_DEP_1) | instskip(NEXT) | instid1(VALU_DEP_1)
	v_mul_f32_e32 v44, v45, v43
	v_fma_f32 v46, -v37, v44, v45
	s_delay_alu instid0(VALU_DEP_1) | instskip(NEXT) | instid1(VALU_DEP_1)
	v_fmac_f32_e32 v44, v46, v43
	v_fma_f32 v37, -v37, v44, v45
	s_delay_alu instid0(VALU_DEP_1) | instskip(NEXT) | instid1(VALU_DEP_1)
	v_div_fmas_f32 v37, v37, v43, v44
	v_div_fixup_f32 v37, v37, v34, v35
	s_delay_alu instid0(VALU_DEP_1) | instskip(NEXT) | instid1(VALU_DEP_1)
	v_fmac_f32_e32 v34, v35, v37
	v_div_scale_f32 v35, null, v34, v34, 1.0
	s_delay_alu instid0(VALU_DEP_1) | instskip(SKIP_1) | instid1(TRANS32_DEP_1)
	v_rcp_f32_e32 v43, v35
	v_nop
	v_fma_f32 v44, -v35, v43, 1.0
	s_delay_alu instid0(VALU_DEP_1) | instskip(SKIP_1) | instid1(VALU_DEP_1)
	v_fmac_f32_e32 v43, v44, v43
	v_div_scale_f32 v44, vcc_lo, 1.0, v34, 1.0
	v_mul_f32_e32 v45, v44, v43
	s_delay_alu instid0(VALU_DEP_1) | instskip(NEXT) | instid1(VALU_DEP_1)
	v_fma_f32 v46, -v35, v45, v44
	v_fmac_f32_e32 v45, v46, v43
	s_delay_alu instid0(VALU_DEP_1) | instskip(NEXT) | instid1(VALU_DEP_1)
	v_fma_f32 v35, -v35, v45, v44
	v_div_fmas_f32 v35, v35, v43, v45
	s_delay_alu instid0(VALU_DEP_1) | instskip(NEXT) | instid1(VALU_DEP_1)
	v_div_fixup_f32 v34, v35, v34, 1.0
	v_mul_f32_e64 v35, v37, -v34
.LBB26_261:
	s_or_b32 exec_lo, exec_lo, s1
.LBB26_262:
	s_delay_alu instid0(SALU_CYCLE_1) | instskip(NEXT) | instid1(SALU_CYCLE_1)
	s_or_b32 exec_lo, exec_lo, s0
	s_mov_b32 s0, exec_lo
	v_cmpx_ne_u32_e64 v42, v36
	s_xor_b32 s0, exec_lo, s0
	s_cbranch_execz .LBB26_268
; %bb.263:
	s_mov_b32 s1, exec_lo
	v_cmpx_eq_u32_e32 12, v42
	s_cbranch_execz .LBB26_267
; %bb.264:
	v_cmp_ne_u32_e32 vcc_lo, 12, v36
	s_xor_b32 s15, s12, -1
	s_delay_alu instid0(SALU_CYCLE_1) | instskip(NEXT) | instid1(SALU_CYCLE_1)
	s_and_b32 s16, s15, vcc_lo
	s_and_saveexec_b32 s15, s16
	s_cbranch_execz .LBB26_266
; %bb.265:
	v_ashrrev_i32_e32 v37, 31, v36
	s_delay_alu instid0(VALU_DEP_1)
	v_lshl_add_u64 v[42:43], v[36:37], 2, v[26:27]
	s_clause 0x1
	global_load_b32 v37, v[42:43], off
	global_load_b32 v40, v[26:27], off offset:48
	s_wait_loadcnt 0x1
	global_store_b32 v[26:27], v37, off offset:48
	s_wait_loadcnt 0x0
	global_store_b32 v[42:43], v40, off
.LBB26_266:
	s_wait_xcnt 0x0
	s_or_b32 exec_lo, exec_lo, s15
	v_dual_mov_b32 v42, v36 :: v_dual_mov_b32 v40, v36
.LBB26_267:
	s_or_b32 exec_lo, exec_lo, s1
.LBB26_268:
	s_and_not1_saveexec_b32 s0, s0
; %bb.269:
	v_mov_b32_e32 v42, 12
	ds_store_b64 v38, v[32:33] offset:104
; %bb.270:
	s_or_b32 exec_lo, exec_lo, s0
	s_delay_alu instid0(SALU_CYCLE_1)
	s_mov_b32 s0, exec_lo
	s_wait_storecnt_dscnt 0x0
	s_barrier_signal -1
	s_barrier_wait -1
	v_cmpx_lt_i32_e32 12, v42
	s_cbranch_execz .LBB26_272
; %bb.271:
	ds_load_b64 v[36:37], v38 offset:104
	v_pk_mul_f32 v[44:45], v[34:35], v[12:13] op_sel:[1,1] op_sel_hi:[0,1]
	s_delay_alu instid0(VALU_DEP_1) | instskip(SKIP_2) | instid1(VALU_DEP_2)
	v_pk_fma_f32 v[46:47], v[34:35], v[12:13], v[44:45] op_sel_hi:[1,0,1]
	v_pk_fma_f32 v[12:13], v[34:35], v[12:13], v[44:45] op_sel_hi:[1,0,1] neg_lo:[0,0,1] neg_hi:[0,0,1]
	s_wait_dscnt 0x0
	v_pk_mul_f32 v[34:35], v[36:37], v[46:47] op_sel:[1,1] op_sel_hi:[0,1]
	s_delay_alu instid0(VALU_DEP_1) | instskip(SKIP_1) | instid1(VALU_DEP_2)
	v_pk_fma_f32 v[44:45], v[36:37], v[12:13], v[34:35] op_sel_hi:[1,0,1]
	v_pk_fma_f32 v[34:35], v[36:37], v[12:13], v[34:35] neg_lo:[0,0,1] neg_hi:[0,0,1]
	v_dual_mov_b32 v13, v47 :: v_dual_mov_b32 v35, v45
	s_delay_alu instid0(VALU_DEP_1)
	v_pk_add_f32 v[32:33], v[32:33], v[34:35] neg_lo:[0,1] neg_hi:[0,1]
.LBB26_272:
	s_or_b32 exec_lo, exec_lo, s0
	v_lshl_add_u32 v34, v42, 3, v38
	s_barrier_signal -1
	s_barrier_wait -1
	ds_store_b64 v34, v[32:33]
	s_wait_dscnt 0x0
	s_barrier_signal -1
	s_barrier_wait -1
	ds_load_b64 v[34:35], v38 offset:104
	v_mov_b32_e32 v36, 13
	s_cmp_lt_i32 s14, 15
	s_cbranch_scc1 .LBB26_275
; %bb.273:
	v_add3_u32 v37, v39, 0, 0x70
	v_mov_b32_e32 v36, 13
	s_mov_b32 s0, 14
.LBB26_274:                             ; =>This Inner Loop Header: Depth=1
	ds_load_b64 v[38:39], v37
	s_wait_dscnt 0x1
	v_cmp_gt_f32_e32 vcc_lo, 0, v34
	v_cndmask_b32_e64 v44, v34, -v34, vcc_lo
	v_cmp_gt_f32_e32 vcc_lo, 0, v35
	v_cndmask_b32_e64 v46, v35, -v35, vcc_lo
	s_wait_dscnt 0x0
	v_cmp_gt_f32_e32 vcc_lo, 0, v38
	v_cndmask_b32_e64 v45, v38, -v38, vcc_lo
	v_cmp_gt_f32_e32 vcc_lo, 0, v39
	v_cndmask_b32_e64 v47, v39, -v39, vcc_lo
	s_delay_alu instid0(VALU_DEP_1) | instskip(NEXT) | instid1(VALU_DEP_1)
	v_pk_add_f32 v[44:45], v[44:45], v[46:47]
	v_cmp_lt_f32_e32 vcc_lo, v44, v45
	v_dual_add_nc_u32 v37, 8, v37 :: v_dual_cndmask_b32 v35, v35, v39, vcc_lo
	v_cndmask_b32_e32 v34, v34, v38, vcc_lo
	v_cndmask_b32_e64 v36, v36, s0, vcc_lo
	s_add_co_i32 s0, s0, 1
	s_delay_alu instid0(SALU_CYCLE_1)
	s_cmp_lg_u32 s14, s0
	s_cbranch_scc1 .LBB26_274
.LBB26_275:
	s_wait_dscnt 0x0
	v_cmp_eq_f32_e32 vcc_lo, 0, v34
	v_cmp_eq_f32_e64 s0, 0, v35
	s_and_b32 s0, vcc_lo, s0
	s_delay_alu instid0(SALU_CYCLE_1) | instskip(NEXT) | instid1(SALU_CYCLE_1)
	s_and_saveexec_b32 s1, s0
	s_xor_b32 s0, exec_lo, s1
; %bb.276:
	v_cmp_ne_u32_e32 vcc_lo, 0, v41
	v_cndmask_b32_e32 v41, 14, v41, vcc_lo
; %bb.277:
	s_and_not1_saveexec_b32 s0, s0
	s_cbranch_execz .LBB26_283
; %bb.278:
	v_cmp_ngt_f32_e64 s1, |v34|, |v35|
	s_and_saveexec_b32 s14, s1
	s_delay_alu instid0(SALU_CYCLE_1)
	s_xor_b32 s1, exec_lo, s14
	s_cbranch_execz .LBB26_280
; %bb.279:
	v_div_scale_f32 v37, null, v35, v35, v34
	v_div_scale_f32 v43, vcc_lo, v34, v35, v34
	s_delay_alu instid0(VALU_DEP_2) | instskip(SKIP_1) | instid1(TRANS32_DEP_1)
	v_rcp_f32_e32 v38, v37
	v_nop
	v_fma_f32 v39, -v37, v38, 1.0
	s_delay_alu instid0(VALU_DEP_1) | instskip(NEXT) | instid1(VALU_DEP_1)
	v_fmac_f32_e32 v38, v39, v38
	v_mul_f32_e32 v39, v43, v38
	s_delay_alu instid0(VALU_DEP_1) | instskip(NEXT) | instid1(VALU_DEP_1)
	v_fma_f32 v44, -v37, v39, v43
	v_fmac_f32_e32 v39, v44, v38
	s_delay_alu instid0(VALU_DEP_1) | instskip(NEXT) | instid1(VALU_DEP_1)
	v_fma_f32 v37, -v37, v39, v43
	v_div_fmas_f32 v37, v37, v38, v39
	s_delay_alu instid0(VALU_DEP_1) | instskip(NEXT) | instid1(VALU_DEP_1)
	v_div_fixup_f32 v37, v37, v35, v34
	v_fmac_f32_e32 v35, v34, v37
	s_delay_alu instid0(VALU_DEP_1) | instskip(SKIP_1) | instid1(VALU_DEP_2)
	v_div_scale_f32 v34, null, v35, v35, 1.0
	v_div_scale_f32 v43, vcc_lo, 1.0, v35, 1.0
	v_rcp_f32_e32 v38, v34
	v_nop
	s_delay_alu instid0(TRANS32_DEP_1) | instskip(NEXT) | instid1(VALU_DEP_1)
	v_fma_f32 v39, -v34, v38, 1.0
	v_fmac_f32_e32 v38, v39, v38
	s_delay_alu instid0(VALU_DEP_1) | instskip(NEXT) | instid1(VALU_DEP_1)
	v_mul_f32_e32 v39, v43, v38
	v_fma_f32 v44, -v34, v39, v43
	s_delay_alu instid0(VALU_DEP_1) | instskip(NEXT) | instid1(VALU_DEP_1)
	v_fmac_f32_e32 v39, v44, v38
	v_fma_f32 v34, -v34, v39, v43
	s_delay_alu instid0(VALU_DEP_1) | instskip(NEXT) | instid1(VALU_DEP_1)
	v_div_fmas_f32 v34, v34, v38, v39
	v_div_fixup_f32 v35, v34, v35, 1.0
	s_delay_alu instid0(VALU_DEP_1)
	v_mul_f32_e32 v34, v37, v35
	v_xor_b32_e32 v35, 0x80000000, v35
.LBB26_280:
	s_and_not1_saveexec_b32 s1, s1
	s_cbranch_execz .LBB26_282
; %bb.281:
	s_delay_alu instid0(VALU_DEP_1) | instskip(SKIP_1) | instid1(VALU_DEP_2)
	v_div_scale_f32 v37, null, v34, v34, v35
	v_div_scale_f32 v43, vcc_lo, v35, v34, v35
	v_rcp_f32_e32 v38, v37
	v_nop
	s_delay_alu instid0(TRANS32_DEP_1) | instskip(NEXT) | instid1(VALU_DEP_1)
	v_fma_f32 v39, -v37, v38, 1.0
	v_fmac_f32_e32 v38, v39, v38
	s_delay_alu instid0(VALU_DEP_1) | instskip(NEXT) | instid1(VALU_DEP_1)
	v_mul_f32_e32 v39, v43, v38
	v_fma_f32 v44, -v37, v39, v43
	s_delay_alu instid0(VALU_DEP_1) | instskip(NEXT) | instid1(VALU_DEP_1)
	v_fmac_f32_e32 v39, v44, v38
	v_fma_f32 v37, -v37, v39, v43
	s_delay_alu instid0(VALU_DEP_1) | instskip(NEXT) | instid1(VALU_DEP_1)
	v_div_fmas_f32 v37, v37, v38, v39
	v_div_fixup_f32 v37, v37, v34, v35
	s_delay_alu instid0(VALU_DEP_1) | instskip(NEXT) | instid1(VALU_DEP_1)
	v_fmac_f32_e32 v34, v35, v37
	v_div_scale_f32 v35, null, v34, v34, 1.0
	s_delay_alu instid0(VALU_DEP_1) | instskip(SKIP_1) | instid1(TRANS32_DEP_1)
	v_rcp_f32_e32 v38, v35
	v_nop
	v_fma_f32 v39, -v35, v38, 1.0
	s_delay_alu instid0(VALU_DEP_1) | instskip(SKIP_1) | instid1(VALU_DEP_1)
	v_fmac_f32_e32 v38, v39, v38
	v_div_scale_f32 v39, vcc_lo, 1.0, v34, 1.0
	v_mul_f32_e32 v43, v39, v38
	s_delay_alu instid0(VALU_DEP_1) | instskip(NEXT) | instid1(VALU_DEP_1)
	v_fma_f32 v44, -v35, v43, v39
	v_fmac_f32_e32 v43, v44, v38
	s_delay_alu instid0(VALU_DEP_1) | instskip(NEXT) | instid1(VALU_DEP_1)
	v_fma_f32 v35, -v35, v43, v39
	v_div_fmas_f32 v35, v35, v38, v43
	s_delay_alu instid0(VALU_DEP_1) | instskip(NEXT) | instid1(VALU_DEP_1)
	v_div_fixup_f32 v34, v35, v34, 1.0
	v_mul_f32_e64 v35, v37, -v34
.LBB26_282:
	s_or_b32 exec_lo, exec_lo, s1
.LBB26_283:
	s_delay_alu instid0(SALU_CYCLE_1)
	s_or_b32 exec_lo, exec_lo, s0
	v_mov_b32_e32 v38, 13
	s_mov_b32 s0, exec_lo
	v_cmpx_ne_u32_e64 v42, v36
	s_cbranch_execz .LBB26_289
; %bb.284:
	s_mov_b32 s1, exec_lo
	v_cmpx_eq_u32_e32 13, v42
	s_cbranch_execz .LBB26_288
; %bb.285:
	v_cmp_ne_u32_e32 vcc_lo, 13, v36
	s_xor_b32 s12, s12, -1
	s_delay_alu instid0(SALU_CYCLE_1) | instskip(NEXT) | instid1(SALU_CYCLE_1)
	s_and_b32 s14, s12, vcc_lo
	s_and_saveexec_b32 s12, s14
	s_cbranch_execz .LBB26_287
; %bb.286:
	v_ashrrev_i32_e32 v37, 31, v36
	s_delay_alu instid0(VALU_DEP_1)
	v_lshl_add_u64 v[38:39], v[36:37], 2, v[26:27]
	s_clause 0x1
	global_load_b32 v37, v[38:39], off
	global_load_b32 v40, v[26:27], off offset:52
	s_wait_loadcnt 0x1
	global_store_b32 v[26:27], v37, off offset:52
	s_wait_loadcnt 0x0
	global_store_b32 v[38:39], v40, off
.LBB26_287:
	s_wait_xcnt 0x0
	s_or_b32 exec_lo, exec_lo, s12
	v_dual_mov_b32 v42, v36 :: v_dual_mov_b32 v40, v36
.LBB26_288:
	s_or_b32 exec_lo, exec_lo, s1
	s_delay_alu instid0(VALU_DEP_1)
	v_mov_b32_e32 v38, v42
.LBB26_289:
	s_or_b32 exec_lo, exec_lo, s0
	s_delay_alu instid0(VALU_DEP_1)
	v_ashrrev_i32_e32 v39, 31, v38
	s_mov_b32 s0, exec_lo
	s_wait_storecnt 0x0
	s_barrier_signal -1
	s_barrier_wait -1
	s_barrier_signal -1
	s_barrier_wait -1
	v_cmpx_gt_i32_e32 14, v38
	s_cbranch_execz .LBB26_291
; %bb.290:
	v_mul_u64_e32 v[26:27], s[10:11], v[2:3]
	v_add3_u32 v36, v40, s13, 1
	s_delay_alu instid0(VALU_DEP_2) | instskip(NEXT) | instid1(VALU_DEP_1)
	v_lshl_add_u64 v[26:27], v[26:27], 2, s[6:7]
	v_lshl_add_u64 v[26:27], s[8:9], 2, v[26:27]
	s_delay_alu instid0(VALU_DEP_1)
	v_lshl_add_u64 v[26:27], v[38:39], 2, v[26:27]
	global_store_b32 v[26:27], v36, off
.LBB26_291:
	s_wait_xcnt 0x0
	s_or_b32 exec_lo, exec_lo, s0
	s_delay_alu instid0(SALU_CYCLE_1)
	s_mov_b32 s1, exec_lo
	v_cmpx_eq_u32_e32 0, v38
	s_cbranch_execz .LBB26_294
; %bb.292:
	s_wait_kmcnt 0x0
	v_lshl_add_u64 v[2:3], v[2:3], 2, s[4:5]
	v_cmp_ne_u32_e64 s0, 0, v41
	global_load_b32 v26, v[2:3], off
	s_wait_loadcnt 0x0
	v_cmp_eq_u32_e32 vcc_lo, 0, v26
	s_and_b32 s0, vcc_lo, s0
	s_wait_xcnt 0x0
	s_and_b32 exec_lo, exec_lo, s0
	s_cbranch_execz .LBB26_294
; %bb.293:
	v_add_nc_u32_e32 v26, s13, v41
	global_store_b32 v[2:3], v26, off
.LBB26_294:
	s_wait_xcnt 0x0
	s_or_b32 exec_lo, exec_lo, s1
	v_add3_u32 v2, s2, s2, v38
	v_pk_mul_f32 v[40:41], v[34:35], v[32:33] op_sel:[1,1] op_sel_hi:[0,1]
	v_cmp_lt_i32_e32 vcc_lo, 13, v38
	v_lshl_add_u64 v[38:39], v[38:39], 3, v[0:1]
	s_delay_alu instid0(VALU_DEP_4) | instskip(NEXT) | instid1(VALU_DEP_4)
	v_add_nc_u32_e32 v26, s2, v2
	v_pk_fma_f32 v[44:45], v[34:35], v[32:33], v[40:41] op_sel_hi:[1,0,1]
	v_pk_fma_f32 v[34:35], v[34:35], v[32:33], v[40:41] neg_lo:[0,0,1] neg_hi:[0,0,1]
	global_store_b64 v[38:39], v[30:31], off
	s_wait_xcnt 0x0
	v_lshl_add_u64 v[38:39], s[2:3], 3, v[38:39]
	v_dual_cndmask_b32 v33, v33, v45 :: v_dual_add_nc_u32 v36, s2, v26
	s_delay_alu instid0(VALU_DEP_1) | instskip(NEXT) | instid1(VALU_DEP_1)
	v_dual_add_nc_u32 v42, s2, v36 :: v_dual_ashrrev_i32 v37, 31, v36
	v_add_nc_u32_e32 v40, s2, v42
	v_cndmask_b32_e32 v32, v32, v34, vcc_lo
	v_ashrrev_i32_e32 v27, 31, v26
	s_delay_alu instid0(VALU_DEP_4) | instskip(NEXT) | instid1(VALU_DEP_4)
	v_lshl_add_u64 v[36:37], v[36:37], 3, v[0:1]
	v_dual_add_nc_u32 v34, s2, v40 :: v_dual_ashrrev_i32 v41, 31, v40
	s_delay_alu instid0(VALU_DEP_3) | instskip(NEXT) | instid1(VALU_DEP_2)
	v_lshl_add_u64 v[26:27], v[26:27], 3, v[0:1]
	v_dual_add_nc_u32 v30, s2, v34 :: v_dual_ashrrev_i32 v35, 31, v34
	s_delay_alu instid0(VALU_DEP_1) | instskip(SKIP_1) | instid1(VALU_DEP_2)
	v_dual_add_nc_u32 v44, s2, v30 :: v_dual_ashrrev_i32 v31, 31, v30
	v_ashrrev_i32_e32 v3, 31, v2
	v_dual_ashrrev_i32 v43, 31, v42 :: v_dual_ashrrev_i32 v45, 31, v44
	s_delay_alu instid0(VALU_DEP_2)
	v_lshl_add_u64 v[2:3], v[2:3], 3, v[0:1]
	s_clause 0x3
	global_store_b64 v[38:39], v[8:9], off
	global_store_b64 v[2:3], v[10:11], off
	;; [unrolled: 1-line block ×4, first 2 shown]
	s_wait_xcnt 0x2
	v_add_nc_u32_e32 v2, s2, v44
	v_lshl_add_u64 v[8:9], v[42:43], 3, v[0:1]
	s_wait_xcnt 0x0
	v_lshl_add_u64 v[28:29], v[30:31], 3, v[0:1]
	v_lshl_add_u64 v[10:11], v[40:41], 3, v[0:1]
	;; [unrolled: 1-line block ×3, first 2 shown]
	v_dual_add_nc_u32 v6, s2, v2 :: v_dual_ashrrev_i32 v3, 31, v2
	s_clause 0x3
	global_store_b64 v[8:9], v[18:19], off
	global_store_b64 v[10:11], v[20:21], off
	;; [unrolled: 1-line block ×4, first 2 shown]
	s_wait_xcnt 0x2
	v_lshl_add_u64 v[10:11], v[44:45], 3, v[0:1]
	v_dual_add_nc_u32 v30, s2, v6 :: v_dual_ashrrev_i32 v7, 31, v6
	v_lshl_add_u64 v[2:3], v[2:3], 3, v[0:1]
	s_delay_alu instid0(VALU_DEP_2) | instskip(NEXT) | instid1(VALU_DEP_3)
	v_dual_add_nc_u32 v8, s2, v30 :: v_dual_ashrrev_i32 v31, 31, v30
	v_lshl_add_u64 v[6:7], v[6:7], 3, v[0:1]
	s_delay_alu instid0(VALU_DEP_2) | instskip(SKIP_1) | instid1(VALU_DEP_3)
	v_ashrrev_i32_e32 v9, 31, v8
	s_wait_xcnt 0x1
	v_lshl_add_u64 v[16:17], v[30:31], 3, v[0:1]
	s_delay_alu instid0(VALU_DEP_2)
	v_lshl_add_u64 v[0:1], v[8:9], 3, v[0:1]
	s_clause 0x4
	global_store_b64 v[10:11], v[4:5], off
	global_store_b64 v[2:3], v[22:23], off
	;; [unrolled: 1-line block ×5, first 2 shown]
.LBB26_295:
	s_endpgm
	.section	.rodata,"a",@progbits
	.p2align	6, 0x0
	.amdhsa_kernel _ZN9rocsolver6v33100L18getf2_small_kernelILi14E19rocblas_complex_numIfEiiPS3_EEvT1_T3_lS5_lPS5_llPT2_S5_S5_S7_l
		.amdhsa_group_segment_fixed_size 0
		.amdhsa_private_segment_fixed_size 0
		.amdhsa_kernarg_size 352
		.amdhsa_user_sgpr_count 2
		.amdhsa_user_sgpr_dispatch_ptr 0
		.amdhsa_user_sgpr_queue_ptr 0
		.amdhsa_user_sgpr_kernarg_segment_ptr 1
		.amdhsa_user_sgpr_dispatch_id 0
		.amdhsa_user_sgpr_kernarg_preload_length 0
		.amdhsa_user_sgpr_kernarg_preload_offset 0
		.amdhsa_user_sgpr_private_segment_size 0
		.amdhsa_wavefront_size32 1
		.amdhsa_uses_dynamic_stack 0
		.amdhsa_enable_private_segment 0
		.amdhsa_system_sgpr_workgroup_id_x 1
		.amdhsa_system_sgpr_workgroup_id_y 1
		.amdhsa_system_sgpr_workgroup_id_z 0
		.amdhsa_system_sgpr_workgroup_info 0
		.amdhsa_system_vgpr_workitem_id 1
		.amdhsa_next_free_vgpr 62
		.amdhsa_next_free_sgpr 20
		.amdhsa_named_barrier_count 0
		.amdhsa_reserve_vcc 1
		.amdhsa_float_round_mode_32 0
		.amdhsa_float_round_mode_16_64 0
		.amdhsa_float_denorm_mode_32 3
		.amdhsa_float_denorm_mode_16_64 3
		.amdhsa_fp16_overflow 0
		.amdhsa_memory_ordered 1
		.amdhsa_forward_progress 1
		.amdhsa_inst_pref_size 155
		.amdhsa_round_robin_scheduling 0
		.amdhsa_exception_fp_ieee_invalid_op 0
		.amdhsa_exception_fp_denorm_src 0
		.amdhsa_exception_fp_ieee_div_zero 0
		.amdhsa_exception_fp_ieee_overflow 0
		.amdhsa_exception_fp_ieee_underflow 0
		.amdhsa_exception_fp_ieee_inexact 0
		.amdhsa_exception_int_div_zero 0
	.end_amdhsa_kernel
	.section	.text._ZN9rocsolver6v33100L18getf2_small_kernelILi14E19rocblas_complex_numIfEiiPS3_EEvT1_T3_lS5_lPS5_llPT2_S5_S5_S7_l,"axG",@progbits,_ZN9rocsolver6v33100L18getf2_small_kernelILi14E19rocblas_complex_numIfEiiPS3_EEvT1_T3_lS5_lPS5_llPT2_S5_S5_S7_l,comdat
.Lfunc_end26:
	.size	_ZN9rocsolver6v33100L18getf2_small_kernelILi14E19rocblas_complex_numIfEiiPS3_EEvT1_T3_lS5_lPS5_llPT2_S5_S5_S7_l, .Lfunc_end26-_ZN9rocsolver6v33100L18getf2_small_kernelILi14E19rocblas_complex_numIfEiiPS3_EEvT1_T3_lS5_lPS5_llPT2_S5_S5_S7_l
                                        ; -- End function
	.set _ZN9rocsolver6v33100L18getf2_small_kernelILi14E19rocblas_complex_numIfEiiPS3_EEvT1_T3_lS5_lPS5_llPT2_S5_S5_S7_l.num_vgpr, 62
	.set _ZN9rocsolver6v33100L18getf2_small_kernelILi14E19rocblas_complex_numIfEiiPS3_EEvT1_T3_lS5_lPS5_llPT2_S5_S5_S7_l.num_agpr, 0
	.set _ZN9rocsolver6v33100L18getf2_small_kernelILi14E19rocblas_complex_numIfEiiPS3_EEvT1_T3_lS5_lPS5_llPT2_S5_S5_S7_l.numbered_sgpr, 20
	.set _ZN9rocsolver6v33100L18getf2_small_kernelILi14E19rocblas_complex_numIfEiiPS3_EEvT1_T3_lS5_lPS5_llPT2_S5_S5_S7_l.num_named_barrier, 0
	.set _ZN9rocsolver6v33100L18getf2_small_kernelILi14E19rocblas_complex_numIfEiiPS3_EEvT1_T3_lS5_lPS5_llPT2_S5_S5_S7_l.private_seg_size, 0
	.set _ZN9rocsolver6v33100L18getf2_small_kernelILi14E19rocblas_complex_numIfEiiPS3_EEvT1_T3_lS5_lPS5_llPT2_S5_S5_S7_l.uses_vcc, 1
	.set _ZN9rocsolver6v33100L18getf2_small_kernelILi14E19rocblas_complex_numIfEiiPS3_EEvT1_T3_lS5_lPS5_llPT2_S5_S5_S7_l.uses_flat_scratch, 0
	.set _ZN9rocsolver6v33100L18getf2_small_kernelILi14E19rocblas_complex_numIfEiiPS3_EEvT1_T3_lS5_lPS5_llPT2_S5_S5_S7_l.has_dyn_sized_stack, 0
	.set _ZN9rocsolver6v33100L18getf2_small_kernelILi14E19rocblas_complex_numIfEiiPS3_EEvT1_T3_lS5_lPS5_llPT2_S5_S5_S7_l.has_recursion, 0
	.set _ZN9rocsolver6v33100L18getf2_small_kernelILi14E19rocblas_complex_numIfEiiPS3_EEvT1_T3_lS5_lPS5_llPT2_S5_S5_S7_l.has_indirect_call, 0
	.section	.AMDGPU.csdata,"",@progbits
; Kernel info:
; codeLenInByte = 19812
; TotalNumSgprs: 22
; NumVgprs: 62
; ScratchSize: 0
; MemoryBound: 0
; FloatMode: 240
; IeeeMode: 1
; LDSByteSize: 0 bytes/workgroup (compile time only)
; SGPRBlocks: 0
; VGPRBlocks: 3
; NumSGPRsForWavesPerEU: 22
; NumVGPRsForWavesPerEU: 62
; NamedBarCnt: 0
; Occupancy: 16
; WaveLimiterHint : 0
; COMPUTE_PGM_RSRC2:SCRATCH_EN: 0
; COMPUTE_PGM_RSRC2:USER_SGPR: 2
; COMPUTE_PGM_RSRC2:TRAP_HANDLER: 0
; COMPUTE_PGM_RSRC2:TGID_X_EN: 1
; COMPUTE_PGM_RSRC2:TGID_Y_EN: 1
; COMPUTE_PGM_RSRC2:TGID_Z_EN: 0
; COMPUTE_PGM_RSRC2:TIDIG_COMP_CNT: 1
	.section	.text._ZN9rocsolver6v33100L23getf2_npvt_small_kernelILi14E19rocblas_complex_numIfEiiPS3_EEvT1_T3_lS5_lPT2_S5_S5_,"axG",@progbits,_ZN9rocsolver6v33100L23getf2_npvt_small_kernelILi14E19rocblas_complex_numIfEiiPS3_EEvT1_T3_lS5_lPT2_S5_S5_,comdat
	.globl	_ZN9rocsolver6v33100L23getf2_npvt_small_kernelILi14E19rocblas_complex_numIfEiiPS3_EEvT1_T3_lS5_lPT2_S5_S5_ ; -- Begin function _ZN9rocsolver6v33100L23getf2_npvt_small_kernelILi14E19rocblas_complex_numIfEiiPS3_EEvT1_T3_lS5_lPT2_S5_S5_
	.p2align	8
	.type	_ZN9rocsolver6v33100L23getf2_npvt_small_kernelILi14E19rocblas_complex_numIfEiiPS3_EEvT1_T3_lS5_lPT2_S5_S5_,@function
_ZN9rocsolver6v33100L23getf2_npvt_small_kernelILi14E19rocblas_complex_numIfEiiPS3_EEvT1_T3_lS5_lPT2_S5_S5_: ; @_ZN9rocsolver6v33100L23getf2_npvt_small_kernelILi14E19rocblas_complex_numIfEiiPS3_EEvT1_T3_lS5_lPT2_S5_S5_
; %bb.0:
	s_clause 0x1
	s_load_u16 s14, s[0:1], 0x46
	s_load_b64 s[2:3], s[0:1], 0x30
	s_bfe_u32 s4, ttmp6, 0x40010
	s_bfe_u32 s5, ttmp6, 0x40004
	s_add_co_i32 s4, s4, 1
	s_getreg_b32 s6, hwreg(HW_REG_IB_STS2, 6, 4)
	s_mul_i32 s4, ttmp7, s4
	v_bfe_u32 v58, v0, 10, 10
	s_add_co_i32 s5, s5, s4
	s_cmp_eq_u32 s6, 0
	s_cselect_b32 s4, ttmp7, s5
	s_wait_kmcnt 0x0
	v_mad_u32 v2, s4, s14, v58
	s_delay_alu instid0(VALU_DEP_1)
	v_cmp_gt_i32_e32 vcc_lo, s2, v2
	s_and_saveexec_b32 s2, vcc_lo
	s_cbranch_execz .LBB27_129
; %bb.1:
	s_clause 0x1
	s_load_b128 s[4:7], s[0:1], 0x20
	s_load_b32 s12, s[0:1], 0x18
	v_and_b32_e32 v86, 0x3ff, v0
	s_load_b128 s[8:11], s[0:1], 0x8
	v_lshlrev_b32_e32 v59, 3, v58
	s_mulk_i32 s14, 0x70
	v_mad_u32_u24 v88, 0x70, v58, 0
	s_wait_xcnt 0x0
	v_cmp_ne_u32_e64 s1, 0, v86
	v_cmp_eq_u32_e64 s0, 0, v86
	v_add3_u32 v87, 0, s14, v59
	v_mov_b32_e32 v13, 0
	s_wait_kmcnt 0x0
	v_add3_u32 v4, s12, s12, v86
	v_ashrrev_i32_e32 v3, 31, v2
	s_ashr_i32 s13, s12, 31
	s_delay_alu instid0(VALU_DEP_2) | instskip(NEXT) | instid1(VALU_DEP_2)
	v_add_nc_u32_e32 v6, s12, v4
	v_mul_u64_e32 v[0:1], s[4:5], v[2:3]
	s_delay_alu instid0(VALU_DEP_2) | instskip(NEXT) | instid1(VALU_DEP_1)
	v_dual_ashrrev_i32 v5, 31, v4 :: v_dual_add_nc_u32 v8, s12, v6
	v_add_nc_u32_e32 v10, s12, v8
	s_delay_alu instid0(VALU_DEP_1) | instskip(NEXT) | instid1(VALU_DEP_1)
	v_add_nc_u32_e32 v20, s12, v10
	v_dual_add_nc_u32 v22, s12, v20 :: v_dual_lshlrev_b32 v12, 3, v86
	v_ashrrev_i32_e32 v9, 31, v8
	s_delay_alu instid0(VALU_DEP_2) | instskip(SKIP_1) | instid1(VALU_DEP_2)
	v_dual_ashrrev_i32 v21, 31, v20 :: v_dual_add_nc_u32 v24, s12, v22
	v_ashrrev_i32_e32 v7, 31, v6
	v_dual_ashrrev_i32 v11, 31, v10 :: v_dual_ashrrev_i32 v25, 31, v24
	v_add_nc_u32_e32 v26, s12, v24
	v_lshl_add_u64 v[0:1], v[0:1], 3, s[8:9]
	s_delay_alu instid0(VALU_DEP_2) | instskip(NEXT) | instid1(VALU_DEP_2)
	v_dual_ashrrev_i32 v27, 31, v26 :: v_dual_add_nc_u32 v30, s12, v26
	v_lshl_add_u64 v[34:35], s[10:11], 3, v[0:1]
	s_delay_alu instid0(VALU_DEP_2) | instskip(SKIP_1) | instid1(VALU_DEP_3)
	v_dual_add_nc_u32 v36, s12, v30 :: v_dual_ashrrev_i32 v31, 31, v30
	v_ashrrev_i32_e32 v23, 31, v22
	v_add_nc_u64_e32 v[18:19], v[34:35], v[12:13]
	v_lshl_add_u64 v[16:17], v[8:9], 3, v[34:35]
	s_delay_alu instid0(VALU_DEP_4)
	v_add_nc_u32_e32 v42, s12, v36
	v_lshl_add_u64 v[8:9], v[24:25], 3, v[34:35]
	v_lshl_add_u64 v[0:1], v[10:11], 3, v[34:35]
	v_ashrrev_i32_e32 v37, 31, v36
	v_lshl_add_u64 v[10:11], v[26:27], 3, v[34:35]
	v_dual_add_nc_u32 v44, s12, v42 :: v_dual_ashrrev_i32 v43, 31, v42
	v_lshl_add_u64 v[32:33], s[12:13], 3, v[18:19]
	v_lshl_add_u64 v[12:13], v[4:5], 3, v[34:35]
	;; [unrolled: 1-line block ×3, first 2 shown]
	s_delay_alu instid0(VALU_DEP_4)
	v_ashrrev_i32_e32 v45, 31, v44
	v_lshl_add_u64 v[26:27], v[30:31], 3, v[34:35]
	v_lshl_add_u64 v[14:15], v[6:7], 3, v[34:35]
	;; [unrolled: 1-line block ×5, first 2 shown]
	s_clause 0x7
	global_load_b64 v[28:29], v[16:17], off
	global_load_b64 v[22:23], v[0:1], off
	;; [unrolled: 1-line block ×8, first 2 shown]
	v_lshl_add_u64 v[34:35], v[44:45], 3, v[34:35]
	s_clause 0x5
	global_load_b64 v[46:47], v[8:9], off
	global_load_b64 v[42:43], v[10:11], off
	;; [unrolled: 1-line block ×6, first 2 shown]
	s_wait_xcnt 0x0
	s_and_saveexec_b32 s4, s0
	s_cbranch_execz .LBB27_8
; %bb.2:
	s_wait_loadcnt 0x9
	ds_store_b64 v87, v[56:57]
	s_wait_loadcnt 0x7
	ds_store_2addr_b64 v88, v[48:49], v[40:41] offset0:1 offset1:2
	s_wait_loadcnt 0x6
	ds_store_2addr_b64 v88, v[38:39], v[28:29] offset0:3 offset1:4
	ds_store_2addr_b64 v88, v[22:23], v[24:25] offset0:5 offset1:6
	s_wait_loadcnt 0x5
	ds_store_2addr_b64 v88, v[20:21], v[46:47] offset0:7 offset1:8
	s_wait_loadcnt 0x3
	;; [unrolled: 2-line block ×4, first 2 shown]
	ds_store_b64 v88, v[54:55] offset:104
	ds_load_b64 v[58:59], v87
	s_wait_dscnt 0x0
	v_cmp_neq_f32_e32 vcc_lo, 0, v58
	v_cmp_neq_f32_e64 s2, 0, v59
	s_or_b32 s2, vcc_lo, s2
	s_delay_alu instid0(SALU_CYCLE_1)
	s_and_b32 exec_lo, exec_lo, s2
	s_cbranch_execz .LBB27_8
; %bb.3:
	v_cmp_ngt_f32_e64 s2, |v58|, |v59|
                                        ; implicit-def: $vgpr60_vgpr61
	s_and_saveexec_b32 s5, s2
	s_delay_alu instid0(SALU_CYCLE_1)
	s_xor_b32 s2, exec_lo, s5
	s_cbranch_execz .LBB27_5
; %bb.4:
	v_div_scale_f32 v60, null, v59, v59, v58
	v_div_scale_f32 v63, vcc_lo, v58, v59, v58
	s_delay_alu instid0(VALU_DEP_2) | instskip(SKIP_1) | instid1(TRANS32_DEP_1)
	v_rcp_f32_e32 v61, v60
	v_nop
	v_fma_f32 v62, -v60, v61, 1.0
	s_delay_alu instid0(VALU_DEP_1) | instskip(NEXT) | instid1(VALU_DEP_1)
	v_fmac_f32_e32 v61, v62, v61
	v_mul_f32_e32 v62, v63, v61
	s_delay_alu instid0(VALU_DEP_1) | instskip(NEXT) | instid1(VALU_DEP_1)
	v_fma_f32 v64, -v60, v62, v63
	v_fmac_f32_e32 v62, v64, v61
	s_delay_alu instid0(VALU_DEP_1) | instskip(NEXT) | instid1(VALU_DEP_1)
	v_fma_f32 v60, -v60, v62, v63
	v_div_fmas_f32 v60, v60, v61, v62
	s_delay_alu instid0(VALU_DEP_1) | instskip(NEXT) | instid1(VALU_DEP_1)
	v_div_fixup_f32 v60, v60, v59, v58
	v_fmac_f32_e32 v59, v58, v60
	s_delay_alu instid0(VALU_DEP_1) | instskip(SKIP_1) | instid1(VALU_DEP_2)
	v_div_scale_f32 v58, null, v59, v59, 1.0
	v_div_scale_f32 v63, vcc_lo, 1.0, v59, 1.0
	v_rcp_f32_e32 v61, v58
	v_nop
	s_delay_alu instid0(TRANS32_DEP_1) | instskip(NEXT) | instid1(VALU_DEP_1)
	v_fma_f32 v62, -v58, v61, 1.0
	v_fmac_f32_e32 v61, v62, v61
	s_delay_alu instid0(VALU_DEP_1) | instskip(NEXT) | instid1(VALU_DEP_1)
	v_mul_f32_e32 v62, v63, v61
	v_fma_f32 v64, -v58, v62, v63
	s_delay_alu instid0(VALU_DEP_1) | instskip(NEXT) | instid1(VALU_DEP_1)
	v_fmac_f32_e32 v62, v64, v61
	v_fma_f32 v58, -v58, v62, v63
	s_delay_alu instid0(VALU_DEP_1) | instskip(NEXT) | instid1(VALU_DEP_1)
	v_div_fmas_f32 v58, v58, v61, v62
	v_div_fixup_f32 v58, v58, v59, 1.0
	s_delay_alu instid0(VALU_DEP_1)
	v_mul_f32_e32 v60, v60, v58
	v_xor_b32_e32 v61, 0x80000000, v58
                                        ; implicit-def: $vgpr58_vgpr59
.LBB27_5:
	s_and_not1_saveexec_b32 s2, s2
	s_cbranch_execz .LBB27_7
; %bb.6:
	v_div_scale_f32 v60, null, v58, v58, v59
	v_div_scale_f32 v63, vcc_lo, v59, v58, v59
	s_delay_alu instid0(VALU_DEP_2) | instskip(SKIP_1) | instid1(TRANS32_DEP_1)
	v_rcp_f32_e32 v61, v60
	v_nop
	v_fma_f32 v62, -v60, v61, 1.0
	s_delay_alu instid0(VALU_DEP_1) | instskip(NEXT) | instid1(VALU_DEP_1)
	v_fmac_f32_e32 v61, v62, v61
	v_mul_f32_e32 v62, v63, v61
	s_delay_alu instid0(VALU_DEP_1) | instskip(NEXT) | instid1(VALU_DEP_1)
	v_fma_f32 v64, -v60, v62, v63
	v_fmac_f32_e32 v62, v64, v61
	s_delay_alu instid0(VALU_DEP_1) | instskip(NEXT) | instid1(VALU_DEP_1)
	v_fma_f32 v60, -v60, v62, v63
	v_div_fmas_f32 v60, v60, v61, v62
	s_delay_alu instid0(VALU_DEP_1) | instskip(NEXT) | instid1(VALU_DEP_1)
	v_div_fixup_f32 v61, v60, v58, v59
	v_fmac_f32_e32 v58, v59, v61
	s_delay_alu instid0(VALU_DEP_1) | instskip(NEXT) | instid1(VALU_DEP_1)
	v_div_scale_f32 v59, null, v58, v58, 1.0
	v_rcp_f32_e32 v60, v59
	v_nop
	s_delay_alu instid0(TRANS32_DEP_1) | instskip(NEXT) | instid1(VALU_DEP_1)
	v_fma_f32 v62, -v59, v60, 1.0
	v_fmac_f32_e32 v60, v62, v60
	v_div_scale_f32 v62, vcc_lo, 1.0, v58, 1.0
	s_delay_alu instid0(VALU_DEP_1) | instskip(NEXT) | instid1(VALU_DEP_1)
	v_mul_f32_e32 v63, v62, v60
	v_fma_f32 v64, -v59, v63, v62
	s_delay_alu instid0(VALU_DEP_1) | instskip(NEXT) | instid1(VALU_DEP_1)
	v_fmac_f32_e32 v63, v64, v60
	v_fma_f32 v59, -v59, v63, v62
	s_delay_alu instid0(VALU_DEP_1) | instskip(NEXT) | instid1(VALU_DEP_1)
	v_div_fmas_f32 v59, v59, v60, v63
	v_div_fixup_f32 v60, v59, v58, 1.0
	s_delay_alu instid0(VALU_DEP_1)
	v_mul_f32_e64 v61, v61, -v60
.LBB27_7:
	s_or_b32 exec_lo, exec_lo, s2
	ds_store_b64 v87, v[60:61]
.LBB27_8:
	s_or_b32 exec_lo, exec_lo, s4
	s_wait_loadcnt_dscnt 0x0
	s_barrier_signal -1
	s_barrier_wait -1
	ds_load_b64 v[58:59], v87
	s_and_saveexec_b32 s2, s1
	s_cbranch_execz .LBB27_10
; %bb.9:
	ds_load_2addr_b64 v[60:63], v88 offset0:1 offset1:2
	ds_load_2addr_b64 v[64:67], v88 offset0:3 offset1:4
	;; [unrolled: 1-line block ×3, first 2 shown]
	s_wait_dscnt 0x3
	v_pk_mul_f32 v[72:73], v[58:59], v[56:57] op_sel:[1,1] op_sel_hi:[0,1]
	s_delay_alu instid0(VALU_DEP_1)
	v_pk_fma_f32 v[80:81], v[58:59], v[56:57], v[72:73] op_sel_hi:[1,0,1] neg_lo:[0,0,1] neg_hi:[0,0,1]
	v_pk_fma_f32 v[82:83], v[58:59], v[56:57], v[72:73] op_sel_hi:[1,0,1]
	ds_load_2addr_b64 v[72:75], v88 offset0:7 offset1:8
	ds_load_2addr_b64 v[76:79], v88 offset0:9 offset1:10
	v_dual_mov_b32 v56, v80 :: v_dual_mov_b32 v57, v83
	s_wait_dscnt 0x4
	v_pk_mul_f32 v[84:85], v[60:61], v[82:83] op_sel:[0,1]
	v_pk_mul_f32 v[90:91], v[62:63], v[82:83] op_sel:[0,1]
	s_wait_dscnt 0x3
	v_pk_mul_f32 v[92:93], v[64:65], v[82:83] op_sel:[0,1]
	v_dual_mov_b32 v94, v67 :: v_dual_mov_b32 v95, v66
	v_dual_mul_f32 v96, v67, v83 :: v_dual_mul_f32 v98, v67, v80
	s_wait_dscnt 0x2
	v_pk_mul_f32 v[100:101], v[68:69], v[82:83] op_sel:[0,1]
	v_pk_fma_f32 v[104:105], v[60:61], v[80:81], v[84:85] op_sel:[0,0,1] op_sel_hi:[1,1,0] neg_lo:[0,0,1] neg_hi:[0,0,1]
	v_pk_fma_f32 v[60:61], v[60:61], v[80:81], v[84:85] op_sel:[0,0,1] op_sel_hi:[1,0,0]
	v_pk_fma_f32 v[84:85], v[62:63], v[80:81], v[90:91] op_sel:[0,0,1] op_sel_hi:[1,1,0] neg_lo:[0,0,1] neg_hi:[0,0,1]
	v_pk_fma_f32 v[62:63], v[62:63], v[80:81], v[90:91] op_sel:[0,0,1] op_sel_hi:[1,0,0]
	;; [unrolled: 2-line block ×3, first 2 shown]
	v_pk_fma_f32 v[92:93], v[94:95], v[56:57], v[98:99] op_sel_hi:[1,1,0]
	v_pk_fma_f32 v[66:67], v[66:67], v[56:57], v[96:97] op_sel_hi:[1,1,0] neg_lo:[0,0,1] neg_hi:[0,0,1]
	v_pk_mul_f32 v[102:103], v[70:71], v[82:83] op_sel:[0,1]
	v_dual_mov_b32 v105, v61 :: v_dual_mov_b32 v85, v63
	s_delay_alu instid0(VALU_DEP_4)
	v_dual_mov_b32 v91, v65 :: v_dual_mov_b32 v67, v93
	v_pk_fma_f32 v[60:61], v[68:69], v[80:81], v[100:101] op_sel:[0,0,1] op_sel_hi:[1,0,0]
	v_pk_fma_f32 v[64:65], v[68:69], v[80:81], v[100:101] op_sel:[0,0,1] op_sel_hi:[1,1,0] neg_lo:[0,0,1] neg_hi:[0,0,1]
	v_pk_fma_f32 v[68:69], v[70:71], v[80:81], v[102:103] op_sel:[0,0,1] op_sel_hi:[1,1,0] neg_lo:[0,0,1] neg_hi:[0,0,1]
	v_pk_add_f32 v[40:41], v[40:41], v[84:85] neg_lo:[0,1] neg_hi:[0,1]
	v_pk_add_f32 v[28:29], v[28:29], v[66:67] neg_lo:[0,1] neg_hi:[0,1]
	v_pk_fma_f32 v[66:67], v[70:71], v[80:81], v[102:103] op_sel:[0,0,1] op_sel_hi:[1,0,0]
	v_mov_b32_e32 v65, v61
	s_wait_dscnt 0x1
	v_pk_mul_f32 v[70:71], v[72:73], v[82:83] op_sel:[0,1]
	ds_load_2addr_b64 v[60:63], v88 offset0:11 offset1:12
	v_pk_add_f32 v[48:49], v[48:49], v[104:105] neg_lo:[0,1] neg_hi:[0,1]
	v_mov_b32_e32 v69, v67
	v_pk_add_f32 v[22:23], v[22:23], v[64:65] neg_lo:[0,1] neg_hi:[0,1]
	ds_load_b64 v[64:65], v88 offset:104
	v_pk_mul_f32 v[66:67], v[74:75], v[82:83] op_sel:[0,1]
	v_pk_fma_f32 v[84:85], v[72:73], v[80:81], v[70:71] op_sel:[0,0,1] op_sel_hi:[1,0,0]
	v_pk_add_f32 v[24:25], v[24:25], v[68:69] neg_lo:[0,1] neg_hi:[0,1]
	v_pk_fma_f32 v[70:71], v[72:73], v[80:81], v[70:71] op_sel:[0,0,1] op_sel_hi:[1,1,0] neg_lo:[0,0,1] neg_hi:[0,0,1]
	s_wait_dscnt 0x2
	v_mul_f32_e32 v72, v77, v83
	v_pk_fma_f32 v[68:69], v[74:75], v[80:81], v[66:67] op_sel:[0,0,1] op_sel_hi:[1,0,0]
	v_mul_f32_e32 v68, v77, v80
	v_mov_b32_e32 v71, v85
	v_pk_fma_f32 v[66:67], v[74:75], v[80:81], v[66:67] op_sel:[0,0,1] op_sel_hi:[1,1,0] neg_lo:[0,0,1] neg_hi:[0,0,1]
	v_pk_add_f32 v[38:39], v[38:39], v[90:91] neg_lo:[0,1] neg_hi:[0,1]
	v_mov_b32_e32 v67, v69
	v_pk_fma_f32 v[68:69], v[76:77], v[56:57], v[68:69] op_sel:[1,0,0] op_sel_hi:[0,1,0]
	v_pk_add_f32 v[20:21], v[20:21], v[70:71] neg_lo:[0,1] neg_hi:[0,1]
	v_pk_mul_f32 v[70:71], v[78:79], v[82:83] op_sel:[0,1]
	s_delay_alu instid0(VALU_DEP_4)
	v_pk_add_f32 v[46:47], v[46:47], v[66:67] neg_lo:[0,1] neg_hi:[0,1]
	v_pk_fma_f32 v[66:67], v[76:77], v[56:57], v[72:73] op_sel_hi:[1,1,0] neg_lo:[0,0,1] neg_hi:[0,0,1]
	s_wait_dscnt 0x1
	v_pk_mul_f32 v[74:75], v[62:63], v[82:83] op_sel:[0,1]
	v_pk_fma_f32 v[72:73], v[78:79], v[80:81], v[70:71] op_sel:[0,0,1] op_sel_hi:[1,0,0]
	v_mov_b32_e32 v67, v69
	v_pk_mul_f32 v[68:69], v[60:61], v[82:83] op_sel:[0,1]
	s_wait_dscnt 0x0
	v_pk_mul_f32 v[76:77], v[64:65], v[82:83] op_sel:[0,1]
	v_pk_fma_f32 v[70:71], v[78:79], v[80:81], v[70:71] op_sel:[0,0,1] op_sel_hi:[1,1,0] neg_lo:[0,0,1] neg_hi:[0,0,1]
	v_mov_b32_e32 v71, v73
	v_pk_fma_f32 v[72:73], v[62:63], v[80:81], v[74:75] op_sel:[0,0,1] op_sel_hi:[1,0,0]
	v_pk_fma_f32 v[78:79], v[60:61], v[80:81], v[68:69] op_sel:[0,0,1] op_sel_hi:[1,0,0]
	v_pk_fma_f32 v[60:61], v[60:61], v[80:81], v[68:69] op_sel:[0,0,1] op_sel_hi:[1,1,0] neg_lo:[0,0,1] neg_hi:[0,0,1]
	v_pk_fma_f32 v[68:69], v[64:65], v[80:81], v[76:77] op_sel:[0,0,1] op_sel_hi:[1,0,0]
	v_pk_fma_f32 v[62:63], v[62:63], v[80:81], v[74:75] op_sel:[0,0,1] op_sel_hi:[1,1,0] neg_lo:[0,0,1] neg_hi:[0,0,1]
	v_pk_fma_f32 v[64:65], v[64:65], v[80:81], v[76:77] op_sel:[0,0,1] op_sel_hi:[1,1,0] neg_lo:[0,0,1] neg_hi:[0,0,1]
	v_dual_mov_b32 v61, v79 :: v_dual_mov_b32 v63, v73
	s_delay_alu instid0(VALU_DEP_4) | instskip(SKIP_2) | instid1(VALU_DEP_4)
	v_mov_b32_e32 v65, v69
	v_pk_add_f32 v[42:43], v[42:43], v[66:67] neg_lo:[0,1] neg_hi:[0,1]
	v_pk_add_f32 v[44:45], v[44:45], v[70:71] neg_lo:[0,1] neg_hi:[0,1]
	;; [unrolled: 1-line block ×5, first 2 shown]
.LBB27_10:
	s_or_b32 exec_lo, exec_lo, s2
	s_delay_alu instid0(SALU_CYCLE_1)
	s_mov_b32 s2, exec_lo
	s_wait_dscnt 0x0
	s_barrier_signal -1
	s_barrier_wait -1
	v_cmpx_eq_u32_e32 1, v86
	s_cbranch_execz .LBB27_17
; %bb.11:
	v_dual_mov_b32 v60, v40 :: v_dual_mov_b32 v61, v41
	v_dual_mov_b32 v62, v38 :: v_dual_mov_b32 v63, v39
	ds_store_b64 v87, v[48:49]
	ds_store_2addr_b64 v88, v[60:61], v[62:63] offset0:2 offset1:3
	v_dual_mov_b32 v60, v28 :: v_dual_mov_b32 v61, v29
	v_dual_mov_b32 v62, v22 :: v_dual_mov_b32 v63, v23
	ds_store_2addr_b64 v88, v[60:61], v[62:63] offset0:4 offset1:5
	v_dual_mov_b32 v60, v24 :: v_dual_mov_b32 v61, v25
	v_dual_mov_b32 v62, v20 :: v_dual_mov_b32 v63, v21
	;; [unrolled: 3-line block ×4, first 2 shown]
	ds_store_2addr_b64 v88, v[60:61], v[62:63] offset0:10 offset1:11
	v_dual_mov_b32 v60, v52 :: v_dual_mov_b32 v61, v53
	ds_store_2addr_b64 v88, v[60:61], v[54:55] offset0:12 offset1:13
	ds_load_b64 v[60:61], v87
	s_wait_dscnt 0x0
	v_cmp_neq_f32_e32 vcc_lo, 0, v60
	v_cmp_neq_f32_e64 s1, 0, v61
	s_or_b32 s1, vcc_lo, s1
	s_delay_alu instid0(SALU_CYCLE_1)
	s_and_b32 exec_lo, exec_lo, s1
	s_cbranch_execz .LBB27_17
; %bb.12:
	v_cmp_ngt_f32_e64 s1, |v60|, |v61|
                                        ; implicit-def: $vgpr62_vgpr63
	s_and_saveexec_b32 s4, s1
	s_delay_alu instid0(SALU_CYCLE_1)
	s_xor_b32 s1, exec_lo, s4
	s_cbranch_execz .LBB27_14
; %bb.13:
	v_div_scale_f32 v62, null, v61, v61, v60
	v_div_scale_f32 v65, vcc_lo, v60, v61, v60
	s_delay_alu instid0(VALU_DEP_2) | instskip(SKIP_1) | instid1(TRANS32_DEP_1)
	v_rcp_f32_e32 v63, v62
	v_nop
	v_fma_f32 v64, -v62, v63, 1.0
	s_delay_alu instid0(VALU_DEP_1) | instskip(NEXT) | instid1(VALU_DEP_1)
	v_fmac_f32_e32 v63, v64, v63
	v_mul_f32_e32 v64, v65, v63
	s_delay_alu instid0(VALU_DEP_1) | instskip(NEXT) | instid1(VALU_DEP_1)
	v_fma_f32 v66, -v62, v64, v65
	v_fmac_f32_e32 v64, v66, v63
	s_delay_alu instid0(VALU_DEP_1) | instskip(NEXT) | instid1(VALU_DEP_1)
	v_fma_f32 v62, -v62, v64, v65
	v_div_fmas_f32 v62, v62, v63, v64
	s_delay_alu instid0(VALU_DEP_1) | instskip(NEXT) | instid1(VALU_DEP_1)
	v_div_fixup_f32 v62, v62, v61, v60
	v_fmac_f32_e32 v61, v60, v62
	s_delay_alu instid0(VALU_DEP_1) | instskip(SKIP_1) | instid1(VALU_DEP_2)
	v_div_scale_f32 v60, null, v61, v61, 1.0
	v_div_scale_f32 v65, vcc_lo, 1.0, v61, 1.0
	v_rcp_f32_e32 v63, v60
	v_nop
	s_delay_alu instid0(TRANS32_DEP_1) | instskip(NEXT) | instid1(VALU_DEP_1)
	v_fma_f32 v64, -v60, v63, 1.0
	v_fmac_f32_e32 v63, v64, v63
	s_delay_alu instid0(VALU_DEP_1) | instskip(NEXT) | instid1(VALU_DEP_1)
	v_mul_f32_e32 v64, v65, v63
	v_fma_f32 v66, -v60, v64, v65
	s_delay_alu instid0(VALU_DEP_1) | instskip(NEXT) | instid1(VALU_DEP_1)
	v_fmac_f32_e32 v64, v66, v63
	v_fma_f32 v60, -v60, v64, v65
	s_delay_alu instid0(VALU_DEP_1) | instskip(NEXT) | instid1(VALU_DEP_1)
	v_div_fmas_f32 v60, v60, v63, v64
	v_div_fixup_f32 v60, v60, v61, 1.0
	s_delay_alu instid0(VALU_DEP_1)
	v_mul_f32_e32 v62, v62, v60
	v_xor_b32_e32 v63, 0x80000000, v60
                                        ; implicit-def: $vgpr60_vgpr61
.LBB27_14:
	s_and_not1_saveexec_b32 s1, s1
	s_cbranch_execz .LBB27_16
; %bb.15:
	v_div_scale_f32 v62, null, v60, v60, v61
	v_div_scale_f32 v65, vcc_lo, v61, v60, v61
	s_delay_alu instid0(VALU_DEP_2) | instskip(SKIP_1) | instid1(TRANS32_DEP_1)
	v_rcp_f32_e32 v63, v62
	v_nop
	v_fma_f32 v64, -v62, v63, 1.0
	s_delay_alu instid0(VALU_DEP_1) | instskip(NEXT) | instid1(VALU_DEP_1)
	v_fmac_f32_e32 v63, v64, v63
	v_mul_f32_e32 v64, v65, v63
	s_delay_alu instid0(VALU_DEP_1) | instskip(NEXT) | instid1(VALU_DEP_1)
	v_fma_f32 v66, -v62, v64, v65
	v_fmac_f32_e32 v64, v66, v63
	s_delay_alu instid0(VALU_DEP_1) | instskip(NEXT) | instid1(VALU_DEP_1)
	v_fma_f32 v62, -v62, v64, v65
	v_div_fmas_f32 v62, v62, v63, v64
	s_delay_alu instid0(VALU_DEP_1) | instskip(NEXT) | instid1(VALU_DEP_1)
	v_div_fixup_f32 v63, v62, v60, v61
	v_fmac_f32_e32 v60, v61, v63
	s_delay_alu instid0(VALU_DEP_1) | instskip(NEXT) | instid1(VALU_DEP_1)
	v_div_scale_f32 v61, null, v60, v60, 1.0
	v_rcp_f32_e32 v62, v61
	v_nop
	s_delay_alu instid0(TRANS32_DEP_1) | instskip(NEXT) | instid1(VALU_DEP_1)
	v_fma_f32 v64, -v61, v62, 1.0
	v_fmac_f32_e32 v62, v64, v62
	v_div_scale_f32 v64, vcc_lo, 1.0, v60, 1.0
	s_delay_alu instid0(VALU_DEP_1) | instskip(NEXT) | instid1(VALU_DEP_1)
	v_mul_f32_e32 v65, v64, v62
	v_fma_f32 v66, -v61, v65, v64
	s_delay_alu instid0(VALU_DEP_1) | instskip(NEXT) | instid1(VALU_DEP_1)
	v_fmac_f32_e32 v65, v66, v62
	v_fma_f32 v61, -v61, v65, v64
	s_delay_alu instid0(VALU_DEP_1) | instskip(NEXT) | instid1(VALU_DEP_1)
	v_div_fmas_f32 v61, v61, v62, v65
	v_div_fixup_f32 v62, v61, v60, 1.0
	s_delay_alu instid0(VALU_DEP_1)
	v_mul_f32_e64 v63, v63, -v62
.LBB27_16:
	s_or_b32 exec_lo, exec_lo, s1
	ds_store_b64 v87, v[62:63]
.LBB27_17:
	s_or_b32 exec_lo, exec_lo, s2
	s_wait_dscnt 0x0
	s_barrier_signal -1
	s_barrier_wait -1
	ds_load_b64 v[60:61], v87
	s_mov_b32 s1, exec_lo
	v_cmpx_lt_u32_e32 1, v86
	s_cbranch_execz .LBB27_19
; %bb.18:
	s_wait_dscnt 0x0
	v_pk_mul_f32 v[62:63], v[60:61], v[48:49] op_sel:[1,1] op_sel_hi:[0,1]
	s_delay_alu instid0(VALU_DEP_1)
	v_pk_fma_f32 v[66:67], v[60:61], v[48:49], v[62:63] op_sel_hi:[1,0,1] neg_lo:[0,0,1] neg_hi:[0,0,1]
	v_pk_fma_f32 v[68:69], v[60:61], v[48:49], v[62:63] op_sel_hi:[1,0,1]
	ds_load_2addr_b64 v[62:65], v88 offset0:2 offset1:3
	v_dual_mov_b32 v48, v66 :: v_dual_mov_b32 v49, v69
	s_wait_dscnt 0x0
	v_pk_mul_f32 v[70:71], v[62:63], v[68:69] op_sel:[0,1]
	s_delay_alu instid0(VALU_DEP_1) | instskip(SKIP_1) | instid1(VALU_DEP_1)
	v_pk_fma_f32 v[72:73], v[62:63], v[66:67], v[70:71] op_sel:[0,0,1] op_sel_hi:[1,1,0] neg_lo:[0,0,1] neg_hi:[0,0,1]
	v_pk_fma_f32 v[62:63], v[62:63], v[66:67], v[70:71] op_sel:[0,0,1] op_sel_hi:[1,0,0]
	v_mov_b32_e32 v73, v63
	v_pk_mul_f32 v[62:63], v[64:65], v[68:69] op_sel:[0,1]
	s_delay_alu instid0(VALU_DEP_1) | instskip(SKIP_1) | instid1(VALU_DEP_1)
	v_pk_fma_f32 v[70:71], v[64:65], v[66:67], v[62:63] op_sel:[0,0,1] op_sel_hi:[1,1,0] neg_lo:[0,0,1] neg_hi:[0,0,1]
	v_pk_fma_f32 v[62:63], v[64:65], v[66:67], v[62:63] op_sel:[0,0,1] op_sel_hi:[1,0,0]
	v_mov_b32_e32 v71, v63
	ds_load_2addr_b64 v[62:65], v88 offset0:4 offset1:5
	v_pk_add_f32 v[40:41], v[40:41], v[72:73] neg_lo:[0,1] neg_hi:[0,1]
	v_pk_add_f32 v[38:39], v[38:39], v[70:71] neg_lo:[0,1] neg_hi:[0,1]
	s_wait_dscnt 0x0
	v_pk_mul_f32 v[70:71], v[62:63], v[68:69] op_sel:[0,1]
	s_delay_alu instid0(VALU_DEP_1) | instskip(SKIP_2) | instid1(VALU_DEP_2)
	v_pk_fma_f32 v[72:73], v[62:63], v[66:67], v[70:71] op_sel:[0,0,1] op_sel_hi:[1,1,0] neg_lo:[0,0,1] neg_hi:[0,0,1]
	v_pk_fma_f32 v[62:63], v[62:63], v[66:67], v[70:71] op_sel:[0,0,1] op_sel_hi:[1,0,0]
	v_dual_mul_f32 v70, v65, v69 :: v_dual_mov_b32 v62, v65
	v_dual_mov_b32 v73, v63 :: v_dual_mov_b32 v63, v64
	s_delay_alu instid0(VALU_DEP_2) | instskip(SKIP_1) | instid1(VALU_DEP_3)
	v_pk_fma_f32 v[70:71], v[64:65], v[48:49], v[70:71] op_sel_hi:[1,1,0] neg_lo:[0,0,1] neg_hi:[0,0,1]
	v_mul_f32_e32 v64, v65, v66
	v_pk_add_f32 v[28:29], v[28:29], v[72:73] neg_lo:[0,1] neg_hi:[0,1]
	s_delay_alu instid0(VALU_DEP_2) | instskip(NEXT) | instid1(VALU_DEP_1)
	v_pk_fma_f32 v[62:63], v[62:63], v[48:49], v[64:65] op_sel_hi:[1,1,0]
	v_mov_b32_e32 v71, v63
	ds_load_2addr_b64 v[62:65], v88 offset0:6 offset1:7
	v_pk_add_f32 v[22:23], v[22:23], v[70:71] neg_lo:[0,1] neg_hi:[0,1]
	s_wait_dscnt 0x0
	v_pk_mul_f32 v[70:71], v[62:63], v[68:69] op_sel:[0,1]
	s_delay_alu instid0(VALU_DEP_1) | instskip(SKIP_1) | instid1(VALU_DEP_1)
	v_pk_fma_f32 v[72:73], v[62:63], v[66:67], v[70:71] op_sel:[0,0,1] op_sel_hi:[1,1,0] neg_lo:[0,0,1] neg_hi:[0,0,1]
	v_pk_fma_f32 v[62:63], v[62:63], v[66:67], v[70:71] op_sel:[0,0,1] op_sel_hi:[1,0,0]
	v_mov_b32_e32 v73, v63
	v_pk_mul_f32 v[62:63], v[64:65], v[68:69] op_sel:[0,1]
	s_delay_alu instid0(VALU_DEP_1) | instskip(SKIP_1) | instid1(VALU_DEP_1)
	v_pk_fma_f32 v[70:71], v[64:65], v[66:67], v[62:63] op_sel:[0,0,1] op_sel_hi:[1,1,0] neg_lo:[0,0,1] neg_hi:[0,0,1]
	v_pk_fma_f32 v[62:63], v[64:65], v[66:67], v[62:63] op_sel:[0,0,1] op_sel_hi:[1,0,0]
	v_mov_b32_e32 v71, v63
	ds_load_2addr_b64 v[62:65], v88 offset0:8 offset1:9
	v_pk_add_f32 v[24:25], v[24:25], v[72:73] neg_lo:[0,1] neg_hi:[0,1]
	v_pk_add_f32 v[20:21], v[20:21], v[70:71] neg_lo:[0,1] neg_hi:[0,1]
	s_wait_dscnt 0x0
	v_pk_mul_f32 v[70:71], v[62:63], v[68:69] op_sel:[0,1]
	s_delay_alu instid0(VALU_DEP_1) | instskip(SKIP_1) | instid1(VALU_DEP_1)
	v_pk_fma_f32 v[72:73], v[62:63], v[66:67], v[70:71] op_sel:[0,0,1] op_sel_hi:[1,1,0] neg_lo:[0,0,1] neg_hi:[0,0,1]
	v_pk_fma_f32 v[62:63], v[62:63], v[66:67], v[70:71] op_sel:[0,0,1] op_sel_hi:[1,0,0]
	v_mov_b32_e32 v73, v63
	v_pk_mul_f32 v[62:63], v[64:65], v[68:69] op_sel:[0,1]
	s_delay_alu instid0(VALU_DEP_1) | instskip(SKIP_1) | instid1(VALU_DEP_1)
	v_pk_fma_f32 v[70:71], v[64:65], v[66:67], v[62:63] op_sel:[0,0,1] op_sel_hi:[1,1,0] neg_lo:[0,0,1] neg_hi:[0,0,1]
	v_pk_fma_f32 v[62:63], v[64:65], v[66:67], v[62:63] op_sel:[0,0,1] op_sel_hi:[1,0,0]
	v_mov_b32_e32 v71, v63
	ds_load_2addr_b64 v[62:65], v88 offset0:10 offset1:11
	v_pk_add_f32 v[46:47], v[46:47], v[72:73] neg_lo:[0,1] neg_hi:[0,1]
	v_pk_add_f32 v[42:43], v[42:43], v[70:71] neg_lo:[0,1] neg_hi:[0,1]
	s_wait_dscnt 0x0
	v_dual_mul_f32 v70, v63, v69 :: v_dual_mul_f32 v72, v63, v66
	s_delay_alu instid0(VALU_DEP_1) | instskip(NEXT) | instid1(VALU_DEP_2)
	v_pk_fma_f32 v[70:71], v[62:63], v[48:49], v[70:71] op_sel_hi:[1,1,0] neg_lo:[0,0,1] neg_hi:[0,0,1]
	v_pk_fma_f32 v[62:63], v[62:63], v[48:49], v[72:73] op_sel:[1,0,0] op_sel_hi:[0,1,0]
	s_delay_alu instid0(VALU_DEP_1) | instskip(SKIP_1) | instid1(VALU_DEP_2)
	v_mov_b32_e32 v71, v63
	v_pk_mul_f32 v[62:63], v[64:65], v[68:69] op_sel:[0,1]
	v_pk_add_f32 v[44:45], v[44:45], v[70:71] neg_lo:[0,1] neg_hi:[0,1]
	s_delay_alu instid0(VALU_DEP_2) | instskip(SKIP_1) | instid1(VALU_DEP_1)
	v_pk_fma_f32 v[70:71], v[64:65], v[66:67], v[62:63] op_sel:[0,0,1] op_sel_hi:[1,1,0] neg_lo:[0,0,1] neg_hi:[0,0,1]
	v_pk_fma_f32 v[62:63], v[64:65], v[66:67], v[62:63] op_sel:[0,0,1] op_sel_hi:[1,0,0]
	v_mov_b32_e32 v71, v63
	ds_load_2addr_b64 v[62:65], v88 offset0:12 offset1:13
	v_pk_add_f32 v[50:51], v[50:51], v[70:71] neg_lo:[0,1] neg_hi:[0,1]
	s_wait_dscnt 0x0
	v_pk_mul_f32 v[70:71], v[62:63], v[68:69] op_sel:[0,1]
	v_mul_f32_e32 v68, v65, v69
	s_delay_alu instid0(VALU_DEP_2) | instskip(SKIP_2) | instid1(VALU_DEP_4)
	v_pk_fma_f32 v[72:73], v[62:63], v[66:67], v[70:71] op_sel:[0,0,1] op_sel_hi:[1,1,0] neg_lo:[0,0,1] neg_hi:[0,0,1]
	v_pk_fma_f32 v[62:63], v[62:63], v[66:67], v[70:71] op_sel:[0,0,1] op_sel_hi:[1,0,0]
	v_mov_b32_e32 v62, v65
	v_pk_fma_f32 v[68:69], v[64:65], v[48:49], v[68:69] op_sel_hi:[1,1,0] neg_lo:[0,0,1] neg_hi:[0,0,1]
	s_delay_alu instid0(VALU_DEP_3) | instskip(SKIP_1) | instid1(VALU_DEP_2)
	v_dual_mov_b32 v73, v63 :: v_dual_mov_b32 v63, v64
	v_mul_f32_e32 v64, v65, v66
	v_pk_add_f32 v[52:53], v[52:53], v[72:73] neg_lo:[0,1] neg_hi:[0,1]
	s_delay_alu instid0(VALU_DEP_2) | instskip(NEXT) | instid1(VALU_DEP_1)
	v_pk_fma_f32 v[62:63], v[62:63], v[48:49], v[64:65] op_sel_hi:[1,1,0]
	v_mov_b32_e32 v69, v63
	s_delay_alu instid0(VALU_DEP_1)
	v_pk_add_f32 v[54:55], v[54:55], v[68:69] neg_lo:[0,1] neg_hi:[0,1]
.LBB27_19:
	s_or_b32 exec_lo, exec_lo, s1
	s_delay_alu instid0(SALU_CYCLE_1)
	s_mov_b32 s2, exec_lo
	s_wait_dscnt 0x0
	s_barrier_signal -1
	s_barrier_wait -1
	v_cmpx_eq_u32_e32 2, v86
	s_cbranch_execz .LBB27_26
; %bb.20:
	ds_store_b64 v87, v[40:41]
	ds_store_2addr_b64 v88, v[38:39], v[28:29] offset0:3 offset1:4
	ds_store_2addr_b64 v88, v[22:23], v[24:25] offset0:5 offset1:6
	;; [unrolled: 1-line block ×5, first 2 shown]
	ds_store_b64 v88, v[54:55] offset:104
	ds_load_b64 v[62:63], v87
	s_wait_dscnt 0x0
	v_cmp_neq_f32_e32 vcc_lo, 0, v62
	v_cmp_neq_f32_e64 s1, 0, v63
	s_or_b32 s1, vcc_lo, s1
	s_delay_alu instid0(SALU_CYCLE_1)
	s_and_b32 exec_lo, exec_lo, s1
	s_cbranch_execz .LBB27_26
; %bb.21:
	v_cmp_ngt_f32_e64 s1, |v62|, |v63|
                                        ; implicit-def: $vgpr64_vgpr65
	s_and_saveexec_b32 s4, s1
	s_delay_alu instid0(SALU_CYCLE_1)
	s_xor_b32 s1, exec_lo, s4
	s_cbranch_execz .LBB27_23
; %bb.22:
	v_div_scale_f32 v64, null, v63, v63, v62
	v_div_scale_f32 v67, vcc_lo, v62, v63, v62
	s_delay_alu instid0(VALU_DEP_2) | instskip(SKIP_1) | instid1(TRANS32_DEP_1)
	v_rcp_f32_e32 v65, v64
	v_nop
	v_fma_f32 v66, -v64, v65, 1.0
	s_delay_alu instid0(VALU_DEP_1) | instskip(NEXT) | instid1(VALU_DEP_1)
	v_fmac_f32_e32 v65, v66, v65
	v_mul_f32_e32 v66, v67, v65
	s_delay_alu instid0(VALU_DEP_1) | instskip(NEXT) | instid1(VALU_DEP_1)
	v_fma_f32 v68, -v64, v66, v67
	v_fmac_f32_e32 v66, v68, v65
	s_delay_alu instid0(VALU_DEP_1) | instskip(NEXT) | instid1(VALU_DEP_1)
	v_fma_f32 v64, -v64, v66, v67
	v_div_fmas_f32 v64, v64, v65, v66
	s_delay_alu instid0(VALU_DEP_1) | instskip(NEXT) | instid1(VALU_DEP_1)
	v_div_fixup_f32 v64, v64, v63, v62
	v_fmac_f32_e32 v63, v62, v64
	s_delay_alu instid0(VALU_DEP_1) | instskip(SKIP_1) | instid1(VALU_DEP_2)
	v_div_scale_f32 v62, null, v63, v63, 1.0
	v_div_scale_f32 v67, vcc_lo, 1.0, v63, 1.0
	v_rcp_f32_e32 v65, v62
	v_nop
	s_delay_alu instid0(TRANS32_DEP_1) | instskip(NEXT) | instid1(VALU_DEP_1)
	v_fma_f32 v66, -v62, v65, 1.0
	v_fmac_f32_e32 v65, v66, v65
	s_delay_alu instid0(VALU_DEP_1) | instskip(NEXT) | instid1(VALU_DEP_1)
	v_mul_f32_e32 v66, v67, v65
	v_fma_f32 v68, -v62, v66, v67
	s_delay_alu instid0(VALU_DEP_1) | instskip(NEXT) | instid1(VALU_DEP_1)
	v_fmac_f32_e32 v66, v68, v65
	v_fma_f32 v62, -v62, v66, v67
	s_delay_alu instid0(VALU_DEP_1) | instskip(NEXT) | instid1(VALU_DEP_1)
	v_div_fmas_f32 v62, v62, v65, v66
	v_div_fixup_f32 v62, v62, v63, 1.0
	s_delay_alu instid0(VALU_DEP_1)
	v_mul_f32_e32 v64, v64, v62
	v_xor_b32_e32 v65, 0x80000000, v62
                                        ; implicit-def: $vgpr62_vgpr63
.LBB27_23:
	s_and_not1_saveexec_b32 s1, s1
	s_cbranch_execz .LBB27_25
; %bb.24:
	v_div_scale_f32 v64, null, v62, v62, v63
	v_div_scale_f32 v67, vcc_lo, v63, v62, v63
	s_delay_alu instid0(VALU_DEP_2) | instskip(SKIP_1) | instid1(TRANS32_DEP_1)
	v_rcp_f32_e32 v65, v64
	v_nop
	v_fma_f32 v66, -v64, v65, 1.0
	s_delay_alu instid0(VALU_DEP_1) | instskip(NEXT) | instid1(VALU_DEP_1)
	v_fmac_f32_e32 v65, v66, v65
	v_mul_f32_e32 v66, v67, v65
	s_delay_alu instid0(VALU_DEP_1) | instskip(NEXT) | instid1(VALU_DEP_1)
	v_fma_f32 v68, -v64, v66, v67
	v_fmac_f32_e32 v66, v68, v65
	s_delay_alu instid0(VALU_DEP_1) | instskip(NEXT) | instid1(VALU_DEP_1)
	v_fma_f32 v64, -v64, v66, v67
	v_div_fmas_f32 v64, v64, v65, v66
	s_delay_alu instid0(VALU_DEP_1) | instskip(NEXT) | instid1(VALU_DEP_1)
	v_div_fixup_f32 v65, v64, v62, v63
	v_fmac_f32_e32 v62, v63, v65
	s_delay_alu instid0(VALU_DEP_1) | instskip(NEXT) | instid1(VALU_DEP_1)
	v_div_scale_f32 v63, null, v62, v62, 1.0
	v_rcp_f32_e32 v64, v63
	v_nop
	s_delay_alu instid0(TRANS32_DEP_1) | instskip(NEXT) | instid1(VALU_DEP_1)
	v_fma_f32 v66, -v63, v64, 1.0
	v_fmac_f32_e32 v64, v66, v64
	v_div_scale_f32 v66, vcc_lo, 1.0, v62, 1.0
	s_delay_alu instid0(VALU_DEP_1) | instskip(NEXT) | instid1(VALU_DEP_1)
	v_mul_f32_e32 v67, v66, v64
	v_fma_f32 v68, -v63, v67, v66
	s_delay_alu instid0(VALU_DEP_1) | instskip(NEXT) | instid1(VALU_DEP_1)
	v_fmac_f32_e32 v67, v68, v64
	v_fma_f32 v63, -v63, v67, v66
	s_delay_alu instid0(VALU_DEP_1) | instskip(NEXT) | instid1(VALU_DEP_1)
	v_div_fmas_f32 v63, v63, v64, v67
	v_div_fixup_f32 v64, v63, v62, 1.0
	s_delay_alu instid0(VALU_DEP_1)
	v_mul_f32_e64 v65, v65, -v64
.LBB27_25:
	s_or_b32 exec_lo, exec_lo, s1
	ds_store_b64 v87, v[64:65]
.LBB27_26:
	s_or_b32 exec_lo, exec_lo, s2
	s_wait_dscnt 0x0
	s_barrier_signal -1
	s_barrier_wait -1
	ds_load_b64 v[62:63], v87
	s_mov_b32 s1, exec_lo
	v_cmpx_lt_u32_e32 2, v86
	s_cbranch_execz .LBB27_28
; %bb.27:
	s_wait_dscnt 0x0
	v_pk_mul_f32 v[64:65], v[62:63], v[40:41] op_sel:[1,1] op_sel_hi:[0,1]
	s_delay_alu instid0(VALU_DEP_1)
	v_pk_fma_f32 v[68:69], v[62:63], v[40:41], v[64:65] op_sel_hi:[1,0,1] neg_lo:[0,0,1] neg_hi:[0,0,1]
	v_pk_fma_f32 v[70:71], v[62:63], v[40:41], v[64:65] op_sel_hi:[1,0,1]
	ds_load_2addr_b64 v[64:67], v88 offset0:3 offset1:4
	v_dual_mov_b32 v40, v68 :: v_dual_mov_b32 v41, v71
	s_wait_dscnt 0x0
	v_pk_mul_f32 v[72:73], v[64:65], v[70:71] op_sel:[0,1]
	s_delay_alu instid0(VALU_DEP_1) | instskip(SKIP_1) | instid1(VALU_DEP_1)
	v_pk_fma_f32 v[74:75], v[64:65], v[68:69], v[72:73] op_sel:[0,0,1] op_sel_hi:[1,1,0] neg_lo:[0,0,1] neg_hi:[0,0,1]
	v_pk_fma_f32 v[64:65], v[64:65], v[68:69], v[72:73] op_sel:[0,0,1] op_sel_hi:[1,0,0]
	v_mov_b32_e32 v75, v65
	v_pk_mul_f32 v[64:65], v[66:67], v[70:71] op_sel:[0,1]
	s_delay_alu instid0(VALU_DEP_1) | instskip(SKIP_1) | instid1(VALU_DEP_1)
	v_pk_fma_f32 v[72:73], v[66:67], v[68:69], v[64:65] op_sel:[0,0,1] op_sel_hi:[1,1,0] neg_lo:[0,0,1] neg_hi:[0,0,1]
	v_pk_fma_f32 v[64:65], v[66:67], v[68:69], v[64:65] op_sel:[0,0,1] op_sel_hi:[1,0,0]
	v_mov_b32_e32 v73, v65
	ds_load_2addr_b64 v[64:67], v88 offset0:5 offset1:6
	v_pk_add_f32 v[38:39], v[38:39], v[74:75] neg_lo:[0,1] neg_hi:[0,1]
	v_pk_add_f32 v[28:29], v[28:29], v[72:73] neg_lo:[0,1] neg_hi:[0,1]
	s_wait_dscnt 0x0
	v_pk_mul_f32 v[72:73], v[64:65], v[70:71] op_sel:[0,1]
	s_delay_alu instid0(VALU_DEP_1) | instskip(SKIP_2) | instid1(VALU_DEP_2)
	v_pk_fma_f32 v[74:75], v[64:65], v[68:69], v[72:73] op_sel:[0,0,1] op_sel_hi:[1,1,0] neg_lo:[0,0,1] neg_hi:[0,0,1]
	v_pk_fma_f32 v[64:65], v[64:65], v[68:69], v[72:73] op_sel:[0,0,1] op_sel_hi:[1,0,0]
	v_dual_mul_f32 v72, v67, v71 :: v_dual_mov_b32 v64, v67
	v_dual_mov_b32 v75, v65 :: v_dual_mov_b32 v65, v66
	s_delay_alu instid0(VALU_DEP_2) | instskip(SKIP_1) | instid1(VALU_DEP_3)
	v_pk_fma_f32 v[72:73], v[66:67], v[40:41], v[72:73] op_sel_hi:[1,1,0] neg_lo:[0,0,1] neg_hi:[0,0,1]
	v_mul_f32_e32 v66, v67, v68
	v_pk_add_f32 v[22:23], v[22:23], v[74:75] neg_lo:[0,1] neg_hi:[0,1]
	s_delay_alu instid0(VALU_DEP_2) | instskip(NEXT) | instid1(VALU_DEP_1)
	v_pk_fma_f32 v[64:65], v[64:65], v[40:41], v[66:67] op_sel_hi:[1,1,0]
	v_mov_b32_e32 v73, v65
	ds_load_2addr_b64 v[64:67], v88 offset0:7 offset1:8
	v_pk_add_f32 v[24:25], v[24:25], v[72:73] neg_lo:[0,1] neg_hi:[0,1]
	s_wait_dscnt 0x0
	v_pk_mul_f32 v[72:73], v[64:65], v[70:71] op_sel:[0,1]
	s_delay_alu instid0(VALU_DEP_1) | instskip(SKIP_1) | instid1(VALU_DEP_1)
	v_pk_fma_f32 v[74:75], v[64:65], v[68:69], v[72:73] op_sel:[0,0,1] op_sel_hi:[1,1,0] neg_lo:[0,0,1] neg_hi:[0,0,1]
	v_pk_fma_f32 v[64:65], v[64:65], v[68:69], v[72:73] op_sel:[0,0,1] op_sel_hi:[1,0,0]
	v_mov_b32_e32 v75, v65
	v_pk_mul_f32 v[64:65], v[66:67], v[70:71] op_sel:[0,1]
	s_delay_alu instid0(VALU_DEP_1) | instskip(SKIP_1) | instid1(VALU_DEP_1)
	v_pk_fma_f32 v[72:73], v[66:67], v[68:69], v[64:65] op_sel:[0,0,1] op_sel_hi:[1,1,0] neg_lo:[0,0,1] neg_hi:[0,0,1]
	v_pk_fma_f32 v[64:65], v[66:67], v[68:69], v[64:65] op_sel:[0,0,1] op_sel_hi:[1,0,0]
	v_mov_b32_e32 v73, v65
	ds_load_2addr_b64 v[64:67], v88 offset0:9 offset1:10
	v_pk_add_f32 v[20:21], v[20:21], v[74:75] neg_lo:[0,1] neg_hi:[0,1]
	v_pk_add_f32 v[46:47], v[46:47], v[72:73] neg_lo:[0,1] neg_hi:[0,1]
	s_wait_dscnt 0x0
	v_pk_mul_f32 v[72:73], v[64:65], v[70:71] op_sel:[0,1]
	s_delay_alu instid0(VALU_DEP_1) | instskip(SKIP_1) | instid1(VALU_DEP_1)
	v_pk_fma_f32 v[74:75], v[64:65], v[68:69], v[72:73] op_sel:[0,0,1] op_sel_hi:[1,1,0] neg_lo:[0,0,1] neg_hi:[0,0,1]
	v_pk_fma_f32 v[64:65], v[64:65], v[68:69], v[72:73] op_sel:[0,0,1] op_sel_hi:[1,0,0]
	v_mov_b32_e32 v75, v65
	v_pk_mul_f32 v[64:65], v[66:67], v[70:71] op_sel:[0,1]
	s_delay_alu instid0(VALU_DEP_1) | instskip(SKIP_1) | instid1(VALU_DEP_1)
	v_pk_fma_f32 v[72:73], v[66:67], v[68:69], v[64:65] op_sel:[0,0,1] op_sel_hi:[1,1,0] neg_lo:[0,0,1] neg_hi:[0,0,1]
	v_pk_fma_f32 v[64:65], v[66:67], v[68:69], v[64:65] op_sel:[0,0,1] op_sel_hi:[1,0,0]
	v_mov_b32_e32 v73, v65
	ds_load_2addr_b64 v[64:67], v88 offset0:11 offset1:12
	v_pk_add_f32 v[42:43], v[42:43], v[74:75] neg_lo:[0,1] neg_hi:[0,1]
	v_pk_add_f32 v[44:45], v[44:45], v[72:73] neg_lo:[0,1] neg_hi:[0,1]
	s_wait_dscnt 0x0
	v_dual_mul_f32 v72, v65, v71 :: v_dual_mul_f32 v74, v65, v68
	s_delay_alu instid0(VALU_DEP_1) | instskip(NEXT) | instid1(VALU_DEP_2)
	v_pk_fma_f32 v[72:73], v[64:65], v[40:41], v[72:73] op_sel_hi:[1,1,0] neg_lo:[0,0,1] neg_hi:[0,0,1]
	v_pk_fma_f32 v[64:65], v[64:65], v[40:41], v[74:75] op_sel:[1,0,0] op_sel_hi:[0,1,0]
	s_delay_alu instid0(VALU_DEP_1) | instskip(SKIP_1) | instid1(VALU_DEP_2)
	v_mov_b32_e32 v73, v65
	v_pk_mul_f32 v[64:65], v[66:67], v[70:71] op_sel:[0,1]
	v_pk_add_f32 v[50:51], v[50:51], v[72:73] neg_lo:[0,1] neg_hi:[0,1]
	s_delay_alu instid0(VALU_DEP_2) | instskip(SKIP_1) | instid1(VALU_DEP_1)
	v_pk_fma_f32 v[72:73], v[66:67], v[68:69], v[64:65] op_sel:[0,0,1] op_sel_hi:[1,1,0] neg_lo:[0,0,1] neg_hi:[0,0,1]
	v_pk_fma_f32 v[64:65], v[66:67], v[68:69], v[64:65] op_sel:[0,0,1] op_sel_hi:[1,0,0]
	v_mov_b32_e32 v73, v65
	ds_load_b64 v[64:65], v88 offset:104
	v_pk_add_f32 v[52:53], v[52:53], v[72:73] neg_lo:[0,1] neg_hi:[0,1]
	s_wait_dscnt 0x0
	v_pk_mul_f32 v[66:67], v[64:65], v[70:71] op_sel:[0,1]
	s_delay_alu instid0(VALU_DEP_1) | instskip(SKIP_1) | instid1(VALU_DEP_1)
	v_pk_fma_f32 v[70:71], v[64:65], v[68:69], v[66:67] op_sel:[0,0,1] op_sel_hi:[1,1,0] neg_lo:[0,0,1] neg_hi:[0,0,1]
	v_pk_fma_f32 v[64:65], v[64:65], v[68:69], v[66:67] op_sel:[0,0,1] op_sel_hi:[1,0,0]
	v_mov_b32_e32 v71, v65
	s_delay_alu instid0(VALU_DEP_1)
	v_pk_add_f32 v[54:55], v[54:55], v[70:71] neg_lo:[0,1] neg_hi:[0,1]
.LBB27_28:
	s_or_b32 exec_lo, exec_lo, s1
	s_delay_alu instid0(SALU_CYCLE_1)
	s_mov_b32 s2, exec_lo
	s_wait_dscnt 0x0
	s_barrier_signal -1
	s_barrier_wait -1
	v_cmpx_eq_u32_e32 3, v86
	s_cbranch_execz .LBB27_35
; %bb.29:
	v_dual_mov_b32 v64, v28 :: v_dual_mov_b32 v65, v29
	v_dual_mov_b32 v66, v22 :: v_dual_mov_b32 v67, v23
	ds_store_b64 v87, v[38:39]
	ds_store_2addr_b64 v88, v[64:65], v[66:67] offset0:4 offset1:5
	v_dual_mov_b32 v64, v24 :: v_dual_mov_b32 v65, v25
	v_dual_mov_b32 v66, v20 :: v_dual_mov_b32 v67, v21
	ds_store_2addr_b64 v88, v[64:65], v[66:67] offset0:6 offset1:7
	v_dual_mov_b32 v64, v46 :: v_dual_mov_b32 v65, v47
	v_dual_mov_b32 v66, v42 :: v_dual_mov_b32 v67, v43
	;; [unrolled: 3-line block ×3, first 2 shown]
	ds_store_2addr_b64 v88, v[64:65], v[66:67] offset0:10 offset1:11
	v_dual_mov_b32 v64, v52 :: v_dual_mov_b32 v65, v53
	ds_store_2addr_b64 v88, v[64:65], v[54:55] offset0:12 offset1:13
	ds_load_b64 v[64:65], v87
	s_wait_dscnt 0x0
	v_cmp_neq_f32_e32 vcc_lo, 0, v64
	v_cmp_neq_f32_e64 s1, 0, v65
	s_or_b32 s1, vcc_lo, s1
	s_delay_alu instid0(SALU_CYCLE_1)
	s_and_b32 exec_lo, exec_lo, s1
	s_cbranch_execz .LBB27_35
; %bb.30:
	v_cmp_ngt_f32_e64 s1, |v64|, |v65|
                                        ; implicit-def: $vgpr66_vgpr67
	s_and_saveexec_b32 s4, s1
	s_delay_alu instid0(SALU_CYCLE_1)
	s_xor_b32 s1, exec_lo, s4
	s_cbranch_execz .LBB27_32
; %bb.31:
	v_div_scale_f32 v66, null, v65, v65, v64
	v_div_scale_f32 v69, vcc_lo, v64, v65, v64
	s_delay_alu instid0(VALU_DEP_2) | instskip(SKIP_1) | instid1(TRANS32_DEP_1)
	v_rcp_f32_e32 v67, v66
	v_nop
	v_fma_f32 v68, -v66, v67, 1.0
	s_delay_alu instid0(VALU_DEP_1) | instskip(NEXT) | instid1(VALU_DEP_1)
	v_fmac_f32_e32 v67, v68, v67
	v_mul_f32_e32 v68, v69, v67
	s_delay_alu instid0(VALU_DEP_1) | instskip(NEXT) | instid1(VALU_DEP_1)
	v_fma_f32 v70, -v66, v68, v69
	v_fmac_f32_e32 v68, v70, v67
	s_delay_alu instid0(VALU_DEP_1) | instskip(NEXT) | instid1(VALU_DEP_1)
	v_fma_f32 v66, -v66, v68, v69
	v_div_fmas_f32 v66, v66, v67, v68
	s_delay_alu instid0(VALU_DEP_1) | instskip(NEXT) | instid1(VALU_DEP_1)
	v_div_fixup_f32 v66, v66, v65, v64
	v_fmac_f32_e32 v65, v64, v66
	s_delay_alu instid0(VALU_DEP_1) | instskip(SKIP_1) | instid1(VALU_DEP_2)
	v_div_scale_f32 v64, null, v65, v65, 1.0
	v_div_scale_f32 v69, vcc_lo, 1.0, v65, 1.0
	v_rcp_f32_e32 v67, v64
	v_nop
	s_delay_alu instid0(TRANS32_DEP_1) | instskip(NEXT) | instid1(VALU_DEP_1)
	v_fma_f32 v68, -v64, v67, 1.0
	v_fmac_f32_e32 v67, v68, v67
	s_delay_alu instid0(VALU_DEP_1) | instskip(NEXT) | instid1(VALU_DEP_1)
	v_mul_f32_e32 v68, v69, v67
	v_fma_f32 v70, -v64, v68, v69
	s_delay_alu instid0(VALU_DEP_1) | instskip(NEXT) | instid1(VALU_DEP_1)
	v_fmac_f32_e32 v68, v70, v67
	v_fma_f32 v64, -v64, v68, v69
	s_delay_alu instid0(VALU_DEP_1) | instskip(NEXT) | instid1(VALU_DEP_1)
	v_div_fmas_f32 v64, v64, v67, v68
	v_div_fixup_f32 v64, v64, v65, 1.0
	s_delay_alu instid0(VALU_DEP_1)
	v_mul_f32_e32 v66, v66, v64
	v_xor_b32_e32 v67, 0x80000000, v64
                                        ; implicit-def: $vgpr64_vgpr65
.LBB27_32:
	s_and_not1_saveexec_b32 s1, s1
	s_cbranch_execz .LBB27_34
; %bb.33:
	v_div_scale_f32 v66, null, v64, v64, v65
	v_div_scale_f32 v69, vcc_lo, v65, v64, v65
	s_delay_alu instid0(VALU_DEP_2) | instskip(SKIP_1) | instid1(TRANS32_DEP_1)
	v_rcp_f32_e32 v67, v66
	v_nop
	v_fma_f32 v68, -v66, v67, 1.0
	s_delay_alu instid0(VALU_DEP_1) | instskip(NEXT) | instid1(VALU_DEP_1)
	v_fmac_f32_e32 v67, v68, v67
	v_mul_f32_e32 v68, v69, v67
	s_delay_alu instid0(VALU_DEP_1) | instskip(NEXT) | instid1(VALU_DEP_1)
	v_fma_f32 v70, -v66, v68, v69
	v_fmac_f32_e32 v68, v70, v67
	s_delay_alu instid0(VALU_DEP_1) | instskip(NEXT) | instid1(VALU_DEP_1)
	v_fma_f32 v66, -v66, v68, v69
	v_div_fmas_f32 v66, v66, v67, v68
	s_delay_alu instid0(VALU_DEP_1) | instskip(NEXT) | instid1(VALU_DEP_1)
	v_div_fixup_f32 v67, v66, v64, v65
	v_fmac_f32_e32 v64, v65, v67
	s_delay_alu instid0(VALU_DEP_1) | instskip(NEXT) | instid1(VALU_DEP_1)
	v_div_scale_f32 v65, null, v64, v64, 1.0
	v_rcp_f32_e32 v66, v65
	v_nop
	s_delay_alu instid0(TRANS32_DEP_1) | instskip(NEXT) | instid1(VALU_DEP_1)
	v_fma_f32 v68, -v65, v66, 1.0
	v_fmac_f32_e32 v66, v68, v66
	v_div_scale_f32 v68, vcc_lo, 1.0, v64, 1.0
	s_delay_alu instid0(VALU_DEP_1) | instskip(NEXT) | instid1(VALU_DEP_1)
	v_mul_f32_e32 v69, v68, v66
	v_fma_f32 v70, -v65, v69, v68
	s_delay_alu instid0(VALU_DEP_1) | instskip(NEXT) | instid1(VALU_DEP_1)
	v_fmac_f32_e32 v69, v70, v66
	v_fma_f32 v65, -v65, v69, v68
	s_delay_alu instid0(VALU_DEP_1) | instskip(NEXT) | instid1(VALU_DEP_1)
	v_div_fmas_f32 v65, v65, v66, v69
	v_div_fixup_f32 v66, v65, v64, 1.0
	s_delay_alu instid0(VALU_DEP_1)
	v_mul_f32_e64 v67, v67, -v66
.LBB27_34:
	s_or_b32 exec_lo, exec_lo, s1
	ds_store_b64 v87, v[66:67]
.LBB27_35:
	s_or_b32 exec_lo, exec_lo, s2
	s_wait_dscnt 0x0
	s_barrier_signal -1
	s_barrier_wait -1
	ds_load_b64 v[64:65], v87
	s_mov_b32 s1, exec_lo
	v_cmpx_lt_u32_e32 3, v86
	s_cbranch_execz .LBB27_37
; %bb.36:
	s_wait_dscnt 0x0
	v_pk_mul_f32 v[66:67], v[64:65], v[38:39] op_sel:[1,1] op_sel_hi:[0,1]
	s_delay_alu instid0(VALU_DEP_1)
	v_pk_fma_f32 v[70:71], v[64:65], v[38:39], v[66:67] op_sel_hi:[1,0,1] neg_lo:[0,0,1] neg_hi:[0,0,1]
	v_pk_fma_f32 v[72:73], v[64:65], v[38:39], v[66:67] op_sel_hi:[1,0,1]
	ds_load_2addr_b64 v[66:69], v88 offset0:4 offset1:5
	v_dual_mov_b32 v38, v70 :: v_dual_mov_b32 v39, v73
	s_wait_dscnt 0x0
	v_pk_mul_f32 v[74:75], v[66:67], v[72:73] op_sel:[0,1]
	s_delay_alu instid0(VALU_DEP_1) | instskip(SKIP_1) | instid1(VALU_DEP_1)
	v_pk_fma_f32 v[76:77], v[66:67], v[70:71], v[74:75] op_sel:[0,0,1] op_sel_hi:[1,1,0] neg_lo:[0,0,1] neg_hi:[0,0,1]
	v_pk_fma_f32 v[66:67], v[66:67], v[70:71], v[74:75] op_sel:[0,0,1] op_sel_hi:[1,0,0]
	v_mov_b32_e32 v77, v67
	v_pk_mul_f32 v[66:67], v[68:69], v[72:73] op_sel:[0,1]
	s_delay_alu instid0(VALU_DEP_1) | instskip(SKIP_1) | instid1(VALU_DEP_1)
	v_pk_fma_f32 v[74:75], v[68:69], v[70:71], v[66:67] op_sel:[0,0,1] op_sel_hi:[1,1,0] neg_lo:[0,0,1] neg_hi:[0,0,1]
	v_pk_fma_f32 v[66:67], v[68:69], v[70:71], v[66:67] op_sel:[0,0,1] op_sel_hi:[1,0,0]
	v_mov_b32_e32 v75, v67
	ds_load_2addr_b64 v[66:69], v88 offset0:6 offset1:7
	v_pk_add_f32 v[28:29], v[28:29], v[76:77] neg_lo:[0,1] neg_hi:[0,1]
	v_pk_add_f32 v[22:23], v[22:23], v[74:75] neg_lo:[0,1] neg_hi:[0,1]
	s_wait_dscnt 0x0
	v_pk_mul_f32 v[74:75], v[66:67], v[72:73] op_sel:[0,1]
	s_delay_alu instid0(VALU_DEP_1) | instskip(SKIP_2) | instid1(VALU_DEP_2)
	v_pk_fma_f32 v[76:77], v[66:67], v[70:71], v[74:75] op_sel:[0,0,1] op_sel_hi:[1,1,0] neg_lo:[0,0,1] neg_hi:[0,0,1]
	v_pk_fma_f32 v[66:67], v[66:67], v[70:71], v[74:75] op_sel:[0,0,1] op_sel_hi:[1,0,0]
	v_dual_mul_f32 v74, v69, v73 :: v_dual_mov_b32 v66, v69
	v_dual_mov_b32 v77, v67 :: v_dual_mov_b32 v67, v68
	s_delay_alu instid0(VALU_DEP_2) | instskip(SKIP_1) | instid1(VALU_DEP_3)
	v_pk_fma_f32 v[74:75], v[68:69], v[38:39], v[74:75] op_sel_hi:[1,1,0] neg_lo:[0,0,1] neg_hi:[0,0,1]
	v_mul_f32_e32 v68, v69, v70
	v_pk_add_f32 v[24:25], v[24:25], v[76:77] neg_lo:[0,1] neg_hi:[0,1]
	s_delay_alu instid0(VALU_DEP_2) | instskip(NEXT) | instid1(VALU_DEP_1)
	v_pk_fma_f32 v[66:67], v[66:67], v[38:39], v[68:69] op_sel_hi:[1,1,0]
	v_mov_b32_e32 v75, v67
	ds_load_2addr_b64 v[66:69], v88 offset0:8 offset1:9
	v_pk_add_f32 v[20:21], v[20:21], v[74:75] neg_lo:[0,1] neg_hi:[0,1]
	s_wait_dscnt 0x0
	v_pk_mul_f32 v[74:75], v[66:67], v[72:73] op_sel:[0,1]
	s_delay_alu instid0(VALU_DEP_1) | instskip(SKIP_1) | instid1(VALU_DEP_1)
	v_pk_fma_f32 v[76:77], v[66:67], v[70:71], v[74:75] op_sel:[0,0,1] op_sel_hi:[1,1,0] neg_lo:[0,0,1] neg_hi:[0,0,1]
	v_pk_fma_f32 v[66:67], v[66:67], v[70:71], v[74:75] op_sel:[0,0,1] op_sel_hi:[1,0,0]
	v_mov_b32_e32 v77, v67
	v_pk_mul_f32 v[66:67], v[68:69], v[72:73] op_sel:[0,1]
	s_delay_alu instid0(VALU_DEP_1) | instskip(SKIP_1) | instid1(VALU_DEP_1)
	v_pk_fma_f32 v[74:75], v[68:69], v[70:71], v[66:67] op_sel:[0,0,1] op_sel_hi:[1,1,0] neg_lo:[0,0,1] neg_hi:[0,0,1]
	v_pk_fma_f32 v[66:67], v[68:69], v[70:71], v[66:67] op_sel:[0,0,1] op_sel_hi:[1,0,0]
	v_mov_b32_e32 v75, v67
	ds_load_2addr_b64 v[66:69], v88 offset0:10 offset1:11
	v_pk_add_f32 v[46:47], v[46:47], v[76:77] neg_lo:[0,1] neg_hi:[0,1]
	v_pk_add_f32 v[42:43], v[42:43], v[74:75] neg_lo:[0,1] neg_hi:[0,1]
	s_wait_dscnt 0x0
	v_pk_mul_f32 v[74:75], v[66:67], v[72:73] op_sel:[0,1]
	s_delay_alu instid0(VALU_DEP_1) | instskip(SKIP_1) | instid1(VALU_DEP_1)
	v_pk_fma_f32 v[76:77], v[66:67], v[70:71], v[74:75] op_sel:[0,0,1] op_sel_hi:[1,1,0] neg_lo:[0,0,1] neg_hi:[0,0,1]
	v_pk_fma_f32 v[66:67], v[66:67], v[70:71], v[74:75] op_sel:[0,0,1] op_sel_hi:[1,0,0]
	v_mov_b32_e32 v77, v67
	v_pk_mul_f32 v[66:67], v[68:69], v[72:73] op_sel:[0,1]
	s_delay_alu instid0(VALU_DEP_1) | instskip(SKIP_1) | instid1(VALU_DEP_1)
	v_pk_fma_f32 v[74:75], v[68:69], v[70:71], v[66:67] op_sel:[0,0,1] op_sel_hi:[1,1,0] neg_lo:[0,0,1] neg_hi:[0,0,1]
	v_pk_fma_f32 v[66:67], v[68:69], v[70:71], v[66:67] op_sel:[0,0,1] op_sel_hi:[1,0,0]
	v_mov_b32_e32 v75, v67
	ds_load_2addr_b64 v[66:69], v88 offset0:12 offset1:13
	v_pk_add_f32 v[44:45], v[44:45], v[76:77] neg_lo:[0,1] neg_hi:[0,1]
	v_pk_add_f32 v[50:51], v[50:51], v[74:75] neg_lo:[0,1] neg_hi:[0,1]
	s_wait_dscnt 0x0
	v_dual_mul_f32 v74, v67, v73 :: v_dual_mul_f32 v76, v67, v70
	s_delay_alu instid0(VALU_DEP_1) | instskip(NEXT) | instid1(VALU_DEP_2)
	v_pk_fma_f32 v[74:75], v[66:67], v[38:39], v[74:75] op_sel_hi:[1,1,0] neg_lo:[0,0,1] neg_hi:[0,0,1]
	v_pk_fma_f32 v[66:67], v[66:67], v[38:39], v[76:77] op_sel:[1,0,0] op_sel_hi:[0,1,0]
	s_delay_alu instid0(VALU_DEP_1) | instskip(SKIP_1) | instid1(VALU_DEP_1)
	v_mov_b32_e32 v75, v67
	v_pk_mul_f32 v[66:67], v[68:69], v[72:73] op_sel:[0,1]
	v_pk_fma_f32 v[72:73], v[68:69], v[70:71], v[66:67] op_sel:[0,0,1] op_sel_hi:[1,1,0] neg_lo:[0,0,1] neg_hi:[0,0,1]
	v_pk_fma_f32 v[66:67], v[68:69], v[70:71], v[66:67] op_sel:[0,0,1] op_sel_hi:[1,0,0]
	s_delay_alu instid0(VALU_DEP_1) | instskip(SKIP_1) | instid1(VALU_DEP_2)
	v_mov_b32_e32 v73, v67
	v_pk_add_f32 v[52:53], v[52:53], v[74:75] neg_lo:[0,1] neg_hi:[0,1]
	v_pk_add_f32 v[54:55], v[54:55], v[72:73] neg_lo:[0,1] neg_hi:[0,1]
.LBB27_37:
	s_or_b32 exec_lo, exec_lo, s1
	s_delay_alu instid0(SALU_CYCLE_1)
	s_mov_b32 s2, exec_lo
	s_wait_dscnt 0x0
	s_barrier_signal -1
	s_barrier_wait -1
	v_cmpx_eq_u32_e32 4, v86
	s_cbranch_execz .LBB27_44
; %bb.38:
	ds_store_b64 v87, v[28:29]
	ds_store_2addr_b64 v88, v[22:23], v[24:25] offset0:5 offset1:6
	ds_store_2addr_b64 v88, v[20:21], v[46:47] offset0:7 offset1:8
	;; [unrolled: 1-line block ×4, first 2 shown]
	ds_store_b64 v88, v[54:55] offset:104
	ds_load_b64 v[66:67], v87
	s_wait_dscnt 0x0
	v_cmp_neq_f32_e32 vcc_lo, 0, v66
	v_cmp_neq_f32_e64 s1, 0, v67
	s_or_b32 s1, vcc_lo, s1
	s_delay_alu instid0(SALU_CYCLE_1)
	s_and_b32 exec_lo, exec_lo, s1
	s_cbranch_execz .LBB27_44
; %bb.39:
	v_cmp_ngt_f32_e64 s1, |v66|, |v67|
                                        ; implicit-def: $vgpr68_vgpr69
	s_and_saveexec_b32 s4, s1
	s_delay_alu instid0(SALU_CYCLE_1)
	s_xor_b32 s1, exec_lo, s4
	s_cbranch_execz .LBB27_41
; %bb.40:
	v_div_scale_f32 v68, null, v67, v67, v66
	v_div_scale_f32 v71, vcc_lo, v66, v67, v66
	s_delay_alu instid0(VALU_DEP_2) | instskip(SKIP_1) | instid1(TRANS32_DEP_1)
	v_rcp_f32_e32 v69, v68
	v_nop
	v_fma_f32 v70, -v68, v69, 1.0
	s_delay_alu instid0(VALU_DEP_1) | instskip(NEXT) | instid1(VALU_DEP_1)
	v_fmac_f32_e32 v69, v70, v69
	v_mul_f32_e32 v70, v71, v69
	s_delay_alu instid0(VALU_DEP_1) | instskip(NEXT) | instid1(VALU_DEP_1)
	v_fma_f32 v72, -v68, v70, v71
	v_fmac_f32_e32 v70, v72, v69
	s_delay_alu instid0(VALU_DEP_1) | instskip(NEXT) | instid1(VALU_DEP_1)
	v_fma_f32 v68, -v68, v70, v71
	v_div_fmas_f32 v68, v68, v69, v70
	s_delay_alu instid0(VALU_DEP_1) | instskip(NEXT) | instid1(VALU_DEP_1)
	v_div_fixup_f32 v68, v68, v67, v66
	v_fmac_f32_e32 v67, v66, v68
	s_delay_alu instid0(VALU_DEP_1) | instskip(SKIP_1) | instid1(VALU_DEP_2)
	v_div_scale_f32 v66, null, v67, v67, 1.0
	v_div_scale_f32 v71, vcc_lo, 1.0, v67, 1.0
	v_rcp_f32_e32 v69, v66
	v_nop
	s_delay_alu instid0(TRANS32_DEP_1) | instskip(NEXT) | instid1(VALU_DEP_1)
	v_fma_f32 v70, -v66, v69, 1.0
	v_fmac_f32_e32 v69, v70, v69
	s_delay_alu instid0(VALU_DEP_1) | instskip(NEXT) | instid1(VALU_DEP_1)
	v_mul_f32_e32 v70, v71, v69
	v_fma_f32 v72, -v66, v70, v71
	s_delay_alu instid0(VALU_DEP_1) | instskip(NEXT) | instid1(VALU_DEP_1)
	v_fmac_f32_e32 v70, v72, v69
	v_fma_f32 v66, -v66, v70, v71
	s_delay_alu instid0(VALU_DEP_1) | instskip(NEXT) | instid1(VALU_DEP_1)
	v_div_fmas_f32 v66, v66, v69, v70
	v_div_fixup_f32 v66, v66, v67, 1.0
	s_delay_alu instid0(VALU_DEP_1)
	v_mul_f32_e32 v68, v68, v66
	v_xor_b32_e32 v69, 0x80000000, v66
                                        ; implicit-def: $vgpr66_vgpr67
.LBB27_41:
	s_and_not1_saveexec_b32 s1, s1
	s_cbranch_execz .LBB27_43
; %bb.42:
	v_div_scale_f32 v68, null, v66, v66, v67
	v_div_scale_f32 v71, vcc_lo, v67, v66, v67
	s_delay_alu instid0(VALU_DEP_2) | instskip(SKIP_1) | instid1(TRANS32_DEP_1)
	v_rcp_f32_e32 v69, v68
	v_nop
	v_fma_f32 v70, -v68, v69, 1.0
	s_delay_alu instid0(VALU_DEP_1) | instskip(NEXT) | instid1(VALU_DEP_1)
	v_fmac_f32_e32 v69, v70, v69
	v_mul_f32_e32 v70, v71, v69
	s_delay_alu instid0(VALU_DEP_1) | instskip(NEXT) | instid1(VALU_DEP_1)
	v_fma_f32 v72, -v68, v70, v71
	v_fmac_f32_e32 v70, v72, v69
	s_delay_alu instid0(VALU_DEP_1) | instskip(NEXT) | instid1(VALU_DEP_1)
	v_fma_f32 v68, -v68, v70, v71
	v_div_fmas_f32 v68, v68, v69, v70
	s_delay_alu instid0(VALU_DEP_1) | instskip(NEXT) | instid1(VALU_DEP_1)
	v_div_fixup_f32 v69, v68, v66, v67
	v_fmac_f32_e32 v66, v67, v69
	s_delay_alu instid0(VALU_DEP_1) | instskip(NEXT) | instid1(VALU_DEP_1)
	v_div_scale_f32 v67, null, v66, v66, 1.0
	v_rcp_f32_e32 v68, v67
	v_nop
	s_delay_alu instid0(TRANS32_DEP_1) | instskip(NEXT) | instid1(VALU_DEP_1)
	v_fma_f32 v70, -v67, v68, 1.0
	v_fmac_f32_e32 v68, v70, v68
	v_div_scale_f32 v70, vcc_lo, 1.0, v66, 1.0
	s_delay_alu instid0(VALU_DEP_1) | instskip(NEXT) | instid1(VALU_DEP_1)
	v_mul_f32_e32 v71, v70, v68
	v_fma_f32 v72, -v67, v71, v70
	s_delay_alu instid0(VALU_DEP_1) | instskip(NEXT) | instid1(VALU_DEP_1)
	v_fmac_f32_e32 v71, v72, v68
	v_fma_f32 v67, -v67, v71, v70
	s_delay_alu instid0(VALU_DEP_1) | instskip(NEXT) | instid1(VALU_DEP_1)
	v_div_fmas_f32 v67, v67, v68, v71
	v_div_fixup_f32 v68, v67, v66, 1.0
	s_delay_alu instid0(VALU_DEP_1)
	v_mul_f32_e64 v69, v69, -v68
.LBB27_43:
	s_or_b32 exec_lo, exec_lo, s1
	ds_store_b64 v87, v[68:69]
.LBB27_44:
	s_or_b32 exec_lo, exec_lo, s2
	s_wait_dscnt 0x0
	s_barrier_signal -1
	s_barrier_wait -1
	ds_load_b64 v[66:67], v87
	s_mov_b32 s1, exec_lo
	v_cmpx_lt_u32_e32 4, v86
	s_cbranch_execz .LBB27_46
; %bb.45:
	s_wait_dscnt 0x0
	v_pk_mul_f32 v[68:69], v[66:67], v[28:29] op_sel:[1,1] op_sel_hi:[0,1]
	s_delay_alu instid0(VALU_DEP_1)
	v_pk_fma_f32 v[72:73], v[66:67], v[28:29], v[68:69] op_sel_hi:[1,0,1] neg_lo:[0,0,1] neg_hi:[0,0,1]
	v_pk_fma_f32 v[74:75], v[66:67], v[28:29], v[68:69] op_sel_hi:[1,0,1]
	ds_load_2addr_b64 v[68:71], v88 offset0:5 offset1:6
	v_dual_mov_b32 v28, v72 :: v_dual_mov_b32 v29, v75
	s_wait_dscnt 0x0
	v_pk_mul_f32 v[76:77], v[68:69], v[74:75] op_sel:[0,1]
	s_delay_alu instid0(VALU_DEP_1) | instskip(SKIP_1) | instid1(VALU_DEP_1)
	v_pk_fma_f32 v[78:79], v[68:69], v[72:73], v[76:77] op_sel:[0,0,1] op_sel_hi:[1,1,0] neg_lo:[0,0,1] neg_hi:[0,0,1]
	v_pk_fma_f32 v[68:69], v[68:69], v[72:73], v[76:77] op_sel:[0,0,1] op_sel_hi:[1,0,0]
	v_mov_b32_e32 v79, v69
	v_pk_mul_f32 v[68:69], v[70:71], v[74:75] op_sel:[0,1]
	s_delay_alu instid0(VALU_DEP_1) | instskip(SKIP_1) | instid1(VALU_DEP_1)
	v_pk_fma_f32 v[76:77], v[70:71], v[72:73], v[68:69] op_sel:[0,0,1] op_sel_hi:[1,1,0] neg_lo:[0,0,1] neg_hi:[0,0,1]
	v_pk_fma_f32 v[68:69], v[70:71], v[72:73], v[68:69] op_sel:[0,0,1] op_sel_hi:[1,0,0]
	v_mov_b32_e32 v77, v69
	ds_load_2addr_b64 v[68:71], v88 offset0:7 offset1:8
	v_pk_add_f32 v[22:23], v[22:23], v[78:79] neg_lo:[0,1] neg_hi:[0,1]
	v_pk_add_f32 v[24:25], v[24:25], v[76:77] neg_lo:[0,1] neg_hi:[0,1]
	s_wait_dscnt 0x0
	v_pk_mul_f32 v[76:77], v[68:69], v[74:75] op_sel:[0,1]
	s_delay_alu instid0(VALU_DEP_1) | instskip(SKIP_2) | instid1(VALU_DEP_2)
	v_pk_fma_f32 v[78:79], v[68:69], v[72:73], v[76:77] op_sel:[0,0,1] op_sel_hi:[1,1,0] neg_lo:[0,0,1] neg_hi:[0,0,1]
	v_pk_fma_f32 v[68:69], v[68:69], v[72:73], v[76:77] op_sel:[0,0,1] op_sel_hi:[1,0,0]
	v_dual_mul_f32 v76, v71, v75 :: v_dual_mov_b32 v68, v71
	v_dual_mov_b32 v79, v69 :: v_dual_mov_b32 v69, v70
	s_delay_alu instid0(VALU_DEP_2) | instskip(SKIP_1) | instid1(VALU_DEP_3)
	v_pk_fma_f32 v[76:77], v[70:71], v[28:29], v[76:77] op_sel_hi:[1,1,0] neg_lo:[0,0,1] neg_hi:[0,0,1]
	v_mul_f32_e32 v70, v71, v72
	v_pk_add_f32 v[20:21], v[20:21], v[78:79] neg_lo:[0,1] neg_hi:[0,1]
	s_delay_alu instid0(VALU_DEP_2) | instskip(NEXT) | instid1(VALU_DEP_1)
	v_pk_fma_f32 v[68:69], v[68:69], v[28:29], v[70:71] op_sel_hi:[1,1,0]
	v_mov_b32_e32 v77, v69
	ds_load_2addr_b64 v[68:71], v88 offset0:9 offset1:10
	v_pk_add_f32 v[46:47], v[46:47], v[76:77] neg_lo:[0,1] neg_hi:[0,1]
	s_wait_dscnt 0x0
	v_pk_mul_f32 v[76:77], v[68:69], v[74:75] op_sel:[0,1]
	s_delay_alu instid0(VALU_DEP_1) | instskip(SKIP_1) | instid1(VALU_DEP_1)
	v_pk_fma_f32 v[78:79], v[68:69], v[72:73], v[76:77] op_sel:[0,0,1] op_sel_hi:[1,1,0] neg_lo:[0,0,1] neg_hi:[0,0,1]
	v_pk_fma_f32 v[68:69], v[68:69], v[72:73], v[76:77] op_sel:[0,0,1] op_sel_hi:[1,0,0]
	v_mov_b32_e32 v79, v69
	v_pk_mul_f32 v[68:69], v[70:71], v[74:75] op_sel:[0,1]
	s_delay_alu instid0(VALU_DEP_1) | instskip(SKIP_1) | instid1(VALU_DEP_1)
	v_pk_fma_f32 v[76:77], v[70:71], v[72:73], v[68:69] op_sel:[0,0,1] op_sel_hi:[1,1,0] neg_lo:[0,0,1] neg_hi:[0,0,1]
	v_pk_fma_f32 v[68:69], v[70:71], v[72:73], v[68:69] op_sel:[0,0,1] op_sel_hi:[1,0,0]
	v_mov_b32_e32 v77, v69
	ds_load_2addr_b64 v[68:71], v88 offset0:11 offset1:12
	v_pk_add_f32 v[42:43], v[42:43], v[78:79] neg_lo:[0,1] neg_hi:[0,1]
	v_pk_add_f32 v[44:45], v[44:45], v[76:77] neg_lo:[0,1] neg_hi:[0,1]
	s_wait_dscnt 0x0
	v_pk_mul_f32 v[76:77], v[68:69], v[74:75] op_sel:[0,1]
	s_delay_alu instid0(VALU_DEP_1) | instskip(SKIP_1) | instid1(VALU_DEP_1)
	v_pk_fma_f32 v[78:79], v[68:69], v[72:73], v[76:77] op_sel:[0,0,1] op_sel_hi:[1,1,0] neg_lo:[0,0,1] neg_hi:[0,0,1]
	v_pk_fma_f32 v[68:69], v[68:69], v[72:73], v[76:77] op_sel:[0,0,1] op_sel_hi:[1,0,0]
	v_mov_b32_e32 v79, v69
	v_pk_mul_f32 v[68:69], v[70:71], v[74:75] op_sel:[0,1]
	s_delay_alu instid0(VALU_DEP_1) | instskip(SKIP_1) | instid1(VALU_DEP_1)
	v_pk_fma_f32 v[76:77], v[70:71], v[72:73], v[68:69] op_sel:[0,0,1] op_sel_hi:[1,1,0] neg_lo:[0,0,1] neg_hi:[0,0,1]
	v_pk_fma_f32 v[68:69], v[70:71], v[72:73], v[68:69] op_sel:[0,0,1] op_sel_hi:[1,0,0]
	v_mov_b32_e32 v77, v69
	ds_load_b64 v[68:69], v88 offset:104
	v_pk_add_f32 v[50:51], v[50:51], v[78:79] neg_lo:[0,1] neg_hi:[0,1]
	v_pk_add_f32 v[52:53], v[52:53], v[76:77] neg_lo:[0,1] neg_hi:[0,1]
	s_wait_dscnt 0x0
	v_pk_mul_f32 v[70:71], v[68:69], v[74:75] op_sel:[0,1]
	s_delay_alu instid0(VALU_DEP_1) | instskip(SKIP_1) | instid1(VALU_DEP_1)
	v_pk_fma_f32 v[74:75], v[68:69], v[72:73], v[70:71] op_sel:[0,0,1] op_sel_hi:[1,1,0] neg_lo:[0,0,1] neg_hi:[0,0,1]
	v_pk_fma_f32 v[68:69], v[68:69], v[72:73], v[70:71] op_sel:[0,0,1] op_sel_hi:[1,0,0]
	v_mov_b32_e32 v75, v69
	s_delay_alu instid0(VALU_DEP_1)
	v_pk_add_f32 v[54:55], v[54:55], v[74:75] neg_lo:[0,1] neg_hi:[0,1]
.LBB27_46:
	s_or_b32 exec_lo, exec_lo, s1
	s_delay_alu instid0(SALU_CYCLE_1)
	s_mov_b32 s2, exec_lo
	s_wait_dscnt 0x0
	s_barrier_signal -1
	s_barrier_wait -1
	v_cmpx_eq_u32_e32 5, v86
	s_cbranch_execz .LBB27_53
; %bb.47:
	v_dual_mov_b32 v68, v24 :: v_dual_mov_b32 v69, v25
	v_dual_mov_b32 v70, v20 :: v_dual_mov_b32 v71, v21
	;; [unrolled: 1-line block ×7, first 2 shown]
	ds_store_b64 v87, v[22:23]
	ds_store_2addr_b64 v88, v[68:69], v[70:71] offset0:6 offset1:7
	ds_store_2addr_b64 v88, v[72:73], v[74:75] offset0:8 offset1:9
	;; [unrolled: 1-line block ×4, first 2 shown]
	ds_load_b64 v[68:69], v87
	s_wait_dscnt 0x0
	v_cmp_neq_f32_e32 vcc_lo, 0, v68
	v_cmp_neq_f32_e64 s1, 0, v69
	s_or_b32 s1, vcc_lo, s1
	s_delay_alu instid0(SALU_CYCLE_1)
	s_and_b32 exec_lo, exec_lo, s1
	s_cbranch_execz .LBB27_53
; %bb.48:
	v_cmp_ngt_f32_e64 s1, |v68|, |v69|
                                        ; implicit-def: $vgpr70_vgpr71
	s_and_saveexec_b32 s4, s1
	s_delay_alu instid0(SALU_CYCLE_1)
	s_xor_b32 s1, exec_lo, s4
	s_cbranch_execz .LBB27_50
; %bb.49:
	v_div_scale_f32 v70, null, v69, v69, v68
	v_div_scale_f32 v73, vcc_lo, v68, v69, v68
	s_delay_alu instid0(VALU_DEP_2) | instskip(SKIP_1) | instid1(TRANS32_DEP_1)
	v_rcp_f32_e32 v71, v70
	v_nop
	v_fma_f32 v72, -v70, v71, 1.0
	s_delay_alu instid0(VALU_DEP_1) | instskip(NEXT) | instid1(VALU_DEP_1)
	v_fmac_f32_e32 v71, v72, v71
	v_mul_f32_e32 v72, v73, v71
	s_delay_alu instid0(VALU_DEP_1) | instskip(NEXT) | instid1(VALU_DEP_1)
	v_fma_f32 v74, -v70, v72, v73
	v_fmac_f32_e32 v72, v74, v71
	s_delay_alu instid0(VALU_DEP_1) | instskip(NEXT) | instid1(VALU_DEP_1)
	v_fma_f32 v70, -v70, v72, v73
	v_div_fmas_f32 v70, v70, v71, v72
	s_delay_alu instid0(VALU_DEP_1) | instskip(NEXT) | instid1(VALU_DEP_1)
	v_div_fixup_f32 v70, v70, v69, v68
	v_fmac_f32_e32 v69, v68, v70
	s_delay_alu instid0(VALU_DEP_1) | instskip(SKIP_1) | instid1(VALU_DEP_2)
	v_div_scale_f32 v68, null, v69, v69, 1.0
	v_div_scale_f32 v73, vcc_lo, 1.0, v69, 1.0
	v_rcp_f32_e32 v71, v68
	v_nop
	s_delay_alu instid0(TRANS32_DEP_1) | instskip(NEXT) | instid1(VALU_DEP_1)
	v_fma_f32 v72, -v68, v71, 1.0
	v_fmac_f32_e32 v71, v72, v71
	s_delay_alu instid0(VALU_DEP_1) | instskip(NEXT) | instid1(VALU_DEP_1)
	v_mul_f32_e32 v72, v73, v71
	v_fma_f32 v74, -v68, v72, v73
	s_delay_alu instid0(VALU_DEP_1) | instskip(NEXT) | instid1(VALU_DEP_1)
	v_fmac_f32_e32 v72, v74, v71
	v_fma_f32 v68, -v68, v72, v73
	s_delay_alu instid0(VALU_DEP_1) | instskip(NEXT) | instid1(VALU_DEP_1)
	v_div_fmas_f32 v68, v68, v71, v72
	v_div_fixup_f32 v68, v68, v69, 1.0
	s_delay_alu instid0(VALU_DEP_1)
	v_mul_f32_e32 v70, v70, v68
	v_xor_b32_e32 v71, 0x80000000, v68
                                        ; implicit-def: $vgpr68_vgpr69
.LBB27_50:
	s_and_not1_saveexec_b32 s1, s1
	s_cbranch_execz .LBB27_52
; %bb.51:
	v_div_scale_f32 v70, null, v68, v68, v69
	v_div_scale_f32 v73, vcc_lo, v69, v68, v69
	s_delay_alu instid0(VALU_DEP_2) | instskip(SKIP_1) | instid1(TRANS32_DEP_1)
	v_rcp_f32_e32 v71, v70
	v_nop
	v_fma_f32 v72, -v70, v71, 1.0
	s_delay_alu instid0(VALU_DEP_1) | instskip(NEXT) | instid1(VALU_DEP_1)
	v_fmac_f32_e32 v71, v72, v71
	v_mul_f32_e32 v72, v73, v71
	s_delay_alu instid0(VALU_DEP_1) | instskip(NEXT) | instid1(VALU_DEP_1)
	v_fma_f32 v74, -v70, v72, v73
	v_fmac_f32_e32 v72, v74, v71
	s_delay_alu instid0(VALU_DEP_1) | instskip(NEXT) | instid1(VALU_DEP_1)
	v_fma_f32 v70, -v70, v72, v73
	v_div_fmas_f32 v70, v70, v71, v72
	s_delay_alu instid0(VALU_DEP_1) | instskip(NEXT) | instid1(VALU_DEP_1)
	v_div_fixup_f32 v71, v70, v68, v69
	v_fmac_f32_e32 v68, v69, v71
	s_delay_alu instid0(VALU_DEP_1) | instskip(NEXT) | instid1(VALU_DEP_1)
	v_div_scale_f32 v69, null, v68, v68, 1.0
	v_rcp_f32_e32 v70, v69
	v_nop
	s_delay_alu instid0(TRANS32_DEP_1) | instskip(NEXT) | instid1(VALU_DEP_1)
	v_fma_f32 v72, -v69, v70, 1.0
	v_fmac_f32_e32 v70, v72, v70
	v_div_scale_f32 v72, vcc_lo, 1.0, v68, 1.0
	s_delay_alu instid0(VALU_DEP_1) | instskip(NEXT) | instid1(VALU_DEP_1)
	v_mul_f32_e32 v73, v72, v70
	v_fma_f32 v74, -v69, v73, v72
	s_delay_alu instid0(VALU_DEP_1) | instskip(NEXT) | instid1(VALU_DEP_1)
	v_fmac_f32_e32 v73, v74, v70
	v_fma_f32 v69, -v69, v73, v72
	s_delay_alu instid0(VALU_DEP_1) | instskip(NEXT) | instid1(VALU_DEP_1)
	v_div_fmas_f32 v69, v69, v70, v73
	v_div_fixup_f32 v70, v69, v68, 1.0
	s_delay_alu instid0(VALU_DEP_1)
	v_mul_f32_e64 v71, v71, -v70
.LBB27_52:
	s_or_b32 exec_lo, exec_lo, s1
	ds_store_b64 v87, v[70:71]
.LBB27_53:
	s_or_b32 exec_lo, exec_lo, s2
	s_wait_dscnt 0x0
	s_barrier_signal -1
	s_barrier_wait -1
	ds_load_b64 v[68:69], v87
	s_mov_b32 s1, exec_lo
	v_cmpx_lt_u32_e32 5, v86
	s_cbranch_execz .LBB27_55
; %bb.54:
	s_wait_dscnt 0x0
	v_pk_mul_f32 v[70:71], v[68:69], v[22:23] op_sel:[1,1] op_sel_hi:[0,1]
	s_delay_alu instid0(VALU_DEP_1)
	v_pk_fma_f32 v[74:75], v[68:69], v[22:23], v[70:71] op_sel_hi:[1,0,1] neg_lo:[0,0,1] neg_hi:[0,0,1]
	v_pk_fma_f32 v[76:77], v[68:69], v[22:23], v[70:71] op_sel_hi:[1,0,1]
	ds_load_2addr_b64 v[70:73], v88 offset0:6 offset1:7
	v_dual_mov_b32 v22, v74 :: v_dual_mov_b32 v23, v77
	s_wait_dscnt 0x0
	v_pk_mul_f32 v[78:79], v[70:71], v[76:77] op_sel:[0,1]
	s_delay_alu instid0(VALU_DEP_1) | instskip(SKIP_1) | instid1(VALU_DEP_1)
	v_pk_fma_f32 v[80:81], v[70:71], v[74:75], v[78:79] op_sel:[0,0,1] op_sel_hi:[1,1,0] neg_lo:[0,0,1] neg_hi:[0,0,1]
	v_pk_fma_f32 v[70:71], v[70:71], v[74:75], v[78:79] op_sel:[0,0,1] op_sel_hi:[1,0,0]
	v_mov_b32_e32 v81, v71
	v_pk_mul_f32 v[70:71], v[72:73], v[76:77] op_sel:[0,1]
	s_delay_alu instid0(VALU_DEP_1) | instskip(SKIP_1) | instid1(VALU_DEP_1)
	v_pk_fma_f32 v[78:79], v[72:73], v[74:75], v[70:71] op_sel:[0,0,1] op_sel_hi:[1,1,0] neg_lo:[0,0,1] neg_hi:[0,0,1]
	v_pk_fma_f32 v[70:71], v[72:73], v[74:75], v[70:71] op_sel:[0,0,1] op_sel_hi:[1,0,0]
	v_mov_b32_e32 v79, v71
	ds_load_2addr_b64 v[70:73], v88 offset0:8 offset1:9
	v_pk_add_f32 v[24:25], v[24:25], v[80:81] neg_lo:[0,1] neg_hi:[0,1]
	v_pk_add_f32 v[20:21], v[20:21], v[78:79] neg_lo:[0,1] neg_hi:[0,1]
	s_wait_dscnt 0x0
	v_pk_mul_f32 v[78:79], v[70:71], v[76:77] op_sel:[0,1]
	s_delay_alu instid0(VALU_DEP_1) | instskip(SKIP_2) | instid1(VALU_DEP_2)
	v_pk_fma_f32 v[80:81], v[70:71], v[74:75], v[78:79] op_sel:[0,0,1] op_sel_hi:[1,1,0] neg_lo:[0,0,1] neg_hi:[0,0,1]
	v_pk_fma_f32 v[70:71], v[70:71], v[74:75], v[78:79] op_sel:[0,0,1] op_sel_hi:[1,0,0]
	v_dual_mul_f32 v78, v73, v77 :: v_dual_mov_b32 v70, v73
	v_dual_mov_b32 v81, v71 :: v_dual_mov_b32 v71, v72
	s_delay_alu instid0(VALU_DEP_2) | instskip(SKIP_1) | instid1(VALU_DEP_3)
	v_pk_fma_f32 v[78:79], v[72:73], v[22:23], v[78:79] op_sel_hi:[1,1,0] neg_lo:[0,0,1] neg_hi:[0,0,1]
	v_mul_f32_e32 v72, v73, v74
	v_pk_add_f32 v[46:47], v[46:47], v[80:81] neg_lo:[0,1] neg_hi:[0,1]
	s_delay_alu instid0(VALU_DEP_2) | instskip(NEXT) | instid1(VALU_DEP_1)
	v_pk_fma_f32 v[70:71], v[70:71], v[22:23], v[72:73] op_sel_hi:[1,1,0]
	v_mov_b32_e32 v79, v71
	ds_load_2addr_b64 v[70:73], v88 offset0:10 offset1:11
	v_pk_add_f32 v[42:43], v[42:43], v[78:79] neg_lo:[0,1] neg_hi:[0,1]
	s_wait_dscnt 0x0
	v_pk_mul_f32 v[78:79], v[70:71], v[76:77] op_sel:[0,1]
	s_delay_alu instid0(VALU_DEP_1) | instskip(SKIP_1) | instid1(VALU_DEP_1)
	v_pk_fma_f32 v[80:81], v[70:71], v[74:75], v[78:79] op_sel:[0,0,1] op_sel_hi:[1,1,0] neg_lo:[0,0,1] neg_hi:[0,0,1]
	v_pk_fma_f32 v[70:71], v[70:71], v[74:75], v[78:79] op_sel:[0,0,1] op_sel_hi:[1,0,0]
	v_mov_b32_e32 v81, v71
	v_pk_mul_f32 v[70:71], v[72:73], v[76:77] op_sel:[0,1]
	s_delay_alu instid0(VALU_DEP_1) | instskip(SKIP_1) | instid1(VALU_DEP_1)
	v_pk_fma_f32 v[78:79], v[72:73], v[74:75], v[70:71] op_sel:[0,0,1] op_sel_hi:[1,1,0] neg_lo:[0,0,1] neg_hi:[0,0,1]
	v_pk_fma_f32 v[70:71], v[72:73], v[74:75], v[70:71] op_sel:[0,0,1] op_sel_hi:[1,0,0]
	v_mov_b32_e32 v79, v71
	ds_load_2addr_b64 v[70:73], v88 offset0:12 offset1:13
	v_pk_add_f32 v[44:45], v[44:45], v[80:81] neg_lo:[0,1] neg_hi:[0,1]
	v_pk_add_f32 v[50:51], v[50:51], v[78:79] neg_lo:[0,1] neg_hi:[0,1]
	s_wait_dscnt 0x0
	v_pk_mul_f32 v[78:79], v[70:71], v[76:77] op_sel:[0,1]
	s_delay_alu instid0(VALU_DEP_1) | instskip(SKIP_1) | instid1(VALU_DEP_1)
	v_pk_fma_f32 v[80:81], v[70:71], v[74:75], v[78:79] op_sel:[0,0,1] op_sel_hi:[1,1,0] neg_lo:[0,0,1] neg_hi:[0,0,1]
	v_pk_fma_f32 v[70:71], v[70:71], v[74:75], v[78:79] op_sel:[0,0,1] op_sel_hi:[1,0,0]
	v_mov_b32_e32 v81, v71
	v_pk_mul_f32 v[70:71], v[72:73], v[76:77] op_sel:[0,1]
	s_delay_alu instid0(VALU_DEP_1) | instskip(SKIP_1) | instid1(VALU_DEP_1)
	v_pk_fma_f32 v[76:77], v[72:73], v[74:75], v[70:71] op_sel:[0,0,1] op_sel_hi:[1,1,0] neg_lo:[0,0,1] neg_hi:[0,0,1]
	v_pk_fma_f32 v[70:71], v[72:73], v[74:75], v[70:71] op_sel:[0,0,1] op_sel_hi:[1,0,0]
	v_mov_b32_e32 v77, v71
	v_pk_add_f32 v[52:53], v[52:53], v[80:81] neg_lo:[0,1] neg_hi:[0,1]
	s_delay_alu instid0(VALU_DEP_2)
	v_pk_add_f32 v[54:55], v[54:55], v[76:77] neg_lo:[0,1] neg_hi:[0,1]
.LBB27_55:
	s_or_b32 exec_lo, exec_lo, s1
	s_delay_alu instid0(SALU_CYCLE_1)
	s_mov_b32 s2, exec_lo
	s_wait_dscnt 0x0
	s_barrier_signal -1
	s_barrier_wait -1
	v_cmpx_eq_u32_e32 6, v86
	s_cbranch_execz .LBB27_62
; %bb.56:
	ds_store_b64 v87, v[24:25]
	ds_store_2addr_b64 v88, v[20:21], v[46:47] offset0:7 offset1:8
	ds_store_2addr_b64 v88, v[42:43], v[44:45] offset0:9 offset1:10
	;; [unrolled: 1-line block ×3, first 2 shown]
	ds_store_b64 v88, v[54:55] offset:104
	ds_load_b64 v[70:71], v87
	s_wait_dscnt 0x0
	v_cmp_neq_f32_e32 vcc_lo, 0, v70
	v_cmp_neq_f32_e64 s1, 0, v71
	s_or_b32 s1, vcc_lo, s1
	s_delay_alu instid0(SALU_CYCLE_1)
	s_and_b32 exec_lo, exec_lo, s1
	s_cbranch_execz .LBB27_62
; %bb.57:
	v_cmp_ngt_f32_e64 s1, |v70|, |v71|
                                        ; implicit-def: $vgpr72_vgpr73
	s_and_saveexec_b32 s4, s1
	s_delay_alu instid0(SALU_CYCLE_1)
	s_xor_b32 s1, exec_lo, s4
	s_cbranch_execz .LBB27_59
; %bb.58:
	v_div_scale_f32 v72, null, v71, v71, v70
	v_div_scale_f32 v75, vcc_lo, v70, v71, v70
	s_delay_alu instid0(VALU_DEP_2) | instskip(SKIP_1) | instid1(TRANS32_DEP_1)
	v_rcp_f32_e32 v73, v72
	v_nop
	v_fma_f32 v74, -v72, v73, 1.0
	s_delay_alu instid0(VALU_DEP_1) | instskip(NEXT) | instid1(VALU_DEP_1)
	v_fmac_f32_e32 v73, v74, v73
	v_mul_f32_e32 v74, v75, v73
	s_delay_alu instid0(VALU_DEP_1) | instskip(NEXT) | instid1(VALU_DEP_1)
	v_fma_f32 v76, -v72, v74, v75
	v_fmac_f32_e32 v74, v76, v73
	s_delay_alu instid0(VALU_DEP_1) | instskip(NEXT) | instid1(VALU_DEP_1)
	v_fma_f32 v72, -v72, v74, v75
	v_div_fmas_f32 v72, v72, v73, v74
	s_delay_alu instid0(VALU_DEP_1) | instskip(NEXT) | instid1(VALU_DEP_1)
	v_div_fixup_f32 v72, v72, v71, v70
	v_fmac_f32_e32 v71, v70, v72
	s_delay_alu instid0(VALU_DEP_1) | instskip(SKIP_1) | instid1(VALU_DEP_2)
	v_div_scale_f32 v70, null, v71, v71, 1.0
	v_div_scale_f32 v75, vcc_lo, 1.0, v71, 1.0
	v_rcp_f32_e32 v73, v70
	v_nop
	s_delay_alu instid0(TRANS32_DEP_1) | instskip(NEXT) | instid1(VALU_DEP_1)
	v_fma_f32 v74, -v70, v73, 1.0
	v_fmac_f32_e32 v73, v74, v73
	s_delay_alu instid0(VALU_DEP_1) | instskip(NEXT) | instid1(VALU_DEP_1)
	v_mul_f32_e32 v74, v75, v73
	v_fma_f32 v76, -v70, v74, v75
	s_delay_alu instid0(VALU_DEP_1) | instskip(NEXT) | instid1(VALU_DEP_1)
	v_fmac_f32_e32 v74, v76, v73
	v_fma_f32 v70, -v70, v74, v75
	s_delay_alu instid0(VALU_DEP_1) | instskip(NEXT) | instid1(VALU_DEP_1)
	v_div_fmas_f32 v70, v70, v73, v74
	v_div_fixup_f32 v70, v70, v71, 1.0
	s_delay_alu instid0(VALU_DEP_1)
	v_mul_f32_e32 v72, v72, v70
	v_xor_b32_e32 v73, 0x80000000, v70
                                        ; implicit-def: $vgpr70_vgpr71
.LBB27_59:
	s_and_not1_saveexec_b32 s1, s1
	s_cbranch_execz .LBB27_61
; %bb.60:
	v_div_scale_f32 v72, null, v70, v70, v71
	v_div_scale_f32 v75, vcc_lo, v71, v70, v71
	s_delay_alu instid0(VALU_DEP_2) | instskip(SKIP_1) | instid1(TRANS32_DEP_1)
	v_rcp_f32_e32 v73, v72
	v_nop
	v_fma_f32 v74, -v72, v73, 1.0
	s_delay_alu instid0(VALU_DEP_1) | instskip(NEXT) | instid1(VALU_DEP_1)
	v_fmac_f32_e32 v73, v74, v73
	v_mul_f32_e32 v74, v75, v73
	s_delay_alu instid0(VALU_DEP_1) | instskip(NEXT) | instid1(VALU_DEP_1)
	v_fma_f32 v76, -v72, v74, v75
	v_fmac_f32_e32 v74, v76, v73
	s_delay_alu instid0(VALU_DEP_1) | instskip(NEXT) | instid1(VALU_DEP_1)
	v_fma_f32 v72, -v72, v74, v75
	v_div_fmas_f32 v72, v72, v73, v74
	s_delay_alu instid0(VALU_DEP_1) | instskip(NEXT) | instid1(VALU_DEP_1)
	v_div_fixup_f32 v73, v72, v70, v71
	v_fmac_f32_e32 v70, v71, v73
	s_delay_alu instid0(VALU_DEP_1) | instskip(NEXT) | instid1(VALU_DEP_1)
	v_div_scale_f32 v71, null, v70, v70, 1.0
	v_rcp_f32_e32 v72, v71
	v_nop
	s_delay_alu instid0(TRANS32_DEP_1) | instskip(NEXT) | instid1(VALU_DEP_1)
	v_fma_f32 v74, -v71, v72, 1.0
	v_fmac_f32_e32 v72, v74, v72
	v_div_scale_f32 v74, vcc_lo, 1.0, v70, 1.0
	s_delay_alu instid0(VALU_DEP_1) | instskip(NEXT) | instid1(VALU_DEP_1)
	v_mul_f32_e32 v75, v74, v72
	v_fma_f32 v76, -v71, v75, v74
	s_delay_alu instid0(VALU_DEP_1) | instskip(NEXT) | instid1(VALU_DEP_1)
	v_fmac_f32_e32 v75, v76, v72
	v_fma_f32 v71, -v71, v75, v74
	s_delay_alu instid0(VALU_DEP_1) | instskip(NEXT) | instid1(VALU_DEP_1)
	v_div_fmas_f32 v71, v71, v72, v75
	v_div_fixup_f32 v72, v71, v70, 1.0
	s_delay_alu instid0(VALU_DEP_1)
	v_mul_f32_e64 v73, v73, -v72
.LBB27_61:
	s_or_b32 exec_lo, exec_lo, s1
	ds_store_b64 v87, v[72:73]
.LBB27_62:
	s_or_b32 exec_lo, exec_lo, s2
	s_wait_dscnt 0x0
	s_barrier_signal -1
	s_barrier_wait -1
	ds_load_b64 v[70:71], v87
	s_mov_b32 s1, exec_lo
	v_cmpx_lt_u32_e32 6, v86
	s_cbranch_execz .LBB27_64
; %bb.63:
	s_wait_dscnt 0x0
	v_pk_mul_f32 v[72:73], v[70:71], v[24:25] op_sel:[1,1] op_sel_hi:[0,1]
	s_delay_alu instid0(VALU_DEP_1)
	v_pk_fma_f32 v[76:77], v[70:71], v[24:25], v[72:73] op_sel_hi:[1,0,1] neg_lo:[0,0,1] neg_hi:[0,0,1]
	v_pk_fma_f32 v[78:79], v[70:71], v[24:25], v[72:73] op_sel_hi:[1,0,1]
	ds_load_2addr_b64 v[72:75], v88 offset0:7 offset1:8
	v_dual_mov_b32 v24, v76 :: v_dual_mov_b32 v25, v79
	s_wait_dscnt 0x0
	v_pk_mul_f32 v[80:81], v[72:73], v[78:79] op_sel:[0,1]
	s_delay_alu instid0(VALU_DEP_1) | instskip(SKIP_1) | instid1(VALU_DEP_1)
	v_pk_fma_f32 v[82:83], v[72:73], v[76:77], v[80:81] op_sel:[0,0,1] op_sel_hi:[1,1,0] neg_lo:[0,0,1] neg_hi:[0,0,1]
	v_pk_fma_f32 v[72:73], v[72:73], v[76:77], v[80:81] op_sel:[0,0,1] op_sel_hi:[1,0,0]
	v_mov_b32_e32 v83, v73
	v_pk_mul_f32 v[72:73], v[74:75], v[78:79] op_sel:[0,1]
	s_delay_alu instid0(VALU_DEP_1) | instskip(SKIP_1) | instid1(VALU_DEP_1)
	v_pk_fma_f32 v[80:81], v[74:75], v[76:77], v[72:73] op_sel:[0,0,1] op_sel_hi:[1,1,0] neg_lo:[0,0,1] neg_hi:[0,0,1]
	v_pk_fma_f32 v[72:73], v[74:75], v[76:77], v[72:73] op_sel:[0,0,1] op_sel_hi:[1,0,0]
	v_mov_b32_e32 v81, v73
	ds_load_2addr_b64 v[72:75], v88 offset0:9 offset1:10
	v_pk_add_f32 v[20:21], v[20:21], v[82:83] neg_lo:[0,1] neg_hi:[0,1]
	v_pk_add_f32 v[46:47], v[46:47], v[80:81] neg_lo:[0,1] neg_hi:[0,1]
	s_wait_dscnt 0x0
	v_pk_mul_f32 v[80:81], v[72:73], v[78:79] op_sel:[0,1]
	s_delay_alu instid0(VALU_DEP_1) | instskip(SKIP_2) | instid1(VALU_DEP_2)
	v_pk_fma_f32 v[82:83], v[72:73], v[76:77], v[80:81] op_sel:[0,0,1] op_sel_hi:[1,1,0] neg_lo:[0,0,1] neg_hi:[0,0,1]
	v_pk_fma_f32 v[72:73], v[72:73], v[76:77], v[80:81] op_sel:[0,0,1] op_sel_hi:[1,0,0]
	v_dual_mul_f32 v80, v75, v79 :: v_dual_mov_b32 v72, v75
	v_dual_mov_b32 v83, v73 :: v_dual_mov_b32 v73, v74
	s_delay_alu instid0(VALU_DEP_2) | instskip(SKIP_1) | instid1(VALU_DEP_3)
	v_pk_fma_f32 v[80:81], v[74:75], v[24:25], v[80:81] op_sel_hi:[1,1,0] neg_lo:[0,0,1] neg_hi:[0,0,1]
	v_mul_f32_e32 v74, v75, v76
	v_pk_add_f32 v[42:43], v[42:43], v[82:83] neg_lo:[0,1] neg_hi:[0,1]
	s_delay_alu instid0(VALU_DEP_2) | instskip(NEXT) | instid1(VALU_DEP_1)
	v_pk_fma_f32 v[72:73], v[72:73], v[24:25], v[74:75] op_sel_hi:[1,1,0]
	v_mov_b32_e32 v81, v73
	ds_load_2addr_b64 v[72:75], v88 offset0:11 offset1:12
	v_pk_add_f32 v[44:45], v[44:45], v[80:81] neg_lo:[0,1] neg_hi:[0,1]
	s_wait_dscnt 0x0
	v_pk_mul_f32 v[80:81], v[72:73], v[78:79] op_sel:[0,1]
	s_delay_alu instid0(VALU_DEP_1) | instskip(SKIP_1) | instid1(VALU_DEP_1)
	v_pk_fma_f32 v[82:83], v[72:73], v[76:77], v[80:81] op_sel:[0,0,1] op_sel_hi:[1,1,0] neg_lo:[0,0,1] neg_hi:[0,0,1]
	v_pk_fma_f32 v[72:73], v[72:73], v[76:77], v[80:81] op_sel:[0,0,1] op_sel_hi:[1,0,0]
	v_mov_b32_e32 v83, v73
	v_pk_mul_f32 v[72:73], v[74:75], v[78:79] op_sel:[0,1]
	s_delay_alu instid0(VALU_DEP_1) | instskip(SKIP_1) | instid1(VALU_DEP_1)
	v_pk_fma_f32 v[80:81], v[74:75], v[76:77], v[72:73] op_sel:[0,0,1] op_sel_hi:[1,1,0] neg_lo:[0,0,1] neg_hi:[0,0,1]
	v_pk_fma_f32 v[72:73], v[74:75], v[76:77], v[72:73] op_sel:[0,0,1] op_sel_hi:[1,0,0]
	v_mov_b32_e32 v81, v73
	ds_load_b64 v[72:73], v88 offset:104
	v_pk_add_f32 v[50:51], v[50:51], v[82:83] neg_lo:[0,1] neg_hi:[0,1]
	v_pk_add_f32 v[52:53], v[52:53], v[80:81] neg_lo:[0,1] neg_hi:[0,1]
	s_wait_dscnt 0x0
	v_pk_mul_f32 v[74:75], v[72:73], v[78:79] op_sel:[0,1]
	s_delay_alu instid0(VALU_DEP_1) | instskip(SKIP_1) | instid1(VALU_DEP_1)
	v_pk_fma_f32 v[78:79], v[72:73], v[76:77], v[74:75] op_sel:[0,0,1] op_sel_hi:[1,1,0] neg_lo:[0,0,1] neg_hi:[0,0,1]
	v_pk_fma_f32 v[72:73], v[72:73], v[76:77], v[74:75] op_sel:[0,0,1] op_sel_hi:[1,0,0]
	v_mov_b32_e32 v79, v73
	s_delay_alu instid0(VALU_DEP_1)
	v_pk_add_f32 v[54:55], v[54:55], v[78:79] neg_lo:[0,1] neg_hi:[0,1]
.LBB27_64:
	s_or_b32 exec_lo, exec_lo, s1
	s_delay_alu instid0(SALU_CYCLE_1)
	s_mov_b32 s2, exec_lo
	s_wait_dscnt 0x0
	s_barrier_signal -1
	s_barrier_wait -1
	v_cmpx_eq_u32_e32 7, v86
	s_cbranch_execz .LBB27_71
; %bb.65:
	v_dual_mov_b32 v72, v46 :: v_dual_mov_b32 v73, v47
	v_dual_mov_b32 v74, v42 :: v_dual_mov_b32 v75, v43
	;; [unrolled: 1-line block ×5, first 2 shown]
	ds_store_b64 v87, v[20:21]
	ds_store_2addr_b64 v88, v[72:73], v[74:75] offset0:8 offset1:9
	ds_store_2addr_b64 v88, v[76:77], v[78:79] offset0:10 offset1:11
	;; [unrolled: 1-line block ×3, first 2 shown]
	ds_load_b64 v[72:73], v87
	s_wait_dscnt 0x0
	v_cmp_neq_f32_e32 vcc_lo, 0, v72
	v_cmp_neq_f32_e64 s1, 0, v73
	s_or_b32 s1, vcc_lo, s1
	s_delay_alu instid0(SALU_CYCLE_1)
	s_and_b32 exec_lo, exec_lo, s1
	s_cbranch_execz .LBB27_71
; %bb.66:
	v_cmp_ngt_f32_e64 s1, |v72|, |v73|
                                        ; implicit-def: $vgpr74_vgpr75
	s_and_saveexec_b32 s4, s1
	s_delay_alu instid0(SALU_CYCLE_1)
	s_xor_b32 s1, exec_lo, s4
	s_cbranch_execz .LBB27_68
; %bb.67:
	v_div_scale_f32 v74, null, v73, v73, v72
	v_div_scale_f32 v77, vcc_lo, v72, v73, v72
	s_delay_alu instid0(VALU_DEP_2) | instskip(SKIP_1) | instid1(TRANS32_DEP_1)
	v_rcp_f32_e32 v75, v74
	v_nop
	v_fma_f32 v76, -v74, v75, 1.0
	s_delay_alu instid0(VALU_DEP_1) | instskip(NEXT) | instid1(VALU_DEP_1)
	v_fmac_f32_e32 v75, v76, v75
	v_mul_f32_e32 v76, v77, v75
	s_delay_alu instid0(VALU_DEP_1) | instskip(NEXT) | instid1(VALU_DEP_1)
	v_fma_f32 v78, -v74, v76, v77
	v_fmac_f32_e32 v76, v78, v75
	s_delay_alu instid0(VALU_DEP_1) | instskip(NEXT) | instid1(VALU_DEP_1)
	v_fma_f32 v74, -v74, v76, v77
	v_div_fmas_f32 v74, v74, v75, v76
	s_delay_alu instid0(VALU_DEP_1) | instskip(NEXT) | instid1(VALU_DEP_1)
	v_div_fixup_f32 v74, v74, v73, v72
	v_fmac_f32_e32 v73, v72, v74
	s_delay_alu instid0(VALU_DEP_1) | instskip(SKIP_1) | instid1(VALU_DEP_2)
	v_div_scale_f32 v72, null, v73, v73, 1.0
	v_div_scale_f32 v77, vcc_lo, 1.0, v73, 1.0
	v_rcp_f32_e32 v75, v72
	v_nop
	s_delay_alu instid0(TRANS32_DEP_1) | instskip(NEXT) | instid1(VALU_DEP_1)
	v_fma_f32 v76, -v72, v75, 1.0
	v_fmac_f32_e32 v75, v76, v75
	s_delay_alu instid0(VALU_DEP_1) | instskip(NEXT) | instid1(VALU_DEP_1)
	v_mul_f32_e32 v76, v77, v75
	v_fma_f32 v78, -v72, v76, v77
	s_delay_alu instid0(VALU_DEP_1) | instskip(NEXT) | instid1(VALU_DEP_1)
	v_fmac_f32_e32 v76, v78, v75
	v_fma_f32 v72, -v72, v76, v77
	s_delay_alu instid0(VALU_DEP_1) | instskip(NEXT) | instid1(VALU_DEP_1)
	v_div_fmas_f32 v72, v72, v75, v76
	v_div_fixup_f32 v72, v72, v73, 1.0
	s_delay_alu instid0(VALU_DEP_1)
	v_mul_f32_e32 v74, v74, v72
	v_xor_b32_e32 v75, 0x80000000, v72
                                        ; implicit-def: $vgpr72_vgpr73
.LBB27_68:
	s_and_not1_saveexec_b32 s1, s1
	s_cbranch_execz .LBB27_70
; %bb.69:
	v_div_scale_f32 v74, null, v72, v72, v73
	v_div_scale_f32 v77, vcc_lo, v73, v72, v73
	s_delay_alu instid0(VALU_DEP_2) | instskip(SKIP_1) | instid1(TRANS32_DEP_1)
	v_rcp_f32_e32 v75, v74
	v_nop
	v_fma_f32 v76, -v74, v75, 1.0
	s_delay_alu instid0(VALU_DEP_1) | instskip(NEXT) | instid1(VALU_DEP_1)
	v_fmac_f32_e32 v75, v76, v75
	v_mul_f32_e32 v76, v77, v75
	s_delay_alu instid0(VALU_DEP_1) | instskip(NEXT) | instid1(VALU_DEP_1)
	v_fma_f32 v78, -v74, v76, v77
	v_fmac_f32_e32 v76, v78, v75
	s_delay_alu instid0(VALU_DEP_1) | instskip(NEXT) | instid1(VALU_DEP_1)
	v_fma_f32 v74, -v74, v76, v77
	v_div_fmas_f32 v74, v74, v75, v76
	s_delay_alu instid0(VALU_DEP_1) | instskip(NEXT) | instid1(VALU_DEP_1)
	v_div_fixup_f32 v75, v74, v72, v73
	v_fmac_f32_e32 v72, v73, v75
	s_delay_alu instid0(VALU_DEP_1) | instskip(NEXT) | instid1(VALU_DEP_1)
	v_div_scale_f32 v73, null, v72, v72, 1.0
	v_rcp_f32_e32 v74, v73
	v_nop
	s_delay_alu instid0(TRANS32_DEP_1) | instskip(NEXT) | instid1(VALU_DEP_1)
	v_fma_f32 v76, -v73, v74, 1.0
	v_fmac_f32_e32 v74, v76, v74
	v_div_scale_f32 v76, vcc_lo, 1.0, v72, 1.0
	s_delay_alu instid0(VALU_DEP_1) | instskip(NEXT) | instid1(VALU_DEP_1)
	v_mul_f32_e32 v77, v76, v74
	v_fma_f32 v78, -v73, v77, v76
	s_delay_alu instid0(VALU_DEP_1) | instskip(NEXT) | instid1(VALU_DEP_1)
	v_fmac_f32_e32 v77, v78, v74
	v_fma_f32 v73, -v73, v77, v76
	s_delay_alu instid0(VALU_DEP_1) | instskip(NEXT) | instid1(VALU_DEP_1)
	v_div_fmas_f32 v73, v73, v74, v77
	v_div_fixup_f32 v74, v73, v72, 1.0
	s_delay_alu instid0(VALU_DEP_1)
	v_mul_f32_e64 v75, v75, -v74
.LBB27_70:
	s_or_b32 exec_lo, exec_lo, s1
	ds_store_b64 v87, v[74:75]
.LBB27_71:
	s_or_b32 exec_lo, exec_lo, s2
	s_wait_dscnt 0x0
	s_barrier_signal -1
	s_barrier_wait -1
	ds_load_b64 v[72:73], v87
	s_mov_b32 s1, exec_lo
	v_cmpx_lt_u32_e32 7, v86
	s_cbranch_execz .LBB27_73
; %bb.72:
	s_wait_dscnt 0x0
	v_pk_mul_f32 v[74:75], v[72:73], v[20:21] op_sel:[1,1] op_sel_hi:[0,1]
	s_delay_alu instid0(VALU_DEP_1)
	v_pk_fma_f32 v[78:79], v[72:73], v[20:21], v[74:75] op_sel_hi:[1,0,1] neg_lo:[0,0,1] neg_hi:[0,0,1]
	v_pk_fma_f32 v[80:81], v[72:73], v[20:21], v[74:75] op_sel_hi:[1,0,1]
	ds_load_2addr_b64 v[74:77], v88 offset0:8 offset1:9
	v_dual_mov_b32 v20, v78 :: v_dual_mov_b32 v21, v81
	s_wait_dscnt 0x0
	v_pk_mul_f32 v[82:83], v[74:75], v[80:81] op_sel:[0,1]
	s_delay_alu instid0(VALU_DEP_1) | instskip(SKIP_1) | instid1(VALU_DEP_1)
	v_pk_fma_f32 v[84:85], v[74:75], v[78:79], v[82:83] op_sel:[0,0,1] op_sel_hi:[1,1,0] neg_lo:[0,0,1] neg_hi:[0,0,1]
	v_pk_fma_f32 v[74:75], v[74:75], v[78:79], v[82:83] op_sel:[0,0,1] op_sel_hi:[1,0,0]
	v_mov_b32_e32 v85, v75
	v_pk_mul_f32 v[74:75], v[76:77], v[80:81] op_sel:[0,1]
	s_delay_alu instid0(VALU_DEP_1) | instskip(SKIP_1) | instid1(VALU_DEP_1)
	v_pk_fma_f32 v[82:83], v[76:77], v[78:79], v[74:75] op_sel:[0,0,1] op_sel_hi:[1,1,0] neg_lo:[0,0,1] neg_hi:[0,0,1]
	v_pk_fma_f32 v[74:75], v[76:77], v[78:79], v[74:75] op_sel:[0,0,1] op_sel_hi:[1,0,0]
	v_mov_b32_e32 v83, v75
	ds_load_2addr_b64 v[74:77], v88 offset0:10 offset1:11
	v_pk_add_f32 v[46:47], v[46:47], v[84:85] neg_lo:[0,1] neg_hi:[0,1]
	v_pk_add_f32 v[42:43], v[42:43], v[82:83] neg_lo:[0,1] neg_hi:[0,1]
	s_wait_dscnt 0x0
	v_pk_mul_f32 v[82:83], v[74:75], v[80:81] op_sel:[0,1]
	s_delay_alu instid0(VALU_DEP_1) | instskip(SKIP_2) | instid1(VALU_DEP_2)
	v_pk_fma_f32 v[84:85], v[74:75], v[78:79], v[82:83] op_sel:[0,0,1] op_sel_hi:[1,1,0] neg_lo:[0,0,1] neg_hi:[0,0,1]
	v_pk_fma_f32 v[74:75], v[74:75], v[78:79], v[82:83] op_sel:[0,0,1] op_sel_hi:[1,0,0]
	v_dual_mul_f32 v82, v77, v81 :: v_dual_mov_b32 v74, v77
	v_dual_mov_b32 v85, v75 :: v_dual_mov_b32 v75, v76
	s_delay_alu instid0(VALU_DEP_2) | instskip(SKIP_1) | instid1(VALU_DEP_3)
	v_pk_fma_f32 v[82:83], v[76:77], v[20:21], v[82:83] op_sel_hi:[1,1,0] neg_lo:[0,0,1] neg_hi:[0,0,1]
	v_mul_f32_e32 v76, v77, v78
	v_pk_add_f32 v[44:45], v[44:45], v[84:85] neg_lo:[0,1] neg_hi:[0,1]
	s_delay_alu instid0(VALU_DEP_2) | instskip(NEXT) | instid1(VALU_DEP_1)
	v_pk_fma_f32 v[74:75], v[74:75], v[20:21], v[76:77] op_sel_hi:[1,1,0]
	v_mov_b32_e32 v83, v75
	ds_load_2addr_b64 v[74:77], v88 offset0:12 offset1:13
	v_pk_add_f32 v[50:51], v[50:51], v[82:83] neg_lo:[0,1] neg_hi:[0,1]
	s_wait_dscnt 0x0
	v_pk_mul_f32 v[82:83], v[74:75], v[80:81] op_sel:[0,1]
	v_mul_f32_e32 v80, v77, v81
	s_delay_alu instid0(VALU_DEP_2) | instskip(SKIP_2) | instid1(VALU_DEP_4)
	v_pk_fma_f32 v[84:85], v[74:75], v[78:79], v[82:83] op_sel:[0,0,1] op_sel_hi:[1,1,0] neg_lo:[0,0,1] neg_hi:[0,0,1]
	v_pk_fma_f32 v[74:75], v[74:75], v[78:79], v[82:83] op_sel:[0,0,1] op_sel_hi:[1,0,0]
	v_mov_b32_e32 v74, v77
	v_pk_fma_f32 v[80:81], v[76:77], v[20:21], v[80:81] op_sel_hi:[1,1,0] neg_lo:[0,0,1] neg_hi:[0,0,1]
	s_delay_alu instid0(VALU_DEP_3) | instskip(SKIP_1) | instid1(VALU_DEP_2)
	v_dual_mov_b32 v85, v75 :: v_dual_mov_b32 v75, v76
	v_mul_f32_e32 v76, v77, v78
	v_pk_add_f32 v[52:53], v[52:53], v[84:85] neg_lo:[0,1] neg_hi:[0,1]
	s_delay_alu instid0(VALU_DEP_2) | instskip(NEXT) | instid1(VALU_DEP_1)
	v_pk_fma_f32 v[74:75], v[74:75], v[20:21], v[76:77] op_sel_hi:[1,1,0]
	v_mov_b32_e32 v81, v75
	s_delay_alu instid0(VALU_DEP_1)
	v_pk_add_f32 v[54:55], v[54:55], v[80:81] neg_lo:[0,1] neg_hi:[0,1]
.LBB27_73:
	s_or_b32 exec_lo, exec_lo, s1
	s_delay_alu instid0(SALU_CYCLE_1)
	s_mov_b32 s2, exec_lo
	s_wait_dscnt 0x0
	s_barrier_signal -1
	s_barrier_wait -1
	v_cmpx_eq_u32_e32 8, v86
	s_cbranch_execz .LBB27_80
; %bb.74:
	ds_store_b64 v87, v[46:47]
	ds_store_2addr_b64 v88, v[42:43], v[44:45] offset0:9 offset1:10
	ds_store_2addr_b64 v88, v[50:51], v[52:53] offset0:11 offset1:12
	ds_store_b64 v88, v[54:55] offset:104
	ds_load_b64 v[74:75], v87
	s_wait_dscnt 0x0
	v_cmp_neq_f32_e32 vcc_lo, 0, v74
	v_cmp_neq_f32_e64 s1, 0, v75
	s_or_b32 s1, vcc_lo, s1
	s_delay_alu instid0(SALU_CYCLE_1)
	s_and_b32 exec_lo, exec_lo, s1
	s_cbranch_execz .LBB27_80
; %bb.75:
	v_cmp_ngt_f32_e64 s1, |v74|, |v75|
                                        ; implicit-def: $vgpr76_vgpr77
	s_and_saveexec_b32 s4, s1
	s_delay_alu instid0(SALU_CYCLE_1)
	s_xor_b32 s1, exec_lo, s4
	s_cbranch_execz .LBB27_77
; %bb.76:
	v_div_scale_f32 v76, null, v75, v75, v74
	v_div_scale_f32 v79, vcc_lo, v74, v75, v74
	s_delay_alu instid0(VALU_DEP_2) | instskip(SKIP_1) | instid1(TRANS32_DEP_1)
	v_rcp_f32_e32 v77, v76
	v_nop
	v_fma_f32 v78, -v76, v77, 1.0
	s_delay_alu instid0(VALU_DEP_1) | instskip(NEXT) | instid1(VALU_DEP_1)
	v_fmac_f32_e32 v77, v78, v77
	v_mul_f32_e32 v78, v79, v77
	s_delay_alu instid0(VALU_DEP_1) | instskip(NEXT) | instid1(VALU_DEP_1)
	v_fma_f32 v80, -v76, v78, v79
	v_fmac_f32_e32 v78, v80, v77
	s_delay_alu instid0(VALU_DEP_1) | instskip(NEXT) | instid1(VALU_DEP_1)
	v_fma_f32 v76, -v76, v78, v79
	v_div_fmas_f32 v76, v76, v77, v78
	s_delay_alu instid0(VALU_DEP_1) | instskip(NEXT) | instid1(VALU_DEP_1)
	v_div_fixup_f32 v76, v76, v75, v74
	v_fmac_f32_e32 v75, v74, v76
	s_delay_alu instid0(VALU_DEP_1) | instskip(SKIP_1) | instid1(VALU_DEP_2)
	v_div_scale_f32 v74, null, v75, v75, 1.0
	v_div_scale_f32 v79, vcc_lo, 1.0, v75, 1.0
	v_rcp_f32_e32 v77, v74
	v_nop
	s_delay_alu instid0(TRANS32_DEP_1) | instskip(NEXT) | instid1(VALU_DEP_1)
	v_fma_f32 v78, -v74, v77, 1.0
	v_fmac_f32_e32 v77, v78, v77
	s_delay_alu instid0(VALU_DEP_1) | instskip(NEXT) | instid1(VALU_DEP_1)
	v_mul_f32_e32 v78, v79, v77
	v_fma_f32 v80, -v74, v78, v79
	s_delay_alu instid0(VALU_DEP_1) | instskip(NEXT) | instid1(VALU_DEP_1)
	v_fmac_f32_e32 v78, v80, v77
	v_fma_f32 v74, -v74, v78, v79
	s_delay_alu instid0(VALU_DEP_1) | instskip(NEXT) | instid1(VALU_DEP_1)
	v_div_fmas_f32 v74, v74, v77, v78
	v_div_fixup_f32 v74, v74, v75, 1.0
	s_delay_alu instid0(VALU_DEP_1)
	v_mul_f32_e32 v76, v76, v74
	v_xor_b32_e32 v77, 0x80000000, v74
                                        ; implicit-def: $vgpr74_vgpr75
.LBB27_77:
	s_and_not1_saveexec_b32 s1, s1
	s_cbranch_execz .LBB27_79
; %bb.78:
	v_div_scale_f32 v76, null, v74, v74, v75
	v_div_scale_f32 v79, vcc_lo, v75, v74, v75
	s_delay_alu instid0(VALU_DEP_2) | instskip(SKIP_1) | instid1(TRANS32_DEP_1)
	v_rcp_f32_e32 v77, v76
	v_nop
	v_fma_f32 v78, -v76, v77, 1.0
	s_delay_alu instid0(VALU_DEP_1) | instskip(NEXT) | instid1(VALU_DEP_1)
	v_fmac_f32_e32 v77, v78, v77
	v_mul_f32_e32 v78, v79, v77
	s_delay_alu instid0(VALU_DEP_1) | instskip(NEXT) | instid1(VALU_DEP_1)
	v_fma_f32 v80, -v76, v78, v79
	v_fmac_f32_e32 v78, v80, v77
	s_delay_alu instid0(VALU_DEP_1) | instskip(NEXT) | instid1(VALU_DEP_1)
	v_fma_f32 v76, -v76, v78, v79
	v_div_fmas_f32 v76, v76, v77, v78
	s_delay_alu instid0(VALU_DEP_1) | instskip(NEXT) | instid1(VALU_DEP_1)
	v_div_fixup_f32 v77, v76, v74, v75
	v_fmac_f32_e32 v74, v75, v77
	s_delay_alu instid0(VALU_DEP_1) | instskip(NEXT) | instid1(VALU_DEP_1)
	v_div_scale_f32 v75, null, v74, v74, 1.0
	v_rcp_f32_e32 v76, v75
	v_nop
	s_delay_alu instid0(TRANS32_DEP_1) | instskip(NEXT) | instid1(VALU_DEP_1)
	v_fma_f32 v78, -v75, v76, 1.0
	v_fmac_f32_e32 v76, v78, v76
	v_div_scale_f32 v78, vcc_lo, 1.0, v74, 1.0
	s_delay_alu instid0(VALU_DEP_1) | instskip(NEXT) | instid1(VALU_DEP_1)
	v_mul_f32_e32 v79, v78, v76
	v_fma_f32 v80, -v75, v79, v78
	s_delay_alu instid0(VALU_DEP_1) | instskip(NEXT) | instid1(VALU_DEP_1)
	v_fmac_f32_e32 v79, v80, v76
	v_fma_f32 v75, -v75, v79, v78
	s_delay_alu instid0(VALU_DEP_1) | instskip(NEXT) | instid1(VALU_DEP_1)
	v_div_fmas_f32 v75, v75, v76, v79
	v_div_fixup_f32 v76, v75, v74, 1.0
	s_delay_alu instid0(VALU_DEP_1)
	v_mul_f32_e64 v77, v77, -v76
.LBB27_79:
	s_or_b32 exec_lo, exec_lo, s1
	ds_store_b64 v87, v[76:77]
.LBB27_80:
	s_or_b32 exec_lo, exec_lo, s2
	s_wait_dscnt 0x0
	s_barrier_signal -1
	s_barrier_wait -1
	ds_load_b64 v[74:75], v87
	s_mov_b32 s1, exec_lo
	v_cmpx_lt_u32_e32 8, v86
	s_cbranch_execz .LBB27_82
; %bb.81:
	s_wait_dscnt 0x0
	v_pk_mul_f32 v[76:77], v[74:75], v[46:47] op_sel:[1,1] op_sel_hi:[0,1]
	s_delay_alu instid0(VALU_DEP_1)
	v_pk_fma_f32 v[80:81], v[74:75], v[46:47], v[76:77] op_sel_hi:[1,0,1] neg_lo:[0,0,1] neg_hi:[0,0,1]
	v_pk_fma_f32 v[82:83], v[74:75], v[46:47], v[76:77] op_sel_hi:[1,0,1]
	ds_load_2addr_b64 v[76:79], v88 offset0:9 offset1:10
	v_dual_mov_b32 v46, v80 :: v_dual_mov_b32 v47, v83
	s_wait_dscnt 0x0
	v_pk_mul_f32 v[84:85], v[76:77], v[82:83] op_sel:[0,1]
	s_delay_alu instid0(VALU_DEP_1) | instskip(SKIP_1) | instid1(VALU_DEP_1)
	v_pk_fma_f32 v[90:91], v[76:77], v[80:81], v[84:85] op_sel:[0,0,1] op_sel_hi:[1,1,0] neg_lo:[0,0,1] neg_hi:[0,0,1]
	v_pk_fma_f32 v[76:77], v[76:77], v[80:81], v[84:85] op_sel:[0,0,1] op_sel_hi:[1,0,0]
	v_mov_b32_e32 v91, v77
	v_pk_mul_f32 v[76:77], v[78:79], v[82:83] op_sel:[0,1]
	s_delay_alu instid0(VALU_DEP_1) | instskip(SKIP_1) | instid1(VALU_DEP_1)
	v_pk_fma_f32 v[84:85], v[78:79], v[80:81], v[76:77] op_sel:[0,0,1] op_sel_hi:[1,1,0] neg_lo:[0,0,1] neg_hi:[0,0,1]
	v_pk_fma_f32 v[76:77], v[78:79], v[80:81], v[76:77] op_sel:[0,0,1] op_sel_hi:[1,0,0]
	v_mov_b32_e32 v85, v77
	ds_load_2addr_b64 v[76:79], v88 offset0:11 offset1:12
	v_pk_add_f32 v[42:43], v[42:43], v[90:91] neg_lo:[0,1] neg_hi:[0,1]
	v_pk_add_f32 v[44:45], v[44:45], v[84:85] neg_lo:[0,1] neg_hi:[0,1]
	s_wait_dscnt 0x0
	v_pk_mul_f32 v[84:85], v[76:77], v[82:83] op_sel:[0,1]
	s_delay_alu instid0(VALU_DEP_1) | instskip(SKIP_2) | instid1(VALU_DEP_2)
	v_pk_fma_f32 v[90:91], v[76:77], v[80:81], v[84:85] op_sel:[0,0,1] op_sel_hi:[1,1,0] neg_lo:[0,0,1] neg_hi:[0,0,1]
	v_pk_fma_f32 v[76:77], v[76:77], v[80:81], v[84:85] op_sel:[0,0,1] op_sel_hi:[1,0,0]
	v_dual_mul_f32 v84, v79, v83 :: v_dual_mov_b32 v76, v79
	v_dual_mov_b32 v91, v77 :: v_dual_mov_b32 v77, v78
	s_delay_alu instid0(VALU_DEP_2) | instskip(SKIP_1) | instid1(VALU_DEP_3)
	v_pk_fma_f32 v[84:85], v[78:79], v[46:47], v[84:85] op_sel_hi:[1,1,0] neg_lo:[0,0,1] neg_hi:[0,0,1]
	v_mul_f32_e32 v78, v79, v80
	v_pk_add_f32 v[50:51], v[50:51], v[90:91] neg_lo:[0,1] neg_hi:[0,1]
	s_delay_alu instid0(VALU_DEP_2) | instskip(NEXT) | instid1(VALU_DEP_1)
	v_pk_fma_f32 v[76:77], v[76:77], v[46:47], v[78:79] op_sel_hi:[1,1,0]
	v_mov_b32_e32 v85, v77
	ds_load_b64 v[76:77], v88 offset:104
	v_pk_add_f32 v[52:53], v[52:53], v[84:85] neg_lo:[0,1] neg_hi:[0,1]
	s_wait_dscnt 0x0
	v_pk_mul_f32 v[78:79], v[76:77], v[82:83] op_sel:[0,1]
	s_delay_alu instid0(VALU_DEP_1) | instskip(SKIP_1) | instid1(VALU_DEP_1)
	v_pk_fma_f32 v[82:83], v[76:77], v[80:81], v[78:79] op_sel:[0,0,1] op_sel_hi:[1,1,0] neg_lo:[0,0,1] neg_hi:[0,0,1]
	v_pk_fma_f32 v[76:77], v[76:77], v[80:81], v[78:79] op_sel:[0,0,1] op_sel_hi:[1,0,0]
	v_mov_b32_e32 v83, v77
	s_delay_alu instid0(VALU_DEP_1)
	v_pk_add_f32 v[54:55], v[54:55], v[82:83] neg_lo:[0,1] neg_hi:[0,1]
.LBB27_82:
	s_or_b32 exec_lo, exec_lo, s1
	s_delay_alu instid0(SALU_CYCLE_1)
	s_mov_b32 s2, exec_lo
	s_wait_dscnt 0x0
	s_barrier_signal -1
	s_barrier_wait -1
	v_cmpx_eq_u32_e32 9, v86
	s_cbranch_execz .LBB27_89
; %bb.83:
	v_dual_mov_b32 v76, v44 :: v_dual_mov_b32 v77, v45
	v_dual_mov_b32 v78, v50 :: v_dual_mov_b32 v79, v51
	;; [unrolled: 1-line block ×3, first 2 shown]
	ds_store_b64 v87, v[42:43]
	ds_store_2addr_b64 v88, v[76:77], v[78:79] offset0:10 offset1:11
	ds_store_2addr_b64 v88, v[80:81], v[54:55] offset0:12 offset1:13
	ds_load_b64 v[76:77], v87
	s_wait_dscnt 0x0
	v_cmp_neq_f32_e32 vcc_lo, 0, v76
	v_cmp_neq_f32_e64 s1, 0, v77
	s_or_b32 s1, vcc_lo, s1
	s_delay_alu instid0(SALU_CYCLE_1)
	s_and_b32 exec_lo, exec_lo, s1
	s_cbranch_execz .LBB27_89
; %bb.84:
	v_cmp_ngt_f32_e64 s1, |v76|, |v77|
                                        ; implicit-def: $vgpr78_vgpr79
	s_and_saveexec_b32 s4, s1
	s_delay_alu instid0(SALU_CYCLE_1)
	s_xor_b32 s1, exec_lo, s4
	s_cbranch_execz .LBB27_86
; %bb.85:
	v_div_scale_f32 v78, null, v77, v77, v76
	v_div_scale_f32 v81, vcc_lo, v76, v77, v76
	s_delay_alu instid0(VALU_DEP_2) | instskip(SKIP_1) | instid1(TRANS32_DEP_1)
	v_rcp_f32_e32 v79, v78
	v_nop
	v_fma_f32 v80, -v78, v79, 1.0
	s_delay_alu instid0(VALU_DEP_1) | instskip(NEXT) | instid1(VALU_DEP_1)
	v_fmac_f32_e32 v79, v80, v79
	v_mul_f32_e32 v80, v81, v79
	s_delay_alu instid0(VALU_DEP_1) | instskip(NEXT) | instid1(VALU_DEP_1)
	v_fma_f32 v82, -v78, v80, v81
	v_fmac_f32_e32 v80, v82, v79
	s_delay_alu instid0(VALU_DEP_1) | instskip(NEXT) | instid1(VALU_DEP_1)
	v_fma_f32 v78, -v78, v80, v81
	v_div_fmas_f32 v78, v78, v79, v80
	s_delay_alu instid0(VALU_DEP_1) | instskip(NEXT) | instid1(VALU_DEP_1)
	v_div_fixup_f32 v78, v78, v77, v76
	v_fmac_f32_e32 v77, v76, v78
	s_delay_alu instid0(VALU_DEP_1) | instskip(SKIP_1) | instid1(VALU_DEP_2)
	v_div_scale_f32 v76, null, v77, v77, 1.0
	v_div_scale_f32 v81, vcc_lo, 1.0, v77, 1.0
	v_rcp_f32_e32 v79, v76
	v_nop
	s_delay_alu instid0(TRANS32_DEP_1) | instskip(NEXT) | instid1(VALU_DEP_1)
	v_fma_f32 v80, -v76, v79, 1.0
	v_fmac_f32_e32 v79, v80, v79
	s_delay_alu instid0(VALU_DEP_1) | instskip(NEXT) | instid1(VALU_DEP_1)
	v_mul_f32_e32 v80, v81, v79
	v_fma_f32 v82, -v76, v80, v81
	s_delay_alu instid0(VALU_DEP_1) | instskip(NEXT) | instid1(VALU_DEP_1)
	v_fmac_f32_e32 v80, v82, v79
	v_fma_f32 v76, -v76, v80, v81
	s_delay_alu instid0(VALU_DEP_1) | instskip(NEXT) | instid1(VALU_DEP_1)
	v_div_fmas_f32 v76, v76, v79, v80
	v_div_fixup_f32 v76, v76, v77, 1.0
	s_delay_alu instid0(VALU_DEP_1)
	v_mul_f32_e32 v78, v78, v76
	v_xor_b32_e32 v79, 0x80000000, v76
                                        ; implicit-def: $vgpr76_vgpr77
.LBB27_86:
	s_and_not1_saveexec_b32 s1, s1
	s_cbranch_execz .LBB27_88
; %bb.87:
	v_div_scale_f32 v78, null, v76, v76, v77
	v_div_scale_f32 v81, vcc_lo, v77, v76, v77
	s_delay_alu instid0(VALU_DEP_2) | instskip(SKIP_1) | instid1(TRANS32_DEP_1)
	v_rcp_f32_e32 v79, v78
	v_nop
	v_fma_f32 v80, -v78, v79, 1.0
	s_delay_alu instid0(VALU_DEP_1) | instskip(NEXT) | instid1(VALU_DEP_1)
	v_fmac_f32_e32 v79, v80, v79
	v_mul_f32_e32 v80, v81, v79
	s_delay_alu instid0(VALU_DEP_1) | instskip(NEXT) | instid1(VALU_DEP_1)
	v_fma_f32 v82, -v78, v80, v81
	v_fmac_f32_e32 v80, v82, v79
	s_delay_alu instid0(VALU_DEP_1) | instskip(NEXT) | instid1(VALU_DEP_1)
	v_fma_f32 v78, -v78, v80, v81
	v_div_fmas_f32 v78, v78, v79, v80
	s_delay_alu instid0(VALU_DEP_1) | instskip(NEXT) | instid1(VALU_DEP_1)
	v_div_fixup_f32 v79, v78, v76, v77
	v_fmac_f32_e32 v76, v77, v79
	s_delay_alu instid0(VALU_DEP_1) | instskip(NEXT) | instid1(VALU_DEP_1)
	v_div_scale_f32 v77, null, v76, v76, 1.0
	v_rcp_f32_e32 v78, v77
	v_nop
	s_delay_alu instid0(TRANS32_DEP_1) | instskip(NEXT) | instid1(VALU_DEP_1)
	v_fma_f32 v80, -v77, v78, 1.0
	v_fmac_f32_e32 v78, v80, v78
	v_div_scale_f32 v80, vcc_lo, 1.0, v76, 1.0
	s_delay_alu instid0(VALU_DEP_1) | instskip(NEXT) | instid1(VALU_DEP_1)
	v_mul_f32_e32 v81, v80, v78
	v_fma_f32 v82, -v77, v81, v80
	s_delay_alu instid0(VALU_DEP_1) | instskip(NEXT) | instid1(VALU_DEP_1)
	v_fmac_f32_e32 v81, v82, v78
	v_fma_f32 v77, -v77, v81, v80
	s_delay_alu instid0(VALU_DEP_1) | instskip(NEXT) | instid1(VALU_DEP_1)
	v_div_fmas_f32 v77, v77, v78, v81
	v_div_fixup_f32 v78, v77, v76, 1.0
	s_delay_alu instid0(VALU_DEP_1)
	v_mul_f32_e64 v79, v79, -v78
.LBB27_88:
	s_or_b32 exec_lo, exec_lo, s1
	ds_store_b64 v87, v[78:79]
.LBB27_89:
	s_or_b32 exec_lo, exec_lo, s2
	s_wait_dscnt 0x0
	s_barrier_signal -1
	s_barrier_wait -1
	ds_load_b64 v[76:77], v87
	s_mov_b32 s1, exec_lo
	v_cmpx_lt_u32_e32 9, v86
	s_cbranch_execz .LBB27_91
; %bb.90:
	s_wait_dscnt 0x0
	v_pk_mul_f32 v[78:79], v[76:77], v[42:43] op_sel:[1,1] op_sel_hi:[0,1]
	s_delay_alu instid0(VALU_DEP_1)
	v_pk_fma_f32 v[82:83], v[76:77], v[42:43], v[78:79] op_sel_hi:[1,0,1] neg_lo:[0,0,1] neg_hi:[0,0,1]
	v_pk_fma_f32 v[84:85], v[76:77], v[42:43], v[78:79] op_sel_hi:[1,0,1]
	ds_load_2addr_b64 v[78:81], v88 offset0:10 offset1:11
	v_dual_mov_b32 v42, v82 :: v_dual_mov_b32 v43, v85
	s_wait_dscnt 0x0
	v_pk_mul_f32 v[90:91], v[78:79], v[84:85] op_sel:[0,1]
	s_delay_alu instid0(VALU_DEP_1) | instskip(SKIP_1) | instid1(VALU_DEP_1)
	v_pk_fma_f32 v[92:93], v[78:79], v[82:83], v[90:91] op_sel:[0,0,1] op_sel_hi:[1,1,0] neg_lo:[0,0,1] neg_hi:[0,0,1]
	v_pk_fma_f32 v[78:79], v[78:79], v[82:83], v[90:91] op_sel:[0,0,1] op_sel_hi:[1,0,0]
	v_mov_b32_e32 v93, v79
	v_pk_mul_f32 v[78:79], v[80:81], v[84:85] op_sel:[0,1]
	s_delay_alu instid0(VALU_DEP_1) | instskip(SKIP_1) | instid1(VALU_DEP_1)
	v_pk_fma_f32 v[90:91], v[80:81], v[82:83], v[78:79] op_sel:[0,0,1] op_sel_hi:[1,1,0] neg_lo:[0,0,1] neg_hi:[0,0,1]
	v_pk_fma_f32 v[78:79], v[80:81], v[82:83], v[78:79] op_sel:[0,0,1] op_sel_hi:[1,0,0]
	v_mov_b32_e32 v91, v79
	ds_load_2addr_b64 v[78:81], v88 offset0:12 offset1:13
	v_pk_add_f32 v[44:45], v[44:45], v[92:93] neg_lo:[0,1] neg_hi:[0,1]
	v_pk_add_f32 v[50:51], v[50:51], v[90:91] neg_lo:[0,1] neg_hi:[0,1]
	s_wait_dscnt 0x0
	v_pk_mul_f32 v[90:91], v[78:79], v[84:85] op_sel:[0,1]
	s_delay_alu instid0(VALU_DEP_1) | instskip(SKIP_1) | instid1(VALU_DEP_1)
	v_pk_fma_f32 v[92:93], v[78:79], v[82:83], v[90:91] op_sel:[0,0,1] op_sel_hi:[1,1,0] neg_lo:[0,0,1] neg_hi:[0,0,1]
	v_pk_fma_f32 v[78:79], v[78:79], v[82:83], v[90:91] op_sel:[0,0,1] op_sel_hi:[1,0,0]
	v_dual_mov_b32 v78, v81 :: v_dual_mov_b32 v93, v79
	v_mov_b32_e32 v79, v80
	s_delay_alu instid0(VALU_DEP_2) | instskip(NEXT) | instid1(VALU_DEP_2)
	v_pk_add_f32 v[52:53], v[52:53], v[92:93] neg_lo:[0,1] neg_hi:[0,1]
	v_pk_mul_f32 v[78:79], v[78:79], v[84:85] op_sel:[0,1]
	s_delay_alu instid0(VALU_DEP_1) | instskip(SKIP_1) | instid1(VALU_DEP_1)
	v_pk_fma_f32 v[84:85], v[80:81], v[82:83], v[78:79] neg_lo:[0,0,1] neg_hi:[0,0,1]
	v_pk_fma_f32 v[78:79], v[80:81], v[82:83], v[78:79] op_sel_hi:[1,0,1]
	v_mov_b32_e32 v85, v79
	s_delay_alu instid0(VALU_DEP_1)
	v_pk_add_f32 v[54:55], v[54:55], v[84:85] neg_lo:[0,1] neg_hi:[0,1]
.LBB27_91:
	s_or_b32 exec_lo, exec_lo, s1
	s_delay_alu instid0(SALU_CYCLE_1)
	s_mov_b32 s2, exec_lo
	s_wait_dscnt 0x0
	s_barrier_signal -1
	s_barrier_wait -1
	v_cmpx_eq_u32_e32 10, v86
	s_cbranch_execz .LBB27_98
; %bb.92:
	ds_store_b64 v87, v[44:45]
	ds_store_2addr_b64 v88, v[50:51], v[52:53] offset0:11 offset1:12
	ds_store_b64 v88, v[54:55] offset:104
	ds_load_b64 v[78:79], v87
	s_wait_dscnt 0x0
	v_cmp_neq_f32_e32 vcc_lo, 0, v78
	v_cmp_neq_f32_e64 s1, 0, v79
	s_or_b32 s1, vcc_lo, s1
	s_delay_alu instid0(SALU_CYCLE_1)
	s_and_b32 exec_lo, exec_lo, s1
	s_cbranch_execz .LBB27_98
; %bb.93:
	v_cmp_ngt_f32_e64 s1, |v78|, |v79|
                                        ; implicit-def: $vgpr80_vgpr81
	s_and_saveexec_b32 s4, s1
	s_delay_alu instid0(SALU_CYCLE_1)
	s_xor_b32 s1, exec_lo, s4
	s_cbranch_execz .LBB27_95
; %bb.94:
	v_div_scale_f32 v80, null, v79, v79, v78
	v_div_scale_f32 v83, vcc_lo, v78, v79, v78
	s_delay_alu instid0(VALU_DEP_2) | instskip(SKIP_1) | instid1(TRANS32_DEP_1)
	v_rcp_f32_e32 v81, v80
	v_nop
	v_fma_f32 v82, -v80, v81, 1.0
	s_delay_alu instid0(VALU_DEP_1) | instskip(NEXT) | instid1(VALU_DEP_1)
	v_fmac_f32_e32 v81, v82, v81
	v_mul_f32_e32 v82, v83, v81
	s_delay_alu instid0(VALU_DEP_1) | instskip(NEXT) | instid1(VALU_DEP_1)
	v_fma_f32 v84, -v80, v82, v83
	v_fmac_f32_e32 v82, v84, v81
	s_delay_alu instid0(VALU_DEP_1) | instskip(NEXT) | instid1(VALU_DEP_1)
	v_fma_f32 v80, -v80, v82, v83
	v_div_fmas_f32 v80, v80, v81, v82
	s_delay_alu instid0(VALU_DEP_1) | instskip(NEXT) | instid1(VALU_DEP_1)
	v_div_fixup_f32 v80, v80, v79, v78
	v_fmac_f32_e32 v79, v78, v80
	s_delay_alu instid0(VALU_DEP_1) | instskip(SKIP_1) | instid1(VALU_DEP_2)
	v_div_scale_f32 v78, null, v79, v79, 1.0
	v_div_scale_f32 v83, vcc_lo, 1.0, v79, 1.0
	v_rcp_f32_e32 v81, v78
	v_nop
	s_delay_alu instid0(TRANS32_DEP_1) | instskip(NEXT) | instid1(VALU_DEP_1)
	v_fma_f32 v82, -v78, v81, 1.0
	v_fmac_f32_e32 v81, v82, v81
	s_delay_alu instid0(VALU_DEP_1) | instskip(NEXT) | instid1(VALU_DEP_1)
	v_mul_f32_e32 v82, v83, v81
	v_fma_f32 v84, -v78, v82, v83
	s_delay_alu instid0(VALU_DEP_1) | instskip(NEXT) | instid1(VALU_DEP_1)
	v_fmac_f32_e32 v82, v84, v81
	v_fma_f32 v78, -v78, v82, v83
	s_delay_alu instid0(VALU_DEP_1) | instskip(NEXT) | instid1(VALU_DEP_1)
	v_div_fmas_f32 v78, v78, v81, v82
	v_div_fixup_f32 v78, v78, v79, 1.0
	s_delay_alu instid0(VALU_DEP_1)
	v_mul_f32_e32 v80, v80, v78
	v_xor_b32_e32 v81, 0x80000000, v78
                                        ; implicit-def: $vgpr78_vgpr79
.LBB27_95:
	s_and_not1_saveexec_b32 s1, s1
	s_cbranch_execz .LBB27_97
; %bb.96:
	v_div_scale_f32 v80, null, v78, v78, v79
	v_div_scale_f32 v83, vcc_lo, v79, v78, v79
	s_delay_alu instid0(VALU_DEP_2) | instskip(SKIP_1) | instid1(TRANS32_DEP_1)
	v_rcp_f32_e32 v81, v80
	v_nop
	v_fma_f32 v82, -v80, v81, 1.0
	s_delay_alu instid0(VALU_DEP_1) | instskip(NEXT) | instid1(VALU_DEP_1)
	v_fmac_f32_e32 v81, v82, v81
	v_mul_f32_e32 v82, v83, v81
	s_delay_alu instid0(VALU_DEP_1) | instskip(NEXT) | instid1(VALU_DEP_1)
	v_fma_f32 v84, -v80, v82, v83
	v_fmac_f32_e32 v82, v84, v81
	s_delay_alu instid0(VALU_DEP_1) | instskip(NEXT) | instid1(VALU_DEP_1)
	v_fma_f32 v80, -v80, v82, v83
	v_div_fmas_f32 v80, v80, v81, v82
	s_delay_alu instid0(VALU_DEP_1) | instskip(NEXT) | instid1(VALU_DEP_1)
	v_div_fixup_f32 v81, v80, v78, v79
	v_fmac_f32_e32 v78, v79, v81
	s_delay_alu instid0(VALU_DEP_1) | instskip(NEXT) | instid1(VALU_DEP_1)
	v_div_scale_f32 v79, null, v78, v78, 1.0
	v_rcp_f32_e32 v80, v79
	v_nop
	s_delay_alu instid0(TRANS32_DEP_1) | instskip(NEXT) | instid1(VALU_DEP_1)
	v_fma_f32 v82, -v79, v80, 1.0
	v_fmac_f32_e32 v80, v82, v80
	v_div_scale_f32 v82, vcc_lo, 1.0, v78, 1.0
	s_delay_alu instid0(VALU_DEP_1) | instskip(NEXT) | instid1(VALU_DEP_1)
	v_mul_f32_e32 v83, v82, v80
	v_fma_f32 v84, -v79, v83, v82
	s_delay_alu instid0(VALU_DEP_1) | instskip(NEXT) | instid1(VALU_DEP_1)
	v_fmac_f32_e32 v83, v84, v80
	v_fma_f32 v79, -v79, v83, v82
	s_delay_alu instid0(VALU_DEP_1) | instskip(NEXT) | instid1(VALU_DEP_1)
	v_div_fmas_f32 v79, v79, v80, v83
	v_div_fixup_f32 v80, v79, v78, 1.0
	s_delay_alu instid0(VALU_DEP_1)
	v_mul_f32_e64 v81, v81, -v80
.LBB27_97:
	s_or_b32 exec_lo, exec_lo, s1
	ds_store_b64 v87, v[80:81]
.LBB27_98:
	s_or_b32 exec_lo, exec_lo, s2
	s_wait_dscnt 0x0
	s_barrier_signal -1
	s_barrier_wait -1
	ds_load_b64 v[78:79], v87
	s_mov_b32 s1, exec_lo
	v_cmpx_lt_u32_e32 10, v86
	s_cbranch_execz .LBB27_100
; %bb.99:
	s_wait_dscnt 0x0
	v_pk_mul_f32 v[80:81], v[78:79], v[44:45] op_sel:[1,1] op_sel_hi:[0,1]
	s_delay_alu instid0(VALU_DEP_1)
	v_pk_fma_f32 v[84:85], v[78:79], v[44:45], v[80:81] op_sel_hi:[1,0,1] neg_lo:[0,0,1] neg_hi:[0,0,1]
	v_pk_fma_f32 v[90:91], v[78:79], v[44:45], v[80:81] op_sel_hi:[1,0,1]
	ds_load_2addr_b64 v[80:83], v88 offset0:11 offset1:12
	v_dual_mov_b32 v44, v84 :: v_dual_mov_b32 v45, v91
	s_wait_dscnt 0x0
	v_pk_mul_f32 v[92:93], v[80:81], v[90:91] op_sel:[0,1]
	s_delay_alu instid0(VALU_DEP_1) | instskip(SKIP_1) | instid1(VALU_DEP_1)
	v_pk_fma_f32 v[94:95], v[80:81], v[84:85], v[92:93] op_sel:[0,0,1] op_sel_hi:[1,1,0] neg_lo:[0,0,1] neg_hi:[0,0,1]
	v_pk_fma_f32 v[80:81], v[80:81], v[84:85], v[92:93] op_sel:[0,0,1] op_sel_hi:[1,0,0]
	v_mov_b32_e32 v95, v81
	v_pk_mul_f32 v[80:81], v[82:83], v[90:91] op_sel:[0,1]
	s_delay_alu instid0(VALU_DEP_1) | instskip(SKIP_1) | instid1(VALU_DEP_1)
	v_pk_fma_f32 v[92:93], v[82:83], v[84:85], v[80:81] op_sel:[0,0,1] op_sel_hi:[1,1,0] neg_lo:[0,0,1] neg_hi:[0,0,1]
	v_pk_fma_f32 v[80:81], v[82:83], v[84:85], v[80:81] op_sel:[0,0,1] op_sel_hi:[1,0,0]
	v_mov_b32_e32 v93, v81
	ds_load_b64 v[80:81], v88 offset:104
	v_pk_add_f32 v[50:51], v[50:51], v[94:95] neg_lo:[0,1] neg_hi:[0,1]
	v_pk_add_f32 v[52:53], v[52:53], v[92:93] neg_lo:[0,1] neg_hi:[0,1]
	s_wait_dscnt 0x0
	v_pk_mul_f32 v[82:83], v[80:81], v[90:91] op_sel:[1,1] op_sel_hi:[0,1]
	s_delay_alu instid0(VALU_DEP_1) | instskip(SKIP_1) | instid1(VALU_DEP_1)
	v_pk_fma_f32 v[90:91], v[80:81], v[84:85], v[82:83] neg_lo:[0,0,1] neg_hi:[0,0,1]
	v_pk_fma_f32 v[80:81], v[80:81], v[84:85], v[82:83] op_sel_hi:[1,0,1]
	v_mov_b32_e32 v91, v81
	s_delay_alu instid0(VALU_DEP_1)
	v_pk_add_f32 v[54:55], v[54:55], v[90:91] neg_lo:[0,1] neg_hi:[0,1]
.LBB27_100:
	s_or_b32 exec_lo, exec_lo, s1
	s_delay_alu instid0(SALU_CYCLE_1)
	s_mov_b32 s2, exec_lo
	s_wait_dscnt 0x0
	s_barrier_signal -1
	s_barrier_wait -1
	v_cmpx_eq_u32_e32 11, v86
	s_cbranch_execz .LBB27_107
; %bb.101:
	v_dual_mov_b32 v80, v52 :: v_dual_mov_b32 v81, v53
	ds_store_b64 v87, v[50:51]
	ds_store_2addr_b64 v88, v[80:81], v[54:55] offset0:12 offset1:13
	ds_load_b64 v[80:81], v87
	s_wait_dscnt 0x0
	v_cmp_neq_f32_e32 vcc_lo, 0, v80
	v_cmp_neq_f32_e64 s1, 0, v81
	s_or_b32 s1, vcc_lo, s1
	s_delay_alu instid0(SALU_CYCLE_1)
	s_and_b32 exec_lo, exec_lo, s1
	s_cbranch_execz .LBB27_107
; %bb.102:
	v_cmp_ngt_f32_e64 s1, |v80|, |v81|
                                        ; implicit-def: $vgpr82_vgpr83
	s_and_saveexec_b32 s4, s1
	s_delay_alu instid0(SALU_CYCLE_1)
	s_xor_b32 s1, exec_lo, s4
	s_cbranch_execz .LBB27_104
; %bb.103:
	v_div_scale_f32 v82, null, v81, v81, v80
	v_div_scale_f32 v85, vcc_lo, v80, v81, v80
	s_delay_alu instid0(VALU_DEP_2) | instskip(SKIP_1) | instid1(TRANS32_DEP_1)
	v_rcp_f32_e32 v83, v82
	v_nop
	v_fma_f32 v84, -v82, v83, 1.0
	s_delay_alu instid0(VALU_DEP_1) | instskip(NEXT) | instid1(VALU_DEP_1)
	v_fmac_f32_e32 v83, v84, v83
	v_mul_f32_e32 v84, v85, v83
	s_delay_alu instid0(VALU_DEP_1) | instskip(NEXT) | instid1(VALU_DEP_1)
	v_fma_f32 v89, -v82, v84, v85
	v_fmac_f32_e32 v84, v89, v83
	s_delay_alu instid0(VALU_DEP_1) | instskip(NEXT) | instid1(VALU_DEP_1)
	v_fma_f32 v82, -v82, v84, v85
	v_div_fmas_f32 v82, v82, v83, v84
	s_delay_alu instid0(VALU_DEP_1) | instskip(NEXT) | instid1(VALU_DEP_1)
	v_div_fixup_f32 v82, v82, v81, v80
	v_fmac_f32_e32 v81, v80, v82
	s_delay_alu instid0(VALU_DEP_1) | instskip(SKIP_1) | instid1(VALU_DEP_2)
	v_div_scale_f32 v80, null, v81, v81, 1.0
	v_div_scale_f32 v85, vcc_lo, 1.0, v81, 1.0
	v_rcp_f32_e32 v83, v80
	v_nop
	s_delay_alu instid0(TRANS32_DEP_1) | instskip(NEXT) | instid1(VALU_DEP_1)
	v_fma_f32 v84, -v80, v83, 1.0
	v_fmac_f32_e32 v83, v84, v83
	s_delay_alu instid0(VALU_DEP_1) | instskip(NEXT) | instid1(VALU_DEP_1)
	v_mul_f32_e32 v84, v85, v83
	v_fma_f32 v89, -v80, v84, v85
	s_delay_alu instid0(VALU_DEP_1) | instskip(NEXT) | instid1(VALU_DEP_1)
	v_fmac_f32_e32 v84, v89, v83
	v_fma_f32 v80, -v80, v84, v85
	s_delay_alu instid0(VALU_DEP_1) | instskip(NEXT) | instid1(VALU_DEP_1)
	v_div_fmas_f32 v80, v80, v83, v84
	v_div_fixup_f32 v80, v80, v81, 1.0
	s_delay_alu instid0(VALU_DEP_1)
	v_mul_f32_e32 v82, v82, v80
	v_xor_b32_e32 v83, 0x80000000, v80
                                        ; implicit-def: $vgpr80_vgpr81
.LBB27_104:
	s_and_not1_saveexec_b32 s1, s1
	s_cbranch_execz .LBB27_106
; %bb.105:
	v_div_scale_f32 v82, null, v80, v80, v81
	v_div_scale_f32 v85, vcc_lo, v81, v80, v81
	s_delay_alu instid0(VALU_DEP_2) | instskip(SKIP_1) | instid1(TRANS32_DEP_1)
	v_rcp_f32_e32 v83, v82
	v_nop
	v_fma_f32 v84, -v82, v83, 1.0
	s_delay_alu instid0(VALU_DEP_1) | instskip(NEXT) | instid1(VALU_DEP_1)
	v_fmac_f32_e32 v83, v84, v83
	v_mul_f32_e32 v84, v85, v83
	s_delay_alu instid0(VALU_DEP_1) | instskip(NEXT) | instid1(VALU_DEP_1)
	v_fma_f32 v89, -v82, v84, v85
	v_fmac_f32_e32 v84, v89, v83
	s_delay_alu instid0(VALU_DEP_1) | instskip(NEXT) | instid1(VALU_DEP_1)
	v_fma_f32 v82, -v82, v84, v85
	v_div_fmas_f32 v82, v82, v83, v84
	s_delay_alu instid0(VALU_DEP_1) | instskip(NEXT) | instid1(VALU_DEP_1)
	v_div_fixup_f32 v83, v82, v80, v81
	v_fmac_f32_e32 v80, v81, v83
	s_delay_alu instid0(VALU_DEP_1) | instskip(NEXT) | instid1(VALU_DEP_1)
	v_div_scale_f32 v81, null, v80, v80, 1.0
	v_rcp_f32_e32 v82, v81
	v_nop
	s_delay_alu instid0(TRANS32_DEP_1) | instskip(NEXT) | instid1(VALU_DEP_1)
	v_fma_f32 v84, -v81, v82, 1.0
	v_fmac_f32_e32 v82, v84, v82
	v_div_scale_f32 v84, vcc_lo, 1.0, v80, 1.0
	s_delay_alu instid0(VALU_DEP_1) | instskip(NEXT) | instid1(VALU_DEP_1)
	v_mul_f32_e32 v85, v84, v82
	v_fma_f32 v89, -v81, v85, v84
	s_delay_alu instid0(VALU_DEP_1) | instskip(NEXT) | instid1(VALU_DEP_1)
	v_fmac_f32_e32 v85, v89, v82
	v_fma_f32 v81, -v81, v85, v84
	s_delay_alu instid0(VALU_DEP_1) | instskip(NEXT) | instid1(VALU_DEP_1)
	v_div_fmas_f32 v81, v81, v82, v85
	v_div_fixup_f32 v82, v81, v80, 1.0
	s_delay_alu instid0(VALU_DEP_1)
	v_mul_f32_e64 v83, v83, -v82
.LBB27_106:
	s_or_b32 exec_lo, exec_lo, s1
	ds_store_b64 v87, v[82:83]
.LBB27_107:
	s_or_b32 exec_lo, exec_lo, s2
	s_wait_dscnt 0x0
	s_barrier_signal -1
	s_barrier_wait -1
	ds_load_b64 v[80:81], v87
	s_mov_b32 s1, exec_lo
	v_cmpx_lt_u32_e32 11, v86
	s_cbranch_execz .LBB27_109
; %bb.108:
	ds_load_2addr_b64 v[82:85], v88 offset0:12 offset1:13
	s_wait_dscnt 0x1
	v_pk_mul_f32 v[90:91], v[80:81], v[50:51] op_sel:[1,1] op_sel_hi:[0,1]
	s_delay_alu instid0(VALU_DEP_1) | instskip(SKIP_3) | instid1(VALU_DEP_3)
	v_pk_fma_f32 v[92:93], v[80:81], v[50:51], v[90:91] op_sel_hi:[1,0,1]
	v_pk_fma_f32 v[50:51], v[80:81], v[50:51], v[90:91] op_sel_hi:[1,0,1] neg_lo:[0,0,1] neg_hi:[0,0,1]
	s_wait_dscnt 0x0
	v_dual_mov_b32 v94, v85 :: v_dual_mov_b32 v95, v84
	v_pk_mul_f32 v[90:91], v[82:83], v[92:93] op_sel:[0,1]
	s_delay_alu instid0(VALU_DEP_2) | instskip(NEXT) | instid1(VALU_DEP_2)
	v_pk_mul_f32 v[94:95], v[94:95], v[92:93] op_sel:[0,1]
	v_pk_fma_f32 v[96:97], v[82:83], v[50:51], v[90:91] op_sel:[0,0,1] op_sel_hi:[1,0,0]
	v_pk_fma_f32 v[82:83], v[82:83], v[50:51], v[90:91] op_sel:[0,0,1] op_sel_hi:[1,1,0] neg_lo:[0,0,1] neg_hi:[0,0,1]
	s_delay_alu instid0(VALU_DEP_3) | instskip(SKIP_1) | instid1(VALU_DEP_4)
	v_pk_fma_f32 v[98:99], v[84:85], v[50:51], v[94:95] op_sel_hi:[1,0,1]
	v_pk_fma_f32 v[84:85], v[84:85], v[50:51], v[94:95] neg_lo:[0,0,1] neg_hi:[0,0,1]
	v_dual_mov_b32 v83, v97 :: v_dual_mov_b32 v51, v93
	s_delay_alu instid0(VALU_DEP_3) | instskip(NEXT) | instid1(VALU_DEP_2)
	v_mov_b32_e32 v85, v99
	v_pk_add_f32 v[52:53], v[52:53], v[82:83] neg_lo:[0,1] neg_hi:[0,1]
	s_delay_alu instid0(VALU_DEP_2)
	v_pk_add_f32 v[54:55], v[54:55], v[84:85] neg_lo:[0,1] neg_hi:[0,1]
.LBB27_109:
	s_or_b32 exec_lo, exec_lo, s1
	s_delay_alu instid0(SALU_CYCLE_1)
	s_mov_b32 s2, exec_lo
	s_wait_dscnt 0x0
	s_barrier_signal -1
	s_barrier_wait -1
	v_cmpx_eq_u32_e32 12, v86
	s_cbranch_execz .LBB27_116
; %bb.110:
	ds_store_b64 v87, v[52:53]
	ds_store_b64 v88, v[54:55] offset:104
	ds_load_b64 v[82:83], v87
	s_wait_dscnt 0x0
	v_cmp_neq_f32_e32 vcc_lo, 0, v82
	v_cmp_neq_f32_e64 s1, 0, v83
	s_or_b32 s1, vcc_lo, s1
	s_delay_alu instid0(SALU_CYCLE_1)
	s_and_b32 exec_lo, exec_lo, s1
	s_cbranch_execz .LBB27_116
; %bb.111:
	v_cmp_ngt_f32_e64 s1, |v82|, |v83|
                                        ; implicit-def: $vgpr84_vgpr85
	s_and_saveexec_b32 s4, s1
	s_delay_alu instid0(SALU_CYCLE_1)
	s_xor_b32 s1, exec_lo, s4
	s_cbranch_execz .LBB27_113
; %bb.112:
	v_div_scale_f32 v84, null, v83, v83, v82
	v_div_scale_f32 v90, vcc_lo, v82, v83, v82
	s_delay_alu instid0(VALU_DEP_2) | instskip(SKIP_1) | instid1(TRANS32_DEP_1)
	v_rcp_f32_e32 v85, v84
	v_nop
	v_fma_f32 v89, -v84, v85, 1.0
	s_delay_alu instid0(VALU_DEP_1) | instskip(NEXT) | instid1(VALU_DEP_1)
	v_fmac_f32_e32 v85, v89, v85
	v_mul_f32_e32 v89, v90, v85
	s_delay_alu instid0(VALU_DEP_1) | instskip(NEXT) | instid1(VALU_DEP_1)
	v_fma_f32 v91, -v84, v89, v90
	v_fmac_f32_e32 v89, v91, v85
	s_delay_alu instid0(VALU_DEP_1) | instskip(NEXT) | instid1(VALU_DEP_1)
	v_fma_f32 v84, -v84, v89, v90
	v_div_fmas_f32 v84, v84, v85, v89
	s_delay_alu instid0(VALU_DEP_1) | instskip(NEXT) | instid1(VALU_DEP_1)
	v_div_fixup_f32 v84, v84, v83, v82
	v_fmac_f32_e32 v83, v82, v84
	s_delay_alu instid0(VALU_DEP_1) | instskip(SKIP_1) | instid1(VALU_DEP_2)
	v_div_scale_f32 v82, null, v83, v83, 1.0
	v_div_scale_f32 v90, vcc_lo, 1.0, v83, 1.0
	v_rcp_f32_e32 v85, v82
	v_nop
	s_delay_alu instid0(TRANS32_DEP_1) | instskip(NEXT) | instid1(VALU_DEP_1)
	v_fma_f32 v89, -v82, v85, 1.0
	v_fmac_f32_e32 v85, v89, v85
	s_delay_alu instid0(VALU_DEP_1) | instskip(NEXT) | instid1(VALU_DEP_1)
	v_mul_f32_e32 v89, v90, v85
	v_fma_f32 v91, -v82, v89, v90
	s_delay_alu instid0(VALU_DEP_1) | instskip(NEXT) | instid1(VALU_DEP_1)
	v_fmac_f32_e32 v89, v91, v85
	v_fma_f32 v82, -v82, v89, v90
	s_delay_alu instid0(VALU_DEP_1) | instskip(NEXT) | instid1(VALU_DEP_1)
	v_div_fmas_f32 v82, v82, v85, v89
	v_div_fixup_f32 v82, v82, v83, 1.0
	s_delay_alu instid0(VALU_DEP_1)
	v_mul_f32_e32 v84, v84, v82
	v_xor_b32_e32 v85, 0x80000000, v82
                                        ; implicit-def: $vgpr82_vgpr83
.LBB27_113:
	s_and_not1_saveexec_b32 s1, s1
	s_cbranch_execz .LBB27_115
; %bb.114:
	v_div_scale_f32 v84, null, v82, v82, v83
	v_div_scale_f32 v90, vcc_lo, v83, v82, v83
	s_delay_alu instid0(VALU_DEP_2) | instskip(SKIP_1) | instid1(TRANS32_DEP_1)
	v_rcp_f32_e32 v85, v84
	v_nop
	v_fma_f32 v89, -v84, v85, 1.0
	s_delay_alu instid0(VALU_DEP_1) | instskip(NEXT) | instid1(VALU_DEP_1)
	v_fmac_f32_e32 v85, v89, v85
	v_mul_f32_e32 v89, v90, v85
	s_delay_alu instid0(VALU_DEP_1) | instskip(NEXT) | instid1(VALU_DEP_1)
	v_fma_f32 v91, -v84, v89, v90
	v_fmac_f32_e32 v89, v91, v85
	s_delay_alu instid0(VALU_DEP_1) | instskip(NEXT) | instid1(VALU_DEP_1)
	v_fma_f32 v84, -v84, v89, v90
	v_div_fmas_f32 v84, v84, v85, v89
	s_delay_alu instid0(VALU_DEP_1) | instskip(NEXT) | instid1(VALU_DEP_1)
	v_div_fixup_f32 v85, v84, v82, v83
	v_fmac_f32_e32 v82, v83, v85
	s_delay_alu instid0(VALU_DEP_1) | instskip(NEXT) | instid1(VALU_DEP_1)
	v_div_scale_f32 v83, null, v82, v82, 1.0
	v_rcp_f32_e32 v84, v83
	v_nop
	s_delay_alu instid0(TRANS32_DEP_1) | instskip(NEXT) | instid1(VALU_DEP_1)
	v_fma_f32 v89, -v83, v84, 1.0
	v_fmac_f32_e32 v84, v89, v84
	v_div_scale_f32 v89, vcc_lo, 1.0, v82, 1.0
	s_delay_alu instid0(VALU_DEP_1) | instskip(NEXT) | instid1(VALU_DEP_1)
	v_mul_f32_e32 v90, v89, v84
	v_fma_f32 v91, -v83, v90, v89
	s_delay_alu instid0(VALU_DEP_1) | instskip(NEXT) | instid1(VALU_DEP_1)
	v_fmac_f32_e32 v90, v91, v84
	v_fma_f32 v83, -v83, v90, v89
	s_delay_alu instid0(VALU_DEP_1) | instskip(NEXT) | instid1(VALU_DEP_1)
	v_div_fmas_f32 v83, v83, v84, v90
	v_div_fixup_f32 v84, v83, v82, 1.0
	s_delay_alu instid0(VALU_DEP_1)
	v_mul_f32_e64 v85, v85, -v84
.LBB27_115:
	s_or_b32 exec_lo, exec_lo, s1
	ds_store_b64 v87, v[84:85]
.LBB27_116:
	s_or_b32 exec_lo, exec_lo, s2
	s_wait_dscnt 0x0
	s_barrier_signal -1
	s_barrier_wait -1
	ds_load_b64 v[82:83], v87
	s_mov_b32 s1, exec_lo
	v_cmpx_lt_u32_e32 12, v86
	s_cbranch_execz .LBB27_118
; %bb.117:
	ds_load_b64 v[84:85], v88 offset:104
	s_wait_dscnt 0x1
	v_pk_mul_f32 v[88:89], v[82:83], v[52:53] op_sel:[1,1] op_sel_hi:[0,1]
	s_delay_alu instid0(VALU_DEP_1) | instskip(SKIP_2) | instid1(VALU_DEP_2)
	v_pk_fma_f32 v[90:91], v[82:83], v[52:53], v[88:89] op_sel_hi:[1,0,1]
	v_pk_fma_f32 v[52:53], v[82:83], v[52:53], v[88:89] op_sel_hi:[1,0,1] neg_lo:[0,0,1] neg_hi:[0,0,1]
	s_wait_dscnt 0x0
	v_pk_mul_f32 v[88:89], v[84:85], v[90:91] op_sel:[1,1] op_sel_hi:[0,1]
	s_delay_alu instid0(VALU_DEP_1) | instskip(SKIP_1) | instid1(VALU_DEP_2)
	v_pk_fma_f32 v[92:93], v[84:85], v[52:53], v[88:89] op_sel_hi:[1,0,1]
	v_pk_fma_f32 v[84:85], v[84:85], v[52:53], v[88:89] neg_lo:[0,0,1] neg_hi:[0,0,1]
	v_dual_mov_b32 v53, v91 :: v_dual_mov_b32 v85, v93
	s_delay_alu instid0(VALU_DEP_1)
	v_pk_add_f32 v[54:55], v[54:55], v[84:85] neg_lo:[0,1] neg_hi:[0,1]
.LBB27_118:
	s_or_b32 exec_lo, exec_lo, s1
	s_delay_alu instid0(SALU_CYCLE_1)
	s_mov_b32 s2, exec_lo
	s_wait_dscnt 0x0
	s_barrier_signal -1
	s_barrier_wait -1
	v_cmpx_eq_u32_e32 13, v86
	s_cbranch_execz .LBB27_125
; %bb.119:
	v_cmp_neq_f32_e32 vcc_lo, 0, v54
	v_cmp_neq_f32_e64 s1, 0, v55
	ds_store_b64 v87, v[54:55]
	s_or_b32 s1, vcc_lo, s1
	s_delay_alu instid0(SALU_CYCLE_1)
	s_and_b32 exec_lo, exec_lo, s1
	s_cbranch_execz .LBB27_125
; %bb.120:
	v_cmp_ngt_f32_e64 s1, |v54|, |v55|
                                        ; implicit-def: $vgpr84_vgpr85
	s_and_saveexec_b32 s4, s1
	s_delay_alu instid0(SALU_CYCLE_1)
	s_xor_b32 s1, exec_lo, s4
	s_cbranch_execz .LBB27_122
; %bb.121:
	v_div_scale_f32 v84, null, v55, v55, v54
	v_div_scale_f32 v89, vcc_lo, v54, v55, v54
	s_delay_alu instid0(VALU_DEP_2) | instskip(SKIP_1) | instid1(TRANS32_DEP_1)
	v_rcp_f32_e32 v85, v84
	v_nop
	v_fma_f32 v88, -v84, v85, 1.0
	s_delay_alu instid0(VALU_DEP_1) | instskip(NEXT) | instid1(VALU_DEP_1)
	v_fmac_f32_e32 v85, v88, v85
	v_mul_f32_e32 v88, v89, v85
	s_delay_alu instid0(VALU_DEP_1) | instskip(NEXT) | instid1(VALU_DEP_1)
	v_fma_f32 v90, -v84, v88, v89
	v_fmac_f32_e32 v88, v90, v85
	s_delay_alu instid0(VALU_DEP_1) | instskip(NEXT) | instid1(VALU_DEP_1)
	v_fma_f32 v84, -v84, v88, v89
	v_div_fmas_f32 v84, v84, v85, v88
	s_delay_alu instid0(VALU_DEP_1) | instskip(NEXT) | instid1(VALU_DEP_1)
	v_div_fixup_f32 v84, v84, v55, v54
	v_fma_f32 v85, v54, v84, v55
	s_delay_alu instid0(VALU_DEP_1) | instskip(SKIP_1) | instid1(VALU_DEP_2)
	v_div_scale_f32 v88, null, v85, v85, 1.0
	v_div_scale_f32 v91, vcc_lo, 1.0, v85, 1.0
	v_rcp_f32_e32 v89, v88
	v_nop
	s_delay_alu instid0(TRANS32_DEP_1) | instskip(NEXT) | instid1(VALU_DEP_1)
	v_fma_f32 v90, -v88, v89, 1.0
	v_fmac_f32_e32 v89, v90, v89
	s_delay_alu instid0(VALU_DEP_1) | instskip(NEXT) | instid1(VALU_DEP_1)
	v_mul_f32_e32 v90, v91, v89
	v_fma_f32 v92, -v88, v90, v91
	s_delay_alu instid0(VALU_DEP_1) | instskip(NEXT) | instid1(VALU_DEP_1)
	v_fmac_f32_e32 v90, v92, v89
	v_fma_f32 v88, -v88, v90, v91
	s_delay_alu instid0(VALU_DEP_1) | instskip(NEXT) | instid1(VALU_DEP_1)
	v_div_fmas_f32 v88, v88, v89, v90
	v_div_fixup_f32 v85, v88, v85, 1.0
	s_delay_alu instid0(VALU_DEP_1)
	v_mul_f32_e32 v84, v84, v85
	v_xor_b32_e32 v85, 0x80000000, v85
.LBB27_122:
	s_and_not1_saveexec_b32 s1, s1
	s_cbranch_execz .LBB27_124
; %bb.123:
	v_div_scale_f32 v84, null, v54, v54, v55
	v_div_scale_f32 v89, vcc_lo, v55, v54, v55
	s_delay_alu instid0(VALU_DEP_2) | instskip(SKIP_1) | instid1(TRANS32_DEP_1)
	v_rcp_f32_e32 v85, v84
	v_nop
	v_fma_f32 v88, -v84, v85, 1.0
	s_delay_alu instid0(VALU_DEP_1) | instskip(NEXT) | instid1(VALU_DEP_1)
	v_fmac_f32_e32 v85, v88, v85
	v_mul_f32_e32 v88, v89, v85
	s_delay_alu instid0(VALU_DEP_1) | instskip(NEXT) | instid1(VALU_DEP_1)
	v_fma_f32 v90, -v84, v88, v89
	v_fmac_f32_e32 v88, v90, v85
	s_delay_alu instid0(VALU_DEP_1) | instskip(NEXT) | instid1(VALU_DEP_1)
	v_fma_f32 v84, -v84, v88, v89
	v_div_fmas_f32 v84, v84, v85, v88
	s_delay_alu instid0(VALU_DEP_1) | instskip(NEXT) | instid1(VALU_DEP_1)
	v_div_fixup_f32 v85, v84, v54, v55
	v_fma_f32 v84, v55, v85, v54
	s_delay_alu instid0(VALU_DEP_1) | instskip(NEXT) | instid1(VALU_DEP_1)
	v_div_scale_f32 v88, null, v84, v84, 1.0
	v_rcp_f32_e32 v89, v88
	v_nop
	s_delay_alu instid0(TRANS32_DEP_1) | instskip(NEXT) | instid1(VALU_DEP_1)
	v_fma_f32 v90, -v88, v89, 1.0
	v_fmac_f32_e32 v89, v90, v89
	v_div_scale_f32 v90, vcc_lo, 1.0, v84, 1.0
	s_delay_alu instid0(VALU_DEP_1) | instskip(NEXT) | instid1(VALU_DEP_1)
	v_mul_f32_e32 v91, v90, v89
	v_fma_f32 v92, -v88, v91, v90
	s_delay_alu instid0(VALU_DEP_1) | instskip(NEXT) | instid1(VALU_DEP_1)
	v_fmac_f32_e32 v91, v92, v89
	v_fma_f32 v88, -v88, v91, v90
	s_delay_alu instid0(VALU_DEP_1) | instskip(NEXT) | instid1(VALU_DEP_1)
	v_div_fmas_f32 v88, v88, v89, v91
	v_div_fixup_f32 v84, v88, v84, 1.0
	s_delay_alu instid0(VALU_DEP_1)
	v_mul_f32_e64 v85, v85, -v84
.LBB27_124:
	s_or_b32 exec_lo, exec_lo, s1
	ds_store_b64 v87, v[84:85]
.LBB27_125:
	s_or_b32 exec_lo, exec_lo, s2
	s_wait_dscnt 0x0
	s_barrier_signal -1
	s_barrier_wait -1
	ds_load_b64 v[84:85], v87
	s_wait_dscnt 0x0
	s_barrier_signal -1
	s_barrier_wait -1
	s_and_saveexec_b32 s4, s0
	s_cbranch_execz .LBB27_128
; %bb.126:
	v_lshl_add_u64 v[2:3], v[2:3], 2, s[6:7]
	v_cmp_eq_f32_e32 vcc_lo, 0, v58
	v_cmp_eq_f32_e64 s0, 0, v59
	v_cmp_neq_f32_e64 s1, 0, v60
	v_cmp_neq_f32_e64 s2, 0, v61
	global_load_b32 v87, v[2:3], off
	s_and_b32 s0, vcc_lo, s0
	s_delay_alu instid0(SALU_CYCLE_1) | instskip(SKIP_1) | instid1(SALU_CYCLE_1)
	v_cndmask_b32_e64 v58, 0, 1, s0
	s_or_b32 s1, s1, s2
	s_or_b32 vcc_lo, s1, s0
	v_cmp_eq_f32_e64 s0, 0, v63
	s_delay_alu instid0(VALU_DEP_2) | instskip(SKIP_1) | instid1(VALU_DEP_2)
	v_cndmask_b32_e32 v58, 2, v58, vcc_lo
	v_cmp_eq_f32_e32 vcc_lo, 0, v62
	v_cmp_eq_u32_e64 s1, 0, v58
	s_and_b32 s0, vcc_lo, s0
	v_cmp_eq_f32_e32 vcc_lo, 0, v64
	s_and_b32 s0, s0, s1
	s_delay_alu instid0(SALU_CYCLE_1) | instskip(SKIP_1) | instid1(VALU_DEP_2)
	v_cndmask_b32_e64 v58, v58, 3, s0
	v_cmp_eq_f32_e64 s0, 0, v65
	v_cmp_eq_u32_e64 s1, 0, v58
	s_and_b32 s0, vcc_lo, s0
	v_cmp_eq_f32_e32 vcc_lo, 0, v66
	s_and_b32 s0, s0, s1
	s_delay_alu instid0(SALU_CYCLE_1) | instskip(SKIP_1) | instid1(VALU_DEP_2)
	v_cndmask_b32_e64 v58, v58, 4, s0
	v_cmp_eq_f32_e64 s0, 0, v67
	;; [unrolled: 7-line block ×11, first 2 shown]
	v_cmp_eq_u32_e64 s1, 0, v58
	s_and_b32 s0, vcc_lo, s0
	s_delay_alu instid0(SALU_CYCLE_1) | instskip(NEXT) | instid1(SALU_CYCLE_1)
	s_and_b32 s0, s0, s1
	v_cndmask_b32_e64 v58, v58, 14, s0
	s_delay_alu instid0(VALU_DEP_1) | instskip(SKIP_3) | instid1(SALU_CYCLE_1)
	v_cmp_ne_u32_e64 s0, 0, v58
	s_wait_loadcnt 0x0
	v_cmp_eq_u32_e32 vcc_lo, 0, v87
	s_and_b32 s0, vcc_lo, s0
	s_and_b32 exec_lo, exec_lo, s0
	s_cbranch_execz .LBB27_128
; %bb.127:
	v_add_nc_u32_e32 v58, s3, v58
	global_store_b32 v[2:3], v58, off
.LBB27_128:
	s_wait_xcnt 0x0
	s_or_b32 exec_lo, exec_lo, s4
	v_pk_mul_f32 v[2:3], v[84:85], v[54:55] op_sel:[1,1] op_sel_hi:[0,1]
	s_clause 0x1
	global_store_b64 v[18:19], v[56:57], off
	global_store_b64 v[32:33], v[48:49], off
	v_cmp_lt_u32_e32 vcc_lo, 13, v86
	s_clause 0x2
	global_store_b64 v[12:13], v[40:41], off
	global_store_b64 v[14:15], v[38:39], off
	;; [unrolled: 1-line block ×3, first 2 shown]
	s_wait_xcnt 0x4
	v_pk_fma_f32 v[18:19], v[84:85], v[54:55], v[2:3] op_sel_hi:[1,0,1]
	v_pk_fma_f32 v[2:3], v[84:85], v[54:55], v[2:3] neg_lo:[0,0,1] neg_hi:[0,0,1]
	s_delay_alu instid0(VALU_DEP_1)
	v_dual_cndmask_b32 v3, v55, v19 :: v_dual_cndmask_b32 v2, v54, v2
	s_clause 0x8
	global_store_b64 v[0:1], v[22:23], off
	global_store_b64 v[4:5], v[24:25], off
	;; [unrolled: 1-line block ×9, first 2 shown]
.LBB27_129:
	s_sendmsg sendmsg(MSG_DEALLOC_VGPRS)
	s_endpgm
	.section	.rodata,"a",@progbits
	.p2align	6, 0x0
	.amdhsa_kernel _ZN9rocsolver6v33100L23getf2_npvt_small_kernelILi14E19rocblas_complex_numIfEiiPS3_EEvT1_T3_lS5_lPT2_S5_S5_
		.amdhsa_group_segment_fixed_size 0
		.amdhsa_private_segment_fixed_size 0
		.amdhsa_kernarg_size 312
		.amdhsa_user_sgpr_count 2
		.amdhsa_user_sgpr_dispatch_ptr 0
		.amdhsa_user_sgpr_queue_ptr 0
		.amdhsa_user_sgpr_kernarg_segment_ptr 1
		.amdhsa_user_sgpr_dispatch_id 0
		.amdhsa_user_sgpr_kernarg_preload_length 0
		.amdhsa_user_sgpr_kernarg_preload_offset 0
		.amdhsa_user_sgpr_private_segment_size 0
		.amdhsa_wavefront_size32 1
		.amdhsa_uses_dynamic_stack 0
		.amdhsa_enable_private_segment 0
		.amdhsa_system_sgpr_workgroup_id_x 1
		.amdhsa_system_sgpr_workgroup_id_y 1
		.amdhsa_system_sgpr_workgroup_id_z 0
		.amdhsa_system_sgpr_workgroup_info 0
		.amdhsa_system_vgpr_workitem_id 1
		.amdhsa_next_free_vgpr 106
		.amdhsa_next_free_sgpr 15
		.amdhsa_named_barrier_count 0
		.amdhsa_reserve_vcc 1
		.amdhsa_float_round_mode_32 0
		.amdhsa_float_round_mode_16_64 0
		.amdhsa_float_denorm_mode_32 3
		.amdhsa_float_denorm_mode_16_64 3
		.amdhsa_fp16_overflow 0
		.amdhsa_memory_ordered 1
		.amdhsa_forward_progress 1
		.amdhsa_inst_pref_size 120
		.amdhsa_round_robin_scheduling 0
		.amdhsa_exception_fp_ieee_invalid_op 0
		.amdhsa_exception_fp_denorm_src 0
		.amdhsa_exception_fp_ieee_div_zero 0
		.amdhsa_exception_fp_ieee_overflow 0
		.amdhsa_exception_fp_ieee_underflow 0
		.amdhsa_exception_fp_ieee_inexact 0
		.amdhsa_exception_int_div_zero 0
	.end_amdhsa_kernel
	.section	.text._ZN9rocsolver6v33100L23getf2_npvt_small_kernelILi14E19rocblas_complex_numIfEiiPS3_EEvT1_T3_lS5_lPT2_S5_S5_,"axG",@progbits,_ZN9rocsolver6v33100L23getf2_npvt_small_kernelILi14E19rocblas_complex_numIfEiiPS3_EEvT1_T3_lS5_lPT2_S5_S5_,comdat
.Lfunc_end27:
	.size	_ZN9rocsolver6v33100L23getf2_npvt_small_kernelILi14E19rocblas_complex_numIfEiiPS3_EEvT1_T3_lS5_lPT2_S5_S5_, .Lfunc_end27-_ZN9rocsolver6v33100L23getf2_npvt_small_kernelILi14E19rocblas_complex_numIfEiiPS3_EEvT1_T3_lS5_lPT2_S5_S5_
                                        ; -- End function
	.set _ZN9rocsolver6v33100L23getf2_npvt_small_kernelILi14E19rocblas_complex_numIfEiiPS3_EEvT1_T3_lS5_lPT2_S5_S5_.num_vgpr, 106
	.set _ZN9rocsolver6v33100L23getf2_npvt_small_kernelILi14E19rocblas_complex_numIfEiiPS3_EEvT1_T3_lS5_lPT2_S5_S5_.num_agpr, 0
	.set _ZN9rocsolver6v33100L23getf2_npvt_small_kernelILi14E19rocblas_complex_numIfEiiPS3_EEvT1_T3_lS5_lPT2_S5_S5_.numbered_sgpr, 15
	.set _ZN9rocsolver6v33100L23getf2_npvt_small_kernelILi14E19rocblas_complex_numIfEiiPS3_EEvT1_T3_lS5_lPT2_S5_S5_.num_named_barrier, 0
	.set _ZN9rocsolver6v33100L23getf2_npvt_small_kernelILi14E19rocblas_complex_numIfEiiPS3_EEvT1_T3_lS5_lPT2_S5_S5_.private_seg_size, 0
	.set _ZN9rocsolver6v33100L23getf2_npvt_small_kernelILi14E19rocblas_complex_numIfEiiPS3_EEvT1_T3_lS5_lPT2_S5_S5_.uses_vcc, 1
	.set _ZN9rocsolver6v33100L23getf2_npvt_small_kernelILi14E19rocblas_complex_numIfEiiPS3_EEvT1_T3_lS5_lPT2_S5_S5_.uses_flat_scratch, 0
	.set _ZN9rocsolver6v33100L23getf2_npvt_small_kernelILi14E19rocblas_complex_numIfEiiPS3_EEvT1_T3_lS5_lPT2_S5_S5_.has_dyn_sized_stack, 0
	.set _ZN9rocsolver6v33100L23getf2_npvt_small_kernelILi14E19rocblas_complex_numIfEiiPS3_EEvT1_T3_lS5_lPT2_S5_S5_.has_recursion, 0
	.set _ZN9rocsolver6v33100L23getf2_npvt_small_kernelILi14E19rocblas_complex_numIfEiiPS3_EEvT1_T3_lS5_lPT2_S5_S5_.has_indirect_call, 0
	.section	.AMDGPU.csdata,"",@progbits
; Kernel info:
; codeLenInByte = 15336
; TotalNumSgprs: 17
; NumVgprs: 106
; ScratchSize: 0
; MemoryBound: 0
; FloatMode: 240
; IeeeMode: 1
; LDSByteSize: 0 bytes/workgroup (compile time only)
; SGPRBlocks: 0
; VGPRBlocks: 6
; NumSGPRsForWavesPerEU: 17
; NumVGPRsForWavesPerEU: 106
; NamedBarCnt: 0
; Occupancy: 9
; WaveLimiterHint : 0
; COMPUTE_PGM_RSRC2:SCRATCH_EN: 0
; COMPUTE_PGM_RSRC2:USER_SGPR: 2
; COMPUTE_PGM_RSRC2:TRAP_HANDLER: 0
; COMPUTE_PGM_RSRC2:TGID_X_EN: 1
; COMPUTE_PGM_RSRC2:TGID_Y_EN: 1
; COMPUTE_PGM_RSRC2:TGID_Z_EN: 0
; COMPUTE_PGM_RSRC2:TIDIG_COMP_CNT: 1
	.section	.text._ZN9rocsolver6v33100L18getf2_small_kernelILi15E19rocblas_complex_numIfEiiPS3_EEvT1_T3_lS5_lPS5_llPT2_S5_S5_S7_l,"axG",@progbits,_ZN9rocsolver6v33100L18getf2_small_kernelILi15E19rocblas_complex_numIfEiiPS3_EEvT1_T3_lS5_lPS5_llPT2_S5_S5_S7_l,comdat
	.globl	_ZN9rocsolver6v33100L18getf2_small_kernelILi15E19rocblas_complex_numIfEiiPS3_EEvT1_T3_lS5_lPS5_llPT2_S5_S5_S7_l ; -- Begin function _ZN9rocsolver6v33100L18getf2_small_kernelILi15E19rocblas_complex_numIfEiiPS3_EEvT1_T3_lS5_lPS5_llPT2_S5_S5_S7_l
	.p2align	8
	.type	_ZN9rocsolver6v33100L18getf2_small_kernelILi15E19rocblas_complex_numIfEiiPS3_EEvT1_T3_lS5_lPS5_llPT2_S5_S5_S7_l,@function
_ZN9rocsolver6v33100L18getf2_small_kernelILi15E19rocblas_complex_numIfEiiPS3_EEvT1_T3_lS5_lPS5_llPT2_S5_S5_S7_l: ; @_ZN9rocsolver6v33100L18getf2_small_kernelILi15E19rocblas_complex_numIfEiiPS3_EEvT1_T3_lS5_lPS5_llPT2_S5_S5_S7_l
; %bb.0:
	s_clause 0x1
	s_load_u16 s2, s[0:1], 0x6e
	s_load_b64 s[12:13], s[0:1], 0x48
	s_bfe_u32 s3, ttmp6, 0x40010
	s_bfe_u32 s4, ttmp6, 0x40004
	s_add_co_i32 s3, s3, 1
	s_getreg_b32 s5, hwreg(HW_REG_IB_STS2, 6, 4)
	s_mul_i32 s3, ttmp7, s3
	v_bfe_u32 v38, v0, 10, 10
	s_add_co_i32 s4, s4, s3
	s_cmp_eq_u32 s5, 0
	s_cselect_b32 s3, ttmp7, s4
	s_wait_kmcnt 0x0
	v_mad_u32 v2, s3, s2, v38
	s_mov_b32 s2, exec_lo
	s_delay_alu instid0(VALU_DEP_1)
	v_cmpx_gt_i32_e64 s12, v2
	s_cbranch_execz .LBB28_316
; %bb.1:
	s_load_b128 s[4:7], s[0:1], 0x50
	v_mov_b64_e32 v[30:31], 0
	v_ashrrev_i32_e32 v3, 31, v2
	s_wait_kmcnt 0x0
	s_cmp_eq_u64 s[4:5], 0
	s_cselect_b32 s12, -1, 0
	s_delay_alu instid0(SALU_CYCLE_1)
	s_and_b32 vcc_lo, exec_lo, s12
	s_cbranch_vccnz .LBB28_3
; %bb.2:
	v_mul_u64_e32 v[4:5], s[6:7], v[2:3]
	s_delay_alu instid0(VALU_DEP_1)
	v_lshl_add_u64 v[30:31], v[4:5], 2, s[4:5]
.LBB28_3:
	s_clause 0x1
	s_load_b256 s[4:11], s[0:1], 0x20
	s_load_b32 s2, s[0:1], 0x18
	v_and_b32_e32 v42, 0x3ff, v0
	s_clause 0x1
	s_load_b128 s[16:19], s[0:1], 0x8
	s_load_b32 s14, s[0:1], 0x0
	v_mov_b32_e32 v37, 0
	s_wait_kmcnt 0x0
	v_mul_u64_e32 v[0:1], s[4:5], v[2:3]
	v_add3_u32 v4, s2, s2, v42
	v_lshlrev_b32_e32 v36, 3, v42
	s_ashr_i32 s3, s2, 31
	s_max_i32 s4, s14, 15
	s_cmp_lt_i32 s14, 2
	v_dual_add_nc_u32 v6, s2, v4 :: v_dual_ashrrev_i32 v5, 31, v4
	s_delay_alu instid0(VALU_DEP_1) | instskip(NEXT) | instid1(VALU_DEP_1)
	v_add_nc_u32_e32 v8, s2, v6
	v_add_nc_u32_e32 v10, s2, v8
	s_delay_alu instid0(VALU_DEP_1) | instskip(NEXT) | instid1(VALU_DEP_1)
	v_dual_add_nc_u32 v12, s2, v10 :: v_dual_ashrrev_i32 v11, 31, v10
	v_dual_ashrrev_i32 v13, 31, v12 :: v_dual_add_nc_u32 v14, s2, v12
	s_delay_alu instid0(VALU_DEP_1) | instskip(SKIP_2) | instid1(VALU_DEP_3)
	v_dual_ashrrev_i32 v9, 31, v8 :: v_dual_add_nc_u32 v16, s2, v14
	v_lshl_add_u64 v[0:1], v[0:1], 3, s[16:17]
	v_ashrrev_i32_e32 v7, 31, v6
	v_dual_ashrrev_i32 v15, 31, v14 :: v_dual_ashrrev_i32 v17, 31, v16
	v_add_nc_u32_e32 v18, s2, v16
	s_delay_alu instid0(VALU_DEP_4) | instskip(NEXT) | instid1(VALU_DEP_2)
	v_lshl_add_u64 v[0:1], s[18:19], 3, v[0:1]
	v_dual_add_nc_u32 v22, s2, v18 :: v_dual_ashrrev_i32 v19, 31, v18
	s_delay_alu instid0(VALU_DEP_2) | instskip(SKIP_2) | instid1(VALU_DEP_4)
	v_add_nc_u64_e32 v[20:21], v[0:1], v[36:37]
	v_lshl_add_u64 v[4:5], v[4:5], 3, v[0:1]
	v_lshl_add_u64 v[26:27], v[6:7], 3, v[0:1]
	v_add_nc_u32_e32 v34, s2, v22
	v_lshl_add_u64 v[40:41], v[8:9], 3, v[0:1]
	v_lshl_add_u64 v[50:51], v[16:17], 3, v[0:1]
	;; [unrolled: 1-line block ×4, first 2 shown]
	v_add_nc_u32_e32 v48, s2, v34
	s_clause 0x3
	global_load_b64 v[24:25], v[28:29], off
	global_load_b64 v[8:9], v[4:5], off
	;; [unrolled: 1-line block ×4, first 2 shown]
	s_wait_xcnt 0x2
	v_dual_add_nc_u32 v4, s2, v48 :: v_dual_ashrrev_i32 v35, 31, v34
	v_lshl_add_u64 v[46:47], v[12:13], 3, v[0:1]
	v_lshl_add_u64 v[14:15], v[14:15], 3, v[0:1]
	;; [unrolled: 1-line block ×3, first 2 shown]
	s_delay_alu instid0(VALU_DEP_4)
	v_dual_add_nc_u32 v16, s2, v4 :: v_dual_ashrrev_i32 v23, 31, v22
	v_ashrrev_i32_e32 v49, 31, v48
	v_ashrrev_i32_e32 v5, 31, v4
	s_clause 0x3
	global_load_b64 v[28:29], v[40:41], off
	global_load_b64 v[26:27], v[44:45], off
	global_load_b64 v[12:13], v[46:47], off
	global_load_b64 v[10:11], v[14:15], off
	v_ashrrev_i32_e32 v17, 31, v16
	s_wait_xcnt 0x3
	v_lshl_add_u64 v[40:41], v[22:23], 3, v[0:1]
	s_wait_xcnt 0x2
	v_lshl_add_u64 v[44:45], v[34:35], 3, v[0:1]
	;; [unrolled: 2-line block ×3, first 2 shown]
	v_lshl_add_u64 v[48:49], v[4:5], 3, v[0:1]
	v_lshl_add_u64 v[54:55], v[16:17], 3, v[0:1]
	s_clause 0x6
	global_load_b64 v[22:23], v[50:51], off
	global_load_b64 v[20:21], v[52:53], off
	;; [unrolled: 1-line block ×7, first 2 shown]
	s_wait_xcnt 0x4
	v_mul_lo_u32 v41, s4, v38
	s_load_b64 s[4:5], s[0:1], 0x40
	s_delay_alu instid0(VALU_DEP_1) | instskip(NEXT) | instid1(VALU_DEP_1)
	v_lshl_add_u32 v40, v41, 3, 0
	v_dual_lshlrev_b32 v41, 3, v41 :: v_dual_add_nc_u32 v36, v40, v36
	s_wait_loadcnt 0xb
	ds_store_b64 v36, v[32:33]
	s_wait_loadcnt_dscnt 0x0
	s_barrier_signal -1
	s_barrier_wait -1
	ds_load_b64 v[38:39], v40
	s_cbranch_scc1 .LBB28_6
; %bb.4:
	v_add3_u32 v36, v41, 0, 8
	v_mov_b32_e32 v37, 0
	s_wait_xcnt 0x0
	s_mov_b32 s0, 1
.LBB28_5:                               ; =>This Inner Loop Header: Depth=1
	ds_load_b64 v[44:45], v36
	s_wait_dscnt 0x1
	v_cmp_gt_f32_e32 vcc_lo, 0, v38
	v_cndmask_b32_e64 v46, v38, -v38, vcc_lo
	v_cmp_gt_f32_e32 vcc_lo, 0, v39
	v_cndmask_b32_e64 v48, v39, -v39, vcc_lo
	s_wait_dscnt 0x0
	v_cmp_gt_f32_e32 vcc_lo, 0, v44
	v_cndmask_b32_e64 v47, v44, -v44, vcc_lo
	v_cmp_gt_f32_e32 vcc_lo, 0, v45
	v_cndmask_b32_e64 v49, v45, -v45, vcc_lo
	s_delay_alu instid0(VALU_DEP_1) | instskip(NEXT) | instid1(VALU_DEP_1)
	v_pk_add_f32 v[46:47], v[46:47], v[48:49]
	v_cmp_lt_f32_e32 vcc_lo, v46, v47
	v_dual_cndmask_b32 v39, v39, v45 :: v_dual_add_nc_u32 v36, 8, v36
	v_cndmask_b32_e32 v38, v38, v44, vcc_lo
	v_cndmask_b32_e64 v37, v37, s0, vcc_lo
	s_add_co_i32 s0, s0, 1
	s_delay_alu instid0(SALU_CYCLE_1)
	s_cmp_eq_u32 s14, s0
	s_cbranch_scc0 .LBB28_5
.LBB28_6:
	s_wait_dscnt 0x0
	v_cmp_neq_f32_e32 vcc_lo, 0, v38
	s_wait_xcnt 0x0
	v_cmp_neq_f32_e64 s0, 0, v39
	v_dual_mov_b32 v43, 1 :: v_dual_mov_b32 v45, 1
	s_or_b32 s1, vcc_lo, s0
	s_delay_alu instid0(SALU_CYCLE_1)
	s_and_saveexec_b32 s0, s1
	s_cbranch_execz .LBB28_12
; %bb.7:
	v_cmp_ngt_f32_e64 s1, |v38|, |v39|
	s_and_saveexec_b32 s15, s1
	s_delay_alu instid0(SALU_CYCLE_1)
	s_xor_b32 s1, exec_lo, s15
	s_cbranch_execz .LBB28_9
; %bb.8:
	v_div_scale_f32 v36, null, v39, v39, v38
	v_div_scale_f32 v45, vcc_lo, v38, v39, v38
	s_delay_alu instid0(VALU_DEP_2) | instskip(SKIP_1) | instid1(TRANS32_DEP_1)
	v_rcp_f32_e32 v43, v36
	v_nop
	v_fma_f32 v44, -v36, v43, 1.0
	s_delay_alu instid0(VALU_DEP_1) | instskip(NEXT) | instid1(VALU_DEP_1)
	v_fmac_f32_e32 v43, v44, v43
	v_mul_f32_e32 v44, v45, v43
	s_delay_alu instid0(VALU_DEP_1) | instskip(NEXT) | instid1(VALU_DEP_1)
	v_fma_f32 v46, -v36, v44, v45
	v_fmac_f32_e32 v44, v46, v43
	s_delay_alu instid0(VALU_DEP_1) | instskip(NEXT) | instid1(VALU_DEP_1)
	v_fma_f32 v36, -v36, v44, v45
	v_div_fmas_f32 v36, v36, v43, v44
	s_delay_alu instid0(VALU_DEP_1) | instskip(NEXT) | instid1(VALU_DEP_1)
	v_div_fixup_f32 v36, v36, v39, v38
	v_fmac_f32_e32 v39, v38, v36
	s_delay_alu instid0(VALU_DEP_1) | instskip(SKIP_1) | instid1(VALU_DEP_2)
	v_div_scale_f32 v38, null, v39, v39, 1.0
	v_div_scale_f32 v45, vcc_lo, 1.0, v39, 1.0
	v_rcp_f32_e32 v43, v38
	v_nop
	s_delay_alu instid0(TRANS32_DEP_1) | instskip(NEXT) | instid1(VALU_DEP_1)
	v_fma_f32 v44, -v38, v43, 1.0
	v_fmac_f32_e32 v43, v44, v43
	s_delay_alu instid0(VALU_DEP_1) | instskip(NEXT) | instid1(VALU_DEP_1)
	v_mul_f32_e32 v44, v45, v43
	v_fma_f32 v46, -v38, v44, v45
	s_delay_alu instid0(VALU_DEP_1) | instskip(NEXT) | instid1(VALU_DEP_1)
	v_fmac_f32_e32 v44, v46, v43
	v_fma_f32 v38, -v38, v44, v45
	s_delay_alu instid0(VALU_DEP_1) | instskip(NEXT) | instid1(VALU_DEP_1)
	v_div_fmas_f32 v38, v38, v43, v44
	v_div_fixup_f32 v39, v38, v39, 1.0
	s_delay_alu instid0(VALU_DEP_1)
	v_mul_f32_e32 v38, v36, v39
	v_xor_b32_e32 v39, 0x80000000, v39
.LBB28_9:
	s_and_not1_saveexec_b32 s1, s1
	s_cbranch_execz .LBB28_11
; %bb.10:
	s_delay_alu instid0(VALU_DEP_1) | instskip(SKIP_1) | instid1(VALU_DEP_2)
	v_div_scale_f32 v36, null, v38, v38, v39
	v_div_scale_f32 v45, vcc_lo, v39, v38, v39
	v_rcp_f32_e32 v43, v36
	v_nop
	s_delay_alu instid0(TRANS32_DEP_1) | instskip(NEXT) | instid1(VALU_DEP_1)
	v_fma_f32 v44, -v36, v43, 1.0
	v_fmac_f32_e32 v43, v44, v43
	s_delay_alu instid0(VALU_DEP_1) | instskip(NEXT) | instid1(VALU_DEP_1)
	v_mul_f32_e32 v44, v45, v43
	v_fma_f32 v46, -v36, v44, v45
	s_delay_alu instid0(VALU_DEP_1) | instskip(NEXT) | instid1(VALU_DEP_1)
	v_fmac_f32_e32 v44, v46, v43
	v_fma_f32 v36, -v36, v44, v45
	s_delay_alu instid0(VALU_DEP_1) | instskip(NEXT) | instid1(VALU_DEP_1)
	v_div_fmas_f32 v36, v36, v43, v44
	v_div_fixup_f32 v36, v36, v38, v39
	s_delay_alu instid0(VALU_DEP_1) | instskip(NEXT) | instid1(VALU_DEP_1)
	v_fmac_f32_e32 v38, v39, v36
	v_div_scale_f32 v39, null, v38, v38, 1.0
	s_delay_alu instid0(VALU_DEP_1) | instskip(SKIP_1) | instid1(TRANS32_DEP_1)
	v_rcp_f32_e32 v43, v39
	v_nop
	v_fma_f32 v44, -v39, v43, 1.0
	s_delay_alu instid0(VALU_DEP_1) | instskip(SKIP_1) | instid1(VALU_DEP_1)
	v_fmac_f32_e32 v43, v44, v43
	v_div_scale_f32 v44, vcc_lo, 1.0, v38, 1.0
	v_mul_f32_e32 v45, v44, v43
	s_delay_alu instid0(VALU_DEP_1) | instskip(NEXT) | instid1(VALU_DEP_1)
	v_fma_f32 v46, -v39, v45, v44
	v_fmac_f32_e32 v45, v46, v43
	s_delay_alu instid0(VALU_DEP_1) | instskip(NEXT) | instid1(VALU_DEP_1)
	v_fma_f32 v39, -v39, v45, v44
	v_div_fmas_f32 v39, v39, v43, v45
	s_delay_alu instid0(VALU_DEP_1) | instskip(NEXT) | instid1(VALU_DEP_1)
	v_div_fixup_f32 v38, v39, v38, 1.0
	v_mul_f32_e64 v39, v36, -v38
.LBB28_11:
	s_or_b32 exec_lo, exec_lo, s1
	v_dual_mov_b32 v45, 0 :: v_dual_mov_b32 v43, 2
.LBB28_12:
	s_or_b32 exec_lo, exec_lo, s0
	s_delay_alu instid0(SALU_CYCLE_1)
	s_mov_b32 s0, exec_lo
	v_cmpx_ne_u32_e64 v42, v37
	s_xor_b32 s0, exec_lo, s0
	s_cbranch_execz .LBB28_18
; %bb.13:
	s_mov_b32 s1, exec_lo
	v_cmpx_eq_u32_e32 0, v42
	s_cbranch_execz .LBB28_17
; %bb.14:
	v_cmp_ne_u32_e32 vcc_lo, 0, v37
	s_xor_b32 s15, s12, -1
	s_delay_alu instid0(SALU_CYCLE_1) | instskip(NEXT) | instid1(SALU_CYCLE_1)
	s_and_b32 s16, s15, vcc_lo
	s_and_saveexec_b32 s15, s16
	s_cbranch_execz .LBB28_16
; %bb.15:
	v_dual_mov_b32 v46, v37 :: v_dual_ashrrev_i32 v47, 31, v37
	s_delay_alu instid0(VALU_DEP_1)
	v_lshl_add_u64 v[46:47], v[46:47], 2, v[30:31]
	s_clause 0x1
	global_load_b32 v36, v[46:47], off
	global_load_b32 v42, v[30:31], off
	s_wait_loadcnt 0x1
	global_store_b32 v[30:31], v36, off
	s_wait_loadcnt 0x0
	global_store_b32 v[46:47], v42, off
.LBB28_16:
	s_wait_xcnt 0x0
	s_or_b32 exec_lo, exec_lo, s15
	v_mov_b32_e32 v42, v37
.LBB28_17:
	s_or_b32 exec_lo, exec_lo, s1
.LBB28_18:
	s_or_saveexec_b32 s0, s0
	s_delay_alu instid0(VALU_DEP_1)
	v_mov_b32_e32 v44, v42
	s_xor_b32 exec_lo, exec_lo, s0
	s_cbranch_execz .LBB28_20
; %bb.19:
	v_mov_b32_e32 v44, 0
	ds_store_2addr_b64 v40, v[24:25], v[8:9] offset0:1 offset1:2
	ds_store_2addr_b64 v40, v[6:7], v[28:29] offset0:3 offset1:4
	;; [unrolled: 1-line block ×7, first 2 shown]
.LBB28_20:
	s_or_b32 exec_lo, exec_lo, s0
	s_delay_alu instid0(SALU_CYCLE_1)
	s_mov_b32 s0, exec_lo
	s_wait_storecnt_dscnt 0x0
	s_barrier_signal -1
	s_barrier_wait -1
	v_cmpx_lt_i32_e32 0, v44
	s_cbranch_execz .LBB28_22
; %bb.21:
	v_pk_mul_f32 v[36:37], v[38:39], v[32:33] op_sel:[1,1] op_sel_hi:[0,1]
	s_delay_alu instid0(VALU_DEP_1)
	v_pk_fma_f32 v[46:47], v[38:39], v[32:33], v[36:37] op_sel_hi:[1,0,1] neg_lo:[0,0,1] neg_hi:[0,0,1]
	v_pk_fma_f32 v[48:49], v[38:39], v[32:33], v[36:37] op_sel_hi:[1,0,1]
	ds_load_2addr_b64 v[36:39], v40 offset0:1 offset1:2
	v_dual_mov_b32 v32, v46 :: v_dual_mov_b32 v33, v49
	s_wait_dscnt 0x0
	v_pk_mul_f32 v[50:51], v[36:37], v[48:49] op_sel:[0,1]
	s_delay_alu instid0(VALU_DEP_1) | instskip(SKIP_1) | instid1(VALU_DEP_1)
	v_pk_fma_f32 v[52:53], v[36:37], v[46:47], v[50:51] op_sel:[0,0,1] op_sel_hi:[1,1,0] neg_lo:[0,0,1] neg_hi:[0,0,1]
	v_pk_fma_f32 v[36:37], v[36:37], v[46:47], v[50:51] op_sel:[0,0,1] op_sel_hi:[1,0,0]
	v_mov_b32_e32 v53, v37
	v_pk_mul_f32 v[36:37], v[38:39], v[48:49] op_sel:[0,1]
	s_delay_alu instid0(VALU_DEP_1) | instskip(SKIP_1) | instid1(VALU_DEP_1)
	v_pk_fma_f32 v[50:51], v[38:39], v[46:47], v[36:37] op_sel:[0,0,1] op_sel_hi:[1,1,0] neg_lo:[0,0,1] neg_hi:[0,0,1]
	v_pk_fma_f32 v[36:37], v[38:39], v[46:47], v[36:37] op_sel:[0,0,1] op_sel_hi:[1,0,0]
	v_mov_b32_e32 v51, v37
	ds_load_2addr_b64 v[36:39], v40 offset0:3 offset1:4
	v_pk_add_f32 v[24:25], v[24:25], v[52:53] neg_lo:[0,1] neg_hi:[0,1]
	v_pk_add_f32 v[8:9], v[8:9], v[50:51] neg_lo:[0,1] neg_hi:[0,1]
	s_wait_dscnt 0x0
	v_pk_mul_f32 v[50:51], v[36:37], v[48:49] op_sel:[0,1]
	s_delay_alu instid0(VALU_DEP_1) | instskip(SKIP_2) | instid1(VALU_DEP_2)
	v_pk_fma_f32 v[52:53], v[36:37], v[46:47], v[50:51] op_sel:[0,0,1] op_sel_hi:[1,1,0] neg_lo:[0,0,1] neg_hi:[0,0,1]
	v_pk_fma_f32 v[36:37], v[36:37], v[46:47], v[50:51] op_sel:[0,0,1] op_sel_hi:[1,0,0]
	v_dual_mul_f32 v50, v39, v49 :: v_dual_mov_b32 v36, v39
	v_dual_mov_b32 v53, v37 :: v_dual_mov_b32 v37, v38
	s_delay_alu instid0(VALU_DEP_2) | instskip(SKIP_1) | instid1(VALU_DEP_3)
	v_pk_fma_f32 v[50:51], v[38:39], v[32:33], v[50:51] op_sel_hi:[1,1,0] neg_lo:[0,0,1] neg_hi:[0,0,1]
	v_mul_f32_e32 v38, v39, v46
	v_pk_add_f32 v[6:7], v[6:7], v[52:53] neg_lo:[0,1] neg_hi:[0,1]
	s_delay_alu instid0(VALU_DEP_2) | instskip(NEXT) | instid1(VALU_DEP_1)
	v_pk_fma_f32 v[36:37], v[36:37], v[32:33], v[38:39] op_sel_hi:[1,1,0]
	v_mov_b32_e32 v51, v37
	ds_load_2addr_b64 v[36:39], v40 offset0:5 offset1:6
	v_pk_add_f32 v[28:29], v[28:29], v[50:51] neg_lo:[0,1] neg_hi:[0,1]
	s_wait_dscnt 0x0
	v_pk_mul_f32 v[50:51], v[36:37], v[48:49] op_sel:[0,1]
	s_delay_alu instid0(VALU_DEP_1) | instskip(SKIP_1) | instid1(VALU_DEP_1)
	v_pk_fma_f32 v[52:53], v[36:37], v[46:47], v[50:51] op_sel:[0,0,1] op_sel_hi:[1,1,0] neg_lo:[0,0,1] neg_hi:[0,0,1]
	v_pk_fma_f32 v[36:37], v[36:37], v[46:47], v[50:51] op_sel:[0,0,1] op_sel_hi:[1,0,0]
	v_mov_b32_e32 v53, v37
	v_pk_mul_f32 v[36:37], v[38:39], v[48:49] op_sel:[0,1]
	s_delay_alu instid0(VALU_DEP_1) | instskip(SKIP_1) | instid1(VALU_DEP_1)
	v_pk_fma_f32 v[50:51], v[38:39], v[46:47], v[36:37] op_sel:[0,0,1] op_sel_hi:[1,1,0] neg_lo:[0,0,1] neg_hi:[0,0,1]
	v_pk_fma_f32 v[36:37], v[38:39], v[46:47], v[36:37] op_sel:[0,0,1] op_sel_hi:[1,0,0]
	v_mov_b32_e32 v51, v37
	ds_load_2addr_b64 v[36:39], v40 offset0:7 offset1:8
	v_pk_add_f32 v[26:27], v[26:27], v[52:53] neg_lo:[0,1] neg_hi:[0,1]
	v_pk_add_f32 v[12:13], v[12:13], v[50:51] neg_lo:[0,1] neg_hi:[0,1]
	s_wait_dscnt 0x0
	v_pk_mul_f32 v[50:51], v[36:37], v[48:49] op_sel:[0,1]
	s_delay_alu instid0(VALU_DEP_1) | instskip(SKIP_1) | instid1(VALU_DEP_1)
	v_pk_fma_f32 v[52:53], v[36:37], v[46:47], v[50:51] op_sel:[0,0,1] op_sel_hi:[1,1,0] neg_lo:[0,0,1] neg_hi:[0,0,1]
	v_pk_fma_f32 v[36:37], v[36:37], v[46:47], v[50:51] op_sel:[0,0,1] op_sel_hi:[1,0,0]
	v_mov_b32_e32 v53, v37
	v_pk_mul_f32 v[36:37], v[38:39], v[48:49] op_sel:[0,1]
	s_delay_alu instid0(VALU_DEP_1) | instskip(SKIP_1) | instid1(VALU_DEP_1)
	v_pk_fma_f32 v[50:51], v[38:39], v[46:47], v[36:37] op_sel:[0,0,1] op_sel_hi:[1,1,0] neg_lo:[0,0,1] neg_hi:[0,0,1]
	v_pk_fma_f32 v[36:37], v[38:39], v[46:47], v[36:37] op_sel:[0,0,1] op_sel_hi:[1,0,0]
	v_mov_b32_e32 v51, v37
	ds_load_2addr_b64 v[36:39], v40 offset0:9 offset1:10
	v_pk_add_f32 v[10:11], v[10:11], v[52:53] neg_lo:[0,1] neg_hi:[0,1]
	v_pk_add_f32 v[22:23], v[22:23], v[50:51] neg_lo:[0,1] neg_hi:[0,1]
	s_wait_dscnt 0x0
	v_dual_mul_f32 v50, v37, v49 :: v_dual_mul_f32 v52, v37, v46
	s_delay_alu instid0(VALU_DEP_1) | instskip(NEXT) | instid1(VALU_DEP_2)
	v_pk_fma_f32 v[50:51], v[36:37], v[32:33], v[50:51] op_sel_hi:[1,1,0] neg_lo:[0,0,1] neg_hi:[0,0,1]
	v_pk_fma_f32 v[36:37], v[36:37], v[32:33], v[52:53] op_sel:[1,0,0] op_sel_hi:[0,1,0]
	s_delay_alu instid0(VALU_DEP_1) | instskip(SKIP_1) | instid1(VALU_DEP_2)
	v_mov_b32_e32 v51, v37
	v_pk_mul_f32 v[36:37], v[38:39], v[48:49] op_sel:[0,1]
	v_pk_add_f32 v[20:21], v[20:21], v[50:51] neg_lo:[0,1] neg_hi:[0,1]
	s_delay_alu instid0(VALU_DEP_2) | instskip(SKIP_1) | instid1(VALU_DEP_1)
	v_pk_fma_f32 v[50:51], v[38:39], v[46:47], v[36:37] op_sel:[0,0,1] op_sel_hi:[1,1,0] neg_lo:[0,0,1] neg_hi:[0,0,1]
	v_pk_fma_f32 v[36:37], v[38:39], v[46:47], v[36:37] op_sel:[0,0,1] op_sel_hi:[1,0,0]
	v_mov_b32_e32 v51, v37
	ds_load_2addr_b64 v[36:39], v40 offset0:11 offset1:12
	v_pk_add_f32 v[4:5], v[4:5], v[50:51] neg_lo:[0,1] neg_hi:[0,1]
	s_wait_dscnt 0x0
	v_pk_mul_f32 v[50:51], v[36:37], v[48:49] op_sel:[0,1]
	s_delay_alu instid0(VALU_DEP_1) | instskip(SKIP_1) | instid1(VALU_DEP_1)
	v_pk_fma_f32 v[52:53], v[36:37], v[46:47], v[50:51] op_sel:[0,0,1] op_sel_hi:[1,1,0] neg_lo:[0,0,1] neg_hi:[0,0,1]
	v_pk_fma_f32 v[36:37], v[36:37], v[46:47], v[50:51] op_sel:[0,0,1] op_sel_hi:[1,0,0]
	v_mov_b32_e32 v53, v37
	v_pk_mul_f32 v[36:37], v[38:39], v[48:49] op_sel:[0,1]
	s_delay_alu instid0(VALU_DEP_2) | instskip(NEXT) | instid1(VALU_DEP_2)
	v_pk_add_f32 v[18:19], v[18:19], v[52:53] neg_lo:[0,1] neg_hi:[0,1]
	v_pk_fma_f32 v[50:51], v[38:39], v[46:47], v[36:37] op_sel:[0,0,1] op_sel_hi:[1,1,0] neg_lo:[0,0,1] neg_hi:[0,0,1]
	v_pk_fma_f32 v[36:37], v[38:39], v[46:47], v[36:37] op_sel:[0,0,1] op_sel_hi:[1,0,0]
	s_delay_alu instid0(VALU_DEP_1) | instskip(SKIP_4) | instid1(VALU_DEP_1)
	v_mov_b32_e32 v51, v37
	ds_load_2addr_b64 v[36:39], v40 offset0:13 offset1:14
	v_pk_add_f32 v[16:17], v[16:17], v[50:51] neg_lo:[0,1] neg_hi:[0,1]
	s_wait_dscnt 0x0
	v_pk_mul_f32 v[50:51], v[36:37], v[48:49] op_sel:[0,1]
	v_pk_fma_f32 v[52:53], v[36:37], v[46:47], v[50:51] op_sel:[0,0,1] op_sel_hi:[1,1,0] neg_lo:[0,0,1] neg_hi:[0,0,1]
	v_pk_fma_f32 v[36:37], v[36:37], v[46:47], v[50:51] op_sel:[0,0,1] op_sel_hi:[1,0,0]
	s_delay_alu instid0(VALU_DEP_1) | instskip(SKIP_1) | instid1(VALU_DEP_2)
	v_mov_b32_e32 v53, v37
	v_pk_mul_f32 v[36:37], v[38:39], v[48:49] op_sel:[0,1]
	v_pk_add_f32 v[14:15], v[14:15], v[52:53] neg_lo:[0,1] neg_hi:[0,1]
	s_delay_alu instid0(VALU_DEP_2) | instskip(SKIP_1) | instid1(VALU_DEP_1)
	v_pk_fma_f32 v[48:49], v[38:39], v[46:47], v[36:37] op_sel:[0,0,1] op_sel_hi:[1,1,0] neg_lo:[0,0,1] neg_hi:[0,0,1]
	v_pk_fma_f32 v[36:37], v[38:39], v[46:47], v[36:37] op_sel:[0,0,1] op_sel_hi:[1,0,0]
	v_mov_b32_e32 v49, v37
	s_delay_alu instid0(VALU_DEP_1)
	v_pk_add_f32 v[34:35], v[34:35], v[48:49] neg_lo:[0,1] neg_hi:[0,1]
.LBB28_22:
	s_or_b32 exec_lo, exec_lo, s0
	v_lshl_add_u32 v36, v44, 3, v40
	s_barrier_signal -1
	s_barrier_wait -1
	ds_store_b64 v36, v[24:25]
	s_wait_dscnt 0x0
	s_barrier_signal -1
	s_barrier_wait -1
	ds_load_b64 v[36:37], v40 offset:8
	v_mov_b32_e32 v38, 1
	s_cmp_lt_i32 s14, 3
	s_cbranch_scc1 .LBB28_25
; %bb.23:
	v_add3_u32 v39, v41, 0, 16
	v_mov_b32_e32 v38, 1
	s_mov_b32 s0, 2
.LBB28_24:                              ; =>This Inner Loop Header: Depth=1
	ds_load_b64 v[46:47], v39
	s_wait_dscnt 0x1
	v_cmp_gt_f32_e32 vcc_lo, 0, v36
	v_cndmask_b32_e64 v48, v36, -v36, vcc_lo
	v_cmp_gt_f32_e32 vcc_lo, 0, v37
	v_cndmask_b32_e64 v50, v37, -v37, vcc_lo
	s_wait_dscnt 0x0
	v_cmp_gt_f32_e32 vcc_lo, 0, v46
	v_cndmask_b32_e64 v49, v46, -v46, vcc_lo
	v_cmp_gt_f32_e32 vcc_lo, 0, v47
	v_cndmask_b32_e64 v51, v47, -v47, vcc_lo
	s_delay_alu instid0(VALU_DEP_1) | instskip(NEXT) | instid1(VALU_DEP_1)
	v_pk_add_f32 v[48:49], v[48:49], v[50:51]
	v_cmp_lt_f32_e32 vcc_lo, v48, v49
	v_dual_cndmask_b32 v36, v36, v46 :: v_dual_add_nc_u32 v39, 8, v39
	v_cndmask_b32_e32 v37, v37, v47, vcc_lo
	v_cndmask_b32_e64 v38, v38, s0, vcc_lo
	s_add_co_i32 s0, s0, 1
	s_delay_alu instid0(SALU_CYCLE_1)
	s_cmp_lg_u32 s14, s0
	s_cbranch_scc1 .LBB28_24
.LBB28_25:
	s_wait_dscnt 0x0
	v_cmp_neq_f32_e32 vcc_lo, 0, v36
	v_cmp_neq_f32_e64 s0, 0, v37
	s_or_b32 s1, vcc_lo, s0
	s_delay_alu instid0(SALU_CYCLE_1)
	s_and_saveexec_b32 s0, s1
	s_cbranch_execz .LBB28_31
; %bb.26:
	v_cmp_ngt_f32_e64 s1, |v36|, |v37|
	s_and_saveexec_b32 s15, s1
	s_delay_alu instid0(SALU_CYCLE_1)
	s_xor_b32 s1, exec_lo, s15
	s_cbranch_execz .LBB28_28
; %bb.27:
	v_div_scale_f32 v39, null, v37, v37, v36
	v_div_scale_f32 v47, vcc_lo, v36, v37, v36
	s_delay_alu instid0(VALU_DEP_2) | instskip(SKIP_1) | instid1(TRANS32_DEP_1)
	v_rcp_f32_e32 v43, v39
	v_nop
	v_fma_f32 v46, -v39, v43, 1.0
	s_delay_alu instid0(VALU_DEP_1) | instskip(NEXT) | instid1(VALU_DEP_1)
	v_fmac_f32_e32 v43, v46, v43
	v_mul_f32_e32 v46, v47, v43
	s_delay_alu instid0(VALU_DEP_1) | instskip(NEXT) | instid1(VALU_DEP_1)
	v_fma_f32 v48, -v39, v46, v47
	v_fmac_f32_e32 v46, v48, v43
	s_delay_alu instid0(VALU_DEP_1) | instskip(NEXT) | instid1(VALU_DEP_1)
	v_fma_f32 v39, -v39, v46, v47
	v_div_fmas_f32 v39, v39, v43, v46
	s_delay_alu instid0(VALU_DEP_1) | instskip(NEXT) | instid1(VALU_DEP_1)
	v_div_fixup_f32 v39, v39, v37, v36
	v_fmac_f32_e32 v37, v36, v39
	s_delay_alu instid0(VALU_DEP_1) | instskip(SKIP_1) | instid1(VALU_DEP_2)
	v_div_scale_f32 v36, null, v37, v37, 1.0
	v_div_scale_f32 v47, vcc_lo, 1.0, v37, 1.0
	v_rcp_f32_e32 v43, v36
	v_nop
	s_delay_alu instid0(TRANS32_DEP_1) | instskip(NEXT) | instid1(VALU_DEP_1)
	v_fma_f32 v46, -v36, v43, 1.0
	v_fmac_f32_e32 v43, v46, v43
	s_delay_alu instid0(VALU_DEP_1) | instskip(NEXT) | instid1(VALU_DEP_1)
	v_mul_f32_e32 v46, v47, v43
	v_fma_f32 v48, -v36, v46, v47
	s_delay_alu instid0(VALU_DEP_1) | instskip(NEXT) | instid1(VALU_DEP_1)
	v_fmac_f32_e32 v46, v48, v43
	v_fma_f32 v36, -v36, v46, v47
	s_delay_alu instid0(VALU_DEP_1) | instskip(NEXT) | instid1(VALU_DEP_1)
	v_div_fmas_f32 v36, v36, v43, v46
	v_div_fixup_f32 v37, v36, v37, 1.0
	s_delay_alu instid0(VALU_DEP_1)
	v_mul_f32_e32 v36, v39, v37
	v_xor_b32_e32 v37, 0x80000000, v37
.LBB28_28:
	s_and_not1_saveexec_b32 s1, s1
	s_cbranch_execz .LBB28_30
; %bb.29:
	s_delay_alu instid0(VALU_DEP_1) | instskip(SKIP_1) | instid1(VALU_DEP_2)
	v_div_scale_f32 v39, null, v36, v36, v37
	v_div_scale_f32 v47, vcc_lo, v37, v36, v37
	v_rcp_f32_e32 v43, v39
	v_nop
	s_delay_alu instid0(TRANS32_DEP_1) | instskip(NEXT) | instid1(VALU_DEP_1)
	v_fma_f32 v46, -v39, v43, 1.0
	v_fmac_f32_e32 v43, v46, v43
	s_delay_alu instid0(VALU_DEP_1) | instskip(NEXT) | instid1(VALU_DEP_1)
	v_mul_f32_e32 v46, v47, v43
	v_fma_f32 v48, -v39, v46, v47
	s_delay_alu instid0(VALU_DEP_1) | instskip(NEXT) | instid1(VALU_DEP_1)
	v_fmac_f32_e32 v46, v48, v43
	v_fma_f32 v39, -v39, v46, v47
	s_delay_alu instid0(VALU_DEP_1) | instskip(NEXT) | instid1(VALU_DEP_1)
	v_div_fmas_f32 v39, v39, v43, v46
	v_div_fixup_f32 v39, v39, v36, v37
	s_delay_alu instid0(VALU_DEP_1) | instskip(NEXT) | instid1(VALU_DEP_1)
	v_fmac_f32_e32 v36, v37, v39
	v_div_scale_f32 v37, null, v36, v36, 1.0
	s_delay_alu instid0(VALU_DEP_1) | instskip(SKIP_1) | instid1(TRANS32_DEP_1)
	v_rcp_f32_e32 v43, v37
	v_nop
	v_fma_f32 v46, -v37, v43, 1.0
	s_delay_alu instid0(VALU_DEP_1) | instskip(SKIP_1) | instid1(VALU_DEP_1)
	v_fmac_f32_e32 v43, v46, v43
	v_div_scale_f32 v46, vcc_lo, 1.0, v36, 1.0
	v_mul_f32_e32 v47, v46, v43
	s_delay_alu instid0(VALU_DEP_1) | instskip(NEXT) | instid1(VALU_DEP_1)
	v_fma_f32 v48, -v37, v47, v46
	v_fmac_f32_e32 v47, v48, v43
	s_delay_alu instid0(VALU_DEP_1) | instskip(NEXT) | instid1(VALU_DEP_1)
	v_fma_f32 v37, -v37, v47, v46
	v_div_fmas_f32 v37, v37, v43, v47
	s_delay_alu instid0(VALU_DEP_1) | instskip(NEXT) | instid1(VALU_DEP_1)
	v_div_fixup_f32 v36, v37, v36, 1.0
	v_mul_f32_e64 v37, v39, -v36
.LBB28_30:
	s_or_b32 exec_lo, exec_lo, s1
	v_mov_b32_e32 v43, v45
.LBB28_31:
	s_or_b32 exec_lo, exec_lo, s0
	s_delay_alu instid0(SALU_CYCLE_1)
	s_mov_b32 s0, exec_lo
	v_cmpx_ne_u32_e64 v44, v38
	s_xor_b32 s0, exec_lo, s0
	s_cbranch_execz .LBB28_37
; %bb.32:
	s_mov_b32 s1, exec_lo
	v_cmpx_eq_u32_e32 1, v44
	s_cbranch_execz .LBB28_36
; %bb.33:
	v_cmp_ne_u32_e32 vcc_lo, 1, v38
	s_xor_b32 s15, s12, -1
	s_delay_alu instid0(SALU_CYCLE_1) | instskip(NEXT) | instid1(SALU_CYCLE_1)
	s_and_b32 s16, s15, vcc_lo
	s_and_saveexec_b32 s15, s16
	s_cbranch_execz .LBB28_35
; %bb.34:
	v_ashrrev_i32_e32 v39, 31, v38
	s_delay_alu instid0(VALU_DEP_1)
	v_lshl_add_u64 v[44:45], v[38:39], 2, v[30:31]
	s_clause 0x1
	global_load_b32 v39, v[44:45], off
	global_load_b32 v42, v[30:31], off offset:4
	s_wait_loadcnt 0x1
	global_store_b32 v[30:31], v39, off offset:4
	s_wait_loadcnt 0x0
	global_store_b32 v[44:45], v42, off
.LBB28_35:
	s_wait_xcnt 0x0
	s_or_b32 exec_lo, exec_lo, s15
	v_dual_mov_b32 v44, v38 :: v_dual_mov_b32 v42, v38
.LBB28_36:
	s_or_b32 exec_lo, exec_lo, s1
.LBB28_37:
	s_and_not1_saveexec_b32 s0, s0
	s_cbranch_execz .LBB28_39
; %bb.38:
	v_dual_mov_b32 v38, v8 :: v_dual_mov_b32 v39, v9
	v_dual_mov_b32 v44, v6 :: v_dual_mov_b32 v45, v7
	;; [unrolled: 1-line block ×4, first 2 shown]
	ds_store_2addr_b64 v40, v[38:39], v[44:45] offset0:2 offset1:3
	ds_store_2addr_b64 v40, v[46:47], v[48:49] offset0:4 offset1:5
	v_dual_mov_b32 v38, v12 :: v_dual_mov_b32 v39, v13
	v_dual_mov_b32 v46, v10 :: v_dual_mov_b32 v47, v11
	v_dual_mov_b32 v44, 1 :: v_dual_mov_b32 v48, v22
	v_dual_mov_b32 v49, v23 :: v_dual_mov_b32 v50, v20
	v_dual_mov_b32 v51, v21 :: v_dual_mov_b32 v52, v4
	v_dual_mov_b32 v53, v5 :: v_dual_mov_b32 v54, v18
	v_dual_mov_b32 v55, v19 :: v_dual_mov_b32 v56, v16
	v_dual_mov_b32 v57, v17 :: v_dual_mov_b32 v58, v14
	v_mov_b32_e32 v59, v15
	ds_store_2addr_b64 v40, v[38:39], v[46:47] offset0:6 offset1:7
	ds_store_2addr_b64 v40, v[48:49], v[50:51] offset0:8 offset1:9
	;; [unrolled: 1-line block ×4, first 2 shown]
	ds_store_b64 v40, v[34:35] offset:112
.LBB28_39:
	s_or_b32 exec_lo, exec_lo, s0
	s_delay_alu instid0(SALU_CYCLE_1)
	s_mov_b32 s0, exec_lo
	s_wait_storecnt_dscnt 0x0
	s_barrier_signal -1
	s_barrier_wait -1
	v_cmpx_lt_i32_e32 1, v44
	s_cbranch_execz .LBB28_41
; %bb.40:
	v_pk_mul_f32 v[38:39], v[36:37], v[24:25] op_sel:[1,1] op_sel_hi:[0,1]
	s_delay_alu instid0(VALU_DEP_1)
	v_pk_fma_f32 v[46:47], v[36:37], v[24:25], v[38:39] op_sel_hi:[1,0,1] neg_lo:[0,0,1] neg_hi:[0,0,1]
	v_pk_fma_f32 v[48:49], v[36:37], v[24:25], v[38:39] op_sel_hi:[1,0,1]
	ds_load_2addr_b64 v[36:39], v40 offset0:2 offset1:3
	v_dual_mov_b32 v24, v46 :: v_dual_mov_b32 v25, v49
	s_wait_dscnt 0x0
	v_pk_mul_f32 v[50:51], v[36:37], v[48:49] op_sel:[0,1]
	s_delay_alu instid0(VALU_DEP_1) | instskip(SKIP_1) | instid1(VALU_DEP_1)
	v_pk_fma_f32 v[52:53], v[36:37], v[46:47], v[50:51] op_sel:[0,0,1] op_sel_hi:[1,1,0] neg_lo:[0,0,1] neg_hi:[0,0,1]
	v_pk_fma_f32 v[36:37], v[36:37], v[46:47], v[50:51] op_sel:[0,0,1] op_sel_hi:[1,0,0]
	v_mov_b32_e32 v53, v37
	v_pk_mul_f32 v[36:37], v[38:39], v[48:49] op_sel:[0,1]
	s_delay_alu instid0(VALU_DEP_1) | instskip(SKIP_1) | instid1(VALU_DEP_1)
	v_pk_fma_f32 v[50:51], v[38:39], v[46:47], v[36:37] op_sel:[0,0,1] op_sel_hi:[1,1,0] neg_lo:[0,0,1] neg_hi:[0,0,1]
	v_pk_fma_f32 v[36:37], v[38:39], v[46:47], v[36:37] op_sel:[0,0,1] op_sel_hi:[1,0,0]
	v_mov_b32_e32 v51, v37
	ds_load_2addr_b64 v[36:39], v40 offset0:4 offset1:5
	v_pk_add_f32 v[8:9], v[8:9], v[52:53] neg_lo:[0,1] neg_hi:[0,1]
	v_pk_add_f32 v[6:7], v[6:7], v[50:51] neg_lo:[0,1] neg_hi:[0,1]
	s_wait_dscnt 0x0
	v_pk_mul_f32 v[50:51], v[36:37], v[48:49] op_sel:[0,1]
	s_delay_alu instid0(VALU_DEP_1) | instskip(SKIP_2) | instid1(VALU_DEP_2)
	v_pk_fma_f32 v[52:53], v[36:37], v[46:47], v[50:51] op_sel:[0,0,1] op_sel_hi:[1,1,0] neg_lo:[0,0,1] neg_hi:[0,0,1]
	v_pk_fma_f32 v[36:37], v[36:37], v[46:47], v[50:51] op_sel:[0,0,1] op_sel_hi:[1,0,0]
	v_dual_mul_f32 v50, v39, v49 :: v_dual_mov_b32 v36, v39
	v_dual_mov_b32 v53, v37 :: v_dual_mov_b32 v37, v38
	s_delay_alu instid0(VALU_DEP_2) | instskip(SKIP_1) | instid1(VALU_DEP_3)
	v_pk_fma_f32 v[50:51], v[38:39], v[24:25], v[50:51] op_sel_hi:[1,1,0] neg_lo:[0,0,1] neg_hi:[0,0,1]
	v_mul_f32_e32 v38, v39, v46
	v_pk_add_f32 v[28:29], v[28:29], v[52:53] neg_lo:[0,1] neg_hi:[0,1]
	s_delay_alu instid0(VALU_DEP_2) | instskip(NEXT) | instid1(VALU_DEP_1)
	v_pk_fma_f32 v[36:37], v[36:37], v[24:25], v[38:39] op_sel_hi:[1,1,0]
	v_mov_b32_e32 v51, v37
	ds_load_2addr_b64 v[36:39], v40 offset0:6 offset1:7
	v_pk_add_f32 v[26:27], v[26:27], v[50:51] neg_lo:[0,1] neg_hi:[0,1]
	s_wait_dscnt 0x0
	v_pk_mul_f32 v[50:51], v[36:37], v[48:49] op_sel:[0,1]
	s_delay_alu instid0(VALU_DEP_1) | instskip(SKIP_1) | instid1(VALU_DEP_1)
	v_pk_fma_f32 v[52:53], v[36:37], v[46:47], v[50:51] op_sel:[0,0,1] op_sel_hi:[1,1,0] neg_lo:[0,0,1] neg_hi:[0,0,1]
	v_pk_fma_f32 v[36:37], v[36:37], v[46:47], v[50:51] op_sel:[0,0,1] op_sel_hi:[1,0,0]
	v_mov_b32_e32 v53, v37
	v_pk_mul_f32 v[36:37], v[38:39], v[48:49] op_sel:[0,1]
	s_delay_alu instid0(VALU_DEP_1) | instskip(SKIP_1) | instid1(VALU_DEP_1)
	v_pk_fma_f32 v[50:51], v[38:39], v[46:47], v[36:37] op_sel:[0,0,1] op_sel_hi:[1,1,0] neg_lo:[0,0,1] neg_hi:[0,0,1]
	v_pk_fma_f32 v[36:37], v[38:39], v[46:47], v[36:37] op_sel:[0,0,1] op_sel_hi:[1,0,0]
	v_mov_b32_e32 v51, v37
	ds_load_2addr_b64 v[36:39], v40 offset0:8 offset1:9
	v_pk_add_f32 v[12:13], v[12:13], v[52:53] neg_lo:[0,1] neg_hi:[0,1]
	v_pk_add_f32 v[10:11], v[10:11], v[50:51] neg_lo:[0,1] neg_hi:[0,1]
	s_wait_dscnt 0x0
	v_pk_mul_f32 v[50:51], v[36:37], v[48:49] op_sel:[0,1]
	s_delay_alu instid0(VALU_DEP_1) | instskip(SKIP_1) | instid1(VALU_DEP_1)
	v_pk_fma_f32 v[52:53], v[36:37], v[46:47], v[50:51] op_sel:[0,0,1] op_sel_hi:[1,1,0] neg_lo:[0,0,1] neg_hi:[0,0,1]
	v_pk_fma_f32 v[36:37], v[36:37], v[46:47], v[50:51] op_sel:[0,0,1] op_sel_hi:[1,0,0]
	v_mov_b32_e32 v53, v37
	v_pk_mul_f32 v[36:37], v[38:39], v[48:49] op_sel:[0,1]
	s_delay_alu instid0(VALU_DEP_1) | instskip(SKIP_1) | instid1(VALU_DEP_1)
	v_pk_fma_f32 v[50:51], v[38:39], v[46:47], v[36:37] op_sel:[0,0,1] op_sel_hi:[1,1,0] neg_lo:[0,0,1] neg_hi:[0,0,1]
	v_pk_fma_f32 v[36:37], v[38:39], v[46:47], v[36:37] op_sel:[0,0,1] op_sel_hi:[1,0,0]
	v_mov_b32_e32 v51, v37
	ds_load_2addr_b64 v[36:39], v40 offset0:10 offset1:11
	v_pk_add_f32 v[22:23], v[22:23], v[52:53] neg_lo:[0,1] neg_hi:[0,1]
	v_pk_add_f32 v[20:21], v[20:21], v[50:51] neg_lo:[0,1] neg_hi:[0,1]
	s_wait_dscnt 0x0
	v_dual_mul_f32 v50, v37, v49 :: v_dual_mul_f32 v52, v37, v46
	s_delay_alu instid0(VALU_DEP_1) | instskip(NEXT) | instid1(VALU_DEP_2)
	v_pk_fma_f32 v[50:51], v[36:37], v[24:25], v[50:51] op_sel_hi:[1,1,0] neg_lo:[0,0,1] neg_hi:[0,0,1]
	v_pk_fma_f32 v[36:37], v[36:37], v[24:25], v[52:53] op_sel:[1,0,0] op_sel_hi:[0,1,0]
	s_delay_alu instid0(VALU_DEP_1) | instskip(SKIP_1) | instid1(VALU_DEP_2)
	v_mov_b32_e32 v51, v37
	v_pk_mul_f32 v[36:37], v[38:39], v[48:49] op_sel:[0,1]
	v_pk_add_f32 v[4:5], v[4:5], v[50:51] neg_lo:[0,1] neg_hi:[0,1]
	s_delay_alu instid0(VALU_DEP_2) | instskip(SKIP_1) | instid1(VALU_DEP_1)
	v_pk_fma_f32 v[50:51], v[38:39], v[46:47], v[36:37] op_sel:[0,0,1] op_sel_hi:[1,1,0] neg_lo:[0,0,1] neg_hi:[0,0,1]
	v_pk_fma_f32 v[36:37], v[38:39], v[46:47], v[36:37] op_sel:[0,0,1] op_sel_hi:[1,0,0]
	v_mov_b32_e32 v51, v37
	ds_load_2addr_b64 v[36:39], v40 offset0:12 offset1:13
	v_pk_add_f32 v[18:19], v[18:19], v[50:51] neg_lo:[0,1] neg_hi:[0,1]
	s_wait_dscnt 0x0
	v_pk_mul_f32 v[50:51], v[36:37], v[48:49] op_sel:[0,1]
	s_delay_alu instid0(VALU_DEP_1) | instskip(SKIP_1) | instid1(VALU_DEP_1)
	v_pk_fma_f32 v[52:53], v[36:37], v[46:47], v[50:51] op_sel:[0,0,1] op_sel_hi:[1,1,0] neg_lo:[0,0,1] neg_hi:[0,0,1]
	v_pk_fma_f32 v[36:37], v[36:37], v[46:47], v[50:51] op_sel:[0,0,1] op_sel_hi:[1,0,0]
	v_mov_b32_e32 v53, v37
	v_pk_mul_f32 v[36:37], v[38:39], v[48:49] op_sel:[0,1]
	s_delay_alu instid0(VALU_DEP_2) | instskip(NEXT) | instid1(VALU_DEP_2)
	v_pk_add_f32 v[16:17], v[16:17], v[52:53] neg_lo:[0,1] neg_hi:[0,1]
	v_pk_fma_f32 v[50:51], v[38:39], v[46:47], v[36:37] op_sel:[0,0,1] op_sel_hi:[1,1,0] neg_lo:[0,0,1] neg_hi:[0,0,1]
	v_pk_fma_f32 v[36:37], v[38:39], v[46:47], v[36:37] op_sel:[0,0,1] op_sel_hi:[1,0,0]
	s_delay_alu instid0(VALU_DEP_1) | instskip(SKIP_4) | instid1(VALU_DEP_1)
	v_mov_b32_e32 v51, v37
	ds_load_b64 v[36:37], v40 offset:112
	v_pk_add_f32 v[14:15], v[14:15], v[50:51] neg_lo:[0,1] neg_hi:[0,1]
	s_wait_dscnt 0x0
	v_pk_mul_f32 v[38:39], v[36:37], v[48:49] op_sel:[0,1]
	v_pk_fma_f32 v[48:49], v[36:37], v[46:47], v[38:39] op_sel:[0,0,1] op_sel_hi:[1,1,0] neg_lo:[0,0,1] neg_hi:[0,0,1]
	v_pk_fma_f32 v[36:37], v[36:37], v[46:47], v[38:39] op_sel:[0,0,1] op_sel_hi:[1,0,0]
	s_delay_alu instid0(VALU_DEP_1) | instskip(NEXT) | instid1(VALU_DEP_1)
	v_mov_b32_e32 v49, v37
	v_pk_add_f32 v[34:35], v[34:35], v[48:49] neg_lo:[0,1] neg_hi:[0,1]
.LBB28_41:
	s_or_b32 exec_lo, exec_lo, s0
	v_lshl_add_u32 v36, v44, 3, v40
	s_barrier_signal -1
	s_barrier_wait -1
	ds_store_b64 v36, v[8:9]
	s_wait_dscnt 0x0
	s_barrier_signal -1
	s_barrier_wait -1
	ds_load_b64 v[36:37], v40 offset:16
	v_mov_b32_e32 v38, 2
	s_cmp_lt_i32 s14, 4
	s_mov_b32 s0, 3
	s_cbranch_scc1 .LBB28_44
; %bb.42:
	v_add3_u32 v39, v41, 0, 24
	v_mov_b32_e32 v38, 2
.LBB28_43:                              ; =>This Inner Loop Header: Depth=1
	ds_load_b64 v[46:47], v39
	s_wait_dscnt 0x1
	v_cmp_gt_f32_e32 vcc_lo, 0, v36
	v_cndmask_b32_e64 v48, v36, -v36, vcc_lo
	v_cmp_gt_f32_e32 vcc_lo, 0, v37
	v_cndmask_b32_e64 v50, v37, -v37, vcc_lo
	s_wait_dscnt 0x0
	v_cmp_gt_f32_e32 vcc_lo, 0, v46
	v_cndmask_b32_e64 v49, v46, -v46, vcc_lo
	v_cmp_gt_f32_e32 vcc_lo, 0, v47
	v_cndmask_b32_e64 v51, v47, -v47, vcc_lo
	s_delay_alu instid0(VALU_DEP_1) | instskip(NEXT) | instid1(VALU_DEP_1)
	v_pk_add_f32 v[48:49], v[48:49], v[50:51]
	v_cmp_lt_f32_e32 vcc_lo, v48, v49
	v_dual_cndmask_b32 v36, v36, v46 :: v_dual_add_nc_u32 v39, 8, v39
	v_cndmask_b32_e32 v37, v37, v47, vcc_lo
	v_cndmask_b32_e64 v38, v38, s0, vcc_lo
	s_add_co_i32 s0, s0, 1
	s_delay_alu instid0(SALU_CYCLE_1)
	s_cmp_lg_u32 s14, s0
	s_cbranch_scc1 .LBB28_43
.LBB28_44:
	s_wait_dscnt 0x0
	v_cmp_eq_f32_e32 vcc_lo, 0, v36
	v_cmp_eq_f32_e64 s0, 0, v37
	s_and_b32 s0, vcc_lo, s0
	s_delay_alu instid0(SALU_CYCLE_1) | instskip(NEXT) | instid1(SALU_CYCLE_1)
	s_and_saveexec_b32 s1, s0
	s_xor_b32 s0, exec_lo, s1
; %bb.45:
	v_cmp_ne_u32_e32 vcc_lo, 0, v43
	v_cndmask_b32_e32 v43, 3, v43, vcc_lo
; %bb.46:
	s_and_not1_saveexec_b32 s0, s0
	s_cbranch_execz .LBB28_52
; %bb.47:
	v_cmp_ngt_f32_e64 s1, |v36|, |v37|
	s_and_saveexec_b32 s15, s1
	s_delay_alu instid0(SALU_CYCLE_1)
	s_xor_b32 s1, exec_lo, s15
	s_cbranch_execz .LBB28_49
; %bb.48:
	v_div_scale_f32 v39, null, v37, v37, v36
	v_div_scale_f32 v47, vcc_lo, v36, v37, v36
	s_delay_alu instid0(VALU_DEP_2) | instskip(SKIP_1) | instid1(TRANS32_DEP_1)
	v_rcp_f32_e32 v45, v39
	v_nop
	v_fma_f32 v46, -v39, v45, 1.0
	s_delay_alu instid0(VALU_DEP_1) | instskip(NEXT) | instid1(VALU_DEP_1)
	v_fmac_f32_e32 v45, v46, v45
	v_mul_f32_e32 v46, v47, v45
	s_delay_alu instid0(VALU_DEP_1) | instskip(NEXT) | instid1(VALU_DEP_1)
	v_fma_f32 v48, -v39, v46, v47
	v_fmac_f32_e32 v46, v48, v45
	s_delay_alu instid0(VALU_DEP_1) | instskip(NEXT) | instid1(VALU_DEP_1)
	v_fma_f32 v39, -v39, v46, v47
	v_div_fmas_f32 v39, v39, v45, v46
	s_delay_alu instid0(VALU_DEP_1) | instskip(NEXT) | instid1(VALU_DEP_1)
	v_div_fixup_f32 v39, v39, v37, v36
	v_fmac_f32_e32 v37, v36, v39
	s_delay_alu instid0(VALU_DEP_1) | instskip(SKIP_1) | instid1(VALU_DEP_2)
	v_div_scale_f32 v36, null, v37, v37, 1.0
	v_div_scale_f32 v47, vcc_lo, 1.0, v37, 1.0
	v_rcp_f32_e32 v45, v36
	v_nop
	s_delay_alu instid0(TRANS32_DEP_1) | instskip(NEXT) | instid1(VALU_DEP_1)
	v_fma_f32 v46, -v36, v45, 1.0
	v_fmac_f32_e32 v45, v46, v45
	s_delay_alu instid0(VALU_DEP_1) | instskip(NEXT) | instid1(VALU_DEP_1)
	v_mul_f32_e32 v46, v47, v45
	v_fma_f32 v48, -v36, v46, v47
	s_delay_alu instid0(VALU_DEP_1) | instskip(NEXT) | instid1(VALU_DEP_1)
	v_fmac_f32_e32 v46, v48, v45
	v_fma_f32 v36, -v36, v46, v47
	s_delay_alu instid0(VALU_DEP_1) | instskip(NEXT) | instid1(VALU_DEP_1)
	v_div_fmas_f32 v36, v36, v45, v46
	v_div_fixup_f32 v37, v36, v37, 1.0
	s_delay_alu instid0(VALU_DEP_1)
	v_mul_f32_e32 v36, v39, v37
	v_xor_b32_e32 v37, 0x80000000, v37
.LBB28_49:
	s_and_not1_saveexec_b32 s1, s1
	s_cbranch_execz .LBB28_51
; %bb.50:
	s_delay_alu instid0(VALU_DEP_1) | instskip(SKIP_1) | instid1(VALU_DEP_2)
	v_div_scale_f32 v39, null, v36, v36, v37
	v_div_scale_f32 v47, vcc_lo, v37, v36, v37
	v_rcp_f32_e32 v45, v39
	v_nop
	s_delay_alu instid0(TRANS32_DEP_1) | instskip(NEXT) | instid1(VALU_DEP_1)
	v_fma_f32 v46, -v39, v45, 1.0
	v_fmac_f32_e32 v45, v46, v45
	s_delay_alu instid0(VALU_DEP_1) | instskip(NEXT) | instid1(VALU_DEP_1)
	v_mul_f32_e32 v46, v47, v45
	v_fma_f32 v48, -v39, v46, v47
	s_delay_alu instid0(VALU_DEP_1) | instskip(NEXT) | instid1(VALU_DEP_1)
	v_fmac_f32_e32 v46, v48, v45
	v_fma_f32 v39, -v39, v46, v47
	s_delay_alu instid0(VALU_DEP_1) | instskip(NEXT) | instid1(VALU_DEP_1)
	v_div_fmas_f32 v39, v39, v45, v46
	v_div_fixup_f32 v39, v39, v36, v37
	s_delay_alu instid0(VALU_DEP_1) | instskip(NEXT) | instid1(VALU_DEP_1)
	v_fmac_f32_e32 v36, v37, v39
	v_div_scale_f32 v37, null, v36, v36, 1.0
	s_delay_alu instid0(VALU_DEP_1) | instskip(SKIP_1) | instid1(TRANS32_DEP_1)
	v_rcp_f32_e32 v45, v37
	v_nop
	v_fma_f32 v46, -v37, v45, 1.0
	s_delay_alu instid0(VALU_DEP_1) | instskip(SKIP_1) | instid1(VALU_DEP_1)
	v_fmac_f32_e32 v45, v46, v45
	v_div_scale_f32 v46, vcc_lo, 1.0, v36, 1.0
	v_mul_f32_e32 v47, v46, v45
	s_delay_alu instid0(VALU_DEP_1) | instskip(NEXT) | instid1(VALU_DEP_1)
	v_fma_f32 v48, -v37, v47, v46
	v_fmac_f32_e32 v47, v48, v45
	s_delay_alu instid0(VALU_DEP_1) | instskip(NEXT) | instid1(VALU_DEP_1)
	v_fma_f32 v37, -v37, v47, v46
	v_div_fmas_f32 v37, v37, v45, v47
	s_delay_alu instid0(VALU_DEP_1) | instskip(NEXT) | instid1(VALU_DEP_1)
	v_div_fixup_f32 v36, v37, v36, 1.0
	v_mul_f32_e64 v37, v39, -v36
.LBB28_51:
	s_or_b32 exec_lo, exec_lo, s1
.LBB28_52:
	s_delay_alu instid0(SALU_CYCLE_1) | instskip(NEXT) | instid1(SALU_CYCLE_1)
	s_or_b32 exec_lo, exec_lo, s0
	s_mov_b32 s0, exec_lo
	v_cmpx_ne_u32_e64 v44, v38
	s_xor_b32 s0, exec_lo, s0
	s_cbranch_execz .LBB28_58
; %bb.53:
	s_mov_b32 s1, exec_lo
	v_cmpx_eq_u32_e32 2, v44
	s_cbranch_execz .LBB28_57
; %bb.54:
	v_cmp_ne_u32_e32 vcc_lo, 2, v38
	s_xor_b32 s15, s12, -1
	s_delay_alu instid0(SALU_CYCLE_1) | instskip(NEXT) | instid1(SALU_CYCLE_1)
	s_and_b32 s16, s15, vcc_lo
	s_and_saveexec_b32 s15, s16
	s_cbranch_execz .LBB28_56
; %bb.55:
	v_ashrrev_i32_e32 v39, 31, v38
	s_delay_alu instid0(VALU_DEP_1)
	v_lshl_add_u64 v[44:45], v[38:39], 2, v[30:31]
	s_clause 0x1
	global_load_b32 v39, v[44:45], off
	global_load_b32 v42, v[30:31], off offset:8
	s_wait_loadcnt 0x1
	global_store_b32 v[30:31], v39, off offset:8
	s_wait_loadcnt 0x0
	global_store_b32 v[44:45], v42, off
.LBB28_56:
	s_wait_xcnt 0x0
	s_or_b32 exec_lo, exec_lo, s15
	v_dual_mov_b32 v44, v38 :: v_dual_mov_b32 v42, v38
.LBB28_57:
	s_or_b32 exec_lo, exec_lo, s1
.LBB28_58:
	s_and_not1_saveexec_b32 s0, s0
	s_cbranch_execz .LBB28_60
; %bb.59:
	v_mov_b32_e32 v44, 2
	ds_store_2addr_b64 v40, v[6:7], v[28:29] offset0:3 offset1:4
	ds_store_2addr_b64 v40, v[26:27], v[12:13] offset0:5 offset1:6
	;; [unrolled: 1-line block ×6, first 2 shown]
.LBB28_60:
	s_or_b32 exec_lo, exec_lo, s0
	s_delay_alu instid0(SALU_CYCLE_1)
	s_mov_b32 s0, exec_lo
	s_wait_storecnt_dscnt 0x0
	s_barrier_signal -1
	s_barrier_wait -1
	v_cmpx_lt_i32_e32 2, v44
	s_cbranch_execz .LBB28_62
; %bb.61:
	v_pk_mul_f32 v[38:39], v[36:37], v[8:9] op_sel:[1,1] op_sel_hi:[0,1]
	s_delay_alu instid0(VALU_DEP_1)
	v_pk_fma_f32 v[46:47], v[36:37], v[8:9], v[38:39] op_sel_hi:[1,0,1] neg_lo:[0,0,1] neg_hi:[0,0,1]
	v_pk_fma_f32 v[48:49], v[36:37], v[8:9], v[38:39] op_sel_hi:[1,0,1]
	ds_load_2addr_b64 v[36:39], v40 offset0:3 offset1:4
	v_dual_mov_b32 v8, v46 :: v_dual_mov_b32 v9, v49
	s_wait_dscnt 0x0
	v_pk_mul_f32 v[50:51], v[36:37], v[48:49] op_sel:[0,1]
	s_delay_alu instid0(VALU_DEP_1) | instskip(SKIP_1) | instid1(VALU_DEP_1)
	v_pk_fma_f32 v[52:53], v[36:37], v[46:47], v[50:51] op_sel:[0,0,1] op_sel_hi:[1,1,0] neg_lo:[0,0,1] neg_hi:[0,0,1]
	v_pk_fma_f32 v[36:37], v[36:37], v[46:47], v[50:51] op_sel:[0,0,1] op_sel_hi:[1,0,0]
	v_mov_b32_e32 v53, v37
	v_pk_mul_f32 v[36:37], v[38:39], v[48:49] op_sel:[0,1]
	s_delay_alu instid0(VALU_DEP_1) | instskip(SKIP_1) | instid1(VALU_DEP_1)
	v_pk_fma_f32 v[50:51], v[38:39], v[46:47], v[36:37] op_sel:[0,0,1] op_sel_hi:[1,1,0] neg_lo:[0,0,1] neg_hi:[0,0,1]
	v_pk_fma_f32 v[36:37], v[38:39], v[46:47], v[36:37] op_sel:[0,0,1] op_sel_hi:[1,0,0]
	v_mov_b32_e32 v51, v37
	ds_load_2addr_b64 v[36:39], v40 offset0:5 offset1:6
	v_pk_add_f32 v[6:7], v[6:7], v[52:53] neg_lo:[0,1] neg_hi:[0,1]
	v_pk_add_f32 v[28:29], v[28:29], v[50:51] neg_lo:[0,1] neg_hi:[0,1]
	s_wait_dscnt 0x0
	v_pk_mul_f32 v[50:51], v[36:37], v[48:49] op_sel:[0,1]
	s_delay_alu instid0(VALU_DEP_1) | instskip(SKIP_2) | instid1(VALU_DEP_2)
	v_pk_fma_f32 v[52:53], v[36:37], v[46:47], v[50:51] op_sel:[0,0,1] op_sel_hi:[1,1,0] neg_lo:[0,0,1] neg_hi:[0,0,1]
	v_pk_fma_f32 v[36:37], v[36:37], v[46:47], v[50:51] op_sel:[0,0,1] op_sel_hi:[1,0,0]
	v_dual_mul_f32 v50, v39, v49 :: v_dual_mov_b32 v36, v39
	v_dual_mov_b32 v53, v37 :: v_dual_mov_b32 v37, v38
	s_delay_alu instid0(VALU_DEP_2) | instskip(SKIP_1) | instid1(VALU_DEP_3)
	v_pk_fma_f32 v[50:51], v[38:39], v[8:9], v[50:51] op_sel_hi:[1,1,0] neg_lo:[0,0,1] neg_hi:[0,0,1]
	v_mul_f32_e32 v38, v39, v46
	v_pk_add_f32 v[26:27], v[26:27], v[52:53] neg_lo:[0,1] neg_hi:[0,1]
	s_delay_alu instid0(VALU_DEP_2) | instskip(NEXT) | instid1(VALU_DEP_1)
	v_pk_fma_f32 v[36:37], v[36:37], v[8:9], v[38:39] op_sel_hi:[1,1,0]
	v_mov_b32_e32 v51, v37
	ds_load_2addr_b64 v[36:39], v40 offset0:7 offset1:8
	v_pk_add_f32 v[12:13], v[12:13], v[50:51] neg_lo:[0,1] neg_hi:[0,1]
	s_wait_dscnt 0x0
	v_pk_mul_f32 v[50:51], v[36:37], v[48:49] op_sel:[0,1]
	s_delay_alu instid0(VALU_DEP_1) | instskip(SKIP_1) | instid1(VALU_DEP_1)
	v_pk_fma_f32 v[52:53], v[36:37], v[46:47], v[50:51] op_sel:[0,0,1] op_sel_hi:[1,1,0] neg_lo:[0,0,1] neg_hi:[0,0,1]
	v_pk_fma_f32 v[36:37], v[36:37], v[46:47], v[50:51] op_sel:[0,0,1] op_sel_hi:[1,0,0]
	v_mov_b32_e32 v53, v37
	v_pk_mul_f32 v[36:37], v[38:39], v[48:49] op_sel:[0,1]
	s_delay_alu instid0(VALU_DEP_1) | instskip(SKIP_1) | instid1(VALU_DEP_1)
	v_pk_fma_f32 v[50:51], v[38:39], v[46:47], v[36:37] op_sel:[0,0,1] op_sel_hi:[1,1,0] neg_lo:[0,0,1] neg_hi:[0,0,1]
	v_pk_fma_f32 v[36:37], v[38:39], v[46:47], v[36:37] op_sel:[0,0,1] op_sel_hi:[1,0,0]
	v_mov_b32_e32 v51, v37
	ds_load_2addr_b64 v[36:39], v40 offset0:9 offset1:10
	v_pk_add_f32 v[10:11], v[10:11], v[52:53] neg_lo:[0,1] neg_hi:[0,1]
	v_pk_add_f32 v[22:23], v[22:23], v[50:51] neg_lo:[0,1] neg_hi:[0,1]
	s_wait_dscnt 0x0
	v_pk_mul_f32 v[50:51], v[36:37], v[48:49] op_sel:[0,1]
	s_delay_alu instid0(VALU_DEP_1) | instskip(SKIP_1) | instid1(VALU_DEP_1)
	v_pk_fma_f32 v[52:53], v[36:37], v[46:47], v[50:51] op_sel:[0,0,1] op_sel_hi:[1,1,0] neg_lo:[0,0,1] neg_hi:[0,0,1]
	v_pk_fma_f32 v[36:37], v[36:37], v[46:47], v[50:51] op_sel:[0,0,1] op_sel_hi:[1,0,0]
	v_mov_b32_e32 v53, v37
	v_pk_mul_f32 v[36:37], v[38:39], v[48:49] op_sel:[0,1]
	s_delay_alu instid0(VALU_DEP_1) | instskip(SKIP_1) | instid1(VALU_DEP_1)
	v_pk_fma_f32 v[50:51], v[38:39], v[46:47], v[36:37] op_sel:[0,0,1] op_sel_hi:[1,1,0] neg_lo:[0,0,1] neg_hi:[0,0,1]
	v_pk_fma_f32 v[36:37], v[38:39], v[46:47], v[36:37] op_sel:[0,0,1] op_sel_hi:[1,0,0]
	v_mov_b32_e32 v51, v37
	ds_load_2addr_b64 v[36:39], v40 offset0:11 offset1:12
	v_pk_add_f32 v[20:21], v[20:21], v[52:53] neg_lo:[0,1] neg_hi:[0,1]
	v_pk_add_f32 v[4:5], v[4:5], v[50:51] neg_lo:[0,1] neg_hi:[0,1]
	s_wait_dscnt 0x0
	v_dual_mul_f32 v50, v37, v49 :: v_dual_mul_f32 v52, v37, v46
	s_delay_alu instid0(VALU_DEP_1) | instskip(NEXT) | instid1(VALU_DEP_2)
	v_pk_fma_f32 v[50:51], v[36:37], v[8:9], v[50:51] op_sel_hi:[1,1,0] neg_lo:[0,0,1] neg_hi:[0,0,1]
	v_pk_fma_f32 v[36:37], v[36:37], v[8:9], v[52:53] op_sel:[1,0,0] op_sel_hi:[0,1,0]
	s_delay_alu instid0(VALU_DEP_1) | instskip(SKIP_1) | instid1(VALU_DEP_2)
	v_mov_b32_e32 v51, v37
	v_pk_mul_f32 v[36:37], v[38:39], v[48:49] op_sel:[0,1]
	v_pk_add_f32 v[18:19], v[18:19], v[50:51] neg_lo:[0,1] neg_hi:[0,1]
	s_delay_alu instid0(VALU_DEP_2) | instskip(SKIP_1) | instid1(VALU_DEP_1)
	v_pk_fma_f32 v[50:51], v[38:39], v[46:47], v[36:37] op_sel:[0,0,1] op_sel_hi:[1,1,0] neg_lo:[0,0,1] neg_hi:[0,0,1]
	v_pk_fma_f32 v[36:37], v[38:39], v[46:47], v[36:37] op_sel:[0,0,1] op_sel_hi:[1,0,0]
	v_mov_b32_e32 v51, v37
	ds_load_2addr_b64 v[36:39], v40 offset0:13 offset1:14
	v_pk_add_f32 v[16:17], v[16:17], v[50:51] neg_lo:[0,1] neg_hi:[0,1]
	s_wait_dscnt 0x0
	v_pk_mul_f32 v[50:51], v[36:37], v[48:49] op_sel:[0,1]
	v_mul_f32_e32 v48, v39, v49
	s_delay_alu instid0(VALU_DEP_2) | instskip(SKIP_2) | instid1(VALU_DEP_4)
	v_pk_fma_f32 v[52:53], v[36:37], v[46:47], v[50:51] op_sel:[0,0,1] op_sel_hi:[1,1,0] neg_lo:[0,0,1] neg_hi:[0,0,1]
	v_pk_fma_f32 v[36:37], v[36:37], v[46:47], v[50:51] op_sel:[0,0,1] op_sel_hi:[1,0,0]
	v_mov_b32_e32 v36, v39
	v_pk_fma_f32 v[48:49], v[38:39], v[8:9], v[48:49] op_sel_hi:[1,1,0] neg_lo:[0,0,1] neg_hi:[0,0,1]
	s_delay_alu instid0(VALU_DEP_3) | instskip(SKIP_1) | instid1(VALU_DEP_2)
	v_dual_mov_b32 v53, v37 :: v_dual_mov_b32 v37, v38
	v_mul_f32_e32 v38, v39, v46
	v_pk_add_f32 v[14:15], v[14:15], v[52:53] neg_lo:[0,1] neg_hi:[0,1]
	s_delay_alu instid0(VALU_DEP_2) | instskip(NEXT) | instid1(VALU_DEP_1)
	v_pk_fma_f32 v[36:37], v[36:37], v[8:9], v[38:39] op_sel_hi:[1,1,0]
	v_mov_b32_e32 v49, v37
	s_delay_alu instid0(VALU_DEP_1)
	v_pk_add_f32 v[34:35], v[34:35], v[48:49] neg_lo:[0,1] neg_hi:[0,1]
.LBB28_62:
	s_or_b32 exec_lo, exec_lo, s0
	v_lshl_add_u32 v36, v44, 3, v40
	s_barrier_signal -1
	s_barrier_wait -1
	ds_store_b64 v36, v[6:7]
	s_wait_dscnt 0x0
	s_barrier_signal -1
	s_barrier_wait -1
	ds_load_b64 v[36:37], v40 offset:24
	v_mov_b32_e32 v38, 3
	s_cmp_lt_i32 s14, 5
	s_cbranch_scc1 .LBB28_65
; %bb.63:
	v_mov_b32_e32 v38, 3
	v_add3_u32 v39, v41, 0, 32
	s_mov_b32 s0, 4
.LBB28_64:                              ; =>This Inner Loop Header: Depth=1
	ds_load_b64 v[46:47], v39
	s_wait_dscnt 0x1
	v_cmp_gt_f32_e32 vcc_lo, 0, v36
	v_cndmask_b32_e64 v48, v36, -v36, vcc_lo
	v_cmp_gt_f32_e32 vcc_lo, 0, v37
	v_cndmask_b32_e64 v50, v37, -v37, vcc_lo
	s_wait_dscnt 0x0
	v_cmp_gt_f32_e32 vcc_lo, 0, v46
	v_cndmask_b32_e64 v49, v46, -v46, vcc_lo
	v_cmp_gt_f32_e32 vcc_lo, 0, v47
	v_cndmask_b32_e64 v51, v47, -v47, vcc_lo
	s_delay_alu instid0(VALU_DEP_1) | instskip(NEXT) | instid1(VALU_DEP_1)
	v_pk_add_f32 v[48:49], v[48:49], v[50:51]
	v_cmp_lt_f32_e32 vcc_lo, v48, v49
	v_dual_cndmask_b32 v36, v36, v46 :: v_dual_add_nc_u32 v39, 8, v39
	v_cndmask_b32_e32 v37, v37, v47, vcc_lo
	v_cndmask_b32_e64 v38, v38, s0, vcc_lo
	s_add_co_i32 s0, s0, 1
	s_delay_alu instid0(SALU_CYCLE_1)
	s_cmp_lg_u32 s14, s0
	s_cbranch_scc1 .LBB28_64
.LBB28_65:
	s_wait_dscnt 0x0
	v_cmp_eq_f32_e32 vcc_lo, 0, v36
	v_cmp_eq_f32_e64 s0, 0, v37
	s_and_b32 s0, vcc_lo, s0
	s_delay_alu instid0(SALU_CYCLE_1) | instskip(NEXT) | instid1(SALU_CYCLE_1)
	s_and_saveexec_b32 s1, s0
	s_xor_b32 s0, exec_lo, s1
; %bb.66:
	v_cmp_ne_u32_e32 vcc_lo, 0, v43
	v_cndmask_b32_e32 v43, 4, v43, vcc_lo
; %bb.67:
	s_and_not1_saveexec_b32 s0, s0
	s_cbranch_execz .LBB28_73
; %bb.68:
	v_cmp_ngt_f32_e64 s1, |v36|, |v37|
	s_and_saveexec_b32 s15, s1
	s_delay_alu instid0(SALU_CYCLE_1)
	s_xor_b32 s1, exec_lo, s15
	s_cbranch_execz .LBB28_70
; %bb.69:
	v_div_scale_f32 v39, null, v37, v37, v36
	v_div_scale_f32 v47, vcc_lo, v36, v37, v36
	s_delay_alu instid0(VALU_DEP_2) | instskip(SKIP_1) | instid1(TRANS32_DEP_1)
	v_rcp_f32_e32 v45, v39
	v_nop
	v_fma_f32 v46, -v39, v45, 1.0
	s_delay_alu instid0(VALU_DEP_1) | instskip(NEXT) | instid1(VALU_DEP_1)
	v_fmac_f32_e32 v45, v46, v45
	v_mul_f32_e32 v46, v47, v45
	s_delay_alu instid0(VALU_DEP_1) | instskip(NEXT) | instid1(VALU_DEP_1)
	v_fma_f32 v48, -v39, v46, v47
	v_fmac_f32_e32 v46, v48, v45
	s_delay_alu instid0(VALU_DEP_1) | instskip(NEXT) | instid1(VALU_DEP_1)
	v_fma_f32 v39, -v39, v46, v47
	v_div_fmas_f32 v39, v39, v45, v46
	s_delay_alu instid0(VALU_DEP_1) | instskip(NEXT) | instid1(VALU_DEP_1)
	v_div_fixup_f32 v39, v39, v37, v36
	v_fmac_f32_e32 v37, v36, v39
	s_delay_alu instid0(VALU_DEP_1) | instskip(SKIP_1) | instid1(VALU_DEP_2)
	v_div_scale_f32 v36, null, v37, v37, 1.0
	v_div_scale_f32 v47, vcc_lo, 1.0, v37, 1.0
	v_rcp_f32_e32 v45, v36
	v_nop
	s_delay_alu instid0(TRANS32_DEP_1) | instskip(NEXT) | instid1(VALU_DEP_1)
	v_fma_f32 v46, -v36, v45, 1.0
	v_fmac_f32_e32 v45, v46, v45
	s_delay_alu instid0(VALU_DEP_1) | instskip(NEXT) | instid1(VALU_DEP_1)
	v_mul_f32_e32 v46, v47, v45
	v_fma_f32 v48, -v36, v46, v47
	s_delay_alu instid0(VALU_DEP_1) | instskip(NEXT) | instid1(VALU_DEP_1)
	v_fmac_f32_e32 v46, v48, v45
	v_fma_f32 v36, -v36, v46, v47
	s_delay_alu instid0(VALU_DEP_1) | instskip(NEXT) | instid1(VALU_DEP_1)
	v_div_fmas_f32 v36, v36, v45, v46
	v_div_fixup_f32 v37, v36, v37, 1.0
	s_delay_alu instid0(VALU_DEP_1)
	v_mul_f32_e32 v36, v39, v37
	v_xor_b32_e32 v37, 0x80000000, v37
.LBB28_70:
	s_and_not1_saveexec_b32 s1, s1
	s_cbranch_execz .LBB28_72
; %bb.71:
	s_delay_alu instid0(VALU_DEP_1) | instskip(SKIP_1) | instid1(VALU_DEP_2)
	v_div_scale_f32 v39, null, v36, v36, v37
	v_div_scale_f32 v47, vcc_lo, v37, v36, v37
	v_rcp_f32_e32 v45, v39
	v_nop
	s_delay_alu instid0(TRANS32_DEP_1) | instskip(NEXT) | instid1(VALU_DEP_1)
	v_fma_f32 v46, -v39, v45, 1.0
	v_fmac_f32_e32 v45, v46, v45
	s_delay_alu instid0(VALU_DEP_1) | instskip(NEXT) | instid1(VALU_DEP_1)
	v_mul_f32_e32 v46, v47, v45
	v_fma_f32 v48, -v39, v46, v47
	s_delay_alu instid0(VALU_DEP_1) | instskip(NEXT) | instid1(VALU_DEP_1)
	v_fmac_f32_e32 v46, v48, v45
	v_fma_f32 v39, -v39, v46, v47
	s_delay_alu instid0(VALU_DEP_1) | instskip(NEXT) | instid1(VALU_DEP_1)
	v_div_fmas_f32 v39, v39, v45, v46
	v_div_fixup_f32 v39, v39, v36, v37
	s_delay_alu instid0(VALU_DEP_1) | instskip(NEXT) | instid1(VALU_DEP_1)
	v_fmac_f32_e32 v36, v37, v39
	v_div_scale_f32 v37, null, v36, v36, 1.0
	s_delay_alu instid0(VALU_DEP_1) | instskip(SKIP_1) | instid1(TRANS32_DEP_1)
	v_rcp_f32_e32 v45, v37
	v_nop
	v_fma_f32 v46, -v37, v45, 1.0
	s_delay_alu instid0(VALU_DEP_1) | instskip(SKIP_1) | instid1(VALU_DEP_1)
	v_fmac_f32_e32 v45, v46, v45
	v_div_scale_f32 v46, vcc_lo, 1.0, v36, 1.0
	v_mul_f32_e32 v47, v46, v45
	s_delay_alu instid0(VALU_DEP_1) | instskip(NEXT) | instid1(VALU_DEP_1)
	v_fma_f32 v48, -v37, v47, v46
	v_fmac_f32_e32 v47, v48, v45
	s_delay_alu instid0(VALU_DEP_1) | instskip(NEXT) | instid1(VALU_DEP_1)
	v_fma_f32 v37, -v37, v47, v46
	v_div_fmas_f32 v37, v37, v45, v47
	s_delay_alu instid0(VALU_DEP_1) | instskip(NEXT) | instid1(VALU_DEP_1)
	v_div_fixup_f32 v36, v37, v36, 1.0
	v_mul_f32_e64 v37, v39, -v36
.LBB28_72:
	s_or_b32 exec_lo, exec_lo, s1
.LBB28_73:
	s_delay_alu instid0(SALU_CYCLE_1) | instskip(NEXT) | instid1(SALU_CYCLE_1)
	s_or_b32 exec_lo, exec_lo, s0
	s_mov_b32 s0, exec_lo
	v_cmpx_ne_u32_e64 v44, v38
	s_xor_b32 s0, exec_lo, s0
	s_cbranch_execz .LBB28_79
; %bb.74:
	s_mov_b32 s1, exec_lo
	v_cmpx_eq_u32_e32 3, v44
	s_cbranch_execz .LBB28_78
; %bb.75:
	v_cmp_ne_u32_e32 vcc_lo, 3, v38
	s_xor_b32 s15, s12, -1
	s_delay_alu instid0(SALU_CYCLE_1) | instskip(NEXT) | instid1(SALU_CYCLE_1)
	s_and_b32 s16, s15, vcc_lo
	s_and_saveexec_b32 s15, s16
	s_cbranch_execz .LBB28_77
; %bb.76:
	v_ashrrev_i32_e32 v39, 31, v38
	s_delay_alu instid0(VALU_DEP_1)
	v_lshl_add_u64 v[44:45], v[38:39], 2, v[30:31]
	s_clause 0x1
	global_load_b32 v39, v[44:45], off
	global_load_b32 v42, v[30:31], off offset:12
	s_wait_loadcnt 0x1
	global_store_b32 v[30:31], v39, off offset:12
	s_wait_loadcnt 0x0
	global_store_b32 v[44:45], v42, off
.LBB28_77:
	s_wait_xcnt 0x0
	s_or_b32 exec_lo, exec_lo, s15
	v_dual_mov_b32 v44, v38 :: v_dual_mov_b32 v42, v38
.LBB28_78:
	s_or_b32 exec_lo, exec_lo, s1
.LBB28_79:
	s_and_not1_saveexec_b32 s0, s0
	s_cbranch_execz .LBB28_81
; %bb.80:
	v_dual_mov_b32 v38, v28 :: v_dual_mov_b32 v39, v29
	v_dual_mov_b32 v44, v26 :: v_dual_mov_b32 v45, v27
	;; [unrolled: 1-line block ×6, first 2 shown]
	ds_store_2addr_b64 v40, v[38:39], v[44:45] offset0:4 offset1:5
	ds_store_2addr_b64 v40, v[46:47], v[48:49] offset0:6 offset1:7
	v_dual_mov_b32 v44, 3 :: v_dual_mov_b32 v54, v4
	v_dual_mov_b32 v55, v5 :: v_dual_mov_b32 v56, v18
	;; [unrolled: 1-line block ×4, first 2 shown]
	v_mov_b32_e32 v61, v15
	ds_store_2addr_b64 v40, v[50:51], v[52:53] offset0:8 offset1:9
	ds_store_2addr_b64 v40, v[54:55], v[56:57] offset0:10 offset1:11
	;; [unrolled: 1-line block ×3, first 2 shown]
	ds_store_b64 v40, v[34:35] offset:112
.LBB28_81:
	s_or_b32 exec_lo, exec_lo, s0
	s_delay_alu instid0(SALU_CYCLE_1)
	s_mov_b32 s0, exec_lo
	s_wait_storecnt_dscnt 0x0
	s_barrier_signal -1
	s_barrier_wait -1
	v_cmpx_lt_i32_e32 3, v44
	s_cbranch_execz .LBB28_83
; %bb.82:
	v_pk_mul_f32 v[38:39], v[36:37], v[6:7] op_sel:[1,1] op_sel_hi:[0,1]
	s_delay_alu instid0(VALU_DEP_1)
	v_pk_fma_f32 v[46:47], v[36:37], v[6:7], v[38:39] op_sel_hi:[1,0,1] neg_lo:[0,0,1] neg_hi:[0,0,1]
	v_pk_fma_f32 v[48:49], v[36:37], v[6:7], v[38:39] op_sel_hi:[1,0,1]
	ds_load_2addr_b64 v[36:39], v40 offset0:4 offset1:5
	v_dual_mov_b32 v6, v46 :: v_dual_mov_b32 v7, v49
	s_wait_dscnt 0x0
	v_pk_mul_f32 v[50:51], v[36:37], v[48:49] op_sel:[0,1]
	s_delay_alu instid0(VALU_DEP_1) | instskip(SKIP_1) | instid1(VALU_DEP_1)
	v_pk_fma_f32 v[52:53], v[36:37], v[46:47], v[50:51] op_sel:[0,0,1] op_sel_hi:[1,1,0] neg_lo:[0,0,1] neg_hi:[0,0,1]
	v_pk_fma_f32 v[36:37], v[36:37], v[46:47], v[50:51] op_sel:[0,0,1] op_sel_hi:[1,0,0]
	v_mov_b32_e32 v53, v37
	v_pk_mul_f32 v[36:37], v[38:39], v[48:49] op_sel:[0,1]
	s_delay_alu instid0(VALU_DEP_1) | instskip(SKIP_1) | instid1(VALU_DEP_1)
	v_pk_fma_f32 v[50:51], v[38:39], v[46:47], v[36:37] op_sel:[0,0,1] op_sel_hi:[1,1,0] neg_lo:[0,0,1] neg_hi:[0,0,1]
	v_pk_fma_f32 v[36:37], v[38:39], v[46:47], v[36:37] op_sel:[0,0,1] op_sel_hi:[1,0,0]
	v_mov_b32_e32 v51, v37
	ds_load_2addr_b64 v[36:39], v40 offset0:6 offset1:7
	v_pk_add_f32 v[28:29], v[28:29], v[52:53] neg_lo:[0,1] neg_hi:[0,1]
	v_pk_add_f32 v[26:27], v[26:27], v[50:51] neg_lo:[0,1] neg_hi:[0,1]
	s_wait_dscnt 0x0
	v_pk_mul_f32 v[50:51], v[36:37], v[48:49] op_sel:[0,1]
	s_delay_alu instid0(VALU_DEP_1) | instskip(SKIP_2) | instid1(VALU_DEP_2)
	v_pk_fma_f32 v[52:53], v[36:37], v[46:47], v[50:51] op_sel:[0,0,1] op_sel_hi:[1,1,0] neg_lo:[0,0,1] neg_hi:[0,0,1]
	v_pk_fma_f32 v[36:37], v[36:37], v[46:47], v[50:51] op_sel:[0,0,1] op_sel_hi:[1,0,0]
	v_dual_mul_f32 v50, v39, v49 :: v_dual_mov_b32 v36, v39
	v_dual_mov_b32 v53, v37 :: v_dual_mov_b32 v37, v38
	s_delay_alu instid0(VALU_DEP_2) | instskip(SKIP_1) | instid1(VALU_DEP_3)
	v_pk_fma_f32 v[50:51], v[38:39], v[6:7], v[50:51] op_sel_hi:[1,1,0] neg_lo:[0,0,1] neg_hi:[0,0,1]
	v_mul_f32_e32 v38, v39, v46
	v_pk_add_f32 v[12:13], v[12:13], v[52:53] neg_lo:[0,1] neg_hi:[0,1]
	s_delay_alu instid0(VALU_DEP_2) | instskip(NEXT) | instid1(VALU_DEP_1)
	v_pk_fma_f32 v[36:37], v[36:37], v[6:7], v[38:39] op_sel_hi:[1,1,0]
	v_mov_b32_e32 v51, v37
	ds_load_2addr_b64 v[36:39], v40 offset0:8 offset1:9
	v_pk_add_f32 v[10:11], v[10:11], v[50:51] neg_lo:[0,1] neg_hi:[0,1]
	s_wait_dscnt 0x0
	v_pk_mul_f32 v[50:51], v[36:37], v[48:49] op_sel:[0,1]
	s_delay_alu instid0(VALU_DEP_1) | instskip(SKIP_1) | instid1(VALU_DEP_1)
	v_pk_fma_f32 v[52:53], v[36:37], v[46:47], v[50:51] op_sel:[0,0,1] op_sel_hi:[1,1,0] neg_lo:[0,0,1] neg_hi:[0,0,1]
	v_pk_fma_f32 v[36:37], v[36:37], v[46:47], v[50:51] op_sel:[0,0,1] op_sel_hi:[1,0,0]
	v_mov_b32_e32 v53, v37
	v_pk_mul_f32 v[36:37], v[38:39], v[48:49] op_sel:[0,1]
	s_delay_alu instid0(VALU_DEP_1) | instskip(SKIP_1) | instid1(VALU_DEP_1)
	v_pk_fma_f32 v[50:51], v[38:39], v[46:47], v[36:37] op_sel:[0,0,1] op_sel_hi:[1,1,0] neg_lo:[0,0,1] neg_hi:[0,0,1]
	v_pk_fma_f32 v[36:37], v[38:39], v[46:47], v[36:37] op_sel:[0,0,1] op_sel_hi:[1,0,0]
	v_mov_b32_e32 v51, v37
	ds_load_2addr_b64 v[36:39], v40 offset0:10 offset1:11
	v_pk_add_f32 v[22:23], v[22:23], v[52:53] neg_lo:[0,1] neg_hi:[0,1]
	v_pk_add_f32 v[20:21], v[20:21], v[50:51] neg_lo:[0,1] neg_hi:[0,1]
	s_wait_dscnt 0x0
	v_pk_mul_f32 v[50:51], v[36:37], v[48:49] op_sel:[0,1]
	s_delay_alu instid0(VALU_DEP_1) | instskip(SKIP_1) | instid1(VALU_DEP_1)
	v_pk_fma_f32 v[52:53], v[36:37], v[46:47], v[50:51] op_sel:[0,0,1] op_sel_hi:[1,1,0] neg_lo:[0,0,1] neg_hi:[0,0,1]
	v_pk_fma_f32 v[36:37], v[36:37], v[46:47], v[50:51] op_sel:[0,0,1] op_sel_hi:[1,0,0]
	v_mov_b32_e32 v53, v37
	v_pk_mul_f32 v[36:37], v[38:39], v[48:49] op_sel:[0,1]
	s_delay_alu instid0(VALU_DEP_1) | instskip(SKIP_1) | instid1(VALU_DEP_1)
	v_pk_fma_f32 v[50:51], v[38:39], v[46:47], v[36:37] op_sel:[0,0,1] op_sel_hi:[1,1,0] neg_lo:[0,0,1] neg_hi:[0,0,1]
	v_pk_fma_f32 v[36:37], v[38:39], v[46:47], v[36:37] op_sel:[0,0,1] op_sel_hi:[1,0,0]
	v_mov_b32_e32 v51, v37
	ds_load_2addr_b64 v[36:39], v40 offset0:12 offset1:13
	v_pk_add_f32 v[4:5], v[4:5], v[52:53] neg_lo:[0,1] neg_hi:[0,1]
	v_pk_add_f32 v[18:19], v[18:19], v[50:51] neg_lo:[0,1] neg_hi:[0,1]
	s_wait_dscnt 0x0
	v_dual_mul_f32 v50, v37, v49 :: v_dual_mul_f32 v52, v37, v46
	s_delay_alu instid0(VALU_DEP_1) | instskip(NEXT) | instid1(VALU_DEP_2)
	v_pk_fma_f32 v[50:51], v[36:37], v[6:7], v[50:51] op_sel_hi:[1,1,0] neg_lo:[0,0,1] neg_hi:[0,0,1]
	v_pk_fma_f32 v[36:37], v[36:37], v[6:7], v[52:53] op_sel:[1,0,0] op_sel_hi:[0,1,0]
	s_delay_alu instid0(VALU_DEP_1) | instskip(SKIP_1) | instid1(VALU_DEP_2)
	v_mov_b32_e32 v51, v37
	v_pk_mul_f32 v[36:37], v[38:39], v[48:49] op_sel:[0,1]
	v_pk_add_f32 v[16:17], v[16:17], v[50:51] neg_lo:[0,1] neg_hi:[0,1]
	s_delay_alu instid0(VALU_DEP_2) | instskip(SKIP_1) | instid1(VALU_DEP_1)
	v_pk_fma_f32 v[50:51], v[38:39], v[46:47], v[36:37] op_sel:[0,0,1] op_sel_hi:[1,1,0] neg_lo:[0,0,1] neg_hi:[0,0,1]
	v_pk_fma_f32 v[36:37], v[38:39], v[46:47], v[36:37] op_sel:[0,0,1] op_sel_hi:[1,0,0]
	v_mov_b32_e32 v51, v37
	ds_load_b64 v[36:37], v40 offset:112
	v_pk_add_f32 v[14:15], v[14:15], v[50:51] neg_lo:[0,1] neg_hi:[0,1]
	s_wait_dscnt 0x0
	v_pk_mul_f32 v[38:39], v[36:37], v[48:49] op_sel:[0,1]
	s_delay_alu instid0(VALU_DEP_1) | instskip(SKIP_1) | instid1(VALU_DEP_1)
	v_pk_fma_f32 v[48:49], v[36:37], v[46:47], v[38:39] op_sel:[0,0,1] op_sel_hi:[1,1,0] neg_lo:[0,0,1] neg_hi:[0,0,1]
	v_pk_fma_f32 v[36:37], v[36:37], v[46:47], v[38:39] op_sel:[0,0,1] op_sel_hi:[1,0,0]
	v_mov_b32_e32 v49, v37
	s_delay_alu instid0(VALU_DEP_1)
	v_pk_add_f32 v[34:35], v[34:35], v[48:49] neg_lo:[0,1] neg_hi:[0,1]
.LBB28_83:
	s_or_b32 exec_lo, exec_lo, s0
	v_lshl_add_u32 v36, v44, 3, v40
	s_barrier_signal -1
	s_barrier_wait -1
	ds_store_b64 v36, v[28:29]
	s_wait_dscnt 0x0
	s_barrier_signal -1
	s_barrier_wait -1
	ds_load_b64 v[36:37], v40 offset:32
	v_mov_b32_e32 v38, 4
	s_cmp_lt_i32 s14, 6
	s_cbranch_scc1 .LBB28_86
; %bb.84:
	v_add3_u32 v39, v41, 0, 40
	v_mov_b32_e32 v38, 4
	s_mov_b32 s0, 5
.LBB28_85:                              ; =>This Inner Loop Header: Depth=1
	ds_load_b64 v[46:47], v39
	s_wait_dscnt 0x1
	v_cmp_gt_f32_e32 vcc_lo, 0, v36
	v_cndmask_b32_e64 v48, v36, -v36, vcc_lo
	v_cmp_gt_f32_e32 vcc_lo, 0, v37
	v_cndmask_b32_e64 v50, v37, -v37, vcc_lo
	s_wait_dscnt 0x0
	v_cmp_gt_f32_e32 vcc_lo, 0, v46
	v_cndmask_b32_e64 v49, v46, -v46, vcc_lo
	v_cmp_gt_f32_e32 vcc_lo, 0, v47
	v_cndmask_b32_e64 v51, v47, -v47, vcc_lo
	s_delay_alu instid0(VALU_DEP_1) | instskip(NEXT) | instid1(VALU_DEP_1)
	v_pk_add_f32 v[48:49], v[48:49], v[50:51]
	v_cmp_lt_f32_e32 vcc_lo, v48, v49
	v_dual_cndmask_b32 v36, v36, v46 :: v_dual_add_nc_u32 v39, 8, v39
	v_cndmask_b32_e32 v37, v37, v47, vcc_lo
	v_cndmask_b32_e64 v38, v38, s0, vcc_lo
	s_add_co_i32 s0, s0, 1
	s_delay_alu instid0(SALU_CYCLE_1)
	s_cmp_lg_u32 s14, s0
	s_cbranch_scc1 .LBB28_85
.LBB28_86:
	s_wait_dscnt 0x0
	v_cmp_eq_f32_e32 vcc_lo, 0, v36
	v_cmp_eq_f32_e64 s0, 0, v37
	s_and_b32 s0, vcc_lo, s0
	s_delay_alu instid0(SALU_CYCLE_1) | instskip(NEXT) | instid1(SALU_CYCLE_1)
	s_and_saveexec_b32 s1, s0
	s_xor_b32 s0, exec_lo, s1
; %bb.87:
	v_cmp_ne_u32_e32 vcc_lo, 0, v43
	v_cndmask_b32_e32 v43, 5, v43, vcc_lo
; %bb.88:
	s_and_not1_saveexec_b32 s0, s0
	s_cbranch_execz .LBB28_94
; %bb.89:
	v_cmp_ngt_f32_e64 s1, |v36|, |v37|
	s_and_saveexec_b32 s15, s1
	s_delay_alu instid0(SALU_CYCLE_1)
	s_xor_b32 s1, exec_lo, s15
	s_cbranch_execz .LBB28_91
; %bb.90:
	v_div_scale_f32 v39, null, v37, v37, v36
	v_div_scale_f32 v47, vcc_lo, v36, v37, v36
	s_delay_alu instid0(VALU_DEP_2) | instskip(SKIP_1) | instid1(TRANS32_DEP_1)
	v_rcp_f32_e32 v45, v39
	v_nop
	v_fma_f32 v46, -v39, v45, 1.0
	s_delay_alu instid0(VALU_DEP_1) | instskip(NEXT) | instid1(VALU_DEP_1)
	v_fmac_f32_e32 v45, v46, v45
	v_mul_f32_e32 v46, v47, v45
	s_delay_alu instid0(VALU_DEP_1) | instskip(NEXT) | instid1(VALU_DEP_1)
	v_fma_f32 v48, -v39, v46, v47
	v_fmac_f32_e32 v46, v48, v45
	s_delay_alu instid0(VALU_DEP_1) | instskip(NEXT) | instid1(VALU_DEP_1)
	v_fma_f32 v39, -v39, v46, v47
	v_div_fmas_f32 v39, v39, v45, v46
	s_delay_alu instid0(VALU_DEP_1) | instskip(NEXT) | instid1(VALU_DEP_1)
	v_div_fixup_f32 v39, v39, v37, v36
	v_fmac_f32_e32 v37, v36, v39
	s_delay_alu instid0(VALU_DEP_1) | instskip(SKIP_1) | instid1(VALU_DEP_2)
	v_div_scale_f32 v36, null, v37, v37, 1.0
	v_div_scale_f32 v47, vcc_lo, 1.0, v37, 1.0
	v_rcp_f32_e32 v45, v36
	v_nop
	s_delay_alu instid0(TRANS32_DEP_1) | instskip(NEXT) | instid1(VALU_DEP_1)
	v_fma_f32 v46, -v36, v45, 1.0
	v_fmac_f32_e32 v45, v46, v45
	s_delay_alu instid0(VALU_DEP_1) | instskip(NEXT) | instid1(VALU_DEP_1)
	v_mul_f32_e32 v46, v47, v45
	v_fma_f32 v48, -v36, v46, v47
	s_delay_alu instid0(VALU_DEP_1) | instskip(NEXT) | instid1(VALU_DEP_1)
	v_fmac_f32_e32 v46, v48, v45
	v_fma_f32 v36, -v36, v46, v47
	s_delay_alu instid0(VALU_DEP_1) | instskip(NEXT) | instid1(VALU_DEP_1)
	v_div_fmas_f32 v36, v36, v45, v46
	v_div_fixup_f32 v37, v36, v37, 1.0
	s_delay_alu instid0(VALU_DEP_1)
	v_mul_f32_e32 v36, v39, v37
	v_xor_b32_e32 v37, 0x80000000, v37
.LBB28_91:
	s_and_not1_saveexec_b32 s1, s1
	s_cbranch_execz .LBB28_93
; %bb.92:
	s_delay_alu instid0(VALU_DEP_1) | instskip(SKIP_1) | instid1(VALU_DEP_2)
	v_div_scale_f32 v39, null, v36, v36, v37
	v_div_scale_f32 v47, vcc_lo, v37, v36, v37
	v_rcp_f32_e32 v45, v39
	v_nop
	s_delay_alu instid0(TRANS32_DEP_1) | instskip(NEXT) | instid1(VALU_DEP_1)
	v_fma_f32 v46, -v39, v45, 1.0
	v_fmac_f32_e32 v45, v46, v45
	s_delay_alu instid0(VALU_DEP_1) | instskip(NEXT) | instid1(VALU_DEP_1)
	v_mul_f32_e32 v46, v47, v45
	v_fma_f32 v48, -v39, v46, v47
	s_delay_alu instid0(VALU_DEP_1) | instskip(NEXT) | instid1(VALU_DEP_1)
	v_fmac_f32_e32 v46, v48, v45
	v_fma_f32 v39, -v39, v46, v47
	s_delay_alu instid0(VALU_DEP_1) | instskip(NEXT) | instid1(VALU_DEP_1)
	v_div_fmas_f32 v39, v39, v45, v46
	v_div_fixup_f32 v39, v39, v36, v37
	s_delay_alu instid0(VALU_DEP_1) | instskip(NEXT) | instid1(VALU_DEP_1)
	v_fmac_f32_e32 v36, v37, v39
	v_div_scale_f32 v37, null, v36, v36, 1.0
	s_delay_alu instid0(VALU_DEP_1) | instskip(SKIP_1) | instid1(TRANS32_DEP_1)
	v_rcp_f32_e32 v45, v37
	v_nop
	v_fma_f32 v46, -v37, v45, 1.0
	s_delay_alu instid0(VALU_DEP_1) | instskip(SKIP_1) | instid1(VALU_DEP_1)
	v_fmac_f32_e32 v45, v46, v45
	v_div_scale_f32 v46, vcc_lo, 1.0, v36, 1.0
	v_mul_f32_e32 v47, v46, v45
	s_delay_alu instid0(VALU_DEP_1) | instskip(NEXT) | instid1(VALU_DEP_1)
	v_fma_f32 v48, -v37, v47, v46
	v_fmac_f32_e32 v47, v48, v45
	s_delay_alu instid0(VALU_DEP_1) | instskip(NEXT) | instid1(VALU_DEP_1)
	v_fma_f32 v37, -v37, v47, v46
	v_div_fmas_f32 v37, v37, v45, v47
	s_delay_alu instid0(VALU_DEP_1) | instskip(NEXT) | instid1(VALU_DEP_1)
	v_div_fixup_f32 v36, v37, v36, 1.0
	v_mul_f32_e64 v37, v39, -v36
.LBB28_93:
	s_or_b32 exec_lo, exec_lo, s1
.LBB28_94:
	s_delay_alu instid0(SALU_CYCLE_1) | instskip(NEXT) | instid1(SALU_CYCLE_1)
	s_or_b32 exec_lo, exec_lo, s0
	s_mov_b32 s0, exec_lo
	v_cmpx_ne_u32_e64 v44, v38
	s_xor_b32 s0, exec_lo, s0
	s_cbranch_execz .LBB28_100
; %bb.95:
	s_mov_b32 s1, exec_lo
	v_cmpx_eq_u32_e32 4, v44
	s_cbranch_execz .LBB28_99
; %bb.96:
	v_cmp_ne_u32_e32 vcc_lo, 4, v38
	s_xor_b32 s15, s12, -1
	s_delay_alu instid0(SALU_CYCLE_1) | instskip(NEXT) | instid1(SALU_CYCLE_1)
	s_and_b32 s16, s15, vcc_lo
	s_and_saveexec_b32 s15, s16
	s_cbranch_execz .LBB28_98
; %bb.97:
	v_ashrrev_i32_e32 v39, 31, v38
	s_delay_alu instid0(VALU_DEP_1)
	v_lshl_add_u64 v[44:45], v[38:39], 2, v[30:31]
	s_clause 0x1
	global_load_b32 v39, v[44:45], off
	global_load_b32 v42, v[30:31], off offset:16
	s_wait_loadcnt 0x1
	global_store_b32 v[30:31], v39, off offset:16
	s_wait_loadcnt 0x0
	global_store_b32 v[44:45], v42, off
.LBB28_98:
	s_wait_xcnt 0x0
	s_or_b32 exec_lo, exec_lo, s15
	v_dual_mov_b32 v44, v38 :: v_dual_mov_b32 v42, v38
.LBB28_99:
	s_or_b32 exec_lo, exec_lo, s1
.LBB28_100:
	s_and_not1_saveexec_b32 s0, s0
	s_cbranch_execz .LBB28_102
; %bb.101:
	v_mov_b32_e32 v44, 4
	ds_store_2addr_b64 v40, v[26:27], v[12:13] offset0:5 offset1:6
	ds_store_2addr_b64 v40, v[10:11], v[22:23] offset0:7 offset1:8
	;; [unrolled: 1-line block ×5, first 2 shown]
.LBB28_102:
	s_or_b32 exec_lo, exec_lo, s0
	s_delay_alu instid0(SALU_CYCLE_1)
	s_mov_b32 s0, exec_lo
	s_wait_storecnt_dscnt 0x0
	s_barrier_signal -1
	s_barrier_wait -1
	v_cmpx_lt_i32_e32 4, v44
	s_cbranch_execz .LBB28_104
; %bb.103:
	v_pk_mul_f32 v[38:39], v[36:37], v[28:29] op_sel:[1,1] op_sel_hi:[0,1]
	s_delay_alu instid0(VALU_DEP_1)
	v_pk_fma_f32 v[46:47], v[36:37], v[28:29], v[38:39] op_sel_hi:[1,0,1] neg_lo:[0,0,1] neg_hi:[0,0,1]
	v_pk_fma_f32 v[48:49], v[36:37], v[28:29], v[38:39] op_sel_hi:[1,0,1]
	ds_load_2addr_b64 v[36:39], v40 offset0:5 offset1:6
	v_dual_mov_b32 v28, v46 :: v_dual_mov_b32 v29, v49
	s_wait_dscnt 0x0
	v_pk_mul_f32 v[50:51], v[36:37], v[48:49] op_sel:[0,1]
	s_delay_alu instid0(VALU_DEP_1) | instskip(SKIP_1) | instid1(VALU_DEP_1)
	v_pk_fma_f32 v[52:53], v[36:37], v[46:47], v[50:51] op_sel:[0,0,1] op_sel_hi:[1,1,0] neg_lo:[0,0,1] neg_hi:[0,0,1]
	v_pk_fma_f32 v[36:37], v[36:37], v[46:47], v[50:51] op_sel:[0,0,1] op_sel_hi:[1,0,0]
	v_mov_b32_e32 v53, v37
	v_pk_mul_f32 v[36:37], v[38:39], v[48:49] op_sel:[0,1]
	s_delay_alu instid0(VALU_DEP_1) | instskip(SKIP_1) | instid1(VALU_DEP_1)
	v_pk_fma_f32 v[50:51], v[38:39], v[46:47], v[36:37] op_sel:[0,0,1] op_sel_hi:[1,1,0] neg_lo:[0,0,1] neg_hi:[0,0,1]
	v_pk_fma_f32 v[36:37], v[38:39], v[46:47], v[36:37] op_sel:[0,0,1] op_sel_hi:[1,0,0]
	v_mov_b32_e32 v51, v37
	ds_load_2addr_b64 v[36:39], v40 offset0:7 offset1:8
	v_pk_add_f32 v[26:27], v[26:27], v[52:53] neg_lo:[0,1] neg_hi:[0,1]
	v_pk_add_f32 v[12:13], v[12:13], v[50:51] neg_lo:[0,1] neg_hi:[0,1]
	s_wait_dscnt 0x0
	v_pk_mul_f32 v[50:51], v[36:37], v[48:49] op_sel:[0,1]
	s_delay_alu instid0(VALU_DEP_1) | instskip(SKIP_2) | instid1(VALU_DEP_2)
	v_pk_fma_f32 v[52:53], v[36:37], v[46:47], v[50:51] op_sel:[0,0,1] op_sel_hi:[1,1,0] neg_lo:[0,0,1] neg_hi:[0,0,1]
	v_pk_fma_f32 v[36:37], v[36:37], v[46:47], v[50:51] op_sel:[0,0,1] op_sel_hi:[1,0,0]
	v_dual_mul_f32 v50, v39, v49 :: v_dual_mov_b32 v36, v39
	v_dual_mov_b32 v53, v37 :: v_dual_mov_b32 v37, v38
	s_delay_alu instid0(VALU_DEP_2) | instskip(SKIP_1) | instid1(VALU_DEP_3)
	v_pk_fma_f32 v[50:51], v[38:39], v[28:29], v[50:51] op_sel_hi:[1,1,0] neg_lo:[0,0,1] neg_hi:[0,0,1]
	v_mul_f32_e32 v38, v39, v46
	v_pk_add_f32 v[10:11], v[10:11], v[52:53] neg_lo:[0,1] neg_hi:[0,1]
	s_delay_alu instid0(VALU_DEP_2) | instskip(NEXT) | instid1(VALU_DEP_1)
	v_pk_fma_f32 v[36:37], v[36:37], v[28:29], v[38:39] op_sel_hi:[1,1,0]
	v_mov_b32_e32 v51, v37
	ds_load_2addr_b64 v[36:39], v40 offset0:9 offset1:10
	v_pk_add_f32 v[22:23], v[22:23], v[50:51] neg_lo:[0,1] neg_hi:[0,1]
	s_wait_dscnt 0x0
	v_pk_mul_f32 v[50:51], v[36:37], v[48:49] op_sel:[0,1]
	s_delay_alu instid0(VALU_DEP_1) | instskip(SKIP_1) | instid1(VALU_DEP_1)
	v_pk_fma_f32 v[52:53], v[36:37], v[46:47], v[50:51] op_sel:[0,0,1] op_sel_hi:[1,1,0] neg_lo:[0,0,1] neg_hi:[0,0,1]
	v_pk_fma_f32 v[36:37], v[36:37], v[46:47], v[50:51] op_sel:[0,0,1] op_sel_hi:[1,0,0]
	v_mov_b32_e32 v53, v37
	v_pk_mul_f32 v[36:37], v[38:39], v[48:49] op_sel:[0,1]
	s_delay_alu instid0(VALU_DEP_1) | instskip(SKIP_1) | instid1(VALU_DEP_1)
	v_pk_fma_f32 v[50:51], v[38:39], v[46:47], v[36:37] op_sel:[0,0,1] op_sel_hi:[1,1,0] neg_lo:[0,0,1] neg_hi:[0,0,1]
	v_pk_fma_f32 v[36:37], v[38:39], v[46:47], v[36:37] op_sel:[0,0,1] op_sel_hi:[1,0,0]
	v_mov_b32_e32 v51, v37
	ds_load_2addr_b64 v[36:39], v40 offset0:11 offset1:12
	v_pk_add_f32 v[20:21], v[20:21], v[52:53] neg_lo:[0,1] neg_hi:[0,1]
	v_pk_add_f32 v[4:5], v[4:5], v[50:51] neg_lo:[0,1] neg_hi:[0,1]
	s_wait_dscnt 0x0
	v_pk_mul_f32 v[50:51], v[36:37], v[48:49] op_sel:[0,1]
	s_delay_alu instid0(VALU_DEP_1) | instskip(SKIP_1) | instid1(VALU_DEP_1)
	v_pk_fma_f32 v[52:53], v[36:37], v[46:47], v[50:51] op_sel:[0,0,1] op_sel_hi:[1,1,0] neg_lo:[0,0,1] neg_hi:[0,0,1]
	v_pk_fma_f32 v[36:37], v[36:37], v[46:47], v[50:51] op_sel:[0,0,1] op_sel_hi:[1,0,0]
	v_mov_b32_e32 v53, v37
	v_pk_mul_f32 v[36:37], v[38:39], v[48:49] op_sel:[0,1]
	s_delay_alu instid0(VALU_DEP_1) | instskip(SKIP_1) | instid1(VALU_DEP_1)
	v_pk_fma_f32 v[50:51], v[38:39], v[46:47], v[36:37] op_sel:[0,0,1] op_sel_hi:[1,1,0] neg_lo:[0,0,1] neg_hi:[0,0,1]
	v_pk_fma_f32 v[36:37], v[38:39], v[46:47], v[36:37] op_sel:[0,0,1] op_sel_hi:[1,0,0]
	v_mov_b32_e32 v51, v37
	ds_load_2addr_b64 v[36:39], v40 offset0:13 offset1:14
	v_pk_add_f32 v[18:19], v[18:19], v[52:53] neg_lo:[0,1] neg_hi:[0,1]
	v_pk_add_f32 v[16:17], v[16:17], v[50:51] neg_lo:[0,1] neg_hi:[0,1]
	s_wait_dscnt 0x0
	v_dual_mul_f32 v50, v37, v49 :: v_dual_mul_f32 v52, v37, v46
	s_delay_alu instid0(VALU_DEP_1) | instskip(NEXT) | instid1(VALU_DEP_2)
	v_pk_fma_f32 v[50:51], v[36:37], v[28:29], v[50:51] op_sel_hi:[1,1,0] neg_lo:[0,0,1] neg_hi:[0,0,1]
	v_pk_fma_f32 v[36:37], v[36:37], v[28:29], v[52:53] op_sel:[1,0,0] op_sel_hi:[0,1,0]
	s_delay_alu instid0(VALU_DEP_1) | instskip(SKIP_1) | instid1(VALU_DEP_1)
	v_mov_b32_e32 v51, v37
	v_pk_mul_f32 v[36:37], v[38:39], v[48:49] op_sel:[0,1]
	v_pk_fma_f32 v[48:49], v[38:39], v[46:47], v[36:37] op_sel:[0,0,1] op_sel_hi:[1,1,0] neg_lo:[0,0,1] neg_hi:[0,0,1]
	v_pk_fma_f32 v[36:37], v[38:39], v[46:47], v[36:37] op_sel:[0,0,1] op_sel_hi:[1,0,0]
	s_delay_alu instid0(VALU_DEP_1) | instskip(SKIP_1) | instid1(VALU_DEP_2)
	v_mov_b32_e32 v49, v37
	v_pk_add_f32 v[14:15], v[14:15], v[50:51] neg_lo:[0,1] neg_hi:[0,1]
	v_pk_add_f32 v[34:35], v[34:35], v[48:49] neg_lo:[0,1] neg_hi:[0,1]
.LBB28_104:
	s_or_b32 exec_lo, exec_lo, s0
	v_lshl_add_u32 v36, v44, 3, v40
	s_barrier_signal -1
	s_barrier_wait -1
	ds_store_b64 v36, v[26:27]
	s_wait_dscnt 0x0
	s_barrier_signal -1
	s_barrier_wait -1
	ds_load_b64 v[36:37], v40 offset:40
	v_mov_b32_e32 v38, 5
	s_cmp_lt_i32 s14, 7
	s_cbranch_scc1 .LBB28_107
; %bb.105:
	v_add3_u32 v39, v41, 0, 48
	v_mov_b32_e32 v38, 5
	s_mov_b32 s0, 6
.LBB28_106:                             ; =>This Inner Loop Header: Depth=1
	ds_load_b64 v[46:47], v39
	s_wait_dscnt 0x1
	v_cmp_gt_f32_e32 vcc_lo, 0, v36
	v_cndmask_b32_e64 v48, v36, -v36, vcc_lo
	v_cmp_gt_f32_e32 vcc_lo, 0, v37
	v_cndmask_b32_e64 v50, v37, -v37, vcc_lo
	s_wait_dscnt 0x0
	v_cmp_gt_f32_e32 vcc_lo, 0, v46
	v_cndmask_b32_e64 v49, v46, -v46, vcc_lo
	v_cmp_gt_f32_e32 vcc_lo, 0, v47
	v_cndmask_b32_e64 v51, v47, -v47, vcc_lo
	s_delay_alu instid0(VALU_DEP_1) | instskip(NEXT) | instid1(VALU_DEP_1)
	v_pk_add_f32 v[48:49], v[48:49], v[50:51]
	v_cmp_lt_f32_e32 vcc_lo, v48, v49
	v_dual_cndmask_b32 v36, v36, v46 :: v_dual_add_nc_u32 v39, 8, v39
	v_cndmask_b32_e32 v37, v37, v47, vcc_lo
	v_cndmask_b32_e64 v38, v38, s0, vcc_lo
	s_add_co_i32 s0, s0, 1
	s_delay_alu instid0(SALU_CYCLE_1)
	s_cmp_lg_u32 s14, s0
	s_cbranch_scc1 .LBB28_106
.LBB28_107:
	s_wait_dscnt 0x0
	v_cmp_eq_f32_e32 vcc_lo, 0, v36
	v_cmp_eq_f32_e64 s0, 0, v37
	s_and_b32 s0, vcc_lo, s0
	s_delay_alu instid0(SALU_CYCLE_1) | instskip(NEXT) | instid1(SALU_CYCLE_1)
	s_and_saveexec_b32 s1, s0
	s_xor_b32 s0, exec_lo, s1
; %bb.108:
	v_cmp_ne_u32_e32 vcc_lo, 0, v43
	v_cndmask_b32_e32 v43, 6, v43, vcc_lo
; %bb.109:
	s_and_not1_saveexec_b32 s0, s0
	s_cbranch_execz .LBB28_115
; %bb.110:
	v_cmp_ngt_f32_e64 s1, |v36|, |v37|
	s_and_saveexec_b32 s15, s1
	s_delay_alu instid0(SALU_CYCLE_1)
	s_xor_b32 s1, exec_lo, s15
	s_cbranch_execz .LBB28_112
; %bb.111:
	v_div_scale_f32 v39, null, v37, v37, v36
	v_div_scale_f32 v47, vcc_lo, v36, v37, v36
	s_delay_alu instid0(VALU_DEP_2) | instskip(SKIP_1) | instid1(TRANS32_DEP_1)
	v_rcp_f32_e32 v45, v39
	v_nop
	v_fma_f32 v46, -v39, v45, 1.0
	s_delay_alu instid0(VALU_DEP_1) | instskip(NEXT) | instid1(VALU_DEP_1)
	v_fmac_f32_e32 v45, v46, v45
	v_mul_f32_e32 v46, v47, v45
	s_delay_alu instid0(VALU_DEP_1) | instskip(NEXT) | instid1(VALU_DEP_1)
	v_fma_f32 v48, -v39, v46, v47
	v_fmac_f32_e32 v46, v48, v45
	s_delay_alu instid0(VALU_DEP_1) | instskip(NEXT) | instid1(VALU_DEP_1)
	v_fma_f32 v39, -v39, v46, v47
	v_div_fmas_f32 v39, v39, v45, v46
	s_delay_alu instid0(VALU_DEP_1) | instskip(NEXT) | instid1(VALU_DEP_1)
	v_div_fixup_f32 v39, v39, v37, v36
	v_fmac_f32_e32 v37, v36, v39
	s_delay_alu instid0(VALU_DEP_1) | instskip(SKIP_1) | instid1(VALU_DEP_2)
	v_div_scale_f32 v36, null, v37, v37, 1.0
	v_div_scale_f32 v47, vcc_lo, 1.0, v37, 1.0
	v_rcp_f32_e32 v45, v36
	v_nop
	s_delay_alu instid0(TRANS32_DEP_1) | instskip(NEXT) | instid1(VALU_DEP_1)
	v_fma_f32 v46, -v36, v45, 1.0
	v_fmac_f32_e32 v45, v46, v45
	s_delay_alu instid0(VALU_DEP_1) | instskip(NEXT) | instid1(VALU_DEP_1)
	v_mul_f32_e32 v46, v47, v45
	v_fma_f32 v48, -v36, v46, v47
	s_delay_alu instid0(VALU_DEP_1) | instskip(NEXT) | instid1(VALU_DEP_1)
	v_fmac_f32_e32 v46, v48, v45
	v_fma_f32 v36, -v36, v46, v47
	s_delay_alu instid0(VALU_DEP_1) | instskip(NEXT) | instid1(VALU_DEP_1)
	v_div_fmas_f32 v36, v36, v45, v46
	v_div_fixup_f32 v37, v36, v37, 1.0
	s_delay_alu instid0(VALU_DEP_1)
	v_mul_f32_e32 v36, v39, v37
	v_xor_b32_e32 v37, 0x80000000, v37
.LBB28_112:
	s_and_not1_saveexec_b32 s1, s1
	s_cbranch_execz .LBB28_114
; %bb.113:
	s_delay_alu instid0(VALU_DEP_1) | instskip(SKIP_1) | instid1(VALU_DEP_2)
	v_div_scale_f32 v39, null, v36, v36, v37
	v_div_scale_f32 v47, vcc_lo, v37, v36, v37
	v_rcp_f32_e32 v45, v39
	v_nop
	s_delay_alu instid0(TRANS32_DEP_1) | instskip(NEXT) | instid1(VALU_DEP_1)
	v_fma_f32 v46, -v39, v45, 1.0
	v_fmac_f32_e32 v45, v46, v45
	s_delay_alu instid0(VALU_DEP_1) | instskip(NEXT) | instid1(VALU_DEP_1)
	v_mul_f32_e32 v46, v47, v45
	v_fma_f32 v48, -v39, v46, v47
	s_delay_alu instid0(VALU_DEP_1) | instskip(NEXT) | instid1(VALU_DEP_1)
	v_fmac_f32_e32 v46, v48, v45
	v_fma_f32 v39, -v39, v46, v47
	s_delay_alu instid0(VALU_DEP_1) | instskip(NEXT) | instid1(VALU_DEP_1)
	v_div_fmas_f32 v39, v39, v45, v46
	v_div_fixup_f32 v39, v39, v36, v37
	s_delay_alu instid0(VALU_DEP_1) | instskip(NEXT) | instid1(VALU_DEP_1)
	v_fmac_f32_e32 v36, v37, v39
	v_div_scale_f32 v37, null, v36, v36, 1.0
	s_delay_alu instid0(VALU_DEP_1) | instskip(SKIP_1) | instid1(TRANS32_DEP_1)
	v_rcp_f32_e32 v45, v37
	v_nop
	v_fma_f32 v46, -v37, v45, 1.0
	s_delay_alu instid0(VALU_DEP_1) | instskip(SKIP_1) | instid1(VALU_DEP_1)
	v_fmac_f32_e32 v45, v46, v45
	v_div_scale_f32 v46, vcc_lo, 1.0, v36, 1.0
	v_mul_f32_e32 v47, v46, v45
	s_delay_alu instid0(VALU_DEP_1) | instskip(NEXT) | instid1(VALU_DEP_1)
	v_fma_f32 v48, -v37, v47, v46
	v_fmac_f32_e32 v47, v48, v45
	s_delay_alu instid0(VALU_DEP_1) | instskip(NEXT) | instid1(VALU_DEP_1)
	v_fma_f32 v37, -v37, v47, v46
	v_div_fmas_f32 v37, v37, v45, v47
	s_delay_alu instid0(VALU_DEP_1) | instskip(NEXT) | instid1(VALU_DEP_1)
	v_div_fixup_f32 v36, v37, v36, 1.0
	v_mul_f32_e64 v37, v39, -v36
.LBB28_114:
	s_or_b32 exec_lo, exec_lo, s1
.LBB28_115:
	s_delay_alu instid0(SALU_CYCLE_1) | instskip(NEXT) | instid1(SALU_CYCLE_1)
	s_or_b32 exec_lo, exec_lo, s0
	s_mov_b32 s0, exec_lo
	v_cmpx_ne_u32_e64 v44, v38
	s_xor_b32 s0, exec_lo, s0
	s_cbranch_execz .LBB28_121
; %bb.116:
	s_mov_b32 s1, exec_lo
	v_cmpx_eq_u32_e32 5, v44
	s_cbranch_execz .LBB28_120
; %bb.117:
	v_cmp_ne_u32_e32 vcc_lo, 5, v38
	s_xor_b32 s15, s12, -1
	s_delay_alu instid0(SALU_CYCLE_1) | instskip(NEXT) | instid1(SALU_CYCLE_1)
	s_and_b32 s16, s15, vcc_lo
	s_and_saveexec_b32 s15, s16
	s_cbranch_execz .LBB28_119
; %bb.118:
	v_ashrrev_i32_e32 v39, 31, v38
	s_delay_alu instid0(VALU_DEP_1)
	v_lshl_add_u64 v[44:45], v[38:39], 2, v[30:31]
	s_clause 0x1
	global_load_b32 v39, v[44:45], off
	global_load_b32 v42, v[30:31], off offset:20
	s_wait_loadcnt 0x1
	global_store_b32 v[30:31], v39, off offset:20
	s_wait_loadcnt 0x0
	global_store_b32 v[44:45], v42, off
.LBB28_119:
	s_wait_xcnt 0x0
	s_or_b32 exec_lo, exec_lo, s15
	v_dual_mov_b32 v44, v38 :: v_dual_mov_b32 v42, v38
.LBB28_120:
	s_or_b32 exec_lo, exec_lo, s1
.LBB28_121:
	s_and_not1_saveexec_b32 s0, s0
	s_cbranch_execz .LBB28_123
; %bb.122:
	v_dual_mov_b32 v38, v12 :: v_dual_mov_b32 v39, v13
	v_dual_mov_b32 v46, v10 :: v_dual_mov_b32 v47, v11
	;; [unrolled: 1-line block ×8, first 2 shown]
	v_mov_b32_e32 v59, v15
	ds_store_2addr_b64 v40, v[38:39], v[46:47] offset0:6 offset1:7
	ds_store_2addr_b64 v40, v[48:49], v[50:51] offset0:8 offset1:9
	;; [unrolled: 1-line block ×4, first 2 shown]
	ds_store_b64 v40, v[34:35] offset:112
.LBB28_123:
	s_or_b32 exec_lo, exec_lo, s0
	s_delay_alu instid0(SALU_CYCLE_1)
	s_mov_b32 s0, exec_lo
	s_wait_storecnt_dscnt 0x0
	s_barrier_signal -1
	s_barrier_wait -1
	v_cmpx_lt_i32_e32 5, v44
	s_cbranch_execz .LBB28_125
; %bb.124:
	v_pk_mul_f32 v[38:39], v[36:37], v[26:27] op_sel:[1,1] op_sel_hi:[0,1]
	s_delay_alu instid0(VALU_DEP_1)
	v_pk_fma_f32 v[46:47], v[36:37], v[26:27], v[38:39] op_sel_hi:[1,0,1] neg_lo:[0,0,1] neg_hi:[0,0,1]
	v_pk_fma_f32 v[48:49], v[36:37], v[26:27], v[38:39] op_sel_hi:[1,0,1]
	ds_load_2addr_b64 v[36:39], v40 offset0:6 offset1:7
	v_dual_mov_b32 v26, v46 :: v_dual_mov_b32 v27, v49
	s_wait_dscnt 0x0
	v_pk_mul_f32 v[50:51], v[36:37], v[48:49] op_sel:[0,1]
	s_delay_alu instid0(VALU_DEP_1) | instskip(SKIP_1) | instid1(VALU_DEP_1)
	v_pk_fma_f32 v[52:53], v[36:37], v[46:47], v[50:51] op_sel:[0,0,1] op_sel_hi:[1,1,0] neg_lo:[0,0,1] neg_hi:[0,0,1]
	v_pk_fma_f32 v[36:37], v[36:37], v[46:47], v[50:51] op_sel:[0,0,1] op_sel_hi:[1,0,0]
	v_mov_b32_e32 v53, v37
	v_pk_mul_f32 v[36:37], v[38:39], v[48:49] op_sel:[0,1]
	s_delay_alu instid0(VALU_DEP_1) | instskip(SKIP_1) | instid1(VALU_DEP_1)
	v_pk_fma_f32 v[50:51], v[38:39], v[46:47], v[36:37] op_sel:[0,0,1] op_sel_hi:[1,1,0] neg_lo:[0,0,1] neg_hi:[0,0,1]
	v_pk_fma_f32 v[36:37], v[38:39], v[46:47], v[36:37] op_sel:[0,0,1] op_sel_hi:[1,0,0]
	v_mov_b32_e32 v51, v37
	ds_load_2addr_b64 v[36:39], v40 offset0:8 offset1:9
	v_pk_add_f32 v[12:13], v[12:13], v[52:53] neg_lo:[0,1] neg_hi:[0,1]
	v_pk_add_f32 v[10:11], v[10:11], v[50:51] neg_lo:[0,1] neg_hi:[0,1]
	s_wait_dscnt 0x0
	v_pk_mul_f32 v[50:51], v[36:37], v[48:49] op_sel:[0,1]
	s_delay_alu instid0(VALU_DEP_1) | instskip(SKIP_2) | instid1(VALU_DEP_2)
	v_pk_fma_f32 v[52:53], v[36:37], v[46:47], v[50:51] op_sel:[0,0,1] op_sel_hi:[1,1,0] neg_lo:[0,0,1] neg_hi:[0,0,1]
	v_pk_fma_f32 v[36:37], v[36:37], v[46:47], v[50:51] op_sel:[0,0,1] op_sel_hi:[1,0,0]
	v_dual_mul_f32 v50, v39, v49 :: v_dual_mov_b32 v36, v39
	v_dual_mov_b32 v53, v37 :: v_dual_mov_b32 v37, v38
	s_delay_alu instid0(VALU_DEP_2) | instskip(SKIP_1) | instid1(VALU_DEP_3)
	v_pk_fma_f32 v[50:51], v[38:39], v[26:27], v[50:51] op_sel_hi:[1,1,0] neg_lo:[0,0,1] neg_hi:[0,0,1]
	v_mul_f32_e32 v38, v39, v46
	v_pk_add_f32 v[22:23], v[22:23], v[52:53] neg_lo:[0,1] neg_hi:[0,1]
	s_delay_alu instid0(VALU_DEP_2) | instskip(NEXT) | instid1(VALU_DEP_1)
	v_pk_fma_f32 v[36:37], v[36:37], v[26:27], v[38:39] op_sel_hi:[1,1,0]
	v_mov_b32_e32 v51, v37
	ds_load_2addr_b64 v[36:39], v40 offset0:10 offset1:11
	v_pk_add_f32 v[20:21], v[20:21], v[50:51] neg_lo:[0,1] neg_hi:[0,1]
	s_wait_dscnt 0x0
	v_pk_mul_f32 v[50:51], v[36:37], v[48:49] op_sel:[0,1]
	s_delay_alu instid0(VALU_DEP_1) | instskip(SKIP_1) | instid1(VALU_DEP_1)
	v_pk_fma_f32 v[52:53], v[36:37], v[46:47], v[50:51] op_sel:[0,0,1] op_sel_hi:[1,1,0] neg_lo:[0,0,1] neg_hi:[0,0,1]
	v_pk_fma_f32 v[36:37], v[36:37], v[46:47], v[50:51] op_sel:[0,0,1] op_sel_hi:[1,0,0]
	v_mov_b32_e32 v53, v37
	v_pk_mul_f32 v[36:37], v[38:39], v[48:49] op_sel:[0,1]
	s_delay_alu instid0(VALU_DEP_1) | instskip(SKIP_1) | instid1(VALU_DEP_1)
	v_pk_fma_f32 v[50:51], v[38:39], v[46:47], v[36:37] op_sel:[0,0,1] op_sel_hi:[1,1,0] neg_lo:[0,0,1] neg_hi:[0,0,1]
	v_pk_fma_f32 v[36:37], v[38:39], v[46:47], v[36:37] op_sel:[0,0,1] op_sel_hi:[1,0,0]
	v_mov_b32_e32 v51, v37
	ds_load_2addr_b64 v[36:39], v40 offset0:12 offset1:13
	v_pk_add_f32 v[4:5], v[4:5], v[52:53] neg_lo:[0,1] neg_hi:[0,1]
	v_pk_add_f32 v[18:19], v[18:19], v[50:51] neg_lo:[0,1] neg_hi:[0,1]
	s_wait_dscnt 0x0
	v_pk_mul_f32 v[50:51], v[36:37], v[48:49] op_sel:[0,1]
	s_delay_alu instid0(VALU_DEP_1) | instskip(SKIP_1) | instid1(VALU_DEP_1)
	v_pk_fma_f32 v[52:53], v[36:37], v[46:47], v[50:51] op_sel:[0,0,1] op_sel_hi:[1,1,0] neg_lo:[0,0,1] neg_hi:[0,0,1]
	v_pk_fma_f32 v[36:37], v[36:37], v[46:47], v[50:51] op_sel:[0,0,1] op_sel_hi:[1,0,0]
	v_mov_b32_e32 v53, v37
	v_pk_mul_f32 v[36:37], v[38:39], v[48:49] op_sel:[0,1]
	s_delay_alu instid0(VALU_DEP_1) | instskip(SKIP_1) | instid1(VALU_DEP_1)
	v_pk_fma_f32 v[50:51], v[38:39], v[46:47], v[36:37] op_sel:[0,0,1] op_sel_hi:[1,1,0] neg_lo:[0,0,1] neg_hi:[0,0,1]
	v_pk_fma_f32 v[36:37], v[38:39], v[46:47], v[36:37] op_sel:[0,0,1] op_sel_hi:[1,0,0]
	v_mov_b32_e32 v51, v37
	ds_load_b64 v[36:37], v40 offset:112
	v_pk_add_f32 v[16:17], v[16:17], v[52:53] neg_lo:[0,1] neg_hi:[0,1]
	v_pk_add_f32 v[14:15], v[14:15], v[50:51] neg_lo:[0,1] neg_hi:[0,1]
	s_wait_dscnt 0x0
	v_pk_mul_f32 v[38:39], v[36:37], v[48:49] op_sel:[0,1]
	s_delay_alu instid0(VALU_DEP_1) | instskip(SKIP_1) | instid1(VALU_DEP_1)
	v_pk_fma_f32 v[48:49], v[36:37], v[46:47], v[38:39] op_sel:[0,0,1] op_sel_hi:[1,1,0] neg_lo:[0,0,1] neg_hi:[0,0,1]
	v_pk_fma_f32 v[36:37], v[36:37], v[46:47], v[38:39] op_sel:[0,0,1] op_sel_hi:[1,0,0]
	v_mov_b32_e32 v49, v37
	s_delay_alu instid0(VALU_DEP_1)
	v_pk_add_f32 v[34:35], v[34:35], v[48:49] neg_lo:[0,1] neg_hi:[0,1]
.LBB28_125:
	s_or_b32 exec_lo, exec_lo, s0
	v_lshl_add_u32 v36, v44, 3, v40
	s_barrier_signal -1
	s_barrier_wait -1
	ds_store_b64 v36, v[12:13]
	s_wait_dscnt 0x0
	s_barrier_signal -1
	s_barrier_wait -1
	ds_load_b64 v[36:37], v40 offset:48
	v_mov_b32_e32 v38, 6
	s_cmp_lt_i32 s14, 8
	s_cbranch_scc1 .LBB28_128
; %bb.126:
	v_add3_u32 v39, v41, 0, 56
	v_mov_b32_e32 v38, 6
	s_mov_b32 s0, 7
.LBB28_127:                             ; =>This Inner Loop Header: Depth=1
	ds_load_b64 v[46:47], v39
	s_wait_dscnt 0x1
	v_cmp_gt_f32_e32 vcc_lo, 0, v36
	v_cndmask_b32_e64 v48, v36, -v36, vcc_lo
	v_cmp_gt_f32_e32 vcc_lo, 0, v37
	v_cndmask_b32_e64 v50, v37, -v37, vcc_lo
	s_wait_dscnt 0x0
	v_cmp_gt_f32_e32 vcc_lo, 0, v46
	v_cndmask_b32_e64 v49, v46, -v46, vcc_lo
	v_cmp_gt_f32_e32 vcc_lo, 0, v47
	v_cndmask_b32_e64 v51, v47, -v47, vcc_lo
	s_delay_alu instid0(VALU_DEP_1) | instskip(NEXT) | instid1(VALU_DEP_1)
	v_pk_add_f32 v[48:49], v[48:49], v[50:51]
	v_cmp_lt_f32_e32 vcc_lo, v48, v49
	v_dual_cndmask_b32 v36, v36, v46 :: v_dual_add_nc_u32 v39, 8, v39
	v_cndmask_b32_e32 v37, v37, v47, vcc_lo
	v_cndmask_b32_e64 v38, v38, s0, vcc_lo
	s_add_co_i32 s0, s0, 1
	s_delay_alu instid0(SALU_CYCLE_1)
	s_cmp_lg_u32 s14, s0
	s_cbranch_scc1 .LBB28_127
.LBB28_128:
	s_wait_dscnt 0x0
	v_cmp_eq_f32_e32 vcc_lo, 0, v36
	v_cmp_eq_f32_e64 s0, 0, v37
	s_and_b32 s0, vcc_lo, s0
	s_delay_alu instid0(SALU_CYCLE_1) | instskip(NEXT) | instid1(SALU_CYCLE_1)
	s_and_saveexec_b32 s1, s0
	s_xor_b32 s0, exec_lo, s1
; %bb.129:
	v_cmp_ne_u32_e32 vcc_lo, 0, v43
	v_cndmask_b32_e32 v43, 7, v43, vcc_lo
; %bb.130:
	s_and_not1_saveexec_b32 s0, s0
	s_cbranch_execz .LBB28_136
; %bb.131:
	v_cmp_ngt_f32_e64 s1, |v36|, |v37|
	s_and_saveexec_b32 s15, s1
	s_delay_alu instid0(SALU_CYCLE_1)
	s_xor_b32 s1, exec_lo, s15
	s_cbranch_execz .LBB28_133
; %bb.132:
	v_div_scale_f32 v39, null, v37, v37, v36
	v_div_scale_f32 v47, vcc_lo, v36, v37, v36
	s_delay_alu instid0(VALU_DEP_2) | instskip(SKIP_1) | instid1(TRANS32_DEP_1)
	v_rcp_f32_e32 v45, v39
	v_nop
	v_fma_f32 v46, -v39, v45, 1.0
	s_delay_alu instid0(VALU_DEP_1) | instskip(NEXT) | instid1(VALU_DEP_1)
	v_fmac_f32_e32 v45, v46, v45
	v_mul_f32_e32 v46, v47, v45
	s_delay_alu instid0(VALU_DEP_1) | instskip(NEXT) | instid1(VALU_DEP_1)
	v_fma_f32 v48, -v39, v46, v47
	v_fmac_f32_e32 v46, v48, v45
	s_delay_alu instid0(VALU_DEP_1) | instskip(NEXT) | instid1(VALU_DEP_1)
	v_fma_f32 v39, -v39, v46, v47
	v_div_fmas_f32 v39, v39, v45, v46
	s_delay_alu instid0(VALU_DEP_1) | instskip(NEXT) | instid1(VALU_DEP_1)
	v_div_fixup_f32 v39, v39, v37, v36
	v_fmac_f32_e32 v37, v36, v39
	s_delay_alu instid0(VALU_DEP_1) | instskip(SKIP_1) | instid1(VALU_DEP_2)
	v_div_scale_f32 v36, null, v37, v37, 1.0
	v_div_scale_f32 v47, vcc_lo, 1.0, v37, 1.0
	v_rcp_f32_e32 v45, v36
	v_nop
	s_delay_alu instid0(TRANS32_DEP_1) | instskip(NEXT) | instid1(VALU_DEP_1)
	v_fma_f32 v46, -v36, v45, 1.0
	v_fmac_f32_e32 v45, v46, v45
	s_delay_alu instid0(VALU_DEP_1) | instskip(NEXT) | instid1(VALU_DEP_1)
	v_mul_f32_e32 v46, v47, v45
	v_fma_f32 v48, -v36, v46, v47
	s_delay_alu instid0(VALU_DEP_1) | instskip(NEXT) | instid1(VALU_DEP_1)
	v_fmac_f32_e32 v46, v48, v45
	v_fma_f32 v36, -v36, v46, v47
	s_delay_alu instid0(VALU_DEP_1) | instskip(NEXT) | instid1(VALU_DEP_1)
	v_div_fmas_f32 v36, v36, v45, v46
	v_div_fixup_f32 v37, v36, v37, 1.0
	s_delay_alu instid0(VALU_DEP_1)
	v_mul_f32_e32 v36, v39, v37
	v_xor_b32_e32 v37, 0x80000000, v37
.LBB28_133:
	s_and_not1_saveexec_b32 s1, s1
	s_cbranch_execz .LBB28_135
; %bb.134:
	s_delay_alu instid0(VALU_DEP_1) | instskip(SKIP_1) | instid1(VALU_DEP_2)
	v_div_scale_f32 v39, null, v36, v36, v37
	v_div_scale_f32 v47, vcc_lo, v37, v36, v37
	v_rcp_f32_e32 v45, v39
	v_nop
	s_delay_alu instid0(TRANS32_DEP_1) | instskip(NEXT) | instid1(VALU_DEP_1)
	v_fma_f32 v46, -v39, v45, 1.0
	v_fmac_f32_e32 v45, v46, v45
	s_delay_alu instid0(VALU_DEP_1) | instskip(NEXT) | instid1(VALU_DEP_1)
	v_mul_f32_e32 v46, v47, v45
	v_fma_f32 v48, -v39, v46, v47
	s_delay_alu instid0(VALU_DEP_1) | instskip(NEXT) | instid1(VALU_DEP_1)
	v_fmac_f32_e32 v46, v48, v45
	v_fma_f32 v39, -v39, v46, v47
	s_delay_alu instid0(VALU_DEP_1) | instskip(NEXT) | instid1(VALU_DEP_1)
	v_div_fmas_f32 v39, v39, v45, v46
	v_div_fixup_f32 v39, v39, v36, v37
	s_delay_alu instid0(VALU_DEP_1) | instskip(NEXT) | instid1(VALU_DEP_1)
	v_fmac_f32_e32 v36, v37, v39
	v_div_scale_f32 v37, null, v36, v36, 1.0
	s_delay_alu instid0(VALU_DEP_1) | instskip(SKIP_1) | instid1(TRANS32_DEP_1)
	v_rcp_f32_e32 v45, v37
	v_nop
	v_fma_f32 v46, -v37, v45, 1.0
	s_delay_alu instid0(VALU_DEP_1) | instskip(SKIP_1) | instid1(VALU_DEP_1)
	v_fmac_f32_e32 v45, v46, v45
	v_div_scale_f32 v46, vcc_lo, 1.0, v36, 1.0
	v_mul_f32_e32 v47, v46, v45
	s_delay_alu instid0(VALU_DEP_1) | instskip(NEXT) | instid1(VALU_DEP_1)
	v_fma_f32 v48, -v37, v47, v46
	v_fmac_f32_e32 v47, v48, v45
	s_delay_alu instid0(VALU_DEP_1) | instskip(NEXT) | instid1(VALU_DEP_1)
	v_fma_f32 v37, -v37, v47, v46
	v_div_fmas_f32 v37, v37, v45, v47
	s_delay_alu instid0(VALU_DEP_1) | instskip(NEXT) | instid1(VALU_DEP_1)
	v_div_fixup_f32 v36, v37, v36, 1.0
	v_mul_f32_e64 v37, v39, -v36
.LBB28_135:
	s_or_b32 exec_lo, exec_lo, s1
.LBB28_136:
	s_delay_alu instid0(SALU_CYCLE_1) | instskip(NEXT) | instid1(SALU_CYCLE_1)
	s_or_b32 exec_lo, exec_lo, s0
	s_mov_b32 s0, exec_lo
	v_cmpx_ne_u32_e64 v44, v38
	s_xor_b32 s0, exec_lo, s0
	s_cbranch_execz .LBB28_142
; %bb.137:
	s_mov_b32 s1, exec_lo
	v_cmpx_eq_u32_e32 6, v44
	s_cbranch_execz .LBB28_141
; %bb.138:
	v_cmp_ne_u32_e32 vcc_lo, 6, v38
	s_xor_b32 s15, s12, -1
	s_delay_alu instid0(SALU_CYCLE_1) | instskip(NEXT) | instid1(SALU_CYCLE_1)
	s_and_b32 s16, s15, vcc_lo
	s_and_saveexec_b32 s15, s16
	s_cbranch_execz .LBB28_140
; %bb.139:
	v_ashrrev_i32_e32 v39, 31, v38
	s_delay_alu instid0(VALU_DEP_1)
	v_lshl_add_u64 v[44:45], v[38:39], 2, v[30:31]
	s_clause 0x1
	global_load_b32 v39, v[44:45], off
	global_load_b32 v42, v[30:31], off offset:24
	s_wait_loadcnt 0x1
	global_store_b32 v[30:31], v39, off offset:24
	s_wait_loadcnt 0x0
	global_store_b32 v[44:45], v42, off
.LBB28_140:
	s_wait_xcnt 0x0
	s_or_b32 exec_lo, exec_lo, s15
	v_dual_mov_b32 v44, v38 :: v_dual_mov_b32 v42, v38
.LBB28_141:
	s_or_b32 exec_lo, exec_lo, s1
.LBB28_142:
	s_and_not1_saveexec_b32 s0, s0
	s_cbranch_execz .LBB28_144
; %bb.143:
	v_mov_b32_e32 v44, 6
	ds_store_2addr_b64 v40, v[10:11], v[22:23] offset0:7 offset1:8
	ds_store_2addr_b64 v40, v[20:21], v[4:5] offset0:9 offset1:10
	;; [unrolled: 1-line block ×4, first 2 shown]
.LBB28_144:
	s_or_b32 exec_lo, exec_lo, s0
	s_delay_alu instid0(SALU_CYCLE_1)
	s_mov_b32 s0, exec_lo
	s_wait_storecnt_dscnt 0x0
	s_barrier_signal -1
	s_barrier_wait -1
	v_cmpx_lt_i32_e32 6, v44
	s_cbranch_execz .LBB28_146
; %bb.145:
	v_pk_mul_f32 v[38:39], v[36:37], v[12:13] op_sel:[1,1] op_sel_hi:[0,1]
	s_delay_alu instid0(VALU_DEP_1)
	v_pk_fma_f32 v[46:47], v[36:37], v[12:13], v[38:39] op_sel_hi:[1,0,1] neg_lo:[0,0,1] neg_hi:[0,0,1]
	v_pk_fma_f32 v[48:49], v[36:37], v[12:13], v[38:39] op_sel_hi:[1,0,1]
	ds_load_2addr_b64 v[36:39], v40 offset0:7 offset1:8
	v_dual_mov_b32 v12, v46 :: v_dual_mov_b32 v13, v49
	s_wait_dscnt 0x0
	v_pk_mul_f32 v[50:51], v[36:37], v[48:49] op_sel:[0,1]
	s_delay_alu instid0(VALU_DEP_1) | instskip(SKIP_1) | instid1(VALU_DEP_1)
	v_pk_fma_f32 v[52:53], v[36:37], v[46:47], v[50:51] op_sel:[0,0,1] op_sel_hi:[1,1,0] neg_lo:[0,0,1] neg_hi:[0,0,1]
	v_pk_fma_f32 v[36:37], v[36:37], v[46:47], v[50:51] op_sel:[0,0,1] op_sel_hi:[1,0,0]
	v_mov_b32_e32 v53, v37
	v_pk_mul_f32 v[36:37], v[38:39], v[48:49] op_sel:[0,1]
	s_delay_alu instid0(VALU_DEP_1) | instskip(SKIP_1) | instid1(VALU_DEP_1)
	v_pk_fma_f32 v[50:51], v[38:39], v[46:47], v[36:37] op_sel:[0,0,1] op_sel_hi:[1,1,0] neg_lo:[0,0,1] neg_hi:[0,0,1]
	v_pk_fma_f32 v[36:37], v[38:39], v[46:47], v[36:37] op_sel:[0,0,1] op_sel_hi:[1,0,0]
	v_mov_b32_e32 v51, v37
	ds_load_2addr_b64 v[36:39], v40 offset0:9 offset1:10
	v_pk_add_f32 v[10:11], v[10:11], v[52:53] neg_lo:[0,1] neg_hi:[0,1]
	v_pk_add_f32 v[22:23], v[22:23], v[50:51] neg_lo:[0,1] neg_hi:[0,1]
	s_wait_dscnt 0x0
	v_pk_mul_f32 v[50:51], v[36:37], v[48:49] op_sel:[0,1]
	s_delay_alu instid0(VALU_DEP_1) | instskip(SKIP_2) | instid1(VALU_DEP_2)
	v_pk_fma_f32 v[52:53], v[36:37], v[46:47], v[50:51] op_sel:[0,0,1] op_sel_hi:[1,1,0] neg_lo:[0,0,1] neg_hi:[0,0,1]
	v_pk_fma_f32 v[36:37], v[36:37], v[46:47], v[50:51] op_sel:[0,0,1] op_sel_hi:[1,0,0]
	v_dual_mul_f32 v50, v39, v49 :: v_dual_mov_b32 v36, v39
	v_dual_mov_b32 v53, v37 :: v_dual_mov_b32 v37, v38
	s_delay_alu instid0(VALU_DEP_2) | instskip(SKIP_1) | instid1(VALU_DEP_3)
	v_pk_fma_f32 v[50:51], v[38:39], v[12:13], v[50:51] op_sel_hi:[1,1,0] neg_lo:[0,0,1] neg_hi:[0,0,1]
	v_mul_f32_e32 v38, v39, v46
	v_pk_add_f32 v[20:21], v[20:21], v[52:53] neg_lo:[0,1] neg_hi:[0,1]
	s_delay_alu instid0(VALU_DEP_2) | instskip(NEXT) | instid1(VALU_DEP_1)
	v_pk_fma_f32 v[36:37], v[36:37], v[12:13], v[38:39] op_sel_hi:[1,1,0]
	v_mov_b32_e32 v51, v37
	ds_load_2addr_b64 v[36:39], v40 offset0:11 offset1:12
	v_pk_add_f32 v[4:5], v[4:5], v[50:51] neg_lo:[0,1] neg_hi:[0,1]
	s_wait_dscnt 0x0
	v_pk_mul_f32 v[50:51], v[36:37], v[48:49] op_sel:[0,1]
	s_delay_alu instid0(VALU_DEP_1) | instskip(SKIP_1) | instid1(VALU_DEP_1)
	v_pk_fma_f32 v[52:53], v[36:37], v[46:47], v[50:51] op_sel:[0,0,1] op_sel_hi:[1,1,0] neg_lo:[0,0,1] neg_hi:[0,0,1]
	v_pk_fma_f32 v[36:37], v[36:37], v[46:47], v[50:51] op_sel:[0,0,1] op_sel_hi:[1,0,0]
	v_mov_b32_e32 v53, v37
	v_pk_mul_f32 v[36:37], v[38:39], v[48:49] op_sel:[0,1]
	s_delay_alu instid0(VALU_DEP_1) | instskip(SKIP_1) | instid1(VALU_DEP_1)
	v_pk_fma_f32 v[50:51], v[38:39], v[46:47], v[36:37] op_sel:[0,0,1] op_sel_hi:[1,1,0] neg_lo:[0,0,1] neg_hi:[0,0,1]
	v_pk_fma_f32 v[36:37], v[38:39], v[46:47], v[36:37] op_sel:[0,0,1] op_sel_hi:[1,0,0]
	v_mov_b32_e32 v51, v37
	ds_load_2addr_b64 v[36:39], v40 offset0:13 offset1:14
	v_pk_add_f32 v[18:19], v[18:19], v[52:53] neg_lo:[0,1] neg_hi:[0,1]
	v_pk_add_f32 v[16:17], v[16:17], v[50:51] neg_lo:[0,1] neg_hi:[0,1]
	s_wait_dscnt 0x0
	v_pk_mul_f32 v[50:51], v[36:37], v[48:49] op_sel:[0,1]
	s_delay_alu instid0(VALU_DEP_1) | instskip(SKIP_1) | instid1(VALU_DEP_1)
	v_pk_fma_f32 v[52:53], v[36:37], v[46:47], v[50:51] op_sel:[0,0,1] op_sel_hi:[1,1,0] neg_lo:[0,0,1] neg_hi:[0,0,1]
	v_pk_fma_f32 v[36:37], v[36:37], v[46:47], v[50:51] op_sel:[0,0,1] op_sel_hi:[1,0,0]
	v_mov_b32_e32 v53, v37
	v_pk_mul_f32 v[36:37], v[38:39], v[48:49] op_sel:[0,1]
	s_delay_alu instid0(VALU_DEP_1) | instskip(SKIP_1) | instid1(VALU_DEP_1)
	v_pk_fma_f32 v[48:49], v[38:39], v[46:47], v[36:37] op_sel:[0,0,1] op_sel_hi:[1,1,0] neg_lo:[0,0,1] neg_hi:[0,0,1]
	v_pk_fma_f32 v[36:37], v[38:39], v[46:47], v[36:37] op_sel:[0,0,1] op_sel_hi:[1,0,0]
	v_mov_b32_e32 v49, v37
	v_pk_add_f32 v[14:15], v[14:15], v[52:53] neg_lo:[0,1] neg_hi:[0,1]
	s_delay_alu instid0(VALU_DEP_2)
	v_pk_add_f32 v[34:35], v[34:35], v[48:49] neg_lo:[0,1] neg_hi:[0,1]
.LBB28_146:
	s_or_b32 exec_lo, exec_lo, s0
	v_lshl_add_u32 v36, v44, 3, v40
	s_barrier_signal -1
	s_barrier_wait -1
	ds_store_b64 v36, v[10:11]
	s_wait_dscnt 0x0
	s_barrier_signal -1
	s_barrier_wait -1
	ds_load_b64 v[36:37], v40 offset:56
	v_mov_b32_e32 v38, 7
	s_cmp_lt_i32 s14, 9
	s_cbranch_scc1 .LBB28_149
; %bb.147:
	v_add3_u32 v39, v41, 0, 64
	v_mov_b32_e32 v38, 7
	s_mov_b32 s0, 8
.LBB28_148:                             ; =>This Inner Loop Header: Depth=1
	ds_load_b64 v[46:47], v39
	s_wait_dscnt 0x1
	v_cmp_gt_f32_e32 vcc_lo, 0, v36
	v_cndmask_b32_e64 v48, v36, -v36, vcc_lo
	v_cmp_gt_f32_e32 vcc_lo, 0, v37
	v_cndmask_b32_e64 v50, v37, -v37, vcc_lo
	s_wait_dscnt 0x0
	v_cmp_gt_f32_e32 vcc_lo, 0, v46
	v_cndmask_b32_e64 v49, v46, -v46, vcc_lo
	v_cmp_gt_f32_e32 vcc_lo, 0, v47
	v_cndmask_b32_e64 v51, v47, -v47, vcc_lo
	s_delay_alu instid0(VALU_DEP_1) | instskip(NEXT) | instid1(VALU_DEP_1)
	v_pk_add_f32 v[48:49], v[48:49], v[50:51]
	v_cmp_lt_f32_e32 vcc_lo, v48, v49
	v_dual_cndmask_b32 v36, v36, v46 :: v_dual_add_nc_u32 v39, 8, v39
	v_cndmask_b32_e32 v37, v37, v47, vcc_lo
	v_cndmask_b32_e64 v38, v38, s0, vcc_lo
	s_add_co_i32 s0, s0, 1
	s_delay_alu instid0(SALU_CYCLE_1)
	s_cmp_lg_u32 s14, s0
	s_cbranch_scc1 .LBB28_148
.LBB28_149:
	s_wait_dscnt 0x0
	v_cmp_eq_f32_e32 vcc_lo, 0, v36
	v_cmp_eq_f32_e64 s0, 0, v37
	s_and_b32 s0, vcc_lo, s0
	s_delay_alu instid0(SALU_CYCLE_1) | instskip(NEXT) | instid1(SALU_CYCLE_1)
	s_and_saveexec_b32 s1, s0
	s_xor_b32 s0, exec_lo, s1
; %bb.150:
	v_cmp_ne_u32_e32 vcc_lo, 0, v43
	v_cndmask_b32_e32 v43, 8, v43, vcc_lo
; %bb.151:
	s_and_not1_saveexec_b32 s0, s0
	s_cbranch_execz .LBB28_157
; %bb.152:
	v_cmp_ngt_f32_e64 s1, |v36|, |v37|
	s_and_saveexec_b32 s15, s1
	s_delay_alu instid0(SALU_CYCLE_1)
	s_xor_b32 s1, exec_lo, s15
	s_cbranch_execz .LBB28_154
; %bb.153:
	v_div_scale_f32 v39, null, v37, v37, v36
	v_div_scale_f32 v47, vcc_lo, v36, v37, v36
	s_delay_alu instid0(VALU_DEP_2) | instskip(SKIP_1) | instid1(TRANS32_DEP_1)
	v_rcp_f32_e32 v45, v39
	v_nop
	v_fma_f32 v46, -v39, v45, 1.0
	s_delay_alu instid0(VALU_DEP_1) | instskip(NEXT) | instid1(VALU_DEP_1)
	v_fmac_f32_e32 v45, v46, v45
	v_mul_f32_e32 v46, v47, v45
	s_delay_alu instid0(VALU_DEP_1) | instskip(NEXT) | instid1(VALU_DEP_1)
	v_fma_f32 v48, -v39, v46, v47
	v_fmac_f32_e32 v46, v48, v45
	s_delay_alu instid0(VALU_DEP_1) | instskip(NEXT) | instid1(VALU_DEP_1)
	v_fma_f32 v39, -v39, v46, v47
	v_div_fmas_f32 v39, v39, v45, v46
	s_delay_alu instid0(VALU_DEP_1) | instskip(NEXT) | instid1(VALU_DEP_1)
	v_div_fixup_f32 v39, v39, v37, v36
	v_fmac_f32_e32 v37, v36, v39
	s_delay_alu instid0(VALU_DEP_1) | instskip(SKIP_1) | instid1(VALU_DEP_2)
	v_div_scale_f32 v36, null, v37, v37, 1.0
	v_div_scale_f32 v47, vcc_lo, 1.0, v37, 1.0
	v_rcp_f32_e32 v45, v36
	v_nop
	s_delay_alu instid0(TRANS32_DEP_1) | instskip(NEXT) | instid1(VALU_DEP_1)
	v_fma_f32 v46, -v36, v45, 1.0
	v_fmac_f32_e32 v45, v46, v45
	s_delay_alu instid0(VALU_DEP_1) | instskip(NEXT) | instid1(VALU_DEP_1)
	v_mul_f32_e32 v46, v47, v45
	v_fma_f32 v48, -v36, v46, v47
	s_delay_alu instid0(VALU_DEP_1) | instskip(NEXT) | instid1(VALU_DEP_1)
	v_fmac_f32_e32 v46, v48, v45
	v_fma_f32 v36, -v36, v46, v47
	s_delay_alu instid0(VALU_DEP_1) | instskip(NEXT) | instid1(VALU_DEP_1)
	v_div_fmas_f32 v36, v36, v45, v46
	v_div_fixup_f32 v37, v36, v37, 1.0
	s_delay_alu instid0(VALU_DEP_1)
	v_mul_f32_e32 v36, v39, v37
	v_xor_b32_e32 v37, 0x80000000, v37
.LBB28_154:
	s_and_not1_saveexec_b32 s1, s1
	s_cbranch_execz .LBB28_156
; %bb.155:
	s_delay_alu instid0(VALU_DEP_1) | instskip(SKIP_1) | instid1(VALU_DEP_2)
	v_div_scale_f32 v39, null, v36, v36, v37
	v_div_scale_f32 v47, vcc_lo, v37, v36, v37
	v_rcp_f32_e32 v45, v39
	v_nop
	s_delay_alu instid0(TRANS32_DEP_1) | instskip(NEXT) | instid1(VALU_DEP_1)
	v_fma_f32 v46, -v39, v45, 1.0
	v_fmac_f32_e32 v45, v46, v45
	s_delay_alu instid0(VALU_DEP_1) | instskip(NEXT) | instid1(VALU_DEP_1)
	v_mul_f32_e32 v46, v47, v45
	v_fma_f32 v48, -v39, v46, v47
	s_delay_alu instid0(VALU_DEP_1) | instskip(NEXT) | instid1(VALU_DEP_1)
	v_fmac_f32_e32 v46, v48, v45
	v_fma_f32 v39, -v39, v46, v47
	s_delay_alu instid0(VALU_DEP_1) | instskip(NEXT) | instid1(VALU_DEP_1)
	v_div_fmas_f32 v39, v39, v45, v46
	v_div_fixup_f32 v39, v39, v36, v37
	s_delay_alu instid0(VALU_DEP_1) | instskip(NEXT) | instid1(VALU_DEP_1)
	v_fmac_f32_e32 v36, v37, v39
	v_div_scale_f32 v37, null, v36, v36, 1.0
	s_delay_alu instid0(VALU_DEP_1) | instskip(SKIP_1) | instid1(TRANS32_DEP_1)
	v_rcp_f32_e32 v45, v37
	v_nop
	v_fma_f32 v46, -v37, v45, 1.0
	s_delay_alu instid0(VALU_DEP_1) | instskip(SKIP_1) | instid1(VALU_DEP_1)
	v_fmac_f32_e32 v45, v46, v45
	v_div_scale_f32 v46, vcc_lo, 1.0, v36, 1.0
	v_mul_f32_e32 v47, v46, v45
	s_delay_alu instid0(VALU_DEP_1) | instskip(NEXT) | instid1(VALU_DEP_1)
	v_fma_f32 v48, -v37, v47, v46
	v_fmac_f32_e32 v47, v48, v45
	s_delay_alu instid0(VALU_DEP_1) | instskip(NEXT) | instid1(VALU_DEP_1)
	v_fma_f32 v37, -v37, v47, v46
	v_div_fmas_f32 v37, v37, v45, v47
	s_delay_alu instid0(VALU_DEP_1) | instskip(NEXT) | instid1(VALU_DEP_1)
	v_div_fixup_f32 v36, v37, v36, 1.0
	v_mul_f32_e64 v37, v39, -v36
.LBB28_156:
	s_or_b32 exec_lo, exec_lo, s1
.LBB28_157:
	s_delay_alu instid0(SALU_CYCLE_1) | instskip(NEXT) | instid1(SALU_CYCLE_1)
	s_or_b32 exec_lo, exec_lo, s0
	s_mov_b32 s0, exec_lo
	v_cmpx_ne_u32_e64 v44, v38
	s_xor_b32 s0, exec_lo, s0
	s_cbranch_execz .LBB28_163
; %bb.158:
	s_mov_b32 s1, exec_lo
	v_cmpx_eq_u32_e32 7, v44
	s_cbranch_execz .LBB28_162
; %bb.159:
	v_cmp_ne_u32_e32 vcc_lo, 7, v38
	s_xor_b32 s15, s12, -1
	s_delay_alu instid0(SALU_CYCLE_1) | instskip(NEXT) | instid1(SALU_CYCLE_1)
	s_and_b32 s16, s15, vcc_lo
	s_and_saveexec_b32 s15, s16
	s_cbranch_execz .LBB28_161
; %bb.160:
	v_ashrrev_i32_e32 v39, 31, v38
	s_delay_alu instid0(VALU_DEP_1)
	v_lshl_add_u64 v[44:45], v[38:39], 2, v[30:31]
	s_clause 0x1
	global_load_b32 v39, v[44:45], off
	global_load_b32 v42, v[30:31], off offset:28
	s_wait_loadcnt 0x1
	global_store_b32 v[30:31], v39, off offset:28
	s_wait_loadcnt 0x0
	global_store_b32 v[44:45], v42, off
.LBB28_161:
	s_wait_xcnt 0x0
	s_or_b32 exec_lo, exec_lo, s15
	v_dual_mov_b32 v44, v38 :: v_dual_mov_b32 v42, v38
.LBB28_162:
	s_or_b32 exec_lo, exec_lo, s1
.LBB28_163:
	s_and_not1_saveexec_b32 s0, s0
	s_cbranch_execz .LBB28_165
; %bb.164:
	v_dual_mov_b32 v38, v22 :: v_dual_mov_b32 v39, v23
	v_dual_mov_b32 v46, v20 :: v_dual_mov_b32 v47, v21
	;; [unrolled: 1-line block ×6, first 2 shown]
	v_mov_b32_e32 v55, v15
	ds_store_2addr_b64 v40, v[38:39], v[46:47] offset0:8 offset1:9
	ds_store_2addr_b64 v40, v[48:49], v[50:51] offset0:10 offset1:11
	;; [unrolled: 1-line block ×3, first 2 shown]
	ds_store_b64 v40, v[34:35] offset:112
.LBB28_165:
	s_or_b32 exec_lo, exec_lo, s0
	s_delay_alu instid0(SALU_CYCLE_1)
	s_mov_b32 s0, exec_lo
	s_wait_storecnt_dscnt 0x0
	s_barrier_signal -1
	s_barrier_wait -1
	v_cmpx_lt_i32_e32 7, v44
	s_cbranch_execz .LBB28_167
; %bb.166:
	v_pk_mul_f32 v[38:39], v[36:37], v[10:11] op_sel:[1,1] op_sel_hi:[0,1]
	s_delay_alu instid0(VALU_DEP_1)
	v_pk_fma_f32 v[46:47], v[36:37], v[10:11], v[38:39] op_sel_hi:[1,0,1] neg_lo:[0,0,1] neg_hi:[0,0,1]
	v_pk_fma_f32 v[48:49], v[36:37], v[10:11], v[38:39] op_sel_hi:[1,0,1]
	ds_load_2addr_b64 v[36:39], v40 offset0:8 offset1:9
	v_dual_mov_b32 v10, v46 :: v_dual_mov_b32 v11, v49
	s_wait_dscnt 0x0
	v_pk_mul_f32 v[50:51], v[36:37], v[48:49] op_sel:[0,1]
	s_delay_alu instid0(VALU_DEP_1) | instskip(SKIP_1) | instid1(VALU_DEP_1)
	v_pk_fma_f32 v[52:53], v[36:37], v[46:47], v[50:51] op_sel:[0,0,1] op_sel_hi:[1,1,0] neg_lo:[0,0,1] neg_hi:[0,0,1]
	v_pk_fma_f32 v[36:37], v[36:37], v[46:47], v[50:51] op_sel:[0,0,1] op_sel_hi:[1,0,0]
	v_mov_b32_e32 v53, v37
	v_pk_mul_f32 v[36:37], v[38:39], v[48:49] op_sel:[0,1]
	s_delay_alu instid0(VALU_DEP_1) | instskip(SKIP_1) | instid1(VALU_DEP_1)
	v_pk_fma_f32 v[50:51], v[38:39], v[46:47], v[36:37] op_sel:[0,0,1] op_sel_hi:[1,1,0] neg_lo:[0,0,1] neg_hi:[0,0,1]
	v_pk_fma_f32 v[36:37], v[38:39], v[46:47], v[36:37] op_sel:[0,0,1] op_sel_hi:[1,0,0]
	v_mov_b32_e32 v51, v37
	ds_load_2addr_b64 v[36:39], v40 offset0:10 offset1:11
	v_pk_add_f32 v[22:23], v[22:23], v[52:53] neg_lo:[0,1] neg_hi:[0,1]
	v_pk_add_f32 v[20:21], v[20:21], v[50:51] neg_lo:[0,1] neg_hi:[0,1]
	s_wait_dscnt 0x0
	v_pk_mul_f32 v[50:51], v[36:37], v[48:49] op_sel:[0,1]
	s_delay_alu instid0(VALU_DEP_1) | instskip(SKIP_2) | instid1(VALU_DEP_2)
	v_pk_fma_f32 v[52:53], v[36:37], v[46:47], v[50:51] op_sel:[0,0,1] op_sel_hi:[1,1,0] neg_lo:[0,0,1] neg_hi:[0,0,1]
	v_pk_fma_f32 v[36:37], v[36:37], v[46:47], v[50:51] op_sel:[0,0,1] op_sel_hi:[1,0,0]
	v_dual_mul_f32 v50, v39, v49 :: v_dual_mov_b32 v36, v39
	v_dual_mov_b32 v53, v37 :: v_dual_mov_b32 v37, v38
	s_delay_alu instid0(VALU_DEP_2) | instskip(SKIP_1) | instid1(VALU_DEP_3)
	v_pk_fma_f32 v[50:51], v[38:39], v[10:11], v[50:51] op_sel_hi:[1,1,0] neg_lo:[0,0,1] neg_hi:[0,0,1]
	v_mul_f32_e32 v38, v39, v46
	v_pk_add_f32 v[4:5], v[4:5], v[52:53] neg_lo:[0,1] neg_hi:[0,1]
	s_delay_alu instid0(VALU_DEP_2) | instskip(NEXT) | instid1(VALU_DEP_1)
	v_pk_fma_f32 v[36:37], v[36:37], v[10:11], v[38:39] op_sel_hi:[1,1,0]
	v_mov_b32_e32 v51, v37
	ds_load_2addr_b64 v[36:39], v40 offset0:12 offset1:13
	v_pk_add_f32 v[18:19], v[18:19], v[50:51] neg_lo:[0,1] neg_hi:[0,1]
	s_wait_dscnt 0x0
	v_pk_mul_f32 v[50:51], v[36:37], v[48:49] op_sel:[0,1]
	s_delay_alu instid0(VALU_DEP_1) | instskip(SKIP_1) | instid1(VALU_DEP_1)
	v_pk_fma_f32 v[52:53], v[36:37], v[46:47], v[50:51] op_sel:[0,0,1] op_sel_hi:[1,1,0] neg_lo:[0,0,1] neg_hi:[0,0,1]
	v_pk_fma_f32 v[36:37], v[36:37], v[46:47], v[50:51] op_sel:[0,0,1] op_sel_hi:[1,0,0]
	v_mov_b32_e32 v53, v37
	v_pk_mul_f32 v[36:37], v[38:39], v[48:49] op_sel:[0,1]
	s_delay_alu instid0(VALU_DEP_1) | instskip(SKIP_1) | instid1(VALU_DEP_1)
	v_pk_fma_f32 v[50:51], v[38:39], v[46:47], v[36:37] op_sel:[0,0,1] op_sel_hi:[1,1,0] neg_lo:[0,0,1] neg_hi:[0,0,1]
	v_pk_fma_f32 v[36:37], v[38:39], v[46:47], v[36:37] op_sel:[0,0,1] op_sel_hi:[1,0,0]
	v_mov_b32_e32 v51, v37
	ds_load_b64 v[36:37], v40 offset:112
	v_pk_add_f32 v[16:17], v[16:17], v[52:53] neg_lo:[0,1] neg_hi:[0,1]
	v_pk_add_f32 v[14:15], v[14:15], v[50:51] neg_lo:[0,1] neg_hi:[0,1]
	s_wait_dscnt 0x0
	v_pk_mul_f32 v[38:39], v[36:37], v[48:49] op_sel:[0,1]
	s_delay_alu instid0(VALU_DEP_1) | instskip(SKIP_1) | instid1(VALU_DEP_1)
	v_pk_fma_f32 v[48:49], v[36:37], v[46:47], v[38:39] op_sel:[0,0,1] op_sel_hi:[1,1,0] neg_lo:[0,0,1] neg_hi:[0,0,1]
	v_pk_fma_f32 v[36:37], v[36:37], v[46:47], v[38:39] op_sel:[0,0,1] op_sel_hi:[1,0,0]
	v_mov_b32_e32 v49, v37
	s_delay_alu instid0(VALU_DEP_1)
	v_pk_add_f32 v[34:35], v[34:35], v[48:49] neg_lo:[0,1] neg_hi:[0,1]
.LBB28_167:
	s_or_b32 exec_lo, exec_lo, s0
	v_lshl_add_u32 v36, v44, 3, v40
	s_barrier_signal -1
	s_barrier_wait -1
	ds_store_b64 v36, v[22:23]
	s_wait_dscnt 0x0
	s_barrier_signal -1
	s_barrier_wait -1
	ds_load_b64 v[36:37], v40 offset:64
	v_mov_b32_e32 v38, 8
	s_cmp_lt_i32 s14, 10
	s_cbranch_scc1 .LBB28_170
; %bb.168:
	v_add3_u32 v39, v41, 0, 0x48
	v_mov_b32_e32 v38, 8
	s_mov_b32 s0, 9
.LBB28_169:                             ; =>This Inner Loop Header: Depth=1
	ds_load_b64 v[46:47], v39
	s_wait_dscnt 0x1
	v_cmp_gt_f32_e32 vcc_lo, 0, v36
	v_cndmask_b32_e64 v48, v36, -v36, vcc_lo
	v_cmp_gt_f32_e32 vcc_lo, 0, v37
	v_cndmask_b32_e64 v50, v37, -v37, vcc_lo
	s_wait_dscnt 0x0
	v_cmp_gt_f32_e32 vcc_lo, 0, v46
	v_cndmask_b32_e64 v49, v46, -v46, vcc_lo
	v_cmp_gt_f32_e32 vcc_lo, 0, v47
	v_cndmask_b32_e64 v51, v47, -v47, vcc_lo
	s_delay_alu instid0(VALU_DEP_1) | instskip(NEXT) | instid1(VALU_DEP_1)
	v_pk_add_f32 v[48:49], v[48:49], v[50:51]
	v_cmp_lt_f32_e32 vcc_lo, v48, v49
	v_dual_cndmask_b32 v36, v36, v46 :: v_dual_add_nc_u32 v39, 8, v39
	v_cndmask_b32_e32 v37, v37, v47, vcc_lo
	v_cndmask_b32_e64 v38, v38, s0, vcc_lo
	s_add_co_i32 s0, s0, 1
	s_delay_alu instid0(SALU_CYCLE_1)
	s_cmp_lg_u32 s14, s0
	s_cbranch_scc1 .LBB28_169
.LBB28_170:
	s_wait_dscnt 0x0
	v_cmp_eq_f32_e32 vcc_lo, 0, v36
	v_cmp_eq_f32_e64 s0, 0, v37
	s_and_b32 s0, vcc_lo, s0
	s_delay_alu instid0(SALU_CYCLE_1) | instskip(NEXT) | instid1(SALU_CYCLE_1)
	s_and_saveexec_b32 s1, s0
	s_xor_b32 s0, exec_lo, s1
; %bb.171:
	v_cmp_ne_u32_e32 vcc_lo, 0, v43
	v_cndmask_b32_e32 v43, 9, v43, vcc_lo
; %bb.172:
	s_and_not1_saveexec_b32 s0, s0
	s_cbranch_execz .LBB28_178
; %bb.173:
	v_cmp_ngt_f32_e64 s1, |v36|, |v37|
	s_and_saveexec_b32 s15, s1
	s_delay_alu instid0(SALU_CYCLE_1)
	s_xor_b32 s1, exec_lo, s15
	s_cbranch_execz .LBB28_175
; %bb.174:
	v_div_scale_f32 v39, null, v37, v37, v36
	v_div_scale_f32 v47, vcc_lo, v36, v37, v36
	s_delay_alu instid0(VALU_DEP_2) | instskip(SKIP_1) | instid1(TRANS32_DEP_1)
	v_rcp_f32_e32 v45, v39
	v_nop
	v_fma_f32 v46, -v39, v45, 1.0
	s_delay_alu instid0(VALU_DEP_1) | instskip(NEXT) | instid1(VALU_DEP_1)
	v_fmac_f32_e32 v45, v46, v45
	v_mul_f32_e32 v46, v47, v45
	s_delay_alu instid0(VALU_DEP_1) | instskip(NEXT) | instid1(VALU_DEP_1)
	v_fma_f32 v48, -v39, v46, v47
	v_fmac_f32_e32 v46, v48, v45
	s_delay_alu instid0(VALU_DEP_1) | instskip(NEXT) | instid1(VALU_DEP_1)
	v_fma_f32 v39, -v39, v46, v47
	v_div_fmas_f32 v39, v39, v45, v46
	s_delay_alu instid0(VALU_DEP_1) | instskip(NEXT) | instid1(VALU_DEP_1)
	v_div_fixup_f32 v39, v39, v37, v36
	v_fmac_f32_e32 v37, v36, v39
	s_delay_alu instid0(VALU_DEP_1) | instskip(SKIP_1) | instid1(VALU_DEP_2)
	v_div_scale_f32 v36, null, v37, v37, 1.0
	v_div_scale_f32 v47, vcc_lo, 1.0, v37, 1.0
	v_rcp_f32_e32 v45, v36
	v_nop
	s_delay_alu instid0(TRANS32_DEP_1) | instskip(NEXT) | instid1(VALU_DEP_1)
	v_fma_f32 v46, -v36, v45, 1.0
	v_fmac_f32_e32 v45, v46, v45
	s_delay_alu instid0(VALU_DEP_1) | instskip(NEXT) | instid1(VALU_DEP_1)
	v_mul_f32_e32 v46, v47, v45
	v_fma_f32 v48, -v36, v46, v47
	s_delay_alu instid0(VALU_DEP_1) | instskip(NEXT) | instid1(VALU_DEP_1)
	v_fmac_f32_e32 v46, v48, v45
	v_fma_f32 v36, -v36, v46, v47
	s_delay_alu instid0(VALU_DEP_1) | instskip(NEXT) | instid1(VALU_DEP_1)
	v_div_fmas_f32 v36, v36, v45, v46
	v_div_fixup_f32 v37, v36, v37, 1.0
	s_delay_alu instid0(VALU_DEP_1)
	v_mul_f32_e32 v36, v39, v37
	v_xor_b32_e32 v37, 0x80000000, v37
.LBB28_175:
	s_and_not1_saveexec_b32 s1, s1
	s_cbranch_execz .LBB28_177
; %bb.176:
	s_delay_alu instid0(VALU_DEP_1) | instskip(SKIP_1) | instid1(VALU_DEP_2)
	v_div_scale_f32 v39, null, v36, v36, v37
	v_div_scale_f32 v47, vcc_lo, v37, v36, v37
	v_rcp_f32_e32 v45, v39
	v_nop
	s_delay_alu instid0(TRANS32_DEP_1) | instskip(NEXT) | instid1(VALU_DEP_1)
	v_fma_f32 v46, -v39, v45, 1.0
	v_fmac_f32_e32 v45, v46, v45
	s_delay_alu instid0(VALU_DEP_1) | instskip(NEXT) | instid1(VALU_DEP_1)
	v_mul_f32_e32 v46, v47, v45
	v_fma_f32 v48, -v39, v46, v47
	s_delay_alu instid0(VALU_DEP_1) | instskip(NEXT) | instid1(VALU_DEP_1)
	v_fmac_f32_e32 v46, v48, v45
	v_fma_f32 v39, -v39, v46, v47
	s_delay_alu instid0(VALU_DEP_1) | instskip(NEXT) | instid1(VALU_DEP_1)
	v_div_fmas_f32 v39, v39, v45, v46
	v_div_fixup_f32 v39, v39, v36, v37
	s_delay_alu instid0(VALU_DEP_1) | instskip(NEXT) | instid1(VALU_DEP_1)
	v_fmac_f32_e32 v36, v37, v39
	v_div_scale_f32 v37, null, v36, v36, 1.0
	s_delay_alu instid0(VALU_DEP_1) | instskip(SKIP_1) | instid1(TRANS32_DEP_1)
	v_rcp_f32_e32 v45, v37
	v_nop
	v_fma_f32 v46, -v37, v45, 1.0
	s_delay_alu instid0(VALU_DEP_1) | instskip(SKIP_1) | instid1(VALU_DEP_1)
	v_fmac_f32_e32 v45, v46, v45
	v_div_scale_f32 v46, vcc_lo, 1.0, v36, 1.0
	v_mul_f32_e32 v47, v46, v45
	s_delay_alu instid0(VALU_DEP_1) | instskip(NEXT) | instid1(VALU_DEP_1)
	v_fma_f32 v48, -v37, v47, v46
	v_fmac_f32_e32 v47, v48, v45
	s_delay_alu instid0(VALU_DEP_1) | instskip(NEXT) | instid1(VALU_DEP_1)
	v_fma_f32 v37, -v37, v47, v46
	v_div_fmas_f32 v37, v37, v45, v47
	s_delay_alu instid0(VALU_DEP_1) | instskip(NEXT) | instid1(VALU_DEP_1)
	v_div_fixup_f32 v36, v37, v36, 1.0
	v_mul_f32_e64 v37, v39, -v36
.LBB28_177:
	s_or_b32 exec_lo, exec_lo, s1
.LBB28_178:
	s_delay_alu instid0(SALU_CYCLE_1) | instskip(NEXT) | instid1(SALU_CYCLE_1)
	s_or_b32 exec_lo, exec_lo, s0
	s_mov_b32 s0, exec_lo
	v_cmpx_ne_u32_e64 v44, v38
	s_xor_b32 s0, exec_lo, s0
	s_cbranch_execz .LBB28_184
; %bb.179:
	s_mov_b32 s1, exec_lo
	v_cmpx_eq_u32_e32 8, v44
	s_cbranch_execz .LBB28_183
; %bb.180:
	v_cmp_ne_u32_e32 vcc_lo, 8, v38
	s_xor_b32 s15, s12, -1
	s_delay_alu instid0(SALU_CYCLE_1) | instskip(NEXT) | instid1(SALU_CYCLE_1)
	s_and_b32 s16, s15, vcc_lo
	s_and_saveexec_b32 s15, s16
	s_cbranch_execz .LBB28_182
; %bb.181:
	v_ashrrev_i32_e32 v39, 31, v38
	s_delay_alu instid0(VALU_DEP_1)
	v_lshl_add_u64 v[44:45], v[38:39], 2, v[30:31]
	s_clause 0x1
	global_load_b32 v39, v[44:45], off
	global_load_b32 v42, v[30:31], off offset:32
	s_wait_loadcnt 0x1
	global_store_b32 v[30:31], v39, off offset:32
	s_wait_loadcnt 0x0
	global_store_b32 v[44:45], v42, off
.LBB28_182:
	s_wait_xcnt 0x0
	s_or_b32 exec_lo, exec_lo, s15
	v_dual_mov_b32 v44, v38 :: v_dual_mov_b32 v42, v38
.LBB28_183:
	s_or_b32 exec_lo, exec_lo, s1
.LBB28_184:
	s_and_not1_saveexec_b32 s0, s0
	s_cbranch_execz .LBB28_186
; %bb.185:
	v_mov_b32_e32 v44, 8
	ds_store_2addr_b64 v40, v[20:21], v[4:5] offset0:9 offset1:10
	ds_store_2addr_b64 v40, v[18:19], v[16:17] offset0:11 offset1:12
	ds_store_2addr_b64 v40, v[14:15], v[34:35] offset0:13 offset1:14
.LBB28_186:
	s_or_b32 exec_lo, exec_lo, s0
	s_delay_alu instid0(SALU_CYCLE_1)
	s_mov_b32 s0, exec_lo
	s_wait_storecnt_dscnt 0x0
	s_barrier_signal -1
	s_barrier_wait -1
	v_cmpx_lt_i32_e32 8, v44
	s_cbranch_execz .LBB28_188
; %bb.187:
	v_pk_mul_f32 v[38:39], v[36:37], v[22:23] op_sel:[1,1] op_sel_hi:[0,1]
	s_delay_alu instid0(VALU_DEP_1)
	v_pk_fma_f32 v[46:47], v[36:37], v[22:23], v[38:39] op_sel_hi:[1,0,1] neg_lo:[0,0,1] neg_hi:[0,0,1]
	v_pk_fma_f32 v[48:49], v[36:37], v[22:23], v[38:39] op_sel_hi:[1,0,1]
	ds_load_2addr_b64 v[36:39], v40 offset0:9 offset1:10
	v_dual_mov_b32 v22, v46 :: v_dual_mov_b32 v23, v49
	s_wait_dscnt 0x0
	v_pk_mul_f32 v[50:51], v[36:37], v[48:49] op_sel:[0,1]
	s_delay_alu instid0(VALU_DEP_1) | instskip(SKIP_1) | instid1(VALU_DEP_1)
	v_pk_fma_f32 v[52:53], v[36:37], v[46:47], v[50:51] op_sel:[0,0,1] op_sel_hi:[1,1,0] neg_lo:[0,0,1] neg_hi:[0,0,1]
	v_pk_fma_f32 v[36:37], v[36:37], v[46:47], v[50:51] op_sel:[0,0,1] op_sel_hi:[1,0,0]
	v_mov_b32_e32 v53, v37
	v_pk_mul_f32 v[36:37], v[38:39], v[48:49] op_sel:[0,1]
	s_delay_alu instid0(VALU_DEP_1) | instskip(SKIP_1) | instid1(VALU_DEP_1)
	v_pk_fma_f32 v[50:51], v[38:39], v[46:47], v[36:37] op_sel:[0,0,1] op_sel_hi:[1,1,0] neg_lo:[0,0,1] neg_hi:[0,0,1]
	v_pk_fma_f32 v[36:37], v[38:39], v[46:47], v[36:37] op_sel:[0,0,1] op_sel_hi:[1,0,0]
	v_mov_b32_e32 v51, v37
	ds_load_2addr_b64 v[36:39], v40 offset0:11 offset1:12
	v_pk_add_f32 v[20:21], v[20:21], v[52:53] neg_lo:[0,1] neg_hi:[0,1]
	v_pk_add_f32 v[4:5], v[4:5], v[50:51] neg_lo:[0,1] neg_hi:[0,1]
	s_wait_dscnt 0x0
	v_pk_mul_f32 v[50:51], v[36:37], v[48:49] op_sel:[0,1]
	s_delay_alu instid0(VALU_DEP_1) | instskip(SKIP_2) | instid1(VALU_DEP_2)
	v_pk_fma_f32 v[52:53], v[36:37], v[46:47], v[50:51] op_sel:[0,0,1] op_sel_hi:[1,1,0] neg_lo:[0,0,1] neg_hi:[0,0,1]
	v_pk_fma_f32 v[36:37], v[36:37], v[46:47], v[50:51] op_sel:[0,0,1] op_sel_hi:[1,0,0]
	v_dual_mul_f32 v50, v39, v49 :: v_dual_mov_b32 v36, v39
	v_dual_mov_b32 v53, v37 :: v_dual_mov_b32 v37, v38
	s_delay_alu instid0(VALU_DEP_2) | instskip(SKIP_1) | instid1(VALU_DEP_3)
	v_pk_fma_f32 v[50:51], v[38:39], v[22:23], v[50:51] op_sel_hi:[1,1,0] neg_lo:[0,0,1] neg_hi:[0,0,1]
	v_mul_f32_e32 v38, v39, v46
	v_pk_add_f32 v[18:19], v[18:19], v[52:53] neg_lo:[0,1] neg_hi:[0,1]
	s_delay_alu instid0(VALU_DEP_2) | instskip(NEXT) | instid1(VALU_DEP_1)
	v_pk_fma_f32 v[36:37], v[36:37], v[22:23], v[38:39] op_sel_hi:[1,1,0]
	v_mov_b32_e32 v51, v37
	ds_load_2addr_b64 v[36:39], v40 offset0:13 offset1:14
	v_pk_add_f32 v[16:17], v[16:17], v[50:51] neg_lo:[0,1] neg_hi:[0,1]
	s_wait_dscnt 0x0
	v_pk_mul_f32 v[50:51], v[36:37], v[48:49] op_sel:[0,1]
	v_mul_f32_e32 v48, v39, v49
	s_delay_alu instid0(VALU_DEP_2) | instskip(SKIP_2) | instid1(VALU_DEP_4)
	v_pk_fma_f32 v[52:53], v[36:37], v[46:47], v[50:51] op_sel:[0,0,1] op_sel_hi:[1,1,0] neg_lo:[0,0,1] neg_hi:[0,0,1]
	v_pk_fma_f32 v[36:37], v[36:37], v[46:47], v[50:51] op_sel:[0,0,1] op_sel_hi:[1,0,0]
	v_mov_b32_e32 v36, v39
	v_pk_fma_f32 v[48:49], v[38:39], v[22:23], v[48:49] op_sel_hi:[1,1,0] neg_lo:[0,0,1] neg_hi:[0,0,1]
	s_delay_alu instid0(VALU_DEP_3) | instskip(SKIP_1) | instid1(VALU_DEP_2)
	v_dual_mov_b32 v53, v37 :: v_dual_mov_b32 v37, v38
	v_mul_f32_e32 v38, v39, v46
	v_pk_add_f32 v[14:15], v[14:15], v[52:53] neg_lo:[0,1] neg_hi:[0,1]
	s_delay_alu instid0(VALU_DEP_2) | instskip(NEXT) | instid1(VALU_DEP_1)
	v_pk_fma_f32 v[36:37], v[36:37], v[22:23], v[38:39] op_sel_hi:[1,1,0]
	v_mov_b32_e32 v49, v37
	s_delay_alu instid0(VALU_DEP_1)
	v_pk_add_f32 v[34:35], v[34:35], v[48:49] neg_lo:[0,1] neg_hi:[0,1]
.LBB28_188:
	s_or_b32 exec_lo, exec_lo, s0
	v_lshl_add_u32 v36, v44, 3, v40
	s_barrier_signal -1
	s_barrier_wait -1
	ds_store_b64 v36, v[20:21]
	s_wait_dscnt 0x0
	s_barrier_signal -1
	s_barrier_wait -1
	ds_load_b64 v[36:37], v40 offset:72
	v_mov_b32_e32 v38, 9
	s_cmp_lt_i32 s14, 11
	s_cbranch_scc1 .LBB28_191
; %bb.189:
	v_add3_u32 v39, v41, 0, 0x50
	v_mov_b32_e32 v38, 9
	s_mov_b32 s0, 10
.LBB28_190:                             ; =>This Inner Loop Header: Depth=1
	ds_load_b64 v[46:47], v39
	s_wait_dscnt 0x1
	v_cmp_gt_f32_e32 vcc_lo, 0, v36
	v_cndmask_b32_e64 v48, v36, -v36, vcc_lo
	v_cmp_gt_f32_e32 vcc_lo, 0, v37
	v_cndmask_b32_e64 v50, v37, -v37, vcc_lo
	s_wait_dscnt 0x0
	v_cmp_gt_f32_e32 vcc_lo, 0, v46
	v_cndmask_b32_e64 v49, v46, -v46, vcc_lo
	v_cmp_gt_f32_e32 vcc_lo, 0, v47
	v_cndmask_b32_e64 v51, v47, -v47, vcc_lo
	s_delay_alu instid0(VALU_DEP_1) | instskip(NEXT) | instid1(VALU_DEP_1)
	v_pk_add_f32 v[48:49], v[48:49], v[50:51]
	v_cmp_lt_f32_e32 vcc_lo, v48, v49
	v_dual_cndmask_b32 v36, v36, v46 :: v_dual_add_nc_u32 v39, 8, v39
	v_cndmask_b32_e32 v37, v37, v47, vcc_lo
	v_cndmask_b32_e64 v38, v38, s0, vcc_lo
	s_add_co_i32 s0, s0, 1
	s_delay_alu instid0(SALU_CYCLE_1)
	s_cmp_lg_u32 s14, s0
	s_cbranch_scc1 .LBB28_190
.LBB28_191:
	s_wait_dscnt 0x0
	v_cmp_eq_f32_e32 vcc_lo, 0, v36
	v_cmp_eq_f32_e64 s0, 0, v37
	s_and_b32 s0, vcc_lo, s0
	s_delay_alu instid0(SALU_CYCLE_1) | instskip(NEXT) | instid1(SALU_CYCLE_1)
	s_and_saveexec_b32 s1, s0
	s_xor_b32 s0, exec_lo, s1
; %bb.192:
	v_cmp_ne_u32_e32 vcc_lo, 0, v43
	v_cndmask_b32_e32 v43, 10, v43, vcc_lo
; %bb.193:
	s_and_not1_saveexec_b32 s0, s0
	s_cbranch_execz .LBB28_199
; %bb.194:
	v_cmp_ngt_f32_e64 s1, |v36|, |v37|
	s_and_saveexec_b32 s15, s1
	s_delay_alu instid0(SALU_CYCLE_1)
	s_xor_b32 s1, exec_lo, s15
	s_cbranch_execz .LBB28_196
; %bb.195:
	v_div_scale_f32 v39, null, v37, v37, v36
	v_div_scale_f32 v47, vcc_lo, v36, v37, v36
	s_delay_alu instid0(VALU_DEP_2) | instskip(SKIP_1) | instid1(TRANS32_DEP_1)
	v_rcp_f32_e32 v45, v39
	v_nop
	v_fma_f32 v46, -v39, v45, 1.0
	s_delay_alu instid0(VALU_DEP_1) | instskip(NEXT) | instid1(VALU_DEP_1)
	v_fmac_f32_e32 v45, v46, v45
	v_mul_f32_e32 v46, v47, v45
	s_delay_alu instid0(VALU_DEP_1) | instskip(NEXT) | instid1(VALU_DEP_1)
	v_fma_f32 v48, -v39, v46, v47
	v_fmac_f32_e32 v46, v48, v45
	s_delay_alu instid0(VALU_DEP_1) | instskip(NEXT) | instid1(VALU_DEP_1)
	v_fma_f32 v39, -v39, v46, v47
	v_div_fmas_f32 v39, v39, v45, v46
	s_delay_alu instid0(VALU_DEP_1) | instskip(NEXT) | instid1(VALU_DEP_1)
	v_div_fixup_f32 v39, v39, v37, v36
	v_fmac_f32_e32 v37, v36, v39
	s_delay_alu instid0(VALU_DEP_1) | instskip(SKIP_1) | instid1(VALU_DEP_2)
	v_div_scale_f32 v36, null, v37, v37, 1.0
	v_div_scale_f32 v47, vcc_lo, 1.0, v37, 1.0
	v_rcp_f32_e32 v45, v36
	v_nop
	s_delay_alu instid0(TRANS32_DEP_1) | instskip(NEXT) | instid1(VALU_DEP_1)
	v_fma_f32 v46, -v36, v45, 1.0
	v_fmac_f32_e32 v45, v46, v45
	s_delay_alu instid0(VALU_DEP_1) | instskip(NEXT) | instid1(VALU_DEP_1)
	v_mul_f32_e32 v46, v47, v45
	v_fma_f32 v48, -v36, v46, v47
	s_delay_alu instid0(VALU_DEP_1) | instskip(NEXT) | instid1(VALU_DEP_1)
	v_fmac_f32_e32 v46, v48, v45
	v_fma_f32 v36, -v36, v46, v47
	s_delay_alu instid0(VALU_DEP_1) | instskip(NEXT) | instid1(VALU_DEP_1)
	v_div_fmas_f32 v36, v36, v45, v46
	v_div_fixup_f32 v37, v36, v37, 1.0
	s_delay_alu instid0(VALU_DEP_1)
	v_mul_f32_e32 v36, v39, v37
	v_xor_b32_e32 v37, 0x80000000, v37
.LBB28_196:
	s_and_not1_saveexec_b32 s1, s1
	s_cbranch_execz .LBB28_198
; %bb.197:
	s_delay_alu instid0(VALU_DEP_1) | instskip(SKIP_1) | instid1(VALU_DEP_2)
	v_div_scale_f32 v39, null, v36, v36, v37
	v_div_scale_f32 v47, vcc_lo, v37, v36, v37
	v_rcp_f32_e32 v45, v39
	v_nop
	s_delay_alu instid0(TRANS32_DEP_1) | instskip(NEXT) | instid1(VALU_DEP_1)
	v_fma_f32 v46, -v39, v45, 1.0
	v_fmac_f32_e32 v45, v46, v45
	s_delay_alu instid0(VALU_DEP_1) | instskip(NEXT) | instid1(VALU_DEP_1)
	v_mul_f32_e32 v46, v47, v45
	v_fma_f32 v48, -v39, v46, v47
	s_delay_alu instid0(VALU_DEP_1) | instskip(NEXT) | instid1(VALU_DEP_1)
	v_fmac_f32_e32 v46, v48, v45
	v_fma_f32 v39, -v39, v46, v47
	s_delay_alu instid0(VALU_DEP_1) | instskip(NEXT) | instid1(VALU_DEP_1)
	v_div_fmas_f32 v39, v39, v45, v46
	v_div_fixup_f32 v39, v39, v36, v37
	s_delay_alu instid0(VALU_DEP_1) | instskip(NEXT) | instid1(VALU_DEP_1)
	v_fmac_f32_e32 v36, v37, v39
	v_div_scale_f32 v37, null, v36, v36, 1.0
	s_delay_alu instid0(VALU_DEP_1) | instskip(SKIP_1) | instid1(TRANS32_DEP_1)
	v_rcp_f32_e32 v45, v37
	v_nop
	v_fma_f32 v46, -v37, v45, 1.0
	s_delay_alu instid0(VALU_DEP_1) | instskip(SKIP_1) | instid1(VALU_DEP_1)
	v_fmac_f32_e32 v45, v46, v45
	v_div_scale_f32 v46, vcc_lo, 1.0, v36, 1.0
	v_mul_f32_e32 v47, v46, v45
	s_delay_alu instid0(VALU_DEP_1) | instskip(NEXT) | instid1(VALU_DEP_1)
	v_fma_f32 v48, -v37, v47, v46
	v_fmac_f32_e32 v47, v48, v45
	s_delay_alu instid0(VALU_DEP_1) | instskip(NEXT) | instid1(VALU_DEP_1)
	v_fma_f32 v37, -v37, v47, v46
	v_div_fmas_f32 v37, v37, v45, v47
	s_delay_alu instid0(VALU_DEP_1) | instskip(NEXT) | instid1(VALU_DEP_1)
	v_div_fixup_f32 v36, v37, v36, 1.0
	v_mul_f32_e64 v37, v39, -v36
.LBB28_198:
	s_or_b32 exec_lo, exec_lo, s1
.LBB28_199:
	s_delay_alu instid0(SALU_CYCLE_1) | instskip(NEXT) | instid1(SALU_CYCLE_1)
	s_or_b32 exec_lo, exec_lo, s0
	s_mov_b32 s0, exec_lo
	v_cmpx_ne_u32_e64 v44, v38
	s_xor_b32 s0, exec_lo, s0
	s_cbranch_execz .LBB28_205
; %bb.200:
	s_mov_b32 s1, exec_lo
	v_cmpx_eq_u32_e32 9, v44
	s_cbranch_execz .LBB28_204
; %bb.201:
	v_cmp_ne_u32_e32 vcc_lo, 9, v38
	s_xor_b32 s15, s12, -1
	s_delay_alu instid0(SALU_CYCLE_1) | instskip(NEXT) | instid1(SALU_CYCLE_1)
	s_and_b32 s16, s15, vcc_lo
	s_and_saveexec_b32 s15, s16
	s_cbranch_execz .LBB28_203
; %bb.202:
	v_ashrrev_i32_e32 v39, 31, v38
	s_delay_alu instid0(VALU_DEP_1)
	v_lshl_add_u64 v[44:45], v[38:39], 2, v[30:31]
	s_clause 0x1
	global_load_b32 v39, v[44:45], off
	global_load_b32 v42, v[30:31], off offset:36
	s_wait_loadcnt 0x1
	global_store_b32 v[30:31], v39, off offset:36
	s_wait_loadcnt 0x0
	global_store_b32 v[44:45], v42, off
.LBB28_203:
	s_wait_xcnt 0x0
	s_or_b32 exec_lo, exec_lo, s15
	v_dual_mov_b32 v44, v38 :: v_dual_mov_b32 v42, v38
.LBB28_204:
	s_or_b32 exec_lo, exec_lo, s1
.LBB28_205:
	s_and_not1_saveexec_b32 s0, s0
	s_cbranch_execz .LBB28_207
; %bb.206:
	v_dual_mov_b32 v38, v4 :: v_dual_mov_b32 v39, v5
	v_dual_mov_b32 v46, v18 :: v_dual_mov_b32 v47, v19
	;; [unrolled: 1-line block ×4, first 2 shown]
	v_mov_b32_e32 v51, v15
	ds_store_2addr_b64 v40, v[38:39], v[46:47] offset0:10 offset1:11
	ds_store_2addr_b64 v40, v[48:49], v[50:51] offset0:12 offset1:13
	ds_store_b64 v40, v[34:35] offset:112
.LBB28_207:
	s_or_b32 exec_lo, exec_lo, s0
	s_delay_alu instid0(SALU_CYCLE_1)
	s_mov_b32 s0, exec_lo
	s_wait_storecnt_dscnt 0x0
	s_barrier_signal -1
	s_barrier_wait -1
	v_cmpx_lt_i32_e32 9, v44
	s_cbranch_execz .LBB28_209
; %bb.208:
	v_pk_mul_f32 v[38:39], v[36:37], v[20:21] op_sel:[1,1] op_sel_hi:[0,1]
	s_delay_alu instid0(VALU_DEP_1)
	v_pk_fma_f32 v[46:47], v[36:37], v[20:21], v[38:39] op_sel_hi:[1,0,1] neg_lo:[0,0,1] neg_hi:[0,0,1]
	v_pk_fma_f32 v[48:49], v[36:37], v[20:21], v[38:39] op_sel_hi:[1,0,1]
	ds_load_2addr_b64 v[36:39], v40 offset0:10 offset1:11
	v_dual_mov_b32 v20, v46 :: v_dual_mov_b32 v21, v49
	s_wait_dscnt 0x0
	v_pk_mul_f32 v[50:51], v[36:37], v[48:49] op_sel:[0,1]
	s_delay_alu instid0(VALU_DEP_1) | instskip(SKIP_1) | instid1(VALU_DEP_1)
	v_pk_fma_f32 v[52:53], v[36:37], v[46:47], v[50:51] op_sel:[0,0,1] op_sel_hi:[1,1,0] neg_lo:[0,0,1] neg_hi:[0,0,1]
	v_pk_fma_f32 v[36:37], v[36:37], v[46:47], v[50:51] op_sel:[0,0,1] op_sel_hi:[1,0,0]
	v_mov_b32_e32 v53, v37
	v_pk_mul_f32 v[36:37], v[38:39], v[48:49] op_sel:[0,1]
	s_delay_alu instid0(VALU_DEP_1) | instskip(SKIP_1) | instid1(VALU_DEP_1)
	v_pk_fma_f32 v[50:51], v[38:39], v[46:47], v[36:37] op_sel:[0,0,1] op_sel_hi:[1,1,0] neg_lo:[0,0,1] neg_hi:[0,0,1]
	v_pk_fma_f32 v[36:37], v[38:39], v[46:47], v[36:37] op_sel:[0,0,1] op_sel_hi:[1,0,0]
	v_mov_b32_e32 v51, v37
	ds_load_2addr_b64 v[36:39], v40 offset0:12 offset1:13
	v_pk_add_f32 v[4:5], v[4:5], v[52:53] neg_lo:[0,1] neg_hi:[0,1]
	v_pk_add_f32 v[18:19], v[18:19], v[50:51] neg_lo:[0,1] neg_hi:[0,1]
	s_wait_dscnt 0x0
	v_pk_mul_f32 v[50:51], v[36:37], v[48:49] op_sel:[0,1]
	s_delay_alu instid0(VALU_DEP_1) | instskip(SKIP_2) | instid1(VALU_DEP_2)
	v_pk_fma_f32 v[52:53], v[36:37], v[46:47], v[50:51] op_sel:[0,0,1] op_sel_hi:[1,1,0] neg_lo:[0,0,1] neg_hi:[0,0,1]
	v_pk_fma_f32 v[36:37], v[36:37], v[46:47], v[50:51] op_sel:[0,0,1] op_sel_hi:[1,0,0]
	v_dual_mul_f32 v50, v39, v49 :: v_dual_mov_b32 v36, v39
	v_dual_mov_b32 v53, v37 :: v_dual_mov_b32 v37, v38
	s_delay_alu instid0(VALU_DEP_2) | instskip(SKIP_1) | instid1(VALU_DEP_3)
	v_pk_fma_f32 v[50:51], v[38:39], v[20:21], v[50:51] op_sel_hi:[1,1,0] neg_lo:[0,0,1] neg_hi:[0,0,1]
	v_mul_f32_e32 v38, v39, v46
	v_pk_add_f32 v[16:17], v[16:17], v[52:53] neg_lo:[0,1] neg_hi:[0,1]
	s_delay_alu instid0(VALU_DEP_2) | instskip(NEXT) | instid1(VALU_DEP_1)
	v_pk_fma_f32 v[36:37], v[36:37], v[20:21], v[38:39] op_sel_hi:[1,1,0]
	v_mov_b32_e32 v51, v37
	ds_load_b64 v[36:37], v40 offset:112
	v_pk_add_f32 v[14:15], v[14:15], v[50:51] neg_lo:[0,1] neg_hi:[0,1]
	s_wait_dscnt 0x0
	v_pk_mul_f32 v[38:39], v[36:37], v[48:49] op_sel:[0,1]
	s_delay_alu instid0(VALU_DEP_1) | instskip(SKIP_1) | instid1(VALU_DEP_1)
	v_pk_fma_f32 v[48:49], v[36:37], v[46:47], v[38:39] op_sel:[0,0,1] op_sel_hi:[1,1,0] neg_lo:[0,0,1] neg_hi:[0,0,1]
	v_pk_fma_f32 v[36:37], v[36:37], v[46:47], v[38:39] op_sel:[0,0,1] op_sel_hi:[1,0,0]
	v_mov_b32_e32 v49, v37
	s_delay_alu instid0(VALU_DEP_1)
	v_pk_add_f32 v[34:35], v[34:35], v[48:49] neg_lo:[0,1] neg_hi:[0,1]
.LBB28_209:
	s_or_b32 exec_lo, exec_lo, s0
	v_lshl_add_u32 v36, v44, 3, v40
	s_barrier_signal -1
	s_barrier_wait -1
	ds_store_b64 v36, v[4:5]
	s_wait_dscnt 0x0
	s_barrier_signal -1
	s_barrier_wait -1
	ds_load_b64 v[36:37], v40 offset:80
	v_mov_b32_e32 v38, 10
	s_cmp_lt_i32 s14, 12
	s_cbranch_scc1 .LBB28_212
; %bb.210:
	v_add3_u32 v39, v41, 0, 0x58
	v_mov_b32_e32 v38, 10
	s_mov_b32 s0, 11
.LBB28_211:                             ; =>This Inner Loop Header: Depth=1
	ds_load_b64 v[46:47], v39
	s_wait_dscnt 0x1
	v_cmp_gt_f32_e32 vcc_lo, 0, v36
	v_cndmask_b32_e64 v48, v36, -v36, vcc_lo
	v_cmp_gt_f32_e32 vcc_lo, 0, v37
	v_cndmask_b32_e64 v50, v37, -v37, vcc_lo
	s_wait_dscnt 0x0
	v_cmp_gt_f32_e32 vcc_lo, 0, v46
	v_cndmask_b32_e64 v49, v46, -v46, vcc_lo
	v_cmp_gt_f32_e32 vcc_lo, 0, v47
	v_cndmask_b32_e64 v51, v47, -v47, vcc_lo
	s_delay_alu instid0(VALU_DEP_1) | instskip(NEXT) | instid1(VALU_DEP_1)
	v_pk_add_f32 v[48:49], v[48:49], v[50:51]
	v_cmp_lt_f32_e32 vcc_lo, v48, v49
	v_dual_cndmask_b32 v36, v36, v46 :: v_dual_add_nc_u32 v39, 8, v39
	v_cndmask_b32_e32 v37, v37, v47, vcc_lo
	v_cndmask_b32_e64 v38, v38, s0, vcc_lo
	s_add_co_i32 s0, s0, 1
	s_delay_alu instid0(SALU_CYCLE_1)
	s_cmp_lg_u32 s14, s0
	s_cbranch_scc1 .LBB28_211
.LBB28_212:
	s_wait_dscnt 0x0
	v_cmp_eq_f32_e32 vcc_lo, 0, v36
	v_cmp_eq_f32_e64 s0, 0, v37
	s_and_b32 s0, vcc_lo, s0
	s_delay_alu instid0(SALU_CYCLE_1) | instskip(NEXT) | instid1(SALU_CYCLE_1)
	s_and_saveexec_b32 s1, s0
	s_xor_b32 s0, exec_lo, s1
; %bb.213:
	v_cmp_ne_u32_e32 vcc_lo, 0, v43
	v_cndmask_b32_e32 v43, 11, v43, vcc_lo
; %bb.214:
	s_and_not1_saveexec_b32 s0, s0
	s_cbranch_execz .LBB28_220
; %bb.215:
	v_cmp_ngt_f32_e64 s1, |v36|, |v37|
	s_and_saveexec_b32 s15, s1
	s_delay_alu instid0(SALU_CYCLE_1)
	s_xor_b32 s1, exec_lo, s15
	s_cbranch_execz .LBB28_217
; %bb.216:
	v_div_scale_f32 v39, null, v37, v37, v36
	v_div_scale_f32 v47, vcc_lo, v36, v37, v36
	s_delay_alu instid0(VALU_DEP_2) | instskip(SKIP_1) | instid1(TRANS32_DEP_1)
	v_rcp_f32_e32 v45, v39
	v_nop
	v_fma_f32 v46, -v39, v45, 1.0
	s_delay_alu instid0(VALU_DEP_1) | instskip(NEXT) | instid1(VALU_DEP_1)
	v_fmac_f32_e32 v45, v46, v45
	v_mul_f32_e32 v46, v47, v45
	s_delay_alu instid0(VALU_DEP_1) | instskip(NEXT) | instid1(VALU_DEP_1)
	v_fma_f32 v48, -v39, v46, v47
	v_fmac_f32_e32 v46, v48, v45
	s_delay_alu instid0(VALU_DEP_1) | instskip(NEXT) | instid1(VALU_DEP_1)
	v_fma_f32 v39, -v39, v46, v47
	v_div_fmas_f32 v39, v39, v45, v46
	s_delay_alu instid0(VALU_DEP_1) | instskip(NEXT) | instid1(VALU_DEP_1)
	v_div_fixup_f32 v39, v39, v37, v36
	v_fmac_f32_e32 v37, v36, v39
	s_delay_alu instid0(VALU_DEP_1) | instskip(SKIP_1) | instid1(VALU_DEP_2)
	v_div_scale_f32 v36, null, v37, v37, 1.0
	v_div_scale_f32 v47, vcc_lo, 1.0, v37, 1.0
	v_rcp_f32_e32 v45, v36
	v_nop
	s_delay_alu instid0(TRANS32_DEP_1) | instskip(NEXT) | instid1(VALU_DEP_1)
	v_fma_f32 v46, -v36, v45, 1.0
	v_fmac_f32_e32 v45, v46, v45
	s_delay_alu instid0(VALU_DEP_1) | instskip(NEXT) | instid1(VALU_DEP_1)
	v_mul_f32_e32 v46, v47, v45
	v_fma_f32 v48, -v36, v46, v47
	s_delay_alu instid0(VALU_DEP_1) | instskip(NEXT) | instid1(VALU_DEP_1)
	v_fmac_f32_e32 v46, v48, v45
	v_fma_f32 v36, -v36, v46, v47
	s_delay_alu instid0(VALU_DEP_1) | instskip(NEXT) | instid1(VALU_DEP_1)
	v_div_fmas_f32 v36, v36, v45, v46
	v_div_fixup_f32 v37, v36, v37, 1.0
	s_delay_alu instid0(VALU_DEP_1)
	v_mul_f32_e32 v36, v39, v37
	v_xor_b32_e32 v37, 0x80000000, v37
.LBB28_217:
	s_and_not1_saveexec_b32 s1, s1
	s_cbranch_execz .LBB28_219
; %bb.218:
	s_delay_alu instid0(VALU_DEP_1) | instskip(SKIP_1) | instid1(VALU_DEP_2)
	v_div_scale_f32 v39, null, v36, v36, v37
	v_div_scale_f32 v47, vcc_lo, v37, v36, v37
	v_rcp_f32_e32 v45, v39
	v_nop
	s_delay_alu instid0(TRANS32_DEP_1) | instskip(NEXT) | instid1(VALU_DEP_1)
	v_fma_f32 v46, -v39, v45, 1.0
	v_fmac_f32_e32 v45, v46, v45
	s_delay_alu instid0(VALU_DEP_1) | instskip(NEXT) | instid1(VALU_DEP_1)
	v_mul_f32_e32 v46, v47, v45
	v_fma_f32 v48, -v39, v46, v47
	s_delay_alu instid0(VALU_DEP_1) | instskip(NEXT) | instid1(VALU_DEP_1)
	v_fmac_f32_e32 v46, v48, v45
	v_fma_f32 v39, -v39, v46, v47
	s_delay_alu instid0(VALU_DEP_1) | instskip(NEXT) | instid1(VALU_DEP_1)
	v_div_fmas_f32 v39, v39, v45, v46
	v_div_fixup_f32 v39, v39, v36, v37
	s_delay_alu instid0(VALU_DEP_1) | instskip(NEXT) | instid1(VALU_DEP_1)
	v_fmac_f32_e32 v36, v37, v39
	v_div_scale_f32 v37, null, v36, v36, 1.0
	s_delay_alu instid0(VALU_DEP_1) | instskip(SKIP_1) | instid1(TRANS32_DEP_1)
	v_rcp_f32_e32 v45, v37
	v_nop
	v_fma_f32 v46, -v37, v45, 1.0
	s_delay_alu instid0(VALU_DEP_1) | instskip(SKIP_1) | instid1(VALU_DEP_1)
	v_fmac_f32_e32 v45, v46, v45
	v_div_scale_f32 v46, vcc_lo, 1.0, v36, 1.0
	v_mul_f32_e32 v47, v46, v45
	s_delay_alu instid0(VALU_DEP_1) | instskip(NEXT) | instid1(VALU_DEP_1)
	v_fma_f32 v48, -v37, v47, v46
	v_fmac_f32_e32 v47, v48, v45
	s_delay_alu instid0(VALU_DEP_1) | instskip(NEXT) | instid1(VALU_DEP_1)
	v_fma_f32 v37, -v37, v47, v46
	v_div_fmas_f32 v37, v37, v45, v47
	s_delay_alu instid0(VALU_DEP_1) | instskip(NEXT) | instid1(VALU_DEP_1)
	v_div_fixup_f32 v36, v37, v36, 1.0
	v_mul_f32_e64 v37, v39, -v36
.LBB28_219:
	s_or_b32 exec_lo, exec_lo, s1
.LBB28_220:
	s_delay_alu instid0(SALU_CYCLE_1) | instskip(NEXT) | instid1(SALU_CYCLE_1)
	s_or_b32 exec_lo, exec_lo, s0
	s_mov_b32 s0, exec_lo
	v_cmpx_ne_u32_e64 v44, v38
	s_xor_b32 s0, exec_lo, s0
	s_cbranch_execz .LBB28_226
; %bb.221:
	s_mov_b32 s1, exec_lo
	v_cmpx_eq_u32_e32 10, v44
	s_cbranch_execz .LBB28_225
; %bb.222:
	v_cmp_ne_u32_e32 vcc_lo, 10, v38
	s_xor_b32 s15, s12, -1
	s_delay_alu instid0(SALU_CYCLE_1) | instskip(NEXT) | instid1(SALU_CYCLE_1)
	s_and_b32 s16, s15, vcc_lo
	s_and_saveexec_b32 s15, s16
	s_cbranch_execz .LBB28_224
; %bb.223:
	v_ashrrev_i32_e32 v39, 31, v38
	s_delay_alu instid0(VALU_DEP_1)
	v_lshl_add_u64 v[44:45], v[38:39], 2, v[30:31]
	s_clause 0x1
	global_load_b32 v39, v[44:45], off
	global_load_b32 v42, v[30:31], off offset:40
	s_wait_loadcnt 0x1
	global_store_b32 v[30:31], v39, off offset:40
	s_wait_loadcnt 0x0
	global_store_b32 v[44:45], v42, off
.LBB28_224:
	s_wait_xcnt 0x0
	s_or_b32 exec_lo, exec_lo, s15
	v_dual_mov_b32 v44, v38 :: v_dual_mov_b32 v42, v38
.LBB28_225:
	s_or_b32 exec_lo, exec_lo, s1
.LBB28_226:
	s_and_not1_saveexec_b32 s0, s0
	s_cbranch_execz .LBB28_228
; %bb.227:
	v_mov_b32_e32 v44, 10
	ds_store_2addr_b64 v40, v[18:19], v[16:17] offset0:11 offset1:12
	ds_store_2addr_b64 v40, v[14:15], v[34:35] offset0:13 offset1:14
.LBB28_228:
	s_or_b32 exec_lo, exec_lo, s0
	s_delay_alu instid0(SALU_CYCLE_1)
	s_mov_b32 s0, exec_lo
	s_wait_storecnt_dscnt 0x0
	s_barrier_signal -1
	s_barrier_wait -1
	v_cmpx_lt_i32_e32 10, v44
	s_cbranch_execz .LBB28_230
; %bb.229:
	ds_load_2addr_b64 v[46:49], v40 offset0:11 offset1:12
	ds_load_2addr_b64 v[50:53], v40 offset0:13 offset1:14
	v_pk_mul_f32 v[38:39], v[36:37], v[4:5] op_sel:[1,1] op_sel_hi:[0,1]
	s_delay_alu instid0(VALU_DEP_1) | instskip(SKIP_1) | instid1(VALU_DEP_1)
	v_pk_fma_f32 v[54:55], v[36:37], v[4:5], v[38:39] op_sel_hi:[1,0,1] neg_lo:[0,0,1] neg_hi:[0,0,1]
	v_pk_fma_f32 v[36:37], v[36:37], v[4:5], v[38:39] op_sel_hi:[1,0,1]
	v_dual_mov_b32 v4, v54 :: v_dual_mov_b32 v5, v37
	s_wait_dscnt 0x1
	s_delay_alu instid0(VALU_DEP_2)
	v_pk_mul_f32 v[38:39], v[46:47], v[36:37] op_sel:[0,1]
	s_wait_dscnt 0x0
	v_mov_b32_e32 v56, v53
	v_pk_mul_f32 v[58:59], v[48:49], v[36:37] op_sel:[0,1]
	v_pk_mul_f32 v[60:61], v[50:51], v[36:37] op_sel:[0,1]
	v_pk_fma_f32 v[62:63], v[46:47], v[54:55], v[38:39] op_sel:[0,0,1] op_sel_hi:[1,1,0] neg_lo:[0,0,1] neg_hi:[0,0,1]
	v_pk_fma_f32 v[38:39], v[46:47], v[54:55], v[38:39] op_sel:[0,0,1] op_sel_hi:[1,0,0]
	s_delay_alu instid0(VALU_DEP_1) | instskip(NEXT) | instid1(VALU_DEP_1)
	v_dual_mov_b32 v57, v52 :: v_dual_mov_b32 v63, v39
	v_pk_mul_f32 v[46:47], v[56:57], v[36:37] op_sel:[0,1]
	v_pk_fma_f32 v[56:57], v[48:49], v[54:55], v[58:59] op_sel:[0,0,1] op_sel_hi:[1,0,0]
	v_pk_fma_f32 v[48:49], v[48:49], v[54:55], v[58:59] op_sel:[0,0,1] op_sel_hi:[1,1,0] neg_lo:[0,0,1] neg_hi:[0,0,1]
	v_pk_fma_f32 v[58:59], v[50:51], v[54:55], v[60:61] op_sel:[0,0,1] op_sel_hi:[1,0,0]
	v_pk_fma_f32 v[50:51], v[50:51], v[54:55], v[60:61] op_sel:[0,0,1] op_sel_hi:[1,1,0] neg_lo:[0,0,1] neg_hi:[0,0,1]
	v_pk_fma_f32 v[38:39], v[52:53], v[54:55], v[46:47] op_sel_hi:[1,0,1]
	v_pk_fma_f32 v[46:47], v[52:53], v[54:55], v[46:47] neg_lo:[0,0,1] neg_hi:[0,0,1]
	s_delay_alu instid0(VALU_DEP_4) | instskip(SKIP_1) | instid1(VALU_DEP_4)
	v_dual_mov_b32 v49, v57 :: v_dual_mov_b32 v51, v59
	v_pk_add_f32 v[18:19], v[18:19], v[62:63] neg_lo:[0,1] neg_hi:[0,1]
	v_mov_b32_e32 v47, v39
	s_delay_alu instid0(VALU_DEP_3) | instskip(NEXT) | instid1(VALU_DEP_4)
	v_pk_add_f32 v[16:17], v[16:17], v[48:49] neg_lo:[0,1] neg_hi:[0,1]
	v_pk_add_f32 v[14:15], v[14:15], v[50:51] neg_lo:[0,1] neg_hi:[0,1]
	s_delay_alu instid0(VALU_DEP_3)
	v_pk_add_f32 v[34:35], v[34:35], v[46:47] neg_lo:[0,1] neg_hi:[0,1]
.LBB28_230:
	s_or_b32 exec_lo, exec_lo, s0
	v_lshl_add_u32 v36, v44, 3, v40
	s_barrier_signal -1
	s_barrier_wait -1
	ds_store_b64 v36, v[18:19]
	s_wait_dscnt 0x0
	s_barrier_signal -1
	s_barrier_wait -1
	ds_load_b64 v[36:37], v40 offset:88
	v_mov_b32_e32 v38, 11
	s_cmp_lt_i32 s14, 13
	s_cbranch_scc1 .LBB28_233
; %bb.231:
	v_add3_u32 v39, v41, 0, 0x60
	v_mov_b32_e32 v38, 11
	s_mov_b32 s0, 12
.LBB28_232:                             ; =>This Inner Loop Header: Depth=1
	ds_load_b64 v[46:47], v39
	s_wait_dscnt 0x1
	v_cmp_gt_f32_e32 vcc_lo, 0, v36
	v_cndmask_b32_e64 v48, v36, -v36, vcc_lo
	v_cmp_gt_f32_e32 vcc_lo, 0, v37
	v_cndmask_b32_e64 v50, v37, -v37, vcc_lo
	s_wait_dscnt 0x0
	v_cmp_gt_f32_e32 vcc_lo, 0, v46
	v_cndmask_b32_e64 v49, v46, -v46, vcc_lo
	v_cmp_gt_f32_e32 vcc_lo, 0, v47
	v_cndmask_b32_e64 v51, v47, -v47, vcc_lo
	s_delay_alu instid0(VALU_DEP_1) | instskip(NEXT) | instid1(VALU_DEP_1)
	v_pk_add_f32 v[48:49], v[48:49], v[50:51]
	v_cmp_lt_f32_e32 vcc_lo, v48, v49
	v_dual_cndmask_b32 v36, v36, v46 :: v_dual_add_nc_u32 v39, 8, v39
	v_cndmask_b32_e32 v37, v37, v47, vcc_lo
	v_cndmask_b32_e64 v38, v38, s0, vcc_lo
	s_add_co_i32 s0, s0, 1
	s_delay_alu instid0(SALU_CYCLE_1)
	s_cmp_lg_u32 s14, s0
	s_cbranch_scc1 .LBB28_232
.LBB28_233:
	s_wait_dscnt 0x0
	v_cmp_eq_f32_e32 vcc_lo, 0, v36
	v_cmp_eq_f32_e64 s0, 0, v37
	s_and_b32 s0, vcc_lo, s0
	s_delay_alu instid0(SALU_CYCLE_1) | instskip(NEXT) | instid1(SALU_CYCLE_1)
	s_and_saveexec_b32 s1, s0
	s_xor_b32 s0, exec_lo, s1
; %bb.234:
	v_cmp_ne_u32_e32 vcc_lo, 0, v43
	v_cndmask_b32_e32 v43, 12, v43, vcc_lo
; %bb.235:
	s_and_not1_saveexec_b32 s0, s0
	s_cbranch_execz .LBB28_241
; %bb.236:
	v_cmp_ngt_f32_e64 s1, |v36|, |v37|
	s_and_saveexec_b32 s15, s1
	s_delay_alu instid0(SALU_CYCLE_1)
	s_xor_b32 s1, exec_lo, s15
	s_cbranch_execz .LBB28_238
; %bb.237:
	v_div_scale_f32 v39, null, v37, v37, v36
	v_div_scale_f32 v47, vcc_lo, v36, v37, v36
	s_delay_alu instid0(VALU_DEP_2) | instskip(SKIP_1) | instid1(TRANS32_DEP_1)
	v_rcp_f32_e32 v45, v39
	v_nop
	v_fma_f32 v46, -v39, v45, 1.0
	s_delay_alu instid0(VALU_DEP_1) | instskip(NEXT) | instid1(VALU_DEP_1)
	v_fmac_f32_e32 v45, v46, v45
	v_mul_f32_e32 v46, v47, v45
	s_delay_alu instid0(VALU_DEP_1) | instskip(NEXT) | instid1(VALU_DEP_1)
	v_fma_f32 v48, -v39, v46, v47
	v_fmac_f32_e32 v46, v48, v45
	s_delay_alu instid0(VALU_DEP_1) | instskip(NEXT) | instid1(VALU_DEP_1)
	v_fma_f32 v39, -v39, v46, v47
	v_div_fmas_f32 v39, v39, v45, v46
	s_delay_alu instid0(VALU_DEP_1) | instskip(NEXT) | instid1(VALU_DEP_1)
	v_div_fixup_f32 v39, v39, v37, v36
	v_fmac_f32_e32 v37, v36, v39
	s_delay_alu instid0(VALU_DEP_1) | instskip(SKIP_1) | instid1(VALU_DEP_2)
	v_div_scale_f32 v36, null, v37, v37, 1.0
	v_div_scale_f32 v47, vcc_lo, 1.0, v37, 1.0
	v_rcp_f32_e32 v45, v36
	v_nop
	s_delay_alu instid0(TRANS32_DEP_1) | instskip(NEXT) | instid1(VALU_DEP_1)
	v_fma_f32 v46, -v36, v45, 1.0
	v_fmac_f32_e32 v45, v46, v45
	s_delay_alu instid0(VALU_DEP_1) | instskip(NEXT) | instid1(VALU_DEP_1)
	v_mul_f32_e32 v46, v47, v45
	v_fma_f32 v48, -v36, v46, v47
	s_delay_alu instid0(VALU_DEP_1) | instskip(NEXT) | instid1(VALU_DEP_1)
	v_fmac_f32_e32 v46, v48, v45
	v_fma_f32 v36, -v36, v46, v47
	s_delay_alu instid0(VALU_DEP_1) | instskip(NEXT) | instid1(VALU_DEP_1)
	v_div_fmas_f32 v36, v36, v45, v46
	v_div_fixup_f32 v37, v36, v37, 1.0
	s_delay_alu instid0(VALU_DEP_1)
	v_mul_f32_e32 v36, v39, v37
	v_xor_b32_e32 v37, 0x80000000, v37
.LBB28_238:
	s_and_not1_saveexec_b32 s1, s1
	s_cbranch_execz .LBB28_240
; %bb.239:
	s_delay_alu instid0(VALU_DEP_1) | instskip(SKIP_1) | instid1(VALU_DEP_2)
	v_div_scale_f32 v39, null, v36, v36, v37
	v_div_scale_f32 v47, vcc_lo, v37, v36, v37
	v_rcp_f32_e32 v45, v39
	v_nop
	s_delay_alu instid0(TRANS32_DEP_1) | instskip(NEXT) | instid1(VALU_DEP_1)
	v_fma_f32 v46, -v39, v45, 1.0
	v_fmac_f32_e32 v45, v46, v45
	s_delay_alu instid0(VALU_DEP_1) | instskip(NEXT) | instid1(VALU_DEP_1)
	v_mul_f32_e32 v46, v47, v45
	v_fma_f32 v48, -v39, v46, v47
	s_delay_alu instid0(VALU_DEP_1) | instskip(NEXT) | instid1(VALU_DEP_1)
	v_fmac_f32_e32 v46, v48, v45
	v_fma_f32 v39, -v39, v46, v47
	s_delay_alu instid0(VALU_DEP_1) | instskip(NEXT) | instid1(VALU_DEP_1)
	v_div_fmas_f32 v39, v39, v45, v46
	v_div_fixup_f32 v39, v39, v36, v37
	s_delay_alu instid0(VALU_DEP_1) | instskip(NEXT) | instid1(VALU_DEP_1)
	v_fmac_f32_e32 v36, v37, v39
	v_div_scale_f32 v37, null, v36, v36, 1.0
	s_delay_alu instid0(VALU_DEP_1) | instskip(SKIP_1) | instid1(TRANS32_DEP_1)
	v_rcp_f32_e32 v45, v37
	v_nop
	v_fma_f32 v46, -v37, v45, 1.0
	s_delay_alu instid0(VALU_DEP_1) | instskip(SKIP_1) | instid1(VALU_DEP_1)
	v_fmac_f32_e32 v45, v46, v45
	v_div_scale_f32 v46, vcc_lo, 1.0, v36, 1.0
	v_mul_f32_e32 v47, v46, v45
	s_delay_alu instid0(VALU_DEP_1) | instskip(NEXT) | instid1(VALU_DEP_1)
	v_fma_f32 v48, -v37, v47, v46
	v_fmac_f32_e32 v47, v48, v45
	s_delay_alu instid0(VALU_DEP_1) | instskip(NEXT) | instid1(VALU_DEP_1)
	v_fma_f32 v37, -v37, v47, v46
	v_div_fmas_f32 v37, v37, v45, v47
	s_delay_alu instid0(VALU_DEP_1) | instskip(NEXT) | instid1(VALU_DEP_1)
	v_div_fixup_f32 v36, v37, v36, 1.0
	v_mul_f32_e64 v37, v39, -v36
.LBB28_240:
	s_or_b32 exec_lo, exec_lo, s1
.LBB28_241:
	s_delay_alu instid0(SALU_CYCLE_1) | instskip(NEXT) | instid1(SALU_CYCLE_1)
	s_or_b32 exec_lo, exec_lo, s0
	s_mov_b32 s0, exec_lo
	v_cmpx_ne_u32_e64 v44, v38
	s_xor_b32 s0, exec_lo, s0
	s_cbranch_execz .LBB28_247
; %bb.242:
	s_mov_b32 s1, exec_lo
	v_cmpx_eq_u32_e32 11, v44
	s_cbranch_execz .LBB28_246
; %bb.243:
	v_cmp_ne_u32_e32 vcc_lo, 11, v38
	s_xor_b32 s15, s12, -1
	s_delay_alu instid0(SALU_CYCLE_1) | instskip(NEXT) | instid1(SALU_CYCLE_1)
	s_and_b32 s16, s15, vcc_lo
	s_and_saveexec_b32 s15, s16
	s_cbranch_execz .LBB28_245
; %bb.244:
	v_ashrrev_i32_e32 v39, 31, v38
	s_delay_alu instid0(VALU_DEP_1)
	v_lshl_add_u64 v[44:45], v[38:39], 2, v[30:31]
	s_clause 0x1
	global_load_b32 v39, v[44:45], off
	global_load_b32 v42, v[30:31], off offset:44
	s_wait_loadcnt 0x1
	global_store_b32 v[30:31], v39, off offset:44
	s_wait_loadcnt 0x0
	global_store_b32 v[44:45], v42, off
.LBB28_245:
	s_wait_xcnt 0x0
	s_or_b32 exec_lo, exec_lo, s15
	v_dual_mov_b32 v44, v38 :: v_dual_mov_b32 v42, v38
.LBB28_246:
	s_or_b32 exec_lo, exec_lo, s1
.LBB28_247:
	s_and_not1_saveexec_b32 s0, s0
	s_cbranch_execz .LBB28_249
; %bb.248:
	v_dual_mov_b32 v38, v16 :: v_dual_mov_b32 v39, v17
	v_dual_mov_b32 v46, v14 :: v_dual_mov_b32 v47, v15
	v_mov_b32_e32 v44, 11
	ds_store_2addr_b64 v40, v[38:39], v[46:47] offset0:12 offset1:13
	ds_store_b64 v40, v[34:35] offset:112
.LBB28_249:
	s_or_b32 exec_lo, exec_lo, s0
	s_delay_alu instid0(SALU_CYCLE_1)
	s_mov_b32 s0, exec_lo
	s_wait_storecnt_dscnt 0x0
	s_barrier_signal -1
	s_barrier_wait -1
	v_cmpx_lt_i32_e32 11, v44
	s_cbranch_execz .LBB28_251
; %bb.250:
	ds_load_2addr_b64 v[46:49], v40 offset0:12 offset1:13
	ds_load_b64 v[38:39], v40 offset:112
	v_pk_mul_f32 v[50:51], v[36:37], v[18:19] op_sel:[1,1] op_sel_hi:[0,1]
	s_delay_alu instid0(VALU_DEP_1) | instskip(SKIP_2) | instid1(VALU_DEP_2)
	v_pk_fma_f32 v[52:53], v[36:37], v[18:19], v[50:51] op_sel_hi:[1,0,1]
	v_pk_fma_f32 v[18:19], v[36:37], v[18:19], v[50:51] op_sel_hi:[1,0,1] neg_lo:[0,0,1] neg_hi:[0,0,1]
	s_wait_dscnt 0x1
	v_pk_mul_f32 v[36:37], v[46:47], v[52:53] op_sel:[0,1]
	v_pk_mul_f32 v[50:51], v[48:49], v[52:53] op_sel:[0,1]
	s_wait_dscnt 0x0
	v_pk_mul_f32 v[54:55], v[38:39], v[52:53] op_sel:[1,1] op_sel_hi:[0,1]
	s_delay_alu instid0(VALU_DEP_3) | instskip(SKIP_2) | instid1(VALU_DEP_4)
	v_pk_fma_f32 v[56:57], v[46:47], v[18:19], v[36:37] op_sel:[0,0,1] op_sel_hi:[1,1,0] neg_lo:[0,0,1] neg_hi:[0,0,1]
	v_pk_fma_f32 v[36:37], v[46:47], v[18:19], v[36:37] op_sel:[0,0,1] op_sel_hi:[1,0,0]
	v_pk_fma_f32 v[46:47], v[48:49], v[18:19], v[50:51] op_sel:[0,0,1] op_sel_hi:[1,0,0]
	v_pk_fma_f32 v[58:59], v[38:39], v[18:19], v[54:55] op_sel_hi:[1,0,1]
	v_pk_fma_f32 v[48:49], v[48:49], v[18:19], v[50:51] op_sel:[0,0,1] op_sel_hi:[1,1,0] neg_lo:[0,0,1] neg_hi:[0,0,1]
	v_pk_fma_f32 v[38:39], v[38:39], v[18:19], v[54:55] neg_lo:[0,0,1] neg_hi:[0,0,1]
	s_delay_alu instid0(VALU_DEP_4) | instskip(NEXT) | instid1(VALU_DEP_4)
	v_dual_mov_b32 v57, v37 :: v_dual_mov_b32 v49, v47
	v_dual_mov_b32 v39, v59 :: v_dual_mov_b32 v19, v53
	s_delay_alu instid0(VALU_DEP_2) | instskip(NEXT) | instid1(VALU_DEP_3)
	v_pk_add_f32 v[16:17], v[16:17], v[56:57] neg_lo:[0,1] neg_hi:[0,1]
	v_pk_add_f32 v[14:15], v[14:15], v[48:49] neg_lo:[0,1] neg_hi:[0,1]
	s_delay_alu instid0(VALU_DEP_3)
	v_pk_add_f32 v[34:35], v[34:35], v[38:39] neg_lo:[0,1] neg_hi:[0,1]
.LBB28_251:
	s_or_b32 exec_lo, exec_lo, s0
	v_lshl_add_u32 v36, v44, 3, v40
	s_barrier_signal -1
	s_barrier_wait -1
	ds_store_b64 v36, v[16:17]
	s_wait_dscnt 0x0
	s_barrier_signal -1
	s_barrier_wait -1
	ds_load_b64 v[36:37], v40 offset:96
	v_mov_b32_e32 v38, 12
	s_cmp_lt_i32 s14, 14
	s_cbranch_scc1 .LBB28_254
; %bb.252:
	v_add3_u32 v39, v41, 0, 0x68
	v_mov_b32_e32 v38, 12
	s_mov_b32 s0, 13
.LBB28_253:                             ; =>This Inner Loop Header: Depth=1
	ds_load_b64 v[46:47], v39
	s_wait_dscnt 0x1
	v_cmp_gt_f32_e32 vcc_lo, 0, v36
	v_cndmask_b32_e64 v48, v36, -v36, vcc_lo
	v_cmp_gt_f32_e32 vcc_lo, 0, v37
	v_cndmask_b32_e64 v50, v37, -v37, vcc_lo
	s_wait_dscnt 0x0
	v_cmp_gt_f32_e32 vcc_lo, 0, v46
	v_cndmask_b32_e64 v49, v46, -v46, vcc_lo
	v_cmp_gt_f32_e32 vcc_lo, 0, v47
	v_cndmask_b32_e64 v51, v47, -v47, vcc_lo
	s_delay_alu instid0(VALU_DEP_1) | instskip(NEXT) | instid1(VALU_DEP_1)
	v_pk_add_f32 v[48:49], v[48:49], v[50:51]
	v_cmp_lt_f32_e32 vcc_lo, v48, v49
	v_dual_cndmask_b32 v36, v36, v46 :: v_dual_add_nc_u32 v39, 8, v39
	v_cndmask_b32_e32 v37, v37, v47, vcc_lo
	v_cndmask_b32_e64 v38, v38, s0, vcc_lo
	s_add_co_i32 s0, s0, 1
	s_delay_alu instid0(SALU_CYCLE_1)
	s_cmp_lg_u32 s14, s0
	s_cbranch_scc1 .LBB28_253
.LBB28_254:
	s_wait_dscnt 0x0
	v_cmp_eq_f32_e32 vcc_lo, 0, v36
	v_cmp_eq_f32_e64 s0, 0, v37
	s_and_b32 s0, vcc_lo, s0
	s_delay_alu instid0(SALU_CYCLE_1) | instskip(NEXT) | instid1(SALU_CYCLE_1)
	s_and_saveexec_b32 s1, s0
	s_xor_b32 s0, exec_lo, s1
; %bb.255:
	v_cmp_ne_u32_e32 vcc_lo, 0, v43
	v_cndmask_b32_e32 v43, 13, v43, vcc_lo
; %bb.256:
	s_and_not1_saveexec_b32 s0, s0
	s_cbranch_execz .LBB28_262
; %bb.257:
	v_cmp_ngt_f32_e64 s1, |v36|, |v37|
	s_and_saveexec_b32 s15, s1
	s_delay_alu instid0(SALU_CYCLE_1)
	s_xor_b32 s1, exec_lo, s15
	s_cbranch_execz .LBB28_259
; %bb.258:
	v_div_scale_f32 v39, null, v37, v37, v36
	v_div_scale_f32 v47, vcc_lo, v36, v37, v36
	s_delay_alu instid0(VALU_DEP_2) | instskip(SKIP_1) | instid1(TRANS32_DEP_1)
	v_rcp_f32_e32 v45, v39
	v_nop
	v_fma_f32 v46, -v39, v45, 1.0
	s_delay_alu instid0(VALU_DEP_1) | instskip(NEXT) | instid1(VALU_DEP_1)
	v_fmac_f32_e32 v45, v46, v45
	v_mul_f32_e32 v46, v47, v45
	s_delay_alu instid0(VALU_DEP_1) | instskip(NEXT) | instid1(VALU_DEP_1)
	v_fma_f32 v48, -v39, v46, v47
	v_fmac_f32_e32 v46, v48, v45
	s_delay_alu instid0(VALU_DEP_1) | instskip(NEXT) | instid1(VALU_DEP_1)
	v_fma_f32 v39, -v39, v46, v47
	v_div_fmas_f32 v39, v39, v45, v46
	s_delay_alu instid0(VALU_DEP_1) | instskip(NEXT) | instid1(VALU_DEP_1)
	v_div_fixup_f32 v39, v39, v37, v36
	v_fmac_f32_e32 v37, v36, v39
	s_delay_alu instid0(VALU_DEP_1) | instskip(SKIP_1) | instid1(VALU_DEP_2)
	v_div_scale_f32 v36, null, v37, v37, 1.0
	v_div_scale_f32 v47, vcc_lo, 1.0, v37, 1.0
	v_rcp_f32_e32 v45, v36
	v_nop
	s_delay_alu instid0(TRANS32_DEP_1) | instskip(NEXT) | instid1(VALU_DEP_1)
	v_fma_f32 v46, -v36, v45, 1.0
	v_fmac_f32_e32 v45, v46, v45
	s_delay_alu instid0(VALU_DEP_1) | instskip(NEXT) | instid1(VALU_DEP_1)
	v_mul_f32_e32 v46, v47, v45
	v_fma_f32 v48, -v36, v46, v47
	s_delay_alu instid0(VALU_DEP_1) | instskip(NEXT) | instid1(VALU_DEP_1)
	v_fmac_f32_e32 v46, v48, v45
	v_fma_f32 v36, -v36, v46, v47
	s_delay_alu instid0(VALU_DEP_1) | instskip(NEXT) | instid1(VALU_DEP_1)
	v_div_fmas_f32 v36, v36, v45, v46
	v_div_fixup_f32 v37, v36, v37, 1.0
	s_delay_alu instid0(VALU_DEP_1)
	v_mul_f32_e32 v36, v39, v37
	v_xor_b32_e32 v37, 0x80000000, v37
.LBB28_259:
	s_and_not1_saveexec_b32 s1, s1
	s_cbranch_execz .LBB28_261
; %bb.260:
	s_delay_alu instid0(VALU_DEP_1) | instskip(SKIP_1) | instid1(VALU_DEP_2)
	v_div_scale_f32 v39, null, v36, v36, v37
	v_div_scale_f32 v47, vcc_lo, v37, v36, v37
	v_rcp_f32_e32 v45, v39
	v_nop
	s_delay_alu instid0(TRANS32_DEP_1) | instskip(NEXT) | instid1(VALU_DEP_1)
	v_fma_f32 v46, -v39, v45, 1.0
	v_fmac_f32_e32 v45, v46, v45
	s_delay_alu instid0(VALU_DEP_1) | instskip(NEXT) | instid1(VALU_DEP_1)
	v_mul_f32_e32 v46, v47, v45
	v_fma_f32 v48, -v39, v46, v47
	s_delay_alu instid0(VALU_DEP_1) | instskip(NEXT) | instid1(VALU_DEP_1)
	v_fmac_f32_e32 v46, v48, v45
	v_fma_f32 v39, -v39, v46, v47
	s_delay_alu instid0(VALU_DEP_1) | instskip(NEXT) | instid1(VALU_DEP_1)
	v_div_fmas_f32 v39, v39, v45, v46
	v_div_fixup_f32 v39, v39, v36, v37
	s_delay_alu instid0(VALU_DEP_1) | instskip(NEXT) | instid1(VALU_DEP_1)
	v_fmac_f32_e32 v36, v37, v39
	v_div_scale_f32 v37, null, v36, v36, 1.0
	s_delay_alu instid0(VALU_DEP_1) | instskip(SKIP_1) | instid1(TRANS32_DEP_1)
	v_rcp_f32_e32 v45, v37
	v_nop
	v_fma_f32 v46, -v37, v45, 1.0
	s_delay_alu instid0(VALU_DEP_1) | instskip(SKIP_1) | instid1(VALU_DEP_1)
	v_fmac_f32_e32 v45, v46, v45
	v_div_scale_f32 v46, vcc_lo, 1.0, v36, 1.0
	v_mul_f32_e32 v47, v46, v45
	s_delay_alu instid0(VALU_DEP_1) | instskip(NEXT) | instid1(VALU_DEP_1)
	v_fma_f32 v48, -v37, v47, v46
	v_fmac_f32_e32 v47, v48, v45
	s_delay_alu instid0(VALU_DEP_1) | instskip(NEXT) | instid1(VALU_DEP_1)
	v_fma_f32 v37, -v37, v47, v46
	v_div_fmas_f32 v37, v37, v45, v47
	s_delay_alu instid0(VALU_DEP_1) | instskip(NEXT) | instid1(VALU_DEP_1)
	v_div_fixup_f32 v36, v37, v36, 1.0
	v_mul_f32_e64 v37, v39, -v36
.LBB28_261:
	s_or_b32 exec_lo, exec_lo, s1
.LBB28_262:
	s_delay_alu instid0(SALU_CYCLE_1) | instskip(NEXT) | instid1(SALU_CYCLE_1)
	s_or_b32 exec_lo, exec_lo, s0
	s_mov_b32 s0, exec_lo
	v_cmpx_ne_u32_e64 v44, v38
	s_xor_b32 s0, exec_lo, s0
	s_cbranch_execz .LBB28_268
; %bb.263:
	s_mov_b32 s1, exec_lo
	v_cmpx_eq_u32_e32 12, v44
	s_cbranch_execz .LBB28_267
; %bb.264:
	v_cmp_ne_u32_e32 vcc_lo, 12, v38
	s_xor_b32 s15, s12, -1
	s_delay_alu instid0(SALU_CYCLE_1) | instskip(NEXT) | instid1(SALU_CYCLE_1)
	s_and_b32 s16, s15, vcc_lo
	s_and_saveexec_b32 s15, s16
	s_cbranch_execz .LBB28_266
; %bb.265:
	v_ashrrev_i32_e32 v39, 31, v38
	s_delay_alu instid0(VALU_DEP_1)
	v_lshl_add_u64 v[44:45], v[38:39], 2, v[30:31]
	s_clause 0x1
	global_load_b32 v39, v[44:45], off
	global_load_b32 v42, v[30:31], off offset:48
	s_wait_loadcnt 0x1
	global_store_b32 v[30:31], v39, off offset:48
	s_wait_loadcnt 0x0
	global_store_b32 v[44:45], v42, off
.LBB28_266:
	s_wait_xcnt 0x0
	s_or_b32 exec_lo, exec_lo, s15
	v_dual_mov_b32 v44, v38 :: v_dual_mov_b32 v42, v38
.LBB28_267:
	s_or_b32 exec_lo, exec_lo, s1
.LBB28_268:
	s_and_not1_saveexec_b32 s0, s0
; %bb.269:
	v_mov_b32_e32 v44, 12
	ds_store_2addr_b64 v40, v[14:15], v[34:35] offset0:13 offset1:14
; %bb.270:
	s_or_b32 exec_lo, exec_lo, s0
	s_delay_alu instid0(SALU_CYCLE_1)
	s_mov_b32 s0, exec_lo
	s_wait_storecnt_dscnt 0x0
	s_barrier_signal -1
	s_barrier_wait -1
	v_cmpx_lt_i32_e32 12, v44
	s_cbranch_execz .LBB28_272
; %bb.271:
	ds_load_2addr_b64 v[46:49], v40 offset0:13 offset1:14
	v_pk_mul_f32 v[38:39], v[36:37], v[16:17] op_sel:[1,1] op_sel_hi:[0,1]
	s_delay_alu instid0(VALU_DEP_1) | instskip(SKIP_3) | instid1(VALU_DEP_3)
	v_pk_fma_f32 v[50:51], v[36:37], v[16:17], v[38:39] op_sel_hi:[1,0,1]
	v_pk_fma_f32 v[16:17], v[36:37], v[16:17], v[38:39] op_sel_hi:[1,0,1] neg_lo:[0,0,1] neg_hi:[0,0,1]
	s_wait_dscnt 0x0
	v_dual_mov_b32 v52, v49 :: v_dual_mov_b32 v53, v48
	v_pk_mul_f32 v[36:37], v[46:47], v[50:51] op_sel:[0,1]
	s_delay_alu instid0(VALU_DEP_2) | instskip(NEXT) | instid1(VALU_DEP_2)
	v_pk_mul_f32 v[38:39], v[52:53], v[50:51] op_sel:[0,1]
	v_pk_fma_f32 v[52:53], v[46:47], v[16:17], v[36:37] op_sel:[0,0,1] op_sel_hi:[1,0,0]
	v_pk_fma_f32 v[36:37], v[46:47], v[16:17], v[36:37] op_sel:[0,0,1] op_sel_hi:[1,1,0] neg_lo:[0,0,1] neg_hi:[0,0,1]
	s_delay_alu instid0(VALU_DEP_3) | instskip(SKIP_1) | instid1(VALU_DEP_4)
	v_pk_fma_f32 v[54:55], v[48:49], v[16:17], v[38:39] op_sel_hi:[1,0,1]
	v_pk_fma_f32 v[38:39], v[48:49], v[16:17], v[38:39] neg_lo:[0,0,1] neg_hi:[0,0,1]
	v_dual_mov_b32 v37, v53 :: v_dual_mov_b32 v17, v51
	s_delay_alu instid0(VALU_DEP_3) | instskip(NEXT) | instid1(VALU_DEP_2)
	v_mov_b32_e32 v39, v55
	v_pk_add_f32 v[14:15], v[14:15], v[36:37] neg_lo:[0,1] neg_hi:[0,1]
	s_delay_alu instid0(VALU_DEP_2)
	v_pk_add_f32 v[34:35], v[34:35], v[38:39] neg_lo:[0,1] neg_hi:[0,1]
.LBB28_272:
	s_or_b32 exec_lo, exec_lo, s0
	v_lshl_add_u32 v36, v44, 3, v40
	s_barrier_signal -1
	s_barrier_wait -1
	ds_store_b64 v36, v[14:15]
	s_wait_dscnt 0x0
	s_barrier_signal -1
	s_barrier_wait -1
	ds_load_b64 v[36:37], v40 offset:104
	v_mov_b32_e32 v38, 13
	s_cmp_lt_i32 s14, 15
	s_cbranch_scc1 .LBB28_275
; %bb.273:
	v_add3_u32 v39, v41, 0, 0x70
	v_mov_b32_e32 v38, 13
	s_mov_b32 s0, 14
.LBB28_274:                             ; =>This Inner Loop Header: Depth=1
	ds_load_b64 v[46:47], v39
	s_wait_dscnt 0x1
	v_cmp_gt_f32_e32 vcc_lo, 0, v36
	v_cndmask_b32_e64 v48, v36, -v36, vcc_lo
	v_cmp_gt_f32_e32 vcc_lo, 0, v37
	v_cndmask_b32_e64 v50, v37, -v37, vcc_lo
	s_wait_dscnt 0x0
	v_cmp_gt_f32_e32 vcc_lo, 0, v46
	v_cndmask_b32_e64 v49, v46, -v46, vcc_lo
	v_cmp_gt_f32_e32 vcc_lo, 0, v47
	v_cndmask_b32_e64 v51, v47, -v47, vcc_lo
	s_delay_alu instid0(VALU_DEP_1) | instskip(NEXT) | instid1(VALU_DEP_1)
	v_pk_add_f32 v[48:49], v[48:49], v[50:51]
	v_cmp_lt_f32_e32 vcc_lo, v48, v49
	v_dual_cndmask_b32 v36, v36, v46 :: v_dual_add_nc_u32 v39, 8, v39
	v_cndmask_b32_e32 v37, v37, v47, vcc_lo
	v_cndmask_b32_e64 v38, v38, s0, vcc_lo
	s_add_co_i32 s0, s0, 1
	s_delay_alu instid0(SALU_CYCLE_1)
	s_cmp_lg_u32 s14, s0
	s_cbranch_scc1 .LBB28_274
.LBB28_275:
	s_wait_dscnt 0x0
	v_cmp_eq_f32_e32 vcc_lo, 0, v36
	v_cmp_eq_f32_e64 s0, 0, v37
	s_and_b32 s0, vcc_lo, s0
	s_delay_alu instid0(SALU_CYCLE_1) | instskip(NEXT) | instid1(SALU_CYCLE_1)
	s_and_saveexec_b32 s1, s0
	s_xor_b32 s0, exec_lo, s1
; %bb.276:
	v_cmp_ne_u32_e32 vcc_lo, 0, v43
	v_cndmask_b32_e32 v43, 14, v43, vcc_lo
; %bb.277:
	s_and_not1_saveexec_b32 s0, s0
	s_cbranch_execz .LBB28_283
; %bb.278:
	v_cmp_ngt_f32_e64 s1, |v36|, |v37|
	s_and_saveexec_b32 s15, s1
	s_delay_alu instid0(SALU_CYCLE_1)
	s_xor_b32 s1, exec_lo, s15
	s_cbranch_execz .LBB28_280
; %bb.279:
	v_div_scale_f32 v39, null, v37, v37, v36
	v_div_scale_f32 v47, vcc_lo, v36, v37, v36
	s_delay_alu instid0(VALU_DEP_2) | instskip(SKIP_1) | instid1(TRANS32_DEP_1)
	v_rcp_f32_e32 v45, v39
	v_nop
	v_fma_f32 v46, -v39, v45, 1.0
	s_delay_alu instid0(VALU_DEP_1) | instskip(NEXT) | instid1(VALU_DEP_1)
	v_fmac_f32_e32 v45, v46, v45
	v_mul_f32_e32 v46, v47, v45
	s_delay_alu instid0(VALU_DEP_1) | instskip(NEXT) | instid1(VALU_DEP_1)
	v_fma_f32 v48, -v39, v46, v47
	v_fmac_f32_e32 v46, v48, v45
	s_delay_alu instid0(VALU_DEP_1) | instskip(NEXT) | instid1(VALU_DEP_1)
	v_fma_f32 v39, -v39, v46, v47
	v_div_fmas_f32 v39, v39, v45, v46
	s_delay_alu instid0(VALU_DEP_1) | instskip(NEXT) | instid1(VALU_DEP_1)
	v_div_fixup_f32 v39, v39, v37, v36
	v_fmac_f32_e32 v37, v36, v39
	s_delay_alu instid0(VALU_DEP_1) | instskip(SKIP_1) | instid1(VALU_DEP_2)
	v_div_scale_f32 v36, null, v37, v37, 1.0
	v_div_scale_f32 v47, vcc_lo, 1.0, v37, 1.0
	v_rcp_f32_e32 v45, v36
	v_nop
	s_delay_alu instid0(TRANS32_DEP_1) | instskip(NEXT) | instid1(VALU_DEP_1)
	v_fma_f32 v46, -v36, v45, 1.0
	v_fmac_f32_e32 v45, v46, v45
	s_delay_alu instid0(VALU_DEP_1) | instskip(NEXT) | instid1(VALU_DEP_1)
	v_mul_f32_e32 v46, v47, v45
	v_fma_f32 v48, -v36, v46, v47
	s_delay_alu instid0(VALU_DEP_1) | instskip(NEXT) | instid1(VALU_DEP_1)
	v_fmac_f32_e32 v46, v48, v45
	v_fma_f32 v36, -v36, v46, v47
	s_delay_alu instid0(VALU_DEP_1) | instskip(NEXT) | instid1(VALU_DEP_1)
	v_div_fmas_f32 v36, v36, v45, v46
	v_div_fixup_f32 v37, v36, v37, 1.0
	s_delay_alu instid0(VALU_DEP_1)
	v_mul_f32_e32 v36, v39, v37
	v_xor_b32_e32 v37, 0x80000000, v37
.LBB28_280:
	s_and_not1_saveexec_b32 s1, s1
	s_cbranch_execz .LBB28_282
; %bb.281:
	s_delay_alu instid0(VALU_DEP_1) | instskip(SKIP_1) | instid1(VALU_DEP_2)
	v_div_scale_f32 v39, null, v36, v36, v37
	v_div_scale_f32 v47, vcc_lo, v37, v36, v37
	v_rcp_f32_e32 v45, v39
	v_nop
	s_delay_alu instid0(TRANS32_DEP_1) | instskip(NEXT) | instid1(VALU_DEP_1)
	v_fma_f32 v46, -v39, v45, 1.0
	v_fmac_f32_e32 v45, v46, v45
	s_delay_alu instid0(VALU_DEP_1) | instskip(NEXT) | instid1(VALU_DEP_1)
	v_mul_f32_e32 v46, v47, v45
	v_fma_f32 v48, -v39, v46, v47
	s_delay_alu instid0(VALU_DEP_1) | instskip(NEXT) | instid1(VALU_DEP_1)
	v_fmac_f32_e32 v46, v48, v45
	v_fma_f32 v39, -v39, v46, v47
	s_delay_alu instid0(VALU_DEP_1) | instskip(NEXT) | instid1(VALU_DEP_1)
	v_div_fmas_f32 v39, v39, v45, v46
	v_div_fixup_f32 v39, v39, v36, v37
	s_delay_alu instid0(VALU_DEP_1) | instskip(NEXT) | instid1(VALU_DEP_1)
	v_fmac_f32_e32 v36, v37, v39
	v_div_scale_f32 v37, null, v36, v36, 1.0
	s_delay_alu instid0(VALU_DEP_1) | instskip(SKIP_1) | instid1(TRANS32_DEP_1)
	v_rcp_f32_e32 v45, v37
	v_nop
	v_fma_f32 v46, -v37, v45, 1.0
	s_delay_alu instid0(VALU_DEP_1) | instskip(SKIP_1) | instid1(VALU_DEP_1)
	v_fmac_f32_e32 v45, v46, v45
	v_div_scale_f32 v46, vcc_lo, 1.0, v36, 1.0
	v_mul_f32_e32 v47, v46, v45
	s_delay_alu instid0(VALU_DEP_1) | instskip(NEXT) | instid1(VALU_DEP_1)
	v_fma_f32 v48, -v37, v47, v46
	v_fmac_f32_e32 v47, v48, v45
	s_delay_alu instid0(VALU_DEP_1) | instskip(NEXT) | instid1(VALU_DEP_1)
	v_fma_f32 v37, -v37, v47, v46
	v_div_fmas_f32 v37, v37, v45, v47
	s_delay_alu instid0(VALU_DEP_1) | instskip(NEXT) | instid1(VALU_DEP_1)
	v_div_fixup_f32 v36, v37, v36, 1.0
	v_mul_f32_e64 v37, v39, -v36
.LBB28_282:
	s_or_b32 exec_lo, exec_lo, s1
.LBB28_283:
	s_delay_alu instid0(SALU_CYCLE_1) | instskip(NEXT) | instid1(SALU_CYCLE_1)
	s_or_b32 exec_lo, exec_lo, s0
	s_mov_b32 s0, exec_lo
	v_cmpx_ne_u32_e64 v44, v38
	s_xor_b32 s0, exec_lo, s0
	s_cbranch_execz .LBB28_289
; %bb.284:
	s_mov_b32 s1, exec_lo
	v_cmpx_eq_u32_e32 13, v44
	s_cbranch_execz .LBB28_288
; %bb.285:
	v_cmp_ne_u32_e32 vcc_lo, 13, v38
	s_xor_b32 s15, s12, -1
	s_delay_alu instid0(SALU_CYCLE_1) | instskip(NEXT) | instid1(SALU_CYCLE_1)
	s_and_b32 s16, s15, vcc_lo
	s_and_saveexec_b32 s15, s16
	s_cbranch_execz .LBB28_287
; %bb.286:
	v_ashrrev_i32_e32 v39, 31, v38
	s_delay_alu instid0(VALU_DEP_1)
	v_lshl_add_u64 v[44:45], v[38:39], 2, v[30:31]
	s_clause 0x1
	global_load_b32 v39, v[44:45], off
	global_load_b32 v42, v[30:31], off offset:52
	s_wait_loadcnt 0x1
	global_store_b32 v[30:31], v39, off offset:52
	s_wait_loadcnt 0x0
	global_store_b32 v[44:45], v42, off
.LBB28_287:
	s_wait_xcnt 0x0
	s_or_b32 exec_lo, exec_lo, s15
	v_dual_mov_b32 v44, v38 :: v_dual_mov_b32 v42, v38
.LBB28_288:
	s_or_b32 exec_lo, exec_lo, s1
.LBB28_289:
	s_and_not1_saveexec_b32 s0, s0
; %bb.290:
	v_mov_b32_e32 v44, 13
	ds_store_b64 v40, v[34:35] offset:112
; %bb.291:
	s_or_b32 exec_lo, exec_lo, s0
	s_delay_alu instid0(SALU_CYCLE_1)
	s_mov_b32 s0, exec_lo
	s_wait_storecnt_dscnt 0x0
	s_barrier_signal -1
	s_barrier_wait -1
	v_cmpx_lt_i32_e32 13, v44
	s_cbranch_execz .LBB28_293
; %bb.292:
	ds_load_b64 v[38:39], v40 offset:112
	v_pk_mul_f32 v[46:47], v[36:37], v[14:15] op_sel:[1,1] op_sel_hi:[0,1]
	s_delay_alu instid0(VALU_DEP_1) | instskip(SKIP_2) | instid1(VALU_DEP_2)
	v_pk_fma_f32 v[48:49], v[36:37], v[14:15], v[46:47] op_sel_hi:[1,0,1]
	v_pk_fma_f32 v[14:15], v[36:37], v[14:15], v[46:47] op_sel_hi:[1,0,1] neg_lo:[0,0,1] neg_hi:[0,0,1]
	s_wait_dscnt 0x0
	v_pk_mul_f32 v[36:37], v[38:39], v[48:49] op_sel:[1,1] op_sel_hi:[0,1]
	s_delay_alu instid0(VALU_DEP_1) | instskip(SKIP_1) | instid1(VALU_DEP_2)
	v_pk_fma_f32 v[46:47], v[38:39], v[14:15], v[36:37] op_sel_hi:[1,0,1]
	v_pk_fma_f32 v[36:37], v[38:39], v[14:15], v[36:37] neg_lo:[0,0,1] neg_hi:[0,0,1]
	v_dual_mov_b32 v15, v49 :: v_dual_mov_b32 v37, v47
	s_delay_alu instid0(VALU_DEP_1)
	v_pk_add_f32 v[34:35], v[34:35], v[36:37] neg_lo:[0,1] neg_hi:[0,1]
.LBB28_293:
	s_or_b32 exec_lo, exec_lo, s0
	v_lshl_add_u32 v36, v44, 3, v40
	s_barrier_signal -1
	s_barrier_wait -1
	ds_store_b64 v36, v[34:35]
	s_wait_dscnt 0x0
	s_barrier_signal -1
	s_barrier_wait -1
	ds_load_b64 v[36:37], v40 offset:112
	v_mov_b32_e32 v38, 14
	s_cmp_lt_i32 s14, 16
	s_cbranch_scc1 .LBB28_296
; %bb.294:
	v_add3_u32 v39, v41, 0, 0x78
	v_mov_b32_e32 v38, 14
	s_mov_b32 s0, 15
.LBB28_295:                             ; =>This Inner Loop Header: Depth=1
	ds_load_b64 v[40:41], v39
	s_wait_dscnt 0x1
	v_cmp_gt_f32_e32 vcc_lo, 0, v36
	v_cndmask_b32_e64 v46, v36, -v36, vcc_lo
	v_cmp_gt_f32_e32 vcc_lo, 0, v37
	v_cndmask_b32_e64 v48, v37, -v37, vcc_lo
	s_wait_dscnt 0x0
	v_cmp_gt_f32_e32 vcc_lo, 0, v40
	v_cndmask_b32_e64 v47, v40, -v40, vcc_lo
	v_cmp_gt_f32_e32 vcc_lo, 0, v41
	v_cndmask_b32_e64 v49, v41, -v41, vcc_lo
	s_delay_alu instid0(VALU_DEP_1) | instskip(NEXT) | instid1(VALU_DEP_1)
	v_pk_add_f32 v[46:47], v[46:47], v[48:49]
	v_cmp_lt_f32_e32 vcc_lo, v46, v47
	v_dual_add_nc_u32 v39, 8, v39 :: v_dual_cndmask_b32 v37, v37, v41, vcc_lo
	v_cndmask_b32_e32 v36, v36, v40, vcc_lo
	v_cndmask_b32_e64 v38, v38, s0, vcc_lo
	s_add_co_i32 s0, s0, 1
	s_delay_alu instid0(SALU_CYCLE_1)
	s_cmp_lg_u32 s14, s0
	s_cbranch_scc1 .LBB28_295
.LBB28_296:
	s_wait_dscnt 0x0
	v_cmp_eq_f32_e32 vcc_lo, 0, v36
	v_cmp_eq_f32_e64 s0, 0, v37
	s_and_b32 s0, vcc_lo, s0
	s_delay_alu instid0(SALU_CYCLE_1) | instskip(NEXT) | instid1(SALU_CYCLE_1)
	s_and_saveexec_b32 s1, s0
	s_xor_b32 s0, exec_lo, s1
; %bb.297:
	v_cmp_ne_u32_e32 vcc_lo, 0, v43
	v_cndmask_b32_e32 v43, 15, v43, vcc_lo
; %bb.298:
	s_and_not1_saveexec_b32 s0, s0
	s_cbranch_execz .LBB28_304
; %bb.299:
	v_cmp_ngt_f32_e64 s1, |v36|, |v37|
	s_and_saveexec_b32 s14, s1
	s_delay_alu instid0(SALU_CYCLE_1)
	s_xor_b32 s1, exec_lo, s14
	s_cbranch_execz .LBB28_301
; %bb.300:
	v_div_scale_f32 v39, null, v37, v37, v36
	v_div_scale_f32 v45, vcc_lo, v36, v37, v36
	s_delay_alu instid0(VALU_DEP_2) | instskip(SKIP_1) | instid1(TRANS32_DEP_1)
	v_rcp_f32_e32 v40, v39
	v_nop
	v_fma_f32 v41, -v39, v40, 1.0
	s_delay_alu instid0(VALU_DEP_1) | instskip(NEXT) | instid1(VALU_DEP_1)
	v_fmac_f32_e32 v40, v41, v40
	v_mul_f32_e32 v41, v45, v40
	s_delay_alu instid0(VALU_DEP_1) | instskip(NEXT) | instid1(VALU_DEP_1)
	v_fma_f32 v46, -v39, v41, v45
	v_fmac_f32_e32 v41, v46, v40
	s_delay_alu instid0(VALU_DEP_1) | instskip(NEXT) | instid1(VALU_DEP_1)
	v_fma_f32 v39, -v39, v41, v45
	v_div_fmas_f32 v39, v39, v40, v41
	s_delay_alu instid0(VALU_DEP_1) | instskip(NEXT) | instid1(VALU_DEP_1)
	v_div_fixup_f32 v39, v39, v37, v36
	v_fmac_f32_e32 v37, v36, v39
	s_delay_alu instid0(VALU_DEP_1) | instskip(SKIP_1) | instid1(VALU_DEP_2)
	v_div_scale_f32 v36, null, v37, v37, 1.0
	v_div_scale_f32 v45, vcc_lo, 1.0, v37, 1.0
	v_rcp_f32_e32 v40, v36
	v_nop
	s_delay_alu instid0(TRANS32_DEP_1) | instskip(NEXT) | instid1(VALU_DEP_1)
	v_fma_f32 v41, -v36, v40, 1.0
	v_fmac_f32_e32 v40, v41, v40
	s_delay_alu instid0(VALU_DEP_1) | instskip(NEXT) | instid1(VALU_DEP_1)
	v_mul_f32_e32 v41, v45, v40
	v_fma_f32 v46, -v36, v41, v45
	s_delay_alu instid0(VALU_DEP_1) | instskip(NEXT) | instid1(VALU_DEP_1)
	v_fmac_f32_e32 v41, v46, v40
	v_fma_f32 v36, -v36, v41, v45
	s_delay_alu instid0(VALU_DEP_1) | instskip(NEXT) | instid1(VALU_DEP_1)
	v_div_fmas_f32 v36, v36, v40, v41
	v_div_fixup_f32 v37, v36, v37, 1.0
	s_delay_alu instid0(VALU_DEP_1)
	v_mul_f32_e32 v36, v39, v37
	v_xor_b32_e32 v37, 0x80000000, v37
.LBB28_301:
	s_and_not1_saveexec_b32 s1, s1
	s_cbranch_execz .LBB28_303
; %bb.302:
	s_delay_alu instid0(VALU_DEP_1) | instskip(SKIP_1) | instid1(VALU_DEP_2)
	v_div_scale_f32 v39, null, v36, v36, v37
	v_div_scale_f32 v45, vcc_lo, v37, v36, v37
	v_rcp_f32_e32 v40, v39
	v_nop
	s_delay_alu instid0(TRANS32_DEP_1) | instskip(NEXT) | instid1(VALU_DEP_1)
	v_fma_f32 v41, -v39, v40, 1.0
	v_fmac_f32_e32 v40, v41, v40
	s_delay_alu instid0(VALU_DEP_1) | instskip(NEXT) | instid1(VALU_DEP_1)
	v_mul_f32_e32 v41, v45, v40
	v_fma_f32 v46, -v39, v41, v45
	s_delay_alu instid0(VALU_DEP_1) | instskip(NEXT) | instid1(VALU_DEP_1)
	v_fmac_f32_e32 v41, v46, v40
	v_fma_f32 v39, -v39, v41, v45
	s_delay_alu instid0(VALU_DEP_1) | instskip(NEXT) | instid1(VALU_DEP_1)
	v_div_fmas_f32 v39, v39, v40, v41
	v_div_fixup_f32 v39, v39, v36, v37
	s_delay_alu instid0(VALU_DEP_1) | instskip(NEXT) | instid1(VALU_DEP_1)
	v_fmac_f32_e32 v36, v37, v39
	v_div_scale_f32 v37, null, v36, v36, 1.0
	s_delay_alu instid0(VALU_DEP_1) | instskip(SKIP_1) | instid1(TRANS32_DEP_1)
	v_rcp_f32_e32 v40, v37
	v_nop
	v_fma_f32 v41, -v37, v40, 1.0
	s_delay_alu instid0(VALU_DEP_1) | instskip(SKIP_1) | instid1(VALU_DEP_1)
	v_fmac_f32_e32 v40, v41, v40
	v_div_scale_f32 v41, vcc_lo, 1.0, v36, 1.0
	v_mul_f32_e32 v45, v41, v40
	s_delay_alu instid0(VALU_DEP_1) | instskip(NEXT) | instid1(VALU_DEP_1)
	v_fma_f32 v46, -v37, v45, v41
	v_fmac_f32_e32 v45, v46, v40
	s_delay_alu instid0(VALU_DEP_1) | instskip(NEXT) | instid1(VALU_DEP_1)
	v_fma_f32 v37, -v37, v45, v41
	v_div_fmas_f32 v37, v37, v40, v45
	s_delay_alu instid0(VALU_DEP_1) | instskip(NEXT) | instid1(VALU_DEP_1)
	v_div_fixup_f32 v36, v37, v36, 1.0
	v_mul_f32_e64 v37, v39, -v36
.LBB28_303:
	s_or_b32 exec_lo, exec_lo, s1
.LBB28_304:
	s_delay_alu instid0(SALU_CYCLE_1)
	s_or_b32 exec_lo, exec_lo, s0
	v_mov_b32_e32 v40, 14
	s_mov_b32 s0, exec_lo
	v_cmpx_ne_u32_e64 v44, v38
	s_cbranch_execz .LBB28_310
; %bb.305:
	s_mov_b32 s1, exec_lo
	v_cmpx_eq_u32_e32 14, v44
	s_cbranch_execz .LBB28_309
; %bb.306:
	v_cmp_ne_u32_e32 vcc_lo, 14, v38
	s_xor_b32 s12, s12, -1
	s_delay_alu instid0(SALU_CYCLE_1) | instskip(NEXT) | instid1(SALU_CYCLE_1)
	s_and_b32 s14, s12, vcc_lo
	s_and_saveexec_b32 s12, s14
	s_cbranch_execz .LBB28_308
; %bb.307:
	v_ashrrev_i32_e32 v39, 31, v38
	s_delay_alu instid0(VALU_DEP_1)
	v_lshl_add_u64 v[40:41], v[38:39], 2, v[30:31]
	s_clause 0x1
	global_load_b32 v39, v[40:41], off
	global_load_b32 v42, v[30:31], off offset:56
	s_wait_loadcnt 0x1
	global_store_b32 v[30:31], v39, off offset:56
	s_wait_loadcnt 0x0
	global_store_b32 v[40:41], v42, off
.LBB28_308:
	s_wait_xcnt 0x0
	s_or_b32 exec_lo, exec_lo, s12
	v_dual_mov_b32 v44, v38 :: v_dual_mov_b32 v42, v38
.LBB28_309:
	s_or_b32 exec_lo, exec_lo, s1
	s_delay_alu instid0(VALU_DEP_1)
	v_mov_b32_e32 v40, v44
.LBB28_310:
	s_or_b32 exec_lo, exec_lo, s0
	s_delay_alu instid0(VALU_DEP_1)
	v_ashrrev_i32_e32 v41, 31, v40
	s_mov_b32 s0, exec_lo
	s_wait_storecnt 0x0
	s_barrier_signal -1
	s_barrier_wait -1
	s_barrier_signal -1
	s_barrier_wait -1
	v_cmpx_gt_i32_e32 15, v40
	s_cbranch_execz .LBB28_312
; %bb.311:
	v_mul_u64_e32 v[30:31], s[10:11], v[2:3]
	v_add3_u32 v38, v42, s13, 1
	s_delay_alu instid0(VALU_DEP_2) | instskip(NEXT) | instid1(VALU_DEP_1)
	v_lshl_add_u64 v[30:31], v[30:31], 2, s[6:7]
	v_lshl_add_u64 v[30:31], s[8:9], 2, v[30:31]
	s_delay_alu instid0(VALU_DEP_1)
	v_lshl_add_u64 v[30:31], v[40:41], 2, v[30:31]
	global_store_b32 v[30:31], v38, off
.LBB28_312:
	s_wait_xcnt 0x0
	s_or_b32 exec_lo, exec_lo, s0
	s_delay_alu instid0(SALU_CYCLE_1)
	s_mov_b32 s1, exec_lo
	v_cmpx_eq_u32_e32 0, v40
	s_cbranch_execz .LBB28_315
; %bb.313:
	s_wait_kmcnt 0x0
	v_lshl_add_u64 v[2:3], v[2:3], 2, s[4:5]
	v_cmp_ne_u32_e64 s0, 0, v43
	global_load_b32 v30, v[2:3], off
	s_wait_loadcnt 0x0
	v_cmp_eq_u32_e32 vcc_lo, 0, v30
	s_and_b32 s0, vcc_lo, s0
	s_wait_xcnt 0x0
	s_and_b32 exec_lo, exec_lo, s0
	s_cbranch_execz .LBB28_315
; %bb.314:
	v_add_nc_u32_e32 v30, s13, v43
	global_store_b32 v[2:3], v30, off
.LBB28_315:
	s_wait_xcnt 0x0
	s_or_b32 exec_lo, exec_lo, s1
	v_add3_u32 v2, s2, s2, v40
	v_pk_mul_f32 v[42:43], v[36:37], v[34:35] op_sel:[1,1] op_sel_hi:[0,1]
	v_cmp_lt_i32_e32 vcc_lo, 14, v40
	v_lshl_add_u64 v[48:49], v[40:41], 3, v[0:1]
	s_delay_alu instid0(VALU_DEP_4) | instskip(NEXT) | instid1(VALU_DEP_4)
	v_add_nc_u32_e32 v30, s2, v2
	v_pk_fma_f32 v[46:47], v[36:37], v[34:35], v[42:43] op_sel_hi:[1,0,1]
	v_pk_fma_f32 v[36:37], v[36:37], v[34:35], v[42:43] neg_lo:[0,0,1] neg_hi:[0,0,1]
	s_delay_alu instid0(VALU_DEP_4) | instskip(SKIP_4) | instid1(VALU_DEP_1)
	v_lshl_add_u64 v[40:41], s[2:3], 3, v[48:49]
	s_clause 0x1
	global_store_b64 v[48:49], v[32:33], off
	global_store_b64 v[40:41], v[24:25], off
	v_dual_cndmask_b32 v35, v35, v47 :: v_dual_add_nc_u32 v38, s2, v30
	v_dual_cndmask_b32 v34, v34, v36, vcc_lo :: v_dual_add_nc_u32 v44, s2, v38
	s_delay_alu instid0(VALU_DEP_1) | instskip(NEXT) | instid1(VALU_DEP_1)
	v_dual_add_nc_u32 v46, s2, v44 :: v_dual_ashrrev_i32 v45, 31, v44
	v_add_nc_u32_e32 v42, s2, v46
	s_wait_xcnt 0x0
	s_delay_alu instid0(VALU_DEP_1) | instskip(NEXT) | instid1(VALU_DEP_1)
	v_add_nc_u32_e32 v24, s2, v42
	v_dual_ashrrev_i32 v3, 31, v2 :: v_dual_add_nc_u32 v32, s2, v24
	s_delay_alu instid0(VALU_DEP_1) | instskip(NEXT) | instid1(VALU_DEP_2)
	v_lshl_add_u64 v[2:3], v[2:3], 3, v[0:1]
	v_dual_ashrrev_i32 v47, 31, v46 :: v_dual_ashrrev_i32 v33, 31, v32
	v_dual_add_nc_u32 v40, s2, v32 :: v_dual_ashrrev_i32 v31, 31, v30
	v_dual_ashrrev_i32 v39, 31, v38 :: v_dual_ashrrev_i32 v25, 31, v24
	s_delay_alu instid0(VALU_DEP_2) | instskip(NEXT) | instid1(VALU_DEP_3)
	v_dual_ashrrev_i32 v43, 31, v42 :: v_dual_ashrrev_i32 v41, 31, v40
	v_lshl_add_u64 v[30:31], v[30:31], 3, v[0:1]
	s_delay_alu instid0(VALU_DEP_3)
	v_lshl_add_u64 v[36:37], v[38:39], 3, v[0:1]
	v_lshl_add_u64 v[38:39], v[44:45], 3, v[0:1]
	s_clause 0x3
	global_store_b64 v[2:3], v[8:9], off
	global_store_b64 v[30:31], v[6:7], off
	;; [unrolled: 1-line block ×4, first 2 shown]
	s_wait_xcnt 0x3
	v_add_nc_u32_e32 v2, s2, v40
	v_lshl_add_u64 v[8:9], v[46:47], 3, v[0:1]
	s_wait_xcnt 0x0
	v_lshl_add_u64 v[26:27], v[42:43], 3, v[0:1]
	v_lshl_add_u64 v[24:25], v[24:25], 3, v[0:1]
	;; [unrolled: 1-line block ×3, first 2 shown]
	v_dual_add_nc_u32 v6, s2, v2 :: v_dual_ashrrev_i32 v3, 31, v2
	s_clause 0x3
	global_store_b64 v[8:9], v[12:13], off
	global_store_b64 v[26:27], v[10:11], off
	;; [unrolled: 1-line block ×4, first 2 shown]
	s_wait_xcnt 0x2
	v_lshl_add_u64 v[10:11], v[40:41], 3, v[0:1]
	v_dual_add_nc_u32 v30, s2, v6 :: v_dual_ashrrev_i32 v7, 31, v6
	v_lshl_add_u64 v[2:3], v[2:3], 3, v[0:1]
	s_delay_alu instid0(VALU_DEP_2) | instskip(NEXT) | instid1(VALU_DEP_3)
	v_dual_add_nc_u32 v8, s2, v30 :: v_dual_ashrrev_i32 v31, 31, v30
	v_lshl_add_u64 v[6:7], v[6:7], 3, v[0:1]
	s_delay_alu instid0(VALU_DEP_2) | instskip(NEXT) | instid1(VALU_DEP_3)
	v_ashrrev_i32_e32 v9, 31, v8
	v_lshl_add_u64 v[12:13], v[30:31], 3, v[0:1]
	s_delay_alu instid0(VALU_DEP_2)
	v_lshl_add_u64 v[0:1], v[8:9], 3, v[0:1]
	s_clause 0x4
	global_store_b64 v[10:11], v[4:5], off
	global_store_b64 v[2:3], v[18:19], off
	;; [unrolled: 1-line block ×5, first 2 shown]
.LBB28_316:
	s_endpgm
	.section	.rodata,"a",@progbits
	.p2align	6, 0x0
	.amdhsa_kernel _ZN9rocsolver6v33100L18getf2_small_kernelILi15E19rocblas_complex_numIfEiiPS3_EEvT1_T3_lS5_lPS5_llPT2_S5_S5_S7_l
		.amdhsa_group_segment_fixed_size 0
		.amdhsa_private_segment_fixed_size 0
		.amdhsa_kernarg_size 352
		.amdhsa_user_sgpr_count 2
		.amdhsa_user_sgpr_dispatch_ptr 0
		.amdhsa_user_sgpr_queue_ptr 0
		.amdhsa_user_sgpr_kernarg_segment_ptr 1
		.amdhsa_user_sgpr_dispatch_id 0
		.amdhsa_user_sgpr_kernarg_preload_length 0
		.amdhsa_user_sgpr_kernarg_preload_offset 0
		.amdhsa_user_sgpr_private_segment_size 0
		.amdhsa_wavefront_size32 1
		.amdhsa_uses_dynamic_stack 0
		.amdhsa_enable_private_segment 0
		.amdhsa_system_sgpr_workgroup_id_x 1
		.amdhsa_system_sgpr_workgroup_id_y 1
		.amdhsa_system_sgpr_workgroup_id_z 0
		.amdhsa_system_sgpr_workgroup_info 0
		.amdhsa_system_vgpr_workitem_id 1
		.amdhsa_next_free_vgpr 64
		.amdhsa_next_free_sgpr 20
		.amdhsa_named_barrier_count 0
		.amdhsa_reserve_vcc 1
		.amdhsa_float_round_mode_32 0
		.amdhsa_float_round_mode_16_64 0
		.amdhsa_float_denorm_mode_32 3
		.amdhsa_float_denorm_mode_16_64 3
		.amdhsa_fp16_overflow 0
		.amdhsa_memory_ordered 1
		.amdhsa_forward_progress 1
		.amdhsa_inst_pref_size 169
		.amdhsa_round_robin_scheduling 0
		.amdhsa_exception_fp_ieee_invalid_op 0
		.amdhsa_exception_fp_denorm_src 0
		.amdhsa_exception_fp_ieee_div_zero 0
		.amdhsa_exception_fp_ieee_overflow 0
		.amdhsa_exception_fp_ieee_underflow 0
		.amdhsa_exception_fp_ieee_inexact 0
		.amdhsa_exception_int_div_zero 0
	.end_amdhsa_kernel
	.section	.text._ZN9rocsolver6v33100L18getf2_small_kernelILi15E19rocblas_complex_numIfEiiPS3_EEvT1_T3_lS5_lPS5_llPT2_S5_S5_S7_l,"axG",@progbits,_ZN9rocsolver6v33100L18getf2_small_kernelILi15E19rocblas_complex_numIfEiiPS3_EEvT1_T3_lS5_lPS5_llPT2_S5_S5_S7_l,comdat
.Lfunc_end28:
	.size	_ZN9rocsolver6v33100L18getf2_small_kernelILi15E19rocblas_complex_numIfEiiPS3_EEvT1_T3_lS5_lPS5_llPT2_S5_S5_S7_l, .Lfunc_end28-_ZN9rocsolver6v33100L18getf2_small_kernelILi15E19rocblas_complex_numIfEiiPS3_EEvT1_T3_lS5_lPS5_llPT2_S5_S5_S7_l
                                        ; -- End function
	.set _ZN9rocsolver6v33100L18getf2_small_kernelILi15E19rocblas_complex_numIfEiiPS3_EEvT1_T3_lS5_lPS5_llPT2_S5_S5_S7_l.num_vgpr, 64
	.set _ZN9rocsolver6v33100L18getf2_small_kernelILi15E19rocblas_complex_numIfEiiPS3_EEvT1_T3_lS5_lPS5_llPT2_S5_S5_S7_l.num_agpr, 0
	.set _ZN9rocsolver6v33100L18getf2_small_kernelILi15E19rocblas_complex_numIfEiiPS3_EEvT1_T3_lS5_lPS5_llPT2_S5_S5_S7_l.numbered_sgpr, 20
	.set _ZN9rocsolver6v33100L18getf2_small_kernelILi15E19rocblas_complex_numIfEiiPS3_EEvT1_T3_lS5_lPS5_llPT2_S5_S5_S7_l.num_named_barrier, 0
	.set _ZN9rocsolver6v33100L18getf2_small_kernelILi15E19rocblas_complex_numIfEiiPS3_EEvT1_T3_lS5_lPS5_llPT2_S5_S5_S7_l.private_seg_size, 0
	.set _ZN9rocsolver6v33100L18getf2_small_kernelILi15E19rocblas_complex_numIfEiiPS3_EEvT1_T3_lS5_lPS5_llPT2_S5_S5_S7_l.uses_vcc, 1
	.set _ZN9rocsolver6v33100L18getf2_small_kernelILi15E19rocblas_complex_numIfEiiPS3_EEvT1_T3_lS5_lPS5_llPT2_S5_S5_S7_l.uses_flat_scratch, 0
	.set _ZN9rocsolver6v33100L18getf2_small_kernelILi15E19rocblas_complex_numIfEiiPS3_EEvT1_T3_lS5_lPS5_llPT2_S5_S5_S7_l.has_dyn_sized_stack, 0
	.set _ZN9rocsolver6v33100L18getf2_small_kernelILi15E19rocblas_complex_numIfEiiPS3_EEvT1_T3_lS5_lPS5_llPT2_S5_S5_S7_l.has_recursion, 0
	.set _ZN9rocsolver6v33100L18getf2_small_kernelILi15E19rocblas_complex_numIfEiiPS3_EEvT1_T3_lS5_lPS5_llPT2_S5_S5_S7_l.has_indirect_call, 0
	.section	.AMDGPU.csdata,"",@progbits
; Kernel info:
; codeLenInByte = 21620
; TotalNumSgprs: 22
; NumVgprs: 64
; ScratchSize: 0
; MemoryBound: 0
; FloatMode: 240
; IeeeMode: 1
; LDSByteSize: 0 bytes/workgroup (compile time only)
; SGPRBlocks: 0
; VGPRBlocks: 3
; NumSGPRsForWavesPerEU: 22
; NumVGPRsForWavesPerEU: 64
; NamedBarCnt: 0
; Occupancy: 16
; WaveLimiterHint : 0
; COMPUTE_PGM_RSRC2:SCRATCH_EN: 0
; COMPUTE_PGM_RSRC2:USER_SGPR: 2
; COMPUTE_PGM_RSRC2:TRAP_HANDLER: 0
; COMPUTE_PGM_RSRC2:TGID_X_EN: 1
; COMPUTE_PGM_RSRC2:TGID_Y_EN: 1
; COMPUTE_PGM_RSRC2:TGID_Z_EN: 0
; COMPUTE_PGM_RSRC2:TIDIG_COMP_CNT: 1
	.section	.text._ZN9rocsolver6v33100L23getf2_npvt_small_kernelILi15E19rocblas_complex_numIfEiiPS3_EEvT1_T3_lS5_lPT2_S5_S5_,"axG",@progbits,_ZN9rocsolver6v33100L23getf2_npvt_small_kernelILi15E19rocblas_complex_numIfEiiPS3_EEvT1_T3_lS5_lPT2_S5_S5_,comdat
	.globl	_ZN9rocsolver6v33100L23getf2_npvt_small_kernelILi15E19rocblas_complex_numIfEiiPS3_EEvT1_T3_lS5_lPT2_S5_S5_ ; -- Begin function _ZN9rocsolver6v33100L23getf2_npvt_small_kernelILi15E19rocblas_complex_numIfEiiPS3_EEvT1_T3_lS5_lPT2_S5_S5_
	.p2align	8
	.type	_ZN9rocsolver6v33100L23getf2_npvt_small_kernelILi15E19rocblas_complex_numIfEiiPS3_EEvT1_T3_lS5_lPT2_S5_S5_,@function
_ZN9rocsolver6v33100L23getf2_npvt_small_kernelILi15E19rocblas_complex_numIfEiiPS3_EEvT1_T3_lS5_lPT2_S5_S5_: ; @_ZN9rocsolver6v33100L23getf2_npvt_small_kernelILi15E19rocblas_complex_numIfEiiPS3_EEvT1_T3_lS5_lPT2_S5_S5_
; %bb.0:
	s_clause 0x1
	s_load_u16 s14, s[0:1], 0x46
	s_load_b64 s[2:3], s[0:1], 0x30
	s_bfe_u32 s4, ttmp6, 0x40010
	s_bfe_u32 s5, ttmp6, 0x40004
	s_add_co_i32 s4, s4, 1
	s_getreg_b32 s6, hwreg(HW_REG_IB_STS2, 6, 4)
	s_mul_i32 s4, ttmp7, s4
	v_bfe_u32 v62, v0, 10, 10
	s_add_co_i32 s5, s5, s4
	s_cmp_eq_u32 s6, 0
	s_cselect_b32 s4, ttmp7, s5
	s_wait_kmcnt 0x0
	v_mad_u32 v2, s4, s14, v62
	s_delay_alu instid0(VALU_DEP_1)
	v_cmp_gt_i32_e32 vcc_lo, s2, v2
	s_and_saveexec_b32 s2, vcc_lo
	s_cbranch_execz .LBB29_138
; %bb.1:
	s_clause 0x1
	s_load_b32 s12, s[0:1], 0x18
	s_load_b128 s[4:7], s[0:1], 0x20
	v_and_b32_e32 v92, 0x3ff, v0
	s_load_b128 s[8:11], s[0:1], 0x8
	v_lshlrev_b32_e32 v63, 3, v62
	s_mulk_i32 s14, 0x78
	v_mad_u32_u24 v94, 0x78, v62, 0
	s_wait_xcnt 0x0
	v_cmp_ne_u32_e64 s1, 0, v92
	v_cmp_eq_u32_e64 s0, 0, v92
	v_add3_u32 v93, 0, s14, v63
	v_mov_b32_e32 v7, 0
	s_wait_kmcnt 0x0
	v_add3_u32 v0, s12, s12, v92
	v_ashrrev_i32_e32 v3, 31, v2
	s_ashr_i32 s13, s12, 31
	s_delay_alu instid0(VALU_DEP_2) | instskip(NEXT) | instid1(VALU_DEP_2)
	v_add_nc_u32_e32 v8, s12, v0
	v_mul_u64_e32 v[4:5], s[4:5], v[2:3]
	s_delay_alu instid0(VALU_DEP_2) | instskip(NEXT) | instid1(VALU_DEP_1)
	v_add_nc_u32_e32 v10, s12, v8
	v_dual_lshlrev_b32 v6, 3, v92 :: v_dual_ashrrev_i32 v11, 31, v10
	v_add_nc_u32_e32 v12, s12, v10
	s_delay_alu instid0(VALU_DEP_1) | instskip(NEXT) | instid1(VALU_DEP_1)
	v_add_nc_u32_e32 v20, s12, v12
	v_add_nc_u32_e32 v22, s12, v20
	s_delay_alu instid0(VALU_DEP_1) | instskip(SKIP_1) | instid1(VALU_DEP_1)
	v_dual_ashrrev_i32 v1, 31, v0 :: v_dual_ashrrev_i32 v23, 31, v22
	v_add_nc_u32_e32 v24, s12, v22
	v_dual_add_nc_u32 v26, s12, v24 :: v_dual_ashrrev_i32 v25, 31, v24
	v_ashrrev_i32_e32 v9, 31, v8
	v_lshl_add_u64 v[4:5], v[4:5], 3, s[8:9]
	s_delay_alu instid0(VALU_DEP_3) | instskip(SKIP_1) | instid1(VALU_DEP_3)
	v_dual_ashrrev_i32 v13, 31, v12 :: v_dual_ashrrev_i32 v27, 31, v26
	v_add_nc_u32_e32 v32, s12, v26
	v_lshl_add_u64 v[30:31], s[10:11], 3, v[4:5]
	s_delay_alu instid0(VALU_DEP_2) | instskip(SKIP_1) | instid1(VALU_DEP_3)
	v_dual_add_nc_u32 v34, s12, v32 :: v_dual_ashrrev_i32 v33, 31, v32
	v_ashrrev_i32_e32 v21, 31, v20
	v_add_nc_u64_e32 v[18:19], v[30:31], v[6:7]
	v_lshl_add_u64 v[16:17], v[10:11], 3, v[30:31]
	s_delay_alu instid0(VALU_DEP_4)
	v_add_nc_u32_e32 v36, s12, v34
	v_lshl_add_u64 v[10:11], v[24:25], 3, v[30:31]
	v_ashrrev_i32_e32 v35, 31, v34
	v_lshl_add_u64 v[6:7], v[0:1], 3, v[30:31]
	v_lshl_add_u64 v[0:1], v[12:13], 3, v[30:31]
	v_add_nc_u32_e32 v40, s12, v36
	v_lshl_add_u64 v[12:13], v[26:27], 3, v[30:31]
	v_lshl_add_u64 v[38:39], s[12:13], 3, v[18:19]
	;; [unrolled: 1-line block ×4, first 2 shown]
	v_dual_add_nc_u32 v42, s12, v40 :: v_dual_ashrrev_i32 v41, 31, v40
	v_ashrrev_i32_e32 v37, 31, v36
	v_lshl_add_u64 v[14:15], v[8:9], 3, v[30:31]
	v_lshl_add_u64 v[8:9], v[22:23], 3, v[30:31]
	s_delay_alu instid0(VALU_DEP_4)
	v_ashrrev_i32_e32 v43, 31, v42
	v_lshl_add_u64 v[32:33], v[34:35], 3, v[30:31]
	v_lshl_add_u64 v[34:35], v[36:37], 3, v[30:31]
	s_clause 0x7
	global_load_b64 v[28:29], v[16:17], off
	global_load_b64 v[24:25], v[0:1], off
	;; [unrolled: 1-line block ×8, first 2 shown]
	v_lshl_add_u64 v[36:37], v[40:41], 3, v[30:31]
	v_lshl_add_u64 v[30:31], v[42:43], 3, v[30:31]
	s_clause 0x6
	global_load_b64 v[44:45], v[10:11], off
	global_load_b64 v[40:41], v[12:13], off
	;; [unrolled: 1-line block ×7, first 2 shown]
	s_wait_xcnt 0x0
	s_and_saveexec_b32 s4, s0
	s_cbranch_execz .LBB29_8
; %bb.2:
	s_wait_loadcnt 0xa
	ds_store_b64 v93, v[58:59]
	s_wait_loadcnt 0x8
	ds_store_2addr_b64 v94, v[60:61], v[48:49] offset0:1 offset1:2
	s_wait_loadcnt 0x7
	ds_store_2addr_b64 v94, v[46:47], v[28:29] offset0:3 offset1:4
	ds_store_2addr_b64 v94, v[24:25], v[26:27] offset0:5 offset1:6
	s_wait_loadcnt 0x6
	ds_store_2addr_b64 v94, v[22:23], v[44:45] offset0:7 offset1:8
	s_wait_loadcnt 0x4
	;; [unrolled: 2-line block ×4, first 2 shown]
	ds_store_2addr_b64 v94, v[50:51], v[52:53] offset0:13 offset1:14
	ds_load_b64 v[62:63], v93
	s_wait_dscnt 0x0
	v_cmp_neq_f32_e32 vcc_lo, 0, v62
	v_cmp_neq_f32_e64 s2, 0, v63
	s_or_b32 s2, vcc_lo, s2
	s_delay_alu instid0(SALU_CYCLE_1)
	s_and_b32 exec_lo, exec_lo, s2
	s_cbranch_execz .LBB29_8
; %bb.3:
	v_cmp_ngt_f32_e64 s2, |v62|, |v63|
                                        ; implicit-def: $vgpr64_vgpr65
	s_and_saveexec_b32 s5, s2
	s_delay_alu instid0(SALU_CYCLE_1)
	s_xor_b32 s2, exec_lo, s5
	s_cbranch_execz .LBB29_5
; %bb.4:
	v_div_scale_f32 v64, null, v63, v63, v62
	v_div_scale_f32 v67, vcc_lo, v62, v63, v62
	s_delay_alu instid0(VALU_DEP_2) | instskip(SKIP_1) | instid1(TRANS32_DEP_1)
	v_rcp_f32_e32 v65, v64
	v_nop
	v_fma_f32 v66, -v64, v65, 1.0
	s_delay_alu instid0(VALU_DEP_1) | instskip(NEXT) | instid1(VALU_DEP_1)
	v_fmac_f32_e32 v65, v66, v65
	v_mul_f32_e32 v66, v67, v65
	s_delay_alu instid0(VALU_DEP_1) | instskip(NEXT) | instid1(VALU_DEP_1)
	v_fma_f32 v68, -v64, v66, v67
	v_fmac_f32_e32 v66, v68, v65
	s_delay_alu instid0(VALU_DEP_1) | instskip(NEXT) | instid1(VALU_DEP_1)
	v_fma_f32 v64, -v64, v66, v67
	v_div_fmas_f32 v64, v64, v65, v66
	s_delay_alu instid0(VALU_DEP_1) | instskip(NEXT) | instid1(VALU_DEP_1)
	v_div_fixup_f32 v64, v64, v63, v62
	v_fmac_f32_e32 v63, v62, v64
	s_delay_alu instid0(VALU_DEP_1) | instskip(SKIP_1) | instid1(VALU_DEP_2)
	v_div_scale_f32 v62, null, v63, v63, 1.0
	v_div_scale_f32 v67, vcc_lo, 1.0, v63, 1.0
	v_rcp_f32_e32 v65, v62
	v_nop
	s_delay_alu instid0(TRANS32_DEP_1) | instskip(NEXT) | instid1(VALU_DEP_1)
	v_fma_f32 v66, -v62, v65, 1.0
	v_fmac_f32_e32 v65, v66, v65
	s_delay_alu instid0(VALU_DEP_1) | instskip(NEXT) | instid1(VALU_DEP_1)
	v_mul_f32_e32 v66, v67, v65
	v_fma_f32 v68, -v62, v66, v67
	s_delay_alu instid0(VALU_DEP_1) | instskip(NEXT) | instid1(VALU_DEP_1)
	v_fmac_f32_e32 v66, v68, v65
	v_fma_f32 v62, -v62, v66, v67
	s_delay_alu instid0(VALU_DEP_1) | instskip(NEXT) | instid1(VALU_DEP_1)
	v_div_fmas_f32 v62, v62, v65, v66
	v_div_fixup_f32 v62, v62, v63, 1.0
	s_delay_alu instid0(VALU_DEP_1)
	v_mul_f32_e32 v64, v64, v62
	v_xor_b32_e32 v65, 0x80000000, v62
                                        ; implicit-def: $vgpr62_vgpr63
.LBB29_5:
	s_and_not1_saveexec_b32 s2, s2
	s_cbranch_execz .LBB29_7
; %bb.6:
	v_div_scale_f32 v64, null, v62, v62, v63
	v_div_scale_f32 v67, vcc_lo, v63, v62, v63
	s_delay_alu instid0(VALU_DEP_2) | instskip(SKIP_1) | instid1(TRANS32_DEP_1)
	v_rcp_f32_e32 v65, v64
	v_nop
	v_fma_f32 v66, -v64, v65, 1.0
	s_delay_alu instid0(VALU_DEP_1) | instskip(NEXT) | instid1(VALU_DEP_1)
	v_fmac_f32_e32 v65, v66, v65
	v_mul_f32_e32 v66, v67, v65
	s_delay_alu instid0(VALU_DEP_1) | instskip(NEXT) | instid1(VALU_DEP_1)
	v_fma_f32 v68, -v64, v66, v67
	v_fmac_f32_e32 v66, v68, v65
	s_delay_alu instid0(VALU_DEP_1) | instskip(NEXT) | instid1(VALU_DEP_1)
	v_fma_f32 v64, -v64, v66, v67
	v_div_fmas_f32 v64, v64, v65, v66
	s_delay_alu instid0(VALU_DEP_1) | instskip(NEXT) | instid1(VALU_DEP_1)
	v_div_fixup_f32 v65, v64, v62, v63
	v_fmac_f32_e32 v62, v63, v65
	s_delay_alu instid0(VALU_DEP_1) | instskip(NEXT) | instid1(VALU_DEP_1)
	v_div_scale_f32 v63, null, v62, v62, 1.0
	v_rcp_f32_e32 v64, v63
	v_nop
	s_delay_alu instid0(TRANS32_DEP_1) | instskip(NEXT) | instid1(VALU_DEP_1)
	v_fma_f32 v66, -v63, v64, 1.0
	v_fmac_f32_e32 v64, v66, v64
	v_div_scale_f32 v66, vcc_lo, 1.0, v62, 1.0
	s_delay_alu instid0(VALU_DEP_1) | instskip(NEXT) | instid1(VALU_DEP_1)
	v_mul_f32_e32 v67, v66, v64
	v_fma_f32 v68, -v63, v67, v66
	s_delay_alu instid0(VALU_DEP_1) | instskip(NEXT) | instid1(VALU_DEP_1)
	v_fmac_f32_e32 v67, v68, v64
	v_fma_f32 v63, -v63, v67, v66
	s_delay_alu instid0(VALU_DEP_1) | instskip(NEXT) | instid1(VALU_DEP_1)
	v_div_fmas_f32 v63, v63, v64, v67
	v_div_fixup_f32 v64, v63, v62, 1.0
	s_delay_alu instid0(VALU_DEP_1)
	v_mul_f32_e64 v65, v65, -v64
.LBB29_7:
	s_or_b32 exec_lo, exec_lo, s2
	ds_store_b64 v93, v[64:65]
.LBB29_8:
	s_or_b32 exec_lo, exec_lo, s4
	s_wait_loadcnt_dscnt 0x0
	s_barrier_signal -1
	s_barrier_wait -1
	ds_load_b64 v[62:63], v93
	s_and_saveexec_b32 s2, s1
	s_cbranch_execz .LBB29_10
; %bb.9:
	ds_load_2addr_b64 v[64:67], v94 offset0:1 offset1:2
	ds_load_2addr_b64 v[68:71], v94 offset0:3 offset1:4
	;; [unrolled: 1-line block ×3, first 2 shown]
	s_wait_dscnt 0x3
	v_pk_mul_f32 v[76:77], v[62:63], v[58:59] op_sel:[1,1] op_sel_hi:[0,1]
	s_delay_alu instid0(VALU_DEP_1)
	v_pk_fma_f32 v[86:87], v[62:63], v[58:59], v[76:77] op_sel_hi:[1,0,1]
	v_pk_fma_f32 v[84:85], v[62:63], v[58:59], v[76:77] op_sel_hi:[1,0,1] neg_lo:[0,0,1] neg_hi:[0,0,1]
	ds_load_2addr_b64 v[76:79], v94 offset0:7 offset1:8
	ds_load_2addr_b64 v[80:83], v94 offset0:9 offset1:10
	v_dual_mov_b32 v59, v87 :: v_dual_mov_b32 v58, v84
	s_wait_dscnt 0x4
	v_pk_mul_f32 v[88:89], v[64:65], v[86:87] op_sel:[0,1]
	v_pk_mul_f32 v[90:91], v[66:67], v[86:87] op_sel:[0,1]
	s_wait_dscnt 0x3
	v_pk_mul_f32 v[96:97], v[68:69], v[86:87] op_sel:[0,1]
	v_dual_mov_b32 v98, v71 :: v_dual_mov_b32 v99, v70
	v_dual_mul_f32 v100, v71, v87 :: v_dual_mul_f32 v102, v71, v84
	s_wait_dscnt 0x2
	v_pk_mul_f32 v[104:105], v[72:73], v[86:87] op_sel:[0,1]
	v_pk_mul_f32 v[106:107], v[74:75], v[86:87] op_sel:[0,1]
	v_pk_fma_f32 v[108:109], v[64:65], v[84:85], v[88:89] op_sel:[0,0,1] op_sel_hi:[1,1,0] neg_lo:[0,0,1] neg_hi:[0,0,1]
	v_pk_fma_f32 v[64:65], v[64:65], v[84:85], v[88:89] op_sel:[0,0,1] op_sel_hi:[1,0,0]
	v_pk_fma_f32 v[88:89], v[66:67], v[84:85], v[90:91] op_sel:[0,0,1] op_sel_hi:[1,1,0] neg_lo:[0,0,1] neg_hi:[0,0,1]
	v_pk_fma_f32 v[66:67], v[66:67], v[84:85], v[90:91] op_sel:[0,0,1] op_sel_hi:[1,0,0]
	;; [unrolled: 2-line block ×3, first 2 shown]
	v_pk_fma_f32 v[96:97], v[98:99], v[58:59], v[102:103] op_sel_hi:[1,1,0]
	v_pk_fma_f32 v[98:99], v[72:73], v[84:85], v[104:105] op_sel:[0,0,1] op_sel_hi:[1,0,0]
	v_dual_mov_b32 v109, v65 :: v_dual_mov_b32 v89, v67
	v_pk_fma_f32 v[64:65], v[74:75], v[84:85], v[106:107] op_sel:[0,0,1] op_sel_hi:[1,0,0]
	v_mov_b32_e32 v91, v69
	v_pk_fma_f32 v[68:69], v[72:73], v[84:85], v[104:105] op_sel:[0,0,1] op_sel_hi:[1,1,0] neg_lo:[0,0,1] neg_hi:[0,0,1]
	v_pk_fma_f32 v[72:73], v[74:75], v[84:85], v[106:107] op_sel:[0,0,1] op_sel_hi:[1,1,0] neg_lo:[0,0,1] neg_hi:[0,0,1]
	s_delay_alu instid0(VALU_DEP_4)
	v_dual_mov_b32 v69, v99 :: v_dual_mov_b32 v73, v65
	ds_load_2addr_b64 v[64:67], v94 offset0:11 offset1:12
	v_pk_fma_f32 v[70:71], v[70:71], v[58:59], v[100:101] op_sel_hi:[1,1,0] neg_lo:[0,0,1] neg_hi:[0,0,1]
	s_wait_dscnt 0x2
	v_pk_mul_f32 v[74:75], v[76:77], v[86:87] op_sel:[0,1]
	v_mov_b32_e32 v71, v97
	v_pk_add_f32 v[48:49], v[48:49], v[88:89] neg_lo:[0,1] neg_hi:[0,1]
	v_pk_add_f32 v[26:27], v[26:27], v[72:73] neg_lo:[0,1] neg_hi:[0,1]
	v_pk_mul_f32 v[88:89], v[78:79], v[86:87] op_sel:[0,1]
	v_pk_fma_f32 v[72:73], v[76:77], v[84:85], v[74:75] op_sel:[0,0,1] op_sel_hi:[1,0,0]
	v_pk_add_f32 v[28:29], v[28:29], v[70:71] neg_lo:[0,1] neg_hi:[0,1]
	v_pk_add_f32 v[24:25], v[24:25], v[68:69] neg_lo:[0,1] neg_hi:[0,1]
	ds_load_2addr_b64 v[68:71], v94 offset0:13 offset1:14
	v_pk_fma_f32 v[74:75], v[76:77], v[84:85], v[74:75] op_sel:[0,0,1] op_sel_hi:[1,1,0] neg_lo:[0,0,1] neg_hi:[0,0,1]
	s_wait_dscnt 0x2
	v_mul_f32_e32 v72, v81, v84
	v_pk_fma_f32 v[76:77], v[78:79], v[84:85], v[88:89] op_sel:[0,0,1] op_sel_hi:[1,0,0]
	v_mov_b32_e32 v75, v73
	v_mul_f32_e32 v76, v81, v87
	v_pk_fma_f32 v[78:79], v[78:79], v[84:85], v[88:89] op_sel:[0,0,1] op_sel_hi:[1,1,0] neg_lo:[0,0,1] neg_hi:[0,0,1]
	v_pk_fma_f32 v[72:73], v[80:81], v[58:59], v[72:73] op_sel:[1,0,0] op_sel_hi:[0,1,0]
	v_mov_b32_e32 v79, v77
	v_pk_add_f32 v[22:23], v[22:23], v[74:75] neg_lo:[0,1] neg_hi:[0,1]
	s_wait_dscnt 0x1
	v_pk_mul_f32 v[74:75], v[64:65], v[86:87] op_sel:[0,1]
	v_pk_mul_f32 v[88:89], v[82:83], v[86:87] op_sel:[0,1]
	v_pk_fma_f32 v[76:77], v[80:81], v[58:59], v[76:77] op_sel_hi:[1,1,0] neg_lo:[0,0,1] neg_hi:[0,0,1]
	v_pk_add_f32 v[44:45], v[44:45], v[78:79] neg_lo:[0,1] neg_hi:[0,1]
	v_pk_add_f32 v[60:61], v[60:61], v[108:109] neg_lo:[0,1] neg_hi:[0,1]
	v_pk_fma_f32 v[78:79], v[64:65], v[84:85], v[74:75] op_sel:[0,0,1] op_sel_hi:[1,0,0]
	v_mov_b32_e32 v77, v73
	v_pk_fma_f32 v[72:73], v[82:83], v[84:85], v[88:89] op_sel:[0,0,1] op_sel_hi:[1,0,0]
	v_pk_fma_f32 v[64:65], v[64:65], v[84:85], v[74:75] op_sel:[0,0,1] op_sel_hi:[1,1,0] neg_lo:[0,0,1] neg_hi:[0,0,1]
	v_pk_add_f32 v[46:47], v[46:47], v[90:91] neg_lo:[0,1] neg_hi:[0,1]
	v_mov_b32_e32 v65, v79
	v_pk_add_f32 v[40:41], v[40:41], v[76:77] neg_lo:[0,1] neg_hi:[0,1]
	v_pk_fma_f32 v[76:77], v[82:83], v[84:85], v[88:89] op_sel:[0,0,1] op_sel_hi:[1,1,0] neg_lo:[0,0,1] neg_hi:[0,0,1]
	v_mov_b32_e32 v77, v73
	v_pk_mul_f32 v[72:73], v[66:67], v[86:87] op_sel:[0,1]
	s_wait_dscnt 0x0
	v_pk_mul_f32 v[80:81], v[68:69], v[86:87] op_sel:[0,1]
	v_pk_mul_f32 v[74:75], v[70:71], v[86:87] op_sel:[0,1]
	v_pk_add_f32 v[56:57], v[56:57], v[64:65] neg_lo:[0,1] neg_hi:[0,1]
	v_pk_fma_f32 v[82:83], v[66:67], v[84:85], v[72:73] op_sel:[0,0,1] op_sel_hi:[1,0,0]
	s_delay_alu instid0(VALU_DEP_4)
	v_pk_fma_f32 v[78:79], v[68:69], v[84:85], v[80:81] op_sel:[0,0,1] op_sel_hi:[1,0,0]
	v_pk_fma_f32 v[66:67], v[66:67], v[84:85], v[72:73] op_sel:[0,0,1] op_sel_hi:[1,1,0] neg_lo:[0,0,1] neg_hi:[0,0,1]
	v_pk_fma_f32 v[72:73], v[70:71], v[84:85], v[74:75] op_sel:[0,0,1] op_sel_hi:[1,0,0]
	v_pk_fma_f32 v[68:69], v[68:69], v[84:85], v[80:81] op_sel:[0,0,1] op_sel_hi:[1,1,0] neg_lo:[0,0,1] neg_hi:[0,0,1]
	v_pk_fma_f32 v[70:71], v[70:71], v[84:85], v[74:75] op_sel:[0,0,1] op_sel_hi:[1,1,0] neg_lo:[0,0,1] neg_hi:[0,0,1]
	v_dual_mov_b32 v67, v83 :: v_dual_mov_b32 v69, v79
	s_delay_alu instid0(VALU_DEP_4) | instskip(SKIP_1) | instid1(VALU_DEP_3)
	v_mov_b32_e32 v71, v73
	v_pk_add_f32 v[42:43], v[42:43], v[76:77] neg_lo:[0,1] neg_hi:[0,1]
	v_pk_add_f32 v[54:55], v[54:55], v[66:67] neg_lo:[0,1] neg_hi:[0,1]
	s_delay_alu instid0(VALU_DEP_4) | instskip(NEXT) | instid1(VALU_DEP_4)
	v_pk_add_f32 v[50:51], v[50:51], v[68:69] neg_lo:[0,1] neg_hi:[0,1]
	v_pk_add_f32 v[52:53], v[52:53], v[70:71] neg_lo:[0,1] neg_hi:[0,1]
.LBB29_10:
	s_or_b32 exec_lo, exec_lo, s2
	s_delay_alu instid0(SALU_CYCLE_1)
	s_mov_b32 s2, exec_lo
	s_wait_dscnt 0x0
	s_barrier_signal -1
	s_barrier_wait -1
	v_cmpx_eq_u32_e32 1, v92
	s_cbranch_execz .LBB29_17
; %bb.11:
	v_dual_mov_b32 v64, v48 :: v_dual_mov_b32 v65, v49
	v_dual_mov_b32 v66, v46 :: v_dual_mov_b32 v67, v47
	ds_store_b64 v93, v[60:61]
	ds_store_2addr_b64 v94, v[64:65], v[66:67] offset0:2 offset1:3
	v_dual_mov_b32 v64, v28 :: v_dual_mov_b32 v65, v29
	v_dual_mov_b32 v66, v24 :: v_dual_mov_b32 v67, v25
	ds_store_2addr_b64 v94, v[64:65], v[66:67] offset0:4 offset1:5
	v_dual_mov_b32 v64, v26 :: v_dual_mov_b32 v65, v27
	v_dual_mov_b32 v66, v22 :: v_dual_mov_b32 v67, v23
	ds_store_2addr_b64 v94, v[64:65], v[66:67] offset0:6 offset1:7
	v_dual_mov_b32 v64, v44 :: v_dual_mov_b32 v65, v45
	v_dual_mov_b32 v66, v40 :: v_dual_mov_b32 v67, v41
	ds_store_2addr_b64 v94, v[64:65], v[66:67] offset0:8 offset1:9
	v_dual_mov_b32 v64, v42 :: v_dual_mov_b32 v65, v43
	v_dual_mov_b32 v66, v56 :: v_dual_mov_b32 v67, v57
	ds_store_2addr_b64 v94, v[64:65], v[66:67] offset0:10 offset1:11
	v_dual_mov_b32 v64, v54 :: v_dual_mov_b32 v65, v55
	v_dual_mov_b32 v66, v50 :: v_dual_mov_b32 v67, v51
	ds_store_2addr_b64 v94, v[64:65], v[66:67] offset0:12 offset1:13
	ds_store_b64 v94, v[52:53] offset:112
	ds_load_b64 v[64:65], v93
	s_wait_dscnt 0x0
	v_cmp_neq_f32_e32 vcc_lo, 0, v64
	v_cmp_neq_f32_e64 s1, 0, v65
	s_or_b32 s1, vcc_lo, s1
	s_delay_alu instid0(SALU_CYCLE_1)
	s_and_b32 exec_lo, exec_lo, s1
	s_cbranch_execz .LBB29_17
; %bb.12:
	v_cmp_ngt_f32_e64 s1, |v64|, |v65|
                                        ; implicit-def: $vgpr66_vgpr67
	s_and_saveexec_b32 s4, s1
	s_delay_alu instid0(SALU_CYCLE_1)
	s_xor_b32 s1, exec_lo, s4
	s_cbranch_execz .LBB29_14
; %bb.13:
	v_div_scale_f32 v66, null, v65, v65, v64
	v_div_scale_f32 v69, vcc_lo, v64, v65, v64
	s_delay_alu instid0(VALU_DEP_2) | instskip(SKIP_1) | instid1(TRANS32_DEP_1)
	v_rcp_f32_e32 v67, v66
	v_nop
	v_fma_f32 v68, -v66, v67, 1.0
	s_delay_alu instid0(VALU_DEP_1) | instskip(NEXT) | instid1(VALU_DEP_1)
	v_fmac_f32_e32 v67, v68, v67
	v_mul_f32_e32 v68, v69, v67
	s_delay_alu instid0(VALU_DEP_1) | instskip(NEXT) | instid1(VALU_DEP_1)
	v_fma_f32 v70, -v66, v68, v69
	v_fmac_f32_e32 v68, v70, v67
	s_delay_alu instid0(VALU_DEP_1) | instskip(NEXT) | instid1(VALU_DEP_1)
	v_fma_f32 v66, -v66, v68, v69
	v_div_fmas_f32 v66, v66, v67, v68
	s_delay_alu instid0(VALU_DEP_1) | instskip(NEXT) | instid1(VALU_DEP_1)
	v_div_fixup_f32 v66, v66, v65, v64
	v_fmac_f32_e32 v65, v64, v66
	s_delay_alu instid0(VALU_DEP_1) | instskip(SKIP_1) | instid1(VALU_DEP_2)
	v_div_scale_f32 v64, null, v65, v65, 1.0
	v_div_scale_f32 v69, vcc_lo, 1.0, v65, 1.0
	v_rcp_f32_e32 v67, v64
	v_nop
	s_delay_alu instid0(TRANS32_DEP_1) | instskip(NEXT) | instid1(VALU_DEP_1)
	v_fma_f32 v68, -v64, v67, 1.0
	v_fmac_f32_e32 v67, v68, v67
	s_delay_alu instid0(VALU_DEP_1) | instskip(NEXT) | instid1(VALU_DEP_1)
	v_mul_f32_e32 v68, v69, v67
	v_fma_f32 v70, -v64, v68, v69
	s_delay_alu instid0(VALU_DEP_1) | instskip(NEXT) | instid1(VALU_DEP_1)
	v_fmac_f32_e32 v68, v70, v67
	v_fma_f32 v64, -v64, v68, v69
	s_delay_alu instid0(VALU_DEP_1) | instskip(NEXT) | instid1(VALU_DEP_1)
	v_div_fmas_f32 v64, v64, v67, v68
	v_div_fixup_f32 v64, v64, v65, 1.0
	s_delay_alu instid0(VALU_DEP_1)
	v_mul_f32_e32 v66, v66, v64
	v_xor_b32_e32 v67, 0x80000000, v64
                                        ; implicit-def: $vgpr64_vgpr65
.LBB29_14:
	s_and_not1_saveexec_b32 s1, s1
	s_cbranch_execz .LBB29_16
; %bb.15:
	v_div_scale_f32 v66, null, v64, v64, v65
	v_div_scale_f32 v69, vcc_lo, v65, v64, v65
	s_delay_alu instid0(VALU_DEP_2) | instskip(SKIP_1) | instid1(TRANS32_DEP_1)
	v_rcp_f32_e32 v67, v66
	v_nop
	v_fma_f32 v68, -v66, v67, 1.0
	s_delay_alu instid0(VALU_DEP_1) | instskip(NEXT) | instid1(VALU_DEP_1)
	v_fmac_f32_e32 v67, v68, v67
	v_mul_f32_e32 v68, v69, v67
	s_delay_alu instid0(VALU_DEP_1) | instskip(NEXT) | instid1(VALU_DEP_1)
	v_fma_f32 v70, -v66, v68, v69
	v_fmac_f32_e32 v68, v70, v67
	s_delay_alu instid0(VALU_DEP_1) | instskip(NEXT) | instid1(VALU_DEP_1)
	v_fma_f32 v66, -v66, v68, v69
	v_div_fmas_f32 v66, v66, v67, v68
	s_delay_alu instid0(VALU_DEP_1) | instskip(NEXT) | instid1(VALU_DEP_1)
	v_div_fixup_f32 v67, v66, v64, v65
	v_fmac_f32_e32 v64, v65, v67
	s_delay_alu instid0(VALU_DEP_1) | instskip(NEXT) | instid1(VALU_DEP_1)
	v_div_scale_f32 v65, null, v64, v64, 1.0
	v_rcp_f32_e32 v66, v65
	v_nop
	s_delay_alu instid0(TRANS32_DEP_1) | instskip(NEXT) | instid1(VALU_DEP_1)
	v_fma_f32 v68, -v65, v66, 1.0
	v_fmac_f32_e32 v66, v68, v66
	v_div_scale_f32 v68, vcc_lo, 1.0, v64, 1.0
	s_delay_alu instid0(VALU_DEP_1) | instskip(NEXT) | instid1(VALU_DEP_1)
	v_mul_f32_e32 v69, v68, v66
	v_fma_f32 v70, -v65, v69, v68
	s_delay_alu instid0(VALU_DEP_1) | instskip(NEXT) | instid1(VALU_DEP_1)
	v_fmac_f32_e32 v69, v70, v66
	v_fma_f32 v65, -v65, v69, v68
	s_delay_alu instid0(VALU_DEP_1) | instskip(NEXT) | instid1(VALU_DEP_1)
	v_div_fmas_f32 v65, v65, v66, v69
	v_div_fixup_f32 v66, v65, v64, 1.0
	s_delay_alu instid0(VALU_DEP_1)
	v_mul_f32_e64 v67, v67, -v66
.LBB29_16:
	s_or_b32 exec_lo, exec_lo, s1
	ds_store_b64 v93, v[66:67]
.LBB29_17:
	s_or_b32 exec_lo, exec_lo, s2
	s_wait_dscnt 0x0
	s_barrier_signal -1
	s_barrier_wait -1
	ds_load_b64 v[64:65], v93
	s_mov_b32 s1, exec_lo
	v_cmpx_lt_u32_e32 1, v92
	s_cbranch_execz .LBB29_19
; %bb.18:
	ds_load_2addr_b64 v[66:69], v94 offset0:2 offset1:3
	ds_load_2addr_b64 v[70:73], v94 offset0:4 offset1:5
	;; [unrolled: 1-line block ×3, first 2 shown]
	s_wait_dscnt 0x3
	v_pk_mul_f32 v[78:79], v[64:65], v[60:61] op_sel:[1,1] op_sel_hi:[0,1]
	s_delay_alu instid0(VALU_DEP_1)
	v_pk_fma_f32 v[86:87], v[64:65], v[60:61], v[78:79] op_sel_hi:[1,0,1] neg_lo:[0,0,1] neg_hi:[0,0,1]
	v_pk_fma_f32 v[88:89], v[64:65], v[60:61], v[78:79] op_sel_hi:[1,0,1]
	ds_load_2addr_b64 v[78:81], v94 offset0:8 offset1:9
	ds_load_2addr_b64 v[82:85], v94 offset0:10 offset1:11
	v_dual_mov_b32 v60, v86 :: v_dual_mov_b32 v61, v89
	s_wait_dscnt 0x4
	v_pk_mul_f32 v[90:91], v[66:67], v[88:89] op_sel:[0,1]
	v_pk_mul_f32 v[96:97], v[68:69], v[88:89] op_sel:[0,1]
	s_wait_dscnt 0x3
	v_pk_mul_f32 v[98:99], v[70:71], v[88:89] op_sel:[0,1]
	v_dual_mov_b32 v100, v73 :: v_dual_mov_b32 v101, v72
	v_dual_mul_f32 v102, v73, v89 :: v_dual_mul_f32 v104, v73, v86
	s_wait_dscnt 0x2
	v_pk_mul_f32 v[106:107], v[74:75], v[88:89] op_sel:[0,1]
	v_pk_fma_f32 v[110:111], v[66:67], v[86:87], v[90:91] op_sel:[0,0,1] op_sel_hi:[1,1,0] neg_lo:[0,0,1] neg_hi:[0,0,1]
	v_pk_fma_f32 v[66:67], v[66:67], v[86:87], v[90:91] op_sel:[0,0,1] op_sel_hi:[1,0,0]
	v_pk_fma_f32 v[90:91], v[68:69], v[86:87], v[96:97] op_sel:[0,0,1] op_sel_hi:[1,1,0] neg_lo:[0,0,1] neg_hi:[0,0,1]
	v_pk_fma_f32 v[68:69], v[68:69], v[86:87], v[96:97] op_sel:[0,0,1] op_sel_hi:[1,0,0]
	;; [unrolled: 2-line block ×3, first 2 shown]
	v_pk_fma_f32 v[98:99], v[100:101], v[60:61], v[104:105] op_sel_hi:[1,1,0]
	v_pk_fma_f32 v[72:73], v[72:73], v[60:61], v[102:103] op_sel_hi:[1,1,0] neg_lo:[0,0,1] neg_hi:[0,0,1]
	v_pk_mul_f32 v[108:109], v[76:77], v[88:89] op_sel:[0,1]
	v_dual_mov_b32 v111, v67 :: v_dual_mov_b32 v91, v69
	s_delay_alu instid0(VALU_DEP_4)
	v_dual_mov_b32 v97, v71 :: v_dual_mov_b32 v73, v99
	v_pk_fma_f32 v[66:67], v[74:75], v[86:87], v[106:107] op_sel:[0,0,1] op_sel_hi:[1,0,0]
	v_pk_fma_f32 v[70:71], v[74:75], v[86:87], v[106:107] op_sel:[0,0,1] op_sel_hi:[1,1,0] neg_lo:[0,0,1] neg_hi:[0,0,1]
	v_pk_fma_f32 v[74:75], v[76:77], v[86:87], v[108:109] op_sel:[0,0,1] op_sel_hi:[1,1,0] neg_lo:[0,0,1] neg_hi:[0,0,1]
	v_pk_add_f32 v[46:47], v[46:47], v[90:91] neg_lo:[0,1] neg_hi:[0,1]
	v_pk_add_f32 v[24:25], v[24:25], v[72:73] neg_lo:[0,1] neg_hi:[0,1]
	v_pk_fma_f32 v[72:73], v[76:77], v[86:87], v[108:109] op_sel:[0,0,1] op_sel_hi:[1,0,0]
	v_mov_b32_e32 v71, v67
	s_wait_dscnt 0x1
	v_pk_mul_f32 v[76:77], v[78:79], v[88:89] op_sel:[0,1]
	ds_load_2addr_b64 v[66:69], v94 offset0:12 offset1:13
	v_pk_add_f32 v[48:49], v[48:49], v[110:111] neg_lo:[0,1] neg_hi:[0,1]
	v_mov_b32_e32 v75, v73
	v_pk_add_f32 v[26:27], v[26:27], v[70:71] neg_lo:[0,1] neg_hi:[0,1]
	ds_load_b64 v[70:71], v94 offset:112
	v_pk_mul_f32 v[72:73], v[80:81], v[88:89] op_sel:[0,1]
	v_pk_fma_f32 v[90:91], v[78:79], v[86:87], v[76:77] op_sel:[0,0,1] op_sel_hi:[1,0,0]
	v_pk_add_f32 v[22:23], v[22:23], v[74:75] neg_lo:[0,1] neg_hi:[0,1]
	v_pk_fma_f32 v[76:77], v[78:79], v[86:87], v[76:77] op_sel:[0,0,1] op_sel_hi:[1,1,0] neg_lo:[0,0,1] neg_hi:[0,0,1]
	s_wait_dscnt 0x2
	v_mul_f32_e32 v78, v83, v89
	v_pk_fma_f32 v[74:75], v[80:81], v[86:87], v[72:73] op_sel:[0,0,1] op_sel_hi:[1,0,0]
	v_mul_f32_e32 v74, v83, v86
	v_mov_b32_e32 v77, v91
	v_pk_fma_f32 v[72:73], v[80:81], v[86:87], v[72:73] op_sel:[0,0,1] op_sel_hi:[1,1,0] neg_lo:[0,0,1] neg_hi:[0,0,1]
	v_pk_add_f32 v[28:29], v[28:29], v[96:97] neg_lo:[0,1] neg_hi:[0,1]
	v_mov_b32_e32 v73, v75
	v_pk_fma_f32 v[74:75], v[82:83], v[60:61], v[74:75] op_sel:[1,0,0] op_sel_hi:[0,1,0]
	v_pk_add_f32 v[44:45], v[44:45], v[76:77] neg_lo:[0,1] neg_hi:[0,1]
	v_pk_mul_f32 v[76:77], v[84:85], v[88:89] op_sel:[0,1]
	s_delay_alu instid0(VALU_DEP_4)
	v_pk_add_f32 v[40:41], v[40:41], v[72:73] neg_lo:[0,1] neg_hi:[0,1]
	v_pk_fma_f32 v[72:73], v[82:83], v[60:61], v[78:79] op_sel_hi:[1,1,0] neg_lo:[0,0,1] neg_hi:[0,0,1]
	s_wait_dscnt 0x1
	v_pk_mul_f32 v[80:81], v[68:69], v[88:89] op_sel:[0,1]
	v_pk_fma_f32 v[78:79], v[84:85], v[86:87], v[76:77] op_sel:[0,0,1] op_sel_hi:[1,0,0]
	v_mov_b32_e32 v73, v75
	v_pk_mul_f32 v[74:75], v[66:67], v[88:89] op_sel:[0,1]
	s_wait_dscnt 0x0
	v_pk_mul_f32 v[82:83], v[70:71], v[88:89] op_sel:[0,1]
	v_pk_fma_f32 v[76:77], v[84:85], v[86:87], v[76:77] op_sel:[0,0,1] op_sel_hi:[1,1,0] neg_lo:[0,0,1] neg_hi:[0,0,1]
	v_mov_b32_e32 v77, v79
	v_pk_fma_f32 v[78:79], v[68:69], v[86:87], v[80:81] op_sel:[0,0,1] op_sel_hi:[1,0,0]
	v_pk_fma_f32 v[84:85], v[66:67], v[86:87], v[74:75] op_sel:[0,0,1] op_sel_hi:[1,0,0]
	v_pk_fma_f32 v[66:67], v[66:67], v[86:87], v[74:75] op_sel:[0,0,1] op_sel_hi:[1,1,0] neg_lo:[0,0,1] neg_hi:[0,0,1]
	v_pk_fma_f32 v[74:75], v[70:71], v[86:87], v[82:83] op_sel:[0,0,1] op_sel_hi:[1,0,0]
	v_pk_fma_f32 v[68:69], v[68:69], v[86:87], v[80:81] op_sel:[0,0,1] op_sel_hi:[1,1,0] neg_lo:[0,0,1] neg_hi:[0,0,1]
	v_pk_fma_f32 v[70:71], v[70:71], v[86:87], v[82:83] op_sel:[0,0,1] op_sel_hi:[1,1,0] neg_lo:[0,0,1] neg_hi:[0,0,1]
	v_dual_mov_b32 v67, v85 :: v_dual_mov_b32 v69, v79
	s_delay_alu instid0(VALU_DEP_4) | instskip(SKIP_2) | instid1(VALU_DEP_4)
	v_mov_b32_e32 v71, v75
	v_pk_add_f32 v[42:43], v[42:43], v[72:73] neg_lo:[0,1] neg_hi:[0,1]
	v_pk_add_f32 v[56:57], v[56:57], v[76:77] neg_lo:[0,1] neg_hi:[0,1]
	;; [unrolled: 1-line block ×5, first 2 shown]
.LBB29_19:
	s_or_b32 exec_lo, exec_lo, s1
	s_delay_alu instid0(SALU_CYCLE_1)
	s_mov_b32 s2, exec_lo
	s_wait_dscnt 0x0
	s_barrier_signal -1
	s_barrier_wait -1
	v_cmpx_eq_u32_e32 2, v92
	s_cbranch_execz .LBB29_26
; %bb.20:
	ds_store_b64 v93, v[48:49]
	ds_store_2addr_b64 v94, v[46:47], v[28:29] offset0:3 offset1:4
	ds_store_2addr_b64 v94, v[24:25], v[26:27] offset0:5 offset1:6
	;; [unrolled: 1-line block ×6, first 2 shown]
	ds_load_b64 v[66:67], v93
	s_wait_dscnt 0x0
	v_cmp_neq_f32_e32 vcc_lo, 0, v66
	v_cmp_neq_f32_e64 s1, 0, v67
	s_or_b32 s1, vcc_lo, s1
	s_delay_alu instid0(SALU_CYCLE_1)
	s_and_b32 exec_lo, exec_lo, s1
	s_cbranch_execz .LBB29_26
; %bb.21:
	v_cmp_ngt_f32_e64 s1, |v66|, |v67|
                                        ; implicit-def: $vgpr68_vgpr69
	s_and_saveexec_b32 s4, s1
	s_delay_alu instid0(SALU_CYCLE_1)
	s_xor_b32 s1, exec_lo, s4
	s_cbranch_execz .LBB29_23
; %bb.22:
	v_div_scale_f32 v68, null, v67, v67, v66
	v_div_scale_f32 v71, vcc_lo, v66, v67, v66
	s_delay_alu instid0(VALU_DEP_2) | instskip(SKIP_1) | instid1(TRANS32_DEP_1)
	v_rcp_f32_e32 v69, v68
	v_nop
	v_fma_f32 v70, -v68, v69, 1.0
	s_delay_alu instid0(VALU_DEP_1) | instskip(NEXT) | instid1(VALU_DEP_1)
	v_fmac_f32_e32 v69, v70, v69
	v_mul_f32_e32 v70, v71, v69
	s_delay_alu instid0(VALU_DEP_1) | instskip(NEXT) | instid1(VALU_DEP_1)
	v_fma_f32 v72, -v68, v70, v71
	v_fmac_f32_e32 v70, v72, v69
	s_delay_alu instid0(VALU_DEP_1) | instskip(NEXT) | instid1(VALU_DEP_1)
	v_fma_f32 v68, -v68, v70, v71
	v_div_fmas_f32 v68, v68, v69, v70
	s_delay_alu instid0(VALU_DEP_1) | instskip(NEXT) | instid1(VALU_DEP_1)
	v_div_fixup_f32 v68, v68, v67, v66
	v_fmac_f32_e32 v67, v66, v68
	s_delay_alu instid0(VALU_DEP_1) | instskip(SKIP_1) | instid1(VALU_DEP_2)
	v_div_scale_f32 v66, null, v67, v67, 1.0
	v_div_scale_f32 v71, vcc_lo, 1.0, v67, 1.0
	v_rcp_f32_e32 v69, v66
	v_nop
	s_delay_alu instid0(TRANS32_DEP_1) | instskip(NEXT) | instid1(VALU_DEP_1)
	v_fma_f32 v70, -v66, v69, 1.0
	v_fmac_f32_e32 v69, v70, v69
	s_delay_alu instid0(VALU_DEP_1) | instskip(NEXT) | instid1(VALU_DEP_1)
	v_mul_f32_e32 v70, v71, v69
	v_fma_f32 v72, -v66, v70, v71
	s_delay_alu instid0(VALU_DEP_1) | instskip(NEXT) | instid1(VALU_DEP_1)
	v_fmac_f32_e32 v70, v72, v69
	v_fma_f32 v66, -v66, v70, v71
	s_delay_alu instid0(VALU_DEP_1) | instskip(NEXT) | instid1(VALU_DEP_1)
	v_div_fmas_f32 v66, v66, v69, v70
	v_div_fixup_f32 v66, v66, v67, 1.0
	s_delay_alu instid0(VALU_DEP_1)
	v_mul_f32_e32 v68, v68, v66
	v_xor_b32_e32 v69, 0x80000000, v66
                                        ; implicit-def: $vgpr66_vgpr67
.LBB29_23:
	s_and_not1_saveexec_b32 s1, s1
	s_cbranch_execz .LBB29_25
; %bb.24:
	v_div_scale_f32 v68, null, v66, v66, v67
	v_div_scale_f32 v71, vcc_lo, v67, v66, v67
	s_delay_alu instid0(VALU_DEP_2) | instskip(SKIP_1) | instid1(TRANS32_DEP_1)
	v_rcp_f32_e32 v69, v68
	v_nop
	v_fma_f32 v70, -v68, v69, 1.0
	s_delay_alu instid0(VALU_DEP_1) | instskip(NEXT) | instid1(VALU_DEP_1)
	v_fmac_f32_e32 v69, v70, v69
	v_mul_f32_e32 v70, v71, v69
	s_delay_alu instid0(VALU_DEP_1) | instskip(NEXT) | instid1(VALU_DEP_1)
	v_fma_f32 v72, -v68, v70, v71
	v_fmac_f32_e32 v70, v72, v69
	s_delay_alu instid0(VALU_DEP_1) | instskip(NEXT) | instid1(VALU_DEP_1)
	v_fma_f32 v68, -v68, v70, v71
	v_div_fmas_f32 v68, v68, v69, v70
	s_delay_alu instid0(VALU_DEP_1) | instskip(NEXT) | instid1(VALU_DEP_1)
	v_div_fixup_f32 v69, v68, v66, v67
	v_fmac_f32_e32 v66, v67, v69
	s_delay_alu instid0(VALU_DEP_1) | instskip(NEXT) | instid1(VALU_DEP_1)
	v_div_scale_f32 v67, null, v66, v66, 1.0
	v_rcp_f32_e32 v68, v67
	v_nop
	s_delay_alu instid0(TRANS32_DEP_1) | instskip(NEXT) | instid1(VALU_DEP_1)
	v_fma_f32 v70, -v67, v68, 1.0
	v_fmac_f32_e32 v68, v70, v68
	v_div_scale_f32 v70, vcc_lo, 1.0, v66, 1.0
	s_delay_alu instid0(VALU_DEP_1) | instskip(NEXT) | instid1(VALU_DEP_1)
	v_mul_f32_e32 v71, v70, v68
	v_fma_f32 v72, -v67, v71, v70
	s_delay_alu instid0(VALU_DEP_1) | instskip(NEXT) | instid1(VALU_DEP_1)
	v_fmac_f32_e32 v71, v72, v68
	v_fma_f32 v67, -v67, v71, v70
	s_delay_alu instid0(VALU_DEP_1) | instskip(NEXT) | instid1(VALU_DEP_1)
	v_div_fmas_f32 v67, v67, v68, v71
	v_div_fixup_f32 v68, v67, v66, 1.0
	s_delay_alu instid0(VALU_DEP_1)
	v_mul_f32_e64 v69, v69, -v68
.LBB29_25:
	s_or_b32 exec_lo, exec_lo, s1
	ds_store_b64 v93, v[68:69]
.LBB29_26:
	s_or_b32 exec_lo, exec_lo, s2
	s_wait_dscnt 0x0
	s_barrier_signal -1
	s_barrier_wait -1
	ds_load_b64 v[66:67], v93
	s_mov_b32 s1, exec_lo
	v_cmpx_lt_u32_e32 2, v92
	s_cbranch_execz .LBB29_28
; %bb.27:
	s_wait_dscnt 0x0
	v_pk_mul_f32 v[68:69], v[66:67], v[48:49] op_sel:[1,1] op_sel_hi:[0,1]
	s_delay_alu instid0(VALU_DEP_1)
	v_pk_fma_f32 v[72:73], v[66:67], v[48:49], v[68:69] op_sel_hi:[1,0,1] neg_lo:[0,0,1] neg_hi:[0,0,1]
	v_pk_fma_f32 v[74:75], v[66:67], v[48:49], v[68:69] op_sel_hi:[1,0,1]
	ds_load_2addr_b64 v[68:71], v94 offset0:3 offset1:4
	v_dual_mov_b32 v48, v72 :: v_dual_mov_b32 v49, v75
	s_wait_dscnt 0x0
	v_pk_mul_f32 v[76:77], v[68:69], v[74:75] op_sel:[0,1]
	s_delay_alu instid0(VALU_DEP_1) | instskip(SKIP_1) | instid1(VALU_DEP_1)
	v_pk_fma_f32 v[78:79], v[68:69], v[72:73], v[76:77] op_sel:[0,0,1] op_sel_hi:[1,1,0] neg_lo:[0,0,1] neg_hi:[0,0,1]
	v_pk_fma_f32 v[68:69], v[68:69], v[72:73], v[76:77] op_sel:[0,0,1] op_sel_hi:[1,0,0]
	v_mov_b32_e32 v79, v69
	v_pk_mul_f32 v[68:69], v[70:71], v[74:75] op_sel:[0,1]
	s_delay_alu instid0(VALU_DEP_1) | instskip(SKIP_1) | instid1(VALU_DEP_1)
	v_pk_fma_f32 v[76:77], v[70:71], v[72:73], v[68:69] op_sel:[0,0,1] op_sel_hi:[1,1,0] neg_lo:[0,0,1] neg_hi:[0,0,1]
	v_pk_fma_f32 v[68:69], v[70:71], v[72:73], v[68:69] op_sel:[0,0,1] op_sel_hi:[1,0,0]
	v_mov_b32_e32 v77, v69
	ds_load_2addr_b64 v[68:71], v94 offset0:5 offset1:6
	v_pk_add_f32 v[46:47], v[46:47], v[78:79] neg_lo:[0,1] neg_hi:[0,1]
	v_pk_add_f32 v[28:29], v[28:29], v[76:77] neg_lo:[0,1] neg_hi:[0,1]
	s_wait_dscnt 0x0
	v_pk_mul_f32 v[76:77], v[68:69], v[74:75] op_sel:[0,1]
	s_delay_alu instid0(VALU_DEP_1) | instskip(SKIP_2) | instid1(VALU_DEP_2)
	v_pk_fma_f32 v[78:79], v[68:69], v[72:73], v[76:77] op_sel:[0,0,1] op_sel_hi:[1,1,0] neg_lo:[0,0,1] neg_hi:[0,0,1]
	v_pk_fma_f32 v[68:69], v[68:69], v[72:73], v[76:77] op_sel:[0,0,1] op_sel_hi:[1,0,0]
	v_dual_mul_f32 v76, v71, v75 :: v_dual_mov_b32 v68, v71
	v_dual_mov_b32 v79, v69 :: v_dual_mov_b32 v69, v70
	s_delay_alu instid0(VALU_DEP_2) | instskip(SKIP_1) | instid1(VALU_DEP_3)
	v_pk_fma_f32 v[76:77], v[70:71], v[48:49], v[76:77] op_sel_hi:[1,1,0] neg_lo:[0,0,1] neg_hi:[0,0,1]
	v_mul_f32_e32 v70, v71, v72
	v_pk_add_f32 v[24:25], v[24:25], v[78:79] neg_lo:[0,1] neg_hi:[0,1]
	s_delay_alu instid0(VALU_DEP_2) | instskip(NEXT) | instid1(VALU_DEP_1)
	v_pk_fma_f32 v[68:69], v[68:69], v[48:49], v[70:71] op_sel_hi:[1,1,0]
	v_mov_b32_e32 v77, v69
	ds_load_2addr_b64 v[68:71], v94 offset0:7 offset1:8
	v_pk_add_f32 v[26:27], v[26:27], v[76:77] neg_lo:[0,1] neg_hi:[0,1]
	s_wait_dscnt 0x0
	v_pk_mul_f32 v[76:77], v[68:69], v[74:75] op_sel:[0,1]
	s_delay_alu instid0(VALU_DEP_1) | instskip(SKIP_1) | instid1(VALU_DEP_1)
	v_pk_fma_f32 v[78:79], v[68:69], v[72:73], v[76:77] op_sel:[0,0,1] op_sel_hi:[1,1,0] neg_lo:[0,0,1] neg_hi:[0,0,1]
	v_pk_fma_f32 v[68:69], v[68:69], v[72:73], v[76:77] op_sel:[0,0,1] op_sel_hi:[1,0,0]
	v_mov_b32_e32 v79, v69
	v_pk_mul_f32 v[68:69], v[70:71], v[74:75] op_sel:[0,1]
	s_delay_alu instid0(VALU_DEP_1) | instskip(SKIP_1) | instid1(VALU_DEP_1)
	v_pk_fma_f32 v[76:77], v[70:71], v[72:73], v[68:69] op_sel:[0,0,1] op_sel_hi:[1,1,0] neg_lo:[0,0,1] neg_hi:[0,0,1]
	v_pk_fma_f32 v[68:69], v[70:71], v[72:73], v[68:69] op_sel:[0,0,1] op_sel_hi:[1,0,0]
	v_mov_b32_e32 v77, v69
	ds_load_2addr_b64 v[68:71], v94 offset0:9 offset1:10
	v_pk_add_f32 v[22:23], v[22:23], v[78:79] neg_lo:[0,1] neg_hi:[0,1]
	v_pk_add_f32 v[44:45], v[44:45], v[76:77] neg_lo:[0,1] neg_hi:[0,1]
	s_wait_dscnt 0x0
	v_pk_mul_f32 v[76:77], v[68:69], v[74:75] op_sel:[0,1]
	s_delay_alu instid0(VALU_DEP_1) | instskip(SKIP_1) | instid1(VALU_DEP_1)
	v_pk_fma_f32 v[78:79], v[68:69], v[72:73], v[76:77] op_sel:[0,0,1] op_sel_hi:[1,1,0] neg_lo:[0,0,1] neg_hi:[0,0,1]
	v_pk_fma_f32 v[68:69], v[68:69], v[72:73], v[76:77] op_sel:[0,0,1] op_sel_hi:[1,0,0]
	v_mov_b32_e32 v79, v69
	v_pk_mul_f32 v[68:69], v[70:71], v[74:75] op_sel:[0,1]
	s_delay_alu instid0(VALU_DEP_1) | instskip(SKIP_1) | instid1(VALU_DEP_1)
	v_pk_fma_f32 v[76:77], v[70:71], v[72:73], v[68:69] op_sel:[0,0,1] op_sel_hi:[1,1,0] neg_lo:[0,0,1] neg_hi:[0,0,1]
	v_pk_fma_f32 v[68:69], v[70:71], v[72:73], v[68:69] op_sel:[0,0,1] op_sel_hi:[1,0,0]
	v_mov_b32_e32 v77, v69
	ds_load_2addr_b64 v[68:71], v94 offset0:11 offset1:12
	v_pk_add_f32 v[40:41], v[40:41], v[78:79] neg_lo:[0,1] neg_hi:[0,1]
	v_pk_add_f32 v[42:43], v[42:43], v[76:77] neg_lo:[0,1] neg_hi:[0,1]
	s_wait_dscnt 0x0
	v_dual_mul_f32 v76, v69, v75 :: v_dual_mul_f32 v78, v69, v72
	s_delay_alu instid0(VALU_DEP_1) | instskip(NEXT) | instid1(VALU_DEP_2)
	v_pk_fma_f32 v[76:77], v[68:69], v[48:49], v[76:77] op_sel_hi:[1,1,0] neg_lo:[0,0,1] neg_hi:[0,0,1]
	v_pk_fma_f32 v[68:69], v[68:69], v[48:49], v[78:79] op_sel:[1,0,0] op_sel_hi:[0,1,0]
	s_delay_alu instid0(VALU_DEP_1) | instskip(SKIP_1) | instid1(VALU_DEP_2)
	v_mov_b32_e32 v77, v69
	v_pk_mul_f32 v[68:69], v[70:71], v[74:75] op_sel:[0,1]
	v_pk_add_f32 v[56:57], v[56:57], v[76:77] neg_lo:[0,1] neg_hi:[0,1]
	s_delay_alu instid0(VALU_DEP_2) | instskip(SKIP_1) | instid1(VALU_DEP_1)
	v_pk_fma_f32 v[76:77], v[70:71], v[72:73], v[68:69] op_sel:[0,0,1] op_sel_hi:[1,1,0] neg_lo:[0,0,1] neg_hi:[0,0,1]
	v_pk_fma_f32 v[68:69], v[70:71], v[72:73], v[68:69] op_sel:[0,0,1] op_sel_hi:[1,0,0]
	v_mov_b32_e32 v77, v69
	ds_load_2addr_b64 v[68:71], v94 offset0:13 offset1:14
	v_pk_add_f32 v[54:55], v[54:55], v[76:77] neg_lo:[0,1] neg_hi:[0,1]
	s_wait_dscnt 0x0
	v_pk_mul_f32 v[76:77], v[68:69], v[74:75] op_sel:[0,1]
	v_mul_f32_e32 v74, v71, v75
	s_delay_alu instid0(VALU_DEP_2) | instskip(SKIP_2) | instid1(VALU_DEP_4)
	v_pk_fma_f32 v[78:79], v[68:69], v[72:73], v[76:77] op_sel:[0,0,1] op_sel_hi:[1,1,0] neg_lo:[0,0,1] neg_hi:[0,0,1]
	v_pk_fma_f32 v[68:69], v[68:69], v[72:73], v[76:77] op_sel:[0,0,1] op_sel_hi:[1,0,0]
	v_mov_b32_e32 v68, v71
	v_pk_fma_f32 v[74:75], v[70:71], v[48:49], v[74:75] op_sel_hi:[1,1,0] neg_lo:[0,0,1] neg_hi:[0,0,1]
	s_delay_alu instid0(VALU_DEP_3) | instskip(SKIP_1) | instid1(VALU_DEP_2)
	v_dual_mov_b32 v79, v69 :: v_dual_mov_b32 v69, v70
	v_mul_f32_e32 v70, v71, v72
	v_pk_add_f32 v[50:51], v[50:51], v[78:79] neg_lo:[0,1] neg_hi:[0,1]
	s_delay_alu instid0(VALU_DEP_2) | instskip(NEXT) | instid1(VALU_DEP_1)
	v_pk_fma_f32 v[68:69], v[68:69], v[48:49], v[70:71] op_sel_hi:[1,1,0]
	v_mov_b32_e32 v75, v69
	s_delay_alu instid0(VALU_DEP_1)
	v_pk_add_f32 v[52:53], v[52:53], v[74:75] neg_lo:[0,1] neg_hi:[0,1]
.LBB29_28:
	s_or_b32 exec_lo, exec_lo, s1
	s_delay_alu instid0(SALU_CYCLE_1)
	s_mov_b32 s2, exec_lo
	s_wait_dscnt 0x0
	s_barrier_signal -1
	s_barrier_wait -1
	v_cmpx_eq_u32_e32 3, v92
	s_cbranch_execz .LBB29_35
; %bb.29:
	v_dual_mov_b32 v68, v28 :: v_dual_mov_b32 v69, v29
	v_dual_mov_b32 v70, v24 :: v_dual_mov_b32 v71, v25
	;; [unrolled: 1-line block ×10, first 2 shown]
	ds_store_b64 v93, v[46:47]
	ds_store_2addr_b64 v94, v[68:69], v[70:71] offset0:4 offset1:5
	ds_store_2addr_b64 v94, v[72:73], v[74:75] offset0:6 offset1:7
	;; [unrolled: 1-line block ×5, first 2 shown]
	ds_store_b64 v94, v[52:53] offset:112
	ds_load_b64 v[68:69], v93
	s_wait_dscnt 0x0
	v_cmp_neq_f32_e32 vcc_lo, 0, v68
	v_cmp_neq_f32_e64 s1, 0, v69
	s_or_b32 s1, vcc_lo, s1
	s_delay_alu instid0(SALU_CYCLE_1)
	s_and_b32 exec_lo, exec_lo, s1
	s_cbranch_execz .LBB29_35
; %bb.30:
	v_cmp_ngt_f32_e64 s1, |v68|, |v69|
                                        ; implicit-def: $vgpr70_vgpr71
	s_and_saveexec_b32 s4, s1
	s_delay_alu instid0(SALU_CYCLE_1)
	s_xor_b32 s1, exec_lo, s4
	s_cbranch_execz .LBB29_32
; %bb.31:
	v_div_scale_f32 v70, null, v69, v69, v68
	v_div_scale_f32 v73, vcc_lo, v68, v69, v68
	s_delay_alu instid0(VALU_DEP_2) | instskip(SKIP_1) | instid1(TRANS32_DEP_1)
	v_rcp_f32_e32 v71, v70
	v_nop
	v_fma_f32 v72, -v70, v71, 1.0
	s_delay_alu instid0(VALU_DEP_1) | instskip(NEXT) | instid1(VALU_DEP_1)
	v_fmac_f32_e32 v71, v72, v71
	v_mul_f32_e32 v72, v73, v71
	s_delay_alu instid0(VALU_DEP_1) | instskip(NEXT) | instid1(VALU_DEP_1)
	v_fma_f32 v74, -v70, v72, v73
	v_fmac_f32_e32 v72, v74, v71
	s_delay_alu instid0(VALU_DEP_1) | instskip(NEXT) | instid1(VALU_DEP_1)
	v_fma_f32 v70, -v70, v72, v73
	v_div_fmas_f32 v70, v70, v71, v72
	s_delay_alu instid0(VALU_DEP_1) | instskip(NEXT) | instid1(VALU_DEP_1)
	v_div_fixup_f32 v70, v70, v69, v68
	v_fmac_f32_e32 v69, v68, v70
	s_delay_alu instid0(VALU_DEP_1) | instskip(SKIP_1) | instid1(VALU_DEP_2)
	v_div_scale_f32 v68, null, v69, v69, 1.0
	v_div_scale_f32 v73, vcc_lo, 1.0, v69, 1.0
	v_rcp_f32_e32 v71, v68
	v_nop
	s_delay_alu instid0(TRANS32_DEP_1) | instskip(NEXT) | instid1(VALU_DEP_1)
	v_fma_f32 v72, -v68, v71, 1.0
	v_fmac_f32_e32 v71, v72, v71
	s_delay_alu instid0(VALU_DEP_1) | instskip(NEXT) | instid1(VALU_DEP_1)
	v_mul_f32_e32 v72, v73, v71
	v_fma_f32 v74, -v68, v72, v73
	s_delay_alu instid0(VALU_DEP_1) | instskip(NEXT) | instid1(VALU_DEP_1)
	v_fmac_f32_e32 v72, v74, v71
	v_fma_f32 v68, -v68, v72, v73
	s_delay_alu instid0(VALU_DEP_1) | instskip(NEXT) | instid1(VALU_DEP_1)
	v_div_fmas_f32 v68, v68, v71, v72
	v_div_fixup_f32 v68, v68, v69, 1.0
	s_delay_alu instid0(VALU_DEP_1)
	v_mul_f32_e32 v70, v70, v68
	v_xor_b32_e32 v71, 0x80000000, v68
                                        ; implicit-def: $vgpr68_vgpr69
.LBB29_32:
	s_and_not1_saveexec_b32 s1, s1
	s_cbranch_execz .LBB29_34
; %bb.33:
	v_div_scale_f32 v70, null, v68, v68, v69
	v_div_scale_f32 v73, vcc_lo, v69, v68, v69
	s_delay_alu instid0(VALU_DEP_2) | instskip(SKIP_1) | instid1(TRANS32_DEP_1)
	v_rcp_f32_e32 v71, v70
	v_nop
	v_fma_f32 v72, -v70, v71, 1.0
	s_delay_alu instid0(VALU_DEP_1) | instskip(NEXT) | instid1(VALU_DEP_1)
	v_fmac_f32_e32 v71, v72, v71
	v_mul_f32_e32 v72, v73, v71
	s_delay_alu instid0(VALU_DEP_1) | instskip(NEXT) | instid1(VALU_DEP_1)
	v_fma_f32 v74, -v70, v72, v73
	v_fmac_f32_e32 v72, v74, v71
	s_delay_alu instid0(VALU_DEP_1) | instskip(NEXT) | instid1(VALU_DEP_1)
	v_fma_f32 v70, -v70, v72, v73
	v_div_fmas_f32 v70, v70, v71, v72
	s_delay_alu instid0(VALU_DEP_1) | instskip(NEXT) | instid1(VALU_DEP_1)
	v_div_fixup_f32 v71, v70, v68, v69
	v_fmac_f32_e32 v68, v69, v71
	s_delay_alu instid0(VALU_DEP_1) | instskip(NEXT) | instid1(VALU_DEP_1)
	v_div_scale_f32 v69, null, v68, v68, 1.0
	v_rcp_f32_e32 v70, v69
	v_nop
	s_delay_alu instid0(TRANS32_DEP_1) | instskip(NEXT) | instid1(VALU_DEP_1)
	v_fma_f32 v72, -v69, v70, 1.0
	v_fmac_f32_e32 v70, v72, v70
	v_div_scale_f32 v72, vcc_lo, 1.0, v68, 1.0
	s_delay_alu instid0(VALU_DEP_1) | instskip(NEXT) | instid1(VALU_DEP_1)
	v_mul_f32_e32 v73, v72, v70
	v_fma_f32 v74, -v69, v73, v72
	s_delay_alu instid0(VALU_DEP_1) | instskip(NEXT) | instid1(VALU_DEP_1)
	v_fmac_f32_e32 v73, v74, v70
	v_fma_f32 v69, -v69, v73, v72
	s_delay_alu instid0(VALU_DEP_1) | instskip(NEXT) | instid1(VALU_DEP_1)
	v_div_fmas_f32 v69, v69, v70, v73
	v_div_fixup_f32 v70, v69, v68, 1.0
	s_delay_alu instid0(VALU_DEP_1)
	v_mul_f32_e64 v71, v71, -v70
.LBB29_34:
	s_or_b32 exec_lo, exec_lo, s1
	ds_store_b64 v93, v[70:71]
.LBB29_35:
	s_or_b32 exec_lo, exec_lo, s2
	s_wait_dscnt 0x0
	s_barrier_signal -1
	s_barrier_wait -1
	ds_load_b64 v[68:69], v93
	s_mov_b32 s1, exec_lo
	v_cmpx_lt_u32_e32 3, v92
	s_cbranch_execz .LBB29_37
; %bb.36:
	s_wait_dscnt 0x0
	v_pk_mul_f32 v[70:71], v[68:69], v[46:47] op_sel:[1,1] op_sel_hi:[0,1]
	s_delay_alu instid0(VALU_DEP_1)
	v_pk_fma_f32 v[74:75], v[68:69], v[46:47], v[70:71] op_sel_hi:[1,0,1] neg_lo:[0,0,1] neg_hi:[0,0,1]
	v_pk_fma_f32 v[76:77], v[68:69], v[46:47], v[70:71] op_sel_hi:[1,0,1]
	ds_load_2addr_b64 v[70:73], v94 offset0:4 offset1:5
	v_dual_mov_b32 v46, v74 :: v_dual_mov_b32 v47, v77
	s_wait_dscnt 0x0
	v_pk_mul_f32 v[78:79], v[70:71], v[76:77] op_sel:[0,1]
	s_delay_alu instid0(VALU_DEP_1) | instskip(SKIP_1) | instid1(VALU_DEP_1)
	v_pk_fma_f32 v[80:81], v[70:71], v[74:75], v[78:79] op_sel:[0,0,1] op_sel_hi:[1,1,0] neg_lo:[0,0,1] neg_hi:[0,0,1]
	v_pk_fma_f32 v[70:71], v[70:71], v[74:75], v[78:79] op_sel:[0,0,1] op_sel_hi:[1,0,0]
	v_mov_b32_e32 v81, v71
	v_pk_mul_f32 v[70:71], v[72:73], v[76:77] op_sel:[0,1]
	s_delay_alu instid0(VALU_DEP_1) | instskip(SKIP_1) | instid1(VALU_DEP_1)
	v_pk_fma_f32 v[78:79], v[72:73], v[74:75], v[70:71] op_sel:[0,0,1] op_sel_hi:[1,1,0] neg_lo:[0,0,1] neg_hi:[0,0,1]
	v_pk_fma_f32 v[70:71], v[72:73], v[74:75], v[70:71] op_sel:[0,0,1] op_sel_hi:[1,0,0]
	v_mov_b32_e32 v79, v71
	ds_load_2addr_b64 v[70:73], v94 offset0:6 offset1:7
	v_pk_add_f32 v[28:29], v[28:29], v[80:81] neg_lo:[0,1] neg_hi:[0,1]
	v_pk_add_f32 v[24:25], v[24:25], v[78:79] neg_lo:[0,1] neg_hi:[0,1]
	s_wait_dscnt 0x0
	v_pk_mul_f32 v[78:79], v[70:71], v[76:77] op_sel:[0,1]
	s_delay_alu instid0(VALU_DEP_1) | instskip(SKIP_2) | instid1(VALU_DEP_2)
	v_pk_fma_f32 v[80:81], v[70:71], v[74:75], v[78:79] op_sel:[0,0,1] op_sel_hi:[1,1,0] neg_lo:[0,0,1] neg_hi:[0,0,1]
	v_pk_fma_f32 v[70:71], v[70:71], v[74:75], v[78:79] op_sel:[0,0,1] op_sel_hi:[1,0,0]
	v_dual_mul_f32 v78, v73, v77 :: v_dual_mov_b32 v70, v73
	v_dual_mov_b32 v81, v71 :: v_dual_mov_b32 v71, v72
	s_delay_alu instid0(VALU_DEP_2) | instskip(SKIP_1) | instid1(VALU_DEP_3)
	v_pk_fma_f32 v[78:79], v[72:73], v[46:47], v[78:79] op_sel_hi:[1,1,0] neg_lo:[0,0,1] neg_hi:[0,0,1]
	v_mul_f32_e32 v72, v73, v74
	v_pk_add_f32 v[26:27], v[26:27], v[80:81] neg_lo:[0,1] neg_hi:[0,1]
	s_delay_alu instid0(VALU_DEP_2) | instskip(NEXT) | instid1(VALU_DEP_1)
	v_pk_fma_f32 v[70:71], v[70:71], v[46:47], v[72:73] op_sel_hi:[1,1,0]
	v_mov_b32_e32 v79, v71
	ds_load_2addr_b64 v[70:73], v94 offset0:8 offset1:9
	v_pk_add_f32 v[22:23], v[22:23], v[78:79] neg_lo:[0,1] neg_hi:[0,1]
	s_wait_dscnt 0x0
	v_pk_mul_f32 v[78:79], v[70:71], v[76:77] op_sel:[0,1]
	s_delay_alu instid0(VALU_DEP_1) | instskip(SKIP_1) | instid1(VALU_DEP_1)
	v_pk_fma_f32 v[80:81], v[70:71], v[74:75], v[78:79] op_sel:[0,0,1] op_sel_hi:[1,1,0] neg_lo:[0,0,1] neg_hi:[0,0,1]
	v_pk_fma_f32 v[70:71], v[70:71], v[74:75], v[78:79] op_sel:[0,0,1] op_sel_hi:[1,0,0]
	v_mov_b32_e32 v81, v71
	v_pk_mul_f32 v[70:71], v[72:73], v[76:77] op_sel:[0,1]
	s_delay_alu instid0(VALU_DEP_1) | instskip(SKIP_1) | instid1(VALU_DEP_1)
	v_pk_fma_f32 v[78:79], v[72:73], v[74:75], v[70:71] op_sel:[0,0,1] op_sel_hi:[1,1,0] neg_lo:[0,0,1] neg_hi:[0,0,1]
	v_pk_fma_f32 v[70:71], v[72:73], v[74:75], v[70:71] op_sel:[0,0,1] op_sel_hi:[1,0,0]
	v_mov_b32_e32 v79, v71
	ds_load_2addr_b64 v[70:73], v94 offset0:10 offset1:11
	v_pk_add_f32 v[44:45], v[44:45], v[80:81] neg_lo:[0,1] neg_hi:[0,1]
	v_pk_add_f32 v[40:41], v[40:41], v[78:79] neg_lo:[0,1] neg_hi:[0,1]
	s_wait_dscnt 0x0
	v_pk_mul_f32 v[78:79], v[70:71], v[76:77] op_sel:[0,1]
	s_delay_alu instid0(VALU_DEP_1) | instskip(SKIP_1) | instid1(VALU_DEP_1)
	v_pk_fma_f32 v[80:81], v[70:71], v[74:75], v[78:79] op_sel:[0,0,1] op_sel_hi:[1,1,0] neg_lo:[0,0,1] neg_hi:[0,0,1]
	v_pk_fma_f32 v[70:71], v[70:71], v[74:75], v[78:79] op_sel:[0,0,1] op_sel_hi:[1,0,0]
	v_mov_b32_e32 v81, v71
	v_pk_mul_f32 v[70:71], v[72:73], v[76:77] op_sel:[0,1]
	s_delay_alu instid0(VALU_DEP_1) | instskip(SKIP_1) | instid1(VALU_DEP_1)
	v_pk_fma_f32 v[78:79], v[72:73], v[74:75], v[70:71] op_sel:[0,0,1] op_sel_hi:[1,1,0] neg_lo:[0,0,1] neg_hi:[0,0,1]
	v_pk_fma_f32 v[70:71], v[72:73], v[74:75], v[70:71] op_sel:[0,0,1] op_sel_hi:[1,0,0]
	v_mov_b32_e32 v79, v71
	ds_load_2addr_b64 v[70:73], v94 offset0:12 offset1:13
	v_pk_add_f32 v[42:43], v[42:43], v[80:81] neg_lo:[0,1] neg_hi:[0,1]
	v_pk_add_f32 v[56:57], v[56:57], v[78:79] neg_lo:[0,1] neg_hi:[0,1]
	s_wait_dscnt 0x0
	v_dual_mul_f32 v78, v71, v77 :: v_dual_mul_f32 v80, v71, v74
	s_delay_alu instid0(VALU_DEP_1) | instskip(NEXT) | instid1(VALU_DEP_2)
	v_pk_fma_f32 v[78:79], v[70:71], v[46:47], v[78:79] op_sel_hi:[1,1,0] neg_lo:[0,0,1] neg_hi:[0,0,1]
	v_pk_fma_f32 v[70:71], v[70:71], v[46:47], v[80:81] op_sel:[1,0,0] op_sel_hi:[0,1,0]
	s_delay_alu instid0(VALU_DEP_1) | instskip(SKIP_1) | instid1(VALU_DEP_2)
	v_mov_b32_e32 v79, v71
	v_pk_mul_f32 v[70:71], v[72:73], v[76:77] op_sel:[0,1]
	v_pk_add_f32 v[54:55], v[54:55], v[78:79] neg_lo:[0,1] neg_hi:[0,1]
	s_delay_alu instid0(VALU_DEP_2) | instskip(SKIP_1) | instid1(VALU_DEP_1)
	v_pk_fma_f32 v[78:79], v[72:73], v[74:75], v[70:71] op_sel:[0,0,1] op_sel_hi:[1,1,0] neg_lo:[0,0,1] neg_hi:[0,0,1]
	v_pk_fma_f32 v[70:71], v[72:73], v[74:75], v[70:71] op_sel:[0,0,1] op_sel_hi:[1,0,0]
	v_mov_b32_e32 v79, v71
	ds_load_b64 v[70:71], v94 offset:112
	v_pk_add_f32 v[50:51], v[50:51], v[78:79] neg_lo:[0,1] neg_hi:[0,1]
	s_wait_dscnt 0x0
	v_pk_mul_f32 v[72:73], v[70:71], v[76:77] op_sel:[0,1]
	s_delay_alu instid0(VALU_DEP_1) | instskip(SKIP_1) | instid1(VALU_DEP_1)
	v_pk_fma_f32 v[76:77], v[70:71], v[74:75], v[72:73] op_sel:[0,0,1] op_sel_hi:[1,1,0] neg_lo:[0,0,1] neg_hi:[0,0,1]
	v_pk_fma_f32 v[70:71], v[70:71], v[74:75], v[72:73] op_sel:[0,0,1] op_sel_hi:[1,0,0]
	v_mov_b32_e32 v77, v71
	s_delay_alu instid0(VALU_DEP_1)
	v_pk_add_f32 v[52:53], v[52:53], v[76:77] neg_lo:[0,1] neg_hi:[0,1]
.LBB29_37:
	s_or_b32 exec_lo, exec_lo, s1
	s_delay_alu instid0(SALU_CYCLE_1)
	s_mov_b32 s2, exec_lo
	s_wait_dscnt 0x0
	s_barrier_signal -1
	s_barrier_wait -1
	v_cmpx_eq_u32_e32 4, v92
	s_cbranch_execz .LBB29_44
; %bb.38:
	ds_store_b64 v93, v[28:29]
	ds_store_2addr_b64 v94, v[24:25], v[26:27] offset0:5 offset1:6
	ds_store_2addr_b64 v94, v[22:23], v[44:45] offset0:7 offset1:8
	;; [unrolled: 1-line block ×5, first 2 shown]
	ds_load_b64 v[70:71], v93
	s_wait_dscnt 0x0
	v_cmp_neq_f32_e32 vcc_lo, 0, v70
	v_cmp_neq_f32_e64 s1, 0, v71
	s_or_b32 s1, vcc_lo, s1
	s_delay_alu instid0(SALU_CYCLE_1)
	s_and_b32 exec_lo, exec_lo, s1
	s_cbranch_execz .LBB29_44
; %bb.39:
	v_cmp_ngt_f32_e64 s1, |v70|, |v71|
                                        ; implicit-def: $vgpr72_vgpr73
	s_and_saveexec_b32 s4, s1
	s_delay_alu instid0(SALU_CYCLE_1)
	s_xor_b32 s1, exec_lo, s4
	s_cbranch_execz .LBB29_41
; %bb.40:
	v_div_scale_f32 v72, null, v71, v71, v70
	v_div_scale_f32 v75, vcc_lo, v70, v71, v70
	s_delay_alu instid0(VALU_DEP_2) | instskip(SKIP_1) | instid1(TRANS32_DEP_1)
	v_rcp_f32_e32 v73, v72
	v_nop
	v_fma_f32 v74, -v72, v73, 1.0
	s_delay_alu instid0(VALU_DEP_1) | instskip(NEXT) | instid1(VALU_DEP_1)
	v_fmac_f32_e32 v73, v74, v73
	v_mul_f32_e32 v74, v75, v73
	s_delay_alu instid0(VALU_DEP_1) | instskip(NEXT) | instid1(VALU_DEP_1)
	v_fma_f32 v76, -v72, v74, v75
	v_fmac_f32_e32 v74, v76, v73
	s_delay_alu instid0(VALU_DEP_1) | instskip(NEXT) | instid1(VALU_DEP_1)
	v_fma_f32 v72, -v72, v74, v75
	v_div_fmas_f32 v72, v72, v73, v74
	s_delay_alu instid0(VALU_DEP_1) | instskip(NEXT) | instid1(VALU_DEP_1)
	v_div_fixup_f32 v72, v72, v71, v70
	v_fmac_f32_e32 v71, v70, v72
	s_delay_alu instid0(VALU_DEP_1) | instskip(SKIP_1) | instid1(VALU_DEP_2)
	v_div_scale_f32 v70, null, v71, v71, 1.0
	v_div_scale_f32 v75, vcc_lo, 1.0, v71, 1.0
	v_rcp_f32_e32 v73, v70
	v_nop
	s_delay_alu instid0(TRANS32_DEP_1) | instskip(NEXT) | instid1(VALU_DEP_1)
	v_fma_f32 v74, -v70, v73, 1.0
	v_fmac_f32_e32 v73, v74, v73
	s_delay_alu instid0(VALU_DEP_1) | instskip(NEXT) | instid1(VALU_DEP_1)
	v_mul_f32_e32 v74, v75, v73
	v_fma_f32 v76, -v70, v74, v75
	s_delay_alu instid0(VALU_DEP_1) | instskip(NEXT) | instid1(VALU_DEP_1)
	v_fmac_f32_e32 v74, v76, v73
	v_fma_f32 v70, -v70, v74, v75
	s_delay_alu instid0(VALU_DEP_1) | instskip(NEXT) | instid1(VALU_DEP_1)
	v_div_fmas_f32 v70, v70, v73, v74
	v_div_fixup_f32 v70, v70, v71, 1.0
	s_delay_alu instid0(VALU_DEP_1)
	v_mul_f32_e32 v72, v72, v70
	v_xor_b32_e32 v73, 0x80000000, v70
                                        ; implicit-def: $vgpr70_vgpr71
.LBB29_41:
	s_and_not1_saveexec_b32 s1, s1
	s_cbranch_execz .LBB29_43
; %bb.42:
	v_div_scale_f32 v72, null, v70, v70, v71
	v_div_scale_f32 v75, vcc_lo, v71, v70, v71
	s_delay_alu instid0(VALU_DEP_2) | instskip(SKIP_1) | instid1(TRANS32_DEP_1)
	v_rcp_f32_e32 v73, v72
	v_nop
	v_fma_f32 v74, -v72, v73, 1.0
	s_delay_alu instid0(VALU_DEP_1) | instskip(NEXT) | instid1(VALU_DEP_1)
	v_fmac_f32_e32 v73, v74, v73
	v_mul_f32_e32 v74, v75, v73
	s_delay_alu instid0(VALU_DEP_1) | instskip(NEXT) | instid1(VALU_DEP_1)
	v_fma_f32 v76, -v72, v74, v75
	v_fmac_f32_e32 v74, v76, v73
	s_delay_alu instid0(VALU_DEP_1) | instskip(NEXT) | instid1(VALU_DEP_1)
	v_fma_f32 v72, -v72, v74, v75
	v_div_fmas_f32 v72, v72, v73, v74
	s_delay_alu instid0(VALU_DEP_1) | instskip(NEXT) | instid1(VALU_DEP_1)
	v_div_fixup_f32 v73, v72, v70, v71
	v_fmac_f32_e32 v70, v71, v73
	s_delay_alu instid0(VALU_DEP_1) | instskip(NEXT) | instid1(VALU_DEP_1)
	v_div_scale_f32 v71, null, v70, v70, 1.0
	v_rcp_f32_e32 v72, v71
	v_nop
	s_delay_alu instid0(TRANS32_DEP_1) | instskip(NEXT) | instid1(VALU_DEP_1)
	v_fma_f32 v74, -v71, v72, 1.0
	v_fmac_f32_e32 v72, v74, v72
	v_div_scale_f32 v74, vcc_lo, 1.0, v70, 1.0
	s_delay_alu instid0(VALU_DEP_1) | instskip(NEXT) | instid1(VALU_DEP_1)
	v_mul_f32_e32 v75, v74, v72
	v_fma_f32 v76, -v71, v75, v74
	s_delay_alu instid0(VALU_DEP_1) | instskip(NEXT) | instid1(VALU_DEP_1)
	v_fmac_f32_e32 v75, v76, v72
	v_fma_f32 v71, -v71, v75, v74
	s_delay_alu instid0(VALU_DEP_1) | instskip(NEXT) | instid1(VALU_DEP_1)
	v_div_fmas_f32 v71, v71, v72, v75
	v_div_fixup_f32 v72, v71, v70, 1.0
	s_delay_alu instid0(VALU_DEP_1)
	v_mul_f32_e64 v73, v73, -v72
.LBB29_43:
	s_or_b32 exec_lo, exec_lo, s1
	ds_store_b64 v93, v[72:73]
.LBB29_44:
	s_or_b32 exec_lo, exec_lo, s2
	s_wait_dscnt 0x0
	s_barrier_signal -1
	s_barrier_wait -1
	ds_load_b64 v[70:71], v93
	s_mov_b32 s1, exec_lo
	v_cmpx_lt_u32_e32 4, v92
	s_cbranch_execz .LBB29_46
; %bb.45:
	s_wait_dscnt 0x0
	v_pk_mul_f32 v[72:73], v[70:71], v[28:29] op_sel:[1,1] op_sel_hi:[0,1]
	s_delay_alu instid0(VALU_DEP_1)
	v_pk_fma_f32 v[76:77], v[70:71], v[28:29], v[72:73] op_sel_hi:[1,0,1] neg_lo:[0,0,1] neg_hi:[0,0,1]
	v_pk_fma_f32 v[78:79], v[70:71], v[28:29], v[72:73] op_sel_hi:[1,0,1]
	ds_load_2addr_b64 v[72:75], v94 offset0:5 offset1:6
	v_dual_mov_b32 v28, v76 :: v_dual_mov_b32 v29, v79
	s_wait_dscnt 0x0
	v_pk_mul_f32 v[80:81], v[72:73], v[78:79] op_sel:[0,1]
	s_delay_alu instid0(VALU_DEP_1) | instskip(SKIP_1) | instid1(VALU_DEP_1)
	v_pk_fma_f32 v[82:83], v[72:73], v[76:77], v[80:81] op_sel:[0,0,1] op_sel_hi:[1,1,0] neg_lo:[0,0,1] neg_hi:[0,0,1]
	v_pk_fma_f32 v[72:73], v[72:73], v[76:77], v[80:81] op_sel:[0,0,1] op_sel_hi:[1,0,0]
	v_mov_b32_e32 v83, v73
	v_pk_mul_f32 v[72:73], v[74:75], v[78:79] op_sel:[0,1]
	s_delay_alu instid0(VALU_DEP_1) | instskip(SKIP_1) | instid1(VALU_DEP_1)
	v_pk_fma_f32 v[80:81], v[74:75], v[76:77], v[72:73] op_sel:[0,0,1] op_sel_hi:[1,1,0] neg_lo:[0,0,1] neg_hi:[0,0,1]
	v_pk_fma_f32 v[72:73], v[74:75], v[76:77], v[72:73] op_sel:[0,0,1] op_sel_hi:[1,0,0]
	v_mov_b32_e32 v81, v73
	ds_load_2addr_b64 v[72:75], v94 offset0:7 offset1:8
	v_pk_add_f32 v[24:25], v[24:25], v[82:83] neg_lo:[0,1] neg_hi:[0,1]
	v_pk_add_f32 v[26:27], v[26:27], v[80:81] neg_lo:[0,1] neg_hi:[0,1]
	s_wait_dscnt 0x0
	v_pk_mul_f32 v[80:81], v[72:73], v[78:79] op_sel:[0,1]
	s_delay_alu instid0(VALU_DEP_1) | instskip(SKIP_2) | instid1(VALU_DEP_2)
	v_pk_fma_f32 v[82:83], v[72:73], v[76:77], v[80:81] op_sel:[0,0,1] op_sel_hi:[1,1,0] neg_lo:[0,0,1] neg_hi:[0,0,1]
	v_pk_fma_f32 v[72:73], v[72:73], v[76:77], v[80:81] op_sel:[0,0,1] op_sel_hi:[1,0,0]
	v_dual_mul_f32 v80, v75, v79 :: v_dual_mov_b32 v72, v75
	v_dual_mov_b32 v83, v73 :: v_dual_mov_b32 v73, v74
	s_delay_alu instid0(VALU_DEP_2) | instskip(SKIP_1) | instid1(VALU_DEP_3)
	v_pk_fma_f32 v[80:81], v[74:75], v[28:29], v[80:81] op_sel_hi:[1,1,0] neg_lo:[0,0,1] neg_hi:[0,0,1]
	v_mul_f32_e32 v74, v75, v76
	v_pk_add_f32 v[22:23], v[22:23], v[82:83] neg_lo:[0,1] neg_hi:[0,1]
	s_delay_alu instid0(VALU_DEP_2) | instskip(NEXT) | instid1(VALU_DEP_1)
	v_pk_fma_f32 v[72:73], v[72:73], v[28:29], v[74:75] op_sel_hi:[1,1,0]
	v_mov_b32_e32 v81, v73
	ds_load_2addr_b64 v[72:75], v94 offset0:9 offset1:10
	v_pk_add_f32 v[44:45], v[44:45], v[80:81] neg_lo:[0,1] neg_hi:[0,1]
	s_wait_dscnt 0x0
	v_pk_mul_f32 v[80:81], v[72:73], v[78:79] op_sel:[0,1]
	s_delay_alu instid0(VALU_DEP_1) | instskip(SKIP_1) | instid1(VALU_DEP_1)
	v_pk_fma_f32 v[82:83], v[72:73], v[76:77], v[80:81] op_sel:[0,0,1] op_sel_hi:[1,1,0] neg_lo:[0,0,1] neg_hi:[0,0,1]
	v_pk_fma_f32 v[72:73], v[72:73], v[76:77], v[80:81] op_sel:[0,0,1] op_sel_hi:[1,0,0]
	v_mov_b32_e32 v83, v73
	v_pk_mul_f32 v[72:73], v[74:75], v[78:79] op_sel:[0,1]
	s_delay_alu instid0(VALU_DEP_1) | instskip(SKIP_1) | instid1(VALU_DEP_1)
	v_pk_fma_f32 v[80:81], v[74:75], v[76:77], v[72:73] op_sel:[0,0,1] op_sel_hi:[1,1,0] neg_lo:[0,0,1] neg_hi:[0,0,1]
	v_pk_fma_f32 v[72:73], v[74:75], v[76:77], v[72:73] op_sel:[0,0,1] op_sel_hi:[1,0,0]
	v_mov_b32_e32 v81, v73
	ds_load_2addr_b64 v[72:75], v94 offset0:11 offset1:12
	v_pk_add_f32 v[40:41], v[40:41], v[82:83] neg_lo:[0,1] neg_hi:[0,1]
	v_pk_add_f32 v[42:43], v[42:43], v[80:81] neg_lo:[0,1] neg_hi:[0,1]
	s_wait_dscnt 0x0
	v_pk_mul_f32 v[80:81], v[72:73], v[78:79] op_sel:[0,1]
	s_delay_alu instid0(VALU_DEP_1) | instskip(SKIP_1) | instid1(VALU_DEP_1)
	v_pk_fma_f32 v[82:83], v[72:73], v[76:77], v[80:81] op_sel:[0,0,1] op_sel_hi:[1,1,0] neg_lo:[0,0,1] neg_hi:[0,0,1]
	v_pk_fma_f32 v[72:73], v[72:73], v[76:77], v[80:81] op_sel:[0,0,1] op_sel_hi:[1,0,0]
	v_mov_b32_e32 v83, v73
	v_pk_mul_f32 v[72:73], v[74:75], v[78:79] op_sel:[0,1]
	s_delay_alu instid0(VALU_DEP_1) | instskip(SKIP_1) | instid1(VALU_DEP_1)
	v_pk_fma_f32 v[80:81], v[74:75], v[76:77], v[72:73] op_sel:[0,0,1] op_sel_hi:[1,1,0] neg_lo:[0,0,1] neg_hi:[0,0,1]
	v_pk_fma_f32 v[72:73], v[74:75], v[76:77], v[72:73] op_sel:[0,0,1] op_sel_hi:[1,0,0]
	v_mov_b32_e32 v81, v73
	ds_load_2addr_b64 v[72:75], v94 offset0:13 offset1:14
	v_pk_add_f32 v[56:57], v[56:57], v[82:83] neg_lo:[0,1] neg_hi:[0,1]
	v_pk_add_f32 v[54:55], v[54:55], v[80:81] neg_lo:[0,1] neg_hi:[0,1]
	s_wait_dscnt 0x0
	v_dual_mul_f32 v80, v73, v79 :: v_dual_mul_f32 v82, v73, v76
	s_delay_alu instid0(VALU_DEP_1) | instskip(NEXT) | instid1(VALU_DEP_2)
	v_pk_fma_f32 v[80:81], v[72:73], v[28:29], v[80:81] op_sel_hi:[1,1,0] neg_lo:[0,0,1] neg_hi:[0,0,1]
	v_pk_fma_f32 v[72:73], v[72:73], v[28:29], v[82:83] op_sel:[1,0,0] op_sel_hi:[0,1,0]
	s_delay_alu instid0(VALU_DEP_1) | instskip(SKIP_1) | instid1(VALU_DEP_1)
	v_mov_b32_e32 v81, v73
	v_pk_mul_f32 v[72:73], v[74:75], v[78:79] op_sel:[0,1]
	v_pk_fma_f32 v[78:79], v[74:75], v[76:77], v[72:73] op_sel:[0,0,1] op_sel_hi:[1,1,0] neg_lo:[0,0,1] neg_hi:[0,0,1]
	v_pk_fma_f32 v[72:73], v[74:75], v[76:77], v[72:73] op_sel:[0,0,1] op_sel_hi:[1,0,0]
	s_delay_alu instid0(VALU_DEP_1) | instskip(SKIP_1) | instid1(VALU_DEP_2)
	v_mov_b32_e32 v79, v73
	v_pk_add_f32 v[50:51], v[50:51], v[80:81] neg_lo:[0,1] neg_hi:[0,1]
	v_pk_add_f32 v[52:53], v[52:53], v[78:79] neg_lo:[0,1] neg_hi:[0,1]
.LBB29_46:
	s_or_b32 exec_lo, exec_lo, s1
	s_delay_alu instid0(SALU_CYCLE_1)
	s_mov_b32 s2, exec_lo
	s_wait_dscnt 0x0
	s_barrier_signal -1
	s_barrier_wait -1
	v_cmpx_eq_u32_e32 5, v92
	s_cbranch_execz .LBB29_53
; %bb.47:
	v_dual_mov_b32 v72, v26 :: v_dual_mov_b32 v73, v27
	v_dual_mov_b32 v74, v22 :: v_dual_mov_b32 v75, v23
	;; [unrolled: 1-line block ×8, first 2 shown]
	ds_store_b64 v93, v[24:25]
	ds_store_2addr_b64 v94, v[72:73], v[74:75] offset0:6 offset1:7
	ds_store_2addr_b64 v94, v[76:77], v[78:79] offset0:8 offset1:9
	;; [unrolled: 1-line block ×4, first 2 shown]
	ds_store_b64 v94, v[52:53] offset:112
	ds_load_b64 v[72:73], v93
	s_wait_dscnt 0x0
	v_cmp_neq_f32_e32 vcc_lo, 0, v72
	v_cmp_neq_f32_e64 s1, 0, v73
	s_or_b32 s1, vcc_lo, s1
	s_delay_alu instid0(SALU_CYCLE_1)
	s_and_b32 exec_lo, exec_lo, s1
	s_cbranch_execz .LBB29_53
; %bb.48:
	v_cmp_ngt_f32_e64 s1, |v72|, |v73|
                                        ; implicit-def: $vgpr74_vgpr75
	s_and_saveexec_b32 s4, s1
	s_delay_alu instid0(SALU_CYCLE_1)
	s_xor_b32 s1, exec_lo, s4
	s_cbranch_execz .LBB29_50
; %bb.49:
	v_div_scale_f32 v74, null, v73, v73, v72
	v_div_scale_f32 v77, vcc_lo, v72, v73, v72
	s_delay_alu instid0(VALU_DEP_2) | instskip(SKIP_1) | instid1(TRANS32_DEP_1)
	v_rcp_f32_e32 v75, v74
	v_nop
	v_fma_f32 v76, -v74, v75, 1.0
	s_delay_alu instid0(VALU_DEP_1) | instskip(NEXT) | instid1(VALU_DEP_1)
	v_fmac_f32_e32 v75, v76, v75
	v_mul_f32_e32 v76, v77, v75
	s_delay_alu instid0(VALU_DEP_1) | instskip(NEXT) | instid1(VALU_DEP_1)
	v_fma_f32 v78, -v74, v76, v77
	v_fmac_f32_e32 v76, v78, v75
	s_delay_alu instid0(VALU_DEP_1) | instskip(NEXT) | instid1(VALU_DEP_1)
	v_fma_f32 v74, -v74, v76, v77
	v_div_fmas_f32 v74, v74, v75, v76
	s_delay_alu instid0(VALU_DEP_1) | instskip(NEXT) | instid1(VALU_DEP_1)
	v_div_fixup_f32 v74, v74, v73, v72
	v_fmac_f32_e32 v73, v72, v74
	s_delay_alu instid0(VALU_DEP_1) | instskip(SKIP_1) | instid1(VALU_DEP_2)
	v_div_scale_f32 v72, null, v73, v73, 1.0
	v_div_scale_f32 v77, vcc_lo, 1.0, v73, 1.0
	v_rcp_f32_e32 v75, v72
	v_nop
	s_delay_alu instid0(TRANS32_DEP_1) | instskip(NEXT) | instid1(VALU_DEP_1)
	v_fma_f32 v76, -v72, v75, 1.0
	v_fmac_f32_e32 v75, v76, v75
	s_delay_alu instid0(VALU_DEP_1) | instskip(NEXT) | instid1(VALU_DEP_1)
	v_mul_f32_e32 v76, v77, v75
	v_fma_f32 v78, -v72, v76, v77
	s_delay_alu instid0(VALU_DEP_1) | instskip(NEXT) | instid1(VALU_DEP_1)
	v_fmac_f32_e32 v76, v78, v75
	v_fma_f32 v72, -v72, v76, v77
	s_delay_alu instid0(VALU_DEP_1) | instskip(NEXT) | instid1(VALU_DEP_1)
	v_div_fmas_f32 v72, v72, v75, v76
	v_div_fixup_f32 v72, v72, v73, 1.0
	s_delay_alu instid0(VALU_DEP_1)
	v_mul_f32_e32 v74, v74, v72
	v_xor_b32_e32 v75, 0x80000000, v72
                                        ; implicit-def: $vgpr72_vgpr73
.LBB29_50:
	s_and_not1_saveexec_b32 s1, s1
	s_cbranch_execz .LBB29_52
; %bb.51:
	v_div_scale_f32 v74, null, v72, v72, v73
	v_div_scale_f32 v77, vcc_lo, v73, v72, v73
	s_delay_alu instid0(VALU_DEP_2) | instskip(SKIP_1) | instid1(TRANS32_DEP_1)
	v_rcp_f32_e32 v75, v74
	v_nop
	v_fma_f32 v76, -v74, v75, 1.0
	s_delay_alu instid0(VALU_DEP_1) | instskip(NEXT) | instid1(VALU_DEP_1)
	v_fmac_f32_e32 v75, v76, v75
	v_mul_f32_e32 v76, v77, v75
	s_delay_alu instid0(VALU_DEP_1) | instskip(NEXT) | instid1(VALU_DEP_1)
	v_fma_f32 v78, -v74, v76, v77
	v_fmac_f32_e32 v76, v78, v75
	s_delay_alu instid0(VALU_DEP_1) | instskip(NEXT) | instid1(VALU_DEP_1)
	v_fma_f32 v74, -v74, v76, v77
	v_div_fmas_f32 v74, v74, v75, v76
	s_delay_alu instid0(VALU_DEP_1) | instskip(NEXT) | instid1(VALU_DEP_1)
	v_div_fixup_f32 v75, v74, v72, v73
	v_fmac_f32_e32 v72, v73, v75
	s_delay_alu instid0(VALU_DEP_1) | instskip(NEXT) | instid1(VALU_DEP_1)
	v_div_scale_f32 v73, null, v72, v72, 1.0
	v_rcp_f32_e32 v74, v73
	v_nop
	s_delay_alu instid0(TRANS32_DEP_1) | instskip(NEXT) | instid1(VALU_DEP_1)
	v_fma_f32 v76, -v73, v74, 1.0
	v_fmac_f32_e32 v74, v76, v74
	v_div_scale_f32 v76, vcc_lo, 1.0, v72, 1.0
	s_delay_alu instid0(VALU_DEP_1) | instskip(NEXT) | instid1(VALU_DEP_1)
	v_mul_f32_e32 v77, v76, v74
	v_fma_f32 v78, -v73, v77, v76
	s_delay_alu instid0(VALU_DEP_1) | instskip(NEXT) | instid1(VALU_DEP_1)
	v_fmac_f32_e32 v77, v78, v74
	v_fma_f32 v73, -v73, v77, v76
	s_delay_alu instid0(VALU_DEP_1) | instskip(NEXT) | instid1(VALU_DEP_1)
	v_div_fmas_f32 v73, v73, v74, v77
	v_div_fixup_f32 v74, v73, v72, 1.0
	s_delay_alu instid0(VALU_DEP_1)
	v_mul_f32_e64 v75, v75, -v74
.LBB29_52:
	s_or_b32 exec_lo, exec_lo, s1
	ds_store_b64 v93, v[74:75]
.LBB29_53:
	s_or_b32 exec_lo, exec_lo, s2
	s_wait_dscnt 0x0
	s_barrier_signal -1
	s_barrier_wait -1
	ds_load_b64 v[72:73], v93
	s_mov_b32 s1, exec_lo
	v_cmpx_lt_u32_e32 5, v92
	s_cbranch_execz .LBB29_55
; %bb.54:
	s_wait_dscnt 0x0
	v_pk_mul_f32 v[74:75], v[72:73], v[24:25] op_sel:[1,1] op_sel_hi:[0,1]
	s_delay_alu instid0(VALU_DEP_1)
	v_pk_fma_f32 v[78:79], v[72:73], v[24:25], v[74:75] op_sel_hi:[1,0,1] neg_lo:[0,0,1] neg_hi:[0,0,1]
	v_pk_fma_f32 v[80:81], v[72:73], v[24:25], v[74:75] op_sel_hi:[1,0,1]
	ds_load_2addr_b64 v[74:77], v94 offset0:6 offset1:7
	v_dual_mov_b32 v24, v78 :: v_dual_mov_b32 v25, v81
	s_wait_dscnt 0x0
	v_pk_mul_f32 v[82:83], v[74:75], v[80:81] op_sel:[0,1]
	s_delay_alu instid0(VALU_DEP_1) | instskip(SKIP_1) | instid1(VALU_DEP_1)
	v_pk_fma_f32 v[84:85], v[74:75], v[78:79], v[82:83] op_sel:[0,0,1] op_sel_hi:[1,1,0] neg_lo:[0,0,1] neg_hi:[0,0,1]
	v_pk_fma_f32 v[74:75], v[74:75], v[78:79], v[82:83] op_sel:[0,0,1] op_sel_hi:[1,0,0]
	v_mov_b32_e32 v85, v75
	v_pk_mul_f32 v[74:75], v[76:77], v[80:81] op_sel:[0,1]
	s_delay_alu instid0(VALU_DEP_1) | instskip(SKIP_1) | instid1(VALU_DEP_1)
	v_pk_fma_f32 v[82:83], v[76:77], v[78:79], v[74:75] op_sel:[0,0,1] op_sel_hi:[1,1,0] neg_lo:[0,0,1] neg_hi:[0,0,1]
	v_pk_fma_f32 v[74:75], v[76:77], v[78:79], v[74:75] op_sel:[0,0,1] op_sel_hi:[1,0,0]
	v_mov_b32_e32 v83, v75
	ds_load_2addr_b64 v[74:77], v94 offset0:8 offset1:9
	v_pk_add_f32 v[26:27], v[26:27], v[84:85] neg_lo:[0,1] neg_hi:[0,1]
	v_pk_add_f32 v[22:23], v[22:23], v[82:83] neg_lo:[0,1] neg_hi:[0,1]
	s_wait_dscnt 0x0
	v_pk_mul_f32 v[82:83], v[74:75], v[80:81] op_sel:[0,1]
	s_delay_alu instid0(VALU_DEP_1) | instskip(SKIP_2) | instid1(VALU_DEP_2)
	v_pk_fma_f32 v[84:85], v[74:75], v[78:79], v[82:83] op_sel:[0,0,1] op_sel_hi:[1,1,0] neg_lo:[0,0,1] neg_hi:[0,0,1]
	v_pk_fma_f32 v[74:75], v[74:75], v[78:79], v[82:83] op_sel:[0,0,1] op_sel_hi:[1,0,0]
	v_dual_mul_f32 v82, v77, v81 :: v_dual_mov_b32 v74, v77
	v_dual_mov_b32 v85, v75 :: v_dual_mov_b32 v75, v76
	s_delay_alu instid0(VALU_DEP_2) | instskip(SKIP_1) | instid1(VALU_DEP_3)
	v_pk_fma_f32 v[82:83], v[76:77], v[24:25], v[82:83] op_sel_hi:[1,1,0] neg_lo:[0,0,1] neg_hi:[0,0,1]
	v_mul_f32_e32 v76, v77, v78
	v_pk_add_f32 v[44:45], v[44:45], v[84:85] neg_lo:[0,1] neg_hi:[0,1]
	s_delay_alu instid0(VALU_DEP_2) | instskip(NEXT) | instid1(VALU_DEP_1)
	v_pk_fma_f32 v[74:75], v[74:75], v[24:25], v[76:77] op_sel_hi:[1,1,0]
	v_mov_b32_e32 v83, v75
	ds_load_2addr_b64 v[74:77], v94 offset0:10 offset1:11
	v_pk_add_f32 v[40:41], v[40:41], v[82:83] neg_lo:[0,1] neg_hi:[0,1]
	s_wait_dscnt 0x0
	v_pk_mul_f32 v[82:83], v[74:75], v[80:81] op_sel:[0,1]
	s_delay_alu instid0(VALU_DEP_1) | instskip(SKIP_1) | instid1(VALU_DEP_1)
	v_pk_fma_f32 v[84:85], v[74:75], v[78:79], v[82:83] op_sel:[0,0,1] op_sel_hi:[1,1,0] neg_lo:[0,0,1] neg_hi:[0,0,1]
	v_pk_fma_f32 v[74:75], v[74:75], v[78:79], v[82:83] op_sel:[0,0,1] op_sel_hi:[1,0,0]
	v_mov_b32_e32 v85, v75
	v_pk_mul_f32 v[74:75], v[76:77], v[80:81] op_sel:[0,1]
	s_delay_alu instid0(VALU_DEP_1) | instskip(SKIP_1) | instid1(VALU_DEP_1)
	v_pk_fma_f32 v[82:83], v[76:77], v[78:79], v[74:75] op_sel:[0,0,1] op_sel_hi:[1,1,0] neg_lo:[0,0,1] neg_hi:[0,0,1]
	v_pk_fma_f32 v[74:75], v[76:77], v[78:79], v[74:75] op_sel:[0,0,1] op_sel_hi:[1,0,0]
	v_mov_b32_e32 v83, v75
	ds_load_2addr_b64 v[74:77], v94 offset0:12 offset1:13
	v_pk_add_f32 v[42:43], v[42:43], v[84:85] neg_lo:[0,1] neg_hi:[0,1]
	v_pk_add_f32 v[56:57], v[56:57], v[82:83] neg_lo:[0,1] neg_hi:[0,1]
	s_wait_dscnt 0x0
	v_pk_mul_f32 v[82:83], v[74:75], v[80:81] op_sel:[0,1]
	s_delay_alu instid0(VALU_DEP_1) | instskip(SKIP_1) | instid1(VALU_DEP_1)
	v_pk_fma_f32 v[84:85], v[74:75], v[78:79], v[82:83] op_sel:[0,0,1] op_sel_hi:[1,1,0] neg_lo:[0,0,1] neg_hi:[0,0,1]
	v_pk_fma_f32 v[74:75], v[74:75], v[78:79], v[82:83] op_sel:[0,0,1] op_sel_hi:[1,0,0]
	v_mov_b32_e32 v85, v75
	v_pk_mul_f32 v[74:75], v[76:77], v[80:81] op_sel:[0,1]
	s_delay_alu instid0(VALU_DEP_1) | instskip(SKIP_1) | instid1(VALU_DEP_1)
	v_pk_fma_f32 v[82:83], v[76:77], v[78:79], v[74:75] op_sel:[0,0,1] op_sel_hi:[1,1,0] neg_lo:[0,0,1] neg_hi:[0,0,1]
	v_pk_fma_f32 v[74:75], v[76:77], v[78:79], v[74:75] op_sel:[0,0,1] op_sel_hi:[1,0,0]
	v_mov_b32_e32 v83, v75
	ds_load_b64 v[74:75], v94 offset:112
	v_pk_add_f32 v[54:55], v[54:55], v[84:85] neg_lo:[0,1] neg_hi:[0,1]
	v_pk_add_f32 v[50:51], v[50:51], v[82:83] neg_lo:[0,1] neg_hi:[0,1]
	s_wait_dscnt 0x0
	v_pk_mul_f32 v[76:77], v[74:75], v[80:81] op_sel:[0,1]
	s_delay_alu instid0(VALU_DEP_1) | instskip(SKIP_1) | instid1(VALU_DEP_1)
	v_pk_fma_f32 v[80:81], v[74:75], v[78:79], v[76:77] op_sel:[0,0,1] op_sel_hi:[1,1,0] neg_lo:[0,0,1] neg_hi:[0,0,1]
	v_pk_fma_f32 v[74:75], v[74:75], v[78:79], v[76:77] op_sel:[0,0,1] op_sel_hi:[1,0,0]
	v_mov_b32_e32 v81, v75
	s_delay_alu instid0(VALU_DEP_1)
	v_pk_add_f32 v[52:53], v[52:53], v[80:81] neg_lo:[0,1] neg_hi:[0,1]
.LBB29_55:
	s_or_b32 exec_lo, exec_lo, s1
	s_delay_alu instid0(SALU_CYCLE_1)
	s_mov_b32 s2, exec_lo
	s_wait_dscnt 0x0
	s_barrier_signal -1
	s_barrier_wait -1
	v_cmpx_eq_u32_e32 6, v92
	s_cbranch_execz .LBB29_62
; %bb.56:
	ds_store_b64 v93, v[26:27]
	ds_store_2addr_b64 v94, v[22:23], v[44:45] offset0:7 offset1:8
	ds_store_2addr_b64 v94, v[40:41], v[42:43] offset0:9 offset1:10
	;; [unrolled: 1-line block ×4, first 2 shown]
	ds_load_b64 v[74:75], v93
	s_wait_dscnt 0x0
	v_cmp_neq_f32_e32 vcc_lo, 0, v74
	v_cmp_neq_f32_e64 s1, 0, v75
	s_or_b32 s1, vcc_lo, s1
	s_delay_alu instid0(SALU_CYCLE_1)
	s_and_b32 exec_lo, exec_lo, s1
	s_cbranch_execz .LBB29_62
; %bb.57:
	v_cmp_ngt_f32_e64 s1, |v74|, |v75|
                                        ; implicit-def: $vgpr76_vgpr77
	s_and_saveexec_b32 s4, s1
	s_delay_alu instid0(SALU_CYCLE_1)
	s_xor_b32 s1, exec_lo, s4
	s_cbranch_execz .LBB29_59
; %bb.58:
	v_div_scale_f32 v76, null, v75, v75, v74
	v_div_scale_f32 v79, vcc_lo, v74, v75, v74
	s_delay_alu instid0(VALU_DEP_2) | instskip(SKIP_1) | instid1(TRANS32_DEP_1)
	v_rcp_f32_e32 v77, v76
	v_nop
	v_fma_f32 v78, -v76, v77, 1.0
	s_delay_alu instid0(VALU_DEP_1) | instskip(NEXT) | instid1(VALU_DEP_1)
	v_fmac_f32_e32 v77, v78, v77
	v_mul_f32_e32 v78, v79, v77
	s_delay_alu instid0(VALU_DEP_1) | instskip(NEXT) | instid1(VALU_DEP_1)
	v_fma_f32 v80, -v76, v78, v79
	v_fmac_f32_e32 v78, v80, v77
	s_delay_alu instid0(VALU_DEP_1) | instskip(NEXT) | instid1(VALU_DEP_1)
	v_fma_f32 v76, -v76, v78, v79
	v_div_fmas_f32 v76, v76, v77, v78
	s_delay_alu instid0(VALU_DEP_1) | instskip(NEXT) | instid1(VALU_DEP_1)
	v_div_fixup_f32 v76, v76, v75, v74
	v_fmac_f32_e32 v75, v74, v76
	s_delay_alu instid0(VALU_DEP_1) | instskip(SKIP_1) | instid1(VALU_DEP_2)
	v_div_scale_f32 v74, null, v75, v75, 1.0
	v_div_scale_f32 v79, vcc_lo, 1.0, v75, 1.0
	v_rcp_f32_e32 v77, v74
	v_nop
	s_delay_alu instid0(TRANS32_DEP_1) | instskip(NEXT) | instid1(VALU_DEP_1)
	v_fma_f32 v78, -v74, v77, 1.0
	v_fmac_f32_e32 v77, v78, v77
	s_delay_alu instid0(VALU_DEP_1) | instskip(NEXT) | instid1(VALU_DEP_1)
	v_mul_f32_e32 v78, v79, v77
	v_fma_f32 v80, -v74, v78, v79
	s_delay_alu instid0(VALU_DEP_1) | instskip(NEXT) | instid1(VALU_DEP_1)
	v_fmac_f32_e32 v78, v80, v77
	v_fma_f32 v74, -v74, v78, v79
	s_delay_alu instid0(VALU_DEP_1) | instskip(NEXT) | instid1(VALU_DEP_1)
	v_div_fmas_f32 v74, v74, v77, v78
	v_div_fixup_f32 v74, v74, v75, 1.0
	s_delay_alu instid0(VALU_DEP_1)
	v_mul_f32_e32 v76, v76, v74
	v_xor_b32_e32 v77, 0x80000000, v74
                                        ; implicit-def: $vgpr74_vgpr75
.LBB29_59:
	s_and_not1_saveexec_b32 s1, s1
	s_cbranch_execz .LBB29_61
; %bb.60:
	v_div_scale_f32 v76, null, v74, v74, v75
	v_div_scale_f32 v79, vcc_lo, v75, v74, v75
	s_delay_alu instid0(VALU_DEP_2) | instskip(SKIP_1) | instid1(TRANS32_DEP_1)
	v_rcp_f32_e32 v77, v76
	v_nop
	v_fma_f32 v78, -v76, v77, 1.0
	s_delay_alu instid0(VALU_DEP_1) | instskip(NEXT) | instid1(VALU_DEP_1)
	v_fmac_f32_e32 v77, v78, v77
	v_mul_f32_e32 v78, v79, v77
	s_delay_alu instid0(VALU_DEP_1) | instskip(NEXT) | instid1(VALU_DEP_1)
	v_fma_f32 v80, -v76, v78, v79
	v_fmac_f32_e32 v78, v80, v77
	s_delay_alu instid0(VALU_DEP_1) | instskip(NEXT) | instid1(VALU_DEP_1)
	v_fma_f32 v76, -v76, v78, v79
	v_div_fmas_f32 v76, v76, v77, v78
	s_delay_alu instid0(VALU_DEP_1) | instskip(NEXT) | instid1(VALU_DEP_1)
	v_div_fixup_f32 v77, v76, v74, v75
	v_fmac_f32_e32 v74, v75, v77
	s_delay_alu instid0(VALU_DEP_1) | instskip(NEXT) | instid1(VALU_DEP_1)
	v_div_scale_f32 v75, null, v74, v74, 1.0
	v_rcp_f32_e32 v76, v75
	v_nop
	s_delay_alu instid0(TRANS32_DEP_1) | instskip(NEXT) | instid1(VALU_DEP_1)
	v_fma_f32 v78, -v75, v76, 1.0
	v_fmac_f32_e32 v76, v78, v76
	v_div_scale_f32 v78, vcc_lo, 1.0, v74, 1.0
	s_delay_alu instid0(VALU_DEP_1) | instskip(NEXT) | instid1(VALU_DEP_1)
	v_mul_f32_e32 v79, v78, v76
	v_fma_f32 v80, -v75, v79, v78
	s_delay_alu instid0(VALU_DEP_1) | instskip(NEXT) | instid1(VALU_DEP_1)
	v_fmac_f32_e32 v79, v80, v76
	v_fma_f32 v75, -v75, v79, v78
	s_delay_alu instid0(VALU_DEP_1) | instskip(NEXT) | instid1(VALU_DEP_1)
	v_div_fmas_f32 v75, v75, v76, v79
	v_div_fixup_f32 v76, v75, v74, 1.0
	s_delay_alu instid0(VALU_DEP_1)
	v_mul_f32_e64 v77, v77, -v76
.LBB29_61:
	s_or_b32 exec_lo, exec_lo, s1
	ds_store_b64 v93, v[76:77]
.LBB29_62:
	s_or_b32 exec_lo, exec_lo, s2
	s_wait_dscnt 0x0
	s_barrier_signal -1
	s_barrier_wait -1
	ds_load_b64 v[74:75], v93
	s_mov_b32 s1, exec_lo
	v_cmpx_lt_u32_e32 6, v92
	s_cbranch_execz .LBB29_64
; %bb.63:
	s_wait_dscnt 0x0
	v_pk_mul_f32 v[76:77], v[74:75], v[26:27] op_sel:[1,1] op_sel_hi:[0,1]
	s_delay_alu instid0(VALU_DEP_1)
	v_pk_fma_f32 v[80:81], v[74:75], v[26:27], v[76:77] op_sel_hi:[1,0,1] neg_lo:[0,0,1] neg_hi:[0,0,1]
	v_pk_fma_f32 v[82:83], v[74:75], v[26:27], v[76:77] op_sel_hi:[1,0,1]
	ds_load_2addr_b64 v[76:79], v94 offset0:7 offset1:8
	v_dual_mov_b32 v26, v80 :: v_dual_mov_b32 v27, v83
	s_wait_dscnt 0x0
	v_pk_mul_f32 v[84:85], v[76:77], v[82:83] op_sel:[0,1]
	s_delay_alu instid0(VALU_DEP_1) | instskip(SKIP_1) | instid1(VALU_DEP_1)
	v_pk_fma_f32 v[86:87], v[76:77], v[80:81], v[84:85] op_sel:[0,0,1] op_sel_hi:[1,1,0] neg_lo:[0,0,1] neg_hi:[0,0,1]
	v_pk_fma_f32 v[76:77], v[76:77], v[80:81], v[84:85] op_sel:[0,0,1] op_sel_hi:[1,0,0]
	v_mov_b32_e32 v87, v77
	v_pk_mul_f32 v[76:77], v[78:79], v[82:83] op_sel:[0,1]
	s_delay_alu instid0(VALU_DEP_1) | instskip(SKIP_1) | instid1(VALU_DEP_1)
	v_pk_fma_f32 v[84:85], v[78:79], v[80:81], v[76:77] op_sel:[0,0,1] op_sel_hi:[1,1,0] neg_lo:[0,0,1] neg_hi:[0,0,1]
	v_pk_fma_f32 v[76:77], v[78:79], v[80:81], v[76:77] op_sel:[0,0,1] op_sel_hi:[1,0,0]
	v_mov_b32_e32 v85, v77
	ds_load_2addr_b64 v[76:79], v94 offset0:9 offset1:10
	v_pk_add_f32 v[22:23], v[22:23], v[86:87] neg_lo:[0,1] neg_hi:[0,1]
	v_pk_add_f32 v[44:45], v[44:45], v[84:85] neg_lo:[0,1] neg_hi:[0,1]
	s_wait_dscnt 0x0
	v_pk_mul_f32 v[84:85], v[76:77], v[82:83] op_sel:[0,1]
	s_delay_alu instid0(VALU_DEP_1) | instskip(SKIP_2) | instid1(VALU_DEP_2)
	v_pk_fma_f32 v[86:87], v[76:77], v[80:81], v[84:85] op_sel:[0,0,1] op_sel_hi:[1,1,0] neg_lo:[0,0,1] neg_hi:[0,0,1]
	v_pk_fma_f32 v[76:77], v[76:77], v[80:81], v[84:85] op_sel:[0,0,1] op_sel_hi:[1,0,0]
	v_dual_mul_f32 v84, v79, v83 :: v_dual_mov_b32 v76, v79
	v_dual_mov_b32 v87, v77 :: v_dual_mov_b32 v77, v78
	s_delay_alu instid0(VALU_DEP_2) | instskip(SKIP_1) | instid1(VALU_DEP_3)
	v_pk_fma_f32 v[84:85], v[78:79], v[26:27], v[84:85] op_sel_hi:[1,1,0] neg_lo:[0,0,1] neg_hi:[0,0,1]
	v_mul_f32_e32 v78, v79, v80
	v_pk_add_f32 v[40:41], v[40:41], v[86:87] neg_lo:[0,1] neg_hi:[0,1]
	s_delay_alu instid0(VALU_DEP_2) | instskip(NEXT) | instid1(VALU_DEP_1)
	v_pk_fma_f32 v[76:77], v[76:77], v[26:27], v[78:79] op_sel_hi:[1,1,0]
	v_mov_b32_e32 v85, v77
	ds_load_2addr_b64 v[76:79], v94 offset0:11 offset1:12
	v_pk_add_f32 v[42:43], v[42:43], v[84:85] neg_lo:[0,1] neg_hi:[0,1]
	s_wait_dscnt 0x0
	v_pk_mul_f32 v[84:85], v[76:77], v[82:83] op_sel:[0,1]
	s_delay_alu instid0(VALU_DEP_1) | instskip(SKIP_1) | instid1(VALU_DEP_1)
	v_pk_fma_f32 v[86:87], v[76:77], v[80:81], v[84:85] op_sel:[0,0,1] op_sel_hi:[1,1,0] neg_lo:[0,0,1] neg_hi:[0,0,1]
	v_pk_fma_f32 v[76:77], v[76:77], v[80:81], v[84:85] op_sel:[0,0,1] op_sel_hi:[1,0,0]
	v_mov_b32_e32 v87, v77
	v_pk_mul_f32 v[76:77], v[78:79], v[82:83] op_sel:[0,1]
	s_delay_alu instid0(VALU_DEP_1) | instskip(SKIP_1) | instid1(VALU_DEP_1)
	v_pk_fma_f32 v[84:85], v[78:79], v[80:81], v[76:77] op_sel:[0,0,1] op_sel_hi:[1,1,0] neg_lo:[0,0,1] neg_hi:[0,0,1]
	v_pk_fma_f32 v[76:77], v[78:79], v[80:81], v[76:77] op_sel:[0,0,1] op_sel_hi:[1,0,0]
	v_mov_b32_e32 v85, v77
	ds_load_2addr_b64 v[76:79], v94 offset0:13 offset1:14
	v_pk_add_f32 v[56:57], v[56:57], v[86:87] neg_lo:[0,1] neg_hi:[0,1]
	v_pk_add_f32 v[54:55], v[54:55], v[84:85] neg_lo:[0,1] neg_hi:[0,1]
	s_wait_dscnt 0x0
	v_pk_mul_f32 v[84:85], v[76:77], v[82:83] op_sel:[0,1]
	s_delay_alu instid0(VALU_DEP_1) | instskip(SKIP_1) | instid1(VALU_DEP_1)
	v_pk_fma_f32 v[86:87], v[76:77], v[80:81], v[84:85] op_sel:[0,0,1] op_sel_hi:[1,1,0] neg_lo:[0,0,1] neg_hi:[0,0,1]
	v_pk_fma_f32 v[76:77], v[76:77], v[80:81], v[84:85] op_sel:[0,0,1] op_sel_hi:[1,0,0]
	v_mov_b32_e32 v87, v77
	v_pk_mul_f32 v[76:77], v[78:79], v[82:83] op_sel:[0,1]
	s_delay_alu instid0(VALU_DEP_1) | instskip(SKIP_1) | instid1(VALU_DEP_1)
	v_pk_fma_f32 v[82:83], v[78:79], v[80:81], v[76:77] op_sel:[0,0,1] op_sel_hi:[1,1,0] neg_lo:[0,0,1] neg_hi:[0,0,1]
	v_pk_fma_f32 v[76:77], v[78:79], v[80:81], v[76:77] op_sel:[0,0,1] op_sel_hi:[1,0,0]
	v_mov_b32_e32 v83, v77
	v_pk_add_f32 v[50:51], v[50:51], v[86:87] neg_lo:[0,1] neg_hi:[0,1]
	s_delay_alu instid0(VALU_DEP_2)
	v_pk_add_f32 v[52:53], v[52:53], v[82:83] neg_lo:[0,1] neg_hi:[0,1]
.LBB29_64:
	s_or_b32 exec_lo, exec_lo, s1
	s_delay_alu instid0(SALU_CYCLE_1)
	s_mov_b32 s2, exec_lo
	s_wait_dscnt 0x0
	s_barrier_signal -1
	s_barrier_wait -1
	v_cmpx_eq_u32_e32 7, v92
	s_cbranch_execz .LBB29_71
; %bb.65:
	v_dual_mov_b32 v76, v44 :: v_dual_mov_b32 v77, v45
	v_dual_mov_b32 v78, v40 :: v_dual_mov_b32 v79, v41
	;; [unrolled: 1-line block ×6, first 2 shown]
	ds_store_b64 v93, v[22:23]
	ds_store_2addr_b64 v94, v[76:77], v[78:79] offset0:8 offset1:9
	ds_store_2addr_b64 v94, v[80:81], v[82:83] offset0:10 offset1:11
	;; [unrolled: 1-line block ×3, first 2 shown]
	ds_store_b64 v94, v[52:53] offset:112
	ds_load_b64 v[76:77], v93
	s_wait_dscnt 0x0
	v_cmp_neq_f32_e32 vcc_lo, 0, v76
	v_cmp_neq_f32_e64 s1, 0, v77
	s_or_b32 s1, vcc_lo, s1
	s_delay_alu instid0(SALU_CYCLE_1)
	s_and_b32 exec_lo, exec_lo, s1
	s_cbranch_execz .LBB29_71
; %bb.66:
	v_cmp_ngt_f32_e64 s1, |v76|, |v77|
                                        ; implicit-def: $vgpr78_vgpr79
	s_and_saveexec_b32 s4, s1
	s_delay_alu instid0(SALU_CYCLE_1)
	s_xor_b32 s1, exec_lo, s4
	s_cbranch_execz .LBB29_68
; %bb.67:
	v_div_scale_f32 v78, null, v77, v77, v76
	v_div_scale_f32 v81, vcc_lo, v76, v77, v76
	s_delay_alu instid0(VALU_DEP_2) | instskip(SKIP_1) | instid1(TRANS32_DEP_1)
	v_rcp_f32_e32 v79, v78
	v_nop
	v_fma_f32 v80, -v78, v79, 1.0
	s_delay_alu instid0(VALU_DEP_1) | instskip(NEXT) | instid1(VALU_DEP_1)
	v_fmac_f32_e32 v79, v80, v79
	v_mul_f32_e32 v80, v81, v79
	s_delay_alu instid0(VALU_DEP_1) | instskip(NEXT) | instid1(VALU_DEP_1)
	v_fma_f32 v82, -v78, v80, v81
	v_fmac_f32_e32 v80, v82, v79
	s_delay_alu instid0(VALU_DEP_1) | instskip(NEXT) | instid1(VALU_DEP_1)
	v_fma_f32 v78, -v78, v80, v81
	v_div_fmas_f32 v78, v78, v79, v80
	s_delay_alu instid0(VALU_DEP_1) | instskip(NEXT) | instid1(VALU_DEP_1)
	v_div_fixup_f32 v78, v78, v77, v76
	v_fmac_f32_e32 v77, v76, v78
	s_delay_alu instid0(VALU_DEP_1) | instskip(SKIP_1) | instid1(VALU_DEP_2)
	v_div_scale_f32 v76, null, v77, v77, 1.0
	v_div_scale_f32 v81, vcc_lo, 1.0, v77, 1.0
	v_rcp_f32_e32 v79, v76
	v_nop
	s_delay_alu instid0(TRANS32_DEP_1) | instskip(NEXT) | instid1(VALU_DEP_1)
	v_fma_f32 v80, -v76, v79, 1.0
	v_fmac_f32_e32 v79, v80, v79
	s_delay_alu instid0(VALU_DEP_1) | instskip(NEXT) | instid1(VALU_DEP_1)
	v_mul_f32_e32 v80, v81, v79
	v_fma_f32 v82, -v76, v80, v81
	s_delay_alu instid0(VALU_DEP_1) | instskip(NEXT) | instid1(VALU_DEP_1)
	v_fmac_f32_e32 v80, v82, v79
	v_fma_f32 v76, -v76, v80, v81
	s_delay_alu instid0(VALU_DEP_1) | instskip(NEXT) | instid1(VALU_DEP_1)
	v_div_fmas_f32 v76, v76, v79, v80
	v_div_fixup_f32 v76, v76, v77, 1.0
	s_delay_alu instid0(VALU_DEP_1)
	v_mul_f32_e32 v78, v78, v76
	v_xor_b32_e32 v79, 0x80000000, v76
                                        ; implicit-def: $vgpr76_vgpr77
.LBB29_68:
	s_and_not1_saveexec_b32 s1, s1
	s_cbranch_execz .LBB29_70
; %bb.69:
	v_div_scale_f32 v78, null, v76, v76, v77
	v_div_scale_f32 v81, vcc_lo, v77, v76, v77
	s_delay_alu instid0(VALU_DEP_2) | instskip(SKIP_1) | instid1(TRANS32_DEP_1)
	v_rcp_f32_e32 v79, v78
	v_nop
	v_fma_f32 v80, -v78, v79, 1.0
	s_delay_alu instid0(VALU_DEP_1) | instskip(NEXT) | instid1(VALU_DEP_1)
	v_fmac_f32_e32 v79, v80, v79
	v_mul_f32_e32 v80, v81, v79
	s_delay_alu instid0(VALU_DEP_1) | instskip(NEXT) | instid1(VALU_DEP_1)
	v_fma_f32 v82, -v78, v80, v81
	v_fmac_f32_e32 v80, v82, v79
	s_delay_alu instid0(VALU_DEP_1) | instskip(NEXT) | instid1(VALU_DEP_1)
	v_fma_f32 v78, -v78, v80, v81
	v_div_fmas_f32 v78, v78, v79, v80
	s_delay_alu instid0(VALU_DEP_1) | instskip(NEXT) | instid1(VALU_DEP_1)
	v_div_fixup_f32 v79, v78, v76, v77
	v_fmac_f32_e32 v76, v77, v79
	s_delay_alu instid0(VALU_DEP_1) | instskip(NEXT) | instid1(VALU_DEP_1)
	v_div_scale_f32 v77, null, v76, v76, 1.0
	v_rcp_f32_e32 v78, v77
	v_nop
	s_delay_alu instid0(TRANS32_DEP_1) | instskip(NEXT) | instid1(VALU_DEP_1)
	v_fma_f32 v80, -v77, v78, 1.0
	v_fmac_f32_e32 v78, v80, v78
	v_div_scale_f32 v80, vcc_lo, 1.0, v76, 1.0
	s_delay_alu instid0(VALU_DEP_1) | instskip(NEXT) | instid1(VALU_DEP_1)
	v_mul_f32_e32 v81, v80, v78
	v_fma_f32 v82, -v77, v81, v80
	s_delay_alu instid0(VALU_DEP_1) | instskip(NEXT) | instid1(VALU_DEP_1)
	v_fmac_f32_e32 v81, v82, v78
	v_fma_f32 v77, -v77, v81, v80
	s_delay_alu instid0(VALU_DEP_1) | instskip(NEXT) | instid1(VALU_DEP_1)
	v_div_fmas_f32 v77, v77, v78, v81
	v_div_fixup_f32 v78, v77, v76, 1.0
	s_delay_alu instid0(VALU_DEP_1)
	v_mul_f32_e64 v79, v79, -v78
.LBB29_70:
	s_or_b32 exec_lo, exec_lo, s1
	ds_store_b64 v93, v[78:79]
.LBB29_71:
	s_or_b32 exec_lo, exec_lo, s2
	s_wait_dscnt 0x0
	s_barrier_signal -1
	s_barrier_wait -1
	ds_load_b64 v[76:77], v93
	s_mov_b32 s1, exec_lo
	v_cmpx_lt_u32_e32 7, v92
	s_cbranch_execz .LBB29_73
; %bb.72:
	s_wait_dscnt 0x0
	v_pk_mul_f32 v[78:79], v[76:77], v[22:23] op_sel:[1,1] op_sel_hi:[0,1]
	s_delay_alu instid0(VALU_DEP_1)
	v_pk_fma_f32 v[82:83], v[76:77], v[22:23], v[78:79] op_sel_hi:[1,0,1] neg_lo:[0,0,1] neg_hi:[0,0,1]
	v_pk_fma_f32 v[84:85], v[76:77], v[22:23], v[78:79] op_sel_hi:[1,0,1]
	ds_load_2addr_b64 v[78:81], v94 offset0:8 offset1:9
	v_dual_mov_b32 v22, v82 :: v_dual_mov_b32 v23, v85
	s_wait_dscnt 0x0
	v_pk_mul_f32 v[86:87], v[78:79], v[84:85] op_sel:[0,1]
	s_delay_alu instid0(VALU_DEP_1) | instskip(SKIP_1) | instid1(VALU_DEP_1)
	v_pk_fma_f32 v[88:89], v[78:79], v[82:83], v[86:87] op_sel:[0,0,1] op_sel_hi:[1,1,0] neg_lo:[0,0,1] neg_hi:[0,0,1]
	v_pk_fma_f32 v[78:79], v[78:79], v[82:83], v[86:87] op_sel:[0,0,1] op_sel_hi:[1,0,0]
	v_mov_b32_e32 v89, v79
	v_pk_mul_f32 v[78:79], v[80:81], v[84:85] op_sel:[0,1]
	s_delay_alu instid0(VALU_DEP_1) | instskip(SKIP_1) | instid1(VALU_DEP_1)
	v_pk_fma_f32 v[86:87], v[80:81], v[82:83], v[78:79] op_sel:[0,0,1] op_sel_hi:[1,1,0] neg_lo:[0,0,1] neg_hi:[0,0,1]
	v_pk_fma_f32 v[78:79], v[80:81], v[82:83], v[78:79] op_sel:[0,0,1] op_sel_hi:[1,0,0]
	v_mov_b32_e32 v87, v79
	ds_load_2addr_b64 v[78:81], v94 offset0:10 offset1:11
	v_pk_add_f32 v[44:45], v[44:45], v[88:89] neg_lo:[0,1] neg_hi:[0,1]
	v_pk_add_f32 v[40:41], v[40:41], v[86:87] neg_lo:[0,1] neg_hi:[0,1]
	s_wait_dscnt 0x0
	v_pk_mul_f32 v[86:87], v[78:79], v[84:85] op_sel:[0,1]
	s_delay_alu instid0(VALU_DEP_1) | instskip(SKIP_2) | instid1(VALU_DEP_2)
	v_pk_fma_f32 v[88:89], v[78:79], v[82:83], v[86:87] op_sel:[0,0,1] op_sel_hi:[1,1,0] neg_lo:[0,0,1] neg_hi:[0,0,1]
	v_pk_fma_f32 v[78:79], v[78:79], v[82:83], v[86:87] op_sel:[0,0,1] op_sel_hi:[1,0,0]
	v_dual_mul_f32 v86, v81, v85 :: v_dual_mov_b32 v78, v81
	v_dual_mov_b32 v89, v79 :: v_dual_mov_b32 v79, v80
	s_delay_alu instid0(VALU_DEP_2) | instskip(SKIP_1) | instid1(VALU_DEP_3)
	v_pk_fma_f32 v[86:87], v[80:81], v[22:23], v[86:87] op_sel_hi:[1,1,0] neg_lo:[0,0,1] neg_hi:[0,0,1]
	v_mul_f32_e32 v80, v81, v82
	v_pk_add_f32 v[42:43], v[42:43], v[88:89] neg_lo:[0,1] neg_hi:[0,1]
	s_delay_alu instid0(VALU_DEP_2) | instskip(NEXT) | instid1(VALU_DEP_1)
	v_pk_fma_f32 v[78:79], v[78:79], v[22:23], v[80:81] op_sel_hi:[1,1,0]
	v_mov_b32_e32 v87, v79
	ds_load_2addr_b64 v[78:81], v94 offset0:12 offset1:13
	v_pk_add_f32 v[56:57], v[56:57], v[86:87] neg_lo:[0,1] neg_hi:[0,1]
	s_wait_dscnt 0x0
	v_pk_mul_f32 v[86:87], v[78:79], v[84:85] op_sel:[0,1]
	s_delay_alu instid0(VALU_DEP_1) | instskip(SKIP_1) | instid1(VALU_DEP_1)
	v_pk_fma_f32 v[88:89], v[78:79], v[82:83], v[86:87] op_sel:[0,0,1] op_sel_hi:[1,1,0] neg_lo:[0,0,1] neg_hi:[0,0,1]
	v_pk_fma_f32 v[78:79], v[78:79], v[82:83], v[86:87] op_sel:[0,0,1] op_sel_hi:[1,0,0]
	v_mov_b32_e32 v89, v79
	v_pk_mul_f32 v[78:79], v[80:81], v[84:85] op_sel:[0,1]
	s_delay_alu instid0(VALU_DEP_1) | instskip(SKIP_1) | instid1(VALU_DEP_1)
	v_pk_fma_f32 v[86:87], v[80:81], v[82:83], v[78:79] op_sel:[0,0,1] op_sel_hi:[1,1,0] neg_lo:[0,0,1] neg_hi:[0,0,1]
	v_pk_fma_f32 v[78:79], v[80:81], v[82:83], v[78:79] op_sel:[0,0,1] op_sel_hi:[1,0,0]
	v_mov_b32_e32 v87, v79
	ds_load_b64 v[78:79], v94 offset:112
	v_pk_add_f32 v[54:55], v[54:55], v[88:89] neg_lo:[0,1] neg_hi:[0,1]
	v_pk_add_f32 v[50:51], v[50:51], v[86:87] neg_lo:[0,1] neg_hi:[0,1]
	s_wait_dscnt 0x0
	v_pk_mul_f32 v[80:81], v[78:79], v[84:85] op_sel:[0,1]
	s_delay_alu instid0(VALU_DEP_1) | instskip(SKIP_1) | instid1(VALU_DEP_1)
	v_pk_fma_f32 v[84:85], v[78:79], v[82:83], v[80:81] op_sel:[0,0,1] op_sel_hi:[1,1,0] neg_lo:[0,0,1] neg_hi:[0,0,1]
	v_pk_fma_f32 v[78:79], v[78:79], v[82:83], v[80:81] op_sel:[0,0,1] op_sel_hi:[1,0,0]
	v_mov_b32_e32 v85, v79
	s_delay_alu instid0(VALU_DEP_1)
	v_pk_add_f32 v[52:53], v[52:53], v[84:85] neg_lo:[0,1] neg_hi:[0,1]
.LBB29_73:
	s_or_b32 exec_lo, exec_lo, s1
	s_delay_alu instid0(SALU_CYCLE_1)
	s_mov_b32 s2, exec_lo
	s_wait_dscnt 0x0
	s_barrier_signal -1
	s_barrier_wait -1
	v_cmpx_eq_u32_e32 8, v92
	s_cbranch_execz .LBB29_80
; %bb.74:
	ds_store_b64 v93, v[44:45]
	ds_store_2addr_b64 v94, v[40:41], v[42:43] offset0:9 offset1:10
	ds_store_2addr_b64 v94, v[56:57], v[54:55] offset0:11 offset1:12
	;; [unrolled: 1-line block ×3, first 2 shown]
	ds_load_b64 v[78:79], v93
	s_wait_dscnt 0x0
	v_cmp_neq_f32_e32 vcc_lo, 0, v78
	v_cmp_neq_f32_e64 s1, 0, v79
	s_or_b32 s1, vcc_lo, s1
	s_delay_alu instid0(SALU_CYCLE_1)
	s_and_b32 exec_lo, exec_lo, s1
	s_cbranch_execz .LBB29_80
; %bb.75:
	v_cmp_ngt_f32_e64 s1, |v78|, |v79|
                                        ; implicit-def: $vgpr80_vgpr81
	s_and_saveexec_b32 s4, s1
	s_delay_alu instid0(SALU_CYCLE_1)
	s_xor_b32 s1, exec_lo, s4
	s_cbranch_execz .LBB29_77
; %bb.76:
	v_div_scale_f32 v80, null, v79, v79, v78
	v_div_scale_f32 v83, vcc_lo, v78, v79, v78
	s_delay_alu instid0(VALU_DEP_2) | instskip(SKIP_1) | instid1(TRANS32_DEP_1)
	v_rcp_f32_e32 v81, v80
	v_nop
	v_fma_f32 v82, -v80, v81, 1.0
	s_delay_alu instid0(VALU_DEP_1) | instskip(NEXT) | instid1(VALU_DEP_1)
	v_fmac_f32_e32 v81, v82, v81
	v_mul_f32_e32 v82, v83, v81
	s_delay_alu instid0(VALU_DEP_1) | instskip(NEXT) | instid1(VALU_DEP_1)
	v_fma_f32 v84, -v80, v82, v83
	v_fmac_f32_e32 v82, v84, v81
	s_delay_alu instid0(VALU_DEP_1) | instskip(NEXT) | instid1(VALU_DEP_1)
	v_fma_f32 v80, -v80, v82, v83
	v_div_fmas_f32 v80, v80, v81, v82
	s_delay_alu instid0(VALU_DEP_1) | instskip(NEXT) | instid1(VALU_DEP_1)
	v_div_fixup_f32 v80, v80, v79, v78
	v_fmac_f32_e32 v79, v78, v80
	s_delay_alu instid0(VALU_DEP_1) | instskip(SKIP_1) | instid1(VALU_DEP_2)
	v_div_scale_f32 v78, null, v79, v79, 1.0
	v_div_scale_f32 v83, vcc_lo, 1.0, v79, 1.0
	v_rcp_f32_e32 v81, v78
	v_nop
	s_delay_alu instid0(TRANS32_DEP_1) | instskip(NEXT) | instid1(VALU_DEP_1)
	v_fma_f32 v82, -v78, v81, 1.0
	v_fmac_f32_e32 v81, v82, v81
	s_delay_alu instid0(VALU_DEP_1) | instskip(NEXT) | instid1(VALU_DEP_1)
	v_mul_f32_e32 v82, v83, v81
	v_fma_f32 v84, -v78, v82, v83
	s_delay_alu instid0(VALU_DEP_1) | instskip(NEXT) | instid1(VALU_DEP_1)
	v_fmac_f32_e32 v82, v84, v81
	v_fma_f32 v78, -v78, v82, v83
	s_delay_alu instid0(VALU_DEP_1) | instskip(NEXT) | instid1(VALU_DEP_1)
	v_div_fmas_f32 v78, v78, v81, v82
	v_div_fixup_f32 v78, v78, v79, 1.0
	s_delay_alu instid0(VALU_DEP_1)
	v_mul_f32_e32 v80, v80, v78
	v_xor_b32_e32 v81, 0x80000000, v78
                                        ; implicit-def: $vgpr78_vgpr79
.LBB29_77:
	s_and_not1_saveexec_b32 s1, s1
	s_cbranch_execz .LBB29_79
; %bb.78:
	v_div_scale_f32 v80, null, v78, v78, v79
	v_div_scale_f32 v83, vcc_lo, v79, v78, v79
	s_delay_alu instid0(VALU_DEP_2) | instskip(SKIP_1) | instid1(TRANS32_DEP_1)
	v_rcp_f32_e32 v81, v80
	v_nop
	v_fma_f32 v82, -v80, v81, 1.0
	s_delay_alu instid0(VALU_DEP_1) | instskip(NEXT) | instid1(VALU_DEP_1)
	v_fmac_f32_e32 v81, v82, v81
	v_mul_f32_e32 v82, v83, v81
	s_delay_alu instid0(VALU_DEP_1) | instskip(NEXT) | instid1(VALU_DEP_1)
	v_fma_f32 v84, -v80, v82, v83
	v_fmac_f32_e32 v82, v84, v81
	s_delay_alu instid0(VALU_DEP_1) | instskip(NEXT) | instid1(VALU_DEP_1)
	v_fma_f32 v80, -v80, v82, v83
	v_div_fmas_f32 v80, v80, v81, v82
	s_delay_alu instid0(VALU_DEP_1) | instskip(NEXT) | instid1(VALU_DEP_1)
	v_div_fixup_f32 v81, v80, v78, v79
	v_fmac_f32_e32 v78, v79, v81
	s_delay_alu instid0(VALU_DEP_1) | instskip(NEXT) | instid1(VALU_DEP_1)
	v_div_scale_f32 v79, null, v78, v78, 1.0
	v_rcp_f32_e32 v80, v79
	v_nop
	s_delay_alu instid0(TRANS32_DEP_1) | instskip(NEXT) | instid1(VALU_DEP_1)
	v_fma_f32 v82, -v79, v80, 1.0
	v_fmac_f32_e32 v80, v82, v80
	v_div_scale_f32 v82, vcc_lo, 1.0, v78, 1.0
	s_delay_alu instid0(VALU_DEP_1) | instskip(NEXT) | instid1(VALU_DEP_1)
	v_mul_f32_e32 v83, v82, v80
	v_fma_f32 v84, -v79, v83, v82
	s_delay_alu instid0(VALU_DEP_1) | instskip(NEXT) | instid1(VALU_DEP_1)
	v_fmac_f32_e32 v83, v84, v80
	v_fma_f32 v79, -v79, v83, v82
	s_delay_alu instid0(VALU_DEP_1) | instskip(NEXT) | instid1(VALU_DEP_1)
	v_div_fmas_f32 v79, v79, v80, v83
	v_div_fixup_f32 v80, v79, v78, 1.0
	s_delay_alu instid0(VALU_DEP_1)
	v_mul_f32_e64 v81, v81, -v80
.LBB29_79:
	s_or_b32 exec_lo, exec_lo, s1
	ds_store_b64 v93, v[80:81]
.LBB29_80:
	s_or_b32 exec_lo, exec_lo, s2
	s_wait_dscnt 0x0
	s_barrier_signal -1
	s_barrier_wait -1
	ds_load_b64 v[78:79], v93
	s_mov_b32 s1, exec_lo
	v_cmpx_lt_u32_e32 8, v92
	s_cbranch_execz .LBB29_82
; %bb.81:
	s_wait_dscnt 0x0
	v_pk_mul_f32 v[80:81], v[78:79], v[44:45] op_sel:[1,1] op_sel_hi:[0,1]
	s_delay_alu instid0(VALU_DEP_1)
	v_pk_fma_f32 v[84:85], v[78:79], v[44:45], v[80:81] op_sel_hi:[1,0,1] neg_lo:[0,0,1] neg_hi:[0,0,1]
	v_pk_fma_f32 v[86:87], v[78:79], v[44:45], v[80:81] op_sel_hi:[1,0,1]
	ds_load_2addr_b64 v[80:83], v94 offset0:9 offset1:10
	v_dual_mov_b32 v44, v84 :: v_dual_mov_b32 v45, v87
	s_wait_dscnt 0x0
	v_pk_mul_f32 v[88:89], v[80:81], v[86:87] op_sel:[0,1]
	s_delay_alu instid0(VALU_DEP_1) | instskip(SKIP_1) | instid1(VALU_DEP_1)
	v_pk_fma_f32 v[90:91], v[80:81], v[84:85], v[88:89] op_sel:[0,0,1] op_sel_hi:[1,1,0] neg_lo:[0,0,1] neg_hi:[0,0,1]
	v_pk_fma_f32 v[80:81], v[80:81], v[84:85], v[88:89] op_sel:[0,0,1] op_sel_hi:[1,0,0]
	v_mov_b32_e32 v91, v81
	v_pk_mul_f32 v[80:81], v[82:83], v[86:87] op_sel:[0,1]
	s_delay_alu instid0(VALU_DEP_1) | instskip(SKIP_1) | instid1(VALU_DEP_1)
	v_pk_fma_f32 v[88:89], v[82:83], v[84:85], v[80:81] op_sel:[0,0,1] op_sel_hi:[1,1,0] neg_lo:[0,0,1] neg_hi:[0,0,1]
	v_pk_fma_f32 v[80:81], v[82:83], v[84:85], v[80:81] op_sel:[0,0,1] op_sel_hi:[1,0,0]
	v_mov_b32_e32 v89, v81
	ds_load_2addr_b64 v[80:83], v94 offset0:11 offset1:12
	v_pk_add_f32 v[40:41], v[40:41], v[90:91] neg_lo:[0,1] neg_hi:[0,1]
	v_pk_add_f32 v[42:43], v[42:43], v[88:89] neg_lo:[0,1] neg_hi:[0,1]
	s_wait_dscnt 0x0
	v_pk_mul_f32 v[88:89], v[80:81], v[86:87] op_sel:[0,1]
	s_delay_alu instid0(VALU_DEP_1) | instskip(SKIP_2) | instid1(VALU_DEP_2)
	v_pk_fma_f32 v[90:91], v[80:81], v[84:85], v[88:89] op_sel:[0,0,1] op_sel_hi:[1,1,0] neg_lo:[0,0,1] neg_hi:[0,0,1]
	v_pk_fma_f32 v[80:81], v[80:81], v[84:85], v[88:89] op_sel:[0,0,1] op_sel_hi:[1,0,0]
	v_dual_mul_f32 v88, v83, v87 :: v_dual_mov_b32 v80, v83
	v_dual_mov_b32 v91, v81 :: v_dual_mov_b32 v81, v82
	s_delay_alu instid0(VALU_DEP_2) | instskip(SKIP_1) | instid1(VALU_DEP_3)
	v_pk_fma_f32 v[88:89], v[82:83], v[44:45], v[88:89] op_sel_hi:[1,1,0] neg_lo:[0,0,1] neg_hi:[0,0,1]
	v_mul_f32_e32 v82, v83, v84
	v_pk_add_f32 v[56:57], v[56:57], v[90:91] neg_lo:[0,1] neg_hi:[0,1]
	s_delay_alu instid0(VALU_DEP_2) | instskip(NEXT) | instid1(VALU_DEP_1)
	v_pk_fma_f32 v[80:81], v[80:81], v[44:45], v[82:83] op_sel_hi:[1,1,0]
	v_mov_b32_e32 v89, v81
	ds_load_2addr_b64 v[80:83], v94 offset0:13 offset1:14
	v_pk_add_f32 v[54:55], v[54:55], v[88:89] neg_lo:[0,1] neg_hi:[0,1]
	s_wait_dscnt 0x0
	v_pk_mul_f32 v[88:89], v[80:81], v[86:87] op_sel:[0,1]
	v_mul_f32_e32 v86, v83, v87
	s_delay_alu instid0(VALU_DEP_2) | instskip(SKIP_2) | instid1(VALU_DEP_4)
	v_pk_fma_f32 v[90:91], v[80:81], v[84:85], v[88:89] op_sel:[0,0,1] op_sel_hi:[1,1,0] neg_lo:[0,0,1] neg_hi:[0,0,1]
	v_pk_fma_f32 v[80:81], v[80:81], v[84:85], v[88:89] op_sel:[0,0,1] op_sel_hi:[1,0,0]
	v_mov_b32_e32 v80, v83
	v_pk_fma_f32 v[86:87], v[82:83], v[44:45], v[86:87] op_sel_hi:[1,1,0] neg_lo:[0,0,1] neg_hi:[0,0,1]
	s_delay_alu instid0(VALU_DEP_3) | instskip(SKIP_1) | instid1(VALU_DEP_2)
	v_dual_mov_b32 v91, v81 :: v_dual_mov_b32 v81, v82
	v_mul_f32_e32 v82, v83, v84
	v_pk_add_f32 v[50:51], v[50:51], v[90:91] neg_lo:[0,1] neg_hi:[0,1]
	s_delay_alu instid0(VALU_DEP_2) | instskip(NEXT) | instid1(VALU_DEP_1)
	v_pk_fma_f32 v[80:81], v[80:81], v[44:45], v[82:83] op_sel_hi:[1,1,0]
	v_mov_b32_e32 v87, v81
	s_delay_alu instid0(VALU_DEP_1)
	v_pk_add_f32 v[52:53], v[52:53], v[86:87] neg_lo:[0,1] neg_hi:[0,1]
.LBB29_82:
	s_or_b32 exec_lo, exec_lo, s1
	s_delay_alu instid0(SALU_CYCLE_1)
	s_mov_b32 s2, exec_lo
	s_wait_dscnt 0x0
	s_barrier_signal -1
	s_barrier_wait -1
	v_cmpx_eq_u32_e32 9, v92
	s_cbranch_execz .LBB29_89
; %bb.83:
	v_dual_mov_b32 v80, v42 :: v_dual_mov_b32 v81, v43
	v_dual_mov_b32 v82, v56 :: v_dual_mov_b32 v83, v57
	;; [unrolled: 1-line block ×4, first 2 shown]
	ds_store_b64 v93, v[40:41]
	ds_store_2addr_b64 v94, v[80:81], v[82:83] offset0:10 offset1:11
	ds_store_2addr_b64 v94, v[84:85], v[86:87] offset0:12 offset1:13
	ds_store_b64 v94, v[52:53] offset:112
	ds_load_b64 v[80:81], v93
	s_wait_dscnt 0x0
	v_cmp_neq_f32_e32 vcc_lo, 0, v80
	v_cmp_neq_f32_e64 s1, 0, v81
	s_or_b32 s1, vcc_lo, s1
	s_delay_alu instid0(SALU_CYCLE_1)
	s_and_b32 exec_lo, exec_lo, s1
	s_cbranch_execz .LBB29_89
; %bb.84:
	v_cmp_ngt_f32_e64 s1, |v80|, |v81|
                                        ; implicit-def: $vgpr82_vgpr83
	s_and_saveexec_b32 s4, s1
	s_delay_alu instid0(SALU_CYCLE_1)
	s_xor_b32 s1, exec_lo, s4
	s_cbranch_execz .LBB29_86
; %bb.85:
	v_div_scale_f32 v82, null, v81, v81, v80
	v_div_scale_f32 v85, vcc_lo, v80, v81, v80
	s_delay_alu instid0(VALU_DEP_2) | instskip(SKIP_1) | instid1(TRANS32_DEP_1)
	v_rcp_f32_e32 v83, v82
	v_nop
	v_fma_f32 v84, -v82, v83, 1.0
	s_delay_alu instid0(VALU_DEP_1) | instskip(NEXT) | instid1(VALU_DEP_1)
	v_fmac_f32_e32 v83, v84, v83
	v_mul_f32_e32 v84, v85, v83
	s_delay_alu instid0(VALU_DEP_1) | instskip(NEXT) | instid1(VALU_DEP_1)
	v_fma_f32 v86, -v82, v84, v85
	v_fmac_f32_e32 v84, v86, v83
	s_delay_alu instid0(VALU_DEP_1) | instskip(NEXT) | instid1(VALU_DEP_1)
	v_fma_f32 v82, -v82, v84, v85
	v_div_fmas_f32 v82, v82, v83, v84
	s_delay_alu instid0(VALU_DEP_1) | instskip(NEXT) | instid1(VALU_DEP_1)
	v_div_fixup_f32 v82, v82, v81, v80
	v_fmac_f32_e32 v81, v80, v82
	s_delay_alu instid0(VALU_DEP_1) | instskip(SKIP_1) | instid1(VALU_DEP_2)
	v_div_scale_f32 v80, null, v81, v81, 1.0
	v_div_scale_f32 v85, vcc_lo, 1.0, v81, 1.0
	v_rcp_f32_e32 v83, v80
	v_nop
	s_delay_alu instid0(TRANS32_DEP_1) | instskip(NEXT) | instid1(VALU_DEP_1)
	v_fma_f32 v84, -v80, v83, 1.0
	v_fmac_f32_e32 v83, v84, v83
	s_delay_alu instid0(VALU_DEP_1) | instskip(NEXT) | instid1(VALU_DEP_1)
	v_mul_f32_e32 v84, v85, v83
	v_fma_f32 v86, -v80, v84, v85
	s_delay_alu instid0(VALU_DEP_1) | instskip(NEXT) | instid1(VALU_DEP_1)
	v_fmac_f32_e32 v84, v86, v83
	v_fma_f32 v80, -v80, v84, v85
	s_delay_alu instid0(VALU_DEP_1) | instskip(NEXT) | instid1(VALU_DEP_1)
	v_div_fmas_f32 v80, v80, v83, v84
	v_div_fixup_f32 v80, v80, v81, 1.0
	s_delay_alu instid0(VALU_DEP_1)
	v_mul_f32_e32 v82, v82, v80
	v_xor_b32_e32 v83, 0x80000000, v80
                                        ; implicit-def: $vgpr80_vgpr81
.LBB29_86:
	s_and_not1_saveexec_b32 s1, s1
	s_cbranch_execz .LBB29_88
; %bb.87:
	v_div_scale_f32 v82, null, v80, v80, v81
	v_div_scale_f32 v85, vcc_lo, v81, v80, v81
	s_delay_alu instid0(VALU_DEP_2) | instskip(SKIP_1) | instid1(TRANS32_DEP_1)
	v_rcp_f32_e32 v83, v82
	v_nop
	v_fma_f32 v84, -v82, v83, 1.0
	s_delay_alu instid0(VALU_DEP_1) | instskip(NEXT) | instid1(VALU_DEP_1)
	v_fmac_f32_e32 v83, v84, v83
	v_mul_f32_e32 v84, v85, v83
	s_delay_alu instid0(VALU_DEP_1) | instskip(NEXT) | instid1(VALU_DEP_1)
	v_fma_f32 v86, -v82, v84, v85
	v_fmac_f32_e32 v84, v86, v83
	s_delay_alu instid0(VALU_DEP_1) | instskip(NEXT) | instid1(VALU_DEP_1)
	v_fma_f32 v82, -v82, v84, v85
	v_div_fmas_f32 v82, v82, v83, v84
	s_delay_alu instid0(VALU_DEP_1) | instskip(NEXT) | instid1(VALU_DEP_1)
	v_div_fixup_f32 v83, v82, v80, v81
	v_fmac_f32_e32 v80, v81, v83
	s_delay_alu instid0(VALU_DEP_1) | instskip(NEXT) | instid1(VALU_DEP_1)
	v_div_scale_f32 v81, null, v80, v80, 1.0
	v_rcp_f32_e32 v82, v81
	v_nop
	s_delay_alu instid0(TRANS32_DEP_1) | instskip(NEXT) | instid1(VALU_DEP_1)
	v_fma_f32 v84, -v81, v82, 1.0
	v_fmac_f32_e32 v82, v84, v82
	v_div_scale_f32 v84, vcc_lo, 1.0, v80, 1.0
	s_delay_alu instid0(VALU_DEP_1) | instskip(NEXT) | instid1(VALU_DEP_1)
	v_mul_f32_e32 v85, v84, v82
	v_fma_f32 v86, -v81, v85, v84
	s_delay_alu instid0(VALU_DEP_1) | instskip(NEXT) | instid1(VALU_DEP_1)
	v_fmac_f32_e32 v85, v86, v82
	v_fma_f32 v81, -v81, v85, v84
	s_delay_alu instid0(VALU_DEP_1) | instskip(NEXT) | instid1(VALU_DEP_1)
	v_div_fmas_f32 v81, v81, v82, v85
	v_div_fixup_f32 v82, v81, v80, 1.0
	s_delay_alu instid0(VALU_DEP_1)
	v_mul_f32_e64 v83, v83, -v82
.LBB29_88:
	s_or_b32 exec_lo, exec_lo, s1
	ds_store_b64 v93, v[82:83]
.LBB29_89:
	s_or_b32 exec_lo, exec_lo, s2
	s_wait_dscnt 0x0
	s_barrier_signal -1
	s_barrier_wait -1
	ds_load_b64 v[80:81], v93
	s_mov_b32 s1, exec_lo
	v_cmpx_lt_u32_e32 9, v92
	s_cbranch_execz .LBB29_91
; %bb.90:
	ds_load_2addr_b64 v[82:85], v94 offset0:10 offset1:11
	ds_load_2addr_b64 v[86:89], v94 offset0:12 offset1:13
	ds_load_b64 v[90:91], v94 offset:112
	s_wait_dscnt 0x3
	v_pk_mul_f32 v[96:97], v[80:81], v[40:41] op_sel:[1,1] op_sel_hi:[0,1]
	s_delay_alu instid0(VALU_DEP_1) | instskip(SKIP_1) | instid1(VALU_DEP_1)
	v_pk_fma_f32 v[98:99], v[80:81], v[40:41], v[96:97] op_sel_hi:[1,0,1] neg_lo:[0,0,1] neg_hi:[0,0,1]
	v_pk_fma_f32 v[96:97], v[80:81], v[40:41], v[96:97] op_sel_hi:[1,0,1]
	v_dual_mov_b32 v40, v98 :: v_dual_mov_b32 v41, v97
	s_wait_dscnt 0x2
	s_delay_alu instid0(VALU_DEP_2)
	v_pk_mul_f32 v[100:101], v[82:83], v[96:97] op_sel:[0,1]
	v_pk_mul_f32 v[102:103], v[84:85], v[96:97] op_sel:[0,1]
	s_wait_dscnt 0x1
	v_pk_mul_f32 v[104:105], v[86:87], v[96:97] op_sel:[0,1]
	v_dual_mov_b32 v106, v89 :: v_dual_mov_b32 v107, v88
	v_dual_mul_f32 v108, v89, v97 :: v_dual_mul_f32 v110, v89, v98
	s_wait_dscnt 0x0
	v_pk_mul_f32 v[96:97], v[90:91], v[96:97] op_sel:[0,1]
	v_pk_fma_f32 v[112:113], v[82:83], v[98:99], v[100:101] op_sel:[0,0,1] op_sel_hi:[1,1,0] neg_lo:[0,0,1] neg_hi:[0,0,1]
	v_pk_fma_f32 v[82:83], v[82:83], v[98:99], v[100:101] op_sel:[0,0,1] op_sel_hi:[1,0,0]
	v_pk_fma_f32 v[100:101], v[84:85], v[98:99], v[102:103] op_sel:[0,0,1] op_sel_hi:[1,1,0] neg_lo:[0,0,1] neg_hi:[0,0,1]
	v_pk_fma_f32 v[84:85], v[84:85], v[98:99], v[102:103] op_sel:[0,0,1] op_sel_hi:[1,0,0]
	;; [unrolled: 2-line block ×3, first 2 shown]
	v_pk_fma_f32 v[104:105], v[106:107], v[40:41], v[110:111] op_sel_hi:[1,1,0]
	v_pk_fma_f32 v[106:107], v[90:91], v[98:99], v[96:97] op_sel:[0,0,1] op_sel_hi:[1,1,0] neg_lo:[0,0,1] neg_hi:[0,0,1]
	v_pk_fma_f32 v[90:91], v[90:91], v[98:99], v[96:97] op_sel:[0,0,1] op_sel_hi:[1,0,0]
	v_pk_fma_f32 v[88:89], v[88:89], v[40:41], v[108:109] op_sel_hi:[1,1,0] neg_lo:[0,0,1] neg_hi:[0,0,1]
	v_dual_mov_b32 v113, v83 :: v_dual_mov_b32 v101, v85
	v_dual_mov_b32 v103, v87 :: v_dual_mov_b32 v89, v105
	s_delay_alu instid0(VALU_DEP_4) | instskip(NEXT) | instid1(VALU_DEP_3)
	v_mov_b32_e32 v107, v91
	v_pk_add_f32 v[42:43], v[42:43], v[112:113] neg_lo:[0,1] neg_hi:[0,1]
	s_delay_alu instid0(VALU_DEP_4) | instskip(NEXT) | instid1(VALU_DEP_4)
	v_pk_add_f32 v[56:57], v[56:57], v[100:101] neg_lo:[0,1] neg_hi:[0,1]
	v_pk_add_f32 v[54:55], v[54:55], v[102:103] neg_lo:[0,1] neg_hi:[0,1]
	;; [unrolled: 1-line block ×4, first 2 shown]
.LBB29_91:
	s_or_b32 exec_lo, exec_lo, s1
	s_delay_alu instid0(SALU_CYCLE_1)
	s_mov_b32 s2, exec_lo
	s_wait_dscnt 0x0
	s_barrier_signal -1
	s_barrier_wait -1
	v_cmpx_eq_u32_e32 10, v92
	s_cbranch_execz .LBB29_98
; %bb.92:
	ds_store_b64 v93, v[42:43]
	ds_store_2addr_b64 v94, v[56:57], v[54:55] offset0:11 offset1:12
	ds_store_2addr_b64 v94, v[50:51], v[52:53] offset0:13 offset1:14
	ds_load_b64 v[82:83], v93
	s_wait_dscnt 0x0
	v_cmp_neq_f32_e32 vcc_lo, 0, v82
	v_cmp_neq_f32_e64 s1, 0, v83
	s_or_b32 s1, vcc_lo, s1
	s_delay_alu instid0(SALU_CYCLE_1)
	s_and_b32 exec_lo, exec_lo, s1
	s_cbranch_execz .LBB29_98
; %bb.93:
	v_cmp_ngt_f32_e64 s1, |v82|, |v83|
                                        ; implicit-def: $vgpr84_vgpr85
	s_and_saveexec_b32 s4, s1
	s_delay_alu instid0(SALU_CYCLE_1)
	s_xor_b32 s1, exec_lo, s4
	s_cbranch_execz .LBB29_95
; %bb.94:
	v_div_scale_f32 v84, null, v83, v83, v82
	v_div_scale_f32 v87, vcc_lo, v82, v83, v82
	s_delay_alu instid0(VALU_DEP_2) | instskip(SKIP_1) | instid1(TRANS32_DEP_1)
	v_rcp_f32_e32 v85, v84
	v_nop
	v_fma_f32 v86, -v84, v85, 1.0
	s_delay_alu instid0(VALU_DEP_1) | instskip(NEXT) | instid1(VALU_DEP_1)
	v_fmac_f32_e32 v85, v86, v85
	v_mul_f32_e32 v86, v87, v85
	s_delay_alu instid0(VALU_DEP_1) | instskip(NEXT) | instid1(VALU_DEP_1)
	v_fma_f32 v88, -v84, v86, v87
	v_fmac_f32_e32 v86, v88, v85
	s_delay_alu instid0(VALU_DEP_1) | instskip(NEXT) | instid1(VALU_DEP_1)
	v_fma_f32 v84, -v84, v86, v87
	v_div_fmas_f32 v84, v84, v85, v86
	s_delay_alu instid0(VALU_DEP_1) | instskip(NEXT) | instid1(VALU_DEP_1)
	v_div_fixup_f32 v84, v84, v83, v82
	v_fmac_f32_e32 v83, v82, v84
	s_delay_alu instid0(VALU_DEP_1) | instskip(SKIP_1) | instid1(VALU_DEP_2)
	v_div_scale_f32 v82, null, v83, v83, 1.0
	v_div_scale_f32 v87, vcc_lo, 1.0, v83, 1.0
	v_rcp_f32_e32 v85, v82
	v_nop
	s_delay_alu instid0(TRANS32_DEP_1) | instskip(NEXT) | instid1(VALU_DEP_1)
	v_fma_f32 v86, -v82, v85, 1.0
	v_fmac_f32_e32 v85, v86, v85
	s_delay_alu instid0(VALU_DEP_1) | instskip(NEXT) | instid1(VALU_DEP_1)
	v_mul_f32_e32 v86, v87, v85
	v_fma_f32 v88, -v82, v86, v87
	s_delay_alu instid0(VALU_DEP_1) | instskip(NEXT) | instid1(VALU_DEP_1)
	v_fmac_f32_e32 v86, v88, v85
	v_fma_f32 v82, -v82, v86, v87
	s_delay_alu instid0(VALU_DEP_1) | instskip(NEXT) | instid1(VALU_DEP_1)
	v_div_fmas_f32 v82, v82, v85, v86
	v_div_fixup_f32 v82, v82, v83, 1.0
	s_delay_alu instid0(VALU_DEP_1)
	v_mul_f32_e32 v84, v84, v82
	v_xor_b32_e32 v85, 0x80000000, v82
                                        ; implicit-def: $vgpr82_vgpr83
.LBB29_95:
	s_and_not1_saveexec_b32 s1, s1
	s_cbranch_execz .LBB29_97
; %bb.96:
	v_div_scale_f32 v84, null, v82, v82, v83
	v_div_scale_f32 v87, vcc_lo, v83, v82, v83
	s_delay_alu instid0(VALU_DEP_2) | instskip(SKIP_1) | instid1(TRANS32_DEP_1)
	v_rcp_f32_e32 v85, v84
	v_nop
	v_fma_f32 v86, -v84, v85, 1.0
	s_delay_alu instid0(VALU_DEP_1) | instskip(NEXT) | instid1(VALU_DEP_1)
	v_fmac_f32_e32 v85, v86, v85
	v_mul_f32_e32 v86, v87, v85
	s_delay_alu instid0(VALU_DEP_1) | instskip(NEXT) | instid1(VALU_DEP_1)
	v_fma_f32 v88, -v84, v86, v87
	v_fmac_f32_e32 v86, v88, v85
	s_delay_alu instid0(VALU_DEP_1) | instskip(NEXT) | instid1(VALU_DEP_1)
	v_fma_f32 v84, -v84, v86, v87
	v_div_fmas_f32 v84, v84, v85, v86
	s_delay_alu instid0(VALU_DEP_1) | instskip(NEXT) | instid1(VALU_DEP_1)
	v_div_fixup_f32 v85, v84, v82, v83
	v_fmac_f32_e32 v82, v83, v85
	s_delay_alu instid0(VALU_DEP_1) | instskip(NEXT) | instid1(VALU_DEP_1)
	v_div_scale_f32 v83, null, v82, v82, 1.0
	v_rcp_f32_e32 v84, v83
	v_nop
	s_delay_alu instid0(TRANS32_DEP_1) | instskip(NEXT) | instid1(VALU_DEP_1)
	v_fma_f32 v86, -v83, v84, 1.0
	v_fmac_f32_e32 v84, v86, v84
	v_div_scale_f32 v86, vcc_lo, 1.0, v82, 1.0
	s_delay_alu instid0(VALU_DEP_1) | instskip(NEXT) | instid1(VALU_DEP_1)
	v_mul_f32_e32 v87, v86, v84
	v_fma_f32 v88, -v83, v87, v86
	s_delay_alu instid0(VALU_DEP_1) | instskip(NEXT) | instid1(VALU_DEP_1)
	v_fmac_f32_e32 v87, v88, v84
	v_fma_f32 v83, -v83, v87, v86
	s_delay_alu instid0(VALU_DEP_1) | instskip(NEXT) | instid1(VALU_DEP_1)
	v_div_fmas_f32 v83, v83, v84, v87
	v_div_fixup_f32 v84, v83, v82, 1.0
	s_delay_alu instid0(VALU_DEP_1)
	v_mul_f32_e64 v85, v85, -v84
.LBB29_97:
	s_or_b32 exec_lo, exec_lo, s1
	ds_store_b64 v93, v[84:85]
.LBB29_98:
	s_or_b32 exec_lo, exec_lo, s2
	s_wait_dscnt 0x0
	s_barrier_signal -1
	s_barrier_wait -1
	ds_load_b64 v[82:83], v93
	s_mov_b32 s1, exec_lo
	v_cmpx_lt_u32_e32 10, v92
	s_cbranch_execz .LBB29_100
; %bb.99:
	ds_load_2addr_b64 v[84:87], v94 offset0:11 offset1:12
	ds_load_2addr_b64 v[88:91], v94 offset0:13 offset1:14
	s_wait_dscnt 0x2
	v_pk_mul_f32 v[96:97], v[82:83], v[42:43] op_sel:[1,1] op_sel_hi:[0,1]
	s_delay_alu instid0(VALU_DEP_1) | instskip(SKIP_1) | instid1(VALU_DEP_1)
	v_pk_fma_f32 v[98:99], v[82:83], v[42:43], v[96:97] op_sel_hi:[1,0,1] neg_lo:[0,0,1] neg_hi:[0,0,1]
	v_pk_fma_f32 v[96:97], v[82:83], v[42:43], v[96:97] op_sel_hi:[1,0,1]
	v_dual_mov_b32 v42, v98 :: v_dual_mov_b32 v43, v97
	s_wait_dscnt 0x1
	s_delay_alu instid0(VALU_DEP_2)
	v_pk_mul_f32 v[100:101], v[84:85], v[96:97] op_sel:[0,1]
	s_wait_dscnt 0x0
	v_mov_b32_e32 v102, v91
	v_pk_mul_f32 v[104:105], v[86:87], v[96:97] op_sel:[0,1]
	v_pk_mul_f32 v[106:107], v[88:89], v[96:97] op_sel:[0,1]
	v_pk_fma_f32 v[108:109], v[84:85], v[98:99], v[100:101] op_sel:[0,0,1] op_sel_hi:[1,1,0] neg_lo:[0,0,1] neg_hi:[0,0,1]
	v_pk_fma_f32 v[84:85], v[84:85], v[98:99], v[100:101] op_sel:[0,0,1] op_sel_hi:[1,0,0]
	s_delay_alu instid0(VALU_DEP_1) | instskip(NEXT) | instid1(VALU_DEP_1)
	v_dual_mov_b32 v103, v90 :: v_dual_mov_b32 v109, v85
	v_pk_mul_f32 v[100:101], v[102:103], v[96:97] op_sel:[0,1]
	v_pk_fma_f32 v[102:103], v[86:87], v[98:99], v[104:105] op_sel:[0,0,1] op_sel_hi:[1,0,0]
	v_pk_fma_f32 v[86:87], v[86:87], v[98:99], v[104:105] op_sel:[0,0,1] op_sel_hi:[1,1,0] neg_lo:[0,0,1] neg_hi:[0,0,1]
	v_pk_fma_f32 v[104:105], v[88:89], v[98:99], v[106:107] op_sel:[0,0,1] op_sel_hi:[1,0,0]
	v_pk_fma_f32 v[88:89], v[88:89], v[98:99], v[106:107] op_sel:[0,0,1] op_sel_hi:[1,1,0] neg_lo:[0,0,1] neg_hi:[0,0,1]
	v_pk_fma_f32 v[84:85], v[90:91], v[98:99], v[100:101] op_sel_hi:[1,0,1]
	v_pk_fma_f32 v[90:91], v[90:91], v[98:99], v[100:101] neg_lo:[0,0,1] neg_hi:[0,0,1]
	s_delay_alu instid0(VALU_DEP_4) | instskip(SKIP_1) | instid1(VALU_DEP_4)
	v_dual_mov_b32 v87, v103 :: v_dual_mov_b32 v89, v105
	v_pk_add_f32 v[56:57], v[56:57], v[108:109] neg_lo:[0,1] neg_hi:[0,1]
	v_mov_b32_e32 v91, v85
	s_delay_alu instid0(VALU_DEP_3) | instskip(NEXT) | instid1(VALU_DEP_4)
	v_pk_add_f32 v[54:55], v[54:55], v[86:87] neg_lo:[0,1] neg_hi:[0,1]
	v_pk_add_f32 v[50:51], v[50:51], v[88:89] neg_lo:[0,1] neg_hi:[0,1]
	s_delay_alu instid0(VALU_DEP_3)
	v_pk_add_f32 v[52:53], v[52:53], v[90:91] neg_lo:[0,1] neg_hi:[0,1]
.LBB29_100:
	s_or_b32 exec_lo, exec_lo, s1
	s_delay_alu instid0(SALU_CYCLE_1)
	s_mov_b32 s2, exec_lo
	s_wait_dscnt 0x0
	s_barrier_signal -1
	s_barrier_wait -1
	v_cmpx_eq_u32_e32 11, v92
	s_cbranch_execz .LBB29_107
; %bb.101:
	v_dual_mov_b32 v84, v54 :: v_dual_mov_b32 v85, v55
	v_dual_mov_b32 v86, v50 :: v_dual_mov_b32 v87, v51
	ds_store_b64 v93, v[56:57]
	ds_store_2addr_b64 v94, v[84:85], v[86:87] offset0:12 offset1:13
	ds_store_b64 v94, v[52:53] offset:112
	ds_load_b64 v[84:85], v93
	s_wait_dscnt 0x0
	v_cmp_neq_f32_e32 vcc_lo, 0, v84
	v_cmp_neq_f32_e64 s1, 0, v85
	s_or_b32 s1, vcc_lo, s1
	s_delay_alu instid0(SALU_CYCLE_1)
	s_and_b32 exec_lo, exec_lo, s1
	s_cbranch_execz .LBB29_107
; %bb.102:
	v_cmp_ngt_f32_e64 s1, |v84|, |v85|
                                        ; implicit-def: $vgpr86_vgpr87
	s_and_saveexec_b32 s4, s1
	s_delay_alu instid0(SALU_CYCLE_1)
	s_xor_b32 s1, exec_lo, s4
	s_cbranch_execz .LBB29_104
; %bb.103:
	v_div_scale_f32 v86, null, v85, v85, v84
	v_div_scale_f32 v89, vcc_lo, v84, v85, v84
	s_delay_alu instid0(VALU_DEP_2) | instskip(SKIP_1) | instid1(TRANS32_DEP_1)
	v_rcp_f32_e32 v87, v86
	v_nop
	v_fma_f32 v88, -v86, v87, 1.0
	s_delay_alu instid0(VALU_DEP_1) | instskip(NEXT) | instid1(VALU_DEP_1)
	v_fmac_f32_e32 v87, v88, v87
	v_mul_f32_e32 v88, v89, v87
	s_delay_alu instid0(VALU_DEP_1) | instskip(NEXT) | instid1(VALU_DEP_1)
	v_fma_f32 v90, -v86, v88, v89
	v_fmac_f32_e32 v88, v90, v87
	s_delay_alu instid0(VALU_DEP_1) | instskip(NEXT) | instid1(VALU_DEP_1)
	v_fma_f32 v86, -v86, v88, v89
	v_div_fmas_f32 v86, v86, v87, v88
	s_delay_alu instid0(VALU_DEP_1) | instskip(NEXT) | instid1(VALU_DEP_1)
	v_div_fixup_f32 v86, v86, v85, v84
	v_fmac_f32_e32 v85, v84, v86
	s_delay_alu instid0(VALU_DEP_1) | instskip(SKIP_1) | instid1(VALU_DEP_2)
	v_div_scale_f32 v84, null, v85, v85, 1.0
	v_div_scale_f32 v89, vcc_lo, 1.0, v85, 1.0
	v_rcp_f32_e32 v87, v84
	v_nop
	s_delay_alu instid0(TRANS32_DEP_1) | instskip(NEXT) | instid1(VALU_DEP_1)
	v_fma_f32 v88, -v84, v87, 1.0
	v_fmac_f32_e32 v87, v88, v87
	s_delay_alu instid0(VALU_DEP_1) | instskip(NEXT) | instid1(VALU_DEP_1)
	v_mul_f32_e32 v88, v89, v87
	v_fma_f32 v90, -v84, v88, v89
	s_delay_alu instid0(VALU_DEP_1) | instskip(NEXT) | instid1(VALU_DEP_1)
	v_fmac_f32_e32 v88, v90, v87
	v_fma_f32 v84, -v84, v88, v89
	s_delay_alu instid0(VALU_DEP_1) | instskip(NEXT) | instid1(VALU_DEP_1)
	v_div_fmas_f32 v84, v84, v87, v88
	v_div_fixup_f32 v84, v84, v85, 1.0
	s_delay_alu instid0(VALU_DEP_1)
	v_mul_f32_e32 v86, v86, v84
	v_xor_b32_e32 v87, 0x80000000, v84
                                        ; implicit-def: $vgpr84_vgpr85
.LBB29_104:
	s_and_not1_saveexec_b32 s1, s1
	s_cbranch_execz .LBB29_106
; %bb.105:
	v_div_scale_f32 v86, null, v84, v84, v85
	v_div_scale_f32 v89, vcc_lo, v85, v84, v85
	s_delay_alu instid0(VALU_DEP_2) | instskip(SKIP_1) | instid1(TRANS32_DEP_1)
	v_rcp_f32_e32 v87, v86
	v_nop
	v_fma_f32 v88, -v86, v87, 1.0
	s_delay_alu instid0(VALU_DEP_1) | instskip(NEXT) | instid1(VALU_DEP_1)
	v_fmac_f32_e32 v87, v88, v87
	v_mul_f32_e32 v88, v89, v87
	s_delay_alu instid0(VALU_DEP_1) | instskip(NEXT) | instid1(VALU_DEP_1)
	v_fma_f32 v90, -v86, v88, v89
	v_fmac_f32_e32 v88, v90, v87
	s_delay_alu instid0(VALU_DEP_1) | instskip(NEXT) | instid1(VALU_DEP_1)
	v_fma_f32 v86, -v86, v88, v89
	v_div_fmas_f32 v86, v86, v87, v88
	s_delay_alu instid0(VALU_DEP_1) | instskip(NEXT) | instid1(VALU_DEP_1)
	v_div_fixup_f32 v87, v86, v84, v85
	v_fmac_f32_e32 v84, v85, v87
	s_delay_alu instid0(VALU_DEP_1) | instskip(NEXT) | instid1(VALU_DEP_1)
	v_div_scale_f32 v85, null, v84, v84, 1.0
	v_rcp_f32_e32 v86, v85
	v_nop
	s_delay_alu instid0(TRANS32_DEP_1) | instskip(NEXT) | instid1(VALU_DEP_1)
	v_fma_f32 v88, -v85, v86, 1.0
	v_fmac_f32_e32 v86, v88, v86
	v_div_scale_f32 v88, vcc_lo, 1.0, v84, 1.0
	s_delay_alu instid0(VALU_DEP_1) | instskip(NEXT) | instid1(VALU_DEP_1)
	v_mul_f32_e32 v89, v88, v86
	v_fma_f32 v90, -v85, v89, v88
	s_delay_alu instid0(VALU_DEP_1) | instskip(NEXT) | instid1(VALU_DEP_1)
	v_fmac_f32_e32 v89, v90, v86
	v_fma_f32 v85, -v85, v89, v88
	s_delay_alu instid0(VALU_DEP_1) | instskip(NEXT) | instid1(VALU_DEP_1)
	v_div_fmas_f32 v85, v85, v86, v89
	v_div_fixup_f32 v86, v85, v84, 1.0
	s_delay_alu instid0(VALU_DEP_1)
	v_mul_f32_e64 v87, v87, -v86
.LBB29_106:
	s_or_b32 exec_lo, exec_lo, s1
	ds_store_b64 v93, v[86:87]
.LBB29_107:
	s_or_b32 exec_lo, exec_lo, s2
	s_wait_dscnt 0x0
	s_barrier_signal -1
	s_barrier_wait -1
	ds_load_b64 v[84:85], v93
	s_mov_b32 s1, exec_lo
	v_cmpx_lt_u32_e32 11, v92
	s_cbranch_execz .LBB29_109
; %bb.108:
	ds_load_2addr_b64 v[86:89], v94 offset0:12 offset1:13
	ds_load_b64 v[90:91], v94 offset:112
	s_wait_dscnt 0x2
	v_pk_mul_f32 v[96:97], v[84:85], v[56:57] op_sel:[1,1] op_sel_hi:[0,1]
	s_delay_alu instid0(VALU_DEP_1) | instskip(SKIP_2) | instid1(VALU_DEP_2)
	v_pk_fma_f32 v[98:99], v[84:85], v[56:57], v[96:97] op_sel_hi:[1,0,1]
	v_pk_fma_f32 v[56:57], v[84:85], v[56:57], v[96:97] op_sel_hi:[1,0,1] neg_lo:[0,0,1] neg_hi:[0,0,1]
	s_wait_dscnt 0x1
	v_pk_mul_f32 v[96:97], v[86:87], v[98:99] op_sel:[0,1]
	v_pk_mul_f32 v[100:101], v[88:89], v[98:99] op_sel:[0,1]
	s_wait_dscnt 0x0
	v_pk_mul_f32 v[102:103], v[90:91], v[98:99] op_sel:[1,1] op_sel_hi:[0,1]
	s_delay_alu instid0(VALU_DEP_3) | instskip(SKIP_2) | instid1(VALU_DEP_4)
	v_pk_fma_f32 v[104:105], v[86:87], v[56:57], v[96:97] op_sel:[0,0,1] op_sel_hi:[1,1,0] neg_lo:[0,0,1] neg_hi:[0,0,1]
	v_pk_fma_f32 v[86:87], v[86:87], v[56:57], v[96:97] op_sel:[0,0,1] op_sel_hi:[1,0,0]
	v_pk_fma_f32 v[96:97], v[88:89], v[56:57], v[100:101] op_sel:[0,0,1] op_sel_hi:[1,0,0]
	v_pk_fma_f32 v[106:107], v[90:91], v[56:57], v[102:103] op_sel_hi:[1,0,1]
	v_pk_fma_f32 v[88:89], v[88:89], v[56:57], v[100:101] op_sel:[0,0,1] op_sel_hi:[1,1,0] neg_lo:[0,0,1] neg_hi:[0,0,1]
	v_pk_fma_f32 v[90:91], v[90:91], v[56:57], v[102:103] neg_lo:[0,0,1] neg_hi:[0,0,1]
	s_delay_alu instid0(VALU_DEP_4) | instskip(NEXT) | instid1(VALU_DEP_4)
	v_dual_mov_b32 v105, v87 :: v_dual_mov_b32 v89, v97
	v_dual_mov_b32 v91, v107 :: v_dual_mov_b32 v57, v99
	s_delay_alu instid0(VALU_DEP_2) | instskip(NEXT) | instid1(VALU_DEP_3)
	v_pk_add_f32 v[54:55], v[54:55], v[104:105] neg_lo:[0,1] neg_hi:[0,1]
	v_pk_add_f32 v[50:51], v[50:51], v[88:89] neg_lo:[0,1] neg_hi:[0,1]
	s_delay_alu instid0(VALU_DEP_3)
	v_pk_add_f32 v[52:53], v[52:53], v[90:91] neg_lo:[0,1] neg_hi:[0,1]
.LBB29_109:
	s_or_b32 exec_lo, exec_lo, s1
	s_delay_alu instid0(SALU_CYCLE_1)
	s_mov_b32 s2, exec_lo
	s_wait_dscnt 0x0
	s_barrier_signal -1
	s_barrier_wait -1
	v_cmpx_eq_u32_e32 12, v92
	s_cbranch_execz .LBB29_116
; %bb.110:
	ds_store_b64 v93, v[54:55]
	ds_store_2addr_b64 v94, v[50:51], v[52:53] offset0:13 offset1:14
	ds_load_b64 v[86:87], v93
	s_wait_dscnt 0x0
	v_cmp_neq_f32_e32 vcc_lo, 0, v86
	v_cmp_neq_f32_e64 s1, 0, v87
	s_or_b32 s1, vcc_lo, s1
	s_delay_alu instid0(SALU_CYCLE_1)
	s_and_b32 exec_lo, exec_lo, s1
	s_cbranch_execz .LBB29_116
; %bb.111:
	v_cmp_ngt_f32_e64 s1, |v86|, |v87|
                                        ; implicit-def: $vgpr88_vgpr89
	s_and_saveexec_b32 s4, s1
	s_delay_alu instid0(SALU_CYCLE_1)
	s_xor_b32 s1, exec_lo, s4
	s_cbranch_execz .LBB29_113
; %bb.112:
	v_div_scale_f32 v88, null, v87, v87, v86
	v_div_scale_f32 v91, vcc_lo, v86, v87, v86
	s_delay_alu instid0(VALU_DEP_2) | instskip(SKIP_1) | instid1(TRANS32_DEP_1)
	v_rcp_f32_e32 v89, v88
	v_nop
	v_fma_f32 v90, -v88, v89, 1.0
	s_delay_alu instid0(VALU_DEP_1) | instskip(NEXT) | instid1(VALU_DEP_1)
	v_fmac_f32_e32 v89, v90, v89
	v_mul_f32_e32 v90, v91, v89
	s_delay_alu instid0(VALU_DEP_1) | instskip(NEXT) | instid1(VALU_DEP_1)
	v_fma_f32 v95, -v88, v90, v91
	v_fmac_f32_e32 v90, v95, v89
	s_delay_alu instid0(VALU_DEP_1) | instskip(NEXT) | instid1(VALU_DEP_1)
	v_fma_f32 v88, -v88, v90, v91
	v_div_fmas_f32 v88, v88, v89, v90
	s_delay_alu instid0(VALU_DEP_1) | instskip(NEXT) | instid1(VALU_DEP_1)
	v_div_fixup_f32 v88, v88, v87, v86
	v_fmac_f32_e32 v87, v86, v88
	s_delay_alu instid0(VALU_DEP_1) | instskip(SKIP_1) | instid1(VALU_DEP_2)
	v_div_scale_f32 v86, null, v87, v87, 1.0
	v_div_scale_f32 v91, vcc_lo, 1.0, v87, 1.0
	v_rcp_f32_e32 v89, v86
	v_nop
	s_delay_alu instid0(TRANS32_DEP_1) | instskip(NEXT) | instid1(VALU_DEP_1)
	v_fma_f32 v90, -v86, v89, 1.0
	v_fmac_f32_e32 v89, v90, v89
	s_delay_alu instid0(VALU_DEP_1) | instskip(NEXT) | instid1(VALU_DEP_1)
	v_mul_f32_e32 v90, v91, v89
	v_fma_f32 v95, -v86, v90, v91
	s_delay_alu instid0(VALU_DEP_1) | instskip(NEXT) | instid1(VALU_DEP_1)
	v_fmac_f32_e32 v90, v95, v89
	v_fma_f32 v86, -v86, v90, v91
	s_delay_alu instid0(VALU_DEP_1) | instskip(NEXT) | instid1(VALU_DEP_1)
	v_div_fmas_f32 v86, v86, v89, v90
	v_div_fixup_f32 v86, v86, v87, 1.0
	s_delay_alu instid0(VALU_DEP_1)
	v_mul_f32_e32 v88, v88, v86
	v_xor_b32_e32 v89, 0x80000000, v86
                                        ; implicit-def: $vgpr86_vgpr87
.LBB29_113:
	s_and_not1_saveexec_b32 s1, s1
	s_cbranch_execz .LBB29_115
; %bb.114:
	v_div_scale_f32 v88, null, v86, v86, v87
	v_div_scale_f32 v91, vcc_lo, v87, v86, v87
	s_delay_alu instid0(VALU_DEP_2) | instskip(SKIP_1) | instid1(TRANS32_DEP_1)
	v_rcp_f32_e32 v89, v88
	v_nop
	v_fma_f32 v90, -v88, v89, 1.0
	s_delay_alu instid0(VALU_DEP_1) | instskip(NEXT) | instid1(VALU_DEP_1)
	v_fmac_f32_e32 v89, v90, v89
	v_mul_f32_e32 v90, v91, v89
	s_delay_alu instid0(VALU_DEP_1) | instskip(NEXT) | instid1(VALU_DEP_1)
	v_fma_f32 v95, -v88, v90, v91
	v_fmac_f32_e32 v90, v95, v89
	s_delay_alu instid0(VALU_DEP_1) | instskip(NEXT) | instid1(VALU_DEP_1)
	v_fma_f32 v88, -v88, v90, v91
	v_div_fmas_f32 v88, v88, v89, v90
	s_delay_alu instid0(VALU_DEP_1) | instskip(NEXT) | instid1(VALU_DEP_1)
	v_div_fixup_f32 v89, v88, v86, v87
	v_fmac_f32_e32 v86, v87, v89
	s_delay_alu instid0(VALU_DEP_1) | instskip(NEXT) | instid1(VALU_DEP_1)
	v_div_scale_f32 v87, null, v86, v86, 1.0
	v_rcp_f32_e32 v88, v87
	v_nop
	s_delay_alu instid0(TRANS32_DEP_1) | instskip(NEXT) | instid1(VALU_DEP_1)
	v_fma_f32 v90, -v87, v88, 1.0
	v_fmac_f32_e32 v88, v90, v88
	v_div_scale_f32 v90, vcc_lo, 1.0, v86, 1.0
	s_delay_alu instid0(VALU_DEP_1) | instskip(NEXT) | instid1(VALU_DEP_1)
	v_mul_f32_e32 v91, v90, v88
	v_fma_f32 v95, -v87, v91, v90
	s_delay_alu instid0(VALU_DEP_1) | instskip(NEXT) | instid1(VALU_DEP_1)
	v_fmac_f32_e32 v91, v95, v88
	v_fma_f32 v87, -v87, v91, v90
	s_delay_alu instid0(VALU_DEP_1) | instskip(NEXT) | instid1(VALU_DEP_1)
	v_div_fmas_f32 v87, v87, v88, v91
	v_div_fixup_f32 v88, v87, v86, 1.0
	s_delay_alu instid0(VALU_DEP_1)
	v_mul_f32_e64 v89, v89, -v88
.LBB29_115:
	s_or_b32 exec_lo, exec_lo, s1
	ds_store_b64 v93, v[88:89]
.LBB29_116:
	s_or_b32 exec_lo, exec_lo, s2
	s_wait_dscnt 0x0
	s_barrier_signal -1
	s_barrier_wait -1
	ds_load_b64 v[86:87], v93
	s_mov_b32 s1, exec_lo
	v_cmpx_lt_u32_e32 12, v92
	s_cbranch_execz .LBB29_118
; %bb.117:
	ds_load_2addr_b64 v[88:91], v94 offset0:13 offset1:14
	s_wait_dscnt 0x1
	v_pk_mul_f32 v[96:97], v[86:87], v[54:55] op_sel:[1,1] op_sel_hi:[0,1]
	s_delay_alu instid0(VALU_DEP_1) | instskip(SKIP_3) | instid1(VALU_DEP_3)
	v_pk_fma_f32 v[98:99], v[86:87], v[54:55], v[96:97] op_sel_hi:[1,0,1]
	v_pk_fma_f32 v[54:55], v[86:87], v[54:55], v[96:97] op_sel_hi:[1,0,1] neg_lo:[0,0,1] neg_hi:[0,0,1]
	s_wait_dscnt 0x0
	v_dual_mov_b32 v100, v91 :: v_dual_mov_b32 v101, v90
	v_pk_mul_f32 v[96:97], v[88:89], v[98:99] op_sel:[0,1]
	s_delay_alu instid0(VALU_DEP_2) | instskip(NEXT) | instid1(VALU_DEP_2)
	v_pk_mul_f32 v[100:101], v[100:101], v[98:99] op_sel:[0,1]
	v_pk_fma_f32 v[102:103], v[88:89], v[54:55], v[96:97] op_sel:[0,0,1] op_sel_hi:[1,0,0]
	v_pk_fma_f32 v[88:89], v[88:89], v[54:55], v[96:97] op_sel:[0,0,1] op_sel_hi:[1,1,0] neg_lo:[0,0,1] neg_hi:[0,0,1]
	s_delay_alu instid0(VALU_DEP_3) | instskip(SKIP_1) | instid1(VALU_DEP_4)
	v_pk_fma_f32 v[104:105], v[90:91], v[54:55], v[100:101] op_sel_hi:[1,0,1]
	v_pk_fma_f32 v[90:91], v[90:91], v[54:55], v[100:101] neg_lo:[0,0,1] neg_hi:[0,0,1]
	v_dual_mov_b32 v89, v103 :: v_dual_mov_b32 v55, v99
	s_delay_alu instid0(VALU_DEP_3) | instskip(NEXT) | instid1(VALU_DEP_2)
	v_mov_b32_e32 v91, v105
	v_pk_add_f32 v[50:51], v[50:51], v[88:89] neg_lo:[0,1] neg_hi:[0,1]
	s_delay_alu instid0(VALU_DEP_2)
	v_pk_add_f32 v[52:53], v[52:53], v[90:91] neg_lo:[0,1] neg_hi:[0,1]
.LBB29_118:
	s_or_b32 exec_lo, exec_lo, s1
	s_delay_alu instid0(SALU_CYCLE_1)
	s_mov_b32 s2, exec_lo
	s_wait_dscnt 0x0
	s_barrier_signal -1
	s_barrier_wait -1
	v_cmpx_eq_u32_e32 13, v92
	s_cbranch_execz .LBB29_125
; %bb.119:
	ds_store_b64 v93, v[50:51]
	ds_store_b64 v94, v[52:53] offset:112
	ds_load_b64 v[88:89], v93
	s_wait_dscnt 0x0
	v_cmp_neq_f32_e32 vcc_lo, 0, v88
	v_cmp_neq_f32_e64 s1, 0, v89
	s_or_b32 s1, vcc_lo, s1
	s_delay_alu instid0(SALU_CYCLE_1)
	s_and_b32 exec_lo, exec_lo, s1
	s_cbranch_execz .LBB29_125
; %bb.120:
	v_cmp_ngt_f32_e64 s1, |v88|, |v89|
                                        ; implicit-def: $vgpr90_vgpr91
	s_and_saveexec_b32 s4, s1
	s_delay_alu instid0(SALU_CYCLE_1)
	s_xor_b32 s1, exec_lo, s4
	s_cbranch_execz .LBB29_122
; %bb.121:
	v_div_scale_f32 v90, null, v89, v89, v88
	v_div_scale_f32 v96, vcc_lo, v88, v89, v88
	s_delay_alu instid0(VALU_DEP_2) | instskip(SKIP_1) | instid1(TRANS32_DEP_1)
	v_rcp_f32_e32 v91, v90
	v_nop
	v_fma_f32 v95, -v90, v91, 1.0
	s_delay_alu instid0(VALU_DEP_1) | instskip(NEXT) | instid1(VALU_DEP_1)
	v_fmac_f32_e32 v91, v95, v91
	v_mul_f32_e32 v95, v96, v91
	s_delay_alu instid0(VALU_DEP_1) | instskip(NEXT) | instid1(VALU_DEP_1)
	v_fma_f32 v97, -v90, v95, v96
	v_fmac_f32_e32 v95, v97, v91
	s_delay_alu instid0(VALU_DEP_1) | instskip(NEXT) | instid1(VALU_DEP_1)
	v_fma_f32 v90, -v90, v95, v96
	v_div_fmas_f32 v90, v90, v91, v95
	s_delay_alu instid0(VALU_DEP_1) | instskip(NEXT) | instid1(VALU_DEP_1)
	v_div_fixup_f32 v90, v90, v89, v88
	v_fmac_f32_e32 v89, v88, v90
	s_delay_alu instid0(VALU_DEP_1) | instskip(SKIP_1) | instid1(VALU_DEP_2)
	v_div_scale_f32 v88, null, v89, v89, 1.0
	v_div_scale_f32 v96, vcc_lo, 1.0, v89, 1.0
	v_rcp_f32_e32 v91, v88
	v_nop
	s_delay_alu instid0(TRANS32_DEP_1) | instskip(NEXT) | instid1(VALU_DEP_1)
	v_fma_f32 v95, -v88, v91, 1.0
	v_fmac_f32_e32 v91, v95, v91
	s_delay_alu instid0(VALU_DEP_1) | instskip(NEXT) | instid1(VALU_DEP_1)
	v_mul_f32_e32 v95, v96, v91
	v_fma_f32 v97, -v88, v95, v96
	s_delay_alu instid0(VALU_DEP_1) | instskip(NEXT) | instid1(VALU_DEP_1)
	v_fmac_f32_e32 v95, v97, v91
	v_fma_f32 v88, -v88, v95, v96
	s_delay_alu instid0(VALU_DEP_1) | instskip(NEXT) | instid1(VALU_DEP_1)
	v_div_fmas_f32 v88, v88, v91, v95
	v_div_fixup_f32 v88, v88, v89, 1.0
	s_delay_alu instid0(VALU_DEP_1)
	v_mul_f32_e32 v90, v90, v88
	v_xor_b32_e32 v91, 0x80000000, v88
                                        ; implicit-def: $vgpr88_vgpr89
.LBB29_122:
	s_and_not1_saveexec_b32 s1, s1
	s_cbranch_execz .LBB29_124
; %bb.123:
	v_div_scale_f32 v90, null, v88, v88, v89
	v_div_scale_f32 v96, vcc_lo, v89, v88, v89
	s_delay_alu instid0(VALU_DEP_2) | instskip(SKIP_1) | instid1(TRANS32_DEP_1)
	v_rcp_f32_e32 v91, v90
	v_nop
	v_fma_f32 v95, -v90, v91, 1.0
	s_delay_alu instid0(VALU_DEP_1) | instskip(NEXT) | instid1(VALU_DEP_1)
	v_fmac_f32_e32 v91, v95, v91
	v_mul_f32_e32 v95, v96, v91
	s_delay_alu instid0(VALU_DEP_1) | instskip(NEXT) | instid1(VALU_DEP_1)
	v_fma_f32 v97, -v90, v95, v96
	v_fmac_f32_e32 v95, v97, v91
	s_delay_alu instid0(VALU_DEP_1) | instskip(NEXT) | instid1(VALU_DEP_1)
	v_fma_f32 v90, -v90, v95, v96
	v_div_fmas_f32 v90, v90, v91, v95
	s_delay_alu instid0(VALU_DEP_1) | instskip(NEXT) | instid1(VALU_DEP_1)
	v_div_fixup_f32 v91, v90, v88, v89
	v_fmac_f32_e32 v88, v89, v91
	s_delay_alu instid0(VALU_DEP_1) | instskip(NEXT) | instid1(VALU_DEP_1)
	v_div_scale_f32 v89, null, v88, v88, 1.0
	v_rcp_f32_e32 v90, v89
	v_nop
	s_delay_alu instid0(TRANS32_DEP_1) | instskip(NEXT) | instid1(VALU_DEP_1)
	v_fma_f32 v95, -v89, v90, 1.0
	v_fmac_f32_e32 v90, v95, v90
	v_div_scale_f32 v95, vcc_lo, 1.0, v88, 1.0
	s_delay_alu instid0(VALU_DEP_1) | instskip(NEXT) | instid1(VALU_DEP_1)
	v_mul_f32_e32 v96, v95, v90
	v_fma_f32 v97, -v89, v96, v95
	s_delay_alu instid0(VALU_DEP_1) | instskip(NEXT) | instid1(VALU_DEP_1)
	v_fmac_f32_e32 v96, v97, v90
	v_fma_f32 v89, -v89, v96, v95
	s_delay_alu instid0(VALU_DEP_1) | instskip(NEXT) | instid1(VALU_DEP_1)
	v_div_fmas_f32 v89, v89, v90, v96
	v_div_fixup_f32 v90, v89, v88, 1.0
	s_delay_alu instid0(VALU_DEP_1)
	v_mul_f32_e64 v91, v91, -v90
.LBB29_124:
	s_or_b32 exec_lo, exec_lo, s1
	ds_store_b64 v93, v[90:91]
.LBB29_125:
	s_or_b32 exec_lo, exec_lo, s2
	s_wait_dscnt 0x0
	s_barrier_signal -1
	s_barrier_wait -1
	ds_load_b64 v[88:89], v93
	s_mov_b32 s1, exec_lo
	v_cmpx_lt_u32_e32 13, v92
	s_cbranch_execz .LBB29_127
; %bb.126:
	ds_load_b64 v[90:91], v94 offset:112
	s_wait_dscnt 0x1
	v_pk_mul_f32 v[94:95], v[88:89], v[50:51] op_sel:[1,1] op_sel_hi:[0,1]
	s_delay_alu instid0(VALU_DEP_1) | instskip(SKIP_2) | instid1(VALU_DEP_2)
	v_pk_fma_f32 v[96:97], v[88:89], v[50:51], v[94:95] op_sel_hi:[1,0,1]
	v_pk_fma_f32 v[50:51], v[88:89], v[50:51], v[94:95] op_sel_hi:[1,0,1] neg_lo:[0,0,1] neg_hi:[0,0,1]
	s_wait_dscnt 0x0
	v_pk_mul_f32 v[94:95], v[90:91], v[96:97] op_sel:[1,1] op_sel_hi:[0,1]
	s_delay_alu instid0(VALU_DEP_1) | instskip(SKIP_1) | instid1(VALU_DEP_2)
	v_pk_fma_f32 v[98:99], v[90:91], v[50:51], v[94:95] op_sel_hi:[1,0,1]
	v_pk_fma_f32 v[90:91], v[90:91], v[50:51], v[94:95] neg_lo:[0,0,1] neg_hi:[0,0,1]
	v_dual_mov_b32 v51, v97 :: v_dual_mov_b32 v91, v99
	s_delay_alu instid0(VALU_DEP_1)
	v_pk_add_f32 v[52:53], v[52:53], v[90:91] neg_lo:[0,1] neg_hi:[0,1]
.LBB29_127:
	s_or_b32 exec_lo, exec_lo, s1
	s_delay_alu instid0(SALU_CYCLE_1)
	s_mov_b32 s2, exec_lo
	s_wait_dscnt 0x0
	s_barrier_signal -1
	s_barrier_wait -1
	v_cmpx_eq_u32_e32 14, v92
	s_cbranch_execz .LBB29_134
; %bb.128:
	v_cmp_neq_f32_e32 vcc_lo, 0, v52
	v_cmp_neq_f32_e64 s1, 0, v53
	ds_store_b64 v93, v[52:53]
	s_or_b32 s1, vcc_lo, s1
	s_delay_alu instid0(SALU_CYCLE_1)
	s_and_b32 exec_lo, exec_lo, s1
	s_cbranch_execz .LBB29_134
; %bb.129:
	v_cmp_ngt_f32_e64 s1, |v52|, |v53|
                                        ; implicit-def: $vgpr90_vgpr91
	s_and_saveexec_b32 s4, s1
	s_delay_alu instid0(SALU_CYCLE_1)
	s_xor_b32 s1, exec_lo, s4
	s_cbranch_execz .LBB29_131
; %bb.130:
	v_div_scale_f32 v90, null, v53, v53, v52
	v_div_scale_f32 v95, vcc_lo, v52, v53, v52
	s_delay_alu instid0(VALU_DEP_2) | instskip(SKIP_1) | instid1(TRANS32_DEP_1)
	v_rcp_f32_e32 v91, v90
	v_nop
	v_fma_f32 v94, -v90, v91, 1.0
	s_delay_alu instid0(VALU_DEP_1) | instskip(NEXT) | instid1(VALU_DEP_1)
	v_fmac_f32_e32 v91, v94, v91
	v_mul_f32_e32 v94, v95, v91
	s_delay_alu instid0(VALU_DEP_1) | instskip(NEXT) | instid1(VALU_DEP_1)
	v_fma_f32 v96, -v90, v94, v95
	v_fmac_f32_e32 v94, v96, v91
	s_delay_alu instid0(VALU_DEP_1) | instskip(NEXT) | instid1(VALU_DEP_1)
	v_fma_f32 v90, -v90, v94, v95
	v_div_fmas_f32 v90, v90, v91, v94
	s_delay_alu instid0(VALU_DEP_1) | instskip(NEXT) | instid1(VALU_DEP_1)
	v_div_fixup_f32 v90, v90, v53, v52
	v_fma_f32 v91, v52, v90, v53
	s_delay_alu instid0(VALU_DEP_1) | instskip(SKIP_1) | instid1(VALU_DEP_2)
	v_div_scale_f32 v94, null, v91, v91, 1.0
	v_div_scale_f32 v97, vcc_lo, 1.0, v91, 1.0
	v_rcp_f32_e32 v95, v94
	v_nop
	s_delay_alu instid0(TRANS32_DEP_1) | instskip(NEXT) | instid1(VALU_DEP_1)
	v_fma_f32 v96, -v94, v95, 1.0
	v_fmac_f32_e32 v95, v96, v95
	s_delay_alu instid0(VALU_DEP_1) | instskip(NEXT) | instid1(VALU_DEP_1)
	v_mul_f32_e32 v96, v97, v95
	v_fma_f32 v98, -v94, v96, v97
	s_delay_alu instid0(VALU_DEP_1) | instskip(NEXT) | instid1(VALU_DEP_1)
	v_fmac_f32_e32 v96, v98, v95
	v_fma_f32 v94, -v94, v96, v97
	s_delay_alu instid0(VALU_DEP_1) | instskip(NEXT) | instid1(VALU_DEP_1)
	v_div_fmas_f32 v94, v94, v95, v96
	v_div_fixup_f32 v91, v94, v91, 1.0
	s_delay_alu instid0(VALU_DEP_1)
	v_mul_f32_e32 v90, v90, v91
	v_xor_b32_e32 v91, 0x80000000, v91
.LBB29_131:
	s_and_not1_saveexec_b32 s1, s1
	s_cbranch_execz .LBB29_133
; %bb.132:
	v_div_scale_f32 v90, null, v52, v52, v53
	v_div_scale_f32 v95, vcc_lo, v53, v52, v53
	s_delay_alu instid0(VALU_DEP_2) | instskip(SKIP_1) | instid1(TRANS32_DEP_1)
	v_rcp_f32_e32 v91, v90
	v_nop
	v_fma_f32 v94, -v90, v91, 1.0
	s_delay_alu instid0(VALU_DEP_1) | instskip(NEXT) | instid1(VALU_DEP_1)
	v_fmac_f32_e32 v91, v94, v91
	v_mul_f32_e32 v94, v95, v91
	s_delay_alu instid0(VALU_DEP_1) | instskip(NEXT) | instid1(VALU_DEP_1)
	v_fma_f32 v96, -v90, v94, v95
	v_fmac_f32_e32 v94, v96, v91
	s_delay_alu instid0(VALU_DEP_1) | instskip(NEXT) | instid1(VALU_DEP_1)
	v_fma_f32 v90, -v90, v94, v95
	v_div_fmas_f32 v90, v90, v91, v94
	s_delay_alu instid0(VALU_DEP_1) | instskip(NEXT) | instid1(VALU_DEP_1)
	v_div_fixup_f32 v91, v90, v52, v53
	v_fma_f32 v90, v53, v91, v52
	s_delay_alu instid0(VALU_DEP_1) | instskip(NEXT) | instid1(VALU_DEP_1)
	v_div_scale_f32 v94, null, v90, v90, 1.0
	v_rcp_f32_e32 v95, v94
	v_nop
	s_delay_alu instid0(TRANS32_DEP_1) | instskip(NEXT) | instid1(VALU_DEP_1)
	v_fma_f32 v96, -v94, v95, 1.0
	v_fmac_f32_e32 v95, v96, v95
	v_div_scale_f32 v96, vcc_lo, 1.0, v90, 1.0
	s_delay_alu instid0(VALU_DEP_1) | instskip(NEXT) | instid1(VALU_DEP_1)
	v_mul_f32_e32 v97, v96, v95
	v_fma_f32 v98, -v94, v97, v96
	s_delay_alu instid0(VALU_DEP_1) | instskip(NEXT) | instid1(VALU_DEP_1)
	v_fmac_f32_e32 v97, v98, v95
	v_fma_f32 v94, -v94, v97, v96
	s_delay_alu instid0(VALU_DEP_1) | instskip(NEXT) | instid1(VALU_DEP_1)
	v_div_fmas_f32 v94, v94, v95, v97
	v_div_fixup_f32 v90, v94, v90, 1.0
	s_delay_alu instid0(VALU_DEP_1)
	v_mul_f32_e64 v91, v91, -v90
.LBB29_133:
	s_or_b32 exec_lo, exec_lo, s1
	ds_store_b64 v93, v[90:91]
.LBB29_134:
	s_or_b32 exec_lo, exec_lo, s2
	s_wait_dscnt 0x0
	s_barrier_signal -1
	s_barrier_wait -1
	ds_load_b64 v[90:91], v93
	s_wait_dscnt 0x0
	s_barrier_signal -1
	s_barrier_wait -1
	s_and_saveexec_b32 s4, s0
	s_cbranch_execz .LBB29_137
; %bb.135:
	v_lshl_add_u64 v[2:3], v[2:3], 2, s[6:7]
	v_cmp_eq_f32_e32 vcc_lo, 0, v62
	v_cmp_eq_f32_e64 s0, 0, v63
	v_cmp_neq_f32_e64 s1, 0, v64
	v_cmp_neq_f32_e64 s2, 0, v65
	global_load_b32 v93, v[2:3], off
	s_and_b32 s0, vcc_lo, s0
	s_delay_alu instid0(SALU_CYCLE_1) | instskip(SKIP_1) | instid1(SALU_CYCLE_1)
	v_cndmask_b32_e64 v62, 0, 1, s0
	s_or_b32 s1, s1, s2
	s_or_b32 vcc_lo, s1, s0
	v_cmp_eq_f32_e64 s0, 0, v67
	s_delay_alu instid0(VALU_DEP_2) | instskip(SKIP_1) | instid1(VALU_DEP_2)
	v_cndmask_b32_e32 v62, 2, v62, vcc_lo
	v_cmp_eq_f32_e32 vcc_lo, 0, v66
	v_cmp_eq_u32_e64 s1, 0, v62
	s_and_b32 s0, vcc_lo, s0
	v_cmp_eq_f32_e32 vcc_lo, 0, v68
	s_and_b32 s0, s0, s1
	s_delay_alu instid0(SALU_CYCLE_1) | instskip(SKIP_1) | instid1(VALU_DEP_2)
	v_cndmask_b32_e64 v62, v62, 3, s0
	v_cmp_eq_f32_e64 s0, 0, v69
	v_cmp_eq_u32_e64 s1, 0, v62
	s_and_b32 s0, vcc_lo, s0
	v_cmp_eq_f32_e32 vcc_lo, 0, v70
	s_and_b32 s0, s0, s1
	s_delay_alu instid0(SALU_CYCLE_1) | instskip(SKIP_1) | instid1(VALU_DEP_2)
	v_cndmask_b32_e64 v62, v62, 4, s0
	v_cmp_eq_f32_e64 s0, 0, v71
	;; [unrolled: 7-line block ×12, first 2 shown]
	v_cmp_eq_u32_e64 s1, 0, v62
	s_and_b32 s0, vcc_lo, s0
	s_delay_alu instid0(SALU_CYCLE_1) | instskip(NEXT) | instid1(SALU_CYCLE_1)
	s_and_b32 s0, s0, s1
	v_cndmask_b32_e64 v62, v62, 15, s0
	s_delay_alu instid0(VALU_DEP_1) | instskip(SKIP_3) | instid1(SALU_CYCLE_1)
	v_cmp_ne_u32_e64 s0, 0, v62
	s_wait_loadcnt 0x0
	v_cmp_eq_u32_e32 vcc_lo, 0, v93
	s_and_b32 s0, vcc_lo, s0
	s_and_b32 exec_lo, exec_lo, s0
	s_cbranch_execz .LBB29_137
; %bb.136:
	v_add_nc_u32_e32 v62, s3, v62
	global_store_b32 v[2:3], v62, off
.LBB29_137:
	s_wait_xcnt 0x0
	s_or_b32 exec_lo, exec_lo, s4
	v_pk_mul_f32 v[2:3], v[90:91], v[52:53] op_sel:[1,1] op_sel_hi:[0,1]
	s_clause 0x1
	global_store_b64 v[18:19], v[58:59], off
	global_store_b64 v[38:39], v[60:61], off
	v_cmp_lt_u32_e32 vcc_lo, 14, v92
	s_clause 0x2
	global_store_b64 v[6:7], v[48:49], off
	global_store_b64 v[14:15], v[46:47], off
	;; [unrolled: 1-line block ×3, first 2 shown]
	s_wait_xcnt 0x4
	v_pk_fma_f32 v[18:19], v[90:91], v[52:53], v[2:3] op_sel_hi:[1,0,1]
	v_pk_fma_f32 v[2:3], v[90:91], v[52:53], v[2:3] neg_lo:[0,0,1] neg_hi:[0,0,1]
	s_delay_alu instid0(VALU_DEP_1)
	v_dual_cndmask_b32 v3, v53, v19 :: v_dual_cndmask_b32 v2, v52, v2
	s_clause 0x9
	global_store_b64 v[0:1], v[24:25], off
	global_store_b64 v[4:5], v[26:27], off
	;; [unrolled: 1-line block ×10, first 2 shown]
.LBB29_138:
	s_sendmsg sendmsg(MSG_DEALLOC_VGPRS)
	s_endpgm
	.section	.rodata,"a",@progbits
	.p2align	6, 0x0
	.amdhsa_kernel _ZN9rocsolver6v33100L23getf2_npvt_small_kernelILi15E19rocblas_complex_numIfEiiPS3_EEvT1_T3_lS5_lPT2_S5_S5_
		.amdhsa_group_segment_fixed_size 0
		.amdhsa_private_segment_fixed_size 0
		.amdhsa_kernarg_size 312
		.amdhsa_user_sgpr_count 2
		.amdhsa_user_sgpr_dispatch_ptr 0
		.amdhsa_user_sgpr_queue_ptr 0
		.amdhsa_user_sgpr_kernarg_segment_ptr 1
		.amdhsa_user_sgpr_dispatch_id 0
		.amdhsa_user_sgpr_kernarg_preload_length 0
		.amdhsa_user_sgpr_kernarg_preload_offset 0
		.amdhsa_user_sgpr_private_segment_size 0
		.amdhsa_wavefront_size32 1
		.amdhsa_uses_dynamic_stack 0
		.amdhsa_enable_private_segment 0
		.amdhsa_system_sgpr_workgroup_id_x 1
		.amdhsa_system_sgpr_workgroup_id_y 1
		.amdhsa_system_sgpr_workgroup_id_z 0
		.amdhsa_system_sgpr_workgroup_info 0
		.amdhsa_system_vgpr_workitem_id 1
		.amdhsa_next_free_vgpr 114
		.amdhsa_next_free_sgpr 15
		.amdhsa_named_barrier_count 0
		.amdhsa_reserve_vcc 1
		.amdhsa_float_round_mode_32 0
		.amdhsa_float_round_mode_16_64 0
		.amdhsa_float_denorm_mode_32 3
		.amdhsa_float_denorm_mode_16_64 3
		.amdhsa_fp16_overflow 0
		.amdhsa_memory_ordered 1
		.amdhsa_forward_progress 1
		.amdhsa_inst_pref_size 131
		.amdhsa_round_robin_scheduling 0
		.amdhsa_exception_fp_ieee_invalid_op 0
		.amdhsa_exception_fp_denorm_src 0
		.amdhsa_exception_fp_ieee_div_zero 0
		.amdhsa_exception_fp_ieee_overflow 0
		.amdhsa_exception_fp_ieee_underflow 0
		.amdhsa_exception_fp_ieee_inexact 0
		.amdhsa_exception_int_div_zero 0
	.end_amdhsa_kernel
	.section	.text._ZN9rocsolver6v33100L23getf2_npvt_small_kernelILi15E19rocblas_complex_numIfEiiPS3_EEvT1_T3_lS5_lPT2_S5_S5_,"axG",@progbits,_ZN9rocsolver6v33100L23getf2_npvt_small_kernelILi15E19rocblas_complex_numIfEiiPS3_EEvT1_T3_lS5_lPT2_S5_S5_,comdat
.Lfunc_end29:
	.size	_ZN9rocsolver6v33100L23getf2_npvt_small_kernelILi15E19rocblas_complex_numIfEiiPS3_EEvT1_T3_lS5_lPT2_S5_S5_, .Lfunc_end29-_ZN9rocsolver6v33100L23getf2_npvt_small_kernelILi15E19rocblas_complex_numIfEiiPS3_EEvT1_T3_lS5_lPT2_S5_S5_
                                        ; -- End function
	.set _ZN9rocsolver6v33100L23getf2_npvt_small_kernelILi15E19rocblas_complex_numIfEiiPS3_EEvT1_T3_lS5_lPT2_S5_S5_.num_vgpr, 114
	.set _ZN9rocsolver6v33100L23getf2_npvt_small_kernelILi15E19rocblas_complex_numIfEiiPS3_EEvT1_T3_lS5_lPT2_S5_S5_.num_agpr, 0
	.set _ZN9rocsolver6v33100L23getf2_npvt_small_kernelILi15E19rocblas_complex_numIfEiiPS3_EEvT1_T3_lS5_lPT2_S5_S5_.numbered_sgpr, 15
	.set _ZN9rocsolver6v33100L23getf2_npvt_small_kernelILi15E19rocblas_complex_numIfEiiPS3_EEvT1_T3_lS5_lPT2_S5_S5_.num_named_barrier, 0
	.set _ZN9rocsolver6v33100L23getf2_npvt_small_kernelILi15E19rocblas_complex_numIfEiiPS3_EEvT1_T3_lS5_lPT2_S5_S5_.private_seg_size, 0
	.set _ZN9rocsolver6v33100L23getf2_npvt_small_kernelILi15E19rocblas_complex_numIfEiiPS3_EEvT1_T3_lS5_lPT2_S5_S5_.uses_vcc, 1
	.set _ZN9rocsolver6v33100L23getf2_npvt_small_kernelILi15E19rocblas_complex_numIfEiiPS3_EEvT1_T3_lS5_lPT2_S5_S5_.uses_flat_scratch, 0
	.set _ZN9rocsolver6v33100L23getf2_npvt_small_kernelILi15E19rocblas_complex_numIfEiiPS3_EEvT1_T3_lS5_lPT2_S5_S5_.has_dyn_sized_stack, 0
	.set _ZN9rocsolver6v33100L23getf2_npvt_small_kernelILi15E19rocblas_complex_numIfEiiPS3_EEvT1_T3_lS5_lPT2_S5_S5_.has_recursion, 0
	.set _ZN9rocsolver6v33100L23getf2_npvt_small_kernelILi15E19rocblas_complex_numIfEiiPS3_EEvT1_T3_lS5_lPT2_S5_S5_.has_indirect_call, 0
	.section	.AMDGPU.csdata,"",@progbits
; Kernel info:
; codeLenInByte = 16760
; TotalNumSgprs: 17
; NumVgprs: 114
; ScratchSize: 0
; MemoryBound: 0
; FloatMode: 240
; IeeeMode: 1
; LDSByteSize: 0 bytes/workgroup (compile time only)
; SGPRBlocks: 0
; VGPRBlocks: 7
; NumSGPRsForWavesPerEU: 17
; NumVGPRsForWavesPerEU: 114
; NamedBarCnt: 0
; Occupancy: 8
; WaveLimiterHint : 0
; COMPUTE_PGM_RSRC2:SCRATCH_EN: 0
; COMPUTE_PGM_RSRC2:USER_SGPR: 2
; COMPUTE_PGM_RSRC2:TRAP_HANDLER: 0
; COMPUTE_PGM_RSRC2:TGID_X_EN: 1
; COMPUTE_PGM_RSRC2:TGID_Y_EN: 1
; COMPUTE_PGM_RSRC2:TGID_Z_EN: 0
; COMPUTE_PGM_RSRC2:TIDIG_COMP_CNT: 1
	.section	.text._ZN9rocsolver6v33100L18getf2_small_kernelILi16E19rocblas_complex_numIfEiiPS3_EEvT1_T3_lS5_lPS5_llPT2_S5_S5_S7_l,"axG",@progbits,_ZN9rocsolver6v33100L18getf2_small_kernelILi16E19rocblas_complex_numIfEiiPS3_EEvT1_T3_lS5_lPS5_llPT2_S5_S5_S7_l,comdat
	.globl	_ZN9rocsolver6v33100L18getf2_small_kernelILi16E19rocblas_complex_numIfEiiPS3_EEvT1_T3_lS5_lPS5_llPT2_S5_S5_S7_l ; -- Begin function _ZN9rocsolver6v33100L18getf2_small_kernelILi16E19rocblas_complex_numIfEiiPS3_EEvT1_T3_lS5_lPS5_llPT2_S5_S5_S7_l
	.p2align	8
	.type	_ZN9rocsolver6v33100L18getf2_small_kernelILi16E19rocblas_complex_numIfEiiPS3_EEvT1_T3_lS5_lPS5_llPT2_S5_S5_S7_l,@function
_ZN9rocsolver6v33100L18getf2_small_kernelILi16E19rocblas_complex_numIfEiiPS3_EEvT1_T3_lS5_lPS5_llPT2_S5_S5_S7_l: ; @_ZN9rocsolver6v33100L18getf2_small_kernelILi16E19rocblas_complex_numIfEiiPS3_EEvT1_T3_lS5_lPS5_llPT2_S5_S5_S7_l
; %bb.0:
	s_clause 0x1
	s_load_u16 s2, s[0:1], 0x6e
	s_load_b64 s[12:13], s[0:1], 0x48
	s_bfe_u32 s3, ttmp6, 0x40010
	s_bfe_u32 s4, ttmp6, 0x40004
	s_add_co_i32 s3, s3, 1
	s_getreg_b32 s5, hwreg(HW_REG_IB_STS2, 6, 4)
	s_mul_i32 s3, ttmp7, s3
	v_bfe_u32 v40, v0, 10, 10
	s_add_co_i32 s4, s4, s3
	s_cmp_eq_u32 s5, 0
	s_cselect_b32 s3, ttmp7, s4
	s_wait_kmcnt 0x0
	v_mad_u32 v2, s3, s2, v40
	s_mov_b32 s2, exec_lo
	s_delay_alu instid0(VALU_DEP_1)
	v_cmpx_gt_i32_e64 s12, v2
	s_cbranch_execz .LBB30_337
; %bb.1:
	s_load_b128 s[4:7], s[0:1], 0x50
	v_mov_b64_e32 v[32:33], 0
	v_ashrrev_i32_e32 v3, 31, v2
	s_wait_kmcnt 0x0
	s_cmp_eq_u64 s[4:5], 0
	s_cselect_b32 s12, -1, 0
	s_delay_alu instid0(SALU_CYCLE_1)
	s_and_b32 vcc_lo, exec_lo, s12
	s_cbranch_vccnz .LBB30_3
; %bb.2:
	v_mul_u64_e32 v[4:5], s[6:7], v[2:3]
	s_delay_alu instid0(VALU_DEP_1)
	v_lshl_add_u64 v[32:33], v[4:5], 2, s[4:5]
.LBB30_3:
	s_clause 0x1
	s_load_b256 s[4:11], s[0:1], 0x20
	s_load_b32 s2, s[0:1], 0x18
	v_and_b32_e32 v44, 0x3ff, v0
	s_clause 0x1
	s_load_b128 s[16:19], s[0:1], 0x8
	s_load_b32 s14, s[0:1], 0x0
	v_mov_b32_e32 v39, 0
	s_wait_kmcnt 0x0
	v_mul_u64_e32 v[0:1], s[4:5], v[2:3]
	v_add3_u32 v4, s2, s2, v44
	s_ashr_i32 s3, s2, 31
	s_max_i32 s4, s14, 16
	s_cmp_lt_i32 s14, 2
	s_delay_alu instid0(VALU_DEP_1) | instskip(NEXT) | instid1(VALU_DEP_1)
	v_add_nc_u32_e32 v6, s2, v4
	v_add_nc_u32_e32 v8, s2, v6
	s_delay_alu instid0(VALU_DEP_1) | instskip(NEXT) | instid1(VALU_DEP_1)
	v_add_nc_u32_e32 v10, s2, v8
	v_dual_add_nc_u32 v12, s2, v10 :: v_dual_ashrrev_i32 v5, 31, v4
	v_ashrrev_i32_e32 v7, 31, v6
	s_delay_alu instid0(VALU_DEP_2) | instskip(SKIP_1) | instid1(VALU_DEP_2)
	v_dual_ashrrev_i32 v11, 31, v10 :: v_dual_add_nc_u32 v14, s2, v12
	v_lshlrev_b32_e32 v38, 3, v44
	v_dual_ashrrev_i32 v9, 31, v8 :: v_dual_add_nc_u32 v16, s2, v14
	v_lshl_add_u64 v[0:1], v[0:1], 3, s[16:17]
	s_delay_alu instid0(VALU_DEP_2) | instskip(SKIP_1) | instid1(VALU_DEP_3)
	v_dual_ashrrev_i32 v15, 31, v14 :: v_dual_add_nc_u32 v18, s2, v16
	v_ashrrev_i32_e32 v13, 31, v12
	v_lshl_add_u64 v[0:1], s[18:19], 3, v[0:1]
	s_delay_alu instid0(VALU_DEP_3) | instskip(SKIP_1) | instid1(VALU_DEP_3)
	v_dual_ashrrev_i32 v17, 31, v16 :: v_dual_ashrrev_i32 v19, 31, v18
	v_add_nc_u32_e32 v20, s2, v18
	v_add_nc_u64_e32 v[22:23], v[0:1], v[38:39]
	s_delay_alu instid0(VALU_DEP_3)
	v_lshl_add_u64 v[48:49], v[16:17], 3, v[0:1]
	v_lshl_add_u64 v[4:5], v[4:5], 3, v[0:1]
	;; [unrolled: 1-line block ×3, first 2 shown]
	v_dual_add_nc_u32 v36, s2, v20 :: v_dual_ashrrev_i32 v21, 31, v20
	v_lshl_add_u64 v[42:43], v[8:9], 3, v[0:1]
	v_lshl_add_u64 v[24:25], s[2:3], 3, v[22:23]
	;; [unrolled: 1-line block ×3, first 2 shown]
	s_delay_alu instid0(VALU_DEP_4)
	v_dual_add_nc_u32 v46, s2, v36 :: v_dual_ashrrev_i32 v37, 31, v36
	s_clause 0x3
	global_load_b64 v[28:29], v[24:25], off
	global_load_b64 v[30:31], v[4:5], off
	;; [unrolled: 1-line block ×4, first 2 shown]
	v_lshl_add_u64 v[12:13], v[12:13], 3, v[0:1]
	v_add_nc_u32_e32 v16, s2, v46
	v_lshl_add_u64 v[14:15], v[14:15], 3, v[0:1]
	s_clause 0x3
	global_load_b64 v[26:27], v[42:43], off
	global_load_b64 v[22:23], v[10:11], off
	;; [unrolled: 1-line block ×4, first 2 shown]
	v_dual_ashrrev_i32 v47, 31, v46 :: v_dual_add_nc_u32 v4, s2, v16
	v_lshl_add_u64 v[50:51], v[18:19], 3, v[0:1]
	s_wait_xcnt 0x3
	v_lshl_add_u64 v[42:43], v[20:21], 3, v[0:1]
	v_lshl_add_u64 v[52:53], v[36:37], 3, v[0:1]
	;; [unrolled: 1-line block ×3, first 2 shown]
	s_wait_xcnt 0x2
	v_add_nc_u32_e32 v10, s2, v4
	v_ashrrev_i32_e32 v17, 31, v16
	s_delay_alu instid0(VALU_DEP_2) | instskip(NEXT) | instid1(VALU_DEP_2)
	v_dual_ashrrev_i32 v5, 31, v4 :: v_dual_ashrrev_i32 v11, 31, v10
	v_lshl_add_u64 v[54:55], v[16:17], 3, v[0:1]
	s_delay_alu instid0(VALU_DEP_2) | instskip(NEXT) | instid1(VALU_DEP_3)
	v_lshl_add_u64 v[56:57], v[4:5], 3, v[0:1]
	v_lshl_add_u64 v[58:59], v[10:11], 3, v[0:1]
	s_clause 0x7
	global_load_b64 v[20:21], v[48:49], off
	global_load_b64 v[16:17], v[50:51], off
	;; [unrolled: 1-line block ×8, first 2 shown]
	s_wait_xcnt 0x5
	v_mul_lo_u32 v43, s4, v40
	s_load_b64 s[4:5], s[0:1], 0x40
	s_delay_alu instid0(VALU_DEP_1) | instskip(NEXT) | instid1(VALU_DEP_1)
	v_lshl_add_u32 v42, v43, 3, 0
	v_dual_lshlrev_b32 v43, 3, v43 :: v_dual_add_nc_u32 v38, v42, v38
	s_wait_loadcnt 0xc
	ds_store_b64 v38, v[34:35]
	s_wait_loadcnt_dscnt 0x0
	s_barrier_signal -1
	s_barrier_wait -1
	ds_load_b64 v[40:41], v42
	s_cbranch_scc1 .LBB30_6
; %bb.4:
	v_add3_u32 v38, v43, 0, 8
	v_mov_b32_e32 v39, 0
	s_wait_xcnt 0x0
	s_mov_b32 s0, 1
.LBB30_5:                               ; =>This Inner Loop Header: Depth=1
	ds_load_b64 v[46:47], v38
	s_wait_dscnt 0x1
	v_cmp_gt_f32_e32 vcc_lo, 0, v40
	v_cndmask_b32_e64 v48, v40, -v40, vcc_lo
	v_cmp_gt_f32_e32 vcc_lo, 0, v41
	v_cndmask_b32_e64 v50, v41, -v41, vcc_lo
	s_wait_dscnt 0x0
	v_cmp_gt_f32_e32 vcc_lo, 0, v46
	v_cndmask_b32_e64 v49, v46, -v46, vcc_lo
	v_cmp_gt_f32_e32 vcc_lo, 0, v47
	v_cndmask_b32_e64 v51, v47, -v47, vcc_lo
	s_delay_alu instid0(VALU_DEP_1) | instskip(NEXT) | instid1(VALU_DEP_1)
	v_pk_add_f32 v[48:49], v[48:49], v[50:51]
	v_cmp_lt_f32_e32 vcc_lo, v48, v49
	v_dual_cndmask_b32 v41, v41, v47 :: v_dual_add_nc_u32 v38, 8, v38
	v_cndmask_b32_e32 v40, v40, v46, vcc_lo
	v_cndmask_b32_e64 v39, v39, s0, vcc_lo
	s_add_co_i32 s0, s0, 1
	s_delay_alu instid0(SALU_CYCLE_1)
	s_cmp_eq_u32 s14, s0
	s_cbranch_scc0 .LBB30_5
.LBB30_6:
	s_wait_dscnt 0x0
	v_cmp_neq_f32_e32 vcc_lo, 0, v40
	s_wait_xcnt 0x0
	v_cmp_neq_f32_e64 s0, 0, v41
	v_dual_mov_b32 v45, 1 :: v_dual_mov_b32 v47, 1
	s_or_b32 s1, vcc_lo, s0
	s_delay_alu instid0(SALU_CYCLE_1)
	s_and_saveexec_b32 s0, s1
	s_cbranch_execz .LBB30_12
; %bb.7:
	v_cmp_ngt_f32_e64 s1, |v40|, |v41|
	s_and_saveexec_b32 s15, s1
	s_delay_alu instid0(SALU_CYCLE_1)
	s_xor_b32 s1, exec_lo, s15
	s_cbranch_execz .LBB30_9
; %bb.8:
	v_div_scale_f32 v38, null, v41, v41, v40
	v_div_scale_f32 v47, vcc_lo, v40, v41, v40
	s_delay_alu instid0(VALU_DEP_2) | instskip(SKIP_1) | instid1(TRANS32_DEP_1)
	v_rcp_f32_e32 v45, v38
	v_nop
	v_fma_f32 v46, -v38, v45, 1.0
	s_delay_alu instid0(VALU_DEP_1) | instskip(NEXT) | instid1(VALU_DEP_1)
	v_fmac_f32_e32 v45, v46, v45
	v_mul_f32_e32 v46, v47, v45
	s_delay_alu instid0(VALU_DEP_1) | instskip(NEXT) | instid1(VALU_DEP_1)
	v_fma_f32 v48, -v38, v46, v47
	v_fmac_f32_e32 v46, v48, v45
	s_delay_alu instid0(VALU_DEP_1) | instskip(NEXT) | instid1(VALU_DEP_1)
	v_fma_f32 v38, -v38, v46, v47
	v_div_fmas_f32 v38, v38, v45, v46
	s_delay_alu instid0(VALU_DEP_1) | instskip(NEXT) | instid1(VALU_DEP_1)
	v_div_fixup_f32 v38, v38, v41, v40
	v_fmac_f32_e32 v41, v40, v38
	s_delay_alu instid0(VALU_DEP_1) | instskip(SKIP_1) | instid1(VALU_DEP_2)
	v_div_scale_f32 v40, null, v41, v41, 1.0
	v_div_scale_f32 v47, vcc_lo, 1.0, v41, 1.0
	v_rcp_f32_e32 v45, v40
	v_nop
	s_delay_alu instid0(TRANS32_DEP_1) | instskip(NEXT) | instid1(VALU_DEP_1)
	v_fma_f32 v46, -v40, v45, 1.0
	v_fmac_f32_e32 v45, v46, v45
	s_delay_alu instid0(VALU_DEP_1) | instskip(NEXT) | instid1(VALU_DEP_1)
	v_mul_f32_e32 v46, v47, v45
	v_fma_f32 v48, -v40, v46, v47
	s_delay_alu instid0(VALU_DEP_1) | instskip(NEXT) | instid1(VALU_DEP_1)
	v_fmac_f32_e32 v46, v48, v45
	v_fma_f32 v40, -v40, v46, v47
	s_delay_alu instid0(VALU_DEP_1) | instskip(NEXT) | instid1(VALU_DEP_1)
	v_div_fmas_f32 v40, v40, v45, v46
	v_div_fixup_f32 v41, v40, v41, 1.0
	s_delay_alu instid0(VALU_DEP_1)
	v_mul_f32_e32 v40, v38, v41
	v_xor_b32_e32 v41, 0x80000000, v41
.LBB30_9:
	s_and_not1_saveexec_b32 s1, s1
	s_cbranch_execz .LBB30_11
; %bb.10:
	s_delay_alu instid0(VALU_DEP_1) | instskip(SKIP_1) | instid1(VALU_DEP_2)
	v_div_scale_f32 v38, null, v40, v40, v41
	v_div_scale_f32 v47, vcc_lo, v41, v40, v41
	v_rcp_f32_e32 v45, v38
	v_nop
	s_delay_alu instid0(TRANS32_DEP_1) | instskip(NEXT) | instid1(VALU_DEP_1)
	v_fma_f32 v46, -v38, v45, 1.0
	v_fmac_f32_e32 v45, v46, v45
	s_delay_alu instid0(VALU_DEP_1) | instskip(NEXT) | instid1(VALU_DEP_1)
	v_mul_f32_e32 v46, v47, v45
	v_fma_f32 v48, -v38, v46, v47
	s_delay_alu instid0(VALU_DEP_1) | instskip(NEXT) | instid1(VALU_DEP_1)
	v_fmac_f32_e32 v46, v48, v45
	v_fma_f32 v38, -v38, v46, v47
	s_delay_alu instid0(VALU_DEP_1) | instskip(NEXT) | instid1(VALU_DEP_1)
	v_div_fmas_f32 v38, v38, v45, v46
	v_div_fixup_f32 v38, v38, v40, v41
	s_delay_alu instid0(VALU_DEP_1) | instskip(NEXT) | instid1(VALU_DEP_1)
	v_fmac_f32_e32 v40, v41, v38
	v_div_scale_f32 v41, null, v40, v40, 1.0
	s_delay_alu instid0(VALU_DEP_1) | instskip(SKIP_1) | instid1(TRANS32_DEP_1)
	v_rcp_f32_e32 v45, v41
	v_nop
	v_fma_f32 v46, -v41, v45, 1.0
	s_delay_alu instid0(VALU_DEP_1) | instskip(SKIP_1) | instid1(VALU_DEP_1)
	v_fmac_f32_e32 v45, v46, v45
	v_div_scale_f32 v46, vcc_lo, 1.0, v40, 1.0
	v_mul_f32_e32 v47, v46, v45
	s_delay_alu instid0(VALU_DEP_1) | instskip(NEXT) | instid1(VALU_DEP_1)
	v_fma_f32 v48, -v41, v47, v46
	v_fmac_f32_e32 v47, v48, v45
	s_delay_alu instid0(VALU_DEP_1) | instskip(NEXT) | instid1(VALU_DEP_1)
	v_fma_f32 v41, -v41, v47, v46
	v_div_fmas_f32 v41, v41, v45, v47
	s_delay_alu instid0(VALU_DEP_1) | instskip(NEXT) | instid1(VALU_DEP_1)
	v_div_fixup_f32 v40, v41, v40, 1.0
	v_mul_f32_e64 v41, v38, -v40
.LBB30_11:
	s_or_b32 exec_lo, exec_lo, s1
	v_dual_mov_b32 v47, 0 :: v_dual_mov_b32 v45, 2
.LBB30_12:
	s_or_b32 exec_lo, exec_lo, s0
	s_delay_alu instid0(SALU_CYCLE_1)
	s_mov_b32 s0, exec_lo
	v_cmpx_ne_u32_e64 v44, v39
	s_xor_b32 s0, exec_lo, s0
	s_cbranch_execz .LBB30_18
; %bb.13:
	s_mov_b32 s1, exec_lo
	v_cmpx_eq_u32_e32 0, v44
	s_cbranch_execz .LBB30_17
; %bb.14:
	v_cmp_ne_u32_e32 vcc_lo, 0, v39
	s_xor_b32 s15, s12, -1
	s_delay_alu instid0(SALU_CYCLE_1) | instskip(NEXT) | instid1(SALU_CYCLE_1)
	s_and_b32 s16, s15, vcc_lo
	s_and_saveexec_b32 s15, s16
	s_cbranch_execz .LBB30_16
; %bb.15:
	v_dual_mov_b32 v48, v39 :: v_dual_ashrrev_i32 v49, 31, v39
	s_delay_alu instid0(VALU_DEP_1)
	v_lshl_add_u64 v[48:49], v[48:49], 2, v[32:33]
	s_clause 0x1
	global_load_b32 v38, v[48:49], off
	global_load_b32 v44, v[32:33], off
	s_wait_loadcnt 0x1
	global_store_b32 v[32:33], v38, off
	s_wait_loadcnt 0x0
	global_store_b32 v[48:49], v44, off
.LBB30_16:
	s_wait_xcnt 0x0
	s_or_b32 exec_lo, exec_lo, s15
	v_mov_b32_e32 v44, v39
.LBB30_17:
	s_or_b32 exec_lo, exec_lo, s1
.LBB30_18:
	s_or_saveexec_b32 s0, s0
	s_delay_alu instid0(VALU_DEP_1)
	v_mov_b32_e32 v46, v44
	s_xor_b32 exec_lo, exec_lo, s0
	s_cbranch_execz .LBB30_20
; %bb.19:
	v_mov_b32_e32 v46, 0
	ds_store_2addr_b64 v42, v[28:29], v[30:31] offset0:1 offset1:2
	ds_store_2addr_b64 v42, v[8:9], v[26:27] offset0:3 offset1:4
	;; [unrolled: 1-line block ×7, first 2 shown]
	ds_store_b64 v42, v[36:37] offset:120
.LBB30_20:
	s_or_b32 exec_lo, exec_lo, s0
	s_delay_alu instid0(SALU_CYCLE_1)
	s_mov_b32 s0, exec_lo
	s_wait_storecnt_dscnt 0x0
	s_barrier_signal -1
	s_barrier_wait -1
	v_cmpx_lt_i32_e32 0, v46
	s_cbranch_execz .LBB30_22
; %bb.21:
	v_pk_mul_f32 v[48:49], v[40:41], v[34:35] op_sel:[1,1] op_sel_hi:[0,1]
	s_delay_alu instid0(VALU_DEP_1)
	v_pk_fma_f32 v[38:39], v[40:41], v[34:35], v[48:49] op_sel_hi:[1,0,1] neg_lo:[0,0,1] neg_hi:[0,0,1]
	v_pk_fma_f32 v[40:41], v[40:41], v[34:35], v[48:49] op_sel_hi:[1,0,1]
	ds_load_2addr_b64 v[48:51], v42 offset0:1 offset1:2
	v_dual_mov_b32 v34, v38 :: v_dual_mov_b32 v35, v41
	s_wait_dscnt 0x0
	v_pk_mul_f32 v[52:53], v[48:49], v[40:41] op_sel:[0,1]
	s_delay_alu instid0(VALU_DEP_1) | instskip(SKIP_1) | instid1(VALU_DEP_1)
	v_pk_fma_f32 v[54:55], v[48:49], v[38:39], v[52:53] op_sel:[0,0,1] op_sel_hi:[1,1,0] neg_lo:[0,0,1] neg_hi:[0,0,1]
	v_pk_fma_f32 v[48:49], v[48:49], v[38:39], v[52:53] op_sel:[0,0,1] op_sel_hi:[1,0,0]
	v_mov_b32_e32 v55, v49
	v_pk_mul_f32 v[48:49], v[50:51], v[40:41] op_sel:[0,1]
	s_delay_alu instid0(VALU_DEP_1) | instskip(SKIP_1) | instid1(VALU_DEP_1)
	v_pk_fma_f32 v[52:53], v[50:51], v[38:39], v[48:49] op_sel:[0,0,1] op_sel_hi:[1,1,0] neg_lo:[0,0,1] neg_hi:[0,0,1]
	v_pk_fma_f32 v[48:49], v[50:51], v[38:39], v[48:49] op_sel:[0,0,1] op_sel_hi:[1,0,0]
	v_mov_b32_e32 v53, v49
	ds_load_2addr_b64 v[48:51], v42 offset0:3 offset1:4
	v_pk_add_f32 v[28:29], v[28:29], v[54:55] neg_lo:[0,1] neg_hi:[0,1]
	v_pk_add_f32 v[30:31], v[30:31], v[52:53] neg_lo:[0,1] neg_hi:[0,1]
	s_wait_dscnt 0x0
	v_pk_mul_f32 v[52:53], v[48:49], v[40:41] op_sel:[0,1]
	s_delay_alu instid0(VALU_DEP_1) | instskip(SKIP_2) | instid1(VALU_DEP_2)
	v_pk_fma_f32 v[54:55], v[48:49], v[38:39], v[52:53] op_sel:[0,0,1] op_sel_hi:[1,1,0] neg_lo:[0,0,1] neg_hi:[0,0,1]
	v_pk_fma_f32 v[48:49], v[48:49], v[38:39], v[52:53] op_sel:[0,0,1] op_sel_hi:[1,0,0]
	v_dual_mul_f32 v52, v51, v41 :: v_dual_mov_b32 v48, v51
	v_dual_mov_b32 v55, v49 :: v_dual_mov_b32 v49, v50
	s_delay_alu instid0(VALU_DEP_2) | instskip(SKIP_1) | instid1(VALU_DEP_3)
	v_pk_fma_f32 v[52:53], v[50:51], v[34:35], v[52:53] op_sel_hi:[1,1,0] neg_lo:[0,0,1] neg_hi:[0,0,1]
	v_mul_f32_e32 v50, v51, v38
	v_pk_add_f32 v[8:9], v[8:9], v[54:55] neg_lo:[0,1] neg_hi:[0,1]
	s_delay_alu instid0(VALU_DEP_2) | instskip(NEXT) | instid1(VALU_DEP_1)
	v_pk_fma_f32 v[48:49], v[48:49], v[34:35], v[50:51] op_sel_hi:[1,1,0]
	v_mov_b32_e32 v53, v49
	ds_load_2addr_b64 v[48:51], v42 offset0:5 offset1:6
	v_pk_add_f32 v[26:27], v[26:27], v[52:53] neg_lo:[0,1] neg_hi:[0,1]
	s_wait_dscnt 0x0
	v_pk_mul_f32 v[52:53], v[48:49], v[40:41] op_sel:[0,1]
	s_delay_alu instid0(VALU_DEP_1) | instskip(SKIP_1) | instid1(VALU_DEP_1)
	v_pk_fma_f32 v[54:55], v[48:49], v[38:39], v[52:53] op_sel:[0,0,1] op_sel_hi:[1,1,0] neg_lo:[0,0,1] neg_hi:[0,0,1]
	v_pk_fma_f32 v[48:49], v[48:49], v[38:39], v[52:53] op_sel:[0,0,1] op_sel_hi:[1,0,0]
	v_mov_b32_e32 v55, v49
	v_pk_mul_f32 v[48:49], v[50:51], v[40:41] op_sel:[0,1]
	s_delay_alu instid0(VALU_DEP_1) | instskip(SKIP_1) | instid1(VALU_DEP_1)
	v_pk_fma_f32 v[52:53], v[50:51], v[38:39], v[48:49] op_sel:[0,0,1] op_sel_hi:[1,1,0] neg_lo:[0,0,1] neg_hi:[0,0,1]
	v_pk_fma_f32 v[48:49], v[50:51], v[38:39], v[48:49] op_sel:[0,0,1] op_sel_hi:[1,0,0]
	v_mov_b32_e32 v53, v49
	ds_load_2addr_b64 v[48:51], v42 offset0:7 offset1:8
	v_pk_add_f32 v[22:23], v[22:23], v[54:55] neg_lo:[0,1] neg_hi:[0,1]
	v_pk_add_f32 v[24:25], v[24:25], v[52:53] neg_lo:[0,1] neg_hi:[0,1]
	s_wait_dscnt 0x0
	v_pk_mul_f32 v[52:53], v[48:49], v[40:41] op_sel:[0,1]
	s_delay_alu instid0(VALU_DEP_1) | instskip(SKIP_1) | instid1(VALU_DEP_1)
	v_pk_fma_f32 v[54:55], v[48:49], v[38:39], v[52:53] op_sel:[0,0,1] op_sel_hi:[1,1,0] neg_lo:[0,0,1] neg_hi:[0,0,1]
	v_pk_fma_f32 v[48:49], v[48:49], v[38:39], v[52:53] op_sel:[0,0,1] op_sel_hi:[1,0,0]
	v_mov_b32_e32 v55, v49
	v_pk_mul_f32 v[48:49], v[50:51], v[40:41] op_sel:[0,1]
	s_delay_alu instid0(VALU_DEP_1) | instskip(SKIP_1) | instid1(VALU_DEP_1)
	v_pk_fma_f32 v[52:53], v[50:51], v[38:39], v[48:49] op_sel:[0,0,1] op_sel_hi:[1,1,0] neg_lo:[0,0,1] neg_hi:[0,0,1]
	v_pk_fma_f32 v[48:49], v[50:51], v[38:39], v[48:49] op_sel:[0,0,1] op_sel_hi:[1,0,0]
	v_mov_b32_e32 v53, v49
	ds_load_2addr_b64 v[48:51], v42 offset0:9 offset1:10
	v_pk_add_f32 v[6:7], v[6:7], v[54:55] neg_lo:[0,1] neg_hi:[0,1]
	v_pk_add_f32 v[20:21], v[20:21], v[52:53] neg_lo:[0,1] neg_hi:[0,1]
	s_wait_dscnt 0x0
	v_dual_mul_f32 v52, v49, v41 :: v_dual_mul_f32 v54, v49, v38
	s_delay_alu instid0(VALU_DEP_1) | instskip(NEXT) | instid1(VALU_DEP_2)
	v_pk_fma_f32 v[52:53], v[48:49], v[34:35], v[52:53] op_sel_hi:[1,1,0] neg_lo:[0,0,1] neg_hi:[0,0,1]
	v_pk_fma_f32 v[48:49], v[48:49], v[34:35], v[54:55] op_sel:[1,0,0] op_sel_hi:[0,1,0]
	s_delay_alu instid0(VALU_DEP_1) | instskip(SKIP_1) | instid1(VALU_DEP_2)
	v_mov_b32_e32 v53, v49
	v_pk_mul_f32 v[48:49], v[50:51], v[40:41] op_sel:[0,1]
	v_pk_add_f32 v[16:17], v[16:17], v[52:53] neg_lo:[0,1] neg_hi:[0,1]
	s_delay_alu instid0(VALU_DEP_2) | instskip(SKIP_1) | instid1(VALU_DEP_1)
	v_pk_fma_f32 v[52:53], v[50:51], v[38:39], v[48:49] op_sel:[0,0,1] op_sel_hi:[1,1,0] neg_lo:[0,0,1] neg_hi:[0,0,1]
	v_pk_fma_f32 v[48:49], v[50:51], v[38:39], v[48:49] op_sel:[0,0,1] op_sel_hi:[1,0,0]
	v_mov_b32_e32 v53, v49
	ds_load_2addr_b64 v[48:51], v42 offset0:11 offset1:12
	v_pk_add_f32 v[18:19], v[18:19], v[52:53] neg_lo:[0,1] neg_hi:[0,1]
	s_wait_dscnt 0x0
	v_pk_mul_f32 v[52:53], v[48:49], v[40:41] op_sel:[0,1]
	s_delay_alu instid0(VALU_DEP_1) | instskip(SKIP_1) | instid1(VALU_DEP_1)
	v_pk_fma_f32 v[54:55], v[48:49], v[38:39], v[52:53] op_sel:[0,0,1] op_sel_hi:[1,1,0] neg_lo:[0,0,1] neg_hi:[0,0,1]
	v_pk_fma_f32 v[48:49], v[48:49], v[38:39], v[52:53] op_sel:[0,0,1] op_sel_hi:[1,0,0]
	v_mov_b32_e32 v55, v49
	v_pk_mul_f32 v[48:49], v[50:51], v[40:41] op_sel:[0,1]
	s_delay_alu instid0(VALU_DEP_2) | instskip(NEXT) | instid1(VALU_DEP_2)
	v_pk_add_f32 v[4:5], v[4:5], v[54:55] neg_lo:[0,1] neg_hi:[0,1]
	v_pk_fma_f32 v[52:53], v[50:51], v[38:39], v[48:49] op_sel:[0,0,1] op_sel_hi:[1,1,0] neg_lo:[0,0,1] neg_hi:[0,0,1]
	v_pk_fma_f32 v[48:49], v[50:51], v[38:39], v[48:49] op_sel:[0,0,1] op_sel_hi:[1,0,0]
	s_delay_alu instid0(VALU_DEP_1) | instskip(SKIP_4) | instid1(VALU_DEP_1)
	v_mov_b32_e32 v53, v49
	ds_load_2addr_b64 v[48:51], v42 offset0:13 offset1:14
	v_pk_add_f32 v[14:15], v[14:15], v[52:53] neg_lo:[0,1] neg_hi:[0,1]
	s_wait_dscnt 0x0
	v_pk_mul_f32 v[52:53], v[48:49], v[40:41] op_sel:[0,1]
	v_pk_fma_f32 v[54:55], v[48:49], v[38:39], v[52:53] op_sel:[0,0,1] op_sel_hi:[1,1,0] neg_lo:[0,0,1] neg_hi:[0,0,1]
	v_pk_fma_f32 v[48:49], v[48:49], v[38:39], v[52:53] op_sel:[0,0,1] op_sel_hi:[1,0,0]
	v_dual_mul_f32 v52, v51, v41 :: v_dual_mov_b32 v48, v51
	s_delay_alu instid0(VALU_DEP_2) | instskip(NEXT) | instid1(VALU_DEP_2)
	v_dual_mov_b32 v55, v49 :: v_dual_mov_b32 v49, v50
	v_pk_fma_f32 v[52:53], v[50:51], v[34:35], v[52:53] op_sel_hi:[1,1,0] neg_lo:[0,0,1] neg_hi:[0,0,1]
	v_mul_f32_e32 v50, v51, v38
	s_delay_alu instid0(VALU_DEP_3) | instskip(NEXT) | instid1(VALU_DEP_2)
	v_pk_add_f32 v[12:13], v[12:13], v[54:55] neg_lo:[0,1] neg_hi:[0,1]
	v_pk_fma_f32 v[48:49], v[48:49], v[34:35], v[50:51] op_sel_hi:[1,1,0]
	s_delay_alu instid0(VALU_DEP_1) | instskip(SKIP_4) | instid1(VALU_DEP_1)
	v_mov_b32_e32 v53, v49
	ds_load_b64 v[48:49], v42 offset:120
	v_pk_add_f32 v[10:11], v[10:11], v[52:53] neg_lo:[0,1] neg_hi:[0,1]
	s_wait_dscnt 0x0
	v_pk_mul_f32 v[40:41], v[48:49], v[40:41] op_sel:[0,1]
	v_pk_fma_f32 v[50:51], v[48:49], v[38:39], v[40:41] op_sel:[0,0,1] op_sel_hi:[1,1,0] neg_lo:[0,0,1] neg_hi:[0,0,1]
	v_pk_fma_f32 v[38:39], v[48:49], v[38:39], v[40:41] op_sel:[0,0,1] op_sel_hi:[1,0,0]
	s_delay_alu instid0(VALU_DEP_1) | instskip(NEXT) | instid1(VALU_DEP_1)
	v_mov_b32_e32 v51, v39
	v_pk_add_f32 v[36:37], v[36:37], v[50:51] neg_lo:[0,1] neg_hi:[0,1]
.LBB30_22:
	s_or_b32 exec_lo, exec_lo, s0
	v_lshl_add_u32 v38, v46, 3, v42
	s_barrier_signal -1
	s_barrier_wait -1
	ds_store_b64 v38, v[28:29]
	s_wait_dscnt 0x0
	s_barrier_signal -1
	s_barrier_wait -1
	ds_load_b64 v[38:39], v42 offset:8
	v_mov_b32_e32 v40, 1
	s_cmp_lt_i32 s14, 3
	s_cbranch_scc1 .LBB30_25
; %bb.23:
	v_add3_u32 v41, v43, 0, 16
	v_mov_b32_e32 v40, 1
	s_mov_b32 s0, 2
.LBB30_24:                              ; =>This Inner Loop Header: Depth=1
	ds_load_b64 v[48:49], v41
	s_wait_dscnt 0x1
	v_cmp_gt_f32_e32 vcc_lo, 0, v38
	v_cndmask_b32_e64 v50, v38, -v38, vcc_lo
	v_cmp_gt_f32_e32 vcc_lo, 0, v39
	v_cndmask_b32_e64 v52, v39, -v39, vcc_lo
	s_wait_dscnt 0x0
	v_cmp_gt_f32_e32 vcc_lo, 0, v48
	v_cndmask_b32_e64 v51, v48, -v48, vcc_lo
	v_cmp_gt_f32_e32 vcc_lo, 0, v49
	v_cndmask_b32_e64 v53, v49, -v49, vcc_lo
	s_delay_alu instid0(VALU_DEP_1) | instskip(NEXT) | instid1(VALU_DEP_1)
	v_pk_add_f32 v[50:51], v[50:51], v[52:53]
	v_cmp_lt_f32_e32 vcc_lo, v50, v51
	v_dual_cndmask_b32 v38, v38, v48 :: v_dual_add_nc_u32 v41, 8, v41
	v_cndmask_b32_e32 v39, v39, v49, vcc_lo
	v_cndmask_b32_e64 v40, v40, s0, vcc_lo
	s_add_co_i32 s0, s0, 1
	s_delay_alu instid0(SALU_CYCLE_1)
	s_cmp_lg_u32 s14, s0
	s_cbranch_scc1 .LBB30_24
.LBB30_25:
	s_wait_dscnt 0x0
	v_cmp_neq_f32_e32 vcc_lo, 0, v38
	v_cmp_neq_f32_e64 s0, 0, v39
	s_or_b32 s1, vcc_lo, s0
	s_delay_alu instid0(SALU_CYCLE_1)
	s_and_saveexec_b32 s0, s1
	s_cbranch_execz .LBB30_31
; %bb.26:
	v_cmp_ngt_f32_e64 s1, |v38|, |v39|
	s_and_saveexec_b32 s15, s1
	s_delay_alu instid0(SALU_CYCLE_1)
	s_xor_b32 s1, exec_lo, s15
	s_cbranch_execz .LBB30_28
; %bb.27:
	v_div_scale_f32 v41, null, v39, v39, v38
	v_div_scale_f32 v49, vcc_lo, v38, v39, v38
	s_delay_alu instid0(VALU_DEP_2) | instskip(SKIP_1) | instid1(TRANS32_DEP_1)
	v_rcp_f32_e32 v45, v41
	v_nop
	v_fma_f32 v48, -v41, v45, 1.0
	s_delay_alu instid0(VALU_DEP_1) | instskip(NEXT) | instid1(VALU_DEP_1)
	v_fmac_f32_e32 v45, v48, v45
	v_mul_f32_e32 v48, v49, v45
	s_delay_alu instid0(VALU_DEP_1) | instskip(NEXT) | instid1(VALU_DEP_1)
	v_fma_f32 v50, -v41, v48, v49
	v_fmac_f32_e32 v48, v50, v45
	s_delay_alu instid0(VALU_DEP_1) | instskip(NEXT) | instid1(VALU_DEP_1)
	v_fma_f32 v41, -v41, v48, v49
	v_div_fmas_f32 v41, v41, v45, v48
	s_delay_alu instid0(VALU_DEP_1) | instskip(NEXT) | instid1(VALU_DEP_1)
	v_div_fixup_f32 v41, v41, v39, v38
	v_fmac_f32_e32 v39, v38, v41
	s_delay_alu instid0(VALU_DEP_1) | instskip(SKIP_1) | instid1(VALU_DEP_2)
	v_div_scale_f32 v38, null, v39, v39, 1.0
	v_div_scale_f32 v49, vcc_lo, 1.0, v39, 1.0
	v_rcp_f32_e32 v45, v38
	v_nop
	s_delay_alu instid0(TRANS32_DEP_1) | instskip(NEXT) | instid1(VALU_DEP_1)
	v_fma_f32 v48, -v38, v45, 1.0
	v_fmac_f32_e32 v45, v48, v45
	s_delay_alu instid0(VALU_DEP_1) | instskip(NEXT) | instid1(VALU_DEP_1)
	v_mul_f32_e32 v48, v49, v45
	v_fma_f32 v50, -v38, v48, v49
	s_delay_alu instid0(VALU_DEP_1) | instskip(NEXT) | instid1(VALU_DEP_1)
	v_fmac_f32_e32 v48, v50, v45
	v_fma_f32 v38, -v38, v48, v49
	s_delay_alu instid0(VALU_DEP_1) | instskip(NEXT) | instid1(VALU_DEP_1)
	v_div_fmas_f32 v38, v38, v45, v48
	v_div_fixup_f32 v39, v38, v39, 1.0
	s_delay_alu instid0(VALU_DEP_1)
	v_mul_f32_e32 v38, v41, v39
	v_xor_b32_e32 v39, 0x80000000, v39
.LBB30_28:
	s_and_not1_saveexec_b32 s1, s1
	s_cbranch_execz .LBB30_30
; %bb.29:
	s_delay_alu instid0(VALU_DEP_1) | instskip(SKIP_1) | instid1(VALU_DEP_2)
	v_div_scale_f32 v41, null, v38, v38, v39
	v_div_scale_f32 v49, vcc_lo, v39, v38, v39
	v_rcp_f32_e32 v45, v41
	v_nop
	s_delay_alu instid0(TRANS32_DEP_1) | instskip(NEXT) | instid1(VALU_DEP_1)
	v_fma_f32 v48, -v41, v45, 1.0
	v_fmac_f32_e32 v45, v48, v45
	s_delay_alu instid0(VALU_DEP_1) | instskip(NEXT) | instid1(VALU_DEP_1)
	v_mul_f32_e32 v48, v49, v45
	v_fma_f32 v50, -v41, v48, v49
	s_delay_alu instid0(VALU_DEP_1) | instskip(NEXT) | instid1(VALU_DEP_1)
	v_fmac_f32_e32 v48, v50, v45
	v_fma_f32 v41, -v41, v48, v49
	s_delay_alu instid0(VALU_DEP_1) | instskip(NEXT) | instid1(VALU_DEP_1)
	v_div_fmas_f32 v41, v41, v45, v48
	v_div_fixup_f32 v41, v41, v38, v39
	s_delay_alu instid0(VALU_DEP_1) | instskip(NEXT) | instid1(VALU_DEP_1)
	v_fmac_f32_e32 v38, v39, v41
	v_div_scale_f32 v39, null, v38, v38, 1.0
	s_delay_alu instid0(VALU_DEP_1) | instskip(SKIP_1) | instid1(TRANS32_DEP_1)
	v_rcp_f32_e32 v45, v39
	v_nop
	v_fma_f32 v48, -v39, v45, 1.0
	s_delay_alu instid0(VALU_DEP_1) | instskip(SKIP_1) | instid1(VALU_DEP_1)
	v_fmac_f32_e32 v45, v48, v45
	v_div_scale_f32 v48, vcc_lo, 1.0, v38, 1.0
	v_mul_f32_e32 v49, v48, v45
	s_delay_alu instid0(VALU_DEP_1) | instskip(NEXT) | instid1(VALU_DEP_1)
	v_fma_f32 v50, -v39, v49, v48
	v_fmac_f32_e32 v49, v50, v45
	s_delay_alu instid0(VALU_DEP_1) | instskip(NEXT) | instid1(VALU_DEP_1)
	v_fma_f32 v39, -v39, v49, v48
	v_div_fmas_f32 v39, v39, v45, v49
	s_delay_alu instid0(VALU_DEP_1) | instskip(NEXT) | instid1(VALU_DEP_1)
	v_div_fixup_f32 v38, v39, v38, 1.0
	v_mul_f32_e64 v39, v41, -v38
.LBB30_30:
	s_or_b32 exec_lo, exec_lo, s1
	v_mov_b32_e32 v45, v47
.LBB30_31:
	s_or_b32 exec_lo, exec_lo, s0
	s_delay_alu instid0(SALU_CYCLE_1)
	s_mov_b32 s0, exec_lo
	v_cmpx_ne_u32_e64 v46, v40
	s_xor_b32 s0, exec_lo, s0
	s_cbranch_execz .LBB30_37
; %bb.32:
	s_mov_b32 s1, exec_lo
	v_cmpx_eq_u32_e32 1, v46
	s_cbranch_execz .LBB30_36
; %bb.33:
	v_cmp_ne_u32_e32 vcc_lo, 1, v40
	s_xor_b32 s15, s12, -1
	s_delay_alu instid0(SALU_CYCLE_1) | instskip(NEXT) | instid1(SALU_CYCLE_1)
	s_and_b32 s16, s15, vcc_lo
	s_and_saveexec_b32 s15, s16
	s_cbranch_execz .LBB30_35
; %bb.34:
	v_ashrrev_i32_e32 v41, 31, v40
	s_delay_alu instid0(VALU_DEP_1)
	v_lshl_add_u64 v[46:47], v[40:41], 2, v[32:33]
	s_clause 0x1
	global_load_b32 v41, v[46:47], off
	global_load_b32 v44, v[32:33], off offset:4
	s_wait_loadcnt 0x1
	global_store_b32 v[32:33], v41, off offset:4
	s_wait_loadcnt 0x0
	global_store_b32 v[46:47], v44, off
.LBB30_35:
	s_wait_xcnt 0x0
	s_or_b32 exec_lo, exec_lo, s15
	v_dual_mov_b32 v46, v40 :: v_dual_mov_b32 v44, v40
.LBB30_36:
	s_or_b32 exec_lo, exec_lo, s1
.LBB30_37:
	s_and_not1_saveexec_b32 s0, s0
	s_cbranch_execz .LBB30_39
; %bb.38:
	v_dual_mov_b32 v40, v30 :: v_dual_mov_b32 v41, v31
	v_dual_mov_b32 v46, v8 :: v_dual_mov_b32 v47, v9
	;; [unrolled: 1-line block ×4, first 2 shown]
	ds_store_2addr_b64 v42, v[40:41], v[46:47] offset0:2 offset1:3
	ds_store_2addr_b64 v42, v[48:49], v[50:51] offset0:4 offset1:5
	v_dual_mov_b32 v40, v24 :: v_dual_mov_b32 v41, v25
	v_dual_mov_b32 v48, v6 :: v_dual_mov_b32 v49, v7
	;; [unrolled: 1-line block ×9, first 2 shown]
	v_mov_b32_e32 v63, v11
	ds_store_2addr_b64 v42, v[40:41], v[48:49] offset0:6 offset1:7
	ds_store_2addr_b64 v42, v[50:51], v[52:53] offset0:8 offset1:9
	;; [unrolled: 1-line block ×5, first 2 shown]
.LBB30_39:
	s_or_b32 exec_lo, exec_lo, s0
	s_delay_alu instid0(SALU_CYCLE_1)
	s_mov_b32 s0, exec_lo
	s_wait_storecnt_dscnt 0x0
	s_barrier_signal -1
	s_barrier_wait -1
	v_cmpx_lt_i32_e32 1, v46
	s_cbranch_execz .LBB30_41
; %bb.40:
	v_pk_mul_f32 v[40:41], v[38:39], v[28:29] op_sel:[1,1] op_sel_hi:[0,1]
	s_delay_alu instid0(VALU_DEP_1)
	v_pk_fma_f32 v[48:49], v[38:39], v[28:29], v[40:41] op_sel_hi:[1,0,1] neg_lo:[0,0,1] neg_hi:[0,0,1]
	v_pk_fma_f32 v[50:51], v[38:39], v[28:29], v[40:41] op_sel_hi:[1,0,1]
	ds_load_2addr_b64 v[38:41], v42 offset0:2 offset1:3
	v_dual_mov_b32 v28, v48 :: v_dual_mov_b32 v29, v51
	s_wait_dscnt 0x0
	v_pk_mul_f32 v[52:53], v[38:39], v[50:51] op_sel:[0,1]
	s_delay_alu instid0(VALU_DEP_1) | instskip(SKIP_1) | instid1(VALU_DEP_1)
	v_pk_fma_f32 v[54:55], v[38:39], v[48:49], v[52:53] op_sel:[0,0,1] op_sel_hi:[1,1,0] neg_lo:[0,0,1] neg_hi:[0,0,1]
	v_pk_fma_f32 v[38:39], v[38:39], v[48:49], v[52:53] op_sel:[0,0,1] op_sel_hi:[1,0,0]
	v_mov_b32_e32 v55, v39
	v_pk_mul_f32 v[38:39], v[40:41], v[50:51] op_sel:[0,1]
	s_delay_alu instid0(VALU_DEP_1) | instskip(SKIP_1) | instid1(VALU_DEP_1)
	v_pk_fma_f32 v[52:53], v[40:41], v[48:49], v[38:39] op_sel:[0,0,1] op_sel_hi:[1,1,0] neg_lo:[0,0,1] neg_hi:[0,0,1]
	v_pk_fma_f32 v[38:39], v[40:41], v[48:49], v[38:39] op_sel:[0,0,1] op_sel_hi:[1,0,0]
	v_mov_b32_e32 v53, v39
	ds_load_2addr_b64 v[38:41], v42 offset0:4 offset1:5
	v_pk_add_f32 v[30:31], v[30:31], v[54:55] neg_lo:[0,1] neg_hi:[0,1]
	v_pk_add_f32 v[8:9], v[8:9], v[52:53] neg_lo:[0,1] neg_hi:[0,1]
	s_wait_dscnt 0x0
	v_pk_mul_f32 v[52:53], v[38:39], v[50:51] op_sel:[0,1]
	s_delay_alu instid0(VALU_DEP_1) | instskip(SKIP_2) | instid1(VALU_DEP_2)
	v_pk_fma_f32 v[54:55], v[38:39], v[48:49], v[52:53] op_sel:[0,0,1] op_sel_hi:[1,1,0] neg_lo:[0,0,1] neg_hi:[0,0,1]
	v_pk_fma_f32 v[38:39], v[38:39], v[48:49], v[52:53] op_sel:[0,0,1] op_sel_hi:[1,0,0]
	v_dual_mul_f32 v52, v41, v51 :: v_dual_mov_b32 v38, v41
	v_dual_mov_b32 v55, v39 :: v_dual_mov_b32 v39, v40
	s_delay_alu instid0(VALU_DEP_2) | instskip(SKIP_1) | instid1(VALU_DEP_3)
	v_pk_fma_f32 v[52:53], v[40:41], v[28:29], v[52:53] op_sel_hi:[1,1,0] neg_lo:[0,0,1] neg_hi:[0,0,1]
	v_mul_f32_e32 v40, v41, v48
	v_pk_add_f32 v[26:27], v[26:27], v[54:55] neg_lo:[0,1] neg_hi:[0,1]
	s_delay_alu instid0(VALU_DEP_2) | instskip(NEXT) | instid1(VALU_DEP_1)
	v_pk_fma_f32 v[38:39], v[38:39], v[28:29], v[40:41] op_sel_hi:[1,1,0]
	v_mov_b32_e32 v53, v39
	ds_load_2addr_b64 v[38:41], v42 offset0:6 offset1:7
	v_pk_add_f32 v[22:23], v[22:23], v[52:53] neg_lo:[0,1] neg_hi:[0,1]
	s_wait_dscnt 0x0
	v_pk_mul_f32 v[52:53], v[38:39], v[50:51] op_sel:[0,1]
	s_delay_alu instid0(VALU_DEP_1) | instskip(SKIP_1) | instid1(VALU_DEP_1)
	v_pk_fma_f32 v[54:55], v[38:39], v[48:49], v[52:53] op_sel:[0,0,1] op_sel_hi:[1,1,0] neg_lo:[0,0,1] neg_hi:[0,0,1]
	v_pk_fma_f32 v[38:39], v[38:39], v[48:49], v[52:53] op_sel:[0,0,1] op_sel_hi:[1,0,0]
	v_mov_b32_e32 v55, v39
	v_pk_mul_f32 v[38:39], v[40:41], v[50:51] op_sel:[0,1]
	s_delay_alu instid0(VALU_DEP_1) | instskip(SKIP_1) | instid1(VALU_DEP_1)
	v_pk_fma_f32 v[52:53], v[40:41], v[48:49], v[38:39] op_sel:[0,0,1] op_sel_hi:[1,1,0] neg_lo:[0,0,1] neg_hi:[0,0,1]
	v_pk_fma_f32 v[38:39], v[40:41], v[48:49], v[38:39] op_sel:[0,0,1] op_sel_hi:[1,0,0]
	v_mov_b32_e32 v53, v39
	ds_load_2addr_b64 v[38:41], v42 offset0:8 offset1:9
	v_pk_add_f32 v[24:25], v[24:25], v[54:55] neg_lo:[0,1] neg_hi:[0,1]
	v_pk_add_f32 v[6:7], v[6:7], v[52:53] neg_lo:[0,1] neg_hi:[0,1]
	s_wait_dscnt 0x0
	v_pk_mul_f32 v[52:53], v[38:39], v[50:51] op_sel:[0,1]
	s_delay_alu instid0(VALU_DEP_1) | instskip(SKIP_1) | instid1(VALU_DEP_1)
	v_pk_fma_f32 v[54:55], v[38:39], v[48:49], v[52:53] op_sel:[0,0,1] op_sel_hi:[1,1,0] neg_lo:[0,0,1] neg_hi:[0,0,1]
	v_pk_fma_f32 v[38:39], v[38:39], v[48:49], v[52:53] op_sel:[0,0,1] op_sel_hi:[1,0,0]
	v_mov_b32_e32 v55, v39
	v_pk_mul_f32 v[38:39], v[40:41], v[50:51] op_sel:[0,1]
	s_delay_alu instid0(VALU_DEP_1) | instskip(SKIP_1) | instid1(VALU_DEP_1)
	v_pk_fma_f32 v[52:53], v[40:41], v[48:49], v[38:39] op_sel:[0,0,1] op_sel_hi:[1,1,0] neg_lo:[0,0,1] neg_hi:[0,0,1]
	v_pk_fma_f32 v[38:39], v[40:41], v[48:49], v[38:39] op_sel:[0,0,1] op_sel_hi:[1,0,0]
	v_mov_b32_e32 v53, v39
	ds_load_2addr_b64 v[38:41], v42 offset0:10 offset1:11
	v_pk_add_f32 v[20:21], v[20:21], v[54:55] neg_lo:[0,1] neg_hi:[0,1]
	v_pk_add_f32 v[16:17], v[16:17], v[52:53] neg_lo:[0,1] neg_hi:[0,1]
	s_wait_dscnt 0x0
	v_dual_mul_f32 v52, v39, v51 :: v_dual_mul_f32 v54, v39, v48
	s_delay_alu instid0(VALU_DEP_1) | instskip(NEXT) | instid1(VALU_DEP_2)
	v_pk_fma_f32 v[52:53], v[38:39], v[28:29], v[52:53] op_sel_hi:[1,1,0] neg_lo:[0,0,1] neg_hi:[0,0,1]
	v_pk_fma_f32 v[38:39], v[38:39], v[28:29], v[54:55] op_sel:[1,0,0] op_sel_hi:[0,1,0]
	s_delay_alu instid0(VALU_DEP_1) | instskip(SKIP_1) | instid1(VALU_DEP_2)
	v_mov_b32_e32 v53, v39
	v_pk_mul_f32 v[38:39], v[40:41], v[50:51] op_sel:[0,1]
	v_pk_add_f32 v[18:19], v[18:19], v[52:53] neg_lo:[0,1] neg_hi:[0,1]
	s_delay_alu instid0(VALU_DEP_2) | instskip(SKIP_1) | instid1(VALU_DEP_1)
	v_pk_fma_f32 v[52:53], v[40:41], v[48:49], v[38:39] op_sel:[0,0,1] op_sel_hi:[1,1,0] neg_lo:[0,0,1] neg_hi:[0,0,1]
	v_pk_fma_f32 v[38:39], v[40:41], v[48:49], v[38:39] op_sel:[0,0,1] op_sel_hi:[1,0,0]
	v_mov_b32_e32 v53, v39
	ds_load_2addr_b64 v[38:41], v42 offset0:12 offset1:13
	v_pk_add_f32 v[4:5], v[4:5], v[52:53] neg_lo:[0,1] neg_hi:[0,1]
	s_wait_dscnt 0x0
	v_pk_mul_f32 v[52:53], v[38:39], v[50:51] op_sel:[0,1]
	s_delay_alu instid0(VALU_DEP_1) | instskip(SKIP_1) | instid1(VALU_DEP_1)
	v_pk_fma_f32 v[54:55], v[38:39], v[48:49], v[52:53] op_sel:[0,0,1] op_sel_hi:[1,1,0] neg_lo:[0,0,1] neg_hi:[0,0,1]
	v_pk_fma_f32 v[38:39], v[38:39], v[48:49], v[52:53] op_sel:[0,0,1] op_sel_hi:[1,0,0]
	v_mov_b32_e32 v55, v39
	v_pk_mul_f32 v[38:39], v[40:41], v[50:51] op_sel:[0,1]
	s_delay_alu instid0(VALU_DEP_2) | instskip(NEXT) | instid1(VALU_DEP_2)
	v_pk_add_f32 v[14:15], v[14:15], v[54:55] neg_lo:[0,1] neg_hi:[0,1]
	v_pk_fma_f32 v[52:53], v[40:41], v[48:49], v[38:39] op_sel:[0,0,1] op_sel_hi:[1,1,0] neg_lo:[0,0,1] neg_hi:[0,0,1]
	v_pk_fma_f32 v[38:39], v[40:41], v[48:49], v[38:39] op_sel:[0,0,1] op_sel_hi:[1,0,0]
	s_delay_alu instid0(VALU_DEP_1) | instskip(SKIP_4) | instid1(VALU_DEP_1)
	v_mov_b32_e32 v53, v39
	ds_load_2addr_b64 v[38:41], v42 offset0:14 offset1:15
	v_pk_add_f32 v[12:13], v[12:13], v[52:53] neg_lo:[0,1] neg_hi:[0,1]
	s_wait_dscnt 0x0
	v_pk_mul_f32 v[52:53], v[38:39], v[50:51] op_sel:[0,1]
	v_pk_fma_f32 v[54:55], v[38:39], v[48:49], v[52:53] op_sel:[0,0,1] op_sel_hi:[1,1,0] neg_lo:[0,0,1] neg_hi:[0,0,1]
	v_pk_fma_f32 v[38:39], v[38:39], v[48:49], v[52:53] op_sel:[0,0,1] op_sel_hi:[1,0,0]
	s_delay_alu instid0(VALU_DEP_1) | instskip(SKIP_1) | instid1(VALU_DEP_2)
	v_mov_b32_e32 v55, v39
	v_pk_mul_f32 v[38:39], v[40:41], v[50:51] op_sel:[0,1]
	v_pk_add_f32 v[10:11], v[10:11], v[54:55] neg_lo:[0,1] neg_hi:[0,1]
	s_delay_alu instid0(VALU_DEP_2) | instskip(SKIP_1) | instid1(VALU_DEP_1)
	v_pk_fma_f32 v[50:51], v[40:41], v[48:49], v[38:39] op_sel:[0,0,1] op_sel_hi:[1,1,0] neg_lo:[0,0,1] neg_hi:[0,0,1]
	v_pk_fma_f32 v[38:39], v[40:41], v[48:49], v[38:39] op_sel:[0,0,1] op_sel_hi:[1,0,0]
	v_mov_b32_e32 v51, v39
	s_delay_alu instid0(VALU_DEP_1)
	v_pk_add_f32 v[36:37], v[36:37], v[50:51] neg_lo:[0,1] neg_hi:[0,1]
.LBB30_41:
	s_or_b32 exec_lo, exec_lo, s0
	v_lshl_add_u32 v38, v46, 3, v42
	s_barrier_signal -1
	s_barrier_wait -1
	ds_store_b64 v38, v[30:31]
	s_wait_dscnt 0x0
	s_barrier_signal -1
	s_barrier_wait -1
	ds_load_b64 v[38:39], v42 offset:16
	v_mov_b32_e32 v40, 2
	s_cmp_lt_i32 s14, 4
	s_mov_b32 s0, 3
	s_cbranch_scc1 .LBB30_44
; %bb.42:
	v_add3_u32 v41, v43, 0, 24
	v_mov_b32_e32 v40, 2
.LBB30_43:                              ; =>This Inner Loop Header: Depth=1
	ds_load_b64 v[48:49], v41
	s_wait_dscnt 0x1
	v_cmp_gt_f32_e32 vcc_lo, 0, v38
	v_cndmask_b32_e64 v50, v38, -v38, vcc_lo
	v_cmp_gt_f32_e32 vcc_lo, 0, v39
	v_cndmask_b32_e64 v52, v39, -v39, vcc_lo
	s_wait_dscnt 0x0
	v_cmp_gt_f32_e32 vcc_lo, 0, v48
	v_cndmask_b32_e64 v51, v48, -v48, vcc_lo
	v_cmp_gt_f32_e32 vcc_lo, 0, v49
	v_cndmask_b32_e64 v53, v49, -v49, vcc_lo
	s_delay_alu instid0(VALU_DEP_1) | instskip(NEXT) | instid1(VALU_DEP_1)
	v_pk_add_f32 v[50:51], v[50:51], v[52:53]
	v_cmp_lt_f32_e32 vcc_lo, v50, v51
	v_dual_cndmask_b32 v38, v38, v48 :: v_dual_add_nc_u32 v41, 8, v41
	v_cndmask_b32_e32 v39, v39, v49, vcc_lo
	v_cndmask_b32_e64 v40, v40, s0, vcc_lo
	s_add_co_i32 s0, s0, 1
	s_delay_alu instid0(SALU_CYCLE_1)
	s_cmp_lg_u32 s14, s0
	s_cbranch_scc1 .LBB30_43
.LBB30_44:
	s_wait_dscnt 0x0
	v_cmp_eq_f32_e32 vcc_lo, 0, v38
	v_cmp_eq_f32_e64 s0, 0, v39
	s_and_b32 s0, vcc_lo, s0
	s_delay_alu instid0(SALU_CYCLE_1) | instskip(NEXT) | instid1(SALU_CYCLE_1)
	s_and_saveexec_b32 s1, s0
	s_xor_b32 s0, exec_lo, s1
; %bb.45:
	v_cmp_ne_u32_e32 vcc_lo, 0, v45
	v_cndmask_b32_e32 v45, 3, v45, vcc_lo
; %bb.46:
	s_and_not1_saveexec_b32 s0, s0
	s_cbranch_execz .LBB30_52
; %bb.47:
	v_cmp_ngt_f32_e64 s1, |v38|, |v39|
	s_and_saveexec_b32 s15, s1
	s_delay_alu instid0(SALU_CYCLE_1)
	s_xor_b32 s1, exec_lo, s15
	s_cbranch_execz .LBB30_49
; %bb.48:
	v_div_scale_f32 v41, null, v39, v39, v38
	v_div_scale_f32 v49, vcc_lo, v38, v39, v38
	s_delay_alu instid0(VALU_DEP_2) | instskip(SKIP_1) | instid1(TRANS32_DEP_1)
	v_rcp_f32_e32 v47, v41
	v_nop
	v_fma_f32 v48, -v41, v47, 1.0
	s_delay_alu instid0(VALU_DEP_1) | instskip(NEXT) | instid1(VALU_DEP_1)
	v_fmac_f32_e32 v47, v48, v47
	v_mul_f32_e32 v48, v49, v47
	s_delay_alu instid0(VALU_DEP_1) | instskip(NEXT) | instid1(VALU_DEP_1)
	v_fma_f32 v50, -v41, v48, v49
	v_fmac_f32_e32 v48, v50, v47
	s_delay_alu instid0(VALU_DEP_1) | instskip(NEXT) | instid1(VALU_DEP_1)
	v_fma_f32 v41, -v41, v48, v49
	v_div_fmas_f32 v41, v41, v47, v48
	s_delay_alu instid0(VALU_DEP_1) | instskip(NEXT) | instid1(VALU_DEP_1)
	v_div_fixup_f32 v41, v41, v39, v38
	v_fmac_f32_e32 v39, v38, v41
	s_delay_alu instid0(VALU_DEP_1) | instskip(SKIP_1) | instid1(VALU_DEP_2)
	v_div_scale_f32 v38, null, v39, v39, 1.0
	v_div_scale_f32 v49, vcc_lo, 1.0, v39, 1.0
	v_rcp_f32_e32 v47, v38
	v_nop
	s_delay_alu instid0(TRANS32_DEP_1) | instskip(NEXT) | instid1(VALU_DEP_1)
	v_fma_f32 v48, -v38, v47, 1.0
	v_fmac_f32_e32 v47, v48, v47
	s_delay_alu instid0(VALU_DEP_1) | instskip(NEXT) | instid1(VALU_DEP_1)
	v_mul_f32_e32 v48, v49, v47
	v_fma_f32 v50, -v38, v48, v49
	s_delay_alu instid0(VALU_DEP_1) | instskip(NEXT) | instid1(VALU_DEP_1)
	v_fmac_f32_e32 v48, v50, v47
	v_fma_f32 v38, -v38, v48, v49
	s_delay_alu instid0(VALU_DEP_1) | instskip(NEXT) | instid1(VALU_DEP_1)
	v_div_fmas_f32 v38, v38, v47, v48
	v_div_fixup_f32 v39, v38, v39, 1.0
	s_delay_alu instid0(VALU_DEP_1)
	v_mul_f32_e32 v38, v41, v39
	v_xor_b32_e32 v39, 0x80000000, v39
.LBB30_49:
	s_and_not1_saveexec_b32 s1, s1
	s_cbranch_execz .LBB30_51
; %bb.50:
	s_delay_alu instid0(VALU_DEP_1) | instskip(SKIP_1) | instid1(VALU_DEP_2)
	v_div_scale_f32 v41, null, v38, v38, v39
	v_div_scale_f32 v49, vcc_lo, v39, v38, v39
	v_rcp_f32_e32 v47, v41
	v_nop
	s_delay_alu instid0(TRANS32_DEP_1) | instskip(NEXT) | instid1(VALU_DEP_1)
	v_fma_f32 v48, -v41, v47, 1.0
	v_fmac_f32_e32 v47, v48, v47
	s_delay_alu instid0(VALU_DEP_1) | instskip(NEXT) | instid1(VALU_DEP_1)
	v_mul_f32_e32 v48, v49, v47
	v_fma_f32 v50, -v41, v48, v49
	s_delay_alu instid0(VALU_DEP_1) | instskip(NEXT) | instid1(VALU_DEP_1)
	v_fmac_f32_e32 v48, v50, v47
	v_fma_f32 v41, -v41, v48, v49
	s_delay_alu instid0(VALU_DEP_1) | instskip(NEXT) | instid1(VALU_DEP_1)
	v_div_fmas_f32 v41, v41, v47, v48
	v_div_fixup_f32 v41, v41, v38, v39
	s_delay_alu instid0(VALU_DEP_1) | instskip(NEXT) | instid1(VALU_DEP_1)
	v_fmac_f32_e32 v38, v39, v41
	v_div_scale_f32 v39, null, v38, v38, 1.0
	s_delay_alu instid0(VALU_DEP_1) | instskip(SKIP_1) | instid1(TRANS32_DEP_1)
	v_rcp_f32_e32 v47, v39
	v_nop
	v_fma_f32 v48, -v39, v47, 1.0
	s_delay_alu instid0(VALU_DEP_1) | instskip(SKIP_1) | instid1(VALU_DEP_1)
	v_fmac_f32_e32 v47, v48, v47
	v_div_scale_f32 v48, vcc_lo, 1.0, v38, 1.0
	v_mul_f32_e32 v49, v48, v47
	s_delay_alu instid0(VALU_DEP_1) | instskip(NEXT) | instid1(VALU_DEP_1)
	v_fma_f32 v50, -v39, v49, v48
	v_fmac_f32_e32 v49, v50, v47
	s_delay_alu instid0(VALU_DEP_1) | instskip(NEXT) | instid1(VALU_DEP_1)
	v_fma_f32 v39, -v39, v49, v48
	v_div_fmas_f32 v39, v39, v47, v49
	s_delay_alu instid0(VALU_DEP_1) | instskip(NEXT) | instid1(VALU_DEP_1)
	v_div_fixup_f32 v38, v39, v38, 1.0
	v_mul_f32_e64 v39, v41, -v38
.LBB30_51:
	s_or_b32 exec_lo, exec_lo, s1
.LBB30_52:
	s_delay_alu instid0(SALU_CYCLE_1) | instskip(NEXT) | instid1(SALU_CYCLE_1)
	s_or_b32 exec_lo, exec_lo, s0
	s_mov_b32 s0, exec_lo
	v_cmpx_ne_u32_e64 v46, v40
	s_xor_b32 s0, exec_lo, s0
	s_cbranch_execz .LBB30_58
; %bb.53:
	s_mov_b32 s1, exec_lo
	v_cmpx_eq_u32_e32 2, v46
	s_cbranch_execz .LBB30_57
; %bb.54:
	v_cmp_ne_u32_e32 vcc_lo, 2, v40
	s_xor_b32 s15, s12, -1
	s_delay_alu instid0(SALU_CYCLE_1) | instskip(NEXT) | instid1(SALU_CYCLE_1)
	s_and_b32 s16, s15, vcc_lo
	s_and_saveexec_b32 s15, s16
	s_cbranch_execz .LBB30_56
; %bb.55:
	v_ashrrev_i32_e32 v41, 31, v40
	s_delay_alu instid0(VALU_DEP_1)
	v_lshl_add_u64 v[46:47], v[40:41], 2, v[32:33]
	s_clause 0x1
	global_load_b32 v41, v[46:47], off
	global_load_b32 v44, v[32:33], off offset:8
	s_wait_loadcnt 0x1
	global_store_b32 v[32:33], v41, off offset:8
	s_wait_loadcnt 0x0
	global_store_b32 v[46:47], v44, off
.LBB30_56:
	s_wait_xcnt 0x0
	s_or_b32 exec_lo, exec_lo, s15
	v_dual_mov_b32 v46, v40 :: v_dual_mov_b32 v44, v40
.LBB30_57:
	s_or_b32 exec_lo, exec_lo, s1
.LBB30_58:
	s_and_not1_saveexec_b32 s0, s0
	s_cbranch_execz .LBB30_60
; %bb.59:
	v_mov_b32_e32 v46, 2
	ds_store_2addr_b64 v42, v[8:9], v[26:27] offset0:3 offset1:4
	ds_store_2addr_b64 v42, v[22:23], v[24:25] offset0:5 offset1:6
	;; [unrolled: 1-line block ×6, first 2 shown]
	ds_store_b64 v42, v[36:37] offset:120
.LBB30_60:
	s_or_b32 exec_lo, exec_lo, s0
	s_delay_alu instid0(SALU_CYCLE_1)
	s_mov_b32 s0, exec_lo
	s_wait_storecnt_dscnt 0x0
	s_barrier_signal -1
	s_barrier_wait -1
	v_cmpx_lt_i32_e32 2, v46
	s_cbranch_execz .LBB30_62
; %bb.61:
	v_pk_mul_f32 v[40:41], v[38:39], v[30:31] op_sel:[1,1] op_sel_hi:[0,1]
	s_delay_alu instid0(VALU_DEP_1)
	v_pk_fma_f32 v[48:49], v[38:39], v[30:31], v[40:41] op_sel_hi:[1,0,1] neg_lo:[0,0,1] neg_hi:[0,0,1]
	v_pk_fma_f32 v[50:51], v[38:39], v[30:31], v[40:41] op_sel_hi:[1,0,1]
	ds_load_2addr_b64 v[38:41], v42 offset0:3 offset1:4
	v_dual_mov_b32 v30, v48 :: v_dual_mov_b32 v31, v51
	s_wait_dscnt 0x0
	v_pk_mul_f32 v[52:53], v[38:39], v[50:51] op_sel:[0,1]
	s_delay_alu instid0(VALU_DEP_1) | instskip(SKIP_1) | instid1(VALU_DEP_1)
	v_pk_fma_f32 v[54:55], v[38:39], v[48:49], v[52:53] op_sel:[0,0,1] op_sel_hi:[1,1,0] neg_lo:[0,0,1] neg_hi:[0,0,1]
	v_pk_fma_f32 v[38:39], v[38:39], v[48:49], v[52:53] op_sel:[0,0,1] op_sel_hi:[1,0,0]
	v_mov_b32_e32 v55, v39
	v_pk_mul_f32 v[38:39], v[40:41], v[50:51] op_sel:[0,1]
	s_delay_alu instid0(VALU_DEP_1) | instskip(SKIP_1) | instid1(VALU_DEP_1)
	v_pk_fma_f32 v[52:53], v[40:41], v[48:49], v[38:39] op_sel:[0,0,1] op_sel_hi:[1,1,0] neg_lo:[0,0,1] neg_hi:[0,0,1]
	v_pk_fma_f32 v[38:39], v[40:41], v[48:49], v[38:39] op_sel:[0,0,1] op_sel_hi:[1,0,0]
	v_mov_b32_e32 v53, v39
	ds_load_2addr_b64 v[38:41], v42 offset0:5 offset1:6
	v_pk_add_f32 v[8:9], v[8:9], v[54:55] neg_lo:[0,1] neg_hi:[0,1]
	v_pk_add_f32 v[26:27], v[26:27], v[52:53] neg_lo:[0,1] neg_hi:[0,1]
	s_wait_dscnt 0x0
	v_pk_mul_f32 v[52:53], v[38:39], v[50:51] op_sel:[0,1]
	s_delay_alu instid0(VALU_DEP_1) | instskip(SKIP_2) | instid1(VALU_DEP_2)
	v_pk_fma_f32 v[54:55], v[38:39], v[48:49], v[52:53] op_sel:[0,0,1] op_sel_hi:[1,1,0] neg_lo:[0,0,1] neg_hi:[0,0,1]
	v_pk_fma_f32 v[38:39], v[38:39], v[48:49], v[52:53] op_sel:[0,0,1] op_sel_hi:[1,0,0]
	v_dual_mul_f32 v52, v41, v51 :: v_dual_mov_b32 v38, v41
	v_dual_mov_b32 v55, v39 :: v_dual_mov_b32 v39, v40
	s_delay_alu instid0(VALU_DEP_2) | instskip(SKIP_1) | instid1(VALU_DEP_3)
	v_pk_fma_f32 v[52:53], v[40:41], v[30:31], v[52:53] op_sel_hi:[1,1,0] neg_lo:[0,0,1] neg_hi:[0,0,1]
	v_mul_f32_e32 v40, v41, v48
	v_pk_add_f32 v[22:23], v[22:23], v[54:55] neg_lo:[0,1] neg_hi:[0,1]
	s_delay_alu instid0(VALU_DEP_2) | instskip(NEXT) | instid1(VALU_DEP_1)
	v_pk_fma_f32 v[38:39], v[38:39], v[30:31], v[40:41] op_sel_hi:[1,1,0]
	v_mov_b32_e32 v53, v39
	ds_load_2addr_b64 v[38:41], v42 offset0:7 offset1:8
	v_pk_add_f32 v[24:25], v[24:25], v[52:53] neg_lo:[0,1] neg_hi:[0,1]
	s_wait_dscnt 0x0
	v_pk_mul_f32 v[52:53], v[38:39], v[50:51] op_sel:[0,1]
	s_delay_alu instid0(VALU_DEP_1) | instskip(SKIP_1) | instid1(VALU_DEP_1)
	v_pk_fma_f32 v[54:55], v[38:39], v[48:49], v[52:53] op_sel:[0,0,1] op_sel_hi:[1,1,0] neg_lo:[0,0,1] neg_hi:[0,0,1]
	v_pk_fma_f32 v[38:39], v[38:39], v[48:49], v[52:53] op_sel:[0,0,1] op_sel_hi:[1,0,0]
	v_mov_b32_e32 v55, v39
	v_pk_mul_f32 v[38:39], v[40:41], v[50:51] op_sel:[0,1]
	s_delay_alu instid0(VALU_DEP_1) | instskip(SKIP_1) | instid1(VALU_DEP_1)
	v_pk_fma_f32 v[52:53], v[40:41], v[48:49], v[38:39] op_sel:[0,0,1] op_sel_hi:[1,1,0] neg_lo:[0,0,1] neg_hi:[0,0,1]
	v_pk_fma_f32 v[38:39], v[40:41], v[48:49], v[38:39] op_sel:[0,0,1] op_sel_hi:[1,0,0]
	v_mov_b32_e32 v53, v39
	ds_load_2addr_b64 v[38:41], v42 offset0:9 offset1:10
	v_pk_add_f32 v[6:7], v[6:7], v[54:55] neg_lo:[0,1] neg_hi:[0,1]
	v_pk_add_f32 v[20:21], v[20:21], v[52:53] neg_lo:[0,1] neg_hi:[0,1]
	s_wait_dscnt 0x0
	v_pk_mul_f32 v[52:53], v[38:39], v[50:51] op_sel:[0,1]
	s_delay_alu instid0(VALU_DEP_1) | instskip(SKIP_1) | instid1(VALU_DEP_1)
	v_pk_fma_f32 v[54:55], v[38:39], v[48:49], v[52:53] op_sel:[0,0,1] op_sel_hi:[1,1,0] neg_lo:[0,0,1] neg_hi:[0,0,1]
	v_pk_fma_f32 v[38:39], v[38:39], v[48:49], v[52:53] op_sel:[0,0,1] op_sel_hi:[1,0,0]
	v_mov_b32_e32 v55, v39
	v_pk_mul_f32 v[38:39], v[40:41], v[50:51] op_sel:[0,1]
	s_delay_alu instid0(VALU_DEP_1) | instskip(SKIP_1) | instid1(VALU_DEP_1)
	v_pk_fma_f32 v[52:53], v[40:41], v[48:49], v[38:39] op_sel:[0,0,1] op_sel_hi:[1,1,0] neg_lo:[0,0,1] neg_hi:[0,0,1]
	v_pk_fma_f32 v[38:39], v[40:41], v[48:49], v[38:39] op_sel:[0,0,1] op_sel_hi:[1,0,0]
	v_mov_b32_e32 v53, v39
	ds_load_2addr_b64 v[38:41], v42 offset0:11 offset1:12
	v_pk_add_f32 v[16:17], v[16:17], v[54:55] neg_lo:[0,1] neg_hi:[0,1]
	v_pk_add_f32 v[18:19], v[18:19], v[52:53] neg_lo:[0,1] neg_hi:[0,1]
	s_wait_dscnt 0x0
	v_dual_mul_f32 v52, v39, v51 :: v_dual_mul_f32 v54, v39, v48
	s_delay_alu instid0(VALU_DEP_1) | instskip(NEXT) | instid1(VALU_DEP_2)
	v_pk_fma_f32 v[52:53], v[38:39], v[30:31], v[52:53] op_sel_hi:[1,1,0] neg_lo:[0,0,1] neg_hi:[0,0,1]
	v_pk_fma_f32 v[38:39], v[38:39], v[30:31], v[54:55] op_sel:[1,0,0] op_sel_hi:[0,1,0]
	s_delay_alu instid0(VALU_DEP_1) | instskip(SKIP_1) | instid1(VALU_DEP_2)
	v_mov_b32_e32 v53, v39
	v_pk_mul_f32 v[38:39], v[40:41], v[50:51] op_sel:[0,1]
	v_pk_add_f32 v[4:5], v[4:5], v[52:53] neg_lo:[0,1] neg_hi:[0,1]
	s_delay_alu instid0(VALU_DEP_2) | instskip(SKIP_1) | instid1(VALU_DEP_1)
	v_pk_fma_f32 v[52:53], v[40:41], v[48:49], v[38:39] op_sel:[0,0,1] op_sel_hi:[1,1,0] neg_lo:[0,0,1] neg_hi:[0,0,1]
	v_pk_fma_f32 v[38:39], v[40:41], v[48:49], v[38:39] op_sel:[0,0,1] op_sel_hi:[1,0,0]
	v_mov_b32_e32 v53, v39
	ds_load_2addr_b64 v[38:41], v42 offset0:13 offset1:14
	v_pk_add_f32 v[14:15], v[14:15], v[52:53] neg_lo:[0,1] neg_hi:[0,1]
	s_wait_dscnt 0x0
	v_pk_mul_f32 v[52:53], v[38:39], v[50:51] op_sel:[0,1]
	s_delay_alu instid0(VALU_DEP_1) | instskip(SKIP_1) | instid1(VALU_DEP_1)
	v_pk_fma_f32 v[54:55], v[38:39], v[48:49], v[52:53] op_sel:[0,0,1] op_sel_hi:[1,1,0] neg_lo:[0,0,1] neg_hi:[0,0,1]
	v_pk_fma_f32 v[38:39], v[38:39], v[48:49], v[52:53] op_sel:[0,0,1] op_sel_hi:[1,0,0]
	v_mov_b32_e32 v55, v39
	v_pk_mul_f32 v[38:39], v[40:41], v[50:51] op_sel:[0,1]
	s_delay_alu instid0(VALU_DEP_2) | instskip(NEXT) | instid1(VALU_DEP_2)
	v_pk_add_f32 v[12:13], v[12:13], v[54:55] neg_lo:[0,1] neg_hi:[0,1]
	v_pk_fma_f32 v[52:53], v[40:41], v[48:49], v[38:39] op_sel:[0,0,1] op_sel_hi:[1,1,0] neg_lo:[0,0,1] neg_hi:[0,0,1]
	v_pk_fma_f32 v[38:39], v[40:41], v[48:49], v[38:39] op_sel:[0,0,1] op_sel_hi:[1,0,0]
	s_delay_alu instid0(VALU_DEP_1) | instskip(SKIP_4) | instid1(VALU_DEP_1)
	v_mov_b32_e32 v53, v39
	ds_load_b64 v[38:39], v42 offset:120
	v_pk_add_f32 v[10:11], v[10:11], v[52:53] neg_lo:[0,1] neg_hi:[0,1]
	s_wait_dscnt 0x0
	v_pk_mul_f32 v[40:41], v[38:39], v[50:51] op_sel:[0,1]
	v_pk_fma_f32 v[50:51], v[38:39], v[48:49], v[40:41] op_sel:[0,0,1] op_sel_hi:[1,1,0] neg_lo:[0,0,1] neg_hi:[0,0,1]
	v_pk_fma_f32 v[38:39], v[38:39], v[48:49], v[40:41] op_sel:[0,0,1] op_sel_hi:[1,0,0]
	s_delay_alu instid0(VALU_DEP_1) | instskip(NEXT) | instid1(VALU_DEP_1)
	v_mov_b32_e32 v51, v39
	v_pk_add_f32 v[36:37], v[36:37], v[50:51] neg_lo:[0,1] neg_hi:[0,1]
.LBB30_62:
	s_or_b32 exec_lo, exec_lo, s0
	v_lshl_add_u32 v38, v46, 3, v42
	s_barrier_signal -1
	s_barrier_wait -1
	ds_store_b64 v38, v[8:9]
	s_wait_dscnt 0x0
	s_barrier_signal -1
	s_barrier_wait -1
	ds_load_b64 v[38:39], v42 offset:24
	v_mov_b32_e32 v40, 3
	s_cmp_lt_i32 s14, 5
	s_cbranch_scc1 .LBB30_65
; %bb.63:
	v_mov_b32_e32 v40, 3
	v_add3_u32 v41, v43, 0, 32
	s_mov_b32 s0, 4
.LBB30_64:                              ; =>This Inner Loop Header: Depth=1
	ds_load_b64 v[48:49], v41
	s_wait_dscnt 0x1
	v_cmp_gt_f32_e32 vcc_lo, 0, v38
	v_cndmask_b32_e64 v50, v38, -v38, vcc_lo
	v_cmp_gt_f32_e32 vcc_lo, 0, v39
	v_cndmask_b32_e64 v52, v39, -v39, vcc_lo
	s_wait_dscnt 0x0
	v_cmp_gt_f32_e32 vcc_lo, 0, v48
	v_cndmask_b32_e64 v51, v48, -v48, vcc_lo
	v_cmp_gt_f32_e32 vcc_lo, 0, v49
	v_cndmask_b32_e64 v53, v49, -v49, vcc_lo
	s_delay_alu instid0(VALU_DEP_1) | instskip(NEXT) | instid1(VALU_DEP_1)
	v_pk_add_f32 v[50:51], v[50:51], v[52:53]
	v_cmp_lt_f32_e32 vcc_lo, v50, v51
	v_dual_cndmask_b32 v38, v38, v48 :: v_dual_add_nc_u32 v41, 8, v41
	v_cndmask_b32_e32 v39, v39, v49, vcc_lo
	v_cndmask_b32_e64 v40, v40, s0, vcc_lo
	s_add_co_i32 s0, s0, 1
	s_delay_alu instid0(SALU_CYCLE_1)
	s_cmp_lg_u32 s14, s0
	s_cbranch_scc1 .LBB30_64
.LBB30_65:
	s_wait_dscnt 0x0
	v_cmp_eq_f32_e32 vcc_lo, 0, v38
	v_cmp_eq_f32_e64 s0, 0, v39
	s_and_b32 s0, vcc_lo, s0
	s_delay_alu instid0(SALU_CYCLE_1) | instskip(NEXT) | instid1(SALU_CYCLE_1)
	s_and_saveexec_b32 s1, s0
	s_xor_b32 s0, exec_lo, s1
; %bb.66:
	v_cmp_ne_u32_e32 vcc_lo, 0, v45
	v_cndmask_b32_e32 v45, 4, v45, vcc_lo
; %bb.67:
	s_and_not1_saveexec_b32 s0, s0
	s_cbranch_execz .LBB30_73
; %bb.68:
	v_cmp_ngt_f32_e64 s1, |v38|, |v39|
	s_and_saveexec_b32 s15, s1
	s_delay_alu instid0(SALU_CYCLE_1)
	s_xor_b32 s1, exec_lo, s15
	s_cbranch_execz .LBB30_70
; %bb.69:
	v_div_scale_f32 v41, null, v39, v39, v38
	v_div_scale_f32 v49, vcc_lo, v38, v39, v38
	s_delay_alu instid0(VALU_DEP_2) | instskip(SKIP_1) | instid1(TRANS32_DEP_1)
	v_rcp_f32_e32 v47, v41
	v_nop
	v_fma_f32 v48, -v41, v47, 1.0
	s_delay_alu instid0(VALU_DEP_1) | instskip(NEXT) | instid1(VALU_DEP_1)
	v_fmac_f32_e32 v47, v48, v47
	v_mul_f32_e32 v48, v49, v47
	s_delay_alu instid0(VALU_DEP_1) | instskip(NEXT) | instid1(VALU_DEP_1)
	v_fma_f32 v50, -v41, v48, v49
	v_fmac_f32_e32 v48, v50, v47
	s_delay_alu instid0(VALU_DEP_1) | instskip(NEXT) | instid1(VALU_DEP_1)
	v_fma_f32 v41, -v41, v48, v49
	v_div_fmas_f32 v41, v41, v47, v48
	s_delay_alu instid0(VALU_DEP_1) | instskip(NEXT) | instid1(VALU_DEP_1)
	v_div_fixup_f32 v41, v41, v39, v38
	v_fmac_f32_e32 v39, v38, v41
	s_delay_alu instid0(VALU_DEP_1) | instskip(SKIP_1) | instid1(VALU_DEP_2)
	v_div_scale_f32 v38, null, v39, v39, 1.0
	v_div_scale_f32 v49, vcc_lo, 1.0, v39, 1.0
	v_rcp_f32_e32 v47, v38
	v_nop
	s_delay_alu instid0(TRANS32_DEP_1) | instskip(NEXT) | instid1(VALU_DEP_1)
	v_fma_f32 v48, -v38, v47, 1.0
	v_fmac_f32_e32 v47, v48, v47
	s_delay_alu instid0(VALU_DEP_1) | instskip(NEXT) | instid1(VALU_DEP_1)
	v_mul_f32_e32 v48, v49, v47
	v_fma_f32 v50, -v38, v48, v49
	s_delay_alu instid0(VALU_DEP_1) | instskip(NEXT) | instid1(VALU_DEP_1)
	v_fmac_f32_e32 v48, v50, v47
	v_fma_f32 v38, -v38, v48, v49
	s_delay_alu instid0(VALU_DEP_1) | instskip(NEXT) | instid1(VALU_DEP_1)
	v_div_fmas_f32 v38, v38, v47, v48
	v_div_fixup_f32 v39, v38, v39, 1.0
	s_delay_alu instid0(VALU_DEP_1)
	v_mul_f32_e32 v38, v41, v39
	v_xor_b32_e32 v39, 0x80000000, v39
.LBB30_70:
	s_and_not1_saveexec_b32 s1, s1
	s_cbranch_execz .LBB30_72
; %bb.71:
	s_delay_alu instid0(VALU_DEP_1) | instskip(SKIP_1) | instid1(VALU_DEP_2)
	v_div_scale_f32 v41, null, v38, v38, v39
	v_div_scale_f32 v49, vcc_lo, v39, v38, v39
	v_rcp_f32_e32 v47, v41
	v_nop
	s_delay_alu instid0(TRANS32_DEP_1) | instskip(NEXT) | instid1(VALU_DEP_1)
	v_fma_f32 v48, -v41, v47, 1.0
	v_fmac_f32_e32 v47, v48, v47
	s_delay_alu instid0(VALU_DEP_1) | instskip(NEXT) | instid1(VALU_DEP_1)
	v_mul_f32_e32 v48, v49, v47
	v_fma_f32 v50, -v41, v48, v49
	s_delay_alu instid0(VALU_DEP_1) | instskip(NEXT) | instid1(VALU_DEP_1)
	v_fmac_f32_e32 v48, v50, v47
	v_fma_f32 v41, -v41, v48, v49
	s_delay_alu instid0(VALU_DEP_1) | instskip(NEXT) | instid1(VALU_DEP_1)
	v_div_fmas_f32 v41, v41, v47, v48
	v_div_fixup_f32 v41, v41, v38, v39
	s_delay_alu instid0(VALU_DEP_1) | instskip(NEXT) | instid1(VALU_DEP_1)
	v_fmac_f32_e32 v38, v39, v41
	v_div_scale_f32 v39, null, v38, v38, 1.0
	s_delay_alu instid0(VALU_DEP_1) | instskip(SKIP_1) | instid1(TRANS32_DEP_1)
	v_rcp_f32_e32 v47, v39
	v_nop
	v_fma_f32 v48, -v39, v47, 1.0
	s_delay_alu instid0(VALU_DEP_1) | instskip(SKIP_1) | instid1(VALU_DEP_1)
	v_fmac_f32_e32 v47, v48, v47
	v_div_scale_f32 v48, vcc_lo, 1.0, v38, 1.0
	v_mul_f32_e32 v49, v48, v47
	s_delay_alu instid0(VALU_DEP_1) | instskip(NEXT) | instid1(VALU_DEP_1)
	v_fma_f32 v50, -v39, v49, v48
	v_fmac_f32_e32 v49, v50, v47
	s_delay_alu instid0(VALU_DEP_1) | instskip(NEXT) | instid1(VALU_DEP_1)
	v_fma_f32 v39, -v39, v49, v48
	v_div_fmas_f32 v39, v39, v47, v49
	s_delay_alu instid0(VALU_DEP_1) | instskip(NEXT) | instid1(VALU_DEP_1)
	v_div_fixup_f32 v38, v39, v38, 1.0
	v_mul_f32_e64 v39, v41, -v38
.LBB30_72:
	s_or_b32 exec_lo, exec_lo, s1
.LBB30_73:
	s_delay_alu instid0(SALU_CYCLE_1) | instskip(NEXT) | instid1(SALU_CYCLE_1)
	s_or_b32 exec_lo, exec_lo, s0
	s_mov_b32 s0, exec_lo
	v_cmpx_ne_u32_e64 v46, v40
	s_xor_b32 s0, exec_lo, s0
	s_cbranch_execz .LBB30_79
; %bb.74:
	s_mov_b32 s1, exec_lo
	v_cmpx_eq_u32_e32 3, v46
	s_cbranch_execz .LBB30_78
; %bb.75:
	v_cmp_ne_u32_e32 vcc_lo, 3, v40
	s_xor_b32 s15, s12, -1
	s_delay_alu instid0(SALU_CYCLE_1) | instskip(NEXT) | instid1(SALU_CYCLE_1)
	s_and_b32 s16, s15, vcc_lo
	s_and_saveexec_b32 s15, s16
	s_cbranch_execz .LBB30_77
; %bb.76:
	v_ashrrev_i32_e32 v41, 31, v40
	s_delay_alu instid0(VALU_DEP_1)
	v_lshl_add_u64 v[46:47], v[40:41], 2, v[32:33]
	s_clause 0x1
	global_load_b32 v41, v[46:47], off
	global_load_b32 v44, v[32:33], off offset:12
	s_wait_loadcnt 0x1
	global_store_b32 v[32:33], v41, off offset:12
	s_wait_loadcnt 0x0
	global_store_b32 v[46:47], v44, off
.LBB30_77:
	s_wait_xcnt 0x0
	s_or_b32 exec_lo, exec_lo, s15
	v_dual_mov_b32 v46, v40 :: v_dual_mov_b32 v44, v40
.LBB30_78:
	s_or_b32 exec_lo, exec_lo, s1
.LBB30_79:
	s_and_not1_saveexec_b32 s0, s0
	s_cbranch_execz .LBB30_81
; %bb.80:
	v_dual_mov_b32 v40, v26 :: v_dual_mov_b32 v41, v27
	v_dual_mov_b32 v46, v22 :: v_dual_mov_b32 v47, v23
	;; [unrolled: 1-line block ×4, first 2 shown]
	ds_store_2addr_b64 v42, v[40:41], v[46:47] offset0:4 offset1:5
	ds_store_2addr_b64 v42, v[48:49], v[50:51] offset0:6 offset1:7
	v_dual_mov_b32 v40, v20 :: v_dual_mov_b32 v41, v21
	v_dual_mov_b32 v48, v16 :: v_dual_mov_b32 v49, v17
	;; [unrolled: 1-line block ×7, first 2 shown]
	v_mov_b32_e32 v59, v11
	ds_store_2addr_b64 v42, v[40:41], v[48:49] offset0:8 offset1:9
	ds_store_2addr_b64 v42, v[50:51], v[52:53] offset0:10 offset1:11
	;; [unrolled: 1-line block ×4, first 2 shown]
.LBB30_81:
	s_or_b32 exec_lo, exec_lo, s0
	s_delay_alu instid0(SALU_CYCLE_1)
	s_mov_b32 s0, exec_lo
	s_wait_storecnt_dscnt 0x0
	s_barrier_signal -1
	s_barrier_wait -1
	v_cmpx_lt_i32_e32 3, v46
	s_cbranch_execz .LBB30_83
; %bb.82:
	v_pk_mul_f32 v[40:41], v[38:39], v[8:9] op_sel:[1,1] op_sel_hi:[0,1]
	s_delay_alu instid0(VALU_DEP_1)
	v_pk_fma_f32 v[48:49], v[38:39], v[8:9], v[40:41] op_sel_hi:[1,0,1] neg_lo:[0,0,1] neg_hi:[0,0,1]
	v_pk_fma_f32 v[50:51], v[38:39], v[8:9], v[40:41] op_sel_hi:[1,0,1]
	ds_load_2addr_b64 v[38:41], v42 offset0:4 offset1:5
	v_dual_mov_b32 v8, v48 :: v_dual_mov_b32 v9, v51
	s_wait_dscnt 0x0
	v_pk_mul_f32 v[52:53], v[38:39], v[50:51] op_sel:[0,1]
	s_delay_alu instid0(VALU_DEP_1) | instskip(SKIP_1) | instid1(VALU_DEP_1)
	v_pk_fma_f32 v[54:55], v[38:39], v[48:49], v[52:53] op_sel:[0,0,1] op_sel_hi:[1,1,0] neg_lo:[0,0,1] neg_hi:[0,0,1]
	v_pk_fma_f32 v[38:39], v[38:39], v[48:49], v[52:53] op_sel:[0,0,1] op_sel_hi:[1,0,0]
	v_mov_b32_e32 v55, v39
	v_pk_mul_f32 v[38:39], v[40:41], v[50:51] op_sel:[0,1]
	s_delay_alu instid0(VALU_DEP_1) | instskip(SKIP_1) | instid1(VALU_DEP_1)
	v_pk_fma_f32 v[52:53], v[40:41], v[48:49], v[38:39] op_sel:[0,0,1] op_sel_hi:[1,1,0] neg_lo:[0,0,1] neg_hi:[0,0,1]
	v_pk_fma_f32 v[38:39], v[40:41], v[48:49], v[38:39] op_sel:[0,0,1] op_sel_hi:[1,0,0]
	v_mov_b32_e32 v53, v39
	ds_load_2addr_b64 v[38:41], v42 offset0:6 offset1:7
	v_pk_add_f32 v[26:27], v[26:27], v[54:55] neg_lo:[0,1] neg_hi:[0,1]
	v_pk_add_f32 v[22:23], v[22:23], v[52:53] neg_lo:[0,1] neg_hi:[0,1]
	s_wait_dscnt 0x0
	v_pk_mul_f32 v[52:53], v[38:39], v[50:51] op_sel:[0,1]
	s_delay_alu instid0(VALU_DEP_1) | instskip(SKIP_2) | instid1(VALU_DEP_2)
	v_pk_fma_f32 v[54:55], v[38:39], v[48:49], v[52:53] op_sel:[0,0,1] op_sel_hi:[1,1,0] neg_lo:[0,0,1] neg_hi:[0,0,1]
	v_pk_fma_f32 v[38:39], v[38:39], v[48:49], v[52:53] op_sel:[0,0,1] op_sel_hi:[1,0,0]
	v_dual_mul_f32 v52, v41, v51 :: v_dual_mov_b32 v38, v41
	v_dual_mov_b32 v55, v39 :: v_dual_mov_b32 v39, v40
	s_delay_alu instid0(VALU_DEP_2) | instskip(SKIP_1) | instid1(VALU_DEP_3)
	v_pk_fma_f32 v[52:53], v[40:41], v[8:9], v[52:53] op_sel_hi:[1,1,0] neg_lo:[0,0,1] neg_hi:[0,0,1]
	v_mul_f32_e32 v40, v41, v48
	v_pk_add_f32 v[24:25], v[24:25], v[54:55] neg_lo:[0,1] neg_hi:[0,1]
	s_delay_alu instid0(VALU_DEP_2) | instskip(NEXT) | instid1(VALU_DEP_1)
	v_pk_fma_f32 v[38:39], v[38:39], v[8:9], v[40:41] op_sel_hi:[1,1,0]
	v_mov_b32_e32 v53, v39
	ds_load_2addr_b64 v[38:41], v42 offset0:8 offset1:9
	v_pk_add_f32 v[6:7], v[6:7], v[52:53] neg_lo:[0,1] neg_hi:[0,1]
	s_wait_dscnt 0x0
	v_pk_mul_f32 v[52:53], v[38:39], v[50:51] op_sel:[0,1]
	s_delay_alu instid0(VALU_DEP_1) | instskip(SKIP_1) | instid1(VALU_DEP_1)
	v_pk_fma_f32 v[54:55], v[38:39], v[48:49], v[52:53] op_sel:[0,0,1] op_sel_hi:[1,1,0] neg_lo:[0,0,1] neg_hi:[0,0,1]
	v_pk_fma_f32 v[38:39], v[38:39], v[48:49], v[52:53] op_sel:[0,0,1] op_sel_hi:[1,0,0]
	v_mov_b32_e32 v55, v39
	v_pk_mul_f32 v[38:39], v[40:41], v[50:51] op_sel:[0,1]
	s_delay_alu instid0(VALU_DEP_1) | instskip(SKIP_1) | instid1(VALU_DEP_1)
	v_pk_fma_f32 v[52:53], v[40:41], v[48:49], v[38:39] op_sel:[0,0,1] op_sel_hi:[1,1,0] neg_lo:[0,0,1] neg_hi:[0,0,1]
	v_pk_fma_f32 v[38:39], v[40:41], v[48:49], v[38:39] op_sel:[0,0,1] op_sel_hi:[1,0,0]
	v_mov_b32_e32 v53, v39
	ds_load_2addr_b64 v[38:41], v42 offset0:10 offset1:11
	v_pk_add_f32 v[20:21], v[20:21], v[54:55] neg_lo:[0,1] neg_hi:[0,1]
	v_pk_add_f32 v[16:17], v[16:17], v[52:53] neg_lo:[0,1] neg_hi:[0,1]
	s_wait_dscnt 0x0
	v_pk_mul_f32 v[52:53], v[38:39], v[50:51] op_sel:[0,1]
	s_delay_alu instid0(VALU_DEP_1) | instskip(SKIP_1) | instid1(VALU_DEP_1)
	v_pk_fma_f32 v[54:55], v[38:39], v[48:49], v[52:53] op_sel:[0,0,1] op_sel_hi:[1,1,0] neg_lo:[0,0,1] neg_hi:[0,0,1]
	v_pk_fma_f32 v[38:39], v[38:39], v[48:49], v[52:53] op_sel:[0,0,1] op_sel_hi:[1,0,0]
	v_mov_b32_e32 v55, v39
	v_pk_mul_f32 v[38:39], v[40:41], v[50:51] op_sel:[0,1]
	s_delay_alu instid0(VALU_DEP_1) | instskip(SKIP_1) | instid1(VALU_DEP_1)
	v_pk_fma_f32 v[52:53], v[40:41], v[48:49], v[38:39] op_sel:[0,0,1] op_sel_hi:[1,1,0] neg_lo:[0,0,1] neg_hi:[0,0,1]
	v_pk_fma_f32 v[38:39], v[40:41], v[48:49], v[38:39] op_sel:[0,0,1] op_sel_hi:[1,0,0]
	v_mov_b32_e32 v53, v39
	ds_load_2addr_b64 v[38:41], v42 offset0:12 offset1:13
	v_pk_add_f32 v[18:19], v[18:19], v[54:55] neg_lo:[0,1] neg_hi:[0,1]
	v_pk_add_f32 v[4:5], v[4:5], v[52:53] neg_lo:[0,1] neg_hi:[0,1]
	s_wait_dscnt 0x0
	v_dual_mul_f32 v52, v39, v51 :: v_dual_mul_f32 v54, v39, v48
	s_delay_alu instid0(VALU_DEP_1) | instskip(NEXT) | instid1(VALU_DEP_2)
	v_pk_fma_f32 v[52:53], v[38:39], v[8:9], v[52:53] op_sel_hi:[1,1,0] neg_lo:[0,0,1] neg_hi:[0,0,1]
	v_pk_fma_f32 v[38:39], v[38:39], v[8:9], v[54:55] op_sel:[1,0,0] op_sel_hi:[0,1,0]
	s_delay_alu instid0(VALU_DEP_1) | instskip(SKIP_1) | instid1(VALU_DEP_2)
	v_mov_b32_e32 v53, v39
	v_pk_mul_f32 v[38:39], v[40:41], v[50:51] op_sel:[0,1]
	v_pk_add_f32 v[14:15], v[14:15], v[52:53] neg_lo:[0,1] neg_hi:[0,1]
	s_delay_alu instid0(VALU_DEP_2) | instskip(SKIP_1) | instid1(VALU_DEP_1)
	v_pk_fma_f32 v[52:53], v[40:41], v[48:49], v[38:39] op_sel:[0,0,1] op_sel_hi:[1,1,0] neg_lo:[0,0,1] neg_hi:[0,0,1]
	v_pk_fma_f32 v[38:39], v[40:41], v[48:49], v[38:39] op_sel:[0,0,1] op_sel_hi:[1,0,0]
	v_mov_b32_e32 v53, v39
	ds_load_2addr_b64 v[38:41], v42 offset0:14 offset1:15
	v_pk_add_f32 v[12:13], v[12:13], v[52:53] neg_lo:[0,1] neg_hi:[0,1]
	s_wait_dscnt 0x0
	v_pk_mul_f32 v[52:53], v[38:39], v[50:51] op_sel:[0,1]
	v_mul_f32_e32 v50, v41, v51
	s_delay_alu instid0(VALU_DEP_2) | instskip(SKIP_2) | instid1(VALU_DEP_4)
	v_pk_fma_f32 v[54:55], v[38:39], v[48:49], v[52:53] op_sel:[0,0,1] op_sel_hi:[1,1,0] neg_lo:[0,0,1] neg_hi:[0,0,1]
	v_pk_fma_f32 v[38:39], v[38:39], v[48:49], v[52:53] op_sel:[0,0,1] op_sel_hi:[1,0,0]
	v_mov_b32_e32 v38, v41
	v_pk_fma_f32 v[50:51], v[40:41], v[8:9], v[50:51] op_sel_hi:[1,1,0] neg_lo:[0,0,1] neg_hi:[0,0,1]
	s_delay_alu instid0(VALU_DEP_3) | instskip(SKIP_1) | instid1(VALU_DEP_2)
	v_dual_mov_b32 v55, v39 :: v_dual_mov_b32 v39, v40
	v_mul_f32_e32 v40, v41, v48
	v_pk_add_f32 v[10:11], v[10:11], v[54:55] neg_lo:[0,1] neg_hi:[0,1]
	s_delay_alu instid0(VALU_DEP_2) | instskip(NEXT) | instid1(VALU_DEP_1)
	v_pk_fma_f32 v[38:39], v[38:39], v[8:9], v[40:41] op_sel_hi:[1,1,0]
	v_mov_b32_e32 v51, v39
	s_delay_alu instid0(VALU_DEP_1)
	v_pk_add_f32 v[36:37], v[36:37], v[50:51] neg_lo:[0,1] neg_hi:[0,1]
.LBB30_83:
	s_or_b32 exec_lo, exec_lo, s0
	v_lshl_add_u32 v38, v46, 3, v42
	s_barrier_signal -1
	s_barrier_wait -1
	ds_store_b64 v38, v[26:27]
	s_wait_dscnt 0x0
	s_barrier_signal -1
	s_barrier_wait -1
	ds_load_b64 v[38:39], v42 offset:32
	v_mov_b32_e32 v40, 4
	s_cmp_lt_i32 s14, 6
	s_cbranch_scc1 .LBB30_86
; %bb.84:
	v_add3_u32 v41, v43, 0, 40
	v_mov_b32_e32 v40, 4
	s_mov_b32 s0, 5
.LBB30_85:                              ; =>This Inner Loop Header: Depth=1
	ds_load_b64 v[48:49], v41
	s_wait_dscnt 0x1
	v_cmp_gt_f32_e32 vcc_lo, 0, v38
	v_cndmask_b32_e64 v50, v38, -v38, vcc_lo
	v_cmp_gt_f32_e32 vcc_lo, 0, v39
	v_cndmask_b32_e64 v52, v39, -v39, vcc_lo
	s_wait_dscnt 0x0
	v_cmp_gt_f32_e32 vcc_lo, 0, v48
	v_cndmask_b32_e64 v51, v48, -v48, vcc_lo
	v_cmp_gt_f32_e32 vcc_lo, 0, v49
	v_cndmask_b32_e64 v53, v49, -v49, vcc_lo
	s_delay_alu instid0(VALU_DEP_1) | instskip(NEXT) | instid1(VALU_DEP_1)
	v_pk_add_f32 v[50:51], v[50:51], v[52:53]
	v_cmp_lt_f32_e32 vcc_lo, v50, v51
	v_dual_cndmask_b32 v38, v38, v48 :: v_dual_add_nc_u32 v41, 8, v41
	v_cndmask_b32_e32 v39, v39, v49, vcc_lo
	v_cndmask_b32_e64 v40, v40, s0, vcc_lo
	s_add_co_i32 s0, s0, 1
	s_delay_alu instid0(SALU_CYCLE_1)
	s_cmp_lg_u32 s14, s0
	s_cbranch_scc1 .LBB30_85
.LBB30_86:
	s_wait_dscnt 0x0
	v_cmp_eq_f32_e32 vcc_lo, 0, v38
	v_cmp_eq_f32_e64 s0, 0, v39
	s_and_b32 s0, vcc_lo, s0
	s_delay_alu instid0(SALU_CYCLE_1) | instskip(NEXT) | instid1(SALU_CYCLE_1)
	s_and_saveexec_b32 s1, s0
	s_xor_b32 s0, exec_lo, s1
; %bb.87:
	v_cmp_ne_u32_e32 vcc_lo, 0, v45
	v_cndmask_b32_e32 v45, 5, v45, vcc_lo
; %bb.88:
	s_and_not1_saveexec_b32 s0, s0
	s_cbranch_execz .LBB30_94
; %bb.89:
	v_cmp_ngt_f32_e64 s1, |v38|, |v39|
	s_and_saveexec_b32 s15, s1
	s_delay_alu instid0(SALU_CYCLE_1)
	s_xor_b32 s1, exec_lo, s15
	s_cbranch_execz .LBB30_91
; %bb.90:
	v_div_scale_f32 v41, null, v39, v39, v38
	v_div_scale_f32 v49, vcc_lo, v38, v39, v38
	s_delay_alu instid0(VALU_DEP_2) | instskip(SKIP_1) | instid1(TRANS32_DEP_1)
	v_rcp_f32_e32 v47, v41
	v_nop
	v_fma_f32 v48, -v41, v47, 1.0
	s_delay_alu instid0(VALU_DEP_1) | instskip(NEXT) | instid1(VALU_DEP_1)
	v_fmac_f32_e32 v47, v48, v47
	v_mul_f32_e32 v48, v49, v47
	s_delay_alu instid0(VALU_DEP_1) | instskip(NEXT) | instid1(VALU_DEP_1)
	v_fma_f32 v50, -v41, v48, v49
	v_fmac_f32_e32 v48, v50, v47
	s_delay_alu instid0(VALU_DEP_1) | instskip(NEXT) | instid1(VALU_DEP_1)
	v_fma_f32 v41, -v41, v48, v49
	v_div_fmas_f32 v41, v41, v47, v48
	s_delay_alu instid0(VALU_DEP_1) | instskip(NEXT) | instid1(VALU_DEP_1)
	v_div_fixup_f32 v41, v41, v39, v38
	v_fmac_f32_e32 v39, v38, v41
	s_delay_alu instid0(VALU_DEP_1) | instskip(SKIP_1) | instid1(VALU_DEP_2)
	v_div_scale_f32 v38, null, v39, v39, 1.0
	v_div_scale_f32 v49, vcc_lo, 1.0, v39, 1.0
	v_rcp_f32_e32 v47, v38
	v_nop
	s_delay_alu instid0(TRANS32_DEP_1) | instskip(NEXT) | instid1(VALU_DEP_1)
	v_fma_f32 v48, -v38, v47, 1.0
	v_fmac_f32_e32 v47, v48, v47
	s_delay_alu instid0(VALU_DEP_1) | instskip(NEXT) | instid1(VALU_DEP_1)
	v_mul_f32_e32 v48, v49, v47
	v_fma_f32 v50, -v38, v48, v49
	s_delay_alu instid0(VALU_DEP_1) | instskip(NEXT) | instid1(VALU_DEP_1)
	v_fmac_f32_e32 v48, v50, v47
	v_fma_f32 v38, -v38, v48, v49
	s_delay_alu instid0(VALU_DEP_1) | instskip(NEXT) | instid1(VALU_DEP_1)
	v_div_fmas_f32 v38, v38, v47, v48
	v_div_fixup_f32 v39, v38, v39, 1.0
	s_delay_alu instid0(VALU_DEP_1)
	v_mul_f32_e32 v38, v41, v39
	v_xor_b32_e32 v39, 0x80000000, v39
.LBB30_91:
	s_and_not1_saveexec_b32 s1, s1
	s_cbranch_execz .LBB30_93
; %bb.92:
	s_delay_alu instid0(VALU_DEP_1) | instskip(SKIP_1) | instid1(VALU_DEP_2)
	v_div_scale_f32 v41, null, v38, v38, v39
	v_div_scale_f32 v49, vcc_lo, v39, v38, v39
	v_rcp_f32_e32 v47, v41
	v_nop
	s_delay_alu instid0(TRANS32_DEP_1) | instskip(NEXT) | instid1(VALU_DEP_1)
	v_fma_f32 v48, -v41, v47, 1.0
	v_fmac_f32_e32 v47, v48, v47
	s_delay_alu instid0(VALU_DEP_1) | instskip(NEXT) | instid1(VALU_DEP_1)
	v_mul_f32_e32 v48, v49, v47
	v_fma_f32 v50, -v41, v48, v49
	s_delay_alu instid0(VALU_DEP_1) | instskip(NEXT) | instid1(VALU_DEP_1)
	v_fmac_f32_e32 v48, v50, v47
	v_fma_f32 v41, -v41, v48, v49
	s_delay_alu instid0(VALU_DEP_1) | instskip(NEXT) | instid1(VALU_DEP_1)
	v_div_fmas_f32 v41, v41, v47, v48
	v_div_fixup_f32 v41, v41, v38, v39
	s_delay_alu instid0(VALU_DEP_1) | instskip(NEXT) | instid1(VALU_DEP_1)
	v_fmac_f32_e32 v38, v39, v41
	v_div_scale_f32 v39, null, v38, v38, 1.0
	s_delay_alu instid0(VALU_DEP_1) | instskip(SKIP_1) | instid1(TRANS32_DEP_1)
	v_rcp_f32_e32 v47, v39
	v_nop
	v_fma_f32 v48, -v39, v47, 1.0
	s_delay_alu instid0(VALU_DEP_1) | instskip(SKIP_1) | instid1(VALU_DEP_1)
	v_fmac_f32_e32 v47, v48, v47
	v_div_scale_f32 v48, vcc_lo, 1.0, v38, 1.0
	v_mul_f32_e32 v49, v48, v47
	s_delay_alu instid0(VALU_DEP_1) | instskip(NEXT) | instid1(VALU_DEP_1)
	v_fma_f32 v50, -v39, v49, v48
	v_fmac_f32_e32 v49, v50, v47
	s_delay_alu instid0(VALU_DEP_1) | instskip(NEXT) | instid1(VALU_DEP_1)
	v_fma_f32 v39, -v39, v49, v48
	v_div_fmas_f32 v39, v39, v47, v49
	s_delay_alu instid0(VALU_DEP_1) | instskip(NEXT) | instid1(VALU_DEP_1)
	v_div_fixup_f32 v38, v39, v38, 1.0
	v_mul_f32_e64 v39, v41, -v38
.LBB30_93:
	s_or_b32 exec_lo, exec_lo, s1
.LBB30_94:
	s_delay_alu instid0(SALU_CYCLE_1) | instskip(NEXT) | instid1(SALU_CYCLE_1)
	s_or_b32 exec_lo, exec_lo, s0
	s_mov_b32 s0, exec_lo
	v_cmpx_ne_u32_e64 v46, v40
	s_xor_b32 s0, exec_lo, s0
	s_cbranch_execz .LBB30_100
; %bb.95:
	s_mov_b32 s1, exec_lo
	v_cmpx_eq_u32_e32 4, v46
	s_cbranch_execz .LBB30_99
; %bb.96:
	v_cmp_ne_u32_e32 vcc_lo, 4, v40
	s_xor_b32 s15, s12, -1
	s_delay_alu instid0(SALU_CYCLE_1) | instskip(NEXT) | instid1(SALU_CYCLE_1)
	s_and_b32 s16, s15, vcc_lo
	s_and_saveexec_b32 s15, s16
	s_cbranch_execz .LBB30_98
; %bb.97:
	v_ashrrev_i32_e32 v41, 31, v40
	s_delay_alu instid0(VALU_DEP_1)
	v_lshl_add_u64 v[46:47], v[40:41], 2, v[32:33]
	s_clause 0x1
	global_load_b32 v41, v[46:47], off
	global_load_b32 v44, v[32:33], off offset:16
	s_wait_loadcnt 0x1
	global_store_b32 v[32:33], v41, off offset:16
	s_wait_loadcnt 0x0
	global_store_b32 v[46:47], v44, off
.LBB30_98:
	s_wait_xcnt 0x0
	s_or_b32 exec_lo, exec_lo, s15
	v_dual_mov_b32 v46, v40 :: v_dual_mov_b32 v44, v40
.LBB30_99:
	s_or_b32 exec_lo, exec_lo, s1
.LBB30_100:
	s_and_not1_saveexec_b32 s0, s0
	s_cbranch_execz .LBB30_102
; %bb.101:
	v_mov_b32_e32 v46, 4
	ds_store_2addr_b64 v42, v[22:23], v[24:25] offset0:5 offset1:6
	ds_store_2addr_b64 v42, v[6:7], v[20:21] offset0:7 offset1:8
	;; [unrolled: 1-line block ×5, first 2 shown]
	ds_store_b64 v42, v[36:37] offset:120
.LBB30_102:
	s_or_b32 exec_lo, exec_lo, s0
	s_delay_alu instid0(SALU_CYCLE_1)
	s_mov_b32 s0, exec_lo
	s_wait_storecnt_dscnt 0x0
	s_barrier_signal -1
	s_barrier_wait -1
	v_cmpx_lt_i32_e32 4, v46
	s_cbranch_execz .LBB30_104
; %bb.103:
	v_pk_mul_f32 v[40:41], v[38:39], v[26:27] op_sel:[1,1] op_sel_hi:[0,1]
	s_delay_alu instid0(VALU_DEP_1)
	v_pk_fma_f32 v[48:49], v[38:39], v[26:27], v[40:41] op_sel_hi:[1,0,1] neg_lo:[0,0,1] neg_hi:[0,0,1]
	v_pk_fma_f32 v[50:51], v[38:39], v[26:27], v[40:41] op_sel_hi:[1,0,1]
	ds_load_2addr_b64 v[38:41], v42 offset0:5 offset1:6
	v_dual_mov_b32 v26, v48 :: v_dual_mov_b32 v27, v51
	s_wait_dscnt 0x0
	v_pk_mul_f32 v[52:53], v[38:39], v[50:51] op_sel:[0,1]
	s_delay_alu instid0(VALU_DEP_1) | instskip(SKIP_1) | instid1(VALU_DEP_1)
	v_pk_fma_f32 v[54:55], v[38:39], v[48:49], v[52:53] op_sel:[0,0,1] op_sel_hi:[1,1,0] neg_lo:[0,0,1] neg_hi:[0,0,1]
	v_pk_fma_f32 v[38:39], v[38:39], v[48:49], v[52:53] op_sel:[0,0,1] op_sel_hi:[1,0,0]
	v_mov_b32_e32 v55, v39
	v_pk_mul_f32 v[38:39], v[40:41], v[50:51] op_sel:[0,1]
	s_delay_alu instid0(VALU_DEP_1) | instskip(SKIP_1) | instid1(VALU_DEP_1)
	v_pk_fma_f32 v[52:53], v[40:41], v[48:49], v[38:39] op_sel:[0,0,1] op_sel_hi:[1,1,0] neg_lo:[0,0,1] neg_hi:[0,0,1]
	v_pk_fma_f32 v[38:39], v[40:41], v[48:49], v[38:39] op_sel:[0,0,1] op_sel_hi:[1,0,0]
	v_mov_b32_e32 v53, v39
	ds_load_2addr_b64 v[38:41], v42 offset0:7 offset1:8
	v_pk_add_f32 v[22:23], v[22:23], v[54:55] neg_lo:[0,1] neg_hi:[0,1]
	v_pk_add_f32 v[24:25], v[24:25], v[52:53] neg_lo:[0,1] neg_hi:[0,1]
	s_wait_dscnt 0x0
	v_pk_mul_f32 v[52:53], v[38:39], v[50:51] op_sel:[0,1]
	s_delay_alu instid0(VALU_DEP_1) | instskip(SKIP_2) | instid1(VALU_DEP_2)
	v_pk_fma_f32 v[54:55], v[38:39], v[48:49], v[52:53] op_sel:[0,0,1] op_sel_hi:[1,1,0] neg_lo:[0,0,1] neg_hi:[0,0,1]
	v_pk_fma_f32 v[38:39], v[38:39], v[48:49], v[52:53] op_sel:[0,0,1] op_sel_hi:[1,0,0]
	v_dual_mul_f32 v52, v41, v51 :: v_dual_mov_b32 v38, v41
	v_dual_mov_b32 v55, v39 :: v_dual_mov_b32 v39, v40
	s_delay_alu instid0(VALU_DEP_2) | instskip(SKIP_1) | instid1(VALU_DEP_3)
	v_pk_fma_f32 v[52:53], v[40:41], v[26:27], v[52:53] op_sel_hi:[1,1,0] neg_lo:[0,0,1] neg_hi:[0,0,1]
	v_mul_f32_e32 v40, v41, v48
	v_pk_add_f32 v[6:7], v[6:7], v[54:55] neg_lo:[0,1] neg_hi:[0,1]
	s_delay_alu instid0(VALU_DEP_2) | instskip(NEXT) | instid1(VALU_DEP_1)
	v_pk_fma_f32 v[38:39], v[38:39], v[26:27], v[40:41] op_sel_hi:[1,1,0]
	v_mov_b32_e32 v53, v39
	ds_load_2addr_b64 v[38:41], v42 offset0:9 offset1:10
	v_pk_add_f32 v[20:21], v[20:21], v[52:53] neg_lo:[0,1] neg_hi:[0,1]
	s_wait_dscnt 0x0
	v_pk_mul_f32 v[52:53], v[38:39], v[50:51] op_sel:[0,1]
	s_delay_alu instid0(VALU_DEP_1) | instskip(SKIP_1) | instid1(VALU_DEP_1)
	v_pk_fma_f32 v[54:55], v[38:39], v[48:49], v[52:53] op_sel:[0,0,1] op_sel_hi:[1,1,0] neg_lo:[0,0,1] neg_hi:[0,0,1]
	v_pk_fma_f32 v[38:39], v[38:39], v[48:49], v[52:53] op_sel:[0,0,1] op_sel_hi:[1,0,0]
	v_mov_b32_e32 v55, v39
	v_pk_mul_f32 v[38:39], v[40:41], v[50:51] op_sel:[0,1]
	s_delay_alu instid0(VALU_DEP_1) | instskip(SKIP_1) | instid1(VALU_DEP_1)
	v_pk_fma_f32 v[52:53], v[40:41], v[48:49], v[38:39] op_sel:[0,0,1] op_sel_hi:[1,1,0] neg_lo:[0,0,1] neg_hi:[0,0,1]
	v_pk_fma_f32 v[38:39], v[40:41], v[48:49], v[38:39] op_sel:[0,0,1] op_sel_hi:[1,0,0]
	v_mov_b32_e32 v53, v39
	ds_load_2addr_b64 v[38:41], v42 offset0:11 offset1:12
	v_pk_add_f32 v[16:17], v[16:17], v[54:55] neg_lo:[0,1] neg_hi:[0,1]
	v_pk_add_f32 v[18:19], v[18:19], v[52:53] neg_lo:[0,1] neg_hi:[0,1]
	s_wait_dscnt 0x0
	v_pk_mul_f32 v[52:53], v[38:39], v[50:51] op_sel:[0,1]
	s_delay_alu instid0(VALU_DEP_1) | instskip(SKIP_1) | instid1(VALU_DEP_1)
	v_pk_fma_f32 v[54:55], v[38:39], v[48:49], v[52:53] op_sel:[0,0,1] op_sel_hi:[1,1,0] neg_lo:[0,0,1] neg_hi:[0,0,1]
	v_pk_fma_f32 v[38:39], v[38:39], v[48:49], v[52:53] op_sel:[0,0,1] op_sel_hi:[1,0,0]
	v_mov_b32_e32 v55, v39
	v_pk_mul_f32 v[38:39], v[40:41], v[50:51] op_sel:[0,1]
	s_delay_alu instid0(VALU_DEP_1) | instskip(SKIP_1) | instid1(VALU_DEP_1)
	v_pk_fma_f32 v[52:53], v[40:41], v[48:49], v[38:39] op_sel:[0,0,1] op_sel_hi:[1,1,0] neg_lo:[0,0,1] neg_hi:[0,0,1]
	v_pk_fma_f32 v[38:39], v[40:41], v[48:49], v[38:39] op_sel:[0,0,1] op_sel_hi:[1,0,0]
	v_mov_b32_e32 v53, v39
	ds_load_2addr_b64 v[38:41], v42 offset0:13 offset1:14
	v_pk_add_f32 v[4:5], v[4:5], v[54:55] neg_lo:[0,1] neg_hi:[0,1]
	v_pk_add_f32 v[14:15], v[14:15], v[52:53] neg_lo:[0,1] neg_hi:[0,1]
	s_wait_dscnt 0x0
	v_dual_mul_f32 v52, v39, v51 :: v_dual_mul_f32 v54, v39, v48
	s_delay_alu instid0(VALU_DEP_1) | instskip(NEXT) | instid1(VALU_DEP_2)
	v_pk_fma_f32 v[52:53], v[38:39], v[26:27], v[52:53] op_sel_hi:[1,1,0] neg_lo:[0,0,1] neg_hi:[0,0,1]
	v_pk_fma_f32 v[38:39], v[38:39], v[26:27], v[54:55] op_sel:[1,0,0] op_sel_hi:[0,1,0]
	s_delay_alu instid0(VALU_DEP_1) | instskip(SKIP_1) | instid1(VALU_DEP_2)
	v_mov_b32_e32 v53, v39
	v_pk_mul_f32 v[38:39], v[40:41], v[50:51] op_sel:[0,1]
	v_pk_add_f32 v[12:13], v[12:13], v[52:53] neg_lo:[0,1] neg_hi:[0,1]
	s_delay_alu instid0(VALU_DEP_2) | instskip(SKIP_1) | instid1(VALU_DEP_1)
	v_pk_fma_f32 v[52:53], v[40:41], v[48:49], v[38:39] op_sel:[0,0,1] op_sel_hi:[1,1,0] neg_lo:[0,0,1] neg_hi:[0,0,1]
	v_pk_fma_f32 v[38:39], v[40:41], v[48:49], v[38:39] op_sel:[0,0,1] op_sel_hi:[1,0,0]
	v_mov_b32_e32 v53, v39
	ds_load_b64 v[38:39], v42 offset:120
	v_pk_add_f32 v[10:11], v[10:11], v[52:53] neg_lo:[0,1] neg_hi:[0,1]
	s_wait_dscnt 0x0
	v_pk_mul_f32 v[40:41], v[38:39], v[50:51] op_sel:[0,1]
	s_delay_alu instid0(VALU_DEP_1) | instskip(SKIP_1) | instid1(VALU_DEP_1)
	v_pk_fma_f32 v[50:51], v[38:39], v[48:49], v[40:41] op_sel:[0,0,1] op_sel_hi:[1,1,0] neg_lo:[0,0,1] neg_hi:[0,0,1]
	v_pk_fma_f32 v[38:39], v[38:39], v[48:49], v[40:41] op_sel:[0,0,1] op_sel_hi:[1,0,0]
	v_mov_b32_e32 v51, v39
	s_delay_alu instid0(VALU_DEP_1)
	v_pk_add_f32 v[36:37], v[36:37], v[50:51] neg_lo:[0,1] neg_hi:[0,1]
.LBB30_104:
	s_or_b32 exec_lo, exec_lo, s0
	v_lshl_add_u32 v38, v46, 3, v42
	s_barrier_signal -1
	s_barrier_wait -1
	ds_store_b64 v38, v[22:23]
	s_wait_dscnt 0x0
	s_barrier_signal -1
	s_barrier_wait -1
	ds_load_b64 v[38:39], v42 offset:40
	v_mov_b32_e32 v40, 5
	s_cmp_lt_i32 s14, 7
	s_cbranch_scc1 .LBB30_107
; %bb.105:
	v_add3_u32 v41, v43, 0, 48
	v_mov_b32_e32 v40, 5
	s_mov_b32 s0, 6
.LBB30_106:                             ; =>This Inner Loop Header: Depth=1
	ds_load_b64 v[48:49], v41
	s_wait_dscnt 0x1
	v_cmp_gt_f32_e32 vcc_lo, 0, v38
	v_cndmask_b32_e64 v50, v38, -v38, vcc_lo
	v_cmp_gt_f32_e32 vcc_lo, 0, v39
	v_cndmask_b32_e64 v52, v39, -v39, vcc_lo
	s_wait_dscnt 0x0
	v_cmp_gt_f32_e32 vcc_lo, 0, v48
	v_cndmask_b32_e64 v51, v48, -v48, vcc_lo
	v_cmp_gt_f32_e32 vcc_lo, 0, v49
	v_cndmask_b32_e64 v53, v49, -v49, vcc_lo
	s_delay_alu instid0(VALU_DEP_1) | instskip(NEXT) | instid1(VALU_DEP_1)
	v_pk_add_f32 v[50:51], v[50:51], v[52:53]
	v_cmp_lt_f32_e32 vcc_lo, v50, v51
	v_dual_cndmask_b32 v38, v38, v48 :: v_dual_add_nc_u32 v41, 8, v41
	v_cndmask_b32_e32 v39, v39, v49, vcc_lo
	v_cndmask_b32_e64 v40, v40, s0, vcc_lo
	s_add_co_i32 s0, s0, 1
	s_delay_alu instid0(SALU_CYCLE_1)
	s_cmp_lg_u32 s14, s0
	s_cbranch_scc1 .LBB30_106
.LBB30_107:
	s_wait_dscnt 0x0
	v_cmp_eq_f32_e32 vcc_lo, 0, v38
	v_cmp_eq_f32_e64 s0, 0, v39
	s_and_b32 s0, vcc_lo, s0
	s_delay_alu instid0(SALU_CYCLE_1) | instskip(NEXT) | instid1(SALU_CYCLE_1)
	s_and_saveexec_b32 s1, s0
	s_xor_b32 s0, exec_lo, s1
; %bb.108:
	v_cmp_ne_u32_e32 vcc_lo, 0, v45
	v_cndmask_b32_e32 v45, 6, v45, vcc_lo
; %bb.109:
	s_and_not1_saveexec_b32 s0, s0
	s_cbranch_execz .LBB30_115
; %bb.110:
	v_cmp_ngt_f32_e64 s1, |v38|, |v39|
	s_and_saveexec_b32 s15, s1
	s_delay_alu instid0(SALU_CYCLE_1)
	s_xor_b32 s1, exec_lo, s15
	s_cbranch_execz .LBB30_112
; %bb.111:
	v_div_scale_f32 v41, null, v39, v39, v38
	v_div_scale_f32 v49, vcc_lo, v38, v39, v38
	s_delay_alu instid0(VALU_DEP_2) | instskip(SKIP_1) | instid1(TRANS32_DEP_1)
	v_rcp_f32_e32 v47, v41
	v_nop
	v_fma_f32 v48, -v41, v47, 1.0
	s_delay_alu instid0(VALU_DEP_1) | instskip(NEXT) | instid1(VALU_DEP_1)
	v_fmac_f32_e32 v47, v48, v47
	v_mul_f32_e32 v48, v49, v47
	s_delay_alu instid0(VALU_DEP_1) | instskip(NEXT) | instid1(VALU_DEP_1)
	v_fma_f32 v50, -v41, v48, v49
	v_fmac_f32_e32 v48, v50, v47
	s_delay_alu instid0(VALU_DEP_1) | instskip(NEXT) | instid1(VALU_DEP_1)
	v_fma_f32 v41, -v41, v48, v49
	v_div_fmas_f32 v41, v41, v47, v48
	s_delay_alu instid0(VALU_DEP_1) | instskip(NEXT) | instid1(VALU_DEP_1)
	v_div_fixup_f32 v41, v41, v39, v38
	v_fmac_f32_e32 v39, v38, v41
	s_delay_alu instid0(VALU_DEP_1) | instskip(SKIP_1) | instid1(VALU_DEP_2)
	v_div_scale_f32 v38, null, v39, v39, 1.0
	v_div_scale_f32 v49, vcc_lo, 1.0, v39, 1.0
	v_rcp_f32_e32 v47, v38
	v_nop
	s_delay_alu instid0(TRANS32_DEP_1) | instskip(NEXT) | instid1(VALU_DEP_1)
	v_fma_f32 v48, -v38, v47, 1.0
	v_fmac_f32_e32 v47, v48, v47
	s_delay_alu instid0(VALU_DEP_1) | instskip(NEXT) | instid1(VALU_DEP_1)
	v_mul_f32_e32 v48, v49, v47
	v_fma_f32 v50, -v38, v48, v49
	s_delay_alu instid0(VALU_DEP_1) | instskip(NEXT) | instid1(VALU_DEP_1)
	v_fmac_f32_e32 v48, v50, v47
	v_fma_f32 v38, -v38, v48, v49
	s_delay_alu instid0(VALU_DEP_1) | instskip(NEXT) | instid1(VALU_DEP_1)
	v_div_fmas_f32 v38, v38, v47, v48
	v_div_fixup_f32 v39, v38, v39, 1.0
	s_delay_alu instid0(VALU_DEP_1)
	v_mul_f32_e32 v38, v41, v39
	v_xor_b32_e32 v39, 0x80000000, v39
.LBB30_112:
	s_and_not1_saveexec_b32 s1, s1
	s_cbranch_execz .LBB30_114
; %bb.113:
	s_delay_alu instid0(VALU_DEP_1) | instskip(SKIP_1) | instid1(VALU_DEP_2)
	v_div_scale_f32 v41, null, v38, v38, v39
	v_div_scale_f32 v49, vcc_lo, v39, v38, v39
	v_rcp_f32_e32 v47, v41
	v_nop
	s_delay_alu instid0(TRANS32_DEP_1) | instskip(NEXT) | instid1(VALU_DEP_1)
	v_fma_f32 v48, -v41, v47, 1.0
	v_fmac_f32_e32 v47, v48, v47
	s_delay_alu instid0(VALU_DEP_1) | instskip(NEXT) | instid1(VALU_DEP_1)
	v_mul_f32_e32 v48, v49, v47
	v_fma_f32 v50, -v41, v48, v49
	s_delay_alu instid0(VALU_DEP_1) | instskip(NEXT) | instid1(VALU_DEP_1)
	v_fmac_f32_e32 v48, v50, v47
	v_fma_f32 v41, -v41, v48, v49
	s_delay_alu instid0(VALU_DEP_1) | instskip(NEXT) | instid1(VALU_DEP_1)
	v_div_fmas_f32 v41, v41, v47, v48
	v_div_fixup_f32 v41, v41, v38, v39
	s_delay_alu instid0(VALU_DEP_1) | instskip(NEXT) | instid1(VALU_DEP_1)
	v_fmac_f32_e32 v38, v39, v41
	v_div_scale_f32 v39, null, v38, v38, 1.0
	s_delay_alu instid0(VALU_DEP_1) | instskip(SKIP_1) | instid1(TRANS32_DEP_1)
	v_rcp_f32_e32 v47, v39
	v_nop
	v_fma_f32 v48, -v39, v47, 1.0
	s_delay_alu instid0(VALU_DEP_1) | instskip(SKIP_1) | instid1(VALU_DEP_1)
	v_fmac_f32_e32 v47, v48, v47
	v_div_scale_f32 v48, vcc_lo, 1.0, v38, 1.0
	v_mul_f32_e32 v49, v48, v47
	s_delay_alu instid0(VALU_DEP_1) | instskip(NEXT) | instid1(VALU_DEP_1)
	v_fma_f32 v50, -v39, v49, v48
	v_fmac_f32_e32 v49, v50, v47
	s_delay_alu instid0(VALU_DEP_1) | instskip(NEXT) | instid1(VALU_DEP_1)
	v_fma_f32 v39, -v39, v49, v48
	v_div_fmas_f32 v39, v39, v47, v49
	s_delay_alu instid0(VALU_DEP_1) | instskip(NEXT) | instid1(VALU_DEP_1)
	v_div_fixup_f32 v38, v39, v38, 1.0
	v_mul_f32_e64 v39, v41, -v38
.LBB30_114:
	s_or_b32 exec_lo, exec_lo, s1
.LBB30_115:
	s_delay_alu instid0(SALU_CYCLE_1) | instskip(NEXT) | instid1(SALU_CYCLE_1)
	s_or_b32 exec_lo, exec_lo, s0
	s_mov_b32 s0, exec_lo
	v_cmpx_ne_u32_e64 v46, v40
	s_xor_b32 s0, exec_lo, s0
	s_cbranch_execz .LBB30_121
; %bb.116:
	s_mov_b32 s1, exec_lo
	v_cmpx_eq_u32_e32 5, v46
	s_cbranch_execz .LBB30_120
; %bb.117:
	v_cmp_ne_u32_e32 vcc_lo, 5, v40
	s_xor_b32 s15, s12, -1
	s_delay_alu instid0(SALU_CYCLE_1) | instskip(NEXT) | instid1(SALU_CYCLE_1)
	s_and_b32 s16, s15, vcc_lo
	s_and_saveexec_b32 s15, s16
	s_cbranch_execz .LBB30_119
; %bb.118:
	v_ashrrev_i32_e32 v41, 31, v40
	s_delay_alu instid0(VALU_DEP_1)
	v_lshl_add_u64 v[46:47], v[40:41], 2, v[32:33]
	s_clause 0x1
	global_load_b32 v41, v[46:47], off
	global_load_b32 v44, v[32:33], off offset:20
	s_wait_loadcnt 0x1
	global_store_b32 v[32:33], v41, off offset:20
	s_wait_loadcnt 0x0
	global_store_b32 v[46:47], v44, off
.LBB30_119:
	s_wait_xcnt 0x0
	s_or_b32 exec_lo, exec_lo, s15
	v_dual_mov_b32 v46, v40 :: v_dual_mov_b32 v44, v40
.LBB30_120:
	s_or_b32 exec_lo, exec_lo, s1
.LBB30_121:
	s_and_not1_saveexec_b32 s0, s0
	s_cbranch_execz .LBB30_123
; %bb.122:
	v_dual_mov_b32 v40, v24 :: v_dual_mov_b32 v41, v25
	v_dual_mov_b32 v48, v6 :: v_dual_mov_b32 v49, v7
	;; [unrolled: 1-line block ×9, first 2 shown]
	v_mov_b32_e32 v63, v11
	ds_store_2addr_b64 v42, v[40:41], v[48:49] offset0:6 offset1:7
	ds_store_2addr_b64 v42, v[50:51], v[52:53] offset0:8 offset1:9
	;; [unrolled: 1-line block ×5, first 2 shown]
.LBB30_123:
	s_or_b32 exec_lo, exec_lo, s0
	s_delay_alu instid0(SALU_CYCLE_1)
	s_mov_b32 s0, exec_lo
	s_wait_storecnt_dscnt 0x0
	s_barrier_signal -1
	s_barrier_wait -1
	v_cmpx_lt_i32_e32 5, v46
	s_cbranch_execz .LBB30_125
; %bb.124:
	v_pk_mul_f32 v[40:41], v[38:39], v[22:23] op_sel:[1,1] op_sel_hi:[0,1]
	s_delay_alu instid0(VALU_DEP_1)
	v_pk_fma_f32 v[48:49], v[38:39], v[22:23], v[40:41] op_sel_hi:[1,0,1] neg_lo:[0,0,1] neg_hi:[0,0,1]
	v_pk_fma_f32 v[50:51], v[38:39], v[22:23], v[40:41] op_sel_hi:[1,0,1]
	ds_load_2addr_b64 v[38:41], v42 offset0:6 offset1:7
	v_dual_mov_b32 v22, v48 :: v_dual_mov_b32 v23, v51
	s_wait_dscnt 0x0
	v_pk_mul_f32 v[52:53], v[38:39], v[50:51] op_sel:[0,1]
	s_delay_alu instid0(VALU_DEP_1) | instskip(SKIP_1) | instid1(VALU_DEP_1)
	v_pk_fma_f32 v[54:55], v[38:39], v[48:49], v[52:53] op_sel:[0,0,1] op_sel_hi:[1,1,0] neg_lo:[0,0,1] neg_hi:[0,0,1]
	v_pk_fma_f32 v[38:39], v[38:39], v[48:49], v[52:53] op_sel:[0,0,1] op_sel_hi:[1,0,0]
	v_mov_b32_e32 v55, v39
	v_pk_mul_f32 v[38:39], v[40:41], v[50:51] op_sel:[0,1]
	s_delay_alu instid0(VALU_DEP_1) | instskip(SKIP_1) | instid1(VALU_DEP_1)
	v_pk_fma_f32 v[52:53], v[40:41], v[48:49], v[38:39] op_sel:[0,0,1] op_sel_hi:[1,1,0] neg_lo:[0,0,1] neg_hi:[0,0,1]
	v_pk_fma_f32 v[38:39], v[40:41], v[48:49], v[38:39] op_sel:[0,0,1] op_sel_hi:[1,0,0]
	v_mov_b32_e32 v53, v39
	ds_load_2addr_b64 v[38:41], v42 offset0:8 offset1:9
	v_pk_add_f32 v[24:25], v[24:25], v[54:55] neg_lo:[0,1] neg_hi:[0,1]
	v_pk_add_f32 v[6:7], v[6:7], v[52:53] neg_lo:[0,1] neg_hi:[0,1]
	s_wait_dscnt 0x0
	v_pk_mul_f32 v[52:53], v[38:39], v[50:51] op_sel:[0,1]
	s_delay_alu instid0(VALU_DEP_1) | instskip(SKIP_2) | instid1(VALU_DEP_2)
	v_pk_fma_f32 v[54:55], v[38:39], v[48:49], v[52:53] op_sel:[0,0,1] op_sel_hi:[1,1,0] neg_lo:[0,0,1] neg_hi:[0,0,1]
	v_pk_fma_f32 v[38:39], v[38:39], v[48:49], v[52:53] op_sel:[0,0,1] op_sel_hi:[1,0,0]
	v_dual_mul_f32 v52, v41, v51 :: v_dual_mov_b32 v38, v41
	v_dual_mov_b32 v55, v39 :: v_dual_mov_b32 v39, v40
	s_delay_alu instid0(VALU_DEP_2) | instskip(SKIP_1) | instid1(VALU_DEP_3)
	v_pk_fma_f32 v[52:53], v[40:41], v[22:23], v[52:53] op_sel_hi:[1,1,0] neg_lo:[0,0,1] neg_hi:[0,0,1]
	v_mul_f32_e32 v40, v41, v48
	v_pk_add_f32 v[20:21], v[20:21], v[54:55] neg_lo:[0,1] neg_hi:[0,1]
	s_delay_alu instid0(VALU_DEP_2) | instskip(NEXT) | instid1(VALU_DEP_1)
	v_pk_fma_f32 v[38:39], v[38:39], v[22:23], v[40:41] op_sel_hi:[1,1,0]
	v_mov_b32_e32 v53, v39
	ds_load_2addr_b64 v[38:41], v42 offset0:10 offset1:11
	v_pk_add_f32 v[16:17], v[16:17], v[52:53] neg_lo:[0,1] neg_hi:[0,1]
	s_wait_dscnt 0x0
	v_pk_mul_f32 v[52:53], v[38:39], v[50:51] op_sel:[0,1]
	s_delay_alu instid0(VALU_DEP_1) | instskip(SKIP_1) | instid1(VALU_DEP_1)
	v_pk_fma_f32 v[54:55], v[38:39], v[48:49], v[52:53] op_sel:[0,0,1] op_sel_hi:[1,1,0] neg_lo:[0,0,1] neg_hi:[0,0,1]
	v_pk_fma_f32 v[38:39], v[38:39], v[48:49], v[52:53] op_sel:[0,0,1] op_sel_hi:[1,0,0]
	v_mov_b32_e32 v55, v39
	v_pk_mul_f32 v[38:39], v[40:41], v[50:51] op_sel:[0,1]
	s_delay_alu instid0(VALU_DEP_1) | instskip(SKIP_1) | instid1(VALU_DEP_1)
	v_pk_fma_f32 v[52:53], v[40:41], v[48:49], v[38:39] op_sel:[0,0,1] op_sel_hi:[1,1,0] neg_lo:[0,0,1] neg_hi:[0,0,1]
	v_pk_fma_f32 v[38:39], v[40:41], v[48:49], v[38:39] op_sel:[0,0,1] op_sel_hi:[1,0,0]
	v_mov_b32_e32 v53, v39
	ds_load_2addr_b64 v[38:41], v42 offset0:12 offset1:13
	v_pk_add_f32 v[18:19], v[18:19], v[54:55] neg_lo:[0,1] neg_hi:[0,1]
	v_pk_add_f32 v[4:5], v[4:5], v[52:53] neg_lo:[0,1] neg_hi:[0,1]
	s_wait_dscnt 0x0
	v_pk_mul_f32 v[52:53], v[38:39], v[50:51] op_sel:[0,1]
	s_delay_alu instid0(VALU_DEP_1) | instskip(SKIP_1) | instid1(VALU_DEP_1)
	v_pk_fma_f32 v[54:55], v[38:39], v[48:49], v[52:53] op_sel:[0,0,1] op_sel_hi:[1,1,0] neg_lo:[0,0,1] neg_hi:[0,0,1]
	v_pk_fma_f32 v[38:39], v[38:39], v[48:49], v[52:53] op_sel:[0,0,1] op_sel_hi:[1,0,0]
	v_mov_b32_e32 v55, v39
	v_pk_mul_f32 v[38:39], v[40:41], v[50:51] op_sel:[0,1]
	s_delay_alu instid0(VALU_DEP_1) | instskip(SKIP_1) | instid1(VALU_DEP_1)
	v_pk_fma_f32 v[52:53], v[40:41], v[48:49], v[38:39] op_sel:[0,0,1] op_sel_hi:[1,1,0] neg_lo:[0,0,1] neg_hi:[0,0,1]
	v_pk_fma_f32 v[38:39], v[40:41], v[48:49], v[38:39] op_sel:[0,0,1] op_sel_hi:[1,0,0]
	v_mov_b32_e32 v53, v39
	ds_load_2addr_b64 v[38:41], v42 offset0:14 offset1:15
	v_pk_add_f32 v[14:15], v[14:15], v[54:55] neg_lo:[0,1] neg_hi:[0,1]
	v_pk_add_f32 v[12:13], v[12:13], v[52:53] neg_lo:[0,1] neg_hi:[0,1]
	s_wait_dscnt 0x0
	v_dual_mul_f32 v52, v39, v51 :: v_dual_mul_f32 v54, v39, v48
	s_delay_alu instid0(VALU_DEP_1) | instskip(NEXT) | instid1(VALU_DEP_2)
	v_pk_fma_f32 v[52:53], v[38:39], v[22:23], v[52:53] op_sel_hi:[1,1,0] neg_lo:[0,0,1] neg_hi:[0,0,1]
	v_pk_fma_f32 v[38:39], v[38:39], v[22:23], v[54:55] op_sel:[1,0,0] op_sel_hi:[0,1,0]
	s_delay_alu instid0(VALU_DEP_1) | instskip(SKIP_1) | instid1(VALU_DEP_1)
	v_mov_b32_e32 v53, v39
	v_pk_mul_f32 v[38:39], v[40:41], v[50:51] op_sel:[0,1]
	v_pk_fma_f32 v[50:51], v[40:41], v[48:49], v[38:39] op_sel:[0,0,1] op_sel_hi:[1,1,0] neg_lo:[0,0,1] neg_hi:[0,0,1]
	v_pk_fma_f32 v[38:39], v[40:41], v[48:49], v[38:39] op_sel:[0,0,1] op_sel_hi:[1,0,0]
	s_delay_alu instid0(VALU_DEP_1) | instskip(SKIP_1) | instid1(VALU_DEP_2)
	v_mov_b32_e32 v51, v39
	v_pk_add_f32 v[10:11], v[10:11], v[52:53] neg_lo:[0,1] neg_hi:[0,1]
	v_pk_add_f32 v[36:37], v[36:37], v[50:51] neg_lo:[0,1] neg_hi:[0,1]
.LBB30_125:
	s_or_b32 exec_lo, exec_lo, s0
	v_lshl_add_u32 v38, v46, 3, v42
	s_barrier_signal -1
	s_barrier_wait -1
	ds_store_b64 v38, v[24:25]
	s_wait_dscnt 0x0
	s_barrier_signal -1
	s_barrier_wait -1
	ds_load_b64 v[38:39], v42 offset:48
	v_mov_b32_e32 v40, 6
	s_cmp_lt_i32 s14, 8
	s_cbranch_scc1 .LBB30_128
; %bb.126:
	v_add3_u32 v41, v43, 0, 56
	v_mov_b32_e32 v40, 6
	s_mov_b32 s0, 7
.LBB30_127:                             ; =>This Inner Loop Header: Depth=1
	ds_load_b64 v[48:49], v41
	s_wait_dscnt 0x1
	v_cmp_gt_f32_e32 vcc_lo, 0, v38
	v_cndmask_b32_e64 v50, v38, -v38, vcc_lo
	v_cmp_gt_f32_e32 vcc_lo, 0, v39
	v_cndmask_b32_e64 v52, v39, -v39, vcc_lo
	s_wait_dscnt 0x0
	v_cmp_gt_f32_e32 vcc_lo, 0, v48
	v_cndmask_b32_e64 v51, v48, -v48, vcc_lo
	v_cmp_gt_f32_e32 vcc_lo, 0, v49
	v_cndmask_b32_e64 v53, v49, -v49, vcc_lo
	s_delay_alu instid0(VALU_DEP_1) | instskip(NEXT) | instid1(VALU_DEP_1)
	v_pk_add_f32 v[50:51], v[50:51], v[52:53]
	v_cmp_lt_f32_e32 vcc_lo, v50, v51
	v_dual_cndmask_b32 v38, v38, v48 :: v_dual_add_nc_u32 v41, 8, v41
	v_cndmask_b32_e32 v39, v39, v49, vcc_lo
	v_cndmask_b32_e64 v40, v40, s0, vcc_lo
	s_add_co_i32 s0, s0, 1
	s_delay_alu instid0(SALU_CYCLE_1)
	s_cmp_lg_u32 s14, s0
	s_cbranch_scc1 .LBB30_127
.LBB30_128:
	s_wait_dscnt 0x0
	v_cmp_eq_f32_e32 vcc_lo, 0, v38
	v_cmp_eq_f32_e64 s0, 0, v39
	s_and_b32 s0, vcc_lo, s0
	s_delay_alu instid0(SALU_CYCLE_1) | instskip(NEXT) | instid1(SALU_CYCLE_1)
	s_and_saveexec_b32 s1, s0
	s_xor_b32 s0, exec_lo, s1
; %bb.129:
	v_cmp_ne_u32_e32 vcc_lo, 0, v45
	v_cndmask_b32_e32 v45, 7, v45, vcc_lo
; %bb.130:
	s_and_not1_saveexec_b32 s0, s0
	s_cbranch_execz .LBB30_136
; %bb.131:
	v_cmp_ngt_f32_e64 s1, |v38|, |v39|
	s_and_saveexec_b32 s15, s1
	s_delay_alu instid0(SALU_CYCLE_1)
	s_xor_b32 s1, exec_lo, s15
	s_cbranch_execz .LBB30_133
; %bb.132:
	v_div_scale_f32 v41, null, v39, v39, v38
	v_div_scale_f32 v49, vcc_lo, v38, v39, v38
	s_delay_alu instid0(VALU_DEP_2) | instskip(SKIP_1) | instid1(TRANS32_DEP_1)
	v_rcp_f32_e32 v47, v41
	v_nop
	v_fma_f32 v48, -v41, v47, 1.0
	s_delay_alu instid0(VALU_DEP_1) | instskip(NEXT) | instid1(VALU_DEP_1)
	v_fmac_f32_e32 v47, v48, v47
	v_mul_f32_e32 v48, v49, v47
	s_delay_alu instid0(VALU_DEP_1) | instskip(NEXT) | instid1(VALU_DEP_1)
	v_fma_f32 v50, -v41, v48, v49
	v_fmac_f32_e32 v48, v50, v47
	s_delay_alu instid0(VALU_DEP_1) | instskip(NEXT) | instid1(VALU_DEP_1)
	v_fma_f32 v41, -v41, v48, v49
	v_div_fmas_f32 v41, v41, v47, v48
	s_delay_alu instid0(VALU_DEP_1) | instskip(NEXT) | instid1(VALU_DEP_1)
	v_div_fixup_f32 v41, v41, v39, v38
	v_fmac_f32_e32 v39, v38, v41
	s_delay_alu instid0(VALU_DEP_1) | instskip(SKIP_1) | instid1(VALU_DEP_2)
	v_div_scale_f32 v38, null, v39, v39, 1.0
	v_div_scale_f32 v49, vcc_lo, 1.0, v39, 1.0
	v_rcp_f32_e32 v47, v38
	v_nop
	s_delay_alu instid0(TRANS32_DEP_1) | instskip(NEXT) | instid1(VALU_DEP_1)
	v_fma_f32 v48, -v38, v47, 1.0
	v_fmac_f32_e32 v47, v48, v47
	s_delay_alu instid0(VALU_DEP_1) | instskip(NEXT) | instid1(VALU_DEP_1)
	v_mul_f32_e32 v48, v49, v47
	v_fma_f32 v50, -v38, v48, v49
	s_delay_alu instid0(VALU_DEP_1) | instskip(NEXT) | instid1(VALU_DEP_1)
	v_fmac_f32_e32 v48, v50, v47
	v_fma_f32 v38, -v38, v48, v49
	s_delay_alu instid0(VALU_DEP_1) | instskip(NEXT) | instid1(VALU_DEP_1)
	v_div_fmas_f32 v38, v38, v47, v48
	v_div_fixup_f32 v39, v38, v39, 1.0
	s_delay_alu instid0(VALU_DEP_1)
	v_mul_f32_e32 v38, v41, v39
	v_xor_b32_e32 v39, 0x80000000, v39
.LBB30_133:
	s_and_not1_saveexec_b32 s1, s1
	s_cbranch_execz .LBB30_135
; %bb.134:
	s_delay_alu instid0(VALU_DEP_1) | instskip(SKIP_1) | instid1(VALU_DEP_2)
	v_div_scale_f32 v41, null, v38, v38, v39
	v_div_scale_f32 v49, vcc_lo, v39, v38, v39
	v_rcp_f32_e32 v47, v41
	v_nop
	s_delay_alu instid0(TRANS32_DEP_1) | instskip(NEXT) | instid1(VALU_DEP_1)
	v_fma_f32 v48, -v41, v47, 1.0
	v_fmac_f32_e32 v47, v48, v47
	s_delay_alu instid0(VALU_DEP_1) | instskip(NEXT) | instid1(VALU_DEP_1)
	v_mul_f32_e32 v48, v49, v47
	v_fma_f32 v50, -v41, v48, v49
	s_delay_alu instid0(VALU_DEP_1) | instskip(NEXT) | instid1(VALU_DEP_1)
	v_fmac_f32_e32 v48, v50, v47
	v_fma_f32 v41, -v41, v48, v49
	s_delay_alu instid0(VALU_DEP_1) | instskip(NEXT) | instid1(VALU_DEP_1)
	v_div_fmas_f32 v41, v41, v47, v48
	v_div_fixup_f32 v41, v41, v38, v39
	s_delay_alu instid0(VALU_DEP_1) | instskip(NEXT) | instid1(VALU_DEP_1)
	v_fmac_f32_e32 v38, v39, v41
	v_div_scale_f32 v39, null, v38, v38, 1.0
	s_delay_alu instid0(VALU_DEP_1) | instskip(SKIP_1) | instid1(TRANS32_DEP_1)
	v_rcp_f32_e32 v47, v39
	v_nop
	v_fma_f32 v48, -v39, v47, 1.0
	s_delay_alu instid0(VALU_DEP_1) | instskip(SKIP_1) | instid1(VALU_DEP_1)
	v_fmac_f32_e32 v47, v48, v47
	v_div_scale_f32 v48, vcc_lo, 1.0, v38, 1.0
	v_mul_f32_e32 v49, v48, v47
	s_delay_alu instid0(VALU_DEP_1) | instskip(NEXT) | instid1(VALU_DEP_1)
	v_fma_f32 v50, -v39, v49, v48
	v_fmac_f32_e32 v49, v50, v47
	s_delay_alu instid0(VALU_DEP_1) | instskip(NEXT) | instid1(VALU_DEP_1)
	v_fma_f32 v39, -v39, v49, v48
	v_div_fmas_f32 v39, v39, v47, v49
	s_delay_alu instid0(VALU_DEP_1) | instskip(NEXT) | instid1(VALU_DEP_1)
	v_div_fixup_f32 v38, v39, v38, 1.0
	v_mul_f32_e64 v39, v41, -v38
.LBB30_135:
	s_or_b32 exec_lo, exec_lo, s1
.LBB30_136:
	s_delay_alu instid0(SALU_CYCLE_1) | instskip(NEXT) | instid1(SALU_CYCLE_1)
	s_or_b32 exec_lo, exec_lo, s0
	s_mov_b32 s0, exec_lo
	v_cmpx_ne_u32_e64 v46, v40
	s_xor_b32 s0, exec_lo, s0
	s_cbranch_execz .LBB30_142
; %bb.137:
	s_mov_b32 s1, exec_lo
	v_cmpx_eq_u32_e32 6, v46
	s_cbranch_execz .LBB30_141
; %bb.138:
	v_cmp_ne_u32_e32 vcc_lo, 6, v40
	s_xor_b32 s15, s12, -1
	s_delay_alu instid0(SALU_CYCLE_1) | instskip(NEXT) | instid1(SALU_CYCLE_1)
	s_and_b32 s16, s15, vcc_lo
	s_and_saveexec_b32 s15, s16
	s_cbranch_execz .LBB30_140
; %bb.139:
	v_ashrrev_i32_e32 v41, 31, v40
	s_delay_alu instid0(VALU_DEP_1)
	v_lshl_add_u64 v[46:47], v[40:41], 2, v[32:33]
	s_clause 0x1
	global_load_b32 v41, v[46:47], off
	global_load_b32 v44, v[32:33], off offset:24
	s_wait_loadcnt 0x1
	global_store_b32 v[32:33], v41, off offset:24
	s_wait_loadcnt 0x0
	global_store_b32 v[46:47], v44, off
.LBB30_140:
	s_wait_xcnt 0x0
	s_or_b32 exec_lo, exec_lo, s15
	v_dual_mov_b32 v46, v40 :: v_dual_mov_b32 v44, v40
.LBB30_141:
	s_or_b32 exec_lo, exec_lo, s1
.LBB30_142:
	s_and_not1_saveexec_b32 s0, s0
	s_cbranch_execz .LBB30_144
; %bb.143:
	v_mov_b32_e32 v46, 6
	ds_store_2addr_b64 v42, v[6:7], v[20:21] offset0:7 offset1:8
	ds_store_2addr_b64 v42, v[16:17], v[18:19] offset0:9 offset1:10
	;; [unrolled: 1-line block ×4, first 2 shown]
	ds_store_b64 v42, v[36:37] offset:120
.LBB30_144:
	s_or_b32 exec_lo, exec_lo, s0
	s_delay_alu instid0(SALU_CYCLE_1)
	s_mov_b32 s0, exec_lo
	s_wait_storecnt_dscnt 0x0
	s_barrier_signal -1
	s_barrier_wait -1
	v_cmpx_lt_i32_e32 6, v46
	s_cbranch_execz .LBB30_146
; %bb.145:
	v_pk_mul_f32 v[40:41], v[38:39], v[24:25] op_sel:[1,1] op_sel_hi:[0,1]
	s_delay_alu instid0(VALU_DEP_1)
	v_pk_fma_f32 v[48:49], v[38:39], v[24:25], v[40:41] op_sel_hi:[1,0,1] neg_lo:[0,0,1] neg_hi:[0,0,1]
	v_pk_fma_f32 v[50:51], v[38:39], v[24:25], v[40:41] op_sel_hi:[1,0,1]
	ds_load_2addr_b64 v[38:41], v42 offset0:7 offset1:8
	v_dual_mov_b32 v24, v48 :: v_dual_mov_b32 v25, v51
	s_wait_dscnt 0x0
	v_pk_mul_f32 v[52:53], v[38:39], v[50:51] op_sel:[0,1]
	s_delay_alu instid0(VALU_DEP_1) | instskip(SKIP_1) | instid1(VALU_DEP_1)
	v_pk_fma_f32 v[54:55], v[38:39], v[48:49], v[52:53] op_sel:[0,0,1] op_sel_hi:[1,1,0] neg_lo:[0,0,1] neg_hi:[0,0,1]
	v_pk_fma_f32 v[38:39], v[38:39], v[48:49], v[52:53] op_sel:[0,0,1] op_sel_hi:[1,0,0]
	v_mov_b32_e32 v55, v39
	v_pk_mul_f32 v[38:39], v[40:41], v[50:51] op_sel:[0,1]
	s_delay_alu instid0(VALU_DEP_1) | instskip(SKIP_1) | instid1(VALU_DEP_1)
	v_pk_fma_f32 v[52:53], v[40:41], v[48:49], v[38:39] op_sel:[0,0,1] op_sel_hi:[1,1,0] neg_lo:[0,0,1] neg_hi:[0,0,1]
	v_pk_fma_f32 v[38:39], v[40:41], v[48:49], v[38:39] op_sel:[0,0,1] op_sel_hi:[1,0,0]
	v_mov_b32_e32 v53, v39
	ds_load_2addr_b64 v[38:41], v42 offset0:9 offset1:10
	v_pk_add_f32 v[6:7], v[6:7], v[54:55] neg_lo:[0,1] neg_hi:[0,1]
	v_pk_add_f32 v[20:21], v[20:21], v[52:53] neg_lo:[0,1] neg_hi:[0,1]
	s_wait_dscnt 0x0
	v_pk_mul_f32 v[52:53], v[38:39], v[50:51] op_sel:[0,1]
	s_delay_alu instid0(VALU_DEP_1) | instskip(SKIP_2) | instid1(VALU_DEP_2)
	v_pk_fma_f32 v[54:55], v[38:39], v[48:49], v[52:53] op_sel:[0,0,1] op_sel_hi:[1,1,0] neg_lo:[0,0,1] neg_hi:[0,0,1]
	v_pk_fma_f32 v[38:39], v[38:39], v[48:49], v[52:53] op_sel:[0,0,1] op_sel_hi:[1,0,0]
	v_dual_mul_f32 v52, v41, v51 :: v_dual_mov_b32 v38, v41
	v_dual_mov_b32 v55, v39 :: v_dual_mov_b32 v39, v40
	s_delay_alu instid0(VALU_DEP_2) | instskip(SKIP_1) | instid1(VALU_DEP_3)
	v_pk_fma_f32 v[52:53], v[40:41], v[24:25], v[52:53] op_sel_hi:[1,1,0] neg_lo:[0,0,1] neg_hi:[0,0,1]
	v_mul_f32_e32 v40, v41, v48
	v_pk_add_f32 v[16:17], v[16:17], v[54:55] neg_lo:[0,1] neg_hi:[0,1]
	s_delay_alu instid0(VALU_DEP_2) | instskip(NEXT) | instid1(VALU_DEP_1)
	v_pk_fma_f32 v[38:39], v[38:39], v[24:25], v[40:41] op_sel_hi:[1,1,0]
	v_mov_b32_e32 v53, v39
	ds_load_2addr_b64 v[38:41], v42 offset0:11 offset1:12
	v_pk_add_f32 v[18:19], v[18:19], v[52:53] neg_lo:[0,1] neg_hi:[0,1]
	s_wait_dscnt 0x0
	v_pk_mul_f32 v[52:53], v[38:39], v[50:51] op_sel:[0,1]
	s_delay_alu instid0(VALU_DEP_1) | instskip(SKIP_1) | instid1(VALU_DEP_1)
	v_pk_fma_f32 v[54:55], v[38:39], v[48:49], v[52:53] op_sel:[0,0,1] op_sel_hi:[1,1,0] neg_lo:[0,0,1] neg_hi:[0,0,1]
	v_pk_fma_f32 v[38:39], v[38:39], v[48:49], v[52:53] op_sel:[0,0,1] op_sel_hi:[1,0,0]
	v_mov_b32_e32 v55, v39
	v_pk_mul_f32 v[38:39], v[40:41], v[50:51] op_sel:[0,1]
	s_delay_alu instid0(VALU_DEP_1) | instskip(SKIP_1) | instid1(VALU_DEP_1)
	v_pk_fma_f32 v[52:53], v[40:41], v[48:49], v[38:39] op_sel:[0,0,1] op_sel_hi:[1,1,0] neg_lo:[0,0,1] neg_hi:[0,0,1]
	v_pk_fma_f32 v[38:39], v[40:41], v[48:49], v[38:39] op_sel:[0,0,1] op_sel_hi:[1,0,0]
	v_mov_b32_e32 v53, v39
	ds_load_2addr_b64 v[38:41], v42 offset0:13 offset1:14
	v_pk_add_f32 v[4:5], v[4:5], v[54:55] neg_lo:[0,1] neg_hi:[0,1]
	v_pk_add_f32 v[14:15], v[14:15], v[52:53] neg_lo:[0,1] neg_hi:[0,1]
	s_wait_dscnt 0x0
	v_pk_mul_f32 v[52:53], v[38:39], v[50:51] op_sel:[0,1]
	s_delay_alu instid0(VALU_DEP_1) | instskip(SKIP_1) | instid1(VALU_DEP_1)
	v_pk_fma_f32 v[54:55], v[38:39], v[48:49], v[52:53] op_sel:[0,0,1] op_sel_hi:[1,1,0] neg_lo:[0,0,1] neg_hi:[0,0,1]
	v_pk_fma_f32 v[38:39], v[38:39], v[48:49], v[52:53] op_sel:[0,0,1] op_sel_hi:[1,0,0]
	v_mov_b32_e32 v55, v39
	v_pk_mul_f32 v[38:39], v[40:41], v[50:51] op_sel:[0,1]
	s_delay_alu instid0(VALU_DEP_1) | instskip(SKIP_1) | instid1(VALU_DEP_1)
	v_pk_fma_f32 v[52:53], v[40:41], v[48:49], v[38:39] op_sel:[0,0,1] op_sel_hi:[1,1,0] neg_lo:[0,0,1] neg_hi:[0,0,1]
	v_pk_fma_f32 v[38:39], v[40:41], v[48:49], v[38:39] op_sel:[0,0,1] op_sel_hi:[1,0,0]
	v_mov_b32_e32 v53, v39
	ds_load_b64 v[38:39], v42 offset:120
	v_pk_add_f32 v[12:13], v[12:13], v[54:55] neg_lo:[0,1] neg_hi:[0,1]
	v_pk_add_f32 v[10:11], v[10:11], v[52:53] neg_lo:[0,1] neg_hi:[0,1]
	s_wait_dscnt 0x0
	v_pk_mul_f32 v[40:41], v[38:39], v[50:51] op_sel:[0,1]
	s_delay_alu instid0(VALU_DEP_1) | instskip(SKIP_1) | instid1(VALU_DEP_1)
	v_pk_fma_f32 v[50:51], v[38:39], v[48:49], v[40:41] op_sel:[0,0,1] op_sel_hi:[1,1,0] neg_lo:[0,0,1] neg_hi:[0,0,1]
	v_pk_fma_f32 v[38:39], v[38:39], v[48:49], v[40:41] op_sel:[0,0,1] op_sel_hi:[1,0,0]
	v_mov_b32_e32 v51, v39
	s_delay_alu instid0(VALU_DEP_1)
	v_pk_add_f32 v[36:37], v[36:37], v[50:51] neg_lo:[0,1] neg_hi:[0,1]
.LBB30_146:
	s_or_b32 exec_lo, exec_lo, s0
	v_lshl_add_u32 v38, v46, 3, v42
	s_barrier_signal -1
	s_barrier_wait -1
	ds_store_b64 v38, v[6:7]
	s_wait_dscnt 0x0
	s_barrier_signal -1
	s_barrier_wait -1
	ds_load_b64 v[38:39], v42 offset:56
	v_mov_b32_e32 v40, 7
	s_cmp_lt_i32 s14, 9
	s_cbranch_scc1 .LBB30_149
; %bb.147:
	v_add3_u32 v41, v43, 0, 64
	v_mov_b32_e32 v40, 7
	s_mov_b32 s0, 8
.LBB30_148:                             ; =>This Inner Loop Header: Depth=1
	ds_load_b64 v[48:49], v41
	s_wait_dscnt 0x1
	v_cmp_gt_f32_e32 vcc_lo, 0, v38
	v_cndmask_b32_e64 v50, v38, -v38, vcc_lo
	v_cmp_gt_f32_e32 vcc_lo, 0, v39
	v_cndmask_b32_e64 v52, v39, -v39, vcc_lo
	s_wait_dscnt 0x0
	v_cmp_gt_f32_e32 vcc_lo, 0, v48
	v_cndmask_b32_e64 v51, v48, -v48, vcc_lo
	v_cmp_gt_f32_e32 vcc_lo, 0, v49
	v_cndmask_b32_e64 v53, v49, -v49, vcc_lo
	s_delay_alu instid0(VALU_DEP_1) | instskip(NEXT) | instid1(VALU_DEP_1)
	v_pk_add_f32 v[50:51], v[50:51], v[52:53]
	v_cmp_lt_f32_e32 vcc_lo, v50, v51
	v_dual_cndmask_b32 v38, v38, v48 :: v_dual_add_nc_u32 v41, 8, v41
	v_cndmask_b32_e32 v39, v39, v49, vcc_lo
	v_cndmask_b32_e64 v40, v40, s0, vcc_lo
	s_add_co_i32 s0, s0, 1
	s_delay_alu instid0(SALU_CYCLE_1)
	s_cmp_lg_u32 s14, s0
	s_cbranch_scc1 .LBB30_148
.LBB30_149:
	s_wait_dscnt 0x0
	v_cmp_eq_f32_e32 vcc_lo, 0, v38
	v_cmp_eq_f32_e64 s0, 0, v39
	s_and_b32 s0, vcc_lo, s0
	s_delay_alu instid0(SALU_CYCLE_1) | instskip(NEXT) | instid1(SALU_CYCLE_1)
	s_and_saveexec_b32 s1, s0
	s_xor_b32 s0, exec_lo, s1
; %bb.150:
	v_cmp_ne_u32_e32 vcc_lo, 0, v45
	v_cndmask_b32_e32 v45, 8, v45, vcc_lo
; %bb.151:
	s_and_not1_saveexec_b32 s0, s0
	s_cbranch_execz .LBB30_157
; %bb.152:
	v_cmp_ngt_f32_e64 s1, |v38|, |v39|
	s_and_saveexec_b32 s15, s1
	s_delay_alu instid0(SALU_CYCLE_1)
	s_xor_b32 s1, exec_lo, s15
	s_cbranch_execz .LBB30_154
; %bb.153:
	v_div_scale_f32 v41, null, v39, v39, v38
	v_div_scale_f32 v49, vcc_lo, v38, v39, v38
	s_delay_alu instid0(VALU_DEP_2) | instskip(SKIP_1) | instid1(TRANS32_DEP_1)
	v_rcp_f32_e32 v47, v41
	v_nop
	v_fma_f32 v48, -v41, v47, 1.0
	s_delay_alu instid0(VALU_DEP_1) | instskip(NEXT) | instid1(VALU_DEP_1)
	v_fmac_f32_e32 v47, v48, v47
	v_mul_f32_e32 v48, v49, v47
	s_delay_alu instid0(VALU_DEP_1) | instskip(NEXT) | instid1(VALU_DEP_1)
	v_fma_f32 v50, -v41, v48, v49
	v_fmac_f32_e32 v48, v50, v47
	s_delay_alu instid0(VALU_DEP_1) | instskip(NEXT) | instid1(VALU_DEP_1)
	v_fma_f32 v41, -v41, v48, v49
	v_div_fmas_f32 v41, v41, v47, v48
	s_delay_alu instid0(VALU_DEP_1) | instskip(NEXT) | instid1(VALU_DEP_1)
	v_div_fixup_f32 v41, v41, v39, v38
	v_fmac_f32_e32 v39, v38, v41
	s_delay_alu instid0(VALU_DEP_1) | instskip(SKIP_1) | instid1(VALU_DEP_2)
	v_div_scale_f32 v38, null, v39, v39, 1.0
	v_div_scale_f32 v49, vcc_lo, 1.0, v39, 1.0
	v_rcp_f32_e32 v47, v38
	v_nop
	s_delay_alu instid0(TRANS32_DEP_1) | instskip(NEXT) | instid1(VALU_DEP_1)
	v_fma_f32 v48, -v38, v47, 1.0
	v_fmac_f32_e32 v47, v48, v47
	s_delay_alu instid0(VALU_DEP_1) | instskip(NEXT) | instid1(VALU_DEP_1)
	v_mul_f32_e32 v48, v49, v47
	v_fma_f32 v50, -v38, v48, v49
	s_delay_alu instid0(VALU_DEP_1) | instskip(NEXT) | instid1(VALU_DEP_1)
	v_fmac_f32_e32 v48, v50, v47
	v_fma_f32 v38, -v38, v48, v49
	s_delay_alu instid0(VALU_DEP_1) | instskip(NEXT) | instid1(VALU_DEP_1)
	v_div_fmas_f32 v38, v38, v47, v48
	v_div_fixup_f32 v39, v38, v39, 1.0
	s_delay_alu instid0(VALU_DEP_1)
	v_mul_f32_e32 v38, v41, v39
	v_xor_b32_e32 v39, 0x80000000, v39
.LBB30_154:
	s_and_not1_saveexec_b32 s1, s1
	s_cbranch_execz .LBB30_156
; %bb.155:
	s_delay_alu instid0(VALU_DEP_1) | instskip(SKIP_1) | instid1(VALU_DEP_2)
	v_div_scale_f32 v41, null, v38, v38, v39
	v_div_scale_f32 v49, vcc_lo, v39, v38, v39
	v_rcp_f32_e32 v47, v41
	v_nop
	s_delay_alu instid0(TRANS32_DEP_1) | instskip(NEXT) | instid1(VALU_DEP_1)
	v_fma_f32 v48, -v41, v47, 1.0
	v_fmac_f32_e32 v47, v48, v47
	s_delay_alu instid0(VALU_DEP_1) | instskip(NEXT) | instid1(VALU_DEP_1)
	v_mul_f32_e32 v48, v49, v47
	v_fma_f32 v50, -v41, v48, v49
	s_delay_alu instid0(VALU_DEP_1) | instskip(NEXT) | instid1(VALU_DEP_1)
	v_fmac_f32_e32 v48, v50, v47
	v_fma_f32 v41, -v41, v48, v49
	s_delay_alu instid0(VALU_DEP_1) | instskip(NEXT) | instid1(VALU_DEP_1)
	v_div_fmas_f32 v41, v41, v47, v48
	v_div_fixup_f32 v41, v41, v38, v39
	s_delay_alu instid0(VALU_DEP_1) | instskip(NEXT) | instid1(VALU_DEP_1)
	v_fmac_f32_e32 v38, v39, v41
	v_div_scale_f32 v39, null, v38, v38, 1.0
	s_delay_alu instid0(VALU_DEP_1) | instskip(SKIP_1) | instid1(TRANS32_DEP_1)
	v_rcp_f32_e32 v47, v39
	v_nop
	v_fma_f32 v48, -v39, v47, 1.0
	s_delay_alu instid0(VALU_DEP_1) | instskip(SKIP_1) | instid1(VALU_DEP_1)
	v_fmac_f32_e32 v47, v48, v47
	v_div_scale_f32 v48, vcc_lo, 1.0, v38, 1.0
	v_mul_f32_e32 v49, v48, v47
	s_delay_alu instid0(VALU_DEP_1) | instskip(NEXT) | instid1(VALU_DEP_1)
	v_fma_f32 v50, -v39, v49, v48
	v_fmac_f32_e32 v49, v50, v47
	s_delay_alu instid0(VALU_DEP_1) | instskip(NEXT) | instid1(VALU_DEP_1)
	v_fma_f32 v39, -v39, v49, v48
	v_div_fmas_f32 v39, v39, v47, v49
	s_delay_alu instid0(VALU_DEP_1) | instskip(NEXT) | instid1(VALU_DEP_1)
	v_div_fixup_f32 v38, v39, v38, 1.0
	v_mul_f32_e64 v39, v41, -v38
.LBB30_156:
	s_or_b32 exec_lo, exec_lo, s1
.LBB30_157:
	s_delay_alu instid0(SALU_CYCLE_1) | instskip(NEXT) | instid1(SALU_CYCLE_1)
	s_or_b32 exec_lo, exec_lo, s0
	s_mov_b32 s0, exec_lo
	v_cmpx_ne_u32_e64 v46, v40
	s_xor_b32 s0, exec_lo, s0
	s_cbranch_execz .LBB30_163
; %bb.158:
	s_mov_b32 s1, exec_lo
	v_cmpx_eq_u32_e32 7, v46
	s_cbranch_execz .LBB30_162
; %bb.159:
	v_cmp_ne_u32_e32 vcc_lo, 7, v40
	s_xor_b32 s15, s12, -1
	s_delay_alu instid0(SALU_CYCLE_1) | instskip(NEXT) | instid1(SALU_CYCLE_1)
	s_and_b32 s16, s15, vcc_lo
	s_and_saveexec_b32 s15, s16
	s_cbranch_execz .LBB30_161
; %bb.160:
	v_ashrrev_i32_e32 v41, 31, v40
	s_delay_alu instid0(VALU_DEP_1)
	v_lshl_add_u64 v[46:47], v[40:41], 2, v[32:33]
	s_clause 0x1
	global_load_b32 v41, v[46:47], off
	global_load_b32 v44, v[32:33], off offset:28
	s_wait_loadcnt 0x1
	global_store_b32 v[32:33], v41, off offset:28
	s_wait_loadcnt 0x0
	global_store_b32 v[46:47], v44, off
.LBB30_161:
	s_wait_xcnt 0x0
	s_or_b32 exec_lo, exec_lo, s15
	v_dual_mov_b32 v46, v40 :: v_dual_mov_b32 v44, v40
.LBB30_162:
	s_or_b32 exec_lo, exec_lo, s1
.LBB30_163:
	s_and_not1_saveexec_b32 s0, s0
	s_cbranch_execz .LBB30_165
; %bb.164:
	v_dual_mov_b32 v40, v20 :: v_dual_mov_b32 v41, v21
	v_dual_mov_b32 v48, v16 :: v_dual_mov_b32 v49, v17
	;; [unrolled: 1-line block ×7, first 2 shown]
	v_mov_b32_e32 v59, v11
	ds_store_2addr_b64 v42, v[40:41], v[48:49] offset0:8 offset1:9
	ds_store_2addr_b64 v42, v[50:51], v[52:53] offset0:10 offset1:11
	;; [unrolled: 1-line block ×4, first 2 shown]
.LBB30_165:
	s_or_b32 exec_lo, exec_lo, s0
	s_delay_alu instid0(SALU_CYCLE_1)
	s_mov_b32 s0, exec_lo
	s_wait_storecnt_dscnt 0x0
	s_barrier_signal -1
	s_barrier_wait -1
	v_cmpx_lt_i32_e32 7, v46
	s_cbranch_execz .LBB30_167
; %bb.166:
	v_pk_mul_f32 v[40:41], v[38:39], v[6:7] op_sel:[1,1] op_sel_hi:[0,1]
	s_delay_alu instid0(VALU_DEP_1)
	v_pk_fma_f32 v[48:49], v[38:39], v[6:7], v[40:41] op_sel_hi:[1,0,1] neg_lo:[0,0,1] neg_hi:[0,0,1]
	v_pk_fma_f32 v[50:51], v[38:39], v[6:7], v[40:41] op_sel_hi:[1,0,1]
	ds_load_2addr_b64 v[38:41], v42 offset0:8 offset1:9
	v_dual_mov_b32 v6, v48 :: v_dual_mov_b32 v7, v51
	s_wait_dscnt 0x0
	v_pk_mul_f32 v[52:53], v[38:39], v[50:51] op_sel:[0,1]
	s_delay_alu instid0(VALU_DEP_1) | instskip(SKIP_1) | instid1(VALU_DEP_1)
	v_pk_fma_f32 v[54:55], v[38:39], v[48:49], v[52:53] op_sel:[0,0,1] op_sel_hi:[1,1,0] neg_lo:[0,0,1] neg_hi:[0,0,1]
	v_pk_fma_f32 v[38:39], v[38:39], v[48:49], v[52:53] op_sel:[0,0,1] op_sel_hi:[1,0,0]
	v_mov_b32_e32 v55, v39
	v_pk_mul_f32 v[38:39], v[40:41], v[50:51] op_sel:[0,1]
	s_delay_alu instid0(VALU_DEP_1) | instskip(SKIP_1) | instid1(VALU_DEP_1)
	v_pk_fma_f32 v[52:53], v[40:41], v[48:49], v[38:39] op_sel:[0,0,1] op_sel_hi:[1,1,0] neg_lo:[0,0,1] neg_hi:[0,0,1]
	v_pk_fma_f32 v[38:39], v[40:41], v[48:49], v[38:39] op_sel:[0,0,1] op_sel_hi:[1,0,0]
	v_mov_b32_e32 v53, v39
	ds_load_2addr_b64 v[38:41], v42 offset0:10 offset1:11
	v_pk_add_f32 v[20:21], v[20:21], v[54:55] neg_lo:[0,1] neg_hi:[0,1]
	v_pk_add_f32 v[16:17], v[16:17], v[52:53] neg_lo:[0,1] neg_hi:[0,1]
	s_wait_dscnt 0x0
	v_pk_mul_f32 v[52:53], v[38:39], v[50:51] op_sel:[0,1]
	s_delay_alu instid0(VALU_DEP_1) | instskip(SKIP_2) | instid1(VALU_DEP_2)
	v_pk_fma_f32 v[54:55], v[38:39], v[48:49], v[52:53] op_sel:[0,0,1] op_sel_hi:[1,1,0] neg_lo:[0,0,1] neg_hi:[0,0,1]
	v_pk_fma_f32 v[38:39], v[38:39], v[48:49], v[52:53] op_sel:[0,0,1] op_sel_hi:[1,0,0]
	v_dual_mul_f32 v52, v41, v51 :: v_dual_mov_b32 v38, v41
	v_dual_mov_b32 v55, v39 :: v_dual_mov_b32 v39, v40
	s_delay_alu instid0(VALU_DEP_2) | instskip(SKIP_1) | instid1(VALU_DEP_3)
	v_pk_fma_f32 v[52:53], v[40:41], v[6:7], v[52:53] op_sel_hi:[1,1,0] neg_lo:[0,0,1] neg_hi:[0,0,1]
	v_mul_f32_e32 v40, v41, v48
	v_pk_add_f32 v[18:19], v[18:19], v[54:55] neg_lo:[0,1] neg_hi:[0,1]
	s_delay_alu instid0(VALU_DEP_2) | instskip(NEXT) | instid1(VALU_DEP_1)
	v_pk_fma_f32 v[38:39], v[38:39], v[6:7], v[40:41] op_sel_hi:[1,1,0]
	v_mov_b32_e32 v53, v39
	ds_load_2addr_b64 v[38:41], v42 offset0:12 offset1:13
	v_pk_add_f32 v[4:5], v[4:5], v[52:53] neg_lo:[0,1] neg_hi:[0,1]
	s_wait_dscnt 0x0
	v_pk_mul_f32 v[52:53], v[38:39], v[50:51] op_sel:[0,1]
	s_delay_alu instid0(VALU_DEP_1) | instskip(SKIP_1) | instid1(VALU_DEP_1)
	v_pk_fma_f32 v[54:55], v[38:39], v[48:49], v[52:53] op_sel:[0,0,1] op_sel_hi:[1,1,0] neg_lo:[0,0,1] neg_hi:[0,0,1]
	v_pk_fma_f32 v[38:39], v[38:39], v[48:49], v[52:53] op_sel:[0,0,1] op_sel_hi:[1,0,0]
	v_mov_b32_e32 v55, v39
	v_pk_mul_f32 v[38:39], v[40:41], v[50:51] op_sel:[0,1]
	s_delay_alu instid0(VALU_DEP_1) | instskip(SKIP_1) | instid1(VALU_DEP_1)
	v_pk_fma_f32 v[52:53], v[40:41], v[48:49], v[38:39] op_sel:[0,0,1] op_sel_hi:[1,1,0] neg_lo:[0,0,1] neg_hi:[0,0,1]
	v_pk_fma_f32 v[38:39], v[40:41], v[48:49], v[38:39] op_sel:[0,0,1] op_sel_hi:[1,0,0]
	v_mov_b32_e32 v53, v39
	ds_load_2addr_b64 v[38:41], v42 offset0:14 offset1:15
	v_pk_add_f32 v[14:15], v[14:15], v[54:55] neg_lo:[0,1] neg_hi:[0,1]
	v_pk_add_f32 v[12:13], v[12:13], v[52:53] neg_lo:[0,1] neg_hi:[0,1]
	s_wait_dscnt 0x0
	v_pk_mul_f32 v[52:53], v[38:39], v[50:51] op_sel:[0,1]
	s_delay_alu instid0(VALU_DEP_1) | instskip(SKIP_1) | instid1(VALU_DEP_1)
	v_pk_fma_f32 v[54:55], v[38:39], v[48:49], v[52:53] op_sel:[0,0,1] op_sel_hi:[1,1,0] neg_lo:[0,0,1] neg_hi:[0,0,1]
	v_pk_fma_f32 v[38:39], v[38:39], v[48:49], v[52:53] op_sel:[0,0,1] op_sel_hi:[1,0,0]
	v_mov_b32_e32 v55, v39
	v_pk_mul_f32 v[38:39], v[40:41], v[50:51] op_sel:[0,1]
	s_delay_alu instid0(VALU_DEP_1) | instskip(SKIP_1) | instid1(VALU_DEP_1)
	v_pk_fma_f32 v[50:51], v[40:41], v[48:49], v[38:39] op_sel:[0,0,1] op_sel_hi:[1,1,0] neg_lo:[0,0,1] neg_hi:[0,0,1]
	v_pk_fma_f32 v[38:39], v[40:41], v[48:49], v[38:39] op_sel:[0,0,1] op_sel_hi:[1,0,0]
	v_mov_b32_e32 v51, v39
	v_pk_add_f32 v[10:11], v[10:11], v[54:55] neg_lo:[0,1] neg_hi:[0,1]
	s_delay_alu instid0(VALU_DEP_2)
	v_pk_add_f32 v[36:37], v[36:37], v[50:51] neg_lo:[0,1] neg_hi:[0,1]
.LBB30_167:
	s_or_b32 exec_lo, exec_lo, s0
	v_lshl_add_u32 v38, v46, 3, v42
	s_barrier_signal -1
	s_barrier_wait -1
	ds_store_b64 v38, v[20:21]
	s_wait_dscnt 0x0
	s_barrier_signal -1
	s_barrier_wait -1
	ds_load_b64 v[38:39], v42 offset:64
	v_mov_b32_e32 v40, 8
	s_cmp_lt_i32 s14, 10
	s_cbranch_scc1 .LBB30_170
; %bb.168:
	v_add3_u32 v41, v43, 0, 0x48
	v_mov_b32_e32 v40, 8
	s_mov_b32 s0, 9
.LBB30_169:                             ; =>This Inner Loop Header: Depth=1
	ds_load_b64 v[48:49], v41
	s_wait_dscnt 0x1
	v_cmp_gt_f32_e32 vcc_lo, 0, v38
	v_cndmask_b32_e64 v50, v38, -v38, vcc_lo
	v_cmp_gt_f32_e32 vcc_lo, 0, v39
	v_cndmask_b32_e64 v52, v39, -v39, vcc_lo
	s_wait_dscnt 0x0
	v_cmp_gt_f32_e32 vcc_lo, 0, v48
	v_cndmask_b32_e64 v51, v48, -v48, vcc_lo
	v_cmp_gt_f32_e32 vcc_lo, 0, v49
	v_cndmask_b32_e64 v53, v49, -v49, vcc_lo
	s_delay_alu instid0(VALU_DEP_1) | instskip(NEXT) | instid1(VALU_DEP_1)
	v_pk_add_f32 v[50:51], v[50:51], v[52:53]
	v_cmp_lt_f32_e32 vcc_lo, v50, v51
	v_dual_cndmask_b32 v38, v38, v48 :: v_dual_add_nc_u32 v41, 8, v41
	v_cndmask_b32_e32 v39, v39, v49, vcc_lo
	v_cndmask_b32_e64 v40, v40, s0, vcc_lo
	s_add_co_i32 s0, s0, 1
	s_delay_alu instid0(SALU_CYCLE_1)
	s_cmp_lg_u32 s14, s0
	s_cbranch_scc1 .LBB30_169
.LBB30_170:
	s_wait_dscnt 0x0
	v_cmp_eq_f32_e32 vcc_lo, 0, v38
	v_cmp_eq_f32_e64 s0, 0, v39
	s_and_b32 s0, vcc_lo, s0
	s_delay_alu instid0(SALU_CYCLE_1) | instskip(NEXT) | instid1(SALU_CYCLE_1)
	s_and_saveexec_b32 s1, s0
	s_xor_b32 s0, exec_lo, s1
; %bb.171:
	v_cmp_ne_u32_e32 vcc_lo, 0, v45
	v_cndmask_b32_e32 v45, 9, v45, vcc_lo
; %bb.172:
	s_and_not1_saveexec_b32 s0, s0
	s_cbranch_execz .LBB30_178
; %bb.173:
	v_cmp_ngt_f32_e64 s1, |v38|, |v39|
	s_and_saveexec_b32 s15, s1
	s_delay_alu instid0(SALU_CYCLE_1)
	s_xor_b32 s1, exec_lo, s15
	s_cbranch_execz .LBB30_175
; %bb.174:
	v_div_scale_f32 v41, null, v39, v39, v38
	v_div_scale_f32 v49, vcc_lo, v38, v39, v38
	s_delay_alu instid0(VALU_DEP_2) | instskip(SKIP_1) | instid1(TRANS32_DEP_1)
	v_rcp_f32_e32 v47, v41
	v_nop
	v_fma_f32 v48, -v41, v47, 1.0
	s_delay_alu instid0(VALU_DEP_1) | instskip(NEXT) | instid1(VALU_DEP_1)
	v_fmac_f32_e32 v47, v48, v47
	v_mul_f32_e32 v48, v49, v47
	s_delay_alu instid0(VALU_DEP_1) | instskip(NEXT) | instid1(VALU_DEP_1)
	v_fma_f32 v50, -v41, v48, v49
	v_fmac_f32_e32 v48, v50, v47
	s_delay_alu instid0(VALU_DEP_1) | instskip(NEXT) | instid1(VALU_DEP_1)
	v_fma_f32 v41, -v41, v48, v49
	v_div_fmas_f32 v41, v41, v47, v48
	s_delay_alu instid0(VALU_DEP_1) | instskip(NEXT) | instid1(VALU_DEP_1)
	v_div_fixup_f32 v41, v41, v39, v38
	v_fmac_f32_e32 v39, v38, v41
	s_delay_alu instid0(VALU_DEP_1) | instskip(SKIP_1) | instid1(VALU_DEP_2)
	v_div_scale_f32 v38, null, v39, v39, 1.0
	v_div_scale_f32 v49, vcc_lo, 1.0, v39, 1.0
	v_rcp_f32_e32 v47, v38
	v_nop
	s_delay_alu instid0(TRANS32_DEP_1) | instskip(NEXT) | instid1(VALU_DEP_1)
	v_fma_f32 v48, -v38, v47, 1.0
	v_fmac_f32_e32 v47, v48, v47
	s_delay_alu instid0(VALU_DEP_1) | instskip(NEXT) | instid1(VALU_DEP_1)
	v_mul_f32_e32 v48, v49, v47
	v_fma_f32 v50, -v38, v48, v49
	s_delay_alu instid0(VALU_DEP_1) | instskip(NEXT) | instid1(VALU_DEP_1)
	v_fmac_f32_e32 v48, v50, v47
	v_fma_f32 v38, -v38, v48, v49
	s_delay_alu instid0(VALU_DEP_1) | instskip(NEXT) | instid1(VALU_DEP_1)
	v_div_fmas_f32 v38, v38, v47, v48
	v_div_fixup_f32 v39, v38, v39, 1.0
	s_delay_alu instid0(VALU_DEP_1)
	v_mul_f32_e32 v38, v41, v39
	v_xor_b32_e32 v39, 0x80000000, v39
.LBB30_175:
	s_and_not1_saveexec_b32 s1, s1
	s_cbranch_execz .LBB30_177
; %bb.176:
	s_delay_alu instid0(VALU_DEP_1) | instskip(SKIP_1) | instid1(VALU_DEP_2)
	v_div_scale_f32 v41, null, v38, v38, v39
	v_div_scale_f32 v49, vcc_lo, v39, v38, v39
	v_rcp_f32_e32 v47, v41
	v_nop
	s_delay_alu instid0(TRANS32_DEP_1) | instskip(NEXT) | instid1(VALU_DEP_1)
	v_fma_f32 v48, -v41, v47, 1.0
	v_fmac_f32_e32 v47, v48, v47
	s_delay_alu instid0(VALU_DEP_1) | instskip(NEXT) | instid1(VALU_DEP_1)
	v_mul_f32_e32 v48, v49, v47
	v_fma_f32 v50, -v41, v48, v49
	s_delay_alu instid0(VALU_DEP_1) | instskip(NEXT) | instid1(VALU_DEP_1)
	v_fmac_f32_e32 v48, v50, v47
	v_fma_f32 v41, -v41, v48, v49
	s_delay_alu instid0(VALU_DEP_1) | instskip(NEXT) | instid1(VALU_DEP_1)
	v_div_fmas_f32 v41, v41, v47, v48
	v_div_fixup_f32 v41, v41, v38, v39
	s_delay_alu instid0(VALU_DEP_1) | instskip(NEXT) | instid1(VALU_DEP_1)
	v_fmac_f32_e32 v38, v39, v41
	v_div_scale_f32 v39, null, v38, v38, 1.0
	s_delay_alu instid0(VALU_DEP_1) | instskip(SKIP_1) | instid1(TRANS32_DEP_1)
	v_rcp_f32_e32 v47, v39
	v_nop
	v_fma_f32 v48, -v39, v47, 1.0
	s_delay_alu instid0(VALU_DEP_1) | instskip(SKIP_1) | instid1(VALU_DEP_1)
	v_fmac_f32_e32 v47, v48, v47
	v_div_scale_f32 v48, vcc_lo, 1.0, v38, 1.0
	v_mul_f32_e32 v49, v48, v47
	s_delay_alu instid0(VALU_DEP_1) | instskip(NEXT) | instid1(VALU_DEP_1)
	v_fma_f32 v50, -v39, v49, v48
	v_fmac_f32_e32 v49, v50, v47
	s_delay_alu instid0(VALU_DEP_1) | instskip(NEXT) | instid1(VALU_DEP_1)
	v_fma_f32 v39, -v39, v49, v48
	v_div_fmas_f32 v39, v39, v47, v49
	s_delay_alu instid0(VALU_DEP_1) | instskip(NEXT) | instid1(VALU_DEP_1)
	v_div_fixup_f32 v38, v39, v38, 1.0
	v_mul_f32_e64 v39, v41, -v38
.LBB30_177:
	s_or_b32 exec_lo, exec_lo, s1
.LBB30_178:
	s_delay_alu instid0(SALU_CYCLE_1) | instskip(NEXT) | instid1(SALU_CYCLE_1)
	s_or_b32 exec_lo, exec_lo, s0
	s_mov_b32 s0, exec_lo
	v_cmpx_ne_u32_e64 v46, v40
	s_xor_b32 s0, exec_lo, s0
	s_cbranch_execz .LBB30_184
; %bb.179:
	s_mov_b32 s1, exec_lo
	v_cmpx_eq_u32_e32 8, v46
	s_cbranch_execz .LBB30_183
; %bb.180:
	v_cmp_ne_u32_e32 vcc_lo, 8, v40
	s_xor_b32 s15, s12, -1
	s_delay_alu instid0(SALU_CYCLE_1) | instskip(NEXT) | instid1(SALU_CYCLE_1)
	s_and_b32 s16, s15, vcc_lo
	s_and_saveexec_b32 s15, s16
	s_cbranch_execz .LBB30_182
; %bb.181:
	v_ashrrev_i32_e32 v41, 31, v40
	s_delay_alu instid0(VALU_DEP_1)
	v_lshl_add_u64 v[46:47], v[40:41], 2, v[32:33]
	s_clause 0x1
	global_load_b32 v41, v[46:47], off
	global_load_b32 v44, v[32:33], off offset:32
	s_wait_loadcnt 0x1
	global_store_b32 v[32:33], v41, off offset:32
	s_wait_loadcnt 0x0
	global_store_b32 v[46:47], v44, off
.LBB30_182:
	s_wait_xcnt 0x0
	s_or_b32 exec_lo, exec_lo, s15
	v_dual_mov_b32 v46, v40 :: v_dual_mov_b32 v44, v40
.LBB30_183:
	s_or_b32 exec_lo, exec_lo, s1
.LBB30_184:
	s_and_not1_saveexec_b32 s0, s0
	s_cbranch_execz .LBB30_186
; %bb.185:
	v_mov_b32_e32 v46, 8
	ds_store_2addr_b64 v42, v[16:17], v[18:19] offset0:9 offset1:10
	ds_store_2addr_b64 v42, v[4:5], v[14:15] offset0:11 offset1:12
	;; [unrolled: 1-line block ×3, first 2 shown]
	ds_store_b64 v42, v[36:37] offset:120
.LBB30_186:
	s_or_b32 exec_lo, exec_lo, s0
	s_delay_alu instid0(SALU_CYCLE_1)
	s_mov_b32 s0, exec_lo
	s_wait_storecnt_dscnt 0x0
	s_barrier_signal -1
	s_barrier_wait -1
	v_cmpx_lt_i32_e32 8, v46
	s_cbranch_execz .LBB30_188
; %bb.187:
	v_pk_mul_f32 v[40:41], v[38:39], v[20:21] op_sel:[1,1] op_sel_hi:[0,1]
	s_delay_alu instid0(VALU_DEP_1)
	v_pk_fma_f32 v[48:49], v[38:39], v[20:21], v[40:41] op_sel_hi:[1,0,1] neg_lo:[0,0,1] neg_hi:[0,0,1]
	v_pk_fma_f32 v[50:51], v[38:39], v[20:21], v[40:41] op_sel_hi:[1,0,1]
	ds_load_2addr_b64 v[38:41], v42 offset0:9 offset1:10
	v_dual_mov_b32 v20, v48 :: v_dual_mov_b32 v21, v51
	s_wait_dscnt 0x0
	v_pk_mul_f32 v[52:53], v[38:39], v[50:51] op_sel:[0,1]
	s_delay_alu instid0(VALU_DEP_1) | instskip(SKIP_1) | instid1(VALU_DEP_1)
	v_pk_fma_f32 v[54:55], v[38:39], v[48:49], v[52:53] op_sel:[0,0,1] op_sel_hi:[1,1,0] neg_lo:[0,0,1] neg_hi:[0,0,1]
	v_pk_fma_f32 v[38:39], v[38:39], v[48:49], v[52:53] op_sel:[0,0,1] op_sel_hi:[1,0,0]
	v_mov_b32_e32 v55, v39
	v_pk_mul_f32 v[38:39], v[40:41], v[50:51] op_sel:[0,1]
	s_delay_alu instid0(VALU_DEP_1) | instskip(SKIP_1) | instid1(VALU_DEP_1)
	v_pk_fma_f32 v[52:53], v[40:41], v[48:49], v[38:39] op_sel:[0,0,1] op_sel_hi:[1,1,0] neg_lo:[0,0,1] neg_hi:[0,0,1]
	v_pk_fma_f32 v[38:39], v[40:41], v[48:49], v[38:39] op_sel:[0,0,1] op_sel_hi:[1,0,0]
	v_mov_b32_e32 v53, v39
	ds_load_2addr_b64 v[38:41], v42 offset0:11 offset1:12
	v_pk_add_f32 v[16:17], v[16:17], v[54:55] neg_lo:[0,1] neg_hi:[0,1]
	v_pk_add_f32 v[18:19], v[18:19], v[52:53] neg_lo:[0,1] neg_hi:[0,1]
	s_wait_dscnt 0x0
	v_pk_mul_f32 v[52:53], v[38:39], v[50:51] op_sel:[0,1]
	s_delay_alu instid0(VALU_DEP_1) | instskip(SKIP_2) | instid1(VALU_DEP_2)
	v_pk_fma_f32 v[54:55], v[38:39], v[48:49], v[52:53] op_sel:[0,0,1] op_sel_hi:[1,1,0] neg_lo:[0,0,1] neg_hi:[0,0,1]
	v_pk_fma_f32 v[38:39], v[38:39], v[48:49], v[52:53] op_sel:[0,0,1] op_sel_hi:[1,0,0]
	v_dual_mul_f32 v52, v41, v51 :: v_dual_mov_b32 v38, v41
	v_dual_mov_b32 v55, v39 :: v_dual_mov_b32 v39, v40
	s_delay_alu instid0(VALU_DEP_2) | instskip(SKIP_1) | instid1(VALU_DEP_3)
	v_pk_fma_f32 v[52:53], v[40:41], v[20:21], v[52:53] op_sel_hi:[1,1,0] neg_lo:[0,0,1] neg_hi:[0,0,1]
	v_mul_f32_e32 v40, v41, v48
	v_pk_add_f32 v[4:5], v[4:5], v[54:55] neg_lo:[0,1] neg_hi:[0,1]
	s_delay_alu instid0(VALU_DEP_2) | instskip(NEXT) | instid1(VALU_DEP_1)
	v_pk_fma_f32 v[38:39], v[38:39], v[20:21], v[40:41] op_sel_hi:[1,1,0]
	v_mov_b32_e32 v53, v39
	ds_load_2addr_b64 v[38:41], v42 offset0:13 offset1:14
	v_pk_add_f32 v[14:15], v[14:15], v[52:53] neg_lo:[0,1] neg_hi:[0,1]
	s_wait_dscnt 0x0
	v_pk_mul_f32 v[52:53], v[38:39], v[50:51] op_sel:[0,1]
	s_delay_alu instid0(VALU_DEP_1) | instskip(SKIP_1) | instid1(VALU_DEP_1)
	v_pk_fma_f32 v[54:55], v[38:39], v[48:49], v[52:53] op_sel:[0,0,1] op_sel_hi:[1,1,0] neg_lo:[0,0,1] neg_hi:[0,0,1]
	v_pk_fma_f32 v[38:39], v[38:39], v[48:49], v[52:53] op_sel:[0,0,1] op_sel_hi:[1,0,0]
	v_mov_b32_e32 v55, v39
	v_pk_mul_f32 v[38:39], v[40:41], v[50:51] op_sel:[0,1]
	s_delay_alu instid0(VALU_DEP_1) | instskip(SKIP_1) | instid1(VALU_DEP_1)
	v_pk_fma_f32 v[52:53], v[40:41], v[48:49], v[38:39] op_sel:[0,0,1] op_sel_hi:[1,1,0] neg_lo:[0,0,1] neg_hi:[0,0,1]
	v_pk_fma_f32 v[38:39], v[40:41], v[48:49], v[38:39] op_sel:[0,0,1] op_sel_hi:[1,0,0]
	v_mov_b32_e32 v53, v39
	ds_load_b64 v[38:39], v42 offset:120
	v_pk_add_f32 v[12:13], v[12:13], v[54:55] neg_lo:[0,1] neg_hi:[0,1]
	v_pk_add_f32 v[10:11], v[10:11], v[52:53] neg_lo:[0,1] neg_hi:[0,1]
	s_wait_dscnt 0x0
	v_pk_mul_f32 v[40:41], v[38:39], v[50:51] op_sel:[0,1]
	s_delay_alu instid0(VALU_DEP_1) | instskip(SKIP_1) | instid1(VALU_DEP_1)
	v_pk_fma_f32 v[50:51], v[38:39], v[48:49], v[40:41] op_sel:[0,0,1] op_sel_hi:[1,1,0] neg_lo:[0,0,1] neg_hi:[0,0,1]
	v_pk_fma_f32 v[38:39], v[38:39], v[48:49], v[40:41] op_sel:[0,0,1] op_sel_hi:[1,0,0]
	v_mov_b32_e32 v51, v39
	s_delay_alu instid0(VALU_DEP_1)
	v_pk_add_f32 v[36:37], v[36:37], v[50:51] neg_lo:[0,1] neg_hi:[0,1]
.LBB30_188:
	s_or_b32 exec_lo, exec_lo, s0
	v_lshl_add_u32 v38, v46, 3, v42
	s_barrier_signal -1
	s_barrier_wait -1
	ds_store_b64 v38, v[16:17]
	s_wait_dscnt 0x0
	s_barrier_signal -1
	s_barrier_wait -1
	ds_load_b64 v[38:39], v42 offset:72
	v_mov_b32_e32 v40, 9
	s_cmp_lt_i32 s14, 11
	s_cbranch_scc1 .LBB30_191
; %bb.189:
	v_add3_u32 v41, v43, 0, 0x50
	v_mov_b32_e32 v40, 9
	s_mov_b32 s0, 10
.LBB30_190:                             ; =>This Inner Loop Header: Depth=1
	ds_load_b64 v[48:49], v41
	s_wait_dscnt 0x1
	v_cmp_gt_f32_e32 vcc_lo, 0, v38
	v_cndmask_b32_e64 v50, v38, -v38, vcc_lo
	v_cmp_gt_f32_e32 vcc_lo, 0, v39
	v_cndmask_b32_e64 v52, v39, -v39, vcc_lo
	s_wait_dscnt 0x0
	v_cmp_gt_f32_e32 vcc_lo, 0, v48
	v_cndmask_b32_e64 v51, v48, -v48, vcc_lo
	v_cmp_gt_f32_e32 vcc_lo, 0, v49
	v_cndmask_b32_e64 v53, v49, -v49, vcc_lo
	s_delay_alu instid0(VALU_DEP_1) | instskip(NEXT) | instid1(VALU_DEP_1)
	v_pk_add_f32 v[50:51], v[50:51], v[52:53]
	v_cmp_lt_f32_e32 vcc_lo, v50, v51
	v_dual_cndmask_b32 v38, v38, v48 :: v_dual_add_nc_u32 v41, 8, v41
	v_cndmask_b32_e32 v39, v39, v49, vcc_lo
	v_cndmask_b32_e64 v40, v40, s0, vcc_lo
	s_add_co_i32 s0, s0, 1
	s_delay_alu instid0(SALU_CYCLE_1)
	s_cmp_lg_u32 s14, s0
	s_cbranch_scc1 .LBB30_190
.LBB30_191:
	s_wait_dscnt 0x0
	v_cmp_eq_f32_e32 vcc_lo, 0, v38
	v_cmp_eq_f32_e64 s0, 0, v39
	s_and_b32 s0, vcc_lo, s0
	s_delay_alu instid0(SALU_CYCLE_1) | instskip(NEXT) | instid1(SALU_CYCLE_1)
	s_and_saveexec_b32 s1, s0
	s_xor_b32 s0, exec_lo, s1
; %bb.192:
	v_cmp_ne_u32_e32 vcc_lo, 0, v45
	v_cndmask_b32_e32 v45, 10, v45, vcc_lo
; %bb.193:
	s_and_not1_saveexec_b32 s0, s0
	s_cbranch_execz .LBB30_199
; %bb.194:
	v_cmp_ngt_f32_e64 s1, |v38|, |v39|
	s_and_saveexec_b32 s15, s1
	s_delay_alu instid0(SALU_CYCLE_1)
	s_xor_b32 s1, exec_lo, s15
	s_cbranch_execz .LBB30_196
; %bb.195:
	v_div_scale_f32 v41, null, v39, v39, v38
	v_div_scale_f32 v49, vcc_lo, v38, v39, v38
	s_delay_alu instid0(VALU_DEP_2) | instskip(SKIP_1) | instid1(TRANS32_DEP_1)
	v_rcp_f32_e32 v47, v41
	v_nop
	v_fma_f32 v48, -v41, v47, 1.0
	s_delay_alu instid0(VALU_DEP_1) | instskip(NEXT) | instid1(VALU_DEP_1)
	v_fmac_f32_e32 v47, v48, v47
	v_mul_f32_e32 v48, v49, v47
	s_delay_alu instid0(VALU_DEP_1) | instskip(NEXT) | instid1(VALU_DEP_1)
	v_fma_f32 v50, -v41, v48, v49
	v_fmac_f32_e32 v48, v50, v47
	s_delay_alu instid0(VALU_DEP_1) | instskip(NEXT) | instid1(VALU_DEP_1)
	v_fma_f32 v41, -v41, v48, v49
	v_div_fmas_f32 v41, v41, v47, v48
	s_delay_alu instid0(VALU_DEP_1) | instskip(NEXT) | instid1(VALU_DEP_1)
	v_div_fixup_f32 v41, v41, v39, v38
	v_fmac_f32_e32 v39, v38, v41
	s_delay_alu instid0(VALU_DEP_1) | instskip(SKIP_1) | instid1(VALU_DEP_2)
	v_div_scale_f32 v38, null, v39, v39, 1.0
	v_div_scale_f32 v49, vcc_lo, 1.0, v39, 1.0
	v_rcp_f32_e32 v47, v38
	v_nop
	s_delay_alu instid0(TRANS32_DEP_1) | instskip(NEXT) | instid1(VALU_DEP_1)
	v_fma_f32 v48, -v38, v47, 1.0
	v_fmac_f32_e32 v47, v48, v47
	s_delay_alu instid0(VALU_DEP_1) | instskip(NEXT) | instid1(VALU_DEP_1)
	v_mul_f32_e32 v48, v49, v47
	v_fma_f32 v50, -v38, v48, v49
	s_delay_alu instid0(VALU_DEP_1) | instskip(NEXT) | instid1(VALU_DEP_1)
	v_fmac_f32_e32 v48, v50, v47
	v_fma_f32 v38, -v38, v48, v49
	s_delay_alu instid0(VALU_DEP_1) | instskip(NEXT) | instid1(VALU_DEP_1)
	v_div_fmas_f32 v38, v38, v47, v48
	v_div_fixup_f32 v39, v38, v39, 1.0
	s_delay_alu instid0(VALU_DEP_1)
	v_mul_f32_e32 v38, v41, v39
	v_xor_b32_e32 v39, 0x80000000, v39
.LBB30_196:
	s_and_not1_saveexec_b32 s1, s1
	s_cbranch_execz .LBB30_198
; %bb.197:
	s_delay_alu instid0(VALU_DEP_1) | instskip(SKIP_1) | instid1(VALU_DEP_2)
	v_div_scale_f32 v41, null, v38, v38, v39
	v_div_scale_f32 v49, vcc_lo, v39, v38, v39
	v_rcp_f32_e32 v47, v41
	v_nop
	s_delay_alu instid0(TRANS32_DEP_1) | instskip(NEXT) | instid1(VALU_DEP_1)
	v_fma_f32 v48, -v41, v47, 1.0
	v_fmac_f32_e32 v47, v48, v47
	s_delay_alu instid0(VALU_DEP_1) | instskip(NEXT) | instid1(VALU_DEP_1)
	v_mul_f32_e32 v48, v49, v47
	v_fma_f32 v50, -v41, v48, v49
	s_delay_alu instid0(VALU_DEP_1) | instskip(NEXT) | instid1(VALU_DEP_1)
	v_fmac_f32_e32 v48, v50, v47
	v_fma_f32 v41, -v41, v48, v49
	s_delay_alu instid0(VALU_DEP_1) | instskip(NEXT) | instid1(VALU_DEP_1)
	v_div_fmas_f32 v41, v41, v47, v48
	v_div_fixup_f32 v41, v41, v38, v39
	s_delay_alu instid0(VALU_DEP_1) | instskip(NEXT) | instid1(VALU_DEP_1)
	v_fmac_f32_e32 v38, v39, v41
	v_div_scale_f32 v39, null, v38, v38, 1.0
	s_delay_alu instid0(VALU_DEP_1) | instskip(SKIP_1) | instid1(TRANS32_DEP_1)
	v_rcp_f32_e32 v47, v39
	v_nop
	v_fma_f32 v48, -v39, v47, 1.0
	s_delay_alu instid0(VALU_DEP_1) | instskip(SKIP_1) | instid1(VALU_DEP_1)
	v_fmac_f32_e32 v47, v48, v47
	v_div_scale_f32 v48, vcc_lo, 1.0, v38, 1.0
	v_mul_f32_e32 v49, v48, v47
	s_delay_alu instid0(VALU_DEP_1) | instskip(NEXT) | instid1(VALU_DEP_1)
	v_fma_f32 v50, -v39, v49, v48
	v_fmac_f32_e32 v49, v50, v47
	s_delay_alu instid0(VALU_DEP_1) | instskip(NEXT) | instid1(VALU_DEP_1)
	v_fma_f32 v39, -v39, v49, v48
	v_div_fmas_f32 v39, v39, v47, v49
	s_delay_alu instid0(VALU_DEP_1) | instskip(NEXT) | instid1(VALU_DEP_1)
	v_div_fixup_f32 v38, v39, v38, 1.0
	v_mul_f32_e64 v39, v41, -v38
.LBB30_198:
	s_or_b32 exec_lo, exec_lo, s1
.LBB30_199:
	s_delay_alu instid0(SALU_CYCLE_1) | instskip(NEXT) | instid1(SALU_CYCLE_1)
	s_or_b32 exec_lo, exec_lo, s0
	s_mov_b32 s0, exec_lo
	v_cmpx_ne_u32_e64 v46, v40
	s_xor_b32 s0, exec_lo, s0
	s_cbranch_execz .LBB30_205
; %bb.200:
	s_mov_b32 s1, exec_lo
	v_cmpx_eq_u32_e32 9, v46
	s_cbranch_execz .LBB30_204
; %bb.201:
	v_cmp_ne_u32_e32 vcc_lo, 9, v40
	s_xor_b32 s15, s12, -1
	s_delay_alu instid0(SALU_CYCLE_1) | instskip(NEXT) | instid1(SALU_CYCLE_1)
	s_and_b32 s16, s15, vcc_lo
	s_and_saveexec_b32 s15, s16
	s_cbranch_execz .LBB30_203
; %bb.202:
	v_ashrrev_i32_e32 v41, 31, v40
	s_delay_alu instid0(VALU_DEP_1)
	v_lshl_add_u64 v[46:47], v[40:41], 2, v[32:33]
	s_clause 0x1
	global_load_b32 v41, v[46:47], off
	global_load_b32 v44, v[32:33], off offset:36
	s_wait_loadcnt 0x1
	global_store_b32 v[32:33], v41, off offset:36
	s_wait_loadcnt 0x0
	global_store_b32 v[46:47], v44, off
.LBB30_203:
	s_wait_xcnt 0x0
	s_or_b32 exec_lo, exec_lo, s15
	v_dual_mov_b32 v46, v40 :: v_dual_mov_b32 v44, v40
.LBB30_204:
	s_or_b32 exec_lo, exec_lo, s1
.LBB30_205:
	s_and_not1_saveexec_b32 s0, s0
	s_cbranch_execz .LBB30_207
; %bb.206:
	v_dual_mov_b32 v40, v18 :: v_dual_mov_b32 v41, v19
	v_dual_mov_b32 v48, v4 :: v_dual_mov_b32 v49, v5
	;; [unrolled: 1-line block ×5, first 2 shown]
	v_mov_b32_e32 v55, v11
	ds_store_2addr_b64 v42, v[40:41], v[48:49] offset0:10 offset1:11
	ds_store_2addr_b64 v42, v[50:51], v[52:53] offset0:12 offset1:13
	;; [unrolled: 1-line block ×3, first 2 shown]
.LBB30_207:
	s_or_b32 exec_lo, exec_lo, s0
	s_delay_alu instid0(SALU_CYCLE_1)
	s_mov_b32 s0, exec_lo
	s_wait_storecnt_dscnt 0x0
	s_barrier_signal -1
	s_barrier_wait -1
	v_cmpx_lt_i32_e32 9, v46
	s_cbranch_execz .LBB30_209
; %bb.208:
	v_pk_mul_f32 v[40:41], v[38:39], v[16:17] op_sel:[1,1] op_sel_hi:[0,1]
	s_delay_alu instid0(VALU_DEP_1)
	v_pk_fma_f32 v[48:49], v[38:39], v[16:17], v[40:41] op_sel_hi:[1,0,1] neg_lo:[0,0,1] neg_hi:[0,0,1]
	v_pk_fma_f32 v[50:51], v[38:39], v[16:17], v[40:41] op_sel_hi:[1,0,1]
	ds_load_2addr_b64 v[38:41], v42 offset0:10 offset1:11
	v_dual_mov_b32 v16, v48 :: v_dual_mov_b32 v17, v51
	s_wait_dscnt 0x0
	v_pk_mul_f32 v[52:53], v[38:39], v[50:51] op_sel:[0,1]
	s_delay_alu instid0(VALU_DEP_1) | instskip(SKIP_1) | instid1(VALU_DEP_1)
	v_pk_fma_f32 v[54:55], v[38:39], v[48:49], v[52:53] op_sel:[0,0,1] op_sel_hi:[1,1,0] neg_lo:[0,0,1] neg_hi:[0,0,1]
	v_pk_fma_f32 v[38:39], v[38:39], v[48:49], v[52:53] op_sel:[0,0,1] op_sel_hi:[1,0,0]
	v_mov_b32_e32 v55, v39
	v_pk_mul_f32 v[38:39], v[40:41], v[50:51] op_sel:[0,1]
	s_delay_alu instid0(VALU_DEP_1) | instskip(SKIP_1) | instid1(VALU_DEP_1)
	v_pk_fma_f32 v[52:53], v[40:41], v[48:49], v[38:39] op_sel:[0,0,1] op_sel_hi:[1,1,0] neg_lo:[0,0,1] neg_hi:[0,0,1]
	v_pk_fma_f32 v[38:39], v[40:41], v[48:49], v[38:39] op_sel:[0,0,1] op_sel_hi:[1,0,0]
	v_mov_b32_e32 v53, v39
	ds_load_2addr_b64 v[38:41], v42 offset0:12 offset1:13
	v_pk_add_f32 v[18:19], v[18:19], v[54:55] neg_lo:[0,1] neg_hi:[0,1]
	v_pk_add_f32 v[4:5], v[4:5], v[52:53] neg_lo:[0,1] neg_hi:[0,1]
	s_wait_dscnt 0x0
	v_pk_mul_f32 v[52:53], v[38:39], v[50:51] op_sel:[0,1]
	s_delay_alu instid0(VALU_DEP_1) | instskip(SKIP_2) | instid1(VALU_DEP_2)
	v_pk_fma_f32 v[54:55], v[38:39], v[48:49], v[52:53] op_sel:[0,0,1] op_sel_hi:[1,1,0] neg_lo:[0,0,1] neg_hi:[0,0,1]
	v_pk_fma_f32 v[38:39], v[38:39], v[48:49], v[52:53] op_sel:[0,0,1] op_sel_hi:[1,0,0]
	v_dual_mul_f32 v52, v41, v51 :: v_dual_mov_b32 v38, v41
	v_dual_mov_b32 v55, v39 :: v_dual_mov_b32 v39, v40
	s_delay_alu instid0(VALU_DEP_2) | instskip(SKIP_1) | instid1(VALU_DEP_3)
	v_pk_fma_f32 v[52:53], v[40:41], v[16:17], v[52:53] op_sel_hi:[1,1,0] neg_lo:[0,0,1] neg_hi:[0,0,1]
	v_mul_f32_e32 v40, v41, v48
	v_pk_add_f32 v[14:15], v[14:15], v[54:55] neg_lo:[0,1] neg_hi:[0,1]
	s_delay_alu instid0(VALU_DEP_2) | instskip(NEXT) | instid1(VALU_DEP_1)
	v_pk_fma_f32 v[38:39], v[38:39], v[16:17], v[40:41] op_sel_hi:[1,1,0]
	v_mov_b32_e32 v53, v39
	ds_load_2addr_b64 v[38:41], v42 offset0:14 offset1:15
	v_pk_add_f32 v[12:13], v[12:13], v[52:53] neg_lo:[0,1] neg_hi:[0,1]
	s_wait_dscnt 0x0
	v_pk_mul_f32 v[52:53], v[38:39], v[50:51] op_sel:[0,1]
	v_mul_f32_e32 v50, v41, v51
	s_delay_alu instid0(VALU_DEP_2) | instskip(SKIP_2) | instid1(VALU_DEP_4)
	v_pk_fma_f32 v[54:55], v[38:39], v[48:49], v[52:53] op_sel:[0,0,1] op_sel_hi:[1,1,0] neg_lo:[0,0,1] neg_hi:[0,0,1]
	v_pk_fma_f32 v[38:39], v[38:39], v[48:49], v[52:53] op_sel:[0,0,1] op_sel_hi:[1,0,0]
	v_mov_b32_e32 v38, v41
	v_pk_fma_f32 v[50:51], v[40:41], v[16:17], v[50:51] op_sel_hi:[1,1,0] neg_lo:[0,0,1] neg_hi:[0,0,1]
	s_delay_alu instid0(VALU_DEP_3) | instskip(SKIP_1) | instid1(VALU_DEP_2)
	v_dual_mov_b32 v55, v39 :: v_dual_mov_b32 v39, v40
	v_mul_f32_e32 v40, v41, v48
	v_pk_add_f32 v[10:11], v[10:11], v[54:55] neg_lo:[0,1] neg_hi:[0,1]
	s_delay_alu instid0(VALU_DEP_2) | instskip(NEXT) | instid1(VALU_DEP_1)
	v_pk_fma_f32 v[38:39], v[38:39], v[16:17], v[40:41] op_sel_hi:[1,1,0]
	v_mov_b32_e32 v51, v39
	s_delay_alu instid0(VALU_DEP_1)
	v_pk_add_f32 v[36:37], v[36:37], v[50:51] neg_lo:[0,1] neg_hi:[0,1]
.LBB30_209:
	s_or_b32 exec_lo, exec_lo, s0
	v_lshl_add_u32 v38, v46, 3, v42
	s_barrier_signal -1
	s_barrier_wait -1
	ds_store_b64 v38, v[18:19]
	s_wait_dscnt 0x0
	s_barrier_signal -1
	s_barrier_wait -1
	ds_load_b64 v[38:39], v42 offset:80
	v_mov_b32_e32 v40, 10
	s_cmp_lt_i32 s14, 12
	s_cbranch_scc1 .LBB30_212
; %bb.210:
	v_add3_u32 v41, v43, 0, 0x58
	v_mov_b32_e32 v40, 10
	s_mov_b32 s0, 11
.LBB30_211:                             ; =>This Inner Loop Header: Depth=1
	ds_load_b64 v[48:49], v41
	s_wait_dscnt 0x1
	v_cmp_gt_f32_e32 vcc_lo, 0, v38
	v_cndmask_b32_e64 v50, v38, -v38, vcc_lo
	v_cmp_gt_f32_e32 vcc_lo, 0, v39
	v_cndmask_b32_e64 v52, v39, -v39, vcc_lo
	s_wait_dscnt 0x0
	v_cmp_gt_f32_e32 vcc_lo, 0, v48
	v_cndmask_b32_e64 v51, v48, -v48, vcc_lo
	v_cmp_gt_f32_e32 vcc_lo, 0, v49
	v_cndmask_b32_e64 v53, v49, -v49, vcc_lo
	s_delay_alu instid0(VALU_DEP_1) | instskip(NEXT) | instid1(VALU_DEP_1)
	v_pk_add_f32 v[50:51], v[50:51], v[52:53]
	v_cmp_lt_f32_e32 vcc_lo, v50, v51
	v_dual_cndmask_b32 v38, v38, v48 :: v_dual_add_nc_u32 v41, 8, v41
	v_cndmask_b32_e32 v39, v39, v49, vcc_lo
	v_cndmask_b32_e64 v40, v40, s0, vcc_lo
	s_add_co_i32 s0, s0, 1
	s_delay_alu instid0(SALU_CYCLE_1)
	s_cmp_lg_u32 s14, s0
	s_cbranch_scc1 .LBB30_211
.LBB30_212:
	s_wait_dscnt 0x0
	v_cmp_eq_f32_e32 vcc_lo, 0, v38
	v_cmp_eq_f32_e64 s0, 0, v39
	s_and_b32 s0, vcc_lo, s0
	s_delay_alu instid0(SALU_CYCLE_1) | instskip(NEXT) | instid1(SALU_CYCLE_1)
	s_and_saveexec_b32 s1, s0
	s_xor_b32 s0, exec_lo, s1
; %bb.213:
	v_cmp_ne_u32_e32 vcc_lo, 0, v45
	v_cndmask_b32_e32 v45, 11, v45, vcc_lo
; %bb.214:
	s_and_not1_saveexec_b32 s0, s0
	s_cbranch_execz .LBB30_220
; %bb.215:
	v_cmp_ngt_f32_e64 s1, |v38|, |v39|
	s_and_saveexec_b32 s15, s1
	s_delay_alu instid0(SALU_CYCLE_1)
	s_xor_b32 s1, exec_lo, s15
	s_cbranch_execz .LBB30_217
; %bb.216:
	v_div_scale_f32 v41, null, v39, v39, v38
	v_div_scale_f32 v49, vcc_lo, v38, v39, v38
	s_delay_alu instid0(VALU_DEP_2) | instskip(SKIP_1) | instid1(TRANS32_DEP_1)
	v_rcp_f32_e32 v47, v41
	v_nop
	v_fma_f32 v48, -v41, v47, 1.0
	s_delay_alu instid0(VALU_DEP_1) | instskip(NEXT) | instid1(VALU_DEP_1)
	v_fmac_f32_e32 v47, v48, v47
	v_mul_f32_e32 v48, v49, v47
	s_delay_alu instid0(VALU_DEP_1) | instskip(NEXT) | instid1(VALU_DEP_1)
	v_fma_f32 v50, -v41, v48, v49
	v_fmac_f32_e32 v48, v50, v47
	s_delay_alu instid0(VALU_DEP_1) | instskip(NEXT) | instid1(VALU_DEP_1)
	v_fma_f32 v41, -v41, v48, v49
	v_div_fmas_f32 v41, v41, v47, v48
	s_delay_alu instid0(VALU_DEP_1) | instskip(NEXT) | instid1(VALU_DEP_1)
	v_div_fixup_f32 v41, v41, v39, v38
	v_fmac_f32_e32 v39, v38, v41
	s_delay_alu instid0(VALU_DEP_1) | instskip(SKIP_1) | instid1(VALU_DEP_2)
	v_div_scale_f32 v38, null, v39, v39, 1.0
	v_div_scale_f32 v49, vcc_lo, 1.0, v39, 1.0
	v_rcp_f32_e32 v47, v38
	v_nop
	s_delay_alu instid0(TRANS32_DEP_1) | instskip(NEXT) | instid1(VALU_DEP_1)
	v_fma_f32 v48, -v38, v47, 1.0
	v_fmac_f32_e32 v47, v48, v47
	s_delay_alu instid0(VALU_DEP_1) | instskip(NEXT) | instid1(VALU_DEP_1)
	v_mul_f32_e32 v48, v49, v47
	v_fma_f32 v50, -v38, v48, v49
	s_delay_alu instid0(VALU_DEP_1) | instskip(NEXT) | instid1(VALU_DEP_1)
	v_fmac_f32_e32 v48, v50, v47
	v_fma_f32 v38, -v38, v48, v49
	s_delay_alu instid0(VALU_DEP_1) | instskip(NEXT) | instid1(VALU_DEP_1)
	v_div_fmas_f32 v38, v38, v47, v48
	v_div_fixup_f32 v39, v38, v39, 1.0
	s_delay_alu instid0(VALU_DEP_1)
	v_mul_f32_e32 v38, v41, v39
	v_xor_b32_e32 v39, 0x80000000, v39
.LBB30_217:
	s_and_not1_saveexec_b32 s1, s1
	s_cbranch_execz .LBB30_219
; %bb.218:
	s_delay_alu instid0(VALU_DEP_1) | instskip(SKIP_1) | instid1(VALU_DEP_2)
	v_div_scale_f32 v41, null, v38, v38, v39
	v_div_scale_f32 v49, vcc_lo, v39, v38, v39
	v_rcp_f32_e32 v47, v41
	v_nop
	s_delay_alu instid0(TRANS32_DEP_1) | instskip(NEXT) | instid1(VALU_DEP_1)
	v_fma_f32 v48, -v41, v47, 1.0
	v_fmac_f32_e32 v47, v48, v47
	s_delay_alu instid0(VALU_DEP_1) | instskip(NEXT) | instid1(VALU_DEP_1)
	v_mul_f32_e32 v48, v49, v47
	v_fma_f32 v50, -v41, v48, v49
	s_delay_alu instid0(VALU_DEP_1) | instskip(NEXT) | instid1(VALU_DEP_1)
	v_fmac_f32_e32 v48, v50, v47
	v_fma_f32 v41, -v41, v48, v49
	s_delay_alu instid0(VALU_DEP_1) | instskip(NEXT) | instid1(VALU_DEP_1)
	v_div_fmas_f32 v41, v41, v47, v48
	v_div_fixup_f32 v41, v41, v38, v39
	s_delay_alu instid0(VALU_DEP_1) | instskip(NEXT) | instid1(VALU_DEP_1)
	v_fmac_f32_e32 v38, v39, v41
	v_div_scale_f32 v39, null, v38, v38, 1.0
	s_delay_alu instid0(VALU_DEP_1) | instskip(SKIP_1) | instid1(TRANS32_DEP_1)
	v_rcp_f32_e32 v47, v39
	v_nop
	v_fma_f32 v48, -v39, v47, 1.0
	s_delay_alu instid0(VALU_DEP_1) | instskip(SKIP_1) | instid1(VALU_DEP_1)
	v_fmac_f32_e32 v47, v48, v47
	v_div_scale_f32 v48, vcc_lo, 1.0, v38, 1.0
	v_mul_f32_e32 v49, v48, v47
	s_delay_alu instid0(VALU_DEP_1) | instskip(NEXT) | instid1(VALU_DEP_1)
	v_fma_f32 v50, -v39, v49, v48
	v_fmac_f32_e32 v49, v50, v47
	s_delay_alu instid0(VALU_DEP_1) | instskip(NEXT) | instid1(VALU_DEP_1)
	v_fma_f32 v39, -v39, v49, v48
	v_div_fmas_f32 v39, v39, v47, v49
	s_delay_alu instid0(VALU_DEP_1) | instskip(NEXT) | instid1(VALU_DEP_1)
	v_div_fixup_f32 v38, v39, v38, 1.0
	v_mul_f32_e64 v39, v41, -v38
.LBB30_219:
	s_or_b32 exec_lo, exec_lo, s1
.LBB30_220:
	s_delay_alu instid0(SALU_CYCLE_1) | instskip(NEXT) | instid1(SALU_CYCLE_1)
	s_or_b32 exec_lo, exec_lo, s0
	s_mov_b32 s0, exec_lo
	v_cmpx_ne_u32_e64 v46, v40
	s_xor_b32 s0, exec_lo, s0
	s_cbranch_execz .LBB30_226
; %bb.221:
	s_mov_b32 s1, exec_lo
	v_cmpx_eq_u32_e32 10, v46
	s_cbranch_execz .LBB30_225
; %bb.222:
	v_cmp_ne_u32_e32 vcc_lo, 10, v40
	s_xor_b32 s15, s12, -1
	s_delay_alu instid0(SALU_CYCLE_1) | instskip(NEXT) | instid1(SALU_CYCLE_1)
	s_and_b32 s16, s15, vcc_lo
	s_and_saveexec_b32 s15, s16
	s_cbranch_execz .LBB30_224
; %bb.223:
	v_ashrrev_i32_e32 v41, 31, v40
	s_delay_alu instid0(VALU_DEP_1)
	v_lshl_add_u64 v[46:47], v[40:41], 2, v[32:33]
	s_clause 0x1
	global_load_b32 v41, v[46:47], off
	global_load_b32 v44, v[32:33], off offset:40
	s_wait_loadcnt 0x1
	global_store_b32 v[32:33], v41, off offset:40
	s_wait_loadcnt 0x0
	global_store_b32 v[46:47], v44, off
.LBB30_224:
	s_wait_xcnt 0x0
	s_or_b32 exec_lo, exec_lo, s15
	v_dual_mov_b32 v46, v40 :: v_dual_mov_b32 v44, v40
.LBB30_225:
	s_or_b32 exec_lo, exec_lo, s1
.LBB30_226:
	s_and_not1_saveexec_b32 s0, s0
	s_cbranch_execz .LBB30_228
; %bb.227:
	v_mov_b32_e32 v46, 10
	ds_store_2addr_b64 v42, v[4:5], v[14:15] offset0:11 offset1:12
	ds_store_2addr_b64 v42, v[12:13], v[10:11] offset0:13 offset1:14
	ds_store_b64 v42, v[36:37] offset:120
.LBB30_228:
	s_or_b32 exec_lo, exec_lo, s0
	s_delay_alu instid0(SALU_CYCLE_1)
	s_mov_b32 s0, exec_lo
	s_wait_storecnt_dscnt 0x0
	s_barrier_signal -1
	s_barrier_wait -1
	v_cmpx_lt_i32_e32 10, v46
	s_cbranch_execz .LBB30_230
; %bb.229:
	v_pk_mul_f32 v[40:41], v[38:39], v[18:19] op_sel:[1,1] op_sel_hi:[0,1]
	s_delay_alu instid0(VALU_DEP_1)
	v_pk_fma_f32 v[48:49], v[38:39], v[18:19], v[40:41] op_sel_hi:[1,0,1] neg_lo:[0,0,1] neg_hi:[0,0,1]
	v_pk_fma_f32 v[50:51], v[38:39], v[18:19], v[40:41] op_sel_hi:[1,0,1]
	ds_load_2addr_b64 v[38:41], v42 offset0:11 offset1:12
	v_dual_mov_b32 v18, v48 :: v_dual_mov_b32 v19, v51
	s_wait_dscnt 0x0
	v_pk_mul_f32 v[52:53], v[38:39], v[50:51] op_sel:[0,1]
	s_delay_alu instid0(VALU_DEP_1) | instskip(SKIP_1) | instid1(VALU_DEP_1)
	v_pk_fma_f32 v[54:55], v[38:39], v[48:49], v[52:53] op_sel:[0,0,1] op_sel_hi:[1,1,0] neg_lo:[0,0,1] neg_hi:[0,0,1]
	v_pk_fma_f32 v[38:39], v[38:39], v[48:49], v[52:53] op_sel:[0,0,1] op_sel_hi:[1,0,0]
	v_mov_b32_e32 v55, v39
	v_pk_mul_f32 v[38:39], v[40:41], v[50:51] op_sel:[0,1]
	s_delay_alu instid0(VALU_DEP_1) | instskip(SKIP_1) | instid1(VALU_DEP_1)
	v_pk_fma_f32 v[52:53], v[40:41], v[48:49], v[38:39] op_sel:[0,0,1] op_sel_hi:[1,1,0] neg_lo:[0,0,1] neg_hi:[0,0,1]
	v_pk_fma_f32 v[38:39], v[40:41], v[48:49], v[38:39] op_sel:[0,0,1] op_sel_hi:[1,0,0]
	v_mov_b32_e32 v53, v39
	ds_load_2addr_b64 v[38:41], v42 offset0:13 offset1:14
	v_pk_add_f32 v[4:5], v[4:5], v[54:55] neg_lo:[0,1] neg_hi:[0,1]
	v_pk_add_f32 v[14:15], v[14:15], v[52:53] neg_lo:[0,1] neg_hi:[0,1]
	s_wait_dscnt 0x0
	v_pk_mul_f32 v[52:53], v[38:39], v[50:51] op_sel:[0,1]
	s_delay_alu instid0(VALU_DEP_1) | instskip(SKIP_2) | instid1(VALU_DEP_2)
	v_pk_fma_f32 v[54:55], v[38:39], v[48:49], v[52:53] op_sel:[0,0,1] op_sel_hi:[1,1,0] neg_lo:[0,0,1] neg_hi:[0,0,1]
	v_pk_fma_f32 v[38:39], v[38:39], v[48:49], v[52:53] op_sel:[0,0,1] op_sel_hi:[1,0,0]
	v_dual_mul_f32 v52, v41, v51 :: v_dual_mov_b32 v38, v41
	v_dual_mov_b32 v55, v39 :: v_dual_mov_b32 v39, v40
	s_delay_alu instid0(VALU_DEP_2) | instskip(SKIP_1) | instid1(VALU_DEP_3)
	v_pk_fma_f32 v[52:53], v[40:41], v[18:19], v[52:53] op_sel_hi:[1,1,0] neg_lo:[0,0,1] neg_hi:[0,0,1]
	v_mul_f32_e32 v40, v41, v48
	v_pk_add_f32 v[12:13], v[12:13], v[54:55] neg_lo:[0,1] neg_hi:[0,1]
	s_delay_alu instid0(VALU_DEP_2) | instskip(NEXT) | instid1(VALU_DEP_1)
	v_pk_fma_f32 v[38:39], v[38:39], v[18:19], v[40:41] op_sel_hi:[1,1,0]
	v_mov_b32_e32 v53, v39
	ds_load_b64 v[38:39], v42 offset:120
	v_pk_add_f32 v[10:11], v[10:11], v[52:53] neg_lo:[0,1] neg_hi:[0,1]
	s_wait_dscnt 0x0
	v_pk_mul_f32 v[40:41], v[38:39], v[50:51] op_sel:[0,1]
	s_delay_alu instid0(VALU_DEP_1) | instskip(SKIP_1) | instid1(VALU_DEP_1)
	v_pk_fma_f32 v[50:51], v[38:39], v[48:49], v[40:41] op_sel:[0,0,1] op_sel_hi:[1,1,0] neg_lo:[0,0,1] neg_hi:[0,0,1]
	v_pk_fma_f32 v[38:39], v[38:39], v[48:49], v[40:41] op_sel:[0,0,1] op_sel_hi:[1,0,0]
	v_mov_b32_e32 v51, v39
	s_delay_alu instid0(VALU_DEP_1)
	v_pk_add_f32 v[36:37], v[36:37], v[50:51] neg_lo:[0,1] neg_hi:[0,1]
.LBB30_230:
	s_or_b32 exec_lo, exec_lo, s0
	v_lshl_add_u32 v38, v46, 3, v42
	s_barrier_signal -1
	s_barrier_wait -1
	ds_store_b64 v38, v[4:5]
	s_wait_dscnt 0x0
	s_barrier_signal -1
	s_barrier_wait -1
	ds_load_b64 v[38:39], v42 offset:88
	v_mov_b32_e32 v40, 11
	s_cmp_lt_i32 s14, 13
	s_cbranch_scc1 .LBB30_233
; %bb.231:
	v_add3_u32 v41, v43, 0, 0x60
	v_mov_b32_e32 v40, 11
	s_mov_b32 s0, 12
.LBB30_232:                             ; =>This Inner Loop Header: Depth=1
	ds_load_b64 v[48:49], v41
	s_wait_dscnt 0x1
	v_cmp_gt_f32_e32 vcc_lo, 0, v38
	v_cndmask_b32_e64 v50, v38, -v38, vcc_lo
	v_cmp_gt_f32_e32 vcc_lo, 0, v39
	v_cndmask_b32_e64 v52, v39, -v39, vcc_lo
	s_wait_dscnt 0x0
	v_cmp_gt_f32_e32 vcc_lo, 0, v48
	v_cndmask_b32_e64 v51, v48, -v48, vcc_lo
	v_cmp_gt_f32_e32 vcc_lo, 0, v49
	v_cndmask_b32_e64 v53, v49, -v49, vcc_lo
	s_delay_alu instid0(VALU_DEP_1) | instskip(NEXT) | instid1(VALU_DEP_1)
	v_pk_add_f32 v[50:51], v[50:51], v[52:53]
	v_cmp_lt_f32_e32 vcc_lo, v50, v51
	v_dual_cndmask_b32 v38, v38, v48 :: v_dual_add_nc_u32 v41, 8, v41
	v_cndmask_b32_e32 v39, v39, v49, vcc_lo
	v_cndmask_b32_e64 v40, v40, s0, vcc_lo
	s_add_co_i32 s0, s0, 1
	s_delay_alu instid0(SALU_CYCLE_1)
	s_cmp_lg_u32 s14, s0
	s_cbranch_scc1 .LBB30_232
.LBB30_233:
	s_wait_dscnt 0x0
	v_cmp_eq_f32_e32 vcc_lo, 0, v38
	v_cmp_eq_f32_e64 s0, 0, v39
	s_and_b32 s0, vcc_lo, s0
	s_delay_alu instid0(SALU_CYCLE_1) | instskip(NEXT) | instid1(SALU_CYCLE_1)
	s_and_saveexec_b32 s1, s0
	s_xor_b32 s0, exec_lo, s1
; %bb.234:
	v_cmp_ne_u32_e32 vcc_lo, 0, v45
	v_cndmask_b32_e32 v45, 12, v45, vcc_lo
; %bb.235:
	s_and_not1_saveexec_b32 s0, s0
	s_cbranch_execz .LBB30_241
; %bb.236:
	v_cmp_ngt_f32_e64 s1, |v38|, |v39|
	s_and_saveexec_b32 s15, s1
	s_delay_alu instid0(SALU_CYCLE_1)
	s_xor_b32 s1, exec_lo, s15
	s_cbranch_execz .LBB30_238
; %bb.237:
	v_div_scale_f32 v41, null, v39, v39, v38
	v_div_scale_f32 v49, vcc_lo, v38, v39, v38
	s_delay_alu instid0(VALU_DEP_2) | instskip(SKIP_1) | instid1(TRANS32_DEP_1)
	v_rcp_f32_e32 v47, v41
	v_nop
	v_fma_f32 v48, -v41, v47, 1.0
	s_delay_alu instid0(VALU_DEP_1) | instskip(NEXT) | instid1(VALU_DEP_1)
	v_fmac_f32_e32 v47, v48, v47
	v_mul_f32_e32 v48, v49, v47
	s_delay_alu instid0(VALU_DEP_1) | instskip(NEXT) | instid1(VALU_DEP_1)
	v_fma_f32 v50, -v41, v48, v49
	v_fmac_f32_e32 v48, v50, v47
	s_delay_alu instid0(VALU_DEP_1) | instskip(NEXT) | instid1(VALU_DEP_1)
	v_fma_f32 v41, -v41, v48, v49
	v_div_fmas_f32 v41, v41, v47, v48
	s_delay_alu instid0(VALU_DEP_1) | instskip(NEXT) | instid1(VALU_DEP_1)
	v_div_fixup_f32 v41, v41, v39, v38
	v_fmac_f32_e32 v39, v38, v41
	s_delay_alu instid0(VALU_DEP_1) | instskip(SKIP_1) | instid1(VALU_DEP_2)
	v_div_scale_f32 v38, null, v39, v39, 1.0
	v_div_scale_f32 v49, vcc_lo, 1.0, v39, 1.0
	v_rcp_f32_e32 v47, v38
	v_nop
	s_delay_alu instid0(TRANS32_DEP_1) | instskip(NEXT) | instid1(VALU_DEP_1)
	v_fma_f32 v48, -v38, v47, 1.0
	v_fmac_f32_e32 v47, v48, v47
	s_delay_alu instid0(VALU_DEP_1) | instskip(NEXT) | instid1(VALU_DEP_1)
	v_mul_f32_e32 v48, v49, v47
	v_fma_f32 v50, -v38, v48, v49
	s_delay_alu instid0(VALU_DEP_1) | instskip(NEXT) | instid1(VALU_DEP_1)
	v_fmac_f32_e32 v48, v50, v47
	v_fma_f32 v38, -v38, v48, v49
	s_delay_alu instid0(VALU_DEP_1) | instskip(NEXT) | instid1(VALU_DEP_1)
	v_div_fmas_f32 v38, v38, v47, v48
	v_div_fixup_f32 v39, v38, v39, 1.0
	s_delay_alu instid0(VALU_DEP_1)
	v_mul_f32_e32 v38, v41, v39
	v_xor_b32_e32 v39, 0x80000000, v39
.LBB30_238:
	s_and_not1_saveexec_b32 s1, s1
	s_cbranch_execz .LBB30_240
; %bb.239:
	s_delay_alu instid0(VALU_DEP_1) | instskip(SKIP_1) | instid1(VALU_DEP_2)
	v_div_scale_f32 v41, null, v38, v38, v39
	v_div_scale_f32 v49, vcc_lo, v39, v38, v39
	v_rcp_f32_e32 v47, v41
	v_nop
	s_delay_alu instid0(TRANS32_DEP_1) | instskip(NEXT) | instid1(VALU_DEP_1)
	v_fma_f32 v48, -v41, v47, 1.0
	v_fmac_f32_e32 v47, v48, v47
	s_delay_alu instid0(VALU_DEP_1) | instskip(NEXT) | instid1(VALU_DEP_1)
	v_mul_f32_e32 v48, v49, v47
	v_fma_f32 v50, -v41, v48, v49
	s_delay_alu instid0(VALU_DEP_1) | instskip(NEXT) | instid1(VALU_DEP_1)
	v_fmac_f32_e32 v48, v50, v47
	v_fma_f32 v41, -v41, v48, v49
	s_delay_alu instid0(VALU_DEP_1) | instskip(NEXT) | instid1(VALU_DEP_1)
	v_div_fmas_f32 v41, v41, v47, v48
	v_div_fixup_f32 v41, v41, v38, v39
	s_delay_alu instid0(VALU_DEP_1) | instskip(NEXT) | instid1(VALU_DEP_1)
	v_fmac_f32_e32 v38, v39, v41
	v_div_scale_f32 v39, null, v38, v38, 1.0
	s_delay_alu instid0(VALU_DEP_1) | instskip(SKIP_1) | instid1(TRANS32_DEP_1)
	v_rcp_f32_e32 v47, v39
	v_nop
	v_fma_f32 v48, -v39, v47, 1.0
	s_delay_alu instid0(VALU_DEP_1) | instskip(SKIP_1) | instid1(VALU_DEP_1)
	v_fmac_f32_e32 v47, v48, v47
	v_div_scale_f32 v48, vcc_lo, 1.0, v38, 1.0
	v_mul_f32_e32 v49, v48, v47
	s_delay_alu instid0(VALU_DEP_1) | instskip(NEXT) | instid1(VALU_DEP_1)
	v_fma_f32 v50, -v39, v49, v48
	v_fmac_f32_e32 v49, v50, v47
	s_delay_alu instid0(VALU_DEP_1) | instskip(NEXT) | instid1(VALU_DEP_1)
	v_fma_f32 v39, -v39, v49, v48
	v_div_fmas_f32 v39, v39, v47, v49
	s_delay_alu instid0(VALU_DEP_1) | instskip(NEXT) | instid1(VALU_DEP_1)
	v_div_fixup_f32 v38, v39, v38, 1.0
	v_mul_f32_e64 v39, v41, -v38
.LBB30_240:
	s_or_b32 exec_lo, exec_lo, s1
.LBB30_241:
	s_delay_alu instid0(SALU_CYCLE_1) | instskip(NEXT) | instid1(SALU_CYCLE_1)
	s_or_b32 exec_lo, exec_lo, s0
	s_mov_b32 s0, exec_lo
	v_cmpx_ne_u32_e64 v46, v40
	s_xor_b32 s0, exec_lo, s0
	s_cbranch_execz .LBB30_247
; %bb.242:
	s_mov_b32 s1, exec_lo
	v_cmpx_eq_u32_e32 11, v46
	s_cbranch_execz .LBB30_246
; %bb.243:
	v_cmp_ne_u32_e32 vcc_lo, 11, v40
	s_xor_b32 s15, s12, -1
	s_delay_alu instid0(SALU_CYCLE_1) | instskip(NEXT) | instid1(SALU_CYCLE_1)
	s_and_b32 s16, s15, vcc_lo
	s_and_saveexec_b32 s15, s16
	s_cbranch_execz .LBB30_245
; %bb.244:
	v_ashrrev_i32_e32 v41, 31, v40
	s_delay_alu instid0(VALU_DEP_1)
	v_lshl_add_u64 v[46:47], v[40:41], 2, v[32:33]
	s_clause 0x1
	global_load_b32 v41, v[46:47], off
	global_load_b32 v44, v[32:33], off offset:44
	s_wait_loadcnt 0x1
	global_store_b32 v[32:33], v41, off offset:44
	s_wait_loadcnt 0x0
	global_store_b32 v[46:47], v44, off
.LBB30_245:
	s_wait_xcnt 0x0
	s_or_b32 exec_lo, exec_lo, s15
	v_dual_mov_b32 v46, v40 :: v_dual_mov_b32 v44, v40
.LBB30_246:
	s_or_b32 exec_lo, exec_lo, s1
.LBB30_247:
	s_and_not1_saveexec_b32 s0, s0
	s_cbranch_execz .LBB30_249
; %bb.248:
	v_dual_mov_b32 v40, v14 :: v_dual_mov_b32 v41, v15
	v_dual_mov_b32 v48, v12 :: v_dual_mov_b32 v49, v13
	v_dual_mov_b32 v46, 11 :: v_dual_mov_b32 v50, v10
	v_mov_b32_e32 v51, v11
	ds_store_2addr_b64 v42, v[40:41], v[48:49] offset0:12 offset1:13
	ds_store_2addr_b64 v42, v[50:51], v[36:37] offset0:14 offset1:15
.LBB30_249:
	s_or_b32 exec_lo, exec_lo, s0
	s_delay_alu instid0(SALU_CYCLE_1)
	s_mov_b32 s0, exec_lo
	s_wait_storecnt_dscnt 0x0
	s_barrier_signal -1
	s_barrier_wait -1
	v_cmpx_lt_i32_e32 11, v46
	s_cbranch_execz .LBB30_251
; %bb.250:
	v_pk_mul_f32 v[40:41], v[38:39], v[4:5] op_sel:[1,1] op_sel_hi:[0,1]
	s_delay_alu instid0(VALU_DEP_1)
	v_pk_fma_f32 v[48:49], v[38:39], v[4:5], v[40:41] op_sel_hi:[1,0,1] neg_lo:[0,0,1] neg_hi:[0,0,1]
	v_pk_fma_f32 v[50:51], v[38:39], v[4:5], v[40:41] op_sel_hi:[1,0,1]
	ds_load_2addr_b64 v[38:41], v42 offset0:12 offset1:13
	v_dual_mov_b32 v4, v48 :: v_dual_mov_b32 v5, v51
	s_wait_dscnt 0x0
	v_pk_mul_f32 v[52:53], v[38:39], v[50:51] op_sel:[0,1]
	s_delay_alu instid0(VALU_DEP_1) | instskip(SKIP_1) | instid1(VALU_DEP_1)
	v_pk_fma_f32 v[54:55], v[38:39], v[48:49], v[52:53] op_sel:[0,0,1] op_sel_hi:[1,1,0] neg_lo:[0,0,1] neg_hi:[0,0,1]
	v_pk_fma_f32 v[38:39], v[38:39], v[48:49], v[52:53] op_sel:[0,0,1] op_sel_hi:[1,0,0]
	v_mov_b32_e32 v55, v39
	v_pk_mul_f32 v[38:39], v[40:41], v[50:51] op_sel:[0,1]
	s_delay_alu instid0(VALU_DEP_1) | instskip(SKIP_1) | instid1(VALU_DEP_1)
	v_pk_fma_f32 v[52:53], v[40:41], v[48:49], v[38:39] op_sel:[0,0,1] op_sel_hi:[1,1,0] neg_lo:[0,0,1] neg_hi:[0,0,1]
	v_pk_fma_f32 v[38:39], v[40:41], v[48:49], v[38:39] op_sel:[0,0,1] op_sel_hi:[1,0,0]
	v_mov_b32_e32 v53, v39
	ds_load_2addr_b64 v[38:41], v42 offset0:14 offset1:15
	v_pk_add_f32 v[14:15], v[14:15], v[54:55] neg_lo:[0,1] neg_hi:[0,1]
	v_pk_add_f32 v[12:13], v[12:13], v[52:53] neg_lo:[0,1] neg_hi:[0,1]
	s_wait_dscnt 0x0
	v_pk_mul_f32 v[52:53], v[38:39], v[50:51] op_sel:[0,1]
	s_delay_alu instid0(VALU_DEP_1) | instskip(SKIP_1) | instid1(VALU_DEP_1)
	v_pk_fma_f32 v[54:55], v[38:39], v[48:49], v[52:53] op_sel:[0,0,1] op_sel_hi:[1,1,0] neg_lo:[0,0,1] neg_hi:[0,0,1]
	v_pk_fma_f32 v[38:39], v[38:39], v[48:49], v[52:53] op_sel:[0,0,1] op_sel_hi:[1,0,0]
	v_dual_mov_b32 v38, v41 :: v_dual_mov_b32 v55, v39
	v_mov_b32_e32 v39, v40
	s_delay_alu instid0(VALU_DEP_2) | instskip(NEXT) | instid1(VALU_DEP_2)
	v_pk_add_f32 v[10:11], v[10:11], v[54:55] neg_lo:[0,1] neg_hi:[0,1]
	v_pk_mul_f32 v[38:39], v[38:39], v[50:51] op_sel:[0,1]
	s_delay_alu instid0(VALU_DEP_1) | instskip(SKIP_1) | instid1(VALU_DEP_1)
	v_pk_fma_f32 v[50:51], v[40:41], v[48:49], v[38:39] neg_lo:[0,0,1] neg_hi:[0,0,1]
	v_pk_fma_f32 v[38:39], v[40:41], v[48:49], v[38:39] op_sel_hi:[1,0,1]
	v_mov_b32_e32 v51, v39
	s_delay_alu instid0(VALU_DEP_1)
	v_pk_add_f32 v[36:37], v[36:37], v[50:51] neg_lo:[0,1] neg_hi:[0,1]
.LBB30_251:
	s_or_b32 exec_lo, exec_lo, s0
	v_lshl_add_u32 v38, v46, 3, v42
	s_barrier_signal -1
	s_barrier_wait -1
	ds_store_b64 v38, v[14:15]
	s_wait_dscnt 0x0
	s_barrier_signal -1
	s_barrier_wait -1
	ds_load_b64 v[38:39], v42 offset:96
	v_mov_b32_e32 v40, 12
	s_cmp_lt_i32 s14, 14
	s_cbranch_scc1 .LBB30_254
; %bb.252:
	v_add3_u32 v41, v43, 0, 0x68
	v_mov_b32_e32 v40, 12
	s_mov_b32 s0, 13
.LBB30_253:                             ; =>This Inner Loop Header: Depth=1
	ds_load_b64 v[48:49], v41
	s_wait_dscnt 0x1
	v_cmp_gt_f32_e32 vcc_lo, 0, v38
	v_cndmask_b32_e64 v50, v38, -v38, vcc_lo
	v_cmp_gt_f32_e32 vcc_lo, 0, v39
	v_cndmask_b32_e64 v52, v39, -v39, vcc_lo
	s_wait_dscnt 0x0
	v_cmp_gt_f32_e32 vcc_lo, 0, v48
	v_cndmask_b32_e64 v51, v48, -v48, vcc_lo
	v_cmp_gt_f32_e32 vcc_lo, 0, v49
	v_cndmask_b32_e64 v53, v49, -v49, vcc_lo
	s_delay_alu instid0(VALU_DEP_1) | instskip(NEXT) | instid1(VALU_DEP_1)
	v_pk_add_f32 v[50:51], v[50:51], v[52:53]
	v_cmp_lt_f32_e32 vcc_lo, v50, v51
	v_dual_cndmask_b32 v38, v38, v48 :: v_dual_add_nc_u32 v41, 8, v41
	v_cndmask_b32_e32 v39, v39, v49, vcc_lo
	v_cndmask_b32_e64 v40, v40, s0, vcc_lo
	s_add_co_i32 s0, s0, 1
	s_delay_alu instid0(SALU_CYCLE_1)
	s_cmp_lg_u32 s14, s0
	s_cbranch_scc1 .LBB30_253
.LBB30_254:
	s_wait_dscnt 0x0
	v_cmp_eq_f32_e32 vcc_lo, 0, v38
	v_cmp_eq_f32_e64 s0, 0, v39
	s_and_b32 s0, vcc_lo, s0
	s_delay_alu instid0(SALU_CYCLE_1) | instskip(NEXT) | instid1(SALU_CYCLE_1)
	s_and_saveexec_b32 s1, s0
	s_xor_b32 s0, exec_lo, s1
; %bb.255:
	v_cmp_ne_u32_e32 vcc_lo, 0, v45
	v_cndmask_b32_e32 v45, 13, v45, vcc_lo
; %bb.256:
	s_and_not1_saveexec_b32 s0, s0
	s_cbranch_execz .LBB30_262
; %bb.257:
	v_cmp_ngt_f32_e64 s1, |v38|, |v39|
	s_and_saveexec_b32 s15, s1
	s_delay_alu instid0(SALU_CYCLE_1)
	s_xor_b32 s1, exec_lo, s15
	s_cbranch_execz .LBB30_259
; %bb.258:
	v_div_scale_f32 v41, null, v39, v39, v38
	v_div_scale_f32 v49, vcc_lo, v38, v39, v38
	s_delay_alu instid0(VALU_DEP_2) | instskip(SKIP_1) | instid1(TRANS32_DEP_1)
	v_rcp_f32_e32 v47, v41
	v_nop
	v_fma_f32 v48, -v41, v47, 1.0
	s_delay_alu instid0(VALU_DEP_1) | instskip(NEXT) | instid1(VALU_DEP_1)
	v_fmac_f32_e32 v47, v48, v47
	v_mul_f32_e32 v48, v49, v47
	s_delay_alu instid0(VALU_DEP_1) | instskip(NEXT) | instid1(VALU_DEP_1)
	v_fma_f32 v50, -v41, v48, v49
	v_fmac_f32_e32 v48, v50, v47
	s_delay_alu instid0(VALU_DEP_1) | instskip(NEXT) | instid1(VALU_DEP_1)
	v_fma_f32 v41, -v41, v48, v49
	v_div_fmas_f32 v41, v41, v47, v48
	s_delay_alu instid0(VALU_DEP_1) | instskip(NEXT) | instid1(VALU_DEP_1)
	v_div_fixup_f32 v41, v41, v39, v38
	v_fmac_f32_e32 v39, v38, v41
	s_delay_alu instid0(VALU_DEP_1) | instskip(SKIP_1) | instid1(VALU_DEP_2)
	v_div_scale_f32 v38, null, v39, v39, 1.0
	v_div_scale_f32 v49, vcc_lo, 1.0, v39, 1.0
	v_rcp_f32_e32 v47, v38
	v_nop
	s_delay_alu instid0(TRANS32_DEP_1) | instskip(NEXT) | instid1(VALU_DEP_1)
	v_fma_f32 v48, -v38, v47, 1.0
	v_fmac_f32_e32 v47, v48, v47
	s_delay_alu instid0(VALU_DEP_1) | instskip(NEXT) | instid1(VALU_DEP_1)
	v_mul_f32_e32 v48, v49, v47
	v_fma_f32 v50, -v38, v48, v49
	s_delay_alu instid0(VALU_DEP_1) | instskip(NEXT) | instid1(VALU_DEP_1)
	v_fmac_f32_e32 v48, v50, v47
	v_fma_f32 v38, -v38, v48, v49
	s_delay_alu instid0(VALU_DEP_1) | instskip(NEXT) | instid1(VALU_DEP_1)
	v_div_fmas_f32 v38, v38, v47, v48
	v_div_fixup_f32 v39, v38, v39, 1.0
	s_delay_alu instid0(VALU_DEP_1)
	v_mul_f32_e32 v38, v41, v39
	v_xor_b32_e32 v39, 0x80000000, v39
.LBB30_259:
	s_and_not1_saveexec_b32 s1, s1
	s_cbranch_execz .LBB30_261
; %bb.260:
	s_delay_alu instid0(VALU_DEP_1) | instskip(SKIP_1) | instid1(VALU_DEP_2)
	v_div_scale_f32 v41, null, v38, v38, v39
	v_div_scale_f32 v49, vcc_lo, v39, v38, v39
	v_rcp_f32_e32 v47, v41
	v_nop
	s_delay_alu instid0(TRANS32_DEP_1) | instskip(NEXT) | instid1(VALU_DEP_1)
	v_fma_f32 v48, -v41, v47, 1.0
	v_fmac_f32_e32 v47, v48, v47
	s_delay_alu instid0(VALU_DEP_1) | instskip(NEXT) | instid1(VALU_DEP_1)
	v_mul_f32_e32 v48, v49, v47
	v_fma_f32 v50, -v41, v48, v49
	s_delay_alu instid0(VALU_DEP_1) | instskip(NEXT) | instid1(VALU_DEP_1)
	v_fmac_f32_e32 v48, v50, v47
	v_fma_f32 v41, -v41, v48, v49
	s_delay_alu instid0(VALU_DEP_1) | instskip(NEXT) | instid1(VALU_DEP_1)
	v_div_fmas_f32 v41, v41, v47, v48
	v_div_fixup_f32 v41, v41, v38, v39
	s_delay_alu instid0(VALU_DEP_1) | instskip(NEXT) | instid1(VALU_DEP_1)
	v_fmac_f32_e32 v38, v39, v41
	v_div_scale_f32 v39, null, v38, v38, 1.0
	s_delay_alu instid0(VALU_DEP_1) | instskip(SKIP_1) | instid1(TRANS32_DEP_1)
	v_rcp_f32_e32 v47, v39
	v_nop
	v_fma_f32 v48, -v39, v47, 1.0
	s_delay_alu instid0(VALU_DEP_1) | instskip(SKIP_1) | instid1(VALU_DEP_1)
	v_fmac_f32_e32 v47, v48, v47
	v_div_scale_f32 v48, vcc_lo, 1.0, v38, 1.0
	v_mul_f32_e32 v49, v48, v47
	s_delay_alu instid0(VALU_DEP_1) | instskip(NEXT) | instid1(VALU_DEP_1)
	v_fma_f32 v50, -v39, v49, v48
	v_fmac_f32_e32 v49, v50, v47
	s_delay_alu instid0(VALU_DEP_1) | instskip(NEXT) | instid1(VALU_DEP_1)
	v_fma_f32 v39, -v39, v49, v48
	v_div_fmas_f32 v39, v39, v47, v49
	s_delay_alu instid0(VALU_DEP_1) | instskip(NEXT) | instid1(VALU_DEP_1)
	v_div_fixup_f32 v38, v39, v38, 1.0
	v_mul_f32_e64 v39, v41, -v38
.LBB30_261:
	s_or_b32 exec_lo, exec_lo, s1
.LBB30_262:
	s_delay_alu instid0(SALU_CYCLE_1) | instskip(NEXT) | instid1(SALU_CYCLE_1)
	s_or_b32 exec_lo, exec_lo, s0
	s_mov_b32 s0, exec_lo
	v_cmpx_ne_u32_e64 v46, v40
	s_xor_b32 s0, exec_lo, s0
	s_cbranch_execz .LBB30_268
; %bb.263:
	s_mov_b32 s1, exec_lo
	v_cmpx_eq_u32_e32 12, v46
	s_cbranch_execz .LBB30_267
; %bb.264:
	v_cmp_ne_u32_e32 vcc_lo, 12, v40
	s_xor_b32 s15, s12, -1
	s_delay_alu instid0(SALU_CYCLE_1) | instskip(NEXT) | instid1(SALU_CYCLE_1)
	s_and_b32 s16, s15, vcc_lo
	s_and_saveexec_b32 s15, s16
	s_cbranch_execz .LBB30_266
; %bb.265:
	v_ashrrev_i32_e32 v41, 31, v40
	s_delay_alu instid0(VALU_DEP_1)
	v_lshl_add_u64 v[46:47], v[40:41], 2, v[32:33]
	s_clause 0x1
	global_load_b32 v41, v[46:47], off
	global_load_b32 v44, v[32:33], off offset:48
	s_wait_loadcnt 0x1
	global_store_b32 v[32:33], v41, off offset:48
	s_wait_loadcnt 0x0
	global_store_b32 v[46:47], v44, off
.LBB30_266:
	s_wait_xcnt 0x0
	s_or_b32 exec_lo, exec_lo, s15
	v_dual_mov_b32 v46, v40 :: v_dual_mov_b32 v44, v40
.LBB30_267:
	s_or_b32 exec_lo, exec_lo, s1
.LBB30_268:
	s_and_not1_saveexec_b32 s0, s0
	s_cbranch_execz .LBB30_270
; %bb.269:
	v_mov_b32_e32 v46, 12
	ds_store_2addr_b64 v42, v[12:13], v[10:11] offset0:13 offset1:14
	ds_store_b64 v42, v[36:37] offset:120
.LBB30_270:
	s_or_b32 exec_lo, exec_lo, s0
	s_delay_alu instid0(SALU_CYCLE_1)
	s_mov_b32 s0, exec_lo
	s_wait_storecnt_dscnt 0x0
	s_barrier_signal -1
	s_barrier_wait -1
	v_cmpx_lt_i32_e32 12, v46
	s_cbranch_execz .LBB30_272
; %bb.271:
	ds_load_2addr_b64 v[48:51], v42 offset0:13 offset1:14
	ds_load_b64 v[40:41], v42 offset:120
	v_pk_mul_f32 v[52:53], v[38:39], v[14:15] op_sel:[1,1] op_sel_hi:[0,1]
	s_delay_alu instid0(VALU_DEP_1) | instskip(SKIP_2) | instid1(VALU_DEP_2)
	v_pk_fma_f32 v[54:55], v[38:39], v[14:15], v[52:53] op_sel_hi:[1,0,1]
	v_pk_fma_f32 v[14:15], v[38:39], v[14:15], v[52:53] op_sel_hi:[1,0,1] neg_lo:[0,0,1] neg_hi:[0,0,1]
	s_wait_dscnt 0x1
	v_pk_mul_f32 v[38:39], v[48:49], v[54:55] op_sel:[0,1]
	v_pk_mul_f32 v[52:53], v[50:51], v[54:55] op_sel:[0,1]
	s_wait_dscnt 0x0
	v_pk_mul_f32 v[56:57], v[40:41], v[54:55] op_sel:[1,1] op_sel_hi:[0,1]
	s_delay_alu instid0(VALU_DEP_3) | instskip(SKIP_2) | instid1(VALU_DEP_4)
	v_pk_fma_f32 v[58:59], v[48:49], v[14:15], v[38:39] op_sel:[0,0,1] op_sel_hi:[1,1,0] neg_lo:[0,0,1] neg_hi:[0,0,1]
	v_pk_fma_f32 v[38:39], v[48:49], v[14:15], v[38:39] op_sel:[0,0,1] op_sel_hi:[1,0,0]
	v_pk_fma_f32 v[48:49], v[50:51], v[14:15], v[52:53] op_sel:[0,0,1] op_sel_hi:[1,0,0]
	v_pk_fma_f32 v[60:61], v[40:41], v[14:15], v[56:57] op_sel_hi:[1,0,1]
	v_pk_fma_f32 v[50:51], v[50:51], v[14:15], v[52:53] op_sel:[0,0,1] op_sel_hi:[1,1,0] neg_lo:[0,0,1] neg_hi:[0,0,1]
	v_pk_fma_f32 v[40:41], v[40:41], v[14:15], v[56:57] neg_lo:[0,0,1] neg_hi:[0,0,1]
	s_delay_alu instid0(VALU_DEP_4) | instskip(NEXT) | instid1(VALU_DEP_4)
	v_dual_mov_b32 v59, v39 :: v_dual_mov_b32 v51, v49
	v_dual_mov_b32 v41, v61 :: v_dual_mov_b32 v15, v55
	s_delay_alu instid0(VALU_DEP_2) | instskip(NEXT) | instid1(VALU_DEP_3)
	v_pk_add_f32 v[12:13], v[12:13], v[58:59] neg_lo:[0,1] neg_hi:[0,1]
	v_pk_add_f32 v[10:11], v[10:11], v[50:51] neg_lo:[0,1] neg_hi:[0,1]
	s_delay_alu instid0(VALU_DEP_3)
	v_pk_add_f32 v[36:37], v[36:37], v[40:41] neg_lo:[0,1] neg_hi:[0,1]
.LBB30_272:
	s_or_b32 exec_lo, exec_lo, s0
	v_lshl_add_u32 v38, v46, 3, v42
	s_barrier_signal -1
	s_barrier_wait -1
	ds_store_b64 v38, v[12:13]
	s_wait_dscnt 0x0
	s_barrier_signal -1
	s_barrier_wait -1
	ds_load_b64 v[38:39], v42 offset:104
	v_mov_b32_e32 v40, 13
	s_cmp_lt_i32 s14, 15
	s_cbranch_scc1 .LBB30_275
; %bb.273:
	v_add3_u32 v41, v43, 0, 0x70
	v_mov_b32_e32 v40, 13
	s_mov_b32 s0, 14
.LBB30_274:                             ; =>This Inner Loop Header: Depth=1
	ds_load_b64 v[48:49], v41
	s_wait_dscnt 0x1
	v_cmp_gt_f32_e32 vcc_lo, 0, v38
	v_cndmask_b32_e64 v50, v38, -v38, vcc_lo
	v_cmp_gt_f32_e32 vcc_lo, 0, v39
	v_cndmask_b32_e64 v52, v39, -v39, vcc_lo
	s_wait_dscnt 0x0
	v_cmp_gt_f32_e32 vcc_lo, 0, v48
	v_cndmask_b32_e64 v51, v48, -v48, vcc_lo
	v_cmp_gt_f32_e32 vcc_lo, 0, v49
	v_cndmask_b32_e64 v53, v49, -v49, vcc_lo
	s_delay_alu instid0(VALU_DEP_1) | instskip(NEXT) | instid1(VALU_DEP_1)
	v_pk_add_f32 v[50:51], v[50:51], v[52:53]
	v_cmp_lt_f32_e32 vcc_lo, v50, v51
	v_dual_cndmask_b32 v38, v38, v48 :: v_dual_add_nc_u32 v41, 8, v41
	v_cndmask_b32_e32 v39, v39, v49, vcc_lo
	v_cndmask_b32_e64 v40, v40, s0, vcc_lo
	s_add_co_i32 s0, s0, 1
	s_delay_alu instid0(SALU_CYCLE_1)
	s_cmp_lg_u32 s14, s0
	s_cbranch_scc1 .LBB30_274
.LBB30_275:
	s_wait_dscnt 0x0
	v_cmp_eq_f32_e32 vcc_lo, 0, v38
	v_cmp_eq_f32_e64 s0, 0, v39
	s_and_b32 s0, vcc_lo, s0
	s_delay_alu instid0(SALU_CYCLE_1) | instskip(NEXT) | instid1(SALU_CYCLE_1)
	s_and_saveexec_b32 s1, s0
	s_xor_b32 s0, exec_lo, s1
; %bb.276:
	v_cmp_ne_u32_e32 vcc_lo, 0, v45
	v_cndmask_b32_e32 v45, 14, v45, vcc_lo
; %bb.277:
	s_and_not1_saveexec_b32 s0, s0
	s_cbranch_execz .LBB30_283
; %bb.278:
	v_cmp_ngt_f32_e64 s1, |v38|, |v39|
	s_and_saveexec_b32 s15, s1
	s_delay_alu instid0(SALU_CYCLE_1)
	s_xor_b32 s1, exec_lo, s15
	s_cbranch_execz .LBB30_280
; %bb.279:
	v_div_scale_f32 v41, null, v39, v39, v38
	v_div_scale_f32 v49, vcc_lo, v38, v39, v38
	s_delay_alu instid0(VALU_DEP_2) | instskip(SKIP_1) | instid1(TRANS32_DEP_1)
	v_rcp_f32_e32 v47, v41
	v_nop
	v_fma_f32 v48, -v41, v47, 1.0
	s_delay_alu instid0(VALU_DEP_1) | instskip(NEXT) | instid1(VALU_DEP_1)
	v_fmac_f32_e32 v47, v48, v47
	v_mul_f32_e32 v48, v49, v47
	s_delay_alu instid0(VALU_DEP_1) | instskip(NEXT) | instid1(VALU_DEP_1)
	v_fma_f32 v50, -v41, v48, v49
	v_fmac_f32_e32 v48, v50, v47
	s_delay_alu instid0(VALU_DEP_1) | instskip(NEXT) | instid1(VALU_DEP_1)
	v_fma_f32 v41, -v41, v48, v49
	v_div_fmas_f32 v41, v41, v47, v48
	s_delay_alu instid0(VALU_DEP_1) | instskip(NEXT) | instid1(VALU_DEP_1)
	v_div_fixup_f32 v41, v41, v39, v38
	v_fmac_f32_e32 v39, v38, v41
	s_delay_alu instid0(VALU_DEP_1) | instskip(SKIP_1) | instid1(VALU_DEP_2)
	v_div_scale_f32 v38, null, v39, v39, 1.0
	v_div_scale_f32 v49, vcc_lo, 1.0, v39, 1.0
	v_rcp_f32_e32 v47, v38
	v_nop
	s_delay_alu instid0(TRANS32_DEP_1) | instskip(NEXT) | instid1(VALU_DEP_1)
	v_fma_f32 v48, -v38, v47, 1.0
	v_fmac_f32_e32 v47, v48, v47
	s_delay_alu instid0(VALU_DEP_1) | instskip(NEXT) | instid1(VALU_DEP_1)
	v_mul_f32_e32 v48, v49, v47
	v_fma_f32 v50, -v38, v48, v49
	s_delay_alu instid0(VALU_DEP_1) | instskip(NEXT) | instid1(VALU_DEP_1)
	v_fmac_f32_e32 v48, v50, v47
	v_fma_f32 v38, -v38, v48, v49
	s_delay_alu instid0(VALU_DEP_1) | instskip(NEXT) | instid1(VALU_DEP_1)
	v_div_fmas_f32 v38, v38, v47, v48
	v_div_fixup_f32 v39, v38, v39, 1.0
	s_delay_alu instid0(VALU_DEP_1)
	v_mul_f32_e32 v38, v41, v39
	v_xor_b32_e32 v39, 0x80000000, v39
.LBB30_280:
	s_and_not1_saveexec_b32 s1, s1
	s_cbranch_execz .LBB30_282
; %bb.281:
	s_delay_alu instid0(VALU_DEP_1) | instskip(SKIP_1) | instid1(VALU_DEP_2)
	v_div_scale_f32 v41, null, v38, v38, v39
	v_div_scale_f32 v49, vcc_lo, v39, v38, v39
	v_rcp_f32_e32 v47, v41
	v_nop
	s_delay_alu instid0(TRANS32_DEP_1) | instskip(NEXT) | instid1(VALU_DEP_1)
	v_fma_f32 v48, -v41, v47, 1.0
	v_fmac_f32_e32 v47, v48, v47
	s_delay_alu instid0(VALU_DEP_1) | instskip(NEXT) | instid1(VALU_DEP_1)
	v_mul_f32_e32 v48, v49, v47
	v_fma_f32 v50, -v41, v48, v49
	s_delay_alu instid0(VALU_DEP_1) | instskip(NEXT) | instid1(VALU_DEP_1)
	v_fmac_f32_e32 v48, v50, v47
	v_fma_f32 v41, -v41, v48, v49
	s_delay_alu instid0(VALU_DEP_1) | instskip(NEXT) | instid1(VALU_DEP_1)
	v_div_fmas_f32 v41, v41, v47, v48
	v_div_fixup_f32 v41, v41, v38, v39
	s_delay_alu instid0(VALU_DEP_1) | instskip(NEXT) | instid1(VALU_DEP_1)
	v_fmac_f32_e32 v38, v39, v41
	v_div_scale_f32 v39, null, v38, v38, 1.0
	s_delay_alu instid0(VALU_DEP_1) | instskip(SKIP_1) | instid1(TRANS32_DEP_1)
	v_rcp_f32_e32 v47, v39
	v_nop
	v_fma_f32 v48, -v39, v47, 1.0
	s_delay_alu instid0(VALU_DEP_1) | instskip(SKIP_1) | instid1(VALU_DEP_1)
	v_fmac_f32_e32 v47, v48, v47
	v_div_scale_f32 v48, vcc_lo, 1.0, v38, 1.0
	v_mul_f32_e32 v49, v48, v47
	s_delay_alu instid0(VALU_DEP_1) | instskip(NEXT) | instid1(VALU_DEP_1)
	v_fma_f32 v50, -v39, v49, v48
	v_fmac_f32_e32 v49, v50, v47
	s_delay_alu instid0(VALU_DEP_1) | instskip(NEXT) | instid1(VALU_DEP_1)
	v_fma_f32 v39, -v39, v49, v48
	v_div_fmas_f32 v39, v39, v47, v49
	s_delay_alu instid0(VALU_DEP_1) | instskip(NEXT) | instid1(VALU_DEP_1)
	v_div_fixup_f32 v38, v39, v38, 1.0
	v_mul_f32_e64 v39, v41, -v38
.LBB30_282:
	s_or_b32 exec_lo, exec_lo, s1
.LBB30_283:
	s_delay_alu instid0(SALU_CYCLE_1) | instskip(NEXT) | instid1(SALU_CYCLE_1)
	s_or_b32 exec_lo, exec_lo, s0
	s_mov_b32 s0, exec_lo
	v_cmpx_ne_u32_e64 v46, v40
	s_xor_b32 s0, exec_lo, s0
	s_cbranch_execz .LBB30_289
; %bb.284:
	s_mov_b32 s1, exec_lo
	v_cmpx_eq_u32_e32 13, v46
	s_cbranch_execz .LBB30_288
; %bb.285:
	v_cmp_ne_u32_e32 vcc_lo, 13, v40
	s_xor_b32 s15, s12, -1
	s_delay_alu instid0(SALU_CYCLE_1) | instskip(NEXT) | instid1(SALU_CYCLE_1)
	s_and_b32 s16, s15, vcc_lo
	s_and_saveexec_b32 s15, s16
	s_cbranch_execz .LBB30_287
; %bb.286:
	v_ashrrev_i32_e32 v41, 31, v40
	s_delay_alu instid0(VALU_DEP_1)
	v_lshl_add_u64 v[46:47], v[40:41], 2, v[32:33]
	s_clause 0x1
	global_load_b32 v41, v[46:47], off
	global_load_b32 v44, v[32:33], off offset:52
	s_wait_loadcnt 0x1
	global_store_b32 v[32:33], v41, off offset:52
	s_wait_loadcnt 0x0
	global_store_b32 v[46:47], v44, off
.LBB30_287:
	s_wait_xcnt 0x0
	s_or_b32 exec_lo, exec_lo, s15
	v_dual_mov_b32 v46, v40 :: v_dual_mov_b32 v44, v40
.LBB30_288:
	s_or_b32 exec_lo, exec_lo, s1
.LBB30_289:
	s_and_not1_saveexec_b32 s0, s0
; %bb.290:
	v_dual_mov_b32 v40, v10 :: v_dual_mov_b32 v41, v11
	v_mov_b32_e32 v46, 13
	ds_store_2addr_b64 v42, v[40:41], v[36:37] offset0:14 offset1:15
; %bb.291:
	s_or_b32 exec_lo, exec_lo, s0
	s_delay_alu instid0(SALU_CYCLE_1)
	s_mov_b32 s0, exec_lo
	s_wait_storecnt_dscnt 0x0
	s_barrier_signal -1
	s_barrier_wait -1
	v_cmpx_lt_i32_e32 13, v46
	s_cbranch_execz .LBB30_293
; %bb.292:
	ds_load_2addr_b64 v[48:51], v42 offset0:14 offset1:15
	v_pk_mul_f32 v[40:41], v[38:39], v[12:13] op_sel:[1,1] op_sel_hi:[0,1]
	s_delay_alu instid0(VALU_DEP_1) | instskip(SKIP_3) | instid1(VALU_DEP_3)
	v_pk_fma_f32 v[52:53], v[38:39], v[12:13], v[40:41] op_sel_hi:[1,0,1]
	v_pk_fma_f32 v[12:13], v[38:39], v[12:13], v[40:41] op_sel_hi:[1,0,1] neg_lo:[0,0,1] neg_hi:[0,0,1]
	s_wait_dscnt 0x0
	v_dual_mov_b32 v54, v51 :: v_dual_mov_b32 v55, v50
	v_pk_mul_f32 v[38:39], v[48:49], v[52:53] op_sel:[0,1]
	s_delay_alu instid0(VALU_DEP_2) | instskip(NEXT) | instid1(VALU_DEP_2)
	v_pk_mul_f32 v[40:41], v[54:55], v[52:53] op_sel:[0,1]
	v_pk_fma_f32 v[54:55], v[48:49], v[12:13], v[38:39] op_sel:[0,0,1] op_sel_hi:[1,0,0]
	v_pk_fma_f32 v[38:39], v[48:49], v[12:13], v[38:39] op_sel:[0,0,1] op_sel_hi:[1,1,0] neg_lo:[0,0,1] neg_hi:[0,0,1]
	s_delay_alu instid0(VALU_DEP_3) | instskip(SKIP_1) | instid1(VALU_DEP_4)
	v_pk_fma_f32 v[56:57], v[50:51], v[12:13], v[40:41] op_sel_hi:[1,0,1]
	v_pk_fma_f32 v[40:41], v[50:51], v[12:13], v[40:41] neg_lo:[0,0,1] neg_hi:[0,0,1]
	v_dual_mov_b32 v39, v55 :: v_dual_mov_b32 v13, v53
	s_delay_alu instid0(VALU_DEP_3) | instskip(NEXT) | instid1(VALU_DEP_2)
	v_mov_b32_e32 v41, v57
	v_pk_add_f32 v[10:11], v[10:11], v[38:39] neg_lo:[0,1] neg_hi:[0,1]
	s_delay_alu instid0(VALU_DEP_2)
	v_pk_add_f32 v[36:37], v[36:37], v[40:41] neg_lo:[0,1] neg_hi:[0,1]
.LBB30_293:
	s_or_b32 exec_lo, exec_lo, s0
	v_lshl_add_u32 v38, v46, 3, v42
	s_barrier_signal -1
	s_barrier_wait -1
	ds_store_b64 v38, v[10:11]
	s_wait_dscnt 0x0
	s_barrier_signal -1
	s_barrier_wait -1
	ds_load_b64 v[38:39], v42 offset:112
	v_mov_b32_e32 v40, 14
	s_cmp_lt_i32 s14, 16
	s_cbranch_scc1 .LBB30_296
; %bb.294:
	v_add3_u32 v41, v43, 0, 0x78
	v_mov_b32_e32 v40, 14
	s_mov_b32 s0, 15
.LBB30_295:                             ; =>This Inner Loop Header: Depth=1
	ds_load_b64 v[48:49], v41
	s_wait_dscnt 0x1
	v_cmp_gt_f32_e32 vcc_lo, 0, v38
	v_cndmask_b32_e64 v50, v38, -v38, vcc_lo
	v_cmp_gt_f32_e32 vcc_lo, 0, v39
	v_cndmask_b32_e64 v52, v39, -v39, vcc_lo
	s_wait_dscnt 0x0
	v_cmp_gt_f32_e32 vcc_lo, 0, v48
	v_cndmask_b32_e64 v51, v48, -v48, vcc_lo
	v_cmp_gt_f32_e32 vcc_lo, 0, v49
	v_cndmask_b32_e64 v53, v49, -v49, vcc_lo
	s_delay_alu instid0(VALU_DEP_1) | instskip(NEXT) | instid1(VALU_DEP_1)
	v_pk_add_f32 v[50:51], v[50:51], v[52:53]
	v_cmp_lt_f32_e32 vcc_lo, v50, v51
	v_dual_cndmask_b32 v38, v38, v48 :: v_dual_add_nc_u32 v41, 8, v41
	v_cndmask_b32_e32 v39, v39, v49, vcc_lo
	v_cndmask_b32_e64 v40, v40, s0, vcc_lo
	s_add_co_i32 s0, s0, 1
	s_delay_alu instid0(SALU_CYCLE_1)
	s_cmp_lg_u32 s14, s0
	s_cbranch_scc1 .LBB30_295
.LBB30_296:
	s_wait_dscnt 0x0
	v_cmp_eq_f32_e32 vcc_lo, 0, v38
	v_cmp_eq_f32_e64 s0, 0, v39
	s_and_b32 s0, vcc_lo, s0
	s_delay_alu instid0(SALU_CYCLE_1) | instskip(NEXT) | instid1(SALU_CYCLE_1)
	s_and_saveexec_b32 s1, s0
	s_xor_b32 s0, exec_lo, s1
; %bb.297:
	v_cmp_ne_u32_e32 vcc_lo, 0, v45
	v_cndmask_b32_e32 v45, 15, v45, vcc_lo
; %bb.298:
	s_and_not1_saveexec_b32 s0, s0
	s_cbranch_execz .LBB30_304
; %bb.299:
	v_cmp_ngt_f32_e64 s1, |v38|, |v39|
	s_and_saveexec_b32 s15, s1
	s_delay_alu instid0(SALU_CYCLE_1)
	s_xor_b32 s1, exec_lo, s15
	s_cbranch_execz .LBB30_301
; %bb.300:
	v_div_scale_f32 v41, null, v39, v39, v38
	v_div_scale_f32 v49, vcc_lo, v38, v39, v38
	s_delay_alu instid0(VALU_DEP_2) | instskip(SKIP_1) | instid1(TRANS32_DEP_1)
	v_rcp_f32_e32 v47, v41
	v_nop
	v_fma_f32 v48, -v41, v47, 1.0
	s_delay_alu instid0(VALU_DEP_1) | instskip(NEXT) | instid1(VALU_DEP_1)
	v_fmac_f32_e32 v47, v48, v47
	v_mul_f32_e32 v48, v49, v47
	s_delay_alu instid0(VALU_DEP_1) | instskip(NEXT) | instid1(VALU_DEP_1)
	v_fma_f32 v50, -v41, v48, v49
	v_fmac_f32_e32 v48, v50, v47
	s_delay_alu instid0(VALU_DEP_1) | instskip(NEXT) | instid1(VALU_DEP_1)
	v_fma_f32 v41, -v41, v48, v49
	v_div_fmas_f32 v41, v41, v47, v48
	s_delay_alu instid0(VALU_DEP_1) | instskip(NEXT) | instid1(VALU_DEP_1)
	v_div_fixup_f32 v41, v41, v39, v38
	v_fmac_f32_e32 v39, v38, v41
	s_delay_alu instid0(VALU_DEP_1) | instskip(SKIP_1) | instid1(VALU_DEP_2)
	v_div_scale_f32 v38, null, v39, v39, 1.0
	v_div_scale_f32 v49, vcc_lo, 1.0, v39, 1.0
	v_rcp_f32_e32 v47, v38
	v_nop
	s_delay_alu instid0(TRANS32_DEP_1) | instskip(NEXT) | instid1(VALU_DEP_1)
	v_fma_f32 v48, -v38, v47, 1.0
	v_fmac_f32_e32 v47, v48, v47
	s_delay_alu instid0(VALU_DEP_1) | instskip(NEXT) | instid1(VALU_DEP_1)
	v_mul_f32_e32 v48, v49, v47
	v_fma_f32 v50, -v38, v48, v49
	s_delay_alu instid0(VALU_DEP_1) | instskip(NEXT) | instid1(VALU_DEP_1)
	v_fmac_f32_e32 v48, v50, v47
	v_fma_f32 v38, -v38, v48, v49
	s_delay_alu instid0(VALU_DEP_1) | instskip(NEXT) | instid1(VALU_DEP_1)
	v_div_fmas_f32 v38, v38, v47, v48
	v_div_fixup_f32 v39, v38, v39, 1.0
	s_delay_alu instid0(VALU_DEP_1)
	v_mul_f32_e32 v38, v41, v39
	v_xor_b32_e32 v39, 0x80000000, v39
.LBB30_301:
	s_and_not1_saveexec_b32 s1, s1
	s_cbranch_execz .LBB30_303
; %bb.302:
	s_delay_alu instid0(VALU_DEP_1) | instskip(SKIP_1) | instid1(VALU_DEP_2)
	v_div_scale_f32 v41, null, v38, v38, v39
	v_div_scale_f32 v49, vcc_lo, v39, v38, v39
	v_rcp_f32_e32 v47, v41
	v_nop
	s_delay_alu instid0(TRANS32_DEP_1) | instskip(NEXT) | instid1(VALU_DEP_1)
	v_fma_f32 v48, -v41, v47, 1.0
	v_fmac_f32_e32 v47, v48, v47
	s_delay_alu instid0(VALU_DEP_1) | instskip(NEXT) | instid1(VALU_DEP_1)
	v_mul_f32_e32 v48, v49, v47
	v_fma_f32 v50, -v41, v48, v49
	s_delay_alu instid0(VALU_DEP_1) | instskip(NEXT) | instid1(VALU_DEP_1)
	v_fmac_f32_e32 v48, v50, v47
	v_fma_f32 v41, -v41, v48, v49
	s_delay_alu instid0(VALU_DEP_1) | instskip(NEXT) | instid1(VALU_DEP_1)
	v_div_fmas_f32 v41, v41, v47, v48
	v_div_fixup_f32 v41, v41, v38, v39
	s_delay_alu instid0(VALU_DEP_1) | instskip(NEXT) | instid1(VALU_DEP_1)
	v_fmac_f32_e32 v38, v39, v41
	v_div_scale_f32 v39, null, v38, v38, 1.0
	s_delay_alu instid0(VALU_DEP_1) | instskip(SKIP_1) | instid1(TRANS32_DEP_1)
	v_rcp_f32_e32 v47, v39
	v_nop
	v_fma_f32 v48, -v39, v47, 1.0
	s_delay_alu instid0(VALU_DEP_1) | instskip(SKIP_1) | instid1(VALU_DEP_1)
	v_fmac_f32_e32 v47, v48, v47
	v_div_scale_f32 v48, vcc_lo, 1.0, v38, 1.0
	v_mul_f32_e32 v49, v48, v47
	s_delay_alu instid0(VALU_DEP_1) | instskip(NEXT) | instid1(VALU_DEP_1)
	v_fma_f32 v50, -v39, v49, v48
	v_fmac_f32_e32 v49, v50, v47
	s_delay_alu instid0(VALU_DEP_1) | instskip(NEXT) | instid1(VALU_DEP_1)
	v_fma_f32 v39, -v39, v49, v48
	v_div_fmas_f32 v39, v39, v47, v49
	s_delay_alu instid0(VALU_DEP_1) | instskip(NEXT) | instid1(VALU_DEP_1)
	v_div_fixup_f32 v38, v39, v38, 1.0
	v_mul_f32_e64 v39, v41, -v38
.LBB30_303:
	s_or_b32 exec_lo, exec_lo, s1
.LBB30_304:
	s_delay_alu instid0(SALU_CYCLE_1) | instskip(NEXT) | instid1(SALU_CYCLE_1)
	s_or_b32 exec_lo, exec_lo, s0
	s_mov_b32 s0, exec_lo
	v_cmpx_ne_u32_e64 v46, v40
	s_xor_b32 s0, exec_lo, s0
	s_cbranch_execz .LBB30_310
; %bb.305:
	s_mov_b32 s1, exec_lo
	v_cmpx_eq_u32_e32 14, v46
	s_cbranch_execz .LBB30_309
; %bb.306:
	v_cmp_ne_u32_e32 vcc_lo, 14, v40
	s_xor_b32 s15, s12, -1
	s_delay_alu instid0(SALU_CYCLE_1) | instskip(NEXT) | instid1(SALU_CYCLE_1)
	s_and_b32 s16, s15, vcc_lo
	s_and_saveexec_b32 s15, s16
	s_cbranch_execz .LBB30_308
; %bb.307:
	v_ashrrev_i32_e32 v41, 31, v40
	s_delay_alu instid0(VALU_DEP_1)
	v_lshl_add_u64 v[46:47], v[40:41], 2, v[32:33]
	s_clause 0x1
	global_load_b32 v41, v[46:47], off
	global_load_b32 v44, v[32:33], off offset:56
	s_wait_loadcnt 0x1
	global_store_b32 v[32:33], v41, off offset:56
	s_wait_loadcnt 0x0
	global_store_b32 v[46:47], v44, off
.LBB30_308:
	s_wait_xcnt 0x0
	s_or_b32 exec_lo, exec_lo, s15
	v_dual_mov_b32 v46, v40 :: v_dual_mov_b32 v44, v40
.LBB30_309:
	s_or_b32 exec_lo, exec_lo, s1
.LBB30_310:
	s_and_not1_saveexec_b32 s0, s0
; %bb.311:
	v_mov_b32_e32 v46, 14
	ds_store_b64 v42, v[36:37] offset:120
; %bb.312:
	s_or_b32 exec_lo, exec_lo, s0
	s_delay_alu instid0(SALU_CYCLE_1)
	s_mov_b32 s0, exec_lo
	s_wait_storecnt_dscnt 0x0
	s_barrier_signal -1
	s_barrier_wait -1
	v_cmpx_lt_i32_e32 14, v46
	s_cbranch_execz .LBB30_314
; %bb.313:
	ds_load_b64 v[40:41], v42 offset:120
	v_pk_mul_f32 v[48:49], v[38:39], v[10:11] op_sel:[1,1] op_sel_hi:[0,1]
	s_delay_alu instid0(VALU_DEP_1) | instskip(SKIP_2) | instid1(VALU_DEP_2)
	v_pk_fma_f32 v[50:51], v[38:39], v[10:11], v[48:49] op_sel_hi:[1,0,1]
	v_pk_fma_f32 v[10:11], v[38:39], v[10:11], v[48:49] op_sel_hi:[1,0,1] neg_lo:[0,0,1] neg_hi:[0,0,1]
	s_wait_dscnt 0x0
	v_pk_mul_f32 v[38:39], v[40:41], v[50:51] op_sel:[1,1] op_sel_hi:[0,1]
	s_delay_alu instid0(VALU_DEP_1) | instskip(SKIP_1) | instid1(VALU_DEP_2)
	v_pk_fma_f32 v[48:49], v[40:41], v[10:11], v[38:39] op_sel_hi:[1,0,1]
	v_pk_fma_f32 v[38:39], v[40:41], v[10:11], v[38:39] neg_lo:[0,0,1] neg_hi:[0,0,1]
	v_dual_mov_b32 v11, v51 :: v_dual_mov_b32 v39, v49
	s_delay_alu instid0(VALU_DEP_1)
	v_pk_add_f32 v[36:37], v[36:37], v[38:39] neg_lo:[0,1] neg_hi:[0,1]
.LBB30_314:
	s_or_b32 exec_lo, exec_lo, s0
	v_lshl_add_u32 v38, v46, 3, v42
	s_barrier_signal -1
	s_barrier_wait -1
	ds_store_b64 v38, v[36:37]
	s_wait_dscnt 0x0
	s_barrier_signal -1
	s_barrier_wait -1
	ds_load_b64 v[38:39], v42 offset:120
	v_mov_b32_e32 v40, 15
	s_cmp_lt_i32 s14, 17
	s_cbranch_scc1 .LBB30_317
; %bb.315:
	v_add3_u32 v41, v43, 0, 0x80
	v_mov_b32_e32 v40, 15
	s_mov_b32 s0, 16
.LBB30_316:                             ; =>This Inner Loop Header: Depth=1
	ds_load_b64 v[42:43], v41
	s_wait_dscnt 0x1
	v_cmp_gt_f32_e32 vcc_lo, 0, v38
	v_cndmask_b32_e64 v48, v38, -v38, vcc_lo
	v_cmp_gt_f32_e32 vcc_lo, 0, v39
	v_cndmask_b32_e64 v50, v39, -v39, vcc_lo
	s_wait_dscnt 0x0
	v_cmp_gt_f32_e32 vcc_lo, 0, v42
	v_cndmask_b32_e64 v49, v42, -v42, vcc_lo
	v_cmp_gt_f32_e32 vcc_lo, 0, v43
	v_cndmask_b32_e64 v51, v43, -v43, vcc_lo
	s_delay_alu instid0(VALU_DEP_1) | instskip(NEXT) | instid1(VALU_DEP_1)
	v_pk_add_f32 v[48:49], v[48:49], v[50:51]
	v_cmp_lt_f32_e32 vcc_lo, v48, v49
	v_dual_add_nc_u32 v41, 8, v41 :: v_dual_cndmask_b32 v39, v39, v43, vcc_lo
	v_cndmask_b32_e32 v38, v38, v42, vcc_lo
	v_cndmask_b32_e64 v40, v40, s0, vcc_lo
	s_add_co_i32 s0, s0, 1
	s_delay_alu instid0(SALU_CYCLE_1)
	s_cmp_lg_u32 s14, s0
	s_cbranch_scc1 .LBB30_316
.LBB30_317:
	s_wait_dscnt 0x0
	v_cmp_eq_f32_e32 vcc_lo, 0, v38
	v_cmp_eq_f32_e64 s0, 0, v39
	s_and_b32 s0, vcc_lo, s0
	s_delay_alu instid0(SALU_CYCLE_1) | instskip(NEXT) | instid1(SALU_CYCLE_1)
	s_and_saveexec_b32 s1, s0
	s_xor_b32 s0, exec_lo, s1
; %bb.318:
	v_cmp_ne_u32_e32 vcc_lo, 0, v45
	v_cndmask_b32_e32 v45, 16, v45, vcc_lo
; %bb.319:
	s_and_not1_saveexec_b32 s0, s0
	s_cbranch_execz .LBB30_325
; %bb.320:
	v_cmp_ngt_f32_e64 s1, |v38|, |v39|
	s_and_saveexec_b32 s14, s1
	s_delay_alu instid0(SALU_CYCLE_1)
	s_xor_b32 s1, exec_lo, s14
	s_cbranch_execz .LBB30_322
; %bb.321:
	v_div_scale_f32 v41, null, v39, v39, v38
	v_div_scale_f32 v47, vcc_lo, v38, v39, v38
	s_delay_alu instid0(VALU_DEP_2) | instskip(SKIP_1) | instid1(TRANS32_DEP_1)
	v_rcp_f32_e32 v42, v41
	v_nop
	v_fma_f32 v43, -v41, v42, 1.0
	s_delay_alu instid0(VALU_DEP_1) | instskip(NEXT) | instid1(VALU_DEP_1)
	v_fmac_f32_e32 v42, v43, v42
	v_mul_f32_e32 v43, v47, v42
	s_delay_alu instid0(VALU_DEP_1) | instskip(NEXT) | instid1(VALU_DEP_1)
	v_fma_f32 v48, -v41, v43, v47
	v_fmac_f32_e32 v43, v48, v42
	s_delay_alu instid0(VALU_DEP_1) | instskip(NEXT) | instid1(VALU_DEP_1)
	v_fma_f32 v41, -v41, v43, v47
	v_div_fmas_f32 v41, v41, v42, v43
	s_delay_alu instid0(VALU_DEP_1) | instskip(NEXT) | instid1(VALU_DEP_1)
	v_div_fixup_f32 v41, v41, v39, v38
	v_fmac_f32_e32 v39, v38, v41
	s_delay_alu instid0(VALU_DEP_1) | instskip(SKIP_1) | instid1(VALU_DEP_2)
	v_div_scale_f32 v38, null, v39, v39, 1.0
	v_div_scale_f32 v47, vcc_lo, 1.0, v39, 1.0
	v_rcp_f32_e32 v42, v38
	v_nop
	s_delay_alu instid0(TRANS32_DEP_1) | instskip(NEXT) | instid1(VALU_DEP_1)
	v_fma_f32 v43, -v38, v42, 1.0
	v_fmac_f32_e32 v42, v43, v42
	s_delay_alu instid0(VALU_DEP_1) | instskip(NEXT) | instid1(VALU_DEP_1)
	v_mul_f32_e32 v43, v47, v42
	v_fma_f32 v48, -v38, v43, v47
	s_delay_alu instid0(VALU_DEP_1) | instskip(NEXT) | instid1(VALU_DEP_1)
	v_fmac_f32_e32 v43, v48, v42
	v_fma_f32 v38, -v38, v43, v47
	s_delay_alu instid0(VALU_DEP_1) | instskip(NEXT) | instid1(VALU_DEP_1)
	v_div_fmas_f32 v38, v38, v42, v43
	v_div_fixup_f32 v39, v38, v39, 1.0
	s_delay_alu instid0(VALU_DEP_1)
	v_mul_f32_e32 v38, v41, v39
	v_xor_b32_e32 v39, 0x80000000, v39
.LBB30_322:
	s_and_not1_saveexec_b32 s1, s1
	s_cbranch_execz .LBB30_324
; %bb.323:
	s_delay_alu instid0(VALU_DEP_1) | instskip(SKIP_1) | instid1(VALU_DEP_2)
	v_div_scale_f32 v41, null, v38, v38, v39
	v_div_scale_f32 v47, vcc_lo, v39, v38, v39
	v_rcp_f32_e32 v42, v41
	v_nop
	s_delay_alu instid0(TRANS32_DEP_1) | instskip(NEXT) | instid1(VALU_DEP_1)
	v_fma_f32 v43, -v41, v42, 1.0
	v_fmac_f32_e32 v42, v43, v42
	s_delay_alu instid0(VALU_DEP_1) | instskip(NEXT) | instid1(VALU_DEP_1)
	v_mul_f32_e32 v43, v47, v42
	v_fma_f32 v48, -v41, v43, v47
	s_delay_alu instid0(VALU_DEP_1) | instskip(NEXT) | instid1(VALU_DEP_1)
	v_fmac_f32_e32 v43, v48, v42
	v_fma_f32 v41, -v41, v43, v47
	s_delay_alu instid0(VALU_DEP_1) | instskip(NEXT) | instid1(VALU_DEP_1)
	v_div_fmas_f32 v41, v41, v42, v43
	v_div_fixup_f32 v41, v41, v38, v39
	s_delay_alu instid0(VALU_DEP_1) | instskip(NEXT) | instid1(VALU_DEP_1)
	v_fmac_f32_e32 v38, v39, v41
	v_div_scale_f32 v39, null, v38, v38, 1.0
	s_delay_alu instid0(VALU_DEP_1) | instskip(SKIP_1) | instid1(TRANS32_DEP_1)
	v_rcp_f32_e32 v42, v39
	v_nop
	v_fma_f32 v43, -v39, v42, 1.0
	s_delay_alu instid0(VALU_DEP_1) | instskip(SKIP_1) | instid1(VALU_DEP_1)
	v_fmac_f32_e32 v42, v43, v42
	v_div_scale_f32 v43, vcc_lo, 1.0, v38, 1.0
	v_mul_f32_e32 v47, v43, v42
	s_delay_alu instid0(VALU_DEP_1) | instskip(NEXT) | instid1(VALU_DEP_1)
	v_fma_f32 v48, -v39, v47, v43
	v_fmac_f32_e32 v47, v48, v42
	s_delay_alu instid0(VALU_DEP_1) | instskip(NEXT) | instid1(VALU_DEP_1)
	v_fma_f32 v39, -v39, v47, v43
	v_div_fmas_f32 v39, v39, v42, v47
	s_delay_alu instid0(VALU_DEP_1) | instskip(NEXT) | instid1(VALU_DEP_1)
	v_div_fixup_f32 v38, v39, v38, 1.0
	v_mul_f32_e64 v39, v41, -v38
.LBB30_324:
	s_or_b32 exec_lo, exec_lo, s1
.LBB30_325:
	s_delay_alu instid0(SALU_CYCLE_1)
	s_or_b32 exec_lo, exec_lo, s0
	v_mov_b32_e32 v42, 15
	s_mov_b32 s0, exec_lo
	v_cmpx_ne_u32_e64 v46, v40
	s_cbranch_execz .LBB30_331
; %bb.326:
	s_mov_b32 s1, exec_lo
	v_cmpx_eq_u32_e32 15, v46
	s_cbranch_execz .LBB30_330
; %bb.327:
	v_cmp_ne_u32_e32 vcc_lo, 15, v40
	s_xor_b32 s12, s12, -1
	s_delay_alu instid0(SALU_CYCLE_1) | instskip(NEXT) | instid1(SALU_CYCLE_1)
	s_and_b32 s14, s12, vcc_lo
	s_and_saveexec_b32 s12, s14
	s_cbranch_execz .LBB30_329
; %bb.328:
	v_ashrrev_i32_e32 v41, 31, v40
	s_delay_alu instid0(VALU_DEP_1)
	v_lshl_add_u64 v[42:43], v[40:41], 2, v[32:33]
	s_clause 0x1
	global_load_b32 v41, v[42:43], off
	global_load_b32 v44, v[32:33], off offset:60
	s_wait_loadcnt 0x1
	global_store_b32 v[32:33], v41, off offset:60
	s_wait_loadcnt 0x0
	global_store_b32 v[42:43], v44, off
.LBB30_329:
	s_wait_xcnt 0x0
	s_or_b32 exec_lo, exec_lo, s12
	v_dual_mov_b32 v46, v40 :: v_dual_mov_b32 v44, v40
.LBB30_330:
	s_or_b32 exec_lo, exec_lo, s1
	s_delay_alu instid0(VALU_DEP_1)
	v_mov_b32_e32 v42, v46
.LBB30_331:
	s_or_b32 exec_lo, exec_lo, s0
	s_delay_alu instid0(VALU_DEP_1)
	v_ashrrev_i32_e32 v43, 31, v42
	s_mov_b32 s0, exec_lo
	s_wait_storecnt 0x0
	s_barrier_signal -1
	s_barrier_wait -1
	s_barrier_signal -1
	s_barrier_wait -1
	v_cmpx_gt_i32_e32 16, v42
	s_cbranch_execz .LBB30_333
; %bb.332:
	v_mul_u64_e32 v[32:33], s[10:11], v[2:3]
	v_add3_u32 v40, v44, s13, 1
	s_delay_alu instid0(VALU_DEP_2) | instskip(NEXT) | instid1(VALU_DEP_1)
	v_lshl_add_u64 v[32:33], v[32:33], 2, s[6:7]
	v_lshl_add_u64 v[32:33], s[8:9], 2, v[32:33]
	s_delay_alu instid0(VALU_DEP_1)
	v_lshl_add_u64 v[32:33], v[42:43], 2, v[32:33]
	global_store_b32 v[32:33], v40, off
.LBB30_333:
	s_wait_xcnt 0x0
	s_or_b32 exec_lo, exec_lo, s0
	s_delay_alu instid0(SALU_CYCLE_1)
	s_mov_b32 s1, exec_lo
	v_cmpx_eq_u32_e32 0, v42
	s_cbranch_execz .LBB30_336
; %bb.334:
	s_wait_kmcnt 0x0
	v_lshl_add_u64 v[2:3], v[2:3], 2, s[4:5]
	v_cmp_ne_u32_e64 s0, 0, v45
	global_load_b32 v32, v[2:3], off
	s_wait_loadcnt 0x0
	v_cmp_eq_u32_e32 vcc_lo, 0, v32
	s_and_b32 s0, vcc_lo, s0
	s_wait_xcnt 0x0
	s_and_b32 exec_lo, exec_lo, s0
	s_cbranch_execz .LBB30_336
; %bb.335:
	v_add_nc_u32_e32 v32, s13, v45
	global_store_b32 v[2:3], v32, off
.LBB30_336:
	s_wait_xcnt 0x0
	s_or_b32 exec_lo, exec_lo, s1
	v_add3_u32 v2, s2, s2, v42
	v_pk_mul_f32 v[46:47], v[38:39], v[36:37] op_sel:[1,1] op_sel_hi:[0,1]
	v_cmp_lt_i32_e32 vcc_lo, 15, v42
	s_delay_alu instid0(VALU_DEP_3) | instskip(NEXT) | instid1(VALU_DEP_3)
	v_add_nc_u32_e32 v32, s2, v2
	v_pk_fma_f32 v[50:51], v[38:39], v[36:37], v[46:47] neg_lo:[0,0,1] neg_hi:[0,0,1]
	v_pk_fma_f32 v[38:39], v[38:39], v[36:37], v[46:47] op_sel_hi:[1,0,1]
	v_lshl_add_u64 v[46:47], v[42:43], 3, v[0:1]
	s_delay_alu instid0(VALU_DEP_4) | instskip(NEXT) | instid1(VALU_DEP_3)
	v_dual_ashrrev_i32 v3, 31, v2 :: v_dual_add_nc_u32 v40, s2, v32
	v_dual_cndmask_b32 v36, v36, v50 :: v_dual_cndmask_b32 v37, v37, v39
	s_delay_alu instid0(VALU_DEP_3) | instskip(NEXT) | instid1(VALU_DEP_3)
	v_lshl_add_u64 v[42:43], s[2:3], 3, v[46:47]
	v_lshl_add_u64 v[2:3], v[2:3], 3, v[0:1]
	s_delay_alu instid0(VALU_DEP_4)
	v_add_nc_u32_e32 v44, s2, v40
	s_clause 0x2
	global_store_b64 v[46:47], v[34:35], off
	global_store_b64 v[42:43], v[28:29], off
	;; [unrolled: 1-line block ×3, first 2 shown]
	v_ashrrev_i32_e32 v33, 31, v32
	v_add_nc_u32_e32 v48, s2, v44
	s_wait_xcnt 0x0
	s_delay_alu instid0(VALU_DEP_2) | instskip(NEXT) | instid1(VALU_DEP_2)
	v_lshl_add_u64 v[30:31], v[32:33], 3, v[0:1]
	v_add_nc_u32_e32 v38, s2, v48
	s_delay_alu instid0(VALU_DEP_1) | instskip(SKIP_1) | instid1(VALU_DEP_2)
	v_dual_ashrrev_i32 v45, 31, v44 :: v_dual_ashrrev_i32 v39, 31, v38
	v_add_nc_u32_e32 v52, s2, v38
	v_lshl_add_u64 v[34:35], v[44:45], 3, v[0:1]
	s_delay_alu instid0(VALU_DEP_2) | instskip(SKIP_1) | instid1(VALU_DEP_2)
	v_add_nc_u32_e32 v2, s2, v52
	v_ashrrev_i32_e32 v41, 31, v40
	v_dual_ashrrev_i32 v49, 31, v48 :: v_dual_add_nc_u32 v28, s2, v2
	s_delay_alu instid0(VALU_DEP_2) | instskip(NEXT) | instid1(VALU_DEP_2)
	v_lshl_add_u64 v[32:33], v[40:41], 3, v[0:1]
	v_lshl_add_u64 v[40:41], v[48:49], 3, v[0:1]
	s_clause 0x3
	global_store_b64 v[30:31], v[8:9], off
	global_store_b64 v[32:33], v[26:27], off
	;; [unrolled: 1-line block ×4, first 2 shown]
	v_dual_add_nc_u32 v42, s2, v28 :: v_dual_ashrrev_i32 v29, 31, v28
	s_wait_xcnt 0x0
	v_lshl_add_u64 v[24:25], v[38:39], 3, v[0:1]
	s_delay_alu instid0(VALU_DEP_2) | instskip(SKIP_2) | instid1(VALU_DEP_3)
	v_add_nc_u32_e32 v8, s2, v42
	v_ashrrev_i32_e32 v3, 31, v2
	v_lshl_add_u64 v[28:29], v[28:29], 3, v[0:1]
	v_dual_ashrrev_i32 v43, 31, v42 :: v_dual_ashrrev_i32 v9, 31, v8
	v_add_nc_u32_e32 v22, s2, v8
	v_ashrrev_i32_e32 v53, 31, v52
	v_lshl_add_u64 v[2:3], v[2:3], 3, v[0:1]
	s_delay_alu instid0(VALU_DEP_4) | instskip(NEXT) | instid1(VALU_DEP_4)
	v_lshl_add_u64 v[8:9], v[8:9], 3, v[0:1]
	v_add_nc_u32_e32 v30, s2, v22
	s_delay_alu instid0(VALU_DEP_4)
	v_lshl_add_u64 v[26:27], v[52:53], 3, v[0:1]
	s_clause 0x3
	global_store_b64 v[24:25], v[6:7], off
	global_store_b64 v[26:27], v[20:21], off
	;; [unrolled: 1-line block ×4, first 2 shown]
	s_wait_xcnt 0x1
	v_add_nc_u32_e32 v2, s2, v30
	v_ashrrev_i32_e32 v23, 31, v22
	v_ashrrev_i32_e32 v31, 31, v30
	v_lshl_add_u64 v[6:7], v[42:43], 3, v[0:1]
	s_delay_alu instid0(VALU_DEP_4) | instskip(NEXT) | instid1(VALU_DEP_4)
	v_ashrrev_i32_e32 v3, 31, v2
	v_lshl_add_u64 v[16:17], v[22:23], 3, v[0:1]
	s_wait_xcnt 0x0
	v_lshl_add_u64 v[18:19], v[30:31], 3, v[0:1]
	s_delay_alu instid0(VALU_DEP_3)
	v_lshl_add_u64 v[0:1], v[2:3], 3, v[0:1]
	s_clause 0x4
	global_store_b64 v[6:7], v[4:5], off
	global_store_b64 v[8:9], v[14:15], off
	;; [unrolled: 1-line block ×5, first 2 shown]
.LBB30_337:
	s_endpgm
	.section	.rodata,"a",@progbits
	.p2align	6, 0x0
	.amdhsa_kernel _ZN9rocsolver6v33100L18getf2_small_kernelILi16E19rocblas_complex_numIfEiiPS3_EEvT1_T3_lS5_lPS5_llPT2_S5_S5_S7_l
		.amdhsa_group_segment_fixed_size 0
		.amdhsa_private_segment_fixed_size 0
		.amdhsa_kernarg_size 352
		.amdhsa_user_sgpr_count 2
		.amdhsa_user_sgpr_dispatch_ptr 0
		.amdhsa_user_sgpr_queue_ptr 0
		.amdhsa_user_sgpr_kernarg_segment_ptr 1
		.amdhsa_user_sgpr_dispatch_id 0
		.amdhsa_user_sgpr_kernarg_preload_length 0
		.amdhsa_user_sgpr_kernarg_preload_offset 0
		.amdhsa_user_sgpr_private_segment_size 0
		.amdhsa_wavefront_size32 1
		.amdhsa_uses_dynamic_stack 0
		.amdhsa_enable_private_segment 0
		.amdhsa_system_sgpr_workgroup_id_x 1
		.amdhsa_system_sgpr_workgroup_id_y 1
		.amdhsa_system_sgpr_workgroup_id_z 0
		.amdhsa_system_sgpr_workgroup_info 0
		.amdhsa_system_vgpr_workitem_id 1
		.amdhsa_next_free_vgpr 64
		.amdhsa_next_free_sgpr 20
		.amdhsa_named_barrier_count 0
		.amdhsa_reserve_vcc 1
		.amdhsa_float_round_mode_32 0
		.amdhsa_float_round_mode_16_64 0
		.amdhsa_float_denorm_mode_32 3
		.amdhsa_float_denorm_mode_16_64 3
		.amdhsa_fp16_overflow 0
		.amdhsa_memory_ordered 1
		.amdhsa_forward_progress 1
		.amdhsa_inst_pref_size 184
		.amdhsa_round_robin_scheduling 0
		.amdhsa_exception_fp_ieee_invalid_op 0
		.amdhsa_exception_fp_denorm_src 0
		.amdhsa_exception_fp_ieee_div_zero 0
		.amdhsa_exception_fp_ieee_overflow 0
		.amdhsa_exception_fp_ieee_underflow 0
		.amdhsa_exception_fp_ieee_inexact 0
		.amdhsa_exception_int_div_zero 0
	.end_amdhsa_kernel
	.section	.text._ZN9rocsolver6v33100L18getf2_small_kernelILi16E19rocblas_complex_numIfEiiPS3_EEvT1_T3_lS5_lPS5_llPT2_S5_S5_S7_l,"axG",@progbits,_ZN9rocsolver6v33100L18getf2_small_kernelILi16E19rocblas_complex_numIfEiiPS3_EEvT1_T3_lS5_lPS5_llPT2_S5_S5_S7_l,comdat
.Lfunc_end30:
	.size	_ZN9rocsolver6v33100L18getf2_small_kernelILi16E19rocblas_complex_numIfEiiPS3_EEvT1_T3_lS5_lPS5_llPT2_S5_S5_S7_l, .Lfunc_end30-_ZN9rocsolver6v33100L18getf2_small_kernelILi16E19rocblas_complex_numIfEiiPS3_EEvT1_T3_lS5_lPS5_llPT2_S5_S5_S7_l
                                        ; -- End function
	.set _ZN9rocsolver6v33100L18getf2_small_kernelILi16E19rocblas_complex_numIfEiiPS3_EEvT1_T3_lS5_lPS5_llPT2_S5_S5_S7_l.num_vgpr, 64
	.set _ZN9rocsolver6v33100L18getf2_small_kernelILi16E19rocblas_complex_numIfEiiPS3_EEvT1_T3_lS5_lPS5_llPT2_S5_S5_S7_l.num_agpr, 0
	.set _ZN9rocsolver6v33100L18getf2_small_kernelILi16E19rocblas_complex_numIfEiiPS3_EEvT1_T3_lS5_lPS5_llPT2_S5_S5_S7_l.numbered_sgpr, 20
	.set _ZN9rocsolver6v33100L18getf2_small_kernelILi16E19rocblas_complex_numIfEiiPS3_EEvT1_T3_lS5_lPS5_llPT2_S5_S5_S7_l.num_named_barrier, 0
	.set _ZN9rocsolver6v33100L18getf2_small_kernelILi16E19rocblas_complex_numIfEiiPS3_EEvT1_T3_lS5_lPS5_llPT2_S5_S5_S7_l.private_seg_size, 0
	.set _ZN9rocsolver6v33100L18getf2_small_kernelILi16E19rocblas_complex_numIfEiiPS3_EEvT1_T3_lS5_lPS5_llPT2_S5_S5_S7_l.uses_vcc, 1
	.set _ZN9rocsolver6v33100L18getf2_small_kernelILi16E19rocblas_complex_numIfEiiPS3_EEvT1_T3_lS5_lPS5_llPT2_S5_S5_S7_l.uses_flat_scratch, 0
	.set _ZN9rocsolver6v33100L18getf2_small_kernelILi16E19rocblas_complex_numIfEiiPS3_EEvT1_T3_lS5_lPS5_llPT2_S5_S5_S7_l.has_dyn_sized_stack, 0
	.set _ZN9rocsolver6v33100L18getf2_small_kernelILi16E19rocblas_complex_numIfEiiPS3_EEvT1_T3_lS5_lPS5_llPT2_S5_S5_S7_l.has_recursion, 0
	.set _ZN9rocsolver6v33100L18getf2_small_kernelILi16E19rocblas_complex_numIfEiiPS3_EEvT1_T3_lS5_lPS5_llPT2_S5_S5_S7_l.has_indirect_call, 0
	.section	.AMDGPU.csdata,"",@progbits
; Kernel info:
; codeLenInByte = 23488
; TotalNumSgprs: 22
; NumVgprs: 64
; ScratchSize: 0
; MemoryBound: 0
; FloatMode: 240
; IeeeMode: 1
; LDSByteSize: 0 bytes/workgroup (compile time only)
; SGPRBlocks: 0
; VGPRBlocks: 3
; NumSGPRsForWavesPerEU: 22
; NumVGPRsForWavesPerEU: 64
; NamedBarCnt: 0
; Occupancy: 16
; WaveLimiterHint : 0
; COMPUTE_PGM_RSRC2:SCRATCH_EN: 0
; COMPUTE_PGM_RSRC2:USER_SGPR: 2
; COMPUTE_PGM_RSRC2:TRAP_HANDLER: 0
; COMPUTE_PGM_RSRC2:TGID_X_EN: 1
; COMPUTE_PGM_RSRC2:TGID_Y_EN: 1
; COMPUTE_PGM_RSRC2:TGID_Z_EN: 0
; COMPUTE_PGM_RSRC2:TIDIG_COMP_CNT: 1
	.section	.text._ZN9rocsolver6v33100L23getf2_npvt_small_kernelILi16E19rocblas_complex_numIfEiiPS3_EEvT1_T3_lS5_lPT2_S5_S5_,"axG",@progbits,_ZN9rocsolver6v33100L23getf2_npvt_small_kernelILi16E19rocblas_complex_numIfEiiPS3_EEvT1_T3_lS5_lPT2_S5_S5_,comdat
	.globl	_ZN9rocsolver6v33100L23getf2_npvt_small_kernelILi16E19rocblas_complex_numIfEiiPS3_EEvT1_T3_lS5_lPT2_S5_S5_ ; -- Begin function _ZN9rocsolver6v33100L23getf2_npvt_small_kernelILi16E19rocblas_complex_numIfEiiPS3_EEvT1_T3_lS5_lPT2_S5_S5_
	.p2align	8
	.type	_ZN9rocsolver6v33100L23getf2_npvt_small_kernelILi16E19rocblas_complex_numIfEiiPS3_EEvT1_T3_lS5_lPT2_S5_S5_,@function
_ZN9rocsolver6v33100L23getf2_npvt_small_kernelILi16E19rocblas_complex_numIfEiiPS3_EEvT1_T3_lS5_lPT2_S5_S5_: ; @_ZN9rocsolver6v33100L23getf2_npvt_small_kernelILi16E19rocblas_complex_numIfEiiPS3_EEvT1_T3_lS5_lPT2_S5_S5_
; %bb.0:
	s_clause 0x1
	s_load_u16 s14, s[0:1], 0x46
	s_load_b64 s[2:3], s[0:1], 0x30
	s_bfe_u32 s4, ttmp6, 0x40010
	s_bfe_u32 s5, ttmp6, 0x40004
	s_add_co_i32 s4, s4, 1
	s_getreg_b32 s6, hwreg(HW_REG_IB_STS2, 6, 4)
	s_mul_i32 s4, ttmp7, s4
	v_bfe_u32 v66, v0, 10, 10
	s_add_co_i32 s5, s5, s4
	s_cmp_eq_u32 s6, 0
	s_cselect_b32 s4, ttmp7, s5
	s_wait_kmcnt 0x0
	v_mad_u32 v2, s4, s14, v66
	s_delay_alu instid0(VALU_DEP_1)
	v_cmp_gt_i32_e32 vcc_lo, s2, v2
	s_and_saveexec_b32 s2, vcc_lo
	s_cbranch_execz .LBB31_147
; %bb.1:
	s_clause 0x1
	s_load_b32 s12, s[0:1], 0x18
	s_load_b128 s[4:7], s[0:1], 0x20
	v_and_b32_e32 v98, 0x3ff, v0
	s_load_b128 s[8:11], s[0:1], 0x8
	v_lshlrev_b32_e32 v67, 3, v66
	s_wait_xcnt 0x0
	s_lshl_b32 s0, s14, 7
	v_lshl_add_u32 v100, v66, 7, 0
	v_cmp_ne_u32_e64 s1, 0, v98
	v_mov_b32_e32 v15, 0
	v_add3_u32 v99, 0, s0, v67
	v_cmp_eq_u32_e64 s0, 0, v98
	v_lshlrev_b32_e32 v14, 3, v98
	s_wait_kmcnt 0x0
	v_add3_u32 v0, s12, s12, v98
	v_ashrrev_i32_e32 v3, 31, v2
	s_ashr_i32 s13, s12, 31
	s_delay_alu instid0(VALU_DEP_2) | instskip(NEXT) | instid1(VALU_DEP_2)
	v_add_nc_u32_e32 v4, s12, v0
	v_mul_u64_e32 v[6:7], s[4:5], v[2:3]
	v_ashrrev_i32_e32 v1, 31, v0
	s_delay_alu instid0(VALU_DEP_3) | instskip(NEXT) | instid1(VALU_DEP_1)
	v_add_nc_u32_e32 v8, s12, v4
	v_add_nc_u32_e32 v10, s12, v8
	s_delay_alu instid0(VALU_DEP_1) | instskip(NEXT) | instid1(VALU_DEP_1)
	v_dual_add_nc_u32 v12, s12, v10 :: v_dual_ashrrev_i32 v11, 31, v10
	v_add_nc_u32_e32 v20, s12, v12
	s_delay_alu instid0(VALU_DEP_1) | instskip(NEXT) | instid1(VALU_DEP_1)
	v_add_nc_u32_e32 v22, s12, v20
	v_dual_ashrrev_i32 v9, 31, v8 :: v_dual_ashrrev_i32 v23, 31, v22
	v_add_nc_u32_e32 v24, s12, v22
	v_lshl_add_u64 v[6:7], v[6:7], 3, s[8:9]
	s_delay_alu instid0(VALU_DEP_2) | instskip(SKIP_1) | instid1(VALU_DEP_3)
	v_dual_add_nc_u32 v30, s12, v24 :: v_dual_ashrrev_i32 v25, 31, v24
	v_ashrrev_i32_e32 v5, 31, v4
	v_lshl_add_u64 v[48:49], s[10:11], 3, v[6:7]
	s_delay_alu instid0(VALU_DEP_3) | instskip(SKIP_1) | instid1(VALU_DEP_3)
	v_dual_ashrrev_i32 v21, 31, v20 :: v_dual_ashrrev_i32 v31, 31, v30
	v_add_nc_u32_e32 v32, s12, v30
	v_add_nc_u64_e32 v[18:19], v[48:49], v[14:15]
	v_lshl_add_u64 v[16:17], v[8:9], 3, v[48:49]
	s_delay_alu instid0(VALU_DEP_4) | instskip(NEXT) | instid1(VALU_DEP_4)
	v_lshl_add_u64 v[8:9], v[20:21], 3, v[48:49]
	v_dual_add_nc_u32 v34, s12, v32 :: v_dual_ashrrev_i32 v33, 31, v32
	v_ashrrev_i32_e32 v13, 31, v12
	v_lshl_add_u64 v[20:21], v[30:31], 3, v[48:49]
	v_lshl_add_u64 v[6:7], v[0:1], 3, v[48:49]
	s_delay_alu instid0(VALU_DEP_4)
	v_add_nc_u32_e32 v36, s12, v34
	v_lshl_add_u64 v[0:1], v[10:11], 3, v[48:49]
	v_lshl_add_u64 v[10:11], v[22:23], 3, v[48:49]
	v_ashrrev_i32_e32 v35, 31, v34
	v_lshl_add_u64 v[14:15], v[4:5], 3, v[48:49]
	v_add_nc_u32_e32 v38, s12, v36
	v_lshl_add_u64 v[4:5], v[12:13], 3, v[48:49]
	v_lshl_add_u64 v[12:13], v[24:25], 3, v[48:49]
	v_ashrrev_i32_e32 v37, 31, v36
	v_lshl_add_u64 v[40:41], s[12:13], 3, v[18:19]
	v_dual_add_nc_u32 v30, s12, v38 :: v_dual_ashrrev_i32 v39, 31, v38
	v_lshl_add_u64 v[32:33], v[32:33], 3, v[48:49]
	v_lshl_add_u64 v[34:35], v[34:35], 3, v[48:49]
	s_clause 0x3
	global_load_b64 v[28:29], v[16:17], off
	global_load_b64 v[24:25], v[0:1], off
	;; [unrolled: 1-line block ×4, first 2 shown]
	v_ashrrev_i32_e32 v31, 31, v30
	s_clause 0x3
	global_load_b64 v[46:47], v[18:19], off
	global_load_b64 v[52:53], v[40:41], off
	global_load_b64 v[44:45], v[6:7], off
	global_load_b64 v[42:43], v[14:15], off
	v_lshl_add_u64 v[36:37], v[36:37], 3, v[48:49]
	v_lshl_add_u64 v[38:39], v[38:39], 3, v[48:49]
	v_lshl_add_u64 v[30:31], v[30:31], 3, v[48:49]
	s_clause 0x7
	global_load_b64 v[56:57], v[10:11], off
	global_load_b64 v[50:51], v[12:13], off
	;; [unrolled: 1-line block ×8, first 2 shown]
	s_wait_xcnt 0x0
	s_and_saveexec_b32 s4, s0
	s_cbranch_execz .LBB31_8
; %bb.2:
	s_wait_loadcnt 0xb
	ds_store_b64 v99, v[46:47]
	s_wait_loadcnt 0x9
	ds_store_2addr_b64 v100, v[52:53], v[44:45] offset0:1 offset1:2
	s_wait_loadcnt 0x8
	ds_store_2addr_b64 v100, v[42:43], v[28:29] offset0:3 offset1:4
	ds_store_2addr_b64 v100, v[24:25], v[26:27] offset0:5 offset1:6
	s_wait_loadcnt 0x7
	ds_store_2addr_b64 v100, v[22:23], v[56:57] offset0:7 offset1:8
	s_wait_loadcnt 0x5
	;; [unrolled: 2-line block ×5, first 2 shown]
	ds_store_b64 v100, v[62:63] offset:120
	ds_load_b64 v[66:67], v99
	s_wait_dscnt 0x0
	v_cmp_neq_f32_e32 vcc_lo, 0, v66
	v_cmp_neq_f32_e64 s2, 0, v67
	s_or_b32 s2, vcc_lo, s2
	s_delay_alu instid0(SALU_CYCLE_1)
	s_and_b32 exec_lo, exec_lo, s2
	s_cbranch_execz .LBB31_8
; %bb.3:
	v_cmp_ngt_f32_e64 s2, |v66|, |v67|
                                        ; implicit-def: $vgpr68_vgpr69
	s_and_saveexec_b32 s5, s2
	s_delay_alu instid0(SALU_CYCLE_1)
	s_xor_b32 s2, exec_lo, s5
	s_cbranch_execz .LBB31_5
; %bb.4:
	v_div_scale_f32 v68, null, v67, v67, v66
	v_div_scale_f32 v71, vcc_lo, v66, v67, v66
	s_delay_alu instid0(VALU_DEP_2) | instskip(SKIP_1) | instid1(TRANS32_DEP_1)
	v_rcp_f32_e32 v69, v68
	v_nop
	v_fma_f32 v70, -v68, v69, 1.0
	s_delay_alu instid0(VALU_DEP_1) | instskip(NEXT) | instid1(VALU_DEP_1)
	v_fmac_f32_e32 v69, v70, v69
	v_mul_f32_e32 v70, v71, v69
	s_delay_alu instid0(VALU_DEP_1) | instskip(NEXT) | instid1(VALU_DEP_1)
	v_fma_f32 v72, -v68, v70, v71
	v_fmac_f32_e32 v70, v72, v69
	s_delay_alu instid0(VALU_DEP_1) | instskip(NEXT) | instid1(VALU_DEP_1)
	v_fma_f32 v68, -v68, v70, v71
	v_div_fmas_f32 v68, v68, v69, v70
	s_delay_alu instid0(VALU_DEP_1) | instskip(NEXT) | instid1(VALU_DEP_1)
	v_div_fixup_f32 v68, v68, v67, v66
	v_fmac_f32_e32 v67, v66, v68
	s_delay_alu instid0(VALU_DEP_1) | instskip(SKIP_1) | instid1(VALU_DEP_2)
	v_div_scale_f32 v66, null, v67, v67, 1.0
	v_div_scale_f32 v71, vcc_lo, 1.0, v67, 1.0
	v_rcp_f32_e32 v69, v66
	v_nop
	s_delay_alu instid0(TRANS32_DEP_1) | instskip(NEXT) | instid1(VALU_DEP_1)
	v_fma_f32 v70, -v66, v69, 1.0
	v_fmac_f32_e32 v69, v70, v69
	s_delay_alu instid0(VALU_DEP_1) | instskip(NEXT) | instid1(VALU_DEP_1)
	v_mul_f32_e32 v70, v71, v69
	v_fma_f32 v72, -v66, v70, v71
	s_delay_alu instid0(VALU_DEP_1) | instskip(NEXT) | instid1(VALU_DEP_1)
	v_fmac_f32_e32 v70, v72, v69
	v_fma_f32 v66, -v66, v70, v71
	s_delay_alu instid0(VALU_DEP_1) | instskip(NEXT) | instid1(VALU_DEP_1)
	v_div_fmas_f32 v66, v66, v69, v70
	v_div_fixup_f32 v66, v66, v67, 1.0
	s_delay_alu instid0(VALU_DEP_1)
	v_mul_f32_e32 v68, v68, v66
	v_xor_b32_e32 v69, 0x80000000, v66
                                        ; implicit-def: $vgpr66_vgpr67
.LBB31_5:
	s_and_not1_saveexec_b32 s2, s2
	s_cbranch_execz .LBB31_7
; %bb.6:
	v_div_scale_f32 v68, null, v66, v66, v67
	v_div_scale_f32 v71, vcc_lo, v67, v66, v67
	s_delay_alu instid0(VALU_DEP_2) | instskip(SKIP_1) | instid1(TRANS32_DEP_1)
	v_rcp_f32_e32 v69, v68
	v_nop
	v_fma_f32 v70, -v68, v69, 1.0
	s_delay_alu instid0(VALU_DEP_1) | instskip(NEXT) | instid1(VALU_DEP_1)
	v_fmac_f32_e32 v69, v70, v69
	v_mul_f32_e32 v70, v71, v69
	s_delay_alu instid0(VALU_DEP_1) | instskip(NEXT) | instid1(VALU_DEP_1)
	v_fma_f32 v72, -v68, v70, v71
	v_fmac_f32_e32 v70, v72, v69
	s_delay_alu instid0(VALU_DEP_1) | instskip(NEXT) | instid1(VALU_DEP_1)
	v_fma_f32 v68, -v68, v70, v71
	v_div_fmas_f32 v68, v68, v69, v70
	s_delay_alu instid0(VALU_DEP_1) | instskip(NEXT) | instid1(VALU_DEP_1)
	v_div_fixup_f32 v69, v68, v66, v67
	v_fmac_f32_e32 v66, v67, v69
	s_delay_alu instid0(VALU_DEP_1) | instskip(NEXT) | instid1(VALU_DEP_1)
	v_div_scale_f32 v67, null, v66, v66, 1.0
	v_rcp_f32_e32 v68, v67
	v_nop
	s_delay_alu instid0(TRANS32_DEP_1) | instskip(NEXT) | instid1(VALU_DEP_1)
	v_fma_f32 v70, -v67, v68, 1.0
	v_fmac_f32_e32 v68, v70, v68
	v_div_scale_f32 v70, vcc_lo, 1.0, v66, 1.0
	s_delay_alu instid0(VALU_DEP_1) | instskip(NEXT) | instid1(VALU_DEP_1)
	v_mul_f32_e32 v71, v70, v68
	v_fma_f32 v72, -v67, v71, v70
	s_delay_alu instid0(VALU_DEP_1) | instskip(NEXT) | instid1(VALU_DEP_1)
	v_fmac_f32_e32 v71, v72, v68
	v_fma_f32 v67, -v67, v71, v70
	s_delay_alu instid0(VALU_DEP_1) | instskip(NEXT) | instid1(VALU_DEP_1)
	v_div_fmas_f32 v67, v67, v68, v71
	v_div_fixup_f32 v68, v67, v66, 1.0
	s_delay_alu instid0(VALU_DEP_1)
	v_mul_f32_e64 v69, v69, -v68
.LBB31_7:
	s_or_b32 exec_lo, exec_lo, s2
	ds_store_b64 v99, v[68:69]
.LBB31_8:
	s_or_b32 exec_lo, exec_lo, s4
	s_wait_loadcnt_dscnt 0x0
	s_barrier_signal -1
	s_barrier_wait -1
	ds_load_b64 v[66:67], v99
	s_and_saveexec_b32 s2, s1
	s_cbranch_execz .LBB31_10
; %bb.9:
	ds_load_2addr_b64 v[72:75], v100 offset0:1 offset1:2
	s_wait_dscnt 0x1
	v_pk_mul_f32 v[70:71], v[66:67], v[46:47] op_sel:[1,1] op_sel_hi:[0,1]
	s_delay_alu instid0(VALU_DEP_1) | instskip(SKIP_1) | instid1(VALU_DEP_1)
	v_pk_fma_f32 v[68:69], v[66:67], v[46:47], v[70:71] op_sel_hi:[1,0,1] neg_lo:[0,0,1] neg_hi:[0,0,1]
	v_pk_fma_f32 v[70:71], v[66:67], v[46:47], v[70:71] op_sel_hi:[1,0,1]
	v_dual_mov_b32 v46, v68 :: v_dual_mov_b32 v47, v71
	s_wait_dscnt 0x0
	s_delay_alu instid0(VALU_DEP_2) | instskip(NEXT) | instid1(VALU_DEP_1)
	v_pk_mul_f32 v[76:77], v[72:73], v[70:71] op_sel:[0,1]
	v_pk_fma_f32 v[78:79], v[72:73], v[68:69], v[76:77] op_sel:[0,0,1] op_sel_hi:[1,1,0] neg_lo:[0,0,1] neg_hi:[0,0,1]
	v_pk_fma_f32 v[72:73], v[72:73], v[68:69], v[76:77] op_sel:[0,0,1] op_sel_hi:[1,0,0]
	s_delay_alu instid0(VALU_DEP_1) | instskip(SKIP_1) | instid1(VALU_DEP_1)
	v_mov_b32_e32 v79, v73
	v_pk_mul_f32 v[72:73], v[74:75], v[70:71] op_sel:[0,1]
	v_pk_fma_f32 v[76:77], v[74:75], v[68:69], v[72:73] op_sel:[0,0,1] op_sel_hi:[1,1,0] neg_lo:[0,0,1] neg_hi:[0,0,1]
	v_pk_fma_f32 v[72:73], v[74:75], v[68:69], v[72:73] op_sel:[0,0,1] op_sel_hi:[1,0,0]
	s_delay_alu instid0(VALU_DEP_1)
	v_mov_b32_e32 v77, v73
	ds_load_2addr_b64 v[72:75], v100 offset0:3 offset1:4
	v_pk_add_f32 v[52:53], v[52:53], v[78:79] neg_lo:[0,1] neg_hi:[0,1]
	v_pk_add_f32 v[44:45], v[44:45], v[76:77] neg_lo:[0,1] neg_hi:[0,1]
	s_wait_dscnt 0x0
	v_pk_mul_f32 v[76:77], v[72:73], v[70:71] op_sel:[0,1]
	s_delay_alu instid0(VALU_DEP_1) | instskip(SKIP_2) | instid1(VALU_DEP_2)
	v_pk_fma_f32 v[78:79], v[72:73], v[68:69], v[76:77] op_sel:[0,0,1] op_sel_hi:[1,1,0] neg_lo:[0,0,1] neg_hi:[0,0,1]
	v_pk_fma_f32 v[72:73], v[72:73], v[68:69], v[76:77] op_sel:[0,0,1] op_sel_hi:[1,0,0]
	v_dual_mul_f32 v76, v75, v71 :: v_dual_mov_b32 v72, v75
	v_dual_mov_b32 v79, v73 :: v_dual_mov_b32 v73, v74
	s_delay_alu instid0(VALU_DEP_2) | instskip(SKIP_1) | instid1(VALU_DEP_3)
	v_pk_fma_f32 v[76:77], v[74:75], v[46:47], v[76:77] op_sel_hi:[1,1,0] neg_lo:[0,0,1] neg_hi:[0,0,1]
	v_mul_f32_e32 v74, v75, v68
	v_pk_add_f32 v[42:43], v[42:43], v[78:79] neg_lo:[0,1] neg_hi:[0,1]
	s_delay_alu instid0(VALU_DEP_2) | instskip(NEXT) | instid1(VALU_DEP_1)
	v_pk_fma_f32 v[72:73], v[72:73], v[46:47], v[74:75] op_sel_hi:[1,1,0]
	v_mov_b32_e32 v77, v73
	ds_load_2addr_b64 v[72:75], v100 offset0:5 offset1:6
	v_pk_add_f32 v[28:29], v[28:29], v[76:77] neg_lo:[0,1] neg_hi:[0,1]
	s_wait_dscnt 0x0
	v_pk_mul_f32 v[76:77], v[72:73], v[70:71] op_sel:[0,1]
	s_delay_alu instid0(VALU_DEP_1) | instskip(SKIP_1) | instid1(VALU_DEP_1)
	v_pk_fma_f32 v[78:79], v[72:73], v[68:69], v[76:77] op_sel:[0,0,1] op_sel_hi:[1,1,0] neg_lo:[0,0,1] neg_hi:[0,0,1]
	v_pk_fma_f32 v[72:73], v[72:73], v[68:69], v[76:77] op_sel:[0,0,1] op_sel_hi:[1,0,0]
	v_mov_b32_e32 v79, v73
	v_pk_mul_f32 v[72:73], v[74:75], v[70:71] op_sel:[0,1]
	s_delay_alu instid0(VALU_DEP_1) | instskip(SKIP_1) | instid1(VALU_DEP_1)
	v_pk_fma_f32 v[76:77], v[74:75], v[68:69], v[72:73] op_sel:[0,0,1] op_sel_hi:[1,1,0] neg_lo:[0,0,1] neg_hi:[0,0,1]
	v_pk_fma_f32 v[72:73], v[74:75], v[68:69], v[72:73] op_sel:[0,0,1] op_sel_hi:[1,0,0]
	v_mov_b32_e32 v77, v73
	ds_load_2addr_b64 v[72:75], v100 offset0:7 offset1:8
	v_pk_add_f32 v[24:25], v[24:25], v[78:79] neg_lo:[0,1] neg_hi:[0,1]
	v_pk_add_f32 v[26:27], v[26:27], v[76:77] neg_lo:[0,1] neg_hi:[0,1]
	s_wait_dscnt 0x0
	v_pk_mul_f32 v[76:77], v[72:73], v[70:71] op_sel:[0,1]
	s_delay_alu instid0(VALU_DEP_1) | instskip(SKIP_1) | instid1(VALU_DEP_1)
	v_pk_fma_f32 v[78:79], v[72:73], v[68:69], v[76:77] op_sel:[0,0,1] op_sel_hi:[1,1,0] neg_lo:[0,0,1] neg_hi:[0,0,1]
	v_pk_fma_f32 v[72:73], v[72:73], v[68:69], v[76:77] op_sel:[0,0,1] op_sel_hi:[1,0,0]
	v_mov_b32_e32 v79, v73
	v_pk_mul_f32 v[72:73], v[74:75], v[70:71] op_sel:[0,1]
	s_delay_alu instid0(VALU_DEP_1) | instskip(SKIP_1) | instid1(VALU_DEP_1)
	v_pk_fma_f32 v[76:77], v[74:75], v[68:69], v[72:73] op_sel:[0,0,1] op_sel_hi:[1,1,0] neg_lo:[0,0,1] neg_hi:[0,0,1]
	v_pk_fma_f32 v[72:73], v[74:75], v[68:69], v[72:73] op_sel:[0,0,1] op_sel_hi:[1,0,0]
	v_mov_b32_e32 v77, v73
	ds_load_2addr_b64 v[72:75], v100 offset0:9 offset1:10
	v_pk_add_f32 v[22:23], v[22:23], v[78:79] neg_lo:[0,1] neg_hi:[0,1]
	v_pk_add_f32 v[56:57], v[56:57], v[76:77] neg_lo:[0,1] neg_hi:[0,1]
	s_wait_dscnt 0x0
	v_dual_mul_f32 v76, v73, v71 :: v_dual_mul_f32 v78, v73, v68
	s_delay_alu instid0(VALU_DEP_1) | instskip(NEXT) | instid1(VALU_DEP_2)
	v_pk_fma_f32 v[76:77], v[72:73], v[46:47], v[76:77] op_sel_hi:[1,1,0] neg_lo:[0,0,1] neg_hi:[0,0,1]
	v_pk_fma_f32 v[72:73], v[72:73], v[46:47], v[78:79] op_sel:[1,0,0] op_sel_hi:[0,1,0]
	s_delay_alu instid0(VALU_DEP_1) | instskip(SKIP_1) | instid1(VALU_DEP_2)
	v_mov_b32_e32 v77, v73
	v_pk_mul_f32 v[72:73], v[74:75], v[70:71] op_sel:[0,1]
	v_pk_add_f32 v[50:51], v[50:51], v[76:77] neg_lo:[0,1] neg_hi:[0,1]
	s_delay_alu instid0(VALU_DEP_2) | instskip(SKIP_1) | instid1(VALU_DEP_1)
	v_pk_fma_f32 v[76:77], v[74:75], v[68:69], v[72:73] op_sel:[0,0,1] op_sel_hi:[1,1,0] neg_lo:[0,0,1] neg_hi:[0,0,1]
	v_pk_fma_f32 v[72:73], v[74:75], v[68:69], v[72:73] op_sel:[0,0,1] op_sel_hi:[1,0,0]
	v_mov_b32_e32 v77, v73
	ds_load_2addr_b64 v[72:75], v100 offset0:11 offset1:12
	v_pk_add_f32 v[54:55], v[54:55], v[76:77] neg_lo:[0,1] neg_hi:[0,1]
	s_wait_dscnt 0x0
	v_pk_mul_f32 v[76:77], v[72:73], v[70:71] op_sel:[0,1]
	s_delay_alu instid0(VALU_DEP_1) | instskip(SKIP_1) | instid1(VALU_DEP_1)
	v_pk_fma_f32 v[78:79], v[72:73], v[68:69], v[76:77] op_sel:[0,0,1] op_sel_hi:[1,1,0] neg_lo:[0,0,1] neg_hi:[0,0,1]
	v_pk_fma_f32 v[72:73], v[72:73], v[68:69], v[76:77] op_sel:[0,0,1] op_sel_hi:[1,0,0]
	v_mov_b32_e32 v79, v73
	v_pk_mul_f32 v[72:73], v[74:75], v[70:71] op_sel:[0,1]
	s_delay_alu instid0(VALU_DEP_2) | instskip(NEXT) | instid1(VALU_DEP_2)
	v_pk_add_f32 v[48:49], v[48:49], v[78:79] neg_lo:[0,1] neg_hi:[0,1]
	v_pk_fma_f32 v[76:77], v[74:75], v[68:69], v[72:73] op_sel:[0,0,1] op_sel_hi:[1,1,0] neg_lo:[0,0,1] neg_hi:[0,0,1]
	v_pk_fma_f32 v[72:73], v[74:75], v[68:69], v[72:73] op_sel:[0,0,1] op_sel_hi:[1,0,0]
	s_delay_alu instid0(VALU_DEP_1) | instskip(SKIP_4) | instid1(VALU_DEP_1)
	v_mov_b32_e32 v77, v73
	ds_load_2addr_b64 v[72:75], v100 offset0:13 offset1:14
	v_pk_add_f32 v[64:65], v[64:65], v[76:77] neg_lo:[0,1] neg_hi:[0,1]
	s_wait_dscnt 0x0
	v_pk_mul_f32 v[76:77], v[72:73], v[70:71] op_sel:[0,1]
	v_pk_fma_f32 v[78:79], v[72:73], v[68:69], v[76:77] op_sel:[0,0,1] op_sel_hi:[1,1,0] neg_lo:[0,0,1] neg_hi:[0,0,1]
	v_pk_fma_f32 v[72:73], v[72:73], v[68:69], v[76:77] op_sel:[0,0,1] op_sel_hi:[1,0,0]
	v_dual_mul_f32 v76, v75, v71 :: v_dual_mov_b32 v72, v75
	s_delay_alu instid0(VALU_DEP_2) | instskip(NEXT) | instid1(VALU_DEP_2)
	v_dual_mov_b32 v79, v73 :: v_dual_mov_b32 v73, v74
	v_pk_fma_f32 v[76:77], v[74:75], v[46:47], v[76:77] op_sel_hi:[1,1,0] neg_lo:[0,0,1] neg_hi:[0,0,1]
	v_mul_f32_e32 v74, v75, v68
	s_delay_alu instid0(VALU_DEP_3) | instskip(NEXT) | instid1(VALU_DEP_2)
	v_pk_add_f32 v[60:61], v[60:61], v[78:79] neg_lo:[0,1] neg_hi:[0,1]
	v_pk_fma_f32 v[72:73], v[72:73], v[46:47], v[74:75] op_sel_hi:[1,1,0]
	s_delay_alu instid0(VALU_DEP_1) | instskip(SKIP_4) | instid1(VALU_DEP_1)
	v_mov_b32_e32 v77, v73
	ds_load_b64 v[72:73], v100 offset:120
	v_pk_add_f32 v[58:59], v[58:59], v[76:77] neg_lo:[0,1] neg_hi:[0,1]
	s_wait_dscnt 0x0
	v_pk_mul_f32 v[70:71], v[72:73], v[70:71] op_sel:[0,1]
	v_pk_fma_f32 v[74:75], v[72:73], v[68:69], v[70:71] op_sel:[0,0,1] op_sel_hi:[1,1,0] neg_lo:[0,0,1] neg_hi:[0,0,1]
	v_pk_fma_f32 v[68:69], v[72:73], v[68:69], v[70:71] op_sel:[0,0,1] op_sel_hi:[1,0,0]
	s_delay_alu instid0(VALU_DEP_1) | instskip(NEXT) | instid1(VALU_DEP_1)
	v_mov_b32_e32 v75, v69
	v_pk_add_f32 v[62:63], v[62:63], v[74:75] neg_lo:[0,1] neg_hi:[0,1]
.LBB31_10:
	s_or_b32 exec_lo, exec_lo, s2
	s_delay_alu instid0(SALU_CYCLE_1)
	s_mov_b32 s2, exec_lo
	s_wait_dscnt 0x0
	s_barrier_signal -1
	s_barrier_wait -1
	v_cmpx_eq_u32_e32 1, v98
	s_cbranch_execz .LBB31_17
; %bb.11:
	v_dual_mov_b32 v68, v44 :: v_dual_mov_b32 v69, v45
	v_dual_mov_b32 v70, v42 :: v_dual_mov_b32 v71, v43
	v_dual_mov_b32 v72, v28 :: v_dual_mov_b32 v73, v29
	v_dual_mov_b32 v74, v24 :: v_dual_mov_b32 v75, v25
	ds_store_b64 v99, v[52:53]
	ds_store_2addr_b64 v100, v[68:69], v[70:71] offset0:2 offset1:3
	ds_store_2addr_b64 v100, v[72:73], v[74:75] offset0:4 offset1:5
	v_dual_mov_b32 v68, v26 :: v_dual_mov_b32 v69, v27
	v_dual_mov_b32 v70, v22 :: v_dual_mov_b32 v71, v23
	;; [unrolled: 1-line block ×9, first 2 shown]
	ds_store_2addr_b64 v100, v[68:69], v[70:71] offset0:6 offset1:7
	ds_store_2addr_b64 v100, v[72:73], v[74:75] offset0:8 offset1:9
	ds_store_2addr_b64 v100, v[76:77], v[78:79] offset0:10 offset1:11
	ds_store_2addr_b64 v100, v[80:81], v[82:83] offset0:12 offset1:13
	ds_store_2addr_b64 v100, v[84:85], v[62:63] offset0:14 offset1:15
	ds_load_b64 v[68:69], v99
	s_wait_dscnt 0x0
	v_cmp_neq_f32_e32 vcc_lo, 0, v68
	v_cmp_neq_f32_e64 s1, 0, v69
	s_or_b32 s1, vcc_lo, s1
	s_delay_alu instid0(SALU_CYCLE_1)
	s_and_b32 exec_lo, exec_lo, s1
	s_cbranch_execz .LBB31_17
; %bb.12:
	v_cmp_ngt_f32_e64 s1, |v68|, |v69|
                                        ; implicit-def: $vgpr70_vgpr71
	s_and_saveexec_b32 s4, s1
	s_delay_alu instid0(SALU_CYCLE_1)
	s_xor_b32 s1, exec_lo, s4
	s_cbranch_execz .LBB31_14
; %bb.13:
	v_div_scale_f32 v70, null, v69, v69, v68
	v_div_scale_f32 v73, vcc_lo, v68, v69, v68
	s_delay_alu instid0(VALU_DEP_2) | instskip(SKIP_1) | instid1(TRANS32_DEP_1)
	v_rcp_f32_e32 v71, v70
	v_nop
	v_fma_f32 v72, -v70, v71, 1.0
	s_delay_alu instid0(VALU_DEP_1) | instskip(NEXT) | instid1(VALU_DEP_1)
	v_fmac_f32_e32 v71, v72, v71
	v_mul_f32_e32 v72, v73, v71
	s_delay_alu instid0(VALU_DEP_1) | instskip(NEXT) | instid1(VALU_DEP_1)
	v_fma_f32 v74, -v70, v72, v73
	v_fmac_f32_e32 v72, v74, v71
	s_delay_alu instid0(VALU_DEP_1) | instskip(NEXT) | instid1(VALU_DEP_1)
	v_fma_f32 v70, -v70, v72, v73
	v_div_fmas_f32 v70, v70, v71, v72
	s_delay_alu instid0(VALU_DEP_1) | instskip(NEXT) | instid1(VALU_DEP_1)
	v_div_fixup_f32 v70, v70, v69, v68
	v_fmac_f32_e32 v69, v68, v70
	s_delay_alu instid0(VALU_DEP_1) | instskip(SKIP_1) | instid1(VALU_DEP_2)
	v_div_scale_f32 v68, null, v69, v69, 1.0
	v_div_scale_f32 v73, vcc_lo, 1.0, v69, 1.0
	v_rcp_f32_e32 v71, v68
	v_nop
	s_delay_alu instid0(TRANS32_DEP_1) | instskip(NEXT) | instid1(VALU_DEP_1)
	v_fma_f32 v72, -v68, v71, 1.0
	v_fmac_f32_e32 v71, v72, v71
	s_delay_alu instid0(VALU_DEP_1) | instskip(NEXT) | instid1(VALU_DEP_1)
	v_mul_f32_e32 v72, v73, v71
	v_fma_f32 v74, -v68, v72, v73
	s_delay_alu instid0(VALU_DEP_1) | instskip(NEXT) | instid1(VALU_DEP_1)
	v_fmac_f32_e32 v72, v74, v71
	v_fma_f32 v68, -v68, v72, v73
	s_delay_alu instid0(VALU_DEP_1) | instskip(NEXT) | instid1(VALU_DEP_1)
	v_div_fmas_f32 v68, v68, v71, v72
	v_div_fixup_f32 v68, v68, v69, 1.0
	s_delay_alu instid0(VALU_DEP_1)
	v_mul_f32_e32 v70, v70, v68
	v_xor_b32_e32 v71, 0x80000000, v68
                                        ; implicit-def: $vgpr68_vgpr69
.LBB31_14:
	s_and_not1_saveexec_b32 s1, s1
	s_cbranch_execz .LBB31_16
; %bb.15:
	v_div_scale_f32 v70, null, v68, v68, v69
	v_div_scale_f32 v73, vcc_lo, v69, v68, v69
	s_delay_alu instid0(VALU_DEP_2) | instskip(SKIP_1) | instid1(TRANS32_DEP_1)
	v_rcp_f32_e32 v71, v70
	v_nop
	v_fma_f32 v72, -v70, v71, 1.0
	s_delay_alu instid0(VALU_DEP_1) | instskip(NEXT) | instid1(VALU_DEP_1)
	v_fmac_f32_e32 v71, v72, v71
	v_mul_f32_e32 v72, v73, v71
	s_delay_alu instid0(VALU_DEP_1) | instskip(NEXT) | instid1(VALU_DEP_1)
	v_fma_f32 v74, -v70, v72, v73
	v_fmac_f32_e32 v72, v74, v71
	s_delay_alu instid0(VALU_DEP_1) | instskip(NEXT) | instid1(VALU_DEP_1)
	v_fma_f32 v70, -v70, v72, v73
	v_div_fmas_f32 v70, v70, v71, v72
	s_delay_alu instid0(VALU_DEP_1) | instskip(NEXT) | instid1(VALU_DEP_1)
	v_div_fixup_f32 v71, v70, v68, v69
	v_fmac_f32_e32 v68, v69, v71
	s_delay_alu instid0(VALU_DEP_1) | instskip(NEXT) | instid1(VALU_DEP_1)
	v_div_scale_f32 v69, null, v68, v68, 1.0
	v_rcp_f32_e32 v70, v69
	v_nop
	s_delay_alu instid0(TRANS32_DEP_1) | instskip(NEXT) | instid1(VALU_DEP_1)
	v_fma_f32 v72, -v69, v70, 1.0
	v_fmac_f32_e32 v70, v72, v70
	v_div_scale_f32 v72, vcc_lo, 1.0, v68, 1.0
	s_delay_alu instid0(VALU_DEP_1) | instskip(NEXT) | instid1(VALU_DEP_1)
	v_mul_f32_e32 v73, v72, v70
	v_fma_f32 v74, -v69, v73, v72
	s_delay_alu instid0(VALU_DEP_1) | instskip(NEXT) | instid1(VALU_DEP_1)
	v_fmac_f32_e32 v73, v74, v70
	v_fma_f32 v69, -v69, v73, v72
	s_delay_alu instid0(VALU_DEP_1) | instskip(NEXT) | instid1(VALU_DEP_1)
	v_div_fmas_f32 v69, v69, v70, v73
	v_div_fixup_f32 v70, v69, v68, 1.0
	s_delay_alu instid0(VALU_DEP_1)
	v_mul_f32_e64 v71, v71, -v70
.LBB31_16:
	s_or_b32 exec_lo, exec_lo, s1
	ds_store_b64 v99, v[70:71]
.LBB31_17:
	s_or_b32 exec_lo, exec_lo, s2
	s_wait_dscnt 0x0
	s_barrier_signal -1
	s_barrier_wait -1
	ds_load_b64 v[68:69], v99
	s_mov_b32 s1, exec_lo
	v_cmpx_lt_u32_e32 1, v98
	s_cbranch_execz .LBB31_19
; %bb.18:
	s_wait_dscnt 0x0
	v_pk_mul_f32 v[70:71], v[68:69], v[52:53] op_sel:[1,1] op_sel_hi:[0,1]
	s_delay_alu instid0(VALU_DEP_1)
	v_pk_fma_f32 v[74:75], v[68:69], v[52:53], v[70:71] op_sel_hi:[1,0,1] neg_lo:[0,0,1] neg_hi:[0,0,1]
	v_pk_fma_f32 v[76:77], v[68:69], v[52:53], v[70:71] op_sel_hi:[1,0,1]
	ds_load_2addr_b64 v[70:73], v100 offset0:2 offset1:3
	v_dual_mov_b32 v52, v74 :: v_dual_mov_b32 v53, v77
	s_wait_dscnt 0x0
	v_pk_mul_f32 v[78:79], v[70:71], v[76:77] op_sel:[0,1]
	s_delay_alu instid0(VALU_DEP_1) | instskip(SKIP_1) | instid1(VALU_DEP_1)
	v_pk_fma_f32 v[80:81], v[70:71], v[74:75], v[78:79] op_sel:[0,0,1] op_sel_hi:[1,1,0] neg_lo:[0,0,1] neg_hi:[0,0,1]
	v_pk_fma_f32 v[70:71], v[70:71], v[74:75], v[78:79] op_sel:[0,0,1] op_sel_hi:[1,0,0]
	v_mov_b32_e32 v81, v71
	v_pk_mul_f32 v[70:71], v[72:73], v[76:77] op_sel:[0,1]
	s_delay_alu instid0(VALU_DEP_1) | instskip(SKIP_1) | instid1(VALU_DEP_1)
	v_pk_fma_f32 v[78:79], v[72:73], v[74:75], v[70:71] op_sel:[0,0,1] op_sel_hi:[1,1,0] neg_lo:[0,0,1] neg_hi:[0,0,1]
	v_pk_fma_f32 v[70:71], v[72:73], v[74:75], v[70:71] op_sel:[0,0,1] op_sel_hi:[1,0,0]
	v_mov_b32_e32 v79, v71
	ds_load_2addr_b64 v[70:73], v100 offset0:4 offset1:5
	v_pk_add_f32 v[44:45], v[44:45], v[80:81] neg_lo:[0,1] neg_hi:[0,1]
	v_pk_add_f32 v[42:43], v[42:43], v[78:79] neg_lo:[0,1] neg_hi:[0,1]
	s_wait_dscnt 0x0
	v_pk_mul_f32 v[78:79], v[70:71], v[76:77] op_sel:[0,1]
	s_delay_alu instid0(VALU_DEP_1) | instskip(SKIP_2) | instid1(VALU_DEP_2)
	v_pk_fma_f32 v[80:81], v[70:71], v[74:75], v[78:79] op_sel:[0,0,1] op_sel_hi:[1,1,0] neg_lo:[0,0,1] neg_hi:[0,0,1]
	v_pk_fma_f32 v[70:71], v[70:71], v[74:75], v[78:79] op_sel:[0,0,1] op_sel_hi:[1,0,0]
	v_dual_mul_f32 v78, v73, v77 :: v_dual_mov_b32 v70, v73
	v_dual_mov_b32 v81, v71 :: v_dual_mov_b32 v71, v72
	s_delay_alu instid0(VALU_DEP_2) | instskip(SKIP_1) | instid1(VALU_DEP_3)
	v_pk_fma_f32 v[78:79], v[72:73], v[52:53], v[78:79] op_sel_hi:[1,1,0] neg_lo:[0,0,1] neg_hi:[0,0,1]
	v_mul_f32_e32 v72, v73, v74
	v_pk_add_f32 v[28:29], v[28:29], v[80:81] neg_lo:[0,1] neg_hi:[0,1]
	s_delay_alu instid0(VALU_DEP_2) | instskip(NEXT) | instid1(VALU_DEP_1)
	v_pk_fma_f32 v[70:71], v[70:71], v[52:53], v[72:73] op_sel_hi:[1,1,0]
	v_mov_b32_e32 v79, v71
	ds_load_2addr_b64 v[70:73], v100 offset0:6 offset1:7
	v_pk_add_f32 v[24:25], v[24:25], v[78:79] neg_lo:[0,1] neg_hi:[0,1]
	s_wait_dscnt 0x0
	v_pk_mul_f32 v[78:79], v[70:71], v[76:77] op_sel:[0,1]
	s_delay_alu instid0(VALU_DEP_1) | instskip(SKIP_1) | instid1(VALU_DEP_1)
	v_pk_fma_f32 v[80:81], v[70:71], v[74:75], v[78:79] op_sel:[0,0,1] op_sel_hi:[1,1,0] neg_lo:[0,0,1] neg_hi:[0,0,1]
	v_pk_fma_f32 v[70:71], v[70:71], v[74:75], v[78:79] op_sel:[0,0,1] op_sel_hi:[1,0,0]
	v_mov_b32_e32 v81, v71
	v_pk_mul_f32 v[70:71], v[72:73], v[76:77] op_sel:[0,1]
	s_delay_alu instid0(VALU_DEP_1) | instskip(SKIP_1) | instid1(VALU_DEP_1)
	v_pk_fma_f32 v[78:79], v[72:73], v[74:75], v[70:71] op_sel:[0,0,1] op_sel_hi:[1,1,0] neg_lo:[0,0,1] neg_hi:[0,0,1]
	v_pk_fma_f32 v[70:71], v[72:73], v[74:75], v[70:71] op_sel:[0,0,1] op_sel_hi:[1,0,0]
	v_mov_b32_e32 v79, v71
	ds_load_2addr_b64 v[70:73], v100 offset0:8 offset1:9
	v_pk_add_f32 v[26:27], v[26:27], v[80:81] neg_lo:[0,1] neg_hi:[0,1]
	v_pk_add_f32 v[22:23], v[22:23], v[78:79] neg_lo:[0,1] neg_hi:[0,1]
	s_wait_dscnt 0x0
	v_pk_mul_f32 v[78:79], v[70:71], v[76:77] op_sel:[0,1]
	s_delay_alu instid0(VALU_DEP_1) | instskip(SKIP_1) | instid1(VALU_DEP_1)
	v_pk_fma_f32 v[80:81], v[70:71], v[74:75], v[78:79] op_sel:[0,0,1] op_sel_hi:[1,1,0] neg_lo:[0,0,1] neg_hi:[0,0,1]
	v_pk_fma_f32 v[70:71], v[70:71], v[74:75], v[78:79] op_sel:[0,0,1] op_sel_hi:[1,0,0]
	v_mov_b32_e32 v81, v71
	v_pk_mul_f32 v[70:71], v[72:73], v[76:77] op_sel:[0,1]
	s_delay_alu instid0(VALU_DEP_1) | instskip(SKIP_1) | instid1(VALU_DEP_1)
	v_pk_fma_f32 v[78:79], v[72:73], v[74:75], v[70:71] op_sel:[0,0,1] op_sel_hi:[1,1,0] neg_lo:[0,0,1] neg_hi:[0,0,1]
	v_pk_fma_f32 v[70:71], v[72:73], v[74:75], v[70:71] op_sel:[0,0,1] op_sel_hi:[1,0,0]
	v_mov_b32_e32 v79, v71
	ds_load_2addr_b64 v[70:73], v100 offset0:10 offset1:11
	v_pk_add_f32 v[56:57], v[56:57], v[80:81] neg_lo:[0,1] neg_hi:[0,1]
	v_pk_add_f32 v[50:51], v[50:51], v[78:79] neg_lo:[0,1] neg_hi:[0,1]
	s_wait_dscnt 0x0
	v_dual_mul_f32 v78, v71, v77 :: v_dual_mul_f32 v80, v71, v74
	s_delay_alu instid0(VALU_DEP_1) | instskip(NEXT) | instid1(VALU_DEP_2)
	v_pk_fma_f32 v[78:79], v[70:71], v[52:53], v[78:79] op_sel_hi:[1,1,0] neg_lo:[0,0,1] neg_hi:[0,0,1]
	v_pk_fma_f32 v[70:71], v[70:71], v[52:53], v[80:81] op_sel:[1,0,0] op_sel_hi:[0,1,0]
	s_delay_alu instid0(VALU_DEP_1) | instskip(SKIP_1) | instid1(VALU_DEP_2)
	v_mov_b32_e32 v79, v71
	v_pk_mul_f32 v[70:71], v[72:73], v[76:77] op_sel:[0,1]
	v_pk_add_f32 v[54:55], v[54:55], v[78:79] neg_lo:[0,1] neg_hi:[0,1]
	s_delay_alu instid0(VALU_DEP_2) | instskip(SKIP_1) | instid1(VALU_DEP_1)
	v_pk_fma_f32 v[78:79], v[72:73], v[74:75], v[70:71] op_sel:[0,0,1] op_sel_hi:[1,1,0] neg_lo:[0,0,1] neg_hi:[0,0,1]
	v_pk_fma_f32 v[70:71], v[72:73], v[74:75], v[70:71] op_sel:[0,0,1] op_sel_hi:[1,0,0]
	v_mov_b32_e32 v79, v71
	ds_load_2addr_b64 v[70:73], v100 offset0:12 offset1:13
	v_pk_add_f32 v[48:49], v[48:49], v[78:79] neg_lo:[0,1] neg_hi:[0,1]
	s_wait_dscnt 0x0
	v_pk_mul_f32 v[78:79], v[70:71], v[76:77] op_sel:[0,1]
	s_delay_alu instid0(VALU_DEP_1) | instskip(SKIP_1) | instid1(VALU_DEP_1)
	v_pk_fma_f32 v[80:81], v[70:71], v[74:75], v[78:79] op_sel:[0,0,1] op_sel_hi:[1,1,0] neg_lo:[0,0,1] neg_hi:[0,0,1]
	v_pk_fma_f32 v[70:71], v[70:71], v[74:75], v[78:79] op_sel:[0,0,1] op_sel_hi:[1,0,0]
	v_mov_b32_e32 v81, v71
	v_pk_mul_f32 v[70:71], v[72:73], v[76:77] op_sel:[0,1]
	s_delay_alu instid0(VALU_DEP_2) | instskip(NEXT) | instid1(VALU_DEP_2)
	v_pk_add_f32 v[64:65], v[64:65], v[80:81] neg_lo:[0,1] neg_hi:[0,1]
	v_pk_fma_f32 v[78:79], v[72:73], v[74:75], v[70:71] op_sel:[0,0,1] op_sel_hi:[1,1,0] neg_lo:[0,0,1] neg_hi:[0,0,1]
	v_pk_fma_f32 v[70:71], v[72:73], v[74:75], v[70:71] op_sel:[0,0,1] op_sel_hi:[1,0,0]
	s_delay_alu instid0(VALU_DEP_1) | instskip(SKIP_4) | instid1(VALU_DEP_1)
	v_mov_b32_e32 v79, v71
	ds_load_2addr_b64 v[70:73], v100 offset0:14 offset1:15
	v_pk_add_f32 v[60:61], v[60:61], v[78:79] neg_lo:[0,1] neg_hi:[0,1]
	s_wait_dscnt 0x0
	v_pk_mul_f32 v[78:79], v[70:71], v[76:77] op_sel:[0,1]
	v_pk_fma_f32 v[80:81], v[70:71], v[74:75], v[78:79] op_sel:[0,0,1] op_sel_hi:[1,1,0] neg_lo:[0,0,1] neg_hi:[0,0,1]
	v_pk_fma_f32 v[70:71], v[70:71], v[74:75], v[78:79] op_sel:[0,0,1] op_sel_hi:[1,0,0]
	s_delay_alu instid0(VALU_DEP_1) | instskip(SKIP_1) | instid1(VALU_DEP_2)
	v_mov_b32_e32 v81, v71
	v_pk_mul_f32 v[70:71], v[72:73], v[76:77] op_sel:[0,1]
	v_pk_add_f32 v[58:59], v[58:59], v[80:81] neg_lo:[0,1] neg_hi:[0,1]
	s_delay_alu instid0(VALU_DEP_2) | instskip(SKIP_1) | instid1(VALU_DEP_1)
	v_pk_fma_f32 v[76:77], v[72:73], v[74:75], v[70:71] op_sel:[0,0,1] op_sel_hi:[1,1,0] neg_lo:[0,0,1] neg_hi:[0,0,1]
	v_pk_fma_f32 v[70:71], v[72:73], v[74:75], v[70:71] op_sel:[0,0,1] op_sel_hi:[1,0,0]
	v_mov_b32_e32 v77, v71
	s_delay_alu instid0(VALU_DEP_1)
	v_pk_add_f32 v[62:63], v[62:63], v[76:77] neg_lo:[0,1] neg_hi:[0,1]
.LBB31_19:
	s_or_b32 exec_lo, exec_lo, s1
	s_delay_alu instid0(SALU_CYCLE_1)
	s_mov_b32 s2, exec_lo
	s_wait_dscnt 0x0
	s_barrier_signal -1
	s_barrier_wait -1
	v_cmpx_eq_u32_e32 2, v98
	s_cbranch_execz .LBB31_26
; %bb.20:
	ds_store_b64 v99, v[44:45]
	ds_store_2addr_b64 v100, v[42:43], v[28:29] offset0:3 offset1:4
	ds_store_2addr_b64 v100, v[24:25], v[26:27] offset0:5 offset1:6
	ds_store_2addr_b64 v100, v[22:23], v[56:57] offset0:7 offset1:8
	ds_store_2addr_b64 v100, v[50:51], v[54:55] offset0:9 offset1:10
	ds_store_2addr_b64 v100, v[48:49], v[64:65] offset0:11 offset1:12
	ds_store_2addr_b64 v100, v[60:61], v[58:59] offset0:13 offset1:14
	ds_store_b64 v100, v[62:63] offset:120
	ds_load_b64 v[70:71], v99
	s_wait_dscnt 0x0
	v_cmp_neq_f32_e32 vcc_lo, 0, v70
	v_cmp_neq_f32_e64 s1, 0, v71
	s_or_b32 s1, vcc_lo, s1
	s_delay_alu instid0(SALU_CYCLE_1)
	s_and_b32 exec_lo, exec_lo, s1
	s_cbranch_execz .LBB31_26
; %bb.21:
	v_cmp_ngt_f32_e64 s1, |v70|, |v71|
                                        ; implicit-def: $vgpr72_vgpr73
	s_and_saveexec_b32 s4, s1
	s_delay_alu instid0(SALU_CYCLE_1)
	s_xor_b32 s1, exec_lo, s4
	s_cbranch_execz .LBB31_23
; %bb.22:
	v_div_scale_f32 v72, null, v71, v71, v70
	v_div_scale_f32 v75, vcc_lo, v70, v71, v70
	s_delay_alu instid0(VALU_DEP_2) | instskip(SKIP_1) | instid1(TRANS32_DEP_1)
	v_rcp_f32_e32 v73, v72
	v_nop
	v_fma_f32 v74, -v72, v73, 1.0
	s_delay_alu instid0(VALU_DEP_1) | instskip(NEXT) | instid1(VALU_DEP_1)
	v_fmac_f32_e32 v73, v74, v73
	v_mul_f32_e32 v74, v75, v73
	s_delay_alu instid0(VALU_DEP_1) | instskip(NEXT) | instid1(VALU_DEP_1)
	v_fma_f32 v76, -v72, v74, v75
	v_fmac_f32_e32 v74, v76, v73
	s_delay_alu instid0(VALU_DEP_1) | instskip(NEXT) | instid1(VALU_DEP_1)
	v_fma_f32 v72, -v72, v74, v75
	v_div_fmas_f32 v72, v72, v73, v74
	s_delay_alu instid0(VALU_DEP_1) | instskip(NEXT) | instid1(VALU_DEP_1)
	v_div_fixup_f32 v72, v72, v71, v70
	v_fmac_f32_e32 v71, v70, v72
	s_delay_alu instid0(VALU_DEP_1) | instskip(SKIP_1) | instid1(VALU_DEP_2)
	v_div_scale_f32 v70, null, v71, v71, 1.0
	v_div_scale_f32 v75, vcc_lo, 1.0, v71, 1.0
	v_rcp_f32_e32 v73, v70
	v_nop
	s_delay_alu instid0(TRANS32_DEP_1) | instskip(NEXT) | instid1(VALU_DEP_1)
	v_fma_f32 v74, -v70, v73, 1.0
	v_fmac_f32_e32 v73, v74, v73
	s_delay_alu instid0(VALU_DEP_1) | instskip(NEXT) | instid1(VALU_DEP_1)
	v_mul_f32_e32 v74, v75, v73
	v_fma_f32 v76, -v70, v74, v75
	s_delay_alu instid0(VALU_DEP_1) | instskip(NEXT) | instid1(VALU_DEP_1)
	v_fmac_f32_e32 v74, v76, v73
	v_fma_f32 v70, -v70, v74, v75
	s_delay_alu instid0(VALU_DEP_1) | instskip(NEXT) | instid1(VALU_DEP_1)
	v_div_fmas_f32 v70, v70, v73, v74
	v_div_fixup_f32 v70, v70, v71, 1.0
	s_delay_alu instid0(VALU_DEP_1)
	v_mul_f32_e32 v72, v72, v70
	v_xor_b32_e32 v73, 0x80000000, v70
                                        ; implicit-def: $vgpr70_vgpr71
.LBB31_23:
	s_and_not1_saveexec_b32 s1, s1
	s_cbranch_execz .LBB31_25
; %bb.24:
	v_div_scale_f32 v72, null, v70, v70, v71
	v_div_scale_f32 v75, vcc_lo, v71, v70, v71
	s_delay_alu instid0(VALU_DEP_2) | instskip(SKIP_1) | instid1(TRANS32_DEP_1)
	v_rcp_f32_e32 v73, v72
	v_nop
	v_fma_f32 v74, -v72, v73, 1.0
	s_delay_alu instid0(VALU_DEP_1) | instskip(NEXT) | instid1(VALU_DEP_1)
	v_fmac_f32_e32 v73, v74, v73
	v_mul_f32_e32 v74, v75, v73
	s_delay_alu instid0(VALU_DEP_1) | instskip(NEXT) | instid1(VALU_DEP_1)
	v_fma_f32 v76, -v72, v74, v75
	v_fmac_f32_e32 v74, v76, v73
	s_delay_alu instid0(VALU_DEP_1) | instskip(NEXT) | instid1(VALU_DEP_1)
	v_fma_f32 v72, -v72, v74, v75
	v_div_fmas_f32 v72, v72, v73, v74
	s_delay_alu instid0(VALU_DEP_1) | instskip(NEXT) | instid1(VALU_DEP_1)
	v_div_fixup_f32 v73, v72, v70, v71
	v_fmac_f32_e32 v70, v71, v73
	s_delay_alu instid0(VALU_DEP_1) | instskip(NEXT) | instid1(VALU_DEP_1)
	v_div_scale_f32 v71, null, v70, v70, 1.0
	v_rcp_f32_e32 v72, v71
	v_nop
	s_delay_alu instid0(TRANS32_DEP_1) | instskip(NEXT) | instid1(VALU_DEP_1)
	v_fma_f32 v74, -v71, v72, 1.0
	v_fmac_f32_e32 v72, v74, v72
	v_div_scale_f32 v74, vcc_lo, 1.0, v70, 1.0
	s_delay_alu instid0(VALU_DEP_1) | instskip(NEXT) | instid1(VALU_DEP_1)
	v_mul_f32_e32 v75, v74, v72
	v_fma_f32 v76, -v71, v75, v74
	s_delay_alu instid0(VALU_DEP_1) | instskip(NEXT) | instid1(VALU_DEP_1)
	v_fmac_f32_e32 v75, v76, v72
	v_fma_f32 v71, -v71, v75, v74
	s_delay_alu instid0(VALU_DEP_1) | instskip(NEXT) | instid1(VALU_DEP_1)
	v_div_fmas_f32 v71, v71, v72, v75
	v_div_fixup_f32 v72, v71, v70, 1.0
	s_delay_alu instid0(VALU_DEP_1)
	v_mul_f32_e64 v73, v73, -v72
.LBB31_25:
	s_or_b32 exec_lo, exec_lo, s1
	ds_store_b64 v99, v[72:73]
.LBB31_26:
	s_or_b32 exec_lo, exec_lo, s2
	s_wait_dscnt 0x0
	s_barrier_signal -1
	s_barrier_wait -1
	ds_load_b64 v[70:71], v99
	s_mov_b32 s1, exec_lo
	v_cmpx_lt_u32_e32 2, v98
	s_cbranch_execz .LBB31_28
; %bb.27:
	s_wait_dscnt 0x0
	v_pk_mul_f32 v[72:73], v[70:71], v[44:45] op_sel:[1,1] op_sel_hi:[0,1]
	s_delay_alu instid0(VALU_DEP_1)
	v_pk_fma_f32 v[76:77], v[70:71], v[44:45], v[72:73] op_sel_hi:[1,0,1] neg_lo:[0,0,1] neg_hi:[0,0,1]
	v_pk_fma_f32 v[78:79], v[70:71], v[44:45], v[72:73] op_sel_hi:[1,0,1]
	ds_load_2addr_b64 v[72:75], v100 offset0:3 offset1:4
	v_dual_mov_b32 v44, v76 :: v_dual_mov_b32 v45, v79
	s_wait_dscnt 0x0
	v_pk_mul_f32 v[80:81], v[72:73], v[78:79] op_sel:[0,1]
	s_delay_alu instid0(VALU_DEP_1) | instskip(SKIP_1) | instid1(VALU_DEP_1)
	v_pk_fma_f32 v[82:83], v[72:73], v[76:77], v[80:81] op_sel:[0,0,1] op_sel_hi:[1,1,0] neg_lo:[0,0,1] neg_hi:[0,0,1]
	v_pk_fma_f32 v[72:73], v[72:73], v[76:77], v[80:81] op_sel:[0,0,1] op_sel_hi:[1,0,0]
	v_mov_b32_e32 v83, v73
	v_pk_mul_f32 v[72:73], v[74:75], v[78:79] op_sel:[0,1]
	s_delay_alu instid0(VALU_DEP_1) | instskip(SKIP_1) | instid1(VALU_DEP_1)
	v_pk_fma_f32 v[80:81], v[74:75], v[76:77], v[72:73] op_sel:[0,0,1] op_sel_hi:[1,1,0] neg_lo:[0,0,1] neg_hi:[0,0,1]
	v_pk_fma_f32 v[72:73], v[74:75], v[76:77], v[72:73] op_sel:[0,0,1] op_sel_hi:[1,0,0]
	v_mov_b32_e32 v81, v73
	ds_load_2addr_b64 v[72:75], v100 offset0:5 offset1:6
	v_pk_add_f32 v[42:43], v[42:43], v[82:83] neg_lo:[0,1] neg_hi:[0,1]
	v_pk_add_f32 v[28:29], v[28:29], v[80:81] neg_lo:[0,1] neg_hi:[0,1]
	s_wait_dscnt 0x0
	v_pk_mul_f32 v[80:81], v[72:73], v[78:79] op_sel:[0,1]
	s_delay_alu instid0(VALU_DEP_1) | instskip(SKIP_2) | instid1(VALU_DEP_2)
	v_pk_fma_f32 v[82:83], v[72:73], v[76:77], v[80:81] op_sel:[0,0,1] op_sel_hi:[1,1,0] neg_lo:[0,0,1] neg_hi:[0,0,1]
	v_pk_fma_f32 v[72:73], v[72:73], v[76:77], v[80:81] op_sel:[0,0,1] op_sel_hi:[1,0,0]
	v_dual_mul_f32 v80, v75, v79 :: v_dual_mov_b32 v72, v75
	v_dual_mov_b32 v83, v73 :: v_dual_mov_b32 v73, v74
	s_delay_alu instid0(VALU_DEP_2) | instskip(SKIP_1) | instid1(VALU_DEP_3)
	v_pk_fma_f32 v[80:81], v[74:75], v[44:45], v[80:81] op_sel_hi:[1,1,0] neg_lo:[0,0,1] neg_hi:[0,0,1]
	v_mul_f32_e32 v74, v75, v76
	v_pk_add_f32 v[24:25], v[24:25], v[82:83] neg_lo:[0,1] neg_hi:[0,1]
	s_delay_alu instid0(VALU_DEP_2) | instskip(NEXT) | instid1(VALU_DEP_1)
	v_pk_fma_f32 v[72:73], v[72:73], v[44:45], v[74:75] op_sel_hi:[1,1,0]
	v_mov_b32_e32 v81, v73
	ds_load_2addr_b64 v[72:75], v100 offset0:7 offset1:8
	v_pk_add_f32 v[26:27], v[26:27], v[80:81] neg_lo:[0,1] neg_hi:[0,1]
	s_wait_dscnt 0x0
	v_pk_mul_f32 v[80:81], v[72:73], v[78:79] op_sel:[0,1]
	s_delay_alu instid0(VALU_DEP_1) | instskip(SKIP_1) | instid1(VALU_DEP_1)
	v_pk_fma_f32 v[82:83], v[72:73], v[76:77], v[80:81] op_sel:[0,0,1] op_sel_hi:[1,1,0] neg_lo:[0,0,1] neg_hi:[0,0,1]
	v_pk_fma_f32 v[72:73], v[72:73], v[76:77], v[80:81] op_sel:[0,0,1] op_sel_hi:[1,0,0]
	v_mov_b32_e32 v83, v73
	v_pk_mul_f32 v[72:73], v[74:75], v[78:79] op_sel:[0,1]
	s_delay_alu instid0(VALU_DEP_1) | instskip(SKIP_1) | instid1(VALU_DEP_1)
	v_pk_fma_f32 v[80:81], v[74:75], v[76:77], v[72:73] op_sel:[0,0,1] op_sel_hi:[1,1,0] neg_lo:[0,0,1] neg_hi:[0,0,1]
	v_pk_fma_f32 v[72:73], v[74:75], v[76:77], v[72:73] op_sel:[0,0,1] op_sel_hi:[1,0,0]
	v_mov_b32_e32 v81, v73
	ds_load_2addr_b64 v[72:75], v100 offset0:9 offset1:10
	v_pk_add_f32 v[22:23], v[22:23], v[82:83] neg_lo:[0,1] neg_hi:[0,1]
	v_pk_add_f32 v[56:57], v[56:57], v[80:81] neg_lo:[0,1] neg_hi:[0,1]
	s_wait_dscnt 0x0
	v_pk_mul_f32 v[80:81], v[72:73], v[78:79] op_sel:[0,1]
	s_delay_alu instid0(VALU_DEP_1) | instskip(SKIP_1) | instid1(VALU_DEP_1)
	v_pk_fma_f32 v[82:83], v[72:73], v[76:77], v[80:81] op_sel:[0,0,1] op_sel_hi:[1,1,0] neg_lo:[0,0,1] neg_hi:[0,0,1]
	v_pk_fma_f32 v[72:73], v[72:73], v[76:77], v[80:81] op_sel:[0,0,1] op_sel_hi:[1,0,0]
	v_mov_b32_e32 v83, v73
	v_pk_mul_f32 v[72:73], v[74:75], v[78:79] op_sel:[0,1]
	s_delay_alu instid0(VALU_DEP_1) | instskip(SKIP_1) | instid1(VALU_DEP_1)
	v_pk_fma_f32 v[80:81], v[74:75], v[76:77], v[72:73] op_sel:[0,0,1] op_sel_hi:[1,1,0] neg_lo:[0,0,1] neg_hi:[0,0,1]
	v_pk_fma_f32 v[72:73], v[74:75], v[76:77], v[72:73] op_sel:[0,0,1] op_sel_hi:[1,0,0]
	v_mov_b32_e32 v81, v73
	ds_load_2addr_b64 v[72:75], v100 offset0:11 offset1:12
	v_pk_add_f32 v[50:51], v[50:51], v[82:83] neg_lo:[0,1] neg_hi:[0,1]
	v_pk_add_f32 v[54:55], v[54:55], v[80:81] neg_lo:[0,1] neg_hi:[0,1]
	s_wait_dscnt 0x0
	v_dual_mul_f32 v80, v73, v79 :: v_dual_mul_f32 v82, v73, v76
	s_delay_alu instid0(VALU_DEP_1) | instskip(NEXT) | instid1(VALU_DEP_2)
	v_pk_fma_f32 v[80:81], v[72:73], v[44:45], v[80:81] op_sel_hi:[1,1,0] neg_lo:[0,0,1] neg_hi:[0,0,1]
	v_pk_fma_f32 v[72:73], v[72:73], v[44:45], v[82:83] op_sel:[1,0,0] op_sel_hi:[0,1,0]
	s_delay_alu instid0(VALU_DEP_1) | instskip(SKIP_1) | instid1(VALU_DEP_2)
	v_mov_b32_e32 v81, v73
	v_pk_mul_f32 v[72:73], v[74:75], v[78:79] op_sel:[0,1]
	v_pk_add_f32 v[48:49], v[48:49], v[80:81] neg_lo:[0,1] neg_hi:[0,1]
	s_delay_alu instid0(VALU_DEP_2) | instskip(SKIP_1) | instid1(VALU_DEP_1)
	v_pk_fma_f32 v[80:81], v[74:75], v[76:77], v[72:73] op_sel:[0,0,1] op_sel_hi:[1,1,0] neg_lo:[0,0,1] neg_hi:[0,0,1]
	v_pk_fma_f32 v[72:73], v[74:75], v[76:77], v[72:73] op_sel:[0,0,1] op_sel_hi:[1,0,0]
	v_mov_b32_e32 v81, v73
	ds_load_2addr_b64 v[72:75], v100 offset0:13 offset1:14
	v_pk_add_f32 v[64:65], v[64:65], v[80:81] neg_lo:[0,1] neg_hi:[0,1]
	s_wait_dscnt 0x0
	v_pk_mul_f32 v[80:81], v[72:73], v[78:79] op_sel:[0,1]
	s_delay_alu instid0(VALU_DEP_1) | instskip(SKIP_1) | instid1(VALU_DEP_1)
	v_pk_fma_f32 v[82:83], v[72:73], v[76:77], v[80:81] op_sel:[0,0,1] op_sel_hi:[1,1,0] neg_lo:[0,0,1] neg_hi:[0,0,1]
	v_pk_fma_f32 v[72:73], v[72:73], v[76:77], v[80:81] op_sel:[0,0,1] op_sel_hi:[1,0,0]
	v_mov_b32_e32 v83, v73
	v_pk_mul_f32 v[72:73], v[74:75], v[78:79] op_sel:[0,1]
	s_delay_alu instid0(VALU_DEP_2) | instskip(NEXT) | instid1(VALU_DEP_2)
	v_pk_add_f32 v[60:61], v[60:61], v[82:83] neg_lo:[0,1] neg_hi:[0,1]
	v_pk_fma_f32 v[80:81], v[74:75], v[76:77], v[72:73] op_sel:[0,0,1] op_sel_hi:[1,1,0] neg_lo:[0,0,1] neg_hi:[0,0,1]
	v_pk_fma_f32 v[72:73], v[74:75], v[76:77], v[72:73] op_sel:[0,0,1] op_sel_hi:[1,0,0]
	s_delay_alu instid0(VALU_DEP_1) | instskip(SKIP_4) | instid1(VALU_DEP_1)
	v_mov_b32_e32 v81, v73
	ds_load_b64 v[72:73], v100 offset:120
	v_pk_add_f32 v[58:59], v[58:59], v[80:81] neg_lo:[0,1] neg_hi:[0,1]
	s_wait_dscnt 0x0
	v_pk_mul_f32 v[74:75], v[72:73], v[78:79] op_sel:[0,1]
	v_pk_fma_f32 v[78:79], v[72:73], v[76:77], v[74:75] op_sel:[0,0,1] op_sel_hi:[1,1,0] neg_lo:[0,0,1] neg_hi:[0,0,1]
	v_pk_fma_f32 v[72:73], v[72:73], v[76:77], v[74:75] op_sel:[0,0,1] op_sel_hi:[1,0,0]
	s_delay_alu instid0(VALU_DEP_1) | instskip(NEXT) | instid1(VALU_DEP_1)
	v_mov_b32_e32 v79, v73
	v_pk_add_f32 v[62:63], v[62:63], v[78:79] neg_lo:[0,1] neg_hi:[0,1]
.LBB31_28:
	s_or_b32 exec_lo, exec_lo, s1
	s_delay_alu instid0(SALU_CYCLE_1)
	s_mov_b32 s2, exec_lo
	s_wait_dscnt 0x0
	s_barrier_signal -1
	s_barrier_wait -1
	v_cmpx_eq_u32_e32 3, v98
	s_cbranch_execz .LBB31_35
; %bb.29:
	v_dual_mov_b32 v72, v28 :: v_dual_mov_b32 v73, v29
	v_dual_mov_b32 v74, v24 :: v_dual_mov_b32 v75, v25
	ds_store_b64 v99, v[42:43]
	ds_store_2addr_b64 v100, v[72:73], v[74:75] offset0:4 offset1:5
	v_dual_mov_b32 v72, v26 :: v_dual_mov_b32 v73, v27
	v_dual_mov_b32 v74, v22 :: v_dual_mov_b32 v75, v23
	ds_store_2addr_b64 v100, v[72:73], v[74:75] offset0:6 offset1:7
	v_dual_mov_b32 v72, v56 :: v_dual_mov_b32 v73, v57
	v_dual_mov_b32 v74, v50 :: v_dual_mov_b32 v75, v51
	;; [unrolled: 3-line block ×4, first 2 shown]
	ds_store_2addr_b64 v100, v[72:73], v[74:75] offset0:12 offset1:13
	v_dual_mov_b32 v72, v58 :: v_dual_mov_b32 v73, v59
	ds_store_2addr_b64 v100, v[72:73], v[62:63] offset0:14 offset1:15
	ds_load_b64 v[72:73], v99
	s_wait_dscnt 0x0
	v_cmp_neq_f32_e32 vcc_lo, 0, v72
	v_cmp_neq_f32_e64 s1, 0, v73
	s_or_b32 s1, vcc_lo, s1
	s_delay_alu instid0(SALU_CYCLE_1)
	s_and_b32 exec_lo, exec_lo, s1
	s_cbranch_execz .LBB31_35
; %bb.30:
	v_cmp_ngt_f32_e64 s1, |v72|, |v73|
                                        ; implicit-def: $vgpr74_vgpr75
	s_and_saveexec_b32 s4, s1
	s_delay_alu instid0(SALU_CYCLE_1)
	s_xor_b32 s1, exec_lo, s4
	s_cbranch_execz .LBB31_32
; %bb.31:
	v_div_scale_f32 v74, null, v73, v73, v72
	v_div_scale_f32 v77, vcc_lo, v72, v73, v72
	s_delay_alu instid0(VALU_DEP_2) | instskip(SKIP_1) | instid1(TRANS32_DEP_1)
	v_rcp_f32_e32 v75, v74
	v_nop
	v_fma_f32 v76, -v74, v75, 1.0
	s_delay_alu instid0(VALU_DEP_1) | instskip(NEXT) | instid1(VALU_DEP_1)
	v_fmac_f32_e32 v75, v76, v75
	v_mul_f32_e32 v76, v77, v75
	s_delay_alu instid0(VALU_DEP_1) | instskip(NEXT) | instid1(VALU_DEP_1)
	v_fma_f32 v78, -v74, v76, v77
	v_fmac_f32_e32 v76, v78, v75
	s_delay_alu instid0(VALU_DEP_1) | instskip(NEXT) | instid1(VALU_DEP_1)
	v_fma_f32 v74, -v74, v76, v77
	v_div_fmas_f32 v74, v74, v75, v76
	s_delay_alu instid0(VALU_DEP_1) | instskip(NEXT) | instid1(VALU_DEP_1)
	v_div_fixup_f32 v74, v74, v73, v72
	v_fmac_f32_e32 v73, v72, v74
	s_delay_alu instid0(VALU_DEP_1) | instskip(SKIP_1) | instid1(VALU_DEP_2)
	v_div_scale_f32 v72, null, v73, v73, 1.0
	v_div_scale_f32 v77, vcc_lo, 1.0, v73, 1.0
	v_rcp_f32_e32 v75, v72
	v_nop
	s_delay_alu instid0(TRANS32_DEP_1) | instskip(NEXT) | instid1(VALU_DEP_1)
	v_fma_f32 v76, -v72, v75, 1.0
	v_fmac_f32_e32 v75, v76, v75
	s_delay_alu instid0(VALU_DEP_1) | instskip(NEXT) | instid1(VALU_DEP_1)
	v_mul_f32_e32 v76, v77, v75
	v_fma_f32 v78, -v72, v76, v77
	s_delay_alu instid0(VALU_DEP_1) | instskip(NEXT) | instid1(VALU_DEP_1)
	v_fmac_f32_e32 v76, v78, v75
	v_fma_f32 v72, -v72, v76, v77
	s_delay_alu instid0(VALU_DEP_1) | instskip(NEXT) | instid1(VALU_DEP_1)
	v_div_fmas_f32 v72, v72, v75, v76
	v_div_fixup_f32 v72, v72, v73, 1.0
	s_delay_alu instid0(VALU_DEP_1)
	v_mul_f32_e32 v74, v74, v72
	v_xor_b32_e32 v75, 0x80000000, v72
                                        ; implicit-def: $vgpr72_vgpr73
.LBB31_32:
	s_and_not1_saveexec_b32 s1, s1
	s_cbranch_execz .LBB31_34
; %bb.33:
	v_div_scale_f32 v74, null, v72, v72, v73
	v_div_scale_f32 v77, vcc_lo, v73, v72, v73
	s_delay_alu instid0(VALU_DEP_2) | instskip(SKIP_1) | instid1(TRANS32_DEP_1)
	v_rcp_f32_e32 v75, v74
	v_nop
	v_fma_f32 v76, -v74, v75, 1.0
	s_delay_alu instid0(VALU_DEP_1) | instskip(NEXT) | instid1(VALU_DEP_1)
	v_fmac_f32_e32 v75, v76, v75
	v_mul_f32_e32 v76, v77, v75
	s_delay_alu instid0(VALU_DEP_1) | instskip(NEXT) | instid1(VALU_DEP_1)
	v_fma_f32 v78, -v74, v76, v77
	v_fmac_f32_e32 v76, v78, v75
	s_delay_alu instid0(VALU_DEP_1) | instskip(NEXT) | instid1(VALU_DEP_1)
	v_fma_f32 v74, -v74, v76, v77
	v_div_fmas_f32 v74, v74, v75, v76
	s_delay_alu instid0(VALU_DEP_1) | instskip(NEXT) | instid1(VALU_DEP_1)
	v_div_fixup_f32 v75, v74, v72, v73
	v_fmac_f32_e32 v72, v73, v75
	s_delay_alu instid0(VALU_DEP_1) | instskip(NEXT) | instid1(VALU_DEP_1)
	v_div_scale_f32 v73, null, v72, v72, 1.0
	v_rcp_f32_e32 v74, v73
	v_nop
	s_delay_alu instid0(TRANS32_DEP_1) | instskip(NEXT) | instid1(VALU_DEP_1)
	v_fma_f32 v76, -v73, v74, 1.0
	v_fmac_f32_e32 v74, v76, v74
	v_div_scale_f32 v76, vcc_lo, 1.0, v72, 1.0
	s_delay_alu instid0(VALU_DEP_1) | instskip(NEXT) | instid1(VALU_DEP_1)
	v_mul_f32_e32 v77, v76, v74
	v_fma_f32 v78, -v73, v77, v76
	s_delay_alu instid0(VALU_DEP_1) | instskip(NEXT) | instid1(VALU_DEP_1)
	v_fmac_f32_e32 v77, v78, v74
	v_fma_f32 v73, -v73, v77, v76
	s_delay_alu instid0(VALU_DEP_1) | instskip(NEXT) | instid1(VALU_DEP_1)
	v_div_fmas_f32 v73, v73, v74, v77
	v_div_fixup_f32 v74, v73, v72, 1.0
	s_delay_alu instid0(VALU_DEP_1)
	v_mul_f32_e64 v75, v75, -v74
.LBB31_34:
	s_or_b32 exec_lo, exec_lo, s1
	ds_store_b64 v99, v[74:75]
.LBB31_35:
	s_or_b32 exec_lo, exec_lo, s2
	s_wait_dscnt 0x0
	s_barrier_signal -1
	s_barrier_wait -1
	ds_load_b64 v[72:73], v99
	s_mov_b32 s1, exec_lo
	v_cmpx_lt_u32_e32 3, v98
	s_cbranch_execz .LBB31_37
; %bb.36:
	s_wait_dscnt 0x0
	v_pk_mul_f32 v[74:75], v[72:73], v[42:43] op_sel:[1,1] op_sel_hi:[0,1]
	s_delay_alu instid0(VALU_DEP_1)
	v_pk_fma_f32 v[78:79], v[72:73], v[42:43], v[74:75] op_sel_hi:[1,0,1] neg_lo:[0,0,1] neg_hi:[0,0,1]
	v_pk_fma_f32 v[80:81], v[72:73], v[42:43], v[74:75] op_sel_hi:[1,0,1]
	ds_load_2addr_b64 v[74:77], v100 offset0:4 offset1:5
	v_dual_mov_b32 v42, v78 :: v_dual_mov_b32 v43, v81
	s_wait_dscnt 0x0
	v_pk_mul_f32 v[82:83], v[74:75], v[80:81] op_sel:[0,1]
	s_delay_alu instid0(VALU_DEP_1) | instskip(SKIP_1) | instid1(VALU_DEP_1)
	v_pk_fma_f32 v[84:85], v[74:75], v[78:79], v[82:83] op_sel:[0,0,1] op_sel_hi:[1,1,0] neg_lo:[0,0,1] neg_hi:[0,0,1]
	v_pk_fma_f32 v[74:75], v[74:75], v[78:79], v[82:83] op_sel:[0,0,1] op_sel_hi:[1,0,0]
	v_mov_b32_e32 v85, v75
	v_pk_mul_f32 v[74:75], v[76:77], v[80:81] op_sel:[0,1]
	s_delay_alu instid0(VALU_DEP_1) | instskip(SKIP_1) | instid1(VALU_DEP_1)
	v_pk_fma_f32 v[82:83], v[76:77], v[78:79], v[74:75] op_sel:[0,0,1] op_sel_hi:[1,1,0] neg_lo:[0,0,1] neg_hi:[0,0,1]
	v_pk_fma_f32 v[74:75], v[76:77], v[78:79], v[74:75] op_sel:[0,0,1] op_sel_hi:[1,0,0]
	v_mov_b32_e32 v83, v75
	ds_load_2addr_b64 v[74:77], v100 offset0:6 offset1:7
	v_pk_add_f32 v[28:29], v[28:29], v[84:85] neg_lo:[0,1] neg_hi:[0,1]
	v_pk_add_f32 v[24:25], v[24:25], v[82:83] neg_lo:[0,1] neg_hi:[0,1]
	s_wait_dscnt 0x0
	v_pk_mul_f32 v[82:83], v[74:75], v[80:81] op_sel:[0,1]
	s_delay_alu instid0(VALU_DEP_1) | instskip(SKIP_2) | instid1(VALU_DEP_2)
	v_pk_fma_f32 v[84:85], v[74:75], v[78:79], v[82:83] op_sel:[0,0,1] op_sel_hi:[1,1,0] neg_lo:[0,0,1] neg_hi:[0,0,1]
	v_pk_fma_f32 v[74:75], v[74:75], v[78:79], v[82:83] op_sel:[0,0,1] op_sel_hi:[1,0,0]
	v_dual_mul_f32 v82, v77, v81 :: v_dual_mov_b32 v74, v77
	v_dual_mov_b32 v85, v75 :: v_dual_mov_b32 v75, v76
	s_delay_alu instid0(VALU_DEP_2) | instskip(SKIP_1) | instid1(VALU_DEP_3)
	v_pk_fma_f32 v[82:83], v[76:77], v[42:43], v[82:83] op_sel_hi:[1,1,0] neg_lo:[0,0,1] neg_hi:[0,0,1]
	v_mul_f32_e32 v76, v77, v78
	v_pk_add_f32 v[26:27], v[26:27], v[84:85] neg_lo:[0,1] neg_hi:[0,1]
	s_delay_alu instid0(VALU_DEP_2) | instskip(NEXT) | instid1(VALU_DEP_1)
	v_pk_fma_f32 v[74:75], v[74:75], v[42:43], v[76:77] op_sel_hi:[1,1,0]
	v_mov_b32_e32 v83, v75
	ds_load_2addr_b64 v[74:77], v100 offset0:8 offset1:9
	v_pk_add_f32 v[22:23], v[22:23], v[82:83] neg_lo:[0,1] neg_hi:[0,1]
	s_wait_dscnt 0x0
	v_pk_mul_f32 v[82:83], v[74:75], v[80:81] op_sel:[0,1]
	s_delay_alu instid0(VALU_DEP_1) | instskip(SKIP_1) | instid1(VALU_DEP_1)
	v_pk_fma_f32 v[84:85], v[74:75], v[78:79], v[82:83] op_sel:[0,0,1] op_sel_hi:[1,1,0] neg_lo:[0,0,1] neg_hi:[0,0,1]
	v_pk_fma_f32 v[74:75], v[74:75], v[78:79], v[82:83] op_sel:[0,0,1] op_sel_hi:[1,0,0]
	v_mov_b32_e32 v85, v75
	v_pk_mul_f32 v[74:75], v[76:77], v[80:81] op_sel:[0,1]
	s_delay_alu instid0(VALU_DEP_1) | instskip(SKIP_1) | instid1(VALU_DEP_1)
	v_pk_fma_f32 v[82:83], v[76:77], v[78:79], v[74:75] op_sel:[0,0,1] op_sel_hi:[1,1,0] neg_lo:[0,0,1] neg_hi:[0,0,1]
	v_pk_fma_f32 v[74:75], v[76:77], v[78:79], v[74:75] op_sel:[0,0,1] op_sel_hi:[1,0,0]
	v_mov_b32_e32 v83, v75
	ds_load_2addr_b64 v[74:77], v100 offset0:10 offset1:11
	v_pk_add_f32 v[56:57], v[56:57], v[84:85] neg_lo:[0,1] neg_hi:[0,1]
	v_pk_add_f32 v[50:51], v[50:51], v[82:83] neg_lo:[0,1] neg_hi:[0,1]
	s_wait_dscnt 0x0
	v_pk_mul_f32 v[82:83], v[74:75], v[80:81] op_sel:[0,1]
	s_delay_alu instid0(VALU_DEP_1) | instskip(SKIP_1) | instid1(VALU_DEP_1)
	v_pk_fma_f32 v[84:85], v[74:75], v[78:79], v[82:83] op_sel:[0,0,1] op_sel_hi:[1,1,0] neg_lo:[0,0,1] neg_hi:[0,0,1]
	v_pk_fma_f32 v[74:75], v[74:75], v[78:79], v[82:83] op_sel:[0,0,1] op_sel_hi:[1,0,0]
	v_mov_b32_e32 v85, v75
	v_pk_mul_f32 v[74:75], v[76:77], v[80:81] op_sel:[0,1]
	s_delay_alu instid0(VALU_DEP_1) | instskip(SKIP_1) | instid1(VALU_DEP_1)
	v_pk_fma_f32 v[82:83], v[76:77], v[78:79], v[74:75] op_sel:[0,0,1] op_sel_hi:[1,1,0] neg_lo:[0,0,1] neg_hi:[0,0,1]
	v_pk_fma_f32 v[74:75], v[76:77], v[78:79], v[74:75] op_sel:[0,0,1] op_sel_hi:[1,0,0]
	v_mov_b32_e32 v83, v75
	ds_load_2addr_b64 v[74:77], v100 offset0:12 offset1:13
	v_pk_add_f32 v[54:55], v[54:55], v[84:85] neg_lo:[0,1] neg_hi:[0,1]
	v_pk_add_f32 v[48:49], v[48:49], v[82:83] neg_lo:[0,1] neg_hi:[0,1]
	s_wait_dscnt 0x0
	v_dual_mul_f32 v82, v75, v81 :: v_dual_mul_f32 v84, v75, v78
	s_delay_alu instid0(VALU_DEP_1) | instskip(NEXT) | instid1(VALU_DEP_2)
	v_pk_fma_f32 v[82:83], v[74:75], v[42:43], v[82:83] op_sel_hi:[1,1,0] neg_lo:[0,0,1] neg_hi:[0,0,1]
	v_pk_fma_f32 v[74:75], v[74:75], v[42:43], v[84:85] op_sel:[1,0,0] op_sel_hi:[0,1,0]
	s_delay_alu instid0(VALU_DEP_1) | instskip(SKIP_1) | instid1(VALU_DEP_2)
	v_mov_b32_e32 v83, v75
	v_pk_mul_f32 v[74:75], v[76:77], v[80:81] op_sel:[0,1]
	v_pk_add_f32 v[64:65], v[64:65], v[82:83] neg_lo:[0,1] neg_hi:[0,1]
	s_delay_alu instid0(VALU_DEP_2) | instskip(SKIP_1) | instid1(VALU_DEP_1)
	v_pk_fma_f32 v[82:83], v[76:77], v[78:79], v[74:75] op_sel:[0,0,1] op_sel_hi:[1,1,0] neg_lo:[0,0,1] neg_hi:[0,0,1]
	v_pk_fma_f32 v[74:75], v[76:77], v[78:79], v[74:75] op_sel:[0,0,1] op_sel_hi:[1,0,0]
	v_mov_b32_e32 v83, v75
	ds_load_2addr_b64 v[74:77], v100 offset0:14 offset1:15
	v_pk_add_f32 v[60:61], v[60:61], v[82:83] neg_lo:[0,1] neg_hi:[0,1]
	s_wait_dscnt 0x0
	v_pk_mul_f32 v[82:83], v[74:75], v[80:81] op_sel:[0,1]
	v_mul_f32_e32 v80, v77, v81
	s_delay_alu instid0(VALU_DEP_2) | instskip(SKIP_2) | instid1(VALU_DEP_4)
	v_pk_fma_f32 v[84:85], v[74:75], v[78:79], v[82:83] op_sel:[0,0,1] op_sel_hi:[1,1,0] neg_lo:[0,0,1] neg_hi:[0,0,1]
	v_pk_fma_f32 v[74:75], v[74:75], v[78:79], v[82:83] op_sel:[0,0,1] op_sel_hi:[1,0,0]
	v_mov_b32_e32 v74, v77
	v_pk_fma_f32 v[80:81], v[76:77], v[42:43], v[80:81] op_sel_hi:[1,1,0] neg_lo:[0,0,1] neg_hi:[0,0,1]
	s_delay_alu instid0(VALU_DEP_3) | instskip(SKIP_1) | instid1(VALU_DEP_2)
	v_dual_mov_b32 v85, v75 :: v_dual_mov_b32 v75, v76
	v_mul_f32_e32 v76, v77, v78
	v_pk_add_f32 v[58:59], v[58:59], v[84:85] neg_lo:[0,1] neg_hi:[0,1]
	s_delay_alu instid0(VALU_DEP_2) | instskip(NEXT) | instid1(VALU_DEP_1)
	v_pk_fma_f32 v[74:75], v[74:75], v[42:43], v[76:77] op_sel_hi:[1,1,0]
	v_mov_b32_e32 v81, v75
	s_delay_alu instid0(VALU_DEP_1)
	v_pk_add_f32 v[62:63], v[62:63], v[80:81] neg_lo:[0,1] neg_hi:[0,1]
.LBB31_37:
	s_or_b32 exec_lo, exec_lo, s1
	s_delay_alu instid0(SALU_CYCLE_1)
	s_mov_b32 s2, exec_lo
	s_wait_dscnt 0x0
	s_barrier_signal -1
	s_barrier_wait -1
	v_cmpx_eq_u32_e32 4, v98
	s_cbranch_execz .LBB31_44
; %bb.38:
	ds_store_b64 v99, v[28:29]
	ds_store_2addr_b64 v100, v[24:25], v[26:27] offset0:5 offset1:6
	ds_store_2addr_b64 v100, v[22:23], v[56:57] offset0:7 offset1:8
	;; [unrolled: 1-line block ×5, first 2 shown]
	ds_store_b64 v100, v[62:63] offset:120
	ds_load_b64 v[74:75], v99
	s_wait_dscnt 0x0
	v_cmp_neq_f32_e32 vcc_lo, 0, v74
	v_cmp_neq_f32_e64 s1, 0, v75
	s_or_b32 s1, vcc_lo, s1
	s_delay_alu instid0(SALU_CYCLE_1)
	s_and_b32 exec_lo, exec_lo, s1
	s_cbranch_execz .LBB31_44
; %bb.39:
	v_cmp_ngt_f32_e64 s1, |v74|, |v75|
                                        ; implicit-def: $vgpr76_vgpr77
	s_and_saveexec_b32 s4, s1
	s_delay_alu instid0(SALU_CYCLE_1)
	s_xor_b32 s1, exec_lo, s4
	s_cbranch_execz .LBB31_41
; %bb.40:
	v_div_scale_f32 v76, null, v75, v75, v74
	v_div_scale_f32 v79, vcc_lo, v74, v75, v74
	s_delay_alu instid0(VALU_DEP_2) | instskip(SKIP_1) | instid1(TRANS32_DEP_1)
	v_rcp_f32_e32 v77, v76
	v_nop
	v_fma_f32 v78, -v76, v77, 1.0
	s_delay_alu instid0(VALU_DEP_1) | instskip(NEXT) | instid1(VALU_DEP_1)
	v_fmac_f32_e32 v77, v78, v77
	v_mul_f32_e32 v78, v79, v77
	s_delay_alu instid0(VALU_DEP_1) | instskip(NEXT) | instid1(VALU_DEP_1)
	v_fma_f32 v80, -v76, v78, v79
	v_fmac_f32_e32 v78, v80, v77
	s_delay_alu instid0(VALU_DEP_1) | instskip(NEXT) | instid1(VALU_DEP_1)
	v_fma_f32 v76, -v76, v78, v79
	v_div_fmas_f32 v76, v76, v77, v78
	s_delay_alu instid0(VALU_DEP_1) | instskip(NEXT) | instid1(VALU_DEP_1)
	v_div_fixup_f32 v76, v76, v75, v74
	v_fmac_f32_e32 v75, v74, v76
	s_delay_alu instid0(VALU_DEP_1) | instskip(SKIP_1) | instid1(VALU_DEP_2)
	v_div_scale_f32 v74, null, v75, v75, 1.0
	v_div_scale_f32 v79, vcc_lo, 1.0, v75, 1.0
	v_rcp_f32_e32 v77, v74
	v_nop
	s_delay_alu instid0(TRANS32_DEP_1) | instskip(NEXT) | instid1(VALU_DEP_1)
	v_fma_f32 v78, -v74, v77, 1.0
	v_fmac_f32_e32 v77, v78, v77
	s_delay_alu instid0(VALU_DEP_1) | instskip(NEXT) | instid1(VALU_DEP_1)
	v_mul_f32_e32 v78, v79, v77
	v_fma_f32 v80, -v74, v78, v79
	s_delay_alu instid0(VALU_DEP_1) | instskip(NEXT) | instid1(VALU_DEP_1)
	v_fmac_f32_e32 v78, v80, v77
	v_fma_f32 v74, -v74, v78, v79
	s_delay_alu instid0(VALU_DEP_1) | instskip(NEXT) | instid1(VALU_DEP_1)
	v_div_fmas_f32 v74, v74, v77, v78
	v_div_fixup_f32 v74, v74, v75, 1.0
	s_delay_alu instid0(VALU_DEP_1)
	v_mul_f32_e32 v76, v76, v74
	v_xor_b32_e32 v77, 0x80000000, v74
                                        ; implicit-def: $vgpr74_vgpr75
.LBB31_41:
	s_and_not1_saveexec_b32 s1, s1
	s_cbranch_execz .LBB31_43
; %bb.42:
	v_div_scale_f32 v76, null, v74, v74, v75
	v_div_scale_f32 v79, vcc_lo, v75, v74, v75
	s_delay_alu instid0(VALU_DEP_2) | instskip(SKIP_1) | instid1(TRANS32_DEP_1)
	v_rcp_f32_e32 v77, v76
	v_nop
	v_fma_f32 v78, -v76, v77, 1.0
	s_delay_alu instid0(VALU_DEP_1) | instskip(NEXT) | instid1(VALU_DEP_1)
	v_fmac_f32_e32 v77, v78, v77
	v_mul_f32_e32 v78, v79, v77
	s_delay_alu instid0(VALU_DEP_1) | instskip(NEXT) | instid1(VALU_DEP_1)
	v_fma_f32 v80, -v76, v78, v79
	v_fmac_f32_e32 v78, v80, v77
	s_delay_alu instid0(VALU_DEP_1) | instskip(NEXT) | instid1(VALU_DEP_1)
	v_fma_f32 v76, -v76, v78, v79
	v_div_fmas_f32 v76, v76, v77, v78
	s_delay_alu instid0(VALU_DEP_1) | instskip(NEXT) | instid1(VALU_DEP_1)
	v_div_fixup_f32 v77, v76, v74, v75
	v_fmac_f32_e32 v74, v75, v77
	s_delay_alu instid0(VALU_DEP_1) | instskip(NEXT) | instid1(VALU_DEP_1)
	v_div_scale_f32 v75, null, v74, v74, 1.0
	v_rcp_f32_e32 v76, v75
	v_nop
	s_delay_alu instid0(TRANS32_DEP_1) | instskip(NEXT) | instid1(VALU_DEP_1)
	v_fma_f32 v78, -v75, v76, 1.0
	v_fmac_f32_e32 v76, v78, v76
	v_div_scale_f32 v78, vcc_lo, 1.0, v74, 1.0
	s_delay_alu instid0(VALU_DEP_1) | instskip(NEXT) | instid1(VALU_DEP_1)
	v_mul_f32_e32 v79, v78, v76
	v_fma_f32 v80, -v75, v79, v78
	s_delay_alu instid0(VALU_DEP_1) | instskip(NEXT) | instid1(VALU_DEP_1)
	v_fmac_f32_e32 v79, v80, v76
	v_fma_f32 v75, -v75, v79, v78
	s_delay_alu instid0(VALU_DEP_1) | instskip(NEXT) | instid1(VALU_DEP_1)
	v_div_fmas_f32 v75, v75, v76, v79
	v_div_fixup_f32 v76, v75, v74, 1.0
	s_delay_alu instid0(VALU_DEP_1)
	v_mul_f32_e64 v77, v77, -v76
.LBB31_43:
	s_or_b32 exec_lo, exec_lo, s1
	ds_store_b64 v99, v[76:77]
.LBB31_44:
	s_or_b32 exec_lo, exec_lo, s2
	s_wait_dscnt 0x0
	s_barrier_signal -1
	s_barrier_wait -1
	ds_load_b64 v[74:75], v99
	s_mov_b32 s1, exec_lo
	v_cmpx_lt_u32_e32 4, v98
	s_cbranch_execz .LBB31_46
; %bb.45:
	s_wait_dscnt 0x0
	v_pk_mul_f32 v[76:77], v[74:75], v[28:29] op_sel:[1,1] op_sel_hi:[0,1]
	s_delay_alu instid0(VALU_DEP_1)
	v_pk_fma_f32 v[80:81], v[74:75], v[28:29], v[76:77] op_sel_hi:[1,0,1] neg_lo:[0,0,1] neg_hi:[0,0,1]
	v_pk_fma_f32 v[82:83], v[74:75], v[28:29], v[76:77] op_sel_hi:[1,0,1]
	ds_load_2addr_b64 v[76:79], v100 offset0:5 offset1:6
	v_dual_mov_b32 v28, v80 :: v_dual_mov_b32 v29, v83
	s_wait_dscnt 0x0
	v_pk_mul_f32 v[84:85], v[76:77], v[82:83] op_sel:[0,1]
	s_delay_alu instid0(VALU_DEP_1) | instskip(SKIP_1) | instid1(VALU_DEP_1)
	v_pk_fma_f32 v[86:87], v[76:77], v[80:81], v[84:85] op_sel:[0,0,1] op_sel_hi:[1,1,0] neg_lo:[0,0,1] neg_hi:[0,0,1]
	v_pk_fma_f32 v[76:77], v[76:77], v[80:81], v[84:85] op_sel:[0,0,1] op_sel_hi:[1,0,0]
	v_mov_b32_e32 v87, v77
	v_pk_mul_f32 v[76:77], v[78:79], v[82:83] op_sel:[0,1]
	s_delay_alu instid0(VALU_DEP_1) | instskip(SKIP_1) | instid1(VALU_DEP_1)
	v_pk_fma_f32 v[84:85], v[78:79], v[80:81], v[76:77] op_sel:[0,0,1] op_sel_hi:[1,1,0] neg_lo:[0,0,1] neg_hi:[0,0,1]
	v_pk_fma_f32 v[76:77], v[78:79], v[80:81], v[76:77] op_sel:[0,0,1] op_sel_hi:[1,0,0]
	v_mov_b32_e32 v85, v77
	ds_load_2addr_b64 v[76:79], v100 offset0:7 offset1:8
	v_pk_add_f32 v[24:25], v[24:25], v[86:87] neg_lo:[0,1] neg_hi:[0,1]
	v_pk_add_f32 v[26:27], v[26:27], v[84:85] neg_lo:[0,1] neg_hi:[0,1]
	s_wait_dscnt 0x0
	v_pk_mul_f32 v[84:85], v[76:77], v[82:83] op_sel:[0,1]
	s_delay_alu instid0(VALU_DEP_1) | instskip(SKIP_2) | instid1(VALU_DEP_2)
	v_pk_fma_f32 v[86:87], v[76:77], v[80:81], v[84:85] op_sel:[0,0,1] op_sel_hi:[1,1,0] neg_lo:[0,0,1] neg_hi:[0,0,1]
	v_pk_fma_f32 v[76:77], v[76:77], v[80:81], v[84:85] op_sel:[0,0,1] op_sel_hi:[1,0,0]
	v_dual_mul_f32 v84, v79, v83 :: v_dual_mov_b32 v76, v79
	v_dual_mov_b32 v87, v77 :: v_dual_mov_b32 v77, v78
	s_delay_alu instid0(VALU_DEP_2) | instskip(SKIP_1) | instid1(VALU_DEP_3)
	v_pk_fma_f32 v[84:85], v[78:79], v[28:29], v[84:85] op_sel_hi:[1,1,0] neg_lo:[0,0,1] neg_hi:[0,0,1]
	v_mul_f32_e32 v78, v79, v80
	v_pk_add_f32 v[22:23], v[22:23], v[86:87] neg_lo:[0,1] neg_hi:[0,1]
	s_delay_alu instid0(VALU_DEP_2) | instskip(NEXT) | instid1(VALU_DEP_1)
	v_pk_fma_f32 v[76:77], v[76:77], v[28:29], v[78:79] op_sel_hi:[1,1,0]
	v_mov_b32_e32 v85, v77
	ds_load_2addr_b64 v[76:79], v100 offset0:9 offset1:10
	v_pk_add_f32 v[56:57], v[56:57], v[84:85] neg_lo:[0,1] neg_hi:[0,1]
	s_wait_dscnt 0x0
	v_pk_mul_f32 v[84:85], v[76:77], v[82:83] op_sel:[0,1]
	s_delay_alu instid0(VALU_DEP_1) | instskip(SKIP_1) | instid1(VALU_DEP_1)
	v_pk_fma_f32 v[86:87], v[76:77], v[80:81], v[84:85] op_sel:[0,0,1] op_sel_hi:[1,1,0] neg_lo:[0,0,1] neg_hi:[0,0,1]
	v_pk_fma_f32 v[76:77], v[76:77], v[80:81], v[84:85] op_sel:[0,0,1] op_sel_hi:[1,0,0]
	v_mov_b32_e32 v87, v77
	v_pk_mul_f32 v[76:77], v[78:79], v[82:83] op_sel:[0,1]
	s_delay_alu instid0(VALU_DEP_1) | instskip(SKIP_1) | instid1(VALU_DEP_1)
	v_pk_fma_f32 v[84:85], v[78:79], v[80:81], v[76:77] op_sel:[0,0,1] op_sel_hi:[1,1,0] neg_lo:[0,0,1] neg_hi:[0,0,1]
	v_pk_fma_f32 v[76:77], v[78:79], v[80:81], v[76:77] op_sel:[0,0,1] op_sel_hi:[1,0,0]
	v_mov_b32_e32 v85, v77
	ds_load_2addr_b64 v[76:79], v100 offset0:11 offset1:12
	v_pk_add_f32 v[50:51], v[50:51], v[86:87] neg_lo:[0,1] neg_hi:[0,1]
	v_pk_add_f32 v[54:55], v[54:55], v[84:85] neg_lo:[0,1] neg_hi:[0,1]
	s_wait_dscnt 0x0
	v_pk_mul_f32 v[84:85], v[76:77], v[82:83] op_sel:[0,1]
	s_delay_alu instid0(VALU_DEP_1) | instskip(SKIP_1) | instid1(VALU_DEP_1)
	v_pk_fma_f32 v[86:87], v[76:77], v[80:81], v[84:85] op_sel:[0,0,1] op_sel_hi:[1,1,0] neg_lo:[0,0,1] neg_hi:[0,0,1]
	v_pk_fma_f32 v[76:77], v[76:77], v[80:81], v[84:85] op_sel:[0,0,1] op_sel_hi:[1,0,0]
	v_mov_b32_e32 v87, v77
	v_pk_mul_f32 v[76:77], v[78:79], v[82:83] op_sel:[0,1]
	s_delay_alu instid0(VALU_DEP_1) | instskip(SKIP_1) | instid1(VALU_DEP_1)
	v_pk_fma_f32 v[84:85], v[78:79], v[80:81], v[76:77] op_sel:[0,0,1] op_sel_hi:[1,1,0] neg_lo:[0,0,1] neg_hi:[0,0,1]
	v_pk_fma_f32 v[76:77], v[78:79], v[80:81], v[76:77] op_sel:[0,0,1] op_sel_hi:[1,0,0]
	v_mov_b32_e32 v85, v77
	ds_load_2addr_b64 v[76:79], v100 offset0:13 offset1:14
	v_pk_add_f32 v[48:49], v[48:49], v[86:87] neg_lo:[0,1] neg_hi:[0,1]
	v_pk_add_f32 v[64:65], v[64:65], v[84:85] neg_lo:[0,1] neg_hi:[0,1]
	s_wait_dscnt 0x0
	v_dual_mul_f32 v84, v77, v83 :: v_dual_mul_f32 v86, v77, v80
	s_delay_alu instid0(VALU_DEP_1) | instskip(NEXT) | instid1(VALU_DEP_2)
	v_pk_fma_f32 v[84:85], v[76:77], v[28:29], v[84:85] op_sel_hi:[1,1,0] neg_lo:[0,0,1] neg_hi:[0,0,1]
	v_pk_fma_f32 v[76:77], v[76:77], v[28:29], v[86:87] op_sel:[1,0,0] op_sel_hi:[0,1,0]
	s_delay_alu instid0(VALU_DEP_1) | instskip(SKIP_1) | instid1(VALU_DEP_2)
	v_mov_b32_e32 v85, v77
	v_pk_mul_f32 v[76:77], v[78:79], v[82:83] op_sel:[0,1]
	v_pk_add_f32 v[60:61], v[60:61], v[84:85] neg_lo:[0,1] neg_hi:[0,1]
	s_delay_alu instid0(VALU_DEP_2) | instskip(SKIP_1) | instid1(VALU_DEP_1)
	v_pk_fma_f32 v[84:85], v[78:79], v[80:81], v[76:77] op_sel:[0,0,1] op_sel_hi:[1,1,0] neg_lo:[0,0,1] neg_hi:[0,0,1]
	v_pk_fma_f32 v[76:77], v[78:79], v[80:81], v[76:77] op_sel:[0,0,1] op_sel_hi:[1,0,0]
	v_mov_b32_e32 v85, v77
	ds_load_b64 v[76:77], v100 offset:120
	v_pk_add_f32 v[58:59], v[58:59], v[84:85] neg_lo:[0,1] neg_hi:[0,1]
	s_wait_dscnt 0x0
	v_pk_mul_f32 v[78:79], v[76:77], v[82:83] op_sel:[0,1]
	s_delay_alu instid0(VALU_DEP_1) | instskip(SKIP_1) | instid1(VALU_DEP_1)
	v_pk_fma_f32 v[82:83], v[76:77], v[80:81], v[78:79] op_sel:[0,0,1] op_sel_hi:[1,1,0] neg_lo:[0,0,1] neg_hi:[0,0,1]
	v_pk_fma_f32 v[76:77], v[76:77], v[80:81], v[78:79] op_sel:[0,0,1] op_sel_hi:[1,0,0]
	v_mov_b32_e32 v83, v77
	s_delay_alu instid0(VALU_DEP_1)
	v_pk_add_f32 v[62:63], v[62:63], v[82:83] neg_lo:[0,1] neg_hi:[0,1]
.LBB31_46:
	s_or_b32 exec_lo, exec_lo, s1
	s_delay_alu instid0(SALU_CYCLE_1)
	s_mov_b32 s2, exec_lo
	s_wait_dscnt 0x0
	s_barrier_signal -1
	s_barrier_wait -1
	v_cmpx_eq_u32_e32 5, v98
	s_cbranch_execz .LBB31_53
; %bb.47:
	v_dual_mov_b32 v76, v26 :: v_dual_mov_b32 v77, v27
	v_dual_mov_b32 v78, v22 :: v_dual_mov_b32 v79, v23
	ds_store_b64 v99, v[24:25]
	ds_store_2addr_b64 v100, v[76:77], v[78:79] offset0:6 offset1:7
	v_dual_mov_b32 v76, v56 :: v_dual_mov_b32 v77, v57
	v_dual_mov_b32 v78, v50 :: v_dual_mov_b32 v79, v51
	ds_store_2addr_b64 v100, v[76:77], v[78:79] offset0:8 offset1:9
	v_dual_mov_b32 v76, v54 :: v_dual_mov_b32 v77, v55
	v_dual_mov_b32 v78, v48 :: v_dual_mov_b32 v79, v49
	;; [unrolled: 3-line block ×3, first 2 shown]
	ds_store_2addr_b64 v100, v[76:77], v[78:79] offset0:12 offset1:13
	v_dual_mov_b32 v76, v58 :: v_dual_mov_b32 v77, v59
	ds_store_2addr_b64 v100, v[76:77], v[62:63] offset0:14 offset1:15
	ds_load_b64 v[76:77], v99
	s_wait_dscnt 0x0
	v_cmp_neq_f32_e32 vcc_lo, 0, v76
	v_cmp_neq_f32_e64 s1, 0, v77
	s_or_b32 s1, vcc_lo, s1
	s_delay_alu instid0(SALU_CYCLE_1)
	s_and_b32 exec_lo, exec_lo, s1
	s_cbranch_execz .LBB31_53
; %bb.48:
	v_cmp_ngt_f32_e64 s1, |v76|, |v77|
                                        ; implicit-def: $vgpr78_vgpr79
	s_and_saveexec_b32 s4, s1
	s_delay_alu instid0(SALU_CYCLE_1)
	s_xor_b32 s1, exec_lo, s4
	s_cbranch_execz .LBB31_50
; %bb.49:
	v_div_scale_f32 v78, null, v77, v77, v76
	v_div_scale_f32 v81, vcc_lo, v76, v77, v76
	s_delay_alu instid0(VALU_DEP_2) | instskip(SKIP_1) | instid1(TRANS32_DEP_1)
	v_rcp_f32_e32 v79, v78
	v_nop
	v_fma_f32 v80, -v78, v79, 1.0
	s_delay_alu instid0(VALU_DEP_1) | instskip(NEXT) | instid1(VALU_DEP_1)
	v_fmac_f32_e32 v79, v80, v79
	v_mul_f32_e32 v80, v81, v79
	s_delay_alu instid0(VALU_DEP_1) | instskip(NEXT) | instid1(VALU_DEP_1)
	v_fma_f32 v82, -v78, v80, v81
	v_fmac_f32_e32 v80, v82, v79
	s_delay_alu instid0(VALU_DEP_1) | instskip(NEXT) | instid1(VALU_DEP_1)
	v_fma_f32 v78, -v78, v80, v81
	v_div_fmas_f32 v78, v78, v79, v80
	s_delay_alu instid0(VALU_DEP_1) | instskip(NEXT) | instid1(VALU_DEP_1)
	v_div_fixup_f32 v78, v78, v77, v76
	v_fmac_f32_e32 v77, v76, v78
	s_delay_alu instid0(VALU_DEP_1) | instskip(SKIP_1) | instid1(VALU_DEP_2)
	v_div_scale_f32 v76, null, v77, v77, 1.0
	v_div_scale_f32 v81, vcc_lo, 1.0, v77, 1.0
	v_rcp_f32_e32 v79, v76
	v_nop
	s_delay_alu instid0(TRANS32_DEP_1) | instskip(NEXT) | instid1(VALU_DEP_1)
	v_fma_f32 v80, -v76, v79, 1.0
	v_fmac_f32_e32 v79, v80, v79
	s_delay_alu instid0(VALU_DEP_1) | instskip(NEXT) | instid1(VALU_DEP_1)
	v_mul_f32_e32 v80, v81, v79
	v_fma_f32 v82, -v76, v80, v81
	s_delay_alu instid0(VALU_DEP_1) | instskip(NEXT) | instid1(VALU_DEP_1)
	v_fmac_f32_e32 v80, v82, v79
	v_fma_f32 v76, -v76, v80, v81
	s_delay_alu instid0(VALU_DEP_1) | instskip(NEXT) | instid1(VALU_DEP_1)
	v_div_fmas_f32 v76, v76, v79, v80
	v_div_fixup_f32 v76, v76, v77, 1.0
	s_delay_alu instid0(VALU_DEP_1)
	v_mul_f32_e32 v78, v78, v76
	v_xor_b32_e32 v79, 0x80000000, v76
                                        ; implicit-def: $vgpr76_vgpr77
.LBB31_50:
	s_and_not1_saveexec_b32 s1, s1
	s_cbranch_execz .LBB31_52
; %bb.51:
	v_div_scale_f32 v78, null, v76, v76, v77
	v_div_scale_f32 v81, vcc_lo, v77, v76, v77
	s_delay_alu instid0(VALU_DEP_2) | instskip(SKIP_1) | instid1(TRANS32_DEP_1)
	v_rcp_f32_e32 v79, v78
	v_nop
	v_fma_f32 v80, -v78, v79, 1.0
	s_delay_alu instid0(VALU_DEP_1) | instskip(NEXT) | instid1(VALU_DEP_1)
	v_fmac_f32_e32 v79, v80, v79
	v_mul_f32_e32 v80, v81, v79
	s_delay_alu instid0(VALU_DEP_1) | instskip(NEXT) | instid1(VALU_DEP_1)
	v_fma_f32 v82, -v78, v80, v81
	v_fmac_f32_e32 v80, v82, v79
	s_delay_alu instid0(VALU_DEP_1) | instskip(NEXT) | instid1(VALU_DEP_1)
	v_fma_f32 v78, -v78, v80, v81
	v_div_fmas_f32 v78, v78, v79, v80
	s_delay_alu instid0(VALU_DEP_1) | instskip(NEXT) | instid1(VALU_DEP_1)
	v_div_fixup_f32 v79, v78, v76, v77
	v_fmac_f32_e32 v76, v77, v79
	s_delay_alu instid0(VALU_DEP_1) | instskip(NEXT) | instid1(VALU_DEP_1)
	v_div_scale_f32 v77, null, v76, v76, 1.0
	v_rcp_f32_e32 v78, v77
	v_nop
	s_delay_alu instid0(TRANS32_DEP_1) | instskip(NEXT) | instid1(VALU_DEP_1)
	v_fma_f32 v80, -v77, v78, 1.0
	v_fmac_f32_e32 v78, v80, v78
	v_div_scale_f32 v80, vcc_lo, 1.0, v76, 1.0
	s_delay_alu instid0(VALU_DEP_1) | instskip(NEXT) | instid1(VALU_DEP_1)
	v_mul_f32_e32 v81, v80, v78
	v_fma_f32 v82, -v77, v81, v80
	s_delay_alu instid0(VALU_DEP_1) | instskip(NEXT) | instid1(VALU_DEP_1)
	v_fmac_f32_e32 v81, v82, v78
	v_fma_f32 v77, -v77, v81, v80
	s_delay_alu instid0(VALU_DEP_1) | instskip(NEXT) | instid1(VALU_DEP_1)
	v_div_fmas_f32 v77, v77, v78, v81
	v_div_fixup_f32 v78, v77, v76, 1.0
	s_delay_alu instid0(VALU_DEP_1)
	v_mul_f32_e64 v79, v79, -v78
.LBB31_52:
	s_or_b32 exec_lo, exec_lo, s1
	ds_store_b64 v99, v[78:79]
.LBB31_53:
	s_or_b32 exec_lo, exec_lo, s2
	s_wait_dscnt 0x0
	s_barrier_signal -1
	s_barrier_wait -1
	ds_load_b64 v[76:77], v99
	s_mov_b32 s1, exec_lo
	v_cmpx_lt_u32_e32 5, v98
	s_cbranch_execz .LBB31_55
; %bb.54:
	s_wait_dscnt 0x0
	v_pk_mul_f32 v[78:79], v[76:77], v[24:25] op_sel:[1,1] op_sel_hi:[0,1]
	s_delay_alu instid0(VALU_DEP_1)
	v_pk_fma_f32 v[82:83], v[76:77], v[24:25], v[78:79] op_sel_hi:[1,0,1] neg_lo:[0,0,1] neg_hi:[0,0,1]
	v_pk_fma_f32 v[84:85], v[76:77], v[24:25], v[78:79] op_sel_hi:[1,0,1]
	ds_load_2addr_b64 v[78:81], v100 offset0:6 offset1:7
	v_dual_mov_b32 v24, v82 :: v_dual_mov_b32 v25, v85
	s_wait_dscnt 0x0
	v_pk_mul_f32 v[86:87], v[78:79], v[84:85] op_sel:[0,1]
	s_delay_alu instid0(VALU_DEP_1) | instskip(SKIP_1) | instid1(VALU_DEP_1)
	v_pk_fma_f32 v[88:89], v[78:79], v[82:83], v[86:87] op_sel:[0,0,1] op_sel_hi:[1,1,0] neg_lo:[0,0,1] neg_hi:[0,0,1]
	v_pk_fma_f32 v[78:79], v[78:79], v[82:83], v[86:87] op_sel:[0,0,1] op_sel_hi:[1,0,0]
	v_mov_b32_e32 v89, v79
	v_pk_mul_f32 v[78:79], v[80:81], v[84:85] op_sel:[0,1]
	s_delay_alu instid0(VALU_DEP_1) | instskip(SKIP_1) | instid1(VALU_DEP_1)
	v_pk_fma_f32 v[86:87], v[80:81], v[82:83], v[78:79] op_sel:[0,0,1] op_sel_hi:[1,1,0] neg_lo:[0,0,1] neg_hi:[0,0,1]
	v_pk_fma_f32 v[78:79], v[80:81], v[82:83], v[78:79] op_sel:[0,0,1] op_sel_hi:[1,0,0]
	v_mov_b32_e32 v87, v79
	ds_load_2addr_b64 v[78:81], v100 offset0:8 offset1:9
	v_pk_add_f32 v[26:27], v[26:27], v[88:89] neg_lo:[0,1] neg_hi:[0,1]
	v_pk_add_f32 v[22:23], v[22:23], v[86:87] neg_lo:[0,1] neg_hi:[0,1]
	s_wait_dscnt 0x0
	v_pk_mul_f32 v[86:87], v[78:79], v[84:85] op_sel:[0,1]
	s_delay_alu instid0(VALU_DEP_1) | instskip(SKIP_2) | instid1(VALU_DEP_2)
	v_pk_fma_f32 v[88:89], v[78:79], v[82:83], v[86:87] op_sel:[0,0,1] op_sel_hi:[1,1,0] neg_lo:[0,0,1] neg_hi:[0,0,1]
	v_pk_fma_f32 v[78:79], v[78:79], v[82:83], v[86:87] op_sel:[0,0,1] op_sel_hi:[1,0,0]
	v_dual_mul_f32 v86, v81, v85 :: v_dual_mov_b32 v78, v81
	v_dual_mov_b32 v89, v79 :: v_dual_mov_b32 v79, v80
	s_delay_alu instid0(VALU_DEP_2) | instskip(SKIP_1) | instid1(VALU_DEP_3)
	v_pk_fma_f32 v[86:87], v[80:81], v[24:25], v[86:87] op_sel_hi:[1,1,0] neg_lo:[0,0,1] neg_hi:[0,0,1]
	v_mul_f32_e32 v80, v81, v82
	v_pk_add_f32 v[56:57], v[56:57], v[88:89] neg_lo:[0,1] neg_hi:[0,1]
	s_delay_alu instid0(VALU_DEP_2) | instskip(NEXT) | instid1(VALU_DEP_1)
	v_pk_fma_f32 v[78:79], v[78:79], v[24:25], v[80:81] op_sel_hi:[1,1,0]
	v_mov_b32_e32 v87, v79
	ds_load_2addr_b64 v[78:81], v100 offset0:10 offset1:11
	v_pk_add_f32 v[50:51], v[50:51], v[86:87] neg_lo:[0,1] neg_hi:[0,1]
	s_wait_dscnt 0x0
	v_pk_mul_f32 v[86:87], v[78:79], v[84:85] op_sel:[0,1]
	s_delay_alu instid0(VALU_DEP_1) | instskip(SKIP_1) | instid1(VALU_DEP_1)
	v_pk_fma_f32 v[88:89], v[78:79], v[82:83], v[86:87] op_sel:[0,0,1] op_sel_hi:[1,1,0] neg_lo:[0,0,1] neg_hi:[0,0,1]
	v_pk_fma_f32 v[78:79], v[78:79], v[82:83], v[86:87] op_sel:[0,0,1] op_sel_hi:[1,0,0]
	v_mov_b32_e32 v89, v79
	v_pk_mul_f32 v[78:79], v[80:81], v[84:85] op_sel:[0,1]
	s_delay_alu instid0(VALU_DEP_1) | instskip(SKIP_1) | instid1(VALU_DEP_1)
	v_pk_fma_f32 v[86:87], v[80:81], v[82:83], v[78:79] op_sel:[0,0,1] op_sel_hi:[1,1,0] neg_lo:[0,0,1] neg_hi:[0,0,1]
	v_pk_fma_f32 v[78:79], v[80:81], v[82:83], v[78:79] op_sel:[0,0,1] op_sel_hi:[1,0,0]
	v_mov_b32_e32 v87, v79
	ds_load_2addr_b64 v[78:81], v100 offset0:12 offset1:13
	v_pk_add_f32 v[54:55], v[54:55], v[88:89] neg_lo:[0,1] neg_hi:[0,1]
	v_pk_add_f32 v[48:49], v[48:49], v[86:87] neg_lo:[0,1] neg_hi:[0,1]
	s_wait_dscnt 0x0
	v_pk_mul_f32 v[86:87], v[78:79], v[84:85] op_sel:[0,1]
	s_delay_alu instid0(VALU_DEP_1) | instskip(SKIP_1) | instid1(VALU_DEP_1)
	v_pk_fma_f32 v[88:89], v[78:79], v[82:83], v[86:87] op_sel:[0,0,1] op_sel_hi:[1,1,0] neg_lo:[0,0,1] neg_hi:[0,0,1]
	v_pk_fma_f32 v[78:79], v[78:79], v[82:83], v[86:87] op_sel:[0,0,1] op_sel_hi:[1,0,0]
	v_mov_b32_e32 v89, v79
	v_pk_mul_f32 v[78:79], v[80:81], v[84:85] op_sel:[0,1]
	s_delay_alu instid0(VALU_DEP_1) | instskip(SKIP_1) | instid1(VALU_DEP_1)
	v_pk_fma_f32 v[86:87], v[80:81], v[82:83], v[78:79] op_sel:[0,0,1] op_sel_hi:[1,1,0] neg_lo:[0,0,1] neg_hi:[0,0,1]
	v_pk_fma_f32 v[78:79], v[80:81], v[82:83], v[78:79] op_sel:[0,0,1] op_sel_hi:[1,0,0]
	v_mov_b32_e32 v87, v79
	ds_load_2addr_b64 v[78:81], v100 offset0:14 offset1:15
	v_pk_add_f32 v[64:65], v[64:65], v[88:89] neg_lo:[0,1] neg_hi:[0,1]
	v_pk_add_f32 v[60:61], v[60:61], v[86:87] neg_lo:[0,1] neg_hi:[0,1]
	s_wait_dscnt 0x0
	v_dual_mul_f32 v86, v79, v85 :: v_dual_mul_f32 v88, v79, v82
	s_delay_alu instid0(VALU_DEP_1) | instskip(NEXT) | instid1(VALU_DEP_2)
	v_pk_fma_f32 v[86:87], v[78:79], v[24:25], v[86:87] op_sel_hi:[1,1,0] neg_lo:[0,0,1] neg_hi:[0,0,1]
	v_pk_fma_f32 v[78:79], v[78:79], v[24:25], v[88:89] op_sel:[1,0,0] op_sel_hi:[0,1,0]
	s_delay_alu instid0(VALU_DEP_1) | instskip(SKIP_1) | instid1(VALU_DEP_1)
	v_mov_b32_e32 v87, v79
	v_pk_mul_f32 v[78:79], v[80:81], v[84:85] op_sel:[0,1]
	v_pk_fma_f32 v[84:85], v[80:81], v[82:83], v[78:79] op_sel:[0,0,1] op_sel_hi:[1,1,0] neg_lo:[0,0,1] neg_hi:[0,0,1]
	v_pk_fma_f32 v[78:79], v[80:81], v[82:83], v[78:79] op_sel:[0,0,1] op_sel_hi:[1,0,0]
	s_delay_alu instid0(VALU_DEP_1) | instskip(SKIP_1) | instid1(VALU_DEP_2)
	v_mov_b32_e32 v85, v79
	v_pk_add_f32 v[58:59], v[58:59], v[86:87] neg_lo:[0,1] neg_hi:[0,1]
	v_pk_add_f32 v[62:63], v[62:63], v[84:85] neg_lo:[0,1] neg_hi:[0,1]
.LBB31_55:
	s_or_b32 exec_lo, exec_lo, s1
	s_delay_alu instid0(SALU_CYCLE_1)
	s_mov_b32 s2, exec_lo
	s_wait_dscnt 0x0
	s_barrier_signal -1
	s_barrier_wait -1
	v_cmpx_eq_u32_e32 6, v98
	s_cbranch_execz .LBB31_62
; %bb.56:
	ds_store_b64 v99, v[26:27]
	ds_store_2addr_b64 v100, v[22:23], v[56:57] offset0:7 offset1:8
	ds_store_2addr_b64 v100, v[50:51], v[54:55] offset0:9 offset1:10
	;; [unrolled: 1-line block ×4, first 2 shown]
	ds_store_b64 v100, v[62:63] offset:120
	ds_load_b64 v[78:79], v99
	s_wait_dscnt 0x0
	v_cmp_neq_f32_e32 vcc_lo, 0, v78
	v_cmp_neq_f32_e64 s1, 0, v79
	s_or_b32 s1, vcc_lo, s1
	s_delay_alu instid0(SALU_CYCLE_1)
	s_and_b32 exec_lo, exec_lo, s1
	s_cbranch_execz .LBB31_62
; %bb.57:
	v_cmp_ngt_f32_e64 s1, |v78|, |v79|
                                        ; implicit-def: $vgpr80_vgpr81
	s_and_saveexec_b32 s4, s1
	s_delay_alu instid0(SALU_CYCLE_1)
	s_xor_b32 s1, exec_lo, s4
	s_cbranch_execz .LBB31_59
; %bb.58:
	v_div_scale_f32 v80, null, v79, v79, v78
	v_div_scale_f32 v83, vcc_lo, v78, v79, v78
	s_delay_alu instid0(VALU_DEP_2) | instskip(SKIP_1) | instid1(TRANS32_DEP_1)
	v_rcp_f32_e32 v81, v80
	v_nop
	v_fma_f32 v82, -v80, v81, 1.0
	s_delay_alu instid0(VALU_DEP_1) | instskip(NEXT) | instid1(VALU_DEP_1)
	v_fmac_f32_e32 v81, v82, v81
	v_mul_f32_e32 v82, v83, v81
	s_delay_alu instid0(VALU_DEP_1) | instskip(NEXT) | instid1(VALU_DEP_1)
	v_fma_f32 v84, -v80, v82, v83
	v_fmac_f32_e32 v82, v84, v81
	s_delay_alu instid0(VALU_DEP_1) | instskip(NEXT) | instid1(VALU_DEP_1)
	v_fma_f32 v80, -v80, v82, v83
	v_div_fmas_f32 v80, v80, v81, v82
	s_delay_alu instid0(VALU_DEP_1) | instskip(NEXT) | instid1(VALU_DEP_1)
	v_div_fixup_f32 v80, v80, v79, v78
	v_fmac_f32_e32 v79, v78, v80
	s_delay_alu instid0(VALU_DEP_1) | instskip(SKIP_1) | instid1(VALU_DEP_2)
	v_div_scale_f32 v78, null, v79, v79, 1.0
	v_div_scale_f32 v83, vcc_lo, 1.0, v79, 1.0
	v_rcp_f32_e32 v81, v78
	v_nop
	s_delay_alu instid0(TRANS32_DEP_1) | instskip(NEXT) | instid1(VALU_DEP_1)
	v_fma_f32 v82, -v78, v81, 1.0
	v_fmac_f32_e32 v81, v82, v81
	s_delay_alu instid0(VALU_DEP_1) | instskip(NEXT) | instid1(VALU_DEP_1)
	v_mul_f32_e32 v82, v83, v81
	v_fma_f32 v84, -v78, v82, v83
	s_delay_alu instid0(VALU_DEP_1) | instskip(NEXT) | instid1(VALU_DEP_1)
	v_fmac_f32_e32 v82, v84, v81
	v_fma_f32 v78, -v78, v82, v83
	s_delay_alu instid0(VALU_DEP_1) | instskip(NEXT) | instid1(VALU_DEP_1)
	v_div_fmas_f32 v78, v78, v81, v82
	v_div_fixup_f32 v78, v78, v79, 1.0
	s_delay_alu instid0(VALU_DEP_1)
	v_mul_f32_e32 v80, v80, v78
	v_xor_b32_e32 v81, 0x80000000, v78
                                        ; implicit-def: $vgpr78_vgpr79
.LBB31_59:
	s_and_not1_saveexec_b32 s1, s1
	s_cbranch_execz .LBB31_61
; %bb.60:
	v_div_scale_f32 v80, null, v78, v78, v79
	v_div_scale_f32 v83, vcc_lo, v79, v78, v79
	s_delay_alu instid0(VALU_DEP_2) | instskip(SKIP_1) | instid1(TRANS32_DEP_1)
	v_rcp_f32_e32 v81, v80
	v_nop
	v_fma_f32 v82, -v80, v81, 1.0
	s_delay_alu instid0(VALU_DEP_1) | instskip(NEXT) | instid1(VALU_DEP_1)
	v_fmac_f32_e32 v81, v82, v81
	v_mul_f32_e32 v82, v83, v81
	s_delay_alu instid0(VALU_DEP_1) | instskip(NEXT) | instid1(VALU_DEP_1)
	v_fma_f32 v84, -v80, v82, v83
	v_fmac_f32_e32 v82, v84, v81
	s_delay_alu instid0(VALU_DEP_1) | instskip(NEXT) | instid1(VALU_DEP_1)
	v_fma_f32 v80, -v80, v82, v83
	v_div_fmas_f32 v80, v80, v81, v82
	s_delay_alu instid0(VALU_DEP_1) | instskip(NEXT) | instid1(VALU_DEP_1)
	v_div_fixup_f32 v81, v80, v78, v79
	v_fmac_f32_e32 v78, v79, v81
	s_delay_alu instid0(VALU_DEP_1) | instskip(NEXT) | instid1(VALU_DEP_1)
	v_div_scale_f32 v79, null, v78, v78, 1.0
	v_rcp_f32_e32 v80, v79
	v_nop
	s_delay_alu instid0(TRANS32_DEP_1) | instskip(NEXT) | instid1(VALU_DEP_1)
	v_fma_f32 v82, -v79, v80, 1.0
	v_fmac_f32_e32 v80, v82, v80
	v_div_scale_f32 v82, vcc_lo, 1.0, v78, 1.0
	s_delay_alu instid0(VALU_DEP_1) | instskip(NEXT) | instid1(VALU_DEP_1)
	v_mul_f32_e32 v83, v82, v80
	v_fma_f32 v84, -v79, v83, v82
	s_delay_alu instid0(VALU_DEP_1) | instskip(NEXT) | instid1(VALU_DEP_1)
	v_fmac_f32_e32 v83, v84, v80
	v_fma_f32 v79, -v79, v83, v82
	s_delay_alu instid0(VALU_DEP_1) | instskip(NEXT) | instid1(VALU_DEP_1)
	v_div_fmas_f32 v79, v79, v80, v83
	v_div_fixup_f32 v80, v79, v78, 1.0
	s_delay_alu instid0(VALU_DEP_1)
	v_mul_f32_e64 v81, v81, -v80
.LBB31_61:
	s_or_b32 exec_lo, exec_lo, s1
	ds_store_b64 v99, v[80:81]
.LBB31_62:
	s_or_b32 exec_lo, exec_lo, s2
	s_wait_dscnt 0x0
	s_barrier_signal -1
	s_barrier_wait -1
	ds_load_b64 v[78:79], v99
	s_mov_b32 s1, exec_lo
	v_cmpx_lt_u32_e32 6, v98
	s_cbranch_execz .LBB31_64
; %bb.63:
	s_wait_dscnt 0x0
	v_pk_mul_f32 v[80:81], v[78:79], v[26:27] op_sel:[1,1] op_sel_hi:[0,1]
	s_delay_alu instid0(VALU_DEP_1)
	v_pk_fma_f32 v[84:85], v[78:79], v[26:27], v[80:81] op_sel_hi:[1,0,1] neg_lo:[0,0,1] neg_hi:[0,0,1]
	v_pk_fma_f32 v[86:87], v[78:79], v[26:27], v[80:81] op_sel_hi:[1,0,1]
	ds_load_2addr_b64 v[80:83], v100 offset0:7 offset1:8
	v_dual_mov_b32 v26, v84 :: v_dual_mov_b32 v27, v87
	s_wait_dscnt 0x0
	v_pk_mul_f32 v[88:89], v[80:81], v[86:87] op_sel:[0,1]
	s_delay_alu instid0(VALU_DEP_1) | instskip(SKIP_1) | instid1(VALU_DEP_1)
	v_pk_fma_f32 v[90:91], v[80:81], v[84:85], v[88:89] op_sel:[0,0,1] op_sel_hi:[1,1,0] neg_lo:[0,0,1] neg_hi:[0,0,1]
	v_pk_fma_f32 v[80:81], v[80:81], v[84:85], v[88:89] op_sel:[0,0,1] op_sel_hi:[1,0,0]
	v_mov_b32_e32 v91, v81
	v_pk_mul_f32 v[80:81], v[82:83], v[86:87] op_sel:[0,1]
	s_delay_alu instid0(VALU_DEP_1) | instskip(SKIP_1) | instid1(VALU_DEP_1)
	v_pk_fma_f32 v[88:89], v[82:83], v[84:85], v[80:81] op_sel:[0,0,1] op_sel_hi:[1,1,0] neg_lo:[0,0,1] neg_hi:[0,0,1]
	v_pk_fma_f32 v[80:81], v[82:83], v[84:85], v[80:81] op_sel:[0,0,1] op_sel_hi:[1,0,0]
	v_mov_b32_e32 v89, v81
	ds_load_2addr_b64 v[80:83], v100 offset0:9 offset1:10
	v_pk_add_f32 v[22:23], v[22:23], v[90:91] neg_lo:[0,1] neg_hi:[0,1]
	v_pk_add_f32 v[56:57], v[56:57], v[88:89] neg_lo:[0,1] neg_hi:[0,1]
	s_wait_dscnt 0x0
	v_pk_mul_f32 v[88:89], v[80:81], v[86:87] op_sel:[0,1]
	s_delay_alu instid0(VALU_DEP_1) | instskip(SKIP_2) | instid1(VALU_DEP_2)
	v_pk_fma_f32 v[90:91], v[80:81], v[84:85], v[88:89] op_sel:[0,0,1] op_sel_hi:[1,1,0] neg_lo:[0,0,1] neg_hi:[0,0,1]
	v_pk_fma_f32 v[80:81], v[80:81], v[84:85], v[88:89] op_sel:[0,0,1] op_sel_hi:[1,0,0]
	v_dual_mul_f32 v88, v83, v87 :: v_dual_mov_b32 v80, v83
	v_dual_mov_b32 v91, v81 :: v_dual_mov_b32 v81, v82
	s_delay_alu instid0(VALU_DEP_2) | instskip(SKIP_1) | instid1(VALU_DEP_3)
	v_pk_fma_f32 v[88:89], v[82:83], v[26:27], v[88:89] op_sel_hi:[1,1,0] neg_lo:[0,0,1] neg_hi:[0,0,1]
	v_mul_f32_e32 v82, v83, v84
	v_pk_add_f32 v[50:51], v[50:51], v[90:91] neg_lo:[0,1] neg_hi:[0,1]
	s_delay_alu instid0(VALU_DEP_2) | instskip(NEXT) | instid1(VALU_DEP_1)
	v_pk_fma_f32 v[80:81], v[80:81], v[26:27], v[82:83] op_sel_hi:[1,1,0]
	v_mov_b32_e32 v89, v81
	ds_load_2addr_b64 v[80:83], v100 offset0:11 offset1:12
	v_pk_add_f32 v[54:55], v[54:55], v[88:89] neg_lo:[0,1] neg_hi:[0,1]
	s_wait_dscnt 0x0
	v_pk_mul_f32 v[88:89], v[80:81], v[86:87] op_sel:[0,1]
	s_delay_alu instid0(VALU_DEP_1) | instskip(SKIP_1) | instid1(VALU_DEP_1)
	v_pk_fma_f32 v[90:91], v[80:81], v[84:85], v[88:89] op_sel:[0,0,1] op_sel_hi:[1,1,0] neg_lo:[0,0,1] neg_hi:[0,0,1]
	v_pk_fma_f32 v[80:81], v[80:81], v[84:85], v[88:89] op_sel:[0,0,1] op_sel_hi:[1,0,0]
	v_mov_b32_e32 v91, v81
	v_pk_mul_f32 v[80:81], v[82:83], v[86:87] op_sel:[0,1]
	s_delay_alu instid0(VALU_DEP_1) | instskip(SKIP_1) | instid1(VALU_DEP_1)
	v_pk_fma_f32 v[88:89], v[82:83], v[84:85], v[80:81] op_sel:[0,0,1] op_sel_hi:[1,1,0] neg_lo:[0,0,1] neg_hi:[0,0,1]
	v_pk_fma_f32 v[80:81], v[82:83], v[84:85], v[80:81] op_sel:[0,0,1] op_sel_hi:[1,0,0]
	v_mov_b32_e32 v89, v81
	ds_load_2addr_b64 v[80:83], v100 offset0:13 offset1:14
	v_pk_add_f32 v[48:49], v[48:49], v[90:91] neg_lo:[0,1] neg_hi:[0,1]
	v_pk_add_f32 v[64:65], v[64:65], v[88:89] neg_lo:[0,1] neg_hi:[0,1]
	s_wait_dscnt 0x0
	v_pk_mul_f32 v[88:89], v[80:81], v[86:87] op_sel:[0,1]
	s_delay_alu instid0(VALU_DEP_1) | instskip(SKIP_1) | instid1(VALU_DEP_1)
	v_pk_fma_f32 v[90:91], v[80:81], v[84:85], v[88:89] op_sel:[0,0,1] op_sel_hi:[1,1,0] neg_lo:[0,0,1] neg_hi:[0,0,1]
	v_pk_fma_f32 v[80:81], v[80:81], v[84:85], v[88:89] op_sel:[0,0,1] op_sel_hi:[1,0,0]
	v_mov_b32_e32 v91, v81
	v_pk_mul_f32 v[80:81], v[82:83], v[86:87] op_sel:[0,1]
	s_delay_alu instid0(VALU_DEP_1) | instskip(SKIP_1) | instid1(VALU_DEP_1)
	v_pk_fma_f32 v[88:89], v[82:83], v[84:85], v[80:81] op_sel:[0,0,1] op_sel_hi:[1,1,0] neg_lo:[0,0,1] neg_hi:[0,0,1]
	v_pk_fma_f32 v[80:81], v[82:83], v[84:85], v[80:81] op_sel:[0,0,1] op_sel_hi:[1,0,0]
	v_mov_b32_e32 v89, v81
	ds_load_b64 v[80:81], v100 offset:120
	v_pk_add_f32 v[60:61], v[60:61], v[90:91] neg_lo:[0,1] neg_hi:[0,1]
	v_pk_add_f32 v[58:59], v[58:59], v[88:89] neg_lo:[0,1] neg_hi:[0,1]
	s_wait_dscnt 0x0
	v_pk_mul_f32 v[82:83], v[80:81], v[86:87] op_sel:[0,1]
	s_delay_alu instid0(VALU_DEP_1) | instskip(SKIP_1) | instid1(VALU_DEP_1)
	v_pk_fma_f32 v[86:87], v[80:81], v[84:85], v[82:83] op_sel:[0,0,1] op_sel_hi:[1,1,0] neg_lo:[0,0,1] neg_hi:[0,0,1]
	v_pk_fma_f32 v[80:81], v[80:81], v[84:85], v[82:83] op_sel:[0,0,1] op_sel_hi:[1,0,0]
	v_mov_b32_e32 v87, v81
	s_delay_alu instid0(VALU_DEP_1)
	v_pk_add_f32 v[62:63], v[62:63], v[86:87] neg_lo:[0,1] neg_hi:[0,1]
.LBB31_64:
	s_or_b32 exec_lo, exec_lo, s1
	s_delay_alu instid0(SALU_CYCLE_1)
	s_mov_b32 s2, exec_lo
	s_wait_dscnt 0x0
	s_barrier_signal -1
	s_barrier_wait -1
	v_cmpx_eq_u32_e32 7, v98
	s_cbranch_execz .LBB31_71
; %bb.65:
	v_dual_mov_b32 v80, v56 :: v_dual_mov_b32 v81, v57
	v_dual_mov_b32 v82, v50 :: v_dual_mov_b32 v83, v51
	ds_store_b64 v99, v[22:23]
	ds_store_2addr_b64 v100, v[80:81], v[82:83] offset0:8 offset1:9
	v_dual_mov_b32 v80, v54 :: v_dual_mov_b32 v81, v55
	v_dual_mov_b32 v82, v48 :: v_dual_mov_b32 v83, v49
	ds_store_2addr_b64 v100, v[80:81], v[82:83] offset0:10 offset1:11
	v_dual_mov_b32 v80, v64 :: v_dual_mov_b32 v81, v65
	v_dual_mov_b32 v82, v60 :: v_dual_mov_b32 v83, v61
	ds_store_2addr_b64 v100, v[80:81], v[82:83] offset0:12 offset1:13
	v_dual_mov_b32 v80, v58 :: v_dual_mov_b32 v81, v59
	ds_store_2addr_b64 v100, v[80:81], v[62:63] offset0:14 offset1:15
	ds_load_b64 v[80:81], v99
	s_wait_dscnt 0x0
	v_cmp_neq_f32_e32 vcc_lo, 0, v80
	v_cmp_neq_f32_e64 s1, 0, v81
	s_or_b32 s1, vcc_lo, s1
	s_delay_alu instid0(SALU_CYCLE_1)
	s_and_b32 exec_lo, exec_lo, s1
	s_cbranch_execz .LBB31_71
; %bb.66:
	v_cmp_ngt_f32_e64 s1, |v80|, |v81|
                                        ; implicit-def: $vgpr82_vgpr83
	s_and_saveexec_b32 s4, s1
	s_delay_alu instid0(SALU_CYCLE_1)
	s_xor_b32 s1, exec_lo, s4
	s_cbranch_execz .LBB31_68
; %bb.67:
	v_div_scale_f32 v82, null, v81, v81, v80
	v_div_scale_f32 v85, vcc_lo, v80, v81, v80
	s_delay_alu instid0(VALU_DEP_2) | instskip(SKIP_1) | instid1(TRANS32_DEP_1)
	v_rcp_f32_e32 v83, v82
	v_nop
	v_fma_f32 v84, -v82, v83, 1.0
	s_delay_alu instid0(VALU_DEP_1) | instskip(NEXT) | instid1(VALU_DEP_1)
	v_fmac_f32_e32 v83, v84, v83
	v_mul_f32_e32 v84, v85, v83
	s_delay_alu instid0(VALU_DEP_1) | instskip(NEXT) | instid1(VALU_DEP_1)
	v_fma_f32 v86, -v82, v84, v85
	v_fmac_f32_e32 v84, v86, v83
	s_delay_alu instid0(VALU_DEP_1) | instskip(NEXT) | instid1(VALU_DEP_1)
	v_fma_f32 v82, -v82, v84, v85
	v_div_fmas_f32 v82, v82, v83, v84
	s_delay_alu instid0(VALU_DEP_1) | instskip(NEXT) | instid1(VALU_DEP_1)
	v_div_fixup_f32 v82, v82, v81, v80
	v_fmac_f32_e32 v81, v80, v82
	s_delay_alu instid0(VALU_DEP_1) | instskip(SKIP_1) | instid1(VALU_DEP_2)
	v_div_scale_f32 v80, null, v81, v81, 1.0
	v_div_scale_f32 v85, vcc_lo, 1.0, v81, 1.0
	v_rcp_f32_e32 v83, v80
	v_nop
	s_delay_alu instid0(TRANS32_DEP_1) | instskip(NEXT) | instid1(VALU_DEP_1)
	v_fma_f32 v84, -v80, v83, 1.0
	v_fmac_f32_e32 v83, v84, v83
	s_delay_alu instid0(VALU_DEP_1) | instskip(NEXT) | instid1(VALU_DEP_1)
	v_mul_f32_e32 v84, v85, v83
	v_fma_f32 v86, -v80, v84, v85
	s_delay_alu instid0(VALU_DEP_1) | instskip(NEXT) | instid1(VALU_DEP_1)
	v_fmac_f32_e32 v84, v86, v83
	v_fma_f32 v80, -v80, v84, v85
	s_delay_alu instid0(VALU_DEP_1) | instskip(NEXT) | instid1(VALU_DEP_1)
	v_div_fmas_f32 v80, v80, v83, v84
	v_div_fixup_f32 v80, v80, v81, 1.0
	s_delay_alu instid0(VALU_DEP_1)
	v_mul_f32_e32 v82, v82, v80
	v_xor_b32_e32 v83, 0x80000000, v80
                                        ; implicit-def: $vgpr80_vgpr81
.LBB31_68:
	s_and_not1_saveexec_b32 s1, s1
	s_cbranch_execz .LBB31_70
; %bb.69:
	v_div_scale_f32 v82, null, v80, v80, v81
	v_div_scale_f32 v85, vcc_lo, v81, v80, v81
	s_delay_alu instid0(VALU_DEP_2) | instskip(SKIP_1) | instid1(TRANS32_DEP_1)
	v_rcp_f32_e32 v83, v82
	v_nop
	v_fma_f32 v84, -v82, v83, 1.0
	s_delay_alu instid0(VALU_DEP_1) | instskip(NEXT) | instid1(VALU_DEP_1)
	v_fmac_f32_e32 v83, v84, v83
	v_mul_f32_e32 v84, v85, v83
	s_delay_alu instid0(VALU_DEP_1) | instskip(NEXT) | instid1(VALU_DEP_1)
	v_fma_f32 v86, -v82, v84, v85
	v_fmac_f32_e32 v84, v86, v83
	s_delay_alu instid0(VALU_DEP_1) | instskip(NEXT) | instid1(VALU_DEP_1)
	v_fma_f32 v82, -v82, v84, v85
	v_div_fmas_f32 v82, v82, v83, v84
	s_delay_alu instid0(VALU_DEP_1) | instskip(NEXT) | instid1(VALU_DEP_1)
	v_div_fixup_f32 v83, v82, v80, v81
	v_fmac_f32_e32 v80, v81, v83
	s_delay_alu instid0(VALU_DEP_1) | instskip(NEXT) | instid1(VALU_DEP_1)
	v_div_scale_f32 v81, null, v80, v80, 1.0
	v_rcp_f32_e32 v82, v81
	v_nop
	s_delay_alu instid0(TRANS32_DEP_1) | instskip(NEXT) | instid1(VALU_DEP_1)
	v_fma_f32 v84, -v81, v82, 1.0
	v_fmac_f32_e32 v82, v84, v82
	v_div_scale_f32 v84, vcc_lo, 1.0, v80, 1.0
	s_delay_alu instid0(VALU_DEP_1) | instskip(NEXT) | instid1(VALU_DEP_1)
	v_mul_f32_e32 v85, v84, v82
	v_fma_f32 v86, -v81, v85, v84
	s_delay_alu instid0(VALU_DEP_1) | instskip(NEXT) | instid1(VALU_DEP_1)
	v_fmac_f32_e32 v85, v86, v82
	v_fma_f32 v81, -v81, v85, v84
	s_delay_alu instid0(VALU_DEP_1) | instskip(NEXT) | instid1(VALU_DEP_1)
	v_div_fmas_f32 v81, v81, v82, v85
	v_div_fixup_f32 v82, v81, v80, 1.0
	s_delay_alu instid0(VALU_DEP_1)
	v_mul_f32_e64 v83, v83, -v82
.LBB31_70:
	s_or_b32 exec_lo, exec_lo, s1
	ds_store_b64 v99, v[82:83]
.LBB31_71:
	s_or_b32 exec_lo, exec_lo, s2
	s_wait_dscnt 0x0
	s_barrier_signal -1
	s_barrier_wait -1
	ds_load_b64 v[80:81], v99
	s_mov_b32 s1, exec_lo
	v_cmpx_lt_u32_e32 7, v98
	s_cbranch_execz .LBB31_73
; %bb.72:
	s_wait_dscnt 0x0
	v_pk_mul_f32 v[82:83], v[80:81], v[22:23] op_sel:[1,1] op_sel_hi:[0,1]
	s_delay_alu instid0(VALU_DEP_1)
	v_pk_fma_f32 v[86:87], v[80:81], v[22:23], v[82:83] op_sel_hi:[1,0,1] neg_lo:[0,0,1] neg_hi:[0,0,1]
	v_pk_fma_f32 v[88:89], v[80:81], v[22:23], v[82:83] op_sel_hi:[1,0,1]
	ds_load_2addr_b64 v[82:85], v100 offset0:8 offset1:9
	v_dual_mov_b32 v22, v86 :: v_dual_mov_b32 v23, v89
	s_wait_dscnt 0x0
	v_pk_mul_f32 v[90:91], v[82:83], v[88:89] op_sel:[0,1]
	s_delay_alu instid0(VALU_DEP_1) | instskip(SKIP_1) | instid1(VALU_DEP_1)
	v_pk_fma_f32 v[92:93], v[82:83], v[86:87], v[90:91] op_sel:[0,0,1] op_sel_hi:[1,1,0] neg_lo:[0,0,1] neg_hi:[0,0,1]
	v_pk_fma_f32 v[82:83], v[82:83], v[86:87], v[90:91] op_sel:[0,0,1] op_sel_hi:[1,0,0]
	v_mov_b32_e32 v93, v83
	v_pk_mul_f32 v[82:83], v[84:85], v[88:89] op_sel:[0,1]
	s_delay_alu instid0(VALU_DEP_1) | instskip(SKIP_1) | instid1(VALU_DEP_1)
	v_pk_fma_f32 v[90:91], v[84:85], v[86:87], v[82:83] op_sel:[0,0,1] op_sel_hi:[1,1,0] neg_lo:[0,0,1] neg_hi:[0,0,1]
	v_pk_fma_f32 v[82:83], v[84:85], v[86:87], v[82:83] op_sel:[0,0,1] op_sel_hi:[1,0,0]
	v_mov_b32_e32 v91, v83
	ds_load_2addr_b64 v[82:85], v100 offset0:10 offset1:11
	v_pk_add_f32 v[56:57], v[56:57], v[92:93] neg_lo:[0,1] neg_hi:[0,1]
	v_pk_add_f32 v[50:51], v[50:51], v[90:91] neg_lo:[0,1] neg_hi:[0,1]
	s_wait_dscnt 0x0
	v_pk_mul_f32 v[90:91], v[82:83], v[88:89] op_sel:[0,1]
	s_delay_alu instid0(VALU_DEP_1) | instskip(SKIP_2) | instid1(VALU_DEP_2)
	v_pk_fma_f32 v[92:93], v[82:83], v[86:87], v[90:91] op_sel:[0,0,1] op_sel_hi:[1,1,0] neg_lo:[0,0,1] neg_hi:[0,0,1]
	v_pk_fma_f32 v[82:83], v[82:83], v[86:87], v[90:91] op_sel:[0,0,1] op_sel_hi:[1,0,0]
	v_dual_mul_f32 v90, v85, v89 :: v_dual_mov_b32 v82, v85
	v_dual_mov_b32 v93, v83 :: v_dual_mov_b32 v83, v84
	s_delay_alu instid0(VALU_DEP_2) | instskip(SKIP_1) | instid1(VALU_DEP_3)
	v_pk_fma_f32 v[90:91], v[84:85], v[22:23], v[90:91] op_sel_hi:[1,1,0] neg_lo:[0,0,1] neg_hi:[0,0,1]
	v_mul_f32_e32 v84, v85, v86
	v_pk_add_f32 v[54:55], v[54:55], v[92:93] neg_lo:[0,1] neg_hi:[0,1]
	s_delay_alu instid0(VALU_DEP_2) | instskip(NEXT) | instid1(VALU_DEP_1)
	v_pk_fma_f32 v[82:83], v[82:83], v[22:23], v[84:85] op_sel_hi:[1,1,0]
	v_mov_b32_e32 v91, v83
	ds_load_2addr_b64 v[82:85], v100 offset0:12 offset1:13
	v_pk_add_f32 v[48:49], v[48:49], v[90:91] neg_lo:[0,1] neg_hi:[0,1]
	s_wait_dscnt 0x0
	v_pk_mul_f32 v[90:91], v[82:83], v[88:89] op_sel:[0,1]
	s_delay_alu instid0(VALU_DEP_1) | instskip(SKIP_1) | instid1(VALU_DEP_1)
	v_pk_fma_f32 v[92:93], v[82:83], v[86:87], v[90:91] op_sel:[0,0,1] op_sel_hi:[1,1,0] neg_lo:[0,0,1] neg_hi:[0,0,1]
	v_pk_fma_f32 v[82:83], v[82:83], v[86:87], v[90:91] op_sel:[0,0,1] op_sel_hi:[1,0,0]
	v_mov_b32_e32 v93, v83
	v_pk_mul_f32 v[82:83], v[84:85], v[88:89] op_sel:[0,1]
	s_delay_alu instid0(VALU_DEP_1) | instskip(SKIP_1) | instid1(VALU_DEP_1)
	v_pk_fma_f32 v[90:91], v[84:85], v[86:87], v[82:83] op_sel:[0,0,1] op_sel_hi:[1,1,0] neg_lo:[0,0,1] neg_hi:[0,0,1]
	v_pk_fma_f32 v[82:83], v[84:85], v[86:87], v[82:83] op_sel:[0,0,1] op_sel_hi:[1,0,0]
	v_mov_b32_e32 v91, v83
	ds_load_2addr_b64 v[82:85], v100 offset0:14 offset1:15
	v_pk_add_f32 v[64:65], v[64:65], v[92:93] neg_lo:[0,1] neg_hi:[0,1]
	v_pk_add_f32 v[60:61], v[60:61], v[90:91] neg_lo:[0,1] neg_hi:[0,1]
	s_wait_dscnt 0x0
	v_pk_mul_f32 v[90:91], v[82:83], v[88:89] op_sel:[0,1]
	s_delay_alu instid0(VALU_DEP_1) | instskip(SKIP_1) | instid1(VALU_DEP_1)
	v_pk_fma_f32 v[92:93], v[82:83], v[86:87], v[90:91] op_sel:[0,0,1] op_sel_hi:[1,1,0] neg_lo:[0,0,1] neg_hi:[0,0,1]
	v_pk_fma_f32 v[82:83], v[82:83], v[86:87], v[90:91] op_sel:[0,0,1] op_sel_hi:[1,0,0]
	v_mov_b32_e32 v93, v83
	v_pk_mul_f32 v[82:83], v[84:85], v[88:89] op_sel:[0,1]
	s_delay_alu instid0(VALU_DEP_1) | instskip(SKIP_1) | instid1(VALU_DEP_1)
	v_pk_fma_f32 v[88:89], v[84:85], v[86:87], v[82:83] op_sel:[0,0,1] op_sel_hi:[1,1,0] neg_lo:[0,0,1] neg_hi:[0,0,1]
	v_pk_fma_f32 v[82:83], v[84:85], v[86:87], v[82:83] op_sel:[0,0,1] op_sel_hi:[1,0,0]
	v_mov_b32_e32 v89, v83
	v_pk_add_f32 v[58:59], v[58:59], v[92:93] neg_lo:[0,1] neg_hi:[0,1]
	s_delay_alu instid0(VALU_DEP_2)
	v_pk_add_f32 v[62:63], v[62:63], v[88:89] neg_lo:[0,1] neg_hi:[0,1]
.LBB31_73:
	s_or_b32 exec_lo, exec_lo, s1
	s_delay_alu instid0(SALU_CYCLE_1)
	s_mov_b32 s2, exec_lo
	s_wait_dscnt 0x0
	s_barrier_signal -1
	s_barrier_wait -1
	v_cmpx_eq_u32_e32 8, v98
	s_cbranch_execz .LBB31_80
; %bb.74:
	ds_store_b64 v99, v[56:57]
	ds_store_2addr_b64 v100, v[50:51], v[54:55] offset0:9 offset1:10
	ds_store_2addr_b64 v100, v[48:49], v[64:65] offset0:11 offset1:12
	ds_store_2addr_b64 v100, v[60:61], v[58:59] offset0:13 offset1:14
	ds_store_b64 v100, v[62:63] offset:120
	ds_load_b64 v[82:83], v99
	s_wait_dscnt 0x0
	v_cmp_neq_f32_e32 vcc_lo, 0, v82
	v_cmp_neq_f32_e64 s1, 0, v83
	s_or_b32 s1, vcc_lo, s1
	s_delay_alu instid0(SALU_CYCLE_1)
	s_and_b32 exec_lo, exec_lo, s1
	s_cbranch_execz .LBB31_80
; %bb.75:
	v_cmp_ngt_f32_e64 s1, |v82|, |v83|
                                        ; implicit-def: $vgpr84_vgpr85
	s_and_saveexec_b32 s4, s1
	s_delay_alu instid0(SALU_CYCLE_1)
	s_xor_b32 s1, exec_lo, s4
	s_cbranch_execz .LBB31_77
; %bb.76:
	v_div_scale_f32 v84, null, v83, v83, v82
	v_div_scale_f32 v87, vcc_lo, v82, v83, v82
	s_delay_alu instid0(VALU_DEP_2) | instskip(SKIP_1) | instid1(TRANS32_DEP_1)
	v_rcp_f32_e32 v85, v84
	v_nop
	v_fma_f32 v86, -v84, v85, 1.0
	s_delay_alu instid0(VALU_DEP_1) | instskip(NEXT) | instid1(VALU_DEP_1)
	v_fmac_f32_e32 v85, v86, v85
	v_mul_f32_e32 v86, v87, v85
	s_delay_alu instid0(VALU_DEP_1) | instskip(NEXT) | instid1(VALU_DEP_1)
	v_fma_f32 v88, -v84, v86, v87
	v_fmac_f32_e32 v86, v88, v85
	s_delay_alu instid0(VALU_DEP_1) | instskip(NEXT) | instid1(VALU_DEP_1)
	v_fma_f32 v84, -v84, v86, v87
	v_div_fmas_f32 v84, v84, v85, v86
	s_delay_alu instid0(VALU_DEP_1) | instskip(NEXT) | instid1(VALU_DEP_1)
	v_div_fixup_f32 v84, v84, v83, v82
	v_fmac_f32_e32 v83, v82, v84
	s_delay_alu instid0(VALU_DEP_1) | instskip(SKIP_1) | instid1(VALU_DEP_2)
	v_div_scale_f32 v82, null, v83, v83, 1.0
	v_div_scale_f32 v87, vcc_lo, 1.0, v83, 1.0
	v_rcp_f32_e32 v85, v82
	v_nop
	s_delay_alu instid0(TRANS32_DEP_1) | instskip(NEXT) | instid1(VALU_DEP_1)
	v_fma_f32 v86, -v82, v85, 1.0
	v_fmac_f32_e32 v85, v86, v85
	s_delay_alu instid0(VALU_DEP_1) | instskip(NEXT) | instid1(VALU_DEP_1)
	v_mul_f32_e32 v86, v87, v85
	v_fma_f32 v88, -v82, v86, v87
	s_delay_alu instid0(VALU_DEP_1) | instskip(NEXT) | instid1(VALU_DEP_1)
	v_fmac_f32_e32 v86, v88, v85
	v_fma_f32 v82, -v82, v86, v87
	s_delay_alu instid0(VALU_DEP_1) | instskip(NEXT) | instid1(VALU_DEP_1)
	v_div_fmas_f32 v82, v82, v85, v86
	v_div_fixup_f32 v82, v82, v83, 1.0
	s_delay_alu instid0(VALU_DEP_1)
	v_mul_f32_e32 v84, v84, v82
	v_xor_b32_e32 v85, 0x80000000, v82
                                        ; implicit-def: $vgpr82_vgpr83
.LBB31_77:
	s_and_not1_saveexec_b32 s1, s1
	s_cbranch_execz .LBB31_79
; %bb.78:
	v_div_scale_f32 v84, null, v82, v82, v83
	v_div_scale_f32 v87, vcc_lo, v83, v82, v83
	s_delay_alu instid0(VALU_DEP_2) | instskip(SKIP_1) | instid1(TRANS32_DEP_1)
	v_rcp_f32_e32 v85, v84
	v_nop
	v_fma_f32 v86, -v84, v85, 1.0
	s_delay_alu instid0(VALU_DEP_1) | instskip(NEXT) | instid1(VALU_DEP_1)
	v_fmac_f32_e32 v85, v86, v85
	v_mul_f32_e32 v86, v87, v85
	s_delay_alu instid0(VALU_DEP_1) | instskip(NEXT) | instid1(VALU_DEP_1)
	v_fma_f32 v88, -v84, v86, v87
	v_fmac_f32_e32 v86, v88, v85
	s_delay_alu instid0(VALU_DEP_1) | instskip(NEXT) | instid1(VALU_DEP_1)
	v_fma_f32 v84, -v84, v86, v87
	v_div_fmas_f32 v84, v84, v85, v86
	s_delay_alu instid0(VALU_DEP_1) | instskip(NEXT) | instid1(VALU_DEP_1)
	v_div_fixup_f32 v85, v84, v82, v83
	v_fmac_f32_e32 v82, v83, v85
	s_delay_alu instid0(VALU_DEP_1) | instskip(NEXT) | instid1(VALU_DEP_1)
	v_div_scale_f32 v83, null, v82, v82, 1.0
	v_rcp_f32_e32 v84, v83
	v_nop
	s_delay_alu instid0(TRANS32_DEP_1) | instskip(NEXT) | instid1(VALU_DEP_1)
	v_fma_f32 v86, -v83, v84, 1.0
	v_fmac_f32_e32 v84, v86, v84
	v_div_scale_f32 v86, vcc_lo, 1.0, v82, 1.0
	s_delay_alu instid0(VALU_DEP_1) | instskip(NEXT) | instid1(VALU_DEP_1)
	v_mul_f32_e32 v87, v86, v84
	v_fma_f32 v88, -v83, v87, v86
	s_delay_alu instid0(VALU_DEP_1) | instskip(NEXT) | instid1(VALU_DEP_1)
	v_fmac_f32_e32 v87, v88, v84
	v_fma_f32 v83, -v83, v87, v86
	s_delay_alu instid0(VALU_DEP_1) | instskip(NEXT) | instid1(VALU_DEP_1)
	v_div_fmas_f32 v83, v83, v84, v87
	v_div_fixup_f32 v84, v83, v82, 1.0
	s_delay_alu instid0(VALU_DEP_1)
	v_mul_f32_e64 v85, v85, -v84
.LBB31_79:
	s_or_b32 exec_lo, exec_lo, s1
	ds_store_b64 v99, v[84:85]
.LBB31_80:
	s_or_b32 exec_lo, exec_lo, s2
	s_wait_dscnt 0x0
	s_barrier_signal -1
	s_barrier_wait -1
	ds_load_b64 v[82:83], v99
	s_mov_b32 s1, exec_lo
	v_cmpx_lt_u32_e32 8, v98
	s_cbranch_execz .LBB31_82
; %bb.81:
	s_wait_dscnt 0x0
	v_pk_mul_f32 v[84:85], v[82:83], v[56:57] op_sel:[1,1] op_sel_hi:[0,1]
	s_delay_alu instid0(VALU_DEP_1)
	v_pk_fma_f32 v[88:89], v[82:83], v[56:57], v[84:85] op_sel_hi:[1,0,1] neg_lo:[0,0,1] neg_hi:[0,0,1]
	v_pk_fma_f32 v[90:91], v[82:83], v[56:57], v[84:85] op_sel_hi:[1,0,1]
	ds_load_2addr_b64 v[84:87], v100 offset0:9 offset1:10
	v_dual_mov_b32 v56, v88 :: v_dual_mov_b32 v57, v91
	s_wait_dscnt 0x0
	v_pk_mul_f32 v[92:93], v[84:85], v[90:91] op_sel:[0,1]
	s_delay_alu instid0(VALU_DEP_1) | instskip(SKIP_1) | instid1(VALU_DEP_1)
	v_pk_fma_f32 v[94:95], v[84:85], v[88:89], v[92:93] op_sel:[0,0,1] op_sel_hi:[1,1,0] neg_lo:[0,0,1] neg_hi:[0,0,1]
	v_pk_fma_f32 v[84:85], v[84:85], v[88:89], v[92:93] op_sel:[0,0,1] op_sel_hi:[1,0,0]
	v_mov_b32_e32 v95, v85
	v_pk_mul_f32 v[84:85], v[86:87], v[90:91] op_sel:[0,1]
	s_delay_alu instid0(VALU_DEP_1) | instskip(SKIP_1) | instid1(VALU_DEP_1)
	v_pk_fma_f32 v[92:93], v[86:87], v[88:89], v[84:85] op_sel:[0,0,1] op_sel_hi:[1,1,0] neg_lo:[0,0,1] neg_hi:[0,0,1]
	v_pk_fma_f32 v[84:85], v[86:87], v[88:89], v[84:85] op_sel:[0,0,1] op_sel_hi:[1,0,0]
	v_mov_b32_e32 v93, v85
	ds_load_2addr_b64 v[84:87], v100 offset0:11 offset1:12
	v_pk_add_f32 v[50:51], v[50:51], v[94:95] neg_lo:[0,1] neg_hi:[0,1]
	v_pk_add_f32 v[54:55], v[54:55], v[92:93] neg_lo:[0,1] neg_hi:[0,1]
	s_wait_dscnt 0x0
	v_pk_mul_f32 v[92:93], v[84:85], v[90:91] op_sel:[0,1]
	s_delay_alu instid0(VALU_DEP_1) | instskip(SKIP_2) | instid1(VALU_DEP_2)
	v_pk_fma_f32 v[94:95], v[84:85], v[88:89], v[92:93] op_sel:[0,0,1] op_sel_hi:[1,1,0] neg_lo:[0,0,1] neg_hi:[0,0,1]
	v_pk_fma_f32 v[84:85], v[84:85], v[88:89], v[92:93] op_sel:[0,0,1] op_sel_hi:[1,0,0]
	v_dual_mul_f32 v92, v87, v91 :: v_dual_mov_b32 v84, v87
	v_dual_mov_b32 v95, v85 :: v_dual_mov_b32 v85, v86
	s_delay_alu instid0(VALU_DEP_2) | instskip(SKIP_1) | instid1(VALU_DEP_3)
	v_pk_fma_f32 v[92:93], v[86:87], v[56:57], v[92:93] op_sel_hi:[1,1,0] neg_lo:[0,0,1] neg_hi:[0,0,1]
	v_mul_f32_e32 v86, v87, v88
	v_pk_add_f32 v[48:49], v[48:49], v[94:95] neg_lo:[0,1] neg_hi:[0,1]
	s_delay_alu instid0(VALU_DEP_2) | instskip(NEXT) | instid1(VALU_DEP_1)
	v_pk_fma_f32 v[84:85], v[84:85], v[56:57], v[86:87] op_sel_hi:[1,1,0]
	v_mov_b32_e32 v93, v85
	ds_load_2addr_b64 v[84:87], v100 offset0:13 offset1:14
	v_pk_add_f32 v[64:65], v[64:65], v[92:93] neg_lo:[0,1] neg_hi:[0,1]
	s_wait_dscnt 0x0
	v_pk_mul_f32 v[92:93], v[84:85], v[90:91] op_sel:[0,1]
	s_delay_alu instid0(VALU_DEP_1) | instskip(SKIP_1) | instid1(VALU_DEP_1)
	v_pk_fma_f32 v[94:95], v[84:85], v[88:89], v[92:93] op_sel:[0,0,1] op_sel_hi:[1,1,0] neg_lo:[0,0,1] neg_hi:[0,0,1]
	v_pk_fma_f32 v[84:85], v[84:85], v[88:89], v[92:93] op_sel:[0,0,1] op_sel_hi:[1,0,0]
	v_mov_b32_e32 v95, v85
	v_pk_mul_f32 v[84:85], v[86:87], v[90:91] op_sel:[0,1]
	s_delay_alu instid0(VALU_DEP_1) | instskip(SKIP_1) | instid1(VALU_DEP_1)
	v_pk_fma_f32 v[92:93], v[86:87], v[88:89], v[84:85] op_sel:[0,0,1] op_sel_hi:[1,1,0] neg_lo:[0,0,1] neg_hi:[0,0,1]
	v_pk_fma_f32 v[84:85], v[86:87], v[88:89], v[84:85] op_sel:[0,0,1] op_sel_hi:[1,0,0]
	v_mov_b32_e32 v93, v85
	ds_load_b64 v[84:85], v100 offset:120
	v_pk_add_f32 v[60:61], v[60:61], v[94:95] neg_lo:[0,1] neg_hi:[0,1]
	v_pk_add_f32 v[58:59], v[58:59], v[92:93] neg_lo:[0,1] neg_hi:[0,1]
	s_wait_dscnt 0x0
	v_pk_mul_f32 v[86:87], v[84:85], v[90:91] op_sel:[0,1]
	s_delay_alu instid0(VALU_DEP_1) | instskip(SKIP_1) | instid1(VALU_DEP_1)
	v_pk_fma_f32 v[90:91], v[84:85], v[88:89], v[86:87] op_sel:[0,0,1] op_sel_hi:[1,1,0] neg_lo:[0,0,1] neg_hi:[0,0,1]
	v_pk_fma_f32 v[84:85], v[84:85], v[88:89], v[86:87] op_sel:[0,0,1] op_sel_hi:[1,0,0]
	v_mov_b32_e32 v91, v85
	s_delay_alu instid0(VALU_DEP_1)
	v_pk_add_f32 v[62:63], v[62:63], v[90:91] neg_lo:[0,1] neg_hi:[0,1]
.LBB31_82:
	s_or_b32 exec_lo, exec_lo, s1
	s_delay_alu instid0(SALU_CYCLE_1)
	s_mov_b32 s2, exec_lo
	s_wait_dscnt 0x0
	s_barrier_signal -1
	s_barrier_wait -1
	v_cmpx_eq_u32_e32 9, v98
	s_cbranch_execz .LBB31_89
; %bb.83:
	v_dual_mov_b32 v84, v54 :: v_dual_mov_b32 v85, v55
	v_dual_mov_b32 v86, v48 :: v_dual_mov_b32 v87, v49
	v_dual_mov_b32 v88, v64 :: v_dual_mov_b32 v89, v65
	v_dual_mov_b32 v90, v60 :: v_dual_mov_b32 v91, v61
	v_dual_mov_b32 v92, v58 :: v_dual_mov_b32 v93, v59
	ds_store_b64 v99, v[50:51]
	ds_store_2addr_b64 v100, v[84:85], v[86:87] offset0:10 offset1:11
	ds_store_2addr_b64 v100, v[88:89], v[90:91] offset0:12 offset1:13
	ds_store_2addr_b64 v100, v[92:93], v[62:63] offset0:14 offset1:15
	ds_load_b64 v[84:85], v99
	s_wait_dscnt 0x0
	v_cmp_neq_f32_e32 vcc_lo, 0, v84
	v_cmp_neq_f32_e64 s1, 0, v85
	s_or_b32 s1, vcc_lo, s1
	s_delay_alu instid0(SALU_CYCLE_1)
	s_and_b32 exec_lo, exec_lo, s1
	s_cbranch_execz .LBB31_89
; %bb.84:
	v_cmp_ngt_f32_e64 s1, |v84|, |v85|
                                        ; implicit-def: $vgpr86_vgpr87
	s_and_saveexec_b32 s4, s1
	s_delay_alu instid0(SALU_CYCLE_1)
	s_xor_b32 s1, exec_lo, s4
	s_cbranch_execz .LBB31_86
; %bb.85:
	v_div_scale_f32 v86, null, v85, v85, v84
	v_div_scale_f32 v89, vcc_lo, v84, v85, v84
	s_delay_alu instid0(VALU_DEP_2) | instskip(SKIP_1) | instid1(TRANS32_DEP_1)
	v_rcp_f32_e32 v87, v86
	v_nop
	v_fma_f32 v88, -v86, v87, 1.0
	s_delay_alu instid0(VALU_DEP_1) | instskip(NEXT) | instid1(VALU_DEP_1)
	v_fmac_f32_e32 v87, v88, v87
	v_mul_f32_e32 v88, v89, v87
	s_delay_alu instid0(VALU_DEP_1) | instskip(NEXT) | instid1(VALU_DEP_1)
	v_fma_f32 v90, -v86, v88, v89
	v_fmac_f32_e32 v88, v90, v87
	s_delay_alu instid0(VALU_DEP_1) | instskip(NEXT) | instid1(VALU_DEP_1)
	v_fma_f32 v86, -v86, v88, v89
	v_div_fmas_f32 v86, v86, v87, v88
	s_delay_alu instid0(VALU_DEP_1) | instskip(NEXT) | instid1(VALU_DEP_1)
	v_div_fixup_f32 v86, v86, v85, v84
	v_fmac_f32_e32 v85, v84, v86
	s_delay_alu instid0(VALU_DEP_1) | instskip(SKIP_1) | instid1(VALU_DEP_2)
	v_div_scale_f32 v84, null, v85, v85, 1.0
	v_div_scale_f32 v89, vcc_lo, 1.0, v85, 1.0
	v_rcp_f32_e32 v87, v84
	v_nop
	s_delay_alu instid0(TRANS32_DEP_1) | instskip(NEXT) | instid1(VALU_DEP_1)
	v_fma_f32 v88, -v84, v87, 1.0
	v_fmac_f32_e32 v87, v88, v87
	s_delay_alu instid0(VALU_DEP_1) | instskip(NEXT) | instid1(VALU_DEP_1)
	v_mul_f32_e32 v88, v89, v87
	v_fma_f32 v90, -v84, v88, v89
	s_delay_alu instid0(VALU_DEP_1) | instskip(NEXT) | instid1(VALU_DEP_1)
	v_fmac_f32_e32 v88, v90, v87
	v_fma_f32 v84, -v84, v88, v89
	s_delay_alu instid0(VALU_DEP_1) | instskip(NEXT) | instid1(VALU_DEP_1)
	v_div_fmas_f32 v84, v84, v87, v88
	v_div_fixup_f32 v84, v84, v85, 1.0
	s_delay_alu instid0(VALU_DEP_1)
	v_mul_f32_e32 v86, v86, v84
	v_xor_b32_e32 v87, 0x80000000, v84
                                        ; implicit-def: $vgpr84_vgpr85
.LBB31_86:
	s_and_not1_saveexec_b32 s1, s1
	s_cbranch_execz .LBB31_88
; %bb.87:
	v_div_scale_f32 v86, null, v84, v84, v85
	v_div_scale_f32 v89, vcc_lo, v85, v84, v85
	s_delay_alu instid0(VALU_DEP_2) | instskip(SKIP_1) | instid1(TRANS32_DEP_1)
	v_rcp_f32_e32 v87, v86
	v_nop
	v_fma_f32 v88, -v86, v87, 1.0
	s_delay_alu instid0(VALU_DEP_1) | instskip(NEXT) | instid1(VALU_DEP_1)
	v_fmac_f32_e32 v87, v88, v87
	v_mul_f32_e32 v88, v89, v87
	s_delay_alu instid0(VALU_DEP_1) | instskip(NEXT) | instid1(VALU_DEP_1)
	v_fma_f32 v90, -v86, v88, v89
	v_fmac_f32_e32 v88, v90, v87
	s_delay_alu instid0(VALU_DEP_1) | instskip(NEXT) | instid1(VALU_DEP_1)
	v_fma_f32 v86, -v86, v88, v89
	v_div_fmas_f32 v86, v86, v87, v88
	s_delay_alu instid0(VALU_DEP_1) | instskip(NEXT) | instid1(VALU_DEP_1)
	v_div_fixup_f32 v87, v86, v84, v85
	v_fmac_f32_e32 v84, v85, v87
	s_delay_alu instid0(VALU_DEP_1) | instskip(NEXT) | instid1(VALU_DEP_1)
	v_div_scale_f32 v85, null, v84, v84, 1.0
	v_rcp_f32_e32 v86, v85
	v_nop
	s_delay_alu instid0(TRANS32_DEP_1) | instskip(NEXT) | instid1(VALU_DEP_1)
	v_fma_f32 v88, -v85, v86, 1.0
	v_fmac_f32_e32 v86, v88, v86
	v_div_scale_f32 v88, vcc_lo, 1.0, v84, 1.0
	s_delay_alu instid0(VALU_DEP_1) | instskip(NEXT) | instid1(VALU_DEP_1)
	v_mul_f32_e32 v89, v88, v86
	v_fma_f32 v90, -v85, v89, v88
	s_delay_alu instid0(VALU_DEP_1) | instskip(NEXT) | instid1(VALU_DEP_1)
	v_fmac_f32_e32 v89, v90, v86
	v_fma_f32 v85, -v85, v89, v88
	s_delay_alu instid0(VALU_DEP_1) | instskip(NEXT) | instid1(VALU_DEP_1)
	v_div_fmas_f32 v85, v85, v86, v89
	v_div_fixup_f32 v86, v85, v84, 1.0
	s_delay_alu instid0(VALU_DEP_1)
	v_mul_f32_e64 v87, v87, -v86
.LBB31_88:
	s_or_b32 exec_lo, exec_lo, s1
	ds_store_b64 v99, v[86:87]
.LBB31_89:
	s_or_b32 exec_lo, exec_lo, s2
	s_wait_dscnt 0x0
	s_barrier_signal -1
	s_barrier_wait -1
	ds_load_b64 v[84:85], v99
	s_mov_b32 s1, exec_lo
	v_cmpx_lt_u32_e32 9, v98
	s_cbranch_execz .LBB31_91
; %bb.90:
	s_wait_dscnt 0x0
	v_pk_mul_f32 v[86:87], v[84:85], v[50:51] op_sel:[1,1] op_sel_hi:[0,1]
	s_delay_alu instid0(VALU_DEP_1)
	v_pk_fma_f32 v[90:91], v[84:85], v[50:51], v[86:87] op_sel_hi:[1,0,1] neg_lo:[0,0,1] neg_hi:[0,0,1]
	v_pk_fma_f32 v[92:93], v[84:85], v[50:51], v[86:87] op_sel_hi:[1,0,1]
	ds_load_2addr_b64 v[86:89], v100 offset0:10 offset1:11
	v_dual_mov_b32 v50, v90 :: v_dual_mov_b32 v51, v93
	s_wait_dscnt 0x0
	v_pk_mul_f32 v[94:95], v[86:87], v[92:93] op_sel:[0,1]
	s_delay_alu instid0(VALU_DEP_1) | instskip(SKIP_1) | instid1(VALU_DEP_1)
	v_pk_fma_f32 v[96:97], v[86:87], v[90:91], v[94:95] op_sel:[0,0,1] op_sel_hi:[1,1,0] neg_lo:[0,0,1] neg_hi:[0,0,1]
	v_pk_fma_f32 v[86:87], v[86:87], v[90:91], v[94:95] op_sel:[0,0,1] op_sel_hi:[1,0,0]
	v_mov_b32_e32 v97, v87
	v_pk_mul_f32 v[86:87], v[88:89], v[92:93] op_sel:[0,1]
	s_delay_alu instid0(VALU_DEP_1) | instskip(SKIP_1) | instid1(VALU_DEP_1)
	v_pk_fma_f32 v[94:95], v[88:89], v[90:91], v[86:87] op_sel:[0,0,1] op_sel_hi:[1,1,0] neg_lo:[0,0,1] neg_hi:[0,0,1]
	v_pk_fma_f32 v[86:87], v[88:89], v[90:91], v[86:87] op_sel:[0,0,1] op_sel_hi:[1,0,0]
	v_mov_b32_e32 v95, v87
	ds_load_2addr_b64 v[86:89], v100 offset0:12 offset1:13
	v_pk_add_f32 v[54:55], v[54:55], v[96:97] neg_lo:[0,1] neg_hi:[0,1]
	v_pk_add_f32 v[48:49], v[48:49], v[94:95] neg_lo:[0,1] neg_hi:[0,1]
	s_wait_dscnt 0x0
	v_pk_mul_f32 v[94:95], v[86:87], v[92:93] op_sel:[0,1]
	s_delay_alu instid0(VALU_DEP_1) | instskip(SKIP_2) | instid1(VALU_DEP_2)
	v_pk_fma_f32 v[96:97], v[86:87], v[90:91], v[94:95] op_sel:[0,0,1] op_sel_hi:[1,1,0] neg_lo:[0,0,1] neg_hi:[0,0,1]
	v_pk_fma_f32 v[86:87], v[86:87], v[90:91], v[94:95] op_sel:[0,0,1] op_sel_hi:[1,0,0]
	v_dual_mul_f32 v94, v89, v93 :: v_dual_mov_b32 v86, v89
	v_dual_mov_b32 v97, v87 :: v_dual_mov_b32 v87, v88
	s_delay_alu instid0(VALU_DEP_2) | instskip(SKIP_1) | instid1(VALU_DEP_3)
	v_pk_fma_f32 v[94:95], v[88:89], v[50:51], v[94:95] op_sel_hi:[1,1,0] neg_lo:[0,0,1] neg_hi:[0,0,1]
	v_mul_f32_e32 v88, v89, v90
	v_pk_add_f32 v[64:65], v[64:65], v[96:97] neg_lo:[0,1] neg_hi:[0,1]
	s_delay_alu instid0(VALU_DEP_2) | instskip(NEXT) | instid1(VALU_DEP_1)
	v_pk_fma_f32 v[86:87], v[86:87], v[50:51], v[88:89] op_sel_hi:[1,1,0]
	v_mov_b32_e32 v95, v87
	ds_load_2addr_b64 v[86:89], v100 offset0:14 offset1:15
	v_pk_add_f32 v[60:61], v[60:61], v[94:95] neg_lo:[0,1] neg_hi:[0,1]
	s_wait_dscnt 0x0
	v_pk_mul_f32 v[94:95], v[86:87], v[92:93] op_sel:[0,1]
	v_mul_f32_e32 v92, v89, v93
	s_delay_alu instid0(VALU_DEP_2) | instskip(SKIP_2) | instid1(VALU_DEP_4)
	v_pk_fma_f32 v[96:97], v[86:87], v[90:91], v[94:95] op_sel:[0,0,1] op_sel_hi:[1,1,0] neg_lo:[0,0,1] neg_hi:[0,0,1]
	v_pk_fma_f32 v[86:87], v[86:87], v[90:91], v[94:95] op_sel:[0,0,1] op_sel_hi:[1,0,0]
	v_mov_b32_e32 v86, v89
	v_pk_fma_f32 v[92:93], v[88:89], v[50:51], v[92:93] op_sel_hi:[1,1,0] neg_lo:[0,0,1] neg_hi:[0,0,1]
	s_delay_alu instid0(VALU_DEP_3) | instskip(SKIP_1) | instid1(VALU_DEP_2)
	v_dual_mov_b32 v97, v87 :: v_dual_mov_b32 v87, v88
	v_mul_f32_e32 v88, v89, v90
	v_pk_add_f32 v[58:59], v[58:59], v[96:97] neg_lo:[0,1] neg_hi:[0,1]
	s_delay_alu instid0(VALU_DEP_2) | instskip(NEXT) | instid1(VALU_DEP_1)
	v_pk_fma_f32 v[86:87], v[86:87], v[50:51], v[88:89] op_sel_hi:[1,1,0]
	v_mov_b32_e32 v93, v87
	s_delay_alu instid0(VALU_DEP_1)
	v_pk_add_f32 v[62:63], v[62:63], v[92:93] neg_lo:[0,1] neg_hi:[0,1]
.LBB31_91:
	s_or_b32 exec_lo, exec_lo, s1
	s_delay_alu instid0(SALU_CYCLE_1)
	s_mov_b32 s2, exec_lo
	s_wait_dscnt 0x0
	s_barrier_signal -1
	s_barrier_wait -1
	v_cmpx_eq_u32_e32 10, v98
	s_cbranch_execz .LBB31_98
; %bb.92:
	ds_store_b64 v99, v[54:55]
	ds_store_2addr_b64 v100, v[48:49], v[64:65] offset0:11 offset1:12
	ds_store_2addr_b64 v100, v[60:61], v[58:59] offset0:13 offset1:14
	ds_store_b64 v100, v[62:63] offset:120
	ds_load_b64 v[86:87], v99
	s_wait_dscnt 0x0
	v_cmp_neq_f32_e32 vcc_lo, 0, v86
	v_cmp_neq_f32_e64 s1, 0, v87
	s_or_b32 s1, vcc_lo, s1
	s_delay_alu instid0(SALU_CYCLE_1)
	s_and_b32 exec_lo, exec_lo, s1
	s_cbranch_execz .LBB31_98
; %bb.93:
	v_cmp_ngt_f32_e64 s1, |v86|, |v87|
                                        ; implicit-def: $vgpr88_vgpr89
	s_and_saveexec_b32 s4, s1
	s_delay_alu instid0(SALU_CYCLE_1)
	s_xor_b32 s1, exec_lo, s4
	s_cbranch_execz .LBB31_95
; %bb.94:
	v_div_scale_f32 v88, null, v87, v87, v86
	v_div_scale_f32 v91, vcc_lo, v86, v87, v86
	s_delay_alu instid0(VALU_DEP_2) | instskip(SKIP_1) | instid1(TRANS32_DEP_1)
	v_rcp_f32_e32 v89, v88
	v_nop
	v_fma_f32 v90, -v88, v89, 1.0
	s_delay_alu instid0(VALU_DEP_1) | instskip(NEXT) | instid1(VALU_DEP_1)
	v_fmac_f32_e32 v89, v90, v89
	v_mul_f32_e32 v90, v91, v89
	s_delay_alu instid0(VALU_DEP_1) | instskip(NEXT) | instid1(VALU_DEP_1)
	v_fma_f32 v92, -v88, v90, v91
	v_fmac_f32_e32 v90, v92, v89
	s_delay_alu instid0(VALU_DEP_1) | instskip(NEXT) | instid1(VALU_DEP_1)
	v_fma_f32 v88, -v88, v90, v91
	v_div_fmas_f32 v88, v88, v89, v90
	s_delay_alu instid0(VALU_DEP_1) | instskip(NEXT) | instid1(VALU_DEP_1)
	v_div_fixup_f32 v88, v88, v87, v86
	v_fmac_f32_e32 v87, v86, v88
	s_delay_alu instid0(VALU_DEP_1) | instskip(SKIP_1) | instid1(VALU_DEP_2)
	v_div_scale_f32 v86, null, v87, v87, 1.0
	v_div_scale_f32 v91, vcc_lo, 1.0, v87, 1.0
	v_rcp_f32_e32 v89, v86
	v_nop
	s_delay_alu instid0(TRANS32_DEP_1) | instskip(NEXT) | instid1(VALU_DEP_1)
	v_fma_f32 v90, -v86, v89, 1.0
	v_fmac_f32_e32 v89, v90, v89
	s_delay_alu instid0(VALU_DEP_1) | instskip(NEXT) | instid1(VALU_DEP_1)
	v_mul_f32_e32 v90, v91, v89
	v_fma_f32 v92, -v86, v90, v91
	s_delay_alu instid0(VALU_DEP_1) | instskip(NEXT) | instid1(VALU_DEP_1)
	v_fmac_f32_e32 v90, v92, v89
	v_fma_f32 v86, -v86, v90, v91
	s_delay_alu instid0(VALU_DEP_1) | instskip(NEXT) | instid1(VALU_DEP_1)
	v_div_fmas_f32 v86, v86, v89, v90
	v_div_fixup_f32 v86, v86, v87, 1.0
	s_delay_alu instid0(VALU_DEP_1)
	v_mul_f32_e32 v88, v88, v86
	v_xor_b32_e32 v89, 0x80000000, v86
                                        ; implicit-def: $vgpr86_vgpr87
.LBB31_95:
	s_and_not1_saveexec_b32 s1, s1
	s_cbranch_execz .LBB31_97
; %bb.96:
	v_div_scale_f32 v88, null, v86, v86, v87
	v_div_scale_f32 v91, vcc_lo, v87, v86, v87
	s_delay_alu instid0(VALU_DEP_2) | instskip(SKIP_1) | instid1(TRANS32_DEP_1)
	v_rcp_f32_e32 v89, v88
	v_nop
	v_fma_f32 v90, -v88, v89, 1.0
	s_delay_alu instid0(VALU_DEP_1) | instskip(NEXT) | instid1(VALU_DEP_1)
	v_fmac_f32_e32 v89, v90, v89
	v_mul_f32_e32 v90, v91, v89
	s_delay_alu instid0(VALU_DEP_1) | instskip(NEXT) | instid1(VALU_DEP_1)
	v_fma_f32 v92, -v88, v90, v91
	v_fmac_f32_e32 v90, v92, v89
	s_delay_alu instid0(VALU_DEP_1) | instskip(NEXT) | instid1(VALU_DEP_1)
	v_fma_f32 v88, -v88, v90, v91
	v_div_fmas_f32 v88, v88, v89, v90
	s_delay_alu instid0(VALU_DEP_1) | instskip(NEXT) | instid1(VALU_DEP_1)
	v_div_fixup_f32 v89, v88, v86, v87
	v_fmac_f32_e32 v86, v87, v89
	s_delay_alu instid0(VALU_DEP_1) | instskip(NEXT) | instid1(VALU_DEP_1)
	v_div_scale_f32 v87, null, v86, v86, 1.0
	v_rcp_f32_e32 v88, v87
	v_nop
	s_delay_alu instid0(TRANS32_DEP_1) | instskip(NEXT) | instid1(VALU_DEP_1)
	v_fma_f32 v90, -v87, v88, 1.0
	v_fmac_f32_e32 v88, v90, v88
	v_div_scale_f32 v90, vcc_lo, 1.0, v86, 1.0
	s_delay_alu instid0(VALU_DEP_1) | instskip(NEXT) | instid1(VALU_DEP_1)
	v_mul_f32_e32 v91, v90, v88
	v_fma_f32 v92, -v87, v91, v90
	s_delay_alu instid0(VALU_DEP_1) | instskip(NEXT) | instid1(VALU_DEP_1)
	v_fmac_f32_e32 v91, v92, v88
	v_fma_f32 v87, -v87, v91, v90
	s_delay_alu instid0(VALU_DEP_1) | instskip(NEXT) | instid1(VALU_DEP_1)
	v_div_fmas_f32 v87, v87, v88, v91
	v_div_fixup_f32 v88, v87, v86, 1.0
	s_delay_alu instid0(VALU_DEP_1)
	v_mul_f32_e64 v89, v89, -v88
.LBB31_97:
	s_or_b32 exec_lo, exec_lo, s1
	ds_store_b64 v99, v[88:89]
.LBB31_98:
	s_or_b32 exec_lo, exec_lo, s2
	s_wait_dscnt 0x0
	s_barrier_signal -1
	s_barrier_wait -1
	ds_load_b64 v[86:87], v99
	s_mov_b32 s1, exec_lo
	v_cmpx_lt_u32_e32 10, v98
	s_cbranch_execz .LBB31_100
; %bb.99:
	s_wait_dscnt 0x0
	v_pk_mul_f32 v[88:89], v[86:87], v[54:55] op_sel:[1,1] op_sel_hi:[0,1]
	s_delay_alu instid0(VALU_DEP_1)
	v_pk_fma_f32 v[92:93], v[86:87], v[54:55], v[88:89] op_sel_hi:[1,0,1] neg_lo:[0,0,1] neg_hi:[0,0,1]
	v_pk_fma_f32 v[94:95], v[86:87], v[54:55], v[88:89] op_sel_hi:[1,0,1]
	ds_load_2addr_b64 v[88:91], v100 offset0:11 offset1:12
	v_dual_mov_b32 v54, v92 :: v_dual_mov_b32 v55, v95
	s_wait_dscnt 0x0
	v_pk_mul_f32 v[96:97], v[88:89], v[94:95] op_sel:[0,1]
	s_delay_alu instid0(VALU_DEP_1) | instskip(SKIP_1) | instid1(VALU_DEP_1)
	v_pk_fma_f32 v[102:103], v[88:89], v[92:93], v[96:97] op_sel:[0,0,1] op_sel_hi:[1,1,0] neg_lo:[0,0,1] neg_hi:[0,0,1]
	v_pk_fma_f32 v[88:89], v[88:89], v[92:93], v[96:97] op_sel:[0,0,1] op_sel_hi:[1,0,0]
	v_mov_b32_e32 v103, v89
	v_pk_mul_f32 v[88:89], v[90:91], v[94:95] op_sel:[0,1]
	s_delay_alu instid0(VALU_DEP_1) | instskip(SKIP_1) | instid1(VALU_DEP_1)
	v_pk_fma_f32 v[96:97], v[90:91], v[92:93], v[88:89] op_sel:[0,0,1] op_sel_hi:[1,1,0] neg_lo:[0,0,1] neg_hi:[0,0,1]
	v_pk_fma_f32 v[88:89], v[90:91], v[92:93], v[88:89] op_sel:[0,0,1] op_sel_hi:[1,0,0]
	v_mov_b32_e32 v97, v89
	ds_load_2addr_b64 v[88:91], v100 offset0:13 offset1:14
	v_pk_add_f32 v[48:49], v[48:49], v[102:103] neg_lo:[0,1] neg_hi:[0,1]
	v_pk_add_f32 v[64:65], v[64:65], v[96:97] neg_lo:[0,1] neg_hi:[0,1]
	s_wait_dscnt 0x0
	v_pk_mul_f32 v[96:97], v[88:89], v[94:95] op_sel:[0,1]
	s_delay_alu instid0(VALU_DEP_1) | instskip(SKIP_2) | instid1(VALU_DEP_2)
	v_pk_fma_f32 v[102:103], v[88:89], v[92:93], v[96:97] op_sel:[0,0,1] op_sel_hi:[1,1,0] neg_lo:[0,0,1] neg_hi:[0,0,1]
	v_pk_fma_f32 v[88:89], v[88:89], v[92:93], v[96:97] op_sel:[0,0,1] op_sel_hi:[1,0,0]
	v_dual_mul_f32 v96, v91, v95 :: v_dual_mov_b32 v88, v91
	v_dual_mov_b32 v103, v89 :: v_dual_mov_b32 v89, v90
	s_delay_alu instid0(VALU_DEP_2) | instskip(SKIP_1) | instid1(VALU_DEP_3)
	v_pk_fma_f32 v[96:97], v[90:91], v[54:55], v[96:97] op_sel_hi:[1,1,0] neg_lo:[0,0,1] neg_hi:[0,0,1]
	v_mul_f32_e32 v90, v91, v92
	v_pk_add_f32 v[60:61], v[60:61], v[102:103] neg_lo:[0,1] neg_hi:[0,1]
	s_delay_alu instid0(VALU_DEP_2) | instskip(NEXT) | instid1(VALU_DEP_1)
	v_pk_fma_f32 v[88:89], v[88:89], v[54:55], v[90:91] op_sel_hi:[1,1,0]
	v_mov_b32_e32 v97, v89
	ds_load_b64 v[88:89], v100 offset:120
	v_pk_add_f32 v[58:59], v[58:59], v[96:97] neg_lo:[0,1] neg_hi:[0,1]
	s_wait_dscnt 0x0
	v_pk_mul_f32 v[90:91], v[88:89], v[94:95] op_sel:[0,1]
	s_delay_alu instid0(VALU_DEP_1) | instskip(SKIP_1) | instid1(VALU_DEP_1)
	v_pk_fma_f32 v[94:95], v[88:89], v[92:93], v[90:91] op_sel:[0,0,1] op_sel_hi:[1,1,0] neg_lo:[0,0,1] neg_hi:[0,0,1]
	v_pk_fma_f32 v[88:89], v[88:89], v[92:93], v[90:91] op_sel:[0,0,1] op_sel_hi:[1,0,0]
	v_mov_b32_e32 v95, v89
	s_delay_alu instid0(VALU_DEP_1)
	v_pk_add_f32 v[62:63], v[62:63], v[94:95] neg_lo:[0,1] neg_hi:[0,1]
.LBB31_100:
	s_or_b32 exec_lo, exec_lo, s1
	s_delay_alu instid0(SALU_CYCLE_1)
	s_mov_b32 s2, exec_lo
	s_wait_dscnt 0x0
	s_barrier_signal -1
	s_barrier_wait -1
	v_cmpx_eq_u32_e32 11, v98
	s_cbranch_execz .LBB31_107
; %bb.101:
	v_dual_mov_b32 v88, v64 :: v_dual_mov_b32 v89, v65
	v_dual_mov_b32 v90, v60 :: v_dual_mov_b32 v91, v61
	;; [unrolled: 1-line block ×3, first 2 shown]
	ds_store_b64 v99, v[48:49]
	ds_store_2addr_b64 v100, v[88:89], v[90:91] offset0:12 offset1:13
	ds_store_2addr_b64 v100, v[92:93], v[62:63] offset0:14 offset1:15
	ds_load_b64 v[88:89], v99
	s_wait_dscnt 0x0
	v_cmp_neq_f32_e32 vcc_lo, 0, v88
	v_cmp_neq_f32_e64 s1, 0, v89
	s_or_b32 s1, vcc_lo, s1
	s_delay_alu instid0(SALU_CYCLE_1)
	s_and_b32 exec_lo, exec_lo, s1
	s_cbranch_execz .LBB31_107
; %bb.102:
	v_cmp_ngt_f32_e64 s1, |v88|, |v89|
                                        ; implicit-def: $vgpr90_vgpr91
	s_and_saveexec_b32 s4, s1
	s_delay_alu instid0(SALU_CYCLE_1)
	s_xor_b32 s1, exec_lo, s4
	s_cbranch_execz .LBB31_104
; %bb.103:
	v_div_scale_f32 v90, null, v89, v89, v88
	v_div_scale_f32 v93, vcc_lo, v88, v89, v88
	s_delay_alu instid0(VALU_DEP_2) | instskip(SKIP_1) | instid1(TRANS32_DEP_1)
	v_rcp_f32_e32 v91, v90
	v_nop
	v_fma_f32 v92, -v90, v91, 1.0
	s_delay_alu instid0(VALU_DEP_1) | instskip(NEXT) | instid1(VALU_DEP_1)
	v_fmac_f32_e32 v91, v92, v91
	v_mul_f32_e32 v92, v93, v91
	s_delay_alu instid0(VALU_DEP_1) | instskip(NEXT) | instid1(VALU_DEP_1)
	v_fma_f32 v94, -v90, v92, v93
	v_fmac_f32_e32 v92, v94, v91
	s_delay_alu instid0(VALU_DEP_1) | instskip(NEXT) | instid1(VALU_DEP_1)
	v_fma_f32 v90, -v90, v92, v93
	v_div_fmas_f32 v90, v90, v91, v92
	s_delay_alu instid0(VALU_DEP_1) | instskip(NEXT) | instid1(VALU_DEP_1)
	v_div_fixup_f32 v90, v90, v89, v88
	v_fmac_f32_e32 v89, v88, v90
	s_delay_alu instid0(VALU_DEP_1) | instskip(SKIP_1) | instid1(VALU_DEP_2)
	v_div_scale_f32 v88, null, v89, v89, 1.0
	v_div_scale_f32 v93, vcc_lo, 1.0, v89, 1.0
	v_rcp_f32_e32 v91, v88
	v_nop
	s_delay_alu instid0(TRANS32_DEP_1) | instskip(NEXT) | instid1(VALU_DEP_1)
	v_fma_f32 v92, -v88, v91, 1.0
	v_fmac_f32_e32 v91, v92, v91
	s_delay_alu instid0(VALU_DEP_1) | instskip(NEXT) | instid1(VALU_DEP_1)
	v_mul_f32_e32 v92, v93, v91
	v_fma_f32 v94, -v88, v92, v93
	s_delay_alu instid0(VALU_DEP_1) | instskip(NEXT) | instid1(VALU_DEP_1)
	v_fmac_f32_e32 v92, v94, v91
	v_fma_f32 v88, -v88, v92, v93
	s_delay_alu instid0(VALU_DEP_1) | instskip(NEXT) | instid1(VALU_DEP_1)
	v_div_fmas_f32 v88, v88, v91, v92
	v_div_fixup_f32 v88, v88, v89, 1.0
	s_delay_alu instid0(VALU_DEP_1)
	v_mul_f32_e32 v90, v90, v88
	v_xor_b32_e32 v91, 0x80000000, v88
                                        ; implicit-def: $vgpr88_vgpr89
.LBB31_104:
	s_and_not1_saveexec_b32 s1, s1
	s_cbranch_execz .LBB31_106
; %bb.105:
	v_div_scale_f32 v90, null, v88, v88, v89
	v_div_scale_f32 v93, vcc_lo, v89, v88, v89
	s_delay_alu instid0(VALU_DEP_2) | instskip(SKIP_1) | instid1(TRANS32_DEP_1)
	v_rcp_f32_e32 v91, v90
	v_nop
	v_fma_f32 v92, -v90, v91, 1.0
	s_delay_alu instid0(VALU_DEP_1) | instskip(NEXT) | instid1(VALU_DEP_1)
	v_fmac_f32_e32 v91, v92, v91
	v_mul_f32_e32 v92, v93, v91
	s_delay_alu instid0(VALU_DEP_1) | instskip(NEXT) | instid1(VALU_DEP_1)
	v_fma_f32 v94, -v90, v92, v93
	v_fmac_f32_e32 v92, v94, v91
	s_delay_alu instid0(VALU_DEP_1) | instskip(NEXT) | instid1(VALU_DEP_1)
	v_fma_f32 v90, -v90, v92, v93
	v_div_fmas_f32 v90, v90, v91, v92
	s_delay_alu instid0(VALU_DEP_1) | instskip(NEXT) | instid1(VALU_DEP_1)
	v_div_fixup_f32 v91, v90, v88, v89
	v_fmac_f32_e32 v88, v89, v91
	s_delay_alu instid0(VALU_DEP_1) | instskip(NEXT) | instid1(VALU_DEP_1)
	v_div_scale_f32 v89, null, v88, v88, 1.0
	v_rcp_f32_e32 v90, v89
	v_nop
	s_delay_alu instid0(TRANS32_DEP_1) | instskip(NEXT) | instid1(VALU_DEP_1)
	v_fma_f32 v92, -v89, v90, 1.0
	v_fmac_f32_e32 v90, v92, v90
	v_div_scale_f32 v92, vcc_lo, 1.0, v88, 1.0
	s_delay_alu instid0(VALU_DEP_1) | instskip(NEXT) | instid1(VALU_DEP_1)
	v_mul_f32_e32 v93, v92, v90
	v_fma_f32 v94, -v89, v93, v92
	s_delay_alu instid0(VALU_DEP_1) | instskip(NEXT) | instid1(VALU_DEP_1)
	v_fmac_f32_e32 v93, v94, v90
	v_fma_f32 v89, -v89, v93, v92
	s_delay_alu instid0(VALU_DEP_1) | instskip(NEXT) | instid1(VALU_DEP_1)
	v_div_fmas_f32 v89, v89, v90, v93
	v_div_fixup_f32 v90, v89, v88, 1.0
	s_delay_alu instid0(VALU_DEP_1)
	v_mul_f32_e64 v91, v91, -v90
.LBB31_106:
	s_or_b32 exec_lo, exec_lo, s1
	ds_store_b64 v99, v[90:91]
.LBB31_107:
	s_or_b32 exec_lo, exec_lo, s2
	s_wait_dscnt 0x0
	s_barrier_signal -1
	s_barrier_wait -1
	ds_load_b64 v[88:89], v99
	s_mov_b32 s1, exec_lo
	v_cmpx_lt_u32_e32 11, v98
	s_cbranch_execz .LBB31_109
; %bb.108:
	s_wait_dscnt 0x0
	v_pk_mul_f32 v[90:91], v[88:89], v[48:49] op_sel:[1,1] op_sel_hi:[0,1]
	s_delay_alu instid0(VALU_DEP_1)
	v_pk_fma_f32 v[94:95], v[88:89], v[48:49], v[90:91] op_sel_hi:[1,0,1] neg_lo:[0,0,1] neg_hi:[0,0,1]
	v_pk_fma_f32 v[96:97], v[88:89], v[48:49], v[90:91] op_sel_hi:[1,0,1]
	ds_load_2addr_b64 v[90:93], v100 offset0:12 offset1:13
	v_dual_mov_b32 v48, v94 :: v_dual_mov_b32 v49, v97
	s_wait_dscnt 0x0
	v_pk_mul_f32 v[102:103], v[90:91], v[96:97] op_sel:[0,1]
	s_delay_alu instid0(VALU_DEP_1) | instskip(SKIP_1) | instid1(VALU_DEP_1)
	v_pk_fma_f32 v[104:105], v[90:91], v[94:95], v[102:103] op_sel:[0,0,1] op_sel_hi:[1,1,0] neg_lo:[0,0,1] neg_hi:[0,0,1]
	v_pk_fma_f32 v[90:91], v[90:91], v[94:95], v[102:103] op_sel:[0,0,1] op_sel_hi:[1,0,0]
	v_mov_b32_e32 v105, v91
	v_pk_mul_f32 v[90:91], v[92:93], v[96:97] op_sel:[0,1]
	s_delay_alu instid0(VALU_DEP_1) | instskip(SKIP_1) | instid1(VALU_DEP_1)
	v_pk_fma_f32 v[102:103], v[92:93], v[94:95], v[90:91] op_sel:[0,0,1] op_sel_hi:[1,1,0] neg_lo:[0,0,1] neg_hi:[0,0,1]
	v_pk_fma_f32 v[90:91], v[92:93], v[94:95], v[90:91] op_sel:[0,0,1] op_sel_hi:[1,0,0]
	v_mov_b32_e32 v103, v91
	ds_load_2addr_b64 v[90:93], v100 offset0:14 offset1:15
	v_pk_add_f32 v[64:65], v[64:65], v[104:105] neg_lo:[0,1] neg_hi:[0,1]
	v_pk_add_f32 v[60:61], v[60:61], v[102:103] neg_lo:[0,1] neg_hi:[0,1]
	s_wait_dscnt 0x0
	v_pk_mul_f32 v[102:103], v[90:91], v[96:97] op_sel:[0,1]
	s_delay_alu instid0(VALU_DEP_1) | instskip(SKIP_1) | instid1(VALU_DEP_1)
	v_pk_fma_f32 v[104:105], v[90:91], v[94:95], v[102:103] op_sel:[0,0,1] op_sel_hi:[1,1,0] neg_lo:[0,0,1] neg_hi:[0,0,1]
	v_pk_fma_f32 v[90:91], v[90:91], v[94:95], v[102:103] op_sel:[0,0,1] op_sel_hi:[1,0,0]
	v_dual_mov_b32 v90, v93 :: v_dual_mov_b32 v105, v91
	v_mov_b32_e32 v91, v92
	s_delay_alu instid0(VALU_DEP_2) | instskip(NEXT) | instid1(VALU_DEP_2)
	v_pk_add_f32 v[58:59], v[58:59], v[104:105] neg_lo:[0,1] neg_hi:[0,1]
	v_pk_mul_f32 v[90:91], v[90:91], v[96:97] op_sel:[0,1]
	s_delay_alu instid0(VALU_DEP_1) | instskip(SKIP_1) | instid1(VALU_DEP_1)
	v_pk_fma_f32 v[96:97], v[92:93], v[94:95], v[90:91] neg_lo:[0,0,1] neg_hi:[0,0,1]
	v_pk_fma_f32 v[90:91], v[92:93], v[94:95], v[90:91] op_sel_hi:[1,0,1]
	v_mov_b32_e32 v97, v91
	s_delay_alu instid0(VALU_DEP_1)
	v_pk_add_f32 v[62:63], v[62:63], v[96:97] neg_lo:[0,1] neg_hi:[0,1]
.LBB31_109:
	s_or_b32 exec_lo, exec_lo, s1
	s_delay_alu instid0(SALU_CYCLE_1)
	s_mov_b32 s2, exec_lo
	s_wait_dscnt 0x0
	s_barrier_signal -1
	s_barrier_wait -1
	v_cmpx_eq_u32_e32 12, v98
	s_cbranch_execz .LBB31_116
; %bb.110:
	ds_store_b64 v99, v[64:65]
	ds_store_2addr_b64 v100, v[60:61], v[58:59] offset0:13 offset1:14
	ds_store_b64 v100, v[62:63] offset:120
	ds_load_b64 v[90:91], v99
	s_wait_dscnt 0x0
	v_cmp_neq_f32_e32 vcc_lo, 0, v90
	v_cmp_neq_f32_e64 s1, 0, v91
	s_or_b32 s1, vcc_lo, s1
	s_delay_alu instid0(SALU_CYCLE_1)
	s_and_b32 exec_lo, exec_lo, s1
	s_cbranch_execz .LBB31_116
; %bb.111:
	v_cmp_ngt_f32_e64 s1, |v90|, |v91|
                                        ; implicit-def: $vgpr92_vgpr93
	s_and_saveexec_b32 s4, s1
	s_delay_alu instid0(SALU_CYCLE_1)
	s_xor_b32 s1, exec_lo, s4
	s_cbranch_execz .LBB31_113
; %bb.112:
	v_div_scale_f32 v92, null, v91, v91, v90
	v_div_scale_f32 v95, vcc_lo, v90, v91, v90
	s_delay_alu instid0(VALU_DEP_2) | instskip(SKIP_1) | instid1(TRANS32_DEP_1)
	v_rcp_f32_e32 v93, v92
	v_nop
	v_fma_f32 v94, -v92, v93, 1.0
	s_delay_alu instid0(VALU_DEP_1) | instskip(NEXT) | instid1(VALU_DEP_1)
	v_fmac_f32_e32 v93, v94, v93
	v_mul_f32_e32 v94, v95, v93
	s_delay_alu instid0(VALU_DEP_1) | instskip(NEXT) | instid1(VALU_DEP_1)
	v_fma_f32 v96, -v92, v94, v95
	v_fmac_f32_e32 v94, v96, v93
	s_delay_alu instid0(VALU_DEP_1) | instskip(NEXT) | instid1(VALU_DEP_1)
	v_fma_f32 v92, -v92, v94, v95
	v_div_fmas_f32 v92, v92, v93, v94
	s_delay_alu instid0(VALU_DEP_1) | instskip(NEXT) | instid1(VALU_DEP_1)
	v_div_fixup_f32 v92, v92, v91, v90
	v_fmac_f32_e32 v91, v90, v92
	s_delay_alu instid0(VALU_DEP_1) | instskip(SKIP_1) | instid1(VALU_DEP_2)
	v_div_scale_f32 v90, null, v91, v91, 1.0
	v_div_scale_f32 v95, vcc_lo, 1.0, v91, 1.0
	v_rcp_f32_e32 v93, v90
	v_nop
	s_delay_alu instid0(TRANS32_DEP_1) | instskip(NEXT) | instid1(VALU_DEP_1)
	v_fma_f32 v94, -v90, v93, 1.0
	v_fmac_f32_e32 v93, v94, v93
	s_delay_alu instid0(VALU_DEP_1) | instskip(NEXT) | instid1(VALU_DEP_1)
	v_mul_f32_e32 v94, v95, v93
	v_fma_f32 v96, -v90, v94, v95
	s_delay_alu instid0(VALU_DEP_1) | instskip(NEXT) | instid1(VALU_DEP_1)
	v_fmac_f32_e32 v94, v96, v93
	v_fma_f32 v90, -v90, v94, v95
	s_delay_alu instid0(VALU_DEP_1) | instskip(NEXT) | instid1(VALU_DEP_1)
	v_div_fmas_f32 v90, v90, v93, v94
	v_div_fixup_f32 v90, v90, v91, 1.0
	s_delay_alu instid0(VALU_DEP_1)
	v_mul_f32_e32 v92, v92, v90
	v_xor_b32_e32 v93, 0x80000000, v90
                                        ; implicit-def: $vgpr90_vgpr91
.LBB31_113:
	s_and_not1_saveexec_b32 s1, s1
	s_cbranch_execz .LBB31_115
; %bb.114:
	v_div_scale_f32 v92, null, v90, v90, v91
	v_div_scale_f32 v95, vcc_lo, v91, v90, v91
	s_delay_alu instid0(VALU_DEP_2) | instskip(SKIP_1) | instid1(TRANS32_DEP_1)
	v_rcp_f32_e32 v93, v92
	v_nop
	v_fma_f32 v94, -v92, v93, 1.0
	s_delay_alu instid0(VALU_DEP_1) | instskip(NEXT) | instid1(VALU_DEP_1)
	v_fmac_f32_e32 v93, v94, v93
	v_mul_f32_e32 v94, v95, v93
	s_delay_alu instid0(VALU_DEP_1) | instskip(NEXT) | instid1(VALU_DEP_1)
	v_fma_f32 v96, -v92, v94, v95
	v_fmac_f32_e32 v94, v96, v93
	s_delay_alu instid0(VALU_DEP_1) | instskip(NEXT) | instid1(VALU_DEP_1)
	v_fma_f32 v92, -v92, v94, v95
	v_div_fmas_f32 v92, v92, v93, v94
	s_delay_alu instid0(VALU_DEP_1) | instskip(NEXT) | instid1(VALU_DEP_1)
	v_div_fixup_f32 v93, v92, v90, v91
	v_fmac_f32_e32 v90, v91, v93
	s_delay_alu instid0(VALU_DEP_1) | instskip(NEXT) | instid1(VALU_DEP_1)
	v_div_scale_f32 v91, null, v90, v90, 1.0
	v_rcp_f32_e32 v92, v91
	v_nop
	s_delay_alu instid0(TRANS32_DEP_1) | instskip(NEXT) | instid1(VALU_DEP_1)
	v_fma_f32 v94, -v91, v92, 1.0
	v_fmac_f32_e32 v92, v94, v92
	v_div_scale_f32 v94, vcc_lo, 1.0, v90, 1.0
	s_delay_alu instid0(VALU_DEP_1) | instskip(NEXT) | instid1(VALU_DEP_1)
	v_mul_f32_e32 v95, v94, v92
	v_fma_f32 v96, -v91, v95, v94
	s_delay_alu instid0(VALU_DEP_1) | instskip(NEXT) | instid1(VALU_DEP_1)
	v_fmac_f32_e32 v95, v96, v92
	v_fma_f32 v91, -v91, v95, v94
	s_delay_alu instid0(VALU_DEP_1) | instskip(NEXT) | instid1(VALU_DEP_1)
	v_div_fmas_f32 v91, v91, v92, v95
	v_div_fixup_f32 v92, v91, v90, 1.0
	s_delay_alu instid0(VALU_DEP_1)
	v_mul_f32_e64 v93, v93, -v92
.LBB31_115:
	s_or_b32 exec_lo, exec_lo, s1
	ds_store_b64 v99, v[92:93]
.LBB31_116:
	s_or_b32 exec_lo, exec_lo, s2
	s_wait_dscnt 0x0
	s_barrier_signal -1
	s_barrier_wait -1
	ds_load_b64 v[90:91], v99
	s_mov_b32 s1, exec_lo
	v_cmpx_lt_u32_e32 12, v98
	s_cbranch_execz .LBB31_118
; %bb.117:
	ds_load_2addr_b64 v[92:95], v100 offset0:13 offset1:14
	ds_load_b64 v[96:97], v100 offset:120
	s_wait_dscnt 0x2
	v_pk_mul_f32 v[102:103], v[90:91], v[64:65] op_sel:[1,1] op_sel_hi:[0,1]
	s_delay_alu instid0(VALU_DEP_1) | instskip(SKIP_2) | instid1(VALU_DEP_2)
	v_pk_fma_f32 v[104:105], v[90:91], v[64:65], v[102:103] op_sel_hi:[1,0,1]
	v_pk_fma_f32 v[64:65], v[90:91], v[64:65], v[102:103] op_sel_hi:[1,0,1] neg_lo:[0,0,1] neg_hi:[0,0,1]
	s_wait_dscnt 0x1
	v_pk_mul_f32 v[102:103], v[92:93], v[104:105] op_sel:[0,1]
	v_pk_mul_f32 v[106:107], v[94:95], v[104:105] op_sel:[0,1]
	s_wait_dscnt 0x0
	v_pk_mul_f32 v[108:109], v[96:97], v[104:105] op_sel:[1,1] op_sel_hi:[0,1]
	s_delay_alu instid0(VALU_DEP_3) | instskip(SKIP_2) | instid1(VALU_DEP_4)
	v_pk_fma_f32 v[110:111], v[92:93], v[64:65], v[102:103] op_sel:[0,0,1] op_sel_hi:[1,1,0] neg_lo:[0,0,1] neg_hi:[0,0,1]
	v_pk_fma_f32 v[92:93], v[92:93], v[64:65], v[102:103] op_sel:[0,0,1] op_sel_hi:[1,0,0]
	v_pk_fma_f32 v[102:103], v[94:95], v[64:65], v[106:107] op_sel:[0,0,1] op_sel_hi:[1,0,0]
	v_pk_fma_f32 v[112:113], v[96:97], v[64:65], v[108:109] op_sel_hi:[1,0,1]
	v_pk_fma_f32 v[94:95], v[94:95], v[64:65], v[106:107] op_sel:[0,0,1] op_sel_hi:[1,1,0] neg_lo:[0,0,1] neg_hi:[0,0,1]
	v_pk_fma_f32 v[96:97], v[96:97], v[64:65], v[108:109] neg_lo:[0,0,1] neg_hi:[0,0,1]
	s_delay_alu instid0(VALU_DEP_4) | instskip(NEXT) | instid1(VALU_DEP_4)
	v_dual_mov_b32 v111, v93 :: v_dual_mov_b32 v95, v103
	v_dual_mov_b32 v97, v113 :: v_dual_mov_b32 v65, v105
	s_delay_alu instid0(VALU_DEP_2) | instskip(NEXT) | instid1(VALU_DEP_3)
	v_pk_add_f32 v[60:61], v[60:61], v[110:111] neg_lo:[0,1] neg_hi:[0,1]
	v_pk_add_f32 v[58:59], v[58:59], v[94:95] neg_lo:[0,1] neg_hi:[0,1]
	s_delay_alu instid0(VALU_DEP_3)
	v_pk_add_f32 v[62:63], v[62:63], v[96:97] neg_lo:[0,1] neg_hi:[0,1]
.LBB31_118:
	s_or_b32 exec_lo, exec_lo, s1
	s_delay_alu instid0(SALU_CYCLE_1)
	s_mov_b32 s2, exec_lo
	s_wait_dscnt 0x0
	s_barrier_signal -1
	s_barrier_wait -1
	v_cmpx_eq_u32_e32 13, v98
	s_cbranch_execz .LBB31_125
; %bb.119:
	v_dual_mov_b32 v92, v58 :: v_dual_mov_b32 v93, v59
	ds_store_b64 v99, v[60:61]
	ds_store_2addr_b64 v100, v[92:93], v[62:63] offset0:14 offset1:15
	ds_load_b64 v[92:93], v99
	s_wait_dscnt 0x0
	v_cmp_neq_f32_e32 vcc_lo, 0, v92
	v_cmp_neq_f32_e64 s1, 0, v93
	s_or_b32 s1, vcc_lo, s1
	s_delay_alu instid0(SALU_CYCLE_1)
	s_and_b32 exec_lo, exec_lo, s1
	s_cbranch_execz .LBB31_125
; %bb.120:
	v_cmp_ngt_f32_e64 s1, |v92|, |v93|
                                        ; implicit-def: $vgpr94_vgpr95
	s_and_saveexec_b32 s4, s1
	s_delay_alu instid0(SALU_CYCLE_1)
	s_xor_b32 s1, exec_lo, s4
	s_cbranch_execz .LBB31_122
; %bb.121:
	v_div_scale_f32 v94, null, v93, v93, v92
	v_div_scale_f32 v97, vcc_lo, v92, v93, v92
	s_delay_alu instid0(VALU_DEP_2) | instskip(SKIP_1) | instid1(TRANS32_DEP_1)
	v_rcp_f32_e32 v95, v94
	v_nop
	v_fma_f32 v96, -v94, v95, 1.0
	s_delay_alu instid0(VALU_DEP_1) | instskip(NEXT) | instid1(VALU_DEP_1)
	v_fmac_f32_e32 v95, v96, v95
	v_mul_f32_e32 v96, v97, v95
	s_delay_alu instid0(VALU_DEP_1) | instskip(NEXT) | instid1(VALU_DEP_1)
	v_fma_f32 v101, -v94, v96, v97
	v_fmac_f32_e32 v96, v101, v95
	s_delay_alu instid0(VALU_DEP_1) | instskip(NEXT) | instid1(VALU_DEP_1)
	v_fma_f32 v94, -v94, v96, v97
	v_div_fmas_f32 v94, v94, v95, v96
	s_delay_alu instid0(VALU_DEP_1) | instskip(NEXT) | instid1(VALU_DEP_1)
	v_div_fixup_f32 v94, v94, v93, v92
	v_fmac_f32_e32 v93, v92, v94
	s_delay_alu instid0(VALU_DEP_1) | instskip(SKIP_1) | instid1(VALU_DEP_2)
	v_div_scale_f32 v92, null, v93, v93, 1.0
	v_div_scale_f32 v97, vcc_lo, 1.0, v93, 1.0
	v_rcp_f32_e32 v95, v92
	v_nop
	s_delay_alu instid0(TRANS32_DEP_1) | instskip(NEXT) | instid1(VALU_DEP_1)
	v_fma_f32 v96, -v92, v95, 1.0
	v_fmac_f32_e32 v95, v96, v95
	s_delay_alu instid0(VALU_DEP_1) | instskip(NEXT) | instid1(VALU_DEP_1)
	v_mul_f32_e32 v96, v97, v95
	v_fma_f32 v101, -v92, v96, v97
	s_delay_alu instid0(VALU_DEP_1) | instskip(NEXT) | instid1(VALU_DEP_1)
	v_fmac_f32_e32 v96, v101, v95
	v_fma_f32 v92, -v92, v96, v97
	s_delay_alu instid0(VALU_DEP_1) | instskip(NEXT) | instid1(VALU_DEP_1)
	v_div_fmas_f32 v92, v92, v95, v96
	v_div_fixup_f32 v92, v92, v93, 1.0
	s_delay_alu instid0(VALU_DEP_1)
	v_mul_f32_e32 v94, v94, v92
	v_xor_b32_e32 v95, 0x80000000, v92
                                        ; implicit-def: $vgpr92_vgpr93
.LBB31_122:
	s_and_not1_saveexec_b32 s1, s1
	s_cbranch_execz .LBB31_124
; %bb.123:
	v_div_scale_f32 v94, null, v92, v92, v93
	v_div_scale_f32 v97, vcc_lo, v93, v92, v93
	s_delay_alu instid0(VALU_DEP_2) | instskip(SKIP_1) | instid1(TRANS32_DEP_1)
	v_rcp_f32_e32 v95, v94
	v_nop
	v_fma_f32 v96, -v94, v95, 1.0
	s_delay_alu instid0(VALU_DEP_1) | instskip(NEXT) | instid1(VALU_DEP_1)
	v_fmac_f32_e32 v95, v96, v95
	v_mul_f32_e32 v96, v97, v95
	s_delay_alu instid0(VALU_DEP_1) | instskip(NEXT) | instid1(VALU_DEP_1)
	v_fma_f32 v101, -v94, v96, v97
	v_fmac_f32_e32 v96, v101, v95
	s_delay_alu instid0(VALU_DEP_1) | instskip(NEXT) | instid1(VALU_DEP_1)
	v_fma_f32 v94, -v94, v96, v97
	v_div_fmas_f32 v94, v94, v95, v96
	s_delay_alu instid0(VALU_DEP_1) | instskip(NEXT) | instid1(VALU_DEP_1)
	v_div_fixup_f32 v95, v94, v92, v93
	v_fmac_f32_e32 v92, v93, v95
	s_delay_alu instid0(VALU_DEP_1) | instskip(NEXT) | instid1(VALU_DEP_1)
	v_div_scale_f32 v93, null, v92, v92, 1.0
	v_rcp_f32_e32 v94, v93
	v_nop
	s_delay_alu instid0(TRANS32_DEP_1) | instskip(NEXT) | instid1(VALU_DEP_1)
	v_fma_f32 v96, -v93, v94, 1.0
	v_fmac_f32_e32 v94, v96, v94
	v_div_scale_f32 v96, vcc_lo, 1.0, v92, 1.0
	s_delay_alu instid0(VALU_DEP_1) | instskip(NEXT) | instid1(VALU_DEP_1)
	v_mul_f32_e32 v97, v96, v94
	v_fma_f32 v101, -v93, v97, v96
	s_delay_alu instid0(VALU_DEP_1) | instskip(NEXT) | instid1(VALU_DEP_1)
	v_fmac_f32_e32 v97, v101, v94
	v_fma_f32 v93, -v93, v97, v96
	s_delay_alu instid0(VALU_DEP_1) | instskip(NEXT) | instid1(VALU_DEP_1)
	v_div_fmas_f32 v93, v93, v94, v97
	v_div_fixup_f32 v94, v93, v92, 1.0
	s_delay_alu instid0(VALU_DEP_1)
	v_mul_f32_e64 v95, v95, -v94
.LBB31_124:
	s_or_b32 exec_lo, exec_lo, s1
	ds_store_b64 v99, v[94:95]
.LBB31_125:
	s_or_b32 exec_lo, exec_lo, s2
	s_wait_dscnt 0x0
	s_barrier_signal -1
	s_barrier_wait -1
	ds_load_b64 v[92:93], v99
	s_mov_b32 s1, exec_lo
	v_cmpx_lt_u32_e32 13, v98
	s_cbranch_execz .LBB31_127
; %bb.126:
	ds_load_2addr_b64 v[94:97], v100 offset0:14 offset1:15
	s_wait_dscnt 0x1
	v_pk_mul_f32 v[102:103], v[92:93], v[60:61] op_sel:[1,1] op_sel_hi:[0,1]
	s_delay_alu instid0(VALU_DEP_1) | instskip(SKIP_3) | instid1(VALU_DEP_3)
	v_pk_fma_f32 v[104:105], v[92:93], v[60:61], v[102:103] op_sel_hi:[1,0,1]
	v_pk_fma_f32 v[60:61], v[92:93], v[60:61], v[102:103] op_sel_hi:[1,0,1] neg_lo:[0,0,1] neg_hi:[0,0,1]
	s_wait_dscnt 0x0
	v_dual_mov_b32 v106, v97 :: v_dual_mov_b32 v107, v96
	v_pk_mul_f32 v[102:103], v[94:95], v[104:105] op_sel:[0,1]
	s_delay_alu instid0(VALU_DEP_2) | instskip(NEXT) | instid1(VALU_DEP_2)
	v_pk_mul_f32 v[106:107], v[106:107], v[104:105] op_sel:[0,1]
	v_pk_fma_f32 v[108:109], v[94:95], v[60:61], v[102:103] op_sel:[0,0,1] op_sel_hi:[1,0,0]
	v_pk_fma_f32 v[94:95], v[94:95], v[60:61], v[102:103] op_sel:[0,0,1] op_sel_hi:[1,1,0] neg_lo:[0,0,1] neg_hi:[0,0,1]
	s_delay_alu instid0(VALU_DEP_3) | instskip(SKIP_1) | instid1(VALU_DEP_4)
	v_pk_fma_f32 v[110:111], v[96:97], v[60:61], v[106:107] op_sel_hi:[1,0,1]
	v_pk_fma_f32 v[96:97], v[96:97], v[60:61], v[106:107] neg_lo:[0,0,1] neg_hi:[0,0,1]
	v_dual_mov_b32 v95, v109 :: v_dual_mov_b32 v61, v105
	s_delay_alu instid0(VALU_DEP_3) | instskip(NEXT) | instid1(VALU_DEP_2)
	v_mov_b32_e32 v97, v111
	v_pk_add_f32 v[58:59], v[58:59], v[94:95] neg_lo:[0,1] neg_hi:[0,1]
	s_delay_alu instid0(VALU_DEP_2)
	v_pk_add_f32 v[62:63], v[62:63], v[96:97] neg_lo:[0,1] neg_hi:[0,1]
.LBB31_127:
	s_or_b32 exec_lo, exec_lo, s1
	s_delay_alu instid0(SALU_CYCLE_1)
	s_mov_b32 s2, exec_lo
	s_wait_dscnt 0x0
	s_barrier_signal -1
	s_barrier_wait -1
	v_cmpx_eq_u32_e32 14, v98
	s_cbranch_execz .LBB31_134
; %bb.128:
	ds_store_b64 v99, v[58:59]
	ds_store_b64 v100, v[62:63] offset:120
	ds_load_b64 v[94:95], v99
	s_wait_dscnt 0x0
	v_cmp_neq_f32_e32 vcc_lo, 0, v94
	v_cmp_neq_f32_e64 s1, 0, v95
	s_or_b32 s1, vcc_lo, s1
	s_delay_alu instid0(SALU_CYCLE_1)
	s_and_b32 exec_lo, exec_lo, s1
	s_cbranch_execz .LBB31_134
; %bb.129:
	v_cmp_ngt_f32_e64 s1, |v94|, |v95|
                                        ; implicit-def: $vgpr96_vgpr97
	s_and_saveexec_b32 s4, s1
	s_delay_alu instid0(SALU_CYCLE_1)
	s_xor_b32 s1, exec_lo, s4
	s_cbranch_execz .LBB31_131
; %bb.130:
	v_div_scale_f32 v96, null, v95, v95, v94
	v_div_scale_f32 v102, vcc_lo, v94, v95, v94
	s_delay_alu instid0(VALU_DEP_2) | instskip(SKIP_1) | instid1(TRANS32_DEP_1)
	v_rcp_f32_e32 v97, v96
	v_nop
	v_fma_f32 v101, -v96, v97, 1.0
	s_delay_alu instid0(VALU_DEP_1) | instskip(NEXT) | instid1(VALU_DEP_1)
	v_fmac_f32_e32 v97, v101, v97
	v_mul_f32_e32 v101, v102, v97
	s_delay_alu instid0(VALU_DEP_1) | instskip(NEXT) | instid1(VALU_DEP_1)
	v_fma_f32 v103, -v96, v101, v102
	v_fmac_f32_e32 v101, v103, v97
	s_delay_alu instid0(VALU_DEP_1) | instskip(NEXT) | instid1(VALU_DEP_1)
	v_fma_f32 v96, -v96, v101, v102
	v_div_fmas_f32 v96, v96, v97, v101
	s_delay_alu instid0(VALU_DEP_1) | instskip(NEXT) | instid1(VALU_DEP_1)
	v_div_fixup_f32 v96, v96, v95, v94
	v_fmac_f32_e32 v95, v94, v96
	s_delay_alu instid0(VALU_DEP_1) | instskip(SKIP_1) | instid1(VALU_DEP_2)
	v_div_scale_f32 v94, null, v95, v95, 1.0
	v_div_scale_f32 v102, vcc_lo, 1.0, v95, 1.0
	v_rcp_f32_e32 v97, v94
	v_nop
	s_delay_alu instid0(TRANS32_DEP_1) | instskip(NEXT) | instid1(VALU_DEP_1)
	v_fma_f32 v101, -v94, v97, 1.0
	v_fmac_f32_e32 v97, v101, v97
	s_delay_alu instid0(VALU_DEP_1) | instskip(NEXT) | instid1(VALU_DEP_1)
	v_mul_f32_e32 v101, v102, v97
	v_fma_f32 v103, -v94, v101, v102
	s_delay_alu instid0(VALU_DEP_1) | instskip(NEXT) | instid1(VALU_DEP_1)
	v_fmac_f32_e32 v101, v103, v97
	v_fma_f32 v94, -v94, v101, v102
	s_delay_alu instid0(VALU_DEP_1) | instskip(NEXT) | instid1(VALU_DEP_1)
	v_div_fmas_f32 v94, v94, v97, v101
	v_div_fixup_f32 v94, v94, v95, 1.0
	s_delay_alu instid0(VALU_DEP_1)
	v_mul_f32_e32 v96, v96, v94
	v_xor_b32_e32 v97, 0x80000000, v94
                                        ; implicit-def: $vgpr94_vgpr95
.LBB31_131:
	s_and_not1_saveexec_b32 s1, s1
	s_cbranch_execz .LBB31_133
; %bb.132:
	v_div_scale_f32 v96, null, v94, v94, v95
	v_div_scale_f32 v102, vcc_lo, v95, v94, v95
	s_delay_alu instid0(VALU_DEP_2) | instskip(SKIP_1) | instid1(TRANS32_DEP_1)
	v_rcp_f32_e32 v97, v96
	v_nop
	v_fma_f32 v101, -v96, v97, 1.0
	s_delay_alu instid0(VALU_DEP_1) | instskip(NEXT) | instid1(VALU_DEP_1)
	v_fmac_f32_e32 v97, v101, v97
	v_mul_f32_e32 v101, v102, v97
	s_delay_alu instid0(VALU_DEP_1) | instskip(NEXT) | instid1(VALU_DEP_1)
	v_fma_f32 v103, -v96, v101, v102
	v_fmac_f32_e32 v101, v103, v97
	s_delay_alu instid0(VALU_DEP_1) | instskip(NEXT) | instid1(VALU_DEP_1)
	v_fma_f32 v96, -v96, v101, v102
	v_div_fmas_f32 v96, v96, v97, v101
	s_delay_alu instid0(VALU_DEP_1) | instskip(NEXT) | instid1(VALU_DEP_1)
	v_div_fixup_f32 v97, v96, v94, v95
	v_fmac_f32_e32 v94, v95, v97
	s_delay_alu instid0(VALU_DEP_1) | instskip(NEXT) | instid1(VALU_DEP_1)
	v_div_scale_f32 v95, null, v94, v94, 1.0
	v_rcp_f32_e32 v96, v95
	v_nop
	s_delay_alu instid0(TRANS32_DEP_1) | instskip(NEXT) | instid1(VALU_DEP_1)
	v_fma_f32 v101, -v95, v96, 1.0
	v_fmac_f32_e32 v96, v101, v96
	v_div_scale_f32 v101, vcc_lo, 1.0, v94, 1.0
	s_delay_alu instid0(VALU_DEP_1) | instskip(NEXT) | instid1(VALU_DEP_1)
	v_mul_f32_e32 v102, v101, v96
	v_fma_f32 v103, -v95, v102, v101
	s_delay_alu instid0(VALU_DEP_1) | instskip(NEXT) | instid1(VALU_DEP_1)
	v_fmac_f32_e32 v102, v103, v96
	v_fma_f32 v95, -v95, v102, v101
	s_delay_alu instid0(VALU_DEP_1) | instskip(NEXT) | instid1(VALU_DEP_1)
	v_div_fmas_f32 v95, v95, v96, v102
	v_div_fixup_f32 v96, v95, v94, 1.0
	s_delay_alu instid0(VALU_DEP_1)
	v_mul_f32_e64 v97, v97, -v96
.LBB31_133:
	s_or_b32 exec_lo, exec_lo, s1
	ds_store_b64 v99, v[96:97]
.LBB31_134:
	s_or_b32 exec_lo, exec_lo, s2
	s_wait_dscnt 0x0
	s_barrier_signal -1
	s_barrier_wait -1
	ds_load_b64 v[94:95], v99
	s_mov_b32 s1, exec_lo
	v_cmpx_lt_u32_e32 14, v98
	s_cbranch_execz .LBB31_136
; %bb.135:
	ds_load_b64 v[96:97], v100 offset:120
	s_wait_dscnt 0x1
	v_pk_mul_f32 v[100:101], v[94:95], v[58:59] op_sel:[1,1] op_sel_hi:[0,1]
	s_delay_alu instid0(VALU_DEP_1) | instskip(SKIP_2) | instid1(VALU_DEP_2)
	v_pk_fma_f32 v[102:103], v[94:95], v[58:59], v[100:101] op_sel_hi:[1,0,1]
	v_pk_fma_f32 v[58:59], v[94:95], v[58:59], v[100:101] op_sel_hi:[1,0,1] neg_lo:[0,0,1] neg_hi:[0,0,1]
	s_wait_dscnt 0x0
	v_pk_mul_f32 v[100:101], v[96:97], v[102:103] op_sel:[1,1] op_sel_hi:[0,1]
	s_delay_alu instid0(VALU_DEP_1) | instskip(SKIP_1) | instid1(VALU_DEP_2)
	v_pk_fma_f32 v[104:105], v[96:97], v[58:59], v[100:101] op_sel_hi:[1,0,1]
	v_pk_fma_f32 v[96:97], v[96:97], v[58:59], v[100:101] neg_lo:[0,0,1] neg_hi:[0,0,1]
	v_dual_mov_b32 v59, v103 :: v_dual_mov_b32 v97, v105
	s_delay_alu instid0(VALU_DEP_1)
	v_pk_add_f32 v[62:63], v[62:63], v[96:97] neg_lo:[0,1] neg_hi:[0,1]
.LBB31_136:
	s_or_b32 exec_lo, exec_lo, s1
	s_delay_alu instid0(SALU_CYCLE_1)
	s_mov_b32 s2, exec_lo
	s_wait_dscnt 0x0
	s_barrier_signal -1
	s_barrier_wait -1
	v_cmpx_eq_u32_e32 15, v98
	s_cbranch_execz .LBB31_143
; %bb.137:
	v_cmp_neq_f32_e32 vcc_lo, 0, v62
	v_cmp_neq_f32_e64 s1, 0, v63
	ds_store_b64 v99, v[62:63]
	s_or_b32 s1, vcc_lo, s1
	s_delay_alu instid0(SALU_CYCLE_1)
	s_and_b32 exec_lo, exec_lo, s1
	s_cbranch_execz .LBB31_143
; %bb.138:
	v_cmp_ngt_f32_e64 s1, |v62|, |v63|
                                        ; implicit-def: $vgpr96_vgpr97
	s_and_saveexec_b32 s4, s1
	s_delay_alu instid0(SALU_CYCLE_1)
	s_xor_b32 s1, exec_lo, s4
	s_cbranch_execz .LBB31_140
; %bb.139:
	v_div_scale_f32 v96, null, v63, v63, v62
	v_div_scale_f32 v101, vcc_lo, v62, v63, v62
	s_delay_alu instid0(VALU_DEP_2) | instskip(SKIP_1) | instid1(TRANS32_DEP_1)
	v_rcp_f32_e32 v97, v96
	v_nop
	v_fma_f32 v100, -v96, v97, 1.0
	s_delay_alu instid0(VALU_DEP_1) | instskip(NEXT) | instid1(VALU_DEP_1)
	v_fmac_f32_e32 v97, v100, v97
	v_mul_f32_e32 v100, v101, v97
	s_delay_alu instid0(VALU_DEP_1) | instskip(NEXT) | instid1(VALU_DEP_1)
	v_fma_f32 v102, -v96, v100, v101
	v_fmac_f32_e32 v100, v102, v97
	s_delay_alu instid0(VALU_DEP_1) | instskip(NEXT) | instid1(VALU_DEP_1)
	v_fma_f32 v96, -v96, v100, v101
	v_div_fmas_f32 v96, v96, v97, v100
	s_delay_alu instid0(VALU_DEP_1) | instskip(NEXT) | instid1(VALU_DEP_1)
	v_div_fixup_f32 v96, v96, v63, v62
	v_fma_f32 v97, v62, v96, v63
	s_delay_alu instid0(VALU_DEP_1) | instskip(SKIP_1) | instid1(VALU_DEP_2)
	v_div_scale_f32 v100, null, v97, v97, 1.0
	v_div_scale_f32 v103, vcc_lo, 1.0, v97, 1.0
	v_rcp_f32_e32 v101, v100
	v_nop
	s_delay_alu instid0(TRANS32_DEP_1) | instskip(NEXT) | instid1(VALU_DEP_1)
	v_fma_f32 v102, -v100, v101, 1.0
	v_fmac_f32_e32 v101, v102, v101
	s_delay_alu instid0(VALU_DEP_1) | instskip(NEXT) | instid1(VALU_DEP_1)
	v_mul_f32_e32 v102, v103, v101
	v_fma_f32 v104, -v100, v102, v103
	s_delay_alu instid0(VALU_DEP_1) | instskip(NEXT) | instid1(VALU_DEP_1)
	v_fmac_f32_e32 v102, v104, v101
	v_fma_f32 v100, -v100, v102, v103
	s_delay_alu instid0(VALU_DEP_1) | instskip(NEXT) | instid1(VALU_DEP_1)
	v_div_fmas_f32 v100, v100, v101, v102
	v_div_fixup_f32 v97, v100, v97, 1.0
	s_delay_alu instid0(VALU_DEP_1)
	v_mul_f32_e32 v96, v96, v97
	v_xor_b32_e32 v97, 0x80000000, v97
.LBB31_140:
	s_and_not1_saveexec_b32 s1, s1
	s_cbranch_execz .LBB31_142
; %bb.141:
	v_div_scale_f32 v96, null, v62, v62, v63
	v_div_scale_f32 v101, vcc_lo, v63, v62, v63
	s_delay_alu instid0(VALU_DEP_2) | instskip(SKIP_1) | instid1(TRANS32_DEP_1)
	v_rcp_f32_e32 v97, v96
	v_nop
	v_fma_f32 v100, -v96, v97, 1.0
	s_delay_alu instid0(VALU_DEP_1) | instskip(NEXT) | instid1(VALU_DEP_1)
	v_fmac_f32_e32 v97, v100, v97
	v_mul_f32_e32 v100, v101, v97
	s_delay_alu instid0(VALU_DEP_1) | instskip(NEXT) | instid1(VALU_DEP_1)
	v_fma_f32 v102, -v96, v100, v101
	v_fmac_f32_e32 v100, v102, v97
	s_delay_alu instid0(VALU_DEP_1) | instskip(NEXT) | instid1(VALU_DEP_1)
	v_fma_f32 v96, -v96, v100, v101
	v_div_fmas_f32 v96, v96, v97, v100
	s_delay_alu instid0(VALU_DEP_1) | instskip(NEXT) | instid1(VALU_DEP_1)
	v_div_fixup_f32 v97, v96, v62, v63
	v_fma_f32 v96, v63, v97, v62
	s_delay_alu instid0(VALU_DEP_1) | instskip(NEXT) | instid1(VALU_DEP_1)
	v_div_scale_f32 v100, null, v96, v96, 1.0
	v_rcp_f32_e32 v101, v100
	v_nop
	s_delay_alu instid0(TRANS32_DEP_1) | instskip(NEXT) | instid1(VALU_DEP_1)
	v_fma_f32 v102, -v100, v101, 1.0
	v_fmac_f32_e32 v101, v102, v101
	v_div_scale_f32 v102, vcc_lo, 1.0, v96, 1.0
	s_delay_alu instid0(VALU_DEP_1) | instskip(NEXT) | instid1(VALU_DEP_1)
	v_mul_f32_e32 v103, v102, v101
	v_fma_f32 v104, -v100, v103, v102
	s_delay_alu instid0(VALU_DEP_1) | instskip(NEXT) | instid1(VALU_DEP_1)
	v_fmac_f32_e32 v103, v104, v101
	v_fma_f32 v100, -v100, v103, v102
	s_delay_alu instid0(VALU_DEP_1) | instskip(NEXT) | instid1(VALU_DEP_1)
	v_div_fmas_f32 v100, v100, v101, v103
	v_div_fixup_f32 v96, v100, v96, 1.0
	s_delay_alu instid0(VALU_DEP_1)
	v_mul_f32_e64 v97, v97, -v96
.LBB31_142:
	s_or_b32 exec_lo, exec_lo, s1
	ds_store_b64 v99, v[96:97]
.LBB31_143:
	s_or_b32 exec_lo, exec_lo, s2
	s_wait_dscnt 0x0
	s_barrier_signal -1
	s_barrier_wait -1
	ds_load_b64 v[96:97], v99
	s_wait_dscnt 0x0
	s_barrier_signal -1
	s_barrier_wait -1
	s_and_saveexec_b32 s4, s0
	s_cbranch_execz .LBB31_146
; %bb.144:
	v_lshl_add_u64 v[2:3], v[2:3], 2, s[6:7]
	v_cmp_eq_f32_e32 vcc_lo, 0, v66
	v_cmp_eq_f32_e64 s0, 0, v67
	v_cmp_neq_f32_e64 s1, 0, v68
	v_cmp_neq_f32_e64 s2, 0, v69
	global_load_b32 v99, v[2:3], off
	s_and_b32 s0, vcc_lo, s0
	s_delay_alu instid0(SALU_CYCLE_1) | instskip(SKIP_1) | instid1(SALU_CYCLE_1)
	v_cndmask_b32_e64 v66, 0, 1, s0
	s_or_b32 s1, s1, s2
	s_or_b32 vcc_lo, s1, s0
	v_cmp_eq_f32_e64 s0, 0, v71
	s_delay_alu instid0(VALU_DEP_2) | instskip(SKIP_1) | instid1(VALU_DEP_2)
	v_cndmask_b32_e32 v66, 2, v66, vcc_lo
	v_cmp_eq_f32_e32 vcc_lo, 0, v70
	v_cmp_eq_u32_e64 s1, 0, v66
	s_and_b32 s0, vcc_lo, s0
	v_cmp_eq_f32_e32 vcc_lo, 0, v72
	s_and_b32 s0, s0, s1
	s_delay_alu instid0(SALU_CYCLE_1) | instskip(SKIP_1) | instid1(VALU_DEP_2)
	v_cndmask_b32_e64 v66, v66, 3, s0
	v_cmp_eq_f32_e64 s0, 0, v73
	v_cmp_eq_u32_e64 s1, 0, v66
	s_and_b32 s0, vcc_lo, s0
	v_cmp_eq_f32_e32 vcc_lo, 0, v74
	s_and_b32 s0, s0, s1
	s_delay_alu instid0(SALU_CYCLE_1) | instskip(SKIP_1) | instid1(VALU_DEP_2)
	v_cndmask_b32_e64 v66, v66, 4, s0
	v_cmp_eq_f32_e64 s0, 0, v75
	v_cmp_eq_u32_e64 s1, 0, v66
	s_and_b32 s0, vcc_lo, s0
	v_cmp_eq_f32_e32 vcc_lo, 0, v76
	s_and_b32 s0, s0, s1
	s_delay_alu instid0(SALU_CYCLE_1) | instskip(SKIP_1) | instid1(VALU_DEP_2)
	v_cndmask_b32_e64 v66, v66, 5, s0
	v_cmp_eq_f32_e64 s0, 0, v77
	v_cmp_eq_u32_e64 s1, 0, v66
	s_and_b32 s0, vcc_lo, s0
	v_cmp_eq_f32_e32 vcc_lo, 0, v78
	s_and_b32 s0, s0, s1
	s_delay_alu instid0(SALU_CYCLE_1) | instskip(SKIP_1) | instid1(VALU_DEP_2)
	v_cndmask_b32_e64 v66, v66, 6, s0
	v_cmp_eq_f32_e64 s0, 0, v79
	v_cmp_eq_u32_e64 s1, 0, v66
	s_and_b32 s0, vcc_lo, s0
	v_cmp_eq_f32_e32 vcc_lo, 0, v80
	s_and_b32 s0, s0, s1
	s_delay_alu instid0(SALU_CYCLE_1) | instskip(SKIP_1) | instid1(VALU_DEP_2)
	v_cndmask_b32_e64 v66, v66, 7, s0
	v_cmp_eq_f32_e64 s0, 0, v81
	v_cmp_eq_u32_e64 s1, 0, v66
	s_and_b32 s0, vcc_lo, s0
	v_cmp_eq_f32_e32 vcc_lo, 0, v82
	s_and_b32 s0, s0, s1
	s_delay_alu instid0(SALU_CYCLE_1) | instskip(SKIP_1) | instid1(VALU_DEP_2)
	v_cndmask_b32_e64 v66, v66, 8, s0
	v_cmp_eq_f32_e64 s0, 0, v83
	v_cmp_eq_u32_e64 s1, 0, v66
	s_and_b32 s0, vcc_lo, s0
	v_cmp_eq_f32_e32 vcc_lo, 0, v84
	s_and_b32 s0, s0, s1
	s_delay_alu instid0(SALU_CYCLE_1) | instskip(SKIP_1) | instid1(VALU_DEP_2)
	v_cndmask_b32_e64 v66, v66, 9, s0
	v_cmp_eq_f32_e64 s0, 0, v85
	v_cmp_eq_u32_e64 s1, 0, v66
	s_and_b32 s0, vcc_lo, s0
	v_cmp_eq_f32_e32 vcc_lo, 0, v86
	s_and_b32 s0, s0, s1
	s_delay_alu instid0(SALU_CYCLE_1) | instskip(SKIP_1) | instid1(VALU_DEP_2)
	v_cndmask_b32_e64 v66, v66, 10, s0
	v_cmp_eq_f32_e64 s0, 0, v87
	v_cmp_eq_u32_e64 s1, 0, v66
	s_and_b32 s0, vcc_lo, s0
	v_cmp_eq_f32_e32 vcc_lo, 0, v88
	s_and_b32 s0, s0, s1
	s_delay_alu instid0(SALU_CYCLE_1) | instskip(SKIP_1) | instid1(VALU_DEP_2)
	v_cndmask_b32_e64 v66, v66, 11, s0
	v_cmp_eq_f32_e64 s0, 0, v89
	v_cmp_eq_u32_e64 s1, 0, v66
	s_and_b32 s0, vcc_lo, s0
	v_cmp_eq_f32_e32 vcc_lo, 0, v90
	s_and_b32 s0, s0, s1
	s_delay_alu instid0(SALU_CYCLE_1) | instskip(SKIP_1) | instid1(VALU_DEP_2)
	v_cndmask_b32_e64 v66, v66, 12, s0
	v_cmp_eq_f32_e64 s0, 0, v91
	v_cmp_eq_u32_e64 s1, 0, v66
	s_and_b32 s0, vcc_lo, s0
	v_cmp_eq_f32_e32 vcc_lo, 0, v92
	s_and_b32 s0, s0, s1
	s_delay_alu instid0(SALU_CYCLE_1) | instskip(SKIP_1) | instid1(VALU_DEP_2)
	v_cndmask_b32_e64 v66, v66, 13, s0
	v_cmp_eq_f32_e64 s0, 0, v93
	v_cmp_eq_u32_e64 s1, 0, v66
	s_and_b32 s0, vcc_lo, s0
	v_cmp_eq_f32_e32 vcc_lo, 0, v94
	s_and_b32 s0, s0, s1
	s_delay_alu instid0(SALU_CYCLE_1) | instskip(SKIP_1) | instid1(VALU_DEP_2)
	v_cndmask_b32_e64 v66, v66, 14, s0
	v_cmp_eq_f32_e64 s0, 0, v95
	v_cmp_eq_u32_e64 s1, 0, v66
	s_and_b32 s0, vcc_lo, s0
	v_cmp_eq_f32_e32 vcc_lo, 0, v96
	s_and_b32 s0, s0, s1
	s_delay_alu instid0(SALU_CYCLE_1) | instskip(SKIP_1) | instid1(VALU_DEP_2)
	v_cndmask_b32_e64 v66, v66, 15, s0
	v_cmp_eq_f32_e64 s0, 0, v97
	v_cmp_eq_u32_e64 s1, 0, v66
	s_and_b32 s0, vcc_lo, s0
	s_delay_alu instid0(SALU_CYCLE_1) | instskip(NEXT) | instid1(SALU_CYCLE_1)
	s_and_b32 s0, s0, s1
	v_cndmask_b32_e64 v66, v66, 16, s0
	s_delay_alu instid0(VALU_DEP_1) | instskip(SKIP_3) | instid1(SALU_CYCLE_1)
	v_cmp_ne_u32_e64 s0, 0, v66
	s_wait_loadcnt 0x0
	v_cmp_eq_u32_e32 vcc_lo, 0, v99
	s_and_b32 s0, vcc_lo, s0
	s_and_b32 exec_lo, exec_lo, s0
	s_cbranch_execz .LBB31_146
; %bb.145:
	v_add_nc_u32_e32 v66, s3, v66
	global_store_b32 v[2:3], v66, off
.LBB31_146:
	s_wait_xcnt 0x0
	s_or_b32 exec_lo, exec_lo, s4
	v_pk_mul_f32 v[2:3], v[96:97], v[62:63] op_sel:[1,1] op_sel_hi:[0,1]
	s_clause 0x1
	global_store_b64 v[18:19], v[46:47], off
	global_store_b64 v[40:41], v[52:53], off
	v_cmp_lt_u32_e32 vcc_lo, 15, v98
	s_clause 0x2
	global_store_b64 v[6:7], v[44:45], off
	global_store_b64 v[14:15], v[42:43], off
	;; [unrolled: 1-line block ×3, first 2 shown]
	s_wait_xcnt 0x4
	v_pk_fma_f32 v[18:19], v[96:97], v[62:63], v[2:3] op_sel_hi:[1,0,1]
	v_pk_fma_f32 v[2:3], v[96:97], v[62:63], v[2:3] neg_lo:[0,0,1] neg_hi:[0,0,1]
	s_delay_alu instid0(VALU_DEP_1)
	v_dual_cndmask_b32 v3, v63, v19 :: v_dual_cndmask_b32 v2, v62, v2
	s_clause 0xa
	global_store_b64 v[0:1], v[24:25], off
	global_store_b64 v[4:5], v[26:27], off
	;; [unrolled: 1-line block ×11, first 2 shown]
.LBB31_147:
	s_sendmsg sendmsg(MSG_DEALLOC_VGPRS)
	s_endpgm
	.section	.rodata,"a",@progbits
	.p2align	6, 0x0
	.amdhsa_kernel _ZN9rocsolver6v33100L23getf2_npvt_small_kernelILi16E19rocblas_complex_numIfEiiPS3_EEvT1_T3_lS5_lPT2_S5_S5_
		.amdhsa_group_segment_fixed_size 0
		.amdhsa_private_segment_fixed_size 0
		.amdhsa_kernarg_size 312
		.amdhsa_user_sgpr_count 2
		.amdhsa_user_sgpr_dispatch_ptr 0
		.amdhsa_user_sgpr_queue_ptr 0
		.amdhsa_user_sgpr_kernarg_segment_ptr 1
		.amdhsa_user_sgpr_dispatch_id 0
		.amdhsa_user_sgpr_kernarg_preload_length 0
		.amdhsa_user_sgpr_kernarg_preload_offset 0
		.amdhsa_user_sgpr_private_segment_size 0
		.amdhsa_wavefront_size32 1
		.amdhsa_uses_dynamic_stack 0
		.amdhsa_enable_private_segment 0
		.amdhsa_system_sgpr_workgroup_id_x 1
		.amdhsa_system_sgpr_workgroup_id_y 1
		.amdhsa_system_sgpr_workgroup_id_z 0
		.amdhsa_system_sgpr_workgroup_info 0
		.amdhsa_system_vgpr_workitem_id 1
		.amdhsa_next_free_vgpr 114
		.amdhsa_next_free_sgpr 15
		.amdhsa_named_barrier_count 0
		.amdhsa_reserve_vcc 1
		.amdhsa_float_round_mode_32 0
		.amdhsa_float_round_mode_16_64 0
		.amdhsa_float_denorm_mode_32 3
		.amdhsa_float_denorm_mode_16_64 3
		.amdhsa_fp16_overflow 0
		.amdhsa_memory_ordered 1
		.amdhsa_forward_progress 1
		.amdhsa_inst_pref_size 145
		.amdhsa_round_robin_scheduling 0
		.amdhsa_exception_fp_ieee_invalid_op 0
		.amdhsa_exception_fp_denorm_src 0
		.amdhsa_exception_fp_ieee_div_zero 0
		.amdhsa_exception_fp_ieee_overflow 0
		.amdhsa_exception_fp_ieee_underflow 0
		.amdhsa_exception_fp_ieee_inexact 0
		.amdhsa_exception_int_div_zero 0
	.end_amdhsa_kernel
	.section	.text._ZN9rocsolver6v33100L23getf2_npvt_small_kernelILi16E19rocblas_complex_numIfEiiPS3_EEvT1_T3_lS5_lPT2_S5_S5_,"axG",@progbits,_ZN9rocsolver6v33100L23getf2_npvt_small_kernelILi16E19rocblas_complex_numIfEiiPS3_EEvT1_T3_lS5_lPT2_S5_S5_,comdat
.Lfunc_end31:
	.size	_ZN9rocsolver6v33100L23getf2_npvt_small_kernelILi16E19rocblas_complex_numIfEiiPS3_EEvT1_T3_lS5_lPT2_S5_S5_, .Lfunc_end31-_ZN9rocsolver6v33100L23getf2_npvt_small_kernelILi16E19rocblas_complex_numIfEiiPS3_EEvT1_T3_lS5_lPT2_S5_S5_
                                        ; -- End function
	.set _ZN9rocsolver6v33100L23getf2_npvt_small_kernelILi16E19rocblas_complex_numIfEiiPS3_EEvT1_T3_lS5_lPT2_S5_S5_.num_vgpr, 114
	.set _ZN9rocsolver6v33100L23getf2_npvt_small_kernelILi16E19rocblas_complex_numIfEiiPS3_EEvT1_T3_lS5_lPT2_S5_S5_.num_agpr, 0
	.set _ZN9rocsolver6v33100L23getf2_npvt_small_kernelILi16E19rocblas_complex_numIfEiiPS3_EEvT1_T3_lS5_lPT2_S5_S5_.numbered_sgpr, 15
	.set _ZN9rocsolver6v33100L23getf2_npvt_small_kernelILi16E19rocblas_complex_numIfEiiPS3_EEvT1_T3_lS5_lPT2_S5_S5_.num_named_barrier, 0
	.set _ZN9rocsolver6v33100L23getf2_npvt_small_kernelILi16E19rocblas_complex_numIfEiiPS3_EEvT1_T3_lS5_lPT2_S5_S5_.private_seg_size, 0
	.set _ZN9rocsolver6v33100L23getf2_npvt_small_kernelILi16E19rocblas_complex_numIfEiiPS3_EEvT1_T3_lS5_lPT2_S5_S5_.uses_vcc, 1
	.set _ZN9rocsolver6v33100L23getf2_npvt_small_kernelILi16E19rocblas_complex_numIfEiiPS3_EEvT1_T3_lS5_lPT2_S5_S5_.uses_flat_scratch, 0
	.set _ZN9rocsolver6v33100L23getf2_npvt_small_kernelILi16E19rocblas_complex_numIfEiiPS3_EEvT1_T3_lS5_lPT2_S5_S5_.has_dyn_sized_stack, 0
	.set _ZN9rocsolver6v33100L23getf2_npvt_small_kernelILi16E19rocblas_complex_numIfEiiPS3_EEvT1_T3_lS5_lPT2_S5_S5_.has_recursion, 0
	.set _ZN9rocsolver6v33100L23getf2_npvt_small_kernelILi16E19rocblas_complex_numIfEiiPS3_EEvT1_T3_lS5_lPT2_S5_S5_.has_indirect_call, 0
	.section	.AMDGPU.csdata,"",@progbits
; Kernel info:
; codeLenInByte = 18444
; TotalNumSgprs: 17
; NumVgprs: 114
; ScratchSize: 0
; MemoryBound: 0
; FloatMode: 240
; IeeeMode: 1
; LDSByteSize: 0 bytes/workgroup (compile time only)
; SGPRBlocks: 0
; VGPRBlocks: 7
; NumSGPRsForWavesPerEU: 17
; NumVGPRsForWavesPerEU: 114
; NamedBarCnt: 0
; Occupancy: 8
; WaveLimiterHint : 0
; COMPUTE_PGM_RSRC2:SCRATCH_EN: 0
; COMPUTE_PGM_RSRC2:USER_SGPR: 2
; COMPUTE_PGM_RSRC2:TRAP_HANDLER: 0
; COMPUTE_PGM_RSRC2:TGID_X_EN: 1
; COMPUTE_PGM_RSRC2:TGID_Y_EN: 1
; COMPUTE_PGM_RSRC2:TGID_Z_EN: 0
; COMPUTE_PGM_RSRC2:TIDIG_COMP_CNT: 1
	.section	.text._ZN9rocsolver6v33100L18getf2_small_kernelILi17E19rocblas_complex_numIfEiiPS3_EEvT1_T3_lS5_lPS5_llPT2_S5_S5_S7_l,"axG",@progbits,_ZN9rocsolver6v33100L18getf2_small_kernelILi17E19rocblas_complex_numIfEiiPS3_EEvT1_T3_lS5_lPS5_llPT2_S5_S5_S7_l,comdat
	.globl	_ZN9rocsolver6v33100L18getf2_small_kernelILi17E19rocblas_complex_numIfEiiPS3_EEvT1_T3_lS5_lPS5_llPT2_S5_S5_S7_l ; -- Begin function _ZN9rocsolver6v33100L18getf2_small_kernelILi17E19rocblas_complex_numIfEiiPS3_EEvT1_T3_lS5_lPS5_llPT2_S5_S5_S7_l
	.p2align	8
	.type	_ZN9rocsolver6v33100L18getf2_small_kernelILi17E19rocblas_complex_numIfEiiPS3_EEvT1_T3_lS5_lPS5_llPT2_S5_S5_S7_l,@function
_ZN9rocsolver6v33100L18getf2_small_kernelILi17E19rocblas_complex_numIfEiiPS3_EEvT1_T3_lS5_lPS5_llPT2_S5_S5_S7_l: ; @_ZN9rocsolver6v33100L18getf2_small_kernelILi17E19rocblas_complex_numIfEiiPS3_EEvT1_T3_lS5_lPS5_llPT2_S5_S5_S7_l
; %bb.0:
	s_clause 0x1
	s_load_u16 s2, s[0:1], 0x6e
	s_load_b64 s[12:13], s[0:1], 0x48
	s_bfe_u32 s3, ttmp6, 0x40010
	s_bfe_u32 s4, ttmp6, 0x40004
	s_add_co_i32 s3, s3, 1
	s_getreg_b32 s5, hwreg(HW_REG_IB_STS2, 6, 4)
	s_mul_i32 s3, ttmp7, s3
	v_bfe_u32 v42, v0, 10, 10
	s_add_co_i32 s4, s4, s3
	s_cmp_eq_u32 s5, 0
	s_cselect_b32 s3, ttmp7, s4
	s_wait_kmcnt 0x0
	v_mad_u32 v2, s3, s2, v42
	s_mov_b32 s2, exec_lo
	s_delay_alu instid0(VALU_DEP_1)
	v_cmpx_gt_i32_e64 s12, v2
	s_cbranch_execz .LBB32_358
; %bb.1:
	s_load_b128 s[4:7], s[0:1], 0x50
	v_mov_b64_e32 v[28:29], 0
	v_ashrrev_i32_e32 v3, 31, v2
	s_wait_kmcnt 0x0
	s_cmp_eq_u64 s[4:5], 0
	s_cselect_b32 s12, -1, 0
	s_delay_alu instid0(SALU_CYCLE_1)
	s_and_b32 vcc_lo, exec_lo, s12
	s_cbranch_vccnz .LBB32_3
; %bb.2:
	v_mul_u64_e32 v[4:5], s[6:7], v[2:3]
	s_delay_alu instid0(VALU_DEP_1)
	v_lshl_add_u64 v[28:29], v[4:5], 2, s[4:5]
.LBB32_3:
	s_clause 0x1
	s_load_b32 s2, s[0:1], 0x18
	s_load_b256 s[4:11], s[0:1], 0x20
	v_and_b32_e32 v46, 0x3ff, v0
	s_clause 0x1
	s_load_b128 s[16:19], s[0:1], 0x8
	s_load_b32 s14, s[0:1], 0x0
	v_mov_b32_e32 v41, 0
	s_wait_kmcnt 0x0
	v_add3_u32 v4, s2, s2, v46
	v_mul_u64_e32 v[0:1], s[4:5], v[2:3]
	v_lshlrev_b32_e32 v40, 3, v46
	s_ashr_i32 s3, s2, 31
	s_max_i32 s4, s14, 17
	v_dual_add_nc_u32 v6, s2, v4 :: v_dual_ashrrev_i32 v5, 31, v4
	s_cmp_lt_i32 s14, 2
	s_delay_alu instid0(VALU_DEP_1) | instskip(NEXT) | instid1(VALU_DEP_1)
	v_add_nc_u32_e32 v8, s2, v6
	v_add_nc_u32_e32 v10, s2, v8
	s_delay_alu instid0(VALU_DEP_1) | instskip(NEXT) | instid1(VALU_DEP_1)
	v_dual_add_nc_u32 v12, s2, v10 :: v_dual_ashrrev_i32 v11, 31, v10
	v_dual_ashrrev_i32 v13, 31, v12 :: v_dual_add_nc_u32 v14, s2, v12
	s_delay_alu instid0(VALU_DEP_1) | instskip(SKIP_2) | instid1(VALU_DEP_3)
	v_dual_ashrrev_i32 v9, 31, v8 :: v_dual_add_nc_u32 v16, s2, v14
	v_ashrrev_i32_e32 v7, 31, v6
	v_lshl_add_u64 v[0:1], v[0:1], 3, s[16:17]
	v_dual_add_nc_u32 v18, s2, v16 :: v_dual_ashrrev_i32 v17, 31, v16
	s_delay_alu instid0(VALU_DEP_2) | instskip(NEXT) | instid1(VALU_DEP_2)
	v_lshl_add_u64 v[0:1], s[18:19], 3, v[0:1]
	v_add_nc_u32_e32 v20, s2, v18
	v_ashrrev_i32_e32 v15, 31, v14
	s_delay_alu instid0(VALU_DEP_3)
	v_add_nc_u64_e32 v[22:23], v[0:1], v[40:41]
	v_lshl_add_u64 v[30:31], v[8:9], 3, v[0:1]
	v_lshl_add_u64 v[32:33], v[10:11], 3, v[0:1]
	v_dual_add_nc_u32 v24, s2, v20 :: v_dual_ashrrev_i32 v19, 31, v18
	v_lshl_add_u64 v[12:13], v[12:13], 3, v[0:1]
	v_lshl_add_u64 v[14:15], v[14:15], 3, v[0:1]
	v_lshl_add_u64 v[48:49], s[2:3], 3, v[22:23]
	s_delay_alu instid0(VALU_DEP_4)
	v_add_nc_u32_e32 v44, s2, v24
	v_lshl_add_u64 v[26:27], v[4:5], 3, v[0:1]
	v_lshl_add_u64 v[38:39], v[6:7], 3, v[0:1]
	s_clause 0x7
	global_load_b64 v[10:11], v[30:31], off
	global_load_b64 v[6:7], v[32:33], off
	;; [unrolled: 1-line block ×8, first 2 shown]
	v_dual_add_nc_u32 v50, s2, v44 :: v_dual_ashrrev_i32 v45, 31, v44
	v_ashrrev_i32_e32 v21, 31, v20
	v_ashrrev_i32_e32 v25, 31, v24
	s_wait_xcnt 0x0
	v_lshl_add_u64 v[22:23], v[16:17], 3, v[0:1]
	v_add_nc_u32_e32 v12, s2, v50
	v_lshl_add_u64 v[26:27], v[18:19], 3, v[0:1]
	v_lshl_add_u64 v[38:39], v[20:21], 3, v[0:1]
	v_ashrrev_i32_e32 v51, 31, v50
	v_lshl_add_u64 v[24:25], v[24:25], 3, v[0:1]
	v_dual_add_nc_u32 v48, s2, v12 :: v_dual_ashrrev_i32 v13, 31, v12
	s_clause 0x3
	global_load_b64 v[20:21], v[22:23], off
	global_load_b64 v[16:17], v[26:27], off
	;; [unrolled: 1-line block ×4, first 2 shown]
	v_lshl_add_u64 v[44:45], v[44:45], 3, v[0:1]
	v_lshl_add_u64 v[50:51], v[50:51], 3, v[0:1]
	s_wait_xcnt 0x3
	v_dual_add_nc_u32 v22, s2, v48 :: v_dual_ashrrev_i32 v49, 31, v48
	v_lshl_add_u64 v[52:53], v[12:13], 3, v[0:1]
	s_delay_alu instid0(VALU_DEP_2) | instskip(NEXT) | instid1(VALU_DEP_3)
	v_ashrrev_i32_e32 v23, 31, v22
	v_lshl_add_u64 v[48:49], v[48:49], 3, v[0:1]
	s_delay_alu instid0(VALU_DEP_2)
	v_lshl_add_u64 v[54:55], v[22:23], 3, v[0:1]
	s_clause 0x4
	global_load_b64 v[12:13], v[44:45], off
	global_load_b64 v[26:27], v[50:51], off
	;; [unrolled: 1-line block ×5, first 2 shown]
	s_wait_xcnt 0x4
	v_mul_lo_u32 v45, s4, v42
	s_load_b64 s[4:5], s[0:1], 0x40
	s_delay_alu instid0(VALU_DEP_1) | instskip(NEXT) | instid1(VALU_DEP_1)
	v_lshl_add_u32 v44, v45, 3, 0
	v_dual_lshlrev_b32 v45, 3, v45 :: v_dual_add_nc_u32 v40, v44, v40
	s_wait_loadcnt 0x9
	ds_store_b64 v40, v[36:37]
	s_wait_loadcnt_dscnt 0x0
	s_barrier_signal -1
	s_barrier_wait -1
	ds_load_b64 v[42:43], v44
	s_cbranch_scc1 .LBB32_6
; %bb.4:
	v_add3_u32 v40, v45, 0, 8
	v_mov_b32_e32 v41, 0
	s_wait_xcnt 0x0
	s_mov_b32 s0, 1
.LBB32_5:                               ; =>This Inner Loop Header: Depth=1
	ds_load_b64 v[48:49], v40
	s_wait_dscnt 0x1
	v_cmp_gt_f32_e32 vcc_lo, 0, v42
	v_cndmask_b32_e64 v50, v42, -v42, vcc_lo
	v_cmp_gt_f32_e32 vcc_lo, 0, v43
	v_cndmask_b32_e64 v52, v43, -v43, vcc_lo
	s_wait_dscnt 0x0
	v_cmp_gt_f32_e32 vcc_lo, 0, v48
	v_cndmask_b32_e64 v51, v48, -v48, vcc_lo
	v_cmp_gt_f32_e32 vcc_lo, 0, v49
	v_cndmask_b32_e64 v53, v49, -v49, vcc_lo
	s_delay_alu instid0(VALU_DEP_1) | instskip(NEXT) | instid1(VALU_DEP_1)
	v_pk_add_f32 v[50:51], v[50:51], v[52:53]
	v_cmp_lt_f32_e32 vcc_lo, v50, v51
	v_dual_cndmask_b32 v43, v43, v49 :: v_dual_add_nc_u32 v40, 8, v40
	v_cndmask_b32_e32 v42, v42, v48, vcc_lo
	v_cndmask_b32_e64 v41, v41, s0, vcc_lo
	s_add_co_i32 s0, s0, 1
	s_delay_alu instid0(SALU_CYCLE_1)
	s_cmp_eq_u32 s14, s0
	s_cbranch_scc0 .LBB32_5
.LBB32_6:
	s_wait_dscnt 0x0
	v_cmp_neq_f32_e32 vcc_lo, 0, v42
	s_wait_xcnt 0x0
	v_cmp_neq_f32_e64 s0, 0, v43
	v_dual_mov_b32 v47, 1 :: v_dual_mov_b32 v49, 1
	s_or_b32 s1, vcc_lo, s0
	s_delay_alu instid0(SALU_CYCLE_1)
	s_and_saveexec_b32 s0, s1
	s_cbranch_execz .LBB32_12
; %bb.7:
	v_cmp_ngt_f32_e64 s1, |v42|, |v43|
	s_and_saveexec_b32 s15, s1
	s_delay_alu instid0(SALU_CYCLE_1)
	s_xor_b32 s1, exec_lo, s15
	s_cbranch_execz .LBB32_9
; %bb.8:
	v_div_scale_f32 v40, null, v43, v43, v42
	v_div_scale_f32 v49, vcc_lo, v42, v43, v42
	s_delay_alu instid0(VALU_DEP_2) | instskip(SKIP_1) | instid1(TRANS32_DEP_1)
	v_rcp_f32_e32 v47, v40
	v_nop
	v_fma_f32 v48, -v40, v47, 1.0
	s_delay_alu instid0(VALU_DEP_1) | instskip(NEXT) | instid1(VALU_DEP_1)
	v_fmac_f32_e32 v47, v48, v47
	v_mul_f32_e32 v48, v49, v47
	s_delay_alu instid0(VALU_DEP_1) | instskip(NEXT) | instid1(VALU_DEP_1)
	v_fma_f32 v50, -v40, v48, v49
	v_fmac_f32_e32 v48, v50, v47
	s_delay_alu instid0(VALU_DEP_1) | instskip(NEXT) | instid1(VALU_DEP_1)
	v_fma_f32 v40, -v40, v48, v49
	v_div_fmas_f32 v40, v40, v47, v48
	s_delay_alu instid0(VALU_DEP_1) | instskip(NEXT) | instid1(VALU_DEP_1)
	v_div_fixup_f32 v40, v40, v43, v42
	v_fmac_f32_e32 v43, v42, v40
	s_delay_alu instid0(VALU_DEP_1) | instskip(SKIP_1) | instid1(VALU_DEP_2)
	v_div_scale_f32 v42, null, v43, v43, 1.0
	v_div_scale_f32 v49, vcc_lo, 1.0, v43, 1.0
	v_rcp_f32_e32 v47, v42
	v_nop
	s_delay_alu instid0(TRANS32_DEP_1) | instskip(NEXT) | instid1(VALU_DEP_1)
	v_fma_f32 v48, -v42, v47, 1.0
	v_fmac_f32_e32 v47, v48, v47
	s_delay_alu instid0(VALU_DEP_1) | instskip(NEXT) | instid1(VALU_DEP_1)
	v_mul_f32_e32 v48, v49, v47
	v_fma_f32 v50, -v42, v48, v49
	s_delay_alu instid0(VALU_DEP_1) | instskip(NEXT) | instid1(VALU_DEP_1)
	v_fmac_f32_e32 v48, v50, v47
	v_fma_f32 v42, -v42, v48, v49
	s_delay_alu instid0(VALU_DEP_1) | instskip(NEXT) | instid1(VALU_DEP_1)
	v_div_fmas_f32 v42, v42, v47, v48
	v_div_fixup_f32 v43, v42, v43, 1.0
	s_delay_alu instid0(VALU_DEP_1)
	v_mul_f32_e32 v42, v40, v43
	v_xor_b32_e32 v43, 0x80000000, v43
.LBB32_9:
	s_and_not1_saveexec_b32 s1, s1
	s_cbranch_execz .LBB32_11
; %bb.10:
	s_delay_alu instid0(VALU_DEP_1) | instskip(SKIP_1) | instid1(VALU_DEP_2)
	v_div_scale_f32 v40, null, v42, v42, v43
	v_div_scale_f32 v49, vcc_lo, v43, v42, v43
	v_rcp_f32_e32 v47, v40
	v_nop
	s_delay_alu instid0(TRANS32_DEP_1) | instskip(NEXT) | instid1(VALU_DEP_1)
	v_fma_f32 v48, -v40, v47, 1.0
	v_fmac_f32_e32 v47, v48, v47
	s_delay_alu instid0(VALU_DEP_1) | instskip(NEXT) | instid1(VALU_DEP_1)
	v_mul_f32_e32 v48, v49, v47
	v_fma_f32 v50, -v40, v48, v49
	s_delay_alu instid0(VALU_DEP_1) | instskip(NEXT) | instid1(VALU_DEP_1)
	v_fmac_f32_e32 v48, v50, v47
	v_fma_f32 v40, -v40, v48, v49
	s_delay_alu instid0(VALU_DEP_1) | instskip(NEXT) | instid1(VALU_DEP_1)
	v_div_fmas_f32 v40, v40, v47, v48
	v_div_fixup_f32 v40, v40, v42, v43
	s_delay_alu instid0(VALU_DEP_1) | instskip(NEXT) | instid1(VALU_DEP_1)
	v_fmac_f32_e32 v42, v43, v40
	v_div_scale_f32 v43, null, v42, v42, 1.0
	s_delay_alu instid0(VALU_DEP_1) | instskip(SKIP_1) | instid1(TRANS32_DEP_1)
	v_rcp_f32_e32 v47, v43
	v_nop
	v_fma_f32 v48, -v43, v47, 1.0
	s_delay_alu instid0(VALU_DEP_1) | instskip(SKIP_1) | instid1(VALU_DEP_1)
	v_fmac_f32_e32 v47, v48, v47
	v_div_scale_f32 v48, vcc_lo, 1.0, v42, 1.0
	v_mul_f32_e32 v49, v48, v47
	s_delay_alu instid0(VALU_DEP_1) | instskip(NEXT) | instid1(VALU_DEP_1)
	v_fma_f32 v50, -v43, v49, v48
	v_fmac_f32_e32 v49, v50, v47
	s_delay_alu instid0(VALU_DEP_1) | instskip(NEXT) | instid1(VALU_DEP_1)
	v_fma_f32 v43, -v43, v49, v48
	v_div_fmas_f32 v43, v43, v47, v49
	s_delay_alu instid0(VALU_DEP_1) | instskip(NEXT) | instid1(VALU_DEP_1)
	v_div_fixup_f32 v42, v43, v42, 1.0
	v_mul_f32_e64 v43, v40, -v42
.LBB32_11:
	s_or_b32 exec_lo, exec_lo, s1
	v_dual_mov_b32 v49, 0 :: v_dual_mov_b32 v47, 2
.LBB32_12:
	s_or_b32 exec_lo, exec_lo, s0
	s_delay_alu instid0(SALU_CYCLE_1)
	s_mov_b32 s0, exec_lo
	v_cmpx_ne_u32_e64 v46, v41
	s_xor_b32 s0, exec_lo, s0
	s_cbranch_execz .LBB32_18
; %bb.13:
	s_mov_b32 s1, exec_lo
	v_cmpx_eq_u32_e32 0, v46
	s_cbranch_execz .LBB32_17
; %bb.14:
	v_cmp_ne_u32_e32 vcc_lo, 0, v41
	s_xor_b32 s15, s12, -1
	s_delay_alu instid0(SALU_CYCLE_1) | instskip(NEXT) | instid1(SALU_CYCLE_1)
	s_and_b32 s16, s15, vcc_lo
	s_and_saveexec_b32 s15, s16
	s_cbranch_execz .LBB32_16
; %bb.15:
	v_dual_mov_b32 v50, v41 :: v_dual_ashrrev_i32 v51, 31, v41
	s_delay_alu instid0(VALU_DEP_1)
	v_lshl_add_u64 v[50:51], v[50:51], 2, v[28:29]
	s_clause 0x1
	global_load_b32 v40, v[50:51], off
	global_load_b32 v46, v[28:29], off
	s_wait_loadcnt 0x1
	global_store_b32 v[28:29], v40, off
	s_wait_loadcnt 0x0
	global_store_b32 v[50:51], v46, off
.LBB32_16:
	s_wait_xcnt 0x0
	s_or_b32 exec_lo, exec_lo, s15
	v_mov_b32_e32 v46, v41
.LBB32_17:
	s_or_b32 exec_lo, exec_lo, s1
.LBB32_18:
	s_or_saveexec_b32 s0, s0
	s_delay_alu instid0(VALU_DEP_1)
	v_mov_b32_e32 v48, v46
	s_xor_b32 exec_lo, exec_lo, s0
	s_cbranch_execz .LBB32_20
; %bb.19:
	v_mov_b32_e32 v48, 0
	ds_store_2addr_b64 v44, v[32:33], v[34:35] offset0:1 offset1:2
	ds_store_2addr_b64 v44, v[30:31], v[10:11] offset0:3 offset1:4
	;; [unrolled: 1-line block ×8, first 2 shown]
.LBB32_20:
	s_or_b32 exec_lo, exec_lo, s0
	s_delay_alu instid0(SALU_CYCLE_1)
	s_mov_b32 s0, exec_lo
	s_wait_storecnt_dscnt 0x0
	s_barrier_signal -1
	s_barrier_wait -1
	v_cmpx_lt_i32_e32 0, v48
	s_cbranch_execz .LBB32_22
; %bb.21:
	v_pk_mul_f32 v[50:51], v[42:43], v[36:37] op_sel:[1,1] op_sel_hi:[0,1]
	s_delay_alu instid0(VALU_DEP_1)
	v_pk_fma_f32 v[40:41], v[42:43], v[36:37], v[50:51] op_sel_hi:[1,0,1] neg_lo:[0,0,1] neg_hi:[0,0,1]
	v_pk_fma_f32 v[42:43], v[42:43], v[36:37], v[50:51] op_sel_hi:[1,0,1]
	ds_load_2addr_b64 v[50:53], v44 offset0:1 offset1:2
	v_dual_mov_b32 v36, v40 :: v_dual_mov_b32 v37, v43
	s_wait_dscnt 0x0
	v_pk_mul_f32 v[54:55], v[50:51], v[42:43] op_sel:[0,1]
	s_delay_alu instid0(VALU_DEP_1) | instskip(SKIP_1) | instid1(VALU_DEP_1)
	v_pk_fma_f32 v[56:57], v[50:51], v[40:41], v[54:55] op_sel:[0,0,1] op_sel_hi:[1,1,0] neg_lo:[0,0,1] neg_hi:[0,0,1]
	v_pk_fma_f32 v[50:51], v[50:51], v[40:41], v[54:55] op_sel:[0,0,1] op_sel_hi:[1,0,0]
	v_mov_b32_e32 v57, v51
	v_pk_mul_f32 v[50:51], v[52:53], v[42:43] op_sel:[0,1]
	s_delay_alu instid0(VALU_DEP_1) | instskip(SKIP_1) | instid1(VALU_DEP_1)
	v_pk_fma_f32 v[54:55], v[52:53], v[40:41], v[50:51] op_sel:[0,0,1] op_sel_hi:[1,1,0] neg_lo:[0,0,1] neg_hi:[0,0,1]
	v_pk_fma_f32 v[50:51], v[52:53], v[40:41], v[50:51] op_sel:[0,0,1] op_sel_hi:[1,0,0]
	v_mov_b32_e32 v55, v51
	ds_load_2addr_b64 v[50:53], v44 offset0:3 offset1:4
	v_pk_add_f32 v[32:33], v[32:33], v[56:57] neg_lo:[0,1] neg_hi:[0,1]
	v_pk_add_f32 v[34:35], v[34:35], v[54:55] neg_lo:[0,1] neg_hi:[0,1]
	s_wait_dscnt 0x0
	v_pk_mul_f32 v[54:55], v[50:51], v[42:43] op_sel:[0,1]
	s_delay_alu instid0(VALU_DEP_1) | instskip(SKIP_2) | instid1(VALU_DEP_2)
	v_pk_fma_f32 v[56:57], v[50:51], v[40:41], v[54:55] op_sel:[0,0,1] op_sel_hi:[1,1,0] neg_lo:[0,0,1] neg_hi:[0,0,1]
	v_pk_fma_f32 v[50:51], v[50:51], v[40:41], v[54:55] op_sel:[0,0,1] op_sel_hi:[1,0,0]
	v_dual_mul_f32 v54, v53, v43 :: v_dual_mov_b32 v50, v53
	v_dual_mov_b32 v57, v51 :: v_dual_mov_b32 v51, v52
	s_delay_alu instid0(VALU_DEP_2) | instskip(SKIP_1) | instid1(VALU_DEP_3)
	v_pk_fma_f32 v[54:55], v[52:53], v[36:37], v[54:55] op_sel_hi:[1,1,0] neg_lo:[0,0,1] neg_hi:[0,0,1]
	v_mul_f32_e32 v52, v53, v40
	v_pk_add_f32 v[30:31], v[30:31], v[56:57] neg_lo:[0,1] neg_hi:[0,1]
	s_delay_alu instid0(VALU_DEP_2) | instskip(NEXT) | instid1(VALU_DEP_1)
	v_pk_fma_f32 v[50:51], v[50:51], v[36:37], v[52:53] op_sel_hi:[1,1,0]
	v_mov_b32_e32 v55, v51
	ds_load_2addr_b64 v[50:53], v44 offset0:5 offset1:6
	v_pk_add_f32 v[10:11], v[10:11], v[54:55] neg_lo:[0,1] neg_hi:[0,1]
	s_wait_dscnt 0x0
	v_pk_mul_f32 v[54:55], v[50:51], v[42:43] op_sel:[0,1]
	s_delay_alu instid0(VALU_DEP_1) | instskip(SKIP_1) | instid1(VALU_DEP_1)
	v_pk_fma_f32 v[56:57], v[50:51], v[40:41], v[54:55] op_sel:[0,0,1] op_sel_hi:[1,1,0] neg_lo:[0,0,1] neg_hi:[0,0,1]
	v_pk_fma_f32 v[50:51], v[50:51], v[40:41], v[54:55] op_sel:[0,0,1] op_sel_hi:[1,0,0]
	v_mov_b32_e32 v57, v51
	v_pk_mul_f32 v[50:51], v[52:53], v[42:43] op_sel:[0,1]
	s_delay_alu instid0(VALU_DEP_1) | instskip(SKIP_1) | instid1(VALU_DEP_1)
	v_pk_fma_f32 v[54:55], v[52:53], v[40:41], v[50:51] op_sel:[0,0,1] op_sel_hi:[1,1,0] neg_lo:[0,0,1] neg_hi:[0,0,1]
	v_pk_fma_f32 v[50:51], v[52:53], v[40:41], v[50:51] op_sel:[0,0,1] op_sel_hi:[1,0,0]
	v_mov_b32_e32 v55, v51
	ds_load_2addr_b64 v[50:53], v44 offset0:7 offset1:8
	v_pk_add_f32 v[6:7], v[6:7], v[56:57] neg_lo:[0,1] neg_hi:[0,1]
	v_pk_add_f32 v[8:9], v[8:9], v[54:55] neg_lo:[0,1] neg_hi:[0,1]
	s_wait_dscnt 0x0
	v_pk_mul_f32 v[54:55], v[50:51], v[42:43] op_sel:[0,1]
	s_delay_alu instid0(VALU_DEP_1) | instskip(SKIP_1) | instid1(VALU_DEP_1)
	v_pk_fma_f32 v[56:57], v[50:51], v[40:41], v[54:55] op_sel:[0,0,1] op_sel_hi:[1,1,0] neg_lo:[0,0,1] neg_hi:[0,0,1]
	v_pk_fma_f32 v[50:51], v[50:51], v[40:41], v[54:55] op_sel:[0,0,1] op_sel_hi:[1,0,0]
	v_mov_b32_e32 v57, v51
	v_pk_mul_f32 v[50:51], v[52:53], v[42:43] op_sel:[0,1]
	s_delay_alu instid0(VALU_DEP_1) | instskip(SKIP_1) | instid1(VALU_DEP_1)
	v_pk_fma_f32 v[54:55], v[52:53], v[40:41], v[50:51] op_sel:[0,0,1] op_sel_hi:[1,1,0] neg_lo:[0,0,1] neg_hi:[0,0,1]
	v_pk_fma_f32 v[50:51], v[52:53], v[40:41], v[50:51] op_sel:[0,0,1] op_sel_hi:[1,0,0]
	v_mov_b32_e32 v55, v51
	ds_load_2addr_b64 v[50:53], v44 offset0:9 offset1:10
	v_pk_add_f32 v[4:5], v[4:5], v[56:57] neg_lo:[0,1] neg_hi:[0,1]
	v_pk_add_f32 v[20:21], v[20:21], v[54:55] neg_lo:[0,1] neg_hi:[0,1]
	s_wait_dscnt 0x0
	v_dual_mul_f32 v54, v51, v43 :: v_dual_mul_f32 v56, v51, v40
	s_delay_alu instid0(VALU_DEP_1) | instskip(NEXT) | instid1(VALU_DEP_2)
	v_pk_fma_f32 v[54:55], v[50:51], v[36:37], v[54:55] op_sel_hi:[1,1,0] neg_lo:[0,0,1] neg_hi:[0,0,1]
	v_pk_fma_f32 v[50:51], v[50:51], v[36:37], v[56:57] op_sel:[1,0,0] op_sel_hi:[0,1,0]
	s_delay_alu instid0(VALU_DEP_1) | instskip(SKIP_1) | instid1(VALU_DEP_2)
	v_mov_b32_e32 v55, v51
	v_pk_mul_f32 v[50:51], v[52:53], v[42:43] op_sel:[0,1]
	v_pk_add_f32 v[16:17], v[16:17], v[54:55] neg_lo:[0,1] neg_hi:[0,1]
	s_delay_alu instid0(VALU_DEP_2) | instskip(SKIP_1) | instid1(VALU_DEP_1)
	v_pk_fma_f32 v[54:55], v[52:53], v[40:41], v[50:51] op_sel:[0,0,1] op_sel_hi:[1,1,0] neg_lo:[0,0,1] neg_hi:[0,0,1]
	v_pk_fma_f32 v[50:51], v[52:53], v[40:41], v[50:51] op_sel:[0,0,1] op_sel_hi:[1,0,0]
	v_mov_b32_e32 v55, v51
	ds_load_2addr_b64 v[50:53], v44 offset0:11 offset1:12
	v_pk_add_f32 v[18:19], v[18:19], v[54:55] neg_lo:[0,1] neg_hi:[0,1]
	s_wait_dscnt 0x0
	v_pk_mul_f32 v[54:55], v[50:51], v[42:43] op_sel:[0,1]
	s_delay_alu instid0(VALU_DEP_1) | instskip(SKIP_1) | instid1(VALU_DEP_1)
	v_pk_fma_f32 v[56:57], v[50:51], v[40:41], v[54:55] op_sel:[0,0,1] op_sel_hi:[1,1,0] neg_lo:[0,0,1] neg_hi:[0,0,1]
	v_pk_fma_f32 v[50:51], v[50:51], v[40:41], v[54:55] op_sel:[0,0,1] op_sel_hi:[1,0,0]
	v_mov_b32_e32 v57, v51
	v_pk_mul_f32 v[50:51], v[52:53], v[42:43] op_sel:[0,1]
	s_delay_alu instid0(VALU_DEP_2) | instskip(NEXT) | instid1(VALU_DEP_2)
	v_pk_add_f32 v[14:15], v[14:15], v[56:57] neg_lo:[0,1] neg_hi:[0,1]
	v_pk_fma_f32 v[54:55], v[52:53], v[40:41], v[50:51] op_sel:[0,0,1] op_sel_hi:[1,1,0] neg_lo:[0,0,1] neg_hi:[0,0,1]
	v_pk_fma_f32 v[50:51], v[52:53], v[40:41], v[50:51] op_sel:[0,0,1] op_sel_hi:[1,0,0]
	s_delay_alu instid0(VALU_DEP_1) | instskip(SKIP_4) | instid1(VALU_DEP_1)
	v_mov_b32_e32 v55, v51
	ds_load_2addr_b64 v[50:53], v44 offset0:13 offset1:14
	v_pk_add_f32 v[12:13], v[12:13], v[54:55] neg_lo:[0,1] neg_hi:[0,1]
	s_wait_dscnt 0x0
	v_pk_mul_f32 v[54:55], v[50:51], v[42:43] op_sel:[0,1]
	v_pk_fma_f32 v[56:57], v[50:51], v[40:41], v[54:55] op_sel:[0,0,1] op_sel_hi:[1,1,0] neg_lo:[0,0,1] neg_hi:[0,0,1]
	v_pk_fma_f32 v[50:51], v[50:51], v[40:41], v[54:55] op_sel:[0,0,1] op_sel_hi:[1,0,0]
	v_dual_mul_f32 v54, v53, v43 :: v_dual_mov_b32 v50, v53
	s_delay_alu instid0(VALU_DEP_2) | instskip(NEXT) | instid1(VALU_DEP_2)
	v_dual_mov_b32 v57, v51 :: v_dual_mov_b32 v51, v52
	v_pk_fma_f32 v[54:55], v[52:53], v[36:37], v[54:55] op_sel_hi:[1,1,0] neg_lo:[0,0,1] neg_hi:[0,0,1]
	v_mul_f32_e32 v52, v53, v40
	s_delay_alu instid0(VALU_DEP_3) | instskip(NEXT) | instid1(VALU_DEP_2)
	v_pk_add_f32 v[26:27], v[26:27], v[56:57] neg_lo:[0,1] neg_hi:[0,1]
	v_pk_fma_f32 v[50:51], v[50:51], v[36:37], v[52:53] op_sel_hi:[1,1,0]
	s_delay_alu instid0(VALU_DEP_1)
	v_mov_b32_e32 v55, v51
	ds_load_2addr_b64 v[50:53], v44 offset0:15 offset1:16
	v_pk_add_f32 v[24:25], v[24:25], v[54:55] neg_lo:[0,1] neg_hi:[0,1]
	s_wait_dscnt 0x0
	v_pk_mul_f32 v[54:55], v[50:51], v[42:43] op_sel:[0,1]
	v_pk_mul_f32 v[42:43], v[52:53], v[42:43] op_sel:[0,1]
	s_delay_alu instid0(VALU_DEP_2) | instskip(SKIP_1) | instid1(VALU_DEP_1)
	v_pk_fma_f32 v[56:57], v[50:51], v[40:41], v[54:55] op_sel:[0,0,1] op_sel_hi:[1,1,0] neg_lo:[0,0,1] neg_hi:[0,0,1]
	v_pk_fma_f32 v[50:51], v[50:51], v[40:41], v[54:55] op_sel:[0,0,1] op_sel_hi:[1,0,0]
	v_mov_b32_e32 v57, v51
	s_delay_alu instid0(VALU_DEP_4) | instskip(SKIP_1) | instid1(VALU_DEP_1)
	v_pk_fma_f32 v[50:51], v[52:53], v[40:41], v[42:43] op_sel:[0,0,1] op_sel_hi:[1,1,0] neg_lo:[0,0,1] neg_hi:[0,0,1]
	v_pk_fma_f32 v[40:41], v[52:53], v[40:41], v[42:43] op_sel:[0,0,1] op_sel_hi:[1,0,0]
	v_mov_b32_e32 v51, v41
	s_delay_alu instid0(VALU_DEP_4) | instskip(NEXT) | instid1(VALU_DEP_2)
	v_pk_add_f32 v[22:23], v[22:23], v[56:57] neg_lo:[0,1] neg_hi:[0,1]
	v_pk_add_f32 v[38:39], v[38:39], v[50:51] neg_lo:[0,1] neg_hi:[0,1]
.LBB32_22:
	s_or_b32 exec_lo, exec_lo, s0
	v_lshl_add_u32 v40, v48, 3, v44
	s_barrier_signal -1
	s_barrier_wait -1
	ds_store_b64 v40, v[32:33]
	s_wait_dscnt 0x0
	s_barrier_signal -1
	s_barrier_wait -1
	ds_load_b64 v[40:41], v44 offset:8
	v_mov_b32_e32 v42, 1
	s_cmp_lt_i32 s14, 3
	s_cbranch_scc1 .LBB32_25
; %bb.23:
	v_add3_u32 v43, v45, 0, 16
	v_mov_b32_e32 v42, 1
	s_mov_b32 s0, 2
.LBB32_24:                              ; =>This Inner Loop Header: Depth=1
	ds_load_b64 v[50:51], v43
	s_wait_dscnt 0x1
	v_cmp_gt_f32_e32 vcc_lo, 0, v40
	v_cndmask_b32_e64 v52, v40, -v40, vcc_lo
	v_cmp_gt_f32_e32 vcc_lo, 0, v41
	v_cndmask_b32_e64 v54, v41, -v41, vcc_lo
	s_wait_dscnt 0x0
	v_cmp_gt_f32_e32 vcc_lo, 0, v50
	v_cndmask_b32_e64 v53, v50, -v50, vcc_lo
	v_cmp_gt_f32_e32 vcc_lo, 0, v51
	v_cndmask_b32_e64 v55, v51, -v51, vcc_lo
	s_delay_alu instid0(VALU_DEP_1) | instskip(NEXT) | instid1(VALU_DEP_1)
	v_pk_add_f32 v[52:53], v[52:53], v[54:55]
	v_cmp_lt_f32_e32 vcc_lo, v52, v53
	v_dual_cndmask_b32 v40, v40, v50 :: v_dual_add_nc_u32 v43, 8, v43
	v_cndmask_b32_e32 v41, v41, v51, vcc_lo
	v_cndmask_b32_e64 v42, v42, s0, vcc_lo
	s_add_co_i32 s0, s0, 1
	s_delay_alu instid0(SALU_CYCLE_1)
	s_cmp_lg_u32 s14, s0
	s_cbranch_scc1 .LBB32_24
.LBB32_25:
	s_wait_dscnt 0x0
	v_cmp_neq_f32_e32 vcc_lo, 0, v40
	v_cmp_neq_f32_e64 s0, 0, v41
	s_or_b32 s1, vcc_lo, s0
	s_delay_alu instid0(SALU_CYCLE_1)
	s_and_saveexec_b32 s0, s1
	s_cbranch_execz .LBB32_31
; %bb.26:
	v_cmp_ngt_f32_e64 s1, |v40|, |v41|
	s_and_saveexec_b32 s15, s1
	s_delay_alu instid0(SALU_CYCLE_1)
	s_xor_b32 s1, exec_lo, s15
	s_cbranch_execz .LBB32_28
; %bb.27:
	v_div_scale_f32 v43, null, v41, v41, v40
	v_div_scale_f32 v51, vcc_lo, v40, v41, v40
	s_delay_alu instid0(VALU_DEP_2) | instskip(SKIP_1) | instid1(TRANS32_DEP_1)
	v_rcp_f32_e32 v47, v43
	v_nop
	v_fma_f32 v50, -v43, v47, 1.0
	s_delay_alu instid0(VALU_DEP_1) | instskip(NEXT) | instid1(VALU_DEP_1)
	v_fmac_f32_e32 v47, v50, v47
	v_mul_f32_e32 v50, v51, v47
	s_delay_alu instid0(VALU_DEP_1) | instskip(NEXT) | instid1(VALU_DEP_1)
	v_fma_f32 v52, -v43, v50, v51
	v_fmac_f32_e32 v50, v52, v47
	s_delay_alu instid0(VALU_DEP_1) | instskip(NEXT) | instid1(VALU_DEP_1)
	v_fma_f32 v43, -v43, v50, v51
	v_div_fmas_f32 v43, v43, v47, v50
	s_delay_alu instid0(VALU_DEP_1) | instskip(NEXT) | instid1(VALU_DEP_1)
	v_div_fixup_f32 v43, v43, v41, v40
	v_fmac_f32_e32 v41, v40, v43
	s_delay_alu instid0(VALU_DEP_1) | instskip(SKIP_1) | instid1(VALU_DEP_2)
	v_div_scale_f32 v40, null, v41, v41, 1.0
	v_div_scale_f32 v51, vcc_lo, 1.0, v41, 1.0
	v_rcp_f32_e32 v47, v40
	v_nop
	s_delay_alu instid0(TRANS32_DEP_1) | instskip(NEXT) | instid1(VALU_DEP_1)
	v_fma_f32 v50, -v40, v47, 1.0
	v_fmac_f32_e32 v47, v50, v47
	s_delay_alu instid0(VALU_DEP_1) | instskip(NEXT) | instid1(VALU_DEP_1)
	v_mul_f32_e32 v50, v51, v47
	v_fma_f32 v52, -v40, v50, v51
	s_delay_alu instid0(VALU_DEP_1) | instskip(NEXT) | instid1(VALU_DEP_1)
	v_fmac_f32_e32 v50, v52, v47
	v_fma_f32 v40, -v40, v50, v51
	s_delay_alu instid0(VALU_DEP_1) | instskip(NEXT) | instid1(VALU_DEP_1)
	v_div_fmas_f32 v40, v40, v47, v50
	v_div_fixup_f32 v41, v40, v41, 1.0
	s_delay_alu instid0(VALU_DEP_1)
	v_mul_f32_e32 v40, v43, v41
	v_xor_b32_e32 v41, 0x80000000, v41
.LBB32_28:
	s_and_not1_saveexec_b32 s1, s1
	s_cbranch_execz .LBB32_30
; %bb.29:
	s_delay_alu instid0(VALU_DEP_1) | instskip(SKIP_1) | instid1(VALU_DEP_2)
	v_div_scale_f32 v43, null, v40, v40, v41
	v_div_scale_f32 v51, vcc_lo, v41, v40, v41
	v_rcp_f32_e32 v47, v43
	v_nop
	s_delay_alu instid0(TRANS32_DEP_1) | instskip(NEXT) | instid1(VALU_DEP_1)
	v_fma_f32 v50, -v43, v47, 1.0
	v_fmac_f32_e32 v47, v50, v47
	s_delay_alu instid0(VALU_DEP_1) | instskip(NEXT) | instid1(VALU_DEP_1)
	v_mul_f32_e32 v50, v51, v47
	v_fma_f32 v52, -v43, v50, v51
	s_delay_alu instid0(VALU_DEP_1) | instskip(NEXT) | instid1(VALU_DEP_1)
	v_fmac_f32_e32 v50, v52, v47
	v_fma_f32 v43, -v43, v50, v51
	s_delay_alu instid0(VALU_DEP_1) | instskip(NEXT) | instid1(VALU_DEP_1)
	v_div_fmas_f32 v43, v43, v47, v50
	v_div_fixup_f32 v43, v43, v40, v41
	s_delay_alu instid0(VALU_DEP_1) | instskip(NEXT) | instid1(VALU_DEP_1)
	v_fmac_f32_e32 v40, v41, v43
	v_div_scale_f32 v41, null, v40, v40, 1.0
	s_delay_alu instid0(VALU_DEP_1) | instskip(SKIP_1) | instid1(TRANS32_DEP_1)
	v_rcp_f32_e32 v47, v41
	v_nop
	v_fma_f32 v50, -v41, v47, 1.0
	s_delay_alu instid0(VALU_DEP_1) | instskip(SKIP_1) | instid1(VALU_DEP_1)
	v_fmac_f32_e32 v47, v50, v47
	v_div_scale_f32 v50, vcc_lo, 1.0, v40, 1.0
	v_mul_f32_e32 v51, v50, v47
	s_delay_alu instid0(VALU_DEP_1) | instskip(NEXT) | instid1(VALU_DEP_1)
	v_fma_f32 v52, -v41, v51, v50
	v_fmac_f32_e32 v51, v52, v47
	s_delay_alu instid0(VALU_DEP_1) | instskip(NEXT) | instid1(VALU_DEP_1)
	v_fma_f32 v41, -v41, v51, v50
	v_div_fmas_f32 v41, v41, v47, v51
	s_delay_alu instid0(VALU_DEP_1) | instskip(NEXT) | instid1(VALU_DEP_1)
	v_div_fixup_f32 v40, v41, v40, 1.0
	v_mul_f32_e64 v41, v43, -v40
.LBB32_30:
	s_or_b32 exec_lo, exec_lo, s1
	v_mov_b32_e32 v47, v49
.LBB32_31:
	s_or_b32 exec_lo, exec_lo, s0
	s_delay_alu instid0(SALU_CYCLE_1)
	s_mov_b32 s0, exec_lo
	v_cmpx_ne_u32_e64 v48, v42
	s_xor_b32 s0, exec_lo, s0
	s_cbranch_execz .LBB32_37
; %bb.32:
	s_mov_b32 s1, exec_lo
	v_cmpx_eq_u32_e32 1, v48
	s_cbranch_execz .LBB32_36
; %bb.33:
	v_cmp_ne_u32_e32 vcc_lo, 1, v42
	s_xor_b32 s15, s12, -1
	s_delay_alu instid0(SALU_CYCLE_1) | instskip(NEXT) | instid1(SALU_CYCLE_1)
	s_and_b32 s16, s15, vcc_lo
	s_and_saveexec_b32 s15, s16
	s_cbranch_execz .LBB32_35
; %bb.34:
	v_ashrrev_i32_e32 v43, 31, v42
	s_delay_alu instid0(VALU_DEP_1)
	v_lshl_add_u64 v[48:49], v[42:43], 2, v[28:29]
	s_clause 0x1
	global_load_b32 v43, v[48:49], off
	global_load_b32 v46, v[28:29], off offset:4
	s_wait_loadcnt 0x1
	global_store_b32 v[28:29], v43, off offset:4
	s_wait_loadcnt 0x0
	global_store_b32 v[48:49], v46, off
.LBB32_35:
	s_wait_xcnt 0x0
	s_or_b32 exec_lo, exec_lo, s15
	v_dual_mov_b32 v48, v42 :: v_dual_mov_b32 v46, v42
.LBB32_36:
	s_or_b32 exec_lo, exec_lo, s1
.LBB32_37:
	s_and_not1_saveexec_b32 s0, s0
	s_cbranch_execz .LBB32_39
; %bb.38:
	v_dual_mov_b32 v42, v34 :: v_dual_mov_b32 v43, v35
	v_dual_mov_b32 v48, v30 :: v_dual_mov_b32 v49, v31
	ds_store_2addr_b64 v44, v[42:43], v[48:49] offset0:2 offset1:3
	v_dual_mov_b32 v42, v10 :: v_dual_mov_b32 v43, v11
	v_dual_mov_b32 v48, v6 :: v_dual_mov_b32 v49, v7
	ds_store_2addr_b64 v44, v[42:43], v[48:49] offset0:4 offset1:5
	;; [unrolled: 3-line block ×7, first 2 shown]
	ds_store_b64 v44, v[38:39] offset:128
	v_mov_b32_e32 v48, 1
.LBB32_39:
	s_or_b32 exec_lo, exec_lo, s0
	s_delay_alu instid0(SALU_CYCLE_1)
	s_mov_b32 s0, exec_lo
	s_wait_storecnt_dscnt 0x0
	s_barrier_signal -1
	s_barrier_wait -1
	v_cmpx_lt_i32_e32 1, v48
	s_cbranch_execz .LBB32_41
; %bb.40:
	v_pk_mul_f32 v[50:51], v[40:41], v[32:33] op_sel:[1,1] op_sel_hi:[0,1]
	s_delay_alu instid0(VALU_DEP_1)
	v_pk_fma_f32 v[42:43], v[40:41], v[32:33], v[50:51] op_sel_hi:[1,0,1] neg_lo:[0,0,1] neg_hi:[0,0,1]
	v_pk_fma_f32 v[40:41], v[40:41], v[32:33], v[50:51] op_sel_hi:[1,0,1]
	ds_load_2addr_b64 v[50:53], v44 offset0:2 offset1:3
	v_dual_mov_b32 v32, v42 :: v_dual_mov_b32 v33, v41
	s_wait_dscnt 0x0
	v_pk_mul_f32 v[54:55], v[50:51], v[40:41] op_sel:[0,1]
	s_delay_alu instid0(VALU_DEP_1) | instskip(SKIP_1) | instid1(VALU_DEP_1)
	v_pk_fma_f32 v[56:57], v[50:51], v[42:43], v[54:55] op_sel:[0,0,1] op_sel_hi:[1,1,0] neg_lo:[0,0,1] neg_hi:[0,0,1]
	v_pk_fma_f32 v[50:51], v[50:51], v[42:43], v[54:55] op_sel:[0,0,1] op_sel_hi:[1,0,0]
	v_mov_b32_e32 v57, v51
	v_pk_mul_f32 v[50:51], v[52:53], v[40:41] op_sel:[0,1]
	s_delay_alu instid0(VALU_DEP_1) | instskip(SKIP_1) | instid1(VALU_DEP_1)
	v_pk_fma_f32 v[54:55], v[52:53], v[42:43], v[50:51] op_sel:[0,0,1] op_sel_hi:[1,1,0] neg_lo:[0,0,1] neg_hi:[0,0,1]
	v_pk_fma_f32 v[50:51], v[52:53], v[42:43], v[50:51] op_sel:[0,0,1] op_sel_hi:[1,0,0]
	v_mov_b32_e32 v55, v51
	ds_load_2addr_b64 v[50:53], v44 offset0:4 offset1:5
	v_pk_add_f32 v[34:35], v[34:35], v[56:57] neg_lo:[0,1] neg_hi:[0,1]
	v_pk_add_f32 v[30:31], v[30:31], v[54:55] neg_lo:[0,1] neg_hi:[0,1]
	s_wait_dscnt 0x0
	v_pk_mul_f32 v[54:55], v[50:51], v[40:41] op_sel:[0,1]
	s_delay_alu instid0(VALU_DEP_1) | instskip(SKIP_2) | instid1(VALU_DEP_2)
	v_pk_fma_f32 v[56:57], v[50:51], v[42:43], v[54:55] op_sel:[0,0,1] op_sel_hi:[1,1,0] neg_lo:[0,0,1] neg_hi:[0,0,1]
	v_pk_fma_f32 v[50:51], v[50:51], v[42:43], v[54:55] op_sel:[0,0,1] op_sel_hi:[1,0,0]
	v_dual_mul_f32 v54, v53, v41 :: v_dual_mov_b32 v50, v53
	v_dual_mov_b32 v57, v51 :: v_dual_mov_b32 v51, v52
	s_delay_alu instid0(VALU_DEP_2) | instskip(SKIP_1) | instid1(VALU_DEP_3)
	v_pk_fma_f32 v[54:55], v[52:53], v[32:33], v[54:55] op_sel_hi:[1,1,0] neg_lo:[0,0,1] neg_hi:[0,0,1]
	v_mul_f32_e32 v52, v53, v42
	v_pk_add_f32 v[10:11], v[10:11], v[56:57] neg_lo:[0,1] neg_hi:[0,1]
	s_delay_alu instid0(VALU_DEP_2) | instskip(NEXT) | instid1(VALU_DEP_1)
	v_pk_fma_f32 v[50:51], v[50:51], v[32:33], v[52:53] op_sel_hi:[1,1,0]
	v_mov_b32_e32 v55, v51
	ds_load_2addr_b64 v[50:53], v44 offset0:6 offset1:7
	v_pk_add_f32 v[6:7], v[6:7], v[54:55] neg_lo:[0,1] neg_hi:[0,1]
	s_wait_dscnt 0x0
	v_pk_mul_f32 v[54:55], v[50:51], v[40:41] op_sel:[0,1]
	s_delay_alu instid0(VALU_DEP_1) | instskip(SKIP_1) | instid1(VALU_DEP_1)
	v_pk_fma_f32 v[56:57], v[50:51], v[42:43], v[54:55] op_sel:[0,0,1] op_sel_hi:[1,1,0] neg_lo:[0,0,1] neg_hi:[0,0,1]
	v_pk_fma_f32 v[50:51], v[50:51], v[42:43], v[54:55] op_sel:[0,0,1] op_sel_hi:[1,0,0]
	v_mov_b32_e32 v57, v51
	v_pk_mul_f32 v[50:51], v[52:53], v[40:41] op_sel:[0,1]
	s_delay_alu instid0(VALU_DEP_1) | instskip(SKIP_1) | instid1(VALU_DEP_1)
	v_pk_fma_f32 v[54:55], v[52:53], v[42:43], v[50:51] op_sel:[0,0,1] op_sel_hi:[1,1,0] neg_lo:[0,0,1] neg_hi:[0,0,1]
	v_pk_fma_f32 v[50:51], v[52:53], v[42:43], v[50:51] op_sel:[0,0,1] op_sel_hi:[1,0,0]
	v_mov_b32_e32 v55, v51
	ds_load_2addr_b64 v[50:53], v44 offset0:8 offset1:9
	v_pk_add_f32 v[8:9], v[8:9], v[56:57] neg_lo:[0,1] neg_hi:[0,1]
	v_pk_add_f32 v[4:5], v[4:5], v[54:55] neg_lo:[0,1] neg_hi:[0,1]
	s_wait_dscnt 0x0
	v_pk_mul_f32 v[54:55], v[50:51], v[40:41] op_sel:[0,1]
	s_delay_alu instid0(VALU_DEP_1) | instskip(SKIP_1) | instid1(VALU_DEP_1)
	v_pk_fma_f32 v[56:57], v[50:51], v[42:43], v[54:55] op_sel:[0,0,1] op_sel_hi:[1,1,0] neg_lo:[0,0,1] neg_hi:[0,0,1]
	v_pk_fma_f32 v[50:51], v[50:51], v[42:43], v[54:55] op_sel:[0,0,1] op_sel_hi:[1,0,0]
	v_mov_b32_e32 v57, v51
	v_pk_mul_f32 v[50:51], v[52:53], v[40:41] op_sel:[0,1]
	s_delay_alu instid0(VALU_DEP_1) | instskip(SKIP_1) | instid1(VALU_DEP_1)
	v_pk_fma_f32 v[54:55], v[52:53], v[42:43], v[50:51] op_sel:[0,0,1] op_sel_hi:[1,1,0] neg_lo:[0,0,1] neg_hi:[0,0,1]
	v_pk_fma_f32 v[50:51], v[52:53], v[42:43], v[50:51] op_sel:[0,0,1] op_sel_hi:[1,0,0]
	v_mov_b32_e32 v55, v51
	ds_load_2addr_b64 v[50:53], v44 offset0:10 offset1:11
	v_pk_add_f32 v[20:21], v[20:21], v[56:57] neg_lo:[0,1] neg_hi:[0,1]
	v_pk_add_f32 v[16:17], v[16:17], v[54:55] neg_lo:[0,1] neg_hi:[0,1]
	s_wait_dscnt 0x0
	v_dual_mul_f32 v54, v51, v41 :: v_dual_mul_f32 v56, v51, v42
	s_delay_alu instid0(VALU_DEP_1) | instskip(NEXT) | instid1(VALU_DEP_2)
	v_pk_fma_f32 v[54:55], v[50:51], v[32:33], v[54:55] op_sel_hi:[1,1,0] neg_lo:[0,0,1] neg_hi:[0,0,1]
	v_pk_fma_f32 v[50:51], v[50:51], v[32:33], v[56:57] op_sel:[1,0,0] op_sel_hi:[0,1,0]
	s_delay_alu instid0(VALU_DEP_1) | instskip(SKIP_1) | instid1(VALU_DEP_2)
	v_mov_b32_e32 v55, v51
	v_pk_mul_f32 v[50:51], v[52:53], v[40:41] op_sel:[0,1]
	v_pk_add_f32 v[18:19], v[18:19], v[54:55] neg_lo:[0,1] neg_hi:[0,1]
	s_delay_alu instid0(VALU_DEP_2) | instskip(SKIP_1) | instid1(VALU_DEP_1)
	v_pk_fma_f32 v[54:55], v[52:53], v[42:43], v[50:51] op_sel:[0,0,1] op_sel_hi:[1,1,0] neg_lo:[0,0,1] neg_hi:[0,0,1]
	v_pk_fma_f32 v[50:51], v[52:53], v[42:43], v[50:51] op_sel:[0,0,1] op_sel_hi:[1,0,0]
	v_mov_b32_e32 v55, v51
	ds_load_2addr_b64 v[50:53], v44 offset0:12 offset1:13
	v_pk_add_f32 v[14:15], v[14:15], v[54:55] neg_lo:[0,1] neg_hi:[0,1]
	s_wait_dscnt 0x0
	v_pk_mul_f32 v[54:55], v[50:51], v[40:41] op_sel:[0,1]
	s_delay_alu instid0(VALU_DEP_1) | instskip(SKIP_1) | instid1(VALU_DEP_1)
	v_pk_fma_f32 v[56:57], v[50:51], v[42:43], v[54:55] op_sel:[0,0,1] op_sel_hi:[1,1,0] neg_lo:[0,0,1] neg_hi:[0,0,1]
	v_pk_fma_f32 v[50:51], v[50:51], v[42:43], v[54:55] op_sel:[0,0,1] op_sel_hi:[1,0,0]
	v_mov_b32_e32 v57, v51
	v_pk_mul_f32 v[50:51], v[52:53], v[40:41] op_sel:[0,1]
	s_delay_alu instid0(VALU_DEP_2) | instskip(NEXT) | instid1(VALU_DEP_2)
	v_pk_add_f32 v[12:13], v[12:13], v[56:57] neg_lo:[0,1] neg_hi:[0,1]
	v_pk_fma_f32 v[54:55], v[52:53], v[42:43], v[50:51] op_sel:[0,0,1] op_sel_hi:[1,1,0] neg_lo:[0,0,1] neg_hi:[0,0,1]
	v_pk_fma_f32 v[50:51], v[52:53], v[42:43], v[50:51] op_sel:[0,0,1] op_sel_hi:[1,0,0]
	s_delay_alu instid0(VALU_DEP_1) | instskip(SKIP_4) | instid1(VALU_DEP_1)
	v_mov_b32_e32 v55, v51
	ds_load_2addr_b64 v[50:53], v44 offset0:14 offset1:15
	v_pk_add_f32 v[26:27], v[26:27], v[54:55] neg_lo:[0,1] neg_hi:[0,1]
	s_wait_dscnt 0x0
	v_pk_mul_f32 v[54:55], v[50:51], v[40:41] op_sel:[0,1]
	v_pk_fma_f32 v[56:57], v[50:51], v[42:43], v[54:55] op_sel:[0,0,1] op_sel_hi:[1,1,0] neg_lo:[0,0,1] neg_hi:[0,0,1]
	v_pk_fma_f32 v[50:51], v[50:51], v[42:43], v[54:55] op_sel:[0,0,1] op_sel_hi:[1,0,0]
	v_dual_mul_f32 v54, v53, v41 :: v_dual_mov_b32 v50, v53
	s_delay_alu instid0(VALU_DEP_2) | instskip(NEXT) | instid1(VALU_DEP_2)
	v_dual_mov_b32 v57, v51 :: v_dual_mov_b32 v51, v52
	v_pk_fma_f32 v[54:55], v[52:53], v[32:33], v[54:55] op_sel_hi:[1,1,0] neg_lo:[0,0,1] neg_hi:[0,0,1]
	v_mul_f32_e32 v52, v53, v42
	s_delay_alu instid0(VALU_DEP_3) | instskip(NEXT) | instid1(VALU_DEP_2)
	v_pk_add_f32 v[24:25], v[24:25], v[56:57] neg_lo:[0,1] neg_hi:[0,1]
	v_pk_fma_f32 v[50:51], v[50:51], v[32:33], v[52:53] op_sel_hi:[1,1,0]
	s_delay_alu instid0(VALU_DEP_1) | instskip(SKIP_4) | instid1(VALU_DEP_1)
	v_mov_b32_e32 v55, v51
	ds_load_b64 v[50:51], v44 offset:128
	v_pk_add_f32 v[22:23], v[22:23], v[54:55] neg_lo:[0,1] neg_hi:[0,1]
	s_wait_dscnt 0x0
	v_pk_mul_f32 v[40:41], v[50:51], v[40:41] op_sel:[0,1]
	v_pk_fma_f32 v[52:53], v[50:51], v[42:43], v[40:41] op_sel:[0,0,1] op_sel_hi:[1,1,0] neg_lo:[0,0,1] neg_hi:[0,0,1]
	v_pk_fma_f32 v[40:41], v[50:51], v[42:43], v[40:41] op_sel:[0,0,1] op_sel_hi:[1,0,0]
	s_delay_alu instid0(VALU_DEP_1) | instskip(NEXT) | instid1(VALU_DEP_1)
	v_mov_b32_e32 v53, v41
	v_pk_add_f32 v[38:39], v[38:39], v[52:53] neg_lo:[0,1] neg_hi:[0,1]
.LBB32_41:
	s_or_b32 exec_lo, exec_lo, s0
	v_lshl_add_u32 v40, v48, 3, v44
	s_barrier_signal -1
	s_barrier_wait -1
	ds_store_b64 v40, v[34:35]
	s_wait_dscnt 0x0
	s_barrier_signal -1
	s_barrier_wait -1
	ds_load_b64 v[40:41], v44 offset:16
	v_mov_b32_e32 v42, 2
	s_cmp_lt_i32 s14, 4
	s_mov_b32 s0, 3
	s_cbranch_scc1 .LBB32_44
; %bb.42:
	v_add3_u32 v43, v45, 0, 24
	v_mov_b32_e32 v42, 2
.LBB32_43:                              ; =>This Inner Loop Header: Depth=1
	ds_load_b64 v[50:51], v43
	s_wait_dscnt 0x1
	v_cmp_gt_f32_e32 vcc_lo, 0, v40
	v_cndmask_b32_e64 v52, v40, -v40, vcc_lo
	v_cmp_gt_f32_e32 vcc_lo, 0, v41
	v_cndmask_b32_e64 v54, v41, -v41, vcc_lo
	s_wait_dscnt 0x0
	v_cmp_gt_f32_e32 vcc_lo, 0, v50
	v_cndmask_b32_e64 v53, v50, -v50, vcc_lo
	v_cmp_gt_f32_e32 vcc_lo, 0, v51
	v_cndmask_b32_e64 v55, v51, -v51, vcc_lo
	s_delay_alu instid0(VALU_DEP_1) | instskip(NEXT) | instid1(VALU_DEP_1)
	v_pk_add_f32 v[52:53], v[52:53], v[54:55]
	v_cmp_lt_f32_e32 vcc_lo, v52, v53
	v_dual_cndmask_b32 v40, v40, v50 :: v_dual_add_nc_u32 v43, 8, v43
	v_cndmask_b32_e32 v41, v41, v51, vcc_lo
	v_cndmask_b32_e64 v42, v42, s0, vcc_lo
	s_add_co_i32 s0, s0, 1
	s_delay_alu instid0(SALU_CYCLE_1)
	s_cmp_lg_u32 s14, s0
	s_cbranch_scc1 .LBB32_43
.LBB32_44:
	s_wait_dscnt 0x0
	v_cmp_eq_f32_e32 vcc_lo, 0, v40
	v_cmp_eq_f32_e64 s0, 0, v41
	s_and_b32 s0, vcc_lo, s0
	s_delay_alu instid0(SALU_CYCLE_1) | instskip(NEXT) | instid1(SALU_CYCLE_1)
	s_and_saveexec_b32 s1, s0
	s_xor_b32 s0, exec_lo, s1
; %bb.45:
	v_cmp_ne_u32_e32 vcc_lo, 0, v47
	v_cndmask_b32_e32 v47, 3, v47, vcc_lo
; %bb.46:
	s_and_not1_saveexec_b32 s0, s0
	s_cbranch_execz .LBB32_52
; %bb.47:
	v_cmp_ngt_f32_e64 s1, |v40|, |v41|
	s_and_saveexec_b32 s15, s1
	s_delay_alu instid0(SALU_CYCLE_1)
	s_xor_b32 s1, exec_lo, s15
	s_cbranch_execz .LBB32_49
; %bb.48:
	v_div_scale_f32 v43, null, v41, v41, v40
	v_div_scale_f32 v51, vcc_lo, v40, v41, v40
	s_delay_alu instid0(VALU_DEP_2) | instskip(SKIP_1) | instid1(TRANS32_DEP_1)
	v_rcp_f32_e32 v49, v43
	v_nop
	v_fma_f32 v50, -v43, v49, 1.0
	s_delay_alu instid0(VALU_DEP_1) | instskip(NEXT) | instid1(VALU_DEP_1)
	v_fmac_f32_e32 v49, v50, v49
	v_mul_f32_e32 v50, v51, v49
	s_delay_alu instid0(VALU_DEP_1) | instskip(NEXT) | instid1(VALU_DEP_1)
	v_fma_f32 v52, -v43, v50, v51
	v_fmac_f32_e32 v50, v52, v49
	s_delay_alu instid0(VALU_DEP_1) | instskip(NEXT) | instid1(VALU_DEP_1)
	v_fma_f32 v43, -v43, v50, v51
	v_div_fmas_f32 v43, v43, v49, v50
	s_delay_alu instid0(VALU_DEP_1) | instskip(NEXT) | instid1(VALU_DEP_1)
	v_div_fixup_f32 v43, v43, v41, v40
	v_fmac_f32_e32 v41, v40, v43
	s_delay_alu instid0(VALU_DEP_1) | instskip(SKIP_1) | instid1(VALU_DEP_2)
	v_div_scale_f32 v40, null, v41, v41, 1.0
	v_div_scale_f32 v51, vcc_lo, 1.0, v41, 1.0
	v_rcp_f32_e32 v49, v40
	v_nop
	s_delay_alu instid0(TRANS32_DEP_1) | instskip(NEXT) | instid1(VALU_DEP_1)
	v_fma_f32 v50, -v40, v49, 1.0
	v_fmac_f32_e32 v49, v50, v49
	s_delay_alu instid0(VALU_DEP_1) | instskip(NEXT) | instid1(VALU_DEP_1)
	v_mul_f32_e32 v50, v51, v49
	v_fma_f32 v52, -v40, v50, v51
	s_delay_alu instid0(VALU_DEP_1) | instskip(NEXT) | instid1(VALU_DEP_1)
	v_fmac_f32_e32 v50, v52, v49
	v_fma_f32 v40, -v40, v50, v51
	s_delay_alu instid0(VALU_DEP_1) | instskip(NEXT) | instid1(VALU_DEP_1)
	v_div_fmas_f32 v40, v40, v49, v50
	v_div_fixup_f32 v41, v40, v41, 1.0
	s_delay_alu instid0(VALU_DEP_1)
	v_mul_f32_e32 v40, v43, v41
	v_xor_b32_e32 v41, 0x80000000, v41
.LBB32_49:
	s_and_not1_saveexec_b32 s1, s1
	s_cbranch_execz .LBB32_51
; %bb.50:
	s_delay_alu instid0(VALU_DEP_1) | instskip(SKIP_1) | instid1(VALU_DEP_2)
	v_div_scale_f32 v43, null, v40, v40, v41
	v_div_scale_f32 v51, vcc_lo, v41, v40, v41
	v_rcp_f32_e32 v49, v43
	v_nop
	s_delay_alu instid0(TRANS32_DEP_1) | instskip(NEXT) | instid1(VALU_DEP_1)
	v_fma_f32 v50, -v43, v49, 1.0
	v_fmac_f32_e32 v49, v50, v49
	s_delay_alu instid0(VALU_DEP_1) | instskip(NEXT) | instid1(VALU_DEP_1)
	v_mul_f32_e32 v50, v51, v49
	v_fma_f32 v52, -v43, v50, v51
	s_delay_alu instid0(VALU_DEP_1) | instskip(NEXT) | instid1(VALU_DEP_1)
	v_fmac_f32_e32 v50, v52, v49
	v_fma_f32 v43, -v43, v50, v51
	s_delay_alu instid0(VALU_DEP_1) | instskip(NEXT) | instid1(VALU_DEP_1)
	v_div_fmas_f32 v43, v43, v49, v50
	v_div_fixup_f32 v43, v43, v40, v41
	s_delay_alu instid0(VALU_DEP_1) | instskip(NEXT) | instid1(VALU_DEP_1)
	v_fmac_f32_e32 v40, v41, v43
	v_div_scale_f32 v41, null, v40, v40, 1.0
	s_delay_alu instid0(VALU_DEP_1) | instskip(SKIP_1) | instid1(TRANS32_DEP_1)
	v_rcp_f32_e32 v49, v41
	v_nop
	v_fma_f32 v50, -v41, v49, 1.0
	s_delay_alu instid0(VALU_DEP_1) | instskip(SKIP_1) | instid1(VALU_DEP_1)
	v_fmac_f32_e32 v49, v50, v49
	v_div_scale_f32 v50, vcc_lo, 1.0, v40, 1.0
	v_mul_f32_e32 v51, v50, v49
	s_delay_alu instid0(VALU_DEP_1) | instskip(NEXT) | instid1(VALU_DEP_1)
	v_fma_f32 v52, -v41, v51, v50
	v_fmac_f32_e32 v51, v52, v49
	s_delay_alu instid0(VALU_DEP_1) | instskip(NEXT) | instid1(VALU_DEP_1)
	v_fma_f32 v41, -v41, v51, v50
	v_div_fmas_f32 v41, v41, v49, v51
	s_delay_alu instid0(VALU_DEP_1) | instskip(NEXT) | instid1(VALU_DEP_1)
	v_div_fixup_f32 v40, v41, v40, 1.0
	v_mul_f32_e64 v41, v43, -v40
.LBB32_51:
	s_or_b32 exec_lo, exec_lo, s1
.LBB32_52:
	s_delay_alu instid0(SALU_CYCLE_1) | instskip(NEXT) | instid1(SALU_CYCLE_1)
	s_or_b32 exec_lo, exec_lo, s0
	s_mov_b32 s0, exec_lo
	v_cmpx_ne_u32_e64 v48, v42
	s_xor_b32 s0, exec_lo, s0
	s_cbranch_execz .LBB32_58
; %bb.53:
	s_mov_b32 s1, exec_lo
	v_cmpx_eq_u32_e32 2, v48
	s_cbranch_execz .LBB32_57
; %bb.54:
	v_cmp_ne_u32_e32 vcc_lo, 2, v42
	s_xor_b32 s15, s12, -1
	s_delay_alu instid0(SALU_CYCLE_1) | instskip(NEXT) | instid1(SALU_CYCLE_1)
	s_and_b32 s16, s15, vcc_lo
	s_and_saveexec_b32 s15, s16
	s_cbranch_execz .LBB32_56
; %bb.55:
	v_ashrrev_i32_e32 v43, 31, v42
	s_delay_alu instid0(VALU_DEP_1)
	v_lshl_add_u64 v[48:49], v[42:43], 2, v[28:29]
	s_clause 0x1
	global_load_b32 v43, v[48:49], off
	global_load_b32 v46, v[28:29], off offset:8
	s_wait_loadcnt 0x1
	global_store_b32 v[28:29], v43, off offset:8
	s_wait_loadcnt 0x0
	global_store_b32 v[48:49], v46, off
.LBB32_56:
	s_wait_xcnt 0x0
	s_or_b32 exec_lo, exec_lo, s15
	v_dual_mov_b32 v48, v42 :: v_dual_mov_b32 v46, v42
.LBB32_57:
	s_or_b32 exec_lo, exec_lo, s1
.LBB32_58:
	s_and_not1_saveexec_b32 s0, s0
	s_cbranch_execz .LBB32_60
; %bb.59:
	v_mov_b32_e32 v48, 2
	ds_store_2addr_b64 v44, v[30:31], v[10:11] offset0:3 offset1:4
	ds_store_2addr_b64 v44, v[6:7], v[8:9] offset0:5 offset1:6
	;; [unrolled: 1-line block ×7, first 2 shown]
.LBB32_60:
	s_or_b32 exec_lo, exec_lo, s0
	s_delay_alu instid0(SALU_CYCLE_1)
	s_mov_b32 s0, exec_lo
	s_wait_storecnt_dscnt 0x0
	s_barrier_signal -1
	s_barrier_wait -1
	v_cmpx_lt_i32_e32 2, v48
	s_cbranch_execz .LBB32_62
; %bb.61:
	v_pk_mul_f32 v[42:43], v[40:41], v[34:35] op_sel:[1,1] op_sel_hi:[0,1]
	s_delay_alu instid0(VALU_DEP_1)
	v_pk_fma_f32 v[50:51], v[40:41], v[34:35], v[42:43] op_sel_hi:[1,0,1] neg_lo:[0,0,1] neg_hi:[0,0,1]
	v_pk_fma_f32 v[52:53], v[40:41], v[34:35], v[42:43] op_sel_hi:[1,0,1]
	ds_load_2addr_b64 v[40:43], v44 offset0:3 offset1:4
	v_dual_mov_b32 v34, v50 :: v_dual_mov_b32 v35, v53
	s_wait_dscnt 0x0
	v_pk_mul_f32 v[54:55], v[40:41], v[52:53] op_sel:[0,1]
	s_delay_alu instid0(VALU_DEP_1) | instskip(SKIP_1) | instid1(VALU_DEP_1)
	v_pk_fma_f32 v[56:57], v[40:41], v[50:51], v[54:55] op_sel:[0,0,1] op_sel_hi:[1,1,0] neg_lo:[0,0,1] neg_hi:[0,0,1]
	v_pk_fma_f32 v[40:41], v[40:41], v[50:51], v[54:55] op_sel:[0,0,1] op_sel_hi:[1,0,0]
	v_mov_b32_e32 v57, v41
	v_pk_mul_f32 v[40:41], v[42:43], v[52:53] op_sel:[0,1]
	s_delay_alu instid0(VALU_DEP_1) | instskip(SKIP_1) | instid1(VALU_DEP_1)
	v_pk_fma_f32 v[54:55], v[42:43], v[50:51], v[40:41] op_sel:[0,0,1] op_sel_hi:[1,1,0] neg_lo:[0,0,1] neg_hi:[0,0,1]
	v_pk_fma_f32 v[40:41], v[42:43], v[50:51], v[40:41] op_sel:[0,0,1] op_sel_hi:[1,0,0]
	v_mov_b32_e32 v55, v41
	ds_load_2addr_b64 v[40:43], v44 offset0:5 offset1:6
	v_pk_add_f32 v[30:31], v[30:31], v[56:57] neg_lo:[0,1] neg_hi:[0,1]
	v_pk_add_f32 v[10:11], v[10:11], v[54:55] neg_lo:[0,1] neg_hi:[0,1]
	s_wait_dscnt 0x0
	v_pk_mul_f32 v[54:55], v[40:41], v[52:53] op_sel:[0,1]
	s_delay_alu instid0(VALU_DEP_1) | instskip(SKIP_2) | instid1(VALU_DEP_2)
	v_pk_fma_f32 v[56:57], v[40:41], v[50:51], v[54:55] op_sel:[0,0,1] op_sel_hi:[1,1,0] neg_lo:[0,0,1] neg_hi:[0,0,1]
	v_pk_fma_f32 v[40:41], v[40:41], v[50:51], v[54:55] op_sel:[0,0,1] op_sel_hi:[1,0,0]
	v_dual_mul_f32 v54, v43, v53 :: v_dual_mov_b32 v40, v43
	v_dual_mov_b32 v57, v41 :: v_dual_mov_b32 v41, v42
	s_delay_alu instid0(VALU_DEP_2) | instskip(SKIP_1) | instid1(VALU_DEP_3)
	v_pk_fma_f32 v[54:55], v[42:43], v[34:35], v[54:55] op_sel_hi:[1,1,0] neg_lo:[0,0,1] neg_hi:[0,0,1]
	v_mul_f32_e32 v42, v43, v50
	v_pk_add_f32 v[6:7], v[6:7], v[56:57] neg_lo:[0,1] neg_hi:[0,1]
	s_delay_alu instid0(VALU_DEP_2) | instskip(NEXT) | instid1(VALU_DEP_1)
	v_pk_fma_f32 v[40:41], v[40:41], v[34:35], v[42:43] op_sel_hi:[1,1,0]
	v_mov_b32_e32 v55, v41
	ds_load_2addr_b64 v[40:43], v44 offset0:7 offset1:8
	v_pk_add_f32 v[8:9], v[8:9], v[54:55] neg_lo:[0,1] neg_hi:[0,1]
	s_wait_dscnt 0x0
	v_pk_mul_f32 v[54:55], v[40:41], v[52:53] op_sel:[0,1]
	s_delay_alu instid0(VALU_DEP_1) | instskip(SKIP_1) | instid1(VALU_DEP_1)
	v_pk_fma_f32 v[56:57], v[40:41], v[50:51], v[54:55] op_sel:[0,0,1] op_sel_hi:[1,1,0] neg_lo:[0,0,1] neg_hi:[0,0,1]
	v_pk_fma_f32 v[40:41], v[40:41], v[50:51], v[54:55] op_sel:[0,0,1] op_sel_hi:[1,0,0]
	v_mov_b32_e32 v57, v41
	v_pk_mul_f32 v[40:41], v[42:43], v[52:53] op_sel:[0,1]
	s_delay_alu instid0(VALU_DEP_1) | instskip(SKIP_1) | instid1(VALU_DEP_1)
	v_pk_fma_f32 v[54:55], v[42:43], v[50:51], v[40:41] op_sel:[0,0,1] op_sel_hi:[1,1,0] neg_lo:[0,0,1] neg_hi:[0,0,1]
	v_pk_fma_f32 v[40:41], v[42:43], v[50:51], v[40:41] op_sel:[0,0,1] op_sel_hi:[1,0,0]
	v_mov_b32_e32 v55, v41
	ds_load_2addr_b64 v[40:43], v44 offset0:9 offset1:10
	v_pk_add_f32 v[4:5], v[4:5], v[56:57] neg_lo:[0,1] neg_hi:[0,1]
	v_pk_add_f32 v[20:21], v[20:21], v[54:55] neg_lo:[0,1] neg_hi:[0,1]
	s_wait_dscnt 0x0
	v_pk_mul_f32 v[54:55], v[40:41], v[52:53] op_sel:[0,1]
	s_delay_alu instid0(VALU_DEP_1) | instskip(SKIP_1) | instid1(VALU_DEP_1)
	v_pk_fma_f32 v[56:57], v[40:41], v[50:51], v[54:55] op_sel:[0,0,1] op_sel_hi:[1,1,0] neg_lo:[0,0,1] neg_hi:[0,0,1]
	v_pk_fma_f32 v[40:41], v[40:41], v[50:51], v[54:55] op_sel:[0,0,1] op_sel_hi:[1,0,0]
	v_mov_b32_e32 v57, v41
	v_pk_mul_f32 v[40:41], v[42:43], v[52:53] op_sel:[0,1]
	s_delay_alu instid0(VALU_DEP_1) | instskip(SKIP_1) | instid1(VALU_DEP_1)
	v_pk_fma_f32 v[54:55], v[42:43], v[50:51], v[40:41] op_sel:[0,0,1] op_sel_hi:[1,1,0] neg_lo:[0,0,1] neg_hi:[0,0,1]
	v_pk_fma_f32 v[40:41], v[42:43], v[50:51], v[40:41] op_sel:[0,0,1] op_sel_hi:[1,0,0]
	v_mov_b32_e32 v55, v41
	ds_load_2addr_b64 v[40:43], v44 offset0:11 offset1:12
	v_pk_add_f32 v[16:17], v[16:17], v[56:57] neg_lo:[0,1] neg_hi:[0,1]
	v_pk_add_f32 v[18:19], v[18:19], v[54:55] neg_lo:[0,1] neg_hi:[0,1]
	s_wait_dscnt 0x0
	v_dual_mul_f32 v54, v41, v53 :: v_dual_mul_f32 v56, v41, v50
	s_delay_alu instid0(VALU_DEP_1) | instskip(NEXT) | instid1(VALU_DEP_2)
	v_pk_fma_f32 v[54:55], v[40:41], v[34:35], v[54:55] op_sel_hi:[1,1,0] neg_lo:[0,0,1] neg_hi:[0,0,1]
	v_pk_fma_f32 v[40:41], v[40:41], v[34:35], v[56:57] op_sel:[1,0,0] op_sel_hi:[0,1,0]
	s_delay_alu instid0(VALU_DEP_1) | instskip(SKIP_1) | instid1(VALU_DEP_2)
	v_mov_b32_e32 v55, v41
	v_pk_mul_f32 v[40:41], v[42:43], v[52:53] op_sel:[0,1]
	v_pk_add_f32 v[14:15], v[14:15], v[54:55] neg_lo:[0,1] neg_hi:[0,1]
	s_delay_alu instid0(VALU_DEP_2) | instskip(SKIP_1) | instid1(VALU_DEP_1)
	v_pk_fma_f32 v[54:55], v[42:43], v[50:51], v[40:41] op_sel:[0,0,1] op_sel_hi:[1,1,0] neg_lo:[0,0,1] neg_hi:[0,0,1]
	v_pk_fma_f32 v[40:41], v[42:43], v[50:51], v[40:41] op_sel:[0,0,1] op_sel_hi:[1,0,0]
	v_mov_b32_e32 v55, v41
	ds_load_2addr_b64 v[40:43], v44 offset0:13 offset1:14
	v_pk_add_f32 v[12:13], v[12:13], v[54:55] neg_lo:[0,1] neg_hi:[0,1]
	s_wait_dscnt 0x0
	v_pk_mul_f32 v[54:55], v[40:41], v[52:53] op_sel:[0,1]
	s_delay_alu instid0(VALU_DEP_1) | instskip(SKIP_1) | instid1(VALU_DEP_1)
	v_pk_fma_f32 v[56:57], v[40:41], v[50:51], v[54:55] op_sel:[0,0,1] op_sel_hi:[1,1,0] neg_lo:[0,0,1] neg_hi:[0,0,1]
	v_pk_fma_f32 v[40:41], v[40:41], v[50:51], v[54:55] op_sel:[0,0,1] op_sel_hi:[1,0,0]
	v_mov_b32_e32 v57, v41
	v_pk_mul_f32 v[40:41], v[42:43], v[52:53] op_sel:[0,1]
	s_delay_alu instid0(VALU_DEP_2) | instskip(NEXT) | instid1(VALU_DEP_2)
	v_pk_add_f32 v[26:27], v[26:27], v[56:57] neg_lo:[0,1] neg_hi:[0,1]
	v_pk_fma_f32 v[54:55], v[42:43], v[50:51], v[40:41] op_sel:[0,0,1] op_sel_hi:[1,1,0] neg_lo:[0,0,1] neg_hi:[0,0,1]
	v_pk_fma_f32 v[40:41], v[42:43], v[50:51], v[40:41] op_sel:[0,0,1] op_sel_hi:[1,0,0]
	s_delay_alu instid0(VALU_DEP_1) | instskip(SKIP_4) | instid1(VALU_DEP_1)
	v_mov_b32_e32 v55, v41
	ds_load_2addr_b64 v[40:43], v44 offset0:15 offset1:16
	v_pk_add_f32 v[24:25], v[24:25], v[54:55] neg_lo:[0,1] neg_hi:[0,1]
	s_wait_dscnt 0x0
	v_pk_mul_f32 v[54:55], v[40:41], v[52:53] op_sel:[0,1]
	v_pk_fma_f32 v[56:57], v[40:41], v[50:51], v[54:55] op_sel:[0,0,1] op_sel_hi:[1,1,0] neg_lo:[0,0,1] neg_hi:[0,0,1]
	v_pk_fma_f32 v[40:41], v[40:41], v[50:51], v[54:55] op_sel:[0,0,1] op_sel_hi:[1,0,0]
	s_delay_alu instid0(VALU_DEP_1) | instskip(SKIP_1) | instid1(VALU_DEP_2)
	v_mov_b32_e32 v57, v41
	v_pk_mul_f32 v[40:41], v[42:43], v[52:53] op_sel:[0,1]
	v_pk_add_f32 v[22:23], v[22:23], v[56:57] neg_lo:[0,1] neg_hi:[0,1]
	s_delay_alu instid0(VALU_DEP_2) | instskip(SKIP_1) | instid1(VALU_DEP_1)
	v_pk_fma_f32 v[52:53], v[42:43], v[50:51], v[40:41] op_sel:[0,0,1] op_sel_hi:[1,1,0] neg_lo:[0,0,1] neg_hi:[0,0,1]
	v_pk_fma_f32 v[40:41], v[42:43], v[50:51], v[40:41] op_sel:[0,0,1] op_sel_hi:[1,0,0]
	v_mov_b32_e32 v53, v41
	s_delay_alu instid0(VALU_DEP_1)
	v_pk_add_f32 v[38:39], v[38:39], v[52:53] neg_lo:[0,1] neg_hi:[0,1]
.LBB32_62:
	s_or_b32 exec_lo, exec_lo, s0
	v_lshl_add_u32 v40, v48, 3, v44
	s_barrier_signal -1
	s_barrier_wait -1
	ds_store_b64 v40, v[30:31]
	s_wait_dscnt 0x0
	s_barrier_signal -1
	s_barrier_wait -1
	ds_load_b64 v[40:41], v44 offset:24
	v_mov_b32_e32 v42, 3
	s_cmp_lt_i32 s14, 5
	s_cbranch_scc1 .LBB32_65
; %bb.63:
	v_mov_b32_e32 v42, 3
	v_add3_u32 v43, v45, 0, 32
	s_mov_b32 s0, 4
.LBB32_64:                              ; =>This Inner Loop Header: Depth=1
	ds_load_b64 v[50:51], v43
	s_wait_dscnt 0x1
	v_cmp_gt_f32_e32 vcc_lo, 0, v40
	v_cndmask_b32_e64 v52, v40, -v40, vcc_lo
	v_cmp_gt_f32_e32 vcc_lo, 0, v41
	v_cndmask_b32_e64 v54, v41, -v41, vcc_lo
	s_wait_dscnt 0x0
	v_cmp_gt_f32_e32 vcc_lo, 0, v50
	v_cndmask_b32_e64 v53, v50, -v50, vcc_lo
	v_cmp_gt_f32_e32 vcc_lo, 0, v51
	v_cndmask_b32_e64 v55, v51, -v51, vcc_lo
	s_delay_alu instid0(VALU_DEP_1) | instskip(NEXT) | instid1(VALU_DEP_1)
	v_pk_add_f32 v[52:53], v[52:53], v[54:55]
	v_cmp_lt_f32_e32 vcc_lo, v52, v53
	v_dual_cndmask_b32 v40, v40, v50 :: v_dual_add_nc_u32 v43, 8, v43
	v_cndmask_b32_e32 v41, v41, v51, vcc_lo
	v_cndmask_b32_e64 v42, v42, s0, vcc_lo
	s_add_co_i32 s0, s0, 1
	s_delay_alu instid0(SALU_CYCLE_1)
	s_cmp_lg_u32 s14, s0
	s_cbranch_scc1 .LBB32_64
.LBB32_65:
	s_wait_dscnt 0x0
	v_cmp_eq_f32_e32 vcc_lo, 0, v40
	v_cmp_eq_f32_e64 s0, 0, v41
	s_and_b32 s0, vcc_lo, s0
	s_delay_alu instid0(SALU_CYCLE_1) | instskip(NEXT) | instid1(SALU_CYCLE_1)
	s_and_saveexec_b32 s1, s0
	s_xor_b32 s0, exec_lo, s1
; %bb.66:
	v_cmp_ne_u32_e32 vcc_lo, 0, v47
	v_cndmask_b32_e32 v47, 4, v47, vcc_lo
; %bb.67:
	s_and_not1_saveexec_b32 s0, s0
	s_cbranch_execz .LBB32_73
; %bb.68:
	v_cmp_ngt_f32_e64 s1, |v40|, |v41|
	s_and_saveexec_b32 s15, s1
	s_delay_alu instid0(SALU_CYCLE_1)
	s_xor_b32 s1, exec_lo, s15
	s_cbranch_execz .LBB32_70
; %bb.69:
	v_div_scale_f32 v43, null, v41, v41, v40
	v_div_scale_f32 v51, vcc_lo, v40, v41, v40
	s_delay_alu instid0(VALU_DEP_2) | instskip(SKIP_1) | instid1(TRANS32_DEP_1)
	v_rcp_f32_e32 v49, v43
	v_nop
	v_fma_f32 v50, -v43, v49, 1.0
	s_delay_alu instid0(VALU_DEP_1) | instskip(NEXT) | instid1(VALU_DEP_1)
	v_fmac_f32_e32 v49, v50, v49
	v_mul_f32_e32 v50, v51, v49
	s_delay_alu instid0(VALU_DEP_1) | instskip(NEXT) | instid1(VALU_DEP_1)
	v_fma_f32 v52, -v43, v50, v51
	v_fmac_f32_e32 v50, v52, v49
	s_delay_alu instid0(VALU_DEP_1) | instskip(NEXT) | instid1(VALU_DEP_1)
	v_fma_f32 v43, -v43, v50, v51
	v_div_fmas_f32 v43, v43, v49, v50
	s_delay_alu instid0(VALU_DEP_1) | instskip(NEXT) | instid1(VALU_DEP_1)
	v_div_fixup_f32 v43, v43, v41, v40
	v_fmac_f32_e32 v41, v40, v43
	s_delay_alu instid0(VALU_DEP_1) | instskip(SKIP_1) | instid1(VALU_DEP_2)
	v_div_scale_f32 v40, null, v41, v41, 1.0
	v_div_scale_f32 v51, vcc_lo, 1.0, v41, 1.0
	v_rcp_f32_e32 v49, v40
	v_nop
	s_delay_alu instid0(TRANS32_DEP_1) | instskip(NEXT) | instid1(VALU_DEP_1)
	v_fma_f32 v50, -v40, v49, 1.0
	v_fmac_f32_e32 v49, v50, v49
	s_delay_alu instid0(VALU_DEP_1) | instskip(NEXT) | instid1(VALU_DEP_1)
	v_mul_f32_e32 v50, v51, v49
	v_fma_f32 v52, -v40, v50, v51
	s_delay_alu instid0(VALU_DEP_1) | instskip(NEXT) | instid1(VALU_DEP_1)
	v_fmac_f32_e32 v50, v52, v49
	v_fma_f32 v40, -v40, v50, v51
	s_delay_alu instid0(VALU_DEP_1) | instskip(NEXT) | instid1(VALU_DEP_1)
	v_div_fmas_f32 v40, v40, v49, v50
	v_div_fixup_f32 v41, v40, v41, 1.0
	s_delay_alu instid0(VALU_DEP_1)
	v_mul_f32_e32 v40, v43, v41
	v_xor_b32_e32 v41, 0x80000000, v41
.LBB32_70:
	s_and_not1_saveexec_b32 s1, s1
	s_cbranch_execz .LBB32_72
; %bb.71:
	s_delay_alu instid0(VALU_DEP_1) | instskip(SKIP_1) | instid1(VALU_DEP_2)
	v_div_scale_f32 v43, null, v40, v40, v41
	v_div_scale_f32 v51, vcc_lo, v41, v40, v41
	v_rcp_f32_e32 v49, v43
	v_nop
	s_delay_alu instid0(TRANS32_DEP_1) | instskip(NEXT) | instid1(VALU_DEP_1)
	v_fma_f32 v50, -v43, v49, 1.0
	v_fmac_f32_e32 v49, v50, v49
	s_delay_alu instid0(VALU_DEP_1) | instskip(NEXT) | instid1(VALU_DEP_1)
	v_mul_f32_e32 v50, v51, v49
	v_fma_f32 v52, -v43, v50, v51
	s_delay_alu instid0(VALU_DEP_1) | instskip(NEXT) | instid1(VALU_DEP_1)
	v_fmac_f32_e32 v50, v52, v49
	v_fma_f32 v43, -v43, v50, v51
	s_delay_alu instid0(VALU_DEP_1) | instskip(NEXT) | instid1(VALU_DEP_1)
	v_div_fmas_f32 v43, v43, v49, v50
	v_div_fixup_f32 v43, v43, v40, v41
	s_delay_alu instid0(VALU_DEP_1) | instskip(NEXT) | instid1(VALU_DEP_1)
	v_fmac_f32_e32 v40, v41, v43
	v_div_scale_f32 v41, null, v40, v40, 1.0
	s_delay_alu instid0(VALU_DEP_1) | instskip(SKIP_1) | instid1(TRANS32_DEP_1)
	v_rcp_f32_e32 v49, v41
	v_nop
	v_fma_f32 v50, -v41, v49, 1.0
	s_delay_alu instid0(VALU_DEP_1) | instskip(SKIP_1) | instid1(VALU_DEP_1)
	v_fmac_f32_e32 v49, v50, v49
	v_div_scale_f32 v50, vcc_lo, 1.0, v40, 1.0
	v_mul_f32_e32 v51, v50, v49
	s_delay_alu instid0(VALU_DEP_1) | instskip(NEXT) | instid1(VALU_DEP_1)
	v_fma_f32 v52, -v41, v51, v50
	v_fmac_f32_e32 v51, v52, v49
	s_delay_alu instid0(VALU_DEP_1) | instskip(NEXT) | instid1(VALU_DEP_1)
	v_fma_f32 v41, -v41, v51, v50
	v_div_fmas_f32 v41, v41, v49, v51
	s_delay_alu instid0(VALU_DEP_1) | instskip(NEXT) | instid1(VALU_DEP_1)
	v_div_fixup_f32 v40, v41, v40, 1.0
	v_mul_f32_e64 v41, v43, -v40
.LBB32_72:
	s_or_b32 exec_lo, exec_lo, s1
.LBB32_73:
	s_delay_alu instid0(SALU_CYCLE_1) | instskip(NEXT) | instid1(SALU_CYCLE_1)
	s_or_b32 exec_lo, exec_lo, s0
	s_mov_b32 s0, exec_lo
	v_cmpx_ne_u32_e64 v48, v42
	s_xor_b32 s0, exec_lo, s0
	s_cbranch_execz .LBB32_79
; %bb.74:
	s_mov_b32 s1, exec_lo
	v_cmpx_eq_u32_e32 3, v48
	s_cbranch_execz .LBB32_78
; %bb.75:
	v_cmp_ne_u32_e32 vcc_lo, 3, v42
	s_xor_b32 s15, s12, -1
	s_delay_alu instid0(SALU_CYCLE_1) | instskip(NEXT) | instid1(SALU_CYCLE_1)
	s_and_b32 s16, s15, vcc_lo
	s_and_saveexec_b32 s15, s16
	s_cbranch_execz .LBB32_77
; %bb.76:
	v_ashrrev_i32_e32 v43, 31, v42
	s_delay_alu instid0(VALU_DEP_1)
	v_lshl_add_u64 v[48:49], v[42:43], 2, v[28:29]
	s_clause 0x1
	global_load_b32 v43, v[48:49], off
	global_load_b32 v46, v[28:29], off offset:12
	s_wait_loadcnt 0x1
	global_store_b32 v[28:29], v43, off offset:12
	s_wait_loadcnt 0x0
	global_store_b32 v[48:49], v46, off
.LBB32_77:
	s_wait_xcnt 0x0
	s_or_b32 exec_lo, exec_lo, s15
	v_dual_mov_b32 v48, v42 :: v_dual_mov_b32 v46, v42
.LBB32_78:
	s_or_b32 exec_lo, exec_lo, s1
.LBB32_79:
	s_and_not1_saveexec_b32 s0, s0
	s_cbranch_execz .LBB32_81
; %bb.80:
	v_dual_mov_b32 v42, v10 :: v_dual_mov_b32 v43, v11
	v_dual_mov_b32 v48, v6 :: v_dual_mov_b32 v49, v7
	;; [unrolled: 1-line block ×4, first 2 shown]
	ds_store_2addr_b64 v44, v[42:43], v[48:49] offset0:4 offset1:5
	ds_store_2addr_b64 v44, v[50:51], v[52:53] offset0:6 offset1:7
	v_dual_mov_b32 v42, v20 :: v_dual_mov_b32 v43, v21
	v_dual_mov_b32 v50, v16 :: v_dual_mov_b32 v51, v17
	;; [unrolled: 1-line block ×8, first 2 shown]
	v_mov_b32_e32 v63, v23
	ds_store_2addr_b64 v44, v[42:43], v[50:51] offset0:8 offset1:9
	ds_store_2addr_b64 v44, v[52:53], v[54:55] offset0:10 offset1:11
	ds_store_2addr_b64 v44, v[56:57], v[58:59] offset0:12 offset1:13
	ds_store_2addr_b64 v44, v[60:61], v[62:63] offset0:14 offset1:15
	ds_store_b64 v44, v[38:39] offset:128
.LBB32_81:
	s_or_b32 exec_lo, exec_lo, s0
	s_delay_alu instid0(SALU_CYCLE_1)
	s_mov_b32 s0, exec_lo
	s_wait_storecnt_dscnt 0x0
	s_barrier_signal -1
	s_barrier_wait -1
	v_cmpx_lt_i32_e32 3, v48
	s_cbranch_execz .LBB32_83
; %bb.82:
	v_pk_mul_f32 v[42:43], v[40:41], v[30:31] op_sel:[1,1] op_sel_hi:[0,1]
	s_delay_alu instid0(VALU_DEP_1)
	v_pk_fma_f32 v[50:51], v[40:41], v[30:31], v[42:43] op_sel_hi:[1,0,1] neg_lo:[0,0,1] neg_hi:[0,0,1]
	v_pk_fma_f32 v[52:53], v[40:41], v[30:31], v[42:43] op_sel_hi:[1,0,1]
	ds_load_2addr_b64 v[40:43], v44 offset0:4 offset1:5
	v_dual_mov_b32 v30, v50 :: v_dual_mov_b32 v31, v53
	s_wait_dscnt 0x0
	v_pk_mul_f32 v[54:55], v[40:41], v[52:53] op_sel:[0,1]
	s_delay_alu instid0(VALU_DEP_1) | instskip(SKIP_1) | instid1(VALU_DEP_1)
	v_pk_fma_f32 v[56:57], v[40:41], v[50:51], v[54:55] op_sel:[0,0,1] op_sel_hi:[1,1,0] neg_lo:[0,0,1] neg_hi:[0,0,1]
	v_pk_fma_f32 v[40:41], v[40:41], v[50:51], v[54:55] op_sel:[0,0,1] op_sel_hi:[1,0,0]
	v_mov_b32_e32 v57, v41
	v_pk_mul_f32 v[40:41], v[42:43], v[52:53] op_sel:[0,1]
	s_delay_alu instid0(VALU_DEP_1) | instskip(SKIP_1) | instid1(VALU_DEP_1)
	v_pk_fma_f32 v[54:55], v[42:43], v[50:51], v[40:41] op_sel:[0,0,1] op_sel_hi:[1,1,0] neg_lo:[0,0,1] neg_hi:[0,0,1]
	v_pk_fma_f32 v[40:41], v[42:43], v[50:51], v[40:41] op_sel:[0,0,1] op_sel_hi:[1,0,0]
	v_mov_b32_e32 v55, v41
	ds_load_2addr_b64 v[40:43], v44 offset0:6 offset1:7
	v_pk_add_f32 v[10:11], v[10:11], v[56:57] neg_lo:[0,1] neg_hi:[0,1]
	v_pk_add_f32 v[6:7], v[6:7], v[54:55] neg_lo:[0,1] neg_hi:[0,1]
	s_wait_dscnt 0x0
	v_pk_mul_f32 v[54:55], v[40:41], v[52:53] op_sel:[0,1]
	s_delay_alu instid0(VALU_DEP_1) | instskip(SKIP_2) | instid1(VALU_DEP_2)
	v_pk_fma_f32 v[56:57], v[40:41], v[50:51], v[54:55] op_sel:[0,0,1] op_sel_hi:[1,1,0] neg_lo:[0,0,1] neg_hi:[0,0,1]
	v_pk_fma_f32 v[40:41], v[40:41], v[50:51], v[54:55] op_sel:[0,0,1] op_sel_hi:[1,0,0]
	v_dual_mul_f32 v54, v43, v53 :: v_dual_mov_b32 v40, v43
	v_dual_mov_b32 v57, v41 :: v_dual_mov_b32 v41, v42
	s_delay_alu instid0(VALU_DEP_2) | instskip(SKIP_1) | instid1(VALU_DEP_3)
	v_pk_fma_f32 v[54:55], v[42:43], v[30:31], v[54:55] op_sel_hi:[1,1,0] neg_lo:[0,0,1] neg_hi:[0,0,1]
	v_mul_f32_e32 v42, v43, v50
	v_pk_add_f32 v[8:9], v[8:9], v[56:57] neg_lo:[0,1] neg_hi:[0,1]
	s_delay_alu instid0(VALU_DEP_2) | instskip(NEXT) | instid1(VALU_DEP_1)
	v_pk_fma_f32 v[40:41], v[40:41], v[30:31], v[42:43] op_sel_hi:[1,1,0]
	v_mov_b32_e32 v55, v41
	ds_load_2addr_b64 v[40:43], v44 offset0:8 offset1:9
	v_pk_add_f32 v[4:5], v[4:5], v[54:55] neg_lo:[0,1] neg_hi:[0,1]
	s_wait_dscnt 0x0
	v_pk_mul_f32 v[54:55], v[40:41], v[52:53] op_sel:[0,1]
	s_delay_alu instid0(VALU_DEP_1) | instskip(SKIP_1) | instid1(VALU_DEP_1)
	v_pk_fma_f32 v[56:57], v[40:41], v[50:51], v[54:55] op_sel:[0,0,1] op_sel_hi:[1,1,0] neg_lo:[0,0,1] neg_hi:[0,0,1]
	v_pk_fma_f32 v[40:41], v[40:41], v[50:51], v[54:55] op_sel:[0,0,1] op_sel_hi:[1,0,0]
	v_mov_b32_e32 v57, v41
	v_pk_mul_f32 v[40:41], v[42:43], v[52:53] op_sel:[0,1]
	s_delay_alu instid0(VALU_DEP_1) | instskip(SKIP_1) | instid1(VALU_DEP_1)
	v_pk_fma_f32 v[54:55], v[42:43], v[50:51], v[40:41] op_sel:[0,0,1] op_sel_hi:[1,1,0] neg_lo:[0,0,1] neg_hi:[0,0,1]
	v_pk_fma_f32 v[40:41], v[42:43], v[50:51], v[40:41] op_sel:[0,0,1] op_sel_hi:[1,0,0]
	v_mov_b32_e32 v55, v41
	ds_load_2addr_b64 v[40:43], v44 offset0:10 offset1:11
	v_pk_add_f32 v[20:21], v[20:21], v[56:57] neg_lo:[0,1] neg_hi:[0,1]
	v_pk_add_f32 v[16:17], v[16:17], v[54:55] neg_lo:[0,1] neg_hi:[0,1]
	s_wait_dscnt 0x0
	v_pk_mul_f32 v[54:55], v[40:41], v[52:53] op_sel:[0,1]
	s_delay_alu instid0(VALU_DEP_1) | instskip(SKIP_1) | instid1(VALU_DEP_1)
	v_pk_fma_f32 v[56:57], v[40:41], v[50:51], v[54:55] op_sel:[0,0,1] op_sel_hi:[1,1,0] neg_lo:[0,0,1] neg_hi:[0,0,1]
	v_pk_fma_f32 v[40:41], v[40:41], v[50:51], v[54:55] op_sel:[0,0,1] op_sel_hi:[1,0,0]
	v_mov_b32_e32 v57, v41
	v_pk_mul_f32 v[40:41], v[42:43], v[52:53] op_sel:[0,1]
	s_delay_alu instid0(VALU_DEP_1) | instskip(SKIP_1) | instid1(VALU_DEP_1)
	v_pk_fma_f32 v[54:55], v[42:43], v[50:51], v[40:41] op_sel:[0,0,1] op_sel_hi:[1,1,0] neg_lo:[0,0,1] neg_hi:[0,0,1]
	v_pk_fma_f32 v[40:41], v[42:43], v[50:51], v[40:41] op_sel:[0,0,1] op_sel_hi:[1,0,0]
	v_mov_b32_e32 v55, v41
	ds_load_2addr_b64 v[40:43], v44 offset0:12 offset1:13
	v_pk_add_f32 v[18:19], v[18:19], v[56:57] neg_lo:[0,1] neg_hi:[0,1]
	v_pk_add_f32 v[14:15], v[14:15], v[54:55] neg_lo:[0,1] neg_hi:[0,1]
	s_wait_dscnt 0x0
	v_dual_mul_f32 v54, v41, v53 :: v_dual_mul_f32 v56, v41, v50
	s_delay_alu instid0(VALU_DEP_1) | instskip(NEXT) | instid1(VALU_DEP_2)
	v_pk_fma_f32 v[54:55], v[40:41], v[30:31], v[54:55] op_sel_hi:[1,1,0] neg_lo:[0,0,1] neg_hi:[0,0,1]
	v_pk_fma_f32 v[40:41], v[40:41], v[30:31], v[56:57] op_sel:[1,0,0] op_sel_hi:[0,1,0]
	s_delay_alu instid0(VALU_DEP_1) | instskip(SKIP_1) | instid1(VALU_DEP_2)
	v_mov_b32_e32 v55, v41
	v_pk_mul_f32 v[40:41], v[42:43], v[52:53] op_sel:[0,1]
	v_pk_add_f32 v[12:13], v[12:13], v[54:55] neg_lo:[0,1] neg_hi:[0,1]
	s_delay_alu instid0(VALU_DEP_2) | instskip(SKIP_1) | instid1(VALU_DEP_1)
	v_pk_fma_f32 v[54:55], v[42:43], v[50:51], v[40:41] op_sel:[0,0,1] op_sel_hi:[1,1,0] neg_lo:[0,0,1] neg_hi:[0,0,1]
	v_pk_fma_f32 v[40:41], v[42:43], v[50:51], v[40:41] op_sel:[0,0,1] op_sel_hi:[1,0,0]
	v_mov_b32_e32 v55, v41
	ds_load_2addr_b64 v[40:43], v44 offset0:14 offset1:15
	v_pk_add_f32 v[26:27], v[26:27], v[54:55] neg_lo:[0,1] neg_hi:[0,1]
	s_wait_dscnt 0x0
	v_pk_mul_f32 v[54:55], v[40:41], v[52:53] op_sel:[0,1]
	s_delay_alu instid0(VALU_DEP_1) | instskip(SKIP_1) | instid1(VALU_DEP_1)
	v_pk_fma_f32 v[56:57], v[40:41], v[50:51], v[54:55] op_sel:[0,0,1] op_sel_hi:[1,1,0] neg_lo:[0,0,1] neg_hi:[0,0,1]
	v_pk_fma_f32 v[40:41], v[40:41], v[50:51], v[54:55] op_sel:[0,0,1] op_sel_hi:[1,0,0]
	v_mov_b32_e32 v57, v41
	v_pk_mul_f32 v[40:41], v[42:43], v[52:53] op_sel:[0,1]
	s_delay_alu instid0(VALU_DEP_2) | instskip(NEXT) | instid1(VALU_DEP_2)
	v_pk_add_f32 v[24:25], v[24:25], v[56:57] neg_lo:[0,1] neg_hi:[0,1]
	v_pk_fma_f32 v[54:55], v[42:43], v[50:51], v[40:41] op_sel:[0,0,1] op_sel_hi:[1,1,0] neg_lo:[0,0,1] neg_hi:[0,0,1]
	v_pk_fma_f32 v[40:41], v[42:43], v[50:51], v[40:41] op_sel:[0,0,1] op_sel_hi:[1,0,0]
	s_delay_alu instid0(VALU_DEP_1) | instskip(SKIP_4) | instid1(VALU_DEP_1)
	v_mov_b32_e32 v55, v41
	ds_load_b64 v[40:41], v44 offset:128
	v_pk_add_f32 v[22:23], v[22:23], v[54:55] neg_lo:[0,1] neg_hi:[0,1]
	s_wait_dscnt 0x0
	v_pk_mul_f32 v[42:43], v[40:41], v[52:53] op_sel:[0,1]
	v_pk_fma_f32 v[52:53], v[40:41], v[50:51], v[42:43] op_sel:[0,0,1] op_sel_hi:[1,1,0] neg_lo:[0,0,1] neg_hi:[0,0,1]
	v_pk_fma_f32 v[40:41], v[40:41], v[50:51], v[42:43] op_sel:[0,0,1] op_sel_hi:[1,0,0]
	s_delay_alu instid0(VALU_DEP_1) | instskip(NEXT) | instid1(VALU_DEP_1)
	v_mov_b32_e32 v53, v41
	v_pk_add_f32 v[38:39], v[38:39], v[52:53] neg_lo:[0,1] neg_hi:[0,1]
.LBB32_83:
	s_or_b32 exec_lo, exec_lo, s0
	v_lshl_add_u32 v40, v48, 3, v44
	s_barrier_signal -1
	s_barrier_wait -1
	ds_store_b64 v40, v[10:11]
	s_wait_dscnt 0x0
	s_barrier_signal -1
	s_barrier_wait -1
	ds_load_b64 v[40:41], v44 offset:32
	v_mov_b32_e32 v42, 4
	s_cmp_lt_i32 s14, 6
	s_cbranch_scc1 .LBB32_86
; %bb.84:
	v_add3_u32 v43, v45, 0, 40
	v_mov_b32_e32 v42, 4
	s_mov_b32 s0, 5
.LBB32_85:                              ; =>This Inner Loop Header: Depth=1
	ds_load_b64 v[50:51], v43
	s_wait_dscnt 0x1
	v_cmp_gt_f32_e32 vcc_lo, 0, v40
	v_cndmask_b32_e64 v52, v40, -v40, vcc_lo
	v_cmp_gt_f32_e32 vcc_lo, 0, v41
	v_cndmask_b32_e64 v54, v41, -v41, vcc_lo
	s_wait_dscnt 0x0
	v_cmp_gt_f32_e32 vcc_lo, 0, v50
	v_cndmask_b32_e64 v53, v50, -v50, vcc_lo
	v_cmp_gt_f32_e32 vcc_lo, 0, v51
	v_cndmask_b32_e64 v55, v51, -v51, vcc_lo
	s_delay_alu instid0(VALU_DEP_1) | instskip(NEXT) | instid1(VALU_DEP_1)
	v_pk_add_f32 v[52:53], v[52:53], v[54:55]
	v_cmp_lt_f32_e32 vcc_lo, v52, v53
	v_dual_cndmask_b32 v40, v40, v50 :: v_dual_add_nc_u32 v43, 8, v43
	v_cndmask_b32_e32 v41, v41, v51, vcc_lo
	v_cndmask_b32_e64 v42, v42, s0, vcc_lo
	s_add_co_i32 s0, s0, 1
	s_delay_alu instid0(SALU_CYCLE_1)
	s_cmp_lg_u32 s14, s0
	s_cbranch_scc1 .LBB32_85
.LBB32_86:
	s_wait_dscnt 0x0
	v_cmp_eq_f32_e32 vcc_lo, 0, v40
	v_cmp_eq_f32_e64 s0, 0, v41
	s_and_b32 s0, vcc_lo, s0
	s_delay_alu instid0(SALU_CYCLE_1) | instskip(NEXT) | instid1(SALU_CYCLE_1)
	s_and_saveexec_b32 s1, s0
	s_xor_b32 s0, exec_lo, s1
; %bb.87:
	v_cmp_ne_u32_e32 vcc_lo, 0, v47
	v_cndmask_b32_e32 v47, 5, v47, vcc_lo
; %bb.88:
	s_and_not1_saveexec_b32 s0, s0
	s_cbranch_execz .LBB32_94
; %bb.89:
	v_cmp_ngt_f32_e64 s1, |v40|, |v41|
	s_and_saveexec_b32 s15, s1
	s_delay_alu instid0(SALU_CYCLE_1)
	s_xor_b32 s1, exec_lo, s15
	s_cbranch_execz .LBB32_91
; %bb.90:
	v_div_scale_f32 v43, null, v41, v41, v40
	v_div_scale_f32 v51, vcc_lo, v40, v41, v40
	s_delay_alu instid0(VALU_DEP_2) | instskip(SKIP_1) | instid1(TRANS32_DEP_1)
	v_rcp_f32_e32 v49, v43
	v_nop
	v_fma_f32 v50, -v43, v49, 1.0
	s_delay_alu instid0(VALU_DEP_1) | instskip(NEXT) | instid1(VALU_DEP_1)
	v_fmac_f32_e32 v49, v50, v49
	v_mul_f32_e32 v50, v51, v49
	s_delay_alu instid0(VALU_DEP_1) | instskip(NEXT) | instid1(VALU_DEP_1)
	v_fma_f32 v52, -v43, v50, v51
	v_fmac_f32_e32 v50, v52, v49
	s_delay_alu instid0(VALU_DEP_1) | instskip(NEXT) | instid1(VALU_DEP_1)
	v_fma_f32 v43, -v43, v50, v51
	v_div_fmas_f32 v43, v43, v49, v50
	s_delay_alu instid0(VALU_DEP_1) | instskip(NEXT) | instid1(VALU_DEP_1)
	v_div_fixup_f32 v43, v43, v41, v40
	v_fmac_f32_e32 v41, v40, v43
	s_delay_alu instid0(VALU_DEP_1) | instskip(SKIP_1) | instid1(VALU_DEP_2)
	v_div_scale_f32 v40, null, v41, v41, 1.0
	v_div_scale_f32 v51, vcc_lo, 1.0, v41, 1.0
	v_rcp_f32_e32 v49, v40
	v_nop
	s_delay_alu instid0(TRANS32_DEP_1) | instskip(NEXT) | instid1(VALU_DEP_1)
	v_fma_f32 v50, -v40, v49, 1.0
	v_fmac_f32_e32 v49, v50, v49
	s_delay_alu instid0(VALU_DEP_1) | instskip(NEXT) | instid1(VALU_DEP_1)
	v_mul_f32_e32 v50, v51, v49
	v_fma_f32 v52, -v40, v50, v51
	s_delay_alu instid0(VALU_DEP_1) | instskip(NEXT) | instid1(VALU_DEP_1)
	v_fmac_f32_e32 v50, v52, v49
	v_fma_f32 v40, -v40, v50, v51
	s_delay_alu instid0(VALU_DEP_1) | instskip(NEXT) | instid1(VALU_DEP_1)
	v_div_fmas_f32 v40, v40, v49, v50
	v_div_fixup_f32 v41, v40, v41, 1.0
	s_delay_alu instid0(VALU_DEP_1)
	v_mul_f32_e32 v40, v43, v41
	v_xor_b32_e32 v41, 0x80000000, v41
.LBB32_91:
	s_and_not1_saveexec_b32 s1, s1
	s_cbranch_execz .LBB32_93
; %bb.92:
	s_delay_alu instid0(VALU_DEP_1) | instskip(SKIP_1) | instid1(VALU_DEP_2)
	v_div_scale_f32 v43, null, v40, v40, v41
	v_div_scale_f32 v51, vcc_lo, v41, v40, v41
	v_rcp_f32_e32 v49, v43
	v_nop
	s_delay_alu instid0(TRANS32_DEP_1) | instskip(NEXT) | instid1(VALU_DEP_1)
	v_fma_f32 v50, -v43, v49, 1.0
	v_fmac_f32_e32 v49, v50, v49
	s_delay_alu instid0(VALU_DEP_1) | instskip(NEXT) | instid1(VALU_DEP_1)
	v_mul_f32_e32 v50, v51, v49
	v_fma_f32 v52, -v43, v50, v51
	s_delay_alu instid0(VALU_DEP_1) | instskip(NEXT) | instid1(VALU_DEP_1)
	v_fmac_f32_e32 v50, v52, v49
	v_fma_f32 v43, -v43, v50, v51
	s_delay_alu instid0(VALU_DEP_1) | instskip(NEXT) | instid1(VALU_DEP_1)
	v_div_fmas_f32 v43, v43, v49, v50
	v_div_fixup_f32 v43, v43, v40, v41
	s_delay_alu instid0(VALU_DEP_1) | instskip(NEXT) | instid1(VALU_DEP_1)
	v_fmac_f32_e32 v40, v41, v43
	v_div_scale_f32 v41, null, v40, v40, 1.0
	s_delay_alu instid0(VALU_DEP_1) | instskip(SKIP_1) | instid1(TRANS32_DEP_1)
	v_rcp_f32_e32 v49, v41
	v_nop
	v_fma_f32 v50, -v41, v49, 1.0
	s_delay_alu instid0(VALU_DEP_1) | instskip(SKIP_1) | instid1(VALU_DEP_1)
	v_fmac_f32_e32 v49, v50, v49
	v_div_scale_f32 v50, vcc_lo, 1.0, v40, 1.0
	v_mul_f32_e32 v51, v50, v49
	s_delay_alu instid0(VALU_DEP_1) | instskip(NEXT) | instid1(VALU_DEP_1)
	v_fma_f32 v52, -v41, v51, v50
	v_fmac_f32_e32 v51, v52, v49
	s_delay_alu instid0(VALU_DEP_1) | instskip(NEXT) | instid1(VALU_DEP_1)
	v_fma_f32 v41, -v41, v51, v50
	v_div_fmas_f32 v41, v41, v49, v51
	s_delay_alu instid0(VALU_DEP_1) | instskip(NEXT) | instid1(VALU_DEP_1)
	v_div_fixup_f32 v40, v41, v40, 1.0
	v_mul_f32_e64 v41, v43, -v40
.LBB32_93:
	s_or_b32 exec_lo, exec_lo, s1
.LBB32_94:
	s_delay_alu instid0(SALU_CYCLE_1) | instskip(NEXT) | instid1(SALU_CYCLE_1)
	s_or_b32 exec_lo, exec_lo, s0
	s_mov_b32 s0, exec_lo
	v_cmpx_ne_u32_e64 v48, v42
	s_xor_b32 s0, exec_lo, s0
	s_cbranch_execz .LBB32_100
; %bb.95:
	s_mov_b32 s1, exec_lo
	v_cmpx_eq_u32_e32 4, v48
	s_cbranch_execz .LBB32_99
; %bb.96:
	v_cmp_ne_u32_e32 vcc_lo, 4, v42
	s_xor_b32 s15, s12, -1
	s_delay_alu instid0(SALU_CYCLE_1) | instskip(NEXT) | instid1(SALU_CYCLE_1)
	s_and_b32 s16, s15, vcc_lo
	s_and_saveexec_b32 s15, s16
	s_cbranch_execz .LBB32_98
; %bb.97:
	v_ashrrev_i32_e32 v43, 31, v42
	s_delay_alu instid0(VALU_DEP_1)
	v_lshl_add_u64 v[48:49], v[42:43], 2, v[28:29]
	s_clause 0x1
	global_load_b32 v43, v[48:49], off
	global_load_b32 v46, v[28:29], off offset:16
	s_wait_loadcnt 0x1
	global_store_b32 v[28:29], v43, off offset:16
	s_wait_loadcnt 0x0
	global_store_b32 v[48:49], v46, off
.LBB32_98:
	s_wait_xcnt 0x0
	s_or_b32 exec_lo, exec_lo, s15
	v_dual_mov_b32 v48, v42 :: v_dual_mov_b32 v46, v42
.LBB32_99:
	s_or_b32 exec_lo, exec_lo, s1
.LBB32_100:
	s_and_not1_saveexec_b32 s0, s0
	s_cbranch_execz .LBB32_102
; %bb.101:
	v_mov_b32_e32 v48, 4
	ds_store_2addr_b64 v44, v[6:7], v[8:9] offset0:5 offset1:6
	ds_store_2addr_b64 v44, v[4:5], v[20:21] offset0:7 offset1:8
	;; [unrolled: 1-line block ×6, first 2 shown]
.LBB32_102:
	s_or_b32 exec_lo, exec_lo, s0
	s_delay_alu instid0(SALU_CYCLE_1)
	s_mov_b32 s0, exec_lo
	s_wait_storecnt_dscnt 0x0
	s_barrier_signal -1
	s_barrier_wait -1
	v_cmpx_lt_i32_e32 4, v48
	s_cbranch_execz .LBB32_104
; %bb.103:
	v_pk_mul_f32 v[42:43], v[40:41], v[10:11] op_sel:[1,1] op_sel_hi:[0,1]
	s_delay_alu instid0(VALU_DEP_1)
	v_pk_fma_f32 v[50:51], v[40:41], v[10:11], v[42:43] op_sel_hi:[1,0,1] neg_lo:[0,0,1] neg_hi:[0,0,1]
	v_pk_fma_f32 v[52:53], v[40:41], v[10:11], v[42:43] op_sel_hi:[1,0,1]
	ds_load_2addr_b64 v[40:43], v44 offset0:5 offset1:6
	v_dual_mov_b32 v10, v50 :: v_dual_mov_b32 v11, v53
	s_wait_dscnt 0x0
	v_pk_mul_f32 v[54:55], v[40:41], v[52:53] op_sel:[0,1]
	s_delay_alu instid0(VALU_DEP_1) | instskip(SKIP_1) | instid1(VALU_DEP_1)
	v_pk_fma_f32 v[56:57], v[40:41], v[50:51], v[54:55] op_sel:[0,0,1] op_sel_hi:[1,1,0] neg_lo:[0,0,1] neg_hi:[0,0,1]
	v_pk_fma_f32 v[40:41], v[40:41], v[50:51], v[54:55] op_sel:[0,0,1] op_sel_hi:[1,0,0]
	v_mov_b32_e32 v57, v41
	v_pk_mul_f32 v[40:41], v[42:43], v[52:53] op_sel:[0,1]
	s_delay_alu instid0(VALU_DEP_1) | instskip(SKIP_1) | instid1(VALU_DEP_1)
	v_pk_fma_f32 v[54:55], v[42:43], v[50:51], v[40:41] op_sel:[0,0,1] op_sel_hi:[1,1,0] neg_lo:[0,0,1] neg_hi:[0,0,1]
	v_pk_fma_f32 v[40:41], v[42:43], v[50:51], v[40:41] op_sel:[0,0,1] op_sel_hi:[1,0,0]
	v_mov_b32_e32 v55, v41
	ds_load_2addr_b64 v[40:43], v44 offset0:7 offset1:8
	v_pk_add_f32 v[6:7], v[6:7], v[56:57] neg_lo:[0,1] neg_hi:[0,1]
	v_pk_add_f32 v[8:9], v[8:9], v[54:55] neg_lo:[0,1] neg_hi:[0,1]
	s_wait_dscnt 0x0
	v_pk_mul_f32 v[54:55], v[40:41], v[52:53] op_sel:[0,1]
	s_delay_alu instid0(VALU_DEP_1) | instskip(SKIP_2) | instid1(VALU_DEP_2)
	v_pk_fma_f32 v[56:57], v[40:41], v[50:51], v[54:55] op_sel:[0,0,1] op_sel_hi:[1,1,0] neg_lo:[0,0,1] neg_hi:[0,0,1]
	v_pk_fma_f32 v[40:41], v[40:41], v[50:51], v[54:55] op_sel:[0,0,1] op_sel_hi:[1,0,0]
	v_dual_mul_f32 v54, v43, v53 :: v_dual_mov_b32 v40, v43
	v_dual_mov_b32 v57, v41 :: v_dual_mov_b32 v41, v42
	s_delay_alu instid0(VALU_DEP_2) | instskip(SKIP_1) | instid1(VALU_DEP_3)
	v_pk_fma_f32 v[54:55], v[42:43], v[10:11], v[54:55] op_sel_hi:[1,1,0] neg_lo:[0,0,1] neg_hi:[0,0,1]
	v_mul_f32_e32 v42, v43, v50
	v_pk_add_f32 v[4:5], v[4:5], v[56:57] neg_lo:[0,1] neg_hi:[0,1]
	s_delay_alu instid0(VALU_DEP_2) | instskip(NEXT) | instid1(VALU_DEP_1)
	v_pk_fma_f32 v[40:41], v[40:41], v[10:11], v[42:43] op_sel_hi:[1,1,0]
	v_mov_b32_e32 v55, v41
	ds_load_2addr_b64 v[40:43], v44 offset0:9 offset1:10
	v_pk_add_f32 v[20:21], v[20:21], v[54:55] neg_lo:[0,1] neg_hi:[0,1]
	s_wait_dscnt 0x0
	v_pk_mul_f32 v[54:55], v[40:41], v[52:53] op_sel:[0,1]
	s_delay_alu instid0(VALU_DEP_1) | instskip(SKIP_1) | instid1(VALU_DEP_1)
	v_pk_fma_f32 v[56:57], v[40:41], v[50:51], v[54:55] op_sel:[0,0,1] op_sel_hi:[1,1,0] neg_lo:[0,0,1] neg_hi:[0,0,1]
	v_pk_fma_f32 v[40:41], v[40:41], v[50:51], v[54:55] op_sel:[0,0,1] op_sel_hi:[1,0,0]
	v_mov_b32_e32 v57, v41
	v_pk_mul_f32 v[40:41], v[42:43], v[52:53] op_sel:[0,1]
	s_delay_alu instid0(VALU_DEP_1) | instskip(SKIP_1) | instid1(VALU_DEP_1)
	v_pk_fma_f32 v[54:55], v[42:43], v[50:51], v[40:41] op_sel:[0,0,1] op_sel_hi:[1,1,0] neg_lo:[0,0,1] neg_hi:[0,0,1]
	v_pk_fma_f32 v[40:41], v[42:43], v[50:51], v[40:41] op_sel:[0,0,1] op_sel_hi:[1,0,0]
	v_mov_b32_e32 v55, v41
	ds_load_2addr_b64 v[40:43], v44 offset0:11 offset1:12
	v_pk_add_f32 v[16:17], v[16:17], v[56:57] neg_lo:[0,1] neg_hi:[0,1]
	v_pk_add_f32 v[18:19], v[18:19], v[54:55] neg_lo:[0,1] neg_hi:[0,1]
	s_wait_dscnt 0x0
	v_pk_mul_f32 v[54:55], v[40:41], v[52:53] op_sel:[0,1]
	s_delay_alu instid0(VALU_DEP_1) | instskip(SKIP_1) | instid1(VALU_DEP_1)
	v_pk_fma_f32 v[56:57], v[40:41], v[50:51], v[54:55] op_sel:[0,0,1] op_sel_hi:[1,1,0] neg_lo:[0,0,1] neg_hi:[0,0,1]
	v_pk_fma_f32 v[40:41], v[40:41], v[50:51], v[54:55] op_sel:[0,0,1] op_sel_hi:[1,0,0]
	v_mov_b32_e32 v57, v41
	v_pk_mul_f32 v[40:41], v[42:43], v[52:53] op_sel:[0,1]
	s_delay_alu instid0(VALU_DEP_1) | instskip(SKIP_1) | instid1(VALU_DEP_1)
	v_pk_fma_f32 v[54:55], v[42:43], v[50:51], v[40:41] op_sel:[0,0,1] op_sel_hi:[1,1,0] neg_lo:[0,0,1] neg_hi:[0,0,1]
	v_pk_fma_f32 v[40:41], v[42:43], v[50:51], v[40:41] op_sel:[0,0,1] op_sel_hi:[1,0,0]
	v_mov_b32_e32 v55, v41
	ds_load_2addr_b64 v[40:43], v44 offset0:13 offset1:14
	v_pk_add_f32 v[14:15], v[14:15], v[56:57] neg_lo:[0,1] neg_hi:[0,1]
	v_pk_add_f32 v[12:13], v[12:13], v[54:55] neg_lo:[0,1] neg_hi:[0,1]
	s_wait_dscnt 0x0
	v_dual_mul_f32 v54, v41, v53 :: v_dual_mul_f32 v56, v41, v50
	s_delay_alu instid0(VALU_DEP_1) | instskip(NEXT) | instid1(VALU_DEP_2)
	v_pk_fma_f32 v[54:55], v[40:41], v[10:11], v[54:55] op_sel_hi:[1,1,0] neg_lo:[0,0,1] neg_hi:[0,0,1]
	v_pk_fma_f32 v[40:41], v[40:41], v[10:11], v[56:57] op_sel:[1,0,0] op_sel_hi:[0,1,0]
	s_delay_alu instid0(VALU_DEP_1) | instskip(SKIP_1) | instid1(VALU_DEP_2)
	v_mov_b32_e32 v55, v41
	v_pk_mul_f32 v[40:41], v[42:43], v[52:53] op_sel:[0,1]
	v_pk_add_f32 v[26:27], v[26:27], v[54:55] neg_lo:[0,1] neg_hi:[0,1]
	s_delay_alu instid0(VALU_DEP_2) | instskip(SKIP_1) | instid1(VALU_DEP_1)
	v_pk_fma_f32 v[54:55], v[42:43], v[50:51], v[40:41] op_sel:[0,0,1] op_sel_hi:[1,1,0] neg_lo:[0,0,1] neg_hi:[0,0,1]
	v_pk_fma_f32 v[40:41], v[42:43], v[50:51], v[40:41] op_sel:[0,0,1] op_sel_hi:[1,0,0]
	v_mov_b32_e32 v55, v41
	ds_load_2addr_b64 v[40:43], v44 offset0:15 offset1:16
	v_pk_add_f32 v[24:25], v[24:25], v[54:55] neg_lo:[0,1] neg_hi:[0,1]
	s_wait_dscnt 0x0
	v_pk_mul_f32 v[54:55], v[40:41], v[52:53] op_sel:[0,1]
	v_mul_f32_e32 v52, v43, v53
	s_delay_alu instid0(VALU_DEP_2) | instskip(SKIP_2) | instid1(VALU_DEP_4)
	v_pk_fma_f32 v[56:57], v[40:41], v[50:51], v[54:55] op_sel:[0,0,1] op_sel_hi:[1,1,0] neg_lo:[0,0,1] neg_hi:[0,0,1]
	v_pk_fma_f32 v[40:41], v[40:41], v[50:51], v[54:55] op_sel:[0,0,1] op_sel_hi:[1,0,0]
	v_mov_b32_e32 v40, v43
	v_pk_fma_f32 v[52:53], v[42:43], v[10:11], v[52:53] op_sel_hi:[1,1,0] neg_lo:[0,0,1] neg_hi:[0,0,1]
	s_delay_alu instid0(VALU_DEP_3) | instskip(SKIP_1) | instid1(VALU_DEP_2)
	v_dual_mov_b32 v57, v41 :: v_dual_mov_b32 v41, v42
	v_mul_f32_e32 v42, v43, v50
	v_pk_add_f32 v[22:23], v[22:23], v[56:57] neg_lo:[0,1] neg_hi:[0,1]
	s_delay_alu instid0(VALU_DEP_2) | instskip(NEXT) | instid1(VALU_DEP_1)
	v_pk_fma_f32 v[40:41], v[40:41], v[10:11], v[42:43] op_sel_hi:[1,1,0]
	v_mov_b32_e32 v53, v41
	s_delay_alu instid0(VALU_DEP_1)
	v_pk_add_f32 v[38:39], v[38:39], v[52:53] neg_lo:[0,1] neg_hi:[0,1]
.LBB32_104:
	s_or_b32 exec_lo, exec_lo, s0
	v_lshl_add_u32 v40, v48, 3, v44
	s_barrier_signal -1
	s_barrier_wait -1
	ds_store_b64 v40, v[6:7]
	s_wait_dscnt 0x0
	s_barrier_signal -1
	s_barrier_wait -1
	ds_load_b64 v[40:41], v44 offset:40
	v_mov_b32_e32 v42, 5
	s_cmp_lt_i32 s14, 7
	s_cbranch_scc1 .LBB32_107
; %bb.105:
	v_add3_u32 v43, v45, 0, 48
	v_mov_b32_e32 v42, 5
	s_mov_b32 s0, 6
.LBB32_106:                             ; =>This Inner Loop Header: Depth=1
	ds_load_b64 v[50:51], v43
	s_wait_dscnt 0x1
	v_cmp_gt_f32_e32 vcc_lo, 0, v40
	v_cndmask_b32_e64 v52, v40, -v40, vcc_lo
	v_cmp_gt_f32_e32 vcc_lo, 0, v41
	v_cndmask_b32_e64 v54, v41, -v41, vcc_lo
	s_wait_dscnt 0x0
	v_cmp_gt_f32_e32 vcc_lo, 0, v50
	v_cndmask_b32_e64 v53, v50, -v50, vcc_lo
	v_cmp_gt_f32_e32 vcc_lo, 0, v51
	v_cndmask_b32_e64 v55, v51, -v51, vcc_lo
	s_delay_alu instid0(VALU_DEP_1) | instskip(NEXT) | instid1(VALU_DEP_1)
	v_pk_add_f32 v[52:53], v[52:53], v[54:55]
	v_cmp_lt_f32_e32 vcc_lo, v52, v53
	v_dual_cndmask_b32 v40, v40, v50 :: v_dual_add_nc_u32 v43, 8, v43
	v_cndmask_b32_e32 v41, v41, v51, vcc_lo
	v_cndmask_b32_e64 v42, v42, s0, vcc_lo
	s_add_co_i32 s0, s0, 1
	s_delay_alu instid0(SALU_CYCLE_1)
	s_cmp_lg_u32 s14, s0
	s_cbranch_scc1 .LBB32_106
.LBB32_107:
	s_wait_dscnt 0x0
	v_cmp_eq_f32_e32 vcc_lo, 0, v40
	v_cmp_eq_f32_e64 s0, 0, v41
	s_and_b32 s0, vcc_lo, s0
	s_delay_alu instid0(SALU_CYCLE_1) | instskip(NEXT) | instid1(SALU_CYCLE_1)
	s_and_saveexec_b32 s1, s0
	s_xor_b32 s0, exec_lo, s1
; %bb.108:
	v_cmp_ne_u32_e32 vcc_lo, 0, v47
	v_cndmask_b32_e32 v47, 6, v47, vcc_lo
; %bb.109:
	s_and_not1_saveexec_b32 s0, s0
	s_cbranch_execz .LBB32_115
; %bb.110:
	v_cmp_ngt_f32_e64 s1, |v40|, |v41|
	s_and_saveexec_b32 s15, s1
	s_delay_alu instid0(SALU_CYCLE_1)
	s_xor_b32 s1, exec_lo, s15
	s_cbranch_execz .LBB32_112
; %bb.111:
	v_div_scale_f32 v43, null, v41, v41, v40
	v_div_scale_f32 v51, vcc_lo, v40, v41, v40
	s_delay_alu instid0(VALU_DEP_2) | instskip(SKIP_1) | instid1(TRANS32_DEP_1)
	v_rcp_f32_e32 v49, v43
	v_nop
	v_fma_f32 v50, -v43, v49, 1.0
	s_delay_alu instid0(VALU_DEP_1) | instskip(NEXT) | instid1(VALU_DEP_1)
	v_fmac_f32_e32 v49, v50, v49
	v_mul_f32_e32 v50, v51, v49
	s_delay_alu instid0(VALU_DEP_1) | instskip(NEXT) | instid1(VALU_DEP_1)
	v_fma_f32 v52, -v43, v50, v51
	v_fmac_f32_e32 v50, v52, v49
	s_delay_alu instid0(VALU_DEP_1) | instskip(NEXT) | instid1(VALU_DEP_1)
	v_fma_f32 v43, -v43, v50, v51
	v_div_fmas_f32 v43, v43, v49, v50
	s_delay_alu instid0(VALU_DEP_1) | instskip(NEXT) | instid1(VALU_DEP_1)
	v_div_fixup_f32 v43, v43, v41, v40
	v_fmac_f32_e32 v41, v40, v43
	s_delay_alu instid0(VALU_DEP_1) | instskip(SKIP_1) | instid1(VALU_DEP_2)
	v_div_scale_f32 v40, null, v41, v41, 1.0
	v_div_scale_f32 v51, vcc_lo, 1.0, v41, 1.0
	v_rcp_f32_e32 v49, v40
	v_nop
	s_delay_alu instid0(TRANS32_DEP_1) | instskip(NEXT) | instid1(VALU_DEP_1)
	v_fma_f32 v50, -v40, v49, 1.0
	v_fmac_f32_e32 v49, v50, v49
	s_delay_alu instid0(VALU_DEP_1) | instskip(NEXT) | instid1(VALU_DEP_1)
	v_mul_f32_e32 v50, v51, v49
	v_fma_f32 v52, -v40, v50, v51
	s_delay_alu instid0(VALU_DEP_1) | instskip(NEXT) | instid1(VALU_DEP_1)
	v_fmac_f32_e32 v50, v52, v49
	v_fma_f32 v40, -v40, v50, v51
	s_delay_alu instid0(VALU_DEP_1) | instskip(NEXT) | instid1(VALU_DEP_1)
	v_div_fmas_f32 v40, v40, v49, v50
	v_div_fixup_f32 v41, v40, v41, 1.0
	s_delay_alu instid0(VALU_DEP_1)
	v_mul_f32_e32 v40, v43, v41
	v_xor_b32_e32 v41, 0x80000000, v41
.LBB32_112:
	s_and_not1_saveexec_b32 s1, s1
	s_cbranch_execz .LBB32_114
; %bb.113:
	s_delay_alu instid0(VALU_DEP_1) | instskip(SKIP_1) | instid1(VALU_DEP_2)
	v_div_scale_f32 v43, null, v40, v40, v41
	v_div_scale_f32 v51, vcc_lo, v41, v40, v41
	v_rcp_f32_e32 v49, v43
	v_nop
	s_delay_alu instid0(TRANS32_DEP_1) | instskip(NEXT) | instid1(VALU_DEP_1)
	v_fma_f32 v50, -v43, v49, 1.0
	v_fmac_f32_e32 v49, v50, v49
	s_delay_alu instid0(VALU_DEP_1) | instskip(NEXT) | instid1(VALU_DEP_1)
	v_mul_f32_e32 v50, v51, v49
	v_fma_f32 v52, -v43, v50, v51
	s_delay_alu instid0(VALU_DEP_1) | instskip(NEXT) | instid1(VALU_DEP_1)
	v_fmac_f32_e32 v50, v52, v49
	v_fma_f32 v43, -v43, v50, v51
	s_delay_alu instid0(VALU_DEP_1) | instskip(NEXT) | instid1(VALU_DEP_1)
	v_div_fmas_f32 v43, v43, v49, v50
	v_div_fixup_f32 v43, v43, v40, v41
	s_delay_alu instid0(VALU_DEP_1) | instskip(NEXT) | instid1(VALU_DEP_1)
	v_fmac_f32_e32 v40, v41, v43
	v_div_scale_f32 v41, null, v40, v40, 1.0
	s_delay_alu instid0(VALU_DEP_1) | instskip(SKIP_1) | instid1(TRANS32_DEP_1)
	v_rcp_f32_e32 v49, v41
	v_nop
	v_fma_f32 v50, -v41, v49, 1.0
	s_delay_alu instid0(VALU_DEP_1) | instskip(SKIP_1) | instid1(VALU_DEP_1)
	v_fmac_f32_e32 v49, v50, v49
	v_div_scale_f32 v50, vcc_lo, 1.0, v40, 1.0
	v_mul_f32_e32 v51, v50, v49
	s_delay_alu instid0(VALU_DEP_1) | instskip(NEXT) | instid1(VALU_DEP_1)
	v_fma_f32 v52, -v41, v51, v50
	v_fmac_f32_e32 v51, v52, v49
	s_delay_alu instid0(VALU_DEP_1) | instskip(NEXT) | instid1(VALU_DEP_1)
	v_fma_f32 v41, -v41, v51, v50
	v_div_fmas_f32 v41, v41, v49, v51
	s_delay_alu instid0(VALU_DEP_1) | instskip(NEXT) | instid1(VALU_DEP_1)
	v_div_fixup_f32 v40, v41, v40, 1.0
	v_mul_f32_e64 v41, v43, -v40
.LBB32_114:
	s_or_b32 exec_lo, exec_lo, s1
.LBB32_115:
	s_delay_alu instid0(SALU_CYCLE_1) | instskip(NEXT) | instid1(SALU_CYCLE_1)
	s_or_b32 exec_lo, exec_lo, s0
	s_mov_b32 s0, exec_lo
	v_cmpx_ne_u32_e64 v48, v42
	s_xor_b32 s0, exec_lo, s0
	s_cbranch_execz .LBB32_121
; %bb.116:
	s_mov_b32 s1, exec_lo
	v_cmpx_eq_u32_e32 5, v48
	s_cbranch_execz .LBB32_120
; %bb.117:
	v_cmp_ne_u32_e32 vcc_lo, 5, v42
	s_xor_b32 s15, s12, -1
	s_delay_alu instid0(SALU_CYCLE_1) | instskip(NEXT) | instid1(SALU_CYCLE_1)
	s_and_b32 s16, s15, vcc_lo
	s_and_saveexec_b32 s15, s16
	s_cbranch_execz .LBB32_119
; %bb.118:
	v_ashrrev_i32_e32 v43, 31, v42
	s_delay_alu instid0(VALU_DEP_1)
	v_lshl_add_u64 v[48:49], v[42:43], 2, v[28:29]
	s_clause 0x1
	global_load_b32 v43, v[48:49], off
	global_load_b32 v46, v[28:29], off offset:20
	s_wait_loadcnt 0x1
	global_store_b32 v[28:29], v43, off offset:20
	s_wait_loadcnt 0x0
	global_store_b32 v[48:49], v46, off
.LBB32_119:
	s_wait_xcnt 0x0
	s_or_b32 exec_lo, exec_lo, s15
	v_dual_mov_b32 v48, v42 :: v_dual_mov_b32 v46, v42
.LBB32_120:
	s_or_b32 exec_lo, exec_lo, s1
.LBB32_121:
	s_and_not1_saveexec_b32 s0, s0
	s_cbranch_execz .LBB32_123
; %bb.122:
	v_dual_mov_b32 v42, v8 :: v_dual_mov_b32 v43, v9
	v_dual_mov_b32 v48, v4 :: v_dual_mov_b32 v49, v5
	ds_store_2addr_b64 v44, v[42:43], v[48:49] offset0:6 offset1:7
	v_dual_mov_b32 v42, v20 :: v_dual_mov_b32 v43, v21
	v_dual_mov_b32 v48, v16 :: v_dual_mov_b32 v49, v17
	ds_store_2addr_b64 v44, v[42:43], v[48:49] offset0:8 offset1:9
	;; [unrolled: 3-line block ×5, first 2 shown]
	ds_store_b64 v44, v[38:39] offset:128
	v_mov_b32_e32 v48, 5
.LBB32_123:
	s_or_b32 exec_lo, exec_lo, s0
	s_delay_alu instid0(SALU_CYCLE_1)
	s_mov_b32 s0, exec_lo
	s_wait_storecnt_dscnt 0x0
	s_barrier_signal -1
	s_barrier_wait -1
	v_cmpx_lt_i32_e32 5, v48
	s_cbranch_execz .LBB32_125
; %bb.124:
	v_pk_mul_f32 v[42:43], v[40:41], v[6:7] op_sel:[1,1] op_sel_hi:[0,1]
	s_delay_alu instid0(VALU_DEP_1)
	v_pk_fma_f32 v[50:51], v[40:41], v[6:7], v[42:43] op_sel_hi:[1,0,1] neg_lo:[0,0,1] neg_hi:[0,0,1]
	v_pk_fma_f32 v[52:53], v[40:41], v[6:7], v[42:43] op_sel_hi:[1,0,1]
	ds_load_2addr_b64 v[40:43], v44 offset0:6 offset1:7
	v_dual_mov_b32 v6, v50 :: v_dual_mov_b32 v7, v53
	s_wait_dscnt 0x0
	v_pk_mul_f32 v[54:55], v[40:41], v[52:53] op_sel:[0,1]
	s_delay_alu instid0(VALU_DEP_1) | instskip(SKIP_1) | instid1(VALU_DEP_1)
	v_pk_fma_f32 v[56:57], v[40:41], v[50:51], v[54:55] op_sel:[0,0,1] op_sel_hi:[1,1,0] neg_lo:[0,0,1] neg_hi:[0,0,1]
	v_pk_fma_f32 v[40:41], v[40:41], v[50:51], v[54:55] op_sel:[0,0,1] op_sel_hi:[1,0,0]
	v_mov_b32_e32 v57, v41
	v_pk_mul_f32 v[40:41], v[42:43], v[52:53] op_sel:[0,1]
	s_delay_alu instid0(VALU_DEP_1) | instskip(SKIP_1) | instid1(VALU_DEP_1)
	v_pk_fma_f32 v[54:55], v[42:43], v[50:51], v[40:41] op_sel:[0,0,1] op_sel_hi:[1,1,0] neg_lo:[0,0,1] neg_hi:[0,0,1]
	v_pk_fma_f32 v[40:41], v[42:43], v[50:51], v[40:41] op_sel:[0,0,1] op_sel_hi:[1,0,0]
	v_mov_b32_e32 v55, v41
	ds_load_2addr_b64 v[40:43], v44 offset0:8 offset1:9
	v_pk_add_f32 v[8:9], v[8:9], v[56:57] neg_lo:[0,1] neg_hi:[0,1]
	v_pk_add_f32 v[4:5], v[4:5], v[54:55] neg_lo:[0,1] neg_hi:[0,1]
	s_wait_dscnt 0x0
	v_pk_mul_f32 v[54:55], v[40:41], v[52:53] op_sel:[0,1]
	s_delay_alu instid0(VALU_DEP_1) | instskip(SKIP_2) | instid1(VALU_DEP_2)
	v_pk_fma_f32 v[56:57], v[40:41], v[50:51], v[54:55] op_sel:[0,0,1] op_sel_hi:[1,1,0] neg_lo:[0,0,1] neg_hi:[0,0,1]
	v_pk_fma_f32 v[40:41], v[40:41], v[50:51], v[54:55] op_sel:[0,0,1] op_sel_hi:[1,0,0]
	v_dual_mul_f32 v54, v43, v53 :: v_dual_mov_b32 v40, v43
	v_dual_mov_b32 v57, v41 :: v_dual_mov_b32 v41, v42
	s_delay_alu instid0(VALU_DEP_2) | instskip(SKIP_1) | instid1(VALU_DEP_3)
	v_pk_fma_f32 v[54:55], v[42:43], v[6:7], v[54:55] op_sel_hi:[1,1,0] neg_lo:[0,0,1] neg_hi:[0,0,1]
	v_mul_f32_e32 v42, v43, v50
	v_pk_add_f32 v[20:21], v[20:21], v[56:57] neg_lo:[0,1] neg_hi:[0,1]
	s_delay_alu instid0(VALU_DEP_2) | instskip(NEXT) | instid1(VALU_DEP_1)
	v_pk_fma_f32 v[40:41], v[40:41], v[6:7], v[42:43] op_sel_hi:[1,1,0]
	v_mov_b32_e32 v55, v41
	ds_load_2addr_b64 v[40:43], v44 offset0:10 offset1:11
	v_pk_add_f32 v[16:17], v[16:17], v[54:55] neg_lo:[0,1] neg_hi:[0,1]
	s_wait_dscnt 0x0
	v_pk_mul_f32 v[54:55], v[40:41], v[52:53] op_sel:[0,1]
	s_delay_alu instid0(VALU_DEP_1) | instskip(SKIP_1) | instid1(VALU_DEP_1)
	v_pk_fma_f32 v[56:57], v[40:41], v[50:51], v[54:55] op_sel:[0,0,1] op_sel_hi:[1,1,0] neg_lo:[0,0,1] neg_hi:[0,0,1]
	v_pk_fma_f32 v[40:41], v[40:41], v[50:51], v[54:55] op_sel:[0,0,1] op_sel_hi:[1,0,0]
	v_mov_b32_e32 v57, v41
	v_pk_mul_f32 v[40:41], v[42:43], v[52:53] op_sel:[0,1]
	s_delay_alu instid0(VALU_DEP_1) | instskip(SKIP_1) | instid1(VALU_DEP_1)
	v_pk_fma_f32 v[54:55], v[42:43], v[50:51], v[40:41] op_sel:[0,0,1] op_sel_hi:[1,1,0] neg_lo:[0,0,1] neg_hi:[0,0,1]
	v_pk_fma_f32 v[40:41], v[42:43], v[50:51], v[40:41] op_sel:[0,0,1] op_sel_hi:[1,0,0]
	v_mov_b32_e32 v55, v41
	ds_load_2addr_b64 v[40:43], v44 offset0:12 offset1:13
	v_pk_add_f32 v[18:19], v[18:19], v[56:57] neg_lo:[0,1] neg_hi:[0,1]
	v_pk_add_f32 v[14:15], v[14:15], v[54:55] neg_lo:[0,1] neg_hi:[0,1]
	s_wait_dscnt 0x0
	v_pk_mul_f32 v[54:55], v[40:41], v[52:53] op_sel:[0,1]
	s_delay_alu instid0(VALU_DEP_1) | instskip(SKIP_1) | instid1(VALU_DEP_1)
	v_pk_fma_f32 v[56:57], v[40:41], v[50:51], v[54:55] op_sel:[0,0,1] op_sel_hi:[1,1,0] neg_lo:[0,0,1] neg_hi:[0,0,1]
	v_pk_fma_f32 v[40:41], v[40:41], v[50:51], v[54:55] op_sel:[0,0,1] op_sel_hi:[1,0,0]
	v_mov_b32_e32 v57, v41
	v_pk_mul_f32 v[40:41], v[42:43], v[52:53] op_sel:[0,1]
	s_delay_alu instid0(VALU_DEP_1) | instskip(SKIP_1) | instid1(VALU_DEP_1)
	v_pk_fma_f32 v[54:55], v[42:43], v[50:51], v[40:41] op_sel:[0,0,1] op_sel_hi:[1,1,0] neg_lo:[0,0,1] neg_hi:[0,0,1]
	v_pk_fma_f32 v[40:41], v[42:43], v[50:51], v[40:41] op_sel:[0,0,1] op_sel_hi:[1,0,0]
	v_mov_b32_e32 v55, v41
	ds_load_2addr_b64 v[40:43], v44 offset0:14 offset1:15
	v_pk_add_f32 v[12:13], v[12:13], v[56:57] neg_lo:[0,1] neg_hi:[0,1]
	v_pk_add_f32 v[26:27], v[26:27], v[54:55] neg_lo:[0,1] neg_hi:[0,1]
	s_wait_dscnt 0x0
	v_dual_mul_f32 v54, v41, v53 :: v_dual_mul_f32 v56, v41, v50
	s_delay_alu instid0(VALU_DEP_1) | instskip(NEXT) | instid1(VALU_DEP_2)
	v_pk_fma_f32 v[54:55], v[40:41], v[6:7], v[54:55] op_sel_hi:[1,1,0] neg_lo:[0,0,1] neg_hi:[0,0,1]
	v_pk_fma_f32 v[40:41], v[40:41], v[6:7], v[56:57] op_sel:[1,0,0] op_sel_hi:[0,1,0]
	s_delay_alu instid0(VALU_DEP_1) | instskip(SKIP_1) | instid1(VALU_DEP_2)
	v_mov_b32_e32 v55, v41
	v_pk_mul_f32 v[40:41], v[42:43], v[52:53] op_sel:[0,1]
	v_pk_add_f32 v[24:25], v[24:25], v[54:55] neg_lo:[0,1] neg_hi:[0,1]
	s_delay_alu instid0(VALU_DEP_2) | instskip(SKIP_1) | instid1(VALU_DEP_1)
	v_pk_fma_f32 v[54:55], v[42:43], v[50:51], v[40:41] op_sel:[0,0,1] op_sel_hi:[1,1,0] neg_lo:[0,0,1] neg_hi:[0,0,1]
	v_pk_fma_f32 v[40:41], v[42:43], v[50:51], v[40:41] op_sel:[0,0,1] op_sel_hi:[1,0,0]
	v_mov_b32_e32 v55, v41
	ds_load_b64 v[40:41], v44 offset:128
	v_pk_add_f32 v[22:23], v[22:23], v[54:55] neg_lo:[0,1] neg_hi:[0,1]
	s_wait_dscnt 0x0
	v_pk_mul_f32 v[42:43], v[40:41], v[52:53] op_sel:[0,1]
	s_delay_alu instid0(VALU_DEP_1) | instskip(SKIP_1) | instid1(VALU_DEP_1)
	v_pk_fma_f32 v[52:53], v[40:41], v[50:51], v[42:43] op_sel:[0,0,1] op_sel_hi:[1,1,0] neg_lo:[0,0,1] neg_hi:[0,0,1]
	v_pk_fma_f32 v[40:41], v[40:41], v[50:51], v[42:43] op_sel:[0,0,1] op_sel_hi:[1,0,0]
	v_mov_b32_e32 v53, v41
	s_delay_alu instid0(VALU_DEP_1)
	v_pk_add_f32 v[38:39], v[38:39], v[52:53] neg_lo:[0,1] neg_hi:[0,1]
.LBB32_125:
	s_or_b32 exec_lo, exec_lo, s0
	v_lshl_add_u32 v40, v48, 3, v44
	s_barrier_signal -1
	s_barrier_wait -1
	ds_store_b64 v40, v[8:9]
	s_wait_dscnt 0x0
	s_barrier_signal -1
	s_barrier_wait -1
	ds_load_b64 v[40:41], v44 offset:48
	v_mov_b32_e32 v42, 6
	s_cmp_lt_i32 s14, 8
	s_cbranch_scc1 .LBB32_128
; %bb.126:
	v_add3_u32 v43, v45, 0, 56
	v_mov_b32_e32 v42, 6
	s_mov_b32 s0, 7
.LBB32_127:                             ; =>This Inner Loop Header: Depth=1
	ds_load_b64 v[50:51], v43
	s_wait_dscnt 0x1
	v_cmp_gt_f32_e32 vcc_lo, 0, v40
	v_cndmask_b32_e64 v52, v40, -v40, vcc_lo
	v_cmp_gt_f32_e32 vcc_lo, 0, v41
	v_cndmask_b32_e64 v54, v41, -v41, vcc_lo
	s_wait_dscnt 0x0
	v_cmp_gt_f32_e32 vcc_lo, 0, v50
	v_cndmask_b32_e64 v53, v50, -v50, vcc_lo
	v_cmp_gt_f32_e32 vcc_lo, 0, v51
	v_cndmask_b32_e64 v55, v51, -v51, vcc_lo
	s_delay_alu instid0(VALU_DEP_1) | instskip(NEXT) | instid1(VALU_DEP_1)
	v_pk_add_f32 v[52:53], v[52:53], v[54:55]
	v_cmp_lt_f32_e32 vcc_lo, v52, v53
	v_dual_cndmask_b32 v40, v40, v50 :: v_dual_add_nc_u32 v43, 8, v43
	v_cndmask_b32_e32 v41, v41, v51, vcc_lo
	v_cndmask_b32_e64 v42, v42, s0, vcc_lo
	s_add_co_i32 s0, s0, 1
	s_delay_alu instid0(SALU_CYCLE_1)
	s_cmp_lg_u32 s14, s0
	s_cbranch_scc1 .LBB32_127
.LBB32_128:
	s_wait_dscnt 0x0
	v_cmp_eq_f32_e32 vcc_lo, 0, v40
	v_cmp_eq_f32_e64 s0, 0, v41
	s_and_b32 s0, vcc_lo, s0
	s_delay_alu instid0(SALU_CYCLE_1) | instskip(NEXT) | instid1(SALU_CYCLE_1)
	s_and_saveexec_b32 s1, s0
	s_xor_b32 s0, exec_lo, s1
; %bb.129:
	v_cmp_ne_u32_e32 vcc_lo, 0, v47
	v_cndmask_b32_e32 v47, 7, v47, vcc_lo
; %bb.130:
	s_and_not1_saveexec_b32 s0, s0
	s_cbranch_execz .LBB32_136
; %bb.131:
	v_cmp_ngt_f32_e64 s1, |v40|, |v41|
	s_and_saveexec_b32 s15, s1
	s_delay_alu instid0(SALU_CYCLE_1)
	s_xor_b32 s1, exec_lo, s15
	s_cbranch_execz .LBB32_133
; %bb.132:
	v_div_scale_f32 v43, null, v41, v41, v40
	v_div_scale_f32 v51, vcc_lo, v40, v41, v40
	s_delay_alu instid0(VALU_DEP_2) | instskip(SKIP_1) | instid1(TRANS32_DEP_1)
	v_rcp_f32_e32 v49, v43
	v_nop
	v_fma_f32 v50, -v43, v49, 1.0
	s_delay_alu instid0(VALU_DEP_1) | instskip(NEXT) | instid1(VALU_DEP_1)
	v_fmac_f32_e32 v49, v50, v49
	v_mul_f32_e32 v50, v51, v49
	s_delay_alu instid0(VALU_DEP_1) | instskip(NEXT) | instid1(VALU_DEP_1)
	v_fma_f32 v52, -v43, v50, v51
	v_fmac_f32_e32 v50, v52, v49
	s_delay_alu instid0(VALU_DEP_1) | instskip(NEXT) | instid1(VALU_DEP_1)
	v_fma_f32 v43, -v43, v50, v51
	v_div_fmas_f32 v43, v43, v49, v50
	s_delay_alu instid0(VALU_DEP_1) | instskip(NEXT) | instid1(VALU_DEP_1)
	v_div_fixup_f32 v43, v43, v41, v40
	v_fmac_f32_e32 v41, v40, v43
	s_delay_alu instid0(VALU_DEP_1) | instskip(SKIP_1) | instid1(VALU_DEP_2)
	v_div_scale_f32 v40, null, v41, v41, 1.0
	v_div_scale_f32 v51, vcc_lo, 1.0, v41, 1.0
	v_rcp_f32_e32 v49, v40
	v_nop
	s_delay_alu instid0(TRANS32_DEP_1) | instskip(NEXT) | instid1(VALU_DEP_1)
	v_fma_f32 v50, -v40, v49, 1.0
	v_fmac_f32_e32 v49, v50, v49
	s_delay_alu instid0(VALU_DEP_1) | instskip(NEXT) | instid1(VALU_DEP_1)
	v_mul_f32_e32 v50, v51, v49
	v_fma_f32 v52, -v40, v50, v51
	s_delay_alu instid0(VALU_DEP_1) | instskip(NEXT) | instid1(VALU_DEP_1)
	v_fmac_f32_e32 v50, v52, v49
	v_fma_f32 v40, -v40, v50, v51
	s_delay_alu instid0(VALU_DEP_1) | instskip(NEXT) | instid1(VALU_DEP_1)
	v_div_fmas_f32 v40, v40, v49, v50
	v_div_fixup_f32 v41, v40, v41, 1.0
	s_delay_alu instid0(VALU_DEP_1)
	v_mul_f32_e32 v40, v43, v41
	v_xor_b32_e32 v41, 0x80000000, v41
.LBB32_133:
	s_and_not1_saveexec_b32 s1, s1
	s_cbranch_execz .LBB32_135
; %bb.134:
	s_delay_alu instid0(VALU_DEP_1) | instskip(SKIP_1) | instid1(VALU_DEP_2)
	v_div_scale_f32 v43, null, v40, v40, v41
	v_div_scale_f32 v51, vcc_lo, v41, v40, v41
	v_rcp_f32_e32 v49, v43
	v_nop
	s_delay_alu instid0(TRANS32_DEP_1) | instskip(NEXT) | instid1(VALU_DEP_1)
	v_fma_f32 v50, -v43, v49, 1.0
	v_fmac_f32_e32 v49, v50, v49
	s_delay_alu instid0(VALU_DEP_1) | instskip(NEXT) | instid1(VALU_DEP_1)
	v_mul_f32_e32 v50, v51, v49
	v_fma_f32 v52, -v43, v50, v51
	s_delay_alu instid0(VALU_DEP_1) | instskip(NEXT) | instid1(VALU_DEP_1)
	v_fmac_f32_e32 v50, v52, v49
	v_fma_f32 v43, -v43, v50, v51
	s_delay_alu instid0(VALU_DEP_1) | instskip(NEXT) | instid1(VALU_DEP_1)
	v_div_fmas_f32 v43, v43, v49, v50
	v_div_fixup_f32 v43, v43, v40, v41
	s_delay_alu instid0(VALU_DEP_1) | instskip(NEXT) | instid1(VALU_DEP_1)
	v_fmac_f32_e32 v40, v41, v43
	v_div_scale_f32 v41, null, v40, v40, 1.0
	s_delay_alu instid0(VALU_DEP_1) | instskip(SKIP_1) | instid1(TRANS32_DEP_1)
	v_rcp_f32_e32 v49, v41
	v_nop
	v_fma_f32 v50, -v41, v49, 1.0
	s_delay_alu instid0(VALU_DEP_1) | instskip(SKIP_1) | instid1(VALU_DEP_1)
	v_fmac_f32_e32 v49, v50, v49
	v_div_scale_f32 v50, vcc_lo, 1.0, v40, 1.0
	v_mul_f32_e32 v51, v50, v49
	s_delay_alu instid0(VALU_DEP_1) | instskip(NEXT) | instid1(VALU_DEP_1)
	v_fma_f32 v52, -v41, v51, v50
	v_fmac_f32_e32 v51, v52, v49
	s_delay_alu instid0(VALU_DEP_1) | instskip(NEXT) | instid1(VALU_DEP_1)
	v_fma_f32 v41, -v41, v51, v50
	v_div_fmas_f32 v41, v41, v49, v51
	s_delay_alu instid0(VALU_DEP_1) | instskip(NEXT) | instid1(VALU_DEP_1)
	v_div_fixup_f32 v40, v41, v40, 1.0
	v_mul_f32_e64 v41, v43, -v40
.LBB32_135:
	s_or_b32 exec_lo, exec_lo, s1
.LBB32_136:
	s_delay_alu instid0(SALU_CYCLE_1) | instskip(NEXT) | instid1(SALU_CYCLE_1)
	s_or_b32 exec_lo, exec_lo, s0
	s_mov_b32 s0, exec_lo
	v_cmpx_ne_u32_e64 v48, v42
	s_xor_b32 s0, exec_lo, s0
	s_cbranch_execz .LBB32_142
; %bb.137:
	s_mov_b32 s1, exec_lo
	v_cmpx_eq_u32_e32 6, v48
	s_cbranch_execz .LBB32_141
; %bb.138:
	v_cmp_ne_u32_e32 vcc_lo, 6, v42
	s_xor_b32 s15, s12, -1
	s_delay_alu instid0(SALU_CYCLE_1) | instskip(NEXT) | instid1(SALU_CYCLE_1)
	s_and_b32 s16, s15, vcc_lo
	s_and_saveexec_b32 s15, s16
	s_cbranch_execz .LBB32_140
; %bb.139:
	v_ashrrev_i32_e32 v43, 31, v42
	s_delay_alu instid0(VALU_DEP_1)
	v_lshl_add_u64 v[48:49], v[42:43], 2, v[28:29]
	s_clause 0x1
	global_load_b32 v43, v[48:49], off
	global_load_b32 v46, v[28:29], off offset:24
	s_wait_loadcnt 0x1
	global_store_b32 v[28:29], v43, off offset:24
	s_wait_loadcnt 0x0
	global_store_b32 v[48:49], v46, off
.LBB32_140:
	s_wait_xcnt 0x0
	s_or_b32 exec_lo, exec_lo, s15
	v_dual_mov_b32 v48, v42 :: v_dual_mov_b32 v46, v42
.LBB32_141:
	s_or_b32 exec_lo, exec_lo, s1
.LBB32_142:
	s_and_not1_saveexec_b32 s0, s0
	s_cbranch_execz .LBB32_144
; %bb.143:
	v_mov_b32_e32 v48, 6
	ds_store_2addr_b64 v44, v[4:5], v[20:21] offset0:7 offset1:8
	ds_store_2addr_b64 v44, v[16:17], v[18:19] offset0:9 offset1:10
	ds_store_2addr_b64 v44, v[14:15], v[12:13] offset0:11 offset1:12
	ds_store_2addr_b64 v44, v[26:27], v[24:25] offset0:13 offset1:14
	ds_store_2addr_b64 v44, v[22:23], v[38:39] offset0:15 offset1:16
.LBB32_144:
	s_or_b32 exec_lo, exec_lo, s0
	s_delay_alu instid0(SALU_CYCLE_1)
	s_mov_b32 s0, exec_lo
	s_wait_storecnt_dscnt 0x0
	s_barrier_signal -1
	s_barrier_wait -1
	v_cmpx_lt_i32_e32 6, v48
	s_cbranch_execz .LBB32_146
; %bb.145:
	v_pk_mul_f32 v[42:43], v[40:41], v[8:9] op_sel:[1,1] op_sel_hi:[0,1]
	s_delay_alu instid0(VALU_DEP_1)
	v_pk_fma_f32 v[50:51], v[40:41], v[8:9], v[42:43] op_sel_hi:[1,0,1] neg_lo:[0,0,1] neg_hi:[0,0,1]
	v_pk_fma_f32 v[52:53], v[40:41], v[8:9], v[42:43] op_sel_hi:[1,0,1]
	ds_load_2addr_b64 v[40:43], v44 offset0:7 offset1:8
	v_dual_mov_b32 v8, v50 :: v_dual_mov_b32 v9, v53
	s_wait_dscnt 0x0
	v_pk_mul_f32 v[54:55], v[40:41], v[52:53] op_sel:[0,1]
	s_delay_alu instid0(VALU_DEP_1) | instskip(SKIP_1) | instid1(VALU_DEP_1)
	v_pk_fma_f32 v[56:57], v[40:41], v[50:51], v[54:55] op_sel:[0,0,1] op_sel_hi:[1,1,0] neg_lo:[0,0,1] neg_hi:[0,0,1]
	v_pk_fma_f32 v[40:41], v[40:41], v[50:51], v[54:55] op_sel:[0,0,1] op_sel_hi:[1,0,0]
	v_mov_b32_e32 v57, v41
	v_pk_mul_f32 v[40:41], v[42:43], v[52:53] op_sel:[0,1]
	s_delay_alu instid0(VALU_DEP_1) | instskip(SKIP_1) | instid1(VALU_DEP_1)
	v_pk_fma_f32 v[54:55], v[42:43], v[50:51], v[40:41] op_sel:[0,0,1] op_sel_hi:[1,1,0] neg_lo:[0,0,1] neg_hi:[0,0,1]
	v_pk_fma_f32 v[40:41], v[42:43], v[50:51], v[40:41] op_sel:[0,0,1] op_sel_hi:[1,0,0]
	v_mov_b32_e32 v55, v41
	ds_load_2addr_b64 v[40:43], v44 offset0:9 offset1:10
	v_pk_add_f32 v[4:5], v[4:5], v[56:57] neg_lo:[0,1] neg_hi:[0,1]
	v_pk_add_f32 v[20:21], v[20:21], v[54:55] neg_lo:[0,1] neg_hi:[0,1]
	s_wait_dscnt 0x0
	v_pk_mul_f32 v[54:55], v[40:41], v[52:53] op_sel:[0,1]
	s_delay_alu instid0(VALU_DEP_1) | instskip(SKIP_2) | instid1(VALU_DEP_2)
	v_pk_fma_f32 v[56:57], v[40:41], v[50:51], v[54:55] op_sel:[0,0,1] op_sel_hi:[1,1,0] neg_lo:[0,0,1] neg_hi:[0,0,1]
	v_pk_fma_f32 v[40:41], v[40:41], v[50:51], v[54:55] op_sel:[0,0,1] op_sel_hi:[1,0,0]
	v_dual_mul_f32 v54, v43, v53 :: v_dual_mov_b32 v40, v43
	v_dual_mov_b32 v57, v41 :: v_dual_mov_b32 v41, v42
	s_delay_alu instid0(VALU_DEP_2) | instskip(SKIP_1) | instid1(VALU_DEP_3)
	v_pk_fma_f32 v[54:55], v[42:43], v[8:9], v[54:55] op_sel_hi:[1,1,0] neg_lo:[0,0,1] neg_hi:[0,0,1]
	v_mul_f32_e32 v42, v43, v50
	v_pk_add_f32 v[16:17], v[16:17], v[56:57] neg_lo:[0,1] neg_hi:[0,1]
	s_delay_alu instid0(VALU_DEP_2) | instskip(NEXT) | instid1(VALU_DEP_1)
	v_pk_fma_f32 v[40:41], v[40:41], v[8:9], v[42:43] op_sel_hi:[1,1,0]
	v_mov_b32_e32 v55, v41
	ds_load_2addr_b64 v[40:43], v44 offset0:11 offset1:12
	v_pk_add_f32 v[18:19], v[18:19], v[54:55] neg_lo:[0,1] neg_hi:[0,1]
	s_wait_dscnt 0x0
	v_pk_mul_f32 v[54:55], v[40:41], v[52:53] op_sel:[0,1]
	s_delay_alu instid0(VALU_DEP_1) | instskip(SKIP_1) | instid1(VALU_DEP_1)
	v_pk_fma_f32 v[56:57], v[40:41], v[50:51], v[54:55] op_sel:[0,0,1] op_sel_hi:[1,1,0] neg_lo:[0,0,1] neg_hi:[0,0,1]
	v_pk_fma_f32 v[40:41], v[40:41], v[50:51], v[54:55] op_sel:[0,0,1] op_sel_hi:[1,0,0]
	v_mov_b32_e32 v57, v41
	v_pk_mul_f32 v[40:41], v[42:43], v[52:53] op_sel:[0,1]
	s_delay_alu instid0(VALU_DEP_1) | instskip(SKIP_1) | instid1(VALU_DEP_1)
	v_pk_fma_f32 v[54:55], v[42:43], v[50:51], v[40:41] op_sel:[0,0,1] op_sel_hi:[1,1,0] neg_lo:[0,0,1] neg_hi:[0,0,1]
	v_pk_fma_f32 v[40:41], v[42:43], v[50:51], v[40:41] op_sel:[0,0,1] op_sel_hi:[1,0,0]
	v_mov_b32_e32 v55, v41
	ds_load_2addr_b64 v[40:43], v44 offset0:13 offset1:14
	v_pk_add_f32 v[14:15], v[14:15], v[56:57] neg_lo:[0,1] neg_hi:[0,1]
	v_pk_add_f32 v[12:13], v[12:13], v[54:55] neg_lo:[0,1] neg_hi:[0,1]
	s_wait_dscnt 0x0
	v_pk_mul_f32 v[54:55], v[40:41], v[52:53] op_sel:[0,1]
	s_delay_alu instid0(VALU_DEP_1) | instskip(SKIP_1) | instid1(VALU_DEP_1)
	v_pk_fma_f32 v[56:57], v[40:41], v[50:51], v[54:55] op_sel:[0,0,1] op_sel_hi:[1,1,0] neg_lo:[0,0,1] neg_hi:[0,0,1]
	v_pk_fma_f32 v[40:41], v[40:41], v[50:51], v[54:55] op_sel:[0,0,1] op_sel_hi:[1,0,0]
	v_mov_b32_e32 v57, v41
	v_pk_mul_f32 v[40:41], v[42:43], v[52:53] op_sel:[0,1]
	s_delay_alu instid0(VALU_DEP_1) | instskip(SKIP_1) | instid1(VALU_DEP_1)
	v_pk_fma_f32 v[54:55], v[42:43], v[50:51], v[40:41] op_sel:[0,0,1] op_sel_hi:[1,1,0] neg_lo:[0,0,1] neg_hi:[0,0,1]
	v_pk_fma_f32 v[40:41], v[42:43], v[50:51], v[40:41] op_sel:[0,0,1] op_sel_hi:[1,0,0]
	v_mov_b32_e32 v55, v41
	ds_load_2addr_b64 v[40:43], v44 offset0:15 offset1:16
	v_pk_add_f32 v[26:27], v[26:27], v[56:57] neg_lo:[0,1] neg_hi:[0,1]
	v_pk_add_f32 v[24:25], v[24:25], v[54:55] neg_lo:[0,1] neg_hi:[0,1]
	s_wait_dscnt 0x0
	v_dual_mul_f32 v54, v41, v53 :: v_dual_mul_f32 v56, v41, v50
	s_delay_alu instid0(VALU_DEP_1) | instskip(NEXT) | instid1(VALU_DEP_2)
	v_pk_fma_f32 v[54:55], v[40:41], v[8:9], v[54:55] op_sel_hi:[1,1,0] neg_lo:[0,0,1] neg_hi:[0,0,1]
	v_pk_fma_f32 v[40:41], v[40:41], v[8:9], v[56:57] op_sel:[1,0,0] op_sel_hi:[0,1,0]
	s_delay_alu instid0(VALU_DEP_1) | instskip(SKIP_1) | instid1(VALU_DEP_1)
	v_mov_b32_e32 v55, v41
	v_pk_mul_f32 v[40:41], v[42:43], v[52:53] op_sel:[0,1]
	v_pk_fma_f32 v[52:53], v[42:43], v[50:51], v[40:41] op_sel:[0,0,1] op_sel_hi:[1,1,0] neg_lo:[0,0,1] neg_hi:[0,0,1]
	v_pk_fma_f32 v[40:41], v[42:43], v[50:51], v[40:41] op_sel:[0,0,1] op_sel_hi:[1,0,0]
	s_delay_alu instid0(VALU_DEP_1) | instskip(SKIP_1) | instid1(VALU_DEP_2)
	v_mov_b32_e32 v53, v41
	v_pk_add_f32 v[22:23], v[22:23], v[54:55] neg_lo:[0,1] neg_hi:[0,1]
	v_pk_add_f32 v[38:39], v[38:39], v[52:53] neg_lo:[0,1] neg_hi:[0,1]
.LBB32_146:
	s_or_b32 exec_lo, exec_lo, s0
	v_lshl_add_u32 v40, v48, 3, v44
	s_barrier_signal -1
	s_barrier_wait -1
	ds_store_b64 v40, v[4:5]
	s_wait_dscnt 0x0
	s_barrier_signal -1
	s_barrier_wait -1
	ds_load_b64 v[40:41], v44 offset:56
	v_mov_b32_e32 v42, 7
	s_cmp_lt_i32 s14, 9
	s_cbranch_scc1 .LBB32_149
; %bb.147:
	v_add3_u32 v43, v45, 0, 64
	v_mov_b32_e32 v42, 7
	s_mov_b32 s0, 8
.LBB32_148:                             ; =>This Inner Loop Header: Depth=1
	ds_load_b64 v[50:51], v43
	s_wait_dscnt 0x1
	v_cmp_gt_f32_e32 vcc_lo, 0, v40
	v_cndmask_b32_e64 v52, v40, -v40, vcc_lo
	v_cmp_gt_f32_e32 vcc_lo, 0, v41
	v_cndmask_b32_e64 v54, v41, -v41, vcc_lo
	s_wait_dscnt 0x0
	v_cmp_gt_f32_e32 vcc_lo, 0, v50
	v_cndmask_b32_e64 v53, v50, -v50, vcc_lo
	v_cmp_gt_f32_e32 vcc_lo, 0, v51
	v_cndmask_b32_e64 v55, v51, -v51, vcc_lo
	s_delay_alu instid0(VALU_DEP_1) | instskip(NEXT) | instid1(VALU_DEP_1)
	v_pk_add_f32 v[52:53], v[52:53], v[54:55]
	v_cmp_lt_f32_e32 vcc_lo, v52, v53
	v_dual_cndmask_b32 v40, v40, v50 :: v_dual_add_nc_u32 v43, 8, v43
	v_cndmask_b32_e32 v41, v41, v51, vcc_lo
	v_cndmask_b32_e64 v42, v42, s0, vcc_lo
	s_add_co_i32 s0, s0, 1
	s_delay_alu instid0(SALU_CYCLE_1)
	s_cmp_lg_u32 s14, s0
	s_cbranch_scc1 .LBB32_148
.LBB32_149:
	s_wait_dscnt 0x0
	v_cmp_eq_f32_e32 vcc_lo, 0, v40
	v_cmp_eq_f32_e64 s0, 0, v41
	s_and_b32 s0, vcc_lo, s0
	s_delay_alu instid0(SALU_CYCLE_1) | instskip(NEXT) | instid1(SALU_CYCLE_1)
	s_and_saveexec_b32 s1, s0
	s_xor_b32 s0, exec_lo, s1
; %bb.150:
	v_cmp_ne_u32_e32 vcc_lo, 0, v47
	v_cndmask_b32_e32 v47, 8, v47, vcc_lo
; %bb.151:
	s_and_not1_saveexec_b32 s0, s0
	s_cbranch_execz .LBB32_157
; %bb.152:
	v_cmp_ngt_f32_e64 s1, |v40|, |v41|
	s_and_saveexec_b32 s15, s1
	s_delay_alu instid0(SALU_CYCLE_1)
	s_xor_b32 s1, exec_lo, s15
	s_cbranch_execz .LBB32_154
; %bb.153:
	v_div_scale_f32 v43, null, v41, v41, v40
	v_div_scale_f32 v51, vcc_lo, v40, v41, v40
	s_delay_alu instid0(VALU_DEP_2) | instskip(SKIP_1) | instid1(TRANS32_DEP_1)
	v_rcp_f32_e32 v49, v43
	v_nop
	v_fma_f32 v50, -v43, v49, 1.0
	s_delay_alu instid0(VALU_DEP_1) | instskip(NEXT) | instid1(VALU_DEP_1)
	v_fmac_f32_e32 v49, v50, v49
	v_mul_f32_e32 v50, v51, v49
	s_delay_alu instid0(VALU_DEP_1) | instskip(NEXT) | instid1(VALU_DEP_1)
	v_fma_f32 v52, -v43, v50, v51
	v_fmac_f32_e32 v50, v52, v49
	s_delay_alu instid0(VALU_DEP_1) | instskip(NEXT) | instid1(VALU_DEP_1)
	v_fma_f32 v43, -v43, v50, v51
	v_div_fmas_f32 v43, v43, v49, v50
	s_delay_alu instid0(VALU_DEP_1) | instskip(NEXT) | instid1(VALU_DEP_1)
	v_div_fixup_f32 v43, v43, v41, v40
	v_fmac_f32_e32 v41, v40, v43
	s_delay_alu instid0(VALU_DEP_1) | instskip(SKIP_1) | instid1(VALU_DEP_2)
	v_div_scale_f32 v40, null, v41, v41, 1.0
	v_div_scale_f32 v51, vcc_lo, 1.0, v41, 1.0
	v_rcp_f32_e32 v49, v40
	v_nop
	s_delay_alu instid0(TRANS32_DEP_1) | instskip(NEXT) | instid1(VALU_DEP_1)
	v_fma_f32 v50, -v40, v49, 1.0
	v_fmac_f32_e32 v49, v50, v49
	s_delay_alu instid0(VALU_DEP_1) | instskip(NEXT) | instid1(VALU_DEP_1)
	v_mul_f32_e32 v50, v51, v49
	v_fma_f32 v52, -v40, v50, v51
	s_delay_alu instid0(VALU_DEP_1) | instskip(NEXT) | instid1(VALU_DEP_1)
	v_fmac_f32_e32 v50, v52, v49
	v_fma_f32 v40, -v40, v50, v51
	s_delay_alu instid0(VALU_DEP_1) | instskip(NEXT) | instid1(VALU_DEP_1)
	v_div_fmas_f32 v40, v40, v49, v50
	v_div_fixup_f32 v41, v40, v41, 1.0
	s_delay_alu instid0(VALU_DEP_1)
	v_mul_f32_e32 v40, v43, v41
	v_xor_b32_e32 v41, 0x80000000, v41
.LBB32_154:
	s_and_not1_saveexec_b32 s1, s1
	s_cbranch_execz .LBB32_156
; %bb.155:
	s_delay_alu instid0(VALU_DEP_1) | instskip(SKIP_1) | instid1(VALU_DEP_2)
	v_div_scale_f32 v43, null, v40, v40, v41
	v_div_scale_f32 v51, vcc_lo, v41, v40, v41
	v_rcp_f32_e32 v49, v43
	v_nop
	s_delay_alu instid0(TRANS32_DEP_1) | instskip(NEXT) | instid1(VALU_DEP_1)
	v_fma_f32 v50, -v43, v49, 1.0
	v_fmac_f32_e32 v49, v50, v49
	s_delay_alu instid0(VALU_DEP_1) | instskip(NEXT) | instid1(VALU_DEP_1)
	v_mul_f32_e32 v50, v51, v49
	v_fma_f32 v52, -v43, v50, v51
	s_delay_alu instid0(VALU_DEP_1) | instskip(NEXT) | instid1(VALU_DEP_1)
	v_fmac_f32_e32 v50, v52, v49
	v_fma_f32 v43, -v43, v50, v51
	s_delay_alu instid0(VALU_DEP_1) | instskip(NEXT) | instid1(VALU_DEP_1)
	v_div_fmas_f32 v43, v43, v49, v50
	v_div_fixup_f32 v43, v43, v40, v41
	s_delay_alu instid0(VALU_DEP_1) | instskip(NEXT) | instid1(VALU_DEP_1)
	v_fmac_f32_e32 v40, v41, v43
	v_div_scale_f32 v41, null, v40, v40, 1.0
	s_delay_alu instid0(VALU_DEP_1) | instskip(SKIP_1) | instid1(TRANS32_DEP_1)
	v_rcp_f32_e32 v49, v41
	v_nop
	v_fma_f32 v50, -v41, v49, 1.0
	s_delay_alu instid0(VALU_DEP_1) | instskip(SKIP_1) | instid1(VALU_DEP_1)
	v_fmac_f32_e32 v49, v50, v49
	v_div_scale_f32 v50, vcc_lo, 1.0, v40, 1.0
	v_mul_f32_e32 v51, v50, v49
	s_delay_alu instid0(VALU_DEP_1) | instskip(NEXT) | instid1(VALU_DEP_1)
	v_fma_f32 v52, -v41, v51, v50
	v_fmac_f32_e32 v51, v52, v49
	s_delay_alu instid0(VALU_DEP_1) | instskip(NEXT) | instid1(VALU_DEP_1)
	v_fma_f32 v41, -v41, v51, v50
	v_div_fmas_f32 v41, v41, v49, v51
	s_delay_alu instid0(VALU_DEP_1) | instskip(NEXT) | instid1(VALU_DEP_1)
	v_div_fixup_f32 v40, v41, v40, 1.0
	v_mul_f32_e64 v41, v43, -v40
.LBB32_156:
	s_or_b32 exec_lo, exec_lo, s1
.LBB32_157:
	s_delay_alu instid0(SALU_CYCLE_1) | instskip(NEXT) | instid1(SALU_CYCLE_1)
	s_or_b32 exec_lo, exec_lo, s0
	s_mov_b32 s0, exec_lo
	v_cmpx_ne_u32_e64 v48, v42
	s_xor_b32 s0, exec_lo, s0
	s_cbranch_execz .LBB32_163
; %bb.158:
	s_mov_b32 s1, exec_lo
	v_cmpx_eq_u32_e32 7, v48
	s_cbranch_execz .LBB32_162
; %bb.159:
	v_cmp_ne_u32_e32 vcc_lo, 7, v42
	s_xor_b32 s15, s12, -1
	s_delay_alu instid0(SALU_CYCLE_1) | instskip(NEXT) | instid1(SALU_CYCLE_1)
	s_and_b32 s16, s15, vcc_lo
	s_and_saveexec_b32 s15, s16
	s_cbranch_execz .LBB32_161
; %bb.160:
	v_ashrrev_i32_e32 v43, 31, v42
	s_delay_alu instid0(VALU_DEP_1)
	v_lshl_add_u64 v[48:49], v[42:43], 2, v[28:29]
	s_clause 0x1
	global_load_b32 v43, v[48:49], off
	global_load_b32 v46, v[28:29], off offset:28
	s_wait_loadcnt 0x1
	global_store_b32 v[28:29], v43, off offset:28
	s_wait_loadcnt 0x0
	global_store_b32 v[48:49], v46, off
.LBB32_161:
	s_wait_xcnt 0x0
	s_or_b32 exec_lo, exec_lo, s15
	v_dual_mov_b32 v48, v42 :: v_dual_mov_b32 v46, v42
.LBB32_162:
	s_or_b32 exec_lo, exec_lo, s1
.LBB32_163:
	s_and_not1_saveexec_b32 s0, s0
	s_cbranch_execz .LBB32_165
; %bb.164:
	v_dual_mov_b32 v42, v20 :: v_dual_mov_b32 v43, v21
	v_dual_mov_b32 v50, v16 :: v_dual_mov_b32 v51, v17
	;; [unrolled: 1-line block ×8, first 2 shown]
	v_mov_b32_e32 v63, v23
	ds_store_2addr_b64 v44, v[42:43], v[50:51] offset0:8 offset1:9
	ds_store_2addr_b64 v44, v[52:53], v[54:55] offset0:10 offset1:11
	;; [unrolled: 1-line block ×4, first 2 shown]
	ds_store_b64 v44, v[38:39] offset:128
.LBB32_165:
	s_or_b32 exec_lo, exec_lo, s0
	s_delay_alu instid0(SALU_CYCLE_1)
	s_mov_b32 s0, exec_lo
	s_wait_storecnt_dscnt 0x0
	s_barrier_signal -1
	s_barrier_wait -1
	v_cmpx_lt_i32_e32 7, v48
	s_cbranch_execz .LBB32_167
; %bb.166:
	v_pk_mul_f32 v[42:43], v[40:41], v[4:5] op_sel:[1,1] op_sel_hi:[0,1]
	s_delay_alu instid0(VALU_DEP_1)
	v_pk_fma_f32 v[50:51], v[40:41], v[4:5], v[42:43] op_sel_hi:[1,0,1] neg_lo:[0,0,1] neg_hi:[0,0,1]
	v_pk_fma_f32 v[52:53], v[40:41], v[4:5], v[42:43] op_sel_hi:[1,0,1]
	ds_load_2addr_b64 v[40:43], v44 offset0:8 offset1:9
	v_dual_mov_b32 v4, v50 :: v_dual_mov_b32 v5, v53
	s_wait_dscnt 0x0
	v_pk_mul_f32 v[54:55], v[40:41], v[52:53] op_sel:[0,1]
	s_delay_alu instid0(VALU_DEP_1) | instskip(SKIP_1) | instid1(VALU_DEP_1)
	v_pk_fma_f32 v[56:57], v[40:41], v[50:51], v[54:55] op_sel:[0,0,1] op_sel_hi:[1,1,0] neg_lo:[0,0,1] neg_hi:[0,0,1]
	v_pk_fma_f32 v[40:41], v[40:41], v[50:51], v[54:55] op_sel:[0,0,1] op_sel_hi:[1,0,0]
	v_mov_b32_e32 v57, v41
	v_pk_mul_f32 v[40:41], v[42:43], v[52:53] op_sel:[0,1]
	s_delay_alu instid0(VALU_DEP_1) | instskip(SKIP_1) | instid1(VALU_DEP_1)
	v_pk_fma_f32 v[54:55], v[42:43], v[50:51], v[40:41] op_sel:[0,0,1] op_sel_hi:[1,1,0] neg_lo:[0,0,1] neg_hi:[0,0,1]
	v_pk_fma_f32 v[40:41], v[42:43], v[50:51], v[40:41] op_sel:[0,0,1] op_sel_hi:[1,0,0]
	v_mov_b32_e32 v55, v41
	ds_load_2addr_b64 v[40:43], v44 offset0:10 offset1:11
	v_pk_add_f32 v[20:21], v[20:21], v[56:57] neg_lo:[0,1] neg_hi:[0,1]
	v_pk_add_f32 v[16:17], v[16:17], v[54:55] neg_lo:[0,1] neg_hi:[0,1]
	s_wait_dscnt 0x0
	v_pk_mul_f32 v[54:55], v[40:41], v[52:53] op_sel:[0,1]
	s_delay_alu instid0(VALU_DEP_1) | instskip(SKIP_2) | instid1(VALU_DEP_2)
	v_pk_fma_f32 v[56:57], v[40:41], v[50:51], v[54:55] op_sel:[0,0,1] op_sel_hi:[1,1,0] neg_lo:[0,0,1] neg_hi:[0,0,1]
	v_pk_fma_f32 v[40:41], v[40:41], v[50:51], v[54:55] op_sel:[0,0,1] op_sel_hi:[1,0,0]
	v_dual_mul_f32 v54, v43, v53 :: v_dual_mov_b32 v40, v43
	v_dual_mov_b32 v57, v41 :: v_dual_mov_b32 v41, v42
	s_delay_alu instid0(VALU_DEP_2) | instskip(SKIP_1) | instid1(VALU_DEP_3)
	v_pk_fma_f32 v[54:55], v[42:43], v[4:5], v[54:55] op_sel_hi:[1,1,0] neg_lo:[0,0,1] neg_hi:[0,0,1]
	v_mul_f32_e32 v42, v43, v50
	v_pk_add_f32 v[18:19], v[18:19], v[56:57] neg_lo:[0,1] neg_hi:[0,1]
	s_delay_alu instid0(VALU_DEP_2) | instskip(NEXT) | instid1(VALU_DEP_1)
	v_pk_fma_f32 v[40:41], v[40:41], v[4:5], v[42:43] op_sel_hi:[1,1,0]
	v_mov_b32_e32 v55, v41
	ds_load_2addr_b64 v[40:43], v44 offset0:12 offset1:13
	v_pk_add_f32 v[14:15], v[14:15], v[54:55] neg_lo:[0,1] neg_hi:[0,1]
	s_wait_dscnt 0x0
	v_pk_mul_f32 v[54:55], v[40:41], v[52:53] op_sel:[0,1]
	s_delay_alu instid0(VALU_DEP_1) | instskip(SKIP_1) | instid1(VALU_DEP_1)
	v_pk_fma_f32 v[56:57], v[40:41], v[50:51], v[54:55] op_sel:[0,0,1] op_sel_hi:[1,1,0] neg_lo:[0,0,1] neg_hi:[0,0,1]
	v_pk_fma_f32 v[40:41], v[40:41], v[50:51], v[54:55] op_sel:[0,0,1] op_sel_hi:[1,0,0]
	v_mov_b32_e32 v57, v41
	v_pk_mul_f32 v[40:41], v[42:43], v[52:53] op_sel:[0,1]
	s_delay_alu instid0(VALU_DEP_1) | instskip(SKIP_1) | instid1(VALU_DEP_1)
	v_pk_fma_f32 v[54:55], v[42:43], v[50:51], v[40:41] op_sel:[0,0,1] op_sel_hi:[1,1,0] neg_lo:[0,0,1] neg_hi:[0,0,1]
	v_pk_fma_f32 v[40:41], v[42:43], v[50:51], v[40:41] op_sel:[0,0,1] op_sel_hi:[1,0,0]
	v_mov_b32_e32 v55, v41
	ds_load_2addr_b64 v[40:43], v44 offset0:14 offset1:15
	v_pk_add_f32 v[12:13], v[12:13], v[56:57] neg_lo:[0,1] neg_hi:[0,1]
	v_pk_add_f32 v[26:27], v[26:27], v[54:55] neg_lo:[0,1] neg_hi:[0,1]
	s_wait_dscnt 0x0
	v_pk_mul_f32 v[54:55], v[40:41], v[52:53] op_sel:[0,1]
	s_delay_alu instid0(VALU_DEP_1) | instskip(SKIP_1) | instid1(VALU_DEP_1)
	v_pk_fma_f32 v[56:57], v[40:41], v[50:51], v[54:55] op_sel:[0,0,1] op_sel_hi:[1,1,0] neg_lo:[0,0,1] neg_hi:[0,0,1]
	v_pk_fma_f32 v[40:41], v[40:41], v[50:51], v[54:55] op_sel:[0,0,1] op_sel_hi:[1,0,0]
	v_mov_b32_e32 v57, v41
	v_pk_mul_f32 v[40:41], v[42:43], v[52:53] op_sel:[0,1]
	s_delay_alu instid0(VALU_DEP_1) | instskip(SKIP_1) | instid1(VALU_DEP_1)
	v_pk_fma_f32 v[54:55], v[42:43], v[50:51], v[40:41] op_sel:[0,0,1] op_sel_hi:[1,1,0] neg_lo:[0,0,1] neg_hi:[0,0,1]
	v_pk_fma_f32 v[40:41], v[42:43], v[50:51], v[40:41] op_sel:[0,0,1] op_sel_hi:[1,0,0]
	v_mov_b32_e32 v55, v41
	ds_load_b64 v[40:41], v44 offset:128
	v_pk_add_f32 v[24:25], v[24:25], v[56:57] neg_lo:[0,1] neg_hi:[0,1]
	v_pk_add_f32 v[22:23], v[22:23], v[54:55] neg_lo:[0,1] neg_hi:[0,1]
	s_wait_dscnt 0x0
	v_pk_mul_f32 v[42:43], v[40:41], v[52:53] op_sel:[0,1]
	s_delay_alu instid0(VALU_DEP_1) | instskip(SKIP_1) | instid1(VALU_DEP_1)
	v_pk_fma_f32 v[52:53], v[40:41], v[50:51], v[42:43] op_sel:[0,0,1] op_sel_hi:[1,1,0] neg_lo:[0,0,1] neg_hi:[0,0,1]
	v_pk_fma_f32 v[40:41], v[40:41], v[50:51], v[42:43] op_sel:[0,0,1] op_sel_hi:[1,0,0]
	v_mov_b32_e32 v53, v41
	s_delay_alu instid0(VALU_DEP_1)
	v_pk_add_f32 v[38:39], v[38:39], v[52:53] neg_lo:[0,1] neg_hi:[0,1]
.LBB32_167:
	s_or_b32 exec_lo, exec_lo, s0
	v_lshl_add_u32 v40, v48, 3, v44
	s_barrier_signal -1
	s_barrier_wait -1
	ds_store_b64 v40, v[20:21]
	s_wait_dscnt 0x0
	s_barrier_signal -1
	s_barrier_wait -1
	ds_load_b64 v[40:41], v44 offset:64
	v_mov_b32_e32 v42, 8
	s_cmp_lt_i32 s14, 10
	s_cbranch_scc1 .LBB32_170
; %bb.168:
	v_add3_u32 v43, v45, 0, 0x48
	v_mov_b32_e32 v42, 8
	s_mov_b32 s0, 9
.LBB32_169:                             ; =>This Inner Loop Header: Depth=1
	ds_load_b64 v[50:51], v43
	s_wait_dscnt 0x1
	v_cmp_gt_f32_e32 vcc_lo, 0, v40
	v_cndmask_b32_e64 v52, v40, -v40, vcc_lo
	v_cmp_gt_f32_e32 vcc_lo, 0, v41
	v_cndmask_b32_e64 v54, v41, -v41, vcc_lo
	s_wait_dscnt 0x0
	v_cmp_gt_f32_e32 vcc_lo, 0, v50
	v_cndmask_b32_e64 v53, v50, -v50, vcc_lo
	v_cmp_gt_f32_e32 vcc_lo, 0, v51
	v_cndmask_b32_e64 v55, v51, -v51, vcc_lo
	s_delay_alu instid0(VALU_DEP_1) | instskip(NEXT) | instid1(VALU_DEP_1)
	v_pk_add_f32 v[52:53], v[52:53], v[54:55]
	v_cmp_lt_f32_e32 vcc_lo, v52, v53
	v_dual_cndmask_b32 v40, v40, v50 :: v_dual_add_nc_u32 v43, 8, v43
	v_cndmask_b32_e32 v41, v41, v51, vcc_lo
	v_cndmask_b32_e64 v42, v42, s0, vcc_lo
	s_add_co_i32 s0, s0, 1
	s_delay_alu instid0(SALU_CYCLE_1)
	s_cmp_lg_u32 s14, s0
	s_cbranch_scc1 .LBB32_169
.LBB32_170:
	s_wait_dscnt 0x0
	v_cmp_eq_f32_e32 vcc_lo, 0, v40
	v_cmp_eq_f32_e64 s0, 0, v41
	s_and_b32 s0, vcc_lo, s0
	s_delay_alu instid0(SALU_CYCLE_1) | instskip(NEXT) | instid1(SALU_CYCLE_1)
	s_and_saveexec_b32 s1, s0
	s_xor_b32 s0, exec_lo, s1
; %bb.171:
	v_cmp_ne_u32_e32 vcc_lo, 0, v47
	v_cndmask_b32_e32 v47, 9, v47, vcc_lo
; %bb.172:
	s_and_not1_saveexec_b32 s0, s0
	s_cbranch_execz .LBB32_178
; %bb.173:
	v_cmp_ngt_f32_e64 s1, |v40|, |v41|
	s_and_saveexec_b32 s15, s1
	s_delay_alu instid0(SALU_CYCLE_1)
	s_xor_b32 s1, exec_lo, s15
	s_cbranch_execz .LBB32_175
; %bb.174:
	v_div_scale_f32 v43, null, v41, v41, v40
	v_div_scale_f32 v51, vcc_lo, v40, v41, v40
	s_delay_alu instid0(VALU_DEP_2) | instskip(SKIP_1) | instid1(TRANS32_DEP_1)
	v_rcp_f32_e32 v49, v43
	v_nop
	v_fma_f32 v50, -v43, v49, 1.0
	s_delay_alu instid0(VALU_DEP_1) | instskip(NEXT) | instid1(VALU_DEP_1)
	v_fmac_f32_e32 v49, v50, v49
	v_mul_f32_e32 v50, v51, v49
	s_delay_alu instid0(VALU_DEP_1) | instskip(NEXT) | instid1(VALU_DEP_1)
	v_fma_f32 v52, -v43, v50, v51
	v_fmac_f32_e32 v50, v52, v49
	s_delay_alu instid0(VALU_DEP_1) | instskip(NEXT) | instid1(VALU_DEP_1)
	v_fma_f32 v43, -v43, v50, v51
	v_div_fmas_f32 v43, v43, v49, v50
	s_delay_alu instid0(VALU_DEP_1) | instskip(NEXT) | instid1(VALU_DEP_1)
	v_div_fixup_f32 v43, v43, v41, v40
	v_fmac_f32_e32 v41, v40, v43
	s_delay_alu instid0(VALU_DEP_1) | instskip(SKIP_1) | instid1(VALU_DEP_2)
	v_div_scale_f32 v40, null, v41, v41, 1.0
	v_div_scale_f32 v51, vcc_lo, 1.0, v41, 1.0
	v_rcp_f32_e32 v49, v40
	v_nop
	s_delay_alu instid0(TRANS32_DEP_1) | instskip(NEXT) | instid1(VALU_DEP_1)
	v_fma_f32 v50, -v40, v49, 1.0
	v_fmac_f32_e32 v49, v50, v49
	s_delay_alu instid0(VALU_DEP_1) | instskip(NEXT) | instid1(VALU_DEP_1)
	v_mul_f32_e32 v50, v51, v49
	v_fma_f32 v52, -v40, v50, v51
	s_delay_alu instid0(VALU_DEP_1) | instskip(NEXT) | instid1(VALU_DEP_1)
	v_fmac_f32_e32 v50, v52, v49
	v_fma_f32 v40, -v40, v50, v51
	s_delay_alu instid0(VALU_DEP_1) | instskip(NEXT) | instid1(VALU_DEP_1)
	v_div_fmas_f32 v40, v40, v49, v50
	v_div_fixup_f32 v41, v40, v41, 1.0
	s_delay_alu instid0(VALU_DEP_1)
	v_mul_f32_e32 v40, v43, v41
	v_xor_b32_e32 v41, 0x80000000, v41
.LBB32_175:
	s_and_not1_saveexec_b32 s1, s1
	s_cbranch_execz .LBB32_177
; %bb.176:
	s_delay_alu instid0(VALU_DEP_1) | instskip(SKIP_1) | instid1(VALU_DEP_2)
	v_div_scale_f32 v43, null, v40, v40, v41
	v_div_scale_f32 v51, vcc_lo, v41, v40, v41
	v_rcp_f32_e32 v49, v43
	v_nop
	s_delay_alu instid0(TRANS32_DEP_1) | instskip(NEXT) | instid1(VALU_DEP_1)
	v_fma_f32 v50, -v43, v49, 1.0
	v_fmac_f32_e32 v49, v50, v49
	s_delay_alu instid0(VALU_DEP_1) | instskip(NEXT) | instid1(VALU_DEP_1)
	v_mul_f32_e32 v50, v51, v49
	v_fma_f32 v52, -v43, v50, v51
	s_delay_alu instid0(VALU_DEP_1) | instskip(NEXT) | instid1(VALU_DEP_1)
	v_fmac_f32_e32 v50, v52, v49
	v_fma_f32 v43, -v43, v50, v51
	s_delay_alu instid0(VALU_DEP_1) | instskip(NEXT) | instid1(VALU_DEP_1)
	v_div_fmas_f32 v43, v43, v49, v50
	v_div_fixup_f32 v43, v43, v40, v41
	s_delay_alu instid0(VALU_DEP_1) | instskip(NEXT) | instid1(VALU_DEP_1)
	v_fmac_f32_e32 v40, v41, v43
	v_div_scale_f32 v41, null, v40, v40, 1.0
	s_delay_alu instid0(VALU_DEP_1) | instskip(SKIP_1) | instid1(TRANS32_DEP_1)
	v_rcp_f32_e32 v49, v41
	v_nop
	v_fma_f32 v50, -v41, v49, 1.0
	s_delay_alu instid0(VALU_DEP_1) | instskip(SKIP_1) | instid1(VALU_DEP_1)
	v_fmac_f32_e32 v49, v50, v49
	v_div_scale_f32 v50, vcc_lo, 1.0, v40, 1.0
	v_mul_f32_e32 v51, v50, v49
	s_delay_alu instid0(VALU_DEP_1) | instskip(NEXT) | instid1(VALU_DEP_1)
	v_fma_f32 v52, -v41, v51, v50
	v_fmac_f32_e32 v51, v52, v49
	s_delay_alu instid0(VALU_DEP_1) | instskip(NEXT) | instid1(VALU_DEP_1)
	v_fma_f32 v41, -v41, v51, v50
	v_div_fmas_f32 v41, v41, v49, v51
	s_delay_alu instid0(VALU_DEP_1) | instskip(NEXT) | instid1(VALU_DEP_1)
	v_div_fixup_f32 v40, v41, v40, 1.0
	v_mul_f32_e64 v41, v43, -v40
.LBB32_177:
	s_or_b32 exec_lo, exec_lo, s1
.LBB32_178:
	s_delay_alu instid0(SALU_CYCLE_1) | instskip(NEXT) | instid1(SALU_CYCLE_1)
	s_or_b32 exec_lo, exec_lo, s0
	s_mov_b32 s0, exec_lo
	v_cmpx_ne_u32_e64 v48, v42
	s_xor_b32 s0, exec_lo, s0
	s_cbranch_execz .LBB32_184
; %bb.179:
	s_mov_b32 s1, exec_lo
	v_cmpx_eq_u32_e32 8, v48
	s_cbranch_execz .LBB32_183
; %bb.180:
	v_cmp_ne_u32_e32 vcc_lo, 8, v42
	s_xor_b32 s15, s12, -1
	s_delay_alu instid0(SALU_CYCLE_1) | instskip(NEXT) | instid1(SALU_CYCLE_1)
	s_and_b32 s16, s15, vcc_lo
	s_and_saveexec_b32 s15, s16
	s_cbranch_execz .LBB32_182
; %bb.181:
	v_ashrrev_i32_e32 v43, 31, v42
	s_delay_alu instid0(VALU_DEP_1)
	v_lshl_add_u64 v[48:49], v[42:43], 2, v[28:29]
	s_clause 0x1
	global_load_b32 v43, v[48:49], off
	global_load_b32 v46, v[28:29], off offset:32
	s_wait_loadcnt 0x1
	global_store_b32 v[28:29], v43, off offset:32
	s_wait_loadcnt 0x0
	global_store_b32 v[48:49], v46, off
.LBB32_182:
	s_wait_xcnt 0x0
	s_or_b32 exec_lo, exec_lo, s15
	v_dual_mov_b32 v48, v42 :: v_dual_mov_b32 v46, v42
.LBB32_183:
	s_or_b32 exec_lo, exec_lo, s1
.LBB32_184:
	s_and_not1_saveexec_b32 s0, s0
	s_cbranch_execz .LBB32_186
; %bb.185:
	v_mov_b32_e32 v48, 8
	ds_store_2addr_b64 v44, v[16:17], v[18:19] offset0:9 offset1:10
	ds_store_2addr_b64 v44, v[14:15], v[12:13] offset0:11 offset1:12
	;; [unrolled: 1-line block ×4, first 2 shown]
.LBB32_186:
	s_or_b32 exec_lo, exec_lo, s0
	s_delay_alu instid0(SALU_CYCLE_1)
	s_mov_b32 s0, exec_lo
	s_wait_storecnt_dscnt 0x0
	s_barrier_signal -1
	s_barrier_wait -1
	v_cmpx_lt_i32_e32 8, v48
	s_cbranch_execz .LBB32_188
; %bb.187:
	v_pk_mul_f32 v[42:43], v[40:41], v[20:21] op_sel:[1,1] op_sel_hi:[0,1]
	s_delay_alu instid0(VALU_DEP_1)
	v_pk_fma_f32 v[50:51], v[40:41], v[20:21], v[42:43] op_sel_hi:[1,0,1] neg_lo:[0,0,1] neg_hi:[0,0,1]
	v_pk_fma_f32 v[52:53], v[40:41], v[20:21], v[42:43] op_sel_hi:[1,0,1]
	ds_load_2addr_b64 v[40:43], v44 offset0:9 offset1:10
	v_dual_mov_b32 v20, v50 :: v_dual_mov_b32 v21, v53
	s_wait_dscnt 0x0
	v_pk_mul_f32 v[54:55], v[40:41], v[52:53] op_sel:[0,1]
	s_delay_alu instid0(VALU_DEP_1) | instskip(SKIP_1) | instid1(VALU_DEP_1)
	v_pk_fma_f32 v[56:57], v[40:41], v[50:51], v[54:55] op_sel:[0,0,1] op_sel_hi:[1,1,0] neg_lo:[0,0,1] neg_hi:[0,0,1]
	v_pk_fma_f32 v[40:41], v[40:41], v[50:51], v[54:55] op_sel:[0,0,1] op_sel_hi:[1,0,0]
	v_mov_b32_e32 v57, v41
	v_pk_mul_f32 v[40:41], v[42:43], v[52:53] op_sel:[0,1]
	s_delay_alu instid0(VALU_DEP_1) | instskip(SKIP_1) | instid1(VALU_DEP_1)
	v_pk_fma_f32 v[54:55], v[42:43], v[50:51], v[40:41] op_sel:[0,0,1] op_sel_hi:[1,1,0] neg_lo:[0,0,1] neg_hi:[0,0,1]
	v_pk_fma_f32 v[40:41], v[42:43], v[50:51], v[40:41] op_sel:[0,0,1] op_sel_hi:[1,0,0]
	v_mov_b32_e32 v55, v41
	ds_load_2addr_b64 v[40:43], v44 offset0:11 offset1:12
	v_pk_add_f32 v[16:17], v[16:17], v[56:57] neg_lo:[0,1] neg_hi:[0,1]
	v_pk_add_f32 v[18:19], v[18:19], v[54:55] neg_lo:[0,1] neg_hi:[0,1]
	s_wait_dscnt 0x0
	v_pk_mul_f32 v[54:55], v[40:41], v[52:53] op_sel:[0,1]
	s_delay_alu instid0(VALU_DEP_1) | instskip(SKIP_2) | instid1(VALU_DEP_2)
	v_pk_fma_f32 v[56:57], v[40:41], v[50:51], v[54:55] op_sel:[0,0,1] op_sel_hi:[1,1,0] neg_lo:[0,0,1] neg_hi:[0,0,1]
	v_pk_fma_f32 v[40:41], v[40:41], v[50:51], v[54:55] op_sel:[0,0,1] op_sel_hi:[1,0,0]
	v_dual_mul_f32 v54, v43, v53 :: v_dual_mov_b32 v40, v43
	v_dual_mov_b32 v57, v41 :: v_dual_mov_b32 v41, v42
	s_delay_alu instid0(VALU_DEP_2) | instskip(SKIP_1) | instid1(VALU_DEP_3)
	v_pk_fma_f32 v[54:55], v[42:43], v[20:21], v[54:55] op_sel_hi:[1,1,0] neg_lo:[0,0,1] neg_hi:[0,0,1]
	v_mul_f32_e32 v42, v43, v50
	v_pk_add_f32 v[14:15], v[14:15], v[56:57] neg_lo:[0,1] neg_hi:[0,1]
	s_delay_alu instid0(VALU_DEP_2) | instskip(NEXT) | instid1(VALU_DEP_1)
	v_pk_fma_f32 v[40:41], v[40:41], v[20:21], v[42:43] op_sel_hi:[1,1,0]
	v_mov_b32_e32 v55, v41
	ds_load_2addr_b64 v[40:43], v44 offset0:13 offset1:14
	v_pk_add_f32 v[12:13], v[12:13], v[54:55] neg_lo:[0,1] neg_hi:[0,1]
	s_wait_dscnt 0x0
	v_pk_mul_f32 v[54:55], v[40:41], v[52:53] op_sel:[0,1]
	s_delay_alu instid0(VALU_DEP_1) | instskip(SKIP_1) | instid1(VALU_DEP_1)
	v_pk_fma_f32 v[56:57], v[40:41], v[50:51], v[54:55] op_sel:[0,0,1] op_sel_hi:[1,1,0] neg_lo:[0,0,1] neg_hi:[0,0,1]
	v_pk_fma_f32 v[40:41], v[40:41], v[50:51], v[54:55] op_sel:[0,0,1] op_sel_hi:[1,0,0]
	v_mov_b32_e32 v57, v41
	v_pk_mul_f32 v[40:41], v[42:43], v[52:53] op_sel:[0,1]
	s_delay_alu instid0(VALU_DEP_1) | instskip(SKIP_1) | instid1(VALU_DEP_1)
	v_pk_fma_f32 v[54:55], v[42:43], v[50:51], v[40:41] op_sel:[0,0,1] op_sel_hi:[1,1,0] neg_lo:[0,0,1] neg_hi:[0,0,1]
	v_pk_fma_f32 v[40:41], v[42:43], v[50:51], v[40:41] op_sel:[0,0,1] op_sel_hi:[1,0,0]
	v_mov_b32_e32 v55, v41
	ds_load_2addr_b64 v[40:43], v44 offset0:15 offset1:16
	v_pk_add_f32 v[26:27], v[26:27], v[56:57] neg_lo:[0,1] neg_hi:[0,1]
	v_pk_add_f32 v[24:25], v[24:25], v[54:55] neg_lo:[0,1] neg_hi:[0,1]
	s_wait_dscnt 0x0
	v_pk_mul_f32 v[54:55], v[40:41], v[52:53] op_sel:[0,1]
	s_delay_alu instid0(VALU_DEP_1) | instskip(SKIP_1) | instid1(VALU_DEP_1)
	v_pk_fma_f32 v[56:57], v[40:41], v[50:51], v[54:55] op_sel:[0,0,1] op_sel_hi:[1,1,0] neg_lo:[0,0,1] neg_hi:[0,0,1]
	v_pk_fma_f32 v[40:41], v[40:41], v[50:51], v[54:55] op_sel:[0,0,1] op_sel_hi:[1,0,0]
	v_mov_b32_e32 v57, v41
	v_pk_mul_f32 v[40:41], v[42:43], v[52:53] op_sel:[0,1]
	s_delay_alu instid0(VALU_DEP_1) | instskip(SKIP_1) | instid1(VALU_DEP_1)
	v_pk_fma_f32 v[52:53], v[42:43], v[50:51], v[40:41] op_sel:[0,0,1] op_sel_hi:[1,1,0] neg_lo:[0,0,1] neg_hi:[0,0,1]
	v_pk_fma_f32 v[40:41], v[42:43], v[50:51], v[40:41] op_sel:[0,0,1] op_sel_hi:[1,0,0]
	v_mov_b32_e32 v53, v41
	v_pk_add_f32 v[22:23], v[22:23], v[56:57] neg_lo:[0,1] neg_hi:[0,1]
	s_delay_alu instid0(VALU_DEP_2)
	v_pk_add_f32 v[38:39], v[38:39], v[52:53] neg_lo:[0,1] neg_hi:[0,1]
.LBB32_188:
	s_or_b32 exec_lo, exec_lo, s0
	v_lshl_add_u32 v40, v48, 3, v44
	s_barrier_signal -1
	s_barrier_wait -1
	ds_store_b64 v40, v[16:17]
	s_wait_dscnt 0x0
	s_barrier_signal -1
	s_barrier_wait -1
	ds_load_b64 v[40:41], v44 offset:72
	v_mov_b32_e32 v42, 9
	s_cmp_lt_i32 s14, 11
	s_cbranch_scc1 .LBB32_191
; %bb.189:
	v_add3_u32 v43, v45, 0, 0x50
	v_mov_b32_e32 v42, 9
	s_mov_b32 s0, 10
.LBB32_190:                             ; =>This Inner Loop Header: Depth=1
	ds_load_b64 v[50:51], v43
	s_wait_dscnt 0x1
	v_cmp_gt_f32_e32 vcc_lo, 0, v40
	v_cndmask_b32_e64 v52, v40, -v40, vcc_lo
	v_cmp_gt_f32_e32 vcc_lo, 0, v41
	v_cndmask_b32_e64 v54, v41, -v41, vcc_lo
	s_wait_dscnt 0x0
	v_cmp_gt_f32_e32 vcc_lo, 0, v50
	v_cndmask_b32_e64 v53, v50, -v50, vcc_lo
	v_cmp_gt_f32_e32 vcc_lo, 0, v51
	v_cndmask_b32_e64 v55, v51, -v51, vcc_lo
	s_delay_alu instid0(VALU_DEP_1) | instskip(NEXT) | instid1(VALU_DEP_1)
	v_pk_add_f32 v[52:53], v[52:53], v[54:55]
	v_cmp_lt_f32_e32 vcc_lo, v52, v53
	v_dual_cndmask_b32 v40, v40, v50 :: v_dual_add_nc_u32 v43, 8, v43
	v_cndmask_b32_e32 v41, v41, v51, vcc_lo
	v_cndmask_b32_e64 v42, v42, s0, vcc_lo
	s_add_co_i32 s0, s0, 1
	s_delay_alu instid0(SALU_CYCLE_1)
	s_cmp_lg_u32 s14, s0
	s_cbranch_scc1 .LBB32_190
.LBB32_191:
	s_wait_dscnt 0x0
	v_cmp_eq_f32_e32 vcc_lo, 0, v40
	v_cmp_eq_f32_e64 s0, 0, v41
	s_and_b32 s0, vcc_lo, s0
	s_delay_alu instid0(SALU_CYCLE_1) | instskip(NEXT) | instid1(SALU_CYCLE_1)
	s_and_saveexec_b32 s1, s0
	s_xor_b32 s0, exec_lo, s1
; %bb.192:
	v_cmp_ne_u32_e32 vcc_lo, 0, v47
	v_cndmask_b32_e32 v47, 10, v47, vcc_lo
; %bb.193:
	s_and_not1_saveexec_b32 s0, s0
	s_cbranch_execz .LBB32_199
; %bb.194:
	v_cmp_ngt_f32_e64 s1, |v40|, |v41|
	s_and_saveexec_b32 s15, s1
	s_delay_alu instid0(SALU_CYCLE_1)
	s_xor_b32 s1, exec_lo, s15
	s_cbranch_execz .LBB32_196
; %bb.195:
	v_div_scale_f32 v43, null, v41, v41, v40
	v_div_scale_f32 v51, vcc_lo, v40, v41, v40
	s_delay_alu instid0(VALU_DEP_2) | instskip(SKIP_1) | instid1(TRANS32_DEP_1)
	v_rcp_f32_e32 v49, v43
	v_nop
	v_fma_f32 v50, -v43, v49, 1.0
	s_delay_alu instid0(VALU_DEP_1) | instskip(NEXT) | instid1(VALU_DEP_1)
	v_fmac_f32_e32 v49, v50, v49
	v_mul_f32_e32 v50, v51, v49
	s_delay_alu instid0(VALU_DEP_1) | instskip(NEXT) | instid1(VALU_DEP_1)
	v_fma_f32 v52, -v43, v50, v51
	v_fmac_f32_e32 v50, v52, v49
	s_delay_alu instid0(VALU_DEP_1) | instskip(NEXT) | instid1(VALU_DEP_1)
	v_fma_f32 v43, -v43, v50, v51
	v_div_fmas_f32 v43, v43, v49, v50
	s_delay_alu instid0(VALU_DEP_1) | instskip(NEXT) | instid1(VALU_DEP_1)
	v_div_fixup_f32 v43, v43, v41, v40
	v_fmac_f32_e32 v41, v40, v43
	s_delay_alu instid0(VALU_DEP_1) | instskip(SKIP_1) | instid1(VALU_DEP_2)
	v_div_scale_f32 v40, null, v41, v41, 1.0
	v_div_scale_f32 v51, vcc_lo, 1.0, v41, 1.0
	v_rcp_f32_e32 v49, v40
	v_nop
	s_delay_alu instid0(TRANS32_DEP_1) | instskip(NEXT) | instid1(VALU_DEP_1)
	v_fma_f32 v50, -v40, v49, 1.0
	v_fmac_f32_e32 v49, v50, v49
	s_delay_alu instid0(VALU_DEP_1) | instskip(NEXT) | instid1(VALU_DEP_1)
	v_mul_f32_e32 v50, v51, v49
	v_fma_f32 v52, -v40, v50, v51
	s_delay_alu instid0(VALU_DEP_1) | instskip(NEXT) | instid1(VALU_DEP_1)
	v_fmac_f32_e32 v50, v52, v49
	v_fma_f32 v40, -v40, v50, v51
	s_delay_alu instid0(VALU_DEP_1) | instskip(NEXT) | instid1(VALU_DEP_1)
	v_div_fmas_f32 v40, v40, v49, v50
	v_div_fixup_f32 v41, v40, v41, 1.0
	s_delay_alu instid0(VALU_DEP_1)
	v_mul_f32_e32 v40, v43, v41
	v_xor_b32_e32 v41, 0x80000000, v41
.LBB32_196:
	s_and_not1_saveexec_b32 s1, s1
	s_cbranch_execz .LBB32_198
; %bb.197:
	s_delay_alu instid0(VALU_DEP_1) | instskip(SKIP_1) | instid1(VALU_DEP_2)
	v_div_scale_f32 v43, null, v40, v40, v41
	v_div_scale_f32 v51, vcc_lo, v41, v40, v41
	v_rcp_f32_e32 v49, v43
	v_nop
	s_delay_alu instid0(TRANS32_DEP_1) | instskip(NEXT) | instid1(VALU_DEP_1)
	v_fma_f32 v50, -v43, v49, 1.0
	v_fmac_f32_e32 v49, v50, v49
	s_delay_alu instid0(VALU_DEP_1) | instskip(NEXT) | instid1(VALU_DEP_1)
	v_mul_f32_e32 v50, v51, v49
	v_fma_f32 v52, -v43, v50, v51
	s_delay_alu instid0(VALU_DEP_1) | instskip(NEXT) | instid1(VALU_DEP_1)
	v_fmac_f32_e32 v50, v52, v49
	v_fma_f32 v43, -v43, v50, v51
	s_delay_alu instid0(VALU_DEP_1) | instskip(NEXT) | instid1(VALU_DEP_1)
	v_div_fmas_f32 v43, v43, v49, v50
	v_div_fixup_f32 v43, v43, v40, v41
	s_delay_alu instid0(VALU_DEP_1) | instskip(NEXT) | instid1(VALU_DEP_1)
	v_fmac_f32_e32 v40, v41, v43
	v_div_scale_f32 v41, null, v40, v40, 1.0
	s_delay_alu instid0(VALU_DEP_1) | instskip(SKIP_1) | instid1(TRANS32_DEP_1)
	v_rcp_f32_e32 v49, v41
	v_nop
	v_fma_f32 v50, -v41, v49, 1.0
	s_delay_alu instid0(VALU_DEP_1) | instskip(SKIP_1) | instid1(VALU_DEP_1)
	v_fmac_f32_e32 v49, v50, v49
	v_div_scale_f32 v50, vcc_lo, 1.0, v40, 1.0
	v_mul_f32_e32 v51, v50, v49
	s_delay_alu instid0(VALU_DEP_1) | instskip(NEXT) | instid1(VALU_DEP_1)
	v_fma_f32 v52, -v41, v51, v50
	v_fmac_f32_e32 v51, v52, v49
	s_delay_alu instid0(VALU_DEP_1) | instskip(NEXT) | instid1(VALU_DEP_1)
	v_fma_f32 v41, -v41, v51, v50
	v_div_fmas_f32 v41, v41, v49, v51
	s_delay_alu instid0(VALU_DEP_1) | instskip(NEXT) | instid1(VALU_DEP_1)
	v_div_fixup_f32 v40, v41, v40, 1.0
	v_mul_f32_e64 v41, v43, -v40
.LBB32_198:
	s_or_b32 exec_lo, exec_lo, s1
.LBB32_199:
	s_delay_alu instid0(SALU_CYCLE_1) | instskip(NEXT) | instid1(SALU_CYCLE_1)
	s_or_b32 exec_lo, exec_lo, s0
	s_mov_b32 s0, exec_lo
	v_cmpx_ne_u32_e64 v48, v42
	s_xor_b32 s0, exec_lo, s0
	s_cbranch_execz .LBB32_205
; %bb.200:
	s_mov_b32 s1, exec_lo
	v_cmpx_eq_u32_e32 9, v48
	s_cbranch_execz .LBB32_204
; %bb.201:
	v_cmp_ne_u32_e32 vcc_lo, 9, v42
	s_xor_b32 s15, s12, -1
	s_delay_alu instid0(SALU_CYCLE_1) | instskip(NEXT) | instid1(SALU_CYCLE_1)
	s_and_b32 s16, s15, vcc_lo
	s_and_saveexec_b32 s15, s16
	s_cbranch_execz .LBB32_203
; %bb.202:
	v_ashrrev_i32_e32 v43, 31, v42
	s_delay_alu instid0(VALU_DEP_1)
	v_lshl_add_u64 v[48:49], v[42:43], 2, v[28:29]
	s_clause 0x1
	global_load_b32 v43, v[48:49], off
	global_load_b32 v46, v[28:29], off offset:36
	s_wait_loadcnt 0x1
	global_store_b32 v[28:29], v43, off offset:36
	s_wait_loadcnt 0x0
	global_store_b32 v[48:49], v46, off
.LBB32_203:
	s_wait_xcnt 0x0
	s_or_b32 exec_lo, exec_lo, s15
	v_dual_mov_b32 v48, v42 :: v_dual_mov_b32 v46, v42
.LBB32_204:
	s_or_b32 exec_lo, exec_lo, s1
.LBB32_205:
	s_and_not1_saveexec_b32 s0, s0
	s_cbranch_execz .LBB32_207
; %bb.206:
	v_dual_mov_b32 v42, v18 :: v_dual_mov_b32 v43, v19
	v_dual_mov_b32 v50, v14 :: v_dual_mov_b32 v51, v15
	;; [unrolled: 1-line block ×6, first 2 shown]
	v_mov_b32_e32 v59, v23
	ds_store_2addr_b64 v44, v[42:43], v[50:51] offset0:10 offset1:11
	ds_store_2addr_b64 v44, v[52:53], v[54:55] offset0:12 offset1:13
	;; [unrolled: 1-line block ×3, first 2 shown]
	ds_store_b64 v44, v[38:39] offset:128
.LBB32_207:
	s_or_b32 exec_lo, exec_lo, s0
	s_delay_alu instid0(SALU_CYCLE_1)
	s_mov_b32 s0, exec_lo
	s_wait_storecnt_dscnt 0x0
	s_barrier_signal -1
	s_barrier_wait -1
	v_cmpx_lt_i32_e32 9, v48
	s_cbranch_execz .LBB32_209
; %bb.208:
	v_pk_mul_f32 v[42:43], v[40:41], v[16:17] op_sel:[1,1] op_sel_hi:[0,1]
	s_delay_alu instid0(VALU_DEP_1)
	v_pk_fma_f32 v[50:51], v[40:41], v[16:17], v[42:43] op_sel_hi:[1,0,1] neg_lo:[0,0,1] neg_hi:[0,0,1]
	v_pk_fma_f32 v[52:53], v[40:41], v[16:17], v[42:43] op_sel_hi:[1,0,1]
	ds_load_2addr_b64 v[40:43], v44 offset0:10 offset1:11
	v_dual_mov_b32 v16, v50 :: v_dual_mov_b32 v17, v53
	s_wait_dscnt 0x0
	v_pk_mul_f32 v[54:55], v[40:41], v[52:53] op_sel:[0,1]
	s_delay_alu instid0(VALU_DEP_1) | instskip(SKIP_1) | instid1(VALU_DEP_1)
	v_pk_fma_f32 v[56:57], v[40:41], v[50:51], v[54:55] op_sel:[0,0,1] op_sel_hi:[1,1,0] neg_lo:[0,0,1] neg_hi:[0,0,1]
	v_pk_fma_f32 v[40:41], v[40:41], v[50:51], v[54:55] op_sel:[0,0,1] op_sel_hi:[1,0,0]
	v_mov_b32_e32 v57, v41
	v_pk_mul_f32 v[40:41], v[42:43], v[52:53] op_sel:[0,1]
	s_delay_alu instid0(VALU_DEP_1) | instskip(SKIP_1) | instid1(VALU_DEP_1)
	v_pk_fma_f32 v[54:55], v[42:43], v[50:51], v[40:41] op_sel:[0,0,1] op_sel_hi:[1,1,0] neg_lo:[0,0,1] neg_hi:[0,0,1]
	v_pk_fma_f32 v[40:41], v[42:43], v[50:51], v[40:41] op_sel:[0,0,1] op_sel_hi:[1,0,0]
	v_mov_b32_e32 v55, v41
	ds_load_2addr_b64 v[40:43], v44 offset0:12 offset1:13
	v_pk_add_f32 v[18:19], v[18:19], v[56:57] neg_lo:[0,1] neg_hi:[0,1]
	v_pk_add_f32 v[14:15], v[14:15], v[54:55] neg_lo:[0,1] neg_hi:[0,1]
	s_wait_dscnt 0x0
	v_pk_mul_f32 v[54:55], v[40:41], v[52:53] op_sel:[0,1]
	s_delay_alu instid0(VALU_DEP_1) | instskip(SKIP_2) | instid1(VALU_DEP_2)
	v_pk_fma_f32 v[56:57], v[40:41], v[50:51], v[54:55] op_sel:[0,0,1] op_sel_hi:[1,1,0] neg_lo:[0,0,1] neg_hi:[0,0,1]
	v_pk_fma_f32 v[40:41], v[40:41], v[50:51], v[54:55] op_sel:[0,0,1] op_sel_hi:[1,0,0]
	v_dual_mul_f32 v54, v43, v53 :: v_dual_mov_b32 v40, v43
	v_dual_mov_b32 v57, v41 :: v_dual_mov_b32 v41, v42
	s_delay_alu instid0(VALU_DEP_2) | instskip(SKIP_1) | instid1(VALU_DEP_3)
	v_pk_fma_f32 v[54:55], v[42:43], v[16:17], v[54:55] op_sel_hi:[1,1,0] neg_lo:[0,0,1] neg_hi:[0,0,1]
	v_mul_f32_e32 v42, v43, v50
	v_pk_add_f32 v[12:13], v[12:13], v[56:57] neg_lo:[0,1] neg_hi:[0,1]
	s_delay_alu instid0(VALU_DEP_2) | instskip(NEXT) | instid1(VALU_DEP_1)
	v_pk_fma_f32 v[40:41], v[40:41], v[16:17], v[42:43] op_sel_hi:[1,1,0]
	v_mov_b32_e32 v55, v41
	ds_load_2addr_b64 v[40:43], v44 offset0:14 offset1:15
	v_pk_add_f32 v[26:27], v[26:27], v[54:55] neg_lo:[0,1] neg_hi:[0,1]
	s_wait_dscnt 0x0
	v_pk_mul_f32 v[54:55], v[40:41], v[52:53] op_sel:[0,1]
	s_delay_alu instid0(VALU_DEP_1) | instskip(SKIP_1) | instid1(VALU_DEP_1)
	v_pk_fma_f32 v[56:57], v[40:41], v[50:51], v[54:55] op_sel:[0,0,1] op_sel_hi:[1,1,0] neg_lo:[0,0,1] neg_hi:[0,0,1]
	v_pk_fma_f32 v[40:41], v[40:41], v[50:51], v[54:55] op_sel:[0,0,1] op_sel_hi:[1,0,0]
	v_mov_b32_e32 v57, v41
	v_pk_mul_f32 v[40:41], v[42:43], v[52:53] op_sel:[0,1]
	s_delay_alu instid0(VALU_DEP_1) | instskip(SKIP_1) | instid1(VALU_DEP_1)
	v_pk_fma_f32 v[54:55], v[42:43], v[50:51], v[40:41] op_sel:[0,0,1] op_sel_hi:[1,1,0] neg_lo:[0,0,1] neg_hi:[0,0,1]
	v_pk_fma_f32 v[40:41], v[42:43], v[50:51], v[40:41] op_sel:[0,0,1] op_sel_hi:[1,0,0]
	v_mov_b32_e32 v55, v41
	ds_load_b64 v[40:41], v44 offset:128
	v_pk_add_f32 v[24:25], v[24:25], v[56:57] neg_lo:[0,1] neg_hi:[0,1]
	v_pk_add_f32 v[22:23], v[22:23], v[54:55] neg_lo:[0,1] neg_hi:[0,1]
	s_wait_dscnt 0x0
	v_pk_mul_f32 v[42:43], v[40:41], v[52:53] op_sel:[0,1]
	s_delay_alu instid0(VALU_DEP_1) | instskip(SKIP_1) | instid1(VALU_DEP_1)
	v_pk_fma_f32 v[52:53], v[40:41], v[50:51], v[42:43] op_sel:[0,0,1] op_sel_hi:[1,1,0] neg_lo:[0,0,1] neg_hi:[0,0,1]
	v_pk_fma_f32 v[40:41], v[40:41], v[50:51], v[42:43] op_sel:[0,0,1] op_sel_hi:[1,0,0]
	v_mov_b32_e32 v53, v41
	s_delay_alu instid0(VALU_DEP_1)
	v_pk_add_f32 v[38:39], v[38:39], v[52:53] neg_lo:[0,1] neg_hi:[0,1]
.LBB32_209:
	s_or_b32 exec_lo, exec_lo, s0
	v_lshl_add_u32 v40, v48, 3, v44
	s_barrier_signal -1
	s_barrier_wait -1
	ds_store_b64 v40, v[18:19]
	s_wait_dscnt 0x0
	s_barrier_signal -1
	s_barrier_wait -1
	ds_load_b64 v[40:41], v44 offset:80
	v_mov_b32_e32 v42, 10
	s_cmp_lt_i32 s14, 12
	s_cbranch_scc1 .LBB32_212
; %bb.210:
	v_add3_u32 v43, v45, 0, 0x58
	v_mov_b32_e32 v42, 10
	s_mov_b32 s0, 11
.LBB32_211:                             ; =>This Inner Loop Header: Depth=1
	ds_load_b64 v[50:51], v43
	s_wait_dscnt 0x1
	v_cmp_gt_f32_e32 vcc_lo, 0, v40
	v_cndmask_b32_e64 v52, v40, -v40, vcc_lo
	v_cmp_gt_f32_e32 vcc_lo, 0, v41
	v_cndmask_b32_e64 v54, v41, -v41, vcc_lo
	s_wait_dscnt 0x0
	v_cmp_gt_f32_e32 vcc_lo, 0, v50
	v_cndmask_b32_e64 v53, v50, -v50, vcc_lo
	v_cmp_gt_f32_e32 vcc_lo, 0, v51
	v_cndmask_b32_e64 v55, v51, -v51, vcc_lo
	s_delay_alu instid0(VALU_DEP_1) | instskip(NEXT) | instid1(VALU_DEP_1)
	v_pk_add_f32 v[52:53], v[52:53], v[54:55]
	v_cmp_lt_f32_e32 vcc_lo, v52, v53
	v_dual_cndmask_b32 v40, v40, v50 :: v_dual_add_nc_u32 v43, 8, v43
	v_cndmask_b32_e32 v41, v41, v51, vcc_lo
	v_cndmask_b32_e64 v42, v42, s0, vcc_lo
	s_add_co_i32 s0, s0, 1
	s_delay_alu instid0(SALU_CYCLE_1)
	s_cmp_lg_u32 s14, s0
	s_cbranch_scc1 .LBB32_211
.LBB32_212:
	s_wait_dscnt 0x0
	v_cmp_eq_f32_e32 vcc_lo, 0, v40
	v_cmp_eq_f32_e64 s0, 0, v41
	s_and_b32 s0, vcc_lo, s0
	s_delay_alu instid0(SALU_CYCLE_1) | instskip(NEXT) | instid1(SALU_CYCLE_1)
	s_and_saveexec_b32 s1, s0
	s_xor_b32 s0, exec_lo, s1
; %bb.213:
	v_cmp_ne_u32_e32 vcc_lo, 0, v47
	v_cndmask_b32_e32 v47, 11, v47, vcc_lo
; %bb.214:
	s_and_not1_saveexec_b32 s0, s0
	s_cbranch_execz .LBB32_220
; %bb.215:
	v_cmp_ngt_f32_e64 s1, |v40|, |v41|
	s_and_saveexec_b32 s15, s1
	s_delay_alu instid0(SALU_CYCLE_1)
	s_xor_b32 s1, exec_lo, s15
	s_cbranch_execz .LBB32_217
; %bb.216:
	v_div_scale_f32 v43, null, v41, v41, v40
	v_div_scale_f32 v51, vcc_lo, v40, v41, v40
	s_delay_alu instid0(VALU_DEP_2) | instskip(SKIP_1) | instid1(TRANS32_DEP_1)
	v_rcp_f32_e32 v49, v43
	v_nop
	v_fma_f32 v50, -v43, v49, 1.0
	s_delay_alu instid0(VALU_DEP_1) | instskip(NEXT) | instid1(VALU_DEP_1)
	v_fmac_f32_e32 v49, v50, v49
	v_mul_f32_e32 v50, v51, v49
	s_delay_alu instid0(VALU_DEP_1) | instskip(NEXT) | instid1(VALU_DEP_1)
	v_fma_f32 v52, -v43, v50, v51
	v_fmac_f32_e32 v50, v52, v49
	s_delay_alu instid0(VALU_DEP_1) | instskip(NEXT) | instid1(VALU_DEP_1)
	v_fma_f32 v43, -v43, v50, v51
	v_div_fmas_f32 v43, v43, v49, v50
	s_delay_alu instid0(VALU_DEP_1) | instskip(NEXT) | instid1(VALU_DEP_1)
	v_div_fixup_f32 v43, v43, v41, v40
	v_fmac_f32_e32 v41, v40, v43
	s_delay_alu instid0(VALU_DEP_1) | instskip(SKIP_1) | instid1(VALU_DEP_2)
	v_div_scale_f32 v40, null, v41, v41, 1.0
	v_div_scale_f32 v51, vcc_lo, 1.0, v41, 1.0
	v_rcp_f32_e32 v49, v40
	v_nop
	s_delay_alu instid0(TRANS32_DEP_1) | instskip(NEXT) | instid1(VALU_DEP_1)
	v_fma_f32 v50, -v40, v49, 1.0
	v_fmac_f32_e32 v49, v50, v49
	s_delay_alu instid0(VALU_DEP_1) | instskip(NEXT) | instid1(VALU_DEP_1)
	v_mul_f32_e32 v50, v51, v49
	v_fma_f32 v52, -v40, v50, v51
	s_delay_alu instid0(VALU_DEP_1) | instskip(NEXT) | instid1(VALU_DEP_1)
	v_fmac_f32_e32 v50, v52, v49
	v_fma_f32 v40, -v40, v50, v51
	s_delay_alu instid0(VALU_DEP_1) | instskip(NEXT) | instid1(VALU_DEP_1)
	v_div_fmas_f32 v40, v40, v49, v50
	v_div_fixup_f32 v41, v40, v41, 1.0
	s_delay_alu instid0(VALU_DEP_1)
	v_mul_f32_e32 v40, v43, v41
	v_xor_b32_e32 v41, 0x80000000, v41
.LBB32_217:
	s_and_not1_saveexec_b32 s1, s1
	s_cbranch_execz .LBB32_219
; %bb.218:
	s_delay_alu instid0(VALU_DEP_1) | instskip(SKIP_1) | instid1(VALU_DEP_2)
	v_div_scale_f32 v43, null, v40, v40, v41
	v_div_scale_f32 v51, vcc_lo, v41, v40, v41
	v_rcp_f32_e32 v49, v43
	v_nop
	s_delay_alu instid0(TRANS32_DEP_1) | instskip(NEXT) | instid1(VALU_DEP_1)
	v_fma_f32 v50, -v43, v49, 1.0
	v_fmac_f32_e32 v49, v50, v49
	s_delay_alu instid0(VALU_DEP_1) | instskip(NEXT) | instid1(VALU_DEP_1)
	v_mul_f32_e32 v50, v51, v49
	v_fma_f32 v52, -v43, v50, v51
	s_delay_alu instid0(VALU_DEP_1) | instskip(NEXT) | instid1(VALU_DEP_1)
	v_fmac_f32_e32 v50, v52, v49
	v_fma_f32 v43, -v43, v50, v51
	s_delay_alu instid0(VALU_DEP_1) | instskip(NEXT) | instid1(VALU_DEP_1)
	v_div_fmas_f32 v43, v43, v49, v50
	v_div_fixup_f32 v43, v43, v40, v41
	s_delay_alu instid0(VALU_DEP_1) | instskip(NEXT) | instid1(VALU_DEP_1)
	v_fmac_f32_e32 v40, v41, v43
	v_div_scale_f32 v41, null, v40, v40, 1.0
	s_delay_alu instid0(VALU_DEP_1) | instskip(SKIP_1) | instid1(TRANS32_DEP_1)
	v_rcp_f32_e32 v49, v41
	v_nop
	v_fma_f32 v50, -v41, v49, 1.0
	s_delay_alu instid0(VALU_DEP_1) | instskip(SKIP_1) | instid1(VALU_DEP_1)
	v_fmac_f32_e32 v49, v50, v49
	v_div_scale_f32 v50, vcc_lo, 1.0, v40, 1.0
	v_mul_f32_e32 v51, v50, v49
	s_delay_alu instid0(VALU_DEP_1) | instskip(NEXT) | instid1(VALU_DEP_1)
	v_fma_f32 v52, -v41, v51, v50
	v_fmac_f32_e32 v51, v52, v49
	s_delay_alu instid0(VALU_DEP_1) | instskip(NEXT) | instid1(VALU_DEP_1)
	v_fma_f32 v41, -v41, v51, v50
	v_div_fmas_f32 v41, v41, v49, v51
	s_delay_alu instid0(VALU_DEP_1) | instskip(NEXT) | instid1(VALU_DEP_1)
	v_div_fixup_f32 v40, v41, v40, 1.0
	v_mul_f32_e64 v41, v43, -v40
.LBB32_219:
	s_or_b32 exec_lo, exec_lo, s1
.LBB32_220:
	s_delay_alu instid0(SALU_CYCLE_1) | instskip(NEXT) | instid1(SALU_CYCLE_1)
	s_or_b32 exec_lo, exec_lo, s0
	s_mov_b32 s0, exec_lo
	v_cmpx_ne_u32_e64 v48, v42
	s_xor_b32 s0, exec_lo, s0
	s_cbranch_execz .LBB32_226
; %bb.221:
	s_mov_b32 s1, exec_lo
	v_cmpx_eq_u32_e32 10, v48
	s_cbranch_execz .LBB32_225
; %bb.222:
	v_cmp_ne_u32_e32 vcc_lo, 10, v42
	s_xor_b32 s15, s12, -1
	s_delay_alu instid0(SALU_CYCLE_1) | instskip(NEXT) | instid1(SALU_CYCLE_1)
	s_and_b32 s16, s15, vcc_lo
	s_and_saveexec_b32 s15, s16
	s_cbranch_execz .LBB32_224
; %bb.223:
	v_ashrrev_i32_e32 v43, 31, v42
	s_delay_alu instid0(VALU_DEP_1)
	v_lshl_add_u64 v[48:49], v[42:43], 2, v[28:29]
	s_clause 0x1
	global_load_b32 v43, v[48:49], off
	global_load_b32 v46, v[28:29], off offset:40
	s_wait_loadcnt 0x1
	global_store_b32 v[28:29], v43, off offset:40
	s_wait_loadcnt 0x0
	global_store_b32 v[48:49], v46, off
.LBB32_224:
	s_wait_xcnt 0x0
	s_or_b32 exec_lo, exec_lo, s15
	v_dual_mov_b32 v48, v42 :: v_dual_mov_b32 v46, v42
.LBB32_225:
	s_or_b32 exec_lo, exec_lo, s1
.LBB32_226:
	s_and_not1_saveexec_b32 s0, s0
	s_cbranch_execz .LBB32_228
; %bb.227:
	v_mov_b32_e32 v48, 10
	ds_store_2addr_b64 v44, v[14:15], v[12:13] offset0:11 offset1:12
	ds_store_2addr_b64 v44, v[26:27], v[24:25] offset0:13 offset1:14
	;; [unrolled: 1-line block ×3, first 2 shown]
.LBB32_228:
	s_or_b32 exec_lo, exec_lo, s0
	s_delay_alu instid0(SALU_CYCLE_1)
	s_mov_b32 s0, exec_lo
	s_wait_storecnt_dscnt 0x0
	s_barrier_signal -1
	s_barrier_wait -1
	v_cmpx_lt_i32_e32 10, v48
	s_cbranch_execz .LBB32_230
; %bb.229:
	v_pk_mul_f32 v[42:43], v[40:41], v[18:19] op_sel:[1,1] op_sel_hi:[0,1]
	s_delay_alu instid0(VALU_DEP_1)
	v_pk_fma_f32 v[50:51], v[40:41], v[18:19], v[42:43] op_sel_hi:[1,0,1] neg_lo:[0,0,1] neg_hi:[0,0,1]
	v_pk_fma_f32 v[52:53], v[40:41], v[18:19], v[42:43] op_sel_hi:[1,0,1]
	ds_load_2addr_b64 v[40:43], v44 offset0:11 offset1:12
	v_dual_mov_b32 v18, v50 :: v_dual_mov_b32 v19, v53
	s_wait_dscnt 0x0
	v_pk_mul_f32 v[54:55], v[40:41], v[52:53] op_sel:[0,1]
	s_delay_alu instid0(VALU_DEP_1) | instskip(SKIP_1) | instid1(VALU_DEP_1)
	v_pk_fma_f32 v[56:57], v[40:41], v[50:51], v[54:55] op_sel:[0,0,1] op_sel_hi:[1,1,0] neg_lo:[0,0,1] neg_hi:[0,0,1]
	v_pk_fma_f32 v[40:41], v[40:41], v[50:51], v[54:55] op_sel:[0,0,1] op_sel_hi:[1,0,0]
	v_mov_b32_e32 v57, v41
	v_pk_mul_f32 v[40:41], v[42:43], v[52:53] op_sel:[0,1]
	s_delay_alu instid0(VALU_DEP_1) | instskip(SKIP_1) | instid1(VALU_DEP_1)
	v_pk_fma_f32 v[54:55], v[42:43], v[50:51], v[40:41] op_sel:[0,0,1] op_sel_hi:[1,1,0] neg_lo:[0,0,1] neg_hi:[0,0,1]
	v_pk_fma_f32 v[40:41], v[42:43], v[50:51], v[40:41] op_sel:[0,0,1] op_sel_hi:[1,0,0]
	v_mov_b32_e32 v55, v41
	ds_load_2addr_b64 v[40:43], v44 offset0:13 offset1:14
	v_pk_add_f32 v[14:15], v[14:15], v[56:57] neg_lo:[0,1] neg_hi:[0,1]
	v_pk_add_f32 v[12:13], v[12:13], v[54:55] neg_lo:[0,1] neg_hi:[0,1]
	s_wait_dscnt 0x0
	v_pk_mul_f32 v[54:55], v[40:41], v[52:53] op_sel:[0,1]
	s_delay_alu instid0(VALU_DEP_1) | instskip(SKIP_2) | instid1(VALU_DEP_2)
	v_pk_fma_f32 v[56:57], v[40:41], v[50:51], v[54:55] op_sel:[0,0,1] op_sel_hi:[1,1,0] neg_lo:[0,0,1] neg_hi:[0,0,1]
	v_pk_fma_f32 v[40:41], v[40:41], v[50:51], v[54:55] op_sel:[0,0,1] op_sel_hi:[1,0,0]
	v_dual_mul_f32 v54, v43, v53 :: v_dual_mov_b32 v40, v43
	v_dual_mov_b32 v57, v41 :: v_dual_mov_b32 v41, v42
	s_delay_alu instid0(VALU_DEP_2) | instskip(SKIP_1) | instid1(VALU_DEP_3)
	v_pk_fma_f32 v[54:55], v[42:43], v[18:19], v[54:55] op_sel_hi:[1,1,0] neg_lo:[0,0,1] neg_hi:[0,0,1]
	v_mul_f32_e32 v42, v43, v50
	v_pk_add_f32 v[26:27], v[26:27], v[56:57] neg_lo:[0,1] neg_hi:[0,1]
	s_delay_alu instid0(VALU_DEP_2) | instskip(NEXT) | instid1(VALU_DEP_1)
	v_pk_fma_f32 v[40:41], v[40:41], v[18:19], v[42:43] op_sel_hi:[1,1,0]
	v_mov_b32_e32 v55, v41
	ds_load_2addr_b64 v[40:43], v44 offset0:15 offset1:16
	v_pk_add_f32 v[24:25], v[24:25], v[54:55] neg_lo:[0,1] neg_hi:[0,1]
	s_wait_dscnt 0x0
	v_pk_mul_f32 v[54:55], v[40:41], v[52:53] op_sel:[0,1]
	v_mul_f32_e32 v52, v43, v53
	s_delay_alu instid0(VALU_DEP_2) | instskip(SKIP_2) | instid1(VALU_DEP_4)
	v_pk_fma_f32 v[56:57], v[40:41], v[50:51], v[54:55] op_sel:[0,0,1] op_sel_hi:[1,1,0] neg_lo:[0,0,1] neg_hi:[0,0,1]
	v_pk_fma_f32 v[40:41], v[40:41], v[50:51], v[54:55] op_sel:[0,0,1] op_sel_hi:[1,0,0]
	v_mov_b32_e32 v40, v43
	v_pk_fma_f32 v[52:53], v[42:43], v[18:19], v[52:53] op_sel_hi:[1,1,0] neg_lo:[0,0,1] neg_hi:[0,0,1]
	s_delay_alu instid0(VALU_DEP_3) | instskip(SKIP_1) | instid1(VALU_DEP_2)
	v_dual_mov_b32 v57, v41 :: v_dual_mov_b32 v41, v42
	v_mul_f32_e32 v42, v43, v50
	v_pk_add_f32 v[22:23], v[22:23], v[56:57] neg_lo:[0,1] neg_hi:[0,1]
	s_delay_alu instid0(VALU_DEP_2) | instskip(NEXT) | instid1(VALU_DEP_1)
	v_pk_fma_f32 v[40:41], v[40:41], v[18:19], v[42:43] op_sel_hi:[1,1,0]
	v_mov_b32_e32 v53, v41
	s_delay_alu instid0(VALU_DEP_1)
	v_pk_add_f32 v[38:39], v[38:39], v[52:53] neg_lo:[0,1] neg_hi:[0,1]
.LBB32_230:
	s_or_b32 exec_lo, exec_lo, s0
	v_lshl_add_u32 v40, v48, 3, v44
	s_barrier_signal -1
	s_barrier_wait -1
	ds_store_b64 v40, v[14:15]
	s_wait_dscnt 0x0
	s_barrier_signal -1
	s_barrier_wait -1
	ds_load_b64 v[40:41], v44 offset:88
	v_mov_b32_e32 v42, 11
	s_cmp_lt_i32 s14, 13
	s_cbranch_scc1 .LBB32_233
; %bb.231:
	v_add3_u32 v43, v45, 0, 0x60
	v_mov_b32_e32 v42, 11
	s_mov_b32 s0, 12
.LBB32_232:                             ; =>This Inner Loop Header: Depth=1
	ds_load_b64 v[50:51], v43
	s_wait_dscnt 0x1
	v_cmp_gt_f32_e32 vcc_lo, 0, v40
	v_cndmask_b32_e64 v52, v40, -v40, vcc_lo
	v_cmp_gt_f32_e32 vcc_lo, 0, v41
	v_cndmask_b32_e64 v54, v41, -v41, vcc_lo
	s_wait_dscnt 0x0
	v_cmp_gt_f32_e32 vcc_lo, 0, v50
	v_cndmask_b32_e64 v53, v50, -v50, vcc_lo
	v_cmp_gt_f32_e32 vcc_lo, 0, v51
	v_cndmask_b32_e64 v55, v51, -v51, vcc_lo
	s_delay_alu instid0(VALU_DEP_1) | instskip(NEXT) | instid1(VALU_DEP_1)
	v_pk_add_f32 v[52:53], v[52:53], v[54:55]
	v_cmp_lt_f32_e32 vcc_lo, v52, v53
	v_dual_cndmask_b32 v40, v40, v50 :: v_dual_add_nc_u32 v43, 8, v43
	v_cndmask_b32_e32 v41, v41, v51, vcc_lo
	v_cndmask_b32_e64 v42, v42, s0, vcc_lo
	s_add_co_i32 s0, s0, 1
	s_delay_alu instid0(SALU_CYCLE_1)
	s_cmp_lg_u32 s14, s0
	s_cbranch_scc1 .LBB32_232
.LBB32_233:
	s_wait_dscnt 0x0
	v_cmp_eq_f32_e32 vcc_lo, 0, v40
	v_cmp_eq_f32_e64 s0, 0, v41
	s_and_b32 s0, vcc_lo, s0
	s_delay_alu instid0(SALU_CYCLE_1) | instskip(NEXT) | instid1(SALU_CYCLE_1)
	s_and_saveexec_b32 s1, s0
	s_xor_b32 s0, exec_lo, s1
; %bb.234:
	v_cmp_ne_u32_e32 vcc_lo, 0, v47
	v_cndmask_b32_e32 v47, 12, v47, vcc_lo
; %bb.235:
	s_and_not1_saveexec_b32 s0, s0
	s_cbranch_execz .LBB32_241
; %bb.236:
	v_cmp_ngt_f32_e64 s1, |v40|, |v41|
	s_and_saveexec_b32 s15, s1
	s_delay_alu instid0(SALU_CYCLE_1)
	s_xor_b32 s1, exec_lo, s15
	s_cbranch_execz .LBB32_238
; %bb.237:
	v_div_scale_f32 v43, null, v41, v41, v40
	v_div_scale_f32 v51, vcc_lo, v40, v41, v40
	s_delay_alu instid0(VALU_DEP_2) | instskip(SKIP_1) | instid1(TRANS32_DEP_1)
	v_rcp_f32_e32 v49, v43
	v_nop
	v_fma_f32 v50, -v43, v49, 1.0
	s_delay_alu instid0(VALU_DEP_1) | instskip(NEXT) | instid1(VALU_DEP_1)
	v_fmac_f32_e32 v49, v50, v49
	v_mul_f32_e32 v50, v51, v49
	s_delay_alu instid0(VALU_DEP_1) | instskip(NEXT) | instid1(VALU_DEP_1)
	v_fma_f32 v52, -v43, v50, v51
	v_fmac_f32_e32 v50, v52, v49
	s_delay_alu instid0(VALU_DEP_1) | instskip(NEXT) | instid1(VALU_DEP_1)
	v_fma_f32 v43, -v43, v50, v51
	v_div_fmas_f32 v43, v43, v49, v50
	s_delay_alu instid0(VALU_DEP_1) | instskip(NEXT) | instid1(VALU_DEP_1)
	v_div_fixup_f32 v43, v43, v41, v40
	v_fmac_f32_e32 v41, v40, v43
	s_delay_alu instid0(VALU_DEP_1) | instskip(SKIP_1) | instid1(VALU_DEP_2)
	v_div_scale_f32 v40, null, v41, v41, 1.0
	v_div_scale_f32 v51, vcc_lo, 1.0, v41, 1.0
	v_rcp_f32_e32 v49, v40
	v_nop
	s_delay_alu instid0(TRANS32_DEP_1) | instskip(NEXT) | instid1(VALU_DEP_1)
	v_fma_f32 v50, -v40, v49, 1.0
	v_fmac_f32_e32 v49, v50, v49
	s_delay_alu instid0(VALU_DEP_1) | instskip(NEXT) | instid1(VALU_DEP_1)
	v_mul_f32_e32 v50, v51, v49
	v_fma_f32 v52, -v40, v50, v51
	s_delay_alu instid0(VALU_DEP_1) | instskip(NEXT) | instid1(VALU_DEP_1)
	v_fmac_f32_e32 v50, v52, v49
	v_fma_f32 v40, -v40, v50, v51
	s_delay_alu instid0(VALU_DEP_1) | instskip(NEXT) | instid1(VALU_DEP_1)
	v_div_fmas_f32 v40, v40, v49, v50
	v_div_fixup_f32 v41, v40, v41, 1.0
	s_delay_alu instid0(VALU_DEP_1)
	v_mul_f32_e32 v40, v43, v41
	v_xor_b32_e32 v41, 0x80000000, v41
.LBB32_238:
	s_and_not1_saveexec_b32 s1, s1
	s_cbranch_execz .LBB32_240
; %bb.239:
	s_delay_alu instid0(VALU_DEP_1) | instskip(SKIP_1) | instid1(VALU_DEP_2)
	v_div_scale_f32 v43, null, v40, v40, v41
	v_div_scale_f32 v51, vcc_lo, v41, v40, v41
	v_rcp_f32_e32 v49, v43
	v_nop
	s_delay_alu instid0(TRANS32_DEP_1) | instskip(NEXT) | instid1(VALU_DEP_1)
	v_fma_f32 v50, -v43, v49, 1.0
	v_fmac_f32_e32 v49, v50, v49
	s_delay_alu instid0(VALU_DEP_1) | instskip(NEXT) | instid1(VALU_DEP_1)
	v_mul_f32_e32 v50, v51, v49
	v_fma_f32 v52, -v43, v50, v51
	s_delay_alu instid0(VALU_DEP_1) | instskip(NEXT) | instid1(VALU_DEP_1)
	v_fmac_f32_e32 v50, v52, v49
	v_fma_f32 v43, -v43, v50, v51
	s_delay_alu instid0(VALU_DEP_1) | instskip(NEXT) | instid1(VALU_DEP_1)
	v_div_fmas_f32 v43, v43, v49, v50
	v_div_fixup_f32 v43, v43, v40, v41
	s_delay_alu instid0(VALU_DEP_1) | instskip(NEXT) | instid1(VALU_DEP_1)
	v_fmac_f32_e32 v40, v41, v43
	v_div_scale_f32 v41, null, v40, v40, 1.0
	s_delay_alu instid0(VALU_DEP_1) | instskip(SKIP_1) | instid1(TRANS32_DEP_1)
	v_rcp_f32_e32 v49, v41
	v_nop
	v_fma_f32 v50, -v41, v49, 1.0
	s_delay_alu instid0(VALU_DEP_1) | instskip(SKIP_1) | instid1(VALU_DEP_1)
	v_fmac_f32_e32 v49, v50, v49
	v_div_scale_f32 v50, vcc_lo, 1.0, v40, 1.0
	v_mul_f32_e32 v51, v50, v49
	s_delay_alu instid0(VALU_DEP_1) | instskip(NEXT) | instid1(VALU_DEP_1)
	v_fma_f32 v52, -v41, v51, v50
	v_fmac_f32_e32 v51, v52, v49
	s_delay_alu instid0(VALU_DEP_1) | instskip(NEXT) | instid1(VALU_DEP_1)
	v_fma_f32 v41, -v41, v51, v50
	v_div_fmas_f32 v41, v41, v49, v51
	s_delay_alu instid0(VALU_DEP_1) | instskip(NEXT) | instid1(VALU_DEP_1)
	v_div_fixup_f32 v40, v41, v40, 1.0
	v_mul_f32_e64 v41, v43, -v40
.LBB32_240:
	s_or_b32 exec_lo, exec_lo, s1
.LBB32_241:
	s_delay_alu instid0(SALU_CYCLE_1) | instskip(NEXT) | instid1(SALU_CYCLE_1)
	s_or_b32 exec_lo, exec_lo, s0
	s_mov_b32 s0, exec_lo
	v_cmpx_ne_u32_e64 v48, v42
	s_xor_b32 s0, exec_lo, s0
	s_cbranch_execz .LBB32_247
; %bb.242:
	s_mov_b32 s1, exec_lo
	v_cmpx_eq_u32_e32 11, v48
	s_cbranch_execz .LBB32_246
; %bb.243:
	v_cmp_ne_u32_e32 vcc_lo, 11, v42
	s_xor_b32 s15, s12, -1
	s_delay_alu instid0(SALU_CYCLE_1) | instskip(NEXT) | instid1(SALU_CYCLE_1)
	s_and_b32 s16, s15, vcc_lo
	s_and_saveexec_b32 s15, s16
	s_cbranch_execz .LBB32_245
; %bb.244:
	v_ashrrev_i32_e32 v43, 31, v42
	s_delay_alu instid0(VALU_DEP_1)
	v_lshl_add_u64 v[48:49], v[42:43], 2, v[28:29]
	s_clause 0x1
	global_load_b32 v43, v[48:49], off
	global_load_b32 v46, v[28:29], off offset:44
	s_wait_loadcnt 0x1
	global_store_b32 v[28:29], v43, off offset:44
	s_wait_loadcnt 0x0
	global_store_b32 v[48:49], v46, off
.LBB32_245:
	s_wait_xcnt 0x0
	s_or_b32 exec_lo, exec_lo, s15
	v_dual_mov_b32 v48, v42 :: v_dual_mov_b32 v46, v42
.LBB32_246:
	s_or_b32 exec_lo, exec_lo, s1
.LBB32_247:
	s_and_not1_saveexec_b32 s0, s0
	s_cbranch_execz .LBB32_249
; %bb.248:
	v_dual_mov_b32 v42, v12 :: v_dual_mov_b32 v43, v13
	v_dual_mov_b32 v50, v26 :: v_dual_mov_b32 v51, v27
	;; [unrolled: 1-line block ×4, first 2 shown]
	v_mov_b32_e32 v55, v23
	ds_store_2addr_b64 v44, v[42:43], v[50:51] offset0:12 offset1:13
	ds_store_2addr_b64 v44, v[52:53], v[54:55] offset0:14 offset1:15
	ds_store_b64 v44, v[38:39] offset:128
.LBB32_249:
	s_or_b32 exec_lo, exec_lo, s0
	s_delay_alu instid0(SALU_CYCLE_1)
	s_mov_b32 s0, exec_lo
	s_wait_storecnt_dscnt 0x0
	s_barrier_signal -1
	s_barrier_wait -1
	v_cmpx_lt_i32_e32 11, v48
	s_cbranch_execz .LBB32_251
; %bb.250:
	v_pk_mul_f32 v[42:43], v[40:41], v[14:15] op_sel:[1,1] op_sel_hi:[0,1]
	s_delay_alu instid0(VALU_DEP_1)
	v_pk_fma_f32 v[50:51], v[40:41], v[14:15], v[42:43] op_sel_hi:[1,0,1] neg_lo:[0,0,1] neg_hi:[0,0,1]
	v_pk_fma_f32 v[52:53], v[40:41], v[14:15], v[42:43] op_sel_hi:[1,0,1]
	ds_load_2addr_b64 v[40:43], v44 offset0:12 offset1:13
	v_dual_mov_b32 v14, v50 :: v_dual_mov_b32 v15, v53
	s_wait_dscnt 0x0
	v_pk_mul_f32 v[54:55], v[40:41], v[52:53] op_sel:[0,1]
	s_delay_alu instid0(VALU_DEP_1) | instskip(SKIP_1) | instid1(VALU_DEP_1)
	v_pk_fma_f32 v[56:57], v[40:41], v[50:51], v[54:55] op_sel:[0,0,1] op_sel_hi:[1,1,0] neg_lo:[0,0,1] neg_hi:[0,0,1]
	v_pk_fma_f32 v[40:41], v[40:41], v[50:51], v[54:55] op_sel:[0,0,1] op_sel_hi:[1,0,0]
	v_mov_b32_e32 v57, v41
	v_pk_mul_f32 v[40:41], v[42:43], v[52:53] op_sel:[0,1]
	s_delay_alu instid0(VALU_DEP_1) | instskip(SKIP_1) | instid1(VALU_DEP_1)
	v_pk_fma_f32 v[54:55], v[42:43], v[50:51], v[40:41] op_sel:[0,0,1] op_sel_hi:[1,1,0] neg_lo:[0,0,1] neg_hi:[0,0,1]
	v_pk_fma_f32 v[40:41], v[42:43], v[50:51], v[40:41] op_sel:[0,0,1] op_sel_hi:[1,0,0]
	v_mov_b32_e32 v55, v41
	ds_load_2addr_b64 v[40:43], v44 offset0:14 offset1:15
	v_pk_add_f32 v[12:13], v[12:13], v[56:57] neg_lo:[0,1] neg_hi:[0,1]
	v_pk_add_f32 v[26:27], v[26:27], v[54:55] neg_lo:[0,1] neg_hi:[0,1]
	s_wait_dscnt 0x0
	v_pk_mul_f32 v[54:55], v[40:41], v[52:53] op_sel:[0,1]
	s_delay_alu instid0(VALU_DEP_1) | instskip(SKIP_2) | instid1(VALU_DEP_2)
	v_pk_fma_f32 v[56:57], v[40:41], v[50:51], v[54:55] op_sel:[0,0,1] op_sel_hi:[1,1,0] neg_lo:[0,0,1] neg_hi:[0,0,1]
	v_pk_fma_f32 v[40:41], v[40:41], v[50:51], v[54:55] op_sel:[0,0,1] op_sel_hi:[1,0,0]
	v_dual_mul_f32 v54, v43, v53 :: v_dual_mov_b32 v40, v43
	v_dual_mov_b32 v57, v41 :: v_dual_mov_b32 v41, v42
	s_delay_alu instid0(VALU_DEP_2) | instskip(SKIP_1) | instid1(VALU_DEP_3)
	v_pk_fma_f32 v[54:55], v[42:43], v[14:15], v[54:55] op_sel_hi:[1,1,0] neg_lo:[0,0,1] neg_hi:[0,0,1]
	v_mul_f32_e32 v42, v43, v50
	v_pk_add_f32 v[24:25], v[24:25], v[56:57] neg_lo:[0,1] neg_hi:[0,1]
	s_delay_alu instid0(VALU_DEP_2) | instskip(NEXT) | instid1(VALU_DEP_1)
	v_pk_fma_f32 v[40:41], v[40:41], v[14:15], v[42:43] op_sel_hi:[1,1,0]
	v_mov_b32_e32 v55, v41
	ds_load_b64 v[40:41], v44 offset:128
	v_pk_add_f32 v[22:23], v[22:23], v[54:55] neg_lo:[0,1] neg_hi:[0,1]
	s_wait_dscnt 0x0
	v_pk_mul_f32 v[42:43], v[40:41], v[52:53] op_sel:[0,1]
	s_delay_alu instid0(VALU_DEP_1) | instskip(SKIP_1) | instid1(VALU_DEP_1)
	v_pk_fma_f32 v[52:53], v[40:41], v[50:51], v[42:43] op_sel:[0,0,1] op_sel_hi:[1,1,0] neg_lo:[0,0,1] neg_hi:[0,0,1]
	v_pk_fma_f32 v[40:41], v[40:41], v[50:51], v[42:43] op_sel:[0,0,1] op_sel_hi:[1,0,0]
	v_mov_b32_e32 v53, v41
	s_delay_alu instid0(VALU_DEP_1)
	v_pk_add_f32 v[38:39], v[38:39], v[52:53] neg_lo:[0,1] neg_hi:[0,1]
.LBB32_251:
	s_or_b32 exec_lo, exec_lo, s0
	v_lshl_add_u32 v40, v48, 3, v44
	s_barrier_signal -1
	s_barrier_wait -1
	ds_store_b64 v40, v[12:13]
	s_wait_dscnt 0x0
	s_barrier_signal -1
	s_barrier_wait -1
	ds_load_b64 v[40:41], v44 offset:96
	v_mov_b32_e32 v42, 12
	s_cmp_lt_i32 s14, 14
	s_cbranch_scc1 .LBB32_254
; %bb.252:
	v_add3_u32 v43, v45, 0, 0x68
	v_mov_b32_e32 v42, 12
	s_mov_b32 s0, 13
.LBB32_253:                             ; =>This Inner Loop Header: Depth=1
	ds_load_b64 v[50:51], v43
	s_wait_dscnt 0x1
	v_cmp_gt_f32_e32 vcc_lo, 0, v40
	v_cndmask_b32_e64 v52, v40, -v40, vcc_lo
	v_cmp_gt_f32_e32 vcc_lo, 0, v41
	v_cndmask_b32_e64 v54, v41, -v41, vcc_lo
	s_wait_dscnt 0x0
	v_cmp_gt_f32_e32 vcc_lo, 0, v50
	v_cndmask_b32_e64 v53, v50, -v50, vcc_lo
	v_cmp_gt_f32_e32 vcc_lo, 0, v51
	v_cndmask_b32_e64 v55, v51, -v51, vcc_lo
	s_delay_alu instid0(VALU_DEP_1) | instskip(NEXT) | instid1(VALU_DEP_1)
	v_pk_add_f32 v[52:53], v[52:53], v[54:55]
	v_cmp_lt_f32_e32 vcc_lo, v52, v53
	v_dual_cndmask_b32 v40, v40, v50 :: v_dual_add_nc_u32 v43, 8, v43
	v_cndmask_b32_e32 v41, v41, v51, vcc_lo
	v_cndmask_b32_e64 v42, v42, s0, vcc_lo
	s_add_co_i32 s0, s0, 1
	s_delay_alu instid0(SALU_CYCLE_1)
	s_cmp_lg_u32 s14, s0
	s_cbranch_scc1 .LBB32_253
.LBB32_254:
	s_wait_dscnt 0x0
	v_cmp_eq_f32_e32 vcc_lo, 0, v40
	v_cmp_eq_f32_e64 s0, 0, v41
	s_and_b32 s0, vcc_lo, s0
	s_delay_alu instid0(SALU_CYCLE_1) | instskip(NEXT) | instid1(SALU_CYCLE_1)
	s_and_saveexec_b32 s1, s0
	s_xor_b32 s0, exec_lo, s1
; %bb.255:
	v_cmp_ne_u32_e32 vcc_lo, 0, v47
	v_cndmask_b32_e32 v47, 13, v47, vcc_lo
; %bb.256:
	s_and_not1_saveexec_b32 s0, s0
	s_cbranch_execz .LBB32_262
; %bb.257:
	v_cmp_ngt_f32_e64 s1, |v40|, |v41|
	s_and_saveexec_b32 s15, s1
	s_delay_alu instid0(SALU_CYCLE_1)
	s_xor_b32 s1, exec_lo, s15
	s_cbranch_execz .LBB32_259
; %bb.258:
	v_div_scale_f32 v43, null, v41, v41, v40
	v_div_scale_f32 v51, vcc_lo, v40, v41, v40
	s_delay_alu instid0(VALU_DEP_2) | instskip(SKIP_1) | instid1(TRANS32_DEP_1)
	v_rcp_f32_e32 v49, v43
	v_nop
	v_fma_f32 v50, -v43, v49, 1.0
	s_delay_alu instid0(VALU_DEP_1) | instskip(NEXT) | instid1(VALU_DEP_1)
	v_fmac_f32_e32 v49, v50, v49
	v_mul_f32_e32 v50, v51, v49
	s_delay_alu instid0(VALU_DEP_1) | instskip(NEXT) | instid1(VALU_DEP_1)
	v_fma_f32 v52, -v43, v50, v51
	v_fmac_f32_e32 v50, v52, v49
	s_delay_alu instid0(VALU_DEP_1) | instskip(NEXT) | instid1(VALU_DEP_1)
	v_fma_f32 v43, -v43, v50, v51
	v_div_fmas_f32 v43, v43, v49, v50
	s_delay_alu instid0(VALU_DEP_1) | instskip(NEXT) | instid1(VALU_DEP_1)
	v_div_fixup_f32 v43, v43, v41, v40
	v_fmac_f32_e32 v41, v40, v43
	s_delay_alu instid0(VALU_DEP_1) | instskip(SKIP_1) | instid1(VALU_DEP_2)
	v_div_scale_f32 v40, null, v41, v41, 1.0
	v_div_scale_f32 v51, vcc_lo, 1.0, v41, 1.0
	v_rcp_f32_e32 v49, v40
	v_nop
	s_delay_alu instid0(TRANS32_DEP_1) | instskip(NEXT) | instid1(VALU_DEP_1)
	v_fma_f32 v50, -v40, v49, 1.0
	v_fmac_f32_e32 v49, v50, v49
	s_delay_alu instid0(VALU_DEP_1) | instskip(NEXT) | instid1(VALU_DEP_1)
	v_mul_f32_e32 v50, v51, v49
	v_fma_f32 v52, -v40, v50, v51
	s_delay_alu instid0(VALU_DEP_1) | instskip(NEXT) | instid1(VALU_DEP_1)
	v_fmac_f32_e32 v50, v52, v49
	v_fma_f32 v40, -v40, v50, v51
	s_delay_alu instid0(VALU_DEP_1) | instskip(NEXT) | instid1(VALU_DEP_1)
	v_div_fmas_f32 v40, v40, v49, v50
	v_div_fixup_f32 v41, v40, v41, 1.0
	s_delay_alu instid0(VALU_DEP_1)
	v_mul_f32_e32 v40, v43, v41
	v_xor_b32_e32 v41, 0x80000000, v41
.LBB32_259:
	s_and_not1_saveexec_b32 s1, s1
	s_cbranch_execz .LBB32_261
; %bb.260:
	s_delay_alu instid0(VALU_DEP_1) | instskip(SKIP_1) | instid1(VALU_DEP_2)
	v_div_scale_f32 v43, null, v40, v40, v41
	v_div_scale_f32 v51, vcc_lo, v41, v40, v41
	v_rcp_f32_e32 v49, v43
	v_nop
	s_delay_alu instid0(TRANS32_DEP_1) | instskip(NEXT) | instid1(VALU_DEP_1)
	v_fma_f32 v50, -v43, v49, 1.0
	v_fmac_f32_e32 v49, v50, v49
	s_delay_alu instid0(VALU_DEP_1) | instskip(NEXT) | instid1(VALU_DEP_1)
	v_mul_f32_e32 v50, v51, v49
	v_fma_f32 v52, -v43, v50, v51
	s_delay_alu instid0(VALU_DEP_1) | instskip(NEXT) | instid1(VALU_DEP_1)
	v_fmac_f32_e32 v50, v52, v49
	v_fma_f32 v43, -v43, v50, v51
	s_delay_alu instid0(VALU_DEP_1) | instskip(NEXT) | instid1(VALU_DEP_1)
	v_div_fmas_f32 v43, v43, v49, v50
	v_div_fixup_f32 v43, v43, v40, v41
	s_delay_alu instid0(VALU_DEP_1) | instskip(NEXT) | instid1(VALU_DEP_1)
	v_fmac_f32_e32 v40, v41, v43
	v_div_scale_f32 v41, null, v40, v40, 1.0
	s_delay_alu instid0(VALU_DEP_1) | instskip(SKIP_1) | instid1(TRANS32_DEP_1)
	v_rcp_f32_e32 v49, v41
	v_nop
	v_fma_f32 v50, -v41, v49, 1.0
	s_delay_alu instid0(VALU_DEP_1) | instskip(SKIP_1) | instid1(VALU_DEP_1)
	v_fmac_f32_e32 v49, v50, v49
	v_div_scale_f32 v50, vcc_lo, 1.0, v40, 1.0
	v_mul_f32_e32 v51, v50, v49
	s_delay_alu instid0(VALU_DEP_1) | instskip(NEXT) | instid1(VALU_DEP_1)
	v_fma_f32 v52, -v41, v51, v50
	v_fmac_f32_e32 v51, v52, v49
	s_delay_alu instid0(VALU_DEP_1) | instskip(NEXT) | instid1(VALU_DEP_1)
	v_fma_f32 v41, -v41, v51, v50
	v_div_fmas_f32 v41, v41, v49, v51
	s_delay_alu instid0(VALU_DEP_1) | instskip(NEXT) | instid1(VALU_DEP_1)
	v_div_fixup_f32 v40, v41, v40, 1.0
	v_mul_f32_e64 v41, v43, -v40
.LBB32_261:
	s_or_b32 exec_lo, exec_lo, s1
.LBB32_262:
	s_delay_alu instid0(SALU_CYCLE_1) | instskip(NEXT) | instid1(SALU_CYCLE_1)
	s_or_b32 exec_lo, exec_lo, s0
	s_mov_b32 s0, exec_lo
	v_cmpx_ne_u32_e64 v48, v42
	s_xor_b32 s0, exec_lo, s0
	s_cbranch_execz .LBB32_268
; %bb.263:
	s_mov_b32 s1, exec_lo
	v_cmpx_eq_u32_e32 12, v48
	s_cbranch_execz .LBB32_267
; %bb.264:
	v_cmp_ne_u32_e32 vcc_lo, 12, v42
	s_xor_b32 s15, s12, -1
	s_delay_alu instid0(SALU_CYCLE_1) | instskip(NEXT) | instid1(SALU_CYCLE_1)
	s_and_b32 s16, s15, vcc_lo
	s_and_saveexec_b32 s15, s16
	s_cbranch_execz .LBB32_266
; %bb.265:
	v_ashrrev_i32_e32 v43, 31, v42
	s_delay_alu instid0(VALU_DEP_1)
	v_lshl_add_u64 v[48:49], v[42:43], 2, v[28:29]
	s_clause 0x1
	global_load_b32 v43, v[48:49], off
	global_load_b32 v46, v[28:29], off offset:48
	s_wait_loadcnt 0x1
	global_store_b32 v[28:29], v43, off offset:48
	s_wait_loadcnt 0x0
	global_store_b32 v[48:49], v46, off
.LBB32_266:
	s_wait_xcnt 0x0
	s_or_b32 exec_lo, exec_lo, s15
	v_dual_mov_b32 v48, v42 :: v_dual_mov_b32 v46, v42
.LBB32_267:
	s_or_b32 exec_lo, exec_lo, s1
.LBB32_268:
	s_and_not1_saveexec_b32 s0, s0
	s_cbranch_execz .LBB32_270
; %bb.269:
	v_mov_b32_e32 v48, 12
	ds_store_2addr_b64 v44, v[26:27], v[24:25] offset0:13 offset1:14
	ds_store_2addr_b64 v44, v[22:23], v[38:39] offset0:15 offset1:16
.LBB32_270:
	s_or_b32 exec_lo, exec_lo, s0
	s_delay_alu instid0(SALU_CYCLE_1)
	s_mov_b32 s0, exec_lo
	s_wait_storecnt_dscnt 0x0
	s_barrier_signal -1
	s_barrier_wait -1
	v_cmpx_lt_i32_e32 12, v48
	s_cbranch_execz .LBB32_272
; %bb.271:
	v_pk_mul_f32 v[42:43], v[40:41], v[12:13] op_sel:[1,1] op_sel_hi:[0,1]
	s_delay_alu instid0(VALU_DEP_1)
	v_pk_fma_f32 v[50:51], v[40:41], v[12:13], v[42:43] op_sel_hi:[1,0,1] neg_lo:[0,0,1] neg_hi:[0,0,1]
	v_pk_fma_f32 v[52:53], v[40:41], v[12:13], v[42:43] op_sel_hi:[1,0,1]
	ds_load_2addr_b64 v[40:43], v44 offset0:13 offset1:14
	v_dual_mov_b32 v12, v50 :: v_dual_mov_b32 v13, v53
	s_wait_dscnt 0x0
	v_pk_mul_f32 v[54:55], v[40:41], v[52:53] op_sel:[0,1]
	s_delay_alu instid0(VALU_DEP_1) | instskip(SKIP_1) | instid1(VALU_DEP_1)
	v_pk_fma_f32 v[56:57], v[40:41], v[50:51], v[54:55] op_sel:[0,0,1] op_sel_hi:[1,1,0] neg_lo:[0,0,1] neg_hi:[0,0,1]
	v_pk_fma_f32 v[40:41], v[40:41], v[50:51], v[54:55] op_sel:[0,0,1] op_sel_hi:[1,0,0]
	v_mov_b32_e32 v57, v41
	v_pk_mul_f32 v[40:41], v[42:43], v[52:53] op_sel:[0,1]
	s_delay_alu instid0(VALU_DEP_1) | instskip(SKIP_1) | instid1(VALU_DEP_1)
	v_pk_fma_f32 v[54:55], v[42:43], v[50:51], v[40:41] op_sel:[0,0,1] op_sel_hi:[1,1,0] neg_lo:[0,0,1] neg_hi:[0,0,1]
	v_pk_fma_f32 v[40:41], v[42:43], v[50:51], v[40:41] op_sel:[0,0,1] op_sel_hi:[1,0,0]
	v_mov_b32_e32 v55, v41
	ds_load_2addr_b64 v[40:43], v44 offset0:15 offset1:16
	v_pk_add_f32 v[26:27], v[26:27], v[56:57] neg_lo:[0,1] neg_hi:[0,1]
	v_pk_add_f32 v[24:25], v[24:25], v[54:55] neg_lo:[0,1] neg_hi:[0,1]
	s_wait_dscnt 0x0
	v_pk_mul_f32 v[54:55], v[40:41], v[52:53] op_sel:[0,1]
	s_delay_alu instid0(VALU_DEP_1) | instskip(SKIP_1) | instid1(VALU_DEP_1)
	v_pk_fma_f32 v[56:57], v[40:41], v[50:51], v[54:55] op_sel:[0,0,1] op_sel_hi:[1,1,0] neg_lo:[0,0,1] neg_hi:[0,0,1]
	v_pk_fma_f32 v[40:41], v[40:41], v[50:51], v[54:55] op_sel:[0,0,1] op_sel_hi:[1,0,0]
	v_dual_mov_b32 v40, v43 :: v_dual_mov_b32 v57, v41
	v_mov_b32_e32 v41, v42
	s_delay_alu instid0(VALU_DEP_2) | instskip(NEXT) | instid1(VALU_DEP_2)
	v_pk_add_f32 v[22:23], v[22:23], v[56:57] neg_lo:[0,1] neg_hi:[0,1]
	v_pk_mul_f32 v[40:41], v[40:41], v[52:53] op_sel:[0,1]
	s_delay_alu instid0(VALU_DEP_1) | instskip(SKIP_1) | instid1(VALU_DEP_1)
	v_pk_fma_f32 v[52:53], v[42:43], v[50:51], v[40:41] neg_lo:[0,0,1] neg_hi:[0,0,1]
	v_pk_fma_f32 v[40:41], v[42:43], v[50:51], v[40:41] op_sel_hi:[1,0,1]
	v_mov_b32_e32 v53, v41
	s_delay_alu instid0(VALU_DEP_1)
	v_pk_add_f32 v[38:39], v[38:39], v[52:53] neg_lo:[0,1] neg_hi:[0,1]
.LBB32_272:
	s_or_b32 exec_lo, exec_lo, s0
	v_lshl_add_u32 v40, v48, 3, v44
	s_barrier_signal -1
	s_barrier_wait -1
	ds_store_b64 v40, v[26:27]
	s_wait_dscnt 0x0
	s_barrier_signal -1
	s_barrier_wait -1
	ds_load_b64 v[40:41], v44 offset:104
	v_mov_b32_e32 v42, 13
	s_cmp_lt_i32 s14, 15
	s_cbranch_scc1 .LBB32_275
; %bb.273:
	v_add3_u32 v43, v45, 0, 0x70
	v_mov_b32_e32 v42, 13
	s_mov_b32 s0, 14
.LBB32_274:                             ; =>This Inner Loop Header: Depth=1
	ds_load_b64 v[50:51], v43
	s_wait_dscnt 0x1
	v_cmp_gt_f32_e32 vcc_lo, 0, v40
	v_cndmask_b32_e64 v52, v40, -v40, vcc_lo
	v_cmp_gt_f32_e32 vcc_lo, 0, v41
	v_cndmask_b32_e64 v54, v41, -v41, vcc_lo
	s_wait_dscnt 0x0
	v_cmp_gt_f32_e32 vcc_lo, 0, v50
	v_cndmask_b32_e64 v53, v50, -v50, vcc_lo
	v_cmp_gt_f32_e32 vcc_lo, 0, v51
	v_cndmask_b32_e64 v55, v51, -v51, vcc_lo
	s_delay_alu instid0(VALU_DEP_1) | instskip(NEXT) | instid1(VALU_DEP_1)
	v_pk_add_f32 v[52:53], v[52:53], v[54:55]
	v_cmp_lt_f32_e32 vcc_lo, v52, v53
	v_dual_cndmask_b32 v40, v40, v50 :: v_dual_add_nc_u32 v43, 8, v43
	v_cndmask_b32_e32 v41, v41, v51, vcc_lo
	v_cndmask_b32_e64 v42, v42, s0, vcc_lo
	s_add_co_i32 s0, s0, 1
	s_delay_alu instid0(SALU_CYCLE_1)
	s_cmp_lg_u32 s14, s0
	s_cbranch_scc1 .LBB32_274
.LBB32_275:
	s_wait_dscnt 0x0
	v_cmp_eq_f32_e32 vcc_lo, 0, v40
	v_cmp_eq_f32_e64 s0, 0, v41
	s_and_b32 s0, vcc_lo, s0
	s_delay_alu instid0(SALU_CYCLE_1) | instskip(NEXT) | instid1(SALU_CYCLE_1)
	s_and_saveexec_b32 s1, s0
	s_xor_b32 s0, exec_lo, s1
; %bb.276:
	v_cmp_ne_u32_e32 vcc_lo, 0, v47
	v_cndmask_b32_e32 v47, 14, v47, vcc_lo
; %bb.277:
	s_and_not1_saveexec_b32 s0, s0
	s_cbranch_execz .LBB32_283
; %bb.278:
	v_cmp_ngt_f32_e64 s1, |v40|, |v41|
	s_and_saveexec_b32 s15, s1
	s_delay_alu instid0(SALU_CYCLE_1)
	s_xor_b32 s1, exec_lo, s15
	s_cbranch_execz .LBB32_280
; %bb.279:
	v_div_scale_f32 v43, null, v41, v41, v40
	v_div_scale_f32 v51, vcc_lo, v40, v41, v40
	s_delay_alu instid0(VALU_DEP_2) | instskip(SKIP_1) | instid1(TRANS32_DEP_1)
	v_rcp_f32_e32 v49, v43
	v_nop
	v_fma_f32 v50, -v43, v49, 1.0
	s_delay_alu instid0(VALU_DEP_1) | instskip(NEXT) | instid1(VALU_DEP_1)
	v_fmac_f32_e32 v49, v50, v49
	v_mul_f32_e32 v50, v51, v49
	s_delay_alu instid0(VALU_DEP_1) | instskip(NEXT) | instid1(VALU_DEP_1)
	v_fma_f32 v52, -v43, v50, v51
	v_fmac_f32_e32 v50, v52, v49
	s_delay_alu instid0(VALU_DEP_1) | instskip(NEXT) | instid1(VALU_DEP_1)
	v_fma_f32 v43, -v43, v50, v51
	v_div_fmas_f32 v43, v43, v49, v50
	s_delay_alu instid0(VALU_DEP_1) | instskip(NEXT) | instid1(VALU_DEP_1)
	v_div_fixup_f32 v43, v43, v41, v40
	v_fmac_f32_e32 v41, v40, v43
	s_delay_alu instid0(VALU_DEP_1) | instskip(SKIP_1) | instid1(VALU_DEP_2)
	v_div_scale_f32 v40, null, v41, v41, 1.0
	v_div_scale_f32 v51, vcc_lo, 1.0, v41, 1.0
	v_rcp_f32_e32 v49, v40
	v_nop
	s_delay_alu instid0(TRANS32_DEP_1) | instskip(NEXT) | instid1(VALU_DEP_1)
	v_fma_f32 v50, -v40, v49, 1.0
	v_fmac_f32_e32 v49, v50, v49
	s_delay_alu instid0(VALU_DEP_1) | instskip(NEXT) | instid1(VALU_DEP_1)
	v_mul_f32_e32 v50, v51, v49
	v_fma_f32 v52, -v40, v50, v51
	s_delay_alu instid0(VALU_DEP_1) | instskip(NEXT) | instid1(VALU_DEP_1)
	v_fmac_f32_e32 v50, v52, v49
	v_fma_f32 v40, -v40, v50, v51
	s_delay_alu instid0(VALU_DEP_1) | instskip(NEXT) | instid1(VALU_DEP_1)
	v_div_fmas_f32 v40, v40, v49, v50
	v_div_fixup_f32 v41, v40, v41, 1.0
	s_delay_alu instid0(VALU_DEP_1)
	v_mul_f32_e32 v40, v43, v41
	v_xor_b32_e32 v41, 0x80000000, v41
.LBB32_280:
	s_and_not1_saveexec_b32 s1, s1
	s_cbranch_execz .LBB32_282
; %bb.281:
	s_delay_alu instid0(VALU_DEP_1) | instskip(SKIP_1) | instid1(VALU_DEP_2)
	v_div_scale_f32 v43, null, v40, v40, v41
	v_div_scale_f32 v51, vcc_lo, v41, v40, v41
	v_rcp_f32_e32 v49, v43
	v_nop
	s_delay_alu instid0(TRANS32_DEP_1) | instskip(NEXT) | instid1(VALU_DEP_1)
	v_fma_f32 v50, -v43, v49, 1.0
	v_fmac_f32_e32 v49, v50, v49
	s_delay_alu instid0(VALU_DEP_1) | instskip(NEXT) | instid1(VALU_DEP_1)
	v_mul_f32_e32 v50, v51, v49
	v_fma_f32 v52, -v43, v50, v51
	s_delay_alu instid0(VALU_DEP_1) | instskip(NEXT) | instid1(VALU_DEP_1)
	v_fmac_f32_e32 v50, v52, v49
	v_fma_f32 v43, -v43, v50, v51
	s_delay_alu instid0(VALU_DEP_1) | instskip(NEXT) | instid1(VALU_DEP_1)
	v_div_fmas_f32 v43, v43, v49, v50
	v_div_fixup_f32 v43, v43, v40, v41
	s_delay_alu instid0(VALU_DEP_1) | instskip(NEXT) | instid1(VALU_DEP_1)
	v_fmac_f32_e32 v40, v41, v43
	v_div_scale_f32 v41, null, v40, v40, 1.0
	s_delay_alu instid0(VALU_DEP_1) | instskip(SKIP_1) | instid1(TRANS32_DEP_1)
	v_rcp_f32_e32 v49, v41
	v_nop
	v_fma_f32 v50, -v41, v49, 1.0
	s_delay_alu instid0(VALU_DEP_1) | instskip(SKIP_1) | instid1(VALU_DEP_1)
	v_fmac_f32_e32 v49, v50, v49
	v_div_scale_f32 v50, vcc_lo, 1.0, v40, 1.0
	v_mul_f32_e32 v51, v50, v49
	s_delay_alu instid0(VALU_DEP_1) | instskip(NEXT) | instid1(VALU_DEP_1)
	v_fma_f32 v52, -v41, v51, v50
	v_fmac_f32_e32 v51, v52, v49
	s_delay_alu instid0(VALU_DEP_1) | instskip(NEXT) | instid1(VALU_DEP_1)
	v_fma_f32 v41, -v41, v51, v50
	v_div_fmas_f32 v41, v41, v49, v51
	s_delay_alu instid0(VALU_DEP_1) | instskip(NEXT) | instid1(VALU_DEP_1)
	v_div_fixup_f32 v40, v41, v40, 1.0
	v_mul_f32_e64 v41, v43, -v40
.LBB32_282:
	s_or_b32 exec_lo, exec_lo, s1
.LBB32_283:
	s_delay_alu instid0(SALU_CYCLE_1) | instskip(NEXT) | instid1(SALU_CYCLE_1)
	s_or_b32 exec_lo, exec_lo, s0
	s_mov_b32 s0, exec_lo
	v_cmpx_ne_u32_e64 v48, v42
	s_xor_b32 s0, exec_lo, s0
	s_cbranch_execz .LBB32_289
; %bb.284:
	s_mov_b32 s1, exec_lo
	v_cmpx_eq_u32_e32 13, v48
	s_cbranch_execz .LBB32_288
; %bb.285:
	v_cmp_ne_u32_e32 vcc_lo, 13, v42
	s_xor_b32 s15, s12, -1
	s_delay_alu instid0(SALU_CYCLE_1) | instskip(NEXT) | instid1(SALU_CYCLE_1)
	s_and_b32 s16, s15, vcc_lo
	s_and_saveexec_b32 s15, s16
	s_cbranch_execz .LBB32_287
; %bb.286:
	v_ashrrev_i32_e32 v43, 31, v42
	s_delay_alu instid0(VALU_DEP_1)
	v_lshl_add_u64 v[48:49], v[42:43], 2, v[28:29]
	s_clause 0x1
	global_load_b32 v43, v[48:49], off
	global_load_b32 v46, v[28:29], off offset:52
	s_wait_loadcnt 0x1
	global_store_b32 v[28:29], v43, off offset:52
	s_wait_loadcnt 0x0
	global_store_b32 v[48:49], v46, off
.LBB32_287:
	s_wait_xcnt 0x0
	s_or_b32 exec_lo, exec_lo, s15
	v_dual_mov_b32 v48, v42 :: v_dual_mov_b32 v46, v42
.LBB32_288:
	s_or_b32 exec_lo, exec_lo, s1
.LBB32_289:
	s_and_not1_saveexec_b32 s0, s0
	s_cbranch_execz .LBB32_291
; %bb.290:
	v_dual_mov_b32 v42, v24 :: v_dual_mov_b32 v43, v25
	v_dual_mov_b32 v50, v22 :: v_dual_mov_b32 v51, v23
	v_mov_b32_e32 v48, 13
	ds_store_2addr_b64 v44, v[42:43], v[50:51] offset0:14 offset1:15
	ds_store_b64 v44, v[38:39] offset:128
.LBB32_291:
	s_or_b32 exec_lo, exec_lo, s0
	s_delay_alu instid0(SALU_CYCLE_1)
	s_mov_b32 s0, exec_lo
	s_wait_storecnt_dscnt 0x0
	s_barrier_signal -1
	s_barrier_wait -1
	v_cmpx_lt_i32_e32 13, v48
	s_cbranch_execz .LBB32_293
; %bb.292:
	ds_load_2addr_b64 v[50:53], v44 offset0:14 offset1:15
	ds_load_b64 v[42:43], v44 offset:128
	v_pk_mul_f32 v[54:55], v[40:41], v[26:27] op_sel:[1,1] op_sel_hi:[0,1]
	s_delay_alu instid0(VALU_DEP_1) | instskip(SKIP_2) | instid1(VALU_DEP_2)
	v_pk_fma_f32 v[56:57], v[40:41], v[26:27], v[54:55] op_sel_hi:[1,0,1]
	v_pk_fma_f32 v[26:27], v[40:41], v[26:27], v[54:55] op_sel_hi:[1,0,1] neg_lo:[0,0,1] neg_hi:[0,0,1]
	s_wait_dscnt 0x1
	v_pk_mul_f32 v[40:41], v[50:51], v[56:57] op_sel:[0,1]
	v_pk_mul_f32 v[54:55], v[52:53], v[56:57] op_sel:[0,1]
	s_wait_dscnt 0x0
	v_pk_mul_f32 v[58:59], v[42:43], v[56:57] op_sel:[1,1] op_sel_hi:[0,1]
	s_delay_alu instid0(VALU_DEP_3) | instskip(SKIP_2) | instid1(VALU_DEP_4)
	v_pk_fma_f32 v[60:61], v[50:51], v[26:27], v[40:41] op_sel:[0,0,1] op_sel_hi:[1,1,0] neg_lo:[0,0,1] neg_hi:[0,0,1]
	v_pk_fma_f32 v[40:41], v[50:51], v[26:27], v[40:41] op_sel:[0,0,1] op_sel_hi:[1,0,0]
	v_pk_fma_f32 v[50:51], v[52:53], v[26:27], v[54:55] op_sel:[0,0,1] op_sel_hi:[1,0,0]
	v_pk_fma_f32 v[62:63], v[42:43], v[26:27], v[58:59] op_sel_hi:[1,0,1]
	v_pk_fma_f32 v[52:53], v[52:53], v[26:27], v[54:55] op_sel:[0,0,1] op_sel_hi:[1,1,0] neg_lo:[0,0,1] neg_hi:[0,0,1]
	v_pk_fma_f32 v[42:43], v[42:43], v[26:27], v[58:59] neg_lo:[0,0,1] neg_hi:[0,0,1]
	s_delay_alu instid0(VALU_DEP_4) | instskip(NEXT) | instid1(VALU_DEP_4)
	v_dual_mov_b32 v61, v41 :: v_dual_mov_b32 v53, v51
	v_dual_mov_b32 v43, v63 :: v_dual_mov_b32 v27, v57
	s_delay_alu instid0(VALU_DEP_2) | instskip(NEXT) | instid1(VALU_DEP_3)
	v_pk_add_f32 v[24:25], v[24:25], v[60:61] neg_lo:[0,1] neg_hi:[0,1]
	v_pk_add_f32 v[22:23], v[22:23], v[52:53] neg_lo:[0,1] neg_hi:[0,1]
	s_delay_alu instid0(VALU_DEP_3)
	v_pk_add_f32 v[38:39], v[38:39], v[42:43] neg_lo:[0,1] neg_hi:[0,1]
.LBB32_293:
	s_or_b32 exec_lo, exec_lo, s0
	v_lshl_add_u32 v40, v48, 3, v44
	s_barrier_signal -1
	s_barrier_wait -1
	ds_store_b64 v40, v[24:25]
	s_wait_dscnt 0x0
	s_barrier_signal -1
	s_barrier_wait -1
	ds_load_b64 v[40:41], v44 offset:112
	v_mov_b32_e32 v42, 14
	s_cmp_lt_i32 s14, 16
	s_cbranch_scc1 .LBB32_296
; %bb.294:
	v_add3_u32 v43, v45, 0, 0x78
	v_mov_b32_e32 v42, 14
	s_mov_b32 s0, 15
.LBB32_295:                             ; =>This Inner Loop Header: Depth=1
	ds_load_b64 v[50:51], v43
	s_wait_dscnt 0x1
	v_cmp_gt_f32_e32 vcc_lo, 0, v40
	v_cndmask_b32_e64 v52, v40, -v40, vcc_lo
	v_cmp_gt_f32_e32 vcc_lo, 0, v41
	v_cndmask_b32_e64 v54, v41, -v41, vcc_lo
	s_wait_dscnt 0x0
	v_cmp_gt_f32_e32 vcc_lo, 0, v50
	v_cndmask_b32_e64 v53, v50, -v50, vcc_lo
	v_cmp_gt_f32_e32 vcc_lo, 0, v51
	v_cndmask_b32_e64 v55, v51, -v51, vcc_lo
	s_delay_alu instid0(VALU_DEP_1) | instskip(NEXT) | instid1(VALU_DEP_1)
	v_pk_add_f32 v[52:53], v[52:53], v[54:55]
	v_cmp_lt_f32_e32 vcc_lo, v52, v53
	v_dual_cndmask_b32 v40, v40, v50 :: v_dual_add_nc_u32 v43, 8, v43
	v_cndmask_b32_e32 v41, v41, v51, vcc_lo
	v_cndmask_b32_e64 v42, v42, s0, vcc_lo
	s_add_co_i32 s0, s0, 1
	s_delay_alu instid0(SALU_CYCLE_1)
	s_cmp_lg_u32 s14, s0
	s_cbranch_scc1 .LBB32_295
.LBB32_296:
	s_wait_dscnt 0x0
	v_cmp_eq_f32_e32 vcc_lo, 0, v40
	v_cmp_eq_f32_e64 s0, 0, v41
	s_and_b32 s0, vcc_lo, s0
	s_delay_alu instid0(SALU_CYCLE_1) | instskip(NEXT) | instid1(SALU_CYCLE_1)
	s_and_saveexec_b32 s1, s0
	s_xor_b32 s0, exec_lo, s1
; %bb.297:
	v_cmp_ne_u32_e32 vcc_lo, 0, v47
	v_cndmask_b32_e32 v47, 15, v47, vcc_lo
; %bb.298:
	s_and_not1_saveexec_b32 s0, s0
	s_cbranch_execz .LBB32_304
; %bb.299:
	v_cmp_ngt_f32_e64 s1, |v40|, |v41|
	s_and_saveexec_b32 s15, s1
	s_delay_alu instid0(SALU_CYCLE_1)
	s_xor_b32 s1, exec_lo, s15
	s_cbranch_execz .LBB32_301
; %bb.300:
	v_div_scale_f32 v43, null, v41, v41, v40
	v_div_scale_f32 v51, vcc_lo, v40, v41, v40
	s_delay_alu instid0(VALU_DEP_2) | instskip(SKIP_1) | instid1(TRANS32_DEP_1)
	v_rcp_f32_e32 v49, v43
	v_nop
	v_fma_f32 v50, -v43, v49, 1.0
	s_delay_alu instid0(VALU_DEP_1) | instskip(NEXT) | instid1(VALU_DEP_1)
	v_fmac_f32_e32 v49, v50, v49
	v_mul_f32_e32 v50, v51, v49
	s_delay_alu instid0(VALU_DEP_1) | instskip(NEXT) | instid1(VALU_DEP_1)
	v_fma_f32 v52, -v43, v50, v51
	v_fmac_f32_e32 v50, v52, v49
	s_delay_alu instid0(VALU_DEP_1) | instskip(NEXT) | instid1(VALU_DEP_1)
	v_fma_f32 v43, -v43, v50, v51
	v_div_fmas_f32 v43, v43, v49, v50
	s_delay_alu instid0(VALU_DEP_1) | instskip(NEXT) | instid1(VALU_DEP_1)
	v_div_fixup_f32 v43, v43, v41, v40
	v_fmac_f32_e32 v41, v40, v43
	s_delay_alu instid0(VALU_DEP_1) | instskip(SKIP_1) | instid1(VALU_DEP_2)
	v_div_scale_f32 v40, null, v41, v41, 1.0
	v_div_scale_f32 v51, vcc_lo, 1.0, v41, 1.0
	v_rcp_f32_e32 v49, v40
	v_nop
	s_delay_alu instid0(TRANS32_DEP_1) | instskip(NEXT) | instid1(VALU_DEP_1)
	v_fma_f32 v50, -v40, v49, 1.0
	v_fmac_f32_e32 v49, v50, v49
	s_delay_alu instid0(VALU_DEP_1) | instskip(NEXT) | instid1(VALU_DEP_1)
	v_mul_f32_e32 v50, v51, v49
	v_fma_f32 v52, -v40, v50, v51
	s_delay_alu instid0(VALU_DEP_1) | instskip(NEXT) | instid1(VALU_DEP_1)
	v_fmac_f32_e32 v50, v52, v49
	v_fma_f32 v40, -v40, v50, v51
	s_delay_alu instid0(VALU_DEP_1) | instskip(NEXT) | instid1(VALU_DEP_1)
	v_div_fmas_f32 v40, v40, v49, v50
	v_div_fixup_f32 v41, v40, v41, 1.0
	s_delay_alu instid0(VALU_DEP_1)
	v_mul_f32_e32 v40, v43, v41
	v_xor_b32_e32 v41, 0x80000000, v41
.LBB32_301:
	s_and_not1_saveexec_b32 s1, s1
	s_cbranch_execz .LBB32_303
; %bb.302:
	s_delay_alu instid0(VALU_DEP_1) | instskip(SKIP_1) | instid1(VALU_DEP_2)
	v_div_scale_f32 v43, null, v40, v40, v41
	v_div_scale_f32 v51, vcc_lo, v41, v40, v41
	v_rcp_f32_e32 v49, v43
	v_nop
	s_delay_alu instid0(TRANS32_DEP_1) | instskip(NEXT) | instid1(VALU_DEP_1)
	v_fma_f32 v50, -v43, v49, 1.0
	v_fmac_f32_e32 v49, v50, v49
	s_delay_alu instid0(VALU_DEP_1) | instskip(NEXT) | instid1(VALU_DEP_1)
	v_mul_f32_e32 v50, v51, v49
	v_fma_f32 v52, -v43, v50, v51
	s_delay_alu instid0(VALU_DEP_1) | instskip(NEXT) | instid1(VALU_DEP_1)
	v_fmac_f32_e32 v50, v52, v49
	v_fma_f32 v43, -v43, v50, v51
	s_delay_alu instid0(VALU_DEP_1) | instskip(NEXT) | instid1(VALU_DEP_1)
	v_div_fmas_f32 v43, v43, v49, v50
	v_div_fixup_f32 v43, v43, v40, v41
	s_delay_alu instid0(VALU_DEP_1) | instskip(NEXT) | instid1(VALU_DEP_1)
	v_fmac_f32_e32 v40, v41, v43
	v_div_scale_f32 v41, null, v40, v40, 1.0
	s_delay_alu instid0(VALU_DEP_1) | instskip(SKIP_1) | instid1(TRANS32_DEP_1)
	v_rcp_f32_e32 v49, v41
	v_nop
	v_fma_f32 v50, -v41, v49, 1.0
	s_delay_alu instid0(VALU_DEP_1) | instskip(SKIP_1) | instid1(VALU_DEP_1)
	v_fmac_f32_e32 v49, v50, v49
	v_div_scale_f32 v50, vcc_lo, 1.0, v40, 1.0
	v_mul_f32_e32 v51, v50, v49
	s_delay_alu instid0(VALU_DEP_1) | instskip(NEXT) | instid1(VALU_DEP_1)
	v_fma_f32 v52, -v41, v51, v50
	v_fmac_f32_e32 v51, v52, v49
	s_delay_alu instid0(VALU_DEP_1) | instskip(NEXT) | instid1(VALU_DEP_1)
	v_fma_f32 v41, -v41, v51, v50
	v_div_fmas_f32 v41, v41, v49, v51
	s_delay_alu instid0(VALU_DEP_1) | instskip(NEXT) | instid1(VALU_DEP_1)
	v_div_fixup_f32 v40, v41, v40, 1.0
	v_mul_f32_e64 v41, v43, -v40
.LBB32_303:
	s_or_b32 exec_lo, exec_lo, s1
.LBB32_304:
	s_delay_alu instid0(SALU_CYCLE_1) | instskip(NEXT) | instid1(SALU_CYCLE_1)
	s_or_b32 exec_lo, exec_lo, s0
	s_mov_b32 s0, exec_lo
	v_cmpx_ne_u32_e64 v48, v42
	s_xor_b32 s0, exec_lo, s0
	s_cbranch_execz .LBB32_310
; %bb.305:
	s_mov_b32 s1, exec_lo
	v_cmpx_eq_u32_e32 14, v48
	s_cbranch_execz .LBB32_309
; %bb.306:
	v_cmp_ne_u32_e32 vcc_lo, 14, v42
	s_xor_b32 s15, s12, -1
	s_delay_alu instid0(SALU_CYCLE_1) | instskip(NEXT) | instid1(SALU_CYCLE_1)
	s_and_b32 s16, s15, vcc_lo
	s_and_saveexec_b32 s15, s16
	s_cbranch_execz .LBB32_308
; %bb.307:
	v_ashrrev_i32_e32 v43, 31, v42
	s_delay_alu instid0(VALU_DEP_1)
	v_lshl_add_u64 v[48:49], v[42:43], 2, v[28:29]
	s_clause 0x1
	global_load_b32 v43, v[48:49], off
	global_load_b32 v46, v[28:29], off offset:56
	s_wait_loadcnt 0x1
	global_store_b32 v[28:29], v43, off offset:56
	s_wait_loadcnt 0x0
	global_store_b32 v[48:49], v46, off
.LBB32_308:
	s_wait_xcnt 0x0
	s_or_b32 exec_lo, exec_lo, s15
	v_dual_mov_b32 v48, v42 :: v_dual_mov_b32 v46, v42
.LBB32_309:
	s_or_b32 exec_lo, exec_lo, s1
.LBB32_310:
	s_and_not1_saveexec_b32 s0, s0
; %bb.311:
	v_mov_b32_e32 v48, 14
	ds_store_2addr_b64 v44, v[22:23], v[38:39] offset0:15 offset1:16
; %bb.312:
	s_or_b32 exec_lo, exec_lo, s0
	s_delay_alu instid0(SALU_CYCLE_1)
	s_mov_b32 s0, exec_lo
	s_wait_storecnt_dscnt 0x0
	s_barrier_signal -1
	s_barrier_wait -1
	v_cmpx_lt_i32_e32 14, v48
	s_cbranch_execz .LBB32_314
; %bb.313:
	ds_load_2addr_b64 v[50:53], v44 offset0:15 offset1:16
	v_pk_mul_f32 v[42:43], v[40:41], v[24:25] op_sel:[1,1] op_sel_hi:[0,1]
	s_delay_alu instid0(VALU_DEP_1) | instskip(SKIP_3) | instid1(VALU_DEP_3)
	v_pk_fma_f32 v[54:55], v[40:41], v[24:25], v[42:43] op_sel_hi:[1,0,1]
	v_pk_fma_f32 v[24:25], v[40:41], v[24:25], v[42:43] op_sel_hi:[1,0,1] neg_lo:[0,0,1] neg_hi:[0,0,1]
	s_wait_dscnt 0x0
	v_dual_mov_b32 v56, v53 :: v_dual_mov_b32 v57, v52
	v_pk_mul_f32 v[40:41], v[50:51], v[54:55] op_sel:[0,1]
	s_delay_alu instid0(VALU_DEP_2) | instskip(NEXT) | instid1(VALU_DEP_2)
	v_pk_mul_f32 v[42:43], v[56:57], v[54:55] op_sel:[0,1]
	v_pk_fma_f32 v[56:57], v[50:51], v[24:25], v[40:41] op_sel:[0,0,1] op_sel_hi:[1,0,0]
	v_pk_fma_f32 v[40:41], v[50:51], v[24:25], v[40:41] op_sel:[0,0,1] op_sel_hi:[1,1,0] neg_lo:[0,0,1] neg_hi:[0,0,1]
	s_delay_alu instid0(VALU_DEP_3) | instskip(SKIP_1) | instid1(VALU_DEP_4)
	v_pk_fma_f32 v[58:59], v[52:53], v[24:25], v[42:43] op_sel_hi:[1,0,1]
	v_pk_fma_f32 v[42:43], v[52:53], v[24:25], v[42:43] neg_lo:[0,0,1] neg_hi:[0,0,1]
	v_dual_mov_b32 v41, v57 :: v_dual_mov_b32 v25, v55
	s_delay_alu instid0(VALU_DEP_3) | instskip(NEXT) | instid1(VALU_DEP_2)
	v_mov_b32_e32 v43, v59
	v_pk_add_f32 v[22:23], v[22:23], v[40:41] neg_lo:[0,1] neg_hi:[0,1]
	s_delay_alu instid0(VALU_DEP_2)
	v_pk_add_f32 v[38:39], v[38:39], v[42:43] neg_lo:[0,1] neg_hi:[0,1]
.LBB32_314:
	s_or_b32 exec_lo, exec_lo, s0
	v_lshl_add_u32 v40, v48, 3, v44
	s_barrier_signal -1
	s_barrier_wait -1
	ds_store_b64 v40, v[22:23]
	s_wait_dscnt 0x0
	s_barrier_signal -1
	s_barrier_wait -1
	ds_load_b64 v[40:41], v44 offset:120
	v_mov_b32_e32 v42, 15
	s_cmp_lt_i32 s14, 17
	s_cbranch_scc1 .LBB32_317
; %bb.315:
	v_add3_u32 v43, v45, 0, 0x80
	v_mov_b32_e32 v42, 15
	s_mov_b32 s0, 16
.LBB32_316:                             ; =>This Inner Loop Header: Depth=1
	ds_load_b64 v[50:51], v43
	s_wait_dscnt 0x1
	v_cmp_gt_f32_e32 vcc_lo, 0, v40
	v_cndmask_b32_e64 v52, v40, -v40, vcc_lo
	v_cmp_gt_f32_e32 vcc_lo, 0, v41
	v_cndmask_b32_e64 v54, v41, -v41, vcc_lo
	s_wait_dscnt 0x0
	v_cmp_gt_f32_e32 vcc_lo, 0, v50
	v_cndmask_b32_e64 v53, v50, -v50, vcc_lo
	v_cmp_gt_f32_e32 vcc_lo, 0, v51
	v_cndmask_b32_e64 v55, v51, -v51, vcc_lo
	s_delay_alu instid0(VALU_DEP_1) | instskip(NEXT) | instid1(VALU_DEP_1)
	v_pk_add_f32 v[52:53], v[52:53], v[54:55]
	v_cmp_lt_f32_e32 vcc_lo, v52, v53
	v_dual_cndmask_b32 v40, v40, v50 :: v_dual_add_nc_u32 v43, 8, v43
	v_cndmask_b32_e32 v41, v41, v51, vcc_lo
	v_cndmask_b32_e64 v42, v42, s0, vcc_lo
	s_add_co_i32 s0, s0, 1
	s_delay_alu instid0(SALU_CYCLE_1)
	s_cmp_lg_u32 s14, s0
	s_cbranch_scc1 .LBB32_316
.LBB32_317:
	s_wait_dscnt 0x0
	v_cmp_eq_f32_e32 vcc_lo, 0, v40
	v_cmp_eq_f32_e64 s0, 0, v41
	s_and_b32 s0, vcc_lo, s0
	s_delay_alu instid0(SALU_CYCLE_1) | instskip(NEXT) | instid1(SALU_CYCLE_1)
	s_and_saveexec_b32 s1, s0
	s_xor_b32 s0, exec_lo, s1
; %bb.318:
	v_cmp_ne_u32_e32 vcc_lo, 0, v47
	v_cndmask_b32_e32 v47, 16, v47, vcc_lo
; %bb.319:
	s_and_not1_saveexec_b32 s0, s0
	s_cbranch_execz .LBB32_325
; %bb.320:
	v_cmp_ngt_f32_e64 s1, |v40|, |v41|
	s_and_saveexec_b32 s15, s1
	s_delay_alu instid0(SALU_CYCLE_1)
	s_xor_b32 s1, exec_lo, s15
	s_cbranch_execz .LBB32_322
; %bb.321:
	v_div_scale_f32 v43, null, v41, v41, v40
	v_div_scale_f32 v51, vcc_lo, v40, v41, v40
	s_delay_alu instid0(VALU_DEP_2) | instskip(SKIP_1) | instid1(TRANS32_DEP_1)
	v_rcp_f32_e32 v49, v43
	v_nop
	v_fma_f32 v50, -v43, v49, 1.0
	s_delay_alu instid0(VALU_DEP_1) | instskip(NEXT) | instid1(VALU_DEP_1)
	v_fmac_f32_e32 v49, v50, v49
	v_mul_f32_e32 v50, v51, v49
	s_delay_alu instid0(VALU_DEP_1) | instskip(NEXT) | instid1(VALU_DEP_1)
	v_fma_f32 v52, -v43, v50, v51
	v_fmac_f32_e32 v50, v52, v49
	s_delay_alu instid0(VALU_DEP_1) | instskip(NEXT) | instid1(VALU_DEP_1)
	v_fma_f32 v43, -v43, v50, v51
	v_div_fmas_f32 v43, v43, v49, v50
	s_delay_alu instid0(VALU_DEP_1) | instskip(NEXT) | instid1(VALU_DEP_1)
	v_div_fixup_f32 v43, v43, v41, v40
	v_fmac_f32_e32 v41, v40, v43
	s_delay_alu instid0(VALU_DEP_1) | instskip(SKIP_1) | instid1(VALU_DEP_2)
	v_div_scale_f32 v40, null, v41, v41, 1.0
	v_div_scale_f32 v51, vcc_lo, 1.0, v41, 1.0
	v_rcp_f32_e32 v49, v40
	v_nop
	s_delay_alu instid0(TRANS32_DEP_1) | instskip(NEXT) | instid1(VALU_DEP_1)
	v_fma_f32 v50, -v40, v49, 1.0
	v_fmac_f32_e32 v49, v50, v49
	s_delay_alu instid0(VALU_DEP_1) | instskip(NEXT) | instid1(VALU_DEP_1)
	v_mul_f32_e32 v50, v51, v49
	v_fma_f32 v52, -v40, v50, v51
	s_delay_alu instid0(VALU_DEP_1) | instskip(NEXT) | instid1(VALU_DEP_1)
	v_fmac_f32_e32 v50, v52, v49
	v_fma_f32 v40, -v40, v50, v51
	s_delay_alu instid0(VALU_DEP_1) | instskip(NEXT) | instid1(VALU_DEP_1)
	v_div_fmas_f32 v40, v40, v49, v50
	v_div_fixup_f32 v41, v40, v41, 1.0
	s_delay_alu instid0(VALU_DEP_1)
	v_mul_f32_e32 v40, v43, v41
	v_xor_b32_e32 v41, 0x80000000, v41
.LBB32_322:
	s_and_not1_saveexec_b32 s1, s1
	s_cbranch_execz .LBB32_324
; %bb.323:
	s_delay_alu instid0(VALU_DEP_1) | instskip(SKIP_1) | instid1(VALU_DEP_2)
	v_div_scale_f32 v43, null, v40, v40, v41
	v_div_scale_f32 v51, vcc_lo, v41, v40, v41
	v_rcp_f32_e32 v49, v43
	v_nop
	s_delay_alu instid0(TRANS32_DEP_1) | instskip(NEXT) | instid1(VALU_DEP_1)
	v_fma_f32 v50, -v43, v49, 1.0
	v_fmac_f32_e32 v49, v50, v49
	s_delay_alu instid0(VALU_DEP_1) | instskip(NEXT) | instid1(VALU_DEP_1)
	v_mul_f32_e32 v50, v51, v49
	v_fma_f32 v52, -v43, v50, v51
	s_delay_alu instid0(VALU_DEP_1) | instskip(NEXT) | instid1(VALU_DEP_1)
	v_fmac_f32_e32 v50, v52, v49
	v_fma_f32 v43, -v43, v50, v51
	s_delay_alu instid0(VALU_DEP_1) | instskip(NEXT) | instid1(VALU_DEP_1)
	v_div_fmas_f32 v43, v43, v49, v50
	v_div_fixup_f32 v43, v43, v40, v41
	s_delay_alu instid0(VALU_DEP_1) | instskip(NEXT) | instid1(VALU_DEP_1)
	v_fmac_f32_e32 v40, v41, v43
	v_div_scale_f32 v41, null, v40, v40, 1.0
	s_delay_alu instid0(VALU_DEP_1) | instskip(SKIP_1) | instid1(TRANS32_DEP_1)
	v_rcp_f32_e32 v49, v41
	v_nop
	v_fma_f32 v50, -v41, v49, 1.0
	s_delay_alu instid0(VALU_DEP_1) | instskip(SKIP_1) | instid1(VALU_DEP_1)
	v_fmac_f32_e32 v49, v50, v49
	v_div_scale_f32 v50, vcc_lo, 1.0, v40, 1.0
	v_mul_f32_e32 v51, v50, v49
	s_delay_alu instid0(VALU_DEP_1) | instskip(NEXT) | instid1(VALU_DEP_1)
	v_fma_f32 v52, -v41, v51, v50
	v_fmac_f32_e32 v51, v52, v49
	s_delay_alu instid0(VALU_DEP_1) | instskip(NEXT) | instid1(VALU_DEP_1)
	v_fma_f32 v41, -v41, v51, v50
	v_div_fmas_f32 v41, v41, v49, v51
	s_delay_alu instid0(VALU_DEP_1) | instskip(NEXT) | instid1(VALU_DEP_1)
	v_div_fixup_f32 v40, v41, v40, 1.0
	v_mul_f32_e64 v41, v43, -v40
.LBB32_324:
	s_or_b32 exec_lo, exec_lo, s1
.LBB32_325:
	s_delay_alu instid0(SALU_CYCLE_1) | instskip(NEXT) | instid1(SALU_CYCLE_1)
	s_or_b32 exec_lo, exec_lo, s0
	s_mov_b32 s0, exec_lo
	v_cmpx_ne_u32_e64 v48, v42
	s_xor_b32 s0, exec_lo, s0
	s_cbranch_execz .LBB32_331
; %bb.326:
	s_mov_b32 s1, exec_lo
	v_cmpx_eq_u32_e32 15, v48
	s_cbranch_execz .LBB32_330
; %bb.327:
	v_cmp_ne_u32_e32 vcc_lo, 15, v42
	s_xor_b32 s15, s12, -1
	s_delay_alu instid0(SALU_CYCLE_1) | instskip(NEXT) | instid1(SALU_CYCLE_1)
	s_and_b32 s16, s15, vcc_lo
	s_and_saveexec_b32 s15, s16
	s_cbranch_execz .LBB32_329
; %bb.328:
	v_ashrrev_i32_e32 v43, 31, v42
	s_delay_alu instid0(VALU_DEP_1)
	v_lshl_add_u64 v[48:49], v[42:43], 2, v[28:29]
	s_clause 0x1
	global_load_b32 v43, v[48:49], off
	global_load_b32 v46, v[28:29], off offset:60
	s_wait_loadcnt 0x1
	global_store_b32 v[28:29], v43, off offset:60
	s_wait_loadcnt 0x0
	global_store_b32 v[48:49], v46, off
.LBB32_329:
	s_wait_xcnt 0x0
	s_or_b32 exec_lo, exec_lo, s15
	v_dual_mov_b32 v48, v42 :: v_dual_mov_b32 v46, v42
.LBB32_330:
	s_or_b32 exec_lo, exec_lo, s1
.LBB32_331:
	s_and_not1_saveexec_b32 s0, s0
; %bb.332:
	v_mov_b32_e32 v48, 15
	ds_store_b64 v44, v[38:39] offset:128
; %bb.333:
	s_or_b32 exec_lo, exec_lo, s0
	s_delay_alu instid0(SALU_CYCLE_1)
	s_mov_b32 s0, exec_lo
	s_wait_storecnt_dscnt 0x0
	s_barrier_signal -1
	s_barrier_wait -1
	v_cmpx_lt_i32_e32 15, v48
	s_cbranch_execz .LBB32_335
; %bb.334:
	ds_load_b64 v[42:43], v44 offset:128
	v_pk_mul_f32 v[50:51], v[40:41], v[22:23] op_sel:[1,1] op_sel_hi:[0,1]
	s_delay_alu instid0(VALU_DEP_1) | instskip(SKIP_2) | instid1(VALU_DEP_2)
	v_pk_fma_f32 v[52:53], v[40:41], v[22:23], v[50:51] op_sel_hi:[1,0,1]
	v_pk_fma_f32 v[22:23], v[40:41], v[22:23], v[50:51] op_sel_hi:[1,0,1] neg_lo:[0,0,1] neg_hi:[0,0,1]
	s_wait_dscnt 0x0
	v_pk_mul_f32 v[40:41], v[42:43], v[52:53] op_sel:[1,1] op_sel_hi:[0,1]
	s_delay_alu instid0(VALU_DEP_1) | instskip(SKIP_1) | instid1(VALU_DEP_2)
	v_pk_fma_f32 v[50:51], v[42:43], v[22:23], v[40:41] op_sel_hi:[1,0,1]
	v_pk_fma_f32 v[40:41], v[42:43], v[22:23], v[40:41] neg_lo:[0,0,1] neg_hi:[0,0,1]
	v_dual_mov_b32 v23, v53 :: v_dual_mov_b32 v41, v51
	s_delay_alu instid0(VALU_DEP_1)
	v_pk_add_f32 v[38:39], v[38:39], v[40:41] neg_lo:[0,1] neg_hi:[0,1]
.LBB32_335:
	s_or_b32 exec_lo, exec_lo, s0
	v_lshl_add_u32 v40, v48, 3, v44
	s_barrier_signal -1
	s_barrier_wait -1
	ds_store_b64 v40, v[38:39]
	s_wait_dscnt 0x0
	s_barrier_signal -1
	s_barrier_wait -1
	ds_load_b64 v[40:41], v44 offset:128
	v_mov_b32_e32 v42, 16
	s_cmp_lt_i32 s14, 18
	s_cbranch_scc1 .LBB32_338
; %bb.336:
	v_add3_u32 v43, v45, 0, 0x88
	v_mov_b32_e32 v42, 16
	s_mov_b32 s0, 17
.LBB32_337:                             ; =>This Inner Loop Header: Depth=1
	ds_load_b64 v[44:45], v43
	s_wait_dscnt 0x1
	v_cmp_gt_f32_e32 vcc_lo, 0, v40
	v_cndmask_b32_e64 v50, v40, -v40, vcc_lo
	v_cmp_gt_f32_e32 vcc_lo, 0, v41
	v_cndmask_b32_e64 v52, v41, -v41, vcc_lo
	s_wait_dscnt 0x0
	v_cmp_gt_f32_e32 vcc_lo, 0, v44
	v_cndmask_b32_e64 v51, v44, -v44, vcc_lo
	v_cmp_gt_f32_e32 vcc_lo, 0, v45
	v_cndmask_b32_e64 v53, v45, -v45, vcc_lo
	s_delay_alu instid0(VALU_DEP_1) | instskip(NEXT) | instid1(VALU_DEP_1)
	v_pk_add_f32 v[50:51], v[50:51], v[52:53]
	v_cmp_lt_f32_e32 vcc_lo, v50, v51
	v_dual_add_nc_u32 v43, 8, v43 :: v_dual_cndmask_b32 v41, v41, v45, vcc_lo
	v_cndmask_b32_e32 v40, v40, v44, vcc_lo
	v_cndmask_b32_e64 v42, v42, s0, vcc_lo
	s_add_co_i32 s0, s0, 1
	s_delay_alu instid0(SALU_CYCLE_1)
	s_cmp_lg_u32 s14, s0
	s_cbranch_scc1 .LBB32_337
.LBB32_338:
	s_wait_dscnt 0x0
	v_cmp_eq_f32_e32 vcc_lo, 0, v40
	v_cmp_eq_f32_e64 s0, 0, v41
	s_and_b32 s0, vcc_lo, s0
	s_delay_alu instid0(SALU_CYCLE_1) | instskip(NEXT) | instid1(SALU_CYCLE_1)
	s_and_saveexec_b32 s1, s0
	s_xor_b32 s0, exec_lo, s1
; %bb.339:
	v_cmp_ne_u32_e32 vcc_lo, 0, v47
	v_cndmask_b32_e32 v47, 17, v47, vcc_lo
; %bb.340:
	s_and_not1_saveexec_b32 s0, s0
	s_cbranch_execz .LBB32_346
; %bb.341:
	v_cmp_ngt_f32_e64 s1, |v40|, |v41|
	s_and_saveexec_b32 s14, s1
	s_delay_alu instid0(SALU_CYCLE_1)
	s_xor_b32 s1, exec_lo, s14
	s_cbranch_execz .LBB32_343
; %bb.342:
	v_div_scale_f32 v43, null, v41, v41, v40
	v_div_scale_f32 v49, vcc_lo, v40, v41, v40
	s_delay_alu instid0(VALU_DEP_2) | instskip(SKIP_1) | instid1(TRANS32_DEP_1)
	v_rcp_f32_e32 v44, v43
	v_nop
	v_fma_f32 v45, -v43, v44, 1.0
	s_delay_alu instid0(VALU_DEP_1) | instskip(NEXT) | instid1(VALU_DEP_1)
	v_fmac_f32_e32 v44, v45, v44
	v_mul_f32_e32 v45, v49, v44
	s_delay_alu instid0(VALU_DEP_1) | instskip(NEXT) | instid1(VALU_DEP_1)
	v_fma_f32 v50, -v43, v45, v49
	v_fmac_f32_e32 v45, v50, v44
	s_delay_alu instid0(VALU_DEP_1) | instskip(NEXT) | instid1(VALU_DEP_1)
	v_fma_f32 v43, -v43, v45, v49
	v_div_fmas_f32 v43, v43, v44, v45
	s_delay_alu instid0(VALU_DEP_1) | instskip(NEXT) | instid1(VALU_DEP_1)
	v_div_fixup_f32 v43, v43, v41, v40
	v_fmac_f32_e32 v41, v40, v43
	s_delay_alu instid0(VALU_DEP_1) | instskip(SKIP_1) | instid1(VALU_DEP_2)
	v_div_scale_f32 v40, null, v41, v41, 1.0
	v_div_scale_f32 v49, vcc_lo, 1.0, v41, 1.0
	v_rcp_f32_e32 v44, v40
	v_nop
	s_delay_alu instid0(TRANS32_DEP_1) | instskip(NEXT) | instid1(VALU_DEP_1)
	v_fma_f32 v45, -v40, v44, 1.0
	v_fmac_f32_e32 v44, v45, v44
	s_delay_alu instid0(VALU_DEP_1) | instskip(NEXT) | instid1(VALU_DEP_1)
	v_mul_f32_e32 v45, v49, v44
	v_fma_f32 v50, -v40, v45, v49
	s_delay_alu instid0(VALU_DEP_1) | instskip(NEXT) | instid1(VALU_DEP_1)
	v_fmac_f32_e32 v45, v50, v44
	v_fma_f32 v40, -v40, v45, v49
	s_delay_alu instid0(VALU_DEP_1) | instskip(NEXT) | instid1(VALU_DEP_1)
	v_div_fmas_f32 v40, v40, v44, v45
	v_div_fixup_f32 v41, v40, v41, 1.0
	s_delay_alu instid0(VALU_DEP_1)
	v_mul_f32_e32 v40, v43, v41
	v_xor_b32_e32 v41, 0x80000000, v41
.LBB32_343:
	s_and_not1_saveexec_b32 s1, s1
	s_cbranch_execz .LBB32_345
; %bb.344:
	s_delay_alu instid0(VALU_DEP_1) | instskip(SKIP_1) | instid1(VALU_DEP_2)
	v_div_scale_f32 v43, null, v40, v40, v41
	v_div_scale_f32 v49, vcc_lo, v41, v40, v41
	v_rcp_f32_e32 v44, v43
	v_nop
	s_delay_alu instid0(TRANS32_DEP_1) | instskip(NEXT) | instid1(VALU_DEP_1)
	v_fma_f32 v45, -v43, v44, 1.0
	v_fmac_f32_e32 v44, v45, v44
	s_delay_alu instid0(VALU_DEP_1) | instskip(NEXT) | instid1(VALU_DEP_1)
	v_mul_f32_e32 v45, v49, v44
	v_fma_f32 v50, -v43, v45, v49
	s_delay_alu instid0(VALU_DEP_1) | instskip(NEXT) | instid1(VALU_DEP_1)
	v_fmac_f32_e32 v45, v50, v44
	v_fma_f32 v43, -v43, v45, v49
	s_delay_alu instid0(VALU_DEP_1) | instskip(NEXT) | instid1(VALU_DEP_1)
	v_div_fmas_f32 v43, v43, v44, v45
	v_div_fixup_f32 v43, v43, v40, v41
	s_delay_alu instid0(VALU_DEP_1) | instskip(NEXT) | instid1(VALU_DEP_1)
	v_fmac_f32_e32 v40, v41, v43
	v_div_scale_f32 v41, null, v40, v40, 1.0
	s_delay_alu instid0(VALU_DEP_1) | instskip(SKIP_1) | instid1(TRANS32_DEP_1)
	v_rcp_f32_e32 v44, v41
	v_nop
	v_fma_f32 v45, -v41, v44, 1.0
	s_delay_alu instid0(VALU_DEP_1) | instskip(SKIP_1) | instid1(VALU_DEP_1)
	v_fmac_f32_e32 v44, v45, v44
	v_div_scale_f32 v45, vcc_lo, 1.0, v40, 1.0
	v_mul_f32_e32 v49, v45, v44
	s_delay_alu instid0(VALU_DEP_1) | instskip(NEXT) | instid1(VALU_DEP_1)
	v_fma_f32 v50, -v41, v49, v45
	v_fmac_f32_e32 v49, v50, v44
	s_delay_alu instid0(VALU_DEP_1) | instskip(NEXT) | instid1(VALU_DEP_1)
	v_fma_f32 v41, -v41, v49, v45
	v_div_fmas_f32 v41, v41, v44, v49
	s_delay_alu instid0(VALU_DEP_1) | instskip(NEXT) | instid1(VALU_DEP_1)
	v_div_fixup_f32 v40, v41, v40, 1.0
	v_mul_f32_e64 v41, v43, -v40
.LBB32_345:
	s_or_b32 exec_lo, exec_lo, s1
.LBB32_346:
	s_delay_alu instid0(SALU_CYCLE_1)
	s_or_b32 exec_lo, exec_lo, s0
	v_mov_b32_e32 v44, 16
	s_mov_b32 s0, exec_lo
	v_cmpx_ne_u32_e64 v48, v42
	s_cbranch_execz .LBB32_352
; %bb.347:
	s_mov_b32 s1, exec_lo
	v_cmpx_eq_u32_e32 16, v48
	s_cbranch_execz .LBB32_351
; %bb.348:
	v_cmp_ne_u32_e32 vcc_lo, 16, v42
	s_xor_b32 s12, s12, -1
	s_delay_alu instid0(SALU_CYCLE_1) | instskip(NEXT) | instid1(SALU_CYCLE_1)
	s_and_b32 s14, s12, vcc_lo
	s_and_saveexec_b32 s12, s14
	s_cbranch_execz .LBB32_350
; %bb.349:
	v_ashrrev_i32_e32 v43, 31, v42
	s_delay_alu instid0(VALU_DEP_1)
	v_lshl_add_u64 v[44:45], v[42:43], 2, v[28:29]
	s_clause 0x1
	global_load_b32 v43, v[44:45], off
	global_load_b32 v46, v[28:29], off offset:64
	s_wait_loadcnt 0x1
	global_store_b32 v[28:29], v43, off offset:64
	s_wait_loadcnt 0x0
	global_store_b32 v[44:45], v46, off
.LBB32_350:
	s_wait_xcnt 0x0
	s_or_b32 exec_lo, exec_lo, s12
	v_dual_mov_b32 v48, v42 :: v_dual_mov_b32 v46, v42
.LBB32_351:
	s_or_b32 exec_lo, exec_lo, s1
	s_delay_alu instid0(VALU_DEP_1)
	v_mov_b32_e32 v44, v48
.LBB32_352:
	s_or_b32 exec_lo, exec_lo, s0
	s_delay_alu instid0(VALU_DEP_1)
	v_ashrrev_i32_e32 v45, 31, v44
	s_mov_b32 s0, exec_lo
	s_wait_storecnt 0x0
	s_barrier_signal -1
	s_barrier_wait -1
	s_barrier_signal -1
	s_barrier_wait -1
	v_cmpx_gt_i32_e32 17, v44
	s_cbranch_execz .LBB32_354
; %bb.353:
	v_mul_u64_e32 v[28:29], s[10:11], v[2:3]
	v_add3_u32 v42, v46, s13, 1
	s_delay_alu instid0(VALU_DEP_2) | instskip(NEXT) | instid1(VALU_DEP_1)
	v_lshl_add_u64 v[28:29], v[28:29], 2, s[6:7]
	v_lshl_add_u64 v[28:29], s[8:9], 2, v[28:29]
	s_delay_alu instid0(VALU_DEP_1)
	v_lshl_add_u64 v[28:29], v[44:45], 2, v[28:29]
	global_store_b32 v[28:29], v42, off
.LBB32_354:
	s_wait_xcnt 0x0
	s_or_b32 exec_lo, exec_lo, s0
	s_delay_alu instid0(SALU_CYCLE_1)
	s_mov_b32 s1, exec_lo
	v_cmpx_eq_u32_e32 0, v44
	s_cbranch_execz .LBB32_357
; %bb.355:
	s_wait_kmcnt 0x0
	v_lshl_add_u64 v[2:3], v[2:3], 2, s[4:5]
	v_cmp_ne_u32_e64 s0, 0, v47
	global_load_b32 v28, v[2:3], off
	s_wait_loadcnt 0x0
	v_cmp_eq_u32_e32 vcc_lo, 0, v28
	s_and_b32 s0, vcc_lo, s0
	s_wait_xcnt 0x0
	s_and_b32 exec_lo, exec_lo, s0
	s_cbranch_execz .LBB32_357
; %bb.356:
	v_add_nc_u32_e32 v28, s13, v47
	global_store_b32 v[2:3], v28, off
.LBB32_357:
	s_wait_xcnt 0x0
	s_or_b32 exec_lo, exec_lo, s1
	v_add3_u32 v2, s2, s2, v44
	v_pk_mul_f32 v[48:49], v[40:41], v[38:39] op_sel:[1,1] op_sel_hi:[0,1]
	v_cmp_lt_i32_e32 vcc_lo, 16, v44
	v_lshl_add_u64 v[44:45], v[44:45], 3, v[0:1]
	s_delay_alu instid0(VALU_DEP_3) | instskip(SKIP_2) | instid1(VALU_DEP_2)
	v_pk_fma_f32 v[52:53], v[40:41], v[38:39], v[48:49] op_sel_hi:[1,0,1]
	v_add_nc_u32_e32 v28, s2, v2
	v_pk_fma_f32 v[40:41], v[40:41], v[38:39], v[48:49] neg_lo:[0,0,1] neg_hi:[0,0,1]
	v_dual_cndmask_b32 v39, v39, v53 :: v_dual_add_nc_u32 v42, s2, v28
	v_ashrrev_i32_e32 v29, 31, v28
	s_delay_alu instid0(VALU_DEP_3) | instskip(SKIP_1) | instid1(VALU_DEP_4)
	v_cndmask_b32_e32 v38, v38, v40, vcc_lo
	v_lshl_add_u64 v[40:41], s[2:3], 3, v[44:45]
	v_add_nc_u32_e32 v46, s2, v42
	s_delay_alu instid0(VALU_DEP_4) | instskip(NEXT) | instid1(VALU_DEP_2)
	v_lshl_add_u64 v[28:29], v[28:29], 3, v[0:1]
	v_add_nc_u32_e32 v50, s2, v46
	v_ashrrev_i32_e32 v43, 31, v42
	s_delay_alu instid0(VALU_DEP_2) | instskip(NEXT) | instid1(VALU_DEP_1)
	v_add_nc_u32_e32 v48, s2, v50
	v_dual_ashrrev_i32 v3, 31, v2 :: v_dual_add_nc_u32 v52, s2, v48
	s_delay_alu instid0(VALU_DEP_1)
	v_lshl_add_u64 v[2:3], v[2:3], 3, v[0:1]
	s_clause 0x3
	global_store_b64 v[44:45], v[36:37], off
	global_store_b64 v[40:41], v[32:33], off
	;; [unrolled: 1-line block ×4, first 2 shown]
	v_add_nc_u32_e32 v54, s2, v52
	v_ashrrev_i32_e32 v49, 31, v48
	s_wait_xcnt 0x0
	v_lshl_add_u64 v[30:31], v[42:43], 3, v[0:1]
	s_delay_alu instid0(VALU_DEP_3) | instskip(NEXT) | instid1(VALU_DEP_3)
	v_dual_ashrrev_i32 v53, 31, v52 :: v_dual_add_nc_u32 v2, s2, v54
	v_lshl_add_u64 v[36:37], v[48:49], 3, v[0:1]
	s_delay_alu instid0(VALU_DEP_2) | instskip(SKIP_1) | instid1(VALU_DEP_2)
	v_add_nc_u32_e32 v28, s2, v2
	v_ashrrev_i32_e32 v47, 31, v46
	v_dual_ashrrev_i32 v55, 31, v54 :: v_dual_ashrrev_i32 v29, 31, v28
	v_dual_add_nc_u32 v40, s2, v28 :: v_dual_ashrrev_i32 v51, 31, v50
	s_delay_alu instid0(VALU_DEP_3) | instskip(NEXT) | instid1(VALU_DEP_3)
	v_lshl_add_u64 v[32:33], v[46:47], 3, v[0:1]
	v_lshl_add_u64 v[28:29], v[28:29], 3, v[0:1]
	s_delay_alu instid0(VALU_DEP_3) | instskip(NEXT) | instid1(VALU_DEP_4)
	v_ashrrev_i32_e32 v41, 31, v40
	v_lshl_add_u64 v[34:35], v[50:51], 3, v[0:1]
	s_clause 0x3
	global_store_b64 v[30:31], v[10:11], off
	global_store_b64 v[32:33], v[6:7], off
	global_store_b64 v[34:35], v[8:9], off
	global_store_b64 v[36:37], v[4:5], off
	s_wait_xcnt 0x0
	v_dual_add_nc_u32 v4, s2, v40 :: v_dual_ashrrev_i32 v3, 31, v2
	v_lshl_add_u64 v[8:9], v[52:53], 3, v[0:1]
	v_lshl_add_u64 v[10:11], v[54:55], 3, v[0:1]
	s_delay_alu instid0(VALU_DEP_3) | instskip(NEXT) | instid1(VALU_DEP_4)
	v_add_nc_u32_e32 v6, s2, v4
	v_lshl_add_u64 v[2:3], v[2:3], 3, v[0:1]
	s_clause 0x3
	global_store_b64 v[8:9], v[20:21], off
	global_store_b64 v[10:11], v[16:17], off
	;; [unrolled: 1-line block ×4, first 2 shown]
	v_dual_add_nc_u32 v30, s2, v6 :: v_dual_ashrrev_i32 v5, 31, v4
	v_ashrrev_i32_e32 v7, 31, v6
	s_wait_xcnt 0x3
	v_lshl_add_u64 v[8:9], v[40:41], 3, v[0:1]
	s_wait_xcnt 0x1
	v_dual_add_nc_u32 v2, s2, v30 :: v_dual_ashrrev_i32 v31, 31, v30
	v_lshl_add_u64 v[4:5], v[4:5], 3, v[0:1]
	v_lshl_add_u64 v[6:7], v[6:7], 3, v[0:1]
	s_delay_alu instid0(VALU_DEP_3) | instskip(NEXT) | instid1(VALU_DEP_4)
	v_ashrrev_i32_e32 v3, 31, v2
	v_lshl_add_u64 v[10:11], v[30:31], 3, v[0:1]
	s_delay_alu instid0(VALU_DEP_2)
	v_lshl_add_u64 v[0:1], v[2:3], 3, v[0:1]
	s_clause 0x4
	global_store_b64 v[8:9], v[12:13], off
	global_store_b64 v[4:5], v[26:27], off
	;; [unrolled: 1-line block ×5, first 2 shown]
.LBB32_358:
	s_endpgm
	.section	.rodata,"a",@progbits
	.p2align	6, 0x0
	.amdhsa_kernel _ZN9rocsolver6v33100L18getf2_small_kernelILi17E19rocblas_complex_numIfEiiPS3_EEvT1_T3_lS5_lPS5_llPT2_S5_S5_S7_l
		.amdhsa_group_segment_fixed_size 0
		.amdhsa_private_segment_fixed_size 0
		.amdhsa_kernarg_size 352
		.amdhsa_user_sgpr_count 2
		.amdhsa_user_sgpr_dispatch_ptr 0
		.amdhsa_user_sgpr_queue_ptr 0
		.amdhsa_user_sgpr_kernarg_segment_ptr 1
		.amdhsa_user_sgpr_dispatch_id 0
		.amdhsa_user_sgpr_kernarg_preload_length 0
		.amdhsa_user_sgpr_kernarg_preload_offset 0
		.amdhsa_user_sgpr_private_segment_size 0
		.amdhsa_wavefront_size32 1
		.amdhsa_uses_dynamic_stack 0
		.amdhsa_enable_private_segment 0
		.amdhsa_system_sgpr_workgroup_id_x 1
		.amdhsa_system_sgpr_workgroup_id_y 1
		.amdhsa_system_sgpr_workgroup_id_z 0
		.amdhsa_system_sgpr_workgroup_info 0
		.amdhsa_system_vgpr_workitem_id 1
		.amdhsa_next_free_vgpr 64
		.amdhsa_next_free_sgpr 20
		.amdhsa_named_barrier_count 0
		.amdhsa_reserve_vcc 1
		.amdhsa_float_round_mode_32 0
		.amdhsa_float_round_mode_16_64 0
		.amdhsa_float_denorm_mode_32 3
		.amdhsa_float_denorm_mode_16_64 3
		.amdhsa_fp16_overflow 0
		.amdhsa_memory_ordered 1
		.amdhsa_forward_progress 1
		.amdhsa_inst_pref_size 199
		.amdhsa_round_robin_scheduling 0
		.amdhsa_exception_fp_ieee_invalid_op 0
		.amdhsa_exception_fp_denorm_src 0
		.amdhsa_exception_fp_ieee_div_zero 0
		.amdhsa_exception_fp_ieee_overflow 0
		.amdhsa_exception_fp_ieee_underflow 0
		.amdhsa_exception_fp_ieee_inexact 0
		.amdhsa_exception_int_div_zero 0
	.end_amdhsa_kernel
	.section	.text._ZN9rocsolver6v33100L18getf2_small_kernelILi17E19rocblas_complex_numIfEiiPS3_EEvT1_T3_lS5_lPS5_llPT2_S5_S5_S7_l,"axG",@progbits,_ZN9rocsolver6v33100L18getf2_small_kernelILi17E19rocblas_complex_numIfEiiPS3_EEvT1_T3_lS5_lPS5_llPT2_S5_S5_S7_l,comdat
.Lfunc_end32:
	.size	_ZN9rocsolver6v33100L18getf2_small_kernelILi17E19rocblas_complex_numIfEiiPS3_EEvT1_T3_lS5_lPS5_llPT2_S5_S5_S7_l, .Lfunc_end32-_ZN9rocsolver6v33100L18getf2_small_kernelILi17E19rocblas_complex_numIfEiiPS3_EEvT1_T3_lS5_lPS5_llPT2_S5_S5_S7_l
                                        ; -- End function
	.set _ZN9rocsolver6v33100L18getf2_small_kernelILi17E19rocblas_complex_numIfEiiPS3_EEvT1_T3_lS5_lPS5_llPT2_S5_S5_S7_l.num_vgpr, 64
	.set _ZN9rocsolver6v33100L18getf2_small_kernelILi17E19rocblas_complex_numIfEiiPS3_EEvT1_T3_lS5_lPS5_llPT2_S5_S5_S7_l.num_agpr, 0
	.set _ZN9rocsolver6v33100L18getf2_small_kernelILi17E19rocblas_complex_numIfEiiPS3_EEvT1_T3_lS5_lPS5_llPT2_S5_S5_S7_l.numbered_sgpr, 20
	.set _ZN9rocsolver6v33100L18getf2_small_kernelILi17E19rocblas_complex_numIfEiiPS3_EEvT1_T3_lS5_lPS5_llPT2_S5_S5_S7_l.num_named_barrier, 0
	.set _ZN9rocsolver6v33100L18getf2_small_kernelILi17E19rocblas_complex_numIfEiiPS3_EEvT1_T3_lS5_lPS5_llPT2_S5_S5_S7_l.private_seg_size, 0
	.set _ZN9rocsolver6v33100L18getf2_small_kernelILi17E19rocblas_complex_numIfEiiPS3_EEvT1_T3_lS5_lPS5_llPT2_S5_S5_S7_l.uses_vcc, 1
	.set _ZN9rocsolver6v33100L18getf2_small_kernelILi17E19rocblas_complex_numIfEiiPS3_EEvT1_T3_lS5_lPS5_llPT2_S5_S5_S7_l.uses_flat_scratch, 0
	.set _ZN9rocsolver6v33100L18getf2_small_kernelILi17E19rocblas_complex_numIfEiiPS3_EEvT1_T3_lS5_lPS5_llPT2_S5_S5_S7_l.has_dyn_sized_stack, 0
	.set _ZN9rocsolver6v33100L18getf2_small_kernelILi17E19rocblas_complex_numIfEiiPS3_EEvT1_T3_lS5_lPS5_llPT2_S5_S5_S7_l.has_recursion, 0
	.set _ZN9rocsolver6v33100L18getf2_small_kernelILi17E19rocblas_complex_numIfEiiPS3_EEvT1_T3_lS5_lPS5_llPT2_S5_S5_S7_l.has_indirect_call, 0
	.section	.AMDGPU.csdata,"",@progbits
; Kernel info:
; codeLenInByte = 25392
; TotalNumSgprs: 22
; NumVgprs: 64
; ScratchSize: 0
; MemoryBound: 0
; FloatMode: 240
; IeeeMode: 1
; LDSByteSize: 0 bytes/workgroup (compile time only)
; SGPRBlocks: 0
; VGPRBlocks: 3
; NumSGPRsForWavesPerEU: 22
; NumVGPRsForWavesPerEU: 64
; NamedBarCnt: 0
; Occupancy: 16
; WaveLimiterHint : 0
; COMPUTE_PGM_RSRC2:SCRATCH_EN: 0
; COMPUTE_PGM_RSRC2:USER_SGPR: 2
; COMPUTE_PGM_RSRC2:TRAP_HANDLER: 0
; COMPUTE_PGM_RSRC2:TGID_X_EN: 1
; COMPUTE_PGM_RSRC2:TGID_Y_EN: 1
; COMPUTE_PGM_RSRC2:TGID_Z_EN: 0
; COMPUTE_PGM_RSRC2:TIDIG_COMP_CNT: 1
	.section	.text._ZN9rocsolver6v33100L23getf2_npvt_small_kernelILi17E19rocblas_complex_numIfEiiPS3_EEvT1_T3_lS5_lPT2_S5_S5_,"axG",@progbits,_ZN9rocsolver6v33100L23getf2_npvt_small_kernelILi17E19rocblas_complex_numIfEiiPS3_EEvT1_T3_lS5_lPT2_S5_S5_,comdat
	.globl	_ZN9rocsolver6v33100L23getf2_npvt_small_kernelILi17E19rocblas_complex_numIfEiiPS3_EEvT1_T3_lS5_lPT2_S5_S5_ ; -- Begin function _ZN9rocsolver6v33100L23getf2_npvt_small_kernelILi17E19rocblas_complex_numIfEiiPS3_EEvT1_T3_lS5_lPT2_S5_S5_
	.p2align	8
	.type	_ZN9rocsolver6v33100L23getf2_npvt_small_kernelILi17E19rocblas_complex_numIfEiiPS3_EEvT1_T3_lS5_lPT2_S5_S5_,@function
_ZN9rocsolver6v33100L23getf2_npvt_small_kernelILi17E19rocblas_complex_numIfEiiPS3_EEvT1_T3_lS5_lPT2_S5_S5_: ; @_ZN9rocsolver6v33100L23getf2_npvt_small_kernelILi17E19rocblas_complex_numIfEiiPS3_EEvT1_T3_lS5_lPT2_S5_S5_
; %bb.0:
	s_clause 0x1
	s_load_u16 s14, s[0:1], 0x46
	s_load_b64 s[2:3], s[0:1], 0x30
	s_bfe_u32 s4, ttmp6, 0x40010
	s_bfe_u32 s5, ttmp6, 0x40004
	s_add_co_i32 s4, s4, 1
	s_getreg_b32 s6, hwreg(HW_REG_IB_STS2, 6, 4)
	s_mul_i32 s4, ttmp7, s4
	v_bfe_u32 v70, v0, 10, 10
	s_add_co_i32 s5, s5, s4
	s_cmp_eq_u32 s6, 0
	s_cselect_b32 s4, ttmp7, s5
	s_wait_kmcnt 0x0
	v_mad_u32 v2, s4, s14, v70
	s_delay_alu instid0(VALU_DEP_1)
	v_cmp_gt_i32_e32 vcc_lo, s2, v2
	s_and_saveexec_b32 s2, vcc_lo
	s_cbranch_execz .LBB33_156
; %bb.1:
	s_clause 0x1
	s_load_b32 s12, s[0:1], 0x18
	s_load_b128 s[4:7], s[0:1], 0x20
	v_and_b32_e32 v104, 0x3ff, v0
	s_load_b128 s[8:11], s[0:1], 0x8
	s_mulk_i32 s14, 0x88
	v_mad_u32_u24 v106, 0x88, v70, 0
	v_mov_b32_e32 v15, 0
	s_wait_xcnt 0x0
	v_cmp_ne_u32_e64 s1, 0, v104
	v_cmp_eq_u32_e64 s0, 0, v104
	v_lshlrev_b32_e32 v71, 3, v70
	s_delay_alu instid0(VALU_DEP_1) | instskip(SKIP_4) | instid1(VALU_DEP_2)
	v_add3_u32 v105, 0, s14, v71
	s_wait_kmcnt 0x0
	v_add3_u32 v0, s12, s12, v104
	v_ashrrev_i32_e32 v3, 31, v2
	s_ashr_i32 s13, s12, 31
	v_add_nc_u32_e32 v4, s12, v0
	s_delay_alu instid0(VALU_DEP_2) | instskip(NEXT) | instid1(VALU_DEP_2)
	v_mul_u64_e32 v[6:7], s[4:5], v[2:3]
	v_add_nc_u32_e32 v8, s12, v4
	s_delay_alu instid0(VALU_DEP_1) | instskip(NEXT) | instid1(VALU_DEP_1)
	v_add_nc_u32_e32 v10, s12, v8
	v_dual_add_nc_u32 v12, s12, v10 :: v_dual_ashrrev_i32 v11, 31, v10
	s_delay_alu instid0(VALU_DEP_1) | instskip(NEXT) | instid1(VALU_DEP_1)
	v_add_nc_u32_e32 v20, s12, v12
	v_add_nc_u32_e32 v22, s12, v20
	s_delay_alu instid0(VALU_DEP_1) | instskip(SKIP_2) | instid1(VALU_DEP_2)
	v_dual_ashrrev_i32 v1, 31, v0 :: v_dual_ashrrev_i32 v23, 31, v22
	v_add_nc_u32_e32 v24, s12, v22
	v_lshl_add_u64 v[6:7], v[6:7], 3, s[8:9]
	v_dual_add_nc_u32 v30, s12, v24 :: v_dual_ashrrev_i32 v25, 31, v24
	v_lshlrev_b32_e32 v14, 3, v104
	s_delay_alu instid0(VALU_DEP_3) | instskip(NEXT) | instid1(VALU_DEP_3)
	v_lshl_add_u64 v[32:33], s[10:11], 3, v[6:7]
	v_dual_ashrrev_i32 v9, 31, v8 :: v_dual_ashrrev_i32 v31, 31, v30
	v_dual_add_nc_u32 v34, s12, v30 :: v_dual_ashrrev_i32 v5, 31, v4
	s_delay_alu instid0(VALU_DEP_3) | instskip(SKIP_2) | instid1(VALU_DEP_4)
	v_add_nc_u64_e32 v[18:19], v[32:33], v[14:15]
	v_ashrrev_i32_e32 v21, 31, v20
	v_lshl_add_u64 v[6:7], v[0:1], 3, v[32:33]
	v_dual_add_nc_u32 v36, s12, v34 :: v_dual_ashrrev_i32 v35, 31, v34
	v_lshl_add_u64 v[16:17], v[8:9], 3, v[32:33]
	v_lshl_add_u64 v[0:1], v[10:11], 3, v[32:33]
	;; [unrolled: 1-line block ×3, first 2 shown]
	s_delay_alu instid0(VALU_DEP_4)
	v_add_nc_u32_e32 v38, s12, v36
	v_ashrrev_i32_e32 v13, 31, v12
	v_lshl_add_u64 v[14:15], v[4:5], 3, v[32:33]
	v_lshl_add_u64 v[42:43], s[12:13], 3, v[18:19]
	v_lshl_add_u64 v[8:9], v[20:21], 3, v[32:33]
	v_add_nc_u32_e32 v40, s12, v38
	v_lshl_add_u64 v[4:5], v[12:13], 3, v[32:33]
	v_lshl_add_u64 v[12:13], v[24:25], 3, v[32:33]
	;; [unrolled: 1-line block ×4, first 2 shown]
	v_dual_add_nc_u32 v50, s12, v40 :: v_dual_ashrrev_i32 v41, 31, v40
	s_clause 0x7
	global_load_b64 v[28:29], v[16:17], off
	global_load_b64 v[24:25], v[0:1], off
	;; [unrolled: 1-line block ×8, first 2 shown]
	v_add_nc_u32_e32 v52, s12, v50
	v_dual_ashrrev_i32 v39, 31, v38 :: v_dual_ashrrev_i32 v37, 31, v36
	s_delay_alu instid0(VALU_DEP_2) | instskip(NEXT) | instid1(VALU_DEP_2)
	v_dual_ashrrev_i32 v51, 31, v50 :: v_dual_ashrrev_i32 v53, 31, v52
	v_lshl_add_u64 v[34:35], v[36:37], 3, v[32:33]
	s_delay_alu instid0(VALU_DEP_3) | instskip(SKIP_1) | instid1(VALU_DEP_4)
	v_lshl_add_u64 v[36:37], v[38:39], 3, v[32:33]
	v_lshl_add_u64 v[38:39], v[40:41], 3, v[32:33]
	v_lshl_add_u64 v[40:41], v[50:51], 3, v[32:33]
	v_lshl_add_u64 v[32:33], v[52:53], 3, v[32:33]
	s_clause 0x8
	global_load_b64 v[58:59], v[10:11], off
	global_load_b64 v[52:53], v[12:13], off
	;; [unrolled: 1-line block ×9, first 2 shown]
	s_wait_xcnt 0x0
	s_and_saveexec_b32 s4, s0
	s_cbranch_execz .LBB33_8
; %bb.2:
	s_wait_loadcnt 0xc
	ds_store_b64 v105, v[68:69]
	s_wait_loadcnt 0xa
	ds_store_2addr_b64 v106, v[48:49], v[46:47] offset0:1 offset1:2
	s_wait_loadcnt 0x9
	ds_store_2addr_b64 v106, v[44:45], v[28:29] offset0:3 offset1:4
	ds_store_2addr_b64 v106, v[24:25], v[26:27] offset0:5 offset1:6
	s_wait_loadcnt 0x8
	ds_store_2addr_b64 v106, v[22:23], v[58:59] offset0:7 offset1:8
	s_wait_loadcnt 0x6
	;; [unrolled: 2-line block ×5, first 2 shown]
	ds_store_2addr_b64 v106, v[60:61], v[64:65] offset0:15 offset1:16
	ds_load_b64 v[70:71], v105
	s_wait_dscnt 0x0
	v_cmp_neq_f32_e32 vcc_lo, 0, v70
	v_cmp_neq_f32_e64 s2, 0, v71
	s_or_b32 s2, vcc_lo, s2
	s_delay_alu instid0(SALU_CYCLE_1)
	s_and_b32 exec_lo, exec_lo, s2
	s_cbranch_execz .LBB33_8
; %bb.3:
	v_cmp_ngt_f32_e64 s2, |v70|, |v71|
                                        ; implicit-def: $vgpr72_vgpr73
	s_and_saveexec_b32 s5, s2
	s_delay_alu instid0(SALU_CYCLE_1)
	s_xor_b32 s2, exec_lo, s5
	s_cbranch_execz .LBB33_5
; %bb.4:
	v_div_scale_f32 v72, null, v71, v71, v70
	v_div_scale_f32 v75, vcc_lo, v70, v71, v70
	s_delay_alu instid0(VALU_DEP_2) | instskip(SKIP_1) | instid1(TRANS32_DEP_1)
	v_rcp_f32_e32 v73, v72
	v_nop
	v_fma_f32 v74, -v72, v73, 1.0
	s_delay_alu instid0(VALU_DEP_1) | instskip(NEXT) | instid1(VALU_DEP_1)
	v_fmac_f32_e32 v73, v74, v73
	v_mul_f32_e32 v74, v75, v73
	s_delay_alu instid0(VALU_DEP_1) | instskip(NEXT) | instid1(VALU_DEP_1)
	v_fma_f32 v76, -v72, v74, v75
	v_fmac_f32_e32 v74, v76, v73
	s_delay_alu instid0(VALU_DEP_1) | instskip(NEXT) | instid1(VALU_DEP_1)
	v_fma_f32 v72, -v72, v74, v75
	v_div_fmas_f32 v72, v72, v73, v74
	s_delay_alu instid0(VALU_DEP_1) | instskip(NEXT) | instid1(VALU_DEP_1)
	v_div_fixup_f32 v72, v72, v71, v70
	v_fmac_f32_e32 v71, v70, v72
	s_delay_alu instid0(VALU_DEP_1) | instskip(SKIP_1) | instid1(VALU_DEP_2)
	v_div_scale_f32 v70, null, v71, v71, 1.0
	v_div_scale_f32 v75, vcc_lo, 1.0, v71, 1.0
	v_rcp_f32_e32 v73, v70
	v_nop
	s_delay_alu instid0(TRANS32_DEP_1) | instskip(NEXT) | instid1(VALU_DEP_1)
	v_fma_f32 v74, -v70, v73, 1.0
	v_fmac_f32_e32 v73, v74, v73
	s_delay_alu instid0(VALU_DEP_1) | instskip(NEXT) | instid1(VALU_DEP_1)
	v_mul_f32_e32 v74, v75, v73
	v_fma_f32 v76, -v70, v74, v75
	s_delay_alu instid0(VALU_DEP_1) | instskip(NEXT) | instid1(VALU_DEP_1)
	v_fmac_f32_e32 v74, v76, v73
	v_fma_f32 v70, -v70, v74, v75
	s_delay_alu instid0(VALU_DEP_1) | instskip(NEXT) | instid1(VALU_DEP_1)
	v_div_fmas_f32 v70, v70, v73, v74
	v_div_fixup_f32 v70, v70, v71, 1.0
	s_delay_alu instid0(VALU_DEP_1)
	v_mul_f32_e32 v72, v72, v70
	v_xor_b32_e32 v73, 0x80000000, v70
                                        ; implicit-def: $vgpr70_vgpr71
.LBB33_5:
	s_and_not1_saveexec_b32 s2, s2
	s_cbranch_execz .LBB33_7
; %bb.6:
	v_div_scale_f32 v72, null, v70, v70, v71
	v_div_scale_f32 v75, vcc_lo, v71, v70, v71
	s_delay_alu instid0(VALU_DEP_2) | instskip(SKIP_1) | instid1(TRANS32_DEP_1)
	v_rcp_f32_e32 v73, v72
	v_nop
	v_fma_f32 v74, -v72, v73, 1.0
	s_delay_alu instid0(VALU_DEP_1) | instskip(NEXT) | instid1(VALU_DEP_1)
	v_fmac_f32_e32 v73, v74, v73
	v_mul_f32_e32 v74, v75, v73
	s_delay_alu instid0(VALU_DEP_1) | instskip(NEXT) | instid1(VALU_DEP_1)
	v_fma_f32 v76, -v72, v74, v75
	v_fmac_f32_e32 v74, v76, v73
	s_delay_alu instid0(VALU_DEP_1) | instskip(NEXT) | instid1(VALU_DEP_1)
	v_fma_f32 v72, -v72, v74, v75
	v_div_fmas_f32 v72, v72, v73, v74
	s_delay_alu instid0(VALU_DEP_1) | instskip(NEXT) | instid1(VALU_DEP_1)
	v_div_fixup_f32 v73, v72, v70, v71
	v_fmac_f32_e32 v70, v71, v73
	s_delay_alu instid0(VALU_DEP_1) | instskip(NEXT) | instid1(VALU_DEP_1)
	v_div_scale_f32 v71, null, v70, v70, 1.0
	v_rcp_f32_e32 v72, v71
	v_nop
	s_delay_alu instid0(TRANS32_DEP_1) | instskip(NEXT) | instid1(VALU_DEP_1)
	v_fma_f32 v74, -v71, v72, 1.0
	v_fmac_f32_e32 v72, v74, v72
	v_div_scale_f32 v74, vcc_lo, 1.0, v70, 1.0
	s_delay_alu instid0(VALU_DEP_1) | instskip(NEXT) | instid1(VALU_DEP_1)
	v_mul_f32_e32 v75, v74, v72
	v_fma_f32 v76, -v71, v75, v74
	s_delay_alu instid0(VALU_DEP_1) | instskip(NEXT) | instid1(VALU_DEP_1)
	v_fmac_f32_e32 v75, v76, v72
	v_fma_f32 v71, -v71, v75, v74
	s_delay_alu instid0(VALU_DEP_1) | instskip(NEXT) | instid1(VALU_DEP_1)
	v_div_fmas_f32 v71, v71, v72, v75
	v_div_fixup_f32 v72, v71, v70, 1.0
	s_delay_alu instid0(VALU_DEP_1)
	v_mul_f32_e64 v73, v73, -v72
.LBB33_7:
	s_or_b32 exec_lo, exec_lo, s2
	ds_store_b64 v105, v[72:73]
.LBB33_8:
	s_or_b32 exec_lo, exec_lo, s4
	s_wait_loadcnt_dscnt 0x0
	s_barrier_signal -1
	s_barrier_wait -1
	ds_load_b64 v[70:71], v105
	s_and_saveexec_b32 s2, s1
	s_cbranch_execz .LBB33_10
; %bb.9:
	ds_load_2addr_b64 v[76:79], v106 offset0:1 offset1:2
	ds_load_2addr_b64 v[80:83], v106 offset0:3 offset1:4
	ds_load_2addr_b64 v[84:87], v106 offset0:5 offset1:6
	s_wait_dscnt 0x3
	v_pk_mul_f32 v[74:75], v[70:71], v[68:69] op_sel:[1,1] op_sel_hi:[0,1]
	ds_load_2addr_b64 v[88:91], v106 offset0:7 offset1:8
	ds_load_2addr_b64 v[92:95], v106 offset0:9 offset1:10
	v_pk_fma_f32 v[72:73], v[70:71], v[68:69], v[74:75] op_sel_hi:[1,0,1] neg_lo:[0,0,1] neg_hi:[0,0,1]
	v_pk_fma_f32 v[74:75], v[70:71], v[68:69], v[74:75] op_sel_hi:[1,0,1]
	s_delay_alu instid0(VALU_DEP_1) | instskip(SKIP_1) | instid1(VALU_DEP_2)
	v_dual_mov_b32 v68, v72 :: v_dual_mov_b32 v69, v75
	s_wait_dscnt 0x4
	v_pk_mul_f32 v[96:97], v[76:77], v[74:75] op_sel:[0,1]
	v_pk_mul_f32 v[98:99], v[78:79], v[74:75] op_sel:[0,1]
	s_wait_dscnt 0x3
	v_pk_mul_f32 v[100:101], v[80:81], v[74:75] op_sel:[0,1]
	v_dual_mov_b32 v102, v83 :: v_dual_mov_b32 v103, v82
	v_dual_mul_f32 v108, v83, v75 :: v_dual_mul_f32 v110, v83, v72
	s_wait_dscnt 0x2
	v_pk_mul_f32 v[112:113], v[84:85], v[74:75] op_sel:[0,1]
	v_pk_fma_f32 v[116:117], v[76:77], v[72:73], v[96:97] op_sel:[0,0,1] op_sel_hi:[1,1,0] neg_lo:[0,0,1] neg_hi:[0,0,1]
	v_pk_fma_f32 v[76:77], v[76:77], v[72:73], v[96:97] op_sel:[0,0,1] op_sel_hi:[1,0,0]
	v_pk_fma_f32 v[96:97], v[78:79], v[72:73], v[98:99] op_sel:[0,0,1] op_sel_hi:[1,1,0] neg_lo:[0,0,1] neg_hi:[0,0,1]
	v_pk_fma_f32 v[78:79], v[78:79], v[72:73], v[98:99] op_sel:[0,0,1] op_sel_hi:[1,0,0]
	v_pk_mul_f32 v[114:115], v[86:87], v[74:75] op_sel:[0,1]
	v_pk_fma_f32 v[98:99], v[80:81], v[72:73], v[100:101] op_sel:[0,0,1] op_sel_hi:[1,1,0] neg_lo:[0,0,1] neg_hi:[0,0,1]
	v_pk_fma_f32 v[80:81], v[80:81], v[72:73], v[100:101] op_sel:[0,0,1] op_sel_hi:[1,0,0]
	v_pk_fma_f32 v[100:101], v[102:103], v[68:69], v[110:111] op_sel_hi:[1,1,0]
	v_dual_mov_b32 v117, v77 :: v_dual_mov_b32 v97, v79
	v_pk_fma_f32 v[76:77], v[84:85], v[72:73], v[112:113] op_sel:[0,0,1] op_sel_hi:[1,0,0]
	v_pk_fma_f32 v[102:103], v[84:85], v[72:73], v[112:113] op_sel:[0,0,1] op_sel_hi:[1,1,0] neg_lo:[0,0,1] neg_hi:[0,0,1]
	v_mov_b32_e32 v99, v81
	v_pk_fma_f32 v[80:81], v[86:87], v[72:73], v[114:115] op_sel:[0,0,1] op_sel_hi:[1,0,0]
	s_wait_dscnt 0x1
	v_pk_mul_f32 v[84:85], v[88:89], v[74:75] op_sel:[0,1]
	v_pk_fma_f32 v[82:83], v[82:83], v[68:69], v[108:109] op_sel_hi:[1,1,0] neg_lo:[0,0,1] neg_hi:[0,0,1]
	v_mov_b32_e32 v83, v101
	v_pk_add_f32 v[46:47], v[46:47], v[96:97] neg_lo:[0,1] neg_hi:[0,1]
	v_mov_b32_e32 v103, v77
	ds_load_2addr_b64 v[76:79], v106 offset0:11 offset1:12
	v_pk_fma_f32 v[86:87], v[86:87], v[72:73], v[114:115] op_sel:[0,0,1] op_sel_hi:[1,1,0] neg_lo:[0,0,1] neg_hi:[0,0,1]
	v_pk_mul_f32 v[96:97], v[90:91], v[74:75] op_sel:[0,1]
	v_mov_b32_e32 v87, v81
	v_pk_fma_f32 v[80:81], v[88:89], v[72:73], v[84:85] op_sel:[0,0,1] op_sel_hi:[1,0,0]
	v_pk_add_f32 v[28:29], v[28:29], v[82:83] neg_lo:[0,1] neg_hi:[0,1]
	v_pk_fma_f32 v[84:85], v[88:89], v[72:73], v[84:85] op_sel:[0,0,1] op_sel_hi:[1,1,0] neg_lo:[0,0,1] neg_hi:[0,0,1]
	v_pk_fma_f32 v[82:83], v[90:91], v[72:73], v[96:97] op_sel:[0,0,1] op_sel_hi:[1,0,0]
	v_pk_add_f32 v[26:27], v[26:27], v[86:87] neg_lo:[0,1] neg_hi:[0,1]
	v_mov_b32_e32 v85, v81
	v_pk_fma_f32 v[86:87], v[90:91], v[72:73], v[96:97] op_sel:[0,0,1] op_sel_hi:[1,1,0] neg_lo:[0,0,1] neg_hi:[0,0,1]
	s_wait_dscnt 0x1
	v_dual_mul_f32 v88, v93, v72 :: v_dual_mov_b32 v87, v83
	ds_load_2addr_b64 v[80:83], v106 offset0:13 offset1:14
	v_pk_add_f32 v[22:23], v[22:23], v[84:85] neg_lo:[0,1] neg_hi:[0,1]
	v_mul_f32_e32 v84, v93, v75
	v_pk_fma_f32 v[88:89], v[92:93], v[68:69], v[88:89] op_sel:[1,0,0] op_sel_hi:[0,1,0]
	v_pk_add_f32 v[58:59], v[58:59], v[86:87] neg_lo:[0,1] neg_hi:[0,1]
	v_pk_mul_f32 v[90:91], v[94:95], v[74:75] op_sel:[0,1]
	v_pk_add_f32 v[44:45], v[44:45], v[98:99] neg_lo:[0,1] neg_hi:[0,1]
	v_pk_fma_f32 v[92:93], v[92:93], v[68:69], v[84:85] op_sel_hi:[1,1,0] neg_lo:[0,0,1] neg_hi:[0,0,1]
	ds_load_2addr_b64 v[84:87], v106 offset0:15 offset1:16
	s_wait_dscnt 0x2
	v_pk_mul_f32 v[96:97], v[76:77], v[74:75] op_sel:[0,1]
	v_pk_fma_f32 v[98:99], v[94:95], v[72:73], v[90:91] op_sel:[0,0,1] op_sel_hi:[1,0,0]
	v_mov_b32_e32 v93, v89
	v_pk_fma_f32 v[90:91], v[94:95], v[72:73], v[90:91] op_sel:[0,0,1] op_sel_hi:[1,1,0] neg_lo:[0,0,1] neg_hi:[0,0,1]
	v_pk_mul_f32 v[94:95], v[78:79], v[74:75] op_sel:[0,1]
	v_pk_fma_f32 v[88:89], v[76:77], v[72:73], v[96:97] op_sel:[0,0,1] op_sel_hi:[1,0,0]
	v_pk_fma_f32 v[76:77], v[76:77], v[72:73], v[96:97] op_sel:[0,0,1] op_sel_hi:[1,1,0] neg_lo:[0,0,1] neg_hi:[0,0,1]
	v_mov_b32_e32 v91, v99
	v_pk_add_f32 v[52:53], v[52:53], v[92:93] neg_lo:[0,1] neg_hi:[0,1]
	v_pk_add_f32 v[48:49], v[48:49], v[116:117] neg_lo:[0,1] neg_hi:[0,1]
	v_mov_b32_e32 v77, v89
	s_wait_dscnt 0x1
	v_pk_mul_f32 v[92:93], v[80:81], v[74:75] op_sel:[0,1]
	v_pk_fma_f32 v[88:89], v[78:79], v[72:73], v[94:95] op_sel:[0,0,1] op_sel_hi:[1,0,0]
	v_mov_b32_e32 v88, v83
	v_pk_add_f32 v[56:57], v[56:57], v[90:91] neg_lo:[0,1] neg_hi:[0,1]
	v_pk_add_f32 v[50:51], v[50:51], v[76:77] neg_lo:[0,1] neg_hi:[0,1]
	v_pk_fma_f32 v[76:77], v[78:79], v[72:73], v[94:95] op_sel:[0,0,1] op_sel_hi:[1,1,0] neg_lo:[0,0,1] neg_hi:[0,0,1]
	v_pk_fma_f32 v[78:79], v[80:81], v[72:73], v[92:93] op_sel:[0,0,1] op_sel_hi:[1,1,0] neg_lo:[0,0,1] neg_hi:[0,0,1]
	v_pk_fma_f32 v[80:81], v[80:81], v[72:73], v[92:93] op_sel:[0,0,1] op_sel_hi:[1,0,0]
	v_dual_mov_b32 v77, v89 :: v_dual_mov_b32 v89, v82
	v_dual_mul_f32 v90, v83, v72 :: v_dual_mul_f32 v80, v83, v75
	s_wait_dscnt 0x0
	v_pk_mul_f32 v[92:93], v[84:85], v[74:75] op_sel:[0,1]
	v_pk_mul_f32 v[74:75], v[86:87], v[74:75] op_sel:[0,1]
	v_pk_add_f32 v[24:25], v[24:25], v[102:103] neg_lo:[0,1] neg_hi:[0,1]
	v_pk_fma_f32 v[88:89], v[88:89], v[68:69], v[90:91] op_sel_hi:[1,1,0]
	v_mov_b32_e32 v79, v81
	v_pk_fma_f32 v[90:91], v[84:85], v[72:73], v[92:93] op_sel:[0,0,1] op_sel_hi:[1,0,0]
	v_pk_fma_f32 v[80:81], v[82:83], v[68:69], v[80:81] op_sel_hi:[1,1,0] neg_lo:[0,0,1] neg_hi:[0,0,1]
	v_pk_fma_f32 v[82:83], v[86:87], v[72:73], v[74:75] op_sel:[0,0,1] op_sel_hi:[1,0,0]
	v_pk_fma_f32 v[84:85], v[84:85], v[72:73], v[92:93] op_sel:[0,0,1] op_sel_hi:[1,1,0] neg_lo:[0,0,1] neg_hi:[0,0,1]
	v_pk_fma_f32 v[72:73], v[86:87], v[72:73], v[74:75] op_sel:[0,0,1] op_sel_hi:[1,1,0] neg_lo:[0,0,1] neg_hi:[0,0,1]
	v_dual_mov_b32 v81, v89 :: v_dual_mov_b32 v85, v91
	s_delay_alu instid0(VALU_DEP_4) | instskip(SKIP_2) | instid1(VALU_DEP_4)
	v_mov_b32_e32 v73, v83
	v_pk_add_f32 v[54:55], v[54:55], v[76:77] neg_lo:[0,1] neg_hi:[0,1]
	v_pk_add_f32 v[66:67], v[66:67], v[78:79] neg_lo:[0,1] neg_hi:[0,1]
	;; [unrolled: 1-line block ×5, first 2 shown]
.LBB33_10:
	s_or_b32 exec_lo, exec_lo, s2
	s_delay_alu instid0(SALU_CYCLE_1)
	s_mov_b32 s2, exec_lo
	s_wait_dscnt 0x0
	s_barrier_signal -1
	s_barrier_wait -1
	v_cmpx_eq_u32_e32 1, v104
	s_cbranch_execz .LBB33_17
; %bb.11:
	v_dual_mov_b32 v72, v46 :: v_dual_mov_b32 v73, v47
	v_dual_mov_b32 v74, v44 :: v_dual_mov_b32 v75, v45
	;; [unrolled: 1-line block ×4, first 2 shown]
	ds_store_b64 v105, v[48:49]
	ds_store_2addr_b64 v106, v[72:73], v[74:75] offset0:2 offset1:3
	ds_store_2addr_b64 v106, v[76:77], v[78:79] offset0:4 offset1:5
	v_dual_mov_b32 v72, v26 :: v_dual_mov_b32 v73, v27
	v_dual_mov_b32 v74, v22 :: v_dual_mov_b32 v75, v23
	;; [unrolled: 1-line block ×10, first 2 shown]
	ds_store_2addr_b64 v106, v[72:73], v[74:75] offset0:6 offset1:7
	ds_store_2addr_b64 v106, v[76:77], v[78:79] offset0:8 offset1:9
	ds_store_2addr_b64 v106, v[80:81], v[82:83] offset0:10 offset1:11
	ds_store_2addr_b64 v106, v[84:85], v[86:87] offset0:12 offset1:13
	ds_store_2addr_b64 v106, v[88:89], v[90:91] offset0:14 offset1:15
	ds_store_b64 v106, v[64:65] offset:128
	ds_load_b64 v[72:73], v105
	s_wait_dscnt 0x0
	v_cmp_neq_f32_e32 vcc_lo, 0, v72
	v_cmp_neq_f32_e64 s1, 0, v73
	s_or_b32 s1, vcc_lo, s1
	s_delay_alu instid0(SALU_CYCLE_1)
	s_and_b32 exec_lo, exec_lo, s1
	s_cbranch_execz .LBB33_17
; %bb.12:
	v_cmp_ngt_f32_e64 s1, |v72|, |v73|
                                        ; implicit-def: $vgpr74_vgpr75
	s_and_saveexec_b32 s4, s1
	s_delay_alu instid0(SALU_CYCLE_1)
	s_xor_b32 s1, exec_lo, s4
	s_cbranch_execz .LBB33_14
; %bb.13:
	v_div_scale_f32 v74, null, v73, v73, v72
	v_div_scale_f32 v77, vcc_lo, v72, v73, v72
	s_delay_alu instid0(VALU_DEP_2) | instskip(SKIP_1) | instid1(TRANS32_DEP_1)
	v_rcp_f32_e32 v75, v74
	v_nop
	v_fma_f32 v76, -v74, v75, 1.0
	s_delay_alu instid0(VALU_DEP_1) | instskip(NEXT) | instid1(VALU_DEP_1)
	v_fmac_f32_e32 v75, v76, v75
	v_mul_f32_e32 v76, v77, v75
	s_delay_alu instid0(VALU_DEP_1) | instskip(NEXT) | instid1(VALU_DEP_1)
	v_fma_f32 v78, -v74, v76, v77
	v_fmac_f32_e32 v76, v78, v75
	s_delay_alu instid0(VALU_DEP_1) | instskip(NEXT) | instid1(VALU_DEP_1)
	v_fma_f32 v74, -v74, v76, v77
	v_div_fmas_f32 v74, v74, v75, v76
	s_delay_alu instid0(VALU_DEP_1) | instskip(NEXT) | instid1(VALU_DEP_1)
	v_div_fixup_f32 v74, v74, v73, v72
	v_fmac_f32_e32 v73, v72, v74
	s_delay_alu instid0(VALU_DEP_1) | instskip(SKIP_1) | instid1(VALU_DEP_2)
	v_div_scale_f32 v72, null, v73, v73, 1.0
	v_div_scale_f32 v77, vcc_lo, 1.0, v73, 1.0
	v_rcp_f32_e32 v75, v72
	v_nop
	s_delay_alu instid0(TRANS32_DEP_1) | instskip(NEXT) | instid1(VALU_DEP_1)
	v_fma_f32 v76, -v72, v75, 1.0
	v_fmac_f32_e32 v75, v76, v75
	s_delay_alu instid0(VALU_DEP_1) | instskip(NEXT) | instid1(VALU_DEP_1)
	v_mul_f32_e32 v76, v77, v75
	v_fma_f32 v78, -v72, v76, v77
	s_delay_alu instid0(VALU_DEP_1) | instskip(NEXT) | instid1(VALU_DEP_1)
	v_fmac_f32_e32 v76, v78, v75
	v_fma_f32 v72, -v72, v76, v77
	s_delay_alu instid0(VALU_DEP_1) | instskip(NEXT) | instid1(VALU_DEP_1)
	v_div_fmas_f32 v72, v72, v75, v76
	v_div_fixup_f32 v72, v72, v73, 1.0
	s_delay_alu instid0(VALU_DEP_1)
	v_mul_f32_e32 v74, v74, v72
	v_xor_b32_e32 v75, 0x80000000, v72
                                        ; implicit-def: $vgpr72_vgpr73
.LBB33_14:
	s_and_not1_saveexec_b32 s1, s1
	s_cbranch_execz .LBB33_16
; %bb.15:
	v_div_scale_f32 v74, null, v72, v72, v73
	v_div_scale_f32 v77, vcc_lo, v73, v72, v73
	s_delay_alu instid0(VALU_DEP_2) | instskip(SKIP_1) | instid1(TRANS32_DEP_1)
	v_rcp_f32_e32 v75, v74
	v_nop
	v_fma_f32 v76, -v74, v75, 1.0
	s_delay_alu instid0(VALU_DEP_1) | instskip(NEXT) | instid1(VALU_DEP_1)
	v_fmac_f32_e32 v75, v76, v75
	v_mul_f32_e32 v76, v77, v75
	s_delay_alu instid0(VALU_DEP_1) | instskip(NEXT) | instid1(VALU_DEP_1)
	v_fma_f32 v78, -v74, v76, v77
	v_fmac_f32_e32 v76, v78, v75
	s_delay_alu instid0(VALU_DEP_1) | instskip(NEXT) | instid1(VALU_DEP_1)
	v_fma_f32 v74, -v74, v76, v77
	v_div_fmas_f32 v74, v74, v75, v76
	s_delay_alu instid0(VALU_DEP_1) | instskip(NEXT) | instid1(VALU_DEP_1)
	v_div_fixup_f32 v75, v74, v72, v73
	v_fmac_f32_e32 v72, v73, v75
	s_delay_alu instid0(VALU_DEP_1) | instskip(NEXT) | instid1(VALU_DEP_1)
	v_div_scale_f32 v73, null, v72, v72, 1.0
	v_rcp_f32_e32 v74, v73
	v_nop
	s_delay_alu instid0(TRANS32_DEP_1) | instskip(NEXT) | instid1(VALU_DEP_1)
	v_fma_f32 v76, -v73, v74, 1.0
	v_fmac_f32_e32 v74, v76, v74
	v_div_scale_f32 v76, vcc_lo, 1.0, v72, 1.0
	s_delay_alu instid0(VALU_DEP_1) | instskip(NEXT) | instid1(VALU_DEP_1)
	v_mul_f32_e32 v77, v76, v74
	v_fma_f32 v78, -v73, v77, v76
	s_delay_alu instid0(VALU_DEP_1) | instskip(NEXT) | instid1(VALU_DEP_1)
	v_fmac_f32_e32 v77, v78, v74
	v_fma_f32 v73, -v73, v77, v76
	s_delay_alu instid0(VALU_DEP_1) | instskip(NEXT) | instid1(VALU_DEP_1)
	v_div_fmas_f32 v73, v73, v74, v77
	v_div_fixup_f32 v74, v73, v72, 1.0
	s_delay_alu instid0(VALU_DEP_1)
	v_mul_f32_e64 v75, v75, -v74
.LBB33_16:
	s_or_b32 exec_lo, exec_lo, s1
	ds_store_b64 v105, v[74:75]
.LBB33_17:
	s_or_b32 exec_lo, exec_lo, s2
	s_wait_dscnt 0x0
	s_barrier_signal -1
	s_barrier_wait -1
	ds_load_b64 v[72:73], v105
	s_mov_b32 s1, exec_lo
	v_cmpx_lt_u32_e32 1, v104
	s_cbranch_execz .LBB33_19
; %bb.18:
	ds_load_2addr_b64 v[78:81], v106 offset0:2 offset1:3
	s_wait_dscnt 0x1
	v_pk_mul_f32 v[76:77], v[72:73], v[48:49] op_sel:[1,1] op_sel_hi:[0,1]
	s_delay_alu instid0(VALU_DEP_1) | instskip(SKIP_1) | instid1(VALU_DEP_1)
	v_pk_fma_f32 v[74:75], v[72:73], v[48:49], v[76:77] op_sel_hi:[1,0,1] neg_lo:[0,0,1] neg_hi:[0,0,1]
	v_pk_fma_f32 v[76:77], v[72:73], v[48:49], v[76:77] op_sel_hi:[1,0,1]
	v_dual_mov_b32 v48, v74 :: v_dual_mov_b32 v49, v77
	s_wait_dscnt 0x0
	s_delay_alu instid0(VALU_DEP_2) | instskip(NEXT) | instid1(VALU_DEP_1)
	v_pk_mul_f32 v[82:83], v[78:79], v[76:77] op_sel:[0,1]
	v_pk_fma_f32 v[84:85], v[78:79], v[74:75], v[82:83] op_sel:[0,0,1] op_sel_hi:[1,1,0] neg_lo:[0,0,1] neg_hi:[0,0,1]
	v_pk_fma_f32 v[78:79], v[78:79], v[74:75], v[82:83] op_sel:[0,0,1] op_sel_hi:[1,0,0]
	s_delay_alu instid0(VALU_DEP_1) | instskip(SKIP_1) | instid1(VALU_DEP_1)
	v_mov_b32_e32 v85, v79
	v_pk_mul_f32 v[78:79], v[80:81], v[76:77] op_sel:[0,1]
	v_pk_fma_f32 v[82:83], v[80:81], v[74:75], v[78:79] op_sel:[0,0,1] op_sel_hi:[1,1,0] neg_lo:[0,0,1] neg_hi:[0,0,1]
	v_pk_fma_f32 v[78:79], v[80:81], v[74:75], v[78:79] op_sel:[0,0,1] op_sel_hi:[1,0,0]
	s_delay_alu instid0(VALU_DEP_1)
	v_mov_b32_e32 v83, v79
	ds_load_2addr_b64 v[78:81], v106 offset0:4 offset1:5
	v_pk_add_f32 v[46:47], v[46:47], v[84:85] neg_lo:[0,1] neg_hi:[0,1]
	v_pk_add_f32 v[44:45], v[44:45], v[82:83] neg_lo:[0,1] neg_hi:[0,1]
	s_wait_dscnt 0x0
	v_pk_mul_f32 v[82:83], v[78:79], v[76:77] op_sel:[0,1]
	s_delay_alu instid0(VALU_DEP_1) | instskip(SKIP_2) | instid1(VALU_DEP_2)
	v_pk_fma_f32 v[84:85], v[78:79], v[74:75], v[82:83] op_sel:[0,0,1] op_sel_hi:[1,1,0] neg_lo:[0,0,1] neg_hi:[0,0,1]
	v_pk_fma_f32 v[78:79], v[78:79], v[74:75], v[82:83] op_sel:[0,0,1] op_sel_hi:[1,0,0]
	v_dual_mul_f32 v82, v81, v77 :: v_dual_mov_b32 v78, v81
	v_dual_mov_b32 v85, v79 :: v_dual_mov_b32 v79, v80
	s_delay_alu instid0(VALU_DEP_2) | instskip(SKIP_1) | instid1(VALU_DEP_3)
	v_pk_fma_f32 v[82:83], v[80:81], v[48:49], v[82:83] op_sel_hi:[1,1,0] neg_lo:[0,0,1] neg_hi:[0,0,1]
	v_mul_f32_e32 v80, v81, v74
	v_pk_add_f32 v[28:29], v[28:29], v[84:85] neg_lo:[0,1] neg_hi:[0,1]
	s_delay_alu instid0(VALU_DEP_2) | instskip(NEXT) | instid1(VALU_DEP_1)
	v_pk_fma_f32 v[78:79], v[78:79], v[48:49], v[80:81] op_sel_hi:[1,1,0]
	v_mov_b32_e32 v83, v79
	ds_load_2addr_b64 v[78:81], v106 offset0:6 offset1:7
	v_pk_add_f32 v[24:25], v[24:25], v[82:83] neg_lo:[0,1] neg_hi:[0,1]
	s_wait_dscnt 0x0
	v_pk_mul_f32 v[82:83], v[78:79], v[76:77] op_sel:[0,1]
	s_delay_alu instid0(VALU_DEP_1) | instskip(SKIP_1) | instid1(VALU_DEP_1)
	v_pk_fma_f32 v[84:85], v[78:79], v[74:75], v[82:83] op_sel:[0,0,1] op_sel_hi:[1,1,0] neg_lo:[0,0,1] neg_hi:[0,0,1]
	v_pk_fma_f32 v[78:79], v[78:79], v[74:75], v[82:83] op_sel:[0,0,1] op_sel_hi:[1,0,0]
	v_mov_b32_e32 v85, v79
	v_pk_mul_f32 v[78:79], v[80:81], v[76:77] op_sel:[0,1]
	s_delay_alu instid0(VALU_DEP_1) | instskip(SKIP_1) | instid1(VALU_DEP_1)
	v_pk_fma_f32 v[82:83], v[80:81], v[74:75], v[78:79] op_sel:[0,0,1] op_sel_hi:[1,1,0] neg_lo:[0,0,1] neg_hi:[0,0,1]
	v_pk_fma_f32 v[78:79], v[80:81], v[74:75], v[78:79] op_sel:[0,0,1] op_sel_hi:[1,0,0]
	v_mov_b32_e32 v83, v79
	ds_load_2addr_b64 v[78:81], v106 offset0:8 offset1:9
	v_pk_add_f32 v[26:27], v[26:27], v[84:85] neg_lo:[0,1] neg_hi:[0,1]
	v_pk_add_f32 v[22:23], v[22:23], v[82:83] neg_lo:[0,1] neg_hi:[0,1]
	s_wait_dscnt 0x0
	v_pk_mul_f32 v[82:83], v[78:79], v[76:77] op_sel:[0,1]
	s_delay_alu instid0(VALU_DEP_1) | instskip(SKIP_1) | instid1(VALU_DEP_1)
	v_pk_fma_f32 v[84:85], v[78:79], v[74:75], v[82:83] op_sel:[0,0,1] op_sel_hi:[1,1,0] neg_lo:[0,0,1] neg_hi:[0,0,1]
	v_pk_fma_f32 v[78:79], v[78:79], v[74:75], v[82:83] op_sel:[0,0,1] op_sel_hi:[1,0,0]
	v_mov_b32_e32 v85, v79
	v_pk_mul_f32 v[78:79], v[80:81], v[76:77] op_sel:[0,1]
	s_delay_alu instid0(VALU_DEP_1) | instskip(SKIP_1) | instid1(VALU_DEP_1)
	v_pk_fma_f32 v[82:83], v[80:81], v[74:75], v[78:79] op_sel:[0,0,1] op_sel_hi:[1,1,0] neg_lo:[0,0,1] neg_hi:[0,0,1]
	v_pk_fma_f32 v[78:79], v[80:81], v[74:75], v[78:79] op_sel:[0,0,1] op_sel_hi:[1,0,0]
	v_mov_b32_e32 v83, v79
	ds_load_2addr_b64 v[78:81], v106 offset0:10 offset1:11
	v_pk_add_f32 v[58:59], v[58:59], v[84:85] neg_lo:[0,1] neg_hi:[0,1]
	v_pk_add_f32 v[52:53], v[52:53], v[82:83] neg_lo:[0,1] neg_hi:[0,1]
	s_wait_dscnt 0x0
	v_dual_mul_f32 v82, v79, v77 :: v_dual_mul_f32 v84, v79, v74
	s_delay_alu instid0(VALU_DEP_1) | instskip(NEXT) | instid1(VALU_DEP_2)
	v_pk_fma_f32 v[82:83], v[78:79], v[48:49], v[82:83] op_sel_hi:[1,1,0] neg_lo:[0,0,1] neg_hi:[0,0,1]
	v_pk_fma_f32 v[78:79], v[78:79], v[48:49], v[84:85] op_sel:[1,0,0] op_sel_hi:[0,1,0]
	s_delay_alu instid0(VALU_DEP_1) | instskip(SKIP_1) | instid1(VALU_DEP_2)
	v_mov_b32_e32 v83, v79
	v_pk_mul_f32 v[78:79], v[80:81], v[76:77] op_sel:[0,1]
	v_pk_add_f32 v[56:57], v[56:57], v[82:83] neg_lo:[0,1] neg_hi:[0,1]
	s_delay_alu instid0(VALU_DEP_2) | instskip(SKIP_1) | instid1(VALU_DEP_1)
	v_pk_fma_f32 v[82:83], v[80:81], v[74:75], v[78:79] op_sel:[0,0,1] op_sel_hi:[1,1,0] neg_lo:[0,0,1] neg_hi:[0,0,1]
	v_pk_fma_f32 v[78:79], v[80:81], v[74:75], v[78:79] op_sel:[0,0,1] op_sel_hi:[1,0,0]
	v_mov_b32_e32 v83, v79
	ds_load_2addr_b64 v[78:81], v106 offset0:12 offset1:13
	v_pk_add_f32 v[50:51], v[50:51], v[82:83] neg_lo:[0,1] neg_hi:[0,1]
	s_wait_dscnt 0x0
	v_pk_mul_f32 v[82:83], v[78:79], v[76:77] op_sel:[0,1]
	s_delay_alu instid0(VALU_DEP_1) | instskip(SKIP_1) | instid1(VALU_DEP_1)
	v_pk_fma_f32 v[84:85], v[78:79], v[74:75], v[82:83] op_sel:[0,0,1] op_sel_hi:[1,1,0] neg_lo:[0,0,1] neg_hi:[0,0,1]
	v_pk_fma_f32 v[78:79], v[78:79], v[74:75], v[82:83] op_sel:[0,0,1] op_sel_hi:[1,0,0]
	v_mov_b32_e32 v85, v79
	v_pk_mul_f32 v[78:79], v[80:81], v[76:77] op_sel:[0,1]
	s_delay_alu instid0(VALU_DEP_2) | instskip(NEXT) | instid1(VALU_DEP_2)
	v_pk_add_f32 v[54:55], v[54:55], v[84:85] neg_lo:[0,1] neg_hi:[0,1]
	v_pk_fma_f32 v[82:83], v[80:81], v[74:75], v[78:79] op_sel:[0,0,1] op_sel_hi:[1,1,0] neg_lo:[0,0,1] neg_hi:[0,0,1]
	v_pk_fma_f32 v[78:79], v[80:81], v[74:75], v[78:79] op_sel:[0,0,1] op_sel_hi:[1,0,0]
	s_delay_alu instid0(VALU_DEP_1) | instskip(SKIP_4) | instid1(VALU_DEP_1)
	v_mov_b32_e32 v83, v79
	ds_load_2addr_b64 v[78:81], v106 offset0:14 offset1:15
	v_pk_add_f32 v[66:67], v[66:67], v[82:83] neg_lo:[0,1] neg_hi:[0,1]
	s_wait_dscnt 0x0
	v_pk_mul_f32 v[82:83], v[78:79], v[76:77] op_sel:[0,1]
	v_pk_fma_f32 v[84:85], v[78:79], v[74:75], v[82:83] op_sel:[0,0,1] op_sel_hi:[1,1,0] neg_lo:[0,0,1] neg_hi:[0,0,1]
	v_pk_fma_f32 v[78:79], v[78:79], v[74:75], v[82:83] op_sel:[0,0,1] op_sel_hi:[1,0,0]
	v_dual_mul_f32 v82, v81, v77 :: v_dual_mov_b32 v78, v81
	s_delay_alu instid0(VALU_DEP_2) | instskip(NEXT) | instid1(VALU_DEP_2)
	v_dual_mov_b32 v85, v79 :: v_dual_mov_b32 v79, v80
	v_pk_fma_f32 v[82:83], v[80:81], v[48:49], v[82:83] op_sel_hi:[1,1,0] neg_lo:[0,0,1] neg_hi:[0,0,1]
	v_mul_f32_e32 v80, v81, v74
	s_delay_alu instid0(VALU_DEP_3) | instskip(NEXT) | instid1(VALU_DEP_2)
	v_pk_add_f32 v[62:63], v[62:63], v[84:85] neg_lo:[0,1] neg_hi:[0,1]
	v_pk_fma_f32 v[78:79], v[78:79], v[48:49], v[80:81] op_sel_hi:[1,1,0]
	s_delay_alu instid0(VALU_DEP_1) | instskip(SKIP_4) | instid1(VALU_DEP_1)
	v_mov_b32_e32 v83, v79
	ds_load_b64 v[78:79], v106 offset:128
	v_pk_add_f32 v[60:61], v[60:61], v[82:83] neg_lo:[0,1] neg_hi:[0,1]
	s_wait_dscnt 0x0
	v_pk_mul_f32 v[76:77], v[78:79], v[76:77] op_sel:[0,1]
	v_pk_fma_f32 v[80:81], v[78:79], v[74:75], v[76:77] op_sel:[0,0,1] op_sel_hi:[1,1,0] neg_lo:[0,0,1] neg_hi:[0,0,1]
	v_pk_fma_f32 v[74:75], v[78:79], v[74:75], v[76:77] op_sel:[0,0,1] op_sel_hi:[1,0,0]
	s_delay_alu instid0(VALU_DEP_1) | instskip(NEXT) | instid1(VALU_DEP_1)
	v_mov_b32_e32 v81, v75
	v_pk_add_f32 v[64:65], v[64:65], v[80:81] neg_lo:[0,1] neg_hi:[0,1]
.LBB33_19:
	s_or_b32 exec_lo, exec_lo, s1
	s_delay_alu instid0(SALU_CYCLE_1)
	s_mov_b32 s2, exec_lo
	s_wait_dscnt 0x0
	s_barrier_signal -1
	s_barrier_wait -1
	v_cmpx_eq_u32_e32 2, v104
	s_cbranch_execz .LBB33_26
; %bb.20:
	ds_store_b64 v105, v[46:47]
	ds_store_2addr_b64 v106, v[44:45], v[28:29] offset0:3 offset1:4
	ds_store_2addr_b64 v106, v[24:25], v[26:27] offset0:5 offset1:6
	;; [unrolled: 1-line block ×7, first 2 shown]
	ds_load_b64 v[74:75], v105
	s_wait_dscnt 0x0
	v_cmp_neq_f32_e32 vcc_lo, 0, v74
	v_cmp_neq_f32_e64 s1, 0, v75
	s_or_b32 s1, vcc_lo, s1
	s_delay_alu instid0(SALU_CYCLE_1)
	s_and_b32 exec_lo, exec_lo, s1
	s_cbranch_execz .LBB33_26
; %bb.21:
	v_cmp_ngt_f32_e64 s1, |v74|, |v75|
                                        ; implicit-def: $vgpr76_vgpr77
	s_and_saveexec_b32 s4, s1
	s_delay_alu instid0(SALU_CYCLE_1)
	s_xor_b32 s1, exec_lo, s4
	s_cbranch_execz .LBB33_23
; %bb.22:
	v_div_scale_f32 v76, null, v75, v75, v74
	v_div_scale_f32 v79, vcc_lo, v74, v75, v74
	s_delay_alu instid0(VALU_DEP_2) | instskip(SKIP_1) | instid1(TRANS32_DEP_1)
	v_rcp_f32_e32 v77, v76
	v_nop
	v_fma_f32 v78, -v76, v77, 1.0
	s_delay_alu instid0(VALU_DEP_1) | instskip(NEXT) | instid1(VALU_DEP_1)
	v_fmac_f32_e32 v77, v78, v77
	v_mul_f32_e32 v78, v79, v77
	s_delay_alu instid0(VALU_DEP_1) | instskip(NEXT) | instid1(VALU_DEP_1)
	v_fma_f32 v80, -v76, v78, v79
	v_fmac_f32_e32 v78, v80, v77
	s_delay_alu instid0(VALU_DEP_1) | instskip(NEXT) | instid1(VALU_DEP_1)
	v_fma_f32 v76, -v76, v78, v79
	v_div_fmas_f32 v76, v76, v77, v78
	s_delay_alu instid0(VALU_DEP_1) | instskip(NEXT) | instid1(VALU_DEP_1)
	v_div_fixup_f32 v76, v76, v75, v74
	v_fmac_f32_e32 v75, v74, v76
	s_delay_alu instid0(VALU_DEP_1) | instskip(SKIP_1) | instid1(VALU_DEP_2)
	v_div_scale_f32 v74, null, v75, v75, 1.0
	v_div_scale_f32 v79, vcc_lo, 1.0, v75, 1.0
	v_rcp_f32_e32 v77, v74
	v_nop
	s_delay_alu instid0(TRANS32_DEP_1) | instskip(NEXT) | instid1(VALU_DEP_1)
	v_fma_f32 v78, -v74, v77, 1.0
	v_fmac_f32_e32 v77, v78, v77
	s_delay_alu instid0(VALU_DEP_1) | instskip(NEXT) | instid1(VALU_DEP_1)
	v_mul_f32_e32 v78, v79, v77
	v_fma_f32 v80, -v74, v78, v79
	s_delay_alu instid0(VALU_DEP_1) | instskip(NEXT) | instid1(VALU_DEP_1)
	v_fmac_f32_e32 v78, v80, v77
	v_fma_f32 v74, -v74, v78, v79
	s_delay_alu instid0(VALU_DEP_1) | instskip(NEXT) | instid1(VALU_DEP_1)
	v_div_fmas_f32 v74, v74, v77, v78
	v_div_fixup_f32 v74, v74, v75, 1.0
	s_delay_alu instid0(VALU_DEP_1)
	v_mul_f32_e32 v76, v76, v74
	v_xor_b32_e32 v77, 0x80000000, v74
                                        ; implicit-def: $vgpr74_vgpr75
.LBB33_23:
	s_and_not1_saveexec_b32 s1, s1
	s_cbranch_execz .LBB33_25
; %bb.24:
	v_div_scale_f32 v76, null, v74, v74, v75
	v_div_scale_f32 v79, vcc_lo, v75, v74, v75
	s_delay_alu instid0(VALU_DEP_2) | instskip(SKIP_1) | instid1(TRANS32_DEP_1)
	v_rcp_f32_e32 v77, v76
	v_nop
	v_fma_f32 v78, -v76, v77, 1.0
	s_delay_alu instid0(VALU_DEP_1) | instskip(NEXT) | instid1(VALU_DEP_1)
	v_fmac_f32_e32 v77, v78, v77
	v_mul_f32_e32 v78, v79, v77
	s_delay_alu instid0(VALU_DEP_1) | instskip(NEXT) | instid1(VALU_DEP_1)
	v_fma_f32 v80, -v76, v78, v79
	v_fmac_f32_e32 v78, v80, v77
	s_delay_alu instid0(VALU_DEP_1) | instskip(NEXT) | instid1(VALU_DEP_1)
	v_fma_f32 v76, -v76, v78, v79
	v_div_fmas_f32 v76, v76, v77, v78
	s_delay_alu instid0(VALU_DEP_1) | instskip(NEXT) | instid1(VALU_DEP_1)
	v_div_fixup_f32 v77, v76, v74, v75
	v_fmac_f32_e32 v74, v75, v77
	s_delay_alu instid0(VALU_DEP_1) | instskip(NEXT) | instid1(VALU_DEP_1)
	v_div_scale_f32 v75, null, v74, v74, 1.0
	v_rcp_f32_e32 v76, v75
	v_nop
	s_delay_alu instid0(TRANS32_DEP_1) | instskip(NEXT) | instid1(VALU_DEP_1)
	v_fma_f32 v78, -v75, v76, 1.0
	v_fmac_f32_e32 v76, v78, v76
	v_div_scale_f32 v78, vcc_lo, 1.0, v74, 1.0
	s_delay_alu instid0(VALU_DEP_1) | instskip(NEXT) | instid1(VALU_DEP_1)
	v_mul_f32_e32 v79, v78, v76
	v_fma_f32 v80, -v75, v79, v78
	s_delay_alu instid0(VALU_DEP_1) | instskip(NEXT) | instid1(VALU_DEP_1)
	v_fmac_f32_e32 v79, v80, v76
	v_fma_f32 v75, -v75, v79, v78
	s_delay_alu instid0(VALU_DEP_1) | instskip(NEXT) | instid1(VALU_DEP_1)
	v_div_fmas_f32 v75, v75, v76, v79
	v_div_fixup_f32 v76, v75, v74, 1.0
	s_delay_alu instid0(VALU_DEP_1)
	v_mul_f32_e64 v77, v77, -v76
.LBB33_25:
	s_or_b32 exec_lo, exec_lo, s1
	ds_store_b64 v105, v[76:77]
.LBB33_26:
	s_or_b32 exec_lo, exec_lo, s2
	s_wait_dscnt 0x0
	s_barrier_signal -1
	s_barrier_wait -1
	ds_load_b64 v[74:75], v105
	s_mov_b32 s1, exec_lo
	v_cmpx_lt_u32_e32 2, v104
	s_cbranch_execz .LBB33_28
; %bb.27:
	s_wait_dscnt 0x0
	v_pk_mul_f32 v[76:77], v[74:75], v[46:47] op_sel:[1,1] op_sel_hi:[0,1]
	s_delay_alu instid0(VALU_DEP_1)
	v_pk_fma_f32 v[80:81], v[74:75], v[46:47], v[76:77] op_sel_hi:[1,0,1] neg_lo:[0,0,1] neg_hi:[0,0,1]
	v_pk_fma_f32 v[82:83], v[74:75], v[46:47], v[76:77] op_sel_hi:[1,0,1]
	ds_load_2addr_b64 v[76:79], v106 offset0:3 offset1:4
	v_dual_mov_b32 v46, v80 :: v_dual_mov_b32 v47, v83
	s_wait_dscnt 0x0
	v_pk_mul_f32 v[84:85], v[76:77], v[82:83] op_sel:[0,1]
	s_delay_alu instid0(VALU_DEP_1) | instskip(SKIP_1) | instid1(VALU_DEP_1)
	v_pk_fma_f32 v[86:87], v[76:77], v[80:81], v[84:85] op_sel:[0,0,1] op_sel_hi:[1,1,0] neg_lo:[0,0,1] neg_hi:[0,0,1]
	v_pk_fma_f32 v[76:77], v[76:77], v[80:81], v[84:85] op_sel:[0,0,1] op_sel_hi:[1,0,0]
	v_mov_b32_e32 v87, v77
	v_pk_mul_f32 v[76:77], v[78:79], v[82:83] op_sel:[0,1]
	s_delay_alu instid0(VALU_DEP_1) | instskip(SKIP_1) | instid1(VALU_DEP_1)
	v_pk_fma_f32 v[84:85], v[78:79], v[80:81], v[76:77] op_sel:[0,0,1] op_sel_hi:[1,1,0] neg_lo:[0,0,1] neg_hi:[0,0,1]
	v_pk_fma_f32 v[76:77], v[78:79], v[80:81], v[76:77] op_sel:[0,0,1] op_sel_hi:[1,0,0]
	v_mov_b32_e32 v85, v77
	ds_load_2addr_b64 v[76:79], v106 offset0:5 offset1:6
	v_pk_add_f32 v[44:45], v[44:45], v[86:87] neg_lo:[0,1] neg_hi:[0,1]
	v_pk_add_f32 v[28:29], v[28:29], v[84:85] neg_lo:[0,1] neg_hi:[0,1]
	s_wait_dscnt 0x0
	v_pk_mul_f32 v[84:85], v[76:77], v[82:83] op_sel:[0,1]
	s_delay_alu instid0(VALU_DEP_1) | instskip(SKIP_2) | instid1(VALU_DEP_2)
	v_pk_fma_f32 v[86:87], v[76:77], v[80:81], v[84:85] op_sel:[0,0,1] op_sel_hi:[1,1,0] neg_lo:[0,0,1] neg_hi:[0,0,1]
	v_pk_fma_f32 v[76:77], v[76:77], v[80:81], v[84:85] op_sel:[0,0,1] op_sel_hi:[1,0,0]
	v_dual_mul_f32 v84, v79, v83 :: v_dual_mov_b32 v76, v79
	v_dual_mov_b32 v87, v77 :: v_dual_mov_b32 v77, v78
	s_delay_alu instid0(VALU_DEP_2) | instskip(SKIP_1) | instid1(VALU_DEP_3)
	v_pk_fma_f32 v[84:85], v[78:79], v[46:47], v[84:85] op_sel_hi:[1,1,0] neg_lo:[0,0,1] neg_hi:[0,0,1]
	v_mul_f32_e32 v78, v79, v80
	v_pk_add_f32 v[24:25], v[24:25], v[86:87] neg_lo:[0,1] neg_hi:[0,1]
	s_delay_alu instid0(VALU_DEP_2) | instskip(NEXT) | instid1(VALU_DEP_1)
	v_pk_fma_f32 v[76:77], v[76:77], v[46:47], v[78:79] op_sel_hi:[1,1,0]
	v_mov_b32_e32 v85, v77
	ds_load_2addr_b64 v[76:79], v106 offset0:7 offset1:8
	v_pk_add_f32 v[26:27], v[26:27], v[84:85] neg_lo:[0,1] neg_hi:[0,1]
	s_wait_dscnt 0x0
	v_pk_mul_f32 v[84:85], v[76:77], v[82:83] op_sel:[0,1]
	s_delay_alu instid0(VALU_DEP_1) | instskip(SKIP_1) | instid1(VALU_DEP_1)
	v_pk_fma_f32 v[86:87], v[76:77], v[80:81], v[84:85] op_sel:[0,0,1] op_sel_hi:[1,1,0] neg_lo:[0,0,1] neg_hi:[0,0,1]
	v_pk_fma_f32 v[76:77], v[76:77], v[80:81], v[84:85] op_sel:[0,0,1] op_sel_hi:[1,0,0]
	v_mov_b32_e32 v87, v77
	v_pk_mul_f32 v[76:77], v[78:79], v[82:83] op_sel:[0,1]
	s_delay_alu instid0(VALU_DEP_1) | instskip(SKIP_1) | instid1(VALU_DEP_1)
	v_pk_fma_f32 v[84:85], v[78:79], v[80:81], v[76:77] op_sel:[0,0,1] op_sel_hi:[1,1,0] neg_lo:[0,0,1] neg_hi:[0,0,1]
	v_pk_fma_f32 v[76:77], v[78:79], v[80:81], v[76:77] op_sel:[0,0,1] op_sel_hi:[1,0,0]
	v_mov_b32_e32 v85, v77
	ds_load_2addr_b64 v[76:79], v106 offset0:9 offset1:10
	v_pk_add_f32 v[22:23], v[22:23], v[86:87] neg_lo:[0,1] neg_hi:[0,1]
	v_pk_add_f32 v[58:59], v[58:59], v[84:85] neg_lo:[0,1] neg_hi:[0,1]
	s_wait_dscnt 0x0
	v_pk_mul_f32 v[84:85], v[76:77], v[82:83] op_sel:[0,1]
	s_delay_alu instid0(VALU_DEP_1) | instskip(SKIP_1) | instid1(VALU_DEP_1)
	v_pk_fma_f32 v[86:87], v[76:77], v[80:81], v[84:85] op_sel:[0,0,1] op_sel_hi:[1,1,0] neg_lo:[0,0,1] neg_hi:[0,0,1]
	v_pk_fma_f32 v[76:77], v[76:77], v[80:81], v[84:85] op_sel:[0,0,1] op_sel_hi:[1,0,0]
	v_mov_b32_e32 v87, v77
	v_pk_mul_f32 v[76:77], v[78:79], v[82:83] op_sel:[0,1]
	s_delay_alu instid0(VALU_DEP_1) | instskip(SKIP_1) | instid1(VALU_DEP_1)
	v_pk_fma_f32 v[84:85], v[78:79], v[80:81], v[76:77] op_sel:[0,0,1] op_sel_hi:[1,1,0] neg_lo:[0,0,1] neg_hi:[0,0,1]
	v_pk_fma_f32 v[76:77], v[78:79], v[80:81], v[76:77] op_sel:[0,0,1] op_sel_hi:[1,0,0]
	v_mov_b32_e32 v85, v77
	ds_load_2addr_b64 v[76:79], v106 offset0:11 offset1:12
	v_pk_add_f32 v[52:53], v[52:53], v[86:87] neg_lo:[0,1] neg_hi:[0,1]
	v_pk_add_f32 v[56:57], v[56:57], v[84:85] neg_lo:[0,1] neg_hi:[0,1]
	s_wait_dscnt 0x0
	v_dual_mul_f32 v84, v77, v83 :: v_dual_mul_f32 v86, v77, v80
	s_delay_alu instid0(VALU_DEP_1) | instskip(NEXT) | instid1(VALU_DEP_2)
	v_pk_fma_f32 v[84:85], v[76:77], v[46:47], v[84:85] op_sel_hi:[1,1,0] neg_lo:[0,0,1] neg_hi:[0,0,1]
	v_pk_fma_f32 v[76:77], v[76:77], v[46:47], v[86:87] op_sel:[1,0,0] op_sel_hi:[0,1,0]
	s_delay_alu instid0(VALU_DEP_1) | instskip(SKIP_1) | instid1(VALU_DEP_2)
	v_mov_b32_e32 v85, v77
	v_pk_mul_f32 v[76:77], v[78:79], v[82:83] op_sel:[0,1]
	v_pk_add_f32 v[50:51], v[50:51], v[84:85] neg_lo:[0,1] neg_hi:[0,1]
	s_delay_alu instid0(VALU_DEP_2) | instskip(SKIP_1) | instid1(VALU_DEP_1)
	v_pk_fma_f32 v[84:85], v[78:79], v[80:81], v[76:77] op_sel:[0,0,1] op_sel_hi:[1,1,0] neg_lo:[0,0,1] neg_hi:[0,0,1]
	v_pk_fma_f32 v[76:77], v[78:79], v[80:81], v[76:77] op_sel:[0,0,1] op_sel_hi:[1,0,0]
	v_mov_b32_e32 v85, v77
	ds_load_2addr_b64 v[76:79], v106 offset0:13 offset1:14
	v_pk_add_f32 v[54:55], v[54:55], v[84:85] neg_lo:[0,1] neg_hi:[0,1]
	s_wait_dscnt 0x0
	v_pk_mul_f32 v[84:85], v[76:77], v[82:83] op_sel:[0,1]
	s_delay_alu instid0(VALU_DEP_1) | instskip(SKIP_1) | instid1(VALU_DEP_1)
	v_pk_fma_f32 v[86:87], v[76:77], v[80:81], v[84:85] op_sel:[0,0,1] op_sel_hi:[1,1,0] neg_lo:[0,0,1] neg_hi:[0,0,1]
	v_pk_fma_f32 v[76:77], v[76:77], v[80:81], v[84:85] op_sel:[0,0,1] op_sel_hi:[1,0,0]
	v_mov_b32_e32 v87, v77
	v_pk_mul_f32 v[76:77], v[78:79], v[82:83] op_sel:[0,1]
	s_delay_alu instid0(VALU_DEP_2) | instskip(NEXT) | instid1(VALU_DEP_2)
	v_pk_add_f32 v[66:67], v[66:67], v[86:87] neg_lo:[0,1] neg_hi:[0,1]
	v_pk_fma_f32 v[84:85], v[78:79], v[80:81], v[76:77] op_sel:[0,0,1] op_sel_hi:[1,1,0] neg_lo:[0,0,1] neg_hi:[0,0,1]
	v_pk_fma_f32 v[76:77], v[78:79], v[80:81], v[76:77] op_sel:[0,0,1] op_sel_hi:[1,0,0]
	s_delay_alu instid0(VALU_DEP_1) | instskip(SKIP_4) | instid1(VALU_DEP_1)
	v_mov_b32_e32 v85, v77
	ds_load_2addr_b64 v[76:79], v106 offset0:15 offset1:16
	v_pk_add_f32 v[62:63], v[62:63], v[84:85] neg_lo:[0,1] neg_hi:[0,1]
	s_wait_dscnt 0x0
	v_pk_mul_f32 v[84:85], v[76:77], v[82:83] op_sel:[0,1]
	v_pk_fma_f32 v[86:87], v[76:77], v[80:81], v[84:85] op_sel:[0,0,1] op_sel_hi:[1,1,0] neg_lo:[0,0,1] neg_hi:[0,0,1]
	v_pk_fma_f32 v[76:77], v[76:77], v[80:81], v[84:85] op_sel:[0,0,1] op_sel_hi:[1,0,0]
	s_delay_alu instid0(VALU_DEP_1) | instskip(SKIP_1) | instid1(VALU_DEP_2)
	v_mov_b32_e32 v87, v77
	v_pk_mul_f32 v[76:77], v[78:79], v[82:83] op_sel:[0,1]
	v_pk_add_f32 v[60:61], v[60:61], v[86:87] neg_lo:[0,1] neg_hi:[0,1]
	s_delay_alu instid0(VALU_DEP_2) | instskip(SKIP_1) | instid1(VALU_DEP_1)
	v_pk_fma_f32 v[82:83], v[78:79], v[80:81], v[76:77] op_sel:[0,0,1] op_sel_hi:[1,1,0] neg_lo:[0,0,1] neg_hi:[0,0,1]
	v_pk_fma_f32 v[76:77], v[78:79], v[80:81], v[76:77] op_sel:[0,0,1] op_sel_hi:[1,0,0]
	v_mov_b32_e32 v83, v77
	s_delay_alu instid0(VALU_DEP_1)
	v_pk_add_f32 v[64:65], v[64:65], v[82:83] neg_lo:[0,1] neg_hi:[0,1]
.LBB33_28:
	s_or_b32 exec_lo, exec_lo, s1
	s_delay_alu instid0(SALU_CYCLE_1)
	s_mov_b32 s2, exec_lo
	s_wait_dscnt 0x0
	s_barrier_signal -1
	s_barrier_wait -1
	v_cmpx_eq_u32_e32 3, v104
	s_cbranch_execz .LBB33_35
; %bb.29:
	v_dual_mov_b32 v76, v28 :: v_dual_mov_b32 v77, v29
	v_dual_mov_b32 v78, v24 :: v_dual_mov_b32 v79, v25
	ds_store_b64 v105, v[44:45]
	ds_store_2addr_b64 v106, v[76:77], v[78:79] offset0:4 offset1:5
	v_dual_mov_b32 v76, v26 :: v_dual_mov_b32 v77, v27
	v_dual_mov_b32 v78, v22 :: v_dual_mov_b32 v79, v23
	ds_store_2addr_b64 v106, v[76:77], v[78:79] offset0:6 offset1:7
	v_dual_mov_b32 v76, v58 :: v_dual_mov_b32 v77, v59
	v_dual_mov_b32 v78, v52 :: v_dual_mov_b32 v79, v53
	;; [unrolled: 3-line block ×5, first 2 shown]
	ds_store_2addr_b64 v106, v[76:77], v[78:79] offset0:14 offset1:15
	ds_store_b64 v106, v[64:65] offset:128
	ds_load_b64 v[76:77], v105
	s_wait_dscnt 0x0
	v_cmp_neq_f32_e32 vcc_lo, 0, v76
	v_cmp_neq_f32_e64 s1, 0, v77
	s_or_b32 s1, vcc_lo, s1
	s_delay_alu instid0(SALU_CYCLE_1)
	s_and_b32 exec_lo, exec_lo, s1
	s_cbranch_execz .LBB33_35
; %bb.30:
	v_cmp_ngt_f32_e64 s1, |v76|, |v77|
                                        ; implicit-def: $vgpr78_vgpr79
	s_and_saveexec_b32 s4, s1
	s_delay_alu instid0(SALU_CYCLE_1)
	s_xor_b32 s1, exec_lo, s4
	s_cbranch_execz .LBB33_32
; %bb.31:
	v_div_scale_f32 v78, null, v77, v77, v76
	v_div_scale_f32 v81, vcc_lo, v76, v77, v76
	s_delay_alu instid0(VALU_DEP_2) | instskip(SKIP_1) | instid1(TRANS32_DEP_1)
	v_rcp_f32_e32 v79, v78
	v_nop
	v_fma_f32 v80, -v78, v79, 1.0
	s_delay_alu instid0(VALU_DEP_1) | instskip(NEXT) | instid1(VALU_DEP_1)
	v_fmac_f32_e32 v79, v80, v79
	v_mul_f32_e32 v80, v81, v79
	s_delay_alu instid0(VALU_DEP_1) | instskip(NEXT) | instid1(VALU_DEP_1)
	v_fma_f32 v82, -v78, v80, v81
	v_fmac_f32_e32 v80, v82, v79
	s_delay_alu instid0(VALU_DEP_1) | instskip(NEXT) | instid1(VALU_DEP_1)
	v_fma_f32 v78, -v78, v80, v81
	v_div_fmas_f32 v78, v78, v79, v80
	s_delay_alu instid0(VALU_DEP_1) | instskip(NEXT) | instid1(VALU_DEP_1)
	v_div_fixup_f32 v78, v78, v77, v76
	v_fmac_f32_e32 v77, v76, v78
	s_delay_alu instid0(VALU_DEP_1) | instskip(SKIP_1) | instid1(VALU_DEP_2)
	v_div_scale_f32 v76, null, v77, v77, 1.0
	v_div_scale_f32 v81, vcc_lo, 1.0, v77, 1.0
	v_rcp_f32_e32 v79, v76
	v_nop
	s_delay_alu instid0(TRANS32_DEP_1) | instskip(NEXT) | instid1(VALU_DEP_1)
	v_fma_f32 v80, -v76, v79, 1.0
	v_fmac_f32_e32 v79, v80, v79
	s_delay_alu instid0(VALU_DEP_1) | instskip(NEXT) | instid1(VALU_DEP_1)
	v_mul_f32_e32 v80, v81, v79
	v_fma_f32 v82, -v76, v80, v81
	s_delay_alu instid0(VALU_DEP_1) | instskip(NEXT) | instid1(VALU_DEP_1)
	v_fmac_f32_e32 v80, v82, v79
	v_fma_f32 v76, -v76, v80, v81
	s_delay_alu instid0(VALU_DEP_1) | instskip(NEXT) | instid1(VALU_DEP_1)
	v_div_fmas_f32 v76, v76, v79, v80
	v_div_fixup_f32 v76, v76, v77, 1.0
	s_delay_alu instid0(VALU_DEP_1)
	v_mul_f32_e32 v78, v78, v76
	v_xor_b32_e32 v79, 0x80000000, v76
                                        ; implicit-def: $vgpr76_vgpr77
.LBB33_32:
	s_and_not1_saveexec_b32 s1, s1
	s_cbranch_execz .LBB33_34
; %bb.33:
	v_div_scale_f32 v78, null, v76, v76, v77
	v_div_scale_f32 v81, vcc_lo, v77, v76, v77
	s_delay_alu instid0(VALU_DEP_2) | instskip(SKIP_1) | instid1(TRANS32_DEP_1)
	v_rcp_f32_e32 v79, v78
	v_nop
	v_fma_f32 v80, -v78, v79, 1.0
	s_delay_alu instid0(VALU_DEP_1) | instskip(NEXT) | instid1(VALU_DEP_1)
	v_fmac_f32_e32 v79, v80, v79
	v_mul_f32_e32 v80, v81, v79
	s_delay_alu instid0(VALU_DEP_1) | instskip(NEXT) | instid1(VALU_DEP_1)
	v_fma_f32 v82, -v78, v80, v81
	v_fmac_f32_e32 v80, v82, v79
	s_delay_alu instid0(VALU_DEP_1) | instskip(NEXT) | instid1(VALU_DEP_1)
	v_fma_f32 v78, -v78, v80, v81
	v_div_fmas_f32 v78, v78, v79, v80
	s_delay_alu instid0(VALU_DEP_1) | instskip(NEXT) | instid1(VALU_DEP_1)
	v_div_fixup_f32 v79, v78, v76, v77
	v_fmac_f32_e32 v76, v77, v79
	s_delay_alu instid0(VALU_DEP_1) | instskip(NEXT) | instid1(VALU_DEP_1)
	v_div_scale_f32 v77, null, v76, v76, 1.0
	v_rcp_f32_e32 v78, v77
	v_nop
	s_delay_alu instid0(TRANS32_DEP_1) | instskip(NEXT) | instid1(VALU_DEP_1)
	v_fma_f32 v80, -v77, v78, 1.0
	v_fmac_f32_e32 v78, v80, v78
	v_div_scale_f32 v80, vcc_lo, 1.0, v76, 1.0
	s_delay_alu instid0(VALU_DEP_1) | instskip(NEXT) | instid1(VALU_DEP_1)
	v_mul_f32_e32 v81, v80, v78
	v_fma_f32 v82, -v77, v81, v80
	s_delay_alu instid0(VALU_DEP_1) | instskip(NEXT) | instid1(VALU_DEP_1)
	v_fmac_f32_e32 v81, v82, v78
	v_fma_f32 v77, -v77, v81, v80
	s_delay_alu instid0(VALU_DEP_1) | instskip(NEXT) | instid1(VALU_DEP_1)
	v_div_fmas_f32 v77, v77, v78, v81
	v_div_fixup_f32 v78, v77, v76, 1.0
	s_delay_alu instid0(VALU_DEP_1)
	v_mul_f32_e64 v79, v79, -v78
.LBB33_34:
	s_or_b32 exec_lo, exec_lo, s1
	ds_store_b64 v105, v[78:79]
.LBB33_35:
	s_or_b32 exec_lo, exec_lo, s2
	s_wait_dscnt 0x0
	s_barrier_signal -1
	s_barrier_wait -1
	ds_load_b64 v[76:77], v105
	s_mov_b32 s1, exec_lo
	v_cmpx_lt_u32_e32 3, v104
	s_cbranch_execz .LBB33_37
; %bb.36:
	s_wait_dscnt 0x0
	v_pk_mul_f32 v[78:79], v[76:77], v[44:45] op_sel:[1,1] op_sel_hi:[0,1]
	s_delay_alu instid0(VALU_DEP_1)
	v_pk_fma_f32 v[82:83], v[76:77], v[44:45], v[78:79] op_sel_hi:[1,0,1] neg_lo:[0,0,1] neg_hi:[0,0,1]
	v_pk_fma_f32 v[84:85], v[76:77], v[44:45], v[78:79] op_sel_hi:[1,0,1]
	ds_load_2addr_b64 v[78:81], v106 offset0:4 offset1:5
	v_dual_mov_b32 v44, v82 :: v_dual_mov_b32 v45, v85
	s_wait_dscnt 0x0
	v_pk_mul_f32 v[86:87], v[78:79], v[84:85] op_sel:[0,1]
	s_delay_alu instid0(VALU_DEP_1) | instskip(SKIP_1) | instid1(VALU_DEP_1)
	v_pk_fma_f32 v[88:89], v[78:79], v[82:83], v[86:87] op_sel:[0,0,1] op_sel_hi:[1,1,0] neg_lo:[0,0,1] neg_hi:[0,0,1]
	v_pk_fma_f32 v[78:79], v[78:79], v[82:83], v[86:87] op_sel:[0,0,1] op_sel_hi:[1,0,0]
	v_mov_b32_e32 v89, v79
	v_pk_mul_f32 v[78:79], v[80:81], v[84:85] op_sel:[0,1]
	s_delay_alu instid0(VALU_DEP_1) | instskip(SKIP_1) | instid1(VALU_DEP_1)
	v_pk_fma_f32 v[86:87], v[80:81], v[82:83], v[78:79] op_sel:[0,0,1] op_sel_hi:[1,1,0] neg_lo:[0,0,1] neg_hi:[0,0,1]
	v_pk_fma_f32 v[78:79], v[80:81], v[82:83], v[78:79] op_sel:[0,0,1] op_sel_hi:[1,0,0]
	v_mov_b32_e32 v87, v79
	ds_load_2addr_b64 v[78:81], v106 offset0:6 offset1:7
	v_pk_add_f32 v[28:29], v[28:29], v[88:89] neg_lo:[0,1] neg_hi:[0,1]
	v_pk_add_f32 v[24:25], v[24:25], v[86:87] neg_lo:[0,1] neg_hi:[0,1]
	s_wait_dscnt 0x0
	v_pk_mul_f32 v[86:87], v[78:79], v[84:85] op_sel:[0,1]
	s_delay_alu instid0(VALU_DEP_1) | instskip(SKIP_2) | instid1(VALU_DEP_2)
	v_pk_fma_f32 v[88:89], v[78:79], v[82:83], v[86:87] op_sel:[0,0,1] op_sel_hi:[1,1,0] neg_lo:[0,0,1] neg_hi:[0,0,1]
	v_pk_fma_f32 v[78:79], v[78:79], v[82:83], v[86:87] op_sel:[0,0,1] op_sel_hi:[1,0,0]
	v_dual_mul_f32 v86, v81, v85 :: v_dual_mov_b32 v78, v81
	v_dual_mov_b32 v89, v79 :: v_dual_mov_b32 v79, v80
	s_delay_alu instid0(VALU_DEP_2) | instskip(SKIP_1) | instid1(VALU_DEP_3)
	v_pk_fma_f32 v[86:87], v[80:81], v[44:45], v[86:87] op_sel_hi:[1,1,0] neg_lo:[0,0,1] neg_hi:[0,0,1]
	v_mul_f32_e32 v80, v81, v82
	v_pk_add_f32 v[26:27], v[26:27], v[88:89] neg_lo:[0,1] neg_hi:[0,1]
	s_delay_alu instid0(VALU_DEP_2) | instskip(NEXT) | instid1(VALU_DEP_1)
	v_pk_fma_f32 v[78:79], v[78:79], v[44:45], v[80:81] op_sel_hi:[1,1,0]
	v_mov_b32_e32 v87, v79
	ds_load_2addr_b64 v[78:81], v106 offset0:8 offset1:9
	v_pk_add_f32 v[22:23], v[22:23], v[86:87] neg_lo:[0,1] neg_hi:[0,1]
	s_wait_dscnt 0x0
	v_pk_mul_f32 v[86:87], v[78:79], v[84:85] op_sel:[0,1]
	s_delay_alu instid0(VALU_DEP_1) | instskip(SKIP_1) | instid1(VALU_DEP_1)
	v_pk_fma_f32 v[88:89], v[78:79], v[82:83], v[86:87] op_sel:[0,0,1] op_sel_hi:[1,1,0] neg_lo:[0,0,1] neg_hi:[0,0,1]
	v_pk_fma_f32 v[78:79], v[78:79], v[82:83], v[86:87] op_sel:[0,0,1] op_sel_hi:[1,0,0]
	v_mov_b32_e32 v89, v79
	v_pk_mul_f32 v[78:79], v[80:81], v[84:85] op_sel:[0,1]
	s_delay_alu instid0(VALU_DEP_1) | instskip(SKIP_1) | instid1(VALU_DEP_1)
	v_pk_fma_f32 v[86:87], v[80:81], v[82:83], v[78:79] op_sel:[0,0,1] op_sel_hi:[1,1,0] neg_lo:[0,0,1] neg_hi:[0,0,1]
	v_pk_fma_f32 v[78:79], v[80:81], v[82:83], v[78:79] op_sel:[0,0,1] op_sel_hi:[1,0,0]
	v_mov_b32_e32 v87, v79
	ds_load_2addr_b64 v[78:81], v106 offset0:10 offset1:11
	v_pk_add_f32 v[58:59], v[58:59], v[88:89] neg_lo:[0,1] neg_hi:[0,1]
	v_pk_add_f32 v[52:53], v[52:53], v[86:87] neg_lo:[0,1] neg_hi:[0,1]
	s_wait_dscnt 0x0
	v_pk_mul_f32 v[86:87], v[78:79], v[84:85] op_sel:[0,1]
	s_delay_alu instid0(VALU_DEP_1) | instskip(SKIP_1) | instid1(VALU_DEP_1)
	v_pk_fma_f32 v[88:89], v[78:79], v[82:83], v[86:87] op_sel:[0,0,1] op_sel_hi:[1,1,0] neg_lo:[0,0,1] neg_hi:[0,0,1]
	v_pk_fma_f32 v[78:79], v[78:79], v[82:83], v[86:87] op_sel:[0,0,1] op_sel_hi:[1,0,0]
	v_mov_b32_e32 v89, v79
	v_pk_mul_f32 v[78:79], v[80:81], v[84:85] op_sel:[0,1]
	s_delay_alu instid0(VALU_DEP_1) | instskip(SKIP_1) | instid1(VALU_DEP_1)
	v_pk_fma_f32 v[86:87], v[80:81], v[82:83], v[78:79] op_sel:[0,0,1] op_sel_hi:[1,1,0] neg_lo:[0,0,1] neg_hi:[0,0,1]
	v_pk_fma_f32 v[78:79], v[80:81], v[82:83], v[78:79] op_sel:[0,0,1] op_sel_hi:[1,0,0]
	v_mov_b32_e32 v87, v79
	ds_load_2addr_b64 v[78:81], v106 offset0:12 offset1:13
	v_pk_add_f32 v[56:57], v[56:57], v[88:89] neg_lo:[0,1] neg_hi:[0,1]
	v_pk_add_f32 v[50:51], v[50:51], v[86:87] neg_lo:[0,1] neg_hi:[0,1]
	s_wait_dscnt 0x0
	v_dual_mul_f32 v86, v79, v85 :: v_dual_mul_f32 v88, v79, v82
	s_delay_alu instid0(VALU_DEP_1) | instskip(NEXT) | instid1(VALU_DEP_2)
	v_pk_fma_f32 v[86:87], v[78:79], v[44:45], v[86:87] op_sel_hi:[1,1,0] neg_lo:[0,0,1] neg_hi:[0,0,1]
	v_pk_fma_f32 v[78:79], v[78:79], v[44:45], v[88:89] op_sel:[1,0,0] op_sel_hi:[0,1,0]
	s_delay_alu instid0(VALU_DEP_1) | instskip(SKIP_1) | instid1(VALU_DEP_2)
	v_mov_b32_e32 v87, v79
	v_pk_mul_f32 v[78:79], v[80:81], v[84:85] op_sel:[0,1]
	v_pk_add_f32 v[54:55], v[54:55], v[86:87] neg_lo:[0,1] neg_hi:[0,1]
	s_delay_alu instid0(VALU_DEP_2) | instskip(SKIP_1) | instid1(VALU_DEP_1)
	v_pk_fma_f32 v[86:87], v[80:81], v[82:83], v[78:79] op_sel:[0,0,1] op_sel_hi:[1,1,0] neg_lo:[0,0,1] neg_hi:[0,0,1]
	v_pk_fma_f32 v[78:79], v[80:81], v[82:83], v[78:79] op_sel:[0,0,1] op_sel_hi:[1,0,0]
	v_mov_b32_e32 v87, v79
	ds_load_2addr_b64 v[78:81], v106 offset0:14 offset1:15
	v_pk_add_f32 v[66:67], v[66:67], v[86:87] neg_lo:[0,1] neg_hi:[0,1]
	s_wait_dscnt 0x0
	v_pk_mul_f32 v[86:87], v[78:79], v[84:85] op_sel:[0,1]
	s_delay_alu instid0(VALU_DEP_1) | instskip(SKIP_1) | instid1(VALU_DEP_1)
	v_pk_fma_f32 v[88:89], v[78:79], v[82:83], v[86:87] op_sel:[0,0,1] op_sel_hi:[1,1,0] neg_lo:[0,0,1] neg_hi:[0,0,1]
	v_pk_fma_f32 v[78:79], v[78:79], v[82:83], v[86:87] op_sel:[0,0,1] op_sel_hi:[1,0,0]
	v_mov_b32_e32 v89, v79
	v_pk_mul_f32 v[78:79], v[80:81], v[84:85] op_sel:[0,1]
	s_delay_alu instid0(VALU_DEP_2) | instskip(NEXT) | instid1(VALU_DEP_2)
	v_pk_add_f32 v[62:63], v[62:63], v[88:89] neg_lo:[0,1] neg_hi:[0,1]
	v_pk_fma_f32 v[86:87], v[80:81], v[82:83], v[78:79] op_sel:[0,0,1] op_sel_hi:[1,1,0] neg_lo:[0,0,1] neg_hi:[0,0,1]
	v_pk_fma_f32 v[78:79], v[80:81], v[82:83], v[78:79] op_sel:[0,0,1] op_sel_hi:[1,0,0]
	s_delay_alu instid0(VALU_DEP_1) | instskip(SKIP_4) | instid1(VALU_DEP_1)
	v_mov_b32_e32 v87, v79
	ds_load_b64 v[78:79], v106 offset:128
	v_pk_add_f32 v[60:61], v[60:61], v[86:87] neg_lo:[0,1] neg_hi:[0,1]
	s_wait_dscnt 0x0
	v_pk_mul_f32 v[80:81], v[78:79], v[84:85] op_sel:[0,1]
	v_pk_fma_f32 v[84:85], v[78:79], v[82:83], v[80:81] op_sel:[0,0,1] op_sel_hi:[1,1,0] neg_lo:[0,0,1] neg_hi:[0,0,1]
	v_pk_fma_f32 v[78:79], v[78:79], v[82:83], v[80:81] op_sel:[0,0,1] op_sel_hi:[1,0,0]
	s_delay_alu instid0(VALU_DEP_1) | instskip(NEXT) | instid1(VALU_DEP_1)
	v_mov_b32_e32 v85, v79
	v_pk_add_f32 v[64:65], v[64:65], v[84:85] neg_lo:[0,1] neg_hi:[0,1]
.LBB33_37:
	s_or_b32 exec_lo, exec_lo, s1
	s_delay_alu instid0(SALU_CYCLE_1)
	s_mov_b32 s2, exec_lo
	s_wait_dscnt 0x0
	s_barrier_signal -1
	s_barrier_wait -1
	v_cmpx_eq_u32_e32 4, v104
	s_cbranch_execz .LBB33_44
; %bb.38:
	ds_store_b64 v105, v[28:29]
	ds_store_2addr_b64 v106, v[24:25], v[26:27] offset0:5 offset1:6
	ds_store_2addr_b64 v106, v[22:23], v[58:59] offset0:7 offset1:8
	;; [unrolled: 1-line block ×6, first 2 shown]
	ds_load_b64 v[78:79], v105
	s_wait_dscnt 0x0
	v_cmp_neq_f32_e32 vcc_lo, 0, v78
	v_cmp_neq_f32_e64 s1, 0, v79
	s_or_b32 s1, vcc_lo, s1
	s_delay_alu instid0(SALU_CYCLE_1)
	s_and_b32 exec_lo, exec_lo, s1
	s_cbranch_execz .LBB33_44
; %bb.39:
	v_cmp_ngt_f32_e64 s1, |v78|, |v79|
                                        ; implicit-def: $vgpr80_vgpr81
	s_and_saveexec_b32 s4, s1
	s_delay_alu instid0(SALU_CYCLE_1)
	s_xor_b32 s1, exec_lo, s4
	s_cbranch_execz .LBB33_41
; %bb.40:
	v_div_scale_f32 v80, null, v79, v79, v78
	v_div_scale_f32 v83, vcc_lo, v78, v79, v78
	s_delay_alu instid0(VALU_DEP_2) | instskip(SKIP_1) | instid1(TRANS32_DEP_1)
	v_rcp_f32_e32 v81, v80
	v_nop
	v_fma_f32 v82, -v80, v81, 1.0
	s_delay_alu instid0(VALU_DEP_1) | instskip(NEXT) | instid1(VALU_DEP_1)
	v_fmac_f32_e32 v81, v82, v81
	v_mul_f32_e32 v82, v83, v81
	s_delay_alu instid0(VALU_DEP_1) | instskip(NEXT) | instid1(VALU_DEP_1)
	v_fma_f32 v84, -v80, v82, v83
	v_fmac_f32_e32 v82, v84, v81
	s_delay_alu instid0(VALU_DEP_1) | instskip(NEXT) | instid1(VALU_DEP_1)
	v_fma_f32 v80, -v80, v82, v83
	v_div_fmas_f32 v80, v80, v81, v82
	s_delay_alu instid0(VALU_DEP_1) | instskip(NEXT) | instid1(VALU_DEP_1)
	v_div_fixup_f32 v80, v80, v79, v78
	v_fmac_f32_e32 v79, v78, v80
	s_delay_alu instid0(VALU_DEP_1) | instskip(SKIP_1) | instid1(VALU_DEP_2)
	v_div_scale_f32 v78, null, v79, v79, 1.0
	v_div_scale_f32 v83, vcc_lo, 1.0, v79, 1.0
	v_rcp_f32_e32 v81, v78
	v_nop
	s_delay_alu instid0(TRANS32_DEP_1) | instskip(NEXT) | instid1(VALU_DEP_1)
	v_fma_f32 v82, -v78, v81, 1.0
	v_fmac_f32_e32 v81, v82, v81
	s_delay_alu instid0(VALU_DEP_1) | instskip(NEXT) | instid1(VALU_DEP_1)
	v_mul_f32_e32 v82, v83, v81
	v_fma_f32 v84, -v78, v82, v83
	s_delay_alu instid0(VALU_DEP_1) | instskip(NEXT) | instid1(VALU_DEP_1)
	v_fmac_f32_e32 v82, v84, v81
	v_fma_f32 v78, -v78, v82, v83
	s_delay_alu instid0(VALU_DEP_1) | instskip(NEXT) | instid1(VALU_DEP_1)
	v_div_fmas_f32 v78, v78, v81, v82
	v_div_fixup_f32 v78, v78, v79, 1.0
	s_delay_alu instid0(VALU_DEP_1)
	v_mul_f32_e32 v80, v80, v78
	v_xor_b32_e32 v81, 0x80000000, v78
                                        ; implicit-def: $vgpr78_vgpr79
.LBB33_41:
	s_and_not1_saveexec_b32 s1, s1
	s_cbranch_execz .LBB33_43
; %bb.42:
	v_div_scale_f32 v80, null, v78, v78, v79
	v_div_scale_f32 v83, vcc_lo, v79, v78, v79
	s_delay_alu instid0(VALU_DEP_2) | instskip(SKIP_1) | instid1(TRANS32_DEP_1)
	v_rcp_f32_e32 v81, v80
	v_nop
	v_fma_f32 v82, -v80, v81, 1.0
	s_delay_alu instid0(VALU_DEP_1) | instskip(NEXT) | instid1(VALU_DEP_1)
	v_fmac_f32_e32 v81, v82, v81
	v_mul_f32_e32 v82, v83, v81
	s_delay_alu instid0(VALU_DEP_1) | instskip(NEXT) | instid1(VALU_DEP_1)
	v_fma_f32 v84, -v80, v82, v83
	v_fmac_f32_e32 v82, v84, v81
	s_delay_alu instid0(VALU_DEP_1) | instskip(NEXT) | instid1(VALU_DEP_1)
	v_fma_f32 v80, -v80, v82, v83
	v_div_fmas_f32 v80, v80, v81, v82
	s_delay_alu instid0(VALU_DEP_1) | instskip(NEXT) | instid1(VALU_DEP_1)
	v_div_fixup_f32 v81, v80, v78, v79
	v_fmac_f32_e32 v78, v79, v81
	s_delay_alu instid0(VALU_DEP_1) | instskip(NEXT) | instid1(VALU_DEP_1)
	v_div_scale_f32 v79, null, v78, v78, 1.0
	v_rcp_f32_e32 v80, v79
	v_nop
	s_delay_alu instid0(TRANS32_DEP_1) | instskip(NEXT) | instid1(VALU_DEP_1)
	v_fma_f32 v82, -v79, v80, 1.0
	v_fmac_f32_e32 v80, v82, v80
	v_div_scale_f32 v82, vcc_lo, 1.0, v78, 1.0
	s_delay_alu instid0(VALU_DEP_1) | instskip(NEXT) | instid1(VALU_DEP_1)
	v_mul_f32_e32 v83, v82, v80
	v_fma_f32 v84, -v79, v83, v82
	s_delay_alu instid0(VALU_DEP_1) | instskip(NEXT) | instid1(VALU_DEP_1)
	v_fmac_f32_e32 v83, v84, v80
	v_fma_f32 v79, -v79, v83, v82
	s_delay_alu instid0(VALU_DEP_1) | instskip(NEXT) | instid1(VALU_DEP_1)
	v_div_fmas_f32 v79, v79, v80, v83
	v_div_fixup_f32 v80, v79, v78, 1.0
	s_delay_alu instid0(VALU_DEP_1)
	v_mul_f32_e64 v81, v81, -v80
.LBB33_43:
	s_or_b32 exec_lo, exec_lo, s1
	ds_store_b64 v105, v[80:81]
.LBB33_44:
	s_or_b32 exec_lo, exec_lo, s2
	s_wait_dscnt 0x0
	s_barrier_signal -1
	s_barrier_wait -1
	ds_load_b64 v[78:79], v105
	s_mov_b32 s1, exec_lo
	v_cmpx_lt_u32_e32 4, v104
	s_cbranch_execz .LBB33_46
; %bb.45:
	s_wait_dscnt 0x0
	v_pk_mul_f32 v[80:81], v[78:79], v[28:29] op_sel:[1,1] op_sel_hi:[0,1]
	s_delay_alu instid0(VALU_DEP_1)
	v_pk_fma_f32 v[84:85], v[78:79], v[28:29], v[80:81] op_sel_hi:[1,0,1] neg_lo:[0,0,1] neg_hi:[0,0,1]
	v_pk_fma_f32 v[86:87], v[78:79], v[28:29], v[80:81] op_sel_hi:[1,0,1]
	ds_load_2addr_b64 v[80:83], v106 offset0:5 offset1:6
	v_dual_mov_b32 v28, v84 :: v_dual_mov_b32 v29, v87
	s_wait_dscnt 0x0
	v_pk_mul_f32 v[88:89], v[80:81], v[86:87] op_sel:[0,1]
	s_delay_alu instid0(VALU_DEP_1) | instskip(SKIP_1) | instid1(VALU_DEP_1)
	v_pk_fma_f32 v[90:91], v[80:81], v[84:85], v[88:89] op_sel:[0,0,1] op_sel_hi:[1,1,0] neg_lo:[0,0,1] neg_hi:[0,0,1]
	v_pk_fma_f32 v[80:81], v[80:81], v[84:85], v[88:89] op_sel:[0,0,1] op_sel_hi:[1,0,0]
	v_mov_b32_e32 v91, v81
	v_pk_mul_f32 v[80:81], v[82:83], v[86:87] op_sel:[0,1]
	s_delay_alu instid0(VALU_DEP_1) | instskip(SKIP_1) | instid1(VALU_DEP_1)
	v_pk_fma_f32 v[88:89], v[82:83], v[84:85], v[80:81] op_sel:[0,0,1] op_sel_hi:[1,1,0] neg_lo:[0,0,1] neg_hi:[0,0,1]
	v_pk_fma_f32 v[80:81], v[82:83], v[84:85], v[80:81] op_sel:[0,0,1] op_sel_hi:[1,0,0]
	v_mov_b32_e32 v89, v81
	ds_load_2addr_b64 v[80:83], v106 offset0:7 offset1:8
	v_pk_add_f32 v[24:25], v[24:25], v[90:91] neg_lo:[0,1] neg_hi:[0,1]
	v_pk_add_f32 v[26:27], v[26:27], v[88:89] neg_lo:[0,1] neg_hi:[0,1]
	s_wait_dscnt 0x0
	v_pk_mul_f32 v[88:89], v[80:81], v[86:87] op_sel:[0,1]
	s_delay_alu instid0(VALU_DEP_1) | instskip(SKIP_2) | instid1(VALU_DEP_2)
	v_pk_fma_f32 v[90:91], v[80:81], v[84:85], v[88:89] op_sel:[0,0,1] op_sel_hi:[1,1,0] neg_lo:[0,0,1] neg_hi:[0,0,1]
	v_pk_fma_f32 v[80:81], v[80:81], v[84:85], v[88:89] op_sel:[0,0,1] op_sel_hi:[1,0,0]
	v_dual_mul_f32 v88, v83, v87 :: v_dual_mov_b32 v80, v83
	v_dual_mov_b32 v91, v81 :: v_dual_mov_b32 v81, v82
	s_delay_alu instid0(VALU_DEP_2) | instskip(SKIP_1) | instid1(VALU_DEP_3)
	v_pk_fma_f32 v[88:89], v[82:83], v[28:29], v[88:89] op_sel_hi:[1,1,0] neg_lo:[0,0,1] neg_hi:[0,0,1]
	v_mul_f32_e32 v82, v83, v84
	v_pk_add_f32 v[22:23], v[22:23], v[90:91] neg_lo:[0,1] neg_hi:[0,1]
	s_delay_alu instid0(VALU_DEP_2) | instskip(NEXT) | instid1(VALU_DEP_1)
	v_pk_fma_f32 v[80:81], v[80:81], v[28:29], v[82:83] op_sel_hi:[1,1,0]
	v_mov_b32_e32 v89, v81
	ds_load_2addr_b64 v[80:83], v106 offset0:9 offset1:10
	v_pk_add_f32 v[58:59], v[58:59], v[88:89] neg_lo:[0,1] neg_hi:[0,1]
	s_wait_dscnt 0x0
	v_pk_mul_f32 v[88:89], v[80:81], v[86:87] op_sel:[0,1]
	s_delay_alu instid0(VALU_DEP_1) | instskip(SKIP_1) | instid1(VALU_DEP_1)
	v_pk_fma_f32 v[90:91], v[80:81], v[84:85], v[88:89] op_sel:[0,0,1] op_sel_hi:[1,1,0] neg_lo:[0,0,1] neg_hi:[0,0,1]
	v_pk_fma_f32 v[80:81], v[80:81], v[84:85], v[88:89] op_sel:[0,0,1] op_sel_hi:[1,0,0]
	v_mov_b32_e32 v91, v81
	v_pk_mul_f32 v[80:81], v[82:83], v[86:87] op_sel:[0,1]
	s_delay_alu instid0(VALU_DEP_1) | instskip(SKIP_1) | instid1(VALU_DEP_1)
	v_pk_fma_f32 v[88:89], v[82:83], v[84:85], v[80:81] op_sel:[0,0,1] op_sel_hi:[1,1,0] neg_lo:[0,0,1] neg_hi:[0,0,1]
	v_pk_fma_f32 v[80:81], v[82:83], v[84:85], v[80:81] op_sel:[0,0,1] op_sel_hi:[1,0,0]
	v_mov_b32_e32 v89, v81
	ds_load_2addr_b64 v[80:83], v106 offset0:11 offset1:12
	v_pk_add_f32 v[52:53], v[52:53], v[90:91] neg_lo:[0,1] neg_hi:[0,1]
	v_pk_add_f32 v[56:57], v[56:57], v[88:89] neg_lo:[0,1] neg_hi:[0,1]
	s_wait_dscnt 0x0
	v_pk_mul_f32 v[88:89], v[80:81], v[86:87] op_sel:[0,1]
	s_delay_alu instid0(VALU_DEP_1) | instskip(SKIP_1) | instid1(VALU_DEP_1)
	v_pk_fma_f32 v[90:91], v[80:81], v[84:85], v[88:89] op_sel:[0,0,1] op_sel_hi:[1,1,0] neg_lo:[0,0,1] neg_hi:[0,0,1]
	v_pk_fma_f32 v[80:81], v[80:81], v[84:85], v[88:89] op_sel:[0,0,1] op_sel_hi:[1,0,0]
	v_mov_b32_e32 v91, v81
	v_pk_mul_f32 v[80:81], v[82:83], v[86:87] op_sel:[0,1]
	s_delay_alu instid0(VALU_DEP_1) | instskip(SKIP_1) | instid1(VALU_DEP_1)
	v_pk_fma_f32 v[88:89], v[82:83], v[84:85], v[80:81] op_sel:[0,0,1] op_sel_hi:[1,1,0] neg_lo:[0,0,1] neg_hi:[0,0,1]
	v_pk_fma_f32 v[80:81], v[82:83], v[84:85], v[80:81] op_sel:[0,0,1] op_sel_hi:[1,0,0]
	v_mov_b32_e32 v89, v81
	ds_load_2addr_b64 v[80:83], v106 offset0:13 offset1:14
	v_pk_add_f32 v[50:51], v[50:51], v[90:91] neg_lo:[0,1] neg_hi:[0,1]
	v_pk_add_f32 v[54:55], v[54:55], v[88:89] neg_lo:[0,1] neg_hi:[0,1]
	s_wait_dscnt 0x0
	v_dual_mul_f32 v88, v81, v87 :: v_dual_mul_f32 v90, v81, v84
	s_delay_alu instid0(VALU_DEP_1) | instskip(NEXT) | instid1(VALU_DEP_2)
	v_pk_fma_f32 v[88:89], v[80:81], v[28:29], v[88:89] op_sel_hi:[1,1,0] neg_lo:[0,0,1] neg_hi:[0,0,1]
	v_pk_fma_f32 v[80:81], v[80:81], v[28:29], v[90:91] op_sel:[1,0,0] op_sel_hi:[0,1,0]
	s_delay_alu instid0(VALU_DEP_1) | instskip(SKIP_1) | instid1(VALU_DEP_2)
	v_mov_b32_e32 v89, v81
	v_pk_mul_f32 v[80:81], v[82:83], v[86:87] op_sel:[0,1]
	v_pk_add_f32 v[66:67], v[66:67], v[88:89] neg_lo:[0,1] neg_hi:[0,1]
	s_delay_alu instid0(VALU_DEP_2) | instskip(SKIP_1) | instid1(VALU_DEP_1)
	v_pk_fma_f32 v[88:89], v[82:83], v[84:85], v[80:81] op_sel:[0,0,1] op_sel_hi:[1,1,0] neg_lo:[0,0,1] neg_hi:[0,0,1]
	v_pk_fma_f32 v[80:81], v[82:83], v[84:85], v[80:81] op_sel:[0,0,1] op_sel_hi:[1,0,0]
	v_mov_b32_e32 v89, v81
	ds_load_2addr_b64 v[80:83], v106 offset0:15 offset1:16
	v_pk_add_f32 v[62:63], v[62:63], v[88:89] neg_lo:[0,1] neg_hi:[0,1]
	s_wait_dscnt 0x0
	v_pk_mul_f32 v[88:89], v[80:81], v[86:87] op_sel:[0,1]
	v_mul_f32_e32 v86, v83, v87
	s_delay_alu instid0(VALU_DEP_2) | instskip(SKIP_2) | instid1(VALU_DEP_4)
	v_pk_fma_f32 v[90:91], v[80:81], v[84:85], v[88:89] op_sel:[0,0,1] op_sel_hi:[1,1,0] neg_lo:[0,0,1] neg_hi:[0,0,1]
	v_pk_fma_f32 v[80:81], v[80:81], v[84:85], v[88:89] op_sel:[0,0,1] op_sel_hi:[1,0,0]
	v_mov_b32_e32 v80, v83
	v_pk_fma_f32 v[86:87], v[82:83], v[28:29], v[86:87] op_sel_hi:[1,1,0] neg_lo:[0,0,1] neg_hi:[0,0,1]
	s_delay_alu instid0(VALU_DEP_3) | instskip(SKIP_1) | instid1(VALU_DEP_2)
	v_dual_mov_b32 v91, v81 :: v_dual_mov_b32 v81, v82
	v_mul_f32_e32 v82, v83, v84
	v_pk_add_f32 v[60:61], v[60:61], v[90:91] neg_lo:[0,1] neg_hi:[0,1]
	s_delay_alu instid0(VALU_DEP_2) | instskip(NEXT) | instid1(VALU_DEP_1)
	v_pk_fma_f32 v[80:81], v[80:81], v[28:29], v[82:83] op_sel_hi:[1,1,0]
	v_mov_b32_e32 v87, v81
	s_delay_alu instid0(VALU_DEP_1)
	v_pk_add_f32 v[64:65], v[64:65], v[86:87] neg_lo:[0,1] neg_hi:[0,1]
.LBB33_46:
	s_or_b32 exec_lo, exec_lo, s1
	s_delay_alu instid0(SALU_CYCLE_1)
	s_mov_b32 s2, exec_lo
	s_wait_dscnt 0x0
	s_barrier_signal -1
	s_barrier_wait -1
	v_cmpx_eq_u32_e32 5, v104
	s_cbranch_execz .LBB33_53
; %bb.47:
	v_dual_mov_b32 v80, v26 :: v_dual_mov_b32 v81, v27
	v_dual_mov_b32 v82, v22 :: v_dual_mov_b32 v83, v23
	ds_store_b64 v105, v[24:25]
	ds_store_2addr_b64 v106, v[80:81], v[82:83] offset0:6 offset1:7
	v_dual_mov_b32 v80, v58 :: v_dual_mov_b32 v81, v59
	v_dual_mov_b32 v82, v52 :: v_dual_mov_b32 v83, v53
	ds_store_2addr_b64 v106, v[80:81], v[82:83] offset0:8 offset1:9
	v_dual_mov_b32 v80, v56 :: v_dual_mov_b32 v81, v57
	v_dual_mov_b32 v82, v50 :: v_dual_mov_b32 v83, v51
	ds_store_2addr_b64 v106, v[80:81], v[82:83] offset0:10 offset1:11
	v_dual_mov_b32 v80, v54 :: v_dual_mov_b32 v81, v55
	v_dual_mov_b32 v82, v66 :: v_dual_mov_b32 v83, v67
	ds_store_2addr_b64 v106, v[80:81], v[82:83] offset0:12 offset1:13
	v_dual_mov_b32 v80, v62 :: v_dual_mov_b32 v81, v63
	v_dual_mov_b32 v82, v60 :: v_dual_mov_b32 v83, v61
	ds_store_2addr_b64 v106, v[80:81], v[82:83] offset0:14 offset1:15
	ds_store_b64 v106, v[64:65] offset:128
	ds_load_b64 v[80:81], v105
	s_wait_dscnt 0x0
	v_cmp_neq_f32_e32 vcc_lo, 0, v80
	v_cmp_neq_f32_e64 s1, 0, v81
	s_or_b32 s1, vcc_lo, s1
	s_delay_alu instid0(SALU_CYCLE_1)
	s_and_b32 exec_lo, exec_lo, s1
	s_cbranch_execz .LBB33_53
; %bb.48:
	v_cmp_ngt_f32_e64 s1, |v80|, |v81|
                                        ; implicit-def: $vgpr82_vgpr83
	s_and_saveexec_b32 s4, s1
	s_delay_alu instid0(SALU_CYCLE_1)
	s_xor_b32 s1, exec_lo, s4
	s_cbranch_execz .LBB33_50
; %bb.49:
	v_div_scale_f32 v82, null, v81, v81, v80
	v_div_scale_f32 v85, vcc_lo, v80, v81, v80
	s_delay_alu instid0(VALU_DEP_2) | instskip(SKIP_1) | instid1(TRANS32_DEP_1)
	v_rcp_f32_e32 v83, v82
	v_nop
	v_fma_f32 v84, -v82, v83, 1.0
	s_delay_alu instid0(VALU_DEP_1) | instskip(NEXT) | instid1(VALU_DEP_1)
	v_fmac_f32_e32 v83, v84, v83
	v_mul_f32_e32 v84, v85, v83
	s_delay_alu instid0(VALU_DEP_1) | instskip(NEXT) | instid1(VALU_DEP_1)
	v_fma_f32 v86, -v82, v84, v85
	v_fmac_f32_e32 v84, v86, v83
	s_delay_alu instid0(VALU_DEP_1) | instskip(NEXT) | instid1(VALU_DEP_1)
	v_fma_f32 v82, -v82, v84, v85
	v_div_fmas_f32 v82, v82, v83, v84
	s_delay_alu instid0(VALU_DEP_1) | instskip(NEXT) | instid1(VALU_DEP_1)
	v_div_fixup_f32 v82, v82, v81, v80
	v_fmac_f32_e32 v81, v80, v82
	s_delay_alu instid0(VALU_DEP_1) | instskip(SKIP_1) | instid1(VALU_DEP_2)
	v_div_scale_f32 v80, null, v81, v81, 1.0
	v_div_scale_f32 v85, vcc_lo, 1.0, v81, 1.0
	v_rcp_f32_e32 v83, v80
	v_nop
	s_delay_alu instid0(TRANS32_DEP_1) | instskip(NEXT) | instid1(VALU_DEP_1)
	v_fma_f32 v84, -v80, v83, 1.0
	v_fmac_f32_e32 v83, v84, v83
	s_delay_alu instid0(VALU_DEP_1) | instskip(NEXT) | instid1(VALU_DEP_1)
	v_mul_f32_e32 v84, v85, v83
	v_fma_f32 v86, -v80, v84, v85
	s_delay_alu instid0(VALU_DEP_1) | instskip(NEXT) | instid1(VALU_DEP_1)
	v_fmac_f32_e32 v84, v86, v83
	v_fma_f32 v80, -v80, v84, v85
	s_delay_alu instid0(VALU_DEP_1) | instskip(NEXT) | instid1(VALU_DEP_1)
	v_div_fmas_f32 v80, v80, v83, v84
	v_div_fixup_f32 v80, v80, v81, 1.0
	s_delay_alu instid0(VALU_DEP_1)
	v_mul_f32_e32 v82, v82, v80
	v_xor_b32_e32 v83, 0x80000000, v80
                                        ; implicit-def: $vgpr80_vgpr81
.LBB33_50:
	s_and_not1_saveexec_b32 s1, s1
	s_cbranch_execz .LBB33_52
; %bb.51:
	v_div_scale_f32 v82, null, v80, v80, v81
	v_div_scale_f32 v85, vcc_lo, v81, v80, v81
	s_delay_alu instid0(VALU_DEP_2) | instskip(SKIP_1) | instid1(TRANS32_DEP_1)
	v_rcp_f32_e32 v83, v82
	v_nop
	v_fma_f32 v84, -v82, v83, 1.0
	s_delay_alu instid0(VALU_DEP_1) | instskip(NEXT) | instid1(VALU_DEP_1)
	v_fmac_f32_e32 v83, v84, v83
	v_mul_f32_e32 v84, v85, v83
	s_delay_alu instid0(VALU_DEP_1) | instskip(NEXT) | instid1(VALU_DEP_1)
	v_fma_f32 v86, -v82, v84, v85
	v_fmac_f32_e32 v84, v86, v83
	s_delay_alu instid0(VALU_DEP_1) | instskip(NEXT) | instid1(VALU_DEP_1)
	v_fma_f32 v82, -v82, v84, v85
	v_div_fmas_f32 v82, v82, v83, v84
	s_delay_alu instid0(VALU_DEP_1) | instskip(NEXT) | instid1(VALU_DEP_1)
	v_div_fixup_f32 v83, v82, v80, v81
	v_fmac_f32_e32 v80, v81, v83
	s_delay_alu instid0(VALU_DEP_1) | instskip(NEXT) | instid1(VALU_DEP_1)
	v_div_scale_f32 v81, null, v80, v80, 1.0
	v_rcp_f32_e32 v82, v81
	v_nop
	s_delay_alu instid0(TRANS32_DEP_1) | instskip(NEXT) | instid1(VALU_DEP_1)
	v_fma_f32 v84, -v81, v82, 1.0
	v_fmac_f32_e32 v82, v84, v82
	v_div_scale_f32 v84, vcc_lo, 1.0, v80, 1.0
	s_delay_alu instid0(VALU_DEP_1) | instskip(NEXT) | instid1(VALU_DEP_1)
	v_mul_f32_e32 v85, v84, v82
	v_fma_f32 v86, -v81, v85, v84
	s_delay_alu instid0(VALU_DEP_1) | instskip(NEXT) | instid1(VALU_DEP_1)
	v_fmac_f32_e32 v85, v86, v82
	v_fma_f32 v81, -v81, v85, v84
	s_delay_alu instid0(VALU_DEP_1) | instskip(NEXT) | instid1(VALU_DEP_1)
	v_div_fmas_f32 v81, v81, v82, v85
	v_div_fixup_f32 v82, v81, v80, 1.0
	s_delay_alu instid0(VALU_DEP_1)
	v_mul_f32_e64 v83, v83, -v82
.LBB33_52:
	s_or_b32 exec_lo, exec_lo, s1
	ds_store_b64 v105, v[82:83]
.LBB33_53:
	s_or_b32 exec_lo, exec_lo, s2
	s_wait_dscnt 0x0
	s_barrier_signal -1
	s_barrier_wait -1
	ds_load_b64 v[80:81], v105
	s_mov_b32 s1, exec_lo
	v_cmpx_lt_u32_e32 5, v104
	s_cbranch_execz .LBB33_55
; %bb.54:
	s_wait_dscnt 0x0
	v_pk_mul_f32 v[82:83], v[80:81], v[24:25] op_sel:[1,1] op_sel_hi:[0,1]
	s_delay_alu instid0(VALU_DEP_1)
	v_pk_fma_f32 v[86:87], v[80:81], v[24:25], v[82:83] op_sel_hi:[1,0,1] neg_lo:[0,0,1] neg_hi:[0,0,1]
	v_pk_fma_f32 v[88:89], v[80:81], v[24:25], v[82:83] op_sel_hi:[1,0,1]
	ds_load_2addr_b64 v[82:85], v106 offset0:6 offset1:7
	v_dual_mov_b32 v24, v86 :: v_dual_mov_b32 v25, v89
	s_wait_dscnt 0x0
	v_pk_mul_f32 v[90:91], v[82:83], v[88:89] op_sel:[0,1]
	s_delay_alu instid0(VALU_DEP_1) | instskip(SKIP_1) | instid1(VALU_DEP_1)
	v_pk_fma_f32 v[92:93], v[82:83], v[86:87], v[90:91] op_sel:[0,0,1] op_sel_hi:[1,1,0] neg_lo:[0,0,1] neg_hi:[0,0,1]
	v_pk_fma_f32 v[82:83], v[82:83], v[86:87], v[90:91] op_sel:[0,0,1] op_sel_hi:[1,0,0]
	v_mov_b32_e32 v93, v83
	v_pk_mul_f32 v[82:83], v[84:85], v[88:89] op_sel:[0,1]
	s_delay_alu instid0(VALU_DEP_1) | instskip(SKIP_1) | instid1(VALU_DEP_1)
	v_pk_fma_f32 v[90:91], v[84:85], v[86:87], v[82:83] op_sel:[0,0,1] op_sel_hi:[1,1,0] neg_lo:[0,0,1] neg_hi:[0,0,1]
	v_pk_fma_f32 v[82:83], v[84:85], v[86:87], v[82:83] op_sel:[0,0,1] op_sel_hi:[1,0,0]
	v_mov_b32_e32 v91, v83
	ds_load_2addr_b64 v[82:85], v106 offset0:8 offset1:9
	v_pk_add_f32 v[26:27], v[26:27], v[92:93] neg_lo:[0,1] neg_hi:[0,1]
	v_pk_add_f32 v[22:23], v[22:23], v[90:91] neg_lo:[0,1] neg_hi:[0,1]
	s_wait_dscnt 0x0
	v_pk_mul_f32 v[90:91], v[82:83], v[88:89] op_sel:[0,1]
	s_delay_alu instid0(VALU_DEP_1) | instskip(SKIP_2) | instid1(VALU_DEP_2)
	v_pk_fma_f32 v[92:93], v[82:83], v[86:87], v[90:91] op_sel:[0,0,1] op_sel_hi:[1,1,0] neg_lo:[0,0,1] neg_hi:[0,0,1]
	v_pk_fma_f32 v[82:83], v[82:83], v[86:87], v[90:91] op_sel:[0,0,1] op_sel_hi:[1,0,0]
	v_dual_mul_f32 v90, v85, v89 :: v_dual_mov_b32 v82, v85
	v_dual_mov_b32 v93, v83 :: v_dual_mov_b32 v83, v84
	s_delay_alu instid0(VALU_DEP_2) | instskip(SKIP_1) | instid1(VALU_DEP_3)
	v_pk_fma_f32 v[90:91], v[84:85], v[24:25], v[90:91] op_sel_hi:[1,1,0] neg_lo:[0,0,1] neg_hi:[0,0,1]
	v_mul_f32_e32 v84, v85, v86
	v_pk_add_f32 v[58:59], v[58:59], v[92:93] neg_lo:[0,1] neg_hi:[0,1]
	s_delay_alu instid0(VALU_DEP_2) | instskip(NEXT) | instid1(VALU_DEP_1)
	v_pk_fma_f32 v[82:83], v[82:83], v[24:25], v[84:85] op_sel_hi:[1,1,0]
	v_mov_b32_e32 v91, v83
	ds_load_2addr_b64 v[82:85], v106 offset0:10 offset1:11
	v_pk_add_f32 v[52:53], v[52:53], v[90:91] neg_lo:[0,1] neg_hi:[0,1]
	s_wait_dscnt 0x0
	v_pk_mul_f32 v[90:91], v[82:83], v[88:89] op_sel:[0,1]
	s_delay_alu instid0(VALU_DEP_1) | instskip(SKIP_1) | instid1(VALU_DEP_1)
	v_pk_fma_f32 v[92:93], v[82:83], v[86:87], v[90:91] op_sel:[0,0,1] op_sel_hi:[1,1,0] neg_lo:[0,0,1] neg_hi:[0,0,1]
	v_pk_fma_f32 v[82:83], v[82:83], v[86:87], v[90:91] op_sel:[0,0,1] op_sel_hi:[1,0,0]
	v_mov_b32_e32 v93, v83
	v_pk_mul_f32 v[82:83], v[84:85], v[88:89] op_sel:[0,1]
	s_delay_alu instid0(VALU_DEP_1) | instskip(SKIP_1) | instid1(VALU_DEP_1)
	v_pk_fma_f32 v[90:91], v[84:85], v[86:87], v[82:83] op_sel:[0,0,1] op_sel_hi:[1,1,0] neg_lo:[0,0,1] neg_hi:[0,0,1]
	v_pk_fma_f32 v[82:83], v[84:85], v[86:87], v[82:83] op_sel:[0,0,1] op_sel_hi:[1,0,0]
	v_mov_b32_e32 v91, v83
	ds_load_2addr_b64 v[82:85], v106 offset0:12 offset1:13
	v_pk_add_f32 v[56:57], v[56:57], v[92:93] neg_lo:[0,1] neg_hi:[0,1]
	v_pk_add_f32 v[50:51], v[50:51], v[90:91] neg_lo:[0,1] neg_hi:[0,1]
	s_wait_dscnt 0x0
	v_pk_mul_f32 v[90:91], v[82:83], v[88:89] op_sel:[0,1]
	s_delay_alu instid0(VALU_DEP_1) | instskip(SKIP_1) | instid1(VALU_DEP_1)
	v_pk_fma_f32 v[92:93], v[82:83], v[86:87], v[90:91] op_sel:[0,0,1] op_sel_hi:[1,1,0] neg_lo:[0,0,1] neg_hi:[0,0,1]
	v_pk_fma_f32 v[82:83], v[82:83], v[86:87], v[90:91] op_sel:[0,0,1] op_sel_hi:[1,0,0]
	v_mov_b32_e32 v93, v83
	v_pk_mul_f32 v[82:83], v[84:85], v[88:89] op_sel:[0,1]
	s_delay_alu instid0(VALU_DEP_1) | instskip(SKIP_1) | instid1(VALU_DEP_1)
	v_pk_fma_f32 v[90:91], v[84:85], v[86:87], v[82:83] op_sel:[0,0,1] op_sel_hi:[1,1,0] neg_lo:[0,0,1] neg_hi:[0,0,1]
	v_pk_fma_f32 v[82:83], v[84:85], v[86:87], v[82:83] op_sel:[0,0,1] op_sel_hi:[1,0,0]
	v_mov_b32_e32 v91, v83
	ds_load_2addr_b64 v[82:85], v106 offset0:14 offset1:15
	v_pk_add_f32 v[54:55], v[54:55], v[92:93] neg_lo:[0,1] neg_hi:[0,1]
	v_pk_add_f32 v[66:67], v[66:67], v[90:91] neg_lo:[0,1] neg_hi:[0,1]
	s_wait_dscnt 0x0
	v_dual_mul_f32 v90, v83, v89 :: v_dual_mul_f32 v92, v83, v86
	s_delay_alu instid0(VALU_DEP_1) | instskip(NEXT) | instid1(VALU_DEP_2)
	v_pk_fma_f32 v[90:91], v[82:83], v[24:25], v[90:91] op_sel_hi:[1,1,0] neg_lo:[0,0,1] neg_hi:[0,0,1]
	v_pk_fma_f32 v[82:83], v[82:83], v[24:25], v[92:93] op_sel:[1,0,0] op_sel_hi:[0,1,0]
	s_delay_alu instid0(VALU_DEP_1) | instskip(SKIP_1) | instid1(VALU_DEP_2)
	v_mov_b32_e32 v91, v83
	v_pk_mul_f32 v[82:83], v[84:85], v[88:89] op_sel:[0,1]
	v_pk_add_f32 v[62:63], v[62:63], v[90:91] neg_lo:[0,1] neg_hi:[0,1]
	s_delay_alu instid0(VALU_DEP_2) | instskip(SKIP_1) | instid1(VALU_DEP_1)
	v_pk_fma_f32 v[90:91], v[84:85], v[86:87], v[82:83] op_sel:[0,0,1] op_sel_hi:[1,1,0] neg_lo:[0,0,1] neg_hi:[0,0,1]
	v_pk_fma_f32 v[82:83], v[84:85], v[86:87], v[82:83] op_sel:[0,0,1] op_sel_hi:[1,0,0]
	v_mov_b32_e32 v91, v83
	ds_load_b64 v[82:83], v106 offset:128
	v_pk_add_f32 v[60:61], v[60:61], v[90:91] neg_lo:[0,1] neg_hi:[0,1]
	s_wait_dscnt 0x0
	v_pk_mul_f32 v[84:85], v[82:83], v[88:89] op_sel:[0,1]
	s_delay_alu instid0(VALU_DEP_1) | instskip(SKIP_1) | instid1(VALU_DEP_1)
	v_pk_fma_f32 v[88:89], v[82:83], v[86:87], v[84:85] op_sel:[0,0,1] op_sel_hi:[1,1,0] neg_lo:[0,0,1] neg_hi:[0,0,1]
	v_pk_fma_f32 v[82:83], v[82:83], v[86:87], v[84:85] op_sel:[0,0,1] op_sel_hi:[1,0,0]
	v_mov_b32_e32 v89, v83
	s_delay_alu instid0(VALU_DEP_1)
	v_pk_add_f32 v[64:65], v[64:65], v[88:89] neg_lo:[0,1] neg_hi:[0,1]
.LBB33_55:
	s_or_b32 exec_lo, exec_lo, s1
	s_delay_alu instid0(SALU_CYCLE_1)
	s_mov_b32 s2, exec_lo
	s_wait_dscnt 0x0
	s_barrier_signal -1
	s_barrier_wait -1
	v_cmpx_eq_u32_e32 6, v104
	s_cbranch_execz .LBB33_62
; %bb.56:
	ds_store_b64 v105, v[26:27]
	ds_store_2addr_b64 v106, v[22:23], v[58:59] offset0:7 offset1:8
	ds_store_2addr_b64 v106, v[52:53], v[56:57] offset0:9 offset1:10
	;; [unrolled: 1-line block ×5, first 2 shown]
	ds_load_b64 v[82:83], v105
	s_wait_dscnt 0x0
	v_cmp_neq_f32_e32 vcc_lo, 0, v82
	v_cmp_neq_f32_e64 s1, 0, v83
	s_or_b32 s1, vcc_lo, s1
	s_delay_alu instid0(SALU_CYCLE_1)
	s_and_b32 exec_lo, exec_lo, s1
	s_cbranch_execz .LBB33_62
; %bb.57:
	v_cmp_ngt_f32_e64 s1, |v82|, |v83|
                                        ; implicit-def: $vgpr84_vgpr85
	s_and_saveexec_b32 s4, s1
	s_delay_alu instid0(SALU_CYCLE_1)
	s_xor_b32 s1, exec_lo, s4
	s_cbranch_execz .LBB33_59
; %bb.58:
	v_div_scale_f32 v84, null, v83, v83, v82
	v_div_scale_f32 v87, vcc_lo, v82, v83, v82
	s_delay_alu instid0(VALU_DEP_2) | instskip(SKIP_1) | instid1(TRANS32_DEP_1)
	v_rcp_f32_e32 v85, v84
	v_nop
	v_fma_f32 v86, -v84, v85, 1.0
	s_delay_alu instid0(VALU_DEP_1) | instskip(NEXT) | instid1(VALU_DEP_1)
	v_fmac_f32_e32 v85, v86, v85
	v_mul_f32_e32 v86, v87, v85
	s_delay_alu instid0(VALU_DEP_1) | instskip(NEXT) | instid1(VALU_DEP_1)
	v_fma_f32 v88, -v84, v86, v87
	v_fmac_f32_e32 v86, v88, v85
	s_delay_alu instid0(VALU_DEP_1) | instskip(NEXT) | instid1(VALU_DEP_1)
	v_fma_f32 v84, -v84, v86, v87
	v_div_fmas_f32 v84, v84, v85, v86
	s_delay_alu instid0(VALU_DEP_1) | instskip(NEXT) | instid1(VALU_DEP_1)
	v_div_fixup_f32 v84, v84, v83, v82
	v_fmac_f32_e32 v83, v82, v84
	s_delay_alu instid0(VALU_DEP_1) | instskip(SKIP_1) | instid1(VALU_DEP_2)
	v_div_scale_f32 v82, null, v83, v83, 1.0
	v_div_scale_f32 v87, vcc_lo, 1.0, v83, 1.0
	v_rcp_f32_e32 v85, v82
	v_nop
	s_delay_alu instid0(TRANS32_DEP_1) | instskip(NEXT) | instid1(VALU_DEP_1)
	v_fma_f32 v86, -v82, v85, 1.0
	v_fmac_f32_e32 v85, v86, v85
	s_delay_alu instid0(VALU_DEP_1) | instskip(NEXT) | instid1(VALU_DEP_1)
	v_mul_f32_e32 v86, v87, v85
	v_fma_f32 v88, -v82, v86, v87
	s_delay_alu instid0(VALU_DEP_1) | instskip(NEXT) | instid1(VALU_DEP_1)
	v_fmac_f32_e32 v86, v88, v85
	v_fma_f32 v82, -v82, v86, v87
	s_delay_alu instid0(VALU_DEP_1) | instskip(NEXT) | instid1(VALU_DEP_1)
	v_div_fmas_f32 v82, v82, v85, v86
	v_div_fixup_f32 v82, v82, v83, 1.0
	s_delay_alu instid0(VALU_DEP_1)
	v_mul_f32_e32 v84, v84, v82
	v_xor_b32_e32 v85, 0x80000000, v82
                                        ; implicit-def: $vgpr82_vgpr83
.LBB33_59:
	s_and_not1_saveexec_b32 s1, s1
	s_cbranch_execz .LBB33_61
; %bb.60:
	v_div_scale_f32 v84, null, v82, v82, v83
	v_div_scale_f32 v87, vcc_lo, v83, v82, v83
	s_delay_alu instid0(VALU_DEP_2) | instskip(SKIP_1) | instid1(TRANS32_DEP_1)
	v_rcp_f32_e32 v85, v84
	v_nop
	v_fma_f32 v86, -v84, v85, 1.0
	s_delay_alu instid0(VALU_DEP_1) | instskip(NEXT) | instid1(VALU_DEP_1)
	v_fmac_f32_e32 v85, v86, v85
	v_mul_f32_e32 v86, v87, v85
	s_delay_alu instid0(VALU_DEP_1) | instskip(NEXT) | instid1(VALU_DEP_1)
	v_fma_f32 v88, -v84, v86, v87
	v_fmac_f32_e32 v86, v88, v85
	s_delay_alu instid0(VALU_DEP_1) | instskip(NEXT) | instid1(VALU_DEP_1)
	v_fma_f32 v84, -v84, v86, v87
	v_div_fmas_f32 v84, v84, v85, v86
	s_delay_alu instid0(VALU_DEP_1) | instskip(NEXT) | instid1(VALU_DEP_1)
	v_div_fixup_f32 v85, v84, v82, v83
	v_fmac_f32_e32 v82, v83, v85
	s_delay_alu instid0(VALU_DEP_1) | instskip(NEXT) | instid1(VALU_DEP_1)
	v_div_scale_f32 v83, null, v82, v82, 1.0
	v_rcp_f32_e32 v84, v83
	v_nop
	s_delay_alu instid0(TRANS32_DEP_1) | instskip(NEXT) | instid1(VALU_DEP_1)
	v_fma_f32 v86, -v83, v84, 1.0
	v_fmac_f32_e32 v84, v86, v84
	v_div_scale_f32 v86, vcc_lo, 1.0, v82, 1.0
	s_delay_alu instid0(VALU_DEP_1) | instskip(NEXT) | instid1(VALU_DEP_1)
	v_mul_f32_e32 v87, v86, v84
	v_fma_f32 v88, -v83, v87, v86
	s_delay_alu instid0(VALU_DEP_1) | instskip(NEXT) | instid1(VALU_DEP_1)
	v_fmac_f32_e32 v87, v88, v84
	v_fma_f32 v83, -v83, v87, v86
	s_delay_alu instid0(VALU_DEP_1) | instskip(NEXT) | instid1(VALU_DEP_1)
	v_div_fmas_f32 v83, v83, v84, v87
	v_div_fixup_f32 v84, v83, v82, 1.0
	s_delay_alu instid0(VALU_DEP_1)
	v_mul_f32_e64 v85, v85, -v84
.LBB33_61:
	s_or_b32 exec_lo, exec_lo, s1
	ds_store_b64 v105, v[84:85]
.LBB33_62:
	s_or_b32 exec_lo, exec_lo, s2
	s_wait_dscnt 0x0
	s_barrier_signal -1
	s_barrier_wait -1
	ds_load_b64 v[82:83], v105
	s_mov_b32 s1, exec_lo
	v_cmpx_lt_u32_e32 6, v104
	s_cbranch_execz .LBB33_64
; %bb.63:
	s_wait_dscnt 0x0
	v_pk_mul_f32 v[84:85], v[82:83], v[26:27] op_sel:[1,1] op_sel_hi:[0,1]
	s_delay_alu instid0(VALU_DEP_1)
	v_pk_fma_f32 v[88:89], v[82:83], v[26:27], v[84:85] op_sel_hi:[1,0,1] neg_lo:[0,0,1] neg_hi:[0,0,1]
	v_pk_fma_f32 v[90:91], v[82:83], v[26:27], v[84:85] op_sel_hi:[1,0,1]
	ds_load_2addr_b64 v[84:87], v106 offset0:7 offset1:8
	v_dual_mov_b32 v26, v88 :: v_dual_mov_b32 v27, v91
	s_wait_dscnt 0x0
	v_pk_mul_f32 v[92:93], v[84:85], v[90:91] op_sel:[0,1]
	s_delay_alu instid0(VALU_DEP_1) | instskip(SKIP_1) | instid1(VALU_DEP_1)
	v_pk_fma_f32 v[94:95], v[84:85], v[88:89], v[92:93] op_sel:[0,0,1] op_sel_hi:[1,1,0] neg_lo:[0,0,1] neg_hi:[0,0,1]
	v_pk_fma_f32 v[84:85], v[84:85], v[88:89], v[92:93] op_sel:[0,0,1] op_sel_hi:[1,0,0]
	v_mov_b32_e32 v95, v85
	v_pk_mul_f32 v[84:85], v[86:87], v[90:91] op_sel:[0,1]
	s_delay_alu instid0(VALU_DEP_1) | instskip(SKIP_1) | instid1(VALU_DEP_1)
	v_pk_fma_f32 v[92:93], v[86:87], v[88:89], v[84:85] op_sel:[0,0,1] op_sel_hi:[1,1,0] neg_lo:[0,0,1] neg_hi:[0,0,1]
	v_pk_fma_f32 v[84:85], v[86:87], v[88:89], v[84:85] op_sel:[0,0,1] op_sel_hi:[1,0,0]
	v_mov_b32_e32 v93, v85
	ds_load_2addr_b64 v[84:87], v106 offset0:9 offset1:10
	v_pk_add_f32 v[22:23], v[22:23], v[94:95] neg_lo:[0,1] neg_hi:[0,1]
	v_pk_add_f32 v[58:59], v[58:59], v[92:93] neg_lo:[0,1] neg_hi:[0,1]
	s_wait_dscnt 0x0
	v_pk_mul_f32 v[92:93], v[84:85], v[90:91] op_sel:[0,1]
	s_delay_alu instid0(VALU_DEP_1) | instskip(SKIP_2) | instid1(VALU_DEP_2)
	v_pk_fma_f32 v[94:95], v[84:85], v[88:89], v[92:93] op_sel:[0,0,1] op_sel_hi:[1,1,0] neg_lo:[0,0,1] neg_hi:[0,0,1]
	v_pk_fma_f32 v[84:85], v[84:85], v[88:89], v[92:93] op_sel:[0,0,1] op_sel_hi:[1,0,0]
	v_dual_mul_f32 v92, v87, v91 :: v_dual_mov_b32 v84, v87
	v_dual_mov_b32 v95, v85 :: v_dual_mov_b32 v85, v86
	s_delay_alu instid0(VALU_DEP_2) | instskip(SKIP_1) | instid1(VALU_DEP_3)
	v_pk_fma_f32 v[92:93], v[86:87], v[26:27], v[92:93] op_sel_hi:[1,1,0] neg_lo:[0,0,1] neg_hi:[0,0,1]
	v_mul_f32_e32 v86, v87, v88
	v_pk_add_f32 v[52:53], v[52:53], v[94:95] neg_lo:[0,1] neg_hi:[0,1]
	s_delay_alu instid0(VALU_DEP_2) | instskip(NEXT) | instid1(VALU_DEP_1)
	v_pk_fma_f32 v[84:85], v[84:85], v[26:27], v[86:87] op_sel_hi:[1,1,0]
	v_mov_b32_e32 v93, v85
	ds_load_2addr_b64 v[84:87], v106 offset0:11 offset1:12
	v_pk_add_f32 v[56:57], v[56:57], v[92:93] neg_lo:[0,1] neg_hi:[0,1]
	s_wait_dscnt 0x0
	v_pk_mul_f32 v[92:93], v[84:85], v[90:91] op_sel:[0,1]
	s_delay_alu instid0(VALU_DEP_1) | instskip(SKIP_1) | instid1(VALU_DEP_1)
	v_pk_fma_f32 v[94:95], v[84:85], v[88:89], v[92:93] op_sel:[0,0,1] op_sel_hi:[1,1,0] neg_lo:[0,0,1] neg_hi:[0,0,1]
	v_pk_fma_f32 v[84:85], v[84:85], v[88:89], v[92:93] op_sel:[0,0,1] op_sel_hi:[1,0,0]
	v_mov_b32_e32 v95, v85
	v_pk_mul_f32 v[84:85], v[86:87], v[90:91] op_sel:[0,1]
	s_delay_alu instid0(VALU_DEP_1) | instskip(SKIP_1) | instid1(VALU_DEP_1)
	v_pk_fma_f32 v[92:93], v[86:87], v[88:89], v[84:85] op_sel:[0,0,1] op_sel_hi:[1,1,0] neg_lo:[0,0,1] neg_hi:[0,0,1]
	v_pk_fma_f32 v[84:85], v[86:87], v[88:89], v[84:85] op_sel:[0,0,1] op_sel_hi:[1,0,0]
	v_mov_b32_e32 v93, v85
	ds_load_2addr_b64 v[84:87], v106 offset0:13 offset1:14
	v_pk_add_f32 v[50:51], v[50:51], v[94:95] neg_lo:[0,1] neg_hi:[0,1]
	v_pk_add_f32 v[54:55], v[54:55], v[92:93] neg_lo:[0,1] neg_hi:[0,1]
	s_wait_dscnt 0x0
	v_pk_mul_f32 v[92:93], v[84:85], v[90:91] op_sel:[0,1]
	s_delay_alu instid0(VALU_DEP_1) | instskip(SKIP_1) | instid1(VALU_DEP_1)
	v_pk_fma_f32 v[94:95], v[84:85], v[88:89], v[92:93] op_sel:[0,0,1] op_sel_hi:[1,1,0] neg_lo:[0,0,1] neg_hi:[0,0,1]
	v_pk_fma_f32 v[84:85], v[84:85], v[88:89], v[92:93] op_sel:[0,0,1] op_sel_hi:[1,0,0]
	v_mov_b32_e32 v95, v85
	v_pk_mul_f32 v[84:85], v[86:87], v[90:91] op_sel:[0,1]
	s_delay_alu instid0(VALU_DEP_1) | instskip(SKIP_1) | instid1(VALU_DEP_1)
	v_pk_fma_f32 v[92:93], v[86:87], v[88:89], v[84:85] op_sel:[0,0,1] op_sel_hi:[1,1,0] neg_lo:[0,0,1] neg_hi:[0,0,1]
	v_pk_fma_f32 v[84:85], v[86:87], v[88:89], v[84:85] op_sel:[0,0,1] op_sel_hi:[1,0,0]
	v_mov_b32_e32 v93, v85
	ds_load_2addr_b64 v[84:87], v106 offset0:15 offset1:16
	v_pk_add_f32 v[66:67], v[66:67], v[94:95] neg_lo:[0,1] neg_hi:[0,1]
	v_pk_add_f32 v[62:63], v[62:63], v[92:93] neg_lo:[0,1] neg_hi:[0,1]
	s_wait_dscnt 0x0
	v_dual_mul_f32 v92, v85, v91 :: v_dual_mul_f32 v94, v85, v88
	s_delay_alu instid0(VALU_DEP_1) | instskip(NEXT) | instid1(VALU_DEP_2)
	v_pk_fma_f32 v[92:93], v[84:85], v[26:27], v[92:93] op_sel_hi:[1,1,0] neg_lo:[0,0,1] neg_hi:[0,0,1]
	v_pk_fma_f32 v[84:85], v[84:85], v[26:27], v[94:95] op_sel:[1,0,0] op_sel_hi:[0,1,0]
	s_delay_alu instid0(VALU_DEP_1) | instskip(SKIP_1) | instid1(VALU_DEP_1)
	v_mov_b32_e32 v93, v85
	v_pk_mul_f32 v[84:85], v[86:87], v[90:91] op_sel:[0,1]
	v_pk_fma_f32 v[90:91], v[86:87], v[88:89], v[84:85] op_sel:[0,0,1] op_sel_hi:[1,1,0] neg_lo:[0,0,1] neg_hi:[0,0,1]
	v_pk_fma_f32 v[84:85], v[86:87], v[88:89], v[84:85] op_sel:[0,0,1] op_sel_hi:[1,0,0]
	s_delay_alu instid0(VALU_DEP_1) | instskip(SKIP_1) | instid1(VALU_DEP_2)
	v_mov_b32_e32 v91, v85
	v_pk_add_f32 v[60:61], v[60:61], v[92:93] neg_lo:[0,1] neg_hi:[0,1]
	v_pk_add_f32 v[64:65], v[64:65], v[90:91] neg_lo:[0,1] neg_hi:[0,1]
.LBB33_64:
	s_or_b32 exec_lo, exec_lo, s1
	s_delay_alu instid0(SALU_CYCLE_1)
	s_mov_b32 s2, exec_lo
	s_wait_dscnt 0x0
	s_barrier_signal -1
	s_barrier_wait -1
	v_cmpx_eq_u32_e32 7, v104
	s_cbranch_execz .LBB33_71
; %bb.65:
	v_dual_mov_b32 v84, v58 :: v_dual_mov_b32 v85, v59
	v_dual_mov_b32 v86, v52 :: v_dual_mov_b32 v87, v53
	;; [unrolled: 1-line block ×8, first 2 shown]
	ds_store_b64 v105, v[22:23]
	ds_store_2addr_b64 v106, v[84:85], v[86:87] offset0:8 offset1:9
	ds_store_2addr_b64 v106, v[88:89], v[90:91] offset0:10 offset1:11
	ds_store_2addr_b64 v106, v[92:93], v[94:95] offset0:12 offset1:13
	ds_store_2addr_b64 v106, v[96:97], v[98:99] offset0:14 offset1:15
	ds_store_b64 v106, v[64:65] offset:128
	ds_load_b64 v[84:85], v105
	s_wait_dscnt 0x0
	v_cmp_neq_f32_e32 vcc_lo, 0, v84
	v_cmp_neq_f32_e64 s1, 0, v85
	s_or_b32 s1, vcc_lo, s1
	s_delay_alu instid0(SALU_CYCLE_1)
	s_and_b32 exec_lo, exec_lo, s1
	s_cbranch_execz .LBB33_71
; %bb.66:
	v_cmp_ngt_f32_e64 s1, |v84|, |v85|
                                        ; implicit-def: $vgpr86_vgpr87
	s_and_saveexec_b32 s4, s1
	s_delay_alu instid0(SALU_CYCLE_1)
	s_xor_b32 s1, exec_lo, s4
	s_cbranch_execz .LBB33_68
; %bb.67:
	v_div_scale_f32 v86, null, v85, v85, v84
	v_div_scale_f32 v89, vcc_lo, v84, v85, v84
	s_delay_alu instid0(VALU_DEP_2) | instskip(SKIP_1) | instid1(TRANS32_DEP_1)
	v_rcp_f32_e32 v87, v86
	v_nop
	v_fma_f32 v88, -v86, v87, 1.0
	s_delay_alu instid0(VALU_DEP_1) | instskip(NEXT) | instid1(VALU_DEP_1)
	v_fmac_f32_e32 v87, v88, v87
	v_mul_f32_e32 v88, v89, v87
	s_delay_alu instid0(VALU_DEP_1) | instskip(NEXT) | instid1(VALU_DEP_1)
	v_fma_f32 v90, -v86, v88, v89
	v_fmac_f32_e32 v88, v90, v87
	s_delay_alu instid0(VALU_DEP_1) | instskip(NEXT) | instid1(VALU_DEP_1)
	v_fma_f32 v86, -v86, v88, v89
	v_div_fmas_f32 v86, v86, v87, v88
	s_delay_alu instid0(VALU_DEP_1) | instskip(NEXT) | instid1(VALU_DEP_1)
	v_div_fixup_f32 v86, v86, v85, v84
	v_fmac_f32_e32 v85, v84, v86
	s_delay_alu instid0(VALU_DEP_1) | instskip(SKIP_1) | instid1(VALU_DEP_2)
	v_div_scale_f32 v84, null, v85, v85, 1.0
	v_div_scale_f32 v89, vcc_lo, 1.0, v85, 1.0
	v_rcp_f32_e32 v87, v84
	v_nop
	s_delay_alu instid0(TRANS32_DEP_1) | instskip(NEXT) | instid1(VALU_DEP_1)
	v_fma_f32 v88, -v84, v87, 1.0
	v_fmac_f32_e32 v87, v88, v87
	s_delay_alu instid0(VALU_DEP_1) | instskip(NEXT) | instid1(VALU_DEP_1)
	v_mul_f32_e32 v88, v89, v87
	v_fma_f32 v90, -v84, v88, v89
	s_delay_alu instid0(VALU_DEP_1) | instskip(NEXT) | instid1(VALU_DEP_1)
	v_fmac_f32_e32 v88, v90, v87
	v_fma_f32 v84, -v84, v88, v89
	s_delay_alu instid0(VALU_DEP_1) | instskip(NEXT) | instid1(VALU_DEP_1)
	v_div_fmas_f32 v84, v84, v87, v88
	v_div_fixup_f32 v84, v84, v85, 1.0
	s_delay_alu instid0(VALU_DEP_1)
	v_mul_f32_e32 v86, v86, v84
	v_xor_b32_e32 v87, 0x80000000, v84
                                        ; implicit-def: $vgpr84_vgpr85
.LBB33_68:
	s_and_not1_saveexec_b32 s1, s1
	s_cbranch_execz .LBB33_70
; %bb.69:
	v_div_scale_f32 v86, null, v84, v84, v85
	v_div_scale_f32 v89, vcc_lo, v85, v84, v85
	s_delay_alu instid0(VALU_DEP_2) | instskip(SKIP_1) | instid1(TRANS32_DEP_1)
	v_rcp_f32_e32 v87, v86
	v_nop
	v_fma_f32 v88, -v86, v87, 1.0
	s_delay_alu instid0(VALU_DEP_1) | instskip(NEXT) | instid1(VALU_DEP_1)
	v_fmac_f32_e32 v87, v88, v87
	v_mul_f32_e32 v88, v89, v87
	s_delay_alu instid0(VALU_DEP_1) | instskip(NEXT) | instid1(VALU_DEP_1)
	v_fma_f32 v90, -v86, v88, v89
	v_fmac_f32_e32 v88, v90, v87
	s_delay_alu instid0(VALU_DEP_1) | instskip(NEXT) | instid1(VALU_DEP_1)
	v_fma_f32 v86, -v86, v88, v89
	v_div_fmas_f32 v86, v86, v87, v88
	s_delay_alu instid0(VALU_DEP_1) | instskip(NEXT) | instid1(VALU_DEP_1)
	v_div_fixup_f32 v87, v86, v84, v85
	v_fmac_f32_e32 v84, v85, v87
	s_delay_alu instid0(VALU_DEP_1) | instskip(NEXT) | instid1(VALU_DEP_1)
	v_div_scale_f32 v85, null, v84, v84, 1.0
	v_rcp_f32_e32 v86, v85
	v_nop
	s_delay_alu instid0(TRANS32_DEP_1) | instskip(NEXT) | instid1(VALU_DEP_1)
	v_fma_f32 v88, -v85, v86, 1.0
	v_fmac_f32_e32 v86, v88, v86
	v_div_scale_f32 v88, vcc_lo, 1.0, v84, 1.0
	s_delay_alu instid0(VALU_DEP_1) | instskip(NEXT) | instid1(VALU_DEP_1)
	v_mul_f32_e32 v89, v88, v86
	v_fma_f32 v90, -v85, v89, v88
	s_delay_alu instid0(VALU_DEP_1) | instskip(NEXT) | instid1(VALU_DEP_1)
	v_fmac_f32_e32 v89, v90, v86
	v_fma_f32 v85, -v85, v89, v88
	s_delay_alu instid0(VALU_DEP_1) | instskip(NEXT) | instid1(VALU_DEP_1)
	v_div_fmas_f32 v85, v85, v86, v89
	v_div_fixup_f32 v86, v85, v84, 1.0
	s_delay_alu instid0(VALU_DEP_1)
	v_mul_f32_e64 v87, v87, -v86
.LBB33_70:
	s_or_b32 exec_lo, exec_lo, s1
	ds_store_b64 v105, v[86:87]
.LBB33_71:
	s_or_b32 exec_lo, exec_lo, s2
	s_wait_dscnt 0x0
	s_barrier_signal -1
	s_barrier_wait -1
	ds_load_b64 v[84:85], v105
	s_mov_b32 s1, exec_lo
	v_cmpx_lt_u32_e32 7, v104
	s_cbranch_execz .LBB33_73
; %bb.72:
	s_wait_dscnt 0x0
	v_pk_mul_f32 v[86:87], v[84:85], v[22:23] op_sel:[1,1] op_sel_hi:[0,1]
	s_delay_alu instid0(VALU_DEP_1)
	v_pk_fma_f32 v[90:91], v[84:85], v[22:23], v[86:87] op_sel_hi:[1,0,1] neg_lo:[0,0,1] neg_hi:[0,0,1]
	v_pk_fma_f32 v[92:93], v[84:85], v[22:23], v[86:87] op_sel_hi:[1,0,1]
	ds_load_2addr_b64 v[86:89], v106 offset0:8 offset1:9
	v_dual_mov_b32 v22, v90 :: v_dual_mov_b32 v23, v93
	s_wait_dscnt 0x0
	v_pk_mul_f32 v[94:95], v[86:87], v[92:93] op_sel:[0,1]
	s_delay_alu instid0(VALU_DEP_1) | instskip(SKIP_1) | instid1(VALU_DEP_1)
	v_pk_fma_f32 v[96:97], v[86:87], v[90:91], v[94:95] op_sel:[0,0,1] op_sel_hi:[1,1,0] neg_lo:[0,0,1] neg_hi:[0,0,1]
	v_pk_fma_f32 v[86:87], v[86:87], v[90:91], v[94:95] op_sel:[0,0,1] op_sel_hi:[1,0,0]
	v_mov_b32_e32 v97, v87
	v_pk_mul_f32 v[86:87], v[88:89], v[92:93] op_sel:[0,1]
	s_delay_alu instid0(VALU_DEP_1) | instskip(SKIP_1) | instid1(VALU_DEP_1)
	v_pk_fma_f32 v[94:95], v[88:89], v[90:91], v[86:87] op_sel:[0,0,1] op_sel_hi:[1,1,0] neg_lo:[0,0,1] neg_hi:[0,0,1]
	v_pk_fma_f32 v[86:87], v[88:89], v[90:91], v[86:87] op_sel:[0,0,1] op_sel_hi:[1,0,0]
	v_mov_b32_e32 v95, v87
	ds_load_2addr_b64 v[86:89], v106 offset0:10 offset1:11
	v_pk_add_f32 v[58:59], v[58:59], v[96:97] neg_lo:[0,1] neg_hi:[0,1]
	v_pk_add_f32 v[52:53], v[52:53], v[94:95] neg_lo:[0,1] neg_hi:[0,1]
	s_wait_dscnt 0x0
	v_pk_mul_f32 v[94:95], v[86:87], v[92:93] op_sel:[0,1]
	s_delay_alu instid0(VALU_DEP_1) | instskip(SKIP_2) | instid1(VALU_DEP_2)
	v_pk_fma_f32 v[96:97], v[86:87], v[90:91], v[94:95] op_sel:[0,0,1] op_sel_hi:[1,1,0] neg_lo:[0,0,1] neg_hi:[0,0,1]
	v_pk_fma_f32 v[86:87], v[86:87], v[90:91], v[94:95] op_sel:[0,0,1] op_sel_hi:[1,0,0]
	v_dual_mul_f32 v94, v89, v93 :: v_dual_mov_b32 v86, v89
	v_dual_mov_b32 v97, v87 :: v_dual_mov_b32 v87, v88
	s_delay_alu instid0(VALU_DEP_2) | instskip(SKIP_1) | instid1(VALU_DEP_3)
	v_pk_fma_f32 v[94:95], v[88:89], v[22:23], v[94:95] op_sel_hi:[1,1,0] neg_lo:[0,0,1] neg_hi:[0,0,1]
	v_mul_f32_e32 v88, v89, v90
	v_pk_add_f32 v[56:57], v[56:57], v[96:97] neg_lo:[0,1] neg_hi:[0,1]
	s_delay_alu instid0(VALU_DEP_2) | instskip(NEXT) | instid1(VALU_DEP_1)
	v_pk_fma_f32 v[86:87], v[86:87], v[22:23], v[88:89] op_sel_hi:[1,1,0]
	v_mov_b32_e32 v95, v87
	ds_load_2addr_b64 v[86:89], v106 offset0:12 offset1:13
	v_pk_add_f32 v[50:51], v[50:51], v[94:95] neg_lo:[0,1] neg_hi:[0,1]
	s_wait_dscnt 0x0
	v_pk_mul_f32 v[94:95], v[86:87], v[92:93] op_sel:[0,1]
	s_delay_alu instid0(VALU_DEP_1) | instskip(SKIP_1) | instid1(VALU_DEP_1)
	v_pk_fma_f32 v[96:97], v[86:87], v[90:91], v[94:95] op_sel:[0,0,1] op_sel_hi:[1,1,0] neg_lo:[0,0,1] neg_hi:[0,0,1]
	v_pk_fma_f32 v[86:87], v[86:87], v[90:91], v[94:95] op_sel:[0,0,1] op_sel_hi:[1,0,0]
	v_mov_b32_e32 v97, v87
	v_pk_mul_f32 v[86:87], v[88:89], v[92:93] op_sel:[0,1]
	s_delay_alu instid0(VALU_DEP_1) | instskip(SKIP_1) | instid1(VALU_DEP_1)
	v_pk_fma_f32 v[94:95], v[88:89], v[90:91], v[86:87] op_sel:[0,0,1] op_sel_hi:[1,1,0] neg_lo:[0,0,1] neg_hi:[0,0,1]
	v_pk_fma_f32 v[86:87], v[88:89], v[90:91], v[86:87] op_sel:[0,0,1] op_sel_hi:[1,0,0]
	v_mov_b32_e32 v95, v87
	ds_load_2addr_b64 v[86:89], v106 offset0:14 offset1:15
	v_pk_add_f32 v[54:55], v[54:55], v[96:97] neg_lo:[0,1] neg_hi:[0,1]
	v_pk_add_f32 v[66:67], v[66:67], v[94:95] neg_lo:[0,1] neg_hi:[0,1]
	s_wait_dscnt 0x0
	v_pk_mul_f32 v[94:95], v[86:87], v[92:93] op_sel:[0,1]
	s_delay_alu instid0(VALU_DEP_1) | instskip(SKIP_1) | instid1(VALU_DEP_1)
	v_pk_fma_f32 v[96:97], v[86:87], v[90:91], v[94:95] op_sel:[0,0,1] op_sel_hi:[1,1,0] neg_lo:[0,0,1] neg_hi:[0,0,1]
	v_pk_fma_f32 v[86:87], v[86:87], v[90:91], v[94:95] op_sel:[0,0,1] op_sel_hi:[1,0,0]
	v_mov_b32_e32 v97, v87
	v_pk_mul_f32 v[86:87], v[88:89], v[92:93] op_sel:[0,1]
	s_delay_alu instid0(VALU_DEP_1) | instskip(SKIP_1) | instid1(VALU_DEP_1)
	v_pk_fma_f32 v[94:95], v[88:89], v[90:91], v[86:87] op_sel:[0,0,1] op_sel_hi:[1,1,0] neg_lo:[0,0,1] neg_hi:[0,0,1]
	v_pk_fma_f32 v[86:87], v[88:89], v[90:91], v[86:87] op_sel:[0,0,1] op_sel_hi:[1,0,0]
	v_mov_b32_e32 v95, v87
	ds_load_b64 v[86:87], v106 offset:128
	v_pk_add_f32 v[62:63], v[62:63], v[96:97] neg_lo:[0,1] neg_hi:[0,1]
	v_pk_add_f32 v[60:61], v[60:61], v[94:95] neg_lo:[0,1] neg_hi:[0,1]
	s_wait_dscnt 0x0
	v_pk_mul_f32 v[88:89], v[86:87], v[92:93] op_sel:[0,1]
	s_delay_alu instid0(VALU_DEP_1) | instskip(SKIP_1) | instid1(VALU_DEP_1)
	v_pk_fma_f32 v[92:93], v[86:87], v[90:91], v[88:89] op_sel:[0,0,1] op_sel_hi:[1,1,0] neg_lo:[0,0,1] neg_hi:[0,0,1]
	v_pk_fma_f32 v[86:87], v[86:87], v[90:91], v[88:89] op_sel:[0,0,1] op_sel_hi:[1,0,0]
	v_mov_b32_e32 v93, v87
	s_delay_alu instid0(VALU_DEP_1)
	v_pk_add_f32 v[64:65], v[64:65], v[92:93] neg_lo:[0,1] neg_hi:[0,1]
.LBB33_73:
	s_or_b32 exec_lo, exec_lo, s1
	s_delay_alu instid0(SALU_CYCLE_1)
	s_mov_b32 s2, exec_lo
	s_wait_dscnt 0x0
	s_barrier_signal -1
	s_barrier_wait -1
	v_cmpx_eq_u32_e32 8, v104
	s_cbranch_execz .LBB33_80
; %bb.74:
	ds_store_b64 v105, v[58:59]
	ds_store_2addr_b64 v106, v[52:53], v[56:57] offset0:9 offset1:10
	ds_store_2addr_b64 v106, v[50:51], v[54:55] offset0:11 offset1:12
	;; [unrolled: 1-line block ×4, first 2 shown]
	ds_load_b64 v[86:87], v105
	s_wait_dscnt 0x0
	v_cmp_neq_f32_e32 vcc_lo, 0, v86
	v_cmp_neq_f32_e64 s1, 0, v87
	s_or_b32 s1, vcc_lo, s1
	s_delay_alu instid0(SALU_CYCLE_1)
	s_and_b32 exec_lo, exec_lo, s1
	s_cbranch_execz .LBB33_80
; %bb.75:
	v_cmp_ngt_f32_e64 s1, |v86|, |v87|
                                        ; implicit-def: $vgpr88_vgpr89
	s_and_saveexec_b32 s4, s1
	s_delay_alu instid0(SALU_CYCLE_1)
	s_xor_b32 s1, exec_lo, s4
	s_cbranch_execz .LBB33_77
; %bb.76:
	v_div_scale_f32 v88, null, v87, v87, v86
	v_div_scale_f32 v91, vcc_lo, v86, v87, v86
	s_delay_alu instid0(VALU_DEP_2) | instskip(SKIP_1) | instid1(TRANS32_DEP_1)
	v_rcp_f32_e32 v89, v88
	v_nop
	v_fma_f32 v90, -v88, v89, 1.0
	s_delay_alu instid0(VALU_DEP_1) | instskip(NEXT) | instid1(VALU_DEP_1)
	v_fmac_f32_e32 v89, v90, v89
	v_mul_f32_e32 v90, v91, v89
	s_delay_alu instid0(VALU_DEP_1) | instskip(NEXT) | instid1(VALU_DEP_1)
	v_fma_f32 v92, -v88, v90, v91
	v_fmac_f32_e32 v90, v92, v89
	s_delay_alu instid0(VALU_DEP_1) | instskip(NEXT) | instid1(VALU_DEP_1)
	v_fma_f32 v88, -v88, v90, v91
	v_div_fmas_f32 v88, v88, v89, v90
	s_delay_alu instid0(VALU_DEP_1) | instskip(NEXT) | instid1(VALU_DEP_1)
	v_div_fixup_f32 v88, v88, v87, v86
	v_fmac_f32_e32 v87, v86, v88
	s_delay_alu instid0(VALU_DEP_1) | instskip(SKIP_1) | instid1(VALU_DEP_2)
	v_div_scale_f32 v86, null, v87, v87, 1.0
	v_div_scale_f32 v91, vcc_lo, 1.0, v87, 1.0
	v_rcp_f32_e32 v89, v86
	v_nop
	s_delay_alu instid0(TRANS32_DEP_1) | instskip(NEXT) | instid1(VALU_DEP_1)
	v_fma_f32 v90, -v86, v89, 1.0
	v_fmac_f32_e32 v89, v90, v89
	s_delay_alu instid0(VALU_DEP_1) | instskip(NEXT) | instid1(VALU_DEP_1)
	v_mul_f32_e32 v90, v91, v89
	v_fma_f32 v92, -v86, v90, v91
	s_delay_alu instid0(VALU_DEP_1) | instskip(NEXT) | instid1(VALU_DEP_1)
	v_fmac_f32_e32 v90, v92, v89
	v_fma_f32 v86, -v86, v90, v91
	s_delay_alu instid0(VALU_DEP_1) | instskip(NEXT) | instid1(VALU_DEP_1)
	v_div_fmas_f32 v86, v86, v89, v90
	v_div_fixup_f32 v86, v86, v87, 1.0
	s_delay_alu instid0(VALU_DEP_1)
	v_mul_f32_e32 v88, v88, v86
	v_xor_b32_e32 v89, 0x80000000, v86
                                        ; implicit-def: $vgpr86_vgpr87
.LBB33_77:
	s_and_not1_saveexec_b32 s1, s1
	s_cbranch_execz .LBB33_79
; %bb.78:
	v_div_scale_f32 v88, null, v86, v86, v87
	v_div_scale_f32 v91, vcc_lo, v87, v86, v87
	s_delay_alu instid0(VALU_DEP_2) | instskip(SKIP_1) | instid1(TRANS32_DEP_1)
	v_rcp_f32_e32 v89, v88
	v_nop
	v_fma_f32 v90, -v88, v89, 1.0
	s_delay_alu instid0(VALU_DEP_1) | instskip(NEXT) | instid1(VALU_DEP_1)
	v_fmac_f32_e32 v89, v90, v89
	v_mul_f32_e32 v90, v91, v89
	s_delay_alu instid0(VALU_DEP_1) | instskip(NEXT) | instid1(VALU_DEP_1)
	v_fma_f32 v92, -v88, v90, v91
	v_fmac_f32_e32 v90, v92, v89
	s_delay_alu instid0(VALU_DEP_1) | instskip(NEXT) | instid1(VALU_DEP_1)
	v_fma_f32 v88, -v88, v90, v91
	v_div_fmas_f32 v88, v88, v89, v90
	s_delay_alu instid0(VALU_DEP_1) | instskip(NEXT) | instid1(VALU_DEP_1)
	v_div_fixup_f32 v89, v88, v86, v87
	v_fmac_f32_e32 v86, v87, v89
	s_delay_alu instid0(VALU_DEP_1) | instskip(NEXT) | instid1(VALU_DEP_1)
	v_div_scale_f32 v87, null, v86, v86, 1.0
	v_rcp_f32_e32 v88, v87
	v_nop
	s_delay_alu instid0(TRANS32_DEP_1) | instskip(NEXT) | instid1(VALU_DEP_1)
	v_fma_f32 v90, -v87, v88, 1.0
	v_fmac_f32_e32 v88, v90, v88
	v_div_scale_f32 v90, vcc_lo, 1.0, v86, 1.0
	s_delay_alu instid0(VALU_DEP_1) | instskip(NEXT) | instid1(VALU_DEP_1)
	v_mul_f32_e32 v91, v90, v88
	v_fma_f32 v92, -v87, v91, v90
	s_delay_alu instid0(VALU_DEP_1) | instskip(NEXT) | instid1(VALU_DEP_1)
	v_fmac_f32_e32 v91, v92, v88
	v_fma_f32 v87, -v87, v91, v90
	s_delay_alu instid0(VALU_DEP_1) | instskip(NEXT) | instid1(VALU_DEP_1)
	v_div_fmas_f32 v87, v87, v88, v91
	v_div_fixup_f32 v88, v87, v86, 1.0
	s_delay_alu instid0(VALU_DEP_1)
	v_mul_f32_e64 v89, v89, -v88
.LBB33_79:
	s_or_b32 exec_lo, exec_lo, s1
	ds_store_b64 v105, v[88:89]
.LBB33_80:
	s_or_b32 exec_lo, exec_lo, s2
	s_wait_dscnt 0x0
	s_barrier_signal -1
	s_barrier_wait -1
	ds_load_b64 v[86:87], v105
	s_mov_b32 s1, exec_lo
	v_cmpx_lt_u32_e32 8, v104
	s_cbranch_execz .LBB33_82
; %bb.81:
	s_wait_dscnt 0x0
	v_pk_mul_f32 v[88:89], v[86:87], v[58:59] op_sel:[1,1] op_sel_hi:[0,1]
	s_delay_alu instid0(VALU_DEP_1)
	v_pk_fma_f32 v[92:93], v[86:87], v[58:59], v[88:89] op_sel_hi:[1,0,1] neg_lo:[0,0,1] neg_hi:[0,0,1]
	v_pk_fma_f32 v[94:95], v[86:87], v[58:59], v[88:89] op_sel_hi:[1,0,1]
	ds_load_2addr_b64 v[88:91], v106 offset0:9 offset1:10
	v_dual_mov_b32 v58, v92 :: v_dual_mov_b32 v59, v95
	s_wait_dscnt 0x0
	v_pk_mul_f32 v[96:97], v[88:89], v[94:95] op_sel:[0,1]
	s_delay_alu instid0(VALU_DEP_1) | instskip(SKIP_1) | instid1(VALU_DEP_1)
	v_pk_fma_f32 v[98:99], v[88:89], v[92:93], v[96:97] op_sel:[0,0,1] op_sel_hi:[1,1,0] neg_lo:[0,0,1] neg_hi:[0,0,1]
	v_pk_fma_f32 v[88:89], v[88:89], v[92:93], v[96:97] op_sel:[0,0,1] op_sel_hi:[1,0,0]
	v_mov_b32_e32 v99, v89
	v_pk_mul_f32 v[88:89], v[90:91], v[94:95] op_sel:[0,1]
	s_delay_alu instid0(VALU_DEP_1) | instskip(SKIP_1) | instid1(VALU_DEP_1)
	v_pk_fma_f32 v[96:97], v[90:91], v[92:93], v[88:89] op_sel:[0,0,1] op_sel_hi:[1,1,0] neg_lo:[0,0,1] neg_hi:[0,0,1]
	v_pk_fma_f32 v[88:89], v[90:91], v[92:93], v[88:89] op_sel:[0,0,1] op_sel_hi:[1,0,0]
	v_mov_b32_e32 v97, v89
	ds_load_2addr_b64 v[88:91], v106 offset0:11 offset1:12
	v_pk_add_f32 v[52:53], v[52:53], v[98:99] neg_lo:[0,1] neg_hi:[0,1]
	v_pk_add_f32 v[56:57], v[56:57], v[96:97] neg_lo:[0,1] neg_hi:[0,1]
	s_wait_dscnt 0x0
	v_pk_mul_f32 v[96:97], v[88:89], v[94:95] op_sel:[0,1]
	s_delay_alu instid0(VALU_DEP_1) | instskip(SKIP_2) | instid1(VALU_DEP_2)
	v_pk_fma_f32 v[98:99], v[88:89], v[92:93], v[96:97] op_sel:[0,0,1] op_sel_hi:[1,1,0] neg_lo:[0,0,1] neg_hi:[0,0,1]
	v_pk_fma_f32 v[88:89], v[88:89], v[92:93], v[96:97] op_sel:[0,0,1] op_sel_hi:[1,0,0]
	v_dual_mul_f32 v96, v91, v95 :: v_dual_mov_b32 v88, v91
	v_dual_mov_b32 v99, v89 :: v_dual_mov_b32 v89, v90
	s_delay_alu instid0(VALU_DEP_2) | instskip(SKIP_1) | instid1(VALU_DEP_3)
	v_pk_fma_f32 v[96:97], v[90:91], v[58:59], v[96:97] op_sel_hi:[1,1,0] neg_lo:[0,0,1] neg_hi:[0,0,1]
	v_mul_f32_e32 v90, v91, v92
	v_pk_add_f32 v[50:51], v[50:51], v[98:99] neg_lo:[0,1] neg_hi:[0,1]
	s_delay_alu instid0(VALU_DEP_2) | instskip(NEXT) | instid1(VALU_DEP_1)
	v_pk_fma_f32 v[88:89], v[88:89], v[58:59], v[90:91] op_sel_hi:[1,1,0]
	v_mov_b32_e32 v97, v89
	ds_load_2addr_b64 v[88:91], v106 offset0:13 offset1:14
	v_pk_add_f32 v[54:55], v[54:55], v[96:97] neg_lo:[0,1] neg_hi:[0,1]
	s_wait_dscnt 0x0
	v_pk_mul_f32 v[96:97], v[88:89], v[94:95] op_sel:[0,1]
	s_delay_alu instid0(VALU_DEP_1) | instskip(SKIP_1) | instid1(VALU_DEP_1)
	v_pk_fma_f32 v[98:99], v[88:89], v[92:93], v[96:97] op_sel:[0,0,1] op_sel_hi:[1,1,0] neg_lo:[0,0,1] neg_hi:[0,0,1]
	v_pk_fma_f32 v[88:89], v[88:89], v[92:93], v[96:97] op_sel:[0,0,1] op_sel_hi:[1,0,0]
	v_mov_b32_e32 v99, v89
	v_pk_mul_f32 v[88:89], v[90:91], v[94:95] op_sel:[0,1]
	s_delay_alu instid0(VALU_DEP_1) | instskip(SKIP_1) | instid1(VALU_DEP_1)
	v_pk_fma_f32 v[96:97], v[90:91], v[92:93], v[88:89] op_sel:[0,0,1] op_sel_hi:[1,1,0] neg_lo:[0,0,1] neg_hi:[0,0,1]
	v_pk_fma_f32 v[88:89], v[90:91], v[92:93], v[88:89] op_sel:[0,0,1] op_sel_hi:[1,0,0]
	v_mov_b32_e32 v97, v89
	ds_load_2addr_b64 v[88:91], v106 offset0:15 offset1:16
	v_pk_add_f32 v[66:67], v[66:67], v[98:99] neg_lo:[0,1] neg_hi:[0,1]
	v_pk_add_f32 v[62:63], v[62:63], v[96:97] neg_lo:[0,1] neg_hi:[0,1]
	s_wait_dscnt 0x0
	v_pk_mul_f32 v[96:97], v[88:89], v[94:95] op_sel:[0,1]
	s_delay_alu instid0(VALU_DEP_1) | instskip(SKIP_1) | instid1(VALU_DEP_1)
	v_pk_fma_f32 v[98:99], v[88:89], v[92:93], v[96:97] op_sel:[0,0,1] op_sel_hi:[1,1,0] neg_lo:[0,0,1] neg_hi:[0,0,1]
	v_pk_fma_f32 v[88:89], v[88:89], v[92:93], v[96:97] op_sel:[0,0,1] op_sel_hi:[1,0,0]
	v_mov_b32_e32 v99, v89
	v_pk_mul_f32 v[88:89], v[90:91], v[94:95] op_sel:[0,1]
	s_delay_alu instid0(VALU_DEP_1) | instskip(SKIP_1) | instid1(VALU_DEP_1)
	v_pk_fma_f32 v[94:95], v[90:91], v[92:93], v[88:89] op_sel:[0,0,1] op_sel_hi:[1,1,0] neg_lo:[0,0,1] neg_hi:[0,0,1]
	v_pk_fma_f32 v[88:89], v[90:91], v[92:93], v[88:89] op_sel:[0,0,1] op_sel_hi:[1,0,0]
	v_mov_b32_e32 v95, v89
	v_pk_add_f32 v[60:61], v[60:61], v[98:99] neg_lo:[0,1] neg_hi:[0,1]
	s_delay_alu instid0(VALU_DEP_2)
	v_pk_add_f32 v[64:65], v[64:65], v[94:95] neg_lo:[0,1] neg_hi:[0,1]
.LBB33_82:
	s_or_b32 exec_lo, exec_lo, s1
	s_delay_alu instid0(SALU_CYCLE_1)
	s_mov_b32 s2, exec_lo
	s_wait_dscnt 0x0
	s_barrier_signal -1
	s_barrier_wait -1
	v_cmpx_eq_u32_e32 9, v104
	s_cbranch_execz .LBB33_89
; %bb.83:
	v_dual_mov_b32 v88, v56 :: v_dual_mov_b32 v89, v57
	v_dual_mov_b32 v90, v50 :: v_dual_mov_b32 v91, v51
	;; [unrolled: 1-line block ×6, first 2 shown]
	ds_store_b64 v105, v[52:53]
	ds_store_2addr_b64 v106, v[88:89], v[90:91] offset0:10 offset1:11
	ds_store_2addr_b64 v106, v[92:93], v[94:95] offset0:12 offset1:13
	;; [unrolled: 1-line block ×3, first 2 shown]
	ds_store_b64 v106, v[64:65] offset:128
	ds_load_b64 v[88:89], v105
	s_wait_dscnt 0x0
	v_cmp_neq_f32_e32 vcc_lo, 0, v88
	v_cmp_neq_f32_e64 s1, 0, v89
	s_or_b32 s1, vcc_lo, s1
	s_delay_alu instid0(SALU_CYCLE_1)
	s_and_b32 exec_lo, exec_lo, s1
	s_cbranch_execz .LBB33_89
; %bb.84:
	v_cmp_ngt_f32_e64 s1, |v88|, |v89|
                                        ; implicit-def: $vgpr90_vgpr91
	s_and_saveexec_b32 s4, s1
	s_delay_alu instid0(SALU_CYCLE_1)
	s_xor_b32 s1, exec_lo, s4
	s_cbranch_execz .LBB33_86
; %bb.85:
	v_div_scale_f32 v90, null, v89, v89, v88
	v_div_scale_f32 v93, vcc_lo, v88, v89, v88
	s_delay_alu instid0(VALU_DEP_2) | instskip(SKIP_1) | instid1(TRANS32_DEP_1)
	v_rcp_f32_e32 v91, v90
	v_nop
	v_fma_f32 v92, -v90, v91, 1.0
	s_delay_alu instid0(VALU_DEP_1) | instskip(NEXT) | instid1(VALU_DEP_1)
	v_fmac_f32_e32 v91, v92, v91
	v_mul_f32_e32 v92, v93, v91
	s_delay_alu instid0(VALU_DEP_1) | instskip(NEXT) | instid1(VALU_DEP_1)
	v_fma_f32 v94, -v90, v92, v93
	v_fmac_f32_e32 v92, v94, v91
	s_delay_alu instid0(VALU_DEP_1) | instskip(NEXT) | instid1(VALU_DEP_1)
	v_fma_f32 v90, -v90, v92, v93
	v_div_fmas_f32 v90, v90, v91, v92
	s_delay_alu instid0(VALU_DEP_1) | instskip(NEXT) | instid1(VALU_DEP_1)
	v_div_fixup_f32 v90, v90, v89, v88
	v_fmac_f32_e32 v89, v88, v90
	s_delay_alu instid0(VALU_DEP_1) | instskip(SKIP_1) | instid1(VALU_DEP_2)
	v_div_scale_f32 v88, null, v89, v89, 1.0
	v_div_scale_f32 v93, vcc_lo, 1.0, v89, 1.0
	v_rcp_f32_e32 v91, v88
	v_nop
	s_delay_alu instid0(TRANS32_DEP_1) | instskip(NEXT) | instid1(VALU_DEP_1)
	v_fma_f32 v92, -v88, v91, 1.0
	v_fmac_f32_e32 v91, v92, v91
	s_delay_alu instid0(VALU_DEP_1) | instskip(NEXT) | instid1(VALU_DEP_1)
	v_mul_f32_e32 v92, v93, v91
	v_fma_f32 v94, -v88, v92, v93
	s_delay_alu instid0(VALU_DEP_1) | instskip(NEXT) | instid1(VALU_DEP_1)
	v_fmac_f32_e32 v92, v94, v91
	v_fma_f32 v88, -v88, v92, v93
	s_delay_alu instid0(VALU_DEP_1) | instskip(NEXT) | instid1(VALU_DEP_1)
	v_div_fmas_f32 v88, v88, v91, v92
	v_div_fixup_f32 v88, v88, v89, 1.0
	s_delay_alu instid0(VALU_DEP_1)
	v_mul_f32_e32 v90, v90, v88
	v_xor_b32_e32 v91, 0x80000000, v88
                                        ; implicit-def: $vgpr88_vgpr89
.LBB33_86:
	s_and_not1_saveexec_b32 s1, s1
	s_cbranch_execz .LBB33_88
; %bb.87:
	v_div_scale_f32 v90, null, v88, v88, v89
	v_div_scale_f32 v93, vcc_lo, v89, v88, v89
	s_delay_alu instid0(VALU_DEP_2) | instskip(SKIP_1) | instid1(TRANS32_DEP_1)
	v_rcp_f32_e32 v91, v90
	v_nop
	v_fma_f32 v92, -v90, v91, 1.0
	s_delay_alu instid0(VALU_DEP_1) | instskip(NEXT) | instid1(VALU_DEP_1)
	v_fmac_f32_e32 v91, v92, v91
	v_mul_f32_e32 v92, v93, v91
	s_delay_alu instid0(VALU_DEP_1) | instskip(NEXT) | instid1(VALU_DEP_1)
	v_fma_f32 v94, -v90, v92, v93
	v_fmac_f32_e32 v92, v94, v91
	s_delay_alu instid0(VALU_DEP_1) | instskip(NEXT) | instid1(VALU_DEP_1)
	v_fma_f32 v90, -v90, v92, v93
	v_div_fmas_f32 v90, v90, v91, v92
	s_delay_alu instid0(VALU_DEP_1) | instskip(NEXT) | instid1(VALU_DEP_1)
	v_div_fixup_f32 v91, v90, v88, v89
	v_fmac_f32_e32 v88, v89, v91
	s_delay_alu instid0(VALU_DEP_1) | instskip(NEXT) | instid1(VALU_DEP_1)
	v_div_scale_f32 v89, null, v88, v88, 1.0
	v_rcp_f32_e32 v90, v89
	v_nop
	s_delay_alu instid0(TRANS32_DEP_1) | instskip(NEXT) | instid1(VALU_DEP_1)
	v_fma_f32 v92, -v89, v90, 1.0
	v_fmac_f32_e32 v90, v92, v90
	v_div_scale_f32 v92, vcc_lo, 1.0, v88, 1.0
	s_delay_alu instid0(VALU_DEP_1) | instskip(NEXT) | instid1(VALU_DEP_1)
	v_mul_f32_e32 v93, v92, v90
	v_fma_f32 v94, -v89, v93, v92
	s_delay_alu instid0(VALU_DEP_1) | instskip(NEXT) | instid1(VALU_DEP_1)
	v_fmac_f32_e32 v93, v94, v90
	v_fma_f32 v89, -v89, v93, v92
	s_delay_alu instid0(VALU_DEP_1) | instskip(NEXT) | instid1(VALU_DEP_1)
	v_div_fmas_f32 v89, v89, v90, v93
	v_div_fixup_f32 v90, v89, v88, 1.0
	s_delay_alu instid0(VALU_DEP_1)
	v_mul_f32_e64 v91, v91, -v90
.LBB33_88:
	s_or_b32 exec_lo, exec_lo, s1
	ds_store_b64 v105, v[90:91]
.LBB33_89:
	s_or_b32 exec_lo, exec_lo, s2
	s_wait_dscnt 0x0
	s_barrier_signal -1
	s_barrier_wait -1
	ds_load_b64 v[88:89], v105
	s_mov_b32 s1, exec_lo
	v_cmpx_lt_u32_e32 9, v104
	s_cbranch_execz .LBB33_91
; %bb.90:
	s_wait_dscnt 0x0
	v_pk_mul_f32 v[90:91], v[88:89], v[52:53] op_sel:[1,1] op_sel_hi:[0,1]
	s_delay_alu instid0(VALU_DEP_1)
	v_pk_fma_f32 v[94:95], v[88:89], v[52:53], v[90:91] op_sel_hi:[1,0,1] neg_lo:[0,0,1] neg_hi:[0,0,1]
	v_pk_fma_f32 v[96:97], v[88:89], v[52:53], v[90:91] op_sel_hi:[1,0,1]
	ds_load_2addr_b64 v[90:93], v106 offset0:10 offset1:11
	v_dual_mov_b32 v52, v94 :: v_dual_mov_b32 v53, v97
	s_wait_dscnt 0x0
	v_pk_mul_f32 v[98:99], v[90:91], v[96:97] op_sel:[0,1]
	s_delay_alu instid0(VALU_DEP_1) | instskip(SKIP_1) | instid1(VALU_DEP_1)
	v_pk_fma_f32 v[100:101], v[90:91], v[94:95], v[98:99] op_sel:[0,0,1] op_sel_hi:[1,1,0] neg_lo:[0,0,1] neg_hi:[0,0,1]
	v_pk_fma_f32 v[90:91], v[90:91], v[94:95], v[98:99] op_sel:[0,0,1] op_sel_hi:[1,0,0]
	v_mov_b32_e32 v101, v91
	v_pk_mul_f32 v[90:91], v[92:93], v[96:97] op_sel:[0,1]
	s_delay_alu instid0(VALU_DEP_1) | instskip(SKIP_1) | instid1(VALU_DEP_1)
	v_pk_fma_f32 v[98:99], v[92:93], v[94:95], v[90:91] op_sel:[0,0,1] op_sel_hi:[1,1,0] neg_lo:[0,0,1] neg_hi:[0,0,1]
	v_pk_fma_f32 v[90:91], v[92:93], v[94:95], v[90:91] op_sel:[0,0,1] op_sel_hi:[1,0,0]
	v_mov_b32_e32 v99, v91
	ds_load_2addr_b64 v[90:93], v106 offset0:12 offset1:13
	v_pk_add_f32 v[56:57], v[56:57], v[100:101] neg_lo:[0,1] neg_hi:[0,1]
	v_pk_add_f32 v[50:51], v[50:51], v[98:99] neg_lo:[0,1] neg_hi:[0,1]
	s_wait_dscnt 0x0
	v_pk_mul_f32 v[98:99], v[90:91], v[96:97] op_sel:[0,1]
	s_delay_alu instid0(VALU_DEP_1) | instskip(SKIP_2) | instid1(VALU_DEP_2)
	v_pk_fma_f32 v[100:101], v[90:91], v[94:95], v[98:99] op_sel:[0,0,1] op_sel_hi:[1,1,0] neg_lo:[0,0,1] neg_hi:[0,0,1]
	v_pk_fma_f32 v[90:91], v[90:91], v[94:95], v[98:99] op_sel:[0,0,1] op_sel_hi:[1,0,0]
	v_dual_mul_f32 v98, v93, v97 :: v_dual_mov_b32 v90, v93
	v_dual_mov_b32 v101, v91 :: v_dual_mov_b32 v91, v92
	s_delay_alu instid0(VALU_DEP_2) | instskip(SKIP_1) | instid1(VALU_DEP_3)
	v_pk_fma_f32 v[98:99], v[92:93], v[52:53], v[98:99] op_sel_hi:[1,1,0] neg_lo:[0,0,1] neg_hi:[0,0,1]
	v_mul_f32_e32 v92, v93, v94
	v_pk_add_f32 v[54:55], v[54:55], v[100:101] neg_lo:[0,1] neg_hi:[0,1]
	s_delay_alu instid0(VALU_DEP_2) | instskip(NEXT) | instid1(VALU_DEP_1)
	v_pk_fma_f32 v[90:91], v[90:91], v[52:53], v[92:93] op_sel_hi:[1,1,0]
	v_mov_b32_e32 v99, v91
	ds_load_2addr_b64 v[90:93], v106 offset0:14 offset1:15
	v_pk_add_f32 v[66:67], v[66:67], v[98:99] neg_lo:[0,1] neg_hi:[0,1]
	s_wait_dscnt 0x0
	v_pk_mul_f32 v[98:99], v[90:91], v[96:97] op_sel:[0,1]
	s_delay_alu instid0(VALU_DEP_1) | instskip(SKIP_1) | instid1(VALU_DEP_1)
	v_pk_fma_f32 v[100:101], v[90:91], v[94:95], v[98:99] op_sel:[0,0,1] op_sel_hi:[1,1,0] neg_lo:[0,0,1] neg_hi:[0,0,1]
	v_pk_fma_f32 v[90:91], v[90:91], v[94:95], v[98:99] op_sel:[0,0,1] op_sel_hi:[1,0,0]
	v_mov_b32_e32 v101, v91
	v_pk_mul_f32 v[90:91], v[92:93], v[96:97] op_sel:[0,1]
	s_delay_alu instid0(VALU_DEP_1) | instskip(SKIP_1) | instid1(VALU_DEP_1)
	v_pk_fma_f32 v[98:99], v[92:93], v[94:95], v[90:91] op_sel:[0,0,1] op_sel_hi:[1,1,0] neg_lo:[0,0,1] neg_hi:[0,0,1]
	v_pk_fma_f32 v[90:91], v[92:93], v[94:95], v[90:91] op_sel:[0,0,1] op_sel_hi:[1,0,0]
	v_mov_b32_e32 v99, v91
	ds_load_b64 v[90:91], v106 offset:128
	v_pk_add_f32 v[62:63], v[62:63], v[100:101] neg_lo:[0,1] neg_hi:[0,1]
	v_pk_add_f32 v[60:61], v[60:61], v[98:99] neg_lo:[0,1] neg_hi:[0,1]
	s_wait_dscnt 0x0
	v_pk_mul_f32 v[92:93], v[90:91], v[96:97] op_sel:[0,1]
	s_delay_alu instid0(VALU_DEP_1) | instskip(SKIP_1) | instid1(VALU_DEP_1)
	v_pk_fma_f32 v[96:97], v[90:91], v[94:95], v[92:93] op_sel:[0,0,1] op_sel_hi:[1,1,0] neg_lo:[0,0,1] neg_hi:[0,0,1]
	v_pk_fma_f32 v[90:91], v[90:91], v[94:95], v[92:93] op_sel:[0,0,1] op_sel_hi:[1,0,0]
	v_mov_b32_e32 v97, v91
	s_delay_alu instid0(VALU_DEP_1)
	v_pk_add_f32 v[64:65], v[64:65], v[96:97] neg_lo:[0,1] neg_hi:[0,1]
.LBB33_91:
	s_or_b32 exec_lo, exec_lo, s1
	s_delay_alu instid0(SALU_CYCLE_1)
	s_mov_b32 s2, exec_lo
	s_wait_dscnt 0x0
	s_barrier_signal -1
	s_barrier_wait -1
	v_cmpx_eq_u32_e32 10, v104
	s_cbranch_execz .LBB33_98
; %bb.92:
	ds_store_b64 v105, v[56:57]
	ds_store_2addr_b64 v106, v[50:51], v[54:55] offset0:11 offset1:12
	ds_store_2addr_b64 v106, v[66:67], v[62:63] offset0:13 offset1:14
	;; [unrolled: 1-line block ×3, first 2 shown]
	ds_load_b64 v[90:91], v105
	s_wait_dscnt 0x0
	v_cmp_neq_f32_e32 vcc_lo, 0, v90
	v_cmp_neq_f32_e64 s1, 0, v91
	s_or_b32 s1, vcc_lo, s1
	s_delay_alu instid0(SALU_CYCLE_1)
	s_and_b32 exec_lo, exec_lo, s1
	s_cbranch_execz .LBB33_98
; %bb.93:
	v_cmp_ngt_f32_e64 s1, |v90|, |v91|
                                        ; implicit-def: $vgpr92_vgpr93
	s_and_saveexec_b32 s4, s1
	s_delay_alu instid0(SALU_CYCLE_1)
	s_xor_b32 s1, exec_lo, s4
	s_cbranch_execz .LBB33_95
; %bb.94:
	v_div_scale_f32 v92, null, v91, v91, v90
	v_div_scale_f32 v95, vcc_lo, v90, v91, v90
	s_delay_alu instid0(VALU_DEP_2) | instskip(SKIP_1) | instid1(TRANS32_DEP_1)
	v_rcp_f32_e32 v93, v92
	v_nop
	v_fma_f32 v94, -v92, v93, 1.0
	s_delay_alu instid0(VALU_DEP_1) | instskip(NEXT) | instid1(VALU_DEP_1)
	v_fmac_f32_e32 v93, v94, v93
	v_mul_f32_e32 v94, v95, v93
	s_delay_alu instid0(VALU_DEP_1) | instskip(NEXT) | instid1(VALU_DEP_1)
	v_fma_f32 v96, -v92, v94, v95
	v_fmac_f32_e32 v94, v96, v93
	s_delay_alu instid0(VALU_DEP_1) | instskip(NEXT) | instid1(VALU_DEP_1)
	v_fma_f32 v92, -v92, v94, v95
	v_div_fmas_f32 v92, v92, v93, v94
	s_delay_alu instid0(VALU_DEP_1) | instskip(NEXT) | instid1(VALU_DEP_1)
	v_div_fixup_f32 v92, v92, v91, v90
	v_fmac_f32_e32 v91, v90, v92
	s_delay_alu instid0(VALU_DEP_1) | instskip(SKIP_1) | instid1(VALU_DEP_2)
	v_div_scale_f32 v90, null, v91, v91, 1.0
	v_div_scale_f32 v95, vcc_lo, 1.0, v91, 1.0
	v_rcp_f32_e32 v93, v90
	v_nop
	s_delay_alu instid0(TRANS32_DEP_1) | instskip(NEXT) | instid1(VALU_DEP_1)
	v_fma_f32 v94, -v90, v93, 1.0
	v_fmac_f32_e32 v93, v94, v93
	s_delay_alu instid0(VALU_DEP_1) | instskip(NEXT) | instid1(VALU_DEP_1)
	v_mul_f32_e32 v94, v95, v93
	v_fma_f32 v96, -v90, v94, v95
	s_delay_alu instid0(VALU_DEP_1) | instskip(NEXT) | instid1(VALU_DEP_1)
	v_fmac_f32_e32 v94, v96, v93
	v_fma_f32 v90, -v90, v94, v95
	s_delay_alu instid0(VALU_DEP_1) | instskip(NEXT) | instid1(VALU_DEP_1)
	v_div_fmas_f32 v90, v90, v93, v94
	v_div_fixup_f32 v90, v90, v91, 1.0
	s_delay_alu instid0(VALU_DEP_1)
	v_mul_f32_e32 v92, v92, v90
	v_xor_b32_e32 v93, 0x80000000, v90
                                        ; implicit-def: $vgpr90_vgpr91
.LBB33_95:
	s_and_not1_saveexec_b32 s1, s1
	s_cbranch_execz .LBB33_97
; %bb.96:
	v_div_scale_f32 v92, null, v90, v90, v91
	v_div_scale_f32 v95, vcc_lo, v91, v90, v91
	s_delay_alu instid0(VALU_DEP_2) | instskip(SKIP_1) | instid1(TRANS32_DEP_1)
	v_rcp_f32_e32 v93, v92
	v_nop
	v_fma_f32 v94, -v92, v93, 1.0
	s_delay_alu instid0(VALU_DEP_1) | instskip(NEXT) | instid1(VALU_DEP_1)
	v_fmac_f32_e32 v93, v94, v93
	v_mul_f32_e32 v94, v95, v93
	s_delay_alu instid0(VALU_DEP_1) | instskip(NEXT) | instid1(VALU_DEP_1)
	v_fma_f32 v96, -v92, v94, v95
	v_fmac_f32_e32 v94, v96, v93
	s_delay_alu instid0(VALU_DEP_1) | instskip(NEXT) | instid1(VALU_DEP_1)
	v_fma_f32 v92, -v92, v94, v95
	v_div_fmas_f32 v92, v92, v93, v94
	s_delay_alu instid0(VALU_DEP_1) | instskip(NEXT) | instid1(VALU_DEP_1)
	v_div_fixup_f32 v93, v92, v90, v91
	v_fmac_f32_e32 v90, v91, v93
	s_delay_alu instid0(VALU_DEP_1) | instskip(NEXT) | instid1(VALU_DEP_1)
	v_div_scale_f32 v91, null, v90, v90, 1.0
	v_rcp_f32_e32 v92, v91
	v_nop
	s_delay_alu instid0(TRANS32_DEP_1) | instskip(NEXT) | instid1(VALU_DEP_1)
	v_fma_f32 v94, -v91, v92, 1.0
	v_fmac_f32_e32 v92, v94, v92
	v_div_scale_f32 v94, vcc_lo, 1.0, v90, 1.0
	s_delay_alu instid0(VALU_DEP_1) | instskip(NEXT) | instid1(VALU_DEP_1)
	v_mul_f32_e32 v95, v94, v92
	v_fma_f32 v96, -v91, v95, v94
	s_delay_alu instid0(VALU_DEP_1) | instskip(NEXT) | instid1(VALU_DEP_1)
	v_fmac_f32_e32 v95, v96, v92
	v_fma_f32 v91, -v91, v95, v94
	s_delay_alu instid0(VALU_DEP_1) | instskip(NEXT) | instid1(VALU_DEP_1)
	v_div_fmas_f32 v91, v91, v92, v95
	v_div_fixup_f32 v92, v91, v90, 1.0
	s_delay_alu instid0(VALU_DEP_1)
	v_mul_f32_e64 v93, v93, -v92
.LBB33_97:
	s_or_b32 exec_lo, exec_lo, s1
	ds_store_b64 v105, v[92:93]
.LBB33_98:
	s_or_b32 exec_lo, exec_lo, s2
	s_wait_dscnt 0x0
	s_barrier_signal -1
	s_barrier_wait -1
	ds_load_b64 v[90:91], v105
	s_mov_b32 s1, exec_lo
	v_cmpx_lt_u32_e32 10, v104
	s_cbranch_execz .LBB33_100
; %bb.99:
	s_wait_dscnt 0x0
	v_pk_mul_f32 v[92:93], v[90:91], v[56:57] op_sel:[1,1] op_sel_hi:[0,1]
	s_delay_alu instid0(VALU_DEP_1)
	v_pk_fma_f32 v[96:97], v[90:91], v[56:57], v[92:93] op_sel_hi:[1,0,1] neg_lo:[0,0,1] neg_hi:[0,0,1]
	v_pk_fma_f32 v[98:99], v[90:91], v[56:57], v[92:93] op_sel_hi:[1,0,1]
	ds_load_2addr_b64 v[92:95], v106 offset0:11 offset1:12
	v_dual_mov_b32 v56, v96 :: v_dual_mov_b32 v57, v99
	s_wait_dscnt 0x0
	v_pk_mul_f32 v[100:101], v[92:93], v[98:99] op_sel:[0,1]
	s_delay_alu instid0(VALU_DEP_1) | instskip(SKIP_1) | instid1(VALU_DEP_1)
	v_pk_fma_f32 v[102:103], v[92:93], v[96:97], v[100:101] op_sel:[0,0,1] op_sel_hi:[1,1,0] neg_lo:[0,0,1] neg_hi:[0,0,1]
	v_pk_fma_f32 v[92:93], v[92:93], v[96:97], v[100:101] op_sel:[0,0,1] op_sel_hi:[1,0,0]
	v_mov_b32_e32 v103, v93
	v_pk_mul_f32 v[92:93], v[94:95], v[98:99] op_sel:[0,1]
	s_delay_alu instid0(VALU_DEP_1) | instskip(SKIP_1) | instid1(VALU_DEP_1)
	v_pk_fma_f32 v[100:101], v[94:95], v[96:97], v[92:93] op_sel:[0,0,1] op_sel_hi:[1,1,0] neg_lo:[0,0,1] neg_hi:[0,0,1]
	v_pk_fma_f32 v[92:93], v[94:95], v[96:97], v[92:93] op_sel:[0,0,1] op_sel_hi:[1,0,0]
	v_mov_b32_e32 v101, v93
	ds_load_2addr_b64 v[92:95], v106 offset0:13 offset1:14
	v_pk_add_f32 v[50:51], v[50:51], v[102:103] neg_lo:[0,1] neg_hi:[0,1]
	v_pk_add_f32 v[54:55], v[54:55], v[100:101] neg_lo:[0,1] neg_hi:[0,1]
	s_wait_dscnt 0x0
	v_pk_mul_f32 v[100:101], v[92:93], v[98:99] op_sel:[0,1]
	s_delay_alu instid0(VALU_DEP_1) | instskip(SKIP_2) | instid1(VALU_DEP_2)
	v_pk_fma_f32 v[102:103], v[92:93], v[96:97], v[100:101] op_sel:[0,0,1] op_sel_hi:[1,1,0] neg_lo:[0,0,1] neg_hi:[0,0,1]
	v_pk_fma_f32 v[92:93], v[92:93], v[96:97], v[100:101] op_sel:[0,0,1] op_sel_hi:[1,0,0]
	v_dual_mul_f32 v100, v95, v99 :: v_dual_mov_b32 v92, v95
	v_dual_mov_b32 v103, v93 :: v_dual_mov_b32 v93, v94
	s_delay_alu instid0(VALU_DEP_2) | instskip(SKIP_1) | instid1(VALU_DEP_3)
	v_pk_fma_f32 v[100:101], v[94:95], v[56:57], v[100:101] op_sel_hi:[1,1,0] neg_lo:[0,0,1] neg_hi:[0,0,1]
	v_mul_f32_e32 v94, v95, v96
	v_pk_add_f32 v[66:67], v[66:67], v[102:103] neg_lo:[0,1] neg_hi:[0,1]
	s_delay_alu instid0(VALU_DEP_2) | instskip(NEXT) | instid1(VALU_DEP_1)
	v_pk_fma_f32 v[92:93], v[92:93], v[56:57], v[94:95] op_sel_hi:[1,1,0]
	v_mov_b32_e32 v101, v93
	ds_load_2addr_b64 v[92:95], v106 offset0:15 offset1:16
	v_pk_add_f32 v[62:63], v[62:63], v[100:101] neg_lo:[0,1] neg_hi:[0,1]
	s_wait_dscnt 0x0
	v_pk_mul_f32 v[100:101], v[92:93], v[98:99] op_sel:[0,1]
	v_mul_f32_e32 v98, v95, v99
	s_delay_alu instid0(VALU_DEP_2) | instskip(SKIP_2) | instid1(VALU_DEP_4)
	v_pk_fma_f32 v[102:103], v[92:93], v[96:97], v[100:101] op_sel:[0,0,1] op_sel_hi:[1,1,0] neg_lo:[0,0,1] neg_hi:[0,0,1]
	v_pk_fma_f32 v[92:93], v[92:93], v[96:97], v[100:101] op_sel:[0,0,1] op_sel_hi:[1,0,0]
	v_mov_b32_e32 v92, v95
	v_pk_fma_f32 v[98:99], v[94:95], v[56:57], v[98:99] op_sel_hi:[1,1,0] neg_lo:[0,0,1] neg_hi:[0,0,1]
	s_delay_alu instid0(VALU_DEP_3) | instskip(SKIP_1) | instid1(VALU_DEP_2)
	v_dual_mov_b32 v103, v93 :: v_dual_mov_b32 v93, v94
	v_mul_f32_e32 v94, v95, v96
	v_pk_add_f32 v[60:61], v[60:61], v[102:103] neg_lo:[0,1] neg_hi:[0,1]
	s_delay_alu instid0(VALU_DEP_2) | instskip(NEXT) | instid1(VALU_DEP_1)
	v_pk_fma_f32 v[92:93], v[92:93], v[56:57], v[94:95] op_sel_hi:[1,1,0]
	v_mov_b32_e32 v99, v93
	s_delay_alu instid0(VALU_DEP_1)
	v_pk_add_f32 v[64:65], v[64:65], v[98:99] neg_lo:[0,1] neg_hi:[0,1]
.LBB33_100:
	s_or_b32 exec_lo, exec_lo, s1
	s_delay_alu instid0(SALU_CYCLE_1)
	s_mov_b32 s2, exec_lo
	s_wait_dscnt 0x0
	s_barrier_signal -1
	s_barrier_wait -1
	v_cmpx_eq_u32_e32 11, v104
	s_cbranch_execz .LBB33_107
; %bb.101:
	v_dual_mov_b32 v92, v54 :: v_dual_mov_b32 v93, v55
	v_dual_mov_b32 v94, v66 :: v_dual_mov_b32 v95, v67
	;; [unrolled: 1-line block ×4, first 2 shown]
	ds_store_b64 v105, v[50:51]
	ds_store_2addr_b64 v106, v[92:93], v[94:95] offset0:12 offset1:13
	ds_store_2addr_b64 v106, v[96:97], v[98:99] offset0:14 offset1:15
	ds_store_b64 v106, v[64:65] offset:128
	ds_load_b64 v[92:93], v105
	s_wait_dscnt 0x0
	v_cmp_neq_f32_e32 vcc_lo, 0, v92
	v_cmp_neq_f32_e64 s1, 0, v93
	s_or_b32 s1, vcc_lo, s1
	s_delay_alu instid0(SALU_CYCLE_1)
	s_and_b32 exec_lo, exec_lo, s1
	s_cbranch_execz .LBB33_107
; %bb.102:
	v_cmp_ngt_f32_e64 s1, |v92|, |v93|
                                        ; implicit-def: $vgpr94_vgpr95
	s_and_saveexec_b32 s4, s1
	s_delay_alu instid0(SALU_CYCLE_1)
	s_xor_b32 s1, exec_lo, s4
	s_cbranch_execz .LBB33_104
; %bb.103:
	v_div_scale_f32 v94, null, v93, v93, v92
	v_div_scale_f32 v97, vcc_lo, v92, v93, v92
	s_delay_alu instid0(VALU_DEP_2) | instskip(SKIP_1) | instid1(TRANS32_DEP_1)
	v_rcp_f32_e32 v95, v94
	v_nop
	v_fma_f32 v96, -v94, v95, 1.0
	s_delay_alu instid0(VALU_DEP_1) | instskip(NEXT) | instid1(VALU_DEP_1)
	v_fmac_f32_e32 v95, v96, v95
	v_mul_f32_e32 v96, v97, v95
	s_delay_alu instid0(VALU_DEP_1) | instskip(NEXT) | instid1(VALU_DEP_1)
	v_fma_f32 v98, -v94, v96, v97
	v_fmac_f32_e32 v96, v98, v95
	s_delay_alu instid0(VALU_DEP_1) | instskip(NEXT) | instid1(VALU_DEP_1)
	v_fma_f32 v94, -v94, v96, v97
	v_div_fmas_f32 v94, v94, v95, v96
	s_delay_alu instid0(VALU_DEP_1) | instskip(NEXT) | instid1(VALU_DEP_1)
	v_div_fixup_f32 v94, v94, v93, v92
	v_fmac_f32_e32 v93, v92, v94
	s_delay_alu instid0(VALU_DEP_1) | instskip(SKIP_1) | instid1(VALU_DEP_2)
	v_div_scale_f32 v92, null, v93, v93, 1.0
	v_div_scale_f32 v97, vcc_lo, 1.0, v93, 1.0
	v_rcp_f32_e32 v95, v92
	v_nop
	s_delay_alu instid0(TRANS32_DEP_1) | instskip(NEXT) | instid1(VALU_DEP_1)
	v_fma_f32 v96, -v92, v95, 1.0
	v_fmac_f32_e32 v95, v96, v95
	s_delay_alu instid0(VALU_DEP_1) | instskip(NEXT) | instid1(VALU_DEP_1)
	v_mul_f32_e32 v96, v97, v95
	v_fma_f32 v98, -v92, v96, v97
	s_delay_alu instid0(VALU_DEP_1) | instskip(NEXT) | instid1(VALU_DEP_1)
	v_fmac_f32_e32 v96, v98, v95
	v_fma_f32 v92, -v92, v96, v97
	s_delay_alu instid0(VALU_DEP_1) | instskip(NEXT) | instid1(VALU_DEP_1)
	v_div_fmas_f32 v92, v92, v95, v96
	v_div_fixup_f32 v92, v92, v93, 1.0
	s_delay_alu instid0(VALU_DEP_1)
	v_mul_f32_e32 v94, v94, v92
	v_xor_b32_e32 v95, 0x80000000, v92
                                        ; implicit-def: $vgpr92_vgpr93
.LBB33_104:
	s_and_not1_saveexec_b32 s1, s1
	s_cbranch_execz .LBB33_106
; %bb.105:
	v_div_scale_f32 v94, null, v92, v92, v93
	v_div_scale_f32 v97, vcc_lo, v93, v92, v93
	s_delay_alu instid0(VALU_DEP_2) | instskip(SKIP_1) | instid1(TRANS32_DEP_1)
	v_rcp_f32_e32 v95, v94
	v_nop
	v_fma_f32 v96, -v94, v95, 1.0
	s_delay_alu instid0(VALU_DEP_1) | instskip(NEXT) | instid1(VALU_DEP_1)
	v_fmac_f32_e32 v95, v96, v95
	v_mul_f32_e32 v96, v97, v95
	s_delay_alu instid0(VALU_DEP_1) | instskip(NEXT) | instid1(VALU_DEP_1)
	v_fma_f32 v98, -v94, v96, v97
	v_fmac_f32_e32 v96, v98, v95
	s_delay_alu instid0(VALU_DEP_1) | instskip(NEXT) | instid1(VALU_DEP_1)
	v_fma_f32 v94, -v94, v96, v97
	v_div_fmas_f32 v94, v94, v95, v96
	s_delay_alu instid0(VALU_DEP_1) | instskip(NEXT) | instid1(VALU_DEP_1)
	v_div_fixup_f32 v95, v94, v92, v93
	v_fmac_f32_e32 v92, v93, v95
	s_delay_alu instid0(VALU_DEP_1) | instskip(NEXT) | instid1(VALU_DEP_1)
	v_div_scale_f32 v93, null, v92, v92, 1.0
	v_rcp_f32_e32 v94, v93
	v_nop
	s_delay_alu instid0(TRANS32_DEP_1) | instskip(NEXT) | instid1(VALU_DEP_1)
	v_fma_f32 v96, -v93, v94, 1.0
	v_fmac_f32_e32 v94, v96, v94
	v_div_scale_f32 v96, vcc_lo, 1.0, v92, 1.0
	s_delay_alu instid0(VALU_DEP_1) | instskip(NEXT) | instid1(VALU_DEP_1)
	v_mul_f32_e32 v97, v96, v94
	v_fma_f32 v98, -v93, v97, v96
	s_delay_alu instid0(VALU_DEP_1) | instskip(NEXT) | instid1(VALU_DEP_1)
	v_fmac_f32_e32 v97, v98, v94
	v_fma_f32 v93, -v93, v97, v96
	s_delay_alu instid0(VALU_DEP_1) | instskip(NEXT) | instid1(VALU_DEP_1)
	v_div_fmas_f32 v93, v93, v94, v97
	v_div_fixup_f32 v94, v93, v92, 1.0
	s_delay_alu instid0(VALU_DEP_1)
	v_mul_f32_e64 v95, v95, -v94
.LBB33_106:
	s_or_b32 exec_lo, exec_lo, s1
	ds_store_b64 v105, v[94:95]
.LBB33_107:
	s_or_b32 exec_lo, exec_lo, s2
	s_wait_dscnt 0x0
	s_barrier_signal -1
	s_barrier_wait -1
	ds_load_b64 v[92:93], v105
	s_mov_b32 s1, exec_lo
	v_cmpx_lt_u32_e32 11, v104
	s_cbranch_execz .LBB33_109
; %bb.108:
	s_wait_dscnt 0x0
	v_pk_mul_f32 v[94:95], v[92:93], v[50:51] op_sel:[1,1] op_sel_hi:[0,1]
	s_delay_alu instid0(VALU_DEP_1)
	v_pk_fma_f32 v[98:99], v[92:93], v[50:51], v[94:95] op_sel_hi:[1,0,1] neg_lo:[0,0,1] neg_hi:[0,0,1]
	v_pk_fma_f32 v[100:101], v[92:93], v[50:51], v[94:95] op_sel_hi:[1,0,1]
	ds_load_2addr_b64 v[94:97], v106 offset0:12 offset1:13
	v_dual_mov_b32 v50, v98 :: v_dual_mov_b32 v51, v101
	s_wait_dscnt 0x0
	v_pk_mul_f32 v[102:103], v[94:95], v[100:101] op_sel:[0,1]
	s_delay_alu instid0(VALU_DEP_1) | instskip(SKIP_1) | instid1(VALU_DEP_1)
	v_pk_fma_f32 v[108:109], v[94:95], v[98:99], v[102:103] op_sel:[0,0,1] op_sel_hi:[1,1,0] neg_lo:[0,0,1] neg_hi:[0,0,1]
	v_pk_fma_f32 v[94:95], v[94:95], v[98:99], v[102:103] op_sel:[0,0,1] op_sel_hi:[1,0,0]
	v_mov_b32_e32 v109, v95
	v_pk_mul_f32 v[94:95], v[96:97], v[100:101] op_sel:[0,1]
	s_delay_alu instid0(VALU_DEP_1) | instskip(SKIP_1) | instid1(VALU_DEP_1)
	v_pk_fma_f32 v[102:103], v[96:97], v[98:99], v[94:95] op_sel:[0,0,1] op_sel_hi:[1,1,0] neg_lo:[0,0,1] neg_hi:[0,0,1]
	v_pk_fma_f32 v[94:95], v[96:97], v[98:99], v[94:95] op_sel:[0,0,1] op_sel_hi:[1,0,0]
	v_mov_b32_e32 v103, v95
	ds_load_2addr_b64 v[94:97], v106 offset0:14 offset1:15
	v_pk_add_f32 v[54:55], v[54:55], v[108:109] neg_lo:[0,1] neg_hi:[0,1]
	v_pk_add_f32 v[66:67], v[66:67], v[102:103] neg_lo:[0,1] neg_hi:[0,1]
	s_wait_dscnt 0x0
	v_pk_mul_f32 v[102:103], v[94:95], v[100:101] op_sel:[0,1]
	s_delay_alu instid0(VALU_DEP_1) | instskip(SKIP_2) | instid1(VALU_DEP_2)
	v_pk_fma_f32 v[108:109], v[94:95], v[98:99], v[102:103] op_sel:[0,0,1] op_sel_hi:[1,1,0] neg_lo:[0,0,1] neg_hi:[0,0,1]
	v_pk_fma_f32 v[94:95], v[94:95], v[98:99], v[102:103] op_sel:[0,0,1] op_sel_hi:[1,0,0]
	v_dual_mul_f32 v102, v97, v101 :: v_dual_mov_b32 v94, v97
	v_dual_mov_b32 v109, v95 :: v_dual_mov_b32 v95, v96
	s_delay_alu instid0(VALU_DEP_2) | instskip(SKIP_1) | instid1(VALU_DEP_3)
	v_pk_fma_f32 v[102:103], v[96:97], v[50:51], v[102:103] op_sel_hi:[1,1,0] neg_lo:[0,0,1] neg_hi:[0,0,1]
	v_mul_f32_e32 v96, v97, v98
	v_pk_add_f32 v[62:63], v[62:63], v[108:109] neg_lo:[0,1] neg_hi:[0,1]
	s_delay_alu instid0(VALU_DEP_2) | instskip(NEXT) | instid1(VALU_DEP_1)
	v_pk_fma_f32 v[94:95], v[94:95], v[50:51], v[96:97] op_sel_hi:[1,1,0]
	v_mov_b32_e32 v103, v95
	ds_load_b64 v[94:95], v106 offset:128
	v_pk_add_f32 v[60:61], v[60:61], v[102:103] neg_lo:[0,1] neg_hi:[0,1]
	s_wait_dscnt 0x0
	v_pk_mul_f32 v[96:97], v[94:95], v[100:101] op_sel:[0,1]
	s_delay_alu instid0(VALU_DEP_1) | instskip(SKIP_1) | instid1(VALU_DEP_1)
	v_pk_fma_f32 v[100:101], v[94:95], v[98:99], v[96:97] op_sel:[0,0,1] op_sel_hi:[1,1,0] neg_lo:[0,0,1] neg_hi:[0,0,1]
	v_pk_fma_f32 v[94:95], v[94:95], v[98:99], v[96:97] op_sel:[0,0,1] op_sel_hi:[1,0,0]
	v_mov_b32_e32 v101, v95
	s_delay_alu instid0(VALU_DEP_1)
	v_pk_add_f32 v[64:65], v[64:65], v[100:101] neg_lo:[0,1] neg_hi:[0,1]
.LBB33_109:
	s_or_b32 exec_lo, exec_lo, s1
	s_delay_alu instid0(SALU_CYCLE_1)
	s_mov_b32 s2, exec_lo
	s_wait_dscnt 0x0
	s_barrier_signal -1
	s_barrier_wait -1
	v_cmpx_eq_u32_e32 12, v104
	s_cbranch_execz .LBB33_116
; %bb.110:
	ds_store_b64 v105, v[54:55]
	ds_store_2addr_b64 v106, v[66:67], v[62:63] offset0:13 offset1:14
	ds_store_2addr_b64 v106, v[60:61], v[64:65] offset0:15 offset1:16
	ds_load_b64 v[94:95], v105
	s_wait_dscnt 0x0
	v_cmp_neq_f32_e32 vcc_lo, 0, v94
	v_cmp_neq_f32_e64 s1, 0, v95
	s_or_b32 s1, vcc_lo, s1
	s_delay_alu instid0(SALU_CYCLE_1)
	s_and_b32 exec_lo, exec_lo, s1
	s_cbranch_execz .LBB33_116
; %bb.111:
	v_cmp_ngt_f32_e64 s1, |v94|, |v95|
                                        ; implicit-def: $vgpr96_vgpr97
	s_and_saveexec_b32 s4, s1
	s_delay_alu instid0(SALU_CYCLE_1)
	s_xor_b32 s1, exec_lo, s4
	s_cbranch_execz .LBB33_113
; %bb.112:
	v_div_scale_f32 v96, null, v95, v95, v94
	v_div_scale_f32 v99, vcc_lo, v94, v95, v94
	s_delay_alu instid0(VALU_DEP_2) | instskip(SKIP_1) | instid1(TRANS32_DEP_1)
	v_rcp_f32_e32 v97, v96
	v_nop
	v_fma_f32 v98, -v96, v97, 1.0
	s_delay_alu instid0(VALU_DEP_1) | instskip(NEXT) | instid1(VALU_DEP_1)
	v_fmac_f32_e32 v97, v98, v97
	v_mul_f32_e32 v98, v99, v97
	s_delay_alu instid0(VALU_DEP_1) | instskip(NEXT) | instid1(VALU_DEP_1)
	v_fma_f32 v100, -v96, v98, v99
	v_fmac_f32_e32 v98, v100, v97
	s_delay_alu instid0(VALU_DEP_1) | instskip(NEXT) | instid1(VALU_DEP_1)
	v_fma_f32 v96, -v96, v98, v99
	v_div_fmas_f32 v96, v96, v97, v98
	s_delay_alu instid0(VALU_DEP_1) | instskip(NEXT) | instid1(VALU_DEP_1)
	v_div_fixup_f32 v96, v96, v95, v94
	v_fmac_f32_e32 v95, v94, v96
	s_delay_alu instid0(VALU_DEP_1) | instskip(SKIP_1) | instid1(VALU_DEP_2)
	v_div_scale_f32 v94, null, v95, v95, 1.0
	v_div_scale_f32 v99, vcc_lo, 1.0, v95, 1.0
	v_rcp_f32_e32 v97, v94
	v_nop
	s_delay_alu instid0(TRANS32_DEP_1) | instskip(NEXT) | instid1(VALU_DEP_1)
	v_fma_f32 v98, -v94, v97, 1.0
	v_fmac_f32_e32 v97, v98, v97
	s_delay_alu instid0(VALU_DEP_1) | instskip(NEXT) | instid1(VALU_DEP_1)
	v_mul_f32_e32 v98, v99, v97
	v_fma_f32 v100, -v94, v98, v99
	s_delay_alu instid0(VALU_DEP_1) | instskip(NEXT) | instid1(VALU_DEP_1)
	v_fmac_f32_e32 v98, v100, v97
	v_fma_f32 v94, -v94, v98, v99
	s_delay_alu instid0(VALU_DEP_1) | instskip(NEXT) | instid1(VALU_DEP_1)
	v_div_fmas_f32 v94, v94, v97, v98
	v_div_fixup_f32 v94, v94, v95, 1.0
	s_delay_alu instid0(VALU_DEP_1)
	v_mul_f32_e32 v96, v96, v94
	v_xor_b32_e32 v97, 0x80000000, v94
                                        ; implicit-def: $vgpr94_vgpr95
.LBB33_113:
	s_and_not1_saveexec_b32 s1, s1
	s_cbranch_execz .LBB33_115
; %bb.114:
	v_div_scale_f32 v96, null, v94, v94, v95
	v_div_scale_f32 v99, vcc_lo, v95, v94, v95
	s_delay_alu instid0(VALU_DEP_2) | instskip(SKIP_1) | instid1(TRANS32_DEP_1)
	v_rcp_f32_e32 v97, v96
	v_nop
	v_fma_f32 v98, -v96, v97, 1.0
	s_delay_alu instid0(VALU_DEP_1) | instskip(NEXT) | instid1(VALU_DEP_1)
	v_fmac_f32_e32 v97, v98, v97
	v_mul_f32_e32 v98, v99, v97
	s_delay_alu instid0(VALU_DEP_1) | instskip(NEXT) | instid1(VALU_DEP_1)
	v_fma_f32 v100, -v96, v98, v99
	v_fmac_f32_e32 v98, v100, v97
	s_delay_alu instid0(VALU_DEP_1) | instskip(NEXT) | instid1(VALU_DEP_1)
	v_fma_f32 v96, -v96, v98, v99
	v_div_fmas_f32 v96, v96, v97, v98
	s_delay_alu instid0(VALU_DEP_1) | instskip(NEXT) | instid1(VALU_DEP_1)
	v_div_fixup_f32 v97, v96, v94, v95
	v_fmac_f32_e32 v94, v95, v97
	s_delay_alu instid0(VALU_DEP_1) | instskip(NEXT) | instid1(VALU_DEP_1)
	v_div_scale_f32 v95, null, v94, v94, 1.0
	v_rcp_f32_e32 v96, v95
	v_nop
	s_delay_alu instid0(TRANS32_DEP_1) | instskip(NEXT) | instid1(VALU_DEP_1)
	v_fma_f32 v98, -v95, v96, 1.0
	v_fmac_f32_e32 v96, v98, v96
	v_div_scale_f32 v98, vcc_lo, 1.0, v94, 1.0
	s_delay_alu instid0(VALU_DEP_1) | instskip(NEXT) | instid1(VALU_DEP_1)
	v_mul_f32_e32 v99, v98, v96
	v_fma_f32 v100, -v95, v99, v98
	s_delay_alu instid0(VALU_DEP_1) | instskip(NEXT) | instid1(VALU_DEP_1)
	v_fmac_f32_e32 v99, v100, v96
	v_fma_f32 v95, -v95, v99, v98
	s_delay_alu instid0(VALU_DEP_1) | instskip(NEXT) | instid1(VALU_DEP_1)
	v_div_fmas_f32 v95, v95, v96, v99
	v_div_fixup_f32 v96, v95, v94, 1.0
	s_delay_alu instid0(VALU_DEP_1)
	v_mul_f32_e64 v97, v97, -v96
.LBB33_115:
	s_or_b32 exec_lo, exec_lo, s1
	ds_store_b64 v105, v[96:97]
.LBB33_116:
	s_or_b32 exec_lo, exec_lo, s2
	s_wait_dscnt 0x0
	s_barrier_signal -1
	s_barrier_wait -1
	ds_load_b64 v[94:95], v105
	s_mov_b32 s1, exec_lo
	v_cmpx_lt_u32_e32 12, v104
	s_cbranch_execz .LBB33_118
; %bb.117:
	s_wait_dscnt 0x0
	v_pk_mul_f32 v[96:97], v[94:95], v[54:55] op_sel:[1,1] op_sel_hi:[0,1]
	s_delay_alu instid0(VALU_DEP_1)
	v_pk_fma_f32 v[100:101], v[94:95], v[54:55], v[96:97] op_sel_hi:[1,0,1] neg_lo:[0,0,1] neg_hi:[0,0,1]
	v_pk_fma_f32 v[102:103], v[94:95], v[54:55], v[96:97] op_sel_hi:[1,0,1]
	ds_load_2addr_b64 v[96:99], v106 offset0:13 offset1:14
	v_dual_mov_b32 v54, v100 :: v_dual_mov_b32 v55, v103
	s_wait_dscnt 0x0
	v_pk_mul_f32 v[108:109], v[96:97], v[102:103] op_sel:[0,1]
	s_delay_alu instid0(VALU_DEP_1) | instskip(SKIP_1) | instid1(VALU_DEP_1)
	v_pk_fma_f32 v[110:111], v[96:97], v[100:101], v[108:109] op_sel:[0,0,1] op_sel_hi:[1,1,0] neg_lo:[0,0,1] neg_hi:[0,0,1]
	v_pk_fma_f32 v[96:97], v[96:97], v[100:101], v[108:109] op_sel:[0,0,1] op_sel_hi:[1,0,0]
	v_mov_b32_e32 v111, v97
	v_pk_mul_f32 v[96:97], v[98:99], v[102:103] op_sel:[0,1]
	s_delay_alu instid0(VALU_DEP_1) | instskip(SKIP_1) | instid1(VALU_DEP_1)
	v_pk_fma_f32 v[108:109], v[98:99], v[100:101], v[96:97] op_sel:[0,0,1] op_sel_hi:[1,1,0] neg_lo:[0,0,1] neg_hi:[0,0,1]
	v_pk_fma_f32 v[96:97], v[98:99], v[100:101], v[96:97] op_sel:[0,0,1] op_sel_hi:[1,0,0]
	v_mov_b32_e32 v109, v97
	ds_load_2addr_b64 v[96:99], v106 offset0:15 offset1:16
	v_pk_add_f32 v[66:67], v[66:67], v[110:111] neg_lo:[0,1] neg_hi:[0,1]
	v_pk_add_f32 v[62:63], v[62:63], v[108:109] neg_lo:[0,1] neg_hi:[0,1]
	s_wait_dscnt 0x0
	v_pk_mul_f32 v[108:109], v[96:97], v[102:103] op_sel:[0,1]
	s_delay_alu instid0(VALU_DEP_1) | instskip(SKIP_1) | instid1(VALU_DEP_1)
	v_pk_fma_f32 v[110:111], v[96:97], v[100:101], v[108:109] op_sel:[0,0,1] op_sel_hi:[1,1,0] neg_lo:[0,0,1] neg_hi:[0,0,1]
	v_pk_fma_f32 v[96:97], v[96:97], v[100:101], v[108:109] op_sel:[0,0,1] op_sel_hi:[1,0,0]
	v_dual_mov_b32 v96, v99 :: v_dual_mov_b32 v111, v97
	v_mov_b32_e32 v97, v98
	s_delay_alu instid0(VALU_DEP_2) | instskip(NEXT) | instid1(VALU_DEP_2)
	v_pk_add_f32 v[60:61], v[60:61], v[110:111] neg_lo:[0,1] neg_hi:[0,1]
	v_pk_mul_f32 v[96:97], v[96:97], v[102:103] op_sel:[0,1]
	s_delay_alu instid0(VALU_DEP_1) | instskip(SKIP_1) | instid1(VALU_DEP_1)
	v_pk_fma_f32 v[102:103], v[98:99], v[100:101], v[96:97] neg_lo:[0,0,1] neg_hi:[0,0,1]
	v_pk_fma_f32 v[96:97], v[98:99], v[100:101], v[96:97] op_sel_hi:[1,0,1]
	v_mov_b32_e32 v103, v97
	s_delay_alu instid0(VALU_DEP_1)
	v_pk_add_f32 v[64:65], v[64:65], v[102:103] neg_lo:[0,1] neg_hi:[0,1]
.LBB33_118:
	s_or_b32 exec_lo, exec_lo, s1
	s_delay_alu instid0(SALU_CYCLE_1)
	s_mov_b32 s2, exec_lo
	s_wait_dscnt 0x0
	s_barrier_signal -1
	s_barrier_wait -1
	v_cmpx_eq_u32_e32 13, v104
	s_cbranch_execz .LBB33_125
; %bb.119:
	v_dual_mov_b32 v96, v62 :: v_dual_mov_b32 v97, v63
	v_dual_mov_b32 v98, v60 :: v_dual_mov_b32 v99, v61
	ds_store_b64 v105, v[66:67]
	ds_store_2addr_b64 v106, v[96:97], v[98:99] offset0:14 offset1:15
	ds_store_b64 v106, v[64:65] offset:128
	ds_load_b64 v[96:97], v105
	s_wait_dscnt 0x0
	v_cmp_neq_f32_e32 vcc_lo, 0, v96
	v_cmp_neq_f32_e64 s1, 0, v97
	s_or_b32 s1, vcc_lo, s1
	s_delay_alu instid0(SALU_CYCLE_1)
	s_and_b32 exec_lo, exec_lo, s1
	s_cbranch_execz .LBB33_125
; %bb.120:
	v_cmp_ngt_f32_e64 s1, |v96|, |v97|
                                        ; implicit-def: $vgpr98_vgpr99
	s_and_saveexec_b32 s4, s1
	s_delay_alu instid0(SALU_CYCLE_1)
	s_xor_b32 s1, exec_lo, s4
	s_cbranch_execz .LBB33_122
; %bb.121:
	v_div_scale_f32 v98, null, v97, v97, v96
	v_div_scale_f32 v101, vcc_lo, v96, v97, v96
	s_delay_alu instid0(VALU_DEP_2) | instskip(SKIP_1) | instid1(TRANS32_DEP_1)
	v_rcp_f32_e32 v99, v98
	v_nop
	v_fma_f32 v100, -v98, v99, 1.0
	s_delay_alu instid0(VALU_DEP_1) | instskip(NEXT) | instid1(VALU_DEP_1)
	v_fmac_f32_e32 v99, v100, v99
	v_mul_f32_e32 v100, v101, v99
	s_delay_alu instid0(VALU_DEP_1) | instskip(NEXT) | instid1(VALU_DEP_1)
	v_fma_f32 v102, -v98, v100, v101
	v_fmac_f32_e32 v100, v102, v99
	s_delay_alu instid0(VALU_DEP_1) | instskip(NEXT) | instid1(VALU_DEP_1)
	v_fma_f32 v98, -v98, v100, v101
	v_div_fmas_f32 v98, v98, v99, v100
	s_delay_alu instid0(VALU_DEP_1) | instskip(NEXT) | instid1(VALU_DEP_1)
	v_div_fixup_f32 v98, v98, v97, v96
	v_fmac_f32_e32 v97, v96, v98
	s_delay_alu instid0(VALU_DEP_1) | instskip(SKIP_1) | instid1(VALU_DEP_2)
	v_div_scale_f32 v96, null, v97, v97, 1.0
	v_div_scale_f32 v101, vcc_lo, 1.0, v97, 1.0
	v_rcp_f32_e32 v99, v96
	v_nop
	s_delay_alu instid0(TRANS32_DEP_1) | instskip(NEXT) | instid1(VALU_DEP_1)
	v_fma_f32 v100, -v96, v99, 1.0
	v_fmac_f32_e32 v99, v100, v99
	s_delay_alu instid0(VALU_DEP_1) | instskip(NEXT) | instid1(VALU_DEP_1)
	v_mul_f32_e32 v100, v101, v99
	v_fma_f32 v102, -v96, v100, v101
	s_delay_alu instid0(VALU_DEP_1) | instskip(NEXT) | instid1(VALU_DEP_1)
	v_fmac_f32_e32 v100, v102, v99
	v_fma_f32 v96, -v96, v100, v101
	s_delay_alu instid0(VALU_DEP_1) | instskip(NEXT) | instid1(VALU_DEP_1)
	v_div_fmas_f32 v96, v96, v99, v100
	v_div_fixup_f32 v96, v96, v97, 1.0
	s_delay_alu instid0(VALU_DEP_1)
	v_mul_f32_e32 v98, v98, v96
	v_xor_b32_e32 v99, 0x80000000, v96
                                        ; implicit-def: $vgpr96_vgpr97
.LBB33_122:
	s_and_not1_saveexec_b32 s1, s1
	s_cbranch_execz .LBB33_124
; %bb.123:
	v_div_scale_f32 v98, null, v96, v96, v97
	v_div_scale_f32 v101, vcc_lo, v97, v96, v97
	s_delay_alu instid0(VALU_DEP_2) | instskip(SKIP_1) | instid1(TRANS32_DEP_1)
	v_rcp_f32_e32 v99, v98
	v_nop
	v_fma_f32 v100, -v98, v99, 1.0
	s_delay_alu instid0(VALU_DEP_1) | instskip(NEXT) | instid1(VALU_DEP_1)
	v_fmac_f32_e32 v99, v100, v99
	v_mul_f32_e32 v100, v101, v99
	s_delay_alu instid0(VALU_DEP_1) | instskip(NEXT) | instid1(VALU_DEP_1)
	v_fma_f32 v102, -v98, v100, v101
	v_fmac_f32_e32 v100, v102, v99
	s_delay_alu instid0(VALU_DEP_1) | instskip(NEXT) | instid1(VALU_DEP_1)
	v_fma_f32 v98, -v98, v100, v101
	v_div_fmas_f32 v98, v98, v99, v100
	s_delay_alu instid0(VALU_DEP_1) | instskip(NEXT) | instid1(VALU_DEP_1)
	v_div_fixup_f32 v99, v98, v96, v97
	v_fmac_f32_e32 v96, v97, v99
	s_delay_alu instid0(VALU_DEP_1) | instskip(NEXT) | instid1(VALU_DEP_1)
	v_div_scale_f32 v97, null, v96, v96, 1.0
	v_rcp_f32_e32 v98, v97
	v_nop
	s_delay_alu instid0(TRANS32_DEP_1) | instskip(NEXT) | instid1(VALU_DEP_1)
	v_fma_f32 v100, -v97, v98, 1.0
	v_fmac_f32_e32 v98, v100, v98
	v_div_scale_f32 v100, vcc_lo, 1.0, v96, 1.0
	s_delay_alu instid0(VALU_DEP_1) | instskip(NEXT) | instid1(VALU_DEP_1)
	v_mul_f32_e32 v101, v100, v98
	v_fma_f32 v102, -v97, v101, v100
	s_delay_alu instid0(VALU_DEP_1) | instskip(NEXT) | instid1(VALU_DEP_1)
	v_fmac_f32_e32 v101, v102, v98
	v_fma_f32 v97, -v97, v101, v100
	s_delay_alu instid0(VALU_DEP_1) | instskip(NEXT) | instid1(VALU_DEP_1)
	v_div_fmas_f32 v97, v97, v98, v101
	v_div_fixup_f32 v98, v97, v96, 1.0
	s_delay_alu instid0(VALU_DEP_1)
	v_mul_f32_e64 v99, v99, -v98
.LBB33_124:
	s_or_b32 exec_lo, exec_lo, s1
	ds_store_b64 v105, v[98:99]
.LBB33_125:
	s_or_b32 exec_lo, exec_lo, s2
	s_wait_dscnt 0x0
	s_barrier_signal -1
	s_barrier_wait -1
	ds_load_b64 v[96:97], v105
	s_mov_b32 s1, exec_lo
	v_cmpx_lt_u32_e32 13, v104
	s_cbranch_execz .LBB33_127
; %bb.126:
	ds_load_2addr_b64 v[98:101], v106 offset0:14 offset1:15
	ds_load_b64 v[102:103], v106 offset:128
	s_wait_dscnt 0x2
	v_pk_mul_f32 v[108:109], v[96:97], v[66:67] op_sel:[1,1] op_sel_hi:[0,1]
	s_delay_alu instid0(VALU_DEP_1) | instskip(SKIP_2) | instid1(VALU_DEP_2)
	v_pk_fma_f32 v[110:111], v[96:97], v[66:67], v[108:109] op_sel_hi:[1,0,1]
	v_pk_fma_f32 v[66:67], v[96:97], v[66:67], v[108:109] op_sel_hi:[1,0,1] neg_lo:[0,0,1] neg_hi:[0,0,1]
	s_wait_dscnt 0x1
	v_pk_mul_f32 v[108:109], v[98:99], v[110:111] op_sel:[0,1]
	v_pk_mul_f32 v[112:113], v[100:101], v[110:111] op_sel:[0,1]
	s_wait_dscnt 0x0
	v_pk_mul_f32 v[114:115], v[102:103], v[110:111] op_sel:[1,1] op_sel_hi:[0,1]
	s_delay_alu instid0(VALU_DEP_3) | instskip(SKIP_2) | instid1(VALU_DEP_4)
	v_pk_fma_f32 v[116:117], v[98:99], v[66:67], v[108:109] op_sel:[0,0,1] op_sel_hi:[1,1,0] neg_lo:[0,0,1] neg_hi:[0,0,1]
	v_pk_fma_f32 v[98:99], v[98:99], v[66:67], v[108:109] op_sel:[0,0,1] op_sel_hi:[1,0,0]
	v_pk_fma_f32 v[108:109], v[100:101], v[66:67], v[112:113] op_sel:[0,0,1] op_sel_hi:[1,0,0]
	v_pk_fma_f32 v[118:119], v[102:103], v[66:67], v[114:115] op_sel_hi:[1,0,1]
	v_pk_fma_f32 v[100:101], v[100:101], v[66:67], v[112:113] op_sel:[0,0,1] op_sel_hi:[1,1,0] neg_lo:[0,0,1] neg_hi:[0,0,1]
	v_pk_fma_f32 v[102:103], v[102:103], v[66:67], v[114:115] neg_lo:[0,0,1] neg_hi:[0,0,1]
	s_delay_alu instid0(VALU_DEP_4) | instskip(NEXT) | instid1(VALU_DEP_4)
	v_dual_mov_b32 v117, v99 :: v_dual_mov_b32 v101, v109
	v_dual_mov_b32 v103, v119 :: v_dual_mov_b32 v67, v111
	s_delay_alu instid0(VALU_DEP_2) | instskip(NEXT) | instid1(VALU_DEP_3)
	v_pk_add_f32 v[62:63], v[62:63], v[116:117] neg_lo:[0,1] neg_hi:[0,1]
	v_pk_add_f32 v[60:61], v[60:61], v[100:101] neg_lo:[0,1] neg_hi:[0,1]
	s_delay_alu instid0(VALU_DEP_3)
	v_pk_add_f32 v[64:65], v[64:65], v[102:103] neg_lo:[0,1] neg_hi:[0,1]
.LBB33_127:
	s_or_b32 exec_lo, exec_lo, s1
	s_delay_alu instid0(SALU_CYCLE_1)
	s_mov_b32 s2, exec_lo
	s_wait_dscnt 0x0
	s_barrier_signal -1
	s_barrier_wait -1
	v_cmpx_eq_u32_e32 14, v104
	s_cbranch_execz .LBB33_134
; %bb.128:
	ds_store_b64 v105, v[62:63]
	ds_store_2addr_b64 v106, v[60:61], v[64:65] offset0:15 offset1:16
	ds_load_b64 v[98:99], v105
	s_wait_dscnt 0x0
	v_cmp_neq_f32_e32 vcc_lo, 0, v98
	v_cmp_neq_f32_e64 s1, 0, v99
	s_or_b32 s1, vcc_lo, s1
	s_delay_alu instid0(SALU_CYCLE_1)
	s_and_b32 exec_lo, exec_lo, s1
	s_cbranch_execz .LBB33_134
; %bb.129:
	v_cmp_ngt_f32_e64 s1, |v98|, |v99|
                                        ; implicit-def: $vgpr100_vgpr101
	s_and_saveexec_b32 s4, s1
	s_delay_alu instid0(SALU_CYCLE_1)
	s_xor_b32 s1, exec_lo, s4
	s_cbranch_execz .LBB33_131
; %bb.130:
	v_div_scale_f32 v100, null, v99, v99, v98
	v_div_scale_f32 v103, vcc_lo, v98, v99, v98
	s_delay_alu instid0(VALU_DEP_2) | instskip(SKIP_1) | instid1(TRANS32_DEP_1)
	v_rcp_f32_e32 v101, v100
	v_nop
	v_fma_f32 v102, -v100, v101, 1.0
	s_delay_alu instid0(VALU_DEP_1) | instskip(NEXT) | instid1(VALU_DEP_1)
	v_fmac_f32_e32 v101, v102, v101
	v_mul_f32_e32 v102, v103, v101
	s_delay_alu instid0(VALU_DEP_1) | instskip(NEXT) | instid1(VALU_DEP_1)
	v_fma_f32 v107, -v100, v102, v103
	v_fmac_f32_e32 v102, v107, v101
	s_delay_alu instid0(VALU_DEP_1) | instskip(NEXT) | instid1(VALU_DEP_1)
	v_fma_f32 v100, -v100, v102, v103
	v_div_fmas_f32 v100, v100, v101, v102
	s_delay_alu instid0(VALU_DEP_1) | instskip(NEXT) | instid1(VALU_DEP_1)
	v_div_fixup_f32 v100, v100, v99, v98
	v_fmac_f32_e32 v99, v98, v100
	s_delay_alu instid0(VALU_DEP_1) | instskip(SKIP_1) | instid1(VALU_DEP_2)
	v_div_scale_f32 v98, null, v99, v99, 1.0
	v_div_scale_f32 v103, vcc_lo, 1.0, v99, 1.0
	v_rcp_f32_e32 v101, v98
	v_nop
	s_delay_alu instid0(TRANS32_DEP_1) | instskip(NEXT) | instid1(VALU_DEP_1)
	v_fma_f32 v102, -v98, v101, 1.0
	v_fmac_f32_e32 v101, v102, v101
	s_delay_alu instid0(VALU_DEP_1) | instskip(NEXT) | instid1(VALU_DEP_1)
	v_mul_f32_e32 v102, v103, v101
	v_fma_f32 v107, -v98, v102, v103
	s_delay_alu instid0(VALU_DEP_1) | instskip(NEXT) | instid1(VALU_DEP_1)
	v_fmac_f32_e32 v102, v107, v101
	v_fma_f32 v98, -v98, v102, v103
	s_delay_alu instid0(VALU_DEP_1) | instskip(NEXT) | instid1(VALU_DEP_1)
	v_div_fmas_f32 v98, v98, v101, v102
	v_div_fixup_f32 v98, v98, v99, 1.0
	s_delay_alu instid0(VALU_DEP_1)
	v_mul_f32_e32 v100, v100, v98
	v_xor_b32_e32 v101, 0x80000000, v98
                                        ; implicit-def: $vgpr98_vgpr99
.LBB33_131:
	s_and_not1_saveexec_b32 s1, s1
	s_cbranch_execz .LBB33_133
; %bb.132:
	v_div_scale_f32 v100, null, v98, v98, v99
	v_div_scale_f32 v103, vcc_lo, v99, v98, v99
	s_delay_alu instid0(VALU_DEP_2) | instskip(SKIP_1) | instid1(TRANS32_DEP_1)
	v_rcp_f32_e32 v101, v100
	v_nop
	v_fma_f32 v102, -v100, v101, 1.0
	s_delay_alu instid0(VALU_DEP_1) | instskip(NEXT) | instid1(VALU_DEP_1)
	v_fmac_f32_e32 v101, v102, v101
	v_mul_f32_e32 v102, v103, v101
	s_delay_alu instid0(VALU_DEP_1) | instskip(NEXT) | instid1(VALU_DEP_1)
	v_fma_f32 v107, -v100, v102, v103
	v_fmac_f32_e32 v102, v107, v101
	s_delay_alu instid0(VALU_DEP_1) | instskip(NEXT) | instid1(VALU_DEP_1)
	v_fma_f32 v100, -v100, v102, v103
	v_div_fmas_f32 v100, v100, v101, v102
	s_delay_alu instid0(VALU_DEP_1) | instskip(NEXT) | instid1(VALU_DEP_1)
	v_div_fixup_f32 v101, v100, v98, v99
	v_fmac_f32_e32 v98, v99, v101
	s_delay_alu instid0(VALU_DEP_1) | instskip(NEXT) | instid1(VALU_DEP_1)
	v_div_scale_f32 v99, null, v98, v98, 1.0
	v_rcp_f32_e32 v100, v99
	v_nop
	s_delay_alu instid0(TRANS32_DEP_1) | instskip(NEXT) | instid1(VALU_DEP_1)
	v_fma_f32 v102, -v99, v100, 1.0
	v_fmac_f32_e32 v100, v102, v100
	v_div_scale_f32 v102, vcc_lo, 1.0, v98, 1.0
	s_delay_alu instid0(VALU_DEP_1) | instskip(NEXT) | instid1(VALU_DEP_1)
	v_mul_f32_e32 v103, v102, v100
	v_fma_f32 v107, -v99, v103, v102
	s_delay_alu instid0(VALU_DEP_1) | instskip(NEXT) | instid1(VALU_DEP_1)
	v_fmac_f32_e32 v103, v107, v100
	v_fma_f32 v99, -v99, v103, v102
	s_delay_alu instid0(VALU_DEP_1) | instskip(NEXT) | instid1(VALU_DEP_1)
	v_div_fmas_f32 v99, v99, v100, v103
	v_div_fixup_f32 v100, v99, v98, 1.0
	s_delay_alu instid0(VALU_DEP_1)
	v_mul_f32_e64 v101, v101, -v100
.LBB33_133:
	s_or_b32 exec_lo, exec_lo, s1
	ds_store_b64 v105, v[100:101]
.LBB33_134:
	s_or_b32 exec_lo, exec_lo, s2
	s_wait_dscnt 0x0
	s_barrier_signal -1
	s_barrier_wait -1
	ds_load_b64 v[98:99], v105
	s_mov_b32 s1, exec_lo
	v_cmpx_lt_u32_e32 14, v104
	s_cbranch_execz .LBB33_136
; %bb.135:
	ds_load_2addr_b64 v[100:103], v106 offset0:15 offset1:16
	s_wait_dscnt 0x1
	v_pk_mul_f32 v[108:109], v[98:99], v[62:63] op_sel:[1,1] op_sel_hi:[0,1]
	s_delay_alu instid0(VALU_DEP_1) | instskip(SKIP_3) | instid1(VALU_DEP_3)
	v_pk_fma_f32 v[110:111], v[98:99], v[62:63], v[108:109] op_sel_hi:[1,0,1]
	v_pk_fma_f32 v[62:63], v[98:99], v[62:63], v[108:109] op_sel_hi:[1,0,1] neg_lo:[0,0,1] neg_hi:[0,0,1]
	s_wait_dscnt 0x0
	v_dual_mov_b32 v112, v103 :: v_dual_mov_b32 v113, v102
	v_pk_mul_f32 v[108:109], v[100:101], v[110:111] op_sel:[0,1]
	s_delay_alu instid0(VALU_DEP_2) | instskip(NEXT) | instid1(VALU_DEP_2)
	v_pk_mul_f32 v[112:113], v[112:113], v[110:111] op_sel:[0,1]
	v_pk_fma_f32 v[114:115], v[100:101], v[62:63], v[108:109] op_sel:[0,0,1] op_sel_hi:[1,0,0]
	v_pk_fma_f32 v[100:101], v[100:101], v[62:63], v[108:109] op_sel:[0,0,1] op_sel_hi:[1,1,0] neg_lo:[0,0,1] neg_hi:[0,0,1]
	s_delay_alu instid0(VALU_DEP_3) | instskip(SKIP_1) | instid1(VALU_DEP_4)
	v_pk_fma_f32 v[116:117], v[102:103], v[62:63], v[112:113] op_sel_hi:[1,0,1]
	v_pk_fma_f32 v[102:103], v[102:103], v[62:63], v[112:113] neg_lo:[0,0,1] neg_hi:[0,0,1]
	v_dual_mov_b32 v101, v115 :: v_dual_mov_b32 v63, v111
	s_delay_alu instid0(VALU_DEP_3) | instskip(NEXT) | instid1(VALU_DEP_2)
	v_mov_b32_e32 v103, v117
	v_pk_add_f32 v[60:61], v[60:61], v[100:101] neg_lo:[0,1] neg_hi:[0,1]
	s_delay_alu instid0(VALU_DEP_2)
	v_pk_add_f32 v[64:65], v[64:65], v[102:103] neg_lo:[0,1] neg_hi:[0,1]
.LBB33_136:
	s_or_b32 exec_lo, exec_lo, s1
	s_delay_alu instid0(SALU_CYCLE_1)
	s_mov_b32 s2, exec_lo
	s_wait_dscnt 0x0
	s_barrier_signal -1
	s_barrier_wait -1
	v_cmpx_eq_u32_e32 15, v104
	s_cbranch_execz .LBB33_143
; %bb.137:
	ds_store_b64 v105, v[60:61]
	ds_store_b64 v106, v[64:65] offset:128
	ds_load_b64 v[100:101], v105
	s_wait_dscnt 0x0
	v_cmp_neq_f32_e32 vcc_lo, 0, v100
	v_cmp_neq_f32_e64 s1, 0, v101
	s_or_b32 s1, vcc_lo, s1
	s_delay_alu instid0(SALU_CYCLE_1)
	s_and_b32 exec_lo, exec_lo, s1
	s_cbranch_execz .LBB33_143
; %bb.138:
	v_cmp_ngt_f32_e64 s1, |v100|, |v101|
                                        ; implicit-def: $vgpr102_vgpr103
	s_and_saveexec_b32 s4, s1
	s_delay_alu instid0(SALU_CYCLE_1)
	s_xor_b32 s1, exec_lo, s4
	s_cbranch_execz .LBB33_140
; %bb.139:
	v_div_scale_f32 v102, null, v101, v101, v100
	v_div_scale_f32 v108, vcc_lo, v100, v101, v100
	s_delay_alu instid0(VALU_DEP_2) | instskip(SKIP_1) | instid1(TRANS32_DEP_1)
	v_rcp_f32_e32 v103, v102
	v_nop
	v_fma_f32 v107, -v102, v103, 1.0
	s_delay_alu instid0(VALU_DEP_1) | instskip(NEXT) | instid1(VALU_DEP_1)
	v_fmac_f32_e32 v103, v107, v103
	v_mul_f32_e32 v107, v108, v103
	s_delay_alu instid0(VALU_DEP_1) | instskip(NEXT) | instid1(VALU_DEP_1)
	v_fma_f32 v109, -v102, v107, v108
	v_fmac_f32_e32 v107, v109, v103
	s_delay_alu instid0(VALU_DEP_1) | instskip(NEXT) | instid1(VALU_DEP_1)
	v_fma_f32 v102, -v102, v107, v108
	v_div_fmas_f32 v102, v102, v103, v107
	s_delay_alu instid0(VALU_DEP_1) | instskip(NEXT) | instid1(VALU_DEP_1)
	v_div_fixup_f32 v102, v102, v101, v100
	v_fmac_f32_e32 v101, v100, v102
	s_delay_alu instid0(VALU_DEP_1) | instskip(SKIP_1) | instid1(VALU_DEP_2)
	v_div_scale_f32 v100, null, v101, v101, 1.0
	v_div_scale_f32 v108, vcc_lo, 1.0, v101, 1.0
	v_rcp_f32_e32 v103, v100
	v_nop
	s_delay_alu instid0(TRANS32_DEP_1) | instskip(NEXT) | instid1(VALU_DEP_1)
	v_fma_f32 v107, -v100, v103, 1.0
	v_fmac_f32_e32 v103, v107, v103
	s_delay_alu instid0(VALU_DEP_1) | instskip(NEXT) | instid1(VALU_DEP_1)
	v_mul_f32_e32 v107, v108, v103
	v_fma_f32 v109, -v100, v107, v108
	s_delay_alu instid0(VALU_DEP_1) | instskip(NEXT) | instid1(VALU_DEP_1)
	v_fmac_f32_e32 v107, v109, v103
	v_fma_f32 v100, -v100, v107, v108
	s_delay_alu instid0(VALU_DEP_1) | instskip(NEXT) | instid1(VALU_DEP_1)
	v_div_fmas_f32 v100, v100, v103, v107
	v_div_fixup_f32 v100, v100, v101, 1.0
	s_delay_alu instid0(VALU_DEP_1)
	v_mul_f32_e32 v102, v102, v100
	v_xor_b32_e32 v103, 0x80000000, v100
                                        ; implicit-def: $vgpr100_vgpr101
.LBB33_140:
	s_and_not1_saveexec_b32 s1, s1
	s_cbranch_execz .LBB33_142
; %bb.141:
	v_div_scale_f32 v102, null, v100, v100, v101
	v_div_scale_f32 v108, vcc_lo, v101, v100, v101
	s_delay_alu instid0(VALU_DEP_2) | instskip(SKIP_1) | instid1(TRANS32_DEP_1)
	v_rcp_f32_e32 v103, v102
	v_nop
	v_fma_f32 v107, -v102, v103, 1.0
	s_delay_alu instid0(VALU_DEP_1) | instskip(NEXT) | instid1(VALU_DEP_1)
	v_fmac_f32_e32 v103, v107, v103
	v_mul_f32_e32 v107, v108, v103
	s_delay_alu instid0(VALU_DEP_1) | instskip(NEXT) | instid1(VALU_DEP_1)
	v_fma_f32 v109, -v102, v107, v108
	v_fmac_f32_e32 v107, v109, v103
	s_delay_alu instid0(VALU_DEP_1) | instskip(NEXT) | instid1(VALU_DEP_1)
	v_fma_f32 v102, -v102, v107, v108
	v_div_fmas_f32 v102, v102, v103, v107
	s_delay_alu instid0(VALU_DEP_1) | instskip(NEXT) | instid1(VALU_DEP_1)
	v_div_fixup_f32 v103, v102, v100, v101
	v_fmac_f32_e32 v100, v101, v103
	s_delay_alu instid0(VALU_DEP_1) | instskip(NEXT) | instid1(VALU_DEP_1)
	v_div_scale_f32 v101, null, v100, v100, 1.0
	v_rcp_f32_e32 v102, v101
	v_nop
	s_delay_alu instid0(TRANS32_DEP_1) | instskip(NEXT) | instid1(VALU_DEP_1)
	v_fma_f32 v107, -v101, v102, 1.0
	v_fmac_f32_e32 v102, v107, v102
	v_div_scale_f32 v107, vcc_lo, 1.0, v100, 1.0
	s_delay_alu instid0(VALU_DEP_1) | instskip(NEXT) | instid1(VALU_DEP_1)
	v_mul_f32_e32 v108, v107, v102
	v_fma_f32 v109, -v101, v108, v107
	s_delay_alu instid0(VALU_DEP_1) | instskip(NEXT) | instid1(VALU_DEP_1)
	v_fmac_f32_e32 v108, v109, v102
	v_fma_f32 v101, -v101, v108, v107
	s_delay_alu instid0(VALU_DEP_1) | instskip(NEXT) | instid1(VALU_DEP_1)
	v_div_fmas_f32 v101, v101, v102, v108
	v_div_fixup_f32 v102, v101, v100, 1.0
	s_delay_alu instid0(VALU_DEP_1)
	v_mul_f32_e64 v103, v103, -v102
.LBB33_142:
	s_or_b32 exec_lo, exec_lo, s1
	ds_store_b64 v105, v[102:103]
.LBB33_143:
	s_or_b32 exec_lo, exec_lo, s2
	s_wait_dscnt 0x0
	s_barrier_signal -1
	s_barrier_wait -1
	ds_load_b64 v[100:101], v105
	s_mov_b32 s1, exec_lo
	v_cmpx_lt_u32_e32 15, v104
	s_cbranch_execz .LBB33_145
; %bb.144:
	ds_load_b64 v[102:103], v106 offset:128
	s_wait_dscnt 0x1
	v_pk_mul_f32 v[106:107], v[100:101], v[60:61] op_sel:[1,1] op_sel_hi:[0,1]
	s_delay_alu instid0(VALU_DEP_1) | instskip(SKIP_2) | instid1(VALU_DEP_2)
	v_pk_fma_f32 v[108:109], v[100:101], v[60:61], v[106:107] op_sel_hi:[1,0,1]
	v_pk_fma_f32 v[60:61], v[100:101], v[60:61], v[106:107] op_sel_hi:[1,0,1] neg_lo:[0,0,1] neg_hi:[0,0,1]
	s_wait_dscnt 0x0
	v_pk_mul_f32 v[106:107], v[102:103], v[108:109] op_sel:[1,1] op_sel_hi:[0,1]
	s_delay_alu instid0(VALU_DEP_1) | instskip(SKIP_1) | instid1(VALU_DEP_2)
	v_pk_fma_f32 v[110:111], v[102:103], v[60:61], v[106:107] op_sel_hi:[1,0,1]
	v_pk_fma_f32 v[102:103], v[102:103], v[60:61], v[106:107] neg_lo:[0,0,1] neg_hi:[0,0,1]
	v_dual_mov_b32 v61, v109 :: v_dual_mov_b32 v103, v111
	s_delay_alu instid0(VALU_DEP_1)
	v_pk_add_f32 v[64:65], v[64:65], v[102:103] neg_lo:[0,1] neg_hi:[0,1]
.LBB33_145:
	s_or_b32 exec_lo, exec_lo, s1
	s_delay_alu instid0(SALU_CYCLE_1)
	s_mov_b32 s2, exec_lo
	s_wait_dscnt 0x0
	s_barrier_signal -1
	s_barrier_wait -1
	v_cmpx_eq_u32_e32 16, v104
	s_cbranch_execz .LBB33_152
; %bb.146:
	v_cmp_neq_f32_e32 vcc_lo, 0, v64
	v_cmp_neq_f32_e64 s1, 0, v65
	ds_store_b64 v105, v[64:65]
	s_or_b32 s1, vcc_lo, s1
	s_delay_alu instid0(SALU_CYCLE_1)
	s_and_b32 exec_lo, exec_lo, s1
	s_cbranch_execz .LBB33_152
; %bb.147:
	v_cmp_ngt_f32_e64 s1, |v64|, |v65|
                                        ; implicit-def: $vgpr102_vgpr103
	s_and_saveexec_b32 s4, s1
	s_delay_alu instid0(SALU_CYCLE_1)
	s_xor_b32 s1, exec_lo, s4
	s_cbranch_execz .LBB33_149
; %bb.148:
	v_div_scale_f32 v102, null, v65, v65, v64
	v_div_scale_f32 v107, vcc_lo, v64, v65, v64
	s_delay_alu instid0(VALU_DEP_2) | instskip(SKIP_1) | instid1(TRANS32_DEP_1)
	v_rcp_f32_e32 v103, v102
	v_nop
	v_fma_f32 v106, -v102, v103, 1.0
	s_delay_alu instid0(VALU_DEP_1) | instskip(NEXT) | instid1(VALU_DEP_1)
	v_fmac_f32_e32 v103, v106, v103
	v_mul_f32_e32 v106, v107, v103
	s_delay_alu instid0(VALU_DEP_1) | instskip(NEXT) | instid1(VALU_DEP_1)
	v_fma_f32 v108, -v102, v106, v107
	v_fmac_f32_e32 v106, v108, v103
	s_delay_alu instid0(VALU_DEP_1) | instskip(NEXT) | instid1(VALU_DEP_1)
	v_fma_f32 v102, -v102, v106, v107
	v_div_fmas_f32 v102, v102, v103, v106
	s_delay_alu instid0(VALU_DEP_1) | instskip(NEXT) | instid1(VALU_DEP_1)
	v_div_fixup_f32 v102, v102, v65, v64
	v_fma_f32 v103, v64, v102, v65
	s_delay_alu instid0(VALU_DEP_1) | instskip(SKIP_1) | instid1(VALU_DEP_2)
	v_div_scale_f32 v106, null, v103, v103, 1.0
	v_div_scale_f32 v109, vcc_lo, 1.0, v103, 1.0
	v_rcp_f32_e32 v107, v106
	v_nop
	s_delay_alu instid0(TRANS32_DEP_1) | instskip(NEXT) | instid1(VALU_DEP_1)
	v_fma_f32 v108, -v106, v107, 1.0
	v_fmac_f32_e32 v107, v108, v107
	s_delay_alu instid0(VALU_DEP_1) | instskip(NEXT) | instid1(VALU_DEP_1)
	v_mul_f32_e32 v108, v109, v107
	v_fma_f32 v110, -v106, v108, v109
	s_delay_alu instid0(VALU_DEP_1) | instskip(NEXT) | instid1(VALU_DEP_1)
	v_fmac_f32_e32 v108, v110, v107
	v_fma_f32 v106, -v106, v108, v109
	s_delay_alu instid0(VALU_DEP_1) | instskip(NEXT) | instid1(VALU_DEP_1)
	v_div_fmas_f32 v106, v106, v107, v108
	v_div_fixup_f32 v103, v106, v103, 1.0
	s_delay_alu instid0(VALU_DEP_1)
	v_mul_f32_e32 v102, v102, v103
	v_xor_b32_e32 v103, 0x80000000, v103
.LBB33_149:
	s_and_not1_saveexec_b32 s1, s1
	s_cbranch_execz .LBB33_151
; %bb.150:
	v_div_scale_f32 v102, null, v64, v64, v65
	v_div_scale_f32 v107, vcc_lo, v65, v64, v65
	s_delay_alu instid0(VALU_DEP_2) | instskip(SKIP_1) | instid1(TRANS32_DEP_1)
	v_rcp_f32_e32 v103, v102
	v_nop
	v_fma_f32 v106, -v102, v103, 1.0
	s_delay_alu instid0(VALU_DEP_1) | instskip(NEXT) | instid1(VALU_DEP_1)
	v_fmac_f32_e32 v103, v106, v103
	v_mul_f32_e32 v106, v107, v103
	s_delay_alu instid0(VALU_DEP_1) | instskip(NEXT) | instid1(VALU_DEP_1)
	v_fma_f32 v108, -v102, v106, v107
	v_fmac_f32_e32 v106, v108, v103
	s_delay_alu instid0(VALU_DEP_1) | instskip(NEXT) | instid1(VALU_DEP_1)
	v_fma_f32 v102, -v102, v106, v107
	v_div_fmas_f32 v102, v102, v103, v106
	s_delay_alu instid0(VALU_DEP_1) | instskip(NEXT) | instid1(VALU_DEP_1)
	v_div_fixup_f32 v103, v102, v64, v65
	v_fma_f32 v102, v65, v103, v64
	s_delay_alu instid0(VALU_DEP_1) | instskip(NEXT) | instid1(VALU_DEP_1)
	v_div_scale_f32 v106, null, v102, v102, 1.0
	v_rcp_f32_e32 v107, v106
	v_nop
	s_delay_alu instid0(TRANS32_DEP_1) | instskip(NEXT) | instid1(VALU_DEP_1)
	v_fma_f32 v108, -v106, v107, 1.0
	v_fmac_f32_e32 v107, v108, v107
	v_div_scale_f32 v108, vcc_lo, 1.0, v102, 1.0
	s_delay_alu instid0(VALU_DEP_1) | instskip(NEXT) | instid1(VALU_DEP_1)
	v_mul_f32_e32 v109, v108, v107
	v_fma_f32 v110, -v106, v109, v108
	s_delay_alu instid0(VALU_DEP_1) | instskip(NEXT) | instid1(VALU_DEP_1)
	v_fmac_f32_e32 v109, v110, v107
	v_fma_f32 v106, -v106, v109, v108
	s_delay_alu instid0(VALU_DEP_1) | instskip(NEXT) | instid1(VALU_DEP_1)
	v_div_fmas_f32 v106, v106, v107, v109
	v_div_fixup_f32 v102, v106, v102, 1.0
	s_delay_alu instid0(VALU_DEP_1)
	v_mul_f32_e64 v103, v103, -v102
.LBB33_151:
	s_or_b32 exec_lo, exec_lo, s1
	ds_store_b64 v105, v[102:103]
.LBB33_152:
	s_or_b32 exec_lo, exec_lo, s2
	s_wait_dscnt 0x0
	s_barrier_signal -1
	s_barrier_wait -1
	ds_load_b64 v[102:103], v105
	s_wait_dscnt 0x0
	s_barrier_signal -1
	s_barrier_wait -1
	s_and_saveexec_b32 s4, s0
	s_cbranch_execz .LBB33_155
; %bb.153:
	v_lshl_add_u64 v[2:3], v[2:3], 2, s[6:7]
	v_cmp_eq_f32_e32 vcc_lo, 0, v70
	v_cmp_eq_f32_e64 s0, 0, v71
	v_cmp_neq_f32_e64 s1, 0, v72
	v_cmp_neq_f32_e64 s2, 0, v73
	global_load_b32 v105, v[2:3], off
	s_and_b32 s0, vcc_lo, s0
	s_delay_alu instid0(SALU_CYCLE_1) | instskip(SKIP_1) | instid1(SALU_CYCLE_1)
	v_cndmask_b32_e64 v70, 0, 1, s0
	s_or_b32 s1, s1, s2
	s_or_b32 vcc_lo, s1, s0
	v_cmp_eq_f32_e64 s0, 0, v75
	s_delay_alu instid0(VALU_DEP_2) | instskip(SKIP_1) | instid1(VALU_DEP_2)
	v_cndmask_b32_e32 v70, 2, v70, vcc_lo
	v_cmp_eq_f32_e32 vcc_lo, 0, v74
	v_cmp_eq_u32_e64 s1, 0, v70
	s_and_b32 s0, vcc_lo, s0
	v_cmp_eq_f32_e32 vcc_lo, 0, v76
	s_and_b32 s0, s0, s1
	s_delay_alu instid0(SALU_CYCLE_1) | instskip(SKIP_1) | instid1(VALU_DEP_2)
	v_cndmask_b32_e64 v70, v70, 3, s0
	v_cmp_eq_f32_e64 s0, 0, v77
	v_cmp_eq_u32_e64 s1, 0, v70
	s_and_b32 s0, vcc_lo, s0
	v_cmp_eq_f32_e32 vcc_lo, 0, v78
	s_and_b32 s0, s0, s1
	s_delay_alu instid0(SALU_CYCLE_1) | instskip(SKIP_1) | instid1(VALU_DEP_2)
	v_cndmask_b32_e64 v70, v70, 4, s0
	v_cmp_eq_f32_e64 s0, 0, v79
	;; [unrolled: 7-line block ×14, first 2 shown]
	v_cmp_eq_u32_e64 s1, 0, v70
	s_and_b32 s0, vcc_lo, s0
	s_delay_alu instid0(SALU_CYCLE_1) | instskip(NEXT) | instid1(SALU_CYCLE_1)
	s_and_b32 s0, s0, s1
	v_cndmask_b32_e64 v70, v70, 17, s0
	s_delay_alu instid0(VALU_DEP_1) | instskip(SKIP_3) | instid1(SALU_CYCLE_1)
	v_cmp_ne_u32_e64 s0, 0, v70
	s_wait_loadcnt 0x0
	v_cmp_eq_u32_e32 vcc_lo, 0, v105
	s_and_b32 s0, vcc_lo, s0
	s_and_b32 exec_lo, exec_lo, s0
	s_cbranch_execz .LBB33_155
; %bb.154:
	v_add_nc_u32_e32 v70, s3, v70
	global_store_b32 v[2:3], v70, off
.LBB33_155:
	s_wait_xcnt 0x0
	s_or_b32 exec_lo, exec_lo, s4
	v_pk_mul_f32 v[2:3], v[102:103], v[64:65] op_sel:[1,1] op_sel_hi:[0,1]
	s_clause 0x1
	global_store_b64 v[18:19], v[68:69], off
	global_store_b64 v[42:43], v[48:49], off
	v_cmp_lt_u32_e32 vcc_lo, 16, v104
	s_clause 0x2
	global_store_b64 v[6:7], v[46:47], off
	global_store_b64 v[14:15], v[44:45], off
	;; [unrolled: 1-line block ×3, first 2 shown]
	s_wait_xcnt 0x4
	v_pk_fma_f32 v[18:19], v[102:103], v[64:65], v[2:3] op_sel_hi:[1,0,1]
	v_pk_fma_f32 v[2:3], v[102:103], v[64:65], v[2:3] neg_lo:[0,0,1] neg_hi:[0,0,1]
	s_delay_alu instid0(VALU_DEP_1)
	v_dual_cndmask_b32 v3, v65, v19 :: v_dual_cndmask_b32 v2, v64, v2
	s_clause 0xb
	global_store_b64 v[0:1], v[24:25], off
	global_store_b64 v[4:5], v[26:27], off
	;; [unrolled: 1-line block ×12, first 2 shown]
.LBB33_156:
	s_sendmsg sendmsg(MSG_DEALLOC_VGPRS)
	s_endpgm
	.section	.rodata,"a",@progbits
	.p2align	6, 0x0
	.amdhsa_kernel _ZN9rocsolver6v33100L23getf2_npvt_small_kernelILi17E19rocblas_complex_numIfEiiPS3_EEvT1_T3_lS5_lPT2_S5_S5_
		.amdhsa_group_segment_fixed_size 0
		.amdhsa_private_segment_fixed_size 0
		.amdhsa_kernarg_size 312
		.amdhsa_user_sgpr_count 2
		.amdhsa_user_sgpr_dispatch_ptr 0
		.amdhsa_user_sgpr_queue_ptr 0
		.amdhsa_user_sgpr_kernarg_segment_ptr 1
		.amdhsa_user_sgpr_dispatch_id 0
		.amdhsa_user_sgpr_kernarg_preload_length 0
		.amdhsa_user_sgpr_kernarg_preload_offset 0
		.amdhsa_user_sgpr_private_segment_size 0
		.amdhsa_wavefront_size32 1
		.amdhsa_uses_dynamic_stack 0
		.amdhsa_enable_private_segment 0
		.amdhsa_system_sgpr_workgroup_id_x 1
		.amdhsa_system_sgpr_workgroup_id_y 1
		.amdhsa_system_sgpr_workgroup_id_z 0
		.amdhsa_system_sgpr_workgroup_info 0
		.amdhsa_system_vgpr_workitem_id 1
		.amdhsa_next_free_vgpr 120
		.amdhsa_next_free_sgpr 15
		.amdhsa_named_barrier_count 0
		.amdhsa_reserve_vcc 1
		.amdhsa_float_round_mode_32 0
		.amdhsa_float_round_mode_16_64 0
		.amdhsa_float_denorm_mode_32 3
		.amdhsa_float_denorm_mode_16_64 3
		.amdhsa_fp16_overflow 0
		.amdhsa_memory_ordered 1
		.amdhsa_forward_progress 1
		.amdhsa_inst_pref_size 157
		.amdhsa_round_robin_scheduling 0
		.amdhsa_exception_fp_ieee_invalid_op 0
		.amdhsa_exception_fp_denorm_src 0
		.amdhsa_exception_fp_ieee_div_zero 0
		.amdhsa_exception_fp_ieee_overflow 0
		.amdhsa_exception_fp_ieee_underflow 0
		.amdhsa_exception_fp_ieee_inexact 0
		.amdhsa_exception_int_div_zero 0
	.end_amdhsa_kernel
	.section	.text._ZN9rocsolver6v33100L23getf2_npvt_small_kernelILi17E19rocblas_complex_numIfEiiPS3_EEvT1_T3_lS5_lPT2_S5_S5_,"axG",@progbits,_ZN9rocsolver6v33100L23getf2_npvt_small_kernelILi17E19rocblas_complex_numIfEiiPS3_EEvT1_T3_lS5_lPT2_S5_S5_,comdat
.Lfunc_end33:
	.size	_ZN9rocsolver6v33100L23getf2_npvt_small_kernelILi17E19rocblas_complex_numIfEiiPS3_EEvT1_T3_lS5_lPT2_S5_S5_, .Lfunc_end33-_ZN9rocsolver6v33100L23getf2_npvt_small_kernelILi17E19rocblas_complex_numIfEiiPS3_EEvT1_T3_lS5_lPT2_S5_S5_
                                        ; -- End function
	.set _ZN9rocsolver6v33100L23getf2_npvt_small_kernelILi17E19rocblas_complex_numIfEiiPS3_EEvT1_T3_lS5_lPT2_S5_S5_.num_vgpr, 120
	.set _ZN9rocsolver6v33100L23getf2_npvt_small_kernelILi17E19rocblas_complex_numIfEiiPS3_EEvT1_T3_lS5_lPT2_S5_S5_.num_agpr, 0
	.set _ZN9rocsolver6v33100L23getf2_npvt_small_kernelILi17E19rocblas_complex_numIfEiiPS3_EEvT1_T3_lS5_lPT2_S5_S5_.numbered_sgpr, 15
	.set _ZN9rocsolver6v33100L23getf2_npvt_small_kernelILi17E19rocblas_complex_numIfEiiPS3_EEvT1_T3_lS5_lPT2_S5_S5_.num_named_barrier, 0
	.set _ZN9rocsolver6v33100L23getf2_npvt_small_kernelILi17E19rocblas_complex_numIfEiiPS3_EEvT1_T3_lS5_lPT2_S5_S5_.private_seg_size, 0
	.set _ZN9rocsolver6v33100L23getf2_npvt_small_kernelILi17E19rocblas_complex_numIfEiiPS3_EEvT1_T3_lS5_lPT2_S5_S5_.uses_vcc, 1
	.set _ZN9rocsolver6v33100L23getf2_npvt_small_kernelILi17E19rocblas_complex_numIfEiiPS3_EEvT1_T3_lS5_lPT2_S5_S5_.uses_flat_scratch, 0
	.set _ZN9rocsolver6v33100L23getf2_npvt_small_kernelILi17E19rocblas_complex_numIfEiiPS3_EEvT1_T3_lS5_lPT2_S5_S5_.has_dyn_sized_stack, 0
	.set _ZN9rocsolver6v33100L23getf2_npvt_small_kernelILi17E19rocblas_complex_numIfEiiPS3_EEvT1_T3_lS5_lPT2_S5_S5_.has_recursion, 0
	.set _ZN9rocsolver6v33100L23getf2_npvt_small_kernelILi17E19rocblas_complex_numIfEiiPS3_EEvT1_T3_lS5_lPT2_S5_S5_.has_indirect_call, 0
	.section	.AMDGPU.csdata,"",@progbits
; Kernel info:
; codeLenInByte = 19996
; TotalNumSgprs: 17
; NumVgprs: 120
; ScratchSize: 0
; MemoryBound: 0
; FloatMode: 240
; IeeeMode: 1
; LDSByteSize: 0 bytes/workgroup (compile time only)
; SGPRBlocks: 0
; VGPRBlocks: 7
; NumSGPRsForWavesPerEU: 17
; NumVGPRsForWavesPerEU: 120
; NamedBarCnt: 0
; Occupancy: 8
; WaveLimiterHint : 0
; COMPUTE_PGM_RSRC2:SCRATCH_EN: 0
; COMPUTE_PGM_RSRC2:USER_SGPR: 2
; COMPUTE_PGM_RSRC2:TRAP_HANDLER: 0
; COMPUTE_PGM_RSRC2:TGID_X_EN: 1
; COMPUTE_PGM_RSRC2:TGID_Y_EN: 1
; COMPUTE_PGM_RSRC2:TGID_Z_EN: 0
; COMPUTE_PGM_RSRC2:TIDIG_COMP_CNT: 1
	.section	.text._ZN9rocsolver6v33100L18getf2_small_kernelILi18E19rocblas_complex_numIfEiiPS3_EEvT1_T3_lS5_lPS5_llPT2_S5_S5_S7_l,"axG",@progbits,_ZN9rocsolver6v33100L18getf2_small_kernelILi18E19rocblas_complex_numIfEiiPS3_EEvT1_T3_lS5_lPS5_llPT2_S5_S5_S7_l,comdat
	.globl	_ZN9rocsolver6v33100L18getf2_small_kernelILi18E19rocblas_complex_numIfEiiPS3_EEvT1_T3_lS5_lPS5_llPT2_S5_S5_S7_l ; -- Begin function _ZN9rocsolver6v33100L18getf2_small_kernelILi18E19rocblas_complex_numIfEiiPS3_EEvT1_T3_lS5_lPS5_llPT2_S5_S5_S7_l
	.p2align	8
	.type	_ZN9rocsolver6v33100L18getf2_small_kernelILi18E19rocblas_complex_numIfEiiPS3_EEvT1_T3_lS5_lPS5_llPT2_S5_S5_S7_l,@function
_ZN9rocsolver6v33100L18getf2_small_kernelILi18E19rocblas_complex_numIfEiiPS3_EEvT1_T3_lS5_lPS5_llPT2_S5_S5_S7_l: ; @_ZN9rocsolver6v33100L18getf2_small_kernelILi18E19rocblas_complex_numIfEiiPS3_EEvT1_T3_lS5_lPS5_llPT2_S5_S5_S7_l
; %bb.0:
	s_clause 0x1
	s_load_u16 s2, s[0:1], 0x6e
	s_load_b64 s[12:13], s[0:1], 0x48
	s_bfe_u32 s3, ttmp6, 0x40010
	s_bfe_u32 s4, ttmp6, 0x40004
	s_add_co_i32 s3, s3, 1
	s_getreg_b32 s5, hwreg(HW_REG_IB_STS2, 6, 4)
	s_mul_i32 s3, ttmp7, s3
	v_bfe_u32 v44, v0, 10, 10
	s_add_co_i32 s4, s4, s3
	s_cmp_eq_u32 s5, 0
	s_cselect_b32 s3, ttmp7, s4
	s_wait_kmcnt 0x0
	v_mad_u32 v2, s3, s2, v44
	s_mov_b32 s2, exec_lo
	s_delay_alu instid0(VALU_DEP_1)
	v_cmpx_gt_i32_e64 s12, v2
	s_cbranch_execz .LBB34_379
; %bb.1:
	s_load_b128 s[4:7], s[0:1], 0x50
	v_mov_b64_e32 v[30:31], 0
	v_ashrrev_i32_e32 v3, 31, v2
	s_wait_kmcnt 0x0
	s_cmp_eq_u64 s[4:5], 0
	s_cselect_b32 s12, -1, 0
	s_delay_alu instid0(SALU_CYCLE_1)
	s_and_b32 vcc_lo, exec_lo, s12
	s_cbranch_vccnz .LBB34_3
; %bb.2:
	v_mul_u64_e32 v[4:5], s[6:7], v[2:3]
	s_delay_alu instid0(VALU_DEP_1)
	v_lshl_add_u64 v[30:31], v[4:5], 2, s[4:5]
.LBB34_3:
	s_clause 0x1
	s_load_b32 s2, s[0:1], 0x18
	s_load_b256 s[4:11], s[0:1], 0x20
	v_and_b32_e32 v48, 0x3ff, v0
	s_clause 0x1
	s_load_b128 s[16:19], s[0:1], 0x8
	s_load_b32 s14, s[0:1], 0x0
	s_delay_alu instid0(VALU_DEP_1)
	v_dual_mov_b32 v43, 0 :: v_dual_lshlrev_b32 v42, 3, v48
	s_wait_kmcnt 0x0
	v_add3_u32 v4, s2, s2, v48
	v_mul_u64_e32 v[0:1], s[4:5], v[2:3]
	s_ashr_i32 s3, s2, 31
	s_max_i32 s4, s14, 18
	s_delay_alu instid0(VALU_DEP_2) | instskip(SKIP_1) | instid1(VALU_DEP_1)
	v_add_nc_u32_e32 v6, s2, v4
	s_cmp_lt_i32 s14, 2
	v_add_nc_u32_e32 v8, s2, v6
	s_delay_alu instid0(VALU_DEP_1) | instskip(NEXT) | instid1(VALU_DEP_1)
	v_add_nc_u32_e32 v10, s2, v8
	v_dual_add_nc_u32 v12, s2, v10 :: v_dual_ashrrev_i32 v5, 31, v4
	s_delay_alu instid0(VALU_DEP_1) | instskip(NEXT) | instid1(VALU_DEP_1)
	v_dual_ashrrev_i32 v7, 31, v6 :: v_dual_add_nc_u32 v14, s2, v12
	v_dual_ashrrev_i32 v13, 31, v12 :: v_dual_ashrrev_i32 v15, 31, v14
	v_add_nc_u32_e32 v16, s2, v14
	v_ashrrev_i32_e32 v11, 31, v10
	v_lshl_add_u64 v[0:1], v[0:1], 3, s[16:17]
	s_delay_alu instid0(VALU_DEP_3) | instskip(SKIP_1) | instid1(VALU_DEP_3)
	v_add_nc_u32_e32 v18, s2, v16
	v_ashrrev_i32_e32 v9, 31, v8
	v_lshl_add_u64 v[0:1], s[18:19], 3, v[0:1]
	s_delay_alu instid0(VALU_DEP_3) | instskip(SKIP_1) | instid1(VALU_DEP_3)
	v_dual_ashrrev_i32 v17, 31, v16 :: v_dual_ashrrev_i32 v19, 31, v18
	v_add_nc_u32_e32 v20, s2, v18
	v_add_nc_u64_e32 v[26:27], v[0:1], v[42:43]
	v_lshl_add_u64 v[32:33], v[8:9], 3, v[0:1]
	v_lshl_add_u64 v[10:11], v[10:11], 3, v[0:1]
	;; [unrolled: 1-line block ×3, first 2 shown]
	v_add_nc_u32_e32 v24, s2, v20
	v_lshl_add_u64 v[14:15], v[14:15], 3, v[0:1]
	v_lshl_add_u64 v[52:53], v[16:17], 3, v[0:1]
	;; [unrolled: 1-line block ×4, first 2 shown]
	v_add_nc_u32_e32 v46, s2, v24
	v_lshl_add_u64 v[40:41], v[6:7], 3, v[0:1]
	s_clause 0x7
	global_load_b64 v[22:23], v[32:33], off
	global_load_b64 v[6:7], v[10:11], off
	;; [unrolled: 1-line block ×8, first 2 shown]
	v_add_nc_u32_e32 v50, s2, v46
	v_lshl_add_u64 v[18:19], v[18:19], 3, v[0:1]
	s_delay_alu instid0(VALU_DEP_2) | instskip(SKIP_2) | instid1(VALU_DEP_3)
	v_dual_add_nc_u32 v54, s2, v50 :: v_dual_ashrrev_i32 v21, 31, v20
	v_dual_ashrrev_i32 v25, 31, v24 :: v_dual_ashrrev_i32 v47, 31, v46
	v_ashrrev_i32_e32 v51, 31, v50
	v_ashrrev_i32_e32 v55, 31, v54
	s_wait_xcnt 0x6
	v_lshl_add_u64 v[10:11], v[20:21], 3, v[0:1]
	v_add_nc_u32_e32 v20, s2, v54
	v_lshl_add_u64 v[24:25], v[24:25], 3, v[0:1]
	s_clause 0x3
	global_load_b64 v[28:29], v[52:53], off
	global_load_b64 v[14:15], v[18:19], off
	;; [unrolled: 1-line block ×4, first 2 shown]
	v_lshl_add_u64 v[46:47], v[46:47], 3, v[0:1]
	s_wait_xcnt 0x4
	v_dual_add_nc_u32 v26, s2, v20 :: v_dual_ashrrev_i32 v21, 31, v20
	v_lshl_add_u64 v[50:51], v[50:51], 3, v[0:1]
	s_wait_xcnt 0x3
	v_lshl_add_u64 v[52:53], v[54:55], 3, v[0:1]
	s_wait_xcnt 0x1
	v_dual_add_nc_u32 v10, s2, v26 :: v_dual_ashrrev_i32 v27, 31, v26
	v_lshl_add_u64 v[54:55], v[20:21], 3, v[0:1]
	s_delay_alu instid0(VALU_DEP_2) | instskip(NEXT) | instid1(VALU_DEP_3)
	v_ashrrev_i32_e32 v11, 31, v10
	v_lshl_add_u64 v[56:57], v[26:27], 3, v[0:1]
	s_delay_alu instid0(VALU_DEP_2)
	v_lshl_add_u64 v[58:59], v[10:11], 3, v[0:1]
	s_clause 0x5
	global_load_b64 v[26:27], v[46:47], off
	global_load_b64 v[10:11], v[50:51], off
	global_load_b64 v[24:25], v[52:53], off
	global_load_b64 v[20:21], v[54:55], off
	global_load_b64 v[18:19], v[56:57], off
	global_load_b64 v[40:41], v[58:59], off
	s_wait_xcnt 0x5
	v_mul_lo_u32 v47, s4, v44
	s_load_b64 s[4:5], s[0:1], 0x40
	s_delay_alu instid0(VALU_DEP_1) | instskip(NEXT) | instid1(VALU_DEP_1)
	v_lshl_add_u32 v46, v47, 3, 0
	v_dual_lshlrev_b32 v47, 3, v47 :: v_dual_add_nc_u32 v42, v46, v42
	s_wait_loadcnt 0xa
	ds_store_b64 v42, v[38:39]
	s_wait_loadcnt_dscnt 0x0
	s_barrier_signal -1
	s_barrier_wait -1
	ds_load_b64 v[44:45], v46
	s_cbranch_scc1 .LBB34_6
; %bb.4:
	v_add3_u32 v42, v47, 0, 8
	v_mov_b32_e32 v43, 0
	s_wait_xcnt 0x0
	s_mov_b32 s0, 1
.LBB34_5:                               ; =>This Inner Loop Header: Depth=1
	ds_load_b64 v[50:51], v42
	s_wait_dscnt 0x1
	v_cmp_gt_f32_e32 vcc_lo, 0, v44
	v_cndmask_b32_e64 v52, v44, -v44, vcc_lo
	v_cmp_gt_f32_e32 vcc_lo, 0, v45
	v_cndmask_b32_e64 v54, v45, -v45, vcc_lo
	s_wait_dscnt 0x0
	v_cmp_gt_f32_e32 vcc_lo, 0, v50
	v_cndmask_b32_e64 v53, v50, -v50, vcc_lo
	v_cmp_gt_f32_e32 vcc_lo, 0, v51
	v_cndmask_b32_e64 v55, v51, -v51, vcc_lo
	s_delay_alu instid0(VALU_DEP_1) | instskip(NEXT) | instid1(VALU_DEP_1)
	v_pk_add_f32 v[52:53], v[52:53], v[54:55]
	v_cmp_lt_f32_e32 vcc_lo, v52, v53
	v_dual_cndmask_b32 v45, v45, v51 :: v_dual_add_nc_u32 v42, 8, v42
	v_cndmask_b32_e32 v44, v44, v50, vcc_lo
	v_cndmask_b32_e64 v43, v43, s0, vcc_lo
	s_add_co_i32 s0, s0, 1
	s_delay_alu instid0(SALU_CYCLE_1)
	s_cmp_eq_u32 s14, s0
	s_cbranch_scc0 .LBB34_5
.LBB34_6:
	s_wait_dscnt 0x0
	v_cmp_neq_f32_e32 vcc_lo, 0, v44
	s_wait_xcnt 0x0
	v_cmp_neq_f32_e64 s0, 0, v45
	v_dual_mov_b32 v49, 1 :: v_dual_mov_b32 v51, 1
	s_or_b32 s1, vcc_lo, s0
	s_delay_alu instid0(SALU_CYCLE_1)
	s_and_saveexec_b32 s0, s1
	s_cbranch_execz .LBB34_12
; %bb.7:
	v_cmp_ngt_f32_e64 s1, |v44|, |v45|
	s_and_saveexec_b32 s15, s1
	s_delay_alu instid0(SALU_CYCLE_1)
	s_xor_b32 s1, exec_lo, s15
	s_cbranch_execz .LBB34_9
; %bb.8:
	v_div_scale_f32 v42, null, v45, v45, v44
	v_div_scale_f32 v51, vcc_lo, v44, v45, v44
	s_delay_alu instid0(VALU_DEP_2) | instskip(SKIP_1) | instid1(TRANS32_DEP_1)
	v_rcp_f32_e32 v49, v42
	v_nop
	v_fma_f32 v50, -v42, v49, 1.0
	s_delay_alu instid0(VALU_DEP_1) | instskip(NEXT) | instid1(VALU_DEP_1)
	v_fmac_f32_e32 v49, v50, v49
	v_mul_f32_e32 v50, v51, v49
	s_delay_alu instid0(VALU_DEP_1) | instskip(NEXT) | instid1(VALU_DEP_1)
	v_fma_f32 v52, -v42, v50, v51
	v_fmac_f32_e32 v50, v52, v49
	s_delay_alu instid0(VALU_DEP_1) | instskip(NEXT) | instid1(VALU_DEP_1)
	v_fma_f32 v42, -v42, v50, v51
	v_div_fmas_f32 v42, v42, v49, v50
	s_delay_alu instid0(VALU_DEP_1) | instskip(NEXT) | instid1(VALU_DEP_1)
	v_div_fixup_f32 v42, v42, v45, v44
	v_fmac_f32_e32 v45, v44, v42
	s_delay_alu instid0(VALU_DEP_1) | instskip(SKIP_1) | instid1(VALU_DEP_2)
	v_div_scale_f32 v44, null, v45, v45, 1.0
	v_div_scale_f32 v51, vcc_lo, 1.0, v45, 1.0
	v_rcp_f32_e32 v49, v44
	v_nop
	s_delay_alu instid0(TRANS32_DEP_1) | instskip(NEXT) | instid1(VALU_DEP_1)
	v_fma_f32 v50, -v44, v49, 1.0
	v_fmac_f32_e32 v49, v50, v49
	s_delay_alu instid0(VALU_DEP_1) | instskip(NEXT) | instid1(VALU_DEP_1)
	v_mul_f32_e32 v50, v51, v49
	v_fma_f32 v52, -v44, v50, v51
	s_delay_alu instid0(VALU_DEP_1) | instskip(NEXT) | instid1(VALU_DEP_1)
	v_fmac_f32_e32 v50, v52, v49
	v_fma_f32 v44, -v44, v50, v51
	s_delay_alu instid0(VALU_DEP_1) | instskip(NEXT) | instid1(VALU_DEP_1)
	v_div_fmas_f32 v44, v44, v49, v50
	v_div_fixup_f32 v45, v44, v45, 1.0
	s_delay_alu instid0(VALU_DEP_1)
	v_mul_f32_e32 v44, v42, v45
	v_xor_b32_e32 v45, 0x80000000, v45
.LBB34_9:
	s_and_not1_saveexec_b32 s1, s1
	s_cbranch_execz .LBB34_11
; %bb.10:
	s_delay_alu instid0(VALU_DEP_1) | instskip(SKIP_1) | instid1(VALU_DEP_2)
	v_div_scale_f32 v42, null, v44, v44, v45
	v_div_scale_f32 v51, vcc_lo, v45, v44, v45
	v_rcp_f32_e32 v49, v42
	v_nop
	s_delay_alu instid0(TRANS32_DEP_1) | instskip(NEXT) | instid1(VALU_DEP_1)
	v_fma_f32 v50, -v42, v49, 1.0
	v_fmac_f32_e32 v49, v50, v49
	s_delay_alu instid0(VALU_DEP_1) | instskip(NEXT) | instid1(VALU_DEP_1)
	v_mul_f32_e32 v50, v51, v49
	v_fma_f32 v52, -v42, v50, v51
	s_delay_alu instid0(VALU_DEP_1) | instskip(NEXT) | instid1(VALU_DEP_1)
	v_fmac_f32_e32 v50, v52, v49
	v_fma_f32 v42, -v42, v50, v51
	s_delay_alu instid0(VALU_DEP_1) | instskip(NEXT) | instid1(VALU_DEP_1)
	v_div_fmas_f32 v42, v42, v49, v50
	v_div_fixup_f32 v42, v42, v44, v45
	s_delay_alu instid0(VALU_DEP_1) | instskip(NEXT) | instid1(VALU_DEP_1)
	v_fmac_f32_e32 v44, v45, v42
	v_div_scale_f32 v45, null, v44, v44, 1.0
	s_delay_alu instid0(VALU_DEP_1) | instskip(SKIP_1) | instid1(TRANS32_DEP_1)
	v_rcp_f32_e32 v49, v45
	v_nop
	v_fma_f32 v50, -v45, v49, 1.0
	s_delay_alu instid0(VALU_DEP_1) | instskip(SKIP_1) | instid1(VALU_DEP_1)
	v_fmac_f32_e32 v49, v50, v49
	v_div_scale_f32 v50, vcc_lo, 1.0, v44, 1.0
	v_mul_f32_e32 v51, v50, v49
	s_delay_alu instid0(VALU_DEP_1) | instskip(NEXT) | instid1(VALU_DEP_1)
	v_fma_f32 v52, -v45, v51, v50
	v_fmac_f32_e32 v51, v52, v49
	s_delay_alu instid0(VALU_DEP_1) | instskip(NEXT) | instid1(VALU_DEP_1)
	v_fma_f32 v45, -v45, v51, v50
	v_div_fmas_f32 v45, v45, v49, v51
	s_delay_alu instid0(VALU_DEP_1) | instskip(NEXT) | instid1(VALU_DEP_1)
	v_div_fixup_f32 v44, v45, v44, 1.0
	v_mul_f32_e64 v45, v42, -v44
.LBB34_11:
	s_or_b32 exec_lo, exec_lo, s1
	v_dual_mov_b32 v51, 0 :: v_dual_mov_b32 v49, 2
.LBB34_12:
	s_or_b32 exec_lo, exec_lo, s0
	s_delay_alu instid0(SALU_CYCLE_1)
	s_mov_b32 s0, exec_lo
	v_cmpx_ne_u32_e64 v48, v43
	s_xor_b32 s0, exec_lo, s0
	s_cbranch_execz .LBB34_18
; %bb.13:
	s_mov_b32 s1, exec_lo
	v_cmpx_eq_u32_e32 0, v48
	s_cbranch_execz .LBB34_17
; %bb.14:
	v_cmp_ne_u32_e32 vcc_lo, 0, v43
	s_xor_b32 s15, s12, -1
	s_delay_alu instid0(SALU_CYCLE_1) | instskip(NEXT) | instid1(SALU_CYCLE_1)
	s_and_b32 s16, s15, vcc_lo
	s_and_saveexec_b32 s15, s16
	s_cbranch_execz .LBB34_16
; %bb.15:
	v_dual_mov_b32 v52, v43 :: v_dual_ashrrev_i32 v53, 31, v43
	s_delay_alu instid0(VALU_DEP_1)
	v_lshl_add_u64 v[52:53], v[52:53], 2, v[30:31]
	s_clause 0x1
	global_load_b32 v42, v[52:53], off
	global_load_b32 v48, v[30:31], off
	s_wait_loadcnt 0x1
	global_store_b32 v[30:31], v42, off
	s_wait_loadcnt 0x0
	global_store_b32 v[52:53], v48, off
.LBB34_16:
	s_wait_xcnt 0x0
	s_or_b32 exec_lo, exec_lo, s15
	v_mov_b32_e32 v48, v43
.LBB34_17:
	s_or_b32 exec_lo, exec_lo, s1
.LBB34_18:
	s_or_saveexec_b32 s0, s0
	s_delay_alu instid0(VALU_DEP_1)
	v_mov_b32_e32 v50, v48
	s_xor_b32 exec_lo, exec_lo, s0
	s_cbranch_execz .LBB34_20
; %bb.19:
	v_mov_b32_e32 v50, 0
	ds_store_2addr_b64 v46, v[34:35], v[36:37] offset0:1 offset1:2
	ds_store_2addr_b64 v46, v[32:33], v[22:23] offset0:3 offset1:4
	;; [unrolled: 1-line block ×8, first 2 shown]
	ds_store_b64 v46, v[40:41] offset:136
.LBB34_20:
	s_or_b32 exec_lo, exec_lo, s0
	s_delay_alu instid0(SALU_CYCLE_1)
	s_mov_b32 s0, exec_lo
	s_wait_storecnt_dscnt 0x0
	s_barrier_signal -1
	s_barrier_wait -1
	v_cmpx_lt_i32_e32 0, v50
	s_cbranch_execz .LBB34_22
; %bb.21:
	v_pk_mul_f32 v[52:53], v[44:45], v[38:39] op_sel:[1,1] op_sel_hi:[0,1]
	s_delay_alu instid0(VALU_DEP_1)
	v_pk_fma_f32 v[42:43], v[44:45], v[38:39], v[52:53] op_sel_hi:[1,0,1] neg_lo:[0,0,1] neg_hi:[0,0,1]
	v_pk_fma_f32 v[44:45], v[44:45], v[38:39], v[52:53] op_sel_hi:[1,0,1]
	ds_load_2addr_b64 v[52:55], v46 offset0:1 offset1:2
	v_dual_mov_b32 v38, v42 :: v_dual_mov_b32 v39, v45
	s_wait_dscnt 0x0
	v_pk_mul_f32 v[56:57], v[52:53], v[44:45] op_sel:[0,1]
	s_delay_alu instid0(VALU_DEP_1) | instskip(SKIP_1) | instid1(VALU_DEP_1)
	v_pk_fma_f32 v[58:59], v[52:53], v[42:43], v[56:57] op_sel:[0,0,1] op_sel_hi:[1,1,0] neg_lo:[0,0,1] neg_hi:[0,0,1]
	v_pk_fma_f32 v[52:53], v[52:53], v[42:43], v[56:57] op_sel:[0,0,1] op_sel_hi:[1,0,0]
	v_mov_b32_e32 v59, v53
	v_pk_mul_f32 v[52:53], v[54:55], v[44:45] op_sel:[0,1]
	s_delay_alu instid0(VALU_DEP_1) | instskip(SKIP_1) | instid1(VALU_DEP_1)
	v_pk_fma_f32 v[56:57], v[54:55], v[42:43], v[52:53] op_sel:[0,0,1] op_sel_hi:[1,1,0] neg_lo:[0,0,1] neg_hi:[0,0,1]
	v_pk_fma_f32 v[52:53], v[54:55], v[42:43], v[52:53] op_sel:[0,0,1] op_sel_hi:[1,0,0]
	v_mov_b32_e32 v57, v53
	ds_load_2addr_b64 v[52:55], v46 offset0:3 offset1:4
	v_pk_add_f32 v[34:35], v[34:35], v[58:59] neg_lo:[0,1] neg_hi:[0,1]
	v_pk_add_f32 v[36:37], v[36:37], v[56:57] neg_lo:[0,1] neg_hi:[0,1]
	s_wait_dscnt 0x0
	v_pk_mul_f32 v[56:57], v[52:53], v[44:45] op_sel:[0,1]
	s_delay_alu instid0(VALU_DEP_1) | instskip(SKIP_2) | instid1(VALU_DEP_2)
	v_pk_fma_f32 v[58:59], v[52:53], v[42:43], v[56:57] op_sel:[0,0,1] op_sel_hi:[1,1,0] neg_lo:[0,0,1] neg_hi:[0,0,1]
	v_pk_fma_f32 v[52:53], v[52:53], v[42:43], v[56:57] op_sel:[0,0,1] op_sel_hi:[1,0,0]
	v_dual_mul_f32 v56, v55, v45 :: v_dual_mov_b32 v52, v55
	v_dual_mov_b32 v59, v53 :: v_dual_mov_b32 v53, v54
	s_delay_alu instid0(VALU_DEP_2) | instskip(SKIP_1) | instid1(VALU_DEP_3)
	v_pk_fma_f32 v[56:57], v[54:55], v[38:39], v[56:57] op_sel_hi:[1,1,0] neg_lo:[0,0,1] neg_hi:[0,0,1]
	v_mul_f32_e32 v54, v55, v42
	v_pk_add_f32 v[32:33], v[32:33], v[58:59] neg_lo:[0,1] neg_hi:[0,1]
	s_delay_alu instid0(VALU_DEP_2) | instskip(NEXT) | instid1(VALU_DEP_1)
	v_pk_fma_f32 v[52:53], v[52:53], v[38:39], v[54:55] op_sel_hi:[1,1,0]
	v_mov_b32_e32 v57, v53
	ds_load_2addr_b64 v[52:55], v46 offset0:5 offset1:6
	v_pk_add_f32 v[22:23], v[22:23], v[56:57] neg_lo:[0,1] neg_hi:[0,1]
	s_wait_dscnt 0x0
	v_pk_mul_f32 v[56:57], v[52:53], v[44:45] op_sel:[0,1]
	s_delay_alu instid0(VALU_DEP_1) | instskip(SKIP_1) | instid1(VALU_DEP_1)
	v_pk_fma_f32 v[58:59], v[52:53], v[42:43], v[56:57] op_sel:[0,0,1] op_sel_hi:[1,1,0] neg_lo:[0,0,1] neg_hi:[0,0,1]
	v_pk_fma_f32 v[52:53], v[52:53], v[42:43], v[56:57] op_sel:[0,0,1] op_sel_hi:[1,0,0]
	v_mov_b32_e32 v59, v53
	v_pk_mul_f32 v[52:53], v[54:55], v[44:45] op_sel:[0,1]
	s_delay_alu instid0(VALU_DEP_1) | instskip(SKIP_1) | instid1(VALU_DEP_1)
	v_pk_fma_f32 v[56:57], v[54:55], v[42:43], v[52:53] op_sel:[0,0,1] op_sel_hi:[1,1,0] neg_lo:[0,0,1] neg_hi:[0,0,1]
	v_pk_fma_f32 v[52:53], v[54:55], v[42:43], v[52:53] op_sel:[0,0,1] op_sel_hi:[1,0,0]
	v_mov_b32_e32 v57, v53
	ds_load_2addr_b64 v[52:55], v46 offset0:7 offset1:8
	v_pk_add_f32 v[6:7], v[6:7], v[58:59] neg_lo:[0,1] neg_hi:[0,1]
	v_pk_add_f32 v[8:9], v[8:9], v[56:57] neg_lo:[0,1] neg_hi:[0,1]
	s_wait_dscnt 0x0
	v_pk_mul_f32 v[56:57], v[52:53], v[44:45] op_sel:[0,1]
	s_delay_alu instid0(VALU_DEP_1) | instskip(SKIP_1) | instid1(VALU_DEP_1)
	v_pk_fma_f32 v[58:59], v[52:53], v[42:43], v[56:57] op_sel:[0,0,1] op_sel_hi:[1,1,0] neg_lo:[0,0,1] neg_hi:[0,0,1]
	v_pk_fma_f32 v[52:53], v[52:53], v[42:43], v[56:57] op_sel:[0,0,1] op_sel_hi:[1,0,0]
	v_mov_b32_e32 v59, v53
	v_pk_mul_f32 v[52:53], v[54:55], v[44:45] op_sel:[0,1]
	s_delay_alu instid0(VALU_DEP_1) | instskip(SKIP_1) | instid1(VALU_DEP_1)
	v_pk_fma_f32 v[56:57], v[54:55], v[42:43], v[52:53] op_sel:[0,0,1] op_sel_hi:[1,1,0] neg_lo:[0,0,1] neg_hi:[0,0,1]
	v_pk_fma_f32 v[52:53], v[54:55], v[42:43], v[52:53] op_sel:[0,0,1] op_sel_hi:[1,0,0]
	v_mov_b32_e32 v57, v53
	ds_load_2addr_b64 v[52:55], v46 offset0:9 offset1:10
	v_pk_add_f32 v[4:5], v[4:5], v[58:59] neg_lo:[0,1] neg_hi:[0,1]
	v_pk_add_f32 v[28:29], v[28:29], v[56:57] neg_lo:[0,1] neg_hi:[0,1]
	s_wait_dscnt 0x0
	v_dual_mul_f32 v56, v53, v45 :: v_dual_mul_f32 v58, v53, v42
	s_delay_alu instid0(VALU_DEP_1) | instskip(NEXT) | instid1(VALU_DEP_2)
	v_pk_fma_f32 v[56:57], v[52:53], v[38:39], v[56:57] op_sel_hi:[1,1,0] neg_lo:[0,0,1] neg_hi:[0,0,1]
	v_pk_fma_f32 v[52:53], v[52:53], v[38:39], v[58:59] op_sel:[1,0,0] op_sel_hi:[0,1,0]
	s_delay_alu instid0(VALU_DEP_1) | instskip(SKIP_1) | instid1(VALU_DEP_2)
	v_mov_b32_e32 v57, v53
	v_pk_mul_f32 v[52:53], v[54:55], v[44:45] op_sel:[0,1]
	v_pk_add_f32 v[14:15], v[14:15], v[56:57] neg_lo:[0,1] neg_hi:[0,1]
	s_delay_alu instid0(VALU_DEP_2) | instskip(SKIP_1) | instid1(VALU_DEP_1)
	v_pk_fma_f32 v[56:57], v[54:55], v[42:43], v[52:53] op_sel:[0,0,1] op_sel_hi:[1,1,0] neg_lo:[0,0,1] neg_hi:[0,0,1]
	v_pk_fma_f32 v[52:53], v[54:55], v[42:43], v[52:53] op_sel:[0,0,1] op_sel_hi:[1,0,0]
	v_mov_b32_e32 v57, v53
	ds_load_2addr_b64 v[52:55], v46 offset0:11 offset1:12
	v_pk_add_f32 v[16:17], v[16:17], v[56:57] neg_lo:[0,1] neg_hi:[0,1]
	s_wait_dscnt 0x0
	v_pk_mul_f32 v[56:57], v[52:53], v[44:45] op_sel:[0,1]
	s_delay_alu instid0(VALU_DEP_1) | instskip(SKIP_1) | instid1(VALU_DEP_1)
	v_pk_fma_f32 v[58:59], v[52:53], v[42:43], v[56:57] op_sel:[0,0,1] op_sel_hi:[1,1,0] neg_lo:[0,0,1] neg_hi:[0,0,1]
	v_pk_fma_f32 v[52:53], v[52:53], v[42:43], v[56:57] op_sel:[0,0,1] op_sel_hi:[1,0,0]
	v_mov_b32_e32 v59, v53
	v_pk_mul_f32 v[52:53], v[54:55], v[44:45] op_sel:[0,1]
	s_delay_alu instid0(VALU_DEP_2) | instskip(NEXT) | instid1(VALU_DEP_2)
	v_pk_add_f32 v[12:13], v[12:13], v[58:59] neg_lo:[0,1] neg_hi:[0,1]
	v_pk_fma_f32 v[56:57], v[54:55], v[42:43], v[52:53] op_sel:[0,0,1] op_sel_hi:[1,1,0] neg_lo:[0,0,1] neg_hi:[0,0,1]
	v_pk_fma_f32 v[52:53], v[54:55], v[42:43], v[52:53] op_sel:[0,0,1] op_sel_hi:[1,0,0]
	s_delay_alu instid0(VALU_DEP_1) | instskip(SKIP_4) | instid1(VALU_DEP_1)
	v_mov_b32_e32 v57, v53
	ds_load_2addr_b64 v[52:55], v46 offset0:13 offset1:14
	v_pk_add_f32 v[26:27], v[26:27], v[56:57] neg_lo:[0,1] neg_hi:[0,1]
	s_wait_dscnt 0x0
	v_pk_mul_f32 v[56:57], v[52:53], v[44:45] op_sel:[0,1]
	v_pk_fma_f32 v[58:59], v[52:53], v[42:43], v[56:57] op_sel:[0,0,1] op_sel_hi:[1,1,0] neg_lo:[0,0,1] neg_hi:[0,0,1]
	v_pk_fma_f32 v[52:53], v[52:53], v[42:43], v[56:57] op_sel:[0,0,1] op_sel_hi:[1,0,0]
	v_dual_mul_f32 v56, v55, v45 :: v_dual_mov_b32 v52, v55
	s_delay_alu instid0(VALU_DEP_2) | instskip(NEXT) | instid1(VALU_DEP_2)
	v_dual_mov_b32 v59, v53 :: v_dual_mov_b32 v53, v54
	v_pk_fma_f32 v[56:57], v[54:55], v[38:39], v[56:57] op_sel_hi:[1,1,0] neg_lo:[0,0,1] neg_hi:[0,0,1]
	v_mul_f32_e32 v54, v55, v42
	s_delay_alu instid0(VALU_DEP_3) | instskip(NEXT) | instid1(VALU_DEP_2)
	v_pk_add_f32 v[10:11], v[10:11], v[58:59] neg_lo:[0,1] neg_hi:[0,1]
	v_pk_fma_f32 v[52:53], v[52:53], v[38:39], v[54:55] op_sel_hi:[1,1,0]
	s_delay_alu instid0(VALU_DEP_1) | instskip(SKIP_4) | instid1(VALU_DEP_1)
	v_mov_b32_e32 v57, v53
	ds_load_2addr_b64 v[52:55], v46 offset0:15 offset1:16
	v_pk_add_f32 v[24:25], v[24:25], v[56:57] neg_lo:[0,1] neg_hi:[0,1]
	s_wait_dscnt 0x0
	v_pk_mul_f32 v[56:57], v[52:53], v[44:45] op_sel:[0,1]
	v_pk_fma_f32 v[58:59], v[52:53], v[42:43], v[56:57] op_sel:[0,0,1] op_sel_hi:[1,1,0] neg_lo:[0,0,1] neg_hi:[0,0,1]
	v_pk_fma_f32 v[52:53], v[52:53], v[42:43], v[56:57] op_sel:[0,0,1] op_sel_hi:[1,0,0]
	s_delay_alu instid0(VALU_DEP_1) | instskip(SKIP_1) | instid1(VALU_DEP_1)
	v_mov_b32_e32 v59, v53
	v_pk_mul_f32 v[52:53], v[54:55], v[44:45] op_sel:[0,1]
	v_pk_fma_f32 v[56:57], v[54:55], v[42:43], v[52:53] op_sel:[0,0,1] op_sel_hi:[1,1,0] neg_lo:[0,0,1] neg_hi:[0,0,1]
	v_pk_fma_f32 v[52:53], v[54:55], v[42:43], v[52:53] op_sel:[0,0,1] op_sel_hi:[1,0,0]
	s_delay_alu instid0(VALU_DEP_1)
	v_mov_b32_e32 v57, v53
	ds_load_b64 v[52:53], v46 offset:136
	v_pk_add_f32 v[20:21], v[20:21], v[58:59] neg_lo:[0,1] neg_hi:[0,1]
	v_pk_add_f32 v[18:19], v[18:19], v[56:57] neg_lo:[0,1] neg_hi:[0,1]
	s_wait_dscnt 0x0
	v_pk_mul_f32 v[44:45], v[52:53], v[44:45] op_sel:[0,1]
	s_delay_alu instid0(VALU_DEP_1) | instskip(SKIP_1) | instid1(VALU_DEP_1)
	v_pk_fma_f32 v[54:55], v[52:53], v[42:43], v[44:45] op_sel:[0,0,1] op_sel_hi:[1,1,0] neg_lo:[0,0,1] neg_hi:[0,0,1]
	v_pk_fma_f32 v[42:43], v[52:53], v[42:43], v[44:45] op_sel:[0,0,1] op_sel_hi:[1,0,0]
	v_mov_b32_e32 v55, v43
	s_delay_alu instid0(VALU_DEP_1)
	v_pk_add_f32 v[40:41], v[40:41], v[54:55] neg_lo:[0,1] neg_hi:[0,1]
.LBB34_22:
	s_or_b32 exec_lo, exec_lo, s0
	v_lshl_add_u32 v42, v50, 3, v46
	s_barrier_signal -1
	s_barrier_wait -1
	ds_store_b64 v42, v[34:35]
	s_wait_dscnt 0x0
	s_barrier_signal -1
	s_barrier_wait -1
	ds_load_b64 v[42:43], v46 offset:8
	v_mov_b32_e32 v44, 1
	s_cmp_lt_i32 s14, 3
	s_cbranch_scc1 .LBB34_25
; %bb.23:
	v_add3_u32 v45, v47, 0, 16
	v_mov_b32_e32 v44, 1
	s_mov_b32 s0, 2
.LBB34_24:                              ; =>This Inner Loop Header: Depth=1
	ds_load_b64 v[52:53], v45
	s_wait_dscnt 0x1
	v_cmp_gt_f32_e32 vcc_lo, 0, v42
	v_cndmask_b32_e64 v54, v42, -v42, vcc_lo
	v_cmp_gt_f32_e32 vcc_lo, 0, v43
	v_cndmask_b32_e64 v56, v43, -v43, vcc_lo
	s_wait_dscnt 0x0
	v_cmp_gt_f32_e32 vcc_lo, 0, v52
	v_cndmask_b32_e64 v55, v52, -v52, vcc_lo
	v_cmp_gt_f32_e32 vcc_lo, 0, v53
	v_cndmask_b32_e64 v57, v53, -v53, vcc_lo
	s_delay_alu instid0(VALU_DEP_1) | instskip(NEXT) | instid1(VALU_DEP_1)
	v_pk_add_f32 v[54:55], v[54:55], v[56:57]
	v_cmp_lt_f32_e32 vcc_lo, v54, v55
	v_dual_cndmask_b32 v42, v42, v52 :: v_dual_add_nc_u32 v45, 8, v45
	v_cndmask_b32_e32 v43, v43, v53, vcc_lo
	v_cndmask_b32_e64 v44, v44, s0, vcc_lo
	s_add_co_i32 s0, s0, 1
	s_delay_alu instid0(SALU_CYCLE_1)
	s_cmp_lg_u32 s14, s0
	s_cbranch_scc1 .LBB34_24
.LBB34_25:
	s_wait_dscnt 0x0
	v_cmp_neq_f32_e32 vcc_lo, 0, v42
	v_cmp_neq_f32_e64 s0, 0, v43
	s_or_b32 s1, vcc_lo, s0
	s_delay_alu instid0(SALU_CYCLE_1)
	s_and_saveexec_b32 s0, s1
	s_cbranch_execz .LBB34_31
; %bb.26:
	v_cmp_ngt_f32_e64 s1, |v42|, |v43|
	s_and_saveexec_b32 s15, s1
	s_delay_alu instid0(SALU_CYCLE_1)
	s_xor_b32 s1, exec_lo, s15
	s_cbranch_execz .LBB34_28
; %bb.27:
	v_div_scale_f32 v45, null, v43, v43, v42
	v_div_scale_f32 v53, vcc_lo, v42, v43, v42
	s_delay_alu instid0(VALU_DEP_2) | instskip(SKIP_1) | instid1(TRANS32_DEP_1)
	v_rcp_f32_e32 v49, v45
	v_nop
	v_fma_f32 v52, -v45, v49, 1.0
	s_delay_alu instid0(VALU_DEP_1) | instskip(NEXT) | instid1(VALU_DEP_1)
	v_fmac_f32_e32 v49, v52, v49
	v_mul_f32_e32 v52, v53, v49
	s_delay_alu instid0(VALU_DEP_1) | instskip(NEXT) | instid1(VALU_DEP_1)
	v_fma_f32 v54, -v45, v52, v53
	v_fmac_f32_e32 v52, v54, v49
	s_delay_alu instid0(VALU_DEP_1) | instskip(NEXT) | instid1(VALU_DEP_1)
	v_fma_f32 v45, -v45, v52, v53
	v_div_fmas_f32 v45, v45, v49, v52
	s_delay_alu instid0(VALU_DEP_1) | instskip(NEXT) | instid1(VALU_DEP_1)
	v_div_fixup_f32 v45, v45, v43, v42
	v_fmac_f32_e32 v43, v42, v45
	s_delay_alu instid0(VALU_DEP_1) | instskip(SKIP_1) | instid1(VALU_DEP_2)
	v_div_scale_f32 v42, null, v43, v43, 1.0
	v_div_scale_f32 v53, vcc_lo, 1.0, v43, 1.0
	v_rcp_f32_e32 v49, v42
	v_nop
	s_delay_alu instid0(TRANS32_DEP_1) | instskip(NEXT) | instid1(VALU_DEP_1)
	v_fma_f32 v52, -v42, v49, 1.0
	v_fmac_f32_e32 v49, v52, v49
	s_delay_alu instid0(VALU_DEP_1) | instskip(NEXT) | instid1(VALU_DEP_1)
	v_mul_f32_e32 v52, v53, v49
	v_fma_f32 v54, -v42, v52, v53
	s_delay_alu instid0(VALU_DEP_1) | instskip(NEXT) | instid1(VALU_DEP_1)
	v_fmac_f32_e32 v52, v54, v49
	v_fma_f32 v42, -v42, v52, v53
	s_delay_alu instid0(VALU_DEP_1) | instskip(NEXT) | instid1(VALU_DEP_1)
	v_div_fmas_f32 v42, v42, v49, v52
	v_div_fixup_f32 v43, v42, v43, 1.0
	s_delay_alu instid0(VALU_DEP_1)
	v_mul_f32_e32 v42, v45, v43
	v_xor_b32_e32 v43, 0x80000000, v43
.LBB34_28:
	s_and_not1_saveexec_b32 s1, s1
	s_cbranch_execz .LBB34_30
; %bb.29:
	s_delay_alu instid0(VALU_DEP_1) | instskip(SKIP_1) | instid1(VALU_DEP_2)
	v_div_scale_f32 v45, null, v42, v42, v43
	v_div_scale_f32 v53, vcc_lo, v43, v42, v43
	v_rcp_f32_e32 v49, v45
	v_nop
	s_delay_alu instid0(TRANS32_DEP_1) | instskip(NEXT) | instid1(VALU_DEP_1)
	v_fma_f32 v52, -v45, v49, 1.0
	v_fmac_f32_e32 v49, v52, v49
	s_delay_alu instid0(VALU_DEP_1) | instskip(NEXT) | instid1(VALU_DEP_1)
	v_mul_f32_e32 v52, v53, v49
	v_fma_f32 v54, -v45, v52, v53
	s_delay_alu instid0(VALU_DEP_1) | instskip(NEXT) | instid1(VALU_DEP_1)
	v_fmac_f32_e32 v52, v54, v49
	v_fma_f32 v45, -v45, v52, v53
	s_delay_alu instid0(VALU_DEP_1) | instskip(NEXT) | instid1(VALU_DEP_1)
	v_div_fmas_f32 v45, v45, v49, v52
	v_div_fixup_f32 v45, v45, v42, v43
	s_delay_alu instid0(VALU_DEP_1) | instskip(NEXT) | instid1(VALU_DEP_1)
	v_fmac_f32_e32 v42, v43, v45
	v_div_scale_f32 v43, null, v42, v42, 1.0
	s_delay_alu instid0(VALU_DEP_1) | instskip(SKIP_1) | instid1(TRANS32_DEP_1)
	v_rcp_f32_e32 v49, v43
	v_nop
	v_fma_f32 v52, -v43, v49, 1.0
	s_delay_alu instid0(VALU_DEP_1) | instskip(SKIP_1) | instid1(VALU_DEP_1)
	v_fmac_f32_e32 v49, v52, v49
	v_div_scale_f32 v52, vcc_lo, 1.0, v42, 1.0
	v_mul_f32_e32 v53, v52, v49
	s_delay_alu instid0(VALU_DEP_1) | instskip(NEXT) | instid1(VALU_DEP_1)
	v_fma_f32 v54, -v43, v53, v52
	v_fmac_f32_e32 v53, v54, v49
	s_delay_alu instid0(VALU_DEP_1) | instskip(NEXT) | instid1(VALU_DEP_1)
	v_fma_f32 v43, -v43, v53, v52
	v_div_fmas_f32 v43, v43, v49, v53
	s_delay_alu instid0(VALU_DEP_1) | instskip(NEXT) | instid1(VALU_DEP_1)
	v_div_fixup_f32 v42, v43, v42, 1.0
	v_mul_f32_e64 v43, v45, -v42
.LBB34_30:
	s_or_b32 exec_lo, exec_lo, s1
	v_mov_b32_e32 v49, v51
.LBB34_31:
	s_or_b32 exec_lo, exec_lo, s0
	s_delay_alu instid0(SALU_CYCLE_1)
	s_mov_b32 s0, exec_lo
	v_cmpx_ne_u32_e64 v50, v44
	s_xor_b32 s0, exec_lo, s0
	s_cbranch_execz .LBB34_37
; %bb.32:
	s_mov_b32 s1, exec_lo
	v_cmpx_eq_u32_e32 1, v50
	s_cbranch_execz .LBB34_36
; %bb.33:
	v_cmp_ne_u32_e32 vcc_lo, 1, v44
	s_xor_b32 s15, s12, -1
	s_delay_alu instid0(SALU_CYCLE_1) | instskip(NEXT) | instid1(SALU_CYCLE_1)
	s_and_b32 s16, s15, vcc_lo
	s_and_saveexec_b32 s15, s16
	s_cbranch_execz .LBB34_35
; %bb.34:
	v_ashrrev_i32_e32 v45, 31, v44
	s_delay_alu instid0(VALU_DEP_1)
	v_lshl_add_u64 v[50:51], v[44:45], 2, v[30:31]
	s_clause 0x1
	global_load_b32 v45, v[50:51], off
	global_load_b32 v48, v[30:31], off offset:4
	s_wait_loadcnt 0x1
	global_store_b32 v[30:31], v45, off offset:4
	s_wait_loadcnt 0x0
	global_store_b32 v[50:51], v48, off
.LBB34_35:
	s_wait_xcnt 0x0
	s_or_b32 exec_lo, exec_lo, s15
	v_dual_mov_b32 v50, v44 :: v_dual_mov_b32 v48, v44
.LBB34_36:
	s_or_b32 exec_lo, exec_lo, s1
.LBB34_37:
	s_and_not1_saveexec_b32 s0, s0
	s_cbranch_execz .LBB34_39
; %bb.38:
	v_dual_mov_b32 v44, v36 :: v_dual_mov_b32 v45, v37
	v_dual_mov_b32 v50, v32 :: v_dual_mov_b32 v51, v33
	;; [unrolled: 1-line block ×8, first 2 shown]
	ds_store_2addr_b64 v46, v[44:45], v[50:51] offset0:2 offset1:3
	ds_store_2addr_b64 v46, v[52:53], v[54:55] offset0:4 offset1:5
	;; [unrolled: 1-line block ×4, first 2 shown]
	v_dual_mov_b32 v44, v16 :: v_dual_mov_b32 v45, v17
	v_dual_mov_b32 v52, v12 :: v_dual_mov_b32 v53, v13
	;; [unrolled: 1-line block ×7, first 2 shown]
	v_mov_b32_e32 v63, v19
	ds_store_2addr_b64 v46, v[44:45], v[52:53] offset0:10 offset1:11
	ds_store_2addr_b64 v46, v[54:55], v[56:57] offset0:12 offset1:13
	;; [unrolled: 1-line block ×4, first 2 shown]
.LBB34_39:
	s_or_b32 exec_lo, exec_lo, s0
	s_delay_alu instid0(SALU_CYCLE_1)
	s_mov_b32 s0, exec_lo
	s_wait_storecnt_dscnt 0x0
	s_barrier_signal -1
	s_barrier_wait -1
	v_cmpx_lt_i32_e32 1, v50
	s_cbranch_execz .LBB34_41
; %bb.40:
	v_pk_mul_f32 v[52:53], v[42:43], v[34:35] op_sel:[1,1] op_sel_hi:[0,1]
	s_delay_alu instid0(VALU_DEP_1)
	v_pk_fma_f32 v[44:45], v[42:43], v[34:35], v[52:53] op_sel_hi:[1,0,1] neg_lo:[0,0,1] neg_hi:[0,0,1]
	v_pk_fma_f32 v[42:43], v[42:43], v[34:35], v[52:53] op_sel_hi:[1,0,1]
	ds_load_2addr_b64 v[52:55], v46 offset0:2 offset1:3
	v_dual_mov_b32 v34, v44 :: v_dual_mov_b32 v35, v43
	s_wait_dscnt 0x0
	v_pk_mul_f32 v[56:57], v[52:53], v[42:43] op_sel:[0,1]
	s_delay_alu instid0(VALU_DEP_1) | instskip(SKIP_1) | instid1(VALU_DEP_1)
	v_pk_fma_f32 v[58:59], v[52:53], v[44:45], v[56:57] op_sel:[0,0,1] op_sel_hi:[1,1,0] neg_lo:[0,0,1] neg_hi:[0,0,1]
	v_pk_fma_f32 v[52:53], v[52:53], v[44:45], v[56:57] op_sel:[0,0,1] op_sel_hi:[1,0,0]
	v_mov_b32_e32 v59, v53
	v_pk_mul_f32 v[52:53], v[54:55], v[42:43] op_sel:[0,1]
	s_delay_alu instid0(VALU_DEP_1) | instskip(SKIP_1) | instid1(VALU_DEP_1)
	v_pk_fma_f32 v[56:57], v[54:55], v[44:45], v[52:53] op_sel:[0,0,1] op_sel_hi:[1,1,0] neg_lo:[0,0,1] neg_hi:[0,0,1]
	v_pk_fma_f32 v[52:53], v[54:55], v[44:45], v[52:53] op_sel:[0,0,1] op_sel_hi:[1,0,0]
	v_mov_b32_e32 v57, v53
	ds_load_2addr_b64 v[52:55], v46 offset0:4 offset1:5
	v_pk_add_f32 v[36:37], v[36:37], v[58:59] neg_lo:[0,1] neg_hi:[0,1]
	v_pk_add_f32 v[32:33], v[32:33], v[56:57] neg_lo:[0,1] neg_hi:[0,1]
	s_wait_dscnt 0x0
	v_pk_mul_f32 v[56:57], v[52:53], v[42:43] op_sel:[0,1]
	s_delay_alu instid0(VALU_DEP_1) | instskip(SKIP_2) | instid1(VALU_DEP_2)
	v_pk_fma_f32 v[58:59], v[52:53], v[44:45], v[56:57] op_sel:[0,0,1] op_sel_hi:[1,1,0] neg_lo:[0,0,1] neg_hi:[0,0,1]
	v_pk_fma_f32 v[52:53], v[52:53], v[44:45], v[56:57] op_sel:[0,0,1] op_sel_hi:[1,0,0]
	v_dual_mul_f32 v56, v55, v43 :: v_dual_mov_b32 v52, v55
	v_dual_mov_b32 v59, v53 :: v_dual_mov_b32 v53, v54
	s_delay_alu instid0(VALU_DEP_2) | instskip(SKIP_1) | instid1(VALU_DEP_3)
	v_pk_fma_f32 v[56:57], v[54:55], v[34:35], v[56:57] op_sel_hi:[1,1,0] neg_lo:[0,0,1] neg_hi:[0,0,1]
	v_mul_f32_e32 v54, v55, v44
	v_pk_add_f32 v[22:23], v[22:23], v[58:59] neg_lo:[0,1] neg_hi:[0,1]
	s_delay_alu instid0(VALU_DEP_2) | instskip(NEXT) | instid1(VALU_DEP_1)
	v_pk_fma_f32 v[52:53], v[52:53], v[34:35], v[54:55] op_sel_hi:[1,1,0]
	v_mov_b32_e32 v57, v53
	ds_load_2addr_b64 v[52:55], v46 offset0:6 offset1:7
	v_pk_add_f32 v[6:7], v[6:7], v[56:57] neg_lo:[0,1] neg_hi:[0,1]
	s_wait_dscnt 0x0
	v_pk_mul_f32 v[56:57], v[52:53], v[42:43] op_sel:[0,1]
	s_delay_alu instid0(VALU_DEP_1) | instskip(SKIP_1) | instid1(VALU_DEP_1)
	v_pk_fma_f32 v[58:59], v[52:53], v[44:45], v[56:57] op_sel:[0,0,1] op_sel_hi:[1,1,0] neg_lo:[0,0,1] neg_hi:[0,0,1]
	v_pk_fma_f32 v[52:53], v[52:53], v[44:45], v[56:57] op_sel:[0,0,1] op_sel_hi:[1,0,0]
	v_mov_b32_e32 v59, v53
	v_pk_mul_f32 v[52:53], v[54:55], v[42:43] op_sel:[0,1]
	s_delay_alu instid0(VALU_DEP_1) | instskip(SKIP_1) | instid1(VALU_DEP_1)
	v_pk_fma_f32 v[56:57], v[54:55], v[44:45], v[52:53] op_sel:[0,0,1] op_sel_hi:[1,1,0] neg_lo:[0,0,1] neg_hi:[0,0,1]
	v_pk_fma_f32 v[52:53], v[54:55], v[44:45], v[52:53] op_sel:[0,0,1] op_sel_hi:[1,0,0]
	v_mov_b32_e32 v57, v53
	ds_load_2addr_b64 v[52:55], v46 offset0:8 offset1:9
	v_pk_add_f32 v[8:9], v[8:9], v[58:59] neg_lo:[0,1] neg_hi:[0,1]
	v_pk_add_f32 v[4:5], v[4:5], v[56:57] neg_lo:[0,1] neg_hi:[0,1]
	s_wait_dscnt 0x0
	v_pk_mul_f32 v[56:57], v[52:53], v[42:43] op_sel:[0,1]
	s_delay_alu instid0(VALU_DEP_1) | instskip(SKIP_1) | instid1(VALU_DEP_1)
	v_pk_fma_f32 v[58:59], v[52:53], v[44:45], v[56:57] op_sel:[0,0,1] op_sel_hi:[1,1,0] neg_lo:[0,0,1] neg_hi:[0,0,1]
	v_pk_fma_f32 v[52:53], v[52:53], v[44:45], v[56:57] op_sel:[0,0,1] op_sel_hi:[1,0,0]
	v_mov_b32_e32 v59, v53
	v_pk_mul_f32 v[52:53], v[54:55], v[42:43] op_sel:[0,1]
	s_delay_alu instid0(VALU_DEP_1) | instskip(SKIP_1) | instid1(VALU_DEP_1)
	v_pk_fma_f32 v[56:57], v[54:55], v[44:45], v[52:53] op_sel:[0,0,1] op_sel_hi:[1,1,0] neg_lo:[0,0,1] neg_hi:[0,0,1]
	v_pk_fma_f32 v[52:53], v[54:55], v[44:45], v[52:53] op_sel:[0,0,1] op_sel_hi:[1,0,0]
	v_mov_b32_e32 v57, v53
	ds_load_2addr_b64 v[52:55], v46 offset0:10 offset1:11
	v_pk_add_f32 v[28:29], v[28:29], v[58:59] neg_lo:[0,1] neg_hi:[0,1]
	v_pk_add_f32 v[14:15], v[14:15], v[56:57] neg_lo:[0,1] neg_hi:[0,1]
	s_wait_dscnt 0x0
	v_dual_mul_f32 v56, v53, v43 :: v_dual_mul_f32 v58, v53, v44
	s_delay_alu instid0(VALU_DEP_1) | instskip(NEXT) | instid1(VALU_DEP_2)
	v_pk_fma_f32 v[56:57], v[52:53], v[34:35], v[56:57] op_sel_hi:[1,1,0] neg_lo:[0,0,1] neg_hi:[0,0,1]
	v_pk_fma_f32 v[52:53], v[52:53], v[34:35], v[58:59] op_sel:[1,0,0] op_sel_hi:[0,1,0]
	s_delay_alu instid0(VALU_DEP_1) | instskip(SKIP_1) | instid1(VALU_DEP_2)
	v_mov_b32_e32 v57, v53
	v_pk_mul_f32 v[52:53], v[54:55], v[42:43] op_sel:[0,1]
	v_pk_add_f32 v[16:17], v[16:17], v[56:57] neg_lo:[0,1] neg_hi:[0,1]
	s_delay_alu instid0(VALU_DEP_2) | instskip(SKIP_1) | instid1(VALU_DEP_1)
	v_pk_fma_f32 v[56:57], v[54:55], v[44:45], v[52:53] op_sel:[0,0,1] op_sel_hi:[1,1,0] neg_lo:[0,0,1] neg_hi:[0,0,1]
	v_pk_fma_f32 v[52:53], v[54:55], v[44:45], v[52:53] op_sel:[0,0,1] op_sel_hi:[1,0,0]
	v_mov_b32_e32 v57, v53
	ds_load_2addr_b64 v[52:55], v46 offset0:12 offset1:13
	v_pk_add_f32 v[12:13], v[12:13], v[56:57] neg_lo:[0,1] neg_hi:[0,1]
	s_wait_dscnt 0x0
	v_pk_mul_f32 v[56:57], v[52:53], v[42:43] op_sel:[0,1]
	s_delay_alu instid0(VALU_DEP_1) | instskip(SKIP_1) | instid1(VALU_DEP_1)
	v_pk_fma_f32 v[58:59], v[52:53], v[44:45], v[56:57] op_sel:[0,0,1] op_sel_hi:[1,1,0] neg_lo:[0,0,1] neg_hi:[0,0,1]
	v_pk_fma_f32 v[52:53], v[52:53], v[44:45], v[56:57] op_sel:[0,0,1] op_sel_hi:[1,0,0]
	v_mov_b32_e32 v59, v53
	v_pk_mul_f32 v[52:53], v[54:55], v[42:43] op_sel:[0,1]
	s_delay_alu instid0(VALU_DEP_2) | instskip(NEXT) | instid1(VALU_DEP_2)
	v_pk_add_f32 v[26:27], v[26:27], v[58:59] neg_lo:[0,1] neg_hi:[0,1]
	v_pk_fma_f32 v[56:57], v[54:55], v[44:45], v[52:53] op_sel:[0,0,1] op_sel_hi:[1,1,0] neg_lo:[0,0,1] neg_hi:[0,0,1]
	v_pk_fma_f32 v[52:53], v[54:55], v[44:45], v[52:53] op_sel:[0,0,1] op_sel_hi:[1,0,0]
	s_delay_alu instid0(VALU_DEP_1) | instskip(SKIP_4) | instid1(VALU_DEP_1)
	v_mov_b32_e32 v57, v53
	ds_load_2addr_b64 v[52:55], v46 offset0:14 offset1:15
	v_pk_add_f32 v[10:11], v[10:11], v[56:57] neg_lo:[0,1] neg_hi:[0,1]
	s_wait_dscnt 0x0
	v_pk_mul_f32 v[56:57], v[52:53], v[42:43] op_sel:[0,1]
	v_pk_fma_f32 v[58:59], v[52:53], v[44:45], v[56:57] op_sel:[0,0,1] op_sel_hi:[1,1,0] neg_lo:[0,0,1] neg_hi:[0,0,1]
	v_pk_fma_f32 v[52:53], v[52:53], v[44:45], v[56:57] op_sel:[0,0,1] op_sel_hi:[1,0,0]
	v_dual_mul_f32 v56, v55, v43 :: v_dual_mov_b32 v52, v55
	s_delay_alu instid0(VALU_DEP_2) | instskip(NEXT) | instid1(VALU_DEP_2)
	v_dual_mov_b32 v59, v53 :: v_dual_mov_b32 v53, v54
	v_pk_fma_f32 v[56:57], v[54:55], v[34:35], v[56:57] op_sel_hi:[1,1,0] neg_lo:[0,0,1] neg_hi:[0,0,1]
	v_mul_f32_e32 v54, v55, v44
	s_delay_alu instid0(VALU_DEP_3) | instskip(NEXT) | instid1(VALU_DEP_2)
	v_pk_add_f32 v[24:25], v[24:25], v[58:59] neg_lo:[0,1] neg_hi:[0,1]
	v_pk_fma_f32 v[52:53], v[52:53], v[34:35], v[54:55] op_sel_hi:[1,1,0]
	s_delay_alu instid0(VALU_DEP_1)
	v_mov_b32_e32 v57, v53
	ds_load_2addr_b64 v[52:55], v46 offset0:16 offset1:17
	v_pk_add_f32 v[20:21], v[20:21], v[56:57] neg_lo:[0,1] neg_hi:[0,1]
	s_wait_dscnt 0x0
	v_pk_mul_f32 v[56:57], v[52:53], v[42:43] op_sel:[0,1]
	v_pk_mul_f32 v[42:43], v[54:55], v[42:43] op_sel:[0,1]
	s_delay_alu instid0(VALU_DEP_2) | instskip(SKIP_1) | instid1(VALU_DEP_1)
	v_pk_fma_f32 v[58:59], v[52:53], v[44:45], v[56:57] op_sel:[0,0,1] op_sel_hi:[1,1,0] neg_lo:[0,0,1] neg_hi:[0,0,1]
	v_pk_fma_f32 v[52:53], v[52:53], v[44:45], v[56:57] op_sel:[0,0,1] op_sel_hi:[1,0,0]
	v_mov_b32_e32 v59, v53
	s_delay_alu instid0(VALU_DEP_4) | instskip(SKIP_1) | instid1(VALU_DEP_1)
	v_pk_fma_f32 v[52:53], v[54:55], v[44:45], v[42:43] op_sel:[0,0,1] op_sel_hi:[1,1,0] neg_lo:[0,0,1] neg_hi:[0,0,1]
	v_pk_fma_f32 v[42:43], v[54:55], v[44:45], v[42:43] op_sel:[0,0,1] op_sel_hi:[1,0,0]
	v_mov_b32_e32 v53, v43
	s_delay_alu instid0(VALU_DEP_4) | instskip(NEXT) | instid1(VALU_DEP_2)
	v_pk_add_f32 v[18:19], v[18:19], v[58:59] neg_lo:[0,1] neg_hi:[0,1]
	v_pk_add_f32 v[40:41], v[40:41], v[52:53] neg_lo:[0,1] neg_hi:[0,1]
.LBB34_41:
	s_or_b32 exec_lo, exec_lo, s0
	v_lshl_add_u32 v42, v50, 3, v46
	s_barrier_signal -1
	s_barrier_wait -1
	ds_store_b64 v42, v[36:37]
	s_wait_dscnt 0x0
	s_barrier_signal -1
	s_barrier_wait -1
	ds_load_b64 v[42:43], v46 offset:16
	v_mov_b32_e32 v44, 2
	s_cmp_lt_i32 s14, 4
	s_mov_b32 s0, 3
	s_cbranch_scc1 .LBB34_44
; %bb.42:
	v_add3_u32 v45, v47, 0, 24
	v_mov_b32_e32 v44, 2
.LBB34_43:                              ; =>This Inner Loop Header: Depth=1
	ds_load_b64 v[52:53], v45
	s_wait_dscnt 0x1
	v_cmp_gt_f32_e32 vcc_lo, 0, v42
	v_cndmask_b32_e64 v54, v42, -v42, vcc_lo
	v_cmp_gt_f32_e32 vcc_lo, 0, v43
	v_cndmask_b32_e64 v56, v43, -v43, vcc_lo
	s_wait_dscnt 0x0
	v_cmp_gt_f32_e32 vcc_lo, 0, v52
	v_cndmask_b32_e64 v55, v52, -v52, vcc_lo
	v_cmp_gt_f32_e32 vcc_lo, 0, v53
	v_cndmask_b32_e64 v57, v53, -v53, vcc_lo
	s_delay_alu instid0(VALU_DEP_1) | instskip(NEXT) | instid1(VALU_DEP_1)
	v_pk_add_f32 v[54:55], v[54:55], v[56:57]
	v_cmp_lt_f32_e32 vcc_lo, v54, v55
	v_dual_cndmask_b32 v42, v42, v52 :: v_dual_add_nc_u32 v45, 8, v45
	v_cndmask_b32_e32 v43, v43, v53, vcc_lo
	v_cndmask_b32_e64 v44, v44, s0, vcc_lo
	s_add_co_i32 s0, s0, 1
	s_delay_alu instid0(SALU_CYCLE_1)
	s_cmp_lg_u32 s14, s0
	s_cbranch_scc1 .LBB34_43
.LBB34_44:
	s_wait_dscnt 0x0
	v_cmp_eq_f32_e32 vcc_lo, 0, v42
	v_cmp_eq_f32_e64 s0, 0, v43
	s_and_b32 s0, vcc_lo, s0
	s_delay_alu instid0(SALU_CYCLE_1) | instskip(NEXT) | instid1(SALU_CYCLE_1)
	s_and_saveexec_b32 s1, s0
	s_xor_b32 s0, exec_lo, s1
; %bb.45:
	v_cmp_ne_u32_e32 vcc_lo, 0, v49
	v_cndmask_b32_e32 v49, 3, v49, vcc_lo
; %bb.46:
	s_and_not1_saveexec_b32 s0, s0
	s_cbranch_execz .LBB34_52
; %bb.47:
	v_cmp_ngt_f32_e64 s1, |v42|, |v43|
	s_and_saveexec_b32 s15, s1
	s_delay_alu instid0(SALU_CYCLE_1)
	s_xor_b32 s1, exec_lo, s15
	s_cbranch_execz .LBB34_49
; %bb.48:
	v_div_scale_f32 v45, null, v43, v43, v42
	v_div_scale_f32 v53, vcc_lo, v42, v43, v42
	s_delay_alu instid0(VALU_DEP_2) | instskip(SKIP_1) | instid1(TRANS32_DEP_1)
	v_rcp_f32_e32 v51, v45
	v_nop
	v_fma_f32 v52, -v45, v51, 1.0
	s_delay_alu instid0(VALU_DEP_1) | instskip(NEXT) | instid1(VALU_DEP_1)
	v_fmac_f32_e32 v51, v52, v51
	v_mul_f32_e32 v52, v53, v51
	s_delay_alu instid0(VALU_DEP_1) | instskip(NEXT) | instid1(VALU_DEP_1)
	v_fma_f32 v54, -v45, v52, v53
	v_fmac_f32_e32 v52, v54, v51
	s_delay_alu instid0(VALU_DEP_1) | instskip(NEXT) | instid1(VALU_DEP_1)
	v_fma_f32 v45, -v45, v52, v53
	v_div_fmas_f32 v45, v45, v51, v52
	s_delay_alu instid0(VALU_DEP_1) | instskip(NEXT) | instid1(VALU_DEP_1)
	v_div_fixup_f32 v45, v45, v43, v42
	v_fmac_f32_e32 v43, v42, v45
	s_delay_alu instid0(VALU_DEP_1) | instskip(SKIP_1) | instid1(VALU_DEP_2)
	v_div_scale_f32 v42, null, v43, v43, 1.0
	v_div_scale_f32 v53, vcc_lo, 1.0, v43, 1.0
	v_rcp_f32_e32 v51, v42
	v_nop
	s_delay_alu instid0(TRANS32_DEP_1) | instskip(NEXT) | instid1(VALU_DEP_1)
	v_fma_f32 v52, -v42, v51, 1.0
	v_fmac_f32_e32 v51, v52, v51
	s_delay_alu instid0(VALU_DEP_1) | instskip(NEXT) | instid1(VALU_DEP_1)
	v_mul_f32_e32 v52, v53, v51
	v_fma_f32 v54, -v42, v52, v53
	s_delay_alu instid0(VALU_DEP_1) | instskip(NEXT) | instid1(VALU_DEP_1)
	v_fmac_f32_e32 v52, v54, v51
	v_fma_f32 v42, -v42, v52, v53
	s_delay_alu instid0(VALU_DEP_1) | instskip(NEXT) | instid1(VALU_DEP_1)
	v_div_fmas_f32 v42, v42, v51, v52
	v_div_fixup_f32 v43, v42, v43, 1.0
	s_delay_alu instid0(VALU_DEP_1)
	v_mul_f32_e32 v42, v45, v43
	v_xor_b32_e32 v43, 0x80000000, v43
.LBB34_49:
	s_and_not1_saveexec_b32 s1, s1
	s_cbranch_execz .LBB34_51
; %bb.50:
	s_delay_alu instid0(VALU_DEP_1) | instskip(SKIP_1) | instid1(VALU_DEP_2)
	v_div_scale_f32 v45, null, v42, v42, v43
	v_div_scale_f32 v53, vcc_lo, v43, v42, v43
	v_rcp_f32_e32 v51, v45
	v_nop
	s_delay_alu instid0(TRANS32_DEP_1) | instskip(NEXT) | instid1(VALU_DEP_1)
	v_fma_f32 v52, -v45, v51, 1.0
	v_fmac_f32_e32 v51, v52, v51
	s_delay_alu instid0(VALU_DEP_1) | instskip(NEXT) | instid1(VALU_DEP_1)
	v_mul_f32_e32 v52, v53, v51
	v_fma_f32 v54, -v45, v52, v53
	s_delay_alu instid0(VALU_DEP_1) | instskip(NEXT) | instid1(VALU_DEP_1)
	v_fmac_f32_e32 v52, v54, v51
	v_fma_f32 v45, -v45, v52, v53
	s_delay_alu instid0(VALU_DEP_1) | instskip(NEXT) | instid1(VALU_DEP_1)
	v_div_fmas_f32 v45, v45, v51, v52
	v_div_fixup_f32 v45, v45, v42, v43
	s_delay_alu instid0(VALU_DEP_1) | instskip(NEXT) | instid1(VALU_DEP_1)
	v_fmac_f32_e32 v42, v43, v45
	v_div_scale_f32 v43, null, v42, v42, 1.0
	s_delay_alu instid0(VALU_DEP_1) | instskip(SKIP_1) | instid1(TRANS32_DEP_1)
	v_rcp_f32_e32 v51, v43
	v_nop
	v_fma_f32 v52, -v43, v51, 1.0
	s_delay_alu instid0(VALU_DEP_1) | instskip(SKIP_1) | instid1(VALU_DEP_1)
	v_fmac_f32_e32 v51, v52, v51
	v_div_scale_f32 v52, vcc_lo, 1.0, v42, 1.0
	v_mul_f32_e32 v53, v52, v51
	s_delay_alu instid0(VALU_DEP_1) | instskip(NEXT) | instid1(VALU_DEP_1)
	v_fma_f32 v54, -v43, v53, v52
	v_fmac_f32_e32 v53, v54, v51
	s_delay_alu instid0(VALU_DEP_1) | instskip(NEXT) | instid1(VALU_DEP_1)
	v_fma_f32 v43, -v43, v53, v52
	v_div_fmas_f32 v43, v43, v51, v53
	s_delay_alu instid0(VALU_DEP_1) | instskip(NEXT) | instid1(VALU_DEP_1)
	v_div_fixup_f32 v42, v43, v42, 1.0
	v_mul_f32_e64 v43, v45, -v42
.LBB34_51:
	s_or_b32 exec_lo, exec_lo, s1
.LBB34_52:
	s_delay_alu instid0(SALU_CYCLE_1) | instskip(NEXT) | instid1(SALU_CYCLE_1)
	s_or_b32 exec_lo, exec_lo, s0
	s_mov_b32 s0, exec_lo
	v_cmpx_ne_u32_e64 v50, v44
	s_xor_b32 s0, exec_lo, s0
	s_cbranch_execz .LBB34_58
; %bb.53:
	s_mov_b32 s1, exec_lo
	v_cmpx_eq_u32_e32 2, v50
	s_cbranch_execz .LBB34_57
; %bb.54:
	v_cmp_ne_u32_e32 vcc_lo, 2, v44
	s_xor_b32 s15, s12, -1
	s_delay_alu instid0(SALU_CYCLE_1) | instskip(NEXT) | instid1(SALU_CYCLE_1)
	s_and_b32 s16, s15, vcc_lo
	s_and_saveexec_b32 s15, s16
	s_cbranch_execz .LBB34_56
; %bb.55:
	v_ashrrev_i32_e32 v45, 31, v44
	s_delay_alu instid0(VALU_DEP_1)
	v_lshl_add_u64 v[50:51], v[44:45], 2, v[30:31]
	s_clause 0x1
	global_load_b32 v45, v[50:51], off
	global_load_b32 v48, v[30:31], off offset:8
	s_wait_loadcnt 0x1
	global_store_b32 v[30:31], v45, off offset:8
	s_wait_loadcnt 0x0
	global_store_b32 v[50:51], v48, off
.LBB34_56:
	s_wait_xcnt 0x0
	s_or_b32 exec_lo, exec_lo, s15
	v_dual_mov_b32 v50, v44 :: v_dual_mov_b32 v48, v44
.LBB34_57:
	s_or_b32 exec_lo, exec_lo, s1
.LBB34_58:
	s_and_not1_saveexec_b32 s0, s0
	s_cbranch_execz .LBB34_60
; %bb.59:
	v_mov_b32_e32 v50, 2
	ds_store_2addr_b64 v46, v[32:33], v[22:23] offset0:3 offset1:4
	ds_store_2addr_b64 v46, v[6:7], v[8:9] offset0:5 offset1:6
	;; [unrolled: 1-line block ×7, first 2 shown]
	ds_store_b64 v46, v[40:41] offset:136
.LBB34_60:
	s_or_b32 exec_lo, exec_lo, s0
	s_delay_alu instid0(SALU_CYCLE_1)
	s_mov_b32 s0, exec_lo
	s_wait_storecnt_dscnt 0x0
	s_barrier_signal -1
	s_barrier_wait -1
	v_cmpx_lt_i32_e32 2, v50
	s_cbranch_execz .LBB34_62
; %bb.61:
	v_pk_mul_f32 v[52:53], v[42:43], v[36:37] op_sel:[1,1] op_sel_hi:[0,1]
	s_delay_alu instid0(VALU_DEP_1)
	v_pk_fma_f32 v[44:45], v[42:43], v[36:37], v[52:53] op_sel_hi:[1,0,1] neg_lo:[0,0,1] neg_hi:[0,0,1]
	v_pk_fma_f32 v[42:43], v[42:43], v[36:37], v[52:53] op_sel_hi:[1,0,1]
	ds_load_2addr_b64 v[52:55], v46 offset0:3 offset1:4
	v_dual_mov_b32 v36, v44 :: v_dual_mov_b32 v37, v43
	s_wait_dscnt 0x0
	v_pk_mul_f32 v[56:57], v[52:53], v[42:43] op_sel:[0,1]
	s_delay_alu instid0(VALU_DEP_1) | instskip(SKIP_1) | instid1(VALU_DEP_1)
	v_pk_fma_f32 v[58:59], v[52:53], v[44:45], v[56:57] op_sel:[0,0,1] op_sel_hi:[1,1,0] neg_lo:[0,0,1] neg_hi:[0,0,1]
	v_pk_fma_f32 v[52:53], v[52:53], v[44:45], v[56:57] op_sel:[0,0,1] op_sel_hi:[1,0,0]
	v_mov_b32_e32 v59, v53
	v_pk_mul_f32 v[52:53], v[54:55], v[42:43] op_sel:[0,1]
	s_delay_alu instid0(VALU_DEP_1) | instskip(SKIP_1) | instid1(VALU_DEP_1)
	v_pk_fma_f32 v[56:57], v[54:55], v[44:45], v[52:53] op_sel:[0,0,1] op_sel_hi:[1,1,0] neg_lo:[0,0,1] neg_hi:[0,0,1]
	v_pk_fma_f32 v[52:53], v[54:55], v[44:45], v[52:53] op_sel:[0,0,1] op_sel_hi:[1,0,0]
	v_mov_b32_e32 v57, v53
	ds_load_2addr_b64 v[52:55], v46 offset0:5 offset1:6
	v_pk_add_f32 v[32:33], v[32:33], v[58:59] neg_lo:[0,1] neg_hi:[0,1]
	v_pk_add_f32 v[22:23], v[22:23], v[56:57] neg_lo:[0,1] neg_hi:[0,1]
	s_wait_dscnt 0x0
	v_pk_mul_f32 v[56:57], v[52:53], v[42:43] op_sel:[0,1]
	s_delay_alu instid0(VALU_DEP_1) | instskip(SKIP_2) | instid1(VALU_DEP_2)
	v_pk_fma_f32 v[58:59], v[52:53], v[44:45], v[56:57] op_sel:[0,0,1] op_sel_hi:[1,1,0] neg_lo:[0,0,1] neg_hi:[0,0,1]
	v_pk_fma_f32 v[52:53], v[52:53], v[44:45], v[56:57] op_sel:[0,0,1] op_sel_hi:[1,0,0]
	v_dual_mul_f32 v56, v55, v43 :: v_dual_mov_b32 v52, v55
	v_dual_mov_b32 v59, v53 :: v_dual_mov_b32 v53, v54
	s_delay_alu instid0(VALU_DEP_2) | instskip(SKIP_1) | instid1(VALU_DEP_3)
	v_pk_fma_f32 v[56:57], v[54:55], v[36:37], v[56:57] op_sel_hi:[1,1,0] neg_lo:[0,0,1] neg_hi:[0,0,1]
	v_mul_f32_e32 v54, v55, v44
	v_pk_add_f32 v[6:7], v[6:7], v[58:59] neg_lo:[0,1] neg_hi:[0,1]
	s_delay_alu instid0(VALU_DEP_2) | instskip(NEXT) | instid1(VALU_DEP_1)
	v_pk_fma_f32 v[52:53], v[52:53], v[36:37], v[54:55] op_sel_hi:[1,1,0]
	v_mov_b32_e32 v57, v53
	ds_load_2addr_b64 v[52:55], v46 offset0:7 offset1:8
	v_pk_add_f32 v[8:9], v[8:9], v[56:57] neg_lo:[0,1] neg_hi:[0,1]
	s_wait_dscnt 0x0
	v_pk_mul_f32 v[56:57], v[52:53], v[42:43] op_sel:[0,1]
	s_delay_alu instid0(VALU_DEP_1) | instskip(SKIP_1) | instid1(VALU_DEP_1)
	v_pk_fma_f32 v[58:59], v[52:53], v[44:45], v[56:57] op_sel:[0,0,1] op_sel_hi:[1,1,0] neg_lo:[0,0,1] neg_hi:[0,0,1]
	v_pk_fma_f32 v[52:53], v[52:53], v[44:45], v[56:57] op_sel:[0,0,1] op_sel_hi:[1,0,0]
	v_mov_b32_e32 v59, v53
	v_pk_mul_f32 v[52:53], v[54:55], v[42:43] op_sel:[0,1]
	s_delay_alu instid0(VALU_DEP_1) | instskip(SKIP_1) | instid1(VALU_DEP_1)
	v_pk_fma_f32 v[56:57], v[54:55], v[44:45], v[52:53] op_sel:[0,0,1] op_sel_hi:[1,1,0] neg_lo:[0,0,1] neg_hi:[0,0,1]
	v_pk_fma_f32 v[52:53], v[54:55], v[44:45], v[52:53] op_sel:[0,0,1] op_sel_hi:[1,0,0]
	v_mov_b32_e32 v57, v53
	ds_load_2addr_b64 v[52:55], v46 offset0:9 offset1:10
	v_pk_add_f32 v[4:5], v[4:5], v[58:59] neg_lo:[0,1] neg_hi:[0,1]
	v_pk_add_f32 v[28:29], v[28:29], v[56:57] neg_lo:[0,1] neg_hi:[0,1]
	s_wait_dscnt 0x0
	v_pk_mul_f32 v[56:57], v[52:53], v[42:43] op_sel:[0,1]
	s_delay_alu instid0(VALU_DEP_1) | instskip(SKIP_1) | instid1(VALU_DEP_1)
	v_pk_fma_f32 v[58:59], v[52:53], v[44:45], v[56:57] op_sel:[0,0,1] op_sel_hi:[1,1,0] neg_lo:[0,0,1] neg_hi:[0,0,1]
	v_pk_fma_f32 v[52:53], v[52:53], v[44:45], v[56:57] op_sel:[0,0,1] op_sel_hi:[1,0,0]
	v_mov_b32_e32 v59, v53
	v_pk_mul_f32 v[52:53], v[54:55], v[42:43] op_sel:[0,1]
	s_delay_alu instid0(VALU_DEP_1) | instskip(SKIP_1) | instid1(VALU_DEP_1)
	v_pk_fma_f32 v[56:57], v[54:55], v[44:45], v[52:53] op_sel:[0,0,1] op_sel_hi:[1,1,0] neg_lo:[0,0,1] neg_hi:[0,0,1]
	v_pk_fma_f32 v[52:53], v[54:55], v[44:45], v[52:53] op_sel:[0,0,1] op_sel_hi:[1,0,0]
	v_mov_b32_e32 v57, v53
	ds_load_2addr_b64 v[52:55], v46 offset0:11 offset1:12
	v_pk_add_f32 v[14:15], v[14:15], v[58:59] neg_lo:[0,1] neg_hi:[0,1]
	v_pk_add_f32 v[16:17], v[16:17], v[56:57] neg_lo:[0,1] neg_hi:[0,1]
	s_wait_dscnt 0x0
	v_dual_mul_f32 v56, v53, v43 :: v_dual_mul_f32 v58, v53, v44
	s_delay_alu instid0(VALU_DEP_1) | instskip(NEXT) | instid1(VALU_DEP_2)
	v_pk_fma_f32 v[56:57], v[52:53], v[36:37], v[56:57] op_sel_hi:[1,1,0] neg_lo:[0,0,1] neg_hi:[0,0,1]
	v_pk_fma_f32 v[52:53], v[52:53], v[36:37], v[58:59] op_sel:[1,0,0] op_sel_hi:[0,1,0]
	s_delay_alu instid0(VALU_DEP_1) | instskip(SKIP_1) | instid1(VALU_DEP_2)
	v_mov_b32_e32 v57, v53
	v_pk_mul_f32 v[52:53], v[54:55], v[42:43] op_sel:[0,1]
	v_pk_add_f32 v[12:13], v[12:13], v[56:57] neg_lo:[0,1] neg_hi:[0,1]
	s_delay_alu instid0(VALU_DEP_2) | instskip(SKIP_1) | instid1(VALU_DEP_1)
	v_pk_fma_f32 v[56:57], v[54:55], v[44:45], v[52:53] op_sel:[0,0,1] op_sel_hi:[1,1,0] neg_lo:[0,0,1] neg_hi:[0,0,1]
	v_pk_fma_f32 v[52:53], v[54:55], v[44:45], v[52:53] op_sel:[0,0,1] op_sel_hi:[1,0,0]
	v_mov_b32_e32 v57, v53
	ds_load_2addr_b64 v[52:55], v46 offset0:13 offset1:14
	v_pk_add_f32 v[26:27], v[26:27], v[56:57] neg_lo:[0,1] neg_hi:[0,1]
	s_wait_dscnt 0x0
	v_pk_mul_f32 v[56:57], v[52:53], v[42:43] op_sel:[0,1]
	s_delay_alu instid0(VALU_DEP_1) | instskip(SKIP_1) | instid1(VALU_DEP_1)
	v_pk_fma_f32 v[58:59], v[52:53], v[44:45], v[56:57] op_sel:[0,0,1] op_sel_hi:[1,1,0] neg_lo:[0,0,1] neg_hi:[0,0,1]
	v_pk_fma_f32 v[52:53], v[52:53], v[44:45], v[56:57] op_sel:[0,0,1] op_sel_hi:[1,0,0]
	v_mov_b32_e32 v59, v53
	v_pk_mul_f32 v[52:53], v[54:55], v[42:43] op_sel:[0,1]
	s_delay_alu instid0(VALU_DEP_2) | instskip(NEXT) | instid1(VALU_DEP_2)
	v_pk_add_f32 v[10:11], v[10:11], v[58:59] neg_lo:[0,1] neg_hi:[0,1]
	v_pk_fma_f32 v[56:57], v[54:55], v[44:45], v[52:53] op_sel:[0,0,1] op_sel_hi:[1,1,0] neg_lo:[0,0,1] neg_hi:[0,0,1]
	v_pk_fma_f32 v[52:53], v[54:55], v[44:45], v[52:53] op_sel:[0,0,1] op_sel_hi:[1,0,0]
	s_delay_alu instid0(VALU_DEP_1) | instskip(SKIP_4) | instid1(VALU_DEP_1)
	v_mov_b32_e32 v57, v53
	ds_load_2addr_b64 v[52:55], v46 offset0:15 offset1:16
	v_pk_add_f32 v[24:25], v[24:25], v[56:57] neg_lo:[0,1] neg_hi:[0,1]
	s_wait_dscnt 0x0
	v_pk_mul_f32 v[56:57], v[52:53], v[42:43] op_sel:[0,1]
	v_pk_fma_f32 v[58:59], v[52:53], v[44:45], v[56:57] op_sel:[0,0,1] op_sel_hi:[1,1,0] neg_lo:[0,0,1] neg_hi:[0,0,1]
	v_pk_fma_f32 v[52:53], v[52:53], v[44:45], v[56:57] op_sel:[0,0,1] op_sel_hi:[1,0,0]
	v_dual_mul_f32 v56, v55, v43 :: v_dual_mov_b32 v52, v55
	s_delay_alu instid0(VALU_DEP_2) | instskip(NEXT) | instid1(VALU_DEP_2)
	v_dual_mov_b32 v59, v53 :: v_dual_mov_b32 v53, v54
	v_pk_fma_f32 v[56:57], v[54:55], v[36:37], v[56:57] op_sel_hi:[1,1,0] neg_lo:[0,0,1] neg_hi:[0,0,1]
	v_mul_f32_e32 v54, v55, v44
	s_delay_alu instid0(VALU_DEP_3) | instskip(NEXT) | instid1(VALU_DEP_2)
	v_pk_add_f32 v[20:21], v[20:21], v[58:59] neg_lo:[0,1] neg_hi:[0,1]
	v_pk_fma_f32 v[52:53], v[52:53], v[36:37], v[54:55] op_sel_hi:[1,1,0]
	s_delay_alu instid0(VALU_DEP_1) | instskip(SKIP_4) | instid1(VALU_DEP_1)
	v_mov_b32_e32 v57, v53
	ds_load_b64 v[52:53], v46 offset:136
	v_pk_add_f32 v[18:19], v[18:19], v[56:57] neg_lo:[0,1] neg_hi:[0,1]
	s_wait_dscnt 0x0
	v_pk_mul_f32 v[42:43], v[52:53], v[42:43] op_sel:[0,1]
	v_pk_fma_f32 v[54:55], v[52:53], v[44:45], v[42:43] op_sel:[0,0,1] op_sel_hi:[1,1,0] neg_lo:[0,0,1] neg_hi:[0,0,1]
	v_pk_fma_f32 v[42:43], v[52:53], v[44:45], v[42:43] op_sel:[0,0,1] op_sel_hi:[1,0,0]
	s_delay_alu instid0(VALU_DEP_1) | instskip(NEXT) | instid1(VALU_DEP_1)
	v_mov_b32_e32 v55, v43
	v_pk_add_f32 v[40:41], v[40:41], v[54:55] neg_lo:[0,1] neg_hi:[0,1]
.LBB34_62:
	s_or_b32 exec_lo, exec_lo, s0
	v_lshl_add_u32 v42, v50, 3, v46
	s_barrier_signal -1
	s_barrier_wait -1
	ds_store_b64 v42, v[32:33]
	s_wait_dscnt 0x0
	s_barrier_signal -1
	s_barrier_wait -1
	ds_load_b64 v[42:43], v46 offset:24
	v_mov_b32_e32 v44, 3
	s_cmp_lt_i32 s14, 5
	s_cbranch_scc1 .LBB34_65
; %bb.63:
	v_mov_b32_e32 v44, 3
	v_add3_u32 v45, v47, 0, 32
	s_mov_b32 s0, 4
.LBB34_64:                              ; =>This Inner Loop Header: Depth=1
	ds_load_b64 v[52:53], v45
	s_wait_dscnt 0x1
	v_cmp_gt_f32_e32 vcc_lo, 0, v42
	v_cndmask_b32_e64 v54, v42, -v42, vcc_lo
	v_cmp_gt_f32_e32 vcc_lo, 0, v43
	v_cndmask_b32_e64 v56, v43, -v43, vcc_lo
	s_wait_dscnt 0x0
	v_cmp_gt_f32_e32 vcc_lo, 0, v52
	v_cndmask_b32_e64 v55, v52, -v52, vcc_lo
	v_cmp_gt_f32_e32 vcc_lo, 0, v53
	v_cndmask_b32_e64 v57, v53, -v53, vcc_lo
	s_delay_alu instid0(VALU_DEP_1) | instskip(NEXT) | instid1(VALU_DEP_1)
	v_pk_add_f32 v[54:55], v[54:55], v[56:57]
	v_cmp_lt_f32_e32 vcc_lo, v54, v55
	v_dual_cndmask_b32 v42, v42, v52 :: v_dual_add_nc_u32 v45, 8, v45
	v_cndmask_b32_e32 v43, v43, v53, vcc_lo
	v_cndmask_b32_e64 v44, v44, s0, vcc_lo
	s_add_co_i32 s0, s0, 1
	s_delay_alu instid0(SALU_CYCLE_1)
	s_cmp_lg_u32 s14, s0
	s_cbranch_scc1 .LBB34_64
.LBB34_65:
	s_wait_dscnt 0x0
	v_cmp_eq_f32_e32 vcc_lo, 0, v42
	v_cmp_eq_f32_e64 s0, 0, v43
	s_and_b32 s0, vcc_lo, s0
	s_delay_alu instid0(SALU_CYCLE_1) | instskip(NEXT) | instid1(SALU_CYCLE_1)
	s_and_saveexec_b32 s1, s0
	s_xor_b32 s0, exec_lo, s1
; %bb.66:
	v_cmp_ne_u32_e32 vcc_lo, 0, v49
	v_cndmask_b32_e32 v49, 4, v49, vcc_lo
; %bb.67:
	s_and_not1_saveexec_b32 s0, s0
	s_cbranch_execz .LBB34_73
; %bb.68:
	v_cmp_ngt_f32_e64 s1, |v42|, |v43|
	s_and_saveexec_b32 s15, s1
	s_delay_alu instid0(SALU_CYCLE_1)
	s_xor_b32 s1, exec_lo, s15
	s_cbranch_execz .LBB34_70
; %bb.69:
	v_div_scale_f32 v45, null, v43, v43, v42
	v_div_scale_f32 v53, vcc_lo, v42, v43, v42
	s_delay_alu instid0(VALU_DEP_2) | instskip(SKIP_1) | instid1(TRANS32_DEP_1)
	v_rcp_f32_e32 v51, v45
	v_nop
	v_fma_f32 v52, -v45, v51, 1.0
	s_delay_alu instid0(VALU_DEP_1) | instskip(NEXT) | instid1(VALU_DEP_1)
	v_fmac_f32_e32 v51, v52, v51
	v_mul_f32_e32 v52, v53, v51
	s_delay_alu instid0(VALU_DEP_1) | instskip(NEXT) | instid1(VALU_DEP_1)
	v_fma_f32 v54, -v45, v52, v53
	v_fmac_f32_e32 v52, v54, v51
	s_delay_alu instid0(VALU_DEP_1) | instskip(NEXT) | instid1(VALU_DEP_1)
	v_fma_f32 v45, -v45, v52, v53
	v_div_fmas_f32 v45, v45, v51, v52
	s_delay_alu instid0(VALU_DEP_1) | instskip(NEXT) | instid1(VALU_DEP_1)
	v_div_fixup_f32 v45, v45, v43, v42
	v_fmac_f32_e32 v43, v42, v45
	s_delay_alu instid0(VALU_DEP_1) | instskip(SKIP_1) | instid1(VALU_DEP_2)
	v_div_scale_f32 v42, null, v43, v43, 1.0
	v_div_scale_f32 v53, vcc_lo, 1.0, v43, 1.0
	v_rcp_f32_e32 v51, v42
	v_nop
	s_delay_alu instid0(TRANS32_DEP_1) | instskip(NEXT) | instid1(VALU_DEP_1)
	v_fma_f32 v52, -v42, v51, 1.0
	v_fmac_f32_e32 v51, v52, v51
	s_delay_alu instid0(VALU_DEP_1) | instskip(NEXT) | instid1(VALU_DEP_1)
	v_mul_f32_e32 v52, v53, v51
	v_fma_f32 v54, -v42, v52, v53
	s_delay_alu instid0(VALU_DEP_1) | instskip(NEXT) | instid1(VALU_DEP_1)
	v_fmac_f32_e32 v52, v54, v51
	v_fma_f32 v42, -v42, v52, v53
	s_delay_alu instid0(VALU_DEP_1) | instskip(NEXT) | instid1(VALU_DEP_1)
	v_div_fmas_f32 v42, v42, v51, v52
	v_div_fixup_f32 v43, v42, v43, 1.0
	s_delay_alu instid0(VALU_DEP_1)
	v_mul_f32_e32 v42, v45, v43
	v_xor_b32_e32 v43, 0x80000000, v43
.LBB34_70:
	s_and_not1_saveexec_b32 s1, s1
	s_cbranch_execz .LBB34_72
; %bb.71:
	s_delay_alu instid0(VALU_DEP_1) | instskip(SKIP_1) | instid1(VALU_DEP_2)
	v_div_scale_f32 v45, null, v42, v42, v43
	v_div_scale_f32 v53, vcc_lo, v43, v42, v43
	v_rcp_f32_e32 v51, v45
	v_nop
	s_delay_alu instid0(TRANS32_DEP_1) | instskip(NEXT) | instid1(VALU_DEP_1)
	v_fma_f32 v52, -v45, v51, 1.0
	v_fmac_f32_e32 v51, v52, v51
	s_delay_alu instid0(VALU_DEP_1) | instskip(NEXT) | instid1(VALU_DEP_1)
	v_mul_f32_e32 v52, v53, v51
	v_fma_f32 v54, -v45, v52, v53
	s_delay_alu instid0(VALU_DEP_1) | instskip(NEXT) | instid1(VALU_DEP_1)
	v_fmac_f32_e32 v52, v54, v51
	v_fma_f32 v45, -v45, v52, v53
	s_delay_alu instid0(VALU_DEP_1) | instskip(NEXT) | instid1(VALU_DEP_1)
	v_div_fmas_f32 v45, v45, v51, v52
	v_div_fixup_f32 v45, v45, v42, v43
	s_delay_alu instid0(VALU_DEP_1) | instskip(NEXT) | instid1(VALU_DEP_1)
	v_fmac_f32_e32 v42, v43, v45
	v_div_scale_f32 v43, null, v42, v42, 1.0
	s_delay_alu instid0(VALU_DEP_1) | instskip(SKIP_1) | instid1(TRANS32_DEP_1)
	v_rcp_f32_e32 v51, v43
	v_nop
	v_fma_f32 v52, -v43, v51, 1.0
	s_delay_alu instid0(VALU_DEP_1) | instskip(SKIP_1) | instid1(VALU_DEP_1)
	v_fmac_f32_e32 v51, v52, v51
	v_div_scale_f32 v52, vcc_lo, 1.0, v42, 1.0
	v_mul_f32_e32 v53, v52, v51
	s_delay_alu instid0(VALU_DEP_1) | instskip(NEXT) | instid1(VALU_DEP_1)
	v_fma_f32 v54, -v43, v53, v52
	v_fmac_f32_e32 v53, v54, v51
	s_delay_alu instid0(VALU_DEP_1) | instskip(NEXT) | instid1(VALU_DEP_1)
	v_fma_f32 v43, -v43, v53, v52
	v_div_fmas_f32 v43, v43, v51, v53
	s_delay_alu instid0(VALU_DEP_1) | instskip(NEXT) | instid1(VALU_DEP_1)
	v_div_fixup_f32 v42, v43, v42, 1.0
	v_mul_f32_e64 v43, v45, -v42
.LBB34_72:
	s_or_b32 exec_lo, exec_lo, s1
.LBB34_73:
	s_delay_alu instid0(SALU_CYCLE_1) | instskip(NEXT) | instid1(SALU_CYCLE_1)
	s_or_b32 exec_lo, exec_lo, s0
	s_mov_b32 s0, exec_lo
	v_cmpx_ne_u32_e64 v50, v44
	s_xor_b32 s0, exec_lo, s0
	s_cbranch_execz .LBB34_79
; %bb.74:
	s_mov_b32 s1, exec_lo
	v_cmpx_eq_u32_e32 3, v50
	s_cbranch_execz .LBB34_78
; %bb.75:
	v_cmp_ne_u32_e32 vcc_lo, 3, v44
	s_xor_b32 s15, s12, -1
	s_delay_alu instid0(SALU_CYCLE_1) | instskip(NEXT) | instid1(SALU_CYCLE_1)
	s_and_b32 s16, s15, vcc_lo
	s_and_saveexec_b32 s15, s16
	s_cbranch_execz .LBB34_77
; %bb.76:
	v_ashrrev_i32_e32 v45, 31, v44
	s_delay_alu instid0(VALU_DEP_1)
	v_lshl_add_u64 v[50:51], v[44:45], 2, v[30:31]
	s_clause 0x1
	global_load_b32 v45, v[50:51], off
	global_load_b32 v48, v[30:31], off offset:12
	s_wait_loadcnt 0x1
	global_store_b32 v[30:31], v45, off offset:12
	s_wait_loadcnt 0x0
	global_store_b32 v[50:51], v48, off
.LBB34_77:
	s_wait_xcnt 0x0
	s_or_b32 exec_lo, exec_lo, s15
	v_dual_mov_b32 v50, v44 :: v_dual_mov_b32 v48, v44
.LBB34_78:
	s_or_b32 exec_lo, exec_lo, s1
.LBB34_79:
	s_and_not1_saveexec_b32 s0, s0
	s_cbranch_execz .LBB34_81
; %bb.80:
	v_dual_mov_b32 v44, v22 :: v_dual_mov_b32 v45, v23
	v_dual_mov_b32 v50, v6 :: v_dual_mov_b32 v51, v7
	ds_store_2addr_b64 v46, v[44:45], v[50:51] offset0:4 offset1:5
	v_dual_mov_b32 v44, v8 :: v_dual_mov_b32 v45, v9
	v_dual_mov_b32 v50, v4 :: v_dual_mov_b32 v51, v5
	ds_store_2addr_b64 v46, v[44:45], v[50:51] offset0:6 offset1:7
	;; [unrolled: 3-line block ×6, first 2 shown]
	v_dual_mov_b32 v44, v18 :: v_dual_mov_b32 v45, v19
	v_mov_b32_e32 v50, 3
	ds_store_2addr_b64 v46, v[44:45], v[40:41] offset0:16 offset1:17
.LBB34_81:
	s_or_b32 exec_lo, exec_lo, s0
	s_delay_alu instid0(SALU_CYCLE_1)
	s_mov_b32 s0, exec_lo
	s_wait_storecnt_dscnt 0x0
	s_barrier_signal -1
	s_barrier_wait -1
	v_cmpx_lt_i32_e32 3, v50
	s_cbranch_execz .LBB34_83
; %bb.82:
	v_pk_mul_f32 v[44:45], v[42:43], v[32:33] op_sel:[1,1] op_sel_hi:[0,1]
	s_delay_alu instid0(VALU_DEP_1)
	v_pk_fma_f32 v[52:53], v[42:43], v[32:33], v[44:45] op_sel_hi:[1,0,1] neg_lo:[0,0,1] neg_hi:[0,0,1]
	v_pk_fma_f32 v[54:55], v[42:43], v[32:33], v[44:45] op_sel_hi:[1,0,1]
	ds_load_2addr_b64 v[42:45], v46 offset0:4 offset1:5
	v_dual_mov_b32 v32, v52 :: v_dual_mov_b32 v33, v55
	s_wait_dscnt 0x0
	v_pk_mul_f32 v[56:57], v[42:43], v[54:55] op_sel:[0,1]
	s_delay_alu instid0(VALU_DEP_1) | instskip(SKIP_1) | instid1(VALU_DEP_1)
	v_pk_fma_f32 v[58:59], v[42:43], v[52:53], v[56:57] op_sel:[0,0,1] op_sel_hi:[1,1,0] neg_lo:[0,0,1] neg_hi:[0,0,1]
	v_pk_fma_f32 v[42:43], v[42:43], v[52:53], v[56:57] op_sel:[0,0,1] op_sel_hi:[1,0,0]
	v_mov_b32_e32 v59, v43
	v_pk_mul_f32 v[42:43], v[44:45], v[54:55] op_sel:[0,1]
	s_delay_alu instid0(VALU_DEP_1) | instskip(SKIP_1) | instid1(VALU_DEP_1)
	v_pk_fma_f32 v[56:57], v[44:45], v[52:53], v[42:43] op_sel:[0,0,1] op_sel_hi:[1,1,0] neg_lo:[0,0,1] neg_hi:[0,0,1]
	v_pk_fma_f32 v[42:43], v[44:45], v[52:53], v[42:43] op_sel:[0,0,1] op_sel_hi:[1,0,0]
	v_mov_b32_e32 v57, v43
	ds_load_2addr_b64 v[42:45], v46 offset0:6 offset1:7
	v_pk_add_f32 v[22:23], v[22:23], v[58:59] neg_lo:[0,1] neg_hi:[0,1]
	v_pk_add_f32 v[6:7], v[6:7], v[56:57] neg_lo:[0,1] neg_hi:[0,1]
	s_wait_dscnt 0x0
	v_pk_mul_f32 v[56:57], v[42:43], v[54:55] op_sel:[0,1]
	s_delay_alu instid0(VALU_DEP_1) | instskip(SKIP_2) | instid1(VALU_DEP_2)
	v_pk_fma_f32 v[58:59], v[42:43], v[52:53], v[56:57] op_sel:[0,0,1] op_sel_hi:[1,1,0] neg_lo:[0,0,1] neg_hi:[0,0,1]
	v_pk_fma_f32 v[42:43], v[42:43], v[52:53], v[56:57] op_sel:[0,0,1] op_sel_hi:[1,0,0]
	v_dual_mul_f32 v56, v45, v55 :: v_dual_mov_b32 v42, v45
	v_dual_mov_b32 v59, v43 :: v_dual_mov_b32 v43, v44
	s_delay_alu instid0(VALU_DEP_2) | instskip(SKIP_1) | instid1(VALU_DEP_3)
	v_pk_fma_f32 v[56:57], v[44:45], v[32:33], v[56:57] op_sel_hi:[1,1,0] neg_lo:[0,0,1] neg_hi:[0,0,1]
	v_mul_f32_e32 v44, v45, v52
	v_pk_add_f32 v[8:9], v[8:9], v[58:59] neg_lo:[0,1] neg_hi:[0,1]
	s_delay_alu instid0(VALU_DEP_2) | instskip(NEXT) | instid1(VALU_DEP_1)
	v_pk_fma_f32 v[42:43], v[42:43], v[32:33], v[44:45] op_sel_hi:[1,1,0]
	v_mov_b32_e32 v57, v43
	ds_load_2addr_b64 v[42:45], v46 offset0:8 offset1:9
	v_pk_add_f32 v[4:5], v[4:5], v[56:57] neg_lo:[0,1] neg_hi:[0,1]
	s_wait_dscnt 0x0
	v_pk_mul_f32 v[56:57], v[42:43], v[54:55] op_sel:[0,1]
	s_delay_alu instid0(VALU_DEP_1) | instskip(SKIP_1) | instid1(VALU_DEP_1)
	v_pk_fma_f32 v[58:59], v[42:43], v[52:53], v[56:57] op_sel:[0,0,1] op_sel_hi:[1,1,0] neg_lo:[0,0,1] neg_hi:[0,0,1]
	v_pk_fma_f32 v[42:43], v[42:43], v[52:53], v[56:57] op_sel:[0,0,1] op_sel_hi:[1,0,0]
	v_mov_b32_e32 v59, v43
	v_pk_mul_f32 v[42:43], v[44:45], v[54:55] op_sel:[0,1]
	s_delay_alu instid0(VALU_DEP_1) | instskip(SKIP_1) | instid1(VALU_DEP_1)
	v_pk_fma_f32 v[56:57], v[44:45], v[52:53], v[42:43] op_sel:[0,0,1] op_sel_hi:[1,1,0] neg_lo:[0,0,1] neg_hi:[0,0,1]
	v_pk_fma_f32 v[42:43], v[44:45], v[52:53], v[42:43] op_sel:[0,0,1] op_sel_hi:[1,0,0]
	v_mov_b32_e32 v57, v43
	ds_load_2addr_b64 v[42:45], v46 offset0:10 offset1:11
	v_pk_add_f32 v[28:29], v[28:29], v[58:59] neg_lo:[0,1] neg_hi:[0,1]
	v_pk_add_f32 v[14:15], v[14:15], v[56:57] neg_lo:[0,1] neg_hi:[0,1]
	s_wait_dscnt 0x0
	v_pk_mul_f32 v[56:57], v[42:43], v[54:55] op_sel:[0,1]
	s_delay_alu instid0(VALU_DEP_1) | instskip(SKIP_1) | instid1(VALU_DEP_1)
	v_pk_fma_f32 v[58:59], v[42:43], v[52:53], v[56:57] op_sel:[0,0,1] op_sel_hi:[1,1,0] neg_lo:[0,0,1] neg_hi:[0,0,1]
	v_pk_fma_f32 v[42:43], v[42:43], v[52:53], v[56:57] op_sel:[0,0,1] op_sel_hi:[1,0,0]
	v_mov_b32_e32 v59, v43
	v_pk_mul_f32 v[42:43], v[44:45], v[54:55] op_sel:[0,1]
	s_delay_alu instid0(VALU_DEP_1) | instskip(SKIP_1) | instid1(VALU_DEP_1)
	v_pk_fma_f32 v[56:57], v[44:45], v[52:53], v[42:43] op_sel:[0,0,1] op_sel_hi:[1,1,0] neg_lo:[0,0,1] neg_hi:[0,0,1]
	v_pk_fma_f32 v[42:43], v[44:45], v[52:53], v[42:43] op_sel:[0,0,1] op_sel_hi:[1,0,0]
	v_mov_b32_e32 v57, v43
	ds_load_2addr_b64 v[42:45], v46 offset0:12 offset1:13
	v_pk_add_f32 v[16:17], v[16:17], v[58:59] neg_lo:[0,1] neg_hi:[0,1]
	v_pk_add_f32 v[12:13], v[12:13], v[56:57] neg_lo:[0,1] neg_hi:[0,1]
	s_wait_dscnt 0x0
	v_dual_mul_f32 v56, v43, v55 :: v_dual_mul_f32 v58, v43, v52
	s_delay_alu instid0(VALU_DEP_1) | instskip(NEXT) | instid1(VALU_DEP_2)
	v_pk_fma_f32 v[56:57], v[42:43], v[32:33], v[56:57] op_sel_hi:[1,1,0] neg_lo:[0,0,1] neg_hi:[0,0,1]
	v_pk_fma_f32 v[42:43], v[42:43], v[32:33], v[58:59] op_sel:[1,0,0] op_sel_hi:[0,1,0]
	s_delay_alu instid0(VALU_DEP_1) | instskip(SKIP_1) | instid1(VALU_DEP_2)
	v_mov_b32_e32 v57, v43
	v_pk_mul_f32 v[42:43], v[44:45], v[54:55] op_sel:[0,1]
	v_pk_add_f32 v[26:27], v[26:27], v[56:57] neg_lo:[0,1] neg_hi:[0,1]
	s_delay_alu instid0(VALU_DEP_2) | instskip(SKIP_1) | instid1(VALU_DEP_1)
	v_pk_fma_f32 v[56:57], v[44:45], v[52:53], v[42:43] op_sel:[0,0,1] op_sel_hi:[1,1,0] neg_lo:[0,0,1] neg_hi:[0,0,1]
	v_pk_fma_f32 v[42:43], v[44:45], v[52:53], v[42:43] op_sel:[0,0,1] op_sel_hi:[1,0,0]
	v_mov_b32_e32 v57, v43
	ds_load_2addr_b64 v[42:45], v46 offset0:14 offset1:15
	v_pk_add_f32 v[10:11], v[10:11], v[56:57] neg_lo:[0,1] neg_hi:[0,1]
	s_wait_dscnt 0x0
	v_pk_mul_f32 v[56:57], v[42:43], v[54:55] op_sel:[0,1]
	s_delay_alu instid0(VALU_DEP_1) | instskip(SKIP_1) | instid1(VALU_DEP_1)
	v_pk_fma_f32 v[58:59], v[42:43], v[52:53], v[56:57] op_sel:[0,0,1] op_sel_hi:[1,1,0] neg_lo:[0,0,1] neg_hi:[0,0,1]
	v_pk_fma_f32 v[42:43], v[42:43], v[52:53], v[56:57] op_sel:[0,0,1] op_sel_hi:[1,0,0]
	v_mov_b32_e32 v59, v43
	v_pk_mul_f32 v[42:43], v[44:45], v[54:55] op_sel:[0,1]
	s_delay_alu instid0(VALU_DEP_2) | instskip(NEXT) | instid1(VALU_DEP_2)
	v_pk_add_f32 v[24:25], v[24:25], v[58:59] neg_lo:[0,1] neg_hi:[0,1]
	v_pk_fma_f32 v[56:57], v[44:45], v[52:53], v[42:43] op_sel:[0,0,1] op_sel_hi:[1,1,0] neg_lo:[0,0,1] neg_hi:[0,0,1]
	v_pk_fma_f32 v[42:43], v[44:45], v[52:53], v[42:43] op_sel:[0,0,1] op_sel_hi:[1,0,0]
	s_delay_alu instid0(VALU_DEP_1) | instskip(SKIP_4) | instid1(VALU_DEP_1)
	v_mov_b32_e32 v57, v43
	ds_load_2addr_b64 v[42:45], v46 offset0:16 offset1:17
	v_pk_add_f32 v[20:21], v[20:21], v[56:57] neg_lo:[0,1] neg_hi:[0,1]
	s_wait_dscnt 0x0
	v_pk_mul_f32 v[56:57], v[42:43], v[54:55] op_sel:[0,1]
	v_pk_fma_f32 v[58:59], v[42:43], v[52:53], v[56:57] op_sel:[0,0,1] op_sel_hi:[1,1,0] neg_lo:[0,0,1] neg_hi:[0,0,1]
	v_pk_fma_f32 v[42:43], v[42:43], v[52:53], v[56:57] op_sel:[0,0,1] op_sel_hi:[1,0,0]
	s_delay_alu instid0(VALU_DEP_1) | instskip(SKIP_1) | instid1(VALU_DEP_2)
	v_mov_b32_e32 v59, v43
	v_pk_mul_f32 v[42:43], v[44:45], v[54:55] op_sel:[0,1]
	v_pk_add_f32 v[18:19], v[18:19], v[58:59] neg_lo:[0,1] neg_hi:[0,1]
	s_delay_alu instid0(VALU_DEP_2) | instskip(SKIP_1) | instid1(VALU_DEP_1)
	v_pk_fma_f32 v[54:55], v[44:45], v[52:53], v[42:43] op_sel:[0,0,1] op_sel_hi:[1,1,0] neg_lo:[0,0,1] neg_hi:[0,0,1]
	v_pk_fma_f32 v[42:43], v[44:45], v[52:53], v[42:43] op_sel:[0,0,1] op_sel_hi:[1,0,0]
	v_mov_b32_e32 v55, v43
	s_delay_alu instid0(VALU_DEP_1)
	v_pk_add_f32 v[40:41], v[40:41], v[54:55] neg_lo:[0,1] neg_hi:[0,1]
.LBB34_83:
	s_or_b32 exec_lo, exec_lo, s0
	v_lshl_add_u32 v42, v50, 3, v46
	s_barrier_signal -1
	s_barrier_wait -1
	ds_store_b64 v42, v[22:23]
	s_wait_dscnt 0x0
	s_barrier_signal -1
	s_barrier_wait -1
	ds_load_b64 v[42:43], v46 offset:32
	v_mov_b32_e32 v44, 4
	s_cmp_lt_i32 s14, 6
	s_cbranch_scc1 .LBB34_86
; %bb.84:
	v_add3_u32 v45, v47, 0, 40
	v_mov_b32_e32 v44, 4
	s_mov_b32 s0, 5
.LBB34_85:                              ; =>This Inner Loop Header: Depth=1
	ds_load_b64 v[52:53], v45
	s_wait_dscnt 0x1
	v_cmp_gt_f32_e32 vcc_lo, 0, v42
	v_cndmask_b32_e64 v54, v42, -v42, vcc_lo
	v_cmp_gt_f32_e32 vcc_lo, 0, v43
	v_cndmask_b32_e64 v56, v43, -v43, vcc_lo
	s_wait_dscnt 0x0
	v_cmp_gt_f32_e32 vcc_lo, 0, v52
	v_cndmask_b32_e64 v55, v52, -v52, vcc_lo
	v_cmp_gt_f32_e32 vcc_lo, 0, v53
	v_cndmask_b32_e64 v57, v53, -v53, vcc_lo
	s_delay_alu instid0(VALU_DEP_1) | instskip(NEXT) | instid1(VALU_DEP_1)
	v_pk_add_f32 v[54:55], v[54:55], v[56:57]
	v_cmp_lt_f32_e32 vcc_lo, v54, v55
	v_dual_cndmask_b32 v42, v42, v52 :: v_dual_add_nc_u32 v45, 8, v45
	v_cndmask_b32_e32 v43, v43, v53, vcc_lo
	v_cndmask_b32_e64 v44, v44, s0, vcc_lo
	s_add_co_i32 s0, s0, 1
	s_delay_alu instid0(SALU_CYCLE_1)
	s_cmp_lg_u32 s14, s0
	s_cbranch_scc1 .LBB34_85
.LBB34_86:
	s_wait_dscnt 0x0
	v_cmp_eq_f32_e32 vcc_lo, 0, v42
	v_cmp_eq_f32_e64 s0, 0, v43
	s_and_b32 s0, vcc_lo, s0
	s_delay_alu instid0(SALU_CYCLE_1) | instskip(NEXT) | instid1(SALU_CYCLE_1)
	s_and_saveexec_b32 s1, s0
	s_xor_b32 s0, exec_lo, s1
; %bb.87:
	v_cmp_ne_u32_e32 vcc_lo, 0, v49
	v_cndmask_b32_e32 v49, 5, v49, vcc_lo
; %bb.88:
	s_and_not1_saveexec_b32 s0, s0
	s_cbranch_execz .LBB34_94
; %bb.89:
	v_cmp_ngt_f32_e64 s1, |v42|, |v43|
	s_and_saveexec_b32 s15, s1
	s_delay_alu instid0(SALU_CYCLE_1)
	s_xor_b32 s1, exec_lo, s15
	s_cbranch_execz .LBB34_91
; %bb.90:
	v_div_scale_f32 v45, null, v43, v43, v42
	v_div_scale_f32 v53, vcc_lo, v42, v43, v42
	s_delay_alu instid0(VALU_DEP_2) | instskip(SKIP_1) | instid1(TRANS32_DEP_1)
	v_rcp_f32_e32 v51, v45
	v_nop
	v_fma_f32 v52, -v45, v51, 1.0
	s_delay_alu instid0(VALU_DEP_1) | instskip(NEXT) | instid1(VALU_DEP_1)
	v_fmac_f32_e32 v51, v52, v51
	v_mul_f32_e32 v52, v53, v51
	s_delay_alu instid0(VALU_DEP_1) | instskip(NEXT) | instid1(VALU_DEP_1)
	v_fma_f32 v54, -v45, v52, v53
	v_fmac_f32_e32 v52, v54, v51
	s_delay_alu instid0(VALU_DEP_1) | instskip(NEXT) | instid1(VALU_DEP_1)
	v_fma_f32 v45, -v45, v52, v53
	v_div_fmas_f32 v45, v45, v51, v52
	s_delay_alu instid0(VALU_DEP_1) | instskip(NEXT) | instid1(VALU_DEP_1)
	v_div_fixup_f32 v45, v45, v43, v42
	v_fmac_f32_e32 v43, v42, v45
	s_delay_alu instid0(VALU_DEP_1) | instskip(SKIP_1) | instid1(VALU_DEP_2)
	v_div_scale_f32 v42, null, v43, v43, 1.0
	v_div_scale_f32 v53, vcc_lo, 1.0, v43, 1.0
	v_rcp_f32_e32 v51, v42
	v_nop
	s_delay_alu instid0(TRANS32_DEP_1) | instskip(NEXT) | instid1(VALU_DEP_1)
	v_fma_f32 v52, -v42, v51, 1.0
	v_fmac_f32_e32 v51, v52, v51
	s_delay_alu instid0(VALU_DEP_1) | instskip(NEXT) | instid1(VALU_DEP_1)
	v_mul_f32_e32 v52, v53, v51
	v_fma_f32 v54, -v42, v52, v53
	s_delay_alu instid0(VALU_DEP_1) | instskip(NEXT) | instid1(VALU_DEP_1)
	v_fmac_f32_e32 v52, v54, v51
	v_fma_f32 v42, -v42, v52, v53
	s_delay_alu instid0(VALU_DEP_1) | instskip(NEXT) | instid1(VALU_DEP_1)
	v_div_fmas_f32 v42, v42, v51, v52
	v_div_fixup_f32 v43, v42, v43, 1.0
	s_delay_alu instid0(VALU_DEP_1)
	v_mul_f32_e32 v42, v45, v43
	v_xor_b32_e32 v43, 0x80000000, v43
.LBB34_91:
	s_and_not1_saveexec_b32 s1, s1
	s_cbranch_execz .LBB34_93
; %bb.92:
	s_delay_alu instid0(VALU_DEP_1) | instskip(SKIP_1) | instid1(VALU_DEP_2)
	v_div_scale_f32 v45, null, v42, v42, v43
	v_div_scale_f32 v53, vcc_lo, v43, v42, v43
	v_rcp_f32_e32 v51, v45
	v_nop
	s_delay_alu instid0(TRANS32_DEP_1) | instskip(NEXT) | instid1(VALU_DEP_1)
	v_fma_f32 v52, -v45, v51, 1.0
	v_fmac_f32_e32 v51, v52, v51
	s_delay_alu instid0(VALU_DEP_1) | instskip(NEXT) | instid1(VALU_DEP_1)
	v_mul_f32_e32 v52, v53, v51
	v_fma_f32 v54, -v45, v52, v53
	s_delay_alu instid0(VALU_DEP_1) | instskip(NEXT) | instid1(VALU_DEP_1)
	v_fmac_f32_e32 v52, v54, v51
	v_fma_f32 v45, -v45, v52, v53
	s_delay_alu instid0(VALU_DEP_1) | instskip(NEXT) | instid1(VALU_DEP_1)
	v_div_fmas_f32 v45, v45, v51, v52
	v_div_fixup_f32 v45, v45, v42, v43
	s_delay_alu instid0(VALU_DEP_1) | instskip(NEXT) | instid1(VALU_DEP_1)
	v_fmac_f32_e32 v42, v43, v45
	v_div_scale_f32 v43, null, v42, v42, 1.0
	s_delay_alu instid0(VALU_DEP_1) | instskip(SKIP_1) | instid1(TRANS32_DEP_1)
	v_rcp_f32_e32 v51, v43
	v_nop
	v_fma_f32 v52, -v43, v51, 1.0
	s_delay_alu instid0(VALU_DEP_1) | instskip(SKIP_1) | instid1(VALU_DEP_1)
	v_fmac_f32_e32 v51, v52, v51
	v_div_scale_f32 v52, vcc_lo, 1.0, v42, 1.0
	v_mul_f32_e32 v53, v52, v51
	s_delay_alu instid0(VALU_DEP_1) | instskip(NEXT) | instid1(VALU_DEP_1)
	v_fma_f32 v54, -v43, v53, v52
	v_fmac_f32_e32 v53, v54, v51
	s_delay_alu instid0(VALU_DEP_1) | instskip(NEXT) | instid1(VALU_DEP_1)
	v_fma_f32 v43, -v43, v53, v52
	v_div_fmas_f32 v43, v43, v51, v53
	s_delay_alu instid0(VALU_DEP_1) | instskip(NEXT) | instid1(VALU_DEP_1)
	v_div_fixup_f32 v42, v43, v42, 1.0
	v_mul_f32_e64 v43, v45, -v42
.LBB34_93:
	s_or_b32 exec_lo, exec_lo, s1
.LBB34_94:
	s_delay_alu instid0(SALU_CYCLE_1) | instskip(NEXT) | instid1(SALU_CYCLE_1)
	s_or_b32 exec_lo, exec_lo, s0
	s_mov_b32 s0, exec_lo
	v_cmpx_ne_u32_e64 v50, v44
	s_xor_b32 s0, exec_lo, s0
	s_cbranch_execz .LBB34_100
; %bb.95:
	s_mov_b32 s1, exec_lo
	v_cmpx_eq_u32_e32 4, v50
	s_cbranch_execz .LBB34_99
; %bb.96:
	v_cmp_ne_u32_e32 vcc_lo, 4, v44
	s_xor_b32 s15, s12, -1
	s_delay_alu instid0(SALU_CYCLE_1) | instskip(NEXT) | instid1(SALU_CYCLE_1)
	s_and_b32 s16, s15, vcc_lo
	s_and_saveexec_b32 s15, s16
	s_cbranch_execz .LBB34_98
; %bb.97:
	v_ashrrev_i32_e32 v45, 31, v44
	s_delay_alu instid0(VALU_DEP_1)
	v_lshl_add_u64 v[50:51], v[44:45], 2, v[30:31]
	s_clause 0x1
	global_load_b32 v45, v[50:51], off
	global_load_b32 v48, v[30:31], off offset:16
	s_wait_loadcnt 0x1
	global_store_b32 v[30:31], v45, off offset:16
	s_wait_loadcnt 0x0
	global_store_b32 v[50:51], v48, off
.LBB34_98:
	s_wait_xcnt 0x0
	s_or_b32 exec_lo, exec_lo, s15
	v_dual_mov_b32 v50, v44 :: v_dual_mov_b32 v48, v44
.LBB34_99:
	s_or_b32 exec_lo, exec_lo, s1
.LBB34_100:
	s_and_not1_saveexec_b32 s0, s0
	s_cbranch_execz .LBB34_102
; %bb.101:
	v_mov_b32_e32 v50, 4
	ds_store_2addr_b64 v46, v[6:7], v[8:9] offset0:5 offset1:6
	ds_store_2addr_b64 v46, v[4:5], v[28:29] offset0:7 offset1:8
	;; [unrolled: 1-line block ×6, first 2 shown]
	ds_store_b64 v46, v[40:41] offset:136
.LBB34_102:
	s_or_b32 exec_lo, exec_lo, s0
	s_delay_alu instid0(SALU_CYCLE_1)
	s_mov_b32 s0, exec_lo
	s_wait_storecnt_dscnt 0x0
	s_barrier_signal -1
	s_barrier_wait -1
	v_cmpx_lt_i32_e32 4, v50
	s_cbranch_execz .LBB34_104
; %bb.103:
	v_pk_mul_f32 v[44:45], v[42:43], v[22:23] op_sel:[1,1] op_sel_hi:[0,1]
	s_delay_alu instid0(VALU_DEP_1)
	v_pk_fma_f32 v[52:53], v[42:43], v[22:23], v[44:45] op_sel_hi:[1,0,1] neg_lo:[0,0,1] neg_hi:[0,0,1]
	v_pk_fma_f32 v[54:55], v[42:43], v[22:23], v[44:45] op_sel_hi:[1,0,1]
	ds_load_2addr_b64 v[42:45], v46 offset0:5 offset1:6
	v_dual_mov_b32 v22, v52 :: v_dual_mov_b32 v23, v55
	s_wait_dscnt 0x0
	v_pk_mul_f32 v[56:57], v[42:43], v[54:55] op_sel:[0,1]
	s_delay_alu instid0(VALU_DEP_1) | instskip(SKIP_1) | instid1(VALU_DEP_1)
	v_pk_fma_f32 v[58:59], v[42:43], v[52:53], v[56:57] op_sel:[0,0,1] op_sel_hi:[1,1,0] neg_lo:[0,0,1] neg_hi:[0,0,1]
	v_pk_fma_f32 v[42:43], v[42:43], v[52:53], v[56:57] op_sel:[0,0,1] op_sel_hi:[1,0,0]
	v_mov_b32_e32 v59, v43
	v_pk_mul_f32 v[42:43], v[44:45], v[54:55] op_sel:[0,1]
	s_delay_alu instid0(VALU_DEP_1) | instskip(SKIP_1) | instid1(VALU_DEP_1)
	v_pk_fma_f32 v[56:57], v[44:45], v[52:53], v[42:43] op_sel:[0,0,1] op_sel_hi:[1,1,0] neg_lo:[0,0,1] neg_hi:[0,0,1]
	v_pk_fma_f32 v[42:43], v[44:45], v[52:53], v[42:43] op_sel:[0,0,1] op_sel_hi:[1,0,0]
	v_mov_b32_e32 v57, v43
	ds_load_2addr_b64 v[42:45], v46 offset0:7 offset1:8
	v_pk_add_f32 v[6:7], v[6:7], v[58:59] neg_lo:[0,1] neg_hi:[0,1]
	v_pk_add_f32 v[8:9], v[8:9], v[56:57] neg_lo:[0,1] neg_hi:[0,1]
	s_wait_dscnt 0x0
	v_pk_mul_f32 v[56:57], v[42:43], v[54:55] op_sel:[0,1]
	s_delay_alu instid0(VALU_DEP_1) | instskip(SKIP_2) | instid1(VALU_DEP_2)
	v_pk_fma_f32 v[58:59], v[42:43], v[52:53], v[56:57] op_sel:[0,0,1] op_sel_hi:[1,1,0] neg_lo:[0,0,1] neg_hi:[0,0,1]
	v_pk_fma_f32 v[42:43], v[42:43], v[52:53], v[56:57] op_sel:[0,0,1] op_sel_hi:[1,0,0]
	v_dual_mul_f32 v56, v45, v55 :: v_dual_mov_b32 v42, v45
	v_dual_mov_b32 v59, v43 :: v_dual_mov_b32 v43, v44
	s_delay_alu instid0(VALU_DEP_2) | instskip(SKIP_1) | instid1(VALU_DEP_3)
	v_pk_fma_f32 v[56:57], v[44:45], v[22:23], v[56:57] op_sel_hi:[1,1,0] neg_lo:[0,0,1] neg_hi:[0,0,1]
	v_mul_f32_e32 v44, v45, v52
	v_pk_add_f32 v[4:5], v[4:5], v[58:59] neg_lo:[0,1] neg_hi:[0,1]
	s_delay_alu instid0(VALU_DEP_2) | instskip(NEXT) | instid1(VALU_DEP_1)
	v_pk_fma_f32 v[42:43], v[42:43], v[22:23], v[44:45] op_sel_hi:[1,1,0]
	v_mov_b32_e32 v57, v43
	ds_load_2addr_b64 v[42:45], v46 offset0:9 offset1:10
	v_pk_add_f32 v[28:29], v[28:29], v[56:57] neg_lo:[0,1] neg_hi:[0,1]
	s_wait_dscnt 0x0
	v_pk_mul_f32 v[56:57], v[42:43], v[54:55] op_sel:[0,1]
	s_delay_alu instid0(VALU_DEP_1) | instskip(SKIP_1) | instid1(VALU_DEP_1)
	v_pk_fma_f32 v[58:59], v[42:43], v[52:53], v[56:57] op_sel:[0,0,1] op_sel_hi:[1,1,0] neg_lo:[0,0,1] neg_hi:[0,0,1]
	v_pk_fma_f32 v[42:43], v[42:43], v[52:53], v[56:57] op_sel:[0,0,1] op_sel_hi:[1,0,0]
	v_mov_b32_e32 v59, v43
	v_pk_mul_f32 v[42:43], v[44:45], v[54:55] op_sel:[0,1]
	s_delay_alu instid0(VALU_DEP_1) | instskip(SKIP_1) | instid1(VALU_DEP_1)
	v_pk_fma_f32 v[56:57], v[44:45], v[52:53], v[42:43] op_sel:[0,0,1] op_sel_hi:[1,1,0] neg_lo:[0,0,1] neg_hi:[0,0,1]
	v_pk_fma_f32 v[42:43], v[44:45], v[52:53], v[42:43] op_sel:[0,0,1] op_sel_hi:[1,0,0]
	v_mov_b32_e32 v57, v43
	ds_load_2addr_b64 v[42:45], v46 offset0:11 offset1:12
	v_pk_add_f32 v[14:15], v[14:15], v[58:59] neg_lo:[0,1] neg_hi:[0,1]
	v_pk_add_f32 v[16:17], v[16:17], v[56:57] neg_lo:[0,1] neg_hi:[0,1]
	s_wait_dscnt 0x0
	v_pk_mul_f32 v[56:57], v[42:43], v[54:55] op_sel:[0,1]
	s_delay_alu instid0(VALU_DEP_1) | instskip(SKIP_1) | instid1(VALU_DEP_1)
	v_pk_fma_f32 v[58:59], v[42:43], v[52:53], v[56:57] op_sel:[0,0,1] op_sel_hi:[1,1,0] neg_lo:[0,0,1] neg_hi:[0,0,1]
	v_pk_fma_f32 v[42:43], v[42:43], v[52:53], v[56:57] op_sel:[0,0,1] op_sel_hi:[1,0,0]
	v_mov_b32_e32 v59, v43
	v_pk_mul_f32 v[42:43], v[44:45], v[54:55] op_sel:[0,1]
	s_delay_alu instid0(VALU_DEP_1) | instskip(SKIP_1) | instid1(VALU_DEP_1)
	v_pk_fma_f32 v[56:57], v[44:45], v[52:53], v[42:43] op_sel:[0,0,1] op_sel_hi:[1,1,0] neg_lo:[0,0,1] neg_hi:[0,0,1]
	v_pk_fma_f32 v[42:43], v[44:45], v[52:53], v[42:43] op_sel:[0,0,1] op_sel_hi:[1,0,0]
	v_mov_b32_e32 v57, v43
	ds_load_2addr_b64 v[42:45], v46 offset0:13 offset1:14
	v_pk_add_f32 v[12:13], v[12:13], v[58:59] neg_lo:[0,1] neg_hi:[0,1]
	v_pk_add_f32 v[26:27], v[26:27], v[56:57] neg_lo:[0,1] neg_hi:[0,1]
	s_wait_dscnt 0x0
	v_dual_mul_f32 v56, v43, v55 :: v_dual_mul_f32 v58, v43, v52
	s_delay_alu instid0(VALU_DEP_1) | instskip(NEXT) | instid1(VALU_DEP_2)
	v_pk_fma_f32 v[56:57], v[42:43], v[22:23], v[56:57] op_sel_hi:[1,1,0] neg_lo:[0,0,1] neg_hi:[0,0,1]
	v_pk_fma_f32 v[42:43], v[42:43], v[22:23], v[58:59] op_sel:[1,0,0] op_sel_hi:[0,1,0]
	s_delay_alu instid0(VALU_DEP_1) | instskip(SKIP_1) | instid1(VALU_DEP_2)
	v_mov_b32_e32 v57, v43
	v_pk_mul_f32 v[42:43], v[44:45], v[54:55] op_sel:[0,1]
	v_pk_add_f32 v[10:11], v[10:11], v[56:57] neg_lo:[0,1] neg_hi:[0,1]
	s_delay_alu instid0(VALU_DEP_2) | instskip(SKIP_1) | instid1(VALU_DEP_1)
	v_pk_fma_f32 v[56:57], v[44:45], v[52:53], v[42:43] op_sel:[0,0,1] op_sel_hi:[1,1,0] neg_lo:[0,0,1] neg_hi:[0,0,1]
	v_pk_fma_f32 v[42:43], v[44:45], v[52:53], v[42:43] op_sel:[0,0,1] op_sel_hi:[1,0,0]
	v_mov_b32_e32 v57, v43
	ds_load_2addr_b64 v[42:45], v46 offset0:15 offset1:16
	v_pk_add_f32 v[24:25], v[24:25], v[56:57] neg_lo:[0,1] neg_hi:[0,1]
	s_wait_dscnt 0x0
	v_pk_mul_f32 v[56:57], v[42:43], v[54:55] op_sel:[0,1]
	s_delay_alu instid0(VALU_DEP_1) | instskip(SKIP_1) | instid1(VALU_DEP_1)
	v_pk_fma_f32 v[58:59], v[42:43], v[52:53], v[56:57] op_sel:[0,0,1] op_sel_hi:[1,1,0] neg_lo:[0,0,1] neg_hi:[0,0,1]
	v_pk_fma_f32 v[42:43], v[42:43], v[52:53], v[56:57] op_sel:[0,0,1] op_sel_hi:[1,0,0]
	v_mov_b32_e32 v59, v43
	v_pk_mul_f32 v[42:43], v[44:45], v[54:55] op_sel:[0,1]
	s_delay_alu instid0(VALU_DEP_2) | instskip(NEXT) | instid1(VALU_DEP_2)
	v_pk_add_f32 v[20:21], v[20:21], v[58:59] neg_lo:[0,1] neg_hi:[0,1]
	v_pk_fma_f32 v[56:57], v[44:45], v[52:53], v[42:43] op_sel:[0,0,1] op_sel_hi:[1,1,0] neg_lo:[0,0,1] neg_hi:[0,0,1]
	v_pk_fma_f32 v[42:43], v[44:45], v[52:53], v[42:43] op_sel:[0,0,1] op_sel_hi:[1,0,0]
	s_delay_alu instid0(VALU_DEP_1) | instskip(SKIP_4) | instid1(VALU_DEP_1)
	v_mov_b32_e32 v57, v43
	ds_load_b64 v[42:43], v46 offset:136
	v_pk_add_f32 v[18:19], v[18:19], v[56:57] neg_lo:[0,1] neg_hi:[0,1]
	s_wait_dscnt 0x0
	v_pk_mul_f32 v[44:45], v[42:43], v[54:55] op_sel:[0,1]
	v_pk_fma_f32 v[54:55], v[42:43], v[52:53], v[44:45] op_sel:[0,0,1] op_sel_hi:[1,1,0] neg_lo:[0,0,1] neg_hi:[0,0,1]
	v_pk_fma_f32 v[42:43], v[42:43], v[52:53], v[44:45] op_sel:[0,0,1] op_sel_hi:[1,0,0]
	s_delay_alu instid0(VALU_DEP_1) | instskip(NEXT) | instid1(VALU_DEP_1)
	v_mov_b32_e32 v55, v43
	v_pk_add_f32 v[40:41], v[40:41], v[54:55] neg_lo:[0,1] neg_hi:[0,1]
.LBB34_104:
	s_or_b32 exec_lo, exec_lo, s0
	v_lshl_add_u32 v42, v50, 3, v46
	s_barrier_signal -1
	s_barrier_wait -1
	ds_store_b64 v42, v[6:7]
	s_wait_dscnt 0x0
	s_barrier_signal -1
	s_barrier_wait -1
	ds_load_b64 v[42:43], v46 offset:40
	v_mov_b32_e32 v44, 5
	s_cmp_lt_i32 s14, 7
	s_cbranch_scc1 .LBB34_107
; %bb.105:
	v_add3_u32 v45, v47, 0, 48
	v_mov_b32_e32 v44, 5
	s_mov_b32 s0, 6
.LBB34_106:                             ; =>This Inner Loop Header: Depth=1
	ds_load_b64 v[52:53], v45
	s_wait_dscnt 0x1
	v_cmp_gt_f32_e32 vcc_lo, 0, v42
	v_cndmask_b32_e64 v54, v42, -v42, vcc_lo
	v_cmp_gt_f32_e32 vcc_lo, 0, v43
	v_cndmask_b32_e64 v56, v43, -v43, vcc_lo
	s_wait_dscnt 0x0
	v_cmp_gt_f32_e32 vcc_lo, 0, v52
	v_cndmask_b32_e64 v55, v52, -v52, vcc_lo
	v_cmp_gt_f32_e32 vcc_lo, 0, v53
	v_cndmask_b32_e64 v57, v53, -v53, vcc_lo
	s_delay_alu instid0(VALU_DEP_1) | instskip(NEXT) | instid1(VALU_DEP_1)
	v_pk_add_f32 v[54:55], v[54:55], v[56:57]
	v_cmp_lt_f32_e32 vcc_lo, v54, v55
	v_dual_cndmask_b32 v42, v42, v52 :: v_dual_add_nc_u32 v45, 8, v45
	v_cndmask_b32_e32 v43, v43, v53, vcc_lo
	v_cndmask_b32_e64 v44, v44, s0, vcc_lo
	s_add_co_i32 s0, s0, 1
	s_delay_alu instid0(SALU_CYCLE_1)
	s_cmp_lg_u32 s14, s0
	s_cbranch_scc1 .LBB34_106
.LBB34_107:
	s_wait_dscnt 0x0
	v_cmp_eq_f32_e32 vcc_lo, 0, v42
	v_cmp_eq_f32_e64 s0, 0, v43
	s_and_b32 s0, vcc_lo, s0
	s_delay_alu instid0(SALU_CYCLE_1) | instskip(NEXT) | instid1(SALU_CYCLE_1)
	s_and_saveexec_b32 s1, s0
	s_xor_b32 s0, exec_lo, s1
; %bb.108:
	v_cmp_ne_u32_e32 vcc_lo, 0, v49
	v_cndmask_b32_e32 v49, 6, v49, vcc_lo
; %bb.109:
	s_and_not1_saveexec_b32 s0, s0
	s_cbranch_execz .LBB34_115
; %bb.110:
	v_cmp_ngt_f32_e64 s1, |v42|, |v43|
	s_and_saveexec_b32 s15, s1
	s_delay_alu instid0(SALU_CYCLE_1)
	s_xor_b32 s1, exec_lo, s15
	s_cbranch_execz .LBB34_112
; %bb.111:
	v_div_scale_f32 v45, null, v43, v43, v42
	v_div_scale_f32 v53, vcc_lo, v42, v43, v42
	s_delay_alu instid0(VALU_DEP_2) | instskip(SKIP_1) | instid1(TRANS32_DEP_1)
	v_rcp_f32_e32 v51, v45
	v_nop
	v_fma_f32 v52, -v45, v51, 1.0
	s_delay_alu instid0(VALU_DEP_1) | instskip(NEXT) | instid1(VALU_DEP_1)
	v_fmac_f32_e32 v51, v52, v51
	v_mul_f32_e32 v52, v53, v51
	s_delay_alu instid0(VALU_DEP_1) | instskip(NEXT) | instid1(VALU_DEP_1)
	v_fma_f32 v54, -v45, v52, v53
	v_fmac_f32_e32 v52, v54, v51
	s_delay_alu instid0(VALU_DEP_1) | instskip(NEXT) | instid1(VALU_DEP_1)
	v_fma_f32 v45, -v45, v52, v53
	v_div_fmas_f32 v45, v45, v51, v52
	s_delay_alu instid0(VALU_DEP_1) | instskip(NEXT) | instid1(VALU_DEP_1)
	v_div_fixup_f32 v45, v45, v43, v42
	v_fmac_f32_e32 v43, v42, v45
	s_delay_alu instid0(VALU_DEP_1) | instskip(SKIP_1) | instid1(VALU_DEP_2)
	v_div_scale_f32 v42, null, v43, v43, 1.0
	v_div_scale_f32 v53, vcc_lo, 1.0, v43, 1.0
	v_rcp_f32_e32 v51, v42
	v_nop
	s_delay_alu instid0(TRANS32_DEP_1) | instskip(NEXT) | instid1(VALU_DEP_1)
	v_fma_f32 v52, -v42, v51, 1.0
	v_fmac_f32_e32 v51, v52, v51
	s_delay_alu instid0(VALU_DEP_1) | instskip(NEXT) | instid1(VALU_DEP_1)
	v_mul_f32_e32 v52, v53, v51
	v_fma_f32 v54, -v42, v52, v53
	s_delay_alu instid0(VALU_DEP_1) | instskip(NEXT) | instid1(VALU_DEP_1)
	v_fmac_f32_e32 v52, v54, v51
	v_fma_f32 v42, -v42, v52, v53
	s_delay_alu instid0(VALU_DEP_1) | instskip(NEXT) | instid1(VALU_DEP_1)
	v_div_fmas_f32 v42, v42, v51, v52
	v_div_fixup_f32 v43, v42, v43, 1.0
	s_delay_alu instid0(VALU_DEP_1)
	v_mul_f32_e32 v42, v45, v43
	v_xor_b32_e32 v43, 0x80000000, v43
.LBB34_112:
	s_and_not1_saveexec_b32 s1, s1
	s_cbranch_execz .LBB34_114
; %bb.113:
	s_delay_alu instid0(VALU_DEP_1) | instskip(SKIP_1) | instid1(VALU_DEP_2)
	v_div_scale_f32 v45, null, v42, v42, v43
	v_div_scale_f32 v53, vcc_lo, v43, v42, v43
	v_rcp_f32_e32 v51, v45
	v_nop
	s_delay_alu instid0(TRANS32_DEP_1) | instskip(NEXT) | instid1(VALU_DEP_1)
	v_fma_f32 v52, -v45, v51, 1.0
	v_fmac_f32_e32 v51, v52, v51
	s_delay_alu instid0(VALU_DEP_1) | instskip(NEXT) | instid1(VALU_DEP_1)
	v_mul_f32_e32 v52, v53, v51
	v_fma_f32 v54, -v45, v52, v53
	s_delay_alu instid0(VALU_DEP_1) | instskip(NEXT) | instid1(VALU_DEP_1)
	v_fmac_f32_e32 v52, v54, v51
	v_fma_f32 v45, -v45, v52, v53
	s_delay_alu instid0(VALU_DEP_1) | instskip(NEXT) | instid1(VALU_DEP_1)
	v_div_fmas_f32 v45, v45, v51, v52
	v_div_fixup_f32 v45, v45, v42, v43
	s_delay_alu instid0(VALU_DEP_1) | instskip(NEXT) | instid1(VALU_DEP_1)
	v_fmac_f32_e32 v42, v43, v45
	v_div_scale_f32 v43, null, v42, v42, 1.0
	s_delay_alu instid0(VALU_DEP_1) | instskip(SKIP_1) | instid1(TRANS32_DEP_1)
	v_rcp_f32_e32 v51, v43
	v_nop
	v_fma_f32 v52, -v43, v51, 1.0
	s_delay_alu instid0(VALU_DEP_1) | instskip(SKIP_1) | instid1(VALU_DEP_1)
	v_fmac_f32_e32 v51, v52, v51
	v_div_scale_f32 v52, vcc_lo, 1.0, v42, 1.0
	v_mul_f32_e32 v53, v52, v51
	s_delay_alu instid0(VALU_DEP_1) | instskip(NEXT) | instid1(VALU_DEP_1)
	v_fma_f32 v54, -v43, v53, v52
	v_fmac_f32_e32 v53, v54, v51
	s_delay_alu instid0(VALU_DEP_1) | instskip(NEXT) | instid1(VALU_DEP_1)
	v_fma_f32 v43, -v43, v53, v52
	v_div_fmas_f32 v43, v43, v51, v53
	s_delay_alu instid0(VALU_DEP_1) | instskip(NEXT) | instid1(VALU_DEP_1)
	v_div_fixup_f32 v42, v43, v42, 1.0
	v_mul_f32_e64 v43, v45, -v42
.LBB34_114:
	s_or_b32 exec_lo, exec_lo, s1
.LBB34_115:
	s_delay_alu instid0(SALU_CYCLE_1) | instskip(NEXT) | instid1(SALU_CYCLE_1)
	s_or_b32 exec_lo, exec_lo, s0
	s_mov_b32 s0, exec_lo
	v_cmpx_ne_u32_e64 v50, v44
	s_xor_b32 s0, exec_lo, s0
	s_cbranch_execz .LBB34_121
; %bb.116:
	s_mov_b32 s1, exec_lo
	v_cmpx_eq_u32_e32 5, v50
	s_cbranch_execz .LBB34_120
; %bb.117:
	v_cmp_ne_u32_e32 vcc_lo, 5, v44
	s_xor_b32 s15, s12, -1
	s_delay_alu instid0(SALU_CYCLE_1) | instskip(NEXT) | instid1(SALU_CYCLE_1)
	s_and_b32 s16, s15, vcc_lo
	s_and_saveexec_b32 s15, s16
	s_cbranch_execz .LBB34_119
; %bb.118:
	v_ashrrev_i32_e32 v45, 31, v44
	s_delay_alu instid0(VALU_DEP_1)
	v_lshl_add_u64 v[50:51], v[44:45], 2, v[30:31]
	s_clause 0x1
	global_load_b32 v45, v[50:51], off
	global_load_b32 v48, v[30:31], off offset:20
	s_wait_loadcnt 0x1
	global_store_b32 v[30:31], v45, off offset:20
	s_wait_loadcnt 0x0
	global_store_b32 v[50:51], v48, off
.LBB34_119:
	s_wait_xcnt 0x0
	s_or_b32 exec_lo, exec_lo, s15
	v_dual_mov_b32 v50, v44 :: v_dual_mov_b32 v48, v44
.LBB34_120:
	s_or_b32 exec_lo, exec_lo, s1
.LBB34_121:
	s_and_not1_saveexec_b32 s0, s0
	s_cbranch_execz .LBB34_123
; %bb.122:
	v_dual_mov_b32 v44, v8 :: v_dual_mov_b32 v45, v9
	v_dual_mov_b32 v50, v4 :: v_dual_mov_b32 v51, v5
	;; [unrolled: 1-line block ×4, first 2 shown]
	ds_store_2addr_b64 v46, v[44:45], v[50:51] offset0:6 offset1:7
	ds_store_2addr_b64 v46, v[52:53], v[54:55] offset0:8 offset1:9
	v_dual_mov_b32 v44, v16 :: v_dual_mov_b32 v45, v17
	v_dual_mov_b32 v52, v12 :: v_dual_mov_b32 v53, v13
	;; [unrolled: 1-line block ×7, first 2 shown]
	v_mov_b32_e32 v63, v19
	ds_store_2addr_b64 v46, v[44:45], v[52:53] offset0:10 offset1:11
	ds_store_2addr_b64 v46, v[54:55], v[56:57] offset0:12 offset1:13
	;; [unrolled: 1-line block ×4, first 2 shown]
.LBB34_123:
	s_or_b32 exec_lo, exec_lo, s0
	s_delay_alu instid0(SALU_CYCLE_1)
	s_mov_b32 s0, exec_lo
	s_wait_storecnt_dscnt 0x0
	s_barrier_signal -1
	s_barrier_wait -1
	v_cmpx_lt_i32_e32 5, v50
	s_cbranch_execz .LBB34_125
; %bb.124:
	v_pk_mul_f32 v[44:45], v[42:43], v[6:7] op_sel:[1,1] op_sel_hi:[0,1]
	s_delay_alu instid0(VALU_DEP_1)
	v_pk_fma_f32 v[52:53], v[42:43], v[6:7], v[44:45] op_sel_hi:[1,0,1] neg_lo:[0,0,1] neg_hi:[0,0,1]
	v_pk_fma_f32 v[54:55], v[42:43], v[6:7], v[44:45] op_sel_hi:[1,0,1]
	ds_load_2addr_b64 v[42:45], v46 offset0:6 offset1:7
	v_dual_mov_b32 v6, v52 :: v_dual_mov_b32 v7, v55
	s_wait_dscnt 0x0
	v_pk_mul_f32 v[56:57], v[42:43], v[54:55] op_sel:[0,1]
	s_delay_alu instid0(VALU_DEP_1) | instskip(SKIP_1) | instid1(VALU_DEP_1)
	v_pk_fma_f32 v[58:59], v[42:43], v[52:53], v[56:57] op_sel:[0,0,1] op_sel_hi:[1,1,0] neg_lo:[0,0,1] neg_hi:[0,0,1]
	v_pk_fma_f32 v[42:43], v[42:43], v[52:53], v[56:57] op_sel:[0,0,1] op_sel_hi:[1,0,0]
	v_mov_b32_e32 v59, v43
	v_pk_mul_f32 v[42:43], v[44:45], v[54:55] op_sel:[0,1]
	s_delay_alu instid0(VALU_DEP_1) | instskip(SKIP_1) | instid1(VALU_DEP_1)
	v_pk_fma_f32 v[56:57], v[44:45], v[52:53], v[42:43] op_sel:[0,0,1] op_sel_hi:[1,1,0] neg_lo:[0,0,1] neg_hi:[0,0,1]
	v_pk_fma_f32 v[42:43], v[44:45], v[52:53], v[42:43] op_sel:[0,0,1] op_sel_hi:[1,0,0]
	v_mov_b32_e32 v57, v43
	ds_load_2addr_b64 v[42:45], v46 offset0:8 offset1:9
	v_pk_add_f32 v[8:9], v[8:9], v[58:59] neg_lo:[0,1] neg_hi:[0,1]
	v_pk_add_f32 v[4:5], v[4:5], v[56:57] neg_lo:[0,1] neg_hi:[0,1]
	s_wait_dscnt 0x0
	v_pk_mul_f32 v[56:57], v[42:43], v[54:55] op_sel:[0,1]
	s_delay_alu instid0(VALU_DEP_1) | instskip(SKIP_2) | instid1(VALU_DEP_2)
	v_pk_fma_f32 v[58:59], v[42:43], v[52:53], v[56:57] op_sel:[0,0,1] op_sel_hi:[1,1,0] neg_lo:[0,0,1] neg_hi:[0,0,1]
	v_pk_fma_f32 v[42:43], v[42:43], v[52:53], v[56:57] op_sel:[0,0,1] op_sel_hi:[1,0,0]
	v_dual_mul_f32 v56, v45, v55 :: v_dual_mov_b32 v42, v45
	v_dual_mov_b32 v59, v43 :: v_dual_mov_b32 v43, v44
	s_delay_alu instid0(VALU_DEP_2) | instskip(SKIP_1) | instid1(VALU_DEP_3)
	v_pk_fma_f32 v[56:57], v[44:45], v[6:7], v[56:57] op_sel_hi:[1,1,0] neg_lo:[0,0,1] neg_hi:[0,0,1]
	v_mul_f32_e32 v44, v45, v52
	v_pk_add_f32 v[28:29], v[28:29], v[58:59] neg_lo:[0,1] neg_hi:[0,1]
	s_delay_alu instid0(VALU_DEP_2) | instskip(NEXT) | instid1(VALU_DEP_1)
	v_pk_fma_f32 v[42:43], v[42:43], v[6:7], v[44:45] op_sel_hi:[1,1,0]
	v_mov_b32_e32 v57, v43
	ds_load_2addr_b64 v[42:45], v46 offset0:10 offset1:11
	v_pk_add_f32 v[14:15], v[14:15], v[56:57] neg_lo:[0,1] neg_hi:[0,1]
	s_wait_dscnt 0x0
	v_pk_mul_f32 v[56:57], v[42:43], v[54:55] op_sel:[0,1]
	s_delay_alu instid0(VALU_DEP_1) | instskip(SKIP_1) | instid1(VALU_DEP_1)
	v_pk_fma_f32 v[58:59], v[42:43], v[52:53], v[56:57] op_sel:[0,0,1] op_sel_hi:[1,1,0] neg_lo:[0,0,1] neg_hi:[0,0,1]
	v_pk_fma_f32 v[42:43], v[42:43], v[52:53], v[56:57] op_sel:[0,0,1] op_sel_hi:[1,0,0]
	v_mov_b32_e32 v59, v43
	v_pk_mul_f32 v[42:43], v[44:45], v[54:55] op_sel:[0,1]
	s_delay_alu instid0(VALU_DEP_1) | instskip(SKIP_1) | instid1(VALU_DEP_1)
	v_pk_fma_f32 v[56:57], v[44:45], v[52:53], v[42:43] op_sel:[0,0,1] op_sel_hi:[1,1,0] neg_lo:[0,0,1] neg_hi:[0,0,1]
	v_pk_fma_f32 v[42:43], v[44:45], v[52:53], v[42:43] op_sel:[0,0,1] op_sel_hi:[1,0,0]
	v_mov_b32_e32 v57, v43
	ds_load_2addr_b64 v[42:45], v46 offset0:12 offset1:13
	v_pk_add_f32 v[16:17], v[16:17], v[58:59] neg_lo:[0,1] neg_hi:[0,1]
	v_pk_add_f32 v[12:13], v[12:13], v[56:57] neg_lo:[0,1] neg_hi:[0,1]
	s_wait_dscnt 0x0
	v_pk_mul_f32 v[56:57], v[42:43], v[54:55] op_sel:[0,1]
	s_delay_alu instid0(VALU_DEP_1) | instskip(SKIP_1) | instid1(VALU_DEP_1)
	v_pk_fma_f32 v[58:59], v[42:43], v[52:53], v[56:57] op_sel:[0,0,1] op_sel_hi:[1,1,0] neg_lo:[0,0,1] neg_hi:[0,0,1]
	v_pk_fma_f32 v[42:43], v[42:43], v[52:53], v[56:57] op_sel:[0,0,1] op_sel_hi:[1,0,0]
	v_mov_b32_e32 v59, v43
	v_pk_mul_f32 v[42:43], v[44:45], v[54:55] op_sel:[0,1]
	s_delay_alu instid0(VALU_DEP_1) | instskip(SKIP_1) | instid1(VALU_DEP_1)
	v_pk_fma_f32 v[56:57], v[44:45], v[52:53], v[42:43] op_sel:[0,0,1] op_sel_hi:[1,1,0] neg_lo:[0,0,1] neg_hi:[0,0,1]
	v_pk_fma_f32 v[42:43], v[44:45], v[52:53], v[42:43] op_sel:[0,0,1] op_sel_hi:[1,0,0]
	v_mov_b32_e32 v57, v43
	ds_load_2addr_b64 v[42:45], v46 offset0:14 offset1:15
	v_pk_add_f32 v[26:27], v[26:27], v[58:59] neg_lo:[0,1] neg_hi:[0,1]
	v_pk_add_f32 v[10:11], v[10:11], v[56:57] neg_lo:[0,1] neg_hi:[0,1]
	s_wait_dscnt 0x0
	v_dual_mul_f32 v56, v43, v55 :: v_dual_mul_f32 v58, v43, v52
	s_delay_alu instid0(VALU_DEP_1) | instskip(NEXT) | instid1(VALU_DEP_2)
	v_pk_fma_f32 v[56:57], v[42:43], v[6:7], v[56:57] op_sel_hi:[1,1,0] neg_lo:[0,0,1] neg_hi:[0,0,1]
	v_pk_fma_f32 v[42:43], v[42:43], v[6:7], v[58:59] op_sel:[1,0,0] op_sel_hi:[0,1,0]
	s_delay_alu instid0(VALU_DEP_1) | instskip(SKIP_1) | instid1(VALU_DEP_2)
	v_mov_b32_e32 v57, v43
	v_pk_mul_f32 v[42:43], v[44:45], v[54:55] op_sel:[0,1]
	v_pk_add_f32 v[24:25], v[24:25], v[56:57] neg_lo:[0,1] neg_hi:[0,1]
	s_delay_alu instid0(VALU_DEP_2) | instskip(SKIP_1) | instid1(VALU_DEP_1)
	v_pk_fma_f32 v[56:57], v[44:45], v[52:53], v[42:43] op_sel:[0,0,1] op_sel_hi:[1,1,0] neg_lo:[0,0,1] neg_hi:[0,0,1]
	v_pk_fma_f32 v[42:43], v[44:45], v[52:53], v[42:43] op_sel:[0,0,1] op_sel_hi:[1,0,0]
	v_mov_b32_e32 v57, v43
	ds_load_2addr_b64 v[42:45], v46 offset0:16 offset1:17
	v_pk_add_f32 v[20:21], v[20:21], v[56:57] neg_lo:[0,1] neg_hi:[0,1]
	s_wait_dscnt 0x0
	v_pk_mul_f32 v[56:57], v[42:43], v[54:55] op_sel:[0,1]
	v_mul_f32_e32 v54, v45, v55
	s_delay_alu instid0(VALU_DEP_2) | instskip(SKIP_2) | instid1(VALU_DEP_4)
	v_pk_fma_f32 v[58:59], v[42:43], v[52:53], v[56:57] op_sel:[0,0,1] op_sel_hi:[1,1,0] neg_lo:[0,0,1] neg_hi:[0,0,1]
	v_pk_fma_f32 v[42:43], v[42:43], v[52:53], v[56:57] op_sel:[0,0,1] op_sel_hi:[1,0,0]
	v_mov_b32_e32 v42, v45
	v_pk_fma_f32 v[54:55], v[44:45], v[6:7], v[54:55] op_sel_hi:[1,1,0] neg_lo:[0,0,1] neg_hi:[0,0,1]
	s_delay_alu instid0(VALU_DEP_3) | instskip(SKIP_1) | instid1(VALU_DEP_2)
	v_dual_mov_b32 v59, v43 :: v_dual_mov_b32 v43, v44
	v_mul_f32_e32 v44, v45, v52
	v_pk_add_f32 v[18:19], v[18:19], v[58:59] neg_lo:[0,1] neg_hi:[0,1]
	s_delay_alu instid0(VALU_DEP_2) | instskip(NEXT) | instid1(VALU_DEP_1)
	v_pk_fma_f32 v[42:43], v[42:43], v[6:7], v[44:45] op_sel_hi:[1,1,0]
	v_mov_b32_e32 v55, v43
	s_delay_alu instid0(VALU_DEP_1)
	v_pk_add_f32 v[40:41], v[40:41], v[54:55] neg_lo:[0,1] neg_hi:[0,1]
.LBB34_125:
	s_or_b32 exec_lo, exec_lo, s0
	v_lshl_add_u32 v42, v50, 3, v46
	s_barrier_signal -1
	s_barrier_wait -1
	ds_store_b64 v42, v[8:9]
	s_wait_dscnt 0x0
	s_barrier_signal -1
	s_barrier_wait -1
	ds_load_b64 v[42:43], v46 offset:48
	v_mov_b32_e32 v44, 6
	s_cmp_lt_i32 s14, 8
	s_cbranch_scc1 .LBB34_128
; %bb.126:
	v_add3_u32 v45, v47, 0, 56
	v_mov_b32_e32 v44, 6
	s_mov_b32 s0, 7
.LBB34_127:                             ; =>This Inner Loop Header: Depth=1
	ds_load_b64 v[52:53], v45
	s_wait_dscnt 0x1
	v_cmp_gt_f32_e32 vcc_lo, 0, v42
	v_cndmask_b32_e64 v54, v42, -v42, vcc_lo
	v_cmp_gt_f32_e32 vcc_lo, 0, v43
	v_cndmask_b32_e64 v56, v43, -v43, vcc_lo
	s_wait_dscnt 0x0
	v_cmp_gt_f32_e32 vcc_lo, 0, v52
	v_cndmask_b32_e64 v55, v52, -v52, vcc_lo
	v_cmp_gt_f32_e32 vcc_lo, 0, v53
	v_cndmask_b32_e64 v57, v53, -v53, vcc_lo
	s_delay_alu instid0(VALU_DEP_1) | instskip(NEXT) | instid1(VALU_DEP_1)
	v_pk_add_f32 v[54:55], v[54:55], v[56:57]
	v_cmp_lt_f32_e32 vcc_lo, v54, v55
	v_dual_cndmask_b32 v42, v42, v52 :: v_dual_add_nc_u32 v45, 8, v45
	v_cndmask_b32_e32 v43, v43, v53, vcc_lo
	v_cndmask_b32_e64 v44, v44, s0, vcc_lo
	s_add_co_i32 s0, s0, 1
	s_delay_alu instid0(SALU_CYCLE_1)
	s_cmp_lg_u32 s14, s0
	s_cbranch_scc1 .LBB34_127
.LBB34_128:
	s_wait_dscnt 0x0
	v_cmp_eq_f32_e32 vcc_lo, 0, v42
	v_cmp_eq_f32_e64 s0, 0, v43
	s_and_b32 s0, vcc_lo, s0
	s_delay_alu instid0(SALU_CYCLE_1) | instskip(NEXT) | instid1(SALU_CYCLE_1)
	s_and_saveexec_b32 s1, s0
	s_xor_b32 s0, exec_lo, s1
; %bb.129:
	v_cmp_ne_u32_e32 vcc_lo, 0, v49
	v_cndmask_b32_e32 v49, 7, v49, vcc_lo
; %bb.130:
	s_and_not1_saveexec_b32 s0, s0
	s_cbranch_execz .LBB34_136
; %bb.131:
	v_cmp_ngt_f32_e64 s1, |v42|, |v43|
	s_and_saveexec_b32 s15, s1
	s_delay_alu instid0(SALU_CYCLE_1)
	s_xor_b32 s1, exec_lo, s15
	s_cbranch_execz .LBB34_133
; %bb.132:
	v_div_scale_f32 v45, null, v43, v43, v42
	v_div_scale_f32 v53, vcc_lo, v42, v43, v42
	s_delay_alu instid0(VALU_DEP_2) | instskip(SKIP_1) | instid1(TRANS32_DEP_1)
	v_rcp_f32_e32 v51, v45
	v_nop
	v_fma_f32 v52, -v45, v51, 1.0
	s_delay_alu instid0(VALU_DEP_1) | instskip(NEXT) | instid1(VALU_DEP_1)
	v_fmac_f32_e32 v51, v52, v51
	v_mul_f32_e32 v52, v53, v51
	s_delay_alu instid0(VALU_DEP_1) | instskip(NEXT) | instid1(VALU_DEP_1)
	v_fma_f32 v54, -v45, v52, v53
	v_fmac_f32_e32 v52, v54, v51
	s_delay_alu instid0(VALU_DEP_1) | instskip(NEXT) | instid1(VALU_DEP_1)
	v_fma_f32 v45, -v45, v52, v53
	v_div_fmas_f32 v45, v45, v51, v52
	s_delay_alu instid0(VALU_DEP_1) | instskip(NEXT) | instid1(VALU_DEP_1)
	v_div_fixup_f32 v45, v45, v43, v42
	v_fmac_f32_e32 v43, v42, v45
	s_delay_alu instid0(VALU_DEP_1) | instskip(SKIP_1) | instid1(VALU_DEP_2)
	v_div_scale_f32 v42, null, v43, v43, 1.0
	v_div_scale_f32 v53, vcc_lo, 1.0, v43, 1.0
	v_rcp_f32_e32 v51, v42
	v_nop
	s_delay_alu instid0(TRANS32_DEP_1) | instskip(NEXT) | instid1(VALU_DEP_1)
	v_fma_f32 v52, -v42, v51, 1.0
	v_fmac_f32_e32 v51, v52, v51
	s_delay_alu instid0(VALU_DEP_1) | instskip(NEXT) | instid1(VALU_DEP_1)
	v_mul_f32_e32 v52, v53, v51
	v_fma_f32 v54, -v42, v52, v53
	s_delay_alu instid0(VALU_DEP_1) | instskip(NEXT) | instid1(VALU_DEP_1)
	v_fmac_f32_e32 v52, v54, v51
	v_fma_f32 v42, -v42, v52, v53
	s_delay_alu instid0(VALU_DEP_1) | instskip(NEXT) | instid1(VALU_DEP_1)
	v_div_fmas_f32 v42, v42, v51, v52
	v_div_fixup_f32 v43, v42, v43, 1.0
	s_delay_alu instid0(VALU_DEP_1)
	v_mul_f32_e32 v42, v45, v43
	v_xor_b32_e32 v43, 0x80000000, v43
.LBB34_133:
	s_and_not1_saveexec_b32 s1, s1
	s_cbranch_execz .LBB34_135
; %bb.134:
	s_delay_alu instid0(VALU_DEP_1) | instskip(SKIP_1) | instid1(VALU_DEP_2)
	v_div_scale_f32 v45, null, v42, v42, v43
	v_div_scale_f32 v53, vcc_lo, v43, v42, v43
	v_rcp_f32_e32 v51, v45
	v_nop
	s_delay_alu instid0(TRANS32_DEP_1) | instskip(NEXT) | instid1(VALU_DEP_1)
	v_fma_f32 v52, -v45, v51, 1.0
	v_fmac_f32_e32 v51, v52, v51
	s_delay_alu instid0(VALU_DEP_1) | instskip(NEXT) | instid1(VALU_DEP_1)
	v_mul_f32_e32 v52, v53, v51
	v_fma_f32 v54, -v45, v52, v53
	s_delay_alu instid0(VALU_DEP_1) | instskip(NEXT) | instid1(VALU_DEP_1)
	v_fmac_f32_e32 v52, v54, v51
	v_fma_f32 v45, -v45, v52, v53
	s_delay_alu instid0(VALU_DEP_1) | instskip(NEXT) | instid1(VALU_DEP_1)
	v_div_fmas_f32 v45, v45, v51, v52
	v_div_fixup_f32 v45, v45, v42, v43
	s_delay_alu instid0(VALU_DEP_1) | instskip(NEXT) | instid1(VALU_DEP_1)
	v_fmac_f32_e32 v42, v43, v45
	v_div_scale_f32 v43, null, v42, v42, 1.0
	s_delay_alu instid0(VALU_DEP_1) | instskip(SKIP_1) | instid1(TRANS32_DEP_1)
	v_rcp_f32_e32 v51, v43
	v_nop
	v_fma_f32 v52, -v43, v51, 1.0
	s_delay_alu instid0(VALU_DEP_1) | instskip(SKIP_1) | instid1(VALU_DEP_1)
	v_fmac_f32_e32 v51, v52, v51
	v_div_scale_f32 v52, vcc_lo, 1.0, v42, 1.0
	v_mul_f32_e32 v53, v52, v51
	s_delay_alu instid0(VALU_DEP_1) | instskip(NEXT) | instid1(VALU_DEP_1)
	v_fma_f32 v54, -v43, v53, v52
	v_fmac_f32_e32 v53, v54, v51
	s_delay_alu instid0(VALU_DEP_1) | instskip(NEXT) | instid1(VALU_DEP_1)
	v_fma_f32 v43, -v43, v53, v52
	v_div_fmas_f32 v43, v43, v51, v53
	s_delay_alu instid0(VALU_DEP_1) | instskip(NEXT) | instid1(VALU_DEP_1)
	v_div_fixup_f32 v42, v43, v42, 1.0
	v_mul_f32_e64 v43, v45, -v42
.LBB34_135:
	s_or_b32 exec_lo, exec_lo, s1
.LBB34_136:
	s_delay_alu instid0(SALU_CYCLE_1) | instskip(NEXT) | instid1(SALU_CYCLE_1)
	s_or_b32 exec_lo, exec_lo, s0
	s_mov_b32 s0, exec_lo
	v_cmpx_ne_u32_e64 v50, v44
	s_xor_b32 s0, exec_lo, s0
	s_cbranch_execz .LBB34_142
; %bb.137:
	s_mov_b32 s1, exec_lo
	v_cmpx_eq_u32_e32 6, v50
	s_cbranch_execz .LBB34_141
; %bb.138:
	v_cmp_ne_u32_e32 vcc_lo, 6, v44
	s_xor_b32 s15, s12, -1
	s_delay_alu instid0(SALU_CYCLE_1) | instskip(NEXT) | instid1(SALU_CYCLE_1)
	s_and_b32 s16, s15, vcc_lo
	s_and_saveexec_b32 s15, s16
	s_cbranch_execz .LBB34_140
; %bb.139:
	v_ashrrev_i32_e32 v45, 31, v44
	s_delay_alu instid0(VALU_DEP_1)
	v_lshl_add_u64 v[50:51], v[44:45], 2, v[30:31]
	s_clause 0x1
	global_load_b32 v45, v[50:51], off
	global_load_b32 v48, v[30:31], off offset:24
	s_wait_loadcnt 0x1
	global_store_b32 v[30:31], v45, off offset:24
	s_wait_loadcnt 0x0
	global_store_b32 v[50:51], v48, off
.LBB34_140:
	s_wait_xcnt 0x0
	s_or_b32 exec_lo, exec_lo, s15
	v_dual_mov_b32 v50, v44 :: v_dual_mov_b32 v48, v44
.LBB34_141:
	s_or_b32 exec_lo, exec_lo, s1
.LBB34_142:
	s_and_not1_saveexec_b32 s0, s0
	s_cbranch_execz .LBB34_144
; %bb.143:
	v_mov_b32_e32 v50, 6
	ds_store_2addr_b64 v46, v[4:5], v[28:29] offset0:7 offset1:8
	ds_store_2addr_b64 v46, v[14:15], v[16:17] offset0:9 offset1:10
	;; [unrolled: 1-line block ×5, first 2 shown]
	ds_store_b64 v46, v[40:41] offset:136
.LBB34_144:
	s_or_b32 exec_lo, exec_lo, s0
	s_delay_alu instid0(SALU_CYCLE_1)
	s_mov_b32 s0, exec_lo
	s_wait_storecnt_dscnt 0x0
	s_barrier_signal -1
	s_barrier_wait -1
	v_cmpx_lt_i32_e32 6, v50
	s_cbranch_execz .LBB34_146
; %bb.145:
	v_pk_mul_f32 v[44:45], v[42:43], v[8:9] op_sel:[1,1] op_sel_hi:[0,1]
	s_delay_alu instid0(VALU_DEP_1)
	v_pk_fma_f32 v[52:53], v[42:43], v[8:9], v[44:45] op_sel_hi:[1,0,1] neg_lo:[0,0,1] neg_hi:[0,0,1]
	v_pk_fma_f32 v[54:55], v[42:43], v[8:9], v[44:45] op_sel_hi:[1,0,1]
	ds_load_2addr_b64 v[42:45], v46 offset0:7 offset1:8
	v_dual_mov_b32 v8, v52 :: v_dual_mov_b32 v9, v55
	s_wait_dscnt 0x0
	v_pk_mul_f32 v[56:57], v[42:43], v[54:55] op_sel:[0,1]
	s_delay_alu instid0(VALU_DEP_1) | instskip(SKIP_1) | instid1(VALU_DEP_1)
	v_pk_fma_f32 v[58:59], v[42:43], v[52:53], v[56:57] op_sel:[0,0,1] op_sel_hi:[1,1,0] neg_lo:[0,0,1] neg_hi:[0,0,1]
	v_pk_fma_f32 v[42:43], v[42:43], v[52:53], v[56:57] op_sel:[0,0,1] op_sel_hi:[1,0,0]
	v_mov_b32_e32 v59, v43
	v_pk_mul_f32 v[42:43], v[44:45], v[54:55] op_sel:[0,1]
	s_delay_alu instid0(VALU_DEP_1) | instskip(SKIP_1) | instid1(VALU_DEP_1)
	v_pk_fma_f32 v[56:57], v[44:45], v[52:53], v[42:43] op_sel:[0,0,1] op_sel_hi:[1,1,0] neg_lo:[0,0,1] neg_hi:[0,0,1]
	v_pk_fma_f32 v[42:43], v[44:45], v[52:53], v[42:43] op_sel:[0,0,1] op_sel_hi:[1,0,0]
	v_mov_b32_e32 v57, v43
	ds_load_2addr_b64 v[42:45], v46 offset0:9 offset1:10
	v_pk_add_f32 v[4:5], v[4:5], v[58:59] neg_lo:[0,1] neg_hi:[0,1]
	v_pk_add_f32 v[28:29], v[28:29], v[56:57] neg_lo:[0,1] neg_hi:[0,1]
	s_wait_dscnt 0x0
	v_pk_mul_f32 v[56:57], v[42:43], v[54:55] op_sel:[0,1]
	s_delay_alu instid0(VALU_DEP_1) | instskip(SKIP_2) | instid1(VALU_DEP_2)
	v_pk_fma_f32 v[58:59], v[42:43], v[52:53], v[56:57] op_sel:[0,0,1] op_sel_hi:[1,1,0] neg_lo:[0,0,1] neg_hi:[0,0,1]
	v_pk_fma_f32 v[42:43], v[42:43], v[52:53], v[56:57] op_sel:[0,0,1] op_sel_hi:[1,0,0]
	v_dual_mul_f32 v56, v45, v55 :: v_dual_mov_b32 v42, v45
	v_dual_mov_b32 v59, v43 :: v_dual_mov_b32 v43, v44
	s_delay_alu instid0(VALU_DEP_2) | instskip(SKIP_1) | instid1(VALU_DEP_3)
	v_pk_fma_f32 v[56:57], v[44:45], v[8:9], v[56:57] op_sel_hi:[1,1,0] neg_lo:[0,0,1] neg_hi:[0,0,1]
	v_mul_f32_e32 v44, v45, v52
	v_pk_add_f32 v[14:15], v[14:15], v[58:59] neg_lo:[0,1] neg_hi:[0,1]
	s_delay_alu instid0(VALU_DEP_2) | instskip(NEXT) | instid1(VALU_DEP_1)
	v_pk_fma_f32 v[42:43], v[42:43], v[8:9], v[44:45] op_sel_hi:[1,1,0]
	v_mov_b32_e32 v57, v43
	ds_load_2addr_b64 v[42:45], v46 offset0:11 offset1:12
	v_pk_add_f32 v[16:17], v[16:17], v[56:57] neg_lo:[0,1] neg_hi:[0,1]
	s_wait_dscnt 0x0
	v_pk_mul_f32 v[56:57], v[42:43], v[54:55] op_sel:[0,1]
	s_delay_alu instid0(VALU_DEP_1) | instskip(SKIP_1) | instid1(VALU_DEP_1)
	v_pk_fma_f32 v[58:59], v[42:43], v[52:53], v[56:57] op_sel:[0,0,1] op_sel_hi:[1,1,0] neg_lo:[0,0,1] neg_hi:[0,0,1]
	v_pk_fma_f32 v[42:43], v[42:43], v[52:53], v[56:57] op_sel:[0,0,1] op_sel_hi:[1,0,0]
	v_mov_b32_e32 v59, v43
	v_pk_mul_f32 v[42:43], v[44:45], v[54:55] op_sel:[0,1]
	s_delay_alu instid0(VALU_DEP_1) | instskip(SKIP_1) | instid1(VALU_DEP_1)
	v_pk_fma_f32 v[56:57], v[44:45], v[52:53], v[42:43] op_sel:[0,0,1] op_sel_hi:[1,1,0] neg_lo:[0,0,1] neg_hi:[0,0,1]
	v_pk_fma_f32 v[42:43], v[44:45], v[52:53], v[42:43] op_sel:[0,0,1] op_sel_hi:[1,0,0]
	v_mov_b32_e32 v57, v43
	ds_load_2addr_b64 v[42:45], v46 offset0:13 offset1:14
	v_pk_add_f32 v[12:13], v[12:13], v[58:59] neg_lo:[0,1] neg_hi:[0,1]
	v_pk_add_f32 v[26:27], v[26:27], v[56:57] neg_lo:[0,1] neg_hi:[0,1]
	s_wait_dscnt 0x0
	v_pk_mul_f32 v[56:57], v[42:43], v[54:55] op_sel:[0,1]
	s_delay_alu instid0(VALU_DEP_1) | instskip(SKIP_1) | instid1(VALU_DEP_1)
	v_pk_fma_f32 v[58:59], v[42:43], v[52:53], v[56:57] op_sel:[0,0,1] op_sel_hi:[1,1,0] neg_lo:[0,0,1] neg_hi:[0,0,1]
	v_pk_fma_f32 v[42:43], v[42:43], v[52:53], v[56:57] op_sel:[0,0,1] op_sel_hi:[1,0,0]
	v_mov_b32_e32 v59, v43
	v_pk_mul_f32 v[42:43], v[44:45], v[54:55] op_sel:[0,1]
	s_delay_alu instid0(VALU_DEP_1) | instskip(SKIP_1) | instid1(VALU_DEP_1)
	v_pk_fma_f32 v[56:57], v[44:45], v[52:53], v[42:43] op_sel:[0,0,1] op_sel_hi:[1,1,0] neg_lo:[0,0,1] neg_hi:[0,0,1]
	v_pk_fma_f32 v[42:43], v[44:45], v[52:53], v[42:43] op_sel:[0,0,1] op_sel_hi:[1,0,0]
	v_mov_b32_e32 v57, v43
	ds_load_2addr_b64 v[42:45], v46 offset0:15 offset1:16
	v_pk_add_f32 v[10:11], v[10:11], v[58:59] neg_lo:[0,1] neg_hi:[0,1]
	v_pk_add_f32 v[24:25], v[24:25], v[56:57] neg_lo:[0,1] neg_hi:[0,1]
	s_wait_dscnt 0x0
	v_dual_mul_f32 v56, v43, v55 :: v_dual_mul_f32 v58, v43, v52
	s_delay_alu instid0(VALU_DEP_1) | instskip(NEXT) | instid1(VALU_DEP_2)
	v_pk_fma_f32 v[56:57], v[42:43], v[8:9], v[56:57] op_sel_hi:[1,1,0] neg_lo:[0,0,1] neg_hi:[0,0,1]
	v_pk_fma_f32 v[42:43], v[42:43], v[8:9], v[58:59] op_sel:[1,0,0] op_sel_hi:[0,1,0]
	s_delay_alu instid0(VALU_DEP_1) | instskip(SKIP_1) | instid1(VALU_DEP_2)
	v_mov_b32_e32 v57, v43
	v_pk_mul_f32 v[42:43], v[44:45], v[54:55] op_sel:[0,1]
	v_pk_add_f32 v[20:21], v[20:21], v[56:57] neg_lo:[0,1] neg_hi:[0,1]
	s_delay_alu instid0(VALU_DEP_2) | instskip(SKIP_1) | instid1(VALU_DEP_1)
	v_pk_fma_f32 v[56:57], v[44:45], v[52:53], v[42:43] op_sel:[0,0,1] op_sel_hi:[1,1,0] neg_lo:[0,0,1] neg_hi:[0,0,1]
	v_pk_fma_f32 v[42:43], v[44:45], v[52:53], v[42:43] op_sel:[0,0,1] op_sel_hi:[1,0,0]
	v_mov_b32_e32 v57, v43
	ds_load_b64 v[42:43], v46 offset:136
	v_pk_add_f32 v[18:19], v[18:19], v[56:57] neg_lo:[0,1] neg_hi:[0,1]
	s_wait_dscnt 0x0
	v_pk_mul_f32 v[44:45], v[42:43], v[54:55] op_sel:[0,1]
	s_delay_alu instid0(VALU_DEP_1) | instskip(SKIP_1) | instid1(VALU_DEP_1)
	v_pk_fma_f32 v[54:55], v[42:43], v[52:53], v[44:45] op_sel:[0,0,1] op_sel_hi:[1,1,0] neg_lo:[0,0,1] neg_hi:[0,0,1]
	v_pk_fma_f32 v[42:43], v[42:43], v[52:53], v[44:45] op_sel:[0,0,1] op_sel_hi:[1,0,0]
	v_mov_b32_e32 v55, v43
	s_delay_alu instid0(VALU_DEP_1)
	v_pk_add_f32 v[40:41], v[40:41], v[54:55] neg_lo:[0,1] neg_hi:[0,1]
.LBB34_146:
	s_or_b32 exec_lo, exec_lo, s0
	v_lshl_add_u32 v42, v50, 3, v46
	s_barrier_signal -1
	s_barrier_wait -1
	ds_store_b64 v42, v[4:5]
	s_wait_dscnt 0x0
	s_barrier_signal -1
	s_barrier_wait -1
	ds_load_b64 v[42:43], v46 offset:56
	v_mov_b32_e32 v44, 7
	s_cmp_lt_i32 s14, 9
	s_cbranch_scc1 .LBB34_149
; %bb.147:
	v_add3_u32 v45, v47, 0, 64
	v_mov_b32_e32 v44, 7
	s_mov_b32 s0, 8
.LBB34_148:                             ; =>This Inner Loop Header: Depth=1
	ds_load_b64 v[52:53], v45
	s_wait_dscnt 0x1
	v_cmp_gt_f32_e32 vcc_lo, 0, v42
	v_cndmask_b32_e64 v54, v42, -v42, vcc_lo
	v_cmp_gt_f32_e32 vcc_lo, 0, v43
	v_cndmask_b32_e64 v56, v43, -v43, vcc_lo
	s_wait_dscnt 0x0
	v_cmp_gt_f32_e32 vcc_lo, 0, v52
	v_cndmask_b32_e64 v55, v52, -v52, vcc_lo
	v_cmp_gt_f32_e32 vcc_lo, 0, v53
	v_cndmask_b32_e64 v57, v53, -v53, vcc_lo
	s_delay_alu instid0(VALU_DEP_1) | instskip(NEXT) | instid1(VALU_DEP_1)
	v_pk_add_f32 v[54:55], v[54:55], v[56:57]
	v_cmp_lt_f32_e32 vcc_lo, v54, v55
	v_dual_cndmask_b32 v42, v42, v52 :: v_dual_add_nc_u32 v45, 8, v45
	v_cndmask_b32_e32 v43, v43, v53, vcc_lo
	v_cndmask_b32_e64 v44, v44, s0, vcc_lo
	s_add_co_i32 s0, s0, 1
	s_delay_alu instid0(SALU_CYCLE_1)
	s_cmp_lg_u32 s14, s0
	s_cbranch_scc1 .LBB34_148
.LBB34_149:
	s_wait_dscnt 0x0
	v_cmp_eq_f32_e32 vcc_lo, 0, v42
	v_cmp_eq_f32_e64 s0, 0, v43
	s_and_b32 s0, vcc_lo, s0
	s_delay_alu instid0(SALU_CYCLE_1) | instskip(NEXT) | instid1(SALU_CYCLE_1)
	s_and_saveexec_b32 s1, s0
	s_xor_b32 s0, exec_lo, s1
; %bb.150:
	v_cmp_ne_u32_e32 vcc_lo, 0, v49
	v_cndmask_b32_e32 v49, 8, v49, vcc_lo
; %bb.151:
	s_and_not1_saveexec_b32 s0, s0
	s_cbranch_execz .LBB34_157
; %bb.152:
	v_cmp_ngt_f32_e64 s1, |v42|, |v43|
	s_and_saveexec_b32 s15, s1
	s_delay_alu instid0(SALU_CYCLE_1)
	s_xor_b32 s1, exec_lo, s15
	s_cbranch_execz .LBB34_154
; %bb.153:
	v_div_scale_f32 v45, null, v43, v43, v42
	v_div_scale_f32 v53, vcc_lo, v42, v43, v42
	s_delay_alu instid0(VALU_DEP_2) | instskip(SKIP_1) | instid1(TRANS32_DEP_1)
	v_rcp_f32_e32 v51, v45
	v_nop
	v_fma_f32 v52, -v45, v51, 1.0
	s_delay_alu instid0(VALU_DEP_1) | instskip(NEXT) | instid1(VALU_DEP_1)
	v_fmac_f32_e32 v51, v52, v51
	v_mul_f32_e32 v52, v53, v51
	s_delay_alu instid0(VALU_DEP_1) | instskip(NEXT) | instid1(VALU_DEP_1)
	v_fma_f32 v54, -v45, v52, v53
	v_fmac_f32_e32 v52, v54, v51
	s_delay_alu instid0(VALU_DEP_1) | instskip(NEXT) | instid1(VALU_DEP_1)
	v_fma_f32 v45, -v45, v52, v53
	v_div_fmas_f32 v45, v45, v51, v52
	s_delay_alu instid0(VALU_DEP_1) | instskip(NEXT) | instid1(VALU_DEP_1)
	v_div_fixup_f32 v45, v45, v43, v42
	v_fmac_f32_e32 v43, v42, v45
	s_delay_alu instid0(VALU_DEP_1) | instskip(SKIP_1) | instid1(VALU_DEP_2)
	v_div_scale_f32 v42, null, v43, v43, 1.0
	v_div_scale_f32 v53, vcc_lo, 1.0, v43, 1.0
	v_rcp_f32_e32 v51, v42
	v_nop
	s_delay_alu instid0(TRANS32_DEP_1) | instskip(NEXT) | instid1(VALU_DEP_1)
	v_fma_f32 v52, -v42, v51, 1.0
	v_fmac_f32_e32 v51, v52, v51
	s_delay_alu instid0(VALU_DEP_1) | instskip(NEXT) | instid1(VALU_DEP_1)
	v_mul_f32_e32 v52, v53, v51
	v_fma_f32 v54, -v42, v52, v53
	s_delay_alu instid0(VALU_DEP_1) | instskip(NEXT) | instid1(VALU_DEP_1)
	v_fmac_f32_e32 v52, v54, v51
	v_fma_f32 v42, -v42, v52, v53
	s_delay_alu instid0(VALU_DEP_1) | instskip(NEXT) | instid1(VALU_DEP_1)
	v_div_fmas_f32 v42, v42, v51, v52
	v_div_fixup_f32 v43, v42, v43, 1.0
	s_delay_alu instid0(VALU_DEP_1)
	v_mul_f32_e32 v42, v45, v43
	v_xor_b32_e32 v43, 0x80000000, v43
.LBB34_154:
	s_and_not1_saveexec_b32 s1, s1
	s_cbranch_execz .LBB34_156
; %bb.155:
	s_delay_alu instid0(VALU_DEP_1) | instskip(SKIP_1) | instid1(VALU_DEP_2)
	v_div_scale_f32 v45, null, v42, v42, v43
	v_div_scale_f32 v53, vcc_lo, v43, v42, v43
	v_rcp_f32_e32 v51, v45
	v_nop
	s_delay_alu instid0(TRANS32_DEP_1) | instskip(NEXT) | instid1(VALU_DEP_1)
	v_fma_f32 v52, -v45, v51, 1.0
	v_fmac_f32_e32 v51, v52, v51
	s_delay_alu instid0(VALU_DEP_1) | instskip(NEXT) | instid1(VALU_DEP_1)
	v_mul_f32_e32 v52, v53, v51
	v_fma_f32 v54, -v45, v52, v53
	s_delay_alu instid0(VALU_DEP_1) | instskip(NEXT) | instid1(VALU_DEP_1)
	v_fmac_f32_e32 v52, v54, v51
	v_fma_f32 v45, -v45, v52, v53
	s_delay_alu instid0(VALU_DEP_1) | instskip(NEXT) | instid1(VALU_DEP_1)
	v_div_fmas_f32 v45, v45, v51, v52
	v_div_fixup_f32 v45, v45, v42, v43
	s_delay_alu instid0(VALU_DEP_1) | instskip(NEXT) | instid1(VALU_DEP_1)
	v_fmac_f32_e32 v42, v43, v45
	v_div_scale_f32 v43, null, v42, v42, 1.0
	s_delay_alu instid0(VALU_DEP_1) | instskip(SKIP_1) | instid1(TRANS32_DEP_1)
	v_rcp_f32_e32 v51, v43
	v_nop
	v_fma_f32 v52, -v43, v51, 1.0
	s_delay_alu instid0(VALU_DEP_1) | instskip(SKIP_1) | instid1(VALU_DEP_1)
	v_fmac_f32_e32 v51, v52, v51
	v_div_scale_f32 v52, vcc_lo, 1.0, v42, 1.0
	v_mul_f32_e32 v53, v52, v51
	s_delay_alu instid0(VALU_DEP_1) | instskip(NEXT) | instid1(VALU_DEP_1)
	v_fma_f32 v54, -v43, v53, v52
	v_fmac_f32_e32 v53, v54, v51
	s_delay_alu instid0(VALU_DEP_1) | instskip(NEXT) | instid1(VALU_DEP_1)
	v_fma_f32 v43, -v43, v53, v52
	v_div_fmas_f32 v43, v43, v51, v53
	s_delay_alu instid0(VALU_DEP_1) | instskip(NEXT) | instid1(VALU_DEP_1)
	v_div_fixup_f32 v42, v43, v42, 1.0
	v_mul_f32_e64 v43, v45, -v42
.LBB34_156:
	s_or_b32 exec_lo, exec_lo, s1
.LBB34_157:
	s_delay_alu instid0(SALU_CYCLE_1) | instskip(NEXT) | instid1(SALU_CYCLE_1)
	s_or_b32 exec_lo, exec_lo, s0
	s_mov_b32 s0, exec_lo
	v_cmpx_ne_u32_e64 v50, v44
	s_xor_b32 s0, exec_lo, s0
	s_cbranch_execz .LBB34_163
; %bb.158:
	s_mov_b32 s1, exec_lo
	v_cmpx_eq_u32_e32 7, v50
	s_cbranch_execz .LBB34_162
; %bb.159:
	v_cmp_ne_u32_e32 vcc_lo, 7, v44
	s_xor_b32 s15, s12, -1
	s_delay_alu instid0(SALU_CYCLE_1) | instskip(NEXT) | instid1(SALU_CYCLE_1)
	s_and_b32 s16, s15, vcc_lo
	s_and_saveexec_b32 s15, s16
	s_cbranch_execz .LBB34_161
; %bb.160:
	v_ashrrev_i32_e32 v45, 31, v44
	s_delay_alu instid0(VALU_DEP_1)
	v_lshl_add_u64 v[50:51], v[44:45], 2, v[30:31]
	s_clause 0x1
	global_load_b32 v45, v[50:51], off
	global_load_b32 v48, v[30:31], off offset:28
	s_wait_loadcnt 0x1
	global_store_b32 v[30:31], v45, off offset:28
	s_wait_loadcnt 0x0
	global_store_b32 v[50:51], v48, off
.LBB34_161:
	s_wait_xcnt 0x0
	s_or_b32 exec_lo, exec_lo, s15
	v_dual_mov_b32 v50, v44 :: v_dual_mov_b32 v48, v44
.LBB34_162:
	s_or_b32 exec_lo, exec_lo, s1
.LBB34_163:
	s_and_not1_saveexec_b32 s0, s0
	s_cbranch_execz .LBB34_165
; %bb.164:
	v_dual_mov_b32 v44, v28 :: v_dual_mov_b32 v45, v29
	v_dual_mov_b32 v50, v14 :: v_dual_mov_b32 v51, v15
	ds_store_2addr_b64 v46, v[44:45], v[50:51] offset0:8 offset1:9
	v_dual_mov_b32 v44, v16 :: v_dual_mov_b32 v45, v17
	v_dual_mov_b32 v50, v12 :: v_dual_mov_b32 v51, v13
	ds_store_2addr_b64 v46, v[44:45], v[50:51] offset0:10 offset1:11
	;; [unrolled: 3-line block ×4, first 2 shown]
	v_dual_mov_b32 v44, v18 :: v_dual_mov_b32 v45, v19
	v_mov_b32_e32 v50, 7
	ds_store_2addr_b64 v46, v[44:45], v[40:41] offset0:16 offset1:17
.LBB34_165:
	s_or_b32 exec_lo, exec_lo, s0
	s_delay_alu instid0(SALU_CYCLE_1)
	s_mov_b32 s0, exec_lo
	s_wait_storecnt_dscnt 0x0
	s_barrier_signal -1
	s_barrier_wait -1
	v_cmpx_lt_i32_e32 7, v50
	s_cbranch_execz .LBB34_167
; %bb.166:
	v_pk_mul_f32 v[44:45], v[42:43], v[4:5] op_sel:[1,1] op_sel_hi:[0,1]
	s_delay_alu instid0(VALU_DEP_1)
	v_pk_fma_f32 v[52:53], v[42:43], v[4:5], v[44:45] op_sel_hi:[1,0,1] neg_lo:[0,0,1] neg_hi:[0,0,1]
	v_pk_fma_f32 v[54:55], v[42:43], v[4:5], v[44:45] op_sel_hi:[1,0,1]
	ds_load_2addr_b64 v[42:45], v46 offset0:8 offset1:9
	v_dual_mov_b32 v4, v52 :: v_dual_mov_b32 v5, v55
	s_wait_dscnt 0x0
	v_pk_mul_f32 v[56:57], v[42:43], v[54:55] op_sel:[0,1]
	s_delay_alu instid0(VALU_DEP_1) | instskip(SKIP_1) | instid1(VALU_DEP_1)
	v_pk_fma_f32 v[58:59], v[42:43], v[52:53], v[56:57] op_sel:[0,0,1] op_sel_hi:[1,1,0] neg_lo:[0,0,1] neg_hi:[0,0,1]
	v_pk_fma_f32 v[42:43], v[42:43], v[52:53], v[56:57] op_sel:[0,0,1] op_sel_hi:[1,0,0]
	v_mov_b32_e32 v59, v43
	v_pk_mul_f32 v[42:43], v[44:45], v[54:55] op_sel:[0,1]
	s_delay_alu instid0(VALU_DEP_1) | instskip(SKIP_1) | instid1(VALU_DEP_1)
	v_pk_fma_f32 v[56:57], v[44:45], v[52:53], v[42:43] op_sel:[0,0,1] op_sel_hi:[1,1,0] neg_lo:[0,0,1] neg_hi:[0,0,1]
	v_pk_fma_f32 v[42:43], v[44:45], v[52:53], v[42:43] op_sel:[0,0,1] op_sel_hi:[1,0,0]
	v_mov_b32_e32 v57, v43
	ds_load_2addr_b64 v[42:45], v46 offset0:10 offset1:11
	v_pk_add_f32 v[28:29], v[28:29], v[58:59] neg_lo:[0,1] neg_hi:[0,1]
	v_pk_add_f32 v[14:15], v[14:15], v[56:57] neg_lo:[0,1] neg_hi:[0,1]
	s_wait_dscnt 0x0
	v_pk_mul_f32 v[56:57], v[42:43], v[54:55] op_sel:[0,1]
	s_delay_alu instid0(VALU_DEP_1) | instskip(SKIP_2) | instid1(VALU_DEP_2)
	v_pk_fma_f32 v[58:59], v[42:43], v[52:53], v[56:57] op_sel:[0,0,1] op_sel_hi:[1,1,0] neg_lo:[0,0,1] neg_hi:[0,0,1]
	v_pk_fma_f32 v[42:43], v[42:43], v[52:53], v[56:57] op_sel:[0,0,1] op_sel_hi:[1,0,0]
	v_dual_mul_f32 v56, v45, v55 :: v_dual_mov_b32 v42, v45
	v_dual_mov_b32 v59, v43 :: v_dual_mov_b32 v43, v44
	s_delay_alu instid0(VALU_DEP_2) | instskip(SKIP_1) | instid1(VALU_DEP_3)
	v_pk_fma_f32 v[56:57], v[44:45], v[4:5], v[56:57] op_sel_hi:[1,1,0] neg_lo:[0,0,1] neg_hi:[0,0,1]
	v_mul_f32_e32 v44, v45, v52
	v_pk_add_f32 v[16:17], v[16:17], v[58:59] neg_lo:[0,1] neg_hi:[0,1]
	s_delay_alu instid0(VALU_DEP_2) | instskip(NEXT) | instid1(VALU_DEP_1)
	v_pk_fma_f32 v[42:43], v[42:43], v[4:5], v[44:45] op_sel_hi:[1,1,0]
	v_mov_b32_e32 v57, v43
	ds_load_2addr_b64 v[42:45], v46 offset0:12 offset1:13
	v_pk_add_f32 v[12:13], v[12:13], v[56:57] neg_lo:[0,1] neg_hi:[0,1]
	s_wait_dscnt 0x0
	v_pk_mul_f32 v[56:57], v[42:43], v[54:55] op_sel:[0,1]
	s_delay_alu instid0(VALU_DEP_1) | instskip(SKIP_1) | instid1(VALU_DEP_1)
	v_pk_fma_f32 v[58:59], v[42:43], v[52:53], v[56:57] op_sel:[0,0,1] op_sel_hi:[1,1,0] neg_lo:[0,0,1] neg_hi:[0,0,1]
	v_pk_fma_f32 v[42:43], v[42:43], v[52:53], v[56:57] op_sel:[0,0,1] op_sel_hi:[1,0,0]
	v_mov_b32_e32 v59, v43
	v_pk_mul_f32 v[42:43], v[44:45], v[54:55] op_sel:[0,1]
	s_delay_alu instid0(VALU_DEP_1) | instskip(SKIP_1) | instid1(VALU_DEP_1)
	v_pk_fma_f32 v[56:57], v[44:45], v[52:53], v[42:43] op_sel:[0,0,1] op_sel_hi:[1,1,0] neg_lo:[0,0,1] neg_hi:[0,0,1]
	v_pk_fma_f32 v[42:43], v[44:45], v[52:53], v[42:43] op_sel:[0,0,1] op_sel_hi:[1,0,0]
	v_mov_b32_e32 v57, v43
	ds_load_2addr_b64 v[42:45], v46 offset0:14 offset1:15
	v_pk_add_f32 v[26:27], v[26:27], v[58:59] neg_lo:[0,1] neg_hi:[0,1]
	v_pk_add_f32 v[10:11], v[10:11], v[56:57] neg_lo:[0,1] neg_hi:[0,1]
	s_wait_dscnt 0x0
	v_pk_mul_f32 v[56:57], v[42:43], v[54:55] op_sel:[0,1]
	s_delay_alu instid0(VALU_DEP_1) | instskip(SKIP_1) | instid1(VALU_DEP_1)
	v_pk_fma_f32 v[58:59], v[42:43], v[52:53], v[56:57] op_sel:[0,0,1] op_sel_hi:[1,1,0] neg_lo:[0,0,1] neg_hi:[0,0,1]
	v_pk_fma_f32 v[42:43], v[42:43], v[52:53], v[56:57] op_sel:[0,0,1] op_sel_hi:[1,0,0]
	v_mov_b32_e32 v59, v43
	v_pk_mul_f32 v[42:43], v[44:45], v[54:55] op_sel:[0,1]
	s_delay_alu instid0(VALU_DEP_1) | instskip(SKIP_1) | instid1(VALU_DEP_1)
	v_pk_fma_f32 v[56:57], v[44:45], v[52:53], v[42:43] op_sel:[0,0,1] op_sel_hi:[1,1,0] neg_lo:[0,0,1] neg_hi:[0,0,1]
	v_pk_fma_f32 v[42:43], v[44:45], v[52:53], v[42:43] op_sel:[0,0,1] op_sel_hi:[1,0,0]
	v_mov_b32_e32 v57, v43
	ds_load_2addr_b64 v[42:45], v46 offset0:16 offset1:17
	v_pk_add_f32 v[24:25], v[24:25], v[58:59] neg_lo:[0,1] neg_hi:[0,1]
	v_pk_add_f32 v[20:21], v[20:21], v[56:57] neg_lo:[0,1] neg_hi:[0,1]
	s_wait_dscnt 0x0
	v_dual_mul_f32 v56, v43, v55 :: v_dual_mul_f32 v58, v43, v52
	s_delay_alu instid0(VALU_DEP_1) | instskip(NEXT) | instid1(VALU_DEP_2)
	v_pk_fma_f32 v[56:57], v[42:43], v[4:5], v[56:57] op_sel_hi:[1,1,0] neg_lo:[0,0,1] neg_hi:[0,0,1]
	v_pk_fma_f32 v[42:43], v[42:43], v[4:5], v[58:59] op_sel:[1,0,0] op_sel_hi:[0,1,0]
	s_delay_alu instid0(VALU_DEP_1) | instskip(SKIP_1) | instid1(VALU_DEP_1)
	v_mov_b32_e32 v57, v43
	v_pk_mul_f32 v[42:43], v[44:45], v[54:55] op_sel:[0,1]
	v_pk_fma_f32 v[54:55], v[44:45], v[52:53], v[42:43] op_sel:[0,0,1] op_sel_hi:[1,1,0] neg_lo:[0,0,1] neg_hi:[0,0,1]
	v_pk_fma_f32 v[42:43], v[44:45], v[52:53], v[42:43] op_sel:[0,0,1] op_sel_hi:[1,0,0]
	s_delay_alu instid0(VALU_DEP_1) | instskip(SKIP_1) | instid1(VALU_DEP_2)
	v_mov_b32_e32 v55, v43
	v_pk_add_f32 v[18:19], v[18:19], v[56:57] neg_lo:[0,1] neg_hi:[0,1]
	v_pk_add_f32 v[40:41], v[40:41], v[54:55] neg_lo:[0,1] neg_hi:[0,1]
.LBB34_167:
	s_or_b32 exec_lo, exec_lo, s0
	v_lshl_add_u32 v42, v50, 3, v46
	s_barrier_signal -1
	s_barrier_wait -1
	ds_store_b64 v42, v[28:29]
	s_wait_dscnt 0x0
	s_barrier_signal -1
	s_barrier_wait -1
	ds_load_b64 v[42:43], v46 offset:64
	v_mov_b32_e32 v44, 8
	s_cmp_lt_i32 s14, 10
	s_cbranch_scc1 .LBB34_170
; %bb.168:
	v_add3_u32 v45, v47, 0, 0x48
	v_mov_b32_e32 v44, 8
	s_mov_b32 s0, 9
.LBB34_169:                             ; =>This Inner Loop Header: Depth=1
	ds_load_b64 v[52:53], v45
	s_wait_dscnt 0x1
	v_cmp_gt_f32_e32 vcc_lo, 0, v42
	v_cndmask_b32_e64 v54, v42, -v42, vcc_lo
	v_cmp_gt_f32_e32 vcc_lo, 0, v43
	v_cndmask_b32_e64 v56, v43, -v43, vcc_lo
	s_wait_dscnt 0x0
	v_cmp_gt_f32_e32 vcc_lo, 0, v52
	v_cndmask_b32_e64 v55, v52, -v52, vcc_lo
	v_cmp_gt_f32_e32 vcc_lo, 0, v53
	v_cndmask_b32_e64 v57, v53, -v53, vcc_lo
	s_delay_alu instid0(VALU_DEP_1) | instskip(NEXT) | instid1(VALU_DEP_1)
	v_pk_add_f32 v[54:55], v[54:55], v[56:57]
	v_cmp_lt_f32_e32 vcc_lo, v54, v55
	v_dual_cndmask_b32 v42, v42, v52 :: v_dual_add_nc_u32 v45, 8, v45
	v_cndmask_b32_e32 v43, v43, v53, vcc_lo
	v_cndmask_b32_e64 v44, v44, s0, vcc_lo
	s_add_co_i32 s0, s0, 1
	s_delay_alu instid0(SALU_CYCLE_1)
	s_cmp_lg_u32 s14, s0
	s_cbranch_scc1 .LBB34_169
.LBB34_170:
	s_wait_dscnt 0x0
	v_cmp_eq_f32_e32 vcc_lo, 0, v42
	v_cmp_eq_f32_e64 s0, 0, v43
	s_and_b32 s0, vcc_lo, s0
	s_delay_alu instid0(SALU_CYCLE_1) | instskip(NEXT) | instid1(SALU_CYCLE_1)
	s_and_saveexec_b32 s1, s0
	s_xor_b32 s0, exec_lo, s1
; %bb.171:
	v_cmp_ne_u32_e32 vcc_lo, 0, v49
	v_cndmask_b32_e32 v49, 9, v49, vcc_lo
; %bb.172:
	s_and_not1_saveexec_b32 s0, s0
	s_cbranch_execz .LBB34_178
; %bb.173:
	v_cmp_ngt_f32_e64 s1, |v42|, |v43|
	s_and_saveexec_b32 s15, s1
	s_delay_alu instid0(SALU_CYCLE_1)
	s_xor_b32 s1, exec_lo, s15
	s_cbranch_execz .LBB34_175
; %bb.174:
	v_div_scale_f32 v45, null, v43, v43, v42
	v_div_scale_f32 v53, vcc_lo, v42, v43, v42
	s_delay_alu instid0(VALU_DEP_2) | instskip(SKIP_1) | instid1(TRANS32_DEP_1)
	v_rcp_f32_e32 v51, v45
	v_nop
	v_fma_f32 v52, -v45, v51, 1.0
	s_delay_alu instid0(VALU_DEP_1) | instskip(NEXT) | instid1(VALU_DEP_1)
	v_fmac_f32_e32 v51, v52, v51
	v_mul_f32_e32 v52, v53, v51
	s_delay_alu instid0(VALU_DEP_1) | instskip(NEXT) | instid1(VALU_DEP_1)
	v_fma_f32 v54, -v45, v52, v53
	v_fmac_f32_e32 v52, v54, v51
	s_delay_alu instid0(VALU_DEP_1) | instskip(NEXT) | instid1(VALU_DEP_1)
	v_fma_f32 v45, -v45, v52, v53
	v_div_fmas_f32 v45, v45, v51, v52
	s_delay_alu instid0(VALU_DEP_1) | instskip(NEXT) | instid1(VALU_DEP_1)
	v_div_fixup_f32 v45, v45, v43, v42
	v_fmac_f32_e32 v43, v42, v45
	s_delay_alu instid0(VALU_DEP_1) | instskip(SKIP_1) | instid1(VALU_DEP_2)
	v_div_scale_f32 v42, null, v43, v43, 1.0
	v_div_scale_f32 v53, vcc_lo, 1.0, v43, 1.0
	v_rcp_f32_e32 v51, v42
	v_nop
	s_delay_alu instid0(TRANS32_DEP_1) | instskip(NEXT) | instid1(VALU_DEP_1)
	v_fma_f32 v52, -v42, v51, 1.0
	v_fmac_f32_e32 v51, v52, v51
	s_delay_alu instid0(VALU_DEP_1) | instskip(NEXT) | instid1(VALU_DEP_1)
	v_mul_f32_e32 v52, v53, v51
	v_fma_f32 v54, -v42, v52, v53
	s_delay_alu instid0(VALU_DEP_1) | instskip(NEXT) | instid1(VALU_DEP_1)
	v_fmac_f32_e32 v52, v54, v51
	v_fma_f32 v42, -v42, v52, v53
	s_delay_alu instid0(VALU_DEP_1) | instskip(NEXT) | instid1(VALU_DEP_1)
	v_div_fmas_f32 v42, v42, v51, v52
	v_div_fixup_f32 v43, v42, v43, 1.0
	s_delay_alu instid0(VALU_DEP_1)
	v_mul_f32_e32 v42, v45, v43
	v_xor_b32_e32 v43, 0x80000000, v43
.LBB34_175:
	s_and_not1_saveexec_b32 s1, s1
	s_cbranch_execz .LBB34_177
; %bb.176:
	s_delay_alu instid0(VALU_DEP_1) | instskip(SKIP_1) | instid1(VALU_DEP_2)
	v_div_scale_f32 v45, null, v42, v42, v43
	v_div_scale_f32 v53, vcc_lo, v43, v42, v43
	v_rcp_f32_e32 v51, v45
	v_nop
	s_delay_alu instid0(TRANS32_DEP_1) | instskip(NEXT) | instid1(VALU_DEP_1)
	v_fma_f32 v52, -v45, v51, 1.0
	v_fmac_f32_e32 v51, v52, v51
	s_delay_alu instid0(VALU_DEP_1) | instskip(NEXT) | instid1(VALU_DEP_1)
	v_mul_f32_e32 v52, v53, v51
	v_fma_f32 v54, -v45, v52, v53
	s_delay_alu instid0(VALU_DEP_1) | instskip(NEXT) | instid1(VALU_DEP_1)
	v_fmac_f32_e32 v52, v54, v51
	v_fma_f32 v45, -v45, v52, v53
	s_delay_alu instid0(VALU_DEP_1) | instskip(NEXT) | instid1(VALU_DEP_1)
	v_div_fmas_f32 v45, v45, v51, v52
	v_div_fixup_f32 v45, v45, v42, v43
	s_delay_alu instid0(VALU_DEP_1) | instskip(NEXT) | instid1(VALU_DEP_1)
	v_fmac_f32_e32 v42, v43, v45
	v_div_scale_f32 v43, null, v42, v42, 1.0
	s_delay_alu instid0(VALU_DEP_1) | instskip(SKIP_1) | instid1(TRANS32_DEP_1)
	v_rcp_f32_e32 v51, v43
	v_nop
	v_fma_f32 v52, -v43, v51, 1.0
	s_delay_alu instid0(VALU_DEP_1) | instskip(SKIP_1) | instid1(VALU_DEP_1)
	v_fmac_f32_e32 v51, v52, v51
	v_div_scale_f32 v52, vcc_lo, 1.0, v42, 1.0
	v_mul_f32_e32 v53, v52, v51
	s_delay_alu instid0(VALU_DEP_1) | instskip(NEXT) | instid1(VALU_DEP_1)
	v_fma_f32 v54, -v43, v53, v52
	v_fmac_f32_e32 v53, v54, v51
	s_delay_alu instid0(VALU_DEP_1) | instskip(NEXT) | instid1(VALU_DEP_1)
	v_fma_f32 v43, -v43, v53, v52
	v_div_fmas_f32 v43, v43, v51, v53
	s_delay_alu instid0(VALU_DEP_1) | instskip(NEXT) | instid1(VALU_DEP_1)
	v_div_fixup_f32 v42, v43, v42, 1.0
	v_mul_f32_e64 v43, v45, -v42
.LBB34_177:
	s_or_b32 exec_lo, exec_lo, s1
.LBB34_178:
	s_delay_alu instid0(SALU_CYCLE_1) | instskip(NEXT) | instid1(SALU_CYCLE_1)
	s_or_b32 exec_lo, exec_lo, s0
	s_mov_b32 s0, exec_lo
	v_cmpx_ne_u32_e64 v50, v44
	s_xor_b32 s0, exec_lo, s0
	s_cbranch_execz .LBB34_184
; %bb.179:
	s_mov_b32 s1, exec_lo
	v_cmpx_eq_u32_e32 8, v50
	s_cbranch_execz .LBB34_183
; %bb.180:
	v_cmp_ne_u32_e32 vcc_lo, 8, v44
	s_xor_b32 s15, s12, -1
	s_delay_alu instid0(SALU_CYCLE_1) | instskip(NEXT) | instid1(SALU_CYCLE_1)
	s_and_b32 s16, s15, vcc_lo
	s_and_saveexec_b32 s15, s16
	s_cbranch_execz .LBB34_182
; %bb.181:
	v_ashrrev_i32_e32 v45, 31, v44
	s_delay_alu instid0(VALU_DEP_1)
	v_lshl_add_u64 v[50:51], v[44:45], 2, v[30:31]
	s_clause 0x1
	global_load_b32 v45, v[50:51], off
	global_load_b32 v48, v[30:31], off offset:32
	s_wait_loadcnt 0x1
	global_store_b32 v[30:31], v45, off offset:32
	s_wait_loadcnt 0x0
	global_store_b32 v[50:51], v48, off
.LBB34_182:
	s_wait_xcnt 0x0
	s_or_b32 exec_lo, exec_lo, s15
	v_dual_mov_b32 v50, v44 :: v_dual_mov_b32 v48, v44
.LBB34_183:
	s_or_b32 exec_lo, exec_lo, s1
.LBB34_184:
	s_and_not1_saveexec_b32 s0, s0
	s_cbranch_execz .LBB34_186
; %bb.185:
	v_mov_b32_e32 v50, 8
	ds_store_2addr_b64 v46, v[14:15], v[16:17] offset0:9 offset1:10
	ds_store_2addr_b64 v46, v[12:13], v[26:27] offset0:11 offset1:12
	;; [unrolled: 1-line block ×4, first 2 shown]
	ds_store_b64 v46, v[40:41] offset:136
.LBB34_186:
	s_or_b32 exec_lo, exec_lo, s0
	s_delay_alu instid0(SALU_CYCLE_1)
	s_mov_b32 s0, exec_lo
	s_wait_storecnt_dscnt 0x0
	s_barrier_signal -1
	s_barrier_wait -1
	v_cmpx_lt_i32_e32 8, v50
	s_cbranch_execz .LBB34_188
; %bb.187:
	v_pk_mul_f32 v[44:45], v[42:43], v[28:29] op_sel:[1,1] op_sel_hi:[0,1]
	s_delay_alu instid0(VALU_DEP_1)
	v_pk_fma_f32 v[52:53], v[42:43], v[28:29], v[44:45] op_sel_hi:[1,0,1] neg_lo:[0,0,1] neg_hi:[0,0,1]
	v_pk_fma_f32 v[54:55], v[42:43], v[28:29], v[44:45] op_sel_hi:[1,0,1]
	ds_load_2addr_b64 v[42:45], v46 offset0:9 offset1:10
	v_dual_mov_b32 v28, v52 :: v_dual_mov_b32 v29, v55
	s_wait_dscnt 0x0
	v_pk_mul_f32 v[56:57], v[42:43], v[54:55] op_sel:[0,1]
	s_delay_alu instid0(VALU_DEP_1) | instskip(SKIP_1) | instid1(VALU_DEP_1)
	v_pk_fma_f32 v[58:59], v[42:43], v[52:53], v[56:57] op_sel:[0,0,1] op_sel_hi:[1,1,0] neg_lo:[0,0,1] neg_hi:[0,0,1]
	v_pk_fma_f32 v[42:43], v[42:43], v[52:53], v[56:57] op_sel:[0,0,1] op_sel_hi:[1,0,0]
	v_mov_b32_e32 v59, v43
	v_pk_mul_f32 v[42:43], v[44:45], v[54:55] op_sel:[0,1]
	s_delay_alu instid0(VALU_DEP_1) | instskip(SKIP_1) | instid1(VALU_DEP_1)
	v_pk_fma_f32 v[56:57], v[44:45], v[52:53], v[42:43] op_sel:[0,0,1] op_sel_hi:[1,1,0] neg_lo:[0,0,1] neg_hi:[0,0,1]
	v_pk_fma_f32 v[42:43], v[44:45], v[52:53], v[42:43] op_sel:[0,0,1] op_sel_hi:[1,0,0]
	v_mov_b32_e32 v57, v43
	ds_load_2addr_b64 v[42:45], v46 offset0:11 offset1:12
	v_pk_add_f32 v[14:15], v[14:15], v[58:59] neg_lo:[0,1] neg_hi:[0,1]
	v_pk_add_f32 v[16:17], v[16:17], v[56:57] neg_lo:[0,1] neg_hi:[0,1]
	s_wait_dscnt 0x0
	v_pk_mul_f32 v[56:57], v[42:43], v[54:55] op_sel:[0,1]
	s_delay_alu instid0(VALU_DEP_1) | instskip(SKIP_2) | instid1(VALU_DEP_2)
	v_pk_fma_f32 v[58:59], v[42:43], v[52:53], v[56:57] op_sel:[0,0,1] op_sel_hi:[1,1,0] neg_lo:[0,0,1] neg_hi:[0,0,1]
	v_pk_fma_f32 v[42:43], v[42:43], v[52:53], v[56:57] op_sel:[0,0,1] op_sel_hi:[1,0,0]
	v_dual_mul_f32 v56, v45, v55 :: v_dual_mov_b32 v42, v45
	v_dual_mov_b32 v59, v43 :: v_dual_mov_b32 v43, v44
	s_delay_alu instid0(VALU_DEP_2) | instskip(SKIP_1) | instid1(VALU_DEP_3)
	v_pk_fma_f32 v[56:57], v[44:45], v[28:29], v[56:57] op_sel_hi:[1,1,0] neg_lo:[0,0,1] neg_hi:[0,0,1]
	v_mul_f32_e32 v44, v45, v52
	v_pk_add_f32 v[12:13], v[12:13], v[58:59] neg_lo:[0,1] neg_hi:[0,1]
	s_delay_alu instid0(VALU_DEP_2) | instskip(NEXT) | instid1(VALU_DEP_1)
	v_pk_fma_f32 v[42:43], v[42:43], v[28:29], v[44:45] op_sel_hi:[1,1,0]
	v_mov_b32_e32 v57, v43
	ds_load_2addr_b64 v[42:45], v46 offset0:13 offset1:14
	v_pk_add_f32 v[26:27], v[26:27], v[56:57] neg_lo:[0,1] neg_hi:[0,1]
	s_wait_dscnt 0x0
	v_pk_mul_f32 v[56:57], v[42:43], v[54:55] op_sel:[0,1]
	s_delay_alu instid0(VALU_DEP_1) | instskip(SKIP_1) | instid1(VALU_DEP_1)
	v_pk_fma_f32 v[58:59], v[42:43], v[52:53], v[56:57] op_sel:[0,0,1] op_sel_hi:[1,1,0] neg_lo:[0,0,1] neg_hi:[0,0,1]
	v_pk_fma_f32 v[42:43], v[42:43], v[52:53], v[56:57] op_sel:[0,0,1] op_sel_hi:[1,0,0]
	v_mov_b32_e32 v59, v43
	v_pk_mul_f32 v[42:43], v[44:45], v[54:55] op_sel:[0,1]
	s_delay_alu instid0(VALU_DEP_1) | instskip(SKIP_1) | instid1(VALU_DEP_1)
	v_pk_fma_f32 v[56:57], v[44:45], v[52:53], v[42:43] op_sel:[0,0,1] op_sel_hi:[1,1,0] neg_lo:[0,0,1] neg_hi:[0,0,1]
	v_pk_fma_f32 v[42:43], v[44:45], v[52:53], v[42:43] op_sel:[0,0,1] op_sel_hi:[1,0,0]
	v_mov_b32_e32 v57, v43
	ds_load_2addr_b64 v[42:45], v46 offset0:15 offset1:16
	v_pk_add_f32 v[10:11], v[10:11], v[58:59] neg_lo:[0,1] neg_hi:[0,1]
	v_pk_add_f32 v[24:25], v[24:25], v[56:57] neg_lo:[0,1] neg_hi:[0,1]
	s_wait_dscnt 0x0
	v_pk_mul_f32 v[56:57], v[42:43], v[54:55] op_sel:[0,1]
	s_delay_alu instid0(VALU_DEP_1) | instskip(SKIP_1) | instid1(VALU_DEP_1)
	v_pk_fma_f32 v[58:59], v[42:43], v[52:53], v[56:57] op_sel:[0,0,1] op_sel_hi:[1,1,0] neg_lo:[0,0,1] neg_hi:[0,0,1]
	v_pk_fma_f32 v[42:43], v[42:43], v[52:53], v[56:57] op_sel:[0,0,1] op_sel_hi:[1,0,0]
	v_mov_b32_e32 v59, v43
	v_pk_mul_f32 v[42:43], v[44:45], v[54:55] op_sel:[0,1]
	s_delay_alu instid0(VALU_DEP_1) | instskip(SKIP_1) | instid1(VALU_DEP_1)
	v_pk_fma_f32 v[56:57], v[44:45], v[52:53], v[42:43] op_sel:[0,0,1] op_sel_hi:[1,1,0] neg_lo:[0,0,1] neg_hi:[0,0,1]
	v_pk_fma_f32 v[42:43], v[44:45], v[52:53], v[42:43] op_sel:[0,0,1] op_sel_hi:[1,0,0]
	v_mov_b32_e32 v57, v43
	ds_load_b64 v[42:43], v46 offset:136
	v_pk_add_f32 v[20:21], v[20:21], v[58:59] neg_lo:[0,1] neg_hi:[0,1]
	v_pk_add_f32 v[18:19], v[18:19], v[56:57] neg_lo:[0,1] neg_hi:[0,1]
	s_wait_dscnt 0x0
	v_pk_mul_f32 v[44:45], v[42:43], v[54:55] op_sel:[0,1]
	s_delay_alu instid0(VALU_DEP_1) | instskip(SKIP_1) | instid1(VALU_DEP_1)
	v_pk_fma_f32 v[54:55], v[42:43], v[52:53], v[44:45] op_sel:[0,0,1] op_sel_hi:[1,1,0] neg_lo:[0,0,1] neg_hi:[0,0,1]
	v_pk_fma_f32 v[42:43], v[42:43], v[52:53], v[44:45] op_sel:[0,0,1] op_sel_hi:[1,0,0]
	v_mov_b32_e32 v55, v43
	s_delay_alu instid0(VALU_DEP_1)
	v_pk_add_f32 v[40:41], v[40:41], v[54:55] neg_lo:[0,1] neg_hi:[0,1]
.LBB34_188:
	s_or_b32 exec_lo, exec_lo, s0
	v_lshl_add_u32 v42, v50, 3, v46
	s_barrier_signal -1
	s_barrier_wait -1
	ds_store_b64 v42, v[14:15]
	s_wait_dscnt 0x0
	s_barrier_signal -1
	s_barrier_wait -1
	ds_load_b64 v[42:43], v46 offset:72
	v_mov_b32_e32 v44, 9
	s_cmp_lt_i32 s14, 11
	s_cbranch_scc1 .LBB34_191
; %bb.189:
	v_add3_u32 v45, v47, 0, 0x50
	v_mov_b32_e32 v44, 9
	s_mov_b32 s0, 10
.LBB34_190:                             ; =>This Inner Loop Header: Depth=1
	ds_load_b64 v[52:53], v45
	s_wait_dscnt 0x1
	v_cmp_gt_f32_e32 vcc_lo, 0, v42
	v_cndmask_b32_e64 v54, v42, -v42, vcc_lo
	v_cmp_gt_f32_e32 vcc_lo, 0, v43
	v_cndmask_b32_e64 v56, v43, -v43, vcc_lo
	s_wait_dscnt 0x0
	v_cmp_gt_f32_e32 vcc_lo, 0, v52
	v_cndmask_b32_e64 v55, v52, -v52, vcc_lo
	v_cmp_gt_f32_e32 vcc_lo, 0, v53
	v_cndmask_b32_e64 v57, v53, -v53, vcc_lo
	s_delay_alu instid0(VALU_DEP_1) | instskip(NEXT) | instid1(VALU_DEP_1)
	v_pk_add_f32 v[54:55], v[54:55], v[56:57]
	v_cmp_lt_f32_e32 vcc_lo, v54, v55
	v_dual_cndmask_b32 v42, v42, v52 :: v_dual_add_nc_u32 v45, 8, v45
	v_cndmask_b32_e32 v43, v43, v53, vcc_lo
	v_cndmask_b32_e64 v44, v44, s0, vcc_lo
	s_add_co_i32 s0, s0, 1
	s_delay_alu instid0(SALU_CYCLE_1)
	s_cmp_lg_u32 s14, s0
	s_cbranch_scc1 .LBB34_190
.LBB34_191:
	s_wait_dscnt 0x0
	v_cmp_eq_f32_e32 vcc_lo, 0, v42
	v_cmp_eq_f32_e64 s0, 0, v43
	s_and_b32 s0, vcc_lo, s0
	s_delay_alu instid0(SALU_CYCLE_1) | instskip(NEXT) | instid1(SALU_CYCLE_1)
	s_and_saveexec_b32 s1, s0
	s_xor_b32 s0, exec_lo, s1
; %bb.192:
	v_cmp_ne_u32_e32 vcc_lo, 0, v49
	v_cndmask_b32_e32 v49, 10, v49, vcc_lo
; %bb.193:
	s_and_not1_saveexec_b32 s0, s0
	s_cbranch_execz .LBB34_199
; %bb.194:
	v_cmp_ngt_f32_e64 s1, |v42|, |v43|
	s_and_saveexec_b32 s15, s1
	s_delay_alu instid0(SALU_CYCLE_1)
	s_xor_b32 s1, exec_lo, s15
	s_cbranch_execz .LBB34_196
; %bb.195:
	v_div_scale_f32 v45, null, v43, v43, v42
	v_div_scale_f32 v53, vcc_lo, v42, v43, v42
	s_delay_alu instid0(VALU_DEP_2) | instskip(SKIP_1) | instid1(TRANS32_DEP_1)
	v_rcp_f32_e32 v51, v45
	v_nop
	v_fma_f32 v52, -v45, v51, 1.0
	s_delay_alu instid0(VALU_DEP_1) | instskip(NEXT) | instid1(VALU_DEP_1)
	v_fmac_f32_e32 v51, v52, v51
	v_mul_f32_e32 v52, v53, v51
	s_delay_alu instid0(VALU_DEP_1) | instskip(NEXT) | instid1(VALU_DEP_1)
	v_fma_f32 v54, -v45, v52, v53
	v_fmac_f32_e32 v52, v54, v51
	s_delay_alu instid0(VALU_DEP_1) | instskip(NEXT) | instid1(VALU_DEP_1)
	v_fma_f32 v45, -v45, v52, v53
	v_div_fmas_f32 v45, v45, v51, v52
	s_delay_alu instid0(VALU_DEP_1) | instskip(NEXT) | instid1(VALU_DEP_1)
	v_div_fixup_f32 v45, v45, v43, v42
	v_fmac_f32_e32 v43, v42, v45
	s_delay_alu instid0(VALU_DEP_1) | instskip(SKIP_1) | instid1(VALU_DEP_2)
	v_div_scale_f32 v42, null, v43, v43, 1.0
	v_div_scale_f32 v53, vcc_lo, 1.0, v43, 1.0
	v_rcp_f32_e32 v51, v42
	v_nop
	s_delay_alu instid0(TRANS32_DEP_1) | instskip(NEXT) | instid1(VALU_DEP_1)
	v_fma_f32 v52, -v42, v51, 1.0
	v_fmac_f32_e32 v51, v52, v51
	s_delay_alu instid0(VALU_DEP_1) | instskip(NEXT) | instid1(VALU_DEP_1)
	v_mul_f32_e32 v52, v53, v51
	v_fma_f32 v54, -v42, v52, v53
	s_delay_alu instid0(VALU_DEP_1) | instskip(NEXT) | instid1(VALU_DEP_1)
	v_fmac_f32_e32 v52, v54, v51
	v_fma_f32 v42, -v42, v52, v53
	s_delay_alu instid0(VALU_DEP_1) | instskip(NEXT) | instid1(VALU_DEP_1)
	v_div_fmas_f32 v42, v42, v51, v52
	v_div_fixup_f32 v43, v42, v43, 1.0
	s_delay_alu instid0(VALU_DEP_1)
	v_mul_f32_e32 v42, v45, v43
	v_xor_b32_e32 v43, 0x80000000, v43
.LBB34_196:
	s_and_not1_saveexec_b32 s1, s1
	s_cbranch_execz .LBB34_198
; %bb.197:
	s_delay_alu instid0(VALU_DEP_1) | instskip(SKIP_1) | instid1(VALU_DEP_2)
	v_div_scale_f32 v45, null, v42, v42, v43
	v_div_scale_f32 v53, vcc_lo, v43, v42, v43
	v_rcp_f32_e32 v51, v45
	v_nop
	s_delay_alu instid0(TRANS32_DEP_1) | instskip(NEXT) | instid1(VALU_DEP_1)
	v_fma_f32 v52, -v45, v51, 1.0
	v_fmac_f32_e32 v51, v52, v51
	s_delay_alu instid0(VALU_DEP_1) | instskip(NEXT) | instid1(VALU_DEP_1)
	v_mul_f32_e32 v52, v53, v51
	v_fma_f32 v54, -v45, v52, v53
	s_delay_alu instid0(VALU_DEP_1) | instskip(NEXT) | instid1(VALU_DEP_1)
	v_fmac_f32_e32 v52, v54, v51
	v_fma_f32 v45, -v45, v52, v53
	s_delay_alu instid0(VALU_DEP_1) | instskip(NEXT) | instid1(VALU_DEP_1)
	v_div_fmas_f32 v45, v45, v51, v52
	v_div_fixup_f32 v45, v45, v42, v43
	s_delay_alu instid0(VALU_DEP_1) | instskip(NEXT) | instid1(VALU_DEP_1)
	v_fmac_f32_e32 v42, v43, v45
	v_div_scale_f32 v43, null, v42, v42, 1.0
	s_delay_alu instid0(VALU_DEP_1) | instskip(SKIP_1) | instid1(TRANS32_DEP_1)
	v_rcp_f32_e32 v51, v43
	v_nop
	v_fma_f32 v52, -v43, v51, 1.0
	s_delay_alu instid0(VALU_DEP_1) | instskip(SKIP_1) | instid1(VALU_DEP_1)
	v_fmac_f32_e32 v51, v52, v51
	v_div_scale_f32 v52, vcc_lo, 1.0, v42, 1.0
	v_mul_f32_e32 v53, v52, v51
	s_delay_alu instid0(VALU_DEP_1) | instskip(NEXT) | instid1(VALU_DEP_1)
	v_fma_f32 v54, -v43, v53, v52
	v_fmac_f32_e32 v53, v54, v51
	s_delay_alu instid0(VALU_DEP_1) | instskip(NEXT) | instid1(VALU_DEP_1)
	v_fma_f32 v43, -v43, v53, v52
	v_div_fmas_f32 v43, v43, v51, v53
	s_delay_alu instid0(VALU_DEP_1) | instskip(NEXT) | instid1(VALU_DEP_1)
	v_div_fixup_f32 v42, v43, v42, 1.0
	v_mul_f32_e64 v43, v45, -v42
.LBB34_198:
	s_or_b32 exec_lo, exec_lo, s1
.LBB34_199:
	s_delay_alu instid0(SALU_CYCLE_1) | instskip(NEXT) | instid1(SALU_CYCLE_1)
	s_or_b32 exec_lo, exec_lo, s0
	s_mov_b32 s0, exec_lo
	v_cmpx_ne_u32_e64 v50, v44
	s_xor_b32 s0, exec_lo, s0
	s_cbranch_execz .LBB34_205
; %bb.200:
	s_mov_b32 s1, exec_lo
	v_cmpx_eq_u32_e32 9, v50
	s_cbranch_execz .LBB34_204
; %bb.201:
	v_cmp_ne_u32_e32 vcc_lo, 9, v44
	s_xor_b32 s15, s12, -1
	s_delay_alu instid0(SALU_CYCLE_1) | instskip(NEXT) | instid1(SALU_CYCLE_1)
	s_and_b32 s16, s15, vcc_lo
	s_and_saveexec_b32 s15, s16
	s_cbranch_execz .LBB34_203
; %bb.202:
	v_ashrrev_i32_e32 v45, 31, v44
	s_delay_alu instid0(VALU_DEP_1)
	v_lshl_add_u64 v[50:51], v[44:45], 2, v[30:31]
	s_clause 0x1
	global_load_b32 v45, v[50:51], off
	global_load_b32 v48, v[30:31], off offset:36
	s_wait_loadcnt 0x1
	global_store_b32 v[30:31], v45, off offset:36
	s_wait_loadcnt 0x0
	global_store_b32 v[50:51], v48, off
.LBB34_203:
	s_wait_xcnt 0x0
	s_or_b32 exec_lo, exec_lo, s15
	v_dual_mov_b32 v50, v44 :: v_dual_mov_b32 v48, v44
.LBB34_204:
	s_or_b32 exec_lo, exec_lo, s1
.LBB34_205:
	s_and_not1_saveexec_b32 s0, s0
	s_cbranch_execz .LBB34_207
; %bb.206:
	v_dual_mov_b32 v44, v16 :: v_dual_mov_b32 v45, v17
	v_dual_mov_b32 v52, v12 :: v_dual_mov_b32 v53, v13
	;; [unrolled: 1-line block ×7, first 2 shown]
	v_mov_b32_e32 v63, v19
	ds_store_2addr_b64 v46, v[44:45], v[52:53] offset0:10 offset1:11
	ds_store_2addr_b64 v46, v[54:55], v[56:57] offset0:12 offset1:13
	;; [unrolled: 1-line block ×4, first 2 shown]
.LBB34_207:
	s_or_b32 exec_lo, exec_lo, s0
	s_delay_alu instid0(SALU_CYCLE_1)
	s_mov_b32 s0, exec_lo
	s_wait_storecnt_dscnt 0x0
	s_barrier_signal -1
	s_barrier_wait -1
	v_cmpx_lt_i32_e32 9, v50
	s_cbranch_execz .LBB34_209
; %bb.208:
	v_pk_mul_f32 v[44:45], v[42:43], v[14:15] op_sel:[1,1] op_sel_hi:[0,1]
	s_delay_alu instid0(VALU_DEP_1)
	v_pk_fma_f32 v[52:53], v[42:43], v[14:15], v[44:45] op_sel_hi:[1,0,1] neg_lo:[0,0,1] neg_hi:[0,0,1]
	v_pk_fma_f32 v[54:55], v[42:43], v[14:15], v[44:45] op_sel_hi:[1,0,1]
	ds_load_2addr_b64 v[42:45], v46 offset0:10 offset1:11
	v_dual_mov_b32 v14, v52 :: v_dual_mov_b32 v15, v55
	s_wait_dscnt 0x0
	v_pk_mul_f32 v[56:57], v[42:43], v[54:55] op_sel:[0,1]
	s_delay_alu instid0(VALU_DEP_1) | instskip(SKIP_1) | instid1(VALU_DEP_1)
	v_pk_fma_f32 v[58:59], v[42:43], v[52:53], v[56:57] op_sel:[0,0,1] op_sel_hi:[1,1,0] neg_lo:[0,0,1] neg_hi:[0,0,1]
	v_pk_fma_f32 v[42:43], v[42:43], v[52:53], v[56:57] op_sel:[0,0,1] op_sel_hi:[1,0,0]
	v_mov_b32_e32 v59, v43
	v_pk_mul_f32 v[42:43], v[44:45], v[54:55] op_sel:[0,1]
	s_delay_alu instid0(VALU_DEP_1) | instskip(SKIP_1) | instid1(VALU_DEP_1)
	v_pk_fma_f32 v[56:57], v[44:45], v[52:53], v[42:43] op_sel:[0,0,1] op_sel_hi:[1,1,0] neg_lo:[0,0,1] neg_hi:[0,0,1]
	v_pk_fma_f32 v[42:43], v[44:45], v[52:53], v[42:43] op_sel:[0,0,1] op_sel_hi:[1,0,0]
	v_mov_b32_e32 v57, v43
	ds_load_2addr_b64 v[42:45], v46 offset0:12 offset1:13
	v_pk_add_f32 v[16:17], v[16:17], v[58:59] neg_lo:[0,1] neg_hi:[0,1]
	v_pk_add_f32 v[12:13], v[12:13], v[56:57] neg_lo:[0,1] neg_hi:[0,1]
	s_wait_dscnt 0x0
	v_pk_mul_f32 v[56:57], v[42:43], v[54:55] op_sel:[0,1]
	s_delay_alu instid0(VALU_DEP_1) | instskip(SKIP_2) | instid1(VALU_DEP_2)
	v_pk_fma_f32 v[58:59], v[42:43], v[52:53], v[56:57] op_sel:[0,0,1] op_sel_hi:[1,1,0] neg_lo:[0,0,1] neg_hi:[0,0,1]
	v_pk_fma_f32 v[42:43], v[42:43], v[52:53], v[56:57] op_sel:[0,0,1] op_sel_hi:[1,0,0]
	v_dual_mul_f32 v56, v45, v55 :: v_dual_mov_b32 v42, v45
	v_dual_mov_b32 v59, v43 :: v_dual_mov_b32 v43, v44
	s_delay_alu instid0(VALU_DEP_2) | instskip(SKIP_1) | instid1(VALU_DEP_3)
	v_pk_fma_f32 v[56:57], v[44:45], v[14:15], v[56:57] op_sel_hi:[1,1,0] neg_lo:[0,0,1] neg_hi:[0,0,1]
	v_mul_f32_e32 v44, v45, v52
	v_pk_add_f32 v[26:27], v[26:27], v[58:59] neg_lo:[0,1] neg_hi:[0,1]
	s_delay_alu instid0(VALU_DEP_2) | instskip(NEXT) | instid1(VALU_DEP_1)
	v_pk_fma_f32 v[42:43], v[42:43], v[14:15], v[44:45] op_sel_hi:[1,1,0]
	v_mov_b32_e32 v57, v43
	ds_load_2addr_b64 v[42:45], v46 offset0:14 offset1:15
	v_pk_add_f32 v[10:11], v[10:11], v[56:57] neg_lo:[0,1] neg_hi:[0,1]
	s_wait_dscnt 0x0
	v_pk_mul_f32 v[56:57], v[42:43], v[54:55] op_sel:[0,1]
	s_delay_alu instid0(VALU_DEP_1) | instskip(SKIP_1) | instid1(VALU_DEP_1)
	v_pk_fma_f32 v[58:59], v[42:43], v[52:53], v[56:57] op_sel:[0,0,1] op_sel_hi:[1,1,0] neg_lo:[0,0,1] neg_hi:[0,0,1]
	v_pk_fma_f32 v[42:43], v[42:43], v[52:53], v[56:57] op_sel:[0,0,1] op_sel_hi:[1,0,0]
	v_mov_b32_e32 v59, v43
	v_pk_mul_f32 v[42:43], v[44:45], v[54:55] op_sel:[0,1]
	s_delay_alu instid0(VALU_DEP_1) | instskip(SKIP_1) | instid1(VALU_DEP_1)
	v_pk_fma_f32 v[56:57], v[44:45], v[52:53], v[42:43] op_sel:[0,0,1] op_sel_hi:[1,1,0] neg_lo:[0,0,1] neg_hi:[0,0,1]
	v_pk_fma_f32 v[42:43], v[44:45], v[52:53], v[42:43] op_sel:[0,0,1] op_sel_hi:[1,0,0]
	v_mov_b32_e32 v57, v43
	ds_load_2addr_b64 v[42:45], v46 offset0:16 offset1:17
	v_pk_add_f32 v[24:25], v[24:25], v[58:59] neg_lo:[0,1] neg_hi:[0,1]
	v_pk_add_f32 v[20:21], v[20:21], v[56:57] neg_lo:[0,1] neg_hi:[0,1]
	s_wait_dscnt 0x0
	v_pk_mul_f32 v[56:57], v[42:43], v[54:55] op_sel:[0,1]
	s_delay_alu instid0(VALU_DEP_1) | instskip(SKIP_1) | instid1(VALU_DEP_1)
	v_pk_fma_f32 v[58:59], v[42:43], v[52:53], v[56:57] op_sel:[0,0,1] op_sel_hi:[1,1,0] neg_lo:[0,0,1] neg_hi:[0,0,1]
	v_pk_fma_f32 v[42:43], v[42:43], v[52:53], v[56:57] op_sel:[0,0,1] op_sel_hi:[1,0,0]
	v_mov_b32_e32 v59, v43
	v_pk_mul_f32 v[42:43], v[44:45], v[54:55] op_sel:[0,1]
	s_delay_alu instid0(VALU_DEP_1) | instskip(SKIP_1) | instid1(VALU_DEP_1)
	v_pk_fma_f32 v[54:55], v[44:45], v[52:53], v[42:43] op_sel:[0,0,1] op_sel_hi:[1,1,0] neg_lo:[0,0,1] neg_hi:[0,0,1]
	v_pk_fma_f32 v[42:43], v[44:45], v[52:53], v[42:43] op_sel:[0,0,1] op_sel_hi:[1,0,0]
	v_mov_b32_e32 v55, v43
	v_pk_add_f32 v[18:19], v[18:19], v[58:59] neg_lo:[0,1] neg_hi:[0,1]
	s_delay_alu instid0(VALU_DEP_2)
	v_pk_add_f32 v[40:41], v[40:41], v[54:55] neg_lo:[0,1] neg_hi:[0,1]
.LBB34_209:
	s_or_b32 exec_lo, exec_lo, s0
	v_lshl_add_u32 v42, v50, 3, v46
	s_barrier_signal -1
	s_barrier_wait -1
	ds_store_b64 v42, v[16:17]
	s_wait_dscnt 0x0
	s_barrier_signal -1
	s_barrier_wait -1
	ds_load_b64 v[42:43], v46 offset:80
	v_mov_b32_e32 v44, 10
	s_cmp_lt_i32 s14, 12
	s_cbranch_scc1 .LBB34_212
; %bb.210:
	v_add3_u32 v45, v47, 0, 0x58
	v_mov_b32_e32 v44, 10
	s_mov_b32 s0, 11
.LBB34_211:                             ; =>This Inner Loop Header: Depth=1
	ds_load_b64 v[52:53], v45
	s_wait_dscnt 0x1
	v_cmp_gt_f32_e32 vcc_lo, 0, v42
	v_cndmask_b32_e64 v54, v42, -v42, vcc_lo
	v_cmp_gt_f32_e32 vcc_lo, 0, v43
	v_cndmask_b32_e64 v56, v43, -v43, vcc_lo
	s_wait_dscnt 0x0
	v_cmp_gt_f32_e32 vcc_lo, 0, v52
	v_cndmask_b32_e64 v55, v52, -v52, vcc_lo
	v_cmp_gt_f32_e32 vcc_lo, 0, v53
	v_cndmask_b32_e64 v57, v53, -v53, vcc_lo
	s_delay_alu instid0(VALU_DEP_1) | instskip(NEXT) | instid1(VALU_DEP_1)
	v_pk_add_f32 v[54:55], v[54:55], v[56:57]
	v_cmp_lt_f32_e32 vcc_lo, v54, v55
	v_dual_cndmask_b32 v42, v42, v52 :: v_dual_add_nc_u32 v45, 8, v45
	v_cndmask_b32_e32 v43, v43, v53, vcc_lo
	v_cndmask_b32_e64 v44, v44, s0, vcc_lo
	s_add_co_i32 s0, s0, 1
	s_delay_alu instid0(SALU_CYCLE_1)
	s_cmp_lg_u32 s14, s0
	s_cbranch_scc1 .LBB34_211
.LBB34_212:
	s_wait_dscnt 0x0
	v_cmp_eq_f32_e32 vcc_lo, 0, v42
	v_cmp_eq_f32_e64 s0, 0, v43
	s_and_b32 s0, vcc_lo, s0
	s_delay_alu instid0(SALU_CYCLE_1) | instskip(NEXT) | instid1(SALU_CYCLE_1)
	s_and_saveexec_b32 s1, s0
	s_xor_b32 s0, exec_lo, s1
; %bb.213:
	v_cmp_ne_u32_e32 vcc_lo, 0, v49
	v_cndmask_b32_e32 v49, 11, v49, vcc_lo
; %bb.214:
	s_and_not1_saveexec_b32 s0, s0
	s_cbranch_execz .LBB34_220
; %bb.215:
	v_cmp_ngt_f32_e64 s1, |v42|, |v43|
	s_and_saveexec_b32 s15, s1
	s_delay_alu instid0(SALU_CYCLE_1)
	s_xor_b32 s1, exec_lo, s15
	s_cbranch_execz .LBB34_217
; %bb.216:
	v_div_scale_f32 v45, null, v43, v43, v42
	v_div_scale_f32 v53, vcc_lo, v42, v43, v42
	s_delay_alu instid0(VALU_DEP_2) | instskip(SKIP_1) | instid1(TRANS32_DEP_1)
	v_rcp_f32_e32 v51, v45
	v_nop
	v_fma_f32 v52, -v45, v51, 1.0
	s_delay_alu instid0(VALU_DEP_1) | instskip(NEXT) | instid1(VALU_DEP_1)
	v_fmac_f32_e32 v51, v52, v51
	v_mul_f32_e32 v52, v53, v51
	s_delay_alu instid0(VALU_DEP_1) | instskip(NEXT) | instid1(VALU_DEP_1)
	v_fma_f32 v54, -v45, v52, v53
	v_fmac_f32_e32 v52, v54, v51
	s_delay_alu instid0(VALU_DEP_1) | instskip(NEXT) | instid1(VALU_DEP_1)
	v_fma_f32 v45, -v45, v52, v53
	v_div_fmas_f32 v45, v45, v51, v52
	s_delay_alu instid0(VALU_DEP_1) | instskip(NEXT) | instid1(VALU_DEP_1)
	v_div_fixup_f32 v45, v45, v43, v42
	v_fmac_f32_e32 v43, v42, v45
	s_delay_alu instid0(VALU_DEP_1) | instskip(SKIP_1) | instid1(VALU_DEP_2)
	v_div_scale_f32 v42, null, v43, v43, 1.0
	v_div_scale_f32 v53, vcc_lo, 1.0, v43, 1.0
	v_rcp_f32_e32 v51, v42
	v_nop
	s_delay_alu instid0(TRANS32_DEP_1) | instskip(NEXT) | instid1(VALU_DEP_1)
	v_fma_f32 v52, -v42, v51, 1.0
	v_fmac_f32_e32 v51, v52, v51
	s_delay_alu instid0(VALU_DEP_1) | instskip(NEXT) | instid1(VALU_DEP_1)
	v_mul_f32_e32 v52, v53, v51
	v_fma_f32 v54, -v42, v52, v53
	s_delay_alu instid0(VALU_DEP_1) | instskip(NEXT) | instid1(VALU_DEP_1)
	v_fmac_f32_e32 v52, v54, v51
	v_fma_f32 v42, -v42, v52, v53
	s_delay_alu instid0(VALU_DEP_1) | instskip(NEXT) | instid1(VALU_DEP_1)
	v_div_fmas_f32 v42, v42, v51, v52
	v_div_fixup_f32 v43, v42, v43, 1.0
	s_delay_alu instid0(VALU_DEP_1)
	v_mul_f32_e32 v42, v45, v43
	v_xor_b32_e32 v43, 0x80000000, v43
.LBB34_217:
	s_and_not1_saveexec_b32 s1, s1
	s_cbranch_execz .LBB34_219
; %bb.218:
	s_delay_alu instid0(VALU_DEP_1) | instskip(SKIP_1) | instid1(VALU_DEP_2)
	v_div_scale_f32 v45, null, v42, v42, v43
	v_div_scale_f32 v53, vcc_lo, v43, v42, v43
	v_rcp_f32_e32 v51, v45
	v_nop
	s_delay_alu instid0(TRANS32_DEP_1) | instskip(NEXT) | instid1(VALU_DEP_1)
	v_fma_f32 v52, -v45, v51, 1.0
	v_fmac_f32_e32 v51, v52, v51
	s_delay_alu instid0(VALU_DEP_1) | instskip(NEXT) | instid1(VALU_DEP_1)
	v_mul_f32_e32 v52, v53, v51
	v_fma_f32 v54, -v45, v52, v53
	s_delay_alu instid0(VALU_DEP_1) | instskip(NEXT) | instid1(VALU_DEP_1)
	v_fmac_f32_e32 v52, v54, v51
	v_fma_f32 v45, -v45, v52, v53
	s_delay_alu instid0(VALU_DEP_1) | instskip(NEXT) | instid1(VALU_DEP_1)
	v_div_fmas_f32 v45, v45, v51, v52
	v_div_fixup_f32 v45, v45, v42, v43
	s_delay_alu instid0(VALU_DEP_1) | instskip(NEXT) | instid1(VALU_DEP_1)
	v_fmac_f32_e32 v42, v43, v45
	v_div_scale_f32 v43, null, v42, v42, 1.0
	s_delay_alu instid0(VALU_DEP_1) | instskip(SKIP_1) | instid1(TRANS32_DEP_1)
	v_rcp_f32_e32 v51, v43
	v_nop
	v_fma_f32 v52, -v43, v51, 1.0
	s_delay_alu instid0(VALU_DEP_1) | instskip(SKIP_1) | instid1(VALU_DEP_1)
	v_fmac_f32_e32 v51, v52, v51
	v_div_scale_f32 v52, vcc_lo, 1.0, v42, 1.0
	v_mul_f32_e32 v53, v52, v51
	s_delay_alu instid0(VALU_DEP_1) | instskip(NEXT) | instid1(VALU_DEP_1)
	v_fma_f32 v54, -v43, v53, v52
	v_fmac_f32_e32 v53, v54, v51
	s_delay_alu instid0(VALU_DEP_1) | instskip(NEXT) | instid1(VALU_DEP_1)
	v_fma_f32 v43, -v43, v53, v52
	v_div_fmas_f32 v43, v43, v51, v53
	s_delay_alu instid0(VALU_DEP_1) | instskip(NEXT) | instid1(VALU_DEP_1)
	v_div_fixup_f32 v42, v43, v42, 1.0
	v_mul_f32_e64 v43, v45, -v42
.LBB34_219:
	s_or_b32 exec_lo, exec_lo, s1
.LBB34_220:
	s_delay_alu instid0(SALU_CYCLE_1) | instskip(NEXT) | instid1(SALU_CYCLE_1)
	s_or_b32 exec_lo, exec_lo, s0
	s_mov_b32 s0, exec_lo
	v_cmpx_ne_u32_e64 v50, v44
	s_xor_b32 s0, exec_lo, s0
	s_cbranch_execz .LBB34_226
; %bb.221:
	s_mov_b32 s1, exec_lo
	v_cmpx_eq_u32_e32 10, v50
	s_cbranch_execz .LBB34_225
; %bb.222:
	v_cmp_ne_u32_e32 vcc_lo, 10, v44
	s_xor_b32 s15, s12, -1
	s_delay_alu instid0(SALU_CYCLE_1) | instskip(NEXT) | instid1(SALU_CYCLE_1)
	s_and_b32 s16, s15, vcc_lo
	s_and_saveexec_b32 s15, s16
	s_cbranch_execz .LBB34_224
; %bb.223:
	v_ashrrev_i32_e32 v45, 31, v44
	s_delay_alu instid0(VALU_DEP_1)
	v_lshl_add_u64 v[50:51], v[44:45], 2, v[30:31]
	s_clause 0x1
	global_load_b32 v45, v[50:51], off
	global_load_b32 v48, v[30:31], off offset:40
	s_wait_loadcnt 0x1
	global_store_b32 v[30:31], v45, off offset:40
	s_wait_loadcnt 0x0
	global_store_b32 v[50:51], v48, off
.LBB34_224:
	s_wait_xcnt 0x0
	s_or_b32 exec_lo, exec_lo, s15
	v_dual_mov_b32 v50, v44 :: v_dual_mov_b32 v48, v44
.LBB34_225:
	s_or_b32 exec_lo, exec_lo, s1
.LBB34_226:
	s_and_not1_saveexec_b32 s0, s0
	s_cbranch_execz .LBB34_228
; %bb.227:
	v_mov_b32_e32 v50, 10
	ds_store_2addr_b64 v46, v[12:13], v[26:27] offset0:11 offset1:12
	ds_store_2addr_b64 v46, v[10:11], v[24:25] offset0:13 offset1:14
	;; [unrolled: 1-line block ×3, first 2 shown]
	ds_store_b64 v46, v[40:41] offset:136
.LBB34_228:
	s_or_b32 exec_lo, exec_lo, s0
	s_delay_alu instid0(SALU_CYCLE_1)
	s_mov_b32 s0, exec_lo
	s_wait_storecnt_dscnt 0x0
	s_barrier_signal -1
	s_barrier_wait -1
	v_cmpx_lt_i32_e32 10, v50
	s_cbranch_execz .LBB34_230
; %bb.229:
	v_pk_mul_f32 v[44:45], v[42:43], v[16:17] op_sel:[1,1] op_sel_hi:[0,1]
	s_delay_alu instid0(VALU_DEP_1)
	v_pk_fma_f32 v[52:53], v[42:43], v[16:17], v[44:45] op_sel_hi:[1,0,1] neg_lo:[0,0,1] neg_hi:[0,0,1]
	v_pk_fma_f32 v[54:55], v[42:43], v[16:17], v[44:45] op_sel_hi:[1,0,1]
	ds_load_2addr_b64 v[42:45], v46 offset0:11 offset1:12
	v_dual_mov_b32 v16, v52 :: v_dual_mov_b32 v17, v55
	s_wait_dscnt 0x0
	v_pk_mul_f32 v[56:57], v[42:43], v[54:55] op_sel:[0,1]
	s_delay_alu instid0(VALU_DEP_1) | instskip(SKIP_1) | instid1(VALU_DEP_1)
	v_pk_fma_f32 v[58:59], v[42:43], v[52:53], v[56:57] op_sel:[0,0,1] op_sel_hi:[1,1,0] neg_lo:[0,0,1] neg_hi:[0,0,1]
	v_pk_fma_f32 v[42:43], v[42:43], v[52:53], v[56:57] op_sel:[0,0,1] op_sel_hi:[1,0,0]
	v_mov_b32_e32 v59, v43
	v_pk_mul_f32 v[42:43], v[44:45], v[54:55] op_sel:[0,1]
	s_delay_alu instid0(VALU_DEP_1) | instskip(SKIP_1) | instid1(VALU_DEP_1)
	v_pk_fma_f32 v[56:57], v[44:45], v[52:53], v[42:43] op_sel:[0,0,1] op_sel_hi:[1,1,0] neg_lo:[0,0,1] neg_hi:[0,0,1]
	v_pk_fma_f32 v[42:43], v[44:45], v[52:53], v[42:43] op_sel:[0,0,1] op_sel_hi:[1,0,0]
	v_mov_b32_e32 v57, v43
	ds_load_2addr_b64 v[42:45], v46 offset0:13 offset1:14
	v_pk_add_f32 v[12:13], v[12:13], v[58:59] neg_lo:[0,1] neg_hi:[0,1]
	v_pk_add_f32 v[26:27], v[26:27], v[56:57] neg_lo:[0,1] neg_hi:[0,1]
	s_wait_dscnt 0x0
	v_pk_mul_f32 v[56:57], v[42:43], v[54:55] op_sel:[0,1]
	s_delay_alu instid0(VALU_DEP_1) | instskip(SKIP_2) | instid1(VALU_DEP_2)
	v_pk_fma_f32 v[58:59], v[42:43], v[52:53], v[56:57] op_sel:[0,0,1] op_sel_hi:[1,1,0] neg_lo:[0,0,1] neg_hi:[0,0,1]
	v_pk_fma_f32 v[42:43], v[42:43], v[52:53], v[56:57] op_sel:[0,0,1] op_sel_hi:[1,0,0]
	v_dual_mul_f32 v56, v45, v55 :: v_dual_mov_b32 v42, v45
	v_dual_mov_b32 v59, v43 :: v_dual_mov_b32 v43, v44
	s_delay_alu instid0(VALU_DEP_2) | instskip(SKIP_1) | instid1(VALU_DEP_3)
	v_pk_fma_f32 v[56:57], v[44:45], v[16:17], v[56:57] op_sel_hi:[1,1,0] neg_lo:[0,0,1] neg_hi:[0,0,1]
	v_mul_f32_e32 v44, v45, v52
	v_pk_add_f32 v[10:11], v[10:11], v[58:59] neg_lo:[0,1] neg_hi:[0,1]
	s_delay_alu instid0(VALU_DEP_2) | instskip(NEXT) | instid1(VALU_DEP_1)
	v_pk_fma_f32 v[42:43], v[42:43], v[16:17], v[44:45] op_sel_hi:[1,1,0]
	v_mov_b32_e32 v57, v43
	ds_load_2addr_b64 v[42:45], v46 offset0:15 offset1:16
	v_pk_add_f32 v[24:25], v[24:25], v[56:57] neg_lo:[0,1] neg_hi:[0,1]
	s_wait_dscnt 0x0
	v_pk_mul_f32 v[56:57], v[42:43], v[54:55] op_sel:[0,1]
	s_delay_alu instid0(VALU_DEP_1) | instskip(SKIP_1) | instid1(VALU_DEP_1)
	v_pk_fma_f32 v[58:59], v[42:43], v[52:53], v[56:57] op_sel:[0,0,1] op_sel_hi:[1,1,0] neg_lo:[0,0,1] neg_hi:[0,0,1]
	v_pk_fma_f32 v[42:43], v[42:43], v[52:53], v[56:57] op_sel:[0,0,1] op_sel_hi:[1,0,0]
	v_mov_b32_e32 v59, v43
	v_pk_mul_f32 v[42:43], v[44:45], v[54:55] op_sel:[0,1]
	s_delay_alu instid0(VALU_DEP_1) | instskip(SKIP_1) | instid1(VALU_DEP_1)
	v_pk_fma_f32 v[56:57], v[44:45], v[52:53], v[42:43] op_sel:[0,0,1] op_sel_hi:[1,1,0] neg_lo:[0,0,1] neg_hi:[0,0,1]
	v_pk_fma_f32 v[42:43], v[44:45], v[52:53], v[42:43] op_sel:[0,0,1] op_sel_hi:[1,0,0]
	v_mov_b32_e32 v57, v43
	ds_load_b64 v[42:43], v46 offset:136
	v_pk_add_f32 v[20:21], v[20:21], v[58:59] neg_lo:[0,1] neg_hi:[0,1]
	v_pk_add_f32 v[18:19], v[18:19], v[56:57] neg_lo:[0,1] neg_hi:[0,1]
	s_wait_dscnt 0x0
	v_pk_mul_f32 v[44:45], v[42:43], v[54:55] op_sel:[0,1]
	s_delay_alu instid0(VALU_DEP_1) | instskip(SKIP_1) | instid1(VALU_DEP_1)
	v_pk_fma_f32 v[54:55], v[42:43], v[52:53], v[44:45] op_sel:[0,0,1] op_sel_hi:[1,1,0] neg_lo:[0,0,1] neg_hi:[0,0,1]
	v_pk_fma_f32 v[42:43], v[42:43], v[52:53], v[44:45] op_sel:[0,0,1] op_sel_hi:[1,0,0]
	v_mov_b32_e32 v55, v43
	s_delay_alu instid0(VALU_DEP_1)
	v_pk_add_f32 v[40:41], v[40:41], v[54:55] neg_lo:[0,1] neg_hi:[0,1]
.LBB34_230:
	s_or_b32 exec_lo, exec_lo, s0
	v_lshl_add_u32 v42, v50, 3, v46
	s_barrier_signal -1
	s_barrier_wait -1
	ds_store_b64 v42, v[12:13]
	s_wait_dscnt 0x0
	s_barrier_signal -1
	s_barrier_wait -1
	ds_load_b64 v[42:43], v46 offset:88
	v_mov_b32_e32 v44, 11
	s_cmp_lt_i32 s14, 13
	s_cbranch_scc1 .LBB34_233
; %bb.231:
	v_add3_u32 v45, v47, 0, 0x60
	v_mov_b32_e32 v44, 11
	s_mov_b32 s0, 12
.LBB34_232:                             ; =>This Inner Loop Header: Depth=1
	ds_load_b64 v[52:53], v45
	s_wait_dscnt 0x1
	v_cmp_gt_f32_e32 vcc_lo, 0, v42
	v_cndmask_b32_e64 v54, v42, -v42, vcc_lo
	v_cmp_gt_f32_e32 vcc_lo, 0, v43
	v_cndmask_b32_e64 v56, v43, -v43, vcc_lo
	s_wait_dscnt 0x0
	v_cmp_gt_f32_e32 vcc_lo, 0, v52
	v_cndmask_b32_e64 v55, v52, -v52, vcc_lo
	v_cmp_gt_f32_e32 vcc_lo, 0, v53
	v_cndmask_b32_e64 v57, v53, -v53, vcc_lo
	s_delay_alu instid0(VALU_DEP_1) | instskip(NEXT) | instid1(VALU_DEP_1)
	v_pk_add_f32 v[54:55], v[54:55], v[56:57]
	v_cmp_lt_f32_e32 vcc_lo, v54, v55
	v_dual_cndmask_b32 v42, v42, v52 :: v_dual_add_nc_u32 v45, 8, v45
	v_cndmask_b32_e32 v43, v43, v53, vcc_lo
	v_cndmask_b32_e64 v44, v44, s0, vcc_lo
	s_add_co_i32 s0, s0, 1
	s_delay_alu instid0(SALU_CYCLE_1)
	s_cmp_lg_u32 s14, s0
	s_cbranch_scc1 .LBB34_232
.LBB34_233:
	s_wait_dscnt 0x0
	v_cmp_eq_f32_e32 vcc_lo, 0, v42
	v_cmp_eq_f32_e64 s0, 0, v43
	s_and_b32 s0, vcc_lo, s0
	s_delay_alu instid0(SALU_CYCLE_1) | instskip(NEXT) | instid1(SALU_CYCLE_1)
	s_and_saveexec_b32 s1, s0
	s_xor_b32 s0, exec_lo, s1
; %bb.234:
	v_cmp_ne_u32_e32 vcc_lo, 0, v49
	v_cndmask_b32_e32 v49, 12, v49, vcc_lo
; %bb.235:
	s_and_not1_saveexec_b32 s0, s0
	s_cbranch_execz .LBB34_241
; %bb.236:
	v_cmp_ngt_f32_e64 s1, |v42|, |v43|
	s_and_saveexec_b32 s15, s1
	s_delay_alu instid0(SALU_CYCLE_1)
	s_xor_b32 s1, exec_lo, s15
	s_cbranch_execz .LBB34_238
; %bb.237:
	v_div_scale_f32 v45, null, v43, v43, v42
	v_div_scale_f32 v53, vcc_lo, v42, v43, v42
	s_delay_alu instid0(VALU_DEP_2) | instskip(SKIP_1) | instid1(TRANS32_DEP_1)
	v_rcp_f32_e32 v51, v45
	v_nop
	v_fma_f32 v52, -v45, v51, 1.0
	s_delay_alu instid0(VALU_DEP_1) | instskip(NEXT) | instid1(VALU_DEP_1)
	v_fmac_f32_e32 v51, v52, v51
	v_mul_f32_e32 v52, v53, v51
	s_delay_alu instid0(VALU_DEP_1) | instskip(NEXT) | instid1(VALU_DEP_1)
	v_fma_f32 v54, -v45, v52, v53
	v_fmac_f32_e32 v52, v54, v51
	s_delay_alu instid0(VALU_DEP_1) | instskip(NEXT) | instid1(VALU_DEP_1)
	v_fma_f32 v45, -v45, v52, v53
	v_div_fmas_f32 v45, v45, v51, v52
	s_delay_alu instid0(VALU_DEP_1) | instskip(NEXT) | instid1(VALU_DEP_1)
	v_div_fixup_f32 v45, v45, v43, v42
	v_fmac_f32_e32 v43, v42, v45
	s_delay_alu instid0(VALU_DEP_1) | instskip(SKIP_1) | instid1(VALU_DEP_2)
	v_div_scale_f32 v42, null, v43, v43, 1.0
	v_div_scale_f32 v53, vcc_lo, 1.0, v43, 1.0
	v_rcp_f32_e32 v51, v42
	v_nop
	s_delay_alu instid0(TRANS32_DEP_1) | instskip(NEXT) | instid1(VALU_DEP_1)
	v_fma_f32 v52, -v42, v51, 1.0
	v_fmac_f32_e32 v51, v52, v51
	s_delay_alu instid0(VALU_DEP_1) | instskip(NEXT) | instid1(VALU_DEP_1)
	v_mul_f32_e32 v52, v53, v51
	v_fma_f32 v54, -v42, v52, v53
	s_delay_alu instid0(VALU_DEP_1) | instskip(NEXT) | instid1(VALU_DEP_1)
	v_fmac_f32_e32 v52, v54, v51
	v_fma_f32 v42, -v42, v52, v53
	s_delay_alu instid0(VALU_DEP_1) | instskip(NEXT) | instid1(VALU_DEP_1)
	v_div_fmas_f32 v42, v42, v51, v52
	v_div_fixup_f32 v43, v42, v43, 1.0
	s_delay_alu instid0(VALU_DEP_1)
	v_mul_f32_e32 v42, v45, v43
	v_xor_b32_e32 v43, 0x80000000, v43
.LBB34_238:
	s_and_not1_saveexec_b32 s1, s1
	s_cbranch_execz .LBB34_240
; %bb.239:
	s_delay_alu instid0(VALU_DEP_1) | instskip(SKIP_1) | instid1(VALU_DEP_2)
	v_div_scale_f32 v45, null, v42, v42, v43
	v_div_scale_f32 v53, vcc_lo, v43, v42, v43
	v_rcp_f32_e32 v51, v45
	v_nop
	s_delay_alu instid0(TRANS32_DEP_1) | instskip(NEXT) | instid1(VALU_DEP_1)
	v_fma_f32 v52, -v45, v51, 1.0
	v_fmac_f32_e32 v51, v52, v51
	s_delay_alu instid0(VALU_DEP_1) | instskip(NEXT) | instid1(VALU_DEP_1)
	v_mul_f32_e32 v52, v53, v51
	v_fma_f32 v54, -v45, v52, v53
	s_delay_alu instid0(VALU_DEP_1) | instskip(NEXT) | instid1(VALU_DEP_1)
	v_fmac_f32_e32 v52, v54, v51
	v_fma_f32 v45, -v45, v52, v53
	s_delay_alu instid0(VALU_DEP_1) | instskip(NEXT) | instid1(VALU_DEP_1)
	v_div_fmas_f32 v45, v45, v51, v52
	v_div_fixup_f32 v45, v45, v42, v43
	s_delay_alu instid0(VALU_DEP_1) | instskip(NEXT) | instid1(VALU_DEP_1)
	v_fmac_f32_e32 v42, v43, v45
	v_div_scale_f32 v43, null, v42, v42, 1.0
	s_delay_alu instid0(VALU_DEP_1) | instskip(SKIP_1) | instid1(TRANS32_DEP_1)
	v_rcp_f32_e32 v51, v43
	v_nop
	v_fma_f32 v52, -v43, v51, 1.0
	s_delay_alu instid0(VALU_DEP_1) | instskip(SKIP_1) | instid1(VALU_DEP_1)
	v_fmac_f32_e32 v51, v52, v51
	v_div_scale_f32 v52, vcc_lo, 1.0, v42, 1.0
	v_mul_f32_e32 v53, v52, v51
	s_delay_alu instid0(VALU_DEP_1) | instskip(NEXT) | instid1(VALU_DEP_1)
	v_fma_f32 v54, -v43, v53, v52
	v_fmac_f32_e32 v53, v54, v51
	s_delay_alu instid0(VALU_DEP_1) | instskip(NEXT) | instid1(VALU_DEP_1)
	v_fma_f32 v43, -v43, v53, v52
	v_div_fmas_f32 v43, v43, v51, v53
	s_delay_alu instid0(VALU_DEP_1) | instskip(NEXT) | instid1(VALU_DEP_1)
	v_div_fixup_f32 v42, v43, v42, 1.0
	v_mul_f32_e64 v43, v45, -v42
.LBB34_240:
	s_or_b32 exec_lo, exec_lo, s1
.LBB34_241:
	s_delay_alu instid0(SALU_CYCLE_1) | instskip(NEXT) | instid1(SALU_CYCLE_1)
	s_or_b32 exec_lo, exec_lo, s0
	s_mov_b32 s0, exec_lo
	v_cmpx_ne_u32_e64 v50, v44
	s_xor_b32 s0, exec_lo, s0
	s_cbranch_execz .LBB34_247
; %bb.242:
	s_mov_b32 s1, exec_lo
	v_cmpx_eq_u32_e32 11, v50
	s_cbranch_execz .LBB34_246
; %bb.243:
	v_cmp_ne_u32_e32 vcc_lo, 11, v44
	s_xor_b32 s15, s12, -1
	s_delay_alu instid0(SALU_CYCLE_1) | instskip(NEXT) | instid1(SALU_CYCLE_1)
	s_and_b32 s16, s15, vcc_lo
	s_and_saveexec_b32 s15, s16
	s_cbranch_execz .LBB34_245
; %bb.244:
	v_ashrrev_i32_e32 v45, 31, v44
	s_delay_alu instid0(VALU_DEP_1)
	v_lshl_add_u64 v[50:51], v[44:45], 2, v[30:31]
	s_clause 0x1
	global_load_b32 v45, v[50:51], off
	global_load_b32 v48, v[30:31], off offset:44
	s_wait_loadcnt 0x1
	global_store_b32 v[30:31], v45, off offset:44
	s_wait_loadcnt 0x0
	global_store_b32 v[50:51], v48, off
.LBB34_245:
	s_wait_xcnt 0x0
	s_or_b32 exec_lo, exec_lo, s15
	v_dual_mov_b32 v50, v44 :: v_dual_mov_b32 v48, v44
.LBB34_246:
	s_or_b32 exec_lo, exec_lo, s1
.LBB34_247:
	s_and_not1_saveexec_b32 s0, s0
	s_cbranch_execz .LBB34_249
; %bb.248:
	v_dual_mov_b32 v44, v26 :: v_dual_mov_b32 v45, v27
	v_dual_mov_b32 v52, v10 :: v_dual_mov_b32 v53, v11
	;; [unrolled: 1-line block ×5, first 2 shown]
	v_mov_b32_e32 v59, v19
	ds_store_2addr_b64 v46, v[44:45], v[52:53] offset0:12 offset1:13
	ds_store_2addr_b64 v46, v[54:55], v[56:57] offset0:14 offset1:15
	;; [unrolled: 1-line block ×3, first 2 shown]
.LBB34_249:
	s_or_b32 exec_lo, exec_lo, s0
	s_delay_alu instid0(SALU_CYCLE_1)
	s_mov_b32 s0, exec_lo
	s_wait_storecnt_dscnt 0x0
	s_barrier_signal -1
	s_barrier_wait -1
	v_cmpx_lt_i32_e32 11, v50
	s_cbranch_execz .LBB34_251
; %bb.250:
	v_pk_mul_f32 v[44:45], v[42:43], v[12:13] op_sel:[1,1] op_sel_hi:[0,1]
	s_delay_alu instid0(VALU_DEP_1)
	v_pk_fma_f32 v[52:53], v[42:43], v[12:13], v[44:45] op_sel_hi:[1,0,1] neg_lo:[0,0,1] neg_hi:[0,0,1]
	v_pk_fma_f32 v[54:55], v[42:43], v[12:13], v[44:45] op_sel_hi:[1,0,1]
	ds_load_2addr_b64 v[42:45], v46 offset0:12 offset1:13
	v_dual_mov_b32 v12, v52 :: v_dual_mov_b32 v13, v55
	s_wait_dscnt 0x0
	v_pk_mul_f32 v[56:57], v[42:43], v[54:55] op_sel:[0,1]
	s_delay_alu instid0(VALU_DEP_1) | instskip(SKIP_1) | instid1(VALU_DEP_1)
	v_pk_fma_f32 v[58:59], v[42:43], v[52:53], v[56:57] op_sel:[0,0,1] op_sel_hi:[1,1,0] neg_lo:[0,0,1] neg_hi:[0,0,1]
	v_pk_fma_f32 v[42:43], v[42:43], v[52:53], v[56:57] op_sel:[0,0,1] op_sel_hi:[1,0,0]
	v_mov_b32_e32 v59, v43
	v_pk_mul_f32 v[42:43], v[44:45], v[54:55] op_sel:[0,1]
	s_delay_alu instid0(VALU_DEP_1) | instskip(SKIP_1) | instid1(VALU_DEP_1)
	v_pk_fma_f32 v[56:57], v[44:45], v[52:53], v[42:43] op_sel:[0,0,1] op_sel_hi:[1,1,0] neg_lo:[0,0,1] neg_hi:[0,0,1]
	v_pk_fma_f32 v[42:43], v[44:45], v[52:53], v[42:43] op_sel:[0,0,1] op_sel_hi:[1,0,0]
	v_mov_b32_e32 v57, v43
	ds_load_2addr_b64 v[42:45], v46 offset0:14 offset1:15
	v_pk_add_f32 v[26:27], v[26:27], v[58:59] neg_lo:[0,1] neg_hi:[0,1]
	v_pk_add_f32 v[10:11], v[10:11], v[56:57] neg_lo:[0,1] neg_hi:[0,1]
	s_wait_dscnt 0x0
	v_pk_mul_f32 v[56:57], v[42:43], v[54:55] op_sel:[0,1]
	s_delay_alu instid0(VALU_DEP_1) | instskip(SKIP_2) | instid1(VALU_DEP_2)
	v_pk_fma_f32 v[58:59], v[42:43], v[52:53], v[56:57] op_sel:[0,0,1] op_sel_hi:[1,1,0] neg_lo:[0,0,1] neg_hi:[0,0,1]
	v_pk_fma_f32 v[42:43], v[42:43], v[52:53], v[56:57] op_sel:[0,0,1] op_sel_hi:[1,0,0]
	v_dual_mul_f32 v56, v45, v55 :: v_dual_mov_b32 v42, v45
	v_dual_mov_b32 v59, v43 :: v_dual_mov_b32 v43, v44
	s_delay_alu instid0(VALU_DEP_2) | instskip(SKIP_1) | instid1(VALU_DEP_3)
	v_pk_fma_f32 v[56:57], v[44:45], v[12:13], v[56:57] op_sel_hi:[1,1,0] neg_lo:[0,0,1] neg_hi:[0,0,1]
	v_mul_f32_e32 v44, v45, v52
	v_pk_add_f32 v[24:25], v[24:25], v[58:59] neg_lo:[0,1] neg_hi:[0,1]
	s_delay_alu instid0(VALU_DEP_2) | instskip(NEXT) | instid1(VALU_DEP_1)
	v_pk_fma_f32 v[42:43], v[42:43], v[12:13], v[44:45] op_sel_hi:[1,1,0]
	v_mov_b32_e32 v57, v43
	ds_load_2addr_b64 v[42:45], v46 offset0:16 offset1:17
	v_pk_add_f32 v[20:21], v[20:21], v[56:57] neg_lo:[0,1] neg_hi:[0,1]
	s_wait_dscnt 0x0
	v_pk_mul_f32 v[56:57], v[42:43], v[54:55] op_sel:[0,1]
	v_mul_f32_e32 v54, v45, v55
	s_delay_alu instid0(VALU_DEP_2) | instskip(SKIP_2) | instid1(VALU_DEP_4)
	v_pk_fma_f32 v[58:59], v[42:43], v[52:53], v[56:57] op_sel:[0,0,1] op_sel_hi:[1,1,0] neg_lo:[0,0,1] neg_hi:[0,0,1]
	v_pk_fma_f32 v[42:43], v[42:43], v[52:53], v[56:57] op_sel:[0,0,1] op_sel_hi:[1,0,0]
	v_mov_b32_e32 v42, v45
	v_pk_fma_f32 v[54:55], v[44:45], v[12:13], v[54:55] op_sel_hi:[1,1,0] neg_lo:[0,0,1] neg_hi:[0,0,1]
	s_delay_alu instid0(VALU_DEP_3) | instskip(SKIP_1) | instid1(VALU_DEP_2)
	v_dual_mov_b32 v59, v43 :: v_dual_mov_b32 v43, v44
	v_mul_f32_e32 v44, v45, v52
	v_pk_add_f32 v[18:19], v[18:19], v[58:59] neg_lo:[0,1] neg_hi:[0,1]
	s_delay_alu instid0(VALU_DEP_2) | instskip(NEXT) | instid1(VALU_DEP_1)
	v_pk_fma_f32 v[42:43], v[42:43], v[12:13], v[44:45] op_sel_hi:[1,1,0]
	v_mov_b32_e32 v55, v43
	s_delay_alu instid0(VALU_DEP_1)
	v_pk_add_f32 v[40:41], v[40:41], v[54:55] neg_lo:[0,1] neg_hi:[0,1]
.LBB34_251:
	s_or_b32 exec_lo, exec_lo, s0
	v_lshl_add_u32 v42, v50, 3, v46
	s_barrier_signal -1
	s_barrier_wait -1
	ds_store_b64 v42, v[26:27]
	s_wait_dscnt 0x0
	s_barrier_signal -1
	s_barrier_wait -1
	ds_load_b64 v[42:43], v46 offset:96
	v_mov_b32_e32 v44, 12
	s_cmp_lt_i32 s14, 14
	s_cbranch_scc1 .LBB34_254
; %bb.252:
	v_add3_u32 v45, v47, 0, 0x68
	v_mov_b32_e32 v44, 12
	s_mov_b32 s0, 13
.LBB34_253:                             ; =>This Inner Loop Header: Depth=1
	ds_load_b64 v[52:53], v45
	s_wait_dscnt 0x1
	v_cmp_gt_f32_e32 vcc_lo, 0, v42
	v_cndmask_b32_e64 v54, v42, -v42, vcc_lo
	v_cmp_gt_f32_e32 vcc_lo, 0, v43
	v_cndmask_b32_e64 v56, v43, -v43, vcc_lo
	s_wait_dscnt 0x0
	v_cmp_gt_f32_e32 vcc_lo, 0, v52
	v_cndmask_b32_e64 v55, v52, -v52, vcc_lo
	v_cmp_gt_f32_e32 vcc_lo, 0, v53
	v_cndmask_b32_e64 v57, v53, -v53, vcc_lo
	s_delay_alu instid0(VALU_DEP_1) | instskip(NEXT) | instid1(VALU_DEP_1)
	v_pk_add_f32 v[54:55], v[54:55], v[56:57]
	v_cmp_lt_f32_e32 vcc_lo, v54, v55
	v_dual_cndmask_b32 v42, v42, v52 :: v_dual_add_nc_u32 v45, 8, v45
	v_cndmask_b32_e32 v43, v43, v53, vcc_lo
	v_cndmask_b32_e64 v44, v44, s0, vcc_lo
	s_add_co_i32 s0, s0, 1
	s_delay_alu instid0(SALU_CYCLE_1)
	s_cmp_lg_u32 s14, s0
	s_cbranch_scc1 .LBB34_253
.LBB34_254:
	s_wait_dscnt 0x0
	v_cmp_eq_f32_e32 vcc_lo, 0, v42
	v_cmp_eq_f32_e64 s0, 0, v43
	s_and_b32 s0, vcc_lo, s0
	s_delay_alu instid0(SALU_CYCLE_1) | instskip(NEXT) | instid1(SALU_CYCLE_1)
	s_and_saveexec_b32 s1, s0
	s_xor_b32 s0, exec_lo, s1
; %bb.255:
	v_cmp_ne_u32_e32 vcc_lo, 0, v49
	v_cndmask_b32_e32 v49, 13, v49, vcc_lo
; %bb.256:
	s_and_not1_saveexec_b32 s0, s0
	s_cbranch_execz .LBB34_262
; %bb.257:
	v_cmp_ngt_f32_e64 s1, |v42|, |v43|
	s_and_saveexec_b32 s15, s1
	s_delay_alu instid0(SALU_CYCLE_1)
	s_xor_b32 s1, exec_lo, s15
	s_cbranch_execz .LBB34_259
; %bb.258:
	v_div_scale_f32 v45, null, v43, v43, v42
	v_div_scale_f32 v53, vcc_lo, v42, v43, v42
	s_delay_alu instid0(VALU_DEP_2) | instskip(SKIP_1) | instid1(TRANS32_DEP_1)
	v_rcp_f32_e32 v51, v45
	v_nop
	v_fma_f32 v52, -v45, v51, 1.0
	s_delay_alu instid0(VALU_DEP_1) | instskip(NEXT) | instid1(VALU_DEP_1)
	v_fmac_f32_e32 v51, v52, v51
	v_mul_f32_e32 v52, v53, v51
	s_delay_alu instid0(VALU_DEP_1) | instskip(NEXT) | instid1(VALU_DEP_1)
	v_fma_f32 v54, -v45, v52, v53
	v_fmac_f32_e32 v52, v54, v51
	s_delay_alu instid0(VALU_DEP_1) | instskip(NEXT) | instid1(VALU_DEP_1)
	v_fma_f32 v45, -v45, v52, v53
	v_div_fmas_f32 v45, v45, v51, v52
	s_delay_alu instid0(VALU_DEP_1) | instskip(NEXT) | instid1(VALU_DEP_1)
	v_div_fixup_f32 v45, v45, v43, v42
	v_fmac_f32_e32 v43, v42, v45
	s_delay_alu instid0(VALU_DEP_1) | instskip(SKIP_1) | instid1(VALU_DEP_2)
	v_div_scale_f32 v42, null, v43, v43, 1.0
	v_div_scale_f32 v53, vcc_lo, 1.0, v43, 1.0
	v_rcp_f32_e32 v51, v42
	v_nop
	s_delay_alu instid0(TRANS32_DEP_1) | instskip(NEXT) | instid1(VALU_DEP_1)
	v_fma_f32 v52, -v42, v51, 1.0
	v_fmac_f32_e32 v51, v52, v51
	s_delay_alu instid0(VALU_DEP_1) | instskip(NEXT) | instid1(VALU_DEP_1)
	v_mul_f32_e32 v52, v53, v51
	v_fma_f32 v54, -v42, v52, v53
	s_delay_alu instid0(VALU_DEP_1) | instskip(NEXT) | instid1(VALU_DEP_1)
	v_fmac_f32_e32 v52, v54, v51
	v_fma_f32 v42, -v42, v52, v53
	s_delay_alu instid0(VALU_DEP_1) | instskip(NEXT) | instid1(VALU_DEP_1)
	v_div_fmas_f32 v42, v42, v51, v52
	v_div_fixup_f32 v43, v42, v43, 1.0
	s_delay_alu instid0(VALU_DEP_1)
	v_mul_f32_e32 v42, v45, v43
	v_xor_b32_e32 v43, 0x80000000, v43
.LBB34_259:
	s_and_not1_saveexec_b32 s1, s1
	s_cbranch_execz .LBB34_261
; %bb.260:
	s_delay_alu instid0(VALU_DEP_1) | instskip(SKIP_1) | instid1(VALU_DEP_2)
	v_div_scale_f32 v45, null, v42, v42, v43
	v_div_scale_f32 v53, vcc_lo, v43, v42, v43
	v_rcp_f32_e32 v51, v45
	v_nop
	s_delay_alu instid0(TRANS32_DEP_1) | instskip(NEXT) | instid1(VALU_DEP_1)
	v_fma_f32 v52, -v45, v51, 1.0
	v_fmac_f32_e32 v51, v52, v51
	s_delay_alu instid0(VALU_DEP_1) | instskip(NEXT) | instid1(VALU_DEP_1)
	v_mul_f32_e32 v52, v53, v51
	v_fma_f32 v54, -v45, v52, v53
	s_delay_alu instid0(VALU_DEP_1) | instskip(NEXT) | instid1(VALU_DEP_1)
	v_fmac_f32_e32 v52, v54, v51
	v_fma_f32 v45, -v45, v52, v53
	s_delay_alu instid0(VALU_DEP_1) | instskip(NEXT) | instid1(VALU_DEP_1)
	v_div_fmas_f32 v45, v45, v51, v52
	v_div_fixup_f32 v45, v45, v42, v43
	s_delay_alu instid0(VALU_DEP_1) | instskip(NEXT) | instid1(VALU_DEP_1)
	v_fmac_f32_e32 v42, v43, v45
	v_div_scale_f32 v43, null, v42, v42, 1.0
	s_delay_alu instid0(VALU_DEP_1) | instskip(SKIP_1) | instid1(TRANS32_DEP_1)
	v_rcp_f32_e32 v51, v43
	v_nop
	v_fma_f32 v52, -v43, v51, 1.0
	s_delay_alu instid0(VALU_DEP_1) | instskip(SKIP_1) | instid1(VALU_DEP_1)
	v_fmac_f32_e32 v51, v52, v51
	v_div_scale_f32 v52, vcc_lo, 1.0, v42, 1.0
	v_mul_f32_e32 v53, v52, v51
	s_delay_alu instid0(VALU_DEP_1) | instskip(NEXT) | instid1(VALU_DEP_1)
	v_fma_f32 v54, -v43, v53, v52
	v_fmac_f32_e32 v53, v54, v51
	s_delay_alu instid0(VALU_DEP_1) | instskip(NEXT) | instid1(VALU_DEP_1)
	v_fma_f32 v43, -v43, v53, v52
	v_div_fmas_f32 v43, v43, v51, v53
	s_delay_alu instid0(VALU_DEP_1) | instskip(NEXT) | instid1(VALU_DEP_1)
	v_div_fixup_f32 v42, v43, v42, 1.0
	v_mul_f32_e64 v43, v45, -v42
.LBB34_261:
	s_or_b32 exec_lo, exec_lo, s1
.LBB34_262:
	s_delay_alu instid0(SALU_CYCLE_1) | instskip(NEXT) | instid1(SALU_CYCLE_1)
	s_or_b32 exec_lo, exec_lo, s0
	s_mov_b32 s0, exec_lo
	v_cmpx_ne_u32_e64 v50, v44
	s_xor_b32 s0, exec_lo, s0
	s_cbranch_execz .LBB34_268
; %bb.263:
	s_mov_b32 s1, exec_lo
	v_cmpx_eq_u32_e32 12, v50
	s_cbranch_execz .LBB34_267
; %bb.264:
	v_cmp_ne_u32_e32 vcc_lo, 12, v44
	s_xor_b32 s15, s12, -1
	s_delay_alu instid0(SALU_CYCLE_1) | instskip(NEXT) | instid1(SALU_CYCLE_1)
	s_and_b32 s16, s15, vcc_lo
	s_and_saveexec_b32 s15, s16
	s_cbranch_execz .LBB34_266
; %bb.265:
	v_ashrrev_i32_e32 v45, 31, v44
	s_delay_alu instid0(VALU_DEP_1)
	v_lshl_add_u64 v[50:51], v[44:45], 2, v[30:31]
	s_clause 0x1
	global_load_b32 v45, v[50:51], off
	global_load_b32 v48, v[30:31], off offset:48
	s_wait_loadcnt 0x1
	global_store_b32 v[30:31], v45, off offset:48
	s_wait_loadcnt 0x0
	global_store_b32 v[50:51], v48, off
.LBB34_266:
	s_wait_xcnt 0x0
	s_or_b32 exec_lo, exec_lo, s15
	v_dual_mov_b32 v50, v44 :: v_dual_mov_b32 v48, v44
.LBB34_267:
	s_or_b32 exec_lo, exec_lo, s1
.LBB34_268:
	s_and_not1_saveexec_b32 s0, s0
	s_cbranch_execz .LBB34_270
; %bb.269:
	v_mov_b32_e32 v50, 12
	ds_store_2addr_b64 v46, v[10:11], v[24:25] offset0:13 offset1:14
	ds_store_2addr_b64 v46, v[20:21], v[18:19] offset0:15 offset1:16
	ds_store_b64 v46, v[40:41] offset:136
.LBB34_270:
	s_or_b32 exec_lo, exec_lo, s0
	s_delay_alu instid0(SALU_CYCLE_1)
	s_mov_b32 s0, exec_lo
	s_wait_storecnt_dscnt 0x0
	s_barrier_signal -1
	s_barrier_wait -1
	v_cmpx_lt_i32_e32 12, v50
	s_cbranch_execz .LBB34_272
; %bb.271:
	v_pk_mul_f32 v[44:45], v[42:43], v[26:27] op_sel:[1,1] op_sel_hi:[0,1]
	s_delay_alu instid0(VALU_DEP_1)
	v_pk_fma_f32 v[52:53], v[42:43], v[26:27], v[44:45] op_sel_hi:[1,0,1] neg_lo:[0,0,1] neg_hi:[0,0,1]
	v_pk_fma_f32 v[54:55], v[42:43], v[26:27], v[44:45] op_sel_hi:[1,0,1]
	ds_load_2addr_b64 v[42:45], v46 offset0:13 offset1:14
	v_dual_mov_b32 v26, v52 :: v_dual_mov_b32 v27, v55
	s_wait_dscnt 0x0
	v_pk_mul_f32 v[56:57], v[42:43], v[54:55] op_sel:[0,1]
	s_delay_alu instid0(VALU_DEP_1) | instskip(SKIP_1) | instid1(VALU_DEP_1)
	v_pk_fma_f32 v[58:59], v[42:43], v[52:53], v[56:57] op_sel:[0,0,1] op_sel_hi:[1,1,0] neg_lo:[0,0,1] neg_hi:[0,0,1]
	v_pk_fma_f32 v[42:43], v[42:43], v[52:53], v[56:57] op_sel:[0,0,1] op_sel_hi:[1,0,0]
	v_mov_b32_e32 v59, v43
	v_pk_mul_f32 v[42:43], v[44:45], v[54:55] op_sel:[0,1]
	s_delay_alu instid0(VALU_DEP_1) | instskip(SKIP_1) | instid1(VALU_DEP_1)
	v_pk_fma_f32 v[56:57], v[44:45], v[52:53], v[42:43] op_sel:[0,0,1] op_sel_hi:[1,1,0] neg_lo:[0,0,1] neg_hi:[0,0,1]
	v_pk_fma_f32 v[42:43], v[44:45], v[52:53], v[42:43] op_sel:[0,0,1] op_sel_hi:[1,0,0]
	v_mov_b32_e32 v57, v43
	ds_load_2addr_b64 v[42:45], v46 offset0:15 offset1:16
	v_pk_add_f32 v[10:11], v[10:11], v[58:59] neg_lo:[0,1] neg_hi:[0,1]
	v_pk_add_f32 v[24:25], v[24:25], v[56:57] neg_lo:[0,1] neg_hi:[0,1]
	s_wait_dscnt 0x0
	v_pk_mul_f32 v[56:57], v[42:43], v[54:55] op_sel:[0,1]
	s_delay_alu instid0(VALU_DEP_1) | instskip(SKIP_2) | instid1(VALU_DEP_2)
	v_pk_fma_f32 v[58:59], v[42:43], v[52:53], v[56:57] op_sel:[0,0,1] op_sel_hi:[1,1,0] neg_lo:[0,0,1] neg_hi:[0,0,1]
	v_pk_fma_f32 v[42:43], v[42:43], v[52:53], v[56:57] op_sel:[0,0,1] op_sel_hi:[1,0,0]
	v_dual_mul_f32 v56, v45, v55 :: v_dual_mov_b32 v42, v45
	v_dual_mov_b32 v59, v43 :: v_dual_mov_b32 v43, v44
	s_delay_alu instid0(VALU_DEP_2) | instskip(SKIP_1) | instid1(VALU_DEP_3)
	v_pk_fma_f32 v[56:57], v[44:45], v[26:27], v[56:57] op_sel_hi:[1,1,0] neg_lo:[0,0,1] neg_hi:[0,0,1]
	v_mul_f32_e32 v44, v45, v52
	v_pk_add_f32 v[20:21], v[20:21], v[58:59] neg_lo:[0,1] neg_hi:[0,1]
	s_delay_alu instid0(VALU_DEP_2) | instskip(NEXT) | instid1(VALU_DEP_1)
	v_pk_fma_f32 v[42:43], v[42:43], v[26:27], v[44:45] op_sel_hi:[1,1,0]
	v_mov_b32_e32 v57, v43
	ds_load_b64 v[42:43], v46 offset:136
	v_pk_add_f32 v[18:19], v[18:19], v[56:57] neg_lo:[0,1] neg_hi:[0,1]
	s_wait_dscnt 0x0
	v_pk_mul_f32 v[44:45], v[42:43], v[54:55] op_sel:[0,1]
	s_delay_alu instid0(VALU_DEP_1) | instskip(SKIP_1) | instid1(VALU_DEP_1)
	v_pk_fma_f32 v[54:55], v[42:43], v[52:53], v[44:45] op_sel:[0,0,1] op_sel_hi:[1,1,0] neg_lo:[0,0,1] neg_hi:[0,0,1]
	v_pk_fma_f32 v[42:43], v[42:43], v[52:53], v[44:45] op_sel:[0,0,1] op_sel_hi:[1,0,0]
	v_mov_b32_e32 v55, v43
	s_delay_alu instid0(VALU_DEP_1)
	v_pk_add_f32 v[40:41], v[40:41], v[54:55] neg_lo:[0,1] neg_hi:[0,1]
.LBB34_272:
	s_or_b32 exec_lo, exec_lo, s0
	v_lshl_add_u32 v42, v50, 3, v46
	s_barrier_signal -1
	s_barrier_wait -1
	ds_store_b64 v42, v[10:11]
	s_wait_dscnt 0x0
	s_barrier_signal -1
	s_barrier_wait -1
	ds_load_b64 v[42:43], v46 offset:104
	v_mov_b32_e32 v44, 13
	s_cmp_lt_i32 s14, 15
	s_cbranch_scc1 .LBB34_275
; %bb.273:
	v_add3_u32 v45, v47, 0, 0x70
	v_mov_b32_e32 v44, 13
	s_mov_b32 s0, 14
.LBB34_274:                             ; =>This Inner Loop Header: Depth=1
	ds_load_b64 v[52:53], v45
	s_wait_dscnt 0x1
	v_cmp_gt_f32_e32 vcc_lo, 0, v42
	v_cndmask_b32_e64 v54, v42, -v42, vcc_lo
	v_cmp_gt_f32_e32 vcc_lo, 0, v43
	v_cndmask_b32_e64 v56, v43, -v43, vcc_lo
	s_wait_dscnt 0x0
	v_cmp_gt_f32_e32 vcc_lo, 0, v52
	v_cndmask_b32_e64 v55, v52, -v52, vcc_lo
	v_cmp_gt_f32_e32 vcc_lo, 0, v53
	v_cndmask_b32_e64 v57, v53, -v53, vcc_lo
	s_delay_alu instid0(VALU_DEP_1) | instskip(NEXT) | instid1(VALU_DEP_1)
	v_pk_add_f32 v[54:55], v[54:55], v[56:57]
	v_cmp_lt_f32_e32 vcc_lo, v54, v55
	v_dual_cndmask_b32 v42, v42, v52 :: v_dual_add_nc_u32 v45, 8, v45
	v_cndmask_b32_e32 v43, v43, v53, vcc_lo
	v_cndmask_b32_e64 v44, v44, s0, vcc_lo
	s_add_co_i32 s0, s0, 1
	s_delay_alu instid0(SALU_CYCLE_1)
	s_cmp_lg_u32 s14, s0
	s_cbranch_scc1 .LBB34_274
.LBB34_275:
	s_wait_dscnt 0x0
	v_cmp_eq_f32_e32 vcc_lo, 0, v42
	v_cmp_eq_f32_e64 s0, 0, v43
	s_and_b32 s0, vcc_lo, s0
	s_delay_alu instid0(SALU_CYCLE_1) | instskip(NEXT) | instid1(SALU_CYCLE_1)
	s_and_saveexec_b32 s1, s0
	s_xor_b32 s0, exec_lo, s1
; %bb.276:
	v_cmp_ne_u32_e32 vcc_lo, 0, v49
	v_cndmask_b32_e32 v49, 14, v49, vcc_lo
; %bb.277:
	s_and_not1_saveexec_b32 s0, s0
	s_cbranch_execz .LBB34_283
; %bb.278:
	v_cmp_ngt_f32_e64 s1, |v42|, |v43|
	s_and_saveexec_b32 s15, s1
	s_delay_alu instid0(SALU_CYCLE_1)
	s_xor_b32 s1, exec_lo, s15
	s_cbranch_execz .LBB34_280
; %bb.279:
	v_div_scale_f32 v45, null, v43, v43, v42
	v_div_scale_f32 v53, vcc_lo, v42, v43, v42
	s_delay_alu instid0(VALU_DEP_2) | instskip(SKIP_1) | instid1(TRANS32_DEP_1)
	v_rcp_f32_e32 v51, v45
	v_nop
	v_fma_f32 v52, -v45, v51, 1.0
	s_delay_alu instid0(VALU_DEP_1) | instskip(NEXT) | instid1(VALU_DEP_1)
	v_fmac_f32_e32 v51, v52, v51
	v_mul_f32_e32 v52, v53, v51
	s_delay_alu instid0(VALU_DEP_1) | instskip(NEXT) | instid1(VALU_DEP_1)
	v_fma_f32 v54, -v45, v52, v53
	v_fmac_f32_e32 v52, v54, v51
	s_delay_alu instid0(VALU_DEP_1) | instskip(NEXT) | instid1(VALU_DEP_1)
	v_fma_f32 v45, -v45, v52, v53
	v_div_fmas_f32 v45, v45, v51, v52
	s_delay_alu instid0(VALU_DEP_1) | instskip(NEXT) | instid1(VALU_DEP_1)
	v_div_fixup_f32 v45, v45, v43, v42
	v_fmac_f32_e32 v43, v42, v45
	s_delay_alu instid0(VALU_DEP_1) | instskip(SKIP_1) | instid1(VALU_DEP_2)
	v_div_scale_f32 v42, null, v43, v43, 1.0
	v_div_scale_f32 v53, vcc_lo, 1.0, v43, 1.0
	v_rcp_f32_e32 v51, v42
	v_nop
	s_delay_alu instid0(TRANS32_DEP_1) | instskip(NEXT) | instid1(VALU_DEP_1)
	v_fma_f32 v52, -v42, v51, 1.0
	v_fmac_f32_e32 v51, v52, v51
	s_delay_alu instid0(VALU_DEP_1) | instskip(NEXT) | instid1(VALU_DEP_1)
	v_mul_f32_e32 v52, v53, v51
	v_fma_f32 v54, -v42, v52, v53
	s_delay_alu instid0(VALU_DEP_1) | instskip(NEXT) | instid1(VALU_DEP_1)
	v_fmac_f32_e32 v52, v54, v51
	v_fma_f32 v42, -v42, v52, v53
	s_delay_alu instid0(VALU_DEP_1) | instskip(NEXT) | instid1(VALU_DEP_1)
	v_div_fmas_f32 v42, v42, v51, v52
	v_div_fixup_f32 v43, v42, v43, 1.0
	s_delay_alu instid0(VALU_DEP_1)
	v_mul_f32_e32 v42, v45, v43
	v_xor_b32_e32 v43, 0x80000000, v43
.LBB34_280:
	s_and_not1_saveexec_b32 s1, s1
	s_cbranch_execz .LBB34_282
; %bb.281:
	s_delay_alu instid0(VALU_DEP_1) | instskip(SKIP_1) | instid1(VALU_DEP_2)
	v_div_scale_f32 v45, null, v42, v42, v43
	v_div_scale_f32 v53, vcc_lo, v43, v42, v43
	v_rcp_f32_e32 v51, v45
	v_nop
	s_delay_alu instid0(TRANS32_DEP_1) | instskip(NEXT) | instid1(VALU_DEP_1)
	v_fma_f32 v52, -v45, v51, 1.0
	v_fmac_f32_e32 v51, v52, v51
	s_delay_alu instid0(VALU_DEP_1) | instskip(NEXT) | instid1(VALU_DEP_1)
	v_mul_f32_e32 v52, v53, v51
	v_fma_f32 v54, -v45, v52, v53
	s_delay_alu instid0(VALU_DEP_1) | instskip(NEXT) | instid1(VALU_DEP_1)
	v_fmac_f32_e32 v52, v54, v51
	v_fma_f32 v45, -v45, v52, v53
	s_delay_alu instid0(VALU_DEP_1) | instskip(NEXT) | instid1(VALU_DEP_1)
	v_div_fmas_f32 v45, v45, v51, v52
	v_div_fixup_f32 v45, v45, v42, v43
	s_delay_alu instid0(VALU_DEP_1) | instskip(NEXT) | instid1(VALU_DEP_1)
	v_fmac_f32_e32 v42, v43, v45
	v_div_scale_f32 v43, null, v42, v42, 1.0
	s_delay_alu instid0(VALU_DEP_1) | instskip(SKIP_1) | instid1(TRANS32_DEP_1)
	v_rcp_f32_e32 v51, v43
	v_nop
	v_fma_f32 v52, -v43, v51, 1.0
	s_delay_alu instid0(VALU_DEP_1) | instskip(SKIP_1) | instid1(VALU_DEP_1)
	v_fmac_f32_e32 v51, v52, v51
	v_div_scale_f32 v52, vcc_lo, 1.0, v42, 1.0
	v_mul_f32_e32 v53, v52, v51
	s_delay_alu instid0(VALU_DEP_1) | instskip(NEXT) | instid1(VALU_DEP_1)
	v_fma_f32 v54, -v43, v53, v52
	v_fmac_f32_e32 v53, v54, v51
	s_delay_alu instid0(VALU_DEP_1) | instskip(NEXT) | instid1(VALU_DEP_1)
	v_fma_f32 v43, -v43, v53, v52
	v_div_fmas_f32 v43, v43, v51, v53
	s_delay_alu instid0(VALU_DEP_1) | instskip(NEXT) | instid1(VALU_DEP_1)
	v_div_fixup_f32 v42, v43, v42, 1.0
	v_mul_f32_e64 v43, v45, -v42
.LBB34_282:
	s_or_b32 exec_lo, exec_lo, s1
.LBB34_283:
	s_delay_alu instid0(SALU_CYCLE_1) | instskip(NEXT) | instid1(SALU_CYCLE_1)
	s_or_b32 exec_lo, exec_lo, s0
	s_mov_b32 s0, exec_lo
	v_cmpx_ne_u32_e64 v50, v44
	s_xor_b32 s0, exec_lo, s0
	s_cbranch_execz .LBB34_289
; %bb.284:
	s_mov_b32 s1, exec_lo
	v_cmpx_eq_u32_e32 13, v50
	s_cbranch_execz .LBB34_288
; %bb.285:
	v_cmp_ne_u32_e32 vcc_lo, 13, v44
	s_xor_b32 s15, s12, -1
	s_delay_alu instid0(SALU_CYCLE_1) | instskip(NEXT) | instid1(SALU_CYCLE_1)
	s_and_b32 s16, s15, vcc_lo
	s_and_saveexec_b32 s15, s16
	s_cbranch_execz .LBB34_287
; %bb.286:
	v_ashrrev_i32_e32 v45, 31, v44
	s_delay_alu instid0(VALU_DEP_1)
	v_lshl_add_u64 v[50:51], v[44:45], 2, v[30:31]
	s_clause 0x1
	global_load_b32 v45, v[50:51], off
	global_load_b32 v48, v[30:31], off offset:52
	s_wait_loadcnt 0x1
	global_store_b32 v[30:31], v45, off offset:52
	s_wait_loadcnt 0x0
	global_store_b32 v[50:51], v48, off
.LBB34_287:
	s_wait_xcnt 0x0
	s_or_b32 exec_lo, exec_lo, s15
	v_dual_mov_b32 v50, v44 :: v_dual_mov_b32 v48, v44
.LBB34_288:
	s_or_b32 exec_lo, exec_lo, s1
.LBB34_289:
	s_and_not1_saveexec_b32 s0, s0
	s_cbranch_execz .LBB34_291
; %bb.290:
	v_dual_mov_b32 v44, v24 :: v_dual_mov_b32 v45, v25
	v_dual_mov_b32 v52, v20 :: v_dual_mov_b32 v53, v21
	;; [unrolled: 1-line block ×3, first 2 shown]
	v_mov_b32_e32 v55, v19
	ds_store_2addr_b64 v46, v[44:45], v[52:53] offset0:14 offset1:15
	ds_store_2addr_b64 v46, v[54:55], v[40:41] offset0:16 offset1:17
.LBB34_291:
	s_or_b32 exec_lo, exec_lo, s0
	s_delay_alu instid0(SALU_CYCLE_1)
	s_mov_b32 s0, exec_lo
	s_wait_storecnt_dscnt 0x0
	s_barrier_signal -1
	s_barrier_wait -1
	v_cmpx_lt_i32_e32 13, v50
	s_cbranch_execz .LBB34_293
; %bb.292:
	v_pk_mul_f32 v[44:45], v[42:43], v[10:11] op_sel:[1,1] op_sel_hi:[0,1]
	s_delay_alu instid0(VALU_DEP_1)
	v_pk_fma_f32 v[52:53], v[42:43], v[10:11], v[44:45] op_sel_hi:[1,0,1] neg_lo:[0,0,1] neg_hi:[0,0,1]
	v_pk_fma_f32 v[54:55], v[42:43], v[10:11], v[44:45] op_sel_hi:[1,0,1]
	ds_load_2addr_b64 v[42:45], v46 offset0:14 offset1:15
	v_dual_mov_b32 v10, v52 :: v_dual_mov_b32 v11, v55
	s_wait_dscnt 0x0
	v_pk_mul_f32 v[56:57], v[42:43], v[54:55] op_sel:[0,1]
	s_delay_alu instid0(VALU_DEP_1) | instskip(SKIP_1) | instid1(VALU_DEP_1)
	v_pk_fma_f32 v[58:59], v[42:43], v[52:53], v[56:57] op_sel:[0,0,1] op_sel_hi:[1,1,0] neg_lo:[0,0,1] neg_hi:[0,0,1]
	v_pk_fma_f32 v[42:43], v[42:43], v[52:53], v[56:57] op_sel:[0,0,1] op_sel_hi:[1,0,0]
	v_mov_b32_e32 v59, v43
	v_pk_mul_f32 v[42:43], v[44:45], v[54:55] op_sel:[0,1]
	s_delay_alu instid0(VALU_DEP_1) | instskip(SKIP_1) | instid1(VALU_DEP_1)
	v_pk_fma_f32 v[56:57], v[44:45], v[52:53], v[42:43] op_sel:[0,0,1] op_sel_hi:[1,1,0] neg_lo:[0,0,1] neg_hi:[0,0,1]
	v_pk_fma_f32 v[42:43], v[44:45], v[52:53], v[42:43] op_sel:[0,0,1] op_sel_hi:[1,0,0]
	v_mov_b32_e32 v57, v43
	ds_load_2addr_b64 v[42:45], v46 offset0:16 offset1:17
	v_pk_add_f32 v[24:25], v[24:25], v[58:59] neg_lo:[0,1] neg_hi:[0,1]
	v_pk_add_f32 v[20:21], v[20:21], v[56:57] neg_lo:[0,1] neg_hi:[0,1]
	s_wait_dscnt 0x0
	v_pk_mul_f32 v[56:57], v[42:43], v[54:55] op_sel:[0,1]
	s_delay_alu instid0(VALU_DEP_1) | instskip(SKIP_1) | instid1(VALU_DEP_1)
	v_pk_fma_f32 v[58:59], v[42:43], v[52:53], v[56:57] op_sel:[0,0,1] op_sel_hi:[1,1,0] neg_lo:[0,0,1] neg_hi:[0,0,1]
	v_pk_fma_f32 v[42:43], v[42:43], v[52:53], v[56:57] op_sel:[0,0,1] op_sel_hi:[1,0,0]
	v_dual_mov_b32 v42, v45 :: v_dual_mov_b32 v59, v43
	v_mov_b32_e32 v43, v44
	s_delay_alu instid0(VALU_DEP_2) | instskip(NEXT) | instid1(VALU_DEP_2)
	v_pk_add_f32 v[18:19], v[18:19], v[58:59] neg_lo:[0,1] neg_hi:[0,1]
	v_pk_mul_f32 v[42:43], v[42:43], v[54:55] op_sel:[0,1]
	s_delay_alu instid0(VALU_DEP_1) | instskip(SKIP_1) | instid1(VALU_DEP_1)
	v_pk_fma_f32 v[54:55], v[44:45], v[52:53], v[42:43] neg_lo:[0,0,1] neg_hi:[0,0,1]
	v_pk_fma_f32 v[42:43], v[44:45], v[52:53], v[42:43] op_sel_hi:[1,0,1]
	v_mov_b32_e32 v55, v43
	s_delay_alu instid0(VALU_DEP_1)
	v_pk_add_f32 v[40:41], v[40:41], v[54:55] neg_lo:[0,1] neg_hi:[0,1]
.LBB34_293:
	s_or_b32 exec_lo, exec_lo, s0
	v_lshl_add_u32 v42, v50, 3, v46
	s_barrier_signal -1
	s_barrier_wait -1
	ds_store_b64 v42, v[24:25]
	s_wait_dscnt 0x0
	s_barrier_signal -1
	s_barrier_wait -1
	ds_load_b64 v[42:43], v46 offset:112
	v_mov_b32_e32 v44, 14
	s_cmp_lt_i32 s14, 16
	s_cbranch_scc1 .LBB34_296
; %bb.294:
	v_add3_u32 v45, v47, 0, 0x78
	v_mov_b32_e32 v44, 14
	s_mov_b32 s0, 15
.LBB34_295:                             ; =>This Inner Loop Header: Depth=1
	ds_load_b64 v[52:53], v45
	s_wait_dscnt 0x1
	v_cmp_gt_f32_e32 vcc_lo, 0, v42
	v_cndmask_b32_e64 v54, v42, -v42, vcc_lo
	v_cmp_gt_f32_e32 vcc_lo, 0, v43
	v_cndmask_b32_e64 v56, v43, -v43, vcc_lo
	s_wait_dscnt 0x0
	v_cmp_gt_f32_e32 vcc_lo, 0, v52
	v_cndmask_b32_e64 v55, v52, -v52, vcc_lo
	v_cmp_gt_f32_e32 vcc_lo, 0, v53
	v_cndmask_b32_e64 v57, v53, -v53, vcc_lo
	s_delay_alu instid0(VALU_DEP_1) | instskip(NEXT) | instid1(VALU_DEP_1)
	v_pk_add_f32 v[54:55], v[54:55], v[56:57]
	v_cmp_lt_f32_e32 vcc_lo, v54, v55
	v_dual_cndmask_b32 v42, v42, v52 :: v_dual_add_nc_u32 v45, 8, v45
	v_cndmask_b32_e32 v43, v43, v53, vcc_lo
	v_cndmask_b32_e64 v44, v44, s0, vcc_lo
	s_add_co_i32 s0, s0, 1
	s_delay_alu instid0(SALU_CYCLE_1)
	s_cmp_lg_u32 s14, s0
	s_cbranch_scc1 .LBB34_295
.LBB34_296:
	s_wait_dscnt 0x0
	v_cmp_eq_f32_e32 vcc_lo, 0, v42
	v_cmp_eq_f32_e64 s0, 0, v43
	s_and_b32 s0, vcc_lo, s0
	s_delay_alu instid0(SALU_CYCLE_1) | instskip(NEXT) | instid1(SALU_CYCLE_1)
	s_and_saveexec_b32 s1, s0
	s_xor_b32 s0, exec_lo, s1
; %bb.297:
	v_cmp_ne_u32_e32 vcc_lo, 0, v49
	v_cndmask_b32_e32 v49, 15, v49, vcc_lo
; %bb.298:
	s_and_not1_saveexec_b32 s0, s0
	s_cbranch_execz .LBB34_304
; %bb.299:
	v_cmp_ngt_f32_e64 s1, |v42|, |v43|
	s_and_saveexec_b32 s15, s1
	s_delay_alu instid0(SALU_CYCLE_1)
	s_xor_b32 s1, exec_lo, s15
	s_cbranch_execz .LBB34_301
; %bb.300:
	v_div_scale_f32 v45, null, v43, v43, v42
	v_div_scale_f32 v53, vcc_lo, v42, v43, v42
	s_delay_alu instid0(VALU_DEP_2) | instskip(SKIP_1) | instid1(TRANS32_DEP_1)
	v_rcp_f32_e32 v51, v45
	v_nop
	v_fma_f32 v52, -v45, v51, 1.0
	s_delay_alu instid0(VALU_DEP_1) | instskip(NEXT) | instid1(VALU_DEP_1)
	v_fmac_f32_e32 v51, v52, v51
	v_mul_f32_e32 v52, v53, v51
	s_delay_alu instid0(VALU_DEP_1) | instskip(NEXT) | instid1(VALU_DEP_1)
	v_fma_f32 v54, -v45, v52, v53
	v_fmac_f32_e32 v52, v54, v51
	s_delay_alu instid0(VALU_DEP_1) | instskip(NEXT) | instid1(VALU_DEP_1)
	v_fma_f32 v45, -v45, v52, v53
	v_div_fmas_f32 v45, v45, v51, v52
	s_delay_alu instid0(VALU_DEP_1) | instskip(NEXT) | instid1(VALU_DEP_1)
	v_div_fixup_f32 v45, v45, v43, v42
	v_fmac_f32_e32 v43, v42, v45
	s_delay_alu instid0(VALU_DEP_1) | instskip(SKIP_1) | instid1(VALU_DEP_2)
	v_div_scale_f32 v42, null, v43, v43, 1.0
	v_div_scale_f32 v53, vcc_lo, 1.0, v43, 1.0
	v_rcp_f32_e32 v51, v42
	v_nop
	s_delay_alu instid0(TRANS32_DEP_1) | instskip(NEXT) | instid1(VALU_DEP_1)
	v_fma_f32 v52, -v42, v51, 1.0
	v_fmac_f32_e32 v51, v52, v51
	s_delay_alu instid0(VALU_DEP_1) | instskip(NEXT) | instid1(VALU_DEP_1)
	v_mul_f32_e32 v52, v53, v51
	v_fma_f32 v54, -v42, v52, v53
	s_delay_alu instid0(VALU_DEP_1) | instskip(NEXT) | instid1(VALU_DEP_1)
	v_fmac_f32_e32 v52, v54, v51
	v_fma_f32 v42, -v42, v52, v53
	s_delay_alu instid0(VALU_DEP_1) | instskip(NEXT) | instid1(VALU_DEP_1)
	v_div_fmas_f32 v42, v42, v51, v52
	v_div_fixup_f32 v43, v42, v43, 1.0
	s_delay_alu instid0(VALU_DEP_1)
	v_mul_f32_e32 v42, v45, v43
	v_xor_b32_e32 v43, 0x80000000, v43
.LBB34_301:
	s_and_not1_saveexec_b32 s1, s1
	s_cbranch_execz .LBB34_303
; %bb.302:
	s_delay_alu instid0(VALU_DEP_1) | instskip(SKIP_1) | instid1(VALU_DEP_2)
	v_div_scale_f32 v45, null, v42, v42, v43
	v_div_scale_f32 v53, vcc_lo, v43, v42, v43
	v_rcp_f32_e32 v51, v45
	v_nop
	s_delay_alu instid0(TRANS32_DEP_1) | instskip(NEXT) | instid1(VALU_DEP_1)
	v_fma_f32 v52, -v45, v51, 1.0
	v_fmac_f32_e32 v51, v52, v51
	s_delay_alu instid0(VALU_DEP_1) | instskip(NEXT) | instid1(VALU_DEP_1)
	v_mul_f32_e32 v52, v53, v51
	v_fma_f32 v54, -v45, v52, v53
	s_delay_alu instid0(VALU_DEP_1) | instskip(NEXT) | instid1(VALU_DEP_1)
	v_fmac_f32_e32 v52, v54, v51
	v_fma_f32 v45, -v45, v52, v53
	s_delay_alu instid0(VALU_DEP_1) | instskip(NEXT) | instid1(VALU_DEP_1)
	v_div_fmas_f32 v45, v45, v51, v52
	v_div_fixup_f32 v45, v45, v42, v43
	s_delay_alu instid0(VALU_DEP_1) | instskip(NEXT) | instid1(VALU_DEP_1)
	v_fmac_f32_e32 v42, v43, v45
	v_div_scale_f32 v43, null, v42, v42, 1.0
	s_delay_alu instid0(VALU_DEP_1) | instskip(SKIP_1) | instid1(TRANS32_DEP_1)
	v_rcp_f32_e32 v51, v43
	v_nop
	v_fma_f32 v52, -v43, v51, 1.0
	s_delay_alu instid0(VALU_DEP_1) | instskip(SKIP_1) | instid1(VALU_DEP_1)
	v_fmac_f32_e32 v51, v52, v51
	v_div_scale_f32 v52, vcc_lo, 1.0, v42, 1.0
	v_mul_f32_e32 v53, v52, v51
	s_delay_alu instid0(VALU_DEP_1) | instskip(NEXT) | instid1(VALU_DEP_1)
	v_fma_f32 v54, -v43, v53, v52
	v_fmac_f32_e32 v53, v54, v51
	s_delay_alu instid0(VALU_DEP_1) | instskip(NEXT) | instid1(VALU_DEP_1)
	v_fma_f32 v43, -v43, v53, v52
	v_div_fmas_f32 v43, v43, v51, v53
	s_delay_alu instid0(VALU_DEP_1) | instskip(NEXT) | instid1(VALU_DEP_1)
	v_div_fixup_f32 v42, v43, v42, 1.0
	v_mul_f32_e64 v43, v45, -v42
.LBB34_303:
	s_or_b32 exec_lo, exec_lo, s1
.LBB34_304:
	s_delay_alu instid0(SALU_CYCLE_1) | instskip(NEXT) | instid1(SALU_CYCLE_1)
	s_or_b32 exec_lo, exec_lo, s0
	s_mov_b32 s0, exec_lo
	v_cmpx_ne_u32_e64 v50, v44
	s_xor_b32 s0, exec_lo, s0
	s_cbranch_execz .LBB34_310
; %bb.305:
	s_mov_b32 s1, exec_lo
	v_cmpx_eq_u32_e32 14, v50
	s_cbranch_execz .LBB34_309
; %bb.306:
	v_cmp_ne_u32_e32 vcc_lo, 14, v44
	s_xor_b32 s15, s12, -1
	s_delay_alu instid0(SALU_CYCLE_1) | instskip(NEXT) | instid1(SALU_CYCLE_1)
	s_and_b32 s16, s15, vcc_lo
	s_and_saveexec_b32 s15, s16
	s_cbranch_execz .LBB34_308
; %bb.307:
	v_ashrrev_i32_e32 v45, 31, v44
	s_delay_alu instid0(VALU_DEP_1)
	v_lshl_add_u64 v[50:51], v[44:45], 2, v[30:31]
	s_clause 0x1
	global_load_b32 v45, v[50:51], off
	global_load_b32 v48, v[30:31], off offset:56
	s_wait_loadcnt 0x1
	global_store_b32 v[30:31], v45, off offset:56
	s_wait_loadcnt 0x0
	global_store_b32 v[50:51], v48, off
.LBB34_308:
	s_wait_xcnt 0x0
	s_or_b32 exec_lo, exec_lo, s15
	v_dual_mov_b32 v50, v44 :: v_dual_mov_b32 v48, v44
.LBB34_309:
	s_or_b32 exec_lo, exec_lo, s1
.LBB34_310:
	s_and_not1_saveexec_b32 s0, s0
	s_cbranch_execz .LBB34_312
; %bb.311:
	v_mov_b32_e32 v50, 14
	ds_store_2addr_b64 v46, v[20:21], v[18:19] offset0:15 offset1:16
	ds_store_b64 v46, v[40:41] offset:136
.LBB34_312:
	s_or_b32 exec_lo, exec_lo, s0
	s_delay_alu instid0(SALU_CYCLE_1)
	s_mov_b32 s0, exec_lo
	s_wait_storecnt_dscnt 0x0
	s_barrier_signal -1
	s_barrier_wait -1
	v_cmpx_lt_i32_e32 14, v50
	s_cbranch_execz .LBB34_314
; %bb.313:
	ds_load_2addr_b64 v[52:55], v46 offset0:15 offset1:16
	ds_load_b64 v[44:45], v46 offset:136
	v_pk_mul_f32 v[56:57], v[42:43], v[24:25] op_sel:[1,1] op_sel_hi:[0,1]
	s_delay_alu instid0(VALU_DEP_1) | instskip(SKIP_2) | instid1(VALU_DEP_2)
	v_pk_fma_f32 v[58:59], v[42:43], v[24:25], v[56:57] op_sel_hi:[1,0,1]
	v_pk_fma_f32 v[24:25], v[42:43], v[24:25], v[56:57] op_sel_hi:[1,0,1] neg_lo:[0,0,1] neg_hi:[0,0,1]
	s_wait_dscnt 0x1
	v_pk_mul_f32 v[42:43], v[52:53], v[58:59] op_sel:[0,1]
	v_pk_mul_f32 v[56:57], v[54:55], v[58:59] op_sel:[0,1]
	s_wait_dscnt 0x0
	v_pk_mul_f32 v[60:61], v[44:45], v[58:59] op_sel:[1,1] op_sel_hi:[0,1]
	s_delay_alu instid0(VALU_DEP_3) | instskip(SKIP_2) | instid1(VALU_DEP_4)
	v_pk_fma_f32 v[62:63], v[52:53], v[24:25], v[42:43] op_sel:[0,0,1] op_sel_hi:[1,1,0] neg_lo:[0,0,1] neg_hi:[0,0,1]
	v_pk_fma_f32 v[42:43], v[52:53], v[24:25], v[42:43] op_sel:[0,0,1] op_sel_hi:[1,0,0]
	v_pk_fma_f32 v[52:53], v[54:55], v[24:25], v[56:57] op_sel:[0,0,1] op_sel_hi:[1,0,0]
	v_pk_fma_f32 v[64:65], v[44:45], v[24:25], v[60:61] op_sel_hi:[1,0,1]
	v_pk_fma_f32 v[54:55], v[54:55], v[24:25], v[56:57] op_sel:[0,0,1] op_sel_hi:[1,1,0] neg_lo:[0,0,1] neg_hi:[0,0,1]
	v_pk_fma_f32 v[44:45], v[44:45], v[24:25], v[60:61] neg_lo:[0,0,1] neg_hi:[0,0,1]
	s_delay_alu instid0(VALU_DEP_4) | instskip(NEXT) | instid1(VALU_DEP_4)
	v_dual_mov_b32 v63, v43 :: v_dual_mov_b32 v55, v53
	v_dual_mov_b32 v45, v65 :: v_dual_mov_b32 v25, v59
	s_delay_alu instid0(VALU_DEP_2) | instskip(NEXT) | instid1(VALU_DEP_3)
	v_pk_add_f32 v[20:21], v[20:21], v[62:63] neg_lo:[0,1] neg_hi:[0,1]
	v_pk_add_f32 v[18:19], v[18:19], v[54:55] neg_lo:[0,1] neg_hi:[0,1]
	s_delay_alu instid0(VALU_DEP_3)
	v_pk_add_f32 v[40:41], v[40:41], v[44:45] neg_lo:[0,1] neg_hi:[0,1]
.LBB34_314:
	s_or_b32 exec_lo, exec_lo, s0
	v_lshl_add_u32 v42, v50, 3, v46
	s_barrier_signal -1
	s_barrier_wait -1
	ds_store_b64 v42, v[20:21]
	s_wait_dscnt 0x0
	s_barrier_signal -1
	s_barrier_wait -1
	ds_load_b64 v[42:43], v46 offset:120
	v_mov_b32_e32 v44, 15
	s_cmp_lt_i32 s14, 17
	s_cbranch_scc1 .LBB34_317
; %bb.315:
	v_add3_u32 v45, v47, 0, 0x80
	v_mov_b32_e32 v44, 15
	s_mov_b32 s0, 16
.LBB34_316:                             ; =>This Inner Loop Header: Depth=1
	ds_load_b64 v[52:53], v45
	s_wait_dscnt 0x1
	v_cmp_gt_f32_e32 vcc_lo, 0, v42
	v_cndmask_b32_e64 v54, v42, -v42, vcc_lo
	v_cmp_gt_f32_e32 vcc_lo, 0, v43
	v_cndmask_b32_e64 v56, v43, -v43, vcc_lo
	s_wait_dscnt 0x0
	v_cmp_gt_f32_e32 vcc_lo, 0, v52
	v_cndmask_b32_e64 v55, v52, -v52, vcc_lo
	v_cmp_gt_f32_e32 vcc_lo, 0, v53
	v_cndmask_b32_e64 v57, v53, -v53, vcc_lo
	s_delay_alu instid0(VALU_DEP_1) | instskip(NEXT) | instid1(VALU_DEP_1)
	v_pk_add_f32 v[54:55], v[54:55], v[56:57]
	v_cmp_lt_f32_e32 vcc_lo, v54, v55
	v_dual_cndmask_b32 v42, v42, v52 :: v_dual_add_nc_u32 v45, 8, v45
	v_cndmask_b32_e32 v43, v43, v53, vcc_lo
	v_cndmask_b32_e64 v44, v44, s0, vcc_lo
	s_add_co_i32 s0, s0, 1
	s_delay_alu instid0(SALU_CYCLE_1)
	s_cmp_lg_u32 s14, s0
	s_cbranch_scc1 .LBB34_316
.LBB34_317:
	s_wait_dscnt 0x0
	v_cmp_eq_f32_e32 vcc_lo, 0, v42
	v_cmp_eq_f32_e64 s0, 0, v43
	s_and_b32 s0, vcc_lo, s0
	s_delay_alu instid0(SALU_CYCLE_1) | instskip(NEXT) | instid1(SALU_CYCLE_1)
	s_and_saveexec_b32 s1, s0
	s_xor_b32 s0, exec_lo, s1
; %bb.318:
	v_cmp_ne_u32_e32 vcc_lo, 0, v49
	v_cndmask_b32_e32 v49, 16, v49, vcc_lo
; %bb.319:
	s_and_not1_saveexec_b32 s0, s0
	s_cbranch_execz .LBB34_325
; %bb.320:
	v_cmp_ngt_f32_e64 s1, |v42|, |v43|
	s_and_saveexec_b32 s15, s1
	s_delay_alu instid0(SALU_CYCLE_1)
	s_xor_b32 s1, exec_lo, s15
	s_cbranch_execz .LBB34_322
; %bb.321:
	v_div_scale_f32 v45, null, v43, v43, v42
	v_div_scale_f32 v53, vcc_lo, v42, v43, v42
	s_delay_alu instid0(VALU_DEP_2) | instskip(SKIP_1) | instid1(TRANS32_DEP_1)
	v_rcp_f32_e32 v51, v45
	v_nop
	v_fma_f32 v52, -v45, v51, 1.0
	s_delay_alu instid0(VALU_DEP_1) | instskip(NEXT) | instid1(VALU_DEP_1)
	v_fmac_f32_e32 v51, v52, v51
	v_mul_f32_e32 v52, v53, v51
	s_delay_alu instid0(VALU_DEP_1) | instskip(NEXT) | instid1(VALU_DEP_1)
	v_fma_f32 v54, -v45, v52, v53
	v_fmac_f32_e32 v52, v54, v51
	s_delay_alu instid0(VALU_DEP_1) | instskip(NEXT) | instid1(VALU_DEP_1)
	v_fma_f32 v45, -v45, v52, v53
	v_div_fmas_f32 v45, v45, v51, v52
	s_delay_alu instid0(VALU_DEP_1) | instskip(NEXT) | instid1(VALU_DEP_1)
	v_div_fixup_f32 v45, v45, v43, v42
	v_fmac_f32_e32 v43, v42, v45
	s_delay_alu instid0(VALU_DEP_1) | instskip(SKIP_1) | instid1(VALU_DEP_2)
	v_div_scale_f32 v42, null, v43, v43, 1.0
	v_div_scale_f32 v53, vcc_lo, 1.0, v43, 1.0
	v_rcp_f32_e32 v51, v42
	v_nop
	s_delay_alu instid0(TRANS32_DEP_1) | instskip(NEXT) | instid1(VALU_DEP_1)
	v_fma_f32 v52, -v42, v51, 1.0
	v_fmac_f32_e32 v51, v52, v51
	s_delay_alu instid0(VALU_DEP_1) | instskip(NEXT) | instid1(VALU_DEP_1)
	v_mul_f32_e32 v52, v53, v51
	v_fma_f32 v54, -v42, v52, v53
	s_delay_alu instid0(VALU_DEP_1) | instskip(NEXT) | instid1(VALU_DEP_1)
	v_fmac_f32_e32 v52, v54, v51
	v_fma_f32 v42, -v42, v52, v53
	s_delay_alu instid0(VALU_DEP_1) | instskip(NEXT) | instid1(VALU_DEP_1)
	v_div_fmas_f32 v42, v42, v51, v52
	v_div_fixup_f32 v43, v42, v43, 1.0
	s_delay_alu instid0(VALU_DEP_1)
	v_mul_f32_e32 v42, v45, v43
	v_xor_b32_e32 v43, 0x80000000, v43
.LBB34_322:
	s_and_not1_saveexec_b32 s1, s1
	s_cbranch_execz .LBB34_324
; %bb.323:
	s_delay_alu instid0(VALU_DEP_1) | instskip(SKIP_1) | instid1(VALU_DEP_2)
	v_div_scale_f32 v45, null, v42, v42, v43
	v_div_scale_f32 v53, vcc_lo, v43, v42, v43
	v_rcp_f32_e32 v51, v45
	v_nop
	s_delay_alu instid0(TRANS32_DEP_1) | instskip(NEXT) | instid1(VALU_DEP_1)
	v_fma_f32 v52, -v45, v51, 1.0
	v_fmac_f32_e32 v51, v52, v51
	s_delay_alu instid0(VALU_DEP_1) | instskip(NEXT) | instid1(VALU_DEP_1)
	v_mul_f32_e32 v52, v53, v51
	v_fma_f32 v54, -v45, v52, v53
	s_delay_alu instid0(VALU_DEP_1) | instskip(NEXT) | instid1(VALU_DEP_1)
	v_fmac_f32_e32 v52, v54, v51
	v_fma_f32 v45, -v45, v52, v53
	s_delay_alu instid0(VALU_DEP_1) | instskip(NEXT) | instid1(VALU_DEP_1)
	v_div_fmas_f32 v45, v45, v51, v52
	v_div_fixup_f32 v45, v45, v42, v43
	s_delay_alu instid0(VALU_DEP_1) | instskip(NEXT) | instid1(VALU_DEP_1)
	v_fmac_f32_e32 v42, v43, v45
	v_div_scale_f32 v43, null, v42, v42, 1.0
	s_delay_alu instid0(VALU_DEP_1) | instskip(SKIP_1) | instid1(TRANS32_DEP_1)
	v_rcp_f32_e32 v51, v43
	v_nop
	v_fma_f32 v52, -v43, v51, 1.0
	s_delay_alu instid0(VALU_DEP_1) | instskip(SKIP_1) | instid1(VALU_DEP_1)
	v_fmac_f32_e32 v51, v52, v51
	v_div_scale_f32 v52, vcc_lo, 1.0, v42, 1.0
	v_mul_f32_e32 v53, v52, v51
	s_delay_alu instid0(VALU_DEP_1) | instskip(NEXT) | instid1(VALU_DEP_1)
	v_fma_f32 v54, -v43, v53, v52
	v_fmac_f32_e32 v53, v54, v51
	s_delay_alu instid0(VALU_DEP_1) | instskip(NEXT) | instid1(VALU_DEP_1)
	v_fma_f32 v43, -v43, v53, v52
	v_div_fmas_f32 v43, v43, v51, v53
	s_delay_alu instid0(VALU_DEP_1) | instskip(NEXT) | instid1(VALU_DEP_1)
	v_div_fixup_f32 v42, v43, v42, 1.0
	v_mul_f32_e64 v43, v45, -v42
.LBB34_324:
	s_or_b32 exec_lo, exec_lo, s1
.LBB34_325:
	s_delay_alu instid0(SALU_CYCLE_1) | instskip(NEXT) | instid1(SALU_CYCLE_1)
	s_or_b32 exec_lo, exec_lo, s0
	s_mov_b32 s0, exec_lo
	v_cmpx_ne_u32_e64 v50, v44
	s_xor_b32 s0, exec_lo, s0
	s_cbranch_execz .LBB34_331
; %bb.326:
	s_mov_b32 s1, exec_lo
	v_cmpx_eq_u32_e32 15, v50
	s_cbranch_execz .LBB34_330
; %bb.327:
	v_cmp_ne_u32_e32 vcc_lo, 15, v44
	s_xor_b32 s15, s12, -1
	s_delay_alu instid0(SALU_CYCLE_1) | instskip(NEXT) | instid1(SALU_CYCLE_1)
	s_and_b32 s16, s15, vcc_lo
	s_and_saveexec_b32 s15, s16
	s_cbranch_execz .LBB34_329
; %bb.328:
	v_ashrrev_i32_e32 v45, 31, v44
	s_delay_alu instid0(VALU_DEP_1)
	v_lshl_add_u64 v[50:51], v[44:45], 2, v[30:31]
	s_clause 0x1
	global_load_b32 v45, v[50:51], off
	global_load_b32 v48, v[30:31], off offset:60
	s_wait_loadcnt 0x1
	global_store_b32 v[30:31], v45, off offset:60
	s_wait_loadcnt 0x0
	global_store_b32 v[50:51], v48, off
.LBB34_329:
	s_wait_xcnt 0x0
	s_or_b32 exec_lo, exec_lo, s15
	v_dual_mov_b32 v50, v44 :: v_dual_mov_b32 v48, v44
.LBB34_330:
	s_or_b32 exec_lo, exec_lo, s1
.LBB34_331:
	s_and_not1_saveexec_b32 s0, s0
; %bb.332:
	v_dual_mov_b32 v44, v18 :: v_dual_mov_b32 v45, v19
	v_mov_b32_e32 v50, 15
	ds_store_2addr_b64 v46, v[44:45], v[40:41] offset0:16 offset1:17
; %bb.333:
	s_or_b32 exec_lo, exec_lo, s0
	s_delay_alu instid0(SALU_CYCLE_1)
	s_mov_b32 s0, exec_lo
	s_wait_storecnt_dscnt 0x0
	s_barrier_signal -1
	s_barrier_wait -1
	v_cmpx_lt_i32_e32 15, v50
	s_cbranch_execz .LBB34_335
; %bb.334:
	ds_load_2addr_b64 v[52:55], v46 offset0:16 offset1:17
	v_pk_mul_f32 v[44:45], v[42:43], v[20:21] op_sel:[1,1] op_sel_hi:[0,1]
	s_delay_alu instid0(VALU_DEP_1) | instskip(SKIP_3) | instid1(VALU_DEP_3)
	v_pk_fma_f32 v[56:57], v[42:43], v[20:21], v[44:45] op_sel_hi:[1,0,1]
	v_pk_fma_f32 v[20:21], v[42:43], v[20:21], v[44:45] op_sel_hi:[1,0,1] neg_lo:[0,0,1] neg_hi:[0,0,1]
	s_wait_dscnt 0x0
	v_dual_mov_b32 v58, v55 :: v_dual_mov_b32 v59, v54
	v_pk_mul_f32 v[42:43], v[52:53], v[56:57] op_sel:[0,1]
	s_delay_alu instid0(VALU_DEP_2) | instskip(NEXT) | instid1(VALU_DEP_2)
	v_pk_mul_f32 v[44:45], v[58:59], v[56:57] op_sel:[0,1]
	v_pk_fma_f32 v[58:59], v[52:53], v[20:21], v[42:43] op_sel:[0,0,1] op_sel_hi:[1,0,0]
	v_pk_fma_f32 v[42:43], v[52:53], v[20:21], v[42:43] op_sel:[0,0,1] op_sel_hi:[1,1,0] neg_lo:[0,0,1] neg_hi:[0,0,1]
	s_delay_alu instid0(VALU_DEP_3) | instskip(SKIP_1) | instid1(VALU_DEP_4)
	v_pk_fma_f32 v[60:61], v[54:55], v[20:21], v[44:45] op_sel_hi:[1,0,1]
	v_pk_fma_f32 v[44:45], v[54:55], v[20:21], v[44:45] neg_lo:[0,0,1] neg_hi:[0,0,1]
	v_dual_mov_b32 v43, v59 :: v_dual_mov_b32 v21, v57
	s_delay_alu instid0(VALU_DEP_3) | instskip(NEXT) | instid1(VALU_DEP_2)
	v_mov_b32_e32 v45, v61
	v_pk_add_f32 v[18:19], v[18:19], v[42:43] neg_lo:[0,1] neg_hi:[0,1]
	s_delay_alu instid0(VALU_DEP_2)
	v_pk_add_f32 v[40:41], v[40:41], v[44:45] neg_lo:[0,1] neg_hi:[0,1]
.LBB34_335:
	s_or_b32 exec_lo, exec_lo, s0
	v_lshl_add_u32 v42, v50, 3, v46
	s_barrier_signal -1
	s_barrier_wait -1
	ds_store_b64 v42, v[18:19]
	s_wait_dscnt 0x0
	s_barrier_signal -1
	s_barrier_wait -1
	ds_load_b64 v[42:43], v46 offset:128
	v_mov_b32_e32 v44, 16
	s_cmp_lt_i32 s14, 18
	s_cbranch_scc1 .LBB34_338
; %bb.336:
	v_add3_u32 v45, v47, 0, 0x88
	v_mov_b32_e32 v44, 16
	s_mov_b32 s0, 17
.LBB34_337:                             ; =>This Inner Loop Header: Depth=1
	ds_load_b64 v[52:53], v45
	s_wait_dscnt 0x1
	v_cmp_gt_f32_e32 vcc_lo, 0, v42
	v_cndmask_b32_e64 v54, v42, -v42, vcc_lo
	v_cmp_gt_f32_e32 vcc_lo, 0, v43
	v_cndmask_b32_e64 v56, v43, -v43, vcc_lo
	s_wait_dscnt 0x0
	v_cmp_gt_f32_e32 vcc_lo, 0, v52
	v_cndmask_b32_e64 v55, v52, -v52, vcc_lo
	v_cmp_gt_f32_e32 vcc_lo, 0, v53
	v_cndmask_b32_e64 v57, v53, -v53, vcc_lo
	s_delay_alu instid0(VALU_DEP_1) | instskip(NEXT) | instid1(VALU_DEP_1)
	v_pk_add_f32 v[54:55], v[54:55], v[56:57]
	v_cmp_lt_f32_e32 vcc_lo, v54, v55
	v_dual_cndmask_b32 v42, v42, v52 :: v_dual_add_nc_u32 v45, 8, v45
	v_cndmask_b32_e32 v43, v43, v53, vcc_lo
	v_cndmask_b32_e64 v44, v44, s0, vcc_lo
	s_add_co_i32 s0, s0, 1
	s_delay_alu instid0(SALU_CYCLE_1)
	s_cmp_lg_u32 s14, s0
	s_cbranch_scc1 .LBB34_337
.LBB34_338:
	s_wait_dscnt 0x0
	v_cmp_eq_f32_e32 vcc_lo, 0, v42
	v_cmp_eq_f32_e64 s0, 0, v43
	s_and_b32 s0, vcc_lo, s0
	s_delay_alu instid0(SALU_CYCLE_1) | instskip(NEXT) | instid1(SALU_CYCLE_1)
	s_and_saveexec_b32 s1, s0
	s_xor_b32 s0, exec_lo, s1
; %bb.339:
	v_cmp_ne_u32_e32 vcc_lo, 0, v49
	v_cndmask_b32_e32 v49, 17, v49, vcc_lo
; %bb.340:
	s_and_not1_saveexec_b32 s0, s0
	s_cbranch_execz .LBB34_346
; %bb.341:
	v_cmp_ngt_f32_e64 s1, |v42|, |v43|
	s_and_saveexec_b32 s15, s1
	s_delay_alu instid0(SALU_CYCLE_1)
	s_xor_b32 s1, exec_lo, s15
	s_cbranch_execz .LBB34_343
; %bb.342:
	v_div_scale_f32 v45, null, v43, v43, v42
	v_div_scale_f32 v53, vcc_lo, v42, v43, v42
	s_delay_alu instid0(VALU_DEP_2) | instskip(SKIP_1) | instid1(TRANS32_DEP_1)
	v_rcp_f32_e32 v51, v45
	v_nop
	v_fma_f32 v52, -v45, v51, 1.0
	s_delay_alu instid0(VALU_DEP_1) | instskip(NEXT) | instid1(VALU_DEP_1)
	v_fmac_f32_e32 v51, v52, v51
	v_mul_f32_e32 v52, v53, v51
	s_delay_alu instid0(VALU_DEP_1) | instskip(NEXT) | instid1(VALU_DEP_1)
	v_fma_f32 v54, -v45, v52, v53
	v_fmac_f32_e32 v52, v54, v51
	s_delay_alu instid0(VALU_DEP_1) | instskip(NEXT) | instid1(VALU_DEP_1)
	v_fma_f32 v45, -v45, v52, v53
	v_div_fmas_f32 v45, v45, v51, v52
	s_delay_alu instid0(VALU_DEP_1) | instskip(NEXT) | instid1(VALU_DEP_1)
	v_div_fixup_f32 v45, v45, v43, v42
	v_fmac_f32_e32 v43, v42, v45
	s_delay_alu instid0(VALU_DEP_1) | instskip(SKIP_1) | instid1(VALU_DEP_2)
	v_div_scale_f32 v42, null, v43, v43, 1.0
	v_div_scale_f32 v53, vcc_lo, 1.0, v43, 1.0
	v_rcp_f32_e32 v51, v42
	v_nop
	s_delay_alu instid0(TRANS32_DEP_1) | instskip(NEXT) | instid1(VALU_DEP_1)
	v_fma_f32 v52, -v42, v51, 1.0
	v_fmac_f32_e32 v51, v52, v51
	s_delay_alu instid0(VALU_DEP_1) | instskip(NEXT) | instid1(VALU_DEP_1)
	v_mul_f32_e32 v52, v53, v51
	v_fma_f32 v54, -v42, v52, v53
	s_delay_alu instid0(VALU_DEP_1) | instskip(NEXT) | instid1(VALU_DEP_1)
	v_fmac_f32_e32 v52, v54, v51
	v_fma_f32 v42, -v42, v52, v53
	s_delay_alu instid0(VALU_DEP_1) | instskip(NEXT) | instid1(VALU_DEP_1)
	v_div_fmas_f32 v42, v42, v51, v52
	v_div_fixup_f32 v43, v42, v43, 1.0
	s_delay_alu instid0(VALU_DEP_1)
	v_mul_f32_e32 v42, v45, v43
	v_xor_b32_e32 v43, 0x80000000, v43
.LBB34_343:
	s_and_not1_saveexec_b32 s1, s1
	s_cbranch_execz .LBB34_345
; %bb.344:
	s_delay_alu instid0(VALU_DEP_1) | instskip(SKIP_1) | instid1(VALU_DEP_2)
	v_div_scale_f32 v45, null, v42, v42, v43
	v_div_scale_f32 v53, vcc_lo, v43, v42, v43
	v_rcp_f32_e32 v51, v45
	v_nop
	s_delay_alu instid0(TRANS32_DEP_1) | instskip(NEXT) | instid1(VALU_DEP_1)
	v_fma_f32 v52, -v45, v51, 1.0
	v_fmac_f32_e32 v51, v52, v51
	s_delay_alu instid0(VALU_DEP_1) | instskip(NEXT) | instid1(VALU_DEP_1)
	v_mul_f32_e32 v52, v53, v51
	v_fma_f32 v54, -v45, v52, v53
	s_delay_alu instid0(VALU_DEP_1) | instskip(NEXT) | instid1(VALU_DEP_1)
	v_fmac_f32_e32 v52, v54, v51
	v_fma_f32 v45, -v45, v52, v53
	s_delay_alu instid0(VALU_DEP_1) | instskip(NEXT) | instid1(VALU_DEP_1)
	v_div_fmas_f32 v45, v45, v51, v52
	v_div_fixup_f32 v45, v45, v42, v43
	s_delay_alu instid0(VALU_DEP_1) | instskip(NEXT) | instid1(VALU_DEP_1)
	v_fmac_f32_e32 v42, v43, v45
	v_div_scale_f32 v43, null, v42, v42, 1.0
	s_delay_alu instid0(VALU_DEP_1) | instskip(SKIP_1) | instid1(TRANS32_DEP_1)
	v_rcp_f32_e32 v51, v43
	v_nop
	v_fma_f32 v52, -v43, v51, 1.0
	s_delay_alu instid0(VALU_DEP_1) | instskip(SKIP_1) | instid1(VALU_DEP_1)
	v_fmac_f32_e32 v51, v52, v51
	v_div_scale_f32 v52, vcc_lo, 1.0, v42, 1.0
	v_mul_f32_e32 v53, v52, v51
	s_delay_alu instid0(VALU_DEP_1) | instskip(NEXT) | instid1(VALU_DEP_1)
	v_fma_f32 v54, -v43, v53, v52
	v_fmac_f32_e32 v53, v54, v51
	s_delay_alu instid0(VALU_DEP_1) | instskip(NEXT) | instid1(VALU_DEP_1)
	v_fma_f32 v43, -v43, v53, v52
	v_div_fmas_f32 v43, v43, v51, v53
	s_delay_alu instid0(VALU_DEP_1) | instskip(NEXT) | instid1(VALU_DEP_1)
	v_div_fixup_f32 v42, v43, v42, 1.0
	v_mul_f32_e64 v43, v45, -v42
.LBB34_345:
	s_or_b32 exec_lo, exec_lo, s1
.LBB34_346:
	s_delay_alu instid0(SALU_CYCLE_1) | instskip(NEXT) | instid1(SALU_CYCLE_1)
	s_or_b32 exec_lo, exec_lo, s0
	s_mov_b32 s0, exec_lo
	v_cmpx_ne_u32_e64 v50, v44
	s_xor_b32 s0, exec_lo, s0
	s_cbranch_execz .LBB34_352
; %bb.347:
	s_mov_b32 s1, exec_lo
	v_cmpx_eq_u32_e32 16, v50
	s_cbranch_execz .LBB34_351
; %bb.348:
	v_cmp_ne_u32_e32 vcc_lo, 16, v44
	s_xor_b32 s15, s12, -1
	s_delay_alu instid0(SALU_CYCLE_1) | instskip(NEXT) | instid1(SALU_CYCLE_1)
	s_and_b32 s16, s15, vcc_lo
	s_and_saveexec_b32 s15, s16
	s_cbranch_execz .LBB34_350
; %bb.349:
	v_ashrrev_i32_e32 v45, 31, v44
	s_delay_alu instid0(VALU_DEP_1)
	v_lshl_add_u64 v[50:51], v[44:45], 2, v[30:31]
	s_clause 0x1
	global_load_b32 v45, v[50:51], off
	global_load_b32 v48, v[30:31], off offset:64
	s_wait_loadcnt 0x1
	global_store_b32 v[30:31], v45, off offset:64
	s_wait_loadcnt 0x0
	global_store_b32 v[50:51], v48, off
.LBB34_350:
	s_wait_xcnt 0x0
	s_or_b32 exec_lo, exec_lo, s15
	v_dual_mov_b32 v50, v44 :: v_dual_mov_b32 v48, v44
.LBB34_351:
	s_or_b32 exec_lo, exec_lo, s1
.LBB34_352:
	s_and_not1_saveexec_b32 s0, s0
; %bb.353:
	v_mov_b32_e32 v50, 16
	ds_store_b64 v46, v[40:41] offset:136
; %bb.354:
	s_or_b32 exec_lo, exec_lo, s0
	s_delay_alu instid0(SALU_CYCLE_1)
	s_mov_b32 s0, exec_lo
	s_wait_storecnt_dscnt 0x0
	s_barrier_signal -1
	s_barrier_wait -1
	v_cmpx_lt_i32_e32 16, v50
	s_cbranch_execz .LBB34_356
; %bb.355:
	ds_load_b64 v[44:45], v46 offset:136
	v_pk_mul_f32 v[52:53], v[42:43], v[18:19] op_sel:[1,1] op_sel_hi:[0,1]
	s_delay_alu instid0(VALU_DEP_1) | instskip(SKIP_2) | instid1(VALU_DEP_2)
	v_pk_fma_f32 v[54:55], v[42:43], v[18:19], v[52:53] op_sel_hi:[1,0,1]
	v_pk_fma_f32 v[18:19], v[42:43], v[18:19], v[52:53] op_sel_hi:[1,0,1] neg_lo:[0,0,1] neg_hi:[0,0,1]
	s_wait_dscnt 0x0
	v_pk_mul_f32 v[42:43], v[44:45], v[54:55] op_sel:[1,1] op_sel_hi:[0,1]
	s_delay_alu instid0(VALU_DEP_1) | instskip(SKIP_1) | instid1(VALU_DEP_2)
	v_pk_fma_f32 v[52:53], v[44:45], v[18:19], v[42:43] op_sel_hi:[1,0,1]
	v_pk_fma_f32 v[42:43], v[44:45], v[18:19], v[42:43] neg_lo:[0,0,1] neg_hi:[0,0,1]
	v_dual_mov_b32 v19, v55 :: v_dual_mov_b32 v43, v53
	s_delay_alu instid0(VALU_DEP_1)
	v_pk_add_f32 v[40:41], v[40:41], v[42:43] neg_lo:[0,1] neg_hi:[0,1]
.LBB34_356:
	s_or_b32 exec_lo, exec_lo, s0
	v_lshl_add_u32 v42, v50, 3, v46
	s_barrier_signal -1
	s_barrier_wait -1
	ds_store_b64 v42, v[40:41]
	s_wait_dscnt 0x0
	s_barrier_signal -1
	s_barrier_wait -1
	ds_load_b64 v[42:43], v46 offset:136
	v_mov_b32_e32 v44, 17
	s_cmp_lt_i32 s14, 19
	s_cbranch_scc1 .LBB34_359
; %bb.357:
	v_add3_u32 v45, v47, 0, 0x90
	v_mov_b32_e32 v44, 17
	s_mov_b32 s0, 18
.LBB34_358:                             ; =>This Inner Loop Header: Depth=1
	ds_load_b64 v[46:47], v45
	s_wait_dscnt 0x1
	v_cmp_gt_f32_e32 vcc_lo, 0, v42
	v_cndmask_b32_e64 v52, v42, -v42, vcc_lo
	v_cmp_gt_f32_e32 vcc_lo, 0, v43
	v_cndmask_b32_e64 v54, v43, -v43, vcc_lo
	s_wait_dscnt 0x0
	v_cmp_gt_f32_e32 vcc_lo, 0, v46
	v_cndmask_b32_e64 v53, v46, -v46, vcc_lo
	v_cmp_gt_f32_e32 vcc_lo, 0, v47
	v_cndmask_b32_e64 v55, v47, -v47, vcc_lo
	s_delay_alu instid0(VALU_DEP_1) | instskip(NEXT) | instid1(VALU_DEP_1)
	v_pk_add_f32 v[52:53], v[52:53], v[54:55]
	v_cmp_lt_f32_e32 vcc_lo, v52, v53
	v_dual_add_nc_u32 v45, 8, v45 :: v_dual_cndmask_b32 v43, v43, v47, vcc_lo
	v_cndmask_b32_e32 v42, v42, v46, vcc_lo
	v_cndmask_b32_e64 v44, v44, s0, vcc_lo
	s_add_co_i32 s0, s0, 1
	s_delay_alu instid0(SALU_CYCLE_1)
	s_cmp_lg_u32 s14, s0
	s_cbranch_scc1 .LBB34_358
.LBB34_359:
	s_wait_dscnt 0x0
	v_cmp_eq_f32_e32 vcc_lo, 0, v42
	v_cmp_eq_f32_e64 s0, 0, v43
	s_and_b32 s0, vcc_lo, s0
	s_delay_alu instid0(SALU_CYCLE_1) | instskip(NEXT) | instid1(SALU_CYCLE_1)
	s_and_saveexec_b32 s1, s0
	s_xor_b32 s0, exec_lo, s1
; %bb.360:
	v_cmp_ne_u32_e32 vcc_lo, 0, v49
	v_cndmask_b32_e32 v49, 18, v49, vcc_lo
; %bb.361:
	s_and_not1_saveexec_b32 s0, s0
	s_cbranch_execz .LBB34_367
; %bb.362:
	v_cmp_ngt_f32_e64 s1, |v42|, |v43|
	s_and_saveexec_b32 s14, s1
	s_delay_alu instid0(SALU_CYCLE_1)
	s_xor_b32 s1, exec_lo, s14
	s_cbranch_execz .LBB34_364
; %bb.363:
	v_div_scale_f32 v45, null, v43, v43, v42
	v_div_scale_f32 v51, vcc_lo, v42, v43, v42
	s_delay_alu instid0(VALU_DEP_2) | instskip(SKIP_1) | instid1(TRANS32_DEP_1)
	v_rcp_f32_e32 v46, v45
	v_nop
	v_fma_f32 v47, -v45, v46, 1.0
	s_delay_alu instid0(VALU_DEP_1) | instskip(NEXT) | instid1(VALU_DEP_1)
	v_fmac_f32_e32 v46, v47, v46
	v_mul_f32_e32 v47, v51, v46
	s_delay_alu instid0(VALU_DEP_1) | instskip(NEXT) | instid1(VALU_DEP_1)
	v_fma_f32 v52, -v45, v47, v51
	v_fmac_f32_e32 v47, v52, v46
	s_delay_alu instid0(VALU_DEP_1) | instskip(NEXT) | instid1(VALU_DEP_1)
	v_fma_f32 v45, -v45, v47, v51
	v_div_fmas_f32 v45, v45, v46, v47
	s_delay_alu instid0(VALU_DEP_1) | instskip(NEXT) | instid1(VALU_DEP_1)
	v_div_fixup_f32 v45, v45, v43, v42
	v_fmac_f32_e32 v43, v42, v45
	s_delay_alu instid0(VALU_DEP_1) | instskip(SKIP_1) | instid1(VALU_DEP_2)
	v_div_scale_f32 v42, null, v43, v43, 1.0
	v_div_scale_f32 v51, vcc_lo, 1.0, v43, 1.0
	v_rcp_f32_e32 v46, v42
	v_nop
	s_delay_alu instid0(TRANS32_DEP_1) | instskip(NEXT) | instid1(VALU_DEP_1)
	v_fma_f32 v47, -v42, v46, 1.0
	v_fmac_f32_e32 v46, v47, v46
	s_delay_alu instid0(VALU_DEP_1) | instskip(NEXT) | instid1(VALU_DEP_1)
	v_mul_f32_e32 v47, v51, v46
	v_fma_f32 v52, -v42, v47, v51
	s_delay_alu instid0(VALU_DEP_1) | instskip(NEXT) | instid1(VALU_DEP_1)
	v_fmac_f32_e32 v47, v52, v46
	v_fma_f32 v42, -v42, v47, v51
	s_delay_alu instid0(VALU_DEP_1) | instskip(NEXT) | instid1(VALU_DEP_1)
	v_div_fmas_f32 v42, v42, v46, v47
	v_div_fixup_f32 v43, v42, v43, 1.0
	s_delay_alu instid0(VALU_DEP_1)
	v_mul_f32_e32 v42, v45, v43
	v_xor_b32_e32 v43, 0x80000000, v43
.LBB34_364:
	s_and_not1_saveexec_b32 s1, s1
	s_cbranch_execz .LBB34_366
; %bb.365:
	s_delay_alu instid0(VALU_DEP_1) | instskip(SKIP_1) | instid1(VALU_DEP_2)
	v_div_scale_f32 v45, null, v42, v42, v43
	v_div_scale_f32 v51, vcc_lo, v43, v42, v43
	v_rcp_f32_e32 v46, v45
	v_nop
	s_delay_alu instid0(TRANS32_DEP_1) | instskip(NEXT) | instid1(VALU_DEP_1)
	v_fma_f32 v47, -v45, v46, 1.0
	v_fmac_f32_e32 v46, v47, v46
	s_delay_alu instid0(VALU_DEP_1) | instskip(NEXT) | instid1(VALU_DEP_1)
	v_mul_f32_e32 v47, v51, v46
	v_fma_f32 v52, -v45, v47, v51
	s_delay_alu instid0(VALU_DEP_1) | instskip(NEXT) | instid1(VALU_DEP_1)
	v_fmac_f32_e32 v47, v52, v46
	v_fma_f32 v45, -v45, v47, v51
	s_delay_alu instid0(VALU_DEP_1) | instskip(NEXT) | instid1(VALU_DEP_1)
	v_div_fmas_f32 v45, v45, v46, v47
	v_div_fixup_f32 v45, v45, v42, v43
	s_delay_alu instid0(VALU_DEP_1) | instskip(NEXT) | instid1(VALU_DEP_1)
	v_fmac_f32_e32 v42, v43, v45
	v_div_scale_f32 v43, null, v42, v42, 1.0
	s_delay_alu instid0(VALU_DEP_1) | instskip(SKIP_1) | instid1(TRANS32_DEP_1)
	v_rcp_f32_e32 v46, v43
	v_nop
	v_fma_f32 v47, -v43, v46, 1.0
	s_delay_alu instid0(VALU_DEP_1) | instskip(SKIP_1) | instid1(VALU_DEP_1)
	v_fmac_f32_e32 v46, v47, v46
	v_div_scale_f32 v47, vcc_lo, 1.0, v42, 1.0
	v_mul_f32_e32 v51, v47, v46
	s_delay_alu instid0(VALU_DEP_1) | instskip(NEXT) | instid1(VALU_DEP_1)
	v_fma_f32 v52, -v43, v51, v47
	v_fmac_f32_e32 v51, v52, v46
	s_delay_alu instid0(VALU_DEP_1) | instskip(NEXT) | instid1(VALU_DEP_1)
	v_fma_f32 v43, -v43, v51, v47
	v_div_fmas_f32 v43, v43, v46, v51
	s_delay_alu instid0(VALU_DEP_1) | instskip(NEXT) | instid1(VALU_DEP_1)
	v_div_fixup_f32 v42, v43, v42, 1.0
	v_mul_f32_e64 v43, v45, -v42
.LBB34_366:
	s_or_b32 exec_lo, exec_lo, s1
.LBB34_367:
	s_delay_alu instid0(SALU_CYCLE_1)
	s_or_b32 exec_lo, exec_lo, s0
	v_mov_b32_e32 v46, 17
	s_mov_b32 s0, exec_lo
	v_cmpx_ne_u32_e64 v50, v44
	s_cbranch_execz .LBB34_373
; %bb.368:
	s_mov_b32 s1, exec_lo
	v_cmpx_eq_u32_e32 17, v50
	s_cbranch_execz .LBB34_372
; %bb.369:
	v_cmp_ne_u32_e32 vcc_lo, 17, v44
	s_xor_b32 s12, s12, -1
	s_delay_alu instid0(SALU_CYCLE_1) | instskip(NEXT) | instid1(SALU_CYCLE_1)
	s_and_b32 s14, s12, vcc_lo
	s_and_saveexec_b32 s12, s14
	s_cbranch_execz .LBB34_371
; %bb.370:
	v_ashrrev_i32_e32 v45, 31, v44
	s_delay_alu instid0(VALU_DEP_1)
	v_lshl_add_u64 v[46:47], v[44:45], 2, v[30:31]
	s_clause 0x1
	global_load_b32 v45, v[46:47], off
	global_load_b32 v48, v[30:31], off offset:68
	s_wait_loadcnt 0x1
	global_store_b32 v[30:31], v45, off offset:68
	s_wait_loadcnt 0x0
	global_store_b32 v[46:47], v48, off
.LBB34_371:
	s_wait_xcnt 0x0
	s_or_b32 exec_lo, exec_lo, s12
	v_dual_mov_b32 v50, v44 :: v_dual_mov_b32 v48, v44
.LBB34_372:
	s_or_b32 exec_lo, exec_lo, s1
	s_delay_alu instid0(VALU_DEP_1)
	v_mov_b32_e32 v46, v50
.LBB34_373:
	s_or_b32 exec_lo, exec_lo, s0
	s_delay_alu instid0(VALU_DEP_1)
	v_ashrrev_i32_e32 v47, 31, v46
	s_mov_b32 s0, exec_lo
	s_wait_storecnt 0x0
	s_barrier_signal -1
	s_barrier_wait -1
	s_barrier_signal -1
	s_barrier_wait -1
	v_cmpx_gt_i32_e32 18, v46
	s_cbranch_execz .LBB34_375
; %bb.374:
	v_mul_u64_e32 v[30:31], s[10:11], v[2:3]
	v_add3_u32 v44, v48, s13, 1
	s_delay_alu instid0(VALU_DEP_2) | instskip(NEXT) | instid1(VALU_DEP_1)
	v_lshl_add_u64 v[30:31], v[30:31], 2, s[6:7]
	v_lshl_add_u64 v[30:31], s[8:9], 2, v[30:31]
	s_delay_alu instid0(VALU_DEP_1)
	v_lshl_add_u64 v[30:31], v[46:47], 2, v[30:31]
	global_store_b32 v[30:31], v44, off
.LBB34_375:
	s_wait_xcnt 0x0
	s_or_b32 exec_lo, exec_lo, s0
	s_delay_alu instid0(SALU_CYCLE_1)
	s_mov_b32 s1, exec_lo
	v_cmpx_eq_u32_e32 0, v46
	s_cbranch_execz .LBB34_378
; %bb.376:
	s_wait_kmcnt 0x0
	v_lshl_add_u64 v[2:3], v[2:3], 2, s[4:5]
	v_cmp_ne_u32_e64 s0, 0, v49
	global_load_b32 v30, v[2:3], off
	s_wait_loadcnt 0x0
	v_cmp_eq_u32_e32 vcc_lo, 0, v30
	s_and_b32 s0, vcc_lo, s0
	s_wait_xcnt 0x0
	s_and_b32 exec_lo, exec_lo, s0
	s_cbranch_execz .LBB34_378
; %bb.377:
	v_add_nc_u32_e32 v30, s13, v49
	global_store_b32 v[2:3], v30, off
.LBB34_378:
	s_wait_xcnt 0x0
	s_or_b32 exec_lo, exec_lo, s1
	v_add3_u32 v2, s2, s2, v46
	v_pk_mul_f32 v[50:51], v[42:43], v[40:41] op_sel:[1,1] op_sel_hi:[0,1]
	v_cmp_lt_i32_e32 vcc_lo, 17, v46
	v_lshl_add_u64 v[46:47], v[46:47], 3, v[0:1]
	s_delay_alu instid0(VALU_DEP_4) | instskip(NEXT) | instid1(VALU_DEP_4)
	v_add_nc_u32_e32 v30, s2, v2
	v_pk_fma_f32 v[54:55], v[42:43], v[40:41], v[50:51] op_sel_hi:[1,0,1]
	v_pk_fma_f32 v[42:43], v[42:43], v[40:41], v[50:51] neg_lo:[0,0,1] neg_hi:[0,0,1]
	global_store_b64 v[46:47], v[38:39], off
	s_wait_xcnt 0x0
	v_lshl_add_u64 v[46:47], s[2:3], 3, v[46:47]
	v_dual_cndmask_b32 v41, v41, v55 :: v_dual_add_nc_u32 v44, s2, v30
	s_delay_alu instid0(VALU_DEP_1) | instskip(NEXT) | instid1(VALU_DEP_1)
	v_dual_add_nc_u32 v48, s2, v44 :: v_dual_ashrrev_i32 v31, 31, v30
	v_dual_add_nc_u32 v52, s2, v48 :: v_dual_cndmask_b32 v40, v40, v42, vcc_lo
	v_dual_ashrrev_i32 v45, 31, v44 :: v_dual_ashrrev_i32 v3, 31, v2
	s_delay_alu instid0(VALU_DEP_3) | instskip(NEXT) | instid1(VALU_DEP_3)
	v_lshl_add_u64 v[30:31], v[30:31], 3, v[0:1]
	v_dual_add_nc_u32 v50, s2, v52 :: v_dual_ashrrev_i32 v53, 31, v52
	s_delay_alu instid0(VALU_DEP_3) | instskip(NEXT) | instid1(VALU_DEP_4)
	v_lshl_add_u64 v[44:45], v[44:45], 3, v[0:1]
	v_lshl_add_u64 v[2:3], v[2:3], 3, v[0:1]
	s_clause 0x3
	global_store_b64 v[46:47], v[34:35], off
	global_store_b64 v[2:3], v[36:37], off
	;; [unrolled: 1-line block ×4, first 2 shown]
	v_dual_add_nc_u32 v42, s2, v50 :: v_dual_ashrrev_i32 v49, 31, v48
	v_ashrrev_i32_e32 v51, 31, v50
	s_wait_xcnt 0x1
	v_lshl_add_u64 v[32:33], v[52:53], 3, v[0:1]
	s_delay_alu instid0(VALU_DEP_3) | instskip(SKIP_2) | instid1(VALU_DEP_3)
	v_dual_add_nc_u32 v38, s2, v42 :: v_dual_ashrrev_i32 v43, 31, v42
	v_lshl_add_u64 v[30:31], v[48:49], 3, v[0:1]
	v_lshl_add_u64 v[34:35], v[50:51], 3, v[0:1]
	v_dual_add_nc_u32 v54, s2, v38 :: v_dual_ashrrev_i32 v39, 31, v38
	s_delay_alu instid0(VALU_DEP_4)
	v_lshl_add_u64 v[36:37], v[42:43], 3, v[0:1]
	s_clause 0x3
	global_store_b64 v[30:31], v[6:7], off
	global_store_b64 v[32:33], v[8:9], off
	;; [unrolled: 1-line block ×4, first 2 shown]
	v_dual_add_nc_u32 v2, s2, v54 :: v_dual_ashrrev_i32 v55, 31, v54
	s_wait_xcnt 0x2
	v_lshl_add_u64 v[8:9], v[38:39], 3, v[0:1]
	s_delay_alu instid0(VALU_DEP_2) | instskip(SKIP_2) | instid1(VALU_DEP_2)
	v_dual_add_nc_u32 v22, s2, v2 :: v_dual_ashrrev_i32 v3, 31, v2
	s_wait_xcnt 0x0
	v_lshl_add_u64 v[28:29], v[54:55], 3, v[0:1]
	v_dual_add_nc_u32 v42, s2, v22 :: v_dual_ashrrev_i32 v23, 31, v22
	s_delay_alu instid0(VALU_DEP_3) | instskip(NEXT) | instid1(VALU_DEP_2)
	v_lshl_add_u64 v[2:3], v[2:3], 3, v[0:1]
	v_dual_add_nc_u32 v4, s2, v42 :: v_dual_ashrrev_i32 v43, 31, v42
	s_delay_alu instid0(VALU_DEP_3)
	v_lshl_add_u64 v[22:23], v[22:23], 3, v[0:1]
	s_clause 0x3
	global_store_b64 v[8:9], v[14:15], off
	global_store_b64 v[28:29], v[16:17], off
	;; [unrolled: 1-line block ×4, first 2 shown]
	v_dual_add_nc_u32 v6, s2, v4 :: v_dual_ashrrev_i32 v5, 31, v4
	s_wait_xcnt 0x3
	v_lshl_add_u64 v[8:9], v[42:43], 3, v[0:1]
	s_delay_alu instid0(VALU_DEP_2) | instskip(NEXT) | instid1(VALU_DEP_3)
	v_dual_add_nc_u32 v30, s2, v6 :: v_dual_ashrrev_i32 v7, 31, v6
	v_lshl_add_u64 v[4:5], v[4:5], 3, v[0:1]
	s_wait_xcnt 0x1
	s_delay_alu instid0(VALU_DEP_2) | instskip(NEXT) | instid1(VALU_DEP_3)
	v_dual_add_nc_u32 v2, s2, v30 :: v_dual_ashrrev_i32 v31, 31, v30
	v_lshl_add_u64 v[6:7], v[6:7], 3, v[0:1]
	s_delay_alu instid0(VALU_DEP_2) | instskip(NEXT) | instid1(VALU_DEP_3)
	v_ashrrev_i32_e32 v3, 31, v2
	v_lshl_add_u64 v[12:13], v[30:31], 3, v[0:1]
	s_delay_alu instid0(VALU_DEP_2)
	v_lshl_add_u64 v[0:1], v[2:3], 3, v[0:1]
	s_clause 0x4
	global_store_b64 v[8:9], v[10:11], off
	global_store_b64 v[4:5], v[24:25], off
	;; [unrolled: 1-line block ×5, first 2 shown]
.LBB34_379:
	s_sendmsg sendmsg(MSG_DEALLOC_VGPRS)
	s_endpgm
	.section	.rodata,"a",@progbits
	.p2align	6, 0x0
	.amdhsa_kernel _ZN9rocsolver6v33100L18getf2_small_kernelILi18E19rocblas_complex_numIfEiiPS3_EEvT1_T3_lS5_lPS5_llPT2_S5_S5_S7_l
		.amdhsa_group_segment_fixed_size 0
		.amdhsa_private_segment_fixed_size 0
		.amdhsa_kernarg_size 352
		.amdhsa_user_sgpr_count 2
		.amdhsa_user_sgpr_dispatch_ptr 0
		.amdhsa_user_sgpr_queue_ptr 0
		.amdhsa_user_sgpr_kernarg_segment_ptr 1
		.amdhsa_user_sgpr_dispatch_id 0
		.amdhsa_user_sgpr_kernarg_preload_length 0
		.amdhsa_user_sgpr_kernarg_preload_offset 0
		.amdhsa_user_sgpr_private_segment_size 0
		.amdhsa_wavefront_size32 1
		.amdhsa_uses_dynamic_stack 0
		.amdhsa_enable_private_segment 0
		.amdhsa_system_sgpr_workgroup_id_x 1
		.amdhsa_system_sgpr_workgroup_id_y 1
		.amdhsa_system_sgpr_workgroup_id_z 0
		.amdhsa_system_sgpr_workgroup_info 0
		.amdhsa_system_vgpr_workitem_id 1
		.amdhsa_next_free_vgpr 66
		.amdhsa_next_free_sgpr 20
		.amdhsa_named_barrier_count 0
		.amdhsa_reserve_vcc 1
		.amdhsa_float_round_mode_32 0
		.amdhsa_float_round_mode_16_64 0
		.amdhsa_float_denorm_mode_32 3
		.amdhsa_float_denorm_mode_16_64 3
		.amdhsa_fp16_overflow 0
		.amdhsa_memory_ordered 1
		.amdhsa_forward_progress 1
		.amdhsa_inst_pref_size 215
		.amdhsa_round_robin_scheduling 0
		.amdhsa_exception_fp_ieee_invalid_op 0
		.amdhsa_exception_fp_denorm_src 0
		.amdhsa_exception_fp_ieee_div_zero 0
		.amdhsa_exception_fp_ieee_overflow 0
		.amdhsa_exception_fp_ieee_underflow 0
		.amdhsa_exception_fp_ieee_inexact 0
		.amdhsa_exception_int_div_zero 0
	.end_amdhsa_kernel
	.section	.text._ZN9rocsolver6v33100L18getf2_small_kernelILi18E19rocblas_complex_numIfEiiPS3_EEvT1_T3_lS5_lPS5_llPT2_S5_S5_S7_l,"axG",@progbits,_ZN9rocsolver6v33100L18getf2_small_kernelILi18E19rocblas_complex_numIfEiiPS3_EEvT1_T3_lS5_lPS5_llPT2_S5_S5_S7_l,comdat
.Lfunc_end34:
	.size	_ZN9rocsolver6v33100L18getf2_small_kernelILi18E19rocblas_complex_numIfEiiPS3_EEvT1_T3_lS5_lPS5_llPT2_S5_S5_S7_l, .Lfunc_end34-_ZN9rocsolver6v33100L18getf2_small_kernelILi18E19rocblas_complex_numIfEiiPS3_EEvT1_T3_lS5_lPS5_llPT2_S5_S5_S7_l
                                        ; -- End function
	.set _ZN9rocsolver6v33100L18getf2_small_kernelILi18E19rocblas_complex_numIfEiiPS3_EEvT1_T3_lS5_lPS5_llPT2_S5_S5_S7_l.num_vgpr, 66
	.set _ZN9rocsolver6v33100L18getf2_small_kernelILi18E19rocblas_complex_numIfEiiPS3_EEvT1_T3_lS5_lPS5_llPT2_S5_S5_S7_l.num_agpr, 0
	.set _ZN9rocsolver6v33100L18getf2_small_kernelILi18E19rocblas_complex_numIfEiiPS3_EEvT1_T3_lS5_lPS5_llPT2_S5_S5_S7_l.numbered_sgpr, 20
	.set _ZN9rocsolver6v33100L18getf2_small_kernelILi18E19rocblas_complex_numIfEiiPS3_EEvT1_T3_lS5_lPS5_llPT2_S5_S5_S7_l.num_named_barrier, 0
	.set _ZN9rocsolver6v33100L18getf2_small_kernelILi18E19rocblas_complex_numIfEiiPS3_EEvT1_T3_lS5_lPS5_llPT2_S5_S5_S7_l.private_seg_size, 0
	.set _ZN9rocsolver6v33100L18getf2_small_kernelILi18E19rocblas_complex_numIfEiiPS3_EEvT1_T3_lS5_lPS5_llPT2_S5_S5_S7_l.uses_vcc, 1
	.set _ZN9rocsolver6v33100L18getf2_small_kernelILi18E19rocblas_complex_numIfEiiPS3_EEvT1_T3_lS5_lPS5_llPT2_S5_S5_S7_l.uses_flat_scratch, 0
	.set _ZN9rocsolver6v33100L18getf2_small_kernelILi18E19rocblas_complex_numIfEiiPS3_EEvT1_T3_lS5_lPS5_llPT2_S5_S5_S7_l.has_dyn_sized_stack, 0
	.set _ZN9rocsolver6v33100L18getf2_small_kernelILi18E19rocblas_complex_numIfEiiPS3_EEvT1_T3_lS5_lPS5_llPT2_S5_S5_S7_l.has_recursion, 0
	.set _ZN9rocsolver6v33100L18getf2_small_kernelILi18E19rocblas_complex_numIfEiiPS3_EEvT1_T3_lS5_lPS5_llPT2_S5_S5_S7_l.has_indirect_call, 0
	.section	.AMDGPU.csdata,"",@progbits
; Kernel info:
; codeLenInByte = 27428
; TotalNumSgprs: 22
; NumVgprs: 66
; ScratchSize: 0
; MemoryBound: 0
; FloatMode: 240
; IeeeMode: 1
; LDSByteSize: 0 bytes/workgroup (compile time only)
; SGPRBlocks: 0
; VGPRBlocks: 4
; NumSGPRsForWavesPerEU: 22
; NumVGPRsForWavesPerEU: 66
; NamedBarCnt: 0
; Occupancy: 12
; WaveLimiterHint : 0
; COMPUTE_PGM_RSRC2:SCRATCH_EN: 0
; COMPUTE_PGM_RSRC2:USER_SGPR: 2
; COMPUTE_PGM_RSRC2:TRAP_HANDLER: 0
; COMPUTE_PGM_RSRC2:TGID_X_EN: 1
; COMPUTE_PGM_RSRC2:TGID_Y_EN: 1
; COMPUTE_PGM_RSRC2:TGID_Z_EN: 0
; COMPUTE_PGM_RSRC2:TIDIG_COMP_CNT: 1
	.section	.text._ZN9rocsolver6v33100L23getf2_npvt_small_kernelILi18E19rocblas_complex_numIfEiiPS3_EEvT1_T3_lS5_lPT2_S5_S5_,"axG",@progbits,_ZN9rocsolver6v33100L23getf2_npvt_small_kernelILi18E19rocblas_complex_numIfEiiPS3_EEvT1_T3_lS5_lPT2_S5_S5_,comdat
	.globl	_ZN9rocsolver6v33100L23getf2_npvt_small_kernelILi18E19rocblas_complex_numIfEiiPS3_EEvT1_T3_lS5_lPT2_S5_S5_ ; -- Begin function _ZN9rocsolver6v33100L23getf2_npvt_small_kernelILi18E19rocblas_complex_numIfEiiPS3_EEvT1_T3_lS5_lPT2_S5_S5_
	.p2align	8
	.type	_ZN9rocsolver6v33100L23getf2_npvt_small_kernelILi18E19rocblas_complex_numIfEiiPS3_EEvT1_T3_lS5_lPT2_S5_S5_,@function
_ZN9rocsolver6v33100L23getf2_npvt_small_kernelILi18E19rocblas_complex_numIfEiiPS3_EEvT1_T3_lS5_lPT2_S5_S5_: ; @_ZN9rocsolver6v33100L23getf2_npvt_small_kernelILi18E19rocblas_complex_numIfEiiPS3_EEvT1_T3_lS5_lPT2_S5_S5_
; %bb.0:
	s_clause 0x1
	s_load_u16 s14, s[0:1], 0x46
	s_load_b64 s[2:3], s[0:1], 0x30
	s_bfe_u32 s4, ttmp6, 0x40010
	s_bfe_u32 s5, ttmp6, 0x40004
	s_add_co_i32 s4, s4, 1
	s_getreg_b32 s6, hwreg(HW_REG_IB_STS2, 6, 4)
	s_mul_i32 s4, ttmp7, s4
	v_bfe_u32 v74, v0, 10, 10
	s_add_co_i32 s5, s5, s4
	s_cmp_eq_u32 s6, 0
	s_cselect_b32 s4, ttmp7, s5
	s_wait_kmcnt 0x0
	v_mad_u32 v2, s4, s14, v74
	s_delay_alu instid0(VALU_DEP_1)
	v_cmp_gt_i32_e32 vcc_lo, s2, v2
	s_and_saveexec_b32 s2, vcc_lo
	s_cbranch_execz .LBB35_165
; %bb.1:
	s_clause 0x1
	s_load_b32 s12, s[0:1], 0x18
	s_load_b128 s[4:7], s[0:1], 0x20
	v_and_b32_e32 v110, 0x3ff, v0
	s_load_b128 s[8:11], s[0:1], 0x8
	v_lshlrev_b32_e32 v75, 3, v74
	s_mulk_i32 s14, 0x90
	v_mad_u32_u24 v112, 0x90, v74, 0
	s_wait_xcnt 0x0
	v_cmp_ne_u32_e64 s1, 0, v110
	v_cmp_eq_u32_e64 s0, 0, v110
	v_add3_u32 v111, 0, s14, v75
	v_dual_mov_b32 v15, 0 :: v_dual_lshlrev_b32 v14, 3, v110
	s_wait_kmcnt 0x0
	v_add3_u32 v0, s12, s12, v110
	v_ashrrev_i32_e32 v3, 31, v2
	s_ashr_i32 s13, s12, 31
	s_delay_alu instid0(VALU_DEP_2) | instskip(NEXT) | instid1(VALU_DEP_2)
	v_add_nc_u32_e32 v4, s12, v0
	v_mul_u64_e32 v[6:7], s[4:5], v[2:3]
	v_ashrrev_i32_e32 v1, 31, v0
	s_delay_alu instid0(VALU_DEP_3) | instskip(NEXT) | instid1(VALU_DEP_1)
	v_add_nc_u32_e32 v8, s12, v4
	v_add_nc_u32_e32 v10, s12, v8
	s_delay_alu instid0(VALU_DEP_1) | instskip(NEXT) | instid1(VALU_DEP_1)
	v_dual_add_nc_u32 v12, s12, v10 :: v_dual_ashrrev_i32 v11, 31, v10
	v_add_nc_u32_e32 v20, s12, v12
	s_delay_alu instid0(VALU_DEP_1) | instskip(NEXT) | instid1(VALU_DEP_1)
	v_add_nc_u32_e32 v22, s12, v20
	v_dual_ashrrev_i32 v9, 31, v8 :: v_dual_ashrrev_i32 v23, 31, v22
	v_add_nc_u32_e32 v24, s12, v22
	v_lshl_add_u64 v[6:7], v[6:7], 3, s[8:9]
	s_delay_alu instid0(VALU_DEP_2) | instskip(SKIP_1) | instid1(VALU_DEP_3)
	v_dual_add_nc_u32 v30, s12, v24 :: v_dual_ashrrev_i32 v25, 31, v24
	v_ashrrev_i32_e32 v5, 31, v4
	v_lshl_add_u64 v[44:45], s[10:11], 3, v[6:7]
	s_delay_alu instid0(VALU_DEP_3) | instskip(SKIP_1) | instid1(VALU_DEP_3)
	v_dual_ashrrev_i32 v21, 31, v20 :: v_dual_ashrrev_i32 v31, 31, v30
	v_add_nc_u32_e32 v32, s12, v30
	v_add_nc_u64_e32 v[18:19], v[44:45], v[14:15]
	v_lshl_add_u64 v[6:7], v[0:1], 3, v[44:45]
	v_lshl_add_u64 v[16:17], v[8:9], 3, v[44:45]
	s_delay_alu instid0(VALU_DEP_4)
	v_add_nc_u32_e32 v46, s12, v32
	v_ashrrev_i32_e32 v13, 31, v12
	v_lshl_add_u64 v[0:1], v[10:11], 3, v[44:45]
	v_lshl_add_u64 v[8:9], v[20:21], 3, v[44:45]
	;; [unrolled: 1-line block ×3, first 2 shown]
	v_add_nc_u32_e32 v54, s12, v46
	v_lshl_add_u64 v[20:21], v[30:31], 3, v[44:45]
	v_lshl_add_u64 v[14:15], v[4:5], 3, v[44:45]
	;; [unrolled: 1-line block ×4, first 2 shown]
	v_add_nc_u32_e32 v56, s12, v54
	v_lshl_add_u64 v[34:35], s[12:13], 3, v[18:19]
	s_clause 0x3
	global_load_b64 v[28:29], v[16:17], off
	global_load_b64 v[24:25], v[0:1], off
	;; [unrolled: 1-line block ×4, first 2 shown]
	v_ashrrev_i32_e32 v47, 31, v46
	s_clause 0x3
	global_load_b64 v[40:41], v[18:19], off
	global_load_b64 v[42:43], v[34:35], off
	;; [unrolled: 1-line block ×4, first 2 shown]
	v_add_nc_u32_e32 v58, s12, v56
	v_ashrrev_i32_e32 v33, 31, v32
	s_delay_alu instid0(VALU_DEP_2) | instskip(SKIP_2) | instid1(VALU_DEP_4)
	v_dual_ashrrev_i32 v57, 31, v56 :: v_dual_ashrrev_i32 v59, 31, v58
	v_add_nc_u32_e32 v60, s12, v58
	v_ashrrev_i32_e32 v55, 31, v54
	v_lshl_add_u64 v[30:31], v[32:33], 3, v[44:45]
	v_lshl_add_u64 v[32:33], v[46:47], 3, v[44:45]
	;; [unrolled: 1-line block ×3, first 2 shown]
	v_dual_add_nc_u32 v62, s12, v60 :: v_dual_ashrrev_i32 v61, 31, v60
	v_lshl_add_u64 v[54:55], v[54:55], 3, v[44:45]
	v_lshl_add_u64 v[58:59], v[58:59], 3, v[44:45]
	s_clause 0x3
	global_load_b64 v[52:53], v[10:11], off
	global_load_b64 v[48:49], v[12:13], off
	;; [unrolled: 1-line block ×4, first 2 shown]
	v_ashrrev_i32_e32 v63, 31, v62
	v_lshl_add_u64 v[60:61], v[60:61], 3, v[44:45]
	s_delay_alu instid0(VALU_DEP_2)
	v_lshl_add_u64 v[44:45], v[62:63], 3, v[44:45]
	s_clause 0x5
	global_load_b64 v[64:65], v[32:33], off
	global_load_b64 v[62:63], v[54:55], off
	;; [unrolled: 1-line block ×6, first 2 shown]
	s_wait_xcnt 0x0
	s_and_saveexec_b32 s4, s0
	s_cbranch_execz .LBB35_8
; %bb.2:
	s_wait_loadcnt 0xd
	ds_store_b64 v111, v[40:41]
	s_wait_loadcnt 0xb
	ds_store_2addr_b64 v112, v[42:43], v[38:39] offset0:1 offset1:2
	s_wait_loadcnt 0xa
	ds_store_2addr_b64 v112, v[36:37], v[28:29] offset0:3 offset1:4
	ds_store_2addr_b64 v112, v[24:25], v[26:27] offset0:5 offset1:6
	s_wait_loadcnt 0x9
	ds_store_2addr_b64 v112, v[22:23], v[52:53] offset0:7 offset1:8
	s_wait_loadcnt 0x7
	;; [unrolled: 2-line block ×6, first 2 shown]
	ds_store_b64 v112, v[70:71] offset:136
	ds_load_b64 v[74:75], v111
	s_wait_dscnt 0x0
	v_cmp_neq_f32_e32 vcc_lo, 0, v74
	v_cmp_neq_f32_e64 s2, 0, v75
	s_or_b32 s2, vcc_lo, s2
	s_delay_alu instid0(SALU_CYCLE_1)
	s_and_b32 exec_lo, exec_lo, s2
	s_cbranch_execz .LBB35_8
; %bb.3:
	v_cmp_ngt_f32_e64 s2, |v74|, |v75|
                                        ; implicit-def: $vgpr76_vgpr77
	s_and_saveexec_b32 s5, s2
	s_delay_alu instid0(SALU_CYCLE_1)
	s_xor_b32 s2, exec_lo, s5
	s_cbranch_execz .LBB35_5
; %bb.4:
	v_div_scale_f32 v76, null, v75, v75, v74
	v_div_scale_f32 v79, vcc_lo, v74, v75, v74
	s_delay_alu instid0(VALU_DEP_2) | instskip(SKIP_1) | instid1(TRANS32_DEP_1)
	v_rcp_f32_e32 v77, v76
	v_nop
	v_fma_f32 v78, -v76, v77, 1.0
	s_delay_alu instid0(VALU_DEP_1) | instskip(NEXT) | instid1(VALU_DEP_1)
	v_fmac_f32_e32 v77, v78, v77
	v_mul_f32_e32 v78, v79, v77
	s_delay_alu instid0(VALU_DEP_1) | instskip(NEXT) | instid1(VALU_DEP_1)
	v_fma_f32 v80, -v76, v78, v79
	v_fmac_f32_e32 v78, v80, v77
	s_delay_alu instid0(VALU_DEP_1) | instskip(NEXT) | instid1(VALU_DEP_1)
	v_fma_f32 v76, -v76, v78, v79
	v_div_fmas_f32 v76, v76, v77, v78
	s_delay_alu instid0(VALU_DEP_1) | instskip(NEXT) | instid1(VALU_DEP_1)
	v_div_fixup_f32 v76, v76, v75, v74
	v_fmac_f32_e32 v75, v74, v76
	s_delay_alu instid0(VALU_DEP_1) | instskip(SKIP_1) | instid1(VALU_DEP_2)
	v_div_scale_f32 v74, null, v75, v75, 1.0
	v_div_scale_f32 v79, vcc_lo, 1.0, v75, 1.0
	v_rcp_f32_e32 v77, v74
	v_nop
	s_delay_alu instid0(TRANS32_DEP_1) | instskip(NEXT) | instid1(VALU_DEP_1)
	v_fma_f32 v78, -v74, v77, 1.0
	v_fmac_f32_e32 v77, v78, v77
	s_delay_alu instid0(VALU_DEP_1) | instskip(NEXT) | instid1(VALU_DEP_1)
	v_mul_f32_e32 v78, v79, v77
	v_fma_f32 v80, -v74, v78, v79
	s_delay_alu instid0(VALU_DEP_1) | instskip(NEXT) | instid1(VALU_DEP_1)
	v_fmac_f32_e32 v78, v80, v77
	v_fma_f32 v74, -v74, v78, v79
	s_delay_alu instid0(VALU_DEP_1) | instskip(NEXT) | instid1(VALU_DEP_1)
	v_div_fmas_f32 v74, v74, v77, v78
	v_div_fixup_f32 v74, v74, v75, 1.0
	s_delay_alu instid0(VALU_DEP_1)
	v_mul_f32_e32 v76, v76, v74
	v_xor_b32_e32 v77, 0x80000000, v74
                                        ; implicit-def: $vgpr74_vgpr75
.LBB35_5:
	s_and_not1_saveexec_b32 s2, s2
	s_cbranch_execz .LBB35_7
; %bb.6:
	v_div_scale_f32 v76, null, v74, v74, v75
	v_div_scale_f32 v79, vcc_lo, v75, v74, v75
	s_delay_alu instid0(VALU_DEP_2) | instskip(SKIP_1) | instid1(TRANS32_DEP_1)
	v_rcp_f32_e32 v77, v76
	v_nop
	v_fma_f32 v78, -v76, v77, 1.0
	s_delay_alu instid0(VALU_DEP_1) | instskip(NEXT) | instid1(VALU_DEP_1)
	v_fmac_f32_e32 v77, v78, v77
	v_mul_f32_e32 v78, v79, v77
	s_delay_alu instid0(VALU_DEP_1) | instskip(NEXT) | instid1(VALU_DEP_1)
	v_fma_f32 v80, -v76, v78, v79
	v_fmac_f32_e32 v78, v80, v77
	s_delay_alu instid0(VALU_DEP_1) | instskip(NEXT) | instid1(VALU_DEP_1)
	v_fma_f32 v76, -v76, v78, v79
	v_div_fmas_f32 v76, v76, v77, v78
	s_delay_alu instid0(VALU_DEP_1) | instskip(NEXT) | instid1(VALU_DEP_1)
	v_div_fixup_f32 v77, v76, v74, v75
	v_fmac_f32_e32 v74, v75, v77
	s_delay_alu instid0(VALU_DEP_1) | instskip(NEXT) | instid1(VALU_DEP_1)
	v_div_scale_f32 v75, null, v74, v74, 1.0
	v_rcp_f32_e32 v76, v75
	v_nop
	s_delay_alu instid0(TRANS32_DEP_1) | instskip(NEXT) | instid1(VALU_DEP_1)
	v_fma_f32 v78, -v75, v76, 1.0
	v_fmac_f32_e32 v76, v78, v76
	v_div_scale_f32 v78, vcc_lo, 1.0, v74, 1.0
	s_delay_alu instid0(VALU_DEP_1) | instskip(NEXT) | instid1(VALU_DEP_1)
	v_mul_f32_e32 v79, v78, v76
	v_fma_f32 v80, -v75, v79, v78
	s_delay_alu instid0(VALU_DEP_1) | instskip(NEXT) | instid1(VALU_DEP_1)
	v_fmac_f32_e32 v79, v80, v76
	v_fma_f32 v75, -v75, v79, v78
	s_delay_alu instid0(VALU_DEP_1) | instskip(NEXT) | instid1(VALU_DEP_1)
	v_div_fmas_f32 v75, v75, v76, v79
	v_div_fixup_f32 v76, v75, v74, 1.0
	s_delay_alu instid0(VALU_DEP_1)
	v_mul_f32_e64 v77, v77, -v76
.LBB35_7:
	s_or_b32 exec_lo, exec_lo, s2
	ds_store_b64 v111, v[76:77]
.LBB35_8:
	s_or_b32 exec_lo, exec_lo, s4
	s_wait_loadcnt_dscnt 0x0
	s_barrier_signal -1
	s_barrier_wait -1
	ds_load_b64 v[74:75], v111
	s_and_saveexec_b32 s2, s1
	s_cbranch_execz .LBB35_10
; %bb.9:
	ds_load_2addr_b64 v[80:83], v112 offset0:1 offset1:2
	s_wait_dscnt 0x1
	v_pk_mul_f32 v[78:79], v[74:75], v[40:41] op_sel:[1,1] op_sel_hi:[0,1]
	s_delay_alu instid0(VALU_DEP_1) | instskip(SKIP_1) | instid1(VALU_DEP_1)
	v_pk_fma_f32 v[76:77], v[74:75], v[40:41], v[78:79] op_sel_hi:[1,0,1] neg_lo:[0,0,1] neg_hi:[0,0,1]
	v_pk_fma_f32 v[78:79], v[74:75], v[40:41], v[78:79] op_sel_hi:[1,0,1]
	v_dual_mov_b32 v40, v76 :: v_dual_mov_b32 v41, v79
	s_wait_dscnt 0x0
	s_delay_alu instid0(VALU_DEP_2) | instskip(NEXT) | instid1(VALU_DEP_1)
	v_pk_mul_f32 v[84:85], v[80:81], v[78:79] op_sel:[0,1]
	v_pk_fma_f32 v[86:87], v[80:81], v[76:77], v[84:85] op_sel:[0,0,1] op_sel_hi:[1,1,0] neg_lo:[0,0,1] neg_hi:[0,0,1]
	v_pk_fma_f32 v[80:81], v[80:81], v[76:77], v[84:85] op_sel:[0,0,1] op_sel_hi:[1,0,0]
	s_delay_alu instid0(VALU_DEP_1) | instskip(SKIP_1) | instid1(VALU_DEP_1)
	v_mov_b32_e32 v87, v81
	v_pk_mul_f32 v[80:81], v[82:83], v[78:79] op_sel:[0,1]
	v_pk_fma_f32 v[84:85], v[82:83], v[76:77], v[80:81] op_sel:[0,0,1] op_sel_hi:[1,1,0] neg_lo:[0,0,1] neg_hi:[0,0,1]
	v_pk_fma_f32 v[80:81], v[82:83], v[76:77], v[80:81] op_sel:[0,0,1] op_sel_hi:[1,0,0]
	s_delay_alu instid0(VALU_DEP_1)
	v_mov_b32_e32 v85, v81
	ds_load_2addr_b64 v[80:83], v112 offset0:3 offset1:4
	v_pk_add_f32 v[42:43], v[42:43], v[86:87] neg_lo:[0,1] neg_hi:[0,1]
	v_pk_add_f32 v[38:39], v[38:39], v[84:85] neg_lo:[0,1] neg_hi:[0,1]
	s_wait_dscnt 0x0
	v_pk_mul_f32 v[84:85], v[80:81], v[78:79] op_sel:[0,1]
	s_delay_alu instid0(VALU_DEP_1) | instskip(SKIP_2) | instid1(VALU_DEP_2)
	v_pk_fma_f32 v[86:87], v[80:81], v[76:77], v[84:85] op_sel:[0,0,1] op_sel_hi:[1,1,0] neg_lo:[0,0,1] neg_hi:[0,0,1]
	v_pk_fma_f32 v[80:81], v[80:81], v[76:77], v[84:85] op_sel:[0,0,1] op_sel_hi:[1,0,0]
	v_dual_mul_f32 v84, v83, v79 :: v_dual_mov_b32 v80, v83
	v_dual_mov_b32 v87, v81 :: v_dual_mov_b32 v81, v82
	s_delay_alu instid0(VALU_DEP_2) | instskip(SKIP_1) | instid1(VALU_DEP_3)
	v_pk_fma_f32 v[84:85], v[82:83], v[40:41], v[84:85] op_sel_hi:[1,1,0] neg_lo:[0,0,1] neg_hi:[0,0,1]
	v_mul_f32_e32 v82, v83, v76
	v_pk_add_f32 v[36:37], v[36:37], v[86:87] neg_lo:[0,1] neg_hi:[0,1]
	s_delay_alu instid0(VALU_DEP_2) | instskip(NEXT) | instid1(VALU_DEP_1)
	v_pk_fma_f32 v[80:81], v[80:81], v[40:41], v[82:83] op_sel_hi:[1,1,0]
	v_mov_b32_e32 v85, v81
	ds_load_2addr_b64 v[80:83], v112 offset0:5 offset1:6
	v_pk_add_f32 v[28:29], v[28:29], v[84:85] neg_lo:[0,1] neg_hi:[0,1]
	s_wait_dscnt 0x0
	v_pk_mul_f32 v[84:85], v[80:81], v[78:79] op_sel:[0,1]
	s_delay_alu instid0(VALU_DEP_1) | instskip(SKIP_1) | instid1(VALU_DEP_1)
	v_pk_fma_f32 v[86:87], v[80:81], v[76:77], v[84:85] op_sel:[0,0,1] op_sel_hi:[1,1,0] neg_lo:[0,0,1] neg_hi:[0,0,1]
	v_pk_fma_f32 v[80:81], v[80:81], v[76:77], v[84:85] op_sel:[0,0,1] op_sel_hi:[1,0,0]
	v_mov_b32_e32 v87, v81
	v_pk_mul_f32 v[80:81], v[82:83], v[78:79] op_sel:[0,1]
	s_delay_alu instid0(VALU_DEP_1) | instskip(SKIP_1) | instid1(VALU_DEP_1)
	v_pk_fma_f32 v[84:85], v[82:83], v[76:77], v[80:81] op_sel:[0,0,1] op_sel_hi:[1,1,0] neg_lo:[0,0,1] neg_hi:[0,0,1]
	v_pk_fma_f32 v[80:81], v[82:83], v[76:77], v[80:81] op_sel:[0,0,1] op_sel_hi:[1,0,0]
	v_mov_b32_e32 v85, v81
	ds_load_2addr_b64 v[80:83], v112 offset0:7 offset1:8
	v_pk_add_f32 v[24:25], v[24:25], v[86:87] neg_lo:[0,1] neg_hi:[0,1]
	v_pk_add_f32 v[26:27], v[26:27], v[84:85] neg_lo:[0,1] neg_hi:[0,1]
	s_wait_dscnt 0x0
	v_pk_mul_f32 v[84:85], v[80:81], v[78:79] op_sel:[0,1]
	s_delay_alu instid0(VALU_DEP_1) | instskip(SKIP_1) | instid1(VALU_DEP_1)
	v_pk_fma_f32 v[86:87], v[80:81], v[76:77], v[84:85] op_sel:[0,0,1] op_sel_hi:[1,1,0] neg_lo:[0,0,1] neg_hi:[0,0,1]
	v_pk_fma_f32 v[80:81], v[80:81], v[76:77], v[84:85] op_sel:[0,0,1] op_sel_hi:[1,0,0]
	v_mov_b32_e32 v87, v81
	v_pk_mul_f32 v[80:81], v[82:83], v[78:79] op_sel:[0,1]
	s_delay_alu instid0(VALU_DEP_1) | instskip(SKIP_1) | instid1(VALU_DEP_1)
	v_pk_fma_f32 v[84:85], v[82:83], v[76:77], v[80:81] op_sel:[0,0,1] op_sel_hi:[1,1,0] neg_lo:[0,0,1] neg_hi:[0,0,1]
	v_pk_fma_f32 v[80:81], v[82:83], v[76:77], v[80:81] op_sel:[0,0,1] op_sel_hi:[1,0,0]
	v_mov_b32_e32 v85, v81
	ds_load_2addr_b64 v[80:83], v112 offset0:9 offset1:10
	v_pk_add_f32 v[22:23], v[22:23], v[86:87] neg_lo:[0,1] neg_hi:[0,1]
	v_pk_add_f32 v[52:53], v[52:53], v[84:85] neg_lo:[0,1] neg_hi:[0,1]
	s_wait_dscnt 0x0
	v_dual_mul_f32 v84, v81, v79 :: v_dual_mul_f32 v86, v81, v76
	s_delay_alu instid0(VALU_DEP_1) | instskip(NEXT) | instid1(VALU_DEP_2)
	v_pk_fma_f32 v[84:85], v[80:81], v[40:41], v[84:85] op_sel_hi:[1,1,0] neg_lo:[0,0,1] neg_hi:[0,0,1]
	v_pk_fma_f32 v[80:81], v[80:81], v[40:41], v[86:87] op_sel:[1,0,0] op_sel_hi:[0,1,0]
	s_delay_alu instid0(VALU_DEP_1) | instskip(SKIP_1) | instid1(VALU_DEP_2)
	v_mov_b32_e32 v85, v81
	v_pk_mul_f32 v[80:81], v[82:83], v[78:79] op_sel:[0,1]
	v_pk_add_f32 v[48:49], v[48:49], v[84:85] neg_lo:[0,1] neg_hi:[0,1]
	s_delay_alu instid0(VALU_DEP_2) | instskip(SKIP_1) | instid1(VALU_DEP_1)
	v_pk_fma_f32 v[84:85], v[82:83], v[76:77], v[80:81] op_sel:[0,0,1] op_sel_hi:[1,1,0] neg_lo:[0,0,1] neg_hi:[0,0,1]
	v_pk_fma_f32 v[80:81], v[82:83], v[76:77], v[80:81] op_sel:[0,0,1] op_sel_hi:[1,0,0]
	v_mov_b32_e32 v85, v81
	ds_load_2addr_b64 v[80:83], v112 offset0:11 offset1:12
	v_pk_add_f32 v[50:51], v[50:51], v[84:85] neg_lo:[0,1] neg_hi:[0,1]
	s_wait_dscnt 0x0
	v_pk_mul_f32 v[84:85], v[80:81], v[78:79] op_sel:[0,1]
	s_delay_alu instid0(VALU_DEP_1) | instskip(SKIP_1) | instid1(VALU_DEP_1)
	v_pk_fma_f32 v[86:87], v[80:81], v[76:77], v[84:85] op_sel:[0,0,1] op_sel_hi:[1,1,0] neg_lo:[0,0,1] neg_hi:[0,0,1]
	v_pk_fma_f32 v[80:81], v[80:81], v[76:77], v[84:85] op_sel:[0,0,1] op_sel_hi:[1,0,0]
	v_mov_b32_e32 v87, v81
	v_pk_mul_f32 v[80:81], v[82:83], v[78:79] op_sel:[0,1]
	s_delay_alu instid0(VALU_DEP_2) | instskip(NEXT) | instid1(VALU_DEP_2)
	v_pk_add_f32 v[46:47], v[46:47], v[86:87] neg_lo:[0,1] neg_hi:[0,1]
	v_pk_fma_f32 v[84:85], v[82:83], v[76:77], v[80:81] op_sel:[0,0,1] op_sel_hi:[1,1,0] neg_lo:[0,0,1] neg_hi:[0,0,1]
	v_pk_fma_f32 v[80:81], v[82:83], v[76:77], v[80:81] op_sel:[0,0,1] op_sel_hi:[1,0,0]
	s_delay_alu instid0(VALU_DEP_1) | instskip(SKIP_4) | instid1(VALU_DEP_1)
	v_mov_b32_e32 v85, v81
	ds_load_2addr_b64 v[80:83], v112 offset0:13 offset1:14
	v_pk_add_f32 v[64:65], v[64:65], v[84:85] neg_lo:[0,1] neg_hi:[0,1]
	s_wait_dscnt 0x0
	v_pk_mul_f32 v[84:85], v[80:81], v[78:79] op_sel:[0,1]
	v_pk_fma_f32 v[86:87], v[80:81], v[76:77], v[84:85] op_sel:[0,0,1] op_sel_hi:[1,1,0] neg_lo:[0,0,1] neg_hi:[0,0,1]
	v_pk_fma_f32 v[80:81], v[80:81], v[76:77], v[84:85] op_sel:[0,0,1] op_sel_hi:[1,0,0]
	v_dual_mul_f32 v84, v83, v79 :: v_dual_mov_b32 v80, v83
	s_delay_alu instid0(VALU_DEP_2) | instskip(NEXT) | instid1(VALU_DEP_2)
	v_dual_mov_b32 v87, v81 :: v_dual_mov_b32 v81, v82
	v_pk_fma_f32 v[84:85], v[82:83], v[40:41], v[84:85] op_sel_hi:[1,1,0] neg_lo:[0,0,1] neg_hi:[0,0,1]
	v_mul_f32_e32 v82, v83, v76
	s_delay_alu instid0(VALU_DEP_3) | instskip(NEXT) | instid1(VALU_DEP_2)
	v_pk_add_f32 v[62:63], v[62:63], v[86:87] neg_lo:[0,1] neg_hi:[0,1]
	v_pk_fma_f32 v[80:81], v[80:81], v[40:41], v[82:83] op_sel_hi:[1,1,0]
	s_delay_alu instid0(VALU_DEP_1) | instskip(SKIP_4) | instid1(VALU_DEP_1)
	v_mov_b32_e32 v85, v81
	ds_load_2addr_b64 v[80:83], v112 offset0:15 offset1:16
	v_pk_add_f32 v[72:73], v[72:73], v[84:85] neg_lo:[0,1] neg_hi:[0,1]
	s_wait_dscnt 0x0
	v_pk_mul_f32 v[84:85], v[80:81], v[78:79] op_sel:[0,1]
	v_pk_fma_f32 v[86:87], v[80:81], v[76:77], v[84:85] op_sel:[0,0,1] op_sel_hi:[1,1,0] neg_lo:[0,0,1] neg_hi:[0,0,1]
	v_pk_fma_f32 v[80:81], v[80:81], v[76:77], v[84:85] op_sel:[0,0,1] op_sel_hi:[1,0,0]
	s_delay_alu instid0(VALU_DEP_1) | instskip(SKIP_1) | instid1(VALU_DEP_1)
	v_mov_b32_e32 v87, v81
	v_pk_mul_f32 v[80:81], v[82:83], v[78:79] op_sel:[0,1]
	v_pk_fma_f32 v[84:85], v[82:83], v[76:77], v[80:81] op_sel:[0,0,1] op_sel_hi:[1,1,0] neg_lo:[0,0,1] neg_hi:[0,0,1]
	v_pk_fma_f32 v[80:81], v[82:83], v[76:77], v[80:81] op_sel:[0,0,1] op_sel_hi:[1,0,0]
	s_delay_alu instid0(VALU_DEP_1)
	v_mov_b32_e32 v85, v81
	ds_load_b64 v[80:81], v112 offset:136
	v_pk_add_f32 v[68:69], v[68:69], v[86:87] neg_lo:[0,1] neg_hi:[0,1]
	v_pk_add_f32 v[66:67], v[66:67], v[84:85] neg_lo:[0,1] neg_hi:[0,1]
	s_wait_dscnt 0x0
	v_pk_mul_f32 v[78:79], v[80:81], v[78:79] op_sel:[0,1]
	s_delay_alu instid0(VALU_DEP_1) | instskip(SKIP_1) | instid1(VALU_DEP_1)
	v_pk_fma_f32 v[82:83], v[80:81], v[76:77], v[78:79] op_sel:[0,0,1] op_sel_hi:[1,1,0] neg_lo:[0,0,1] neg_hi:[0,0,1]
	v_pk_fma_f32 v[76:77], v[80:81], v[76:77], v[78:79] op_sel:[0,0,1] op_sel_hi:[1,0,0]
	v_mov_b32_e32 v83, v77
	s_delay_alu instid0(VALU_DEP_1)
	v_pk_add_f32 v[70:71], v[70:71], v[82:83] neg_lo:[0,1] neg_hi:[0,1]
.LBB35_10:
	s_or_b32 exec_lo, exec_lo, s2
	s_delay_alu instid0(SALU_CYCLE_1)
	s_mov_b32 s2, exec_lo
	s_wait_dscnt 0x0
	s_barrier_signal -1
	s_barrier_wait -1
	v_cmpx_eq_u32_e32 1, v110
	s_cbranch_execz .LBB35_17
; %bb.11:
	v_dual_mov_b32 v76, v38 :: v_dual_mov_b32 v77, v39
	v_dual_mov_b32 v78, v36 :: v_dual_mov_b32 v79, v37
	ds_store_b64 v111, v[42:43]
	ds_store_2addr_b64 v112, v[76:77], v[78:79] offset0:2 offset1:3
	v_dual_mov_b32 v76, v28 :: v_dual_mov_b32 v77, v29
	v_dual_mov_b32 v78, v24 :: v_dual_mov_b32 v79, v25
	ds_store_2addr_b64 v112, v[76:77], v[78:79] offset0:4 offset1:5
	v_dual_mov_b32 v76, v26 :: v_dual_mov_b32 v77, v27
	v_dual_mov_b32 v78, v22 :: v_dual_mov_b32 v79, v23
	;; [unrolled: 3-line block ×6, first 2 shown]
	ds_store_2addr_b64 v112, v[76:77], v[78:79] offset0:14 offset1:15
	v_dual_mov_b32 v76, v66 :: v_dual_mov_b32 v77, v67
	ds_store_2addr_b64 v112, v[76:77], v[70:71] offset0:16 offset1:17
	ds_load_b64 v[76:77], v111
	s_wait_dscnt 0x0
	v_cmp_neq_f32_e32 vcc_lo, 0, v76
	v_cmp_neq_f32_e64 s1, 0, v77
	s_or_b32 s1, vcc_lo, s1
	s_delay_alu instid0(SALU_CYCLE_1)
	s_and_b32 exec_lo, exec_lo, s1
	s_cbranch_execz .LBB35_17
; %bb.12:
	v_cmp_ngt_f32_e64 s1, |v76|, |v77|
                                        ; implicit-def: $vgpr78_vgpr79
	s_and_saveexec_b32 s4, s1
	s_delay_alu instid0(SALU_CYCLE_1)
	s_xor_b32 s1, exec_lo, s4
	s_cbranch_execz .LBB35_14
; %bb.13:
	v_div_scale_f32 v78, null, v77, v77, v76
	v_div_scale_f32 v81, vcc_lo, v76, v77, v76
	s_delay_alu instid0(VALU_DEP_2) | instskip(SKIP_1) | instid1(TRANS32_DEP_1)
	v_rcp_f32_e32 v79, v78
	v_nop
	v_fma_f32 v80, -v78, v79, 1.0
	s_delay_alu instid0(VALU_DEP_1) | instskip(NEXT) | instid1(VALU_DEP_1)
	v_fmac_f32_e32 v79, v80, v79
	v_mul_f32_e32 v80, v81, v79
	s_delay_alu instid0(VALU_DEP_1) | instskip(NEXT) | instid1(VALU_DEP_1)
	v_fma_f32 v82, -v78, v80, v81
	v_fmac_f32_e32 v80, v82, v79
	s_delay_alu instid0(VALU_DEP_1) | instskip(NEXT) | instid1(VALU_DEP_1)
	v_fma_f32 v78, -v78, v80, v81
	v_div_fmas_f32 v78, v78, v79, v80
	s_delay_alu instid0(VALU_DEP_1) | instskip(NEXT) | instid1(VALU_DEP_1)
	v_div_fixup_f32 v78, v78, v77, v76
	v_fmac_f32_e32 v77, v76, v78
	s_delay_alu instid0(VALU_DEP_1) | instskip(SKIP_1) | instid1(VALU_DEP_2)
	v_div_scale_f32 v76, null, v77, v77, 1.0
	v_div_scale_f32 v81, vcc_lo, 1.0, v77, 1.0
	v_rcp_f32_e32 v79, v76
	v_nop
	s_delay_alu instid0(TRANS32_DEP_1) | instskip(NEXT) | instid1(VALU_DEP_1)
	v_fma_f32 v80, -v76, v79, 1.0
	v_fmac_f32_e32 v79, v80, v79
	s_delay_alu instid0(VALU_DEP_1) | instskip(NEXT) | instid1(VALU_DEP_1)
	v_mul_f32_e32 v80, v81, v79
	v_fma_f32 v82, -v76, v80, v81
	s_delay_alu instid0(VALU_DEP_1) | instskip(NEXT) | instid1(VALU_DEP_1)
	v_fmac_f32_e32 v80, v82, v79
	v_fma_f32 v76, -v76, v80, v81
	s_delay_alu instid0(VALU_DEP_1) | instskip(NEXT) | instid1(VALU_DEP_1)
	v_div_fmas_f32 v76, v76, v79, v80
	v_div_fixup_f32 v76, v76, v77, 1.0
	s_delay_alu instid0(VALU_DEP_1)
	v_mul_f32_e32 v78, v78, v76
	v_xor_b32_e32 v79, 0x80000000, v76
                                        ; implicit-def: $vgpr76_vgpr77
.LBB35_14:
	s_and_not1_saveexec_b32 s1, s1
	s_cbranch_execz .LBB35_16
; %bb.15:
	v_div_scale_f32 v78, null, v76, v76, v77
	v_div_scale_f32 v81, vcc_lo, v77, v76, v77
	s_delay_alu instid0(VALU_DEP_2) | instskip(SKIP_1) | instid1(TRANS32_DEP_1)
	v_rcp_f32_e32 v79, v78
	v_nop
	v_fma_f32 v80, -v78, v79, 1.0
	s_delay_alu instid0(VALU_DEP_1) | instskip(NEXT) | instid1(VALU_DEP_1)
	v_fmac_f32_e32 v79, v80, v79
	v_mul_f32_e32 v80, v81, v79
	s_delay_alu instid0(VALU_DEP_1) | instskip(NEXT) | instid1(VALU_DEP_1)
	v_fma_f32 v82, -v78, v80, v81
	v_fmac_f32_e32 v80, v82, v79
	s_delay_alu instid0(VALU_DEP_1) | instskip(NEXT) | instid1(VALU_DEP_1)
	v_fma_f32 v78, -v78, v80, v81
	v_div_fmas_f32 v78, v78, v79, v80
	s_delay_alu instid0(VALU_DEP_1) | instskip(NEXT) | instid1(VALU_DEP_1)
	v_div_fixup_f32 v79, v78, v76, v77
	v_fmac_f32_e32 v76, v77, v79
	s_delay_alu instid0(VALU_DEP_1) | instskip(NEXT) | instid1(VALU_DEP_1)
	v_div_scale_f32 v77, null, v76, v76, 1.0
	v_rcp_f32_e32 v78, v77
	v_nop
	s_delay_alu instid0(TRANS32_DEP_1) | instskip(NEXT) | instid1(VALU_DEP_1)
	v_fma_f32 v80, -v77, v78, 1.0
	v_fmac_f32_e32 v78, v80, v78
	v_div_scale_f32 v80, vcc_lo, 1.0, v76, 1.0
	s_delay_alu instid0(VALU_DEP_1) | instskip(NEXT) | instid1(VALU_DEP_1)
	v_mul_f32_e32 v81, v80, v78
	v_fma_f32 v82, -v77, v81, v80
	s_delay_alu instid0(VALU_DEP_1) | instskip(NEXT) | instid1(VALU_DEP_1)
	v_fmac_f32_e32 v81, v82, v78
	v_fma_f32 v77, -v77, v81, v80
	s_delay_alu instid0(VALU_DEP_1) | instskip(NEXT) | instid1(VALU_DEP_1)
	v_div_fmas_f32 v77, v77, v78, v81
	v_div_fixup_f32 v78, v77, v76, 1.0
	s_delay_alu instid0(VALU_DEP_1)
	v_mul_f32_e64 v79, v79, -v78
.LBB35_16:
	s_or_b32 exec_lo, exec_lo, s1
	ds_store_b64 v111, v[78:79]
.LBB35_17:
	s_or_b32 exec_lo, exec_lo, s2
	s_wait_dscnt 0x0
	s_barrier_signal -1
	s_barrier_wait -1
	ds_load_b64 v[76:77], v111
	s_mov_b32 s1, exec_lo
	v_cmpx_lt_u32_e32 1, v110
	s_cbranch_execz .LBB35_19
; %bb.18:
	ds_load_2addr_b64 v[82:85], v112 offset0:2 offset1:3
	s_wait_dscnt 0x1
	v_pk_mul_f32 v[80:81], v[76:77], v[42:43] op_sel:[1,1] op_sel_hi:[0,1]
	s_delay_alu instid0(VALU_DEP_1) | instskip(SKIP_1) | instid1(VALU_DEP_1)
	v_pk_fma_f32 v[78:79], v[76:77], v[42:43], v[80:81] op_sel_hi:[1,0,1] neg_lo:[0,0,1] neg_hi:[0,0,1]
	v_pk_fma_f32 v[80:81], v[76:77], v[42:43], v[80:81] op_sel_hi:[1,0,1]
	v_dual_mov_b32 v42, v78 :: v_dual_mov_b32 v43, v81
	s_wait_dscnt 0x0
	s_delay_alu instid0(VALU_DEP_2) | instskip(NEXT) | instid1(VALU_DEP_1)
	v_pk_mul_f32 v[86:87], v[82:83], v[80:81] op_sel:[0,1]
	v_pk_fma_f32 v[88:89], v[82:83], v[78:79], v[86:87] op_sel:[0,0,1] op_sel_hi:[1,1,0] neg_lo:[0,0,1] neg_hi:[0,0,1]
	v_pk_fma_f32 v[82:83], v[82:83], v[78:79], v[86:87] op_sel:[0,0,1] op_sel_hi:[1,0,0]
	s_delay_alu instid0(VALU_DEP_1) | instskip(SKIP_1) | instid1(VALU_DEP_1)
	v_mov_b32_e32 v89, v83
	v_pk_mul_f32 v[82:83], v[84:85], v[80:81] op_sel:[0,1]
	v_pk_fma_f32 v[86:87], v[84:85], v[78:79], v[82:83] op_sel:[0,0,1] op_sel_hi:[1,1,0] neg_lo:[0,0,1] neg_hi:[0,0,1]
	v_pk_fma_f32 v[82:83], v[84:85], v[78:79], v[82:83] op_sel:[0,0,1] op_sel_hi:[1,0,0]
	s_delay_alu instid0(VALU_DEP_1)
	v_mov_b32_e32 v87, v83
	ds_load_2addr_b64 v[82:85], v112 offset0:4 offset1:5
	v_pk_add_f32 v[38:39], v[38:39], v[88:89] neg_lo:[0,1] neg_hi:[0,1]
	v_pk_add_f32 v[36:37], v[36:37], v[86:87] neg_lo:[0,1] neg_hi:[0,1]
	s_wait_dscnt 0x0
	v_pk_mul_f32 v[86:87], v[82:83], v[80:81] op_sel:[0,1]
	s_delay_alu instid0(VALU_DEP_1) | instskip(SKIP_2) | instid1(VALU_DEP_2)
	v_pk_fma_f32 v[88:89], v[82:83], v[78:79], v[86:87] op_sel:[0,0,1] op_sel_hi:[1,1,0] neg_lo:[0,0,1] neg_hi:[0,0,1]
	v_pk_fma_f32 v[82:83], v[82:83], v[78:79], v[86:87] op_sel:[0,0,1] op_sel_hi:[1,0,0]
	v_dual_mul_f32 v86, v85, v81 :: v_dual_mov_b32 v82, v85
	v_dual_mov_b32 v89, v83 :: v_dual_mov_b32 v83, v84
	s_delay_alu instid0(VALU_DEP_2) | instskip(SKIP_1) | instid1(VALU_DEP_3)
	v_pk_fma_f32 v[86:87], v[84:85], v[42:43], v[86:87] op_sel_hi:[1,1,0] neg_lo:[0,0,1] neg_hi:[0,0,1]
	v_mul_f32_e32 v84, v85, v78
	v_pk_add_f32 v[28:29], v[28:29], v[88:89] neg_lo:[0,1] neg_hi:[0,1]
	s_delay_alu instid0(VALU_DEP_2) | instskip(NEXT) | instid1(VALU_DEP_1)
	v_pk_fma_f32 v[82:83], v[82:83], v[42:43], v[84:85] op_sel_hi:[1,1,0]
	v_mov_b32_e32 v87, v83
	ds_load_2addr_b64 v[82:85], v112 offset0:6 offset1:7
	v_pk_add_f32 v[24:25], v[24:25], v[86:87] neg_lo:[0,1] neg_hi:[0,1]
	s_wait_dscnt 0x0
	v_pk_mul_f32 v[86:87], v[82:83], v[80:81] op_sel:[0,1]
	s_delay_alu instid0(VALU_DEP_1) | instskip(SKIP_1) | instid1(VALU_DEP_1)
	v_pk_fma_f32 v[88:89], v[82:83], v[78:79], v[86:87] op_sel:[0,0,1] op_sel_hi:[1,1,0] neg_lo:[0,0,1] neg_hi:[0,0,1]
	v_pk_fma_f32 v[82:83], v[82:83], v[78:79], v[86:87] op_sel:[0,0,1] op_sel_hi:[1,0,0]
	v_mov_b32_e32 v89, v83
	v_pk_mul_f32 v[82:83], v[84:85], v[80:81] op_sel:[0,1]
	s_delay_alu instid0(VALU_DEP_1) | instskip(SKIP_1) | instid1(VALU_DEP_1)
	v_pk_fma_f32 v[86:87], v[84:85], v[78:79], v[82:83] op_sel:[0,0,1] op_sel_hi:[1,1,0] neg_lo:[0,0,1] neg_hi:[0,0,1]
	v_pk_fma_f32 v[82:83], v[84:85], v[78:79], v[82:83] op_sel:[0,0,1] op_sel_hi:[1,0,0]
	v_mov_b32_e32 v87, v83
	ds_load_2addr_b64 v[82:85], v112 offset0:8 offset1:9
	v_pk_add_f32 v[26:27], v[26:27], v[88:89] neg_lo:[0,1] neg_hi:[0,1]
	v_pk_add_f32 v[22:23], v[22:23], v[86:87] neg_lo:[0,1] neg_hi:[0,1]
	s_wait_dscnt 0x0
	v_pk_mul_f32 v[86:87], v[82:83], v[80:81] op_sel:[0,1]
	s_delay_alu instid0(VALU_DEP_1) | instskip(SKIP_1) | instid1(VALU_DEP_1)
	v_pk_fma_f32 v[88:89], v[82:83], v[78:79], v[86:87] op_sel:[0,0,1] op_sel_hi:[1,1,0] neg_lo:[0,0,1] neg_hi:[0,0,1]
	v_pk_fma_f32 v[82:83], v[82:83], v[78:79], v[86:87] op_sel:[0,0,1] op_sel_hi:[1,0,0]
	v_mov_b32_e32 v89, v83
	v_pk_mul_f32 v[82:83], v[84:85], v[80:81] op_sel:[0,1]
	s_delay_alu instid0(VALU_DEP_1) | instskip(SKIP_1) | instid1(VALU_DEP_1)
	v_pk_fma_f32 v[86:87], v[84:85], v[78:79], v[82:83] op_sel:[0,0,1] op_sel_hi:[1,1,0] neg_lo:[0,0,1] neg_hi:[0,0,1]
	v_pk_fma_f32 v[82:83], v[84:85], v[78:79], v[82:83] op_sel:[0,0,1] op_sel_hi:[1,0,0]
	v_mov_b32_e32 v87, v83
	ds_load_2addr_b64 v[82:85], v112 offset0:10 offset1:11
	v_pk_add_f32 v[52:53], v[52:53], v[88:89] neg_lo:[0,1] neg_hi:[0,1]
	v_pk_add_f32 v[48:49], v[48:49], v[86:87] neg_lo:[0,1] neg_hi:[0,1]
	s_wait_dscnt 0x0
	v_dual_mul_f32 v86, v83, v81 :: v_dual_mul_f32 v88, v83, v78
	s_delay_alu instid0(VALU_DEP_1) | instskip(NEXT) | instid1(VALU_DEP_2)
	v_pk_fma_f32 v[86:87], v[82:83], v[42:43], v[86:87] op_sel_hi:[1,1,0] neg_lo:[0,0,1] neg_hi:[0,0,1]
	v_pk_fma_f32 v[82:83], v[82:83], v[42:43], v[88:89] op_sel:[1,0,0] op_sel_hi:[0,1,0]
	s_delay_alu instid0(VALU_DEP_1) | instskip(SKIP_1) | instid1(VALU_DEP_2)
	v_mov_b32_e32 v87, v83
	v_pk_mul_f32 v[82:83], v[84:85], v[80:81] op_sel:[0,1]
	v_pk_add_f32 v[50:51], v[50:51], v[86:87] neg_lo:[0,1] neg_hi:[0,1]
	s_delay_alu instid0(VALU_DEP_2) | instskip(SKIP_1) | instid1(VALU_DEP_1)
	v_pk_fma_f32 v[86:87], v[84:85], v[78:79], v[82:83] op_sel:[0,0,1] op_sel_hi:[1,1,0] neg_lo:[0,0,1] neg_hi:[0,0,1]
	v_pk_fma_f32 v[82:83], v[84:85], v[78:79], v[82:83] op_sel:[0,0,1] op_sel_hi:[1,0,0]
	v_mov_b32_e32 v87, v83
	ds_load_2addr_b64 v[82:85], v112 offset0:12 offset1:13
	v_pk_add_f32 v[46:47], v[46:47], v[86:87] neg_lo:[0,1] neg_hi:[0,1]
	s_wait_dscnt 0x0
	v_pk_mul_f32 v[86:87], v[82:83], v[80:81] op_sel:[0,1]
	s_delay_alu instid0(VALU_DEP_1) | instskip(SKIP_1) | instid1(VALU_DEP_1)
	v_pk_fma_f32 v[88:89], v[82:83], v[78:79], v[86:87] op_sel:[0,0,1] op_sel_hi:[1,1,0] neg_lo:[0,0,1] neg_hi:[0,0,1]
	v_pk_fma_f32 v[82:83], v[82:83], v[78:79], v[86:87] op_sel:[0,0,1] op_sel_hi:[1,0,0]
	v_mov_b32_e32 v89, v83
	v_pk_mul_f32 v[82:83], v[84:85], v[80:81] op_sel:[0,1]
	s_delay_alu instid0(VALU_DEP_2) | instskip(NEXT) | instid1(VALU_DEP_2)
	v_pk_add_f32 v[64:65], v[64:65], v[88:89] neg_lo:[0,1] neg_hi:[0,1]
	v_pk_fma_f32 v[86:87], v[84:85], v[78:79], v[82:83] op_sel:[0,0,1] op_sel_hi:[1,1,0] neg_lo:[0,0,1] neg_hi:[0,0,1]
	v_pk_fma_f32 v[82:83], v[84:85], v[78:79], v[82:83] op_sel:[0,0,1] op_sel_hi:[1,0,0]
	s_delay_alu instid0(VALU_DEP_1) | instskip(SKIP_4) | instid1(VALU_DEP_1)
	v_mov_b32_e32 v87, v83
	ds_load_2addr_b64 v[82:85], v112 offset0:14 offset1:15
	v_pk_add_f32 v[62:63], v[62:63], v[86:87] neg_lo:[0,1] neg_hi:[0,1]
	s_wait_dscnt 0x0
	v_pk_mul_f32 v[86:87], v[82:83], v[80:81] op_sel:[0,1]
	v_pk_fma_f32 v[88:89], v[82:83], v[78:79], v[86:87] op_sel:[0,0,1] op_sel_hi:[1,1,0] neg_lo:[0,0,1] neg_hi:[0,0,1]
	v_pk_fma_f32 v[82:83], v[82:83], v[78:79], v[86:87] op_sel:[0,0,1] op_sel_hi:[1,0,0]
	v_dual_mul_f32 v86, v85, v81 :: v_dual_mov_b32 v82, v85
	s_delay_alu instid0(VALU_DEP_2) | instskip(NEXT) | instid1(VALU_DEP_2)
	v_dual_mov_b32 v89, v83 :: v_dual_mov_b32 v83, v84
	v_pk_fma_f32 v[86:87], v[84:85], v[42:43], v[86:87] op_sel_hi:[1,1,0] neg_lo:[0,0,1] neg_hi:[0,0,1]
	v_mul_f32_e32 v84, v85, v78
	s_delay_alu instid0(VALU_DEP_3) | instskip(NEXT) | instid1(VALU_DEP_2)
	v_pk_add_f32 v[72:73], v[72:73], v[88:89] neg_lo:[0,1] neg_hi:[0,1]
	v_pk_fma_f32 v[82:83], v[82:83], v[42:43], v[84:85] op_sel_hi:[1,1,0]
	s_delay_alu instid0(VALU_DEP_1)
	v_mov_b32_e32 v87, v83
	ds_load_2addr_b64 v[82:85], v112 offset0:16 offset1:17
	v_pk_add_f32 v[68:69], v[68:69], v[86:87] neg_lo:[0,1] neg_hi:[0,1]
	s_wait_dscnt 0x0
	v_pk_mul_f32 v[86:87], v[82:83], v[80:81] op_sel:[0,1]
	v_pk_mul_f32 v[80:81], v[84:85], v[80:81] op_sel:[0,1]
	s_delay_alu instid0(VALU_DEP_2) | instskip(SKIP_1) | instid1(VALU_DEP_1)
	v_pk_fma_f32 v[88:89], v[82:83], v[78:79], v[86:87] op_sel:[0,0,1] op_sel_hi:[1,1,0] neg_lo:[0,0,1] neg_hi:[0,0,1]
	v_pk_fma_f32 v[82:83], v[82:83], v[78:79], v[86:87] op_sel:[0,0,1] op_sel_hi:[1,0,0]
	v_mov_b32_e32 v89, v83
	s_delay_alu instid0(VALU_DEP_4) | instskip(SKIP_1) | instid1(VALU_DEP_1)
	v_pk_fma_f32 v[82:83], v[84:85], v[78:79], v[80:81] op_sel:[0,0,1] op_sel_hi:[1,1,0] neg_lo:[0,0,1] neg_hi:[0,0,1]
	v_pk_fma_f32 v[78:79], v[84:85], v[78:79], v[80:81] op_sel:[0,0,1] op_sel_hi:[1,0,0]
	v_mov_b32_e32 v83, v79
	s_delay_alu instid0(VALU_DEP_4) | instskip(NEXT) | instid1(VALU_DEP_2)
	v_pk_add_f32 v[66:67], v[66:67], v[88:89] neg_lo:[0,1] neg_hi:[0,1]
	v_pk_add_f32 v[70:71], v[70:71], v[82:83] neg_lo:[0,1] neg_hi:[0,1]
.LBB35_19:
	s_or_b32 exec_lo, exec_lo, s1
	s_delay_alu instid0(SALU_CYCLE_1)
	s_mov_b32 s2, exec_lo
	s_wait_dscnt 0x0
	s_barrier_signal -1
	s_barrier_wait -1
	v_cmpx_eq_u32_e32 2, v110
	s_cbranch_execz .LBB35_26
; %bb.20:
	ds_store_b64 v111, v[38:39]
	ds_store_2addr_b64 v112, v[36:37], v[28:29] offset0:3 offset1:4
	ds_store_2addr_b64 v112, v[24:25], v[26:27] offset0:5 offset1:6
	;; [unrolled: 1-line block ×7, first 2 shown]
	ds_store_b64 v112, v[70:71] offset:136
	ds_load_b64 v[78:79], v111
	s_wait_dscnt 0x0
	v_cmp_neq_f32_e32 vcc_lo, 0, v78
	v_cmp_neq_f32_e64 s1, 0, v79
	s_or_b32 s1, vcc_lo, s1
	s_delay_alu instid0(SALU_CYCLE_1)
	s_and_b32 exec_lo, exec_lo, s1
	s_cbranch_execz .LBB35_26
; %bb.21:
	v_cmp_ngt_f32_e64 s1, |v78|, |v79|
                                        ; implicit-def: $vgpr80_vgpr81
	s_and_saveexec_b32 s4, s1
	s_delay_alu instid0(SALU_CYCLE_1)
	s_xor_b32 s1, exec_lo, s4
	s_cbranch_execz .LBB35_23
; %bb.22:
	v_div_scale_f32 v80, null, v79, v79, v78
	v_div_scale_f32 v83, vcc_lo, v78, v79, v78
	s_delay_alu instid0(VALU_DEP_2) | instskip(SKIP_1) | instid1(TRANS32_DEP_1)
	v_rcp_f32_e32 v81, v80
	v_nop
	v_fma_f32 v82, -v80, v81, 1.0
	s_delay_alu instid0(VALU_DEP_1) | instskip(NEXT) | instid1(VALU_DEP_1)
	v_fmac_f32_e32 v81, v82, v81
	v_mul_f32_e32 v82, v83, v81
	s_delay_alu instid0(VALU_DEP_1) | instskip(NEXT) | instid1(VALU_DEP_1)
	v_fma_f32 v84, -v80, v82, v83
	v_fmac_f32_e32 v82, v84, v81
	s_delay_alu instid0(VALU_DEP_1) | instskip(NEXT) | instid1(VALU_DEP_1)
	v_fma_f32 v80, -v80, v82, v83
	v_div_fmas_f32 v80, v80, v81, v82
	s_delay_alu instid0(VALU_DEP_1) | instskip(NEXT) | instid1(VALU_DEP_1)
	v_div_fixup_f32 v80, v80, v79, v78
	v_fmac_f32_e32 v79, v78, v80
	s_delay_alu instid0(VALU_DEP_1) | instskip(SKIP_1) | instid1(VALU_DEP_2)
	v_div_scale_f32 v78, null, v79, v79, 1.0
	v_div_scale_f32 v83, vcc_lo, 1.0, v79, 1.0
	v_rcp_f32_e32 v81, v78
	v_nop
	s_delay_alu instid0(TRANS32_DEP_1) | instskip(NEXT) | instid1(VALU_DEP_1)
	v_fma_f32 v82, -v78, v81, 1.0
	v_fmac_f32_e32 v81, v82, v81
	s_delay_alu instid0(VALU_DEP_1) | instskip(NEXT) | instid1(VALU_DEP_1)
	v_mul_f32_e32 v82, v83, v81
	v_fma_f32 v84, -v78, v82, v83
	s_delay_alu instid0(VALU_DEP_1) | instskip(NEXT) | instid1(VALU_DEP_1)
	v_fmac_f32_e32 v82, v84, v81
	v_fma_f32 v78, -v78, v82, v83
	s_delay_alu instid0(VALU_DEP_1) | instskip(NEXT) | instid1(VALU_DEP_1)
	v_div_fmas_f32 v78, v78, v81, v82
	v_div_fixup_f32 v78, v78, v79, 1.0
	s_delay_alu instid0(VALU_DEP_1)
	v_mul_f32_e32 v80, v80, v78
	v_xor_b32_e32 v81, 0x80000000, v78
                                        ; implicit-def: $vgpr78_vgpr79
.LBB35_23:
	s_and_not1_saveexec_b32 s1, s1
	s_cbranch_execz .LBB35_25
; %bb.24:
	v_div_scale_f32 v80, null, v78, v78, v79
	v_div_scale_f32 v83, vcc_lo, v79, v78, v79
	s_delay_alu instid0(VALU_DEP_2) | instskip(SKIP_1) | instid1(TRANS32_DEP_1)
	v_rcp_f32_e32 v81, v80
	v_nop
	v_fma_f32 v82, -v80, v81, 1.0
	s_delay_alu instid0(VALU_DEP_1) | instskip(NEXT) | instid1(VALU_DEP_1)
	v_fmac_f32_e32 v81, v82, v81
	v_mul_f32_e32 v82, v83, v81
	s_delay_alu instid0(VALU_DEP_1) | instskip(NEXT) | instid1(VALU_DEP_1)
	v_fma_f32 v84, -v80, v82, v83
	v_fmac_f32_e32 v82, v84, v81
	s_delay_alu instid0(VALU_DEP_1) | instskip(NEXT) | instid1(VALU_DEP_1)
	v_fma_f32 v80, -v80, v82, v83
	v_div_fmas_f32 v80, v80, v81, v82
	s_delay_alu instid0(VALU_DEP_1) | instskip(NEXT) | instid1(VALU_DEP_1)
	v_div_fixup_f32 v81, v80, v78, v79
	v_fmac_f32_e32 v78, v79, v81
	s_delay_alu instid0(VALU_DEP_1) | instskip(NEXT) | instid1(VALU_DEP_1)
	v_div_scale_f32 v79, null, v78, v78, 1.0
	v_rcp_f32_e32 v80, v79
	v_nop
	s_delay_alu instid0(TRANS32_DEP_1) | instskip(NEXT) | instid1(VALU_DEP_1)
	v_fma_f32 v82, -v79, v80, 1.0
	v_fmac_f32_e32 v80, v82, v80
	v_div_scale_f32 v82, vcc_lo, 1.0, v78, 1.0
	s_delay_alu instid0(VALU_DEP_1) | instskip(NEXT) | instid1(VALU_DEP_1)
	v_mul_f32_e32 v83, v82, v80
	v_fma_f32 v84, -v79, v83, v82
	s_delay_alu instid0(VALU_DEP_1) | instskip(NEXT) | instid1(VALU_DEP_1)
	v_fmac_f32_e32 v83, v84, v80
	v_fma_f32 v79, -v79, v83, v82
	s_delay_alu instid0(VALU_DEP_1) | instskip(NEXT) | instid1(VALU_DEP_1)
	v_div_fmas_f32 v79, v79, v80, v83
	v_div_fixup_f32 v80, v79, v78, 1.0
	s_delay_alu instid0(VALU_DEP_1)
	v_mul_f32_e64 v81, v81, -v80
.LBB35_25:
	s_or_b32 exec_lo, exec_lo, s1
	ds_store_b64 v111, v[80:81]
.LBB35_26:
	s_or_b32 exec_lo, exec_lo, s2
	s_wait_dscnt 0x0
	s_barrier_signal -1
	s_barrier_wait -1
	ds_load_b64 v[78:79], v111
	s_mov_b32 s1, exec_lo
	v_cmpx_lt_u32_e32 2, v110
	s_cbranch_execz .LBB35_28
; %bb.27:
	ds_load_2addr_b64 v[84:87], v112 offset0:3 offset1:4
	s_wait_dscnt 0x1
	v_pk_mul_f32 v[82:83], v[78:79], v[38:39] op_sel:[1,1] op_sel_hi:[0,1]
	s_delay_alu instid0(VALU_DEP_1) | instskip(SKIP_1) | instid1(VALU_DEP_1)
	v_pk_fma_f32 v[80:81], v[78:79], v[38:39], v[82:83] op_sel_hi:[1,0,1] neg_lo:[0,0,1] neg_hi:[0,0,1]
	v_pk_fma_f32 v[82:83], v[78:79], v[38:39], v[82:83] op_sel_hi:[1,0,1]
	v_dual_mov_b32 v38, v80 :: v_dual_mov_b32 v39, v83
	s_wait_dscnt 0x0
	s_delay_alu instid0(VALU_DEP_2) | instskip(NEXT) | instid1(VALU_DEP_1)
	v_pk_mul_f32 v[88:89], v[84:85], v[82:83] op_sel:[0,1]
	v_pk_fma_f32 v[90:91], v[84:85], v[80:81], v[88:89] op_sel:[0,0,1] op_sel_hi:[1,1,0] neg_lo:[0,0,1] neg_hi:[0,0,1]
	v_pk_fma_f32 v[84:85], v[84:85], v[80:81], v[88:89] op_sel:[0,0,1] op_sel_hi:[1,0,0]
	s_delay_alu instid0(VALU_DEP_1) | instskip(SKIP_1) | instid1(VALU_DEP_1)
	v_mov_b32_e32 v91, v85
	v_pk_mul_f32 v[84:85], v[86:87], v[82:83] op_sel:[0,1]
	v_pk_fma_f32 v[88:89], v[86:87], v[80:81], v[84:85] op_sel:[0,0,1] op_sel_hi:[1,1,0] neg_lo:[0,0,1] neg_hi:[0,0,1]
	v_pk_fma_f32 v[84:85], v[86:87], v[80:81], v[84:85] op_sel:[0,0,1] op_sel_hi:[1,0,0]
	s_delay_alu instid0(VALU_DEP_1)
	v_mov_b32_e32 v89, v85
	ds_load_2addr_b64 v[84:87], v112 offset0:5 offset1:6
	v_pk_add_f32 v[36:37], v[36:37], v[90:91] neg_lo:[0,1] neg_hi:[0,1]
	v_pk_add_f32 v[28:29], v[28:29], v[88:89] neg_lo:[0,1] neg_hi:[0,1]
	s_wait_dscnt 0x0
	v_pk_mul_f32 v[88:89], v[84:85], v[82:83] op_sel:[0,1]
	s_delay_alu instid0(VALU_DEP_1) | instskip(SKIP_2) | instid1(VALU_DEP_2)
	v_pk_fma_f32 v[90:91], v[84:85], v[80:81], v[88:89] op_sel:[0,0,1] op_sel_hi:[1,1,0] neg_lo:[0,0,1] neg_hi:[0,0,1]
	v_pk_fma_f32 v[84:85], v[84:85], v[80:81], v[88:89] op_sel:[0,0,1] op_sel_hi:[1,0,0]
	v_dual_mul_f32 v88, v87, v83 :: v_dual_mov_b32 v84, v87
	v_dual_mov_b32 v91, v85 :: v_dual_mov_b32 v85, v86
	s_delay_alu instid0(VALU_DEP_2) | instskip(SKIP_1) | instid1(VALU_DEP_3)
	v_pk_fma_f32 v[88:89], v[86:87], v[38:39], v[88:89] op_sel_hi:[1,1,0] neg_lo:[0,0,1] neg_hi:[0,0,1]
	v_mul_f32_e32 v86, v87, v80
	v_pk_add_f32 v[24:25], v[24:25], v[90:91] neg_lo:[0,1] neg_hi:[0,1]
	s_delay_alu instid0(VALU_DEP_2) | instskip(NEXT) | instid1(VALU_DEP_1)
	v_pk_fma_f32 v[84:85], v[84:85], v[38:39], v[86:87] op_sel_hi:[1,1,0]
	v_mov_b32_e32 v89, v85
	ds_load_2addr_b64 v[84:87], v112 offset0:7 offset1:8
	v_pk_add_f32 v[26:27], v[26:27], v[88:89] neg_lo:[0,1] neg_hi:[0,1]
	s_wait_dscnt 0x0
	v_pk_mul_f32 v[88:89], v[84:85], v[82:83] op_sel:[0,1]
	s_delay_alu instid0(VALU_DEP_1) | instskip(SKIP_1) | instid1(VALU_DEP_1)
	v_pk_fma_f32 v[90:91], v[84:85], v[80:81], v[88:89] op_sel:[0,0,1] op_sel_hi:[1,1,0] neg_lo:[0,0,1] neg_hi:[0,0,1]
	v_pk_fma_f32 v[84:85], v[84:85], v[80:81], v[88:89] op_sel:[0,0,1] op_sel_hi:[1,0,0]
	v_mov_b32_e32 v91, v85
	v_pk_mul_f32 v[84:85], v[86:87], v[82:83] op_sel:[0,1]
	s_delay_alu instid0(VALU_DEP_1) | instskip(SKIP_1) | instid1(VALU_DEP_1)
	v_pk_fma_f32 v[88:89], v[86:87], v[80:81], v[84:85] op_sel:[0,0,1] op_sel_hi:[1,1,0] neg_lo:[0,0,1] neg_hi:[0,0,1]
	v_pk_fma_f32 v[84:85], v[86:87], v[80:81], v[84:85] op_sel:[0,0,1] op_sel_hi:[1,0,0]
	v_mov_b32_e32 v89, v85
	ds_load_2addr_b64 v[84:87], v112 offset0:9 offset1:10
	v_pk_add_f32 v[22:23], v[22:23], v[90:91] neg_lo:[0,1] neg_hi:[0,1]
	v_pk_add_f32 v[52:53], v[52:53], v[88:89] neg_lo:[0,1] neg_hi:[0,1]
	s_wait_dscnt 0x0
	v_pk_mul_f32 v[88:89], v[84:85], v[82:83] op_sel:[0,1]
	s_delay_alu instid0(VALU_DEP_1) | instskip(SKIP_1) | instid1(VALU_DEP_1)
	v_pk_fma_f32 v[90:91], v[84:85], v[80:81], v[88:89] op_sel:[0,0,1] op_sel_hi:[1,1,0] neg_lo:[0,0,1] neg_hi:[0,0,1]
	v_pk_fma_f32 v[84:85], v[84:85], v[80:81], v[88:89] op_sel:[0,0,1] op_sel_hi:[1,0,0]
	v_mov_b32_e32 v91, v85
	v_pk_mul_f32 v[84:85], v[86:87], v[82:83] op_sel:[0,1]
	s_delay_alu instid0(VALU_DEP_1) | instskip(SKIP_1) | instid1(VALU_DEP_1)
	v_pk_fma_f32 v[88:89], v[86:87], v[80:81], v[84:85] op_sel:[0,0,1] op_sel_hi:[1,1,0] neg_lo:[0,0,1] neg_hi:[0,0,1]
	v_pk_fma_f32 v[84:85], v[86:87], v[80:81], v[84:85] op_sel:[0,0,1] op_sel_hi:[1,0,0]
	v_mov_b32_e32 v89, v85
	ds_load_2addr_b64 v[84:87], v112 offset0:11 offset1:12
	v_pk_add_f32 v[48:49], v[48:49], v[90:91] neg_lo:[0,1] neg_hi:[0,1]
	v_pk_add_f32 v[50:51], v[50:51], v[88:89] neg_lo:[0,1] neg_hi:[0,1]
	s_wait_dscnt 0x0
	v_dual_mul_f32 v88, v85, v83 :: v_dual_mul_f32 v90, v85, v80
	s_delay_alu instid0(VALU_DEP_1) | instskip(NEXT) | instid1(VALU_DEP_2)
	v_pk_fma_f32 v[88:89], v[84:85], v[38:39], v[88:89] op_sel_hi:[1,1,0] neg_lo:[0,0,1] neg_hi:[0,0,1]
	v_pk_fma_f32 v[84:85], v[84:85], v[38:39], v[90:91] op_sel:[1,0,0] op_sel_hi:[0,1,0]
	s_delay_alu instid0(VALU_DEP_1) | instskip(SKIP_1) | instid1(VALU_DEP_2)
	v_mov_b32_e32 v89, v85
	v_pk_mul_f32 v[84:85], v[86:87], v[82:83] op_sel:[0,1]
	v_pk_add_f32 v[46:47], v[46:47], v[88:89] neg_lo:[0,1] neg_hi:[0,1]
	s_delay_alu instid0(VALU_DEP_2) | instskip(SKIP_1) | instid1(VALU_DEP_1)
	v_pk_fma_f32 v[88:89], v[86:87], v[80:81], v[84:85] op_sel:[0,0,1] op_sel_hi:[1,1,0] neg_lo:[0,0,1] neg_hi:[0,0,1]
	v_pk_fma_f32 v[84:85], v[86:87], v[80:81], v[84:85] op_sel:[0,0,1] op_sel_hi:[1,0,0]
	v_mov_b32_e32 v89, v85
	ds_load_2addr_b64 v[84:87], v112 offset0:13 offset1:14
	v_pk_add_f32 v[64:65], v[64:65], v[88:89] neg_lo:[0,1] neg_hi:[0,1]
	s_wait_dscnt 0x0
	v_pk_mul_f32 v[88:89], v[84:85], v[82:83] op_sel:[0,1]
	s_delay_alu instid0(VALU_DEP_1) | instskip(SKIP_1) | instid1(VALU_DEP_1)
	v_pk_fma_f32 v[90:91], v[84:85], v[80:81], v[88:89] op_sel:[0,0,1] op_sel_hi:[1,1,0] neg_lo:[0,0,1] neg_hi:[0,0,1]
	v_pk_fma_f32 v[84:85], v[84:85], v[80:81], v[88:89] op_sel:[0,0,1] op_sel_hi:[1,0,0]
	v_mov_b32_e32 v91, v85
	v_pk_mul_f32 v[84:85], v[86:87], v[82:83] op_sel:[0,1]
	s_delay_alu instid0(VALU_DEP_2) | instskip(NEXT) | instid1(VALU_DEP_2)
	v_pk_add_f32 v[62:63], v[62:63], v[90:91] neg_lo:[0,1] neg_hi:[0,1]
	v_pk_fma_f32 v[88:89], v[86:87], v[80:81], v[84:85] op_sel:[0,0,1] op_sel_hi:[1,1,0] neg_lo:[0,0,1] neg_hi:[0,0,1]
	v_pk_fma_f32 v[84:85], v[86:87], v[80:81], v[84:85] op_sel:[0,0,1] op_sel_hi:[1,0,0]
	s_delay_alu instid0(VALU_DEP_1) | instskip(SKIP_4) | instid1(VALU_DEP_1)
	v_mov_b32_e32 v89, v85
	ds_load_2addr_b64 v[84:87], v112 offset0:15 offset1:16
	v_pk_add_f32 v[72:73], v[72:73], v[88:89] neg_lo:[0,1] neg_hi:[0,1]
	s_wait_dscnt 0x0
	v_pk_mul_f32 v[88:89], v[84:85], v[82:83] op_sel:[0,1]
	v_pk_fma_f32 v[90:91], v[84:85], v[80:81], v[88:89] op_sel:[0,0,1] op_sel_hi:[1,1,0] neg_lo:[0,0,1] neg_hi:[0,0,1]
	v_pk_fma_f32 v[84:85], v[84:85], v[80:81], v[88:89] op_sel:[0,0,1] op_sel_hi:[1,0,0]
	v_dual_mul_f32 v88, v87, v83 :: v_dual_mov_b32 v84, v87
	s_delay_alu instid0(VALU_DEP_2) | instskip(NEXT) | instid1(VALU_DEP_2)
	v_dual_mov_b32 v91, v85 :: v_dual_mov_b32 v85, v86
	v_pk_fma_f32 v[88:89], v[86:87], v[38:39], v[88:89] op_sel_hi:[1,1,0] neg_lo:[0,0,1] neg_hi:[0,0,1]
	v_mul_f32_e32 v86, v87, v80
	s_delay_alu instid0(VALU_DEP_3) | instskip(NEXT) | instid1(VALU_DEP_2)
	v_pk_add_f32 v[68:69], v[68:69], v[90:91] neg_lo:[0,1] neg_hi:[0,1]
	v_pk_fma_f32 v[84:85], v[84:85], v[38:39], v[86:87] op_sel_hi:[1,1,0]
	s_delay_alu instid0(VALU_DEP_1) | instskip(SKIP_4) | instid1(VALU_DEP_1)
	v_mov_b32_e32 v89, v85
	ds_load_b64 v[84:85], v112 offset:136
	v_pk_add_f32 v[66:67], v[66:67], v[88:89] neg_lo:[0,1] neg_hi:[0,1]
	s_wait_dscnt 0x0
	v_pk_mul_f32 v[82:83], v[84:85], v[82:83] op_sel:[0,1]
	v_pk_fma_f32 v[86:87], v[84:85], v[80:81], v[82:83] op_sel:[0,0,1] op_sel_hi:[1,1,0] neg_lo:[0,0,1] neg_hi:[0,0,1]
	v_pk_fma_f32 v[80:81], v[84:85], v[80:81], v[82:83] op_sel:[0,0,1] op_sel_hi:[1,0,0]
	s_delay_alu instid0(VALU_DEP_1) | instskip(NEXT) | instid1(VALU_DEP_1)
	v_mov_b32_e32 v87, v81
	v_pk_add_f32 v[70:71], v[70:71], v[86:87] neg_lo:[0,1] neg_hi:[0,1]
.LBB35_28:
	s_or_b32 exec_lo, exec_lo, s1
	s_delay_alu instid0(SALU_CYCLE_1)
	s_mov_b32 s2, exec_lo
	s_wait_dscnt 0x0
	s_barrier_signal -1
	s_barrier_wait -1
	v_cmpx_eq_u32_e32 3, v110
	s_cbranch_execz .LBB35_35
; %bb.29:
	v_dual_mov_b32 v80, v28 :: v_dual_mov_b32 v81, v29
	v_dual_mov_b32 v82, v24 :: v_dual_mov_b32 v83, v25
	ds_store_b64 v111, v[36:37]
	ds_store_2addr_b64 v112, v[80:81], v[82:83] offset0:4 offset1:5
	v_dual_mov_b32 v80, v26 :: v_dual_mov_b32 v81, v27
	v_dual_mov_b32 v82, v22 :: v_dual_mov_b32 v83, v23
	ds_store_2addr_b64 v112, v[80:81], v[82:83] offset0:6 offset1:7
	v_dual_mov_b32 v80, v52 :: v_dual_mov_b32 v81, v53
	v_dual_mov_b32 v82, v48 :: v_dual_mov_b32 v83, v49
	;; [unrolled: 3-line block ×5, first 2 shown]
	ds_store_2addr_b64 v112, v[80:81], v[82:83] offset0:14 offset1:15
	v_dual_mov_b32 v80, v66 :: v_dual_mov_b32 v81, v67
	ds_store_2addr_b64 v112, v[80:81], v[70:71] offset0:16 offset1:17
	ds_load_b64 v[80:81], v111
	s_wait_dscnt 0x0
	v_cmp_neq_f32_e32 vcc_lo, 0, v80
	v_cmp_neq_f32_e64 s1, 0, v81
	s_or_b32 s1, vcc_lo, s1
	s_delay_alu instid0(SALU_CYCLE_1)
	s_and_b32 exec_lo, exec_lo, s1
	s_cbranch_execz .LBB35_35
; %bb.30:
	v_cmp_ngt_f32_e64 s1, |v80|, |v81|
                                        ; implicit-def: $vgpr82_vgpr83
	s_and_saveexec_b32 s4, s1
	s_delay_alu instid0(SALU_CYCLE_1)
	s_xor_b32 s1, exec_lo, s4
	s_cbranch_execz .LBB35_32
; %bb.31:
	v_div_scale_f32 v82, null, v81, v81, v80
	v_div_scale_f32 v85, vcc_lo, v80, v81, v80
	s_delay_alu instid0(VALU_DEP_2) | instskip(SKIP_1) | instid1(TRANS32_DEP_1)
	v_rcp_f32_e32 v83, v82
	v_nop
	v_fma_f32 v84, -v82, v83, 1.0
	s_delay_alu instid0(VALU_DEP_1) | instskip(NEXT) | instid1(VALU_DEP_1)
	v_fmac_f32_e32 v83, v84, v83
	v_mul_f32_e32 v84, v85, v83
	s_delay_alu instid0(VALU_DEP_1) | instskip(NEXT) | instid1(VALU_DEP_1)
	v_fma_f32 v86, -v82, v84, v85
	v_fmac_f32_e32 v84, v86, v83
	s_delay_alu instid0(VALU_DEP_1) | instskip(NEXT) | instid1(VALU_DEP_1)
	v_fma_f32 v82, -v82, v84, v85
	v_div_fmas_f32 v82, v82, v83, v84
	s_delay_alu instid0(VALU_DEP_1) | instskip(NEXT) | instid1(VALU_DEP_1)
	v_div_fixup_f32 v82, v82, v81, v80
	v_fmac_f32_e32 v81, v80, v82
	s_delay_alu instid0(VALU_DEP_1) | instskip(SKIP_1) | instid1(VALU_DEP_2)
	v_div_scale_f32 v80, null, v81, v81, 1.0
	v_div_scale_f32 v85, vcc_lo, 1.0, v81, 1.0
	v_rcp_f32_e32 v83, v80
	v_nop
	s_delay_alu instid0(TRANS32_DEP_1) | instskip(NEXT) | instid1(VALU_DEP_1)
	v_fma_f32 v84, -v80, v83, 1.0
	v_fmac_f32_e32 v83, v84, v83
	s_delay_alu instid0(VALU_DEP_1) | instskip(NEXT) | instid1(VALU_DEP_1)
	v_mul_f32_e32 v84, v85, v83
	v_fma_f32 v86, -v80, v84, v85
	s_delay_alu instid0(VALU_DEP_1) | instskip(NEXT) | instid1(VALU_DEP_1)
	v_fmac_f32_e32 v84, v86, v83
	v_fma_f32 v80, -v80, v84, v85
	s_delay_alu instid0(VALU_DEP_1) | instskip(NEXT) | instid1(VALU_DEP_1)
	v_div_fmas_f32 v80, v80, v83, v84
	v_div_fixup_f32 v80, v80, v81, 1.0
	s_delay_alu instid0(VALU_DEP_1)
	v_mul_f32_e32 v82, v82, v80
	v_xor_b32_e32 v83, 0x80000000, v80
                                        ; implicit-def: $vgpr80_vgpr81
.LBB35_32:
	s_and_not1_saveexec_b32 s1, s1
	s_cbranch_execz .LBB35_34
; %bb.33:
	v_div_scale_f32 v82, null, v80, v80, v81
	v_div_scale_f32 v85, vcc_lo, v81, v80, v81
	s_delay_alu instid0(VALU_DEP_2) | instskip(SKIP_1) | instid1(TRANS32_DEP_1)
	v_rcp_f32_e32 v83, v82
	v_nop
	v_fma_f32 v84, -v82, v83, 1.0
	s_delay_alu instid0(VALU_DEP_1) | instskip(NEXT) | instid1(VALU_DEP_1)
	v_fmac_f32_e32 v83, v84, v83
	v_mul_f32_e32 v84, v85, v83
	s_delay_alu instid0(VALU_DEP_1) | instskip(NEXT) | instid1(VALU_DEP_1)
	v_fma_f32 v86, -v82, v84, v85
	v_fmac_f32_e32 v84, v86, v83
	s_delay_alu instid0(VALU_DEP_1) | instskip(NEXT) | instid1(VALU_DEP_1)
	v_fma_f32 v82, -v82, v84, v85
	v_div_fmas_f32 v82, v82, v83, v84
	s_delay_alu instid0(VALU_DEP_1) | instskip(NEXT) | instid1(VALU_DEP_1)
	v_div_fixup_f32 v83, v82, v80, v81
	v_fmac_f32_e32 v80, v81, v83
	s_delay_alu instid0(VALU_DEP_1) | instskip(NEXT) | instid1(VALU_DEP_1)
	v_div_scale_f32 v81, null, v80, v80, 1.0
	v_rcp_f32_e32 v82, v81
	v_nop
	s_delay_alu instid0(TRANS32_DEP_1) | instskip(NEXT) | instid1(VALU_DEP_1)
	v_fma_f32 v84, -v81, v82, 1.0
	v_fmac_f32_e32 v82, v84, v82
	v_div_scale_f32 v84, vcc_lo, 1.0, v80, 1.0
	s_delay_alu instid0(VALU_DEP_1) | instskip(NEXT) | instid1(VALU_DEP_1)
	v_mul_f32_e32 v85, v84, v82
	v_fma_f32 v86, -v81, v85, v84
	s_delay_alu instid0(VALU_DEP_1) | instskip(NEXT) | instid1(VALU_DEP_1)
	v_fmac_f32_e32 v85, v86, v82
	v_fma_f32 v81, -v81, v85, v84
	s_delay_alu instid0(VALU_DEP_1) | instskip(NEXT) | instid1(VALU_DEP_1)
	v_div_fmas_f32 v81, v81, v82, v85
	v_div_fixup_f32 v82, v81, v80, 1.0
	s_delay_alu instid0(VALU_DEP_1)
	v_mul_f32_e64 v83, v83, -v82
.LBB35_34:
	s_or_b32 exec_lo, exec_lo, s1
	ds_store_b64 v111, v[82:83]
.LBB35_35:
	s_or_b32 exec_lo, exec_lo, s2
	s_wait_dscnt 0x0
	s_barrier_signal -1
	s_barrier_wait -1
	ds_load_b64 v[80:81], v111
	s_mov_b32 s1, exec_lo
	v_cmpx_lt_u32_e32 3, v110
	s_cbranch_execz .LBB35_37
; %bb.36:
	s_wait_dscnt 0x0
	v_pk_mul_f32 v[82:83], v[80:81], v[36:37] op_sel:[1,1] op_sel_hi:[0,1]
	s_delay_alu instid0(VALU_DEP_1)
	v_pk_fma_f32 v[86:87], v[80:81], v[36:37], v[82:83] op_sel_hi:[1,0,1] neg_lo:[0,0,1] neg_hi:[0,0,1]
	v_pk_fma_f32 v[88:89], v[80:81], v[36:37], v[82:83] op_sel_hi:[1,0,1]
	ds_load_2addr_b64 v[82:85], v112 offset0:4 offset1:5
	v_dual_mov_b32 v36, v86 :: v_dual_mov_b32 v37, v89
	s_wait_dscnt 0x0
	v_pk_mul_f32 v[90:91], v[82:83], v[88:89] op_sel:[0,1]
	s_delay_alu instid0(VALU_DEP_1) | instskip(SKIP_1) | instid1(VALU_DEP_1)
	v_pk_fma_f32 v[92:93], v[82:83], v[86:87], v[90:91] op_sel:[0,0,1] op_sel_hi:[1,1,0] neg_lo:[0,0,1] neg_hi:[0,0,1]
	v_pk_fma_f32 v[82:83], v[82:83], v[86:87], v[90:91] op_sel:[0,0,1] op_sel_hi:[1,0,0]
	v_mov_b32_e32 v93, v83
	v_pk_mul_f32 v[82:83], v[84:85], v[88:89] op_sel:[0,1]
	s_delay_alu instid0(VALU_DEP_1) | instskip(SKIP_1) | instid1(VALU_DEP_1)
	v_pk_fma_f32 v[90:91], v[84:85], v[86:87], v[82:83] op_sel:[0,0,1] op_sel_hi:[1,1,0] neg_lo:[0,0,1] neg_hi:[0,0,1]
	v_pk_fma_f32 v[82:83], v[84:85], v[86:87], v[82:83] op_sel:[0,0,1] op_sel_hi:[1,0,0]
	v_mov_b32_e32 v91, v83
	ds_load_2addr_b64 v[82:85], v112 offset0:6 offset1:7
	v_pk_add_f32 v[28:29], v[28:29], v[92:93] neg_lo:[0,1] neg_hi:[0,1]
	v_pk_add_f32 v[24:25], v[24:25], v[90:91] neg_lo:[0,1] neg_hi:[0,1]
	s_wait_dscnt 0x0
	v_pk_mul_f32 v[90:91], v[82:83], v[88:89] op_sel:[0,1]
	s_delay_alu instid0(VALU_DEP_1) | instskip(SKIP_2) | instid1(VALU_DEP_2)
	v_pk_fma_f32 v[92:93], v[82:83], v[86:87], v[90:91] op_sel:[0,0,1] op_sel_hi:[1,1,0] neg_lo:[0,0,1] neg_hi:[0,0,1]
	v_pk_fma_f32 v[82:83], v[82:83], v[86:87], v[90:91] op_sel:[0,0,1] op_sel_hi:[1,0,0]
	v_dual_mul_f32 v90, v85, v89 :: v_dual_mov_b32 v82, v85
	v_dual_mov_b32 v93, v83 :: v_dual_mov_b32 v83, v84
	s_delay_alu instid0(VALU_DEP_2) | instskip(SKIP_1) | instid1(VALU_DEP_3)
	v_pk_fma_f32 v[90:91], v[84:85], v[36:37], v[90:91] op_sel_hi:[1,1,0] neg_lo:[0,0,1] neg_hi:[0,0,1]
	v_mul_f32_e32 v84, v85, v86
	v_pk_add_f32 v[26:27], v[26:27], v[92:93] neg_lo:[0,1] neg_hi:[0,1]
	s_delay_alu instid0(VALU_DEP_2) | instskip(NEXT) | instid1(VALU_DEP_1)
	v_pk_fma_f32 v[82:83], v[82:83], v[36:37], v[84:85] op_sel_hi:[1,1,0]
	v_mov_b32_e32 v91, v83
	ds_load_2addr_b64 v[82:85], v112 offset0:8 offset1:9
	v_pk_add_f32 v[22:23], v[22:23], v[90:91] neg_lo:[0,1] neg_hi:[0,1]
	s_wait_dscnt 0x0
	v_pk_mul_f32 v[90:91], v[82:83], v[88:89] op_sel:[0,1]
	s_delay_alu instid0(VALU_DEP_1) | instskip(SKIP_1) | instid1(VALU_DEP_1)
	v_pk_fma_f32 v[92:93], v[82:83], v[86:87], v[90:91] op_sel:[0,0,1] op_sel_hi:[1,1,0] neg_lo:[0,0,1] neg_hi:[0,0,1]
	v_pk_fma_f32 v[82:83], v[82:83], v[86:87], v[90:91] op_sel:[0,0,1] op_sel_hi:[1,0,0]
	v_mov_b32_e32 v93, v83
	v_pk_mul_f32 v[82:83], v[84:85], v[88:89] op_sel:[0,1]
	s_delay_alu instid0(VALU_DEP_1) | instskip(SKIP_1) | instid1(VALU_DEP_1)
	v_pk_fma_f32 v[90:91], v[84:85], v[86:87], v[82:83] op_sel:[0,0,1] op_sel_hi:[1,1,0] neg_lo:[0,0,1] neg_hi:[0,0,1]
	v_pk_fma_f32 v[82:83], v[84:85], v[86:87], v[82:83] op_sel:[0,0,1] op_sel_hi:[1,0,0]
	v_mov_b32_e32 v91, v83
	ds_load_2addr_b64 v[82:85], v112 offset0:10 offset1:11
	v_pk_add_f32 v[52:53], v[52:53], v[92:93] neg_lo:[0,1] neg_hi:[0,1]
	v_pk_add_f32 v[48:49], v[48:49], v[90:91] neg_lo:[0,1] neg_hi:[0,1]
	s_wait_dscnt 0x0
	v_pk_mul_f32 v[90:91], v[82:83], v[88:89] op_sel:[0,1]
	s_delay_alu instid0(VALU_DEP_1) | instskip(SKIP_1) | instid1(VALU_DEP_1)
	v_pk_fma_f32 v[92:93], v[82:83], v[86:87], v[90:91] op_sel:[0,0,1] op_sel_hi:[1,1,0] neg_lo:[0,0,1] neg_hi:[0,0,1]
	v_pk_fma_f32 v[82:83], v[82:83], v[86:87], v[90:91] op_sel:[0,0,1] op_sel_hi:[1,0,0]
	v_mov_b32_e32 v93, v83
	v_pk_mul_f32 v[82:83], v[84:85], v[88:89] op_sel:[0,1]
	s_delay_alu instid0(VALU_DEP_1) | instskip(SKIP_1) | instid1(VALU_DEP_1)
	v_pk_fma_f32 v[90:91], v[84:85], v[86:87], v[82:83] op_sel:[0,0,1] op_sel_hi:[1,1,0] neg_lo:[0,0,1] neg_hi:[0,0,1]
	v_pk_fma_f32 v[82:83], v[84:85], v[86:87], v[82:83] op_sel:[0,0,1] op_sel_hi:[1,0,0]
	v_mov_b32_e32 v91, v83
	ds_load_2addr_b64 v[82:85], v112 offset0:12 offset1:13
	v_pk_add_f32 v[50:51], v[50:51], v[92:93] neg_lo:[0,1] neg_hi:[0,1]
	v_pk_add_f32 v[46:47], v[46:47], v[90:91] neg_lo:[0,1] neg_hi:[0,1]
	s_wait_dscnt 0x0
	v_dual_mul_f32 v90, v83, v89 :: v_dual_mul_f32 v92, v83, v86
	s_delay_alu instid0(VALU_DEP_1) | instskip(NEXT) | instid1(VALU_DEP_2)
	v_pk_fma_f32 v[90:91], v[82:83], v[36:37], v[90:91] op_sel_hi:[1,1,0] neg_lo:[0,0,1] neg_hi:[0,0,1]
	v_pk_fma_f32 v[82:83], v[82:83], v[36:37], v[92:93] op_sel:[1,0,0] op_sel_hi:[0,1,0]
	s_delay_alu instid0(VALU_DEP_1) | instskip(SKIP_1) | instid1(VALU_DEP_2)
	v_mov_b32_e32 v91, v83
	v_pk_mul_f32 v[82:83], v[84:85], v[88:89] op_sel:[0,1]
	v_pk_add_f32 v[64:65], v[64:65], v[90:91] neg_lo:[0,1] neg_hi:[0,1]
	s_delay_alu instid0(VALU_DEP_2) | instskip(SKIP_1) | instid1(VALU_DEP_1)
	v_pk_fma_f32 v[90:91], v[84:85], v[86:87], v[82:83] op_sel:[0,0,1] op_sel_hi:[1,1,0] neg_lo:[0,0,1] neg_hi:[0,0,1]
	v_pk_fma_f32 v[82:83], v[84:85], v[86:87], v[82:83] op_sel:[0,0,1] op_sel_hi:[1,0,0]
	v_mov_b32_e32 v91, v83
	ds_load_2addr_b64 v[82:85], v112 offset0:14 offset1:15
	v_pk_add_f32 v[62:63], v[62:63], v[90:91] neg_lo:[0,1] neg_hi:[0,1]
	s_wait_dscnt 0x0
	v_pk_mul_f32 v[90:91], v[82:83], v[88:89] op_sel:[0,1]
	s_delay_alu instid0(VALU_DEP_1) | instskip(SKIP_1) | instid1(VALU_DEP_1)
	v_pk_fma_f32 v[92:93], v[82:83], v[86:87], v[90:91] op_sel:[0,0,1] op_sel_hi:[1,1,0] neg_lo:[0,0,1] neg_hi:[0,0,1]
	v_pk_fma_f32 v[82:83], v[82:83], v[86:87], v[90:91] op_sel:[0,0,1] op_sel_hi:[1,0,0]
	v_mov_b32_e32 v93, v83
	v_pk_mul_f32 v[82:83], v[84:85], v[88:89] op_sel:[0,1]
	s_delay_alu instid0(VALU_DEP_2) | instskip(NEXT) | instid1(VALU_DEP_2)
	v_pk_add_f32 v[72:73], v[72:73], v[92:93] neg_lo:[0,1] neg_hi:[0,1]
	v_pk_fma_f32 v[90:91], v[84:85], v[86:87], v[82:83] op_sel:[0,0,1] op_sel_hi:[1,1,0] neg_lo:[0,0,1] neg_hi:[0,0,1]
	v_pk_fma_f32 v[82:83], v[84:85], v[86:87], v[82:83] op_sel:[0,0,1] op_sel_hi:[1,0,0]
	s_delay_alu instid0(VALU_DEP_1) | instskip(SKIP_4) | instid1(VALU_DEP_1)
	v_mov_b32_e32 v91, v83
	ds_load_2addr_b64 v[82:85], v112 offset0:16 offset1:17
	v_pk_add_f32 v[68:69], v[68:69], v[90:91] neg_lo:[0,1] neg_hi:[0,1]
	s_wait_dscnt 0x0
	v_pk_mul_f32 v[90:91], v[82:83], v[88:89] op_sel:[0,1]
	v_pk_fma_f32 v[92:93], v[82:83], v[86:87], v[90:91] op_sel:[0,0,1] op_sel_hi:[1,1,0] neg_lo:[0,0,1] neg_hi:[0,0,1]
	v_pk_fma_f32 v[82:83], v[82:83], v[86:87], v[90:91] op_sel:[0,0,1] op_sel_hi:[1,0,0]
	s_delay_alu instid0(VALU_DEP_1) | instskip(SKIP_1) | instid1(VALU_DEP_2)
	v_mov_b32_e32 v93, v83
	v_pk_mul_f32 v[82:83], v[84:85], v[88:89] op_sel:[0,1]
	v_pk_add_f32 v[66:67], v[66:67], v[92:93] neg_lo:[0,1] neg_hi:[0,1]
	s_delay_alu instid0(VALU_DEP_2) | instskip(SKIP_1) | instid1(VALU_DEP_1)
	v_pk_fma_f32 v[88:89], v[84:85], v[86:87], v[82:83] op_sel:[0,0,1] op_sel_hi:[1,1,0] neg_lo:[0,0,1] neg_hi:[0,0,1]
	v_pk_fma_f32 v[82:83], v[84:85], v[86:87], v[82:83] op_sel:[0,0,1] op_sel_hi:[1,0,0]
	v_mov_b32_e32 v89, v83
	s_delay_alu instid0(VALU_DEP_1)
	v_pk_add_f32 v[70:71], v[70:71], v[88:89] neg_lo:[0,1] neg_hi:[0,1]
.LBB35_37:
	s_or_b32 exec_lo, exec_lo, s1
	s_delay_alu instid0(SALU_CYCLE_1)
	s_mov_b32 s2, exec_lo
	s_wait_dscnt 0x0
	s_barrier_signal -1
	s_barrier_wait -1
	v_cmpx_eq_u32_e32 4, v110
	s_cbranch_execz .LBB35_44
; %bb.38:
	ds_store_b64 v111, v[28:29]
	ds_store_2addr_b64 v112, v[24:25], v[26:27] offset0:5 offset1:6
	ds_store_2addr_b64 v112, v[22:23], v[52:53] offset0:7 offset1:8
	;; [unrolled: 1-line block ×6, first 2 shown]
	ds_store_b64 v112, v[70:71] offset:136
	ds_load_b64 v[82:83], v111
	s_wait_dscnt 0x0
	v_cmp_neq_f32_e32 vcc_lo, 0, v82
	v_cmp_neq_f32_e64 s1, 0, v83
	s_or_b32 s1, vcc_lo, s1
	s_delay_alu instid0(SALU_CYCLE_1)
	s_and_b32 exec_lo, exec_lo, s1
	s_cbranch_execz .LBB35_44
; %bb.39:
	v_cmp_ngt_f32_e64 s1, |v82|, |v83|
                                        ; implicit-def: $vgpr84_vgpr85
	s_and_saveexec_b32 s4, s1
	s_delay_alu instid0(SALU_CYCLE_1)
	s_xor_b32 s1, exec_lo, s4
	s_cbranch_execz .LBB35_41
; %bb.40:
	v_div_scale_f32 v84, null, v83, v83, v82
	v_div_scale_f32 v87, vcc_lo, v82, v83, v82
	s_delay_alu instid0(VALU_DEP_2) | instskip(SKIP_1) | instid1(TRANS32_DEP_1)
	v_rcp_f32_e32 v85, v84
	v_nop
	v_fma_f32 v86, -v84, v85, 1.0
	s_delay_alu instid0(VALU_DEP_1) | instskip(NEXT) | instid1(VALU_DEP_1)
	v_fmac_f32_e32 v85, v86, v85
	v_mul_f32_e32 v86, v87, v85
	s_delay_alu instid0(VALU_DEP_1) | instskip(NEXT) | instid1(VALU_DEP_1)
	v_fma_f32 v88, -v84, v86, v87
	v_fmac_f32_e32 v86, v88, v85
	s_delay_alu instid0(VALU_DEP_1) | instskip(NEXT) | instid1(VALU_DEP_1)
	v_fma_f32 v84, -v84, v86, v87
	v_div_fmas_f32 v84, v84, v85, v86
	s_delay_alu instid0(VALU_DEP_1) | instskip(NEXT) | instid1(VALU_DEP_1)
	v_div_fixup_f32 v84, v84, v83, v82
	v_fmac_f32_e32 v83, v82, v84
	s_delay_alu instid0(VALU_DEP_1) | instskip(SKIP_1) | instid1(VALU_DEP_2)
	v_div_scale_f32 v82, null, v83, v83, 1.0
	v_div_scale_f32 v87, vcc_lo, 1.0, v83, 1.0
	v_rcp_f32_e32 v85, v82
	v_nop
	s_delay_alu instid0(TRANS32_DEP_1) | instskip(NEXT) | instid1(VALU_DEP_1)
	v_fma_f32 v86, -v82, v85, 1.0
	v_fmac_f32_e32 v85, v86, v85
	s_delay_alu instid0(VALU_DEP_1) | instskip(NEXT) | instid1(VALU_DEP_1)
	v_mul_f32_e32 v86, v87, v85
	v_fma_f32 v88, -v82, v86, v87
	s_delay_alu instid0(VALU_DEP_1) | instskip(NEXT) | instid1(VALU_DEP_1)
	v_fmac_f32_e32 v86, v88, v85
	v_fma_f32 v82, -v82, v86, v87
	s_delay_alu instid0(VALU_DEP_1) | instskip(NEXT) | instid1(VALU_DEP_1)
	v_div_fmas_f32 v82, v82, v85, v86
	v_div_fixup_f32 v82, v82, v83, 1.0
	s_delay_alu instid0(VALU_DEP_1)
	v_mul_f32_e32 v84, v84, v82
	v_xor_b32_e32 v85, 0x80000000, v82
                                        ; implicit-def: $vgpr82_vgpr83
.LBB35_41:
	s_and_not1_saveexec_b32 s1, s1
	s_cbranch_execz .LBB35_43
; %bb.42:
	v_div_scale_f32 v84, null, v82, v82, v83
	v_div_scale_f32 v87, vcc_lo, v83, v82, v83
	s_delay_alu instid0(VALU_DEP_2) | instskip(SKIP_1) | instid1(TRANS32_DEP_1)
	v_rcp_f32_e32 v85, v84
	v_nop
	v_fma_f32 v86, -v84, v85, 1.0
	s_delay_alu instid0(VALU_DEP_1) | instskip(NEXT) | instid1(VALU_DEP_1)
	v_fmac_f32_e32 v85, v86, v85
	v_mul_f32_e32 v86, v87, v85
	s_delay_alu instid0(VALU_DEP_1) | instskip(NEXT) | instid1(VALU_DEP_1)
	v_fma_f32 v88, -v84, v86, v87
	v_fmac_f32_e32 v86, v88, v85
	s_delay_alu instid0(VALU_DEP_1) | instskip(NEXT) | instid1(VALU_DEP_1)
	v_fma_f32 v84, -v84, v86, v87
	v_div_fmas_f32 v84, v84, v85, v86
	s_delay_alu instid0(VALU_DEP_1) | instskip(NEXT) | instid1(VALU_DEP_1)
	v_div_fixup_f32 v85, v84, v82, v83
	v_fmac_f32_e32 v82, v83, v85
	s_delay_alu instid0(VALU_DEP_1) | instskip(NEXT) | instid1(VALU_DEP_1)
	v_div_scale_f32 v83, null, v82, v82, 1.0
	v_rcp_f32_e32 v84, v83
	v_nop
	s_delay_alu instid0(TRANS32_DEP_1) | instskip(NEXT) | instid1(VALU_DEP_1)
	v_fma_f32 v86, -v83, v84, 1.0
	v_fmac_f32_e32 v84, v86, v84
	v_div_scale_f32 v86, vcc_lo, 1.0, v82, 1.0
	s_delay_alu instid0(VALU_DEP_1) | instskip(NEXT) | instid1(VALU_DEP_1)
	v_mul_f32_e32 v87, v86, v84
	v_fma_f32 v88, -v83, v87, v86
	s_delay_alu instid0(VALU_DEP_1) | instskip(NEXT) | instid1(VALU_DEP_1)
	v_fmac_f32_e32 v87, v88, v84
	v_fma_f32 v83, -v83, v87, v86
	s_delay_alu instid0(VALU_DEP_1) | instskip(NEXT) | instid1(VALU_DEP_1)
	v_div_fmas_f32 v83, v83, v84, v87
	v_div_fixup_f32 v84, v83, v82, 1.0
	s_delay_alu instid0(VALU_DEP_1)
	v_mul_f32_e64 v85, v85, -v84
.LBB35_43:
	s_or_b32 exec_lo, exec_lo, s1
	ds_store_b64 v111, v[84:85]
.LBB35_44:
	s_or_b32 exec_lo, exec_lo, s2
	s_wait_dscnt 0x0
	s_barrier_signal -1
	s_barrier_wait -1
	ds_load_b64 v[82:83], v111
	s_mov_b32 s1, exec_lo
	v_cmpx_lt_u32_e32 4, v110
	s_cbranch_execz .LBB35_46
; %bb.45:
	s_wait_dscnt 0x0
	v_pk_mul_f32 v[84:85], v[82:83], v[28:29] op_sel:[1,1] op_sel_hi:[0,1]
	s_delay_alu instid0(VALU_DEP_1)
	v_pk_fma_f32 v[88:89], v[82:83], v[28:29], v[84:85] op_sel_hi:[1,0,1] neg_lo:[0,0,1] neg_hi:[0,0,1]
	v_pk_fma_f32 v[90:91], v[82:83], v[28:29], v[84:85] op_sel_hi:[1,0,1]
	ds_load_2addr_b64 v[84:87], v112 offset0:5 offset1:6
	v_dual_mov_b32 v28, v88 :: v_dual_mov_b32 v29, v91
	s_wait_dscnt 0x0
	v_pk_mul_f32 v[92:93], v[84:85], v[90:91] op_sel:[0,1]
	s_delay_alu instid0(VALU_DEP_1) | instskip(SKIP_1) | instid1(VALU_DEP_1)
	v_pk_fma_f32 v[94:95], v[84:85], v[88:89], v[92:93] op_sel:[0,0,1] op_sel_hi:[1,1,0] neg_lo:[0,0,1] neg_hi:[0,0,1]
	v_pk_fma_f32 v[84:85], v[84:85], v[88:89], v[92:93] op_sel:[0,0,1] op_sel_hi:[1,0,0]
	v_mov_b32_e32 v95, v85
	v_pk_mul_f32 v[84:85], v[86:87], v[90:91] op_sel:[0,1]
	s_delay_alu instid0(VALU_DEP_1) | instskip(SKIP_1) | instid1(VALU_DEP_1)
	v_pk_fma_f32 v[92:93], v[86:87], v[88:89], v[84:85] op_sel:[0,0,1] op_sel_hi:[1,1,0] neg_lo:[0,0,1] neg_hi:[0,0,1]
	v_pk_fma_f32 v[84:85], v[86:87], v[88:89], v[84:85] op_sel:[0,0,1] op_sel_hi:[1,0,0]
	v_mov_b32_e32 v93, v85
	ds_load_2addr_b64 v[84:87], v112 offset0:7 offset1:8
	v_pk_add_f32 v[24:25], v[24:25], v[94:95] neg_lo:[0,1] neg_hi:[0,1]
	v_pk_add_f32 v[26:27], v[26:27], v[92:93] neg_lo:[0,1] neg_hi:[0,1]
	s_wait_dscnt 0x0
	v_pk_mul_f32 v[92:93], v[84:85], v[90:91] op_sel:[0,1]
	s_delay_alu instid0(VALU_DEP_1) | instskip(SKIP_2) | instid1(VALU_DEP_2)
	v_pk_fma_f32 v[94:95], v[84:85], v[88:89], v[92:93] op_sel:[0,0,1] op_sel_hi:[1,1,0] neg_lo:[0,0,1] neg_hi:[0,0,1]
	v_pk_fma_f32 v[84:85], v[84:85], v[88:89], v[92:93] op_sel:[0,0,1] op_sel_hi:[1,0,0]
	v_dual_mul_f32 v92, v87, v91 :: v_dual_mov_b32 v84, v87
	v_dual_mov_b32 v95, v85 :: v_dual_mov_b32 v85, v86
	s_delay_alu instid0(VALU_DEP_2) | instskip(SKIP_1) | instid1(VALU_DEP_3)
	v_pk_fma_f32 v[92:93], v[86:87], v[28:29], v[92:93] op_sel_hi:[1,1,0] neg_lo:[0,0,1] neg_hi:[0,0,1]
	v_mul_f32_e32 v86, v87, v88
	v_pk_add_f32 v[22:23], v[22:23], v[94:95] neg_lo:[0,1] neg_hi:[0,1]
	s_delay_alu instid0(VALU_DEP_2) | instskip(NEXT) | instid1(VALU_DEP_1)
	v_pk_fma_f32 v[84:85], v[84:85], v[28:29], v[86:87] op_sel_hi:[1,1,0]
	v_mov_b32_e32 v93, v85
	ds_load_2addr_b64 v[84:87], v112 offset0:9 offset1:10
	v_pk_add_f32 v[52:53], v[52:53], v[92:93] neg_lo:[0,1] neg_hi:[0,1]
	s_wait_dscnt 0x0
	v_pk_mul_f32 v[92:93], v[84:85], v[90:91] op_sel:[0,1]
	s_delay_alu instid0(VALU_DEP_1) | instskip(SKIP_1) | instid1(VALU_DEP_1)
	v_pk_fma_f32 v[94:95], v[84:85], v[88:89], v[92:93] op_sel:[0,0,1] op_sel_hi:[1,1,0] neg_lo:[0,0,1] neg_hi:[0,0,1]
	v_pk_fma_f32 v[84:85], v[84:85], v[88:89], v[92:93] op_sel:[0,0,1] op_sel_hi:[1,0,0]
	v_mov_b32_e32 v95, v85
	v_pk_mul_f32 v[84:85], v[86:87], v[90:91] op_sel:[0,1]
	s_delay_alu instid0(VALU_DEP_1) | instskip(SKIP_1) | instid1(VALU_DEP_1)
	v_pk_fma_f32 v[92:93], v[86:87], v[88:89], v[84:85] op_sel:[0,0,1] op_sel_hi:[1,1,0] neg_lo:[0,0,1] neg_hi:[0,0,1]
	v_pk_fma_f32 v[84:85], v[86:87], v[88:89], v[84:85] op_sel:[0,0,1] op_sel_hi:[1,0,0]
	v_mov_b32_e32 v93, v85
	ds_load_2addr_b64 v[84:87], v112 offset0:11 offset1:12
	v_pk_add_f32 v[48:49], v[48:49], v[94:95] neg_lo:[0,1] neg_hi:[0,1]
	v_pk_add_f32 v[50:51], v[50:51], v[92:93] neg_lo:[0,1] neg_hi:[0,1]
	s_wait_dscnt 0x0
	v_pk_mul_f32 v[92:93], v[84:85], v[90:91] op_sel:[0,1]
	s_delay_alu instid0(VALU_DEP_1) | instskip(SKIP_1) | instid1(VALU_DEP_1)
	v_pk_fma_f32 v[94:95], v[84:85], v[88:89], v[92:93] op_sel:[0,0,1] op_sel_hi:[1,1,0] neg_lo:[0,0,1] neg_hi:[0,0,1]
	v_pk_fma_f32 v[84:85], v[84:85], v[88:89], v[92:93] op_sel:[0,0,1] op_sel_hi:[1,0,0]
	v_mov_b32_e32 v95, v85
	v_pk_mul_f32 v[84:85], v[86:87], v[90:91] op_sel:[0,1]
	s_delay_alu instid0(VALU_DEP_1) | instskip(SKIP_1) | instid1(VALU_DEP_1)
	v_pk_fma_f32 v[92:93], v[86:87], v[88:89], v[84:85] op_sel:[0,0,1] op_sel_hi:[1,1,0] neg_lo:[0,0,1] neg_hi:[0,0,1]
	v_pk_fma_f32 v[84:85], v[86:87], v[88:89], v[84:85] op_sel:[0,0,1] op_sel_hi:[1,0,0]
	v_mov_b32_e32 v93, v85
	ds_load_2addr_b64 v[84:87], v112 offset0:13 offset1:14
	v_pk_add_f32 v[46:47], v[46:47], v[94:95] neg_lo:[0,1] neg_hi:[0,1]
	v_pk_add_f32 v[64:65], v[64:65], v[92:93] neg_lo:[0,1] neg_hi:[0,1]
	s_wait_dscnt 0x0
	v_dual_mul_f32 v92, v85, v91 :: v_dual_mul_f32 v94, v85, v88
	s_delay_alu instid0(VALU_DEP_1) | instskip(NEXT) | instid1(VALU_DEP_2)
	v_pk_fma_f32 v[92:93], v[84:85], v[28:29], v[92:93] op_sel_hi:[1,1,0] neg_lo:[0,0,1] neg_hi:[0,0,1]
	v_pk_fma_f32 v[84:85], v[84:85], v[28:29], v[94:95] op_sel:[1,0,0] op_sel_hi:[0,1,0]
	s_delay_alu instid0(VALU_DEP_1) | instskip(SKIP_1) | instid1(VALU_DEP_2)
	v_mov_b32_e32 v93, v85
	v_pk_mul_f32 v[84:85], v[86:87], v[90:91] op_sel:[0,1]
	v_pk_add_f32 v[62:63], v[62:63], v[92:93] neg_lo:[0,1] neg_hi:[0,1]
	s_delay_alu instid0(VALU_DEP_2) | instskip(SKIP_1) | instid1(VALU_DEP_1)
	v_pk_fma_f32 v[92:93], v[86:87], v[88:89], v[84:85] op_sel:[0,0,1] op_sel_hi:[1,1,0] neg_lo:[0,0,1] neg_hi:[0,0,1]
	v_pk_fma_f32 v[84:85], v[86:87], v[88:89], v[84:85] op_sel:[0,0,1] op_sel_hi:[1,0,0]
	v_mov_b32_e32 v93, v85
	ds_load_2addr_b64 v[84:87], v112 offset0:15 offset1:16
	v_pk_add_f32 v[72:73], v[72:73], v[92:93] neg_lo:[0,1] neg_hi:[0,1]
	s_wait_dscnt 0x0
	v_pk_mul_f32 v[92:93], v[84:85], v[90:91] op_sel:[0,1]
	s_delay_alu instid0(VALU_DEP_1) | instskip(SKIP_1) | instid1(VALU_DEP_1)
	v_pk_fma_f32 v[94:95], v[84:85], v[88:89], v[92:93] op_sel:[0,0,1] op_sel_hi:[1,1,0] neg_lo:[0,0,1] neg_hi:[0,0,1]
	v_pk_fma_f32 v[84:85], v[84:85], v[88:89], v[92:93] op_sel:[0,0,1] op_sel_hi:[1,0,0]
	v_mov_b32_e32 v95, v85
	v_pk_mul_f32 v[84:85], v[86:87], v[90:91] op_sel:[0,1]
	s_delay_alu instid0(VALU_DEP_2) | instskip(NEXT) | instid1(VALU_DEP_2)
	v_pk_add_f32 v[68:69], v[68:69], v[94:95] neg_lo:[0,1] neg_hi:[0,1]
	v_pk_fma_f32 v[92:93], v[86:87], v[88:89], v[84:85] op_sel:[0,0,1] op_sel_hi:[1,1,0] neg_lo:[0,0,1] neg_hi:[0,0,1]
	v_pk_fma_f32 v[84:85], v[86:87], v[88:89], v[84:85] op_sel:[0,0,1] op_sel_hi:[1,0,0]
	s_delay_alu instid0(VALU_DEP_1) | instskip(SKIP_4) | instid1(VALU_DEP_1)
	v_mov_b32_e32 v93, v85
	ds_load_b64 v[84:85], v112 offset:136
	v_pk_add_f32 v[66:67], v[66:67], v[92:93] neg_lo:[0,1] neg_hi:[0,1]
	s_wait_dscnt 0x0
	v_pk_mul_f32 v[86:87], v[84:85], v[90:91] op_sel:[0,1]
	v_pk_fma_f32 v[90:91], v[84:85], v[88:89], v[86:87] op_sel:[0,0,1] op_sel_hi:[1,1,0] neg_lo:[0,0,1] neg_hi:[0,0,1]
	v_pk_fma_f32 v[84:85], v[84:85], v[88:89], v[86:87] op_sel:[0,0,1] op_sel_hi:[1,0,0]
	s_delay_alu instid0(VALU_DEP_1) | instskip(NEXT) | instid1(VALU_DEP_1)
	v_mov_b32_e32 v91, v85
	v_pk_add_f32 v[70:71], v[70:71], v[90:91] neg_lo:[0,1] neg_hi:[0,1]
.LBB35_46:
	s_or_b32 exec_lo, exec_lo, s1
	s_delay_alu instid0(SALU_CYCLE_1)
	s_mov_b32 s2, exec_lo
	s_wait_dscnt 0x0
	s_barrier_signal -1
	s_barrier_wait -1
	v_cmpx_eq_u32_e32 5, v110
	s_cbranch_execz .LBB35_53
; %bb.47:
	v_dual_mov_b32 v84, v26 :: v_dual_mov_b32 v85, v27
	v_dual_mov_b32 v86, v22 :: v_dual_mov_b32 v87, v23
	v_dual_mov_b32 v88, v52 :: v_dual_mov_b32 v89, v53
	v_dual_mov_b32 v90, v48 :: v_dual_mov_b32 v91, v49
	v_dual_mov_b32 v92, v50 :: v_dual_mov_b32 v93, v51
	v_dual_mov_b32 v94, v46 :: v_dual_mov_b32 v95, v47
	v_dual_mov_b32 v96, v64 :: v_dual_mov_b32 v97, v65
	v_dual_mov_b32 v98, v62 :: v_dual_mov_b32 v99, v63
	v_dual_mov_b32 v100, v72 :: v_dual_mov_b32 v101, v73
	v_dual_mov_b32 v102, v68 :: v_dual_mov_b32 v103, v69
	ds_store_b64 v111, v[24:25]
	v_dual_mov_b32 v104, v66 :: v_dual_mov_b32 v105, v67
	ds_store_2addr_b64 v112, v[84:85], v[86:87] offset0:6 offset1:7
	ds_store_2addr_b64 v112, v[88:89], v[90:91] offset0:8 offset1:9
	;; [unrolled: 1-line block ×6, first 2 shown]
	ds_load_b64 v[84:85], v111
	s_wait_dscnt 0x0
	v_cmp_neq_f32_e32 vcc_lo, 0, v84
	v_cmp_neq_f32_e64 s1, 0, v85
	s_or_b32 s1, vcc_lo, s1
	s_delay_alu instid0(SALU_CYCLE_1)
	s_and_b32 exec_lo, exec_lo, s1
	s_cbranch_execz .LBB35_53
; %bb.48:
	v_cmp_ngt_f32_e64 s1, |v84|, |v85|
                                        ; implicit-def: $vgpr86_vgpr87
	s_and_saveexec_b32 s4, s1
	s_delay_alu instid0(SALU_CYCLE_1)
	s_xor_b32 s1, exec_lo, s4
	s_cbranch_execz .LBB35_50
; %bb.49:
	v_div_scale_f32 v86, null, v85, v85, v84
	v_div_scale_f32 v89, vcc_lo, v84, v85, v84
	s_delay_alu instid0(VALU_DEP_2) | instskip(SKIP_1) | instid1(TRANS32_DEP_1)
	v_rcp_f32_e32 v87, v86
	v_nop
	v_fma_f32 v88, -v86, v87, 1.0
	s_delay_alu instid0(VALU_DEP_1) | instskip(NEXT) | instid1(VALU_DEP_1)
	v_fmac_f32_e32 v87, v88, v87
	v_mul_f32_e32 v88, v89, v87
	s_delay_alu instid0(VALU_DEP_1) | instskip(NEXT) | instid1(VALU_DEP_1)
	v_fma_f32 v90, -v86, v88, v89
	v_fmac_f32_e32 v88, v90, v87
	s_delay_alu instid0(VALU_DEP_1) | instskip(NEXT) | instid1(VALU_DEP_1)
	v_fma_f32 v86, -v86, v88, v89
	v_div_fmas_f32 v86, v86, v87, v88
	s_delay_alu instid0(VALU_DEP_1) | instskip(NEXT) | instid1(VALU_DEP_1)
	v_div_fixup_f32 v86, v86, v85, v84
	v_fmac_f32_e32 v85, v84, v86
	s_delay_alu instid0(VALU_DEP_1) | instskip(SKIP_1) | instid1(VALU_DEP_2)
	v_div_scale_f32 v84, null, v85, v85, 1.0
	v_div_scale_f32 v89, vcc_lo, 1.0, v85, 1.0
	v_rcp_f32_e32 v87, v84
	v_nop
	s_delay_alu instid0(TRANS32_DEP_1) | instskip(NEXT) | instid1(VALU_DEP_1)
	v_fma_f32 v88, -v84, v87, 1.0
	v_fmac_f32_e32 v87, v88, v87
	s_delay_alu instid0(VALU_DEP_1) | instskip(NEXT) | instid1(VALU_DEP_1)
	v_mul_f32_e32 v88, v89, v87
	v_fma_f32 v90, -v84, v88, v89
	s_delay_alu instid0(VALU_DEP_1) | instskip(NEXT) | instid1(VALU_DEP_1)
	v_fmac_f32_e32 v88, v90, v87
	v_fma_f32 v84, -v84, v88, v89
	s_delay_alu instid0(VALU_DEP_1) | instskip(NEXT) | instid1(VALU_DEP_1)
	v_div_fmas_f32 v84, v84, v87, v88
	v_div_fixup_f32 v84, v84, v85, 1.0
	s_delay_alu instid0(VALU_DEP_1)
	v_mul_f32_e32 v86, v86, v84
	v_xor_b32_e32 v87, 0x80000000, v84
                                        ; implicit-def: $vgpr84_vgpr85
.LBB35_50:
	s_and_not1_saveexec_b32 s1, s1
	s_cbranch_execz .LBB35_52
; %bb.51:
	v_div_scale_f32 v86, null, v84, v84, v85
	v_div_scale_f32 v89, vcc_lo, v85, v84, v85
	s_delay_alu instid0(VALU_DEP_2) | instskip(SKIP_1) | instid1(TRANS32_DEP_1)
	v_rcp_f32_e32 v87, v86
	v_nop
	v_fma_f32 v88, -v86, v87, 1.0
	s_delay_alu instid0(VALU_DEP_1) | instskip(NEXT) | instid1(VALU_DEP_1)
	v_fmac_f32_e32 v87, v88, v87
	v_mul_f32_e32 v88, v89, v87
	s_delay_alu instid0(VALU_DEP_1) | instskip(NEXT) | instid1(VALU_DEP_1)
	v_fma_f32 v90, -v86, v88, v89
	v_fmac_f32_e32 v88, v90, v87
	s_delay_alu instid0(VALU_DEP_1) | instskip(NEXT) | instid1(VALU_DEP_1)
	v_fma_f32 v86, -v86, v88, v89
	v_div_fmas_f32 v86, v86, v87, v88
	s_delay_alu instid0(VALU_DEP_1) | instskip(NEXT) | instid1(VALU_DEP_1)
	v_div_fixup_f32 v87, v86, v84, v85
	v_fmac_f32_e32 v84, v85, v87
	s_delay_alu instid0(VALU_DEP_1) | instskip(NEXT) | instid1(VALU_DEP_1)
	v_div_scale_f32 v85, null, v84, v84, 1.0
	v_rcp_f32_e32 v86, v85
	v_nop
	s_delay_alu instid0(TRANS32_DEP_1) | instskip(NEXT) | instid1(VALU_DEP_1)
	v_fma_f32 v88, -v85, v86, 1.0
	v_fmac_f32_e32 v86, v88, v86
	v_div_scale_f32 v88, vcc_lo, 1.0, v84, 1.0
	s_delay_alu instid0(VALU_DEP_1) | instskip(NEXT) | instid1(VALU_DEP_1)
	v_mul_f32_e32 v89, v88, v86
	v_fma_f32 v90, -v85, v89, v88
	s_delay_alu instid0(VALU_DEP_1) | instskip(NEXT) | instid1(VALU_DEP_1)
	v_fmac_f32_e32 v89, v90, v86
	v_fma_f32 v85, -v85, v89, v88
	s_delay_alu instid0(VALU_DEP_1) | instskip(NEXT) | instid1(VALU_DEP_1)
	v_div_fmas_f32 v85, v85, v86, v89
	v_div_fixup_f32 v86, v85, v84, 1.0
	s_delay_alu instid0(VALU_DEP_1)
	v_mul_f32_e64 v87, v87, -v86
.LBB35_52:
	s_or_b32 exec_lo, exec_lo, s1
	ds_store_b64 v111, v[86:87]
.LBB35_53:
	s_or_b32 exec_lo, exec_lo, s2
	s_wait_dscnt 0x0
	s_barrier_signal -1
	s_barrier_wait -1
	ds_load_b64 v[84:85], v111
	s_mov_b32 s1, exec_lo
	v_cmpx_lt_u32_e32 5, v110
	s_cbranch_execz .LBB35_55
; %bb.54:
	s_wait_dscnt 0x0
	v_pk_mul_f32 v[86:87], v[84:85], v[24:25] op_sel:[1,1] op_sel_hi:[0,1]
	s_delay_alu instid0(VALU_DEP_1)
	v_pk_fma_f32 v[90:91], v[84:85], v[24:25], v[86:87] op_sel_hi:[1,0,1] neg_lo:[0,0,1] neg_hi:[0,0,1]
	v_pk_fma_f32 v[92:93], v[84:85], v[24:25], v[86:87] op_sel_hi:[1,0,1]
	ds_load_2addr_b64 v[86:89], v112 offset0:6 offset1:7
	v_dual_mov_b32 v24, v90 :: v_dual_mov_b32 v25, v93
	s_wait_dscnt 0x0
	v_pk_mul_f32 v[94:95], v[86:87], v[92:93] op_sel:[0,1]
	s_delay_alu instid0(VALU_DEP_1) | instskip(SKIP_1) | instid1(VALU_DEP_1)
	v_pk_fma_f32 v[96:97], v[86:87], v[90:91], v[94:95] op_sel:[0,0,1] op_sel_hi:[1,1,0] neg_lo:[0,0,1] neg_hi:[0,0,1]
	v_pk_fma_f32 v[86:87], v[86:87], v[90:91], v[94:95] op_sel:[0,0,1] op_sel_hi:[1,0,0]
	v_mov_b32_e32 v97, v87
	v_pk_mul_f32 v[86:87], v[88:89], v[92:93] op_sel:[0,1]
	s_delay_alu instid0(VALU_DEP_1) | instskip(SKIP_1) | instid1(VALU_DEP_1)
	v_pk_fma_f32 v[94:95], v[88:89], v[90:91], v[86:87] op_sel:[0,0,1] op_sel_hi:[1,1,0] neg_lo:[0,0,1] neg_hi:[0,0,1]
	v_pk_fma_f32 v[86:87], v[88:89], v[90:91], v[86:87] op_sel:[0,0,1] op_sel_hi:[1,0,0]
	v_mov_b32_e32 v95, v87
	ds_load_2addr_b64 v[86:89], v112 offset0:8 offset1:9
	v_pk_add_f32 v[26:27], v[26:27], v[96:97] neg_lo:[0,1] neg_hi:[0,1]
	v_pk_add_f32 v[22:23], v[22:23], v[94:95] neg_lo:[0,1] neg_hi:[0,1]
	s_wait_dscnt 0x0
	v_pk_mul_f32 v[94:95], v[86:87], v[92:93] op_sel:[0,1]
	s_delay_alu instid0(VALU_DEP_1) | instskip(SKIP_2) | instid1(VALU_DEP_2)
	v_pk_fma_f32 v[96:97], v[86:87], v[90:91], v[94:95] op_sel:[0,0,1] op_sel_hi:[1,1,0] neg_lo:[0,0,1] neg_hi:[0,0,1]
	v_pk_fma_f32 v[86:87], v[86:87], v[90:91], v[94:95] op_sel:[0,0,1] op_sel_hi:[1,0,0]
	v_dual_mul_f32 v94, v89, v93 :: v_dual_mov_b32 v86, v89
	v_dual_mov_b32 v97, v87 :: v_dual_mov_b32 v87, v88
	s_delay_alu instid0(VALU_DEP_2) | instskip(SKIP_1) | instid1(VALU_DEP_3)
	v_pk_fma_f32 v[94:95], v[88:89], v[24:25], v[94:95] op_sel_hi:[1,1,0] neg_lo:[0,0,1] neg_hi:[0,0,1]
	v_mul_f32_e32 v88, v89, v90
	v_pk_add_f32 v[52:53], v[52:53], v[96:97] neg_lo:[0,1] neg_hi:[0,1]
	s_delay_alu instid0(VALU_DEP_2) | instskip(NEXT) | instid1(VALU_DEP_1)
	v_pk_fma_f32 v[86:87], v[86:87], v[24:25], v[88:89] op_sel_hi:[1,1,0]
	v_mov_b32_e32 v95, v87
	ds_load_2addr_b64 v[86:89], v112 offset0:10 offset1:11
	v_pk_add_f32 v[48:49], v[48:49], v[94:95] neg_lo:[0,1] neg_hi:[0,1]
	s_wait_dscnt 0x0
	v_pk_mul_f32 v[94:95], v[86:87], v[92:93] op_sel:[0,1]
	s_delay_alu instid0(VALU_DEP_1) | instskip(SKIP_1) | instid1(VALU_DEP_1)
	v_pk_fma_f32 v[96:97], v[86:87], v[90:91], v[94:95] op_sel:[0,0,1] op_sel_hi:[1,1,0] neg_lo:[0,0,1] neg_hi:[0,0,1]
	v_pk_fma_f32 v[86:87], v[86:87], v[90:91], v[94:95] op_sel:[0,0,1] op_sel_hi:[1,0,0]
	v_mov_b32_e32 v97, v87
	v_pk_mul_f32 v[86:87], v[88:89], v[92:93] op_sel:[0,1]
	s_delay_alu instid0(VALU_DEP_1) | instskip(SKIP_1) | instid1(VALU_DEP_1)
	v_pk_fma_f32 v[94:95], v[88:89], v[90:91], v[86:87] op_sel:[0,0,1] op_sel_hi:[1,1,0] neg_lo:[0,0,1] neg_hi:[0,0,1]
	v_pk_fma_f32 v[86:87], v[88:89], v[90:91], v[86:87] op_sel:[0,0,1] op_sel_hi:[1,0,0]
	v_mov_b32_e32 v95, v87
	ds_load_2addr_b64 v[86:89], v112 offset0:12 offset1:13
	v_pk_add_f32 v[50:51], v[50:51], v[96:97] neg_lo:[0,1] neg_hi:[0,1]
	v_pk_add_f32 v[46:47], v[46:47], v[94:95] neg_lo:[0,1] neg_hi:[0,1]
	s_wait_dscnt 0x0
	v_pk_mul_f32 v[94:95], v[86:87], v[92:93] op_sel:[0,1]
	s_delay_alu instid0(VALU_DEP_1) | instskip(SKIP_1) | instid1(VALU_DEP_1)
	v_pk_fma_f32 v[96:97], v[86:87], v[90:91], v[94:95] op_sel:[0,0,1] op_sel_hi:[1,1,0] neg_lo:[0,0,1] neg_hi:[0,0,1]
	v_pk_fma_f32 v[86:87], v[86:87], v[90:91], v[94:95] op_sel:[0,0,1] op_sel_hi:[1,0,0]
	v_mov_b32_e32 v97, v87
	v_pk_mul_f32 v[86:87], v[88:89], v[92:93] op_sel:[0,1]
	s_delay_alu instid0(VALU_DEP_1) | instskip(SKIP_1) | instid1(VALU_DEP_1)
	v_pk_fma_f32 v[94:95], v[88:89], v[90:91], v[86:87] op_sel:[0,0,1] op_sel_hi:[1,1,0] neg_lo:[0,0,1] neg_hi:[0,0,1]
	v_pk_fma_f32 v[86:87], v[88:89], v[90:91], v[86:87] op_sel:[0,0,1] op_sel_hi:[1,0,0]
	v_mov_b32_e32 v95, v87
	ds_load_2addr_b64 v[86:89], v112 offset0:14 offset1:15
	v_pk_add_f32 v[64:65], v[64:65], v[96:97] neg_lo:[0,1] neg_hi:[0,1]
	v_pk_add_f32 v[62:63], v[62:63], v[94:95] neg_lo:[0,1] neg_hi:[0,1]
	s_wait_dscnt 0x0
	v_dual_mul_f32 v94, v87, v93 :: v_dual_mul_f32 v96, v87, v90
	s_delay_alu instid0(VALU_DEP_1) | instskip(NEXT) | instid1(VALU_DEP_2)
	v_pk_fma_f32 v[94:95], v[86:87], v[24:25], v[94:95] op_sel_hi:[1,1,0] neg_lo:[0,0,1] neg_hi:[0,0,1]
	v_pk_fma_f32 v[86:87], v[86:87], v[24:25], v[96:97] op_sel:[1,0,0] op_sel_hi:[0,1,0]
	s_delay_alu instid0(VALU_DEP_1) | instskip(SKIP_1) | instid1(VALU_DEP_2)
	v_mov_b32_e32 v95, v87
	v_pk_mul_f32 v[86:87], v[88:89], v[92:93] op_sel:[0,1]
	v_pk_add_f32 v[72:73], v[72:73], v[94:95] neg_lo:[0,1] neg_hi:[0,1]
	s_delay_alu instid0(VALU_DEP_2) | instskip(SKIP_1) | instid1(VALU_DEP_1)
	v_pk_fma_f32 v[94:95], v[88:89], v[90:91], v[86:87] op_sel:[0,0,1] op_sel_hi:[1,1,0] neg_lo:[0,0,1] neg_hi:[0,0,1]
	v_pk_fma_f32 v[86:87], v[88:89], v[90:91], v[86:87] op_sel:[0,0,1] op_sel_hi:[1,0,0]
	v_mov_b32_e32 v95, v87
	ds_load_2addr_b64 v[86:89], v112 offset0:16 offset1:17
	v_pk_add_f32 v[68:69], v[68:69], v[94:95] neg_lo:[0,1] neg_hi:[0,1]
	s_wait_dscnt 0x0
	v_pk_mul_f32 v[94:95], v[86:87], v[92:93] op_sel:[0,1]
	v_mul_f32_e32 v92, v89, v93
	s_delay_alu instid0(VALU_DEP_2) | instskip(SKIP_2) | instid1(VALU_DEP_4)
	v_pk_fma_f32 v[96:97], v[86:87], v[90:91], v[94:95] op_sel:[0,0,1] op_sel_hi:[1,1,0] neg_lo:[0,0,1] neg_hi:[0,0,1]
	v_pk_fma_f32 v[86:87], v[86:87], v[90:91], v[94:95] op_sel:[0,0,1] op_sel_hi:[1,0,0]
	v_mov_b32_e32 v86, v89
	v_pk_fma_f32 v[92:93], v[88:89], v[24:25], v[92:93] op_sel_hi:[1,1,0] neg_lo:[0,0,1] neg_hi:[0,0,1]
	s_delay_alu instid0(VALU_DEP_3) | instskip(SKIP_1) | instid1(VALU_DEP_2)
	v_dual_mov_b32 v97, v87 :: v_dual_mov_b32 v87, v88
	v_mul_f32_e32 v88, v89, v90
	v_pk_add_f32 v[66:67], v[66:67], v[96:97] neg_lo:[0,1] neg_hi:[0,1]
	s_delay_alu instid0(VALU_DEP_2) | instskip(NEXT) | instid1(VALU_DEP_1)
	v_pk_fma_f32 v[86:87], v[86:87], v[24:25], v[88:89] op_sel_hi:[1,1,0]
	v_mov_b32_e32 v93, v87
	s_delay_alu instid0(VALU_DEP_1)
	v_pk_add_f32 v[70:71], v[70:71], v[92:93] neg_lo:[0,1] neg_hi:[0,1]
.LBB35_55:
	s_or_b32 exec_lo, exec_lo, s1
	s_delay_alu instid0(SALU_CYCLE_1)
	s_mov_b32 s2, exec_lo
	s_wait_dscnt 0x0
	s_barrier_signal -1
	s_barrier_wait -1
	v_cmpx_eq_u32_e32 6, v110
	s_cbranch_execz .LBB35_62
; %bb.56:
	ds_store_b64 v111, v[26:27]
	ds_store_2addr_b64 v112, v[22:23], v[52:53] offset0:7 offset1:8
	ds_store_2addr_b64 v112, v[48:49], v[50:51] offset0:9 offset1:10
	ds_store_2addr_b64 v112, v[46:47], v[64:65] offset0:11 offset1:12
	ds_store_2addr_b64 v112, v[62:63], v[72:73] offset0:13 offset1:14
	ds_store_2addr_b64 v112, v[68:69], v[66:67] offset0:15 offset1:16
	ds_store_b64 v112, v[70:71] offset:136
	ds_load_b64 v[86:87], v111
	s_wait_dscnt 0x0
	v_cmp_neq_f32_e32 vcc_lo, 0, v86
	v_cmp_neq_f32_e64 s1, 0, v87
	s_or_b32 s1, vcc_lo, s1
	s_delay_alu instid0(SALU_CYCLE_1)
	s_and_b32 exec_lo, exec_lo, s1
	s_cbranch_execz .LBB35_62
; %bb.57:
	v_cmp_ngt_f32_e64 s1, |v86|, |v87|
                                        ; implicit-def: $vgpr88_vgpr89
	s_and_saveexec_b32 s4, s1
	s_delay_alu instid0(SALU_CYCLE_1)
	s_xor_b32 s1, exec_lo, s4
	s_cbranch_execz .LBB35_59
; %bb.58:
	v_div_scale_f32 v88, null, v87, v87, v86
	v_div_scale_f32 v91, vcc_lo, v86, v87, v86
	s_delay_alu instid0(VALU_DEP_2) | instskip(SKIP_1) | instid1(TRANS32_DEP_1)
	v_rcp_f32_e32 v89, v88
	v_nop
	v_fma_f32 v90, -v88, v89, 1.0
	s_delay_alu instid0(VALU_DEP_1) | instskip(NEXT) | instid1(VALU_DEP_1)
	v_fmac_f32_e32 v89, v90, v89
	v_mul_f32_e32 v90, v91, v89
	s_delay_alu instid0(VALU_DEP_1) | instskip(NEXT) | instid1(VALU_DEP_1)
	v_fma_f32 v92, -v88, v90, v91
	v_fmac_f32_e32 v90, v92, v89
	s_delay_alu instid0(VALU_DEP_1) | instskip(NEXT) | instid1(VALU_DEP_1)
	v_fma_f32 v88, -v88, v90, v91
	v_div_fmas_f32 v88, v88, v89, v90
	s_delay_alu instid0(VALU_DEP_1) | instskip(NEXT) | instid1(VALU_DEP_1)
	v_div_fixup_f32 v88, v88, v87, v86
	v_fmac_f32_e32 v87, v86, v88
	s_delay_alu instid0(VALU_DEP_1) | instskip(SKIP_1) | instid1(VALU_DEP_2)
	v_div_scale_f32 v86, null, v87, v87, 1.0
	v_div_scale_f32 v91, vcc_lo, 1.0, v87, 1.0
	v_rcp_f32_e32 v89, v86
	v_nop
	s_delay_alu instid0(TRANS32_DEP_1) | instskip(NEXT) | instid1(VALU_DEP_1)
	v_fma_f32 v90, -v86, v89, 1.0
	v_fmac_f32_e32 v89, v90, v89
	s_delay_alu instid0(VALU_DEP_1) | instskip(NEXT) | instid1(VALU_DEP_1)
	v_mul_f32_e32 v90, v91, v89
	v_fma_f32 v92, -v86, v90, v91
	s_delay_alu instid0(VALU_DEP_1) | instskip(NEXT) | instid1(VALU_DEP_1)
	v_fmac_f32_e32 v90, v92, v89
	v_fma_f32 v86, -v86, v90, v91
	s_delay_alu instid0(VALU_DEP_1) | instskip(NEXT) | instid1(VALU_DEP_1)
	v_div_fmas_f32 v86, v86, v89, v90
	v_div_fixup_f32 v86, v86, v87, 1.0
	s_delay_alu instid0(VALU_DEP_1)
	v_mul_f32_e32 v88, v88, v86
	v_xor_b32_e32 v89, 0x80000000, v86
                                        ; implicit-def: $vgpr86_vgpr87
.LBB35_59:
	s_and_not1_saveexec_b32 s1, s1
	s_cbranch_execz .LBB35_61
; %bb.60:
	v_div_scale_f32 v88, null, v86, v86, v87
	v_div_scale_f32 v91, vcc_lo, v87, v86, v87
	s_delay_alu instid0(VALU_DEP_2) | instskip(SKIP_1) | instid1(TRANS32_DEP_1)
	v_rcp_f32_e32 v89, v88
	v_nop
	v_fma_f32 v90, -v88, v89, 1.0
	s_delay_alu instid0(VALU_DEP_1) | instskip(NEXT) | instid1(VALU_DEP_1)
	v_fmac_f32_e32 v89, v90, v89
	v_mul_f32_e32 v90, v91, v89
	s_delay_alu instid0(VALU_DEP_1) | instskip(NEXT) | instid1(VALU_DEP_1)
	v_fma_f32 v92, -v88, v90, v91
	v_fmac_f32_e32 v90, v92, v89
	s_delay_alu instid0(VALU_DEP_1) | instskip(NEXT) | instid1(VALU_DEP_1)
	v_fma_f32 v88, -v88, v90, v91
	v_div_fmas_f32 v88, v88, v89, v90
	s_delay_alu instid0(VALU_DEP_1) | instskip(NEXT) | instid1(VALU_DEP_1)
	v_div_fixup_f32 v89, v88, v86, v87
	v_fmac_f32_e32 v86, v87, v89
	s_delay_alu instid0(VALU_DEP_1) | instskip(NEXT) | instid1(VALU_DEP_1)
	v_div_scale_f32 v87, null, v86, v86, 1.0
	v_rcp_f32_e32 v88, v87
	v_nop
	s_delay_alu instid0(TRANS32_DEP_1) | instskip(NEXT) | instid1(VALU_DEP_1)
	v_fma_f32 v90, -v87, v88, 1.0
	v_fmac_f32_e32 v88, v90, v88
	v_div_scale_f32 v90, vcc_lo, 1.0, v86, 1.0
	s_delay_alu instid0(VALU_DEP_1) | instskip(NEXT) | instid1(VALU_DEP_1)
	v_mul_f32_e32 v91, v90, v88
	v_fma_f32 v92, -v87, v91, v90
	s_delay_alu instid0(VALU_DEP_1) | instskip(NEXT) | instid1(VALU_DEP_1)
	v_fmac_f32_e32 v91, v92, v88
	v_fma_f32 v87, -v87, v91, v90
	s_delay_alu instid0(VALU_DEP_1) | instskip(NEXT) | instid1(VALU_DEP_1)
	v_div_fmas_f32 v87, v87, v88, v91
	v_div_fixup_f32 v88, v87, v86, 1.0
	s_delay_alu instid0(VALU_DEP_1)
	v_mul_f32_e64 v89, v89, -v88
.LBB35_61:
	s_or_b32 exec_lo, exec_lo, s1
	ds_store_b64 v111, v[88:89]
.LBB35_62:
	s_or_b32 exec_lo, exec_lo, s2
	s_wait_dscnt 0x0
	s_barrier_signal -1
	s_barrier_wait -1
	ds_load_b64 v[86:87], v111
	s_mov_b32 s1, exec_lo
	v_cmpx_lt_u32_e32 6, v110
	s_cbranch_execz .LBB35_64
; %bb.63:
	s_wait_dscnt 0x0
	v_pk_mul_f32 v[88:89], v[86:87], v[26:27] op_sel:[1,1] op_sel_hi:[0,1]
	s_delay_alu instid0(VALU_DEP_1)
	v_pk_fma_f32 v[92:93], v[86:87], v[26:27], v[88:89] op_sel_hi:[1,0,1] neg_lo:[0,0,1] neg_hi:[0,0,1]
	v_pk_fma_f32 v[94:95], v[86:87], v[26:27], v[88:89] op_sel_hi:[1,0,1]
	ds_load_2addr_b64 v[88:91], v112 offset0:7 offset1:8
	v_dual_mov_b32 v26, v92 :: v_dual_mov_b32 v27, v95
	s_wait_dscnt 0x0
	v_pk_mul_f32 v[96:97], v[88:89], v[94:95] op_sel:[0,1]
	s_delay_alu instid0(VALU_DEP_1) | instskip(SKIP_1) | instid1(VALU_DEP_1)
	v_pk_fma_f32 v[98:99], v[88:89], v[92:93], v[96:97] op_sel:[0,0,1] op_sel_hi:[1,1,0] neg_lo:[0,0,1] neg_hi:[0,0,1]
	v_pk_fma_f32 v[88:89], v[88:89], v[92:93], v[96:97] op_sel:[0,0,1] op_sel_hi:[1,0,0]
	v_mov_b32_e32 v99, v89
	v_pk_mul_f32 v[88:89], v[90:91], v[94:95] op_sel:[0,1]
	s_delay_alu instid0(VALU_DEP_1) | instskip(SKIP_1) | instid1(VALU_DEP_1)
	v_pk_fma_f32 v[96:97], v[90:91], v[92:93], v[88:89] op_sel:[0,0,1] op_sel_hi:[1,1,0] neg_lo:[0,0,1] neg_hi:[0,0,1]
	v_pk_fma_f32 v[88:89], v[90:91], v[92:93], v[88:89] op_sel:[0,0,1] op_sel_hi:[1,0,0]
	v_mov_b32_e32 v97, v89
	ds_load_2addr_b64 v[88:91], v112 offset0:9 offset1:10
	v_pk_add_f32 v[22:23], v[22:23], v[98:99] neg_lo:[0,1] neg_hi:[0,1]
	v_pk_add_f32 v[52:53], v[52:53], v[96:97] neg_lo:[0,1] neg_hi:[0,1]
	s_wait_dscnt 0x0
	v_pk_mul_f32 v[96:97], v[88:89], v[94:95] op_sel:[0,1]
	s_delay_alu instid0(VALU_DEP_1) | instskip(SKIP_2) | instid1(VALU_DEP_2)
	v_pk_fma_f32 v[98:99], v[88:89], v[92:93], v[96:97] op_sel:[0,0,1] op_sel_hi:[1,1,0] neg_lo:[0,0,1] neg_hi:[0,0,1]
	v_pk_fma_f32 v[88:89], v[88:89], v[92:93], v[96:97] op_sel:[0,0,1] op_sel_hi:[1,0,0]
	v_dual_mul_f32 v96, v91, v95 :: v_dual_mov_b32 v88, v91
	v_dual_mov_b32 v99, v89 :: v_dual_mov_b32 v89, v90
	s_delay_alu instid0(VALU_DEP_2) | instskip(SKIP_1) | instid1(VALU_DEP_3)
	v_pk_fma_f32 v[96:97], v[90:91], v[26:27], v[96:97] op_sel_hi:[1,1,0] neg_lo:[0,0,1] neg_hi:[0,0,1]
	v_mul_f32_e32 v90, v91, v92
	v_pk_add_f32 v[48:49], v[48:49], v[98:99] neg_lo:[0,1] neg_hi:[0,1]
	s_delay_alu instid0(VALU_DEP_2) | instskip(NEXT) | instid1(VALU_DEP_1)
	v_pk_fma_f32 v[88:89], v[88:89], v[26:27], v[90:91] op_sel_hi:[1,1,0]
	v_mov_b32_e32 v97, v89
	ds_load_2addr_b64 v[88:91], v112 offset0:11 offset1:12
	v_pk_add_f32 v[50:51], v[50:51], v[96:97] neg_lo:[0,1] neg_hi:[0,1]
	s_wait_dscnt 0x0
	v_pk_mul_f32 v[96:97], v[88:89], v[94:95] op_sel:[0,1]
	s_delay_alu instid0(VALU_DEP_1) | instskip(SKIP_1) | instid1(VALU_DEP_1)
	v_pk_fma_f32 v[98:99], v[88:89], v[92:93], v[96:97] op_sel:[0,0,1] op_sel_hi:[1,1,0] neg_lo:[0,0,1] neg_hi:[0,0,1]
	v_pk_fma_f32 v[88:89], v[88:89], v[92:93], v[96:97] op_sel:[0,0,1] op_sel_hi:[1,0,0]
	v_mov_b32_e32 v99, v89
	v_pk_mul_f32 v[88:89], v[90:91], v[94:95] op_sel:[0,1]
	s_delay_alu instid0(VALU_DEP_1) | instskip(SKIP_1) | instid1(VALU_DEP_1)
	v_pk_fma_f32 v[96:97], v[90:91], v[92:93], v[88:89] op_sel:[0,0,1] op_sel_hi:[1,1,0] neg_lo:[0,0,1] neg_hi:[0,0,1]
	v_pk_fma_f32 v[88:89], v[90:91], v[92:93], v[88:89] op_sel:[0,0,1] op_sel_hi:[1,0,0]
	v_mov_b32_e32 v97, v89
	ds_load_2addr_b64 v[88:91], v112 offset0:13 offset1:14
	v_pk_add_f32 v[46:47], v[46:47], v[98:99] neg_lo:[0,1] neg_hi:[0,1]
	v_pk_add_f32 v[64:65], v[64:65], v[96:97] neg_lo:[0,1] neg_hi:[0,1]
	s_wait_dscnt 0x0
	v_pk_mul_f32 v[96:97], v[88:89], v[94:95] op_sel:[0,1]
	s_delay_alu instid0(VALU_DEP_1) | instskip(SKIP_1) | instid1(VALU_DEP_1)
	v_pk_fma_f32 v[98:99], v[88:89], v[92:93], v[96:97] op_sel:[0,0,1] op_sel_hi:[1,1,0] neg_lo:[0,0,1] neg_hi:[0,0,1]
	v_pk_fma_f32 v[88:89], v[88:89], v[92:93], v[96:97] op_sel:[0,0,1] op_sel_hi:[1,0,0]
	v_mov_b32_e32 v99, v89
	v_pk_mul_f32 v[88:89], v[90:91], v[94:95] op_sel:[0,1]
	s_delay_alu instid0(VALU_DEP_1) | instskip(SKIP_1) | instid1(VALU_DEP_1)
	v_pk_fma_f32 v[96:97], v[90:91], v[92:93], v[88:89] op_sel:[0,0,1] op_sel_hi:[1,1,0] neg_lo:[0,0,1] neg_hi:[0,0,1]
	v_pk_fma_f32 v[88:89], v[90:91], v[92:93], v[88:89] op_sel:[0,0,1] op_sel_hi:[1,0,0]
	v_mov_b32_e32 v97, v89
	ds_load_2addr_b64 v[88:91], v112 offset0:15 offset1:16
	v_pk_add_f32 v[62:63], v[62:63], v[98:99] neg_lo:[0,1] neg_hi:[0,1]
	v_pk_add_f32 v[72:73], v[72:73], v[96:97] neg_lo:[0,1] neg_hi:[0,1]
	s_wait_dscnt 0x0
	v_dual_mul_f32 v96, v89, v95 :: v_dual_mul_f32 v98, v89, v92
	s_delay_alu instid0(VALU_DEP_1) | instskip(NEXT) | instid1(VALU_DEP_2)
	v_pk_fma_f32 v[96:97], v[88:89], v[26:27], v[96:97] op_sel_hi:[1,1,0] neg_lo:[0,0,1] neg_hi:[0,0,1]
	v_pk_fma_f32 v[88:89], v[88:89], v[26:27], v[98:99] op_sel:[1,0,0] op_sel_hi:[0,1,0]
	s_delay_alu instid0(VALU_DEP_1) | instskip(SKIP_1) | instid1(VALU_DEP_2)
	v_mov_b32_e32 v97, v89
	v_pk_mul_f32 v[88:89], v[90:91], v[94:95] op_sel:[0,1]
	v_pk_add_f32 v[68:69], v[68:69], v[96:97] neg_lo:[0,1] neg_hi:[0,1]
	s_delay_alu instid0(VALU_DEP_2) | instskip(SKIP_1) | instid1(VALU_DEP_1)
	v_pk_fma_f32 v[96:97], v[90:91], v[92:93], v[88:89] op_sel:[0,0,1] op_sel_hi:[1,1,0] neg_lo:[0,0,1] neg_hi:[0,0,1]
	v_pk_fma_f32 v[88:89], v[90:91], v[92:93], v[88:89] op_sel:[0,0,1] op_sel_hi:[1,0,0]
	v_mov_b32_e32 v97, v89
	ds_load_b64 v[88:89], v112 offset:136
	v_pk_add_f32 v[66:67], v[66:67], v[96:97] neg_lo:[0,1] neg_hi:[0,1]
	s_wait_dscnt 0x0
	v_pk_mul_f32 v[90:91], v[88:89], v[94:95] op_sel:[0,1]
	s_delay_alu instid0(VALU_DEP_1) | instskip(SKIP_1) | instid1(VALU_DEP_1)
	v_pk_fma_f32 v[94:95], v[88:89], v[92:93], v[90:91] op_sel:[0,0,1] op_sel_hi:[1,1,0] neg_lo:[0,0,1] neg_hi:[0,0,1]
	v_pk_fma_f32 v[88:89], v[88:89], v[92:93], v[90:91] op_sel:[0,0,1] op_sel_hi:[1,0,0]
	v_mov_b32_e32 v95, v89
	s_delay_alu instid0(VALU_DEP_1)
	v_pk_add_f32 v[70:71], v[70:71], v[94:95] neg_lo:[0,1] neg_hi:[0,1]
.LBB35_64:
	s_or_b32 exec_lo, exec_lo, s1
	s_delay_alu instid0(SALU_CYCLE_1)
	s_mov_b32 s2, exec_lo
	s_wait_dscnt 0x0
	s_barrier_signal -1
	s_barrier_wait -1
	v_cmpx_eq_u32_e32 7, v110
	s_cbranch_execz .LBB35_71
; %bb.65:
	v_dual_mov_b32 v88, v52 :: v_dual_mov_b32 v89, v53
	v_dual_mov_b32 v90, v48 :: v_dual_mov_b32 v91, v49
	;; [unrolled: 1-line block ×9, first 2 shown]
	ds_store_b64 v111, v[22:23]
	ds_store_2addr_b64 v112, v[88:89], v[90:91] offset0:8 offset1:9
	ds_store_2addr_b64 v112, v[92:93], v[94:95] offset0:10 offset1:11
	;; [unrolled: 1-line block ×5, first 2 shown]
	ds_load_b64 v[88:89], v111
	s_wait_dscnt 0x0
	v_cmp_neq_f32_e32 vcc_lo, 0, v88
	v_cmp_neq_f32_e64 s1, 0, v89
	s_or_b32 s1, vcc_lo, s1
	s_delay_alu instid0(SALU_CYCLE_1)
	s_and_b32 exec_lo, exec_lo, s1
	s_cbranch_execz .LBB35_71
; %bb.66:
	v_cmp_ngt_f32_e64 s1, |v88|, |v89|
                                        ; implicit-def: $vgpr90_vgpr91
	s_and_saveexec_b32 s4, s1
	s_delay_alu instid0(SALU_CYCLE_1)
	s_xor_b32 s1, exec_lo, s4
	s_cbranch_execz .LBB35_68
; %bb.67:
	v_div_scale_f32 v90, null, v89, v89, v88
	v_div_scale_f32 v93, vcc_lo, v88, v89, v88
	s_delay_alu instid0(VALU_DEP_2) | instskip(SKIP_1) | instid1(TRANS32_DEP_1)
	v_rcp_f32_e32 v91, v90
	v_nop
	v_fma_f32 v92, -v90, v91, 1.0
	s_delay_alu instid0(VALU_DEP_1) | instskip(NEXT) | instid1(VALU_DEP_1)
	v_fmac_f32_e32 v91, v92, v91
	v_mul_f32_e32 v92, v93, v91
	s_delay_alu instid0(VALU_DEP_1) | instskip(NEXT) | instid1(VALU_DEP_1)
	v_fma_f32 v94, -v90, v92, v93
	v_fmac_f32_e32 v92, v94, v91
	s_delay_alu instid0(VALU_DEP_1) | instskip(NEXT) | instid1(VALU_DEP_1)
	v_fma_f32 v90, -v90, v92, v93
	v_div_fmas_f32 v90, v90, v91, v92
	s_delay_alu instid0(VALU_DEP_1) | instskip(NEXT) | instid1(VALU_DEP_1)
	v_div_fixup_f32 v90, v90, v89, v88
	v_fmac_f32_e32 v89, v88, v90
	s_delay_alu instid0(VALU_DEP_1) | instskip(SKIP_1) | instid1(VALU_DEP_2)
	v_div_scale_f32 v88, null, v89, v89, 1.0
	v_div_scale_f32 v93, vcc_lo, 1.0, v89, 1.0
	v_rcp_f32_e32 v91, v88
	v_nop
	s_delay_alu instid0(TRANS32_DEP_1) | instskip(NEXT) | instid1(VALU_DEP_1)
	v_fma_f32 v92, -v88, v91, 1.0
	v_fmac_f32_e32 v91, v92, v91
	s_delay_alu instid0(VALU_DEP_1) | instskip(NEXT) | instid1(VALU_DEP_1)
	v_mul_f32_e32 v92, v93, v91
	v_fma_f32 v94, -v88, v92, v93
	s_delay_alu instid0(VALU_DEP_1) | instskip(NEXT) | instid1(VALU_DEP_1)
	v_fmac_f32_e32 v92, v94, v91
	v_fma_f32 v88, -v88, v92, v93
	s_delay_alu instid0(VALU_DEP_1) | instskip(NEXT) | instid1(VALU_DEP_1)
	v_div_fmas_f32 v88, v88, v91, v92
	v_div_fixup_f32 v88, v88, v89, 1.0
	s_delay_alu instid0(VALU_DEP_1)
	v_mul_f32_e32 v90, v90, v88
	v_xor_b32_e32 v91, 0x80000000, v88
                                        ; implicit-def: $vgpr88_vgpr89
.LBB35_68:
	s_and_not1_saveexec_b32 s1, s1
	s_cbranch_execz .LBB35_70
; %bb.69:
	v_div_scale_f32 v90, null, v88, v88, v89
	v_div_scale_f32 v93, vcc_lo, v89, v88, v89
	s_delay_alu instid0(VALU_DEP_2) | instskip(SKIP_1) | instid1(TRANS32_DEP_1)
	v_rcp_f32_e32 v91, v90
	v_nop
	v_fma_f32 v92, -v90, v91, 1.0
	s_delay_alu instid0(VALU_DEP_1) | instskip(NEXT) | instid1(VALU_DEP_1)
	v_fmac_f32_e32 v91, v92, v91
	v_mul_f32_e32 v92, v93, v91
	s_delay_alu instid0(VALU_DEP_1) | instskip(NEXT) | instid1(VALU_DEP_1)
	v_fma_f32 v94, -v90, v92, v93
	v_fmac_f32_e32 v92, v94, v91
	s_delay_alu instid0(VALU_DEP_1) | instskip(NEXT) | instid1(VALU_DEP_1)
	v_fma_f32 v90, -v90, v92, v93
	v_div_fmas_f32 v90, v90, v91, v92
	s_delay_alu instid0(VALU_DEP_1) | instskip(NEXT) | instid1(VALU_DEP_1)
	v_div_fixup_f32 v91, v90, v88, v89
	v_fmac_f32_e32 v88, v89, v91
	s_delay_alu instid0(VALU_DEP_1) | instskip(NEXT) | instid1(VALU_DEP_1)
	v_div_scale_f32 v89, null, v88, v88, 1.0
	v_rcp_f32_e32 v90, v89
	v_nop
	s_delay_alu instid0(TRANS32_DEP_1) | instskip(NEXT) | instid1(VALU_DEP_1)
	v_fma_f32 v92, -v89, v90, 1.0
	v_fmac_f32_e32 v90, v92, v90
	v_div_scale_f32 v92, vcc_lo, 1.0, v88, 1.0
	s_delay_alu instid0(VALU_DEP_1) | instskip(NEXT) | instid1(VALU_DEP_1)
	v_mul_f32_e32 v93, v92, v90
	v_fma_f32 v94, -v89, v93, v92
	s_delay_alu instid0(VALU_DEP_1) | instskip(NEXT) | instid1(VALU_DEP_1)
	v_fmac_f32_e32 v93, v94, v90
	v_fma_f32 v89, -v89, v93, v92
	s_delay_alu instid0(VALU_DEP_1) | instskip(NEXT) | instid1(VALU_DEP_1)
	v_div_fmas_f32 v89, v89, v90, v93
	v_div_fixup_f32 v90, v89, v88, 1.0
	s_delay_alu instid0(VALU_DEP_1)
	v_mul_f32_e64 v91, v91, -v90
.LBB35_70:
	s_or_b32 exec_lo, exec_lo, s1
	ds_store_b64 v111, v[90:91]
.LBB35_71:
	s_or_b32 exec_lo, exec_lo, s2
	s_wait_dscnt 0x0
	s_barrier_signal -1
	s_barrier_wait -1
	ds_load_b64 v[88:89], v111
	s_mov_b32 s1, exec_lo
	v_cmpx_lt_u32_e32 7, v110
	s_cbranch_execz .LBB35_73
; %bb.72:
	s_wait_dscnt 0x0
	v_pk_mul_f32 v[90:91], v[88:89], v[22:23] op_sel:[1,1] op_sel_hi:[0,1]
	s_delay_alu instid0(VALU_DEP_1)
	v_pk_fma_f32 v[94:95], v[88:89], v[22:23], v[90:91] op_sel_hi:[1,0,1] neg_lo:[0,0,1] neg_hi:[0,0,1]
	v_pk_fma_f32 v[96:97], v[88:89], v[22:23], v[90:91] op_sel_hi:[1,0,1]
	ds_load_2addr_b64 v[90:93], v112 offset0:8 offset1:9
	v_dual_mov_b32 v22, v94 :: v_dual_mov_b32 v23, v97
	s_wait_dscnt 0x0
	v_pk_mul_f32 v[98:99], v[90:91], v[96:97] op_sel:[0,1]
	s_delay_alu instid0(VALU_DEP_1) | instskip(SKIP_1) | instid1(VALU_DEP_1)
	v_pk_fma_f32 v[100:101], v[90:91], v[94:95], v[98:99] op_sel:[0,0,1] op_sel_hi:[1,1,0] neg_lo:[0,0,1] neg_hi:[0,0,1]
	v_pk_fma_f32 v[90:91], v[90:91], v[94:95], v[98:99] op_sel:[0,0,1] op_sel_hi:[1,0,0]
	v_mov_b32_e32 v101, v91
	v_pk_mul_f32 v[90:91], v[92:93], v[96:97] op_sel:[0,1]
	s_delay_alu instid0(VALU_DEP_1) | instskip(SKIP_1) | instid1(VALU_DEP_1)
	v_pk_fma_f32 v[98:99], v[92:93], v[94:95], v[90:91] op_sel:[0,0,1] op_sel_hi:[1,1,0] neg_lo:[0,0,1] neg_hi:[0,0,1]
	v_pk_fma_f32 v[90:91], v[92:93], v[94:95], v[90:91] op_sel:[0,0,1] op_sel_hi:[1,0,0]
	v_mov_b32_e32 v99, v91
	ds_load_2addr_b64 v[90:93], v112 offset0:10 offset1:11
	v_pk_add_f32 v[52:53], v[52:53], v[100:101] neg_lo:[0,1] neg_hi:[0,1]
	v_pk_add_f32 v[48:49], v[48:49], v[98:99] neg_lo:[0,1] neg_hi:[0,1]
	s_wait_dscnt 0x0
	v_pk_mul_f32 v[98:99], v[90:91], v[96:97] op_sel:[0,1]
	s_delay_alu instid0(VALU_DEP_1) | instskip(SKIP_2) | instid1(VALU_DEP_2)
	v_pk_fma_f32 v[100:101], v[90:91], v[94:95], v[98:99] op_sel:[0,0,1] op_sel_hi:[1,1,0] neg_lo:[0,0,1] neg_hi:[0,0,1]
	v_pk_fma_f32 v[90:91], v[90:91], v[94:95], v[98:99] op_sel:[0,0,1] op_sel_hi:[1,0,0]
	v_dual_mul_f32 v98, v93, v97 :: v_dual_mov_b32 v90, v93
	v_dual_mov_b32 v101, v91 :: v_dual_mov_b32 v91, v92
	s_delay_alu instid0(VALU_DEP_2) | instskip(SKIP_1) | instid1(VALU_DEP_3)
	v_pk_fma_f32 v[98:99], v[92:93], v[22:23], v[98:99] op_sel_hi:[1,1,0] neg_lo:[0,0,1] neg_hi:[0,0,1]
	v_mul_f32_e32 v92, v93, v94
	v_pk_add_f32 v[50:51], v[50:51], v[100:101] neg_lo:[0,1] neg_hi:[0,1]
	s_delay_alu instid0(VALU_DEP_2) | instskip(NEXT) | instid1(VALU_DEP_1)
	v_pk_fma_f32 v[90:91], v[90:91], v[22:23], v[92:93] op_sel_hi:[1,1,0]
	v_mov_b32_e32 v99, v91
	ds_load_2addr_b64 v[90:93], v112 offset0:12 offset1:13
	v_pk_add_f32 v[46:47], v[46:47], v[98:99] neg_lo:[0,1] neg_hi:[0,1]
	s_wait_dscnt 0x0
	v_pk_mul_f32 v[98:99], v[90:91], v[96:97] op_sel:[0,1]
	s_delay_alu instid0(VALU_DEP_1) | instskip(SKIP_1) | instid1(VALU_DEP_1)
	v_pk_fma_f32 v[100:101], v[90:91], v[94:95], v[98:99] op_sel:[0,0,1] op_sel_hi:[1,1,0] neg_lo:[0,0,1] neg_hi:[0,0,1]
	v_pk_fma_f32 v[90:91], v[90:91], v[94:95], v[98:99] op_sel:[0,0,1] op_sel_hi:[1,0,0]
	v_mov_b32_e32 v101, v91
	v_pk_mul_f32 v[90:91], v[92:93], v[96:97] op_sel:[0,1]
	s_delay_alu instid0(VALU_DEP_1) | instskip(SKIP_1) | instid1(VALU_DEP_1)
	v_pk_fma_f32 v[98:99], v[92:93], v[94:95], v[90:91] op_sel:[0,0,1] op_sel_hi:[1,1,0] neg_lo:[0,0,1] neg_hi:[0,0,1]
	v_pk_fma_f32 v[90:91], v[92:93], v[94:95], v[90:91] op_sel:[0,0,1] op_sel_hi:[1,0,0]
	v_mov_b32_e32 v99, v91
	ds_load_2addr_b64 v[90:93], v112 offset0:14 offset1:15
	v_pk_add_f32 v[64:65], v[64:65], v[100:101] neg_lo:[0,1] neg_hi:[0,1]
	v_pk_add_f32 v[62:63], v[62:63], v[98:99] neg_lo:[0,1] neg_hi:[0,1]
	s_wait_dscnt 0x0
	v_pk_mul_f32 v[98:99], v[90:91], v[96:97] op_sel:[0,1]
	s_delay_alu instid0(VALU_DEP_1) | instskip(SKIP_1) | instid1(VALU_DEP_1)
	v_pk_fma_f32 v[100:101], v[90:91], v[94:95], v[98:99] op_sel:[0,0,1] op_sel_hi:[1,1,0] neg_lo:[0,0,1] neg_hi:[0,0,1]
	v_pk_fma_f32 v[90:91], v[90:91], v[94:95], v[98:99] op_sel:[0,0,1] op_sel_hi:[1,0,0]
	v_mov_b32_e32 v101, v91
	v_pk_mul_f32 v[90:91], v[92:93], v[96:97] op_sel:[0,1]
	s_delay_alu instid0(VALU_DEP_1) | instskip(SKIP_1) | instid1(VALU_DEP_1)
	v_pk_fma_f32 v[98:99], v[92:93], v[94:95], v[90:91] op_sel:[0,0,1] op_sel_hi:[1,1,0] neg_lo:[0,0,1] neg_hi:[0,0,1]
	v_pk_fma_f32 v[90:91], v[92:93], v[94:95], v[90:91] op_sel:[0,0,1] op_sel_hi:[1,0,0]
	v_mov_b32_e32 v99, v91
	ds_load_2addr_b64 v[90:93], v112 offset0:16 offset1:17
	v_pk_add_f32 v[72:73], v[72:73], v[100:101] neg_lo:[0,1] neg_hi:[0,1]
	v_pk_add_f32 v[68:69], v[68:69], v[98:99] neg_lo:[0,1] neg_hi:[0,1]
	s_wait_dscnt 0x0
	v_dual_mul_f32 v98, v91, v97 :: v_dual_mul_f32 v100, v91, v94
	s_delay_alu instid0(VALU_DEP_1) | instskip(NEXT) | instid1(VALU_DEP_2)
	v_pk_fma_f32 v[98:99], v[90:91], v[22:23], v[98:99] op_sel_hi:[1,1,0] neg_lo:[0,0,1] neg_hi:[0,0,1]
	v_pk_fma_f32 v[90:91], v[90:91], v[22:23], v[100:101] op_sel:[1,0,0] op_sel_hi:[0,1,0]
	s_delay_alu instid0(VALU_DEP_1) | instskip(SKIP_1) | instid1(VALU_DEP_1)
	v_mov_b32_e32 v99, v91
	v_pk_mul_f32 v[90:91], v[92:93], v[96:97] op_sel:[0,1]
	v_pk_fma_f32 v[96:97], v[92:93], v[94:95], v[90:91] op_sel:[0,0,1] op_sel_hi:[1,1,0] neg_lo:[0,0,1] neg_hi:[0,0,1]
	v_pk_fma_f32 v[90:91], v[92:93], v[94:95], v[90:91] op_sel:[0,0,1] op_sel_hi:[1,0,0]
	s_delay_alu instid0(VALU_DEP_1) | instskip(SKIP_1) | instid1(VALU_DEP_2)
	v_mov_b32_e32 v97, v91
	v_pk_add_f32 v[66:67], v[66:67], v[98:99] neg_lo:[0,1] neg_hi:[0,1]
	v_pk_add_f32 v[70:71], v[70:71], v[96:97] neg_lo:[0,1] neg_hi:[0,1]
.LBB35_73:
	s_or_b32 exec_lo, exec_lo, s1
	s_delay_alu instid0(SALU_CYCLE_1)
	s_mov_b32 s2, exec_lo
	s_wait_dscnt 0x0
	s_barrier_signal -1
	s_barrier_wait -1
	v_cmpx_eq_u32_e32 8, v110
	s_cbranch_execz .LBB35_80
; %bb.74:
	ds_store_b64 v111, v[52:53]
	ds_store_2addr_b64 v112, v[48:49], v[50:51] offset0:9 offset1:10
	ds_store_2addr_b64 v112, v[46:47], v[64:65] offset0:11 offset1:12
	;; [unrolled: 1-line block ×4, first 2 shown]
	ds_store_b64 v112, v[70:71] offset:136
	ds_load_b64 v[90:91], v111
	s_wait_dscnt 0x0
	v_cmp_neq_f32_e32 vcc_lo, 0, v90
	v_cmp_neq_f32_e64 s1, 0, v91
	s_or_b32 s1, vcc_lo, s1
	s_delay_alu instid0(SALU_CYCLE_1)
	s_and_b32 exec_lo, exec_lo, s1
	s_cbranch_execz .LBB35_80
; %bb.75:
	v_cmp_ngt_f32_e64 s1, |v90|, |v91|
                                        ; implicit-def: $vgpr92_vgpr93
	s_and_saveexec_b32 s4, s1
	s_delay_alu instid0(SALU_CYCLE_1)
	s_xor_b32 s1, exec_lo, s4
	s_cbranch_execz .LBB35_77
; %bb.76:
	v_div_scale_f32 v92, null, v91, v91, v90
	v_div_scale_f32 v95, vcc_lo, v90, v91, v90
	s_delay_alu instid0(VALU_DEP_2) | instskip(SKIP_1) | instid1(TRANS32_DEP_1)
	v_rcp_f32_e32 v93, v92
	v_nop
	v_fma_f32 v94, -v92, v93, 1.0
	s_delay_alu instid0(VALU_DEP_1) | instskip(NEXT) | instid1(VALU_DEP_1)
	v_fmac_f32_e32 v93, v94, v93
	v_mul_f32_e32 v94, v95, v93
	s_delay_alu instid0(VALU_DEP_1) | instskip(NEXT) | instid1(VALU_DEP_1)
	v_fma_f32 v96, -v92, v94, v95
	v_fmac_f32_e32 v94, v96, v93
	s_delay_alu instid0(VALU_DEP_1) | instskip(NEXT) | instid1(VALU_DEP_1)
	v_fma_f32 v92, -v92, v94, v95
	v_div_fmas_f32 v92, v92, v93, v94
	s_delay_alu instid0(VALU_DEP_1) | instskip(NEXT) | instid1(VALU_DEP_1)
	v_div_fixup_f32 v92, v92, v91, v90
	v_fmac_f32_e32 v91, v90, v92
	s_delay_alu instid0(VALU_DEP_1) | instskip(SKIP_1) | instid1(VALU_DEP_2)
	v_div_scale_f32 v90, null, v91, v91, 1.0
	v_div_scale_f32 v95, vcc_lo, 1.0, v91, 1.0
	v_rcp_f32_e32 v93, v90
	v_nop
	s_delay_alu instid0(TRANS32_DEP_1) | instskip(NEXT) | instid1(VALU_DEP_1)
	v_fma_f32 v94, -v90, v93, 1.0
	v_fmac_f32_e32 v93, v94, v93
	s_delay_alu instid0(VALU_DEP_1) | instskip(NEXT) | instid1(VALU_DEP_1)
	v_mul_f32_e32 v94, v95, v93
	v_fma_f32 v96, -v90, v94, v95
	s_delay_alu instid0(VALU_DEP_1) | instskip(NEXT) | instid1(VALU_DEP_1)
	v_fmac_f32_e32 v94, v96, v93
	v_fma_f32 v90, -v90, v94, v95
	s_delay_alu instid0(VALU_DEP_1) | instskip(NEXT) | instid1(VALU_DEP_1)
	v_div_fmas_f32 v90, v90, v93, v94
	v_div_fixup_f32 v90, v90, v91, 1.0
	s_delay_alu instid0(VALU_DEP_1)
	v_mul_f32_e32 v92, v92, v90
	v_xor_b32_e32 v93, 0x80000000, v90
                                        ; implicit-def: $vgpr90_vgpr91
.LBB35_77:
	s_and_not1_saveexec_b32 s1, s1
	s_cbranch_execz .LBB35_79
; %bb.78:
	v_div_scale_f32 v92, null, v90, v90, v91
	v_div_scale_f32 v95, vcc_lo, v91, v90, v91
	s_delay_alu instid0(VALU_DEP_2) | instskip(SKIP_1) | instid1(TRANS32_DEP_1)
	v_rcp_f32_e32 v93, v92
	v_nop
	v_fma_f32 v94, -v92, v93, 1.0
	s_delay_alu instid0(VALU_DEP_1) | instskip(NEXT) | instid1(VALU_DEP_1)
	v_fmac_f32_e32 v93, v94, v93
	v_mul_f32_e32 v94, v95, v93
	s_delay_alu instid0(VALU_DEP_1) | instskip(NEXT) | instid1(VALU_DEP_1)
	v_fma_f32 v96, -v92, v94, v95
	v_fmac_f32_e32 v94, v96, v93
	s_delay_alu instid0(VALU_DEP_1) | instskip(NEXT) | instid1(VALU_DEP_1)
	v_fma_f32 v92, -v92, v94, v95
	v_div_fmas_f32 v92, v92, v93, v94
	s_delay_alu instid0(VALU_DEP_1) | instskip(NEXT) | instid1(VALU_DEP_1)
	v_div_fixup_f32 v93, v92, v90, v91
	v_fmac_f32_e32 v90, v91, v93
	s_delay_alu instid0(VALU_DEP_1) | instskip(NEXT) | instid1(VALU_DEP_1)
	v_div_scale_f32 v91, null, v90, v90, 1.0
	v_rcp_f32_e32 v92, v91
	v_nop
	s_delay_alu instid0(TRANS32_DEP_1) | instskip(NEXT) | instid1(VALU_DEP_1)
	v_fma_f32 v94, -v91, v92, 1.0
	v_fmac_f32_e32 v92, v94, v92
	v_div_scale_f32 v94, vcc_lo, 1.0, v90, 1.0
	s_delay_alu instid0(VALU_DEP_1) | instskip(NEXT) | instid1(VALU_DEP_1)
	v_mul_f32_e32 v95, v94, v92
	v_fma_f32 v96, -v91, v95, v94
	s_delay_alu instid0(VALU_DEP_1) | instskip(NEXT) | instid1(VALU_DEP_1)
	v_fmac_f32_e32 v95, v96, v92
	v_fma_f32 v91, -v91, v95, v94
	s_delay_alu instid0(VALU_DEP_1) | instskip(NEXT) | instid1(VALU_DEP_1)
	v_div_fmas_f32 v91, v91, v92, v95
	v_div_fixup_f32 v92, v91, v90, 1.0
	s_delay_alu instid0(VALU_DEP_1)
	v_mul_f32_e64 v93, v93, -v92
.LBB35_79:
	s_or_b32 exec_lo, exec_lo, s1
	ds_store_b64 v111, v[92:93]
.LBB35_80:
	s_or_b32 exec_lo, exec_lo, s2
	s_wait_dscnt 0x0
	s_barrier_signal -1
	s_barrier_wait -1
	ds_load_b64 v[90:91], v111
	s_mov_b32 s1, exec_lo
	v_cmpx_lt_u32_e32 8, v110
	s_cbranch_execz .LBB35_82
; %bb.81:
	s_wait_dscnt 0x0
	v_pk_mul_f32 v[92:93], v[90:91], v[52:53] op_sel:[1,1] op_sel_hi:[0,1]
	s_delay_alu instid0(VALU_DEP_1)
	v_pk_fma_f32 v[96:97], v[90:91], v[52:53], v[92:93] op_sel_hi:[1,0,1] neg_lo:[0,0,1] neg_hi:[0,0,1]
	v_pk_fma_f32 v[98:99], v[90:91], v[52:53], v[92:93] op_sel_hi:[1,0,1]
	ds_load_2addr_b64 v[92:95], v112 offset0:9 offset1:10
	v_dual_mov_b32 v52, v96 :: v_dual_mov_b32 v53, v99
	s_wait_dscnt 0x0
	v_pk_mul_f32 v[100:101], v[92:93], v[98:99] op_sel:[0,1]
	s_delay_alu instid0(VALU_DEP_1) | instskip(SKIP_1) | instid1(VALU_DEP_1)
	v_pk_fma_f32 v[102:103], v[92:93], v[96:97], v[100:101] op_sel:[0,0,1] op_sel_hi:[1,1,0] neg_lo:[0,0,1] neg_hi:[0,0,1]
	v_pk_fma_f32 v[92:93], v[92:93], v[96:97], v[100:101] op_sel:[0,0,1] op_sel_hi:[1,0,0]
	v_mov_b32_e32 v103, v93
	v_pk_mul_f32 v[92:93], v[94:95], v[98:99] op_sel:[0,1]
	s_delay_alu instid0(VALU_DEP_1) | instskip(SKIP_1) | instid1(VALU_DEP_1)
	v_pk_fma_f32 v[100:101], v[94:95], v[96:97], v[92:93] op_sel:[0,0,1] op_sel_hi:[1,1,0] neg_lo:[0,0,1] neg_hi:[0,0,1]
	v_pk_fma_f32 v[92:93], v[94:95], v[96:97], v[92:93] op_sel:[0,0,1] op_sel_hi:[1,0,0]
	v_mov_b32_e32 v101, v93
	ds_load_2addr_b64 v[92:95], v112 offset0:11 offset1:12
	v_pk_add_f32 v[48:49], v[48:49], v[102:103] neg_lo:[0,1] neg_hi:[0,1]
	v_pk_add_f32 v[50:51], v[50:51], v[100:101] neg_lo:[0,1] neg_hi:[0,1]
	s_wait_dscnt 0x0
	v_pk_mul_f32 v[100:101], v[92:93], v[98:99] op_sel:[0,1]
	s_delay_alu instid0(VALU_DEP_1) | instskip(SKIP_2) | instid1(VALU_DEP_2)
	v_pk_fma_f32 v[102:103], v[92:93], v[96:97], v[100:101] op_sel:[0,0,1] op_sel_hi:[1,1,0] neg_lo:[0,0,1] neg_hi:[0,0,1]
	v_pk_fma_f32 v[92:93], v[92:93], v[96:97], v[100:101] op_sel:[0,0,1] op_sel_hi:[1,0,0]
	v_dual_mul_f32 v100, v95, v99 :: v_dual_mov_b32 v92, v95
	v_dual_mov_b32 v103, v93 :: v_dual_mov_b32 v93, v94
	s_delay_alu instid0(VALU_DEP_2) | instskip(SKIP_1) | instid1(VALU_DEP_3)
	v_pk_fma_f32 v[100:101], v[94:95], v[52:53], v[100:101] op_sel_hi:[1,1,0] neg_lo:[0,0,1] neg_hi:[0,0,1]
	v_mul_f32_e32 v94, v95, v96
	v_pk_add_f32 v[46:47], v[46:47], v[102:103] neg_lo:[0,1] neg_hi:[0,1]
	s_delay_alu instid0(VALU_DEP_2) | instskip(NEXT) | instid1(VALU_DEP_1)
	v_pk_fma_f32 v[92:93], v[92:93], v[52:53], v[94:95] op_sel_hi:[1,1,0]
	v_mov_b32_e32 v101, v93
	ds_load_2addr_b64 v[92:95], v112 offset0:13 offset1:14
	v_pk_add_f32 v[64:65], v[64:65], v[100:101] neg_lo:[0,1] neg_hi:[0,1]
	s_wait_dscnt 0x0
	v_pk_mul_f32 v[100:101], v[92:93], v[98:99] op_sel:[0,1]
	s_delay_alu instid0(VALU_DEP_1) | instskip(SKIP_1) | instid1(VALU_DEP_1)
	v_pk_fma_f32 v[102:103], v[92:93], v[96:97], v[100:101] op_sel:[0,0,1] op_sel_hi:[1,1,0] neg_lo:[0,0,1] neg_hi:[0,0,1]
	v_pk_fma_f32 v[92:93], v[92:93], v[96:97], v[100:101] op_sel:[0,0,1] op_sel_hi:[1,0,0]
	v_mov_b32_e32 v103, v93
	v_pk_mul_f32 v[92:93], v[94:95], v[98:99] op_sel:[0,1]
	s_delay_alu instid0(VALU_DEP_1) | instskip(SKIP_1) | instid1(VALU_DEP_1)
	v_pk_fma_f32 v[100:101], v[94:95], v[96:97], v[92:93] op_sel:[0,0,1] op_sel_hi:[1,1,0] neg_lo:[0,0,1] neg_hi:[0,0,1]
	v_pk_fma_f32 v[92:93], v[94:95], v[96:97], v[92:93] op_sel:[0,0,1] op_sel_hi:[1,0,0]
	v_mov_b32_e32 v101, v93
	ds_load_2addr_b64 v[92:95], v112 offset0:15 offset1:16
	v_pk_add_f32 v[62:63], v[62:63], v[102:103] neg_lo:[0,1] neg_hi:[0,1]
	v_pk_add_f32 v[72:73], v[72:73], v[100:101] neg_lo:[0,1] neg_hi:[0,1]
	s_wait_dscnt 0x0
	v_pk_mul_f32 v[100:101], v[92:93], v[98:99] op_sel:[0,1]
	s_delay_alu instid0(VALU_DEP_1) | instskip(SKIP_1) | instid1(VALU_DEP_1)
	v_pk_fma_f32 v[102:103], v[92:93], v[96:97], v[100:101] op_sel:[0,0,1] op_sel_hi:[1,1,0] neg_lo:[0,0,1] neg_hi:[0,0,1]
	v_pk_fma_f32 v[92:93], v[92:93], v[96:97], v[100:101] op_sel:[0,0,1] op_sel_hi:[1,0,0]
	v_mov_b32_e32 v103, v93
	v_pk_mul_f32 v[92:93], v[94:95], v[98:99] op_sel:[0,1]
	s_delay_alu instid0(VALU_DEP_1) | instskip(SKIP_1) | instid1(VALU_DEP_1)
	v_pk_fma_f32 v[100:101], v[94:95], v[96:97], v[92:93] op_sel:[0,0,1] op_sel_hi:[1,1,0] neg_lo:[0,0,1] neg_hi:[0,0,1]
	v_pk_fma_f32 v[92:93], v[94:95], v[96:97], v[92:93] op_sel:[0,0,1] op_sel_hi:[1,0,0]
	v_mov_b32_e32 v101, v93
	ds_load_b64 v[92:93], v112 offset:136
	v_pk_add_f32 v[68:69], v[68:69], v[102:103] neg_lo:[0,1] neg_hi:[0,1]
	v_pk_add_f32 v[66:67], v[66:67], v[100:101] neg_lo:[0,1] neg_hi:[0,1]
	s_wait_dscnt 0x0
	v_pk_mul_f32 v[94:95], v[92:93], v[98:99] op_sel:[0,1]
	s_delay_alu instid0(VALU_DEP_1) | instskip(SKIP_1) | instid1(VALU_DEP_1)
	v_pk_fma_f32 v[98:99], v[92:93], v[96:97], v[94:95] op_sel:[0,0,1] op_sel_hi:[1,1,0] neg_lo:[0,0,1] neg_hi:[0,0,1]
	v_pk_fma_f32 v[92:93], v[92:93], v[96:97], v[94:95] op_sel:[0,0,1] op_sel_hi:[1,0,0]
	v_mov_b32_e32 v99, v93
	s_delay_alu instid0(VALU_DEP_1)
	v_pk_add_f32 v[70:71], v[70:71], v[98:99] neg_lo:[0,1] neg_hi:[0,1]
.LBB35_82:
	s_or_b32 exec_lo, exec_lo, s1
	s_delay_alu instid0(SALU_CYCLE_1)
	s_mov_b32 s2, exec_lo
	s_wait_dscnt 0x0
	s_barrier_signal -1
	s_barrier_wait -1
	v_cmpx_eq_u32_e32 9, v110
	s_cbranch_execz .LBB35_89
; %bb.83:
	v_dual_mov_b32 v92, v50 :: v_dual_mov_b32 v93, v51
	v_dual_mov_b32 v94, v46 :: v_dual_mov_b32 v95, v47
	;; [unrolled: 1-line block ×7, first 2 shown]
	ds_store_b64 v111, v[48:49]
	ds_store_2addr_b64 v112, v[92:93], v[94:95] offset0:10 offset1:11
	ds_store_2addr_b64 v112, v[96:97], v[98:99] offset0:12 offset1:13
	;; [unrolled: 1-line block ×4, first 2 shown]
	ds_load_b64 v[92:93], v111
	s_wait_dscnt 0x0
	v_cmp_neq_f32_e32 vcc_lo, 0, v92
	v_cmp_neq_f32_e64 s1, 0, v93
	s_or_b32 s1, vcc_lo, s1
	s_delay_alu instid0(SALU_CYCLE_1)
	s_and_b32 exec_lo, exec_lo, s1
	s_cbranch_execz .LBB35_89
; %bb.84:
	v_cmp_ngt_f32_e64 s1, |v92|, |v93|
                                        ; implicit-def: $vgpr94_vgpr95
	s_and_saveexec_b32 s4, s1
	s_delay_alu instid0(SALU_CYCLE_1)
	s_xor_b32 s1, exec_lo, s4
	s_cbranch_execz .LBB35_86
; %bb.85:
	v_div_scale_f32 v94, null, v93, v93, v92
	v_div_scale_f32 v97, vcc_lo, v92, v93, v92
	s_delay_alu instid0(VALU_DEP_2) | instskip(SKIP_1) | instid1(TRANS32_DEP_1)
	v_rcp_f32_e32 v95, v94
	v_nop
	v_fma_f32 v96, -v94, v95, 1.0
	s_delay_alu instid0(VALU_DEP_1) | instskip(NEXT) | instid1(VALU_DEP_1)
	v_fmac_f32_e32 v95, v96, v95
	v_mul_f32_e32 v96, v97, v95
	s_delay_alu instid0(VALU_DEP_1) | instskip(NEXT) | instid1(VALU_DEP_1)
	v_fma_f32 v98, -v94, v96, v97
	v_fmac_f32_e32 v96, v98, v95
	s_delay_alu instid0(VALU_DEP_1) | instskip(NEXT) | instid1(VALU_DEP_1)
	v_fma_f32 v94, -v94, v96, v97
	v_div_fmas_f32 v94, v94, v95, v96
	s_delay_alu instid0(VALU_DEP_1) | instskip(NEXT) | instid1(VALU_DEP_1)
	v_div_fixup_f32 v94, v94, v93, v92
	v_fmac_f32_e32 v93, v92, v94
	s_delay_alu instid0(VALU_DEP_1) | instskip(SKIP_1) | instid1(VALU_DEP_2)
	v_div_scale_f32 v92, null, v93, v93, 1.0
	v_div_scale_f32 v97, vcc_lo, 1.0, v93, 1.0
	v_rcp_f32_e32 v95, v92
	v_nop
	s_delay_alu instid0(TRANS32_DEP_1) | instskip(NEXT) | instid1(VALU_DEP_1)
	v_fma_f32 v96, -v92, v95, 1.0
	v_fmac_f32_e32 v95, v96, v95
	s_delay_alu instid0(VALU_DEP_1) | instskip(NEXT) | instid1(VALU_DEP_1)
	v_mul_f32_e32 v96, v97, v95
	v_fma_f32 v98, -v92, v96, v97
	s_delay_alu instid0(VALU_DEP_1) | instskip(NEXT) | instid1(VALU_DEP_1)
	v_fmac_f32_e32 v96, v98, v95
	v_fma_f32 v92, -v92, v96, v97
	s_delay_alu instid0(VALU_DEP_1) | instskip(NEXT) | instid1(VALU_DEP_1)
	v_div_fmas_f32 v92, v92, v95, v96
	v_div_fixup_f32 v92, v92, v93, 1.0
	s_delay_alu instid0(VALU_DEP_1)
	v_mul_f32_e32 v94, v94, v92
	v_xor_b32_e32 v95, 0x80000000, v92
                                        ; implicit-def: $vgpr92_vgpr93
.LBB35_86:
	s_and_not1_saveexec_b32 s1, s1
	s_cbranch_execz .LBB35_88
; %bb.87:
	v_div_scale_f32 v94, null, v92, v92, v93
	v_div_scale_f32 v97, vcc_lo, v93, v92, v93
	s_delay_alu instid0(VALU_DEP_2) | instskip(SKIP_1) | instid1(TRANS32_DEP_1)
	v_rcp_f32_e32 v95, v94
	v_nop
	v_fma_f32 v96, -v94, v95, 1.0
	s_delay_alu instid0(VALU_DEP_1) | instskip(NEXT) | instid1(VALU_DEP_1)
	v_fmac_f32_e32 v95, v96, v95
	v_mul_f32_e32 v96, v97, v95
	s_delay_alu instid0(VALU_DEP_1) | instskip(NEXT) | instid1(VALU_DEP_1)
	v_fma_f32 v98, -v94, v96, v97
	v_fmac_f32_e32 v96, v98, v95
	s_delay_alu instid0(VALU_DEP_1) | instskip(NEXT) | instid1(VALU_DEP_1)
	v_fma_f32 v94, -v94, v96, v97
	v_div_fmas_f32 v94, v94, v95, v96
	s_delay_alu instid0(VALU_DEP_1) | instskip(NEXT) | instid1(VALU_DEP_1)
	v_div_fixup_f32 v95, v94, v92, v93
	v_fmac_f32_e32 v92, v93, v95
	s_delay_alu instid0(VALU_DEP_1) | instskip(NEXT) | instid1(VALU_DEP_1)
	v_div_scale_f32 v93, null, v92, v92, 1.0
	v_rcp_f32_e32 v94, v93
	v_nop
	s_delay_alu instid0(TRANS32_DEP_1) | instskip(NEXT) | instid1(VALU_DEP_1)
	v_fma_f32 v96, -v93, v94, 1.0
	v_fmac_f32_e32 v94, v96, v94
	v_div_scale_f32 v96, vcc_lo, 1.0, v92, 1.0
	s_delay_alu instid0(VALU_DEP_1) | instskip(NEXT) | instid1(VALU_DEP_1)
	v_mul_f32_e32 v97, v96, v94
	v_fma_f32 v98, -v93, v97, v96
	s_delay_alu instid0(VALU_DEP_1) | instskip(NEXT) | instid1(VALU_DEP_1)
	v_fmac_f32_e32 v97, v98, v94
	v_fma_f32 v93, -v93, v97, v96
	s_delay_alu instid0(VALU_DEP_1) | instskip(NEXT) | instid1(VALU_DEP_1)
	v_div_fmas_f32 v93, v93, v94, v97
	v_div_fixup_f32 v94, v93, v92, 1.0
	s_delay_alu instid0(VALU_DEP_1)
	v_mul_f32_e64 v95, v95, -v94
.LBB35_88:
	s_or_b32 exec_lo, exec_lo, s1
	ds_store_b64 v111, v[94:95]
.LBB35_89:
	s_or_b32 exec_lo, exec_lo, s2
	s_wait_dscnt 0x0
	s_barrier_signal -1
	s_barrier_wait -1
	ds_load_b64 v[92:93], v111
	s_mov_b32 s1, exec_lo
	v_cmpx_lt_u32_e32 9, v110
	s_cbranch_execz .LBB35_91
; %bb.90:
	s_wait_dscnt 0x0
	v_pk_mul_f32 v[94:95], v[92:93], v[48:49] op_sel:[1,1] op_sel_hi:[0,1]
	s_delay_alu instid0(VALU_DEP_1)
	v_pk_fma_f32 v[98:99], v[92:93], v[48:49], v[94:95] op_sel_hi:[1,0,1] neg_lo:[0,0,1] neg_hi:[0,0,1]
	v_pk_fma_f32 v[100:101], v[92:93], v[48:49], v[94:95] op_sel_hi:[1,0,1]
	ds_load_2addr_b64 v[94:97], v112 offset0:10 offset1:11
	v_dual_mov_b32 v48, v98 :: v_dual_mov_b32 v49, v101
	s_wait_dscnt 0x0
	v_pk_mul_f32 v[102:103], v[94:95], v[100:101] op_sel:[0,1]
	s_delay_alu instid0(VALU_DEP_1) | instskip(SKIP_1) | instid1(VALU_DEP_1)
	v_pk_fma_f32 v[104:105], v[94:95], v[98:99], v[102:103] op_sel:[0,0,1] op_sel_hi:[1,1,0] neg_lo:[0,0,1] neg_hi:[0,0,1]
	v_pk_fma_f32 v[94:95], v[94:95], v[98:99], v[102:103] op_sel:[0,0,1] op_sel_hi:[1,0,0]
	v_mov_b32_e32 v105, v95
	v_pk_mul_f32 v[94:95], v[96:97], v[100:101] op_sel:[0,1]
	s_delay_alu instid0(VALU_DEP_1) | instskip(SKIP_1) | instid1(VALU_DEP_1)
	v_pk_fma_f32 v[102:103], v[96:97], v[98:99], v[94:95] op_sel:[0,0,1] op_sel_hi:[1,1,0] neg_lo:[0,0,1] neg_hi:[0,0,1]
	v_pk_fma_f32 v[94:95], v[96:97], v[98:99], v[94:95] op_sel:[0,0,1] op_sel_hi:[1,0,0]
	v_mov_b32_e32 v103, v95
	ds_load_2addr_b64 v[94:97], v112 offset0:12 offset1:13
	v_pk_add_f32 v[50:51], v[50:51], v[104:105] neg_lo:[0,1] neg_hi:[0,1]
	v_pk_add_f32 v[46:47], v[46:47], v[102:103] neg_lo:[0,1] neg_hi:[0,1]
	s_wait_dscnt 0x0
	v_pk_mul_f32 v[102:103], v[94:95], v[100:101] op_sel:[0,1]
	s_delay_alu instid0(VALU_DEP_1) | instskip(SKIP_2) | instid1(VALU_DEP_2)
	v_pk_fma_f32 v[104:105], v[94:95], v[98:99], v[102:103] op_sel:[0,0,1] op_sel_hi:[1,1,0] neg_lo:[0,0,1] neg_hi:[0,0,1]
	v_pk_fma_f32 v[94:95], v[94:95], v[98:99], v[102:103] op_sel:[0,0,1] op_sel_hi:[1,0,0]
	v_dual_mul_f32 v102, v97, v101 :: v_dual_mov_b32 v94, v97
	v_dual_mov_b32 v105, v95 :: v_dual_mov_b32 v95, v96
	s_delay_alu instid0(VALU_DEP_2) | instskip(SKIP_1) | instid1(VALU_DEP_3)
	v_pk_fma_f32 v[102:103], v[96:97], v[48:49], v[102:103] op_sel_hi:[1,1,0] neg_lo:[0,0,1] neg_hi:[0,0,1]
	v_mul_f32_e32 v96, v97, v98
	v_pk_add_f32 v[64:65], v[64:65], v[104:105] neg_lo:[0,1] neg_hi:[0,1]
	s_delay_alu instid0(VALU_DEP_2) | instskip(NEXT) | instid1(VALU_DEP_1)
	v_pk_fma_f32 v[94:95], v[94:95], v[48:49], v[96:97] op_sel_hi:[1,1,0]
	v_mov_b32_e32 v103, v95
	ds_load_2addr_b64 v[94:97], v112 offset0:14 offset1:15
	v_pk_add_f32 v[62:63], v[62:63], v[102:103] neg_lo:[0,1] neg_hi:[0,1]
	s_wait_dscnt 0x0
	v_pk_mul_f32 v[102:103], v[94:95], v[100:101] op_sel:[0,1]
	s_delay_alu instid0(VALU_DEP_1) | instskip(SKIP_1) | instid1(VALU_DEP_1)
	v_pk_fma_f32 v[104:105], v[94:95], v[98:99], v[102:103] op_sel:[0,0,1] op_sel_hi:[1,1,0] neg_lo:[0,0,1] neg_hi:[0,0,1]
	v_pk_fma_f32 v[94:95], v[94:95], v[98:99], v[102:103] op_sel:[0,0,1] op_sel_hi:[1,0,0]
	v_mov_b32_e32 v105, v95
	v_pk_mul_f32 v[94:95], v[96:97], v[100:101] op_sel:[0,1]
	s_delay_alu instid0(VALU_DEP_1) | instskip(SKIP_1) | instid1(VALU_DEP_1)
	v_pk_fma_f32 v[102:103], v[96:97], v[98:99], v[94:95] op_sel:[0,0,1] op_sel_hi:[1,1,0] neg_lo:[0,0,1] neg_hi:[0,0,1]
	v_pk_fma_f32 v[94:95], v[96:97], v[98:99], v[94:95] op_sel:[0,0,1] op_sel_hi:[1,0,0]
	v_mov_b32_e32 v103, v95
	ds_load_2addr_b64 v[94:97], v112 offset0:16 offset1:17
	v_pk_add_f32 v[72:73], v[72:73], v[104:105] neg_lo:[0,1] neg_hi:[0,1]
	v_pk_add_f32 v[68:69], v[68:69], v[102:103] neg_lo:[0,1] neg_hi:[0,1]
	s_wait_dscnt 0x0
	v_pk_mul_f32 v[102:103], v[94:95], v[100:101] op_sel:[0,1]
	s_delay_alu instid0(VALU_DEP_1) | instskip(SKIP_1) | instid1(VALU_DEP_1)
	v_pk_fma_f32 v[104:105], v[94:95], v[98:99], v[102:103] op_sel:[0,0,1] op_sel_hi:[1,1,0] neg_lo:[0,0,1] neg_hi:[0,0,1]
	v_pk_fma_f32 v[94:95], v[94:95], v[98:99], v[102:103] op_sel:[0,0,1] op_sel_hi:[1,0,0]
	v_mov_b32_e32 v105, v95
	v_pk_mul_f32 v[94:95], v[96:97], v[100:101] op_sel:[0,1]
	s_delay_alu instid0(VALU_DEP_1) | instskip(SKIP_1) | instid1(VALU_DEP_1)
	v_pk_fma_f32 v[100:101], v[96:97], v[98:99], v[94:95] op_sel:[0,0,1] op_sel_hi:[1,1,0] neg_lo:[0,0,1] neg_hi:[0,0,1]
	v_pk_fma_f32 v[94:95], v[96:97], v[98:99], v[94:95] op_sel:[0,0,1] op_sel_hi:[1,0,0]
	v_mov_b32_e32 v101, v95
	v_pk_add_f32 v[66:67], v[66:67], v[104:105] neg_lo:[0,1] neg_hi:[0,1]
	s_delay_alu instid0(VALU_DEP_2)
	v_pk_add_f32 v[70:71], v[70:71], v[100:101] neg_lo:[0,1] neg_hi:[0,1]
.LBB35_91:
	s_or_b32 exec_lo, exec_lo, s1
	s_delay_alu instid0(SALU_CYCLE_1)
	s_mov_b32 s2, exec_lo
	s_wait_dscnt 0x0
	s_barrier_signal -1
	s_barrier_wait -1
	v_cmpx_eq_u32_e32 10, v110
	s_cbranch_execz .LBB35_98
; %bb.92:
	ds_store_b64 v111, v[50:51]
	ds_store_2addr_b64 v112, v[46:47], v[64:65] offset0:11 offset1:12
	ds_store_2addr_b64 v112, v[62:63], v[72:73] offset0:13 offset1:14
	;; [unrolled: 1-line block ×3, first 2 shown]
	ds_store_b64 v112, v[70:71] offset:136
	ds_load_b64 v[94:95], v111
	s_wait_dscnt 0x0
	v_cmp_neq_f32_e32 vcc_lo, 0, v94
	v_cmp_neq_f32_e64 s1, 0, v95
	s_or_b32 s1, vcc_lo, s1
	s_delay_alu instid0(SALU_CYCLE_1)
	s_and_b32 exec_lo, exec_lo, s1
	s_cbranch_execz .LBB35_98
; %bb.93:
	v_cmp_ngt_f32_e64 s1, |v94|, |v95|
                                        ; implicit-def: $vgpr96_vgpr97
	s_and_saveexec_b32 s4, s1
	s_delay_alu instid0(SALU_CYCLE_1)
	s_xor_b32 s1, exec_lo, s4
	s_cbranch_execz .LBB35_95
; %bb.94:
	v_div_scale_f32 v96, null, v95, v95, v94
	v_div_scale_f32 v99, vcc_lo, v94, v95, v94
	s_delay_alu instid0(VALU_DEP_2) | instskip(SKIP_1) | instid1(TRANS32_DEP_1)
	v_rcp_f32_e32 v97, v96
	v_nop
	v_fma_f32 v98, -v96, v97, 1.0
	s_delay_alu instid0(VALU_DEP_1) | instskip(NEXT) | instid1(VALU_DEP_1)
	v_fmac_f32_e32 v97, v98, v97
	v_mul_f32_e32 v98, v99, v97
	s_delay_alu instid0(VALU_DEP_1) | instskip(NEXT) | instid1(VALU_DEP_1)
	v_fma_f32 v100, -v96, v98, v99
	v_fmac_f32_e32 v98, v100, v97
	s_delay_alu instid0(VALU_DEP_1) | instskip(NEXT) | instid1(VALU_DEP_1)
	v_fma_f32 v96, -v96, v98, v99
	v_div_fmas_f32 v96, v96, v97, v98
	s_delay_alu instid0(VALU_DEP_1) | instskip(NEXT) | instid1(VALU_DEP_1)
	v_div_fixup_f32 v96, v96, v95, v94
	v_fmac_f32_e32 v95, v94, v96
	s_delay_alu instid0(VALU_DEP_1) | instskip(SKIP_1) | instid1(VALU_DEP_2)
	v_div_scale_f32 v94, null, v95, v95, 1.0
	v_div_scale_f32 v99, vcc_lo, 1.0, v95, 1.0
	v_rcp_f32_e32 v97, v94
	v_nop
	s_delay_alu instid0(TRANS32_DEP_1) | instskip(NEXT) | instid1(VALU_DEP_1)
	v_fma_f32 v98, -v94, v97, 1.0
	v_fmac_f32_e32 v97, v98, v97
	s_delay_alu instid0(VALU_DEP_1) | instskip(NEXT) | instid1(VALU_DEP_1)
	v_mul_f32_e32 v98, v99, v97
	v_fma_f32 v100, -v94, v98, v99
	s_delay_alu instid0(VALU_DEP_1) | instskip(NEXT) | instid1(VALU_DEP_1)
	v_fmac_f32_e32 v98, v100, v97
	v_fma_f32 v94, -v94, v98, v99
	s_delay_alu instid0(VALU_DEP_1) | instskip(NEXT) | instid1(VALU_DEP_1)
	v_div_fmas_f32 v94, v94, v97, v98
	v_div_fixup_f32 v94, v94, v95, 1.0
	s_delay_alu instid0(VALU_DEP_1)
	v_mul_f32_e32 v96, v96, v94
	v_xor_b32_e32 v97, 0x80000000, v94
                                        ; implicit-def: $vgpr94_vgpr95
.LBB35_95:
	s_and_not1_saveexec_b32 s1, s1
	s_cbranch_execz .LBB35_97
; %bb.96:
	v_div_scale_f32 v96, null, v94, v94, v95
	v_div_scale_f32 v99, vcc_lo, v95, v94, v95
	s_delay_alu instid0(VALU_DEP_2) | instskip(SKIP_1) | instid1(TRANS32_DEP_1)
	v_rcp_f32_e32 v97, v96
	v_nop
	v_fma_f32 v98, -v96, v97, 1.0
	s_delay_alu instid0(VALU_DEP_1) | instskip(NEXT) | instid1(VALU_DEP_1)
	v_fmac_f32_e32 v97, v98, v97
	v_mul_f32_e32 v98, v99, v97
	s_delay_alu instid0(VALU_DEP_1) | instskip(NEXT) | instid1(VALU_DEP_1)
	v_fma_f32 v100, -v96, v98, v99
	v_fmac_f32_e32 v98, v100, v97
	s_delay_alu instid0(VALU_DEP_1) | instskip(NEXT) | instid1(VALU_DEP_1)
	v_fma_f32 v96, -v96, v98, v99
	v_div_fmas_f32 v96, v96, v97, v98
	s_delay_alu instid0(VALU_DEP_1) | instskip(NEXT) | instid1(VALU_DEP_1)
	v_div_fixup_f32 v97, v96, v94, v95
	v_fmac_f32_e32 v94, v95, v97
	s_delay_alu instid0(VALU_DEP_1) | instskip(NEXT) | instid1(VALU_DEP_1)
	v_div_scale_f32 v95, null, v94, v94, 1.0
	v_rcp_f32_e32 v96, v95
	v_nop
	s_delay_alu instid0(TRANS32_DEP_1) | instskip(NEXT) | instid1(VALU_DEP_1)
	v_fma_f32 v98, -v95, v96, 1.0
	v_fmac_f32_e32 v96, v98, v96
	v_div_scale_f32 v98, vcc_lo, 1.0, v94, 1.0
	s_delay_alu instid0(VALU_DEP_1) | instskip(NEXT) | instid1(VALU_DEP_1)
	v_mul_f32_e32 v99, v98, v96
	v_fma_f32 v100, -v95, v99, v98
	s_delay_alu instid0(VALU_DEP_1) | instskip(NEXT) | instid1(VALU_DEP_1)
	v_fmac_f32_e32 v99, v100, v96
	v_fma_f32 v95, -v95, v99, v98
	s_delay_alu instid0(VALU_DEP_1) | instskip(NEXT) | instid1(VALU_DEP_1)
	v_div_fmas_f32 v95, v95, v96, v99
	v_div_fixup_f32 v96, v95, v94, 1.0
	s_delay_alu instid0(VALU_DEP_1)
	v_mul_f32_e64 v97, v97, -v96
.LBB35_97:
	s_or_b32 exec_lo, exec_lo, s1
	ds_store_b64 v111, v[96:97]
.LBB35_98:
	s_or_b32 exec_lo, exec_lo, s2
	s_wait_dscnt 0x0
	s_barrier_signal -1
	s_barrier_wait -1
	ds_load_b64 v[94:95], v111
	s_mov_b32 s1, exec_lo
	v_cmpx_lt_u32_e32 10, v110
	s_cbranch_execz .LBB35_100
; %bb.99:
	s_wait_dscnt 0x0
	v_pk_mul_f32 v[96:97], v[94:95], v[50:51] op_sel:[1,1] op_sel_hi:[0,1]
	s_delay_alu instid0(VALU_DEP_1)
	v_pk_fma_f32 v[100:101], v[94:95], v[50:51], v[96:97] op_sel_hi:[1,0,1] neg_lo:[0,0,1] neg_hi:[0,0,1]
	v_pk_fma_f32 v[102:103], v[94:95], v[50:51], v[96:97] op_sel_hi:[1,0,1]
	ds_load_2addr_b64 v[96:99], v112 offset0:11 offset1:12
	v_dual_mov_b32 v50, v100 :: v_dual_mov_b32 v51, v103
	s_wait_dscnt 0x0
	v_pk_mul_f32 v[104:105], v[96:97], v[102:103] op_sel:[0,1]
	s_delay_alu instid0(VALU_DEP_1) | instskip(SKIP_1) | instid1(VALU_DEP_1)
	v_pk_fma_f32 v[106:107], v[96:97], v[100:101], v[104:105] op_sel:[0,0,1] op_sel_hi:[1,1,0] neg_lo:[0,0,1] neg_hi:[0,0,1]
	v_pk_fma_f32 v[96:97], v[96:97], v[100:101], v[104:105] op_sel:[0,0,1] op_sel_hi:[1,0,0]
	v_mov_b32_e32 v107, v97
	v_pk_mul_f32 v[96:97], v[98:99], v[102:103] op_sel:[0,1]
	s_delay_alu instid0(VALU_DEP_1) | instskip(SKIP_1) | instid1(VALU_DEP_1)
	v_pk_fma_f32 v[104:105], v[98:99], v[100:101], v[96:97] op_sel:[0,0,1] op_sel_hi:[1,1,0] neg_lo:[0,0,1] neg_hi:[0,0,1]
	v_pk_fma_f32 v[96:97], v[98:99], v[100:101], v[96:97] op_sel:[0,0,1] op_sel_hi:[1,0,0]
	v_mov_b32_e32 v105, v97
	ds_load_2addr_b64 v[96:99], v112 offset0:13 offset1:14
	v_pk_add_f32 v[46:47], v[46:47], v[106:107] neg_lo:[0,1] neg_hi:[0,1]
	v_pk_add_f32 v[64:65], v[64:65], v[104:105] neg_lo:[0,1] neg_hi:[0,1]
	s_wait_dscnt 0x0
	v_pk_mul_f32 v[104:105], v[96:97], v[102:103] op_sel:[0,1]
	s_delay_alu instid0(VALU_DEP_1) | instskip(SKIP_2) | instid1(VALU_DEP_2)
	v_pk_fma_f32 v[106:107], v[96:97], v[100:101], v[104:105] op_sel:[0,0,1] op_sel_hi:[1,1,0] neg_lo:[0,0,1] neg_hi:[0,0,1]
	v_pk_fma_f32 v[96:97], v[96:97], v[100:101], v[104:105] op_sel:[0,0,1] op_sel_hi:[1,0,0]
	v_dual_mul_f32 v104, v99, v103 :: v_dual_mov_b32 v96, v99
	v_dual_mov_b32 v107, v97 :: v_dual_mov_b32 v97, v98
	s_delay_alu instid0(VALU_DEP_2) | instskip(SKIP_1) | instid1(VALU_DEP_3)
	v_pk_fma_f32 v[104:105], v[98:99], v[50:51], v[104:105] op_sel_hi:[1,1,0] neg_lo:[0,0,1] neg_hi:[0,0,1]
	v_mul_f32_e32 v98, v99, v100
	v_pk_add_f32 v[62:63], v[62:63], v[106:107] neg_lo:[0,1] neg_hi:[0,1]
	s_delay_alu instid0(VALU_DEP_2) | instskip(NEXT) | instid1(VALU_DEP_1)
	v_pk_fma_f32 v[96:97], v[96:97], v[50:51], v[98:99] op_sel_hi:[1,1,0]
	v_mov_b32_e32 v105, v97
	ds_load_2addr_b64 v[96:99], v112 offset0:15 offset1:16
	v_pk_add_f32 v[72:73], v[72:73], v[104:105] neg_lo:[0,1] neg_hi:[0,1]
	s_wait_dscnt 0x0
	v_pk_mul_f32 v[104:105], v[96:97], v[102:103] op_sel:[0,1]
	s_delay_alu instid0(VALU_DEP_1) | instskip(SKIP_1) | instid1(VALU_DEP_1)
	v_pk_fma_f32 v[106:107], v[96:97], v[100:101], v[104:105] op_sel:[0,0,1] op_sel_hi:[1,1,0] neg_lo:[0,0,1] neg_hi:[0,0,1]
	v_pk_fma_f32 v[96:97], v[96:97], v[100:101], v[104:105] op_sel:[0,0,1] op_sel_hi:[1,0,0]
	v_mov_b32_e32 v107, v97
	v_pk_mul_f32 v[96:97], v[98:99], v[102:103] op_sel:[0,1]
	s_delay_alu instid0(VALU_DEP_1) | instskip(SKIP_1) | instid1(VALU_DEP_1)
	v_pk_fma_f32 v[104:105], v[98:99], v[100:101], v[96:97] op_sel:[0,0,1] op_sel_hi:[1,1,0] neg_lo:[0,0,1] neg_hi:[0,0,1]
	v_pk_fma_f32 v[96:97], v[98:99], v[100:101], v[96:97] op_sel:[0,0,1] op_sel_hi:[1,0,0]
	v_mov_b32_e32 v105, v97
	ds_load_b64 v[96:97], v112 offset:136
	v_pk_add_f32 v[68:69], v[68:69], v[106:107] neg_lo:[0,1] neg_hi:[0,1]
	v_pk_add_f32 v[66:67], v[66:67], v[104:105] neg_lo:[0,1] neg_hi:[0,1]
	s_wait_dscnt 0x0
	v_pk_mul_f32 v[98:99], v[96:97], v[102:103] op_sel:[0,1]
	s_delay_alu instid0(VALU_DEP_1) | instskip(SKIP_1) | instid1(VALU_DEP_1)
	v_pk_fma_f32 v[102:103], v[96:97], v[100:101], v[98:99] op_sel:[0,0,1] op_sel_hi:[1,1,0] neg_lo:[0,0,1] neg_hi:[0,0,1]
	v_pk_fma_f32 v[96:97], v[96:97], v[100:101], v[98:99] op_sel:[0,0,1] op_sel_hi:[1,0,0]
	v_mov_b32_e32 v103, v97
	s_delay_alu instid0(VALU_DEP_1)
	v_pk_add_f32 v[70:71], v[70:71], v[102:103] neg_lo:[0,1] neg_hi:[0,1]
.LBB35_100:
	s_or_b32 exec_lo, exec_lo, s1
	s_delay_alu instid0(SALU_CYCLE_1)
	s_mov_b32 s2, exec_lo
	s_wait_dscnt 0x0
	s_barrier_signal -1
	s_barrier_wait -1
	v_cmpx_eq_u32_e32 11, v110
	s_cbranch_execz .LBB35_107
; %bb.101:
	v_dual_mov_b32 v96, v64 :: v_dual_mov_b32 v97, v65
	v_dual_mov_b32 v98, v62 :: v_dual_mov_b32 v99, v63
	;; [unrolled: 1-line block ×5, first 2 shown]
	ds_store_b64 v111, v[46:47]
	ds_store_2addr_b64 v112, v[96:97], v[98:99] offset0:12 offset1:13
	ds_store_2addr_b64 v112, v[100:101], v[102:103] offset0:14 offset1:15
	;; [unrolled: 1-line block ×3, first 2 shown]
	ds_load_b64 v[96:97], v111
	s_wait_dscnt 0x0
	v_cmp_neq_f32_e32 vcc_lo, 0, v96
	v_cmp_neq_f32_e64 s1, 0, v97
	s_or_b32 s1, vcc_lo, s1
	s_delay_alu instid0(SALU_CYCLE_1)
	s_and_b32 exec_lo, exec_lo, s1
	s_cbranch_execz .LBB35_107
; %bb.102:
	v_cmp_ngt_f32_e64 s1, |v96|, |v97|
                                        ; implicit-def: $vgpr98_vgpr99
	s_and_saveexec_b32 s4, s1
	s_delay_alu instid0(SALU_CYCLE_1)
	s_xor_b32 s1, exec_lo, s4
	s_cbranch_execz .LBB35_104
; %bb.103:
	v_div_scale_f32 v98, null, v97, v97, v96
	v_div_scale_f32 v101, vcc_lo, v96, v97, v96
	s_delay_alu instid0(VALU_DEP_2) | instskip(SKIP_1) | instid1(TRANS32_DEP_1)
	v_rcp_f32_e32 v99, v98
	v_nop
	v_fma_f32 v100, -v98, v99, 1.0
	s_delay_alu instid0(VALU_DEP_1) | instskip(NEXT) | instid1(VALU_DEP_1)
	v_fmac_f32_e32 v99, v100, v99
	v_mul_f32_e32 v100, v101, v99
	s_delay_alu instid0(VALU_DEP_1) | instskip(NEXT) | instid1(VALU_DEP_1)
	v_fma_f32 v102, -v98, v100, v101
	v_fmac_f32_e32 v100, v102, v99
	s_delay_alu instid0(VALU_DEP_1) | instskip(NEXT) | instid1(VALU_DEP_1)
	v_fma_f32 v98, -v98, v100, v101
	v_div_fmas_f32 v98, v98, v99, v100
	s_delay_alu instid0(VALU_DEP_1) | instskip(NEXT) | instid1(VALU_DEP_1)
	v_div_fixup_f32 v98, v98, v97, v96
	v_fmac_f32_e32 v97, v96, v98
	s_delay_alu instid0(VALU_DEP_1) | instskip(SKIP_1) | instid1(VALU_DEP_2)
	v_div_scale_f32 v96, null, v97, v97, 1.0
	v_div_scale_f32 v101, vcc_lo, 1.0, v97, 1.0
	v_rcp_f32_e32 v99, v96
	v_nop
	s_delay_alu instid0(TRANS32_DEP_1) | instskip(NEXT) | instid1(VALU_DEP_1)
	v_fma_f32 v100, -v96, v99, 1.0
	v_fmac_f32_e32 v99, v100, v99
	s_delay_alu instid0(VALU_DEP_1) | instskip(NEXT) | instid1(VALU_DEP_1)
	v_mul_f32_e32 v100, v101, v99
	v_fma_f32 v102, -v96, v100, v101
	s_delay_alu instid0(VALU_DEP_1) | instskip(NEXT) | instid1(VALU_DEP_1)
	v_fmac_f32_e32 v100, v102, v99
	v_fma_f32 v96, -v96, v100, v101
	s_delay_alu instid0(VALU_DEP_1) | instskip(NEXT) | instid1(VALU_DEP_1)
	v_div_fmas_f32 v96, v96, v99, v100
	v_div_fixup_f32 v96, v96, v97, 1.0
	s_delay_alu instid0(VALU_DEP_1)
	v_mul_f32_e32 v98, v98, v96
	v_xor_b32_e32 v99, 0x80000000, v96
                                        ; implicit-def: $vgpr96_vgpr97
.LBB35_104:
	s_and_not1_saveexec_b32 s1, s1
	s_cbranch_execz .LBB35_106
; %bb.105:
	v_div_scale_f32 v98, null, v96, v96, v97
	v_div_scale_f32 v101, vcc_lo, v97, v96, v97
	s_delay_alu instid0(VALU_DEP_2) | instskip(SKIP_1) | instid1(TRANS32_DEP_1)
	v_rcp_f32_e32 v99, v98
	v_nop
	v_fma_f32 v100, -v98, v99, 1.0
	s_delay_alu instid0(VALU_DEP_1) | instskip(NEXT) | instid1(VALU_DEP_1)
	v_fmac_f32_e32 v99, v100, v99
	v_mul_f32_e32 v100, v101, v99
	s_delay_alu instid0(VALU_DEP_1) | instskip(NEXT) | instid1(VALU_DEP_1)
	v_fma_f32 v102, -v98, v100, v101
	v_fmac_f32_e32 v100, v102, v99
	s_delay_alu instid0(VALU_DEP_1) | instskip(NEXT) | instid1(VALU_DEP_1)
	v_fma_f32 v98, -v98, v100, v101
	v_div_fmas_f32 v98, v98, v99, v100
	s_delay_alu instid0(VALU_DEP_1) | instskip(NEXT) | instid1(VALU_DEP_1)
	v_div_fixup_f32 v99, v98, v96, v97
	v_fmac_f32_e32 v96, v97, v99
	s_delay_alu instid0(VALU_DEP_1) | instskip(NEXT) | instid1(VALU_DEP_1)
	v_div_scale_f32 v97, null, v96, v96, 1.0
	v_rcp_f32_e32 v98, v97
	v_nop
	s_delay_alu instid0(TRANS32_DEP_1) | instskip(NEXT) | instid1(VALU_DEP_1)
	v_fma_f32 v100, -v97, v98, 1.0
	v_fmac_f32_e32 v98, v100, v98
	v_div_scale_f32 v100, vcc_lo, 1.0, v96, 1.0
	s_delay_alu instid0(VALU_DEP_1) | instskip(NEXT) | instid1(VALU_DEP_1)
	v_mul_f32_e32 v101, v100, v98
	v_fma_f32 v102, -v97, v101, v100
	s_delay_alu instid0(VALU_DEP_1) | instskip(NEXT) | instid1(VALU_DEP_1)
	v_fmac_f32_e32 v101, v102, v98
	v_fma_f32 v97, -v97, v101, v100
	s_delay_alu instid0(VALU_DEP_1) | instskip(NEXT) | instid1(VALU_DEP_1)
	v_div_fmas_f32 v97, v97, v98, v101
	v_div_fixup_f32 v98, v97, v96, 1.0
	s_delay_alu instid0(VALU_DEP_1)
	v_mul_f32_e64 v99, v99, -v98
.LBB35_106:
	s_or_b32 exec_lo, exec_lo, s1
	ds_store_b64 v111, v[98:99]
.LBB35_107:
	s_or_b32 exec_lo, exec_lo, s2
	s_wait_dscnt 0x0
	s_barrier_signal -1
	s_barrier_wait -1
	ds_load_b64 v[96:97], v111
	s_mov_b32 s1, exec_lo
	v_cmpx_lt_u32_e32 11, v110
	s_cbranch_execz .LBB35_109
; %bb.108:
	s_wait_dscnt 0x0
	v_pk_mul_f32 v[98:99], v[96:97], v[46:47] op_sel:[1,1] op_sel_hi:[0,1]
	s_delay_alu instid0(VALU_DEP_1)
	v_pk_fma_f32 v[102:103], v[96:97], v[46:47], v[98:99] op_sel_hi:[1,0,1] neg_lo:[0,0,1] neg_hi:[0,0,1]
	v_pk_fma_f32 v[104:105], v[96:97], v[46:47], v[98:99] op_sel_hi:[1,0,1]
	ds_load_2addr_b64 v[98:101], v112 offset0:12 offset1:13
	v_dual_mov_b32 v46, v102 :: v_dual_mov_b32 v47, v105
	s_wait_dscnt 0x0
	v_pk_mul_f32 v[106:107], v[98:99], v[104:105] op_sel:[0,1]
	s_delay_alu instid0(VALU_DEP_1) | instskip(SKIP_1) | instid1(VALU_DEP_1)
	v_pk_fma_f32 v[108:109], v[98:99], v[102:103], v[106:107] op_sel:[0,0,1] op_sel_hi:[1,1,0] neg_lo:[0,0,1] neg_hi:[0,0,1]
	v_pk_fma_f32 v[98:99], v[98:99], v[102:103], v[106:107] op_sel:[0,0,1] op_sel_hi:[1,0,0]
	v_mov_b32_e32 v109, v99
	v_pk_mul_f32 v[98:99], v[100:101], v[104:105] op_sel:[0,1]
	s_delay_alu instid0(VALU_DEP_1) | instskip(SKIP_1) | instid1(VALU_DEP_1)
	v_pk_fma_f32 v[106:107], v[100:101], v[102:103], v[98:99] op_sel:[0,0,1] op_sel_hi:[1,1,0] neg_lo:[0,0,1] neg_hi:[0,0,1]
	v_pk_fma_f32 v[98:99], v[100:101], v[102:103], v[98:99] op_sel:[0,0,1] op_sel_hi:[1,0,0]
	v_mov_b32_e32 v107, v99
	ds_load_2addr_b64 v[98:101], v112 offset0:14 offset1:15
	v_pk_add_f32 v[64:65], v[64:65], v[108:109] neg_lo:[0,1] neg_hi:[0,1]
	v_pk_add_f32 v[62:63], v[62:63], v[106:107] neg_lo:[0,1] neg_hi:[0,1]
	s_wait_dscnt 0x0
	v_pk_mul_f32 v[106:107], v[98:99], v[104:105] op_sel:[0,1]
	s_delay_alu instid0(VALU_DEP_1) | instskip(SKIP_2) | instid1(VALU_DEP_2)
	v_pk_fma_f32 v[108:109], v[98:99], v[102:103], v[106:107] op_sel:[0,0,1] op_sel_hi:[1,1,0] neg_lo:[0,0,1] neg_hi:[0,0,1]
	v_pk_fma_f32 v[98:99], v[98:99], v[102:103], v[106:107] op_sel:[0,0,1] op_sel_hi:[1,0,0]
	v_dual_mul_f32 v106, v101, v105 :: v_dual_mov_b32 v98, v101
	v_dual_mov_b32 v109, v99 :: v_dual_mov_b32 v99, v100
	s_delay_alu instid0(VALU_DEP_2) | instskip(SKIP_1) | instid1(VALU_DEP_3)
	v_pk_fma_f32 v[106:107], v[100:101], v[46:47], v[106:107] op_sel_hi:[1,1,0] neg_lo:[0,0,1] neg_hi:[0,0,1]
	v_mul_f32_e32 v100, v101, v102
	v_pk_add_f32 v[72:73], v[72:73], v[108:109] neg_lo:[0,1] neg_hi:[0,1]
	s_delay_alu instid0(VALU_DEP_2) | instskip(NEXT) | instid1(VALU_DEP_1)
	v_pk_fma_f32 v[98:99], v[98:99], v[46:47], v[100:101] op_sel_hi:[1,1,0]
	v_mov_b32_e32 v107, v99
	ds_load_2addr_b64 v[98:101], v112 offset0:16 offset1:17
	v_pk_add_f32 v[68:69], v[68:69], v[106:107] neg_lo:[0,1] neg_hi:[0,1]
	s_wait_dscnt 0x0
	v_pk_mul_f32 v[106:107], v[98:99], v[104:105] op_sel:[0,1]
	v_mul_f32_e32 v104, v101, v105
	s_delay_alu instid0(VALU_DEP_2) | instskip(SKIP_2) | instid1(VALU_DEP_4)
	v_pk_fma_f32 v[108:109], v[98:99], v[102:103], v[106:107] op_sel:[0,0,1] op_sel_hi:[1,1,0] neg_lo:[0,0,1] neg_hi:[0,0,1]
	v_pk_fma_f32 v[98:99], v[98:99], v[102:103], v[106:107] op_sel:[0,0,1] op_sel_hi:[1,0,0]
	v_mov_b32_e32 v98, v101
	v_pk_fma_f32 v[104:105], v[100:101], v[46:47], v[104:105] op_sel_hi:[1,1,0] neg_lo:[0,0,1] neg_hi:[0,0,1]
	s_delay_alu instid0(VALU_DEP_3) | instskip(SKIP_1) | instid1(VALU_DEP_2)
	v_dual_mov_b32 v109, v99 :: v_dual_mov_b32 v99, v100
	v_mul_f32_e32 v100, v101, v102
	v_pk_add_f32 v[66:67], v[66:67], v[108:109] neg_lo:[0,1] neg_hi:[0,1]
	s_delay_alu instid0(VALU_DEP_2) | instskip(NEXT) | instid1(VALU_DEP_1)
	v_pk_fma_f32 v[98:99], v[98:99], v[46:47], v[100:101] op_sel_hi:[1,1,0]
	v_mov_b32_e32 v105, v99
	s_delay_alu instid0(VALU_DEP_1)
	v_pk_add_f32 v[70:71], v[70:71], v[104:105] neg_lo:[0,1] neg_hi:[0,1]
.LBB35_109:
	s_or_b32 exec_lo, exec_lo, s1
	s_delay_alu instid0(SALU_CYCLE_1)
	s_mov_b32 s2, exec_lo
	s_wait_dscnt 0x0
	s_barrier_signal -1
	s_barrier_wait -1
	v_cmpx_eq_u32_e32 12, v110
	s_cbranch_execz .LBB35_116
; %bb.110:
	ds_store_b64 v111, v[64:65]
	ds_store_2addr_b64 v112, v[62:63], v[72:73] offset0:13 offset1:14
	ds_store_2addr_b64 v112, v[68:69], v[66:67] offset0:15 offset1:16
	ds_store_b64 v112, v[70:71] offset:136
	ds_load_b64 v[98:99], v111
	s_wait_dscnt 0x0
	v_cmp_neq_f32_e32 vcc_lo, 0, v98
	v_cmp_neq_f32_e64 s1, 0, v99
	s_or_b32 s1, vcc_lo, s1
	s_delay_alu instid0(SALU_CYCLE_1)
	s_and_b32 exec_lo, exec_lo, s1
	s_cbranch_execz .LBB35_116
; %bb.111:
	v_cmp_ngt_f32_e64 s1, |v98|, |v99|
                                        ; implicit-def: $vgpr100_vgpr101
	s_and_saveexec_b32 s4, s1
	s_delay_alu instid0(SALU_CYCLE_1)
	s_xor_b32 s1, exec_lo, s4
	s_cbranch_execz .LBB35_113
; %bb.112:
	v_div_scale_f32 v100, null, v99, v99, v98
	v_div_scale_f32 v103, vcc_lo, v98, v99, v98
	s_delay_alu instid0(VALU_DEP_2) | instskip(SKIP_1) | instid1(TRANS32_DEP_1)
	v_rcp_f32_e32 v101, v100
	v_nop
	v_fma_f32 v102, -v100, v101, 1.0
	s_delay_alu instid0(VALU_DEP_1) | instskip(NEXT) | instid1(VALU_DEP_1)
	v_fmac_f32_e32 v101, v102, v101
	v_mul_f32_e32 v102, v103, v101
	s_delay_alu instid0(VALU_DEP_1) | instskip(NEXT) | instid1(VALU_DEP_1)
	v_fma_f32 v104, -v100, v102, v103
	v_fmac_f32_e32 v102, v104, v101
	s_delay_alu instid0(VALU_DEP_1) | instskip(NEXT) | instid1(VALU_DEP_1)
	v_fma_f32 v100, -v100, v102, v103
	v_div_fmas_f32 v100, v100, v101, v102
	s_delay_alu instid0(VALU_DEP_1) | instskip(NEXT) | instid1(VALU_DEP_1)
	v_div_fixup_f32 v100, v100, v99, v98
	v_fmac_f32_e32 v99, v98, v100
	s_delay_alu instid0(VALU_DEP_1) | instskip(SKIP_1) | instid1(VALU_DEP_2)
	v_div_scale_f32 v98, null, v99, v99, 1.0
	v_div_scale_f32 v103, vcc_lo, 1.0, v99, 1.0
	v_rcp_f32_e32 v101, v98
	v_nop
	s_delay_alu instid0(TRANS32_DEP_1) | instskip(NEXT) | instid1(VALU_DEP_1)
	v_fma_f32 v102, -v98, v101, 1.0
	v_fmac_f32_e32 v101, v102, v101
	s_delay_alu instid0(VALU_DEP_1) | instskip(NEXT) | instid1(VALU_DEP_1)
	v_mul_f32_e32 v102, v103, v101
	v_fma_f32 v104, -v98, v102, v103
	s_delay_alu instid0(VALU_DEP_1) | instskip(NEXT) | instid1(VALU_DEP_1)
	v_fmac_f32_e32 v102, v104, v101
	v_fma_f32 v98, -v98, v102, v103
	s_delay_alu instid0(VALU_DEP_1) | instskip(NEXT) | instid1(VALU_DEP_1)
	v_div_fmas_f32 v98, v98, v101, v102
	v_div_fixup_f32 v98, v98, v99, 1.0
	s_delay_alu instid0(VALU_DEP_1)
	v_mul_f32_e32 v100, v100, v98
	v_xor_b32_e32 v101, 0x80000000, v98
                                        ; implicit-def: $vgpr98_vgpr99
.LBB35_113:
	s_and_not1_saveexec_b32 s1, s1
	s_cbranch_execz .LBB35_115
; %bb.114:
	v_div_scale_f32 v100, null, v98, v98, v99
	v_div_scale_f32 v103, vcc_lo, v99, v98, v99
	s_delay_alu instid0(VALU_DEP_2) | instskip(SKIP_1) | instid1(TRANS32_DEP_1)
	v_rcp_f32_e32 v101, v100
	v_nop
	v_fma_f32 v102, -v100, v101, 1.0
	s_delay_alu instid0(VALU_DEP_1) | instskip(NEXT) | instid1(VALU_DEP_1)
	v_fmac_f32_e32 v101, v102, v101
	v_mul_f32_e32 v102, v103, v101
	s_delay_alu instid0(VALU_DEP_1) | instskip(NEXT) | instid1(VALU_DEP_1)
	v_fma_f32 v104, -v100, v102, v103
	v_fmac_f32_e32 v102, v104, v101
	s_delay_alu instid0(VALU_DEP_1) | instskip(NEXT) | instid1(VALU_DEP_1)
	v_fma_f32 v100, -v100, v102, v103
	v_div_fmas_f32 v100, v100, v101, v102
	s_delay_alu instid0(VALU_DEP_1) | instskip(NEXT) | instid1(VALU_DEP_1)
	v_div_fixup_f32 v101, v100, v98, v99
	v_fmac_f32_e32 v98, v99, v101
	s_delay_alu instid0(VALU_DEP_1) | instskip(NEXT) | instid1(VALU_DEP_1)
	v_div_scale_f32 v99, null, v98, v98, 1.0
	v_rcp_f32_e32 v100, v99
	v_nop
	s_delay_alu instid0(TRANS32_DEP_1) | instskip(NEXT) | instid1(VALU_DEP_1)
	v_fma_f32 v102, -v99, v100, 1.0
	v_fmac_f32_e32 v100, v102, v100
	v_div_scale_f32 v102, vcc_lo, 1.0, v98, 1.0
	s_delay_alu instid0(VALU_DEP_1) | instskip(NEXT) | instid1(VALU_DEP_1)
	v_mul_f32_e32 v103, v102, v100
	v_fma_f32 v104, -v99, v103, v102
	s_delay_alu instid0(VALU_DEP_1) | instskip(NEXT) | instid1(VALU_DEP_1)
	v_fmac_f32_e32 v103, v104, v100
	v_fma_f32 v99, -v99, v103, v102
	s_delay_alu instid0(VALU_DEP_1) | instskip(NEXT) | instid1(VALU_DEP_1)
	v_div_fmas_f32 v99, v99, v100, v103
	v_div_fixup_f32 v100, v99, v98, 1.0
	s_delay_alu instid0(VALU_DEP_1)
	v_mul_f32_e64 v101, v101, -v100
.LBB35_115:
	s_or_b32 exec_lo, exec_lo, s1
	ds_store_b64 v111, v[100:101]
.LBB35_116:
	s_or_b32 exec_lo, exec_lo, s2
	s_wait_dscnt 0x0
	s_barrier_signal -1
	s_barrier_wait -1
	ds_load_b64 v[98:99], v111
	s_mov_b32 s1, exec_lo
	v_cmpx_lt_u32_e32 12, v110
	s_cbranch_execz .LBB35_118
; %bb.117:
	s_wait_dscnt 0x0
	v_pk_mul_f32 v[100:101], v[98:99], v[64:65] op_sel:[1,1] op_sel_hi:[0,1]
	s_delay_alu instid0(VALU_DEP_1)
	v_pk_fma_f32 v[104:105], v[98:99], v[64:65], v[100:101] op_sel_hi:[1,0,1] neg_lo:[0,0,1] neg_hi:[0,0,1]
	v_pk_fma_f32 v[106:107], v[98:99], v[64:65], v[100:101] op_sel_hi:[1,0,1]
	ds_load_2addr_b64 v[100:103], v112 offset0:13 offset1:14
	v_dual_mov_b32 v64, v104 :: v_dual_mov_b32 v65, v107
	s_wait_dscnt 0x0
	v_pk_mul_f32 v[108:109], v[100:101], v[106:107] op_sel:[0,1]
	s_delay_alu instid0(VALU_DEP_1) | instskip(SKIP_1) | instid1(VALU_DEP_1)
	v_pk_fma_f32 v[114:115], v[100:101], v[104:105], v[108:109] op_sel:[0,0,1] op_sel_hi:[1,1,0] neg_lo:[0,0,1] neg_hi:[0,0,1]
	v_pk_fma_f32 v[100:101], v[100:101], v[104:105], v[108:109] op_sel:[0,0,1] op_sel_hi:[1,0,0]
	v_mov_b32_e32 v115, v101
	v_pk_mul_f32 v[100:101], v[102:103], v[106:107] op_sel:[0,1]
	s_delay_alu instid0(VALU_DEP_1) | instskip(SKIP_1) | instid1(VALU_DEP_1)
	v_pk_fma_f32 v[108:109], v[102:103], v[104:105], v[100:101] op_sel:[0,0,1] op_sel_hi:[1,1,0] neg_lo:[0,0,1] neg_hi:[0,0,1]
	v_pk_fma_f32 v[100:101], v[102:103], v[104:105], v[100:101] op_sel:[0,0,1] op_sel_hi:[1,0,0]
	v_mov_b32_e32 v109, v101
	ds_load_2addr_b64 v[100:103], v112 offset0:15 offset1:16
	v_pk_add_f32 v[62:63], v[62:63], v[114:115] neg_lo:[0,1] neg_hi:[0,1]
	v_pk_add_f32 v[72:73], v[72:73], v[108:109] neg_lo:[0,1] neg_hi:[0,1]
	s_wait_dscnt 0x0
	v_pk_mul_f32 v[108:109], v[100:101], v[106:107] op_sel:[0,1]
	s_delay_alu instid0(VALU_DEP_1) | instskip(SKIP_2) | instid1(VALU_DEP_2)
	v_pk_fma_f32 v[114:115], v[100:101], v[104:105], v[108:109] op_sel:[0,0,1] op_sel_hi:[1,1,0] neg_lo:[0,0,1] neg_hi:[0,0,1]
	v_pk_fma_f32 v[100:101], v[100:101], v[104:105], v[108:109] op_sel:[0,0,1] op_sel_hi:[1,0,0]
	v_dual_mul_f32 v108, v103, v107 :: v_dual_mov_b32 v100, v103
	v_dual_mov_b32 v115, v101 :: v_dual_mov_b32 v101, v102
	s_delay_alu instid0(VALU_DEP_2) | instskip(SKIP_1) | instid1(VALU_DEP_3)
	v_pk_fma_f32 v[108:109], v[102:103], v[64:65], v[108:109] op_sel_hi:[1,1,0] neg_lo:[0,0,1] neg_hi:[0,0,1]
	v_mul_f32_e32 v102, v103, v104
	v_pk_add_f32 v[68:69], v[68:69], v[114:115] neg_lo:[0,1] neg_hi:[0,1]
	s_delay_alu instid0(VALU_DEP_2) | instskip(NEXT) | instid1(VALU_DEP_1)
	v_pk_fma_f32 v[100:101], v[100:101], v[64:65], v[102:103] op_sel_hi:[1,1,0]
	v_mov_b32_e32 v109, v101
	ds_load_b64 v[100:101], v112 offset:136
	v_pk_add_f32 v[66:67], v[66:67], v[108:109] neg_lo:[0,1] neg_hi:[0,1]
	s_wait_dscnt 0x0
	v_pk_mul_f32 v[102:103], v[100:101], v[106:107] op_sel:[0,1]
	s_delay_alu instid0(VALU_DEP_1) | instskip(SKIP_1) | instid1(VALU_DEP_1)
	v_pk_fma_f32 v[106:107], v[100:101], v[104:105], v[102:103] op_sel:[0,0,1] op_sel_hi:[1,1,0] neg_lo:[0,0,1] neg_hi:[0,0,1]
	v_pk_fma_f32 v[100:101], v[100:101], v[104:105], v[102:103] op_sel:[0,0,1] op_sel_hi:[1,0,0]
	v_mov_b32_e32 v107, v101
	s_delay_alu instid0(VALU_DEP_1)
	v_pk_add_f32 v[70:71], v[70:71], v[106:107] neg_lo:[0,1] neg_hi:[0,1]
.LBB35_118:
	s_or_b32 exec_lo, exec_lo, s1
	s_delay_alu instid0(SALU_CYCLE_1)
	s_mov_b32 s2, exec_lo
	s_wait_dscnt 0x0
	s_barrier_signal -1
	s_barrier_wait -1
	v_cmpx_eq_u32_e32 13, v110
	s_cbranch_execz .LBB35_125
; %bb.119:
	v_dual_mov_b32 v100, v72 :: v_dual_mov_b32 v101, v73
	v_dual_mov_b32 v102, v68 :: v_dual_mov_b32 v103, v69
	;; [unrolled: 1-line block ×3, first 2 shown]
	ds_store_b64 v111, v[62:63]
	ds_store_2addr_b64 v112, v[100:101], v[102:103] offset0:14 offset1:15
	ds_store_2addr_b64 v112, v[104:105], v[70:71] offset0:16 offset1:17
	ds_load_b64 v[100:101], v111
	s_wait_dscnt 0x0
	v_cmp_neq_f32_e32 vcc_lo, 0, v100
	v_cmp_neq_f32_e64 s1, 0, v101
	s_or_b32 s1, vcc_lo, s1
	s_delay_alu instid0(SALU_CYCLE_1)
	s_and_b32 exec_lo, exec_lo, s1
	s_cbranch_execz .LBB35_125
; %bb.120:
	v_cmp_ngt_f32_e64 s1, |v100|, |v101|
                                        ; implicit-def: $vgpr102_vgpr103
	s_and_saveexec_b32 s4, s1
	s_delay_alu instid0(SALU_CYCLE_1)
	s_xor_b32 s1, exec_lo, s4
	s_cbranch_execz .LBB35_122
; %bb.121:
	v_div_scale_f32 v102, null, v101, v101, v100
	v_div_scale_f32 v105, vcc_lo, v100, v101, v100
	s_delay_alu instid0(VALU_DEP_2) | instskip(SKIP_1) | instid1(TRANS32_DEP_1)
	v_rcp_f32_e32 v103, v102
	v_nop
	v_fma_f32 v104, -v102, v103, 1.0
	s_delay_alu instid0(VALU_DEP_1) | instskip(NEXT) | instid1(VALU_DEP_1)
	v_fmac_f32_e32 v103, v104, v103
	v_mul_f32_e32 v104, v105, v103
	s_delay_alu instid0(VALU_DEP_1) | instskip(NEXT) | instid1(VALU_DEP_1)
	v_fma_f32 v106, -v102, v104, v105
	v_fmac_f32_e32 v104, v106, v103
	s_delay_alu instid0(VALU_DEP_1) | instskip(NEXT) | instid1(VALU_DEP_1)
	v_fma_f32 v102, -v102, v104, v105
	v_div_fmas_f32 v102, v102, v103, v104
	s_delay_alu instid0(VALU_DEP_1) | instskip(NEXT) | instid1(VALU_DEP_1)
	v_div_fixup_f32 v102, v102, v101, v100
	v_fmac_f32_e32 v101, v100, v102
	s_delay_alu instid0(VALU_DEP_1) | instskip(SKIP_1) | instid1(VALU_DEP_2)
	v_div_scale_f32 v100, null, v101, v101, 1.0
	v_div_scale_f32 v105, vcc_lo, 1.0, v101, 1.0
	v_rcp_f32_e32 v103, v100
	v_nop
	s_delay_alu instid0(TRANS32_DEP_1) | instskip(NEXT) | instid1(VALU_DEP_1)
	v_fma_f32 v104, -v100, v103, 1.0
	v_fmac_f32_e32 v103, v104, v103
	s_delay_alu instid0(VALU_DEP_1) | instskip(NEXT) | instid1(VALU_DEP_1)
	v_mul_f32_e32 v104, v105, v103
	v_fma_f32 v106, -v100, v104, v105
	s_delay_alu instid0(VALU_DEP_1) | instskip(NEXT) | instid1(VALU_DEP_1)
	v_fmac_f32_e32 v104, v106, v103
	v_fma_f32 v100, -v100, v104, v105
	s_delay_alu instid0(VALU_DEP_1) | instskip(NEXT) | instid1(VALU_DEP_1)
	v_div_fmas_f32 v100, v100, v103, v104
	v_div_fixup_f32 v100, v100, v101, 1.0
	s_delay_alu instid0(VALU_DEP_1)
	v_mul_f32_e32 v102, v102, v100
	v_xor_b32_e32 v103, 0x80000000, v100
                                        ; implicit-def: $vgpr100_vgpr101
.LBB35_122:
	s_and_not1_saveexec_b32 s1, s1
	s_cbranch_execz .LBB35_124
; %bb.123:
	v_div_scale_f32 v102, null, v100, v100, v101
	v_div_scale_f32 v105, vcc_lo, v101, v100, v101
	s_delay_alu instid0(VALU_DEP_2) | instskip(SKIP_1) | instid1(TRANS32_DEP_1)
	v_rcp_f32_e32 v103, v102
	v_nop
	v_fma_f32 v104, -v102, v103, 1.0
	s_delay_alu instid0(VALU_DEP_1) | instskip(NEXT) | instid1(VALU_DEP_1)
	v_fmac_f32_e32 v103, v104, v103
	v_mul_f32_e32 v104, v105, v103
	s_delay_alu instid0(VALU_DEP_1) | instskip(NEXT) | instid1(VALU_DEP_1)
	v_fma_f32 v106, -v102, v104, v105
	v_fmac_f32_e32 v104, v106, v103
	s_delay_alu instid0(VALU_DEP_1) | instskip(NEXT) | instid1(VALU_DEP_1)
	v_fma_f32 v102, -v102, v104, v105
	v_div_fmas_f32 v102, v102, v103, v104
	s_delay_alu instid0(VALU_DEP_1) | instskip(NEXT) | instid1(VALU_DEP_1)
	v_div_fixup_f32 v103, v102, v100, v101
	v_fmac_f32_e32 v100, v101, v103
	s_delay_alu instid0(VALU_DEP_1) | instskip(NEXT) | instid1(VALU_DEP_1)
	v_div_scale_f32 v101, null, v100, v100, 1.0
	v_rcp_f32_e32 v102, v101
	v_nop
	s_delay_alu instid0(TRANS32_DEP_1) | instskip(NEXT) | instid1(VALU_DEP_1)
	v_fma_f32 v104, -v101, v102, 1.0
	v_fmac_f32_e32 v102, v104, v102
	v_div_scale_f32 v104, vcc_lo, 1.0, v100, 1.0
	s_delay_alu instid0(VALU_DEP_1) | instskip(NEXT) | instid1(VALU_DEP_1)
	v_mul_f32_e32 v105, v104, v102
	v_fma_f32 v106, -v101, v105, v104
	s_delay_alu instid0(VALU_DEP_1) | instskip(NEXT) | instid1(VALU_DEP_1)
	v_fmac_f32_e32 v105, v106, v102
	v_fma_f32 v101, -v101, v105, v104
	s_delay_alu instid0(VALU_DEP_1) | instskip(NEXT) | instid1(VALU_DEP_1)
	v_div_fmas_f32 v101, v101, v102, v105
	v_div_fixup_f32 v102, v101, v100, 1.0
	s_delay_alu instid0(VALU_DEP_1)
	v_mul_f32_e64 v103, v103, -v102
.LBB35_124:
	s_or_b32 exec_lo, exec_lo, s1
	ds_store_b64 v111, v[102:103]
.LBB35_125:
	s_or_b32 exec_lo, exec_lo, s2
	s_wait_dscnt 0x0
	s_barrier_signal -1
	s_barrier_wait -1
	ds_load_b64 v[100:101], v111
	s_mov_b32 s1, exec_lo
	v_cmpx_lt_u32_e32 13, v110
	s_cbranch_execz .LBB35_127
; %bb.126:
	ds_load_2addr_b64 v[102:105], v112 offset0:14 offset1:15
	ds_load_2addr_b64 v[106:109], v112 offset0:16 offset1:17
	s_wait_dscnt 0x2
	v_pk_mul_f32 v[114:115], v[100:101], v[62:63] op_sel:[1,1] op_sel_hi:[0,1]
	s_delay_alu instid0(VALU_DEP_1) | instskip(SKIP_1) | instid1(VALU_DEP_1)
	v_pk_fma_f32 v[116:117], v[100:101], v[62:63], v[114:115] op_sel_hi:[1,0,1] neg_lo:[0,0,1] neg_hi:[0,0,1]
	v_pk_fma_f32 v[114:115], v[100:101], v[62:63], v[114:115] op_sel_hi:[1,0,1]
	v_dual_mov_b32 v62, v116 :: v_dual_mov_b32 v63, v115
	s_wait_dscnt 0x1
	s_delay_alu instid0(VALU_DEP_2)
	v_pk_mul_f32 v[118:119], v[102:103], v[114:115] op_sel:[0,1]
	s_wait_dscnt 0x0
	v_mov_b32_e32 v120, v109
	v_pk_mul_f32 v[122:123], v[104:105], v[114:115] op_sel:[0,1]
	v_pk_mul_f32 v[124:125], v[106:107], v[114:115] op_sel:[0,1]
	v_pk_fma_f32 v[126:127], v[102:103], v[116:117], v[118:119] op_sel:[0,0,1] op_sel_hi:[1,1,0] neg_lo:[0,0,1] neg_hi:[0,0,1]
	v_pk_fma_f32 v[102:103], v[102:103], v[116:117], v[118:119] op_sel:[0,0,1] op_sel_hi:[1,0,0]
	s_delay_alu instid0(VALU_DEP_1) | instskip(NEXT) | instid1(VALU_DEP_1)
	v_dual_mov_b32 v121, v108 :: v_dual_mov_b32 v127, v103
	v_pk_mul_f32 v[118:119], v[120:121], v[114:115] op_sel:[0,1]
	v_pk_fma_f32 v[120:121], v[104:105], v[116:117], v[122:123] op_sel:[0,0,1] op_sel_hi:[1,0,0]
	v_pk_fma_f32 v[104:105], v[104:105], v[116:117], v[122:123] op_sel:[0,0,1] op_sel_hi:[1,1,0] neg_lo:[0,0,1] neg_hi:[0,0,1]
	v_pk_fma_f32 v[122:123], v[106:107], v[116:117], v[124:125] op_sel:[0,0,1] op_sel_hi:[1,0,0]
	v_pk_fma_f32 v[106:107], v[106:107], v[116:117], v[124:125] op_sel:[0,0,1] op_sel_hi:[1,1,0] neg_lo:[0,0,1] neg_hi:[0,0,1]
	v_pk_fma_f32 v[102:103], v[108:109], v[116:117], v[118:119] op_sel_hi:[1,0,1]
	v_pk_fma_f32 v[108:109], v[108:109], v[116:117], v[118:119] neg_lo:[0,0,1] neg_hi:[0,0,1]
	s_delay_alu instid0(VALU_DEP_4) | instskip(SKIP_1) | instid1(VALU_DEP_4)
	v_dual_mov_b32 v105, v121 :: v_dual_mov_b32 v107, v123
	v_pk_add_f32 v[72:73], v[72:73], v[126:127] neg_lo:[0,1] neg_hi:[0,1]
	v_mov_b32_e32 v109, v103
	s_delay_alu instid0(VALU_DEP_3) | instskip(NEXT) | instid1(VALU_DEP_4)
	v_pk_add_f32 v[68:69], v[68:69], v[104:105] neg_lo:[0,1] neg_hi:[0,1]
	v_pk_add_f32 v[66:67], v[66:67], v[106:107] neg_lo:[0,1] neg_hi:[0,1]
	s_delay_alu instid0(VALU_DEP_3)
	v_pk_add_f32 v[70:71], v[70:71], v[108:109] neg_lo:[0,1] neg_hi:[0,1]
.LBB35_127:
	s_or_b32 exec_lo, exec_lo, s1
	s_delay_alu instid0(SALU_CYCLE_1)
	s_mov_b32 s2, exec_lo
	s_wait_dscnt 0x0
	s_barrier_signal -1
	s_barrier_wait -1
	v_cmpx_eq_u32_e32 14, v110
	s_cbranch_execz .LBB35_134
; %bb.128:
	ds_store_b64 v111, v[72:73]
	ds_store_2addr_b64 v112, v[68:69], v[66:67] offset0:15 offset1:16
	ds_store_b64 v112, v[70:71] offset:136
	ds_load_b64 v[102:103], v111
	s_wait_dscnt 0x0
	v_cmp_neq_f32_e32 vcc_lo, 0, v102
	v_cmp_neq_f32_e64 s1, 0, v103
	s_or_b32 s1, vcc_lo, s1
	s_delay_alu instid0(SALU_CYCLE_1)
	s_and_b32 exec_lo, exec_lo, s1
	s_cbranch_execz .LBB35_134
; %bb.129:
	v_cmp_ngt_f32_e64 s1, |v102|, |v103|
                                        ; implicit-def: $vgpr104_vgpr105
	s_and_saveexec_b32 s4, s1
	s_delay_alu instid0(SALU_CYCLE_1)
	s_xor_b32 s1, exec_lo, s4
	s_cbranch_execz .LBB35_131
; %bb.130:
	v_div_scale_f32 v104, null, v103, v103, v102
	v_div_scale_f32 v107, vcc_lo, v102, v103, v102
	s_delay_alu instid0(VALU_DEP_2) | instskip(SKIP_1) | instid1(TRANS32_DEP_1)
	v_rcp_f32_e32 v105, v104
	v_nop
	v_fma_f32 v106, -v104, v105, 1.0
	s_delay_alu instid0(VALU_DEP_1) | instskip(NEXT) | instid1(VALU_DEP_1)
	v_fmac_f32_e32 v105, v106, v105
	v_mul_f32_e32 v106, v107, v105
	s_delay_alu instid0(VALU_DEP_1) | instskip(NEXT) | instid1(VALU_DEP_1)
	v_fma_f32 v108, -v104, v106, v107
	v_fmac_f32_e32 v106, v108, v105
	s_delay_alu instid0(VALU_DEP_1) | instskip(NEXT) | instid1(VALU_DEP_1)
	v_fma_f32 v104, -v104, v106, v107
	v_div_fmas_f32 v104, v104, v105, v106
	s_delay_alu instid0(VALU_DEP_1) | instskip(NEXT) | instid1(VALU_DEP_1)
	v_div_fixup_f32 v104, v104, v103, v102
	v_fmac_f32_e32 v103, v102, v104
	s_delay_alu instid0(VALU_DEP_1) | instskip(SKIP_1) | instid1(VALU_DEP_2)
	v_div_scale_f32 v102, null, v103, v103, 1.0
	v_div_scale_f32 v107, vcc_lo, 1.0, v103, 1.0
	v_rcp_f32_e32 v105, v102
	v_nop
	s_delay_alu instid0(TRANS32_DEP_1) | instskip(NEXT) | instid1(VALU_DEP_1)
	v_fma_f32 v106, -v102, v105, 1.0
	v_fmac_f32_e32 v105, v106, v105
	s_delay_alu instid0(VALU_DEP_1) | instskip(NEXT) | instid1(VALU_DEP_1)
	v_mul_f32_e32 v106, v107, v105
	v_fma_f32 v108, -v102, v106, v107
	s_delay_alu instid0(VALU_DEP_1) | instskip(NEXT) | instid1(VALU_DEP_1)
	v_fmac_f32_e32 v106, v108, v105
	v_fma_f32 v102, -v102, v106, v107
	s_delay_alu instid0(VALU_DEP_1) | instskip(NEXT) | instid1(VALU_DEP_1)
	v_div_fmas_f32 v102, v102, v105, v106
	v_div_fixup_f32 v102, v102, v103, 1.0
	s_delay_alu instid0(VALU_DEP_1)
	v_mul_f32_e32 v104, v104, v102
	v_xor_b32_e32 v105, 0x80000000, v102
                                        ; implicit-def: $vgpr102_vgpr103
.LBB35_131:
	s_and_not1_saveexec_b32 s1, s1
	s_cbranch_execz .LBB35_133
; %bb.132:
	v_div_scale_f32 v104, null, v102, v102, v103
	v_div_scale_f32 v107, vcc_lo, v103, v102, v103
	s_delay_alu instid0(VALU_DEP_2) | instskip(SKIP_1) | instid1(TRANS32_DEP_1)
	v_rcp_f32_e32 v105, v104
	v_nop
	v_fma_f32 v106, -v104, v105, 1.0
	s_delay_alu instid0(VALU_DEP_1) | instskip(NEXT) | instid1(VALU_DEP_1)
	v_fmac_f32_e32 v105, v106, v105
	v_mul_f32_e32 v106, v107, v105
	s_delay_alu instid0(VALU_DEP_1) | instskip(NEXT) | instid1(VALU_DEP_1)
	v_fma_f32 v108, -v104, v106, v107
	v_fmac_f32_e32 v106, v108, v105
	s_delay_alu instid0(VALU_DEP_1) | instskip(NEXT) | instid1(VALU_DEP_1)
	v_fma_f32 v104, -v104, v106, v107
	v_div_fmas_f32 v104, v104, v105, v106
	s_delay_alu instid0(VALU_DEP_1) | instskip(NEXT) | instid1(VALU_DEP_1)
	v_div_fixup_f32 v105, v104, v102, v103
	v_fmac_f32_e32 v102, v103, v105
	s_delay_alu instid0(VALU_DEP_1) | instskip(NEXT) | instid1(VALU_DEP_1)
	v_div_scale_f32 v103, null, v102, v102, 1.0
	v_rcp_f32_e32 v104, v103
	v_nop
	s_delay_alu instid0(TRANS32_DEP_1) | instskip(NEXT) | instid1(VALU_DEP_1)
	v_fma_f32 v106, -v103, v104, 1.0
	v_fmac_f32_e32 v104, v106, v104
	v_div_scale_f32 v106, vcc_lo, 1.0, v102, 1.0
	s_delay_alu instid0(VALU_DEP_1) | instskip(NEXT) | instid1(VALU_DEP_1)
	v_mul_f32_e32 v107, v106, v104
	v_fma_f32 v108, -v103, v107, v106
	s_delay_alu instid0(VALU_DEP_1) | instskip(NEXT) | instid1(VALU_DEP_1)
	v_fmac_f32_e32 v107, v108, v104
	v_fma_f32 v103, -v103, v107, v106
	s_delay_alu instid0(VALU_DEP_1) | instskip(NEXT) | instid1(VALU_DEP_1)
	v_div_fmas_f32 v103, v103, v104, v107
	v_div_fixup_f32 v104, v103, v102, 1.0
	s_delay_alu instid0(VALU_DEP_1)
	v_mul_f32_e64 v105, v105, -v104
.LBB35_133:
	s_or_b32 exec_lo, exec_lo, s1
	ds_store_b64 v111, v[104:105]
.LBB35_134:
	s_or_b32 exec_lo, exec_lo, s2
	s_wait_dscnt 0x0
	s_barrier_signal -1
	s_barrier_wait -1
	ds_load_b64 v[102:103], v111
	s_mov_b32 s1, exec_lo
	v_cmpx_lt_u32_e32 14, v110
	s_cbranch_execz .LBB35_136
; %bb.135:
	ds_load_2addr_b64 v[104:107], v112 offset0:15 offset1:16
	ds_load_b64 v[108:109], v112 offset:136
	s_wait_dscnt 0x2
	v_pk_mul_f32 v[114:115], v[102:103], v[72:73] op_sel:[1,1] op_sel_hi:[0,1]
	s_delay_alu instid0(VALU_DEP_1) | instskip(SKIP_2) | instid1(VALU_DEP_2)
	v_pk_fma_f32 v[116:117], v[102:103], v[72:73], v[114:115] op_sel_hi:[1,0,1]
	v_pk_fma_f32 v[72:73], v[102:103], v[72:73], v[114:115] op_sel_hi:[1,0,1] neg_lo:[0,0,1] neg_hi:[0,0,1]
	s_wait_dscnt 0x1
	v_pk_mul_f32 v[114:115], v[104:105], v[116:117] op_sel:[0,1]
	v_pk_mul_f32 v[118:119], v[106:107], v[116:117] op_sel:[0,1]
	s_wait_dscnt 0x0
	v_pk_mul_f32 v[120:121], v[108:109], v[116:117] op_sel:[1,1] op_sel_hi:[0,1]
	s_delay_alu instid0(VALU_DEP_3) | instskip(SKIP_2) | instid1(VALU_DEP_4)
	v_pk_fma_f32 v[122:123], v[104:105], v[72:73], v[114:115] op_sel:[0,0,1] op_sel_hi:[1,1,0] neg_lo:[0,0,1] neg_hi:[0,0,1]
	v_pk_fma_f32 v[104:105], v[104:105], v[72:73], v[114:115] op_sel:[0,0,1] op_sel_hi:[1,0,0]
	v_pk_fma_f32 v[114:115], v[106:107], v[72:73], v[118:119] op_sel:[0,0,1] op_sel_hi:[1,0,0]
	v_pk_fma_f32 v[124:125], v[108:109], v[72:73], v[120:121] op_sel_hi:[1,0,1]
	v_pk_fma_f32 v[106:107], v[106:107], v[72:73], v[118:119] op_sel:[0,0,1] op_sel_hi:[1,1,0] neg_lo:[0,0,1] neg_hi:[0,0,1]
	v_pk_fma_f32 v[108:109], v[108:109], v[72:73], v[120:121] neg_lo:[0,0,1] neg_hi:[0,0,1]
	s_delay_alu instid0(VALU_DEP_4) | instskip(NEXT) | instid1(VALU_DEP_4)
	v_dual_mov_b32 v123, v105 :: v_dual_mov_b32 v107, v115
	v_dual_mov_b32 v109, v125 :: v_dual_mov_b32 v73, v117
	s_delay_alu instid0(VALU_DEP_2) | instskip(NEXT) | instid1(VALU_DEP_3)
	v_pk_add_f32 v[68:69], v[68:69], v[122:123] neg_lo:[0,1] neg_hi:[0,1]
	v_pk_add_f32 v[66:67], v[66:67], v[106:107] neg_lo:[0,1] neg_hi:[0,1]
	s_delay_alu instid0(VALU_DEP_3)
	v_pk_add_f32 v[70:71], v[70:71], v[108:109] neg_lo:[0,1] neg_hi:[0,1]
.LBB35_136:
	s_or_b32 exec_lo, exec_lo, s1
	s_delay_alu instid0(SALU_CYCLE_1)
	s_mov_b32 s2, exec_lo
	s_wait_dscnt 0x0
	s_barrier_signal -1
	s_barrier_wait -1
	v_cmpx_eq_u32_e32 15, v110
	s_cbranch_execz .LBB35_143
; %bb.137:
	v_dual_mov_b32 v104, v66 :: v_dual_mov_b32 v105, v67
	ds_store_b64 v111, v[68:69]
	ds_store_2addr_b64 v112, v[104:105], v[70:71] offset0:16 offset1:17
	ds_load_b64 v[104:105], v111
	s_wait_dscnt 0x0
	v_cmp_neq_f32_e32 vcc_lo, 0, v104
	v_cmp_neq_f32_e64 s1, 0, v105
	s_or_b32 s1, vcc_lo, s1
	s_delay_alu instid0(SALU_CYCLE_1)
	s_and_b32 exec_lo, exec_lo, s1
	s_cbranch_execz .LBB35_143
; %bb.138:
	v_cmp_ngt_f32_e64 s1, |v104|, |v105|
                                        ; implicit-def: $vgpr106_vgpr107
	s_and_saveexec_b32 s4, s1
	s_delay_alu instid0(SALU_CYCLE_1)
	s_xor_b32 s1, exec_lo, s4
	s_cbranch_execz .LBB35_140
; %bb.139:
	v_div_scale_f32 v106, null, v105, v105, v104
	v_div_scale_f32 v109, vcc_lo, v104, v105, v104
	s_delay_alu instid0(VALU_DEP_2) | instskip(SKIP_1) | instid1(TRANS32_DEP_1)
	v_rcp_f32_e32 v107, v106
	v_nop
	v_fma_f32 v108, -v106, v107, 1.0
	s_delay_alu instid0(VALU_DEP_1) | instskip(NEXT) | instid1(VALU_DEP_1)
	v_fmac_f32_e32 v107, v108, v107
	v_mul_f32_e32 v108, v109, v107
	s_delay_alu instid0(VALU_DEP_1) | instskip(NEXT) | instid1(VALU_DEP_1)
	v_fma_f32 v113, -v106, v108, v109
	v_fmac_f32_e32 v108, v113, v107
	s_delay_alu instid0(VALU_DEP_1) | instskip(NEXT) | instid1(VALU_DEP_1)
	v_fma_f32 v106, -v106, v108, v109
	v_div_fmas_f32 v106, v106, v107, v108
	s_delay_alu instid0(VALU_DEP_1) | instskip(NEXT) | instid1(VALU_DEP_1)
	v_div_fixup_f32 v106, v106, v105, v104
	v_fmac_f32_e32 v105, v104, v106
	s_delay_alu instid0(VALU_DEP_1) | instskip(SKIP_1) | instid1(VALU_DEP_2)
	v_div_scale_f32 v104, null, v105, v105, 1.0
	v_div_scale_f32 v109, vcc_lo, 1.0, v105, 1.0
	v_rcp_f32_e32 v107, v104
	v_nop
	s_delay_alu instid0(TRANS32_DEP_1) | instskip(NEXT) | instid1(VALU_DEP_1)
	v_fma_f32 v108, -v104, v107, 1.0
	v_fmac_f32_e32 v107, v108, v107
	s_delay_alu instid0(VALU_DEP_1) | instskip(NEXT) | instid1(VALU_DEP_1)
	v_mul_f32_e32 v108, v109, v107
	v_fma_f32 v113, -v104, v108, v109
	s_delay_alu instid0(VALU_DEP_1) | instskip(NEXT) | instid1(VALU_DEP_1)
	v_fmac_f32_e32 v108, v113, v107
	v_fma_f32 v104, -v104, v108, v109
	s_delay_alu instid0(VALU_DEP_1) | instskip(NEXT) | instid1(VALU_DEP_1)
	v_div_fmas_f32 v104, v104, v107, v108
	v_div_fixup_f32 v104, v104, v105, 1.0
	s_delay_alu instid0(VALU_DEP_1)
	v_mul_f32_e32 v106, v106, v104
	v_xor_b32_e32 v107, 0x80000000, v104
                                        ; implicit-def: $vgpr104_vgpr105
.LBB35_140:
	s_and_not1_saveexec_b32 s1, s1
	s_cbranch_execz .LBB35_142
; %bb.141:
	v_div_scale_f32 v106, null, v104, v104, v105
	v_div_scale_f32 v109, vcc_lo, v105, v104, v105
	s_delay_alu instid0(VALU_DEP_2) | instskip(SKIP_1) | instid1(TRANS32_DEP_1)
	v_rcp_f32_e32 v107, v106
	v_nop
	v_fma_f32 v108, -v106, v107, 1.0
	s_delay_alu instid0(VALU_DEP_1) | instskip(NEXT) | instid1(VALU_DEP_1)
	v_fmac_f32_e32 v107, v108, v107
	v_mul_f32_e32 v108, v109, v107
	s_delay_alu instid0(VALU_DEP_1) | instskip(NEXT) | instid1(VALU_DEP_1)
	v_fma_f32 v113, -v106, v108, v109
	v_fmac_f32_e32 v108, v113, v107
	s_delay_alu instid0(VALU_DEP_1) | instskip(NEXT) | instid1(VALU_DEP_1)
	v_fma_f32 v106, -v106, v108, v109
	v_div_fmas_f32 v106, v106, v107, v108
	s_delay_alu instid0(VALU_DEP_1) | instskip(NEXT) | instid1(VALU_DEP_1)
	v_div_fixup_f32 v107, v106, v104, v105
	v_fmac_f32_e32 v104, v105, v107
	s_delay_alu instid0(VALU_DEP_1) | instskip(NEXT) | instid1(VALU_DEP_1)
	v_div_scale_f32 v105, null, v104, v104, 1.0
	v_rcp_f32_e32 v106, v105
	v_nop
	s_delay_alu instid0(TRANS32_DEP_1) | instskip(NEXT) | instid1(VALU_DEP_1)
	v_fma_f32 v108, -v105, v106, 1.0
	v_fmac_f32_e32 v106, v108, v106
	v_div_scale_f32 v108, vcc_lo, 1.0, v104, 1.0
	s_delay_alu instid0(VALU_DEP_1) | instskip(NEXT) | instid1(VALU_DEP_1)
	v_mul_f32_e32 v109, v108, v106
	v_fma_f32 v113, -v105, v109, v108
	s_delay_alu instid0(VALU_DEP_1) | instskip(NEXT) | instid1(VALU_DEP_1)
	v_fmac_f32_e32 v109, v113, v106
	v_fma_f32 v105, -v105, v109, v108
	s_delay_alu instid0(VALU_DEP_1) | instskip(NEXT) | instid1(VALU_DEP_1)
	v_div_fmas_f32 v105, v105, v106, v109
	v_div_fixup_f32 v106, v105, v104, 1.0
	s_delay_alu instid0(VALU_DEP_1)
	v_mul_f32_e64 v107, v107, -v106
.LBB35_142:
	s_or_b32 exec_lo, exec_lo, s1
	ds_store_b64 v111, v[106:107]
.LBB35_143:
	s_or_b32 exec_lo, exec_lo, s2
	s_wait_dscnt 0x0
	s_barrier_signal -1
	s_barrier_wait -1
	ds_load_b64 v[104:105], v111
	s_mov_b32 s1, exec_lo
	v_cmpx_lt_u32_e32 15, v110
	s_cbranch_execz .LBB35_145
; %bb.144:
	ds_load_2addr_b64 v[106:109], v112 offset0:16 offset1:17
	s_wait_dscnt 0x1
	v_pk_mul_f32 v[114:115], v[104:105], v[68:69] op_sel:[1,1] op_sel_hi:[0,1]
	s_delay_alu instid0(VALU_DEP_1) | instskip(SKIP_3) | instid1(VALU_DEP_3)
	v_pk_fma_f32 v[116:117], v[104:105], v[68:69], v[114:115] op_sel_hi:[1,0,1]
	v_pk_fma_f32 v[68:69], v[104:105], v[68:69], v[114:115] op_sel_hi:[1,0,1] neg_lo:[0,0,1] neg_hi:[0,0,1]
	s_wait_dscnt 0x0
	v_dual_mov_b32 v118, v109 :: v_dual_mov_b32 v119, v108
	v_pk_mul_f32 v[114:115], v[106:107], v[116:117] op_sel:[0,1]
	s_delay_alu instid0(VALU_DEP_2) | instskip(NEXT) | instid1(VALU_DEP_2)
	v_pk_mul_f32 v[118:119], v[118:119], v[116:117] op_sel:[0,1]
	v_pk_fma_f32 v[120:121], v[106:107], v[68:69], v[114:115] op_sel:[0,0,1] op_sel_hi:[1,0,0]
	v_pk_fma_f32 v[106:107], v[106:107], v[68:69], v[114:115] op_sel:[0,0,1] op_sel_hi:[1,1,0] neg_lo:[0,0,1] neg_hi:[0,0,1]
	s_delay_alu instid0(VALU_DEP_3) | instskip(SKIP_1) | instid1(VALU_DEP_4)
	v_pk_fma_f32 v[122:123], v[108:109], v[68:69], v[118:119] op_sel_hi:[1,0,1]
	v_pk_fma_f32 v[108:109], v[108:109], v[68:69], v[118:119] neg_lo:[0,0,1] neg_hi:[0,0,1]
	v_dual_mov_b32 v107, v121 :: v_dual_mov_b32 v69, v117
	s_delay_alu instid0(VALU_DEP_3) | instskip(NEXT) | instid1(VALU_DEP_2)
	v_mov_b32_e32 v109, v123
	v_pk_add_f32 v[66:67], v[66:67], v[106:107] neg_lo:[0,1] neg_hi:[0,1]
	s_delay_alu instid0(VALU_DEP_2)
	v_pk_add_f32 v[70:71], v[70:71], v[108:109] neg_lo:[0,1] neg_hi:[0,1]
.LBB35_145:
	s_or_b32 exec_lo, exec_lo, s1
	s_delay_alu instid0(SALU_CYCLE_1)
	s_mov_b32 s2, exec_lo
	s_wait_dscnt 0x0
	s_barrier_signal -1
	s_barrier_wait -1
	v_cmpx_eq_u32_e32 16, v110
	s_cbranch_execz .LBB35_152
; %bb.146:
	ds_store_b64 v111, v[66:67]
	ds_store_b64 v112, v[70:71] offset:136
	ds_load_b64 v[106:107], v111
	s_wait_dscnt 0x0
	v_cmp_neq_f32_e32 vcc_lo, 0, v106
	v_cmp_neq_f32_e64 s1, 0, v107
	s_or_b32 s1, vcc_lo, s1
	s_delay_alu instid0(SALU_CYCLE_1)
	s_and_b32 exec_lo, exec_lo, s1
	s_cbranch_execz .LBB35_152
; %bb.147:
	v_cmp_ngt_f32_e64 s1, |v106|, |v107|
                                        ; implicit-def: $vgpr108_vgpr109
	s_and_saveexec_b32 s4, s1
	s_delay_alu instid0(SALU_CYCLE_1)
	s_xor_b32 s1, exec_lo, s4
	s_cbranch_execz .LBB35_149
; %bb.148:
	v_div_scale_f32 v108, null, v107, v107, v106
	v_div_scale_f32 v114, vcc_lo, v106, v107, v106
	s_delay_alu instid0(VALU_DEP_2) | instskip(SKIP_1) | instid1(TRANS32_DEP_1)
	v_rcp_f32_e32 v109, v108
	v_nop
	v_fma_f32 v113, -v108, v109, 1.0
	s_delay_alu instid0(VALU_DEP_1) | instskip(NEXT) | instid1(VALU_DEP_1)
	v_fmac_f32_e32 v109, v113, v109
	v_mul_f32_e32 v113, v114, v109
	s_delay_alu instid0(VALU_DEP_1) | instskip(NEXT) | instid1(VALU_DEP_1)
	v_fma_f32 v115, -v108, v113, v114
	v_fmac_f32_e32 v113, v115, v109
	s_delay_alu instid0(VALU_DEP_1) | instskip(NEXT) | instid1(VALU_DEP_1)
	v_fma_f32 v108, -v108, v113, v114
	v_div_fmas_f32 v108, v108, v109, v113
	s_delay_alu instid0(VALU_DEP_1) | instskip(NEXT) | instid1(VALU_DEP_1)
	v_div_fixup_f32 v108, v108, v107, v106
	v_fmac_f32_e32 v107, v106, v108
	s_delay_alu instid0(VALU_DEP_1) | instskip(SKIP_1) | instid1(VALU_DEP_2)
	v_div_scale_f32 v106, null, v107, v107, 1.0
	v_div_scale_f32 v114, vcc_lo, 1.0, v107, 1.0
	v_rcp_f32_e32 v109, v106
	v_nop
	s_delay_alu instid0(TRANS32_DEP_1) | instskip(NEXT) | instid1(VALU_DEP_1)
	v_fma_f32 v113, -v106, v109, 1.0
	v_fmac_f32_e32 v109, v113, v109
	s_delay_alu instid0(VALU_DEP_1) | instskip(NEXT) | instid1(VALU_DEP_1)
	v_mul_f32_e32 v113, v114, v109
	v_fma_f32 v115, -v106, v113, v114
	s_delay_alu instid0(VALU_DEP_1) | instskip(NEXT) | instid1(VALU_DEP_1)
	v_fmac_f32_e32 v113, v115, v109
	v_fma_f32 v106, -v106, v113, v114
	s_delay_alu instid0(VALU_DEP_1) | instskip(NEXT) | instid1(VALU_DEP_1)
	v_div_fmas_f32 v106, v106, v109, v113
	v_div_fixup_f32 v106, v106, v107, 1.0
	s_delay_alu instid0(VALU_DEP_1)
	v_mul_f32_e32 v108, v108, v106
	v_xor_b32_e32 v109, 0x80000000, v106
                                        ; implicit-def: $vgpr106_vgpr107
.LBB35_149:
	s_and_not1_saveexec_b32 s1, s1
	s_cbranch_execz .LBB35_151
; %bb.150:
	v_div_scale_f32 v108, null, v106, v106, v107
	v_div_scale_f32 v114, vcc_lo, v107, v106, v107
	s_delay_alu instid0(VALU_DEP_2) | instskip(SKIP_1) | instid1(TRANS32_DEP_1)
	v_rcp_f32_e32 v109, v108
	v_nop
	v_fma_f32 v113, -v108, v109, 1.0
	s_delay_alu instid0(VALU_DEP_1) | instskip(NEXT) | instid1(VALU_DEP_1)
	v_fmac_f32_e32 v109, v113, v109
	v_mul_f32_e32 v113, v114, v109
	s_delay_alu instid0(VALU_DEP_1) | instskip(NEXT) | instid1(VALU_DEP_1)
	v_fma_f32 v115, -v108, v113, v114
	v_fmac_f32_e32 v113, v115, v109
	s_delay_alu instid0(VALU_DEP_1) | instskip(NEXT) | instid1(VALU_DEP_1)
	v_fma_f32 v108, -v108, v113, v114
	v_div_fmas_f32 v108, v108, v109, v113
	s_delay_alu instid0(VALU_DEP_1) | instskip(NEXT) | instid1(VALU_DEP_1)
	v_div_fixup_f32 v109, v108, v106, v107
	v_fmac_f32_e32 v106, v107, v109
	s_delay_alu instid0(VALU_DEP_1) | instskip(NEXT) | instid1(VALU_DEP_1)
	v_div_scale_f32 v107, null, v106, v106, 1.0
	v_rcp_f32_e32 v108, v107
	v_nop
	s_delay_alu instid0(TRANS32_DEP_1) | instskip(NEXT) | instid1(VALU_DEP_1)
	v_fma_f32 v113, -v107, v108, 1.0
	v_fmac_f32_e32 v108, v113, v108
	v_div_scale_f32 v113, vcc_lo, 1.0, v106, 1.0
	s_delay_alu instid0(VALU_DEP_1) | instskip(NEXT) | instid1(VALU_DEP_1)
	v_mul_f32_e32 v114, v113, v108
	v_fma_f32 v115, -v107, v114, v113
	s_delay_alu instid0(VALU_DEP_1) | instskip(NEXT) | instid1(VALU_DEP_1)
	v_fmac_f32_e32 v114, v115, v108
	v_fma_f32 v107, -v107, v114, v113
	s_delay_alu instid0(VALU_DEP_1) | instskip(NEXT) | instid1(VALU_DEP_1)
	v_div_fmas_f32 v107, v107, v108, v114
	v_div_fixup_f32 v108, v107, v106, 1.0
	s_delay_alu instid0(VALU_DEP_1)
	v_mul_f32_e64 v109, v109, -v108
.LBB35_151:
	s_or_b32 exec_lo, exec_lo, s1
	ds_store_b64 v111, v[108:109]
.LBB35_152:
	s_or_b32 exec_lo, exec_lo, s2
	s_wait_dscnt 0x0
	s_barrier_signal -1
	s_barrier_wait -1
	ds_load_b64 v[106:107], v111
	s_mov_b32 s1, exec_lo
	v_cmpx_lt_u32_e32 16, v110
	s_cbranch_execz .LBB35_154
; %bb.153:
	ds_load_b64 v[108:109], v112 offset:136
	s_wait_dscnt 0x1
	v_pk_mul_f32 v[112:113], v[106:107], v[66:67] op_sel:[1,1] op_sel_hi:[0,1]
	s_delay_alu instid0(VALU_DEP_1) | instskip(SKIP_2) | instid1(VALU_DEP_2)
	v_pk_fma_f32 v[114:115], v[106:107], v[66:67], v[112:113] op_sel_hi:[1,0,1]
	v_pk_fma_f32 v[66:67], v[106:107], v[66:67], v[112:113] op_sel_hi:[1,0,1] neg_lo:[0,0,1] neg_hi:[0,0,1]
	s_wait_dscnt 0x0
	v_pk_mul_f32 v[112:113], v[108:109], v[114:115] op_sel:[1,1] op_sel_hi:[0,1]
	s_delay_alu instid0(VALU_DEP_1) | instskip(SKIP_1) | instid1(VALU_DEP_2)
	v_pk_fma_f32 v[116:117], v[108:109], v[66:67], v[112:113] op_sel_hi:[1,0,1]
	v_pk_fma_f32 v[108:109], v[108:109], v[66:67], v[112:113] neg_lo:[0,0,1] neg_hi:[0,0,1]
	v_dual_mov_b32 v67, v115 :: v_dual_mov_b32 v109, v117
	s_delay_alu instid0(VALU_DEP_1)
	v_pk_add_f32 v[70:71], v[70:71], v[108:109] neg_lo:[0,1] neg_hi:[0,1]
.LBB35_154:
	s_or_b32 exec_lo, exec_lo, s1
	s_delay_alu instid0(SALU_CYCLE_1)
	s_mov_b32 s2, exec_lo
	s_wait_dscnt 0x0
	s_barrier_signal -1
	s_barrier_wait -1
	v_cmpx_eq_u32_e32 17, v110
	s_cbranch_execz .LBB35_161
; %bb.155:
	v_cmp_neq_f32_e32 vcc_lo, 0, v70
	v_cmp_neq_f32_e64 s1, 0, v71
	ds_store_b64 v111, v[70:71]
	s_or_b32 s1, vcc_lo, s1
	s_delay_alu instid0(SALU_CYCLE_1)
	s_and_b32 exec_lo, exec_lo, s1
	s_cbranch_execz .LBB35_161
; %bb.156:
	v_cmp_ngt_f32_e64 s1, |v70|, |v71|
                                        ; implicit-def: $vgpr108_vgpr109
	s_and_saveexec_b32 s4, s1
	s_delay_alu instid0(SALU_CYCLE_1)
	s_xor_b32 s1, exec_lo, s4
	s_cbranch_execz .LBB35_158
; %bb.157:
	v_div_scale_f32 v108, null, v71, v71, v70
	v_div_scale_f32 v113, vcc_lo, v70, v71, v70
	s_delay_alu instid0(VALU_DEP_2) | instskip(SKIP_1) | instid1(TRANS32_DEP_1)
	v_rcp_f32_e32 v109, v108
	v_nop
	v_fma_f32 v112, -v108, v109, 1.0
	s_delay_alu instid0(VALU_DEP_1) | instskip(NEXT) | instid1(VALU_DEP_1)
	v_fmac_f32_e32 v109, v112, v109
	v_mul_f32_e32 v112, v113, v109
	s_delay_alu instid0(VALU_DEP_1) | instskip(NEXT) | instid1(VALU_DEP_1)
	v_fma_f32 v114, -v108, v112, v113
	v_fmac_f32_e32 v112, v114, v109
	s_delay_alu instid0(VALU_DEP_1) | instskip(NEXT) | instid1(VALU_DEP_1)
	v_fma_f32 v108, -v108, v112, v113
	v_div_fmas_f32 v108, v108, v109, v112
	s_delay_alu instid0(VALU_DEP_1) | instskip(NEXT) | instid1(VALU_DEP_1)
	v_div_fixup_f32 v108, v108, v71, v70
	v_fma_f32 v109, v70, v108, v71
	s_delay_alu instid0(VALU_DEP_1) | instskip(SKIP_1) | instid1(VALU_DEP_2)
	v_div_scale_f32 v112, null, v109, v109, 1.0
	v_div_scale_f32 v115, vcc_lo, 1.0, v109, 1.0
	v_rcp_f32_e32 v113, v112
	v_nop
	s_delay_alu instid0(TRANS32_DEP_1) | instskip(NEXT) | instid1(VALU_DEP_1)
	v_fma_f32 v114, -v112, v113, 1.0
	v_fmac_f32_e32 v113, v114, v113
	s_delay_alu instid0(VALU_DEP_1) | instskip(NEXT) | instid1(VALU_DEP_1)
	v_mul_f32_e32 v114, v115, v113
	v_fma_f32 v116, -v112, v114, v115
	s_delay_alu instid0(VALU_DEP_1) | instskip(NEXT) | instid1(VALU_DEP_1)
	v_fmac_f32_e32 v114, v116, v113
	v_fma_f32 v112, -v112, v114, v115
	s_delay_alu instid0(VALU_DEP_1) | instskip(NEXT) | instid1(VALU_DEP_1)
	v_div_fmas_f32 v112, v112, v113, v114
	v_div_fixup_f32 v109, v112, v109, 1.0
	s_delay_alu instid0(VALU_DEP_1)
	v_mul_f32_e32 v108, v108, v109
	v_xor_b32_e32 v109, 0x80000000, v109
.LBB35_158:
	s_and_not1_saveexec_b32 s1, s1
	s_cbranch_execz .LBB35_160
; %bb.159:
	v_div_scale_f32 v108, null, v70, v70, v71
	v_div_scale_f32 v113, vcc_lo, v71, v70, v71
	s_delay_alu instid0(VALU_DEP_2) | instskip(SKIP_1) | instid1(TRANS32_DEP_1)
	v_rcp_f32_e32 v109, v108
	v_nop
	v_fma_f32 v112, -v108, v109, 1.0
	s_delay_alu instid0(VALU_DEP_1) | instskip(NEXT) | instid1(VALU_DEP_1)
	v_fmac_f32_e32 v109, v112, v109
	v_mul_f32_e32 v112, v113, v109
	s_delay_alu instid0(VALU_DEP_1) | instskip(NEXT) | instid1(VALU_DEP_1)
	v_fma_f32 v114, -v108, v112, v113
	v_fmac_f32_e32 v112, v114, v109
	s_delay_alu instid0(VALU_DEP_1) | instskip(NEXT) | instid1(VALU_DEP_1)
	v_fma_f32 v108, -v108, v112, v113
	v_div_fmas_f32 v108, v108, v109, v112
	s_delay_alu instid0(VALU_DEP_1) | instskip(NEXT) | instid1(VALU_DEP_1)
	v_div_fixup_f32 v109, v108, v70, v71
	v_fma_f32 v108, v71, v109, v70
	s_delay_alu instid0(VALU_DEP_1) | instskip(NEXT) | instid1(VALU_DEP_1)
	v_div_scale_f32 v112, null, v108, v108, 1.0
	v_rcp_f32_e32 v113, v112
	v_nop
	s_delay_alu instid0(TRANS32_DEP_1) | instskip(NEXT) | instid1(VALU_DEP_1)
	v_fma_f32 v114, -v112, v113, 1.0
	v_fmac_f32_e32 v113, v114, v113
	v_div_scale_f32 v114, vcc_lo, 1.0, v108, 1.0
	s_delay_alu instid0(VALU_DEP_1) | instskip(NEXT) | instid1(VALU_DEP_1)
	v_mul_f32_e32 v115, v114, v113
	v_fma_f32 v116, -v112, v115, v114
	s_delay_alu instid0(VALU_DEP_1) | instskip(NEXT) | instid1(VALU_DEP_1)
	v_fmac_f32_e32 v115, v116, v113
	v_fma_f32 v112, -v112, v115, v114
	s_delay_alu instid0(VALU_DEP_1) | instskip(NEXT) | instid1(VALU_DEP_1)
	v_div_fmas_f32 v112, v112, v113, v115
	v_div_fixup_f32 v108, v112, v108, 1.0
	s_delay_alu instid0(VALU_DEP_1)
	v_mul_f32_e64 v109, v109, -v108
.LBB35_160:
	s_or_b32 exec_lo, exec_lo, s1
	ds_store_b64 v111, v[108:109]
.LBB35_161:
	s_or_b32 exec_lo, exec_lo, s2
	s_wait_dscnt 0x0
	s_barrier_signal -1
	s_barrier_wait -1
	ds_load_b64 v[108:109], v111
	s_wait_dscnt 0x0
	s_barrier_signal -1
	s_barrier_wait -1
	s_and_saveexec_b32 s4, s0
	s_cbranch_execz .LBB35_164
; %bb.162:
	v_lshl_add_u64 v[2:3], v[2:3], 2, s[6:7]
	v_cmp_eq_f32_e32 vcc_lo, 0, v74
	v_cmp_eq_f32_e64 s0, 0, v75
	v_cmp_neq_f32_e64 s1, 0, v76
	v_cmp_neq_f32_e64 s2, 0, v77
	global_load_b32 v111, v[2:3], off
	s_and_b32 s0, vcc_lo, s0
	s_delay_alu instid0(SALU_CYCLE_1) | instskip(SKIP_1) | instid1(SALU_CYCLE_1)
	v_cndmask_b32_e64 v74, 0, 1, s0
	s_or_b32 s1, s1, s2
	s_or_b32 vcc_lo, s1, s0
	v_cmp_eq_f32_e64 s0, 0, v79
	s_delay_alu instid0(VALU_DEP_2) | instskip(SKIP_1) | instid1(VALU_DEP_2)
	v_cndmask_b32_e32 v74, 2, v74, vcc_lo
	v_cmp_eq_f32_e32 vcc_lo, 0, v78
	v_cmp_eq_u32_e64 s1, 0, v74
	s_and_b32 s0, vcc_lo, s0
	v_cmp_eq_f32_e32 vcc_lo, 0, v80
	s_and_b32 s0, s0, s1
	s_delay_alu instid0(SALU_CYCLE_1) | instskip(SKIP_1) | instid1(VALU_DEP_2)
	v_cndmask_b32_e64 v74, v74, 3, s0
	v_cmp_eq_f32_e64 s0, 0, v81
	v_cmp_eq_u32_e64 s1, 0, v74
	s_and_b32 s0, vcc_lo, s0
	v_cmp_eq_f32_e32 vcc_lo, 0, v82
	s_and_b32 s0, s0, s1
	s_delay_alu instid0(SALU_CYCLE_1) | instskip(SKIP_1) | instid1(VALU_DEP_2)
	v_cndmask_b32_e64 v74, v74, 4, s0
	v_cmp_eq_f32_e64 s0, 0, v83
	;; [unrolled: 7-line block ×15, first 2 shown]
	v_cmp_eq_u32_e64 s1, 0, v74
	s_and_b32 s0, vcc_lo, s0
	s_delay_alu instid0(SALU_CYCLE_1) | instskip(NEXT) | instid1(SALU_CYCLE_1)
	s_and_b32 s0, s0, s1
	v_cndmask_b32_e64 v74, v74, 18, s0
	s_delay_alu instid0(VALU_DEP_1) | instskip(SKIP_3) | instid1(SALU_CYCLE_1)
	v_cmp_ne_u32_e64 s0, 0, v74
	s_wait_loadcnt 0x0
	v_cmp_eq_u32_e32 vcc_lo, 0, v111
	s_and_b32 s0, vcc_lo, s0
	s_and_b32 exec_lo, exec_lo, s0
	s_cbranch_execz .LBB35_164
; %bb.163:
	v_add_nc_u32_e32 v74, s3, v74
	global_store_b32 v[2:3], v74, off
.LBB35_164:
	s_wait_xcnt 0x0
	s_or_b32 exec_lo, exec_lo, s4
	v_pk_mul_f32 v[2:3], v[108:109], v[70:71] op_sel:[1,1] op_sel_hi:[0,1]
	s_clause 0x1
	global_store_b64 v[18:19], v[40:41], off
	global_store_b64 v[34:35], v[42:43], off
	v_cmp_lt_u32_e32 vcc_lo, 17, v110
	s_clause 0x2
	global_store_b64 v[6:7], v[38:39], off
	global_store_b64 v[14:15], v[36:37], off
	;; [unrolled: 1-line block ×3, first 2 shown]
	s_wait_xcnt 0x4
	v_pk_fma_f32 v[18:19], v[108:109], v[70:71], v[2:3] op_sel_hi:[1,0,1]
	v_pk_fma_f32 v[2:3], v[108:109], v[70:71], v[2:3] neg_lo:[0,0,1] neg_hi:[0,0,1]
	s_delay_alu instid0(VALU_DEP_1)
	v_dual_cndmask_b32 v3, v71, v19 :: v_dual_cndmask_b32 v2, v70, v2
	s_clause 0xc
	global_store_b64 v[0:1], v[24:25], off
	global_store_b64 v[4:5], v[26:27], off
	;; [unrolled: 1-line block ×13, first 2 shown]
.LBB35_165:
	s_sendmsg sendmsg(MSG_DEALLOC_VGPRS)
	s_endpgm
	.section	.rodata,"a",@progbits
	.p2align	6, 0x0
	.amdhsa_kernel _ZN9rocsolver6v33100L23getf2_npvt_small_kernelILi18E19rocblas_complex_numIfEiiPS3_EEvT1_T3_lS5_lPT2_S5_S5_
		.amdhsa_group_segment_fixed_size 0
		.amdhsa_private_segment_fixed_size 0
		.amdhsa_kernarg_size 312
		.amdhsa_user_sgpr_count 2
		.amdhsa_user_sgpr_dispatch_ptr 0
		.amdhsa_user_sgpr_queue_ptr 0
		.amdhsa_user_sgpr_kernarg_segment_ptr 1
		.amdhsa_user_sgpr_dispatch_id 0
		.amdhsa_user_sgpr_kernarg_preload_length 0
		.amdhsa_user_sgpr_kernarg_preload_offset 0
		.amdhsa_user_sgpr_private_segment_size 0
		.amdhsa_wavefront_size32 1
		.amdhsa_uses_dynamic_stack 0
		.amdhsa_enable_private_segment 0
		.amdhsa_system_sgpr_workgroup_id_x 1
		.amdhsa_system_sgpr_workgroup_id_y 1
		.amdhsa_system_sgpr_workgroup_id_z 0
		.amdhsa_system_sgpr_workgroup_info 0
		.amdhsa_system_vgpr_workitem_id 1
		.amdhsa_next_free_vgpr 128
		.amdhsa_next_free_sgpr 15
		.amdhsa_named_barrier_count 0
		.amdhsa_reserve_vcc 1
		.amdhsa_float_round_mode_32 0
		.amdhsa_float_round_mode_16_64 0
		.amdhsa_float_denorm_mode_32 3
		.amdhsa_float_denorm_mode_16_64 3
		.amdhsa_fp16_overflow 0
		.amdhsa_memory_ordered 1
		.amdhsa_forward_progress 1
		.amdhsa_inst_pref_size 171
		.amdhsa_round_robin_scheduling 0
		.amdhsa_exception_fp_ieee_invalid_op 0
		.amdhsa_exception_fp_denorm_src 0
		.amdhsa_exception_fp_ieee_div_zero 0
		.amdhsa_exception_fp_ieee_overflow 0
		.amdhsa_exception_fp_ieee_underflow 0
		.amdhsa_exception_fp_ieee_inexact 0
		.amdhsa_exception_int_div_zero 0
	.end_amdhsa_kernel
	.section	.text._ZN9rocsolver6v33100L23getf2_npvt_small_kernelILi18E19rocblas_complex_numIfEiiPS3_EEvT1_T3_lS5_lPT2_S5_S5_,"axG",@progbits,_ZN9rocsolver6v33100L23getf2_npvt_small_kernelILi18E19rocblas_complex_numIfEiiPS3_EEvT1_T3_lS5_lPT2_S5_S5_,comdat
.Lfunc_end35:
	.size	_ZN9rocsolver6v33100L23getf2_npvt_small_kernelILi18E19rocblas_complex_numIfEiiPS3_EEvT1_T3_lS5_lPT2_S5_S5_, .Lfunc_end35-_ZN9rocsolver6v33100L23getf2_npvt_small_kernelILi18E19rocblas_complex_numIfEiiPS3_EEvT1_T3_lS5_lPT2_S5_S5_
                                        ; -- End function
	.set _ZN9rocsolver6v33100L23getf2_npvt_small_kernelILi18E19rocblas_complex_numIfEiiPS3_EEvT1_T3_lS5_lPT2_S5_S5_.num_vgpr, 128
	.set _ZN9rocsolver6v33100L23getf2_npvt_small_kernelILi18E19rocblas_complex_numIfEiiPS3_EEvT1_T3_lS5_lPT2_S5_S5_.num_agpr, 0
	.set _ZN9rocsolver6v33100L23getf2_npvt_small_kernelILi18E19rocblas_complex_numIfEiiPS3_EEvT1_T3_lS5_lPT2_S5_S5_.numbered_sgpr, 15
	.set _ZN9rocsolver6v33100L23getf2_npvt_small_kernelILi18E19rocblas_complex_numIfEiiPS3_EEvT1_T3_lS5_lPT2_S5_S5_.num_named_barrier, 0
	.set _ZN9rocsolver6v33100L23getf2_npvt_small_kernelILi18E19rocblas_complex_numIfEiiPS3_EEvT1_T3_lS5_lPT2_S5_S5_.private_seg_size, 0
	.set _ZN9rocsolver6v33100L23getf2_npvt_small_kernelILi18E19rocblas_complex_numIfEiiPS3_EEvT1_T3_lS5_lPT2_S5_S5_.uses_vcc, 1
	.set _ZN9rocsolver6v33100L23getf2_npvt_small_kernelILi18E19rocblas_complex_numIfEiiPS3_EEvT1_T3_lS5_lPT2_S5_S5_.uses_flat_scratch, 0
	.set _ZN9rocsolver6v33100L23getf2_npvt_small_kernelILi18E19rocblas_complex_numIfEiiPS3_EEvT1_T3_lS5_lPT2_S5_S5_.has_dyn_sized_stack, 0
	.set _ZN9rocsolver6v33100L23getf2_npvt_small_kernelILi18E19rocblas_complex_numIfEiiPS3_EEvT1_T3_lS5_lPT2_S5_S5_.has_recursion, 0
	.set _ZN9rocsolver6v33100L23getf2_npvt_small_kernelILi18E19rocblas_complex_numIfEiiPS3_EEvT1_T3_lS5_lPT2_S5_S5_.has_indirect_call, 0
	.section	.AMDGPU.csdata,"",@progbits
; Kernel info:
; codeLenInByte = 21764
; TotalNumSgprs: 17
; NumVgprs: 128
; ScratchSize: 0
; MemoryBound: 0
; FloatMode: 240
; IeeeMode: 1
; LDSByteSize: 0 bytes/workgroup (compile time only)
; SGPRBlocks: 0
; VGPRBlocks: 7
; NumSGPRsForWavesPerEU: 17
; NumVGPRsForWavesPerEU: 128
; NamedBarCnt: 0
; Occupancy: 8
; WaveLimiterHint : 0
; COMPUTE_PGM_RSRC2:SCRATCH_EN: 0
; COMPUTE_PGM_RSRC2:USER_SGPR: 2
; COMPUTE_PGM_RSRC2:TRAP_HANDLER: 0
; COMPUTE_PGM_RSRC2:TGID_X_EN: 1
; COMPUTE_PGM_RSRC2:TGID_Y_EN: 1
; COMPUTE_PGM_RSRC2:TGID_Z_EN: 0
; COMPUTE_PGM_RSRC2:TIDIG_COMP_CNT: 1
	.section	.text._ZN9rocsolver6v33100L18getf2_small_kernelILi19E19rocblas_complex_numIfEiiPS3_EEvT1_T3_lS5_lPS5_llPT2_S5_S5_S7_l,"axG",@progbits,_ZN9rocsolver6v33100L18getf2_small_kernelILi19E19rocblas_complex_numIfEiiPS3_EEvT1_T3_lS5_lPS5_llPT2_S5_S5_S7_l,comdat
	.globl	_ZN9rocsolver6v33100L18getf2_small_kernelILi19E19rocblas_complex_numIfEiiPS3_EEvT1_T3_lS5_lPS5_llPT2_S5_S5_S7_l ; -- Begin function _ZN9rocsolver6v33100L18getf2_small_kernelILi19E19rocblas_complex_numIfEiiPS3_EEvT1_T3_lS5_lPS5_llPT2_S5_S5_S7_l
	.p2align	8
	.type	_ZN9rocsolver6v33100L18getf2_small_kernelILi19E19rocblas_complex_numIfEiiPS3_EEvT1_T3_lS5_lPS5_llPT2_S5_S5_S7_l,@function
_ZN9rocsolver6v33100L18getf2_small_kernelILi19E19rocblas_complex_numIfEiiPS3_EEvT1_T3_lS5_lPS5_llPT2_S5_S5_S7_l: ; @_ZN9rocsolver6v33100L18getf2_small_kernelILi19E19rocblas_complex_numIfEiiPS3_EEvT1_T3_lS5_lPS5_llPT2_S5_S5_S7_l
; %bb.0:
	s_clause 0x1
	s_load_u16 s2, s[0:1], 0x6e
	s_load_b64 s[12:13], s[0:1], 0x48
	s_bfe_u32 s3, ttmp6, 0x40010
	s_bfe_u32 s4, ttmp6, 0x40004
	s_add_co_i32 s3, s3, 1
	s_getreg_b32 s5, hwreg(HW_REG_IB_STS2, 6, 4)
	s_mul_i32 s3, ttmp7, s3
	v_bfe_u32 v46, v0, 10, 10
	s_add_co_i32 s4, s4, s3
	s_cmp_eq_u32 s5, 0
	s_cselect_b32 s3, ttmp7, s4
	s_wait_kmcnt 0x0
	v_mad_u32 v2, s3, s2, v46
	s_mov_b32 s2, exec_lo
	s_delay_alu instid0(VALU_DEP_1)
	v_cmpx_gt_i32_e64 s12, v2
	s_cbranch_execz .LBB36_400
; %bb.1:
	s_load_b128 s[4:7], s[0:1], 0x50
	v_mov_b64_e32 v[32:33], 0
	v_ashrrev_i32_e32 v3, 31, v2
	s_wait_kmcnt 0x0
	s_cmp_eq_u64 s[4:5], 0
	s_cselect_b32 s12, -1, 0
	s_delay_alu instid0(SALU_CYCLE_1)
	s_and_b32 vcc_lo, exec_lo, s12
	s_cbranch_vccnz .LBB36_3
; %bb.2:
	v_mul_u64_e32 v[4:5], s[6:7], v[2:3]
	s_delay_alu instid0(VALU_DEP_1)
	v_lshl_add_u64 v[32:33], v[4:5], 2, s[4:5]
.LBB36_3:
	s_clause 0x1
	s_load_b32 s2, s[0:1], 0x18
	s_load_b256 s[4:11], s[0:1], 0x20
	v_and_b32_e32 v50, 0x3ff, v0
	s_clause 0x1
	s_load_b128 s[16:19], s[0:1], 0x8
	s_load_b32 s14, s[0:1], 0x0
	v_mov_b32_e32 v45, 0
	s_wait_kmcnt 0x0
	v_add3_u32 v4, s2, s2, v50
	v_mul_u64_e32 v[0:1], s[4:5], v[2:3]
	v_lshlrev_b32_e32 v44, 3, v50
	s_ashr_i32 s3, s2, 31
	s_max_i32 s4, s14, 19
	v_dual_add_nc_u32 v6, s2, v4 :: v_dual_ashrrev_i32 v5, 31, v4
	s_cmp_lt_i32 s14, 2
	s_delay_alu instid0(VALU_DEP_1) | instskip(NEXT) | instid1(VALU_DEP_1)
	v_add_nc_u32_e32 v8, s2, v6
	v_add_nc_u32_e32 v10, s2, v8
	s_delay_alu instid0(VALU_DEP_1) | instskip(NEXT) | instid1(VALU_DEP_1)
	v_add_nc_u32_e32 v12, s2, v10
	v_dual_add_nc_u32 v14, s2, v12 :: v_dual_ashrrev_i32 v13, 31, v12
	s_delay_alu instid0(VALU_DEP_1) | instskip(SKIP_3) | instid1(VALU_DEP_4)
	v_dual_ashrrev_i32 v9, 31, v8 :: v_dual_add_nc_u32 v16, s2, v14
	v_ashrrev_i32_e32 v11, 31, v10
	v_ashrrev_i32_e32 v15, 31, v14
	v_lshl_add_u64 v[0:1], v[0:1], 3, s[16:17]
	v_dual_add_nc_u32 v18, s2, v16 :: v_dual_ashrrev_i32 v17, 31, v16
	s_delay_alu instid0(VALU_DEP_2) | instskip(NEXT) | instid1(VALU_DEP_2)
	v_lshl_add_u64 v[0:1], s[18:19], 3, v[0:1]
	v_add_nc_u32_e32 v24, s2, v18
	v_ashrrev_i32_e32 v7, 31, v6
	v_ashrrev_i32_e32 v19, 31, v18
	s_delay_alu instid0(VALU_DEP_4)
	v_add_nc_u64_e32 v[28:29], v[0:1], v[44:45]
	v_lshl_add_u64 v[10:11], v[10:11], 3, v[0:1]
	v_add_nc_u32_e32 v26, s2, v24
	v_lshl_add_u64 v[8:9], v[8:9], 3, v[0:1]
	v_lshl_add_u64 v[12:13], v[12:13], 3, v[0:1]
	;; [unrolled: 1-line block ×4, first 2 shown]
	v_add_nc_u32_e32 v42, s2, v26
	v_lshl_add_u64 v[48:49], v[6:7], 3, v[0:1]
	v_ashrrev_i32_e32 v25, 31, v24
	v_lshl_add_u64 v[56:57], s[2:3], 3, v[28:29]
	s_clause 0x3
	global_load_b64 v[22:23], v[8:9], off
	global_load_b64 v[20:21], v[10:11], off
	;; [unrolled: 1-line block ×4, first 2 shown]
	v_add_nc_u32_e32 v52, s2, v42
	v_ashrrev_i32_e32 v27, 31, v26
	v_lshl_add_u64 v[16:17], v[16:17], 3, v[0:1]
	s_wait_xcnt 0x3
	v_lshl_add_u64 v[8:9], v[24:25], 3, v[0:1]
	s_clause 0x3
	global_load_b64 v[38:39], v[56:57], off
	global_load_b64 v[36:37], v[30:31], off
	;; [unrolled: 1-line block ×4, first 2 shown]
	v_dual_add_nc_u32 v54, s2, v52 :: v_dual_ashrrev_i32 v43, 31, v42
	v_lshl_add_u64 v[24:25], v[26:27], 3, v[0:1]
	v_lshl_add_u64 v[18:19], v[18:19], 3, v[0:1]
	s_clause 0x3
	global_load_b64 v[30:31], v[16:17], off
	global_load_b64 v[28:29], v[18:19], off
	;; [unrolled: 1-line block ×4, first 2 shown]
	v_dual_add_nc_u32 v58, s2, v54 :: v_dual_ashrrev_i32 v53, 31, v52
	v_lshl_add_u64 v[48:49], v[42:43], 3, v[0:1]
	s_delay_alu instid0(VALU_DEP_2) | instskip(NEXT) | instid1(VALU_DEP_3)
	v_dual_add_nc_u32 v10, s2, v58 :: v_dual_ashrrev_i32 v59, 31, v58
	v_lshl_add_u64 v[52:53], v[52:53], 3, v[0:1]
	s_delay_alu instid0(VALU_DEP_2) | instskip(NEXT) | instid1(VALU_DEP_3)
	v_dual_add_nc_u32 v26, s2, v10 :: v_dual_ashrrev_i32 v11, 31, v10
	v_lshl_add_u64 v[56:57], v[58:59], 3, v[0:1]
	s_wait_xcnt 0x1
	s_delay_alu instid0(VALU_DEP_2) | instskip(SKIP_3) | instid1(VALU_DEP_4)
	v_add_nc_u32_e32 v8, s2, v26
	v_ashrrev_i32_e32 v55, 31, v54
	v_ashrrev_i32_e32 v27, 31, v26
	v_lshl_add_u64 v[58:59], v[10:11], 3, v[0:1]
	v_ashrrev_i32_e32 v9, 31, v8
	s_delay_alu instid0(VALU_DEP_4) | instskip(NEXT) | instid1(VALU_DEP_4)
	v_lshl_add_u64 v[54:55], v[54:55], 3, v[0:1]
	v_lshl_add_u64 v[60:61], v[26:27], 3, v[0:1]
	s_delay_alu instid0(VALU_DEP_3)
	v_lshl_add_u64 v[62:63], v[8:9], 3, v[0:1]
	s_clause 0x6
	global_load_b64 v[26:27], v[48:49], off
	global_load_b64 v[24:25], v[52:53], off
	;; [unrolled: 1-line block ×7, first 2 shown]
	s_wait_xcnt 0x6
	v_mul_lo_u32 v49, s4, v46
	s_load_b64 s[4:5], s[0:1], 0x40
	s_delay_alu instid0(VALU_DEP_1) | instskip(NEXT) | instid1(VALU_DEP_1)
	v_lshl_add_u32 v48, v49, 3, 0
	v_dual_lshlrev_b32 v49, 3, v49 :: v_dual_add_nc_u32 v44, v48, v44
	s_wait_loadcnt 0xb
	ds_store_b64 v44, v[40:41]
	s_wait_loadcnt_dscnt 0x0
	s_barrier_signal -1
	s_barrier_wait -1
	ds_load_b64 v[46:47], v48
	s_cbranch_scc1 .LBB36_6
; %bb.4:
	v_add3_u32 v44, v49, 0, 8
	v_mov_b32_e32 v45, 0
	s_wait_xcnt 0x0
	s_mov_b32 s0, 1
.LBB36_5:                               ; =>This Inner Loop Header: Depth=1
	ds_load_b64 v[52:53], v44
	s_wait_dscnt 0x1
	v_cmp_gt_f32_e32 vcc_lo, 0, v46
	v_cndmask_b32_e64 v54, v46, -v46, vcc_lo
	v_cmp_gt_f32_e32 vcc_lo, 0, v47
	v_cndmask_b32_e64 v56, v47, -v47, vcc_lo
	s_wait_dscnt 0x0
	v_cmp_gt_f32_e32 vcc_lo, 0, v52
	v_cndmask_b32_e64 v55, v52, -v52, vcc_lo
	v_cmp_gt_f32_e32 vcc_lo, 0, v53
	v_cndmask_b32_e64 v57, v53, -v53, vcc_lo
	s_delay_alu instid0(VALU_DEP_1) | instskip(NEXT) | instid1(VALU_DEP_1)
	v_pk_add_f32 v[54:55], v[54:55], v[56:57]
	v_cmp_lt_f32_e32 vcc_lo, v54, v55
	v_dual_cndmask_b32 v47, v47, v53 :: v_dual_add_nc_u32 v44, 8, v44
	v_cndmask_b32_e32 v46, v46, v52, vcc_lo
	v_cndmask_b32_e64 v45, v45, s0, vcc_lo
	s_add_co_i32 s0, s0, 1
	s_delay_alu instid0(SALU_CYCLE_1)
	s_cmp_eq_u32 s14, s0
	s_cbranch_scc0 .LBB36_5
.LBB36_6:
	s_wait_dscnt 0x0
	v_cmp_neq_f32_e32 vcc_lo, 0, v46
	s_wait_xcnt 0x0
	v_cmp_neq_f32_e64 s0, 0, v47
	v_dual_mov_b32 v51, 1 :: v_dual_mov_b32 v53, 1
	s_or_b32 s1, vcc_lo, s0
	s_delay_alu instid0(SALU_CYCLE_1)
	s_and_saveexec_b32 s0, s1
	s_cbranch_execz .LBB36_12
; %bb.7:
	v_cmp_ngt_f32_e64 s1, |v46|, |v47|
	s_and_saveexec_b32 s15, s1
	s_delay_alu instid0(SALU_CYCLE_1)
	s_xor_b32 s1, exec_lo, s15
	s_cbranch_execz .LBB36_9
; %bb.8:
	v_div_scale_f32 v44, null, v47, v47, v46
	v_div_scale_f32 v53, vcc_lo, v46, v47, v46
	s_delay_alu instid0(VALU_DEP_2) | instskip(SKIP_1) | instid1(TRANS32_DEP_1)
	v_rcp_f32_e32 v51, v44
	v_nop
	v_fma_f32 v52, -v44, v51, 1.0
	s_delay_alu instid0(VALU_DEP_1) | instskip(NEXT) | instid1(VALU_DEP_1)
	v_fmac_f32_e32 v51, v52, v51
	v_mul_f32_e32 v52, v53, v51
	s_delay_alu instid0(VALU_DEP_1) | instskip(NEXT) | instid1(VALU_DEP_1)
	v_fma_f32 v54, -v44, v52, v53
	v_fmac_f32_e32 v52, v54, v51
	s_delay_alu instid0(VALU_DEP_1) | instskip(NEXT) | instid1(VALU_DEP_1)
	v_fma_f32 v44, -v44, v52, v53
	v_div_fmas_f32 v44, v44, v51, v52
	s_delay_alu instid0(VALU_DEP_1) | instskip(NEXT) | instid1(VALU_DEP_1)
	v_div_fixup_f32 v44, v44, v47, v46
	v_fmac_f32_e32 v47, v46, v44
	s_delay_alu instid0(VALU_DEP_1) | instskip(SKIP_1) | instid1(VALU_DEP_2)
	v_div_scale_f32 v46, null, v47, v47, 1.0
	v_div_scale_f32 v53, vcc_lo, 1.0, v47, 1.0
	v_rcp_f32_e32 v51, v46
	v_nop
	s_delay_alu instid0(TRANS32_DEP_1) | instskip(NEXT) | instid1(VALU_DEP_1)
	v_fma_f32 v52, -v46, v51, 1.0
	v_fmac_f32_e32 v51, v52, v51
	s_delay_alu instid0(VALU_DEP_1) | instskip(NEXT) | instid1(VALU_DEP_1)
	v_mul_f32_e32 v52, v53, v51
	v_fma_f32 v54, -v46, v52, v53
	s_delay_alu instid0(VALU_DEP_1) | instskip(NEXT) | instid1(VALU_DEP_1)
	v_fmac_f32_e32 v52, v54, v51
	v_fma_f32 v46, -v46, v52, v53
	s_delay_alu instid0(VALU_DEP_1) | instskip(NEXT) | instid1(VALU_DEP_1)
	v_div_fmas_f32 v46, v46, v51, v52
	v_div_fixup_f32 v47, v46, v47, 1.0
	s_delay_alu instid0(VALU_DEP_1)
	v_mul_f32_e32 v46, v44, v47
	v_xor_b32_e32 v47, 0x80000000, v47
.LBB36_9:
	s_and_not1_saveexec_b32 s1, s1
	s_cbranch_execz .LBB36_11
; %bb.10:
	s_delay_alu instid0(VALU_DEP_1) | instskip(SKIP_1) | instid1(VALU_DEP_2)
	v_div_scale_f32 v44, null, v46, v46, v47
	v_div_scale_f32 v53, vcc_lo, v47, v46, v47
	v_rcp_f32_e32 v51, v44
	v_nop
	s_delay_alu instid0(TRANS32_DEP_1) | instskip(NEXT) | instid1(VALU_DEP_1)
	v_fma_f32 v52, -v44, v51, 1.0
	v_fmac_f32_e32 v51, v52, v51
	s_delay_alu instid0(VALU_DEP_1) | instskip(NEXT) | instid1(VALU_DEP_1)
	v_mul_f32_e32 v52, v53, v51
	v_fma_f32 v54, -v44, v52, v53
	s_delay_alu instid0(VALU_DEP_1) | instskip(NEXT) | instid1(VALU_DEP_1)
	v_fmac_f32_e32 v52, v54, v51
	v_fma_f32 v44, -v44, v52, v53
	s_delay_alu instid0(VALU_DEP_1) | instskip(NEXT) | instid1(VALU_DEP_1)
	v_div_fmas_f32 v44, v44, v51, v52
	v_div_fixup_f32 v44, v44, v46, v47
	s_delay_alu instid0(VALU_DEP_1) | instskip(NEXT) | instid1(VALU_DEP_1)
	v_fmac_f32_e32 v46, v47, v44
	v_div_scale_f32 v47, null, v46, v46, 1.0
	s_delay_alu instid0(VALU_DEP_1) | instskip(SKIP_1) | instid1(TRANS32_DEP_1)
	v_rcp_f32_e32 v51, v47
	v_nop
	v_fma_f32 v52, -v47, v51, 1.0
	s_delay_alu instid0(VALU_DEP_1) | instskip(SKIP_1) | instid1(VALU_DEP_1)
	v_fmac_f32_e32 v51, v52, v51
	v_div_scale_f32 v52, vcc_lo, 1.0, v46, 1.0
	v_mul_f32_e32 v53, v52, v51
	s_delay_alu instid0(VALU_DEP_1) | instskip(NEXT) | instid1(VALU_DEP_1)
	v_fma_f32 v54, -v47, v53, v52
	v_fmac_f32_e32 v53, v54, v51
	s_delay_alu instid0(VALU_DEP_1) | instskip(NEXT) | instid1(VALU_DEP_1)
	v_fma_f32 v47, -v47, v53, v52
	v_div_fmas_f32 v47, v47, v51, v53
	s_delay_alu instid0(VALU_DEP_1) | instskip(NEXT) | instid1(VALU_DEP_1)
	v_div_fixup_f32 v46, v47, v46, 1.0
	v_mul_f32_e64 v47, v44, -v46
.LBB36_11:
	s_or_b32 exec_lo, exec_lo, s1
	v_dual_mov_b32 v53, 0 :: v_dual_mov_b32 v51, 2
.LBB36_12:
	s_or_b32 exec_lo, exec_lo, s0
	s_delay_alu instid0(SALU_CYCLE_1)
	s_mov_b32 s0, exec_lo
	v_cmpx_ne_u32_e64 v50, v45
	s_xor_b32 s0, exec_lo, s0
	s_cbranch_execz .LBB36_18
; %bb.13:
	s_mov_b32 s1, exec_lo
	v_cmpx_eq_u32_e32 0, v50
	s_cbranch_execz .LBB36_17
; %bb.14:
	v_cmp_ne_u32_e32 vcc_lo, 0, v45
	s_xor_b32 s15, s12, -1
	s_delay_alu instid0(SALU_CYCLE_1) | instskip(NEXT) | instid1(SALU_CYCLE_1)
	s_and_b32 s16, s15, vcc_lo
	s_and_saveexec_b32 s15, s16
	s_cbranch_execz .LBB36_16
; %bb.15:
	v_dual_mov_b32 v54, v45 :: v_dual_ashrrev_i32 v55, 31, v45
	s_delay_alu instid0(VALU_DEP_1)
	v_lshl_add_u64 v[54:55], v[54:55], 2, v[32:33]
	s_clause 0x1
	global_load_b32 v44, v[54:55], off
	global_load_b32 v50, v[32:33], off
	s_wait_loadcnt 0x1
	global_store_b32 v[32:33], v44, off
	s_wait_loadcnt 0x0
	global_store_b32 v[54:55], v50, off
.LBB36_16:
	s_wait_xcnt 0x0
	s_or_b32 exec_lo, exec_lo, s15
	v_mov_b32_e32 v50, v45
.LBB36_17:
	s_or_b32 exec_lo, exec_lo, s1
.LBB36_18:
	s_or_saveexec_b32 s0, s0
	s_delay_alu instid0(VALU_DEP_1)
	v_mov_b32_e32 v52, v50
	s_xor_b32 exec_lo, exec_lo, s0
	s_cbranch_execz .LBB36_20
; %bb.19:
	v_mov_b32_e32 v52, 0
	ds_store_2addr_b64 v48, v[38:39], v[36:37] offset0:1 offset1:2
	ds_store_2addr_b64 v48, v[34:35], v[22:23] offset0:3 offset1:4
	;; [unrolled: 1-line block ×9, first 2 shown]
.LBB36_20:
	s_or_b32 exec_lo, exec_lo, s0
	s_delay_alu instid0(SALU_CYCLE_1)
	s_mov_b32 s0, exec_lo
	s_wait_storecnt_dscnt 0x0
	s_barrier_signal -1
	s_barrier_wait -1
	v_cmpx_lt_i32_e32 0, v52
	s_cbranch_execz .LBB36_22
; %bb.21:
	v_pk_mul_f32 v[54:55], v[46:47], v[40:41] op_sel:[1,1] op_sel_hi:[0,1]
	s_delay_alu instid0(VALU_DEP_1)
	v_pk_fma_f32 v[44:45], v[46:47], v[40:41], v[54:55] op_sel_hi:[1,0,1] neg_lo:[0,0,1] neg_hi:[0,0,1]
	v_pk_fma_f32 v[46:47], v[46:47], v[40:41], v[54:55] op_sel_hi:[1,0,1]
	ds_load_2addr_b64 v[54:57], v48 offset0:1 offset1:2
	v_dual_mov_b32 v40, v44 :: v_dual_mov_b32 v41, v47
	s_wait_dscnt 0x0
	v_pk_mul_f32 v[58:59], v[54:55], v[46:47] op_sel:[0,1]
	s_delay_alu instid0(VALU_DEP_1) | instskip(SKIP_1) | instid1(VALU_DEP_1)
	v_pk_fma_f32 v[60:61], v[54:55], v[44:45], v[58:59] op_sel:[0,0,1] op_sel_hi:[1,1,0] neg_lo:[0,0,1] neg_hi:[0,0,1]
	v_pk_fma_f32 v[54:55], v[54:55], v[44:45], v[58:59] op_sel:[0,0,1] op_sel_hi:[1,0,0]
	v_mov_b32_e32 v61, v55
	v_pk_mul_f32 v[54:55], v[56:57], v[46:47] op_sel:[0,1]
	s_delay_alu instid0(VALU_DEP_1) | instskip(SKIP_1) | instid1(VALU_DEP_1)
	v_pk_fma_f32 v[58:59], v[56:57], v[44:45], v[54:55] op_sel:[0,0,1] op_sel_hi:[1,1,0] neg_lo:[0,0,1] neg_hi:[0,0,1]
	v_pk_fma_f32 v[54:55], v[56:57], v[44:45], v[54:55] op_sel:[0,0,1] op_sel_hi:[1,0,0]
	v_mov_b32_e32 v59, v55
	ds_load_2addr_b64 v[54:57], v48 offset0:3 offset1:4
	v_pk_add_f32 v[38:39], v[38:39], v[60:61] neg_lo:[0,1] neg_hi:[0,1]
	v_pk_add_f32 v[36:37], v[36:37], v[58:59] neg_lo:[0,1] neg_hi:[0,1]
	s_wait_dscnt 0x0
	v_pk_mul_f32 v[58:59], v[54:55], v[46:47] op_sel:[0,1]
	s_delay_alu instid0(VALU_DEP_1) | instskip(SKIP_2) | instid1(VALU_DEP_2)
	v_pk_fma_f32 v[60:61], v[54:55], v[44:45], v[58:59] op_sel:[0,0,1] op_sel_hi:[1,1,0] neg_lo:[0,0,1] neg_hi:[0,0,1]
	v_pk_fma_f32 v[54:55], v[54:55], v[44:45], v[58:59] op_sel:[0,0,1] op_sel_hi:[1,0,0]
	v_dual_mul_f32 v58, v57, v47 :: v_dual_mov_b32 v54, v57
	v_dual_mov_b32 v61, v55 :: v_dual_mov_b32 v55, v56
	s_delay_alu instid0(VALU_DEP_2) | instskip(SKIP_1) | instid1(VALU_DEP_3)
	v_pk_fma_f32 v[58:59], v[56:57], v[40:41], v[58:59] op_sel_hi:[1,1,0] neg_lo:[0,0,1] neg_hi:[0,0,1]
	v_mul_f32_e32 v56, v57, v44
	v_pk_add_f32 v[34:35], v[34:35], v[60:61] neg_lo:[0,1] neg_hi:[0,1]
	s_delay_alu instid0(VALU_DEP_2) | instskip(NEXT) | instid1(VALU_DEP_1)
	v_pk_fma_f32 v[54:55], v[54:55], v[40:41], v[56:57] op_sel_hi:[1,1,0]
	v_mov_b32_e32 v59, v55
	ds_load_2addr_b64 v[54:57], v48 offset0:5 offset1:6
	v_pk_add_f32 v[22:23], v[22:23], v[58:59] neg_lo:[0,1] neg_hi:[0,1]
	s_wait_dscnt 0x0
	v_pk_mul_f32 v[58:59], v[54:55], v[46:47] op_sel:[0,1]
	s_delay_alu instid0(VALU_DEP_1) | instskip(SKIP_1) | instid1(VALU_DEP_1)
	v_pk_fma_f32 v[60:61], v[54:55], v[44:45], v[58:59] op_sel:[0,0,1] op_sel_hi:[1,1,0] neg_lo:[0,0,1] neg_hi:[0,0,1]
	v_pk_fma_f32 v[54:55], v[54:55], v[44:45], v[58:59] op_sel:[0,0,1] op_sel_hi:[1,0,0]
	v_mov_b32_e32 v61, v55
	v_pk_mul_f32 v[54:55], v[56:57], v[46:47] op_sel:[0,1]
	s_delay_alu instid0(VALU_DEP_1) | instskip(SKIP_1) | instid1(VALU_DEP_1)
	v_pk_fma_f32 v[58:59], v[56:57], v[44:45], v[54:55] op_sel:[0,0,1] op_sel_hi:[1,1,0] neg_lo:[0,0,1] neg_hi:[0,0,1]
	v_pk_fma_f32 v[54:55], v[56:57], v[44:45], v[54:55] op_sel:[0,0,1] op_sel_hi:[1,0,0]
	v_mov_b32_e32 v59, v55
	ds_load_2addr_b64 v[54:57], v48 offset0:7 offset1:8
	v_pk_add_f32 v[20:21], v[20:21], v[60:61] neg_lo:[0,1] neg_hi:[0,1]
	v_pk_add_f32 v[6:7], v[6:7], v[58:59] neg_lo:[0,1] neg_hi:[0,1]
	s_wait_dscnt 0x0
	v_pk_mul_f32 v[58:59], v[54:55], v[46:47] op_sel:[0,1]
	s_delay_alu instid0(VALU_DEP_1) | instskip(SKIP_1) | instid1(VALU_DEP_1)
	v_pk_fma_f32 v[60:61], v[54:55], v[44:45], v[58:59] op_sel:[0,0,1] op_sel_hi:[1,1,0] neg_lo:[0,0,1] neg_hi:[0,0,1]
	v_pk_fma_f32 v[54:55], v[54:55], v[44:45], v[58:59] op_sel:[0,0,1] op_sel_hi:[1,0,0]
	v_mov_b32_e32 v61, v55
	v_pk_mul_f32 v[54:55], v[56:57], v[46:47] op_sel:[0,1]
	s_delay_alu instid0(VALU_DEP_1) | instskip(SKIP_1) | instid1(VALU_DEP_1)
	v_pk_fma_f32 v[58:59], v[56:57], v[44:45], v[54:55] op_sel:[0,0,1] op_sel_hi:[1,1,0] neg_lo:[0,0,1] neg_hi:[0,0,1]
	v_pk_fma_f32 v[54:55], v[56:57], v[44:45], v[54:55] op_sel:[0,0,1] op_sel_hi:[1,0,0]
	v_mov_b32_e32 v59, v55
	ds_load_2addr_b64 v[54:57], v48 offset0:9 offset1:10
	v_pk_add_f32 v[4:5], v[4:5], v[60:61] neg_lo:[0,1] neg_hi:[0,1]
	v_pk_add_f32 v[30:31], v[30:31], v[58:59] neg_lo:[0,1] neg_hi:[0,1]
	s_wait_dscnt 0x0
	v_dual_mul_f32 v58, v55, v47 :: v_dual_mul_f32 v60, v55, v44
	s_delay_alu instid0(VALU_DEP_1) | instskip(NEXT) | instid1(VALU_DEP_2)
	v_pk_fma_f32 v[58:59], v[54:55], v[40:41], v[58:59] op_sel_hi:[1,1,0] neg_lo:[0,0,1] neg_hi:[0,0,1]
	v_pk_fma_f32 v[54:55], v[54:55], v[40:41], v[60:61] op_sel:[1,0,0] op_sel_hi:[0,1,0]
	s_delay_alu instid0(VALU_DEP_1) | instskip(SKIP_1) | instid1(VALU_DEP_2)
	v_mov_b32_e32 v59, v55
	v_pk_mul_f32 v[54:55], v[56:57], v[46:47] op_sel:[0,1]
	v_pk_add_f32 v[28:29], v[28:29], v[58:59] neg_lo:[0,1] neg_hi:[0,1]
	s_delay_alu instid0(VALU_DEP_2) | instskip(SKIP_1) | instid1(VALU_DEP_1)
	v_pk_fma_f32 v[58:59], v[56:57], v[44:45], v[54:55] op_sel:[0,0,1] op_sel_hi:[1,1,0] neg_lo:[0,0,1] neg_hi:[0,0,1]
	v_pk_fma_f32 v[54:55], v[56:57], v[44:45], v[54:55] op_sel:[0,0,1] op_sel_hi:[1,0,0]
	v_mov_b32_e32 v59, v55
	ds_load_2addr_b64 v[54:57], v48 offset0:11 offset1:12
	v_pk_add_f32 v[14:15], v[14:15], v[58:59] neg_lo:[0,1] neg_hi:[0,1]
	s_wait_dscnt 0x0
	v_pk_mul_f32 v[58:59], v[54:55], v[46:47] op_sel:[0,1]
	s_delay_alu instid0(VALU_DEP_1) | instskip(SKIP_1) | instid1(VALU_DEP_1)
	v_pk_fma_f32 v[60:61], v[54:55], v[44:45], v[58:59] op_sel:[0,0,1] op_sel_hi:[1,1,0] neg_lo:[0,0,1] neg_hi:[0,0,1]
	v_pk_fma_f32 v[54:55], v[54:55], v[44:45], v[58:59] op_sel:[0,0,1] op_sel_hi:[1,0,0]
	v_mov_b32_e32 v61, v55
	v_pk_mul_f32 v[54:55], v[56:57], v[46:47] op_sel:[0,1]
	s_delay_alu instid0(VALU_DEP_2) | instskip(NEXT) | instid1(VALU_DEP_2)
	v_pk_add_f32 v[12:13], v[12:13], v[60:61] neg_lo:[0,1] neg_hi:[0,1]
	v_pk_fma_f32 v[58:59], v[56:57], v[44:45], v[54:55] op_sel:[0,0,1] op_sel_hi:[1,1,0] neg_lo:[0,0,1] neg_hi:[0,0,1]
	v_pk_fma_f32 v[54:55], v[56:57], v[44:45], v[54:55] op_sel:[0,0,1] op_sel_hi:[1,0,0]
	s_delay_alu instid0(VALU_DEP_1) | instskip(SKIP_4) | instid1(VALU_DEP_1)
	v_mov_b32_e32 v59, v55
	ds_load_2addr_b64 v[54:57], v48 offset0:13 offset1:14
	v_pk_add_f32 v[26:27], v[26:27], v[58:59] neg_lo:[0,1] neg_hi:[0,1]
	s_wait_dscnt 0x0
	v_pk_mul_f32 v[58:59], v[54:55], v[46:47] op_sel:[0,1]
	v_pk_fma_f32 v[60:61], v[54:55], v[44:45], v[58:59] op_sel:[0,0,1] op_sel_hi:[1,1,0] neg_lo:[0,0,1] neg_hi:[0,0,1]
	v_pk_fma_f32 v[54:55], v[54:55], v[44:45], v[58:59] op_sel:[0,0,1] op_sel_hi:[1,0,0]
	v_dual_mul_f32 v58, v57, v47 :: v_dual_mov_b32 v54, v57
	s_delay_alu instid0(VALU_DEP_2) | instskip(NEXT) | instid1(VALU_DEP_2)
	v_dual_mov_b32 v61, v55 :: v_dual_mov_b32 v55, v56
	v_pk_fma_f32 v[58:59], v[56:57], v[40:41], v[58:59] op_sel_hi:[1,1,0] neg_lo:[0,0,1] neg_hi:[0,0,1]
	v_mul_f32_e32 v56, v57, v44
	s_delay_alu instid0(VALU_DEP_3) | instskip(NEXT) | instid1(VALU_DEP_2)
	v_pk_add_f32 v[24:25], v[24:25], v[60:61] neg_lo:[0,1] neg_hi:[0,1]
	v_pk_fma_f32 v[54:55], v[54:55], v[40:41], v[56:57] op_sel_hi:[1,1,0]
	s_delay_alu instid0(VALU_DEP_1) | instskip(SKIP_4) | instid1(VALU_DEP_1)
	v_mov_b32_e32 v59, v55
	ds_load_2addr_b64 v[54:57], v48 offset0:15 offset1:16
	v_pk_add_f32 v[10:11], v[10:11], v[58:59] neg_lo:[0,1] neg_hi:[0,1]
	s_wait_dscnt 0x0
	v_pk_mul_f32 v[58:59], v[54:55], v[46:47] op_sel:[0,1]
	v_pk_fma_f32 v[60:61], v[54:55], v[44:45], v[58:59] op_sel:[0,0,1] op_sel_hi:[1,1,0] neg_lo:[0,0,1] neg_hi:[0,0,1]
	v_pk_fma_f32 v[54:55], v[54:55], v[44:45], v[58:59] op_sel:[0,0,1] op_sel_hi:[1,0,0]
	s_delay_alu instid0(VALU_DEP_1) | instskip(SKIP_1) | instid1(VALU_DEP_1)
	v_mov_b32_e32 v61, v55
	v_pk_mul_f32 v[54:55], v[56:57], v[46:47] op_sel:[0,1]
	v_pk_fma_f32 v[58:59], v[56:57], v[44:45], v[54:55] op_sel:[0,0,1] op_sel_hi:[1,1,0] neg_lo:[0,0,1] neg_hi:[0,0,1]
	v_pk_fma_f32 v[54:55], v[56:57], v[44:45], v[54:55] op_sel:[0,0,1] op_sel_hi:[1,0,0]
	s_delay_alu instid0(VALU_DEP_1)
	v_mov_b32_e32 v59, v55
	ds_load_2addr_b64 v[54:57], v48 offset0:17 offset1:18
	v_pk_add_f32 v[8:9], v[8:9], v[60:61] neg_lo:[0,1] neg_hi:[0,1]
	v_pk_add_f32 v[18:19], v[18:19], v[58:59] neg_lo:[0,1] neg_hi:[0,1]
	s_wait_dscnt 0x0
	v_pk_mul_f32 v[58:59], v[54:55], v[46:47] op_sel:[0,1]
	v_mul_f32_e32 v46, v57, v47
	s_delay_alu instid0(VALU_DEP_2) | instskip(SKIP_2) | instid1(VALU_DEP_4)
	v_pk_fma_f32 v[60:61], v[54:55], v[44:45], v[58:59] op_sel:[0,0,1] op_sel_hi:[1,1,0] neg_lo:[0,0,1] neg_hi:[0,0,1]
	v_pk_fma_f32 v[54:55], v[54:55], v[44:45], v[58:59] op_sel:[0,0,1] op_sel_hi:[1,0,0]
	v_dual_mov_b32 v54, v57 :: v_dual_mul_f32 v44, v57, v44
	v_pk_fma_f32 v[46:47], v[56:57], v[40:41], v[46:47] op_sel_hi:[1,1,0] neg_lo:[0,0,1] neg_hi:[0,0,1]
	s_delay_alu instid0(VALU_DEP_3) | instskip(NEXT) | instid1(VALU_DEP_1)
	v_dual_mov_b32 v61, v55 :: v_dual_mov_b32 v55, v56
	v_pk_add_f32 v[16:17], v[16:17], v[60:61] neg_lo:[0,1] neg_hi:[0,1]
	s_delay_alu instid0(VALU_DEP_2) | instskip(NEXT) | instid1(VALU_DEP_1)
	v_pk_fma_f32 v[44:45], v[54:55], v[40:41], v[44:45] op_sel_hi:[1,1,0]
	v_mov_b32_e32 v47, v45
	s_delay_alu instid0(VALU_DEP_1)
	v_pk_add_f32 v[42:43], v[42:43], v[46:47] neg_lo:[0,1] neg_hi:[0,1]
.LBB36_22:
	s_or_b32 exec_lo, exec_lo, s0
	v_lshl_add_u32 v44, v52, 3, v48
	s_barrier_signal -1
	s_barrier_wait -1
	ds_store_b64 v44, v[38:39]
	s_wait_dscnt 0x0
	s_barrier_signal -1
	s_barrier_wait -1
	ds_load_b64 v[44:45], v48 offset:8
	v_mov_b32_e32 v46, 1
	s_cmp_lt_i32 s14, 3
	s_cbranch_scc1 .LBB36_25
; %bb.23:
	v_add3_u32 v47, v49, 0, 16
	v_mov_b32_e32 v46, 1
	s_mov_b32 s0, 2
.LBB36_24:                              ; =>This Inner Loop Header: Depth=1
	ds_load_b64 v[54:55], v47
	s_wait_dscnt 0x1
	v_cmp_gt_f32_e32 vcc_lo, 0, v44
	v_cndmask_b32_e64 v56, v44, -v44, vcc_lo
	v_cmp_gt_f32_e32 vcc_lo, 0, v45
	v_cndmask_b32_e64 v58, v45, -v45, vcc_lo
	s_wait_dscnt 0x0
	v_cmp_gt_f32_e32 vcc_lo, 0, v54
	v_cndmask_b32_e64 v57, v54, -v54, vcc_lo
	v_cmp_gt_f32_e32 vcc_lo, 0, v55
	v_cndmask_b32_e64 v59, v55, -v55, vcc_lo
	s_delay_alu instid0(VALU_DEP_1) | instskip(NEXT) | instid1(VALU_DEP_1)
	v_pk_add_f32 v[56:57], v[56:57], v[58:59]
	v_cmp_lt_f32_e32 vcc_lo, v56, v57
	v_dual_cndmask_b32 v44, v44, v54 :: v_dual_add_nc_u32 v47, 8, v47
	v_cndmask_b32_e32 v45, v45, v55, vcc_lo
	v_cndmask_b32_e64 v46, v46, s0, vcc_lo
	s_add_co_i32 s0, s0, 1
	s_delay_alu instid0(SALU_CYCLE_1)
	s_cmp_lg_u32 s14, s0
	s_cbranch_scc1 .LBB36_24
.LBB36_25:
	s_wait_dscnt 0x0
	v_cmp_neq_f32_e32 vcc_lo, 0, v44
	v_cmp_neq_f32_e64 s0, 0, v45
	s_or_b32 s1, vcc_lo, s0
	s_delay_alu instid0(SALU_CYCLE_1)
	s_and_saveexec_b32 s0, s1
	s_cbranch_execz .LBB36_31
; %bb.26:
	v_cmp_ngt_f32_e64 s1, |v44|, |v45|
	s_and_saveexec_b32 s15, s1
	s_delay_alu instid0(SALU_CYCLE_1)
	s_xor_b32 s1, exec_lo, s15
	s_cbranch_execz .LBB36_28
; %bb.27:
	v_div_scale_f32 v47, null, v45, v45, v44
	v_div_scale_f32 v55, vcc_lo, v44, v45, v44
	s_delay_alu instid0(VALU_DEP_2) | instskip(SKIP_1) | instid1(TRANS32_DEP_1)
	v_rcp_f32_e32 v51, v47
	v_nop
	v_fma_f32 v54, -v47, v51, 1.0
	s_delay_alu instid0(VALU_DEP_1) | instskip(NEXT) | instid1(VALU_DEP_1)
	v_fmac_f32_e32 v51, v54, v51
	v_mul_f32_e32 v54, v55, v51
	s_delay_alu instid0(VALU_DEP_1) | instskip(NEXT) | instid1(VALU_DEP_1)
	v_fma_f32 v56, -v47, v54, v55
	v_fmac_f32_e32 v54, v56, v51
	s_delay_alu instid0(VALU_DEP_1) | instskip(NEXT) | instid1(VALU_DEP_1)
	v_fma_f32 v47, -v47, v54, v55
	v_div_fmas_f32 v47, v47, v51, v54
	s_delay_alu instid0(VALU_DEP_1) | instskip(NEXT) | instid1(VALU_DEP_1)
	v_div_fixup_f32 v47, v47, v45, v44
	v_fmac_f32_e32 v45, v44, v47
	s_delay_alu instid0(VALU_DEP_1) | instskip(SKIP_1) | instid1(VALU_DEP_2)
	v_div_scale_f32 v44, null, v45, v45, 1.0
	v_div_scale_f32 v55, vcc_lo, 1.0, v45, 1.0
	v_rcp_f32_e32 v51, v44
	v_nop
	s_delay_alu instid0(TRANS32_DEP_1) | instskip(NEXT) | instid1(VALU_DEP_1)
	v_fma_f32 v54, -v44, v51, 1.0
	v_fmac_f32_e32 v51, v54, v51
	s_delay_alu instid0(VALU_DEP_1) | instskip(NEXT) | instid1(VALU_DEP_1)
	v_mul_f32_e32 v54, v55, v51
	v_fma_f32 v56, -v44, v54, v55
	s_delay_alu instid0(VALU_DEP_1) | instskip(NEXT) | instid1(VALU_DEP_1)
	v_fmac_f32_e32 v54, v56, v51
	v_fma_f32 v44, -v44, v54, v55
	s_delay_alu instid0(VALU_DEP_1) | instskip(NEXT) | instid1(VALU_DEP_1)
	v_div_fmas_f32 v44, v44, v51, v54
	v_div_fixup_f32 v45, v44, v45, 1.0
	s_delay_alu instid0(VALU_DEP_1)
	v_mul_f32_e32 v44, v47, v45
	v_xor_b32_e32 v45, 0x80000000, v45
.LBB36_28:
	s_and_not1_saveexec_b32 s1, s1
	s_cbranch_execz .LBB36_30
; %bb.29:
	s_delay_alu instid0(VALU_DEP_1) | instskip(SKIP_1) | instid1(VALU_DEP_2)
	v_div_scale_f32 v47, null, v44, v44, v45
	v_div_scale_f32 v55, vcc_lo, v45, v44, v45
	v_rcp_f32_e32 v51, v47
	v_nop
	s_delay_alu instid0(TRANS32_DEP_1) | instskip(NEXT) | instid1(VALU_DEP_1)
	v_fma_f32 v54, -v47, v51, 1.0
	v_fmac_f32_e32 v51, v54, v51
	s_delay_alu instid0(VALU_DEP_1) | instskip(NEXT) | instid1(VALU_DEP_1)
	v_mul_f32_e32 v54, v55, v51
	v_fma_f32 v56, -v47, v54, v55
	s_delay_alu instid0(VALU_DEP_1) | instskip(NEXT) | instid1(VALU_DEP_1)
	v_fmac_f32_e32 v54, v56, v51
	v_fma_f32 v47, -v47, v54, v55
	s_delay_alu instid0(VALU_DEP_1) | instskip(NEXT) | instid1(VALU_DEP_1)
	v_div_fmas_f32 v47, v47, v51, v54
	v_div_fixup_f32 v47, v47, v44, v45
	s_delay_alu instid0(VALU_DEP_1) | instskip(NEXT) | instid1(VALU_DEP_1)
	v_fmac_f32_e32 v44, v45, v47
	v_div_scale_f32 v45, null, v44, v44, 1.0
	s_delay_alu instid0(VALU_DEP_1) | instskip(SKIP_1) | instid1(TRANS32_DEP_1)
	v_rcp_f32_e32 v51, v45
	v_nop
	v_fma_f32 v54, -v45, v51, 1.0
	s_delay_alu instid0(VALU_DEP_1) | instskip(SKIP_1) | instid1(VALU_DEP_1)
	v_fmac_f32_e32 v51, v54, v51
	v_div_scale_f32 v54, vcc_lo, 1.0, v44, 1.0
	v_mul_f32_e32 v55, v54, v51
	s_delay_alu instid0(VALU_DEP_1) | instskip(NEXT) | instid1(VALU_DEP_1)
	v_fma_f32 v56, -v45, v55, v54
	v_fmac_f32_e32 v55, v56, v51
	s_delay_alu instid0(VALU_DEP_1) | instskip(NEXT) | instid1(VALU_DEP_1)
	v_fma_f32 v45, -v45, v55, v54
	v_div_fmas_f32 v45, v45, v51, v55
	s_delay_alu instid0(VALU_DEP_1) | instskip(NEXT) | instid1(VALU_DEP_1)
	v_div_fixup_f32 v44, v45, v44, 1.0
	v_mul_f32_e64 v45, v47, -v44
.LBB36_30:
	s_or_b32 exec_lo, exec_lo, s1
	v_mov_b32_e32 v51, v53
.LBB36_31:
	s_or_b32 exec_lo, exec_lo, s0
	s_delay_alu instid0(SALU_CYCLE_1)
	s_mov_b32 s0, exec_lo
	v_cmpx_ne_u32_e64 v52, v46
	s_xor_b32 s0, exec_lo, s0
	s_cbranch_execz .LBB36_37
; %bb.32:
	s_mov_b32 s1, exec_lo
	v_cmpx_eq_u32_e32 1, v52
	s_cbranch_execz .LBB36_36
; %bb.33:
	v_cmp_ne_u32_e32 vcc_lo, 1, v46
	s_xor_b32 s15, s12, -1
	s_delay_alu instid0(SALU_CYCLE_1) | instskip(NEXT) | instid1(SALU_CYCLE_1)
	s_and_b32 s16, s15, vcc_lo
	s_and_saveexec_b32 s15, s16
	s_cbranch_execz .LBB36_35
; %bb.34:
	v_ashrrev_i32_e32 v47, 31, v46
	s_delay_alu instid0(VALU_DEP_1)
	v_lshl_add_u64 v[52:53], v[46:47], 2, v[32:33]
	s_clause 0x1
	global_load_b32 v47, v[52:53], off
	global_load_b32 v50, v[32:33], off offset:4
	s_wait_loadcnt 0x1
	global_store_b32 v[32:33], v47, off offset:4
	s_wait_loadcnt 0x0
	global_store_b32 v[52:53], v50, off
.LBB36_35:
	s_wait_xcnt 0x0
	s_or_b32 exec_lo, exec_lo, s15
	v_dual_mov_b32 v52, v46 :: v_dual_mov_b32 v50, v46
.LBB36_36:
	s_or_b32 exec_lo, exec_lo, s1
.LBB36_37:
	s_and_not1_saveexec_b32 s0, s0
	s_cbranch_execz .LBB36_39
; %bb.38:
	v_dual_mov_b32 v46, v36 :: v_dual_mov_b32 v47, v37
	v_dual_mov_b32 v52, v34 :: v_dual_mov_b32 v53, v35
	ds_store_2addr_b64 v48, v[46:47], v[52:53] offset0:2 offset1:3
	v_dual_mov_b32 v46, v22 :: v_dual_mov_b32 v47, v23
	v_dual_mov_b32 v52, v20 :: v_dual_mov_b32 v53, v21
	ds_store_2addr_b64 v48, v[46:47], v[52:53] offset0:4 offset1:5
	;; [unrolled: 3-line block ×8, first 2 shown]
	ds_store_b64 v48, v[42:43] offset:144
	v_mov_b32_e32 v52, 1
.LBB36_39:
	s_or_b32 exec_lo, exec_lo, s0
	s_delay_alu instid0(SALU_CYCLE_1)
	s_mov_b32 s0, exec_lo
	s_wait_storecnt_dscnt 0x0
	s_barrier_signal -1
	s_barrier_wait -1
	v_cmpx_lt_i32_e32 1, v52
	s_cbranch_execz .LBB36_41
; %bb.40:
	v_pk_mul_f32 v[54:55], v[44:45], v[38:39] op_sel:[1,1] op_sel_hi:[0,1]
	s_delay_alu instid0(VALU_DEP_1)
	v_pk_fma_f32 v[46:47], v[44:45], v[38:39], v[54:55] op_sel_hi:[1,0,1] neg_lo:[0,0,1] neg_hi:[0,0,1]
	v_pk_fma_f32 v[44:45], v[44:45], v[38:39], v[54:55] op_sel_hi:[1,0,1]
	ds_load_2addr_b64 v[54:57], v48 offset0:2 offset1:3
	v_dual_mov_b32 v38, v46 :: v_dual_mov_b32 v39, v45
	s_wait_dscnt 0x0
	v_pk_mul_f32 v[58:59], v[54:55], v[44:45] op_sel:[0,1]
	s_delay_alu instid0(VALU_DEP_1) | instskip(SKIP_1) | instid1(VALU_DEP_1)
	v_pk_fma_f32 v[60:61], v[54:55], v[46:47], v[58:59] op_sel:[0,0,1] op_sel_hi:[1,1,0] neg_lo:[0,0,1] neg_hi:[0,0,1]
	v_pk_fma_f32 v[54:55], v[54:55], v[46:47], v[58:59] op_sel:[0,0,1] op_sel_hi:[1,0,0]
	v_mov_b32_e32 v61, v55
	v_pk_mul_f32 v[54:55], v[56:57], v[44:45] op_sel:[0,1]
	s_delay_alu instid0(VALU_DEP_1) | instskip(SKIP_1) | instid1(VALU_DEP_1)
	v_pk_fma_f32 v[58:59], v[56:57], v[46:47], v[54:55] op_sel:[0,0,1] op_sel_hi:[1,1,0] neg_lo:[0,0,1] neg_hi:[0,0,1]
	v_pk_fma_f32 v[54:55], v[56:57], v[46:47], v[54:55] op_sel:[0,0,1] op_sel_hi:[1,0,0]
	v_mov_b32_e32 v59, v55
	ds_load_2addr_b64 v[54:57], v48 offset0:4 offset1:5
	v_pk_add_f32 v[36:37], v[36:37], v[60:61] neg_lo:[0,1] neg_hi:[0,1]
	v_pk_add_f32 v[34:35], v[34:35], v[58:59] neg_lo:[0,1] neg_hi:[0,1]
	s_wait_dscnt 0x0
	v_pk_mul_f32 v[58:59], v[54:55], v[44:45] op_sel:[0,1]
	s_delay_alu instid0(VALU_DEP_1) | instskip(SKIP_2) | instid1(VALU_DEP_2)
	v_pk_fma_f32 v[60:61], v[54:55], v[46:47], v[58:59] op_sel:[0,0,1] op_sel_hi:[1,1,0] neg_lo:[0,0,1] neg_hi:[0,0,1]
	v_pk_fma_f32 v[54:55], v[54:55], v[46:47], v[58:59] op_sel:[0,0,1] op_sel_hi:[1,0,0]
	v_dual_mul_f32 v58, v57, v45 :: v_dual_mov_b32 v54, v57
	v_dual_mov_b32 v61, v55 :: v_dual_mov_b32 v55, v56
	s_delay_alu instid0(VALU_DEP_2) | instskip(SKIP_1) | instid1(VALU_DEP_3)
	v_pk_fma_f32 v[58:59], v[56:57], v[38:39], v[58:59] op_sel_hi:[1,1,0] neg_lo:[0,0,1] neg_hi:[0,0,1]
	v_mul_f32_e32 v56, v57, v46
	v_pk_add_f32 v[22:23], v[22:23], v[60:61] neg_lo:[0,1] neg_hi:[0,1]
	s_delay_alu instid0(VALU_DEP_2) | instskip(NEXT) | instid1(VALU_DEP_1)
	v_pk_fma_f32 v[54:55], v[54:55], v[38:39], v[56:57] op_sel_hi:[1,1,0]
	v_mov_b32_e32 v59, v55
	ds_load_2addr_b64 v[54:57], v48 offset0:6 offset1:7
	v_pk_add_f32 v[20:21], v[20:21], v[58:59] neg_lo:[0,1] neg_hi:[0,1]
	s_wait_dscnt 0x0
	v_pk_mul_f32 v[58:59], v[54:55], v[44:45] op_sel:[0,1]
	s_delay_alu instid0(VALU_DEP_1) | instskip(SKIP_1) | instid1(VALU_DEP_1)
	v_pk_fma_f32 v[60:61], v[54:55], v[46:47], v[58:59] op_sel:[0,0,1] op_sel_hi:[1,1,0] neg_lo:[0,0,1] neg_hi:[0,0,1]
	v_pk_fma_f32 v[54:55], v[54:55], v[46:47], v[58:59] op_sel:[0,0,1] op_sel_hi:[1,0,0]
	v_mov_b32_e32 v61, v55
	v_pk_mul_f32 v[54:55], v[56:57], v[44:45] op_sel:[0,1]
	s_delay_alu instid0(VALU_DEP_1) | instskip(SKIP_1) | instid1(VALU_DEP_1)
	v_pk_fma_f32 v[58:59], v[56:57], v[46:47], v[54:55] op_sel:[0,0,1] op_sel_hi:[1,1,0] neg_lo:[0,0,1] neg_hi:[0,0,1]
	v_pk_fma_f32 v[54:55], v[56:57], v[46:47], v[54:55] op_sel:[0,0,1] op_sel_hi:[1,0,0]
	v_mov_b32_e32 v59, v55
	ds_load_2addr_b64 v[54:57], v48 offset0:8 offset1:9
	v_pk_add_f32 v[6:7], v[6:7], v[60:61] neg_lo:[0,1] neg_hi:[0,1]
	v_pk_add_f32 v[4:5], v[4:5], v[58:59] neg_lo:[0,1] neg_hi:[0,1]
	s_wait_dscnt 0x0
	v_pk_mul_f32 v[58:59], v[54:55], v[44:45] op_sel:[0,1]
	s_delay_alu instid0(VALU_DEP_1) | instskip(SKIP_1) | instid1(VALU_DEP_1)
	v_pk_fma_f32 v[60:61], v[54:55], v[46:47], v[58:59] op_sel:[0,0,1] op_sel_hi:[1,1,0] neg_lo:[0,0,1] neg_hi:[0,0,1]
	v_pk_fma_f32 v[54:55], v[54:55], v[46:47], v[58:59] op_sel:[0,0,1] op_sel_hi:[1,0,0]
	v_mov_b32_e32 v61, v55
	v_pk_mul_f32 v[54:55], v[56:57], v[44:45] op_sel:[0,1]
	s_delay_alu instid0(VALU_DEP_1) | instskip(SKIP_1) | instid1(VALU_DEP_1)
	v_pk_fma_f32 v[58:59], v[56:57], v[46:47], v[54:55] op_sel:[0,0,1] op_sel_hi:[1,1,0] neg_lo:[0,0,1] neg_hi:[0,0,1]
	v_pk_fma_f32 v[54:55], v[56:57], v[46:47], v[54:55] op_sel:[0,0,1] op_sel_hi:[1,0,0]
	v_mov_b32_e32 v59, v55
	ds_load_2addr_b64 v[54:57], v48 offset0:10 offset1:11
	v_pk_add_f32 v[30:31], v[30:31], v[60:61] neg_lo:[0,1] neg_hi:[0,1]
	v_pk_add_f32 v[28:29], v[28:29], v[58:59] neg_lo:[0,1] neg_hi:[0,1]
	s_wait_dscnt 0x0
	v_dual_mul_f32 v58, v55, v45 :: v_dual_mul_f32 v60, v55, v46
	s_delay_alu instid0(VALU_DEP_1) | instskip(NEXT) | instid1(VALU_DEP_2)
	v_pk_fma_f32 v[58:59], v[54:55], v[38:39], v[58:59] op_sel_hi:[1,1,0] neg_lo:[0,0,1] neg_hi:[0,0,1]
	v_pk_fma_f32 v[54:55], v[54:55], v[38:39], v[60:61] op_sel:[1,0,0] op_sel_hi:[0,1,0]
	s_delay_alu instid0(VALU_DEP_1) | instskip(SKIP_1) | instid1(VALU_DEP_2)
	v_mov_b32_e32 v59, v55
	v_pk_mul_f32 v[54:55], v[56:57], v[44:45] op_sel:[0,1]
	v_pk_add_f32 v[14:15], v[14:15], v[58:59] neg_lo:[0,1] neg_hi:[0,1]
	s_delay_alu instid0(VALU_DEP_2) | instskip(SKIP_1) | instid1(VALU_DEP_1)
	v_pk_fma_f32 v[58:59], v[56:57], v[46:47], v[54:55] op_sel:[0,0,1] op_sel_hi:[1,1,0] neg_lo:[0,0,1] neg_hi:[0,0,1]
	v_pk_fma_f32 v[54:55], v[56:57], v[46:47], v[54:55] op_sel:[0,0,1] op_sel_hi:[1,0,0]
	v_mov_b32_e32 v59, v55
	ds_load_2addr_b64 v[54:57], v48 offset0:12 offset1:13
	v_pk_add_f32 v[12:13], v[12:13], v[58:59] neg_lo:[0,1] neg_hi:[0,1]
	s_wait_dscnt 0x0
	v_pk_mul_f32 v[58:59], v[54:55], v[44:45] op_sel:[0,1]
	s_delay_alu instid0(VALU_DEP_1) | instskip(SKIP_1) | instid1(VALU_DEP_1)
	v_pk_fma_f32 v[60:61], v[54:55], v[46:47], v[58:59] op_sel:[0,0,1] op_sel_hi:[1,1,0] neg_lo:[0,0,1] neg_hi:[0,0,1]
	v_pk_fma_f32 v[54:55], v[54:55], v[46:47], v[58:59] op_sel:[0,0,1] op_sel_hi:[1,0,0]
	v_mov_b32_e32 v61, v55
	v_pk_mul_f32 v[54:55], v[56:57], v[44:45] op_sel:[0,1]
	s_delay_alu instid0(VALU_DEP_2) | instskip(NEXT) | instid1(VALU_DEP_2)
	v_pk_add_f32 v[26:27], v[26:27], v[60:61] neg_lo:[0,1] neg_hi:[0,1]
	v_pk_fma_f32 v[58:59], v[56:57], v[46:47], v[54:55] op_sel:[0,0,1] op_sel_hi:[1,1,0] neg_lo:[0,0,1] neg_hi:[0,0,1]
	v_pk_fma_f32 v[54:55], v[56:57], v[46:47], v[54:55] op_sel:[0,0,1] op_sel_hi:[1,0,0]
	s_delay_alu instid0(VALU_DEP_1) | instskip(SKIP_4) | instid1(VALU_DEP_1)
	v_mov_b32_e32 v59, v55
	ds_load_2addr_b64 v[54:57], v48 offset0:14 offset1:15
	v_pk_add_f32 v[24:25], v[24:25], v[58:59] neg_lo:[0,1] neg_hi:[0,1]
	s_wait_dscnt 0x0
	v_pk_mul_f32 v[58:59], v[54:55], v[44:45] op_sel:[0,1]
	v_pk_fma_f32 v[60:61], v[54:55], v[46:47], v[58:59] op_sel:[0,0,1] op_sel_hi:[1,1,0] neg_lo:[0,0,1] neg_hi:[0,0,1]
	v_pk_fma_f32 v[54:55], v[54:55], v[46:47], v[58:59] op_sel:[0,0,1] op_sel_hi:[1,0,0]
	v_dual_mul_f32 v58, v57, v45 :: v_dual_mov_b32 v54, v57
	s_delay_alu instid0(VALU_DEP_2) | instskip(NEXT) | instid1(VALU_DEP_2)
	v_dual_mov_b32 v61, v55 :: v_dual_mov_b32 v55, v56
	v_pk_fma_f32 v[58:59], v[56:57], v[38:39], v[58:59] op_sel_hi:[1,1,0] neg_lo:[0,0,1] neg_hi:[0,0,1]
	v_mul_f32_e32 v56, v57, v46
	s_delay_alu instid0(VALU_DEP_3) | instskip(NEXT) | instid1(VALU_DEP_2)
	v_pk_add_f32 v[10:11], v[10:11], v[60:61] neg_lo:[0,1] neg_hi:[0,1]
	v_pk_fma_f32 v[54:55], v[54:55], v[38:39], v[56:57] op_sel_hi:[1,1,0]
	s_delay_alu instid0(VALU_DEP_1) | instskip(SKIP_4) | instid1(VALU_DEP_1)
	v_mov_b32_e32 v59, v55
	ds_load_2addr_b64 v[54:57], v48 offset0:16 offset1:17
	v_pk_add_f32 v[8:9], v[8:9], v[58:59] neg_lo:[0,1] neg_hi:[0,1]
	s_wait_dscnt 0x0
	v_pk_mul_f32 v[58:59], v[54:55], v[44:45] op_sel:[0,1]
	v_pk_fma_f32 v[60:61], v[54:55], v[46:47], v[58:59] op_sel:[0,0,1] op_sel_hi:[1,1,0] neg_lo:[0,0,1] neg_hi:[0,0,1]
	v_pk_fma_f32 v[54:55], v[54:55], v[46:47], v[58:59] op_sel:[0,0,1] op_sel_hi:[1,0,0]
	s_delay_alu instid0(VALU_DEP_1) | instskip(SKIP_1) | instid1(VALU_DEP_1)
	v_mov_b32_e32 v61, v55
	v_pk_mul_f32 v[54:55], v[56:57], v[44:45] op_sel:[0,1]
	v_pk_fma_f32 v[58:59], v[56:57], v[46:47], v[54:55] op_sel:[0,0,1] op_sel_hi:[1,1,0] neg_lo:[0,0,1] neg_hi:[0,0,1]
	v_pk_fma_f32 v[54:55], v[56:57], v[46:47], v[54:55] op_sel:[0,0,1] op_sel_hi:[1,0,0]
	s_delay_alu instid0(VALU_DEP_1)
	v_mov_b32_e32 v59, v55
	ds_load_b64 v[54:55], v48 offset:144
	v_pk_add_f32 v[18:19], v[18:19], v[60:61] neg_lo:[0,1] neg_hi:[0,1]
	v_pk_add_f32 v[16:17], v[16:17], v[58:59] neg_lo:[0,1] neg_hi:[0,1]
	s_wait_dscnt 0x0
	v_pk_mul_f32 v[44:45], v[54:55], v[44:45] op_sel:[0,1]
	s_delay_alu instid0(VALU_DEP_1) | instskip(SKIP_1) | instid1(VALU_DEP_1)
	v_pk_fma_f32 v[56:57], v[54:55], v[46:47], v[44:45] op_sel:[0,0,1] op_sel_hi:[1,1,0] neg_lo:[0,0,1] neg_hi:[0,0,1]
	v_pk_fma_f32 v[44:45], v[54:55], v[46:47], v[44:45] op_sel:[0,0,1] op_sel_hi:[1,0,0]
	v_mov_b32_e32 v57, v45
	s_delay_alu instid0(VALU_DEP_1)
	v_pk_add_f32 v[42:43], v[42:43], v[56:57] neg_lo:[0,1] neg_hi:[0,1]
.LBB36_41:
	s_or_b32 exec_lo, exec_lo, s0
	v_lshl_add_u32 v44, v52, 3, v48
	s_barrier_signal -1
	s_barrier_wait -1
	ds_store_b64 v44, v[36:37]
	s_wait_dscnt 0x0
	s_barrier_signal -1
	s_barrier_wait -1
	ds_load_b64 v[44:45], v48 offset:16
	v_mov_b32_e32 v46, 2
	s_cmp_lt_i32 s14, 4
	s_mov_b32 s0, 3
	s_cbranch_scc1 .LBB36_44
; %bb.42:
	v_add3_u32 v47, v49, 0, 24
	v_mov_b32_e32 v46, 2
.LBB36_43:                              ; =>This Inner Loop Header: Depth=1
	ds_load_b64 v[54:55], v47
	s_wait_dscnt 0x1
	v_cmp_gt_f32_e32 vcc_lo, 0, v44
	v_cndmask_b32_e64 v56, v44, -v44, vcc_lo
	v_cmp_gt_f32_e32 vcc_lo, 0, v45
	v_cndmask_b32_e64 v58, v45, -v45, vcc_lo
	s_wait_dscnt 0x0
	v_cmp_gt_f32_e32 vcc_lo, 0, v54
	v_cndmask_b32_e64 v57, v54, -v54, vcc_lo
	v_cmp_gt_f32_e32 vcc_lo, 0, v55
	v_cndmask_b32_e64 v59, v55, -v55, vcc_lo
	s_delay_alu instid0(VALU_DEP_1) | instskip(NEXT) | instid1(VALU_DEP_1)
	v_pk_add_f32 v[56:57], v[56:57], v[58:59]
	v_cmp_lt_f32_e32 vcc_lo, v56, v57
	v_dual_cndmask_b32 v44, v44, v54 :: v_dual_add_nc_u32 v47, 8, v47
	v_cndmask_b32_e32 v45, v45, v55, vcc_lo
	v_cndmask_b32_e64 v46, v46, s0, vcc_lo
	s_add_co_i32 s0, s0, 1
	s_delay_alu instid0(SALU_CYCLE_1)
	s_cmp_lg_u32 s14, s0
	s_cbranch_scc1 .LBB36_43
.LBB36_44:
	s_wait_dscnt 0x0
	v_cmp_eq_f32_e32 vcc_lo, 0, v44
	v_cmp_eq_f32_e64 s0, 0, v45
	s_and_b32 s0, vcc_lo, s0
	s_delay_alu instid0(SALU_CYCLE_1) | instskip(NEXT) | instid1(SALU_CYCLE_1)
	s_and_saveexec_b32 s1, s0
	s_xor_b32 s0, exec_lo, s1
; %bb.45:
	v_cmp_ne_u32_e32 vcc_lo, 0, v51
	v_cndmask_b32_e32 v51, 3, v51, vcc_lo
; %bb.46:
	s_and_not1_saveexec_b32 s0, s0
	s_cbranch_execz .LBB36_52
; %bb.47:
	v_cmp_ngt_f32_e64 s1, |v44|, |v45|
	s_and_saveexec_b32 s15, s1
	s_delay_alu instid0(SALU_CYCLE_1)
	s_xor_b32 s1, exec_lo, s15
	s_cbranch_execz .LBB36_49
; %bb.48:
	v_div_scale_f32 v47, null, v45, v45, v44
	v_div_scale_f32 v55, vcc_lo, v44, v45, v44
	s_delay_alu instid0(VALU_DEP_2) | instskip(SKIP_1) | instid1(TRANS32_DEP_1)
	v_rcp_f32_e32 v53, v47
	v_nop
	v_fma_f32 v54, -v47, v53, 1.0
	s_delay_alu instid0(VALU_DEP_1) | instskip(NEXT) | instid1(VALU_DEP_1)
	v_fmac_f32_e32 v53, v54, v53
	v_mul_f32_e32 v54, v55, v53
	s_delay_alu instid0(VALU_DEP_1) | instskip(NEXT) | instid1(VALU_DEP_1)
	v_fma_f32 v56, -v47, v54, v55
	v_fmac_f32_e32 v54, v56, v53
	s_delay_alu instid0(VALU_DEP_1) | instskip(NEXT) | instid1(VALU_DEP_1)
	v_fma_f32 v47, -v47, v54, v55
	v_div_fmas_f32 v47, v47, v53, v54
	s_delay_alu instid0(VALU_DEP_1) | instskip(NEXT) | instid1(VALU_DEP_1)
	v_div_fixup_f32 v47, v47, v45, v44
	v_fmac_f32_e32 v45, v44, v47
	s_delay_alu instid0(VALU_DEP_1) | instskip(SKIP_1) | instid1(VALU_DEP_2)
	v_div_scale_f32 v44, null, v45, v45, 1.0
	v_div_scale_f32 v55, vcc_lo, 1.0, v45, 1.0
	v_rcp_f32_e32 v53, v44
	v_nop
	s_delay_alu instid0(TRANS32_DEP_1) | instskip(NEXT) | instid1(VALU_DEP_1)
	v_fma_f32 v54, -v44, v53, 1.0
	v_fmac_f32_e32 v53, v54, v53
	s_delay_alu instid0(VALU_DEP_1) | instskip(NEXT) | instid1(VALU_DEP_1)
	v_mul_f32_e32 v54, v55, v53
	v_fma_f32 v56, -v44, v54, v55
	s_delay_alu instid0(VALU_DEP_1) | instskip(NEXT) | instid1(VALU_DEP_1)
	v_fmac_f32_e32 v54, v56, v53
	v_fma_f32 v44, -v44, v54, v55
	s_delay_alu instid0(VALU_DEP_1) | instskip(NEXT) | instid1(VALU_DEP_1)
	v_div_fmas_f32 v44, v44, v53, v54
	v_div_fixup_f32 v45, v44, v45, 1.0
	s_delay_alu instid0(VALU_DEP_1)
	v_mul_f32_e32 v44, v47, v45
	v_xor_b32_e32 v45, 0x80000000, v45
.LBB36_49:
	s_and_not1_saveexec_b32 s1, s1
	s_cbranch_execz .LBB36_51
; %bb.50:
	s_delay_alu instid0(VALU_DEP_1) | instskip(SKIP_1) | instid1(VALU_DEP_2)
	v_div_scale_f32 v47, null, v44, v44, v45
	v_div_scale_f32 v55, vcc_lo, v45, v44, v45
	v_rcp_f32_e32 v53, v47
	v_nop
	s_delay_alu instid0(TRANS32_DEP_1) | instskip(NEXT) | instid1(VALU_DEP_1)
	v_fma_f32 v54, -v47, v53, 1.0
	v_fmac_f32_e32 v53, v54, v53
	s_delay_alu instid0(VALU_DEP_1) | instskip(NEXT) | instid1(VALU_DEP_1)
	v_mul_f32_e32 v54, v55, v53
	v_fma_f32 v56, -v47, v54, v55
	s_delay_alu instid0(VALU_DEP_1) | instskip(NEXT) | instid1(VALU_DEP_1)
	v_fmac_f32_e32 v54, v56, v53
	v_fma_f32 v47, -v47, v54, v55
	s_delay_alu instid0(VALU_DEP_1) | instskip(NEXT) | instid1(VALU_DEP_1)
	v_div_fmas_f32 v47, v47, v53, v54
	v_div_fixup_f32 v47, v47, v44, v45
	s_delay_alu instid0(VALU_DEP_1) | instskip(NEXT) | instid1(VALU_DEP_1)
	v_fmac_f32_e32 v44, v45, v47
	v_div_scale_f32 v45, null, v44, v44, 1.0
	s_delay_alu instid0(VALU_DEP_1) | instskip(SKIP_1) | instid1(TRANS32_DEP_1)
	v_rcp_f32_e32 v53, v45
	v_nop
	v_fma_f32 v54, -v45, v53, 1.0
	s_delay_alu instid0(VALU_DEP_1) | instskip(SKIP_1) | instid1(VALU_DEP_1)
	v_fmac_f32_e32 v53, v54, v53
	v_div_scale_f32 v54, vcc_lo, 1.0, v44, 1.0
	v_mul_f32_e32 v55, v54, v53
	s_delay_alu instid0(VALU_DEP_1) | instskip(NEXT) | instid1(VALU_DEP_1)
	v_fma_f32 v56, -v45, v55, v54
	v_fmac_f32_e32 v55, v56, v53
	s_delay_alu instid0(VALU_DEP_1) | instskip(NEXT) | instid1(VALU_DEP_1)
	v_fma_f32 v45, -v45, v55, v54
	v_div_fmas_f32 v45, v45, v53, v55
	s_delay_alu instid0(VALU_DEP_1) | instskip(NEXT) | instid1(VALU_DEP_1)
	v_div_fixup_f32 v44, v45, v44, 1.0
	v_mul_f32_e64 v45, v47, -v44
.LBB36_51:
	s_or_b32 exec_lo, exec_lo, s1
.LBB36_52:
	s_delay_alu instid0(SALU_CYCLE_1) | instskip(NEXT) | instid1(SALU_CYCLE_1)
	s_or_b32 exec_lo, exec_lo, s0
	s_mov_b32 s0, exec_lo
	v_cmpx_ne_u32_e64 v52, v46
	s_xor_b32 s0, exec_lo, s0
	s_cbranch_execz .LBB36_58
; %bb.53:
	s_mov_b32 s1, exec_lo
	v_cmpx_eq_u32_e32 2, v52
	s_cbranch_execz .LBB36_57
; %bb.54:
	v_cmp_ne_u32_e32 vcc_lo, 2, v46
	s_xor_b32 s15, s12, -1
	s_delay_alu instid0(SALU_CYCLE_1) | instskip(NEXT) | instid1(SALU_CYCLE_1)
	s_and_b32 s16, s15, vcc_lo
	s_and_saveexec_b32 s15, s16
	s_cbranch_execz .LBB36_56
; %bb.55:
	v_ashrrev_i32_e32 v47, 31, v46
	s_delay_alu instid0(VALU_DEP_1)
	v_lshl_add_u64 v[52:53], v[46:47], 2, v[32:33]
	s_clause 0x1
	global_load_b32 v47, v[52:53], off
	global_load_b32 v50, v[32:33], off offset:8
	s_wait_loadcnt 0x1
	global_store_b32 v[32:33], v47, off offset:8
	s_wait_loadcnt 0x0
	global_store_b32 v[52:53], v50, off
.LBB36_56:
	s_wait_xcnt 0x0
	s_or_b32 exec_lo, exec_lo, s15
	v_dual_mov_b32 v52, v46 :: v_dual_mov_b32 v50, v46
.LBB36_57:
	s_or_b32 exec_lo, exec_lo, s1
.LBB36_58:
	s_and_not1_saveexec_b32 s0, s0
	s_cbranch_execz .LBB36_60
; %bb.59:
	v_mov_b32_e32 v52, 2
	ds_store_2addr_b64 v48, v[34:35], v[22:23] offset0:3 offset1:4
	ds_store_2addr_b64 v48, v[20:21], v[6:7] offset0:5 offset1:6
	;; [unrolled: 1-line block ×8, first 2 shown]
.LBB36_60:
	s_or_b32 exec_lo, exec_lo, s0
	s_delay_alu instid0(SALU_CYCLE_1)
	s_mov_b32 s0, exec_lo
	s_wait_storecnt_dscnt 0x0
	s_barrier_signal -1
	s_barrier_wait -1
	v_cmpx_lt_i32_e32 2, v52
	s_cbranch_execz .LBB36_62
; %bb.61:
	v_pk_mul_f32 v[54:55], v[44:45], v[36:37] op_sel:[1,1] op_sel_hi:[0,1]
	s_delay_alu instid0(VALU_DEP_1)
	v_pk_fma_f32 v[46:47], v[44:45], v[36:37], v[54:55] op_sel_hi:[1,0,1] neg_lo:[0,0,1] neg_hi:[0,0,1]
	v_pk_fma_f32 v[44:45], v[44:45], v[36:37], v[54:55] op_sel_hi:[1,0,1]
	ds_load_2addr_b64 v[54:57], v48 offset0:3 offset1:4
	v_dual_mov_b32 v36, v46 :: v_dual_mov_b32 v37, v45
	s_wait_dscnt 0x0
	v_pk_mul_f32 v[58:59], v[54:55], v[44:45] op_sel:[0,1]
	s_delay_alu instid0(VALU_DEP_1) | instskip(SKIP_1) | instid1(VALU_DEP_1)
	v_pk_fma_f32 v[60:61], v[54:55], v[46:47], v[58:59] op_sel:[0,0,1] op_sel_hi:[1,1,0] neg_lo:[0,0,1] neg_hi:[0,0,1]
	v_pk_fma_f32 v[54:55], v[54:55], v[46:47], v[58:59] op_sel:[0,0,1] op_sel_hi:[1,0,0]
	v_mov_b32_e32 v61, v55
	v_pk_mul_f32 v[54:55], v[56:57], v[44:45] op_sel:[0,1]
	s_delay_alu instid0(VALU_DEP_1) | instskip(SKIP_1) | instid1(VALU_DEP_1)
	v_pk_fma_f32 v[58:59], v[56:57], v[46:47], v[54:55] op_sel:[0,0,1] op_sel_hi:[1,1,0] neg_lo:[0,0,1] neg_hi:[0,0,1]
	v_pk_fma_f32 v[54:55], v[56:57], v[46:47], v[54:55] op_sel:[0,0,1] op_sel_hi:[1,0,0]
	v_mov_b32_e32 v59, v55
	ds_load_2addr_b64 v[54:57], v48 offset0:5 offset1:6
	v_pk_add_f32 v[34:35], v[34:35], v[60:61] neg_lo:[0,1] neg_hi:[0,1]
	v_pk_add_f32 v[22:23], v[22:23], v[58:59] neg_lo:[0,1] neg_hi:[0,1]
	s_wait_dscnt 0x0
	v_pk_mul_f32 v[58:59], v[54:55], v[44:45] op_sel:[0,1]
	s_delay_alu instid0(VALU_DEP_1) | instskip(SKIP_2) | instid1(VALU_DEP_2)
	v_pk_fma_f32 v[60:61], v[54:55], v[46:47], v[58:59] op_sel:[0,0,1] op_sel_hi:[1,1,0] neg_lo:[0,0,1] neg_hi:[0,0,1]
	v_pk_fma_f32 v[54:55], v[54:55], v[46:47], v[58:59] op_sel:[0,0,1] op_sel_hi:[1,0,0]
	v_dual_mul_f32 v58, v57, v45 :: v_dual_mov_b32 v54, v57
	v_dual_mov_b32 v61, v55 :: v_dual_mov_b32 v55, v56
	s_delay_alu instid0(VALU_DEP_2) | instskip(SKIP_1) | instid1(VALU_DEP_3)
	v_pk_fma_f32 v[58:59], v[56:57], v[36:37], v[58:59] op_sel_hi:[1,1,0] neg_lo:[0,0,1] neg_hi:[0,0,1]
	v_mul_f32_e32 v56, v57, v46
	v_pk_add_f32 v[20:21], v[20:21], v[60:61] neg_lo:[0,1] neg_hi:[0,1]
	s_delay_alu instid0(VALU_DEP_2) | instskip(NEXT) | instid1(VALU_DEP_1)
	v_pk_fma_f32 v[54:55], v[54:55], v[36:37], v[56:57] op_sel_hi:[1,1,0]
	v_mov_b32_e32 v59, v55
	ds_load_2addr_b64 v[54:57], v48 offset0:7 offset1:8
	v_pk_add_f32 v[6:7], v[6:7], v[58:59] neg_lo:[0,1] neg_hi:[0,1]
	s_wait_dscnt 0x0
	v_pk_mul_f32 v[58:59], v[54:55], v[44:45] op_sel:[0,1]
	s_delay_alu instid0(VALU_DEP_1) | instskip(SKIP_1) | instid1(VALU_DEP_1)
	v_pk_fma_f32 v[60:61], v[54:55], v[46:47], v[58:59] op_sel:[0,0,1] op_sel_hi:[1,1,0] neg_lo:[0,0,1] neg_hi:[0,0,1]
	v_pk_fma_f32 v[54:55], v[54:55], v[46:47], v[58:59] op_sel:[0,0,1] op_sel_hi:[1,0,0]
	v_mov_b32_e32 v61, v55
	v_pk_mul_f32 v[54:55], v[56:57], v[44:45] op_sel:[0,1]
	s_delay_alu instid0(VALU_DEP_1) | instskip(SKIP_1) | instid1(VALU_DEP_1)
	v_pk_fma_f32 v[58:59], v[56:57], v[46:47], v[54:55] op_sel:[0,0,1] op_sel_hi:[1,1,0] neg_lo:[0,0,1] neg_hi:[0,0,1]
	v_pk_fma_f32 v[54:55], v[56:57], v[46:47], v[54:55] op_sel:[0,0,1] op_sel_hi:[1,0,0]
	v_mov_b32_e32 v59, v55
	ds_load_2addr_b64 v[54:57], v48 offset0:9 offset1:10
	v_pk_add_f32 v[4:5], v[4:5], v[60:61] neg_lo:[0,1] neg_hi:[0,1]
	v_pk_add_f32 v[30:31], v[30:31], v[58:59] neg_lo:[0,1] neg_hi:[0,1]
	s_wait_dscnt 0x0
	v_pk_mul_f32 v[58:59], v[54:55], v[44:45] op_sel:[0,1]
	s_delay_alu instid0(VALU_DEP_1) | instskip(SKIP_1) | instid1(VALU_DEP_1)
	v_pk_fma_f32 v[60:61], v[54:55], v[46:47], v[58:59] op_sel:[0,0,1] op_sel_hi:[1,1,0] neg_lo:[0,0,1] neg_hi:[0,0,1]
	v_pk_fma_f32 v[54:55], v[54:55], v[46:47], v[58:59] op_sel:[0,0,1] op_sel_hi:[1,0,0]
	v_mov_b32_e32 v61, v55
	v_pk_mul_f32 v[54:55], v[56:57], v[44:45] op_sel:[0,1]
	s_delay_alu instid0(VALU_DEP_1) | instskip(SKIP_1) | instid1(VALU_DEP_1)
	v_pk_fma_f32 v[58:59], v[56:57], v[46:47], v[54:55] op_sel:[0,0,1] op_sel_hi:[1,1,0] neg_lo:[0,0,1] neg_hi:[0,0,1]
	v_pk_fma_f32 v[54:55], v[56:57], v[46:47], v[54:55] op_sel:[0,0,1] op_sel_hi:[1,0,0]
	v_mov_b32_e32 v59, v55
	ds_load_2addr_b64 v[54:57], v48 offset0:11 offset1:12
	v_pk_add_f32 v[28:29], v[28:29], v[60:61] neg_lo:[0,1] neg_hi:[0,1]
	v_pk_add_f32 v[14:15], v[14:15], v[58:59] neg_lo:[0,1] neg_hi:[0,1]
	s_wait_dscnt 0x0
	v_dual_mul_f32 v58, v55, v45 :: v_dual_mul_f32 v60, v55, v46
	s_delay_alu instid0(VALU_DEP_1) | instskip(NEXT) | instid1(VALU_DEP_2)
	v_pk_fma_f32 v[58:59], v[54:55], v[36:37], v[58:59] op_sel_hi:[1,1,0] neg_lo:[0,0,1] neg_hi:[0,0,1]
	v_pk_fma_f32 v[54:55], v[54:55], v[36:37], v[60:61] op_sel:[1,0,0] op_sel_hi:[0,1,0]
	s_delay_alu instid0(VALU_DEP_1) | instskip(SKIP_1) | instid1(VALU_DEP_2)
	v_mov_b32_e32 v59, v55
	v_pk_mul_f32 v[54:55], v[56:57], v[44:45] op_sel:[0,1]
	v_pk_add_f32 v[12:13], v[12:13], v[58:59] neg_lo:[0,1] neg_hi:[0,1]
	s_delay_alu instid0(VALU_DEP_2) | instskip(SKIP_1) | instid1(VALU_DEP_1)
	v_pk_fma_f32 v[58:59], v[56:57], v[46:47], v[54:55] op_sel:[0,0,1] op_sel_hi:[1,1,0] neg_lo:[0,0,1] neg_hi:[0,0,1]
	v_pk_fma_f32 v[54:55], v[56:57], v[46:47], v[54:55] op_sel:[0,0,1] op_sel_hi:[1,0,0]
	v_mov_b32_e32 v59, v55
	ds_load_2addr_b64 v[54:57], v48 offset0:13 offset1:14
	v_pk_add_f32 v[26:27], v[26:27], v[58:59] neg_lo:[0,1] neg_hi:[0,1]
	s_wait_dscnt 0x0
	v_pk_mul_f32 v[58:59], v[54:55], v[44:45] op_sel:[0,1]
	s_delay_alu instid0(VALU_DEP_1) | instskip(SKIP_1) | instid1(VALU_DEP_1)
	v_pk_fma_f32 v[60:61], v[54:55], v[46:47], v[58:59] op_sel:[0,0,1] op_sel_hi:[1,1,0] neg_lo:[0,0,1] neg_hi:[0,0,1]
	v_pk_fma_f32 v[54:55], v[54:55], v[46:47], v[58:59] op_sel:[0,0,1] op_sel_hi:[1,0,0]
	v_mov_b32_e32 v61, v55
	v_pk_mul_f32 v[54:55], v[56:57], v[44:45] op_sel:[0,1]
	s_delay_alu instid0(VALU_DEP_2) | instskip(NEXT) | instid1(VALU_DEP_2)
	v_pk_add_f32 v[24:25], v[24:25], v[60:61] neg_lo:[0,1] neg_hi:[0,1]
	v_pk_fma_f32 v[58:59], v[56:57], v[46:47], v[54:55] op_sel:[0,0,1] op_sel_hi:[1,1,0] neg_lo:[0,0,1] neg_hi:[0,0,1]
	v_pk_fma_f32 v[54:55], v[56:57], v[46:47], v[54:55] op_sel:[0,0,1] op_sel_hi:[1,0,0]
	s_delay_alu instid0(VALU_DEP_1) | instskip(SKIP_4) | instid1(VALU_DEP_1)
	v_mov_b32_e32 v59, v55
	ds_load_2addr_b64 v[54:57], v48 offset0:15 offset1:16
	v_pk_add_f32 v[10:11], v[10:11], v[58:59] neg_lo:[0,1] neg_hi:[0,1]
	s_wait_dscnt 0x0
	v_pk_mul_f32 v[58:59], v[54:55], v[44:45] op_sel:[0,1]
	v_pk_fma_f32 v[60:61], v[54:55], v[46:47], v[58:59] op_sel:[0,0,1] op_sel_hi:[1,1,0] neg_lo:[0,0,1] neg_hi:[0,0,1]
	v_pk_fma_f32 v[54:55], v[54:55], v[46:47], v[58:59] op_sel:[0,0,1] op_sel_hi:[1,0,0]
	v_dual_mul_f32 v58, v57, v45 :: v_dual_mov_b32 v54, v57
	s_delay_alu instid0(VALU_DEP_2) | instskip(NEXT) | instid1(VALU_DEP_2)
	v_dual_mov_b32 v61, v55 :: v_dual_mov_b32 v55, v56
	v_pk_fma_f32 v[58:59], v[56:57], v[36:37], v[58:59] op_sel_hi:[1,1,0] neg_lo:[0,0,1] neg_hi:[0,0,1]
	v_mul_f32_e32 v56, v57, v46
	s_delay_alu instid0(VALU_DEP_3) | instskip(NEXT) | instid1(VALU_DEP_2)
	v_pk_add_f32 v[8:9], v[8:9], v[60:61] neg_lo:[0,1] neg_hi:[0,1]
	v_pk_fma_f32 v[54:55], v[54:55], v[36:37], v[56:57] op_sel_hi:[1,1,0]
	s_delay_alu instid0(VALU_DEP_1)
	v_mov_b32_e32 v59, v55
	ds_load_2addr_b64 v[54:57], v48 offset0:17 offset1:18
	v_pk_add_f32 v[18:19], v[18:19], v[58:59] neg_lo:[0,1] neg_hi:[0,1]
	s_wait_dscnt 0x0
	v_pk_mul_f32 v[58:59], v[54:55], v[44:45] op_sel:[0,1]
	v_pk_mul_f32 v[44:45], v[56:57], v[44:45] op_sel:[0,1]
	s_delay_alu instid0(VALU_DEP_2) | instskip(SKIP_1) | instid1(VALU_DEP_1)
	v_pk_fma_f32 v[60:61], v[54:55], v[46:47], v[58:59] op_sel:[0,0,1] op_sel_hi:[1,1,0] neg_lo:[0,0,1] neg_hi:[0,0,1]
	v_pk_fma_f32 v[54:55], v[54:55], v[46:47], v[58:59] op_sel:[0,0,1] op_sel_hi:[1,0,0]
	v_mov_b32_e32 v61, v55
	s_delay_alu instid0(VALU_DEP_4) | instskip(SKIP_1) | instid1(VALU_DEP_1)
	v_pk_fma_f32 v[54:55], v[56:57], v[46:47], v[44:45] op_sel:[0,0,1] op_sel_hi:[1,1,0] neg_lo:[0,0,1] neg_hi:[0,0,1]
	v_pk_fma_f32 v[44:45], v[56:57], v[46:47], v[44:45] op_sel:[0,0,1] op_sel_hi:[1,0,0]
	v_mov_b32_e32 v55, v45
	s_delay_alu instid0(VALU_DEP_4) | instskip(NEXT) | instid1(VALU_DEP_2)
	v_pk_add_f32 v[16:17], v[16:17], v[60:61] neg_lo:[0,1] neg_hi:[0,1]
	v_pk_add_f32 v[42:43], v[42:43], v[54:55] neg_lo:[0,1] neg_hi:[0,1]
.LBB36_62:
	s_or_b32 exec_lo, exec_lo, s0
	v_lshl_add_u32 v44, v52, 3, v48
	s_barrier_signal -1
	s_barrier_wait -1
	ds_store_b64 v44, v[34:35]
	s_wait_dscnt 0x0
	s_barrier_signal -1
	s_barrier_wait -1
	ds_load_b64 v[44:45], v48 offset:24
	v_mov_b32_e32 v46, 3
	s_cmp_lt_i32 s14, 5
	s_cbranch_scc1 .LBB36_65
; %bb.63:
	v_mov_b32_e32 v46, 3
	v_add3_u32 v47, v49, 0, 32
	s_mov_b32 s0, 4
.LBB36_64:                              ; =>This Inner Loop Header: Depth=1
	ds_load_b64 v[54:55], v47
	s_wait_dscnt 0x1
	v_cmp_gt_f32_e32 vcc_lo, 0, v44
	v_cndmask_b32_e64 v56, v44, -v44, vcc_lo
	v_cmp_gt_f32_e32 vcc_lo, 0, v45
	v_cndmask_b32_e64 v58, v45, -v45, vcc_lo
	s_wait_dscnt 0x0
	v_cmp_gt_f32_e32 vcc_lo, 0, v54
	v_cndmask_b32_e64 v57, v54, -v54, vcc_lo
	v_cmp_gt_f32_e32 vcc_lo, 0, v55
	v_cndmask_b32_e64 v59, v55, -v55, vcc_lo
	s_delay_alu instid0(VALU_DEP_1) | instskip(NEXT) | instid1(VALU_DEP_1)
	v_pk_add_f32 v[56:57], v[56:57], v[58:59]
	v_cmp_lt_f32_e32 vcc_lo, v56, v57
	v_dual_cndmask_b32 v44, v44, v54 :: v_dual_add_nc_u32 v47, 8, v47
	v_cndmask_b32_e32 v45, v45, v55, vcc_lo
	v_cndmask_b32_e64 v46, v46, s0, vcc_lo
	s_add_co_i32 s0, s0, 1
	s_delay_alu instid0(SALU_CYCLE_1)
	s_cmp_lg_u32 s14, s0
	s_cbranch_scc1 .LBB36_64
.LBB36_65:
	s_wait_dscnt 0x0
	v_cmp_eq_f32_e32 vcc_lo, 0, v44
	v_cmp_eq_f32_e64 s0, 0, v45
	s_and_b32 s0, vcc_lo, s0
	s_delay_alu instid0(SALU_CYCLE_1) | instskip(NEXT) | instid1(SALU_CYCLE_1)
	s_and_saveexec_b32 s1, s0
	s_xor_b32 s0, exec_lo, s1
; %bb.66:
	v_cmp_ne_u32_e32 vcc_lo, 0, v51
	v_cndmask_b32_e32 v51, 4, v51, vcc_lo
; %bb.67:
	s_and_not1_saveexec_b32 s0, s0
	s_cbranch_execz .LBB36_73
; %bb.68:
	v_cmp_ngt_f32_e64 s1, |v44|, |v45|
	s_and_saveexec_b32 s15, s1
	s_delay_alu instid0(SALU_CYCLE_1)
	s_xor_b32 s1, exec_lo, s15
	s_cbranch_execz .LBB36_70
; %bb.69:
	v_div_scale_f32 v47, null, v45, v45, v44
	v_div_scale_f32 v55, vcc_lo, v44, v45, v44
	s_delay_alu instid0(VALU_DEP_2) | instskip(SKIP_1) | instid1(TRANS32_DEP_1)
	v_rcp_f32_e32 v53, v47
	v_nop
	v_fma_f32 v54, -v47, v53, 1.0
	s_delay_alu instid0(VALU_DEP_1) | instskip(NEXT) | instid1(VALU_DEP_1)
	v_fmac_f32_e32 v53, v54, v53
	v_mul_f32_e32 v54, v55, v53
	s_delay_alu instid0(VALU_DEP_1) | instskip(NEXT) | instid1(VALU_DEP_1)
	v_fma_f32 v56, -v47, v54, v55
	v_fmac_f32_e32 v54, v56, v53
	s_delay_alu instid0(VALU_DEP_1) | instskip(NEXT) | instid1(VALU_DEP_1)
	v_fma_f32 v47, -v47, v54, v55
	v_div_fmas_f32 v47, v47, v53, v54
	s_delay_alu instid0(VALU_DEP_1) | instskip(NEXT) | instid1(VALU_DEP_1)
	v_div_fixup_f32 v47, v47, v45, v44
	v_fmac_f32_e32 v45, v44, v47
	s_delay_alu instid0(VALU_DEP_1) | instskip(SKIP_1) | instid1(VALU_DEP_2)
	v_div_scale_f32 v44, null, v45, v45, 1.0
	v_div_scale_f32 v55, vcc_lo, 1.0, v45, 1.0
	v_rcp_f32_e32 v53, v44
	v_nop
	s_delay_alu instid0(TRANS32_DEP_1) | instskip(NEXT) | instid1(VALU_DEP_1)
	v_fma_f32 v54, -v44, v53, 1.0
	v_fmac_f32_e32 v53, v54, v53
	s_delay_alu instid0(VALU_DEP_1) | instskip(NEXT) | instid1(VALU_DEP_1)
	v_mul_f32_e32 v54, v55, v53
	v_fma_f32 v56, -v44, v54, v55
	s_delay_alu instid0(VALU_DEP_1) | instskip(NEXT) | instid1(VALU_DEP_1)
	v_fmac_f32_e32 v54, v56, v53
	v_fma_f32 v44, -v44, v54, v55
	s_delay_alu instid0(VALU_DEP_1) | instskip(NEXT) | instid1(VALU_DEP_1)
	v_div_fmas_f32 v44, v44, v53, v54
	v_div_fixup_f32 v45, v44, v45, 1.0
	s_delay_alu instid0(VALU_DEP_1)
	v_mul_f32_e32 v44, v47, v45
	v_xor_b32_e32 v45, 0x80000000, v45
.LBB36_70:
	s_and_not1_saveexec_b32 s1, s1
	s_cbranch_execz .LBB36_72
; %bb.71:
	s_delay_alu instid0(VALU_DEP_1) | instskip(SKIP_1) | instid1(VALU_DEP_2)
	v_div_scale_f32 v47, null, v44, v44, v45
	v_div_scale_f32 v55, vcc_lo, v45, v44, v45
	v_rcp_f32_e32 v53, v47
	v_nop
	s_delay_alu instid0(TRANS32_DEP_1) | instskip(NEXT) | instid1(VALU_DEP_1)
	v_fma_f32 v54, -v47, v53, 1.0
	v_fmac_f32_e32 v53, v54, v53
	s_delay_alu instid0(VALU_DEP_1) | instskip(NEXT) | instid1(VALU_DEP_1)
	v_mul_f32_e32 v54, v55, v53
	v_fma_f32 v56, -v47, v54, v55
	s_delay_alu instid0(VALU_DEP_1) | instskip(NEXT) | instid1(VALU_DEP_1)
	v_fmac_f32_e32 v54, v56, v53
	v_fma_f32 v47, -v47, v54, v55
	s_delay_alu instid0(VALU_DEP_1) | instskip(NEXT) | instid1(VALU_DEP_1)
	v_div_fmas_f32 v47, v47, v53, v54
	v_div_fixup_f32 v47, v47, v44, v45
	s_delay_alu instid0(VALU_DEP_1) | instskip(NEXT) | instid1(VALU_DEP_1)
	v_fmac_f32_e32 v44, v45, v47
	v_div_scale_f32 v45, null, v44, v44, 1.0
	s_delay_alu instid0(VALU_DEP_1) | instskip(SKIP_1) | instid1(TRANS32_DEP_1)
	v_rcp_f32_e32 v53, v45
	v_nop
	v_fma_f32 v54, -v45, v53, 1.0
	s_delay_alu instid0(VALU_DEP_1) | instskip(SKIP_1) | instid1(VALU_DEP_1)
	v_fmac_f32_e32 v53, v54, v53
	v_div_scale_f32 v54, vcc_lo, 1.0, v44, 1.0
	v_mul_f32_e32 v55, v54, v53
	s_delay_alu instid0(VALU_DEP_1) | instskip(NEXT) | instid1(VALU_DEP_1)
	v_fma_f32 v56, -v45, v55, v54
	v_fmac_f32_e32 v55, v56, v53
	s_delay_alu instid0(VALU_DEP_1) | instskip(NEXT) | instid1(VALU_DEP_1)
	v_fma_f32 v45, -v45, v55, v54
	v_div_fmas_f32 v45, v45, v53, v55
	s_delay_alu instid0(VALU_DEP_1) | instskip(NEXT) | instid1(VALU_DEP_1)
	v_div_fixup_f32 v44, v45, v44, 1.0
	v_mul_f32_e64 v45, v47, -v44
.LBB36_72:
	s_or_b32 exec_lo, exec_lo, s1
.LBB36_73:
	s_delay_alu instid0(SALU_CYCLE_1) | instskip(NEXT) | instid1(SALU_CYCLE_1)
	s_or_b32 exec_lo, exec_lo, s0
	s_mov_b32 s0, exec_lo
	v_cmpx_ne_u32_e64 v52, v46
	s_xor_b32 s0, exec_lo, s0
	s_cbranch_execz .LBB36_79
; %bb.74:
	s_mov_b32 s1, exec_lo
	v_cmpx_eq_u32_e32 3, v52
	s_cbranch_execz .LBB36_78
; %bb.75:
	v_cmp_ne_u32_e32 vcc_lo, 3, v46
	s_xor_b32 s15, s12, -1
	s_delay_alu instid0(SALU_CYCLE_1) | instskip(NEXT) | instid1(SALU_CYCLE_1)
	s_and_b32 s16, s15, vcc_lo
	s_and_saveexec_b32 s15, s16
	s_cbranch_execz .LBB36_77
; %bb.76:
	v_ashrrev_i32_e32 v47, 31, v46
	s_delay_alu instid0(VALU_DEP_1)
	v_lshl_add_u64 v[52:53], v[46:47], 2, v[32:33]
	s_clause 0x1
	global_load_b32 v47, v[52:53], off
	global_load_b32 v50, v[32:33], off offset:12
	s_wait_loadcnt 0x1
	global_store_b32 v[32:33], v47, off offset:12
	s_wait_loadcnt 0x0
	global_store_b32 v[52:53], v50, off
.LBB36_77:
	s_wait_xcnt 0x0
	s_or_b32 exec_lo, exec_lo, s15
	v_dual_mov_b32 v52, v46 :: v_dual_mov_b32 v50, v46
.LBB36_78:
	s_or_b32 exec_lo, exec_lo, s1
.LBB36_79:
	s_and_not1_saveexec_b32 s0, s0
	s_cbranch_execz .LBB36_81
; %bb.80:
	v_dual_mov_b32 v46, v22 :: v_dual_mov_b32 v47, v23
	v_dual_mov_b32 v52, v20 :: v_dual_mov_b32 v53, v21
	ds_store_2addr_b64 v48, v[46:47], v[52:53] offset0:4 offset1:5
	v_dual_mov_b32 v46, v6 :: v_dual_mov_b32 v47, v7
	v_dual_mov_b32 v52, v4 :: v_dual_mov_b32 v53, v5
	ds_store_2addr_b64 v48, v[46:47], v[52:53] offset0:6 offset1:7
	;; [unrolled: 3-line block ×7, first 2 shown]
	ds_store_b64 v48, v[42:43] offset:144
	v_mov_b32_e32 v52, 3
.LBB36_81:
	s_or_b32 exec_lo, exec_lo, s0
	s_delay_alu instid0(SALU_CYCLE_1)
	s_mov_b32 s0, exec_lo
	s_wait_storecnt_dscnt 0x0
	s_barrier_signal -1
	s_barrier_wait -1
	v_cmpx_lt_i32_e32 3, v52
	s_cbranch_execz .LBB36_83
; %bb.82:
	v_pk_mul_f32 v[54:55], v[44:45], v[34:35] op_sel:[1,1] op_sel_hi:[0,1]
	s_delay_alu instid0(VALU_DEP_1)
	v_pk_fma_f32 v[46:47], v[44:45], v[34:35], v[54:55] op_sel_hi:[1,0,1] neg_lo:[0,0,1] neg_hi:[0,0,1]
	v_pk_fma_f32 v[44:45], v[44:45], v[34:35], v[54:55] op_sel_hi:[1,0,1]
	ds_load_2addr_b64 v[54:57], v48 offset0:4 offset1:5
	v_dual_mov_b32 v34, v46 :: v_dual_mov_b32 v35, v45
	s_wait_dscnt 0x0
	v_pk_mul_f32 v[58:59], v[54:55], v[44:45] op_sel:[0,1]
	s_delay_alu instid0(VALU_DEP_1) | instskip(SKIP_1) | instid1(VALU_DEP_1)
	v_pk_fma_f32 v[60:61], v[54:55], v[46:47], v[58:59] op_sel:[0,0,1] op_sel_hi:[1,1,0] neg_lo:[0,0,1] neg_hi:[0,0,1]
	v_pk_fma_f32 v[54:55], v[54:55], v[46:47], v[58:59] op_sel:[0,0,1] op_sel_hi:[1,0,0]
	v_mov_b32_e32 v61, v55
	v_pk_mul_f32 v[54:55], v[56:57], v[44:45] op_sel:[0,1]
	s_delay_alu instid0(VALU_DEP_1) | instskip(SKIP_1) | instid1(VALU_DEP_1)
	v_pk_fma_f32 v[58:59], v[56:57], v[46:47], v[54:55] op_sel:[0,0,1] op_sel_hi:[1,1,0] neg_lo:[0,0,1] neg_hi:[0,0,1]
	v_pk_fma_f32 v[54:55], v[56:57], v[46:47], v[54:55] op_sel:[0,0,1] op_sel_hi:[1,0,0]
	v_mov_b32_e32 v59, v55
	ds_load_2addr_b64 v[54:57], v48 offset0:6 offset1:7
	v_pk_add_f32 v[22:23], v[22:23], v[60:61] neg_lo:[0,1] neg_hi:[0,1]
	v_pk_add_f32 v[20:21], v[20:21], v[58:59] neg_lo:[0,1] neg_hi:[0,1]
	s_wait_dscnt 0x0
	v_pk_mul_f32 v[58:59], v[54:55], v[44:45] op_sel:[0,1]
	s_delay_alu instid0(VALU_DEP_1) | instskip(SKIP_2) | instid1(VALU_DEP_2)
	v_pk_fma_f32 v[60:61], v[54:55], v[46:47], v[58:59] op_sel:[0,0,1] op_sel_hi:[1,1,0] neg_lo:[0,0,1] neg_hi:[0,0,1]
	v_pk_fma_f32 v[54:55], v[54:55], v[46:47], v[58:59] op_sel:[0,0,1] op_sel_hi:[1,0,0]
	v_dual_mul_f32 v58, v57, v45 :: v_dual_mov_b32 v54, v57
	v_dual_mov_b32 v61, v55 :: v_dual_mov_b32 v55, v56
	s_delay_alu instid0(VALU_DEP_2) | instskip(SKIP_1) | instid1(VALU_DEP_3)
	v_pk_fma_f32 v[58:59], v[56:57], v[34:35], v[58:59] op_sel_hi:[1,1,0] neg_lo:[0,0,1] neg_hi:[0,0,1]
	v_mul_f32_e32 v56, v57, v46
	v_pk_add_f32 v[6:7], v[6:7], v[60:61] neg_lo:[0,1] neg_hi:[0,1]
	s_delay_alu instid0(VALU_DEP_2) | instskip(NEXT) | instid1(VALU_DEP_1)
	v_pk_fma_f32 v[54:55], v[54:55], v[34:35], v[56:57] op_sel_hi:[1,1,0]
	v_mov_b32_e32 v59, v55
	ds_load_2addr_b64 v[54:57], v48 offset0:8 offset1:9
	v_pk_add_f32 v[4:5], v[4:5], v[58:59] neg_lo:[0,1] neg_hi:[0,1]
	s_wait_dscnt 0x0
	v_pk_mul_f32 v[58:59], v[54:55], v[44:45] op_sel:[0,1]
	s_delay_alu instid0(VALU_DEP_1) | instskip(SKIP_1) | instid1(VALU_DEP_1)
	v_pk_fma_f32 v[60:61], v[54:55], v[46:47], v[58:59] op_sel:[0,0,1] op_sel_hi:[1,1,0] neg_lo:[0,0,1] neg_hi:[0,0,1]
	v_pk_fma_f32 v[54:55], v[54:55], v[46:47], v[58:59] op_sel:[0,0,1] op_sel_hi:[1,0,0]
	v_mov_b32_e32 v61, v55
	v_pk_mul_f32 v[54:55], v[56:57], v[44:45] op_sel:[0,1]
	s_delay_alu instid0(VALU_DEP_1) | instskip(SKIP_1) | instid1(VALU_DEP_1)
	v_pk_fma_f32 v[58:59], v[56:57], v[46:47], v[54:55] op_sel:[0,0,1] op_sel_hi:[1,1,0] neg_lo:[0,0,1] neg_hi:[0,0,1]
	v_pk_fma_f32 v[54:55], v[56:57], v[46:47], v[54:55] op_sel:[0,0,1] op_sel_hi:[1,0,0]
	v_mov_b32_e32 v59, v55
	ds_load_2addr_b64 v[54:57], v48 offset0:10 offset1:11
	v_pk_add_f32 v[30:31], v[30:31], v[60:61] neg_lo:[0,1] neg_hi:[0,1]
	v_pk_add_f32 v[28:29], v[28:29], v[58:59] neg_lo:[0,1] neg_hi:[0,1]
	s_wait_dscnt 0x0
	v_pk_mul_f32 v[58:59], v[54:55], v[44:45] op_sel:[0,1]
	s_delay_alu instid0(VALU_DEP_1) | instskip(SKIP_1) | instid1(VALU_DEP_1)
	v_pk_fma_f32 v[60:61], v[54:55], v[46:47], v[58:59] op_sel:[0,0,1] op_sel_hi:[1,1,0] neg_lo:[0,0,1] neg_hi:[0,0,1]
	v_pk_fma_f32 v[54:55], v[54:55], v[46:47], v[58:59] op_sel:[0,0,1] op_sel_hi:[1,0,0]
	v_mov_b32_e32 v61, v55
	v_pk_mul_f32 v[54:55], v[56:57], v[44:45] op_sel:[0,1]
	s_delay_alu instid0(VALU_DEP_1) | instskip(SKIP_1) | instid1(VALU_DEP_1)
	v_pk_fma_f32 v[58:59], v[56:57], v[46:47], v[54:55] op_sel:[0,0,1] op_sel_hi:[1,1,0] neg_lo:[0,0,1] neg_hi:[0,0,1]
	v_pk_fma_f32 v[54:55], v[56:57], v[46:47], v[54:55] op_sel:[0,0,1] op_sel_hi:[1,0,0]
	v_mov_b32_e32 v59, v55
	ds_load_2addr_b64 v[54:57], v48 offset0:12 offset1:13
	v_pk_add_f32 v[14:15], v[14:15], v[60:61] neg_lo:[0,1] neg_hi:[0,1]
	v_pk_add_f32 v[12:13], v[12:13], v[58:59] neg_lo:[0,1] neg_hi:[0,1]
	s_wait_dscnt 0x0
	v_dual_mul_f32 v58, v55, v45 :: v_dual_mul_f32 v60, v55, v46
	s_delay_alu instid0(VALU_DEP_1) | instskip(NEXT) | instid1(VALU_DEP_2)
	v_pk_fma_f32 v[58:59], v[54:55], v[34:35], v[58:59] op_sel_hi:[1,1,0] neg_lo:[0,0,1] neg_hi:[0,0,1]
	v_pk_fma_f32 v[54:55], v[54:55], v[34:35], v[60:61] op_sel:[1,0,0] op_sel_hi:[0,1,0]
	s_delay_alu instid0(VALU_DEP_1) | instskip(SKIP_1) | instid1(VALU_DEP_2)
	v_mov_b32_e32 v59, v55
	v_pk_mul_f32 v[54:55], v[56:57], v[44:45] op_sel:[0,1]
	v_pk_add_f32 v[26:27], v[26:27], v[58:59] neg_lo:[0,1] neg_hi:[0,1]
	s_delay_alu instid0(VALU_DEP_2) | instskip(SKIP_1) | instid1(VALU_DEP_1)
	v_pk_fma_f32 v[58:59], v[56:57], v[46:47], v[54:55] op_sel:[0,0,1] op_sel_hi:[1,1,0] neg_lo:[0,0,1] neg_hi:[0,0,1]
	v_pk_fma_f32 v[54:55], v[56:57], v[46:47], v[54:55] op_sel:[0,0,1] op_sel_hi:[1,0,0]
	v_mov_b32_e32 v59, v55
	ds_load_2addr_b64 v[54:57], v48 offset0:14 offset1:15
	v_pk_add_f32 v[24:25], v[24:25], v[58:59] neg_lo:[0,1] neg_hi:[0,1]
	s_wait_dscnt 0x0
	v_pk_mul_f32 v[58:59], v[54:55], v[44:45] op_sel:[0,1]
	s_delay_alu instid0(VALU_DEP_1) | instskip(SKIP_1) | instid1(VALU_DEP_1)
	v_pk_fma_f32 v[60:61], v[54:55], v[46:47], v[58:59] op_sel:[0,0,1] op_sel_hi:[1,1,0] neg_lo:[0,0,1] neg_hi:[0,0,1]
	v_pk_fma_f32 v[54:55], v[54:55], v[46:47], v[58:59] op_sel:[0,0,1] op_sel_hi:[1,0,0]
	v_mov_b32_e32 v61, v55
	v_pk_mul_f32 v[54:55], v[56:57], v[44:45] op_sel:[0,1]
	s_delay_alu instid0(VALU_DEP_2) | instskip(NEXT) | instid1(VALU_DEP_2)
	v_pk_add_f32 v[10:11], v[10:11], v[60:61] neg_lo:[0,1] neg_hi:[0,1]
	v_pk_fma_f32 v[58:59], v[56:57], v[46:47], v[54:55] op_sel:[0,0,1] op_sel_hi:[1,1,0] neg_lo:[0,0,1] neg_hi:[0,0,1]
	v_pk_fma_f32 v[54:55], v[56:57], v[46:47], v[54:55] op_sel:[0,0,1] op_sel_hi:[1,0,0]
	s_delay_alu instid0(VALU_DEP_1) | instskip(SKIP_4) | instid1(VALU_DEP_1)
	v_mov_b32_e32 v59, v55
	ds_load_2addr_b64 v[54:57], v48 offset0:16 offset1:17
	v_pk_add_f32 v[8:9], v[8:9], v[58:59] neg_lo:[0,1] neg_hi:[0,1]
	s_wait_dscnt 0x0
	v_pk_mul_f32 v[58:59], v[54:55], v[44:45] op_sel:[0,1]
	v_pk_fma_f32 v[60:61], v[54:55], v[46:47], v[58:59] op_sel:[0,0,1] op_sel_hi:[1,1,0] neg_lo:[0,0,1] neg_hi:[0,0,1]
	v_pk_fma_f32 v[54:55], v[54:55], v[46:47], v[58:59] op_sel:[0,0,1] op_sel_hi:[1,0,0]
	v_dual_mul_f32 v58, v57, v45 :: v_dual_mov_b32 v54, v57
	s_delay_alu instid0(VALU_DEP_2) | instskip(NEXT) | instid1(VALU_DEP_2)
	v_dual_mov_b32 v61, v55 :: v_dual_mov_b32 v55, v56
	v_pk_fma_f32 v[58:59], v[56:57], v[34:35], v[58:59] op_sel_hi:[1,1,0] neg_lo:[0,0,1] neg_hi:[0,0,1]
	v_mul_f32_e32 v56, v57, v46
	s_delay_alu instid0(VALU_DEP_3) | instskip(NEXT) | instid1(VALU_DEP_2)
	v_pk_add_f32 v[18:19], v[18:19], v[60:61] neg_lo:[0,1] neg_hi:[0,1]
	v_pk_fma_f32 v[54:55], v[54:55], v[34:35], v[56:57] op_sel_hi:[1,1,0]
	s_delay_alu instid0(VALU_DEP_1) | instskip(SKIP_4) | instid1(VALU_DEP_1)
	v_mov_b32_e32 v59, v55
	ds_load_b64 v[54:55], v48 offset:144
	v_pk_add_f32 v[16:17], v[16:17], v[58:59] neg_lo:[0,1] neg_hi:[0,1]
	s_wait_dscnt 0x0
	v_pk_mul_f32 v[44:45], v[54:55], v[44:45] op_sel:[0,1]
	v_pk_fma_f32 v[56:57], v[54:55], v[46:47], v[44:45] op_sel:[0,0,1] op_sel_hi:[1,1,0] neg_lo:[0,0,1] neg_hi:[0,0,1]
	v_pk_fma_f32 v[44:45], v[54:55], v[46:47], v[44:45] op_sel:[0,0,1] op_sel_hi:[1,0,0]
	s_delay_alu instid0(VALU_DEP_1) | instskip(NEXT) | instid1(VALU_DEP_1)
	v_mov_b32_e32 v57, v45
	v_pk_add_f32 v[42:43], v[42:43], v[56:57] neg_lo:[0,1] neg_hi:[0,1]
.LBB36_83:
	s_or_b32 exec_lo, exec_lo, s0
	v_lshl_add_u32 v44, v52, 3, v48
	s_barrier_signal -1
	s_barrier_wait -1
	ds_store_b64 v44, v[22:23]
	s_wait_dscnt 0x0
	s_barrier_signal -1
	s_barrier_wait -1
	ds_load_b64 v[44:45], v48 offset:32
	v_mov_b32_e32 v46, 4
	s_cmp_lt_i32 s14, 6
	s_cbranch_scc1 .LBB36_86
; %bb.84:
	v_add3_u32 v47, v49, 0, 40
	v_mov_b32_e32 v46, 4
	s_mov_b32 s0, 5
.LBB36_85:                              ; =>This Inner Loop Header: Depth=1
	ds_load_b64 v[54:55], v47
	s_wait_dscnt 0x1
	v_cmp_gt_f32_e32 vcc_lo, 0, v44
	v_cndmask_b32_e64 v56, v44, -v44, vcc_lo
	v_cmp_gt_f32_e32 vcc_lo, 0, v45
	v_cndmask_b32_e64 v58, v45, -v45, vcc_lo
	s_wait_dscnt 0x0
	v_cmp_gt_f32_e32 vcc_lo, 0, v54
	v_cndmask_b32_e64 v57, v54, -v54, vcc_lo
	v_cmp_gt_f32_e32 vcc_lo, 0, v55
	v_cndmask_b32_e64 v59, v55, -v55, vcc_lo
	s_delay_alu instid0(VALU_DEP_1) | instskip(NEXT) | instid1(VALU_DEP_1)
	v_pk_add_f32 v[56:57], v[56:57], v[58:59]
	v_cmp_lt_f32_e32 vcc_lo, v56, v57
	v_dual_cndmask_b32 v44, v44, v54 :: v_dual_add_nc_u32 v47, 8, v47
	v_cndmask_b32_e32 v45, v45, v55, vcc_lo
	v_cndmask_b32_e64 v46, v46, s0, vcc_lo
	s_add_co_i32 s0, s0, 1
	s_delay_alu instid0(SALU_CYCLE_1)
	s_cmp_lg_u32 s14, s0
	s_cbranch_scc1 .LBB36_85
.LBB36_86:
	s_wait_dscnt 0x0
	v_cmp_eq_f32_e32 vcc_lo, 0, v44
	v_cmp_eq_f32_e64 s0, 0, v45
	s_and_b32 s0, vcc_lo, s0
	s_delay_alu instid0(SALU_CYCLE_1) | instskip(NEXT) | instid1(SALU_CYCLE_1)
	s_and_saveexec_b32 s1, s0
	s_xor_b32 s0, exec_lo, s1
; %bb.87:
	v_cmp_ne_u32_e32 vcc_lo, 0, v51
	v_cndmask_b32_e32 v51, 5, v51, vcc_lo
; %bb.88:
	s_and_not1_saveexec_b32 s0, s0
	s_cbranch_execz .LBB36_94
; %bb.89:
	v_cmp_ngt_f32_e64 s1, |v44|, |v45|
	s_and_saveexec_b32 s15, s1
	s_delay_alu instid0(SALU_CYCLE_1)
	s_xor_b32 s1, exec_lo, s15
	s_cbranch_execz .LBB36_91
; %bb.90:
	v_div_scale_f32 v47, null, v45, v45, v44
	v_div_scale_f32 v55, vcc_lo, v44, v45, v44
	s_delay_alu instid0(VALU_DEP_2) | instskip(SKIP_1) | instid1(TRANS32_DEP_1)
	v_rcp_f32_e32 v53, v47
	v_nop
	v_fma_f32 v54, -v47, v53, 1.0
	s_delay_alu instid0(VALU_DEP_1) | instskip(NEXT) | instid1(VALU_DEP_1)
	v_fmac_f32_e32 v53, v54, v53
	v_mul_f32_e32 v54, v55, v53
	s_delay_alu instid0(VALU_DEP_1) | instskip(NEXT) | instid1(VALU_DEP_1)
	v_fma_f32 v56, -v47, v54, v55
	v_fmac_f32_e32 v54, v56, v53
	s_delay_alu instid0(VALU_DEP_1) | instskip(NEXT) | instid1(VALU_DEP_1)
	v_fma_f32 v47, -v47, v54, v55
	v_div_fmas_f32 v47, v47, v53, v54
	s_delay_alu instid0(VALU_DEP_1) | instskip(NEXT) | instid1(VALU_DEP_1)
	v_div_fixup_f32 v47, v47, v45, v44
	v_fmac_f32_e32 v45, v44, v47
	s_delay_alu instid0(VALU_DEP_1) | instskip(SKIP_1) | instid1(VALU_DEP_2)
	v_div_scale_f32 v44, null, v45, v45, 1.0
	v_div_scale_f32 v55, vcc_lo, 1.0, v45, 1.0
	v_rcp_f32_e32 v53, v44
	v_nop
	s_delay_alu instid0(TRANS32_DEP_1) | instskip(NEXT) | instid1(VALU_DEP_1)
	v_fma_f32 v54, -v44, v53, 1.0
	v_fmac_f32_e32 v53, v54, v53
	s_delay_alu instid0(VALU_DEP_1) | instskip(NEXT) | instid1(VALU_DEP_1)
	v_mul_f32_e32 v54, v55, v53
	v_fma_f32 v56, -v44, v54, v55
	s_delay_alu instid0(VALU_DEP_1) | instskip(NEXT) | instid1(VALU_DEP_1)
	v_fmac_f32_e32 v54, v56, v53
	v_fma_f32 v44, -v44, v54, v55
	s_delay_alu instid0(VALU_DEP_1) | instskip(NEXT) | instid1(VALU_DEP_1)
	v_div_fmas_f32 v44, v44, v53, v54
	v_div_fixup_f32 v45, v44, v45, 1.0
	s_delay_alu instid0(VALU_DEP_1)
	v_mul_f32_e32 v44, v47, v45
	v_xor_b32_e32 v45, 0x80000000, v45
.LBB36_91:
	s_and_not1_saveexec_b32 s1, s1
	s_cbranch_execz .LBB36_93
; %bb.92:
	s_delay_alu instid0(VALU_DEP_1) | instskip(SKIP_1) | instid1(VALU_DEP_2)
	v_div_scale_f32 v47, null, v44, v44, v45
	v_div_scale_f32 v55, vcc_lo, v45, v44, v45
	v_rcp_f32_e32 v53, v47
	v_nop
	s_delay_alu instid0(TRANS32_DEP_1) | instskip(NEXT) | instid1(VALU_DEP_1)
	v_fma_f32 v54, -v47, v53, 1.0
	v_fmac_f32_e32 v53, v54, v53
	s_delay_alu instid0(VALU_DEP_1) | instskip(NEXT) | instid1(VALU_DEP_1)
	v_mul_f32_e32 v54, v55, v53
	v_fma_f32 v56, -v47, v54, v55
	s_delay_alu instid0(VALU_DEP_1) | instskip(NEXT) | instid1(VALU_DEP_1)
	v_fmac_f32_e32 v54, v56, v53
	v_fma_f32 v47, -v47, v54, v55
	s_delay_alu instid0(VALU_DEP_1) | instskip(NEXT) | instid1(VALU_DEP_1)
	v_div_fmas_f32 v47, v47, v53, v54
	v_div_fixup_f32 v47, v47, v44, v45
	s_delay_alu instid0(VALU_DEP_1) | instskip(NEXT) | instid1(VALU_DEP_1)
	v_fmac_f32_e32 v44, v45, v47
	v_div_scale_f32 v45, null, v44, v44, 1.0
	s_delay_alu instid0(VALU_DEP_1) | instskip(SKIP_1) | instid1(TRANS32_DEP_1)
	v_rcp_f32_e32 v53, v45
	v_nop
	v_fma_f32 v54, -v45, v53, 1.0
	s_delay_alu instid0(VALU_DEP_1) | instskip(SKIP_1) | instid1(VALU_DEP_1)
	v_fmac_f32_e32 v53, v54, v53
	v_div_scale_f32 v54, vcc_lo, 1.0, v44, 1.0
	v_mul_f32_e32 v55, v54, v53
	s_delay_alu instid0(VALU_DEP_1) | instskip(NEXT) | instid1(VALU_DEP_1)
	v_fma_f32 v56, -v45, v55, v54
	v_fmac_f32_e32 v55, v56, v53
	s_delay_alu instid0(VALU_DEP_1) | instskip(NEXT) | instid1(VALU_DEP_1)
	v_fma_f32 v45, -v45, v55, v54
	v_div_fmas_f32 v45, v45, v53, v55
	s_delay_alu instid0(VALU_DEP_1) | instskip(NEXT) | instid1(VALU_DEP_1)
	v_div_fixup_f32 v44, v45, v44, 1.0
	v_mul_f32_e64 v45, v47, -v44
.LBB36_93:
	s_or_b32 exec_lo, exec_lo, s1
.LBB36_94:
	s_delay_alu instid0(SALU_CYCLE_1) | instskip(NEXT) | instid1(SALU_CYCLE_1)
	s_or_b32 exec_lo, exec_lo, s0
	s_mov_b32 s0, exec_lo
	v_cmpx_ne_u32_e64 v52, v46
	s_xor_b32 s0, exec_lo, s0
	s_cbranch_execz .LBB36_100
; %bb.95:
	s_mov_b32 s1, exec_lo
	v_cmpx_eq_u32_e32 4, v52
	s_cbranch_execz .LBB36_99
; %bb.96:
	v_cmp_ne_u32_e32 vcc_lo, 4, v46
	s_xor_b32 s15, s12, -1
	s_delay_alu instid0(SALU_CYCLE_1) | instskip(NEXT) | instid1(SALU_CYCLE_1)
	s_and_b32 s16, s15, vcc_lo
	s_and_saveexec_b32 s15, s16
	s_cbranch_execz .LBB36_98
; %bb.97:
	v_ashrrev_i32_e32 v47, 31, v46
	s_delay_alu instid0(VALU_DEP_1)
	v_lshl_add_u64 v[52:53], v[46:47], 2, v[32:33]
	s_clause 0x1
	global_load_b32 v47, v[52:53], off
	global_load_b32 v50, v[32:33], off offset:16
	s_wait_loadcnt 0x1
	global_store_b32 v[32:33], v47, off offset:16
	s_wait_loadcnt 0x0
	global_store_b32 v[52:53], v50, off
.LBB36_98:
	s_wait_xcnt 0x0
	s_or_b32 exec_lo, exec_lo, s15
	v_dual_mov_b32 v52, v46 :: v_dual_mov_b32 v50, v46
.LBB36_99:
	s_or_b32 exec_lo, exec_lo, s1
.LBB36_100:
	s_and_not1_saveexec_b32 s0, s0
	s_cbranch_execz .LBB36_102
; %bb.101:
	v_mov_b32_e32 v52, 4
	ds_store_2addr_b64 v48, v[20:21], v[6:7] offset0:5 offset1:6
	ds_store_2addr_b64 v48, v[4:5], v[30:31] offset0:7 offset1:8
	;; [unrolled: 1-line block ×7, first 2 shown]
.LBB36_102:
	s_or_b32 exec_lo, exec_lo, s0
	s_delay_alu instid0(SALU_CYCLE_1)
	s_mov_b32 s0, exec_lo
	s_wait_storecnt_dscnt 0x0
	s_barrier_signal -1
	s_barrier_wait -1
	v_cmpx_lt_i32_e32 4, v52
	s_cbranch_execz .LBB36_104
; %bb.103:
	v_pk_mul_f32 v[46:47], v[44:45], v[22:23] op_sel:[1,1] op_sel_hi:[0,1]
	s_delay_alu instid0(VALU_DEP_1)
	v_pk_fma_f32 v[54:55], v[44:45], v[22:23], v[46:47] op_sel_hi:[1,0,1] neg_lo:[0,0,1] neg_hi:[0,0,1]
	v_pk_fma_f32 v[56:57], v[44:45], v[22:23], v[46:47] op_sel_hi:[1,0,1]
	ds_load_2addr_b64 v[44:47], v48 offset0:5 offset1:6
	v_dual_mov_b32 v22, v54 :: v_dual_mov_b32 v23, v57
	s_wait_dscnt 0x0
	v_pk_mul_f32 v[58:59], v[44:45], v[56:57] op_sel:[0,1]
	s_delay_alu instid0(VALU_DEP_1) | instskip(SKIP_1) | instid1(VALU_DEP_1)
	v_pk_fma_f32 v[60:61], v[44:45], v[54:55], v[58:59] op_sel:[0,0,1] op_sel_hi:[1,1,0] neg_lo:[0,0,1] neg_hi:[0,0,1]
	v_pk_fma_f32 v[44:45], v[44:45], v[54:55], v[58:59] op_sel:[0,0,1] op_sel_hi:[1,0,0]
	v_mov_b32_e32 v61, v45
	v_pk_mul_f32 v[44:45], v[46:47], v[56:57] op_sel:[0,1]
	s_delay_alu instid0(VALU_DEP_1) | instskip(SKIP_1) | instid1(VALU_DEP_1)
	v_pk_fma_f32 v[58:59], v[46:47], v[54:55], v[44:45] op_sel:[0,0,1] op_sel_hi:[1,1,0] neg_lo:[0,0,1] neg_hi:[0,0,1]
	v_pk_fma_f32 v[44:45], v[46:47], v[54:55], v[44:45] op_sel:[0,0,1] op_sel_hi:[1,0,0]
	v_mov_b32_e32 v59, v45
	ds_load_2addr_b64 v[44:47], v48 offset0:7 offset1:8
	v_pk_add_f32 v[20:21], v[20:21], v[60:61] neg_lo:[0,1] neg_hi:[0,1]
	v_pk_add_f32 v[6:7], v[6:7], v[58:59] neg_lo:[0,1] neg_hi:[0,1]
	s_wait_dscnt 0x0
	v_pk_mul_f32 v[58:59], v[44:45], v[56:57] op_sel:[0,1]
	s_delay_alu instid0(VALU_DEP_1) | instskip(SKIP_2) | instid1(VALU_DEP_2)
	v_pk_fma_f32 v[60:61], v[44:45], v[54:55], v[58:59] op_sel:[0,0,1] op_sel_hi:[1,1,0] neg_lo:[0,0,1] neg_hi:[0,0,1]
	v_pk_fma_f32 v[44:45], v[44:45], v[54:55], v[58:59] op_sel:[0,0,1] op_sel_hi:[1,0,0]
	v_dual_mul_f32 v58, v47, v57 :: v_dual_mov_b32 v44, v47
	v_dual_mov_b32 v61, v45 :: v_dual_mov_b32 v45, v46
	s_delay_alu instid0(VALU_DEP_2) | instskip(SKIP_1) | instid1(VALU_DEP_3)
	v_pk_fma_f32 v[58:59], v[46:47], v[22:23], v[58:59] op_sel_hi:[1,1,0] neg_lo:[0,0,1] neg_hi:[0,0,1]
	v_mul_f32_e32 v46, v47, v54
	v_pk_add_f32 v[4:5], v[4:5], v[60:61] neg_lo:[0,1] neg_hi:[0,1]
	s_delay_alu instid0(VALU_DEP_2) | instskip(NEXT) | instid1(VALU_DEP_1)
	v_pk_fma_f32 v[44:45], v[44:45], v[22:23], v[46:47] op_sel_hi:[1,1,0]
	v_mov_b32_e32 v59, v45
	ds_load_2addr_b64 v[44:47], v48 offset0:9 offset1:10
	v_pk_add_f32 v[30:31], v[30:31], v[58:59] neg_lo:[0,1] neg_hi:[0,1]
	s_wait_dscnt 0x0
	v_pk_mul_f32 v[58:59], v[44:45], v[56:57] op_sel:[0,1]
	s_delay_alu instid0(VALU_DEP_1) | instskip(SKIP_1) | instid1(VALU_DEP_1)
	v_pk_fma_f32 v[60:61], v[44:45], v[54:55], v[58:59] op_sel:[0,0,1] op_sel_hi:[1,1,0] neg_lo:[0,0,1] neg_hi:[0,0,1]
	v_pk_fma_f32 v[44:45], v[44:45], v[54:55], v[58:59] op_sel:[0,0,1] op_sel_hi:[1,0,0]
	v_mov_b32_e32 v61, v45
	v_pk_mul_f32 v[44:45], v[46:47], v[56:57] op_sel:[0,1]
	s_delay_alu instid0(VALU_DEP_1) | instskip(SKIP_1) | instid1(VALU_DEP_1)
	v_pk_fma_f32 v[58:59], v[46:47], v[54:55], v[44:45] op_sel:[0,0,1] op_sel_hi:[1,1,0] neg_lo:[0,0,1] neg_hi:[0,0,1]
	v_pk_fma_f32 v[44:45], v[46:47], v[54:55], v[44:45] op_sel:[0,0,1] op_sel_hi:[1,0,0]
	v_mov_b32_e32 v59, v45
	ds_load_2addr_b64 v[44:47], v48 offset0:11 offset1:12
	v_pk_add_f32 v[28:29], v[28:29], v[60:61] neg_lo:[0,1] neg_hi:[0,1]
	v_pk_add_f32 v[14:15], v[14:15], v[58:59] neg_lo:[0,1] neg_hi:[0,1]
	s_wait_dscnt 0x0
	v_pk_mul_f32 v[58:59], v[44:45], v[56:57] op_sel:[0,1]
	s_delay_alu instid0(VALU_DEP_1) | instskip(SKIP_1) | instid1(VALU_DEP_1)
	v_pk_fma_f32 v[60:61], v[44:45], v[54:55], v[58:59] op_sel:[0,0,1] op_sel_hi:[1,1,0] neg_lo:[0,0,1] neg_hi:[0,0,1]
	v_pk_fma_f32 v[44:45], v[44:45], v[54:55], v[58:59] op_sel:[0,0,1] op_sel_hi:[1,0,0]
	v_mov_b32_e32 v61, v45
	v_pk_mul_f32 v[44:45], v[46:47], v[56:57] op_sel:[0,1]
	s_delay_alu instid0(VALU_DEP_1) | instskip(SKIP_1) | instid1(VALU_DEP_1)
	v_pk_fma_f32 v[58:59], v[46:47], v[54:55], v[44:45] op_sel:[0,0,1] op_sel_hi:[1,1,0] neg_lo:[0,0,1] neg_hi:[0,0,1]
	v_pk_fma_f32 v[44:45], v[46:47], v[54:55], v[44:45] op_sel:[0,0,1] op_sel_hi:[1,0,0]
	v_mov_b32_e32 v59, v45
	ds_load_2addr_b64 v[44:47], v48 offset0:13 offset1:14
	v_pk_add_f32 v[12:13], v[12:13], v[60:61] neg_lo:[0,1] neg_hi:[0,1]
	v_pk_add_f32 v[26:27], v[26:27], v[58:59] neg_lo:[0,1] neg_hi:[0,1]
	s_wait_dscnt 0x0
	v_dual_mul_f32 v58, v45, v57 :: v_dual_mul_f32 v60, v45, v54
	s_delay_alu instid0(VALU_DEP_1) | instskip(NEXT) | instid1(VALU_DEP_2)
	v_pk_fma_f32 v[58:59], v[44:45], v[22:23], v[58:59] op_sel_hi:[1,1,0] neg_lo:[0,0,1] neg_hi:[0,0,1]
	v_pk_fma_f32 v[44:45], v[44:45], v[22:23], v[60:61] op_sel:[1,0,0] op_sel_hi:[0,1,0]
	s_delay_alu instid0(VALU_DEP_1) | instskip(SKIP_1) | instid1(VALU_DEP_2)
	v_mov_b32_e32 v59, v45
	v_pk_mul_f32 v[44:45], v[46:47], v[56:57] op_sel:[0,1]
	v_pk_add_f32 v[24:25], v[24:25], v[58:59] neg_lo:[0,1] neg_hi:[0,1]
	s_delay_alu instid0(VALU_DEP_2) | instskip(SKIP_1) | instid1(VALU_DEP_1)
	v_pk_fma_f32 v[58:59], v[46:47], v[54:55], v[44:45] op_sel:[0,0,1] op_sel_hi:[1,1,0] neg_lo:[0,0,1] neg_hi:[0,0,1]
	v_pk_fma_f32 v[44:45], v[46:47], v[54:55], v[44:45] op_sel:[0,0,1] op_sel_hi:[1,0,0]
	v_mov_b32_e32 v59, v45
	ds_load_2addr_b64 v[44:47], v48 offset0:15 offset1:16
	v_pk_add_f32 v[10:11], v[10:11], v[58:59] neg_lo:[0,1] neg_hi:[0,1]
	s_wait_dscnt 0x0
	v_pk_mul_f32 v[58:59], v[44:45], v[56:57] op_sel:[0,1]
	s_delay_alu instid0(VALU_DEP_1) | instskip(SKIP_1) | instid1(VALU_DEP_1)
	v_pk_fma_f32 v[60:61], v[44:45], v[54:55], v[58:59] op_sel:[0,0,1] op_sel_hi:[1,1,0] neg_lo:[0,0,1] neg_hi:[0,0,1]
	v_pk_fma_f32 v[44:45], v[44:45], v[54:55], v[58:59] op_sel:[0,0,1] op_sel_hi:[1,0,0]
	v_mov_b32_e32 v61, v45
	v_pk_mul_f32 v[44:45], v[46:47], v[56:57] op_sel:[0,1]
	s_delay_alu instid0(VALU_DEP_2) | instskip(NEXT) | instid1(VALU_DEP_2)
	v_pk_add_f32 v[8:9], v[8:9], v[60:61] neg_lo:[0,1] neg_hi:[0,1]
	v_pk_fma_f32 v[58:59], v[46:47], v[54:55], v[44:45] op_sel:[0,0,1] op_sel_hi:[1,1,0] neg_lo:[0,0,1] neg_hi:[0,0,1]
	v_pk_fma_f32 v[44:45], v[46:47], v[54:55], v[44:45] op_sel:[0,0,1] op_sel_hi:[1,0,0]
	s_delay_alu instid0(VALU_DEP_1) | instskip(SKIP_4) | instid1(VALU_DEP_1)
	v_mov_b32_e32 v59, v45
	ds_load_2addr_b64 v[44:47], v48 offset0:17 offset1:18
	v_pk_add_f32 v[18:19], v[18:19], v[58:59] neg_lo:[0,1] neg_hi:[0,1]
	s_wait_dscnt 0x0
	v_pk_mul_f32 v[58:59], v[44:45], v[56:57] op_sel:[0,1]
	v_pk_fma_f32 v[60:61], v[44:45], v[54:55], v[58:59] op_sel:[0,0,1] op_sel_hi:[1,1,0] neg_lo:[0,0,1] neg_hi:[0,0,1]
	v_pk_fma_f32 v[44:45], v[44:45], v[54:55], v[58:59] op_sel:[0,0,1] op_sel_hi:[1,0,0]
	s_delay_alu instid0(VALU_DEP_1) | instskip(SKIP_1) | instid1(VALU_DEP_2)
	v_mov_b32_e32 v61, v45
	v_pk_mul_f32 v[44:45], v[46:47], v[56:57] op_sel:[0,1]
	v_pk_add_f32 v[16:17], v[16:17], v[60:61] neg_lo:[0,1] neg_hi:[0,1]
	s_delay_alu instid0(VALU_DEP_2) | instskip(SKIP_1) | instid1(VALU_DEP_1)
	v_pk_fma_f32 v[56:57], v[46:47], v[54:55], v[44:45] op_sel:[0,0,1] op_sel_hi:[1,1,0] neg_lo:[0,0,1] neg_hi:[0,0,1]
	v_pk_fma_f32 v[44:45], v[46:47], v[54:55], v[44:45] op_sel:[0,0,1] op_sel_hi:[1,0,0]
	v_mov_b32_e32 v57, v45
	s_delay_alu instid0(VALU_DEP_1)
	v_pk_add_f32 v[42:43], v[42:43], v[56:57] neg_lo:[0,1] neg_hi:[0,1]
.LBB36_104:
	s_or_b32 exec_lo, exec_lo, s0
	v_lshl_add_u32 v44, v52, 3, v48
	s_barrier_signal -1
	s_barrier_wait -1
	ds_store_b64 v44, v[20:21]
	s_wait_dscnt 0x0
	s_barrier_signal -1
	s_barrier_wait -1
	ds_load_b64 v[44:45], v48 offset:40
	v_mov_b32_e32 v46, 5
	s_cmp_lt_i32 s14, 7
	s_cbranch_scc1 .LBB36_107
; %bb.105:
	v_add3_u32 v47, v49, 0, 48
	v_mov_b32_e32 v46, 5
	s_mov_b32 s0, 6
.LBB36_106:                             ; =>This Inner Loop Header: Depth=1
	ds_load_b64 v[54:55], v47
	s_wait_dscnt 0x1
	v_cmp_gt_f32_e32 vcc_lo, 0, v44
	v_cndmask_b32_e64 v56, v44, -v44, vcc_lo
	v_cmp_gt_f32_e32 vcc_lo, 0, v45
	v_cndmask_b32_e64 v58, v45, -v45, vcc_lo
	s_wait_dscnt 0x0
	v_cmp_gt_f32_e32 vcc_lo, 0, v54
	v_cndmask_b32_e64 v57, v54, -v54, vcc_lo
	v_cmp_gt_f32_e32 vcc_lo, 0, v55
	v_cndmask_b32_e64 v59, v55, -v55, vcc_lo
	s_delay_alu instid0(VALU_DEP_1) | instskip(NEXT) | instid1(VALU_DEP_1)
	v_pk_add_f32 v[56:57], v[56:57], v[58:59]
	v_cmp_lt_f32_e32 vcc_lo, v56, v57
	v_dual_cndmask_b32 v44, v44, v54 :: v_dual_add_nc_u32 v47, 8, v47
	v_cndmask_b32_e32 v45, v45, v55, vcc_lo
	v_cndmask_b32_e64 v46, v46, s0, vcc_lo
	s_add_co_i32 s0, s0, 1
	s_delay_alu instid0(SALU_CYCLE_1)
	s_cmp_lg_u32 s14, s0
	s_cbranch_scc1 .LBB36_106
.LBB36_107:
	s_wait_dscnt 0x0
	v_cmp_eq_f32_e32 vcc_lo, 0, v44
	v_cmp_eq_f32_e64 s0, 0, v45
	s_and_b32 s0, vcc_lo, s0
	s_delay_alu instid0(SALU_CYCLE_1) | instskip(NEXT) | instid1(SALU_CYCLE_1)
	s_and_saveexec_b32 s1, s0
	s_xor_b32 s0, exec_lo, s1
; %bb.108:
	v_cmp_ne_u32_e32 vcc_lo, 0, v51
	v_cndmask_b32_e32 v51, 6, v51, vcc_lo
; %bb.109:
	s_and_not1_saveexec_b32 s0, s0
	s_cbranch_execz .LBB36_115
; %bb.110:
	v_cmp_ngt_f32_e64 s1, |v44|, |v45|
	s_and_saveexec_b32 s15, s1
	s_delay_alu instid0(SALU_CYCLE_1)
	s_xor_b32 s1, exec_lo, s15
	s_cbranch_execz .LBB36_112
; %bb.111:
	v_div_scale_f32 v47, null, v45, v45, v44
	v_div_scale_f32 v55, vcc_lo, v44, v45, v44
	s_delay_alu instid0(VALU_DEP_2) | instskip(SKIP_1) | instid1(TRANS32_DEP_1)
	v_rcp_f32_e32 v53, v47
	v_nop
	v_fma_f32 v54, -v47, v53, 1.0
	s_delay_alu instid0(VALU_DEP_1) | instskip(NEXT) | instid1(VALU_DEP_1)
	v_fmac_f32_e32 v53, v54, v53
	v_mul_f32_e32 v54, v55, v53
	s_delay_alu instid0(VALU_DEP_1) | instskip(NEXT) | instid1(VALU_DEP_1)
	v_fma_f32 v56, -v47, v54, v55
	v_fmac_f32_e32 v54, v56, v53
	s_delay_alu instid0(VALU_DEP_1) | instskip(NEXT) | instid1(VALU_DEP_1)
	v_fma_f32 v47, -v47, v54, v55
	v_div_fmas_f32 v47, v47, v53, v54
	s_delay_alu instid0(VALU_DEP_1) | instskip(NEXT) | instid1(VALU_DEP_1)
	v_div_fixup_f32 v47, v47, v45, v44
	v_fmac_f32_e32 v45, v44, v47
	s_delay_alu instid0(VALU_DEP_1) | instskip(SKIP_1) | instid1(VALU_DEP_2)
	v_div_scale_f32 v44, null, v45, v45, 1.0
	v_div_scale_f32 v55, vcc_lo, 1.0, v45, 1.0
	v_rcp_f32_e32 v53, v44
	v_nop
	s_delay_alu instid0(TRANS32_DEP_1) | instskip(NEXT) | instid1(VALU_DEP_1)
	v_fma_f32 v54, -v44, v53, 1.0
	v_fmac_f32_e32 v53, v54, v53
	s_delay_alu instid0(VALU_DEP_1) | instskip(NEXT) | instid1(VALU_DEP_1)
	v_mul_f32_e32 v54, v55, v53
	v_fma_f32 v56, -v44, v54, v55
	s_delay_alu instid0(VALU_DEP_1) | instskip(NEXT) | instid1(VALU_DEP_1)
	v_fmac_f32_e32 v54, v56, v53
	v_fma_f32 v44, -v44, v54, v55
	s_delay_alu instid0(VALU_DEP_1) | instskip(NEXT) | instid1(VALU_DEP_1)
	v_div_fmas_f32 v44, v44, v53, v54
	v_div_fixup_f32 v45, v44, v45, 1.0
	s_delay_alu instid0(VALU_DEP_1)
	v_mul_f32_e32 v44, v47, v45
	v_xor_b32_e32 v45, 0x80000000, v45
.LBB36_112:
	s_and_not1_saveexec_b32 s1, s1
	s_cbranch_execz .LBB36_114
; %bb.113:
	s_delay_alu instid0(VALU_DEP_1) | instskip(SKIP_1) | instid1(VALU_DEP_2)
	v_div_scale_f32 v47, null, v44, v44, v45
	v_div_scale_f32 v55, vcc_lo, v45, v44, v45
	v_rcp_f32_e32 v53, v47
	v_nop
	s_delay_alu instid0(TRANS32_DEP_1) | instskip(NEXT) | instid1(VALU_DEP_1)
	v_fma_f32 v54, -v47, v53, 1.0
	v_fmac_f32_e32 v53, v54, v53
	s_delay_alu instid0(VALU_DEP_1) | instskip(NEXT) | instid1(VALU_DEP_1)
	v_mul_f32_e32 v54, v55, v53
	v_fma_f32 v56, -v47, v54, v55
	s_delay_alu instid0(VALU_DEP_1) | instskip(NEXT) | instid1(VALU_DEP_1)
	v_fmac_f32_e32 v54, v56, v53
	v_fma_f32 v47, -v47, v54, v55
	s_delay_alu instid0(VALU_DEP_1) | instskip(NEXT) | instid1(VALU_DEP_1)
	v_div_fmas_f32 v47, v47, v53, v54
	v_div_fixup_f32 v47, v47, v44, v45
	s_delay_alu instid0(VALU_DEP_1) | instskip(NEXT) | instid1(VALU_DEP_1)
	v_fmac_f32_e32 v44, v45, v47
	v_div_scale_f32 v45, null, v44, v44, 1.0
	s_delay_alu instid0(VALU_DEP_1) | instskip(SKIP_1) | instid1(TRANS32_DEP_1)
	v_rcp_f32_e32 v53, v45
	v_nop
	v_fma_f32 v54, -v45, v53, 1.0
	s_delay_alu instid0(VALU_DEP_1) | instskip(SKIP_1) | instid1(VALU_DEP_1)
	v_fmac_f32_e32 v53, v54, v53
	v_div_scale_f32 v54, vcc_lo, 1.0, v44, 1.0
	v_mul_f32_e32 v55, v54, v53
	s_delay_alu instid0(VALU_DEP_1) | instskip(NEXT) | instid1(VALU_DEP_1)
	v_fma_f32 v56, -v45, v55, v54
	v_fmac_f32_e32 v55, v56, v53
	s_delay_alu instid0(VALU_DEP_1) | instskip(NEXT) | instid1(VALU_DEP_1)
	v_fma_f32 v45, -v45, v55, v54
	v_div_fmas_f32 v45, v45, v53, v55
	s_delay_alu instid0(VALU_DEP_1) | instskip(NEXT) | instid1(VALU_DEP_1)
	v_div_fixup_f32 v44, v45, v44, 1.0
	v_mul_f32_e64 v45, v47, -v44
.LBB36_114:
	s_or_b32 exec_lo, exec_lo, s1
.LBB36_115:
	s_delay_alu instid0(SALU_CYCLE_1) | instskip(NEXT) | instid1(SALU_CYCLE_1)
	s_or_b32 exec_lo, exec_lo, s0
	s_mov_b32 s0, exec_lo
	v_cmpx_ne_u32_e64 v52, v46
	s_xor_b32 s0, exec_lo, s0
	s_cbranch_execz .LBB36_121
; %bb.116:
	s_mov_b32 s1, exec_lo
	v_cmpx_eq_u32_e32 5, v52
	s_cbranch_execz .LBB36_120
; %bb.117:
	v_cmp_ne_u32_e32 vcc_lo, 5, v46
	s_xor_b32 s15, s12, -1
	s_delay_alu instid0(SALU_CYCLE_1) | instskip(NEXT) | instid1(SALU_CYCLE_1)
	s_and_b32 s16, s15, vcc_lo
	s_and_saveexec_b32 s15, s16
	s_cbranch_execz .LBB36_119
; %bb.118:
	v_ashrrev_i32_e32 v47, 31, v46
	s_delay_alu instid0(VALU_DEP_1)
	v_lshl_add_u64 v[52:53], v[46:47], 2, v[32:33]
	s_clause 0x1
	global_load_b32 v47, v[52:53], off
	global_load_b32 v50, v[32:33], off offset:20
	s_wait_loadcnt 0x1
	global_store_b32 v[32:33], v47, off offset:20
	s_wait_loadcnt 0x0
	global_store_b32 v[52:53], v50, off
.LBB36_119:
	s_wait_xcnt 0x0
	s_or_b32 exec_lo, exec_lo, s15
	v_dual_mov_b32 v52, v46 :: v_dual_mov_b32 v50, v46
.LBB36_120:
	s_or_b32 exec_lo, exec_lo, s1
.LBB36_121:
	s_and_not1_saveexec_b32 s0, s0
	s_cbranch_execz .LBB36_123
; %bb.122:
	v_dual_mov_b32 v46, v6 :: v_dual_mov_b32 v47, v7
	v_dual_mov_b32 v52, v4 :: v_dual_mov_b32 v53, v5
	ds_store_2addr_b64 v48, v[46:47], v[52:53] offset0:6 offset1:7
	v_dual_mov_b32 v46, v30 :: v_dual_mov_b32 v47, v31
	v_dual_mov_b32 v52, v28 :: v_dual_mov_b32 v53, v29
	ds_store_2addr_b64 v48, v[46:47], v[52:53] offset0:8 offset1:9
	;; [unrolled: 3-line block ×6, first 2 shown]
	ds_store_b64 v48, v[42:43] offset:144
	v_mov_b32_e32 v52, 5
.LBB36_123:
	s_or_b32 exec_lo, exec_lo, s0
	s_delay_alu instid0(SALU_CYCLE_1)
	s_mov_b32 s0, exec_lo
	s_wait_storecnt_dscnt 0x0
	s_barrier_signal -1
	s_barrier_wait -1
	v_cmpx_lt_i32_e32 5, v52
	s_cbranch_execz .LBB36_125
; %bb.124:
	v_pk_mul_f32 v[46:47], v[44:45], v[20:21] op_sel:[1,1] op_sel_hi:[0,1]
	s_delay_alu instid0(VALU_DEP_1)
	v_pk_fma_f32 v[54:55], v[44:45], v[20:21], v[46:47] op_sel_hi:[1,0,1] neg_lo:[0,0,1] neg_hi:[0,0,1]
	v_pk_fma_f32 v[56:57], v[44:45], v[20:21], v[46:47] op_sel_hi:[1,0,1]
	ds_load_2addr_b64 v[44:47], v48 offset0:6 offset1:7
	v_dual_mov_b32 v20, v54 :: v_dual_mov_b32 v21, v57
	s_wait_dscnt 0x0
	v_pk_mul_f32 v[58:59], v[44:45], v[56:57] op_sel:[0,1]
	s_delay_alu instid0(VALU_DEP_1) | instskip(SKIP_1) | instid1(VALU_DEP_1)
	v_pk_fma_f32 v[60:61], v[44:45], v[54:55], v[58:59] op_sel:[0,0,1] op_sel_hi:[1,1,0] neg_lo:[0,0,1] neg_hi:[0,0,1]
	v_pk_fma_f32 v[44:45], v[44:45], v[54:55], v[58:59] op_sel:[0,0,1] op_sel_hi:[1,0,0]
	v_mov_b32_e32 v61, v45
	v_pk_mul_f32 v[44:45], v[46:47], v[56:57] op_sel:[0,1]
	s_delay_alu instid0(VALU_DEP_1) | instskip(SKIP_1) | instid1(VALU_DEP_1)
	v_pk_fma_f32 v[58:59], v[46:47], v[54:55], v[44:45] op_sel:[0,0,1] op_sel_hi:[1,1,0] neg_lo:[0,0,1] neg_hi:[0,0,1]
	v_pk_fma_f32 v[44:45], v[46:47], v[54:55], v[44:45] op_sel:[0,0,1] op_sel_hi:[1,0,0]
	v_mov_b32_e32 v59, v45
	ds_load_2addr_b64 v[44:47], v48 offset0:8 offset1:9
	v_pk_add_f32 v[6:7], v[6:7], v[60:61] neg_lo:[0,1] neg_hi:[0,1]
	v_pk_add_f32 v[4:5], v[4:5], v[58:59] neg_lo:[0,1] neg_hi:[0,1]
	s_wait_dscnt 0x0
	v_pk_mul_f32 v[58:59], v[44:45], v[56:57] op_sel:[0,1]
	s_delay_alu instid0(VALU_DEP_1) | instskip(SKIP_2) | instid1(VALU_DEP_2)
	v_pk_fma_f32 v[60:61], v[44:45], v[54:55], v[58:59] op_sel:[0,0,1] op_sel_hi:[1,1,0] neg_lo:[0,0,1] neg_hi:[0,0,1]
	v_pk_fma_f32 v[44:45], v[44:45], v[54:55], v[58:59] op_sel:[0,0,1] op_sel_hi:[1,0,0]
	v_dual_mul_f32 v58, v47, v57 :: v_dual_mov_b32 v44, v47
	v_dual_mov_b32 v61, v45 :: v_dual_mov_b32 v45, v46
	s_delay_alu instid0(VALU_DEP_2) | instskip(SKIP_1) | instid1(VALU_DEP_3)
	v_pk_fma_f32 v[58:59], v[46:47], v[20:21], v[58:59] op_sel_hi:[1,1,0] neg_lo:[0,0,1] neg_hi:[0,0,1]
	v_mul_f32_e32 v46, v47, v54
	v_pk_add_f32 v[30:31], v[30:31], v[60:61] neg_lo:[0,1] neg_hi:[0,1]
	s_delay_alu instid0(VALU_DEP_2) | instskip(NEXT) | instid1(VALU_DEP_1)
	v_pk_fma_f32 v[44:45], v[44:45], v[20:21], v[46:47] op_sel_hi:[1,1,0]
	v_mov_b32_e32 v59, v45
	ds_load_2addr_b64 v[44:47], v48 offset0:10 offset1:11
	v_pk_add_f32 v[28:29], v[28:29], v[58:59] neg_lo:[0,1] neg_hi:[0,1]
	s_wait_dscnt 0x0
	v_pk_mul_f32 v[58:59], v[44:45], v[56:57] op_sel:[0,1]
	s_delay_alu instid0(VALU_DEP_1) | instskip(SKIP_1) | instid1(VALU_DEP_1)
	v_pk_fma_f32 v[60:61], v[44:45], v[54:55], v[58:59] op_sel:[0,0,1] op_sel_hi:[1,1,0] neg_lo:[0,0,1] neg_hi:[0,0,1]
	v_pk_fma_f32 v[44:45], v[44:45], v[54:55], v[58:59] op_sel:[0,0,1] op_sel_hi:[1,0,0]
	v_mov_b32_e32 v61, v45
	v_pk_mul_f32 v[44:45], v[46:47], v[56:57] op_sel:[0,1]
	s_delay_alu instid0(VALU_DEP_1) | instskip(SKIP_1) | instid1(VALU_DEP_1)
	v_pk_fma_f32 v[58:59], v[46:47], v[54:55], v[44:45] op_sel:[0,0,1] op_sel_hi:[1,1,0] neg_lo:[0,0,1] neg_hi:[0,0,1]
	v_pk_fma_f32 v[44:45], v[46:47], v[54:55], v[44:45] op_sel:[0,0,1] op_sel_hi:[1,0,0]
	v_mov_b32_e32 v59, v45
	ds_load_2addr_b64 v[44:47], v48 offset0:12 offset1:13
	v_pk_add_f32 v[14:15], v[14:15], v[60:61] neg_lo:[0,1] neg_hi:[0,1]
	v_pk_add_f32 v[12:13], v[12:13], v[58:59] neg_lo:[0,1] neg_hi:[0,1]
	s_wait_dscnt 0x0
	v_pk_mul_f32 v[58:59], v[44:45], v[56:57] op_sel:[0,1]
	s_delay_alu instid0(VALU_DEP_1) | instskip(SKIP_1) | instid1(VALU_DEP_1)
	v_pk_fma_f32 v[60:61], v[44:45], v[54:55], v[58:59] op_sel:[0,0,1] op_sel_hi:[1,1,0] neg_lo:[0,0,1] neg_hi:[0,0,1]
	v_pk_fma_f32 v[44:45], v[44:45], v[54:55], v[58:59] op_sel:[0,0,1] op_sel_hi:[1,0,0]
	v_mov_b32_e32 v61, v45
	v_pk_mul_f32 v[44:45], v[46:47], v[56:57] op_sel:[0,1]
	s_delay_alu instid0(VALU_DEP_1) | instskip(SKIP_1) | instid1(VALU_DEP_1)
	v_pk_fma_f32 v[58:59], v[46:47], v[54:55], v[44:45] op_sel:[0,0,1] op_sel_hi:[1,1,0] neg_lo:[0,0,1] neg_hi:[0,0,1]
	v_pk_fma_f32 v[44:45], v[46:47], v[54:55], v[44:45] op_sel:[0,0,1] op_sel_hi:[1,0,0]
	v_mov_b32_e32 v59, v45
	ds_load_2addr_b64 v[44:47], v48 offset0:14 offset1:15
	v_pk_add_f32 v[26:27], v[26:27], v[60:61] neg_lo:[0,1] neg_hi:[0,1]
	v_pk_add_f32 v[24:25], v[24:25], v[58:59] neg_lo:[0,1] neg_hi:[0,1]
	s_wait_dscnt 0x0
	v_dual_mul_f32 v58, v45, v57 :: v_dual_mul_f32 v60, v45, v54
	s_delay_alu instid0(VALU_DEP_1) | instskip(NEXT) | instid1(VALU_DEP_2)
	v_pk_fma_f32 v[58:59], v[44:45], v[20:21], v[58:59] op_sel_hi:[1,1,0] neg_lo:[0,0,1] neg_hi:[0,0,1]
	v_pk_fma_f32 v[44:45], v[44:45], v[20:21], v[60:61] op_sel:[1,0,0] op_sel_hi:[0,1,0]
	s_delay_alu instid0(VALU_DEP_1) | instskip(SKIP_1) | instid1(VALU_DEP_2)
	v_mov_b32_e32 v59, v45
	v_pk_mul_f32 v[44:45], v[46:47], v[56:57] op_sel:[0,1]
	v_pk_add_f32 v[10:11], v[10:11], v[58:59] neg_lo:[0,1] neg_hi:[0,1]
	s_delay_alu instid0(VALU_DEP_2) | instskip(SKIP_1) | instid1(VALU_DEP_1)
	v_pk_fma_f32 v[58:59], v[46:47], v[54:55], v[44:45] op_sel:[0,0,1] op_sel_hi:[1,1,0] neg_lo:[0,0,1] neg_hi:[0,0,1]
	v_pk_fma_f32 v[44:45], v[46:47], v[54:55], v[44:45] op_sel:[0,0,1] op_sel_hi:[1,0,0]
	v_mov_b32_e32 v59, v45
	ds_load_2addr_b64 v[44:47], v48 offset0:16 offset1:17
	v_pk_add_f32 v[8:9], v[8:9], v[58:59] neg_lo:[0,1] neg_hi:[0,1]
	s_wait_dscnt 0x0
	v_pk_mul_f32 v[58:59], v[44:45], v[56:57] op_sel:[0,1]
	s_delay_alu instid0(VALU_DEP_1) | instskip(SKIP_1) | instid1(VALU_DEP_1)
	v_pk_fma_f32 v[60:61], v[44:45], v[54:55], v[58:59] op_sel:[0,0,1] op_sel_hi:[1,1,0] neg_lo:[0,0,1] neg_hi:[0,0,1]
	v_pk_fma_f32 v[44:45], v[44:45], v[54:55], v[58:59] op_sel:[0,0,1] op_sel_hi:[1,0,0]
	v_mov_b32_e32 v61, v45
	v_pk_mul_f32 v[44:45], v[46:47], v[56:57] op_sel:[0,1]
	s_delay_alu instid0(VALU_DEP_2) | instskip(NEXT) | instid1(VALU_DEP_2)
	v_pk_add_f32 v[18:19], v[18:19], v[60:61] neg_lo:[0,1] neg_hi:[0,1]
	v_pk_fma_f32 v[58:59], v[46:47], v[54:55], v[44:45] op_sel:[0,0,1] op_sel_hi:[1,1,0] neg_lo:[0,0,1] neg_hi:[0,0,1]
	v_pk_fma_f32 v[44:45], v[46:47], v[54:55], v[44:45] op_sel:[0,0,1] op_sel_hi:[1,0,0]
	s_delay_alu instid0(VALU_DEP_1) | instskip(SKIP_4) | instid1(VALU_DEP_1)
	v_mov_b32_e32 v59, v45
	ds_load_b64 v[44:45], v48 offset:144
	v_pk_add_f32 v[16:17], v[16:17], v[58:59] neg_lo:[0,1] neg_hi:[0,1]
	s_wait_dscnt 0x0
	v_pk_mul_f32 v[46:47], v[44:45], v[56:57] op_sel:[0,1]
	v_pk_fma_f32 v[56:57], v[44:45], v[54:55], v[46:47] op_sel:[0,0,1] op_sel_hi:[1,1,0] neg_lo:[0,0,1] neg_hi:[0,0,1]
	v_pk_fma_f32 v[44:45], v[44:45], v[54:55], v[46:47] op_sel:[0,0,1] op_sel_hi:[1,0,0]
	s_delay_alu instid0(VALU_DEP_1) | instskip(NEXT) | instid1(VALU_DEP_1)
	v_mov_b32_e32 v57, v45
	v_pk_add_f32 v[42:43], v[42:43], v[56:57] neg_lo:[0,1] neg_hi:[0,1]
.LBB36_125:
	s_or_b32 exec_lo, exec_lo, s0
	v_lshl_add_u32 v44, v52, 3, v48
	s_barrier_signal -1
	s_barrier_wait -1
	ds_store_b64 v44, v[6:7]
	s_wait_dscnt 0x0
	s_barrier_signal -1
	s_barrier_wait -1
	ds_load_b64 v[44:45], v48 offset:48
	v_mov_b32_e32 v46, 6
	s_cmp_lt_i32 s14, 8
	s_cbranch_scc1 .LBB36_128
; %bb.126:
	v_add3_u32 v47, v49, 0, 56
	v_mov_b32_e32 v46, 6
	s_mov_b32 s0, 7
.LBB36_127:                             ; =>This Inner Loop Header: Depth=1
	ds_load_b64 v[54:55], v47
	s_wait_dscnt 0x1
	v_cmp_gt_f32_e32 vcc_lo, 0, v44
	v_cndmask_b32_e64 v56, v44, -v44, vcc_lo
	v_cmp_gt_f32_e32 vcc_lo, 0, v45
	v_cndmask_b32_e64 v58, v45, -v45, vcc_lo
	s_wait_dscnt 0x0
	v_cmp_gt_f32_e32 vcc_lo, 0, v54
	v_cndmask_b32_e64 v57, v54, -v54, vcc_lo
	v_cmp_gt_f32_e32 vcc_lo, 0, v55
	v_cndmask_b32_e64 v59, v55, -v55, vcc_lo
	s_delay_alu instid0(VALU_DEP_1) | instskip(NEXT) | instid1(VALU_DEP_1)
	v_pk_add_f32 v[56:57], v[56:57], v[58:59]
	v_cmp_lt_f32_e32 vcc_lo, v56, v57
	v_dual_cndmask_b32 v44, v44, v54 :: v_dual_add_nc_u32 v47, 8, v47
	v_cndmask_b32_e32 v45, v45, v55, vcc_lo
	v_cndmask_b32_e64 v46, v46, s0, vcc_lo
	s_add_co_i32 s0, s0, 1
	s_delay_alu instid0(SALU_CYCLE_1)
	s_cmp_lg_u32 s14, s0
	s_cbranch_scc1 .LBB36_127
.LBB36_128:
	s_wait_dscnt 0x0
	v_cmp_eq_f32_e32 vcc_lo, 0, v44
	v_cmp_eq_f32_e64 s0, 0, v45
	s_and_b32 s0, vcc_lo, s0
	s_delay_alu instid0(SALU_CYCLE_1) | instskip(NEXT) | instid1(SALU_CYCLE_1)
	s_and_saveexec_b32 s1, s0
	s_xor_b32 s0, exec_lo, s1
; %bb.129:
	v_cmp_ne_u32_e32 vcc_lo, 0, v51
	v_cndmask_b32_e32 v51, 7, v51, vcc_lo
; %bb.130:
	s_and_not1_saveexec_b32 s0, s0
	s_cbranch_execz .LBB36_136
; %bb.131:
	v_cmp_ngt_f32_e64 s1, |v44|, |v45|
	s_and_saveexec_b32 s15, s1
	s_delay_alu instid0(SALU_CYCLE_1)
	s_xor_b32 s1, exec_lo, s15
	s_cbranch_execz .LBB36_133
; %bb.132:
	v_div_scale_f32 v47, null, v45, v45, v44
	v_div_scale_f32 v55, vcc_lo, v44, v45, v44
	s_delay_alu instid0(VALU_DEP_2) | instskip(SKIP_1) | instid1(TRANS32_DEP_1)
	v_rcp_f32_e32 v53, v47
	v_nop
	v_fma_f32 v54, -v47, v53, 1.0
	s_delay_alu instid0(VALU_DEP_1) | instskip(NEXT) | instid1(VALU_DEP_1)
	v_fmac_f32_e32 v53, v54, v53
	v_mul_f32_e32 v54, v55, v53
	s_delay_alu instid0(VALU_DEP_1) | instskip(NEXT) | instid1(VALU_DEP_1)
	v_fma_f32 v56, -v47, v54, v55
	v_fmac_f32_e32 v54, v56, v53
	s_delay_alu instid0(VALU_DEP_1) | instskip(NEXT) | instid1(VALU_DEP_1)
	v_fma_f32 v47, -v47, v54, v55
	v_div_fmas_f32 v47, v47, v53, v54
	s_delay_alu instid0(VALU_DEP_1) | instskip(NEXT) | instid1(VALU_DEP_1)
	v_div_fixup_f32 v47, v47, v45, v44
	v_fmac_f32_e32 v45, v44, v47
	s_delay_alu instid0(VALU_DEP_1) | instskip(SKIP_1) | instid1(VALU_DEP_2)
	v_div_scale_f32 v44, null, v45, v45, 1.0
	v_div_scale_f32 v55, vcc_lo, 1.0, v45, 1.0
	v_rcp_f32_e32 v53, v44
	v_nop
	s_delay_alu instid0(TRANS32_DEP_1) | instskip(NEXT) | instid1(VALU_DEP_1)
	v_fma_f32 v54, -v44, v53, 1.0
	v_fmac_f32_e32 v53, v54, v53
	s_delay_alu instid0(VALU_DEP_1) | instskip(NEXT) | instid1(VALU_DEP_1)
	v_mul_f32_e32 v54, v55, v53
	v_fma_f32 v56, -v44, v54, v55
	s_delay_alu instid0(VALU_DEP_1) | instskip(NEXT) | instid1(VALU_DEP_1)
	v_fmac_f32_e32 v54, v56, v53
	v_fma_f32 v44, -v44, v54, v55
	s_delay_alu instid0(VALU_DEP_1) | instskip(NEXT) | instid1(VALU_DEP_1)
	v_div_fmas_f32 v44, v44, v53, v54
	v_div_fixup_f32 v45, v44, v45, 1.0
	s_delay_alu instid0(VALU_DEP_1)
	v_mul_f32_e32 v44, v47, v45
	v_xor_b32_e32 v45, 0x80000000, v45
.LBB36_133:
	s_and_not1_saveexec_b32 s1, s1
	s_cbranch_execz .LBB36_135
; %bb.134:
	s_delay_alu instid0(VALU_DEP_1) | instskip(SKIP_1) | instid1(VALU_DEP_2)
	v_div_scale_f32 v47, null, v44, v44, v45
	v_div_scale_f32 v55, vcc_lo, v45, v44, v45
	v_rcp_f32_e32 v53, v47
	v_nop
	s_delay_alu instid0(TRANS32_DEP_1) | instskip(NEXT) | instid1(VALU_DEP_1)
	v_fma_f32 v54, -v47, v53, 1.0
	v_fmac_f32_e32 v53, v54, v53
	s_delay_alu instid0(VALU_DEP_1) | instskip(NEXT) | instid1(VALU_DEP_1)
	v_mul_f32_e32 v54, v55, v53
	v_fma_f32 v56, -v47, v54, v55
	s_delay_alu instid0(VALU_DEP_1) | instskip(NEXT) | instid1(VALU_DEP_1)
	v_fmac_f32_e32 v54, v56, v53
	v_fma_f32 v47, -v47, v54, v55
	s_delay_alu instid0(VALU_DEP_1) | instskip(NEXT) | instid1(VALU_DEP_1)
	v_div_fmas_f32 v47, v47, v53, v54
	v_div_fixup_f32 v47, v47, v44, v45
	s_delay_alu instid0(VALU_DEP_1) | instskip(NEXT) | instid1(VALU_DEP_1)
	v_fmac_f32_e32 v44, v45, v47
	v_div_scale_f32 v45, null, v44, v44, 1.0
	s_delay_alu instid0(VALU_DEP_1) | instskip(SKIP_1) | instid1(TRANS32_DEP_1)
	v_rcp_f32_e32 v53, v45
	v_nop
	v_fma_f32 v54, -v45, v53, 1.0
	s_delay_alu instid0(VALU_DEP_1) | instskip(SKIP_1) | instid1(VALU_DEP_1)
	v_fmac_f32_e32 v53, v54, v53
	v_div_scale_f32 v54, vcc_lo, 1.0, v44, 1.0
	v_mul_f32_e32 v55, v54, v53
	s_delay_alu instid0(VALU_DEP_1) | instskip(NEXT) | instid1(VALU_DEP_1)
	v_fma_f32 v56, -v45, v55, v54
	v_fmac_f32_e32 v55, v56, v53
	s_delay_alu instid0(VALU_DEP_1) | instskip(NEXT) | instid1(VALU_DEP_1)
	v_fma_f32 v45, -v45, v55, v54
	v_div_fmas_f32 v45, v45, v53, v55
	s_delay_alu instid0(VALU_DEP_1) | instskip(NEXT) | instid1(VALU_DEP_1)
	v_div_fixup_f32 v44, v45, v44, 1.0
	v_mul_f32_e64 v45, v47, -v44
.LBB36_135:
	s_or_b32 exec_lo, exec_lo, s1
.LBB36_136:
	s_delay_alu instid0(SALU_CYCLE_1) | instskip(NEXT) | instid1(SALU_CYCLE_1)
	s_or_b32 exec_lo, exec_lo, s0
	s_mov_b32 s0, exec_lo
	v_cmpx_ne_u32_e64 v52, v46
	s_xor_b32 s0, exec_lo, s0
	s_cbranch_execz .LBB36_142
; %bb.137:
	s_mov_b32 s1, exec_lo
	v_cmpx_eq_u32_e32 6, v52
	s_cbranch_execz .LBB36_141
; %bb.138:
	v_cmp_ne_u32_e32 vcc_lo, 6, v46
	s_xor_b32 s15, s12, -1
	s_delay_alu instid0(SALU_CYCLE_1) | instskip(NEXT) | instid1(SALU_CYCLE_1)
	s_and_b32 s16, s15, vcc_lo
	s_and_saveexec_b32 s15, s16
	s_cbranch_execz .LBB36_140
; %bb.139:
	v_ashrrev_i32_e32 v47, 31, v46
	s_delay_alu instid0(VALU_DEP_1)
	v_lshl_add_u64 v[52:53], v[46:47], 2, v[32:33]
	s_clause 0x1
	global_load_b32 v47, v[52:53], off
	global_load_b32 v50, v[32:33], off offset:24
	s_wait_loadcnt 0x1
	global_store_b32 v[32:33], v47, off offset:24
	s_wait_loadcnt 0x0
	global_store_b32 v[52:53], v50, off
.LBB36_140:
	s_wait_xcnt 0x0
	s_or_b32 exec_lo, exec_lo, s15
	v_dual_mov_b32 v52, v46 :: v_dual_mov_b32 v50, v46
.LBB36_141:
	s_or_b32 exec_lo, exec_lo, s1
.LBB36_142:
	s_and_not1_saveexec_b32 s0, s0
	s_cbranch_execz .LBB36_144
; %bb.143:
	v_mov_b32_e32 v52, 6
	ds_store_2addr_b64 v48, v[4:5], v[30:31] offset0:7 offset1:8
	ds_store_2addr_b64 v48, v[28:29], v[14:15] offset0:9 offset1:10
	;; [unrolled: 1-line block ×6, first 2 shown]
.LBB36_144:
	s_or_b32 exec_lo, exec_lo, s0
	s_delay_alu instid0(SALU_CYCLE_1)
	s_mov_b32 s0, exec_lo
	s_wait_storecnt_dscnt 0x0
	s_barrier_signal -1
	s_barrier_wait -1
	v_cmpx_lt_i32_e32 6, v52
	s_cbranch_execz .LBB36_146
; %bb.145:
	v_pk_mul_f32 v[46:47], v[44:45], v[6:7] op_sel:[1,1] op_sel_hi:[0,1]
	s_delay_alu instid0(VALU_DEP_1)
	v_pk_fma_f32 v[54:55], v[44:45], v[6:7], v[46:47] op_sel_hi:[1,0,1] neg_lo:[0,0,1] neg_hi:[0,0,1]
	v_pk_fma_f32 v[56:57], v[44:45], v[6:7], v[46:47] op_sel_hi:[1,0,1]
	ds_load_2addr_b64 v[44:47], v48 offset0:7 offset1:8
	v_dual_mov_b32 v6, v54 :: v_dual_mov_b32 v7, v57
	s_wait_dscnt 0x0
	v_pk_mul_f32 v[58:59], v[44:45], v[56:57] op_sel:[0,1]
	s_delay_alu instid0(VALU_DEP_1) | instskip(SKIP_1) | instid1(VALU_DEP_1)
	v_pk_fma_f32 v[60:61], v[44:45], v[54:55], v[58:59] op_sel:[0,0,1] op_sel_hi:[1,1,0] neg_lo:[0,0,1] neg_hi:[0,0,1]
	v_pk_fma_f32 v[44:45], v[44:45], v[54:55], v[58:59] op_sel:[0,0,1] op_sel_hi:[1,0,0]
	v_mov_b32_e32 v61, v45
	v_pk_mul_f32 v[44:45], v[46:47], v[56:57] op_sel:[0,1]
	s_delay_alu instid0(VALU_DEP_1) | instskip(SKIP_1) | instid1(VALU_DEP_1)
	v_pk_fma_f32 v[58:59], v[46:47], v[54:55], v[44:45] op_sel:[0,0,1] op_sel_hi:[1,1,0] neg_lo:[0,0,1] neg_hi:[0,0,1]
	v_pk_fma_f32 v[44:45], v[46:47], v[54:55], v[44:45] op_sel:[0,0,1] op_sel_hi:[1,0,0]
	v_mov_b32_e32 v59, v45
	ds_load_2addr_b64 v[44:47], v48 offset0:9 offset1:10
	v_pk_add_f32 v[4:5], v[4:5], v[60:61] neg_lo:[0,1] neg_hi:[0,1]
	v_pk_add_f32 v[30:31], v[30:31], v[58:59] neg_lo:[0,1] neg_hi:[0,1]
	s_wait_dscnt 0x0
	v_pk_mul_f32 v[58:59], v[44:45], v[56:57] op_sel:[0,1]
	s_delay_alu instid0(VALU_DEP_1) | instskip(SKIP_2) | instid1(VALU_DEP_2)
	v_pk_fma_f32 v[60:61], v[44:45], v[54:55], v[58:59] op_sel:[0,0,1] op_sel_hi:[1,1,0] neg_lo:[0,0,1] neg_hi:[0,0,1]
	v_pk_fma_f32 v[44:45], v[44:45], v[54:55], v[58:59] op_sel:[0,0,1] op_sel_hi:[1,0,0]
	v_dual_mul_f32 v58, v47, v57 :: v_dual_mov_b32 v44, v47
	v_dual_mov_b32 v61, v45 :: v_dual_mov_b32 v45, v46
	s_delay_alu instid0(VALU_DEP_2) | instskip(SKIP_1) | instid1(VALU_DEP_3)
	v_pk_fma_f32 v[58:59], v[46:47], v[6:7], v[58:59] op_sel_hi:[1,1,0] neg_lo:[0,0,1] neg_hi:[0,0,1]
	v_mul_f32_e32 v46, v47, v54
	v_pk_add_f32 v[28:29], v[28:29], v[60:61] neg_lo:[0,1] neg_hi:[0,1]
	s_delay_alu instid0(VALU_DEP_2) | instskip(NEXT) | instid1(VALU_DEP_1)
	v_pk_fma_f32 v[44:45], v[44:45], v[6:7], v[46:47] op_sel_hi:[1,1,0]
	v_mov_b32_e32 v59, v45
	ds_load_2addr_b64 v[44:47], v48 offset0:11 offset1:12
	v_pk_add_f32 v[14:15], v[14:15], v[58:59] neg_lo:[0,1] neg_hi:[0,1]
	s_wait_dscnt 0x0
	v_pk_mul_f32 v[58:59], v[44:45], v[56:57] op_sel:[0,1]
	s_delay_alu instid0(VALU_DEP_1) | instskip(SKIP_1) | instid1(VALU_DEP_1)
	v_pk_fma_f32 v[60:61], v[44:45], v[54:55], v[58:59] op_sel:[0,0,1] op_sel_hi:[1,1,0] neg_lo:[0,0,1] neg_hi:[0,0,1]
	v_pk_fma_f32 v[44:45], v[44:45], v[54:55], v[58:59] op_sel:[0,0,1] op_sel_hi:[1,0,0]
	v_mov_b32_e32 v61, v45
	v_pk_mul_f32 v[44:45], v[46:47], v[56:57] op_sel:[0,1]
	s_delay_alu instid0(VALU_DEP_1) | instskip(SKIP_1) | instid1(VALU_DEP_1)
	v_pk_fma_f32 v[58:59], v[46:47], v[54:55], v[44:45] op_sel:[0,0,1] op_sel_hi:[1,1,0] neg_lo:[0,0,1] neg_hi:[0,0,1]
	v_pk_fma_f32 v[44:45], v[46:47], v[54:55], v[44:45] op_sel:[0,0,1] op_sel_hi:[1,0,0]
	v_mov_b32_e32 v59, v45
	ds_load_2addr_b64 v[44:47], v48 offset0:13 offset1:14
	v_pk_add_f32 v[12:13], v[12:13], v[60:61] neg_lo:[0,1] neg_hi:[0,1]
	v_pk_add_f32 v[26:27], v[26:27], v[58:59] neg_lo:[0,1] neg_hi:[0,1]
	s_wait_dscnt 0x0
	v_pk_mul_f32 v[58:59], v[44:45], v[56:57] op_sel:[0,1]
	s_delay_alu instid0(VALU_DEP_1) | instskip(SKIP_1) | instid1(VALU_DEP_1)
	v_pk_fma_f32 v[60:61], v[44:45], v[54:55], v[58:59] op_sel:[0,0,1] op_sel_hi:[1,1,0] neg_lo:[0,0,1] neg_hi:[0,0,1]
	v_pk_fma_f32 v[44:45], v[44:45], v[54:55], v[58:59] op_sel:[0,0,1] op_sel_hi:[1,0,0]
	v_mov_b32_e32 v61, v45
	v_pk_mul_f32 v[44:45], v[46:47], v[56:57] op_sel:[0,1]
	s_delay_alu instid0(VALU_DEP_1) | instskip(SKIP_1) | instid1(VALU_DEP_1)
	v_pk_fma_f32 v[58:59], v[46:47], v[54:55], v[44:45] op_sel:[0,0,1] op_sel_hi:[1,1,0] neg_lo:[0,0,1] neg_hi:[0,0,1]
	v_pk_fma_f32 v[44:45], v[46:47], v[54:55], v[44:45] op_sel:[0,0,1] op_sel_hi:[1,0,0]
	v_mov_b32_e32 v59, v45
	ds_load_2addr_b64 v[44:47], v48 offset0:15 offset1:16
	v_pk_add_f32 v[24:25], v[24:25], v[60:61] neg_lo:[0,1] neg_hi:[0,1]
	v_pk_add_f32 v[10:11], v[10:11], v[58:59] neg_lo:[0,1] neg_hi:[0,1]
	s_wait_dscnt 0x0
	v_dual_mul_f32 v58, v45, v57 :: v_dual_mul_f32 v60, v45, v54
	s_delay_alu instid0(VALU_DEP_1) | instskip(NEXT) | instid1(VALU_DEP_2)
	v_pk_fma_f32 v[58:59], v[44:45], v[6:7], v[58:59] op_sel_hi:[1,1,0] neg_lo:[0,0,1] neg_hi:[0,0,1]
	v_pk_fma_f32 v[44:45], v[44:45], v[6:7], v[60:61] op_sel:[1,0,0] op_sel_hi:[0,1,0]
	s_delay_alu instid0(VALU_DEP_1) | instskip(SKIP_1) | instid1(VALU_DEP_2)
	v_mov_b32_e32 v59, v45
	v_pk_mul_f32 v[44:45], v[46:47], v[56:57] op_sel:[0,1]
	v_pk_add_f32 v[8:9], v[8:9], v[58:59] neg_lo:[0,1] neg_hi:[0,1]
	s_delay_alu instid0(VALU_DEP_2) | instskip(SKIP_1) | instid1(VALU_DEP_1)
	v_pk_fma_f32 v[58:59], v[46:47], v[54:55], v[44:45] op_sel:[0,0,1] op_sel_hi:[1,1,0] neg_lo:[0,0,1] neg_hi:[0,0,1]
	v_pk_fma_f32 v[44:45], v[46:47], v[54:55], v[44:45] op_sel:[0,0,1] op_sel_hi:[1,0,0]
	v_mov_b32_e32 v59, v45
	ds_load_2addr_b64 v[44:47], v48 offset0:17 offset1:18
	v_pk_add_f32 v[18:19], v[18:19], v[58:59] neg_lo:[0,1] neg_hi:[0,1]
	s_wait_dscnt 0x0
	v_pk_mul_f32 v[58:59], v[44:45], v[56:57] op_sel:[0,1]
	v_mul_f32_e32 v56, v47, v57
	s_delay_alu instid0(VALU_DEP_2) | instskip(SKIP_2) | instid1(VALU_DEP_4)
	v_pk_fma_f32 v[60:61], v[44:45], v[54:55], v[58:59] op_sel:[0,0,1] op_sel_hi:[1,1,0] neg_lo:[0,0,1] neg_hi:[0,0,1]
	v_pk_fma_f32 v[44:45], v[44:45], v[54:55], v[58:59] op_sel:[0,0,1] op_sel_hi:[1,0,0]
	v_mov_b32_e32 v44, v47
	v_pk_fma_f32 v[56:57], v[46:47], v[6:7], v[56:57] op_sel_hi:[1,1,0] neg_lo:[0,0,1] neg_hi:[0,0,1]
	s_delay_alu instid0(VALU_DEP_3) | instskip(SKIP_1) | instid1(VALU_DEP_2)
	v_dual_mov_b32 v61, v45 :: v_dual_mov_b32 v45, v46
	v_mul_f32_e32 v46, v47, v54
	v_pk_add_f32 v[16:17], v[16:17], v[60:61] neg_lo:[0,1] neg_hi:[0,1]
	s_delay_alu instid0(VALU_DEP_2) | instskip(NEXT) | instid1(VALU_DEP_1)
	v_pk_fma_f32 v[44:45], v[44:45], v[6:7], v[46:47] op_sel_hi:[1,1,0]
	v_mov_b32_e32 v57, v45
	s_delay_alu instid0(VALU_DEP_1)
	v_pk_add_f32 v[42:43], v[42:43], v[56:57] neg_lo:[0,1] neg_hi:[0,1]
.LBB36_146:
	s_or_b32 exec_lo, exec_lo, s0
	v_lshl_add_u32 v44, v52, 3, v48
	s_barrier_signal -1
	s_barrier_wait -1
	ds_store_b64 v44, v[4:5]
	s_wait_dscnt 0x0
	s_barrier_signal -1
	s_barrier_wait -1
	ds_load_b64 v[44:45], v48 offset:56
	v_mov_b32_e32 v46, 7
	s_cmp_lt_i32 s14, 9
	s_cbranch_scc1 .LBB36_149
; %bb.147:
	v_add3_u32 v47, v49, 0, 64
	v_mov_b32_e32 v46, 7
	s_mov_b32 s0, 8
.LBB36_148:                             ; =>This Inner Loop Header: Depth=1
	ds_load_b64 v[54:55], v47
	s_wait_dscnt 0x1
	v_cmp_gt_f32_e32 vcc_lo, 0, v44
	v_cndmask_b32_e64 v56, v44, -v44, vcc_lo
	v_cmp_gt_f32_e32 vcc_lo, 0, v45
	v_cndmask_b32_e64 v58, v45, -v45, vcc_lo
	s_wait_dscnt 0x0
	v_cmp_gt_f32_e32 vcc_lo, 0, v54
	v_cndmask_b32_e64 v57, v54, -v54, vcc_lo
	v_cmp_gt_f32_e32 vcc_lo, 0, v55
	v_cndmask_b32_e64 v59, v55, -v55, vcc_lo
	s_delay_alu instid0(VALU_DEP_1) | instskip(NEXT) | instid1(VALU_DEP_1)
	v_pk_add_f32 v[56:57], v[56:57], v[58:59]
	v_cmp_lt_f32_e32 vcc_lo, v56, v57
	v_dual_cndmask_b32 v44, v44, v54 :: v_dual_add_nc_u32 v47, 8, v47
	v_cndmask_b32_e32 v45, v45, v55, vcc_lo
	v_cndmask_b32_e64 v46, v46, s0, vcc_lo
	s_add_co_i32 s0, s0, 1
	s_delay_alu instid0(SALU_CYCLE_1)
	s_cmp_lg_u32 s14, s0
	s_cbranch_scc1 .LBB36_148
.LBB36_149:
	s_wait_dscnt 0x0
	v_cmp_eq_f32_e32 vcc_lo, 0, v44
	v_cmp_eq_f32_e64 s0, 0, v45
	s_and_b32 s0, vcc_lo, s0
	s_delay_alu instid0(SALU_CYCLE_1) | instskip(NEXT) | instid1(SALU_CYCLE_1)
	s_and_saveexec_b32 s1, s0
	s_xor_b32 s0, exec_lo, s1
; %bb.150:
	v_cmp_ne_u32_e32 vcc_lo, 0, v51
	v_cndmask_b32_e32 v51, 8, v51, vcc_lo
; %bb.151:
	s_and_not1_saveexec_b32 s0, s0
	s_cbranch_execz .LBB36_157
; %bb.152:
	v_cmp_ngt_f32_e64 s1, |v44|, |v45|
	s_and_saveexec_b32 s15, s1
	s_delay_alu instid0(SALU_CYCLE_1)
	s_xor_b32 s1, exec_lo, s15
	s_cbranch_execz .LBB36_154
; %bb.153:
	v_div_scale_f32 v47, null, v45, v45, v44
	v_div_scale_f32 v55, vcc_lo, v44, v45, v44
	s_delay_alu instid0(VALU_DEP_2) | instskip(SKIP_1) | instid1(TRANS32_DEP_1)
	v_rcp_f32_e32 v53, v47
	v_nop
	v_fma_f32 v54, -v47, v53, 1.0
	s_delay_alu instid0(VALU_DEP_1) | instskip(NEXT) | instid1(VALU_DEP_1)
	v_fmac_f32_e32 v53, v54, v53
	v_mul_f32_e32 v54, v55, v53
	s_delay_alu instid0(VALU_DEP_1) | instskip(NEXT) | instid1(VALU_DEP_1)
	v_fma_f32 v56, -v47, v54, v55
	v_fmac_f32_e32 v54, v56, v53
	s_delay_alu instid0(VALU_DEP_1) | instskip(NEXT) | instid1(VALU_DEP_1)
	v_fma_f32 v47, -v47, v54, v55
	v_div_fmas_f32 v47, v47, v53, v54
	s_delay_alu instid0(VALU_DEP_1) | instskip(NEXT) | instid1(VALU_DEP_1)
	v_div_fixup_f32 v47, v47, v45, v44
	v_fmac_f32_e32 v45, v44, v47
	s_delay_alu instid0(VALU_DEP_1) | instskip(SKIP_1) | instid1(VALU_DEP_2)
	v_div_scale_f32 v44, null, v45, v45, 1.0
	v_div_scale_f32 v55, vcc_lo, 1.0, v45, 1.0
	v_rcp_f32_e32 v53, v44
	v_nop
	s_delay_alu instid0(TRANS32_DEP_1) | instskip(NEXT) | instid1(VALU_DEP_1)
	v_fma_f32 v54, -v44, v53, 1.0
	v_fmac_f32_e32 v53, v54, v53
	s_delay_alu instid0(VALU_DEP_1) | instskip(NEXT) | instid1(VALU_DEP_1)
	v_mul_f32_e32 v54, v55, v53
	v_fma_f32 v56, -v44, v54, v55
	s_delay_alu instid0(VALU_DEP_1) | instskip(NEXT) | instid1(VALU_DEP_1)
	v_fmac_f32_e32 v54, v56, v53
	v_fma_f32 v44, -v44, v54, v55
	s_delay_alu instid0(VALU_DEP_1) | instskip(NEXT) | instid1(VALU_DEP_1)
	v_div_fmas_f32 v44, v44, v53, v54
	v_div_fixup_f32 v45, v44, v45, 1.0
	s_delay_alu instid0(VALU_DEP_1)
	v_mul_f32_e32 v44, v47, v45
	v_xor_b32_e32 v45, 0x80000000, v45
.LBB36_154:
	s_and_not1_saveexec_b32 s1, s1
	s_cbranch_execz .LBB36_156
; %bb.155:
	s_delay_alu instid0(VALU_DEP_1) | instskip(SKIP_1) | instid1(VALU_DEP_2)
	v_div_scale_f32 v47, null, v44, v44, v45
	v_div_scale_f32 v55, vcc_lo, v45, v44, v45
	v_rcp_f32_e32 v53, v47
	v_nop
	s_delay_alu instid0(TRANS32_DEP_1) | instskip(NEXT) | instid1(VALU_DEP_1)
	v_fma_f32 v54, -v47, v53, 1.0
	v_fmac_f32_e32 v53, v54, v53
	s_delay_alu instid0(VALU_DEP_1) | instskip(NEXT) | instid1(VALU_DEP_1)
	v_mul_f32_e32 v54, v55, v53
	v_fma_f32 v56, -v47, v54, v55
	s_delay_alu instid0(VALU_DEP_1) | instskip(NEXT) | instid1(VALU_DEP_1)
	v_fmac_f32_e32 v54, v56, v53
	v_fma_f32 v47, -v47, v54, v55
	s_delay_alu instid0(VALU_DEP_1) | instskip(NEXT) | instid1(VALU_DEP_1)
	v_div_fmas_f32 v47, v47, v53, v54
	v_div_fixup_f32 v47, v47, v44, v45
	s_delay_alu instid0(VALU_DEP_1) | instskip(NEXT) | instid1(VALU_DEP_1)
	v_fmac_f32_e32 v44, v45, v47
	v_div_scale_f32 v45, null, v44, v44, 1.0
	s_delay_alu instid0(VALU_DEP_1) | instskip(SKIP_1) | instid1(TRANS32_DEP_1)
	v_rcp_f32_e32 v53, v45
	v_nop
	v_fma_f32 v54, -v45, v53, 1.0
	s_delay_alu instid0(VALU_DEP_1) | instskip(SKIP_1) | instid1(VALU_DEP_1)
	v_fmac_f32_e32 v53, v54, v53
	v_div_scale_f32 v54, vcc_lo, 1.0, v44, 1.0
	v_mul_f32_e32 v55, v54, v53
	s_delay_alu instid0(VALU_DEP_1) | instskip(NEXT) | instid1(VALU_DEP_1)
	v_fma_f32 v56, -v45, v55, v54
	v_fmac_f32_e32 v55, v56, v53
	s_delay_alu instid0(VALU_DEP_1) | instskip(NEXT) | instid1(VALU_DEP_1)
	v_fma_f32 v45, -v45, v55, v54
	v_div_fmas_f32 v45, v45, v53, v55
	s_delay_alu instid0(VALU_DEP_1) | instskip(NEXT) | instid1(VALU_DEP_1)
	v_div_fixup_f32 v44, v45, v44, 1.0
	v_mul_f32_e64 v45, v47, -v44
.LBB36_156:
	s_or_b32 exec_lo, exec_lo, s1
.LBB36_157:
	s_delay_alu instid0(SALU_CYCLE_1) | instskip(NEXT) | instid1(SALU_CYCLE_1)
	s_or_b32 exec_lo, exec_lo, s0
	s_mov_b32 s0, exec_lo
	v_cmpx_ne_u32_e64 v52, v46
	s_xor_b32 s0, exec_lo, s0
	s_cbranch_execz .LBB36_163
; %bb.158:
	s_mov_b32 s1, exec_lo
	v_cmpx_eq_u32_e32 7, v52
	s_cbranch_execz .LBB36_162
; %bb.159:
	v_cmp_ne_u32_e32 vcc_lo, 7, v46
	s_xor_b32 s15, s12, -1
	s_delay_alu instid0(SALU_CYCLE_1) | instskip(NEXT) | instid1(SALU_CYCLE_1)
	s_and_b32 s16, s15, vcc_lo
	s_and_saveexec_b32 s15, s16
	s_cbranch_execz .LBB36_161
; %bb.160:
	v_ashrrev_i32_e32 v47, 31, v46
	s_delay_alu instid0(VALU_DEP_1)
	v_lshl_add_u64 v[52:53], v[46:47], 2, v[32:33]
	s_clause 0x1
	global_load_b32 v47, v[52:53], off
	global_load_b32 v50, v[32:33], off offset:28
	s_wait_loadcnt 0x1
	global_store_b32 v[32:33], v47, off offset:28
	s_wait_loadcnt 0x0
	global_store_b32 v[52:53], v50, off
.LBB36_161:
	s_wait_xcnt 0x0
	s_or_b32 exec_lo, exec_lo, s15
	v_dual_mov_b32 v52, v46 :: v_dual_mov_b32 v50, v46
.LBB36_162:
	s_or_b32 exec_lo, exec_lo, s1
.LBB36_163:
	s_and_not1_saveexec_b32 s0, s0
	s_cbranch_execz .LBB36_165
; %bb.164:
	v_dual_mov_b32 v46, v30 :: v_dual_mov_b32 v47, v31
	v_dual_mov_b32 v52, v28 :: v_dual_mov_b32 v53, v29
	ds_store_2addr_b64 v48, v[46:47], v[52:53] offset0:8 offset1:9
	v_dual_mov_b32 v46, v14 :: v_dual_mov_b32 v47, v15
	v_dual_mov_b32 v52, v12 :: v_dual_mov_b32 v53, v13
	ds_store_2addr_b64 v48, v[46:47], v[52:53] offset0:10 offset1:11
	;; [unrolled: 3-line block ×5, first 2 shown]
	ds_store_b64 v48, v[42:43] offset:144
	v_mov_b32_e32 v52, 7
.LBB36_165:
	s_or_b32 exec_lo, exec_lo, s0
	s_delay_alu instid0(SALU_CYCLE_1)
	s_mov_b32 s0, exec_lo
	s_wait_storecnt_dscnt 0x0
	s_barrier_signal -1
	s_barrier_wait -1
	v_cmpx_lt_i32_e32 7, v52
	s_cbranch_execz .LBB36_167
; %bb.166:
	v_pk_mul_f32 v[46:47], v[44:45], v[4:5] op_sel:[1,1] op_sel_hi:[0,1]
	s_delay_alu instid0(VALU_DEP_1)
	v_pk_fma_f32 v[54:55], v[44:45], v[4:5], v[46:47] op_sel_hi:[1,0,1] neg_lo:[0,0,1] neg_hi:[0,0,1]
	v_pk_fma_f32 v[56:57], v[44:45], v[4:5], v[46:47] op_sel_hi:[1,0,1]
	ds_load_2addr_b64 v[44:47], v48 offset0:8 offset1:9
	v_dual_mov_b32 v4, v54 :: v_dual_mov_b32 v5, v57
	s_wait_dscnt 0x0
	v_pk_mul_f32 v[58:59], v[44:45], v[56:57] op_sel:[0,1]
	s_delay_alu instid0(VALU_DEP_1) | instskip(SKIP_1) | instid1(VALU_DEP_1)
	v_pk_fma_f32 v[60:61], v[44:45], v[54:55], v[58:59] op_sel:[0,0,1] op_sel_hi:[1,1,0] neg_lo:[0,0,1] neg_hi:[0,0,1]
	v_pk_fma_f32 v[44:45], v[44:45], v[54:55], v[58:59] op_sel:[0,0,1] op_sel_hi:[1,0,0]
	v_mov_b32_e32 v61, v45
	v_pk_mul_f32 v[44:45], v[46:47], v[56:57] op_sel:[0,1]
	s_delay_alu instid0(VALU_DEP_1) | instskip(SKIP_1) | instid1(VALU_DEP_1)
	v_pk_fma_f32 v[58:59], v[46:47], v[54:55], v[44:45] op_sel:[0,0,1] op_sel_hi:[1,1,0] neg_lo:[0,0,1] neg_hi:[0,0,1]
	v_pk_fma_f32 v[44:45], v[46:47], v[54:55], v[44:45] op_sel:[0,0,1] op_sel_hi:[1,0,0]
	v_mov_b32_e32 v59, v45
	ds_load_2addr_b64 v[44:47], v48 offset0:10 offset1:11
	v_pk_add_f32 v[30:31], v[30:31], v[60:61] neg_lo:[0,1] neg_hi:[0,1]
	v_pk_add_f32 v[28:29], v[28:29], v[58:59] neg_lo:[0,1] neg_hi:[0,1]
	s_wait_dscnt 0x0
	v_pk_mul_f32 v[58:59], v[44:45], v[56:57] op_sel:[0,1]
	s_delay_alu instid0(VALU_DEP_1) | instskip(SKIP_2) | instid1(VALU_DEP_2)
	v_pk_fma_f32 v[60:61], v[44:45], v[54:55], v[58:59] op_sel:[0,0,1] op_sel_hi:[1,1,0] neg_lo:[0,0,1] neg_hi:[0,0,1]
	v_pk_fma_f32 v[44:45], v[44:45], v[54:55], v[58:59] op_sel:[0,0,1] op_sel_hi:[1,0,0]
	v_dual_mul_f32 v58, v47, v57 :: v_dual_mov_b32 v44, v47
	v_dual_mov_b32 v61, v45 :: v_dual_mov_b32 v45, v46
	s_delay_alu instid0(VALU_DEP_2) | instskip(SKIP_1) | instid1(VALU_DEP_3)
	v_pk_fma_f32 v[58:59], v[46:47], v[4:5], v[58:59] op_sel_hi:[1,1,0] neg_lo:[0,0,1] neg_hi:[0,0,1]
	v_mul_f32_e32 v46, v47, v54
	v_pk_add_f32 v[14:15], v[14:15], v[60:61] neg_lo:[0,1] neg_hi:[0,1]
	s_delay_alu instid0(VALU_DEP_2) | instskip(NEXT) | instid1(VALU_DEP_1)
	v_pk_fma_f32 v[44:45], v[44:45], v[4:5], v[46:47] op_sel_hi:[1,1,0]
	v_mov_b32_e32 v59, v45
	ds_load_2addr_b64 v[44:47], v48 offset0:12 offset1:13
	v_pk_add_f32 v[12:13], v[12:13], v[58:59] neg_lo:[0,1] neg_hi:[0,1]
	s_wait_dscnt 0x0
	v_pk_mul_f32 v[58:59], v[44:45], v[56:57] op_sel:[0,1]
	s_delay_alu instid0(VALU_DEP_1) | instskip(SKIP_1) | instid1(VALU_DEP_1)
	v_pk_fma_f32 v[60:61], v[44:45], v[54:55], v[58:59] op_sel:[0,0,1] op_sel_hi:[1,1,0] neg_lo:[0,0,1] neg_hi:[0,0,1]
	v_pk_fma_f32 v[44:45], v[44:45], v[54:55], v[58:59] op_sel:[0,0,1] op_sel_hi:[1,0,0]
	v_mov_b32_e32 v61, v45
	v_pk_mul_f32 v[44:45], v[46:47], v[56:57] op_sel:[0,1]
	s_delay_alu instid0(VALU_DEP_1) | instskip(SKIP_1) | instid1(VALU_DEP_1)
	v_pk_fma_f32 v[58:59], v[46:47], v[54:55], v[44:45] op_sel:[0,0,1] op_sel_hi:[1,1,0] neg_lo:[0,0,1] neg_hi:[0,0,1]
	v_pk_fma_f32 v[44:45], v[46:47], v[54:55], v[44:45] op_sel:[0,0,1] op_sel_hi:[1,0,0]
	v_mov_b32_e32 v59, v45
	ds_load_2addr_b64 v[44:47], v48 offset0:14 offset1:15
	v_pk_add_f32 v[26:27], v[26:27], v[60:61] neg_lo:[0,1] neg_hi:[0,1]
	v_pk_add_f32 v[24:25], v[24:25], v[58:59] neg_lo:[0,1] neg_hi:[0,1]
	s_wait_dscnt 0x0
	v_pk_mul_f32 v[58:59], v[44:45], v[56:57] op_sel:[0,1]
	s_delay_alu instid0(VALU_DEP_1) | instskip(SKIP_1) | instid1(VALU_DEP_1)
	v_pk_fma_f32 v[60:61], v[44:45], v[54:55], v[58:59] op_sel:[0,0,1] op_sel_hi:[1,1,0] neg_lo:[0,0,1] neg_hi:[0,0,1]
	v_pk_fma_f32 v[44:45], v[44:45], v[54:55], v[58:59] op_sel:[0,0,1] op_sel_hi:[1,0,0]
	v_mov_b32_e32 v61, v45
	v_pk_mul_f32 v[44:45], v[46:47], v[56:57] op_sel:[0,1]
	s_delay_alu instid0(VALU_DEP_1) | instskip(SKIP_1) | instid1(VALU_DEP_1)
	v_pk_fma_f32 v[58:59], v[46:47], v[54:55], v[44:45] op_sel:[0,0,1] op_sel_hi:[1,1,0] neg_lo:[0,0,1] neg_hi:[0,0,1]
	v_pk_fma_f32 v[44:45], v[46:47], v[54:55], v[44:45] op_sel:[0,0,1] op_sel_hi:[1,0,0]
	v_mov_b32_e32 v59, v45
	ds_load_2addr_b64 v[44:47], v48 offset0:16 offset1:17
	v_pk_add_f32 v[10:11], v[10:11], v[60:61] neg_lo:[0,1] neg_hi:[0,1]
	v_pk_add_f32 v[8:9], v[8:9], v[58:59] neg_lo:[0,1] neg_hi:[0,1]
	s_wait_dscnt 0x0
	v_dual_mul_f32 v58, v45, v57 :: v_dual_mul_f32 v60, v45, v54
	s_delay_alu instid0(VALU_DEP_1) | instskip(NEXT) | instid1(VALU_DEP_2)
	v_pk_fma_f32 v[58:59], v[44:45], v[4:5], v[58:59] op_sel_hi:[1,1,0] neg_lo:[0,0,1] neg_hi:[0,0,1]
	v_pk_fma_f32 v[44:45], v[44:45], v[4:5], v[60:61] op_sel:[1,0,0] op_sel_hi:[0,1,0]
	s_delay_alu instid0(VALU_DEP_1) | instskip(SKIP_1) | instid1(VALU_DEP_2)
	v_mov_b32_e32 v59, v45
	v_pk_mul_f32 v[44:45], v[46:47], v[56:57] op_sel:[0,1]
	v_pk_add_f32 v[18:19], v[18:19], v[58:59] neg_lo:[0,1] neg_hi:[0,1]
	s_delay_alu instid0(VALU_DEP_2) | instskip(SKIP_1) | instid1(VALU_DEP_1)
	v_pk_fma_f32 v[58:59], v[46:47], v[54:55], v[44:45] op_sel:[0,0,1] op_sel_hi:[1,1,0] neg_lo:[0,0,1] neg_hi:[0,0,1]
	v_pk_fma_f32 v[44:45], v[46:47], v[54:55], v[44:45] op_sel:[0,0,1] op_sel_hi:[1,0,0]
	v_mov_b32_e32 v59, v45
	ds_load_b64 v[44:45], v48 offset:144
	v_pk_add_f32 v[16:17], v[16:17], v[58:59] neg_lo:[0,1] neg_hi:[0,1]
	s_wait_dscnt 0x0
	v_pk_mul_f32 v[46:47], v[44:45], v[56:57] op_sel:[0,1]
	s_delay_alu instid0(VALU_DEP_1) | instskip(SKIP_1) | instid1(VALU_DEP_1)
	v_pk_fma_f32 v[56:57], v[44:45], v[54:55], v[46:47] op_sel:[0,0,1] op_sel_hi:[1,1,0] neg_lo:[0,0,1] neg_hi:[0,0,1]
	v_pk_fma_f32 v[44:45], v[44:45], v[54:55], v[46:47] op_sel:[0,0,1] op_sel_hi:[1,0,0]
	v_mov_b32_e32 v57, v45
	s_delay_alu instid0(VALU_DEP_1)
	v_pk_add_f32 v[42:43], v[42:43], v[56:57] neg_lo:[0,1] neg_hi:[0,1]
.LBB36_167:
	s_or_b32 exec_lo, exec_lo, s0
	v_lshl_add_u32 v44, v52, 3, v48
	s_barrier_signal -1
	s_barrier_wait -1
	ds_store_b64 v44, v[30:31]
	s_wait_dscnt 0x0
	s_barrier_signal -1
	s_barrier_wait -1
	ds_load_b64 v[44:45], v48 offset:64
	v_mov_b32_e32 v46, 8
	s_cmp_lt_i32 s14, 10
	s_cbranch_scc1 .LBB36_170
; %bb.168:
	v_add3_u32 v47, v49, 0, 0x48
	v_mov_b32_e32 v46, 8
	s_mov_b32 s0, 9
.LBB36_169:                             ; =>This Inner Loop Header: Depth=1
	ds_load_b64 v[54:55], v47
	s_wait_dscnt 0x1
	v_cmp_gt_f32_e32 vcc_lo, 0, v44
	v_cndmask_b32_e64 v56, v44, -v44, vcc_lo
	v_cmp_gt_f32_e32 vcc_lo, 0, v45
	v_cndmask_b32_e64 v58, v45, -v45, vcc_lo
	s_wait_dscnt 0x0
	v_cmp_gt_f32_e32 vcc_lo, 0, v54
	v_cndmask_b32_e64 v57, v54, -v54, vcc_lo
	v_cmp_gt_f32_e32 vcc_lo, 0, v55
	v_cndmask_b32_e64 v59, v55, -v55, vcc_lo
	s_delay_alu instid0(VALU_DEP_1) | instskip(NEXT) | instid1(VALU_DEP_1)
	v_pk_add_f32 v[56:57], v[56:57], v[58:59]
	v_cmp_lt_f32_e32 vcc_lo, v56, v57
	v_dual_cndmask_b32 v44, v44, v54 :: v_dual_add_nc_u32 v47, 8, v47
	v_cndmask_b32_e32 v45, v45, v55, vcc_lo
	v_cndmask_b32_e64 v46, v46, s0, vcc_lo
	s_add_co_i32 s0, s0, 1
	s_delay_alu instid0(SALU_CYCLE_1)
	s_cmp_lg_u32 s14, s0
	s_cbranch_scc1 .LBB36_169
.LBB36_170:
	s_wait_dscnt 0x0
	v_cmp_eq_f32_e32 vcc_lo, 0, v44
	v_cmp_eq_f32_e64 s0, 0, v45
	s_and_b32 s0, vcc_lo, s0
	s_delay_alu instid0(SALU_CYCLE_1) | instskip(NEXT) | instid1(SALU_CYCLE_1)
	s_and_saveexec_b32 s1, s0
	s_xor_b32 s0, exec_lo, s1
; %bb.171:
	v_cmp_ne_u32_e32 vcc_lo, 0, v51
	v_cndmask_b32_e32 v51, 9, v51, vcc_lo
; %bb.172:
	s_and_not1_saveexec_b32 s0, s0
	s_cbranch_execz .LBB36_178
; %bb.173:
	v_cmp_ngt_f32_e64 s1, |v44|, |v45|
	s_and_saveexec_b32 s15, s1
	s_delay_alu instid0(SALU_CYCLE_1)
	s_xor_b32 s1, exec_lo, s15
	s_cbranch_execz .LBB36_175
; %bb.174:
	v_div_scale_f32 v47, null, v45, v45, v44
	v_div_scale_f32 v55, vcc_lo, v44, v45, v44
	s_delay_alu instid0(VALU_DEP_2) | instskip(SKIP_1) | instid1(TRANS32_DEP_1)
	v_rcp_f32_e32 v53, v47
	v_nop
	v_fma_f32 v54, -v47, v53, 1.0
	s_delay_alu instid0(VALU_DEP_1) | instskip(NEXT) | instid1(VALU_DEP_1)
	v_fmac_f32_e32 v53, v54, v53
	v_mul_f32_e32 v54, v55, v53
	s_delay_alu instid0(VALU_DEP_1) | instskip(NEXT) | instid1(VALU_DEP_1)
	v_fma_f32 v56, -v47, v54, v55
	v_fmac_f32_e32 v54, v56, v53
	s_delay_alu instid0(VALU_DEP_1) | instskip(NEXT) | instid1(VALU_DEP_1)
	v_fma_f32 v47, -v47, v54, v55
	v_div_fmas_f32 v47, v47, v53, v54
	s_delay_alu instid0(VALU_DEP_1) | instskip(NEXT) | instid1(VALU_DEP_1)
	v_div_fixup_f32 v47, v47, v45, v44
	v_fmac_f32_e32 v45, v44, v47
	s_delay_alu instid0(VALU_DEP_1) | instskip(SKIP_1) | instid1(VALU_DEP_2)
	v_div_scale_f32 v44, null, v45, v45, 1.0
	v_div_scale_f32 v55, vcc_lo, 1.0, v45, 1.0
	v_rcp_f32_e32 v53, v44
	v_nop
	s_delay_alu instid0(TRANS32_DEP_1) | instskip(NEXT) | instid1(VALU_DEP_1)
	v_fma_f32 v54, -v44, v53, 1.0
	v_fmac_f32_e32 v53, v54, v53
	s_delay_alu instid0(VALU_DEP_1) | instskip(NEXT) | instid1(VALU_DEP_1)
	v_mul_f32_e32 v54, v55, v53
	v_fma_f32 v56, -v44, v54, v55
	s_delay_alu instid0(VALU_DEP_1) | instskip(NEXT) | instid1(VALU_DEP_1)
	v_fmac_f32_e32 v54, v56, v53
	v_fma_f32 v44, -v44, v54, v55
	s_delay_alu instid0(VALU_DEP_1) | instskip(NEXT) | instid1(VALU_DEP_1)
	v_div_fmas_f32 v44, v44, v53, v54
	v_div_fixup_f32 v45, v44, v45, 1.0
	s_delay_alu instid0(VALU_DEP_1)
	v_mul_f32_e32 v44, v47, v45
	v_xor_b32_e32 v45, 0x80000000, v45
.LBB36_175:
	s_and_not1_saveexec_b32 s1, s1
	s_cbranch_execz .LBB36_177
; %bb.176:
	s_delay_alu instid0(VALU_DEP_1) | instskip(SKIP_1) | instid1(VALU_DEP_2)
	v_div_scale_f32 v47, null, v44, v44, v45
	v_div_scale_f32 v55, vcc_lo, v45, v44, v45
	v_rcp_f32_e32 v53, v47
	v_nop
	s_delay_alu instid0(TRANS32_DEP_1) | instskip(NEXT) | instid1(VALU_DEP_1)
	v_fma_f32 v54, -v47, v53, 1.0
	v_fmac_f32_e32 v53, v54, v53
	s_delay_alu instid0(VALU_DEP_1) | instskip(NEXT) | instid1(VALU_DEP_1)
	v_mul_f32_e32 v54, v55, v53
	v_fma_f32 v56, -v47, v54, v55
	s_delay_alu instid0(VALU_DEP_1) | instskip(NEXT) | instid1(VALU_DEP_1)
	v_fmac_f32_e32 v54, v56, v53
	v_fma_f32 v47, -v47, v54, v55
	s_delay_alu instid0(VALU_DEP_1) | instskip(NEXT) | instid1(VALU_DEP_1)
	v_div_fmas_f32 v47, v47, v53, v54
	v_div_fixup_f32 v47, v47, v44, v45
	s_delay_alu instid0(VALU_DEP_1) | instskip(NEXT) | instid1(VALU_DEP_1)
	v_fmac_f32_e32 v44, v45, v47
	v_div_scale_f32 v45, null, v44, v44, 1.0
	s_delay_alu instid0(VALU_DEP_1) | instskip(SKIP_1) | instid1(TRANS32_DEP_1)
	v_rcp_f32_e32 v53, v45
	v_nop
	v_fma_f32 v54, -v45, v53, 1.0
	s_delay_alu instid0(VALU_DEP_1) | instskip(SKIP_1) | instid1(VALU_DEP_1)
	v_fmac_f32_e32 v53, v54, v53
	v_div_scale_f32 v54, vcc_lo, 1.0, v44, 1.0
	v_mul_f32_e32 v55, v54, v53
	s_delay_alu instid0(VALU_DEP_1) | instskip(NEXT) | instid1(VALU_DEP_1)
	v_fma_f32 v56, -v45, v55, v54
	v_fmac_f32_e32 v55, v56, v53
	s_delay_alu instid0(VALU_DEP_1) | instskip(NEXT) | instid1(VALU_DEP_1)
	v_fma_f32 v45, -v45, v55, v54
	v_div_fmas_f32 v45, v45, v53, v55
	s_delay_alu instid0(VALU_DEP_1) | instskip(NEXT) | instid1(VALU_DEP_1)
	v_div_fixup_f32 v44, v45, v44, 1.0
	v_mul_f32_e64 v45, v47, -v44
.LBB36_177:
	s_or_b32 exec_lo, exec_lo, s1
.LBB36_178:
	s_delay_alu instid0(SALU_CYCLE_1) | instskip(NEXT) | instid1(SALU_CYCLE_1)
	s_or_b32 exec_lo, exec_lo, s0
	s_mov_b32 s0, exec_lo
	v_cmpx_ne_u32_e64 v52, v46
	s_xor_b32 s0, exec_lo, s0
	s_cbranch_execz .LBB36_184
; %bb.179:
	s_mov_b32 s1, exec_lo
	v_cmpx_eq_u32_e32 8, v52
	s_cbranch_execz .LBB36_183
; %bb.180:
	v_cmp_ne_u32_e32 vcc_lo, 8, v46
	s_xor_b32 s15, s12, -1
	s_delay_alu instid0(SALU_CYCLE_1) | instskip(NEXT) | instid1(SALU_CYCLE_1)
	s_and_b32 s16, s15, vcc_lo
	s_and_saveexec_b32 s15, s16
	s_cbranch_execz .LBB36_182
; %bb.181:
	v_ashrrev_i32_e32 v47, 31, v46
	s_delay_alu instid0(VALU_DEP_1)
	v_lshl_add_u64 v[52:53], v[46:47], 2, v[32:33]
	s_clause 0x1
	global_load_b32 v47, v[52:53], off
	global_load_b32 v50, v[32:33], off offset:32
	s_wait_loadcnt 0x1
	global_store_b32 v[32:33], v47, off offset:32
	s_wait_loadcnt 0x0
	global_store_b32 v[52:53], v50, off
.LBB36_182:
	s_wait_xcnt 0x0
	s_or_b32 exec_lo, exec_lo, s15
	v_dual_mov_b32 v52, v46 :: v_dual_mov_b32 v50, v46
.LBB36_183:
	s_or_b32 exec_lo, exec_lo, s1
.LBB36_184:
	s_and_not1_saveexec_b32 s0, s0
	s_cbranch_execz .LBB36_186
; %bb.185:
	v_mov_b32_e32 v52, 8
	ds_store_2addr_b64 v48, v[28:29], v[14:15] offset0:9 offset1:10
	ds_store_2addr_b64 v48, v[12:13], v[26:27] offset0:11 offset1:12
	ds_store_2addr_b64 v48, v[24:25], v[10:11] offset0:13 offset1:14
	ds_store_2addr_b64 v48, v[8:9], v[18:19] offset0:15 offset1:16
	ds_store_2addr_b64 v48, v[16:17], v[42:43] offset0:17 offset1:18
.LBB36_186:
	s_or_b32 exec_lo, exec_lo, s0
	s_delay_alu instid0(SALU_CYCLE_1)
	s_mov_b32 s0, exec_lo
	s_wait_storecnt_dscnt 0x0
	s_barrier_signal -1
	s_barrier_wait -1
	v_cmpx_lt_i32_e32 8, v52
	s_cbranch_execz .LBB36_188
; %bb.187:
	v_pk_mul_f32 v[46:47], v[44:45], v[30:31] op_sel:[1,1] op_sel_hi:[0,1]
	s_delay_alu instid0(VALU_DEP_1)
	v_pk_fma_f32 v[54:55], v[44:45], v[30:31], v[46:47] op_sel_hi:[1,0,1] neg_lo:[0,0,1] neg_hi:[0,0,1]
	v_pk_fma_f32 v[56:57], v[44:45], v[30:31], v[46:47] op_sel_hi:[1,0,1]
	ds_load_2addr_b64 v[44:47], v48 offset0:9 offset1:10
	v_dual_mov_b32 v30, v54 :: v_dual_mov_b32 v31, v57
	s_wait_dscnt 0x0
	v_pk_mul_f32 v[58:59], v[44:45], v[56:57] op_sel:[0,1]
	s_delay_alu instid0(VALU_DEP_1) | instskip(SKIP_1) | instid1(VALU_DEP_1)
	v_pk_fma_f32 v[60:61], v[44:45], v[54:55], v[58:59] op_sel:[0,0,1] op_sel_hi:[1,1,0] neg_lo:[0,0,1] neg_hi:[0,0,1]
	v_pk_fma_f32 v[44:45], v[44:45], v[54:55], v[58:59] op_sel:[0,0,1] op_sel_hi:[1,0,0]
	v_mov_b32_e32 v61, v45
	v_pk_mul_f32 v[44:45], v[46:47], v[56:57] op_sel:[0,1]
	s_delay_alu instid0(VALU_DEP_1) | instskip(SKIP_1) | instid1(VALU_DEP_1)
	v_pk_fma_f32 v[58:59], v[46:47], v[54:55], v[44:45] op_sel:[0,0,1] op_sel_hi:[1,1,0] neg_lo:[0,0,1] neg_hi:[0,0,1]
	v_pk_fma_f32 v[44:45], v[46:47], v[54:55], v[44:45] op_sel:[0,0,1] op_sel_hi:[1,0,0]
	v_mov_b32_e32 v59, v45
	ds_load_2addr_b64 v[44:47], v48 offset0:11 offset1:12
	v_pk_add_f32 v[28:29], v[28:29], v[60:61] neg_lo:[0,1] neg_hi:[0,1]
	v_pk_add_f32 v[14:15], v[14:15], v[58:59] neg_lo:[0,1] neg_hi:[0,1]
	s_wait_dscnt 0x0
	v_pk_mul_f32 v[58:59], v[44:45], v[56:57] op_sel:[0,1]
	s_delay_alu instid0(VALU_DEP_1) | instskip(SKIP_2) | instid1(VALU_DEP_2)
	v_pk_fma_f32 v[60:61], v[44:45], v[54:55], v[58:59] op_sel:[0,0,1] op_sel_hi:[1,1,0] neg_lo:[0,0,1] neg_hi:[0,0,1]
	v_pk_fma_f32 v[44:45], v[44:45], v[54:55], v[58:59] op_sel:[0,0,1] op_sel_hi:[1,0,0]
	v_dual_mul_f32 v58, v47, v57 :: v_dual_mov_b32 v44, v47
	v_dual_mov_b32 v61, v45 :: v_dual_mov_b32 v45, v46
	s_delay_alu instid0(VALU_DEP_2) | instskip(SKIP_1) | instid1(VALU_DEP_3)
	v_pk_fma_f32 v[58:59], v[46:47], v[30:31], v[58:59] op_sel_hi:[1,1,0] neg_lo:[0,0,1] neg_hi:[0,0,1]
	v_mul_f32_e32 v46, v47, v54
	v_pk_add_f32 v[12:13], v[12:13], v[60:61] neg_lo:[0,1] neg_hi:[0,1]
	s_delay_alu instid0(VALU_DEP_2) | instskip(NEXT) | instid1(VALU_DEP_1)
	v_pk_fma_f32 v[44:45], v[44:45], v[30:31], v[46:47] op_sel_hi:[1,1,0]
	v_mov_b32_e32 v59, v45
	ds_load_2addr_b64 v[44:47], v48 offset0:13 offset1:14
	v_pk_add_f32 v[26:27], v[26:27], v[58:59] neg_lo:[0,1] neg_hi:[0,1]
	s_wait_dscnt 0x0
	v_pk_mul_f32 v[58:59], v[44:45], v[56:57] op_sel:[0,1]
	s_delay_alu instid0(VALU_DEP_1) | instskip(SKIP_1) | instid1(VALU_DEP_1)
	v_pk_fma_f32 v[60:61], v[44:45], v[54:55], v[58:59] op_sel:[0,0,1] op_sel_hi:[1,1,0] neg_lo:[0,0,1] neg_hi:[0,0,1]
	v_pk_fma_f32 v[44:45], v[44:45], v[54:55], v[58:59] op_sel:[0,0,1] op_sel_hi:[1,0,0]
	v_mov_b32_e32 v61, v45
	v_pk_mul_f32 v[44:45], v[46:47], v[56:57] op_sel:[0,1]
	s_delay_alu instid0(VALU_DEP_1) | instskip(SKIP_1) | instid1(VALU_DEP_1)
	v_pk_fma_f32 v[58:59], v[46:47], v[54:55], v[44:45] op_sel:[0,0,1] op_sel_hi:[1,1,0] neg_lo:[0,0,1] neg_hi:[0,0,1]
	v_pk_fma_f32 v[44:45], v[46:47], v[54:55], v[44:45] op_sel:[0,0,1] op_sel_hi:[1,0,0]
	v_mov_b32_e32 v59, v45
	ds_load_2addr_b64 v[44:47], v48 offset0:15 offset1:16
	v_pk_add_f32 v[24:25], v[24:25], v[60:61] neg_lo:[0,1] neg_hi:[0,1]
	v_pk_add_f32 v[10:11], v[10:11], v[58:59] neg_lo:[0,1] neg_hi:[0,1]
	s_wait_dscnt 0x0
	v_pk_mul_f32 v[58:59], v[44:45], v[56:57] op_sel:[0,1]
	s_delay_alu instid0(VALU_DEP_1) | instskip(SKIP_1) | instid1(VALU_DEP_1)
	v_pk_fma_f32 v[60:61], v[44:45], v[54:55], v[58:59] op_sel:[0,0,1] op_sel_hi:[1,1,0] neg_lo:[0,0,1] neg_hi:[0,0,1]
	v_pk_fma_f32 v[44:45], v[44:45], v[54:55], v[58:59] op_sel:[0,0,1] op_sel_hi:[1,0,0]
	v_mov_b32_e32 v61, v45
	v_pk_mul_f32 v[44:45], v[46:47], v[56:57] op_sel:[0,1]
	s_delay_alu instid0(VALU_DEP_1) | instskip(SKIP_1) | instid1(VALU_DEP_1)
	v_pk_fma_f32 v[58:59], v[46:47], v[54:55], v[44:45] op_sel:[0,0,1] op_sel_hi:[1,1,0] neg_lo:[0,0,1] neg_hi:[0,0,1]
	v_pk_fma_f32 v[44:45], v[46:47], v[54:55], v[44:45] op_sel:[0,0,1] op_sel_hi:[1,0,0]
	v_mov_b32_e32 v59, v45
	ds_load_2addr_b64 v[44:47], v48 offset0:17 offset1:18
	v_pk_add_f32 v[8:9], v[8:9], v[60:61] neg_lo:[0,1] neg_hi:[0,1]
	v_pk_add_f32 v[18:19], v[18:19], v[58:59] neg_lo:[0,1] neg_hi:[0,1]
	s_wait_dscnt 0x0
	v_dual_mul_f32 v58, v45, v57 :: v_dual_mul_f32 v60, v45, v54
	s_delay_alu instid0(VALU_DEP_1) | instskip(NEXT) | instid1(VALU_DEP_2)
	v_pk_fma_f32 v[58:59], v[44:45], v[30:31], v[58:59] op_sel_hi:[1,1,0] neg_lo:[0,0,1] neg_hi:[0,0,1]
	v_pk_fma_f32 v[44:45], v[44:45], v[30:31], v[60:61] op_sel:[1,0,0] op_sel_hi:[0,1,0]
	s_delay_alu instid0(VALU_DEP_1) | instskip(SKIP_1) | instid1(VALU_DEP_1)
	v_mov_b32_e32 v59, v45
	v_pk_mul_f32 v[44:45], v[46:47], v[56:57] op_sel:[0,1]
	v_pk_fma_f32 v[56:57], v[46:47], v[54:55], v[44:45] op_sel:[0,0,1] op_sel_hi:[1,1,0] neg_lo:[0,0,1] neg_hi:[0,0,1]
	v_pk_fma_f32 v[44:45], v[46:47], v[54:55], v[44:45] op_sel:[0,0,1] op_sel_hi:[1,0,0]
	s_delay_alu instid0(VALU_DEP_1) | instskip(SKIP_1) | instid1(VALU_DEP_2)
	v_mov_b32_e32 v57, v45
	v_pk_add_f32 v[16:17], v[16:17], v[58:59] neg_lo:[0,1] neg_hi:[0,1]
	v_pk_add_f32 v[42:43], v[42:43], v[56:57] neg_lo:[0,1] neg_hi:[0,1]
.LBB36_188:
	s_or_b32 exec_lo, exec_lo, s0
	v_lshl_add_u32 v44, v52, 3, v48
	s_barrier_signal -1
	s_barrier_wait -1
	ds_store_b64 v44, v[28:29]
	s_wait_dscnt 0x0
	s_barrier_signal -1
	s_barrier_wait -1
	ds_load_b64 v[44:45], v48 offset:72
	v_mov_b32_e32 v46, 9
	s_cmp_lt_i32 s14, 11
	s_cbranch_scc1 .LBB36_191
; %bb.189:
	v_add3_u32 v47, v49, 0, 0x50
	v_mov_b32_e32 v46, 9
	s_mov_b32 s0, 10
.LBB36_190:                             ; =>This Inner Loop Header: Depth=1
	ds_load_b64 v[54:55], v47
	s_wait_dscnt 0x1
	v_cmp_gt_f32_e32 vcc_lo, 0, v44
	v_cndmask_b32_e64 v56, v44, -v44, vcc_lo
	v_cmp_gt_f32_e32 vcc_lo, 0, v45
	v_cndmask_b32_e64 v58, v45, -v45, vcc_lo
	s_wait_dscnt 0x0
	v_cmp_gt_f32_e32 vcc_lo, 0, v54
	v_cndmask_b32_e64 v57, v54, -v54, vcc_lo
	v_cmp_gt_f32_e32 vcc_lo, 0, v55
	v_cndmask_b32_e64 v59, v55, -v55, vcc_lo
	s_delay_alu instid0(VALU_DEP_1) | instskip(NEXT) | instid1(VALU_DEP_1)
	v_pk_add_f32 v[56:57], v[56:57], v[58:59]
	v_cmp_lt_f32_e32 vcc_lo, v56, v57
	v_dual_cndmask_b32 v44, v44, v54 :: v_dual_add_nc_u32 v47, 8, v47
	v_cndmask_b32_e32 v45, v45, v55, vcc_lo
	v_cndmask_b32_e64 v46, v46, s0, vcc_lo
	s_add_co_i32 s0, s0, 1
	s_delay_alu instid0(SALU_CYCLE_1)
	s_cmp_lg_u32 s14, s0
	s_cbranch_scc1 .LBB36_190
.LBB36_191:
	s_wait_dscnt 0x0
	v_cmp_eq_f32_e32 vcc_lo, 0, v44
	v_cmp_eq_f32_e64 s0, 0, v45
	s_and_b32 s0, vcc_lo, s0
	s_delay_alu instid0(SALU_CYCLE_1) | instskip(NEXT) | instid1(SALU_CYCLE_1)
	s_and_saveexec_b32 s1, s0
	s_xor_b32 s0, exec_lo, s1
; %bb.192:
	v_cmp_ne_u32_e32 vcc_lo, 0, v51
	v_cndmask_b32_e32 v51, 10, v51, vcc_lo
; %bb.193:
	s_and_not1_saveexec_b32 s0, s0
	s_cbranch_execz .LBB36_199
; %bb.194:
	v_cmp_ngt_f32_e64 s1, |v44|, |v45|
	s_and_saveexec_b32 s15, s1
	s_delay_alu instid0(SALU_CYCLE_1)
	s_xor_b32 s1, exec_lo, s15
	s_cbranch_execz .LBB36_196
; %bb.195:
	v_div_scale_f32 v47, null, v45, v45, v44
	v_div_scale_f32 v55, vcc_lo, v44, v45, v44
	s_delay_alu instid0(VALU_DEP_2) | instskip(SKIP_1) | instid1(TRANS32_DEP_1)
	v_rcp_f32_e32 v53, v47
	v_nop
	v_fma_f32 v54, -v47, v53, 1.0
	s_delay_alu instid0(VALU_DEP_1) | instskip(NEXT) | instid1(VALU_DEP_1)
	v_fmac_f32_e32 v53, v54, v53
	v_mul_f32_e32 v54, v55, v53
	s_delay_alu instid0(VALU_DEP_1) | instskip(NEXT) | instid1(VALU_DEP_1)
	v_fma_f32 v56, -v47, v54, v55
	v_fmac_f32_e32 v54, v56, v53
	s_delay_alu instid0(VALU_DEP_1) | instskip(NEXT) | instid1(VALU_DEP_1)
	v_fma_f32 v47, -v47, v54, v55
	v_div_fmas_f32 v47, v47, v53, v54
	s_delay_alu instid0(VALU_DEP_1) | instskip(NEXT) | instid1(VALU_DEP_1)
	v_div_fixup_f32 v47, v47, v45, v44
	v_fmac_f32_e32 v45, v44, v47
	s_delay_alu instid0(VALU_DEP_1) | instskip(SKIP_1) | instid1(VALU_DEP_2)
	v_div_scale_f32 v44, null, v45, v45, 1.0
	v_div_scale_f32 v55, vcc_lo, 1.0, v45, 1.0
	v_rcp_f32_e32 v53, v44
	v_nop
	s_delay_alu instid0(TRANS32_DEP_1) | instskip(NEXT) | instid1(VALU_DEP_1)
	v_fma_f32 v54, -v44, v53, 1.0
	v_fmac_f32_e32 v53, v54, v53
	s_delay_alu instid0(VALU_DEP_1) | instskip(NEXT) | instid1(VALU_DEP_1)
	v_mul_f32_e32 v54, v55, v53
	v_fma_f32 v56, -v44, v54, v55
	s_delay_alu instid0(VALU_DEP_1) | instskip(NEXT) | instid1(VALU_DEP_1)
	v_fmac_f32_e32 v54, v56, v53
	v_fma_f32 v44, -v44, v54, v55
	s_delay_alu instid0(VALU_DEP_1) | instskip(NEXT) | instid1(VALU_DEP_1)
	v_div_fmas_f32 v44, v44, v53, v54
	v_div_fixup_f32 v45, v44, v45, 1.0
	s_delay_alu instid0(VALU_DEP_1)
	v_mul_f32_e32 v44, v47, v45
	v_xor_b32_e32 v45, 0x80000000, v45
.LBB36_196:
	s_and_not1_saveexec_b32 s1, s1
	s_cbranch_execz .LBB36_198
; %bb.197:
	s_delay_alu instid0(VALU_DEP_1) | instskip(SKIP_1) | instid1(VALU_DEP_2)
	v_div_scale_f32 v47, null, v44, v44, v45
	v_div_scale_f32 v55, vcc_lo, v45, v44, v45
	v_rcp_f32_e32 v53, v47
	v_nop
	s_delay_alu instid0(TRANS32_DEP_1) | instskip(NEXT) | instid1(VALU_DEP_1)
	v_fma_f32 v54, -v47, v53, 1.0
	v_fmac_f32_e32 v53, v54, v53
	s_delay_alu instid0(VALU_DEP_1) | instskip(NEXT) | instid1(VALU_DEP_1)
	v_mul_f32_e32 v54, v55, v53
	v_fma_f32 v56, -v47, v54, v55
	s_delay_alu instid0(VALU_DEP_1) | instskip(NEXT) | instid1(VALU_DEP_1)
	v_fmac_f32_e32 v54, v56, v53
	v_fma_f32 v47, -v47, v54, v55
	s_delay_alu instid0(VALU_DEP_1) | instskip(NEXT) | instid1(VALU_DEP_1)
	v_div_fmas_f32 v47, v47, v53, v54
	v_div_fixup_f32 v47, v47, v44, v45
	s_delay_alu instid0(VALU_DEP_1) | instskip(NEXT) | instid1(VALU_DEP_1)
	v_fmac_f32_e32 v44, v45, v47
	v_div_scale_f32 v45, null, v44, v44, 1.0
	s_delay_alu instid0(VALU_DEP_1) | instskip(SKIP_1) | instid1(TRANS32_DEP_1)
	v_rcp_f32_e32 v53, v45
	v_nop
	v_fma_f32 v54, -v45, v53, 1.0
	s_delay_alu instid0(VALU_DEP_1) | instskip(SKIP_1) | instid1(VALU_DEP_1)
	v_fmac_f32_e32 v53, v54, v53
	v_div_scale_f32 v54, vcc_lo, 1.0, v44, 1.0
	v_mul_f32_e32 v55, v54, v53
	s_delay_alu instid0(VALU_DEP_1) | instskip(NEXT) | instid1(VALU_DEP_1)
	v_fma_f32 v56, -v45, v55, v54
	v_fmac_f32_e32 v55, v56, v53
	s_delay_alu instid0(VALU_DEP_1) | instskip(NEXT) | instid1(VALU_DEP_1)
	v_fma_f32 v45, -v45, v55, v54
	v_div_fmas_f32 v45, v45, v53, v55
	s_delay_alu instid0(VALU_DEP_1) | instskip(NEXT) | instid1(VALU_DEP_1)
	v_div_fixup_f32 v44, v45, v44, 1.0
	v_mul_f32_e64 v45, v47, -v44
.LBB36_198:
	s_or_b32 exec_lo, exec_lo, s1
.LBB36_199:
	s_delay_alu instid0(SALU_CYCLE_1) | instskip(NEXT) | instid1(SALU_CYCLE_1)
	s_or_b32 exec_lo, exec_lo, s0
	s_mov_b32 s0, exec_lo
	v_cmpx_ne_u32_e64 v52, v46
	s_xor_b32 s0, exec_lo, s0
	s_cbranch_execz .LBB36_205
; %bb.200:
	s_mov_b32 s1, exec_lo
	v_cmpx_eq_u32_e32 9, v52
	s_cbranch_execz .LBB36_204
; %bb.201:
	v_cmp_ne_u32_e32 vcc_lo, 9, v46
	s_xor_b32 s15, s12, -1
	s_delay_alu instid0(SALU_CYCLE_1) | instskip(NEXT) | instid1(SALU_CYCLE_1)
	s_and_b32 s16, s15, vcc_lo
	s_and_saveexec_b32 s15, s16
	s_cbranch_execz .LBB36_203
; %bb.202:
	v_ashrrev_i32_e32 v47, 31, v46
	s_delay_alu instid0(VALU_DEP_1)
	v_lshl_add_u64 v[52:53], v[46:47], 2, v[32:33]
	s_clause 0x1
	global_load_b32 v47, v[52:53], off
	global_load_b32 v50, v[32:33], off offset:36
	s_wait_loadcnt 0x1
	global_store_b32 v[32:33], v47, off offset:36
	s_wait_loadcnt 0x0
	global_store_b32 v[52:53], v50, off
.LBB36_203:
	s_wait_xcnt 0x0
	s_or_b32 exec_lo, exec_lo, s15
	v_dual_mov_b32 v52, v46 :: v_dual_mov_b32 v50, v46
.LBB36_204:
	s_or_b32 exec_lo, exec_lo, s1
.LBB36_205:
	s_and_not1_saveexec_b32 s0, s0
	s_cbranch_execz .LBB36_207
; %bb.206:
	v_dual_mov_b32 v46, v14 :: v_dual_mov_b32 v47, v15
	v_dual_mov_b32 v52, v12 :: v_dual_mov_b32 v53, v13
	ds_store_2addr_b64 v48, v[46:47], v[52:53] offset0:10 offset1:11
	v_dual_mov_b32 v46, v26 :: v_dual_mov_b32 v47, v27
	v_dual_mov_b32 v52, v24 :: v_dual_mov_b32 v53, v25
	ds_store_2addr_b64 v48, v[46:47], v[52:53] offset0:12 offset1:13
	;; [unrolled: 3-line block ×4, first 2 shown]
	ds_store_b64 v48, v[42:43] offset:144
	v_mov_b32_e32 v52, 9
.LBB36_207:
	s_or_b32 exec_lo, exec_lo, s0
	s_delay_alu instid0(SALU_CYCLE_1)
	s_mov_b32 s0, exec_lo
	s_wait_storecnt_dscnt 0x0
	s_barrier_signal -1
	s_barrier_wait -1
	v_cmpx_lt_i32_e32 9, v52
	s_cbranch_execz .LBB36_209
; %bb.208:
	v_pk_mul_f32 v[46:47], v[44:45], v[28:29] op_sel:[1,1] op_sel_hi:[0,1]
	s_delay_alu instid0(VALU_DEP_1)
	v_pk_fma_f32 v[54:55], v[44:45], v[28:29], v[46:47] op_sel_hi:[1,0,1] neg_lo:[0,0,1] neg_hi:[0,0,1]
	v_pk_fma_f32 v[56:57], v[44:45], v[28:29], v[46:47] op_sel_hi:[1,0,1]
	ds_load_2addr_b64 v[44:47], v48 offset0:10 offset1:11
	v_dual_mov_b32 v28, v54 :: v_dual_mov_b32 v29, v57
	s_wait_dscnt 0x0
	v_pk_mul_f32 v[58:59], v[44:45], v[56:57] op_sel:[0,1]
	s_delay_alu instid0(VALU_DEP_1) | instskip(SKIP_1) | instid1(VALU_DEP_1)
	v_pk_fma_f32 v[60:61], v[44:45], v[54:55], v[58:59] op_sel:[0,0,1] op_sel_hi:[1,1,0] neg_lo:[0,0,1] neg_hi:[0,0,1]
	v_pk_fma_f32 v[44:45], v[44:45], v[54:55], v[58:59] op_sel:[0,0,1] op_sel_hi:[1,0,0]
	v_mov_b32_e32 v61, v45
	v_pk_mul_f32 v[44:45], v[46:47], v[56:57] op_sel:[0,1]
	s_delay_alu instid0(VALU_DEP_1) | instskip(SKIP_1) | instid1(VALU_DEP_1)
	v_pk_fma_f32 v[58:59], v[46:47], v[54:55], v[44:45] op_sel:[0,0,1] op_sel_hi:[1,1,0] neg_lo:[0,0,1] neg_hi:[0,0,1]
	v_pk_fma_f32 v[44:45], v[46:47], v[54:55], v[44:45] op_sel:[0,0,1] op_sel_hi:[1,0,0]
	v_mov_b32_e32 v59, v45
	ds_load_2addr_b64 v[44:47], v48 offset0:12 offset1:13
	v_pk_add_f32 v[14:15], v[14:15], v[60:61] neg_lo:[0,1] neg_hi:[0,1]
	v_pk_add_f32 v[12:13], v[12:13], v[58:59] neg_lo:[0,1] neg_hi:[0,1]
	s_wait_dscnt 0x0
	v_pk_mul_f32 v[58:59], v[44:45], v[56:57] op_sel:[0,1]
	s_delay_alu instid0(VALU_DEP_1) | instskip(SKIP_2) | instid1(VALU_DEP_2)
	v_pk_fma_f32 v[60:61], v[44:45], v[54:55], v[58:59] op_sel:[0,0,1] op_sel_hi:[1,1,0] neg_lo:[0,0,1] neg_hi:[0,0,1]
	v_pk_fma_f32 v[44:45], v[44:45], v[54:55], v[58:59] op_sel:[0,0,1] op_sel_hi:[1,0,0]
	v_dual_mul_f32 v58, v47, v57 :: v_dual_mov_b32 v44, v47
	v_dual_mov_b32 v61, v45 :: v_dual_mov_b32 v45, v46
	s_delay_alu instid0(VALU_DEP_2) | instskip(SKIP_1) | instid1(VALU_DEP_3)
	v_pk_fma_f32 v[58:59], v[46:47], v[28:29], v[58:59] op_sel_hi:[1,1,0] neg_lo:[0,0,1] neg_hi:[0,0,1]
	v_mul_f32_e32 v46, v47, v54
	v_pk_add_f32 v[26:27], v[26:27], v[60:61] neg_lo:[0,1] neg_hi:[0,1]
	s_delay_alu instid0(VALU_DEP_2) | instskip(NEXT) | instid1(VALU_DEP_1)
	v_pk_fma_f32 v[44:45], v[44:45], v[28:29], v[46:47] op_sel_hi:[1,1,0]
	v_mov_b32_e32 v59, v45
	ds_load_2addr_b64 v[44:47], v48 offset0:14 offset1:15
	v_pk_add_f32 v[24:25], v[24:25], v[58:59] neg_lo:[0,1] neg_hi:[0,1]
	s_wait_dscnt 0x0
	v_pk_mul_f32 v[58:59], v[44:45], v[56:57] op_sel:[0,1]
	s_delay_alu instid0(VALU_DEP_1) | instskip(SKIP_1) | instid1(VALU_DEP_1)
	v_pk_fma_f32 v[60:61], v[44:45], v[54:55], v[58:59] op_sel:[0,0,1] op_sel_hi:[1,1,0] neg_lo:[0,0,1] neg_hi:[0,0,1]
	v_pk_fma_f32 v[44:45], v[44:45], v[54:55], v[58:59] op_sel:[0,0,1] op_sel_hi:[1,0,0]
	v_mov_b32_e32 v61, v45
	v_pk_mul_f32 v[44:45], v[46:47], v[56:57] op_sel:[0,1]
	s_delay_alu instid0(VALU_DEP_1) | instskip(SKIP_1) | instid1(VALU_DEP_1)
	v_pk_fma_f32 v[58:59], v[46:47], v[54:55], v[44:45] op_sel:[0,0,1] op_sel_hi:[1,1,0] neg_lo:[0,0,1] neg_hi:[0,0,1]
	v_pk_fma_f32 v[44:45], v[46:47], v[54:55], v[44:45] op_sel:[0,0,1] op_sel_hi:[1,0,0]
	v_mov_b32_e32 v59, v45
	ds_load_2addr_b64 v[44:47], v48 offset0:16 offset1:17
	v_pk_add_f32 v[10:11], v[10:11], v[60:61] neg_lo:[0,1] neg_hi:[0,1]
	v_pk_add_f32 v[8:9], v[8:9], v[58:59] neg_lo:[0,1] neg_hi:[0,1]
	s_wait_dscnt 0x0
	v_pk_mul_f32 v[58:59], v[44:45], v[56:57] op_sel:[0,1]
	s_delay_alu instid0(VALU_DEP_1) | instskip(SKIP_1) | instid1(VALU_DEP_1)
	v_pk_fma_f32 v[60:61], v[44:45], v[54:55], v[58:59] op_sel:[0,0,1] op_sel_hi:[1,1,0] neg_lo:[0,0,1] neg_hi:[0,0,1]
	v_pk_fma_f32 v[44:45], v[44:45], v[54:55], v[58:59] op_sel:[0,0,1] op_sel_hi:[1,0,0]
	v_mov_b32_e32 v61, v45
	v_pk_mul_f32 v[44:45], v[46:47], v[56:57] op_sel:[0,1]
	s_delay_alu instid0(VALU_DEP_1) | instskip(SKIP_1) | instid1(VALU_DEP_1)
	v_pk_fma_f32 v[58:59], v[46:47], v[54:55], v[44:45] op_sel:[0,0,1] op_sel_hi:[1,1,0] neg_lo:[0,0,1] neg_hi:[0,0,1]
	v_pk_fma_f32 v[44:45], v[46:47], v[54:55], v[44:45] op_sel:[0,0,1] op_sel_hi:[1,0,0]
	v_mov_b32_e32 v59, v45
	ds_load_b64 v[44:45], v48 offset:144
	v_pk_add_f32 v[18:19], v[18:19], v[60:61] neg_lo:[0,1] neg_hi:[0,1]
	v_pk_add_f32 v[16:17], v[16:17], v[58:59] neg_lo:[0,1] neg_hi:[0,1]
	s_wait_dscnt 0x0
	v_pk_mul_f32 v[46:47], v[44:45], v[56:57] op_sel:[0,1]
	s_delay_alu instid0(VALU_DEP_1) | instskip(SKIP_1) | instid1(VALU_DEP_1)
	v_pk_fma_f32 v[56:57], v[44:45], v[54:55], v[46:47] op_sel:[0,0,1] op_sel_hi:[1,1,0] neg_lo:[0,0,1] neg_hi:[0,0,1]
	v_pk_fma_f32 v[44:45], v[44:45], v[54:55], v[46:47] op_sel:[0,0,1] op_sel_hi:[1,0,0]
	v_mov_b32_e32 v57, v45
	s_delay_alu instid0(VALU_DEP_1)
	v_pk_add_f32 v[42:43], v[42:43], v[56:57] neg_lo:[0,1] neg_hi:[0,1]
.LBB36_209:
	s_or_b32 exec_lo, exec_lo, s0
	v_lshl_add_u32 v44, v52, 3, v48
	s_barrier_signal -1
	s_barrier_wait -1
	ds_store_b64 v44, v[14:15]
	s_wait_dscnt 0x0
	s_barrier_signal -1
	s_barrier_wait -1
	ds_load_b64 v[44:45], v48 offset:80
	v_mov_b32_e32 v46, 10
	s_cmp_lt_i32 s14, 12
	s_cbranch_scc1 .LBB36_212
; %bb.210:
	v_add3_u32 v47, v49, 0, 0x58
	v_mov_b32_e32 v46, 10
	s_mov_b32 s0, 11
.LBB36_211:                             ; =>This Inner Loop Header: Depth=1
	ds_load_b64 v[54:55], v47
	s_wait_dscnt 0x1
	v_cmp_gt_f32_e32 vcc_lo, 0, v44
	v_cndmask_b32_e64 v56, v44, -v44, vcc_lo
	v_cmp_gt_f32_e32 vcc_lo, 0, v45
	v_cndmask_b32_e64 v58, v45, -v45, vcc_lo
	s_wait_dscnt 0x0
	v_cmp_gt_f32_e32 vcc_lo, 0, v54
	v_cndmask_b32_e64 v57, v54, -v54, vcc_lo
	v_cmp_gt_f32_e32 vcc_lo, 0, v55
	v_cndmask_b32_e64 v59, v55, -v55, vcc_lo
	s_delay_alu instid0(VALU_DEP_1) | instskip(NEXT) | instid1(VALU_DEP_1)
	v_pk_add_f32 v[56:57], v[56:57], v[58:59]
	v_cmp_lt_f32_e32 vcc_lo, v56, v57
	v_dual_cndmask_b32 v44, v44, v54 :: v_dual_add_nc_u32 v47, 8, v47
	v_cndmask_b32_e32 v45, v45, v55, vcc_lo
	v_cndmask_b32_e64 v46, v46, s0, vcc_lo
	s_add_co_i32 s0, s0, 1
	s_delay_alu instid0(SALU_CYCLE_1)
	s_cmp_lg_u32 s14, s0
	s_cbranch_scc1 .LBB36_211
.LBB36_212:
	s_wait_dscnt 0x0
	v_cmp_eq_f32_e32 vcc_lo, 0, v44
	v_cmp_eq_f32_e64 s0, 0, v45
	s_and_b32 s0, vcc_lo, s0
	s_delay_alu instid0(SALU_CYCLE_1) | instskip(NEXT) | instid1(SALU_CYCLE_1)
	s_and_saveexec_b32 s1, s0
	s_xor_b32 s0, exec_lo, s1
; %bb.213:
	v_cmp_ne_u32_e32 vcc_lo, 0, v51
	v_cndmask_b32_e32 v51, 11, v51, vcc_lo
; %bb.214:
	s_and_not1_saveexec_b32 s0, s0
	s_cbranch_execz .LBB36_220
; %bb.215:
	v_cmp_ngt_f32_e64 s1, |v44|, |v45|
	s_and_saveexec_b32 s15, s1
	s_delay_alu instid0(SALU_CYCLE_1)
	s_xor_b32 s1, exec_lo, s15
	s_cbranch_execz .LBB36_217
; %bb.216:
	v_div_scale_f32 v47, null, v45, v45, v44
	v_div_scale_f32 v55, vcc_lo, v44, v45, v44
	s_delay_alu instid0(VALU_DEP_2) | instskip(SKIP_1) | instid1(TRANS32_DEP_1)
	v_rcp_f32_e32 v53, v47
	v_nop
	v_fma_f32 v54, -v47, v53, 1.0
	s_delay_alu instid0(VALU_DEP_1) | instskip(NEXT) | instid1(VALU_DEP_1)
	v_fmac_f32_e32 v53, v54, v53
	v_mul_f32_e32 v54, v55, v53
	s_delay_alu instid0(VALU_DEP_1) | instskip(NEXT) | instid1(VALU_DEP_1)
	v_fma_f32 v56, -v47, v54, v55
	v_fmac_f32_e32 v54, v56, v53
	s_delay_alu instid0(VALU_DEP_1) | instskip(NEXT) | instid1(VALU_DEP_1)
	v_fma_f32 v47, -v47, v54, v55
	v_div_fmas_f32 v47, v47, v53, v54
	s_delay_alu instid0(VALU_DEP_1) | instskip(NEXT) | instid1(VALU_DEP_1)
	v_div_fixup_f32 v47, v47, v45, v44
	v_fmac_f32_e32 v45, v44, v47
	s_delay_alu instid0(VALU_DEP_1) | instskip(SKIP_1) | instid1(VALU_DEP_2)
	v_div_scale_f32 v44, null, v45, v45, 1.0
	v_div_scale_f32 v55, vcc_lo, 1.0, v45, 1.0
	v_rcp_f32_e32 v53, v44
	v_nop
	s_delay_alu instid0(TRANS32_DEP_1) | instskip(NEXT) | instid1(VALU_DEP_1)
	v_fma_f32 v54, -v44, v53, 1.0
	v_fmac_f32_e32 v53, v54, v53
	s_delay_alu instid0(VALU_DEP_1) | instskip(NEXT) | instid1(VALU_DEP_1)
	v_mul_f32_e32 v54, v55, v53
	v_fma_f32 v56, -v44, v54, v55
	s_delay_alu instid0(VALU_DEP_1) | instskip(NEXT) | instid1(VALU_DEP_1)
	v_fmac_f32_e32 v54, v56, v53
	v_fma_f32 v44, -v44, v54, v55
	s_delay_alu instid0(VALU_DEP_1) | instskip(NEXT) | instid1(VALU_DEP_1)
	v_div_fmas_f32 v44, v44, v53, v54
	v_div_fixup_f32 v45, v44, v45, 1.0
	s_delay_alu instid0(VALU_DEP_1)
	v_mul_f32_e32 v44, v47, v45
	v_xor_b32_e32 v45, 0x80000000, v45
.LBB36_217:
	s_and_not1_saveexec_b32 s1, s1
	s_cbranch_execz .LBB36_219
; %bb.218:
	s_delay_alu instid0(VALU_DEP_1) | instskip(SKIP_1) | instid1(VALU_DEP_2)
	v_div_scale_f32 v47, null, v44, v44, v45
	v_div_scale_f32 v55, vcc_lo, v45, v44, v45
	v_rcp_f32_e32 v53, v47
	v_nop
	s_delay_alu instid0(TRANS32_DEP_1) | instskip(NEXT) | instid1(VALU_DEP_1)
	v_fma_f32 v54, -v47, v53, 1.0
	v_fmac_f32_e32 v53, v54, v53
	s_delay_alu instid0(VALU_DEP_1) | instskip(NEXT) | instid1(VALU_DEP_1)
	v_mul_f32_e32 v54, v55, v53
	v_fma_f32 v56, -v47, v54, v55
	s_delay_alu instid0(VALU_DEP_1) | instskip(NEXT) | instid1(VALU_DEP_1)
	v_fmac_f32_e32 v54, v56, v53
	v_fma_f32 v47, -v47, v54, v55
	s_delay_alu instid0(VALU_DEP_1) | instskip(NEXT) | instid1(VALU_DEP_1)
	v_div_fmas_f32 v47, v47, v53, v54
	v_div_fixup_f32 v47, v47, v44, v45
	s_delay_alu instid0(VALU_DEP_1) | instskip(NEXT) | instid1(VALU_DEP_1)
	v_fmac_f32_e32 v44, v45, v47
	v_div_scale_f32 v45, null, v44, v44, 1.0
	s_delay_alu instid0(VALU_DEP_1) | instskip(SKIP_1) | instid1(TRANS32_DEP_1)
	v_rcp_f32_e32 v53, v45
	v_nop
	v_fma_f32 v54, -v45, v53, 1.0
	s_delay_alu instid0(VALU_DEP_1) | instskip(SKIP_1) | instid1(VALU_DEP_1)
	v_fmac_f32_e32 v53, v54, v53
	v_div_scale_f32 v54, vcc_lo, 1.0, v44, 1.0
	v_mul_f32_e32 v55, v54, v53
	s_delay_alu instid0(VALU_DEP_1) | instskip(NEXT) | instid1(VALU_DEP_1)
	v_fma_f32 v56, -v45, v55, v54
	v_fmac_f32_e32 v55, v56, v53
	s_delay_alu instid0(VALU_DEP_1) | instskip(NEXT) | instid1(VALU_DEP_1)
	v_fma_f32 v45, -v45, v55, v54
	v_div_fmas_f32 v45, v45, v53, v55
	s_delay_alu instid0(VALU_DEP_1) | instskip(NEXT) | instid1(VALU_DEP_1)
	v_div_fixup_f32 v44, v45, v44, 1.0
	v_mul_f32_e64 v45, v47, -v44
.LBB36_219:
	s_or_b32 exec_lo, exec_lo, s1
.LBB36_220:
	s_delay_alu instid0(SALU_CYCLE_1) | instskip(NEXT) | instid1(SALU_CYCLE_1)
	s_or_b32 exec_lo, exec_lo, s0
	s_mov_b32 s0, exec_lo
	v_cmpx_ne_u32_e64 v52, v46
	s_xor_b32 s0, exec_lo, s0
	s_cbranch_execz .LBB36_226
; %bb.221:
	s_mov_b32 s1, exec_lo
	v_cmpx_eq_u32_e32 10, v52
	s_cbranch_execz .LBB36_225
; %bb.222:
	v_cmp_ne_u32_e32 vcc_lo, 10, v46
	s_xor_b32 s15, s12, -1
	s_delay_alu instid0(SALU_CYCLE_1) | instskip(NEXT) | instid1(SALU_CYCLE_1)
	s_and_b32 s16, s15, vcc_lo
	s_and_saveexec_b32 s15, s16
	s_cbranch_execz .LBB36_224
; %bb.223:
	v_ashrrev_i32_e32 v47, 31, v46
	s_delay_alu instid0(VALU_DEP_1)
	v_lshl_add_u64 v[52:53], v[46:47], 2, v[32:33]
	s_clause 0x1
	global_load_b32 v47, v[52:53], off
	global_load_b32 v50, v[32:33], off offset:40
	s_wait_loadcnt 0x1
	global_store_b32 v[32:33], v47, off offset:40
	s_wait_loadcnt 0x0
	global_store_b32 v[52:53], v50, off
.LBB36_224:
	s_wait_xcnt 0x0
	s_or_b32 exec_lo, exec_lo, s15
	v_dual_mov_b32 v52, v46 :: v_dual_mov_b32 v50, v46
.LBB36_225:
	s_or_b32 exec_lo, exec_lo, s1
.LBB36_226:
	s_and_not1_saveexec_b32 s0, s0
	s_cbranch_execz .LBB36_228
; %bb.227:
	v_mov_b32_e32 v52, 10
	ds_store_2addr_b64 v48, v[12:13], v[26:27] offset0:11 offset1:12
	ds_store_2addr_b64 v48, v[24:25], v[10:11] offset0:13 offset1:14
	;; [unrolled: 1-line block ×4, first 2 shown]
.LBB36_228:
	s_or_b32 exec_lo, exec_lo, s0
	s_delay_alu instid0(SALU_CYCLE_1)
	s_mov_b32 s0, exec_lo
	s_wait_storecnt_dscnt 0x0
	s_barrier_signal -1
	s_barrier_wait -1
	v_cmpx_lt_i32_e32 10, v52
	s_cbranch_execz .LBB36_230
; %bb.229:
	v_pk_mul_f32 v[46:47], v[44:45], v[14:15] op_sel:[1,1] op_sel_hi:[0,1]
	s_delay_alu instid0(VALU_DEP_1)
	v_pk_fma_f32 v[54:55], v[44:45], v[14:15], v[46:47] op_sel_hi:[1,0,1] neg_lo:[0,0,1] neg_hi:[0,0,1]
	v_pk_fma_f32 v[56:57], v[44:45], v[14:15], v[46:47] op_sel_hi:[1,0,1]
	ds_load_2addr_b64 v[44:47], v48 offset0:11 offset1:12
	v_dual_mov_b32 v14, v54 :: v_dual_mov_b32 v15, v57
	s_wait_dscnt 0x0
	v_pk_mul_f32 v[58:59], v[44:45], v[56:57] op_sel:[0,1]
	s_delay_alu instid0(VALU_DEP_1) | instskip(SKIP_1) | instid1(VALU_DEP_1)
	v_pk_fma_f32 v[60:61], v[44:45], v[54:55], v[58:59] op_sel:[0,0,1] op_sel_hi:[1,1,0] neg_lo:[0,0,1] neg_hi:[0,0,1]
	v_pk_fma_f32 v[44:45], v[44:45], v[54:55], v[58:59] op_sel:[0,0,1] op_sel_hi:[1,0,0]
	v_mov_b32_e32 v61, v45
	v_pk_mul_f32 v[44:45], v[46:47], v[56:57] op_sel:[0,1]
	s_delay_alu instid0(VALU_DEP_1) | instskip(SKIP_1) | instid1(VALU_DEP_1)
	v_pk_fma_f32 v[58:59], v[46:47], v[54:55], v[44:45] op_sel:[0,0,1] op_sel_hi:[1,1,0] neg_lo:[0,0,1] neg_hi:[0,0,1]
	v_pk_fma_f32 v[44:45], v[46:47], v[54:55], v[44:45] op_sel:[0,0,1] op_sel_hi:[1,0,0]
	v_mov_b32_e32 v59, v45
	ds_load_2addr_b64 v[44:47], v48 offset0:13 offset1:14
	v_pk_add_f32 v[12:13], v[12:13], v[60:61] neg_lo:[0,1] neg_hi:[0,1]
	v_pk_add_f32 v[26:27], v[26:27], v[58:59] neg_lo:[0,1] neg_hi:[0,1]
	s_wait_dscnt 0x0
	v_pk_mul_f32 v[58:59], v[44:45], v[56:57] op_sel:[0,1]
	s_delay_alu instid0(VALU_DEP_1) | instskip(SKIP_2) | instid1(VALU_DEP_2)
	v_pk_fma_f32 v[60:61], v[44:45], v[54:55], v[58:59] op_sel:[0,0,1] op_sel_hi:[1,1,0] neg_lo:[0,0,1] neg_hi:[0,0,1]
	v_pk_fma_f32 v[44:45], v[44:45], v[54:55], v[58:59] op_sel:[0,0,1] op_sel_hi:[1,0,0]
	v_dual_mul_f32 v58, v47, v57 :: v_dual_mov_b32 v44, v47
	v_dual_mov_b32 v61, v45 :: v_dual_mov_b32 v45, v46
	s_delay_alu instid0(VALU_DEP_2) | instskip(SKIP_1) | instid1(VALU_DEP_3)
	v_pk_fma_f32 v[58:59], v[46:47], v[14:15], v[58:59] op_sel_hi:[1,1,0] neg_lo:[0,0,1] neg_hi:[0,0,1]
	v_mul_f32_e32 v46, v47, v54
	v_pk_add_f32 v[24:25], v[24:25], v[60:61] neg_lo:[0,1] neg_hi:[0,1]
	s_delay_alu instid0(VALU_DEP_2) | instskip(NEXT) | instid1(VALU_DEP_1)
	v_pk_fma_f32 v[44:45], v[44:45], v[14:15], v[46:47] op_sel_hi:[1,1,0]
	v_mov_b32_e32 v59, v45
	ds_load_2addr_b64 v[44:47], v48 offset0:15 offset1:16
	v_pk_add_f32 v[10:11], v[10:11], v[58:59] neg_lo:[0,1] neg_hi:[0,1]
	s_wait_dscnt 0x0
	v_pk_mul_f32 v[58:59], v[44:45], v[56:57] op_sel:[0,1]
	s_delay_alu instid0(VALU_DEP_1) | instskip(SKIP_1) | instid1(VALU_DEP_1)
	v_pk_fma_f32 v[60:61], v[44:45], v[54:55], v[58:59] op_sel:[0,0,1] op_sel_hi:[1,1,0] neg_lo:[0,0,1] neg_hi:[0,0,1]
	v_pk_fma_f32 v[44:45], v[44:45], v[54:55], v[58:59] op_sel:[0,0,1] op_sel_hi:[1,0,0]
	v_mov_b32_e32 v61, v45
	v_pk_mul_f32 v[44:45], v[46:47], v[56:57] op_sel:[0,1]
	s_delay_alu instid0(VALU_DEP_1) | instskip(SKIP_1) | instid1(VALU_DEP_1)
	v_pk_fma_f32 v[58:59], v[46:47], v[54:55], v[44:45] op_sel:[0,0,1] op_sel_hi:[1,1,0] neg_lo:[0,0,1] neg_hi:[0,0,1]
	v_pk_fma_f32 v[44:45], v[46:47], v[54:55], v[44:45] op_sel:[0,0,1] op_sel_hi:[1,0,0]
	v_mov_b32_e32 v59, v45
	ds_load_2addr_b64 v[44:47], v48 offset0:17 offset1:18
	v_pk_add_f32 v[8:9], v[8:9], v[60:61] neg_lo:[0,1] neg_hi:[0,1]
	v_pk_add_f32 v[18:19], v[18:19], v[58:59] neg_lo:[0,1] neg_hi:[0,1]
	s_wait_dscnt 0x0
	v_pk_mul_f32 v[58:59], v[44:45], v[56:57] op_sel:[0,1]
	s_delay_alu instid0(VALU_DEP_1) | instskip(SKIP_1) | instid1(VALU_DEP_1)
	v_pk_fma_f32 v[60:61], v[44:45], v[54:55], v[58:59] op_sel:[0,0,1] op_sel_hi:[1,1,0] neg_lo:[0,0,1] neg_hi:[0,0,1]
	v_pk_fma_f32 v[44:45], v[44:45], v[54:55], v[58:59] op_sel:[0,0,1] op_sel_hi:[1,0,0]
	v_mov_b32_e32 v61, v45
	v_pk_mul_f32 v[44:45], v[46:47], v[56:57] op_sel:[0,1]
	s_delay_alu instid0(VALU_DEP_1) | instskip(SKIP_1) | instid1(VALU_DEP_1)
	v_pk_fma_f32 v[56:57], v[46:47], v[54:55], v[44:45] op_sel:[0,0,1] op_sel_hi:[1,1,0] neg_lo:[0,0,1] neg_hi:[0,0,1]
	v_pk_fma_f32 v[44:45], v[46:47], v[54:55], v[44:45] op_sel:[0,0,1] op_sel_hi:[1,0,0]
	v_mov_b32_e32 v57, v45
	v_pk_add_f32 v[16:17], v[16:17], v[60:61] neg_lo:[0,1] neg_hi:[0,1]
	s_delay_alu instid0(VALU_DEP_2)
	v_pk_add_f32 v[42:43], v[42:43], v[56:57] neg_lo:[0,1] neg_hi:[0,1]
.LBB36_230:
	s_or_b32 exec_lo, exec_lo, s0
	v_lshl_add_u32 v44, v52, 3, v48
	s_barrier_signal -1
	s_barrier_wait -1
	ds_store_b64 v44, v[12:13]
	s_wait_dscnt 0x0
	s_barrier_signal -1
	s_barrier_wait -1
	ds_load_b64 v[44:45], v48 offset:88
	v_mov_b32_e32 v46, 11
	s_cmp_lt_i32 s14, 13
	s_cbranch_scc1 .LBB36_233
; %bb.231:
	v_add3_u32 v47, v49, 0, 0x60
	v_mov_b32_e32 v46, 11
	s_mov_b32 s0, 12
.LBB36_232:                             ; =>This Inner Loop Header: Depth=1
	ds_load_b64 v[54:55], v47
	s_wait_dscnt 0x1
	v_cmp_gt_f32_e32 vcc_lo, 0, v44
	v_cndmask_b32_e64 v56, v44, -v44, vcc_lo
	v_cmp_gt_f32_e32 vcc_lo, 0, v45
	v_cndmask_b32_e64 v58, v45, -v45, vcc_lo
	s_wait_dscnt 0x0
	v_cmp_gt_f32_e32 vcc_lo, 0, v54
	v_cndmask_b32_e64 v57, v54, -v54, vcc_lo
	v_cmp_gt_f32_e32 vcc_lo, 0, v55
	v_cndmask_b32_e64 v59, v55, -v55, vcc_lo
	s_delay_alu instid0(VALU_DEP_1) | instskip(NEXT) | instid1(VALU_DEP_1)
	v_pk_add_f32 v[56:57], v[56:57], v[58:59]
	v_cmp_lt_f32_e32 vcc_lo, v56, v57
	v_dual_cndmask_b32 v44, v44, v54 :: v_dual_add_nc_u32 v47, 8, v47
	v_cndmask_b32_e32 v45, v45, v55, vcc_lo
	v_cndmask_b32_e64 v46, v46, s0, vcc_lo
	s_add_co_i32 s0, s0, 1
	s_delay_alu instid0(SALU_CYCLE_1)
	s_cmp_lg_u32 s14, s0
	s_cbranch_scc1 .LBB36_232
.LBB36_233:
	s_wait_dscnt 0x0
	v_cmp_eq_f32_e32 vcc_lo, 0, v44
	v_cmp_eq_f32_e64 s0, 0, v45
	s_and_b32 s0, vcc_lo, s0
	s_delay_alu instid0(SALU_CYCLE_1) | instskip(NEXT) | instid1(SALU_CYCLE_1)
	s_and_saveexec_b32 s1, s0
	s_xor_b32 s0, exec_lo, s1
; %bb.234:
	v_cmp_ne_u32_e32 vcc_lo, 0, v51
	v_cndmask_b32_e32 v51, 12, v51, vcc_lo
; %bb.235:
	s_and_not1_saveexec_b32 s0, s0
	s_cbranch_execz .LBB36_241
; %bb.236:
	v_cmp_ngt_f32_e64 s1, |v44|, |v45|
	s_and_saveexec_b32 s15, s1
	s_delay_alu instid0(SALU_CYCLE_1)
	s_xor_b32 s1, exec_lo, s15
	s_cbranch_execz .LBB36_238
; %bb.237:
	v_div_scale_f32 v47, null, v45, v45, v44
	v_div_scale_f32 v55, vcc_lo, v44, v45, v44
	s_delay_alu instid0(VALU_DEP_2) | instskip(SKIP_1) | instid1(TRANS32_DEP_1)
	v_rcp_f32_e32 v53, v47
	v_nop
	v_fma_f32 v54, -v47, v53, 1.0
	s_delay_alu instid0(VALU_DEP_1) | instskip(NEXT) | instid1(VALU_DEP_1)
	v_fmac_f32_e32 v53, v54, v53
	v_mul_f32_e32 v54, v55, v53
	s_delay_alu instid0(VALU_DEP_1) | instskip(NEXT) | instid1(VALU_DEP_1)
	v_fma_f32 v56, -v47, v54, v55
	v_fmac_f32_e32 v54, v56, v53
	s_delay_alu instid0(VALU_DEP_1) | instskip(NEXT) | instid1(VALU_DEP_1)
	v_fma_f32 v47, -v47, v54, v55
	v_div_fmas_f32 v47, v47, v53, v54
	s_delay_alu instid0(VALU_DEP_1) | instskip(NEXT) | instid1(VALU_DEP_1)
	v_div_fixup_f32 v47, v47, v45, v44
	v_fmac_f32_e32 v45, v44, v47
	s_delay_alu instid0(VALU_DEP_1) | instskip(SKIP_1) | instid1(VALU_DEP_2)
	v_div_scale_f32 v44, null, v45, v45, 1.0
	v_div_scale_f32 v55, vcc_lo, 1.0, v45, 1.0
	v_rcp_f32_e32 v53, v44
	v_nop
	s_delay_alu instid0(TRANS32_DEP_1) | instskip(NEXT) | instid1(VALU_DEP_1)
	v_fma_f32 v54, -v44, v53, 1.0
	v_fmac_f32_e32 v53, v54, v53
	s_delay_alu instid0(VALU_DEP_1) | instskip(NEXT) | instid1(VALU_DEP_1)
	v_mul_f32_e32 v54, v55, v53
	v_fma_f32 v56, -v44, v54, v55
	s_delay_alu instid0(VALU_DEP_1) | instskip(NEXT) | instid1(VALU_DEP_1)
	v_fmac_f32_e32 v54, v56, v53
	v_fma_f32 v44, -v44, v54, v55
	s_delay_alu instid0(VALU_DEP_1) | instskip(NEXT) | instid1(VALU_DEP_1)
	v_div_fmas_f32 v44, v44, v53, v54
	v_div_fixup_f32 v45, v44, v45, 1.0
	s_delay_alu instid0(VALU_DEP_1)
	v_mul_f32_e32 v44, v47, v45
	v_xor_b32_e32 v45, 0x80000000, v45
.LBB36_238:
	s_and_not1_saveexec_b32 s1, s1
	s_cbranch_execz .LBB36_240
; %bb.239:
	s_delay_alu instid0(VALU_DEP_1) | instskip(SKIP_1) | instid1(VALU_DEP_2)
	v_div_scale_f32 v47, null, v44, v44, v45
	v_div_scale_f32 v55, vcc_lo, v45, v44, v45
	v_rcp_f32_e32 v53, v47
	v_nop
	s_delay_alu instid0(TRANS32_DEP_1) | instskip(NEXT) | instid1(VALU_DEP_1)
	v_fma_f32 v54, -v47, v53, 1.0
	v_fmac_f32_e32 v53, v54, v53
	s_delay_alu instid0(VALU_DEP_1) | instskip(NEXT) | instid1(VALU_DEP_1)
	v_mul_f32_e32 v54, v55, v53
	v_fma_f32 v56, -v47, v54, v55
	s_delay_alu instid0(VALU_DEP_1) | instskip(NEXT) | instid1(VALU_DEP_1)
	v_fmac_f32_e32 v54, v56, v53
	v_fma_f32 v47, -v47, v54, v55
	s_delay_alu instid0(VALU_DEP_1) | instskip(NEXT) | instid1(VALU_DEP_1)
	v_div_fmas_f32 v47, v47, v53, v54
	v_div_fixup_f32 v47, v47, v44, v45
	s_delay_alu instid0(VALU_DEP_1) | instskip(NEXT) | instid1(VALU_DEP_1)
	v_fmac_f32_e32 v44, v45, v47
	v_div_scale_f32 v45, null, v44, v44, 1.0
	s_delay_alu instid0(VALU_DEP_1) | instskip(SKIP_1) | instid1(TRANS32_DEP_1)
	v_rcp_f32_e32 v53, v45
	v_nop
	v_fma_f32 v54, -v45, v53, 1.0
	s_delay_alu instid0(VALU_DEP_1) | instskip(SKIP_1) | instid1(VALU_DEP_1)
	v_fmac_f32_e32 v53, v54, v53
	v_div_scale_f32 v54, vcc_lo, 1.0, v44, 1.0
	v_mul_f32_e32 v55, v54, v53
	s_delay_alu instid0(VALU_DEP_1) | instskip(NEXT) | instid1(VALU_DEP_1)
	v_fma_f32 v56, -v45, v55, v54
	v_fmac_f32_e32 v55, v56, v53
	s_delay_alu instid0(VALU_DEP_1) | instskip(NEXT) | instid1(VALU_DEP_1)
	v_fma_f32 v45, -v45, v55, v54
	v_div_fmas_f32 v45, v45, v53, v55
	s_delay_alu instid0(VALU_DEP_1) | instskip(NEXT) | instid1(VALU_DEP_1)
	v_div_fixup_f32 v44, v45, v44, 1.0
	v_mul_f32_e64 v45, v47, -v44
.LBB36_240:
	s_or_b32 exec_lo, exec_lo, s1
.LBB36_241:
	s_delay_alu instid0(SALU_CYCLE_1) | instskip(NEXT) | instid1(SALU_CYCLE_1)
	s_or_b32 exec_lo, exec_lo, s0
	s_mov_b32 s0, exec_lo
	v_cmpx_ne_u32_e64 v52, v46
	s_xor_b32 s0, exec_lo, s0
	s_cbranch_execz .LBB36_247
; %bb.242:
	s_mov_b32 s1, exec_lo
	v_cmpx_eq_u32_e32 11, v52
	s_cbranch_execz .LBB36_246
; %bb.243:
	v_cmp_ne_u32_e32 vcc_lo, 11, v46
	s_xor_b32 s15, s12, -1
	s_delay_alu instid0(SALU_CYCLE_1) | instskip(NEXT) | instid1(SALU_CYCLE_1)
	s_and_b32 s16, s15, vcc_lo
	s_and_saveexec_b32 s15, s16
	s_cbranch_execz .LBB36_245
; %bb.244:
	v_ashrrev_i32_e32 v47, 31, v46
	s_delay_alu instid0(VALU_DEP_1)
	v_lshl_add_u64 v[52:53], v[46:47], 2, v[32:33]
	s_clause 0x1
	global_load_b32 v47, v[52:53], off
	global_load_b32 v50, v[32:33], off offset:44
	s_wait_loadcnt 0x1
	global_store_b32 v[32:33], v47, off offset:44
	s_wait_loadcnt 0x0
	global_store_b32 v[52:53], v50, off
.LBB36_245:
	s_wait_xcnt 0x0
	s_or_b32 exec_lo, exec_lo, s15
	v_dual_mov_b32 v52, v46 :: v_dual_mov_b32 v50, v46
.LBB36_246:
	s_or_b32 exec_lo, exec_lo, s1
.LBB36_247:
	s_and_not1_saveexec_b32 s0, s0
	s_cbranch_execz .LBB36_249
; %bb.248:
	v_dual_mov_b32 v46, v26 :: v_dual_mov_b32 v47, v27
	v_dual_mov_b32 v54, v24 :: v_dual_mov_b32 v55, v25
	v_dual_mov_b32 v52, 11 :: v_dual_mov_b32 v56, v10
	v_dual_mov_b32 v57, v11 :: v_dual_mov_b32 v58, v8
	v_dual_mov_b32 v59, v9 :: v_dual_mov_b32 v60, v18
	v_dual_mov_b32 v61, v19 :: v_dual_mov_b32 v62, v16
	v_mov_b32_e32 v63, v17
	ds_store_2addr_b64 v48, v[46:47], v[54:55] offset0:12 offset1:13
	ds_store_2addr_b64 v48, v[56:57], v[58:59] offset0:14 offset1:15
	;; [unrolled: 1-line block ×3, first 2 shown]
	ds_store_b64 v48, v[42:43] offset:144
.LBB36_249:
	s_or_b32 exec_lo, exec_lo, s0
	s_delay_alu instid0(SALU_CYCLE_1)
	s_mov_b32 s0, exec_lo
	s_wait_storecnt_dscnt 0x0
	s_barrier_signal -1
	s_barrier_wait -1
	v_cmpx_lt_i32_e32 11, v52
	s_cbranch_execz .LBB36_251
; %bb.250:
	v_pk_mul_f32 v[46:47], v[44:45], v[12:13] op_sel:[1,1] op_sel_hi:[0,1]
	s_delay_alu instid0(VALU_DEP_1)
	v_pk_fma_f32 v[54:55], v[44:45], v[12:13], v[46:47] op_sel_hi:[1,0,1] neg_lo:[0,0,1] neg_hi:[0,0,1]
	v_pk_fma_f32 v[56:57], v[44:45], v[12:13], v[46:47] op_sel_hi:[1,0,1]
	ds_load_2addr_b64 v[44:47], v48 offset0:12 offset1:13
	v_dual_mov_b32 v12, v54 :: v_dual_mov_b32 v13, v57
	s_wait_dscnt 0x0
	v_pk_mul_f32 v[58:59], v[44:45], v[56:57] op_sel:[0,1]
	s_delay_alu instid0(VALU_DEP_1) | instskip(SKIP_1) | instid1(VALU_DEP_1)
	v_pk_fma_f32 v[60:61], v[44:45], v[54:55], v[58:59] op_sel:[0,0,1] op_sel_hi:[1,1,0] neg_lo:[0,0,1] neg_hi:[0,0,1]
	v_pk_fma_f32 v[44:45], v[44:45], v[54:55], v[58:59] op_sel:[0,0,1] op_sel_hi:[1,0,0]
	v_mov_b32_e32 v61, v45
	v_pk_mul_f32 v[44:45], v[46:47], v[56:57] op_sel:[0,1]
	s_delay_alu instid0(VALU_DEP_1) | instskip(SKIP_1) | instid1(VALU_DEP_1)
	v_pk_fma_f32 v[58:59], v[46:47], v[54:55], v[44:45] op_sel:[0,0,1] op_sel_hi:[1,1,0] neg_lo:[0,0,1] neg_hi:[0,0,1]
	v_pk_fma_f32 v[44:45], v[46:47], v[54:55], v[44:45] op_sel:[0,0,1] op_sel_hi:[1,0,0]
	v_mov_b32_e32 v59, v45
	ds_load_2addr_b64 v[44:47], v48 offset0:14 offset1:15
	v_pk_add_f32 v[26:27], v[26:27], v[60:61] neg_lo:[0,1] neg_hi:[0,1]
	v_pk_add_f32 v[24:25], v[24:25], v[58:59] neg_lo:[0,1] neg_hi:[0,1]
	s_wait_dscnt 0x0
	v_pk_mul_f32 v[58:59], v[44:45], v[56:57] op_sel:[0,1]
	s_delay_alu instid0(VALU_DEP_1) | instskip(SKIP_2) | instid1(VALU_DEP_2)
	v_pk_fma_f32 v[60:61], v[44:45], v[54:55], v[58:59] op_sel:[0,0,1] op_sel_hi:[1,1,0] neg_lo:[0,0,1] neg_hi:[0,0,1]
	v_pk_fma_f32 v[44:45], v[44:45], v[54:55], v[58:59] op_sel:[0,0,1] op_sel_hi:[1,0,0]
	v_dual_mul_f32 v58, v47, v57 :: v_dual_mov_b32 v44, v47
	v_dual_mov_b32 v61, v45 :: v_dual_mov_b32 v45, v46
	s_delay_alu instid0(VALU_DEP_2) | instskip(SKIP_1) | instid1(VALU_DEP_3)
	v_pk_fma_f32 v[58:59], v[46:47], v[12:13], v[58:59] op_sel_hi:[1,1,0] neg_lo:[0,0,1] neg_hi:[0,0,1]
	v_mul_f32_e32 v46, v47, v54
	v_pk_add_f32 v[10:11], v[10:11], v[60:61] neg_lo:[0,1] neg_hi:[0,1]
	s_delay_alu instid0(VALU_DEP_2) | instskip(NEXT) | instid1(VALU_DEP_1)
	v_pk_fma_f32 v[44:45], v[44:45], v[12:13], v[46:47] op_sel_hi:[1,1,0]
	v_mov_b32_e32 v59, v45
	ds_load_2addr_b64 v[44:47], v48 offset0:16 offset1:17
	v_pk_add_f32 v[8:9], v[8:9], v[58:59] neg_lo:[0,1] neg_hi:[0,1]
	s_wait_dscnt 0x0
	v_pk_mul_f32 v[58:59], v[44:45], v[56:57] op_sel:[0,1]
	s_delay_alu instid0(VALU_DEP_1) | instskip(SKIP_1) | instid1(VALU_DEP_1)
	v_pk_fma_f32 v[60:61], v[44:45], v[54:55], v[58:59] op_sel:[0,0,1] op_sel_hi:[1,1,0] neg_lo:[0,0,1] neg_hi:[0,0,1]
	v_pk_fma_f32 v[44:45], v[44:45], v[54:55], v[58:59] op_sel:[0,0,1] op_sel_hi:[1,0,0]
	v_mov_b32_e32 v61, v45
	v_pk_mul_f32 v[44:45], v[46:47], v[56:57] op_sel:[0,1]
	s_delay_alu instid0(VALU_DEP_1) | instskip(SKIP_1) | instid1(VALU_DEP_1)
	v_pk_fma_f32 v[58:59], v[46:47], v[54:55], v[44:45] op_sel:[0,0,1] op_sel_hi:[1,1,0] neg_lo:[0,0,1] neg_hi:[0,0,1]
	v_pk_fma_f32 v[44:45], v[46:47], v[54:55], v[44:45] op_sel:[0,0,1] op_sel_hi:[1,0,0]
	v_mov_b32_e32 v59, v45
	ds_load_b64 v[44:45], v48 offset:144
	v_pk_add_f32 v[18:19], v[18:19], v[60:61] neg_lo:[0,1] neg_hi:[0,1]
	v_pk_add_f32 v[16:17], v[16:17], v[58:59] neg_lo:[0,1] neg_hi:[0,1]
	s_wait_dscnt 0x0
	v_pk_mul_f32 v[46:47], v[44:45], v[56:57] op_sel:[0,1]
	s_delay_alu instid0(VALU_DEP_1) | instskip(SKIP_1) | instid1(VALU_DEP_1)
	v_pk_fma_f32 v[56:57], v[44:45], v[54:55], v[46:47] op_sel:[0,0,1] op_sel_hi:[1,1,0] neg_lo:[0,0,1] neg_hi:[0,0,1]
	v_pk_fma_f32 v[44:45], v[44:45], v[54:55], v[46:47] op_sel:[0,0,1] op_sel_hi:[1,0,0]
	v_mov_b32_e32 v57, v45
	s_delay_alu instid0(VALU_DEP_1)
	v_pk_add_f32 v[42:43], v[42:43], v[56:57] neg_lo:[0,1] neg_hi:[0,1]
.LBB36_251:
	s_or_b32 exec_lo, exec_lo, s0
	v_lshl_add_u32 v44, v52, 3, v48
	s_barrier_signal -1
	s_barrier_wait -1
	ds_store_b64 v44, v[26:27]
	s_wait_dscnt 0x0
	s_barrier_signal -1
	s_barrier_wait -1
	ds_load_b64 v[44:45], v48 offset:96
	v_mov_b32_e32 v46, 12
	s_cmp_lt_i32 s14, 14
	s_cbranch_scc1 .LBB36_254
; %bb.252:
	v_add3_u32 v47, v49, 0, 0x68
	v_mov_b32_e32 v46, 12
	s_mov_b32 s0, 13
.LBB36_253:                             ; =>This Inner Loop Header: Depth=1
	ds_load_b64 v[54:55], v47
	s_wait_dscnt 0x1
	v_cmp_gt_f32_e32 vcc_lo, 0, v44
	v_cndmask_b32_e64 v56, v44, -v44, vcc_lo
	v_cmp_gt_f32_e32 vcc_lo, 0, v45
	v_cndmask_b32_e64 v58, v45, -v45, vcc_lo
	s_wait_dscnt 0x0
	v_cmp_gt_f32_e32 vcc_lo, 0, v54
	v_cndmask_b32_e64 v57, v54, -v54, vcc_lo
	v_cmp_gt_f32_e32 vcc_lo, 0, v55
	v_cndmask_b32_e64 v59, v55, -v55, vcc_lo
	s_delay_alu instid0(VALU_DEP_1) | instskip(NEXT) | instid1(VALU_DEP_1)
	v_pk_add_f32 v[56:57], v[56:57], v[58:59]
	v_cmp_lt_f32_e32 vcc_lo, v56, v57
	v_dual_cndmask_b32 v44, v44, v54 :: v_dual_add_nc_u32 v47, 8, v47
	v_cndmask_b32_e32 v45, v45, v55, vcc_lo
	v_cndmask_b32_e64 v46, v46, s0, vcc_lo
	s_add_co_i32 s0, s0, 1
	s_delay_alu instid0(SALU_CYCLE_1)
	s_cmp_lg_u32 s14, s0
	s_cbranch_scc1 .LBB36_253
.LBB36_254:
	s_wait_dscnt 0x0
	v_cmp_eq_f32_e32 vcc_lo, 0, v44
	v_cmp_eq_f32_e64 s0, 0, v45
	s_and_b32 s0, vcc_lo, s0
	s_delay_alu instid0(SALU_CYCLE_1) | instskip(NEXT) | instid1(SALU_CYCLE_1)
	s_and_saveexec_b32 s1, s0
	s_xor_b32 s0, exec_lo, s1
; %bb.255:
	v_cmp_ne_u32_e32 vcc_lo, 0, v51
	v_cndmask_b32_e32 v51, 13, v51, vcc_lo
; %bb.256:
	s_and_not1_saveexec_b32 s0, s0
	s_cbranch_execz .LBB36_262
; %bb.257:
	v_cmp_ngt_f32_e64 s1, |v44|, |v45|
	s_and_saveexec_b32 s15, s1
	s_delay_alu instid0(SALU_CYCLE_1)
	s_xor_b32 s1, exec_lo, s15
	s_cbranch_execz .LBB36_259
; %bb.258:
	v_div_scale_f32 v47, null, v45, v45, v44
	v_div_scale_f32 v55, vcc_lo, v44, v45, v44
	s_delay_alu instid0(VALU_DEP_2) | instskip(SKIP_1) | instid1(TRANS32_DEP_1)
	v_rcp_f32_e32 v53, v47
	v_nop
	v_fma_f32 v54, -v47, v53, 1.0
	s_delay_alu instid0(VALU_DEP_1) | instskip(NEXT) | instid1(VALU_DEP_1)
	v_fmac_f32_e32 v53, v54, v53
	v_mul_f32_e32 v54, v55, v53
	s_delay_alu instid0(VALU_DEP_1) | instskip(NEXT) | instid1(VALU_DEP_1)
	v_fma_f32 v56, -v47, v54, v55
	v_fmac_f32_e32 v54, v56, v53
	s_delay_alu instid0(VALU_DEP_1) | instskip(NEXT) | instid1(VALU_DEP_1)
	v_fma_f32 v47, -v47, v54, v55
	v_div_fmas_f32 v47, v47, v53, v54
	s_delay_alu instid0(VALU_DEP_1) | instskip(NEXT) | instid1(VALU_DEP_1)
	v_div_fixup_f32 v47, v47, v45, v44
	v_fmac_f32_e32 v45, v44, v47
	s_delay_alu instid0(VALU_DEP_1) | instskip(SKIP_1) | instid1(VALU_DEP_2)
	v_div_scale_f32 v44, null, v45, v45, 1.0
	v_div_scale_f32 v55, vcc_lo, 1.0, v45, 1.0
	v_rcp_f32_e32 v53, v44
	v_nop
	s_delay_alu instid0(TRANS32_DEP_1) | instskip(NEXT) | instid1(VALU_DEP_1)
	v_fma_f32 v54, -v44, v53, 1.0
	v_fmac_f32_e32 v53, v54, v53
	s_delay_alu instid0(VALU_DEP_1) | instskip(NEXT) | instid1(VALU_DEP_1)
	v_mul_f32_e32 v54, v55, v53
	v_fma_f32 v56, -v44, v54, v55
	s_delay_alu instid0(VALU_DEP_1) | instskip(NEXT) | instid1(VALU_DEP_1)
	v_fmac_f32_e32 v54, v56, v53
	v_fma_f32 v44, -v44, v54, v55
	s_delay_alu instid0(VALU_DEP_1) | instskip(NEXT) | instid1(VALU_DEP_1)
	v_div_fmas_f32 v44, v44, v53, v54
	v_div_fixup_f32 v45, v44, v45, 1.0
	s_delay_alu instid0(VALU_DEP_1)
	v_mul_f32_e32 v44, v47, v45
	v_xor_b32_e32 v45, 0x80000000, v45
.LBB36_259:
	s_and_not1_saveexec_b32 s1, s1
	s_cbranch_execz .LBB36_261
; %bb.260:
	s_delay_alu instid0(VALU_DEP_1) | instskip(SKIP_1) | instid1(VALU_DEP_2)
	v_div_scale_f32 v47, null, v44, v44, v45
	v_div_scale_f32 v55, vcc_lo, v45, v44, v45
	v_rcp_f32_e32 v53, v47
	v_nop
	s_delay_alu instid0(TRANS32_DEP_1) | instskip(NEXT) | instid1(VALU_DEP_1)
	v_fma_f32 v54, -v47, v53, 1.0
	v_fmac_f32_e32 v53, v54, v53
	s_delay_alu instid0(VALU_DEP_1) | instskip(NEXT) | instid1(VALU_DEP_1)
	v_mul_f32_e32 v54, v55, v53
	v_fma_f32 v56, -v47, v54, v55
	s_delay_alu instid0(VALU_DEP_1) | instskip(NEXT) | instid1(VALU_DEP_1)
	v_fmac_f32_e32 v54, v56, v53
	v_fma_f32 v47, -v47, v54, v55
	s_delay_alu instid0(VALU_DEP_1) | instskip(NEXT) | instid1(VALU_DEP_1)
	v_div_fmas_f32 v47, v47, v53, v54
	v_div_fixup_f32 v47, v47, v44, v45
	s_delay_alu instid0(VALU_DEP_1) | instskip(NEXT) | instid1(VALU_DEP_1)
	v_fmac_f32_e32 v44, v45, v47
	v_div_scale_f32 v45, null, v44, v44, 1.0
	s_delay_alu instid0(VALU_DEP_1) | instskip(SKIP_1) | instid1(TRANS32_DEP_1)
	v_rcp_f32_e32 v53, v45
	v_nop
	v_fma_f32 v54, -v45, v53, 1.0
	s_delay_alu instid0(VALU_DEP_1) | instskip(SKIP_1) | instid1(VALU_DEP_1)
	v_fmac_f32_e32 v53, v54, v53
	v_div_scale_f32 v54, vcc_lo, 1.0, v44, 1.0
	v_mul_f32_e32 v55, v54, v53
	s_delay_alu instid0(VALU_DEP_1) | instskip(NEXT) | instid1(VALU_DEP_1)
	v_fma_f32 v56, -v45, v55, v54
	v_fmac_f32_e32 v55, v56, v53
	s_delay_alu instid0(VALU_DEP_1) | instskip(NEXT) | instid1(VALU_DEP_1)
	v_fma_f32 v45, -v45, v55, v54
	v_div_fmas_f32 v45, v45, v53, v55
	s_delay_alu instid0(VALU_DEP_1) | instskip(NEXT) | instid1(VALU_DEP_1)
	v_div_fixup_f32 v44, v45, v44, 1.0
	v_mul_f32_e64 v45, v47, -v44
.LBB36_261:
	s_or_b32 exec_lo, exec_lo, s1
.LBB36_262:
	s_delay_alu instid0(SALU_CYCLE_1) | instskip(NEXT) | instid1(SALU_CYCLE_1)
	s_or_b32 exec_lo, exec_lo, s0
	s_mov_b32 s0, exec_lo
	v_cmpx_ne_u32_e64 v52, v46
	s_xor_b32 s0, exec_lo, s0
	s_cbranch_execz .LBB36_268
; %bb.263:
	s_mov_b32 s1, exec_lo
	v_cmpx_eq_u32_e32 12, v52
	s_cbranch_execz .LBB36_267
; %bb.264:
	v_cmp_ne_u32_e32 vcc_lo, 12, v46
	s_xor_b32 s15, s12, -1
	s_delay_alu instid0(SALU_CYCLE_1) | instskip(NEXT) | instid1(SALU_CYCLE_1)
	s_and_b32 s16, s15, vcc_lo
	s_and_saveexec_b32 s15, s16
	s_cbranch_execz .LBB36_266
; %bb.265:
	v_ashrrev_i32_e32 v47, 31, v46
	s_delay_alu instid0(VALU_DEP_1)
	v_lshl_add_u64 v[52:53], v[46:47], 2, v[32:33]
	s_clause 0x1
	global_load_b32 v47, v[52:53], off
	global_load_b32 v50, v[32:33], off offset:48
	s_wait_loadcnt 0x1
	global_store_b32 v[32:33], v47, off offset:48
	s_wait_loadcnt 0x0
	global_store_b32 v[52:53], v50, off
.LBB36_266:
	s_wait_xcnt 0x0
	s_or_b32 exec_lo, exec_lo, s15
	v_dual_mov_b32 v52, v46 :: v_dual_mov_b32 v50, v46
.LBB36_267:
	s_or_b32 exec_lo, exec_lo, s1
.LBB36_268:
	s_and_not1_saveexec_b32 s0, s0
	s_cbranch_execz .LBB36_270
; %bb.269:
	v_mov_b32_e32 v52, 12
	ds_store_2addr_b64 v48, v[24:25], v[10:11] offset0:13 offset1:14
	ds_store_2addr_b64 v48, v[8:9], v[18:19] offset0:15 offset1:16
	;; [unrolled: 1-line block ×3, first 2 shown]
.LBB36_270:
	s_or_b32 exec_lo, exec_lo, s0
	s_delay_alu instid0(SALU_CYCLE_1)
	s_mov_b32 s0, exec_lo
	s_wait_storecnt_dscnt 0x0
	s_barrier_signal -1
	s_barrier_wait -1
	v_cmpx_lt_i32_e32 12, v52
	s_cbranch_execz .LBB36_272
; %bb.271:
	v_pk_mul_f32 v[46:47], v[44:45], v[26:27] op_sel:[1,1] op_sel_hi:[0,1]
	s_delay_alu instid0(VALU_DEP_1)
	v_pk_fma_f32 v[54:55], v[44:45], v[26:27], v[46:47] op_sel_hi:[1,0,1] neg_lo:[0,0,1] neg_hi:[0,0,1]
	v_pk_fma_f32 v[56:57], v[44:45], v[26:27], v[46:47] op_sel_hi:[1,0,1]
	ds_load_2addr_b64 v[44:47], v48 offset0:13 offset1:14
	v_dual_mov_b32 v26, v54 :: v_dual_mov_b32 v27, v57
	s_wait_dscnt 0x0
	v_pk_mul_f32 v[58:59], v[44:45], v[56:57] op_sel:[0,1]
	s_delay_alu instid0(VALU_DEP_1) | instskip(SKIP_1) | instid1(VALU_DEP_1)
	v_pk_fma_f32 v[60:61], v[44:45], v[54:55], v[58:59] op_sel:[0,0,1] op_sel_hi:[1,1,0] neg_lo:[0,0,1] neg_hi:[0,0,1]
	v_pk_fma_f32 v[44:45], v[44:45], v[54:55], v[58:59] op_sel:[0,0,1] op_sel_hi:[1,0,0]
	v_mov_b32_e32 v61, v45
	v_pk_mul_f32 v[44:45], v[46:47], v[56:57] op_sel:[0,1]
	s_delay_alu instid0(VALU_DEP_1) | instskip(SKIP_1) | instid1(VALU_DEP_1)
	v_pk_fma_f32 v[58:59], v[46:47], v[54:55], v[44:45] op_sel:[0,0,1] op_sel_hi:[1,1,0] neg_lo:[0,0,1] neg_hi:[0,0,1]
	v_pk_fma_f32 v[44:45], v[46:47], v[54:55], v[44:45] op_sel:[0,0,1] op_sel_hi:[1,0,0]
	v_mov_b32_e32 v59, v45
	ds_load_2addr_b64 v[44:47], v48 offset0:15 offset1:16
	v_pk_add_f32 v[24:25], v[24:25], v[60:61] neg_lo:[0,1] neg_hi:[0,1]
	v_pk_add_f32 v[10:11], v[10:11], v[58:59] neg_lo:[0,1] neg_hi:[0,1]
	s_wait_dscnt 0x0
	v_pk_mul_f32 v[58:59], v[44:45], v[56:57] op_sel:[0,1]
	s_delay_alu instid0(VALU_DEP_1) | instskip(SKIP_2) | instid1(VALU_DEP_2)
	v_pk_fma_f32 v[60:61], v[44:45], v[54:55], v[58:59] op_sel:[0,0,1] op_sel_hi:[1,1,0] neg_lo:[0,0,1] neg_hi:[0,0,1]
	v_pk_fma_f32 v[44:45], v[44:45], v[54:55], v[58:59] op_sel:[0,0,1] op_sel_hi:[1,0,0]
	v_dual_mul_f32 v58, v47, v57 :: v_dual_mov_b32 v44, v47
	v_dual_mov_b32 v61, v45 :: v_dual_mov_b32 v45, v46
	s_delay_alu instid0(VALU_DEP_2) | instskip(SKIP_1) | instid1(VALU_DEP_3)
	v_pk_fma_f32 v[58:59], v[46:47], v[26:27], v[58:59] op_sel_hi:[1,1,0] neg_lo:[0,0,1] neg_hi:[0,0,1]
	v_mul_f32_e32 v46, v47, v54
	v_pk_add_f32 v[8:9], v[8:9], v[60:61] neg_lo:[0,1] neg_hi:[0,1]
	s_delay_alu instid0(VALU_DEP_2) | instskip(NEXT) | instid1(VALU_DEP_1)
	v_pk_fma_f32 v[44:45], v[44:45], v[26:27], v[46:47] op_sel_hi:[1,1,0]
	v_mov_b32_e32 v59, v45
	ds_load_2addr_b64 v[44:47], v48 offset0:17 offset1:18
	v_pk_add_f32 v[18:19], v[18:19], v[58:59] neg_lo:[0,1] neg_hi:[0,1]
	s_wait_dscnt 0x0
	v_pk_mul_f32 v[58:59], v[44:45], v[56:57] op_sel:[0,1]
	v_mul_f32_e32 v56, v47, v57
	s_delay_alu instid0(VALU_DEP_2) | instskip(SKIP_2) | instid1(VALU_DEP_4)
	v_pk_fma_f32 v[60:61], v[44:45], v[54:55], v[58:59] op_sel:[0,0,1] op_sel_hi:[1,1,0] neg_lo:[0,0,1] neg_hi:[0,0,1]
	v_pk_fma_f32 v[44:45], v[44:45], v[54:55], v[58:59] op_sel:[0,0,1] op_sel_hi:[1,0,0]
	v_mov_b32_e32 v44, v47
	v_pk_fma_f32 v[56:57], v[46:47], v[26:27], v[56:57] op_sel_hi:[1,1,0] neg_lo:[0,0,1] neg_hi:[0,0,1]
	s_delay_alu instid0(VALU_DEP_3) | instskip(SKIP_1) | instid1(VALU_DEP_2)
	v_dual_mov_b32 v61, v45 :: v_dual_mov_b32 v45, v46
	v_mul_f32_e32 v46, v47, v54
	v_pk_add_f32 v[16:17], v[16:17], v[60:61] neg_lo:[0,1] neg_hi:[0,1]
	s_delay_alu instid0(VALU_DEP_2) | instskip(NEXT) | instid1(VALU_DEP_1)
	v_pk_fma_f32 v[44:45], v[44:45], v[26:27], v[46:47] op_sel_hi:[1,1,0]
	v_mov_b32_e32 v57, v45
	s_delay_alu instid0(VALU_DEP_1)
	v_pk_add_f32 v[42:43], v[42:43], v[56:57] neg_lo:[0,1] neg_hi:[0,1]
.LBB36_272:
	s_or_b32 exec_lo, exec_lo, s0
	v_lshl_add_u32 v44, v52, 3, v48
	s_barrier_signal -1
	s_barrier_wait -1
	ds_store_b64 v44, v[24:25]
	s_wait_dscnt 0x0
	s_barrier_signal -1
	s_barrier_wait -1
	ds_load_b64 v[44:45], v48 offset:104
	v_mov_b32_e32 v46, 13
	s_cmp_lt_i32 s14, 15
	s_cbranch_scc1 .LBB36_275
; %bb.273:
	v_add3_u32 v47, v49, 0, 0x70
	v_mov_b32_e32 v46, 13
	s_mov_b32 s0, 14
.LBB36_274:                             ; =>This Inner Loop Header: Depth=1
	ds_load_b64 v[54:55], v47
	s_wait_dscnt 0x1
	v_cmp_gt_f32_e32 vcc_lo, 0, v44
	v_cndmask_b32_e64 v56, v44, -v44, vcc_lo
	v_cmp_gt_f32_e32 vcc_lo, 0, v45
	v_cndmask_b32_e64 v58, v45, -v45, vcc_lo
	s_wait_dscnt 0x0
	v_cmp_gt_f32_e32 vcc_lo, 0, v54
	v_cndmask_b32_e64 v57, v54, -v54, vcc_lo
	v_cmp_gt_f32_e32 vcc_lo, 0, v55
	v_cndmask_b32_e64 v59, v55, -v55, vcc_lo
	s_delay_alu instid0(VALU_DEP_1) | instskip(NEXT) | instid1(VALU_DEP_1)
	v_pk_add_f32 v[56:57], v[56:57], v[58:59]
	v_cmp_lt_f32_e32 vcc_lo, v56, v57
	v_dual_cndmask_b32 v44, v44, v54 :: v_dual_add_nc_u32 v47, 8, v47
	v_cndmask_b32_e32 v45, v45, v55, vcc_lo
	v_cndmask_b32_e64 v46, v46, s0, vcc_lo
	s_add_co_i32 s0, s0, 1
	s_delay_alu instid0(SALU_CYCLE_1)
	s_cmp_lg_u32 s14, s0
	s_cbranch_scc1 .LBB36_274
.LBB36_275:
	s_wait_dscnt 0x0
	v_cmp_eq_f32_e32 vcc_lo, 0, v44
	v_cmp_eq_f32_e64 s0, 0, v45
	s_and_b32 s0, vcc_lo, s0
	s_delay_alu instid0(SALU_CYCLE_1) | instskip(NEXT) | instid1(SALU_CYCLE_1)
	s_and_saveexec_b32 s1, s0
	s_xor_b32 s0, exec_lo, s1
; %bb.276:
	v_cmp_ne_u32_e32 vcc_lo, 0, v51
	v_cndmask_b32_e32 v51, 14, v51, vcc_lo
; %bb.277:
	s_and_not1_saveexec_b32 s0, s0
	s_cbranch_execz .LBB36_283
; %bb.278:
	v_cmp_ngt_f32_e64 s1, |v44|, |v45|
	s_and_saveexec_b32 s15, s1
	s_delay_alu instid0(SALU_CYCLE_1)
	s_xor_b32 s1, exec_lo, s15
	s_cbranch_execz .LBB36_280
; %bb.279:
	v_div_scale_f32 v47, null, v45, v45, v44
	v_div_scale_f32 v55, vcc_lo, v44, v45, v44
	s_delay_alu instid0(VALU_DEP_2) | instskip(SKIP_1) | instid1(TRANS32_DEP_1)
	v_rcp_f32_e32 v53, v47
	v_nop
	v_fma_f32 v54, -v47, v53, 1.0
	s_delay_alu instid0(VALU_DEP_1) | instskip(NEXT) | instid1(VALU_DEP_1)
	v_fmac_f32_e32 v53, v54, v53
	v_mul_f32_e32 v54, v55, v53
	s_delay_alu instid0(VALU_DEP_1) | instskip(NEXT) | instid1(VALU_DEP_1)
	v_fma_f32 v56, -v47, v54, v55
	v_fmac_f32_e32 v54, v56, v53
	s_delay_alu instid0(VALU_DEP_1) | instskip(NEXT) | instid1(VALU_DEP_1)
	v_fma_f32 v47, -v47, v54, v55
	v_div_fmas_f32 v47, v47, v53, v54
	s_delay_alu instid0(VALU_DEP_1) | instskip(NEXT) | instid1(VALU_DEP_1)
	v_div_fixup_f32 v47, v47, v45, v44
	v_fmac_f32_e32 v45, v44, v47
	s_delay_alu instid0(VALU_DEP_1) | instskip(SKIP_1) | instid1(VALU_DEP_2)
	v_div_scale_f32 v44, null, v45, v45, 1.0
	v_div_scale_f32 v55, vcc_lo, 1.0, v45, 1.0
	v_rcp_f32_e32 v53, v44
	v_nop
	s_delay_alu instid0(TRANS32_DEP_1) | instskip(NEXT) | instid1(VALU_DEP_1)
	v_fma_f32 v54, -v44, v53, 1.0
	v_fmac_f32_e32 v53, v54, v53
	s_delay_alu instid0(VALU_DEP_1) | instskip(NEXT) | instid1(VALU_DEP_1)
	v_mul_f32_e32 v54, v55, v53
	v_fma_f32 v56, -v44, v54, v55
	s_delay_alu instid0(VALU_DEP_1) | instskip(NEXT) | instid1(VALU_DEP_1)
	v_fmac_f32_e32 v54, v56, v53
	v_fma_f32 v44, -v44, v54, v55
	s_delay_alu instid0(VALU_DEP_1) | instskip(NEXT) | instid1(VALU_DEP_1)
	v_div_fmas_f32 v44, v44, v53, v54
	v_div_fixup_f32 v45, v44, v45, 1.0
	s_delay_alu instid0(VALU_DEP_1)
	v_mul_f32_e32 v44, v47, v45
	v_xor_b32_e32 v45, 0x80000000, v45
.LBB36_280:
	s_and_not1_saveexec_b32 s1, s1
	s_cbranch_execz .LBB36_282
; %bb.281:
	s_delay_alu instid0(VALU_DEP_1) | instskip(SKIP_1) | instid1(VALU_DEP_2)
	v_div_scale_f32 v47, null, v44, v44, v45
	v_div_scale_f32 v55, vcc_lo, v45, v44, v45
	v_rcp_f32_e32 v53, v47
	v_nop
	s_delay_alu instid0(TRANS32_DEP_1) | instskip(NEXT) | instid1(VALU_DEP_1)
	v_fma_f32 v54, -v47, v53, 1.0
	v_fmac_f32_e32 v53, v54, v53
	s_delay_alu instid0(VALU_DEP_1) | instskip(NEXT) | instid1(VALU_DEP_1)
	v_mul_f32_e32 v54, v55, v53
	v_fma_f32 v56, -v47, v54, v55
	s_delay_alu instid0(VALU_DEP_1) | instskip(NEXT) | instid1(VALU_DEP_1)
	v_fmac_f32_e32 v54, v56, v53
	v_fma_f32 v47, -v47, v54, v55
	s_delay_alu instid0(VALU_DEP_1) | instskip(NEXT) | instid1(VALU_DEP_1)
	v_div_fmas_f32 v47, v47, v53, v54
	v_div_fixup_f32 v47, v47, v44, v45
	s_delay_alu instid0(VALU_DEP_1) | instskip(NEXT) | instid1(VALU_DEP_1)
	v_fmac_f32_e32 v44, v45, v47
	v_div_scale_f32 v45, null, v44, v44, 1.0
	s_delay_alu instid0(VALU_DEP_1) | instskip(SKIP_1) | instid1(TRANS32_DEP_1)
	v_rcp_f32_e32 v53, v45
	v_nop
	v_fma_f32 v54, -v45, v53, 1.0
	s_delay_alu instid0(VALU_DEP_1) | instskip(SKIP_1) | instid1(VALU_DEP_1)
	v_fmac_f32_e32 v53, v54, v53
	v_div_scale_f32 v54, vcc_lo, 1.0, v44, 1.0
	v_mul_f32_e32 v55, v54, v53
	s_delay_alu instid0(VALU_DEP_1) | instskip(NEXT) | instid1(VALU_DEP_1)
	v_fma_f32 v56, -v45, v55, v54
	v_fmac_f32_e32 v55, v56, v53
	s_delay_alu instid0(VALU_DEP_1) | instskip(NEXT) | instid1(VALU_DEP_1)
	v_fma_f32 v45, -v45, v55, v54
	v_div_fmas_f32 v45, v45, v53, v55
	s_delay_alu instid0(VALU_DEP_1) | instskip(NEXT) | instid1(VALU_DEP_1)
	v_div_fixup_f32 v44, v45, v44, 1.0
	v_mul_f32_e64 v45, v47, -v44
.LBB36_282:
	s_or_b32 exec_lo, exec_lo, s1
.LBB36_283:
	s_delay_alu instid0(SALU_CYCLE_1) | instskip(NEXT) | instid1(SALU_CYCLE_1)
	s_or_b32 exec_lo, exec_lo, s0
	s_mov_b32 s0, exec_lo
	v_cmpx_ne_u32_e64 v52, v46
	s_xor_b32 s0, exec_lo, s0
	s_cbranch_execz .LBB36_289
; %bb.284:
	s_mov_b32 s1, exec_lo
	v_cmpx_eq_u32_e32 13, v52
	s_cbranch_execz .LBB36_288
; %bb.285:
	v_cmp_ne_u32_e32 vcc_lo, 13, v46
	s_xor_b32 s15, s12, -1
	s_delay_alu instid0(SALU_CYCLE_1) | instskip(NEXT) | instid1(SALU_CYCLE_1)
	s_and_b32 s16, s15, vcc_lo
	s_and_saveexec_b32 s15, s16
	s_cbranch_execz .LBB36_287
; %bb.286:
	v_ashrrev_i32_e32 v47, 31, v46
	s_delay_alu instid0(VALU_DEP_1)
	v_lshl_add_u64 v[52:53], v[46:47], 2, v[32:33]
	s_clause 0x1
	global_load_b32 v47, v[52:53], off
	global_load_b32 v50, v[32:33], off offset:52
	s_wait_loadcnt 0x1
	global_store_b32 v[32:33], v47, off offset:52
	s_wait_loadcnt 0x0
	global_store_b32 v[52:53], v50, off
.LBB36_287:
	s_wait_xcnt 0x0
	s_or_b32 exec_lo, exec_lo, s15
	v_dual_mov_b32 v52, v46 :: v_dual_mov_b32 v50, v46
.LBB36_288:
	s_or_b32 exec_lo, exec_lo, s1
.LBB36_289:
	s_and_not1_saveexec_b32 s0, s0
	s_cbranch_execz .LBB36_291
; %bb.290:
	v_dual_mov_b32 v46, v10 :: v_dual_mov_b32 v47, v11
	v_dual_mov_b32 v54, v8 :: v_dual_mov_b32 v55, v9
	;; [unrolled: 1-line block ×4, first 2 shown]
	v_mov_b32_e32 v59, v17
	ds_store_2addr_b64 v48, v[46:47], v[54:55] offset0:14 offset1:15
	ds_store_2addr_b64 v48, v[56:57], v[58:59] offset0:16 offset1:17
	ds_store_b64 v48, v[42:43] offset:144
.LBB36_291:
	s_or_b32 exec_lo, exec_lo, s0
	s_delay_alu instid0(SALU_CYCLE_1)
	s_mov_b32 s0, exec_lo
	s_wait_storecnt_dscnt 0x0
	s_barrier_signal -1
	s_barrier_wait -1
	v_cmpx_lt_i32_e32 13, v52
	s_cbranch_execz .LBB36_293
; %bb.292:
	v_pk_mul_f32 v[46:47], v[44:45], v[24:25] op_sel:[1,1] op_sel_hi:[0,1]
	s_delay_alu instid0(VALU_DEP_1)
	v_pk_fma_f32 v[54:55], v[44:45], v[24:25], v[46:47] op_sel_hi:[1,0,1] neg_lo:[0,0,1] neg_hi:[0,0,1]
	v_pk_fma_f32 v[56:57], v[44:45], v[24:25], v[46:47] op_sel_hi:[1,0,1]
	ds_load_2addr_b64 v[44:47], v48 offset0:14 offset1:15
	v_dual_mov_b32 v24, v54 :: v_dual_mov_b32 v25, v57
	s_wait_dscnt 0x0
	v_pk_mul_f32 v[58:59], v[44:45], v[56:57] op_sel:[0,1]
	s_delay_alu instid0(VALU_DEP_1) | instskip(SKIP_1) | instid1(VALU_DEP_1)
	v_pk_fma_f32 v[60:61], v[44:45], v[54:55], v[58:59] op_sel:[0,0,1] op_sel_hi:[1,1,0] neg_lo:[0,0,1] neg_hi:[0,0,1]
	v_pk_fma_f32 v[44:45], v[44:45], v[54:55], v[58:59] op_sel:[0,0,1] op_sel_hi:[1,0,0]
	v_mov_b32_e32 v61, v45
	v_pk_mul_f32 v[44:45], v[46:47], v[56:57] op_sel:[0,1]
	s_delay_alu instid0(VALU_DEP_1) | instskip(SKIP_1) | instid1(VALU_DEP_1)
	v_pk_fma_f32 v[58:59], v[46:47], v[54:55], v[44:45] op_sel:[0,0,1] op_sel_hi:[1,1,0] neg_lo:[0,0,1] neg_hi:[0,0,1]
	v_pk_fma_f32 v[44:45], v[46:47], v[54:55], v[44:45] op_sel:[0,0,1] op_sel_hi:[1,0,0]
	v_mov_b32_e32 v59, v45
	ds_load_2addr_b64 v[44:47], v48 offset0:16 offset1:17
	v_pk_add_f32 v[10:11], v[10:11], v[60:61] neg_lo:[0,1] neg_hi:[0,1]
	v_pk_add_f32 v[8:9], v[8:9], v[58:59] neg_lo:[0,1] neg_hi:[0,1]
	s_wait_dscnt 0x0
	v_pk_mul_f32 v[58:59], v[44:45], v[56:57] op_sel:[0,1]
	s_delay_alu instid0(VALU_DEP_1) | instskip(SKIP_2) | instid1(VALU_DEP_2)
	v_pk_fma_f32 v[60:61], v[44:45], v[54:55], v[58:59] op_sel:[0,0,1] op_sel_hi:[1,1,0] neg_lo:[0,0,1] neg_hi:[0,0,1]
	v_pk_fma_f32 v[44:45], v[44:45], v[54:55], v[58:59] op_sel:[0,0,1] op_sel_hi:[1,0,0]
	v_dual_mul_f32 v58, v47, v57 :: v_dual_mov_b32 v44, v47
	v_dual_mov_b32 v61, v45 :: v_dual_mov_b32 v45, v46
	s_delay_alu instid0(VALU_DEP_2) | instskip(SKIP_1) | instid1(VALU_DEP_3)
	v_pk_fma_f32 v[58:59], v[46:47], v[24:25], v[58:59] op_sel_hi:[1,1,0] neg_lo:[0,0,1] neg_hi:[0,0,1]
	v_mul_f32_e32 v46, v47, v54
	v_pk_add_f32 v[18:19], v[18:19], v[60:61] neg_lo:[0,1] neg_hi:[0,1]
	s_delay_alu instid0(VALU_DEP_2) | instskip(NEXT) | instid1(VALU_DEP_1)
	v_pk_fma_f32 v[44:45], v[44:45], v[24:25], v[46:47] op_sel_hi:[1,1,0]
	v_mov_b32_e32 v59, v45
	ds_load_b64 v[44:45], v48 offset:144
	v_pk_add_f32 v[16:17], v[16:17], v[58:59] neg_lo:[0,1] neg_hi:[0,1]
	s_wait_dscnt 0x0
	v_pk_mul_f32 v[46:47], v[44:45], v[56:57] op_sel:[0,1]
	s_delay_alu instid0(VALU_DEP_1) | instskip(SKIP_1) | instid1(VALU_DEP_1)
	v_pk_fma_f32 v[56:57], v[44:45], v[54:55], v[46:47] op_sel:[0,0,1] op_sel_hi:[1,1,0] neg_lo:[0,0,1] neg_hi:[0,0,1]
	v_pk_fma_f32 v[44:45], v[44:45], v[54:55], v[46:47] op_sel:[0,0,1] op_sel_hi:[1,0,0]
	v_mov_b32_e32 v57, v45
	s_delay_alu instid0(VALU_DEP_1)
	v_pk_add_f32 v[42:43], v[42:43], v[56:57] neg_lo:[0,1] neg_hi:[0,1]
.LBB36_293:
	s_or_b32 exec_lo, exec_lo, s0
	v_lshl_add_u32 v44, v52, 3, v48
	s_barrier_signal -1
	s_barrier_wait -1
	ds_store_b64 v44, v[10:11]
	s_wait_dscnt 0x0
	s_barrier_signal -1
	s_barrier_wait -1
	ds_load_b64 v[44:45], v48 offset:112
	v_mov_b32_e32 v46, 14
	s_cmp_lt_i32 s14, 16
	s_cbranch_scc1 .LBB36_296
; %bb.294:
	v_add3_u32 v47, v49, 0, 0x78
	v_mov_b32_e32 v46, 14
	s_mov_b32 s0, 15
.LBB36_295:                             ; =>This Inner Loop Header: Depth=1
	ds_load_b64 v[54:55], v47
	s_wait_dscnt 0x1
	v_cmp_gt_f32_e32 vcc_lo, 0, v44
	v_cndmask_b32_e64 v56, v44, -v44, vcc_lo
	v_cmp_gt_f32_e32 vcc_lo, 0, v45
	v_cndmask_b32_e64 v58, v45, -v45, vcc_lo
	s_wait_dscnt 0x0
	v_cmp_gt_f32_e32 vcc_lo, 0, v54
	v_cndmask_b32_e64 v57, v54, -v54, vcc_lo
	v_cmp_gt_f32_e32 vcc_lo, 0, v55
	v_cndmask_b32_e64 v59, v55, -v55, vcc_lo
	s_delay_alu instid0(VALU_DEP_1) | instskip(NEXT) | instid1(VALU_DEP_1)
	v_pk_add_f32 v[56:57], v[56:57], v[58:59]
	v_cmp_lt_f32_e32 vcc_lo, v56, v57
	v_dual_cndmask_b32 v44, v44, v54 :: v_dual_add_nc_u32 v47, 8, v47
	v_cndmask_b32_e32 v45, v45, v55, vcc_lo
	v_cndmask_b32_e64 v46, v46, s0, vcc_lo
	s_add_co_i32 s0, s0, 1
	s_delay_alu instid0(SALU_CYCLE_1)
	s_cmp_lg_u32 s14, s0
	s_cbranch_scc1 .LBB36_295
.LBB36_296:
	s_wait_dscnt 0x0
	v_cmp_eq_f32_e32 vcc_lo, 0, v44
	v_cmp_eq_f32_e64 s0, 0, v45
	s_and_b32 s0, vcc_lo, s0
	s_delay_alu instid0(SALU_CYCLE_1) | instskip(NEXT) | instid1(SALU_CYCLE_1)
	s_and_saveexec_b32 s1, s0
	s_xor_b32 s0, exec_lo, s1
; %bb.297:
	v_cmp_ne_u32_e32 vcc_lo, 0, v51
	v_cndmask_b32_e32 v51, 15, v51, vcc_lo
; %bb.298:
	s_and_not1_saveexec_b32 s0, s0
	s_cbranch_execz .LBB36_304
; %bb.299:
	v_cmp_ngt_f32_e64 s1, |v44|, |v45|
	s_and_saveexec_b32 s15, s1
	s_delay_alu instid0(SALU_CYCLE_1)
	s_xor_b32 s1, exec_lo, s15
	s_cbranch_execz .LBB36_301
; %bb.300:
	v_div_scale_f32 v47, null, v45, v45, v44
	v_div_scale_f32 v55, vcc_lo, v44, v45, v44
	s_delay_alu instid0(VALU_DEP_2) | instskip(SKIP_1) | instid1(TRANS32_DEP_1)
	v_rcp_f32_e32 v53, v47
	v_nop
	v_fma_f32 v54, -v47, v53, 1.0
	s_delay_alu instid0(VALU_DEP_1) | instskip(NEXT) | instid1(VALU_DEP_1)
	v_fmac_f32_e32 v53, v54, v53
	v_mul_f32_e32 v54, v55, v53
	s_delay_alu instid0(VALU_DEP_1) | instskip(NEXT) | instid1(VALU_DEP_1)
	v_fma_f32 v56, -v47, v54, v55
	v_fmac_f32_e32 v54, v56, v53
	s_delay_alu instid0(VALU_DEP_1) | instskip(NEXT) | instid1(VALU_DEP_1)
	v_fma_f32 v47, -v47, v54, v55
	v_div_fmas_f32 v47, v47, v53, v54
	s_delay_alu instid0(VALU_DEP_1) | instskip(NEXT) | instid1(VALU_DEP_1)
	v_div_fixup_f32 v47, v47, v45, v44
	v_fmac_f32_e32 v45, v44, v47
	s_delay_alu instid0(VALU_DEP_1) | instskip(SKIP_1) | instid1(VALU_DEP_2)
	v_div_scale_f32 v44, null, v45, v45, 1.0
	v_div_scale_f32 v55, vcc_lo, 1.0, v45, 1.0
	v_rcp_f32_e32 v53, v44
	v_nop
	s_delay_alu instid0(TRANS32_DEP_1) | instskip(NEXT) | instid1(VALU_DEP_1)
	v_fma_f32 v54, -v44, v53, 1.0
	v_fmac_f32_e32 v53, v54, v53
	s_delay_alu instid0(VALU_DEP_1) | instskip(NEXT) | instid1(VALU_DEP_1)
	v_mul_f32_e32 v54, v55, v53
	v_fma_f32 v56, -v44, v54, v55
	s_delay_alu instid0(VALU_DEP_1) | instskip(NEXT) | instid1(VALU_DEP_1)
	v_fmac_f32_e32 v54, v56, v53
	v_fma_f32 v44, -v44, v54, v55
	s_delay_alu instid0(VALU_DEP_1) | instskip(NEXT) | instid1(VALU_DEP_1)
	v_div_fmas_f32 v44, v44, v53, v54
	v_div_fixup_f32 v45, v44, v45, 1.0
	s_delay_alu instid0(VALU_DEP_1)
	v_mul_f32_e32 v44, v47, v45
	v_xor_b32_e32 v45, 0x80000000, v45
.LBB36_301:
	s_and_not1_saveexec_b32 s1, s1
	s_cbranch_execz .LBB36_303
; %bb.302:
	s_delay_alu instid0(VALU_DEP_1) | instskip(SKIP_1) | instid1(VALU_DEP_2)
	v_div_scale_f32 v47, null, v44, v44, v45
	v_div_scale_f32 v55, vcc_lo, v45, v44, v45
	v_rcp_f32_e32 v53, v47
	v_nop
	s_delay_alu instid0(TRANS32_DEP_1) | instskip(NEXT) | instid1(VALU_DEP_1)
	v_fma_f32 v54, -v47, v53, 1.0
	v_fmac_f32_e32 v53, v54, v53
	s_delay_alu instid0(VALU_DEP_1) | instskip(NEXT) | instid1(VALU_DEP_1)
	v_mul_f32_e32 v54, v55, v53
	v_fma_f32 v56, -v47, v54, v55
	s_delay_alu instid0(VALU_DEP_1) | instskip(NEXT) | instid1(VALU_DEP_1)
	v_fmac_f32_e32 v54, v56, v53
	v_fma_f32 v47, -v47, v54, v55
	s_delay_alu instid0(VALU_DEP_1) | instskip(NEXT) | instid1(VALU_DEP_1)
	v_div_fmas_f32 v47, v47, v53, v54
	v_div_fixup_f32 v47, v47, v44, v45
	s_delay_alu instid0(VALU_DEP_1) | instskip(NEXT) | instid1(VALU_DEP_1)
	v_fmac_f32_e32 v44, v45, v47
	v_div_scale_f32 v45, null, v44, v44, 1.0
	s_delay_alu instid0(VALU_DEP_1) | instskip(SKIP_1) | instid1(TRANS32_DEP_1)
	v_rcp_f32_e32 v53, v45
	v_nop
	v_fma_f32 v54, -v45, v53, 1.0
	s_delay_alu instid0(VALU_DEP_1) | instskip(SKIP_1) | instid1(VALU_DEP_1)
	v_fmac_f32_e32 v53, v54, v53
	v_div_scale_f32 v54, vcc_lo, 1.0, v44, 1.0
	v_mul_f32_e32 v55, v54, v53
	s_delay_alu instid0(VALU_DEP_1) | instskip(NEXT) | instid1(VALU_DEP_1)
	v_fma_f32 v56, -v45, v55, v54
	v_fmac_f32_e32 v55, v56, v53
	s_delay_alu instid0(VALU_DEP_1) | instskip(NEXT) | instid1(VALU_DEP_1)
	v_fma_f32 v45, -v45, v55, v54
	v_div_fmas_f32 v45, v45, v53, v55
	s_delay_alu instid0(VALU_DEP_1) | instskip(NEXT) | instid1(VALU_DEP_1)
	v_div_fixup_f32 v44, v45, v44, 1.0
	v_mul_f32_e64 v45, v47, -v44
.LBB36_303:
	s_or_b32 exec_lo, exec_lo, s1
.LBB36_304:
	s_delay_alu instid0(SALU_CYCLE_1) | instskip(NEXT) | instid1(SALU_CYCLE_1)
	s_or_b32 exec_lo, exec_lo, s0
	s_mov_b32 s0, exec_lo
	v_cmpx_ne_u32_e64 v52, v46
	s_xor_b32 s0, exec_lo, s0
	s_cbranch_execz .LBB36_310
; %bb.305:
	s_mov_b32 s1, exec_lo
	v_cmpx_eq_u32_e32 14, v52
	s_cbranch_execz .LBB36_309
; %bb.306:
	v_cmp_ne_u32_e32 vcc_lo, 14, v46
	s_xor_b32 s15, s12, -1
	s_delay_alu instid0(SALU_CYCLE_1) | instskip(NEXT) | instid1(SALU_CYCLE_1)
	s_and_b32 s16, s15, vcc_lo
	s_and_saveexec_b32 s15, s16
	s_cbranch_execz .LBB36_308
; %bb.307:
	v_ashrrev_i32_e32 v47, 31, v46
	s_delay_alu instid0(VALU_DEP_1)
	v_lshl_add_u64 v[52:53], v[46:47], 2, v[32:33]
	s_clause 0x1
	global_load_b32 v47, v[52:53], off
	global_load_b32 v50, v[32:33], off offset:56
	s_wait_loadcnt 0x1
	global_store_b32 v[32:33], v47, off offset:56
	s_wait_loadcnt 0x0
	global_store_b32 v[52:53], v50, off
.LBB36_308:
	s_wait_xcnt 0x0
	s_or_b32 exec_lo, exec_lo, s15
	v_dual_mov_b32 v52, v46 :: v_dual_mov_b32 v50, v46
.LBB36_309:
	s_or_b32 exec_lo, exec_lo, s1
.LBB36_310:
	s_and_not1_saveexec_b32 s0, s0
	s_cbranch_execz .LBB36_312
; %bb.311:
	v_mov_b32_e32 v52, 14
	ds_store_2addr_b64 v48, v[8:9], v[18:19] offset0:15 offset1:16
	ds_store_2addr_b64 v48, v[16:17], v[42:43] offset0:17 offset1:18
.LBB36_312:
	s_or_b32 exec_lo, exec_lo, s0
	s_delay_alu instid0(SALU_CYCLE_1)
	s_mov_b32 s0, exec_lo
	s_wait_storecnt_dscnt 0x0
	s_barrier_signal -1
	s_barrier_wait -1
	v_cmpx_lt_i32_e32 14, v52
	s_cbranch_execz .LBB36_314
; %bb.313:
	v_pk_mul_f32 v[46:47], v[44:45], v[10:11] op_sel:[1,1] op_sel_hi:[0,1]
	s_delay_alu instid0(VALU_DEP_1)
	v_pk_fma_f32 v[54:55], v[44:45], v[10:11], v[46:47] op_sel_hi:[1,0,1] neg_lo:[0,0,1] neg_hi:[0,0,1]
	v_pk_fma_f32 v[56:57], v[44:45], v[10:11], v[46:47] op_sel_hi:[1,0,1]
	ds_load_2addr_b64 v[44:47], v48 offset0:15 offset1:16
	v_dual_mov_b32 v10, v54 :: v_dual_mov_b32 v11, v57
	s_wait_dscnt 0x0
	v_pk_mul_f32 v[58:59], v[44:45], v[56:57] op_sel:[0,1]
	s_delay_alu instid0(VALU_DEP_1) | instskip(SKIP_1) | instid1(VALU_DEP_1)
	v_pk_fma_f32 v[60:61], v[44:45], v[54:55], v[58:59] op_sel:[0,0,1] op_sel_hi:[1,1,0] neg_lo:[0,0,1] neg_hi:[0,0,1]
	v_pk_fma_f32 v[44:45], v[44:45], v[54:55], v[58:59] op_sel:[0,0,1] op_sel_hi:[1,0,0]
	v_mov_b32_e32 v61, v45
	v_pk_mul_f32 v[44:45], v[46:47], v[56:57] op_sel:[0,1]
	s_delay_alu instid0(VALU_DEP_1) | instskip(SKIP_1) | instid1(VALU_DEP_1)
	v_pk_fma_f32 v[58:59], v[46:47], v[54:55], v[44:45] op_sel:[0,0,1] op_sel_hi:[1,1,0] neg_lo:[0,0,1] neg_hi:[0,0,1]
	v_pk_fma_f32 v[44:45], v[46:47], v[54:55], v[44:45] op_sel:[0,0,1] op_sel_hi:[1,0,0]
	v_mov_b32_e32 v59, v45
	ds_load_2addr_b64 v[44:47], v48 offset0:17 offset1:18
	v_pk_add_f32 v[8:9], v[8:9], v[60:61] neg_lo:[0,1] neg_hi:[0,1]
	v_pk_add_f32 v[18:19], v[18:19], v[58:59] neg_lo:[0,1] neg_hi:[0,1]
	s_wait_dscnt 0x0
	v_pk_mul_f32 v[58:59], v[44:45], v[56:57] op_sel:[0,1]
	s_delay_alu instid0(VALU_DEP_1) | instskip(SKIP_1) | instid1(VALU_DEP_1)
	v_pk_fma_f32 v[60:61], v[44:45], v[54:55], v[58:59] op_sel:[0,0,1] op_sel_hi:[1,1,0] neg_lo:[0,0,1] neg_hi:[0,0,1]
	v_pk_fma_f32 v[44:45], v[44:45], v[54:55], v[58:59] op_sel:[0,0,1] op_sel_hi:[1,0,0]
	v_dual_mov_b32 v44, v47 :: v_dual_mov_b32 v61, v45
	v_mov_b32_e32 v45, v46
	s_delay_alu instid0(VALU_DEP_2) | instskip(NEXT) | instid1(VALU_DEP_2)
	v_pk_add_f32 v[16:17], v[16:17], v[60:61] neg_lo:[0,1] neg_hi:[0,1]
	v_pk_mul_f32 v[44:45], v[44:45], v[56:57] op_sel:[0,1]
	s_delay_alu instid0(VALU_DEP_1) | instskip(SKIP_1) | instid1(VALU_DEP_1)
	v_pk_fma_f32 v[56:57], v[46:47], v[54:55], v[44:45] neg_lo:[0,0,1] neg_hi:[0,0,1]
	v_pk_fma_f32 v[44:45], v[46:47], v[54:55], v[44:45] op_sel_hi:[1,0,1]
	v_mov_b32_e32 v57, v45
	s_delay_alu instid0(VALU_DEP_1)
	v_pk_add_f32 v[42:43], v[42:43], v[56:57] neg_lo:[0,1] neg_hi:[0,1]
.LBB36_314:
	s_or_b32 exec_lo, exec_lo, s0
	v_lshl_add_u32 v44, v52, 3, v48
	s_barrier_signal -1
	s_barrier_wait -1
	ds_store_b64 v44, v[8:9]
	s_wait_dscnt 0x0
	s_barrier_signal -1
	s_barrier_wait -1
	ds_load_b64 v[44:45], v48 offset:120
	v_mov_b32_e32 v46, 15
	s_cmp_lt_i32 s14, 17
	s_cbranch_scc1 .LBB36_317
; %bb.315:
	v_add3_u32 v47, v49, 0, 0x80
	v_mov_b32_e32 v46, 15
	s_mov_b32 s0, 16
.LBB36_316:                             ; =>This Inner Loop Header: Depth=1
	ds_load_b64 v[54:55], v47
	s_wait_dscnt 0x1
	v_cmp_gt_f32_e32 vcc_lo, 0, v44
	v_cndmask_b32_e64 v56, v44, -v44, vcc_lo
	v_cmp_gt_f32_e32 vcc_lo, 0, v45
	v_cndmask_b32_e64 v58, v45, -v45, vcc_lo
	s_wait_dscnt 0x0
	v_cmp_gt_f32_e32 vcc_lo, 0, v54
	v_cndmask_b32_e64 v57, v54, -v54, vcc_lo
	v_cmp_gt_f32_e32 vcc_lo, 0, v55
	v_cndmask_b32_e64 v59, v55, -v55, vcc_lo
	s_delay_alu instid0(VALU_DEP_1) | instskip(NEXT) | instid1(VALU_DEP_1)
	v_pk_add_f32 v[56:57], v[56:57], v[58:59]
	v_cmp_lt_f32_e32 vcc_lo, v56, v57
	v_dual_cndmask_b32 v44, v44, v54 :: v_dual_add_nc_u32 v47, 8, v47
	v_cndmask_b32_e32 v45, v45, v55, vcc_lo
	v_cndmask_b32_e64 v46, v46, s0, vcc_lo
	s_add_co_i32 s0, s0, 1
	s_delay_alu instid0(SALU_CYCLE_1)
	s_cmp_lg_u32 s14, s0
	s_cbranch_scc1 .LBB36_316
.LBB36_317:
	s_wait_dscnt 0x0
	v_cmp_eq_f32_e32 vcc_lo, 0, v44
	v_cmp_eq_f32_e64 s0, 0, v45
	s_and_b32 s0, vcc_lo, s0
	s_delay_alu instid0(SALU_CYCLE_1) | instskip(NEXT) | instid1(SALU_CYCLE_1)
	s_and_saveexec_b32 s1, s0
	s_xor_b32 s0, exec_lo, s1
; %bb.318:
	v_cmp_ne_u32_e32 vcc_lo, 0, v51
	v_cndmask_b32_e32 v51, 16, v51, vcc_lo
; %bb.319:
	s_and_not1_saveexec_b32 s0, s0
	s_cbranch_execz .LBB36_325
; %bb.320:
	v_cmp_ngt_f32_e64 s1, |v44|, |v45|
	s_and_saveexec_b32 s15, s1
	s_delay_alu instid0(SALU_CYCLE_1)
	s_xor_b32 s1, exec_lo, s15
	s_cbranch_execz .LBB36_322
; %bb.321:
	v_div_scale_f32 v47, null, v45, v45, v44
	v_div_scale_f32 v55, vcc_lo, v44, v45, v44
	s_delay_alu instid0(VALU_DEP_2) | instskip(SKIP_1) | instid1(TRANS32_DEP_1)
	v_rcp_f32_e32 v53, v47
	v_nop
	v_fma_f32 v54, -v47, v53, 1.0
	s_delay_alu instid0(VALU_DEP_1) | instskip(NEXT) | instid1(VALU_DEP_1)
	v_fmac_f32_e32 v53, v54, v53
	v_mul_f32_e32 v54, v55, v53
	s_delay_alu instid0(VALU_DEP_1) | instskip(NEXT) | instid1(VALU_DEP_1)
	v_fma_f32 v56, -v47, v54, v55
	v_fmac_f32_e32 v54, v56, v53
	s_delay_alu instid0(VALU_DEP_1) | instskip(NEXT) | instid1(VALU_DEP_1)
	v_fma_f32 v47, -v47, v54, v55
	v_div_fmas_f32 v47, v47, v53, v54
	s_delay_alu instid0(VALU_DEP_1) | instskip(NEXT) | instid1(VALU_DEP_1)
	v_div_fixup_f32 v47, v47, v45, v44
	v_fmac_f32_e32 v45, v44, v47
	s_delay_alu instid0(VALU_DEP_1) | instskip(SKIP_1) | instid1(VALU_DEP_2)
	v_div_scale_f32 v44, null, v45, v45, 1.0
	v_div_scale_f32 v55, vcc_lo, 1.0, v45, 1.0
	v_rcp_f32_e32 v53, v44
	v_nop
	s_delay_alu instid0(TRANS32_DEP_1) | instskip(NEXT) | instid1(VALU_DEP_1)
	v_fma_f32 v54, -v44, v53, 1.0
	v_fmac_f32_e32 v53, v54, v53
	s_delay_alu instid0(VALU_DEP_1) | instskip(NEXT) | instid1(VALU_DEP_1)
	v_mul_f32_e32 v54, v55, v53
	v_fma_f32 v56, -v44, v54, v55
	s_delay_alu instid0(VALU_DEP_1) | instskip(NEXT) | instid1(VALU_DEP_1)
	v_fmac_f32_e32 v54, v56, v53
	v_fma_f32 v44, -v44, v54, v55
	s_delay_alu instid0(VALU_DEP_1) | instskip(NEXT) | instid1(VALU_DEP_1)
	v_div_fmas_f32 v44, v44, v53, v54
	v_div_fixup_f32 v45, v44, v45, 1.0
	s_delay_alu instid0(VALU_DEP_1)
	v_mul_f32_e32 v44, v47, v45
	v_xor_b32_e32 v45, 0x80000000, v45
.LBB36_322:
	s_and_not1_saveexec_b32 s1, s1
	s_cbranch_execz .LBB36_324
; %bb.323:
	s_delay_alu instid0(VALU_DEP_1) | instskip(SKIP_1) | instid1(VALU_DEP_2)
	v_div_scale_f32 v47, null, v44, v44, v45
	v_div_scale_f32 v55, vcc_lo, v45, v44, v45
	v_rcp_f32_e32 v53, v47
	v_nop
	s_delay_alu instid0(TRANS32_DEP_1) | instskip(NEXT) | instid1(VALU_DEP_1)
	v_fma_f32 v54, -v47, v53, 1.0
	v_fmac_f32_e32 v53, v54, v53
	s_delay_alu instid0(VALU_DEP_1) | instskip(NEXT) | instid1(VALU_DEP_1)
	v_mul_f32_e32 v54, v55, v53
	v_fma_f32 v56, -v47, v54, v55
	s_delay_alu instid0(VALU_DEP_1) | instskip(NEXT) | instid1(VALU_DEP_1)
	v_fmac_f32_e32 v54, v56, v53
	v_fma_f32 v47, -v47, v54, v55
	s_delay_alu instid0(VALU_DEP_1) | instskip(NEXT) | instid1(VALU_DEP_1)
	v_div_fmas_f32 v47, v47, v53, v54
	v_div_fixup_f32 v47, v47, v44, v45
	s_delay_alu instid0(VALU_DEP_1) | instskip(NEXT) | instid1(VALU_DEP_1)
	v_fmac_f32_e32 v44, v45, v47
	v_div_scale_f32 v45, null, v44, v44, 1.0
	s_delay_alu instid0(VALU_DEP_1) | instskip(SKIP_1) | instid1(TRANS32_DEP_1)
	v_rcp_f32_e32 v53, v45
	v_nop
	v_fma_f32 v54, -v45, v53, 1.0
	s_delay_alu instid0(VALU_DEP_1) | instskip(SKIP_1) | instid1(VALU_DEP_1)
	v_fmac_f32_e32 v53, v54, v53
	v_div_scale_f32 v54, vcc_lo, 1.0, v44, 1.0
	v_mul_f32_e32 v55, v54, v53
	s_delay_alu instid0(VALU_DEP_1) | instskip(NEXT) | instid1(VALU_DEP_1)
	v_fma_f32 v56, -v45, v55, v54
	v_fmac_f32_e32 v55, v56, v53
	s_delay_alu instid0(VALU_DEP_1) | instskip(NEXT) | instid1(VALU_DEP_1)
	v_fma_f32 v45, -v45, v55, v54
	v_div_fmas_f32 v45, v45, v53, v55
	s_delay_alu instid0(VALU_DEP_1) | instskip(NEXT) | instid1(VALU_DEP_1)
	v_div_fixup_f32 v44, v45, v44, 1.0
	v_mul_f32_e64 v45, v47, -v44
.LBB36_324:
	s_or_b32 exec_lo, exec_lo, s1
.LBB36_325:
	s_delay_alu instid0(SALU_CYCLE_1) | instskip(NEXT) | instid1(SALU_CYCLE_1)
	s_or_b32 exec_lo, exec_lo, s0
	s_mov_b32 s0, exec_lo
	v_cmpx_ne_u32_e64 v52, v46
	s_xor_b32 s0, exec_lo, s0
	s_cbranch_execz .LBB36_331
; %bb.326:
	s_mov_b32 s1, exec_lo
	v_cmpx_eq_u32_e32 15, v52
	s_cbranch_execz .LBB36_330
; %bb.327:
	v_cmp_ne_u32_e32 vcc_lo, 15, v46
	s_xor_b32 s15, s12, -1
	s_delay_alu instid0(SALU_CYCLE_1) | instskip(NEXT) | instid1(SALU_CYCLE_1)
	s_and_b32 s16, s15, vcc_lo
	s_and_saveexec_b32 s15, s16
	s_cbranch_execz .LBB36_329
; %bb.328:
	v_ashrrev_i32_e32 v47, 31, v46
	s_delay_alu instid0(VALU_DEP_1)
	v_lshl_add_u64 v[52:53], v[46:47], 2, v[32:33]
	s_clause 0x1
	global_load_b32 v47, v[52:53], off
	global_load_b32 v50, v[32:33], off offset:60
	s_wait_loadcnt 0x1
	global_store_b32 v[32:33], v47, off offset:60
	s_wait_loadcnt 0x0
	global_store_b32 v[52:53], v50, off
.LBB36_329:
	s_wait_xcnt 0x0
	s_or_b32 exec_lo, exec_lo, s15
	v_dual_mov_b32 v52, v46 :: v_dual_mov_b32 v50, v46
.LBB36_330:
	s_or_b32 exec_lo, exec_lo, s1
.LBB36_331:
	s_and_not1_saveexec_b32 s0, s0
	s_cbranch_execz .LBB36_333
; %bb.332:
	v_dual_mov_b32 v46, v18 :: v_dual_mov_b32 v47, v19
	v_dual_mov_b32 v54, v16 :: v_dual_mov_b32 v55, v17
	v_mov_b32_e32 v52, 15
	ds_store_2addr_b64 v48, v[46:47], v[54:55] offset0:16 offset1:17
	ds_store_b64 v48, v[42:43] offset:144
.LBB36_333:
	s_or_b32 exec_lo, exec_lo, s0
	s_delay_alu instid0(SALU_CYCLE_1)
	s_mov_b32 s0, exec_lo
	s_wait_storecnt_dscnt 0x0
	s_barrier_signal -1
	s_barrier_wait -1
	v_cmpx_lt_i32_e32 15, v52
	s_cbranch_execz .LBB36_335
; %bb.334:
	v_pk_mul_f32 v[46:47], v[44:45], v[8:9] op_sel:[1,1] op_sel_hi:[0,1]
	s_delay_alu instid0(VALU_DEP_1)
	v_pk_fma_f32 v[54:55], v[44:45], v[8:9], v[46:47] op_sel_hi:[1,0,1] neg_lo:[0,0,1] neg_hi:[0,0,1]
	v_pk_fma_f32 v[56:57], v[44:45], v[8:9], v[46:47] op_sel_hi:[1,0,1]
	ds_load_2addr_b64 v[44:47], v48 offset0:16 offset1:17
	v_dual_mov_b32 v8, v54 :: v_dual_mov_b32 v9, v57
	s_wait_dscnt 0x0
	v_pk_mul_f32 v[58:59], v[44:45], v[56:57] op_sel:[0,1]
	s_delay_alu instid0(VALU_DEP_1) | instskip(SKIP_1) | instid1(VALU_DEP_1)
	v_pk_fma_f32 v[60:61], v[44:45], v[54:55], v[58:59] op_sel:[0,0,1] op_sel_hi:[1,1,0] neg_lo:[0,0,1] neg_hi:[0,0,1]
	v_pk_fma_f32 v[44:45], v[44:45], v[54:55], v[58:59] op_sel:[0,0,1] op_sel_hi:[1,0,0]
	v_mov_b32_e32 v61, v45
	v_pk_mul_f32 v[44:45], v[46:47], v[56:57] op_sel:[0,1]
	s_delay_alu instid0(VALU_DEP_1) | instskip(SKIP_1) | instid1(VALU_DEP_1)
	v_pk_fma_f32 v[58:59], v[46:47], v[54:55], v[44:45] op_sel:[0,0,1] op_sel_hi:[1,1,0] neg_lo:[0,0,1] neg_hi:[0,0,1]
	v_pk_fma_f32 v[44:45], v[46:47], v[54:55], v[44:45] op_sel:[0,0,1] op_sel_hi:[1,0,0]
	v_mov_b32_e32 v59, v45
	ds_load_b64 v[44:45], v48 offset:144
	v_pk_add_f32 v[18:19], v[18:19], v[60:61] neg_lo:[0,1] neg_hi:[0,1]
	v_pk_add_f32 v[16:17], v[16:17], v[58:59] neg_lo:[0,1] neg_hi:[0,1]
	s_wait_dscnt 0x0
	v_pk_mul_f32 v[46:47], v[44:45], v[56:57] op_sel:[1,1] op_sel_hi:[0,1]
	s_delay_alu instid0(VALU_DEP_1) | instskip(SKIP_1) | instid1(VALU_DEP_1)
	v_pk_fma_f32 v[56:57], v[44:45], v[54:55], v[46:47] neg_lo:[0,0,1] neg_hi:[0,0,1]
	v_pk_fma_f32 v[44:45], v[44:45], v[54:55], v[46:47] op_sel_hi:[1,0,1]
	v_mov_b32_e32 v57, v45
	s_delay_alu instid0(VALU_DEP_1)
	v_pk_add_f32 v[42:43], v[42:43], v[56:57] neg_lo:[0,1] neg_hi:[0,1]
.LBB36_335:
	s_or_b32 exec_lo, exec_lo, s0
	v_lshl_add_u32 v44, v52, 3, v48
	s_barrier_signal -1
	s_barrier_wait -1
	ds_store_b64 v44, v[18:19]
	s_wait_dscnt 0x0
	s_barrier_signal -1
	s_barrier_wait -1
	ds_load_b64 v[44:45], v48 offset:128
	v_mov_b32_e32 v46, 16
	s_cmp_lt_i32 s14, 18
	s_cbranch_scc1 .LBB36_338
; %bb.336:
	v_add3_u32 v47, v49, 0, 0x88
	v_mov_b32_e32 v46, 16
	s_mov_b32 s0, 17
.LBB36_337:                             ; =>This Inner Loop Header: Depth=1
	ds_load_b64 v[54:55], v47
	s_wait_dscnt 0x1
	v_cmp_gt_f32_e32 vcc_lo, 0, v44
	v_cndmask_b32_e64 v56, v44, -v44, vcc_lo
	v_cmp_gt_f32_e32 vcc_lo, 0, v45
	v_cndmask_b32_e64 v58, v45, -v45, vcc_lo
	s_wait_dscnt 0x0
	v_cmp_gt_f32_e32 vcc_lo, 0, v54
	v_cndmask_b32_e64 v57, v54, -v54, vcc_lo
	v_cmp_gt_f32_e32 vcc_lo, 0, v55
	v_cndmask_b32_e64 v59, v55, -v55, vcc_lo
	s_delay_alu instid0(VALU_DEP_1) | instskip(NEXT) | instid1(VALU_DEP_1)
	v_pk_add_f32 v[56:57], v[56:57], v[58:59]
	v_cmp_lt_f32_e32 vcc_lo, v56, v57
	v_dual_cndmask_b32 v44, v44, v54 :: v_dual_add_nc_u32 v47, 8, v47
	v_cndmask_b32_e32 v45, v45, v55, vcc_lo
	v_cndmask_b32_e64 v46, v46, s0, vcc_lo
	s_add_co_i32 s0, s0, 1
	s_delay_alu instid0(SALU_CYCLE_1)
	s_cmp_lg_u32 s14, s0
	s_cbranch_scc1 .LBB36_337
.LBB36_338:
	s_wait_dscnt 0x0
	v_cmp_eq_f32_e32 vcc_lo, 0, v44
	v_cmp_eq_f32_e64 s0, 0, v45
	s_and_b32 s0, vcc_lo, s0
	s_delay_alu instid0(SALU_CYCLE_1) | instskip(NEXT) | instid1(SALU_CYCLE_1)
	s_and_saveexec_b32 s1, s0
	s_xor_b32 s0, exec_lo, s1
; %bb.339:
	v_cmp_ne_u32_e32 vcc_lo, 0, v51
	v_cndmask_b32_e32 v51, 17, v51, vcc_lo
; %bb.340:
	s_and_not1_saveexec_b32 s0, s0
	s_cbranch_execz .LBB36_346
; %bb.341:
	v_cmp_ngt_f32_e64 s1, |v44|, |v45|
	s_and_saveexec_b32 s15, s1
	s_delay_alu instid0(SALU_CYCLE_1)
	s_xor_b32 s1, exec_lo, s15
	s_cbranch_execz .LBB36_343
; %bb.342:
	v_div_scale_f32 v47, null, v45, v45, v44
	v_div_scale_f32 v55, vcc_lo, v44, v45, v44
	s_delay_alu instid0(VALU_DEP_2) | instskip(SKIP_1) | instid1(TRANS32_DEP_1)
	v_rcp_f32_e32 v53, v47
	v_nop
	v_fma_f32 v54, -v47, v53, 1.0
	s_delay_alu instid0(VALU_DEP_1) | instskip(NEXT) | instid1(VALU_DEP_1)
	v_fmac_f32_e32 v53, v54, v53
	v_mul_f32_e32 v54, v55, v53
	s_delay_alu instid0(VALU_DEP_1) | instskip(NEXT) | instid1(VALU_DEP_1)
	v_fma_f32 v56, -v47, v54, v55
	v_fmac_f32_e32 v54, v56, v53
	s_delay_alu instid0(VALU_DEP_1) | instskip(NEXT) | instid1(VALU_DEP_1)
	v_fma_f32 v47, -v47, v54, v55
	v_div_fmas_f32 v47, v47, v53, v54
	s_delay_alu instid0(VALU_DEP_1) | instskip(NEXT) | instid1(VALU_DEP_1)
	v_div_fixup_f32 v47, v47, v45, v44
	v_fmac_f32_e32 v45, v44, v47
	s_delay_alu instid0(VALU_DEP_1) | instskip(SKIP_1) | instid1(VALU_DEP_2)
	v_div_scale_f32 v44, null, v45, v45, 1.0
	v_div_scale_f32 v55, vcc_lo, 1.0, v45, 1.0
	v_rcp_f32_e32 v53, v44
	v_nop
	s_delay_alu instid0(TRANS32_DEP_1) | instskip(NEXT) | instid1(VALU_DEP_1)
	v_fma_f32 v54, -v44, v53, 1.0
	v_fmac_f32_e32 v53, v54, v53
	s_delay_alu instid0(VALU_DEP_1) | instskip(NEXT) | instid1(VALU_DEP_1)
	v_mul_f32_e32 v54, v55, v53
	v_fma_f32 v56, -v44, v54, v55
	s_delay_alu instid0(VALU_DEP_1) | instskip(NEXT) | instid1(VALU_DEP_1)
	v_fmac_f32_e32 v54, v56, v53
	v_fma_f32 v44, -v44, v54, v55
	s_delay_alu instid0(VALU_DEP_1) | instskip(NEXT) | instid1(VALU_DEP_1)
	v_div_fmas_f32 v44, v44, v53, v54
	v_div_fixup_f32 v45, v44, v45, 1.0
	s_delay_alu instid0(VALU_DEP_1)
	v_mul_f32_e32 v44, v47, v45
	v_xor_b32_e32 v45, 0x80000000, v45
.LBB36_343:
	s_and_not1_saveexec_b32 s1, s1
	s_cbranch_execz .LBB36_345
; %bb.344:
	s_delay_alu instid0(VALU_DEP_1) | instskip(SKIP_1) | instid1(VALU_DEP_2)
	v_div_scale_f32 v47, null, v44, v44, v45
	v_div_scale_f32 v55, vcc_lo, v45, v44, v45
	v_rcp_f32_e32 v53, v47
	v_nop
	s_delay_alu instid0(TRANS32_DEP_1) | instskip(NEXT) | instid1(VALU_DEP_1)
	v_fma_f32 v54, -v47, v53, 1.0
	v_fmac_f32_e32 v53, v54, v53
	s_delay_alu instid0(VALU_DEP_1) | instskip(NEXT) | instid1(VALU_DEP_1)
	v_mul_f32_e32 v54, v55, v53
	v_fma_f32 v56, -v47, v54, v55
	s_delay_alu instid0(VALU_DEP_1) | instskip(NEXT) | instid1(VALU_DEP_1)
	v_fmac_f32_e32 v54, v56, v53
	v_fma_f32 v47, -v47, v54, v55
	s_delay_alu instid0(VALU_DEP_1) | instskip(NEXT) | instid1(VALU_DEP_1)
	v_div_fmas_f32 v47, v47, v53, v54
	v_div_fixup_f32 v47, v47, v44, v45
	s_delay_alu instid0(VALU_DEP_1) | instskip(NEXT) | instid1(VALU_DEP_1)
	v_fmac_f32_e32 v44, v45, v47
	v_div_scale_f32 v45, null, v44, v44, 1.0
	s_delay_alu instid0(VALU_DEP_1) | instskip(SKIP_1) | instid1(TRANS32_DEP_1)
	v_rcp_f32_e32 v53, v45
	v_nop
	v_fma_f32 v54, -v45, v53, 1.0
	s_delay_alu instid0(VALU_DEP_1) | instskip(SKIP_1) | instid1(VALU_DEP_1)
	v_fmac_f32_e32 v53, v54, v53
	v_div_scale_f32 v54, vcc_lo, 1.0, v44, 1.0
	v_mul_f32_e32 v55, v54, v53
	s_delay_alu instid0(VALU_DEP_1) | instskip(NEXT) | instid1(VALU_DEP_1)
	v_fma_f32 v56, -v45, v55, v54
	v_fmac_f32_e32 v55, v56, v53
	s_delay_alu instid0(VALU_DEP_1) | instskip(NEXT) | instid1(VALU_DEP_1)
	v_fma_f32 v45, -v45, v55, v54
	v_div_fmas_f32 v45, v45, v53, v55
	s_delay_alu instid0(VALU_DEP_1) | instskip(NEXT) | instid1(VALU_DEP_1)
	v_div_fixup_f32 v44, v45, v44, 1.0
	v_mul_f32_e64 v45, v47, -v44
.LBB36_345:
	s_or_b32 exec_lo, exec_lo, s1
.LBB36_346:
	s_delay_alu instid0(SALU_CYCLE_1) | instskip(NEXT) | instid1(SALU_CYCLE_1)
	s_or_b32 exec_lo, exec_lo, s0
	s_mov_b32 s0, exec_lo
	v_cmpx_ne_u32_e64 v52, v46
	s_xor_b32 s0, exec_lo, s0
	s_cbranch_execz .LBB36_352
; %bb.347:
	s_mov_b32 s1, exec_lo
	v_cmpx_eq_u32_e32 16, v52
	s_cbranch_execz .LBB36_351
; %bb.348:
	v_cmp_ne_u32_e32 vcc_lo, 16, v46
	s_xor_b32 s15, s12, -1
	s_delay_alu instid0(SALU_CYCLE_1) | instskip(NEXT) | instid1(SALU_CYCLE_1)
	s_and_b32 s16, s15, vcc_lo
	s_and_saveexec_b32 s15, s16
	s_cbranch_execz .LBB36_350
; %bb.349:
	v_ashrrev_i32_e32 v47, 31, v46
	s_delay_alu instid0(VALU_DEP_1)
	v_lshl_add_u64 v[52:53], v[46:47], 2, v[32:33]
	s_clause 0x1
	global_load_b32 v47, v[52:53], off
	global_load_b32 v50, v[32:33], off offset:64
	s_wait_loadcnt 0x1
	global_store_b32 v[32:33], v47, off offset:64
	s_wait_loadcnt 0x0
	global_store_b32 v[52:53], v50, off
.LBB36_350:
	s_wait_xcnt 0x0
	s_or_b32 exec_lo, exec_lo, s15
	v_dual_mov_b32 v52, v46 :: v_dual_mov_b32 v50, v46
.LBB36_351:
	s_or_b32 exec_lo, exec_lo, s1
.LBB36_352:
	s_and_not1_saveexec_b32 s0, s0
; %bb.353:
	v_mov_b32_e32 v52, 16
	ds_store_2addr_b64 v48, v[16:17], v[42:43] offset0:17 offset1:18
; %bb.354:
	s_or_b32 exec_lo, exec_lo, s0
	s_delay_alu instid0(SALU_CYCLE_1)
	s_mov_b32 s0, exec_lo
	s_wait_storecnt_dscnt 0x0
	s_barrier_signal -1
	s_barrier_wait -1
	v_cmpx_lt_i32_e32 16, v52
	s_cbranch_execz .LBB36_356
; %bb.355:
	ds_load_2addr_b64 v[54:57], v48 offset0:17 offset1:18
	v_pk_mul_f32 v[46:47], v[44:45], v[18:19] op_sel:[1,1] op_sel_hi:[0,1]
	s_delay_alu instid0(VALU_DEP_1) | instskip(SKIP_3) | instid1(VALU_DEP_3)
	v_pk_fma_f32 v[58:59], v[44:45], v[18:19], v[46:47] op_sel_hi:[1,0,1]
	v_pk_fma_f32 v[18:19], v[44:45], v[18:19], v[46:47] op_sel_hi:[1,0,1] neg_lo:[0,0,1] neg_hi:[0,0,1]
	s_wait_dscnt 0x0
	v_dual_mov_b32 v60, v57 :: v_dual_mov_b32 v61, v56
	v_pk_mul_f32 v[44:45], v[54:55], v[58:59] op_sel:[0,1]
	s_delay_alu instid0(VALU_DEP_2) | instskip(NEXT) | instid1(VALU_DEP_2)
	v_pk_mul_f32 v[46:47], v[60:61], v[58:59] op_sel:[0,1]
	v_pk_fma_f32 v[60:61], v[54:55], v[18:19], v[44:45] op_sel:[0,0,1] op_sel_hi:[1,0,0]
	v_pk_fma_f32 v[44:45], v[54:55], v[18:19], v[44:45] op_sel:[0,0,1] op_sel_hi:[1,1,0] neg_lo:[0,0,1] neg_hi:[0,0,1]
	s_delay_alu instid0(VALU_DEP_3) | instskip(SKIP_1) | instid1(VALU_DEP_4)
	v_pk_fma_f32 v[62:63], v[56:57], v[18:19], v[46:47] op_sel_hi:[1,0,1]
	v_pk_fma_f32 v[46:47], v[56:57], v[18:19], v[46:47] neg_lo:[0,0,1] neg_hi:[0,0,1]
	v_dual_mov_b32 v45, v61 :: v_dual_mov_b32 v19, v59
	s_delay_alu instid0(VALU_DEP_3) | instskip(NEXT) | instid1(VALU_DEP_2)
	v_mov_b32_e32 v47, v63
	v_pk_add_f32 v[16:17], v[16:17], v[44:45] neg_lo:[0,1] neg_hi:[0,1]
	s_delay_alu instid0(VALU_DEP_2)
	v_pk_add_f32 v[42:43], v[42:43], v[46:47] neg_lo:[0,1] neg_hi:[0,1]
.LBB36_356:
	s_or_b32 exec_lo, exec_lo, s0
	v_lshl_add_u32 v44, v52, 3, v48
	s_barrier_signal -1
	s_barrier_wait -1
	ds_store_b64 v44, v[16:17]
	s_wait_dscnt 0x0
	s_barrier_signal -1
	s_barrier_wait -1
	ds_load_b64 v[44:45], v48 offset:136
	v_mov_b32_e32 v46, 17
	s_cmp_lt_i32 s14, 19
	s_cbranch_scc1 .LBB36_359
; %bb.357:
	v_add3_u32 v47, v49, 0, 0x90
	v_mov_b32_e32 v46, 17
	s_mov_b32 s0, 18
.LBB36_358:                             ; =>This Inner Loop Header: Depth=1
	ds_load_b64 v[54:55], v47
	s_wait_dscnt 0x1
	v_cmp_gt_f32_e32 vcc_lo, 0, v44
	v_cndmask_b32_e64 v56, v44, -v44, vcc_lo
	v_cmp_gt_f32_e32 vcc_lo, 0, v45
	v_cndmask_b32_e64 v58, v45, -v45, vcc_lo
	s_wait_dscnt 0x0
	v_cmp_gt_f32_e32 vcc_lo, 0, v54
	v_cndmask_b32_e64 v57, v54, -v54, vcc_lo
	v_cmp_gt_f32_e32 vcc_lo, 0, v55
	v_cndmask_b32_e64 v59, v55, -v55, vcc_lo
	s_delay_alu instid0(VALU_DEP_1) | instskip(NEXT) | instid1(VALU_DEP_1)
	v_pk_add_f32 v[56:57], v[56:57], v[58:59]
	v_cmp_lt_f32_e32 vcc_lo, v56, v57
	v_dual_cndmask_b32 v44, v44, v54 :: v_dual_add_nc_u32 v47, 8, v47
	v_cndmask_b32_e32 v45, v45, v55, vcc_lo
	v_cndmask_b32_e64 v46, v46, s0, vcc_lo
	s_add_co_i32 s0, s0, 1
	s_delay_alu instid0(SALU_CYCLE_1)
	s_cmp_lg_u32 s14, s0
	s_cbranch_scc1 .LBB36_358
.LBB36_359:
	s_wait_dscnt 0x0
	v_cmp_eq_f32_e32 vcc_lo, 0, v44
	v_cmp_eq_f32_e64 s0, 0, v45
	s_and_b32 s0, vcc_lo, s0
	s_delay_alu instid0(SALU_CYCLE_1) | instskip(NEXT) | instid1(SALU_CYCLE_1)
	s_and_saveexec_b32 s1, s0
	s_xor_b32 s0, exec_lo, s1
; %bb.360:
	v_cmp_ne_u32_e32 vcc_lo, 0, v51
	v_cndmask_b32_e32 v51, 18, v51, vcc_lo
; %bb.361:
	s_and_not1_saveexec_b32 s0, s0
	s_cbranch_execz .LBB36_367
; %bb.362:
	v_cmp_ngt_f32_e64 s1, |v44|, |v45|
	s_and_saveexec_b32 s15, s1
	s_delay_alu instid0(SALU_CYCLE_1)
	s_xor_b32 s1, exec_lo, s15
	s_cbranch_execz .LBB36_364
; %bb.363:
	v_div_scale_f32 v47, null, v45, v45, v44
	v_div_scale_f32 v55, vcc_lo, v44, v45, v44
	s_delay_alu instid0(VALU_DEP_2) | instskip(SKIP_1) | instid1(TRANS32_DEP_1)
	v_rcp_f32_e32 v53, v47
	v_nop
	v_fma_f32 v54, -v47, v53, 1.0
	s_delay_alu instid0(VALU_DEP_1) | instskip(NEXT) | instid1(VALU_DEP_1)
	v_fmac_f32_e32 v53, v54, v53
	v_mul_f32_e32 v54, v55, v53
	s_delay_alu instid0(VALU_DEP_1) | instskip(NEXT) | instid1(VALU_DEP_1)
	v_fma_f32 v56, -v47, v54, v55
	v_fmac_f32_e32 v54, v56, v53
	s_delay_alu instid0(VALU_DEP_1) | instskip(NEXT) | instid1(VALU_DEP_1)
	v_fma_f32 v47, -v47, v54, v55
	v_div_fmas_f32 v47, v47, v53, v54
	s_delay_alu instid0(VALU_DEP_1) | instskip(NEXT) | instid1(VALU_DEP_1)
	v_div_fixup_f32 v47, v47, v45, v44
	v_fmac_f32_e32 v45, v44, v47
	s_delay_alu instid0(VALU_DEP_1) | instskip(SKIP_1) | instid1(VALU_DEP_2)
	v_div_scale_f32 v44, null, v45, v45, 1.0
	v_div_scale_f32 v55, vcc_lo, 1.0, v45, 1.0
	v_rcp_f32_e32 v53, v44
	v_nop
	s_delay_alu instid0(TRANS32_DEP_1) | instskip(NEXT) | instid1(VALU_DEP_1)
	v_fma_f32 v54, -v44, v53, 1.0
	v_fmac_f32_e32 v53, v54, v53
	s_delay_alu instid0(VALU_DEP_1) | instskip(NEXT) | instid1(VALU_DEP_1)
	v_mul_f32_e32 v54, v55, v53
	v_fma_f32 v56, -v44, v54, v55
	s_delay_alu instid0(VALU_DEP_1) | instskip(NEXT) | instid1(VALU_DEP_1)
	v_fmac_f32_e32 v54, v56, v53
	v_fma_f32 v44, -v44, v54, v55
	s_delay_alu instid0(VALU_DEP_1) | instskip(NEXT) | instid1(VALU_DEP_1)
	v_div_fmas_f32 v44, v44, v53, v54
	v_div_fixup_f32 v45, v44, v45, 1.0
	s_delay_alu instid0(VALU_DEP_1)
	v_mul_f32_e32 v44, v47, v45
	v_xor_b32_e32 v45, 0x80000000, v45
.LBB36_364:
	s_and_not1_saveexec_b32 s1, s1
	s_cbranch_execz .LBB36_366
; %bb.365:
	s_delay_alu instid0(VALU_DEP_1) | instskip(SKIP_1) | instid1(VALU_DEP_2)
	v_div_scale_f32 v47, null, v44, v44, v45
	v_div_scale_f32 v55, vcc_lo, v45, v44, v45
	v_rcp_f32_e32 v53, v47
	v_nop
	s_delay_alu instid0(TRANS32_DEP_1) | instskip(NEXT) | instid1(VALU_DEP_1)
	v_fma_f32 v54, -v47, v53, 1.0
	v_fmac_f32_e32 v53, v54, v53
	s_delay_alu instid0(VALU_DEP_1) | instskip(NEXT) | instid1(VALU_DEP_1)
	v_mul_f32_e32 v54, v55, v53
	v_fma_f32 v56, -v47, v54, v55
	s_delay_alu instid0(VALU_DEP_1) | instskip(NEXT) | instid1(VALU_DEP_1)
	v_fmac_f32_e32 v54, v56, v53
	v_fma_f32 v47, -v47, v54, v55
	s_delay_alu instid0(VALU_DEP_1) | instskip(NEXT) | instid1(VALU_DEP_1)
	v_div_fmas_f32 v47, v47, v53, v54
	v_div_fixup_f32 v47, v47, v44, v45
	s_delay_alu instid0(VALU_DEP_1) | instskip(NEXT) | instid1(VALU_DEP_1)
	v_fmac_f32_e32 v44, v45, v47
	v_div_scale_f32 v45, null, v44, v44, 1.0
	s_delay_alu instid0(VALU_DEP_1) | instskip(SKIP_1) | instid1(TRANS32_DEP_1)
	v_rcp_f32_e32 v53, v45
	v_nop
	v_fma_f32 v54, -v45, v53, 1.0
	s_delay_alu instid0(VALU_DEP_1) | instskip(SKIP_1) | instid1(VALU_DEP_1)
	v_fmac_f32_e32 v53, v54, v53
	v_div_scale_f32 v54, vcc_lo, 1.0, v44, 1.0
	v_mul_f32_e32 v55, v54, v53
	s_delay_alu instid0(VALU_DEP_1) | instskip(NEXT) | instid1(VALU_DEP_1)
	v_fma_f32 v56, -v45, v55, v54
	v_fmac_f32_e32 v55, v56, v53
	s_delay_alu instid0(VALU_DEP_1) | instskip(NEXT) | instid1(VALU_DEP_1)
	v_fma_f32 v45, -v45, v55, v54
	v_div_fmas_f32 v45, v45, v53, v55
	s_delay_alu instid0(VALU_DEP_1) | instskip(NEXT) | instid1(VALU_DEP_1)
	v_div_fixup_f32 v44, v45, v44, 1.0
	v_mul_f32_e64 v45, v47, -v44
.LBB36_366:
	s_or_b32 exec_lo, exec_lo, s1
.LBB36_367:
	s_delay_alu instid0(SALU_CYCLE_1) | instskip(NEXT) | instid1(SALU_CYCLE_1)
	s_or_b32 exec_lo, exec_lo, s0
	s_mov_b32 s0, exec_lo
	v_cmpx_ne_u32_e64 v52, v46
	s_xor_b32 s0, exec_lo, s0
	s_cbranch_execz .LBB36_373
; %bb.368:
	s_mov_b32 s1, exec_lo
	v_cmpx_eq_u32_e32 17, v52
	s_cbranch_execz .LBB36_372
; %bb.369:
	v_cmp_ne_u32_e32 vcc_lo, 17, v46
	s_xor_b32 s15, s12, -1
	s_delay_alu instid0(SALU_CYCLE_1) | instskip(NEXT) | instid1(SALU_CYCLE_1)
	s_and_b32 s16, s15, vcc_lo
	s_and_saveexec_b32 s15, s16
	s_cbranch_execz .LBB36_371
; %bb.370:
	v_ashrrev_i32_e32 v47, 31, v46
	s_delay_alu instid0(VALU_DEP_1)
	v_lshl_add_u64 v[52:53], v[46:47], 2, v[32:33]
	s_clause 0x1
	global_load_b32 v47, v[52:53], off
	global_load_b32 v50, v[32:33], off offset:68
	s_wait_loadcnt 0x1
	global_store_b32 v[32:33], v47, off offset:68
	s_wait_loadcnt 0x0
	global_store_b32 v[52:53], v50, off
.LBB36_371:
	s_wait_xcnt 0x0
	s_or_b32 exec_lo, exec_lo, s15
	v_dual_mov_b32 v52, v46 :: v_dual_mov_b32 v50, v46
.LBB36_372:
	s_or_b32 exec_lo, exec_lo, s1
.LBB36_373:
	s_and_not1_saveexec_b32 s0, s0
; %bb.374:
	v_mov_b32_e32 v52, 17
	ds_store_b64 v48, v[42:43] offset:144
; %bb.375:
	s_or_b32 exec_lo, exec_lo, s0
	s_delay_alu instid0(SALU_CYCLE_1)
	s_mov_b32 s0, exec_lo
	s_wait_storecnt_dscnt 0x0
	s_barrier_signal -1
	s_barrier_wait -1
	v_cmpx_lt_i32_e32 17, v52
	s_cbranch_execz .LBB36_377
; %bb.376:
	ds_load_b64 v[46:47], v48 offset:144
	v_pk_mul_f32 v[54:55], v[44:45], v[16:17] op_sel:[1,1] op_sel_hi:[0,1]
	s_delay_alu instid0(VALU_DEP_1) | instskip(SKIP_2) | instid1(VALU_DEP_2)
	v_pk_fma_f32 v[56:57], v[44:45], v[16:17], v[54:55] op_sel_hi:[1,0,1]
	v_pk_fma_f32 v[16:17], v[44:45], v[16:17], v[54:55] op_sel_hi:[1,0,1] neg_lo:[0,0,1] neg_hi:[0,0,1]
	s_wait_dscnt 0x0
	v_pk_mul_f32 v[44:45], v[46:47], v[56:57] op_sel:[1,1] op_sel_hi:[0,1]
	s_delay_alu instid0(VALU_DEP_1) | instskip(SKIP_1) | instid1(VALU_DEP_2)
	v_pk_fma_f32 v[54:55], v[46:47], v[16:17], v[44:45] op_sel_hi:[1,0,1]
	v_pk_fma_f32 v[44:45], v[46:47], v[16:17], v[44:45] neg_lo:[0,0,1] neg_hi:[0,0,1]
	v_dual_mov_b32 v17, v57 :: v_dual_mov_b32 v45, v55
	s_delay_alu instid0(VALU_DEP_1)
	v_pk_add_f32 v[42:43], v[42:43], v[44:45] neg_lo:[0,1] neg_hi:[0,1]
.LBB36_377:
	s_or_b32 exec_lo, exec_lo, s0
	v_lshl_add_u32 v44, v52, 3, v48
	s_barrier_signal -1
	s_barrier_wait -1
	ds_store_b64 v44, v[42:43]
	s_wait_dscnt 0x0
	s_barrier_signal -1
	s_barrier_wait -1
	ds_load_b64 v[44:45], v48 offset:144
	v_mov_b32_e32 v46, 18
	s_cmp_lt_i32 s14, 20
	s_cbranch_scc1 .LBB36_380
; %bb.378:
	v_add3_u32 v47, v49, 0, 0x98
	v_mov_b32_e32 v46, 18
	s_mov_b32 s0, 19
.LBB36_379:                             ; =>This Inner Loop Header: Depth=1
	ds_load_b64 v[48:49], v47
	s_wait_dscnt 0x1
	v_cmp_gt_f32_e32 vcc_lo, 0, v44
	v_cndmask_b32_e64 v54, v44, -v44, vcc_lo
	v_cmp_gt_f32_e32 vcc_lo, 0, v45
	v_cndmask_b32_e64 v56, v45, -v45, vcc_lo
	s_wait_dscnt 0x0
	v_cmp_gt_f32_e32 vcc_lo, 0, v48
	v_cndmask_b32_e64 v55, v48, -v48, vcc_lo
	v_cmp_gt_f32_e32 vcc_lo, 0, v49
	v_cndmask_b32_e64 v57, v49, -v49, vcc_lo
	s_delay_alu instid0(VALU_DEP_1) | instskip(NEXT) | instid1(VALU_DEP_1)
	v_pk_add_f32 v[54:55], v[54:55], v[56:57]
	v_cmp_lt_f32_e32 vcc_lo, v54, v55
	v_dual_add_nc_u32 v47, 8, v47 :: v_dual_cndmask_b32 v45, v45, v49, vcc_lo
	v_cndmask_b32_e32 v44, v44, v48, vcc_lo
	v_cndmask_b32_e64 v46, v46, s0, vcc_lo
	s_add_co_i32 s0, s0, 1
	s_delay_alu instid0(SALU_CYCLE_1)
	s_cmp_lg_u32 s14, s0
	s_cbranch_scc1 .LBB36_379
.LBB36_380:
	s_wait_dscnt 0x0
	v_cmp_eq_f32_e32 vcc_lo, 0, v44
	v_cmp_eq_f32_e64 s0, 0, v45
	s_and_b32 s0, vcc_lo, s0
	s_delay_alu instid0(SALU_CYCLE_1) | instskip(NEXT) | instid1(SALU_CYCLE_1)
	s_and_saveexec_b32 s1, s0
	s_xor_b32 s0, exec_lo, s1
; %bb.381:
	v_cmp_ne_u32_e32 vcc_lo, 0, v51
	v_cndmask_b32_e32 v51, 19, v51, vcc_lo
; %bb.382:
	s_and_not1_saveexec_b32 s0, s0
	s_cbranch_execz .LBB36_388
; %bb.383:
	v_cmp_ngt_f32_e64 s1, |v44|, |v45|
	s_and_saveexec_b32 s14, s1
	s_delay_alu instid0(SALU_CYCLE_1)
	s_xor_b32 s1, exec_lo, s14
	s_cbranch_execz .LBB36_385
; %bb.384:
	v_div_scale_f32 v47, null, v45, v45, v44
	v_div_scale_f32 v53, vcc_lo, v44, v45, v44
	s_delay_alu instid0(VALU_DEP_2) | instskip(SKIP_1) | instid1(TRANS32_DEP_1)
	v_rcp_f32_e32 v48, v47
	v_nop
	v_fma_f32 v49, -v47, v48, 1.0
	s_delay_alu instid0(VALU_DEP_1) | instskip(NEXT) | instid1(VALU_DEP_1)
	v_fmac_f32_e32 v48, v49, v48
	v_mul_f32_e32 v49, v53, v48
	s_delay_alu instid0(VALU_DEP_1) | instskip(NEXT) | instid1(VALU_DEP_1)
	v_fma_f32 v54, -v47, v49, v53
	v_fmac_f32_e32 v49, v54, v48
	s_delay_alu instid0(VALU_DEP_1) | instskip(NEXT) | instid1(VALU_DEP_1)
	v_fma_f32 v47, -v47, v49, v53
	v_div_fmas_f32 v47, v47, v48, v49
	s_delay_alu instid0(VALU_DEP_1) | instskip(NEXT) | instid1(VALU_DEP_1)
	v_div_fixup_f32 v47, v47, v45, v44
	v_fmac_f32_e32 v45, v44, v47
	s_delay_alu instid0(VALU_DEP_1) | instskip(SKIP_1) | instid1(VALU_DEP_2)
	v_div_scale_f32 v44, null, v45, v45, 1.0
	v_div_scale_f32 v53, vcc_lo, 1.0, v45, 1.0
	v_rcp_f32_e32 v48, v44
	v_nop
	s_delay_alu instid0(TRANS32_DEP_1) | instskip(NEXT) | instid1(VALU_DEP_1)
	v_fma_f32 v49, -v44, v48, 1.0
	v_fmac_f32_e32 v48, v49, v48
	s_delay_alu instid0(VALU_DEP_1) | instskip(NEXT) | instid1(VALU_DEP_1)
	v_mul_f32_e32 v49, v53, v48
	v_fma_f32 v54, -v44, v49, v53
	s_delay_alu instid0(VALU_DEP_1) | instskip(NEXT) | instid1(VALU_DEP_1)
	v_fmac_f32_e32 v49, v54, v48
	v_fma_f32 v44, -v44, v49, v53
	s_delay_alu instid0(VALU_DEP_1) | instskip(NEXT) | instid1(VALU_DEP_1)
	v_div_fmas_f32 v44, v44, v48, v49
	v_div_fixup_f32 v45, v44, v45, 1.0
	s_delay_alu instid0(VALU_DEP_1)
	v_mul_f32_e32 v44, v47, v45
	v_xor_b32_e32 v45, 0x80000000, v45
.LBB36_385:
	s_and_not1_saveexec_b32 s1, s1
	s_cbranch_execz .LBB36_387
; %bb.386:
	s_delay_alu instid0(VALU_DEP_1) | instskip(SKIP_1) | instid1(VALU_DEP_2)
	v_div_scale_f32 v47, null, v44, v44, v45
	v_div_scale_f32 v53, vcc_lo, v45, v44, v45
	v_rcp_f32_e32 v48, v47
	v_nop
	s_delay_alu instid0(TRANS32_DEP_1) | instskip(NEXT) | instid1(VALU_DEP_1)
	v_fma_f32 v49, -v47, v48, 1.0
	v_fmac_f32_e32 v48, v49, v48
	s_delay_alu instid0(VALU_DEP_1) | instskip(NEXT) | instid1(VALU_DEP_1)
	v_mul_f32_e32 v49, v53, v48
	v_fma_f32 v54, -v47, v49, v53
	s_delay_alu instid0(VALU_DEP_1) | instskip(NEXT) | instid1(VALU_DEP_1)
	v_fmac_f32_e32 v49, v54, v48
	v_fma_f32 v47, -v47, v49, v53
	s_delay_alu instid0(VALU_DEP_1) | instskip(NEXT) | instid1(VALU_DEP_1)
	v_div_fmas_f32 v47, v47, v48, v49
	v_div_fixup_f32 v47, v47, v44, v45
	s_delay_alu instid0(VALU_DEP_1) | instskip(NEXT) | instid1(VALU_DEP_1)
	v_fmac_f32_e32 v44, v45, v47
	v_div_scale_f32 v45, null, v44, v44, 1.0
	s_delay_alu instid0(VALU_DEP_1) | instskip(SKIP_1) | instid1(TRANS32_DEP_1)
	v_rcp_f32_e32 v48, v45
	v_nop
	v_fma_f32 v49, -v45, v48, 1.0
	s_delay_alu instid0(VALU_DEP_1) | instskip(SKIP_1) | instid1(VALU_DEP_1)
	v_fmac_f32_e32 v48, v49, v48
	v_div_scale_f32 v49, vcc_lo, 1.0, v44, 1.0
	v_mul_f32_e32 v53, v49, v48
	s_delay_alu instid0(VALU_DEP_1) | instskip(NEXT) | instid1(VALU_DEP_1)
	v_fma_f32 v54, -v45, v53, v49
	v_fmac_f32_e32 v53, v54, v48
	s_delay_alu instid0(VALU_DEP_1) | instskip(NEXT) | instid1(VALU_DEP_1)
	v_fma_f32 v45, -v45, v53, v49
	v_div_fmas_f32 v45, v45, v48, v53
	s_delay_alu instid0(VALU_DEP_1) | instskip(NEXT) | instid1(VALU_DEP_1)
	v_div_fixup_f32 v44, v45, v44, 1.0
	v_mul_f32_e64 v45, v47, -v44
.LBB36_387:
	s_or_b32 exec_lo, exec_lo, s1
.LBB36_388:
	s_delay_alu instid0(SALU_CYCLE_1)
	s_or_b32 exec_lo, exec_lo, s0
	v_mov_b32_e32 v48, 18
	s_mov_b32 s0, exec_lo
	v_cmpx_ne_u32_e64 v52, v46
	s_cbranch_execz .LBB36_394
; %bb.389:
	s_mov_b32 s1, exec_lo
	v_cmpx_eq_u32_e32 18, v52
	s_cbranch_execz .LBB36_393
; %bb.390:
	v_cmp_ne_u32_e32 vcc_lo, 18, v46
	s_xor_b32 s12, s12, -1
	s_delay_alu instid0(SALU_CYCLE_1) | instskip(NEXT) | instid1(SALU_CYCLE_1)
	s_and_b32 s14, s12, vcc_lo
	s_and_saveexec_b32 s12, s14
	s_cbranch_execz .LBB36_392
; %bb.391:
	v_ashrrev_i32_e32 v47, 31, v46
	s_delay_alu instid0(VALU_DEP_1)
	v_lshl_add_u64 v[48:49], v[46:47], 2, v[32:33]
	s_clause 0x1
	global_load_b32 v47, v[48:49], off
	global_load_b32 v50, v[32:33], off offset:72
	s_wait_loadcnt 0x1
	global_store_b32 v[32:33], v47, off offset:72
	s_wait_loadcnt 0x0
	global_store_b32 v[48:49], v50, off
.LBB36_392:
	s_wait_xcnt 0x0
	s_or_b32 exec_lo, exec_lo, s12
	v_dual_mov_b32 v52, v46 :: v_dual_mov_b32 v50, v46
.LBB36_393:
	s_or_b32 exec_lo, exec_lo, s1
	s_delay_alu instid0(VALU_DEP_1)
	v_mov_b32_e32 v48, v52
.LBB36_394:
	s_or_b32 exec_lo, exec_lo, s0
	s_delay_alu instid0(VALU_DEP_1)
	v_ashrrev_i32_e32 v49, 31, v48
	s_mov_b32 s0, exec_lo
	s_wait_storecnt 0x0
	s_barrier_signal -1
	s_barrier_wait -1
	s_barrier_signal -1
	s_barrier_wait -1
	v_cmpx_gt_i32_e32 19, v48
	s_cbranch_execz .LBB36_396
; %bb.395:
	v_mul_u64_e32 v[32:33], s[10:11], v[2:3]
	v_add3_u32 v46, v50, s13, 1
	s_delay_alu instid0(VALU_DEP_2) | instskip(NEXT) | instid1(VALU_DEP_1)
	v_lshl_add_u64 v[32:33], v[32:33], 2, s[6:7]
	v_lshl_add_u64 v[32:33], s[8:9], 2, v[32:33]
	s_delay_alu instid0(VALU_DEP_1)
	v_lshl_add_u64 v[32:33], v[48:49], 2, v[32:33]
	global_store_b32 v[32:33], v46, off
.LBB36_396:
	s_wait_xcnt 0x0
	s_or_b32 exec_lo, exec_lo, s0
	s_delay_alu instid0(SALU_CYCLE_1)
	s_mov_b32 s1, exec_lo
	v_cmpx_eq_u32_e32 0, v48
	s_cbranch_execz .LBB36_399
; %bb.397:
	s_wait_kmcnt 0x0
	v_lshl_add_u64 v[2:3], v[2:3], 2, s[4:5]
	v_cmp_ne_u32_e64 s0, 0, v51
	global_load_b32 v32, v[2:3], off
	s_wait_loadcnt 0x0
	v_cmp_eq_u32_e32 vcc_lo, 0, v32
	s_and_b32 s0, vcc_lo, s0
	s_wait_xcnt 0x0
	s_and_b32 exec_lo, exec_lo, s0
	s_cbranch_execz .LBB36_399
; %bb.398:
	v_add_nc_u32_e32 v32, s13, v51
	global_store_b32 v[2:3], v32, off
.LBB36_399:
	s_wait_xcnt 0x0
	s_or_b32 exec_lo, exec_lo, s1
	v_add3_u32 v2, s2, s2, v48
	v_pk_mul_f32 v[52:53], v[44:45], v[42:43] op_sel:[1,1] op_sel_hi:[0,1]
	v_cmp_lt_i32_e32 vcc_lo, 18, v48
	v_lshl_add_u64 v[48:49], v[48:49], 3, v[0:1]
	s_delay_alu instid0(VALU_DEP_4) | instskip(NEXT) | instid1(VALU_DEP_4)
	v_ashrrev_i32_e32 v3, 31, v2
	v_pk_fma_f32 v[56:57], v[44:45], v[42:43], v[52:53] op_sel_hi:[1,0,1]
	v_add_nc_u32_e32 v32, s2, v2
	v_pk_fma_f32 v[44:45], v[44:45], v[42:43], v[52:53] neg_lo:[0,0,1] neg_hi:[0,0,1]
	s_delay_alu instid0(VALU_DEP_4) | instskip(NEXT) | instid1(VALU_DEP_3)
	v_lshl_add_u64 v[2:3], v[2:3], 3, v[0:1]
	v_dual_cndmask_b32 v43, v43, v57 :: v_dual_add_nc_u32 v46, s2, v32
	s_delay_alu instid0(VALU_DEP_3)
	v_cndmask_b32_e32 v42, v42, v44, vcc_lo
	v_lshl_add_u64 v[44:45], s[2:3], 3, v[48:49]
	s_clause 0x1
	global_store_b64 v[48:49], v[40:41], off
	global_store_b64 v[44:45], v[38:39], off
	v_add_nc_u32_e32 v50, s2, v46
	s_delay_alu instid0(VALU_DEP_1) | instskip(SKIP_1) | instid1(VALU_DEP_2)
	v_dual_add_nc_u32 v54, s2, v50 :: v_dual_ashrrev_i32 v33, 31, v32
	v_ashrrev_i32_e32 v47, 31, v46
	v_add_nc_u32_e32 v52, s2, v54
	s_delay_alu instid0(VALU_DEP_3) | instskip(SKIP_1) | instid1(VALU_DEP_3)
	v_lshl_add_u64 v[32:33], v[32:33], 3, v[0:1]
	s_wait_xcnt 0x0
	v_lshl_add_u64 v[44:45], v[46:47], 3, v[0:1]
	s_delay_alu instid0(VALU_DEP_3) | instskip(NEXT) | instid1(VALU_DEP_1)
	v_add_nc_u32_e32 v56, s2, v52
	v_dual_add_nc_u32 v38, s2, v56 :: v_dual_ashrrev_i32 v55, 31, v54
	v_ashrrev_i32_e32 v53, 31, v52
	s_delay_alu instid0(VALU_DEP_2) | instskip(SKIP_1) | instid1(VALU_DEP_1)
	v_dual_ashrrev_i32 v57, 31, v56 :: v_dual_ashrrev_i32 v39, 31, v38
	v_add_nc_u32_e32 v40, s2, v38
	v_dual_ashrrev_i32 v51, 31, v50 :: v_dual_add_nc_u32 v48, s2, v40
	s_delay_alu instid0(VALU_DEP_1)
	v_lshl_add_u64 v[46:47], v[50:51], 3, v[0:1]
	s_clause 0x3
	global_store_b64 v[2:3], v[36:37], off
	global_store_b64 v[32:33], v[34:35], off
	;; [unrolled: 1-line block ×4, first 2 shown]
	s_wait_xcnt 0x1
	v_lshl_add_u64 v[22:23], v[54:55], 3, v[0:1]
	v_add_nc_u32_e32 v2, s2, v48
	v_lshl_add_u64 v[36:37], v[38:39], 3, v[0:1]
	v_ashrrev_i32_e32 v41, 31, v40
	v_lshl_add_u64 v[32:33], v[52:53], 3, v[0:1]
	v_lshl_add_u64 v[34:35], v[56:57], 3, v[0:1]
	s_wait_xcnt 0x0
	v_add_nc_u32_e32 v20, s2, v2
	s_clause 0x3
	global_store_b64 v[22:23], v[6:7], off
	global_store_b64 v[32:33], v[4:5], off
	;; [unrolled: 1-line block ×4, first 2 shown]
	v_ashrrev_i32_e32 v3, 31, v2
	s_wait_xcnt 0x3
	v_lshl_add_u64 v[22:23], v[40:41], 3, v[0:1]
	v_add_nc_u32_e32 v38, s2, v20
	v_ashrrev_i32_e32 v49, 31, v48
	v_lshl_add_u64 v[2:3], v[2:3], 3, v[0:1]
	s_wait_xcnt 0x2
	s_delay_alu instid0(VALU_DEP_3) | instskip(SKIP_2) | instid1(VALU_DEP_2)
	v_add_nc_u32_e32 v4, s2, v38
	s_wait_xcnt 0x0
	v_lshl_add_u64 v[28:29], v[48:49], 3, v[0:1]
	v_dual_ashrrev_i32 v39, 31, v38 :: v_dual_ashrrev_i32 v5, 31, v4
	v_add_nc_u32_e32 v6, s2, v4
	v_ashrrev_i32_e32 v21, 31, v20
	s_delay_alu instid0(VALU_DEP_3) | instskip(NEXT) | instid1(VALU_DEP_3)
	v_lshl_add_u64 v[4:5], v[4:5], 3, v[0:1]
	v_add_nc_u32_e32 v30, s2, v6
	s_delay_alu instid0(VALU_DEP_3)
	v_lshl_add_u64 v[20:21], v[20:21], 3, v[0:1]
	s_clause 0x3
	global_store_b64 v[22:23], v[14:15], off
	global_store_b64 v[28:29], v[12:13], off
	;; [unrolled: 1-line block ×4, first 2 shown]
	s_wait_xcnt 0x2
	v_lshl_add_u64 v[12:13], v[38:39], 3, v[0:1]
	s_wait_xcnt 0x1
	v_add_nc_u32_e32 v2, s2, v30
	v_ashrrev_i32_e32 v7, 31, v6
	v_ashrrev_i32_e32 v31, 31, v30
	s_delay_alu instid0(VALU_DEP_3) | instskip(NEXT) | instid1(VALU_DEP_3)
	v_ashrrev_i32_e32 v3, 31, v2
	v_lshl_add_u64 v[6:7], v[6:7], 3, v[0:1]
	s_delay_alu instid0(VALU_DEP_3) | instskip(NEXT) | instid1(VALU_DEP_3)
	v_lshl_add_u64 v[14:15], v[30:31], 3, v[0:1]
	v_lshl_add_u64 v[0:1], v[2:3], 3, v[0:1]
	s_clause 0x4
	global_store_b64 v[12:13], v[10:11], off
	global_store_b64 v[4:5], v[8:9], off
	;; [unrolled: 1-line block ×5, first 2 shown]
.LBB36_400:
	s_endpgm
	.section	.rodata,"a",@progbits
	.p2align	6, 0x0
	.amdhsa_kernel _ZN9rocsolver6v33100L18getf2_small_kernelILi19E19rocblas_complex_numIfEiiPS3_EEvT1_T3_lS5_lPS5_llPT2_S5_S5_S7_l
		.amdhsa_group_segment_fixed_size 0
		.amdhsa_private_segment_fixed_size 0
		.amdhsa_kernarg_size 352
		.amdhsa_user_sgpr_count 2
		.amdhsa_user_sgpr_dispatch_ptr 0
		.amdhsa_user_sgpr_queue_ptr 0
		.amdhsa_user_sgpr_kernarg_segment_ptr 1
		.amdhsa_user_sgpr_dispatch_id 0
		.amdhsa_user_sgpr_kernarg_preload_length 0
		.amdhsa_user_sgpr_kernarg_preload_offset 0
		.amdhsa_user_sgpr_private_segment_size 0
		.amdhsa_wavefront_size32 1
		.amdhsa_uses_dynamic_stack 0
		.amdhsa_enable_private_segment 0
		.amdhsa_system_sgpr_workgroup_id_x 1
		.amdhsa_system_sgpr_workgroup_id_y 1
		.amdhsa_system_sgpr_workgroup_id_z 0
		.amdhsa_system_sgpr_workgroup_info 0
		.amdhsa_system_vgpr_workitem_id 1
		.amdhsa_next_free_vgpr 64
		.amdhsa_next_free_sgpr 20
		.amdhsa_named_barrier_count 0
		.amdhsa_reserve_vcc 1
		.amdhsa_float_round_mode_32 0
		.amdhsa_float_round_mode_16_64 0
		.amdhsa_float_denorm_mode_32 3
		.amdhsa_float_denorm_mode_16_64 3
		.amdhsa_fp16_overflow 0
		.amdhsa_memory_ordered 1
		.amdhsa_forward_progress 1
		.amdhsa_inst_pref_size 230
		.amdhsa_round_robin_scheduling 0
		.amdhsa_exception_fp_ieee_invalid_op 0
		.amdhsa_exception_fp_denorm_src 0
		.amdhsa_exception_fp_ieee_div_zero 0
		.amdhsa_exception_fp_ieee_overflow 0
		.amdhsa_exception_fp_ieee_underflow 0
		.amdhsa_exception_fp_ieee_inexact 0
		.amdhsa_exception_int_div_zero 0
	.end_amdhsa_kernel
	.section	.text._ZN9rocsolver6v33100L18getf2_small_kernelILi19E19rocblas_complex_numIfEiiPS3_EEvT1_T3_lS5_lPS5_llPT2_S5_S5_S7_l,"axG",@progbits,_ZN9rocsolver6v33100L18getf2_small_kernelILi19E19rocblas_complex_numIfEiiPS3_EEvT1_T3_lS5_lPS5_llPT2_S5_S5_S7_l,comdat
.Lfunc_end36:
	.size	_ZN9rocsolver6v33100L18getf2_small_kernelILi19E19rocblas_complex_numIfEiiPS3_EEvT1_T3_lS5_lPS5_llPT2_S5_S5_S7_l, .Lfunc_end36-_ZN9rocsolver6v33100L18getf2_small_kernelILi19E19rocblas_complex_numIfEiiPS3_EEvT1_T3_lS5_lPS5_llPT2_S5_S5_S7_l
                                        ; -- End function
	.set _ZN9rocsolver6v33100L18getf2_small_kernelILi19E19rocblas_complex_numIfEiiPS3_EEvT1_T3_lS5_lPS5_llPT2_S5_S5_S7_l.num_vgpr, 64
	.set _ZN9rocsolver6v33100L18getf2_small_kernelILi19E19rocblas_complex_numIfEiiPS3_EEvT1_T3_lS5_lPS5_llPT2_S5_S5_S7_l.num_agpr, 0
	.set _ZN9rocsolver6v33100L18getf2_small_kernelILi19E19rocblas_complex_numIfEiiPS3_EEvT1_T3_lS5_lPS5_llPT2_S5_S5_S7_l.numbered_sgpr, 20
	.set _ZN9rocsolver6v33100L18getf2_small_kernelILi19E19rocblas_complex_numIfEiiPS3_EEvT1_T3_lS5_lPS5_llPT2_S5_S5_S7_l.num_named_barrier, 0
	.set _ZN9rocsolver6v33100L18getf2_small_kernelILi19E19rocblas_complex_numIfEiiPS3_EEvT1_T3_lS5_lPS5_llPT2_S5_S5_S7_l.private_seg_size, 0
	.set _ZN9rocsolver6v33100L18getf2_small_kernelILi19E19rocblas_complex_numIfEiiPS3_EEvT1_T3_lS5_lPS5_llPT2_S5_S5_S7_l.uses_vcc, 1
	.set _ZN9rocsolver6v33100L18getf2_small_kernelILi19E19rocblas_complex_numIfEiiPS3_EEvT1_T3_lS5_lPS5_llPT2_S5_S5_S7_l.uses_flat_scratch, 0
	.set _ZN9rocsolver6v33100L18getf2_small_kernelILi19E19rocblas_complex_numIfEiiPS3_EEvT1_T3_lS5_lPS5_llPT2_S5_S5_S7_l.has_dyn_sized_stack, 0
	.set _ZN9rocsolver6v33100L18getf2_small_kernelILi19E19rocblas_complex_numIfEiiPS3_EEvT1_T3_lS5_lPS5_llPT2_S5_S5_S7_l.has_recursion, 0
	.set _ZN9rocsolver6v33100L18getf2_small_kernelILi19E19rocblas_complex_numIfEiiPS3_EEvT1_T3_lS5_lPS5_llPT2_S5_S5_S7_l.has_indirect_call, 0
	.section	.AMDGPU.csdata,"",@progbits
; Kernel info:
; codeLenInByte = 29424
; TotalNumSgprs: 22
; NumVgprs: 64
; ScratchSize: 0
; MemoryBound: 0
; FloatMode: 240
; IeeeMode: 1
; LDSByteSize: 0 bytes/workgroup (compile time only)
; SGPRBlocks: 0
; VGPRBlocks: 3
; NumSGPRsForWavesPerEU: 22
; NumVGPRsForWavesPerEU: 64
; NamedBarCnt: 0
; Occupancy: 16
; WaveLimiterHint : 0
; COMPUTE_PGM_RSRC2:SCRATCH_EN: 0
; COMPUTE_PGM_RSRC2:USER_SGPR: 2
; COMPUTE_PGM_RSRC2:TRAP_HANDLER: 0
; COMPUTE_PGM_RSRC2:TGID_X_EN: 1
; COMPUTE_PGM_RSRC2:TGID_Y_EN: 1
; COMPUTE_PGM_RSRC2:TGID_Z_EN: 0
; COMPUTE_PGM_RSRC2:TIDIG_COMP_CNT: 1
	.section	.text._ZN9rocsolver6v33100L23getf2_npvt_small_kernelILi19E19rocblas_complex_numIfEiiPS3_EEvT1_T3_lS5_lPT2_S5_S5_,"axG",@progbits,_ZN9rocsolver6v33100L23getf2_npvt_small_kernelILi19E19rocblas_complex_numIfEiiPS3_EEvT1_T3_lS5_lPT2_S5_S5_,comdat
	.globl	_ZN9rocsolver6v33100L23getf2_npvt_small_kernelILi19E19rocblas_complex_numIfEiiPS3_EEvT1_T3_lS5_lPT2_S5_S5_ ; -- Begin function _ZN9rocsolver6v33100L23getf2_npvt_small_kernelILi19E19rocblas_complex_numIfEiiPS3_EEvT1_T3_lS5_lPT2_S5_S5_
	.p2align	8
	.type	_ZN9rocsolver6v33100L23getf2_npvt_small_kernelILi19E19rocblas_complex_numIfEiiPS3_EEvT1_T3_lS5_lPT2_S5_S5_,@function
_ZN9rocsolver6v33100L23getf2_npvt_small_kernelILi19E19rocblas_complex_numIfEiiPS3_EEvT1_T3_lS5_lPT2_S5_S5_: ; @_ZN9rocsolver6v33100L23getf2_npvt_small_kernelILi19E19rocblas_complex_numIfEiiPS3_EEvT1_T3_lS5_lPT2_S5_S5_
; %bb.0:
	s_clause 0x1
	s_load_u16 s14, s[0:1], 0x46
	s_load_b64 s[2:3], s[0:1], 0x30
	s_bfe_u32 s4, ttmp6, 0x40010
	s_bfe_u32 s5, ttmp6, 0x40004
	s_add_co_i32 s4, s4, 1
	s_getreg_b32 s6, hwreg(HW_REG_IB_STS2, 6, 4)
	s_mul_i32 s4, ttmp7, s4
	v_bfe_u32 v78, v0, 10, 10
	s_add_co_i32 s5, s5, s4
	s_cmp_eq_u32 s6, 0
	s_cselect_b32 s4, ttmp7, s5
	s_wait_kmcnt 0x0
	v_mad_u32 v2, s4, s14, v78
	s_delay_alu instid0(VALU_DEP_1)
	v_cmp_gt_i32_e32 vcc_lo, s2, v2
	s_and_saveexec_b32 s2, vcc_lo
	s_cbranch_execz .LBB37_174
; %bb.1:
	s_clause 0x1
	s_load_b32 s12, s[0:1], 0x18
	s_load_b128 s[4:7], s[0:1], 0x20
	v_and_b32_e32 v116, 0x3ff, v0
	s_load_b128 s[8:11], s[0:1], 0x8
	s_mulk_i32 s14, 0x98
	v_mad_u32_u24 v118, 0x98, v78, 0
	v_mov_b32_e32 v9, 0
	s_wait_xcnt 0x0
	v_cmp_ne_u32_e64 s1, 0, v116
	v_cmp_eq_u32_e64 s0, 0, v116
	v_lshlrev_b32_e32 v79, 3, v78
	s_delay_alu instid0(VALU_DEP_1) | instskip(SKIP_4) | instid1(VALU_DEP_2)
	v_add3_u32 v117, 0, s14, v79
	s_wait_kmcnt 0x0
	v_add3_u32 v0, s12, s12, v116
	v_ashrrev_i32_e32 v3, 31, v2
	s_ashr_i32 s13, s12, 31
	v_add_nc_u32_e32 v4, s12, v0
	s_delay_alu instid0(VALU_DEP_2) | instskip(NEXT) | instid1(VALU_DEP_2)
	v_mul_u64_e32 v[6:7], s[4:5], v[2:3]
	v_add_nc_u32_e32 v10, s12, v4
	s_delay_alu instid0(VALU_DEP_1) | instskip(NEXT) | instid1(VALU_DEP_1)
	v_add_nc_u32_e32 v12, s12, v10
	v_add_nc_u32_e32 v14, s12, v12
	s_delay_alu instid0(VALU_DEP_1) | instskip(SKIP_1) | instid1(VALU_DEP_2)
	v_dual_add_nc_u32 v16, s12, v14 :: v_dual_ashrrev_i32 v15, 31, v14
	v_dual_lshlrev_b32 v8, 3, v116 :: v_dual_ashrrev_i32 v11, 31, v10
	v_add_nc_u32_e32 v20, s12, v16
	s_delay_alu instid0(VALU_DEP_1) | instskip(SKIP_3) | instid1(VALU_DEP_4)
	v_add_nc_u32_e32 v22, s12, v20
	v_ashrrev_i32_e32 v1, 31, v0
	v_ashrrev_i32_e32 v5, 31, v4
	v_lshl_add_u64 v[6:7], v[6:7], 3, s[8:9]
	v_dual_add_nc_u32 v28, s12, v22 :: v_dual_ashrrev_i32 v23, 31, v22
	s_delay_alu instid0(VALU_DEP_2) | instskip(NEXT) | instid1(VALU_DEP_2)
	v_lshl_add_u64 v[46:47], s[10:11], 3, v[6:7]
	v_dual_add_nc_u32 v32, s12, v28 :: v_dual_ashrrev_i32 v29, 31, v28
	s_delay_alu instid0(VALU_DEP_2) | instskip(SKIP_1) | instid1(VALU_DEP_3)
	v_add_nc_u64_e32 v[18:19], v[46:47], v[8:9]
	v_lshl_add_u64 v[10:11], v[10:11], 3, v[46:47]
	v_dual_add_nc_u32 v34, s12, v32 :: v_dual_ashrrev_i32 v33, 31, v32
	v_ashrrev_i32_e32 v13, 31, v12
	v_ashrrev_i32_e32 v17, 31, v16
	v_lshl_add_u64 v[6:7], v[14:15], 3, v[46:47]
	s_delay_alu instid0(VALU_DEP_4) | instskip(SKIP_3) | instid1(VALU_DEP_4)
	v_dual_add_nc_u32 v36, s12, v34 :: v_dual_ashrrev_i32 v35, 31, v34
	v_lshl_add_u64 v[8:9], v[4:5], 3, v[46:47]
	v_lshl_add_u64 v[4:5], v[12:13], 3, v[46:47]
	;; [unrolled: 1-line block ×3, first 2 shown]
	v_dual_add_nc_u32 v52, s12, v36 :: v_dual_ashrrev_i32 v37, 31, v36
	v_lshl_add_u64 v[34:35], v[34:35], 3, v[46:47]
	v_lshl_add_u64 v[16:17], v[22:23], 3, v[46:47]
	;; [unrolled: 1-line block ×3, first 2 shown]
	s_delay_alu instid0(VALU_DEP_4)
	v_add_nc_u32_e32 v54, s12, v52
	v_ashrrev_i32_e32 v21, 31, v20
	v_lshl_add_u64 v[36:37], v[36:37], 3, v[46:47]
	v_lshl_add_u64 v[0:1], v[0:1], 3, v[46:47]
	;; [unrolled: 1-line block ×3, first 2 shown]
	v_add_nc_u32_e32 v56, s12, v54
	v_lshl_add_u64 v[14:15], v[20:21], 3, v[46:47]
	v_lshl_add_u64 v[32:33], v[32:33], 3, v[46:47]
	s_clause 0x7
	global_load_b64 v[26:27], v[10:11], off
	global_load_b64 v[22:23], v[4:5], off
	;; [unrolled: 1-line block ×8, first 2 shown]
	v_dual_add_nc_u32 v58, s12, v56 :: v_dual_ashrrev_i32 v57, 31, v56
	s_clause 0x3
	global_load_b64 v[44:45], v[14:15], off
	global_load_b64 v[40:41], v[16:17], off
	;; [unrolled: 1-line block ×4, first 2 shown]
	v_add_nc_u32_e32 v64, s12, v58
	v_dual_ashrrev_i32 v55, 31, v54 :: v_dual_ashrrev_i32 v53, 31, v52
	v_ashrrev_i32_e32 v59, 31, v58
	v_lshl_add_u64 v[56:57], v[56:57], 3, v[46:47]
	s_delay_alu instid0(VALU_DEP_4) | instskip(NEXT) | instid1(VALU_DEP_4)
	v_ashrrev_i32_e32 v65, 31, v64
	v_lshl_add_u64 v[54:55], v[54:55], 3, v[46:47]
	v_lshl_add_u64 v[52:53], v[52:53], 3, v[46:47]
	;; [unrolled: 1-line block ×3, first 2 shown]
	s_delay_alu instid0(VALU_DEP_4)
	v_lshl_add_u64 v[46:47], v[64:65], 3, v[46:47]
	s_clause 0x6
	global_load_b64 v[70:71], v[34:35], off
	global_load_b64 v[66:67], v[36:37], off
	;; [unrolled: 1-line block ×7, first 2 shown]
	s_wait_xcnt 0x0
	s_and_saveexec_b32 s4, s0
	s_cbranch_execz .LBB37_8
; %bb.2:
	s_wait_loadcnt 0xe
	ds_store_b64 v117, v[60:61]
	s_wait_loadcnt 0xc
	ds_store_2addr_b64 v118, v[62:63], v[50:51] offset0:1 offset1:2
	s_wait_loadcnt 0xb
	ds_store_2addr_b64 v118, v[48:49], v[26:27] offset0:3 offset1:4
	ds_store_2addr_b64 v118, v[22:23], v[24:25] offset0:5 offset1:6
	s_wait_loadcnt 0xa
	ds_store_2addr_b64 v118, v[20:21], v[44:45] offset0:7 offset1:8
	s_wait_loadcnt 0x8
	;; [unrolled: 2-line block ×6, first 2 shown]
	ds_store_2addr_b64 v118, v[72:73], v[76:77] offset0:17 offset1:18
	ds_load_b64 v[78:79], v117
	s_wait_dscnt 0x0
	v_cmp_neq_f32_e32 vcc_lo, 0, v78
	v_cmp_neq_f32_e64 s2, 0, v79
	s_or_b32 s2, vcc_lo, s2
	s_delay_alu instid0(SALU_CYCLE_1)
	s_and_b32 exec_lo, exec_lo, s2
	s_cbranch_execz .LBB37_8
; %bb.3:
	v_cmp_ngt_f32_e64 s2, |v78|, |v79|
                                        ; implicit-def: $vgpr80_vgpr81
	s_and_saveexec_b32 s5, s2
	s_delay_alu instid0(SALU_CYCLE_1)
	s_xor_b32 s2, exec_lo, s5
	s_cbranch_execz .LBB37_5
; %bb.4:
	v_div_scale_f32 v80, null, v79, v79, v78
	v_div_scale_f32 v83, vcc_lo, v78, v79, v78
	s_delay_alu instid0(VALU_DEP_2) | instskip(SKIP_1) | instid1(TRANS32_DEP_1)
	v_rcp_f32_e32 v81, v80
	v_nop
	v_fma_f32 v82, -v80, v81, 1.0
	s_delay_alu instid0(VALU_DEP_1) | instskip(NEXT) | instid1(VALU_DEP_1)
	v_fmac_f32_e32 v81, v82, v81
	v_mul_f32_e32 v82, v83, v81
	s_delay_alu instid0(VALU_DEP_1) | instskip(NEXT) | instid1(VALU_DEP_1)
	v_fma_f32 v84, -v80, v82, v83
	v_fmac_f32_e32 v82, v84, v81
	s_delay_alu instid0(VALU_DEP_1) | instskip(NEXT) | instid1(VALU_DEP_1)
	v_fma_f32 v80, -v80, v82, v83
	v_div_fmas_f32 v80, v80, v81, v82
	s_delay_alu instid0(VALU_DEP_1) | instskip(NEXT) | instid1(VALU_DEP_1)
	v_div_fixup_f32 v80, v80, v79, v78
	v_fmac_f32_e32 v79, v78, v80
	s_delay_alu instid0(VALU_DEP_1) | instskip(SKIP_1) | instid1(VALU_DEP_2)
	v_div_scale_f32 v78, null, v79, v79, 1.0
	v_div_scale_f32 v83, vcc_lo, 1.0, v79, 1.0
	v_rcp_f32_e32 v81, v78
	v_nop
	s_delay_alu instid0(TRANS32_DEP_1) | instskip(NEXT) | instid1(VALU_DEP_1)
	v_fma_f32 v82, -v78, v81, 1.0
	v_fmac_f32_e32 v81, v82, v81
	s_delay_alu instid0(VALU_DEP_1) | instskip(NEXT) | instid1(VALU_DEP_1)
	v_mul_f32_e32 v82, v83, v81
	v_fma_f32 v84, -v78, v82, v83
	s_delay_alu instid0(VALU_DEP_1) | instskip(NEXT) | instid1(VALU_DEP_1)
	v_fmac_f32_e32 v82, v84, v81
	v_fma_f32 v78, -v78, v82, v83
	s_delay_alu instid0(VALU_DEP_1) | instskip(NEXT) | instid1(VALU_DEP_1)
	v_div_fmas_f32 v78, v78, v81, v82
	v_div_fixup_f32 v78, v78, v79, 1.0
	s_delay_alu instid0(VALU_DEP_1)
	v_mul_f32_e32 v80, v80, v78
	v_xor_b32_e32 v81, 0x80000000, v78
                                        ; implicit-def: $vgpr78_vgpr79
.LBB37_5:
	s_and_not1_saveexec_b32 s2, s2
	s_cbranch_execz .LBB37_7
; %bb.6:
	v_div_scale_f32 v80, null, v78, v78, v79
	v_div_scale_f32 v83, vcc_lo, v79, v78, v79
	s_delay_alu instid0(VALU_DEP_2) | instskip(SKIP_1) | instid1(TRANS32_DEP_1)
	v_rcp_f32_e32 v81, v80
	v_nop
	v_fma_f32 v82, -v80, v81, 1.0
	s_delay_alu instid0(VALU_DEP_1) | instskip(NEXT) | instid1(VALU_DEP_1)
	v_fmac_f32_e32 v81, v82, v81
	v_mul_f32_e32 v82, v83, v81
	s_delay_alu instid0(VALU_DEP_1) | instskip(NEXT) | instid1(VALU_DEP_1)
	v_fma_f32 v84, -v80, v82, v83
	v_fmac_f32_e32 v82, v84, v81
	s_delay_alu instid0(VALU_DEP_1) | instskip(NEXT) | instid1(VALU_DEP_1)
	v_fma_f32 v80, -v80, v82, v83
	v_div_fmas_f32 v80, v80, v81, v82
	s_delay_alu instid0(VALU_DEP_1) | instskip(NEXT) | instid1(VALU_DEP_1)
	v_div_fixup_f32 v81, v80, v78, v79
	v_fmac_f32_e32 v78, v79, v81
	s_delay_alu instid0(VALU_DEP_1) | instskip(NEXT) | instid1(VALU_DEP_1)
	v_div_scale_f32 v79, null, v78, v78, 1.0
	v_rcp_f32_e32 v80, v79
	v_nop
	s_delay_alu instid0(TRANS32_DEP_1) | instskip(NEXT) | instid1(VALU_DEP_1)
	v_fma_f32 v82, -v79, v80, 1.0
	v_fmac_f32_e32 v80, v82, v80
	v_div_scale_f32 v82, vcc_lo, 1.0, v78, 1.0
	s_delay_alu instid0(VALU_DEP_1) | instskip(NEXT) | instid1(VALU_DEP_1)
	v_mul_f32_e32 v83, v82, v80
	v_fma_f32 v84, -v79, v83, v82
	s_delay_alu instid0(VALU_DEP_1) | instskip(NEXT) | instid1(VALU_DEP_1)
	v_fmac_f32_e32 v83, v84, v80
	v_fma_f32 v79, -v79, v83, v82
	s_delay_alu instid0(VALU_DEP_1) | instskip(NEXT) | instid1(VALU_DEP_1)
	v_div_fmas_f32 v79, v79, v80, v83
	v_div_fixup_f32 v80, v79, v78, 1.0
	s_delay_alu instid0(VALU_DEP_1)
	v_mul_f32_e64 v81, v81, -v80
.LBB37_7:
	s_or_b32 exec_lo, exec_lo, s2
	ds_store_b64 v117, v[80:81]
.LBB37_8:
	s_or_b32 exec_lo, exec_lo, s4
	s_wait_loadcnt_dscnt 0x0
	s_barrier_signal -1
	s_barrier_wait -1
	ds_load_b64 v[78:79], v117
	s_and_saveexec_b32 s2, s1
	s_cbranch_execz .LBB37_10
; %bb.9:
	ds_load_2addr_b64 v[84:87], v118 offset0:1 offset1:2
	s_wait_dscnt 0x1
	v_pk_mul_f32 v[82:83], v[78:79], v[60:61] op_sel:[1,1] op_sel_hi:[0,1]
	s_delay_alu instid0(VALU_DEP_1) | instskip(SKIP_1) | instid1(VALU_DEP_1)
	v_pk_fma_f32 v[80:81], v[78:79], v[60:61], v[82:83] op_sel_hi:[1,0,1] neg_lo:[0,0,1] neg_hi:[0,0,1]
	v_pk_fma_f32 v[82:83], v[78:79], v[60:61], v[82:83] op_sel_hi:[1,0,1]
	v_dual_mov_b32 v60, v80 :: v_dual_mov_b32 v61, v83
	s_wait_dscnt 0x0
	s_delay_alu instid0(VALU_DEP_2) | instskip(NEXT) | instid1(VALU_DEP_1)
	v_pk_mul_f32 v[88:89], v[84:85], v[82:83] op_sel:[0,1]
	v_pk_fma_f32 v[90:91], v[84:85], v[80:81], v[88:89] op_sel:[0,0,1] op_sel_hi:[1,1,0] neg_lo:[0,0,1] neg_hi:[0,0,1]
	v_pk_fma_f32 v[84:85], v[84:85], v[80:81], v[88:89] op_sel:[0,0,1] op_sel_hi:[1,0,0]
	s_delay_alu instid0(VALU_DEP_1) | instskip(SKIP_1) | instid1(VALU_DEP_1)
	v_mov_b32_e32 v91, v85
	v_pk_mul_f32 v[84:85], v[86:87], v[82:83] op_sel:[0,1]
	v_pk_fma_f32 v[88:89], v[86:87], v[80:81], v[84:85] op_sel:[0,0,1] op_sel_hi:[1,1,0] neg_lo:[0,0,1] neg_hi:[0,0,1]
	v_pk_fma_f32 v[84:85], v[86:87], v[80:81], v[84:85] op_sel:[0,0,1] op_sel_hi:[1,0,0]
	s_delay_alu instid0(VALU_DEP_1)
	v_mov_b32_e32 v89, v85
	ds_load_2addr_b64 v[84:87], v118 offset0:3 offset1:4
	v_pk_add_f32 v[62:63], v[62:63], v[90:91] neg_lo:[0,1] neg_hi:[0,1]
	v_pk_add_f32 v[50:51], v[50:51], v[88:89] neg_lo:[0,1] neg_hi:[0,1]
	s_wait_dscnt 0x0
	v_pk_mul_f32 v[88:89], v[84:85], v[82:83] op_sel:[0,1]
	s_delay_alu instid0(VALU_DEP_1) | instskip(SKIP_2) | instid1(VALU_DEP_2)
	v_pk_fma_f32 v[90:91], v[84:85], v[80:81], v[88:89] op_sel:[0,0,1] op_sel_hi:[1,1,0] neg_lo:[0,0,1] neg_hi:[0,0,1]
	v_pk_fma_f32 v[84:85], v[84:85], v[80:81], v[88:89] op_sel:[0,0,1] op_sel_hi:[1,0,0]
	v_dual_mul_f32 v88, v87, v83 :: v_dual_mov_b32 v84, v87
	v_dual_mov_b32 v91, v85 :: v_dual_mov_b32 v85, v86
	s_delay_alu instid0(VALU_DEP_2) | instskip(SKIP_1) | instid1(VALU_DEP_3)
	v_pk_fma_f32 v[88:89], v[86:87], v[60:61], v[88:89] op_sel_hi:[1,1,0] neg_lo:[0,0,1] neg_hi:[0,0,1]
	v_mul_f32_e32 v86, v87, v80
	v_pk_add_f32 v[48:49], v[48:49], v[90:91] neg_lo:[0,1] neg_hi:[0,1]
	s_delay_alu instid0(VALU_DEP_2) | instskip(NEXT) | instid1(VALU_DEP_1)
	v_pk_fma_f32 v[84:85], v[84:85], v[60:61], v[86:87] op_sel_hi:[1,1,0]
	v_mov_b32_e32 v89, v85
	ds_load_2addr_b64 v[84:87], v118 offset0:5 offset1:6
	v_pk_add_f32 v[26:27], v[26:27], v[88:89] neg_lo:[0,1] neg_hi:[0,1]
	s_wait_dscnt 0x0
	v_pk_mul_f32 v[88:89], v[84:85], v[82:83] op_sel:[0,1]
	s_delay_alu instid0(VALU_DEP_1) | instskip(SKIP_1) | instid1(VALU_DEP_1)
	v_pk_fma_f32 v[90:91], v[84:85], v[80:81], v[88:89] op_sel:[0,0,1] op_sel_hi:[1,1,0] neg_lo:[0,0,1] neg_hi:[0,0,1]
	v_pk_fma_f32 v[84:85], v[84:85], v[80:81], v[88:89] op_sel:[0,0,1] op_sel_hi:[1,0,0]
	v_mov_b32_e32 v91, v85
	v_pk_mul_f32 v[84:85], v[86:87], v[82:83] op_sel:[0,1]
	s_delay_alu instid0(VALU_DEP_1) | instskip(SKIP_1) | instid1(VALU_DEP_1)
	v_pk_fma_f32 v[88:89], v[86:87], v[80:81], v[84:85] op_sel:[0,0,1] op_sel_hi:[1,1,0] neg_lo:[0,0,1] neg_hi:[0,0,1]
	v_pk_fma_f32 v[84:85], v[86:87], v[80:81], v[84:85] op_sel:[0,0,1] op_sel_hi:[1,0,0]
	v_mov_b32_e32 v89, v85
	ds_load_2addr_b64 v[84:87], v118 offset0:7 offset1:8
	v_pk_add_f32 v[22:23], v[22:23], v[90:91] neg_lo:[0,1] neg_hi:[0,1]
	v_pk_add_f32 v[24:25], v[24:25], v[88:89] neg_lo:[0,1] neg_hi:[0,1]
	s_wait_dscnt 0x0
	v_pk_mul_f32 v[88:89], v[84:85], v[82:83] op_sel:[0,1]
	s_delay_alu instid0(VALU_DEP_1) | instskip(SKIP_1) | instid1(VALU_DEP_1)
	v_pk_fma_f32 v[90:91], v[84:85], v[80:81], v[88:89] op_sel:[0,0,1] op_sel_hi:[1,1,0] neg_lo:[0,0,1] neg_hi:[0,0,1]
	v_pk_fma_f32 v[84:85], v[84:85], v[80:81], v[88:89] op_sel:[0,0,1] op_sel_hi:[1,0,0]
	v_mov_b32_e32 v91, v85
	v_pk_mul_f32 v[84:85], v[86:87], v[82:83] op_sel:[0,1]
	s_delay_alu instid0(VALU_DEP_1) | instskip(SKIP_1) | instid1(VALU_DEP_1)
	v_pk_fma_f32 v[88:89], v[86:87], v[80:81], v[84:85] op_sel:[0,0,1] op_sel_hi:[1,1,0] neg_lo:[0,0,1] neg_hi:[0,0,1]
	v_pk_fma_f32 v[84:85], v[86:87], v[80:81], v[84:85] op_sel:[0,0,1] op_sel_hi:[1,0,0]
	v_mov_b32_e32 v89, v85
	ds_load_2addr_b64 v[84:87], v118 offset0:9 offset1:10
	v_pk_add_f32 v[20:21], v[20:21], v[90:91] neg_lo:[0,1] neg_hi:[0,1]
	v_pk_add_f32 v[44:45], v[44:45], v[88:89] neg_lo:[0,1] neg_hi:[0,1]
	s_wait_dscnt 0x0
	v_dual_mul_f32 v88, v85, v83 :: v_dual_mul_f32 v90, v85, v80
	s_delay_alu instid0(VALU_DEP_1) | instskip(NEXT) | instid1(VALU_DEP_2)
	v_pk_fma_f32 v[88:89], v[84:85], v[60:61], v[88:89] op_sel_hi:[1,1,0] neg_lo:[0,0,1] neg_hi:[0,0,1]
	v_pk_fma_f32 v[84:85], v[84:85], v[60:61], v[90:91] op_sel:[1,0,0] op_sel_hi:[0,1,0]
	s_delay_alu instid0(VALU_DEP_1) | instskip(SKIP_1) | instid1(VALU_DEP_2)
	v_mov_b32_e32 v89, v85
	v_pk_mul_f32 v[84:85], v[86:87], v[82:83] op_sel:[0,1]
	v_pk_add_f32 v[40:41], v[40:41], v[88:89] neg_lo:[0,1] neg_hi:[0,1]
	s_delay_alu instid0(VALU_DEP_2) | instskip(SKIP_1) | instid1(VALU_DEP_1)
	v_pk_fma_f32 v[88:89], v[86:87], v[80:81], v[84:85] op_sel:[0,0,1] op_sel_hi:[1,1,0] neg_lo:[0,0,1] neg_hi:[0,0,1]
	v_pk_fma_f32 v[84:85], v[86:87], v[80:81], v[84:85] op_sel:[0,0,1] op_sel_hi:[1,0,0]
	v_mov_b32_e32 v89, v85
	ds_load_2addr_b64 v[84:87], v118 offset0:11 offset1:12
	v_pk_add_f32 v[42:43], v[42:43], v[88:89] neg_lo:[0,1] neg_hi:[0,1]
	s_wait_dscnt 0x0
	v_pk_mul_f32 v[88:89], v[84:85], v[82:83] op_sel:[0,1]
	s_delay_alu instid0(VALU_DEP_1) | instskip(SKIP_1) | instid1(VALU_DEP_1)
	v_pk_fma_f32 v[90:91], v[84:85], v[80:81], v[88:89] op_sel:[0,0,1] op_sel_hi:[1,1,0] neg_lo:[0,0,1] neg_hi:[0,0,1]
	v_pk_fma_f32 v[84:85], v[84:85], v[80:81], v[88:89] op_sel:[0,0,1] op_sel_hi:[1,0,0]
	v_mov_b32_e32 v91, v85
	v_pk_mul_f32 v[84:85], v[86:87], v[82:83] op_sel:[0,1]
	s_delay_alu instid0(VALU_DEP_2) | instskip(NEXT) | instid1(VALU_DEP_2)
	v_pk_add_f32 v[38:39], v[38:39], v[90:91] neg_lo:[0,1] neg_hi:[0,1]
	v_pk_fma_f32 v[88:89], v[86:87], v[80:81], v[84:85] op_sel:[0,0,1] op_sel_hi:[1,1,0] neg_lo:[0,0,1] neg_hi:[0,0,1]
	v_pk_fma_f32 v[84:85], v[86:87], v[80:81], v[84:85] op_sel:[0,0,1] op_sel_hi:[1,0,0]
	s_delay_alu instid0(VALU_DEP_1) | instskip(SKIP_4) | instid1(VALU_DEP_1)
	v_mov_b32_e32 v89, v85
	ds_load_2addr_b64 v[84:87], v118 offset0:13 offset1:14
	v_pk_add_f32 v[70:71], v[70:71], v[88:89] neg_lo:[0,1] neg_hi:[0,1]
	s_wait_dscnt 0x0
	v_pk_mul_f32 v[88:89], v[84:85], v[82:83] op_sel:[0,1]
	v_pk_fma_f32 v[90:91], v[84:85], v[80:81], v[88:89] op_sel:[0,0,1] op_sel_hi:[1,1,0] neg_lo:[0,0,1] neg_hi:[0,0,1]
	v_pk_fma_f32 v[84:85], v[84:85], v[80:81], v[88:89] op_sel:[0,0,1] op_sel_hi:[1,0,0]
	v_dual_mul_f32 v88, v87, v83 :: v_dual_mov_b32 v84, v87
	s_delay_alu instid0(VALU_DEP_2) | instskip(NEXT) | instid1(VALU_DEP_2)
	v_dual_mov_b32 v91, v85 :: v_dual_mov_b32 v85, v86
	v_pk_fma_f32 v[88:89], v[86:87], v[60:61], v[88:89] op_sel_hi:[1,1,0] neg_lo:[0,0,1] neg_hi:[0,0,1]
	v_mul_f32_e32 v86, v87, v80
	s_delay_alu instid0(VALU_DEP_3) | instskip(NEXT) | instid1(VALU_DEP_2)
	v_pk_add_f32 v[66:67], v[66:67], v[90:91] neg_lo:[0,1] neg_hi:[0,1]
	v_pk_fma_f32 v[84:85], v[84:85], v[60:61], v[86:87] op_sel_hi:[1,1,0]
	s_delay_alu instid0(VALU_DEP_1) | instskip(SKIP_4) | instid1(VALU_DEP_1)
	v_mov_b32_e32 v89, v85
	ds_load_2addr_b64 v[84:87], v118 offset0:15 offset1:16
	v_pk_add_f32 v[68:69], v[68:69], v[88:89] neg_lo:[0,1] neg_hi:[0,1]
	s_wait_dscnt 0x0
	v_pk_mul_f32 v[88:89], v[84:85], v[82:83] op_sel:[0,1]
	v_pk_fma_f32 v[90:91], v[84:85], v[80:81], v[88:89] op_sel:[0,0,1] op_sel_hi:[1,1,0] neg_lo:[0,0,1] neg_hi:[0,0,1]
	v_pk_fma_f32 v[84:85], v[84:85], v[80:81], v[88:89] op_sel:[0,0,1] op_sel_hi:[1,0,0]
	s_delay_alu instid0(VALU_DEP_1) | instskip(SKIP_1) | instid1(VALU_DEP_1)
	v_mov_b32_e32 v91, v85
	v_pk_mul_f32 v[84:85], v[86:87], v[82:83] op_sel:[0,1]
	v_pk_fma_f32 v[88:89], v[86:87], v[80:81], v[84:85] op_sel:[0,0,1] op_sel_hi:[1,1,0] neg_lo:[0,0,1] neg_hi:[0,0,1]
	v_pk_fma_f32 v[84:85], v[86:87], v[80:81], v[84:85] op_sel:[0,0,1] op_sel_hi:[1,0,0]
	s_delay_alu instid0(VALU_DEP_1)
	v_mov_b32_e32 v89, v85
	ds_load_2addr_b64 v[84:87], v118 offset0:17 offset1:18
	v_pk_add_f32 v[64:65], v[64:65], v[90:91] neg_lo:[0,1] neg_hi:[0,1]
	v_pk_add_f32 v[74:75], v[74:75], v[88:89] neg_lo:[0,1] neg_hi:[0,1]
	s_wait_dscnt 0x0
	v_pk_mul_f32 v[88:89], v[84:85], v[82:83] op_sel:[0,1]
	v_mul_f32_e32 v82, v87, v83
	s_delay_alu instid0(VALU_DEP_2) | instskip(SKIP_2) | instid1(VALU_DEP_4)
	v_pk_fma_f32 v[90:91], v[84:85], v[80:81], v[88:89] op_sel:[0,0,1] op_sel_hi:[1,1,0] neg_lo:[0,0,1] neg_hi:[0,0,1]
	v_pk_fma_f32 v[84:85], v[84:85], v[80:81], v[88:89] op_sel:[0,0,1] op_sel_hi:[1,0,0]
	v_dual_mov_b32 v84, v87 :: v_dual_mul_f32 v80, v87, v80
	v_pk_fma_f32 v[82:83], v[86:87], v[60:61], v[82:83] op_sel_hi:[1,1,0] neg_lo:[0,0,1] neg_hi:[0,0,1]
	s_delay_alu instid0(VALU_DEP_3) | instskip(NEXT) | instid1(VALU_DEP_1)
	v_dual_mov_b32 v91, v85 :: v_dual_mov_b32 v85, v86
	v_pk_add_f32 v[72:73], v[72:73], v[90:91] neg_lo:[0,1] neg_hi:[0,1]
	s_delay_alu instid0(VALU_DEP_2) | instskip(NEXT) | instid1(VALU_DEP_1)
	v_pk_fma_f32 v[80:81], v[84:85], v[60:61], v[80:81] op_sel_hi:[1,1,0]
	v_mov_b32_e32 v83, v81
	s_delay_alu instid0(VALU_DEP_1)
	v_pk_add_f32 v[76:77], v[76:77], v[82:83] neg_lo:[0,1] neg_hi:[0,1]
.LBB37_10:
	s_or_b32 exec_lo, exec_lo, s2
	s_delay_alu instid0(SALU_CYCLE_1)
	s_mov_b32 s2, exec_lo
	s_wait_dscnt 0x0
	s_barrier_signal -1
	s_barrier_wait -1
	v_cmpx_eq_u32_e32 1, v116
	s_cbranch_execz .LBB37_17
; %bb.11:
	v_dual_mov_b32 v80, v50 :: v_dual_mov_b32 v81, v51
	v_dual_mov_b32 v82, v48 :: v_dual_mov_b32 v83, v49
	ds_store_b64 v117, v[62:63]
	ds_store_2addr_b64 v118, v[80:81], v[82:83] offset0:2 offset1:3
	v_dual_mov_b32 v80, v26 :: v_dual_mov_b32 v81, v27
	v_dual_mov_b32 v82, v22 :: v_dual_mov_b32 v83, v23
	ds_store_2addr_b64 v118, v[80:81], v[82:83] offset0:4 offset1:5
	v_dual_mov_b32 v80, v24 :: v_dual_mov_b32 v81, v25
	v_dual_mov_b32 v82, v20 :: v_dual_mov_b32 v83, v21
	;; [unrolled: 3-line block ×7, first 2 shown]
	ds_store_2addr_b64 v118, v[80:81], v[82:83] offset0:16 offset1:17
	ds_store_b64 v118, v[76:77] offset:144
	ds_load_b64 v[80:81], v117
	s_wait_dscnt 0x0
	v_cmp_neq_f32_e32 vcc_lo, 0, v80
	v_cmp_neq_f32_e64 s1, 0, v81
	s_or_b32 s1, vcc_lo, s1
	s_delay_alu instid0(SALU_CYCLE_1)
	s_and_b32 exec_lo, exec_lo, s1
	s_cbranch_execz .LBB37_17
; %bb.12:
	v_cmp_ngt_f32_e64 s1, |v80|, |v81|
                                        ; implicit-def: $vgpr82_vgpr83
	s_and_saveexec_b32 s4, s1
	s_delay_alu instid0(SALU_CYCLE_1)
	s_xor_b32 s1, exec_lo, s4
	s_cbranch_execz .LBB37_14
; %bb.13:
	v_div_scale_f32 v82, null, v81, v81, v80
	v_div_scale_f32 v85, vcc_lo, v80, v81, v80
	s_delay_alu instid0(VALU_DEP_2) | instskip(SKIP_1) | instid1(TRANS32_DEP_1)
	v_rcp_f32_e32 v83, v82
	v_nop
	v_fma_f32 v84, -v82, v83, 1.0
	s_delay_alu instid0(VALU_DEP_1) | instskip(NEXT) | instid1(VALU_DEP_1)
	v_fmac_f32_e32 v83, v84, v83
	v_mul_f32_e32 v84, v85, v83
	s_delay_alu instid0(VALU_DEP_1) | instskip(NEXT) | instid1(VALU_DEP_1)
	v_fma_f32 v86, -v82, v84, v85
	v_fmac_f32_e32 v84, v86, v83
	s_delay_alu instid0(VALU_DEP_1) | instskip(NEXT) | instid1(VALU_DEP_1)
	v_fma_f32 v82, -v82, v84, v85
	v_div_fmas_f32 v82, v82, v83, v84
	s_delay_alu instid0(VALU_DEP_1) | instskip(NEXT) | instid1(VALU_DEP_1)
	v_div_fixup_f32 v82, v82, v81, v80
	v_fmac_f32_e32 v81, v80, v82
	s_delay_alu instid0(VALU_DEP_1) | instskip(SKIP_1) | instid1(VALU_DEP_2)
	v_div_scale_f32 v80, null, v81, v81, 1.0
	v_div_scale_f32 v85, vcc_lo, 1.0, v81, 1.0
	v_rcp_f32_e32 v83, v80
	v_nop
	s_delay_alu instid0(TRANS32_DEP_1) | instskip(NEXT) | instid1(VALU_DEP_1)
	v_fma_f32 v84, -v80, v83, 1.0
	v_fmac_f32_e32 v83, v84, v83
	s_delay_alu instid0(VALU_DEP_1) | instskip(NEXT) | instid1(VALU_DEP_1)
	v_mul_f32_e32 v84, v85, v83
	v_fma_f32 v86, -v80, v84, v85
	s_delay_alu instid0(VALU_DEP_1) | instskip(NEXT) | instid1(VALU_DEP_1)
	v_fmac_f32_e32 v84, v86, v83
	v_fma_f32 v80, -v80, v84, v85
	s_delay_alu instid0(VALU_DEP_1) | instskip(NEXT) | instid1(VALU_DEP_1)
	v_div_fmas_f32 v80, v80, v83, v84
	v_div_fixup_f32 v80, v80, v81, 1.0
	s_delay_alu instid0(VALU_DEP_1)
	v_mul_f32_e32 v82, v82, v80
	v_xor_b32_e32 v83, 0x80000000, v80
                                        ; implicit-def: $vgpr80_vgpr81
.LBB37_14:
	s_and_not1_saveexec_b32 s1, s1
	s_cbranch_execz .LBB37_16
; %bb.15:
	v_div_scale_f32 v82, null, v80, v80, v81
	v_div_scale_f32 v85, vcc_lo, v81, v80, v81
	s_delay_alu instid0(VALU_DEP_2) | instskip(SKIP_1) | instid1(TRANS32_DEP_1)
	v_rcp_f32_e32 v83, v82
	v_nop
	v_fma_f32 v84, -v82, v83, 1.0
	s_delay_alu instid0(VALU_DEP_1) | instskip(NEXT) | instid1(VALU_DEP_1)
	v_fmac_f32_e32 v83, v84, v83
	v_mul_f32_e32 v84, v85, v83
	s_delay_alu instid0(VALU_DEP_1) | instskip(NEXT) | instid1(VALU_DEP_1)
	v_fma_f32 v86, -v82, v84, v85
	v_fmac_f32_e32 v84, v86, v83
	s_delay_alu instid0(VALU_DEP_1) | instskip(NEXT) | instid1(VALU_DEP_1)
	v_fma_f32 v82, -v82, v84, v85
	v_div_fmas_f32 v82, v82, v83, v84
	s_delay_alu instid0(VALU_DEP_1) | instskip(NEXT) | instid1(VALU_DEP_1)
	v_div_fixup_f32 v83, v82, v80, v81
	v_fmac_f32_e32 v80, v81, v83
	s_delay_alu instid0(VALU_DEP_1) | instskip(NEXT) | instid1(VALU_DEP_1)
	v_div_scale_f32 v81, null, v80, v80, 1.0
	v_rcp_f32_e32 v82, v81
	v_nop
	s_delay_alu instid0(TRANS32_DEP_1) | instskip(NEXT) | instid1(VALU_DEP_1)
	v_fma_f32 v84, -v81, v82, 1.0
	v_fmac_f32_e32 v82, v84, v82
	v_div_scale_f32 v84, vcc_lo, 1.0, v80, 1.0
	s_delay_alu instid0(VALU_DEP_1) | instskip(NEXT) | instid1(VALU_DEP_1)
	v_mul_f32_e32 v85, v84, v82
	v_fma_f32 v86, -v81, v85, v84
	s_delay_alu instid0(VALU_DEP_1) | instskip(NEXT) | instid1(VALU_DEP_1)
	v_fmac_f32_e32 v85, v86, v82
	v_fma_f32 v81, -v81, v85, v84
	s_delay_alu instid0(VALU_DEP_1) | instskip(NEXT) | instid1(VALU_DEP_1)
	v_div_fmas_f32 v81, v81, v82, v85
	v_div_fixup_f32 v82, v81, v80, 1.0
	s_delay_alu instid0(VALU_DEP_1)
	v_mul_f32_e64 v83, v83, -v82
.LBB37_16:
	s_or_b32 exec_lo, exec_lo, s1
	ds_store_b64 v117, v[82:83]
.LBB37_17:
	s_or_b32 exec_lo, exec_lo, s2
	s_wait_dscnt 0x0
	s_barrier_signal -1
	s_barrier_wait -1
	ds_load_b64 v[80:81], v117
	s_mov_b32 s1, exec_lo
	v_cmpx_lt_u32_e32 1, v116
	s_cbranch_execz .LBB37_19
; %bb.18:
	ds_load_2addr_b64 v[86:89], v118 offset0:2 offset1:3
	s_wait_dscnt 0x1
	v_pk_mul_f32 v[84:85], v[80:81], v[62:63] op_sel:[1,1] op_sel_hi:[0,1]
	s_delay_alu instid0(VALU_DEP_1) | instskip(SKIP_1) | instid1(VALU_DEP_1)
	v_pk_fma_f32 v[82:83], v[80:81], v[62:63], v[84:85] op_sel_hi:[1,0,1] neg_lo:[0,0,1] neg_hi:[0,0,1]
	v_pk_fma_f32 v[84:85], v[80:81], v[62:63], v[84:85] op_sel_hi:[1,0,1]
	v_dual_mov_b32 v62, v82 :: v_dual_mov_b32 v63, v85
	s_wait_dscnt 0x0
	s_delay_alu instid0(VALU_DEP_2) | instskip(NEXT) | instid1(VALU_DEP_1)
	v_pk_mul_f32 v[90:91], v[86:87], v[84:85] op_sel:[0,1]
	v_pk_fma_f32 v[92:93], v[86:87], v[82:83], v[90:91] op_sel:[0,0,1] op_sel_hi:[1,1,0] neg_lo:[0,0,1] neg_hi:[0,0,1]
	v_pk_fma_f32 v[86:87], v[86:87], v[82:83], v[90:91] op_sel:[0,0,1] op_sel_hi:[1,0,0]
	s_delay_alu instid0(VALU_DEP_1) | instskip(SKIP_1) | instid1(VALU_DEP_1)
	v_mov_b32_e32 v93, v87
	v_pk_mul_f32 v[86:87], v[88:89], v[84:85] op_sel:[0,1]
	v_pk_fma_f32 v[90:91], v[88:89], v[82:83], v[86:87] op_sel:[0,0,1] op_sel_hi:[1,1,0] neg_lo:[0,0,1] neg_hi:[0,0,1]
	v_pk_fma_f32 v[86:87], v[88:89], v[82:83], v[86:87] op_sel:[0,0,1] op_sel_hi:[1,0,0]
	s_delay_alu instid0(VALU_DEP_1)
	v_mov_b32_e32 v91, v87
	ds_load_2addr_b64 v[86:89], v118 offset0:4 offset1:5
	v_pk_add_f32 v[50:51], v[50:51], v[92:93] neg_lo:[0,1] neg_hi:[0,1]
	v_pk_add_f32 v[48:49], v[48:49], v[90:91] neg_lo:[0,1] neg_hi:[0,1]
	s_wait_dscnt 0x0
	v_pk_mul_f32 v[90:91], v[86:87], v[84:85] op_sel:[0,1]
	s_delay_alu instid0(VALU_DEP_1) | instskip(SKIP_2) | instid1(VALU_DEP_2)
	v_pk_fma_f32 v[92:93], v[86:87], v[82:83], v[90:91] op_sel:[0,0,1] op_sel_hi:[1,1,0] neg_lo:[0,0,1] neg_hi:[0,0,1]
	v_pk_fma_f32 v[86:87], v[86:87], v[82:83], v[90:91] op_sel:[0,0,1] op_sel_hi:[1,0,0]
	v_dual_mul_f32 v90, v89, v85 :: v_dual_mov_b32 v86, v89
	v_dual_mov_b32 v93, v87 :: v_dual_mov_b32 v87, v88
	s_delay_alu instid0(VALU_DEP_2) | instskip(SKIP_1) | instid1(VALU_DEP_3)
	v_pk_fma_f32 v[90:91], v[88:89], v[62:63], v[90:91] op_sel_hi:[1,1,0] neg_lo:[0,0,1] neg_hi:[0,0,1]
	v_mul_f32_e32 v88, v89, v82
	v_pk_add_f32 v[26:27], v[26:27], v[92:93] neg_lo:[0,1] neg_hi:[0,1]
	s_delay_alu instid0(VALU_DEP_2) | instskip(NEXT) | instid1(VALU_DEP_1)
	v_pk_fma_f32 v[86:87], v[86:87], v[62:63], v[88:89] op_sel_hi:[1,1,0]
	v_mov_b32_e32 v91, v87
	ds_load_2addr_b64 v[86:89], v118 offset0:6 offset1:7
	v_pk_add_f32 v[22:23], v[22:23], v[90:91] neg_lo:[0,1] neg_hi:[0,1]
	s_wait_dscnt 0x0
	v_pk_mul_f32 v[90:91], v[86:87], v[84:85] op_sel:[0,1]
	s_delay_alu instid0(VALU_DEP_1) | instskip(SKIP_1) | instid1(VALU_DEP_1)
	v_pk_fma_f32 v[92:93], v[86:87], v[82:83], v[90:91] op_sel:[0,0,1] op_sel_hi:[1,1,0] neg_lo:[0,0,1] neg_hi:[0,0,1]
	v_pk_fma_f32 v[86:87], v[86:87], v[82:83], v[90:91] op_sel:[0,0,1] op_sel_hi:[1,0,0]
	v_mov_b32_e32 v93, v87
	v_pk_mul_f32 v[86:87], v[88:89], v[84:85] op_sel:[0,1]
	s_delay_alu instid0(VALU_DEP_1) | instskip(SKIP_1) | instid1(VALU_DEP_1)
	v_pk_fma_f32 v[90:91], v[88:89], v[82:83], v[86:87] op_sel:[0,0,1] op_sel_hi:[1,1,0] neg_lo:[0,0,1] neg_hi:[0,0,1]
	v_pk_fma_f32 v[86:87], v[88:89], v[82:83], v[86:87] op_sel:[0,0,1] op_sel_hi:[1,0,0]
	v_mov_b32_e32 v91, v87
	ds_load_2addr_b64 v[86:89], v118 offset0:8 offset1:9
	v_pk_add_f32 v[24:25], v[24:25], v[92:93] neg_lo:[0,1] neg_hi:[0,1]
	v_pk_add_f32 v[20:21], v[20:21], v[90:91] neg_lo:[0,1] neg_hi:[0,1]
	s_wait_dscnt 0x0
	v_pk_mul_f32 v[90:91], v[86:87], v[84:85] op_sel:[0,1]
	s_delay_alu instid0(VALU_DEP_1) | instskip(SKIP_1) | instid1(VALU_DEP_1)
	v_pk_fma_f32 v[92:93], v[86:87], v[82:83], v[90:91] op_sel:[0,0,1] op_sel_hi:[1,1,0] neg_lo:[0,0,1] neg_hi:[0,0,1]
	v_pk_fma_f32 v[86:87], v[86:87], v[82:83], v[90:91] op_sel:[0,0,1] op_sel_hi:[1,0,0]
	v_mov_b32_e32 v93, v87
	v_pk_mul_f32 v[86:87], v[88:89], v[84:85] op_sel:[0,1]
	s_delay_alu instid0(VALU_DEP_1) | instskip(SKIP_1) | instid1(VALU_DEP_1)
	v_pk_fma_f32 v[90:91], v[88:89], v[82:83], v[86:87] op_sel:[0,0,1] op_sel_hi:[1,1,0] neg_lo:[0,0,1] neg_hi:[0,0,1]
	v_pk_fma_f32 v[86:87], v[88:89], v[82:83], v[86:87] op_sel:[0,0,1] op_sel_hi:[1,0,0]
	v_mov_b32_e32 v91, v87
	ds_load_2addr_b64 v[86:89], v118 offset0:10 offset1:11
	v_pk_add_f32 v[44:45], v[44:45], v[92:93] neg_lo:[0,1] neg_hi:[0,1]
	v_pk_add_f32 v[40:41], v[40:41], v[90:91] neg_lo:[0,1] neg_hi:[0,1]
	s_wait_dscnt 0x0
	v_dual_mul_f32 v90, v87, v85 :: v_dual_mul_f32 v92, v87, v82
	s_delay_alu instid0(VALU_DEP_1) | instskip(NEXT) | instid1(VALU_DEP_2)
	v_pk_fma_f32 v[90:91], v[86:87], v[62:63], v[90:91] op_sel_hi:[1,1,0] neg_lo:[0,0,1] neg_hi:[0,0,1]
	v_pk_fma_f32 v[86:87], v[86:87], v[62:63], v[92:93] op_sel:[1,0,0] op_sel_hi:[0,1,0]
	s_delay_alu instid0(VALU_DEP_1) | instskip(SKIP_1) | instid1(VALU_DEP_2)
	v_mov_b32_e32 v91, v87
	v_pk_mul_f32 v[86:87], v[88:89], v[84:85] op_sel:[0,1]
	v_pk_add_f32 v[42:43], v[42:43], v[90:91] neg_lo:[0,1] neg_hi:[0,1]
	s_delay_alu instid0(VALU_DEP_2) | instskip(SKIP_1) | instid1(VALU_DEP_1)
	v_pk_fma_f32 v[90:91], v[88:89], v[82:83], v[86:87] op_sel:[0,0,1] op_sel_hi:[1,1,0] neg_lo:[0,0,1] neg_hi:[0,0,1]
	v_pk_fma_f32 v[86:87], v[88:89], v[82:83], v[86:87] op_sel:[0,0,1] op_sel_hi:[1,0,0]
	v_mov_b32_e32 v91, v87
	ds_load_2addr_b64 v[86:89], v118 offset0:12 offset1:13
	v_pk_add_f32 v[38:39], v[38:39], v[90:91] neg_lo:[0,1] neg_hi:[0,1]
	s_wait_dscnt 0x0
	v_pk_mul_f32 v[90:91], v[86:87], v[84:85] op_sel:[0,1]
	s_delay_alu instid0(VALU_DEP_1) | instskip(SKIP_1) | instid1(VALU_DEP_1)
	v_pk_fma_f32 v[92:93], v[86:87], v[82:83], v[90:91] op_sel:[0,0,1] op_sel_hi:[1,1,0] neg_lo:[0,0,1] neg_hi:[0,0,1]
	v_pk_fma_f32 v[86:87], v[86:87], v[82:83], v[90:91] op_sel:[0,0,1] op_sel_hi:[1,0,0]
	v_mov_b32_e32 v93, v87
	v_pk_mul_f32 v[86:87], v[88:89], v[84:85] op_sel:[0,1]
	s_delay_alu instid0(VALU_DEP_2) | instskip(NEXT) | instid1(VALU_DEP_2)
	v_pk_add_f32 v[70:71], v[70:71], v[92:93] neg_lo:[0,1] neg_hi:[0,1]
	v_pk_fma_f32 v[90:91], v[88:89], v[82:83], v[86:87] op_sel:[0,0,1] op_sel_hi:[1,1,0] neg_lo:[0,0,1] neg_hi:[0,0,1]
	v_pk_fma_f32 v[86:87], v[88:89], v[82:83], v[86:87] op_sel:[0,0,1] op_sel_hi:[1,0,0]
	s_delay_alu instid0(VALU_DEP_1) | instskip(SKIP_4) | instid1(VALU_DEP_1)
	v_mov_b32_e32 v91, v87
	ds_load_2addr_b64 v[86:89], v118 offset0:14 offset1:15
	v_pk_add_f32 v[66:67], v[66:67], v[90:91] neg_lo:[0,1] neg_hi:[0,1]
	s_wait_dscnt 0x0
	v_pk_mul_f32 v[90:91], v[86:87], v[84:85] op_sel:[0,1]
	v_pk_fma_f32 v[92:93], v[86:87], v[82:83], v[90:91] op_sel:[0,0,1] op_sel_hi:[1,1,0] neg_lo:[0,0,1] neg_hi:[0,0,1]
	v_pk_fma_f32 v[86:87], v[86:87], v[82:83], v[90:91] op_sel:[0,0,1] op_sel_hi:[1,0,0]
	v_dual_mul_f32 v90, v89, v85 :: v_dual_mov_b32 v86, v89
	s_delay_alu instid0(VALU_DEP_2) | instskip(NEXT) | instid1(VALU_DEP_2)
	v_dual_mov_b32 v93, v87 :: v_dual_mov_b32 v87, v88
	v_pk_fma_f32 v[90:91], v[88:89], v[62:63], v[90:91] op_sel_hi:[1,1,0] neg_lo:[0,0,1] neg_hi:[0,0,1]
	v_mul_f32_e32 v88, v89, v82
	s_delay_alu instid0(VALU_DEP_3) | instskip(NEXT) | instid1(VALU_DEP_2)
	v_pk_add_f32 v[68:69], v[68:69], v[92:93] neg_lo:[0,1] neg_hi:[0,1]
	v_pk_fma_f32 v[86:87], v[86:87], v[62:63], v[88:89] op_sel_hi:[1,1,0]
	s_delay_alu instid0(VALU_DEP_1) | instskip(SKIP_4) | instid1(VALU_DEP_1)
	v_mov_b32_e32 v91, v87
	ds_load_2addr_b64 v[86:89], v118 offset0:16 offset1:17
	v_pk_add_f32 v[64:65], v[64:65], v[90:91] neg_lo:[0,1] neg_hi:[0,1]
	s_wait_dscnt 0x0
	v_pk_mul_f32 v[90:91], v[86:87], v[84:85] op_sel:[0,1]
	v_pk_fma_f32 v[92:93], v[86:87], v[82:83], v[90:91] op_sel:[0,0,1] op_sel_hi:[1,1,0] neg_lo:[0,0,1] neg_hi:[0,0,1]
	v_pk_fma_f32 v[86:87], v[86:87], v[82:83], v[90:91] op_sel:[0,0,1] op_sel_hi:[1,0,0]
	s_delay_alu instid0(VALU_DEP_1) | instskip(SKIP_1) | instid1(VALU_DEP_1)
	v_mov_b32_e32 v93, v87
	v_pk_mul_f32 v[86:87], v[88:89], v[84:85] op_sel:[0,1]
	v_pk_fma_f32 v[90:91], v[88:89], v[82:83], v[86:87] op_sel:[0,0,1] op_sel_hi:[1,1,0] neg_lo:[0,0,1] neg_hi:[0,0,1]
	v_pk_fma_f32 v[86:87], v[88:89], v[82:83], v[86:87] op_sel:[0,0,1] op_sel_hi:[1,0,0]
	s_delay_alu instid0(VALU_DEP_1)
	v_mov_b32_e32 v91, v87
	ds_load_b64 v[86:87], v118 offset:144
	v_pk_add_f32 v[74:75], v[74:75], v[92:93] neg_lo:[0,1] neg_hi:[0,1]
	v_pk_add_f32 v[72:73], v[72:73], v[90:91] neg_lo:[0,1] neg_hi:[0,1]
	s_wait_dscnt 0x0
	v_pk_mul_f32 v[84:85], v[86:87], v[84:85] op_sel:[0,1]
	s_delay_alu instid0(VALU_DEP_1) | instskip(SKIP_1) | instid1(VALU_DEP_1)
	v_pk_fma_f32 v[88:89], v[86:87], v[82:83], v[84:85] op_sel:[0,0,1] op_sel_hi:[1,1,0] neg_lo:[0,0,1] neg_hi:[0,0,1]
	v_pk_fma_f32 v[82:83], v[86:87], v[82:83], v[84:85] op_sel:[0,0,1] op_sel_hi:[1,0,0]
	v_mov_b32_e32 v89, v83
	s_delay_alu instid0(VALU_DEP_1)
	v_pk_add_f32 v[76:77], v[76:77], v[88:89] neg_lo:[0,1] neg_hi:[0,1]
.LBB37_19:
	s_or_b32 exec_lo, exec_lo, s1
	s_delay_alu instid0(SALU_CYCLE_1)
	s_mov_b32 s2, exec_lo
	s_wait_dscnt 0x0
	s_barrier_signal -1
	s_barrier_wait -1
	v_cmpx_eq_u32_e32 2, v116
	s_cbranch_execz .LBB37_26
; %bb.20:
	ds_store_b64 v117, v[50:51]
	ds_store_2addr_b64 v118, v[48:49], v[26:27] offset0:3 offset1:4
	ds_store_2addr_b64 v118, v[22:23], v[24:25] offset0:5 offset1:6
	;; [unrolled: 1-line block ×8, first 2 shown]
	ds_load_b64 v[82:83], v117
	s_wait_dscnt 0x0
	v_cmp_neq_f32_e32 vcc_lo, 0, v82
	v_cmp_neq_f32_e64 s1, 0, v83
	s_or_b32 s1, vcc_lo, s1
	s_delay_alu instid0(SALU_CYCLE_1)
	s_and_b32 exec_lo, exec_lo, s1
	s_cbranch_execz .LBB37_26
; %bb.21:
	v_cmp_ngt_f32_e64 s1, |v82|, |v83|
                                        ; implicit-def: $vgpr84_vgpr85
	s_and_saveexec_b32 s4, s1
	s_delay_alu instid0(SALU_CYCLE_1)
	s_xor_b32 s1, exec_lo, s4
	s_cbranch_execz .LBB37_23
; %bb.22:
	v_div_scale_f32 v84, null, v83, v83, v82
	v_div_scale_f32 v87, vcc_lo, v82, v83, v82
	s_delay_alu instid0(VALU_DEP_2) | instskip(SKIP_1) | instid1(TRANS32_DEP_1)
	v_rcp_f32_e32 v85, v84
	v_nop
	v_fma_f32 v86, -v84, v85, 1.0
	s_delay_alu instid0(VALU_DEP_1) | instskip(NEXT) | instid1(VALU_DEP_1)
	v_fmac_f32_e32 v85, v86, v85
	v_mul_f32_e32 v86, v87, v85
	s_delay_alu instid0(VALU_DEP_1) | instskip(NEXT) | instid1(VALU_DEP_1)
	v_fma_f32 v88, -v84, v86, v87
	v_fmac_f32_e32 v86, v88, v85
	s_delay_alu instid0(VALU_DEP_1) | instskip(NEXT) | instid1(VALU_DEP_1)
	v_fma_f32 v84, -v84, v86, v87
	v_div_fmas_f32 v84, v84, v85, v86
	s_delay_alu instid0(VALU_DEP_1) | instskip(NEXT) | instid1(VALU_DEP_1)
	v_div_fixup_f32 v84, v84, v83, v82
	v_fmac_f32_e32 v83, v82, v84
	s_delay_alu instid0(VALU_DEP_1) | instskip(SKIP_1) | instid1(VALU_DEP_2)
	v_div_scale_f32 v82, null, v83, v83, 1.0
	v_div_scale_f32 v87, vcc_lo, 1.0, v83, 1.0
	v_rcp_f32_e32 v85, v82
	v_nop
	s_delay_alu instid0(TRANS32_DEP_1) | instskip(NEXT) | instid1(VALU_DEP_1)
	v_fma_f32 v86, -v82, v85, 1.0
	v_fmac_f32_e32 v85, v86, v85
	s_delay_alu instid0(VALU_DEP_1) | instskip(NEXT) | instid1(VALU_DEP_1)
	v_mul_f32_e32 v86, v87, v85
	v_fma_f32 v88, -v82, v86, v87
	s_delay_alu instid0(VALU_DEP_1) | instskip(NEXT) | instid1(VALU_DEP_1)
	v_fmac_f32_e32 v86, v88, v85
	v_fma_f32 v82, -v82, v86, v87
	s_delay_alu instid0(VALU_DEP_1) | instskip(NEXT) | instid1(VALU_DEP_1)
	v_div_fmas_f32 v82, v82, v85, v86
	v_div_fixup_f32 v82, v82, v83, 1.0
	s_delay_alu instid0(VALU_DEP_1)
	v_mul_f32_e32 v84, v84, v82
	v_xor_b32_e32 v85, 0x80000000, v82
                                        ; implicit-def: $vgpr82_vgpr83
.LBB37_23:
	s_and_not1_saveexec_b32 s1, s1
	s_cbranch_execz .LBB37_25
; %bb.24:
	v_div_scale_f32 v84, null, v82, v82, v83
	v_div_scale_f32 v87, vcc_lo, v83, v82, v83
	s_delay_alu instid0(VALU_DEP_2) | instskip(SKIP_1) | instid1(TRANS32_DEP_1)
	v_rcp_f32_e32 v85, v84
	v_nop
	v_fma_f32 v86, -v84, v85, 1.0
	s_delay_alu instid0(VALU_DEP_1) | instskip(NEXT) | instid1(VALU_DEP_1)
	v_fmac_f32_e32 v85, v86, v85
	v_mul_f32_e32 v86, v87, v85
	s_delay_alu instid0(VALU_DEP_1) | instskip(NEXT) | instid1(VALU_DEP_1)
	v_fma_f32 v88, -v84, v86, v87
	v_fmac_f32_e32 v86, v88, v85
	s_delay_alu instid0(VALU_DEP_1) | instskip(NEXT) | instid1(VALU_DEP_1)
	v_fma_f32 v84, -v84, v86, v87
	v_div_fmas_f32 v84, v84, v85, v86
	s_delay_alu instid0(VALU_DEP_1) | instskip(NEXT) | instid1(VALU_DEP_1)
	v_div_fixup_f32 v85, v84, v82, v83
	v_fmac_f32_e32 v82, v83, v85
	s_delay_alu instid0(VALU_DEP_1) | instskip(NEXT) | instid1(VALU_DEP_1)
	v_div_scale_f32 v83, null, v82, v82, 1.0
	v_rcp_f32_e32 v84, v83
	v_nop
	s_delay_alu instid0(TRANS32_DEP_1) | instskip(NEXT) | instid1(VALU_DEP_1)
	v_fma_f32 v86, -v83, v84, 1.0
	v_fmac_f32_e32 v84, v86, v84
	v_div_scale_f32 v86, vcc_lo, 1.0, v82, 1.0
	s_delay_alu instid0(VALU_DEP_1) | instskip(NEXT) | instid1(VALU_DEP_1)
	v_mul_f32_e32 v87, v86, v84
	v_fma_f32 v88, -v83, v87, v86
	s_delay_alu instid0(VALU_DEP_1) | instskip(NEXT) | instid1(VALU_DEP_1)
	v_fmac_f32_e32 v87, v88, v84
	v_fma_f32 v83, -v83, v87, v86
	s_delay_alu instid0(VALU_DEP_1) | instskip(NEXT) | instid1(VALU_DEP_1)
	v_div_fmas_f32 v83, v83, v84, v87
	v_div_fixup_f32 v84, v83, v82, 1.0
	s_delay_alu instid0(VALU_DEP_1)
	v_mul_f32_e64 v85, v85, -v84
.LBB37_25:
	s_or_b32 exec_lo, exec_lo, s1
	ds_store_b64 v117, v[84:85]
.LBB37_26:
	s_or_b32 exec_lo, exec_lo, s2
	s_wait_dscnt 0x0
	s_barrier_signal -1
	s_barrier_wait -1
	ds_load_b64 v[82:83], v117
	s_mov_b32 s1, exec_lo
	v_cmpx_lt_u32_e32 2, v116
	s_cbranch_execz .LBB37_28
; %bb.27:
	ds_load_2addr_b64 v[88:91], v118 offset0:3 offset1:4
	s_wait_dscnt 0x1
	v_pk_mul_f32 v[86:87], v[82:83], v[50:51] op_sel:[1,1] op_sel_hi:[0,1]
	s_delay_alu instid0(VALU_DEP_1) | instskip(SKIP_1) | instid1(VALU_DEP_1)
	v_pk_fma_f32 v[84:85], v[82:83], v[50:51], v[86:87] op_sel_hi:[1,0,1] neg_lo:[0,0,1] neg_hi:[0,0,1]
	v_pk_fma_f32 v[86:87], v[82:83], v[50:51], v[86:87] op_sel_hi:[1,0,1]
	v_dual_mov_b32 v50, v84 :: v_dual_mov_b32 v51, v87
	s_wait_dscnt 0x0
	s_delay_alu instid0(VALU_DEP_2) | instskip(NEXT) | instid1(VALU_DEP_1)
	v_pk_mul_f32 v[92:93], v[88:89], v[86:87] op_sel:[0,1]
	v_pk_fma_f32 v[94:95], v[88:89], v[84:85], v[92:93] op_sel:[0,0,1] op_sel_hi:[1,1,0] neg_lo:[0,0,1] neg_hi:[0,0,1]
	v_pk_fma_f32 v[88:89], v[88:89], v[84:85], v[92:93] op_sel:[0,0,1] op_sel_hi:[1,0,0]
	s_delay_alu instid0(VALU_DEP_1) | instskip(SKIP_1) | instid1(VALU_DEP_1)
	v_mov_b32_e32 v95, v89
	v_pk_mul_f32 v[88:89], v[90:91], v[86:87] op_sel:[0,1]
	v_pk_fma_f32 v[92:93], v[90:91], v[84:85], v[88:89] op_sel:[0,0,1] op_sel_hi:[1,1,0] neg_lo:[0,0,1] neg_hi:[0,0,1]
	v_pk_fma_f32 v[88:89], v[90:91], v[84:85], v[88:89] op_sel:[0,0,1] op_sel_hi:[1,0,0]
	s_delay_alu instid0(VALU_DEP_1)
	v_mov_b32_e32 v93, v89
	ds_load_2addr_b64 v[88:91], v118 offset0:5 offset1:6
	v_pk_add_f32 v[48:49], v[48:49], v[94:95] neg_lo:[0,1] neg_hi:[0,1]
	v_pk_add_f32 v[26:27], v[26:27], v[92:93] neg_lo:[0,1] neg_hi:[0,1]
	s_wait_dscnt 0x0
	v_pk_mul_f32 v[92:93], v[88:89], v[86:87] op_sel:[0,1]
	s_delay_alu instid0(VALU_DEP_1) | instskip(SKIP_2) | instid1(VALU_DEP_2)
	v_pk_fma_f32 v[94:95], v[88:89], v[84:85], v[92:93] op_sel:[0,0,1] op_sel_hi:[1,1,0] neg_lo:[0,0,1] neg_hi:[0,0,1]
	v_pk_fma_f32 v[88:89], v[88:89], v[84:85], v[92:93] op_sel:[0,0,1] op_sel_hi:[1,0,0]
	v_dual_mul_f32 v92, v91, v87 :: v_dual_mov_b32 v88, v91
	v_dual_mov_b32 v95, v89 :: v_dual_mov_b32 v89, v90
	s_delay_alu instid0(VALU_DEP_2) | instskip(SKIP_1) | instid1(VALU_DEP_3)
	v_pk_fma_f32 v[92:93], v[90:91], v[50:51], v[92:93] op_sel_hi:[1,1,0] neg_lo:[0,0,1] neg_hi:[0,0,1]
	v_mul_f32_e32 v90, v91, v84
	v_pk_add_f32 v[22:23], v[22:23], v[94:95] neg_lo:[0,1] neg_hi:[0,1]
	s_delay_alu instid0(VALU_DEP_2) | instskip(NEXT) | instid1(VALU_DEP_1)
	v_pk_fma_f32 v[88:89], v[88:89], v[50:51], v[90:91] op_sel_hi:[1,1,0]
	v_mov_b32_e32 v93, v89
	ds_load_2addr_b64 v[88:91], v118 offset0:7 offset1:8
	v_pk_add_f32 v[24:25], v[24:25], v[92:93] neg_lo:[0,1] neg_hi:[0,1]
	s_wait_dscnt 0x0
	v_pk_mul_f32 v[92:93], v[88:89], v[86:87] op_sel:[0,1]
	s_delay_alu instid0(VALU_DEP_1) | instskip(SKIP_1) | instid1(VALU_DEP_1)
	v_pk_fma_f32 v[94:95], v[88:89], v[84:85], v[92:93] op_sel:[0,0,1] op_sel_hi:[1,1,0] neg_lo:[0,0,1] neg_hi:[0,0,1]
	v_pk_fma_f32 v[88:89], v[88:89], v[84:85], v[92:93] op_sel:[0,0,1] op_sel_hi:[1,0,0]
	v_mov_b32_e32 v95, v89
	v_pk_mul_f32 v[88:89], v[90:91], v[86:87] op_sel:[0,1]
	s_delay_alu instid0(VALU_DEP_1) | instskip(SKIP_1) | instid1(VALU_DEP_1)
	v_pk_fma_f32 v[92:93], v[90:91], v[84:85], v[88:89] op_sel:[0,0,1] op_sel_hi:[1,1,0] neg_lo:[0,0,1] neg_hi:[0,0,1]
	v_pk_fma_f32 v[88:89], v[90:91], v[84:85], v[88:89] op_sel:[0,0,1] op_sel_hi:[1,0,0]
	v_mov_b32_e32 v93, v89
	ds_load_2addr_b64 v[88:91], v118 offset0:9 offset1:10
	v_pk_add_f32 v[20:21], v[20:21], v[94:95] neg_lo:[0,1] neg_hi:[0,1]
	v_pk_add_f32 v[44:45], v[44:45], v[92:93] neg_lo:[0,1] neg_hi:[0,1]
	s_wait_dscnt 0x0
	v_pk_mul_f32 v[92:93], v[88:89], v[86:87] op_sel:[0,1]
	s_delay_alu instid0(VALU_DEP_1) | instskip(SKIP_1) | instid1(VALU_DEP_1)
	v_pk_fma_f32 v[94:95], v[88:89], v[84:85], v[92:93] op_sel:[0,0,1] op_sel_hi:[1,1,0] neg_lo:[0,0,1] neg_hi:[0,0,1]
	v_pk_fma_f32 v[88:89], v[88:89], v[84:85], v[92:93] op_sel:[0,0,1] op_sel_hi:[1,0,0]
	v_mov_b32_e32 v95, v89
	v_pk_mul_f32 v[88:89], v[90:91], v[86:87] op_sel:[0,1]
	s_delay_alu instid0(VALU_DEP_1) | instskip(SKIP_1) | instid1(VALU_DEP_1)
	v_pk_fma_f32 v[92:93], v[90:91], v[84:85], v[88:89] op_sel:[0,0,1] op_sel_hi:[1,1,0] neg_lo:[0,0,1] neg_hi:[0,0,1]
	v_pk_fma_f32 v[88:89], v[90:91], v[84:85], v[88:89] op_sel:[0,0,1] op_sel_hi:[1,0,0]
	v_mov_b32_e32 v93, v89
	ds_load_2addr_b64 v[88:91], v118 offset0:11 offset1:12
	v_pk_add_f32 v[40:41], v[40:41], v[94:95] neg_lo:[0,1] neg_hi:[0,1]
	v_pk_add_f32 v[42:43], v[42:43], v[92:93] neg_lo:[0,1] neg_hi:[0,1]
	s_wait_dscnt 0x0
	v_dual_mul_f32 v92, v89, v87 :: v_dual_mul_f32 v94, v89, v84
	s_delay_alu instid0(VALU_DEP_1) | instskip(NEXT) | instid1(VALU_DEP_2)
	v_pk_fma_f32 v[92:93], v[88:89], v[50:51], v[92:93] op_sel_hi:[1,1,0] neg_lo:[0,0,1] neg_hi:[0,0,1]
	v_pk_fma_f32 v[88:89], v[88:89], v[50:51], v[94:95] op_sel:[1,0,0] op_sel_hi:[0,1,0]
	s_delay_alu instid0(VALU_DEP_1) | instskip(SKIP_1) | instid1(VALU_DEP_2)
	v_mov_b32_e32 v93, v89
	v_pk_mul_f32 v[88:89], v[90:91], v[86:87] op_sel:[0,1]
	v_pk_add_f32 v[38:39], v[38:39], v[92:93] neg_lo:[0,1] neg_hi:[0,1]
	s_delay_alu instid0(VALU_DEP_2) | instskip(SKIP_1) | instid1(VALU_DEP_1)
	v_pk_fma_f32 v[92:93], v[90:91], v[84:85], v[88:89] op_sel:[0,0,1] op_sel_hi:[1,1,0] neg_lo:[0,0,1] neg_hi:[0,0,1]
	v_pk_fma_f32 v[88:89], v[90:91], v[84:85], v[88:89] op_sel:[0,0,1] op_sel_hi:[1,0,0]
	v_mov_b32_e32 v93, v89
	ds_load_2addr_b64 v[88:91], v118 offset0:13 offset1:14
	v_pk_add_f32 v[70:71], v[70:71], v[92:93] neg_lo:[0,1] neg_hi:[0,1]
	s_wait_dscnt 0x0
	v_pk_mul_f32 v[92:93], v[88:89], v[86:87] op_sel:[0,1]
	s_delay_alu instid0(VALU_DEP_1) | instskip(SKIP_1) | instid1(VALU_DEP_1)
	v_pk_fma_f32 v[94:95], v[88:89], v[84:85], v[92:93] op_sel:[0,0,1] op_sel_hi:[1,1,0] neg_lo:[0,0,1] neg_hi:[0,0,1]
	v_pk_fma_f32 v[88:89], v[88:89], v[84:85], v[92:93] op_sel:[0,0,1] op_sel_hi:[1,0,0]
	v_mov_b32_e32 v95, v89
	v_pk_mul_f32 v[88:89], v[90:91], v[86:87] op_sel:[0,1]
	s_delay_alu instid0(VALU_DEP_2) | instskip(NEXT) | instid1(VALU_DEP_2)
	v_pk_add_f32 v[66:67], v[66:67], v[94:95] neg_lo:[0,1] neg_hi:[0,1]
	v_pk_fma_f32 v[92:93], v[90:91], v[84:85], v[88:89] op_sel:[0,0,1] op_sel_hi:[1,1,0] neg_lo:[0,0,1] neg_hi:[0,0,1]
	v_pk_fma_f32 v[88:89], v[90:91], v[84:85], v[88:89] op_sel:[0,0,1] op_sel_hi:[1,0,0]
	s_delay_alu instid0(VALU_DEP_1) | instskip(SKIP_4) | instid1(VALU_DEP_1)
	v_mov_b32_e32 v93, v89
	ds_load_2addr_b64 v[88:91], v118 offset0:15 offset1:16
	v_pk_add_f32 v[68:69], v[68:69], v[92:93] neg_lo:[0,1] neg_hi:[0,1]
	s_wait_dscnt 0x0
	v_pk_mul_f32 v[92:93], v[88:89], v[86:87] op_sel:[0,1]
	v_pk_fma_f32 v[94:95], v[88:89], v[84:85], v[92:93] op_sel:[0,0,1] op_sel_hi:[1,1,0] neg_lo:[0,0,1] neg_hi:[0,0,1]
	v_pk_fma_f32 v[88:89], v[88:89], v[84:85], v[92:93] op_sel:[0,0,1] op_sel_hi:[1,0,0]
	v_dual_mul_f32 v92, v91, v87 :: v_dual_mov_b32 v88, v91
	s_delay_alu instid0(VALU_DEP_2) | instskip(NEXT) | instid1(VALU_DEP_2)
	v_dual_mov_b32 v95, v89 :: v_dual_mov_b32 v89, v90
	v_pk_fma_f32 v[92:93], v[90:91], v[50:51], v[92:93] op_sel_hi:[1,1,0] neg_lo:[0,0,1] neg_hi:[0,0,1]
	v_mul_f32_e32 v90, v91, v84
	s_delay_alu instid0(VALU_DEP_3) | instskip(NEXT) | instid1(VALU_DEP_2)
	v_pk_add_f32 v[64:65], v[64:65], v[94:95] neg_lo:[0,1] neg_hi:[0,1]
	v_pk_fma_f32 v[88:89], v[88:89], v[50:51], v[90:91] op_sel_hi:[1,1,0]
	s_delay_alu instid0(VALU_DEP_1)
	v_mov_b32_e32 v93, v89
	ds_load_2addr_b64 v[88:91], v118 offset0:17 offset1:18
	v_pk_add_f32 v[74:75], v[74:75], v[92:93] neg_lo:[0,1] neg_hi:[0,1]
	s_wait_dscnt 0x0
	v_pk_mul_f32 v[92:93], v[88:89], v[86:87] op_sel:[0,1]
	v_pk_mul_f32 v[86:87], v[90:91], v[86:87] op_sel:[0,1]
	s_delay_alu instid0(VALU_DEP_2) | instskip(SKIP_1) | instid1(VALU_DEP_1)
	v_pk_fma_f32 v[94:95], v[88:89], v[84:85], v[92:93] op_sel:[0,0,1] op_sel_hi:[1,1,0] neg_lo:[0,0,1] neg_hi:[0,0,1]
	v_pk_fma_f32 v[88:89], v[88:89], v[84:85], v[92:93] op_sel:[0,0,1] op_sel_hi:[1,0,0]
	v_mov_b32_e32 v95, v89
	s_delay_alu instid0(VALU_DEP_4) | instskip(SKIP_1) | instid1(VALU_DEP_1)
	v_pk_fma_f32 v[88:89], v[90:91], v[84:85], v[86:87] op_sel:[0,0,1] op_sel_hi:[1,1,0] neg_lo:[0,0,1] neg_hi:[0,0,1]
	v_pk_fma_f32 v[84:85], v[90:91], v[84:85], v[86:87] op_sel:[0,0,1] op_sel_hi:[1,0,0]
	v_mov_b32_e32 v89, v85
	s_delay_alu instid0(VALU_DEP_4) | instskip(NEXT) | instid1(VALU_DEP_2)
	v_pk_add_f32 v[72:73], v[72:73], v[94:95] neg_lo:[0,1] neg_hi:[0,1]
	v_pk_add_f32 v[76:77], v[76:77], v[88:89] neg_lo:[0,1] neg_hi:[0,1]
.LBB37_28:
	s_or_b32 exec_lo, exec_lo, s1
	s_delay_alu instid0(SALU_CYCLE_1)
	s_mov_b32 s2, exec_lo
	s_wait_dscnt 0x0
	s_barrier_signal -1
	s_barrier_wait -1
	v_cmpx_eq_u32_e32 3, v116
	s_cbranch_execz .LBB37_35
; %bb.29:
	v_dual_mov_b32 v84, v26 :: v_dual_mov_b32 v85, v27
	v_dual_mov_b32 v86, v22 :: v_dual_mov_b32 v87, v23
	;; [unrolled: 1-line block ×4, first 2 shown]
	ds_store_b64 v117, v[48:49]
	ds_store_2addr_b64 v118, v[84:85], v[86:87] offset0:4 offset1:5
	ds_store_2addr_b64 v118, v[88:89], v[90:91] offset0:6 offset1:7
	v_dual_mov_b32 v84, v44 :: v_dual_mov_b32 v85, v45
	v_dual_mov_b32 v86, v40 :: v_dual_mov_b32 v87, v41
	;; [unrolled: 1-line block ×10, first 2 shown]
	ds_store_2addr_b64 v118, v[84:85], v[86:87] offset0:8 offset1:9
	ds_store_2addr_b64 v118, v[88:89], v[90:91] offset0:10 offset1:11
	;; [unrolled: 1-line block ×5, first 2 shown]
	ds_store_b64 v118, v[76:77] offset:144
	ds_load_b64 v[84:85], v117
	s_wait_dscnt 0x0
	v_cmp_neq_f32_e32 vcc_lo, 0, v84
	v_cmp_neq_f32_e64 s1, 0, v85
	s_or_b32 s1, vcc_lo, s1
	s_delay_alu instid0(SALU_CYCLE_1)
	s_and_b32 exec_lo, exec_lo, s1
	s_cbranch_execz .LBB37_35
; %bb.30:
	v_cmp_ngt_f32_e64 s1, |v84|, |v85|
                                        ; implicit-def: $vgpr86_vgpr87
	s_and_saveexec_b32 s4, s1
	s_delay_alu instid0(SALU_CYCLE_1)
	s_xor_b32 s1, exec_lo, s4
	s_cbranch_execz .LBB37_32
; %bb.31:
	v_div_scale_f32 v86, null, v85, v85, v84
	v_div_scale_f32 v89, vcc_lo, v84, v85, v84
	s_delay_alu instid0(VALU_DEP_2) | instskip(SKIP_1) | instid1(TRANS32_DEP_1)
	v_rcp_f32_e32 v87, v86
	v_nop
	v_fma_f32 v88, -v86, v87, 1.0
	s_delay_alu instid0(VALU_DEP_1) | instskip(NEXT) | instid1(VALU_DEP_1)
	v_fmac_f32_e32 v87, v88, v87
	v_mul_f32_e32 v88, v89, v87
	s_delay_alu instid0(VALU_DEP_1) | instskip(NEXT) | instid1(VALU_DEP_1)
	v_fma_f32 v90, -v86, v88, v89
	v_fmac_f32_e32 v88, v90, v87
	s_delay_alu instid0(VALU_DEP_1) | instskip(NEXT) | instid1(VALU_DEP_1)
	v_fma_f32 v86, -v86, v88, v89
	v_div_fmas_f32 v86, v86, v87, v88
	s_delay_alu instid0(VALU_DEP_1) | instskip(NEXT) | instid1(VALU_DEP_1)
	v_div_fixup_f32 v86, v86, v85, v84
	v_fmac_f32_e32 v85, v84, v86
	s_delay_alu instid0(VALU_DEP_1) | instskip(SKIP_1) | instid1(VALU_DEP_2)
	v_div_scale_f32 v84, null, v85, v85, 1.0
	v_div_scale_f32 v89, vcc_lo, 1.0, v85, 1.0
	v_rcp_f32_e32 v87, v84
	v_nop
	s_delay_alu instid0(TRANS32_DEP_1) | instskip(NEXT) | instid1(VALU_DEP_1)
	v_fma_f32 v88, -v84, v87, 1.0
	v_fmac_f32_e32 v87, v88, v87
	s_delay_alu instid0(VALU_DEP_1) | instskip(NEXT) | instid1(VALU_DEP_1)
	v_mul_f32_e32 v88, v89, v87
	v_fma_f32 v90, -v84, v88, v89
	s_delay_alu instid0(VALU_DEP_1) | instskip(NEXT) | instid1(VALU_DEP_1)
	v_fmac_f32_e32 v88, v90, v87
	v_fma_f32 v84, -v84, v88, v89
	s_delay_alu instid0(VALU_DEP_1) | instskip(NEXT) | instid1(VALU_DEP_1)
	v_div_fmas_f32 v84, v84, v87, v88
	v_div_fixup_f32 v84, v84, v85, 1.0
	s_delay_alu instid0(VALU_DEP_1)
	v_mul_f32_e32 v86, v86, v84
	v_xor_b32_e32 v87, 0x80000000, v84
                                        ; implicit-def: $vgpr84_vgpr85
.LBB37_32:
	s_and_not1_saveexec_b32 s1, s1
	s_cbranch_execz .LBB37_34
; %bb.33:
	v_div_scale_f32 v86, null, v84, v84, v85
	v_div_scale_f32 v89, vcc_lo, v85, v84, v85
	s_delay_alu instid0(VALU_DEP_2) | instskip(SKIP_1) | instid1(TRANS32_DEP_1)
	v_rcp_f32_e32 v87, v86
	v_nop
	v_fma_f32 v88, -v86, v87, 1.0
	s_delay_alu instid0(VALU_DEP_1) | instskip(NEXT) | instid1(VALU_DEP_1)
	v_fmac_f32_e32 v87, v88, v87
	v_mul_f32_e32 v88, v89, v87
	s_delay_alu instid0(VALU_DEP_1) | instskip(NEXT) | instid1(VALU_DEP_1)
	v_fma_f32 v90, -v86, v88, v89
	v_fmac_f32_e32 v88, v90, v87
	s_delay_alu instid0(VALU_DEP_1) | instskip(NEXT) | instid1(VALU_DEP_1)
	v_fma_f32 v86, -v86, v88, v89
	v_div_fmas_f32 v86, v86, v87, v88
	s_delay_alu instid0(VALU_DEP_1) | instskip(NEXT) | instid1(VALU_DEP_1)
	v_div_fixup_f32 v87, v86, v84, v85
	v_fmac_f32_e32 v84, v85, v87
	s_delay_alu instid0(VALU_DEP_1) | instskip(NEXT) | instid1(VALU_DEP_1)
	v_div_scale_f32 v85, null, v84, v84, 1.0
	v_rcp_f32_e32 v86, v85
	v_nop
	s_delay_alu instid0(TRANS32_DEP_1) | instskip(NEXT) | instid1(VALU_DEP_1)
	v_fma_f32 v88, -v85, v86, 1.0
	v_fmac_f32_e32 v86, v88, v86
	v_div_scale_f32 v88, vcc_lo, 1.0, v84, 1.0
	s_delay_alu instid0(VALU_DEP_1) | instskip(NEXT) | instid1(VALU_DEP_1)
	v_mul_f32_e32 v89, v88, v86
	v_fma_f32 v90, -v85, v89, v88
	s_delay_alu instid0(VALU_DEP_1) | instskip(NEXT) | instid1(VALU_DEP_1)
	v_fmac_f32_e32 v89, v90, v86
	v_fma_f32 v85, -v85, v89, v88
	s_delay_alu instid0(VALU_DEP_1) | instskip(NEXT) | instid1(VALU_DEP_1)
	v_div_fmas_f32 v85, v85, v86, v89
	v_div_fixup_f32 v86, v85, v84, 1.0
	s_delay_alu instid0(VALU_DEP_1)
	v_mul_f32_e64 v87, v87, -v86
.LBB37_34:
	s_or_b32 exec_lo, exec_lo, s1
	ds_store_b64 v117, v[86:87]
.LBB37_35:
	s_or_b32 exec_lo, exec_lo, s2
	s_wait_dscnt 0x0
	s_barrier_signal -1
	s_barrier_wait -1
	ds_load_b64 v[84:85], v117
	s_mov_b32 s1, exec_lo
	v_cmpx_lt_u32_e32 3, v116
	s_cbranch_execz .LBB37_37
; %bb.36:
	ds_load_2addr_b64 v[90:93], v118 offset0:4 offset1:5
	s_wait_dscnt 0x1
	v_pk_mul_f32 v[88:89], v[84:85], v[48:49] op_sel:[1,1] op_sel_hi:[0,1]
	s_delay_alu instid0(VALU_DEP_1) | instskip(SKIP_1) | instid1(VALU_DEP_1)
	v_pk_fma_f32 v[86:87], v[84:85], v[48:49], v[88:89] op_sel_hi:[1,0,1] neg_lo:[0,0,1] neg_hi:[0,0,1]
	v_pk_fma_f32 v[88:89], v[84:85], v[48:49], v[88:89] op_sel_hi:[1,0,1]
	v_dual_mov_b32 v48, v86 :: v_dual_mov_b32 v49, v89
	s_wait_dscnt 0x0
	s_delay_alu instid0(VALU_DEP_2) | instskip(NEXT) | instid1(VALU_DEP_1)
	v_pk_mul_f32 v[94:95], v[90:91], v[88:89] op_sel:[0,1]
	v_pk_fma_f32 v[96:97], v[90:91], v[86:87], v[94:95] op_sel:[0,0,1] op_sel_hi:[1,1,0] neg_lo:[0,0,1] neg_hi:[0,0,1]
	v_pk_fma_f32 v[90:91], v[90:91], v[86:87], v[94:95] op_sel:[0,0,1] op_sel_hi:[1,0,0]
	s_delay_alu instid0(VALU_DEP_1) | instskip(SKIP_1) | instid1(VALU_DEP_1)
	v_mov_b32_e32 v97, v91
	v_pk_mul_f32 v[90:91], v[92:93], v[88:89] op_sel:[0,1]
	v_pk_fma_f32 v[94:95], v[92:93], v[86:87], v[90:91] op_sel:[0,0,1] op_sel_hi:[1,1,0] neg_lo:[0,0,1] neg_hi:[0,0,1]
	v_pk_fma_f32 v[90:91], v[92:93], v[86:87], v[90:91] op_sel:[0,0,1] op_sel_hi:[1,0,0]
	s_delay_alu instid0(VALU_DEP_1)
	v_mov_b32_e32 v95, v91
	ds_load_2addr_b64 v[90:93], v118 offset0:6 offset1:7
	v_pk_add_f32 v[26:27], v[26:27], v[96:97] neg_lo:[0,1] neg_hi:[0,1]
	v_pk_add_f32 v[22:23], v[22:23], v[94:95] neg_lo:[0,1] neg_hi:[0,1]
	s_wait_dscnt 0x0
	v_pk_mul_f32 v[94:95], v[90:91], v[88:89] op_sel:[0,1]
	s_delay_alu instid0(VALU_DEP_1) | instskip(SKIP_2) | instid1(VALU_DEP_2)
	v_pk_fma_f32 v[96:97], v[90:91], v[86:87], v[94:95] op_sel:[0,0,1] op_sel_hi:[1,1,0] neg_lo:[0,0,1] neg_hi:[0,0,1]
	v_pk_fma_f32 v[90:91], v[90:91], v[86:87], v[94:95] op_sel:[0,0,1] op_sel_hi:[1,0,0]
	v_dual_mul_f32 v94, v93, v89 :: v_dual_mov_b32 v90, v93
	v_dual_mov_b32 v97, v91 :: v_dual_mov_b32 v91, v92
	s_delay_alu instid0(VALU_DEP_2) | instskip(SKIP_1) | instid1(VALU_DEP_3)
	v_pk_fma_f32 v[94:95], v[92:93], v[48:49], v[94:95] op_sel_hi:[1,1,0] neg_lo:[0,0,1] neg_hi:[0,0,1]
	v_mul_f32_e32 v92, v93, v86
	v_pk_add_f32 v[24:25], v[24:25], v[96:97] neg_lo:[0,1] neg_hi:[0,1]
	s_delay_alu instid0(VALU_DEP_2) | instskip(NEXT) | instid1(VALU_DEP_1)
	v_pk_fma_f32 v[90:91], v[90:91], v[48:49], v[92:93] op_sel_hi:[1,1,0]
	v_mov_b32_e32 v95, v91
	ds_load_2addr_b64 v[90:93], v118 offset0:8 offset1:9
	v_pk_add_f32 v[20:21], v[20:21], v[94:95] neg_lo:[0,1] neg_hi:[0,1]
	s_wait_dscnt 0x0
	v_pk_mul_f32 v[94:95], v[90:91], v[88:89] op_sel:[0,1]
	s_delay_alu instid0(VALU_DEP_1) | instskip(SKIP_1) | instid1(VALU_DEP_1)
	v_pk_fma_f32 v[96:97], v[90:91], v[86:87], v[94:95] op_sel:[0,0,1] op_sel_hi:[1,1,0] neg_lo:[0,0,1] neg_hi:[0,0,1]
	v_pk_fma_f32 v[90:91], v[90:91], v[86:87], v[94:95] op_sel:[0,0,1] op_sel_hi:[1,0,0]
	v_mov_b32_e32 v97, v91
	v_pk_mul_f32 v[90:91], v[92:93], v[88:89] op_sel:[0,1]
	s_delay_alu instid0(VALU_DEP_1) | instskip(SKIP_1) | instid1(VALU_DEP_1)
	v_pk_fma_f32 v[94:95], v[92:93], v[86:87], v[90:91] op_sel:[0,0,1] op_sel_hi:[1,1,0] neg_lo:[0,0,1] neg_hi:[0,0,1]
	v_pk_fma_f32 v[90:91], v[92:93], v[86:87], v[90:91] op_sel:[0,0,1] op_sel_hi:[1,0,0]
	v_mov_b32_e32 v95, v91
	ds_load_2addr_b64 v[90:93], v118 offset0:10 offset1:11
	v_pk_add_f32 v[44:45], v[44:45], v[96:97] neg_lo:[0,1] neg_hi:[0,1]
	v_pk_add_f32 v[40:41], v[40:41], v[94:95] neg_lo:[0,1] neg_hi:[0,1]
	s_wait_dscnt 0x0
	v_pk_mul_f32 v[94:95], v[90:91], v[88:89] op_sel:[0,1]
	s_delay_alu instid0(VALU_DEP_1) | instskip(SKIP_1) | instid1(VALU_DEP_1)
	v_pk_fma_f32 v[96:97], v[90:91], v[86:87], v[94:95] op_sel:[0,0,1] op_sel_hi:[1,1,0] neg_lo:[0,0,1] neg_hi:[0,0,1]
	v_pk_fma_f32 v[90:91], v[90:91], v[86:87], v[94:95] op_sel:[0,0,1] op_sel_hi:[1,0,0]
	v_mov_b32_e32 v97, v91
	v_pk_mul_f32 v[90:91], v[92:93], v[88:89] op_sel:[0,1]
	s_delay_alu instid0(VALU_DEP_1) | instskip(SKIP_1) | instid1(VALU_DEP_1)
	v_pk_fma_f32 v[94:95], v[92:93], v[86:87], v[90:91] op_sel:[0,0,1] op_sel_hi:[1,1,0] neg_lo:[0,0,1] neg_hi:[0,0,1]
	v_pk_fma_f32 v[90:91], v[92:93], v[86:87], v[90:91] op_sel:[0,0,1] op_sel_hi:[1,0,0]
	v_mov_b32_e32 v95, v91
	ds_load_2addr_b64 v[90:93], v118 offset0:12 offset1:13
	v_pk_add_f32 v[42:43], v[42:43], v[96:97] neg_lo:[0,1] neg_hi:[0,1]
	v_pk_add_f32 v[38:39], v[38:39], v[94:95] neg_lo:[0,1] neg_hi:[0,1]
	s_wait_dscnt 0x0
	v_dual_mul_f32 v94, v91, v89 :: v_dual_mul_f32 v96, v91, v86
	s_delay_alu instid0(VALU_DEP_1) | instskip(NEXT) | instid1(VALU_DEP_2)
	v_pk_fma_f32 v[94:95], v[90:91], v[48:49], v[94:95] op_sel_hi:[1,1,0] neg_lo:[0,0,1] neg_hi:[0,0,1]
	v_pk_fma_f32 v[90:91], v[90:91], v[48:49], v[96:97] op_sel:[1,0,0] op_sel_hi:[0,1,0]
	s_delay_alu instid0(VALU_DEP_1) | instskip(SKIP_1) | instid1(VALU_DEP_2)
	v_mov_b32_e32 v95, v91
	v_pk_mul_f32 v[90:91], v[92:93], v[88:89] op_sel:[0,1]
	v_pk_add_f32 v[70:71], v[70:71], v[94:95] neg_lo:[0,1] neg_hi:[0,1]
	s_delay_alu instid0(VALU_DEP_2) | instskip(SKIP_1) | instid1(VALU_DEP_1)
	v_pk_fma_f32 v[94:95], v[92:93], v[86:87], v[90:91] op_sel:[0,0,1] op_sel_hi:[1,1,0] neg_lo:[0,0,1] neg_hi:[0,0,1]
	v_pk_fma_f32 v[90:91], v[92:93], v[86:87], v[90:91] op_sel:[0,0,1] op_sel_hi:[1,0,0]
	v_mov_b32_e32 v95, v91
	ds_load_2addr_b64 v[90:93], v118 offset0:14 offset1:15
	v_pk_add_f32 v[66:67], v[66:67], v[94:95] neg_lo:[0,1] neg_hi:[0,1]
	s_wait_dscnt 0x0
	v_pk_mul_f32 v[94:95], v[90:91], v[88:89] op_sel:[0,1]
	s_delay_alu instid0(VALU_DEP_1) | instskip(SKIP_1) | instid1(VALU_DEP_1)
	v_pk_fma_f32 v[96:97], v[90:91], v[86:87], v[94:95] op_sel:[0,0,1] op_sel_hi:[1,1,0] neg_lo:[0,0,1] neg_hi:[0,0,1]
	v_pk_fma_f32 v[90:91], v[90:91], v[86:87], v[94:95] op_sel:[0,0,1] op_sel_hi:[1,0,0]
	v_mov_b32_e32 v97, v91
	v_pk_mul_f32 v[90:91], v[92:93], v[88:89] op_sel:[0,1]
	s_delay_alu instid0(VALU_DEP_2) | instskip(NEXT) | instid1(VALU_DEP_2)
	v_pk_add_f32 v[68:69], v[68:69], v[96:97] neg_lo:[0,1] neg_hi:[0,1]
	v_pk_fma_f32 v[94:95], v[92:93], v[86:87], v[90:91] op_sel:[0,0,1] op_sel_hi:[1,1,0] neg_lo:[0,0,1] neg_hi:[0,0,1]
	v_pk_fma_f32 v[90:91], v[92:93], v[86:87], v[90:91] op_sel:[0,0,1] op_sel_hi:[1,0,0]
	s_delay_alu instid0(VALU_DEP_1) | instskip(SKIP_4) | instid1(VALU_DEP_1)
	v_mov_b32_e32 v95, v91
	ds_load_2addr_b64 v[90:93], v118 offset0:16 offset1:17
	v_pk_add_f32 v[64:65], v[64:65], v[94:95] neg_lo:[0,1] neg_hi:[0,1]
	s_wait_dscnt 0x0
	v_pk_mul_f32 v[94:95], v[90:91], v[88:89] op_sel:[0,1]
	v_pk_fma_f32 v[96:97], v[90:91], v[86:87], v[94:95] op_sel:[0,0,1] op_sel_hi:[1,1,0] neg_lo:[0,0,1] neg_hi:[0,0,1]
	v_pk_fma_f32 v[90:91], v[90:91], v[86:87], v[94:95] op_sel:[0,0,1] op_sel_hi:[1,0,0]
	v_dual_mul_f32 v94, v93, v89 :: v_dual_mov_b32 v90, v93
	s_delay_alu instid0(VALU_DEP_2) | instskip(NEXT) | instid1(VALU_DEP_2)
	v_dual_mov_b32 v97, v91 :: v_dual_mov_b32 v91, v92
	v_pk_fma_f32 v[94:95], v[92:93], v[48:49], v[94:95] op_sel_hi:[1,1,0] neg_lo:[0,0,1] neg_hi:[0,0,1]
	v_mul_f32_e32 v92, v93, v86
	s_delay_alu instid0(VALU_DEP_3) | instskip(NEXT) | instid1(VALU_DEP_2)
	v_pk_add_f32 v[74:75], v[74:75], v[96:97] neg_lo:[0,1] neg_hi:[0,1]
	v_pk_fma_f32 v[90:91], v[90:91], v[48:49], v[92:93] op_sel_hi:[1,1,0]
	s_delay_alu instid0(VALU_DEP_1) | instskip(SKIP_4) | instid1(VALU_DEP_1)
	v_mov_b32_e32 v95, v91
	ds_load_b64 v[90:91], v118 offset:144
	v_pk_add_f32 v[72:73], v[72:73], v[94:95] neg_lo:[0,1] neg_hi:[0,1]
	s_wait_dscnt 0x0
	v_pk_mul_f32 v[88:89], v[90:91], v[88:89] op_sel:[0,1]
	v_pk_fma_f32 v[92:93], v[90:91], v[86:87], v[88:89] op_sel:[0,0,1] op_sel_hi:[1,1,0] neg_lo:[0,0,1] neg_hi:[0,0,1]
	v_pk_fma_f32 v[86:87], v[90:91], v[86:87], v[88:89] op_sel:[0,0,1] op_sel_hi:[1,0,0]
	s_delay_alu instid0(VALU_DEP_1) | instskip(NEXT) | instid1(VALU_DEP_1)
	v_mov_b32_e32 v93, v87
	v_pk_add_f32 v[76:77], v[76:77], v[92:93] neg_lo:[0,1] neg_hi:[0,1]
.LBB37_37:
	s_or_b32 exec_lo, exec_lo, s1
	s_delay_alu instid0(SALU_CYCLE_1)
	s_mov_b32 s2, exec_lo
	s_wait_dscnt 0x0
	s_barrier_signal -1
	s_barrier_wait -1
	v_cmpx_eq_u32_e32 4, v116
	s_cbranch_execz .LBB37_44
; %bb.38:
	ds_store_b64 v117, v[26:27]
	ds_store_2addr_b64 v118, v[22:23], v[24:25] offset0:5 offset1:6
	ds_store_2addr_b64 v118, v[20:21], v[44:45] offset0:7 offset1:8
	;; [unrolled: 1-line block ×7, first 2 shown]
	ds_load_b64 v[86:87], v117
	s_wait_dscnt 0x0
	v_cmp_neq_f32_e32 vcc_lo, 0, v86
	v_cmp_neq_f32_e64 s1, 0, v87
	s_or_b32 s1, vcc_lo, s1
	s_delay_alu instid0(SALU_CYCLE_1)
	s_and_b32 exec_lo, exec_lo, s1
	s_cbranch_execz .LBB37_44
; %bb.39:
	v_cmp_ngt_f32_e64 s1, |v86|, |v87|
                                        ; implicit-def: $vgpr88_vgpr89
	s_and_saveexec_b32 s4, s1
	s_delay_alu instid0(SALU_CYCLE_1)
	s_xor_b32 s1, exec_lo, s4
	s_cbranch_execz .LBB37_41
; %bb.40:
	v_div_scale_f32 v88, null, v87, v87, v86
	v_div_scale_f32 v91, vcc_lo, v86, v87, v86
	s_delay_alu instid0(VALU_DEP_2) | instskip(SKIP_1) | instid1(TRANS32_DEP_1)
	v_rcp_f32_e32 v89, v88
	v_nop
	v_fma_f32 v90, -v88, v89, 1.0
	s_delay_alu instid0(VALU_DEP_1) | instskip(NEXT) | instid1(VALU_DEP_1)
	v_fmac_f32_e32 v89, v90, v89
	v_mul_f32_e32 v90, v91, v89
	s_delay_alu instid0(VALU_DEP_1) | instskip(NEXT) | instid1(VALU_DEP_1)
	v_fma_f32 v92, -v88, v90, v91
	v_fmac_f32_e32 v90, v92, v89
	s_delay_alu instid0(VALU_DEP_1) | instskip(NEXT) | instid1(VALU_DEP_1)
	v_fma_f32 v88, -v88, v90, v91
	v_div_fmas_f32 v88, v88, v89, v90
	s_delay_alu instid0(VALU_DEP_1) | instskip(NEXT) | instid1(VALU_DEP_1)
	v_div_fixup_f32 v88, v88, v87, v86
	v_fmac_f32_e32 v87, v86, v88
	s_delay_alu instid0(VALU_DEP_1) | instskip(SKIP_1) | instid1(VALU_DEP_2)
	v_div_scale_f32 v86, null, v87, v87, 1.0
	v_div_scale_f32 v91, vcc_lo, 1.0, v87, 1.0
	v_rcp_f32_e32 v89, v86
	v_nop
	s_delay_alu instid0(TRANS32_DEP_1) | instskip(NEXT) | instid1(VALU_DEP_1)
	v_fma_f32 v90, -v86, v89, 1.0
	v_fmac_f32_e32 v89, v90, v89
	s_delay_alu instid0(VALU_DEP_1) | instskip(NEXT) | instid1(VALU_DEP_1)
	v_mul_f32_e32 v90, v91, v89
	v_fma_f32 v92, -v86, v90, v91
	s_delay_alu instid0(VALU_DEP_1) | instskip(NEXT) | instid1(VALU_DEP_1)
	v_fmac_f32_e32 v90, v92, v89
	v_fma_f32 v86, -v86, v90, v91
	s_delay_alu instid0(VALU_DEP_1) | instskip(NEXT) | instid1(VALU_DEP_1)
	v_div_fmas_f32 v86, v86, v89, v90
	v_div_fixup_f32 v86, v86, v87, 1.0
	s_delay_alu instid0(VALU_DEP_1)
	v_mul_f32_e32 v88, v88, v86
	v_xor_b32_e32 v89, 0x80000000, v86
                                        ; implicit-def: $vgpr86_vgpr87
.LBB37_41:
	s_and_not1_saveexec_b32 s1, s1
	s_cbranch_execz .LBB37_43
; %bb.42:
	v_div_scale_f32 v88, null, v86, v86, v87
	v_div_scale_f32 v91, vcc_lo, v87, v86, v87
	s_delay_alu instid0(VALU_DEP_2) | instskip(SKIP_1) | instid1(TRANS32_DEP_1)
	v_rcp_f32_e32 v89, v88
	v_nop
	v_fma_f32 v90, -v88, v89, 1.0
	s_delay_alu instid0(VALU_DEP_1) | instskip(NEXT) | instid1(VALU_DEP_1)
	v_fmac_f32_e32 v89, v90, v89
	v_mul_f32_e32 v90, v91, v89
	s_delay_alu instid0(VALU_DEP_1) | instskip(NEXT) | instid1(VALU_DEP_1)
	v_fma_f32 v92, -v88, v90, v91
	v_fmac_f32_e32 v90, v92, v89
	s_delay_alu instid0(VALU_DEP_1) | instskip(NEXT) | instid1(VALU_DEP_1)
	v_fma_f32 v88, -v88, v90, v91
	v_div_fmas_f32 v88, v88, v89, v90
	s_delay_alu instid0(VALU_DEP_1) | instskip(NEXT) | instid1(VALU_DEP_1)
	v_div_fixup_f32 v89, v88, v86, v87
	v_fmac_f32_e32 v86, v87, v89
	s_delay_alu instid0(VALU_DEP_1) | instskip(NEXT) | instid1(VALU_DEP_1)
	v_div_scale_f32 v87, null, v86, v86, 1.0
	v_rcp_f32_e32 v88, v87
	v_nop
	s_delay_alu instid0(TRANS32_DEP_1) | instskip(NEXT) | instid1(VALU_DEP_1)
	v_fma_f32 v90, -v87, v88, 1.0
	v_fmac_f32_e32 v88, v90, v88
	v_div_scale_f32 v90, vcc_lo, 1.0, v86, 1.0
	s_delay_alu instid0(VALU_DEP_1) | instskip(NEXT) | instid1(VALU_DEP_1)
	v_mul_f32_e32 v91, v90, v88
	v_fma_f32 v92, -v87, v91, v90
	s_delay_alu instid0(VALU_DEP_1) | instskip(NEXT) | instid1(VALU_DEP_1)
	v_fmac_f32_e32 v91, v92, v88
	v_fma_f32 v87, -v87, v91, v90
	s_delay_alu instid0(VALU_DEP_1) | instskip(NEXT) | instid1(VALU_DEP_1)
	v_div_fmas_f32 v87, v87, v88, v91
	v_div_fixup_f32 v88, v87, v86, 1.0
	s_delay_alu instid0(VALU_DEP_1)
	v_mul_f32_e64 v89, v89, -v88
.LBB37_43:
	s_or_b32 exec_lo, exec_lo, s1
	ds_store_b64 v117, v[88:89]
.LBB37_44:
	s_or_b32 exec_lo, exec_lo, s2
	s_wait_dscnt 0x0
	s_barrier_signal -1
	s_barrier_wait -1
	ds_load_b64 v[86:87], v117
	s_mov_b32 s1, exec_lo
	v_cmpx_lt_u32_e32 4, v116
	s_cbranch_execz .LBB37_46
; %bb.45:
	s_wait_dscnt 0x0
	v_pk_mul_f32 v[88:89], v[86:87], v[26:27] op_sel:[1,1] op_sel_hi:[0,1]
	s_delay_alu instid0(VALU_DEP_1)
	v_pk_fma_f32 v[92:93], v[86:87], v[26:27], v[88:89] op_sel_hi:[1,0,1] neg_lo:[0,0,1] neg_hi:[0,0,1]
	v_pk_fma_f32 v[94:95], v[86:87], v[26:27], v[88:89] op_sel_hi:[1,0,1]
	ds_load_2addr_b64 v[88:91], v118 offset0:5 offset1:6
	v_dual_mov_b32 v26, v92 :: v_dual_mov_b32 v27, v95
	s_wait_dscnt 0x0
	v_pk_mul_f32 v[96:97], v[88:89], v[94:95] op_sel:[0,1]
	s_delay_alu instid0(VALU_DEP_1) | instskip(SKIP_1) | instid1(VALU_DEP_1)
	v_pk_fma_f32 v[98:99], v[88:89], v[92:93], v[96:97] op_sel:[0,0,1] op_sel_hi:[1,1,0] neg_lo:[0,0,1] neg_hi:[0,0,1]
	v_pk_fma_f32 v[88:89], v[88:89], v[92:93], v[96:97] op_sel:[0,0,1] op_sel_hi:[1,0,0]
	v_mov_b32_e32 v99, v89
	v_pk_mul_f32 v[88:89], v[90:91], v[94:95] op_sel:[0,1]
	s_delay_alu instid0(VALU_DEP_1) | instskip(SKIP_1) | instid1(VALU_DEP_1)
	v_pk_fma_f32 v[96:97], v[90:91], v[92:93], v[88:89] op_sel:[0,0,1] op_sel_hi:[1,1,0] neg_lo:[0,0,1] neg_hi:[0,0,1]
	v_pk_fma_f32 v[88:89], v[90:91], v[92:93], v[88:89] op_sel:[0,0,1] op_sel_hi:[1,0,0]
	v_mov_b32_e32 v97, v89
	ds_load_2addr_b64 v[88:91], v118 offset0:7 offset1:8
	v_pk_add_f32 v[22:23], v[22:23], v[98:99] neg_lo:[0,1] neg_hi:[0,1]
	v_pk_add_f32 v[24:25], v[24:25], v[96:97] neg_lo:[0,1] neg_hi:[0,1]
	s_wait_dscnt 0x0
	v_pk_mul_f32 v[96:97], v[88:89], v[94:95] op_sel:[0,1]
	s_delay_alu instid0(VALU_DEP_1) | instskip(SKIP_2) | instid1(VALU_DEP_2)
	v_pk_fma_f32 v[98:99], v[88:89], v[92:93], v[96:97] op_sel:[0,0,1] op_sel_hi:[1,1,0] neg_lo:[0,0,1] neg_hi:[0,0,1]
	v_pk_fma_f32 v[88:89], v[88:89], v[92:93], v[96:97] op_sel:[0,0,1] op_sel_hi:[1,0,0]
	v_dual_mul_f32 v96, v91, v95 :: v_dual_mov_b32 v88, v91
	v_dual_mov_b32 v99, v89 :: v_dual_mov_b32 v89, v90
	s_delay_alu instid0(VALU_DEP_2) | instskip(SKIP_1) | instid1(VALU_DEP_3)
	v_pk_fma_f32 v[96:97], v[90:91], v[26:27], v[96:97] op_sel_hi:[1,1,0] neg_lo:[0,0,1] neg_hi:[0,0,1]
	v_mul_f32_e32 v90, v91, v92
	v_pk_add_f32 v[20:21], v[20:21], v[98:99] neg_lo:[0,1] neg_hi:[0,1]
	s_delay_alu instid0(VALU_DEP_2) | instskip(NEXT) | instid1(VALU_DEP_1)
	v_pk_fma_f32 v[88:89], v[88:89], v[26:27], v[90:91] op_sel_hi:[1,1,0]
	v_mov_b32_e32 v97, v89
	ds_load_2addr_b64 v[88:91], v118 offset0:9 offset1:10
	v_pk_add_f32 v[44:45], v[44:45], v[96:97] neg_lo:[0,1] neg_hi:[0,1]
	s_wait_dscnt 0x0
	v_pk_mul_f32 v[96:97], v[88:89], v[94:95] op_sel:[0,1]
	s_delay_alu instid0(VALU_DEP_1) | instskip(SKIP_1) | instid1(VALU_DEP_1)
	v_pk_fma_f32 v[98:99], v[88:89], v[92:93], v[96:97] op_sel:[0,0,1] op_sel_hi:[1,1,0] neg_lo:[0,0,1] neg_hi:[0,0,1]
	v_pk_fma_f32 v[88:89], v[88:89], v[92:93], v[96:97] op_sel:[0,0,1] op_sel_hi:[1,0,0]
	v_mov_b32_e32 v99, v89
	v_pk_mul_f32 v[88:89], v[90:91], v[94:95] op_sel:[0,1]
	s_delay_alu instid0(VALU_DEP_1) | instskip(SKIP_1) | instid1(VALU_DEP_1)
	v_pk_fma_f32 v[96:97], v[90:91], v[92:93], v[88:89] op_sel:[0,0,1] op_sel_hi:[1,1,0] neg_lo:[0,0,1] neg_hi:[0,0,1]
	v_pk_fma_f32 v[88:89], v[90:91], v[92:93], v[88:89] op_sel:[0,0,1] op_sel_hi:[1,0,0]
	v_mov_b32_e32 v97, v89
	ds_load_2addr_b64 v[88:91], v118 offset0:11 offset1:12
	v_pk_add_f32 v[40:41], v[40:41], v[98:99] neg_lo:[0,1] neg_hi:[0,1]
	v_pk_add_f32 v[42:43], v[42:43], v[96:97] neg_lo:[0,1] neg_hi:[0,1]
	s_wait_dscnt 0x0
	v_pk_mul_f32 v[96:97], v[88:89], v[94:95] op_sel:[0,1]
	s_delay_alu instid0(VALU_DEP_1) | instskip(SKIP_1) | instid1(VALU_DEP_1)
	v_pk_fma_f32 v[98:99], v[88:89], v[92:93], v[96:97] op_sel:[0,0,1] op_sel_hi:[1,1,0] neg_lo:[0,0,1] neg_hi:[0,0,1]
	v_pk_fma_f32 v[88:89], v[88:89], v[92:93], v[96:97] op_sel:[0,0,1] op_sel_hi:[1,0,0]
	v_mov_b32_e32 v99, v89
	v_pk_mul_f32 v[88:89], v[90:91], v[94:95] op_sel:[0,1]
	s_delay_alu instid0(VALU_DEP_1) | instskip(SKIP_1) | instid1(VALU_DEP_1)
	v_pk_fma_f32 v[96:97], v[90:91], v[92:93], v[88:89] op_sel:[0,0,1] op_sel_hi:[1,1,0] neg_lo:[0,0,1] neg_hi:[0,0,1]
	v_pk_fma_f32 v[88:89], v[90:91], v[92:93], v[88:89] op_sel:[0,0,1] op_sel_hi:[1,0,0]
	v_mov_b32_e32 v97, v89
	ds_load_2addr_b64 v[88:91], v118 offset0:13 offset1:14
	v_pk_add_f32 v[38:39], v[38:39], v[98:99] neg_lo:[0,1] neg_hi:[0,1]
	v_pk_add_f32 v[70:71], v[70:71], v[96:97] neg_lo:[0,1] neg_hi:[0,1]
	s_wait_dscnt 0x0
	v_dual_mul_f32 v96, v89, v95 :: v_dual_mul_f32 v98, v89, v92
	s_delay_alu instid0(VALU_DEP_1) | instskip(NEXT) | instid1(VALU_DEP_2)
	v_pk_fma_f32 v[96:97], v[88:89], v[26:27], v[96:97] op_sel_hi:[1,1,0] neg_lo:[0,0,1] neg_hi:[0,0,1]
	v_pk_fma_f32 v[88:89], v[88:89], v[26:27], v[98:99] op_sel:[1,0,0] op_sel_hi:[0,1,0]
	s_delay_alu instid0(VALU_DEP_1) | instskip(SKIP_1) | instid1(VALU_DEP_2)
	v_mov_b32_e32 v97, v89
	v_pk_mul_f32 v[88:89], v[90:91], v[94:95] op_sel:[0,1]
	v_pk_add_f32 v[66:67], v[66:67], v[96:97] neg_lo:[0,1] neg_hi:[0,1]
	s_delay_alu instid0(VALU_DEP_2) | instskip(SKIP_1) | instid1(VALU_DEP_1)
	v_pk_fma_f32 v[96:97], v[90:91], v[92:93], v[88:89] op_sel:[0,0,1] op_sel_hi:[1,1,0] neg_lo:[0,0,1] neg_hi:[0,0,1]
	v_pk_fma_f32 v[88:89], v[90:91], v[92:93], v[88:89] op_sel:[0,0,1] op_sel_hi:[1,0,0]
	v_mov_b32_e32 v97, v89
	ds_load_2addr_b64 v[88:91], v118 offset0:15 offset1:16
	v_pk_add_f32 v[68:69], v[68:69], v[96:97] neg_lo:[0,1] neg_hi:[0,1]
	s_wait_dscnt 0x0
	v_pk_mul_f32 v[96:97], v[88:89], v[94:95] op_sel:[0,1]
	s_delay_alu instid0(VALU_DEP_1) | instskip(SKIP_1) | instid1(VALU_DEP_1)
	v_pk_fma_f32 v[98:99], v[88:89], v[92:93], v[96:97] op_sel:[0,0,1] op_sel_hi:[1,1,0] neg_lo:[0,0,1] neg_hi:[0,0,1]
	v_pk_fma_f32 v[88:89], v[88:89], v[92:93], v[96:97] op_sel:[0,0,1] op_sel_hi:[1,0,0]
	v_mov_b32_e32 v99, v89
	v_pk_mul_f32 v[88:89], v[90:91], v[94:95] op_sel:[0,1]
	s_delay_alu instid0(VALU_DEP_2) | instskip(NEXT) | instid1(VALU_DEP_2)
	v_pk_add_f32 v[64:65], v[64:65], v[98:99] neg_lo:[0,1] neg_hi:[0,1]
	v_pk_fma_f32 v[96:97], v[90:91], v[92:93], v[88:89] op_sel:[0,0,1] op_sel_hi:[1,1,0] neg_lo:[0,0,1] neg_hi:[0,0,1]
	v_pk_fma_f32 v[88:89], v[90:91], v[92:93], v[88:89] op_sel:[0,0,1] op_sel_hi:[1,0,0]
	s_delay_alu instid0(VALU_DEP_1) | instskip(SKIP_4) | instid1(VALU_DEP_1)
	v_mov_b32_e32 v97, v89
	ds_load_2addr_b64 v[88:91], v118 offset0:17 offset1:18
	v_pk_add_f32 v[74:75], v[74:75], v[96:97] neg_lo:[0,1] neg_hi:[0,1]
	s_wait_dscnt 0x0
	v_pk_mul_f32 v[96:97], v[88:89], v[94:95] op_sel:[0,1]
	v_pk_fma_f32 v[98:99], v[88:89], v[92:93], v[96:97] op_sel:[0,0,1] op_sel_hi:[1,1,0] neg_lo:[0,0,1] neg_hi:[0,0,1]
	v_pk_fma_f32 v[88:89], v[88:89], v[92:93], v[96:97] op_sel:[0,0,1] op_sel_hi:[1,0,0]
	s_delay_alu instid0(VALU_DEP_1) | instskip(SKIP_1) | instid1(VALU_DEP_2)
	v_mov_b32_e32 v99, v89
	v_pk_mul_f32 v[88:89], v[90:91], v[94:95] op_sel:[0,1]
	v_pk_add_f32 v[72:73], v[72:73], v[98:99] neg_lo:[0,1] neg_hi:[0,1]
	s_delay_alu instid0(VALU_DEP_2) | instskip(SKIP_1) | instid1(VALU_DEP_1)
	v_pk_fma_f32 v[94:95], v[90:91], v[92:93], v[88:89] op_sel:[0,0,1] op_sel_hi:[1,1,0] neg_lo:[0,0,1] neg_hi:[0,0,1]
	v_pk_fma_f32 v[88:89], v[90:91], v[92:93], v[88:89] op_sel:[0,0,1] op_sel_hi:[1,0,0]
	v_mov_b32_e32 v95, v89
	s_delay_alu instid0(VALU_DEP_1)
	v_pk_add_f32 v[76:77], v[76:77], v[94:95] neg_lo:[0,1] neg_hi:[0,1]
.LBB37_46:
	s_or_b32 exec_lo, exec_lo, s1
	s_delay_alu instid0(SALU_CYCLE_1)
	s_mov_b32 s2, exec_lo
	s_wait_dscnt 0x0
	s_barrier_signal -1
	s_barrier_wait -1
	v_cmpx_eq_u32_e32 5, v116
	s_cbranch_execz .LBB37_53
; %bb.47:
	v_dual_mov_b32 v88, v24 :: v_dual_mov_b32 v89, v25
	v_dual_mov_b32 v90, v20 :: v_dual_mov_b32 v91, v21
	ds_store_b64 v117, v[22:23]
	ds_store_2addr_b64 v118, v[88:89], v[90:91] offset0:6 offset1:7
	v_dual_mov_b32 v88, v44 :: v_dual_mov_b32 v89, v45
	v_dual_mov_b32 v90, v40 :: v_dual_mov_b32 v91, v41
	ds_store_2addr_b64 v118, v[88:89], v[90:91] offset0:8 offset1:9
	v_dual_mov_b32 v88, v42 :: v_dual_mov_b32 v89, v43
	v_dual_mov_b32 v90, v38 :: v_dual_mov_b32 v91, v39
	;; [unrolled: 3-line block ×5, first 2 shown]
	ds_store_2addr_b64 v118, v[88:89], v[90:91] offset0:16 offset1:17
	ds_store_b64 v118, v[76:77] offset:144
	ds_load_b64 v[88:89], v117
	s_wait_dscnt 0x0
	v_cmp_neq_f32_e32 vcc_lo, 0, v88
	v_cmp_neq_f32_e64 s1, 0, v89
	s_or_b32 s1, vcc_lo, s1
	s_delay_alu instid0(SALU_CYCLE_1)
	s_and_b32 exec_lo, exec_lo, s1
	s_cbranch_execz .LBB37_53
; %bb.48:
	v_cmp_ngt_f32_e64 s1, |v88|, |v89|
                                        ; implicit-def: $vgpr90_vgpr91
	s_and_saveexec_b32 s4, s1
	s_delay_alu instid0(SALU_CYCLE_1)
	s_xor_b32 s1, exec_lo, s4
	s_cbranch_execz .LBB37_50
; %bb.49:
	v_div_scale_f32 v90, null, v89, v89, v88
	v_div_scale_f32 v93, vcc_lo, v88, v89, v88
	s_delay_alu instid0(VALU_DEP_2) | instskip(SKIP_1) | instid1(TRANS32_DEP_1)
	v_rcp_f32_e32 v91, v90
	v_nop
	v_fma_f32 v92, -v90, v91, 1.0
	s_delay_alu instid0(VALU_DEP_1) | instskip(NEXT) | instid1(VALU_DEP_1)
	v_fmac_f32_e32 v91, v92, v91
	v_mul_f32_e32 v92, v93, v91
	s_delay_alu instid0(VALU_DEP_1) | instskip(NEXT) | instid1(VALU_DEP_1)
	v_fma_f32 v94, -v90, v92, v93
	v_fmac_f32_e32 v92, v94, v91
	s_delay_alu instid0(VALU_DEP_1) | instskip(NEXT) | instid1(VALU_DEP_1)
	v_fma_f32 v90, -v90, v92, v93
	v_div_fmas_f32 v90, v90, v91, v92
	s_delay_alu instid0(VALU_DEP_1) | instskip(NEXT) | instid1(VALU_DEP_1)
	v_div_fixup_f32 v90, v90, v89, v88
	v_fmac_f32_e32 v89, v88, v90
	s_delay_alu instid0(VALU_DEP_1) | instskip(SKIP_1) | instid1(VALU_DEP_2)
	v_div_scale_f32 v88, null, v89, v89, 1.0
	v_div_scale_f32 v93, vcc_lo, 1.0, v89, 1.0
	v_rcp_f32_e32 v91, v88
	v_nop
	s_delay_alu instid0(TRANS32_DEP_1) | instskip(NEXT) | instid1(VALU_DEP_1)
	v_fma_f32 v92, -v88, v91, 1.0
	v_fmac_f32_e32 v91, v92, v91
	s_delay_alu instid0(VALU_DEP_1) | instskip(NEXT) | instid1(VALU_DEP_1)
	v_mul_f32_e32 v92, v93, v91
	v_fma_f32 v94, -v88, v92, v93
	s_delay_alu instid0(VALU_DEP_1) | instskip(NEXT) | instid1(VALU_DEP_1)
	v_fmac_f32_e32 v92, v94, v91
	v_fma_f32 v88, -v88, v92, v93
	s_delay_alu instid0(VALU_DEP_1) | instskip(NEXT) | instid1(VALU_DEP_1)
	v_div_fmas_f32 v88, v88, v91, v92
	v_div_fixup_f32 v88, v88, v89, 1.0
	s_delay_alu instid0(VALU_DEP_1)
	v_mul_f32_e32 v90, v90, v88
	v_xor_b32_e32 v91, 0x80000000, v88
                                        ; implicit-def: $vgpr88_vgpr89
.LBB37_50:
	s_and_not1_saveexec_b32 s1, s1
	s_cbranch_execz .LBB37_52
; %bb.51:
	v_div_scale_f32 v90, null, v88, v88, v89
	v_div_scale_f32 v93, vcc_lo, v89, v88, v89
	s_delay_alu instid0(VALU_DEP_2) | instskip(SKIP_1) | instid1(TRANS32_DEP_1)
	v_rcp_f32_e32 v91, v90
	v_nop
	v_fma_f32 v92, -v90, v91, 1.0
	s_delay_alu instid0(VALU_DEP_1) | instskip(NEXT) | instid1(VALU_DEP_1)
	v_fmac_f32_e32 v91, v92, v91
	v_mul_f32_e32 v92, v93, v91
	s_delay_alu instid0(VALU_DEP_1) | instskip(NEXT) | instid1(VALU_DEP_1)
	v_fma_f32 v94, -v90, v92, v93
	v_fmac_f32_e32 v92, v94, v91
	s_delay_alu instid0(VALU_DEP_1) | instskip(NEXT) | instid1(VALU_DEP_1)
	v_fma_f32 v90, -v90, v92, v93
	v_div_fmas_f32 v90, v90, v91, v92
	s_delay_alu instid0(VALU_DEP_1) | instskip(NEXT) | instid1(VALU_DEP_1)
	v_div_fixup_f32 v91, v90, v88, v89
	v_fmac_f32_e32 v88, v89, v91
	s_delay_alu instid0(VALU_DEP_1) | instskip(NEXT) | instid1(VALU_DEP_1)
	v_div_scale_f32 v89, null, v88, v88, 1.0
	v_rcp_f32_e32 v90, v89
	v_nop
	s_delay_alu instid0(TRANS32_DEP_1) | instskip(NEXT) | instid1(VALU_DEP_1)
	v_fma_f32 v92, -v89, v90, 1.0
	v_fmac_f32_e32 v90, v92, v90
	v_div_scale_f32 v92, vcc_lo, 1.0, v88, 1.0
	s_delay_alu instid0(VALU_DEP_1) | instskip(NEXT) | instid1(VALU_DEP_1)
	v_mul_f32_e32 v93, v92, v90
	v_fma_f32 v94, -v89, v93, v92
	s_delay_alu instid0(VALU_DEP_1) | instskip(NEXT) | instid1(VALU_DEP_1)
	v_fmac_f32_e32 v93, v94, v90
	v_fma_f32 v89, -v89, v93, v92
	s_delay_alu instid0(VALU_DEP_1) | instskip(NEXT) | instid1(VALU_DEP_1)
	v_div_fmas_f32 v89, v89, v90, v93
	v_div_fixup_f32 v90, v89, v88, 1.0
	s_delay_alu instid0(VALU_DEP_1)
	v_mul_f32_e64 v91, v91, -v90
.LBB37_52:
	s_or_b32 exec_lo, exec_lo, s1
	ds_store_b64 v117, v[90:91]
.LBB37_53:
	s_or_b32 exec_lo, exec_lo, s2
	s_wait_dscnt 0x0
	s_barrier_signal -1
	s_barrier_wait -1
	ds_load_b64 v[88:89], v117
	s_mov_b32 s1, exec_lo
	v_cmpx_lt_u32_e32 5, v116
	s_cbranch_execz .LBB37_55
; %bb.54:
	s_wait_dscnt 0x0
	v_pk_mul_f32 v[90:91], v[88:89], v[22:23] op_sel:[1,1] op_sel_hi:[0,1]
	s_delay_alu instid0(VALU_DEP_1)
	v_pk_fma_f32 v[94:95], v[88:89], v[22:23], v[90:91] op_sel_hi:[1,0,1] neg_lo:[0,0,1] neg_hi:[0,0,1]
	v_pk_fma_f32 v[96:97], v[88:89], v[22:23], v[90:91] op_sel_hi:[1,0,1]
	ds_load_2addr_b64 v[90:93], v118 offset0:6 offset1:7
	v_dual_mov_b32 v22, v94 :: v_dual_mov_b32 v23, v97
	s_wait_dscnt 0x0
	v_pk_mul_f32 v[98:99], v[90:91], v[96:97] op_sel:[0,1]
	s_delay_alu instid0(VALU_DEP_1) | instskip(SKIP_1) | instid1(VALU_DEP_1)
	v_pk_fma_f32 v[100:101], v[90:91], v[94:95], v[98:99] op_sel:[0,0,1] op_sel_hi:[1,1,0] neg_lo:[0,0,1] neg_hi:[0,0,1]
	v_pk_fma_f32 v[90:91], v[90:91], v[94:95], v[98:99] op_sel:[0,0,1] op_sel_hi:[1,0,0]
	v_mov_b32_e32 v101, v91
	v_pk_mul_f32 v[90:91], v[92:93], v[96:97] op_sel:[0,1]
	s_delay_alu instid0(VALU_DEP_1) | instskip(SKIP_1) | instid1(VALU_DEP_1)
	v_pk_fma_f32 v[98:99], v[92:93], v[94:95], v[90:91] op_sel:[0,0,1] op_sel_hi:[1,1,0] neg_lo:[0,0,1] neg_hi:[0,0,1]
	v_pk_fma_f32 v[90:91], v[92:93], v[94:95], v[90:91] op_sel:[0,0,1] op_sel_hi:[1,0,0]
	v_mov_b32_e32 v99, v91
	ds_load_2addr_b64 v[90:93], v118 offset0:8 offset1:9
	v_pk_add_f32 v[24:25], v[24:25], v[100:101] neg_lo:[0,1] neg_hi:[0,1]
	v_pk_add_f32 v[20:21], v[20:21], v[98:99] neg_lo:[0,1] neg_hi:[0,1]
	s_wait_dscnt 0x0
	v_pk_mul_f32 v[98:99], v[90:91], v[96:97] op_sel:[0,1]
	s_delay_alu instid0(VALU_DEP_1) | instskip(SKIP_2) | instid1(VALU_DEP_2)
	v_pk_fma_f32 v[100:101], v[90:91], v[94:95], v[98:99] op_sel:[0,0,1] op_sel_hi:[1,1,0] neg_lo:[0,0,1] neg_hi:[0,0,1]
	v_pk_fma_f32 v[90:91], v[90:91], v[94:95], v[98:99] op_sel:[0,0,1] op_sel_hi:[1,0,0]
	v_dual_mul_f32 v98, v93, v97 :: v_dual_mov_b32 v90, v93
	v_dual_mov_b32 v101, v91 :: v_dual_mov_b32 v91, v92
	s_delay_alu instid0(VALU_DEP_2) | instskip(SKIP_1) | instid1(VALU_DEP_3)
	v_pk_fma_f32 v[98:99], v[92:93], v[22:23], v[98:99] op_sel_hi:[1,1,0] neg_lo:[0,0,1] neg_hi:[0,0,1]
	v_mul_f32_e32 v92, v93, v94
	v_pk_add_f32 v[44:45], v[44:45], v[100:101] neg_lo:[0,1] neg_hi:[0,1]
	s_delay_alu instid0(VALU_DEP_2) | instskip(NEXT) | instid1(VALU_DEP_1)
	v_pk_fma_f32 v[90:91], v[90:91], v[22:23], v[92:93] op_sel_hi:[1,1,0]
	v_mov_b32_e32 v99, v91
	ds_load_2addr_b64 v[90:93], v118 offset0:10 offset1:11
	v_pk_add_f32 v[40:41], v[40:41], v[98:99] neg_lo:[0,1] neg_hi:[0,1]
	s_wait_dscnt 0x0
	v_pk_mul_f32 v[98:99], v[90:91], v[96:97] op_sel:[0,1]
	s_delay_alu instid0(VALU_DEP_1) | instskip(SKIP_1) | instid1(VALU_DEP_1)
	v_pk_fma_f32 v[100:101], v[90:91], v[94:95], v[98:99] op_sel:[0,0,1] op_sel_hi:[1,1,0] neg_lo:[0,0,1] neg_hi:[0,0,1]
	v_pk_fma_f32 v[90:91], v[90:91], v[94:95], v[98:99] op_sel:[0,0,1] op_sel_hi:[1,0,0]
	v_mov_b32_e32 v101, v91
	v_pk_mul_f32 v[90:91], v[92:93], v[96:97] op_sel:[0,1]
	s_delay_alu instid0(VALU_DEP_1) | instskip(SKIP_1) | instid1(VALU_DEP_1)
	v_pk_fma_f32 v[98:99], v[92:93], v[94:95], v[90:91] op_sel:[0,0,1] op_sel_hi:[1,1,0] neg_lo:[0,0,1] neg_hi:[0,0,1]
	v_pk_fma_f32 v[90:91], v[92:93], v[94:95], v[90:91] op_sel:[0,0,1] op_sel_hi:[1,0,0]
	v_mov_b32_e32 v99, v91
	ds_load_2addr_b64 v[90:93], v118 offset0:12 offset1:13
	v_pk_add_f32 v[42:43], v[42:43], v[100:101] neg_lo:[0,1] neg_hi:[0,1]
	v_pk_add_f32 v[38:39], v[38:39], v[98:99] neg_lo:[0,1] neg_hi:[0,1]
	s_wait_dscnt 0x0
	v_pk_mul_f32 v[98:99], v[90:91], v[96:97] op_sel:[0,1]
	s_delay_alu instid0(VALU_DEP_1) | instskip(SKIP_1) | instid1(VALU_DEP_1)
	v_pk_fma_f32 v[100:101], v[90:91], v[94:95], v[98:99] op_sel:[0,0,1] op_sel_hi:[1,1,0] neg_lo:[0,0,1] neg_hi:[0,0,1]
	v_pk_fma_f32 v[90:91], v[90:91], v[94:95], v[98:99] op_sel:[0,0,1] op_sel_hi:[1,0,0]
	v_mov_b32_e32 v101, v91
	v_pk_mul_f32 v[90:91], v[92:93], v[96:97] op_sel:[0,1]
	s_delay_alu instid0(VALU_DEP_1) | instskip(SKIP_1) | instid1(VALU_DEP_1)
	v_pk_fma_f32 v[98:99], v[92:93], v[94:95], v[90:91] op_sel:[0,0,1] op_sel_hi:[1,1,0] neg_lo:[0,0,1] neg_hi:[0,0,1]
	v_pk_fma_f32 v[90:91], v[92:93], v[94:95], v[90:91] op_sel:[0,0,1] op_sel_hi:[1,0,0]
	v_mov_b32_e32 v99, v91
	ds_load_2addr_b64 v[90:93], v118 offset0:14 offset1:15
	v_pk_add_f32 v[70:71], v[70:71], v[100:101] neg_lo:[0,1] neg_hi:[0,1]
	v_pk_add_f32 v[66:67], v[66:67], v[98:99] neg_lo:[0,1] neg_hi:[0,1]
	s_wait_dscnt 0x0
	v_dual_mul_f32 v98, v91, v97 :: v_dual_mul_f32 v100, v91, v94
	s_delay_alu instid0(VALU_DEP_1) | instskip(NEXT) | instid1(VALU_DEP_2)
	v_pk_fma_f32 v[98:99], v[90:91], v[22:23], v[98:99] op_sel_hi:[1,1,0] neg_lo:[0,0,1] neg_hi:[0,0,1]
	v_pk_fma_f32 v[90:91], v[90:91], v[22:23], v[100:101] op_sel:[1,0,0] op_sel_hi:[0,1,0]
	s_delay_alu instid0(VALU_DEP_1) | instskip(SKIP_1) | instid1(VALU_DEP_2)
	v_mov_b32_e32 v99, v91
	v_pk_mul_f32 v[90:91], v[92:93], v[96:97] op_sel:[0,1]
	v_pk_add_f32 v[68:69], v[68:69], v[98:99] neg_lo:[0,1] neg_hi:[0,1]
	s_delay_alu instid0(VALU_DEP_2) | instskip(SKIP_1) | instid1(VALU_DEP_1)
	v_pk_fma_f32 v[98:99], v[92:93], v[94:95], v[90:91] op_sel:[0,0,1] op_sel_hi:[1,1,0] neg_lo:[0,0,1] neg_hi:[0,0,1]
	v_pk_fma_f32 v[90:91], v[92:93], v[94:95], v[90:91] op_sel:[0,0,1] op_sel_hi:[1,0,0]
	v_mov_b32_e32 v99, v91
	ds_load_2addr_b64 v[90:93], v118 offset0:16 offset1:17
	v_pk_add_f32 v[64:65], v[64:65], v[98:99] neg_lo:[0,1] neg_hi:[0,1]
	s_wait_dscnt 0x0
	v_pk_mul_f32 v[98:99], v[90:91], v[96:97] op_sel:[0,1]
	s_delay_alu instid0(VALU_DEP_1) | instskip(SKIP_1) | instid1(VALU_DEP_1)
	v_pk_fma_f32 v[100:101], v[90:91], v[94:95], v[98:99] op_sel:[0,0,1] op_sel_hi:[1,1,0] neg_lo:[0,0,1] neg_hi:[0,0,1]
	v_pk_fma_f32 v[90:91], v[90:91], v[94:95], v[98:99] op_sel:[0,0,1] op_sel_hi:[1,0,0]
	v_mov_b32_e32 v101, v91
	v_pk_mul_f32 v[90:91], v[92:93], v[96:97] op_sel:[0,1]
	s_delay_alu instid0(VALU_DEP_2) | instskip(NEXT) | instid1(VALU_DEP_2)
	v_pk_add_f32 v[74:75], v[74:75], v[100:101] neg_lo:[0,1] neg_hi:[0,1]
	v_pk_fma_f32 v[98:99], v[92:93], v[94:95], v[90:91] op_sel:[0,0,1] op_sel_hi:[1,1,0] neg_lo:[0,0,1] neg_hi:[0,0,1]
	v_pk_fma_f32 v[90:91], v[92:93], v[94:95], v[90:91] op_sel:[0,0,1] op_sel_hi:[1,0,0]
	s_delay_alu instid0(VALU_DEP_1) | instskip(SKIP_4) | instid1(VALU_DEP_1)
	v_mov_b32_e32 v99, v91
	ds_load_b64 v[90:91], v118 offset:144
	v_pk_add_f32 v[72:73], v[72:73], v[98:99] neg_lo:[0,1] neg_hi:[0,1]
	s_wait_dscnt 0x0
	v_pk_mul_f32 v[92:93], v[90:91], v[96:97] op_sel:[0,1]
	v_pk_fma_f32 v[96:97], v[90:91], v[94:95], v[92:93] op_sel:[0,0,1] op_sel_hi:[1,1,0] neg_lo:[0,0,1] neg_hi:[0,0,1]
	v_pk_fma_f32 v[90:91], v[90:91], v[94:95], v[92:93] op_sel:[0,0,1] op_sel_hi:[1,0,0]
	s_delay_alu instid0(VALU_DEP_1) | instskip(NEXT) | instid1(VALU_DEP_1)
	v_mov_b32_e32 v97, v91
	v_pk_add_f32 v[76:77], v[76:77], v[96:97] neg_lo:[0,1] neg_hi:[0,1]
.LBB37_55:
	s_or_b32 exec_lo, exec_lo, s1
	s_delay_alu instid0(SALU_CYCLE_1)
	s_mov_b32 s2, exec_lo
	s_wait_dscnt 0x0
	s_barrier_signal -1
	s_barrier_wait -1
	v_cmpx_eq_u32_e32 6, v116
	s_cbranch_execz .LBB37_62
; %bb.56:
	ds_store_b64 v117, v[24:25]
	ds_store_2addr_b64 v118, v[20:21], v[44:45] offset0:7 offset1:8
	ds_store_2addr_b64 v118, v[40:41], v[42:43] offset0:9 offset1:10
	;; [unrolled: 1-line block ×6, first 2 shown]
	ds_load_b64 v[90:91], v117
	s_wait_dscnt 0x0
	v_cmp_neq_f32_e32 vcc_lo, 0, v90
	v_cmp_neq_f32_e64 s1, 0, v91
	s_or_b32 s1, vcc_lo, s1
	s_delay_alu instid0(SALU_CYCLE_1)
	s_and_b32 exec_lo, exec_lo, s1
	s_cbranch_execz .LBB37_62
; %bb.57:
	v_cmp_ngt_f32_e64 s1, |v90|, |v91|
                                        ; implicit-def: $vgpr92_vgpr93
	s_and_saveexec_b32 s4, s1
	s_delay_alu instid0(SALU_CYCLE_1)
	s_xor_b32 s1, exec_lo, s4
	s_cbranch_execz .LBB37_59
; %bb.58:
	v_div_scale_f32 v92, null, v91, v91, v90
	v_div_scale_f32 v95, vcc_lo, v90, v91, v90
	s_delay_alu instid0(VALU_DEP_2) | instskip(SKIP_1) | instid1(TRANS32_DEP_1)
	v_rcp_f32_e32 v93, v92
	v_nop
	v_fma_f32 v94, -v92, v93, 1.0
	s_delay_alu instid0(VALU_DEP_1) | instskip(NEXT) | instid1(VALU_DEP_1)
	v_fmac_f32_e32 v93, v94, v93
	v_mul_f32_e32 v94, v95, v93
	s_delay_alu instid0(VALU_DEP_1) | instskip(NEXT) | instid1(VALU_DEP_1)
	v_fma_f32 v96, -v92, v94, v95
	v_fmac_f32_e32 v94, v96, v93
	s_delay_alu instid0(VALU_DEP_1) | instskip(NEXT) | instid1(VALU_DEP_1)
	v_fma_f32 v92, -v92, v94, v95
	v_div_fmas_f32 v92, v92, v93, v94
	s_delay_alu instid0(VALU_DEP_1) | instskip(NEXT) | instid1(VALU_DEP_1)
	v_div_fixup_f32 v92, v92, v91, v90
	v_fmac_f32_e32 v91, v90, v92
	s_delay_alu instid0(VALU_DEP_1) | instskip(SKIP_1) | instid1(VALU_DEP_2)
	v_div_scale_f32 v90, null, v91, v91, 1.0
	v_div_scale_f32 v95, vcc_lo, 1.0, v91, 1.0
	v_rcp_f32_e32 v93, v90
	v_nop
	s_delay_alu instid0(TRANS32_DEP_1) | instskip(NEXT) | instid1(VALU_DEP_1)
	v_fma_f32 v94, -v90, v93, 1.0
	v_fmac_f32_e32 v93, v94, v93
	s_delay_alu instid0(VALU_DEP_1) | instskip(NEXT) | instid1(VALU_DEP_1)
	v_mul_f32_e32 v94, v95, v93
	v_fma_f32 v96, -v90, v94, v95
	s_delay_alu instid0(VALU_DEP_1) | instskip(NEXT) | instid1(VALU_DEP_1)
	v_fmac_f32_e32 v94, v96, v93
	v_fma_f32 v90, -v90, v94, v95
	s_delay_alu instid0(VALU_DEP_1) | instskip(NEXT) | instid1(VALU_DEP_1)
	v_div_fmas_f32 v90, v90, v93, v94
	v_div_fixup_f32 v90, v90, v91, 1.0
	s_delay_alu instid0(VALU_DEP_1)
	v_mul_f32_e32 v92, v92, v90
	v_xor_b32_e32 v93, 0x80000000, v90
                                        ; implicit-def: $vgpr90_vgpr91
.LBB37_59:
	s_and_not1_saveexec_b32 s1, s1
	s_cbranch_execz .LBB37_61
; %bb.60:
	v_div_scale_f32 v92, null, v90, v90, v91
	v_div_scale_f32 v95, vcc_lo, v91, v90, v91
	s_delay_alu instid0(VALU_DEP_2) | instskip(SKIP_1) | instid1(TRANS32_DEP_1)
	v_rcp_f32_e32 v93, v92
	v_nop
	v_fma_f32 v94, -v92, v93, 1.0
	s_delay_alu instid0(VALU_DEP_1) | instskip(NEXT) | instid1(VALU_DEP_1)
	v_fmac_f32_e32 v93, v94, v93
	v_mul_f32_e32 v94, v95, v93
	s_delay_alu instid0(VALU_DEP_1) | instskip(NEXT) | instid1(VALU_DEP_1)
	v_fma_f32 v96, -v92, v94, v95
	v_fmac_f32_e32 v94, v96, v93
	s_delay_alu instid0(VALU_DEP_1) | instskip(NEXT) | instid1(VALU_DEP_1)
	v_fma_f32 v92, -v92, v94, v95
	v_div_fmas_f32 v92, v92, v93, v94
	s_delay_alu instid0(VALU_DEP_1) | instskip(NEXT) | instid1(VALU_DEP_1)
	v_div_fixup_f32 v93, v92, v90, v91
	v_fmac_f32_e32 v90, v91, v93
	s_delay_alu instid0(VALU_DEP_1) | instskip(NEXT) | instid1(VALU_DEP_1)
	v_div_scale_f32 v91, null, v90, v90, 1.0
	v_rcp_f32_e32 v92, v91
	v_nop
	s_delay_alu instid0(TRANS32_DEP_1) | instskip(NEXT) | instid1(VALU_DEP_1)
	v_fma_f32 v94, -v91, v92, 1.0
	v_fmac_f32_e32 v92, v94, v92
	v_div_scale_f32 v94, vcc_lo, 1.0, v90, 1.0
	s_delay_alu instid0(VALU_DEP_1) | instskip(NEXT) | instid1(VALU_DEP_1)
	v_mul_f32_e32 v95, v94, v92
	v_fma_f32 v96, -v91, v95, v94
	s_delay_alu instid0(VALU_DEP_1) | instskip(NEXT) | instid1(VALU_DEP_1)
	v_fmac_f32_e32 v95, v96, v92
	v_fma_f32 v91, -v91, v95, v94
	s_delay_alu instid0(VALU_DEP_1) | instskip(NEXT) | instid1(VALU_DEP_1)
	v_div_fmas_f32 v91, v91, v92, v95
	v_div_fixup_f32 v92, v91, v90, 1.0
	s_delay_alu instid0(VALU_DEP_1)
	v_mul_f32_e64 v93, v93, -v92
.LBB37_61:
	s_or_b32 exec_lo, exec_lo, s1
	ds_store_b64 v117, v[92:93]
.LBB37_62:
	s_or_b32 exec_lo, exec_lo, s2
	s_wait_dscnt 0x0
	s_barrier_signal -1
	s_barrier_wait -1
	ds_load_b64 v[90:91], v117
	s_mov_b32 s1, exec_lo
	v_cmpx_lt_u32_e32 6, v116
	s_cbranch_execz .LBB37_64
; %bb.63:
	s_wait_dscnt 0x0
	v_pk_mul_f32 v[92:93], v[90:91], v[24:25] op_sel:[1,1] op_sel_hi:[0,1]
	s_delay_alu instid0(VALU_DEP_1)
	v_pk_fma_f32 v[96:97], v[90:91], v[24:25], v[92:93] op_sel_hi:[1,0,1] neg_lo:[0,0,1] neg_hi:[0,0,1]
	v_pk_fma_f32 v[98:99], v[90:91], v[24:25], v[92:93] op_sel_hi:[1,0,1]
	ds_load_2addr_b64 v[92:95], v118 offset0:7 offset1:8
	v_dual_mov_b32 v24, v96 :: v_dual_mov_b32 v25, v99
	s_wait_dscnt 0x0
	v_pk_mul_f32 v[100:101], v[92:93], v[98:99] op_sel:[0,1]
	s_delay_alu instid0(VALU_DEP_1) | instskip(SKIP_1) | instid1(VALU_DEP_1)
	v_pk_fma_f32 v[102:103], v[92:93], v[96:97], v[100:101] op_sel:[0,0,1] op_sel_hi:[1,1,0] neg_lo:[0,0,1] neg_hi:[0,0,1]
	v_pk_fma_f32 v[92:93], v[92:93], v[96:97], v[100:101] op_sel:[0,0,1] op_sel_hi:[1,0,0]
	v_mov_b32_e32 v103, v93
	v_pk_mul_f32 v[92:93], v[94:95], v[98:99] op_sel:[0,1]
	s_delay_alu instid0(VALU_DEP_1) | instskip(SKIP_1) | instid1(VALU_DEP_1)
	v_pk_fma_f32 v[100:101], v[94:95], v[96:97], v[92:93] op_sel:[0,0,1] op_sel_hi:[1,1,0] neg_lo:[0,0,1] neg_hi:[0,0,1]
	v_pk_fma_f32 v[92:93], v[94:95], v[96:97], v[92:93] op_sel:[0,0,1] op_sel_hi:[1,0,0]
	v_mov_b32_e32 v101, v93
	ds_load_2addr_b64 v[92:95], v118 offset0:9 offset1:10
	v_pk_add_f32 v[20:21], v[20:21], v[102:103] neg_lo:[0,1] neg_hi:[0,1]
	v_pk_add_f32 v[44:45], v[44:45], v[100:101] neg_lo:[0,1] neg_hi:[0,1]
	s_wait_dscnt 0x0
	v_pk_mul_f32 v[100:101], v[92:93], v[98:99] op_sel:[0,1]
	s_delay_alu instid0(VALU_DEP_1) | instskip(SKIP_2) | instid1(VALU_DEP_2)
	v_pk_fma_f32 v[102:103], v[92:93], v[96:97], v[100:101] op_sel:[0,0,1] op_sel_hi:[1,1,0] neg_lo:[0,0,1] neg_hi:[0,0,1]
	v_pk_fma_f32 v[92:93], v[92:93], v[96:97], v[100:101] op_sel:[0,0,1] op_sel_hi:[1,0,0]
	v_dual_mul_f32 v100, v95, v99 :: v_dual_mov_b32 v92, v95
	v_dual_mov_b32 v103, v93 :: v_dual_mov_b32 v93, v94
	s_delay_alu instid0(VALU_DEP_2) | instskip(SKIP_1) | instid1(VALU_DEP_3)
	v_pk_fma_f32 v[100:101], v[94:95], v[24:25], v[100:101] op_sel_hi:[1,1,0] neg_lo:[0,0,1] neg_hi:[0,0,1]
	v_mul_f32_e32 v94, v95, v96
	v_pk_add_f32 v[40:41], v[40:41], v[102:103] neg_lo:[0,1] neg_hi:[0,1]
	s_delay_alu instid0(VALU_DEP_2) | instskip(NEXT) | instid1(VALU_DEP_1)
	v_pk_fma_f32 v[92:93], v[92:93], v[24:25], v[94:95] op_sel_hi:[1,1,0]
	v_mov_b32_e32 v101, v93
	ds_load_2addr_b64 v[92:95], v118 offset0:11 offset1:12
	v_pk_add_f32 v[42:43], v[42:43], v[100:101] neg_lo:[0,1] neg_hi:[0,1]
	s_wait_dscnt 0x0
	v_pk_mul_f32 v[100:101], v[92:93], v[98:99] op_sel:[0,1]
	s_delay_alu instid0(VALU_DEP_1) | instskip(SKIP_1) | instid1(VALU_DEP_1)
	v_pk_fma_f32 v[102:103], v[92:93], v[96:97], v[100:101] op_sel:[0,0,1] op_sel_hi:[1,1,0] neg_lo:[0,0,1] neg_hi:[0,0,1]
	v_pk_fma_f32 v[92:93], v[92:93], v[96:97], v[100:101] op_sel:[0,0,1] op_sel_hi:[1,0,0]
	v_mov_b32_e32 v103, v93
	v_pk_mul_f32 v[92:93], v[94:95], v[98:99] op_sel:[0,1]
	s_delay_alu instid0(VALU_DEP_1) | instskip(SKIP_1) | instid1(VALU_DEP_1)
	v_pk_fma_f32 v[100:101], v[94:95], v[96:97], v[92:93] op_sel:[0,0,1] op_sel_hi:[1,1,0] neg_lo:[0,0,1] neg_hi:[0,0,1]
	v_pk_fma_f32 v[92:93], v[94:95], v[96:97], v[92:93] op_sel:[0,0,1] op_sel_hi:[1,0,0]
	v_mov_b32_e32 v101, v93
	ds_load_2addr_b64 v[92:95], v118 offset0:13 offset1:14
	v_pk_add_f32 v[38:39], v[38:39], v[102:103] neg_lo:[0,1] neg_hi:[0,1]
	v_pk_add_f32 v[70:71], v[70:71], v[100:101] neg_lo:[0,1] neg_hi:[0,1]
	s_wait_dscnt 0x0
	v_pk_mul_f32 v[100:101], v[92:93], v[98:99] op_sel:[0,1]
	s_delay_alu instid0(VALU_DEP_1) | instskip(SKIP_1) | instid1(VALU_DEP_1)
	v_pk_fma_f32 v[102:103], v[92:93], v[96:97], v[100:101] op_sel:[0,0,1] op_sel_hi:[1,1,0] neg_lo:[0,0,1] neg_hi:[0,0,1]
	v_pk_fma_f32 v[92:93], v[92:93], v[96:97], v[100:101] op_sel:[0,0,1] op_sel_hi:[1,0,0]
	v_mov_b32_e32 v103, v93
	v_pk_mul_f32 v[92:93], v[94:95], v[98:99] op_sel:[0,1]
	s_delay_alu instid0(VALU_DEP_1) | instskip(SKIP_1) | instid1(VALU_DEP_1)
	v_pk_fma_f32 v[100:101], v[94:95], v[96:97], v[92:93] op_sel:[0,0,1] op_sel_hi:[1,1,0] neg_lo:[0,0,1] neg_hi:[0,0,1]
	v_pk_fma_f32 v[92:93], v[94:95], v[96:97], v[92:93] op_sel:[0,0,1] op_sel_hi:[1,0,0]
	v_mov_b32_e32 v101, v93
	ds_load_2addr_b64 v[92:95], v118 offset0:15 offset1:16
	v_pk_add_f32 v[66:67], v[66:67], v[102:103] neg_lo:[0,1] neg_hi:[0,1]
	v_pk_add_f32 v[68:69], v[68:69], v[100:101] neg_lo:[0,1] neg_hi:[0,1]
	s_wait_dscnt 0x0
	v_dual_mul_f32 v100, v93, v99 :: v_dual_mul_f32 v102, v93, v96
	s_delay_alu instid0(VALU_DEP_1) | instskip(NEXT) | instid1(VALU_DEP_2)
	v_pk_fma_f32 v[100:101], v[92:93], v[24:25], v[100:101] op_sel_hi:[1,1,0] neg_lo:[0,0,1] neg_hi:[0,0,1]
	v_pk_fma_f32 v[92:93], v[92:93], v[24:25], v[102:103] op_sel:[1,0,0] op_sel_hi:[0,1,0]
	s_delay_alu instid0(VALU_DEP_1) | instskip(SKIP_1) | instid1(VALU_DEP_2)
	v_mov_b32_e32 v101, v93
	v_pk_mul_f32 v[92:93], v[94:95], v[98:99] op_sel:[0,1]
	v_pk_add_f32 v[64:65], v[64:65], v[100:101] neg_lo:[0,1] neg_hi:[0,1]
	s_delay_alu instid0(VALU_DEP_2) | instskip(SKIP_1) | instid1(VALU_DEP_1)
	v_pk_fma_f32 v[100:101], v[94:95], v[96:97], v[92:93] op_sel:[0,0,1] op_sel_hi:[1,1,0] neg_lo:[0,0,1] neg_hi:[0,0,1]
	v_pk_fma_f32 v[92:93], v[94:95], v[96:97], v[92:93] op_sel:[0,0,1] op_sel_hi:[1,0,0]
	v_mov_b32_e32 v101, v93
	ds_load_2addr_b64 v[92:95], v118 offset0:17 offset1:18
	v_pk_add_f32 v[74:75], v[74:75], v[100:101] neg_lo:[0,1] neg_hi:[0,1]
	s_wait_dscnt 0x0
	v_pk_mul_f32 v[100:101], v[92:93], v[98:99] op_sel:[0,1]
	v_mul_f32_e32 v98, v95, v99
	s_delay_alu instid0(VALU_DEP_2) | instskip(SKIP_2) | instid1(VALU_DEP_4)
	v_pk_fma_f32 v[102:103], v[92:93], v[96:97], v[100:101] op_sel:[0,0,1] op_sel_hi:[1,1,0] neg_lo:[0,0,1] neg_hi:[0,0,1]
	v_pk_fma_f32 v[92:93], v[92:93], v[96:97], v[100:101] op_sel:[0,0,1] op_sel_hi:[1,0,0]
	v_mov_b32_e32 v92, v95
	v_pk_fma_f32 v[98:99], v[94:95], v[24:25], v[98:99] op_sel_hi:[1,1,0] neg_lo:[0,0,1] neg_hi:[0,0,1]
	s_delay_alu instid0(VALU_DEP_3) | instskip(SKIP_1) | instid1(VALU_DEP_2)
	v_dual_mov_b32 v103, v93 :: v_dual_mov_b32 v93, v94
	v_mul_f32_e32 v94, v95, v96
	v_pk_add_f32 v[72:73], v[72:73], v[102:103] neg_lo:[0,1] neg_hi:[0,1]
	s_delay_alu instid0(VALU_DEP_2) | instskip(NEXT) | instid1(VALU_DEP_1)
	v_pk_fma_f32 v[92:93], v[92:93], v[24:25], v[94:95] op_sel_hi:[1,1,0]
	v_mov_b32_e32 v99, v93
	s_delay_alu instid0(VALU_DEP_1)
	v_pk_add_f32 v[76:77], v[76:77], v[98:99] neg_lo:[0,1] neg_hi:[0,1]
.LBB37_64:
	s_or_b32 exec_lo, exec_lo, s1
	s_delay_alu instid0(SALU_CYCLE_1)
	s_mov_b32 s2, exec_lo
	s_wait_dscnt 0x0
	s_barrier_signal -1
	s_barrier_wait -1
	v_cmpx_eq_u32_e32 7, v116
	s_cbranch_execz .LBB37_71
; %bb.65:
	v_dual_mov_b32 v92, v44 :: v_dual_mov_b32 v93, v45
	v_dual_mov_b32 v94, v40 :: v_dual_mov_b32 v95, v41
	ds_store_b64 v117, v[20:21]
	ds_store_2addr_b64 v118, v[92:93], v[94:95] offset0:8 offset1:9
	v_dual_mov_b32 v92, v42 :: v_dual_mov_b32 v93, v43
	v_dual_mov_b32 v94, v38 :: v_dual_mov_b32 v95, v39
	ds_store_2addr_b64 v118, v[92:93], v[94:95] offset0:10 offset1:11
	v_dual_mov_b32 v92, v70 :: v_dual_mov_b32 v93, v71
	v_dual_mov_b32 v94, v66 :: v_dual_mov_b32 v95, v67
	;; [unrolled: 3-line block ×4, first 2 shown]
	ds_store_2addr_b64 v118, v[92:93], v[94:95] offset0:16 offset1:17
	ds_store_b64 v118, v[76:77] offset:144
	ds_load_b64 v[92:93], v117
	s_wait_dscnt 0x0
	v_cmp_neq_f32_e32 vcc_lo, 0, v92
	v_cmp_neq_f32_e64 s1, 0, v93
	s_or_b32 s1, vcc_lo, s1
	s_delay_alu instid0(SALU_CYCLE_1)
	s_and_b32 exec_lo, exec_lo, s1
	s_cbranch_execz .LBB37_71
; %bb.66:
	v_cmp_ngt_f32_e64 s1, |v92|, |v93|
                                        ; implicit-def: $vgpr94_vgpr95
	s_and_saveexec_b32 s4, s1
	s_delay_alu instid0(SALU_CYCLE_1)
	s_xor_b32 s1, exec_lo, s4
	s_cbranch_execz .LBB37_68
; %bb.67:
	v_div_scale_f32 v94, null, v93, v93, v92
	v_div_scale_f32 v97, vcc_lo, v92, v93, v92
	s_delay_alu instid0(VALU_DEP_2) | instskip(SKIP_1) | instid1(TRANS32_DEP_1)
	v_rcp_f32_e32 v95, v94
	v_nop
	v_fma_f32 v96, -v94, v95, 1.0
	s_delay_alu instid0(VALU_DEP_1) | instskip(NEXT) | instid1(VALU_DEP_1)
	v_fmac_f32_e32 v95, v96, v95
	v_mul_f32_e32 v96, v97, v95
	s_delay_alu instid0(VALU_DEP_1) | instskip(NEXT) | instid1(VALU_DEP_1)
	v_fma_f32 v98, -v94, v96, v97
	v_fmac_f32_e32 v96, v98, v95
	s_delay_alu instid0(VALU_DEP_1) | instskip(NEXT) | instid1(VALU_DEP_1)
	v_fma_f32 v94, -v94, v96, v97
	v_div_fmas_f32 v94, v94, v95, v96
	s_delay_alu instid0(VALU_DEP_1) | instskip(NEXT) | instid1(VALU_DEP_1)
	v_div_fixup_f32 v94, v94, v93, v92
	v_fmac_f32_e32 v93, v92, v94
	s_delay_alu instid0(VALU_DEP_1) | instskip(SKIP_1) | instid1(VALU_DEP_2)
	v_div_scale_f32 v92, null, v93, v93, 1.0
	v_div_scale_f32 v97, vcc_lo, 1.0, v93, 1.0
	v_rcp_f32_e32 v95, v92
	v_nop
	s_delay_alu instid0(TRANS32_DEP_1) | instskip(NEXT) | instid1(VALU_DEP_1)
	v_fma_f32 v96, -v92, v95, 1.0
	v_fmac_f32_e32 v95, v96, v95
	s_delay_alu instid0(VALU_DEP_1) | instskip(NEXT) | instid1(VALU_DEP_1)
	v_mul_f32_e32 v96, v97, v95
	v_fma_f32 v98, -v92, v96, v97
	s_delay_alu instid0(VALU_DEP_1) | instskip(NEXT) | instid1(VALU_DEP_1)
	v_fmac_f32_e32 v96, v98, v95
	v_fma_f32 v92, -v92, v96, v97
	s_delay_alu instid0(VALU_DEP_1) | instskip(NEXT) | instid1(VALU_DEP_1)
	v_div_fmas_f32 v92, v92, v95, v96
	v_div_fixup_f32 v92, v92, v93, 1.0
	s_delay_alu instid0(VALU_DEP_1)
	v_mul_f32_e32 v94, v94, v92
	v_xor_b32_e32 v95, 0x80000000, v92
                                        ; implicit-def: $vgpr92_vgpr93
.LBB37_68:
	s_and_not1_saveexec_b32 s1, s1
	s_cbranch_execz .LBB37_70
; %bb.69:
	v_div_scale_f32 v94, null, v92, v92, v93
	v_div_scale_f32 v97, vcc_lo, v93, v92, v93
	s_delay_alu instid0(VALU_DEP_2) | instskip(SKIP_1) | instid1(TRANS32_DEP_1)
	v_rcp_f32_e32 v95, v94
	v_nop
	v_fma_f32 v96, -v94, v95, 1.0
	s_delay_alu instid0(VALU_DEP_1) | instskip(NEXT) | instid1(VALU_DEP_1)
	v_fmac_f32_e32 v95, v96, v95
	v_mul_f32_e32 v96, v97, v95
	s_delay_alu instid0(VALU_DEP_1) | instskip(NEXT) | instid1(VALU_DEP_1)
	v_fma_f32 v98, -v94, v96, v97
	v_fmac_f32_e32 v96, v98, v95
	s_delay_alu instid0(VALU_DEP_1) | instskip(NEXT) | instid1(VALU_DEP_1)
	v_fma_f32 v94, -v94, v96, v97
	v_div_fmas_f32 v94, v94, v95, v96
	s_delay_alu instid0(VALU_DEP_1) | instskip(NEXT) | instid1(VALU_DEP_1)
	v_div_fixup_f32 v95, v94, v92, v93
	v_fmac_f32_e32 v92, v93, v95
	s_delay_alu instid0(VALU_DEP_1) | instskip(NEXT) | instid1(VALU_DEP_1)
	v_div_scale_f32 v93, null, v92, v92, 1.0
	v_rcp_f32_e32 v94, v93
	v_nop
	s_delay_alu instid0(TRANS32_DEP_1) | instskip(NEXT) | instid1(VALU_DEP_1)
	v_fma_f32 v96, -v93, v94, 1.0
	v_fmac_f32_e32 v94, v96, v94
	v_div_scale_f32 v96, vcc_lo, 1.0, v92, 1.0
	s_delay_alu instid0(VALU_DEP_1) | instskip(NEXT) | instid1(VALU_DEP_1)
	v_mul_f32_e32 v97, v96, v94
	v_fma_f32 v98, -v93, v97, v96
	s_delay_alu instid0(VALU_DEP_1) | instskip(NEXT) | instid1(VALU_DEP_1)
	v_fmac_f32_e32 v97, v98, v94
	v_fma_f32 v93, -v93, v97, v96
	s_delay_alu instid0(VALU_DEP_1) | instskip(NEXT) | instid1(VALU_DEP_1)
	v_div_fmas_f32 v93, v93, v94, v97
	v_div_fixup_f32 v94, v93, v92, 1.0
	s_delay_alu instid0(VALU_DEP_1)
	v_mul_f32_e64 v95, v95, -v94
.LBB37_70:
	s_or_b32 exec_lo, exec_lo, s1
	ds_store_b64 v117, v[94:95]
.LBB37_71:
	s_or_b32 exec_lo, exec_lo, s2
	s_wait_dscnt 0x0
	s_barrier_signal -1
	s_barrier_wait -1
	ds_load_b64 v[92:93], v117
	s_mov_b32 s1, exec_lo
	v_cmpx_lt_u32_e32 7, v116
	s_cbranch_execz .LBB37_73
; %bb.72:
	s_wait_dscnt 0x0
	v_pk_mul_f32 v[94:95], v[92:93], v[20:21] op_sel:[1,1] op_sel_hi:[0,1]
	s_delay_alu instid0(VALU_DEP_1)
	v_pk_fma_f32 v[98:99], v[92:93], v[20:21], v[94:95] op_sel_hi:[1,0,1] neg_lo:[0,0,1] neg_hi:[0,0,1]
	v_pk_fma_f32 v[100:101], v[92:93], v[20:21], v[94:95] op_sel_hi:[1,0,1]
	ds_load_2addr_b64 v[94:97], v118 offset0:8 offset1:9
	v_dual_mov_b32 v20, v98 :: v_dual_mov_b32 v21, v101
	s_wait_dscnt 0x0
	v_pk_mul_f32 v[102:103], v[94:95], v[100:101] op_sel:[0,1]
	s_delay_alu instid0(VALU_DEP_1) | instskip(SKIP_1) | instid1(VALU_DEP_1)
	v_pk_fma_f32 v[104:105], v[94:95], v[98:99], v[102:103] op_sel:[0,0,1] op_sel_hi:[1,1,0] neg_lo:[0,0,1] neg_hi:[0,0,1]
	v_pk_fma_f32 v[94:95], v[94:95], v[98:99], v[102:103] op_sel:[0,0,1] op_sel_hi:[1,0,0]
	v_mov_b32_e32 v105, v95
	v_pk_mul_f32 v[94:95], v[96:97], v[100:101] op_sel:[0,1]
	s_delay_alu instid0(VALU_DEP_1) | instskip(SKIP_1) | instid1(VALU_DEP_1)
	v_pk_fma_f32 v[102:103], v[96:97], v[98:99], v[94:95] op_sel:[0,0,1] op_sel_hi:[1,1,0] neg_lo:[0,0,1] neg_hi:[0,0,1]
	v_pk_fma_f32 v[94:95], v[96:97], v[98:99], v[94:95] op_sel:[0,0,1] op_sel_hi:[1,0,0]
	v_mov_b32_e32 v103, v95
	ds_load_2addr_b64 v[94:97], v118 offset0:10 offset1:11
	v_pk_add_f32 v[44:45], v[44:45], v[104:105] neg_lo:[0,1] neg_hi:[0,1]
	v_pk_add_f32 v[40:41], v[40:41], v[102:103] neg_lo:[0,1] neg_hi:[0,1]
	s_wait_dscnt 0x0
	v_pk_mul_f32 v[102:103], v[94:95], v[100:101] op_sel:[0,1]
	s_delay_alu instid0(VALU_DEP_1) | instskip(SKIP_2) | instid1(VALU_DEP_2)
	v_pk_fma_f32 v[104:105], v[94:95], v[98:99], v[102:103] op_sel:[0,0,1] op_sel_hi:[1,1,0] neg_lo:[0,0,1] neg_hi:[0,0,1]
	v_pk_fma_f32 v[94:95], v[94:95], v[98:99], v[102:103] op_sel:[0,0,1] op_sel_hi:[1,0,0]
	v_dual_mul_f32 v102, v97, v101 :: v_dual_mov_b32 v94, v97
	v_dual_mov_b32 v105, v95 :: v_dual_mov_b32 v95, v96
	s_delay_alu instid0(VALU_DEP_2) | instskip(SKIP_1) | instid1(VALU_DEP_3)
	v_pk_fma_f32 v[102:103], v[96:97], v[20:21], v[102:103] op_sel_hi:[1,1,0] neg_lo:[0,0,1] neg_hi:[0,0,1]
	v_mul_f32_e32 v96, v97, v98
	v_pk_add_f32 v[42:43], v[42:43], v[104:105] neg_lo:[0,1] neg_hi:[0,1]
	s_delay_alu instid0(VALU_DEP_2) | instskip(NEXT) | instid1(VALU_DEP_1)
	v_pk_fma_f32 v[94:95], v[94:95], v[20:21], v[96:97] op_sel_hi:[1,1,0]
	v_mov_b32_e32 v103, v95
	ds_load_2addr_b64 v[94:97], v118 offset0:12 offset1:13
	v_pk_add_f32 v[38:39], v[38:39], v[102:103] neg_lo:[0,1] neg_hi:[0,1]
	s_wait_dscnt 0x0
	v_pk_mul_f32 v[102:103], v[94:95], v[100:101] op_sel:[0,1]
	s_delay_alu instid0(VALU_DEP_1) | instskip(SKIP_1) | instid1(VALU_DEP_1)
	v_pk_fma_f32 v[104:105], v[94:95], v[98:99], v[102:103] op_sel:[0,0,1] op_sel_hi:[1,1,0] neg_lo:[0,0,1] neg_hi:[0,0,1]
	v_pk_fma_f32 v[94:95], v[94:95], v[98:99], v[102:103] op_sel:[0,0,1] op_sel_hi:[1,0,0]
	v_mov_b32_e32 v105, v95
	v_pk_mul_f32 v[94:95], v[96:97], v[100:101] op_sel:[0,1]
	s_delay_alu instid0(VALU_DEP_1) | instskip(SKIP_1) | instid1(VALU_DEP_1)
	v_pk_fma_f32 v[102:103], v[96:97], v[98:99], v[94:95] op_sel:[0,0,1] op_sel_hi:[1,1,0] neg_lo:[0,0,1] neg_hi:[0,0,1]
	v_pk_fma_f32 v[94:95], v[96:97], v[98:99], v[94:95] op_sel:[0,0,1] op_sel_hi:[1,0,0]
	v_mov_b32_e32 v103, v95
	ds_load_2addr_b64 v[94:97], v118 offset0:14 offset1:15
	v_pk_add_f32 v[70:71], v[70:71], v[104:105] neg_lo:[0,1] neg_hi:[0,1]
	v_pk_add_f32 v[66:67], v[66:67], v[102:103] neg_lo:[0,1] neg_hi:[0,1]
	s_wait_dscnt 0x0
	v_pk_mul_f32 v[102:103], v[94:95], v[100:101] op_sel:[0,1]
	s_delay_alu instid0(VALU_DEP_1) | instskip(SKIP_1) | instid1(VALU_DEP_1)
	v_pk_fma_f32 v[104:105], v[94:95], v[98:99], v[102:103] op_sel:[0,0,1] op_sel_hi:[1,1,0] neg_lo:[0,0,1] neg_hi:[0,0,1]
	v_pk_fma_f32 v[94:95], v[94:95], v[98:99], v[102:103] op_sel:[0,0,1] op_sel_hi:[1,0,0]
	v_mov_b32_e32 v105, v95
	v_pk_mul_f32 v[94:95], v[96:97], v[100:101] op_sel:[0,1]
	s_delay_alu instid0(VALU_DEP_1) | instskip(SKIP_1) | instid1(VALU_DEP_1)
	v_pk_fma_f32 v[102:103], v[96:97], v[98:99], v[94:95] op_sel:[0,0,1] op_sel_hi:[1,1,0] neg_lo:[0,0,1] neg_hi:[0,0,1]
	v_pk_fma_f32 v[94:95], v[96:97], v[98:99], v[94:95] op_sel:[0,0,1] op_sel_hi:[1,0,0]
	v_mov_b32_e32 v103, v95
	ds_load_2addr_b64 v[94:97], v118 offset0:16 offset1:17
	v_pk_add_f32 v[68:69], v[68:69], v[104:105] neg_lo:[0,1] neg_hi:[0,1]
	v_pk_add_f32 v[64:65], v[64:65], v[102:103] neg_lo:[0,1] neg_hi:[0,1]
	s_wait_dscnt 0x0
	v_dual_mul_f32 v102, v95, v101 :: v_dual_mul_f32 v104, v95, v98
	s_delay_alu instid0(VALU_DEP_1) | instskip(NEXT) | instid1(VALU_DEP_2)
	v_pk_fma_f32 v[102:103], v[94:95], v[20:21], v[102:103] op_sel_hi:[1,1,0] neg_lo:[0,0,1] neg_hi:[0,0,1]
	v_pk_fma_f32 v[94:95], v[94:95], v[20:21], v[104:105] op_sel:[1,0,0] op_sel_hi:[0,1,0]
	s_delay_alu instid0(VALU_DEP_1) | instskip(SKIP_1) | instid1(VALU_DEP_2)
	v_mov_b32_e32 v103, v95
	v_pk_mul_f32 v[94:95], v[96:97], v[100:101] op_sel:[0,1]
	v_pk_add_f32 v[74:75], v[74:75], v[102:103] neg_lo:[0,1] neg_hi:[0,1]
	s_delay_alu instid0(VALU_DEP_2) | instskip(SKIP_1) | instid1(VALU_DEP_1)
	v_pk_fma_f32 v[102:103], v[96:97], v[98:99], v[94:95] op_sel:[0,0,1] op_sel_hi:[1,1,0] neg_lo:[0,0,1] neg_hi:[0,0,1]
	v_pk_fma_f32 v[94:95], v[96:97], v[98:99], v[94:95] op_sel:[0,0,1] op_sel_hi:[1,0,0]
	v_mov_b32_e32 v103, v95
	ds_load_b64 v[94:95], v118 offset:144
	v_pk_add_f32 v[72:73], v[72:73], v[102:103] neg_lo:[0,1] neg_hi:[0,1]
	s_wait_dscnt 0x0
	v_pk_mul_f32 v[96:97], v[94:95], v[100:101] op_sel:[0,1]
	s_delay_alu instid0(VALU_DEP_1) | instskip(SKIP_1) | instid1(VALU_DEP_1)
	v_pk_fma_f32 v[100:101], v[94:95], v[98:99], v[96:97] op_sel:[0,0,1] op_sel_hi:[1,1,0] neg_lo:[0,0,1] neg_hi:[0,0,1]
	v_pk_fma_f32 v[94:95], v[94:95], v[98:99], v[96:97] op_sel:[0,0,1] op_sel_hi:[1,0,0]
	v_mov_b32_e32 v101, v95
	s_delay_alu instid0(VALU_DEP_1)
	v_pk_add_f32 v[76:77], v[76:77], v[100:101] neg_lo:[0,1] neg_hi:[0,1]
.LBB37_73:
	s_or_b32 exec_lo, exec_lo, s1
	s_delay_alu instid0(SALU_CYCLE_1)
	s_mov_b32 s2, exec_lo
	s_wait_dscnt 0x0
	s_barrier_signal -1
	s_barrier_wait -1
	v_cmpx_eq_u32_e32 8, v116
	s_cbranch_execz .LBB37_80
; %bb.74:
	ds_store_b64 v117, v[44:45]
	ds_store_2addr_b64 v118, v[40:41], v[42:43] offset0:9 offset1:10
	ds_store_2addr_b64 v118, v[38:39], v[70:71] offset0:11 offset1:12
	;; [unrolled: 1-line block ×5, first 2 shown]
	ds_load_b64 v[94:95], v117
	s_wait_dscnt 0x0
	v_cmp_neq_f32_e32 vcc_lo, 0, v94
	v_cmp_neq_f32_e64 s1, 0, v95
	s_or_b32 s1, vcc_lo, s1
	s_delay_alu instid0(SALU_CYCLE_1)
	s_and_b32 exec_lo, exec_lo, s1
	s_cbranch_execz .LBB37_80
; %bb.75:
	v_cmp_ngt_f32_e64 s1, |v94|, |v95|
                                        ; implicit-def: $vgpr96_vgpr97
	s_and_saveexec_b32 s4, s1
	s_delay_alu instid0(SALU_CYCLE_1)
	s_xor_b32 s1, exec_lo, s4
	s_cbranch_execz .LBB37_77
; %bb.76:
	v_div_scale_f32 v96, null, v95, v95, v94
	v_div_scale_f32 v99, vcc_lo, v94, v95, v94
	s_delay_alu instid0(VALU_DEP_2) | instskip(SKIP_1) | instid1(TRANS32_DEP_1)
	v_rcp_f32_e32 v97, v96
	v_nop
	v_fma_f32 v98, -v96, v97, 1.0
	s_delay_alu instid0(VALU_DEP_1) | instskip(NEXT) | instid1(VALU_DEP_1)
	v_fmac_f32_e32 v97, v98, v97
	v_mul_f32_e32 v98, v99, v97
	s_delay_alu instid0(VALU_DEP_1) | instskip(NEXT) | instid1(VALU_DEP_1)
	v_fma_f32 v100, -v96, v98, v99
	v_fmac_f32_e32 v98, v100, v97
	s_delay_alu instid0(VALU_DEP_1) | instskip(NEXT) | instid1(VALU_DEP_1)
	v_fma_f32 v96, -v96, v98, v99
	v_div_fmas_f32 v96, v96, v97, v98
	s_delay_alu instid0(VALU_DEP_1) | instskip(NEXT) | instid1(VALU_DEP_1)
	v_div_fixup_f32 v96, v96, v95, v94
	v_fmac_f32_e32 v95, v94, v96
	s_delay_alu instid0(VALU_DEP_1) | instskip(SKIP_1) | instid1(VALU_DEP_2)
	v_div_scale_f32 v94, null, v95, v95, 1.0
	v_div_scale_f32 v99, vcc_lo, 1.0, v95, 1.0
	v_rcp_f32_e32 v97, v94
	v_nop
	s_delay_alu instid0(TRANS32_DEP_1) | instskip(NEXT) | instid1(VALU_DEP_1)
	v_fma_f32 v98, -v94, v97, 1.0
	v_fmac_f32_e32 v97, v98, v97
	s_delay_alu instid0(VALU_DEP_1) | instskip(NEXT) | instid1(VALU_DEP_1)
	v_mul_f32_e32 v98, v99, v97
	v_fma_f32 v100, -v94, v98, v99
	s_delay_alu instid0(VALU_DEP_1) | instskip(NEXT) | instid1(VALU_DEP_1)
	v_fmac_f32_e32 v98, v100, v97
	v_fma_f32 v94, -v94, v98, v99
	s_delay_alu instid0(VALU_DEP_1) | instskip(NEXT) | instid1(VALU_DEP_1)
	v_div_fmas_f32 v94, v94, v97, v98
	v_div_fixup_f32 v94, v94, v95, 1.0
	s_delay_alu instid0(VALU_DEP_1)
	v_mul_f32_e32 v96, v96, v94
	v_xor_b32_e32 v97, 0x80000000, v94
                                        ; implicit-def: $vgpr94_vgpr95
.LBB37_77:
	s_and_not1_saveexec_b32 s1, s1
	s_cbranch_execz .LBB37_79
; %bb.78:
	v_div_scale_f32 v96, null, v94, v94, v95
	v_div_scale_f32 v99, vcc_lo, v95, v94, v95
	s_delay_alu instid0(VALU_DEP_2) | instskip(SKIP_1) | instid1(TRANS32_DEP_1)
	v_rcp_f32_e32 v97, v96
	v_nop
	v_fma_f32 v98, -v96, v97, 1.0
	s_delay_alu instid0(VALU_DEP_1) | instskip(NEXT) | instid1(VALU_DEP_1)
	v_fmac_f32_e32 v97, v98, v97
	v_mul_f32_e32 v98, v99, v97
	s_delay_alu instid0(VALU_DEP_1) | instskip(NEXT) | instid1(VALU_DEP_1)
	v_fma_f32 v100, -v96, v98, v99
	v_fmac_f32_e32 v98, v100, v97
	s_delay_alu instid0(VALU_DEP_1) | instskip(NEXT) | instid1(VALU_DEP_1)
	v_fma_f32 v96, -v96, v98, v99
	v_div_fmas_f32 v96, v96, v97, v98
	s_delay_alu instid0(VALU_DEP_1) | instskip(NEXT) | instid1(VALU_DEP_1)
	v_div_fixup_f32 v97, v96, v94, v95
	v_fmac_f32_e32 v94, v95, v97
	s_delay_alu instid0(VALU_DEP_1) | instskip(NEXT) | instid1(VALU_DEP_1)
	v_div_scale_f32 v95, null, v94, v94, 1.0
	v_rcp_f32_e32 v96, v95
	v_nop
	s_delay_alu instid0(TRANS32_DEP_1) | instskip(NEXT) | instid1(VALU_DEP_1)
	v_fma_f32 v98, -v95, v96, 1.0
	v_fmac_f32_e32 v96, v98, v96
	v_div_scale_f32 v98, vcc_lo, 1.0, v94, 1.0
	s_delay_alu instid0(VALU_DEP_1) | instskip(NEXT) | instid1(VALU_DEP_1)
	v_mul_f32_e32 v99, v98, v96
	v_fma_f32 v100, -v95, v99, v98
	s_delay_alu instid0(VALU_DEP_1) | instskip(NEXT) | instid1(VALU_DEP_1)
	v_fmac_f32_e32 v99, v100, v96
	v_fma_f32 v95, -v95, v99, v98
	s_delay_alu instid0(VALU_DEP_1) | instskip(NEXT) | instid1(VALU_DEP_1)
	v_div_fmas_f32 v95, v95, v96, v99
	v_div_fixup_f32 v96, v95, v94, 1.0
	s_delay_alu instid0(VALU_DEP_1)
	v_mul_f32_e64 v97, v97, -v96
.LBB37_79:
	s_or_b32 exec_lo, exec_lo, s1
	ds_store_b64 v117, v[96:97]
.LBB37_80:
	s_or_b32 exec_lo, exec_lo, s2
	s_wait_dscnt 0x0
	s_barrier_signal -1
	s_barrier_wait -1
	ds_load_b64 v[94:95], v117
	s_mov_b32 s1, exec_lo
	v_cmpx_lt_u32_e32 8, v116
	s_cbranch_execz .LBB37_82
; %bb.81:
	s_wait_dscnt 0x0
	v_pk_mul_f32 v[96:97], v[94:95], v[44:45] op_sel:[1,1] op_sel_hi:[0,1]
	s_delay_alu instid0(VALU_DEP_1)
	v_pk_fma_f32 v[100:101], v[94:95], v[44:45], v[96:97] op_sel_hi:[1,0,1] neg_lo:[0,0,1] neg_hi:[0,0,1]
	v_pk_fma_f32 v[102:103], v[94:95], v[44:45], v[96:97] op_sel_hi:[1,0,1]
	ds_load_2addr_b64 v[96:99], v118 offset0:9 offset1:10
	v_dual_mov_b32 v44, v100 :: v_dual_mov_b32 v45, v103
	s_wait_dscnt 0x0
	v_pk_mul_f32 v[104:105], v[96:97], v[102:103] op_sel:[0,1]
	s_delay_alu instid0(VALU_DEP_1) | instskip(SKIP_1) | instid1(VALU_DEP_1)
	v_pk_fma_f32 v[106:107], v[96:97], v[100:101], v[104:105] op_sel:[0,0,1] op_sel_hi:[1,1,0] neg_lo:[0,0,1] neg_hi:[0,0,1]
	v_pk_fma_f32 v[96:97], v[96:97], v[100:101], v[104:105] op_sel:[0,0,1] op_sel_hi:[1,0,0]
	v_mov_b32_e32 v107, v97
	v_pk_mul_f32 v[96:97], v[98:99], v[102:103] op_sel:[0,1]
	s_delay_alu instid0(VALU_DEP_1) | instskip(SKIP_1) | instid1(VALU_DEP_1)
	v_pk_fma_f32 v[104:105], v[98:99], v[100:101], v[96:97] op_sel:[0,0,1] op_sel_hi:[1,1,0] neg_lo:[0,0,1] neg_hi:[0,0,1]
	v_pk_fma_f32 v[96:97], v[98:99], v[100:101], v[96:97] op_sel:[0,0,1] op_sel_hi:[1,0,0]
	v_mov_b32_e32 v105, v97
	ds_load_2addr_b64 v[96:99], v118 offset0:11 offset1:12
	v_pk_add_f32 v[40:41], v[40:41], v[106:107] neg_lo:[0,1] neg_hi:[0,1]
	v_pk_add_f32 v[42:43], v[42:43], v[104:105] neg_lo:[0,1] neg_hi:[0,1]
	s_wait_dscnt 0x0
	v_pk_mul_f32 v[104:105], v[96:97], v[102:103] op_sel:[0,1]
	s_delay_alu instid0(VALU_DEP_1) | instskip(SKIP_2) | instid1(VALU_DEP_2)
	v_pk_fma_f32 v[106:107], v[96:97], v[100:101], v[104:105] op_sel:[0,0,1] op_sel_hi:[1,1,0] neg_lo:[0,0,1] neg_hi:[0,0,1]
	v_pk_fma_f32 v[96:97], v[96:97], v[100:101], v[104:105] op_sel:[0,0,1] op_sel_hi:[1,0,0]
	v_dual_mul_f32 v104, v99, v103 :: v_dual_mov_b32 v96, v99
	v_dual_mov_b32 v107, v97 :: v_dual_mov_b32 v97, v98
	s_delay_alu instid0(VALU_DEP_2) | instskip(SKIP_1) | instid1(VALU_DEP_3)
	v_pk_fma_f32 v[104:105], v[98:99], v[44:45], v[104:105] op_sel_hi:[1,1,0] neg_lo:[0,0,1] neg_hi:[0,0,1]
	v_mul_f32_e32 v98, v99, v100
	v_pk_add_f32 v[38:39], v[38:39], v[106:107] neg_lo:[0,1] neg_hi:[0,1]
	s_delay_alu instid0(VALU_DEP_2) | instskip(NEXT) | instid1(VALU_DEP_1)
	v_pk_fma_f32 v[96:97], v[96:97], v[44:45], v[98:99] op_sel_hi:[1,1,0]
	v_mov_b32_e32 v105, v97
	ds_load_2addr_b64 v[96:99], v118 offset0:13 offset1:14
	v_pk_add_f32 v[70:71], v[70:71], v[104:105] neg_lo:[0,1] neg_hi:[0,1]
	s_wait_dscnt 0x0
	v_pk_mul_f32 v[104:105], v[96:97], v[102:103] op_sel:[0,1]
	s_delay_alu instid0(VALU_DEP_1) | instskip(SKIP_1) | instid1(VALU_DEP_1)
	v_pk_fma_f32 v[106:107], v[96:97], v[100:101], v[104:105] op_sel:[0,0,1] op_sel_hi:[1,1,0] neg_lo:[0,0,1] neg_hi:[0,0,1]
	v_pk_fma_f32 v[96:97], v[96:97], v[100:101], v[104:105] op_sel:[0,0,1] op_sel_hi:[1,0,0]
	v_mov_b32_e32 v107, v97
	v_pk_mul_f32 v[96:97], v[98:99], v[102:103] op_sel:[0,1]
	s_delay_alu instid0(VALU_DEP_1) | instskip(SKIP_1) | instid1(VALU_DEP_1)
	v_pk_fma_f32 v[104:105], v[98:99], v[100:101], v[96:97] op_sel:[0,0,1] op_sel_hi:[1,1,0] neg_lo:[0,0,1] neg_hi:[0,0,1]
	v_pk_fma_f32 v[96:97], v[98:99], v[100:101], v[96:97] op_sel:[0,0,1] op_sel_hi:[1,0,0]
	v_mov_b32_e32 v105, v97
	ds_load_2addr_b64 v[96:99], v118 offset0:15 offset1:16
	v_pk_add_f32 v[66:67], v[66:67], v[106:107] neg_lo:[0,1] neg_hi:[0,1]
	v_pk_add_f32 v[68:69], v[68:69], v[104:105] neg_lo:[0,1] neg_hi:[0,1]
	s_wait_dscnt 0x0
	v_pk_mul_f32 v[104:105], v[96:97], v[102:103] op_sel:[0,1]
	s_delay_alu instid0(VALU_DEP_1) | instskip(SKIP_1) | instid1(VALU_DEP_1)
	v_pk_fma_f32 v[106:107], v[96:97], v[100:101], v[104:105] op_sel:[0,0,1] op_sel_hi:[1,1,0] neg_lo:[0,0,1] neg_hi:[0,0,1]
	v_pk_fma_f32 v[96:97], v[96:97], v[100:101], v[104:105] op_sel:[0,0,1] op_sel_hi:[1,0,0]
	v_mov_b32_e32 v107, v97
	v_pk_mul_f32 v[96:97], v[98:99], v[102:103] op_sel:[0,1]
	s_delay_alu instid0(VALU_DEP_1) | instskip(SKIP_1) | instid1(VALU_DEP_1)
	v_pk_fma_f32 v[104:105], v[98:99], v[100:101], v[96:97] op_sel:[0,0,1] op_sel_hi:[1,1,0] neg_lo:[0,0,1] neg_hi:[0,0,1]
	v_pk_fma_f32 v[96:97], v[98:99], v[100:101], v[96:97] op_sel:[0,0,1] op_sel_hi:[1,0,0]
	v_mov_b32_e32 v105, v97
	ds_load_2addr_b64 v[96:99], v118 offset0:17 offset1:18
	v_pk_add_f32 v[64:65], v[64:65], v[106:107] neg_lo:[0,1] neg_hi:[0,1]
	v_pk_add_f32 v[74:75], v[74:75], v[104:105] neg_lo:[0,1] neg_hi:[0,1]
	s_wait_dscnt 0x0
	v_dual_mul_f32 v104, v97, v103 :: v_dual_mul_f32 v106, v97, v100
	s_delay_alu instid0(VALU_DEP_1) | instskip(NEXT) | instid1(VALU_DEP_2)
	v_pk_fma_f32 v[104:105], v[96:97], v[44:45], v[104:105] op_sel_hi:[1,1,0] neg_lo:[0,0,1] neg_hi:[0,0,1]
	v_pk_fma_f32 v[96:97], v[96:97], v[44:45], v[106:107] op_sel:[1,0,0] op_sel_hi:[0,1,0]
	s_delay_alu instid0(VALU_DEP_1) | instskip(SKIP_1) | instid1(VALU_DEP_1)
	v_mov_b32_e32 v105, v97
	v_pk_mul_f32 v[96:97], v[98:99], v[102:103] op_sel:[0,1]
	v_pk_fma_f32 v[102:103], v[98:99], v[100:101], v[96:97] op_sel:[0,0,1] op_sel_hi:[1,1,0] neg_lo:[0,0,1] neg_hi:[0,0,1]
	v_pk_fma_f32 v[96:97], v[98:99], v[100:101], v[96:97] op_sel:[0,0,1] op_sel_hi:[1,0,0]
	s_delay_alu instid0(VALU_DEP_1) | instskip(SKIP_1) | instid1(VALU_DEP_2)
	v_mov_b32_e32 v103, v97
	v_pk_add_f32 v[72:73], v[72:73], v[104:105] neg_lo:[0,1] neg_hi:[0,1]
	v_pk_add_f32 v[76:77], v[76:77], v[102:103] neg_lo:[0,1] neg_hi:[0,1]
.LBB37_82:
	s_or_b32 exec_lo, exec_lo, s1
	s_delay_alu instid0(SALU_CYCLE_1)
	s_mov_b32 s2, exec_lo
	s_wait_dscnt 0x0
	s_barrier_signal -1
	s_barrier_wait -1
	v_cmpx_eq_u32_e32 9, v116
	s_cbranch_execz .LBB37_89
; %bb.83:
	v_dual_mov_b32 v96, v42 :: v_dual_mov_b32 v97, v43
	v_dual_mov_b32 v98, v38 :: v_dual_mov_b32 v99, v39
	ds_store_b64 v117, v[40:41]
	ds_store_2addr_b64 v118, v[96:97], v[98:99] offset0:10 offset1:11
	v_dual_mov_b32 v96, v70 :: v_dual_mov_b32 v97, v71
	v_dual_mov_b32 v98, v66 :: v_dual_mov_b32 v99, v67
	ds_store_2addr_b64 v118, v[96:97], v[98:99] offset0:12 offset1:13
	v_dual_mov_b32 v96, v68 :: v_dual_mov_b32 v97, v69
	v_dual_mov_b32 v98, v64 :: v_dual_mov_b32 v99, v65
	;; [unrolled: 3-line block ×3, first 2 shown]
	ds_store_2addr_b64 v118, v[96:97], v[98:99] offset0:16 offset1:17
	ds_store_b64 v118, v[76:77] offset:144
	ds_load_b64 v[96:97], v117
	s_wait_dscnt 0x0
	v_cmp_neq_f32_e32 vcc_lo, 0, v96
	v_cmp_neq_f32_e64 s1, 0, v97
	s_or_b32 s1, vcc_lo, s1
	s_delay_alu instid0(SALU_CYCLE_1)
	s_and_b32 exec_lo, exec_lo, s1
	s_cbranch_execz .LBB37_89
; %bb.84:
	v_cmp_ngt_f32_e64 s1, |v96|, |v97|
                                        ; implicit-def: $vgpr98_vgpr99
	s_and_saveexec_b32 s4, s1
	s_delay_alu instid0(SALU_CYCLE_1)
	s_xor_b32 s1, exec_lo, s4
	s_cbranch_execz .LBB37_86
; %bb.85:
	v_div_scale_f32 v98, null, v97, v97, v96
	v_div_scale_f32 v101, vcc_lo, v96, v97, v96
	s_delay_alu instid0(VALU_DEP_2) | instskip(SKIP_1) | instid1(TRANS32_DEP_1)
	v_rcp_f32_e32 v99, v98
	v_nop
	v_fma_f32 v100, -v98, v99, 1.0
	s_delay_alu instid0(VALU_DEP_1) | instskip(NEXT) | instid1(VALU_DEP_1)
	v_fmac_f32_e32 v99, v100, v99
	v_mul_f32_e32 v100, v101, v99
	s_delay_alu instid0(VALU_DEP_1) | instskip(NEXT) | instid1(VALU_DEP_1)
	v_fma_f32 v102, -v98, v100, v101
	v_fmac_f32_e32 v100, v102, v99
	s_delay_alu instid0(VALU_DEP_1) | instskip(NEXT) | instid1(VALU_DEP_1)
	v_fma_f32 v98, -v98, v100, v101
	v_div_fmas_f32 v98, v98, v99, v100
	s_delay_alu instid0(VALU_DEP_1) | instskip(NEXT) | instid1(VALU_DEP_1)
	v_div_fixup_f32 v98, v98, v97, v96
	v_fmac_f32_e32 v97, v96, v98
	s_delay_alu instid0(VALU_DEP_1) | instskip(SKIP_1) | instid1(VALU_DEP_2)
	v_div_scale_f32 v96, null, v97, v97, 1.0
	v_div_scale_f32 v101, vcc_lo, 1.0, v97, 1.0
	v_rcp_f32_e32 v99, v96
	v_nop
	s_delay_alu instid0(TRANS32_DEP_1) | instskip(NEXT) | instid1(VALU_DEP_1)
	v_fma_f32 v100, -v96, v99, 1.0
	v_fmac_f32_e32 v99, v100, v99
	s_delay_alu instid0(VALU_DEP_1) | instskip(NEXT) | instid1(VALU_DEP_1)
	v_mul_f32_e32 v100, v101, v99
	v_fma_f32 v102, -v96, v100, v101
	s_delay_alu instid0(VALU_DEP_1) | instskip(NEXT) | instid1(VALU_DEP_1)
	v_fmac_f32_e32 v100, v102, v99
	v_fma_f32 v96, -v96, v100, v101
	s_delay_alu instid0(VALU_DEP_1) | instskip(NEXT) | instid1(VALU_DEP_1)
	v_div_fmas_f32 v96, v96, v99, v100
	v_div_fixup_f32 v96, v96, v97, 1.0
	s_delay_alu instid0(VALU_DEP_1)
	v_mul_f32_e32 v98, v98, v96
	v_xor_b32_e32 v99, 0x80000000, v96
                                        ; implicit-def: $vgpr96_vgpr97
.LBB37_86:
	s_and_not1_saveexec_b32 s1, s1
	s_cbranch_execz .LBB37_88
; %bb.87:
	v_div_scale_f32 v98, null, v96, v96, v97
	v_div_scale_f32 v101, vcc_lo, v97, v96, v97
	s_delay_alu instid0(VALU_DEP_2) | instskip(SKIP_1) | instid1(TRANS32_DEP_1)
	v_rcp_f32_e32 v99, v98
	v_nop
	v_fma_f32 v100, -v98, v99, 1.0
	s_delay_alu instid0(VALU_DEP_1) | instskip(NEXT) | instid1(VALU_DEP_1)
	v_fmac_f32_e32 v99, v100, v99
	v_mul_f32_e32 v100, v101, v99
	s_delay_alu instid0(VALU_DEP_1) | instskip(NEXT) | instid1(VALU_DEP_1)
	v_fma_f32 v102, -v98, v100, v101
	v_fmac_f32_e32 v100, v102, v99
	s_delay_alu instid0(VALU_DEP_1) | instskip(NEXT) | instid1(VALU_DEP_1)
	v_fma_f32 v98, -v98, v100, v101
	v_div_fmas_f32 v98, v98, v99, v100
	s_delay_alu instid0(VALU_DEP_1) | instskip(NEXT) | instid1(VALU_DEP_1)
	v_div_fixup_f32 v99, v98, v96, v97
	v_fmac_f32_e32 v96, v97, v99
	s_delay_alu instid0(VALU_DEP_1) | instskip(NEXT) | instid1(VALU_DEP_1)
	v_div_scale_f32 v97, null, v96, v96, 1.0
	v_rcp_f32_e32 v98, v97
	v_nop
	s_delay_alu instid0(TRANS32_DEP_1) | instskip(NEXT) | instid1(VALU_DEP_1)
	v_fma_f32 v100, -v97, v98, 1.0
	v_fmac_f32_e32 v98, v100, v98
	v_div_scale_f32 v100, vcc_lo, 1.0, v96, 1.0
	s_delay_alu instid0(VALU_DEP_1) | instskip(NEXT) | instid1(VALU_DEP_1)
	v_mul_f32_e32 v101, v100, v98
	v_fma_f32 v102, -v97, v101, v100
	s_delay_alu instid0(VALU_DEP_1) | instskip(NEXT) | instid1(VALU_DEP_1)
	v_fmac_f32_e32 v101, v102, v98
	v_fma_f32 v97, -v97, v101, v100
	s_delay_alu instid0(VALU_DEP_1) | instskip(NEXT) | instid1(VALU_DEP_1)
	v_div_fmas_f32 v97, v97, v98, v101
	v_div_fixup_f32 v98, v97, v96, 1.0
	s_delay_alu instid0(VALU_DEP_1)
	v_mul_f32_e64 v99, v99, -v98
.LBB37_88:
	s_or_b32 exec_lo, exec_lo, s1
	ds_store_b64 v117, v[98:99]
.LBB37_89:
	s_or_b32 exec_lo, exec_lo, s2
	s_wait_dscnt 0x0
	s_barrier_signal -1
	s_barrier_wait -1
	ds_load_b64 v[96:97], v117
	s_mov_b32 s1, exec_lo
	v_cmpx_lt_u32_e32 9, v116
	s_cbranch_execz .LBB37_91
; %bb.90:
	s_wait_dscnt 0x0
	v_pk_mul_f32 v[98:99], v[96:97], v[40:41] op_sel:[1,1] op_sel_hi:[0,1]
	s_delay_alu instid0(VALU_DEP_1)
	v_pk_fma_f32 v[102:103], v[96:97], v[40:41], v[98:99] op_sel_hi:[1,0,1] neg_lo:[0,0,1] neg_hi:[0,0,1]
	v_pk_fma_f32 v[104:105], v[96:97], v[40:41], v[98:99] op_sel_hi:[1,0,1]
	ds_load_2addr_b64 v[98:101], v118 offset0:10 offset1:11
	v_dual_mov_b32 v40, v102 :: v_dual_mov_b32 v41, v105
	s_wait_dscnt 0x0
	v_pk_mul_f32 v[106:107], v[98:99], v[104:105] op_sel:[0,1]
	s_delay_alu instid0(VALU_DEP_1) | instskip(SKIP_1) | instid1(VALU_DEP_1)
	v_pk_fma_f32 v[108:109], v[98:99], v[102:103], v[106:107] op_sel:[0,0,1] op_sel_hi:[1,1,0] neg_lo:[0,0,1] neg_hi:[0,0,1]
	v_pk_fma_f32 v[98:99], v[98:99], v[102:103], v[106:107] op_sel:[0,0,1] op_sel_hi:[1,0,0]
	v_mov_b32_e32 v109, v99
	v_pk_mul_f32 v[98:99], v[100:101], v[104:105] op_sel:[0,1]
	s_delay_alu instid0(VALU_DEP_1) | instskip(SKIP_1) | instid1(VALU_DEP_1)
	v_pk_fma_f32 v[106:107], v[100:101], v[102:103], v[98:99] op_sel:[0,0,1] op_sel_hi:[1,1,0] neg_lo:[0,0,1] neg_hi:[0,0,1]
	v_pk_fma_f32 v[98:99], v[100:101], v[102:103], v[98:99] op_sel:[0,0,1] op_sel_hi:[1,0,0]
	v_mov_b32_e32 v107, v99
	ds_load_2addr_b64 v[98:101], v118 offset0:12 offset1:13
	v_pk_add_f32 v[42:43], v[42:43], v[108:109] neg_lo:[0,1] neg_hi:[0,1]
	v_pk_add_f32 v[38:39], v[38:39], v[106:107] neg_lo:[0,1] neg_hi:[0,1]
	s_wait_dscnt 0x0
	v_pk_mul_f32 v[106:107], v[98:99], v[104:105] op_sel:[0,1]
	s_delay_alu instid0(VALU_DEP_1) | instskip(SKIP_2) | instid1(VALU_DEP_2)
	v_pk_fma_f32 v[108:109], v[98:99], v[102:103], v[106:107] op_sel:[0,0,1] op_sel_hi:[1,1,0] neg_lo:[0,0,1] neg_hi:[0,0,1]
	v_pk_fma_f32 v[98:99], v[98:99], v[102:103], v[106:107] op_sel:[0,0,1] op_sel_hi:[1,0,0]
	v_dual_mul_f32 v106, v101, v105 :: v_dual_mov_b32 v98, v101
	v_dual_mov_b32 v109, v99 :: v_dual_mov_b32 v99, v100
	s_delay_alu instid0(VALU_DEP_2) | instskip(SKIP_1) | instid1(VALU_DEP_3)
	v_pk_fma_f32 v[106:107], v[100:101], v[40:41], v[106:107] op_sel_hi:[1,1,0] neg_lo:[0,0,1] neg_hi:[0,0,1]
	v_mul_f32_e32 v100, v101, v102
	v_pk_add_f32 v[70:71], v[70:71], v[108:109] neg_lo:[0,1] neg_hi:[0,1]
	s_delay_alu instid0(VALU_DEP_2) | instskip(NEXT) | instid1(VALU_DEP_1)
	v_pk_fma_f32 v[98:99], v[98:99], v[40:41], v[100:101] op_sel_hi:[1,1,0]
	v_mov_b32_e32 v107, v99
	ds_load_2addr_b64 v[98:101], v118 offset0:14 offset1:15
	v_pk_add_f32 v[66:67], v[66:67], v[106:107] neg_lo:[0,1] neg_hi:[0,1]
	s_wait_dscnt 0x0
	v_pk_mul_f32 v[106:107], v[98:99], v[104:105] op_sel:[0,1]
	s_delay_alu instid0(VALU_DEP_1) | instskip(SKIP_1) | instid1(VALU_DEP_1)
	v_pk_fma_f32 v[108:109], v[98:99], v[102:103], v[106:107] op_sel:[0,0,1] op_sel_hi:[1,1,0] neg_lo:[0,0,1] neg_hi:[0,0,1]
	v_pk_fma_f32 v[98:99], v[98:99], v[102:103], v[106:107] op_sel:[0,0,1] op_sel_hi:[1,0,0]
	v_mov_b32_e32 v109, v99
	v_pk_mul_f32 v[98:99], v[100:101], v[104:105] op_sel:[0,1]
	s_delay_alu instid0(VALU_DEP_1) | instskip(SKIP_1) | instid1(VALU_DEP_1)
	v_pk_fma_f32 v[106:107], v[100:101], v[102:103], v[98:99] op_sel:[0,0,1] op_sel_hi:[1,1,0] neg_lo:[0,0,1] neg_hi:[0,0,1]
	v_pk_fma_f32 v[98:99], v[100:101], v[102:103], v[98:99] op_sel:[0,0,1] op_sel_hi:[1,0,0]
	v_mov_b32_e32 v107, v99
	ds_load_2addr_b64 v[98:101], v118 offset0:16 offset1:17
	v_pk_add_f32 v[68:69], v[68:69], v[108:109] neg_lo:[0,1] neg_hi:[0,1]
	v_pk_add_f32 v[64:65], v[64:65], v[106:107] neg_lo:[0,1] neg_hi:[0,1]
	s_wait_dscnt 0x0
	v_pk_mul_f32 v[106:107], v[98:99], v[104:105] op_sel:[0,1]
	s_delay_alu instid0(VALU_DEP_1) | instskip(SKIP_1) | instid1(VALU_DEP_1)
	v_pk_fma_f32 v[108:109], v[98:99], v[102:103], v[106:107] op_sel:[0,0,1] op_sel_hi:[1,1,0] neg_lo:[0,0,1] neg_hi:[0,0,1]
	v_pk_fma_f32 v[98:99], v[98:99], v[102:103], v[106:107] op_sel:[0,0,1] op_sel_hi:[1,0,0]
	v_mov_b32_e32 v109, v99
	v_pk_mul_f32 v[98:99], v[100:101], v[104:105] op_sel:[0,1]
	s_delay_alu instid0(VALU_DEP_1) | instskip(SKIP_1) | instid1(VALU_DEP_1)
	v_pk_fma_f32 v[106:107], v[100:101], v[102:103], v[98:99] op_sel:[0,0,1] op_sel_hi:[1,1,0] neg_lo:[0,0,1] neg_hi:[0,0,1]
	v_pk_fma_f32 v[98:99], v[100:101], v[102:103], v[98:99] op_sel:[0,0,1] op_sel_hi:[1,0,0]
	v_mov_b32_e32 v107, v99
	ds_load_b64 v[98:99], v118 offset:144
	v_pk_add_f32 v[74:75], v[74:75], v[108:109] neg_lo:[0,1] neg_hi:[0,1]
	v_pk_add_f32 v[72:73], v[72:73], v[106:107] neg_lo:[0,1] neg_hi:[0,1]
	s_wait_dscnt 0x0
	v_pk_mul_f32 v[100:101], v[98:99], v[104:105] op_sel:[0,1]
	s_delay_alu instid0(VALU_DEP_1) | instskip(SKIP_1) | instid1(VALU_DEP_1)
	v_pk_fma_f32 v[104:105], v[98:99], v[102:103], v[100:101] op_sel:[0,0,1] op_sel_hi:[1,1,0] neg_lo:[0,0,1] neg_hi:[0,0,1]
	v_pk_fma_f32 v[98:99], v[98:99], v[102:103], v[100:101] op_sel:[0,0,1] op_sel_hi:[1,0,0]
	v_mov_b32_e32 v105, v99
	s_delay_alu instid0(VALU_DEP_1)
	v_pk_add_f32 v[76:77], v[76:77], v[104:105] neg_lo:[0,1] neg_hi:[0,1]
.LBB37_91:
	s_or_b32 exec_lo, exec_lo, s1
	s_delay_alu instid0(SALU_CYCLE_1)
	s_mov_b32 s2, exec_lo
	s_wait_dscnt 0x0
	s_barrier_signal -1
	s_barrier_wait -1
	v_cmpx_eq_u32_e32 10, v116
	s_cbranch_execz .LBB37_98
; %bb.92:
	ds_store_b64 v117, v[42:43]
	ds_store_2addr_b64 v118, v[38:39], v[70:71] offset0:11 offset1:12
	ds_store_2addr_b64 v118, v[66:67], v[68:69] offset0:13 offset1:14
	;; [unrolled: 1-line block ×4, first 2 shown]
	ds_load_b64 v[98:99], v117
	s_wait_dscnt 0x0
	v_cmp_neq_f32_e32 vcc_lo, 0, v98
	v_cmp_neq_f32_e64 s1, 0, v99
	s_or_b32 s1, vcc_lo, s1
	s_delay_alu instid0(SALU_CYCLE_1)
	s_and_b32 exec_lo, exec_lo, s1
	s_cbranch_execz .LBB37_98
; %bb.93:
	v_cmp_ngt_f32_e64 s1, |v98|, |v99|
                                        ; implicit-def: $vgpr100_vgpr101
	s_and_saveexec_b32 s4, s1
	s_delay_alu instid0(SALU_CYCLE_1)
	s_xor_b32 s1, exec_lo, s4
	s_cbranch_execz .LBB37_95
; %bb.94:
	v_div_scale_f32 v100, null, v99, v99, v98
	v_div_scale_f32 v103, vcc_lo, v98, v99, v98
	s_delay_alu instid0(VALU_DEP_2) | instskip(SKIP_1) | instid1(TRANS32_DEP_1)
	v_rcp_f32_e32 v101, v100
	v_nop
	v_fma_f32 v102, -v100, v101, 1.0
	s_delay_alu instid0(VALU_DEP_1) | instskip(NEXT) | instid1(VALU_DEP_1)
	v_fmac_f32_e32 v101, v102, v101
	v_mul_f32_e32 v102, v103, v101
	s_delay_alu instid0(VALU_DEP_1) | instskip(NEXT) | instid1(VALU_DEP_1)
	v_fma_f32 v104, -v100, v102, v103
	v_fmac_f32_e32 v102, v104, v101
	s_delay_alu instid0(VALU_DEP_1) | instskip(NEXT) | instid1(VALU_DEP_1)
	v_fma_f32 v100, -v100, v102, v103
	v_div_fmas_f32 v100, v100, v101, v102
	s_delay_alu instid0(VALU_DEP_1) | instskip(NEXT) | instid1(VALU_DEP_1)
	v_div_fixup_f32 v100, v100, v99, v98
	v_fmac_f32_e32 v99, v98, v100
	s_delay_alu instid0(VALU_DEP_1) | instskip(SKIP_1) | instid1(VALU_DEP_2)
	v_div_scale_f32 v98, null, v99, v99, 1.0
	v_div_scale_f32 v103, vcc_lo, 1.0, v99, 1.0
	v_rcp_f32_e32 v101, v98
	v_nop
	s_delay_alu instid0(TRANS32_DEP_1) | instskip(NEXT) | instid1(VALU_DEP_1)
	v_fma_f32 v102, -v98, v101, 1.0
	v_fmac_f32_e32 v101, v102, v101
	s_delay_alu instid0(VALU_DEP_1) | instskip(NEXT) | instid1(VALU_DEP_1)
	v_mul_f32_e32 v102, v103, v101
	v_fma_f32 v104, -v98, v102, v103
	s_delay_alu instid0(VALU_DEP_1) | instskip(NEXT) | instid1(VALU_DEP_1)
	v_fmac_f32_e32 v102, v104, v101
	v_fma_f32 v98, -v98, v102, v103
	s_delay_alu instid0(VALU_DEP_1) | instskip(NEXT) | instid1(VALU_DEP_1)
	v_div_fmas_f32 v98, v98, v101, v102
	v_div_fixup_f32 v98, v98, v99, 1.0
	s_delay_alu instid0(VALU_DEP_1)
	v_mul_f32_e32 v100, v100, v98
	v_xor_b32_e32 v101, 0x80000000, v98
                                        ; implicit-def: $vgpr98_vgpr99
.LBB37_95:
	s_and_not1_saveexec_b32 s1, s1
	s_cbranch_execz .LBB37_97
; %bb.96:
	v_div_scale_f32 v100, null, v98, v98, v99
	v_div_scale_f32 v103, vcc_lo, v99, v98, v99
	s_delay_alu instid0(VALU_DEP_2) | instskip(SKIP_1) | instid1(TRANS32_DEP_1)
	v_rcp_f32_e32 v101, v100
	v_nop
	v_fma_f32 v102, -v100, v101, 1.0
	s_delay_alu instid0(VALU_DEP_1) | instskip(NEXT) | instid1(VALU_DEP_1)
	v_fmac_f32_e32 v101, v102, v101
	v_mul_f32_e32 v102, v103, v101
	s_delay_alu instid0(VALU_DEP_1) | instskip(NEXT) | instid1(VALU_DEP_1)
	v_fma_f32 v104, -v100, v102, v103
	v_fmac_f32_e32 v102, v104, v101
	s_delay_alu instid0(VALU_DEP_1) | instskip(NEXT) | instid1(VALU_DEP_1)
	v_fma_f32 v100, -v100, v102, v103
	v_div_fmas_f32 v100, v100, v101, v102
	s_delay_alu instid0(VALU_DEP_1) | instskip(NEXT) | instid1(VALU_DEP_1)
	v_div_fixup_f32 v101, v100, v98, v99
	v_fmac_f32_e32 v98, v99, v101
	s_delay_alu instid0(VALU_DEP_1) | instskip(NEXT) | instid1(VALU_DEP_1)
	v_div_scale_f32 v99, null, v98, v98, 1.0
	v_rcp_f32_e32 v100, v99
	v_nop
	s_delay_alu instid0(TRANS32_DEP_1) | instskip(NEXT) | instid1(VALU_DEP_1)
	v_fma_f32 v102, -v99, v100, 1.0
	v_fmac_f32_e32 v100, v102, v100
	v_div_scale_f32 v102, vcc_lo, 1.0, v98, 1.0
	s_delay_alu instid0(VALU_DEP_1) | instskip(NEXT) | instid1(VALU_DEP_1)
	v_mul_f32_e32 v103, v102, v100
	v_fma_f32 v104, -v99, v103, v102
	s_delay_alu instid0(VALU_DEP_1) | instskip(NEXT) | instid1(VALU_DEP_1)
	v_fmac_f32_e32 v103, v104, v100
	v_fma_f32 v99, -v99, v103, v102
	s_delay_alu instid0(VALU_DEP_1) | instskip(NEXT) | instid1(VALU_DEP_1)
	v_div_fmas_f32 v99, v99, v100, v103
	v_div_fixup_f32 v100, v99, v98, 1.0
	s_delay_alu instid0(VALU_DEP_1)
	v_mul_f32_e64 v101, v101, -v100
.LBB37_97:
	s_or_b32 exec_lo, exec_lo, s1
	ds_store_b64 v117, v[100:101]
.LBB37_98:
	s_or_b32 exec_lo, exec_lo, s2
	s_wait_dscnt 0x0
	s_barrier_signal -1
	s_barrier_wait -1
	ds_load_b64 v[98:99], v117
	s_mov_b32 s1, exec_lo
	v_cmpx_lt_u32_e32 10, v116
	s_cbranch_execz .LBB37_100
; %bb.99:
	s_wait_dscnt 0x0
	v_pk_mul_f32 v[100:101], v[98:99], v[42:43] op_sel:[1,1] op_sel_hi:[0,1]
	s_delay_alu instid0(VALU_DEP_1)
	v_pk_fma_f32 v[104:105], v[98:99], v[42:43], v[100:101] op_sel_hi:[1,0,1] neg_lo:[0,0,1] neg_hi:[0,0,1]
	v_pk_fma_f32 v[106:107], v[98:99], v[42:43], v[100:101] op_sel_hi:[1,0,1]
	ds_load_2addr_b64 v[100:103], v118 offset0:11 offset1:12
	v_dual_mov_b32 v42, v104 :: v_dual_mov_b32 v43, v107
	s_wait_dscnt 0x0
	v_pk_mul_f32 v[108:109], v[100:101], v[106:107] op_sel:[0,1]
	s_delay_alu instid0(VALU_DEP_1) | instskip(SKIP_1) | instid1(VALU_DEP_1)
	v_pk_fma_f32 v[110:111], v[100:101], v[104:105], v[108:109] op_sel:[0,0,1] op_sel_hi:[1,1,0] neg_lo:[0,0,1] neg_hi:[0,0,1]
	v_pk_fma_f32 v[100:101], v[100:101], v[104:105], v[108:109] op_sel:[0,0,1] op_sel_hi:[1,0,0]
	v_mov_b32_e32 v111, v101
	v_pk_mul_f32 v[100:101], v[102:103], v[106:107] op_sel:[0,1]
	s_delay_alu instid0(VALU_DEP_1) | instskip(SKIP_1) | instid1(VALU_DEP_1)
	v_pk_fma_f32 v[108:109], v[102:103], v[104:105], v[100:101] op_sel:[0,0,1] op_sel_hi:[1,1,0] neg_lo:[0,0,1] neg_hi:[0,0,1]
	v_pk_fma_f32 v[100:101], v[102:103], v[104:105], v[100:101] op_sel:[0,0,1] op_sel_hi:[1,0,0]
	v_mov_b32_e32 v109, v101
	ds_load_2addr_b64 v[100:103], v118 offset0:13 offset1:14
	v_pk_add_f32 v[38:39], v[38:39], v[110:111] neg_lo:[0,1] neg_hi:[0,1]
	v_pk_add_f32 v[70:71], v[70:71], v[108:109] neg_lo:[0,1] neg_hi:[0,1]
	s_wait_dscnt 0x0
	v_pk_mul_f32 v[108:109], v[100:101], v[106:107] op_sel:[0,1]
	s_delay_alu instid0(VALU_DEP_1) | instskip(SKIP_2) | instid1(VALU_DEP_2)
	v_pk_fma_f32 v[110:111], v[100:101], v[104:105], v[108:109] op_sel:[0,0,1] op_sel_hi:[1,1,0] neg_lo:[0,0,1] neg_hi:[0,0,1]
	v_pk_fma_f32 v[100:101], v[100:101], v[104:105], v[108:109] op_sel:[0,0,1] op_sel_hi:[1,0,0]
	v_dual_mul_f32 v108, v103, v107 :: v_dual_mov_b32 v100, v103
	v_dual_mov_b32 v111, v101 :: v_dual_mov_b32 v101, v102
	s_delay_alu instid0(VALU_DEP_2) | instskip(SKIP_1) | instid1(VALU_DEP_3)
	v_pk_fma_f32 v[108:109], v[102:103], v[42:43], v[108:109] op_sel_hi:[1,1,0] neg_lo:[0,0,1] neg_hi:[0,0,1]
	v_mul_f32_e32 v102, v103, v104
	v_pk_add_f32 v[66:67], v[66:67], v[110:111] neg_lo:[0,1] neg_hi:[0,1]
	s_delay_alu instid0(VALU_DEP_2) | instskip(NEXT) | instid1(VALU_DEP_1)
	v_pk_fma_f32 v[100:101], v[100:101], v[42:43], v[102:103] op_sel_hi:[1,1,0]
	v_mov_b32_e32 v109, v101
	ds_load_2addr_b64 v[100:103], v118 offset0:15 offset1:16
	v_pk_add_f32 v[68:69], v[68:69], v[108:109] neg_lo:[0,1] neg_hi:[0,1]
	s_wait_dscnt 0x0
	v_pk_mul_f32 v[108:109], v[100:101], v[106:107] op_sel:[0,1]
	s_delay_alu instid0(VALU_DEP_1) | instskip(SKIP_1) | instid1(VALU_DEP_1)
	v_pk_fma_f32 v[110:111], v[100:101], v[104:105], v[108:109] op_sel:[0,0,1] op_sel_hi:[1,1,0] neg_lo:[0,0,1] neg_hi:[0,0,1]
	v_pk_fma_f32 v[100:101], v[100:101], v[104:105], v[108:109] op_sel:[0,0,1] op_sel_hi:[1,0,0]
	v_mov_b32_e32 v111, v101
	v_pk_mul_f32 v[100:101], v[102:103], v[106:107] op_sel:[0,1]
	s_delay_alu instid0(VALU_DEP_1) | instskip(SKIP_1) | instid1(VALU_DEP_1)
	v_pk_fma_f32 v[108:109], v[102:103], v[104:105], v[100:101] op_sel:[0,0,1] op_sel_hi:[1,1,0] neg_lo:[0,0,1] neg_hi:[0,0,1]
	v_pk_fma_f32 v[100:101], v[102:103], v[104:105], v[100:101] op_sel:[0,0,1] op_sel_hi:[1,0,0]
	v_mov_b32_e32 v109, v101
	ds_load_2addr_b64 v[100:103], v118 offset0:17 offset1:18
	v_pk_add_f32 v[64:65], v[64:65], v[110:111] neg_lo:[0,1] neg_hi:[0,1]
	v_pk_add_f32 v[74:75], v[74:75], v[108:109] neg_lo:[0,1] neg_hi:[0,1]
	s_wait_dscnt 0x0
	v_pk_mul_f32 v[108:109], v[100:101], v[106:107] op_sel:[0,1]
	s_delay_alu instid0(VALU_DEP_1) | instskip(SKIP_1) | instid1(VALU_DEP_1)
	v_pk_fma_f32 v[110:111], v[100:101], v[104:105], v[108:109] op_sel:[0,0,1] op_sel_hi:[1,1,0] neg_lo:[0,0,1] neg_hi:[0,0,1]
	v_pk_fma_f32 v[100:101], v[100:101], v[104:105], v[108:109] op_sel:[0,0,1] op_sel_hi:[1,0,0]
	v_mov_b32_e32 v111, v101
	v_pk_mul_f32 v[100:101], v[102:103], v[106:107] op_sel:[0,1]
	s_delay_alu instid0(VALU_DEP_1) | instskip(SKIP_1) | instid1(VALU_DEP_1)
	v_pk_fma_f32 v[106:107], v[102:103], v[104:105], v[100:101] op_sel:[0,0,1] op_sel_hi:[1,1,0] neg_lo:[0,0,1] neg_hi:[0,0,1]
	v_pk_fma_f32 v[100:101], v[102:103], v[104:105], v[100:101] op_sel:[0,0,1] op_sel_hi:[1,0,0]
	v_mov_b32_e32 v107, v101
	v_pk_add_f32 v[72:73], v[72:73], v[110:111] neg_lo:[0,1] neg_hi:[0,1]
	s_delay_alu instid0(VALU_DEP_2)
	v_pk_add_f32 v[76:77], v[76:77], v[106:107] neg_lo:[0,1] neg_hi:[0,1]
.LBB37_100:
	s_or_b32 exec_lo, exec_lo, s1
	s_delay_alu instid0(SALU_CYCLE_1)
	s_mov_b32 s2, exec_lo
	s_wait_dscnt 0x0
	s_barrier_signal -1
	s_barrier_wait -1
	v_cmpx_eq_u32_e32 11, v116
	s_cbranch_execz .LBB37_107
; %bb.101:
	v_dual_mov_b32 v100, v70 :: v_dual_mov_b32 v101, v71
	v_dual_mov_b32 v102, v66 :: v_dual_mov_b32 v103, v67
	;; [unrolled: 1-line block ×6, first 2 shown]
	ds_store_b64 v117, v[38:39]
	ds_store_2addr_b64 v118, v[100:101], v[102:103] offset0:12 offset1:13
	ds_store_2addr_b64 v118, v[104:105], v[106:107] offset0:14 offset1:15
	;; [unrolled: 1-line block ×3, first 2 shown]
	ds_store_b64 v118, v[76:77] offset:144
	ds_load_b64 v[100:101], v117
	s_wait_dscnt 0x0
	v_cmp_neq_f32_e32 vcc_lo, 0, v100
	v_cmp_neq_f32_e64 s1, 0, v101
	s_or_b32 s1, vcc_lo, s1
	s_delay_alu instid0(SALU_CYCLE_1)
	s_and_b32 exec_lo, exec_lo, s1
	s_cbranch_execz .LBB37_107
; %bb.102:
	v_cmp_ngt_f32_e64 s1, |v100|, |v101|
                                        ; implicit-def: $vgpr102_vgpr103
	s_and_saveexec_b32 s4, s1
	s_delay_alu instid0(SALU_CYCLE_1)
	s_xor_b32 s1, exec_lo, s4
	s_cbranch_execz .LBB37_104
; %bb.103:
	v_div_scale_f32 v102, null, v101, v101, v100
	v_div_scale_f32 v105, vcc_lo, v100, v101, v100
	s_delay_alu instid0(VALU_DEP_2) | instskip(SKIP_1) | instid1(TRANS32_DEP_1)
	v_rcp_f32_e32 v103, v102
	v_nop
	v_fma_f32 v104, -v102, v103, 1.0
	s_delay_alu instid0(VALU_DEP_1) | instskip(NEXT) | instid1(VALU_DEP_1)
	v_fmac_f32_e32 v103, v104, v103
	v_mul_f32_e32 v104, v105, v103
	s_delay_alu instid0(VALU_DEP_1) | instskip(NEXT) | instid1(VALU_DEP_1)
	v_fma_f32 v106, -v102, v104, v105
	v_fmac_f32_e32 v104, v106, v103
	s_delay_alu instid0(VALU_DEP_1) | instskip(NEXT) | instid1(VALU_DEP_1)
	v_fma_f32 v102, -v102, v104, v105
	v_div_fmas_f32 v102, v102, v103, v104
	s_delay_alu instid0(VALU_DEP_1) | instskip(NEXT) | instid1(VALU_DEP_1)
	v_div_fixup_f32 v102, v102, v101, v100
	v_fmac_f32_e32 v101, v100, v102
	s_delay_alu instid0(VALU_DEP_1) | instskip(SKIP_1) | instid1(VALU_DEP_2)
	v_div_scale_f32 v100, null, v101, v101, 1.0
	v_div_scale_f32 v105, vcc_lo, 1.0, v101, 1.0
	v_rcp_f32_e32 v103, v100
	v_nop
	s_delay_alu instid0(TRANS32_DEP_1) | instskip(NEXT) | instid1(VALU_DEP_1)
	v_fma_f32 v104, -v100, v103, 1.0
	v_fmac_f32_e32 v103, v104, v103
	s_delay_alu instid0(VALU_DEP_1) | instskip(NEXT) | instid1(VALU_DEP_1)
	v_mul_f32_e32 v104, v105, v103
	v_fma_f32 v106, -v100, v104, v105
	s_delay_alu instid0(VALU_DEP_1) | instskip(NEXT) | instid1(VALU_DEP_1)
	v_fmac_f32_e32 v104, v106, v103
	v_fma_f32 v100, -v100, v104, v105
	s_delay_alu instid0(VALU_DEP_1) | instskip(NEXT) | instid1(VALU_DEP_1)
	v_div_fmas_f32 v100, v100, v103, v104
	v_div_fixup_f32 v100, v100, v101, 1.0
	s_delay_alu instid0(VALU_DEP_1)
	v_mul_f32_e32 v102, v102, v100
	v_xor_b32_e32 v103, 0x80000000, v100
                                        ; implicit-def: $vgpr100_vgpr101
.LBB37_104:
	s_and_not1_saveexec_b32 s1, s1
	s_cbranch_execz .LBB37_106
; %bb.105:
	v_div_scale_f32 v102, null, v100, v100, v101
	v_div_scale_f32 v105, vcc_lo, v101, v100, v101
	s_delay_alu instid0(VALU_DEP_2) | instskip(SKIP_1) | instid1(TRANS32_DEP_1)
	v_rcp_f32_e32 v103, v102
	v_nop
	v_fma_f32 v104, -v102, v103, 1.0
	s_delay_alu instid0(VALU_DEP_1) | instskip(NEXT) | instid1(VALU_DEP_1)
	v_fmac_f32_e32 v103, v104, v103
	v_mul_f32_e32 v104, v105, v103
	s_delay_alu instid0(VALU_DEP_1) | instskip(NEXT) | instid1(VALU_DEP_1)
	v_fma_f32 v106, -v102, v104, v105
	v_fmac_f32_e32 v104, v106, v103
	s_delay_alu instid0(VALU_DEP_1) | instskip(NEXT) | instid1(VALU_DEP_1)
	v_fma_f32 v102, -v102, v104, v105
	v_div_fmas_f32 v102, v102, v103, v104
	s_delay_alu instid0(VALU_DEP_1) | instskip(NEXT) | instid1(VALU_DEP_1)
	v_div_fixup_f32 v103, v102, v100, v101
	v_fmac_f32_e32 v100, v101, v103
	s_delay_alu instid0(VALU_DEP_1) | instskip(NEXT) | instid1(VALU_DEP_1)
	v_div_scale_f32 v101, null, v100, v100, 1.0
	v_rcp_f32_e32 v102, v101
	v_nop
	s_delay_alu instid0(TRANS32_DEP_1) | instskip(NEXT) | instid1(VALU_DEP_1)
	v_fma_f32 v104, -v101, v102, 1.0
	v_fmac_f32_e32 v102, v104, v102
	v_div_scale_f32 v104, vcc_lo, 1.0, v100, 1.0
	s_delay_alu instid0(VALU_DEP_1) | instskip(NEXT) | instid1(VALU_DEP_1)
	v_mul_f32_e32 v105, v104, v102
	v_fma_f32 v106, -v101, v105, v104
	s_delay_alu instid0(VALU_DEP_1) | instskip(NEXT) | instid1(VALU_DEP_1)
	v_fmac_f32_e32 v105, v106, v102
	v_fma_f32 v101, -v101, v105, v104
	s_delay_alu instid0(VALU_DEP_1) | instskip(NEXT) | instid1(VALU_DEP_1)
	v_div_fmas_f32 v101, v101, v102, v105
	v_div_fixup_f32 v102, v101, v100, 1.0
	s_delay_alu instid0(VALU_DEP_1)
	v_mul_f32_e64 v103, v103, -v102
.LBB37_106:
	s_or_b32 exec_lo, exec_lo, s1
	ds_store_b64 v117, v[102:103]
.LBB37_107:
	s_or_b32 exec_lo, exec_lo, s2
	s_wait_dscnt 0x0
	s_barrier_signal -1
	s_barrier_wait -1
	ds_load_b64 v[100:101], v117
	s_mov_b32 s1, exec_lo
	v_cmpx_lt_u32_e32 11, v116
	s_cbranch_execz .LBB37_109
; %bb.108:
	s_wait_dscnt 0x0
	v_pk_mul_f32 v[102:103], v[100:101], v[38:39] op_sel:[1,1] op_sel_hi:[0,1]
	s_delay_alu instid0(VALU_DEP_1)
	v_pk_fma_f32 v[106:107], v[100:101], v[38:39], v[102:103] op_sel_hi:[1,0,1] neg_lo:[0,0,1] neg_hi:[0,0,1]
	v_pk_fma_f32 v[108:109], v[100:101], v[38:39], v[102:103] op_sel_hi:[1,0,1]
	ds_load_2addr_b64 v[102:105], v118 offset0:12 offset1:13
	v_dual_mov_b32 v38, v106 :: v_dual_mov_b32 v39, v109
	s_wait_dscnt 0x0
	v_pk_mul_f32 v[110:111], v[102:103], v[108:109] op_sel:[0,1]
	s_delay_alu instid0(VALU_DEP_1) | instskip(SKIP_1) | instid1(VALU_DEP_1)
	v_pk_fma_f32 v[112:113], v[102:103], v[106:107], v[110:111] op_sel:[0,0,1] op_sel_hi:[1,1,0] neg_lo:[0,0,1] neg_hi:[0,0,1]
	v_pk_fma_f32 v[102:103], v[102:103], v[106:107], v[110:111] op_sel:[0,0,1] op_sel_hi:[1,0,0]
	v_mov_b32_e32 v113, v103
	v_pk_mul_f32 v[102:103], v[104:105], v[108:109] op_sel:[0,1]
	s_delay_alu instid0(VALU_DEP_1) | instskip(SKIP_1) | instid1(VALU_DEP_1)
	v_pk_fma_f32 v[110:111], v[104:105], v[106:107], v[102:103] op_sel:[0,0,1] op_sel_hi:[1,1,0] neg_lo:[0,0,1] neg_hi:[0,0,1]
	v_pk_fma_f32 v[102:103], v[104:105], v[106:107], v[102:103] op_sel:[0,0,1] op_sel_hi:[1,0,0]
	v_mov_b32_e32 v111, v103
	ds_load_2addr_b64 v[102:105], v118 offset0:14 offset1:15
	v_pk_add_f32 v[70:71], v[70:71], v[112:113] neg_lo:[0,1] neg_hi:[0,1]
	v_pk_add_f32 v[66:67], v[66:67], v[110:111] neg_lo:[0,1] neg_hi:[0,1]
	s_wait_dscnt 0x0
	v_pk_mul_f32 v[110:111], v[102:103], v[108:109] op_sel:[0,1]
	s_delay_alu instid0(VALU_DEP_1) | instskip(SKIP_2) | instid1(VALU_DEP_2)
	v_pk_fma_f32 v[112:113], v[102:103], v[106:107], v[110:111] op_sel:[0,0,1] op_sel_hi:[1,1,0] neg_lo:[0,0,1] neg_hi:[0,0,1]
	v_pk_fma_f32 v[102:103], v[102:103], v[106:107], v[110:111] op_sel:[0,0,1] op_sel_hi:[1,0,0]
	v_dual_mul_f32 v110, v105, v109 :: v_dual_mov_b32 v102, v105
	v_dual_mov_b32 v113, v103 :: v_dual_mov_b32 v103, v104
	s_delay_alu instid0(VALU_DEP_2) | instskip(SKIP_1) | instid1(VALU_DEP_3)
	v_pk_fma_f32 v[110:111], v[104:105], v[38:39], v[110:111] op_sel_hi:[1,1,0] neg_lo:[0,0,1] neg_hi:[0,0,1]
	v_mul_f32_e32 v104, v105, v106
	v_pk_add_f32 v[68:69], v[68:69], v[112:113] neg_lo:[0,1] neg_hi:[0,1]
	s_delay_alu instid0(VALU_DEP_2) | instskip(NEXT) | instid1(VALU_DEP_1)
	v_pk_fma_f32 v[102:103], v[102:103], v[38:39], v[104:105] op_sel_hi:[1,1,0]
	v_mov_b32_e32 v111, v103
	ds_load_2addr_b64 v[102:105], v118 offset0:16 offset1:17
	v_pk_add_f32 v[64:65], v[64:65], v[110:111] neg_lo:[0,1] neg_hi:[0,1]
	s_wait_dscnt 0x0
	v_pk_mul_f32 v[110:111], v[102:103], v[108:109] op_sel:[0,1]
	s_delay_alu instid0(VALU_DEP_1) | instskip(SKIP_1) | instid1(VALU_DEP_1)
	v_pk_fma_f32 v[112:113], v[102:103], v[106:107], v[110:111] op_sel:[0,0,1] op_sel_hi:[1,1,0] neg_lo:[0,0,1] neg_hi:[0,0,1]
	v_pk_fma_f32 v[102:103], v[102:103], v[106:107], v[110:111] op_sel:[0,0,1] op_sel_hi:[1,0,0]
	v_mov_b32_e32 v113, v103
	v_pk_mul_f32 v[102:103], v[104:105], v[108:109] op_sel:[0,1]
	s_delay_alu instid0(VALU_DEP_1) | instskip(SKIP_1) | instid1(VALU_DEP_1)
	v_pk_fma_f32 v[110:111], v[104:105], v[106:107], v[102:103] op_sel:[0,0,1] op_sel_hi:[1,1,0] neg_lo:[0,0,1] neg_hi:[0,0,1]
	v_pk_fma_f32 v[102:103], v[104:105], v[106:107], v[102:103] op_sel:[0,0,1] op_sel_hi:[1,0,0]
	v_mov_b32_e32 v111, v103
	ds_load_b64 v[102:103], v118 offset:144
	v_pk_add_f32 v[74:75], v[74:75], v[112:113] neg_lo:[0,1] neg_hi:[0,1]
	v_pk_add_f32 v[72:73], v[72:73], v[110:111] neg_lo:[0,1] neg_hi:[0,1]
	s_wait_dscnt 0x0
	v_pk_mul_f32 v[104:105], v[102:103], v[108:109] op_sel:[0,1]
	s_delay_alu instid0(VALU_DEP_1) | instskip(SKIP_1) | instid1(VALU_DEP_1)
	v_pk_fma_f32 v[108:109], v[102:103], v[106:107], v[104:105] op_sel:[0,0,1] op_sel_hi:[1,1,0] neg_lo:[0,0,1] neg_hi:[0,0,1]
	v_pk_fma_f32 v[102:103], v[102:103], v[106:107], v[104:105] op_sel:[0,0,1] op_sel_hi:[1,0,0]
	v_mov_b32_e32 v109, v103
	s_delay_alu instid0(VALU_DEP_1)
	v_pk_add_f32 v[76:77], v[76:77], v[108:109] neg_lo:[0,1] neg_hi:[0,1]
.LBB37_109:
	s_or_b32 exec_lo, exec_lo, s1
	s_delay_alu instid0(SALU_CYCLE_1)
	s_mov_b32 s2, exec_lo
	s_wait_dscnt 0x0
	s_barrier_signal -1
	s_barrier_wait -1
	v_cmpx_eq_u32_e32 12, v116
	s_cbranch_execz .LBB37_116
; %bb.110:
	ds_store_b64 v117, v[70:71]
	ds_store_2addr_b64 v118, v[66:67], v[68:69] offset0:13 offset1:14
	ds_store_2addr_b64 v118, v[64:65], v[74:75] offset0:15 offset1:16
	;; [unrolled: 1-line block ×3, first 2 shown]
	ds_load_b64 v[102:103], v117
	s_wait_dscnt 0x0
	v_cmp_neq_f32_e32 vcc_lo, 0, v102
	v_cmp_neq_f32_e64 s1, 0, v103
	s_or_b32 s1, vcc_lo, s1
	s_delay_alu instid0(SALU_CYCLE_1)
	s_and_b32 exec_lo, exec_lo, s1
	s_cbranch_execz .LBB37_116
; %bb.111:
	v_cmp_ngt_f32_e64 s1, |v102|, |v103|
                                        ; implicit-def: $vgpr104_vgpr105
	s_and_saveexec_b32 s4, s1
	s_delay_alu instid0(SALU_CYCLE_1)
	s_xor_b32 s1, exec_lo, s4
	s_cbranch_execz .LBB37_113
; %bb.112:
	v_div_scale_f32 v104, null, v103, v103, v102
	v_div_scale_f32 v107, vcc_lo, v102, v103, v102
	s_delay_alu instid0(VALU_DEP_2) | instskip(SKIP_1) | instid1(TRANS32_DEP_1)
	v_rcp_f32_e32 v105, v104
	v_nop
	v_fma_f32 v106, -v104, v105, 1.0
	s_delay_alu instid0(VALU_DEP_1) | instskip(NEXT) | instid1(VALU_DEP_1)
	v_fmac_f32_e32 v105, v106, v105
	v_mul_f32_e32 v106, v107, v105
	s_delay_alu instid0(VALU_DEP_1) | instskip(NEXT) | instid1(VALU_DEP_1)
	v_fma_f32 v108, -v104, v106, v107
	v_fmac_f32_e32 v106, v108, v105
	s_delay_alu instid0(VALU_DEP_1) | instskip(NEXT) | instid1(VALU_DEP_1)
	v_fma_f32 v104, -v104, v106, v107
	v_div_fmas_f32 v104, v104, v105, v106
	s_delay_alu instid0(VALU_DEP_1) | instskip(NEXT) | instid1(VALU_DEP_1)
	v_div_fixup_f32 v104, v104, v103, v102
	v_fmac_f32_e32 v103, v102, v104
	s_delay_alu instid0(VALU_DEP_1) | instskip(SKIP_1) | instid1(VALU_DEP_2)
	v_div_scale_f32 v102, null, v103, v103, 1.0
	v_div_scale_f32 v107, vcc_lo, 1.0, v103, 1.0
	v_rcp_f32_e32 v105, v102
	v_nop
	s_delay_alu instid0(TRANS32_DEP_1) | instskip(NEXT) | instid1(VALU_DEP_1)
	v_fma_f32 v106, -v102, v105, 1.0
	v_fmac_f32_e32 v105, v106, v105
	s_delay_alu instid0(VALU_DEP_1) | instskip(NEXT) | instid1(VALU_DEP_1)
	v_mul_f32_e32 v106, v107, v105
	v_fma_f32 v108, -v102, v106, v107
	s_delay_alu instid0(VALU_DEP_1) | instskip(NEXT) | instid1(VALU_DEP_1)
	v_fmac_f32_e32 v106, v108, v105
	v_fma_f32 v102, -v102, v106, v107
	s_delay_alu instid0(VALU_DEP_1) | instskip(NEXT) | instid1(VALU_DEP_1)
	v_div_fmas_f32 v102, v102, v105, v106
	v_div_fixup_f32 v102, v102, v103, 1.0
	s_delay_alu instid0(VALU_DEP_1)
	v_mul_f32_e32 v104, v104, v102
	v_xor_b32_e32 v105, 0x80000000, v102
                                        ; implicit-def: $vgpr102_vgpr103
.LBB37_113:
	s_and_not1_saveexec_b32 s1, s1
	s_cbranch_execz .LBB37_115
; %bb.114:
	v_div_scale_f32 v104, null, v102, v102, v103
	v_div_scale_f32 v107, vcc_lo, v103, v102, v103
	s_delay_alu instid0(VALU_DEP_2) | instskip(SKIP_1) | instid1(TRANS32_DEP_1)
	v_rcp_f32_e32 v105, v104
	v_nop
	v_fma_f32 v106, -v104, v105, 1.0
	s_delay_alu instid0(VALU_DEP_1) | instskip(NEXT) | instid1(VALU_DEP_1)
	v_fmac_f32_e32 v105, v106, v105
	v_mul_f32_e32 v106, v107, v105
	s_delay_alu instid0(VALU_DEP_1) | instskip(NEXT) | instid1(VALU_DEP_1)
	v_fma_f32 v108, -v104, v106, v107
	v_fmac_f32_e32 v106, v108, v105
	s_delay_alu instid0(VALU_DEP_1) | instskip(NEXT) | instid1(VALU_DEP_1)
	v_fma_f32 v104, -v104, v106, v107
	v_div_fmas_f32 v104, v104, v105, v106
	s_delay_alu instid0(VALU_DEP_1) | instskip(NEXT) | instid1(VALU_DEP_1)
	v_div_fixup_f32 v105, v104, v102, v103
	v_fmac_f32_e32 v102, v103, v105
	s_delay_alu instid0(VALU_DEP_1) | instskip(NEXT) | instid1(VALU_DEP_1)
	v_div_scale_f32 v103, null, v102, v102, 1.0
	v_rcp_f32_e32 v104, v103
	v_nop
	s_delay_alu instid0(TRANS32_DEP_1) | instskip(NEXT) | instid1(VALU_DEP_1)
	v_fma_f32 v106, -v103, v104, 1.0
	v_fmac_f32_e32 v104, v106, v104
	v_div_scale_f32 v106, vcc_lo, 1.0, v102, 1.0
	s_delay_alu instid0(VALU_DEP_1) | instskip(NEXT) | instid1(VALU_DEP_1)
	v_mul_f32_e32 v107, v106, v104
	v_fma_f32 v108, -v103, v107, v106
	s_delay_alu instid0(VALU_DEP_1) | instskip(NEXT) | instid1(VALU_DEP_1)
	v_fmac_f32_e32 v107, v108, v104
	v_fma_f32 v103, -v103, v107, v106
	s_delay_alu instid0(VALU_DEP_1) | instskip(NEXT) | instid1(VALU_DEP_1)
	v_div_fmas_f32 v103, v103, v104, v107
	v_div_fixup_f32 v104, v103, v102, 1.0
	s_delay_alu instid0(VALU_DEP_1)
	v_mul_f32_e64 v105, v105, -v104
.LBB37_115:
	s_or_b32 exec_lo, exec_lo, s1
	ds_store_b64 v117, v[104:105]
.LBB37_116:
	s_or_b32 exec_lo, exec_lo, s2
	s_wait_dscnt 0x0
	s_barrier_signal -1
	s_barrier_wait -1
	ds_load_b64 v[102:103], v117
	s_mov_b32 s1, exec_lo
	v_cmpx_lt_u32_e32 12, v116
	s_cbranch_execz .LBB37_118
; %bb.117:
	s_wait_dscnt 0x0
	v_pk_mul_f32 v[104:105], v[102:103], v[70:71] op_sel:[1,1] op_sel_hi:[0,1]
	s_delay_alu instid0(VALU_DEP_1)
	v_pk_fma_f32 v[108:109], v[102:103], v[70:71], v[104:105] op_sel_hi:[1,0,1] neg_lo:[0,0,1] neg_hi:[0,0,1]
	v_pk_fma_f32 v[110:111], v[102:103], v[70:71], v[104:105] op_sel_hi:[1,0,1]
	ds_load_2addr_b64 v[104:107], v118 offset0:13 offset1:14
	v_dual_mov_b32 v70, v108 :: v_dual_mov_b32 v71, v111
	s_wait_dscnt 0x0
	v_pk_mul_f32 v[112:113], v[104:105], v[110:111] op_sel:[0,1]
	s_delay_alu instid0(VALU_DEP_1) | instskip(SKIP_1) | instid1(VALU_DEP_1)
	v_pk_fma_f32 v[114:115], v[104:105], v[108:109], v[112:113] op_sel:[0,0,1] op_sel_hi:[1,1,0] neg_lo:[0,0,1] neg_hi:[0,0,1]
	v_pk_fma_f32 v[104:105], v[104:105], v[108:109], v[112:113] op_sel:[0,0,1] op_sel_hi:[1,0,0]
	v_mov_b32_e32 v115, v105
	v_pk_mul_f32 v[104:105], v[106:107], v[110:111] op_sel:[0,1]
	s_delay_alu instid0(VALU_DEP_1) | instskip(SKIP_1) | instid1(VALU_DEP_1)
	v_pk_fma_f32 v[112:113], v[106:107], v[108:109], v[104:105] op_sel:[0,0,1] op_sel_hi:[1,1,0] neg_lo:[0,0,1] neg_hi:[0,0,1]
	v_pk_fma_f32 v[104:105], v[106:107], v[108:109], v[104:105] op_sel:[0,0,1] op_sel_hi:[1,0,0]
	v_mov_b32_e32 v113, v105
	ds_load_2addr_b64 v[104:107], v118 offset0:15 offset1:16
	v_pk_add_f32 v[66:67], v[66:67], v[114:115] neg_lo:[0,1] neg_hi:[0,1]
	v_pk_add_f32 v[68:69], v[68:69], v[112:113] neg_lo:[0,1] neg_hi:[0,1]
	s_wait_dscnt 0x0
	v_pk_mul_f32 v[112:113], v[104:105], v[110:111] op_sel:[0,1]
	s_delay_alu instid0(VALU_DEP_1) | instskip(SKIP_2) | instid1(VALU_DEP_2)
	v_pk_fma_f32 v[114:115], v[104:105], v[108:109], v[112:113] op_sel:[0,0,1] op_sel_hi:[1,1,0] neg_lo:[0,0,1] neg_hi:[0,0,1]
	v_pk_fma_f32 v[104:105], v[104:105], v[108:109], v[112:113] op_sel:[0,0,1] op_sel_hi:[1,0,0]
	v_dual_mul_f32 v112, v107, v111 :: v_dual_mov_b32 v104, v107
	v_dual_mov_b32 v115, v105 :: v_dual_mov_b32 v105, v106
	s_delay_alu instid0(VALU_DEP_2) | instskip(SKIP_1) | instid1(VALU_DEP_3)
	v_pk_fma_f32 v[112:113], v[106:107], v[70:71], v[112:113] op_sel_hi:[1,1,0] neg_lo:[0,0,1] neg_hi:[0,0,1]
	v_mul_f32_e32 v106, v107, v108
	v_pk_add_f32 v[64:65], v[64:65], v[114:115] neg_lo:[0,1] neg_hi:[0,1]
	s_delay_alu instid0(VALU_DEP_2) | instskip(NEXT) | instid1(VALU_DEP_1)
	v_pk_fma_f32 v[104:105], v[104:105], v[70:71], v[106:107] op_sel_hi:[1,1,0]
	v_mov_b32_e32 v113, v105
	ds_load_2addr_b64 v[104:107], v118 offset0:17 offset1:18
	v_pk_add_f32 v[74:75], v[74:75], v[112:113] neg_lo:[0,1] neg_hi:[0,1]
	s_wait_dscnt 0x0
	v_pk_mul_f32 v[112:113], v[104:105], v[110:111] op_sel:[0,1]
	v_mul_f32_e32 v110, v107, v111
	s_delay_alu instid0(VALU_DEP_2) | instskip(SKIP_2) | instid1(VALU_DEP_4)
	v_pk_fma_f32 v[114:115], v[104:105], v[108:109], v[112:113] op_sel:[0,0,1] op_sel_hi:[1,1,0] neg_lo:[0,0,1] neg_hi:[0,0,1]
	v_pk_fma_f32 v[104:105], v[104:105], v[108:109], v[112:113] op_sel:[0,0,1] op_sel_hi:[1,0,0]
	v_mov_b32_e32 v104, v107
	v_pk_fma_f32 v[110:111], v[106:107], v[70:71], v[110:111] op_sel_hi:[1,1,0] neg_lo:[0,0,1] neg_hi:[0,0,1]
	s_delay_alu instid0(VALU_DEP_3) | instskip(SKIP_1) | instid1(VALU_DEP_2)
	v_dual_mov_b32 v115, v105 :: v_dual_mov_b32 v105, v106
	v_mul_f32_e32 v106, v107, v108
	v_pk_add_f32 v[72:73], v[72:73], v[114:115] neg_lo:[0,1] neg_hi:[0,1]
	s_delay_alu instid0(VALU_DEP_2) | instskip(NEXT) | instid1(VALU_DEP_1)
	v_pk_fma_f32 v[104:105], v[104:105], v[70:71], v[106:107] op_sel_hi:[1,1,0]
	v_mov_b32_e32 v111, v105
	s_delay_alu instid0(VALU_DEP_1)
	v_pk_add_f32 v[76:77], v[76:77], v[110:111] neg_lo:[0,1] neg_hi:[0,1]
.LBB37_118:
	s_or_b32 exec_lo, exec_lo, s1
	s_delay_alu instid0(SALU_CYCLE_1)
	s_mov_b32 s2, exec_lo
	s_wait_dscnt 0x0
	s_barrier_signal -1
	s_barrier_wait -1
	v_cmpx_eq_u32_e32 13, v116
	s_cbranch_execz .LBB37_125
; %bb.119:
	v_dual_mov_b32 v104, v68 :: v_dual_mov_b32 v105, v69
	v_dual_mov_b32 v106, v64 :: v_dual_mov_b32 v107, v65
	;; [unrolled: 1-line block ×4, first 2 shown]
	ds_store_b64 v117, v[66:67]
	ds_store_2addr_b64 v118, v[104:105], v[106:107] offset0:14 offset1:15
	ds_store_2addr_b64 v118, v[108:109], v[110:111] offset0:16 offset1:17
	ds_store_b64 v118, v[76:77] offset:144
	ds_load_b64 v[104:105], v117
	s_wait_dscnt 0x0
	v_cmp_neq_f32_e32 vcc_lo, 0, v104
	v_cmp_neq_f32_e64 s1, 0, v105
	s_or_b32 s1, vcc_lo, s1
	s_delay_alu instid0(SALU_CYCLE_1)
	s_and_b32 exec_lo, exec_lo, s1
	s_cbranch_execz .LBB37_125
; %bb.120:
	v_cmp_ngt_f32_e64 s1, |v104|, |v105|
                                        ; implicit-def: $vgpr106_vgpr107
	s_and_saveexec_b32 s4, s1
	s_delay_alu instid0(SALU_CYCLE_1)
	s_xor_b32 s1, exec_lo, s4
	s_cbranch_execz .LBB37_122
; %bb.121:
	v_div_scale_f32 v106, null, v105, v105, v104
	v_div_scale_f32 v109, vcc_lo, v104, v105, v104
	s_delay_alu instid0(VALU_DEP_2) | instskip(SKIP_1) | instid1(TRANS32_DEP_1)
	v_rcp_f32_e32 v107, v106
	v_nop
	v_fma_f32 v108, -v106, v107, 1.0
	s_delay_alu instid0(VALU_DEP_1) | instskip(NEXT) | instid1(VALU_DEP_1)
	v_fmac_f32_e32 v107, v108, v107
	v_mul_f32_e32 v108, v109, v107
	s_delay_alu instid0(VALU_DEP_1) | instskip(NEXT) | instid1(VALU_DEP_1)
	v_fma_f32 v110, -v106, v108, v109
	v_fmac_f32_e32 v108, v110, v107
	s_delay_alu instid0(VALU_DEP_1) | instskip(NEXT) | instid1(VALU_DEP_1)
	v_fma_f32 v106, -v106, v108, v109
	v_div_fmas_f32 v106, v106, v107, v108
	s_delay_alu instid0(VALU_DEP_1) | instskip(NEXT) | instid1(VALU_DEP_1)
	v_div_fixup_f32 v106, v106, v105, v104
	v_fmac_f32_e32 v105, v104, v106
	s_delay_alu instid0(VALU_DEP_1) | instskip(SKIP_1) | instid1(VALU_DEP_2)
	v_div_scale_f32 v104, null, v105, v105, 1.0
	v_div_scale_f32 v109, vcc_lo, 1.0, v105, 1.0
	v_rcp_f32_e32 v107, v104
	v_nop
	s_delay_alu instid0(TRANS32_DEP_1) | instskip(NEXT) | instid1(VALU_DEP_1)
	v_fma_f32 v108, -v104, v107, 1.0
	v_fmac_f32_e32 v107, v108, v107
	s_delay_alu instid0(VALU_DEP_1) | instskip(NEXT) | instid1(VALU_DEP_1)
	v_mul_f32_e32 v108, v109, v107
	v_fma_f32 v110, -v104, v108, v109
	s_delay_alu instid0(VALU_DEP_1) | instskip(NEXT) | instid1(VALU_DEP_1)
	v_fmac_f32_e32 v108, v110, v107
	v_fma_f32 v104, -v104, v108, v109
	s_delay_alu instid0(VALU_DEP_1) | instskip(NEXT) | instid1(VALU_DEP_1)
	v_div_fmas_f32 v104, v104, v107, v108
	v_div_fixup_f32 v104, v104, v105, 1.0
	s_delay_alu instid0(VALU_DEP_1)
	v_mul_f32_e32 v106, v106, v104
	v_xor_b32_e32 v107, 0x80000000, v104
                                        ; implicit-def: $vgpr104_vgpr105
.LBB37_122:
	s_and_not1_saveexec_b32 s1, s1
	s_cbranch_execz .LBB37_124
; %bb.123:
	v_div_scale_f32 v106, null, v104, v104, v105
	v_div_scale_f32 v109, vcc_lo, v105, v104, v105
	s_delay_alu instid0(VALU_DEP_2) | instskip(SKIP_1) | instid1(TRANS32_DEP_1)
	v_rcp_f32_e32 v107, v106
	v_nop
	v_fma_f32 v108, -v106, v107, 1.0
	s_delay_alu instid0(VALU_DEP_1) | instskip(NEXT) | instid1(VALU_DEP_1)
	v_fmac_f32_e32 v107, v108, v107
	v_mul_f32_e32 v108, v109, v107
	s_delay_alu instid0(VALU_DEP_1) | instskip(NEXT) | instid1(VALU_DEP_1)
	v_fma_f32 v110, -v106, v108, v109
	v_fmac_f32_e32 v108, v110, v107
	s_delay_alu instid0(VALU_DEP_1) | instskip(NEXT) | instid1(VALU_DEP_1)
	v_fma_f32 v106, -v106, v108, v109
	v_div_fmas_f32 v106, v106, v107, v108
	s_delay_alu instid0(VALU_DEP_1) | instskip(NEXT) | instid1(VALU_DEP_1)
	v_div_fixup_f32 v107, v106, v104, v105
	v_fmac_f32_e32 v104, v105, v107
	s_delay_alu instid0(VALU_DEP_1) | instskip(NEXT) | instid1(VALU_DEP_1)
	v_div_scale_f32 v105, null, v104, v104, 1.0
	v_rcp_f32_e32 v106, v105
	v_nop
	s_delay_alu instid0(TRANS32_DEP_1) | instskip(NEXT) | instid1(VALU_DEP_1)
	v_fma_f32 v108, -v105, v106, 1.0
	v_fmac_f32_e32 v106, v108, v106
	v_div_scale_f32 v108, vcc_lo, 1.0, v104, 1.0
	s_delay_alu instid0(VALU_DEP_1) | instskip(NEXT) | instid1(VALU_DEP_1)
	v_mul_f32_e32 v109, v108, v106
	v_fma_f32 v110, -v105, v109, v108
	s_delay_alu instid0(VALU_DEP_1) | instskip(NEXT) | instid1(VALU_DEP_1)
	v_fmac_f32_e32 v109, v110, v106
	v_fma_f32 v105, -v105, v109, v108
	s_delay_alu instid0(VALU_DEP_1) | instskip(NEXT) | instid1(VALU_DEP_1)
	v_div_fmas_f32 v105, v105, v106, v109
	v_div_fixup_f32 v106, v105, v104, 1.0
	s_delay_alu instid0(VALU_DEP_1)
	v_mul_f32_e64 v107, v107, -v106
.LBB37_124:
	s_or_b32 exec_lo, exec_lo, s1
	ds_store_b64 v117, v[106:107]
.LBB37_125:
	s_or_b32 exec_lo, exec_lo, s2
	s_wait_dscnt 0x0
	s_barrier_signal -1
	s_barrier_wait -1
	ds_load_b64 v[104:105], v117
	s_mov_b32 s1, exec_lo
	v_cmpx_lt_u32_e32 13, v116
	s_cbranch_execz .LBB37_127
; %bb.126:
	s_wait_dscnt 0x0
	v_pk_mul_f32 v[106:107], v[104:105], v[66:67] op_sel:[1,1] op_sel_hi:[0,1]
	s_delay_alu instid0(VALU_DEP_1)
	v_pk_fma_f32 v[110:111], v[104:105], v[66:67], v[106:107] op_sel_hi:[1,0,1] neg_lo:[0,0,1] neg_hi:[0,0,1]
	v_pk_fma_f32 v[112:113], v[104:105], v[66:67], v[106:107] op_sel_hi:[1,0,1]
	ds_load_2addr_b64 v[106:109], v118 offset0:14 offset1:15
	v_dual_mov_b32 v66, v110 :: v_dual_mov_b32 v67, v113
	s_wait_dscnt 0x0
	v_pk_mul_f32 v[114:115], v[106:107], v[112:113] op_sel:[0,1]
	s_delay_alu instid0(VALU_DEP_1) | instskip(SKIP_1) | instid1(VALU_DEP_1)
	v_pk_fma_f32 v[120:121], v[106:107], v[110:111], v[114:115] op_sel:[0,0,1] op_sel_hi:[1,1,0] neg_lo:[0,0,1] neg_hi:[0,0,1]
	v_pk_fma_f32 v[106:107], v[106:107], v[110:111], v[114:115] op_sel:[0,0,1] op_sel_hi:[1,0,0]
	v_mov_b32_e32 v121, v107
	v_pk_mul_f32 v[106:107], v[108:109], v[112:113] op_sel:[0,1]
	s_delay_alu instid0(VALU_DEP_1) | instskip(SKIP_1) | instid1(VALU_DEP_1)
	v_pk_fma_f32 v[114:115], v[108:109], v[110:111], v[106:107] op_sel:[0,0,1] op_sel_hi:[1,1,0] neg_lo:[0,0,1] neg_hi:[0,0,1]
	v_pk_fma_f32 v[106:107], v[108:109], v[110:111], v[106:107] op_sel:[0,0,1] op_sel_hi:[1,0,0]
	v_mov_b32_e32 v115, v107
	ds_load_2addr_b64 v[106:109], v118 offset0:16 offset1:17
	v_pk_add_f32 v[68:69], v[68:69], v[120:121] neg_lo:[0,1] neg_hi:[0,1]
	v_pk_add_f32 v[64:65], v[64:65], v[114:115] neg_lo:[0,1] neg_hi:[0,1]
	s_wait_dscnt 0x0
	v_pk_mul_f32 v[114:115], v[106:107], v[112:113] op_sel:[0,1]
	s_delay_alu instid0(VALU_DEP_1) | instskip(SKIP_2) | instid1(VALU_DEP_2)
	v_pk_fma_f32 v[120:121], v[106:107], v[110:111], v[114:115] op_sel:[0,0,1] op_sel_hi:[1,1,0] neg_lo:[0,0,1] neg_hi:[0,0,1]
	v_pk_fma_f32 v[106:107], v[106:107], v[110:111], v[114:115] op_sel:[0,0,1] op_sel_hi:[1,0,0]
	v_dual_mul_f32 v114, v109, v113 :: v_dual_mov_b32 v106, v109
	v_dual_mov_b32 v121, v107 :: v_dual_mov_b32 v107, v108
	s_delay_alu instid0(VALU_DEP_2) | instskip(SKIP_1) | instid1(VALU_DEP_3)
	v_pk_fma_f32 v[114:115], v[108:109], v[66:67], v[114:115] op_sel_hi:[1,1,0] neg_lo:[0,0,1] neg_hi:[0,0,1]
	v_mul_f32_e32 v108, v109, v110
	v_pk_add_f32 v[74:75], v[74:75], v[120:121] neg_lo:[0,1] neg_hi:[0,1]
	s_delay_alu instid0(VALU_DEP_2) | instskip(NEXT) | instid1(VALU_DEP_1)
	v_pk_fma_f32 v[106:107], v[106:107], v[66:67], v[108:109] op_sel_hi:[1,1,0]
	v_mov_b32_e32 v115, v107
	ds_load_b64 v[106:107], v118 offset:144
	v_pk_add_f32 v[72:73], v[72:73], v[114:115] neg_lo:[0,1] neg_hi:[0,1]
	s_wait_dscnt 0x0
	v_pk_mul_f32 v[108:109], v[106:107], v[112:113] op_sel:[0,1]
	s_delay_alu instid0(VALU_DEP_1) | instskip(SKIP_1) | instid1(VALU_DEP_1)
	v_pk_fma_f32 v[112:113], v[106:107], v[110:111], v[108:109] op_sel:[0,0,1] op_sel_hi:[1,1,0] neg_lo:[0,0,1] neg_hi:[0,0,1]
	v_pk_fma_f32 v[106:107], v[106:107], v[110:111], v[108:109] op_sel:[0,0,1] op_sel_hi:[1,0,0]
	v_mov_b32_e32 v113, v107
	s_delay_alu instid0(VALU_DEP_1)
	v_pk_add_f32 v[76:77], v[76:77], v[112:113] neg_lo:[0,1] neg_hi:[0,1]
.LBB37_127:
	s_or_b32 exec_lo, exec_lo, s1
	s_delay_alu instid0(SALU_CYCLE_1)
	s_mov_b32 s2, exec_lo
	s_wait_dscnt 0x0
	s_barrier_signal -1
	s_barrier_wait -1
	v_cmpx_eq_u32_e32 14, v116
	s_cbranch_execz .LBB37_134
; %bb.128:
	ds_store_b64 v117, v[68:69]
	ds_store_2addr_b64 v118, v[64:65], v[74:75] offset0:15 offset1:16
	ds_store_2addr_b64 v118, v[72:73], v[76:77] offset0:17 offset1:18
	ds_load_b64 v[106:107], v117
	s_wait_dscnt 0x0
	v_cmp_neq_f32_e32 vcc_lo, 0, v106
	v_cmp_neq_f32_e64 s1, 0, v107
	s_or_b32 s1, vcc_lo, s1
	s_delay_alu instid0(SALU_CYCLE_1)
	s_and_b32 exec_lo, exec_lo, s1
	s_cbranch_execz .LBB37_134
; %bb.129:
	v_cmp_ngt_f32_e64 s1, |v106|, |v107|
                                        ; implicit-def: $vgpr108_vgpr109
	s_and_saveexec_b32 s4, s1
	s_delay_alu instid0(SALU_CYCLE_1)
	s_xor_b32 s1, exec_lo, s4
	s_cbranch_execz .LBB37_131
; %bb.130:
	v_div_scale_f32 v108, null, v107, v107, v106
	v_div_scale_f32 v111, vcc_lo, v106, v107, v106
	s_delay_alu instid0(VALU_DEP_2) | instskip(SKIP_1) | instid1(TRANS32_DEP_1)
	v_rcp_f32_e32 v109, v108
	v_nop
	v_fma_f32 v110, -v108, v109, 1.0
	s_delay_alu instid0(VALU_DEP_1) | instskip(NEXT) | instid1(VALU_DEP_1)
	v_fmac_f32_e32 v109, v110, v109
	v_mul_f32_e32 v110, v111, v109
	s_delay_alu instid0(VALU_DEP_1) | instskip(NEXT) | instid1(VALU_DEP_1)
	v_fma_f32 v112, -v108, v110, v111
	v_fmac_f32_e32 v110, v112, v109
	s_delay_alu instid0(VALU_DEP_1) | instskip(NEXT) | instid1(VALU_DEP_1)
	v_fma_f32 v108, -v108, v110, v111
	v_div_fmas_f32 v108, v108, v109, v110
	s_delay_alu instid0(VALU_DEP_1) | instskip(NEXT) | instid1(VALU_DEP_1)
	v_div_fixup_f32 v108, v108, v107, v106
	v_fmac_f32_e32 v107, v106, v108
	s_delay_alu instid0(VALU_DEP_1) | instskip(SKIP_1) | instid1(VALU_DEP_2)
	v_div_scale_f32 v106, null, v107, v107, 1.0
	v_div_scale_f32 v111, vcc_lo, 1.0, v107, 1.0
	v_rcp_f32_e32 v109, v106
	v_nop
	s_delay_alu instid0(TRANS32_DEP_1) | instskip(NEXT) | instid1(VALU_DEP_1)
	v_fma_f32 v110, -v106, v109, 1.0
	v_fmac_f32_e32 v109, v110, v109
	s_delay_alu instid0(VALU_DEP_1) | instskip(NEXT) | instid1(VALU_DEP_1)
	v_mul_f32_e32 v110, v111, v109
	v_fma_f32 v112, -v106, v110, v111
	s_delay_alu instid0(VALU_DEP_1) | instskip(NEXT) | instid1(VALU_DEP_1)
	v_fmac_f32_e32 v110, v112, v109
	v_fma_f32 v106, -v106, v110, v111
	s_delay_alu instid0(VALU_DEP_1) | instskip(NEXT) | instid1(VALU_DEP_1)
	v_div_fmas_f32 v106, v106, v109, v110
	v_div_fixup_f32 v106, v106, v107, 1.0
	s_delay_alu instid0(VALU_DEP_1)
	v_mul_f32_e32 v108, v108, v106
	v_xor_b32_e32 v109, 0x80000000, v106
                                        ; implicit-def: $vgpr106_vgpr107
.LBB37_131:
	s_and_not1_saveexec_b32 s1, s1
	s_cbranch_execz .LBB37_133
; %bb.132:
	v_div_scale_f32 v108, null, v106, v106, v107
	v_div_scale_f32 v111, vcc_lo, v107, v106, v107
	s_delay_alu instid0(VALU_DEP_2) | instskip(SKIP_1) | instid1(TRANS32_DEP_1)
	v_rcp_f32_e32 v109, v108
	v_nop
	v_fma_f32 v110, -v108, v109, 1.0
	s_delay_alu instid0(VALU_DEP_1) | instskip(NEXT) | instid1(VALU_DEP_1)
	v_fmac_f32_e32 v109, v110, v109
	v_mul_f32_e32 v110, v111, v109
	s_delay_alu instid0(VALU_DEP_1) | instskip(NEXT) | instid1(VALU_DEP_1)
	v_fma_f32 v112, -v108, v110, v111
	v_fmac_f32_e32 v110, v112, v109
	s_delay_alu instid0(VALU_DEP_1) | instskip(NEXT) | instid1(VALU_DEP_1)
	v_fma_f32 v108, -v108, v110, v111
	v_div_fmas_f32 v108, v108, v109, v110
	s_delay_alu instid0(VALU_DEP_1) | instskip(NEXT) | instid1(VALU_DEP_1)
	v_div_fixup_f32 v109, v108, v106, v107
	v_fmac_f32_e32 v106, v107, v109
	s_delay_alu instid0(VALU_DEP_1) | instskip(NEXT) | instid1(VALU_DEP_1)
	v_div_scale_f32 v107, null, v106, v106, 1.0
	v_rcp_f32_e32 v108, v107
	v_nop
	s_delay_alu instid0(TRANS32_DEP_1) | instskip(NEXT) | instid1(VALU_DEP_1)
	v_fma_f32 v110, -v107, v108, 1.0
	v_fmac_f32_e32 v108, v110, v108
	v_div_scale_f32 v110, vcc_lo, 1.0, v106, 1.0
	s_delay_alu instid0(VALU_DEP_1) | instskip(NEXT) | instid1(VALU_DEP_1)
	v_mul_f32_e32 v111, v110, v108
	v_fma_f32 v112, -v107, v111, v110
	s_delay_alu instid0(VALU_DEP_1) | instskip(NEXT) | instid1(VALU_DEP_1)
	v_fmac_f32_e32 v111, v112, v108
	v_fma_f32 v107, -v107, v111, v110
	s_delay_alu instid0(VALU_DEP_1) | instskip(NEXT) | instid1(VALU_DEP_1)
	v_div_fmas_f32 v107, v107, v108, v111
	v_div_fixup_f32 v108, v107, v106, 1.0
	s_delay_alu instid0(VALU_DEP_1)
	v_mul_f32_e64 v109, v109, -v108
.LBB37_133:
	s_or_b32 exec_lo, exec_lo, s1
	ds_store_b64 v117, v[108:109]
.LBB37_134:
	s_or_b32 exec_lo, exec_lo, s2
	s_wait_dscnt 0x0
	s_barrier_signal -1
	s_barrier_wait -1
	ds_load_b64 v[106:107], v117
	s_mov_b32 s1, exec_lo
	v_cmpx_lt_u32_e32 14, v116
	s_cbranch_execz .LBB37_136
; %bb.135:
	s_wait_dscnt 0x0
	v_pk_mul_f32 v[108:109], v[106:107], v[68:69] op_sel:[1,1] op_sel_hi:[0,1]
	s_delay_alu instid0(VALU_DEP_1)
	v_pk_fma_f32 v[112:113], v[106:107], v[68:69], v[108:109] op_sel_hi:[1,0,1] neg_lo:[0,0,1] neg_hi:[0,0,1]
	v_pk_fma_f32 v[114:115], v[106:107], v[68:69], v[108:109] op_sel_hi:[1,0,1]
	ds_load_2addr_b64 v[108:111], v118 offset0:15 offset1:16
	v_dual_mov_b32 v68, v112 :: v_dual_mov_b32 v69, v115
	s_wait_dscnt 0x0
	v_pk_mul_f32 v[120:121], v[108:109], v[114:115] op_sel:[0,1]
	s_delay_alu instid0(VALU_DEP_1) | instskip(SKIP_1) | instid1(VALU_DEP_1)
	v_pk_fma_f32 v[122:123], v[108:109], v[112:113], v[120:121] op_sel:[0,0,1] op_sel_hi:[1,1,0] neg_lo:[0,0,1] neg_hi:[0,0,1]
	v_pk_fma_f32 v[108:109], v[108:109], v[112:113], v[120:121] op_sel:[0,0,1] op_sel_hi:[1,0,0]
	v_mov_b32_e32 v123, v109
	v_pk_mul_f32 v[108:109], v[110:111], v[114:115] op_sel:[0,1]
	s_delay_alu instid0(VALU_DEP_1) | instskip(SKIP_1) | instid1(VALU_DEP_1)
	v_pk_fma_f32 v[120:121], v[110:111], v[112:113], v[108:109] op_sel:[0,0,1] op_sel_hi:[1,1,0] neg_lo:[0,0,1] neg_hi:[0,0,1]
	v_pk_fma_f32 v[108:109], v[110:111], v[112:113], v[108:109] op_sel:[0,0,1] op_sel_hi:[1,0,0]
	v_mov_b32_e32 v121, v109
	ds_load_2addr_b64 v[108:111], v118 offset0:17 offset1:18
	v_pk_add_f32 v[64:65], v[64:65], v[122:123] neg_lo:[0,1] neg_hi:[0,1]
	v_pk_add_f32 v[74:75], v[74:75], v[120:121] neg_lo:[0,1] neg_hi:[0,1]
	s_wait_dscnt 0x0
	v_pk_mul_f32 v[120:121], v[108:109], v[114:115] op_sel:[0,1]
	s_delay_alu instid0(VALU_DEP_1) | instskip(SKIP_1) | instid1(VALU_DEP_1)
	v_pk_fma_f32 v[122:123], v[108:109], v[112:113], v[120:121] op_sel:[0,0,1] op_sel_hi:[1,1,0] neg_lo:[0,0,1] neg_hi:[0,0,1]
	v_pk_fma_f32 v[108:109], v[108:109], v[112:113], v[120:121] op_sel:[0,0,1] op_sel_hi:[1,0,0]
	v_dual_mov_b32 v108, v111 :: v_dual_mov_b32 v123, v109
	v_mov_b32_e32 v109, v110
	s_delay_alu instid0(VALU_DEP_2) | instskip(NEXT) | instid1(VALU_DEP_2)
	v_pk_add_f32 v[72:73], v[72:73], v[122:123] neg_lo:[0,1] neg_hi:[0,1]
	v_pk_mul_f32 v[108:109], v[108:109], v[114:115] op_sel:[0,1]
	s_delay_alu instid0(VALU_DEP_1) | instskip(SKIP_1) | instid1(VALU_DEP_1)
	v_pk_fma_f32 v[114:115], v[110:111], v[112:113], v[108:109] neg_lo:[0,0,1] neg_hi:[0,0,1]
	v_pk_fma_f32 v[108:109], v[110:111], v[112:113], v[108:109] op_sel_hi:[1,0,1]
	v_mov_b32_e32 v115, v109
	s_delay_alu instid0(VALU_DEP_1)
	v_pk_add_f32 v[76:77], v[76:77], v[114:115] neg_lo:[0,1] neg_hi:[0,1]
.LBB37_136:
	s_or_b32 exec_lo, exec_lo, s1
	s_delay_alu instid0(SALU_CYCLE_1)
	s_mov_b32 s2, exec_lo
	s_wait_dscnt 0x0
	s_barrier_signal -1
	s_barrier_wait -1
	v_cmpx_eq_u32_e32 15, v116
	s_cbranch_execz .LBB37_143
; %bb.137:
	v_dual_mov_b32 v108, v74 :: v_dual_mov_b32 v109, v75
	v_dual_mov_b32 v110, v72 :: v_dual_mov_b32 v111, v73
	ds_store_b64 v117, v[64:65]
	ds_store_2addr_b64 v118, v[108:109], v[110:111] offset0:16 offset1:17
	ds_store_b64 v118, v[76:77] offset:144
	ds_load_b64 v[108:109], v117
	s_wait_dscnt 0x0
	v_cmp_neq_f32_e32 vcc_lo, 0, v108
	v_cmp_neq_f32_e64 s1, 0, v109
	s_or_b32 s1, vcc_lo, s1
	s_delay_alu instid0(SALU_CYCLE_1)
	s_and_b32 exec_lo, exec_lo, s1
	s_cbranch_execz .LBB37_143
; %bb.138:
	v_cmp_ngt_f32_e64 s1, |v108|, |v109|
                                        ; implicit-def: $vgpr110_vgpr111
	s_and_saveexec_b32 s4, s1
	s_delay_alu instid0(SALU_CYCLE_1)
	s_xor_b32 s1, exec_lo, s4
	s_cbranch_execz .LBB37_140
; %bb.139:
	v_div_scale_f32 v110, null, v109, v109, v108
	v_div_scale_f32 v113, vcc_lo, v108, v109, v108
	s_delay_alu instid0(VALU_DEP_2) | instskip(SKIP_1) | instid1(TRANS32_DEP_1)
	v_rcp_f32_e32 v111, v110
	v_nop
	v_fma_f32 v112, -v110, v111, 1.0
	s_delay_alu instid0(VALU_DEP_1) | instskip(NEXT) | instid1(VALU_DEP_1)
	v_fmac_f32_e32 v111, v112, v111
	v_mul_f32_e32 v112, v113, v111
	s_delay_alu instid0(VALU_DEP_1) | instskip(NEXT) | instid1(VALU_DEP_1)
	v_fma_f32 v114, -v110, v112, v113
	v_fmac_f32_e32 v112, v114, v111
	s_delay_alu instid0(VALU_DEP_1) | instskip(NEXT) | instid1(VALU_DEP_1)
	v_fma_f32 v110, -v110, v112, v113
	v_div_fmas_f32 v110, v110, v111, v112
	s_delay_alu instid0(VALU_DEP_1) | instskip(NEXT) | instid1(VALU_DEP_1)
	v_div_fixup_f32 v110, v110, v109, v108
	v_fmac_f32_e32 v109, v108, v110
	s_delay_alu instid0(VALU_DEP_1) | instskip(SKIP_1) | instid1(VALU_DEP_2)
	v_div_scale_f32 v108, null, v109, v109, 1.0
	v_div_scale_f32 v113, vcc_lo, 1.0, v109, 1.0
	v_rcp_f32_e32 v111, v108
	v_nop
	s_delay_alu instid0(TRANS32_DEP_1) | instskip(NEXT) | instid1(VALU_DEP_1)
	v_fma_f32 v112, -v108, v111, 1.0
	v_fmac_f32_e32 v111, v112, v111
	s_delay_alu instid0(VALU_DEP_1) | instskip(NEXT) | instid1(VALU_DEP_1)
	v_mul_f32_e32 v112, v113, v111
	v_fma_f32 v114, -v108, v112, v113
	s_delay_alu instid0(VALU_DEP_1) | instskip(NEXT) | instid1(VALU_DEP_1)
	v_fmac_f32_e32 v112, v114, v111
	v_fma_f32 v108, -v108, v112, v113
	s_delay_alu instid0(VALU_DEP_1) | instskip(NEXT) | instid1(VALU_DEP_1)
	v_div_fmas_f32 v108, v108, v111, v112
	v_div_fixup_f32 v108, v108, v109, 1.0
	s_delay_alu instid0(VALU_DEP_1)
	v_mul_f32_e32 v110, v110, v108
	v_xor_b32_e32 v111, 0x80000000, v108
                                        ; implicit-def: $vgpr108_vgpr109
.LBB37_140:
	s_and_not1_saveexec_b32 s1, s1
	s_cbranch_execz .LBB37_142
; %bb.141:
	v_div_scale_f32 v110, null, v108, v108, v109
	v_div_scale_f32 v113, vcc_lo, v109, v108, v109
	s_delay_alu instid0(VALU_DEP_2) | instskip(SKIP_1) | instid1(TRANS32_DEP_1)
	v_rcp_f32_e32 v111, v110
	v_nop
	v_fma_f32 v112, -v110, v111, 1.0
	s_delay_alu instid0(VALU_DEP_1) | instskip(NEXT) | instid1(VALU_DEP_1)
	v_fmac_f32_e32 v111, v112, v111
	v_mul_f32_e32 v112, v113, v111
	s_delay_alu instid0(VALU_DEP_1) | instskip(NEXT) | instid1(VALU_DEP_1)
	v_fma_f32 v114, -v110, v112, v113
	v_fmac_f32_e32 v112, v114, v111
	s_delay_alu instid0(VALU_DEP_1) | instskip(NEXT) | instid1(VALU_DEP_1)
	v_fma_f32 v110, -v110, v112, v113
	v_div_fmas_f32 v110, v110, v111, v112
	s_delay_alu instid0(VALU_DEP_1) | instskip(NEXT) | instid1(VALU_DEP_1)
	v_div_fixup_f32 v111, v110, v108, v109
	v_fmac_f32_e32 v108, v109, v111
	s_delay_alu instid0(VALU_DEP_1) | instskip(NEXT) | instid1(VALU_DEP_1)
	v_div_scale_f32 v109, null, v108, v108, 1.0
	v_rcp_f32_e32 v110, v109
	v_nop
	s_delay_alu instid0(TRANS32_DEP_1) | instskip(NEXT) | instid1(VALU_DEP_1)
	v_fma_f32 v112, -v109, v110, 1.0
	v_fmac_f32_e32 v110, v112, v110
	v_div_scale_f32 v112, vcc_lo, 1.0, v108, 1.0
	s_delay_alu instid0(VALU_DEP_1) | instskip(NEXT) | instid1(VALU_DEP_1)
	v_mul_f32_e32 v113, v112, v110
	v_fma_f32 v114, -v109, v113, v112
	s_delay_alu instid0(VALU_DEP_1) | instskip(NEXT) | instid1(VALU_DEP_1)
	v_fmac_f32_e32 v113, v114, v110
	v_fma_f32 v109, -v109, v113, v112
	s_delay_alu instid0(VALU_DEP_1) | instskip(NEXT) | instid1(VALU_DEP_1)
	v_div_fmas_f32 v109, v109, v110, v113
	v_div_fixup_f32 v110, v109, v108, 1.0
	s_delay_alu instid0(VALU_DEP_1)
	v_mul_f32_e64 v111, v111, -v110
.LBB37_142:
	s_or_b32 exec_lo, exec_lo, s1
	ds_store_b64 v117, v[110:111]
.LBB37_143:
	s_or_b32 exec_lo, exec_lo, s2
	s_wait_dscnt 0x0
	s_barrier_signal -1
	s_barrier_wait -1
	ds_load_b64 v[108:109], v117
	s_mov_b32 s1, exec_lo
	v_cmpx_lt_u32_e32 15, v116
	s_cbranch_execz .LBB37_145
; %bb.144:
	s_wait_dscnt 0x0
	v_pk_mul_f32 v[110:111], v[108:109], v[64:65] op_sel:[1,1] op_sel_hi:[0,1]
	s_delay_alu instid0(VALU_DEP_1)
	v_pk_fma_f32 v[114:115], v[108:109], v[64:65], v[110:111] op_sel_hi:[1,0,1] neg_lo:[0,0,1] neg_hi:[0,0,1]
	v_pk_fma_f32 v[120:121], v[108:109], v[64:65], v[110:111] op_sel_hi:[1,0,1]
	ds_load_2addr_b64 v[110:113], v118 offset0:16 offset1:17
	v_dual_mov_b32 v64, v114 :: v_dual_mov_b32 v65, v121
	s_wait_dscnt 0x0
	v_pk_mul_f32 v[122:123], v[110:111], v[120:121] op_sel:[0,1]
	s_delay_alu instid0(VALU_DEP_1) | instskip(SKIP_1) | instid1(VALU_DEP_1)
	v_pk_fma_f32 v[124:125], v[110:111], v[114:115], v[122:123] op_sel:[0,0,1] op_sel_hi:[1,1,0] neg_lo:[0,0,1] neg_hi:[0,0,1]
	v_pk_fma_f32 v[110:111], v[110:111], v[114:115], v[122:123] op_sel:[0,0,1] op_sel_hi:[1,0,0]
	v_mov_b32_e32 v125, v111
	v_pk_mul_f32 v[110:111], v[112:113], v[120:121] op_sel:[0,1]
	s_delay_alu instid0(VALU_DEP_1) | instskip(SKIP_1) | instid1(VALU_DEP_1)
	v_pk_fma_f32 v[122:123], v[112:113], v[114:115], v[110:111] op_sel:[0,0,1] op_sel_hi:[1,1,0] neg_lo:[0,0,1] neg_hi:[0,0,1]
	v_pk_fma_f32 v[110:111], v[112:113], v[114:115], v[110:111] op_sel:[0,0,1] op_sel_hi:[1,0,0]
	v_mov_b32_e32 v123, v111
	ds_load_b64 v[110:111], v118 offset:144
	v_pk_add_f32 v[74:75], v[74:75], v[124:125] neg_lo:[0,1] neg_hi:[0,1]
	v_pk_add_f32 v[72:73], v[72:73], v[122:123] neg_lo:[0,1] neg_hi:[0,1]
	s_wait_dscnt 0x0
	v_pk_mul_f32 v[112:113], v[110:111], v[120:121] op_sel:[1,1] op_sel_hi:[0,1]
	s_delay_alu instid0(VALU_DEP_1) | instskip(SKIP_1) | instid1(VALU_DEP_1)
	v_pk_fma_f32 v[120:121], v[110:111], v[114:115], v[112:113] neg_lo:[0,0,1] neg_hi:[0,0,1]
	v_pk_fma_f32 v[110:111], v[110:111], v[114:115], v[112:113] op_sel_hi:[1,0,1]
	v_mov_b32_e32 v121, v111
	s_delay_alu instid0(VALU_DEP_1)
	v_pk_add_f32 v[76:77], v[76:77], v[120:121] neg_lo:[0,1] neg_hi:[0,1]
.LBB37_145:
	s_or_b32 exec_lo, exec_lo, s1
	s_delay_alu instid0(SALU_CYCLE_1)
	s_mov_b32 s2, exec_lo
	s_wait_dscnt 0x0
	s_barrier_signal -1
	s_barrier_wait -1
	v_cmpx_eq_u32_e32 16, v116
	s_cbranch_execz .LBB37_152
; %bb.146:
	ds_store_b64 v117, v[74:75]
	ds_store_2addr_b64 v118, v[72:73], v[76:77] offset0:17 offset1:18
	ds_load_b64 v[110:111], v117
	s_wait_dscnt 0x0
	v_cmp_neq_f32_e32 vcc_lo, 0, v110
	v_cmp_neq_f32_e64 s1, 0, v111
	s_or_b32 s1, vcc_lo, s1
	s_delay_alu instid0(SALU_CYCLE_1)
	s_and_b32 exec_lo, exec_lo, s1
	s_cbranch_execz .LBB37_152
; %bb.147:
	v_cmp_ngt_f32_e64 s1, |v110|, |v111|
                                        ; implicit-def: $vgpr112_vgpr113
	s_and_saveexec_b32 s4, s1
	s_delay_alu instid0(SALU_CYCLE_1)
	s_xor_b32 s1, exec_lo, s4
	s_cbranch_execz .LBB37_149
; %bb.148:
	v_div_scale_f32 v112, null, v111, v111, v110
	v_div_scale_f32 v115, vcc_lo, v110, v111, v110
	s_delay_alu instid0(VALU_DEP_2) | instskip(SKIP_1) | instid1(TRANS32_DEP_1)
	v_rcp_f32_e32 v113, v112
	v_nop
	v_fma_f32 v114, -v112, v113, 1.0
	s_delay_alu instid0(VALU_DEP_1) | instskip(NEXT) | instid1(VALU_DEP_1)
	v_fmac_f32_e32 v113, v114, v113
	v_mul_f32_e32 v114, v115, v113
	s_delay_alu instid0(VALU_DEP_1) | instskip(NEXT) | instid1(VALU_DEP_1)
	v_fma_f32 v119, -v112, v114, v115
	v_fmac_f32_e32 v114, v119, v113
	s_delay_alu instid0(VALU_DEP_1) | instskip(NEXT) | instid1(VALU_DEP_1)
	v_fma_f32 v112, -v112, v114, v115
	v_div_fmas_f32 v112, v112, v113, v114
	s_delay_alu instid0(VALU_DEP_1) | instskip(NEXT) | instid1(VALU_DEP_1)
	v_div_fixup_f32 v112, v112, v111, v110
	v_fmac_f32_e32 v111, v110, v112
	s_delay_alu instid0(VALU_DEP_1) | instskip(SKIP_1) | instid1(VALU_DEP_2)
	v_div_scale_f32 v110, null, v111, v111, 1.0
	v_div_scale_f32 v115, vcc_lo, 1.0, v111, 1.0
	v_rcp_f32_e32 v113, v110
	v_nop
	s_delay_alu instid0(TRANS32_DEP_1) | instskip(NEXT) | instid1(VALU_DEP_1)
	v_fma_f32 v114, -v110, v113, 1.0
	v_fmac_f32_e32 v113, v114, v113
	s_delay_alu instid0(VALU_DEP_1) | instskip(NEXT) | instid1(VALU_DEP_1)
	v_mul_f32_e32 v114, v115, v113
	v_fma_f32 v119, -v110, v114, v115
	s_delay_alu instid0(VALU_DEP_1) | instskip(NEXT) | instid1(VALU_DEP_1)
	v_fmac_f32_e32 v114, v119, v113
	v_fma_f32 v110, -v110, v114, v115
	s_delay_alu instid0(VALU_DEP_1) | instskip(NEXT) | instid1(VALU_DEP_1)
	v_div_fmas_f32 v110, v110, v113, v114
	v_div_fixup_f32 v110, v110, v111, 1.0
	s_delay_alu instid0(VALU_DEP_1)
	v_mul_f32_e32 v112, v112, v110
	v_xor_b32_e32 v113, 0x80000000, v110
                                        ; implicit-def: $vgpr110_vgpr111
.LBB37_149:
	s_and_not1_saveexec_b32 s1, s1
	s_cbranch_execz .LBB37_151
; %bb.150:
	v_div_scale_f32 v112, null, v110, v110, v111
	v_div_scale_f32 v115, vcc_lo, v111, v110, v111
	s_delay_alu instid0(VALU_DEP_2) | instskip(SKIP_1) | instid1(TRANS32_DEP_1)
	v_rcp_f32_e32 v113, v112
	v_nop
	v_fma_f32 v114, -v112, v113, 1.0
	s_delay_alu instid0(VALU_DEP_1) | instskip(NEXT) | instid1(VALU_DEP_1)
	v_fmac_f32_e32 v113, v114, v113
	v_mul_f32_e32 v114, v115, v113
	s_delay_alu instid0(VALU_DEP_1) | instskip(NEXT) | instid1(VALU_DEP_1)
	v_fma_f32 v119, -v112, v114, v115
	v_fmac_f32_e32 v114, v119, v113
	s_delay_alu instid0(VALU_DEP_1) | instskip(NEXT) | instid1(VALU_DEP_1)
	v_fma_f32 v112, -v112, v114, v115
	v_div_fmas_f32 v112, v112, v113, v114
	s_delay_alu instid0(VALU_DEP_1) | instskip(NEXT) | instid1(VALU_DEP_1)
	v_div_fixup_f32 v113, v112, v110, v111
	v_fmac_f32_e32 v110, v111, v113
	s_delay_alu instid0(VALU_DEP_1) | instskip(NEXT) | instid1(VALU_DEP_1)
	v_div_scale_f32 v111, null, v110, v110, 1.0
	v_rcp_f32_e32 v112, v111
	v_nop
	s_delay_alu instid0(TRANS32_DEP_1) | instskip(NEXT) | instid1(VALU_DEP_1)
	v_fma_f32 v114, -v111, v112, 1.0
	v_fmac_f32_e32 v112, v114, v112
	v_div_scale_f32 v114, vcc_lo, 1.0, v110, 1.0
	s_delay_alu instid0(VALU_DEP_1) | instskip(NEXT) | instid1(VALU_DEP_1)
	v_mul_f32_e32 v115, v114, v112
	v_fma_f32 v119, -v111, v115, v114
	s_delay_alu instid0(VALU_DEP_1) | instskip(NEXT) | instid1(VALU_DEP_1)
	v_fmac_f32_e32 v115, v119, v112
	v_fma_f32 v111, -v111, v115, v114
	s_delay_alu instid0(VALU_DEP_1) | instskip(NEXT) | instid1(VALU_DEP_1)
	v_div_fmas_f32 v111, v111, v112, v115
	v_div_fixup_f32 v112, v111, v110, 1.0
	s_delay_alu instid0(VALU_DEP_1)
	v_mul_f32_e64 v113, v113, -v112
.LBB37_151:
	s_or_b32 exec_lo, exec_lo, s1
	ds_store_b64 v117, v[112:113]
.LBB37_152:
	s_or_b32 exec_lo, exec_lo, s2
	s_wait_dscnt 0x0
	s_barrier_signal -1
	s_barrier_wait -1
	ds_load_b64 v[110:111], v117
	s_mov_b32 s1, exec_lo
	v_cmpx_lt_u32_e32 16, v116
	s_cbranch_execz .LBB37_154
; %bb.153:
	ds_load_2addr_b64 v[112:115], v118 offset0:17 offset1:18
	s_wait_dscnt 0x1
	v_pk_mul_f32 v[120:121], v[110:111], v[74:75] op_sel:[1,1] op_sel_hi:[0,1]
	s_delay_alu instid0(VALU_DEP_1) | instskip(SKIP_3) | instid1(VALU_DEP_3)
	v_pk_fma_f32 v[122:123], v[110:111], v[74:75], v[120:121] op_sel_hi:[1,0,1]
	v_pk_fma_f32 v[74:75], v[110:111], v[74:75], v[120:121] op_sel_hi:[1,0,1] neg_lo:[0,0,1] neg_hi:[0,0,1]
	s_wait_dscnt 0x0
	v_dual_mov_b32 v124, v115 :: v_dual_mov_b32 v125, v114
	v_pk_mul_f32 v[120:121], v[112:113], v[122:123] op_sel:[0,1]
	s_delay_alu instid0(VALU_DEP_2) | instskip(NEXT) | instid1(VALU_DEP_2)
	v_pk_mul_f32 v[124:125], v[124:125], v[122:123] op_sel:[0,1]
	v_pk_fma_f32 v[126:127], v[112:113], v[74:75], v[120:121] op_sel:[0,0,1] op_sel_hi:[1,0,0]
	v_pk_fma_f32 v[112:113], v[112:113], v[74:75], v[120:121] op_sel:[0,0,1] op_sel_hi:[1,1,0] neg_lo:[0,0,1] neg_hi:[0,0,1]
	s_delay_alu instid0(VALU_DEP_3) | instskip(SKIP_1) | instid1(VALU_DEP_4)
	v_pk_fma_f32 v[128:129], v[114:115], v[74:75], v[124:125] op_sel_hi:[1,0,1]
	v_pk_fma_f32 v[114:115], v[114:115], v[74:75], v[124:125] neg_lo:[0,0,1] neg_hi:[0,0,1]
	v_dual_mov_b32 v113, v127 :: v_dual_mov_b32 v75, v123
	s_delay_alu instid0(VALU_DEP_3) | instskip(NEXT) | instid1(VALU_DEP_2)
	v_mov_b32_e32 v115, v129
	v_pk_add_f32 v[72:73], v[72:73], v[112:113] neg_lo:[0,1] neg_hi:[0,1]
	s_delay_alu instid0(VALU_DEP_2)
	v_pk_add_f32 v[76:77], v[76:77], v[114:115] neg_lo:[0,1] neg_hi:[0,1]
.LBB37_154:
	s_or_b32 exec_lo, exec_lo, s1
	s_delay_alu instid0(SALU_CYCLE_1)
	s_mov_b32 s2, exec_lo
	s_wait_dscnt 0x0
	s_barrier_signal -1
	s_barrier_wait -1
	v_cmpx_eq_u32_e32 17, v116
	s_cbranch_execz .LBB37_161
; %bb.155:
	ds_store_b64 v117, v[72:73]
	ds_store_b64 v118, v[76:77] offset:144
	ds_load_b64 v[112:113], v117
	s_wait_dscnt 0x0
	v_cmp_neq_f32_e32 vcc_lo, 0, v112
	v_cmp_neq_f32_e64 s1, 0, v113
	s_or_b32 s1, vcc_lo, s1
	s_delay_alu instid0(SALU_CYCLE_1)
	s_and_b32 exec_lo, exec_lo, s1
	s_cbranch_execz .LBB37_161
; %bb.156:
	v_cmp_ngt_f32_e64 s1, |v112|, |v113|
                                        ; implicit-def: $vgpr114_vgpr115
	s_and_saveexec_b32 s4, s1
	s_delay_alu instid0(SALU_CYCLE_1)
	s_xor_b32 s1, exec_lo, s4
	s_cbranch_execz .LBB37_158
; %bb.157:
	v_div_scale_f32 v114, null, v113, v113, v112
	v_div_scale_f32 v120, vcc_lo, v112, v113, v112
	s_delay_alu instid0(VALU_DEP_2) | instskip(SKIP_1) | instid1(TRANS32_DEP_1)
	v_rcp_f32_e32 v115, v114
	v_nop
	v_fma_f32 v119, -v114, v115, 1.0
	s_delay_alu instid0(VALU_DEP_1) | instskip(NEXT) | instid1(VALU_DEP_1)
	v_fmac_f32_e32 v115, v119, v115
	v_mul_f32_e32 v119, v120, v115
	s_delay_alu instid0(VALU_DEP_1) | instskip(NEXT) | instid1(VALU_DEP_1)
	v_fma_f32 v121, -v114, v119, v120
	v_fmac_f32_e32 v119, v121, v115
	s_delay_alu instid0(VALU_DEP_1) | instskip(NEXT) | instid1(VALU_DEP_1)
	v_fma_f32 v114, -v114, v119, v120
	v_div_fmas_f32 v114, v114, v115, v119
	s_delay_alu instid0(VALU_DEP_1) | instskip(NEXT) | instid1(VALU_DEP_1)
	v_div_fixup_f32 v114, v114, v113, v112
	v_fmac_f32_e32 v113, v112, v114
	s_delay_alu instid0(VALU_DEP_1) | instskip(SKIP_1) | instid1(VALU_DEP_2)
	v_div_scale_f32 v112, null, v113, v113, 1.0
	v_div_scale_f32 v120, vcc_lo, 1.0, v113, 1.0
	v_rcp_f32_e32 v115, v112
	v_nop
	s_delay_alu instid0(TRANS32_DEP_1) | instskip(NEXT) | instid1(VALU_DEP_1)
	v_fma_f32 v119, -v112, v115, 1.0
	v_fmac_f32_e32 v115, v119, v115
	s_delay_alu instid0(VALU_DEP_1) | instskip(NEXT) | instid1(VALU_DEP_1)
	v_mul_f32_e32 v119, v120, v115
	v_fma_f32 v121, -v112, v119, v120
	s_delay_alu instid0(VALU_DEP_1) | instskip(NEXT) | instid1(VALU_DEP_1)
	v_fmac_f32_e32 v119, v121, v115
	v_fma_f32 v112, -v112, v119, v120
	s_delay_alu instid0(VALU_DEP_1) | instskip(NEXT) | instid1(VALU_DEP_1)
	v_div_fmas_f32 v112, v112, v115, v119
	v_div_fixup_f32 v112, v112, v113, 1.0
	s_delay_alu instid0(VALU_DEP_1)
	v_mul_f32_e32 v114, v114, v112
	v_xor_b32_e32 v115, 0x80000000, v112
                                        ; implicit-def: $vgpr112_vgpr113
.LBB37_158:
	s_and_not1_saveexec_b32 s1, s1
	s_cbranch_execz .LBB37_160
; %bb.159:
	v_div_scale_f32 v114, null, v112, v112, v113
	v_div_scale_f32 v120, vcc_lo, v113, v112, v113
	s_delay_alu instid0(VALU_DEP_2) | instskip(SKIP_1) | instid1(TRANS32_DEP_1)
	v_rcp_f32_e32 v115, v114
	v_nop
	v_fma_f32 v119, -v114, v115, 1.0
	s_delay_alu instid0(VALU_DEP_1) | instskip(NEXT) | instid1(VALU_DEP_1)
	v_fmac_f32_e32 v115, v119, v115
	v_mul_f32_e32 v119, v120, v115
	s_delay_alu instid0(VALU_DEP_1) | instskip(NEXT) | instid1(VALU_DEP_1)
	v_fma_f32 v121, -v114, v119, v120
	v_fmac_f32_e32 v119, v121, v115
	s_delay_alu instid0(VALU_DEP_1) | instskip(NEXT) | instid1(VALU_DEP_1)
	v_fma_f32 v114, -v114, v119, v120
	v_div_fmas_f32 v114, v114, v115, v119
	s_delay_alu instid0(VALU_DEP_1) | instskip(NEXT) | instid1(VALU_DEP_1)
	v_div_fixup_f32 v115, v114, v112, v113
	v_fmac_f32_e32 v112, v113, v115
	s_delay_alu instid0(VALU_DEP_1) | instskip(NEXT) | instid1(VALU_DEP_1)
	v_div_scale_f32 v113, null, v112, v112, 1.0
	v_rcp_f32_e32 v114, v113
	v_nop
	s_delay_alu instid0(TRANS32_DEP_1) | instskip(NEXT) | instid1(VALU_DEP_1)
	v_fma_f32 v119, -v113, v114, 1.0
	v_fmac_f32_e32 v114, v119, v114
	v_div_scale_f32 v119, vcc_lo, 1.0, v112, 1.0
	s_delay_alu instid0(VALU_DEP_1) | instskip(NEXT) | instid1(VALU_DEP_1)
	v_mul_f32_e32 v120, v119, v114
	v_fma_f32 v121, -v113, v120, v119
	s_delay_alu instid0(VALU_DEP_1) | instskip(NEXT) | instid1(VALU_DEP_1)
	v_fmac_f32_e32 v120, v121, v114
	v_fma_f32 v113, -v113, v120, v119
	s_delay_alu instid0(VALU_DEP_1) | instskip(NEXT) | instid1(VALU_DEP_1)
	v_div_fmas_f32 v113, v113, v114, v120
	v_div_fixup_f32 v114, v113, v112, 1.0
	s_delay_alu instid0(VALU_DEP_1)
	v_mul_f32_e64 v115, v115, -v114
.LBB37_160:
	s_or_b32 exec_lo, exec_lo, s1
	ds_store_b64 v117, v[114:115]
.LBB37_161:
	s_or_b32 exec_lo, exec_lo, s2
	s_wait_dscnt 0x0
	s_barrier_signal -1
	s_barrier_wait -1
	ds_load_b64 v[112:113], v117
	s_mov_b32 s1, exec_lo
	v_cmpx_lt_u32_e32 17, v116
	s_cbranch_execz .LBB37_163
; %bb.162:
	ds_load_b64 v[114:115], v118 offset:144
	s_wait_dscnt 0x1
	v_pk_mul_f32 v[118:119], v[112:113], v[72:73] op_sel:[1,1] op_sel_hi:[0,1]
	s_delay_alu instid0(VALU_DEP_1) | instskip(SKIP_2) | instid1(VALU_DEP_2)
	v_pk_fma_f32 v[120:121], v[112:113], v[72:73], v[118:119] op_sel_hi:[1,0,1]
	v_pk_fma_f32 v[72:73], v[112:113], v[72:73], v[118:119] op_sel_hi:[1,0,1] neg_lo:[0,0,1] neg_hi:[0,0,1]
	s_wait_dscnt 0x0
	v_pk_mul_f32 v[118:119], v[114:115], v[120:121] op_sel:[1,1] op_sel_hi:[0,1]
	s_delay_alu instid0(VALU_DEP_1) | instskip(SKIP_1) | instid1(VALU_DEP_2)
	v_pk_fma_f32 v[122:123], v[114:115], v[72:73], v[118:119] op_sel_hi:[1,0,1]
	v_pk_fma_f32 v[114:115], v[114:115], v[72:73], v[118:119] neg_lo:[0,0,1] neg_hi:[0,0,1]
	v_dual_mov_b32 v73, v121 :: v_dual_mov_b32 v115, v123
	s_delay_alu instid0(VALU_DEP_1)
	v_pk_add_f32 v[76:77], v[76:77], v[114:115] neg_lo:[0,1] neg_hi:[0,1]
.LBB37_163:
	s_or_b32 exec_lo, exec_lo, s1
	s_delay_alu instid0(SALU_CYCLE_1)
	s_mov_b32 s2, exec_lo
	s_wait_dscnt 0x0
	s_barrier_signal -1
	s_barrier_wait -1
	v_cmpx_eq_u32_e32 18, v116
	s_cbranch_execz .LBB37_170
; %bb.164:
	v_cmp_neq_f32_e32 vcc_lo, 0, v76
	v_cmp_neq_f32_e64 s1, 0, v77
	ds_store_b64 v117, v[76:77]
	s_or_b32 s1, vcc_lo, s1
	s_delay_alu instid0(SALU_CYCLE_1)
	s_and_b32 exec_lo, exec_lo, s1
	s_cbranch_execz .LBB37_170
; %bb.165:
	v_cmp_ngt_f32_e64 s1, |v76|, |v77|
                                        ; implicit-def: $vgpr114_vgpr115
	s_and_saveexec_b32 s4, s1
	s_delay_alu instid0(SALU_CYCLE_1)
	s_xor_b32 s1, exec_lo, s4
	s_cbranch_execz .LBB37_167
; %bb.166:
	v_div_scale_f32 v114, null, v77, v77, v76
	v_div_scale_f32 v119, vcc_lo, v76, v77, v76
	s_delay_alu instid0(VALU_DEP_2) | instskip(SKIP_1) | instid1(TRANS32_DEP_1)
	v_rcp_f32_e32 v115, v114
	v_nop
	v_fma_f32 v118, -v114, v115, 1.0
	s_delay_alu instid0(VALU_DEP_1) | instskip(NEXT) | instid1(VALU_DEP_1)
	v_fmac_f32_e32 v115, v118, v115
	v_mul_f32_e32 v118, v119, v115
	s_delay_alu instid0(VALU_DEP_1) | instskip(NEXT) | instid1(VALU_DEP_1)
	v_fma_f32 v120, -v114, v118, v119
	v_fmac_f32_e32 v118, v120, v115
	s_delay_alu instid0(VALU_DEP_1) | instskip(NEXT) | instid1(VALU_DEP_1)
	v_fma_f32 v114, -v114, v118, v119
	v_div_fmas_f32 v114, v114, v115, v118
	s_delay_alu instid0(VALU_DEP_1) | instskip(NEXT) | instid1(VALU_DEP_1)
	v_div_fixup_f32 v114, v114, v77, v76
	v_fma_f32 v115, v76, v114, v77
	s_delay_alu instid0(VALU_DEP_1) | instskip(SKIP_1) | instid1(VALU_DEP_2)
	v_div_scale_f32 v118, null, v115, v115, 1.0
	v_div_scale_f32 v121, vcc_lo, 1.0, v115, 1.0
	v_rcp_f32_e32 v119, v118
	v_nop
	s_delay_alu instid0(TRANS32_DEP_1) | instskip(NEXT) | instid1(VALU_DEP_1)
	v_fma_f32 v120, -v118, v119, 1.0
	v_fmac_f32_e32 v119, v120, v119
	s_delay_alu instid0(VALU_DEP_1) | instskip(NEXT) | instid1(VALU_DEP_1)
	v_mul_f32_e32 v120, v121, v119
	v_fma_f32 v122, -v118, v120, v121
	s_delay_alu instid0(VALU_DEP_1) | instskip(NEXT) | instid1(VALU_DEP_1)
	v_fmac_f32_e32 v120, v122, v119
	v_fma_f32 v118, -v118, v120, v121
	s_delay_alu instid0(VALU_DEP_1) | instskip(NEXT) | instid1(VALU_DEP_1)
	v_div_fmas_f32 v118, v118, v119, v120
	v_div_fixup_f32 v115, v118, v115, 1.0
	s_delay_alu instid0(VALU_DEP_1)
	v_mul_f32_e32 v114, v114, v115
	v_xor_b32_e32 v115, 0x80000000, v115
.LBB37_167:
	s_and_not1_saveexec_b32 s1, s1
	s_cbranch_execz .LBB37_169
; %bb.168:
	v_div_scale_f32 v114, null, v76, v76, v77
	v_div_scale_f32 v119, vcc_lo, v77, v76, v77
	s_delay_alu instid0(VALU_DEP_2) | instskip(SKIP_1) | instid1(TRANS32_DEP_1)
	v_rcp_f32_e32 v115, v114
	v_nop
	v_fma_f32 v118, -v114, v115, 1.0
	s_delay_alu instid0(VALU_DEP_1) | instskip(NEXT) | instid1(VALU_DEP_1)
	v_fmac_f32_e32 v115, v118, v115
	v_mul_f32_e32 v118, v119, v115
	s_delay_alu instid0(VALU_DEP_1) | instskip(NEXT) | instid1(VALU_DEP_1)
	v_fma_f32 v120, -v114, v118, v119
	v_fmac_f32_e32 v118, v120, v115
	s_delay_alu instid0(VALU_DEP_1) | instskip(NEXT) | instid1(VALU_DEP_1)
	v_fma_f32 v114, -v114, v118, v119
	v_div_fmas_f32 v114, v114, v115, v118
	s_delay_alu instid0(VALU_DEP_1) | instskip(NEXT) | instid1(VALU_DEP_1)
	v_div_fixup_f32 v115, v114, v76, v77
	v_fma_f32 v114, v77, v115, v76
	s_delay_alu instid0(VALU_DEP_1) | instskip(NEXT) | instid1(VALU_DEP_1)
	v_div_scale_f32 v118, null, v114, v114, 1.0
	v_rcp_f32_e32 v119, v118
	v_nop
	s_delay_alu instid0(TRANS32_DEP_1) | instskip(NEXT) | instid1(VALU_DEP_1)
	v_fma_f32 v120, -v118, v119, 1.0
	v_fmac_f32_e32 v119, v120, v119
	v_div_scale_f32 v120, vcc_lo, 1.0, v114, 1.0
	s_delay_alu instid0(VALU_DEP_1) | instskip(NEXT) | instid1(VALU_DEP_1)
	v_mul_f32_e32 v121, v120, v119
	v_fma_f32 v122, -v118, v121, v120
	s_delay_alu instid0(VALU_DEP_1) | instskip(NEXT) | instid1(VALU_DEP_1)
	v_fmac_f32_e32 v121, v122, v119
	v_fma_f32 v118, -v118, v121, v120
	s_delay_alu instid0(VALU_DEP_1) | instskip(NEXT) | instid1(VALU_DEP_1)
	v_div_fmas_f32 v118, v118, v119, v121
	v_div_fixup_f32 v114, v118, v114, 1.0
	s_delay_alu instid0(VALU_DEP_1)
	v_mul_f32_e64 v115, v115, -v114
.LBB37_169:
	s_or_b32 exec_lo, exec_lo, s1
	ds_store_b64 v117, v[114:115]
.LBB37_170:
	s_or_b32 exec_lo, exec_lo, s2
	s_wait_dscnt 0x0
	s_barrier_signal -1
	s_barrier_wait -1
	ds_load_b64 v[114:115], v117
	s_wait_dscnt 0x0
	s_barrier_signal -1
	s_barrier_wait -1
	s_and_saveexec_b32 s4, s0
	s_cbranch_execz .LBB37_173
; %bb.171:
	v_lshl_add_u64 v[2:3], v[2:3], 2, s[6:7]
	v_cmp_eq_f32_e32 vcc_lo, 0, v78
	v_cmp_eq_f32_e64 s0, 0, v79
	v_cmp_neq_f32_e64 s1, 0, v80
	v_cmp_neq_f32_e64 s2, 0, v81
	global_load_b32 v117, v[2:3], off
	s_and_b32 s0, vcc_lo, s0
	s_delay_alu instid0(SALU_CYCLE_1) | instskip(SKIP_1) | instid1(SALU_CYCLE_1)
	v_cndmask_b32_e64 v78, 0, 1, s0
	s_or_b32 s1, s1, s2
	s_or_b32 vcc_lo, s1, s0
	v_cmp_eq_f32_e64 s0, 0, v83
	s_delay_alu instid0(VALU_DEP_2) | instskip(SKIP_1) | instid1(VALU_DEP_2)
	v_cndmask_b32_e32 v78, 2, v78, vcc_lo
	v_cmp_eq_f32_e32 vcc_lo, 0, v82
	v_cmp_eq_u32_e64 s1, 0, v78
	s_and_b32 s0, vcc_lo, s0
	v_cmp_eq_f32_e32 vcc_lo, 0, v84
	s_and_b32 s0, s0, s1
	s_delay_alu instid0(SALU_CYCLE_1) | instskip(SKIP_1) | instid1(VALU_DEP_2)
	v_cndmask_b32_e64 v78, v78, 3, s0
	v_cmp_eq_f32_e64 s0, 0, v85
	v_cmp_eq_u32_e64 s1, 0, v78
	s_and_b32 s0, vcc_lo, s0
	v_cmp_eq_f32_e32 vcc_lo, 0, v86
	s_and_b32 s0, s0, s1
	s_delay_alu instid0(SALU_CYCLE_1) | instskip(SKIP_1) | instid1(VALU_DEP_2)
	v_cndmask_b32_e64 v78, v78, 4, s0
	v_cmp_eq_f32_e64 s0, 0, v87
	;; [unrolled: 7-line block ×16, first 2 shown]
	v_cmp_eq_u32_e64 s1, 0, v78
	s_and_b32 s0, vcc_lo, s0
	s_delay_alu instid0(SALU_CYCLE_1) | instskip(NEXT) | instid1(SALU_CYCLE_1)
	s_and_b32 s0, s0, s1
	v_cndmask_b32_e64 v78, v78, 19, s0
	s_delay_alu instid0(VALU_DEP_1) | instskip(SKIP_3) | instid1(SALU_CYCLE_1)
	v_cmp_ne_u32_e64 s0, 0, v78
	s_wait_loadcnt 0x0
	v_cmp_eq_u32_e32 vcc_lo, 0, v117
	s_and_b32 s0, vcc_lo, s0
	s_and_b32 exec_lo, exec_lo, s0
	s_cbranch_execz .LBB37_173
; %bb.172:
	v_add_nc_u32_e32 v78, s3, v78
	global_store_b32 v[2:3], v78, off
.LBB37_173:
	s_wait_xcnt 0x0
	s_or_b32 exec_lo, exec_lo, s4
	v_pk_mul_f32 v[2:3], v[114:115], v[76:77] op_sel:[1,1] op_sel_hi:[0,1]
	s_clause 0x1
	global_store_b64 v[18:19], v[60:61], off
	global_store_b64 v[30:31], v[62:63], off
	v_cmp_lt_u32_e32 vcc_lo, 18, v116
	s_clause 0x2
	global_store_b64 v[0:1], v[50:51], off
	global_store_b64 v[8:9], v[48:49], off
	;; [unrolled: 1-line block ×3, first 2 shown]
	s_wait_xcnt 0x4
	v_pk_fma_f32 v[18:19], v[114:115], v[76:77], v[2:3] op_sel_hi:[1,0,1]
	v_pk_fma_f32 v[2:3], v[114:115], v[76:77], v[2:3] neg_lo:[0,0,1] neg_hi:[0,0,1]
	s_wait_xcnt 0x2
	s_delay_alu instid0(VALU_DEP_1)
	v_dual_cndmask_b32 v1, v77, v19 :: v_dual_cndmask_b32 v0, v76, v2
	s_clause 0xd
	global_store_b64 v[4:5], v[22:23], off
	global_store_b64 v[6:7], v[24:25], off
	;; [unrolled: 1-line block ×14, first 2 shown]
.LBB37_174:
	s_sendmsg sendmsg(MSG_DEALLOC_VGPRS)
	s_endpgm
	.section	.rodata,"a",@progbits
	.p2align	6, 0x0
	.amdhsa_kernel _ZN9rocsolver6v33100L23getf2_npvt_small_kernelILi19E19rocblas_complex_numIfEiiPS3_EEvT1_T3_lS5_lPT2_S5_S5_
		.amdhsa_group_segment_fixed_size 0
		.amdhsa_private_segment_fixed_size 0
		.amdhsa_kernarg_size 312
		.amdhsa_user_sgpr_count 2
		.amdhsa_user_sgpr_dispatch_ptr 0
		.amdhsa_user_sgpr_queue_ptr 0
		.amdhsa_user_sgpr_kernarg_segment_ptr 1
		.amdhsa_user_sgpr_dispatch_id 0
		.amdhsa_user_sgpr_kernarg_preload_length 0
		.amdhsa_user_sgpr_kernarg_preload_offset 0
		.amdhsa_user_sgpr_private_segment_size 0
		.amdhsa_wavefront_size32 1
		.amdhsa_uses_dynamic_stack 0
		.amdhsa_enable_private_segment 0
		.amdhsa_system_sgpr_workgroup_id_x 1
		.amdhsa_system_sgpr_workgroup_id_y 1
		.amdhsa_system_sgpr_workgroup_id_z 0
		.amdhsa_system_sgpr_workgroup_info 0
		.amdhsa_system_vgpr_workitem_id 1
		.amdhsa_next_free_vgpr 130
		.amdhsa_next_free_sgpr 15
		.amdhsa_named_barrier_count 0
		.amdhsa_reserve_vcc 1
		.amdhsa_float_round_mode_32 0
		.amdhsa_float_round_mode_16_64 0
		.amdhsa_float_denorm_mode_32 3
		.amdhsa_float_denorm_mode_16_64 3
		.amdhsa_fp16_overflow 0
		.amdhsa_memory_ordered 1
		.amdhsa_forward_progress 1
		.amdhsa_inst_pref_size 184
		.amdhsa_round_robin_scheduling 0
		.amdhsa_exception_fp_ieee_invalid_op 0
		.amdhsa_exception_fp_denorm_src 0
		.amdhsa_exception_fp_ieee_div_zero 0
		.amdhsa_exception_fp_ieee_overflow 0
		.amdhsa_exception_fp_ieee_underflow 0
		.amdhsa_exception_fp_ieee_inexact 0
		.amdhsa_exception_int_div_zero 0
	.end_amdhsa_kernel
	.section	.text._ZN9rocsolver6v33100L23getf2_npvt_small_kernelILi19E19rocblas_complex_numIfEiiPS3_EEvT1_T3_lS5_lPT2_S5_S5_,"axG",@progbits,_ZN9rocsolver6v33100L23getf2_npvt_small_kernelILi19E19rocblas_complex_numIfEiiPS3_EEvT1_T3_lS5_lPT2_S5_S5_,comdat
.Lfunc_end37:
	.size	_ZN9rocsolver6v33100L23getf2_npvt_small_kernelILi19E19rocblas_complex_numIfEiiPS3_EEvT1_T3_lS5_lPT2_S5_S5_, .Lfunc_end37-_ZN9rocsolver6v33100L23getf2_npvt_small_kernelILi19E19rocblas_complex_numIfEiiPS3_EEvT1_T3_lS5_lPT2_S5_S5_
                                        ; -- End function
	.set _ZN9rocsolver6v33100L23getf2_npvt_small_kernelILi19E19rocblas_complex_numIfEiiPS3_EEvT1_T3_lS5_lPT2_S5_S5_.num_vgpr, 130
	.set _ZN9rocsolver6v33100L23getf2_npvt_small_kernelILi19E19rocblas_complex_numIfEiiPS3_EEvT1_T3_lS5_lPT2_S5_S5_.num_agpr, 0
	.set _ZN9rocsolver6v33100L23getf2_npvt_small_kernelILi19E19rocblas_complex_numIfEiiPS3_EEvT1_T3_lS5_lPT2_S5_S5_.numbered_sgpr, 15
	.set _ZN9rocsolver6v33100L23getf2_npvt_small_kernelILi19E19rocblas_complex_numIfEiiPS3_EEvT1_T3_lS5_lPT2_S5_S5_.num_named_barrier, 0
	.set _ZN9rocsolver6v33100L23getf2_npvt_small_kernelILi19E19rocblas_complex_numIfEiiPS3_EEvT1_T3_lS5_lPT2_S5_S5_.private_seg_size, 0
	.set _ZN9rocsolver6v33100L23getf2_npvt_small_kernelILi19E19rocblas_complex_numIfEiiPS3_EEvT1_T3_lS5_lPT2_S5_S5_.uses_vcc, 1
	.set _ZN9rocsolver6v33100L23getf2_npvt_small_kernelILi19E19rocblas_complex_numIfEiiPS3_EEvT1_T3_lS5_lPT2_S5_S5_.uses_flat_scratch, 0
	.set _ZN9rocsolver6v33100L23getf2_npvt_small_kernelILi19E19rocblas_complex_numIfEiiPS3_EEvT1_T3_lS5_lPT2_S5_S5_.has_dyn_sized_stack, 0
	.set _ZN9rocsolver6v33100L23getf2_npvt_small_kernelILi19E19rocblas_complex_numIfEiiPS3_EEvT1_T3_lS5_lPT2_S5_S5_.has_recursion, 0
	.set _ZN9rocsolver6v33100L23getf2_npvt_small_kernelILi19E19rocblas_complex_numIfEiiPS3_EEvT1_T3_lS5_lPT2_S5_S5_.has_indirect_call, 0
	.section	.AMDGPU.csdata,"",@progbits
; Kernel info:
; codeLenInByte = 23520
; TotalNumSgprs: 17
; NumVgprs: 130
; ScratchSize: 0
; MemoryBound: 0
; FloatMode: 240
; IeeeMode: 1
; LDSByteSize: 0 bytes/workgroup (compile time only)
; SGPRBlocks: 0
; VGPRBlocks: 8
; NumSGPRsForWavesPerEU: 17
; NumVGPRsForWavesPerEU: 130
; NamedBarCnt: 0
; Occupancy: 7
; WaveLimiterHint : 0
; COMPUTE_PGM_RSRC2:SCRATCH_EN: 0
; COMPUTE_PGM_RSRC2:USER_SGPR: 2
; COMPUTE_PGM_RSRC2:TRAP_HANDLER: 0
; COMPUTE_PGM_RSRC2:TGID_X_EN: 1
; COMPUTE_PGM_RSRC2:TGID_Y_EN: 1
; COMPUTE_PGM_RSRC2:TGID_Z_EN: 0
; COMPUTE_PGM_RSRC2:TIDIG_COMP_CNT: 1
	.section	.text._ZN9rocsolver6v33100L18getf2_small_kernelILi20E19rocblas_complex_numIfEiiPS3_EEvT1_T3_lS5_lPS5_llPT2_S5_S5_S7_l,"axG",@progbits,_ZN9rocsolver6v33100L18getf2_small_kernelILi20E19rocblas_complex_numIfEiiPS3_EEvT1_T3_lS5_lPS5_llPT2_S5_S5_S7_l,comdat
	.globl	_ZN9rocsolver6v33100L18getf2_small_kernelILi20E19rocblas_complex_numIfEiiPS3_EEvT1_T3_lS5_lPS5_llPT2_S5_S5_S7_l ; -- Begin function _ZN9rocsolver6v33100L18getf2_small_kernelILi20E19rocblas_complex_numIfEiiPS3_EEvT1_T3_lS5_lPS5_llPT2_S5_S5_S7_l
	.p2align	8
	.type	_ZN9rocsolver6v33100L18getf2_small_kernelILi20E19rocblas_complex_numIfEiiPS3_EEvT1_T3_lS5_lPS5_llPT2_S5_S5_S7_l,@function
_ZN9rocsolver6v33100L18getf2_small_kernelILi20E19rocblas_complex_numIfEiiPS3_EEvT1_T3_lS5_lPS5_llPT2_S5_S5_S7_l: ; @_ZN9rocsolver6v33100L18getf2_small_kernelILi20E19rocblas_complex_numIfEiiPS3_EEvT1_T3_lS5_lPS5_llPT2_S5_S5_S7_l
; %bb.0:
	s_clause 0x1
	s_load_u16 s2, s[0:1], 0x6e
	s_load_b64 s[12:13], s[0:1], 0x48
	s_bfe_u32 s3, ttmp6, 0x40010
	s_bfe_u32 s4, ttmp6, 0x40004
	s_add_co_i32 s3, s3, 1
	s_getreg_b32 s5, hwreg(HW_REG_IB_STS2, 6, 4)
	s_mul_i32 s3, ttmp7, s3
	v_bfe_u32 v48, v0, 10, 10
	s_add_co_i32 s4, s4, s3
	s_cmp_eq_u32 s5, 0
	s_cselect_b32 s3, ttmp7, s4
	s_wait_kmcnt 0x0
	v_mad_u32 v2, s3, s2, v48
	s_mov_b32 s2, exec_lo
	s_delay_alu instid0(VALU_DEP_1)
	v_cmpx_gt_i32_e64 s12, v2
	s_cbranch_execz .LBB38_421
; %bb.1:
	s_load_b128 s[4:7], s[0:1], 0x50
	v_mov_b64_e32 v[36:37], 0
	v_ashrrev_i32_e32 v3, 31, v2
	s_wait_kmcnt 0x0
	s_cmp_eq_u64 s[4:5], 0
	s_cselect_b32 s12, -1, 0
	s_delay_alu instid0(SALU_CYCLE_1)
	s_and_b32 vcc_lo, exec_lo, s12
	s_cbranch_vccnz .LBB38_3
; %bb.2:
	v_mul_u64_e32 v[4:5], s[6:7], v[2:3]
	s_delay_alu instid0(VALU_DEP_1)
	v_lshl_add_u64 v[36:37], v[4:5], 2, s[4:5]
.LBB38_3:
	s_clause 0x1
	s_load_b32 s2, s[0:1], 0x18
	s_load_b256 s[4:11], s[0:1], 0x20
	v_and_b32_e32 v52, 0x3ff, v0
	s_clause 0x1
	s_load_b128 s[16:19], s[0:1], 0x8
	s_load_b32 s14, s[0:1], 0x0
	v_mov_b32_e32 v47, 0
	s_wait_kmcnt 0x0
	v_add3_u32 v4, s2, s2, v52
	v_mul_u64_e32 v[0:1], s[4:5], v[2:3]
	s_ashr_i32 s3, s2, 31
	s_max_i32 s4, s14, 20
	s_delay_alu instid0(VALU_DEP_2) | instskip(SKIP_1) | instid1(VALU_DEP_1)
	v_add_nc_u32_e32 v6, s2, v4
	s_cmp_lt_i32 s14, 2
	v_add_nc_u32_e32 v8, s2, v6
	s_delay_alu instid0(VALU_DEP_1) | instskip(NEXT) | instid1(VALU_DEP_1)
	v_add_nc_u32_e32 v10, s2, v8
	v_dual_add_nc_u32 v12, s2, v10 :: v_dual_ashrrev_i32 v5, 31, v4
	s_delay_alu instid0(VALU_DEP_1) | instskip(NEXT) | instid1(VALU_DEP_1)
	v_dual_ashrrev_i32 v7, 31, v6 :: v_dual_add_nc_u32 v14, s2, v12
	v_dual_add_nc_u32 v16, s2, v14 :: v_dual_ashrrev_i32 v9, 31, v8
	v_ashrrev_i32_e32 v11, 31, v10
	v_lshl_add_u64 v[0:1], v[0:1], 3, s[16:17]
	s_delay_alu instid0(VALU_DEP_3) | instskip(SKIP_2) | instid1(VALU_DEP_4)
	v_dual_ashrrev_i32 v15, 31, v14 :: v_dual_add_nc_u32 v18, s2, v16
	v_lshlrev_b32_e32 v46, 3, v52
	v_ashrrev_i32_e32 v17, 31, v16
	v_lshl_add_u64 v[0:1], s[18:19], 3, v[0:1]
	s_delay_alu instid0(VALU_DEP_4) | instskip(NEXT) | instid1(VALU_DEP_2)
	v_dual_add_nc_u32 v20, s2, v18 :: v_dual_ashrrev_i32 v19, 31, v18
	v_add_nc_u64_e32 v[26:27], v[0:1], v[46:47]
	v_lshl_add_u64 v[8:9], v[8:9], 3, v[0:1]
	s_delay_alu instid0(VALU_DEP_3)
	v_add_nc_u32_e32 v22, s2, v20
	v_ashrrev_i32_e32 v13, 31, v12
	v_lshl_add_u64 v[30:31], v[4:5], 3, v[0:1]
	v_lshl_add_u64 v[28:29], v[10:11], 3, v[0:1]
	;; [unrolled: 1-line block ×3, first 2 shown]
	v_add_nc_u32_e32 v24, s2, v22
	v_lshl_add_u64 v[54:55], s[2:3], 3, v[26:27]
	v_lshl_add_u64 v[32:33], v[12:13], 3, v[0:1]
	;; [unrolled: 1-line block ×3, first 2 shown]
	s_clause 0x3
	global_load_b64 v[14:15], v[8:9], off
	global_load_b64 v[10:11], v[28:29], off
	;; [unrolled: 1-line block ×4, first 2 shown]
	v_add_nc_u32_e32 v44, s2, v24
	s_clause 0x3
	global_load_b64 v[38:39], v[54:55], off
	global_load_b64 v[40:41], v[30:31], off
	;; [unrolled: 1-line block ×4, first 2 shown]
	v_lshl_add_u64 v[16:17], v[16:17], 3, v[0:1]
	v_lshl_add_u64 v[18:19], v[18:19], 3, v[0:1]
	v_dual_ashrrev_i32 v23, 31, v22 :: v_dual_add_nc_u32 v50, s2, v44
	s_delay_alu instid0(VALU_DEP_1) | instskip(NEXT) | instid1(VALU_DEP_2)
	v_lshl_add_u64 v[22:23], v[22:23], 3, v[0:1]
	v_dual_add_nc_u32 v56, s2, v50 :: v_dual_ashrrev_i32 v51, 31, v50
	s_delay_alu instid0(VALU_DEP_1) | instskip(SKIP_2) | instid1(VALU_DEP_4)
	v_add_nc_u32_e32 v58, s2, v56
	v_ashrrev_i32_e32 v21, 31, v20
	v_ashrrev_i32_e32 v57, 31, v56
	v_lshl_add_u64 v[50:51], v[50:51], 3, v[0:1]
	s_wait_xcnt 0x1
	v_dual_add_nc_u32 v6, s2, v58 :: v_dual_ashrrev_i32 v25, 31, v24
	v_lshl_add_u64 v[20:21], v[20:21], 3, v[0:1]
	s_clause 0x3
	global_load_b64 v[34:35], v[16:17], off
	global_load_b64 v[30:31], v[18:19], off
	global_load_b64 v[32:33], v[20:21], off
	global_load_b64 v[8:9], v[22:23], off
	s_wait_xcnt 0x4
	v_dual_add_nc_u32 v26, s2, v6 :: v_dual_ashrrev_i32 v45, 31, v44
	v_ashrrev_i32_e32 v59, 31, v58
	v_lshl_add_u64 v[54:55], v[24:25], 3, v[0:1]
	v_lshl_add_u64 v[56:57], v[56:57], 3, v[0:1]
	s_wait_xcnt 0x3
	v_add_nc_u32_e32 v16, s2, v26
	v_ashrrev_i32_e32 v7, 31, v6
	v_ashrrev_i32_e32 v27, 31, v26
	v_lshl_add_u64 v[60:61], v[44:45], 3, v[0:1]
	v_lshl_add_u64 v[58:59], v[58:59], 3, v[0:1]
	v_ashrrev_i32_e32 v17, 31, v16
	v_lshl_add_u64 v[62:63], v[6:7], 3, v[0:1]
	v_lshl_add_u64 v[64:65], v[26:27], 3, v[0:1]
	s_delay_alu instid0(VALU_DEP_3)
	v_lshl_add_u64 v[66:67], v[16:17], 3, v[0:1]
	s_clause 0x7
	global_load_b64 v[26:27], v[54:55], off
	global_load_b64 v[22:23], v[60:61], off
	;; [unrolled: 1-line block ×8, first 2 shown]
	s_wait_xcnt 0x5
	v_mul_lo_u32 v51, s4, v48
	s_load_b64 s[4:5], s[0:1], 0x40
	s_delay_alu instid0(VALU_DEP_1) | instskip(NEXT) | instid1(VALU_DEP_1)
	v_lshl_add_u32 v50, v51, 3, 0
	v_dual_lshlrev_b32 v51, 3, v51 :: v_dual_add_nc_u32 v46, v50, v46
	s_wait_loadcnt 0xc
	ds_store_b64 v46, v[42:43]
	s_wait_loadcnt_dscnt 0x0
	s_barrier_signal -1
	s_barrier_wait -1
	ds_load_b64 v[48:49], v50
	s_cbranch_scc1 .LBB38_6
; %bb.4:
	v_add3_u32 v46, v51, 0, 8
	v_mov_b32_e32 v47, 0
	s_wait_xcnt 0x0
	s_mov_b32 s0, 1
.LBB38_5:                               ; =>This Inner Loop Header: Depth=1
	ds_load_b64 v[54:55], v46
	s_wait_dscnt 0x1
	v_cmp_gt_f32_e32 vcc_lo, 0, v48
	v_cndmask_b32_e64 v56, v48, -v48, vcc_lo
	v_cmp_gt_f32_e32 vcc_lo, 0, v49
	v_cndmask_b32_e64 v58, v49, -v49, vcc_lo
	s_wait_dscnt 0x0
	v_cmp_gt_f32_e32 vcc_lo, 0, v54
	v_cndmask_b32_e64 v57, v54, -v54, vcc_lo
	v_cmp_gt_f32_e32 vcc_lo, 0, v55
	v_cndmask_b32_e64 v59, v55, -v55, vcc_lo
	s_delay_alu instid0(VALU_DEP_1) | instskip(NEXT) | instid1(VALU_DEP_1)
	v_pk_add_f32 v[56:57], v[56:57], v[58:59]
	v_cmp_lt_f32_e32 vcc_lo, v56, v57
	v_dual_cndmask_b32 v49, v49, v55 :: v_dual_add_nc_u32 v46, 8, v46
	v_cndmask_b32_e32 v48, v48, v54, vcc_lo
	v_cndmask_b32_e64 v47, v47, s0, vcc_lo
	s_add_co_i32 s0, s0, 1
	s_delay_alu instid0(SALU_CYCLE_1)
	s_cmp_eq_u32 s14, s0
	s_cbranch_scc0 .LBB38_5
.LBB38_6:
	s_wait_dscnt 0x0
	v_cmp_neq_f32_e32 vcc_lo, 0, v48
	s_wait_xcnt 0x0
	v_cmp_neq_f32_e64 s0, 0, v49
	v_dual_mov_b32 v53, 1 :: v_dual_mov_b32 v55, 1
	s_or_b32 s1, vcc_lo, s0
	s_delay_alu instid0(SALU_CYCLE_1)
	s_and_saveexec_b32 s0, s1
	s_cbranch_execz .LBB38_12
; %bb.7:
	v_cmp_ngt_f32_e64 s1, |v48|, |v49|
	s_and_saveexec_b32 s15, s1
	s_delay_alu instid0(SALU_CYCLE_1)
	s_xor_b32 s1, exec_lo, s15
	s_cbranch_execz .LBB38_9
; %bb.8:
	v_div_scale_f32 v46, null, v49, v49, v48
	v_div_scale_f32 v55, vcc_lo, v48, v49, v48
	s_delay_alu instid0(VALU_DEP_2) | instskip(SKIP_1) | instid1(TRANS32_DEP_1)
	v_rcp_f32_e32 v53, v46
	v_nop
	v_fma_f32 v54, -v46, v53, 1.0
	s_delay_alu instid0(VALU_DEP_1) | instskip(NEXT) | instid1(VALU_DEP_1)
	v_fmac_f32_e32 v53, v54, v53
	v_mul_f32_e32 v54, v55, v53
	s_delay_alu instid0(VALU_DEP_1) | instskip(NEXT) | instid1(VALU_DEP_1)
	v_fma_f32 v56, -v46, v54, v55
	v_fmac_f32_e32 v54, v56, v53
	s_delay_alu instid0(VALU_DEP_1) | instskip(NEXT) | instid1(VALU_DEP_1)
	v_fma_f32 v46, -v46, v54, v55
	v_div_fmas_f32 v46, v46, v53, v54
	s_delay_alu instid0(VALU_DEP_1) | instskip(NEXT) | instid1(VALU_DEP_1)
	v_div_fixup_f32 v46, v46, v49, v48
	v_fmac_f32_e32 v49, v48, v46
	s_delay_alu instid0(VALU_DEP_1) | instskip(SKIP_1) | instid1(VALU_DEP_2)
	v_div_scale_f32 v48, null, v49, v49, 1.0
	v_div_scale_f32 v55, vcc_lo, 1.0, v49, 1.0
	v_rcp_f32_e32 v53, v48
	v_nop
	s_delay_alu instid0(TRANS32_DEP_1) | instskip(NEXT) | instid1(VALU_DEP_1)
	v_fma_f32 v54, -v48, v53, 1.0
	v_fmac_f32_e32 v53, v54, v53
	s_delay_alu instid0(VALU_DEP_1) | instskip(NEXT) | instid1(VALU_DEP_1)
	v_mul_f32_e32 v54, v55, v53
	v_fma_f32 v56, -v48, v54, v55
	s_delay_alu instid0(VALU_DEP_1) | instskip(NEXT) | instid1(VALU_DEP_1)
	v_fmac_f32_e32 v54, v56, v53
	v_fma_f32 v48, -v48, v54, v55
	s_delay_alu instid0(VALU_DEP_1) | instskip(NEXT) | instid1(VALU_DEP_1)
	v_div_fmas_f32 v48, v48, v53, v54
	v_div_fixup_f32 v49, v48, v49, 1.0
	s_delay_alu instid0(VALU_DEP_1)
	v_mul_f32_e32 v48, v46, v49
	v_xor_b32_e32 v49, 0x80000000, v49
.LBB38_9:
	s_and_not1_saveexec_b32 s1, s1
	s_cbranch_execz .LBB38_11
; %bb.10:
	s_delay_alu instid0(VALU_DEP_1) | instskip(SKIP_1) | instid1(VALU_DEP_2)
	v_div_scale_f32 v46, null, v48, v48, v49
	v_div_scale_f32 v55, vcc_lo, v49, v48, v49
	v_rcp_f32_e32 v53, v46
	v_nop
	s_delay_alu instid0(TRANS32_DEP_1) | instskip(NEXT) | instid1(VALU_DEP_1)
	v_fma_f32 v54, -v46, v53, 1.0
	v_fmac_f32_e32 v53, v54, v53
	s_delay_alu instid0(VALU_DEP_1) | instskip(NEXT) | instid1(VALU_DEP_1)
	v_mul_f32_e32 v54, v55, v53
	v_fma_f32 v56, -v46, v54, v55
	s_delay_alu instid0(VALU_DEP_1) | instskip(NEXT) | instid1(VALU_DEP_1)
	v_fmac_f32_e32 v54, v56, v53
	v_fma_f32 v46, -v46, v54, v55
	s_delay_alu instid0(VALU_DEP_1) | instskip(NEXT) | instid1(VALU_DEP_1)
	v_div_fmas_f32 v46, v46, v53, v54
	v_div_fixup_f32 v46, v46, v48, v49
	s_delay_alu instid0(VALU_DEP_1) | instskip(NEXT) | instid1(VALU_DEP_1)
	v_fmac_f32_e32 v48, v49, v46
	v_div_scale_f32 v49, null, v48, v48, 1.0
	s_delay_alu instid0(VALU_DEP_1) | instskip(SKIP_1) | instid1(TRANS32_DEP_1)
	v_rcp_f32_e32 v53, v49
	v_nop
	v_fma_f32 v54, -v49, v53, 1.0
	s_delay_alu instid0(VALU_DEP_1) | instskip(SKIP_1) | instid1(VALU_DEP_1)
	v_fmac_f32_e32 v53, v54, v53
	v_div_scale_f32 v54, vcc_lo, 1.0, v48, 1.0
	v_mul_f32_e32 v55, v54, v53
	s_delay_alu instid0(VALU_DEP_1) | instskip(NEXT) | instid1(VALU_DEP_1)
	v_fma_f32 v56, -v49, v55, v54
	v_fmac_f32_e32 v55, v56, v53
	s_delay_alu instid0(VALU_DEP_1) | instskip(NEXT) | instid1(VALU_DEP_1)
	v_fma_f32 v49, -v49, v55, v54
	v_div_fmas_f32 v49, v49, v53, v55
	s_delay_alu instid0(VALU_DEP_1) | instskip(NEXT) | instid1(VALU_DEP_1)
	v_div_fixup_f32 v48, v49, v48, 1.0
	v_mul_f32_e64 v49, v46, -v48
.LBB38_11:
	s_or_b32 exec_lo, exec_lo, s1
	v_dual_mov_b32 v55, 0 :: v_dual_mov_b32 v53, 2
.LBB38_12:
	s_or_b32 exec_lo, exec_lo, s0
	s_delay_alu instid0(SALU_CYCLE_1)
	s_mov_b32 s0, exec_lo
	v_cmpx_ne_u32_e64 v52, v47
	s_xor_b32 s0, exec_lo, s0
	s_cbranch_execz .LBB38_18
; %bb.13:
	s_mov_b32 s1, exec_lo
	v_cmpx_eq_u32_e32 0, v52
	s_cbranch_execz .LBB38_17
; %bb.14:
	v_cmp_ne_u32_e32 vcc_lo, 0, v47
	s_xor_b32 s15, s12, -1
	s_delay_alu instid0(SALU_CYCLE_1) | instskip(NEXT) | instid1(SALU_CYCLE_1)
	s_and_b32 s16, s15, vcc_lo
	s_and_saveexec_b32 s15, s16
	s_cbranch_execz .LBB38_16
; %bb.15:
	v_dual_mov_b32 v56, v47 :: v_dual_ashrrev_i32 v57, 31, v47
	s_delay_alu instid0(VALU_DEP_1)
	v_lshl_add_u64 v[56:57], v[56:57], 2, v[36:37]
	s_clause 0x1
	global_load_b32 v46, v[56:57], off
	global_load_b32 v52, v[36:37], off
	s_wait_loadcnt 0x1
	global_store_b32 v[36:37], v46, off
	s_wait_loadcnt 0x0
	global_store_b32 v[56:57], v52, off
.LBB38_16:
	s_wait_xcnt 0x0
	s_or_b32 exec_lo, exec_lo, s15
	v_mov_b32_e32 v52, v47
.LBB38_17:
	s_or_b32 exec_lo, exec_lo, s1
.LBB38_18:
	s_or_saveexec_b32 s0, s0
	s_delay_alu instid0(VALU_DEP_1)
	v_mov_b32_e32 v54, v52
	s_xor_b32 exec_lo, exec_lo, s0
	s_cbranch_execz .LBB38_20
; %bb.19:
	v_mov_b32_e32 v54, 0
	ds_store_2addr_b64 v50, v[38:39], v[40:41] offset0:1 offset1:2
	ds_store_2addr_b64 v50, v[28:29], v[14:15] offset0:3 offset1:4
	;; [unrolled: 1-line block ×9, first 2 shown]
	ds_store_b64 v50, v[44:45] offset:152
.LBB38_20:
	s_or_b32 exec_lo, exec_lo, s0
	s_delay_alu instid0(SALU_CYCLE_1)
	s_mov_b32 s0, exec_lo
	s_wait_storecnt_dscnt 0x0
	s_barrier_signal -1
	s_barrier_wait -1
	v_cmpx_lt_i32_e32 0, v54
	s_cbranch_execz .LBB38_22
; %bb.21:
	v_pk_mul_f32 v[56:57], v[48:49], v[42:43] op_sel:[1,1] op_sel_hi:[0,1]
	s_delay_alu instid0(VALU_DEP_1)
	v_pk_fma_f32 v[46:47], v[48:49], v[42:43], v[56:57] op_sel_hi:[1,0,1] neg_lo:[0,0,1] neg_hi:[0,0,1]
	v_pk_fma_f32 v[48:49], v[48:49], v[42:43], v[56:57] op_sel_hi:[1,0,1]
	ds_load_2addr_b64 v[56:59], v50 offset0:1 offset1:2
	v_dual_mov_b32 v42, v46 :: v_dual_mov_b32 v43, v49
	s_wait_dscnt 0x0
	v_pk_mul_f32 v[60:61], v[56:57], v[48:49] op_sel:[0,1]
	s_delay_alu instid0(VALU_DEP_1) | instskip(SKIP_1) | instid1(VALU_DEP_1)
	v_pk_fma_f32 v[62:63], v[56:57], v[46:47], v[60:61] op_sel:[0,0,1] op_sel_hi:[1,1,0] neg_lo:[0,0,1] neg_hi:[0,0,1]
	v_pk_fma_f32 v[56:57], v[56:57], v[46:47], v[60:61] op_sel:[0,0,1] op_sel_hi:[1,0,0]
	v_mov_b32_e32 v63, v57
	v_pk_mul_f32 v[56:57], v[58:59], v[48:49] op_sel:[0,1]
	s_delay_alu instid0(VALU_DEP_1) | instskip(SKIP_1) | instid1(VALU_DEP_1)
	v_pk_fma_f32 v[60:61], v[58:59], v[46:47], v[56:57] op_sel:[0,0,1] op_sel_hi:[1,1,0] neg_lo:[0,0,1] neg_hi:[0,0,1]
	v_pk_fma_f32 v[56:57], v[58:59], v[46:47], v[56:57] op_sel:[0,0,1] op_sel_hi:[1,0,0]
	v_mov_b32_e32 v61, v57
	ds_load_2addr_b64 v[56:59], v50 offset0:3 offset1:4
	v_pk_add_f32 v[38:39], v[38:39], v[62:63] neg_lo:[0,1] neg_hi:[0,1]
	v_pk_add_f32 v[40:41], v[40:41], v[60:61] neg_lo:[0,1] neg_hi:[0,1]
	s_wait_dscnt 0x0
	v_pk_mul_f32 v[60:61], v[56:57], v[48:49] op_sel:[0,1]
	s_delay_alu instid0(VALU_DEP_1) | instskip(SKIP_2) | instid1(VALU_DEP_2)
	v_pk_fma_f32 v[62:63], v[56:57], v[46:47], v[60:61] op_sel:[0,0,1] op_sel_hi:[1,1,0] neg_lo:[0,0,1] neg_hi:[0,0,1]
	v_pk_fma_f32 v[56:57], v[56:57], v[46:47], v[60:61] op_sel:[0,0,1] op_sel_hi:[1,0,0]
	v_dual_mul_f32 v60, v59, v49 :: v_dual_mov_b32 v56, v59
	v_dual_mov_b32 v63, v57 :: v_dual_mov_b32 v57, v58
	s_delay_alu instid0(VALU_DEP_2) | instskip(SKIP_1) | instid1(VALU_DEP_3)
	v_pk_fma_f32 v[60:61], v[58:59], v[42:43], v[60:61] op_sel_hi:[1,1,0] neg_lo:[0,0,1] neg_hi:[0,0,1]
	v_mul_f32_e32 v58, v59, v46
	v_pk_add_f32 v[28:29], v[28:29], v[62:63] neg_lo:[0,1] neg_hi:[0,1]
	s_delay_alu instid0(VALU_DEP_2) | instskip(NEXT) | instid1(VALU_DEP_1)
	v_pk_fma_f32 v[56:57], v[56:57], v[42:43], v[58:59] op_sel_hi:[1,1,0]
	v_mov_b32_e32 v61, v57
	ds_load_2addr_b64 v[56:59], v50 offset0:5 offset1:6
	v_pk_add_f32 v[14:15], v[14:15], v[60:61] neg_lo:[0,1] neg_hi:[0,1]
	s_wait_dscnt 0x0
	v_pk_mul_f32 v[60:61], v[56:57], v[48:49] op_sel:[0,1]
	s_delay_alu instid0(VALU_DEP_1) | instskip(SKIP_1) | instid1(VALU_DEP_1)
	v_pk_fma_f32 v[62:63], v[56:57], v[46:47], v[60:61] op_sel:[0,0,1] op_sel_hi:[1,1,0] neg_lo:[0,0,1] neg_hi:[0,0,1]
	v_pk_fma_f32 v[56:57], v[56:57], v[46:47], v[60:61] op_sel:[0,0,1] op_sel_hi:[1,0,0]
	v_mov_b32_e32 v63, v57
	v_pk_mul_f32 v[56:57], v[58:59], v[48:49] op_sel:[0,1]
	s_delay_alu instid0(VALU_DEP_1) | instskip(SKIP_1) | instid1(VALU_DEP_1)
	v_pk_fma_f32 v[60:61], v[58:59], v[46:47], v[56:57] op_sel:[0,0,1] op_sel_hi:[1,1,0] neg_lo:[0,0,1] neg_hi:[0,0,1]
	v_pk_fma_f32 v[56:57], v[58:59], v[46:47], v[56:57] op_sel:[0,0,1] op_sel_hi:[1,0,0]
	v_mov_b32_e32 v61, v57
	ds_load_2addr_b64 v[56:59], v50 offset0:7 offset1:8
	v_pk_add_f32 v[10:11], v[10:11], v[62:63] neg_lo:[0,1] neg_hi:[0,1]
	v_pk_add_f32 v[12:13], v[12:13], v[60:61] neg_lo:[0,1] neg_hi:[0,1]
	s_wait_dscnt 0x0
	v_pk_mul_f32 v[60:61], v[56:57], v[48:49] op_sel:[0,1]
	s_delay_alu instid0(VALU_DEP_1) | instskip(SKIP_1) | instid1(VALU_DEP_1)
	v_pk_fma_f32 v[62:63], v[56:57], v[46:47], v[60:61] op_sel:[0,0,1] op_sel_hi:[1,1,0] neg_lo:[0,0,1] neg_hi:[0,0,1]
	v_pk_fma_f32 v[56:57], v[56:57], v[46:47], v[60:61] op_sel:[0,0,1] op_sel_hi:[1,0,0]
	v_mov_b32_e32 v63, v57
	v_pk_mul_f32 v[56:57], v[58:59], v[48:49] op_sel:[0,1]
	s_delay_alu instid0(VALU_DEP_1) | instskip(SKIP_1) | instid1(VALU_DEP_1)
	v_pk_fma_f32 v[60:61], v[58:59], v[46:47], v[56:57] op_sel:[0,0,1] op_sel_hi:[1,1,0] neg_lo:[0,0,1] neg_hi:[0,0,1]
	v_pk_fma_f32 v[56:57], v[58:59], v[46:47], v[56:57] op_sel:[0,0,1] op_sel_hi:[1,0,0]
	v_mov_b32_e32 v61, v57
	ds_load_2addr_b64 v[56:59], v50 offset0:9 offset1:10
	v_pk_add_f32 v[4:5], v[4:5], v[62:63] neg_lo:[0,1] neg_hi:[0,1]
	v_pk_add_f32 v[34:35], v[34:35], v[60:61] neg_lo:[0,1] neg_hi:[0,1]
	s_wait_dscnt 0x0
	v_dual_mul_f32 v60, v57, v49 :: v_dual_mul_f32 v62, v57, v46
	s_delay_alu instid0(VALU_DEP_1) | instskip(NEXT) | instid1(VALU_DEP_2)
	v_pk_fma_f32 v[60:61], v[56:57], v[42:43], v[60:61] op_sel_hi:[1,1,0] neg_lo:[0,0,1] neg_hi:[0,0,1]
	v_pk_fma_f32 v[56:57], v[56:57], v[42:43], v[62:63] op_sel:[1,0,0] op_sel_hi:[0,1,0]
	s_delay_alu instid0(VALU_DEP_1) | instskip(SKIP_1) | instid1(VALU_DEP_2)
	v_mov_b32_e32 v61, v57
	v_pk_mul_f32 v[56:57], v[58:59], v[48:49] op_sel:[0,1]
	v_pk_add_f32 v[30:31], v[30:31], v[60:61] neg_lo:[0,1] neg_hi:[0,1]
	s_delay_alu instid0(VALU_DEP_2) | instskip(SKIP_1) | instid1(VALU_DEP_1)
	v_pk_fma_f32 v[60:61], v[58:59], v[46:47], v[56:57] op_sel:[0,0,1] op_sel_hi:[1,1,0] neg_lo:[0,0,1] neg_hi:[0,0,1]
	v_pk_fma_f32 v[56:57], v[58:59], v[46:47], v[56:57] op_sel:[0,0,1] op_sel_hi:[1,0,0]
	v_mov_b32_e32 v61, v57
	ds_load_2addr_b64 v[56:59], v50 offset0:11 offset1:12
	v_pk_add_f32 v[32:33], v[32:33], v[60:61] neg_lo:[0,1] neg_hi:[0,1]
	s_wait_dscnt 0x0
	v_pk_mul_f32 v[60:61], v[56:57], v[48:49] op_sel:[0,1]
	s_delay_alu instid0(VALU_DEP_1) | instskip(SKIP_1) | instid1(VALU_DEP_1)
	v_pk_fma_f32 v[62:63], v[56:57], v[46:47], v[60:61] op_sel:[0,0,1] op_sel_hi:[1,1,0] neg_lo:[0,0,1] neg_hi:[0,0,1]
	v_pk_fma_f32 v[56:57], v[56:57], v[46:47], v[60:61] op_sel:[0,0,1] op_sel_hi:[1,0,0]
	v_mov_b32_e32 v63, v57
	v_pk_mul_f32 v[56:57], v[58:59], v[48:49] op_sel:[0,1]
	s_delay_alu instid0(VALU_DEP_2) | instskip(NEXT) | instid1(VALU_DEP_2)
	v_pk_add_f32 v[8:9], v[8:9], v[62:63] neg_lo:[0,1] neg_hi:[0,1]
	v_pk_fma_f32 v[60:61], v[58:59], v[46:47], v[56:57] op_sel:[0,0,1] op_sel_hi:[1,1,0] neg_lo:[0,0,1] neg_hi:[0,0,1]
	v_pk_fma_f32 v[56:57], v[58:59], v[46:47], v[56:57] op_sel:[0,0,1] op_sel_hi:[1,0,0]
	s_delay_alu instid0(VALU_DEP_1) | instskip(SKIP_4) | instid1(VALU_DEP_1)
	v_mov_b32_e32 v61, v57
	ds_load_2addr_b64 v[56:59], v50 offset0:13 offset1:14
	v_pk_add_f32 v[26:27], v[26:27], v[60:61] neg_lo:[0,1] neg_hi:[0,1]
	s_wait_dscnt 0x0
	v_pk_mul_f32 v[60:61], v[56:57], v[48:49] op_sel:[0,1]
	v_pk_fma_f32 v[62:63], v[56:57], v[46:47], v[60:61] op_sel:[0,0,1] op_sel_hi:[1,1,0] neg_lo:[0,0,1] neg_hi:[0,0,1]
	v_pk_fma_f32 v[56:57], v[56:57], v[46:47], v[60:61] op_sel:[0,0,1] op_sel_hi:[1,0,0]
	v_dual_mul_f32 v60, v59, v49 :: v_dual_mov_b32 v56, v59
	s_delay_alu instid0(VALU_DEP_2) | instskip(NEXT) | instid1(VALU_DEP_2)
	v_dual_mov_b32 v63, v57 :: v_dual_mov_b32 v57, v58
	v_pk_fma_f32 v[60:61], v[58:59], v[42:43], v[60:61] op_sel_hi:[1,1,0] neg_lo:[0,0,1] neg_hi:[0,0,1]
	v_mul_f32_e32 v58, v59, v46
	s_delay_alu instid0(VALU_DEP_3) | instskip(NEXT) | instid1(VALU_DEP_2)
	v_pk_add_f32 v[22:23], v[22:23], v[62:63] neg_lo:[0,1] neg_hi:[0,1]
	v_pk_fma_f32 v[56:57], v[56:57], v[42:43], v[58:59] op_sel_hi:[1,1,0]
	s_delay_alu instid0(VALU_DEP_1) | instskip(SKIP_4) | instid1(VALU_DEP_1)
	v_mov_b32_e32 v61, v57
	ds_load_2addr_b64 v[56:59], v50 offset0:15 offset1:16
	v_pk_add_f32 v[24:25], v[24:25], v[60:61] neg_lo:[0,1] neg_hi:[0,1]
	s_wait_dscnt 0x0
	v_pk_mul_f32 v[60:61], v[56:57], v[48:49] op_sel:[0,1]
	v_pk_fma_f32 v[62:63], v[56:57], v[46:47], v[60:61] op_sel:[0,0,1] op_sel_hi:[1,1,0] neg_lo:[0,0,1] neg_hi:[0,0,1]
	v_pk_fma_f32 v[56:57], v[56:57], v[46:47], v[60:61] op_sel:[0,0,1] op_sel_hi:[1,0,0]
	s_delay_alu instid0(VALU_DEP_1) | instskip(SKIP_1) | instid1(VALU_DEP_1)
	v_mov_b32_e32 v63, v57
	v_pk_mul_f32 v[56:57], v[58:59], v[48:49] op_sel:[0,1]
	v_pk_fma_f32 v[60:61], v[58:59], v[46:47], v[56:57] op_sel:[0,0,1] op_sel_hi:[1,1,0] neg_lo:[0,0,1] neg_hi:[0,0,1]
	v_pk_fma_f32 v[56:57], v[58:59], v[46:47], v[56:57] op_sel:[0,0,1] op_sel_hi:[1,0,0]
	s_delay_alu instid0(VALU_DEP_1)
	v_mov_b32_e32 v61, v57
	ds_load_2addr_b64 v[56:59], v50 offset0:17 offset1:18
	v_pk_add_f32 v[6:7], v[6:7], v[62:63] neg_lo:[0,1] neg_hi:[0,1]
	v_pk_add_f32 v[20:21], v[20:21], v[60:61] neg_lo:[0,1] neg_hi:[0,1]
	s_wait_dscnt 0x0
	v_pk_mul_f32 v[60:61], v[56:57], v[48:49] op_sel:[0,1]
	s_delay_alu instid0(VALU_DEP_1) | instskip(SKIP_1) | instid1(VALU_DEP_1)
	v_pk_fma_f32 v[62:63], v[56:57], v[46:47], v[60:61] op_sel:[0,0,1] op_sel_hi:[1,1,0] neg_lo:[0,0,1] neg_hi:[0,0,1]
	v_pk_fma_f32 v[56:57], v[56:57], v[46:47], v[60:61] op_sel:[0,0,1] op_sel_hi:[1,0,0]
	v_mov_b32_e32 v63, v57
	v_pk_mul_f32 v[56:57], v[58:59], v[48:49] op_sel:[0,1]
	s_delay_alu instid0(VALU_DEP_1) | instskip(SKIP_1) | instid1(VALU_DEP_1)
	v_pk_fma_f32 v[60:61], v[58:59], v[46:47], v[56:57] op_sel:[0,0,1] op_sel_hi:[1,1,0] neg_lo:[0,0,1] neg_hi:[0,0,1]
	v_pk_fma_f32 v[56:57], v[58:59], v[46:47], v[56:57] op_sel:[0,0,1] op_sel_hi:[1,0,0]
	v_mov_b32_e32 v61, v57
	ds_load_b64 v[56:57], v50 offset:152
	v_pk_add_f32 v[18:19], v[18:19], v[62:63] neg_lo:[0,1] neg_hi:[0,1]
	v_pk_add_f32 v[16:17], v[16:17], v[60:61] neg_lo:[0,1] neg_hi:[0,1]
	s_wait_dscnt 0x0
	v_pk_mul_f32 v[48:49], v[56:57], v[48:49] op_sel:[0,1]
	s_delay_alu instid0(VALU_DEP_1) | instskip(SKIP_1) | instid1(VALU_DEP_1)
	v_pk_fma_f32 v[58:59], v[56:57], v[46:47], v[48:49] op_sel:[0,0,1] op_sel_hi:[1,1,0] neg_lo:[0,0,1] neg_hi:[0,0,1]
	v_pk_fma_f32 v[46:47], v[56:57], v[46:47], v[48:49] op_sel:[0,0,1] op_sel_hi:[1,0,0]
	v_mov_b32_e32 v59, v47
	s_delay_alu instid0(VALU_DEP_1)
	v_pk_add_f32 v[44:45], v[44:45], v[58:59] neg_lo:[0,1] neg_hi:[0,1]
.LBB38_22:
	s_or_b32 exec_lo, exec_lo, s0
	v_lshl_add_u32 v46, v54, 3, v50
	s_barrier_signal -1
	s_barrier_wait -1
	ds_store_b64 v46, v[38:39]
	s_wait_dscnt 0x0
	s_barrier_signal -1
	s_barrier_wait -1
	ds_load_b64 v[48:49], v50 offset:8
	v_mov_b32_e32 v46, 1
	s_cmp_lt_i32 s14, 3
	s_cbranch_scc1 .LBB38_25
; %bb.23:
	v_add3_u32 v47, v51, 0, 16
	v_mov_b32_e32 v46, 1
	s_mov_b32 s0, 2
.LBB38_24:                              ; =>This Inner Loop Header: Depth=1
	ds_load_b64 v[56:57], v47
	s_wait_dscnt 0x1
	v_cmp_gt_f32_e32 vcc_lo, 0, v48
	v_cndmask_b32_e64 v58, v48, -v48, vcc_lo
	v_cmp_gt_f32_e32 vcc_lo, 0, v49
	v_cndmask_b32_e64 v60, v49, -v49, vcc_lo
	s_wait_dscnt 0x0
	v_cmp_gt_f32_e32 vcc_lo, 0, v56
	v_cndmask_b32_e64 v59, v56, -v56, vcc_lo
	v_cmp_gt_f32_e32 vcc_lo, 0, v57
	v_cndmask_b32_e64 v61, v57, -v57, vcc_lo
	s_delay_alu instid0(VALU_DEP_1) | instskip(NEXT) | instid1(VALU_DEP_1)
	v_pk_add_f32 v[58:59], v[58:59], v[60:61]
	v_cmp_lt_f32_e32 vcc_lo, v58, v59
	v_dual_add_nc_u32 v47, 8, v47 :: v_dual_cndmask_b32 v49, v49, v57, vcc_lo
	v_cndmask_b32_e32 v48, v48, v56, vcc_lo
	v_cndmask_b32_e64 v46, v46, s0, vcc_lo
	s_add_co_i32 s0, s0, 1
	s_delay_alu instid0(SALU_CYCLE_1)
	s_cmp_lg_u32 s14, s0
	s_cbranch_scc1 .LBB38_24
.LBB38_25:
	s_wait_dscnt 0x0
	v_cmp_neq_f32_e32 vcc_lo, 0, v48
	v_cmp_neq_f32_e64 s0, 0, v49
	s_or_b32 s1, vcc_lo, s0
	s_delay_alu instid0(SALU_CYCLE_1)
	s_and_saveexec_b32 s0, s1
	s_cbranch_execz .LBB38_31
; %bb.26:
	v_cmp_ngt_f32_e64 s1, |v48|, |v49|
	s_and_saveexec_b32 s15, s1
	s_delay_alu instid0(SALU_CYCLE_1)
	s_xor_b32 s1, exec_lo, s15
	s_cbranch_execz .LBB38_28
; %bb.27:
	v_div_scale_f32 v47, null, v49, v49, v48
	v_div_scale_f32 v57, vcc_lo, v48, v49, v48
	s_delay_alu instid0(VALU_DEP_2) | instskip(SKIP_1) | instid1(TRANS32_DEP_1)
	v_rcp_f32_e32 v53, v47
	v_nop
	v_fma_f32 v56, -v47, v53, 1.0
	s_delay_alu instid0(VALU_DEP_1) | instskip(NEXT) | instid1(VALU_DEP_1)
	v_fmac_f32_e32 v53, v56, v53
	v_mul_f32_e32 v56, v57, v53
	s_delay_alu instid0(VALU_DEP_1) | instskip(NEXT) | instid1(VALU_DEP_1)
	v_fma_f32 v58, -v47, v56, v57
	v_fmac_f32_e32 v56, v58, v53
	s_delay_alu instid0(VALU_DEP_1) | instskip(NEXT) | instid1(VALU_DEP_1)
	v_fma_f32 v47, -v47, v56, v57
	v_div_fmas_f32 v47, v47, v53, v56
	s_delay_alu instid0(VALU_DEP_1) | instskip(NEXT) | instid1(VALU_DEP_1)
	v_div_fixup_f32 v47, v47, v49, v48
	v_fmac_f32_e32 v49, v48, v47
	s_delay_alu instid0(VALU_DEP_1) | instskip(SKIP_1) | instid1(VALU_DEP_2)
	v_div_scale_f32 v48, null, v49, v49, 1.0
	v_div_scale_f32 v57, vcc_lo, 1.0, v49, 1.0
	v_rcp_f32_e32 v53, v48
	v_nop
	s_delay_alu instid0(TRANS32_DEP_1) | instskip(NEXT) | instid1(VALU_DEP_1)
	v_fma_f32 v56, -v48, v53, 1.0
	v_fmac_f32_e32 v53, v56, v53
	s_delay_alu instid0(VALU_DEP_1) | instskip(NEXT) | instid1(VALU_DEP_1)
	v_mul_f32_e32 v56, v57, v53
	v_fma_f32 v58, -v48, v56, v57
	s_delay_alu instid0(VALU_DEP_1) | instskip(NEXT) | instid1(VALU_DEP_1)
	v_fmac_f32_e32 v56, v58, v53
	v_fma_f32 v48, -v48, v56, v57
	s_delay_alu instid0(VALU_DEP_1) | instskip(NEXT) | instid1(VALU_DEP_1)
	v_div_fmas_f32 v48, v48, v53, v56
	v_div_fixup_f32 v49, v48, v49, 1.0
	s_delay_alu instid0(VALU_DEP_1)
	v_mul_f32_e32 v48, v47, v49
	v_xor_b32_e32 v49, 0x80000000, v49
.LBB38_28:
	s_and_not1_saveexec_b32 s1, s1
	s_cbranch_execz .LBB38_30
; %bb.29:
	s_delay_alu instid0(VALU_DEP_1) | instskip(SKIP_1) | instid1(VALU_DEP_2)
	v_div_scale_f32 v47, null, v48, v48, v49
	v_div_scale_f32 v57, vcc_lo, v49, v48, v49
	v_rcp_f32_e32 v53, v47
	v_nop
	s_delay_alu instid0(TRANS32_DEP_1) | instskip(NEXT) | instid1(VALU_DEP_1)
	v_fma_f32 v56, -v47, v53, 1.0
	v_fmac_f32_e32 v53, v56, v53
	s_delay_alu instid0(VALU_DEP_1) | instskip(NEXT) | instid1(VALU_DEP_1)
	v_mul_f32_e32 v56, v57, v53
	v_fma_f32 v58, -v47, v56, v57
	s_delay_alu instid0(VALU_DEP_1) | instskip(NEXT) | instid1(VALU_DEP_1)
	v_fmac_f32_e32 v56, v58, v53
	v_fma_f32 v47, -v47, v56, v57
	s_delay_alu instid0(VALU_DEP_1) | instskip(NEXT) | instid1(VALU_DEP_1)
	v_div_fmas_f32 v47, v47, v53, v56
	v_div_fixup_f32 v47, v47, v48, v49
	s_delay_alu instid0(VALU_DEP_1) | instskip(NEXT) | instid1(VALU_DEP_1)
	v_fmac_f32_e32 v48, v49, v47
	v_div_scale_f32 v49, null, v48, v48, 1.0
	s_delay_alu instid0(VALU_DEP_1) | instskip(SKIP_1) | instid1(TRANS32_DEP_1)
	v_rcp_f32_e32 v53, v49
	v_nop
	v_fma_f32 v56, -v49, v53, 1.0
	s_delay_alu instid0(VALU_DEP_1) | instskip(SKIP_1) | instid1(VALU_DEP_1)
	v_fmac_f32_e32 v53, v56, v53
	v_div_scale_f32 v56, vcc_lo, 1.0, v48, 1.0
	v_mul_f32_e32 v57, v56, v53
	s_delay_alu instid0(VALU_DEP_1) | instskip(NEXT) | instid1(VALU_DEP_1)
	v_fma_f32 v58, -v49, v57, v56
	v_fmac_f32_e32 v57, v58, v53
	s_delay_alu instid0(VALU_DEP_1) | instskip(NEXT) | instid1(VALU_DEP_1)
	v_fma_f32 v49, -v49, v57, v56
	v_div_fmas_f32 v49, v49, v53, v57
	s_delay_alu instid0(VALU_DEP_1) | instskip(NEXT) | instid1(VALU_DEP_1)
	v_div_fixup_f32 v48, v49, v48, 1.0
	v_mul_f32_e64 v49, v47, -v48
.LBB38_30:
	s_or_b32 exec_lo, exec_lo, s1
	v_mov_b32_e32 v53, v55
.LBB38_31:
	s_or_b32 exec_lo, exec_lo, s0
	s_delay_alu instid0(SALU_CYCLE_1)
	s_mov_b32 s0, exec_lo
	v_cmpx_ne_u32_e64 v54, v46
	s_xor_b32 s0, exec_lo, s0
	s_cbranch_execz .LBB38_37
; %bb.32:
	s_mov_b32 s1, exec_lo
	v_cmpx_eq_u32_e32 1, v54
	s_cbranch_execz .LBB38_36
; %bb.33:
	v_cmp_ne_u32_e32 vcc_lo, 1, v46
	s_xor_b32 s15, s12, -1
	s_delay_alu instid0(SALU_CYCLE_1) | instskip(NEXT) | instid1(SALU_CYCLE_1)
	s_and_b32 s16, s15, vcc_lo
	s_and_saveexec_b32 s15, s16
	s_cbranch_execz .LBB38_35
; %bb.34:
	v_ashrrev_i32_e32 v47, 31, v46
	s_delay_alu instid0(VALU_DEP_1)
	v_lshl_add_u64 v[54:55], v[46:47], 2, v[36:37]
	s_clause 0x1
	global_load_b32 v47, v[54:55], off
	global_load_b32 v52, v[36:37], off offset:4
	s_wait_loadcnt 0x1
	global_store_b32 v[36:37], v47, off offset:4
	s_wait_loadcnt 0x0
	global_store_b32 v[54:55], v52, off
.LBB38_35:
	s_wait_xcnt 0x0
	s_or_b32 exec_lo, exec_lo, s15
	v_dual_mov_b32 v54, v46 :: v_dual_mov_b32 v52, v46
.LBB38_36:
	s_or_b32 exec_lo, exec_lo, s1
.LBB38_37:
	s_and_not1_saveexec_b32 s0, s0
	s_cbranch_execz .LBB38_39
; %bb.38:
	v_dual_mov_b32 v46, v40 :: v_dual_mov_b32 v47, v41
	v_dual_mov_b32 v54, v28 :: v_dual_mov_b32 v55, v29
	;; [unrolled: 1-line block ×8, first 2 shown]
	ds_store_2addr_b64 v50, v[46:47], v[54:55] offset0:2 offset1:3
	ds_store_2addr_b64 v50, v[56:57], v[58:59] offset0:4 offset1:5
	;; [unrolled: 1-line block ×4, first 2 shown]
	v_dual_mov_b32 v46, v32 :: v_dual_mov_b32 v47, v33
	v_dual_mov_b32 v56, v8 :: v_dual_mov_b32 v57, v9
	;; [unrolled: 1-line block ×9, first 2 shown]
	v_mov_b32_e32 v71, v17
	ds_store_2addr_b64 v50, v[46:47], v[56:57] offset0:10 offset1:11
	ds_store_2addr_b64 v50, v[58:59], v[60:61] offset0:12 offset1:13
	;; [unrolled: 1-line block ×5, first 2 shown]
.LBB38_39:
	s_or_b32 exec_lo, exec_lo, s0
	s_delay_alu instid0(SALU_CYCLE_1)
	s_mov_b32 s0, exec_lo
	s_wait_storecnt_dscnt 0x0
	s_barrier_signal -1
	s_barrier_wait -1
	v_cmpx_lt_i32_e32 1, v54
	s_cbranch_execz .LBB38_41
; %bb.40:
	v_pk_mul_f32 v[56:57], v[48:49], v[38:39] op_sel:[1,1] op_sel_hi:[0,1]
	s_delay_alu instid0(VALU_DEP_1)
	v_pk_fma_f32 v[46:47], v[48:49], v[38:39], v[56:57] op_sel_hi:[1,0,1] neg_lo:[0,0,1] neg_hi:[0,0,1]
	v_pk_fma_f32 v[48:49], v[48:49], v[38:39], v[56:57] op_sel_hi:[1,0,1]
	ds_load_2addr_b64 v[56:59], v50 offset0:2 offset1:3
	v_dual_mov_b32 v38, v46 :: v_dual_mov_b32 v39, v49
	s_wait_dscnt 0x0
	v_pk_mul_f32 v[60:61], v[56:57], v[48:49] op_sel:[0,1]
	s_delay_alu instid0(VALU_DEP_1) | instskip(SKIP_1) | instid1(VALU_DEP_1)
	v_pk_fma_f32 v[62:63], v[56:57], v[46:47], v[60:61] op_sel:[0,0,1] op_sel_hi:[1,1,0] neg_lo:[0,0,1] neg_hi:[0,0,1]
	v_pk_fma_f32 v[56:57], v[56:57], v[46:47], v[60:61] op_sel:[0,0,1] op_sel_hi:[1,0,0]
	v_mov_b32_e32 v63, v57
	v_pk_mul_f32 v[56:57], v[58:59], v[48:49] op_sel:[0,1]
	s_delay_alu instid0(VALU_DEP_1) | instskip(SKIP_1) | instid1(VALU_DEP_1)
	v_pk_fma_f32 v[60:61], v[58:59], v[46:47], v[56:57] op_sel:[0,0,1] op_sel_hi:[1,1,0] neg_lo:[0,0,1] neg_hi:[0,0,1]
	v_pk_fma_f32 v[56:57], v[58:59], v[46:47], v[56:57] op_sel:[0,0,1] op_sel_hi:[1,0,0]
	v_mov_b32_e32 v61, v57
	ds_load_2addr_b64 v[56:59], v50 offset0:4 offset1:5
	v_pk_add_f32 v[40:41], v[40:41], v[62:63] neg_lo:[0,1] neg_hi:[0,1]
	v_pk_add_f32 v[28:29], v[28:29], v[60:61] neg_lo:[0,1] neg_hi:[0,1]
	s_wait_dscnt 0x0
	v_pk_mul_f32 v[60:61], v[56:57], v[48:49] op_sel:[0,1]
	s_delay_alu instid0(VALU_DEP_1) | instskip(SKIP_2) | instid1(VALU_DEP_2)
	v_pk_fma_f32 v[62:63], v[56:57], v[46:47], v[60:61] op_sel:[0,0,1] op_sel_hi:[1,1,0] neg_lo:[0,0,1] neg_hi:[0,0,1]
	v_pk_fma_f32 v[56:57], v[56:57], v[46:47], v[60:61] op_sel:[0,0,1] op_sel_hi:[1,0,0]
	v_dual_mul_f32 v60, v59, v49 :: v_dual_mov_b32 v56, v59
	v_dual_mov_b32 v63, v57 :: v_dual_mov_b32 v57, v58
	s_delay_alu instid0(VALU_DEP_2) | instskip(SKIP_1) | instid1(VALU_DEP_3)
	v_pk_fma_f32 v[60:61], v[58:59], v[38:39], v[60:61] op_sel_hi:[1,1,0] neg_lo:[0,0,1] neg_hi:[0,0,1]
	v_mul_f32_e32 v58, v59, v46
	v_pk_add_f32 v[14:15], v[14:15], v[62:63] neg_lo:[0,1] neg_hi:[0,1]
	s_delay_alu instid0(VALU_DEP_2) | instskip(NEXT) | instid1(VALU_DEP_1)
	v_pk_fma_f32 v[56:57], v[56:57], v[38:39], v[58:59] op_sel_hi:[1,1,0]
	v_mov_b32_e32 v61, v57
	ds_load_2addr_b64 v[56:59], v50 offset0:6 offset1:7
	v_pk_add_f32 v[10:11], v[10:11], v[60:61] neg_lo:[0,1] neg_hi:[0,1]
	s_wait_dscnt 0x0
	v_pk_mul_f32 v[60:61], v[56:57], v[48:49] op_sel:[0,1]
	s_delay_alu instid0(VALU_DEP_1) | instskip(SKIP_1) | instid1(VALU_DEP_1)
	v_pk_fma_f32 v[62:63], v[56:57], v[46:47], v[60:61] op_sel:[0,0,1] op_sel_hi:[1,1,0] neg_lo:[0,0,1] neg_hi:[0,0,1]
	v_pk_fma_f32 v[56:57], v[56:57], v[46:47], v[60:61] op_sel:[0,0,1] op_sel_hi:[1,0,0]
	v_mov_b32_e32 v63, v57
	v_pk_mul_f32 v[56:57], v[58:59], v[48:49] op_sel:[0,1]
	s_delay_alu instid0(VALU_DEP_1) | instskip(SKIP_1) | instid1(VALU_DEP_1)
	v_pk_fma_f32 v[60:61], v[58:59], v[46:47], v[56:57] op_sel:[0,0,1] op_sel_hi:[1,1,0] neg_lo:[0,0,1] neg_hi:[0,0,1]
	v_pk_fma_f32 v[56:57], v[58:59], v[46:47], v[56:57] op_sel:[0,0,1] op_sel_hi:[1,0,0]
	v_mov_b32_e32 v61, v57
	ds_load_2addr_b64 v[56:59], v50 offset0:8 offset1:9
	v_pk_add_f32 v[12:13], v[12:13], v[62:63] neg_lo:[0,1] neg_hi:[0,1]
	v_pk_add_f32 v[4:5], v[4:5], v[60:61] neg_lo:[0,1] neg_hi:[0,1]
	s_wait_dscnt 0x0
	v_pk_mul_f32 v[60:61], v[56:57], v[48:49] op_sel:[0,1]
	s_delay_alu instid0(VALU_DEP_1) | instskip(SKIP_1) | instid1(VALU_DEP_1)
	v_pk_fma_f32 v[62:63], v[56:57], v[46:47], v[60:61] op_sel:[0,0,1] op_sel_hi:[1,1,0] neg_lo:[0,0,1] neg_hi:[0,0,1]
	v_pk_fma_f32 v[56:57], v[56:57], v[46:47], v[60:61] op_sel:[0,0,1] op_sel_hi:[1,0,0]
	v_mov_b32_e32 v63, v57
	v_pk_mul_f32 v[56:57], v[58:59], v[48:49] op_sel:[0,1]
	s_delay_alu instid0(VALU_DEP_1) | instskip(SKIP_1) | instid1(VALU_DEP_1)
	v_pk_fma_f32 v[60:61], v[58:59], v[46:47], v[56:57] op_sel:[0,0,1] op_sel_hi:[1,1,0] neg_lo:[0,0,1] neg_hi:[0,0,1]
	v_pk_fma_f32 v[56:57], v[58:59], v[46:47], v[56:57] op_sel:[0,0,1] op_sel_hi:[1,0,0]
	v_mov_b32_e32 v61, v57
	ds_load_2addr_b64 v[56:59], v50 offset0:10 offset1:11
	v_pk_add_f32 v[34:35], v[34:35], v[62:63] neg_lo:[0,1] neg_hi:[0,1]
	v_pk_add_f32 v[30:31], v[30:31], v[60:61] neg_lo:[0,1] neg_hi:[0,1]
	s_wait_dscnt 0x0
	v_dual_mul_f32 v60, v57, v49 :: v_dual_mul_f32 v62, v57, v46
	s_delay_alu instid0(VALU_DEP_1) | instskip(NEXT) | instid1(VALU_DEP_2)
	v_pk_fma_f32 v[60:61], v[56:57], v[38:39], v[60:61] op_sel_hi:[1,1,0] neg_lo:[0,0,1] neg_hi:[0,0,1]
	v_pk_fma_f32 v[56:57], v[56:57], v[38:39], v[62:63] op_sel:[1,0,0] op_sel_hi:[0,1,0]
	s_delay_alu instid0(VALU_DEP_1) | instskip(SKIP_1) | instid1(VALU_DEP_2)
	v_mov_b32_e32 v61, v57
	v_pk_mul_f32 v[56:57], v[58:59], v[48:49] op_sel:[0,1]
	v_pk_add_f32 v[32:33], v[32:33], v[60:61] neg_lo:[0,1] neg_hi:[0,1]
	s_delay_alu instid0(VALU_DEP_2) | instskip(SKIP_1) | instid1(VALU_DEP_1)
	v_pk_fma_f32 v[60:61], v[58:59], v[46:47], v[56:57] op_sel:[0,0,1] op_sel_hi:[1,1,0] neg_lo:[0,0,1] neg_hi:[0,0,1]
	v_pk_fma_f32 v[56:57], v[58:59], v[46:47], v[56:57] op_sel:[0,0,1] op_sel_hi:[1,0,0]
	v_mov_b32_e32 v61, v57
	ds_load_2addr_b64 v[56:59], v50 offset0:12 offset1:13
	v_pk_add_f32 v[8:9], v[8:9], v[60:61] neg_lo:[0,1] neg_hi:[0,1]
	s_wait_dscnt 0x0
	v_pk_mul_f32 v[60:61], v[56:57], v[48:49] op_sel:[0,1]
	s_delay_alu instid0(VALU_DEP_1) | instskip(SKIP_1) | instid1(VALU_DEP_1)
	v_pk_fma_f32 v[62:63], v[56:57], v[46:47], v[60:61] op_sel:[0,0,1] op_sel_hi:[1,1,0] neg_lo:[0,0,1] neg_hi:[0,0,1]
	v_pk_fma_f32 v[56:57], v[56:57], v[46:47], v[60:61] op_sel:[0,0,1] op_sel_hi:[1,0,0]
	v_mov_b32_e32 v63, v57
	v_pk_mul_f32 v[56:57], v[58:59], v[48:49] op_sel:[0,1]
	s_delay_alu instid0(VALU_DEP_2) | instskip(NEXT) | instid1(VALU_DEP_2)
	v_pk_add_f32 v[26:27], v[26:27], v[62:63] neg_lo:[0,1] neg_hi:[0,1]
	v_pk_fma_f32 v[60:61], v[58:59], v[46:47], v[56:57] op_sel:[0,0,1] op_sel_hi:[1,1,0] neg_lo:[0,0,1] neg_hi:[0,0,1]
	v_pk_fma_f32 v[56:57], v[58:59], v[46:47], v[56:57] op_sel:[0,0,1] op_sel_hi:[1,0,0]
	s_delay_alu instid0(VALU_DEP_1) | instskip(SKIP_4) | instid1(VALU_DEP_1)
	v_mov_b32_e32 v61, v57
	ds_load_2addr_b64 v[56:59], v50 offset0:14 offset1:15
	v_pk_add_f32 v[22:23], v[22:23], v[60:61] neg_lo:[0,1] neg_hi:[0,1]
	s_wait_dscnt 0x0
	v_pk_mul_f32 v[60:61], v[56:57], v[48:49] op_sel:[0,1]
	v_pk_fma_f32 v[62:63], v[56:57], v[46:47], v[60:61] op_sel:[0,0,1] op_sel_hi:[1,1,0] neg_lo:[0,0,1] neg_hi:[0,0,1]
	v_pk_fma_f32 v[56:57], v[56:57], v[46:47], v[60:61] op_sel:[0,0,1] op_sel_hi:[1,0,0]
	v_dual_mul_f32 v60, v59, v49 :: v_dual_mov_b32 v56, v59
	s_delay_alu instid0(VALU_DEP_2) | instskip(NEXT) | instid1(VALU_DEP_2)
	v_dual_mov_b32 v63, v57 :: v_dual_mov_b32 v57, v58
	v_pk_fma_f32 v[60:61], v[58:59], v[38:39], v[60:61] op_sel_hi:[1,1,0] neg_lo:[0,0,1] neg_hi:[0,0,1]
	v_mul_f32_e32 v58, v59, v46
	s_delay_alu instid0(VALU_DEP_3) | instskip(NEXT) | instid1(VALU_DEP_2)
	v_pk_add_f32 v[24:25], v[24:25], v[62:63] neg_lo:[0,1] neg_hi:[0,1]
	v_pk_fma_f32 v[56:57], v[56:57], v[38:39], v[58:59] op_sel_hi:[1,1,0]
	s_delay_alu instid0(VALU_DEP_1) | instskip(SKIP_4) | instid1(VALU_DEP_1)
	v_mov_b32_e32 v61, v57
	ds_load_2addr_b64 v[56:59], v50 offset0:16 offset1:17
	v_pk_add_f32 v[6:7], v[6:7], v[60:61] neg_lo:[0,1] neg_hi:[0,1]
	s_wait_dscnt 0x0
	v_pk_mul_f32 v[60:61], v[56:57], v[48:49] op_sel:[0,1]
	v_pk_fma_f32 v[62:63], v[56:57], v[46:47], v[60:61] op_sel:[0,0,1] op_sel_hi:[1,1,0] neg_lo:[0,0,1] neg_hi:[0,0,1]
	v_pk_fma_f32 v[56:57], v[56:57], v[46:47], v[60:61] op_sel:[0,0,1] op_sel_hi:[1,0,0]
	s_delay_alu instid0(VALU_DEP_1) | instskip(SKIP_1) | instid1(VALU_DEP_1)
	v_mov_b32_e32 v63, v57
	v_pk_mul_f32 v[56:57], v[58:59], v[48:49] op_sel:[0,1]
	v_pk_fma_f32 v[60:61], v[58:59], v[46:47], v[56:57] op_sel:[0,0,1] op_sel_hi:[1,1,0] neg_lo:[0,0,1] neg_hi:[0,0,1]
	v_pk_fma_f32 v[56:57], v[58:59], v[46:47], v[56:57] op_sel:[0,0,1] op_sel_hi:[1,0,0]
	s_delay_alu instid0(VALU_DEP_1)
	v_mov_b32_e32 v61, v57
	ds_load_2addr_b64 v[56:59], v50 offset0:18 offset1:19
	v_pk_add_f32 v[20:21], v[20:21], v[62:63] neg_lo:[0,1] neg_hi:[0,1]
	v_pk_add_f32 v[18:19], v[18:19], v[60:61] neg_lo:[0,1] neg_hi:[0,1]
	s_wait_dscnt 0x0
	v_pk_mul_f32 v[60:61], v[56:57], v[48:49] op_sel:[0,1]
	v_mul_f32_e32 v48, v59, v49
	s_delay_alu instid0(VALU_DEP_2) | instskip(SKIP_2) | instid1(VALU_DEP_4)
	v_pk_fma_f32 v[62:63], v[56:57], v[46:47], v[60:61] op_sel:[0,0,1] op_sel_hi:[1,1,0] neg_lo:[0,0,1] neg_hi:[0,0,1]
	v_pk_fma_f32 v[56:57], v[56:57], v[46:47], v[60:61] op_sel:[0,0,1] op_sel_hi:[1,0,0]
	v_dual_mov_b32 v56, v59 :: v_dual_mul_f32 v46, v59, v46
	v_pk_fma_f32 v[48:49], v[58:59], v[38:39], v[48:49] op_sel_hi:[1,1,0] neg_lo:[0,0,1] neg_hi:[0,0,1]
	s_delay_alu instid0(VALU_DEP_3) | instskip(NEXT) | instid1(VALU_DEP_1)
	v_dual_mov_b32 v63, v57 :: v_dual_mov_b32 v57, v58
	v_pk_add_f32 v[16:17], v[16:17], v[62:63] neg_lo:[0,1] neg_hi:[0,1]
	s_delay_alu instid0(VALU_DEP_2) | instskip(NEXT) | instid1(VALU_DEP_1)
	v_pk_fma_f32 v[46:47], v[56:57], v[38:39], v[46:47] op_sel_hi:[1,1,0]
	v_mov_b32_e32 v49, v47
	s_delay_alu instid0(VALU_DEP_1)
	v_pk_add_f32 v[44:45], v[44:45], v[48:49] neg_lo:[0,1] neg_hi:[0,1]
.LBB38_41:
	s_or_b32 exec_lo, exec_lo, s0
	v_lshl_add_u32 v46, v54, 3, v50
	s_barrier_signal -1
	s_barrier_wait -1
	ds_store_b64 v46, v[40:41]
	s_wait_dscnt 0x0
	s_barrier_signal -1
	s_barrier_wait -1
	ds_load_b64 v[48:49], v50 offset:16
	v_mov_b32_e32 v46, 2
	s_cmp_lt_i32 s14, 4
	s_mov_b32 s0, 3
	s_cbranch_scc1 .LBB38_44
; %bb.42:
	v_add3_u32 v47, v51, 0, 24
	v_mov_b32_e32 v46, 2
.LBB38_43:                              ; =>This Inner Loop Header: Depth=1
	ds_load_b64 v[56:57], v47
	s_wait_dscnt 0x1
	v_cmp_gt_f32_e32 vcc_lo, 0, v48
	v_cndmask_b32_e64 v58, v48, -v48, vcc_lo
	v_cmp_gt_f32_e32 vcc_lo, 0, v49
	v_cndmask_b32_e64 v60, v49, -v49, vcc_lo
	s_wait_dscnt 0x0
	v_cmp_gt_f32_e32 vcc_lo, 0, v56
	v_cndmask_b32_e64 v59, v56, -v56, vcc_lo
	v_cmp_gt_f32_e32 vcc_lo, 0, v57
	v_cndmask_b32_e64 v61, v57, -v57, vcc_lo
	s_delay_alu instid0(VALU_DEP_1) | instskip(NEXT) | instid1(VALU_DEP_1)
	v_pk_add_f32 v[58:59], v[58:59], v[60:61]
	v_cmp_lt_f32_e32 vcc_lo, v58, v59
	v_dual_add_nc_u32 v47, 8, v47 :: v_dual_cndmask_b32 v49, v49, v57, vcc_lo
	v_cndmask_b32_e32 v48, v48, v56, vcc_lo
	v_cndmask_b32_e64 v46, v46, s0, vcc_lo
	s_add_co_i32 s0, s0, 1
	s_delay_alu instid0(SALU_CYCLE_1)
	s_cmp_lg_u32 s14, s0
	s_cbranch_scc1 .LBB38_43
.LBB38_44:
	s_wait_dscnt 0x0
	v_cmp_eq_f32_e32 vcc_lo, 0, v48
	v_cmp_eq_f32_e64 s0, 0, v49
	s_and_b32 s0, vcc_lo, s0
	s_delay_alu instid0(SALU_CYCLE_1) | instskip(NEXT) | instid1(SALU_CYCLE_1)
	s_and_saveexec_b32 s1, s0
	s_xor_b32 s0, exec_lo, s1
; %bb.45:
	v_cmp_ne_u32_e32 vcc_lo, 0, v53
	v_cndmask_b32_e32 v53, 3, v53, vcc_lo
; %bb.46:
	s_and_not1_saveexec_b32 s0, s0
	s_cbranch_execz .LBB38_52
; %bb.47:
	v_cmp_ngt_f32_e64 s1, |v48|, |v49|
	s_and_saveexec_b32 s15, s1
	s_delay_alu instid0(SALU_CYCLE_1)
	s_xor_b32 s1, exec_lo, s15
	s_cbranch_execz .LBB38_49
; %bb.48:
	v_div_scale_f32 v47, null, v49, v49, v48
	v_div_scale_f32 v57, vcc_lo, v48, v49, v48
	s_delay_alu instid0(VALU_DEP_2) | instskip(SKIP_1) | instid1(TRANS32_DEP_1)
	v_rcp_f32_e32 v55, v47
	v_nop
	v_fma_f32 v56, -v47, v55, 1.0
	s_delay_alu instid0(VALU_DEP_1) | instskip(NEXT) | instid1(VALU_DEP_1)
	v_fmac_f32_e32 v55, v56, v55
	v_mul_f32_e32 v56, v57, v55
	s_delay_alu instid0(VALU_DEP_1) | instskip(NEXT) | instid1(VALU_DEP_1)
	v_fma_f32 v58, -v47, v56, v57
	v_fmac_f32_e32 v56, v58, v55
	s_delay_alu instid0(VALU_DEP_1) | instskip(NEXT) | instid1(VALU_DEP_1)
	v_fma_f32 v47, -v47, v56, v57
	v_div_fmas_f32 v47, v47, v55, v56
	s_delay_alu instid0(VALU_DEP_1) | instskip(NEXT) | instid1(VALU_DEP_1)
	v_div_fixup_f32 v47, v47, v49, v48
	v_fmac_f32_e32 v49, v48, v47
	s_delay_alu instid0(VALU_DEP_1) | instskip(SKIP_1) | instid1(VALU_DEP_2)
	v_div_scale_f32 v48, null, v49, v49, 1.0
	v_div_scale_f32 v57, vcc_lo, 1.0, v49, 1.0
	v_rcp_f32_e32 v55, v48
	v_nop
	s_delay_alu instid0(TRANS32_DEP_1) | instskip(NEXT) | instid1(VALU_DEP_1)
	v_fma_f32 v56, -v48, v55, 1.0
	v_fmac_f32_e32 v55, v56, v55
	s_delay_alu instid0(VALU_DEP_1) | instskip(NEXT) | instid1(VALU_DEP_1)
	v_mul_f32_e32 v56, v57, v55
	v_fma_f32 v58, -v48, v56, v57
	s_delay_alu instid0(VALU_DEP_1) | instskip(NEXT) | instid1(VALU_DEP_1)
	v_fmac_f32_e32 v56, v58, v55
	v_fma_f32 v48, -v48, v56, v57
	s_delay_alu instid0(VALU_DEP_1) | instskip(NEXT) | instid1(VALU_DEP_1)
	v_div_fmas_f32 v48, v48, v55, v56
	v_div_fixup_f32 v49, v48, v49, 1.0
	s_delay_alu instid0(VALU_DEP_1)
	v_mul_f32_e32 v48, v47, v49
	v_xor_b32_e32 v49, 0x80000000, v49
.LBB38_49:
	s_and_not1_saveexec_b32 s1, s1
	s_cbranch_execz .LBB38_51
; %bb.50:
	s_delay_alu instid0(VALU_DEP_1) | instskip(SKIP_1) | instid1(VALU_DEP_2)
	v_div_scale_f32 v47, null, v48, v48, v49
	v_div_scale_f32 v57, vcc_lo, v49, v48, v49
	v_rcp_f32_e32 v55, v47
	v_nop
	s_delay_alu instid0(TRANS32_DEP_1) | instskip(NEXT) | instid1(VALU_DEP_1)
	v_fma_f32 v56, -v47, v55, 1.0
	v_fmac_f32_e32 v55, v56, v55
	s_delay_alu instid0(VALU_DEP_1) | instskip(NEXT) | instid1(VALU_DEP_1)
	v_mul_f32_e32 v56, v57, v55
	v_fma_f32 v58, -v47, v56, v57
	s_delay_alu instid0(VALU_DEP_1) | instskip(NEXT) | instid1(VALU_DEP_1)
	v_fmac_f32_e32 v56, v58, v55
	v_fma_f32 v47, -v47, v56, v57
	s_delay_alu instid0(VALU_DEP_1) | instskip(NEXT) | instid1(VALU_DEP_1)
	v_div_fmas_f32 v47, v47, v55, v56
	v_div_fixup_f32 v47, v47, v48, v49
	s_delay_alu instid0(VALU_DEP_1) | instskip(NEXT) | instid1(VALU_DEP_1)
	v_fmac_f32_e32 v48, v49, v47
	v_div_scale_f32 v49, null, v48, v48, 1.0
	s_delay_alu instid0(VALU_DEP_1) | instskip(SKIP_1) | instid1(TRANS32_DEP_1)
	v_rcp_f32_e32 v55, v49
	v_nop
	v_fma_f32 v56, -v49, v55, 1.0
	s_delay_alu instid0(VALU_DEP_1) | instskip(SKIP_1) | instid1(VALU_DEP_1)
	v_fmac_f32_e32 v55, v56, v55
	v_div_scale_f32 v56, vcc_lo, 1.0, v48, 1.0
	v_mul_f32_e32 v57, v56, v55
	s_delay_alu instid0(VALU_DEP_1) | instskip(NEXT) | instid1(VALU_DEP_1)
	v_fma_f32 v58, -v49, v57, v56
	v_fmac_f32_e32 v57, v58, v55
	s_delay_alu instid0(VALU_DEP_1) | instskip(NEXT) | instid1(VALU_DEP_1)
	v_fma_f32 v49, -v49, v57, v56
	v_div_fmas_f32 v49, v49, v55, v57
	s_delay_alu instid0(VALU_DEP_1) | instskip(NEXT) | instid1(VALU_DEP_1)
	v_div_fixup_f32 v48, v49, v48, 1.0
	v_mul_f32_e64 v49, v47, -v48
.LBB38_51:
	s_or_b32 exec_lo, exec_lo, s1
.LBB38_52:
	s_delay_alu instid0(SALU_CYCLE_1) | instskip(NEXT) | instid1(SALU_CYCLE_1)
	s_or_b32 exec_lo, exec_lo, s0
	s_mov_b32 s0, exec_lo
	v_cmpx_ne_u32_e64 v54, v46
	s_xor_b32 s0, exec_lo, s0
	s_cbranch_execz .LBB38_58
; %bb.53:
	s_mov_b32 s1, exec_lo
	v_cmpx_eq_u32_e32 2, v54
	s_cbranch_execz .LBB38_57
; %bb.54:
	v_cmp_ne_u32_e32 vcc_lo, 2, v46
	s_xor_b32 s15, s12, -1
	s_delay_alu instid0(SALU_CYCLE_1) | instskip(NEXT) | instid1(SALU_CYCLE_1)
	s_and_b32 s16, s15, vcc_lo
	s_and_saveexec_b32 s15, s16
	s_cbranch_execz .LBB38_56
; %bb.55:
	v_ashrrev_i32_e32 v47, 31, v46
	s_delay_alu instid0(VALU_DEP_1)
	v_lshl_add_u64 v[54:55], v[46:47], 2, v[36:37]
	s_clause 0x1
	global_load_b32 v47, v[54:55], off
	global_load_b32 v52, v[36:37], off offset:8
	s_wait_loadcnt 0x1
	global_store_b32 v[36:37], v47, off offset:8
	s_wait_loadcnt 0x0
	global_store_b32 v[54:55], v52, off
.LBB38_56:
	s_wait_xcnt 0x0
	s_or_b32 exec_lo, exec_lo, s15
	v_dual_mov_b32 v54, v46 :: v_dual_mov_b32 v52, v46
.LBB38_57:
	s_or_b32 exec_lo, exec_lo, s1
.LBB38_58:
	s_and_not1_saveexec_b32 s0, s0
	s_cbranch_execz .LBB38_60
; %bb.59:
	v_mov_b32_e32 v54, 2
	ds_store_2addr_b64 v50, v[28:29], v[14:15] offset0:3 offset1:4
	ds_store_2addr_b64 v50, v[10:11], v[12:13] offset0:5 offset1:6
	;; [unrolled: 1-line block ×8, first 2 shown]
	ds_store_b64 v50, v[44:45] offset:152
.LBB38_60:
	s_or_b32 exec_lo, exec_lo, s0
	s_delay_alu instid0(SALU_CYCLE_1)
	s_mov_b32 s0, exec_lo
	s_wait_storecnt_dscnt 0x0
	s_barrier_signal -1
	s_barrier_wait -1
	v_cmpx_lt_i32_e32 2, v54
	s_cbranch_execz .LBB38_62
; %bb.61:
	v_pk_mul_f32 v[56:57], v[48:49], v[40:41] op_sel:[1,1] op_sel_hi:[0,1]
	s_delay_alu instid0(VALU_DEP_1)
	v_pk_fma_f32 v[46:47], v[48:49], v[40:41], v[56:57] op_sel_hi:[1,0,1] neg_lo:[0,0,1] neg_hi:[0,0,1]
	v_pk_fma_f32 v[48:49], v[48:49], v[40:41], v[56:57] op_sel_hi:[1,0,1]
	ds_load_2addr_b64 v[56:59], v50 offset0:3 offset1:4
	v_dual_mov_b32 v40, v46 :: v_dual_mov_b32 v41, v49
	s_wait_dscnt 0x0
	v_pk_mul_f32 v[60:61], v[56:57], v[48:49] op_sel:[0,1]
	s_delay_alu instid0(VALU_DEP_1) | instskip(SKIP_1) | instid1(VALU_DEP_1)
	v_pk_fma_f32 v[62:63], v[56:57], v[46:47], v[60:61] op_sel:[0,0,1] op_sel_hi:[1,1,0] neg_lo:[0,0,1] neg_hi:[0,0,1]
	v_pk_fma_f32 v[56:57], v[56:57], v[46:47], v[60:61] op_sel:[0,0,1] op_sel_hi:[1,0,0]
	v_mov_b32_e32 v63, v57
	v_pk_mul_f32 v[56:57], v[58:59], v[48:49] op_sel:[0,1]
	s_delay_alu instid0(VALU_DEP_1) | instskip(SKIP_1) | instid1(VALU_DEP_1)
	v_pk_fma_f32 v[60:61], v[58:59], v[46:47], v[56:57] op_sel:[0,0,1] op_sel_hi:[1,1,0] neg_lo:[0,0,1] neg_hi:[0,0,1]
	v_pk_fma_f32 v[56:57], v[58:59], v[46:47], v[56:57] op_sel:[0,0,1] op_sel_hi:[1,0,0]
	v_mov_b32_e32 v61, v57
	ds_load_2addr_b64 v[56:59], v50 offset0:5 offset1:6
	v_pk_add_f32 v[28:29], v[28:29], v[62:63] neg_lo:[0,1] neg_hi:[0,1]
	v_pk_add_f32 v[14:15], v[14:15], v[60:61] neg_lo:[0,1] neg_hi:[0,1]
	s_wait_dscnt 0x0
	v_pk_mul_f32 v[60:61], v[56:57], v[48:49] op_sel:[0,1]
	s_delay_alu instid0(VALU_DEP_1) | instskip(SKIP_2) | instid1(VALU_DEP_2)
	v_pk_fma_f32 v[62:63], v[56:57], v[46:47], v[60:61] op_sel:[0,0,1] op_sel_hi:[1,1,0] neg_lo:[0,0,1] neg_hi:[0,0,1]
	v_pk_fma_f32 v[56:57], v[56:57], v[46:47], v[60:61] op_sel:[0,0,1] op_sel_hi:[1,0,0]
	v_dual_mul_f32 v60, v59, v49 :: v_dual_mov_b32 v56, v59
	v_dual_mov_b32 v63, v57 :: v_dual_mov_b32 v57, v58
	s_delay_alu instid0(VALU_DEP_2) | instskip(SKIP_1) | instid1(VALU_DEP_3)
	v_pk_fma_f32 v[60:61], v[58:59], v[40:41], v[60:61] op_sel_hi:[1,1,0] neg_lo:[0,0,1] neg_hi:[0,0,1]
	v_mul_f32_e32 v58, v59, v46
	v_pk_add_f32 v[10:11], v[10:11], v[62:63] neg_lo:[0,1] neg_hi:[0,1]
	s_delay_alu instid0(VALU_DEP_2) | instskip(NEXT) | instid1(VALU_DEP_1)
	v_pk_fma_f32 v[56:57], v[56:57], v[40:41], v[58:59] op_sel_hi:[1,1,0]
	v_mov_b32_e32 v61, v57
	ds_load_2addr_b64 v[56:59], v50 offset0:7 offset1:8
	v_pk_add_f32 v[12:13], v[12:13], v[60:61] neg_lo:[0,1] neg_hi:[0,1]
	s_wait_dscnt 0x0
	v_pk_mul_f32 v[60:61], v[56:57], v[48:49] op_sel:[0,1]
	s_delay_alu instid0(VALU_DEP_1) | instskip(SKIP_1) | instid1(VALU_DEP_1)
	v_pk_fma_f32 v[62:63], v[56:57], v[46:47], v[60:61] op_sel:[0,0,1] op_sel_hi:[1,1,0] neg_lo:[0,0,1] neg_hi:[0,0,1]
	v_pk_fma_f32 v[56:57], v[56:57], v[46:47], v[60:61] op_sel:[0,0,1] op_sel_hi:[1,0,0]
	v_mov_b32_e32 v63, v57
	v_pk_mul_f32 v[56:57], v[58:59], v[48:49] op_sel:[0,1]
	s_delay_alu instid0(VALU_DEP_1) | instskip(SKIP_1) | instid1(VALU_DEP_1)
	v_pk_fma_f32 v[60:61], v[58:59], v[46:47], v[56:57] op_sel:[0,0,1] op_sel_hi:[1,1,0] neg_lo:[0,0,1] neg_hi:[0,0,1]
	v_pk_fma_f32 v[56:57], v[58:59], v[46:47], v[56:57] op_sel:[0,0,1] op_sel_hi:[1,0,0]
	v_mov_b32_e32 v61, v57
	ds_load_2addr_b64 v[56:59], v50 offset0:9 offset1:10
	v_pk_add_f32 v[4:5], v[4:5], v[62:63] neg_lo:[0,1] neg_hi:[0,1]
	v_pk_add_f32 v[34:35], v[34:35], v[60:61] neg_lo:[0,1] neg_hi:[0,1]
	s_wait_dscnt 0x0
	v_pk_mul_f32 v[60:61], v[56:57], v[48:49] op_sel:[0,1]
	s_delay_alu instid0(VALU_DEP_1) | instskip(SKIP_1) | instid1(VALU_DEP_1)
	v_pk_fma_f32 v[62:63], v[56:57], v[46:47], v[60:61] op_sel:[0,0,1] op_sel_hi:[1,1,0] neg_lo:[0,0,1] neg_hi:[0,0,1]
	v_pk_fma_f32 v[56:57], v[56:57], v[46:47], v[60:61] op_sel:[0,0,1] op_sel_hi:[1,0,0]
	v_mov_b32_e32 v63, v57
	v_pk_mul_f32 v[56:57], v[58:59], v[48:49] op_sel:[0,1]
	s_delay_alu instid0(VALU_DEP_1) | instskip(SKIP_1) | instid1(VALU_DEP_1)
	v_pk_fma_f32 v[60:61], v[58:59], v[46:47], v[56:57] op_sel:[0,0,1] op_sel_hi:[1,1,0] neg_lo:[0,0,1] neg_hi:[0,0,1]
	v_pk_fma_f32 v[56:57], v[58:59], v[46:47], v[56:57] op_sel:[0,0,1] op_sel_hi:[1,0,0]
	v_mov_b32_e32 v61, v57
	ds_load_2addr_b64 v[56:59], v50 offset0:11 offset1:12
	v_pk_add_f32 v[30:31], v[30:31], v[62:63] neg_lo:[0,1] neg_hi:[0,1]
	v_pk_add_f32 v[32:33], v[32:33], v[60:61] neg_lo:[0,1] neg_hi:[0,1]
	s_wait_dscnt 0x0
	v_dual_mul_f32 v60, v57, v49 :: v_dual_mul_f32 v62, v57, v46
	s_delay_alu instid0(VALU_DEP_1) | instskip(NEXT) | instid1(VALU_DEP_2)
	v_pk_fma_f32 v[60:61], v[56:57], v[40:41], v[60:61] op_sel_hi:[1,1,0] neg_lo:[0,0,1] neg_hi:[0,0,1]
	v_pk_fma_f32 v[56:57], v[56:57], v[40:41], v[62:63] op_sel:[1,0,0] op_sel_hi:[0,1,0]
	s_delay_alu instid0(VALU_DEP_1) | instskip(SKIP_1) | instid1(VALU_DEP_2)
	v_mov_b32_e32 v61, v57
	v_pk_mul_f32 v[56:57], v[58:59], v[48:49] op_sel:[0,1]
	v_pk_add_f32 v[8:9], v[8:9], v[60:61] neg_lo:[0,1] neg_hi:[0,1]
	s_delay_alu instid0(VALU_DEP_2) | instskip(SKIP_1) | instid1(VALU_DEP_1)
	v_pk_fma_f32 v[60:61], v[58:59], v[46:47], v[56:57] op_sel:[0,0,1] op_sel_hi:[1,1,0] neg_lo:[0,0,1] neg_hi:[0,0,1]
	v_pk_fma_f32 v[56:57], v[58:59], v[46:47], v[56:57] op_sel:[0,0,1] op_sel_hi:[1,0,0]
	v_mov_b32_e32 v61, v57
	ds_load_2addr_b64 v[56:59], v50 offset0:13 offset1:14
	v_pk_add_f32 v[26:27], v[26:27], v[60:61] neg_lo:[0,1] neg_hi:[0,1]
	s_wait_dscnt 0x0
	v_pk_mul_f32 v[60:61], v[56:57], v[48:49] op_sel:[0,1]
	s_delay_alu instid0(VALU_DEP_1) | instskip(SKIP_1) | instid1(VALU_DEP_1)
	v_pk_fma_f32 v[62:63], v[56:57], v[46:47], v[60:61] op_sel:[0,0,1] op_sel_hi:[1,1,0] neg_lo:[0,0,1] neg_hi:[0,0,1]
	v_pk_fma_f32 v[56:57], v[56:57], v[46:47], v[60:61] op_sel:[0,0,1] op_sel_hi:[1,0,0]
	v_mov_b32_e32 v63, v57
	v_pk_mul_f32 v[56:57], v[58:59], v[48:49] op_sel:[0,1]
	s_delay_alu instid0(VALU_DEP_2) | instskip(NEXT) | instid1(VALU_DEP_2)
	v_pk_add_f32 v[22:23], v[22:23], v[62:63] neg_lo:[0,1] neg_hi:[0,1]
	v_pk_fma_f32 v[60:61], v[58:59], v[46:47], v[56:57] op_sel:[0,0,1] op_sel_hi:[1,1,0] neg_lo:[0,0,1] neg_hi:[0,0,1]
	v_pk_fma_f32 v[56:57], v[58:59], v[46:47], v[56:57] op_sel:[0,0,1] op_sel_hi:[1,0,0]
	s_delay_alu instid0(VALU_DEP_1) | instskip(SKIP_4) | instid1(VALU_DEP_1)
	v_mov_b32_e32 v61, v57
	ds_load_2addr_b64 v[56:59], v50 offset0:15 offset1:16
	v_pk_add_f32 v[24:25], v[24:25], v[60:61] neg_lo:[0,1] neg_hi:[0,1]
	s_wait_dscnt 0x0
	v_pk_mul_f32 v[60:61], v[56:57], v[48:49] op_sel:[0,1]
	v_pk_fma_f32 v[62:63], v[56:57], v[46:47], v[60:61] op_sel:[0,0,1] op_sel_hi:[1,1,0] neg_lo:[0,0,1] neg_hi:[0,0,1]
	v_pk_fma_f32 v[56:57], v[56:57], v[46:47], v[60:61] op_sel:[0,0,1] op_sel_hi:[1,0,0]
	v_dual_mul_f32 v60, v59, v49 :: v_dual_mov_b32 v56, v59
	s_delay_alu instid0(VALU_DEP_2) | instskip(NEXT) | instid1(VALU_DEP_2)
	v_dual_mov_b32 v63, v57 :: v_dual_mov_b32 v57, v58
	v_pk_fma_f32 v[60:61], v[58:59], v[40:41], v[60:61] op_sel_hi:[1,1,0] neg_lo:[0,0,1] neg_hi:[0,0,1]
	v_mul_f32_e32 v58, v59, v46
	s_delay_alu instid0(VALU_DEP_3) | instskip(NEXT) | instid1(VALU_DEP_2)
	v_pk_add_f32 v[6:7], v[6:7], v[62:63] neg_lo:[0,1] neg_hi:[0,1]
	v_pk_fma_f32 v[56:57], v[56:57], v[40:41], v[58:59] op_sel_hi:[1,1,0]
	s_delay_alu instid0(VALU_DEP_1) | instskip(SKIP_4) | instid1(VALU_DEP_1)
	v_mov_b32_e32 v61, v57
	ds_load_2addr_b64 v[56:59], v50 offset0:17 offset1:18
	v_pk_add_f32 v[20:21], v[20:21], v[60:61] neg_lo:[0,1] neg_hi:[0,1]
	s_wait_dscnt 0x0
	v_pk_mul_f32 v[60:61], v[56:57], v[48:49] op_sel:[0,1]
	v_pk_fma_f32 v[62:63], v[56:57], v[46:47], v[60:61] op_sel:[0,0,1] op_sel_hi:[1,1,0] neg_lo:[0,0,1] neg_hi:[0,0,1]
	v_pk_fma_f32 v[56:57], v[56:57], v[46:47], v[60:61] op_sel:[0,0,1] op_sel_hi:[1,0,0]
	s_delay_alu instid0(VALU_DEP_1) | instskip(SKIP_1) | instid1(VALU_DEP_1)
	v_mov_b32_e32 v63, v57
	v_pk_mul_f32 v[56:57], v[58:59], v[48:49] op_sel:[0,1]
	v_pk_fma_f32 v[60:61], v[58:59], v[46:47], v[56:57] op_sel:[0,0,1] op_sel_hi:[1,1,0] neg_lo:[0,0,1] neg_hi:[0,0,1]
	v_pk_fma_f32 v[56:57], v[58:59], v[46:47], v[56:57] op_sel:[0,0,1] op_sel_hi:[1,0,0]
	s_delay_alu instid0(VALU_DEP_1)
	v_mov_b32_e32 v61, v57
	ds_load_b64 v[56:57], v50 offset:152
	v_pk_add_f32 v[18:19], v[18:19], v[62:63] neg_lo:[0,1] neg_hi:[0,1]
	v_pk_add_f32 v[16:17], v[16:17], v[60:61] neg_lo:[0,1] neg_hi:[0,1]
	s_wait_dscnt 0x0
	v_pk_mul_f32 v[48:49], v[56:57], v[48:49] op_sel:[0,1]
	s_delay_alu instid0(VALU_DEP_1) | instskip(SKIP_1) | instid1(VALU_DEP_1)
	v_pk_fma_f32 v[58:59], v[56:57], v[46:47], v[48:49] op_sel:[0,0,1] op_sel_hi:[1,1,0] neg_lo:[0,0,1] neg_hi:[0,0,1]
	v_pk_fma_f32 v[46:47], v[56:57], v[46:47], v[48:49] op_sel:[0,0,1] op_sel_hi:[1,0,0]
	v_mov_b32_e32 v59, v47
	s_delay_alu instid0(VALU_DEP_1)
	v_pk_add_f32 v[44:45], v[44:45], v[58:59] neg_lo:[0,1] neg_hi:[0,1]
.LBB38_62:
	s_or_b32 exec_lo, exec_lo, s0
	v_lshl_add_u32 v46, v54, 3, v50
	s_barrier_signal -1
	s_barrier_wait -1
	ds_store_b64 v46, v[28:29]
	s_wait_dscnt 0x0
	s_barrier_signal -1
	s_barrier_wait -1
	ds_load_b64 v[48:49], v50 offset:24
	v_mov_b32_e32 v46, 3
	s_cmp_lt_i32 s14, 5
	s_cbranch_scc1 .LBB38_65
; %bb.63:
	v_mov_b32_e32 v46, 3
	v_add3_u32 v47, v51, 0, 32
	s_mov_b32 s0, 4
.LBB38_64:                              ; =>This Inner Loop Header: Depth=1
	ds_load_b64 v[56:57], v47
	s_wait_dscnt 0x1
	v_cmp_gt_f32_e32 vcc_lo, 0, v48
	v_cndmask_b32_e64 v58, v48, -v48, vcc_lo
	v_cmp_gt_f32_e32 vcc_lo, 0, v49
	v_cndmask_b32_e64 v60, v49, -v49, vcc_lo
	s_wait_dscnt 0x0
	v_cmp_gt_f32_e32 vcc_lo, 0, v56
	v_cndmask_b32_e64 v59, v56, -v56, vcc_lo
	v_cmp_gt_f32_e32 vcc_lo, 0, v57
	v_cndmask_b32_e64 v61, v57, -v57, vcc_lo
	s_delay_alu instid0(VALU_DEP_1) | instskip(NEXT) | instid1(VALU_DEP_1)
	v_pk_add_f32 v[58:59], v[58:59], v[60:61]
	v_cmp_lt_f32_e32 vcc_lo, v58, v59
	v_dual_add_nc_u32 v47, 8, v47 :: v_dual_cndmask_b32 v49, v49, v57, vcc_lo
	v_cndmask_b32_e32 v48, v48, v56, vcc_lo
	v_cndmask_b32_e64 v46, v46, s0, vcc_lo
	s_add_co_i32 s0, s0, 1
	s_delay_alu instid0(SALU_CYCLE_1)
	s_cmp_lg_u32 s14, s0
	s_cbranch_scc1 .LBB38_64
.LBB38_65:
	s_wait_dscnt 0x0
	v_cmp_eq_f32_e32 vcc_lo, 0, v48
	v_cmp_eq_f32_e64 s0, 0, v49
	s_and_b32 s0, vcc_lo, s0
	s_delay_alu instid0(SALU_CYCLE_1) | instskip(NEXT) | instid1(SALU_CYCLE_1)
	s_and_saveexec_b32 s1, s0
	s_xor_b32 s0, exec_lo, s1
; %bb.66:
	v_cmp_ne_u32_e32 vcc_lo, 0, v53
	v_cndmask_b32_e32 v53, 4, v53, vcc_lo
; %bb.67:
	s_and_not1_saveexec_b32 s0, s0
	s_cbranch_execz .LBB38_73
; %bb.68:
	v_cmp_ngt_f32_e64 s1, |v48|, |v49|
	s_and_saveexec_b32 s15, s1
	s_delay_alu instid0(SALU_CYCLE_1)
	s_xor_b32 s1, exec_lo, s15
	s_cbranch_execz .LBB38_70
; %bb.69:
	v_div_scale_f32 v47, null, v49, v49, v48
	v_div_scale_f32 v57, vcc_lo, v48, v49, v48
	s_delay_alu instid0(VALU_DEP_2) | instskip(SKIP_1) | instid1(TRANS32_DEP_1)
	v_rcp_f32_e32 v55, v47
	v_nop
	v_fma_f32 v56, -v47, v55, 1.0
	s_delay_alu instid0(VALU_DEP_1) | instskip(NEXT) | instid1(VALU_DEP_1)
	v_fmac_f32_e32 v55, v56, v55
	v_mul_f32_e32 v56, v57, v55
	s_delay_alu instid0(VALU_DEP_1) | instskip(NEXT) | instid1(VALU_DEP_1)
	v_fma_f32 v58, -v47, v56, v57
	v_fmac_f32_e32 v56, v58, v55
	s_delay_alu instid0(VALU_DEP_1) | instskip(NEXT) | instid1(VALU_DEP_1)
	v_fma_f32 v47, -v47, v56, v57
	v_div_fmas_f32 v47, v47, v55, v56
	s_delay_alu instid0(VALU_DEP_1) | instskip(NEXT) | instid1(VALU_DEP_1)
	v_div_fixup_f32 v47, v47, v49, v48
	v_fmac_f32_e32 v49, v48, v47
	s_delay_alu instid0(VALU_DEP_1) | instskip(SKIP_1) | instid1(VALU_DEP_2)
	v_div_scale_f32 v48, null, v49, v49, 1.0
	v_div_scale_f32 v57, vcc_lo, 1.0, v49, 1.0
	v_rcp_f32_e32 v55, v48
	v_nop
	s_delay_alu instid0(TRANS32_DEP_1) | instskip(NEXT) | instid1(VALU_DEP_1)
	v_fma_f32 v56, -v48, v55, 1.0
	v_fmac_f32_e32 v55, v56, v55
	s_delay_alu instid0(VALU_DEP_1) | instskip(NEXT) | instid1(VALU_DEP_1)
	v_mul_f32_e32 v56, v57, v55
	v_fma_f32 v58, -v48, v56, v57
	s_delay_alu instid0(VALU_DEP_1) | instskip(NEXT) | instid1(VALU_DEP_1)
	v_fmac_f32_e32 v56, v58, v55
	v_fma_f32 v48, -v48, v56, v57
	s_delay_alu instid0(VALU_DEP_1) | instskip(NEXT) | instid1(VALU_DEP_1)
	v_div_fmas_f32 v48, v48, v55, v56
	v_div_fixup_f32 v49, v48, v49, 1.0
	s_delay_alu instid0(VALU_DEP_1)
	v_mul_f32_e32 v48, v47, v49
	v_xor_b32_e32 v49, 0x80000000, v49
.LBB38_70:
	s_and_not1_saveexec_b32 s1, s1
	s_cbranch_execz .LBB38_72
; %bb.71:
	s_delay_alu instid0(VALU_DEP_1) | instskip(SKIP_1) | instid1(VALU_DEP_2)
	v_div_scale_f32 v47, null, v48, v48, v49
	v_div_scale_f32 v57, vcc_lo, v49, v48, v49
	v_rcp_f32_e32 v55, v47
	v_nop
	s_delay_alu instid0(TRANS32_DEP_1) | instskip(NEXT) | instid1(VALU_DEP_1)
	v_fma_f32 v56, -v47, v55, 1.0
	v_fmac_f32_e32 v55, v56, v55
	s_delay_alu instid0(VALU_DEP_1) | instskip(NEXT) | instid1(VALU_DEP_1)
	v_mul_f32_e32 v56, v57, v55
	v_fma_f32 v58, -v47, v56, v57
	s_delay_alu instid0(VALU_DEP_1) | instskip(NEXT) | instid1(VALU_DEP_1)
	v_fmac_f32_e32 v56, v58, v55
	v_fma_f32 v47, -v47, v56, v57
	s_delay_alu instid0(VALU_DEP_1) | instskip(NEXT) | instid1(VALU_DEP_1)
	v_div_fmas_f32 v47, v47, v55, v56
	v_div_fixup_f32 v47, v47, v48, v49
	s_delay_alu instid0(VALU_DEP_1) | instskip(NEXT) | instid1(VALU_DEP_1)
	v_fmac_f32_e32 v48, v49, v47
	v_div_scale_f32 v49, null, v48, v48, 1.0
	s_delay_alu instid0(VALU_DEP_1) | instskip(SKIP_1) | instid1(TRANS32_DEP_1)
	v_rcp_f32_e32 v55, v49
	v_nop
	v_fma_f32 v56, -v49, v55, 1.0
	s_delay_alu instid0(VALU_DEP_1) | instskip(SKIP_1) | instid1(VALU_DEP_1)
	v_fmac_f32_e32 v55, v56, v55
	v_div_scale_f32 v56, vcc_lo, 1.0, v48, 1.0
	v_mul_f32_e32 v57, v56, v55
	s_delay_alu instid0(VALU_DEP_1) | instskip(NEXT) | instid1(VALU_DEP_1)
	v_fma_f32 v58, -v49, v57, v56
	v_fmac_f32_e32 v57, v58, v55
	s_delay_alu instid0(VALU_DEP_1) | instskip(NEXT) | instid1(VALU_DEP_1)
	v_fma_f32 v49, -v49, v57, v56
	v_div_fmas_f32 v49, v49, v55, v57
	s_delay_alu instid0(VALU_DEP_1) | instskip(NEXT) | instid1(VALU_DEP_1)
	v_div_fixup_f32 v48, v49, v48, 1.0
	v_mul_f32_e64 v49, v47, -v48
.LBB38_72:
	s_or_b32 exec_lo, exec_lo, s1
.LBB38_73:
	s_delay_alu instid0(SALU_CYCLE_1) | instskip(NEXT) | instid1(SALU_CYCLE_1)
	s_or_b32 exec_lo, exec_lo, s0
	s_mov_b32 s0, exec_lo
	v_cmpx_ne_u32_e64 v54, v46
	s_xor_b32 s0, exec_lo, s0
	s_cbranch_execz .LBB38_79
; %bb.74:
	s_mov_b32 s1, exec_lo
	v_cmpx_eq_u32_e32 3, v54
	s_cbranch_execz .LBB38_78
; %bb.75:
	v_cmp_ne_u32_e32 vcc_lo, 3, v46
	s_xor_b32 s15, s12, -1
	s_delay_alu instid0(SALU_CYCLE_1) | instskip(NEXT) | instid1(SALU_CYCLE_1)
	s_and_b32 s16, s15, vcc_lo
	s_and_saveexec_b32 s15, s16
	s_cbranch_execz .LBB38_77
; %bb.76:
	v_ashrrev_i32_e32 v47, 31, v46
	s_delay_alu instid0(VALU_DEP_1)
	v_lshl_add_u64 v[54:55], v[46:47], 2, v[36:37]
	s_clause 0x1
	global_load_b32 v47, v[54:55], off
	global_load_b32 v52, v[36:37], off offset:12
	s_wait_loadcnt 0x1
	global_store_b32 v[36:37], v47, off offset:12
	s_wait_loadcnt 0x0
	global_store_b32 v[54:55], v52, off
.LBB38_77:
	s_wait_xcnt 0x0
	s_or_b32 exec_lo, exec_lo, s15
	v_dual_mov_b32 v54, v46 :: v_dual_mov_b32 v52, v46
.LBB38_78:
	s_or_b32 exec_lo, exec_lo, s1
.LBB38_79:
	s_and_not1_saveexec_b32 s0, s0
	s_cbranch_execz .LBB38_81
; %bb.80:
	v_dual_mov_b32 v46, v14 :: v_dual_mov_b32 v47, v15
	v_dual_mov_b32 v54, v10 :: v_dual_mov_b32 v55, v11
	;; [unrolled: 1-line block ×8, first 2 shown]
	ds_store_2addr_b64 v50, v[46:47], v[54:55] offset0:4 offset1:5
	ds_store_2addr_b64 v50, v[56:57], v[58:59] offset0:6 offset1:7
	ds_store_2addr_b64 v50, v[60:61], v[62:63] offset0:8 offset1:9
	ds_store_2addr_b64 v50, v[64:65], v[66:67] offset0:10 offset1:11
	v_dual_mov_b32 v46, v26 :: v_dual_mov_b32 v47, v27
	v_dual_mov_b32 v56, v22 :: v_dual_mov_b32 v57, v23
	;; [unrolled: 1-line block ×7, first 2 shown]
	v_mov_b32_e32 v67, v17
	ds_store_2addr_b64 v50, v[46:47], v[56:57] offset0:12 offset1:13
	ds_store_2addr_b64 v50, v[58:59], v[60:61] offset0:14 offset1:15
	;; [unrolled: 1-line block ×4, first 2 shown]
.LBB38_81:
	s_or_b32 exec_lo, exec_lo, s0
	s_delay_alu instid0(SALU_CYCLE_1)
	s_mov_b32 s0, exec_lo
	s_wait_storecnt_dscnt 0x0
	s_barrier_signal -1
	s_barrier_wait -1
	v_cmpx_lt_i32_e32 3, v54
	s_cbranch_execz .LBB38_83
; %bb.82:
	v_pk_mul_f32 v[56:57], v[48:49], v[28:29] op_sel:[1,1] op_sel_hi:[0,1]
	s_delay_alu instid0(VALU_DEP_1)
	v_pk_fma_f32 v[46:47], v[48:49], v[28:29], v[56:57] op_sel_hi:[1,0,1] neg_lo:[0,0,1] neg_hi:[0,0,1]
	v_pk_fma_f32 v[48:49], v[48:49], v[28:29], v[56:57] op_sel_hi:[1,0,1]
	ds_load_2addr_b64 v[56:59], v50 offset0:4 offset1:5
	v_dual_mov_b32 v28, v46 :: v_dual_mov_b32 v29, v49
	s_wait_dscnt 0x0
	v_pk_mul_f32 v[60:61], v[56:57], v[48:49] op_sel:[0,1]
	s_delay_alu instid0(VALU_DEP_1) | instskip(SKIP_1) | instid1(VALU_DEP_1)
	v_pk_fma_f32 v[62:63], v[56:57], v[46:47], v[60:61] op_sel:[0,0,1] op_sel_hi:[1,1,0] neg_lo:[0,0,1] neg_hi:[0,0,1]
	v_pk_fma_f32 v[56:57], v[56:57], v[46:47], v[60:61] op_sel:[0,0,1] op_sel_hi:[1,0,0]
	v_mov_b32_e32 v63, v57
	v_pk_mul_f32 v[56:57], v[58:59], v[48:49] op_sel:[0,1]
	s_delay_alu instid0(VALU_DEP_1) | instskip(SKIP_1) | instid1(VALU_DEP_1)
	v_pk_fma_f32 v[60:61], v[58:59], v[46:47], v[56:57] op_sel:[0,0,1] op_sel_hi:[1,1,0] neg_lo:[0,0,1] neg_hi:[0,0,1]
	v_pk_fma_f32 v[56:57], v[58:59], v[46:47], v[56:57] op_sel:[0,0,1] op_sel_hi:[1,0,0]
	v_mov_b32_e32 v61, v57
	ds_load_2addr_b64 v[56:59], v50 offset0:6 offset1:7
	v_pk_add_f32 v[14:15], v[14:15], v[62:63] neg_lo:[0,1] neg_hi:[0,1]
	v_pk_add_f32 v[10:11], v[10:11], v[60:61] neg_lo:[0,1] neg_hi:[0,1]
	s_wait_dscnt 0x0
	v_pk_mul_f32 v[60:61], v[56:57], v[48:49] op_sel:[0,1]
	s_delay_alu instid0(VALU_DEP_1) | instskip(SKIP_2) | instid1(VALU_DEP_2)
	v_pk_fma_f32 v[62:63], v[56:57], v[46:47], v[60:61] op_sel:[0,0,1] op_sel_hi:[1,1,0] neg_lo:[0,0,1] neg_hi:[0,0,1]
	v_pk_fma_f32 v[56:57], v[56:57], v[46:47], v[60:61] op_sel:[0,0,1] op_sel_hi:[1,0,0]
	v_dual_mul_f32 v60, v59, v49 :: v_dual_mov_b32 v56, v59
	v_dual_mov_b32 v63, v57 :: v_dual_mov_b32 v57, v58
	s_delay_alu instid0(VALU_DEP_2) | instskip(SKIP_1) | instid1(VALU_DEP_3)
	v_pk_fma_f32 v[60:61], v[58:59], v[28:29], v[60:61] op_sel_hi:[1,1,0] neg_lo:[0,0,1] neg_hi:[0,0,1]
	v_mul_f32_e32 v58, v59, v46
	v_pk_add_f32 v[12:13], v[12:13], v[62:63] neg_lo:[0,1] neg_hi:[0,1]
	s_delay_alu instid0(VALU_DEP_2) | instskip(NEXT) | instid1(VALU_DEP_1)
	v_pk_fma_f32 v[56:57], v[56:57], v[28:29], v[58:59] op_sel_hi:[1,1,0]
	v_mov_b32_e32 v61, v57
	ds_load_2addr_b64 v[56:59], v50 offset0:8 offset1:9
	v_pk_add_f32 v[4:5], v[4:5], v[60:61] neg_lo:[0,1] neg_hi:[0,1]
	s_wait_dscnt 0x0
	v_pk_mul_f32 v[60:61], v[56:57], v[48:49] op_sel:[0,1]
	s_delay_alu instid0(VALU_DEP_1) | instskip(SKIP_1) | instid1(VALU_DEP_1)
	v_pk_fma_f32 v[62:63], v[56:57], v[46:47], v[60:61] op_sel:[0,0,1] op_sel_hi:[1,1,0] neg_lo:[0,0,1] neg_hi:[0,0,1]
	v_pk_fma_f32 v[56:57], v[56:57], v[46:47], v[60:61] op_sel:[0,0,1] op_sel_hi:[1,0,0]
	v_mov_b32_e32 v63, v57
	v_pk_mul_f32 v[56:57], v[58:59], v[48:49] op_sel:[0,1]
	s_delay_alu instid0(VALU_DEP_1) | instskip(SKIP_1) | instid1(VALU_DEP_1)
	v_pk_fma_f32 v[60:61], v[58:59], v[46:47], v[56:57] op_sel:[0,0,1] op_sel_hi:[1,1,0] neg_lo:[0,0,1] neg_hi:[0,0,1]
	v_pk_fma_f32 v[56:57], v[58:59], v[46:47], v[56:57] op_sel:[0,0,1] op_sel_hi:[1,0,0]
	v_mov_b32_e32 v61, v57
	ds_load_2addr_b64 v[56:59], v50 offset0:10 offset1:11
	v_pk_add_f32 v[34:35], v[34:35], v[62:63] neg_lo:[0,1] neg_hi:[0,1]
	v_pk_add_f32 v[30:31], v[30:31], v[60:61] neg_lo:[0,1] neg_hi:[0,1]
	s_wait_dscnt 0x0
	v_pk_mul_f32 v[60:61], v[56:57], v[48:49] op_sel:[0,1]
	s_delay_alu instid0(VALU_DEP_1) | instskip(SKIP_1) | instid1(VALU_DEP_1)
	v_pk_fma_f32 v[62:63], v[56:57], v[46:47], v[60:61] op_sel:[0,0,1] op_sel_hi:[1,1,0] neg_lo:[0,0,1] neg_hi:[0,0,1]
	v_pk_fma_f32 v[56:57], v[56:57], v[46:47], v[60:61] op_sel:[0,0,1] op_sel_hi:[1,0,0]
	v_mov_b32_e32 v63, v57
	v_pk_mul_f32 v[56:57], v[58:59], v[48:49] op_sel:[0,1]
	s_delay_alu instid0(VALU_DEP_1) | instskip(SKIP_1) | instid1(VALU_DEP_1)
	v_pk_fma_f32 v[60:61], v[58:59], v[46:47], v[56:57] op_sel:[0,0,1] op_sel_hi:[1,1,0] neg_lo:[0,0,1] neg_hi:[0,0,1]
	v_pk_fma_f32 v[56:57], v[58:59], v[46:47], v[56:57] op_sel:[0,0,1] op_sel_hi:[1,0,0]
	v_mov_b32_e32 v61, v57
	ds_load_2addr_b64 v[56:59], v50 offset0:12 offset1:13
	v_pk_add_f32 v[32:33], v[32:33], v[62:63] neg_lo:[0,1] neg_hi:[0,1]
	v_pk_add_f32 v[8:9], v[8:9], v[60:61] neg_lo:[0,1] neg_hi:[0,1]
	s_wait_dscnt 0x0
	v_dual_mul_f32 v60, v57, v49 :: v_dual_mul_f32 v62, v57, v46
	s_delay_alu instid0(VALU_DEP_1) | instskip(NEXT) | instid1(VALU_DEP_2)
	v_pk_fma_f32 v[60:61], v[56:57], v[28:29], v[60:61] op_sel_hi:[1,1,0] neg_lo:[0,0,1] neg_hi:[0,0,1]
	v_pk_fma_f32 v[56:57], v[56:57], v[28:29], v[62:63] op_sel:[1,0,0] op_sel_hi:[0,1,0]
	s_delay_alu instid0(VALU_DEP_1) | instskip(SKIP_1) | instid1(VALU_DEP_2)
	v_mov_b32_e32 v61, v57
	v_pk_mul_f32 v[56:57], v[58:59], v[48:49] op_sel:[0,1]
	v_pk_add_f32 v[26:27], v[26:27], v[60:61] neg_lo:[0,1] neg_hi:[0,1]
	s_delay_alu instid0(VALU_DEP_2) | instskip(SKIP_1) | instid1(VALU_DEP_1)
	v_pk_fma_f32 v[60:61], v[58:59], v[46:47], v[56:57] op_sel:[0,0,1] op_sel_hi:[1,1,0] neg_lo:[0,0,1] neg_hi:[0,0,1]
	v_pk_fma_f32 v[56:57], v[58:59], v[46:47], v[56:57] op_sel:[0,0,1] op_sel_hi:[1,0,0]
	v_mov_b32_e32 v61, v57
	ds_load_2addr_b64 v[56:59], v50 offset0:14 offset1:15
	v_pk_add_f32 v[22:23], v[22:23], v[60:61] neg_lo:[0,1] neg_hi:[0,1]
	s_wait_dscnt 0x0
	v_pk_mul_f32 v[60:61], v[56:57], v[48:49] op_sel:[0,1]
	s_delay_alu instid0(VALU_DEP_1) | instskip(SKIP_1) | instid1(VALU_DEP_1)
	v_pk_fma_f32 v[62:63], v[56:57], v[46:47], v[60:61] op_sel:[0,0,1] op_sel_hi:[1,1,0] neg_lo:[0,0,1] neg_hi:[0,0,1]
	v_pk_fma_f32 v[56:57], v[56:57], v[46:47], v[60:61] op_sel:[0,0,1] op_sel_hi:[1,0,0]
	v_mov_b32_e32 v63, v57
	v_pk_mul_f32 v[56:57], v[58:59], v[48:49] op_sel:[0,1]
	s_delay_alu instid0(VALU_DEP_2) | instskip(NEXT) | instid1(VALU_DEP_2)
	v_pk_add_f32 v[24:25], v[24:25], v[62:63] neg_lo:[0,1] neg_hi:[0,1]
	v_pk_fma_f32 v[60:61], v[58:59], v[46:47], v[56:57] op_sel:[0,0,1] op_sel_hi:[1,1,0] neg_lo:[0,0,1] neg_hi:[0,0,1]
	v_pk_fma_f32 v[56:57], v[58:59], v[46:47], v[56:57] op_sel:[0,0,1] op_sel_hi:[1,0,0]
	s_delay_alu instid0(VALU_DEP_1) | instskip(SKIP_4) | instid1(VALU_DEP_1)
	v_mov_b32_e32 v61, v57
	ds_load_2addr_b64 v[56:59], v50 offset0:16 offset1:17
	v_pk_add_f32 v[6:7], v[6:7], v[60:61] neg_lo:[0,1] neg_hi:[0,1]
	s_wait_dscnt 0x0
	v_pk_mul_f32 v[60:61], v[56:57], v[48:49] op_sel:[0,1]
	v_pk_fma_f32 v[62:63], v[56:57], v[46:47], v[60:61] op_sel:[0,0,1] op_sel_hi:[1,1,0] neg_lo:[0,0,1] neg_hi:[0,0,1]
	v_pk_fma_f32 v[56:57], v[56:57], v[46:47], v[60:61] op_sel:[0,0,1] op_sel_hi:[1,0,0]
	v_dual_mul_f32 v60, v59, v49 :: v_dual_mov_b32 v56, v59
	s_delay_alu instid0(VALU_DEP_2) | instskip(NEXT) | instid1(VALU_DEP_2)
	v_dual_mov_b32 v63, v57 :: v_dual_mov_b32 v57, v58
	v_pk_fma_f32 v[60:61], v[58:59], v[28:29], v[60:61] op_sel_hi:[1,1,0] neg_lo:[0,0,1] neg_hi:[0,0,1]
	v_mul_f32_e32 v58, v59, v46
	s_delay_alu instid0(VALU_DEP_3) | instskip(NEXT) | instid1(VALU_DEP_2)
	v_pk_add_f32 v[20:21], v[20:21], v[62:63] neg_lo:[0,1] neg_hi:[0,1]
	v_pk_fma_f32 v[56:57], v[56:57], v[28:29], v[58:59] op_sel_hi:[1,1,0]
	s_delay_alu instid0(VALU_DEP_1)
	v_mov_b32_e32 v61, v57
	ds_load_2addr_b64 v[56:59], v50 offset0:18 offset1:19
	v_pk_add_f32 v[18:19], v[18:19], v[60:61] neg_lo:[0,1] neg_hi:[0,1]
	s_wait_dscnt 0x0
	v_pk_mul_f32 v[60:61], v[56:57], v[48:49] op_sel:[0,1]
	v_pk_mul_f32 v[48:49], v[58:59], v[48:49] op_sel:[0,1]
	s_delay_alu instid0(VALU_DEP_2) | instskip(SKIP_1) | instid1(VALU_DEP_1)
	v_pk_fma_f32 v[62:63], v[56:57], v[46:47], v[60:61] op_sel:[0,0,1] op_sel_hi:[1,1,0] neg_lo:[0,0,1] neg_hi:[0,0,1]
	v_pk_fma_f32 v[56:57], v[56:57], v[46:47], v[60:61] op_sel:[0,0,1] op_sel_hi:[1,0,0]
	v_mov_b32_e32 v63, v57
	s_delay_alu instid0(VALU_DEP_4) | instskip(SKIP_1) | instid1(VALU_DEP_1)
	v_pk_fma_f32 v[56:57], v[58:59], v[46:47], v[48:49] op_sel:[0,0,1] op_sel_hi:[1,1,0] neg_lo:[0,0,1] neg_hi:[0,0,1]
	v_pk_fma_f32 v[46:47], v[58:59], v[46:47], v[48:49] op_sel:[0,0,1] op_sel_hi:[1,0,0]
	v_mov_b32_e32 v57, v47
	s_delay_alu instid0(VALU_DEP_4) | instskip(NEXT) | instid1(VALU_DEP_2)
	v_pk_add_f32 v[16:17], v[16:17], v[62:63] neg_lo:[0,1] neg_hi:[0,1]
	v_pk_add_f32 v[44:45], v[44:45], v[56:57] neg_lo:[0,1] neg_hi:[0,1]
.LBB38_83:
	s_or_b32 exec_lo, exec_lo, s0
	v_lshl_add_u32 v46, v54, 3, v50
	s_barrier_signal -1
	s_barrier_wait -1
	ds_store_b64 v46, v[14:15]
	s_wait_dscnt 0x0
	s_barrier_signal -1
	s_barrier_wait -1
	ds_load_b64 v[48:49], v50 offset:32
	v_mov_b32_e32 v46, 4
	s_cmp_lt_i32 s14, 6
	s_cbranch_scc1 .LBB38_86
; %bb.84:
	v_add3_u32 v47, v51, 0, 40
	v_mov_b32_e32 v46, 4
	s_mov_b32 s0, 5
.LBB38_85:                              ; =>This Inner Loop Header: Depth=1
	ds_load_b64 v[56:57], v47
	s_wait_dscnt 0x1
	v_cmp_gt_f32_e32 vcc_lo, 0, v48
	v_cndmask_b32_e64 v58, v48, -v48, vcc_lo
	v_cmp_gt_f32_e32 vcc_lo, 0, v49
	v_cndmask_b32_e64 v60, v49, -v49, vcc_lo
	s_wait_dscnt 0x0
	v_cmp_gt_f32_e32 vcc_lo, 0, v56
	v_cndmask_b32_e64 v59, v56, -v56, vcc_lo
	v_cmp_gt_f32_e32 vcc_lo, 0, v57
	v_cndmask_b32_e64 v61, v57, -v57, vcc_lo
	s_delay_alu instid0(VALU_DEP_1) | instskip(NEXT) | instid1(VALU_DEP_1)
	v_pk_add_f32 v[58:59], v[58:59], v[60:61]
	v_cmp_lt_f32_e32 vcc_lo, v58, v59
	v_dual_add_nc_u32 v47, 8, v47 :: v_dual_cndmask_b32 v49, v49, v57, vcc_lo
	v_cndmask_b32_e32 v48, v48, v56, vcc_lo
	v_cndmask_b32_e64 v46, v46, s0, vcc_lo
	s_add_co_i32 s0, s0, 1
	s_delay_alu instid0(SALU_CYCLE_1)
	s_cmp_lg_u32 s14, s0
	s_cbranch_scc1 .LBB38_85
.LBB38_86:
	s_wait_dscnt 0x0
	v_cmp_eq_f32_e32 vcc_lo, 0, v48
	v_cmp_eq_f32_e64 s0, 0, v49
	s_and_b32 s0, vcc_lo, s0
	s_delay_alu instid0(SALU_CYCLE_1) | instskip(NEXT) | instid1(SALU_CYCLE_1)
	s_and_saveexec_b32 s1, s0
	s_xor_b32 s0, exec_lo, s1
; %bb.87:
	v_cmp_ne_u32_e32 vcc_lo, 0, v53
	v_cndmask_b32_e32 v53, 5, v53, vcc_lo
; %bb.88:
	s_and_not1_saveexec_b32 s0, s0
	s_cbranch_execz .LBB38_94
; %bb.89:
	v_cmp_ngt_f32_e64 s1, |v48|, |v49|
	s_and_saveexec_b32 s15, s1
	s_delay_alu instid0(SALU_CYCLE_1)
	s_xor_b32 s1, exec_lo, s15
	s_cbranch_execz .LBB38_91
; %bb.90:
	v_div_scale_f32 v47, null, v49, v49, v48
	v_div_scale_f32 v57, vcc_lo, v48, v49, v48
	s_delay_alu instid0(VALU_DEP_2) | instskip(SKIP_1) | instid1(TRANS32_DEP_1)
	v_rcp_f32_e32 v55, v47
	v_nop
	v_fma_f32 v56, -v47, v55, 1.0
	s_delay_alu instid0(VALU_DEP_1) | instskip(NEXT) | instid1(VALU_DEP_1)
	v_fmac_f32_e32 v55, v56, v55
	v_mul_f32_e32 v56, v57, v55
	s_delay_alu instid0(VALU_DEP_1) | instskip(NEXT) | instid1(VALU_DEP_1)
	v_fma_f32 v58, -v47, v56, v57
	v_fmac_f32_e32 v56, v58, v55
	s_delay_alu instid0(VALU_DEP_1) | instskip(NEXT) | instid1(VALU_DEP_1)
	v_fma_f32 v47, -v47, v56, v57
	v_div_fmas_f32 v47, v47, v55, v56
	s_delay_alu instid0(VALU_DEP_1) | instskip(NEXT) | instid1(VALU_DEP_1)
	v_div_fixup_f32 v47, v47, v49, v48
	v_fmac_f32_e32 v49, v48, v47
	s_delay_alu instid0(VALU_DEP_1) | instskip(SKIP_1) | instid1(VALU_DEP_2)
	v_div_scale_f32 v48, null, v49, v49, 1.0
	v_div_scale_f32 v57, vcc_lo, 1.0, v49, 1.0
	v_rcp_f32_e32 v55, v48
	v_nop
	s_delay_alu instid0(TRANS32_DEP_1) | instskip(NEXT) | instid1(VALU_DEP_1)
	v_fma_f32 v56, -v48, v55, 1.0
	v_fmac_f32_e32 v55, v56, v55
	s_delay_alu instid0(VALU_DEP_1) | instskip(NEXT) | instid1(VALU_DEP_1)
	v_mul_f32_e32 v56, v57, v55
	v_fma_f32 v58, -v48, v56, v57
	s_delay_alu instid0(VALU_DEP_1) | instskip(NEXT) | instid1(VALU_DEP_1)
	v_fmac_f32_e32 v56, v58, v55
	v_fma_f32 v48, -v48, v56, v57
	s_delay_alu instid0(VALU_DEP_1) | instskip(NEXT) | instid1(VALU_DEP_1)
	v_div_fmas_f32 v48, v48, v55, v56
	v_div_fixup_f32 v49, v48, v49, 1.0
	s_delay_alu instid0(VALU_DEP_1)
	v_mul_f32_e32 v48, v47, v49
	v_xor_b32_e32 v49, 0x80000000, v49
.LBB38_91:
	s_and_not1_saveexec_b32 s1, s1
	s_cbranch_execz .LBB38_93
; %bb.92:
	s_delay_alu instid0(VALU_DEP_1) | instskip(SKIP_1) | instid1(VALU_DEP_2)
	v_div_scale_f32 v47, null, v48, v48, v49
	v_div_scale_f32 v57, vcc_lo, v49, v48, v49
	v_rcp_f32_e32 v55, v47
	v_nop
	s_delay_alu instid0(TRANS32_DEP_1) | instskip(NEXT) | instid1(VALU_DEP_1)
	v_fma_f32 v56, -v47, v55, 1.0
	v_fmac_f32_e32 v55, v56, v55
	s_delay_alu instid0(VALU_DEP_1) | instskip(NEXT) | instid1(VALU_DEP_1)
	v_mul_f32_e32 v56, v57, v55
	v_fma_f32 v58, -v47, v56, v57
	s_delay_alu instid0(VALU_DEP_1) | instskip(NEXT) | instid1(VALU_DEP_1)
	v_fmac_f32_e32 v56, v58, v55
	v_fma_f32 v47, -v47, v56, v57
	s_delay_alu instid0(VALU_DEP_1) | instskip(NEXT) | instid1(VALU_DEP_1)
	v_div_fmas_f32 v47, v47, v55, v56
	v_div_fixup_f32 v47, v47, v48, v49
	s_delay_alu instid0(VALU_DEP_1) | instskip(NEXT) | instid1(VALU_DEP_1)
	v_fmac_f32_e32 v48, v49, v47
	v_div_scale_f32 v49, null, v48, v48, 1.0
	s_delay_alu instid0(VALU_DEP_1) | instskip(SKIP_1) | instid1(TRANS32_DEP_1)
	v_rcp_f32_e32 v55, v49
	v_nop
	v_fma_f32 v56, -v49, v55, 1.0
	s_delay_alu instid0(VALU_DEP_1) | instskip(SKIP_1) | instid1(VALU_DEP_1)
	v_fmac_f32_e32 v55, v56, v55
	v_div_scale_f32 v56, vcc_lo, 1.0, v48, 1.0
	v_mul_f32_e32 v57, v56, v55
	s_delay_alu instid0(VALU_DEP_1) | instskip(NEXT) | instid1(VALU_DEP_1)
	v_fma_f32 v58, -v49, v57, v56
	v_fmac_f32_e32 v57, v58, v55
	s_delay_alu instid0(VALU_DEP_1) | instskip(NEXT) | instid1(VALU_DEP_1)
	v_fma_f32 v49, -v49, v57, v56
	v_div_fmas_f32 v49, v49, v55, v57
	s_delay_alu instid0(VALU_DEP_1) | instskip(NEXT) | instid1(VALU_DEP_1)
	v_div_fixup_f32 v48, v49, v48, 1.0
	v_mul_f32_e64 v49, v47, -v48
.LBB38_93:
	s_or_b32 exec_lo, exec_lo, s1
.LBB38_94:
	s_delay_alu instid0(SALU_CYCLE_1) | instskip(NEXT) | instid1(SALU_CYCLE_1)
	s_or_b32 exec_lo, exec_lo, s0
	s_mov_b32 s0, exec_lo
	v_cmpx_ne_u32_e64 v54, v46
	s_xor_b32 s0, exec_lo, s0
	s_cbranch_execz .LBB38_100
; %bb.95:
	s_mov_b32 s1, exec_lo
	v_cmpx_eq_u32_e32 4, v54
	s_cbranch_execz .LBB38_99
; %bb.96:
	v_cmp_ne_u32_e32 vcc_lo, 4, v46
	s_xor_b32 s15, s12, -1
	s_delay_alu instid0(SALU_CYCLE_1) | instskip(NEXT) | instid1(SALU_CYCLE_1)
	s_and_b32 s16, s15, vcc_lo
	s_and_saveexec_b32 s15, s16
	s_cbranch_execz .LBB38_98
; %bb.97:
	v_ashrrev_i32_e32 v47, 31, v46
	s_delay_alu instid0(VALU_DEP_1)
	v_lshl_add_u64 v[54:55], v[46:47], 2, v[36:37]
	s_clause 0x1
	global_load_b32 v47, v[54:55], off
	global_load_b32 v52, v[36:37], off offset:16
	s_wait_loadcnt 0x1
	global_store_b32 v[36:37], v47, off offset:16
	s_wait_loadcnt 0x0
	global_store_b32 v[54:55], v52, off
.LBB38_98:
	s_wait_xcnt 0x0
	s_or_b32 exec_lo, exec_lo, s15
	v_dual_mov_b32 v54, v46 :: v_dual_mov_b32 v52, v46
.LBB38_99:
	s_or_b32 exec_lo, exec_lo, s1
.LBB38_100:
	s_and_not1_saveexec_b32 s0, s0
	s_cbranch_execz .LBB38_102
; %bb.101:
	v_mov_b32_e32 v54, 4
	ds_store_2addr_b64 v50, v[10:11], v[12:13] offset0:5 offset1:6
	ds_store_2addr_b64 v50, v[4:5], v[34:35] offset0:7 offset1:8
	;; [unrolled: 1-line block ×7, first 2 shown]
	ds_store_b64 v50, v[44:45] offset:152
.LBB38_102:
	s_or_b32 exec_lo, exec_lo, s0
	s_delay_alu instid0(SALU_CYCLE_1)
	s_mov_b32 s0, exec_lo
	s_wait_storecnt_dscnt 0x0
	s_barrier_signal -1
	s_barrier_wait -1
	v_cmpx_lt_i32_e32 4, v54
	s_cbranch_execz .LBB38_104
; %bb.103:
	v_pk_mul_f32 v[56:57], v[48:49], v[14:15] op_sel:[1,1] op_sel_hi:[0,1]
	s_delay_alu instid0(VALU_DEP_1)
	v_pk_fma_f32 v[46:47], v[48:49], v[14:15], v[56:57] op_sel_hi:[1,0,1] neg_lo:[0,0,1] neg_hi:[0,0,1]
	v_pk_fma_f32 v[48:49], v[48:49], v[14:15], v[56:57] op_sel_hi:[1,0,1]
	ds_load_2addr_b64 v[56:59], v50 offset0:5 offset1:6
	v_dual_mov_b32 v14, v46 :: v_dual_mov_b32 v15, v49
	s_wait_dscnt 0x0
	v_pk_mul_f32 v[60:61], v[56:57], v[48:49] op_sel:[0,1]
	s_delay_alu instid0(VALU_DEP_1) | instskip(SKIP_1) | instid1(VALU_DEP_1)
	v_pk_fma_f32 v[62:63], v[56:57], v[46:47], v[60:61] op_sel:[0,0,1] op_sel_hi:[1,1,0] neg_lo:[0,0,1] neg_hi:[0,0,1]
	v_pk_fma_f32 v[56:57], v[56:57], v[46:47], v[60:61] op_sel:[0,0,1] op_sel_hi:[1,0,0]
	v_mov_b32_e32 v63, v57
	v_pk_mul_f32 v[56:57], v[58:59], v[48:49] op_sel:[0,1]
	s_delay_alu instid0(VALU_DEP_1) | instskip(SKIP_1) | instid1(VALU_DEP_1)
	v_pk_fma_f32 v[60:61], v[58:59], v[46:47], v[56:57] op_sel:[0,0,1] op_sel_hi:[1,1,0] neg_lo:[0,0,1] neg_hi:[0,0,1]
	v_pk_fma_f32 v[56:57], v[58:59], v[46:47], v[56:57] op_sel:[0,0,1] op_sel_hi:[1,0,0]
	v_mov_b32_e32 v61, v57
	ds_load_2addr_b64 v[56:59], v50 offset0:7 offset1:8
	v_pk_add_f32 v[10:11], v[10:11], v[62:63] neg_lo:[0,1] neg_hi:[0,1]
	v_pk_add_f32 v[12:13], v[12:13], v[60:61] neg_lo:[0,1] neg_hi:[0,1]
	s_wait_dscnt 0x0
	v_pk_mul_f32 v[60:61], v[56:57], v[48:49] op_sel:[0,1]
	s_delay_alu instid0(VALU_DEP_1) | instskip(SKIP_2) | instid1(VALU_DEP_2)
	v_pk_fma_f32 v[62:63], v[56:57], v[46:47], v[60:61] op_sel:[0,0,1] op_sel_hi:[1,1,0] neg_lo:[0,0,1] neg_hi:[0,0,1]
	v_pk_fma_f32 v[56:57], v[56:57], v[46:47], v[60:61] op_sel:[0,0,1] op_sel_hi:[1,0,0]
	v_dual_mul_f32 v60, v59, v49 :: v_dual_mov_b32 v56, v59
	v_dual_mov_b32 v63, v57 :: v_dual_mov_b32 v57, v58
	s_delay_alu instid0(VALU_DEP_2) | instskip(SKIP_1) | instid1(VALU_DEP_3)
	v_pk_fma_f32 v[60:61], v[58:59], v[14:15], v[60:61] op_sel_hi:[1,1,0] neg_lo:[0,0,1] neg_hi:[0,0,1]
	v_mul_f32_e32 v58, v59, v46
	v_pk_add_f32 v[4:5], v[4:5], v[62:63] neg_lo:[0,1] neg_hi:[0,1]
	s_delay_alu instid0(VALU_DEP_2) | instskip(NEXT) | instid1(VALU_DEP_1)
	v_pk_fma_f32 v[56:57], v[56:57], v[14:15], v[58:59] op_sel_hi:[1,1,0]
	v_mov_b32_e32 v61, v57
	ds_load_2addr_b64 v[56:59], v50 offset0:9 offset1:10
	v_pk_add_f32 v[34:35], v[34:35], v[60:61] neg_lo:[0,1] neg_hi:[0,1]
	s_wait_dscnt 0x0
	v_pk_mul_f32 v[60:61], v[56:57], v[48:49] op_sel:[0,1]
	s_delay_alu instid0(VALU_DEP_1) | instskip(SKIP_1) | instid1(VALU_DEP_1)
	v_pk_fma_f32 v[62:63], v[56:57], v[46:47], v[60:61] op_sel:[0,0,1] op_sel_hi:[1,1,0] neg_lo:[0,0,1] neg_hi:[0,0,1]
	v_pk_fma_f32 v[56:57], v[56:57], v[46:47], v[60:61] op_sel:[0,0,1] op_sel_hi:[1,0,0]
	v_mov_b32_e32 v63, v57
	v_pk_mul_f32 v[56:57], v[58:59], v[48:49] op_sel:[0,1]
	s_delay_alu instid0(VALU_DEP_1) | instskip(SKIP_1) | instid1(VALU_DEP_1)
	v_pk_fma_f32 v[60:61], v[58:59], v[46:47], v[56:57] op_sel:[0,0,1] op_sel_hi:[1,1,0] neg_lo:[0,0,1] neg_hi:[0,0,1]
	v_pk_fma_f32 v[56:57], v[58:59], v[46:47], v[56:57] op_sel:[0,0,1] op_sel_hi:[1,0,0]
	v_mov_b32_e32 v61, v57
	ds_load_2addr_b64 v[56:59], v50 offset0:11 offset1:12
	v_pk_add_f32 v[30:31], v[30:31], v[62:63] neg_lo:[0,1] neg_hi:[0,1]
	v_pk_add_f32 v[32:33], v[32:33], v[60:61] neg_lo:[0,1] neg_hi:[0,1]
	s_wait_dscnt 0x0
	v_pk_mul_f32 v[60:61], v[56:57], v[48:49] op_sel:[0,1]
	s_delay_alu instid0(VALU_DEP_1) | instskip(SKIP_1) | instid1(VALU_DEP_1)
	v_pk_fma_f32 v[62:63], v[56:57], v[46:47], v[60:61] op_sel:[0,0,1] op_sel_hi:[1,1,0] neg_lo:[0,0,1] neg_hi:[0,0,1]
	v_pk_fma_f32 v[56:57], v[56:57], v[46:47], v[60:61] op_sel:[0,0,1] op_sel_hi:[1,0,0]
	v_mov_b32_e32 v63, v57
	v_pk_mul_f32 v[56:57], v[58:59], v[48:49] op_sel:[0,1]
	s_delay_alu instid0(VALU_DEP_1) | instskip(SKIP_1) | instid1(VALU_DEP_1)
	v_pk_fma_f32 v[60:61], v[58:59], v[46:47], v[56:57] op_sel:[0,0,1] op_sel_hi:[1,1,0] neg_lo:[0,0,1] neg_hi:[0,0,1]
	v_pk_fma_f32 v[56:57], v[58:59], v[46:47], v[56:57] op_sel:[0,0,1] op_sel_hi:[1,0,0]
	v_mov_b32_e32 v61, v57
	ds_load_2addr_b64 v[56:59], v50 offset0:13 offset1:14
	v_pk_add_f32 v[8:9], v[8:9], v[62:63] neg_lo:[0,1] neg_hi:[0,1]
	v_pk_add_f32 v[26:27], v[26:27], v[60:61] neg_lo:[0,1] neg_hi:[0,1]
	s_wait_dscnt 0x0
	v_dual_mul_f32 v60, v57, v49 :: v_dual_mul_f32 v62, v57, v46
	s_delay_alu instid0(VALU_DEP_1) | instskip(NEXT) | instid1(VALU_DEP_2)
	v_pk_fma_f32 v[60:61], v[56:57], v[14:15], v[60:61] op_sel_hi:[1,1,0] neg_lo:[0,0,1] neg_hi:[0,0,1]
	v_pk_fma_f32 v[56:57], v[56:57], v[14:15], v[62:63] op_sel:[1,0,0] op_sel_hi:[0,1,0]
	s_delay_alu instid0(VALU_DEP_1) | instskip(SKIP_1) | instid1(VALU_DEP_2)
	v_mov_b32_e32 v61, v57
	v_pk_mul_f32 v[56:57], v[58:59], v[48:49] op_sel:[0,1]
	v_pk_add_f32 v[22:23], v[22:23], v[60:61] neg_lo:[0,1] neg_hi:[0,1]
	s_delay_alu instid0(VALU_DEP_2) | instskip(SKIP_1) | instid1(VALU_DEP_1)
	v_pk_fma_f32 v[60:61], v[58:59], v[46:47], v[56:57] op_sel:[0,0,1] op_sel_hi:[1,1,0] neg_lo:[0,0,1] neg_hi:[0,0,1]
	v_pk_fma_f32 v[56:57], v[58:59], v[46:47], v[56:57] op_sel:[0,0,1] op_sel_hi:[1,0,0]
	v_mov_b32_e32 v61, v57
	ds_load_2addr_b64 v[56:59], v50 offset0:15 offset1:16
	v_pk_add_f32 v[24:25], v[24:25], v[60:61] neg_lo:[0,1] neg_hi:[0,1]
	s_wait_dscnt 0x0
	v_pk_mul_f32 v[60:61], v[56:57], v[48:49] op_sel:[0,1]
	s_delay_alu instid0(VALU_DEP_1) | instskip(SKIP_1) | instid1(VALU_DEP_1)
	v_pk_fma_f32 v[62:63], v[56:57], v[46:47], v[60:61] op_sel:[0,0,1] op_sel_hi:[1,1,0] neg_lo:[0,0,1] neg_hi:[0,0,1]
	v_pk_fma_f32 v[56:57], v[56:57], v[46:47], v[60:61] op_sel:[0,0,1] op_sel_hi:[1,0,0]
	v_mov_b32_e32 v63, v57
	v_pk_mul_f32 v[56:57], v[58:59], v[48:49] op_sel:[0,1]
	s_delay_alu instid0(VALU_DEP_2) | instskip(NEXT) | instid1(VALU_DEP_2)
	v_pk_add_f32 v[6:7], v[6:7], v[62:63] neg_lo:[0,1] neg_hi:[0,1]
	v_pk_fma_f32 v[60:61], v[58:59], v[46:47], v[56:57] op_sel:[0,0,1] op_sel_hi:[1,1,0] neg_lo:[0,0,1] neg_hi:[0,0,1]
	v_pk_fma_f32 v[56:57], v[58:59], v[46:47], v[56:57] op_sel:[0,0,1] op_sel_hi:[1,0,0]
	s_delay_alu instid0(VALU_DEP_1) | instskip(SKIP_4) | instid1(VALU_DEP_1)
	v_mov_b32_e32 v61, v57
	ds_load_2addr_b64 v[56:59], v50 offset0:17 offset1:18
	v_pk_add_f32 v[20:21], v[20:21], v[60:61] neg_lo:[0,1] neg_hi:[0,1]
	s_wait_dscnt 0x0
	v_pk_mul_f32 v[60:61], v[56:57], v[48:49] op_sel:[0,1]
	v_pk_fma_f32 v[62:63], v[56:57], v[46:47], v[60:61] op_sel:[0,0,1] op_sel_hi:[1,1,0] neg_lo:[0,0,1] neg_hi:[0,0,1]
	v_pk_fma_f32 v[56:57], v[56:57], v[46:47], v[60:61] op_sel:[0,0,1] op_sel_hi:[1,0,0]
	v_dual_mul_f32 v60, v59, v49 :: v_dual_mov_b32 v56, v59
	s_delay_alu instid0(VALU_DEP_2) | instskip(NEXT) | instid1(VALU_DEP_2)
	v_dual_mov_b32 v63, v57 :: v_dual_mov_b32 v57, v58
	v_pk_fma_f32 v[60:61], v[58:59], v[14:15], v[60:61] op_sel_hi:[1,1,0] neg_lo:[0,0,1] neg_hi:[0,0,1]
	v_mul_f32_e32 v58, v59, v46
	s_delay_alu instid0(VALU_DEP_3) | instskip(NEXT) | instid1(VALU_DEP_2)
	v_pk_add_f32 v[18:19], v[18:19], v[62:63] neg_lo:[0,1] neg_hi:[0,1]
	v_pk_fma_f32 v[56:57], v[56:57], v[14:15], v[58:59] op_sel_hi:[1,1,0]
	s_delay_alu instid0(VALU_DEP_1) | instskip(SKIP_4) | instid1(VALU_DEP_1)
	v_mov_b32_e32 v61, v57
	ds_load_b64 v[56:57], v50 offset:152
	v_pk_add_f32 v[16:17], v[16:17], v[60:61] neg_lo:[0,1] neg_hi:[0,1]
	s_wait_dscnt 0x0
	v_pk_mul_f32 v[48:49], v[56:57], v[48:49] op_sel:[0,1]
	v_pk_fma_f32 v[58:59], v[56:57], v[46:47], v[48:49] op_sel:[0,0,1] op_sel_hi:[1,1,0] neg_lo:[0,0,1] neg_hi:[0,0,1]
	v_pk_fma_f32 v[46:47], v[56:57], v[46:47], v[48:49] op_sel:[0,0,1] op_sel_hi:[1,0,0]
	s_delay_alu instid0(VALU_DEP_1) | instskip(NEXT) | instid1(VALU_DEP_1)
	v_mov_b32_e32 v59, v47
	v_pk_add_f32 v[44:45], v[44:45], v[58:59] neg_lo:[0,1] neg_hi:[0,1]
.LBB38_104:
	s_or_b32 exec_lo, exec_lo, s0
	v_lshl_add_u32 v46, v54, 3, v50
	s_barrier_signal -1
	s_barrier_wait -1
	ds_store_b64 v46, v[10:11]
	s_wait_dscnt 0x0
	s_barrier_signal -1
	s_barrier_wait -1
	ds_load_b64 v[48:49], v50 offset:40
	v_mov_b32_e32 v46, 5
	s_cmp_lt_i32 s14, 7
	s_cbranch_scc1 .LBB38_107
; %bb.105:
	v_add3_u32 v47, v51, 0, 48
	v_mov_b32_e32 v46, 5
	s_mov_b32 s0, 6
.LBB38_106:                             ; =>This Inner Loop Header: Depth=1
	ds_load_b64 v[56:57], v47
	s_wait_dscnt 0x1
	v_cmp_gt_f32_e32 vcc_lo, 0, v48
	v_cndmask_b32_e64 v58, v48, -v48, vcc_lo
	v_cmp_gt_f32_e32 vcc_lo, 0, v49
	v_cndmask_b32_e64 v60, v49, -v49, vcc_lo
	s_wait_dscnt 0x0
	v_cmp_gt_f32_e32 vcc_lo, 0, v56
	v_cndmask_b32_e64 v59, v56, -v56, vcc_lo
	v_cmp_gt_f32_e32 vcc_lo, 0, v57
	v_cndmask_b32_e64 v61, v57, -v57, vcc_lo
	s_delay_alu instid0(VALU_DEP_1) | instskip(NEXT) | instid1(VALU_DEP_1)
	v_pk_add_f32 v[58:59], v[58:59], v[60:61]
	v_cmp_lt_f32_e32 vcc_lo, v58, v59
	v_dual_add_nc_u32 v47, 8, v47 :: v_dual_cndmask_b32 v49, v49, v57, vcc_lo
	v_cndmask_b32_e32 v48, v48, v56, vcc_lo
	v_cndmask_b32_e64 v46, v46, s0, vcc_lo
	s_add_co_i32 s0, s0, 1
	s_delay_alu instid0(SALU_CYCLE_1)
	s_cmp_lg_u32 s14, s0
	s_cbranch_scc1 .LBB38_106
.LBB38_107:
	s_wait_dscnt 0x0
	v_cmp_eq_f32_e32 vcc_lo, 0, v48
	v_cmp_eq_f32_e64 s0, 0, v49
	s_and_b32 s0, vcc_lo, s0
	s_delay_alu instid0(SALU_CYCLE_1) | instskip(NEXT) | instid1(SALU_CYCLE_1)
	s_and_saveexec_b32 s1, s0
	s_xor_b32 s0, exec_lo, s1
; %bb.108:
	v_cmp_ne_u32_e32 vcc_lo, 0, v53
	v_cndmask_b32_e32 v53, 6, v53, vcc_lo
; %bb.109:
	s_and_not1_saveexec_b32 s0, s0
	s_cbranch_execz .LBB38_115
; %bb.110:
	v_cmp_ngt_f32_e64 s1, |v48|, |v49|
	s_and_saveexec_b32 s15, s1
	s_delay_alu instid0(SALU_CYCLE_1)
	s_xor_b32 s1, exec_lo, s15
	s_cbranch_execz .LBB38_112
; %bb.111:
	v_div_scale_f32 v47, null, v49, v49, v48
	v_div_scale_f32 v57, vcc_lo, v48, v49, v48
	s_delay_alu instid0(VALU_DEP_2) | instskip(SKIP_1) | instid1(TRANS32_DEP_1)
	v_rcp_f32_e32 v55, v47
	v_nop
	v_fma_f32 v56, -v47, v55, 1.0
	s_delay_alu instid0(VALU_DEP_1) | instskip(NEXT) | instid1(VALU_DEP_1)
	v_fmac_f32_e32 v55, v56, v55
	v_mul_f32_e32 v56, v57, v55
	s_delay_alu instid0(VALU_DEP_1) | instskip(NEXT) | instid1(VALU_DEP_1)
	v_fma_f32 v58, -v47, v56, v57
	v_fmac_f32_e32 v56, v58, v55
	s_delay_alu instid0(VALU_DEP_1) | instskip(NEXT) | instid1(VALU_DEP_1)
	v_fma_f32 v47, -v47, v56, v57
	v_div_fmas_f32 v47, v47, v55, v56
	s_delay_alu instid0(VALU_DEP_1) | instskip(NEXT) | instid1(VALU_DEP_1)
	v_div_fixup_f32 v47, v47, v49, v48
	v_fmac_f32_e32 v49, v48, v47
	s_delay_alu instid0(VALU_DEP_1) | instskip(SKIP_1) | instid1(VALU_DEP_2)
	v_div_scale_f32 v48, null, v49, v49, 1.0
	v_div_scale_f32 v57, vcc_lo, 1.0, v49, 1.0
	v_rcp_f32_e32 v55, v48
	v_nop
	s_delay_alu instid0(TRANS32_DEP_1) | instskip(NEXT) | instid1(VALU_DEP_1)
	v_fma_f32 v56, -v48, v55, 1.0
	v_fmac_f32_e32 v55, v56, v55
	s_delay_alu instid0(VALU_DEP_1) | instskip(NEXT) | instid1(VALU_DEP_1)
	v_mul_f32_e32 v56, v57, v55
	v_fma_f32 v58, -v48, v56, v57
	s_delay_alu instid0(VALU_DEP_1) | instskip(NEXT) | instid1(VALU_DEP_1)
	v_fmac_f32_e32 v56, v58, v55
	v_fma_f32 v48, -v48, v56, v57
	s_delay_alu instid0(VALU_DEP_1) | instskip(NEXT) | instid1(VALU_DEP_1)
	v_div_fmas_f32 v48, v48, v55, v56
	v_div_fixup_f32 v49, v48, v49, 1.0
	s_delay_alu instid0(VALU_DEP_1)
	v_mul_f32_e32 v48, v47, v49
	v_xor_b32_e32 v49, 0x80000000, v49
.LBB38_112:
	s_and_not1_saveexec_b32 s1, s1
	s_cbranch_execz .LBB38_114
; %bb.113:
	s_delay_alu instid0(VALU_DEP_1) | instskip(SKIP_1) | instid1(VALU_DEP_2)
	v_div_scale_f32 v47, null, v48, v48, v49
	v_div_scale_f32 v57, vcc_lo, v49, v48, v49
	v_rcp_f32_e32 v55, v47
	v_nop
	s_delay_alu instid0(TRANS32_DEP_1) | instskip(NEXT) | instid1(VALU_DEP_1)
	v_fma_f32 v56, -v47, v55, 1.0
	v_fmac_f32_e32 v55, v56, v55
	s_delay_alu instid0(VALU_DEP_1) | instskip(NEXT) | instid1(VALU_DEP_1)
	v_mul_f32_e32 v56, v57, v55
	v_fma_f32 v58, -v47, v56, v57
	s_delay_alu instid0(VALU_DEP_1) | instskip(NEXT) | instid1(VALU_DEP_1)
	v_fmac_f32_e32 v56, v58, v55
	v_fma_f32 v47, -v47, v56, v57
	s_delay_alu instid0(VALU_DEP_1) | instskip(NEXT) | instid1(VALU_DEP_1)
	v_div_fmas_f32 v47, v47, v55, v56
	v_div_fixup_f32 v47, v47, v48, v49
	s_delay_alu instid0(VALU_DEP_1) | instskip(NEXT) | instid1(VALU_DEP_1)
	v_fmac_f32_e32 v48, v49, v47
	v_div_scale_f32 v49, null, v48, v48, 1.0
	s_delay_alu instid0(VALU_DEP_1) | instskip(SKIP_1) | instid1(TRANS32_DEP_1)
	v_rcp_f32_e32 v55, v49
	v_nop
	v_fma_f32 v56, -v49, v55, 1.0
	s_delay_alu instid0(VALU_DEP_1) | instskip(SKIP_1) | instid1(VALU_DEP_1)
	v_fmac_f32_e32 v55, v56, v55
	v_div_scale_f32 v56, vcc_lo, 1.0, v48, 1.0
	v_mul_f32_e32 v57, v56, v55
	s_delay_alu instid0(VALU_DEP_1) | instskip(NEXT) | instid1(VALU_DEP_1)
	v_fma_f32 v58, -v49, v57, v56
	v_fmac_f32_e32 v57, v58, v55
	s_delay_alu instid0(VALU_DEP_1) | instskip(NEXT) | instid1(VALU_DEP_1)
	v_fma_f32 v49, -v49, v57, v56
	v_div_fmas_f32 v49, v49, v55, v57
	s_delay_alu instid0(VALU_DEP_1) | instskip(NEXT) | instid1(VALU_DEP_1)
	v_div_fixup_f32 v48, v49, v48, 1.0
	v_mul_f32_e64 v49, v47, -v48
.LBB38_114:
	s_or_b32 exec_lo, exec_lo, s1
.LBB38_115:
	s_delay_alu instid0(SALU_CYCLE_1) | instskip(NEXT) | instid1(SALU_CYCLE_1)
	s_or_b32 exec_lo, exec_lo, s0
	s_mov_b32 s0, exec_lo
	v_cmpx_ne_u32_e64 v54, v46
	s_xor_b32 s0, exec_lo, s0
	s_cbranch_execz .LBB38_121
; %bb.116:
	s_mov_b32 s1, exec_lo
	v_cmpx_eq_u32_e32 5, v54
	s_cbranch_execz .LBB38_120
; %bb.117:
	v_cmp_ne_u32_e32 vcc_lo, 5, v46
	s_xor_b32 s15, s12, -1
	s_delay_alu instid0(SALU_CYCLE_1) | instskip(NEXT) | instid1(SALU_CYCLE_1)
	s_and_b32 s16, s15, vcc_lo
	s_and_saveexec_b32 s15, s16
	s_cbranch_execz .LBB38_119
; %bb.118:
	v_ashrrev_i32_e32 v47, 31, v46
	s_delay_alu instid0(VALU_DEP_1)
	v_lshl_add_u64 v[54:55], v[46:47], 2, v[36:37]
	s_clause 0x1
	global_load_b32 v47, v[54:55], off
	global_load_b32 v52, v[36:37], off offset:20
	s_wait_loadcnt 0x1
	global_store_b32 v[36:37], v47, off offset:20
	s_wait_loadcnt 0x0
	global_store_b32 v[54:55], v52, off
.LBB38_119:
	s_wait_xcnt 0x0
	s_or_b32 exec_lo, exec_lo, s15
	v_dual_mov_b32 v54, v46 :: v_dual_mov_b32 v52, v46
.LBB38_120:
	s_or_b32 exec_lo, exec_lo, s1
.LBB38_121:
	s_and_not1_saveexec_b32 s0, s0
	s_cbranch_execz .LBB38_123
; %bb.122:
	v_dual_mov_b32 v46, v12 :: v_dual_mov_b32 v47, v13
	v_dual_mov_b32 v54, v4 :: v_dual_mov_b32 v55, v5
	;; [unrolled: 1-line block ×4, first 2 shown]
	ds_store_2addr_b64 v50, v[46:47], v[54:55] offset0:6 offset1:7
	ds_store_2addr_b64 v50, v[56:57], v[58:59] offset0:8 offset1:9
	v_dual_mov_b32 v46, v32 :: v_dual_mov_b32 v47, v33
	v_dual_mov_b32 v56, v8 :: v_dual_mov_b32 v57, v9
	;; [unrolled: 1-line block ×9, first 2 shown]
	v_mov_b32_e32 v71, v17
	ds_store_2addr_b64 v50, v[46:47], v[56:57] offset0:10 offset1:11
	ds_store_2addr_b64 v50, v[58:59], v[60:61] offset0:12 offset1:13
	ds_store_2addr_b64 v50, v[62:63], v[64:65] offset0:14 offset1:15
	ds_store_2addr_b64 v50, v[66:67], v[68:69] offset0:16 offset1:17
	ds_store_2addr_b64 v50, v[70:71], v[44:45] offset0:18 offset1:19
.LBB38_123:
	s_or_b32 exec_lo, exec_lo, s0
	s_delay_alu instid0(SALU_CYCLE_1)
	s_mov_b32 s0, exec_lo
	s_wait_storecnt_dscnt 0x0
	s_barrier_signal -1
	s_barrier_wait -1
	v_cmpx_lt_i32_e32 5, v54
	s_cbranch_execz .LBB38_125
; %bb.124:
	v_pk_mul_f32 v[56:57], v[48:49], v[10:11] op_sel:[1,1] op_sel_hi:[0,1]
	s_delay_alu instid0(VALU_DEP_1)
	v_pk_fma_f32 v[46:47], v[48:49], v[10:11], v[56:57] op_sel_hi:[1,0,1] neg_lo:[0,0,1] neg_hi:[0,0,1]
	v_pk_fma_f32 v[48:49], v[48:49], v[10:11], v[56:57] op_sel_hi:[1,0,1]
	ds_load_2addr_b64 v[56:59], v50 offset0:6 offset1:7
	v_dual_mov_b32 v10, v46 :: v_dual_mov_b32 v11, v49
	s_wait_dscnt 0x0
	v_pk_mul_f32 v[60:61], v[56:57], v[48:49] op_sel:[0,1]
	s_delay_alu instid0(VALU_DEP_1) | instskip(SKIP_1) | instid1(VALU_DEP_1)
	v_pk_fma_f32 v[62:63], v[56:57], v[46:47], v[60:61] op_sel:[0,0,1] op_sel_hi:[1,1,0] neg_lo:[0,0,1] neg_hi:[0,0,1]
	v_pk_fma_f32 v[56:57], v[56:57], v[46:47], v[60:61] op_sel:[0,0,1] op_sel_hi:[1,0,0]
	v_mov_b32_e32 v63, v57
	v_pk_mul_f32 v[56:57], v[58:59], v[48:49] op_sel:[0,1]
	s_delay_alu instid0(VALU_DEP_1) | instskip(SKIP_1) | instid1(VALU_DEP_1)
	v_pk_fma_f32 v[60:61], v[58:59], v[46:47], v[56:57] op_sel:[0,0,1] op_sel_hi:[1,1,0] neg_lo:[0,0,1] neg_hi:[0,0,1]
	v_pk_fma_f32 v[56:57], v[58:59], v[46:47], v[56:57] op_sel:[0,0,1] op_sel_hi:[1,0,0]
	v_mov_b32_e32 v61, v57
	ds_load_2addr_b64 v[56:59], v50 offset0:8 offset1:9
	v_pk_add_f32 v[12:13], v[12:13], v[62:63] neg_lo:[0,1] neg_hi:[0,1]
	v_pk_add_f32 v[4:5], v[4:5], v[60:61] neg_lo:[0,1] neg_hi:[0,1]
	s_wait_dscnt 0x0
	v_pk_mul_f32 v[60:61], v[56:57], v[48:49] op_sel:[0,1]
	s_delay_alu instid0(VALU_DEP_1) | instskip(SKIP_2) | instid1(VALU_DEP_2)
	v_pk_fma_f32 v[62:63], v[56:57], v[46:47], v[60:61] op_sel:[0,0,1] op_sel_hi:[1,1,0] neg_lo:[0,0,1] neg_hi:[0,0,1]
	v_pk_fma_f32 v[56:57], v[56:57], v[46:47], v[60:61] op_sel:[0,0,1] op_sel_hi:[1,0,0]
	v_dual_mul_f32 v60, v59, v49 :: v_dual_mov_b32 v56, v59
	v_dual_mov_b32 v63, v57 :: v_dual_mov_b32 v57, v58
	s_delay_alu instid0(VALU_DEP_2) | instskip(SKIP_1) | instid1(VALU_DEP_3)
	v_pk_fma_f32 v[60:61], v[58:59], v[10:11], v[60:61] op_sel_hi:[1,1,0] neg_lo:[0,0,1] neg_hi:[0,0,1]
	v_mul_f32_e32 v58, v59, v46
	v_pk_add_f32 v[34:35], v[34:35], v[62:63] neg_lo:[0,1] neg_hi:[0,1]
	s_delay_alu instid0(VALU_DEP_2) | instskip(NEXT) | instid1(VALU_DEP_1)
	v_pk_fma_f32 v[56:57], v[56:57], v[10:11], v[58:59] op_sel_hi:[1,1,0]
	v_mov_b32_e32 v61, v57
	ds_load_2addr_b64 v[56:59], v50 offset0:10 offset1:11
	v_pk_add_f32 v[30:31], v[30:31], v[60:61] neg_lo:[0,1] neg_hi:[0,1]
	s_wait_dscnt 0x0
	v_pk_mul_f32 v[60:61], v[56:57], v[48:49] op_sel:[0,1]
	s_delay_alu instid0(VALU_DEP_1) | instskip(SKIP_1) | instid1(VALU_DEP_1)
	v_pk_fma_f32 v[62:63], v[56:57], v[46:47], v[60:61] op_sel:[0,0,1] op_sel_hi:[1,1,0] neg_lo:[0,0,1] neg_hi:[0,0,1]
	v_pk_fma_f32 v[56:57], v[56:57], v[46:47], v[60:61] op_sel:[0,0,1] op_sel_hi:[1,0,0]
	v_mov_b32_e32 v63, v57
	v_pk_mul_f32 v[56:57], v[58:59], v[48:49] op_sel:[0,1]
	s_delay_alu instid0(VALU_DEP_1) | instskip(SKIP_1) | instid1(VALU_DEP_1)
	v_pk_fma_f32 v[60:61], v[58:59], v[46:47], v[56:57] op_sel:[0,0,1] op_sel_hi:[1,1,0] neg_lo:[0,0,1] neg_hi:[0,0,1]
	v_pk_fma_f32 v[56:57], v[58:59], v[46:47], v[56:57] op_sel:[0,0,1] op_sel_hi:[1,0,0]
	v_mov_b32_e32 v61, v57
	ds_load_2addr_b64 v[56:59], v50 offset0:12 offset1:13
	v_pk_add_f32 v[32:33], v[32:33], v[62:63] neg_lo:[0,1] neg_hi:[0,1]
	v_pk_add_f32 v[8:9], v[8:9], v[60:61] neg_lo:[0,1] neg_hi:[0,1]
	s_wait_dscnt 0x0
	v_pk_mul_f32 v[60:61], v[56:57], v[48:49] op_sel:[0,1]
	s_delay_alu instid0(VALU_DEP_1) | instskip(SKIP_1) | instid1(VALU_DEP_1)
	v_pk_fma_f32 v[62:63], v[56:57], v[46:47], v[60:61] op_sel:[0,0,1] op_sel_hi:[1,1,0] neg_lo:[0,0,1] neg_hi:[0,0,1]
	v_pk_fma_f32 v[56:57], v[56:57], v[46:47], v[60:61] op_sel:[0,0,1] op_sel_hi:[1,0,0]
	v_mov_b32_e32 v63, v57
	v_pk_mul_f32 v[56:57], v[58:59], v[48:49] op_sel:[0,1]
	s_delay_alu instid0(VALU_DEP_1) | instskip(SKIP_1) | instid1(VALU_DEP_1)
	v_pk_fma_f32 v[60:61], v[58:59], v[46:47], v[56:57] op_sel:[0,0,1] op_sel_hi:[1,1,0] neg_lo:[0,0,1] neg_hi:[0,0,1]
	v_pk_fma_f32 v[56:57], v[58:59], v[46:47], v[56:57] op_sel:[0,0,1] op_sel_hi:[1,0,0]
	v_mov_b32_e32 v61, v57
	ds_load_2addr_b64 v[56:59], v50 offset0:14 offset1:15
	v_pk_add_f32 v[26:27], v[26:27], v[62:63] neg_lo:[0,1] neg_hi:[0,1]
	v_pk_add_f32 v[22:23], v[22:23], v[60:61] neg_lo:[0,1] neg_hi:[0,1]
	s_wait_dscnt 0x0
	v_dual_mul_f32 v60, v57, v49 :: v_dual_mul_f32 v62, v57, v46
	s_delay_alu instid0(VALU_DEP_1) | instskip(NEXT) | instid1(VALU_DEP_2)
	v_pk_fma_f32 v[60:61], v[56:57], v[10:11], v[60:61] op_sel_hi:[1,1,0] neg_lo:[0,0,1] neg_hi:[0,0,1]
	v_pk_fma_f32 v[56:57], v[56:57], v[10:11], v[62:63] op_sel:[1,0,0] op_sel_hi:[0,1,0]
	s_delay_alu instid0(VALU_DEP_1) | instskip(SKIP_1) | instid1(VALU_DEP_2)
	v_mov_b32_e32 v61, v57
	v_pk_mul_f32 v[56:57], v[58:59], v[48:49] op_sel:[0,1]
	v_pk_add_f32 v[24:25], v[24:25], v[60:61] neg_lo:[0,1] neg_hi:[0,1]
	s_delay_alu instid0(VALU_DEP_2) | instskip(SKIP_1) | instid1(VALU_DEP_1)
	v_pk_fma_f32 v[60:61], v[58:59], v[46:47], v[56:57] op_sel:[0,0,1] op_sel_hi:[1,1,0] neg_lo:[0,0,1] neg_hi:[0,0,1]
	v_pk_fma_f32 v[56:57], v[58:59], v[46:47], v[56:57] op_sel:[0,0,1] op_sel_hi:[1,0,0]
	v_mov_b32_e32 v61, v57
	ds_load_2addr_b64 v[56:59], v50 offset0:16 offset1:17
	v_pk_add_f32 v[6:7], v[6:7], v[60:61] neg_lo:[0,1] neg_hi:[0,1]
	s_wait_dscnt 0x0
	v_pk_mul_f32 v[60:61], v[56:57], v[48:49] op_sel:[0,1]
	s_delay_alu instid0(VALU_DEP_1) | instskip(SKIP_1) | instid1(VALU_DEP_1)
	v_pk_fma_f32 v[62:63], v[56:57], v[46:47], v[60:61] op_sel:[0,0,1] op_sel_hi:[1,1,0] neg_lo:[0,0,1] neg_hi:[0,0,1]
	v_pk_fma_f32 v[56:57], v[56:57], v[46:47], v[60:61] op_sel:[0,0,1] op_sel_hi:[1,0,0]
	v_mov_b32_e32 v63, v57
	v_pk_mul_f32 v[56:57], v[58:59], v[48:49] op_sel:[0,1]
	s_delay_alu instid0(VALU_DEP_2) | instskip(NEXT) | instid1(VALU_DEP_2)
	v_pk_add_f32 v[20:21], v[20:21], v[62:63] neg_lo:[0,1] neg_hi:[0,1]
	v_pk_fma_f32 v[60:61], v[58:59], v[46:47], v[56:57] op_sel:[0,0,1] op_sel_hi:[1,1,0] neg_lo:[0,0,1] neg_hi:[0,0,1]
	v_pk_fma_f32 v[56:57], v[58:59], v[46:47], v[56:57] op_sel:[0,0,1] op_sel_hi:[1,0,0]
	s_delay_alu instid0(VALU_DEP_1)
	v_mov_b32_e32 v61, v57
	ds_load_2addr_b64 v[56:59], v50 offset0:18 offset1:19
	v_pk_add_f32 v[18:19], v[18:19], v[60:61] neg_lo:[0,1] neg_hi:[0,1]
	s_wait_dscnt 0x0
	v_pk_mul_f32 v[60:61], v[56:57], v[48:49] op_sel:[0,1]
	v_pk_mul_f32 v[48:49], v[58:59], v[48:49] op_sel:[0,1]
	s_delay_alu instid0(VALU_DEP_2) | instskip(SKIP_1) | instid1(VALU_DEP_1)
	v_pk_fma_f32 v[62:63], v[56:57], v[46:47], v[60:61] op_sel:[0,0,1] op_sel_hi:[1,1,0] neg_lo:[0,0,1] neg_hi:[0,0,1]
	v_pk_fma_f32 v[56:57], v[56:57], v[46:47], v[60:61] op_sel:[0,0,1] op_sel_hi:[1,0,0]
	v_mov_b32_e32 v63, v57
	s_delay_alu instid0(VALU_DEP_4) | instskip(SKIP_1) | instid1(VALU_DEP_3)
	v_pk_fma_f32 v[56:57], v[58:59], v[46:47], v[48:49] op_sel:[0,0,1] op_sel_hi:[1,1,0] neg_lo:[0,0,1] neg_hi:[0,0,1]
	v_pk_fma_f32 v[46:47], v[58:59], v[46:47], v[48:49] op_sel:[0,0,1] op_sel_hi:[1,0,0]
	v_pk_add_f32 v[16:17], v[16:17], v[62:63] neg_lo:[0,1] neg_hi:[0,1]
	s_delay_alu instid0(VALU_DEP_2) | instskip(NEXT) | instid1(VALU_DEP_1)
	v_mov_b32_e32 v57, v47
	v_pk_add_f32 v[44:45], v[44:45], v[56:57] neg_lo:[0,1] neg_hi:[0,1]
.LBB38_125:
	s_or_b32 exec_lo, exec_lo, s0
	v_lshl_add_u32 v46, v54, 3, v50
	s_barrier_signal -1
	s_barrier_wait -1
	ds_store_b64 v46, v[12:13]
	s_wait_dscnt 0x0
	s_barrier_signal -1
	s_barrier_wait -1
	ds_load_b64 v[46:47], v50 offset:48
	v_mov_b32_e32 v48, 6
	s_cmp_lt_i32 s14, 8
	s_cbranch_scc1 .LBB38_128
; %bb.126:
	v_add3_u32 v49, v51, 0, 56
	v_mov_b32_e32 v48, 6
	s_mov_b32 s0, 7
.LBB38_127:                             ; =>This Inner Loop Header: Depth=1
	ds_load_b64 v[56:57], v49
	s_wait_dscnt 0x1
	v_cmp_gt_f32_e32 vcc_lo, 0, v46
	v_cndmask_b32_e64 v58, v46, -v46, vcc_lo
	v_cmp_gt_f32_e32 vcc_lo, 0, v47
	v_cndmask_b32_e64 v60, v47, -v47, vcc_lo
	s_wait_dscnt 0x0
	v_cmp_gt_f32_e32 vcc_lo, 0, v56
	v_cndmask_b32_e64 v59, v56, -v56, vcc_lo
	v_cmp_gt_f32_e32 vcc_lo, 0, v57
	v_cndmask_b32_e64 v61, v57, -v57, vcc_lo
	s_delay_alu instid0(VALU_DEP_1) | instskip(NEXT) | instid1(VALU_DEP_1)
	v_pk_add_f32 v[58:59], v[58:59], v[60:61]
	v_cmp_lt_f32_e32 vcc_lo, v58, v59
	v_dual_cndmask_b32 v46, v46, v56 :: v_dual_add_nc_u32 v49, 8, v49
	v_cndmask_b32_e32 v47, v47, v57, vcc_lo
	v_cndmask_b32_e64 v48, v48, s0, vcc_lo
	s_add_co_i32 s0, s0, 1
	s_delay_alu instid0(SALU_CYCLE_1)
	s_cmp_lg_u32 s14, s0
	s_cbranch_scc1 .LBB38_127
.LBB38_128:
	s_wait_dscnt 0x0
	v_cmp_eq_f32_e32 vcc_lo, 0, v46
	v_cmp_eq_f32_e64 s0, 0, v47
	s_and_b32 s0, vcc_lo, s0
	s_delay_alu instid0(SALU_CYCLE_1) | instskip(NEXT) | instid1(SALU_CYCLE_1)
	s_and_saveexec_b32 s1, s0
	s_xor_b32 s0, exec_lo, s1
; %bb.129:
	v_cmp_ne_u32_e32 vcc_lo, 0, v53
	v_cndmask_b32_e32 v53, 7, v53, vcc_lo
; %bb.130:
	s_and_not1_saveexec_b32 s0, s0
	s_cbranch_execz .LBB38_136
; %bb.131:
	v_cmp_ngt_f32_e64 s1, |v46|, |v47|
	s_and_saveexec_b32 s15, s1
	s_delay_alu instid0(SALU_CYCLE_1)
	s_xor_b32 s1, exec_lo, s15
	s_cbranch_execz .LBB38_133
; %bb.132:
	v_div_scale_f32 v49, null, v47, v47, v46
	v_div_scale_f32 v57, vcc_lo, v46, v47, v46
	s_delay_alu instid0(VALU_DEP_2) | instskip(SKIP_1) | instid1(TRANS32_DEP_1)
	v_rcp_f32_e32 v55, v49
	v_nop
	v_fma_f32 v56, -v49, v55, 1.0
	s_delay_alu instid0(VALU_DEP_1) | instskip(NEXT) | instid1(VALU_DEP_1)
	v_fmac_f32_e32 v55, v56, v55
	v_mul_f32_e32 v56, v57, v55
	s_delay_alu instid0(VALU_DEP_1) | instskip(NEXT) | instid1(VALU_DEP_1)
	v_fma_f32 v58, -v49, v56, v57
	v_fmac_f32_e32 v56, v58, v55
	s_delay_alu instid0(VALU_DEP_1) | instskip(NEXT) | instid1(VALU_DEP_1)
	v_fma_f32 v49, -v49, v56, v57
	v_div_fmas_f32 v49, v49, v55, v56
	s_delay_alu instid0(VALU_DEP_1) | instskip(NEXT) | instid1(VALU_DEP_1)
	v_div_fixup_f32 v49, v49, v47, v46
	v_fmac_f32_e32 v47, v46, v49
	s_delay_alu instid0(VALU_DEP_1) | instskip(SKIP_1) | instid1(VALU_DEP_2)
	v_div_scale_f32 v46, null, v47, v47, 1.0
	v_div_scale_f32 v57, vcc_lo, 1.0, v47, 1.0
	v_rcp_f32_e32 v55, v46
	v_nop
	s_delay_alu instid0(TRANS32_DEP_1) | instskip(NEXT) | instid1(VALU_DEP_1)
	v_fma_f32 v56, -v46, v55, 1.0
	v_fmac_f32_e32 v55, v56, v55
	s_delay_alu instid0(VALU_DEP_1) | instskip(NEXT) | instid1(VALU_DEP_1)
	v_mul_f32_e32 v56, v57, v55
	v_fma_f32 v58, -v46, v56, v57
	s_delay_alu instid0(VALU_DEP_1) | instskip(NEXT) | instid1(VALU_DEP_1)
	v_fmac_f32_e32 v56, v58, v55
	v_fma_f32 v46, -v46, v56, v57
	s_delay_alu instid0(VALU_DEP_1) | instskip(NEXT) | instid1(VALU_DEP_1)
	v_div_fmas_f32 v46, v46, v55, v56
	v_div_fixup_f32 v47, v46, v47, 1.0
	s_delay_alu instid0(VALU_DEP_1)
	v_mul_f32_e32 v46, v49, v47
	v_xor_b32_e32 v47, 0x80000000, v47
.LBB38_133:
	s_and_not1_saveexec_b32 s1, s1
	s_cbranch_execz .LBB38_135
; %bb.134:
	s_delay_alu instid0(VALU_DEP_1) | instskip(SKIP_1) | instid1(VALU_DEP_2)
	v_div_scale_f32 v49, null, v46, v46, v47
	v_div_scale_f32 v57, vcc_lo, v47, v46, v47
	v_rcp_f32_e32 v55, v49
	v_nop
	s_delay_alu instid0(TRANS32_DEP_1) | instskip(NEXT) | instid1(VALU_DEP_1)
	v_fma_f32 v56, -v49, v55, 1.0
	v_fmac_f32_e32 v55, v56, v55
	s_delay_alu instid0(VALU_DEP_1) | instskip(NEXT) | instid1(VALU_DEP_1)
	v_mul_f32_e32 v56, v57, v55
	v_fma_f32 v58, -v49, v56, v57
	s_delay_alu instid0(VALU_DEP_1) | instskip(NEXT) | instid1(VALU_DEP_1)
	v_fmac_f32_e32 v56, v58, v55
	v_fma_f32 v49, -v49, v56, v57
	s_delay_alu instid0(VALU_DEP_1) | instskip(NEXT) | instid1(VALU_DEP_1)
	v_div_fmas_f32 v49, v49, v55, v56
	v_div_fixup_f32 v49, v49, v46, v47
	s_delay_alu instid0(VALU_DEP_1) | instskip(NEXT) | instid1(VALU_DEP_1)
	v_fmac_f32_e32 v46, v47, v49
	v_div_scale_f32 v47, null, v46, v46, 1.0
	s_delay_alu instid0(VALU_DEP_1) | instskip(SKIP_1) | instid1(TRANS32_DEP_1)
	v_rcp_f32_e32 v55, v47
	v_nop
	v_fma_f32 v56, -v47, v55, 1.0
	s_delay_alu instid0(VALU_DEP_1) | instskip(SKIP_1) | instid1(VALU_DEP_1)
	v_fmac_f32_e32 v55, v56, v55
	v_div_scale_f32 v56, vcc_lo, 1.0, v46, 1.0
	v_mul_f32_e32 v57, v56, v55
	s_delay_alu instid0(VALU_DEP_1) | instskip(NEXT) | instid1(VALU_DEP_1)
	v_fma_f32 v58, -v47, v57, v56
	v_fmac_f32_e32 v57, v58, v55
	s_delay_alu instid0(VALU_DEP_1) | instskip(NEXT) | instid1(VALU_DEP_1)
	v_fma_f32 v47, -v47, v57, v56
	v_div_fmas_f32 v47, v47, v55, v57
	s_delay_alu instid0(VALU_DEP_1) | instskip(NEXT) | instid1(VALU_DEP_1)
	v_div_fixup_f32 v46, v47, v46, 1.0
	v_mul_f32_e64 v47, v49, -v46
.LBB38_135:
	s_or_b32 exec_lo, exec_lo, s1
.LBB38_136:
	s_delay_alu instid0(SALU_CYCLE_1) | instskip(NEXT) | instid1(SALU_CYCLE_1)
	s_or_b32 exec_lo, exec_lo, s0
	s_mov_b32 s0, exec_lo
	v_cmpx_ne_u32_e64 v54, v48
	s_xor_b32 s0, exec_lo, s0
	s_cbranch_execz .LBB38_142
; %bb.137:
	s_mov_b32 s1, exec_lo
	v_cmpx_eq_u32_e32 6, v54
	s_cbranch_execz .LBB38_141
; %bb.138:
	v_cmp_ne_u32_e32 vcc_lo, 6, v48
	s_xor_b32 s15, s12, -1
	s_delay_alu instid0(SALU_CYCLE_1) | instskip(NEXT) | instid1(SALU_CYCLE_1)
	s_and_b32 s16, s15, vcc_lo
	s_and_saveexec_b32 s15, s16
	s_cbranch_execz .LBB38_140
; %bb.139:
	v_ashrrev_i32_e32 v49, 31, v48
	s_delay_alu instid0(VALU_DEP_1)
	v_lshl_add_u64 v[54:55], v[48:49], 2, v[36:37]
	s_clause 0x1
	global_load_b32 v49, v[54:55], off
	global_load_b32 v52, v[36:37], off offset:24
	s_wait_loadcnt 0x1
	global_store_b32 v[36:37], v49, off offset:24
	s_wait_loadcnt 0x0
	global_store_b32 v[54:55], v52, off
.LBB38_140:
	s_wait_xcnt 0x0
	s_or_b32 exec_lo, exec_lo, s15
	v_dual_mov_b32 v54, v48 :: v_dual_mov_b32 v52, v48
.LBB38_141:
	s_or_b32 exec_lo, exec_lo, s1
.LBB38_142:
	s_and_not1_saveexec_b32 s0, s0
	s_cbranch_execz .LBB38_144
; %bb.143:
	v_mov_b32_e32 v54, 6
	ds_store_2addr_b64 v50, v[4:5], v[34:35] offset0:7 offset1:8
	ds_store_2addr_b64 v50, v[30:31], v[32:33] offset0:9 offset1:10
	;; [unrolled: 1-line block ×6, first 2 shown]
	ds_store_b64 v50, v[44:45] offset:152
.LBB38_144:
	s_or_b32 exec_lo, exec_lo, s0
	s_delay_alu instid0(SALU_CYCLE_1)
	s_mov_b32 s0, exec_lo
	s_wait_storecnt_dscnt 0x0
	s_barrier_signal -1
	s_barrier_wait -1
	v_cmpx_lt_i32_e32 6, v54
	s_cbranch_execz .LBB38_146
; %bb.145:
	v_pk_mul_f32 v[48:49], v[46:47], v[12:13] op_sel:[1,1] op_sel_hi:[0,1]
	s_delay_alu instid0(VALU_DEP_1)
	v_pk_fma_f32 v[56:57], v[46:47], v[12:13], v[48:49] op_sel_hi:[1,0,1] neg_lo:[0,0,1] neg_hi:[0,0,1]
	v_pk_fma_f32 v[58:59], v[46:47], v[12:13], v[48:49] op_sel_hi:[1,0,1]
	ds_load_2addr_b64 v[46:49], v50 offset0:7 offset1:8
	v_dual_mov_b32 v12, v56 :: v_dual_mov_b32 v13, v59
	s_wait_dscnt 0x0
	v_pk_mul_f32 v[60:61], v[46:47], v[58:59] op_sel:[0,1]
	s_delay_alu instid0(VALU_DEP_1) | instskip(SKIP_1) | instid1(VALU_DEP_1)
	v_pk_fma_f32 v[62:63], v[46:47], v[56:57], v[60:61] op_sel:[0,0,1] op_sel_hi:[1,1,0] neg_lo:[0,0,1] neg_hi:[0,0,1]
	v_pk_fma_f32 v[46:47], v[46:47], v[56:57], v[60:61] op_sel:[0,0,1] op_sel_hi:[1,0,0]
	v_mov_b32_e32 v63, v47
	v_pk_mul_f32 v[46:47], v[48:49], v[58:59] op_sel:[0,1]
	s_delay_alu instid0(VALU_DEP_1) | instskip(SKIP_1) | instid1(VALU_DEP_1)
	v_pk_fma_f32 v[60:61], v[48:49], v[56:57], v[46:47] op_sel:[0,0,1] op_sel_hi:[1,1,0] neg_lo:[0,0,1] neg_hi:[0,0,1]
	v_pk_fma_f32 v[46:47], v[48:49], v[56:57], v[46:47] op_sel:[0,0,1] op_sel_hi:[1,0,0]
	v_mov_b32_e32 v61, v47
	ds_load_2addr_b64 v[46:49], v50 offset0:9 offset1:10
	v_pk_add_f32 v[4:5], v[4:5], v[62:63] neg_lo:[0,1] neg_hi:[0,1]
	v_pk_add_f32 v[34:35], v[34:35], v[60:61] neg_lo:[0,1] neg_hi:[0,1]
	s_wait_dscnt 0x0
	v_pk_mul_f32 v[60:61], v[46:47], v[58:59] op_sel:[0,1]
	s_delay_alu instid0(VALU_DEP_1) | instskip(SKIP_2) | instid1(VALU_DEP_2)
	v_pk_fma_f32 v[62:63], v[46:47], v[56:57], v[60:61] op_sel:[0,0,1] op_sel_hi:[1,1,0] neg_lo:[0,0,1] neg_hi:[0,0,1]
	v_pk_fma_f32 v[46:47], v[46:47], v[56:57], v[60:61] op_sel:[0,0,1] op_sel_hi:[1,0,0]
	v_dual_mul_f32 v60, v49, v59 :: v_dual_mov_b32 v46, v49
	v_dual_mov_b32 v63, v47 :: v_dual_mov_b32 v47, v48
	s_delay_alu instid0(VALU_DEP_2) | instskip(SKIP_1) | instid1(VALU_DEP_3)
	v_pk_fma_f32 v[60:61], v[48:49], v[12:13], v[60:61] op_sel_hi:[1,1,0] neg_lo:[0,0,1] neg_hi:[0,0,1]
	v_mul_f32_e32 v48, v49, v56
	v_pk_add_f32 v[30:31], v[30:31], v[62:63] neg_lo:[0,1] neg_hi:[0,1]
	s_delay_alu instid0(VALU_DEP_2) | instskip(NEXT) | instid1(VALU_DEP_1)
	v_pk_fma_f32 v[46:47], v[46:47], v[12:13], v[48:49] op_sel_hi:[1,1,0]
	v_mov_b32_e32 v61, v47
	ds_load_2addr_b64 v[46:49], v50 offset0:11 offset1:12
	v_pk_add_f32 v[32:33], v[32:33], v[60:61] neg_lo:[0,1] neg_hi:[0,1]
	s_wait_dscnt 0x0
	v_pk_mul_f32 v[60:61], v[46:47], v[58:59] op_sel:[0,1]
	s_delay_alu instid0(VALU_DEP_1) | instskip(SKIP_1) | instid1(VALU_DEP_1)
	v_pk_fma_f32 v[62:63], v[46:47], v[56:57], v[60:61] op_sel:[0,0,1] op_sel_hi:[1,1,0] neg_lo:[0,0,1] neg_hi:[0,0,1]
	v_pk_fma_f32 v[46:47], v[46:47], v[56:57], v[60:61] op_sel:[0,0,1] op_sel_hi:[1,0,0]
	v_mov_b32_e32 v63, v47
	v_pk_mul_f32 v[46:47], v[48:49], v[58:59] op_sel:[0,1]
	s_delay_alu instid0(VALU_DEP_1) | instskip(SKIP_1) | instid1(VALU_DEP_1)
	v_pk_fma_f32 v[60:61], v[48:49], v[56:57], v[46:47] op_sel:[0,0,1] op_sel_hi:[1,1,0] neg_lo:[0,0,1] neg_hi:[0,0,1]
	v_pk_fma_f32 v[46:47], v[48:49], v[56:57], v[46:47] op_sel:[0,0,1] op_sel_hi:[1,0,0]
	v_mov_b32_e32 v61, v47
	ds_load_2addr_b64 v[46:49], v50 offset0:13 offset1:14
	v_pk_add_f32 v[8:9], v[8:9], v[62:63] neg_lo:[0,1] neg_hi:[0,1]
	v_pk_add_f32 v[26:27], v[26:27], v[60:61] neg_lo:[0,1] neg_hi:[0,1]
	s_wait_dscnt 0x0
	v_pk_mul_f32 v[60:61], v[46:47], v[58:59] op_sel:[0,1]
	s_delay_alu instid0(VALU_DEP_1) | instskip(SKIP_1) | instid1(VALU_DEP_1)
	v_pk_fma_f32 v[62:63], v[46:47], v[56:57], v[60:61] op_sel:[0,0,1] op_sel_hi:[1,1,0] neg_lo:[0,0,1] neg_hi:[0,0,1]
	v_pk_fma_f32 v[46:47], v[46:47], v[56:57], v[60:61] op_sel:[0,0,1] op_sel_hi:[1,0,0]
	v_mov_b32_e32 v63, v47
	v_pk_mul_f32 v[46:47], v[48:49], v[58:59] op_sel:[0,1]
	s_delay_alu instid0(VALU_DEP_1) | instskip(SKIP_1) | instid1(VALU_DEP_1)
	v_pk_fma_f32 v[60:61], v[48:49], v[56:57], v[46:47] op_sel:[0,0,1] op_sel_hi:[1,1,0] neg_lo:[0,0,1] neg_hi:[0,0,1]
	v_pk_fma_f32 v[46:47], v[48:49], v[56:57], v[46:47] op_sel:[0,0,1] op_sel_hi:[1,0,0]
	v_mov_b32_e32 v61, v47
	ds_load_2addr_b64 v[46:49], v50 offset0:15 offset1:16
	v_pk_add_f32 v[22:23], v[22:23], v[62:63] neg_lo:[0,1] neg_hi:[0,1]
	v_pk_add_f32 v[24:25], v[24:25], v[60:61] neg_lo:[0,1] neg_hi:[0,1]
	s_wait_dscnt 0x0
	v_dual_mul_f32 v60, v47, v59 :: v_dual_mul_f32 v62, v47, v56
	s_delay_alu instid0(VALU_DEP_1) | instskip(NEXT) | instid1(VALU_DEP_2)
	v_pk_fma_f32 v[60:61], v[46:47], v[12:13], v[60:61] op_sel_hi:[1,1,0] neg_lo:[0,0,1] neg_hi:[0,0,1]
	v_pk_fma_f32 v[46:47], v[46:47], v[12:13], v[62:63] op_sel:[1,0,0] op_sel_hi:[0,1,0]
	s_delay_alu instid0(VALU_DEP_1) | instskip(SKIP_1) | instid1(VALU_DEP_2)
	v_mov_b32_e32 v61, v47
	v_pk_mul_f32 v[46:47], v[48:49], v[58:59] op_sel:[0,1]
	v_pk_add_f32 v[6:7], v[6:7], v[60:61] neg_lo:[0,1] neg_hi:[0,1]
	s_delay_alu instid0(VALU_DEP_2) | instskip(SKIP_1) | instid1(VALU_DEP_1)
	v_pk_fma_f32 v[60:61], v[48:49], v[56:57], v[46:47] op_sel:[0,0,1] op_sel_hi:[1,1,0] neg_lo:[0,0,1] neg_hi:[0,0,1]
	v_pk_fma_f32 v[46:47], v[48:49], v[56:57], v[46:47] op_sel:[0,0,1] op_sel_hi:[1,0,0]
	v_mov_b32_e32 v61, v47
	ds_load_2addr_b64 v[46:49], v50 offset0:17 offset1:18
	v_pk_add_f32 v[20:21], v[20:21], v[60:61] neg_lo:[0,1] neg_hi:[0,1]
	s_wait_dscnt 0x0
	v_pk_mul_f32 v[60:61], v[46:47], v[58:59] op_sel:[0,1]
	s_delay_alu instid0(VALU_DEP_1) | instskip(SKIP_1) | instid1(VALU_DEP_1)
	v_pk_fma_f32 v[62:63], v[46:47], v[56:57], v[60:61] op_sel:[0,0,1] op_sel_hi:[1,1,0] neg_lo:[0,0,1] neg_hi:[0,0,1]
	v_pk_fma_f32 v[46:47], v[46:47], v[56:57], v[60:61] op_sel:[0,0,1] op_sel_hi:[1,0,0]
	v_mov_b32_e32 v63, v47
	v_pk_mul_f32 v[46:47], v[48:49], v[58:59] op_sel:[0,1]
	s_delay_alu instid0(VALU_DEP_2) | instskip(NEXT) | instid1(VALU_DEP_2)
	v_pk_add_f32 v[18:19], v[18:19], v[62:63] neg_lo:[0,1] neg_hi:[0,1]
	v_pk_fma_f32 v[60:61], v[48:49], v[56:57], v[46:47] op_sel:[0,0,1] op_sel_hi:[1,1,0] neg_lo:[0,0,1] neg_hi:[0,0,1]
	v_pk_fma_f32 v[46:47], v[48:49], v[56:57], v[46:47] op_sel:[0,0,1] op_sel_hi:[1,0,0]
	s_delay_alu instid0(VALU_DEP_1) | instskip(SKIP_4) | instid1(VALU_DEP_1)
	v_mov_b32_e32 v61, v47
	ds_load_b64 v[46:47], v50 offset:152
	v_pk_add_f32 v[16:17], v[16:17], v[60:61] neg_lo:[0,1] neg_hi:[0,1]
	s_wait_dscnt 0x0
	v_pk_mul_f32 v[48:49], v[46:47], v[58:59] op_sel:[0,1]
	v_pk_fma_f32 v[58:59], v[46:47], v[56:57], v[48:49] op_sel:[0,0,1] op_sel_hi:[1,1,0] neg_lo:[0,0,1] neg_hi:[0,0,1]
	v_pk_fma_f32 v[46:47], v[46:47], v[56:57], v[48:49] op_sel:[0,0,1] op_sel_hi:[1,0,0]
	s_delay_alu instid0(VALU_DEP_1) | instskip(NEXT) | instid1(VALU_DEP_1)
	v_mov_b32_e32 v59, v47
	v_pk_add_f32 v[44:45], v[44:45], v[58:59] neg_lo:[0,1] neg_hi:[0,1]
.LBB38_146:
	s_or_b32 exec_lo, exec_lo, s0
	v_lshl_add_u32 v46, v54, 3, v50
	s_barrier_signal -1
	s_barrier_wait -1
	ds_store_b64 v46, v[4:5]
	s_wait_dscnt 0x0
	s_barrier_signal -1
	s_barrier_wait -1
	ds_load_b64 v[46:47], v50 offset:56
	v_mov_b32_e32 v48, 7
	s_cmp_lt_i32 s14, 9
	s_cbranch_scc1 .LBB38_149
; %bb.147:
	v_add3_u32 v49, v51, 0, 64
	v_mov_b32_e32 v48, 7
	s_mov_b32 s0, 8
.LBB38_148:                             ; =>This Inner Loop Header: Depth=1
	ds_load_b64 v[56:57], v49
	s_wait_dscnt 0x1
	v_cmp_gt_f32_e32 vcc_lo, 0, v46
	v_cndmask_b32_e64 v58, v46, -v46, vcc_lo
	v_cmp_gt_f32_e32 vcc_lo, 0, v47
	v_cndmask_b32_e64 v60, v47, -v47, vcc_lo
	s_wait_dscnt 0x0
	v_cmp_gt_f32_e32 vcc_lo, 0, v56
	v_cndmask_b32_e64 v59, v56, -v56, vcc_lo
	v_cmp_gt_f32_e32 vcc_lo, 0, v57
	v_cndmask_b32_e64 v61, v57, -v57, vcc_lo
	s_delay_alu instid0(VALU_DEP_1) | instskip(NEXT) | instid1(VALU_DEP_1)
	v_pk_add_f32 v[58:59], v[58:59], v[60:61]
	v_cmp_lt_f32_e32 vcc_lo, v58, v59
	v_dual_cndmask_b32 v46, v46, v56 :: v_dual_add_nc_u32 v49, 8, v49
	v_cndmask_b32_e32 v47, v47, v57, vcc_lo
	v_cndmask_b32_e64 v48, v48, s0, vcc_lo
	s_add_co_i32 s0, s0, 1
	s_delay_alu instid0(SALU_CYCLE_1)
	s_cmp_lg_u32 s14, s0
	s_cbranch_scc1 .LBB38_148
.LBB38_149:
	s_wait_dscnt 0x0
	v_cmp_eq_f32_e32 vcc_lo, 0, v46
	v_cmp_eq_f32_e64 s0, 0, v47
	s_and_b32 s0, vcc_lo, s0
	s_delay_alu instid0(SALU_CYCLE_1) | instskip(NEXT) | instid1(SALU_CYCLE_1)
	s_and_saveexec_b32 s1, s0
	s_xor_b32 s0, exec_lo, s1
; %bb.150:
	v_cmp_ne_u32_e32 vcc_lo, 0, v53
	v_cndmask_b32_e32 v53, 8, v53, vcc_lo
; %bb.151:
	s_and_not1_saveexec_b32 s0, s0
	s_cbranch_execz .LBB38_157
; %bb.152:
	v_cmp_ngt_f32_e64 s1, |v46|, |v47|
	s_and_saveexec_b32 s15, s1
	s_delay_alu instid0(SALU_CYCLE_1)
	s_xor_b32 s1, exec_lo, s15
	s_cbranch_execz .LBB38_154
; %bb.153:
	v_div_scale_f32 v49, null, v47, v47, v46
	v_div_scale_f32 v57, vcc_lo, v46, v47, v46
	s_delay_alu instid0(VALU_DEP_2) | instskip(SKIP_1) | instid1(TRANS32_DEP_1)
	v_rcp_f32_e32 v55, v49
	v_nop
	v_fma_f32 v56, -v49, v55, 1.0
	s_delay_alu instid0(VALU_DEP_1) | instskip(NEXT) | instid1(VALU_DEP_1)
	v_fmac_f32_e32 v55, v56, v55
	v_mul_f32_e32 v56, v57, v55
	s_delay_alu instid0(VALU_DEP_1) | instskip(NEXT) | instid1(VALU_DEP_1)
	v_fma_f32 v58, -v49, v56, v57
	v_fmac_f32_e32 v56, v58, v55
	s_delay_alu instid0(VALU_DEP_1) | instskip(NEXT) | instid1(VALU_DEP_1)
	v_fma_f32 v49, -v49, v56, v57
	v_div_fmas_f32 v49, v49, v55, v56
	s_delay_alu instid0(VALU_DEP_1) | instskip(NEXT) | instid1(VALU_DEP_1)
	v_div_fixup_f32 v49, v49, v47, v46
	v_fmac_f32_e32 v47, v46, v49
	s_delay_alu instid0(VALU_DEP_1) | instskip(SKIP_1) | instid1(VALU_DEP_2)
	v_div_scale_f32 v46, null, v47, v47, 1.0
	v_div_scale_f32 v57, vcc_lo, 1.0, v47, 1.0
	v_rcp_f32_e32 v55, v46
	v_nop
	s_delay_alu instid0(TRANS32_DEP_1) | instskip(NEXT) | instid1(VALU_DEP_1)
	v_fma_f32 v56, -v46, v55, 1.0
	v_fmac_f32_e32 v55, v56, v55
	s_delay_alu instid0(VALU_DEP_1) | instskip(NEXT) | instid1(VALU_DEP_1)
	v_mul_f32_e32 v56, v57, v55
	v_fma_f32 v58, -v46, v56, v57
	s_delay_alu instid0(VALU_DEP_1) | instskip(NEXT) | instid1(VALU_DEP_1)
	v_fmac_f32_e32 v56, v58, v55
	v_fma_f32 v46, -v46, v56, v57
	s_delay_alu instid0(VALU_DEP_1) | instskip(NEXT) | instid1(VALU_DEP_1)
	v_div_fmas_f32 v46, v46, v55, v56
	v_div_fixup_f32 v47, v46, v47, 1.0
	s_delay_alu instid0(VALU_DEP_1)
	v_mul_f32_e32 v46, v49, v47
	v_xor_b32_e32 v47, 0x80000000, v47
.LBB38_154:
	s_and_not1_saveexec_b32 s1, s1
	s_cbranch_execz .LBB38_156
; %bb.155:
	s_delay_alu instid0(VALU_DEP_1) | instskip(SKIP_1) | instid1(VALU_DEP_2)
	v_div_scale_f32 v49, null, v46, v46, v47
	v_div_scale_f32 v57, vcc_lo, v47, v46, v47
	v_rcp_f32_e32 v55, v49
	v_nop
	s_delay_alu instid0(TRANS32_DEP_1) | instskip(NEXT) | instid1(VALU_DEP_1)
	v_fma_f32 v56, -v49, v55, 1.0
	v_fmac_f32_e32 v55, v56, v55
	s_delay_alu instid0(VALU_DEP_1) | instskip(NEXT) | instid1(VALU_DEP_1)
	v_mul_f32_e32 v56, v57, v55
	v_fma_f32 v58, -v49, v56, v57
	s_delay_alu instid0(VALU_DEP_1) | instskip(NEXT) | instid1(VALU_DEP_1)
	v_fmac_f32_e32 v56, v58, v55
	v_fma_f32 v49, -v49, v56, v57
	s_delay_alu instid0(VALU_DEP_1) | instskip(NEXT) | instid1(VALU_DEP_1)
	v_div_fmas_f32 v49, v49, v55, v56
	v_div_fixup_f32 v49, v49, v46, v47
	s_delay_alu instid0(VALU_DEP_1) | instskip(NEXT) | instid1(VALU_DEP_1)
	v_fmac_f32_e32 v46, v47, v49
	v_div_scale_f32 v47, null, v46, v46, 1.0
	s_delay_alu instid0(VALU_DEP_1) | instskip(SKIP_1) | instid1(TRANS32_DEP_1)
	v_rcp_f32_e32 v55, v47
	v_nop
	v_fma_f32 v56, -v47, v55, 1.0
	s_delay_alu instid0(VALU_DEP_1) | instskip(SKIP_1) | instid1(VALU_DEP_1)
	v_fmac_f32_e32 v55, v56, v55
	v_div_scale_f32 v56, vcc_lo, 1.0, v46, 1.0
	v_mul_f32_e32 v57, v56, v55
	s_delay_alu instid0(VALU_DEP_1) | instskip(NEXT) | instid1(VALU_DEP_1)
	v_fma_f32 v58, -v47, v57, v56
	v_fmac_f32_e32 v57, v58, v55
	s_delay_alu instid0(VALU_DEP_1) | instskip(NEXT) | instid1(VALU_DEP_1)
	v_fma_f32 v47, -v47, v57, v56
	v_div_fmas_f32 v47, v47, v55, v57
	s_delay_alu instid0(VALU_DEP_1) | instskip(NEXT) | instid1(VALU_DEP_1)
	v_div_fixup_f32 v46, v47, v46, 1.0
	v_mul_f32_e64 v47, v49, -v46
.LBB38_156:
	s_or_b32 exec_lo, exec_lo, s1
.LBB38_157:
	s_delay_alu instid0(SALU_CYCLE_1) | instskip(NEXT) | instid1(SALU_CYCLE_1)
	s_or_b32 exec_lo, exec_lo, s0
	s_mov_b32 s0, exec_lo
	v_cmpx_ne_u32_e64 v54, v48
	s_xor_b32 s0, exec_lo, s0
	s_cbranch_execz .LBB38_163
; %bb.158:
	s_mov_b32 s1, exec_lo
	v_cmpx_eq_u32_e32 7, v54
	s_cbranch_execz .LBB38_162
; %bb.159:
	v_cmp_ne_u32_e32 vcc_lo, 7, v48
	s_xor_b32 s15, s12, -1
	s_delay_alu instid0(SALU_CYCLE_1) | instskip(NEXT) | instid1(SALU_CYCLE_1)
	s_and_b32 s16, s15, vcc_lo
	s_and_saveexec_b32 s15, s16
	s_cbranch_execz .LBB38_161
; %bb.160:
	v_ashrrev_i32_e32 v49, 31, v48
	s_delay_alu instid0(VALU_DEP_1)
	v_lshl_add_u64 v[54:55], v[48:49], 2, v[36:37]
	s_clause 0x1
	global_load_b32 v49, v[54:55], off
	global_load_b32 v52, v[36:37], off offset:28
	s_wait_loadcnt 0x1
	global_store_b32 v[36:37], v49, off offset:28
	s_wait_loadcnt 0x0
	global_store_b32 v[54:55], v52, off
.LBB38_161:
	s_wait_xcnt 0x0
	s_or_b32 exec_lo, exec_lo, s15
	v_dual_mov_b32 v54, v48 :: v_dual_mov_b32 v52, v48
.LBB38_162:
	s_or_b32 exec_lo, exec_lo, s1
.LBB38_163:
	s_and_not1_saveexec_b32 s0, s0
	s_cbranch_execz .LBB38_165
; %bb.164:
	v_dual_mov_b32 v48, v34 :: v_dual_mov_b32 v49, v35
	v_dual_mov_b32 v54, v30 :: v_dual_mov_b32 v55, v31
	;; [unrolled: 1-line block ×4, first 2 shown]
	ds_store_2addr_b64 v50, v[48:49], v[54:55] offset0:8 offset1:9
	ds_store_2addr_b64 v50, v[56:57], v[58:59] offset0:10 offset1:11
	v_dual_mov_b32 v48, v26 :: v_dual_mov_b32 v49, v27
	v_dual_mov_b32 v56, v22 :: v_dual_mov_b32 v57, v23
	;; [unrolled: 1-line block ×7, first 2 shown]
	v_mov_b32_e32 v67, v17
	ds_store_2addr_b64 v50, v[48:49], v[56:57] offset0:12 offset1:13
	ds_store_2addr_b64 v50, v[58:59], v[60:61] offset0:14 offset1:15
	ds_store_2addr_b64 v50, v[62:63], v[64:65] offset0:16 offset1:17
	ds_store_2addr_b64 v50, v[66:67], v[44:45] offset0:18 offset1:19
.LBB38_165:
	s_or_b32 exec_lo, exec_lo, s0
	s_delay_alu instid0(SALU_CYCLE_1)
	s_mov_b32 s0, exec_lo
	s_wait_storecnt_dscnt 0x0
	s_barrier_signal -1
	s_barrier_wait -1
	v_cmpx_lt_i32_e32 7, v54
	s_cbranch_execz .LBB38_167
; %bb.166:
	v_pk_mul_f32 v[48:49], v[46:47], v[4:5] op_sel:[1,1] op_sel_hi:[0,1]
	s_delay_alu instid0(VALU_DEP_1)
	v_pk_fma_f32 v[56:57], v[46:47], v[4:5], v[48:49] op_sel_hi:[1,0,1] neg_lo:[0,0,1] neg_hi:[0,0,1]
	v_pk_fma_f32 v[58:59], v[46:47], v[4:5], v[48:49] op_sel_hi:[1,0,1]
	ds_load_2addr_b64 v[46:49], v50 offset0:8 offset1:9
	v_dual_mov_b32 v4, v56 :: v_dual_mov_b32 v5, v59
	s_wait_dscnt 0x0
	v_pk_mul_f32 v[60:61], v[46:47], v[58:59] op_sel:[0,1]
	s_delay_alu instid0(VALU_DEP_1) | instskip(SKIP_1) | instid1(VALU_DEP_1)
	v_pk_fma_f32 v[62:63], v[46:47], v[56:57], v[60:61] op_sel:[0,0,1] op_sel_hi:[1,1,0] neg_lo:[0,0,1] neg_hi:[0,0,1]
	v_pk_fma_f32 v[46:47], v[46:47], v[56:57], v[60:61] op_sel:[0,0,1] op_sel_hi:[1,0,0]
	v_mov_b32_e32 v63, v47
	v_pk_mul_f32 v[46:47], v[48:49], v[58:59] op_sel:[0,1]
	s_delay_alu instid0(VALU_DEP_1) | instskip(SKIP_1) | instid1(VALU_DEP_1)
	v_pk_fma_f32 v[60:61], v[48:49], v[56:57], v[46:47] op_sel:[0,0,1] op_sel_hi:[1,1,0] neg_lo:[0,0,1] neg_hi:[0,0,1]
	v_pk_fma_f32 v[46:47], v[48:49], v[56:57], v[46:47] op_sel:[0,0,1] op_sel_hi:[1,0,0]
	v_mov_b32_e32 v61, v47
	ds_load_2addr_b64 v[46:49], v50 offset0:10 offset1:11
	v_pk_add_f32 v[34:35], v[34:35], v[62:63] neg_lo:[0,1] neg_hi:[0,1]
	v_pk_add_f32 v[30:31], v[30:31], v[60:61] neg_lo:[0,1] neg_hi:[0,1]
	s_wait_dscnt 0x0
	v_pk_mul_f32 v[60:61], v[46:47], v[58:59] op_sel:[0,1]
	s_delay_alu instid0(VALU_DEP_1) | instskip(SKIP_2) | instid1(VALU_DEP_2)
	v_pk_fma_f32 v[62:63], v[46:47], v[56:57], v[60:61] op_sel:[0,0,1] op_sel_hi:[1,1,0] neg_lo:[0,0,1] neg_hi:[0,0,1]
	v_pk_fma_f32 v[46:47], v[46:47], v[56:57], v[60:61] op_sel:[0,0,1] op_sel_hi:[1,0,0]
	v_dual_mul_f32 v60, v49, v59 :: v_dual_mov_b32 v46, v49
	v_dual_mov_b32 v63, v47 :: v_dual_mov_b32 v47, v48
	s_delay_alu instid0(VALU_DEP_2) | instskip(SKIP_1) | instid1(VALU_DEP_3)
	v_pk_fma_f32 v[60:61], v[48:49], v[4:5], v[60:61] op_sel_hi:[1,1,0] neg_lo:[0,0,1] neg_hi:[0,0,1]
	v_mul_f32_e32 v48, v49, v56
	v_pk_add_f32 v[32:33], v[32:33], v[62:63] neg_lo:[0,1] neg_hi:[0,1]
	s_delay_alu instid0(VALU_DEP_2) | instskip(NEXT) | instid1(VALU_DEP_1)
	v_pk_fma_f32 v[46:47], v[46:47], v[4:5], v[48:49] op_sel_hi:[1,1,0]
	v_mov_b32_e32 v61, v47
	ds_load_2addr_b64 v[46:49], v50 offset0:12 offset1:13
	v_pk_add_f32 v[8:9], v[8:9], v[60:61] neg_lo:[0,1] neg_hi:[0,1]
	s_wait_dscnt 0x0
	v_pk_mul_f32 v[60:61], v[46:47], v[58:59] op_sel:[0,1]
	s_delay_alu instid0(VALU_DEP_1) | instskip(SKIP_1) | instid1(VALU_DEP_1)
	v_pk_fma_f32 v[62:63], v[46:47], v[56:57], v[60:61] op_sel:[0,0,1] op_sel_hi:[1,1,0] neg_lo:[0,0,1] neg_hi:[0,0,1]
	v_pk_fma_f32 v[46:47], v[46:47], v[56:57], v[60:61] op_sel:[0,0,1] op_sel_hi:[1,0,0]
	v_mov_b32_e32 v63, v47
	v_pk_mul_f32 v[46:47], v[48:49], v[58:59] op_sel:[0,1]
	s_delay_alu instid0(VALU_DEP_1) | instskip(SKIP_1) | instid1(VALU_DEP_1)
	v_pk_fma_f32 v[60:61], v[48:49], v[56:57], v[46:47] op_sel:[0,0,1] op_sel_hi:[1,1,0] neg_lo:[0,0,1] neg_hi:[0,0,1]
	v_pk_fma_f32 v[46:47], v[48:49], v[56:57], v[46:47] op_sel:[0,0,1] op_sel_hi:[1,0,0]
	v_mov_b32_e32 v61, v47
	ds_load_2addr_b64 v[46:49], v50 offset0:14 offset1:15
	v_pk_add_f32 v[26:27], v[26:27], v[62:63] neg_lo:[0,1] neg_hi:[0,1]
	v_pk_add_f32 v[22:23], v[22:23], v[60:61] neg_lo:[0,1] neg_hi:[0,1]
	s_wait_dscnt 0x0
	v_pk_mul_f32 v[60:61], v[46:47], v[58:59] op_sel:[0,1]
	s_delay_alu instid0(VALU_DEP_1) | instskip(SKIP_1) | instid1(VALU_DEP_1)
	v_pk_fma_f32 v[62:63], v[46:47], v[56:57], v[60:61] op_sel:[0,0,1] op_sel_hi:[1,1,0] neg_lo:[0,0,1] neg_hi:[0,0,1]
	v_pk_fma_f32 v[46:47], v[46:47], v[56:57], v[60:61] op_sel:[0,0,1] op_sel_hi:[1,0,0]
	v_mov_b32_e32 v63, v47
	v_pk_mul_f32 v[46:47], v[48:49], v[58:59] op_sel:[0,1]
	s_delay_alu instid0(VALU_DEP_1) | instskip(SKIP_1) | instid1(VALU_DEP_1)
	v_pk_fma_f32 v[60:61], v[48:49], v[56:57], v[46:47] op_sel:[0,0,1] op_sel_hi:[1,1,0] neg_lo:[0,0,1] neg_hi:[0,0,1]
	v_pk_fma_f32 v[46:47], v[48:49], v[56:57], v[46:47] op_sel:[0,0,1] op_sel_hi:[1,0,0]
	v_mov_b32_e32 v61, v47
	ds_load_2addr_b64 v[46:49], v50 offset0:16 offset1:17
	v_pk_add_f32 v[24:25], v[24:25], v[62:63] neg_lo:[0,1] neg_hi:[0,1]
	v_pk_add_f32 v[6:7], v[6:7], v[60:61] neg_lo:[0,1] neg_hi:[0,1]
	s_wait_dscnt 0x0
	v_dual_mul_f32 v60, v47, v59 :: v_dual_mul_f32 v62, v47, v56
	s_delay_alu instid0(VALU_DEP_1) | instskip(NEXT) | instid1(VALU_DEP_2)
	v_pk_fma_f32 v[60:61], v[46:47], v[4:5], v[60:61] op_sel_hi:[1,1,0] neg_lo:[0,0,1] neg_hi:[0,0,1]
	v_pk_fma_f32 v[46:47], v[46:47], v[4:5], v[62:63] op_sel:[1,0,0] op_sel_hi:[0,1,0]
	s_delay_alu instid0(VALU_DEP_1) | instskip(SKIP_1) | instid1(VALU_DEP_2)
	v_mov_b32_e32 v61, v47
	v_pk_mul_f32 v[46:47], v[48:49], v[58:59] op_sel:[0,1]
	v_pk_add_f32 v[20:21], v[20:21], v[60:61] neg_lo:[0,1] neg_hi:[0,1]
	s_delay_alu instid0(VALU_DEP_2) | instskip(SKIP_1) | instid1(VALU_DEP_1)
	v_pk_fma_f32 v[60:61], v[48:49], v[56:57], v[46:47] op_sel:[0,0,1] op_sel_hi:[1,1,0] neg_lo:[0,0,1] neg_hi:[0,0,1]
	v_pk_fma_f32 v[46:47], v[48:49], v[56:57], v[46:47] op_sel:[0,0,1] op_sel_hi:[1,0,0]
	v_mov_b32_e32 v61, v47
	ds_load_2addr_b64 v[46:49], v50 offset0:18 offset1:19
	v_pk_add_f32 v[18:19], v[18:19], v[60:61] neg_lo:[0,1] neg_hi:[0,1]
	s_wait_dscnt 0x0
	v_pk_mul_f32 v[60:61], v[46:47], v[58:59] op_sel:[0,1]
	v_mul_f32_e32 v58, v49, v59
	s_delay_alu instid0(VALU_DEP_2) | instskip(SKIP_2) | instid1(VALU_DEP_4)
	v_pk_fma_f32 v[62:63], v[46:47], v[56:57], v[60:61] op_sel:[0,0,1] op_sel_hi:[1,1,0] neg_lo:[0,0,1] neg_hi:[0,0,1]
	v_pk_fma_f32 v[46:47], v[46:47], v[56:57], v[60:61] op_sel:[0,0,1] op_sel_hi:[1,0,0]
	v_mov_b32_e32 v46, v49
	v_pk_fma_f32 v[58:59], v[48:49], v[4:5], v[58:59] op_sel_hi:[1,1,0] neg_lo:[0,0,1] neg_hi:[0,0,1]
	s_delay_alu instid0(VALU_DEP_3) | instskip(SKIP_1) | instid1(VALU_DEP_2)
	v_dual_mov_b32 v63, v47 :: v_dual_mov_b32 v47, v48
	v_mul_f32_e32 v48, v49, v56
	v_pk_add_f32 v[16:17], v[16:17], v[62:63] neg_lo:[0,1] neg_hi:[0,1]
	s_delay_alu instid0(VALU_DEP_2) | instskip(NEXT) | instid1(VALU_DEP_1)
	v_pk_fma_f32 v[46:47], v[46:47], v[4:5], v[48:49] op_sel_hi:[1,1,0]
	v_mov_b32_e32 v59, v47
	s_delay_alu instid0(VALU_DEP_1)
	v_pk_add_f32 v[44:45], v[44:45], v[58:59] neg_lo:[0,1] neg_hi:[0,1]
.LBB38_167:
	s_or_b32 exec_lo, exec_lo, s0
	v_lshl_add_u32 v46, v54, 3, v50
	s_barrier_signal -1
	s_barrier_wait -1
	ds_store_b64 v46, v[34:35]
	s_wait_dscnt 0x0
	s_barrier_signal -1
	s_barrier_wait -1
	ds_load_b64 v[46:47], v50 offset:64
	v_mov_b32_e32 v48, 8
	s_cmp_lt_i32 s14, 10
	s_cbranch_scc1 .LBB38_170
; %bb.168:
	v_add3_u32 v49, v51, 0, 0x48
	v_mov_b32_e32 v48, 8
	s_mov_b32 s0, 9
.LBB38_169:                             ; =>This Inner Loop Header: Depth=1
	ds_load_b64 v[56:57], v49
	s_wait_dscnt 0x1
	v_cmp_gt_f32_e32 vcc_lo, 0, v46
	v_cndmask_b32_e64 v58, v46, -v46, vcc_lo
	v_cmp_gt_f32_e32 vcc_lo, 0, v47
	v_cndmask_b32_e64 v60, v47, -v47, vcc_lo
	s_wait_dscnt 0x0
	v_cmp_gt_f32_e32 vcc_lo, 0, v56
	v_cndmask_b32_e64 v59, v56, -v56, vcc_lo
	v_cmp_gt_f32_e32 vcc_lo, 0, v57
	v_cndmask_b32_e64 v61, v57, -v57, vcc_lo
	s_delay_alu instid0(VALU_DEP_1) | instskip(NEXT) | instid1(VALU_DEP_1)
	v_pk_add_f32 v[58:59], v[58:59], v[60:61]
	v_cmp_lt_f32_e32 vcc_lo, v58, v59
	v_dual_cndmask_b32 v46, v46, v56 :: v_dual_add_nc_u32 v49, 8, v49
	v_cndmask_b32_e32 v47, v47, v57, vcc_lo
	v_cndmask_b32_e64 v48, v48, s0, vcc_lo
	s_add_co_i32 s0, s0, 1
	s_delay_alu instid0(SALU_CYCLE_1)
	s_cmp_lg_u32 s14, s0
	s_cbranch_scc1 .LBB38_169
.LBB38_170:
	s_wait_dscnt 0x0
	v_cmp_eq_f32_e32 vcc_lo, 0, v46
	v_cmp_eq_f32_e64 s0, 0, v47
	s_and_b32 s0, vcc_lo, s0
	s_delay_alu instid0(SALU_CYCLE_1) | instskip(NEXT) | instid1(SALU_CYCLE_1)
	s_and_saveexec_b32 s1, s0
	s_xor_b32 s0, exec_lo, s1
; %bb.171:
	v_cmp_ne_u32_e32 vcc_lo, 0, v53
	v_cndmask_b32_e32 v53, 9, v53, vcc_lo
; %bb.172:
	s_and_not1_saveexec_b32 s0, s0
	s_cbranch_execz .LBB38_178
; %bb.173:
	v_cmp_ngt_f32_e64 s1, |v46|, |v47|
	s_and_saveexec_b32 s15, s1
	s_delay_alu instid0(SALU_CYCLE_1)
	s_xor_b32 s1, exec_lo, s15
	s_cbranch_execz .LBB38_175
; %bb.174:
	v_div_scale_f32 v49, null, v47, v47, v46
	v_div_scale_f32 v57, vcc_lo, v46, v47, v46
	s_delay_alu instid0(VALU_DEP_2) | instskip(SKIP_1) | instid1(TRANS32_DEP_1)
	v_rcp_f32_e32 v55, v49
	v_nop
	v_fma_f32 v56, -v49, v55, 1.0
	s_delay_alu instid0(VALU_DEP_1) | instskip(NEXT) | instid1(VALU_DEP_1)
	v_fmac_f32_e32 v55, v56, v55
	v_mul_f32_e32 v56, v57, v55
	s_delay_alu instid0(VALU_DEP_1) | instskip(NEXT) | instid1(VALU_DEP_1)
	v_fma_f32 v58, -v49, v56, v57
	v_fmac_f32_e32 v56, v58, v55
	s_delay_alu instid0(VALU_DEP_1) | instskip(NEXT) | instid1(VALU_DEP_1)
	v_fma_f32 v49, -v49, v56, v57
	v_div_fmas_f32 v49, v49, v55, v56
	s_delay_alu instid0(VALU_DEP_1) | instskip(NEXT) | instid1(VALU_DEP_1)
	v_div_fixup_f32 v49, v49, v47, v46
	v_fmac_f32_e32 v47, v46, v49
	s_delay_alu instid0(VALU_DEP_1) | instskip(SKIP_1) | instid1(VALU_DEP_2)
	v_div_scale_f32 v46, null, v47, v47, 1.0
	v_div_scale_f32 v57, vcc_lo, 1.0, v47, 1.0
	v_rcp_f32_e32 v55, v46
	v_nop
	s_delay_alu instid0(TRANS32_DEP_1) | instskip(NEXT) | instid1(VALU_DEP_1)
	v_fma_f32 v56, -v46, v55, 1.0
	v_fmac_f32_e32 v55, v56, v55
	s_delay_alu instid0(VALU_DEP_1) | instskip(NEXT) | instid1(VALU_DEP_1)
	v_mul_f32_e32 v56, v57, v55
	v_fma_f32 v58, -v46, v56, v57
	s_delay_alu instid0(VALU_DEP_1) | instskip(NEXT) | instid1(VALU_DEP_1)
	v_fmac_f32_e32 v56, v58, v55
	v_fma_f32 v46, -v46, v56, v57
	s_delay_alu instid0(VALU_DEP_1) | instskip(NEXT) | instid1(VALU_DEP_1)
	v_div_fmas_f32 v46, v46, v55, v56
	v_div_fixup_f32 v47, v46, v47, 1.0
	s_delay_alu instid0(VALU_DEP_1)
	v_mul_f32_e32 v46, v49, v47
	v_xor_b32_e32 v47, 0x80000000, v47
.LBB38_175:
	s_and_not1_saveexec_b32 s1, s1
	s_cbranch_execz .LBB38_177
; %bb.176:
	s_delay_alu instid0(VALU_DEP_1) | instskip(SKIP_1) | instid1(VALU_DEP_2)
	v_div_scale_f32 v49, null, v46, v46, v47
	v_div_scale_f32 v57, vcc_lo, v47, v46, v47
	v_rcp_f32_e32 v55, v49
	v_nop
	s_delay_alu instid0(TRANS32_DEP_1) | instskip(NEXT) | instid1(VALU_DEP_1)
	v_fma_f32 v56, -v49, v55, 1.0
	v_fmac_f32_e32 v55, v56, v55
	s_delay_alu instid0(VALU_DEP_1) | instskip(NEXT) | instid1(VALU_DEP_1)
	v_mul_f32_e32 v56, v57, v55
	v_fma_f32 v58, -v49, v56, v57
	s_delay_alu instid0(VALU_DEP_1) | instskip(NEXT) | instid1(VALU_DEP_1)
	v_fmac_f32_e32 v56, v58, v55
	v_fma_f32 v49, -v49, v56, v57
	s_delay_alu instid0(VALU_DEP_1) | instskip(NEXT) | instid1(VALU_DEP_1)
	v_div_fmas_f32 v49, v49, v55, v56
	v_div_fixup_f32 v49, v49, v46, v47
	s_delay_alu instid0(VALU_DEP_1) | instskip(NEXT) | instid1(VALU_DEP_1)
	v_fmac_f32_e32 v46, v47, v49
	v_div_scale_f32 v47, null, v46, v46, 1.0
	s_delay_alu instid0(VALU_DEP_1) | instskip(SKIP_1) | instid1(TRANS32_DEP_1)
	v_rcp_f32_e32 v55, v47
	v_nop
	v_fma_f32 v56, -v47, v55, 1.0
	s_delay_alu instid0(VALU_DEP_1) | instskip(SKIP_1) | instid1(VALU_DEP_1)
	v_fmac_f32_e32 v55, v56, v55
	v_div_scale_f32 v56, vcc_lo, 1.0, v46, 1.0
	v_mul_f32_e32 v57, v56, v55
	s_delay_alu instid0(VALU_DEP_1) | instskip(NEXT) | instid1(VALU_DEP_1)
	v_fma_f32 v58, -v47, v57, v56
	v_fmac_f32_e32 v57, v58, v55
	s_delay_alu instid0(VALU_DEP_1) | instskip(NEXT) | instid1(VALU_DEP_1)
	v_fma_f32 v47, -v47, v57, v56
	v_div_fmas_f32 v47, v47, v55, v57
	s_delay_alu instid0(VALU_DEP_1) | instskip(NEXT) | instid1(VALU_DEP_1)
	v_div_fixup_f32 v46, v47, v46, 1.0
	v_mul_f32_e64 v47, v49, -v46
.LBB38_177:
	s_or_b32 exec_lo, exec_lo, s1
.LBB38_178:
	s_delay_alu instid0(SALU_CYCLE_1) | instskip(NEXT) | instid1(SALU_CYCLE_1)
	s_or_b32 exec_lo, exec_lo, s0
	s_mov_b32 s0, exec_lo
	v_cmpx_ne_u32_e64 v54, v48
	s_xor_b32 s0, exec_lo, s0
	s_cbranch_execz .LBB38_184
; %bb.179:
	s_mov_b32 s1, exec_lo
	v_cmpx_eq_u32_e32 8, v54
	s_cbranch_execz .LBB38_183
; %bb.180:
	v_cmp_ne_u32_e32 vcc_lo, 8, v48
	s_xor_b32 s15, s12, -1
	s_delay_alu instid0(SALU_CYCLE_1) | instskip(NEXT) | instid1(SALU_CYCLE_1)
	s_and_b32 s16, s15, vcc_lo
	s_and_saveexec_b32 s15, s16
	s_cbranch_execz .LBB38_182
; %bb.181:
	v_ashrrev_i32_e32 v49, 31, v48
	s_delay_alu instid0(VALU_DEP_1)
	v_lshl_add_u64 v[54:55], v[48:49], 2, v[36:37]
	s_clause 0x1
	global_load_b32 v49, v[54:55], off
	global_load_b32 v52, v[36:37], off offset:32
	s_wait_loadcnt 0x1
	global_store_b32 v[36:37], v49, off offset:32
	s_wait_loadcnt 0x0
	global_store_b32 v[54:55], v52, off
.LBB38_182:
	s_wait_xcnt 0x0
	s_or_b32 exec_lo, exec_lo, s15
	v_dual_mov_b32 v54, v48 :: v_dual_mov_b32 v52, v48
.LBB38_183:
	s_or_b32 exec_lo, exec_lo, s1
.LBB38_184:
	s_and_not1_saveexec_b32 s0, s0
	s_cbranch_execz .LBB38_186
; %bb.185:
	v_mov_b32_e32 v54, 8
	ds_store_2addr_b64 v50, v[30:31], v[32:33] offset0:9 offset1:10
	ds_store_2addr_b64 v50, v[8:9], v[26:27] offset0:11 offset1:12
	;; [unrolled: 1-line block ×5, first 2 shown]
	ds_store_b64 v50, v[44:45] offset:152
.LBB38_186:
	s_or_b32 exec_lo, exec_lo, s0
	s_delay_alu instid0(SALU_CYCLE_1)
	s_mov_b32 s0, exec_lo
	s_wait_storecnt_dscnt 0x0
	s_barrier_signal -1
	s_barrier_wait -1
	v_cmpx_lt_i32_e32 8, v54
	s_cbranch_execz .LBB38_188
; %bb.187:
	v_pk_mul_f32 v[48:49], v[46:47], v[34:35] op_sel:[1,1] op_sel_hi:[0,1]
	s_delay_alu instid0(VALU_DEP_1)
	v_pk_fma_f32 v[56:57], v[46:47], v[34:35], v[48:49] op_sel_hi:[1,0,1] neg_lo:[0,0,1] neg_hi:[0,0,1]
	v_pk_fma_f32 v[58:59], v[46:47], v[34:35], v[48:49] op_sel_hi:[1,0,1]
	ds_load_2addr_b64 v[46:49], v50 offset0:9 offset1:10
	v_dual_mov_b32 v34, v56 :: v_dual_mov_b32 v35, v59
	s_wait_dscnt 0x0
	v_pk_mul_f32 v[60:61], v[46:47], v[58:59] op_sel:[0,1]
	s_delay_alu instid0(VALU_DEP_1) | instskip(SKIP_1) | instid1(VALU_DEP_1)
	v_pk_fma_f32 v[62:63], v[46:47], v[56:57], v[60:61] op_sel:[0,0,1] op_sel_hi:[1,1,0] neg_lo:[0,0,1] neg_hi:[0,0,1]
	v_pk_fma_f32 v[46:47], v[46:47], v[56:57], v[60:61] op_sel:[0,0,1] op_sel_hi:[1,0,0]
	v_mov_b32_e32 v63, v47
	v_pk_mul_f32 v[46:47], v[48:49], v[58:59] op_sel:[0,1]
	s_delay_alu instid0(VALU_DEP_1) | instskip(SKIP_1) | instid1(VALU_DEP_1)
	v_pk_fma_f32 v[60:61], v[48:49], v[56:57], v[46:47] op_sel:[0,0,1] op_sel_hi:[1,1,0] neg_lo:[0,0,1] neg_hi:[0,0,1]
	v_pk_fma_f32 v[46:47], v[48:49], v[56:57], v[46:47] op_sel:[0,0,1] op_sel_hi:[1,0,0]
	v_mov_b32_e32 v61, v47
	ds_load_2addr_b64 v[46:49], v50 offset0:11 offset1:12
	v_pk_add_f32 v[30:31], v[30:31], v[62:63] neg_lo:[0,1] neg_hi:[0,1]
	v_pk_add_f32 v[32:33], v[32:33], v[60:61] neg_lo:[0,1] neg_hi:[0,1]
	s_wait_dscnt 0x0
	v_pk_mul_f32 v[60:61], v[46:47], v[58:59] op_sel:[0,1]
	s_delay_alu instid0(VALU_DEP_1) | instskip(SKIP_2) | instid1(VALU_DEP_2)
	v_pk_fma_f32 v[62:63], v[46:47], v[56:57], v[60:61] op_sel:[0,0,1] op_sel_hi:[1,1,0] neg_lo:[0,0,1] neg_hi:[0,0,1]
	v_pk_fma_f32 v[46:47], v[46:47], v[56:57], v[60:61] op_sel:[0,0,1] op_sel_hi:[1,0,0]
	v_dual_mul_f32 v60, v49, v59 :: v_dual_mov_b32 v46, v49
	v_dual_mov_b32 v63, v47 :: v_dual_mov_b32 v47, v48
	s_delay_alu instid0(VALU_DEP_2) | instskip(SKIP_1) | instid1(VALU_DEP_3)
	v_pk_fma_f32 v[60:61], v[48:49], v[34:35], v[60:61] op_sel_hi:[1,1,0] neg_lo:[0,0,1] neg_hi:[0,0,1]
	v_mul_f32_e32 v48, v49, v56
	v_pk_add_f32 v[8:9], v[8:9], v[62:63] neg_lo:[0,1] neg_hi:[0,1]
	s_delay_alu instid0(VALU_DEP_2) | instskip(NEXT) | instid1(VALU_DEP_1)
	v_pk_fma_f32 v[46:47], v[46:47], v[34:35], v[48:49] op_sel_hi:[1,1,0]
	v_mov_b32_e32 v61, v47
	ds_load_2addr_b64 v[46:49], v50 offset0:13 offset1:14
	v_pk_add_f32 v[26:27], v[26:27], v[60:61] neg_lo:[0,1] neg_hi:[0,1]
	s_wait_dscnt 0x0
	v_pk_mul_f32 v[60:61], v[46:47], v[58:59] op_sel:[0,1]
	s_delay_alu instid0(VALU_DEP_1) | instskip(SKIP_1) | instid1(VALU_DEP_1)
	v_pk_fma_f32 v[62:63], v[46:47], v[56:57], v[60:61] op_sel:[0,0,1] op_sel_hi:[1,1,0] neg_lo:[0,0,1] neg_hi:[0,0,1]
	v_pk_fma_f32 v[46:47], v[46:47], v[56:57], v[60:61] op_sel:[0,0,1] op_sel_hi:[1,0,0]
	v_mov_b32_e32 v63, v47
	v_pk_mul_f32 v[46:47], v[48:49], v[58:59] op_sel:[0,1]
	s_delay_alu instid0(VALU_DEP_1) | instskip(SKIP_1) | instid1(VALU_DEP_1)
	v_pk_fma_f32 v[60:61], v[48:49], v[56:57], v[46:47] op_sel:[0,0,1] op_sel_hi:[1,1,0] neg_lo:[0,0,1] neg_hi:[0,0,1]
	v_pk_fma_f32 v[46:47], v[48:49], v[56:57], v[46:47] op_sel:[0,0,1] op_sel_hi:[1,0,0]
	v_mov_b32_e32 v61, v47
	ds_load_2addr_b64 v[46:49], v50 offset0:15 offset1:16
	v_pk_add_f32 v[22:23], v[22:23], v[62:63] neg_lo:[0,1] neg_hi:[0,1]
	v_pk_add_f32 v[24:25], v[24:25], v[60:61] neg_lo:[0,1] neg_hi:[0,1]
	s_wait_dscnt 0x0
	v_pk_mul_f32 v[60:61], v[46:47], v[58:59] op_sel:[0,1]
	s_delay_alu instid0(VALU_DEP_1) | instskip(SKIP_1) | instid1(VALU_DEP_1)
	v_pk_fma_f32 v[62:63], v[46:47], v[56:57], v[60:61] op_sel:[0,0,1] op_sel_hi:[1,1,0] neg_lo:[0,0,1] neg_hi:[0,0,1]
	v_pk_fma_f32 v[46:47], v[46:47], v[56:57], v[60:61] op_sel:[0,0,1] op_sel_hi:[1,0,0]
	v_mov_b32_e32 v63, v47
	v_pk_mul_f32 v[46:47], v[48:49], v[58:59] op_sel:[0,1]
	s_delay_alu instid0(VALU_DEP_1) | instskip(SKIP_1) | instid1(VALU_DEP_1)
	v_pk_fma_f32 v[60:61], v[48:49], v[56:57], v[46:47] op_sel:[0,0,1] op_sel_hi:[1,1,0] neg_lo:[0,0,1] neg_hi:[0,0,1]
	v_pk_fma_f32 v[46:47], v[48:49], v[56:57], v[46:47] op_sel:[0,0,1] op_sel_hi:[1,0,0]
	v_mov_b32_e32 v61, v47
	ds_load_2addr_b64 v[46:49], v50 offset0:17 offset1:18
	v_pk_add_f32 v[6:7], v[6:7], v[62:63] neg_lo:[0,1] neg_hi:[0,1]
	v_pk_add_f32 v[20:21], v[20:21], v[60:61] neg_lo:[0,1] neg_hi:[0,1]
	s_wait_dscnt 0x0
	v_dual_mul_f32 v60, v47, v59 :: v_dual_mul_f32 v62, v47, v56
	s_delay_alu instid0(VALU_DEP_1) | instskip(NEXT) | instid1(VALU_DEP_2)
	v_pk_fma_f32 v[60:61], v[46:47], v[34:35], v[60:61] op_sel_hi:[1,1,0] neg_lo:[0,0,1] neg_hi:[0,0,1]
	v_pk_fma_f32 v[46:47], v[46:47], v[34:35], v[62:63] op_sel:[1,0,0] op_sel_hi:[0,1,0]
	s_delay_alu instid0(VALU_DEP_1) | instskip(SKIP_1) | instid1(VALU_DEP_2)
	v_mov_b32_e32 v61, v47
	v_pk_mul_f32 v[46:47], v[48:49], v[58:59] op_sel:[0,1]
	v_pk_add_f32 v[18:19], v[18:19], v[60:61] neg_lo:[0,1] neg_hi:[0,1]
	s_delay_alu instid0(VALU_DEP_2) | instskip(SKIP_1) | instid1(VALU_DEP_1)
	v_pk_fma_f32 v[60:61], v[48:49], v[56:57], v[46:47] op_sel:[0,0,1] op_sel_hi:[1,1,0] neg_lo:[0,0,1] neg_hi:[0,0,1]
	v_pk_fma_f32 v[46:47], v[48:49], v[56:57], v[46:47] op_sel:[0,0,1] op_sel_hi:[1,0,0]
	v_mov_b32_e32 v61, v47
	ds_load_b64 v[46:47], v50 offset:152
	v_pk_add_f32 v[16:17], v[16:17], v[60:61] neg_lo:[0,1] neg_hi:[0,1]
	s_wait_dscnt 0x0
	v_pk_mul_f32 v[48:49], v[46:47], v[58:59] op_sel:[0,1]
	s_delay_alu instid0(VALU_DEP_1) | instskip(SKIP_1) | instid1(VALU_DEP_1)
	v_pk_fma_f32 v[58:59], v[46:47], v[56:57], v[48:49] op_sel:[0,0,1] op_sel_hi:[1,1,0] neg_lo:[0,0,1] neg_hi:[0,0,1]
	v_pk_fma_f32 v[46:47], v[46:47], v[56:57], v[48:49] op_sel:[0,0,1] op_sel_hi:[1,0,0]
	v_mov_b32_e32 v59, v47
	s_delay_alu instid0(VALU_DEP_1)
	v_pk_add_f32 v[44:45], v[44:45], v[58:59] neg_lo:[0,1] neg_hi:[0,1]
.LBB38_188:
	s_or_b32 exec_lo, exec_lo, s0
	v_lshl_add_u32 v46, v54, 3, v50
	s_barrier_signal -1
	s_barrier_wait -1
	ds_store_b64 v46, v[30:31]
	s_wait_dscnt 0x0
	s_barrier_signal -1
	s_barrier_wait -1
	ds_load_b64 v[46:47], v50 offset:72
	v_mov_b32_e32 v48, 9
	s_cmp_lt_i32 s14, 11
	s_cbranch_scc1 .LBB38_191
; %bb.189:
	v_add3_u32 v49, v51, 0, 0x50
	v_mov_b32_e32 v48, 9
	s_mov_b32 s0, 10
.LBB38_190:                             ; =>This Inner Loop Header: Depth=1
	ds_load_b64 v[56:57], v49
	s_wait_dscnt 0x1
	v_cmp_gt_f32_e32 vcc_lo, 0, v46
	v_cndmask_b32_e64 v58, v46, -v46, vcc_lo
	v_cmp_gt_f32_e32 vcc_lo, 0, v47
	v_cndmask_b32_e64 v60, v47, -v47, vcc_lo
	s_wait_dscnt 0x0
	v_cmp_gt_f32_e32 vcc_lo, 0, v56
	v_cndmask_b32_e64 v59, v56, -v56, vcc_lo
	v_cmp_gt_f32_e32 vcc_lo, 0, v57
	v_cndmask_b32_e64 v61, v57, -v57, vcc_lo
	s_delay_alu instid0(VALU_DEP_1) | instskip(NEXT) | instid1(VALU_DEP_1)
	v_pk_add_f32 v[58:59], v[58:59], v[60:61]
	v_cmp_lt_f32_e32 vcc_lo, v58, v59
	v_dual_cndmask_b32 v46, v46, v56 :: v_dual_add_nc_u32 v49, 8, v49
	v_cndmask_b32_e32 v47, v47, v57, vcc_lo
	v_cndmask_b32_e64 v48, v48, s0, vcc_lo
	s_add_co_i32 s0, s0, 1
	s_delay_alu instid0(SALU_CYCLE_1)
	s_cmp_lg_u32 s14, s0
	s_cbranch_scc1 .LBB38_190
.LBB38_191:
	s_wait_dscnt 0x0
	v_cmp_eq_f32_e32 vcc_lo, 0, v46
	v_cmp_eq_f32_e64 s0, 0, v47
	s_and_b32 s0, vcc_lo, s0
	s_delay_alu instid0(SALU_CYCLE_1) | instskip(NEXT) | instid1(SALU_CYCLE_1)
	s_and_saveexec_b32 s1, s0
	s_xor_b32 s0, exec_lo, s1
; %bb.192:
	v_cmp_ne_u32_e32 vcc_lo, 0, v53
	v_cndmask_b32_e32 v53, 10, v53, vcc_lo
; %bb.193:
	s_and_not1_saveexec_b32 s0, s0
	s_cbranch_execz .LBB38_199
; %bb.194:
	v_cmp_ngt_f32_e64 s1, |v46|, |v47|
	s_and_saveexec_b32 s15, s1
	s_delay_alu instid0(SALU_CYCLE_1)
	s_xor_b32 s1, exec_lo, s15
	s_cbranch_execz .LBB38_196
; %bb.195:
	v_div_scale_f32 v49, null, v47, v47, v46
	v_div_scale_f32 v57, vcc_lo, v46, v47, v46
	s_delay_alu instid0(VALU_DEP_2) | instskip(SKIP_1) | instid1(TRANS32_DEP_1)
	v_rcp_f32_e32 v55, v49
	v_nop
	v_fma_f32 v56, -v49, v55, 1.0
	s_delay_alu instid0(VALU_DEP_1) | instskip(NEXT) | instid1(VALU_DEP_1)
	v_fmac_f32_e32 v55, v56, v55
	v_mul_f32_e32 v56, v57, v55
	s_delay_alu instid0(VALU_DEP_1) | instskip(NEXT) | instid1(VALU_DEP_1)
	v_fma_f32 v58, -v49, v56, v57
	v_fmac_f32_e32 v56, v58, v55
	s_delay_alu instid0(VALU_DEP_1) | instskip(NEXT) | instid1(VALU_DEP_1)
	v_fma_f32 v49, -v49, v56, v57
	v_div_fmas_f32 v49, v49, v55, v56
	s_delay_alu instid0(VALU_DEP_1) | instskip(NEXT) | instid1(VALU_DEP_1)
	v_div_fixup_f32 v49, v49, v47, v46
	v_fmac_f32_e32 v47, v46, v49
	s_delay_alu instid0(VALU_DEP_1) | instskip(SKIP_1) | instid1(VALU_DEP_2)
	v_div_scale_f32 v46, null, v47, v47, 1.0
	v_div_scale_f32 v57, vcc_lo, 1.0, v47, 1.0
	v_rcp_f32_e32 v55, v46
	v_nop
	s_delay_alu instid0(TRANS32_DEP_1) | instskip(NEXT) | instid1(VALU_DEP_1)
	v_fma_f32 v56, -v46, v55, 1.0
	v_fmac_f32_e32 v55, v56, v55
	s_delay_alu instid0(VALU_DEP_1) | instskip(NEXT) | instid1(VALU_DEP_1)
	v_mul_f32_e32 v56, v57, v55
	v_fma_f32 v58, -v46, v56, v57
	s_delay_alu instid0(VALU_DEP_1) | instskip(NEXT) | instid1(VALU_DEP_1)
	v_fmac_f32_e32 v56, v58, v55
	v_fma_f32 v46, -v46, v56, v57
	s_delay_alu instid0(VALU_DEP_1) | instskip(NEXT) | instid1(VALU_DEP_1)
	v_div_fmas_f32 v46, v46, v55, v56
	v_div_fixup_f32 v47, v46, v47, 1.0
	s_delay_alu instid0(VALU_DEP_1)
	v_mul_f32_e32 v46, v49, v47
	v_xor_b32_e32 v47, 0x80000000, v47
.LBB38_196:
	s_and_not1_saveexec_b32 s1, s1
	s_cbranch_execz .LBB38_198
; %bb.197:
	s_delay_alu instid0(VALU_DEP_1) | instskip(SKIP_1) | instid1(VALU_DEP_2)
	v_div_scale_f32 v49, null, v46, v46, v47
	v_div_scale_f32 v57, vcc_lo, v47, v46, v47
	v_rcp_f32_e32 v55, v49
	v_nop
	s_delay_alu instid0(TRANS32_DEP_1) | instskip(NEXT) | instid1(VALU_DEP_1)
	v_fma_f32 v56, -v49, v55, 1.0
	v_fmac_f32_e32 v55, v56, v55
	s_delay_alu instid0(VALU_DEP_1) | instskip(NEXT) | instid1(VALU_DEP_1)
	v_mul_f32_e32 v56, v57, v55
	v_fma_f32 v58, -v49, v56, v57
	s_delay_alu instid0(VALU_DEP_1) | instskip(NEXT) | instid1(VALU_DEP_1)
	v_fmac_f32_e32 v56, v58, v55
	v_fma_f32 v49, -v49, v56, v57
	s_delay_alu instid0(VALU_DEP_1) | instskip(NEXT) | instid1(VALU_DEP_1)
	v_div_fmas_f32 v49, v49, v55, v56
	v_div_fixup_f32 v49, v49, v46, v47
	s_delay_alu instid0(VALU_DEP_1) | instskip(NEXT) | instid1(VALU_DEP_1)
	v_fmac_f32_e32 v46, v47, v49
	v_div_scale_f32 v47, null, v46, v46, 1.0
	s_delay_alu instid0(VALU_DEP_1) | instskip(SKIP_1) | instid1(TRANS32_DEP_1)
	v_rcp_f32_e32 v55, v47
	v_nop
	v_fma_f32 v56, -v47, v55, 1.0
	s_delay_alu instid0(VALU_DEP_1) | instskip(SKIP_1) | instid1(VALU_DEP_1)
	v_fmac_f32_e32 v55, v56, v55
	v_div_scale_f32 v56, vcc_lo, 1.0, v46, 1.0
	v_mul_f32_e32 v57, v56, v55
	s_delay_alu instid0(VALU_DEP_1) | instskip(NEXT) | instid1(VALU_DEP_1)
	v_fma_f32 v58, -v47, v57, v56
	v_fmac_f32_e32 v57, v58, v55
	s_delay_alu instid0(VALU_DEP_1) | instskip(NEXT) | instid1(VALU_DEP_1)
	v_fma_f32 v47, -v47, v57, v56
	v_div_fmas_f32 v47, v47, v55, v57
	s_delay_alu instid0(VALU_DEP_1) | instskip(NEXT) | instid1(VALU_DEP_1)
	v_div_fixup_f32 v46, v47, v46, 1.0
	v_mul_f32_e64 v47, v49, -v46
.LBB38_198:
	s_or_b32 exec_lo, exec_lo, s1
.LBB38_199:
	s_delay_alu instid0(SALU_CYCLE_1) | instskip(NEXT) | instid1(SALU_CYCLE_1)
	s_or_b32 exec_lo, exec_lo, s0
	s_mov_b32 s0, exec_lo
	v_cmpx_ne_u32_e64 v54, v48
	s_xor_b32 s0, exec_lo, s0
	s_cbranch_execz .LBB38_205
; %bb.200:
	s_mov_b32 s1, exec_lo
	v_cmpx_eq_u32_e32 9, v54
	s_cbranch_execz .LBB38_204
; %bb.201:
	v_cmp_ne_u32_e32 vcc_lo, 9, v48
	s_xor_b32 s15, s12, -1
	s_delay_alu instid0(SALU_CYCLE_1) | instskip(NEXT) | instid1(SALU_CYCLE_1)
	s_and_b32 s16, s15, vcc_lo
	s_and_saveexec_b32 s15, s16
	s_cbranch_execz .LBB38_203
; %bb.202:
	v_ashrrev_i32_e32 v49, 31, v48
	s_delay_alu instid0(VALU_DEP_1)
	v_lshl_add_u64 v[54:55], v[48:49], 2, v[36:37]
	s_clause 0x1
	global_load_b32 v49, v[54:55], off
	global_load_b32 v52, v[36:37], off offset:36
	s_wait_loadcnt 0x1
	global_store_b32 v[36:37], v49, off offset:36
	s_wait_loadcnt 0x0
	global_store_b32 v[54:55], v52, off
.LBB38_203:
	s_wait_xcnt 0x0
	s_or_b32 exec_lo, exec_lo, s15
	v_dual_mov_b32 v54, v48 :: v_dual_mov_b32 v52, v48
.LBB38_204:
	s_or_b32 exec_lo, exec_lo, s1
.LBB38_205:
	s_and_not1_saveexec_b32 s0, s0
	s_cbranch_execz .LBB38_207
; %bb.206:
	v_dual_mov_b32 v48, v32 :: v_dual_mov_b32 v49, v33
	v_dual_mov_b32 v56, v8 :: v_dual_mov_b32 v57, v9
	;; [unrolled: 1-line block ×9, first 2 shown]
	v_mov_b32_e32 v71, v17
	ds_store_2addr_b64 v50, v[48:49], v[56:57] offset0:10 offset1:11
	ds_store_2addr_b64 v50, v[58:59], v[60:61] offset0:12 offset1:13
	;; [unrolled: 1-line block ×5, first 2 shown]
.LBB38_207:
	s_or_b32 exec_lo, exec_lo, s0
	s_delay_alu instid0(SALU_CYCLE_1)
	s_mov_b32 s0, exec_lo
	s_wait_storecnt_dscnt 0x0
	s_barrier_signal -1
	s_barrier_wait -1
	v_cmpx_lt_i32_e32 9, v54
	s_cbranch_execz .LBB38_209
; %bb.208:
	v_pk_mul_f32 v[48:49], v[46:47], v[30:31] op_sel:[1,1] op_sel_hi:[0,1]
	s_delay_alu instid0(VALU_DEP_1)
	v_pk_fma_f32 v[56:57], v[46:47], v[30:31], v[48:49] op_sel_hi:[1,0,1] neg_lo:[0,0,1] neg_hi:[0,0,1]
	v_pk_fma_f32 v[58:59], v[46:47], v[30:31], v[48:49] op_sel_hi:[1,0,1]
	ds_load_2addr_b64 v[46:49], v50 offset0:10 offset1:11
	v_dual_mov_b32 v30, v56 :: v_dual_mov_b32 v31, v59
	s_wait_dscnt 0x0
	v_pk_mul_f32 v[60:61], v[46:47], v[58:59] op_sel:[0,1]
	s_delay_alu instid0(VALU_DEP_1) | instskip(SKIP_1) | instid1(VALU_DEP_1)
	v_pk_fma_f32 v[62:63], v[46:47], v[56:57], v[60:61] op_sel:[0,0,1] op_sel_hi:[1,1,0] neg_lo:[0,0,1] neg_hi:[0,0,1]
	v_pk_fma_f32 v[46:47], v[46:47], v[56:57], v[60:61] op_sel:[0,0,1] op_sel_hi:[1,0,0]
	v_mov_b32_e32 v63, v47
	v_pk_mul_f32 v[46:47], v[48:49], v[58:59] op_sel:[0,1]
	s_delay_alu instid0(VALU_DEP_1) | instskip(SKIP_1) | instid1(VALU_DEP_1)
	v_pk_fma_f32 v[60:61], v[48:49], v[56:57], v[46:47] op_sel:[0,0,1] op_sel_hi:[1,1,0] neg_lo:[0,0,1] neg_hi:[0,0,1]
	v_pk_fma_f32 v[46:47], v[48:49], v[56:57], v[46:47] op_sel:[0,0,1] op_sel_hi:[1,0,0]
	v_mov_b32_e32 v61, v47
	ds_load_2addr_b64 v[46:49], v50 offset0:12 offset1:13
	v_pk_add_f32 v[32:33], v[32:33], v[62:63] neg_lo:[0,1] neg_hi:[0,1]
	v_pk_add_f32 v[8:9], v[8:9], v[60:61] neg_lo:[0,1] neg_hi:[0,1]
	s_wait_dscnt 0x0
	v_pk_mul_f32 v[60:61], v[46:47], v[58:59] op_sel:[0,1]
	s_delay_alu instid0(VALU_DEP_1) | instskip(SKIP_2) | instid1(VALU_DEP_2)
	v_pk_fma_f32 v[62:63], v[46:47], v[56:57], v[60:61] op_sel:[0,0,1] op_sel_hi:[1,1,0] neg_lo:[0,0,1] neg_hi:[0,0,1]
	v_pk_fma_f32 v[46:47], v[46:47], v[56:57], v[60:61] op_sel:[0,0,1] op_sel_hi:[1,0,0]
	v_dual_mul_f32 v60, v49, v59 :: v_dual_mov_b32 v46, v49
	v_dual_mov_b32 v63, v47 :: v_dual_mov_b32 v47, v48
	s_delay_alu instid0(VALU_DEP_2) | instskip(SKIP_1) | instid1(VALU_DEP_3)
	v_pk_fma_f32 v[60:61], v[48:49], v[30:31], v[60:61] op_sel_hi:[1,1,0] neg_lo:[0,0,1] neg_hi:[0,0,1]
	v_mul_f32_e32 v48, v49, v56
	v_pk_add_f32 v[26:27], v[26:27], v[62:63] neg_lo:[0,1] neg_hi:[0,1]
	s_delay_alu instid0(VALU_DEP_2) | instskip(NEXT) | instid1(VALU_DEP_1)
	v_pk_fma_f32 v[46:47], v[46:47], v[30:31], v[48:49] op_sel_hi:[1,1,0]
	v_mov_b32_e32 v61, v47
	ds_load_2addr_b64 v[46:49], v50 offset0:14 offset1:15
	v_pk_add_f32 v[22:23], v[22:23], v[60:61] neg_lo:[0,1] neg_hi:[0,1]
	s_wait_dscnt 0x0
	v_pk_mul_f32 v[60:61], v[46:47], v[58:59] op_sel:[0,1]
	s_delay_alu instid0(VALU_DEP_1) | instskip(SKIP_1) | instid1(VALU_DEP_1)
	v_pk_fma_f32 v[62:63], v[46:47], v[56:57], v[60:61] op_sel:[0,0,1] op_sel_hi:[1,1,0] neg_lo:[0,0,1] neg_hi:[0,0,1]
	v_pk_fma_f32 v[46:47], v[46:47], v[56:57], v[60:61] op_sel:[0,0,1] op_sel_hi:[1,0,0]
	v_mov_b32_e32 v63, v47
	v_pk_mul_f32 v[46:47], v[48:49], v[58:59] op_sel:[0,1]
	s_delay_alu instid0(VALU_DEP_1) | instskip(SKIP_1) | instid1(VALU_DEP_1)
	v_pk_fma_f32 v[60:61], v[48:49], v[56:57], v[46:47] op_sel:[0,0,1] op_sel_hi:[1,1,0] neg_lo:[0,0,1] neg_hi:[0,0,1]
	v_pk_fma_f32 v[46:47], v[48:49], v[56:57], v[46:47] op_sel:[0,0,1] op_sel_hi:[1,0,0]
	v_mov_b32_e32 v61, v47
	ds_load_2addr_b64 v[46:49], v50 offset0:16 offset1:17
	v_pk_add_f32 v[24:25], v[24:25], v[62:63] neg_lo:[0,1] neg_hi:[0,1]
	v_pk_add_f32 v[6:7], v[6:7], v[60:61] neg_lo:[0,1] neg_hi:[0,1]
	s_wait_dscnt 0x0
	v_pk_mul_f32 v[60:61], v[46:47], v[58:59] op_sel:[0,1]
	s_delay_alu instid0(VALU_DEP_1) | instskip(SKIP_1) | instid1(VALU_DEP_1)
	v_pk_fma_f32 v[62:63], v[46:47], v[56:57], v[60:61] op_sel:[0,0,1] op_sel_hi:[1,1,0] neg_lo:[0,0,1] neg_hi:[0,0,1]
	v_pk_fma_f32 v[46:47], v[46:47], v[56:57], v[60:61] op_sel:[0,0,1] op_sel_hi:[1,0,0]
	v_mov_b32_e32 v63, v47
	v_pk_mul_f32 v[46:47], v[48:49], v[58:59] op_sel:[0,1]
	s_delay_alu instid0(VALU_DEP_1) | instskip(SKIP_1) | instid1(VALU_DEP_1)
	v_pk_fma_f32 v[60:61], v[48:49], v[56:57], v[46:47] op_sel:[0,0,1] op_sel_hi:[1,1,0] neg_lo:[0,0,1] neg_hi:[0,0,1]
	v_pk_fma_f32 v[46:47], v[48:49], v[56:57], v[46:47] op_sel:[0,0,1] op_sel_hi:[1,0,0]
	v_mov_b32_e32 v61, v47
	ds_load_2addr_b64 v[46:49], v50 offset0:18 offset1:19
	v_pk_add_f32 v[20:21], v[20:21], v[62:63] neg_lo:[0,1] neg_hi:[0,1]
	v_pk_add_f32 v[18:19], v[18:19], v[60:61] neg_lo:[0,1] neg_hi:[0,1]
	s_wait_dscnt 0x0
	v_dual_mul_f32 v60, v47, v59 :: v_dual_mul_f32 v62, v47, v56
	s_delay_alu instid0(VALU_DEP_1) | instskip(NEXT) | instid1(VALU_DEP_2)
	v_pk_fma_f32 v[60:61], v[46:47], v[30:31], v[60:61] op_sel_hi:[1,1,0] neg_lo:[0,0,1] neg_hi:[0,0,1]
	v_pk_fma_f32 v[46:47], v[46:47], v[30:31], v[62:63] op_sel:[1,0,0] op_sel_hi:[0,1,0]
	s_delay_alu instid0(VALU_DEP_1) | instskip(SKIP_1) | instid1(VALU_DEP_1)
	v_mov_b32_e32 v61, v47
	v_pk_mul_f32 v[46:47], v[48:49], v[58:59] op_sel:[0,1]
	v_pk_fma_f32 v[58:59], v[48:49], v[56:57], v[46:47] op_sel:[0,0,1] op_sel_hi:[1,1,0] neg_lo:[0,0,1] neg_hi:[0,0,1]
	v_pk_fma_f32 v[46:47], v[48:49], v[56:57], v[46:47] op_sel:[0,0,1] op_sel_hi:[1,0,0]
	s_delay_alu instid0(VALU_DEP_1) | instskip(SKIP_1) | instid1(VALU_DEP_2)
	v_mov_b32_e32 v59, v47
	v_pk_add_f32 v[16:17], v[16:17], v[60:61] neg_lo:[0,1] neg_hi:[0,1]
	v_pk_add_f32 v[44:45], v[44:45], v[58:59] neg_lo:[0,1] neg_hi:[0,1]
.LBB38_209:
	s_or_b32 exec_lo, exec_lo, s0
	v_lshl_add_u32 v46, v54, 3, v50
	s_barrier_signal -1
	s_barrier_wait -1
	ds_store_b64 v46, v[32:33]
	s_wait_dscnt 0x0
	s_barrier_signal -1
	s_barrier_wait -1
	ds_load_b64 v[46:47], v50 offset:80
	v_mov_b32_e32 v48, 10
	s_cmp_lt_i32 s14, 12
	s_cbranch_scc1 .LBB38_212
; %bb.210:
	v_add3_u32 v49, v51, 0, 0x58
	v_mov_b32_e32 v48, 10
	s_mov_b32 s0, 11
.LBB38_211:                             ; =>This Inner Loop Header: Depth=1
	ds_load_b64 v[56:57], v49
	s_wait_dscnt 0x1
	v_cmp_gt_f32_e32 vcc_lo, 0, v46
	v_cndmask_b32_e64 v58, v46, -v46, vcc_lo
	v_cmp_gt_f32_e32 vcc_lo, 0, v47
	v_cndmask_b32_e64 v60, v47, -v47, vcc_lo
	s_wait_dscnt 0x0
	v_cmp_gt_f32_e32 vcc_lo, 0, v56
	v_cndmask_b32_e64 v59, v56, -v56, vcc_lo
	v_cmp_gt_f32_e32 vcc_lo, 0, v57
	v_cndmask_b32_e64 v61, v57, -v57, vcc_lo
	s_delay_alu instid0(VALU_DEP_1) | instskip(NEXT) | instid1(VALU_DEP_1)
	v_pk_add_f32 v[58:59], v[58:59], v[60:61]
	v_cmp_lt_f32_e32 vcc_lo, v58, v59
	v_dual_cndmask_b32 v46, v46, v56 :: v_dual_add_nc_u32 v49, 8, v49
	v_cndmask_b32_e32 v47, v47, v57, vcc_lo
	v_cndmask_b32_e64 v48, v48, s0, vcc_lo
	s_add_co_i32 s0, s0, 1
	s_delay_alu instid0(SALU_CYCLE_1)
	s_cmp_lg_u32 s14, s0
	s_cbranch_scc1 .LBB38_211
.LBB38_212:
	s_wait_dscnt 0x0
	v_cmp_eq_f32_e32 vcc_lo, 0, v46
	v_cmp_eq_f32_e64 s0, 0, v47
	s_and_b32 s0, vcc_lo, s0
	s_delay_alu instid0(SALU_CYCLE_1) | instskip(NEXT) | instid1(SALU_CYCLE_1)
	s_and_saveexec_b32 s1, s0
	s_xor_b32 s0, exec_lo, s1
; %bb.213:
	v_cmp_ne_u32_e32 vcc_lo, 0, v53
	v_cndmask_b32_e32 v53, 11, v53, vcc_lo
; %bb.214:
	s_and_not1_saveexec_b32 s0, s0
	s_cbranch_execz .LBB38_220
; %bb.215:
	v_cmp_ngt_f32_e64 s1, |v46|, |v47|
	s_and_saveexec_b32 s15, s1
	s_delay_alu instid0(SALU_CYCLE_1)
	s_xor_b32 s1, exec_lo, s15
	s_cbranch_execz .LBB38_217
; %bb.216:
	v_div_scale_f32 v49, null, v47, v47, v46
	v_div_scale_f32 v57, vcc_lo, v46, v47, v46
	s_delay_alu instid0(VALU_DEP_2) | instskip(SKIP_1) | instid1(TRANS32_DEP_1)
	v_rcp_f32_e32 v55, v49
	v_nop
	v_fma_f32 v56, -v49, v55, 1.0
	s_delay_alu instid0(VALU_DEP_1) | instskip(NEXT) | instid1(VALU_DEP_1)
	v_fmac_f32_e32 v55, v56, v55
	v_mul_f32_e32 v56, v57, v55
	s_delay_alu instid0(VALU_DEP_1) | instskip(NEXT) | instid1(VALU_DEP_1)
	v_fma_f32 v58, -v49, v56, v57
	v_fmac_f32_e32 v56, v58, v55
	s_delay_alu instid0(VALU_DEP_1) | instskip(NEXT) | instid1(VALU_DEP_1)
	v_fma_f32 v49, -v49, v56, v57
	v_div_fmas_f32 v49, v49, v55, v56
	s_delay_alu instid0(VALU_DEP_1) | instskip(NEXT) | instid1(VALU_DEP_1)
	v_div_fixup_f32 v49, v49, v47, v46
	v_fmac_f32_e32 v47, v46, v49
	s_delay_alu instid0(VALU_DEP_1) | instskip(SKIP_1) | instid1(VALU_DEP_2)
	v_div_scale_f32 v46, null, v47, v47, 1.0
	v_div_scale_f32 v57, vcc_lo, 1.0, v47, 1.0
	v_rcp_f32_e32 v55, v46
	v_nop
	s_delay_alu instid0(TRANS32_DEP_1) | instskip(NEXT) | instid1(VALU_DEP_1)
	v_fma_f32 v56, -v46, v55, 1.0
	v_fmac_f32_e32 v55, v56, v55
	s_delay_alu instid0(VALU_DEP_1) | instskip(NEXT) | instid1(VALU_DEP_1)
	v_mul_f32_e32 v56, v57, v55
	v_fma_f32 v58, -v46, v56, v57
	s_delay_alu instid0(VALU_DEP_1) | instskip(NEXT) | instid1(VALU_DEP_1)
	v_fmac_f32_e32 v56, v58, v55
	v_fma_f32 v46, -v46, v56, v57
	s_delay_alu instid0(VALU_DEP_1) | instskip(NEXT) | instid1(VALU_DEP_1)
	v_div_fmas_f32 v46, v46, v55, v56
	v_div_fixup_f32 v47, v46, v47, 1.0
	s_delay_alu instid0(VALU_DEP_1)
	v_mul_f32_e32 v46, v49, v47
	v_xor_b32_e32 v47, 0x80000000, v47
.LBB38_217:
	s_and_not1_saveexec_b32 s1, s1
	s_cbranch_execz .LBB38_219
; %bb.218:
	s_delay_alu instid0(VALU_DEP_1) | instskip(SKIP_1) | instid1(VALU_DEP_2)
	v_div_scale_f32 v49, null, v46, v46, v47
	v_div_scale_f32 v57, vcc_lo, v47, v46, v47
	v_rcp_f32_e32 v55, v49
	v_nop
	s_delay_alu instid0(TRANS32_DEP_1) | instskip(NEXT) | instid1(VALU_DEP_1)
	v_fma_f32 v56, -v49, v55, 1.0
	v_fmac_f32_e32 v55, v56, v55
	s_delay_alu instid0(VALU_DEP_1) | instskip(NEXT) | instid1(VALU_DEP_1)
	v_mul_f32_e32 v56, v57, v55
	v_fma_f32 v58, -v49, v56, v57
	s_delay_alu instid0(VALU_DEP_1) | instskip(NEXT) | instid1(VALU_DEP_1)
	v_fmac_f32_e32 v56, v58, v55
	v_fma_f32 v49, -v49, v56, v57
	s_delay_alu instid0(VALU_DEP_1) | instskip(NEXT) | instid1(VALU_DEP_1)
	v_div_fmas_f32 v49, v49, v55, v56
	v_div_fixup_f32 v49, v49, v46, v47
	s_delay_alu instid0(VALU_DEP_1) | instskip(NEXT) | instid1(VALU_DEP_1)
	v_fmac_f32_e32 v46, v47, v49
	v_div_scale_f32 v47, null, v46, v46, 1.0
	s_delay_alu instid0(VALU_DEP_1) | instskip(SKIP_1) | instid1(TRANS32_DEP_1)
	v_rcp_f32_e32 v55, v47
	v_nop
	v_fma_f32 v56, -v47, v55, 1.0
	s_delay_alu instid0(VALU_DEP_1) | instskip(SKIP_1) | instid1(VALU_DEP_1)
	v_fmac_f32_e32 v55, v56, v55
	v_div_scale_f32 v56, vcc_lo, 1.0, v46, 1.0
	v_mul_f32_e32 v57, v56, v55
	s_delay_alu instid0(VALU_DEP_1) | instskip(NEXT) | instid1(VALU_DEP_1)
	v_fma_f32 v58, -v47, v57, v56
	v_fmac_f32_e32 v57, v58, v55
	s_delay_alu instid0(VALU_DEP_1) | instskip(NEXT) | instid1(VALU_DEP_1)
	v_fma_f32 v47, -v47, v57, v56
	v_div_fmas_f32 v47, v47, v55, v57
	s_delay_alu instid0(VALU_DEP_1) | instskip(NEXT) | instid1(VALU_DEP_1)
	v_div_fixup_f32 v46, v47, v46, 1.0
	v_mul_f32_e64 v47, v49, -v46
.LBB38_219:
	s_or_b32 exec_lo, exec_lo, s1
.LBB38_220:
	s_delay_alu instid0(SALU_CYCLE_1) | instskip(NEXT) | instid1(SALU_CYCLE_1)
	s_or_b32 exec_lo, exec_lo, s0
	s_mov_b32 s0, exec_lo
	v_cmpx_ne_u32_e64 v54, v48
	s_xor_b32 s0, exec_lo, s0
	s_cbranch_execz .LBB38_226
; %bb.221:
	s_mov_b32 s1, exec_lo
	v_cmpx_eq_u32_e32 10, v54
	s_cbranch_execz .LBB38_225
; %bb.222:
	v_cmp_ne_u32_e32 vcc_lo, 10, v48
	s_xor_b32 s15, s12, -1
	s_delay_alu instid0(SALU_CYCLE_1) | instskip(NEXT) | instid1(SALU_CYCLE_1)
	s_and_b32 s16, s15, vcc_lo
	s_and_saveexec_b32 s15, s16
	s_cbranch_execz .LBB38_224
; %bb.223:
	v_ashrrev_i32_e32 v49, 31, v48
	s_delay_alu instid0(VALU_DEP_1)
	v_lshl_add_u64 v[54:55], v[48:49], 2, v[36:37]
	s_clause 0x1
	global_load_b32 v49, v[54:55], off
	global_load_b32 v52, v[36:37], off offset:40
	s_wait_loadcnt 0x1
	global_store_b32 v[36:37], v49, off offset:40
	s_wait_loadcnt 0x0
	global_store_b32 v[54:55], v52, off
.LBB38_224:
	s_wait_xcnt 0x0
	s_or_b32 exec_lo, exec_lo, s15
	v_dual_mov_b32 v54, v48 :: v_dual_mov_b32 v52, v48
.LBB38_225:
	s_or_b32 exec_lo, exec_lo, s1
.LBB38_226:
	s_and_not1_saveexec_b32 s0, s0
	s_cbranch_execz .LBB38_228
; %bb.227:
	v_mov_b32_e32 v54, 10
	ds_store_2addr_b64 v50, v[8:9], v[26:27] offset0:11 offset1:12
	ds_store_2addr_b64 v50, v[22:23], v[24:25] offset0:13 offset1:14
	;; [unrolled: 1-line block ×4, first 2 shown]
	ds_store_b64 v50, v[44:45] offset:152
.LBB38_228:
	s_or_b32 exec_lo, exec_lo, s0
	s_delay_alu instid0(SALU_CYCLE_1)
	s_mov_b32 s0, exec_lo
	s_wait_storecnt_dscnt 0x0
	s_barrier_signal -1
	s_barrier_wait -1
	v_cmpx_lt_i32_e32 10, v54
	s_cbranch_execz .LBB38_230
; %bb.229:
	v_pk_mul_f32 v[48:49], v[46:47], v[32:33] op_sel:[1,1] op_sel_hi:[0,1]
	s_delay_alu instid0(VALU_DEP_1)
	v_pk_fma_f32 v[56:57], v[46:47], v[32:33], v[48:49] op_sel_hi:[1,0,1] neg_lo:[0,0,1] neg_hi:[0,0,1]
	v_pk_fma_f32 v[58:59], v[46:47], v[32:33], v[48:49] op_sel_hi:[1,0,1]
	ds_load_2addr_b64 v[46:49], v50 offset0:11 offset1:12
	v_dual_mov_b32 v32, v56 :: v_dual_mov_b32 v33, v59
	s_wait_dscnt 0x0
	v_pk_mul_f32 v[60:61], v[46:47], v[58:59] op_sel:[0,1]
	s_delay_alu instid0(VALU_DEP_1) | instskip(SKIP_1) | instid1(VALU_DEP_1)
	v_pk_fma_f32 v[62:63], v[46:47], v[56:57], v[60:61] op_sel:[0,0,1] op_sel_hi:[1,1,0] neg_lo:[0,0,1] neg_hi:[0,0,1]
	v_pk_fma_f32 v[46:47], v[46:47], v[56:57], v[60:61] op_sel:[0,0,1] op_sel_hi:[1,0,0]
	v_mov_b32_e32 v63, v47
	v_pk_mul_f32 v[46:47], v[48:49], v[58:59] op_sel:[0,1]
	s_delay_alu instid0(VALU_DEP_1) | instskip(SKIP_1) | instid1(VALU_DEP_1)
	v_pk_fma_f32 v[60:61], v[48:49], v[56:57], v[46:47] op_sel:[0,0,1] op_sel_hi:[1,1,0] neg_lo:[0,0,1] neg_hi:[0,0,1]
	v_pk_fma_f32 v[46:47], v[48:49], v[56:57], v[46:47] op_sel:[0,0,1] op_sel_hi:[1,0,0]
	v_mov_b32_e32 v61, v47
	ds_load_2addr_b64 v[46:49], v50 offset0:13 offset1:14
	v_pk_add_f32 v[8:9], v[8:9], v[62:63] neg_lo:[0,1] neg_hi:[0,1]
	v_pk_add_f32 v[26:27], v[26:27], v[60:61] neg_lo:[0,1] neg_hi:[0,1]
	s_wait_dscnt 0x0
	v_pk_mul_f32 v[60:61], v[46:47], v[58:59] op_sel:[0,1]
	s_delay_alu instid0(VALU_DEP_1) | instskip(SKIP_2) | instid1(VALU_DEP_2)
	v_pk_fma_f32 v[62:63], v[46:47], v[56:57], v[60:61] op_sel:[0,0,1] op_sel_hi:[1,1,0] neg_lo:[0,0,1] neg_hi:[0,0,1]
	v_pk_fma_f32 v[46:47], v[46:47], v[56:57], v[60:61] op_sel:[0,0,1] op_sel_hi:[1,0,0]
	v_dual_mul_f32 v60, v49, v59 :: v_dual_mov_b32 v46, v49
	v_dual_mov_b32 v63, v47 :: v_dual_mov_b32 v47, v48
	s_delay_alu instid0(VALU_DEP_2) | instskip(SKIP_1) | instid1(VALU_DEP_3)
	v_pk_fma_f32 v[60:61], v[48:49], v[32:33], v[60:61] op_sel_hi:[1,1,0] neg_lo:[0,0,1] neg_hi:[0,0,1]
	v_mul_f32_e32 v48, v49, v56
	v_pk_add_f32 v[22:23], v[22:23], v[62:63] neg_lo:[0,1] neg_hi:[0,1]
	s_delay_alu instid0(VALU_DEP_2) | instskip(NEXT) | instid1(VALU_DEP_1)
	v_pk_fma_f32 v[46:47], v[46:47], v[32:33], v[48:49] op_sel_hi:[1,1,0]
	v_mov_b32_e32 v61, v47
	ds_load_2addr_b64 v[46:49], v50 offset0:15 offset1:16
	v_pk_add_f32 v[24:25], v[24:25], v[60:61] neg_lo:[0,1] neg_hi:[0,1]
	s_wait_dscnt 0x0
	v_pk_mul_f32 v[60:61], v[46:47], v[58:59] op_sel:[0,1]
	s_delay_alu instid0(VALU_DEP_1) | instskip(SKIP_1) | instid1(VALU_DEP_1)
	v_pk_fma_f32 v[62:63], v[46:47], v[56:57], v[60:61] op_sel:[0,0,1] op_sel_hi:[1,1,0] neg_lo:[0,0,1] neg_hi:[0,0,1]
	v_pk_fma_f32 v[46:47], v[46:47], v[56:57], v[60:61] op_sel:[0,0,1] op_sel_hi:[1,0,0]
	v_mov_b32_e32 v63, v47
	v_pk_mul_f32 v[46:47], v[48:49], v[58:59] op_sel:[0,1]
	s_delay_alu instid0(VALU_DEP_1) | instskip(SKIP_1) | instid1(VALU_DEP_1)
	v_pk_fma_f32 v[60:61], v[48:49], v[56:57], v[46:47] op_sel:[0,0,1] op_sel_hi:[1,1,0] neg_lo:[0,0,1] neg_hi:[0,0,1]
	v_pk_fma_f32 v[46:47], v[48:49], v[56:57], v[46:47] op_sel:[0,0,1] op_sel_hi:[1,0,0]
	v_mov_b32_e32 v61, v47
	ds_load_2addr_b64 v[46:49], v50 offset0:17 offset1:18
	v_pk_add_f32 v[6:7], v[6:7], v[62:63] neg_lo:[0,1] neg_hi:[0,1]
	v_pk_add_f32 v[20:21], v[20:21], v[60:61] neg_lo:[0,1] neg_hi:[0,1]
	s_wait_dscnt 0x0
	v_pk_mul_f32 v[60:61], v[46:47], v[58:59] op_sel:[0,1]
	s_delay_alu instid0(VALU_DEP_1) | instskip(SKIP_1) | instid1(VALU_DEP_1)
	v_pk_fma_f32 v[62:63], v[46:47], v[56:57], v[60:61] op_sel:[0,0,1] op_sel_hi:[1,1,0] neg_lo:[0,0,1] neg_hi:[0,0,1]
	v_pk_fma_f32 v[46:47], v[46:47], v[56:57], v[60:61] op_sel:[0,0,1] op_sel_hi:[1,0,0]
	v_mov_b32_e32 v63, v47
	v_pk_mul_f32 v[46:47], v[48:49], v[58:59] op_sel:[0,1]
	s_delay_alu instid0(VALU_DEP_1) | instskip(SKIP_1) | instid1(VALU_DEP_1)
	v_pk_fma_f32 v[60:61], v[48:49], v[56:57], v[46:47] op_sel:[0,0,1] op_sel_hi:[1,1,0] neg_lo:[0,0,1] neg_hi:[0,0,1]
	v_pk_fma_f32 v[46:47], v[48:49], v[56:57], v[46:47] op_sel:[0,0,1] op_sel_hi:[1,0,0]
	v_mov_b32_e32 v61, v47
	ds_load_b64 v[46:47], v50 offset:152
	v_pk_add_f32 v[18:19], v[18:19], v[62:63] neg_lo:[0,1] neg_hi:[0,1]
	v_pk_add_f32 v[16:17], v[16:17], v[60:61] neg_lo:[0,1] neg_hi:[0,1]
	s_wait_dscnt 0x0
	v_pk_mul_f32 v[48:49], v[46:47], v[58:59] op_sel:[0,1]
	s_delay_alu instid0(VALU_DEP_1) | instskip(SKIP_1) | instid1(VALU_DEP_1)
	v_pk_fma_f32 v[58:59], v[46:47], v[56:57], v[48:49] op_sel:[0,0,1] op_sel_hi:[1,1,0] neg_lo:[0,0,1] neg_hi:[0,0,1]
	v_pk_fma_f32 v[46:47], v[46:47], v[56:57], v[48:49] op_sel:[0,0,1] op_sel_hi:[1,0,0]
	v_mov_b32_e32 v59, v47
	s_delay_alu instid0(VALU_DEP_1)
	v_pk_add_f32 v[44:45], v[44:45], v[58:59] neg_lo:[0,1] neg_hi:[0,1]
.LBB38_230:
	s_or_b32 exec_lo, exec_lo, s0
	v_lshl_add_u32 v46, v54, 3, v50
	s_barrier_signal -1
	s_barrier_wait -1
	ds_store_b64 v46, v[8:9]
	s_wait_dscnt 0x0
	s_barrier_signal -1
	s_barrier_wait -1
	ds_load_b64 v[46:47], v50 offset:88
	v_mov_b32_e32 v48, 11
	s_cmp_lt_i32 s14, 13
	s_cbranch_scc1 .LBB38_233
; %bb.231:
	v_add3_u32 v49, v51, 0, 0x60
	v_mov_b32_e32 v48, 11
	s_mov_b32 s0, 12
.LBB38_232:                             ; =>This Inner Loop Header: Depth=1
	ds_load_b64 v[56:57], v49
	s_wait_dscnt 0x1
	v_cmp_gt_f32_e32 vcc_lo, 0, v46
	v_cndmask_b32_e64 v58, v46, -v46, vcc_lo
	v_cmp_gt_f32_e32 vcc_lo, 0, v47
	v_cndmask_b32_e64 v60, v47, -v47, vcc_lo
	s_wait_dscnt 0x0
	v_cmp_gt_f32_e32 vcc_lo, 0, v56
	v_cndmask_b32_e64 v59, v56, -v56, vcc_lo
	v_cmp_gt_f32_e32 vcc_lo, 0, v57
	v_cndmask_b32_e64 v61, v57, -v57, vcc_lo
	s_delay_alu instid0(VALU_DEP_1) | instskip(NEXT) | instid1(VALU_DEP_1)
	v_pk_add_f32 v[58:59], v[58:59], v[60:61]
	v_cmp_lt_f32_e32 vcc_lo, v58, v59
	v_dual_cndmask_b32 v46, v46, v56 :: v_dual_add_nc_u32 v49, 8, v49
	v_cndmask_b32_e32 v47, v47, v57, vcc_lo
	v_cndmask_b32_e64 v48, v48, s0, vcc_lo
	s_add_co_i32 s0, s0, 1
	s_delay_alu instid0(SALU_CYCLE_1)
	s_cmp_lg_u32 s14, s0
	s_cbranch_scc1 .LBB38_232
.LBB38_233:
	s_wait_dscnt 0x0
	v_cmp_eq_f32_e32 vcc_lo, 0, v46
	v_cmp_eq_f32_e64 s0, 0, v47
	s_and_b32 s0, vcc_lo, s0
	s_delay_alu instid0(SALU_CYCLE_1) | instskip(NEXT) | instid1(SALU_CYCLE_1)
	s_and_saveexec_b32 s1, s0
	s_xor_b32 s0, exec_lo, s1
; %bb.234:
	v_cmp_ne_u32_e32 vcc_lo, 0, v53
	v_cndmask_b32_e32 v53, 12, v53, vcc_lo
; %bb.235:
	s_and_not1_saveexec_b32 s0, s0
	s_cbranch_execz .LBB38_241
; %bb.236:
	v_cmp_ngt_f32_e64 s1, |v46|, |v47|
	s_and_saveexec_b32 s15, s1
	s_delay_alu instid0(SALU_CYCLE_1)
	s_xor_b32 s1, exec_lo, s15
	s_cbranch_execz .LBB38_238
; %bb.237:
	v_div_scale_f32 v49, null, v47, v47, v46
	v_div_scale_f32 v57, vcc_lo, v46, v47, v46
	s_delay_alu instid0(VALU_DEP_2) | instskip(SKIP_1) | instid1(TRANS32_DEP_1)
	v_rcp_f32_e32 v55, v49
	v_nop
	v_fma_f32 v56, -v49, v55, 1.0
	s_delay_alu instid0(VALU_DEP_1) | instskip(NEXT) | instid1(VALU_DEP_1)
	v_fmac_f32_e32 v55, v56, v55
	v_mul_f32_e32 v56, v57, v55
	s_delay_alu instid0(VALU_DEP_1) | instskip(NEXT) | instid1(VALU_DEP_1)
	v_fma_f32 v58, -v49, v56, v57
	v_fmac_f32_e32 v56, v58, v55
	s_delay_alu instid0(VALU_DEP_1) | instskip(NEXT) | instid1(VALU_DEP_1)
	v_fma_f32 v49, -v49, v56, v57
	v_div_fmas_f32 v49, v49, v55, v56
	s_delay_alu instid0(VALU_DEP_1) | instskip(NEXT) | instid1(VALU_DEP_1)
	v_div_fixup_f32 v49, v49, v47, v46
	v_fmac_f32_e32 v47, v46, v49
	s_delay_alu instid0(VALU_DEP_1) | instskip(SKIP_1) | instid1(VALU_DEP_2)
	v_div_scale_f32 v46, null, v47, v47, 1.0
	v_div_scale_f32 v57, vcc_lo, 1.0, v47, 1.0
	v_rcp_f32_e32 v55, v46
	v_nop
	s_delay_alu instid0(TRANS32_DEP_1) | instskip(NEXT) | instid1(VALU_DEP_1)
	v_fma_f32 v56, -v46, v55, 1.0
	v_fmac_f32_e32 v55, v56, v55
	s_delay_alu instid0(VALU_DEP_1) | instskip(NEXT) | instid1(VALU_DEP_1)
	v_mul_f32_e32 v56, v57, v55
	v_fma_f32 v58, -v46, v56, v57
	s_delay_alu instid0(VALU_DEP_1) | instskip(NEXT) | instid1(VALU_DEP_1)
	v_fmac_f32_e32 v56, v58, v55
	v_fma_f32 v46, -v46, v56, v57
	s_delay_alu instid0(VALU_DEP_1) | instskip(NEXT) | instid1(VALU_DEP_1)
	v_div_fmas_f32 v46, v46, v55, v56
	v_div_fixup_f32 v47, v46, v47, 1.0
	s_delay_alu instid0(VALU_DEP_1)
	v_mul_f32_e32 v46, v49, v47
	v_xor_b32_e32 v47, 0x80000000, v47
.LBB38_238:
	s_and_not1_saveexec_b32 s1, s1
	s_cbranch_execz .LBB38_240
; %bb.239:
	s_delay_alu instid0(VALU_DEP_1) | instskip(SKIP_1) | instid1(VALU_DEP_2)
	v_div_scale_f32 v49, null, v46, v46, v47
	v_div_scale_f32 v57, vcc_lo, v47, v46, v47
	v_rcp_f32_e32 v55, v49
	v_nop
	s_delay_alu instid0(TRANS32_DEP_1) | instskip(NEXT) | instid1(VALU_DEP_1)
	v_fma_f32 v56, -v49, v55, 1.0
	v_fmac_f32_e32 v55, v56, v55
	s_delay_alu instid0(VALU_DEP_1) | instskip(NEXT) | instid1(VALU_DEP_1)
	v_mul_f32_e32 v56, v57, v55
	v_fma_f32 v58, -v49, v56, v57
	s_delay_alu instid0(VALU_DEP_1) | instskip(NEXT) | instid1(VALU_DEP_1)
	v_fmac_f32_e32 v56, v58, v55
	v_fma_f32 v49, -v49, v56, v57
	s_delay_alu instid0(VALU_DEP_1) | instskip(NEXT) | instid1(VALU_DEP_1)
	v_div_fmas_f32 v49, v49, v55, v56
	v_div_fixup_f32 v49, v49, v46, v47
	s_delay_alu instid0(VALU_DEP_1) | instskip(NEXT) | instid1(VALU_DEP_1)
	v_fmac_f32_e32 v46, v47, v49
	v_div_scale_f32 v47, null, v46, v46, 1.0
	s_delay_alu instid0(VALU_DEP_1) | instskip(SKIP_1) | instid1(TRANS32_DEP_1)
	v_rcp_f32_e32 v55, v47
	v_nop
	v_fma_f32 v56, -v47, v55, 1.0
	s_delay_alu instid0(VALU_DEP_1) | instskip(SKIP_1) | instid1(VALU_DEP_1)
	v_fmac_f32_e32 v55, v56, v55
	v_div_scale_f32 v56, vcc_lo, 1.0, v46, 1.0
	v_mul_f32_e32 v57, v56, v55
	s_delay_alu instid0(VALU_DEP_1) | instskip(NEXT) | instid1(VALU_DEP_1)
	v_fma_f32 v58, -v47, v57, v56
	v_fmac_f32_e32 v57, v58, v55
	s_delay_alu instid0(VALU_DEP_1) | instskip(NEXT) | instid1(VALU_DEP_1)
	v_fma_f32 v47, -v47, v57, v56
	v_div_fmas_f32 v47, v47, v55, v57
	s_delay_alu instid0(VALU_DEP_1) | instskip(NEXT) | instid1(VALU_DEP_1)
	v_div_fixup_f32 v46, v47, v46, 1.0
	v_mul_f32_e64 v47, v49, -v46
.LBB38_240:
	s_or_b32 exec_lo, exec_lo, s1
.LBB38_241:
	s_delay_alu instid0(SALU_CYCLE_1) | instskip(NEXT) | instid1(SALU_CYCLE_1)
	s_or_b32 exec_lo, exec_lo, s0
	s_mov_b32 s0, exec_lo
	v_cmpx_ne_u32_e64 v54, v48
	s_xor_b32 s0, exec_lo, s0
	s_cbranch_execz .LBB38_247
; %bb.242:
	s_mov_b32 s1, exec_lo
	v_cmpx_eq_u32_e32 11, v54
	s_cbranch_execz .LBB38_246
; %bb.243:
	v_cmp_ne_u32_e32 vcc_lo, 11, v48
	s_xor_b32 s15, s12, -1
	s_delay_alu instid0(SALU_CYCLE_1) | instskip(NEXT) | instid1(SALU_CYCLE_1)
	s_and_b32 s16, s15, vcc_lo
	s_and_saveexec_b32 s15, s16
	s_cbranch_execz .LBB38_245
; %bb.244:
	v_ashrrev_i32_e32 v49, 31, v48
	s_delay_alu instid0(VALU_DEP_1)
	v_lshl_add_u64 v[54:55], v[48:49], 2, v[36:37]
	s_clause 0x1
	global_load_b32 v49, v[54:55], off
	global_load_b32 v52, v[36:37], off offset:44
	s_wait_loadcnt 0x1
	global_store_b32 v[36:37], v49, off offset:44
	s_wait_loadcnt 0x0
	global_store_b32 v[54:55], v52, off
.LBB38_245:
	s_wait_xcnt 0x0
	s_or_b32 exec_lo, exec_lo, s15
	v_dual_mov_b32 v54, v48 :: v_dual_mov_b32 v52, v48
.LBB38_246:
	s_or_b32 exec_lo, exec_lo, s1
.LBB38_247:
	s_and_not1_saveexec_b32 s0, s0
	s_cbranch_execz .LBB38_249
; %bb.248:
	v_dual_mov_b32 v48, v26 :: v_dual_mov_b32 v49, v27
	v_dual_mov_b32 v56, v22 :: v_dual_mov_b32 v57, v23
	v_dual_mov_b32 v54, 11 :: v_dual_mov_b32 v58, v24
	v_dual_mov_b32 v59, v25 :: v_dual_mov_b32 v60, v6
	v_dual_mov_b32 v61, v7 :: v_dual_mov_b32 v62, v20
	v_dual_mov_b32 v63, v21 :: v_dual_mov_b32 v64, v18
	v_dual_mov_b32 v65, v19 :: v_dual_mov_b32 v66, v16
	v_mov_b32_e32 v67, v17
	ds_store_2addr_b64 v50, v[48:49], v[56:57] offset0:12 offset1:13
	ds_store_2addr_b64 v50, v[58:59], v[60:61] offset0:14 offset1:15
	;; [unrolled: 1-line block ×4, first 2 shown]
.LBB38_249:
	s_or_b32 exec_lo, exec_lo, s0
	s_delay_alu instid0(SALU_CYCLE_1)
	s_mov_b32 s0, exec_lo
	s_wait_storecnt_dscnt 0x0
	s_barrier_signal -1
	s_barrier_wait -1
	v_cmpx_lt_i32_e32 11, v54
	s_cbranch_execz .LBB38_251
; %bb.250:
	v_pk_mul_f32 v[48:49], v[46:47], v[8:9] op_sel:[1,1] op_sel_hi:[0,1]
	s_delay_alu instid0(VALU_DEP_1)
	v_pk_fma_f32 v[56:57], v[46:47], v[8:9], v[48:49] op_sel_hi:[1,0,1] neg_lo:[0,0,1] neg_hi:[0,0,1]
	v_pk_fma_f32 v[58:59], v[46:47], v[8:9], v[48:49] op_sel_hi:[1,0,1]
	ds_load_2addr_b64 v[46:49], v50 offset0:12 offset1:13
	v_dual_mov_b32 v8, v56 :: v_dual_mov_b32 v9, v59
	s_wait_dscnt 0x0
	v_pk_mul_f32 v[60:61], v[46:47], v[58:59] op_sel:[0,1]
	s_delay_alu instid0(VALU_DEP_1) | instskip(SKIP_1) | instid1(VALU_DEP_1)
	v_pk_fma_f32 v[62:63], v[46:47], v[56:57], v[60:61] op_sel:[0,0,1] op_sel_hi:[1,1,0] neg_lo:[0,0,1] neg_hi:[0,0,1]
	v_pk_fma_f32 v[46:47], v[46:47], v[56:57], v[60:61] op_sel:[0,0,1] op_sel_hi:[1,0,0]
	v_mov_b32_e32 v63, v47
	v_pk_mul_f32 v[46:47], v[48:49], v[58:59] op_sel:[0,1]
	s_delay_alu instid0(VALU_DEP_1) | instskip(SKIP_1) | instid1(VALU_DEP_1)
	v_pk_fma_f32 v[60:61], v[48:49], v[56:57], v[46:47] op_sel:[0,0,1] op_sel_hi:[1,1,0] neg_lo:[0,0,1] neg_hi:[0,0,1]
	v_pk_fma_f32 v[46:47], v[48:49], v[56:57], v[46:47] op_sel:[0,0,1] op_sel_hi:[1,0,0]
	v_mov_b32_e32 v61, v47
	ds_load_2addr_b64 v[46:49], v50 offset0:14 offset1:15
	v_pk_add_f32 v[26:27], v[26:27], v[62:63] neg_lo:[0,1] neg_hi:[0,1]
	v_pk_add_f32 v[22:23], v[22:23], v[60:61] neg_lo:[0,1] neg_hi:[0,1]
	s_wait_dscnt 0x0
	v_pk_mul_f32 v[60:61], v[46:47], v[58:59] op_sel:[0,1]
	s_delay_alu instid0(VALU_DEP_1) | instskip(SKIP_2) | instid1(VALU_DEP_2)
	v_pk_fma_f32 v[62:63], v[46:47], v[56:57], v[60:61] op_sel:[0,0,1] op_sel_hi:[1,1,0] neg_lo:[0,0,1] neg_hi:[0,0,1]
	v_pk_fma_f32 v[46:47], v[46:47], v[56:57], v[60:61] op_sel:[0,0,1] op_sel_hi:[1,0,0]
	v_dual_mul_f32 v60, v49, v59 :: v_dual_mov_b32 v46, v49
	v_dual_mov_b32 v63, v47 :: v_dual_mov_b32 v47, v48
	s_delay_alu instid0(VALU_DEP_2) | instskip(SKIP_1) | instid1(VALU_DEP_3)
	v_pk_fma_f32 v[60:61], v[48:49], v[8:9], v[60:61] op_sel_hi:[1,1,0] neg_lo:[0,0,1] neg_hi:[0,0,1]
	v_mul_f32_e32 v48, v49, v56
	v_pk_add_f32 v[24:25], v[24:25], v[62:63] neg_lo:[0,1] neg_hi:[0,1]
	s_delay_alu instid0(VALU_DEP_2) | instskip(NEXT) | instid1(VALU_DEP_1)
	v_pk_fma_f32 v[46:47], v[46:47], v[8:9], v[48:49] op_sel_hi:[1,1,0]
	v_mov_b32_e32 v61, v47
	ds_load_2addr_b64 v[46:49], v50 offset0:16 offset1:17
	v_pk_add_f32 v[6:7], v[6:7], v[60:61] neg_lo:[0,1] neg_hi:[0,1]
	s_wait_dscnt 0x0
	v_pk_mul_f32 v[60:61], v[46:47], v[58:59] op_sel:[0,1]
	s_delay_alu instid0(VALU_DEP_1) | instskip(SKIP_1) | instid1(VALU_DEP_1)
	v_pk_fma_f32 v[62:63], v[46:47], v[56:57], v[60:61] op_sel:[0,0,1] op_sel_hi:[1,1,0] neg_lo:[0,0,1] neg_hi:[0,0,1]
	v_pk_fma_f32 v[46:47], v[46:47], v[56:57], v[60:61] op_sel:[0,0,1] op_sel_hi:[1,0,0]
	v_mov_b32_e32 v63, v47
	v_pk_mul_f32 v[46:47], v[48:49], v[58:59] op_sel:[0,1]
	s_delay_alu instid0(VALU_DEP_1) | instskip(SKIP_1) | instid1(VALU_DEP_1)
	v_pk_fma_f32 v[60:61], v[48:49], v[56:57], v[46:47] op_sel:[0,0,1] op_sel_hi:[1,1,0] neg_lo:[0,0,1] neg_hi:[0,0,1]
	v_pk_fma_f32 v[46:47], v[48:49], v[56:57], v[46:47] op_sel:[0,0,1] op_sel_hi:[1,0,0]
	v_mov_b32_e32 v61, v47
	ds_load_2addr_b64 v[46:49], v50 offset0:18 offset1:19
	v_pk_add_f32 v[20:21], v[20:21], v[62:63] neg_lo:[0,1] neg_hi:[0,1]
	v_pk_add_f32 v[18:19], v[18:19], v[60:61] neg_lo:[0,1] neg_hi:[0,1]
	s_wait_dscnt 0x0
	v_pk_mul_f32 v[60:61], v[46:47], v[58:59] op_sel:[0,1]
	s_delay_alu instid0(VALU_DEP_1) | instskip(SKIP_1) | instid1(VALU_DEP_1)
	v_pk_fma_f32 v[62:63], v[46:47], v[56:57], v[60:61] op_sel:[0,0,1] op_sel_hi:[1,1,0] neg_lo:[0,0,1] neg_hi:[0,0,1]
	v_pk_fma_f32 v[46:47], v[46:47], v[56:57], v[60:61] op_sel:[0,0,1] op_sel_hi:[1,0,0]
	v_mov_b32_e32 v63, v47
	v_pk_mul_f32 v[46:47], v[48:49], v[58:59] op_sel:[0,1]
	s_delay_alu instid0(VALU_DEP_1) | instskip(SKIP_1) | instid1(VALU_DEP_1)
	v_pk_fma_f32 v[58:59], v[48:49], v[56:57], v[46:47] op_sel:[0,0,1] op_sel_hi:[1,1,0] neg_lo:[0,0,1] neg_hi:[0,0,1]
	v_pk_fma_f32 v[46:47], v[48:49], v[56:57], v[46:47] op_sel:[0,0,1] op_sel_hi:[1,0,0]
	v_mov_b32_e32 v59, v47
	v_pk_add_f32 v[16:17], v[16:17], v[62:63] neg_lo:[0,1] neg_hi:[0,1]
	s_delay_alu instid0(VALU_DEP_2)
	v_pk_add_f32 v[44:45], v[44:45], v[58:59] neg_lo:[0,1] neg_hi:[0,1]
.LBB38_251:
	s_or_b32 exec_lo, exec_lo, s0
	v_lshl_add_u32 v46, v54, 3, v50
	s_barrier_signal -1
	s_barrier_wait -1
	ds_store_b64 v46, v[26:27]
	s_wait_dscnt 0x0
	s_barrier_signal -1
	s_barrier_wait -1
	ds_load_b64 v[46:47], v50 offset:96
	v_mov_b32_e32 v48, 12
	s_cmp_lt_i32 s14, 14
	s_cbranch_scc1 .LBB38_254
; %bb.252:
	v_add3_u32 v49, v51, 0, 0x68
	v_mov_b32_e32 v48, 12
	s_mov_b32 s0, 13
.LBB38_253:                             ; =>This Inner Loop Header: Depth=1
	ds_load_b64 v[56:57], v49
	s_wait_dscnt 0x1
	v_cmp_gt_f32_e32 vcc_lo, 0, v46
	v_cndmask_b32_e64 v58, v46, -v46, vcc_lo
	v_cmp_gt_f32_e32 vcc_lo, 0, v47
	v_cndmask_b32_e64 v60, v47, -v47, vcc_lo
	s_wait_dscnt 0x0
	v_cmp_gt_f32_e32 vcc_lo, 0, v56
	v_cndmask_b32_e64 v59, v56, -v56, vcc_lo
	v_cmp_gt_f32_e32 vcc_lo, 0, v57
	v_cndmask_b32_e64 v61, v57, -v57, vcc_lo
	s_delay_alu instid0(VALU_DEP_1) | instskip(NEXT) | instid1(VALU_DEP_1)
	v_pk_add_f32 v[58:59], v[58:59], v[60:61]
	v_cmp_lt_f32_e32 vcc_lo, v58, v59
	v_dual_cndmask_b32 v46, v46, v56 :: v_dual_add_nc_u32 v49, 8, v49
	v_cndmask_b32_e32 v47, v47, v57, vcc_lo
	v_cndmask_b32_e64 v48, v48, s0, vcc_lo
	s_add_co_i32 s0, s0, 1
	s_delay_alu instid0(SALU_CYCLE_1)
	s_cmp_lg_u32 s14, s0
	s_cbranch_scc1 .LBB38_253
.LBB38_254:
	s_wait_dscnt 0x0
	v_cmp_eq_f32_e32 vcc_lo, 0, v46
	v_cmp_eq_f32_e64 s0, 0, v47
	s_and_b32 s0, vcc_lo, s0
	s_delay_alu instid0(SALU_CYCLE_1) | instskip(NEXT) | instid1(SALU_CYCLE_1)
	s_and_saveexec_b32 s1, s0
	s_xor_b32 s0, exec_lo, s1
; %bb.255:
	v_cmp_ne_u32_e32 vcc_lo, 0, v53
	v_cndmask_b32_e32 v53, 13, v53, vcc_lo
; %bb.256:
	s_and_not1_saveexec_b32 s0, s0
	s_cbranch_execz .LBB38_262
; %bb.257:
	v_cmp_ngt_f32_e64 s1, |v46|, |v47|
	s_and_saveexec_b32 s15, s1
	s_delay_alu instid0(SALU_CYCLE_1)
	s_xor_b32 s1, exec_lo, s15
	s_cbranch_execz .LBB38_259
; %bb.258:
	v_div_scale_f32 v49, null, v47, v47, v46
	v_div_scale_f32 v57, vcc_lo, v46, v47, v46
	s_delay_alu instid0(VALU_DEP_2) | instskip(SKIP_1) | instid1(TRANS32_DEP_1)
	v_rcp_f32_e32 v55, v49
	v_nop
	v_fma_f32 v56, -v49, v55, 1.0
	s_delay_alu instid0(VALU_DEP_1) | instskip(NEXT) | instid1(VALU_DEP_1)
	v_fmac_f32_e32 v55, v56, v55
	v_mul_f32_e32 v56, v57, v55
	s_delay_alu instid0(VALU_DEP_1) | instskip(NEXT) | instid1(VALU_DEP_1)
	v_fma_f32 v58, -v49, v56, v57
	v_fmac_f32_e32 v56, v58, v55
	s_delay_alu instid0(VALU_DEP_1) | instskip(NEXT) | instid1(VALU_DEP_1)
	v_fma_f32 v49, -v49, v56, v57
	v_div_fmas_f32 v49, v49, v55, v56
	s_delay_alu instid0(VALU_DEP_1) | instskip(NEXT) | instid1(VALU_DEP_1)
	v_div_fixup_f32 v49, v49, v47, v46
	v_fmac_f32_e32 v47, v46, v49
	s_delay_alu instid0(VALU_DEP_1) | instskip(SKIP_1) | instid1(VALU_DEP_2)
	v_div_scale_f32 v46, null, v47, v47, 1.0
	v_div_scale_f32 v57, vcc_lo, 1.0, v47, 1.0
	v_rcp_f32_e32 v55, v46
	v_nop
	s_delay_alu instid0(TRANS32_DEP_1) | instskip(NEXT) | instid1(VALU_DEP_1)
	v_fma_f32 v56, -v46, v55, 1.0
	v_fmac_f32_e32 v55, v56, v55
	s_delay_alu instid0(VALU_DEP_1) | instskip(NEXT) | instid1(VALU_DEP_1)
	v_mul_f32_e32 v56, v57, v55
	v_fma_f32 v58, -v46, v56, v57
	s_delay_alu instid0(VALU_DEP_1) | instskip(NEXT) | instid1(VALU_DEP_1)
	v_fmac_f32_e32 v56, v58, v55
	v_fma_f32 v46, -v46, v56, v57
	s_delay_alu instid0(VALU_DEP_1) | instskip(NEXT) | instid1(VALU_DEP_1)
	v_div_fmas_f32 v46, v46, v55, v56
	v_div_fixup_f32 v47, v46, v47, 1.0
	s_delay_alu instid0(VALU_DEP_1)
	v_mul_f32_e32 v46, v49, v47
	v_xor_b32_e32 v47, 0x80000000, v47
.LBB38_259:
	s_and_not1_saveexec_b32 s1, s1
	s_cbranch_execz .LBB38_261
; %bb.260:
	s_delay_alu instid0(VALU_DEP_1) | instskip(SKIP_1) | instid1(VALU_DEP_2)
	v_div_scale_f32 v49, null, v46, v46, v47
	v_div_scale_f32 v57, vcc_lo, v47, v46, v47
	v_rcp_f32_e32 v55, v49
	v_nop
	s_delay_alu instid0(TRANS32_DEP_1) | instskip(NEXT) | instid1(VALU_DEP_1)
	v_fma_f32 v56, -v49, v55, 1.0
	v_fmac_f32_e32 v55, v56, v55
	s_delay_alu instid0(VALU_DEP_1) | instskip(NEXT) | instid1(VALU_DEP_1)
	v_mul_f32_e32 v56, v57, v55
	v_fma_f32 v58, -v49, v56, v57
	s_delay_alu instid0(VALU_DEP_1) | instskip(NEXT) | instid1(VALU_DEP_1)
	v_fmac_f32_e32 v56, v58, v55
	v_fma_f32 v49, -v49, v56, v57
	s_delay_alu instid0(VALU_DEP_1) | instskip(NEXT) | instid1(VALU_DEP_1)
	v_div_fmas_f32 v49, v49, v55, v56
	v_div_fixup_f32 v49, v49, v46, v47
	s_delay_alu instid0(VALU_DEP_1) | instskip(NEXT) | instid1(VALU_DEP_1)
	v_fmac_f32_e32 v46, v47, v49
	v_div_scale_f32 v47, null, v46, v46, 1.0
	s_delay_alu instid0(VALU_DEP_1) | instskip(SKIP_1) | instid1(TRANS32_DEP_1)
	v_rcp_f32_e32 v55, v47
	v_nop
	v_fma_f32 v56, -v47, v55, 1.0
	s_delay_alu instid0(VALU_DEP_1) | instskip(SKIP_1) | instid1(VALU_DEP_1)
	v_fmac_f32_e32 v55, v56, v55
	v_div_scale_f32 v56, vcc_lo, 1.0, v46, 1.0
	v_mul_f32_e32 v57, v56, v55
	s_delay_alu instid0(VALU_DEP_1) | instskip(NEXT) | instid1(VALU_DEP_1)
	v_fma_f32 v58, -v47, v57, v56
	v_fmac_f32_e32 v57, v58, v55
	s_delay_alu instid0(VALU_DEP_1) | instskip(NEXT) | instid1(VALU_DEP_1)
	v_fma_f32 v47, -v47, v57, v56
	v_div_fmas_f32 v47, v47, v55, v57
	s_delay_alu instid0(VALU_DEP_1) | instskip(NEXT) | instid1(VALU_DEP_1)
	v_div_fixup_f32 v46, v47, v46, 1.0
	v_mul_f32_e64 v47, v49, -v46
.LBB38_261:
	s_or_b32 exec_lo, exec_lo, s1
.LBB38_262:
	s_delay_alu instid0(SALU_CYCLE_1) | instskip(NEXT) | instid1(SALU_CYCLE_1)
	s_or_b32 exec_lo, exec_lo, s0
	s_mov_b32 s0, exec_lo
	v_cmpx_ne_u32_e64 v54, v48
	s_xor_b32 s0, exec_lo, s0
	s_cbranch_execz .LBB38_268
; %bb.263:
	s_mov_b32 s1, exec_lo
	v_cmpx_eq_u32_e32 12, v54
	s_cbranch_execz .LBB38_267
; %bb.264:
	v_cmp_ne_u32_e32 vcc_lo, 12, v48
	s_xor_b32 s15, s12, -1
	s_delay_alu instid0(SALU_CYCLE_1) | instskip(NEXT) | instid1(SALU_CYCLE_1)
	s_and_b32 s16, s15, vcc_lo
	s_and_saveexec_b32 s15, s16
	s_cbranch_execz .LBB38_266
; %bb.265:
	v_ashrrev_i32_e32 v49, 31, v48
	s_delay_alu instid0(VALU_DEP_1)
	v_lshl_add_u64 v[54:55], v[48:49], 2, v[36:37]
	s_clause 0x1
	global_load_b32 v49, v[54:55], off
	global_load_b32 v52, v[36:37], off offset:48
	s_wait_loadcnt 0x1
	global_store_b32 v[36:37], v49, off offset:48
	s_wait_loadcnt 0x0
	global_store_b32 v[54:55], v52, off
.LBB38_266:
	s_wait_xcnt 0x0
	s_or_b32 exec_lo, exec_lo, s15
	v_dual_mov_b32 v54, v48 :: v_dual_mov_b32 v52, v48
.LBB38_267:
	s_or_b32 exec_lo, exec_lo, s1
.LBB38_268:
	s_and_not1_saveexec_b32 s0, s0
	s_cbranch_execz .LBB38_270
; %bb.269:
	v_mov_b32_e32 v54, 12
	ds_store_2addr_b64 v50, v[22:23], v[24:25] offset0:13 offset1:14
	ds_store_2addr_b64 v50, v[6:7], v[20:21] offset0:15 offset1:16
	ds_store_2addr_b64 v50, v[18:19], v[16:17] offset0:17 offset1:18
	ds_store_b64 v50, v[44:45] offset:152
.LBB38_270:
	s_or_b32 exec_lo, exec_lo, s0
	s_delay_alu instid0(SALU_CYCLE_1)
	s_mov_b32 s0, exec_lo
	s_wait_storecnt_dscnt 0x0
	s_barrier_signal -1
	s_barrier_wait -1
	v_cmpx_lt_i32_e32 12, v54
	s_cbranch_execz .LBB38_272
; %bb.271:
	v_pk_mul_f32 v[48:49], v[46:47], v[26:27] op_sel:[1,1] op_sel_hi:[0,1]
	s_delay_alu instid0(VALU_DEP_1)
	v_pk_fma_f32 v[56:57], v[46:47], v[26:27], v[48:49] op_sel_hi:[1,0,1] neg_lo:[0,0,1] neg_hi:[0,0,1]
	v_pk_fma_f32 v[58:59], v[46:47], v[26:27], v[48:49] op_sel_hi:[1,0,1]
	ds_load_2addr_b64 v[46:49], v50 offset0:13 offset1:14
	v_dual_mov_b32 v26, v56 :: v_dual_mov_b32 v27, v59
	s_wait_dscnt 0x0
	v_pk_mul_f32 v[60:61], v[46:47], v[58:59] op_sel:[0,1]
	s_delay_alu instid0(VALU_DEP_1) | instskip(SKIP_1) | instid1(VALU_DEP_1)
	v_pk_fma_f32 v[62:63], v[46:47], v[56:57], v[60:61] op_sel:[0,0,1] op_sel_hi:[1,1,0] neg_lo:[0,0,1] neg_hi:[0,0,1]
	v_pk_fma_f32 v[46:47], v[46:47], v[56:57], v[60:61] op_sel:[0,0,1] op_sel_hi:[1,0,0]
	v_mov_b32_e32 v63, v47
	v_pk_mul_f32 v[46:47], v[48:49], v[58:59] op_sel:[0,1]
	s_delay_alu instid0(VALU_DEP_1) | instskip(SKIP_1) | instid1(VALU_DEP_1)
	v_pk_fma_f32 v[60:61], v[48:49], v[56:57], v[46:47] op_sel:[0,0,1] op_sel_hi:[1,1,0] neg_lo:[0,0,1] neg_hi:[0,0,1]
	v_pk_fma_f32 v[46:47], v[48:49], v[56:57], v[46:47] op_sel:[0,0,1] op_sel_hi:[1,0,0]
	v_mov_b32_e32 v61, v47
	ds_load_2addr_b64 v[46:49], v50 offset0:15 offset1:16
	v_pk_add_f32 v[22:23], v[22:23], v[62:63] neg_lo:[0,1] neg_hi:[0,1]
	v_pk_add_f32 v[24:25], v[24:25], v[60:61] neg_lo:[0,1] neg_hi:[0,1]
	s_wait_dscnt 0x0
	v_pk_mul_f32 v[60:61], v[46:47], v[58:59] op_sel:[0,1]
	s_delay_alu instid0(VALU_DEP_1) | instskip(SKIP_2) | instid1(VALU_DEP_2)
	v_pk_fma_f32 v[62:63], v[46:47], v[56:57], v[60:61] op_sel:[0,0,1] op_sel_hi:[1,1,0] neg_lo:[0,0,1] neg_hi:[0,0,1]
	v_pk_fma_f32 v[46:47], v[46:47], v[56:57], v[60:61] op_sel:[0,0,1] op_sel_hi:[1,0,0]
	v_dual_mul_f32 v60, v49, v59 :: v_dual_mov_b32 v46, v49
	v_dual_mov_b32 v63, v47 :: v_dual_mov_b32 v47, v48
	s_delay_alu instid0(VALU_DEP_2) | instskip(SKIP_1) | instid1(VALU_DEP_3)
	v_pk_fma_f32 v[60:61], v[48:49], v[26:27], v[60:61] op_sel_hi:[1,1,0] neg_lo:[0,0,1] neg_hi:[0,0,1]
	v_mul_f32_e32 v48, v49, v56
	v_pk_add_f32 v[6:7], v[6:7], v[62:63] neg_lo:[0,1] neg_hi:[0,1]
	s_delay_alu instid0(VALU_DEP_2) | instskip(NEXT) | instid1(VALU_DEP_1)
	v_pk_fma_f32 v[46:47], v[46:47], v[26:27], v[48:49] op_sel_hi:[1,1,0]
	v_mov_b32_e32 v61, v47
	ds_load_2addr_b64 v[46:49], v50 offset0:17 offset1:18
	v_pk_add_f32 v[20:21], v[20:21], v[60:61] neg_lo:[0,1] neg_hi:[0,1]
	s_wait_dscnt 0x0
	v_pk_mul_f32 v[60:61], v[46:47], v[58:59] op_sel:[0,1]
	s_delay_alu instid0(VALU_DEP_1) | instskip(SKIP_1) | instid1(VALU_DEP_1)
	v_pk_fma_f32 v[62:63], v[46:47], v[56:57], v[60:61] op_sel:[0,0,1] op_sel_hi:[1,1,0] neg_lo:[0,0,1] neg_hi:[0,0,1]
	v_pk_fma_f32 v[46:47], v[46:47], v[56:57], v[60:61] op_sel:[0,0,1] op_sel_hi:[1,0,0]
	v_mov_b32_e32 v63, v47
	v_pk_mul_f32 v[46:47], v[48:49], v[58:59] op_sel:[0,1]
	s_delay_alu instid0(VALU_DEP_1) | instskip(SKIP_1) | instid1(VALU_DEP_1)
	v_pk_fma_f32 v[60:61], v[48:49], v[56:57], v[46:47] op_sel:[0,0,1] op_sel_hi:[1,1,0] neg_lo:[0,0,1] neg_hi:[0,0,1]
	v_pk_fma_f32 v[46:47], v[48:49], v[56:57], v[46:47] op_sel:[0,0,1] op_sel_hi:[1,0,0]
	v_mov_b32_e32 v61, v47
	ds_load_b64 v[46:47], v50 offset:152
	v_pk_add_f32 v[18:19], v[18:19], v[62:63] neg_lo:[0,1] neg_hi:[0,1]
	v_pk_add_f32 v[16:17], v[16:17], v[60:61] neg_lo:[0,1] neg_hi:[0,1]
	s_wait_dscnt 0x0
	v_pk_mul_f32 v[48:49], v[46:47], v[58:59] op_sel:[0,1]
	s_delay_alu instid0(VALU_DEP_1) | instskip(SKIP_1) | instid1(VALU_DEP_1)
	v_pk_fma_f32 v[58:59], v[46:47], v[56:57], v[48:49] op_sel:[0,0,1] op_sel_hi:[1,1,0] neg_lo:[0,0,1] neg_hi:[0,0,1]
	v_pk_fma_f32 v[46:47], v[46:47], v[56:57], v[48:49] op_sel:[0,0,1] op_sel_hi:[1,0,0]
	v_mov_b32_e32 v59, v47
	s_delay_alu instid0(VALU_DEP_1)
	v_pk_add_f32 v[44:45], v[44:45], v[58:59] neg_lo:[0,1] neg_hi:[0,1]
.LBB38_272:
	s_or_b32 exec_lo, exec_lo, s0
	v_lshl_add_u32 v46, v54, 3, v50
	s_barrier_signal -1
	s_barrier_wait -1
	ds_store_b64 v46, v[22:23]
	s_wait_dscnt 0x0
	s_barrier_signal -1
	s_barrier_wait -1
	ds_load_b64 v[46:47], v50 offset:104
	v_mov_b32_e32 v48, 13
	s_cmp_lt_i32 s14, 15
	s_cbranch_scc1 .LBB38_275
; %bb.273:
	v_add3_u32 v49, v51, 0, 0x70
	v_mov_b32_e32 v48, 13
	s_mov_b32 s0, 14
.LBB38_274:                             ; =>This Inner Loop Header: Depth=1
	ds_load_b64 v[56:57], v49
	s_wait_dscnt 0x1
	v_cmp_gt_f32_e32 vcc_lo, 0, v46
	v_cndmask_b32_e64 v58, v46, -v46, vcc_lo
	v_cmp_gt_f32_e32 vcc_lo, 0, v47
	v_cndmask_b32_e64 v60, v47, -v47, vcc_lo
	s_wait_dscnt 0x0
	v_cmp_gt_f32_e32 vcc_lo, 0, v56
	v_cndmask_b32_e64 v59, v56, -v56, vcc_lo
	v_cmp_gt_f32_e32 vcc_lo, 0, v57
	v_cndmask_b32_e64 v61, v57, -v57, vcc_lo
	s_delay_alu instid0(VALU_DEP_1) | instskip(NEXT) | instid1(VALU_DEP_1)
	v_pk_add_f32 v[58:59], v[58:59], v[60:61]
	v_cmp_lt_f32_e32 vcc_lo, v58, v59
	v_dual_cndmask_b32 v46, v46, v56 :: v_dual_add_nc_u32 v49, 8, v49
	v_cndmask_b32_e32 v47, v47, v57, vcc_lo
	v_cndmask_b32_e64 v48, v48, s0, vcc_lo
	s_add_co_i32 s0, s0, 1
	s_delay_alu instid0(SALU_CYCLE_1)
	s_cmp_lg_u32 s14, s0
	s_cbranch_scc1 .LBB38_274
.LBB38_275:
	s_wait_dscnt 0x0
	v_cmp_eq_f32_e32 vcc_lo, 0, v46
	v_cmp_eq_f32_e64 s0, 0, v47
	s_and_b32 s0, vcc_lo, s0
	s_delay_alu instid0(SALU_CYCLE_1) | instskip(NEXT) | instid1(SALU_CYCLE_1)
	s_and_saveexec_b32 s1, s0
	s_xor_b32 s0, exec_lo, s1
; %bb.276:
	v_cmp_ne_u32_e32 vcc_lo, 0, v53
	v_cndmask_b32_e32 v53, 14, v53, vcc_lo
; %bb.277:
	s_and_not1_saveexec_b32 s0, s0
	s_cbranch_execz .LBB38_283
; %bb.278:
	v_cmp_ngt_f32_e64 s1, |v46|, |v47|
	s_and_saveexec_b32 s15, s1
	s_delay_alu instid0(SALU_CYCLE_1)
	s_xor_b32 s1, exec_lo, s15
	s_cbranch_execz .LBB38_280
; %bb.279:
	v_div_scale_f32 v49, null, v47, v47, v46
	v_div_scale_f32 v57, vcc_lo, v46, v47, v46
	s_delay_alu instid0(VALU_DEP_2) | instskip(SKIP_1) | instid1(TRANS32_DEP_1)
	v_rcp_f32_e32 v55, v49
	v_nop
	v_fma_f32 v56, -v49, v55, 1.0
	s_delay_alu instid0(VALU_DEP_1) | instskip(NEXT) | instid1(VALU_DEP_1)
	v_fmac_f32_e32 v55, v56, v55
	v_mul_f32_e32 v56, v57, v55
	s_delay_alu instid0(VALU_DEP_1) | instskip(NEXT) | instid1(VALU_DEP_1)
	v_fma_f32 v58, -v49, v56, v57
	v_fmac_f32_e32 v56, v58, v55
	s_delay_alu instid0(VALU_DEP_1) | instskip(NEXT) | instid1(VALU_DEP_1)
	v_fma_f32 v49, -v49, v56, v57
	v_div_fmas_f32 v49, v49, v55, v56
	s_delay_alu instid0(VALU_DEP_1) | instskip(NEXT) | instid1(VALU_DEP_1)
	v_div_fixup_f32 v49, v49, v47, v46
	v_fmac_f32_e32 v47, v46, v49
	s_delay_alu instid0(VALU_DEP_1) | instskip(SKIP_1) | instid1(VALU_DEP_2)
	v_div_scale_f32 v46, null, v47, v47, 1.0
	v_div_scale_f32 v57, vcc_lo, 1.0, v47, 1.0
	v_rcp_f32_e32 v55, v46
	v_nop
	s_delay_alu instid0(TRANS32_DEP_1) | instskip(NEXT) | instid1(VALU_DEP_1)
	v_fma_f32 v56, -v46, v55, 1.0
	v_fmac_f32_e32 v55, v56, v55
	s_delay_alu instid0(VALU_DEP_1) | instskip(NEXT) | instid1(VALU_DEP_1)
	v_mul_f32_e32 v56, v57, v55
	v_fma_f32 v58, -v46, v56, v57
	s_delay_alu instid0(VALU_DEP_1) | instskip(NEXT) | instid1(VALU_DEP_1)
	v_fmac_f32_e32 v56, v58, v55
	v_fma_f32 v46, -v46, v56, v57
	s_delay_alu instid0(VALU_DEP_1) | instskip(NEXT) | instid1(VALU_DEP_1)
	v_div_fmas_f32 v46, v46, v55, v56
	v_div_fixup_f32 v47, v46, v47, 1.0
	s_delay_alu instid0(VALU_DEP_1)
	v_mul_f32_e32 v46, v49, v47
	v_xor_b32_e32 v47, 0x80000000, v47
.LBB38_280:
	s_and_not1_saveexec_b32 s1, s1
	s_cbranch_execz .LBB38_282
; %bb.281:
	s_delay_alu instid0(VALU_DEP_1) | instskip(SKIP_1) | instid1(VALU_DEP_2)
	v_div_scale_f32 v49, null, v46, v46, v47
	v_div_scale_f32 v57, vcc_lo, v47, v46, v47
	v_rcp_f32_e32 v55, v49
	v_nop
	s_delay_alu instid0(TRANS32_DEP_1) | instskip(NEXT) | instid1(VALU_DEP_1)
	v_fma_f32 v56, -v49, v55, 1.0
	v_fmac_f32_e32 v55, v56, v55
	s_delay_alu instid0(VALU_DEP_1) | instskip(NEXT) | instid1(VALU_DEP_1)
	v_mul_f32_e32 v56, v57, v55
	v_fma_f32 v58, -v49, v56, v57
	s_delay_alu instid0(VALU_DEP_1) | instskip(NEXT) | instid1(VALU_DEP_1)
	v_fmac_f32_e32 v56, v58, v55
	v_fma_f32 v49, -v49, v56, v57
	s_delay_alu instid0(VALU_DEP_1) | instskip(NEXT) | instid1(VALU_DEP_1)
	v_div_fmas_f32 v49, v49, v55, v56
	v_div_fixup_f32 v49, v49, v46, v47
	s_delay_alu instid0(VALU_DEP_1) | instskip(NEXT) | instid1(VALU_DEP_1)
	v_fmac_f32_e32 v46, v47, v49
	v_div_scale_f32 v47, null, v46, v46, 1.0
	s_delay_alu instid0(VALU_DEP_1) | instskip(SKIP_1) | instid1(TRANS32_DEP_1)
	v_rcp_f32_e32 v55, v47
	v_nop
	v_fma_f32 v56, -v47, v55, 1.0
	s_delay_alu instid0(VALU_DEP_1) | instskip(SKIP_1) | instid1(VALU_DEP_1)
	v_fmac_f32_e32 v55, v56, v55
	v_div_scale_f32 v56, vcc_lo, 1.0, v46, 1.0
	v_mul_f32_e32 v57, v56, v55
	s_delay_alu instid0(VALU_DEP_1) | instskip(NEXT) | instid1(VALU_DEP_1)
	v_fma_f32 v58, -v47, v57, v56
	v_fmac_f32_e32 v57, v58, v55
	s_delay_alu instid0(VALU_DEP_1) | instskip(NEXT) | instid1(VALU_DEP_1)
	v_fma_f32 v47, -v47, v57, v56
	v_div_fmas_f32 v47, v47, v55, v57
	s_delay_alu instid0(VALU_DEP_1) | instskip(NEXT) | instid1(VALU_DEP_1)
	v_div_fixup_f32 v46, v47, v46, 1.0
	v_mul_f32_e64 v47, v49, -v46
.LBB38_282:
	s_or_b32 exec_lo, exec_lo, s1
.LBB38_283:
	s_delay_alu instid0(SALU_CYCLE_1) | instskip(NEXT) | instid1(SALU_CYCLE_1)
	s_or_b32 exec_lo, exec_lo, s0
	s_mov_b32 s0, exec_lo
	v_cmpx_ne_u32_e64 v54, v48
	s_xor_b32 s0, exec_lo, s0
	s_cbranch_execz .LBB38_289
; %bb.284:
	s_mov_b32 s1, exec_lo
	v_cmpx_eq_u32_e32 13, v54
	s_cbranch_execz .LBB38_288
; %bb.285:
	v_cmp_ne_u32_e32 vcc_lo, 13, v48
	s_xor_b32 s15, s12, -1
	s_delay_alu instid0(SALU_CYCLE_1) | instskip(NEXT) | instid1(SALU_CYCLE_1)
	s_and_b32 s16, s15, vcc_lo
	s_and_saveexec_b32 s15, s16
	s_cbranch_execz .LBB38_287
; %bb.286:
	v_ashrrev_i32_e32 v49, 31, v48
	s_delay_alu instid0(VALU_DEP_1)
	v_lshl_add_u64 v[54:55], v[48:49], 2, v[36:37]
	s_clause 0x1
	global_load_b32 v49, v[54:55], off
	global_load_b32 v52, v[36:37], off offset:52
	s_wait_loadcnt 0x1
	global_store_b32 v[36:37], v49, off offset:52
	s_wait_loadcnt 0x0
	global_store_b32 v[54:55], v52, off
.LBB38_287:
	s_wait_xcnt 0x0
	s_or_b32 exec_lo, exec_lo, s15
	v_dual_mov_b32 v54, v48 :: v_dual_mov_b32 v52, v48
.LBB38_288:
	s_or_b32 exec_lo, exec_lo, s1
.LBB38_289:
	s_and_not1_saveexec_b32 s0, s0
	s_cbranch_execz .LBB38_291
; %bb.290:
	v_dual_mov_b32 v48, v24 :: v_dual_mov_b32 v49, v25
	v_dual_mov_b32 v56, v6 :: v_dual_mov_b32 v57, v7
	;; [unrolled: 1-line block ×5, first 2 shown]
	v_mov_b32_e32 v63, v17
	ds_store_2addr_b64 v50, v[48:49], v[56:57] offset0:14 offset1:15
	ds_store_2addr_b64 v50, v[58:59], v[60:61] offset0:16 offset1:17
	;; [unrolled: 1-line block ×3, first 2 shown]
.LBB38_291:
	s_or_b32 exec_lo, exec_lo, s0
	s_delay_alu instid0(SALU_CYCLE_1)
	s_mov_b32 s0, exec_lo
	s_wait_storecnt_dscnt 0x0
	s_barrier_signal -1
	s_barrier_wait -1
	v_cmpx_lt_i32_e32 13, v54
	s_cbranch_execz .LBB38_293
; %bb.292:
	v_pk_mul_f32 v[48:49], v[46:47], v[22:23] op_sel:[1,1] op_sel_hi:[0,1]
	s_delay_alu instid0(VALU_DEP_1)
	v_pk_fma_f32 v[56:57], v[46:47], v[22:23], v[48:49] op_sel_hi:[1,0,1] neg_lo:[0,0,1] neg_hi:[0,0,1]
	v_pk_fma_f32 v[58:59], v[46:47], v[22:23], v[48:49] op_sel_hi:[1,0,1]
	ds_load_2addr_b64 v[46:49], v50 offset0:14 offset1:15
	v_dual_mov_b32 v22, v56 :: v_dual_mov_b32 v23, v59
	s_wait_dscnt 0x0
	v_pk_mul_f32 v[60:61], v[46:47], v[58:59] op_sel:[0,1]
	s_delay_alu instid0(VALU_DEP_1) | instskip(SKIP_1) | instid1(VALU_DEP_1)
	v_pk_fma_f32 v[62:63], v[46:47], v[56:57], v[60:61] op_sel:[0,0,1] op_sel_hi:[1,1,0] neg_lo:[0,0,1] neg_hi:[0,0,1]
	v_pk_fma_f32 v[46:47], v[46:47], v[56:57], v[60:61] op_sel:[0,0,1] op_sel_hi:[1,0,0]
	v_mov_b32_e32 v63, v47
	v_pk_mul_f32 v[46:47], v[48:49], v[58:59] op_sel:[0,1]
	s_delay_alu instid0(VALU_DEP_1) | instskip(SKIP_1) | instid1(VALU_DEP_1)
	v_pk_fma_f32 v[60:61], v[48:49], v[56:57], v[46:47] op_sel:[0,0,1] op_sel_hi:[1,1,0] neg_lo:[0,0,1] neg_hi:[0,0,1]
	v_pk_fma_f32 v[46:47], v[48:49], v[56:57], v[46:47] op_sel:[0,0,1] op_sel_hi:[1,0,0]
	v_mov_b32_e32 v61, v47
	ds_load_2addr_b64 v[46:49], v50 offset0:16 offset1:17
	v_pk_add_f32 v[24:25], v[24:25], v[62:63] neg_lo:[0,1] neg_hi:[0,1]
	v_pk_add_f32 v[6:7], v[6:7], v[60:61] neg_lo:[0,1] neg_hi:[0,1]
	s_wait_dscnt 0x0
	v_pk_mul_f32 v[60:61], v[46:47], v[58:59] op_sel:[0,1]
	s_delay_alu instid0(VALU_DEP_1) | instskip(SKIP_2) | instid1(VALU_DEP_2)
	v_pk_fma_f32 v[62:63], v[46:47], v[56:57], v[60:61] op_sel:[0,0,1] op_sel_hi:[1,1,0] neg_lo:[0,0,1] neg_hi:[0,0,1]
	v_pk_fma_f32 v[46:47], v[46:47], v[56:57], v[60:61] op_sel:[0,0,1] op_sel_hi:[1,0,0]
	v_dual_mul_f32 v60, v49, v59 :: v_dual_mov_b32 v46, v49
	v_dual_mov_b32 v63, v47 :: v_dual_mov_b32 v47, v48
	s_delay_alu instid0(VALU_DEP_2) | instskip(SKIP_1) | instid1(VALU_DEP_3)
	v_pk_fma_f32 v[60:61], v[48:49], v[22:23], v[60:61] op_sel_hi:[1,1,0] neg_lo:[0,0,1] neg_hi:[0,0,1]
	v_mul_f32_e32 v48, v49, v56
	v_pk_add_f32 v[20:21], v[20:21], v[62:63] neg_lo:[0,1] neg_hi:[0,1]
	s_delay_alu instid0(VALU_DEP_2) | instskip(NEXT) | instid1(VALU_DEP_1)
	v_pk_fma_f32 v[46:47], v[46:47], v[22:23], v[48:49] op_sel_hi:[1,1,0]
	v_mov_b32_e32 v61, v47
	ds_load_2addr_b64 v[46:49], v50 offset0:18 offset1:19
	v_pk_add_f32 v[18:19], v[18:19], v[60:61] neg_lo:[0,1] neg_hi:[0,1]
	s_wait_dscnt 0x0
	v_pk_mul_f32 v[60:61], v[46:47], v[58:59] op_sel:[0,1]
	v_mul_f32_e32 v58, v49, v59
	s_delay_alu instid0(VALU_DEP_2) | instskip(SKIP_2) | instid1(VALU_DEP_4)
	v_pk_fma_f32 v[62:63], v[46:47], v[56:57], v[60:61] op_sel:[0,0,1] op_sel_hi:[1,1,0] neg_lo:[0,0,1] neg_hi:[0,0,1]
	v_pk_fma_f32 v[46:47], v[46:47], v[56:57], v[60:61] op_sel:[0,0,1] op_sel_hi:[1,0,0]
	v_mov_b32_e32 v46, v49
	v_pk_fma_f32 v[58:59], v[48:49], v[22:23], v[58:59] op_sel_hi:[1,1,0] neg_lo:[0,0,1] neg_hi:[0,0,1]
	s_delay_alu instid0(VALU_DEP_3) | instskip(SKIP_1) | instid1(VALU_DEP_2)
	v_dual_mov_b32 v63, v47 :: v_dual_mov_b32 v47, v48
	v_mul_f32_e32 v48, v49, v56
	v_pk_add_f32 v[16:17], v[16:17], v[62:63] neg_lo:[0,1] neg_hi:[0,1]
	s_delay_alu instid0(VALU_DEP_2) | instskip(NEXT) | instid1(VALU_DEP_1)
	v_pk_fma_f32 v[46:47], v[46:47], v[22:23], v[48:49] op_sel_hi:[1,1,0]
	v_mov_b32_e32 v59, v47
	s_delay_alu instid0(VALU_DEP_1)
	v_pk_add_f32 v[44:45], v[44:45], v[58:59] neg_lo:[0,1] neg_hi:[0,1]
.LBB38_293:
	s_or_b32 exec_lo, exec_lo, s0
	v_lshl_add_u32 v46, v54, 3, v50
	s_barrier_signal -1
	s_barrier_wait -1
	ds_store_b64 v46, v[24:25]
	s_wait_dscnt 0x0
	s_barrier_signal -1
	s_barrier_wait -1
	ds_load_b64 v[46:47], v50 offset:112
	v_mov_b32_e32 v48, 14
	s_cmp_lt_i32 s14, 16
	s_cbranch_scc1 .LBB38_296
; %bb.294:
	v_add3_u32 v49, v51, 0, 0x78
	v_mov_b32_e32 v48, 14
	s_mov_b32 s0, 15
.LBB38_295:                             ; =>This Inner Loop Header: Depth=1
	ds_load_b64 v[56:57], v49
	s_wait_dscnt 0x1
	v_cmp_gt_f32_e32 vcc_lo, 0, v46
	v_cndmask_b32_e64 v58, v46, -v46, vcc_lo
	v_cmp_gt_f32_e32 vcc_lo, 0, v47
	v_cndmask_b32_e64 v60, v47, -v47, vcc_lo
	s_wait_dscnt 0x0
	v_cmp_gt_f32_e32 vcc_lo, 0, v56
	v_cndmask_b32_e64 v59, v56, -v56, vcc_lo
	v_cmp_gt_f32_e32 vcc_lo, 0, v57
	v_cndmask_b32_e64 v61, v57, -v57, vcc_lo
	s_delay_alu instid0(VALU_DEP_1) | instskip(NEXT) | instid1(VALU_DEP_1)
	v_pk_add_f32 v[58:59], v[58:59], v[60:61]
	v_cmp_lt_f32_e32 vcc_lo, v58, v59
	v_dual_cndmask_b32 v46, v46, v56 :: v_dual_add_nc_u32 v49, 8, v49
	v_cndmask_b32_e32 v47, v47, v57, vcc_lo
	v_cndmask_b32_e64 v48, v48, s0, vcc_lo
	s_add_co_i32 s0, s0, 1
	s_delay_alu instid0(SALU_CYCLE_1)
	s_cmp_lg_u32 s14, s0
	s_cbranch_scc1 .LBB38_295
.LBB38_296:
	s_wait_dscnt 0x0
	v_cmp_eq_f32_e32 vcc_lo, 0, v46
	v_cmp_eq_f32_e64 s0, 0, v47
	s_and_b32 s0, vcc_lo, s0
	s_delay_alu instid0(SALU_CYCLE_1) | instskip(NEXT) | instid1(SALU_CYCLE_1)
	s_and_saveexec_b32 s1, s0
	s_xor_b32 s0, exec_lo, s1
; %bb.297:
	v_cmp_ne_u32_e32 vcc_lo, 0, v53
	v_cndmask_b32_e32 v53, 15, v53, vcc_lo
; %bb.298:
	s_and_not1_saveexec_b32 s0, s0
	s_cbranch_execz .LBB38_304
; %bb.299:
	v_cmp_ngt_f32_e64 s1, |v46|, |v47|
	s_and_saveexec_b32 s15, s1
	s_delay_alu instid0(SALU_CYCLE_1)
	s_xor_b32 s1, exec_lo, s15
	s_cbranch_execz .LBB38_301
; %bb.300:
	v_div_scale_f32 v49, null, v47, v47, v46
	v_div_scale_f32 v57, vcc_lo, v46, v47, v46
	s_delay_alu instid0(VALU_DEP_2) | instskip(SKIP_1) | instid1(TRANS32_DEP_1)
	v_rcp_f32_e32 v55, v49
	v_nop
	v_fma_f32 v56, -v49, v55, 1.0
	s_delay_alu instid0(VALU_DEP_1) | instskip(NEXT) | instid1(VALU_DEP_1)
	v_fmac_f32_e32 v55, v56, v55
	v_mul_f32_e32 v56, v57, v55
	s_delay_alu instid0(VALU_DEP_1) | instskip(NEXT) | instid1(VALU_DEP_1)
	v_fma_f32 v58, -v49, v56, v57
	v_fmac_f32_e32 v56, v58, v55
	s_delay_alu instid0(VALU_DEP_1) | instskip(NEXT) | instid1(VALU_DEP_1)
	v_fma_f32 v49, -v49, v56, v57
	v_div_fmas_f32 v49, v49, v55, v56
	s_delay_alu instid0(VALU_DEP_1) | instskip(NEXT) | instid1(VALU_DEP_1)
	v_div_fixup_f32 v49, v49, v47, v46
	v_fmac_f32_e32 v47, v46, v49
	s_delay_alu instid0(VALU_DEP_1) | instskip(SKIP_1) | instid1(VALU_DEP_2)
	v_div_scale_f32 v46, null, v47, v47, 1.0
	v_div_scale_f32 v57, vcc_lo, 1.0, v47, 1.0
	v_rcp_f32_e32 v55, v46
	v_nop
	s_delay_alu instid0(TRANS32_DEP_1) | instskip(NEXT) | instid1(VALU_DEP_1)
	v_fma_f32 v56, -v46, v55, 1.0
	v_fmac_f32_e32 v55, v56, v55
	s_delay_alu instid0(VALU_DEP_1) | instskip(NEXT) | instid1(VALU_DEP_1)
	v_mul_f32_e32 v56, v57, v55
	v_fma_f32 v58, -v46, v56, v57
	s_delay_alu instid0(VALU_DEP_1) | instskip(NEXT) | instid1(VALU_DEP_1)
	v_fmac_f32_e32 v56, v58, v55
	v_fma_f32 v46, -v46, v56, v57
	s_delay_alu instid0(VALU_DEP_1) | instskip(NEXT) | instid1(VALU_DEP_1)
	v_div_fmas_f32 v46, v46, v55, v56
	v_div_fixup_f32 v47, v46, v47, 1.0
	s_delay_alu instid0(VALU_DEP_1)
	v_mul_f32_e32 v46, v49, v47
	v_xor_b32_e32 v47, 0x80000000, v47
.LBB38_301:
	s_and_not1_saveexec_b32 s1, s1
	s_cbranch_execz .LBB38_303
; %bb.302:
	s_delay_alu instid0(VALU_DEP_1) | instskip(SKIP_1) | instid1(VALU_DEP_2)
	v_div_scale_f32 v49, null, v46, v46, v47
	v_div_scale_f32 v57, vcc_lo, v47, v46, v47
	v_rcp_f32_e32 v55, v49
	v_nop
	s_delay_alu instid0(TRANS32_DEP_1) | instskip(NEXT) | instid1(VALU_DEP_1)
	v_fma_f32 v56, -v49, v55, 1.0
	v_fmac_f32_e32 v55, v56, v55
	s_delay_alu instid0(VALU_DEP_1) | instskip(NEXT) | instid1(VALU_DEP_1)
	v_mul_f32_e32 v56, v57, v55
	v_fma_f32 v58, -v49, v56, v57
	s_delay_alu instid0(VALU_DEP_1) | instskip(NEXT) | instid1(VALU_DEP_1)
	v_fmac_f32_e32 v56, v58, v55
	v_fma_f32 v49, -v49, v56, v57
	s_delay_alu instid0(VALU_DEP_1) | instskip(NEXT) | instid1(VALU_DEP_1)
	v_div_fmas_f32 v49, v49, v55, v56
	v_div_fixup_f32 v49, v49, v46, v47
	s_delay_alu instid0(VALU_DEP_1) | instskip(NEXT) | instid1(VALU_DEP_1)
	v_fmac_f32_e32 v46, v47, v49
	v_div_scale_f32 v47, null, v46, v46, 1.0
	s_delay_alu instid0(VALU_DEP_1) | instskip(SKIP_1) | instid1(TRANS32_DEP_1)
	v_rcp_f32_e32 v55, v47
	v_nop
	v_fma_f32 v56, -v47, v55, 1.0
	s_delay_alu instid0(VALU_DEP_1) | instskip(SKIP_1) | instid1(VALU_DEP_1)
	v_fmac_f32_e32 v55, v56, v55
	v_div_scale_f32 v56, vcc_lo, 1.0, v46, 1.0
	v_mul_f32_e32 v57, v56, v55
	s_delay_alu instid0(VALU_DEP_1) | instskip(NEXT) | instid1(VALU_DEP_1)
	v_fma_f32 v58, -v47, v57, v56
	v_fmac_f32_e32 v57, v58, v55
	s_delay_alu instid0(VALU_DEP_1) | instskip(NEXT) | instid1(VALU_DEP_1)
	v_fma_f32 v47, -v47, v57, v56
	v_div_fmas_f32 v47, v47, v55, v57
	s_delay_alu instid0(VALU_DEP_1) | instskip(NEXT) | instid1(VALU_DEP_1)
	v_div_fixup_f32 v46, v47, v46, 1.0
	v_mul_f32_e64 v47, v49, -v46
.LBB38_303:
	s_or_b32 exec_lo, exec_lo, s1
.LBB38_304:
	s_delay_alu instid0(SALU_CYCLE_1) | instskip(NEXT) | instid1(SALU_CYCLE_1)
	s_or_b32 exec_lo, exec_lo, s0
	s_mov_b32 s0, exec_lo
	v_cmpx_ne_u32_e64 v54, v48
	s_xor_b32 s0, exec_lo, s0
	s_cbranch_execz .LBB38_310
; %bb.305:
	s_mov_b32 s1, exec_lo
	v_cmpx_eq_u32_e32 14, v54
	s_cbranch_execz .LBB38_309
; %bb.306:
	v_cmp_ne_u32_e32 vcc_lo, 14, v48
	s_xor_b32 s15, s12, -1
	s_delay_alu instid0(SALU_CYCLE_1) | instskip(NEXT) | instid1(SALU_CYCLE_1)
	s_and_b32 s16, s15, vcc_lo
	s_and_saveexec_b32 s15, s16
	s_cbranch_execz .LBB38_308
; %bb.307:
	v_ashrrev_i32_e32 v49, 31, v48
	s_delay_alu instid0(VALU_DEP_1)
	v_lshl_add_u64 v[54:55], v[48:49], 2, v[36:37]
	s_clause 0x1
	global_load_b32 v49, v[54:55], off
	global_load_b32 v52, v[36:37], off offset:56
	s_wait_loadcnt 0x1
	global_store_b32 v[36:37], v49, off offset:56
	s_wait_loadcnt 0x0
	global_store_b32 v[54:55], v52, off
.LBB38_308:
	s_wait_xcnt 0x0
	s_or_b32 exec_lo, exec_lo, s15
	v_dual_mov_b32 v54, v48 :: v_dual_mov_b32 v52, v48
.LBB38_309:
	s_or_b32 exec_lo, exec_lo, s1
.LBB38_310:
	s_and_not1_saveexec_b32 s0, s0
	s_cbranch_execz .LBB38_312
; %bb.311:
	v_mov_b32_e32 v54, 14
	ds_store_2addr_b64 v50, v[6:7], v[20:21] offset0:15 offset1:16
	ds_store_2addr_b64 v50, v[18:19], v[16:17] offset0:17 offset1:18
	ds_store_b64 v50, v[44:45] offset:152
.LBB38_312:
	s_or_b32 exec_lo, exec_lo, s0
	s_delay_alu instid0(SALU_CYCLE_1)
	s_mov_b32 s0, exec_lo
	s_wait_storecnt_dscnt 0x0
	s_barrier_signal -1
	s_barrier_wait -1
	v_cmpx_lt_i32_e32 14, v54
	s_cbranch_execz .LBB38_314
; %bb.313:
	ds_load_2addr_b64 v[56:59], v50 offset0:15 offset1:16
	ds_load_2addr_b64 v[60:63], v50 offset0:17 offset1:18
	ds_load_b64 v[48:49], v50 offset:152
	v_pk_mul_f32 v[64:65], v[46:47], v[24:25] op_sel:[1,1] op_sel_hi:[0,1]
	s_delay_alu instid0(VALU_DEP_1) | instskip(SKIP_1) | instid1(VALU_DEP_1)
	v_pk_fma_f32 v[66:67], v[46:47], v[24:25], v[64:65] op_sel_hi:[1,0,1] neg_lo:[0,0,1] neg_hi:[0,0,1]
	v_pk_fma_f32 v[46:47], v[46:47], v[24:25], v[64:65] op_sel_hi:[1,0,1]
	v_dual_mov_b32 v24, v66 :: v_dual_mov_b32 v25, v47
	s_wait_dscnt 0x2
	s_delay_alu instid0(VALU_DEP_2)
	v_pk_mul_f32 v[64:65], v[56:57], v[46:47] op_sel:[0,1]
	v_pk_mul_f32 v[68:69], v[58:59], v[46:47] op_sel:[0,1]
	s_wait_dscnt 0x1
	v_pk_mul_f32 v[70:71], v[60:61], v[46:47] op_sel:[0,1]
	v_dual_mov_b32 v72, v63 :: v_dual_mov_b32 v73, v62
	v_dual_mul_f32 v74, v63, v47 :: v_dual_mul_f32 v76, v63, v66
	s_wait_dscnt 0x0
	v_pk_mul_f32 v[46:47], v[48:49], v[46:47] op_sel:[0,1]
	v_pk_fma_f32 v[78:79], v[56:57], v[66:67], v[64:65] op_sel:[0,0,1] op_sel_hi:[1,1,0] neg_lo:[0,0,1] neg_hi:[0,0,1]
	v_pk_fma_f32 v[56:57], v[56:57], v[66:67], v[64:65] op_sel:[0,0,1] op_sel_hi:[1,0,0]
	v_pk_fma_f32 v[64:65], v[58:59], v[66:67], v[68:69] op_sel:[0,0,1] op_sel_hi:[1,1,0] neg_lo:[0,0,1] neg_hi:[0,0,1]
	v_pk_fma_f32 v[58:59], v[58:59], v[66:67], v[68:69] op_sel:[0,0,1] op_sel_hi:[1,0,0]
	;; [unrolled: 2-line block ×3, first 2 shown]
	v_pk_fma_f32 v[70:71], v[72:73], v[24:25], v[76:77] op_sel_hi:[1,1,0]
	v_pk_fma_f32 v[72:73], v[48:49], v[66:67], v[46:47] op_sel:[0,0,1] op_sel_hi:[1,1,0] neg_lo:[0,0,1] neg_hi:[0,0,1]
	v_pk_fma_f32 v[46:47], v[48:49], v[66:67], v[46:47] op_sel:[0,0,1] op_sel_hi:[1,0,0]
	v_pk_fma_f32 v[62:63], v[62:63], v[24:25], v[74:75] op_sel_hi:[1,1,0] neg_lo:[0,0,1] neg_hi:[0,0,1]
	v_dual_mov_b32 v79, v57 :: v_dual_mov_b32 v65, v59
	v_dual_mov_b32 v69, v61 :: v_dual_mov_b32 v63, v71
	s_delay_alu instid0(VALU_DEP_4) | instskip(NEXT) | instid1(VALU_DEP_3)
	v_mov_b32_e32 v73, v47
	v_pk_add_f32 v[6:7], v[6:7], v[78:79] neg_lo:[0,1] neg_hi:[0,1]
	s_delay_alu instid0(VALU_DEP_4) | instskip(NEXT) | instid1(VALU_DEP_4)
	v_pk_add_f32 v[20:21], v[20:21], v[64:65] neg_lo:[0,1] neg_hi:[0,1]
	v_pk_add_f32 v[18:19], v[18:19], v[68:69] neg_lo:[0,1] neg_hi:[0,1]
	v_pk_add_f32 v[16:17], v[16:17], v[62:63] neg_lo:[0,1] neg_hi:[0,1]
	v_pk_add_f32 v[44:45], v[44:45], v[72:73] neg_lo:[0,1] neg_hi:[0,1]
.LBB38_314:
	s_or_b32 exec_lo, exec_lo, s0
	v_lshl_add_u32 v46, v54, 3, v50
	s_barrier_signal -1
	s_barrier_wait -1
	ds_store_b64 v46, v[6:7]
	s_wait_dscnt 0x0
	s_barrier_signal -1
	s_barrier_wait -1
	ds_load_b64 v[46:47], v50 offset:120
	v_mov_b32_e32 v48, 15
	s_cmp_lt_i32 s14, 17
	s_cbranch_scc1 .LBB38_317
; %bb.315:
	v_add3_u32 v49, v51, 0, 0x80
	v_mov_b32_e32 v48, 15
	s_mov_b32 s0, 16
.LBB38_316:                             ; =>This Inner Loop Header: Depth=1
	ds_load_b64 v[56:57], v49
	s_wait_dscnt 0x1
	v_cmp_gt_f32_e32 vcc_lo, 0, v46
	v_cndmask_b32_e64 v58, v46, -v46, vcc_lo
	v_cmp_gt_f32_e32 vcc_lo, 0, v47
	v_cndmask_b32_e64 v60, v47, -v47, vcc_lo
	s_wait_dscnt 0x0
	v_cmp_gt_f32_e32 vcc_lo, 0, v56
	v_cndmask_b32_e64 v59, v56, -v56, vcc_lo
	v_cmp_gt_f32_e32 vcc_lo, 0, v57
	v_cndmask_b32_e64 v61, v57, -v57, vcc_lo
	s_delay_alu instid0(VALU_DEP_1) | instskip(NEXT) | instid1(VALU_DEP_1)
	v_pk_add_f32 v[58:59], v[58:59], v[60:61]
	v_cmp_lt_f32_e32 vcc_lo, v58, v59
	v_dual_cndmask_b32 v46, v46, v56 :: v_dual_add_nc_u32 v49, 8, v49
	v_cndmask_b32_e32 v47, v47, v57, vcc_lo
	v_cndmask_b32_e64 v48, v48, s0, vcc_lo
	s_add_co_i32 s0, s0, 1
	s_delay_alu instid0(SALU_CYCLE_1)
	s_cmp_lg_u32 s14, s0
	s_cbranch_scc1 .LBB38_316
.LBB38_317:
	s_wait_dscnt 0x0
	v_cmp_eq_f32_e32 vcc_lo, 0, v46
	v_cmp_eq_f32_e64 s0, 0, v47
	s_and_b32 s0, vcc_lo, s0
	s_delay_alu instid0(SALU_CYCLE_1) | instskip(NEXT) | instid1(SALU_CYCLE_1)
	s_and_saveexec_b32 s1, s0
	s_xor_b32 s0, exec_lo, s1
; %bb.318:
	v_cmp_ne_u32_e32 vcc_lo, 0, v53
	v_cndmask_b32_e32 v53, 16, v53, vcc_lo
; %bb.319:
	s_and_not1_saveexec_b32 s0, s0
	s_cbranch_execz .LBB38_325
; %bb.320:
	v_cmp_ngt_f32_e64 s1, |v46|, |v47|
	s_and_saveexec_b32 s15, s1
	s_delay_alu instid0(SALU_CYCLE_1)
	s_xor_b32 s1, exec_lo, s15
	s_cbranch_execz .LBB38_322
; %bb.321:
	v_div_scale_f32 v49, null, v47, v47, v46
	v_div_scale_f32 v57, vcc_lo, v46, v47, v46
	s_delay_alu instid0(VALU_DEP_2) | instskip(SKIP_1) | instid1(TRANS32_DEP_1)
	v_rcp_f32_e32 v55, v49
	v_nop
	v_fma_f32 v56, -v49, v55, 1.0
	s_delay_alu instid0(VALU_DEP_1) | instskip(NEXT) | instid1(VALU_DEP_1)
	v_fmac_f32_e32 v55, v56, v55
	v_mul_f32_e32 v56, v57, v55
	s_delay_alu instid0(VALU_DEP_1) | instskip(NEXT) | instid1(VALU_DEP_1)
	v_fma_f32 v58, -v49, v56, v57
	v_fmac_f32_e32 v56, v58, v55
	s_delay_alu instid0(VALU_DEP_1) | instskip(NEXT) | instid1(VALU_DEP_1)
	v_fma_f32 v49, -v49, v56, v57
	v_div_fmas_f32 v49, v49, v55, v56
	s_delay_alu instid0(VALU_DEP_1) | instskip(NEXT) | instid1(VALU_DEP_1)
	v_div_fixup_f32 v49, v49, v47, v46
	v_fmac_f32_e32 v47, v46, v49
	s_delay_alu instid0(VALU_DEP_1) | instskip(SKIP_1) | instid1(VALU_DEP_2)
	v_div_scale_f32 v46, null, v47, v47, 1.0
	v_div_scale_f32 v57, vcc_lo, 1.0, v47, 1.0
	v_rcp_f32_e32 v55, v46
	v_nop
	s_delay_alu instid0(TRANS32_DEP_1) | instskip(NEXT) | instid1(VALU_DEP_1)
	v_fma_f32 v56, -v46, v55, 1.0
	v_fmac_f32_e32 v55, v56, v55
	s_delay_alu instid0(VALU_DEP_1) | instskip(NEXT) | instid1(VALU_DEP_1)
	v_mul_f32_e32 v56, v57, v55
	v_fma_f32 v58, -v46, v56, v57
	s_delay_alu instid0(VALU_DEP_1) | instskip(NEXT) | instid1(VALU_DEP_1)
	v_fmac_f32_e32 v56, v58, v55
	v_fma_f32 v46, -v46, v56, v57
	s_delay_alu instid0(VALU_DEP_1) | instskip(NEXT) | instid1(VALU_DEP_1)
	v_div_fmas_f32 v46, v46, v55, v56
	v_div_fixup_f32 v47, v46, v47, 1.0
	s_delay_alu instid0(VALU_DEP_1)
	v_mul_f32_e32 v46, v49, v47
	v_xor_b32_e32 v47, 0x80000000, v47
.LBB38_322:
	s_and_not1_saveexec_b32 s1, s1
	s_cbranch_execz .LBB38_324
; %bb.323:
	s_delay_alu instid0(VALU_DEP_1) | instskip(SKIP_1) | instid1(VALU_DEP_2)
	v_div_scale_f32 v49, null, v46, v46, v47
	v_div_scale_f32 v57, vcc_lo, v47, v46, v47
	v_rcp_f32_e32 v55, v49
	v_nop
	s_delay_alu instid0(TRANS32_DEP_1) | instskip(NEXT) | instid1(VALU_DEP_1)
	v_fma_f32 v56, -v49, v55, 1.0
	v_fmac_f32_e32 v55, v56, v55
	s_delay_alu instid0(VALU_DEP_1) | instskip(NEXT) | instid1(VALU_DEP_1)
	v_mul_f32_e32 v56, v57, v55
	v_fma_f32 v58, -v49, v56, v57
	s_delay_alu instid0(VALU_DEP_1) | instskip(NEXT) | instid1(VALU_DEP_1)
	v_fmac_f32_e32 v56, v58, v55
	v_fma_f32 v49, -v49, v56, v57
	s_delay_alu instid0(VALU_DEP_1) | instskip(NEXT) | instid1(VALU_DEP_1)
	v_div_fmas_f32 v49, v49, v55, v56
	v_div_fixup_f32 v49, v49, v46, v47
	s_delay_alu instid0(VALU_DEP_1) | instskip(NEXT) | instid1(VALU_DEP_1)
	v_fmac_f32_e32 v46, v47, v49
	v_div_scale_f32 v47, null, v46, v46, 1.0
	s_delay_alu instid0(VALU_DEP_1) | instskip(SKIP_1) | instid1(TRANS32_DEP_1)
	v_rcp_f32_e32 v55, v47
	v_nop
	v_fma_f32 v56, -v47, v55, 1.0
	s_delay_alu instid0(VALU_DEP_1) | instskip(SKIP_1) | instid1(VALU_DEP_1)
	v_fmac_f32_e32 v55, v56, v55
	v_div_scale_f32 v56, vcc_lo, 1.0, v46, 1.0
	v_mul_f32_e32 v57, v56, v55
	s_delay_alu instid0(VALU_DEP_1) | instskip(NEXT) | instid1(VALU_DEP_1)
	v_fma_f32 v58, -v47, v57, v56
	v_fmac_f32_e32 v57, v58, v55
	s_delay_alu instid0(VALU_DEP_1) | instskip(NEXT) | instid1(VALU_DEP_1)
	v_fma_f32 v47, -v47, v57, v56
	v_div_fmas_f32 v47, v47, v55, v57
	s_delay_alu instid0(VALU_DEP_1) | instskip(NEXT) | instid1(VALU_DEP_1)
	v_div_fixup_f32 v46, v47, v46, 1.0
	v_mul_f32_e64 v47, v49, -v46
.LBB38_324:
	s_or_b32 exec_lo, exec_lo, s1
.LBB38_325:
	s_delay_alu instid0(SALU_CYCLE_1) | instskip(NEXT) | instid1(SALU_CYCLE_1)
	s_or_b32 exec_lo, exec_lo, s0
	s_mov_b32 s0, exec_lo
	v_cmpx_ne_u32_e64 v54, v48
	s_xor_b32 s0, exec_lo, s0
	s_cbranch_execz .LBB38_331
; %bb.326:
	s_mov_b32 s1, exec_lo
	v_cmpx_eq_u32_e32 15, v54
	s_cbranch_execz .LBB38_330
; %bb.327:
	v_cmp_ne_u32_e32 vcc_lo, 15, v48
	s_xor_b32 s15, s12, -1
	s_delay_alu instid0(SALU_CYCLE_1) | instskip(NEXT) | instid1(SALU_CYCLE_1)
	s_and_b32 s16, s15, vcc_lo
	s_and_saveexec_b32 s15, s16
	s_cbranch_execz .LBB38_329
; %bb.328:
	v_ashrrev_i32_e32 v49, 31, v48
	s_delay_alu instid0(VALU_DEP_1)
	v_lshl_add_u64 v[54:55], v[48:49], 2, v[36:37]
	s_clause 0x1
	global_load_b32 v49, v[54:55], off
	global_load_b32 v52, v[36:37], off offset:60
	s_wait_loadcnt 0x1
	global_store_b32 v[36:37], v49, off offset:60
	s_wait_loadcnt 0x0
	global_store_b32 v[54:55], v52, off
.LBB38_329:
	s_wait_xcnt 0x0
	s_or_b32 exec_lo, exec_lo, s15
	v_dual_mov_b32 v54, v48 :: v_dual_mov_b32 v52, v48
.LBB38_330:
	s_or_b32 exec_lo, exec_lo, s1
.LBB38_331:
	s_and_not1_saveexec_b32 s0, s0
	s_cbranch_execz .LBB38_333
; %bb.332:
	v_dual_mov_b32 v48, v20 :: v_dual_mov_b32 v49, v21
	v_dual_mov_b32 v56, v18 :: v_dual_mov_b32 v57, v19
	;; [unrolled: 1-line block ×3, first 2 shown]
	v_mov_b32_e32 v59, v17
	ds_store_2addr_b64 v50, v[48:49], v[56:57] offset0:16 offset1:17
	ds_store_2addr_b64 v50, v[58:59], v[44:45] offset0:18 offset1:19
.LBB38_333:
	s_or_b32 exec_lo, exec_lo, s0
	s_delay_alu instid0(SALU_CYCLE_1)
	s_mov_b32 s0, exec_lo
	s_wait_storecnt_dscnt 0x0
	s_barrier_signal -1
	s_barrier_wait -1
	v_cmpx_lt_i32_e32 15, v54
	s_cbranch_execz .LBB38_335
; %bb.334:
	ds_load_2addr_b64 v[56:59], v50 offset0:16 offset1:17
	ds_load_2addr_b64 v[60:63], v50 offset0:18 offset1:19
	v_pk_mul_f32 v[48:49], v[46:47], v[6:7] op_sel:[1,1] op_sel_hi:[0,1]
	s_delay_alu instid0(VALU_DEP_1) | instskip(SKIP_1) | instid1(VALU_DEP_1)
	v_pk_fma_f32 v[64:65], v[46:47], v[6:7], v[48:49] op_sel_hi:[1,0,1] neg_lo:[0,0,1] neg_hi:[0,0,1]
	v_pk_fma_f32 v[46:47], v[46:47], v[6:7], v[48:49] op_sel_hi:[1,0,1]
	v_dual_mov_b32 v6, v64 :: v_dual_mov_b32 v7, v47
	s_wait_dscnt 0x1
	s_delay_alu instid0(VALU_DEP_2)
	v_pk_mul_f32 v[48:49], v[56:57], v[46:47] op_sel:[0,1]
	s_wait_dscnt 0x0
	v_mov_b32_e32 v66, v63
	v_pk_mul_f32 v[68:69], v[58:59], v[46:47] op_sel:[0,1]
	v_pk_mul_f32 v[70:71], v[60:61], v[46:47] op_sel:[0,1]
	v_pk_fma_f32 v[72:73], v[56:57], v[64:65], v[48:49] op_sel:[0,0,1] op_sel_hi:[1,1,0] neg_lo:[0,0,1] neg_hi:[0,0,1]
	v_pk_fma_f32 v[48:49], v[56:57], v[64:65], v[48:49] op_sel:[0,0,1] op_sel_hi:[1,0,0]
	s_delay_alu instid0(VALU_DEP_1) | instskip(NEXT) | instid1(VALU_DEP_1)
	v_dual_mov_b32 v67, v62 :: v_dual_mov_b32 v73, v49
	v_pk_mul_f32 v[56:57], v[66:67], v[46:47] op_sel:[0,1]
	v_pk_fma_f32 v[66:67], v[58:59], v[64:65], v[68:69] op_sel:[0,0,1] op_sel_hi:[1,0,0]
	v_pk_fma_f32 v[58:59], v[58:59], v[64:65], v[68:69] op_sel:[0,0,1] op_sel_hi:[1,1,0] neg_lo:[0,0,1] neg_hi:[0,0,1]
	v_pk_fma_f32 v[68:69], v[60:61], v[64:65], v[70:71] op_sel:[0,0,1] op_sel_hi:[1,0,0]
	v_pk_fma_f32 v[60:61], v[60:61], v[64:65], v[70:71] op_sel:[0,0,1] op_sel_hi:[1,1,0] neg_lo:[0,0,1] neg_hi:[0,0,1]
	v_pk_fma_f32 v[48:49], v[62:63], v[64:65], v[56:57] op_sel_hi:[1,0,1]
	v_pk_fma_f32 v[56:57], v[62:63], v[64:65], v[56:57] neg_lo:[0,0,1] neg_hi:[0,0,1]
	s_delay_alu instid0(VALU_DEP_4) | instskip(SKIP_1) | instid1(VALU_DEP_4)
	v_dual_mov_b32 v59, v67 :: v_dual_mov_b32 v61, v69
	v_pk_add_f32 v[20:21], v[20:21], v[72:73] neg_lo:[0,1] neg_hi:[0,1]
	v_mov_b32_e32 v57, v49
	s_delay_alu instid0(VALU_DEP_3) | instskip(NEXT) | instid1(VALU_DEP_4)
	v_pk_add_f32 v[18:19], v[18:19], v[58:59] neg_lo:[0,1] neg_hi:[0,1]
	v_pk_add_f32 v[16:17], v[16:17], v[60:61] neg_lo:[0,1] neg_hi:[0,1]
	s_delay_alu instid0(VALU_DEP_3)
	v_pk_add_f32 v[44:45], v[44:45], v[56:57] neg_lo:[0,1] neg_hi:[0,1]
.LBB38_335:
	s_or_b32 exec_lo, exec_lo, s0
	v_lshl_add_u32 v46, v54, 3, v50
	s_barrier_signal -1
	s_barrier_wait -1
	ds_store_b64 v46, v[20:21]
	s_wait_dscnt 0x0
	s_barrier_signal -1
	s_barrier_wait -1
	ds_load_b64 v[46:47], v50 offset:128
	v_mov_b32_e32 v48, 16
	s_cmp_lt_i32 s14, 18
	s_cbranch_scc1 .LBB38_338
; %bb.336:
	v_add3_u32 v49, v51, 0, 0x88
	v_mov_b32_e32 v48, 16
	s_mov_b32 s0, 17
.LBB38_337:                             ; =>This Inner Loop Header: Depth=1
	ds_load_b64 v[56:57], v49
	s_wait_dscnt 0x1
	v_cmp_gt_f32_e32 vcc_lo, 0, v46
	v_cndmask_b32_e64 v58, v46, -v46, vcc_lo
	v_cmp_gt_f32_e32 vcc_lo, 0, v47
	v_cndmask_b32_e64 v60, v47, -v47, vcc_lo
	s_wait_dscnt 0x0
	v_cmp_gt_f32_e32 vcc_lo, 0, v56
	v_cndmask_b32_e64 v59, v56, -v56, vcc_lo
	v_cmp_gt_f32_e32 vcc_lo, 0, v57
	v_cndmask_b32_e64 v61, v57, -v57, vcc_lo
	s_delay_alu instid0(VALU_DEP_1) | instskip(NEXT) | instid1(VALU_DEP_1)
	v_pk_add_f32 v[58:59], v[58:59], v[60:61]
	v_cmp_lt_f32_e32 vcc_lo, v58, v59
	v_dual_cndmask_b32 v46, v46, v56 :: v_dual_add_nc_u32 v49, 8, v49
	v_cndmask_b32_e32 v47, v47, v57, vcc_lo
	v_cndmask_b32_e64 v48, v48, s0, vcc_lo
	s_add_co_i32 s0, s0, 1
	s_delay_alu instid0(SALU_CYCLE_1)
	s_cmp_lg_u32 s14, s0
	s_cbranch_scc1 .LBB38_337
.LBB38_338:
	s_wait_dscnt 0x0
	v_cmp_eq_f32_e32 vcc_lo, 0, v46
	v_cmp_eq_f32_e64 s0, 0, v47
	s_and_b32 s0, vcc_lo, s0
	s_delay_alu instid0(SALU_CYCLE_1) | instskip(NEXT) | instid1(SALU_CYCLE_1)
	s_and_saveexec_b32 s1, s0
	s_xor_b32 s0, exec_lo, s1
; %bb.339:
	v_cmp_ne_u32_e32 vcc_lo, 0, v53
	v_cndmask_b32_e32 v53, 17, v53, vcc_lo
; %bb.340:
	s_and_not1_saveexec_b32 s0, s0
	s_cbranch_execz .LBB38_346
; %bb.341:
	v_cmp_ngt_f32_e64 s1, |v46|, |v47|
	s_and_saveexec_b32 s15, s1
	s_delay_alu instid0(SALU_CYCLE_1)
	s_xor_b32 s1, exec_lo, s15
	s_cbranch_execz .LBB38_343
; %bb.342:
	v_div_scale_f32 v49, null, v47, v47, v46
	v_div_scale_f32 v57, vcc_lo, v46, v47, v46
	s_delay_alu instid0(VALU_DEP_2) | instskip(SKIP_1) | instid1(TRANS32_DEP_1)
	v_rcp_f32_e32 v55, v49
	v_nop
	v_fma_f32 v56, -v49, v55, 1.0
	s_delay_alu instid0(VALU_DEP_1) | instskip(NEXT) | instid1(VALU_DEP_1)
	v_fmac_f32_e32 v55, v56, v55
	v_mul_f32_e32 v56, v57, v55
	s_delay_alu instid0(VALU_DEP_1) | instskip(NEXT) | instid1(VALU_DEP_1)
	v_fma_f32 v58, -v49, v56, v57
	v_fmac_f32_e32 v56, v58, v55
	s_delay_alu instid0(VALU_DEP_1) | instskip(NEXT) | instid1(VALU_DEP_1)
	v_fma_f32 v49, -v49, v56, v57
	v_div_fmas_f32 v49, v49, v55, v56
	s_delay_alu instid0(VALU_DEP_1) | instskip(NEXT) | instid1(VALU_DEP_1)
	v_div_fixup_f32 v49, v49, v47, v46
	v_fmac_f32_e32 v47, v46, v49
	s_delay_alu instid0(VALU_DEP_1) | instskip(SKIP_1) | instid1(VALU_DEP_2)
	v_div_scale_f32 v46, null, v47, v47, 1.0
	v_div_scale_f32 v57, vcc_lo, 1.0, v47, 1.0
	v_rcp_f32_e32 v55, v46
	v_nop
	s_delay_alu instid0(TRANS32_DEP_1) | instskip(NEXT) | instid1(VALU_DEP_1)
	v_fma_f32 v56, -v46, v55, 1.0
	v_fmac_f32_e32 v55, v56, v55
	s_delay_alu instid0(VALU_DEP_1) | instskip(NEXT) | instid1(VALU_DEP_1)
	v_mul_f32_e32 v56, v57, v55
	v_fma_f32 v58, -v46, v56, v57
	s_delay_alu instid0(VALU_DEP_1) | instskip(NEXT) | instid1(VALU_DEP_1)
	v_fmac_f32_e32 v56, v58, v55
	v_fma_f32 v46, -v46, v56, v57
	s_delay_alu instid0(VALU_DEP_1) | instskip(NEXT) | instid1(VALU_DEP_1)
	v_div_fmas_f32 v46, v46, v55, v56
	v_div_fixup_f32 v47, v46, v47, 1.0
	s_delay_alu instid0(VALU_DEP_1)
	v_mul_f32_e32 v46, v49, v47
	v_xor_b32_e32 v47, 0x80000000, v47
.LBB38_343:
	s_and_not1_saveexec_b32 s1, s1
	s_cbranch_execz .LBB38_345
; %bb.344:
	s_delay_alu instid0(VALU_DEP_1) | instskip(SKIP_1) | instid1(VALU_DEP_2)
	v_div_scale_f32 v49, null, v46, v46, v47
	v_div_scale_f32 v57, vcc_lo, v47, v46, v47
	v_rcp_f32_e32 v55, v49
	v_nop
	s_delay_alu instid0(TRANS32_DEP_1) | instskip(NEXT) | instid1(VALU_DEP_1)
	v_fma_f32 v56, -v49, v55, 1.0
	v_fmac_f32_e32 v55, v56, v55
	s_delay_alu instid0(VALU_DEP_1) | instskip(NEXT) | instid1(VALU_DEP_1)
	v_mul_f32_e32 v56, v57, v55
	v_fma_f32 v58, -v49, v56, v57
	s_delay_alu instid0(VALU_DEP_1) | instskip(NEXT) | instid1(VALU_DEP_1)
	v_fmac_f32_e32 v56, v58, v55
	v_fma_f32 v49, -v49, v56, v57
	s_delay_alu instid0(VALU_DEP_1) | instskip(NEXT) | instid1(VALU_DEP_1)
	v_div_fmas_f32 v49, v49, v55, v56
	v_div_fixup_f32 v49, v49, v46, v47
	s_delay_alu instid0(VALU_DEP_1) | instskip(NEXT) | instid1(VALU_DEP_1)
	v_fmac_f32_e32 v46, v47, v49
	v_div_scale_f32 v47, null, v46, v46, 1.0
	s_delay_alu instid0(VALU_DEP_1) | instskip(SKIP_1) | instid1(TRANS32_DEP_1)
	v_rcp_f32_e32 v55, v47
	v_nop
	v_fma_f32 v56, -v47, v55, 1.0
	s_delay_alu instid0(VALU_DEP_1) | instskip(SKIP_1) | instid1(VALU_DEP_1)
	v_fmac_f32_e32 v55, v56, v55
	v_div_scale_f32 v56, vcc_lo, 1.0, v46, 1.0
	v_mul_f32_e32 v57, v56, v55
	s_delay_alu instid0(VALU_DEP_1) | instskip(NEXT) | instid1(VALU_DEP_1)
	v_fma_f32 v58, -v47, v57, v56
	v_fmac_f32_e32 v57, v58, v55
	s_delay_alu instid0(VALU_DEP_1) | instskip(NEXT) | instid1(VALU_DEP_1)
	v_fma_f32 v47, -v47, v57, v56
	v_div_fmas_f32 v47, v47, v55, v57
	s_delay_alu instid0(VALU_DEP_1) | instskip(NEXT) | instid1(VALU_DEP_1)
	v_div_fixup_f32 v46, v47, v46, 1.0
	v_mul_f32_e64 v47, v49, -v46
.LBB38_345:
	s_or_b32 exec_lo, exec_lo, s1
.LBB38_346:
	s_delay_alu instid0(SALU_CYCLE_1) | instskip(NEXT) | instid1(SALU_CYCLE_1)
	s_or_b32 exec_lo, exec_lo, s0
	s_mov_b32 s0, exec_lo
	v_cmpx_ne_u32_e64 v54, v48
	s_xor_b32 s0, exec_lo, s0
	s_cbranch_execz .LBB38_352
; %bb.347:
	s_mov_b32 s1, exec_lo
	v_cmpx_eq_u32_e32 16, v54
	s_cbranch_execz .LBB38_351
; %bb.348:
	v_cmp_ne_u32_e32 vcc_lo, 16, v48
	s_xor_b32 s15, s12, -1
	s_delay_alu instid0(SALU_CYCLE_1) | instskip(NEXT) | instid1(SALU_CYCLE_1)
	s_and_b32 s16, s15, vcc_lo
	s_and_saveexec_b32 s15, s16
	s_cbranch_execz .LBB38_350
; %bb.349:
	v_ashrrev_i32_e32 v49, 31, v48
	s_delay_alu instid0(VALU_DEP_1)
	v_lshl_add_u64 v[54:55], v[48:49], 2, v[36:37]
	s_clause 0x1
	global_load_b32 v49, v[54:55], off
	global_load_b32 v52, v[36:37], off offset:64
	s_wait_loadcnt 0x1
	global_store_b32 v[36:37], v49, off offset:64
	s_wait_loadcnt 0x0
	global_store_b32 v[54:55], v52, off
.LBB38_350:
	s_wait_xcnt 0x0
	s_or_b32 exec_lo, exec_lo, s15
	v_dual_mov_b32 v54, v48 :: v_dual_mov_b32 v52, v48
.LBB38_351:
	s_or_b32 exec_lo, exec_lo, s1
.LBB38_352:
	s_and_not1_saveexec_b32 s0, s0
	s_cbranch_execz .LBB38_354
; %bb.353:
	v_mov_b32_e32 v54, 16
	ds_store_2addr_b64 v50, v[18:19], v[16:17] offset0:17 offset1:18
	ds_store_b64 v50, v[44:45] offset:152
.LBB38_354:
	s_or_b32 exec_lo, exec_lo, s0
	s_delay_alu instid0(SALU_CYCLE_1)
	s_mov_b32 s0, exec_lo
	s_wait_storecnt_dscnt 0x0
	s_barrier_signal -1
	s_barrier_wait -1
	v_cmpx_lt_i32_e32 16, v54
	s_cbranch_execz .LBB38_356
; %bb.355:
	ds_load_2addr_b64 v[56:59], v50 offset0:17 offset1:18
	ds_load_b64 v[48:49], v50 offset:152
	v_pk_mul_f32 v[60:61], v[46:47], v[20:21] op_sel:[1,1] op_sel_hi:[0,1]
	s_delay_alu instid0(VALU_DEP_1) | instskip(SKIP_2) | instid1(VALU_DEP_2)
	v_pk_fma_f32 v[62:63], v[46:47], v[20:21], v[60:61] op_sel_hi:[1,0,1]
	v_pk_fma_f32 v[20:21], v[46:47], v[20:21], v[60:61] op_sel_hi:[1,0,1] neg_lo:[0,0,1] neg_hi:[0,0,1]
	s_wait_dscnt 0x1
	v_pk_mul_f32 v[46:47], v[56:57], v[62:63] op_sel:[0,1]
	v_pk_mul_f32 v[60:61], v[58:59], v[62:63] op_sel:[0,1]
	s_wait_dscnt 0x0
	v_pk_mul_f32 v[64:65], v[48:49], v[62:63] op_sel:[1,1] op_sel_hi:[0,1]
	s_delay_alu instid0(VALU_DEP_3) | instskip(SKIP_2) | instid1(VALU_DEP_4)
	v_pk_fma_f32 v[66:67], v[56:57], v[20:21], v[46:47] op_sel:[0,0,1] op_sel_hi:[1,1,0] neg_lo:[0,0,1] neg_hi:[0,0,1]
	v_pk_fma_f32 v[46:47], v[56:57], v[20:21], v[46:47] op_sel:[0,0,1] op_sel_hi:[1,0,0]
	v_pk_fma_f32 v[56:57], v[58:59], v[20:21], v[60:61] op_sel:[0,0,1] op_sel_hi:[1,0,0]
	v_pk_fma_f32 v[68:69], v[48:49], v[20:21], v[64:65] op_sel_hi:[1,0,1]
	v_pk_fma_f32 v[58:59], v[58:59], v[20:21], v[60:61] op_sel:[0,0,1] op_sel_hi:[1,1,0] neg_lo:[0,0,1] neg_hi:[0,0,1]
	v_pk_fma_f32 v[48:49], v[48:49], v[20:21], v[64:65] neg_lo:[0,0,1] neg_hi:[0,0,1]
	s_delay_alu instid0(VALU_DEP_4) | instskip(NEXT) | instid1(VALU_DEP_4)
	v_dual_mov_b32 v67, v47 :: v_dual_mov_b32 v59, v57
	v_dual_mov_b32 v49, v69 :: v_dual_mov_b32 v21, v63
	s_delay_alu instid0(VALU_DEP_2) | instskip(NEXT) | instid1(VALU_DEP_3)
	v_pk_add_f32 v[18:19], v[18:19], v[66:67] neg_lo:[0,1] neg_hi:[0,1]
	v_pk_add_f32 v[16:17], v[16:17], v[58:59] neg_lo:[0,1] neg_hi:[0,1]
	s_delay_alu instid0(VALU_DEP_3)
	v_pk_add_f32 v[44:45], v[44:45], v[48:49] neg_lo:[0,1] neg_hi:[0,1]
.LBB38_356:
	s_or_b32 exec_lo, exec_lo, s0
	v_lshl_add_u32 v46, v54, 3, v50
	s_barrier_signal -1
	s_barrier_wait -1
	ds_store_b64 v46, v[18:19]
	s_wait_dscnt 0x0
	s_barrier_signal -1
	s_barrier_wait -1
	ds_load_b64 v[46:47], v50 offset:136
	v_mov_b32_e32 v48, 17
	s_cmp_lt_i32 s14, 19
	s_cbranch_scc1 .LBB38_359
; %bb.357:
	v_add3_u32 v49, v51, 0, 0x90
	v_mov_b32_e32 v48, 17
	s_mov_b32 s0, 18
.LBB38_358:                             ; =>This Inner Loop Header: Depth=1
	ds_load_b64 v[56:57], v49
	s_wait_dscnt 0x1
	v_cmp_gt_f32_e32 vcc_lo, 0, v46
	v_cndmask_b32_e64 v58, v46, -v46, vcc_lo
	v_cmp_gt_f32_e32 vcc_lo, 0, v47
	v_cndmask_b32_e64 v60, v47, -v47, vcc_lo
	s_wait_dscnt 0x0
	v_cmp_gt_f32_e32 vcc_lo, 0, v56
	v_cndmask_b32_e64 v59, v56, -v56, vcc_lo
	v_cmp_gt_f32_e32 vcc_lo, 0, v57
	v_cndmask_b32_e64 v61, v57, -v57, vcc_lo
	s_delay_alu instid0(VALU_DEP_1) | instskip(NEXT) | instid1(VALU_DEP_1)
	v_pk_add_f32 v[58:59], v[58:59], v[60:61]
	v_cmp_lt_f32_e32 vcc_lo, v58, v59
	v_dual_cndmask_b32 v46, v46, v56 :: v_dual_add_nc_u32 v49, 8, v49
	v_cndmask_b32_e32 v47, v47, v57, vcc_lo
	v_cndmask_b32_e64 v48, v48, s0, vcc_lo
	s_add_co_i32 s0, s0, 1
	s_delay_alu instid0(SALU_CYCLE_1)
	s_cmp_lg_u32 s14, s0
	s_cbranch_scc1 .LBB38_358
.LBB38_359:
	s_wait_dscnt 0x0
	v_cmp_eq_f32_e32 vcc_lo, 0, v46
	v_cmp_eq_f32_e64 s0, 0, v47
	s_and_b32 s0, vcc_lo, s0
	s_delay_alu instid0(SALU_CYCLE_1) | instskip(NEXT) | instid1(SALU_CYCLE_1)
	s_and_saveexec_b32 s1, s0
	s_xor_b32 s0, exec_lo, s1
; %bb.360:
	v_cmp_ne_u32_e32 vcc_lo, 0, v53
	v_cndmask_b32_e32 v53, 18, v53, vcc_lo
; %bb.361:
	s_and_not1_saveexec_b32 s0, s0
	s_cbranch_execz .LBB38_367
; %bb.362:
	v_cmp_ngt_f32_e64 s1, |v46|, |v47|
	s_and_saveexec_b32 s15, s1
	s_delay_alu instid0(SALU_CYCLE_1)
	s_xor_b32 s1, exec_lo, s15
	s_cbranch_execz .LBB38_364
; %bb.363:
	v_div_scale_f32 v49, null, v47, v47, v46
	v_div_scale_f32 v57, vcc_lo, v46, v47, v46
	s_delay_alu instid0(VALU_DEP_2) | instskip(SKIP_1) | instid1(TRANS32_DEP_1)
	v_rcp_f32_e32 v55, v49
	v_nop
	v_fma_f32 v56, -v49, v55, 1.0
	s_delay_alu instid0(VALU_DEP_1) | instskip(NEXT) | instid1(VALU_DEP_1)
	v_fmac_f32_e32 v55, v56, v55
	v_mul_f32_e32 v56, v57, v55
	s_delay_alu instid0(VALU_DEP_1) | instskip(NEXT) | instid1(VALU_DEP_1)
	v_fma_f32 v58, -v49, v56, v57
	v_fmac_f32_e32 v56, v58, v55
	s_delay_alu instid0(VALU_DEP_1) | instskip(NEXT) | instid1(VALU_DEP_1)
	v_fma_f32 v49, -v49, v56, v57
	v_div_fmas_f32 v49, v49, v55, v56
	s_delay_alu instid0(VALU_DEP_1) | instskip(NEXT) | instid1(VALU_DEP_1)
	v_div_fixup_f32 v49, v49, v47, v46
	v_fmac_f32_e32 v47, v46, v49
	s_delay_alu instid0(VALU_DEP_1) | instskip(SKIP_1) | instid1(VALU_DEP_2)
	v_div_scale_f32 v46, null, v47, v47, 1.0
	v_div_scale_f32 v57, vcc_lo, 1.0, v47, 1.0
	v_rcp_f32_e32 v55, v46
	v_nop
	s_delay_alu instid0(TRANS32_DEP_1) | instskip(NEXT) | instid1(VALU_DEP_1)
	v_fma_f32 v56, -v46, v55, 1.0
	v_fmac_f32_e32 v55, v56, v55
	s_delay_alu instid0(VALU_DEP_1) | instskip(NEXT) | instid1(VALU_DEP_1)
	v_mul_f32_e32 v56, v57, v55
	v_fma_f32 v58, -v46, v56, v57
	s_delay_alu instid0(VALU_DEP_1) | instskip(NEXT) | instid1(VALU_DEP_1)
	v_fmac_f32_e32 v56, v58, v55
	v_fma_f32 v46, -v46, v56, v57
	s_delay_alu instid0(VALU_DEP_1) | instskip(NEXT) | instid1(VALU_DEP_1)
	v_div_fmas_f32 v46, v46, v55, v56
	v_div_fixup_f32 v47, v46, v47, 1.0
	s_delay_alu instid0(VALU_DEP_1)
	v_mul_f32_e32 v46, v49, v47
	v_xor_b32_e32 v47, 0x80000000, v47
.LBB38_364:
	s_and_not1_saveexec_b32 s1, s1
	s_cbranch_execz .LBB38_366
; %bb.365:
	s_delay_alu instid0(VALU_DEP_1) | instskip(SKIP_1) | instid1(VALU_DEP_2)
	v_div_scale_f32 v49, null, v46, v46, v47
	v_div_scale_f32 v57, vcc_lo, v47, v46, v47
	v_rcp_f32_e32 v55, v49
	v_nop
	s_delay_alu instid0(TRANS32_DEP_1) | instskip(NEXT) | instid1(VALU_DEP_1)
	v_fma_f32 v56, -v49, v55, 1.0
	v_fmac_f32_e32 v55, v56, v55
	s_delay_alu instid0(VALU_DEP_1) | instskip(NEXT) | instid1(VALU_DEP_1)
	v_mul_f32_e32 v56, v57, v55
	v_fma_f32 v58, -v49, v56, v57
	s_delay_alu instid0(VALU_DEP_1) | instskip(NEXT) | instid1(VALU_DEP_1)
	v_fmac_f32_e32 v56, v58, v55
	v_fma_f32 v49, -v49, v56, v57
	s_delay_alu instid0(VALU_DEP_1) | instskip(NEXT) | instid1(VALU_DEP_1)
	v_div_fmas_f32 v49, v49, v55, v56
	v_div_fixup_f32 v49, v49, v46, v47
	s_delay_alu instid0(VALU_DEP_1) | instskip(NEXT) | instid1(VALU_DEP_1)
	v_fmac_f32_e32 v46, v47, v49
	v_div_scale_f32 v47, null, v46, v46, 1.0
	s_delay_alu instid0(VALU_DEP_1) | instskip(SKIP_1) | instid1(TRANS32_DEP_1)
	v_rcp_f32_e32 v55, v47
	v_nop
	v_fma_f32 v56, -v47, v55, 1.0
	s_delay_alu instid0(VALU_DEP_1) | instskip(SKIP_1) | instid1(VALU_DEP_1)
	v_fmac_f32_e32 v55, v56, v55
	v_div_scale_f32 v56, vcc_lo, 1.0, v46, 1.0
	v_mul_f32_e32 v57, v56, v55
	s_delay_alu instid0(VALU_DEP_1) | instskip(NEXT) | instid1(VALU_DEP_1)
	v_fma_f32 v58, -v47, v57, v56
	v_fmac_f32_e32 v57, v58, v55
	s_delay_alu instid0(VALU_DEP_1) | instskip(NEXT) | instid1(VALU_DEP_1)
	v_fma_f32 v47, -v47, v57, v56
	v_div_fmas_f32 v47, v47, v55, v57
	s_delay_alu instid0(VALU_DEP_1) | instskip(NEXT) | instid1(VALU_DEP_1)
	v_div_fixup_f32 v46, v47, v46, 1.0
	v_mul_f32_e64 v47, v49, -v46
.LBB38_366:
	s_or_b32 exec_lo, exec_lo, s1
.LBB38_367:
	s_delay_alu instid0(SALU_CYCLE_1) | instskip(NEXT) | instid1(SALU_CYCLE_1)
	s_or_b32 exec_lo, exec_lo, s0
	s_mov_b32 s0, exec_lo
	v_cmpx_ne_u32_e64 v54, v48
	s_xor_b32 s0, exec_lo, s0
	s_cbranch_execz .LBB38_373
; %bb.368:
	s_mov_b32 s1, exec_lo
	v_cmpx_eq_u32_e32 17, v54
	s_cbranch_execz .LBB38_372
; %bb.369:
	v_cmp_ne_u32_e32 vcc_lo, 17, v48
	s_xor_b32 s15, s12, -1
	s_delay_alu instid0(SALU_CYCLE_1) | instskip(NEXT) | instid1(SALU_CYCLE_1)
	s_and_b32 s16, s15, vcc_lo
	s_and_saveexec_b32 s15, s16
	s_cbranch_execz .LBB38_371
; %bb.370:
	v_ashrrev_i32_e32 v49, 31, v48
	s_delay_alu instid0(VALU_DEP_1)
	v_lshl_add_u64 v[54:55], v[48:49], 2, v[36:37]
	s_clause 0x1
	global_load_b32 v49, v[54:55], off
	global_load_b32 v52, v[36:37], off offset:68
	s_wait_loadcnt 0x1
	global_store_b32 v[36:37], v49, off offset:68
	s_wait_loadcnt 0x0
	global_store_b32 v[54:55], v52, off
.LBB38_371:
	s_wait_xcnt 0x0
	s_or_b32 exec_lo, exec_lo, s15
	v_dual_mov_b32 v54, v48 :: v_dual_mov_b32 v52, v48
.LBB38_372:
	s_or_b32 exec_lo, exec_lo, s1
.LBB38_373:
	s_and_not1_saveexec_b32 s0, s0
; %bb.374:
	v_dual_mov_b32 v48, v16 :: v_dual_mov_b32 v49, v17
	v_mov_b32_e32 v54, 17
	ds_store_2addr_b64 v50, v[48:49], v[44:45] offset0:18 offset1:19
; %bb.375:
	s_or_b32 exec_lo, exec_lo, s0
	s_delay_alu instid0(SALU_CYCLE_1)
	s_mov_b32 s0, exec_lo
	s_wait_storecnt_dscnt 0x0
	s_barrier_signal -1
	s_barrier_wait -1
	v_cmpx_lt_i32_e32 17, v54
	s_cbranch_execz .LBB38_377
; %bb.376:
	ds_load_2addr_b64 v[56:59], v50 offset0:18 offset1:19
	v_pk_mul_f32 v[48:49], v[46:47], v[18:19] op_sel:[1,1] op_sel_hi:[0,1]
	s_delay_alu instid0(VALU_DEP_1) | instskip(SKIP_3) | instid1(VALU_DEP_3)
	v_pk_fma_f32 v[60:61], v[46:47], v[18:19], v[48:49] op_sel_hi:[1,0,1]
	v_pk_fma_f32 v[18:19], v[46:47], v[18:19], v[48:49] op_sel_hi:[1,0,1] neg_lo:[0,0,1] neg_hi:[0,0,1]
	s_wait_dscnt 0x0
	v_dual_mov_b32 v62, v59 :: v_dual_mov_b32 v63, v58
	v_pk_mul_f32 v[46:47], v[56:57], v[60:61] op_sel:[0,1]
	s_delay_alu instid0(VALU_DEP_2) | instskip(NEXT) | instid1(VALU_DEP_2)
	v_pk_mul_f32 v[48:49], v[62:63], v[60:61] op_sel:[0,1]
	v_pk_fma_f32 v[62:63], v[56:57], v[18:19], v[46:47] op_sel:[0,0,1] op_sel_hi:[1,0,0]
	v_pk_fma_f32 v[46:47], v[56:57], v[18:19], v[46:47] op_sel:[0,0,1] op_sel_hi:[1,1,0] neg_lo:[0,0,1] neg_hi:[0,0,1]
	s_delay_alu instid0(VALU_DEP_3) | instskip(SKIP_1) | instid1(VALU_DEP_4)
	v_pk_fma_f32 v[64:65], v[58:59], v[18:19], v[48:49] op_sel_hi:[1,0,1]
	v_pk_fma_f32 v[48:49], v[58:59], v[18:19], v[48:49] neg_lo:[0,0,1] neg_hi:[0,0,1]
	v_dual_mov_b32 v47, v63 :: v_dual_mov_b32 v19, v61
	s_delay_alu instid0(VALU_DEP_3) | instskip(NEXT) | instid1(VALU_DEP_2)
	v_mov_b32_e32 v49, v65
	v_pk_add_f32 v[16:17], v[16:17], v[46:47] neg_lo:[0,1] neg_hi:[0,1]
	s_delay_alu instid0(VALU_DEP_2)
	v_pk_add_f32 v[44:45], v[44:45], v[48:49] neg_lo:[0,1] neg_hi:[0,1]
.LBB38_377:
	s_or_b32 exec_lo, exec_lo, s0
	v_lshl_add_u32 v46, v54, 3, v50
	s_barrier_signal -1
	s_barrier_wait -1
	ds_store_b64 v46, v[16:17]
	s_wait_dscnt 0x0
	s_barrier_signal -1
	s_barrier_wait -1
	ds_load_b64 v[46:47], v50 offset:144
	v_mov_b32_e32 v48, 18
	s_cmp_lt_i32 s14, 20
	s_cbranch_scc1 .LBB38_380
; %bb.378:
	v_add3_u32 v49, v51, 0, 0x98
	v_mov_b32_e32 v48, 18
	s_mov_b32 s0, 19
.LBB38_379:                             ; =>This Inner Loop Header: Depth=1
	ds_load_b64 v[56:57], v49
	s_wait_dscnt 0x1
	v_cmp_gt_f32_e32 vcc_lo, 0, v46
	v_cndmask_b32_e64 v58, v46, -v46, vcc_lo
	v_cmp_gt_f32_e32 vcc_lo, 0, v47
	v_cndmask_b32_e64 v60, v47, -v47, vcc_lo
	s_wait_dscnt 0x0
	v_cmp_gt_f32_e32 vcc_lo, 0, v56
	v_cndmask_b32_e64 v59, v56, -v56, vcc_lo
	v_cmp_gt_f32_e32 vcc_lo, 0, v57
	v_cndmask_b32_e64 v61, v57, -v57, vcc_lo
	s_delay_alu instid0(VALU_DEP_1) | instskip(NEXT) | instid1(VALU_DEP_1)
	v_pk_add_f32 v[58:59], v[58:59], v[60:61]
	v_cmp_lt_f32_e32 vcc_lo, v58, v59
	v_dual_cndmask_b32 v46, v46, v56 :: v_dual_add_nc_u32 v49, 8, v49
	v_cndmask_b32_e32 v47, v47, v57, vcc_lo
	v_cndmask_b32_e64 v48, v48, s0, vcc_lo
	s_add_co_i32 s0, s0, 1
	s_delay_alu instid0(SALU_CYCLE_1)
	s_cmp_lg_u32 s14, s0
	s_cbranch_scc1 .LBB38_379
.LBB38_380:
	s_wait_dscnt 0x0
	v_cmp_eq_f32_e32 vcc_lo, 0, v46
	v_cmp_eq_f32_e64 s0, 0, v47
	s_and_b32 s0, vcc_lo, s0
	s_delay_alu instid0(SALU_CYCLE_1) | instskip(NEXT) | instid1(SALU_CYCLE_1)
	s_and_saveexec_b32 s1, s0
	s_xor_b32 s0, exec_lo, s1
; %bb.381:
	v_cmp_ne_u32_e32 vcc_lo, 0, v53
	v_cndmask_b32_e32 v53, 19, v53, vcc_lo
; %bb.382:
	s_and_not1_saveexec_b32 s0, s0
	s_cbranch_execz .LBB38_388
; %bb.383:
	v_cmp_ngt_f32_e64 s1, |v46|, |v47|
	s_and_saveexec_b32 s15, s1
	s_delay_alu instid0(SALU_CYCLE_1)
	s_xor_b32 s1, exec_lo, s15
	s_cbranch_execz .LBB38_385
; %bb.384:
	v_div_scale_f32 v49, null, v47, v47, v46
	v_div_scale_f32 v57, vcc_lo, v46, v47, v46
	s_delay_alu instid0(VALU_DEP_2) | instskip(SKIP_1) | instid1(TRANS32_DEP_1)
	v_rcp_f32_e32 v55, v49
	v_nop
	v_fma_f32 v56, -v49, v55, 1.0
	s_delay_alu instid0(VALU_DEP_1) | instskip(NEXT) | instid1(VALU_DEP_1)
	v_fmac_f32_e32 v55, v56, v55
	v_mul_f32_e32 v56, v57, v55
	s_delay_alu instid0(VALU_DEP_1) | instskip(NEXT) | instid1(VALU_DEP_1)
	v_fma_f32 v58, -v49, v56, v57
	v_fmac_f32_e32 v56, v58, v55
	s_delay_alu instid0(VALU_DEP_1) | instskip(NEXT) | instid1(VALU_DEP_1)
	v_fma_f32 v49, -v49, v56, v57
	v_div_fmas_f32 v49, v49, v55, v56
	s_delay_alu instid0(VALU_DEP_1) | instskip(NEXT) | instid1(VALU_DEP_1)
	v_div_fixup_f32 v49, v49, v47, v46
	v_fmac_f32_e32 v47, v46, v49
	s_delay_alu instid0(VALU_DEP_1) | instskip(SKIP_1) | instid1(VALU_DEP_2)
	v_div_scale_f32 v46, null, v47, v47, 1.0
	v_div_scale_f32 v57, vcc_lo, 1.0, v47, 1.0
	v_rcp_f32_e32 v55, v46
	v_nop
	s_delay_alu instid0(TRANS32_DEP_1) | instskip(NEXT) | instid1(VALU_DEP_1)
	v_fma_f32 v56, -v46, v55, 1.0
	v_fmac_f32_e32 v55, v56, v55
	s_delay_alu instid0(VALU_DEP_1) | instskip(NEXT) | instid1(VALU_DEP_1)
	v_mul_f32_e32 v56, v57, v55
	v_fma_f32 v58, -v46, v56, v57
	s_delay_alu instid0(VALU_DEP_1) | instskip(NEXT) | instid1(VALU_DEP_1)
	v_fmac_f32_e32 v56, v58, v55
	v_fma_f32 v46, -v46, v56, v57
	s_delay_alu instid0(VALU_DEP_1) | instskip(NEXT) | instid1(VALU_DEP_1)
	v_div_fmas_f32 v46, v46, v55, v56
	v_div_fixup_f32 v47, v46, v47, 1.0
	s_delay_alu instid0(VALU_DEP_1)
	v_mul_f32_e32 v46, v49, v47
	v_xor_b32_e32 v47, 0x80000000, v47
.LBB38_385:
	s_and_not1_saveexec_b32 s1, s1
	s_cbranch_execz .LBB38_387
; %bb.386:
	s_delay_alu instid0(VALU_DEP_1) | instskip(SKIP_1) | instid1(VALU_DEP_2)
	v_div_scale_f32 v49, null, v46, v46, v47
	v_div_scale_f32 v57, vcc_lo, v47, v46, v47
	v_rcp_f32_e32 v55, v49
	v_nop
	s_delay_alu instid0(TRANS32_DEP_1) | instskip(NEXT) | instid1(VALU_DEP_1)
	v_fma_f32 v56, -v49, v55, 1.0
	v_fmac_f32_e32 v55, v56, v55
	s_delay_alu instid0(VALU_DEP_1) | instskip(NEXT) | instid1(VALU_DEP_1)
	v_mul_f32_e32 v56, v57, v55
	v_fma_f32 v58, -v49, v56, v57
	s_delay_alu instid0(VALU_DEP_1) | instskip(NEXT) | instid1(VALU_DEP_1)
	v_fmac_f32_e32 v56, v58, v55
	v_fma_f32 v49, -v49, v56, v57
	s_delay_alu instid0(VALU_DEP_1) | instskip(NEXT) | instid1(VALU_DEP_1)
	v_div_fmas_f32 v49, v49, v55, v56
	v_div_fixup_f32 v49, v49, v46, v47
	s_delay_alu instid0(VALU_DEP_1) | instskip(NEXT) | instid1(VALU_DEP_1)
	v_fmac_f32_e32 v46, v47, v49
	v_div_scale_f32 v47, null, v46, v46, 1.0
	s_delay_alu instid0(VALU_DEP_1) | instskip(SKIP_1) | instid1(TRANS32_DEP_1)
	v_rcp_f32_e32 v55, v47
	v_nop
	v_fma_f32 v56, -v47, v55, 1.0
	s_delay_alu instid0(VALU_DEP_1) | instskip(SKIP_1) | instid1(VALU_DEP_1)
	v_fmac_f32_e32 v55, v56, v55
	v_div_scale_f32 v56, vcc_lo, 1.0, v46, 1.0
	v_mul_f32_e32 v57, v56, v55
	s_delay_alu instid0(VALU_DEP_1) | instskip(NEXT) | instid1(VALU_DEP_1)
	v_fma_f32 v58, -v47, v57, v56
	v_fmac_f32_e32 v57, v58, v55
	s_delay_alu instid0(VALU_DEP_1) | instskip(NEXT) | instid1(VALU_DEP_1)
	v_fma_f32 v47, -v47, v57, v56
	v_div_fmas_f32 v47, v47, v55, v57
	s_delay_alu instid0(VALU_DEP_1) | instskip(NEXT) | instid1(VALU_DEP_1)
	v_div_fixup_f32 v46, v47, v46, 1.0
	v_mul_f32_e64 v47, v49, -v46
.LBB38_387:
	s_or_b32 exec_lo, exec_lo, s1
.LBB38_388:
	s_delay_alu instid0(SALU_CYCLE_1) | instskip(NEXT) | instid1(SALU_CYCLE_1)
	s_or_b32 exec_lo, exec_lo, s0
	s_mov_b32 s0, exec_lo
	v_cmpx_ne_u32_e64 v54, v48
	s_xor_b32 s0, exec_lo, s0
	s_cbranch_execz .LBB38_394
; %bb.389:
	s_mov_b32 s1, exec_lo
	v_cmpx_eq_u32_e32 18, v54
	s_cbranch_execz .LBB38_393
; %bb.390:
	v_cmp_ne_u32_e32 vcc_lo, 18, v48
	s_xor_b32 s15, s12, -1
	s_delay_alu instid0(SALU_CYCLE_1) | instskip(NEXT) | instid1(SALU_CYCLE_1)
	s_and_b32 s16, s15, vcc_lo
	s_and_saveexec_b32 s15, s16
	s_cbranch_execz .LBB38_392
; %bb.391:
	v_ashrrev_i32_e32 v49, 31, v48
	s_delay_alu instid0(VALU_DEP_1)
	v_lshl_add_u64 v[54:55], v[48:49], 2, v[36:37]
	s_clause 0x1
	global_load_b32 v49, v[54:55], off
	global_load_b32 v52, v[36:37], off offset:72
	s_wait_loadcnt 0x1
	global_store_b32 v[36:37], v49, off offset:72
	s_wait_loadcnt 0x0
	global_store_b32 v[54:55], v52, off
.LBB38_392:
	s_wait_xcnt 0x0
	s_or_b32 exec_lo, exec_lo, s15
	v_dual_mov_b32 v54, v48 :: v_dual_mov_b32 v52, v48
.LBB38_393:
	s_or_b32 exec_lo, exec_lo, s1
.LBB38_394:
	s_and_not1_saveexec_b32 s0, s0
; %bb.395:
	v_mov_b32_e32 v54, 18
	ds_store_b64 v50, v[44:45] offset:152
; %bb.396:
	s_or_b32 exec_lo, exec_lo, s0
	s_delay_alu instid0(SALU_CYCLE_1)
	s_mov_b32 s0, exec_lo
	s_wait_storecnt_dscnt 0x0
	s_barrier_signal -1
	s_barrier_wait -1
	v_cmpx_lt_i32_e32 18, v54
	s_cbranch_execz .LBB38_398
; %bb.397:
	ds_load_b64 v[48:49], v50 offset:152
	v_pk_mul_f32 v[56:57], v[46:47], v[16:17] op_sel:[1,1] op_sel_hi:[0,1]
	s_delay_alu instid0(VALU_DEP_1) | instskip(SKIP_2) | instid1(VALU_DEP_2)
	v_pk_fma_f32 v[58:59], v[46:47], v[16:17], v[56:57] op_sel_hi:[1,0,1]
	v_pk_fma_f32 v[16:17], v[46:47], v[16:17], v[56:57] op_sel_hi:[1,0,1] neg_lo:[0,0,1] neg_hi:[0,0,1]
	s_wait_dscnt 0x0
	v_pk_mul_f32 v[46:47], v[48:49], v[58:59] op_sel:[1,1] op_sel_hi:[0,1]
	s_delay_alu instid0(VALU_DEP_1) | instskip(SKIP_1) | instid1(VALU_DEP_2)
	v_pk_fma_f32 v[56:57], v[48:49], v[16:17], v[46:47] op_sel_hi:[1,0,1]
	v_pk_fma_f32 v[46:47], v[48:49], v[16:17], v[46:47] neg_lo:[0,0,1] neg_hi:[0,0,1]
	v_dual_mov_b32 v17, v59 :: v_dual_mov_b32 v47, v57
	s_delay_alu instid0(VALU_DEP_1)
	v_pk_add_f32 v[44:45], v[44:45], v[46:47] neg_lo:[0,1] neg_hi:[0,1]
.LBB38_398:
	s_or_b32 exec_lo, exec_lo, s0
	v_lshl_add_u32 v46, v54, 3, v50
	s_barrier_signal -1
	s_barrier_wait -1
	ds_store_b64 v46, v[44:45]
	s_wait_dscnt 0x0
	s_barrier_signal -1
	s_barrier_wait -1
	ds_load_b64 v[46:47], v50 offset:152
	v_mov_b32_e32 v48, 19
	s_cmp_lt_i32 s14, 21
	s_cbranch_scc1 .LBB38_401
; %bb.399:
	v_add3_u32 v49, v51, 0, 0xa0
	v_mov_b32_e32 v48, 19
	s_mov_b32 s0, 20
.LBB38_400:                             ; =>This Inner Loop Header: Depth=1
	ds_load_b64 v[50:51], v49
	s_wait_dscnt 0x1
	v_cmp_gt_f32_e32 vcc_lo, 0, v46
	v_cndmask_b32_e64 v56, v46, -v46, vcc_lo
	v_cmp_gt_f32_e32 vcc_lo, 0, v47
	v_cndmask_b32_e64 v58, v47, -v47, vcc_lo
	s_wait_dscnt 0x0
	v_cmp_gt_f32_e32 vcc_lo, 0, v50
	v_cndmask_b32_e64 v57, v50, -v50, vcc_lo
	v_cmp_gt_f32_e32 vcc_lo, 0, v51
	v_cndmask_b32_e64 v59, v51, -v51, vcc_lo
	s_delay_alu instid0(VALU_DEP_1) | instskip(NEXT) | instid1(VALU_DEP_1)
	v_pk_add_f32 v[56:57], v[56:57], v[58:59]
	v_cmp_lt_f32_e32 vcc_lo, v56, v57
	v_dual_add_nc_u32 v49, 8, v49 :: v_dual_cndmask_b32 v47, v47, v51, vcc_lo
	v_cndmask_b32_e32 v46, v46, v50, vcc_lo
	v_cndmask_b32_e64 v48, v48, s0, vcc_lo
	s_add_co_i32 s0, s0, 1
	s_delay_alu instid0(SALU_CYCLE_1)
	s_cmp_lg_u32 s14, s0
	s_cbranch_scc1 .LBB38_400
.LBB38_401:
	s_wait_dscnt 0x0
	v_cmp_eq_f32_e32 vcc_lo, 0, v46
	v_cmp_eq_f32_e64 s0, 0, v47
	s_and_b32 s0, vcc_lo, s0
	s_delay_alu instid0(SALU_CYCLE_1) | instskip(NEXT) | instid1(SALU_CYCLE_1)
	s_and_saveexec_b32 s1, s0
	s_xor_b32 s0, exec_lo, s1
; %bb.402:
	v_cmp_ne_u32_e32 vcc_lo, 0, v53
	v_cndmask_b32_e32 v53, 20, v53, vcc_lo
; %bb.403:
	s_and_not1_saveexec_b32 s0, s0
	s_cbranch_execz .LBB38_409
; %bb.404:
	v_cmp_ngt_f32_e64 s1, |v46|, |v47|
	s_and_saveexec_b32 s14, s1
	s_delay_alu instid0(SALU_CYCLE_1)
	s_xor_b32 s1, exec_lo, s14
	s_cbranch_execz .LBB38_406
; %bb.405:
	v_div_scale_f32 v49, null, v47, v47, v46
	v_div_scale_f32 v55, vcc_lo, v46, v47, v46
	s_delay_alu instid0(VALU_DEP_2) | instskip(SKIP_1) | instid1(TRANS32_DEP_1)
	v_rcp_f32_e32 v50, v49
	v_nop
	v_fma_f32 v51, -v49, v50, 1.0
	s_delay_alu instid0(VALU_DEP_1) | instskip(NEXT) | instid1(VALU_DEP_1)
	v_fmac_f32_e32 v50, v51, v50
	v_mul_f32_e32 v51, v55, v50
	s_delay_alu instid0(VALU_DEP_1) | instskip(NEXT) | instid1(VALU_DEP_1)
	v_fma_f32 v56, -v49, v51, v55
	v_fmac_f32_e32 v51, v56, v50
	s_delay_alu instid0(VALU_DEP_1) | instskip(NEXT) | instid1(VALU_DEP_1)
	v_fma_f32 v49, -v49, v51, v55
	v_div_fmas_f32 v49, v49, v50, v51
	s_delay_alu instid0(VALU_DEP_1) | instskip(NEXT) | instid1(VALU_DEP_1)
	v_div_fixup_f32 v49, v49, v47, v46
	v_fmac_f32_e32 v47, v46, v49
	s_delay_alu instid0(VALU_DEP_1) | instskip(SKIP_1) | instid1(VALU_DEP_2)
	v_div_scale_f32 v46, null, v47, v47, 1.0
	v_div_scale_f32 v55, vcc_lo, 1.0, v47, 1.0
	v_rcp_f32_e32 v50, v46
	v_nop
	s_delay_alu instid0(TRANS32_DEP_1) | instskip(NEXT) | instid1(VALU_DEP_1)
	v_fma_f32 v51, -v46, v50, 1.0
	v_fmac_f32_e32 v50, v51, v50
	s_delay_alu instid0(VALU_DEP_1) | instskip(NEXT) | instid1(VALU_DEP_1)
	v_mul_f32_e32 v51, v55, v50
	v_fma_f32 v56, -v46, v51, v55
	s_delay_alu instid0(VALU_DEP_1) | instskip(NEXT) | instid1(VALU_DEP_1)
	v_fmac_f32_e32 v51, v56, v50
	v_fma_f32 v46, -v46, v51, v55
	s_delay_alu instid0(VALU_DEP_1) | instskip(NEXT) | instid1(VALU_DEP_1)
	v_div_fmas_f32 v46, v46, v50, v51
	v_div_fixup_f32 v47, v46, v47, 1.0
	s_delay_alu instid0(VALU_DEP_1)
	v_mul_f32_e32 v46, v49, v47
	v_xor_b32_e32 v47, 0x80000000, v47
.LBB38_406:
	s_and_not1_saveexec_b32 s1, s1
	s_cbranch_execz .LBB38_408
; %bb.407:
	s_delay_alu instid0(VALU_DEP_1) | instskip(SKIP_1) | instid1(VALU_DEP_2)
	v_div_scale_f32 v49, null, v46, v46, v47
	v_div_scale_f32 v55, vcc_lo, v47, v46, v47
	v_rcp_f32_e32 v50, v49
	v_nop
	s_delay_alu instid0(TRANS32_DEP_1) | instskip(NEXT) | instid1(VALU_DEP_1)
	v_fma_f32 v51, -v49, v50, 1.0
	v_fmac_f32_e32 v50, v51, v50
	s_delay_alu instid0(VALU_DEP_1) | instskip(NEXT) | instid1(VALU_DEP_1)
	v_mul_f32_e32 v51, v55, v50
	v_fma_f32 v56, -v49, v51, v55
	s_delay_alu instid0(VALU_DEP_1) | instskip(NEXT) | instid1(VALU_DEP_1)
	v_fmac_f32_e32 v51, v56, v50
	v_fma_f32 v49, -v49, v51, v55
	s_delay_alu instid0(VALU_DEP_1) | instskip(NEXT) | instid1(VALU_DEP_1)
	v_div_fmas_f32 v49, v49, v50, v51
	v_div_fixup_f32 v49, v49, v46, v47
	s_delay_alu instid0(VALU_DEP_1) | instskip(NEXT) | instid1(VALU_DEP_1)
	v_fmac_f32_e32 v46, v47, v49
	v_div_scale_f32 v47, null, v46, v46, 1.0
	s_delay_alu instid0(VALU_DEP_1) | instskip(SKIP_1) | instid1(TRANS32_DEP_1)
	v_rcp_f32_e32 v50, v47
	v_nop
	v_fma_f32 v51, -v47, v50, 1.0
	s_delay_alu instid0(VALU_DEP_1) | instskip(SKIP_1) | instid1(VALU_DEP_1)
	v_fmac_f32_e32 v50, v51, v50
	v_div_scale_f32 v51, vcc_lo, 1.0, v46, 1.0
	v_mul_f32_e32 v55, v51, v50
	s_delay_alu instid0(VALU_DEP_1) | instskip(NEXT) | instid1(VALU_DEP_1)
	v_fma_f32 v56, -v47, v55, v51
	v_fmac_f32_e32 v55, v56, v50
	s_delay_alu instid0(VALU_DEP_1) | instskip(NEXT) | instid1(VALU_DEP_1)
	v_fma_f32 v47, -v47, v55, v51
	v_div_fmas_f32 v47, v47, v50, v55
	s_delay_alu instid0(VALU_DEP_1) | instskip(NEXT) | instid1(VALU_DEP_1)
	v_div_fixup_f32 v46, v47, v46, 1.0
	v_mul_f32_e64 v47, v49, -v46
.LBB38_408:
	s_or_b32 exec_lo, exec_lo, s1
.LBB38_409:
	s_delay_alu instid0(SALU_CYCLE_1)
	s_or_b32 exec_lo, exec_lo, s0
	v_mov_b32_e32 v50, 19
	s_mov_b32 s0, exec_lo
	v_cmpx_ne_u32_e64 v54, v48
	s_cbranch_execz .LBB38_415
; %bb.410:
	s_mov_b32 s1, exec_lo
	v_cmpx_eq_u32_e32 19, v54
	s_cbranch_execz .LBB38_414
; %bb.411:
	v_cmp_ne_u32_e32 vcc_lo, 19, v48
	s_xor_b32 s12, s12, -1
	s_delay_alu instid0(SALU_CYCLE_1) | instskip(NEXT) | instid1(SALU_CYCLE_1)
	s_and_b32 s14, s12, vcc_lo
	s_and_saveexec_b32 s12, s14
	s_cbranch_execz .LBB38_413
; %bb.412:
	v_ashrrev_i32_e32 v49, 31, v48
	s_delay_alu instid0(VALU_DEP_1)
	v_lshl_add_u64 v[50:51], v[48:49], 2, v[36:37]
	s_clause 0x1
	global_load_b32 v49, v[50:51], off
	global_load_b32 v52, v[36:37], off offset:76
	s_wait_loadcnt 0x1
	global_store_b32 v[36:37], v49, off offset:76
	s_wait_loadcnt 0x0
	global_store_b32 v[50:51], v52, off
.LBB38_413:
	s_wait_xcnt 0x0
	s_or_b32 exec_lo, exec_lo, s12
	v_dual_mov_b32 v54, v48 :: v_dual_mov_b32 v52, v48
.LBB38_414:
	s_or_b32 exec_lo, exec_lo, s1
	s_delay_alu instid0(VALU_DEP_1)
	v_mov_b32_e32 v50, v54
.LBB38_415:
	s_or_b32 exec_lo, exec_lo, s0
	s_delay_alu instid0(VALU_DEP_1)
	v_ashrrev_i32_e32 v51, 31, v50
	s_mov_b32 s0, exec_lo
	s_wait_storecnt 0x0
	s_barrier_signal -1
	s_barrier_wait -1
	s_barrier_signal -1
	s_barrier_wait -1
	v_cmpx_gt_i32_e32 20, v50
	s_cbranch_execz .LBB38_417
; %bb.416:
	v_mul_u64_e32 v[36:37], s[10:11], v[2:3]
	v_add3_u32 v48, v52, s13, 1
	s_delay_alu instid0(VALU_DEP_2) | instskip(NEXT) | instid1(VALU_DEP_1)
	v_lshl_add_u64 v[36:37], v[36:37], 2, s[6:7]
	v_lshl_add_u64 v[36:37], s[8:9], 2, v[36:37]
	s_delay_alu instid0(VALU_DEP_1)
	v_lshl_add_u64 v[36:37], v[50:51], 2, v[36:37]
	global_store_b32 v[36:37], v48, off
.LBB38_417:
	s_wait_xcnt 0x0
	s_or_b32 exec_lo, exec_lo, s0
	s_delay_alu instid0(SALU_CYCLE_1)
	s_mov_b32 s1, exec_lo
	v_cmpx_eq_u32_e32 0, v50
	s_cbranch_execz .LBB38_420
; %bb.418:
	s_wait_kmcnt 0x0
	v_lshl_add_u64 v[2:3], v[2:3], 2, s[4:5]
	v_cmp_ne_u32_e64 s0, 0, v53
	global_load_b32 v36, v[2:3], off
	s_wait_loadcnt 0x0
	v_cmp_eq_u32_e32 vcc_lo, 0, v36
	s_and_b32 s0, vcc_lo, s0
	s_wait_xcnt 0x0
	s_and_b32 exec_lo, exec_lo, s0
	s_cbranch_execz .LBB38_420
; %bb.419:
	v_add_nc_u32_e32 v36, s13, v53
	global_store_b32 v[2:3], v36, off
.LBB38_420:
	s_wait_xcnt 0x0
	s_or_b32 exec_lo, exec_lo, s1
	v_add3_u32 v2, s2, s2, v50
	v_pk_mul_f32 v[56:57], v[46:47], v[44:45] op_sel:[1,1] op_sel_hi:[0,1]
	v_cmp_lt_i32_e32 vcc_lo, 19, v50
	s_delay_alu instid0(VALU_DEP_3) | instskip(NEXT) | instid1(VALU_DEP_3)
	v_add_nc_u32_e32 v36, s2, v2
	v_pk_fma_f32 v[60:61], v[46:47], v[44:45], v[56:57] neg_lo:[0,0,1] neg_hi:[0,0,1]
	v_pk_fma_f32 v[46:47], v[46:47], v[44:45], v[56:57] op_sel_hi:[1,0,1]
	v_lshl_add_u64 v[56:57], v[50:51], 3, v[0:1]
	s_delay_alu instid0(VALU_DEP_4) | instskip(NEXT) | instid1(VALU_DEP_3)
	v_dual_ashrrev_i32 v3, 31, v2 :: v_dual_add_nc_u32 v48, s2, v36
	v_dual_cndmask_b32 v44, v44, v60 :: v_dual_cndmask_b32 v45, v45, v47
	s_delay_alu instid0(VALU_DEP_3) | instskip(NEXT) | instid1(VALU_DEP_3)
	v_lshl_add_u64 v[50:51], s[2:3], 3, v[56:57]
	v_lshl_add_u64 v[2:3], v[2:3], 3, v[0:1]
	s_delay_alu instid0(VALU_DEP_4)
	v_add_nc_u32_e32 v52, s2, v48
	s_clause 0x2
	global_store_b64 v[56:57], v[42:43], off
	global_store_b64 v[50:51], v[38:39], off
	;; [unrolled: 1-line block ×3, first 2 shown]
	v_ashrrev_i32_e32 v37, 31, v36
	v_add_nc_u32_e32 v54, s2, v52
	s_delay_alu instid0(VALU_DEP_2) | instskip(NEXT) | instid1(VALU_DEP_2)
	v_lshl_add_u64 v[36:37], v[36:37], 3, v[0:1]
	v_dual_add_nc_u32 v58, s2, v54 :: v_dual_ashrrev_i32 v49, 31, v48
	v_ashrrev_i32_e32 v55, 31, v54
	s_delay_alu instid0(VALU_DEP_2) | instskip(SKIP_1) | instid1(VALU_DEP_3)
	v_add_nc_u32_e32 v46, s2, v58
	s_wait_xcnt 0x0
	v_lshl_add_u64 v[40:41], v[48:49], 3, v[0:1]
	s_delay_alu instid0(VALU_DEP_3) | instskip(NEXT) | instid1(VALU_DEP_3)
	v_lshl_add_u64 v[48:49], v[54:55], 3, v[0:1]
	v_dual_add_nc_u32 v62, s2, v46 :: v_dual_ashrrev_i32 v47, 31, v46
	s_delay_alu instid0(VALU_DEP_1) | instskip(NEXT) | instid1(VALU_DEP_1)
	v_dual_add_nc_u32 v2, s2, v62 :: v_dual_ashrrev_i32 v53, 31, v52
	v_add_nc_u32_e32 v38, s2, v2
	s_delay_alu instid0(VALU_DEP_2)
	v_lshl_add_u64 v[42:43], v[52:53], 3, v[0:1]
	v_ashrrev_i32_e32 v3, 31, v2
	s_clause 0x3
	global_store_b64 v[36:37], v[28:29], off
	global_store_b64 v[40:41], v[14:15], off
	;; [unrolled: 1-line block ×4, first 2 shown]
	v_add_nc_u32_e32 v50, s2, v38
	s_wait_xcnt 0x3
	v_lshl_add_u64 v[28:29], v[46:47], 3, v[0:1]
	v_lshl_add_u64 v[2:3], v[2:3], 3, v[0:1]
	s_wait_xcnt 0x1
	v_add_nc_u32_e32 v10, s2, v50
	s_wait_xcnt 0x0
	s_delay_alu instid0(VALU_DEP_1) | instskip(NEXT) | instid1(VALU_DEP_1)
	v_add_nc_u32_e32 v12, s2, v10
	v_dual_ashrrev_i32 v59, 31, v58 :: v_dual_ashrrev_i32 v13, 31, v12
	v_dual_add_nc_u32 v40, s2, v12 :: v_dual_ashrrev_i32 v63, 31, v62
	s_delay_alu instid0(VALU_DEP_2) | instskip(NEXT) | instid1(VALU_DEP_2)
	v_lshl_add_u64 v[14:15], v[58:59], 3, v[0:1]
	v_dual_ashrrev_i32 v51, 31, v50 :: v_dual_ashrrev_i32 v41, 31, v40
	s_delay_alu instid0(VALU_DEP_3)
	v_lshl_add_u64 v[36:37], v[62:63], 3, v[0:1]
	s_clause 0x3
	global_store_b64 v[14:15], v[4:5], off
	global_store_b64 v[28:29], v[34:35], off
	;; [unrolled: 1-line block ×4, first 2 shown]
	s_wait_xcnt 0x0
	v_dual_add_nc_u32 v2, s2, v40 :: v_dual_ashrrev_i32 v11, 31, v10
	v_lshl_add_u64 v[28:29], v[50:51], 3, v[0:1]
	v_lshl_add_u64 v[12:13], v[12:13], 3, v[0:1]
	s_delay_alu instid0(VALU_DEP_3) | instskip(SKIP_2) | instid1(VALU_DEP_3)
	v_add_nc_u32_e32 v4, s2, v2
	v_ashrrev_i32_e32 v39, 31, v38
	v_lshl_add_u64 v[10:11], v[10:11], 3, v[0:1]
	v_dual_ashrrev_i32 v3, 31, v2 :: v_dual_add_nc_u32 v30, s2, v4
	v_ashrrev_i32_e32 v5, 31, v4
	s_delay_alu instid0(VALU_DEP_4)
	v_lshl_add_u64 v[14:15], v[38:39], 3, v[0:1]
	s_clause 0x3
	global_store_b64 v[14:15], v[8:9], off
	global_store_b64 v[28:29], v[26:27], off
	;; [unrolled: 1-line block ×4, first 2 shown]
	s_wait_xcnt 0x3
	v_dual_add_nc_u32 v8, s2, v30 :: v_dual_ashrrev_i32 v31, 31, v30
	s_wait_xcnt 0x1
	v_lshl_add_u64 v[10:11], v[40:41], 3, v[0:1]
	v_lshl_add_u64 v[2:3], v[2:3], 3, v[0:1]
	;; [unrolled: 1-line block ×3, first 2 shown]
	v_ashrrev_i32_e32 v9, 31, v8
	s_wait_xcnt 0x0
	v_lshl_add_u64 v[12:13], v[30:31], 3, v[0:1]
	s_delay_alu instid0(VALU_DEP_2)
	v_lshl_add_u64 v[0:1], v[8:9], 3, v[0:1]
	s_clause 0x4
	global_store_b64 v[10:11], v[6:7], off
	global_store_b64 v[2:3], v[20:21], off
	;; [unrolled: 1-line block ×5, first 2 shown]
.LBB38_421:
	s_sendmsg sendmsg(MSG_DEALLOC_VGPRS)
	s_endpgm
	.section	.rodata,"a",@progbits
	.p2align	6, 0x0
	.amdhsa_kernel _ZN9rocsolver6v33100L18getf2_small_kernelILi20E19rocblas_complex_numIfEiiPS3_EEvT1_T3_lS5_lPS5_llPT2_S5_S5_S7_l
		.amdhsa_group_segment_fixed_size 0
		.amdhsa_private_segment_fixed_size 0
		.amdhsa_kernarg_size 352
		.amdhsa_user_sgpr_count 2
		.amdhsa_user_sgpr_dispatch_ptr 0
		.amdhsa_user_sgpr_queue_ptr 0
		.amdhsa_user_sgpr_kernarg_segment_ptr 1
		.amdhsa_user_sgpr_dispatch_id 0
		.amdhsa_user_sgpr_kernarg_preload_length 0
		.amdhsa_user_sgpr_kernarg_preload_offset 0
		.amdhsa_user_sgpr_private_segment_size 0
		.amdhsa_wavefront_size32 1
		.amdhsa_uses_dynamic_stack 0
		.amdhsa_enable_private_segment 0
		.amdhsa_system_sgpr_workgroup_id_x 1
		.amdhsa_system_sgpr_workgroup_id_y 1
		.amdhsa_system_sgpr_workgroup_id_z 0
		.amdhsa_system_sgpr_workgroup_info 0
		.amdhsa_system_vgpr_workitem_id 1
		.amdhsa_next_free_vgpr 80
		.amdhsa_next_free_sgpr 20
		.amdhsa_named_barrier_count 0
		.amdhsa_reserve_vcc 1
		.amdhsa_float_round_mode_32 0
		.amdhsa_float_round_mode_16_64 0
		.amdhsa_float_denorm_mode_32 3
		.amdhsa_float_denorm_mode_16_64 3
		.amdhsa_fp16_overflow 0
		.amdhsa_memory_ordered 1
		.amdhsa_forward_progress 1
		.amdhsa_inst_pref_size 247
		.amdhsa_round_robin_scheduling 0
		.amdhsa_exception_fp_ieee_invalid_op 0
		.amdhsa_exception_fp_denorm_src 0
		.amdhsa_exception_fp_ieee_div_zero 0
		.amdhsa_exception_fp_ieee_overflow 0
		.amdhsa_exception_fp_ieee_underflow 0
		.amdhsa_exception_fp_ieee_inexact 0
		.amdhsa_exception_int_div_zero 0
	.end_amdhsa_kernel
	.section	.text._ZN9rocsolver6v33100L18getf2_small_kernelILi20E19rocblas_complex_numIfEiiPS3_EEvT1_T3_lS5_lPS5_llPT2_S5_S5_S7_l,"axG",@progbits,_ZN9rocsolver6v33100L18getf2_small_kernelILi20E19rocblas_complex_numIfEiiPS3_EEvT1_T3_lS5_lPS5_llPT2_S5_S5_S7_l,comdat
.Lfunc_end38:
	.size	_ZN9rocsolver6v33100L18getf2_small_kernelILi20E19rocblas_complex_numIfEiiPS3_EEvT1_T3_lS5_lPS5_llPT2_S5_S5_S7_l, .Lfunc_end38-_ZN9rocsolver6v33100L18getf2_small_kernelILi20E19rocblas_complex_numIfEiiPS3_EEvT1_T3_lS5_lPS5_llPT2_S5_S5_S7_l
                                        ; -- End function
	.set _ZN9rocsolver6v33100L18getf2_small_kernelILi20E19rocblas_complex_numIfEiiPS3_EEvT1_T3_lS5_lPS5_llPT2_S5_S5_S7_l.num_vgpr, 80
	.set _ZN9rocsolver6v33100L18getf2_small_kernelILi20E19rocblas_complex_numIfEiiPS3_EEvT1_T3_lS5_lPS5_llPT2_S5_S5_S7_l.num_agpr, 0
	.set _ZN9rocsolver6v33100L18getf2_small_kernelILi20E19rocblas_complex_numIfEiiPS3_EEvT1_T3_lS5_lPS5_llPT2_S5_S5_S7_l.numbered_sgpr, 20
	.set _ZN9rocsolver6v33100L18getf2_small_kernelILi20E19rocblas_complex_numIfEiiPS3_EEvT1_T3_lS5_lPS5_llPT2_S5_S5_S7_l.num_named_barrier, 0
	.set _ZN9rocsolver6v33100L18getf2_small_kernelILi20E19rocblas_complex_numIfEiiPS3_EEvT1_T3_lS5_lPS5_llPT2_S5_S5_S7_l.private_seg_size, 0
	.set _ZN9rocsolver6v33100L18getf2_small_kernelILi20E19rocblas_complex_numIfEiiPS3_EEvT1_T3_lS5_lPS5_llPT2_S5_S5_S7_l.uses_vcc, 1
	.set _ZN9rocsolver6v33100L18getf2_small_kernelILi20E19rocblas_complex_numIfEiiPS3_EEvT1_T3_lS5_lPS5_llPT2_S5_S5_S7_l.uses_flat_scratch, 0
	.set _ZN9rocsolver6v33100L18getf2_small_kernelILi20E19rocblas_complex_numIfEiiPS3_EEvT1_T3_lS5_lPS5_llPT2_S5_S5_S7_l.has_dyn_sized_stack, 0
	.set _ZN9rocsolver6v33100L18getf2_small_kernelILi20E19rocblas_complex_numIfEiiPS3_EEvT1_T3_lS5_lPS5_llPT2_S5_S5_S7_l.has_recursion, 0
	.set _ZN9rocsolver6v33100L18getf2_small_kernelILi20E19rocblas_complex_numIfEiiPS3_EEvT1_T3_lS5_lPS5_llPT2_S5_S5_S7_l.has_indirect_call, 0
	.section	.AMDGPU.csdata,"",@progbits
; Kernel info:
; codeLenInByte = 31588
; TotalNumSgprs: 22
; NumVgprs: 80
; ScratchSize: 0
; MemoryBound: 0
; FloatMode: 240
; IeeeMode: 1
; LDSByteSize: 0 bytes/workgroup (compile time only)
; SGPRBlocks: 0
; VGPRBlocks: 4
; NumSGPRsForWavesPerEU: 22
; NumVGPRsForWavesPerEU: 80
; NamedBarCnt: 0
; Occupancy: 12
; WaveLimiterHint : 0
; COMPUTE_PGM_RSRC2:SCRATCH_EN: 0
; COMPUTE_PGM_RSRC2:USER_SGPR: 2
; COMPUTE_PGM_RSRC2:TRAP_HANDLER: 0
; COMPUTE_PGM_RSRC2:TGID_X_EN: 1
; COMPUTE_PGM_RSRC2:TGID_Y_EN: 1
; COMPUTE_PGM_RSRC2:TGID_Z_EN: 0
; COMPUTE_PGM_RSRC2:TIDIG_COMP_CNT: 1
	.section	.text._ZN9rocsolver6v33100L23getf2_npvt_small_kernelILi20E19rocblas_complex_numIfEiiPS3_EEvT1_T3_lS5_lPT2_S5_S5_,"axG",@progbits,_ZN9rocsolver6v33100L23getf2_npvt_small_kernelILi20E19rocblas_complex_numIfEiiPS3_EEvT1_T3_lS5_lPT2_S5_S5_,comdat
	.globl	_ZN9rocsolver6v33100L23getf2_npvt_small_kernelILi20E19rocblas_complex_numIfEiiPS3_EEvT1_T3_lS5_lPT2_S5_S5_ ; -- Begin function _ZN9rocsolver6v33100L23getf2_npvt_small_kernelILi20E19rocblas_complex_numIfEiiPS3_EEvT1_T3_lS5_lPT2_S5_S5_
	.p2align	8
	.type	_ZN9rocsolver6v33100L23getf2_npvt_small_kernelILi20E19rocblas_complex_numIfEiiPS3_EEvT1_T3_lS5_lPT2_S5_S5_,@function
_ZN9rocsolver6v33100L23getf2_npvt_small_kernelILi20E19rocblas_complex_numIfEiiPS3_EEvT1_T3_lS5_lPT2_S5_S5_: ; @_ZN9rocsolver6v33100L23getf2_npvt_small_kernelILi20E19rocblas_complex_numIfEiiPS3_EEvT1_T3_lS5_lPT2_S5_S5_
; %bb.0:
	s_clause 0x1
	s_load_u16 s14, s[0:1], 0x46
	s_load_b64 s[2:3], s[0:1], 0x30
	s_bfe_u32 s4, ttmp6, 0x40010
	s_bfe_u32 s5, ttmp6, 0x40004
	s_add_co_i32 s4, s4, 1
	s_getreg_b32 s6, hwreg(HW_REG_IB_STS2, 6, 4)
	s_mul_i32 s4, ttmp7, s4
	v_bfe_u32 v82, v0, 10, 10
	s_add_co_i32 s5, s5, s4
	s_cmp_eq_u32 s6, 0
	s_cselect_b32 s4, ttmp7, s5
	s_wait_kmcnt 0x0
	v_mad_u32 v2, s4, s14, v82
	s_delay_alu instid0(VALU_DEP_1)
	v_cmp_gt_i32_e32 vcc_lo, s2, v2
	s_and_saveexec_b32 s2, vcc_lo
	s_cbranch_execz .LBB39_183
; %bb.1:
	s_clause 0x1
	s_load_b32 s12, s[0:1], 0x18
	s_load_b128 s[4:7], s[0:1], 0x20
	v_and_b32_e32 v122, 0x3ff, v0
	s_load_b128 s[8:11], s[0:1], 0x8
	v_lshlrev_b32_e32 v83, 3, v82
	s_mulk_i32 s14, 0xa0
	v_mad_u32_u24 v124, 0xa0, v82, 0
	s_wait_xcnt 0x0
	v_cmp_ne_u32_e64 s1, 0, v122
	v_cmp_eq_u32_e64 s0, 0, v122
	v_add3_u32 v123, 0, s14, v83
	v_mov_b32_e32 v9, 0
	s_wait_kmcnt 0x0
	v_add3_u32 v0, s12, s12, v122
	v_ashrrev_i32_e32 v3, 31, v2
	s_ashr_i32 s13, s12, 31
	s_delay_alu instid0(VALU_DEP_2) | instskip(NEXT) | instid1(VALU_DEP_2)
	v_add_nc_u32_e32 v4, s12, v0
	v_mul_u64_e32 v[6:7], s[4:5], v[2:3]
	s_delay_alu instid0(VALU_DEP_2) | instskip(NEXT) | instid1(VALU_DEP_1)
	v_add_nc_u32_e32 v10, s12, v4
	v_add_nc_u32_e32 v12, s12, v10
	s_delay_alu instid0(VALU_DEP_1) | instskip(NEXT) | instid1(VALU_DEP_1)
	v_add_nc_u32_e32 v14, s12, v12
	v_dual_add_nc_u32 v16, s12, v14 :: v_dual_ashrrev_i32 v1, 31, v0
	v_ashrrev_i32_e32 v11, 31, v10
	s_delay_alu instid0(VALU_DEP_2) | instskip(SKIP_1) | instid1(VALU_DEP_2)
	v_dual_ashrrev_i32 v15, 31, v14 :: v_dual_add_nc_u32 v20, s12, v16
	v_dual_lshlrev_b32 v8, 3, v122 :: v_dual_ashrrev_i32 v13, 31, v12
	v_add_nc_u32_e32 v22, s12, v20
	v_ashrrev_i32_e32 v5, 31, v4
	v_ashrrev_i32_e32 v17, 31, v16
	v_lshl_add_u64 v[6:7], v[6:7], 3, s[8:9]
	s_delay_alu instid0(VALU_DEP_4) | instskip(NEXT) | instid1(VALU_DEP_2)
	v_dual_add_nc_u32 v32, s12, v22 :: v_dual_ashrrev_i32 v23, 31, v22
	v_lshl_add_u64 v[52:53], s[10:11], 3, v[6:7]
	s_delay_alu instid0(VALU_DEP_2) | instskip(SKIP_1) | instid1(VALU_DEP_3)
	v_dual_add_nc_u32 v34, s12, v32 :: v_dual_ashrrev_i32 v33, 31, v32
	v_ashrrev_i32_e32 v21, 31, v20
	v_add_nc_u64_e32 v[18:19], v[52:53], v[8:9]
	v_lshl_add_u64 v[10:11], v[10:11], 3, v[52:53]
	s_delay_alu instid0(VALU_DEP_4)
	v_add_nc_u32_e32 v36, s12, v34
	v_lshl_add_u64 v[6:7], v[14:15], 3, v[52:53]
	v_lshl_add_u64 v[14:15], v[20:21], 3, v[52:53]
	;; [unrolled: 1-line block ×4, first 2 shown]
	v_add_nc_u32_e32 v38, s12, v36
	v_lshl_add_u64 v[4:5], v[12:13], 3, v[52:53]
	v_lshl_add_u64 v[12:13], v[16:17], 3, v[52:53]
	;; [unrolled: 1-line block ×4, first 2 shown]
	v_dual_add_nc_u32 v58, s12, v38 :: v_dual_ashrrev_i32 v37, 31, v36
	v_lshl_add_u64 v[0:1], v[0:1], 3, v[52:53]
	s_clause 0x7
	global_load_b64 v[28:29], v[10:11], off
	global_load_b64 v[24:25], v[4:5], off
	;; [unrolled: 1-line block ×8, first 2 shown]
	v_add_nc_u32_e32 v60, s12, v58
	s_delay_alu instid0(VALU_DEP_1) | instskip(NEXT) | instid1(VALU_DEP_1)
	v_dual_ashrrev_i32 v35, 31, v34 :: v_dual_add_nc_u32 v62, s12, v60
	v_lshl_add_u64 v[32:33], v[34:35], 3, v[52:53]
	v_lshl_add_u64 v[34:35], v[36:37], 3, v[52:53]
	s_clause 0x3
	global_load_b64 v[48:49], v[14:15], off
	global_load_b64 v[42:43], v[16:17], off
	;; [unrolled: 1-line block ×4, first 2 shown]
	v_dual_ashrrev_i32 v61, 31, v60 :: v_dual_add_nc_u32 v64, s12, v62
	v_ashrrev_i32_e32 v39, 31, v38
	s_delay_alu instid0(VALU_DEP_2) | instskip(SKIP_1) | instid1(VALU_DEP_3)
	v_dual_ashrrev_i32 v59, 31, v58 :: v_dual_ashrrev_i32 v65, 31, v64
	v_add_nc_u32_e32 v66, s12, v64
	v_lshl_add_u64 v[36:37], v[38:39], 3, v[52:53]
	s_delay_alu instid0(VALU_DEP_3) | instskip(SKIP_1) | instid1(VALU_DEP_4)
	v_lshl_add_u64 v[38:39], v[58:59], 3, v[52:53]
	v_lshl_add_u64 v[58:59], v[60:61], 3, v[52:53]
	v_dual_add_nc_u32 v68, s12, v66 :: v_dual_ashrrev_i32 v67, 31, v66
	s_delay_alu instid0(VALU_DEP_1) | instskip(NEXT) | instid1(VALU_DEP_1)
	v_dual_ashrrev_i32 v63, 31, v62 :: v_dual_ashrrev_i32 v69, 31, v68
	v_lshl_add_u64 v[60:61], v[62:63], 3, v[52:53]
	v_lshl_add_u64 v[62:63], v[64:65], 3, v[52:53]
	s_delay_alu instid0(VALU_DEP_4) | instskip(NEXT) | instid1(VALU_DEP_4)
	v_lshl_add_u64 v[64:65], v[66:67], 3, v[52:53]
	v_lshl_add_u64 v[52:53], v[68:69], 3, v[52:53]
	s_clause 0x7
	global_load_b64 v[72:73], v[34:35], off
	global_load_b64 v[68:69], v[36:37], off
	global_load_b64 v[70:71], v[38:39], off
	global_load_b64 v[66:67], v[58:59], off
	global_load_b64 v[80:81], v[60:61], off
	global_load_b64 v[76:77], v[62:63], off
	global_load_b64 v[74:75], v[64:65], off
	global_load_b64 v[78:79], v[52:53], off
	s_wait_xcnt 0x0
	s_and_saveexec_b32 s4, s0
	s_cbranch_execz .LBB39_8
; %bb.2:
	s_wait_loadcnt 0xf
	ds_store_b64 v123, v[54:55]
	s_wait_loadcnt 0xd
	ds_store_2addr_b64 v124, v[56:57], v[50:51] offset0:1 offset1:2
	s_wait_loadcnt 0xc
	ds_store_2addr_b64 v124, v[44:45], v[28:29] offset0:3 offset1:4
	ds_store_2addr_b64 v124, v[24:25], v[26:27] offset0:5 offset1:6
	s_wait_loadcnt 0xb
	ds_store_2addr_b64 v124, v[22:23], v[48:49] offset0:7 offset1:8
	s_wait_loadcnt 0x9
	;; [unrolled: 2-line block ×7, first 2 shown]
	ds_store_b64 v124, v[78:79] offset:152
	ds_load_b64 v[82:83], v123
	s_wait_dscnt 0x0
	v_cmp_neq_f32_e32 vcc_lo, 0, v82
	v_cmp_neq_f32_e64 s2, 0, v83
	s_or_b32 s2, vcc_lo, s2
	s_delay_alu instid0(SALU_CYCLE_1)
	s_and_b32 exec_lo, exec_lo, s2
	s_cbranch_execz .LBB39_8
; %bb.3:
	v_cmp_ngt_f32_e64 s2, |v82|, |v83|
                                        ; implicit-def: $vgpr84_vgpr85
	s_and_saveexec_b32 s5, s2
	s_delay_alu instid0(SALU_CYCLE_1)
	s_xor_b32 s2, exec_lo, s5
	s_cbranch_execz .LBB39_5
; %bb.4:
	v_div_scale_f32 v84, null, v83, v83, v82
	v_div_scale_f32 v87, vcc_lo, v82, v83, v82
	s_delay_alu instid0(VALU_DEP_2) | instskip(SKIP_1) | instid1(TRANS32_DEP_1)
	v_rcp_f32_e32 v85, v84
	v_nop
	v_fma_f32 v86, -v84, v85, 1.0
	s_delay_alu instid0(VALU_DEP_1) | instskip(NEXT) | instid1(VALU_DEP_1)
	v_fmac_f32_e32 v85, v86, v85
	v_mul_f32_e32 v86, v87, v85
	s_delay_alu instid0(VALU_DEP_1) | instskip(NEXT) | instid1(VALU_DEP_1)
	v_fma_f32 v88, -v84, v86, v87
	v_fmac_f32_e32 v86, v88, v85
	s_delay_alu instid0(VALU_DEP_1) | instskip(NEXT) | instid1(VALU_DEP_1)
	v_fma_f32 v84, -v84, v86, v87
	v_div_fmas_f32 v84, v84, v85, v86
	s_delay_alu instid0(VALU_DEP_1) | instskip(NEXT) | instid1(VALU_DEP_1)
	v_div_fixup_f32 v84, v84, v83, v82
	v_fmac_f32_e32 v83, v82, v84
	s_delay_alu instid0(VALU_DEP_1) | instskip(SKIP_1) | instid1(VALU_DEP_2)
	v_div_scale_f32 v82, null, v83, v83, 1.0
	v_div_scale_f32 v87, vcc_lo, 1.0, v83, 1.0
	v_rcp_f32_e32 v85, v82
	v_nop
	s_delay_alu instid0(TRANS32_DEP_1) | instskip(NEXT) | instid1(VALU_DEP_1)
	v_fma_f32 v86, -v82, v85, 1.0
	v_fmac_f32_e32 v85, v86, v85
	s_delay_alu instid0(VALU_DEP_1) | instskip(NEXT) | instid1(VALU_DEP_1)
	v_mul_f32_e32 v86, v87, v85
	v_fma_f32 v88, -v82, v86, v87
	s_delay_alu instid0(VALU_DEP_1) | instskip(NEXT) | instid1(VALU_DEP_1)
	v_fmac_f32_e32 v86, v88, v85
	v_fma_f32 v82, -v82, v86, v87
	s_delay_alu instid0(VALU_DEP_1) | instskip(NEXT) | instid1(VALU_DEP_1)
	v_div_fmas_f32 v82, v82, v85, v86
	v_div_fixup_f32 v82, v82, v83, 1.0
	s_delay_alu instid0(VALU_DEP_1)
	v_mul_f32_e32 v84, v84, v82
	v_xor_b32_e32 v85, 0x80000000, v82
                                        ; implicit-def: $vgpr82_vgpr83
.LBB39_5:
	s_and_not1_saveexec_b32 s2, s2
	s_cbranch_execz .LBB39_7
; %bb.6:
	v_div_scale_f32 v84, null, v82, v82, v83
	v_div_scale_f32 v87, vcc_lo, v83, v82, v83
	s_delay_alu instid0(VALU_DEP_2) | instskip(SKIP_1) | instid1(TRANS32_DEP_1)
	v_rcp_f32_e32 v85, v84
	v_nop
	v_fma_f32 v86, -v84, v85, 1.0
	s_delay_alu instid0(VALU_DEP_1) | instskip(NEXT) | instid1(VALU_DEP_1)
	v_fmac_f32_e32 v85, v86, v85
	v_mul_f32_e32 v86, v87, v85
	s_delay_alu instid0(VALU_DEP_1) | instskip(NEXT) | instid1(VALU_DEP_1)
	v_fma_f32 v88, -v84, v86, v87
	v_fmac_f32_e32 v86, v88, v85
	s_delay_alu instid0(VALU_DEP_1) | instskip(NEXT) | instid1(VALU_DEP_1)
	v_fma_f32 v84, -v84, v86, v87
	v_div_fmas_f32 v84, v84, v85, v86
	s_delay_alu instid0(VALU_DEP_1) | instskip(NEXT) | instid1(VALU_DEP_1)
	v_div_fixup_f32 v85, v84, v82, v83
	v_fmac_f32_e32 v82, v83, v85
	s_delay_alu instid0(VALU_DEP_1) | instskip(NEXT) | instid1(VALU_DEP_1)
	v_div_scale_f32 v83, null, v82, v82, 1.0
	v_rcp_f32_e32 v84, v83
	v_nop
	s_delay_alu instid0(TRANS32_DEP_1) | instskip(NEXT) | instid1(VALU_DEP_1)
	v_fma_f32 v86, -v83, v84, 1.0
	v_fmac_f32_e32 v84, v86, v84
	v_div_scale_f32 v86, vcc_lo, 1.0, v82, 1.0
	s_delay_alu instid0(VALU_DEP_1) | instskip(NEXT) | instid1(VALU_DEP_1)
	v_mul_f32_e32 v87, v86, v84
	v_fma_f32 v88, -v83, v87, v86
	s_delay_alu instid0(VALU_DEP_1) | instskip(NEXT) | instid1(VALU_DEP_1)
	v_fmac_f32_e32 v87, v88, v84
	v_fma_f32 v83, -v83, v87, v86
	s_delay_alu instid0(VALU_DEP_1) | instskip(NEXT) | instid1(VALU_DEP_1)
	v_div_fmas_f32 v83, v83, v84, v87
	v_div_fixup_f32 v84, v83, v82, 1.0
	s_delay_alu instid0(VALU_DEP_1)
	v_mul_f32_e64 v85, v85, -v84
.LBB39_7:
	s_or_b32 exec_lo, exec_lo, s2
	ds_store_b64 v123, v[84:85]
.LBB39_8:
	s_or_b32 exec_lo, exec_lo, s4
	s_wait_loadcnt_dscnt 0x0
	s_barrier_signal -1
	s_barrier_wait -1
	ds_load_b64 v[82:83], v123
	s_and_saveexec_b32 s2, s1
	s_cbranch_execz .LBB39_10
; %bb.9:
	ds_load_2addr_b64 v[88:91], v124 offset0:1 offset1:2
	s_wait_dscnt 0x1
	v_pk_mul_f32 v[86:87], v[82:83], v[54:55] op_sel:[1,1] op_sel_hi:[0,1]
	s_delay_alu instid0(VALU_DEP_1) | instskip(SKIP_1) | instid1(VALU_DEP_1)
	v_pk_fma_f32 v[84:85], v[82:83], v[54:55], v[86:87] op_sel_hi:[1,0,1] neg_lo:[0,0,1] neg_hi:[0,0,1]
	v_pk_fma_f32 v[86:87], v[82:83], v[54:55], v[86:87] op_sel_hi:[1,0,1]
	v_dual_mov_b32 v54, v84 :: v_dual_mov_b32 v55, v87
	s_wait_dscnt 0x0
	s_delay_alu instid0(VALU_DEP_2) | instskip(NEXT) | instid1(VALU_DEP_1)
	v_pk_mul_f32 v[92:93], v[88:89], v[86:87] op_sel:[0,1]
	v_pk_fma_f32 v[94:95], v[88:89], v[84:85], v[92:93] op_sel:[0,0,1] op_sel_hi:[1,1,0] neg_lo:[0,0,1] neg_hi:[0,0,1]
	v_pk_fma_f32 v[88:89], v[88:89], v[84:85], v[92:93] op_sel:[0,0,1] op_sel_hi:[1,0,0]
	s_delay_alu instid0(VALU_DEP_1) | instskip(SKIP_1) | instid1(VALU_DEP_1)
	v_mov_b32_e32 v95, v89
	v_pk_mul_f32 v[88:89], v[90:91], v[86:87] op_sel:[0,1]
	v_pk_fma_f32 v[92:93], v[90:91], v[84:85], v[88:89] op_sel:[0,0,1] op_sel_hi:[1,1,0] neg_lo:[0,0,1] neg_hi:[0,0,1]
	v_pk_fma_f32 v[88:89], v[90:91], v[84:85], v[88:89] op_sel:[0,0,1] op_sel_hi:[1,0,0]
	s_delay_alu instid0(VALU_DEP_1)
	v_mov_b32_e32 v93, v89
	ds_load_2addr_b64 v[88:91], v124 offset0:3 offset1:4
	v_pk_add_f32 v[56:57], v[56:57], v[94:95] neg_lo:[0,1] neg_hi:[0,1]
	v_pk_add_f32 v[50:51], v[50:51], v[92:93] neg_lo:[0,1] neg_hi:[0,1]
	s_wait_dscnt 0x0
	v_pk_mul_f32 v[92:93], v[88:89], v[86:87] op_sel:[0,1]
	s_delay_alu instid0(VALU_DEP_1) | instskip(SKIP_2) | instid1(VALU_DEP_2)
	v_pk_fma_f32 v[94:95], v[88:89], v[84:85], v[92:93] op_sel:[0,0,1] op_sel_hi:[1,1,0] neg_lo:[0,0,1] neg_hi:[0,0,1]
	v_pk_fma_f32 v[88:89], v[88:89], v[84:85], v[92:93] op_sel:[0,0,1] op_sel_hi:[1,0,0]
	v_dual_mul_f32 v92, v91, v87 :: v_dual_mov_b32 v88, v91
	v_dual_mov_b32 v95, v89 :: v_dual_mov_b32 v89, v90
	s_delay_alu instid0(VALU_DEP_2) | instskip(SKIP_1) | instid1(VALU_DEP_3)
	v_pk_fma_f32 v[92:93], v[90:91], v[54:55], v[92:93] op_sel_hi:[1,1,0] neg_lo:[0,0,1] neg_hi:[0,0,1]
	v_mul_f32_e32 v90, v91, v84
	v_pk_add_f32 v[44:45], v[44:45], v[94:95] neg_lo:[0,1] neg_hi:[0,1]
	s_delay_alu instid0(VALU_DEP_2) | instskip(NEXT) | instid1(VALU_DEP_1)
	v_pk_fma_f32 v[88:89], v[88:89], v[54:55], v[90:91] op_sel_hi:[1,1,0]
	v_mov_b32_e32 v93, v89
	ds_load_2addr_b64 v[88:91], v124 offset0:5 offset1:6
	v_pk_add_f32 v[28:29], v[28:29], v[92:93] neg_lo:[0,1] neg_hi:[0,1]
	s_wait_dscnt 0x0
	v_pk_mul_f32 v[92:93], v[88:89], v[86:87] op_sel:[0,1]
	s_delay_alu instid0(VALU_DEP_1) | instskip(SKIP_1) | instid1(VALU_DEP_1)
	v_pk_fma_f32 v[94:95], v[88:89], v[84:85], v[92:93] op_sel:[0,0,1] op_sel_hi:[1,1,0] neg_lo:[0,0,1] neg_hi:[0,0,1]
	v_pk_fma_f32 v[88:89], v[88:89], v[84:85], v[92:93] op_sel:[0,0,1] op_sel_hi:[1,0,0]
	v_mov_b32_e32 v95, v89
	v_pk_mul_f32 v[88:89], v[90:91], v[86:87] op_sel:[0,1]
	s_delay_alu instid0(VALU_DEP_1) | instskip(SKIP_1) | instid1(VALU_DEP_1)
	v_pk_fma_f32 v[92:93], v[90:91], v[84:85], v[88:89] op_sel:[0,0,1] op_sel_hi:[1,1,0] neg_lo:[0,0,1] neg_hi:[0,0,1]
	v_pk_fma_f32 v[88:89], v[90:91], v[84:85], v[88:89] op_sel:[0,0,1] op_sel_hi:[1,0,0]
	v_mov_b32_e32 v93, v89
	ds_load_2addr_b64 v[88:91], v124 offset0:7 offset1:8
	v_pk_add_f32 v[24:25], v[24:25], v[94:95] neg_lo:[0,1] neg_hi:[0,1]
	v_pk_add_f32 v[26:27], v[26:27], v[92:93] neg_lo:[0,1] neg_hi:[0,1]
	s_wait_dscnt 0x0
	v_pk_mul_f32 v[92:93], v[88:89], v[86:87] op_sel:[0,1]
	s_delay_alu instid0(VALU_DEP_1) | instskip(SKIP_1) | instid1(VALU_DEP_1)
	v_pk_fma_f32 v[94:95], v[88:89], v[84:85], v[92:93] op_sel:[0,0,1] op_sel_hi:[1,1,0] neg_lo:[0,0,1] neg_hi:[0,0,1]
	v_pk_fma_f32 v[88:89], v[88:89], v[84:85], v[92:93] op_sel:[0,0,1] op_sel_hi:[1,0,0]
	v_mov_b32_e32 v95, v89
	v_pk_mul_f32 v[88:89], v[90:91], v[86:87] op_sel:[0,1]
	s_delay_alu instid0(VALU_DEP_1) | instskip(SKIP_1) | instid1(VALU_DEP_1)
	v_pk_fma_f32 v[92:93], v[90:91], v[84:85], v[88:89] op_sel:[0,0,1] op_sel_hi:[1,1,0] neg_lo:[0,0,1] neg_hi:[0,0,1]
	v_pk_fma_f32 v[88:89], v[90:91], v[84:85], v[88:89] op_sel:[0,0,1] op_sel_hi:[1,0,0]
	v_mov_b32_e32 v93, v89
	ds_load_2addr_b64 v[88:91], v124 offset0:9 offset1:10
	v_pk_add_f32 v[22:23], v[22:23], v[94:95] neg_lo:[0,1] neg_hi:[0,1]
	v_pk_add_f32 v[48:49], v[48:49], v[92:93] neg_lo:[0,1] neg_hi:[0,1]
	s_wait_dscnt 0x0
	v_dual_mul_f32 v92, v89, v87 :: v_dual_mul_f32 v94, v89, v84
	s_delay_alu instid0(VALU_DEP_1) | instskip(NEXT) | instid1(VALU_DEP_2)
	v_pk_fma_f32 v[92:93], v[88:89], v[54:55], v[92:93] op_sel_hi:[1,1,0] neg_lo:[0,0,1] neg_hi:[0,0,1]
	v_pk_fma_f32 v[88:89], v[88:89], v[54:55], v[94:95] op_sel:[1,0,0] op_sel_hi:[0,1,0]
	s_delay_alu instid0(VALU_DEP_1) | instskip(SKIP_1) | instid1(VALU_DEP_2)
	v_mov_b32_e32 v93, v89
	v_pk_mul_f32 v[88:89], v[90:91], v[86:87] op_sel:[0,1]
	v_pk_add_f32 v[42:43], v[42:43], v[92:93] neg_lo:[0,1] neg_hi:[0,1]
	s_delay_alu instid0(VALU_DEP_2) | instskip(SKIP_1) | instid1(VALU_DEP_1)
	v_pk_fma_f32 v[92:93], v[90:91], v[84:85], v[88:89] op_sel:[0,0,1] op_sel_hi:[1,1,0] neg_lo:[0,0,1] neg_hi:[0,0,1]
	v_pk_fma_f32 v[88:89], v[90:91], v[84:85], v[88:89] op_sel:[0,0,1] op_sel_hi:[1,0,0]
	v_mov_b32_e32 v93, v89
	ds_load_2addr_b64 v[88:91], v124 offset0:11 offset1:12
	v_pk_add_f32 v[46:47], v[46:47], v[92:93] neg_lo:[0,1] neg_hi:[0,1]
	s_wait_dscnt 0x0
	v_pk_mul_f32 v[92:93], v[88:89], v[86:87] op_sel:[0,1]
	s_delay_alu instid0(VALU_DEP_1) | instskip(SKIP_1) | instid1(VALU_DEP_1)
	v_pk_fma_f32 v[94:95], v[88:89], v[84:85], v[92:93] op_sel:[0,0,1] op_sel_hi:[1,1,0] neg_lo:[0,0,1] neg_hi:[0,0,1]
	v_pk_fma_f32 v[88:89], v[88:89], v[84:85], v[92:93] op_sel:[0,0,1] op_sel_hi:[1,0,0]
	v_mov_b32_e32 v95, v89
	v_pk_mul_f32 v[88:89], v[90:91], v[86:87] op_sel:[0,1]
	s_delay_alu instid0(VALU_DEP_2) | instskip(NEXT) | instid1(VALU_DEP_2)
	v_pk_add_f32 v[40:41], v[40:41], v[94:95] neg_lo:[0,1] neg_hi:[0,1]
	v_pk_fma_f32 v[92:93], v[90:91], v[84:85], v[88:89] op_sel:[0,0,1] op_sel_hi:[1,1,0] neg_lo:[0,0,1] neg_hi:[0,0,1]
	v_pk_fma_f32 v[88:89], v[90:91], v[84:85], v[88:89] op_sel:[0,0,1] op_sel_hi:[1,0,0]
	s_delay_alu instid0(VALU_DEP_1) | instskip(SKIP_4) | instid1(VALU_DEP_1)
	v_mov_b32_e32 v93, v89
	ds_load_2addr_b64 v[88:91], v124 offset0:13 offset1:14
	v_pk_add_f32 v[72:73], v[72:73], v[92:93] neg_lo:[0,1] neg_hi:[0,1]
	s_wait_dscnt 0x0
	v_pk_mul_f32 v[92:93], v[88:89], v[86:87] op_sel:[0,1]
	v_pk_fma_f32 v[94:95], v[88:89], v[84:85], v[92:93] op_sel:[0,0,1] op_sel_hi:[1,1,0] neg_lo:[0,0,1] neg_hi:[0,0,1]
	v_pk_fma_f32 v[88:89], v[88:89], v[84:85], v[92:93] op_sel:[0,0,1] op_sel_hi:[1,0,0]
	v_dual_mul_f32 v92, v91, v87 :: v_dual_mov_b32 v88, v91
	s_delay_alu instid0(VALU_DEP_2) | instskip(NEXT) | instid1(VALU_DEP_2)
	v_dual_mov_b32 v95, v89 :: v_dual_mov_b32 v89, v90
	v_pk_fma_f32 v[92:93], v[90:91], v[54:55], v[92:93] op_sel_hi:[1,1,0] neg_lo:[0,0,1] neg_hi:[0,0,1]
	v_mul_f32_e32 v90, v91, v84
	s_delay_alu instid0(VALU_DEP_3) | instskip(NEXT) | instid1(VALU_DEP_2)
	v_pk_add_f32 v[68:69], v[68:69], v[94:95] neg_lo:[0,1] neg_hi:[0,1]
	v_pk_fma_f32 v[88:89], v[88:89], v[54:55], v[90:91] op_sel_hi:[1,1,0]
	s_delay_alu instid0(VALU_DEP_1) | instskip(SKIP_4) | instid1(VALU_DEP_1)
	v_mov_b32_e32 v93, v89
	ds_load_2addr_b64 v[88:91], v124 offset0:15 offset1:16
	v_pk_add_f32 v[70:71], v[70:71], v[92:93] neg_lo:[0,1] neg_hi:[0,1]
	s_wait_dscnt 0x0
	v_pk_mul_f32 v[92:93], v[88:89], v[86:87] op_sel:[0,1]
	v_pk_fma_f32 v[94:95], v[88:89], v[84:85], v[92:93] op_sel:[0,0,1] op_sel_hi:[1,1,0] neg_lo:[0,0,1] neg_hi:[0,0,1]
	v_pk_fma_f32 v[88:89], v[88:89], v[84:85], v[92:93] op_sel:[0,0,1] op_sel_hi:[1,0,0]
	s_delay_alu instid0(VALU_DEP_1) | instskip(SKIP_1) | instid1(VALU_DEP_1)
	v_mov_b32_e32 v95, v89
	v_pk_mul_f32 v[88:89], v[90:91], v[86:87] op_sel:[0,1]
	v_pk_fma_f32 v[92:93], v[90:91], v[84:85], v[88:89] op_sel:[0,0,1] op_sel_hi:[1,1,0] neg_lo:[0,0,1] neg_hi:[0,0,1]
	v_pk_fma_f32 v[88:89], v[90:91], v[84:85], v[88:89] op_sel:[0,0,1] op_sel_hi:[1,0,0]
	s_delay_alu instid0(VALU_DEP_1)
	v_mov_b32_e32 v93, v89
	ds_load_2addr_b64 v[88:91], v124 offset0:17 offset1:18
	v_pk_add_f32 v[66:67], v[66:67], v[94:95] neg_lo:[0,1] neg_hi:[0,1]
	v_pk_add_f32 v[80:81], v[80:81], v[92:93] neg_lo:[0,1] neg_hi:[0,1]
	s_wait_dscnt 0x0
	v_pk_mul_f32 v[92:93], v[88:89], v[86:87] op_sel:[0,1]
	s_delay_alu instid0(VALU_DEP_1) | instskip(SKIP_1) | instid1(VALU_DEP_1)
	v_pk_fma_f32 v[94:95], v[88:89], v[84:85], v[92:93] op_sel:[0,0,1] op_sel_hi:[1,1,0] neg_lo:[0,0,1] neg_hi:[0,0,1]
	v_pk_fma_f32 v[88:89], v[88:89], v[84:85], v[92:93] op_sel:[0,0,1] op_sel_hi:[1,0,0]
	v_mov_b32_e32 v95, v89
	v_pk_mul_f32 v[88:89], v[90:91], v[86:87] op_sel:[0,1]
	s_delay_alu instid0(VALU_DEP_1) | instskip(SKIP_1) | instid1(VALU_DEP_1)
	v_pk_fma_f32 v[92:93], v[90:91], v[84:85], v[88:89] op_sel:[0,0,1] op_sel_hi:[1,1,0] neg_lo:[0,0,1] neg_hi:[0,0,1]
	v_pk_fma_f32 v[88:89], v[90:91], v[84:85], v[88:89] op_sel:[0,0,1] op_sel_hi:[1,0,0]
	v_mov_b32_e32 v93, v89
	ds_load_b64 v[88:89], v124 offset:152
	v_pk_add_f32 v[76:77], v[76:77], v[94:95] neg_lo:[0,1] neg_hi:[0,1]
	v_pk_add_f32 v[74:75], v[74:75], v[92:93] neg_lo:[0,1] neg_hi:[0,1]
	s_wait_dscnt 0x0
	v_pk_mul_f32 v[86:87], v[88:89], v[86:87] op_sel:[0,1]
	s_delay_alu instid0(VALU_DEP_1) | instskip(SKIP_1) | instid1(VALU_DEP_1)
	v_pk_fma_f32 v[90:91], v[88:89], v[84:85], v[86:87] op_sel:[0,0,1] op_sel_hi:[1,1,0] neg_lo:[0,0,1] neg_hi:[0,0,1]
	v_pk_fma_f32 v[84:85], v[88:89], v[84:85], v[86:87] op_sel:[0,0,1] op_sel_hi:[1,0,0]
	v_mov_b32_e32 v91, v85
	s_delay_alu instid0(VALU_DEP_1)
	v_pk_add_f32 v[78:79], v[78:79], v[90:91] neg_lo:[0,1] neg_hi:[0,1]
.LBB39_10:
	s_or_b32 exec_lo, exec_lo, s2
	s_delay_alu instid0(SALU_CYCLE_1)
	s_mov_b32 s2, exec_lo
	s_wait_dscnt 0x0
	s_barrier_signal -1
	s_barrier_wait -1
	v_cmpx_eq_u32_e32 1, v122
	s_cbranch_execz .LBB39_17
; %bb.11:
	v_dual_mov_b32 v84, v50 :: v_dual_mov_b32 v85, v51
	v_dual_mov_b32 v86, v44 :: v_dual_mov_b32 v87, v45
	;; [unrolled: 1-line block ×8, first 2 shown]
	ds_store_b64 v123, v[56:57]
	ds_store_2addr_b64 v124, v[84:85], v[86:87] offset0:2 offset1:3
	ds_store_2addr_b64 v124, v[88:89], v[90:91] offset0:4 offset1:5
	;; [unrolled: 1-line block ×4, first 2 shown]
	v_dual_mov_b32 v84, v46 :: v_dual_mov_b32 v85, v47
	v_dual_mov_b32 v86, v40 :: v_dual_mov_b32 v87, v41
	;; [unrolled: 1-line block ×9, first 2 shown]
	ds_store_2addr_b64 v124, v[84:85], v[86:87] offset0:10 offset1:11
	ds_store_2addr_b64 v124, v[88:89], v[90:91] offset0:12 offset1:13
	;; [unrolled: 1-line block ×5, first 2 shown]
	ds_load_b64 v[84:85], v123
	s_wait_dscnt 0x0
	v_cmp_neq_f32_e32 vcc_lo, 0, v84
	v_cmp_neq_f32_e64 s1, 0, v85
	s_or_b32 s1, vcc_lo, s1
	s_delay_alu instid0(SALU_CYCLE_1)
	s_and_b32 exec_lo, exec_lo, s1
	s_cbranch_execz .LBB39_17
; %bb.12:
	v_cmp_ngt_f32_e64 s1, |v84|, |v85|
                                        ; implicit-def: $vgpr86_vgpr87
	s_and_saveexec_b32 s4, s1
	s_delay_alu instid0(SALU_CYCLE_1)
	s_xor_b32 s1, exec_lo, s4
	s_cbranch_execz .LBB39_14
; %bb.13:
	v_div_scale_f32 v86, null, v85, v85, v84
	v_div_scale_f32 v89, vcc_lo, v84, v85, v84
	s_delay_alu instid0(VALU_DEP_2) | instskip(SKIP_1) | instid1(TRANS32_DEP_1)
	v_rcp_f32_e32 v87, v86
	v_nop
	v_fma_f32 v88, -v86, v87, 1.0
	s_delay_alu instid0(VALU_DEP_1) | instskip(NEXT) | instid1(VALU_DEP_1)
	v_fmac_f32_e32 v87, v88, v87
	v_mul_f32_e32 v88, v89, v87
	s_delay_alu instid0(VALU_DEP_1) | instskip(NEXT) | instid1(VALU_DEP_1)
	v_fma_f32 v90, -v86, v88, v89
	v_fmac_f32_e32 v88, v90, v87
	s_delay_alu instid0(VALU_DEP_1) | instskip(NEXT) | instid1(VALU_DEP_1)
	v_fma_f32 v86, -v86, v88, v89
	v_div_fmas_f32 v86, v86, v87, v88
	s_delay_alu instid0(VALU_DEP_1) | instskip(NEXT) | instid1(VALU_DEP_1)
	v_div_fixup_f32 v86, v86, v85, v84
	v_fmac_f32_e32 v85, v84, v86
	s_delay_alu instid0(VALU_DEP_1) | instskip(SKIP_1) | instid1(VALU_DEP_2)
	v_div_scale_f32 v84, null, v85, v85, 1.0
	v_div_scale_f32 v89, vcc_lo, 1.0, v85, 1.0
	v_rcp_f32_e32 v87, v84
	v_nop
	s_delay_alu instid0(TRANS32_DEP_1) | instskip(NEXT) | instid1(VALU_DEP_1)
	v_fma_f32 v88, -v84, v87, 1.0
	v_fmac_f32_e32 v87, v88, v87
	s_delay_alu instid0(VALU_DEP_1) | instskip(NEXT) | instid1(VALU_DEP_1)
	v_mul_f32_e32 v88, v89, v87
	v_fma_f32 v90, -v84, v88, v89
	s_delay_alu instid0(VALU_DEP_1) | instskip(NEXT) | instid1(VALU_DEP_1)
	v_fmac_f32_e32 v88, v90, v87
	v_fma_f32 v84, -v84, v88, v89
	s_delay_alu instid0(VALU_DEP_1) | instskip(NEXT) | instid1(VALU_DEP_1)
	v_div_fmas_f32 v84, v84, v87, v88
	v_div_fixup_f32 v84, v84, v85, 1.0
	s_delay_alu instid0(VALU_DEP_1)
	v_mul_f32_e32 v86, v86, v84
	v_xor_b32_e32 v87, 0x80000000, v84
                                        ; implicit-def: $vgpr84_vgpr85
.LBB39_14:
	s_and_not1_saveexec_b32 s1, s1
	s_cbranch_execz .LBB39_16
; %bb.15:
	v_div_scale_f32 v86, null, v84, v84, v85
	v_div_scale_f32 v89, vcc_lo, v85, v84, v85
	s_delay_alu instid0(VALU_DEP_2) | instskip(SKIP_1) | instid1(TRANS32_DEP_1)
	v_rcp_f32_e32 v87, v86
	v_nop
	v_fma_f32 v88, -v86, v87, 1.0
	s_delay_alu instid0(VALU_DEP_1) | instskip(NEXT) | instid1(VALU_DEP_1)
	v_fmac_f32_e32 v87, v88, v87
	v_mul_f32_e32 v88, v89, v87
	s_delay_alu instid0(VALU_DEP_1) | instskip(NEXT) | instid1(VALU_DEP_1)
	v_fma_f32 v90, -v86, v88, v89
	v_fmac_f32_e32 v88, v90, v87
	s_delay_alu instid0(VALU_DEP_1) | instskip(NEXT) | instid1(VALU_DEP_1)
	v_fma_f32 v86, -v86, v88, v89
	v_div_fmas_f32 v86, v86, v87, v88
	s_delay_alu instid0(VALU_DEP_1) | instskip(NEXT) | instid1(VALU_DEP_1)
	v_div_fixup_f32 v87, v86, v84, v85
	v_fmac_f32_e32 v84, v85, v87
	s_delay_alu instid0(VALU_DEP_1) | instskip(NEXT) | instid1(VALU_DEP_1)
	v_div_scale_f32 v85, null, v84, v84, 1.0
	v_rcp_f32_e32 v86, v85
	v_nop
	s_delay_alu instid0(TRANS32_DEP_1) | instskip(NEXT) | instid1(VALU_DEP_1)
	v_fma_f32 v88, -v85, v86, 1.0
	v_fmac_f32_e32 v86, v88, v86
	v_div_scale_f32 v88, vcc_lo, 1.0, v84, 1.0
	s_delay_alu instid0(VALU_DEP_1) | instskip(NEXT) | instid1(VALU_DEP_1)
	v_mul_f32_e32 v89, v88, v86
	v_fma_f32 v90, -v85, v89, v88
	s_delay_alu instid0(VALU_DEP_1) | instskip(NEXT) | instid1(VALU_DEP_1)
	v_fmac_f32_e32 v89, v90, v86
	v_fma_f32 v85, -v85, v89, v88
	s_delay_alu instid0(VALU_DEP_1) | instskip(NEXT) | instid1(VALU_DEP_1)
	v_div_fmas_f32 v85, v85, v86, v89
	v_div_fixup_f32 v86, v85, v84, 1.0
	s_delay_alu instid0(VALU_DEP_1)
	v_mul_f32_e64 v87, v87, -v86
.LBB39_16:
	s_or_b32 exec_lo, exec_lo, s1
	ds_store_b64 v123, v[86:87]
.LBB39_17:
	s_or_b32 exec_lo, exec_lo, s2
	s_wait_dscnt 0x0
	s_barrier_signal -1
	s_barrier_wait -1
	ds_load_b64 v[84:85], v123
	s_mov_b32 s1, exec_lo
	v_cmpx_lt_u32_e32 1, v122
	s_cbranch_execz .LBB39_19
; %bb.18:
	ds_load_2addr_b64 v[90:93], v124 offset0:2 offset1:3
	s_wait_dscnt 0x1
	v_pk_mul_f32 v[88:89], v[84:85], v[56:57] op_sel:[1,1] op_sel_hi:[0,1]
	s_delay_alu instid0(VALU_DEP_1) | instskip(SKIP_1) | instid1(VALU_DEP_1)
	v_pk_fma_f32 v[86:87], v[84:85], v[56:57], v[88:89] op_sel_hi:[1,0,1] neg_lo:[0,0,1] neg_hi:[0,0,1]
	v_pk_fma_f32 v[88:89], v[84:85], v[56:57], v[88:89] op_sel_hi:[1,0,1]
	v_dual_mov_b32 v56, v86 :: v_dual_mov_b32 v57, v89
	s_wait_dscnt 0x0
	s_delay_alu instid0(VALU_DEP_2) | instskip(NEXT) | instid1(VALU_DEP_1)
	v_pk_mul_f32 v[94:95], v[90:91], v[88:89] op_sel:[0,1]
	v_pk_fma_f32 v[96:97], v[90:91], v[86:87], v[94:95] op_sel:[0,0,1] op_sel_hi:[1,1,0] neg_lo:[0,0,1] neg_hi:[0,0,1]
	v_pk_fma_f32 v[90:91], v[90:91], v[86:87], v[94:95] op_sel:[0,0,1] op_sel_hi:[1,0,0]
	s_delay_alu instid0(VALU_DEP_1) | instskip(SKIP_1) | instid1(VALU_DEP_1)
	v_mov_b32_e32 v97, v91
	v_pk_mul_f32 v[90:91], v[92:93], v[88:89] op_sel:[0,1]
	v_pk_fma_f32 v[94:95], v[92:93], v[86:87], v[90:91] op_sel:[0,0,1] op_sel_hi:[1,1,0] neg_lo:[0,0,1] neg_hi:[0,0,1]
	v_pk_fma_f32 v[90:91], v[92:93], v[86:87], v[90:91] op_sel:[0,0,1] op_sel_hi:[1,0,0]
	s_delay_alu instid0(VALU_DEP_1)
	v_mov_b32_e32 v95, v91
	ds_load_2addr_b64 v[90:93], v124 offset0:4 offset1:5
	v_pk_add_f32 v[50:51], v[50:51], v[96:97] neg_lo:[0,1] neg_hi:[0,1]
	v_pk_add_f32 v[44:45], v[44:45], v[94:95] neg_lo:[0,1] neg_hi:[0,1]
	s_wait_dscnt 0x0
	v_pk_mul_f32 v[94:95], v[90:91], v[88:89] op_sel:[0,1]
	s_delay_alu instid0(VALU_DEP_1) | instskip(SKIP_2) | instid1(VALU_DEP_2)
	v_pk_fma_f32 v[96:97], v[90:91], v[86:87], v[94:95] op_sel:[0,0,1] op_sel_hi:[1,1,0] neg_lo:[0,0,1] neg_hi:[0,0,1]
	v_pk_fma_f32 v[90:91], v[90:91], v[86:87], v[94:95] op_sel:[0,0,1] op_sel_hi:[1,0,0]
	v_dual_mul_f32 v94, v93, v89 :: v_dual_mov_b32 v90, v93
	v_dual_mov_b32 v97, v91 :: v_dual_mov_b32 v91, v92
	s_delay_alu instid0(VALU_DEP_2) | instskip(SKIP_1) | instid1(VALU_DEP_3)
	v_pk_fma_f32 v[94:95], v[92:93], v[56:57], v[94:95] op_sel_hi:[1,1,0] neg_lo:[0,0,1] neg_hi:[0,0,1]
	v_mul_f32_e32 v92, v93, v86
	v_pk_add_f32 v[28:29], v[28:29], v[96:97] neg_lo:[0,1] neg_hi:[0,1]
	s_delay_alu instid0(VALU_DEP_2) | instskip(NEXT) | instid1(VALU_DEP_1)
	v_pk_fma_f32 v[90:91], v[90:91], v[56:57], v[92:93] op_sel_hi:[1,1,0]
	v_mov_b32_e32 v95, v91
	ds_load_2addr_b64 v[90:93], v124 offset0:6 offset1:7
	v_pk_add_f32 v[24:25], v[24:25], v[94:95] neg_lo:[0,1] neg_hi:[0,1]
	s_wait_dscnt 0x0
	v_pk_mul_f32 v[94:95], v[90:91], v[88:89] op_sel:[0,1]
	s_delay_alu instid0(VALU_DEP_1) | instskip(SKIP_1) | instid1(VALU_DEP_1)
	v_pk_fma_f32 v[96:97], v[90:91], v[86:87], v[94:95] op_sel:[0,0,1] op_sel_hi:[1,1,0] neg_lo:[0,0,1] neg_hi:[0,0,1]
	v_pk_fma_f32 v[90:91], v[90:91], v[86:87], v[94:95] op_sel:[0,0,1] op_sel_hi:[1,0,0]
	v_mov_b32_e32 v97, v91
	v_pk_mul_f32 v[90:91], v[92:93], v[88:89] op_sel:[0,1]
	s_delay_alu instid0(VALU_DEP_1) | instskip(SKIP_1) | instid1(VALU_DEP_1)
	v_pk_fma_f32 v[94:95], v[92:93], v[86:87], v[90:91] op_sel:[0,0,1] op_sel_hi:[1,1,0] neg_lo:[0,0,1] neg_hi:[0,0,1]
	v_pk_fma_f32 v[90:91], v[92:93], v[86:87], v[90:91] op_sel:[0,0,1] op_sel_hi:[1,0,0]
	v_mov_b32_e32 v95, v91
	ds_load_2addr_b64 v[90:93], v124 offset0:8 offset1:9
	v_pk_add_f32 v[26:27], v[26:27], v[96:97] neg_lo:[0,1] neg_hi:[0,1]
	v_pk_add_f32 v[22:23], v[22:23], v[94:95] neg_lo:[0,1] neg_hi:[0,1]
	s_wait_dscnt 0x0
	v_pk_mul_f32 v[94:95], v[90:91], v[88:89] op_sel:[0,1]
	s_delay_alu instid0(VALU_DEP_1) | instskip(SKIP_1) | instid1(VALU_DEP_1)
	v_pk_fma_f32 v[96:97], v[90:91], v[86:87], v[94:95] op_sel:[0,0,1] op_sel_hi:[1,1,0] neg_lo:[0,0,1] neg_hi:[0,0,1]
	v_pk_fma_f32 v[90:91], v[90:91], v[86:87], v[94:95] op_sel:[0,0,1] op_sel_hi:[1,0,0]
	v_mov_b32_e32 v97, v91
	v_pk_mul_f32 v[90:91], v[92:93], v[88:89] op_sel:[0,1]
	s_delay_alu instid0(VALU_DEP_1) | instskip(SKIP_1) | instid1(VALU_DEP_1)
	v_pk_fma_f32 v[94:95], v[92:93], v[86:87], v[90:91] op_sel:[0,0,1] op_sel_hi:[1,1,0] neg_lo:[0,0,1] neg_hi:[0,0,1]
	v_pk_fma_f32 v[90:91], v[92:93], v[86:87], v[90:91] op_sel:[0,0,1] op_sel_hi:[1,0,0]
	v_mov_b32_e32 v95, v91
	ds_load_2addr_b64 v[90:93], v124 offset0:10 offset1:11
	v_pk_add_f32 v[48:49], v[48:49], v[96:97] neg_lo:[0,1] neg_hi:[0,1]
	v_pk_add_f32 v[42:43], v[42:43], v[94:95] neg_lo:[0,1] neg_hi:[0,1]
	s_wait_dscnt 0x0
	v_dual_mul_f32 v94, v91, v89 :: v_dual_mul_f32 v96, v91, v86
	s_delay_alu instid0(VALU_DEP_1) | instskip(NEXT) | instid1(VALU_DEP_2)
	v_pk_fma_f32 v[94:95], v[90:91], v[56:57], v[94:95] op_sel_hi:[1,1,0] neg_lo:[0,0,1] neg_hi:[0,0,1]
	v_pk_fma_f32 v[90:91], v[90:91], v[56:57], v[96:97] op_sel:[1,0,0] op_sel_hi:[0,1,0]
	s_delay_alu instid0(VALU_DEP_1) | instskip(SKIP_1) | instid1(VALU_DEP_2)
	v_mov_b32_e32 v95, v91
	v_pk_mul_f32 v[90:91], v[92:93], v[88:89] op_sel:[0,1]
	v_pk_add_f32 v[46:47], v[46:47], v[94:95] neg_lo:[0,1] neg_hi:[0,1]
	s_delay_alu instid0(VALU_DEP_2) | instskip(SKIP_1) | instid1(VALU_DEP_1)
	v_pk_fma_f32 v[94:95], v[92:93], v[86:87], v[90:91] op_sel:[0,0,1] op_sel_hi:[1,1,0] neg_lo:[0,0,1] neg_hi:[0,0,1]
	v_pk_fma_f32 v[90:91], v[92:93], v[86:87], v[90:91] op_sel:[0,0,1] op_sel_hi:[1,0,0]
	v_mov_b32_e32 v95, v91
	ds_load_2addr_b64 v[90:93], v124 offset0:12 offset1:13
	v_pk_add_f32 v[40:41], v[40:41], v[94:95] neg_lo:[0,1] neg_hi:[0,1]
	s_wait_dscnt 0x0
	v_pk_mul_f32 v[94:95], v[90:91], v[88:89] op_sel:[0,1]
	s_delay_alu instid0(VALU_DEP_1) | instskip(SKIP_1) | instid1(VALU_DEP_1)
	v_pk_fma_f32 v[96:97], v[90:91], v[86:87], v[94:95] op_sel:[0,0,1] op_sel_hi:[1,1,0] neg_lo:[0,0,1] neg_hi:[0,0,1]
	v_pk_fma_f32 v[90:91], v[90:91], v[86:87], v[94:95] op_sel:[0,0,1] op_sel_hi:[1,0,0]
	v_mov_b32_e32 v97, v91
	v_pk_mul_f32 v[90:91], v[92:93], v[88:89] op_sel:[0,1]
	s_delay_alu instid0(VALU_DEP_2) | instskip(NEXT) | instid1(VALU_DEP_2)
	v_pk_add_f32 v[72:73], v[72:73], v[96:97] neg_lo:[0,1] neg_hi:[0,1]
	v_pk_fma_f32 v[94:95], v[92:93], v[86:87], v[90:91] op_sel:[0,0,1] op_sel_hi:[1,1,0] neg_lo:[0,0,1] neg_hi:[0,0,1]
	v_pk_fma_f32 v[90:91], v[92:93], v[86:87], v[90:91] op_sel:[0,0,1] op_sel_hi:[1,0,0]
	s_delay_alu instid0(VALU_DEP_1) | instskip(SKIP_4) | instid1(VALU_DEP_1)
	v_mov_b32_e32 v95, v91
	ds_load_2addr_b64 v[90:93], v124 offset0:14 offset1:15
	v_pk_add_f32 v[68:69], v[68:69], v[94:95] neg_lo:[0,1] neg_hi:[0,1]
	s_wait_dscnt 0x0
	v_pk_mul_f32 v[94:95], v[90:91], v[88:89] op_sel:[0,1]
	v_pk_fma_f32 v[96:97], v[90:91], v[86:87], v[94:95] op_sel:[0,0,1] op_sel_hi:[1,1,0] neg_lo:[0,0,1] neg_hi:[0,0,1]
	v_pk_fma_f32 v[90:91], v[90:91], v[86:87], v[94:95] op_sel:[0,0,1] op_sel_hi:[1,0,0]
	v_dual_mul_f32 v94, v93, v89 :: v_dual_mov_b32 v90, v93
	s_delay_alu instid0(VALU_DEP_2) | instskip(NEXT) | instid1(VALU_DEP_2)
	v_dual_mov_b32 v97, v91 :: v_dual_mov_b32 v91, v92
	v_pk_fma_f32 v[94:95], v[92:93], v[56:57], v[94:95] op_sel_hi:[1,1,0] neg_lo:[0,0,1] neg_hi:[0,0,1]
	v_mul_f32_e32 v92, v93, v86
	s_delay_alu instid0(VALU_DEP_3) | instskip(NEXT) | instid1(VALU_DEP_2)
	v_pk_add_f32 v[70:71], v[70:71], v[96:97] neg_lo:[0,1] neg_hi:[0,1]
	v_pk_fma_f32 v[90:91], v[90:91], v[56:57], v[92:93] op_sel_hi:[1,1,0]
	s_delay_alu instid0(VALU_DEP_1) | instskip(SKIP_4) | instid1(VALU_DEP_1)
	v_mov_b32_e32 v95, v91
	ds_load_2addr_b64 v[90:93], v124 offset0:16 offset1:17
	v_pk_add_f32 v[66:67], v[66:67], v[94:95] neg_lo:[0,1] neg_hi:[0,1]
	s_wait_dscnt 0x0
	v_pk_mul_f32 v[94:95], v[90:91], v[88:89] op_sel:[0,1]
	v_pk_fma_f32 v[96:97], v[90:91], v[86:87], v[94:95] op_sel:[0,0,1] op_sel_hi:[1,1,0] neg_lo:[0,0,1] neg_hi:[0,0,1]
	v_pk_fma_f32 v[90:91], v[90:91], v[86:87], v[94:95] op_sel:[0,0,1] op_sel_hi:[1,0,0]
	s_delay_alu instid0(VALU_DEP_1) | instskip(SKIP_1) | instid1(VALU_DEP_1)
	v_mov_b32_e32 v97, v91
	v_pk_mul_f32 v[90:91], v[92:93], v[88:89] op_sel:[0,1]
	v_pk_fma_f32 v[94:95], v[92:93], v[86:87], v[90:91] op_sel:[0,0,1] op_sel_hi:[1,1,0] neg_lo:[0,0,1] neg_hi:[0,0,1]
	v_pk_fma_f32 v[90:91], v[92:93], v[86:87], v[90:91] op_sel:[0,0,1] op_sel_hi:[1,0,0]
	s_delay_alu instid0(VALU_DEP_1)
	v_mov_b32_e32 v95, v91
	ds_load_2addr_b64 v[90:93], v124 offset0:18 offset1:19
	v_pk_add_f32 v[80:81], v[80:81], v[96:97] neg_lo:[0,1] neg_hi:[0,1]
	v_pk_add_f32 v[76:77], v[76:77], v[94:95] neg_lo:[0,1] neg_hi:[0,1]
	s_wait_dscnt 0x0
	v_pk_mul_f32 v[94:95], v[90:91], v[88:89] op_sel:[0,1]
	v_mul_f32_e32 v88, v93, v89
	s_delay_alu instid0(VALU_DEP_2) | instskip(SKIP_2) | instid1(VALU_DEP_4)
	v_pk_fma_f32 v[96:97], v[90:91], v[86:87], v[94:95] op_sel:[0,0,1] op_sel_hi:[1,1,0] neg_lo:[0,0,1] neg_hi:[0,0,1]
	v_pk_fma_f32 v[90:91], v[90:91], v[86:87], v[94:95] op_sel:[0,0,1] op_sel_hi:[1,0,0]
	v_dual_mov_b32 v90, v93 :: v_dual_mul_f32 v86, v93, v86
	v_pk_fma_f32 v[88:89], v[92:93], v[56:57], v[88:89] op_sel_hi:[1,1,0] neg_lo:[0,0,1] neg_hi:[0,0,1]
	s_delay_alu instid0(VALU_DEP_3) | instskip(NEXT) | instid1(VALU_DEP_1)
	v_dual_mov_b32 v97, v91 :: v_dual_mov_b32 v91, v92
	v_pk_add_f32 v[74:75], v[74:75], v[96:97] neg_lo:[0,1] neg_hi:[0,1]
	s_delay_alu instid0(VALU_DEP_2) | instskip(NEXT) | instid1(VALU_DEP_1)
	v_pk_fma_f32 v[86:87], v[90:91], v[56:57], v[86:87] op_sel_hi:[1,1,0]
	v_mov_b32_e32 v89, v87
	s_delay_alu instid0(VALU_DEP_1)
	v_pk_add_f32 v[78:79], v[78:79], v[88:89] neg_lo:[0,1] neg_hi:[0,1]
.LBB39_19:
	s_or_b32 exec_lo, exec_lo, s1
	s_delay_alu instid0(SALU_CYCLE_1)
	s_mov_b32 s2, exec_lo
	s_wait_dscnt 0x0
	s_barrier_signal -1
	s_barrier_wait -1
	v_cmpx_eq_u32_e32 2, v122
	s_cbranch_execz .LBB39_26
; %bb.20:
	ds_store_b64 v123, v[50:51]
	ds_store_2addr_b64 v124, v[44:45], v[28:29] offset0:3 offset1:4
	ds_store_2addr_b64 v124, v[24:25], v[26:27] offset0:5 offset1:6
	;; [unrolled: 1-line block ×8, first 2 shown]
	ds_store_b64 v124, v[78:79] offset:152
	ds_load_b64 v[86:87], v123
	s_wait_dscnt 0x0
	v_cmp_neq_f32_e32 vcc_lo, 0, v86
	v_cmp_neq_f32_e64 s1, 0, v87
	s_or_b32 s1, vcc_lo, s1
	s_delay_alu instid0(SALU_CYCLE_1)
	s_and_b32 exec_lo, exec_lo, s1
	s_cbranch_execz .LBB39_26
; %bb.21:
	v_cmp_ngt_f32_e64 s1, |v86|, |v87|
                                        ; implicit-def: $vgpr88_vgpr89
	s_and_saveexec_b32 s4, s1
	s_delay_alu instid0(SALU_CYCLE_1)
	s_xor_b32 s1, exec_lo, s4
	s_cbranch_execz .LBB39_23
; %bb.22:
	v_div_scale_f32 v88, null, v87, v87, v86
	v_div_scale_f32 v91, vcc_lo, v86, v87, v86
	s_delay_alu instid0(VALU_DEP_2) | instskip(SKIP_1) | instid1(TRANS32_DEP_1)
	v_rcp_f32_e32 v89, v88
	v_nop
	v_fma_f32 v90, -v88, v89, 1.0
	s_delay_alu instid0(VALU_DEP_1) | instskip(NEXT) | instid1(VALU_DEP_1)
	v_fmac_f32_e32 v89, v90, v89
	v_mul_f32_e32 v90, v91, v89
	s_delay_alu instid0(VALU_DEP_1) | instskip(NEXT) | instid1(VALU_DEP_1)
	v_fma_f32 v92, -v88, v90, v91
	v_fmac_f32_e32 v90, v92, v89
	s_delay_alu instid0(VALU_DEP_1) | instskip(NEXT) | instid1(VALU_DEP_1)
	v_fma_f32 v88, -v88, v90, v91
	v_div_fmas_f32 v88, v88, v89, v90
	s_delay_alu instid0(VALU_DEP_1) | instskip(NEXT) | instid1(VALU_DEP_1)
	v_div_fixup_f32 v88, v88, v87, v86
	v_fmac_f32_e32 v87, v86, v88
	s_delay_alu instid0(VALU_DEP_1) | instskip(SKIP_1) | instid1(VALU_DEP_2)
	v_div_scale_f32 v86, null, v87, v87, 1.0
	v_div_scale_f32 v91, vcc_lo, 1.0, v87, 1.0
	v_rcp_f32_e32 v89, v86
	v_nop
	s_delay_alu instid0(TRANS32_DEP_1) | instskip(NEXT) | instid1(VALU_DEP_1)
	v_fma_f32 v90, -v86, v89, 1.0
	v_fmac_f32_e32 v89, v90, v89
	s_delay_alu instid0(VALU_DEP_1) | instskip(NEXT) | instid1(VALU_DEP_1)
	v_mul_f32_e32 v90, v91, v89
	v_fma_f32 v92, -v86, v90, v91
	s_delay_alu instid0(VALU_DEP_1) | instskip(NEXT) | instid1(VALU_DEP_1)
	v_fmac_f32_e32 v90, v92, v89
	v_fma_f32 v86, -v86, v90, v91
	s_delay_alu instid0(VALU_DEP_1) | instskip(NEXT) | instid1(VALU_DEP_1)
	v_div_fmas_f32 v86, v86, v89, v90
	v_div_fixup_f32 v86, v86, v87, 1.0
	s_delay_alu instid0(VALU_DEP_1)
	v_mul_f32_e32 v88, v88, v86
	v_xor_b32_e32 v89, 0x80000000, v86
                                        ; implicit-def: $vgpr86_vgpr87
.LBB39_23:
	s_and_not1_saveexec_b32 s1, s1
	s_cbranch_execz .LBB39_25
; %bb.24:
	v_div_scale_f32 v88, null, v86, v86, v87
	v_div_scale_f32 v91, vcc_lo, v87, v86, v87
	s_delay_alu instid0(VALU_DEP_2) | instskip(SKIP_1) | instid1(TRANS32_DEP_1)
	v_rcp_f32_e32 v89, v88
	v_nop
	v_fma_f32 v90, -v88, v89, 1.0
	s_delay_alu instid0(VALU_DEP_1) | instskip(NEXT) | instid1(VALU_DEP_1)
	v_fmac_f32_e32 v89, v90, v89
	v_mul_f32_e32 v90, v91, v89
	s_delay_alu instid0(VALU_DEP_1) | instskip(NEXT) | instid1(VALU_DEP_1)
	v_fma_f32 v92, -v88, v90, v91
	v_fmac_f32_e32 v90, v92, v89
	s_delay_alu instid0(VALU_DEP_1) | instskip(NEXT) | instid1(VALU_DEP_1)
	v_fma_f32 v88, -v88, v90, v91
	v_div_fmas_f32 v88, v88, v89, v90
	s_delay_alu instid0(VALU_DEP_1) | instskip(NEXT) | instid1(VALU_DEP_1)
	v_div_fixup_f32 v89, v88, v86, v87
	v_fmac_f32_e32 v86, v87, v89
	s_delay_alu instid0(VALU_DEP_1) | instskip(NEXT) | instid1(VALU_DEP_1)
	v_div_scale_f32 v87, null, v86, v86, 1.0
	v_rcp_f32_e32 v88, v87
	v_nop
	s_delay_alu instid0(TRANS32_DEP_1) | instskip(NEXT) | instid1(VALU_DEP_1)
	v_fma_f32 v90, -v87, v88, 1.0
	v_fmac_f32_e32 v88, v90, v88
	v_div_scale_f32 v90, vcc_lo, 1.0, v86, 1.0
	s_delay_alu instid0(VALU_DEP_1) | instskip(NEXT) | instid1(VALU_DEP_1)
	v_mul_f32_e32 v91, v90, v88
	v_fma_f32 v92, -v87, v91, v90
	s_delay_alu instid0(VALU_DEP_1) | instskip(NEXT) | instid1(VALU_DEP_1)
	v_fmac_f32_e32 v91, v92, v88
	v_fma_f32 v87, -v87, v91, v90
	s_delay_alu instid0(VALU_DEP_1) | instskip(NEXT) | instid1(VALU_DEP_1)
	v_div_fmas_f32 v87, v87, v88, v91
	v_div_fixup_f32 v88, v87, v86, 1.0
	s_delay_alu instid0(VALU_DEP_1)
	v_mul_f32_e64 v89, v89, -v88
.LBB39_25:
	s_or_b32 exec_lo, exec_lo, s1
	ds_store_b64 v123, v[88:89]
.LBB39_26:
	s_or_b32 exec_lo, exec_lo, s2
	s_wait_dscnt 0x0
	s_barrier_signal -1
	s_barrier_wait -1
	ds_load_b64 v[86:87], v123
	s_mov_b32 s1, exec_lo
	v_cmpx_lt_u32_e32 2, v122
	s_cbranch_execz .LBB39_28
; %bb.27:
	ds_load_2addr_b64 v[92:95], v124 offset0:3 offset1:4
	s_wait_dscnt 0x1
	v_pk_mul_f32 v[90:91], v[86:87], v[50:51] op_sel:[1,1] op_sel_hi:[0,1]
	s_delay_alu instid0(VALU_DEP_1) | instskip(SKIP_1) | instid1(VALU_DEP_1)
	v_pk_fma_f32 v[88:89], v[86:87], v[50:51], v[90:91] op_sel_hi:[1,0,1] neg_lo:[0,0,1] neg_hi:[0,0,1]
	v_pk_fma_f32 v[90:91], v[86:87], v[50:51], v[90:91] op_sel_hi:[1,0,1]
	v_dual_mov_b32 v50, v88 :: v_dual_mov_b32 v51, v91
	s_wait_dscnt 0x0
	s_delay_alu instid0(VALU_DEP_2) | instskip(NEXT) | instid1(VALU_DEP_1)
	v_pk_mul_f32 v[96:97], v[92:93], v[90:91] op_sel:[0,1]
	v_pk_fma_f32 v[98:99], v[92:93], v[88:89], v[96:97] op_sel:[0,0,1] op_sel_hi:[1,1,0] neg_lo:[0,0,1] neg_hi:[0,0,1]
	v_pk_fma_f32 v[92:93], v[92:93], v[88:89], v[96:97] op_sel:[0,0,1] op_sel_hi:[1,0,0]
	s_delay_alu instid0(VALU_DEP_1) | instskip(SKIP_1) | instid1(VALU_DEP_1)
	v_mov_b32_e32 v99, v93
	v_pk_mul_f32 v[92:93], v[94:95], v[90:91] op_sel:[0,1]
	v_pk_fma_f32 v[96:97], v[94:95], v[88:89], v[92:93] op_sel:[0,0,1] op_sel_hi:[1,1,0] neg_lo:[0,0,1] neg_hi:[0,0,1]
	v_pk_fma_f32 v[92:93], v[94:95], v[88:89], v[92:93] op_sel:[0,0,1] op_sel_hi:[1,0,0]
	s_delay_alu instid0(VALU_DEP_1)
	v_mov_b32_e32 v97, v93
	ds_load_2addr_b64 v[92:95], v124 offset0:5 offset1:6
	v_pk_add_f32 v[44:45], v[44:45], v[98:99] neg_lo:[0,1] neg_hi:[0,1]
	v_pk_add_f32 v[28:29], v[28:29], v[96:97] neg_lo:[0,1] neg_hi:[0,1]
	s_wait_dscnt 0x0
	v_pk_mul_f32 v[96:97], v[92:93], v[90:91] op_sel:[0,1]
	s_delay_alu instid0(VALU_DEP_1) | instskip(SKIP_2) | instid1(VALU_DEP_2)
	v_pk_fma_f32 v[98:99], v[92:93], v[88:89], v[96:97] op_sel:[0,0,1] op_sel_hi:[1,1,0] neg_lo:[0,0,1] neg_hi:[0,0,1]
	v_pk_fma_f32 v[92:93], v[92:93], v[88:89], v[96:97] op_sel:[0,0,1] op_sel_hi:[1,0,0]
	v_dual_mul_f32 v96, v95, v91 :: v_dual_mov_b32 v92, v95
	v_dual_mov_b32 v99, v93 :: v_dual_mov_b32 v93, v94
	s_delay_alu instid0(VALU_DEP_2) | instskip(SKIP_1) | instid1(VALU_DEP_3)
	v_pk_fma_f32 v[96:97], v[94:95], v[50:51], v[96:97] op_sel_hi:[1,1,0] neg_lo:[0,0,1] neg_hi:[0,0,1]
	v_mul_f32_e32 v94, v95, v88
	v_pk_add_f32 v[24:25], v[24:25], v[98:99] neg_lo:[0,1] neg_hi:[0,1]
	s_delay_alu instid0(VALU_DEP_2) | instskip(NEXT) | instid1(VALU_DEP_1)
	v_pk_fma_f32 v[92:93], v[92:93], v[50:51], v[94:95] op_sel_hi:[1,1,0]
	v_mov_b32_e32 v97, v93
	ds_load_2addr_b64 v[92:95], v124 offset0:7 offset1:8
	v_pk_add_f32 v[26:27], v[26:27], v[96:97] neg_lo:[0,1] neg_hi:[0,1]
	s_wait_dscnt 0x0
	v_pk_mul_f32 v[96:97], v[92:93], v[90:91] op_sel:[0,1]
	s_delay_alu instid0(VALU_DEP_1) | instskip(SKIP_1) | instid1(VALU_DEP_1)
	v_pk_fma_f32 v[98:99], v[92:93], v[88:89], v[96:97] op_sel:[0,0,1] op_sel_hi:[1,1,0] neg_lo:[0,0,1] neg_hi:[0,0,1]
	v_pk_fma_f32 v[92:93], v[92:93], v[88:89], v[96:97] op_sel:[0,0,1] op_sel_hi:[1,0,0]
	v_mov_b32_e32 v99, v93
	v_pk_mul_f32 v[92:93], v[94:95], v[90:91] op_sel:[0,1]
	s_delay_alu instid0(VALU_DEP_1) | instskip(SKIP_1) | instid1(VALU_DEP_1)
	v_pk_fma_f32 v[96:97], v[94:95], v[88:89], v[92:93] op_sel:[0,0,1] op_sel_hi:[1,1,0] neg_lo:[0,0,1] neg_hi:[0,0,1]
	v_pk_fma_f32 v[92:93], v[94:95], v[88:89], v[92:93] op_sel:[0,0,1] op_sel_hi:[1,0,0]
	v_mov_b32_e32 v97, v93
	ds_load_2addr_b64 v[92:95], v124 offset0:9 offset1:10
	v_pk_add_f32 v[22:23], v[22:23], v[98:99] neg_lo:[0,1] neg_hi:[0,1]
	v_pk_add_f32 v[48:49], v[48:49], v[96:97] neg_lo:[0,1] neg_hi:[0,1]
	s_wait_dscnt 0x0
	v_pk_mul_f32 v[96:97], v[92:93], v[90:91] op_sel:[0,1]
	s_delay_alu instid0(VALU_DEP_1) | instskip(SKIP_1) | instid1(VALU_DEP_1)
	v_pk_fma_f32 v[98:99], v[92:93], v[88:89], v[96:97] op_sel:[0,0,1] op_sel_hi:[1,1,0] neg_lo:[0,0,1] neg_hi:[0,0,1]
	v_pk_fma_f32 v[92:93], v[92:93], v[88:89], v[96:97] op_sel:[0,0,1] op_sel_hi:[1,0,0]
	v_mov_b32_e32 v99, v93
	v_pk_mul_f32 v[92:93], v[94:95], v[90:91] op_sel:[0,1]
	s_delay_alu instid0(VALU_DEP_1) | instskip(SKIP_1) | instid1(VALU_DEP_1)
	v_pk_fma_f32 v[96:97], v[94:95], v[88:89], v[92:93] op_sel:[0,0,1] op_sel_hi:[1,1,0] neg_lo:[0,0,1] neg_hi:[0,0,1]
	v_pk_fma_f32 v[92:93], v[94:95], v[88:89], v[92:93] op_sel:[0,0,1] op_sel_hi:[1,0,0]
	v_mov_b32_e32 v97, v93
	ds_load_2addr_b64 v[92:95], v124 offset0:11 offset1:12
	v_pk_add_f32 v[42:43], v[42:43], v[98:99] neg_lo:[0,1] neg_hi:[0,1]
	v_pk_add_f32 v[46:47], v[46:47], v[96:97] neg_lo:[0,1] neg_hi:[0,1]
	s_wait_dscnt 0x0
	v_dual_mul_f32 v96, v93, v91 :: v_dual_mul_f32 v98, v93, v88
	s_delay_alu instid0(VALU_DEP_1) | instskip(NEXT) | instid1(VALU_DEP_2)
	v_pk_fma_f32 v[96:97], v[92:93], v[50:51], v[96:97] op_sel_hi:[1,1,0] neg_lo:[0,0,1] neg_hi:[0,0,1]
	v_pk_fma_f32 v[92:93], v[92:93], v[50:51], v[98:99] op_sel:[1,0,0] op_sel_hi:[0,1,0]
	s_delay_alu instid0(VALU_DEP_1) | instskip(SKIP_1) | instid1(VALU_DEP_2)
	v_mov_b32_e32 v97, v93
	v_pk_mul_f32 v[92:93], v[94:95], v[90:91] op_sel:[0,1]
	v_pk_add_f32 v[40:41], v[40:41], v[96:97] neg_lo:[0,1] neg_hi:[0,1]
	s_delay_alu instid0(VALU_DEP_2) | instskip(SKIP_1) | instid1(VALU_DEP_1)
	v_pk_fma_f32 v[96:97], v[94:95], v[88:89], v[92:93] op_sel:[0,0,1] op_sel_hi:[1,1,0] neg_lo:[0,0,1] neg_hi:[0,0,1]
	v_pk_fma_f32 v[92:93], v[94:95], v[88:89], v[92:93] op_sel:[0,0,1] op_sel_hi:[1,0,0]
	v_mov_b32_e32 v97, v93
	ds_load_2addr_b64 v[92:95], v124 offset0:13 offset1:14
	v_pk_add_f32 v[72:73], v[72:73], v[96:97] neg_lo:[0,1] neg_hi:[0,1]
	s_wait_dscnt 0x0
	v_pk_mul_f32 v[96:97], v[92:93], v[90:91] op_sel:[0,1]
	s_delay_alu instid0(VALU_DEP_1) | instskip(SKIP_1) | instid1(VALU_DEP_1)
	v_pk_fma_f32 v[98:99], v[92:93], v[88:89], v[96:97] op_sel:[0,0,1] op_sel_hi:[1,1,0] neg_lo:[0,0,1] neg_hi:[0,0,1]
	v_pk_fma_f32 v[92:93], v[92:93], v[88:89], v[96:97] op_sel:[0,0,1] op_sel_hi:[1,0,0]
	v_mov_b32_e32 v99, v93
	v_pk_mul_f32 v[92:93], v[94:95], v[90:91] op_sel:[0,1]
	s_delay_alu instid0(VALU_DEP_2) | instskip(NEXT) | instid1(VALU_DEP_2)
	v_pk_add_f32 v[68:69], v[68:69], v[98:99] neg_lo:[0,1] neg_hi:[0,1]
	v_pk_fma_f32 v[96:97], v[94:95], v[88:89], v[92:93] op_sel:[0,0,1] op_sel_hi:[1,1,0] neg_lo:[0,0,1] neg_hi:[0,0,1]
	v_pk_fma_f32 v[92:93], v[94:95], v[88:89], v[92:93] op_sel:[0,0,1] op_sel_hi:[1,0,0]
	s_delay_alu instid0(VALU_DEP_1) | instskip(SKIP_4) | instid1(VALU_DEP_1)
	v_mov_b32_e32 v97, v93
	ds_load_2addr_b64 v[92:95], v124 offset0:15 offset1:16
	v_pk_add_f32 v[70:71], v[70:71], v[96:97] neg_lo:[0,1] neg_hi:[0,1]
	s_wait_dscnt 0x0
	v_pk_mul_f32 v[96:97], v[92:93], v[90:91] op_sel:[0,1]
	v_pk_fma_f32 v[98:99], v[92:93], v[88:89], v[96:97] op_sel:[0,0,1] op_sel_hi:[1,1,0] neg_lo:[0,0,1] neg_hi:[0,0,1]
	v_pk_fma_f32 v[92:93], v[92:93], v[88:89], v[96:97] op_sel:[0,0,1] op_sel_hi:[1,0,0]
	v_dual_mul_f32 v96, v95, v91 :: v_dual_mov_b32 v92, v95
	s_delay_alu instid0(VALU_DEP_2) | instskip(NEXT) | instid1(VALU_DEP_2)
	v_dual_mov_b32 v99, v93 :: v_dual_mov_b32 v93, v94
	v_pk_fma_f32 v[96:97], v[94:95], v[50:51], v[96:97] op_sel_hi:[1,1,0] neg_lo:[0,0,1] neg_hi:[0,0,1]
	v_mul_f32_e32 v94, v95, v88
	s_delay_alu instid0(VALU_DEP_3) | instskip(NEXT) | instid1(VALU_DEP_2)
	v_pk_add_f32 v[66:67], v[66:67], v[98:99] neg_lo:[0,1] neg_hi:[0,1]
	v_pk_fma_f32 v[92:93], v[92:93], v[50:51], v[94:95] op_sel_hi:[1,1,0]
	s_delay_alu instid0(VALU_DEP_1) | instskip(SKIP_4) | instid1(VALU_DEP_1)
	v_mov_b32_e32 v97, v93
	ds_load_2addr_b64 v[92:95], v124 offset0:17 offset1:18
	v_pk_add_f32 v[80:81], v[80:81], v[96:97] neg_lo:[0,1] neg_hi:[0,1]
	s_wait_dscnt 0x0
	v_pk_mul_f32 v[96:97], v[92:93], v[90:91] op_sel:[0,1]
	v_pk_fma_f32 v[98:99], v[92:93], v[88:89], v[96:97] op_sel:[0,0,1] op_sel_hi:[1,1,0] neg_lo:[0,0,1] neg_hi:[0,0,1]
	v_pk_fma_f32 v[92:93], v[92:93], v[88:89], v[96:97] op_sel:[0,0,1] op_sel_hi:[1,0,0]
	s_delay_alu instid0(VALU_DEP_1) | instskip(SKIP_1) | instid1(VALU_DEP_1)
	v_mov_b32_e32 v99, v93
	v_pk_mul_f32 v[92:93], v[94:95], v[90:91] op_sel:[0,1]
	v_pk_fma_f32 v[96:97], v[94:95], v[88:89], v[92:93] op_sel:[0,0,1] op_sel_hi:[1,1,0] neg_lo:[0,0,1] neg_hi:[0,0,1]
	v_pk_fma_f32 v[92:93], v[94:95], v[88:89], v[92:93] op_sel:[0,0,1] op_sel_hi:[1,0,0]
	s_delay_alu instid0(VALU_DEP_1)
	v_mov_b32_e32 v97, v93
	ds_load_b64 v[92:93], v124 offset:152
	v_pk_add_f32 v[76:77], v[76:77], v[98:99] neg_lo:[0,1] neg_hi:[0,1]
	v_pk_add_f32 v[74:75], v[74:75], v[96:97] neg_lo:[0,1] neg_hi:[0,1]
	s_wait_dscnt 0x0
	v_pk_mul_f32 v[90:91], v[92:93], v[90:91] op_sel:[0,1]
	s_delay_alu instid0(VALU_DEP_1) | instskip(SKIP_1) | instid1(VALU_DEP_1)
	v_pk_fma_f32 v[94:95], v[92:93], v[88:89], v[90:91] op_sel:[0,0,1] op_sel_hi:[1,1,0] neg_lo:[0,0,1] neg_hi:[0,0,1]
	v_pk_fma_f32 v[88:89], v[92:93], v[88:89], v[90:91] op_sel:[0,0,1] op_sel_hi:[1,0,0]
	v_mov_b32_e32 v95, v89
	s_delay_alu instid0(VALU_DEP_1)
	v_pk_add_f32 v[78:79], v[78:79], v[94:95] neg_lo:[0,1] neg_hi:[0,1]
.LBB39_28:
	s_or_b32 exec_lo, exec_lo, s1
	s_delay_alu instid0(SALU_CYCLE_1)
	s_mov_b32 s2, exec_lo
	s_wait_dscnt 0x0
	s_barrier_signal -1
	s_barrier_wait -1
	v_cmpx_eq_u32_e32 3, v122
	s_cbranch_execz .LBB39_35
; %bb.29:
	v_dual_mov_b32 v88, v28 :: v_dual_mov_b32 v89, v29
	v_dual_mov_b32 v90, v24 :: v_dual_mov_b32 v91, v25
	ds_store_b64 v123, v[44:45]
	ds_store_2addr_b64 v124, v[88:89], v[90:91] offset0:4 offset1:5
	v_dual_mov_b32 v88, v26 :: v_dual_mov_b32 v89, v27
	v_dual_mov_b32 v90, v22 :: v_dual_mov_b32 v91, v23
	ds_store_2addr_b64 v124, v[88:89], v[90:91] offset0:6 offset1:7
	v_dual_mov_b32 v88, v48 :: v_dual_mov_b32 v89, v49
	v_dual_mov_b32 v90, v42 :: v_dual_mov_b32 v91, v43
	;; [unrolled: 3-line block ×6, first 2 shown]
	ds_store_2addr_b64 v124, v[88:89], v[90:91] offset0:16 offset1:17
	v_dual_mov_b32 v88, v74 :: v_dual_mov_b32 v89, v75
	ds_store_2addr_b64 v124, v[88:89], v[78:79] offset0:18 offset1:19
	ds_load_b64 v[88:89], v123
	s_wait_dscnt 0x0
	v_cmp_neq_f32_e32 vcc_lo, 0, v88
	v_cmp_neq_f32_e64 s1, 0, v89
	s_or_b32 s1, vcc_lo, s1
	s_delay_alu instid0(SALU_CYCLE_1)
	s_and_b32 exec_lo, exec_lo, s1
	s_cbranch_execz .LBB39_35
; %bb.30:
	v_cmp_ngt_f32_e64 s1, |v88|, |v89|
                                        ; implicit-def: $vgpr90_vgpr91
	s_and_saveexec_b32 s4, s1
	s_delay_alu instid0(SALU_CYCLE_1)
	s_xor_b32 s1, exec_lo, s4
	s_cbranch_execz .LBB39_32
; %bb.31:
	v_div_scale_f32 v90, null, v89, v89, v88
	v_div_scale_f32 v93, vcc_lo, v88, v89, v88
	s_delay_alu instid0(VALU_DEP_2) | instskip(SKIP_1) | instid1(TRANS32_DEP_1)
	v_rcp_f32_e32 v91, v90
	v_nop
	v_fma_f32 v92, -v90, v91, 1.0
	s_delay_alu instid0(VALU_DEP_1) | instskip(NEXT) | instid1(VALU_DEP_1)
	v_fmac_f32_e32 v91, v92, v91
	v_mul_f32_e32 v92, v93, v91
	s_delay_alu instid0(VALU_DEP_1) | instskip(NEXT) | instid1(VALU_DEP_1)
	v_fma_f32 v94, -v90, v92, v93
	v_fmac_f32_e32 v92, v94, v91
	s_delay_alu instid0(VALU_DEP_1) | instskip(NEXT) | instid1(VALU_DEP_1)
	v_fma_f32 v90, -v90, v92, v93
	v_div_fmas_f32 v90, v90, v91, v92
	s_delay_alu instid0(VALU_DEP_1) | instskip(NEXT) | instid1(VALU_DEP_1)
	v_div_fixup_f32 v90, v90, v89, v88
	v_fmac_f32_e32 v89, v88, v90
	s_delay_alu instid0(VALU_DEP_1) | instskip(SKIP_1) | instid1(VALU_DEP_2)
	v_div_scale_f32 v88, null, v89, v89, 1.0
	v_div_scale_f32 v93, vcc_lo, 1.0, v89, 1.0
	v_rcp_f32_e32 v91, v88
	v_nop
	s_delay_alu instid0(TRANS32_DEP_1) | instskip(NEXT) | instid1(VALU_DEP_1)
	v_fma_f32 v92, -v88, v91, 1.0
	v_fmac_f32_e32 v91, v92, v91
	s_delay_alu instid0(VALU_DEP_1) | instskip(NEXT) | instid1(VALU_DEP_1)
	v_mul_f32_e32 v92, v93, v91
	v_fma_f32 v94, -v88, v92, v93
	s_delay_alu instid0(VALU_DEP_1) | instskip(NEXT) | instid1(VALU_DEP_1)
	v_fmac_f32_e32 v92, v94, v91
	v_fma_f32 v88, -v88, v92, v93
	s_delay_alu instid0(VALU_DEP_1) | instskip(NEXT) | instid1(VALU_DEP_1)
	v_div_fmas_f32 v88, v88, v91, v92
	v_div_fixup_f32 v88, v88, v89, 1.0
	s_delay_alu instid0(VALU_DEP_1)
	v_mul_f32_e32 v90, v90, v88
	v_xor_b32_e32 v91, 0x80000000, v88
                                        ; implicit-def: $vgpr88_vgpr89
.LBB39_32:
	s_and_not1_saveexec_b32 s1, s1
	s_cbranch_execz .LBB39_34
; %bb.33:
	v_div_scale_f32 v90, null, v88, v88, v89
	v_div_scale_f32 v93, vcc_lo, v89, v88, v89
	s_delay_alu instid0(VALU_DEP_2) | instskip(SKIP_1) | instid1(TRANS32_DEP_1)
	v_rcp_f32_e32 v91, v90
	v_nop
	v_fma_f32 v92, -v90, v91, 1.0
	s_delay_alu instid0(VALU_DEP_1) | instskip(NEXT) | instid1(VALU_DEP_1)
	v_fmac_f32_e32 v91, v92, v91
	v_mul_f32_e32 v92, v93, v91
	s_delay_alu instid0(VALU_DEP_1) | instskip(NEXT) | instid1(VALU_DEP_1)
	v_fma_f32 v94, -v90, v92, v93
	v_fmac_f32_e32 v92, v94, v91
	s_delay_alu instid0(VALU_DEP_1) | instskip(NEXT) | instid1(VALU_DEP_1)
	v_fma_f32 v90, -v90, v92, v93
	v_div_fmas_f32 v90, v90, v91, v92
	s_delay_alu instid0(VALU_DEP_1) | instskip(NEXT) | instid1(VALU_DEP_1)
	v_div_fixup_f32 v91, v90, v88, v89
	v_fmac_f32_e32 v88, v89, v91
	s_delay_alu instid0(VALU_DEP_1) | instskip(NEXT) | instid1(VALU_DEP_1)
	v_div_scale_f32 v89, null, v88, v88, 1.0
	v_rcp_f32_e32 v90, v89
	v_nop
	s_delay_alu instid0(TRANS32_DEP_1) | instskip(NEXT) | instid1(VALU_DEP_1)
	v_fma_f32 v92, -v89, v90, 1.0
	v_fmac_f32_e32 v90, v92, v90
	v_div_scale_f32 v92, vcc_lo, 1.0, v88, 1.0
	s_delay_alu instid0(VALU_DEP_1) | instskip(NEXT) | instid1(VALU_DEP_1)
	v_mul_f32_e32 v93, v92, v90
	v_fma_f32 v94, -v89, v93, v92
	s_delay_alu instid0(VALU_DEP_1) | instskip(NEXT) | instid1(VALU_DEP_1)
	v_fmac_f32_e32 v93, v94, v90
	v_fma_f32 v89, -v89, v93, v92
	s_delay_alu instid0(VALU_DEP_1) | instskip(NEXT) | instid1(VALU_DEP_1)
	v_div_fmas_f32 v89, v89, v90, v93
	v_div_fixup_f32 v90, v89, v88, 1.0
	s_delay_alu instid0(VALU_DEP_1)
	v_mul_f32_e64 v91, v91, -v90
.LBB39_34:
	s_or_b32 exec_lo, exec_lo, s1
	ds_store_b64 v123, v[90:91]
.LBB39_35:
	s_or_b32 exec_lo, exec_lo, s2
	s_wait_dscnt 0x0
	s_barrier_signal -1
	s_barrier_wait -1
	ds_load_b64 v[88:89], v123
	s_mov_b32 s1, exec_lo
	v_cmpx_lt_u32_e32 3, v122
	s_cbranch_execz .LBB39_37
; %bb.36:
	ds_load_2addr_b64 v[94:97], v124 offset0:4 offset1:5
	s_wait_dscnt 0x1
	v_pk_mul_f32 v[92:93], v[88:89], v[44:45] op_sel:[1,1] op_sel_hi:[0,1]
	s_delay_alu instid0(VALU_DEP_1) | instskip(SKIP_1) | instid1(VALU_DEP_1)
	v_pk_fma_f32 v[90:91], v[88:89], v[44:45], v[92:93] op_sel_hi:[1,0,1] neg_lo:[0,0,1] neg_hi:[0,0,1]
	v_pk_fma_f32 v[92:93], v[88:89], v[44:45], v[92:93] op_sel_hi:[1,0,1]
	v_dual_mov_b32 v44, v90 :: v_dual_mov_b32 v45, v93
	s_wait_dscnt 0x0
	s_delay_alu instid0(VALU_DEP_2) | instskip(NEXT) | instid1(VALU_DEP_1)
	v_pk_mul_f32 v[98:99], v[94:95], v[92:93] op_sel:[0,1]
	v_pk_fma_f32 v[100:101], v[94:95], v[90:91], v[98:99] op_sel:[0,0,1] op_sel_hi:[1,1,0] neg_lo:[0,0,1] neg_hi:[0,0,1]
	v_pk_fma_f32 v[94:95], v[94:95], v[90:91], v[98:99] op_sel:[0,0,1] op_sel_hi:[1,0,0]
	s_delay_alu instid0(VALU_DEP_1) | instskip(SKIP_1) | instid1(VALU_DEP_1)
	v_mov_b32_e32 v101, v95
	v_pk_mul_f32 v[94:95], v[96:97], v[92:93] op_sel:[0,1]
	v_pk_fma_f32 v[98:99], v[96:97], v[90:91], v[94:95] op_sel:[0,0,1] op_sel_hi:[1,1,0] neg_lo:[0,0,1] neg_hi:[0,0,1]
	v_pk_fma_f32 v[94:95], v[96:97], v[90:91], v[94:95] op_sel:[0,0,1] op_sel_hi:[1,0,0]
	s_delay_alu instid0(VALU_DEP_1)
	v_mov_b32_e32 v99, v95
	ds_load_2addr_b64 v[94:97], v124 offset0:6 offset1:7
	v_pk_add_f32 v[28:29], v[28:29], v[100:101] neg_lo:[0,1] neg_hi:[0,1]
	v_pk_add_f32 v[24:25], v[24:25], v[98:99] neg_lo:[0,1] neg_hi:[0,1]
	s_wait_dscnt 0x0
	v_pk_mul_f32 v[98:99], v[94:95], v[92:93] op_sel:[0,1]
	s_delay_alu instid0(VALU_DEP_1) | instskip(SKIP_2) | instid1(VALU_DEP_2)
	v_pk_fma_f32 v[100:101], v[94:95], v[90:91], v[98:99] op_sel:[0,0,1] op_sel_hi:[1,1,0] neg_lo:[0,0,1] neg_hi:[0,0,1]
	v_pk_fma_f32 v[94:95], v[94:95], v[90:91], v[98:99] op_sel:[0,0,1] op_sel_hi:[1,0,0]
	v_dual_mul_f32 v98, v97, v93 :: v_dual_mov_b32 v94, v97
	v_dual_mov_b32 v101, v95 :: v_dual_mov_b32 v95, v96
	s_delay_alu instid0(VALU_DEP_2) | instskip(SKIP_1) | instid1(VALU_DEP_3)
	v_pk_fma_f32 v[98:99], v[96:97], v[44:45], v[98:99] op_sel_hi:[1,1,0] neg_lo:[0,0,1] neg_hi:[0,0,1]
	v_mul_f32_e32 v96, v97, v90
	v_pk_add_f32 v[26:27], v[26:27], v[100:101] neg_lo:[0,1] neg_hi:[0,1]
	s_delay_alu instid0(VALU_DEP_2) | instskip(NEXT) | instid1(VALU_DEP_1)
	v_pk_fma_f32 v[94:95], v[94:95], v[44:45], v[96:97] op_sel_hi:[1,1,0]
	v_mov_b32_e32 v99, v95
	ds_load_2addr_b64 v[94:97], v124 offset0:8 offset1:9
	v_pk_add_f32 v[22:23], v[22:23], v[98:99] neg_lo:[0,1] neg_hi:[0,1]
	s_wait_dscnt 0x0
	v_pk_mul_f32 v[98:99], v[94:95], v[92:93] op_sel:[0,1]
	s_delay_alu instid0(VALU_DEP_1) | instskip(SKIP_1) | instid1(VALU_DEP_1)
	v_pk_fma_f32 v[100:101], v[94:95], v[90:91], v[98:99] op_sel:[0,0,1] op_sel_hi:[1,1,0] neg_lo:[0,0,1] neg_hi:[0,0,1]
	v_pk_fma_f32 v[94:95], v[94:95], v[90:91], v[98:99] op_sel:[0,0,1] op_sel_hi:[1,0,0]
	v_mov_b32_e32 v101, v95
	v_pk_mul_f32 v[94:95], v[96:97], v[92:93] op_sel:[0,1]
	s_delay_alu instid0(VALU_DEP_1) | instskip(SKIP_1) | instid1(VALU_DEP_1)
	v_pk_fma_f32 v[98:99], v[96:97], v[90:91], v[94:95] op_sel:[0,0,1] op_sel_hi:[1,1,0] neg_lo:[0,0,1] neg_hi:[0,0,1]
	v_pk_fma_f32 v[94:95], v[96:97], v[90:91], v[94:95] op_sel:[0,0,1] op_sel_hi:[1,0,0]
	v_mov_b32_e32 v99, v95
	ds_load_2addr_b64 v[94:97], v124 offset0:10 offset1:11
	v_pk_add_f32 v[48:49], v[48:49], v[100:101] neg_lo:[0,1] neg_hi:[0,1]
	v_pk_add_f32 v[42:43], v[42:43], v[98:99] neg_lo:[0,1] neg_hi:[0,1]
	s_wait_dscnt 0x0
	v_pk_mul_f32 v[98:99], v[94:95], v[92:93] op_sel:[0,1]
	s_delay_alu instid0(VALU_DEP_1) | instskip(SKIP_1) | instid1(VALU_DEP_1)
	v_pk_fma_f32 v[100:101], v[94:95], v[90:91], v[98:99] op_sel:[0,0,1] op_sel_hi:[1,1,0] neg_lo:[0,0,1] neg_hi:[0,0,1]
	v_pk_fma_f32 v[94:95], v[94:95], v[90:91], v[98:99] op_sel:[0,0,1] op_sel_hi:[1,0,0]
	v_mov_b32_e32 v101, v95
	v_pk_mul_f32 v[94:95], v[96:97], v[92:93] op_sel:[0,1]
	s_delay_alu instid0(VALU_DEP_1) | instskip(SKIP_1) | instid1(VALU_DEP_1)
	v_pk_fma_f32 v[98:99], v[96:97], v[90:91], v[94:95] op_sel:[0,0,1] op_sel_hi:[1,1,0] neg_lo:[0,0,1] neg_hi:[0,0,1]
	v_pk_fma_f32 v[94:95], v[96:97], v[90:91], v[94:95] op_sel:[0,0,1] op_sel_hi:[1,0,0]
	v_mov_b32_e32 v99, v95
	ds_load_2addr_b64 v[94:97], v124 offset0:12 offset1:13
	v_pk_add_f32 v[46:47], v[46:47], v[100:101] neg_lo:[0,1] neg_hi:[0,1]
	v_pk_add_f32 v[40:41], v[40:41], v[98:99] neg_lo:[0,1] neg_hi:[0,1]
	s_wait_dscnt 0x0
	v_dual_mul_f32 v98, v95, v93 :: v_dual_mul_f32 v100, v95, v90
	s_delay_alu instid0(VALU_DEP_1) | instskip(NEXT) | instid1(VALU_DEP_2)
	v_pk_fma_f32 v[98:99], v[94:95], v[44:45], v[98:99] op_sel_hi:[1,1,0] neg_lo:[0,0,1] neg_hi:[0,0,1]
	v_pk_fma_f32 v[94:95], v[94:95], v[44:45], v[100:101] op_sel:[1,0,0] op_sel_hi:[0,1,0]
	s_delay_alu instid0(VALU_DEP_1) | instskip(SKIP_1) | instid1(VALU_DEP_2)
	v_mov_b32_e32 v99, v95
	v_pk_mul_f32 v[94:95], v[96:97], v[92:93] op_sel:[0,1]
	v_pk_add_f32 v[72:73], v[72:73], v[98:99] neg_lo:[0,1] neg_hi:[0,1]
	s_delay_alu instid0(VALU_DEP_2) | instskip(SKIP_1) | instid1(VALU_DEP_1)
	v_pk_fma_f32 v[98:99], v[96:97], v[90:91], v[94:95] op_sel:[0,0,1] op_sel_hi:[1,1,0] neg_lo:[0,0,1] neg_hi:[0,0,1]
	v_pk_fma_f32 v[94:95], v[96:97], v[90:91], v[94:95] op_sel:[0,0,1] op_sel_hi:[1,0,0]
	v_mov_b32_e32 v99, v95
	ds_load_2addr_b64 v[94:97], v124 offset0:14 offset1:15
	v_pk_add_f32 v[68:69], v[68:69], v[98:99] neg_lo:[0,1] neg_hi:[0,1]
	s_wait_dscnt 0x0
	v_pk_mul_f32 v[98:99], v[94:95], v[92:93] op_sel:[0,1]
	s_delay_alu instid0(VALU_DEP_1) | instskip(SKIP_1) | instid1(VALU_DEP_1)
	v_pk_fma_f32 v[100:101], v[94:95], v[90:91], v[98:99] op_sel:[0,0,1] op_sel_hi:[1,1,0] neg_lo:[0,0,1] neg_hi:[0,0,1]
	v_pk_fma_f32 v[94:95], v[94:95], v[90:91], v[98:99] op_sel:[0,0,1] op_sel_hi:[1,0,0]
	v_mov_b32_e32 v101, v95
	v_pk_mul_f32 v[94:95], v[96:97], v[92:93] op_sel:[0,1]
	s_delay_alu instid0(VALU_DEP_2) | instskip(NEXT) | instid1(VALU_DEP_2)
	v_pk_add_f32 v[70:71], v[70:71], v[100:101] neg_lo:[0,1] neg_hi:[0,1]
	v_pk_fma_f32 v[98:99], v[96:97], v[90:91], v[94:95] op_sel:[0,0,1] op_sel_hi:[1,1,0] neg_lo:[0,0,1] neg_hi:[0,0,1]
	v_pk_fma_f32 v[94:95], v[96:97], v[90:91], v[94:95] op_sel:[0,0,1] op_sel_hi:[1,0,0]
	s_delay_alu instid0(VALU_DEP_1) | instskip(SKIP_4) | instid1(VALU_DEP_1)
	v_mov_b32_e32 v99, v95
	ds_load_2addr_b64 v[94:97], v124 offset0:16 offset1:17
	v_pk_add_f32 v[66:67], v[66:67], v[98:99] neg_lo:[0,1] neg_hi:[0,1]
	s_wait_dscnt 0x0
	v_pk_mul_f32 v[98:99], v[94:95], v[92:93] op_sel:[0,1]
	v_pk_fma_f32 v[100:101], v[94:95], v[90:91], v[98:99] op_sel:[0,0,1] op_sel_hi:[1,1,0] neg_lo:[0,0,1] neg_hi:[0,0,1]
	v_pk_fma_f32 v[94:95], v[94:95], v[90:91], v[98:99] op_sel:[0,0,1] op_sel_hi:[1,0,0]
	v_dual_mul_f32 v98, v97, v93 :: v_dual_mov_b32 v94, v97
	s_delay_alu instid0(VALU_DEP_2) | instskip(NEXT) | instid1(VALU_DEP_2)
	v_dual_mov_b32 v101, v95 :: v_dual_mov_b32 v95, v96
	v_pk_fma_f32 v[98:99], v[96:97], v[44:45], v[98:99] op_sel_hi:[1,1,0] neg_lo:[0,0,1] neg_hi:[0,0,1]
	v_mul_f32_e32 v96, v97, v90
	s_delay_alu instid0(VALU_DEP_3) | instskip(NEXT) | instid1(VALU_DEP_2)
	v_pk_add_f32 v[80:81], v[80:81], v[100:101] neg_lo:[0,1] neg_hi:[0,1]
	v_pk_fma_f32 v[94:95], v[94:95], v[44:45], v[96:97] op_sel_hi:[1,1,0]
	s_delay_alu instid0(VALU_DEP_1)
	v_mov_b32_e32 v99, v95
	ds_load_2addr_b64 v[94:97], v124 offset0:18 offset1:19
	v_pk_add_f32 v[76:77], v[76:77], v[98:99] neg_lo:[0,1] neg_hi:[0,1]
	s_wait_dscnt 0x0
	v_pk_mul_f32 v[98:99], v[94:95], v[92:93] op_sel:[0,1]
	v_pk_mul_f32 v[92:93], v[96:97], v[92:93] op_sel:[0,1]
	s_delay_alu instid0(VALU_DEP_2) | instskip(SKIP_1) | instid1(VALU_DEP_1)
	v_pk_fma_f32 v[100:101], v[94:95], v[90:91], v[98:99] op_sel:[0,0,1] op_sel_hi:[1,1,0] neg_lo:[0,0,1] neg_hi:[0,0,1]
	v_pk_fma_f32 v[94:95], v[94:95], v[90:91], v[98:99] op_sel:[0,0,1] op_sel_hi:[1,0,0]
	v_mov_b32_e32 v101, v95
	s_delay_alu instid0(VALU_DEP_4) | instskip(SKIP_1) | instid1(VALU_DEP_1)
	v_pk_fma_f32 v[94:95], v[96:97], v[90:91], v[92:93] op_sel:[0,0,1] op_sel_hi:[1,1,0] neg_lo:[0,0,1] neg_hi:[0,0,1]
	v_pk_fma_f32 v[90:91], v[96:97], v[90:91], v[92:93] op_sel:[0,0,1] op_sel_hi:[1,0,0]
	v_mov_b32_e32 v95, v91
	s_delay_alu instid0(VALU_DEP_4) | instskip(NEXT) | instid1(VALU_DEP_2)
	v_pk_add_f32 v[74:75], v[74:75], v[100:101] neg_lo:[0,1] neg_hi:[0,1]
	v_pk_add_f32 v[78:79], v[78:79], v[94:95] neg_lo:[0,1] neg_hi:[0,1]
.LBB39_37:
	s_or_b32 exec_lo, exec_lo, s1
	s_delay_alu instid0(SALU_CYCLE_1)
	s_mov_b32 s2, exec_lo
	s_wait_dscnt 0x0
	s_barrier_signal -1
	s_barrier_wait -1
	v_cmpx_eq_u32_e32 4, v122
	s_cbranch_execz .LBB39_44
; %bb.38:
	ds_store_b64 v123, v[28:29]
	ds_store_2addr_b64 v124, v[24:25], v[26:27] offset0:5 offset1:6
	ds_store_2addr_b64 v124, v[22:23], v[48:49] offset0:7 offset1:8
	;; [unrolled: 1-line block ×7, first 2 shown]
	ds_store_b64 v124, v[78:79] offset:152
	ds_load_b64 v[90:91], v123
	s_wait_dscnt 0x0
	v_cmp_neq_f32_e32 vcc_lo, 0, v90
	v_cmp_neq_f32_e64 s1, 0, v91
	s_or_b32 s1, vcc_lo, s1
	s_delay_alu instid0(SALU_CYCLE_1)
	s_and_b32 exec_lo, exec_lo, s1
	s_cbranch_execz .LBB39_44
; %bb.39:
	v_cmp_ngt_f32_e64 s1, |v90|, |v91|
                                        ; implicit-def: $vgpr92_vgpr93
	s_and_saveexec_b32 s4, s1
	s_delay_alu instid0(SALU_CYCLE_1)
	s_xor_b32 s1, exec_lo, s4
	s_cbranch_execz .LBB39_41
; %bb.40:
	v_div_scale_f32 v92, null, v91, v91, v90
	v_div_scale_f32 v95, vcc_lo, v90, v91, v90
	s_delay_alu instid0(VALU_DEP_2) | instskip(SKIP_1) | instid1(TRANS32_DEP_1)
	v_rcp_f32_e32 v93, v92
	v_nop
	v_fma_f32 v94, -v92, v93, 1.0
	s_delay_alu instid0(VALU_DEP_1) | instskip(NEXT) | instid1(VALU_DEP_1)
	v_fmac_f32_e32 v93, v94, v93
	v_mul_f32_e32 v94, v95, v93
	s_delay_alu instid0(VALU_DEP_1) | instskip(NEXT) | instid1(VALU_DEP_1)
	v_fma_f32 v96, -v92, v94, v95
	v_fmac_f32_e32 v94, v96, v93
	s_delay_alu instid0(VALU_DEP_1) | instskip(NEXT) | instid1(VALU_DEP_1)
	v_fma_f32 v92, -v92, v94, v95
	v_div_fmas_f32 v92, v92, v93, v94
	s_delay_alu instid0(VALU_DEP_1) | instskip(NEXT) | instid1(VALU_DEP_1)
	v_div_fixup_f32 v92, v92, v91, v90
	v_fmac_f32_e32 v91, v90, v92
	s_delay_alu instid0(VALU_DEP_1) | instskip(SKIP_1) | instid1(VALU_DEP_2)
	v_div_scale_f32 v90, null, v91, v91, 1.0
	v_div_scale_f32 v95, vcc_lo, 1.0, v91, 1.0
	v_rcp_f32_e32 v93, v90
	v_nop
	s_delay_alu instid0(TRANS32_DEP_1) | instskip(NEXT) | instid1(VALU_DEP_1)
	v_fma_f32 v94, -v90, v93, 1.0
	v_fmac_f32_e32 v93, v94, v93
	s_delay_alu instid0(VALU_DEP_1) | instskip(NEXT) | instid1(VALU_DEP_1)
	v_mul_f32_e32 v94, v95, v93
	v_fma_f32 v96, -v90, v94, v95
	s_delay_alu instid0(VALU_DEP_1) | instskip(NEXT) | instid1(VALU_DEP_1)
	v_fmac_f32_e32 v94, v96, v93
	v_fma_f32 v90, -v90, v94, v95
	s_delay_alu instid0(VALU_DEP_1) | instskip(NEXT) | instid1(VALU_DEP_1)
	v_div_fmas_f32 v90, v90, v93, v94
	v_div_fixup_f32 v90, v90, v91, 1.0
	s_delay_alu instid0(VALU_DEP_1)
	v_mul_f32_e32 v92, v92, v90
	v_xor_b32_e32 v93, 0x80000000, v90
                                        ; implicit-def: $vgpr90_vgpr91
.LBB39_41:
	s_and_not1_saveexec_b32 s1, s1
	s_cbranch_execz .LBB39_43
; %bb.42:
	v_div_scale_f32 v92, null, v90, v90, v91
	v_div_scale_f32 v95, vcc_lo, v91, v90, v91
	s_delay_alu instid0(VALU_DEP_2) | instskip(SKIP_1) | instid1(TRANS32_DEP_1)
	v_rcp_f32_e32 v93, v92
	v_nop
	v_fma_f32 v94, -v92, v93, 1.0
	s_delay_alu instid0(VALU_DEP_1) | instskip(NEXT) | instid1(VALU_DEP_1)
	v_fmac_f32_e32 v93, v94, v93
	v_mul_f32_e32 v94, v95, v93
	s_delay_alu instid0(VALU_DEP_1) | instskip(NEXT) | instid1(VALU_DEP_1)
	v_fma_f32 v96, -v92, v94, v95
	v_fmac_f32_e32 v94, v96, v93
	s_delay_alu instid0(VALU_DEP_1) | instskip(NEXT) | instid1(VALU_DEP_1)
	v_fma_f32 v92, -v92, v94, v95
	v_div_fmas_f32 v92, v92, v93, v94
	s_delay_alu instid0(VALU_DEP_1) | instskip(NEXT) | instid1(VALU_DEP_1)
	v_div_fixup_f32 v93, v92, v90, v91
	v_fmac_f32_e32 v90, v91, v93
	s_delay_alu instid0(VALU_DEP_1) | instskip(NEXT) | instid1(VALU_DEP_1)
	v_div_scale_f32 v91, null, v90, v90, 1.0
	v_rcp_f32_e32 v92, v91
	v_nop
	s_delay_alu instid0(TRANS32_DEP_1) | instskip(NEXT) | instid1(VALU_DEP_1)
	v_fma_f32 v94, -v91, v92, 1.0
	v_fmac_f32_e32 v92, v94, v92
	v_div_scale_f32 v94, vcc_lo, 1.0, v90, 1.0
	s_delay_alu instid0(VALU_DEP_1) | instskip(NEXT) | instid1(VALU_DEP_1)
	v_mul_f32_e32 v95, v94, v92
	v_fma_f32 v96, -v91, v95, v94
	s_delay_alu instid0(VALU_DEP_1) | instskip(NEXT) | instid1(VALU_DEP_1)
	v_fmac_f32_e32 v95, v96, v92
	v_fma_f32 v91, -v91, v95, v94
	s_delay_alu instid0(VALU_DEP_1) | instskip(NEXT) | instid1(VALU_DEP_1)
	v_div_fmas_f32 v91, v91, v92, v95
	v_div_fixup_f32 v92, v91, v90, 1.0
	s_delay_alu instid0(VALU_DEP_1)
	v_mul_f32_e64 v93, v93, -v92
.LBB39_43:
	s_or_b32 exec_lo, exec_lo, s1
	ds_store_b64 v123, v[92:93]
.LBB39_44:
	s_or_b32 exec_lo, exec_lo, s2
	s_wait_dscnt 0x0
	s_barrier_signal -1
	s_barrier_wait -1
	ds_load_b64 v[90:91], v123
	s_mov_b32 s1, exec_lo
	v_cmpx_lt_u32_e32 4, v122
	s_cbranch_execz .LBB39_46
; %bb.45:
	ds_load_2addr_b64 v[96:99], v124 offset0:5 offset1:6
	s_wait_dscnt 0x1
	v_pk_mul_f32 v[94:95], v[90:91], v[28:29] op_sel:[1,1] op_sel_hi:[0,1]
	s_delay_alu instid0(VALU_DEP_1) | instskip(SKIP_1) | instid1(VALU_DEP_1)
	v_pk_fma_f32 v[92:93], v[90:91], v[28:29], v[94:95] op_sel_hi:[1,0,1] neg_lo:[0,0,1] neg_hi:[0,0,1]
	v_pk_fma_f32 v[94:95], v[90:91], v[28:29], v[94:95] op_sel_hi:[1,0,1]
	v_dual_mov_b32 v28, v92 :: v_dual_mov_b32 v29, v95
	s_wait_dscnt 0x0
	s_delay_alu instid0(VALU_DEP_2) | instskip(NEXT) | instid1(VALU_DEP_1)
	v_pk_mul_f32 v[100:101], v[96:97], v[94:95] op_sel:[0,1]
	v_pk_fma_f32 v[102:103], v[96:97], v[92:93], v[100:101] op_sel:[0,0,1] op_sel_hi:[1,1,0] neg_lo:[0,0,1] neg_hi:[0,0,1]
	v_pk_fma_f32 v[96:97], v[96:97], v[92:93], v[100:101] op_sel:[0,0,1] op_sel_hi:[1,0,0]
	s_delay_alu instid0(VALU_DEP_1) | instskip(SKIP_1) | instid1(VALU_DEP_1)
	v_mov_b32_e32 v103, v97
	v_pk_mul_f32 v[96:97], v[98:99], v[94:95] op_sel:[0,1]
	v_pk_fma_f32 v[100:101], v[98:99], v[92:93], v[96:97] op_sel:[0,0,1] op_sel_hi:[1,1,0] neg_lo:[0,0,1] neg_hi:[0,0,1]
	v_pk_fma_f32 v[96:97], v[98:99], v[92:93], v[96:97] op_sel:[0,0,1] op_sel_hi:[1,0,0]
	s_delay_alu instid0(VALU_DEP_1)
	v_mov_b32_e32 v101, v97
	ds_load_2addr_b64 v[96:99], v124 offset0:7 offset1:8
	v_pk_add_f32 v[24:25], v[24:25], v[102:103] neg_lo:[0,1] neg_hi:[0,1]
	v_pk_add_f32 v[26:27], v[26:27], v[100:101] neg_lo:[0,1] neg_hi:[0,1]
	s_wait_dscnt 0x0
	v_pk_mul_f32 v[100:101], v[96:97], v[94:95] op_sel:[0,1]
	s_delay_alu instid0(VALU_DEP_1) | instskip(SKIP_2) | instid1(VALU_DEP_2)
	v_pk_fma_f32 v[102:103], v[96:97], v[92:93], v[100:101] op_sel:[0,0,1] op_sel_hi:[1,1,0] neg_lo:[0,0,1] neg_hi:[0,0,1]
	v_pk_fma_f32 v[96:97], v[96:97], v[92:93], v[100:101] op_sel:[0,0,1] op_sel_hi:[1,0,0]
	v_dual_mul_f32 v100, v99, v95 :: v_dual_mov_b32 v96, v99
	v_dual_mov_b32 v103, v97 :: v_dual_mov_b32 v97, v98
	s_delay_alu instid0(VALU_DEP_2) | instskip(SKIP_1) | instid1(VALU_DEP_3)
	v_pk_fma_f32 v[100:101], v[98:99], v[28:29], v[100:101] op_sel_hi:[1,1,0] neg_lo:[0,0,1] neg_hi:[0,0,1]
	v_mul_f32_e32 v98, v99, v92
	v_pk_add_f32 v[22:23], v[22:23], v[102:103] neg_lo:[0,1] neg_hi:[0,1]
	s_delay_alu instid0(VALU_DEP_2) | instskip(NEXT) | instid1(VALU_DEP_1)
	v_pk_fma_f32 v[96:97], v[96:97], v[28:29], v[98:99] op_sel_hi:[1,1,0]
	v_mov_b32_e32 v101, v97
	ds_load_2addr_b64 v[96:99], v124 offset0:9 offset1:10
	v_pk_add_f32 v[48:49], v[48:49], v[100:101] neg_lo:[0,1] neg_hi:[0,1]
	s_wait_dscnt 0x0
	v_pk_mul_f32 v[100:101], v[96:97], v[94:95] op_sel:[0,1]
	s_delay_alu instid0(VALU_DEP_1) | instskip(SKIP_1) | instid1(VALU_DEP_1)
	v_pk_fma_f32 v[102:103], v[96:97], v[92:93], v[100:101] op_sel:[0,0,1] op_sel_hi:[1,1,0] neg_lo:[0,0,1] neg_hi:[0,0,1]
	v_pk_fma_f32 v[96:97], v[96:97], v[92:93], v[100:101] op_sel:[0,0,1] op_sel_hi:[1,0,0]
	v_mov_b32_e32 v103, v97
	v_pk_mul_f32 v[96:97], v[98:99], v[94:95] op_sel:[0,1]
	s_delay_alu instid0(VALU_DEP_1) | instskip(SKIP_1) | instid1(VALU_DEP_1)
	v_pk_fma_f32 v[100:101], v[98:99], v[92:93], v[96:97] op_sel:[0,0,1] op_sel_hi:[1,1,0] neg_lo:[0,0,1] neg_hi:[0,0,1]
	v_pk_fma_f32 v[96:97], v[98:99], v[92:93], v[96:97] op_sel:[0,0,1] op_sel_hi:[1,0,0]
	v_mov_b32_e32 v101, v97
	ds_load_2addr_b64 v[96:99], v124 offset0:11 offset1:12
	v_pk_add_f32 v[42:43], v[42:43], v[102:103] neg_lo:[0,1] neg_hi:[0,1]
	v_pk_add_f32 v[46:47], v[46:47], v[100:101] neg_lo:[0,1] neg_hi:[0,1]
	s_wait_dscnt 0x0
	v_pk_mul_f32 v[100:101], v[96:97], v[94:95] op_sel:[0,1]
	s_delay_alu instid0(VALU_DEP_1) | instskip(SKIP_1) | instid1(VALU_DEP_1)
	v_pk_fma_f32 v[102:103], v[96:97], v[92:93], v[100:101] op_sel:[0,0,1] op_sel_hi:[1,1,0] neg_lo:[0,0,1] neg_hi:[0,0,1]
	v_pk_fma_f32 v[96:97], v[96:97], v[92:93], v[100:101] op_sel:[0,0,1] op_sel_hi:[1,0,0]
	v_mov_b32_e32 v103, v97
	v_pk_mul_f32 v[96:97], v[98:99], v[94:95] op_sel:[0,1]
	s_delay_alu instid0(VALU_DEP_1) | instskip(SKIP_1) | instid1(VALU_DEP_1)
	v_pk_fma_f32 v[100:101], v[98:99], v[92:93], v[96:97] op_sel:[0,0,1] op_sel_hi:[1,1,0] neg_lo:[0,0,1] neg_hi:[0,0,1]
	v_pk_fma_f32 v[96:97], v[98:99], v[92:93], v[96:97] op_sel:[0,0,1] op_sel_hi:[1,0,0]
	v_mov_b32_e32 v101, v97
	ds_load_2addr_b64 v[96:99], v124 offset0:13 offset1:14
	v_pk_add_f32 v[40:41], v[40:41], v[102:103] neg_lo:[0,1] neg_hi:[0,1]
	v_pk_add_f32 v[72:73], v[72:73], v[100:101] neg_lo:[0,1] neg_hi:[0,1]
	s_wait_dscnt 0x0
	v_dual_mul_f32 v100, v97, v95 :: v_dual_mul_f32 v102, v97, v92
	s_delay_alu instid0(VALU_DEP_1) | instskip(NEXT) | instid1(VALU_DEP_2)
	v_pk_fma_f32 v[100:101], v[96:97], v[28:29], v[100:101] op_sel_hi:[1,1,0] neg_lo:[0,0,1] neg_hi:[0,0,1]
	v_pk_fma_f32 v[96:97], v[96:97], v[28:29], v[102:103] op_sel:[1,0,0] op_sel_hi:[0,1,0]
	s_delay_alu instid0(VALU_DEP_1) | instskip(SKIP_1) | instid1(VALU_DEP_2)
	v_mov_b32_e32 v101, v97
	v_pk_mul_f32 v[96:97], v[98:99], v[94:95] op_sel:[0,1]
	v_pk_add_f32 v[68:69], v[68:69], v[100:101] neg_lo:[0,1] neg_hi:[0,1]
	s_delay_alu instid0(VALU_DEP_2) | instskip(SKIP_1) | instid1(VALU_DEP_1)
	v_pk_fma_f32 v[100:101], v[98:99], v[92:93], v[96:97] op_sel:[0,0,1] op_sel_hi:[1,1,0] neg_lo:[0,0,1] neg_hi:[0,0,1]
	v_pk_fma_f32 v[96:97], v[98:99], v[92:93], v[96:97] op_sel:[0,0,1] op_sel_hi:[1,0,0]
	v_mov_b32_e32 v101, v97
	ds_load_2addr_b64 v[96:99], v124 offset0:15 offset1:16
	v_pk_add_f32 v[70:71], v[70:71], v[100:101] neg_lo:[0,1] neg_hi:[0,1]
	s_wait_dscnt 0x0
	v_pk_mul_f32 v[100:101], v[96:97], v[94:95] op_sel:[0,1]
	s_delay_alu instid0(VALU_DEP_1) | instskip(SKIP_1) | instid1(VALU_DEP_1)
	v_pk_fma_f32 v[102:103], v[96:97], v[92:93], v[100:101] op_sel:[0,0,1] op_sel_hi:[1,1,0] neg_lo:[0,0,1] neg_hi:[0,0,1]
	v_pk_fma_f32 v[96:97], v[96:97], v[92:93], v[100:101] op_sel:[0,0,1] op_sel_hi:[1,0,0]
	v_mov_b32_e32 v103, v97
	v_pk_mul_f32 v[96:97], v[98:99], v[94:95] op_sel:[0,1]
	s_delay_alu instid0(VALU_DEP_2) | instskip(NEXT) | instid1(VALU_DEP_2)
	v_pk_add_f32 v[66:67], v[66:67], v[102:103] neg_lo:[0,1] neg_hi:[0,1]
	v_pk_fma_f32 v[100:101], v[98:99], v[92:93], v[96:97] op_sel:[0,0,1] op_sel_hi:[1,1,0] neg_lo:[0,0,1] neg_hi:[0,0,1]
	v_pk_fma_f32 v[96:97], v[98:99], v[92:93], v[96:97] op_sel:[0,0,1] op_sel_hi:[1,0,0]
	s_delay_alu instid0(VALU_DEP_1) | instskip(SKIP_4) | instid1(VALU_DEP_1)
	v_mov_b32_e32 v101, v97
	ds_load_2addr_b64 v[96:99], v124 offset0:17 offset1:18
	v_pk_add_f32 v[80:81], v[80:81], v[100:101] neg_lo:[0,1] neg_hi:[0,1]
	s_wait_dscnt 0x0
	v_pk_mul_f32 v[100:101], v[96:97], v[94:95] op_sel:[0,1]
	v_pk_fma_f32 v[102:103], v[96:97], v[92:93], v[100:101] op_sel:[0,0,1] op_sel_hi:[1,1,0] neg_lo:[0,0,1] neg_hi:[0,0,1]
	v_pk_fma_f32 v[96:97], v[96:97], v[92:93], v[100:101] op_sel:[0,0,1] op_sel_hi:[1,0,0]
	v_dual_mul_f32 v100, v99, v95 :: v_dual_mov_b32 v96, v99
	s_delay_alu instid0(VALU_DEP_2) | instskip(NEXT) | instid1(VALU_DEP_2)
	v_dual_mov_b32 v103, v97 :: v_dual_mov_b32 v97, v98
	v_pk_fma_f32 v[100:101], v[98:99], v[28:29], v[100:101] op_sel_hi:[1,1,0] neg_lo:[0,0,1] neg_hi:[0,0,1]
	v_mul_f32_e32 v98, v99, v92
	s_delay_alu instid0(VALU_DEP_3) | instskip(NEXT) | instid1(VALU_DEP_2)
	v_pk_add_f32 v[76:77], v[76:77], v[102:103] neg_lo:[0,1] neg_hi:[0,1]
	v_pk_fma_f32 v[96:97], v[96:97], v[28:29], v[98:99] op_sel_hi:[1,1,0]
	s_delay_alu instid0(VALU_DEP_1) | instskip(SKIP_4) | instid1(VALU_DEP_1)
	v_mov_b32_e32 v101, v97
	ds_load_b64 v[96:97], v124 offset:152
	v_pk_add_f32 v[74:75], v[74:75], v[100:101] neg_lo:[0,1] neg_hi:[0,1]
	s_wait_dscnt 0x0
	v_pk_mul_f32 v[94:95], v[96:97], v[94:95] op_sel:[0,1]
	v_pk_fma_f32 v[98:99], v[96:97], v[92:93], v[94:95] op_sel:[0,0,1] op_sel_hi:[1,1,0] neg_lo:[0,0,1] neg_hi:[0,0,1]
	v_pk_fma_f32 v[92:93], v[96:97], v[92:93], v[94:95] op_sel:[0,0,1] op_sel_hi:[1,0,0]
	s_delay_alu instid0(VALU_DEP_1) | instskip(NEXT) | instid1(VALU_DEP_1)
	v_mov_b32_e32 v99, v93
	v_pk_add_f32 v[78:79], v[78:79], v[98:99] neg_lo:[0,1] neg_hi:[0,1]
.LBB39_46:
	s_or_b32 exec_lo, exec_lo, s1
	s_delay_alu instid0(SALU_CYCLE_1)
	s_mov_b32 s2, exec_lo
	s_wait_dscnt 0x0
	s_barrier_signal -1
	s_barrier_wait -1
	v_cmpx_eq_u32_e32 5, v122
	s_cbranch_execz .LBB39_53
; %bb.47:
	v_dual_mov_b32 v92, v26 :: v_dual_mov_b32 v93, v27
	v_dual_mov_b32 v94, v22 :: v_dual_mov_b32 v95, v23
	ds_store_b64 v123, v[24:25]
	ds_store_2addr_b64 v124, v[92:93], v[94:95] offset0:6 offset1:7
	v_dual_mov_b32 v92, v48 :: v_dual_mov_b32 v93, v49
	v_dual_mov_b32 v94, v42 :: v_dual_mov_b32 v95, v43
	ds_store_2addr_b64 v124, v[92:93], v[94:95] offset0:8 offset1:9
	v_dual_mov_b32 v92, v46 :: v_dual_mov_b32 v93, v47
	v_dual_mov_b32 v94, v40 :: v_dual_mov_b32 v95, v41
	;; [unrolled: 3-line block ×5, first 2 shown]
	ds_store_2addr_b64 v124, v[92:93], v[94:95] offset0:16 offset1:17
	v_dual_mov_b32 v92, v74 :: v_dual_mov_b32 v93, v75
	ds_store_2addr_b64 v124, v[92:93], v[78:79] offset0:18 offset1:19
	ds_load_b64 v[92:93], v123
	s_wait_dscnt 0x0
	v_cmp_neq_f32_e32 vcc_lo, 0, v92
	v_cmp_neq_f32_e64 s1, 0, v93
	s_or_b32 s1, vcc_lo, s1
	s_delay_alu instid0(SALU_CYCLE_1)
	s_and_b32 exec_lo, exec_lo, s1
	s_cbranch_execz .LBB39_53
; %bb.48:
	v_cmp_ngt_f32_e64 s1, |v92|, |v93|
                                        ; implicit-def: $vgpr94_vgpr95
	s_and_saveexec_b32 s4, s1
	s_delay_alu instid0(SALU_CYCLE_1)
	s_xor_b32 s1, exec_lo, s4
	s_cbranch_execz .LBB39_50
; %bb.49:
	v_div_scale_f32 v94, null, v93, v93, v92
	v_div_scale_f32 v97, vcc_lo, v92, v93, v92
	s_delay_alu instid0(VALU_DEP_2) | instskip(SKIP_1) | instid1(TRANS32_DEP_1)
	v_rcp_f32_e32 v95, v94
	v_nop
	v_fma_f32 v96, -v94, v95, 1.0
	s_delay_alu instid0(VALU_DEP_1) | instskip(NEXT) | instid1(VALU_DEP_1)
	v_fmac_f32_e32 v95, v96, v95
	v_mul_f32_e32 v96, v97, v95
	s_delay_alu instid0(VALU_DEP_1) | instskip(NEXT) | instid1(VALU_DEP_1)
	v_fma_f32 v98, -v94, v96, v97
	v_fmac_f32_e32 v96, v98, v95
	s_delay_alu instid0(VALU_DEP_1) | instskip(NEXT) | instid1(VALU_DEP_1)
	v_fma_f32 v94, -v94, v96, v97
	v_div_fmas_f32 v94, v94, v95, v96
	s_delay_alu instid0(VALU_DEP_1) | instskip(NEXT) | instid1(VALU_DEP_1)
	v_div_fixup_f32 v94, v94, v93, v92
	v_fmac_f32_e32 v93, v92, v94
	s_delay_alu instid0(VALU_DEP_1) | instskip(SKIP_1) | instid1(VALU_DEP_2)
	v_div_scale_f32 v92, null, v93, v93, 1.0
	v_div_scale_f32 v97, vcc_lo, 1.0, v93, 1.0
	v_rcp_f32_e32 v95, v92
	v_nop
	s_delay_alu instid0(TRANS32_DEP_1) | instskip(NEXT) | instid1(VALU_DEP_1)
	v_fma_f32 v96, -v92, v95, 1.0
	v_fmac_f32_e32 v95, v96, v95
	s_delay_alu instid0(VALU_DEP_1) | instskip(NEXT) | instid1(VALU_DEP_1)
	v_mul_f32_e32 v96, v97, v95
	v_fma_f32 v98, -v92, v96, v97
	s_delay_alu instid0(VALU_DEP_1) | instskip(NEXT) | instid1(VALU_DEP_1)
	v_fmac_f32_e32 v96, v98, v95
	v_fma_f32 v92, -v92, v96, v97
	s_delay_alu instid0(VALU_DEP_1) | instskip(NEXT) | instid1(VALU_DEP_1)
	v_div_fmas_f32 v92, v92, v95, v96
	v_div_fixup_f32 v92, v92, v93, 1.0
	s_delay_alu instid0(VALU_DEP_1)
	v_mul_f32_e32 v94, v94, v92
	v_xor_b32_e32 v95, 0x80000000, v92
                                        ; implicit-def: $vgpr92_vgpr93
.LBB39_50:
	s_and_not1_saveexec_b32 s1, s1
	s_cbranch_execz .LBB39_52
; %bb.51:
	v_div_scale_f32 v94, null, v92, v92, v93
	v_div_scale_f32 v97, vcc_lo, v93, v92, v93
	s_delay_alu instid0(VALU_DEP_2) | instskip(SKIP_1) | instid1(TRANS32_DEP_1)
	v_rcp_f32_e32 v95, v94
	v_nop
	v_fma_f32 v96, -v94, v95, 1.0
	s_delay_alu instid0(VALU_DEP_1) | instskip(NEXT) | instid1(VALU_DEP_1)
	v_fmac_f32_e32 v95, v96, v95
	v_mul_f32_e32 v96, v97, v95
	s_delay_alu instid0(VALU_DEP_1) | instskip(NEXT) | instid1(VALU_DEP_1)
	v_fma_f32 v98, -v94, v96, v97
	v_fmac_f32_e32 v96, v98, v95
	s_delay_alu instid0(VALU_DEP_1) | instskip(NEXT) | instid1(VALU_DEP_1)
	v_fma_f32 v94, -v94, v96, v97
	v_div_fmas_f32 v94, v94, v95, v96
	s_delay_alu instid0(VALU_DEP_1) | instskip(NEXT) | instid1(VALU_DEP_1)
	v_div_fixup_f32 v95, v94, v92, v93
	v_fmac_f32_e32 v92, v93, v95
	s_delay_alu instid0(VALU_DEP_1) | instskip(NEXT) | instid1(VALU_DEP_1)
	v_div_scale_f32 v93, null, v92, v92, 1.0
	v_rcp_f32_e32 v94, v93
	v_nop
	s_delay_alu instid0(TRANS32_DEP_1) | instskip(NEXT) | instid1(VALU_DEP_1)
	v_fma_f32 v96, -v93, v94, 1.0
	v_fmac_f32_e32 v94, v96, v94
	v_div_scale_f32 v96, vcc_lo, 1.0, v92, 1.0
	s_delay_alu instid0(VALU_DEP_1) | instskip(NEXT) | instid1(VALU_DEP_1)
	v_mul_f32_e32 v97, v96, v94
	v_fma_f32 v98, -v93, v97, v96
	s_delay_alu instid0(VALU_DEP_1) | instskip(NEXT) | instid1(VALU_DEP_1)
	v_fmac_f32_e32 v97, v98, v94
	v_fma_f32 v93, -v93, v97, v96
	s_delay_alu instid0(VALU_DEP_1) | instskip(NEXT) | instid1(VALU_DEP_1)
	v_div_fmas_f32 v93, v93, v94, v97
	v_div_fixup_f32 v94, v93, v92, 1.0
	s_delay_alu instid0(VALU_DEP_1)
	v_mul_f32_e64 v95, v95, -v94
.LBB39_52:
	s_or_b32 exec_lo, exec_lo, s1
	ds_store_b64 v123, v[94:95]
.LBB39_53:
	s_or_b32 exec_lo, exec_lo, s2
	s_wait_dscnt 0x0
	s_barrier_signal -1
	s_barrier_wait -1
	ds_load_b64 v[92:93], v123
	s_mov_b32 s1, exec_lo
	v_cmpx_lt_u32_e32 5, v122
	s_cbranch_execz .LBB39_55
; %bb.54:
	s_wait_dscnt 0x0
	v_pk_mul_f32 v[94:95], v[92:93], v[24:25] op_sel:[1,1] op_sel_hi:[0,1]
	s_delay_alu instid0(VALU_DEP_1)
	v_pk_fma_f32 v[98:99], v[92:93], v[24:25], v[94:95] op_sel_hi:[1,0,1] neg_lo:[0,0,1] neg_hi:[0,0,1]
	v_pk_fma_f32 v[100:101], v[92:93], v[24:25], v[94:95] op_sel_hi:[1,0,1]
	ds_load_2addr_b64 v[94:97], v124 offset0:6 offset1:7
	v_dual_mov_b32 v24, v98 :: v_dual_mov_b32 v25, v101
	s_wait_dscnt 0x0
	v_pk_mul_f32 v[102:103], v[94:95], v[100:101] op_sel:[0,1]
	s_delay_alu instid0(VALU_DEP_1) | instskip(SKIP_1) | instid1(VALU_DEP_1)
	v_pk_fma_f32 v[104:105], v[94:95], v[98:99], v[102:103] op_sel:[0,0,1] op_sel_hi:[1,1,0] neg_lo:[0,0,1] neg_hi:[0,0,1]
	v_pk_fma_f32 v[94:95], v[94:95], v[98:99], v[102:103] op_sel:[0,0,1] op_sel_hi:[1,0,0]
	v_mov_b32_e32 v105, v95
	v_pk_mul_f32 v[94:95], v[96:97], v[100:101] op_sel:[0,1]
	s_delay_alu instid0(VALU_DEP_1) | instskip(SKIP_1) | instid1(VALU_DEP_1)
	v_pk_fma_f32 v[102:103], v[96:97], v[98:99], v[94:95] op_sel:[0,0,1] op_sel_hi:[1,1,0] neg_lo:[0,0,1] neg_hi:[0,0,1]
	v_pk_fma_f32 v[94:95], v[96:97], v[98:99], v[94:95] op_sel:[0,0,1] op_sel_hi:[1,0,0]
	v_mov_b32_e32 v103, v95
	ds_load_2addr_b64 v[94:97], v124 offset0:8 offset1:9
	v_pk_add_f32 v[26:27], v[26:27], v[104:105] neg_lo:[0,1] neg_hi:[0,1]
	v_pk_add_f32 v[22:23], v[22:23], v[102:103] neg_lo:[0,1] neg_hi:[0,1]
	s_wait_dscnt 0x0
	v_pk_mul_f32 v[102:103], v[94:95], v[100:101] op_sel:[0,1]
	s_delay_alu instid0(VALU_DEP_1) | instskip(SKIP_2) | instid1(VALU_DEP_2)
	v_pk_fma_f32 v[104:105], v[94:95], v[98:99], v[102:103] op_sel:[0,0,1] op_sel_hi:[1,1,0] neg_lo:[0,0,1] neg_hi:[0,0,1]
	v_pk_fma_f32 v[94:95], v[94:95], v[98:99], v[102:103] op_sel:[0,0,1] op_sel_hi:[1,0,0]
	v_dual_mul_f32 v102, v97, v101 :: v_dual_mov_b32 v94, v97
	v_dual_mov_b32 v105, v95 :: v_dual_mov_b32 v95, v96
	s_delay_alu instid0(VALU_DEP_2) | instskip(SKIP_1) | instid1(VALU_DEP_3)
	v_pk_fma_f32 v[102:103], v[96:97], v[24:25], v[102:103] op_sel_hi:[1,1,0] neg_lo:[0,0,1] neg_hi:[0,0,1]
	v_mul_f32_e32 v96, v97, v98
	v_pk_add_f32 v[48:49], v[48:49], v[104:105] neg_lo:[0,1] neg_hi:[0,1]
	s_delay_alu instid0(VALU_DEP_2) | instskip(NEXT) | instid1(VALU_DEP_1)
	v_pk_fma_f32 v[94:95], v[94:95], v[24:25], v[96:97] op_sel_hi:[1,1,0]
	v_mov_b32_e32 v103, v95
	ds_load_2addr_b64 v[94:97], v124 offset0:10 offset1:11
	v_pk_add_f32 v[42:43], v[42:43], v[102:103] neg_lo:[0,1] neg_hi:[0,1]
	s_wait_dscnt 0x0
	v_pk_mul_f32 v[102:103], v[94:95], v[100:101] op_sel:[0,1]
	s_delay_alu instid0(VALU_DEP_1) | instskip(SKIP_1) | instid1(VALU_DEP_1)
	v_pk_fma_f32 v[104:105], v[94:95], v[98:99], v[102:103] op_sel:[0,0,1] op_sel_hi:[1,1,0] neg_lo:[0,0,1] neg_hi:[0,0,1]
	v_pk_fma_f32 v[94:95], v[94:95], v[98:99], v[102:103] op_sel:[0,0,1] op_sel_hi:[1,0,0]
	v_mov_b32_e32 v105, v95
	v_pk_mul_f32 v[94:95], v[96:97], v[100:101] op_sel:[0,1]
	s_delay_alu instid0(VALU_DEP_1) | instskip(SKIP_1) | instid1(VALU_DEP_1)
	v_pk_fma_f32 v[102:103], v[96:97], v[98:99], v[94:95] op_sel:[0,0,1] op_sel_hi:[1,1,0] neg_lo:[0,0,1] neg_hi:[0,0,1]
	v_pk_fma_f32 v[94:95], v[96:97], v[98:99], v[94:95] op_sel:[0,0,1] op_sel_hi:[1,0,0]
	v_mov_b32_e32 v103, v95
	ds_load_2addr_b64 v[94:97], v124 offset0:12 offset1:13
	v_pk_add_f32 v[46:47], v[46:47], v[104:105] neg_lo:[0,1] neg_hi:[0,1]
	v_pk_add_f32 v[40:41], v[40:41], v[102:103] neg_lo:[0,1] neg_hi:[0,1]
	s_wait_dscnt 0x0
	v_pk_mul_f32 v[102:103], v[94:95], v[100:101] op_sel:[0,1]
	s_delay_alu instid0(VALU_DEP_1) | instskip(SKIP_1) | instid1(VALU_DEP_1)
	v_pk_fma_f32 v[104:105], v[94:95], v[98:99], v[102:103] op_sel:[0,0,1] op_sel_hi:[1,1,0] neg_lo:[0,0,1] neg_hi:[0,0,1]
	v_pk_fma_f32 v[94:95], v[94:95], v[98:99], v[102:103] op_sel:[0,0,1] op_sel_hi:[1,0,0]
	v_mov_b32_e32 v105, v95
	v_pk_mul_f32 v[94:95], v[96:97], v[100:101] op_sel:[0,1]
	s_delay_alu instid0(VALU_DEP_1) | instskip(SKIP_1) | instid1(VALU_DEP_1)
	v_pk_fma_f32 v[102:103], v[96:97], v[98:99], v[94:95] op_sel:[0,0,1] op_sel_hi:[1,1,0] neg_lo:[0,0,1] neg_hi:[0,0,1]
	v_pk_fma_f32 v[94:95], v[96:97], v[98:99], v[94:95] op_sel:[0,0,1] op_sel_hi:[1,0,0]
	v_mov_b32_e32 v103, v95
	ds_load_2addr_b64 v[94:97], v124 offset0:14 offset1:15
	v_pk_add_f32 v[72:73], v[72:73], v[104:105] neg_lo:[0,1] neg_hi:[0,1]
	v_pk_add_f32 v[68:69], v[68:69], v[102:103] neg_lo:[0,1] neg_hi:[0,1]
	s_wait_dscnt 0x0
	v_dual_mul_f32 v102, v95, v101 :: v_dual_mul_f32 v104, v95, v98
	s_delay_alu instid0(VALU_DEP_1) | instskip(NEXT) | instid1(VALU_DEP_2)
	v_pk_fma_f32 v[102:103], v[94:95], v[24:25], v[102:103] op_sel_hi:[1,1,0] neg_lo:[0,0,1] neg_hi:[0,0,1]
	v_pk_fma_f32 v[94:95], v[94:95], v[24:25], v[104:105] op_sel:[1,0,0] op_sel_hi:[0,1,0]
	s_delay_alu instid0(VALU_DEP_1) | instskip(SKIP_1) | instid1(VALU_DEP_2)
	v_mov_b32_e32 v103, v95
	v_pk_mul_f32 v[94:95], v[96:97], v[100:101] op_sel:[0,1]
	v_pk_add_f32 v[70:71], v[70:71], v[102:103] neg_lo:[0,1] neg_hi:[0,1]
	s_delay_alu instid0(VALU_DEP_2) | instskip(SKIP_1) | instid1(VALU_DEP_1)
	v_pk_fma_f32 v[102:103], v[96:97], v[98:99], v[94:95] op_sel:[0,0,1] op_sel_hi:[1,1,0] neg_lo:[0,0,1] neg_hi:[0,0,1]
	v_pk_fma_f32 v[94:95], v[96:97], v[98:99], v[94:95] op_sel:[0,0,1] op_sel_hi:[1,0,0]
	v_mov_b32_e32 v103, v95
	ds_load_2addr_b64 v[94:97], v124 offset0:16 offset1:17
	v_pk_add_f32 v[66:67], v[66:67], v[102:103] neg_lo:[0,1] neg_hi:[0,1]
	s_wait_dscnt 0x0
	v_pk_mul_f32 v[102:103], v[94:95], v[100:101] op_sel:[0,1]
	s_delay_alu instid0(VALU_DEP_1) | instskip(SKIP_1) | instid1(VALU_DEP_1)
	v_pk_fma_f32 v[104:105], v[94:95], v[98:99], v[102:103] op_sel:[0,0,1] op_sel_hi:[1,1,0] neg_lo:[0,0,1] neg_hi:[0,0,1]
	v_pk_fma_f32 v[94:95], v[94:95], v[98:99], v[102:103] op_sel:[0,0,1] op_sel_hi:[1,0,0]
	v_mov_b32_e32 v105, v95
	v_pk_mul_f32 v[94:95], v[96:97], v[100:101] op_sel:[0,1]
	s_delay_alu instid0(VALU_DEP_2) | instskip(NEXT) | instid1(VALU_DEP_2)
	v_pk_add_f32 v[80:81], v[80:81], v[104:105] neg_lo:[0,1] neg_hi:[0,1]
	v_pk_fma_f32 v[102:103], v[96:97], v[98:99], v[94:95] op_sel:[0,0,1] op_sel_hi:[1,1,0] neg_lo:[0,0,1] neg_hi:[0,0,1]
	v_pk_fma_f32 v[94:95], v[96:97], v[98:99], v[94:95] op_sel:[0,0,1] op_sel_hi:[1,0,0]
	s_delay_alu instid0(VALU_DEP_1) | instskip(SKIP_4) | instid1(VALU_DEP_1)
	v_mov_b32_e32 v103, v95
	ds_load_2addr_b64 v[94:97], v124 offset0:18 offset1:19
	v_pk_add_f32 v[76:77], v[76:77], v[102:103] neg_lo:[0,1] neg_hi:[0,1]
	s_wait_dscnt 0x0
	v_pk_mul_f32 v[102:103], v[94:95], v[100:101] op_sel:[0,1]
	v_pk_fma_f32 v[104:105], v[94:95], v[98:99], v[102:103] op_sel:[0,0,1] op_sel_hi:[1,1,0] neg_lo:[0,0,1] neg_hi:[0,0,1]
	v_pk_fma_f32 v[94:95], v[94:95], v[98:99], v[102:103] op_sel:[0,0,1] op_sel_hi:[1,0,0]
	s_delay_alu instid0(VALU_DEP_1) | instskip(SKIP_1) | instid1(VALU_DEP_2)
	v_mov_b32_e32 v105, v95
	v_pk_mul_f32 v[94:95], v[96:97], v[100:101] op_sel:[0,1]
	v_pk_add_f32 v[74:75], v[74:75], v[104:105] neg_lo:[0,1] neg_hi:[0,1]
	s_delay_alu instid0(VALU_DEP_2) | instskip(SKIP_1) | instid1(VALU_DEP_1)
	v_pk_fma_f32 v[100:101], v[96:97], v[98:99], v[94:95] op_sel:[0,0,1] op_sel_hi:[1,1,0] neg_lo:[0,0,1] neg_hi:[0,0,1]
	v_pk_fma_f32 v[94:95], v[96:97], v[98:99], v[94:95] op_sel:[0,0,1] op_sel_hi:[1,0,0]
	v_mov_b32_e32 v101, v95
	s_delay_alu instid0(VALU_DEP_1)
	v_pk_add_f32 v[78:79], v[78:79], v[100:101] neg_lo:[0,1] neg_hi:[0,1]
.LBB39_55:
	s_or_b32 exec_lo, exec_lo, s1
	s_delay_alu instid0(SALU_CYCLE_1)
	s_mov_b32 s2, exec_lo
	s_wait_dscnt 0x0
	s_barrier_signal -1
	s_barrier_wait -1
	v_cmpx_eq_u32_e32 6, v122
	s_cbranch_execz .LBB39_62
; %bb.56:
	ds_store_b64 v123, v[26:27]
	ds_store_2addr_b64 v124, v[22:23], v[48:49] offset0:7 offset1:8
	ds_store_2addr_b64 v124, v[42:43], v[46:47] offset0:9 offset1:10
	ds_store_2addr_b64 v124, v[40:41], v[72:73] offset0:11 offset1:12
	ds_store_2addr_b64 v124, v[68:69], v[70:71] offset0:13 offset1:14
	ds_store_2addr_b64 v124, v[66:67], v[80:81] offset0:15 offset1:16
	ds_store_2addr_b64 v124, v[76:77], v[74:75] offset0:17 offset1:18
	ds_store_b64 v124, v[78:79] offset:152
	ds_load_b64 v[94:95], v123
	s_wait_dscnt 0x0
	v_cmp_neq_f32_e32 vcc_lo, 0, v94
	v_cmp_neq_f32_e64 s1, 0, v95
	s_or_b32 s1, vcc_lo, s1
	s_delay_alu instid0(SALU_CYCLE_1)
	s_and_b32 exec_lo, exec_lo, s1
	s_cbranch_execz .LBB39_62
; %bb.57:
	v_cmp_ngt_f32_e64 s1, |v94|, |v95|
                                        ; implicit-def: $vgpr96_vgpr97
	s_and_saveexec_b32 s4, s1
	s_delay_alu instid0(SALU_CYCLE_1)
	s_xor_b32 s1, exec_lo, s4
	s_cbranch_execz .LBB39_59
; %bb.58:
	v_div_scale_f32 v96, null, v95, v95, v94
	v_div_scale_f32 v99, vcc_lo, v94, v95, v94
	s_delay_alu instid0(VALU_DEP_2) | instskip(SKIP_1) | instid1(TRANS32_DEP_1)
	v_rcp_f32_e32 v97, v96
	v_nop
	v_fma_f32 v98, -v96, v97, 1.0
	s_delay_alu instid0(VALU_DEP_1) | instskip(NEXT) | instid1(VALU_DEP_1)
	v_fmac_f32_e32 v97, v98, v97
	v_mul_f32_e32 v98, v99, v97
	s_delay_alu instid0(VALU_DEP_1) | instskip(NEXT) | instid1(VALU_DEP_1)
	v_fma_f32 v100, -v96, v98, v99
	v_fmac_f32_e32 v98, v100, v97
	s_delay_alu instid0(VALU_DEP_1) | instskip(NEXT) | instid1(VALU_DEP_1)
	v_fma_f32 v96, -v96, v98, v99
	v_div_fmas_f32 v96, v96, v97, v98
	s_delay_alu instid0(VALU_DEP_1) | instskip(NEXT) | instid1(VALU_DEP_1)
	v_div_fixup_f32 v96, v96, v95, v94
	v_fmac_f32_e32 v95, v94, v96
	s_delay_alu instid0(VALU_DEP_1) | instskip(SKIP_1) | instid1(VALU_DEP_2)
	v_div_scale_f32 v94, null, v95, v95, 1.0
	v_div_scale_f32 v99, vcc_lo, 1.0, v95, 1.0
	v_rcp_f32_e32 v97, v94
	v_nop
	s_delay_alu instid0(TRANS32_DEP_1) | instskip(NEXT) | instid1(VALU_DEP_1)
	v_fma_f32 v98, -v94, v97, 1.0
	v_fmac_f32_e32 v97, v98, v97
	s_delay_alu instid0(VALU_DEP_1) | instskip(NEXT) | instid1(VALU_DEP_1)
	v_mul_f32_e32 v98, v99, v97
	v_fma_f32 v100, -v94, v98, v99
	s_delay_alu instid0(VALU_DEP_1) | instskip(NEXT) | instid1(VALU_DEP_1)
	v_fmac_f32_e32 v98, v100, v97
	v_fma_f32 v94, -v94, v98, v99
	s_delay_alu instid0(VALU_DEP_1) | instskip(NEXT) | instid1(VALU_DEP_1)
	v_div_fmas_f32 v94, v94, v97, v98
	v_div_fixup_f32 v94, v94, v95, 1.0
	s_delay_alu instid0(VALU_DEP_1)
	v_mul_f32_e32 v96, v96, v94
	v_xor_b32_e32 v97, 0x80000000, v94
                                        ; implicit-def: $vgpr94_vgpr95
.LBB39_59:
	s_and_not1_saveexec_b32 s1, s1
	s_cbranch_execz .LBB39_61
; %bb.60:
	v_div_scale_f32 v96, null, v94, v94, v95
	v_div_scale_f32 v99, vcc_lo, v95, v94, v95
	s_delay_alu instid0(VALU_DEP_2) | instskip(SKIP_1) | instid1(TRANS32_DEP_1)
	v_rcp_f32_e32 v97, v96
	v_nop
	v_fma_f32 v98, -v96, v97, 1.0
	s_delay_alu instid0(VALU_DEP_1) | instskip(NEXT) | instid1(VALU_DEP_1)
	v_fmac_f32_e32 v97, v98, v97
	v_mul_f32_e32 v98, v99, v97
	s_delay_alu instid0(VALU_DEP_1) | instskip(NEXT) | instid1(VALU_DEP_1)
	v_fma_f32 v100, -v96, v98, v99
	v_fmac_f32_e32 v98, v100, v97
	s_delay_alu instid0(VALU_DEP_1) | instskip(NEXT) | instid1(VALU_DEP_1)
	v_fma_f32 v96, -v96, v98, v99
	v_div_fmas_f32 v96, v96, v97, v98
	s_delay_alu instid0(VALU_DEP_1) | instskip(NEXT) | instid1(VALU_DEP_1)
	v_div_fixup_f32 v97, v96, v94, v95
	v_fmac_f32_e32 v94, v95, v97
	s_delay_alu instid0(VALU_DEP_1) | instskip(NEXT) | instid1(VALU_DEP_1)
	v_div_scale_f32 v95, null, v94, v94, 1.0
	v_rcp_f32_e32 v96, v95
	v_nop
	s_delay_alu instid0(TRANS32_DEP_1) | instskip(NEXT) | instid1(VALU_DEP_1)
	v_fma_f32 v98, -v95, v96, 1.0
	v_fmac_f32_e32 v96, v98, v96
	v_div_scale_f32 v98, vcc_lo, 1.0, v94, 1.0
	s_delay_alu instid0(VALU_DEP_1) | instskip(NEXT) | instid1(VALU_DEP_1)
	v_mul_f32_e32 v99, v98, v96
	v_fma_f32 v100, -v95, v99, v98
	s_delay_alu instid0(VALU_DEP_1) | instskip(NEXT) | instid1(VALU_DEP_1)
	v_fmac_f32_e32 v99, v100, v96
	v_fma_f32 v95, -v95, v99, v98
	s_delay_alu instid0(VALU_DEP_1) | instskip(NEXT) | instid1(VALU_DEP_1)
	v_div_fmas_f32 v95, v95, v96, v99
	v_div_fixup_f32 v96, v95, v94, 1.0
	s_delay_alu instid0(VALU_DEP_1)
	v_mul_f32_e64 v97, v97, -v96
.LBB39_61:
	s_or_b32 exec_lo, exec_lo, s1
	ds_store_b64 v123, v[96:97]
.LBB39_62:
	s_or_b32 exec_lo, exec_lo, s2
	s_wait_dscnt 0x0
	s_barrier_signal -1
	s_barrier_wait -1
	ds_load_b64 v[94:95], v123
	s_mov_b32 s1, exec_lo
	v_cmpx_lt_u32_e32 6, v122
	s_cbranch_execz .LBB39_64
; %bb.63:
	s_wait_dscnt 0x0
	v_pk_mul_f32 v[96:97], v[94:95], v[26:27] op_sel:[1,1] op_sel_hi:[0,1]
	s_delay_alu instid0(VALU_DEP_1)
	v_pk_fma_f32 v[100:101], v[94:95], v[26:27], v[96:97] op_sel_hi:[1,0,1] neg_lo:[0,0,1] neg_hi:[0,0,1]
	v_pk_fma_f32 v[102:103], v[94:95], v[26:27], v[96:97] op_sel_hi:[1,0,1]
	ds_load_2addr_b64 v[96:99], v124 offset0:7 offset1:8
	v_dual_mov_b32 v26, v100 :: v_dual_mov_b32 v27, v103
	s_wait_dscnt 0x0
	v_pk_mul_f32 v[104:105], v[96:97], v[102:103] op_sel:[0,1]
	s_delay_alu instid0(VALU_DEP_1) | instskip(SKIP_1) | instid1(VALU_DEP_1)
	v_pk_fma_f32 v[106:107], v[96:97], v[100:101], v[104:105] op_sel:[0,0,1] op_sel_hi:[1,1,0] neg_lo:[0,0,1] neg_hi:[0,0,1]
	v_pk_fma_f32 v[96:97], v[96:97], v[100:101], v[104:105] op_sel:[0,0,1] op_sel_hi:[1,0,0]
	v_mov_b32_e32 v107, v97
	v_pk_mul_f32 v[96:97], v[98:99], v[102:103] op_sel:[0,1]
	s_delay_alu instid0(VALU_DEP_1) | instskip(SKIP_1) | instid1(VALU_DEP_1)
	v_pk_fma_f32 v[104:105], v[98:99], v[100:101], v[96:97] op_sel:[0,0,1] op_sel_hi:[1,1,0] neg_lo:[0,0,1] neg_hi:[0,0,1]
	v_pk_fma_f32 v[96:97], v[98:99], v[100:101], v[96:97] op_sel:[0,0,1] op_sel_hi:[1,0,0]
	v_mov_b32_e32 v105, v97
	ds_load_2addr_b64 v[96:99], v124 offset0:9 offset1:10
	v_pk_add_f32 v[22:23], v[22:23], v[106:107] neg_lo:[0,1] neg_hi:[0,1]
	v_pk_add_f32 v[48:49], v[48:49], v[104:105] neg_lo:[0,1] neg_hi:[0,1]
	s_wait_dscnt 0x0
	v_pk_mul_f32 v[104:105], v[96:97], v[102:103] op_sel:[0,1]
	s_delay_alu instid0(VALU_DEP_1) | instskip(SKIP_2) | instid1(VALU_DEP_2)
	v_pk_fma_f32 v[106:107], v[96:97], v[100:101], v[104:105] op_sel:[0,0,1] op_sel_hi:[1,1,0] neg_lo:[0,0,1] neg_hi:[0,0,1]
	v_pk_fma_f32 v[96:97], v[96:97], v[100:101], v[104:105] op_sel:[0,0,1] op_sel_hi:[1,0,0]
	v_dual_mul_f32 v104, v99, v103 :: v_dual_mov_b32 v96, v99
	v_dual_mov_b32 v107, v97 :: v_dual_mov_b32 v97, v98
	s_delay_alu instid0(VALU_DEP_2) | instskip(SKIP_1) | instid1(VALU_DEP_3)
	v_pk_fma_f32 v[104:105], v[98:99], v[26:27], v[104:105] op_sel_hi:[1,1,0] neg_lo:[0,0,1] neg_hi:[0,0,1]
	v_mul_f32_e32 v98, v99, v100
	v_pk_add_f32 v[42:43], v[42:43], v[106:107] neg_lo:[0,1] neg_hi:[0,1]
	s_delay_alu instid0(VALU_DEP_2) | instskip(NEXT) | instid1(VALU_DEP_1)
	v_pk_fma_f32 v[96:97], v[96:97], v[26:27], v[98:99] op_sel_hi:[1,1,0]
	v_mov_b32_e32 v105, v97
	ds_load_2addr_b64 v[96:99], v124 offset0:11 offset1:12
	v_pk_add_f32 v[46:47], v[46:47], v[104:105] neg_lo:[0,1] neg_hi:[0,1]
	s_wait_dscnt 0x0
	v_pk_mul_f32 v[104:105], v[96:97], v[102:103] op_sel:[0,1]
	s_delay_alu instid0(VALU_DEP_1) | instskip(SKIP_1) | instid1(VALU_DEP_1)
	v_pk_fma_f32 v[106:107], v[96:97], v[100:101], v[104:105] op_sel:[0,0,1] op_sel_hi:[1,1,0] neg_lo:[0,0,1] neg_hi:[0,0,1]
	v_pk_fma_f32 v[96:97], v[96:97], v[100:101], v[104:105] op_sel:[0,0,1] op_sel_hi:[1,0,0]
	v_mov_b32_e32 v107, v97
	v_pk_mul_f32 v[96:97], v[98:99], v[102:103] op_sel:[0,1]
	s_delay_alu instid0(VALU_DEP_1) | instskip(SKIP_1) | instid1(VALU_DEP_1)
	v_pk_fma_f32 v[104:105], v[98:99], v[100:101], v[96:97] op_sel:[0,0,1] op_sel_hi:[1,1,0] neg_lo:[0,0,1] neg_hi:[0,0,1]
	v_pk_fma_f32 v[96:97], v[98:99], v[100:101], v[96:97] op_sel:[0,0,1] op_sel_hi:[1,0,0]
	v_mov_b32_e32 v105, v97
	ds_load_2addr_b64 v[96:99], v124 offset0:13 offset1:14
	v_pk_add_f32 v[40:41], v[40:41], v[106:107] neg_lo:[0,1] neg_hi:[0,1]
	v_pk_add_f32 v[72:73], v[72:73], v[104:105] neg_lo:[0,1] neg_hi:[0,1]
	s_wait_dscnt 0x0
	v_pk_mul_f32 v[104:105], v[96:97], v[102:103] op_sel:[0,1]
	s_delay_alu instid0(VALU_DEP_1) | instskip(SKIP_1) | instid1(VALU_DEP_1)
	v_pk_fma_f32 v[106:107], v[96:97], v[100:101], v[104:105] op_sel:[0,0,1] op_sel_hi:[1,1,0] neg_lo:[0,0,1] neg_hi:[0,0,1]
	v_pk_fma_f32 v[96:97], v[96:97], v[100:101], v[104:105] op_sel:[0,0,1] op_sel_hi:[1,0,0]
	v_mov_b32_e32 v107, v97
	v_pk_mul_f32 v[96:97], v[98:99], v[102:103] op_sel:[0,1]
	s_delay_alu instid0(VALU_DEP_1) | instskip(SKIP_1) | instid1(VALU_DEP_1)
	v_pk_fma_f32 v[104:105], v[98:99], v[100:101], v[96:97] op_sel:[0,0,1] op_sel_hi:[1,1,0] neg_lo:[0,0,1] neg_hi:[0,0,1]
	v_pk_fma_f32 v[96:97], v[98:99], v[100:101], v[96:97] op_sel:[0,0,1] op_sel_hi:[1,0,0]
	v_mov_b32_e32 v105, v97
	ds_load_2addr_b64 v[96:99], v124 offset0:15 offset1:16
	v_pk_add_f32 v[68:69], v[68:69], v[106:107] neg_lo:[0,1] neg_hi:[0,1]
	v_pk_add_f32 v[70:71], v[70:71], v[104:105] neg_lo:[0,1] neg_hi:[0,1]
	s_wait_dscnt 0x0
	v_dual_mul_f32 v104, v97, v103 :: v_dual_mul_f32 v106, v97, v100
	s_delay_alu instid0(VALU_DEP_1) | instskip(NEXT) | instid1(VALU_DEP_2)
	v_pk_fma_f32 v[104:105], v[96:97], v[26:27], v[104:105] op_sel_hi:[1,1,0] neg_lo:[0,0,1] neg_hi:[0,0,1]
	v_pk_fma_f32 v[96:97], v[96:97], v[26:27], v[106:107] op_sel:[1,0,0] op_sel_hi:[0,1,0]
	s_delay_alu instid0(VALU_DEP_1) | instskip(SKIP_1) | instid1(VALU_DEP_2)
	v_mov_b32_e32 v105, v97
	v_pk_mul_f32 v[96:97], v[98:99], v[102:103] op_sel:[0,1]
	v_pk_add_f32 v[66:67], v[66:67], v[104:105] neg_lo:[0,1] neg_hi:[0,1]
	s_delay_alu instid0(VALU_DEP_2) | instskip(SKIP_1) | instid1(VALU_DEP_1)
	v_pk_fma_f32 v[104:105], v[98:99], v[100:101], v[96:97] op_sel:[0,0,1] op_sel_hi:[1,1,0] neg_lo:[0,0,1] neg_hi:[0,0,1]
	v_pk_fma_f32 v[96:97], v[98:99], v[100:101], v[96:97] op_sel:[0,0,1] op_sel_hi:[1,0,0]
	v_mov_b32_e32 v105, v97
	ds_load_2addr_b64 v[96:99], v124 offset0:17 offset1:18
	v_pk_add_f32 v[80:81], v[80:81], v[104:105] neg_lo:[0,1] neg_hi:[0,1]
	s_wait_dscnt 0x0
	v_pk_mul_f32 v[104:105], v[96:97], v[102:103] op_sel:[0,1]
	s_delay_alu instid0(VALU_DEP_1) | instskip(SKIP_1) | instid1(VALU_DEP_1)
	v_pk_fma_f32 v[106:107], v[96:97], v[100:101], v[104:105] op_sel:[0,0,1] op_sel_hi:[1,1,0] neg_lo:[0,0,1] neg_hi:[0,0,1]
	v_pk_fma_f32 v[96:97], v[96:97], v[100:101], v[104:105] op_sel:[0,0,1] op_sel_hi:[1,0,0]
	v_mov_b32_e32 v107, v97
	v_pk_mul_f32 v[96:97], v[98:99], v[102:103] op_sel:[0,1]
	s_delay_alu instid0(VALU_DEP_2) | instskip(NEXT) | instid1(VALU_DEP_2)
	v_pk_add_f32 v[76:77], v[76:77], v[106:107] neg_lo:[0,1] neg_hi:[0,1]
	v_pk_fma_f32 v[104:105], v[98:99], v[100:101], v[96:97] op_sel:[0,0,1] op_sel_hi:[1,1,0] neg_lo:[0,0,1] neg_hi:[0,0,1]
	v_pk_fma_f32 v[96:97], v[98:99], v[100:101], v[96:97] op_sel:[0,0,1] op_sel_hi:[1,0,0]
	s_delay_alu instid0(VALU_DEP_1) | instskip(SKIP_4) | instid1(VALU_DEP_1)
	v_mov_b32_e32 v105, v97
	ds_load_b64 v[96:97], v124 offset:152
	v_pk_add_f32 v[74:75], v[74:75], v[104:105] neg_lo:[0,1] neg_hi:[0,1]
	s_wait_dscnt 0x0
	v_pk_mul_f32 v[98:99], v[96:97], v[102:103] op_sel:[0,1]
	v_pk_fma_f32 v[102:103], v[96:97], v[100:101], v[98:99] op_sel:[0,0,1] op_sel_hi:[1,1,0] neg_lo:[0,0,1] neg_hi:[0,0,1]
	v_pk_fma_f32 v[96:97], v[96:97], v[100:101], v[98:99] op_sel:[0,0,1] op_sel_hi:[1,0,0]
	s_delay_alu instid0(VALU_DEP_1) | instskip(NEXT) | instid1(VALU_DEP_1)
	v_mov_b32_e32 v103, v97
	v_pk_add_f32 v[78:79], v[78:79], v[102:103] neg_lo:[0,1] neg_hi:[0,1]
.LBB39_64:
	s_or_b32 exec_lo, exec_lo, s1
	s_delay_alu instid0(SALU_CYCLE_1)
	s_mov_b32 s2, exec_lo
	s_wait_dscnt 0x0
	s_barrier_signal -1
	s_barrier_wait -1
	v_cmpx_eq_u32_e32 7, v122
	s_cbranch_execz .LBB39_71
; %bb.65:
	v_dual_mov_b32 v96, v48 :: v_dual_mov_b32 v97, v49
	v_dual_mov_b32 v98, v42 :: v_dual_mov_b32 v99, v43
	ds_store_b64 v123, v[22:23]
	ds_store_2addr_b64 v124, v[96:97], v[98:99] offset0:8 offset1:9
	v_dual_mov_b32 v96, v46 :: v_dual_mov_b32 v97, v47
	v_dual_mov_b32 v98, v40 :: v_dual_mov_b32 v99, v41
	ds_store_2addr_b64 v124, v[96:97], v[98:99] offset0:10 offset1:11
	v_dual_mov_b32 v96, v72 :: v_dual_mov_b32 v97, v73
	v_dual_mov_b32 v98, v68 :: v_dual_mov_b32 v99, v69
	;; [unrolled: 3-line block ×4, first 2 shown]
	ds_store_2addr_b64 v124, v[96:97], v[98:99] offset0:16 offset1:17
	v_dual_mov_b32 v96, v74 :: v_dual_mov_b32 v97, v75
	ds_store_2addr_b64 v124, v[96:97], v[78:79] offset0:18 offset1:19
	ds_load_b64 v[96:97], v123
	s_wait_dscnt 0x0
	v_cmp_neq_f32_e32 vcc_lo, 0, v96
	v_cmp_neq_f32_e64 s1, 0, v97
	s_or_b32 s1, vcc_lo, s1
	s_delay_alu instid0(SALU_CYCLE_1)
	s_and_b32 exec_lo, exec_lo, s1
	s_cbranch_execz .LBB39_71
; %bb.66:
	v_cmp_ngt_f32_e64 s1, |v96|, |v97|
                                        ; implicit-def: $vgpr98_vgpr99
	s_and_saveexec_b32 s4, s1
	s_delay_alu instid0(SALU_CYCLE_1)
	s_xor_b32 s1, exec_lo, s4
	s_cbranch_execz .LBB39_68
; %bb.67:
	v_div_scale_f32 v98, null, v97, v97, v96
	v_div_scale_f32 v101, vcc_lo, v96, v97, v96
	s_delay_alu instid0(VALU_DEP_2) | instskip(SKIP_1) | instid1(TRANS32_DEP_1)
	v_rcp_f32_e32 v99, v98
	v_nop
	v_fma_f32 v100, -v98, v99, 1.0
	s_delay_alu instid0(VALU_DEP_1) | instskip(NEXT) | instid1(VALU_DEP_1)
	v_fmac_f32_e32 v99, v100, v99
	v_mul_f32_e32 v100, v101, v99
	s_delay_alu instid0(VALU_DEP_1) | instskip(NEXT) | instid1(VALU_DEP_1)
	v_fma_f32 v102, -v98, v100, v101
	v_fmac_f32_e32 v100, v102, v99
	s_delay_alu instid0(VALU_DEP_1) | instskip(NEXT) | instid1(VALU_DEP_1)
	v_fma_f32 v98, -v98, v100, v101
	v_div_fmas_f32 v98, v98, v99, v100
	s_delay_alu instid0(VALU_DEP_1) | instskip(NEXT) | instid1(VALU_DEP_1)
	v_div_fixup_f32 v98, v98, v97, v96
	v_fmac_f32_e32 v97, v96, v98
	s_delay_alu instid0(VALU_DEP_1) | instskip(SKIP_1) | instid1(VALU_DEP_2)
	v_div_scale_f32 v96, null, v97, v97, 1.0
	v_div_scale_f32 v101, vcc_lo, 1.0, v97, 1.0
	v_rcp_f32_e32 v99, v96
	v_nop
	s_delay_alu instid0(TRANS32_DEP_1) | instskip(NEXT) | instid1(VALU_DEP_1)
	v_fma_f32 v100, -v96, v99, 1.0
	v_fmac_f32_e32 v99, v100, v99
	s_delay_alu instid0(VALU_DEP_1) | instskip(NEXT) | instid1(VALU_DEP_1)
	v_mul_f32_e32 v100, v101, v99
	v_fma_f32 v102, -v96, v100, v101
	s_delay_alu instid0(VALU_DEP_1) | instskip(NEXT) | instid1(VALU_DEP_1)
	v_fmac_f32_e32 v100, v102, v99
	v_fma_f32 v96, -v96, v100, v101
	s_delay_alu instid0(VALU_DEP_1) | instskip(NEXT) | instid1(VALU_DEP_1)
	v_div_fmas_f32 v96, v96, v99, v100
	v_div_fixup_f32 v96, v96, v97, 1.0
	s_delay_alu instid0(VALU_DEP_1)
	v_mul_f32_e32 v98, v98, v96
	v_xor_b32_e32 v99, 0x80000000, v96
                                        ; implicit-def: $vgpr96_vgpr97
.LBB39_68:
	s_and_not1_saveexec_b32 s1, s1
	s_cbranch_execz .LBB39_70
; %bb.69:
	v_div_scale_f32 v98, null, v96, v96, v97
	v_div_scale_f32 v101, vcc_lo, v97, v96, v97
	s_delay_alu instid0(VALU_DEP_2) | instskip(SKIP_1) | instid1(TRANS32_DEP_1)
	v_rcp_f32_e32 v99, v98
	v_nop
	v_fma_f32 v100, -v98, v99, 1.0
	s_delay_alu instid0(VALU_DEP_1) | instskip(NEXT) | instid1(VALU_DEP_1)
	v_fmac_f32_e32 v99, v100, v99
	v_mul_f32_e32 v100, v101, v99
	s_delay_alu instid0(VALU_DEP_1) | instskip(NEXT) | instid1(VALU_DEP_1)
	v_fma_f32 v102, -v98, v100, v101
	v_fmac_f32_e32 v100, v102, v99
	s_delay_alu instid0(VALU_DEP_1) | instskip(NEXT) | instid1(VALU_DEP_1)
	v_fma_f32 v98, -v98, v100, v101
	v_div_fmas_f32 v98, v98, v99, v100
	s_delay_alu instid0(VALU_DEP_1) | instskip(NEXT) | instid1(VALU_DEP_1)
	v_div_fixup_f32 v99, v98, v96, v97
	v_fmac_f32_e32 v96, v97, v99
	s_delay_alu instid0(VALU_DEP_1) | instskip(NEXT) | instid1(VALU_DEP_1)
	v_div_scale_f32 v97, null, v96, v96, 1.0
	v_rcp_f32_e32 v98, v97
	v_nop
	s_delay_alu instid0(TRANS32_DEP_1) | instskip(NEXT) | instid1(VALU_DEP_1)
	v_fma_f32 v100, -v97, v98, 1.0
	v_fmac_f32_e32 v98, v100, v98
	v_div_scale_f32 v100, vcc_lo, 1.0, v96, 1.0
	s_delay_alu instid0(VALU_DEP_1) | instskip(NEXT) | instid1(VALU_DEP_1)
	v_mul_f32_e32 v101, v100, v98
	v_fma_f32 v102, -v97, v101, v100
	s_delay_alu instid0(VALU_DEP_1) | instskip(NEXT) | instid1(VALU_DEP_1)
	v_fmac_f32_e32 v101, v102, v98
	v_fma_f32 v97, -v97, v101, v100
	s_delay_alu instid0(VALU_DEP_1) | instskip(NEXT) | instid1(VALU_DEP_1)
	v_div_fmas_f32 v97, v97, v98, v101
	v_div_fixup_f32 v98, v97, v96, 1.0
	s_delay_alu instid0(VALU_DEP_1)
	v_mul_f32_e64 v99, v99, -v98
.LBB39_70:
	s_or_b32 exec_lo, exec_lo, s1
	ds_store_b64 v123, v[98:99]
.LBB39_71:
	s_or_b32 exec_lo, exec_lo, s2
	s_wait_dscnt 0x0
	s_barrier_signal -1
	s_barrier_wait -1
	ds_load_b64 v[96:97], v123
	s_mov_b32 s1, exec_lo
	v_cmpx_lt_u32_e32 7, v122
	s_cbranch_execz .LBB39_73
; %bb.72:
	s_wait_dscnt 0x0
	v_pk_mul_f32 v[98:99], v[96:97], v[22:23] op_sel:[1,1] op_sel_hi:[0,1]
	s_delay_alu instid0(VALU_DEP_1)
	v_pk_fma_f32 v[102:103], v[96:97], v[22:23], v[98:99] op_sel_hi:[1,0,1] neg_lo:[0,0,1] neg_hi:[0,0,1]
	v_pk_fma_f32 v[104:105], v[96:97], v[22:23], v[98:99] op_sel_hi:[1,0,1]
	ds_load_2addr_b64 v[98:101], v124 offset0:8 offset1:9
	v_dual_mov_b32 v22, v102 :: v_dual_mov_b32 v23, v105
	s_wait_dscnt 0x0
	v_pk_mul_f32 v[106:107], v[98:99], v[104:105] op_sel:[0,1]
	s_delay_alu instid0(VALU_DEP_1) | instskip(SKIP_1) | instid1(VALU_DEP_1)
	v_pk_fma_f32 v[108:109], v[98:99], v[102:103], v[106:107] op_sel:[0,0,1] op_sel_hi:[1,1,0] neg_lo:[0,0,1] neg_hi:[0,0,1]
	v_pk_fma_f32 v[98:99], v[98:99], v[102:103], v[106:107] op_sel:[0,0,1] op_sel_hi:[1,0,0]
	v_mov_b32_e32 v109, v99
	v_pk_mul_f32 v[98:99], v[100:101], v[104:105] op_sel:[0,1]
	s_delay_alu instid0(VALU_DEP_1) | instskip(SKIP_1) | instid1(VALU_DEP_1)
	v_pk_fma_f32 v[106:107], v[100:101], v[102:103], v[98:99] op_sel:[0,0,1] op_sel_hi:[1,1,0] neg_lo:[0,0,1] neg_hi:[0,0,1]
	v_pk_fma_f32 v[98:99], v[100:101], v[102:103], v[98:99] op_sel:[0,0,1] op_sel_hi:[1,0,0]
	v_mov_b32_e32 v107, v99
	ds_load_2addr_b64 v[98:101], v124 offset0:10 offset1:11
	v_pk_add_f32 v[48:49], v[48:49], v[108:109] neg_lo:[0,1] neg_hi:[0,1]
	v_pk_add_f32 v[42:43], v[42:43], v[106:107] neg_lo:[0,1] neg_hi:[0,1]
	s_wait_dscnt 0x0
	v_pk_mul_f32 v[106:107], v[98:99], v[104:105] op_sel:[0,1]
	s_delay_alu instid0(VALU_DEP_1) | instskip(SKIP_2) | instid1(VALU_DEP_2)
	v_pk_fma_f32 v[108:109], v[98:99], v[102:103], v[106:107] op_sel:[0,0,1] op_sel_hi:[1,1,0] neg_lo:[0,0,1] neg_hi:[0,0,1]
	v_pk_fma_f32 v[98:99], v[98:99], v[102:103], v[106:107] op_sel:[0,0,1] op_sel_hi:[1,0,0]
	v_dual_mul_f32 v106, v101, v105 :: v_dual_mov_b32 v98, v101
	v_dual_mov_b32 v109, v99 :: v_dual_mov_b32 v99, v100
	s_delay_alu instid0(VALU_DEP_2) | instskip(SKIP_1) | instid1(VALU_DEP_3)
	v_pk_fma_f32 v[106:107], v[100:101], v[22:23], v[106:107] op_sel_hi:[1,1,0] neg_lo:[0,0,1] neg_hi:[0,0,1]
	v_mul_f32_e32 v100, v101, v102
	v_pk_add_f32 v[46:47], v[46:47], v[108:109] neg_lo:[0,1] neg_hi:[0,1]
	s_delay_alu instid0(VALU_DEP_2) | instskip(NEXT) | instid1(VALU_DEP_1)
	v_pk_fma_f32 v[98:99], v[98:99], v[22:23], v[100:101] op_sel_hi:[1,1,0]
	v_mov_b32_e32 v107, v99
	ds_load_2addr_b64 v[98:101], v124 offset0:12 offset1:13
	v_pk_add_f32 v[40:41], v[40:41], v[106:107] neg_lo:[0,1] neg_hi:[0,1]
	s_wait_dscnt 0x0
	v_pk_mul_f32 v[106:107], v[98:99], v[104:105] op_sel:[0,1]
	s_delay_alu instid0(VALU_DEP_1) | instskip(SKIP_1) | instid1(VALU_DEP_1)
	v_pk_fma_f32 v[108:109], v[98:99], v[102:103], v[106:107] op_sel:[0,0,1] op_sel_hi:[1,1,0] neg_lo:[0,0,1] neg_hi:[0,0,1]
	v_pk_fma_f32 v[98:99], v[98:99], v[102:103], v[106:107] op_sel:[0,0,1] op_sel_hi:[1,0,0]
	v_mov_b32_e32 v109, v99
	v_pk_mul_f32 v[98:99], v[100:101], v[104:105] op_sel:[0,1]
	s_delay_alu instid0(VALU_DEP_1) | instskip(SKIP_1) | instid1(VALU_DEP_1)
	v_pk_fma_f32 v[106:107], v[100:101], v[102:103], v[98:99] op_sel:[0,0,1] op_sel_hi:[1,1,0] neg_lo:[0,0,1] neg_hi:[0,0,1]
	v_pk_fma_f32 v[98:99], v[100:101], v[102:103], v[98:99] op_sel:[0,0,1] op_sel_hi:[1,0,0]
	v_mov_b32_e32 v107, v99
	ds_load_2addr_b64 v[98:101], v124 offset0:14 offset1:15
	v_pk_add_f32 v[72:73], v[72:73], v[108:109] neg_lo:[0,1] neg_hi:[0,1]
	v_pk_add_f32 v[68:69], v[68:69], v[106:107] neg_lo:[0,1] neg_hi:[0,1]
	s_wait_dscnt 0x0
	v_pk_mul_f32 v[106:107], v[98:99], v[104:105] op_sel:[0,1]
	s_delay_alu instid0(VALU_DEP_1) | instskip(SKIP_1) | instid1(VALU_DEP_1)
	v_pk_fma_f32 v[108:109], v[98:99], v[102:103], v[106:107] op_sel:[0,0,1] op_sel_hi:[1,1,0] neg_lo:[0,0,1] neg_hi:[0,0,1]
	v_pk_fma_f32 v[98:99], v[98:99], v[102:103], v[106:107] op_sel:[0,0,1] op_sel_hi:[1,0,0]
	v_mov_b32_e32 v109, v99
	v_pk_mul_f32 v[98:99], v[100:101], v[104:105] op_sel:[0,1]
	s_delay_alu instid0(VALU_DEP_1) | instskip(SKIP_1) | instid1(VALU_DEP_1)
	v_pk_fma_f32 v[106:107], v[100:101], v[102:103], v[98:99] op_sel:[0,0,1] op_sel_hi:[1,1,0] neg_lo:[0,0,1] neg_hi:[0,0,1]
	v_pk_fma_f32 v[98:99], v[100:101], v[102:103], v[98:99] op_sel:[0,0,1] op_sel_hi:[1,0,0]
	v_mov_b32_e32 v107, v99
	ds_load_2addr_b64 v[98:101], v124 offset0:16 offset1:17
	v_pk_add_f32 v[70:71], v[70:71], v[108:109] neg_lo:[0,1] neg_hi:[0,1]
	v_pk_add_f32 v[66:67], v[66:67], v[106:107] neg_lo:[0,1] neg_hi:[0,1]
	s_wait_dscnt 0x0
	v_dual_mul_f32 v106, v99, v105 :: v_dual_mul_f32 v108, v99, v102
	s_delay_alu instid0(VALU_DEP_1) | instskip(NEXT) | instid1(VALU_DEP_2)
	v_pk_fma_f32 v[106:107], v[98:99], v[22:23], v[106:107] op_sel_hi:[1,1,0] neg_lo:[0,0,1] neg_hi:[0,0,1]
	v_pk_fma_f32 v[98:99], v[98:99], v[22:23], v[108:109] op_sel:[1,0,0] op_sel_hi:[0,1,0]
	s_delay_alu instid0(VALU_DEP_1) | instskip(SKIP_1) | instid1(VALU_DEP_2)
	v_mov_b32_e32 v107, v99
	v_pk_mul_f32 v[98:99], v[100:101], v[104:105] op_sel:[0,1]
	v_pk_add_f32 v[80:81], v[80:81], v[106:107] neg_lo:[0,1] neg_hi:[0,1]
	s_delay_alu instid0(VALU_DEP_2) | instskip(SKIP_1) | instid1(VALU_DEP_1)
	v_pk_fma_f32 v[106:107], v[100:101], v[102:103], v[98:99] op_sel:[0,0,1] op_sel_hi:[1,1,0] neg_lo:[0,0,1] neg_hi:[0,0,1]
	v_pk_fma_f32 v[98:99], v[100:101], v[102:103], v[98:99] op_sel:[0,0,1] op_sel_hi:[1,0,0]
	v_mov_b32_e32 v107, v99
	ds_load_2addr_b64 v[98:101], v124 offset0:18 offset1:19
	v_pk_add_f32 v[76:77], v[76:77], v[106:107] neg_lo:[0,1] neg_hi:[0,1]
	s_wait_dscnt 0x0
	v_pk_mul_f32 v[106:107], v[98:99], v[104:105] op_sel:[0,1]
	v_mul_f32_e32 v104, v101, v105
	s_delay_alu instid0(VALU_DEP_2) | instskip(SKIP_2) | instid1(VALU_DEP_4)
	v_pk_fma_f32 v[108:109], v[98:99], v[102:103], v[106:107] op_sel:[0,0,1] op_sel_hi:[1,1,0] neg_lo:[0,0,1] neg_hi:[0,0,1]
	v_pk_fma_f32 v[98:99], v[98:99], v[102:103], v[106:107] op_sel:[0,0,1] op_sel_hi:[1,0,0]
	v_mov_b32_e32 v98, v101
	v_pk_fma_f32 v[104:105], v[100:101], v[22:23], v[104:105] op_sel_hi:[1,1,0] neg_lo:[0,0,1] neg_hi:[0,0,1]
	s_delay_alu instid0(VALU_DEP_3) | instskip(SKIP_1) | instid1(VALU_DEP_2)
	v_dual_mov_b32 v109, v99 :: v_dual_mov_b32 v99, v100
	v_mul_f32_e32 v100, v101, v102
	v_pk_add_f32 v[74:75], v[74:75], v[108:109] neg_lo:[0,1] neg_hi:[0,1]
	s_delay_alu instid0(VALU_DEP_2) | instskip(NEXT) | instid1(VALU_DEP_1)
	v_pk_fma_f32 v[98:99], v[98:99], v[22:23], v[100:101] op_sel_hi:[1,1,0]
	v_mov_b32_e32 v105, v99
	s_delay_alu instid0(VALU_DEP_1)
	v_pk_add_f32 v[78:79], v[78:79], v[104:105] neg_lo:[0,1] neg_hi:[0,1]
.LBB39_73:
	s_or_b32 exec_lo, exec_lo, s1
	s_delay_alu instid0(SALU_CYCLE_1)
	s_mov_b32 s2, exec_lo
	s_wait_dscnt 0x0
	s_barrier_signal -1
	s_barrier_wait -1
	v_cmpx_eq_u32_e32 8, v122
	s_cbranch_execz .LBB39_80
; %bb.74:
	ds_store_b64 v123, v[48:49]
	ds_store_2addr_b64 v124, v[42:43], v[46:47] offset0:9 offset1:10
	ds_store_2addr_b64 v124, v[40:41], v[72:73] offset0:11 offset1:12
	;; [unrolled: 1-line block ×5, first 2 shown]
	ds_store_b64 v124, v[78:79] offset:152
	ds_load_b64 v[98:99], v123
	s_wait_dscnt 0x0
	v_cmp_neq_f32_e32 vcc_lo, 0, v98
	v_cmp_neq_f32_e64 s1, 0, v99
	s_or_b32 s1, vcc_lo, s1
	s_delay_alu instid0(SALU_CYCLE_1)
	s_and_b32 exec_lo, exec_lo, s1
	s_cbranch_execz .LBB39_80
; %bb.75:
	v_cmp_ngt_f32_e64 s1, |v98|, |v99|
                                        ; implicit-def: $vgpr100_vgpr101
	s_and_saveexec_b32 s4, s1
	s_delay_alu instid0(SALU_CYCLE_1)
	s_xor_b32 s1, exec_lo, s4
	s_cbranch_execz .LBB39_77
; %bb.76:
	v_div_scale_f32 v100, null, v99, v99, v98
	v_div_scale_f32 v103, vcc_lo, v98, v99, v98
	s_delay_alu instid0(VALU_DEP_2) | instskip(SKIP_1) | instid1(TRANS32_DEP_1)
	v_rcp_f32_e32 v101, v100
	v_nop
	v_fma_f32 v102, -v100, v101, 1.0
	s_delay_alu instid0(VALU_DEP_1) | instskip(NEXT) | instid1(VALU_DEP_1)
	v_fmac_f32_e32 v101, v102, v101
	v_mul_f32_e32 v102, v103, v101
	s_delay_alu instid0(VALU_DEP_1) | instskip(NEXT) | instid1(VALU_DEP_1)
	v_fma_f32 v104, -v100, v102, v103
	v_fmac_f32_e32 v102, v104, v101
	s_delay_alu instid0(VALU_DEP_1) | instskip(NEXT) | instid1(VALU_DEP_1)
	v_fma_f32 v100, -v100, v102, v103
	v_div_fmas_f32 v100, v100, v101, v102
	s_delay_alu instid0(VALU_DEP_1) | instskip(NEXT) | instid1(VALU_DEP_1)
	v_div_fixup_f32 v100, v100, v99, v98
	v_fmac_f32_e32 v99, v98, v100
	s_delay_alu instid0(VALU_DEP_1) | instskip(SKIP_1) | instid1(VALU_DEP_2)
	v_div_scale_f32 v98, null, v99, v99, 1.0
	v_div_scale_f32 v103, vcc_lo, 1.0, v99, 1.0
	v_rcp_f32_e32 v101, v98
	v_nop
	s_delay_alu instid0(TRANS32_DEP_1) | instskip(NEXT) | instid1(VALU_DEP_1)
	v_fma_f32 v102, -v98, v101, 1.0
	v_fmac_f32_e32 v101, v102, v101
	s_delay_alu instid0(VALU_DEP_1) | instskip(NEXT) | instid1(VALU_DEP_1)
	v_mul_f32_e32 v102, v103, v101
	v_fma_f32 v104, -v98, v102, v103
	s_delay_alu instid0(VALU_DEP_1) | instskip(NEXT) | instid1(VALU_DEP_1)
	v_fmac_f32_e32 v102, v104, v101
	v_fma_f32 v98, -v98, v102, v103
	s_delay_alu instid0(VALU_DEP_1) | instskip(NEXT) | instid1(VALU_DEP_1)
	v_div_fmas_f32 v98, v98, v101, v102
	v_div_fixup_f32 v98, v98, v99, 1.0
	s_delay_alu instid0(VALU_DEP_1)
	v_mul_f32_e32 v100, v100, v98
	v_xor_b32_e32 v101, 0x80000000, v98
                                        ; implicit-def: $vgpr98_vgpr99
.LBB39_77:
	s_and_not1_saveexec_b32 s1, s1
	s_cbranch_execz .LBB39_79
; %bb.78:
	v_div_scale_f32 v100, null, v98, v98, v99
	v_div_scale_f32 v103, vcc_lo, v99, v98, v99
	s_delay_alu instid0(VALU_DEP_2) | instskip(SKIP_1) | instid1(TRANS32_DEP_1)
	v_rcp_f32_e32 v101, v100
	v_nop
	v_fma_f32 v102, -v100, v101, 1.0
	s_delay_alu instid0(VALU_DEP_1) | instskip(NEXT) | instid1(VALU_DEP_1)
	v_fmac_f32_e32 v101, v102, v101
	v_mul_f32_e32 v102, v103, v101
	s_delay_alu instid0(VALU_DEP_1) | instskip(NEXT) | instid1(VALU_DEP_1)
	v_fma_f32 v104, -v100, v102, v103
	v_fmac_f32_e32 v102, v104, v101
	s_delay_alu instid0(VALU_DEP_1) | instskip(NEXT) | instid1(VALU_DEP_1)
	v_fma_f32 v100, -v100, v102, v103
	v_div_fmas_f32 v100, v100, v101, v102
	s_delay_alu instid0(VALU_DEP_1) | instskip(NEXT) | instid1(VALU_DEP_1)
	v_div_fixup_f32 v101, v100, v98, v99
	v_fmac_f32_e32 v98, v99, v101
	s_delay_alu instid0(VALU_DEP_1) | instskip(NEXT) | instid1(VALU_DEP_1)
	v_div_scale_f32 v99, null, v98, v98, 1.0
	v_rcp_f32_e32 v100, v99
	v_nop
	s_delay_alu instid0(TRANS32_DEP_1) | instskip(NEXT) | instid1(VALU_DEP_1)
	v_fma_f32 v102, -v99, v100, 1.0
	v_fmac_f32_e32 v100, v102, v100
	v_div_scale_f32 v102, vcc_lo, 1.0, v98, 1.0
	s_delay_alu instid0(VALU_DEP_1) | instskip(NEXT) | instid1(VALU_DEP_1)
	v_mul_f32_e32 v103, v102, v100
	v_fma_f32 v104, -v99, v103, v102
	s_delay_alu instid0(VALU_DEP_1) | instskip(NEXT) | instid1(VALU_DEP_1)
	v_fmac_f32_e32 v103, v104, v100
	v_fma_f32 v99, -v99, v103, v102
	s_delay_alu instid0(VALU_DEP_1) | instskip(NEXT) | instid1(VALU_DEP_1)
	v_div_fmas_f32 v99, v99, v100, v103
	v_div_fixup_f32 v100, v99, v98, 1.0
	s_delay_alu instid0(VALU_DEP_1)
	v_mul_f32_e64 v101, v101, -v100
.LBB39_79:
	s_or_b32 exec_lo, exec_lo, s1
	ds_store_b64 v123, v[100:101]
.LBB39_80:
	s_or_b32 exec_lo, exec_lo, s2
	s_wait_dscnt 0x0
	s_barrier_signal -1
	s_barrier_wait -1
	ds_load_b64 v[98:99], v123
	s_mov_b32 s1, exec_lo
	v_cmpx_lt_u32_e32 8, v122
	s_cbranch_execz .LBB39_82
; %bb.81:
	s_wait_dscnt 0x0
	v_pk_mul_f32 v[100:101], v[98:99], v[48:49] op_sel:[1,1] op_sel_hi:[0,1]
	s_delay_alu instid0(VALU_DEP_1)
	v_pk_fma_f32 v[104:105], v[98:99], v[48:49], v[100:101] op_sel_hi:[1,0,1] neg_lo:[0,0,1] neg_hi:[0,0,1]
	v_pk_fma_f32 v[106:107], v[98:99], v[48:49], v[100:101] op_sel_hi:[1,0,1]
	ds_load_2addr_b64 v[100:103], v124 offset0:9 offset1:10
	v_dual_mov_b32 v48, v104 :: v_dual_mov_b32 v49, v107
	s_wait_dscnt 0x0
	v_pk_mul_f32 v[108:109], v[100:101], v[106:107] op_sel:[0,1]
	s_delay_alu instid0(VALU_DEP_1) | instskip(SKIP_1) | instid1(VALU_DEP_1)
	v_pk_fma_f32 v[110:111], v[100:101], v[104:105], v[108:109] op_sel:[0,0,1] op_sel_hi:[1,1,0] neg_lo:[0,0,1] neg_hi:[0,0,1]
	v_pk_fma_f32 v[100:101], v[100:101], v[104:105], v[108:109] op_sel:[0,0,1] op_sel_hi:[1,0,0]
	v_mov_b32_e32 v111, v101
	v_pk_mul_f32 v[100:101], v[102:103], v[106:107] op_sel:[0,1]
	s_delay_alu instid0(VALU_DEP_1) | instskip(SKIP_1) | instid1(VALU_DEP_1)
	v_pk_fma_f32 v[108:109], v[102:103], v[104:105], v[100:101] op_sel:[0,0,1] op_sel_hi:[1,1,0] neg_lo:[0,0,1] neg_hi:[0,0,1]
	v_pk_fma_f32 v[100:101], v[102:103], v[104:105], v[100:101] op_sel:[0,0,1] op_sel_hi:[1,0,0]
	v_mov_b32_e32 v109, v101
	ds_load_2addr_b64 v[100:103], v124 offset0:11 offset1:12
	v_pk_add_f32 v[42:43], v[42:43], v[110:111] neg_lo:[0,1] neg_hi:[0,1]
	v_pk_add_f32 v[46:47], v[46:47], v[108:109] neg_lo:[0,1] neg_hi:[0,1]
	s_wait_dscnt 0x0
	v_pk_mul_f32 v[108:109], v[100:101], v[106:107] op_sel:[0,1]
	s_delay_alu instid0(VALU_DEP_1) | instskip(SKIP_2) | instid1(VALU_DEP_2)
	v_pk_fma_f32 v[110:111], v[100:101], v[104:105], v[108:109] op_sel:[0,0,1] op_sel_hi:[1,1,0] neg_lo:[0,0,1] neg_hi:[0,0,1]
	v_pk_fma_f32 v[100:101], v[100:101], v[104:105], v[108:109] op_sel:[0,0,1] op_sel_hi:[1,0,0]
	v_dual_mul_f32 v108, v103, v107 :: v_dual_mov_b32 v100, v103
	v_dual_mov_b32 v111, v101 :: v_dual_mov_b32 v101, v102
	s_delay_alu instid0(VALU_DEP_2) | instskip(SKIP_1) | instid1(VALU_DEP_3)
	v_pk_fma_f32 v[108:109], v[102:103], v[48:49], v[108:109] op_sel_hi:[1,1,0] neg_lo:[0,0,1] neg_hi:[0,0,1]
	v_mul_f32_e32 v102, v103, v104
	v_pk_add_f32 v[40:41], v[40:41], v[110:111] neg_lo:[0,1] neg_hi:[0,1]
	s_delay_alu instid0(VALU_DEP_2) | instskip(NEXT) | instid1(VALU_DEP_1)
	v_pk_fma_f32 v[100:101], v[100:101], v[48:49], v[102:103] op_sel_hi:[1,1,0]
	v_mov_b32_e32 v109, v101
	ds_load_2addr_b64 v[100:103], v124 offset0:13 offset1:14
	v_pk_add_f32 v[72:73], v[72:73], v[108:109] neg_lo:[0,1] neg_hi:[0,1]
	s_wait_dscnt 0x0
	v_pk_mul_f32 v[108:109], v[100:101], v[106:107] op_sel:[0,1]
	s_delay_alu instid0(VALU_DEP_1) | instskip(SKIP_1) | instid1(VALU_DEP_1)
	v_pk_fma_f32 v[110:111], v[100:101], v[104:105], v[108:109] op_sel:[0,0,1] op_sel_hi:[1,1,0] neg_lo:[0,0,1] neg_hi:[0,0,1]
	v_pk_fma_f32 v[100:101], v[100:101], v[104:105], v[108:109] op_sel:[0,0,1] op_sel_hi:[1,0,0]
	v_mov_b32_e32 v111, v101
	v_pk_mul_f32 v[100:101], v[102:103], v[106:107] op_sel:[0,1]
	s_delay_alu instid0(VALU_DEP_1) | instskip(SKIP_1) | instid1(VALU_DEP_1)
	v_pk_fma_f32 v[108:109], v[102:103], v[104:105], v[100:101] op_sel:[0,0,1] op_sel_hi:[1,1,0] neg_lo:[0,0,1] neg_hi:[0,0,1]
	v_pk_fma_f32 v[100:101], v[102:103], v[104:105], v[100:101] op_sel:[0,0,1] op_sel_hi:[1,0,0]
	v_mov_b32_e32 v109, v101
	ds_load_2addr_b64 v[100:103], v124 offset0:15 offset1:16
	v_pk_add_f32 v[68:69], v[68:69], v[110:111] neg_lo:[0,1] neg_hi:[0,1]
	v_pk_add_f32 v[70:71], v[70:71], v[108:109] neg_lo:[0,1] neg_hi:[0,1]
	s_wait_dscnt 0x0
	v_pk_mul_f32 v[108:109], v[100:101], v[106:107] op_sel:[0,1]
	s_delay_alu instid0(VALU_DEP_1) | instskip(SKIP_1) | instid1(VALU_DEP_1)
	v_pk_fma_f32 v[110:111], v[100:101], v[104:105], v[108:109] op_sel:[0,0,1] op_sel_hi:[1,1,0] neg_lo:[0,0,1] neg_hi:[0,0,1]
	v_pk_fma_f32 v[100:101], v[100:101], v[104:105], v[108:109] op_sel:[0,0,1] op_sel_hi:[1,0,0]
	v_mov_b32_e32 v111, v101
	v_pk_mul_f32 v[100:101], v[102:103], v[106:107] op_sel:[0,1]
	s_delay_alu instid0(VALU_DEP_1) | instskip(SKIP_1) | instid1(VALU_DEP_1)
	v_pk_fma_f32 v[108:109], v[102:103], v[104:105], v[100:101] op_sel:[0,0,1] op_sel_hi:[1,1,0] neg_lo:[0,0,1] neg_hi:[0,0,1]
	v_pk_fma_f32 v[100:101], v[102:103], v[104:105], v[100:101] op_sel:[0,0,1] op_sel_hi:[1,0,0]
	v_mov_b32_e32 v109, v101
	ds_load_2addr_b64 v[100:103], v124 offset0:17 offset1:18
	v_pk_add_f32 v[66:67], v[66:67], v[110:111] neg_lo:[0,1] neg_hi:[0,1]
	v_pk_add_f32 v[80:81], v[80:81], v[108:109] neg_lo:[0,1] neg_hi:[0,1]
	s_wait_dscnt 0x0
	v_dual_mul_f32 v108, v101, v107 :: v_dual_mul_f32 v110, v101, v104
	s_delay_alu instid0(VALU_DEP_1) | instskip(NEXT) | instid1(VALU_DEP_2)
	v_pk_fma_f32 v[108:109], v[100:101], v[48:49], v[108:109] op_sel_hi:[1,1,0] neg_lo:[0,0,1] neg_hi:[0,0,1]
	v_pk_fma_f32 v[100:101], v[100:101], v[48:49], v[110:111] op_sel:[1,0,0] op_sel_hi:[0,1,0]
	s_delay_alu instid0(VALU_DEP_1) | instskip(SKIP_1) | instid1(VALU_DEP_2)
	v_mov_b32_e32 v109, v101
	v_pk_mul_f32 v[100:101], v[102:103], v[106:107] op_sel:[0,1]
	v_pk_add_f32 v[76:77], v[76:77], v[108:109] neg_lo:[0,1] neg_hi:[0,1]
	s_delay_alu instid0(VALU_DEP_2) | instskip(SKIP_1) | instid1(VALU_DEP_1)
	v_pk_fma_f32 v[108:109], v[102:103], v[104:105], v[100:101] op_sel:[0,0,1] op_sel_hi:[1,1,0] neg_lo:[0,0,1] neg_hi:[0,0,1]
	v_pk_fma_f32 v[100:101], v[102:103], v[104:105], v[100:101] op_sel:[0,0,1] op_sel_hi:[1,0,0]
	v_mov_b32_e32 v109, v101
	ds_load_b64 v[100:101], v124 offset:152
	v_pk_add_f32 v[74:75], v[74:75], v[108:109] neg_lo:[0,1] neg_hi:[0,1]
	s_wait_dscnt 0x0
	v_pk_mul_f32 v[102:103], v[100:101], v[106:107] op_sel:[0,1]
	s_delay_alu instid0(VALU_DEP_1) | instskip(SKIP_1) | instid1(VALU_DEP_1)
	v_pk_fma_f32 v[106:107], v[100:101], v[104:105], v[102:103] op_sel:[0,0,1] op_sel_hi:[1,1,0] neg_lo:[0,0,1] neg_hi:[0,0,1]
	v_pk_fma_f32 v[100:101], v[100:101], v[104:105], v[102:103] op_sel:[0,0,1] op_sel_hi:[1,0,0]
	v_mov_b32_e32 v107, v101
	s_delay_alu instid0(VALU_DEP_1)
	v_pk_add_f32 v[78:79], v[78:79], v[106:107] neg_lo:[0,1] neg_hi:[0,1]
.LBB39_82:
	s_or_b32 exec_lo, exec_lo, s1
	s_delay_alu instid0(SALU_CYCLE_1)
	s_mov_b32 s2, exec_lo
	s_wait_dscnt 0x0
	s_barrier_signal -1
	s_barrier_wait -1
	v_cmpx_eq_u32_e32 9, v122
	s_cbranch_execz .LBB39_89
; %bb.83:
	v_dual_mov_b32 v100, v46 :: v_dual_mov_b32 v101, v47
	v_dual_mov_b32 v102, v40 :: v_dual_mov_b32 v103, v41
	;; [unrolled: 1-line block ×9, first 2 shown]
	ds_store_b64 v123, v[42:43]
	ds_store_2addr_b64 v124, v[100:101], v[102:103] offset0:10 offset1:11
	ds_store_2addr_b64 v124, v[104:105], v[106:107] offset0:12 offset1:13
	;; [unrolled: 1-line block ×5, first 2 shown]
	ds_load_b64 v[100:101], v123
	s_wait_dscnt 0x0
	v_cmp_neq_f32_e32 vcc_lo, 0, v100
	v_cmp_neq_f32_e64 s1, 0, v101
	s_or_b32 s1, vcc_lo, s1
	s_delay_alu instid0(SALU_CYCLE_1)
	s_and_b32 exec_lo, exec_lo, s1
	s_cbranch_execz .LBB39_89
; %bb.84:
	v_cmp_ngt_f32_e64 s1, |v100|, |v101|
                                        ; implicit-def: $vgpr102_vgpr103
	s_and_saveexec_b32 s4, s1
	s_delay_alu instid0(SALU_CYCLE_1)
	s_xor_b32 s1, exec_lo, s4
	s_cbranch_execz .LBB39_86
; %bb.85:
	v_div_scale_f32 v102, null, v101, v101, v100
	v_div_scale_f32 v105, vcc_lo, v100, v101, v100
	s_delay_alu instid0(VALU_DEP_2) | instskip(SKIP_1) | instid1(TRANS32_DEP_1)
	v_rcp_f32_e32 v103, v102
	v_nop
	v_fma_f32 v104, -v102, v103, 1.0
	s_delay_alu instid0(VALU_DEP_1) | instskip(NEXT) | instid1(VALU_DEP_1)
	v_fmac_f32_e32 v103, v104, v103
	v_mul_f32_e32 v104, v105, v103
	s_delay_alu instid0(VALU_DEP_1) | instskip(NEXT) | instid1(VALU_DEP_1)
	v_fma_f32 v106, -v102, v104, v105
	v_fmac_f32_e32 v104, v106, v103
	s_delay_alu instid0(VALU_DEP_1) | instskip(NEXT) | instid1(VALU_DEP_1)
	v_fma_f32 v102, -v102, v104, v105
	v_div_fmas_f32 v102, v102, v103, v104
	s_delay_alu instid0(VALU_DEP_1) | instskip(NEXT) | instid1(VALU_DEP_1)
	v_div_fixup_f32 v102, v102, v101, v100
	v_fmac_f32_e32 v101, v100, v102
	s_delay_alu instid0(VALU_DEP_1) | instskip(SKIP_1) | instid1(VALU_DEP_2)
	v_div_scale_f32 v100, null, v101, v101, 1.0
	v_div_scale_f32 v105, vcc_lo, 1.0, v101, 1.0
	v_rcp_f32_e32 v103, v100
	v_nop
	s_delay_alu instid0(TRANS32_DEP_1) | instskip(NEXT) | instid1(VALU_DEP_1)
	v_fma_f32 v104, -v100, v103, 1.0
	v_fmac_f32_e32 v103, v104, v103
	s_delay_alu instid0(VALU_DEP_1) | instskip(NEXT) | instid1(VALU_DEP_1)
	v_mul_f32_e32 v104, v105, v103
	v_fma_f32 v106, -v100, v104, v105
	s_delay_alu instid0(VALU_DEP_1) | instskip(NEXT) | instid1(VALU_DEP_1)
	v_fmac_f32_e32 v104, v106, v103
	v_fma_f32 v100, -v100, v104, v105
	s_delay_alu instid0(VALU_DEP_1) | instskip(NEXT) | instid1(VALU_DEP_1)
	v_div_fmas_f32 v100, v100, v103, v104
	v_div_fixup_f32 v100, v100, v101, 1.0
	s_delay_alu instid0(VALU_DEP_1)
	v_mul_f32_e32 v102, v102, v100
	v_xor_b32_e32 v103, 0x80000000, v100
                                        ; implicit-def: $vgpr100_vgpr101
.LBB39_86:
	s_and_not1_saveexec_b32 s1, s1
	s_cbranch_execz .LBB39_88
; %bb.87:
	v_div_scale_f32 v102, null, v100, v100, v101
	v_div_scale_f32 v105, vcc_lo, v101, v100, v101
	s_delay_alu instid0(VALU_DEP_2) | instskip(SKIP_1) | instid1(TRANS32_DEP_1)
	v_rcp_f32_e32 v103, v102
	v_nop
	v_fma_f32 v104, -v102, v103, 1.0
	s_delay_alu instid0(VALU_DEP_1) | instskip(NEXT) | instid1(VALU_DEP_1)
	v_fmac_f32_e32 v103, v104, v103
	v_mul_f32_e32 v104, v105, v103
	s_delay_alu instid0(VALU_DEP_1) | instskip(NEXT) | instid1(VALU_DEP_1)
	v_fma_f32 v106, -v102, v104, v105
	v_fmac_f32_e32 v104, v106, v103
	s_delay_alu instid0(VALU_DEP_1) | instskip(NEXT) | instid1(VALU_DEP_1)
	v_fma_f32 v102, -v102, v104, v105
	v_div_fmas_f32 v102, v102, v103, v104
	s_delay_alu instid0(VALU_DEP_1) | instskip(NEXT) | instid1(VALU_DEP_1)
	v_div_fixup_f32 v103, v102, v100, v101
	v_fmac_f32_e32 v100, v101, v103
	s_delay_alu instid0(VALU_DEP_1) | instskip(NEXT) | instid1(VALU_DEP_1)
	v_div_scale_f32 v101, null, v100, v100, 1.0
	v_rcp_f32_e32 v102, v101
	v_nop
	s_delay_alu instid0(TRANS32_DEP_1) | instskip(NEXT) | instid1(VALU_DEP_1)
	v_fma_f32 v104, -v101, v102, 1.0
	v_fmac_f32_e32 v102, v104, v102
	v_div_scale_f32 v104, vcc_lo, 1.0, v100, 1.0
	s_delay_alu instid0(VALU_DEP_1) | instskip(NEXT) | instid1(VALU_DEP_1)
	v_mul_f32_e32 v105, v104, v102
	v_fma_f32 v106, -v101, v105, v104
	s_delay_alu instid0(VALU_DEP_1) | instskip(NEXT) | instid1(VALU_DEP_1)
	v_fmac_f32_e32 v105, v106, v102
	v_fma_f32 v101, -v101, v105, v104
	s_delay_alu instid0(VALU_DEP_1) | instskip(NEXT) | instid1(VALU_DEP_1)
	v_div_fmas_f32 v101, v101, v102, v105
	v_div_fixup_f32 v102, v101, v100, 1.0
	s_delay_alu instid0(VALU_DEP_1)
	v_mul_f32_e64 v103, v103, -v102
.LBB39_88:
	s_or_b32 exec_lo, exec_lo, s1
	ds_store_b64 v123, v[102:103]
.LBB39_89:
	s_or_b32 exec_lo, exec_lo, s2
	s_wait_dscnt 0x0
	s_barrier_signal -1
	s_barrier_wait -1
	ds_load_b64 v[100:101], v123
	s_mov_b32 s1, exec_lo
	v_cmpx_lt_u32_e32 9, v122
	s_cbranch_execz .LBB39_91
; %bb.90:
	s_wait_dscnt 0x0
	v_pk_mul_f32 v[102:103], v[100:101], v[42:43] op_sel:[1,1] op_sel_hi:[0,1]
	s_delay_alu instid0(VALU_DEP_1)
	v_pk_fma_f32 v[106:107], v[100:101], v[42:43], v[102:103] op_sel_hi:[1,0,1] neg_lo:[0,0,1] neg_hi:[0,0,1]
	v_pk_fma_f32 v[108:109], v[100:101], v[42:43], v[102:103] op_sel_hi:[1,0,1]
	ds_load_2addr_b64 v[102:105], v124 offset0:10 offset1:11
	v_dual_mov_b32 v42, v106 :: v_dual_mov_b32 v43, v109
	s_wait_dscnt 0x0
	v_pk_mul_f32 v[110:111], v[102:103], v[108:109] op_sel:[0,1]
	s_delay_alu instid0(VALU_DEP_1) | instskip(SKIP_1) | instid1(VALU_DEP_1)
	v_pk_fma_f32 v[112:113], v[102:103], v[106:107], v[110:111] op_sel:[0,0,1] op_sel_hi:[1,1,0] neg_lo:[0,0,1] neg_hi:[0,0,1]
	v_pk_fma_f32 v[102:103], v[102:103], v[106:107], v[110:111] op_sel:[0,0,1] op_sel_hi:[1,0,0]
	v_mov_b32_e32 v113, v103
	v_pk_mul_f32 v[102:103], v[104:105], v[108:109] op_sel:[0,1]
	s_delay_alu instid0(VALU_DEP_1) | instskip(SKIP_1) | instid1(VALU_DEP_1)
	v_pk_fma_f32 v[110:111], v[104:105], v[106:107], v[102:103] op_sel:[0,0,1] op_sel_hi:[1,1,0] neg_lo:[0,0,1] neg_hi:[0,0,1]
	v_pk_fma_f32 v[102:103], v[104:105], v[106:107], v[102:103] op_sel:[0,0,1] op_sel_hi:[1,0,0]
	v_mov_b32_e32 v111, v103
	ds_load_2addr_b64 v[102:105], v124 offset0:12 offset1:13
	v_pk_add_f32 v[46:47], v[46:47], v[112:113] neg_lo:[0,1] neg_hi:[0,1]
	v_pk_add_f32 v[40:41], v[40:41], v[110:111] neg_lo:[0,1] neg_hi:[0,1]
	s_wait_dscnt 0x0
	v_pk_mul_f32 v[110:111], v[102:103], v[108:109] op_sel:[0,1]
	s_delay_alu instid0(VALU_DEP_1) | instskip(SKIP_2) | instid1(VALU_DEP_2)
	v_pk_fma_f32 v[112:113], v[102:103], v[106:107], v[110:111] op_sel:[0,0,1] op_sel_hi:[1,1,0] neg_lo:[0,0,1] neg_hi:[0,0,1]
	v_pk_fma_f32 v[102:103], v[102:103], v[106:107], v[110:111] op_sel:[0,0,1] op_sel_hi:[1,0,0]
	v_dual_mul_f32 v110, v105, v109 :: v_dual_mov_b32 v102, v105
	v_dual_mov_b32 v113, v103 :: v_dual_mov_b32 v103, v104
	s_delay_alu instid0(VALU_DEP_2) | instskip(SKIP_1) | instid1(VALU_DEP_3)
	v_pk_fma_f32 v[110:111], v[104:105], v[42:43], v[110:111] op_sel_hi:[1,1,0] neg_lo:[0,0,1] neg_hi:[0,0,1]
	v_mul_f32_e32 v104, v105, v106
	v_pk_add_f32 v[72:73], v[72:73], v[112:113] neg_lo:[0,1] neg_hi:[0,1]
	s_delay_alu instid0(VALU_DEP_2) | instskip(NEXT) | instid1(VALU_DEP_1)
	v_pk_fma_f32 v[102:103], v[102:103], v[42:43], v[104:105] op_sel_hi:[1,1,0]
	v_mov_b32_e32 v111, v103
	ds_load_2addr_b64 v[102:105], v124 offset0:14 offset1:15
	v_pk_add_f32 v[68:69], v[68:69], v[110:111] neg_lo:[0,1] neg_hi:[0,1]
	s_wait_dscnt 0x0
	v_pk_mul_f32 v[110:111], v[102:103], v[108:109] op_sel:[0,1]
	s_delay_alu instid0(VALU_DEP_1) | instskip(SKIP_1) | instid1(VALU_DEP_1)
	v_pk_fma_f32 v[112:113], v[102:103], v[106:107], v[110:111] op_sel:[0,0,1] op_sel_hi:[1,1,0] neg_lo:[0,0,1] neg_hi:[0,0,1]
	v_pk_fma_f32 v[102:103], v[102:103], v[106:107], v[110:111] op_sel:[0,0,1] op_sel_hi:[1,0,0]
	v_mov_b32_e32 v113, v103
	v_pk_mul_f32 v[102:103], v[104:105], v[108:109] op_sel:[0,1]
	s_delay_alu instid0(VALU_DEP_1) | instskip(SKIP_1) | instid1(VALU_DEP_1)
	v_pk_fma_f32 v[110:111], v[104:105], v[106:107], v[102:103] op_sel:[0,0,1] op_sel_hi:[1,1,0] neg_lo:[0,0,1] neg_hi:[0,0,1]
	v_pk_fma_f32 v[102:103], v[104:105], v[106:107], v[102:103] op_sel:[0,0,1] op_sel_hi:[1,0,0]
	v_mov_b32_e32 v111, v103
	ds_load_2addr_b64 v[102:105], v124 offset0:16 offset1:17
	v_pk_add_f32 v[70:71], v[70:71], v[112:113] neg_lo:[0,1] neg_hi:[0,1]
	v_pk_add_f32 v[66:67], v[66:67], v[110:111] neg_lo:[0,1] neg_hi:[0,1]
	s_wait_dscnt 0x0
	v_pk_mul_f32 v[110:111], v[102:103], v[108:109] op_sel:[0,1]
	s_delay_alu instid0(VALU_DEP_1) | instskip(SKIP_1) | instid1(VALU_DEP_1)
	v_pk_fma_f32 v[112:113], v[102:103], v[106:107], v[110:111] op_sel:[0,0,1] op_sel_hi:[1,1,0] neg_lo:[0,0,1] neg_hi:[0,0,1]
	v_pk_fma_f32 v[102:103], v[102:103], v[106:107], v[110:111] op_sel:[0,0,1] op_sel_hi:[1,0,0]
	v_mov_b32_e32 v113, v103
	v_pk_mul_f32 v[102:103], v[104:105], v[108:109] op_sel:[0,1]
	s_delay_alu instid0(VALU_DEP_1) | instskip(SKIP_1) | instid1(VALU_DEP_1)
	v_pk_fma_f32 v[110:111], v[104:105], v[106:107], v[102:103] op_sel:[0,0,1] op_sel_hi:[1,1,0] neg_lo:[0,0,1] neg_hi:[0,0,1]
	v_pk_fma_f32 v[102:103], v[104:105], v[106:107], v[102:103] op_sel:[0,0,1] op_sel_hi:[1,0,0]
	v_mov_b32_e32 v111, v103
	ds_load_2addr_b64 v[102:105], v124 offset0:18 offset1:19
	v_pk_add_f32 v[80:81], v[80:81], v[112:113] neg_lo:[0,1] neg_hi:[0,1]
	v_pk_add_f32 v[76:77], v[76:77], v[110:111] neg_lo:[0,1] neg_hi:[0,1]
	s_wait_dscnt 0x0
	v_dual_mul_f32 v110, v103, v109 :: v_dual_mul_f32 v112, v103, v106
	s_delay_alu instid0(VALU_DEP_1) | instskip(NEXT) | instid1(VALU_DEP_2)
	v_pk_fma_f32 v[110:111], v[102:103], v[42:43], v[110:111] op_sel_hi:[1,1,0] neg_lo:[0,0,1] neg_hi:[0,0,1]
	v_pk_fma_f32 v[102:103], v[102:103], v[42:43], v[112:113] op_sel:[1,0,0] op_sel_hi:[0,1,0]
	s_delay_alu instid0(VALU_DEP_1) | instskip(SKIP_1) | instid1(VALU_DEP_1)
	v_mov_b32_e32 v111, v103
	v_pk_mul_f32 v[102:103], v[104:105], v[108:109] op_sel:[0,1]
	v_pk_fma_f32 v[108:109], v[104:105], v[106:107], v[102:103] op_sel:[0,0,1] op_sel_hi:[1,1,0] neg_lo:[0,0,1] neg_hi:[0,0,1]
	v_pk_fma_f32 v[102:103], v[104:105], v[106:107], v[102:103] op_sel:[0,0,1] op_sel_hi:[1,0,0]
	s_delay_alu instid0(VALU_DEP_1) | instskip(SKIP_1) | instid1(VALU_DEP_2)
	v_mov_b32_e32 v109, v103
	v_pk_add_f32 v[74:75], v[74:75], v[110:111] neg_lo:[0,1] neg_hi:[0,1]
	v_pk_add_f32 v[78:79], v[78:79], v[108:109] neg_lo:[0,1] neg_hi:[0,1]
.LBB39_91:
	s_or_b32 exec_lo, exec_lo, s1
	s_delay_alu instid0(SALU_CYCLE_1)
	s_mov_b32 s2, exec_lo
	s_wait_dscnt 0x0
	s_barrier_signal -1
	s_barrier_wait -1
	v_cmpx_eq_u32_e32 10, v122
	s_cbranch_execz .LBB39_98
; %bb.92:
	ds_store_b64 v123, v[46:47]
	ds_store_2addr_b64 v124, v[40:41], v[72:73] offset0:11 offset1:12
	ds_store_2addr_b64 v124, v[68:69], v[70:71] offset0:13 offset1:14
	;; [unrolled: 1-line block ×4, first 2 shown]
	ds_store_b64 v124, v[78:79] offset:152
	ds_load_b64 v[102:103], v123
	s_wait_dscnt 0x0
	v_cmp_neq_f32_e32 vcc_lo, 0, v102
	v_cmp_neq_f32_e64 s1, 0, v103
	s_or_b32 s1, vcc_lo, s1
	s_delay_alu instid0(SALU_CYCLE_1)
	s_and_b32 exec_lo, exec_lo, s1
	s_cbranch_execz .LBB39_98
; %bb.93:
	v_cmp_ngt_f32_e64 s1, |v102|, |v103|
                                        ; implicit-def: $vgpr104_vgpr105
	s_and_saveexec_b32 s4, s1
	s_delay_alu instid0(SALU_CYCLE_1)
	s_xor_b32 s1, exec_lo, s4
	s_cbranch_execz .LBB39_95
; %bb.94:
	v_div_scale_f32 v104, null, v103, v103, v102
	v_div_scale_f32 v107, vcc_lo, v102, v103, v102
	s_delay_alu instid0(VALU_DEP_2) | instskip(SKIP_1) | instid1(TRANS32_DEP_1)
	v_rcp_f32_e32 v105, v104
	v_nop
	v_fma_f32 v106, -v104, v105, 1.0
	s_delay_alu instid0(VALU_DEP_1) | instskip(NEXT) | instid1(VALU_DEP_1)
	v_fmac_f32_e32 v105, v106, v105
	v_mul_f32_e32 v106, v107, v105
	s_delay_alu instid0(VALU_DEP_1) | instskip(NEXT) | instid1(VALU_DEP_1)
	v_fma_f32 v108, -v104, v106, v107
	v_fmac_f32_e32 v106, v108, v105
	s_delay_alu instid0(VALU_DEP_1) | instskip(NEXT) | instid1(VALU_DEP_1)
	v_fma_f32 v104, -v104, v106, v107
	v_div_fmas_f32 v104, v104, v105, v106
	s_delay_alu instid0(VALU_DEP_1) | instskip(NEXT) | instid1(VALU_DEP_1)
	v_div_fixup_f32 v104, v104, v103, v102
	v_fmac_f32_e32 v103, v102, v104
	s_delay_alu instid0(VALU_DEP_1) | instskip(SKIP_1) | instid1(VALU_DEP_2)
	v_div_scale_f32 v102, null, v103, v103, 1.0
	v_div_scale_f32 v107, vcc_lo, 1.0, v103, 1.0
	v_rcp_f32_e32 v105, v102
	v_nop
	s_delay_alu instid0(TRANS32_DEP_1) | instskip(NEXT) | instid1(VALU_DEP_1)
	v_fma_f32 v106, -v102, v105, 1.0
	v_fmac_f32_e32 v105, v106, v105
	s_delay_alu instid0(VALU_DEP_1) | instskip(NEXT) | instid1(VALU_DEP_1)
	v_mul_f32_e32 v106, v107, v105
	v_fma_f32 v108, -v102, v106, v107
	s_delay_alu instid0(VALU_DEP_1) | instskip(NEXT) | instid1(VALU_DEP_1)
	v_fmac_f32_e32 v106, v108, v105
	v_fma_f32 v102, -v102, v106, v107
	s_delay_alu instid0(VALU_DEP_1) | instskip(NEXT) | instid1(VALU_DEP_1)
	v_div_fmas_f32 v102, v102, v105, v106
	v_div_fixup_f32 v102, v102, v103, 1.0
	s_delay_alu instid0(VALU_DEP_1)
	v_mul_f32_e32 v104, v104, v102
	v_xor_b32_e32 v105, 0x80000000, v102
                                        ; implicit-def: $vgpr102_vgpr103
.LBB39_95:
	s_and_not1_saveexec_b32 s1, s1
	s_cbranch_execz .LBB39_97
; %bb.96:
	v_div_scale_f32 v104, null, v102, v102, v103
	v_div_scale_f32 v107, vcc_lo, v103, v102, v103
	s_delay_alu instid0(VALU_DEP_2) | instskip(SKIP_1) | instid1(TRANS32_DEP_1)
	v_rcp_f32_e32 v105, v104
	v_nop
	v_fma_f32 v106, -v104, v105, 1.0
	s_delay_alu instid0(VALU_DEP_1) | instskip(NEXT) | instid1(VALU_DEP_1)
	v_fmac_f32_e32 v105, v106, v105
	v_mul_f32_e32 v106, v107, v105
	s_delay_alu instid0(VALU_DEP_1) | instskip(NEXT) | instid1(VALU_DEP_1)
	v_fma_f32 v108, -v104, v106, v107
	v_fmac_f32_e32 v106, v108, v105
	s_delay_alu instid0(VALU_DEP_1) | instskip(NEXT) | instid1(VALU_DEP_1)
	v_fma_f32 v104, -v104, v106, v107
	v_div_fmas_f32 v104, v104, v105, v106
	s_delay_alu instid0(VALU_DEP_1) | instskip(NEXT) | instid1(VALU_DEP_1)
	v_div_fixup_f32 v105, v104, v102, v103
	v_fmac_f32_e32 v102, v103, v105
	s_delay_alu instid0(VALU_DEP_1) | instskip(NEXT) | instid1(VALU_DEP_1)
	v_div_scale_f32 v103, null, v102, v102, 1.0
	v_rcp_f32_e32 v104, v103
	v_nop
	s_delay_alu instid0(TRANS32_DEP_1) | instskip(NEXT) | instid1(VALU_DEP_1)
	v_fma_f32 v106, -v103, v104, 1.0
	v_fmac_f32_e32 v104, v106, v104
	v_div_scale_f32 v106, vcc_lo, 1.0, v102, 1.0
	s_delay_alu instid0(VALU_DEP_1) | instskip(NEXT) | instid1(VALU_DEP_1)
	v_mul_f32_e32 v107, v106, v104
	v_fma_f32 v108, -v103, v107, v106
	s_delay_alu instid0(VALU_DEP_1) | instskip(NEXT) | instid1(VALU_DEP_1)
	v_fmac_f32_e32 v107, v108, v104
	v_fma_f32 v103, -v103, v107, v106
	s_delay_alu instid0(VALU_DEP_1) | instskip(NEXT) | instid1(VALU_DEP_1)
	v_div_fmas_f32 v103, v103, v104, v107
	v_div_fixup_f32 v104, v103, v102, 1.0
	s_delay_alu instid0(VALU_DEP_1)
	v_mul_f32_e64 v105, v105, -v104
.LBB39_97:
	s_or_b32 exec_lo, exec_lo, s1
	ds_store_b64 v123, v[104:105]
.LBB39_98:
	s_or_b32 exec_lo, exec_lo, s2
	s_wait_dscnt 0x0
	s_barrier_signal -1
	s_barrier_wait -1
	ds_load_b64 v[102:103], v123
	s_mov_b32 s1, exec_lo
	v_cmpx_lt_u32_e32 10, v122
	s_cbranch_execz .LBB39_100
; %bb.99:
	s_wait_dscnt 0x0
	v_pk_mul_f32 v[104:105], v[102:103], v[46:47] op_sel:[1,1] op_sel_hi:[0,1]
	s_delay_alu instid0(VALU_DEP_1)
	v_pk_fma_f32 v[108:109], v[102:103], v[46:47], v[104:105] op_sel_hi:[1,0,1] neg_lo:[0,0,1] neg_hi:[0,0,1]
	v_pk_fma_f32 v[110:111], v[102:103], v[46:47], v[104:105] op_sel_hi:[1,0,1]
	ds_load_2addr_b64 v[104:107], v124 offset0:11 offset1:12
	v_dual_mov_b32 v46, v108 :: v_dual_mov_b32 v47, v111
	s_wait_dscnt 0x0
	v_pk_mul_f32 v[112:113], v[104:105], v[110:111] op_sel:[0,1]
	s_delay_alu instid0(VALU_DEP_1) | instskip(SKIP_1) | instid1(VALU_DEP_1)
	v_pk_fma_f32 v[114:115], v[104:105], v[108:109], v[112:113] op_sel:[0,0,1] op_sel_hi:[1,1,0] neg_lo:[0,0,1] neg_hi:[0,0,1]
	v_pk_fma_f32 v[104:105], v[104:105], v[108:109], v[112:113] op_sel:[0,0,1] op_sel_hi:[1,0,0]
	v_mov_b32_e32 v115, v105
	v_pk_mul_f32 v[104:105], v[106:107], v[110:111] op_sel:[0,1]
	s_delay_alu instid0(VALU_DEP_1) | instskip(SKIP_1) | instid1(VALU_DEP_1)
	v_pk_fma_f32 v[112:113], v[106:107], v[108:109], v[104:105] op_sel:[0,0,1] op_sel_hi:[1,1,0] neg_lo:[0,0,1] neg_hi:[0,0,1]
	v_pk_fma_f32 v[104:105], v[106:107], v[108:109], v[104:105] op_sel:[0,0,1] op_sel_hi:[1,0,0]
	v_mov_b32_e32 v113, v105
	ds_load_2addr_b64 v[104:107], v124 offset0:13 offset1:14
	v_pk_add_f32 v[40:41], v[40:41], v[114:115] neg_lo:[0,1] neg_hi:[0,1]
	v_pk_add_f32 v[72:73], v[72:73], v[112:113] neg_lo:[0,1] neg_hi:[0,1]
	s_wait_dscnt 0x0
	v_pk_mul_f32 v[112:113], v[104:105], v[110:111] op_sel:[0,1]
	s_delay_alu instid0(VALU_DEP_1) | instskip(SKIP_2) | instid1(VALU_DEP_2)
	v_pk_fma_f32 v[114:115], v[104:105], v[108:109], v[112:113] op_sel:[0,0,1] op_sel_hi:[1,1,0] neg_lo:[0,0,1] neg_hi:[0,0,1]
	v_pk_fma_f32 v[104:105], v[104:105], v[108:109], v[112:113] op_sel:[0,0,1] op_sel_hi:[1,0,0]
	v_dual_mul_f32 v112, v107, v111 :: v_dual_mov_b32 v104, v107
	v_dual_mov_b32 v115, v105 :: v_dual_mov_b32 v105, v106
	s_delay_alu instid0(VALU_DEP_2) | instskip(SKIP_1) | instid1(VALU_DEP_3)
	v_pk_fma_f32 v[112:113], v[106:107], v[46:47], v[112:113] op_sel_hi:[1,1,0] neg_lo:[0,0,1] neg_hi:[0,0,1]
	v_mul_f32_e32 v106, v107, v108
	v_pk_add_f32 v[68:69], v[68:69], v[114:115] neg_lo:[0,1] neg_hi:[0,1]
	s_delay_alu instid0(VALU_DEP_2) | instskip(NEXT) | instid1(VALU_DEP_1)
	v_pk_fma_f32 v[104:105], v[104:105], v[46:47], v[106:107] op_sel_hi:[1,1,0]
	v_mov_b32_e32 v113, v105
	ds_load_2addr_b64 v[104:107], v124 offset0:15 offset1:16
	v_pk_add_f32 v[70:71], v[70:71], v[112:113] neg_lo:[0,1] neg_hi:[0,1]
	s_wait_dscnt 0x0
	v_pk_mul_f32 v[112:113], v[104:105], v[110:111] op_sel:[0,1]
	s_delay_alu instid0(VALU_DEP_1) | instskip(SKIP_1) | instid1(VALU_DEP_1)
	v_pk_fma_f32 v[114:115], v[104:105], v[108:109], v[112:113] op_sel:[0,0,1] op_sel_hi:[1,1,0] neg_lo:[0,0,1] neg_hi:[0,0,1]
	v_pk_fma_f32 v[104:105], v[104:105], v[108:109], v[112:113] op_sel:[0,0,1] op_sel_hi:[1,0,0]
	v_mov_b32_e32 v115, v105
	v_pk_mul_f32 v[104:105], v[106:107], v[110:111] op_sel:[0,1]
	s_delay_alu instid0(VALU_DEP_1) | instskip(SKIP_1) | instid1(VALU_DEP_1)
	v_pk_fma_f32 v[112:113], v[106:107], v[108:109], v[104:105] op_sel:[0,0,1] op_sel_hi:[1,1,0] neg_lo:[0,0,1] neg_hi:[0,0,1]
	v_pk_fma_f32 v[104:105], v[106:107], v[108:109], v[104:105] op_sel:[0,0,1] op_sel_hi:[1,0,0]
	v_mov_b32_e32 v113, v105
	ds_load_2addr_b64 v[104:107], v124 offset0:17 offset1:18
	v_pk_add_f32 v[66:67], v[66:67], v[114:115] neg_lo:[0,1] neg_hi:[0,1]
	v_pk_add_f32 v[80:81], v[80:81], v[112:113] neg_lo:[0,1] neg_hi:[0,1]
	s_wait_dscnt 0x0
	v_pk_mul_f32 v[112:113], v[104:105], v[110:111] op_sel:[0,1]
	s_delay_alu instid0(VALU_DEP_1) | instskip(SKIP_1) | instid1(VALU_DEP_1)
	v_pk_fma_f32 v[114:115], v[104:105], v[108:109], v[112:113] op_sel:[0,0,1] op_sel_hi:[1,1,0] neg_lo:[0,0,1] neg_hi:[0,0,1]
	v_pk_fma_f32 v[104:105], v[104:105], v[108:109], v[112:113] op_sel:[0,0,1] op_sel_hi:[1,0,0]
	v_mov_b32_e32 v115, v105
	v_pk_mul_f32 v[104:105], v[106:107], v[110:111] op_sel:[0,1]
	s_delay_alu instid0(VALU_DEP_1) | instskip(SKIP_1) | instid1(VALU_DEP_1)
	v_pk_fma_f32 v[112:113], v[106:107], v[108:109], v[104:105] op_sel:[0,0,1] op_sel_hi:[1,1,0] neg_lo:[0,0,1] neg_hi:[0,0,1]
	v_pk_fma_f32 v[104:105], v[106:107], v[108:109], v[104:105] op_sel:[0,0,1] op_sel_hi:[1,0,0]
	v_mov_b32_e32 v113, v105
	ds_load_b64 v[104:105], v124 offset:152
	v_pk_add_f32 v[76:77], v[76:77], v[114:115] neg_lo:[0,1] neg_hi:[0,1]
	v_pk_add_f32 v[74:75], v[74:75], v[112:113] neg_lo:[0,1] neg_hi:[0,1]
	s_wait_dscnt 0x0
	v_pk_mul_f32 v[106:107], v[104:105], v[110:111] op_sel:[0,1]
	s_delay_alu instid0(VALU_DEP_1) | instskip(SKIP_1) | instid1(VALU_DEP_1)
	v_pk_fma_f32 v[110:111], v[104:105], v[108:109], v[106:107] op_sel:[0,0,1] op_sel_hi:[1,1,0] neg_lo:[0,0,1] neg_hi:[0,0,1]
	v_pk_fma_f32 v[104:105], v[104:105], v[108:109], v[106:107] op_sel:[0,0,1] op_sel_hi:[1,0,0]
	v_mov_b32_e32 v111, v105
	s_delay_alu instid0(VALU_DEP_1)
	v_pk_add_f32 v[78:79], v[78:79], v[110:111] neg_lo:[0,1] neg_hi:[0,1]
.LBB39_100:
	s_or_b32 exec_lo, exec_lo, s1
	s_delay_alu instid0(SALU_CYCLE_1)
	s_mov_b32 s2, exec_lo
	s_wait_dscnt 0x0
	s_barrier_signal -1
	s_barrier_wait -1
	v_cmpx_eq_u32_e32 11, v122
	s_cbranch_execz .LBB39_107
; %bb.101:
	v_dual_mov_b32 v104, v72 :: v_dual_mov_b32 v105, v73
	v_dual_mov_b32 v106, v68 :: v_dual_mov_b32 v107, v69
	;; [unrolled: 1-line block ×7, first 2 shown]
	ds_store_b64 v123, v[40:41]
	ds_store_2addr_b64 v124, v[104:105], v[106:107] offset0:12 offset1:13
	ds_store_2addr_b64 v124, v[108:109], v[110:111] offset0:14 offset1:15
	;; [unrolled: 1-line block ×4, first 2 shown]
	ds_load_b64 v[104:105], v123
	s_wait_dscnt 0x0
	v_cmp_neq_f32_e32 vcc_lo, 0, v104
	v_cmp_neq_f32_e64 s1, 0, v105
	s_or_b32 s1, vcc_lo, s1
	s_delay_alu instid0(SALU_CYCLE_1)
	s_and_b32 exec_lo, exec_lo, s1
	s_cbranch_execz .LBB39_107
; %bb.102:
	v_cmp_ngt_f32_e64 s1, |v104|, |v105|
                                        ; implicit-def: $vgpr106_vgpr107
	s_and_saveexec_b32 s4, s1
	s_delay_alu instid0(SALU_CYCLE_1)
	s_xor_b32 s1, exec_lo, s4
	s_cbranch_execz .LBB39_104
; %bb.103:
	v_div_scale_f32 v106, null, v105, v105, v104
	v_div_scale_f32 v109, vcc_lo, v104, v105, v104
	s_delay_alu instid0(VALU_DEP_2) | instskip(SKIP_1) | instid1(TRANS32_DEP_1)
	v_rcp_f32_e32 v107, v106
	v_nop
	v_fma_f32 v108, -v106, v107, 1.0
	s_delay_alu instid0(VALU_DEP_1) | instskip(NEXT) | instid1(VALU_DEP_1)
	v_fmac_f32_e32 v107, v108, v107
	v_mul_f32_e32 v108, v109, v107
	s_delay_alu instid0(VALU_DEP_1) | instskip(NEXT) | instid1(VALU_DEP_1)
	v_fma_f32 v110, -v106, v108, v109
	v_fmac_f32_e32 v108, v110, v107
	s_delay_alu instid0(VALU_DEP_1) | instskip(NEXT) | instid1(VALU_DEP_1)
	v_fma_f32 v106, -v106, v108, v109
	v_div_fmas_f32 v106, v106, v107, v108
	s_delay_alu instid0(VALU_DEP_1) | instskip(NEXT) | instid1(VALU_DEP_1)
	v_div_fixup_f32 v106, v106, v105, v104
	v_fmac_f32_e32 v105, v104, v106
	s_delay_alu instid0(VALU_DEP_1) | instskip(SKIP_1) | instid1(VALU_DEP_2)
	v_div_scale_f32 v104, null, v105, v105, 1.0
	v_div_scale_f32 v109, vcc_lo, 1.0, v105, 1.0
	v_rcp_f32_e32 v107, v104
	v_nop
	s_delay_alu instid0(TRANS32_DEP_1) | instskip(NEXT) | instid1(VALU_DEP_1)
	v_fma_f32 v108, -v104, v107, 1.0
	v_fmac_f32_e32 v107, v108, v107
	s_delay_alu instid0(VALU_DEP_1) | instskip(NEXT) | instid1(VALU_DEP_1)
	v_mul_f32_e32 v108, v109, v107
	v_fma_f32 v110, -v104, v108, v109
	s_delay_alu instid0(VALU_DEP_1) | instskip(NEXT) | instid1(VALU_DEP_1)
	v_fmac_f32_e32 v108, v110, v107
	v_fma_f32 v104, -v104, v108, v109
	s_delay_alu instid0(VALU_DEP_1) | instskip(NEXT) | instid1(VALU_DEP_1)
	v_div_fmas_f32 v104, v104, v107, v108
	v_div_fixup_f32 v104, v104, v105, 1.0
	s_delay_alu instid0(VALU_DEP_1)
	v_mul_f32_e32 v106, v106, v104
	v_xor_b32_e32 v107, 0x80000000, v104
                                        ; implicit-def: $vgpr104_vgpr105
.LBB39_104:
	s_and_not1_saveexec_b32 s1, s1
	s_cbranch_execz .LBB39_106
; %bb.105:
	v_div_scale_f32 v106, null, v104, v104, v105
	v_div_scale_f32 v109, vcc_lo, v105, v104, v105
	s_delay_alu instid0(VALU_DEP_2) | instskip(SKIP_1) | instid1(TRANS32_DEP_1)
	v_rcp_f32_e32 v107, v106
	v_nop
	v_fma_f32 v108, -v106, v107, 1.0
	s_delay_alu instid0(VALU_DEP_1) | instskip(NEXT) | instid1(VALU_DEP_1)
	v_fmac_f32_e32 v107, v108, v107
	v_mul_f32_e32 v108, v109, v107
	s_delay_alu instid0(VALU_DEP_1) | instskip(NEXT) | instid1(VALU_DEP_1)
	v_fma_f32 v110, -v106, v108, v109
	v_fmac_f32_e32 v108, v110, v107
	s_delay_alu instid0(VALU_DEP_1) | instskip(NEXT) | instid1(VALU_DEP_1)
	v_fma_f32 v106, -v106, v108, v109
	v_div_fmas_f32 v106, v106, v107, v108
	s_delay_alu instid0(VALU_DEP_1) | instskip(NEXT) | instid1(VALU_DEP_1)
	v_div_fixup_f32 v107, v106, v104, v105
	v_fmac_f32_e32 v104, v105, v107
	s_delay_alu instid0(VALU_DEP_1) | instskip(NEXT) | instid1(VALU_DEP_1)
	v_div_scale_f32 v105, null, v104, v104, 1.0
	v_rcp_f32_e32 v106, v105
	v_nop
	s_delay_alu instid0(TRANS32_DEP_1) | instskip(NEXT) | instid1(VALU_DEP_1)
	v_fma_f32 v108, -v105, v106, 1.0
	v_fmac_f32_e32 v106, v108, v106
	v_div_scale_f32 v108, vcc_lo, 1.0, v104, 1.0
	s_delay_alu instid0(VALU_DEP_1) | instskip(NEXT) | instid1(VALU_DEP_1)
	v_mul_f32_e32 v109, v108, v106
	v_fma_f32 v110, -v105, v109, v108
	s_delay_alu instid0(VALU_DEP_1) | instskip(NEXT) | instid1(VALU_DEP_1)
	v_fmac_f32_e32 v109, v110, v106
	v_fma_f32 v105, -v105, v109, v108
	s_delay_alu instid0(VALU_DEP_1) | instskip(NEXT) | instid1(VALU_DEP_1)
	v_div_fmas_f32 v105, v105, v106, v109
	v_div_fixup_f32 v106, v105, v104, 1.0
	s_delay_alu instid0(VALU_DEP_1)
	v_mul_f32_e64 v107, v107, -v106
.LBB39_106:
	s_or_b32 exec_lo, exec_lo, s1
	ds_store_b64 v123, v[106:107]
.LBB39_107:
	s_or_b32 exec_lo, exec_lo, s2
	s_wait_dscnt 0x0
	s_barrier_signal -1
	s_barrier_wait -1
	ds_load_b64 v[104:105], v123
	s_mov_b32 s1, exec_lo
	v_cmpx_lt_u32_e32 11, v122
	s_cbranch_execz .LBB39_109
; %bb.108:
	s_wait_dscnt 0x0
	v_pk_mul_f32 v[106:107], v[104:105], v[40:41] op_sel:[1,1] op_sel_hi:[0,1]
	s_delay_alu instid0(VALU_DEP_1)
	v_pk_fma_f32 v[110:111], v[104:105], v[40:41], v[106:107] op_sel_hi:[1,0,1] neg_lo:[0,0,1] neg_hi:[0,0,1]
	v_pk_fma_f32 v[112:113], v[104:105], v[40:41], v[106:107] op_sel_hi:[1,0,1]
	ds_load_2addr_b64 v[106:109], v124 offset0:12 offset1:13
	v_dual_mov_b32 v40, v110 :: v_dual_mov_b32 v41, v113
	s_wait_dscnt 0x0
	v_pk_mul_f32 v[114:115], v[106:107], v[112:113] op_sel:[0,1]
	s_delay_alu instid0(VALU_DEP_1) | instskip(SKIP_1) | instid1(VALU_DEP_1)
	v_pk_fma_f32 v[116:117], v[106:107], v[110:111], v[114:115] op_sel:[0,0,1] op_sel_hi:[1,1,0] neg_lo:[0,0,1] neg_hi:[0,0,1]
	v_pk_fma_f32 v[106:107], v[106:107], v[110:111], v[114:115] op_sel:[0,0,1] op_sel_hi:[1,0,0]
	v_mov_b32_e32 v117, v107
	v_pk_mul_f32 v[106:107], v[108:109], v[112:113] op_sel:[0,1]
	s_delay_alu instid0(VALU_DEP_1) | instskip(SKIP_1) | instid1(VALU_DEP_1)
	v_pk_fma_f32 v[114:115], v[108:109], v[110:111], v[106:107] op_sel:[0,0,1] op_sel_hi:[1,1,0] neg_lo:[0,0,1] neg_hi:[0,0,1]
	v_pk_fma_f32 v[106:107], v[108:109], v[110:111], v[106:107] op_sel:[0,0,1] op_sel_hi:[1,0,0]
	v_mov_b32_e32 v115, v107
	ds_load_2addr_b64 v[106:109], v124 offset0:14 offset1:15
	v_pk_add_f32 v[72:73], v[72:73], v[116:117] neg_lo:[0,1] neg_hi:[0,1]
	v_pk_add_f32 v[68:69], v[68:69], v[114:115] neg_lo:[0,1] neg_hi:[0,1]
	s_wait_dscnt 0x0
	v_pk_mul_f32 v[114:115], v[106:107], v[112:113] op_sel:[0,1]
	s_delay_alu instid0(VALU_DEP_1) | instskip(SKIP_2) | instid1(VALU_DEP_2)
	v_pk_fma_f32 v[116:117], v[106:107], v[110:111], v[114:115] op_sel:[0,0,1] op_sel_hi:[1,1,0] neg_lo:[0,0,1] neg_hi:[0,0,1]
	v_pk_fma_f32 v[106:107], v[106:107], v[110:111], v[114:115] op_sel:[0,0,1] op_sel_hi:[1,0,0]
	v_dual_mul_f32 v114, v109, v113 :: v_dual_mov_b32 v106, v109
	v_dual_mov_b32 v117, v107 :: v_dual_mov_b32 v107, v108
	s_delay_alu instid0(VALU_DEP_2) | instskip(SKIP_1) | instid1(VALU_DEP_3)
	v_pk_fma_f32 v[114:115], v[108:109], v[40:41], v[114:115] op_sel_hi:[1,1,0] neg_lo:[0,0,1] neg_hi:[0,0,1]
	v_mul_f32_e32 v108, v109, v110
	v_pk_add_f32 v[70:71], v[70:71], v[116:117] neg_lo:[0,1] neg_hi:[0,1]
	s_delay_alu instid0(VALU_DEP_2) | instskip(NEXT) | instid1(VALU_DEP_1)
	v_pk_fma_f32 v[106:107], v[106:107], v[40:41], v[108:109] op_sel_hi:[1,1,0]
	v_mov_b32_e32 v115, v107
	ds_load_2addr_b64 v[106:109], v124 offset0:16 offset1:17
	v_pk_add_f32 v[66:67], v[66:67], v[114:115] neg_lo:[0,1] neg_hi:[0,1]
	s_wait_dscnt 0x0
	v_pk_mul_f32 v[114:115], v[106:107], v[112:113] op_sel:[0,1]
	s_delay_alu instid0(VALU_DEP_1) | instskip(SKIP_1) | instid1(VALU_DEP_1)
	v_pk_fma_f32 v[116:117], v[106:107], v[110:111], v[114:115] op_sel:[0,0,1] op_sel_hi:[1,1,0] neg_lo:[0,0,1] neg_hi:[0,0,1]
	v_pk_fma_f32 v[106:107], v[106:107], v[110:111], v[114:115] op_sel:[0,0,1] op_sel_hi:[1,0,0]
	v_mov_b32_e32 v117, v107
	v_pk_mul_f32 v[106:107], v[108:109], v[112:113] op_sel:[0,1]
	s_delay_alu instid0(VALU_DEP_1) | instskip(SKIP_1) | instid1(VALU_DEP_1)
	v_pk_fma_f32 v[114:115], v[108:109], v[110:111], v[106:107] op_sel:[0,0,1] op_sel_hi:[1,1,0] neg_lo:[0,0,1] neg_hi:[0,0,1]
	v_pk_fma_f32 v[106:107], v[108:109], v[110:111], v[106:107] op_sel:[0,0,1] op_sel_hi:[1,0,0]
	v_mov_b32_e32 v115, v107
	ds_load_2addr_b64 v[106:109], v124 offset0:18 offset1:19
	v_pk_add_f32 v[80:81], v[80:81], v[116:117] neg_lo:[0,1] neg_hi:[0,1]
	v_pk_add_f32 v[76:77], v[76:77], v[114:115] neg_lo:[0,1] neg_hi:[0,1]
	s_wait_dscnt 0x0
	v_pk_mul_f32 v[114:115], v[106:107], v[112:113] op_sel:[0,1]
	s_delay_alu instid0(VALU_DEP_1) | instskip(SKIP_1) | instid1(VALU_DEP_1)
	v_pk_fma_f32 v[116:117], v[106:107], v[110:111], v[114:115] op_sel:[0,0,1] op_sel_hi:[1,1,0] neg_lo:[0,0,1] neg_hi:[0,0,1]
	v_pk_fma_f32 v[106:107], v[106:107], v[110:111], v[114:115] op_sel:[0,0,1] op_sel_hi:[1,0,0]
	v_mov_b32_e32 v117, v107
	v_pk_mul_f32 v[106:107], v[108:109], v[112:113] op_sel:[0,1]
	s_delay_alu instid0(VALU_DEP_1) | instskip(SKIP_1) | instid1(VALU_DEP_1)
	v_pk_fma_f32 v[112:113], v[108:109], v[110:111], v[106:107] op_sel:[0,0,1] op_sel_hi:[1,1,0] neg_lo:[0,0,1] neg_hi:[0,0,1]
	v_pk_fma_f32 v[106:107], v[108:109], v[110:111], v[106:107] op_sel:[0,0,1] op_sel_hi:[1,0,0]
	v_mov_b32_e32 v113, v107
	v_pk_add_f32 v[74:75], v[74:75], v[116:117] neg_lo:[0,1] neg_hi:[0,1]
	s_delay_alu instid0(VALU_DEP_2)
	v_pk_add_f32 v[78:79], v[78:79], v[112:113] neg_lo:[0,1] neg_hi:[0,1]
.LBB39_109:
	s_or_b32 exec_lo, exec_lo, s1
	s_delay_alu instid0(SALU_CYCLE_1)
	s_mov_b32 s2, exec_lo
	s_wait_dscnt 0x0
	s_barrier_signal -1
	s_barrier_wait -1
	v_cmpx_eq_u32_e32 12, v122
	s_cbranch_execz .LBB39_116
; %bb.110:
	ds_store_b64 v123, v[72:73]
	ds_store_2addr_b64 v124, v[68:69], v[70:71] offset0:13 offset1:14
	ds_store_2addr_b64 v124, v[66:67], v[80:81] offset0:15 offset1:16
	;; [unrolled: 1-line block ×3, first 2 shown]
	ds_store_b64 v124, v[78:79] offset:152
	ds_load_b64 v[106:107], v123
	s_wait_dscnt 0x0
	v_cmp_neq_f32_e32 vcc_lo, 0, v106
	v_cmp_neq_f32_e64 s1, 0, v107
	s_or_b32 s1, vcc_lo, s1
	s_delay_alu instid0(SALU_CYCLE_1)
	s_and_b32 exec_lo, exec_lo, s1
	s_cbranch_execz .LBB39_116
; %bb.111:
	v_cmp_ngt_f32_e64 s1, |v106|, |v107|
                                        ; implicit-def: $vgpr108_vgpr109
	s_and_saveexec_b32 s4, s1
	s_delay_alu instid0(SALU_CYCLE_1)
	s_xor_b32 s1, exec_lo, s4
	s_cbranch_execz .LBB39_113
; %bb.112:
	v_div_scale_f32 v108, null, v107, v107, v106
	v_div_scale_f32 v111, vcc_lo, v106, v107, v106
	s_delay_alu instid0(VALU_DEP_2) | instskip(SKIP_1) | instid1(TRANS32_DEP_1)
	v_rcp_f32_e32 v109, v108
	v_nop
	v_fma_f32 v110, -v108, v109, 1.0
	s_delay_alu instid0(VALU_DEP_1) | instskip(NEXT) | instid1(VALU_DEP_1)
	v_fmac_f32_e32 v109, v110, v109
	v_mul_f32_e32 v110, v111, v109
	s_delay_alu instid0(VALU_DEP_1) | instskip(NEXT) | instid1(VALU_DEP_1)
	v_fma_f32 v112, -v108, v110, v111
	v_fmac_f32_e32 v110, v112, v109
	s_delay_alu instid0(VALU_DEP_1) | instskip(NEXT) | instid1(VALU_DEP_1)
	v_fma_f32 v108, -v108, v110, v111
	v_div_fmas_f32 v108, v108, v109, v110
	s_delay_alu instid0(VALU_DEP_1) | instskip(NEXT) | instid1(VALU_DEP_1)
	v_div_fixup_f32 v108, v108, v107, v106
	v_fmac_f32_e32 v107, v106, v108
	s_delay_alu instid0(VALU_DEP_1) | instskip(SKIP_1) | instid1(VALU_DEP_2)
	v_div_scale_f32 v106, null, v107, v107, 1.0
	v_div_scale_f32 v111, vcc_lo, 1.0, v107, 1.0
	v_rcp_f32_e32 v109, v106
	v_nop
	s_delay_alu instid0(TRANS32_DEP_1) | instskip(NEXT) | instid1(VALU_DEP_1)
	v_fma_f32 v110, -v106, v109, 1.0
	v_fmac_f32_e32 v109, v110, v109
	s_delay_alu instid0(VALU_DEP_1) | instskip(NEXT) | instid1(VALU_DEP_1)
	v_mul_f32_e32 v110, v111, v109
	v_fma_f32 v112, -v106, v110, v111
	s_delay_alu instid0(VALU_DEP_1) | instskip(NEXT) | instid1(VALU_DEP_1)
	v_fmac_f32_e32 v110, v112, v109
	v_fma_f32 v106, -v106, v110, v111
	s_delay_alu instid0(VALU_DEP_1) | instskip(NEXT) | instid1(VALU_DEP_1)
	v_div_fmas_f32 v106, v106, v109, v110
	v_div_fixup_f32 v106, v106, v107, 1.0
	s_delay_alu instid0(VALU_DEP_1)
	v_mul_f32_e32 v108, v108, v106
	v_xor_b32_e32 v109, 0x80000000, v106
                                        ; implicit-def: $vgpr106_vgpr107
.LBB39_113:
	s_and_not1_saveexec_b32 s1, s1
	s_cbranch_execz .LBB39_115
; %bb.114:
	v_div_scale_f32 v108, null, v106, v106, v107
	v_div_scale_f32 v111, vcc_lo, v107, v106, v107
	s_delay_alu instid0(VALU_DEP_2) | instskip(SKIP_1) | instid1(TRANS32_DEP_1)
	v_rcp_f32_e32 v109, v108
	v_nop
	v_fma_f32 v110, -v108, v109, 1.0
	s_delay_alu instid0(VALU_DEP_1) | instskip(NEXT) | instid1(VALU_DEP_1)
	v_fmac_f32_e32 v109, v110, v109
	v_mul_f32_e32 v110, v111, v109
	s_delay_alu instid0(VALU_DEP_1) | instskip(NEXT) | instid1(VALU_DEP_1)
	v_fma_f32 v112, -v108, v110, v111
	v_fmac_f32_e32 v110, v112, v109
	s_delay_alu instid0(VALU_DEP_1) | instskip(NEXT) | instid1(VALU_DEP_1)
	v_fma_f32 v108, -v108, v110, v111
	v_div_fmas_f32 v108, v108, v109, v110
	s_delay_alu instid0(VALU_DEP_1) | instskip(NEXT) | instid1(VALU_DEP_1)
	v_div_fixup_f32 v109, v108, v106, v107
	v_fmac_f32_e32 v106, v107, v109
	s_delay_alu instid0(VALU_DEP_1) | instskip(NEXT) | instid1(VALU_DEP_1)
	v_div_scale_f32 v107, null, v106, v106, 1.0
	v_rcp_f32_e32 v108, v107
	v_nop
	s_delay_alu instid0(TRANS32_DEP_1) | instskip(NEXT) | instid1(VALU_DEP_1)
	v_fma_f32 v110, -v107, v108, 1.0
	v_fmac_f32_e32 v108, v110, v108
	v_div_scale_f32 v110, vcc_lo, 1.0, v106, 1.0
	s_delay_alu instid0(VALU_DEP_1) | instskip(NEXT) | instid1(VALU_DEP_1)
	v_mul_f32_e32 v111, v110, v108
	v_fma_f32 v112, -v107, v111, v110
	s_delay_alu instid0(VALU_DEP_1) | instskip(NEXT) | instid1(VALU_DEP_1)
	v_fmac_f32_e32 v111, v112, v108
	v_fma_f32 v107, -v107, v111, v110
	s_delay_alu instid0(VALU_DEP_1) | instskip(NEXT) | instid1(VALU_DEP_1)
	v_div_fmas_f32 v107, v107, v108, v111
	v_div_fixup_f32 v108, v107, v106, 1.0
	s_delay_alu instid0(VALU_DEP_1)
	v_mul_f32_e64 v109, v109, -v108
.LBB39_115:
	s_or_b32 exec_lo, exec_lo, s1
	ds_store_b64 v123, v[108:109]
.LBB39_116:
	s_or_b32 exec_lo, exec_lo, s2
	s_wait_dscnt 0x0
	s_barrier_signal -1
	s_barrier_wait -1
	ds_load_b64 v[106:107], v123
	s_mov_b32 s1, exec_lo
	v_cmpx_lt_u32_e32 12, v122
	s_cbranch_execz .LBB39_118
; %bb.117:
	s_wait_dscnt 0x0
	v_pk_mul_f32 v[108:109], v[106:107], v[72:73] op_sel:[1,1] op_sel_hi:[0,1]
	s_delay_alu instid0(VALU_DEP_1)
	v_pk_fma_f32 v[112:113], v[106:107], v[72:73], v[108:109] op_sel_hi:[1,0,1] neg_lo:[0,0,1] neg_hi:[0,0,1]
	v_pk_fma_f32 v[114:115], v[106:107], v[72:73], v[108:109] op_sel_hi:[1,0,1]
	ds_load_2addr_b64 v[108:111], v124 offset0:13 offset1:14
	v_dual_mov_b32 v72, v112 :: v_dual_mov_b32 v73, v115
	s_wait_dscnt 0x0
	v_pk_mul_f32 v[116:117], v[108:109], v[114:115] op_sel:[0,1]
	s_delay_alu instid0(VALU_DEP_1) | instskip(SKIP_1) | instid1(VALU_DEP_1)
	v_pk_fma_f32 v[118:119], v[108:109], v[112:113], v[116:117] op_sel:[0,0,1] op_sel_hi:[1,1,0] neg_lo:[0,0,1] neg_hi:[0,0,1]
	v_pk_fma_f32 v[108:109], v[108:109], v[112:113], v[116:117] op_sel:[0,0,1] op_sel_hi:[1,0,0]
	v_mov_b32_e32 v119, v109
	v_pk_mul_f32 v[108:109], v[110:111], v[114:115] op_sel:[0,1]
	s_delay_alu instid0(VALU_DEP_1) | instskip(SKIP_1) | instid1(VALU_DEP_1)
	v_pk_fma_f32 v[116:117], v[110:111], v[112:113], v[108:109] op_sel:[0,0,1] op_sel_hi:[1,1,0] neg_lo:[0,0,1] neg_hi:[0,0,1]
	v_pk_fma_f32 v[108:109], v[110:111], v[112:113], v[108:109] op_sel:[0,0,1] op_sel_hi:[1,0,0]
	v_mov_b32_e32 v117, v109
	ds_load_2addr_b64 v[108:111], v124 offset0:15 offset1:16
	v_pk_add_f32 v[68:69], v[68:69], v[118:119] neg_lo:[0,1] neg_hi:[0,1]
	v_pk_add_f32 v[70:71], v[70:71], v[116:117] neg_lo:[0,1] neg_hi:[0,1]
	s_wait_dscnt 0x0
	v_pk_mul_f32 v[116:117], v[108:109], v[114:115] op_sel:[0,1]
	s_delay_alu instid0(VALU_DEP_1) | instskip(SKIP_2) | instid1(VALU_DEP_2)
	v_pk_fma_f32 v[118:119], v[108:109], v[112:113], v[116:117] op_sel:[0,0,1] op_sel_hi:[1,1,0] neg_lo:[0,0,1] neg_hi:[0,0,1]
	v_pk_fma_f32 v[108:109], v[108:109], v[112:113], v[116:117] op_sel:[0,0,1] op_sel_hi:[1,0,0]
	v_dual_mul_f32 v116, v111, v115 :: v_dual_mov_b32 v108, v111
	v_dual_mov_b32 v119, v109 :: v_dual_mov_b32 v109, v110
	s_delay_alu instid0(VALU_DEP_2) | instskip(SKIP_1) | instid1(VALU_DEP_3)
	v_pk_fma_f32 v[116:117], v[110:111], v[72:73], v[116:117] op_sel_hi:[1,1,0] neg_lo:[0,0,1] neg_hi:[0,0,1]
	v_mul_f32_e32 v110, v111, v112
	v_pk_add_f32 v[66:67], v[66:67], v[118:119] neg_lo:[0,1] neg_hi:[0,1]
	s_delay_alu instid0(VALU_DEP_2) | instskip(NEXT) | instid1(VALU_DEP_1)
	v_pk_fma_f32 v[108:109], v[108:109], v[72:73], v[110:111] op_sel_hi:[1,1,0]
	v_mov_b32_e32 v117, v109
	ds_load_2addr_b64 v[108:111], v124 offset0:17 offset1:18
	v_pk_add_f32 v[80:81], v[80:81], v[116:117] neg_lo:[0,1] neg_hi:[0,1]
	s_wait_dscnt 0x0
	v_pk_mul_f32 v[116:117], v[108:109], v[114:115] op_sel:[0,1]
	s_delay_alu instid0(VALU_DEP_1) | instskip(SKIP_1) | instid1(VALU_DEP_1)
	v_pk_fma_f32 v[118:119], v[108:109], v[112:113], v[116:117] op_sel:[0,0,1] op_sel_hi:[1,1,0] neg_lo:[0,0,1] neg_hi:[0,0,1]
	v_pk_fma_f32 v[108:109], v[108:109], v[112:113], v[116:117] op_sel:[0,0,1] op_sel_hi:[1,0,0]
	v_mov_b32_e32 v119, v109
	v_pk_mul_f32 v[108:109], v[110:111], v[114:115] op_sel:[0,1]
	s_delay_alu instid0(VALU_DEP_1) | instskip(SKIP_1) | instid1(VALU_DEP_1)
	v_pk_fma_f32 v[116:117], v[110:111], v[112:113], v[108:109] op_sel:[0,0,1] op_sel_hi:[1,1,0] neg_lo:[0,0,1] neg_hi:[0,0,1]
	v_pk_fma_f32 v[108:109], v[110:111], v[112:113], v[108:109] op_sel:[0,0,1] op_sel_hi:[1,0,0]
	v_mov_b32_e32 v117, v109
	ds_load_b64 v[108:109], v124 offset:152
	v_pk_add_f32 v[76:77], v[76:77], v[118:119] neg_lo:[0,1] neg_hi:[0,1]
	v_pk_add_f32 v[74:75], v[74:75], v[116:117] neg_lo:[0,1] neg_hi:[0,1]
	s_wait_dscnt 0x0
	v_pk_mul_f32 v[110:111], v[108:109], v[114:115] op_sel:[0,1]
	s_delay_alu instid0(VALU_DEP_1) | instskip(SKIP_1) | instid1(VALU_DEP_1)
	v_pk_fma_f32 v[114:115], v[108:109], v[112:113], v[110:111] op_sel:[0,0,1] op_sel_hi:[1,1,0] neg_lo:[0,0,1] neg_hi:[0,0,1]
	v_pk_fma_f32 v[108:109], v[108:109], v[112:113], v[110:111] op_sel:[0,0,1] op_sel_hi:[1,0,0]
	v_mov_b32_e32 v115, v109
	s_delay_alu instid0(VALU_DEP_1)
	v_pk_add_f32 v[78:79], v[78:79], v[114:115] neg_lo:[0,1] neg_hi:[0,1]
.LBB39_118:
	s_or_b32 exec_lo, exec_lo, s1
	s_delay_alu instid0(SALU_CYCLE_1)
	s_mov_b32 s2, exec_lo
	s_wait_dscnt 0x0
	s_barrier_signal -1
	s_barrier_wait -1
	v_cmpx_eq_u32_e32 13, v122
	s_cbranch_execz .LBB39_125
; %bb.119:
	v_dual_mov_b32 v108, v70 :: v_dual_mov_b32 v109, v71
	v_dual_mov_b32 v110, v66 :: v_dual_mov_b32 v111, v67
	;; [unrolled: 1-line block ×5, first 2 shown]
	ds_store_b64 v123, v[68:69]
	ds_store_2addr_b64 v124, v[108:109], v[110:111] offset0:14 offset1:15
	ds_store_2addr_b64 v124, v[112:113], v[114:115] offset0:16 offset1:17
	;; [unrolled: 1-line block ×3, first 2 shown]
	ds_load_b64 v[108:109], v123
	s_wait_dscnt 0x0
	v_cmp_neq_f32_e32 vcc_lo, 0, v108
	v_cmp_neq_f32_e64 s1, 0, v109
	s_or_b32 s1, vcc_lo, s1
	s_delay_alu instid0(SALU_CYCLE_1)
	s_and_b32 exec_lo, exec_lo, s1
	s_cbranch_execz .LBB39_125
; %bb.120:
	v_cmp_ngt_f32_e64 s1, |v108|, |v109|
                                        ; implicit-def: $vgpr110_vgpr111
	s_and_saveexec_b32 s4, s1
	s_delay_alu instid0(SALU_CYCLE_1)
	s_xor_b32 s1, exec_lo, s4
	s_cbranch_execz .LBB39_122
; %bb.121:
	v_div_scale_f32 v110, null, v109, v109, v108
	v_div_scale_f32 v113, vcc_lo, v108, v109, v108
	s_delay_alu instid0(VALU_DEP_2) | instskip(SKIP_1) | instid1(TRANS32_DEP_1)
	v_rcp_f32_e32 v111, v110
	v_nop
	v_fma_f32 v112, -v110, v111, 1.0
	s_delay_alu instid0(VALU_DEP_1) | instskip(NEXT) | instid1(VALU_DEP_1)
	v_fmac_f32_e32 v111, v112, v111
	v_mul_f32_e32 v112, v113, v111
	s_delay_alu instid0(VALU_DEP_1) | instskip(NEXT) | instid1(VALU_DEP_1)
	v_fma_f32 v114, -v110, v112, v113
	v_fmac_f32_e32 v112, v114, v111
	s_delay_alu instid0(VALU_DEP_1) | instskip(NEXT) | instid1(VALU_DEP_1)
	v_fma_f32 v110, -v110, v112, v113
	v_div_fmas_f32 v110, v110, v111, v112
	s_delay_alu instid0(VALU_DEP_1) | instskip(NEXT) | instid1(VALU_DEP_1)
	v_div_fixup_f32 v110, v110, v109, v108
	v_fmac_f32_e32 v109, v108, v110
	s_delay_alu instid0(VALU_DEP_1) | instskip(SKIP_1) | instid1(VALU_DEP_2)
	v_div_scale_f32 v108, null, v109, v109, 1.0
	v_div_scale_f32 v113, vcc_lo, 1.0, v109, 1.0
	v_rcp_f32_e32 v111, v108
	v_nop
	s_delay_alu instid0(TRANS32_DEP_1) | instskip(NEXT) | instid1(VALU_DEP_1)
	v_fma_f32 v112, -v108, v111, 1.0
	v_fmac_f32_e32 v111, v112, v111
	s_delay_alu instid0(VALU_DEP_1) | instskip(NEXT) | instid1(VALU_DEP_1)
	v_mul_f32_e32 v112, v113, v111
	v_fma_f32 v114, -v108, v112, v113
	s_delay_alu instid0(VALU_DEP_1) | instskip(NEXT) | instid1(VALU_DEP_1)
	v_fmac_f32_e32 v112, v114, v111
	v_fma_f32 v108, -v108, v112, v113
	s_delay_alu instid0(VALU_DEP_1) | instskip(NEXT) | instid1(VALU_DEP_1)
	v_div_fmas_f32 v108, v108, v111, v112
	v_div_fixup_f32 v108, v108, v109, 1.0
	s_delay_alu instid0(VALU_DEP_1)
	v_mul_f32_e32 v110, v110, v108
	v_xor_b32_e32 v111, 0x80000000, v108
                                        ; implicit-def: $vgpr108_vgpr109
.LBB39_122:
	s_and_not1_saveexec_b32 s1, s1
	s_cbranch_execz .LBB39_124
; %bb.123:
	v_div_scale_f32 v110, null, v108, v108, v109
	v_div_scale_f32 v113, vcc_lo, v109, v108, v109
	s_delay_alu instid0(VALU_DEP_2) | instskip(SKIP_1) | instid1(TRANS32_DEP_1)
	v_rcp_f32_e32 v111, v110
	v_nop
	v_fma_f32 v112, -v110, v111, 1.0
	s_delay_alu instid0(VALU_DEP_1) | instskip(NEXT) | instid1(VALU_DEP_1)
	v_fmac_f32_e32 v111, v112, v111
	v_mul_f32_e32 v112, v113, v111
	s_delay_alu instid0(VALU_DEP_1) | instskip(NEXT) | instid1(VALU_DEP_1)
	v_fma_f32 v114, -v110, v112, v113
	v_fmac_f32_e32 v112, v114, v111
	s_delay_alu instid0(VALU_DEP_1) | instskip(NEXT) | instid1(VALU_DEP_1)
	v_fma_f32 v110, -v110, v112, v113
	v_div_fmas_f32 v110, v110, v111, v112
	s_delay_alu instid0(VALU_DEP_1) | instskip(NEXT) | instid1(VALU_DEP_1)
	v_div_fixup_f32 v111, v110, v108, v109
	v_fmac_f32_e32 v108, v109, v111
	s_delay_alu instid0(VALU_DEP_1) | instskip(NEXT) | instid1(VALU_DEP_1)
	v_div_scale_f32 v109, null, v108, v108, 1.0
	v_rcp_f32_e32 v110, v109
	v_nop
	s_delay_alu instid0(TRANS32_DEP_1) | instskip(NEXT) | instid1(VALU_DEP_1)
	v_fma_f32 v112, -v109, v110, 1.0
	v_fmac_f32_e32 v110, v112, v110
	v_div_scale_f32 v112, vcc_lo, 1.0, v108, 1.0
	s_delay_alu instid0(VALU_DEP_1) | instskip(NEXT) | instid1(VALU_DEP_1)
	v_mul_f32_e32 v113, v112, v110
	v_fma_f32 v114, -v109, v113, v112
	s_delay_alu instid0(VALU_DEP_1) | instskip(NEXT) | instid1(VALU_DEP_1)
	v_fmac_f32_e32 v113, v114, v110
	v_fma_f32 v109, -v109, v113, v112
	s_delay_alu instid0(VALU_DEP_1) | instskip(NEXT) | instid1(VALU_DEP_1)
	v_div_fmas_f32 v109, v109, v110, v113
	v_div_fixup_f32 v110, v109, v108, 1.0
	s_delay_alu instid0(VALU_DEP_1)
	v_mul_f32_e64 v111, v111, -v110
.LBB39_124:
	s_or_b32 exec_lo, exec_lo, s1
	ds_store_b64 v123, v[110:111]
.LBB39_125:
	s_or_b32 exec_lo, exec_lo, s2
	s_wait_dscnt 0x0
	s_barrier_signal -1
	s_barrier_wait -1
	ds_load_b64 v[108:109], v123
	s_mov_b32 s1, exec_lo
	v_cmpx_lt_u32_e32 13, v122
	s_cbranch_execz .LBB39_127
; %bb.126:
	s_wait_dscnt 0x0
	v_pk_mul_f32 v[110:111], v[108:109], v[68:69] op_sel:[1,1] op_sel_hi:[0,1]
	s_delay_alu instid0(VALU_DEP_1)
	v_pk_fma_f32 v[114:115], v[108:109], v[68:69], v[110:111] op_sel_hi:[1,0,1] neg_lo:[0,0,1] neg_hi:[0,0,1]
	v_pk_fma_f32 v[116:117], v[108:109], v[68:69], v[110:111] op_sel_hi:[1,0,1]
	ds_load_2addr_b64 v[110:113], v124 offset0:14 offset1:15
	v_dual_mov_b32 v68, v114 :: v_dual_mov_b32 v69, v117
	s_wait_dscnt 0x0
	v_pk_mul_f32 v[118:119], v[110:111], v[116:117] op_sel:[0,1]
	s_delay_alu instid0(VALU_DEP_1) | instskip(SKIP_1) | instid1(VALU_DEP_1)
	v_pk_fma_f32 v[120:121], v[110:111], v[114:115], v[118:119] op_sel:[0,0,1] op_sel_hi:[1,1,0] neg_lo:[0,0,1] neg_hi:[0,0,1]
	v_pk_fma_f32 v[110:111], v[110:111], v[114:115], v[118:119] op_sel:[0,0,1] op_sel_hi:[1,0,0]
	v_mov_b32_e32 v121, v111
	v_pk_mul_f32 v[110:111], v[112:113], v[116:117] op_sel:[0,1]
	s_delay_alu instid0(VALU_DEP_1) | instskip(SKIP_1) | instid1(VALU_DEP_1)
	v_pk_fma_f32 v[118:119], v[112:113], v[114:115], v[110:111] op_sel:[0,0,1] op_sel_hi:[1,1,0] neg_lo:[0,0,1] neg_hi:[0,0,1]
	v_pk_fma_f32 v[110:111], v[112:113], v[114:115], v[110:111] op_sel:[0,0,1] op_sel_hi:[1,0,0]
	v_mov_b32_e32 v119, v111
	ds_load_2addr_b64 v[110:113], v124 offset0:16 offset1:17
	v_pk_add_f32 v[70:71], v[70:71], v[120:121] neg_lo:[0,1] neg_hi:[0,1]
	v_pk_add_f32 v[66:67], v[66:67], v[118:119] neg_lo:[0,1] neg_hi:[0,1]
	s_wait_dscnt 0x0
	v_pk_mul_f32 v[118:119], v[110:111], v[116:117] op_sel:[0,1]
	s_delay_alu instid0(VALU_DEP_1) | instskip(SKIP_2) | instid1(VALU_DEP_2)
	v_pk_fma_f32 v[120:121], v[110:111], v[114:115], v[118:119] op_sel:[0,0,1] op_sel_hi:[1,1,0] neg_lo:[0,0,1] neg_hi:[0,0,1]
	v_pk_fma_f32 v[110:111], v[110:111], v[114:115], v[118:119] op_sel:[0,0,1] op_sel_hi:[1,0,0]
	v_dual_mul_f32 v118, v113, v117 :: v_dual_mov_b32 v110, v113
	v_dual_mov_b32 v121, v111 :: v_dual_mov_b32 v111, v112
	s_delay_alu instid0(VALU_DEP_2) | instskip(SKIP_1) | instid1(VALU_DEP_3)
	v_pk_fma_f32 v[118:119], v[112:113], v[68:69], v[118:119] op_sel_hi:[1,1,0] neg_lo:[0,0,1] neg_hi:[0,0,1]
	v_mul_f32_e32 v112, v113, v114
	v_pk_add_f32 v[80:81], v[80:81], v[120:121] neg_lo:[0,1] neg_hi:[0,1]
	s_delay_alu instid0(VALU_DEP_2) | instskip(NEXT) | instid1(VALU_DEP_1)
	v_pk_fma_f32 v[110:111], v[110:111], v[68:69], v[112:113] op_sel_hi:[1,1,0]
	v_mov_b32_e32 v119, v111
	ds_load_2addr_b64 v[110:113], v124 offset0:18 offset1:19
	v_pk_add_f32 v[76:77], v[76:77], v[118:119] neg_lo:[0,1] neg_hi:[0,1]
	s_wait_dscnt 0x0
	v_pk_mul_f32 v[118:119], v[110:111], v[116:117] op_sel:[0,1]
	v_mul_f32_e32 v116, v113, v117
	s_delay_alu instid0(VALU_DEP_2) | instskip(SKIP_2) | instid1(VALU_DEP_4)
	v_pk_fma_f32 v[120:121], v[110:111], v[114:115], v[118:119] op_sel:[0,0,1] op_sel_hi:[1,1,0] neg_lo:[0,0,1] neg_hi:[0,0,1]
	v_pk_fma_f32 v[110:111], v[110:111], v[114:115], v[118:119] op_sel:[0,0,1] op_sel_hi:[1,0,0]
	v_mov_b32_e32 v110, v113
	v_pk_fma_f32 v[116:117], v[112:113], v[68:69], v[116:117] op_sel_hi:[1,1,0] neg_lo:[0,0,1] neg_hi:[0,0,1]
	s_delay_alu instid0(VALU_DEP_3) | instskip(SKIP_1) | instid1(VALU_DEP_2)
	v_dual_mov_b32 v121, v111 :: v_dual_mov_b32 v111, v112
	v_mul_f32_e32 v112, v113, v114
	v_pk_add_f32 v[74:75], v[74:75], v[120:121] neg_lo:[0,1] neg_hi:[0,1]
	s_delay_alu instid0(VALU_DEP_2) | instskip(NEXT) | instid1(VALU_DEP_1)
	v_pk_fma_f32 v[110:111], v[110:111], v[68:69], v[112:113] op_sel_hi:[1,1,0]
	v_mov_b32_e32 v117, v111
	s_delay_alu instid0(VALU_DEP_1)
	v_pk_add_f32 v[78:79], v[78:79], v[116:117] neg_lo:[0,1] neg_hi:[0,1]
.LBB39_127:
	s_or_b32 exec_lo, exec_lo, s1
	s_delay_alu instid0(SALU_CYCLE_1)
	s_mov_b32 s2, exec_lo
	s_wait_dscnt 0x0
	s_barrier_signal -1
	s_barrier_wait -1
	v_cmpx_eq_u32_e32 14, v122
	s_cbranch_execz .LBB39_134
; %bb.128:
	ds_store_b64 v123, v[70:71]
	ds_store_2addr_b64 v124, v[66:67], v[80:81] offset0:15 offset1:16
	ds_store_2addr_b64 v124, v[76:77], v[74:75] offset0:17 offset1:18
	ds_store_b64 v124, v[78:79] offset:152
	ds_load_b64 v[110:111], v123
	s_wait_dscnt 0x0
	v_cmp_neq_f32_e32 vcc_lo, 0, v110
	v_cmp_neq_f32_e64 s1, 0, v111
	s_or_b32 s1, vcc_lo, s1
	s_delay_alu instid0(SALU_CYCLE_1)
	s_and_b32 exec_lo, exec_lo, s1
	s_cbranch_execz .LBB39_134
; %bb.129:
	v_cmp_ngt_f32_e64 s1, |v110|, |v111|
                                        ; implicit-def: $vgpr112_vgpr113
	s_and_saveexec_b32 s4, s1
	s_delay_alu instid0(SALU_CYCLE_1)
	s_xor_b32 s1, exec_lo, s4
	s_cbranch_execz .LBB39_131
; %bb.130:
	v_div_scale_f32 v112, null, v111, v111, v110
	v_div_scale_f32 v115, vcc_lo, v110, v111, v110
	s_delay_alu instid0(VALU_DEP_2) | instskip(SKIP_1) | instid1(TRANS32_DEP_1)
	v_rcp_f32_e32 v113, v112
	v_nop
	v_fma_f32 v114, -v112, v113, 1.0
	s_delay_alu instid0(VALU_DEP_1) | instskip(NEXT) | instid1(VALU_DEP_1)
	v_fmac_f32_e32 v113, v114, v113
	v_mul_f32_e32 v114, v115, v113
	s_delay_alu instid0(VALU_DEP_1) | instskip(NEXT) | instid1(VALU_DEP_1)
	v_fma_f32 v116, -v112, v114, v115
	v_fmac_f32_e32 v114, v116, v113
	s_delay_alu instid0(VALU_DEP_1) | instskip(NEXT) | instid1(VALU_DEP_1)
	v_fma_f32 v112, -v112, v114, v115
	v_div_fmas_f32 v112, v112, v113, v114
	s_delay_alu instid0(VALU_DEP_1) | instskip(NEXT) | instid1(VALU_DEP_1)
	v_div_fixup_f32 v112, v112, v111, v110
	v_fmac_f32_e32 v111, v110, v112
	s_delay_alu instid0(VALU_DEP_1) | instskip(SKIP_1) | instid1(VALU_DEP_2)
	v_div_scale_f32 v110, null, v111, v111, 1.0
	v_div_scale_f32 v115, vcc_lo, 1.0, v111, 1.0
	v_rcp_f32_e32 v113, v110
	v_nop
	s_delay_alu instid0(TRANS32_DEP_1) | instskip(NEXT) | instid1(VALU_DEP_1)
	v_fma_f32 v114, -v110, v113, 1.0
	v_fmac_f32_e32 v113, v114, v113
	s_delay_alu instid0(VALU_DEP_1) | instskip(NEXT) | instid1(VALU_DEP_1)
	v_mul_f32_e32 v114, v115, v113
	v_fma_f32 v116, -v110, v114, v115
	s_delay_alu instid0(VALU_DEP_1) | instskip(NEXT) | instid1(VALU_DEP_1)
	v_fmac_f32_e32 v114, v116, v113
	v_fma_f32 v110, -v110, v114, v115
	s_delay_alu instid0(VALU_DEP_1) | instskip(NEXT) | instid1(VALU_DEP_1)
	v_div_fmas_f32 v110, v110, v113, v114
	v_div_fixup_f32 v110, v110, v111, 1.0
	s_delay_alu instid0(VALU_DEP_1)
	v_mul_f32_e32 v112, v112, v110
	v_xor_b32_e32 v113, 0x80000000, v110
                                        ; implicit-def: $vgpr110_vgpr111
.LBB39_131:
	s_and_not1_saveexec_b32 s1, s1
	s_cbranch_execz .LBB39_133
; %bb.132:
	v_div_scale_f32 v112, null, v110, v110, v111
	v_div_scale_f32 v115, vcc_lo, v111, v110, v111
	s_delay_alu instid0(VALU_DEP_2) | instskip(SKIP_1) | instid1(TRANS32_DEP_1)
	v_rcp_f32_e32 v113, v112
	v_nop
	v_fma_f32 v114, -v112, v113, 1.0
	s_delay_alu instid0(VALU_DEP_1) | instskip(NEXT) | instid1(VALU_DEP_1)
	v_fmac_f32_e32 v113, v114, v113
	v_mul_f32_e32 v114, v115, v113
	s_delay_alu instid0(VALU_DEP_1) | instskip(NEXT) | instid1(VALU_DEP_1)
	v_fma_f32 v116, -v112, v114, v115
	v_fmac_f32_e32 v114, v116, v113
	s_delay_alu instid0(VALU_DEP_1) | instskip(NEXT) | instid1(VALU_DEP_1)
	v_fma_f32 v112, -v112, v114, v115
	v_div_fmas_f32 v112, v112, v113, v114
	s_delay_alu instid0(VALU_DEP_1) | instskip(NEXT) | instid1(VALU_DEP_1)
	v_div_fixup_f32 v113, v112, v110, v111
	v_fmac_f32_e32 v110, v111, v113
	s_delay_alu instid0(VALU_DEP_1) | instskip(NEXT) | instid1(VALU_DEP_1)
	v_div_scale_f32 v111, null, v110, v110, 1.0
	v_rcp_f32_e32 v112, v111
	v_nop
	s_delay_alu instid0(TRANS32_DEP_1) | instskip(NEXT) | instid1(VALU_DEP_1)
	v_fma_f32 v114, -v111, v112, 1.0
	v_fmac_f32_e32 v112, v114, v112
	v_div_scale_f32 v114, vcc_lo, 1.0, v110, 1.0
	s_delay_alu instid0(VALU_DEP_1) | instskip(NEXT) | instid1(VALU_DEP_1)
	v_mul_f32_e32 v115, v114, v112
	v_fma_f32 v116, -v111, v115, v114
	s_delay_alu instid0(VALU_DEP_1) | instskip(NEXT) | instid1(VALU_DEP_1)
	v_fmac_f32_e32 v115, v116, v112
	v_fma_f32 v111, -v111, v115, v114
	s_delay_alu instid0(VALU_DEP_1) | instskip(NEXT) | instid1(VALU_DEP_1)
	v_div_fmas_f32 v111, v111, v112, v115
	v_div_fixup_f32 v112, v111, v110, 1.0
	s_delay_alu instid0(VALU_DEP_1)
	v_mul_f32_e64 v113, v113, -v112
.LBB39_133:
	s_or_b32 exec_lo, exec_lo, s1
	ds_store_b64 v123, v[112:113]
.LBB39_134:
	s_or_b32 exec_lo, exec_lo, s2
	s_wait_dscnt 0x0
	s_barrier_signal -1
	s_barrier_wait -1
	ds_load_b64 v[110:111], v123
	s_mov_b32 s1, exec_lo
	v_cmpx_lt_u32_e32 14, v122
	s_cbranch_execz .LBB39_136
; %bb.135:
	s_wait_dscnt 0x0
	v_pk_mul_f32 v[112:113], v[110:111], v[70:71] op_sel:[1,1] op_sel_hi:[0,1]
	s_delay_alu instid0(VALU_DEP_1)
	v_pk_fma_f32 v[116:117], v[110:111], v[70:71], v[112:113] op_sel_hi:[1,0,1] neg_lo:[0,0,1] neg_hi:[0,0,1]
	v_pk_fma_f32 v[118:119], v[110:111], v[70:71], v[112:113] op_sel_hi:[1,0,1]
	ds_load_2addr_b64 v[112:115], v124 offset0:15 offset1:16
	v_dual_mov_b32 v70, v116 :: v_dual_mov_b32 v71, v119
	s_wait_dscnt 0x0
	v_pk_mul_f32 v[120:121], v[112:113], v[118:119] op_sel:[0,1]
	s_delay_alu instid0(VALU_DEP_1) | instskip(SKIP_1) | instid1(VALU_DEP_1)
	v_pk_fma_f32 v[126:127], v[112:113], v[116:117], v[120:121] op_sel:[0,0,1] op_sel_hi:[1,1,0] neg_lo:[0,0,1] neg_hi:[0,0,1]
	v_pk_fma_f32 v[112:113], v[112:113], v[116:117], v[120:121] op_sel:[0,0,1] op_sel_hi:[1,0,0]
	v_mov_b32_e32 v127, v113
	v_pk_mul_f32 v[112:113], v[114:115], v[118:119] op_sel:[0,1]
	s_delay_alu instid0(VALU_DEP_1) | instskip(SKIP_1) | instid1(VALU_DEP_1)
	v_pk_fma_f32 v[120:121], v[114:115], v[116:117], v[112:113] op_sel:[0,0,1] op_sel_hi:[1,1,0] neg_lo:[0,0,1] neg_hi:[0,0,1]
	v_pk_fma_f32 v[112:113], v[114:115], v[116:117], v[112:113] op_sel:[0,0,1] op_sel_hi:[1,0,0]
	v_mov_b32_e32 v121, v113
	ds_load_2addr_b64 v[112:115], v124 offset0:17 offset1:18
	v_pk_add_f32 v[66:67], v[66:67], v[126:127] neg_lo:[0,1] neg_hi:[0,1]
	v_pk_add_f32 v[80:81], v[80:81], v[120:121] neg_lo:[0,1] neg_hi:[0,1]
	s_wait_dscnt 0x0
	v_pk_mul_f32 v[120:121], v[112:113], v[118:119] op_sel:[0,1]
	s_delay_alu instid0(VALU_DEP_1) | instskip(SKIP_2) | instid1(VALU_DEP_2)
	v_pk_fma_f32 v[126:127], v[112:113], v[116:117], v[120:121] op_sel:[0,0,1] op_sel_hi:[1,1,0] neg_lo:[0,0,1] neg_hi:[0,0,1]
	v_pk_fma_f32 v[112:113], v[112:113], v[116:117], v[120:121] op_sel:[0,0,1] op_sel_hi:[1,0,0]
	v_dual_mul_f32 v120, v115, v119 :: v_dual_mov_b32 v112, v115
	v_dual_mov_b32 v127, v113 :: v_dual_mov_b32 v113, v114
	s_delay_alu instid0(VALU_DEP_2) | instskip(SKIP_1) | instid1(VALU_DEP_3)
	v_pk_fma_f32 v[120:121], v[114:115], v[70:71], v[120:121] op_sel_hi:[1,1,0] neg_lo:[0,0,1] neg_hi:[0,0,1]
	v_mul_f32_e32 v114, v115, v116
	v_pk_add_f32 v[76:77], v[76:77], v[126:127] neg_lo:[0,1] neg_hi:[0,1]
	s_delay_alu instid0(VALU_DEP_2) | instskip(NEXT) | instid1(VALU_DEP_1)
	v_pk_fma_f32 v[112:113], v[112:113], v[70:71], v[114:115] op_sel_hi:[1,1,0]
	v_mov_b32_e32 v121, v113
	ds_load_b64 v[112:113], v124 offset:152
	v_pk_add_f32 v[74:75], v[74:75], v[120:121] neg_lo:[0,1] neg_hi:[0,1]
	s_wait_dscnt 0x0
	v_pk_mul_f32 v[114:115], v[112:113], v[118:119] op_sel:[0,1]
	s_delay_alu instid0(VALU_DEP_1) | instskip(SKIP_1) | instid1(VALU_DEP_1)
	v_pk_fma_f32 v[118:119], v[112:113], v[116:117], v[114:115] op_sel:[0,0,1] op_sel_hi:[1,1,0] neg_lo:[0,0,1] neg_hi:[0,0,1]
	v_pk_fma_f32 v[112:113], v[112:113], v[116:117], v[114:115] op_sel:[0,0,1] op_sel_hi:[1,0,0]
	v_mov_b32_e32 v119, v113
	s_delay_alu instid0(VALU_DEP_1)
	v_pk_add_f32 v[78:79], v[78:79], v[118:119] neg_lo:[0,1] neg_hi:[0,1]
.LBB39_136:
	s_or_b32 exec_lo, exec_lo, s1
	s_delay_alu instid0(SALU_CYCLE_1)
	s_mov_b32 s2, exec_lo
	s_wait_dscnt 0x0
	s_barrier_signal -1
	s_barrier_wait -1
	v_cmpx_eq_u32_e32 15, v122
	s_cbranch_execz .LBB39_143
; %bb.137:
	v_dual_mov_b32 v112, v80 :: v_dual_mov_b32 v113, v81
	v_dual_mov_b32 v114, v76 :: v_dual_mov_b32 v115, v77
	;; [unrolled: 1-line block ×3, first 2 shown]
	ds_store_b64 v123, v[66:67]
	ds_store_2addr_b64 v124, v[112:113], v[114:115] offset0:16 offset1:17
	ds_store_2addr_b64 v124, v[116:117], v[78:79] offset0:18 offset1:19
	ds_load_b64 v[112:113], v123
	s_wait_dscnt 0x0
	v_cmp_neq_f32_e32 vcc_lo, 0, v112
	v_cmp_neq_f32_e64 s1, 0, v113
	s_or_b32 s1, vcc_lo, s1
	s_delay_alu instid0(SALU_CYCLE_1)
	s_and_b32 exec_lo, exec_lo, s1
	s_cbranch_execz .LBB39_143
; %bb.138:
	v_cmp_ngt_f32_e64 s1, |v112|, |v113|
                                        ; implicit-def: $vgpr114_vgpr115
	s_and_saveexec_b32 s4, s1
	s_delay_alu instid0(SALU_CYCLE_1)
	s_xor_b32 s1, exec_lo, s4
	s_cbranch_execz .LBB39_140
; %bb.139:
	v_div_scale_f32 v114, null, v113, v113, v112
	v_div_scale_f32 v117, vcc_lo, v112, v113, v112
	s_delay_alu instid0(VALU_DEP_2) | instskip(SKIP_1) | instid1(TRANS32_DEP_1)
	v_rcp_f32_e32 v115, v114
	v_nop
	v_fma_f32 v116, -v114, v115, 1.0
	s_delay_alu instid0(VALU_DEP_1) | instskip(NEXT) | instid1(VALU_DEP_1)
	v_fmac_f32_e32 v115, v116, v115
	v_mul_f32_e32 v116, v117, v115
	s_delay_alu instid0(VALU_DEP_1) | instskip(NEXT) | instid1(VALU_DEP_1)
	v_fma_f32 v118, -v114, v116, v117
	v_fmac_f32_e32 v116, v118, v115
	s_delay_alu instid0(VALU_DEP_1) | instskip(NEXT) | instid1(VALU_DEP_1)
	v_fma_f32 v114, -v114, v116, v117
	v_div_fmas_f32 v114, v114, v115, v116
	s_delay_alu instid0(VALU_DEP_1) | instskip(NEXT) | instid1(VALU_DEP_1)
	v_div_fixup_f32 v114, v114, v113, v112
	v_fmac_f32_e32 v113, v112, v114
	s_delay_alu instid0(VALU_DEP_1) | instskip(SKIP_1) | instid1(VALU_DEP_2)
	v_div_scale_f32 v112, null, v113, v113, 1.0
	v_div_scale_f32 v117, vcc_lo, 1.0, v113, 1.0
	v_rcp_f32_e32 v115, v112
	v_nop
	s_delay_alu instid0(TRANS32_DEP_1) | instskip(NEXT) | instid1(VALU_DEP_1)
	v_fma_f32 v116, -v112, v115, 1.0
	v_fmac_f32_e32 v115, v116, v115
	s_delay_alu instid0(VALU_DEP_1) | instskip(NEXT) | instid1(VALU_DEP_1)
	v_mul_f32_e32 v116, v117, v115
	v_fma_f32 v118, -v112, v116, v117
	s_delay_alu instid0(VALU_DEP_1) | instskip(NEXT) | instid1(VALU_DEP_1)
	v_fmac_f32_e32 v116, v118, v115
	v_fma_f32 v112, -v112, v116, v117
	s_delay_alu instid0(VALU_DEP_1) | instskip(NEXT) | instid1(VALU_DEP_1)
	v_div_fmas_f32 v112, v112, v115, v116
	v_div_fixup_f32 v112, v112, v113, 1.0
	s_delay_alu instid0(VALU_DEP_1)
	v_mul_f32_e32 v114, v114, v112
	v_xor_b32_e32 v115, 0x80000000, v112
                                        ; implicit-def: $vgpr112_vgpr113
.LBB39_140:
	s_and_not1_saveexec_b32 s1, s1
	s_cbranch_execz .LBB39_142
; %bb.141:
	v_div_scale_f32 v114, null, v112, v112, v113
	v_div_scale_f32 v117, vcc_lo, v113, v112, v113
	s_delay_alu instid0(VALU_DEP_2) | instskip(SKIP_1) | instid1(TRANS32_DEP_1)
	v_rcp_f32_e32 v115, v114
	v_nop
	v_fma_f32 v116, -v114, v115, 1.0
	s_delay_alu instid0(VALU_DEP_1) | instskip(NEXT) | instid1(VALU_DEP_1)
	v_fmac_f32_e32 v115, v116, v115
	v_mul_f32_e32 v116, v117, v115
	s_delay_alu instid0(VALU_DEP_1) | instskip(NEXT) | instid1(VALU_DEP_1)
	v_fma_f32 v118, -v114, v116, v117
	v_fmac_f32_e32 v116, v118, v115
	s_delay_alu instid0(VALU_DEP_1) | instskip(NEXT) | instid1(VALU_DEP_1)
	v_fma_f32 v114, -v114, v116, v117
	v_div_fmas_f32 v114, v114, v115, v116
	s_delay_alu instid0(VALU_DEP_1) | instskip(NEXT) | instid1(VALU_DEP_1)
	v_div_fixup_f32 v115, v114, v112, v113
	v_fmac_f32_e32 v112, v113, v115
	s_delay_alu instid0(VALU_DEP_1) | instskip(NEXT) | instid1(VALU_DEP_1)
	v_div_scale_f32 v113, null, v112, v112, 1.0
	v_rcp_f32_e32 v114, v113
	v_nop
	s_delay_alu instid0(TRANS32_DEP_1) | instskip(NEXT) | instid1(VALU_DEP_1)
	v_fma_f32 v116, -v113, v114, 1.0
	v_fmac_f32_e32 v114, v116, v114
	v_div_scale_f32 v116, vcc_lo, 1.0, v112, 1.0
	s_delay_alu instid0(VALU_DEP_1) | instskip(NEXT) | instid1(VALU_DEP_1)
	v_mul_f32_e32 v117, v116, v114
	v_fma_f32 v118, -v113, v117, v116
	s_delay_alu instid0(VALU_DEP_1) | instskip(NEXT) | instid1(VALU_DEP_1)
	v_fmac_f32_e32 v117, v118, v114
	v_fma_f32 v113, -v113, v117, v116
	s_delay_alu instid0(VALU_DEP_1) | instskip(NEXT) | instid1(VALU_DEP_1)
	v_div_fmas_f32 v113, v113, v114, v117
	v_div_fixup_f32 v114, v113, v112, 1.0
	s_delay_alu instid0(VALU_DEP_1)
	v_mul_f32_e64 v115, v115, -v114
.LBB39_142:
	s_or_b32 exec_lo, exec_lo, s1
	ds_store_b64 v123, v[114:115]
.LBB39_143:
	s_or_b32 exec_lo, exec_lo, s2
	s_wait_dscnt 0x0
	s_barrier_signal -1
	s_barrier_wait -1
	ds_load_b64 v[112:113], v123
	s_mov_b32 s1, exec_lo
	v_cmpx_lt_u32_e32 15, v122
	s_cbranch_execz .LBB39_145
; %bb.144:
	ds_load_2addr_b64 v[114:117], v124 offset0:16 offset1:17
	ds_load_2addr_b64 v[118:121], v124 offset0:18 offset1:19
	s_wait_dscnt 0x2
	v_pk_mul_f32 v[126:127], v[112:113], v[66:67] op_sel:[1,1] op_sel_hi:[0,1]
	s_delay_alu instid0(VALU_DEP_1) | instskip(SKIP_1) | instid1(VALU_DEP_1)
	v_pk_fma_f32 v[128:129], v[112:113], v[66:67], v[126:127] op_sel_hi:[1,0,1] neg_lo:[0,0,1] neg_hi:[0,0,1]
	v_pk_fma_f32 v[126:127], v[112:113], v[66:67], v[126:127] op_sel_hi:[1,0,1]
	v_dual_mov_b32 v66, v128 :: v_dual_mov_b32 v67, v127
	s_wait_dscnt 0x1
	s_delay_alu instid0(VALU_DEP_2)
	v_pk_mul_f32 v[130:131], v[114:115], v[126:127] op_sel:[0,1]
	s_wait_dscnt 0x0
	v_mov_b32_e32 v132, v121
	v_pk_mul_f32 v[134:135], v[116:117], v[126:127] op_sel:[0,1]
	v_pk_mul_f32 v[136:137], v[118:119], v[126:127] op_sel:[0,1]
	v_pk_fma_f32 v[138:139], v[114:115], v[128:129], v[130:131] op_sel:[0,0,1] op_sel_hi:[1,1,0] neg_lo:[0,0,1] neg_hi:[0,0,1]
	v_pk_fma_f32 v[114:115], v[114:115], v[128:129], v[130:131] op_sel:[0,0,1] op_sel_hi:[1,0,0]
	s_delay_alu instid0(VALU_DEP_1) | instskip(NEXT) | instid1(VALU_DEP_1)
	v_dual_mov_b32 v133, v120 :: v_dual_mov_b32 v139, v115
	v_pk_mul_f32 v[130:131], v[132:133], v[126:127] op_sel:[0,1]
	v_pk_fma_f32 v[132:133], v[116:117], v[128:129], v[134:135] op_sel:[0,0,1] op_sel_hi:[1,0,0]
	v_pk_fma_f32 v[116:117], v[116:117], v[128:129], v[134:135] op_sel:[0,0,1] op_sel_hi:[1,1,0] neg_lo:[0,0,1] neg_hi:[0,0,1]
	v_pk_fma_f32 v[134:135], v[118:119], v[128:129], v[136:137] op_sel:[0,0,1] op_sel_hi:[1,0,0]
	v_pk_fma_f32 v[118:119], v[118:119], v[128:129], v[136:137] op_sel:[0,0,1] op_sel_hi:[1,1,0] neg_lo:[0,0,1] neg_hi:[0,0,1]
	v_pk_fma_f32 v[114:115], v[120:121], v[128:129], v[130:131] op_sel_hi:[1,0,1]
	v_pk_fma_f32 v[120:121], v[120:121], v[128:129], v[130:131] neg_lo:[0,0,1] neg_hi:[0,0,1]
	s_delay_alu instid0(VALU_DEP_4) | instskip(SKIP_1) | instid1(VALU_DEP_4)
	v_dual_mov_b32 v117, v133 :: v_dual_mov_b32 v119, v135
	v_pk_add_f32 v[80:81], v[80:81], v[138:139] neg_lo:[0,1] neg_hi:[0,1]
	v_mov_b32_e32 v121, v115
	s_delay_alu instid0(VALU_DEP_3) | instskip(NEXT) | instid1(VALU_DEP_4)
	v_pk_add_f32 v[76:77], v[76:77], v[116:117] neg_lo:[0,1] neg_hi:[0,1]
	v_pk_add_f32 v[74:75], v[74:75], v[118:119] neg_lo:[0,1] neg_hi:[0,1]
	s_delay_alu instid0(VALU_DEP_3)
	v_pk_add_f32 v[78:79], v[78:79], v[120:121] neg_lo:[0,1] neg_hi:[0,1]
.LBB39_145:
	s_or_b32 exec_lo, exec_lo, s1
	s_delay_alu instid0(SALU_CYCLE_1)
	s_mov_b32 s2, exec_lo
	s_wait_dscnt 0x0
	s_barrier_signal -1
	s_barrier_wait -1
	v_cmpx_eq_u32_e32 16, v122
	s_cbranch_execz .LBB39_152
; %bb.146:
	ds_store_b64 v123, v[80:81]
	ds_store_2addr_b64 v124, v[76:77], v[74:75] offset0:17 offset1:18
	ds_store_b64 v124, v[78:79] offset:152
	ds_load_b64 v[114:115], v123
	s_wait_dscnt 0x0
	v_cmp_neq_f32_e32 vcc_lo, 0, v114
	v_cmp_neq_f32_e64 s1, 0, v115
	s_or_b32 s1, vcc_lo, s1
	s_delay_alu instid0(SALU_CYCLE_1)
	s_and_b32 exec_lo, exec_lo, s1
	s_cbranch_execz .LBB39_152
; %bb.147:
	v_cmp_ngt_f32_e64 s1, |v114|, |v115|
                                        ; implicit-def: $vgpr116_vgpr117
	s_and_saveexec_b32 s4, s1
	s_delay_alu instid0(SALU_CYCLE_1)
	s_xor_b32 s1, exec_lo, s4
	s_cbranch_execz .LBB39_149
; %bb.148:
	v_div_scale_f32 v116, null, v115, v115, v114
	v_div_scale_f32 v119, vcc_lo, v114, v115, v114
	s_delay_alu instid0(VALU_DEP_2) | instskip(SKIP_1) | instid1(TRANS32_DEP_1)
	v_rcp_f32_e32 v117, v116
	v_nop
	v_fma_f32 v118, -v116, v117, 1.0
	s_delay_alu instid0(VALU_DEP_1) | instskip(NEXT) | instid1(VALU_DEP_1)
	v_fmac_f32_e32 v117, v118, v117
	v_mul_f32_e32 v118, v119, v117
	s_delay_alu instid0(VALU_DEP_1) | instskip(NEXT) | instid1(VALU_DEP_1)
	v_fma_f32 v120, -v116, v118, v119
	v_fmac_f32_e32 v118, v120, v117
	s_delay_alu instid0(VALU_DEP_1) | instskip(NEXT) | instid1(VALU_DEP_1)
	v_fma_f32 v116, -v116, v118, v119
	v_div_fmas_f32 v116, v116, v117, v118
	s_delay_alu instid0(VALU_DEP_1) | instskip(NEXT) | instid1(VALU_DEP_1)
	v_div_fixup_f32 v116, v116, v115, v114
	v_fmac_f32_e32 v115, v114, v116
	s_delay_alu instid0(VALU_DEP_1) | instskip(SKIP_1) | instid1(VALU_DEP_2)
	v_div_scale_f32 v114, null, v115, v115, 1.0
	v_div_scale_f32 v119, vcc_lo, 1.0, v115, 1.0
	v_rcp_f32_e32 v117, v114
	v_nop
	s_delay_alu instid0(TRANS32_DEP_1) | instskip(NEXT) | instid1(VALU_DEP_1)
	v_fma_f32 v118, -v114, v117, 1.0
	v_fmac_f32_e32 v117, v118, v117
	s_delay_alu instid0(VALU_DEP_1) | instskip(NEXT) | instid1(VALU_DEP_1)
	v_mul_f32_e32 v118, v119, v117
	v_fma_f32 v120, -v114, v118, v119
	s_delay_alu instid0(VALU_DEP_1) | instskip(NEXT) | instid1(VALU_DEP_1)
	v_fmac_f32_e32 v118, v120, v117
	v_fma_f32 v114, -v114, v118, v119
	s_delay_alu instid0(VALU_DEP_1) | instskip(NEXT) | instid1(VALU_DEP_1)
	v_div_fmas_f32 v114, v114, v117, v118
	v_div_fixup_f32 v114, v114, v115, 1.0
	s_delay_alu instid0(VALU_DEP_1)
	v_mul_f32_e32 v116, v116, v114
	v_xor_b32_e32 v117, 0x80000000, v114
                                        ; implicit-def: $vgpr114_vgpr115
.LBB39_149:
	s_and_not1_saveexec_b32 s1, s1
	s_cbranch_execz .LBB39_151
; %bb.150:
	v_div_scale_f32 v116, null, v114, v114, v115
	v_div_scale_f32 v119, vcc_lo, v115, v114, v115
	s_delay_alu instid0(VALU_DEP_2) | instskip(SKIP_1) | instid1(TRANS32_DEP_1)
	v_rcp_f32_e32 v117, v116
	v_nop
	v_fma_f32 v118, -v116, v117, 1.0
	s_delay_alu instid0(VALU_DEP_1) | instskip(NEXT) | instid1(VALU_DEP_1)
	v_fmac_f32_e32 v117, v118, v117
	v_mul_f32_e32 v118, v119, v117
	s_delay_alu instid0(VALU_DEP_1) | instskip(NEXT) | instid1(VALU_DEP_1)
	v_fma_f32 v120, -v116, v118, v119
	v_fmac_f32_e32 v118, v120, v117
	s_delay_alu instid0(VALU_DEP_1) | instskip(NEXT) | instid1(VALU_DEP_1)
	v_fma_f32 v116, -v116, v118, v119
	v_div_fmas_f32 v116, v116, v117, v118
	s_delay_alu instid0(VALU_DEP_1) | instskip(NEXT) | instid1(VALU_DEP_1)
	v_div_fixup_f32 v117, v116, v114, v115
	v_fmac_f32_e32 v114, v115, v117
	s_delay_alu instid0(VALU_DEP_1) | instskip(NEXT) | instid1(VALU_DEP_1)
	v_div_scale_f32 v115, null, v114, v114, 1.0
	v_rcp_f32_e32 v116, v115
	v_nop
	s_delay_alu instid0(TRANS32_DEP_1) | instskip(NEXT) | instid1(VALU_DEP_1)
	v_fma_f32 v118, -v115, v116, 1.0
	v_fmac_f32_e32 v116, v118, v116
	v_div_scale_f32 v118, vcc_lo, 1.0, v114, 1.0
	s_delay_alu instid0(VALU_DEP_1) | instskip(NEXT) | instid1(VALU_DEP_1)
	v_mul_f32_e32 v119, v118, v116
	v_fma_f32 v120, -v115, v119, v118
	s_delay_alu instid0(VALU_DEP_1) | instskip(NEXT) | instid1(VALU_DEP_1)
	v_fmac_f32_e32 v119, v120, v116
	v_fma_f32 v115, -v115, v119, v118
	s_delay_alu instid0(VALU_DEP_1) | instskip(NEXT) | instid1(VALU_DEP_1)
	v_div_fmas_f32 v115, v115, v116, v119
	v_div_fixup_f32 v116, v115, v114, 1.0
	s_delay_alu instid0(VALU_DEP_1)
	v_mul_f32_e64 v117, v117, -v116
.LBB39_151:
	s_or_b32 exec_lo, exec_lo, s1
	ds_store_b64 v123, v[116:117]
.LBB39_152:
	s_or_b32 exec_lo, exec_lo, s2
	s_wait_dscnt 0x0
	s_barrier_signal -1
	s_barrier_wait -1
	ds_load_b64 v[114:115], v123
	s_mov_b32 s1, exec_lo
	v_cmpx_lt_u32_e32 16, v122
	s_cbranch_execz .LBB39_154
; %bb.153:
	ds_load_2addr_b64 v[116:119], v124 offset0:17 offset1:18
	ds_load_b64 v[120:121], v124 offset:152
	s_wait_dscnt 0x2
	v_pk_mul_f32 v[126:127], v[114:115], v[80:81] op_sel:[1,1] op_sel_hi:[0,1]
	s_delay_alu instid0(VALU_DEP_1) | instskip(SKIP_2) | instid1(VALU_DEP_2)
	v_pk_fma_f32 v[128:129], v[114:115], v[80:81], v[126:127] op_sel_hi:[1,0,1]
	v_pk_fma_f32 v[80:81], v[114:115], v[80:81], v[126:127] op_sel_hi:[1,0,1] neg_lo:[0,0,1] neg_hi:[0,0,1]
	s_wait_dscnt 0x1
	v_pk_mul_f32 v[126:127], v[116:117], v[128:129] op_sel:[0,1]
	v_pk_mul_f32 v[130:131], v[118:119], v[128:129] op_sel:[0,1]
	s_wait_dscnt 0x0
	v_pk_mul_f32 v[132:133], v[120:121], v[128:129] op_sel:[1,1] op_sel_hi:[0,1]
	s_delay_alu instid0(VALU_DEP_3) | instskip(SKIP_2) | instid1(VALU_DEP_4)
	v_pk_fma_f32 v[134:135], v[116:117], v[80:81], v[126:127] op_sel:[0,0,1] op_sel_hi:[1,1,0] neg_lo:[0,0,1] neg_hi:[0,0,1]
	v_pk_fma_f32 v[116:117], v[116:117], v[80:81], v[126:127] op_sel:[0,0,1] op_sel_hi:[1,0,0]
	v_pk_fma_f32 v[126:127], v[118:119], v[80:81], v[130:131] op_sel:[0,0,1] op_sel_hi:[1,0,0]
	v_pk_fma_f32 v[136:137], v[120:121], v[80:81], v[132:133] op_sel_hi:[1,0,1]
	v_pk_fma_f32 v[118:119], v[118:119], v[80:81], v[130:131] op_sel:[0,0,1] op_sel_hi:[1,1,0] neg_lo:[0,0,1] neg_hi:[0,0,1]
	v_pk_fma_f32 v[120:121], v[120:121], v[80:81], v[132:133] neg_lo:[0,0,1] neg_hi:[0,0,1]
	s_delay_alu instid0(VALU_DEP_4) | instskip(NEXT) | instid1(VALU_DEP_4)
	v_dual_mov_b32 v135, v117 :: v_dual_mov_b32 v119, v127
	v_dual_mov_b32 v121, v137 :: v_dual_mov_b32 v81, v129
	s_delay_alu instid0(VALU_DEP_2) | instskip(NEXT) | instid1(VALU_DEP_3)
	v_pk_add_f32 v[76:77], v[76:77], v[134:135] neg_lo:[0,1] neg_hi:[0,1]
	v_pk_add_f32 v[74:75], v[74:75], v[118:119] neg_lo:[0,1] neg_hi:[0,1]
	s_delay_alu instid0(VALU_DEP_3)
	v_pk_add_f32 v[78:79], v[78:79], v[120:121] neg_lo:[0,1] neg_hi:[0,1]
.LBB39_154:
	s_or_b32 exec_lo, exec_lo, s1
	s_delay_alu instid0(SALU_CYCLE_1)
	s_mov_b32 s2, exec_lo
	s_wait_dscnt 0x0
	s_barrier_signal -1
	s_barrier_wait -1
	v_cmpx_eq_u32_e32 17, v122
	s_cbranch_execz .LBB39_161
; %bb.155:
	v_dual_mov_b32 v116, v74 :: v_dual_mov_b32 v117, v75
	ds_store_b64 v123, v[76:77]
	ds_store_2addr_b64 v124, v[116:117], v[78:79] offset0:18 offset1:19
	ds_load_b64 v[116:117], v123
	s_wait_dscnt 0x0
	v_cmp_neq_f32_e32 vcc_lo, 0, v116
	v_cmp_neq_f32_e64 s1, 0, v117
	s_or_b32 s1, vcc_lo, s1
	s_delay_alu instid0(SALU_CYCLE_1)
	s_and_b32 exec_lo, exec_lo, s1
	s_cbranch_execz .LBB39_161
; %bb.156:
	v_cmp_ngt_f32_e64 s1, |v116|, |v117|
                                        ; implicit-def: $vgpr118_vgpr119
	s_and_saveexec_b32 s4, s1
	s_delay_alu instid0(SALU_CYCLE_1)
	s_xor_b32 s1, exec_lo, s4
	s_cbranch_execz .LBB39_158
; %bb.157:
	v_div_scale_f32 v118, null, v117, v117, v116
	v_div_scale_f32 v121, vcc_lo, v116, v117, v116
	s_delay_alu instid0(VALU_DEP_2) | instskip(SKIP_1) | instid1(TRANS32_DEP_1)
	v_rcp_f32_e32 v119, v118
	v_nop
	v_fma_f32 v120, -v118, v119, 1.0
	s_delay_alu instid0(VALU_DEP_1) | instskip(NEXT) | instid1(VALU_DEP_1)
	v_fmac_f32_e32 v119, v120, v119
	v_mul_f32_e32 v120, v121, v119
	s_delay_alu instid0(VALU_DEP_1) | instskip(NEXT) | instid1(VALU_DEP_1)
	v_fma_f32 v125, -v118, v120, v121
	v_fmac_f32_e32 v120, v125, v119
	s_delay_alu instid0(VALU_DEP_1) | instskip(NEXT) | instid1(VALU_DEP_1)
	v_fma_f32 v118, -v118, v120, v121
	v_div_fmas_f32 v118, v118, v119, v120
	s_delay_alu instid0(VALU_DEP_1) | instskip(NEXT) | instid1(VALU_DEP_1)
	v_div_fixup_f32 v118, v118, v117, v116
	v_fmac_f32_e32 v117, v116, v118
	s_delay_alu instid0(VALU_DEP_1) | instskip(SKIP_1) | instid1(VALU_DEP_2)
	v_div_scale_f32 v116, null, v117, v117, 1.0
	v_div_scale_f32 v121, vcc_lo, 1.0, v117, 1.0
	v_rcp_f32_e32 v119, v116
	v_nop
	s_delay_alu instid0(TRANS32_DEP_1) | instskip(NEXT) | instid1(VALU_DEP_1)
	v_fma_f32 v120, -v116, v119, 1.0
	v_fmac_f32_e32 v119, v120, v119
	s_delay_alu instid0(VALU_DEP_1) | instskip(NEXT) | instid1(VALU_DEP_1)
	v_mul_f32_e32 v120, v121, v119
	v_fma_f32 v125, -v116, v120, v121
	s_delay_alu instid0(VALU_DEP_1) | instskip(NEXT) | instid1(VALU_DEP_1)
	v_fmac_f32_e32 v120, v125, v119
	v_fma_f32 v116, -v116, v120, v121
	s_delay_alu instid0(VALU_DEP_1) | instskip(NEXT) | instid1(VALU_DEP_1)
	v_div_fmas_f32 v116, v116, v119, v120
	v_div_fixup_f32 v116, v116, v117, 1.0
	s_delay_alu instid0(VALU_DEP_1)
	v_mul_f32_e32 v118, v118, v116
	v_xor_b32_e32 v119, 0x80000000, v116
                                        ; implicit-def: $vgpr116_vgpr117
.LBB39_158:
	s_and_not1_saveexec_b32 s1, s1
	s_cbranch_execz .LBB39_160
; %bb.159:
	v_div_scale_f32 v118, null, v116, v116, v117
	v_div_scale_f32 v121, vcc_lo, v117, v116, v117
	s_delay_alu instid0(VALU_DEP_2) | instskip(SKIP_1) | instid1(TRANS32_DEP_1)
	v_rcp_f32_e32 v119, v118
	v_nop
	v_fma_f32 v120, -v118, v119, 1.0
	s_delay_alu instid0(VALU_DEP_1) | instskip(NEXT) | instid1(VALU_DEP_1)
	v_fmac_f32_e32 v119, v120, v119
	v_mul_f32_e32 v120, v121, v119
	s_delay_alu instid0(VALU_DEP_1) | instskip(NEXT) | instid1(VALU_DEP_1)
	v_fma_f32 v125, -v118, v120, v121
	v_fmac_f32_e32 v120, v125, v119
	s_delay_alu instid0(VALU_DEP_1) | instskip(NEXT) | instid1(VALU_DEP_1)
	v_fma_f32 v118, -v118, v120, v121
	v_div_fmas_f32 v118, v118, v119, v120
	s_delay_alu instid0(VALU_DEP_1) | instskip(NEXT) | instid1(VALU_DEP_1)
	v_div_fixup_f32 v119, v118, v116, v117
	v_fmac_f32_e32 v116, v117, v119
	s_delay_alu instid0(VALU_DEP_1) | instskip(NEXT) | instid1(VALU_DEP_1)
	v_div_scale_f32 v117, null, v116, v116, 1.0
	v_rcp_f32_e32 v118, v117
	v_nop
	s_delay_alu instid0(TRANS32_DEP_1) | instskip(NEXT) | instid1(VALU_DEP_1)
	v_fma_f32 v120, -v117, v118, 1.0
	v_fmac_f32_e32 v118, v120, v118
	v_div_scale_f32 v120, vcc_lo, 1.0, v116, 1.0
	s_delay_alu instid0(VALU_DEP_1) | instskip(NEXT) | instid1(VALU_DEP_1)
	v_mul_f32_e32 v121, v120, v118
	v_fma_f32 v125, -v117, v121, v120
	s_delay_alu instid0(VALU_DEP_1) | instskip(NEXT) | instid1(VALU_DEP_1)
	v_fmac_f32_e32 v121, v125, v118
	v_fma_f32 v117, -v117, v121, v120
	s_delay_alu instid0(VALU_DEP_1) | instskip(NEXT) | instid1(VALU_DEP_1)
	v_div_fmas_f32 v117, v117, v118, v121
	v_div_fixup_f32 v118, v117, v116, 1.0
	s_delay_alu instid0(VALU_DEP_1)
	v_mul_f32_e64 v119, v119, -v118
.LBB39_160:
	s_or_b32 exec_lo, exec_lo, s1
	ds_store_b64 v123, v[118:119]
.LBB39_161:
	s_or_b32 exec_lo, exec_lo, s2
	s_wait_dscnt 0x0
	s_barrier_signal -1
	s_barrier_wait -1
	ds_load_b64 v[116:117], v123
	s_mov_b32 s1, exec_lo
	v_cmpx_lt_u32_e32 17, v122
	s_cbranch_execz .LBB39_163
; %bb.162:
	ds_load_2addr_b64 v[118:121], v124 offset0:18 offset1:19
	s_wait_dscnt 0x1
	v_pk_mul_f32 v[126:127], v[116:117], v[76:77] op_sel:[1,1] op_sel_hi:[0,1]
	s_delay_alu instid0(VALU_DEP_1) | instskip(SKIP_3) | instid1(VALU_DEP_3)
	v_pk_fma_f32 v[128:129], v[116:117], v[76:77], v[126:127] op_sel_hi:[1,0,1]
	v_pk_fma_f32 v[76:77], v[116:117], v[76:77], v[126:127] op_sel_hi:[1,0,1] neg_lo:[0,0,1] neg_hi:[0,0,1]
	s_wait_dscnt 0x0
	v_dual_mov_b32 v130, v121 :: v_dual_mov_b32 v131, v120
	v_pk_mul_f32 v[126:127], v[118:119], v[128:129] op_sel:[0,1]
	s_delay_alu instid0(VALU_DEP_2) | instskip(NEXT) | instid1(VALU_DEP_2)
	v_pk_mul_f32 v[130:131], v[130:131], v[128:129] op_sel:[0,1]
	v_pk_fma_f32 v[132:133], v[118:119], v[76:77], v[126:127] op_sel:[0,0,1] op_sel_hi:[1,0,0]
	v_pk_fma_f32 v[118:119], v[118:119], v[76:77], v[126:127] op_sel:[0,0,1] op_sel_hi:[1,1,0] neg_lo:[0,0,1] neg_hi:[0,0,1]
	s_delay_alu instid0(VALU_DEP_3) | instskip(SKIP_1) | instid1(VALU_DEP_4)
	v_pk_fma_f32 v[134:135], v[120:121], v[76:77], v[130:131] op_sel_hi:[1,0,1]
	v_pk_fma_f32 v[120:121], v[120:121], v[76:77], v[130:131] neg_lo:[0,0,1] neg_hi:[0,0,1]
	v_dual_mov_b32 v119, v133 :: v_dual_mov_b32 v77, v129
	s_delay_alu instid0(VALU_DEP_3) | instskip(NEXT) | instid1(VALU_DEP_2)
	v_mov_b32_e32 v121, v135
	v_pk_add_f32 v[74:75], v[74:75], v[118:119] neg_lo:[0,1] neg_hi:[0,1]
	s_delay_alu instid0(VALU_DEP_2)
	v_pk_add_f32 v[78:79], v[78:79], v[120:121] neg_lo:[0,1] neg_hi:[0,1]
.LBB39_163:
	s_or_b32 exec_lo, exec_lo, s1
	s_delay_alu instid0(SALU_CYCLE_1)
	s_mov_b32 s2, exec_lo
	s_wait_dscnt 0x0
	s_barrier_signal -1
	s_barrier_wait -1
	v_cmpx_eq_u32_e32 18, v122
	s_cbranch_execz .LBB39_170
; %bb.164:
	ds_store_b64 v123, v[74:75]
	ds_store_b64 v124, v[78:79] offset:152
	ds_load_b64 v[118:119], v123
	s_wait_dscnt 0x0
	v_cmp_neq_f32_e32 vcc_lo, 0, v118
	v_cmp_neq_f32_e64 s1, 0, v119
	s_or_b32 s1, vcc_lo, s1
	s_delay_alu instid0(SALU_CYCLE_1)
	s_and_b32 exec_lo, exec_lo, s1
	s_cbranch_execz .LBB39_170
; %bb.165:
	v_cmp_ngt_f32_e64 s1, |v118|, |v119|
                                        ; implicit-def: $vgpr120_vgpr121
	s_and_saveexec_b32 s4, s1
	s_delay_alu instid0(SALU_CYCLE_1)
	s_xor_b32 s1, exec_lo, s4
	s_cbranch_execz .LBB39_167
; %bb.166:
	v_div_scale_f32 v120, null, v119, v119, v118
	v_div_scale_f32 v126, vcc_lo, v118, v119, v118
	s_delay_alu instid0(VALU_DEP_2) | instskip(SKIP_1) | instid1(TRANS32_DEP_1)
	v_rcp_f32_e32 v121, v120
	v_nop
	v_fma_f32 v125, -v120, v121, 1.0
	s_delay_alu instid0(VALU_DEP_1) | instskip(NEXT) | instid1(VALU_DEP_1)
	v_fmac_f32_e32 v121, v125, v121
	v_mul_f32_e32 v125, v126, v121
	s_delay_alu instid0(VALU_DEP_1) | instskip(NEXT) | instid1(VALU_DEP_1)
	v_fma_f32 v127, -v120, v125, v126
	v_fmac_f32_e32 v125, v127, v121
	s_delay_alu instid0(VALU_DEP_1) | instskip(NEXT) | instid1(VALU_DEP_1)
	v_fma_f32 v120, -v120, v125, v126
	v_div_fmas_f32 v120, v120, v121, v125
	s_delay_alu instid0(VALU_DEP_1) | instskip(NEXT) | instid1(VALU_DEP_1)
	v_div_fixup_f32 v120, v120, v119, v118
	v_fmac_f32_e32 v119, v118, v120
	s_delay_alu instid0(VALU_DEP_1) | instskip(SKIP_1) | instid1(VALU_DEP_2)
	v_div_scale_f32 v118, null, v119, v119, 1.0
	v_div_scale_f32 v126, vcc_lo, 1.0, v119, 1.0
	v_rcp_f32_e32 v121, v118
	v_nop
	s_delay_alu instid0(TRANS32_DEP_1) | instskip(NEXT) | instid1(VALU_DEP_1)
	v_fma_f32 v125, -v118, v121, 1.0
	v_fmac_f32_e32 v121, v125, v121
	s_delay_alu instid0(VALU_DEP_1) | instskip(NEXT) | instid1(VALU_DEP_1)
	v_mul_f32_e32 v125, v126, v121
	v_fma_f32 v127, -v118, v125, v126
	s_delay_alu instid0(VALU_DEP_1) | instskip(NEXT) | instid1(VALU_DEP_1)
	v_fmac_f32_e32 v125, v127, v121
	v_fma_f32 v118, -v118, v125, v126
	s_delay_alu instid0(VALU_DEP_1) | instskip(NEXT) | instid1(VALU_DEP_1)
	v_div_fmas_f32 v118, v118, v121, v125
	v_div_fixup_f32 v118, v118, v119, 1.0
	s_delay_alu instid0(VALU_DEP_1)
	v_mul_f32_e32 v120, v120, v118
	v_xor_b32_e32 v121, 0x80000000, v118
                                        ; implicit-def: $vgpr118_vgpr119
.LBB39_167:
	s_and_not1_saveexec_b32 s1, s1
	s_cbranch_execz .LBB39_169
; %bb.168:
	v_div_scale_f32 v120, null, v118, v118, v119
	v_div_scale_f32 v126, vcc_lo, v119, v118, v119
	s_delay_alu instid0(VALU_DEP_2) | instskip(SKIP_1) | instid1(TRANS32_DEP_1)
	v_rcp_f32_e32 v121, v120
	v_nop
	v_fma_f32 v125, -v120, v121, 1.0
	s_delay_alu instid0(VALU_DEP_1) | instskip(NEXT) | instid1(VALU_DEP_1)
	v_fmac_f32_e32 v121, v125, v121
	v_mul_f32_e32 v125, v126, v121
	s_delay_alu instid0(VALU_DEP_1) | instskip(NEXT) | instid1(VALU_DEP_1)
	v_fma_f32 v127, -v120, v125, v126
	v_fmac_f32_e32 v125, v127, v121
	s_delay_alu instid0(VALU_DEP_1) | instskip(NEXT) | instid1(VALU_DEP_1)
	v_fma_f32 v120, -v120, v125, v126
	v_div_fmas_f32 v120, v120, v121, v125
	s_delay_alu instid0(VALU_DEP_1) | instskip(NEXT) | instid1(VALU_DEP_1)
	v_div_fixup_f32 v121, v120, v118, v119
	v_fmac_f32_e32 v118, v119, v121
	s_delay_alu instid0(VALU_DEP_1) | instskip(NEXT) | instid1(VALU_DEP_1)
	v_div_scale_f32 v119, null, v118, v118, 1.0
	v_rcp_f32_e32 v120, v119
	v_nop
	s_delay_alu instid0(TRANS32_DEP_1) | instskip(NEXT) | instid1(VALU_DEP_1)
	v_fma_f32 v125, -v119, v120, 1.0
	v_fmac_f32_e32 v120, v125, v120
	v_div_scale_f32 v125, vcc_lo, 1.0, v118, 1.0
	s_delay_alu instid0(VALU_DEP_1) | instskip(NEXT) | instid1(VALU_DEP_1)
	v_mul_f32_e32 v126, v125, v120
	v_fma_f32 v127, -v119, v126, v125
	s_delay_alu instid0(VALU_DEP_1) | instskip(NEXT) | instid1(VALU_DEP_1)
	v_fmac_f32_e32 v126, v127, v120
	v_fma_f32 v119, -v119, v126, v125
	s_delay_alu instid0(VALU_DEP_1) | instskip(NEXT) | instid1(VALU_DEP_1)
	v_div_fmas_f32 v119, v119, v120, v126
	v_div_fixup_f32 v120, v119, v118, 1.0
	s_delay_alu instid0(VALU_DEP_1)
	v_mul_f32_e64 v121, v121, -v120
.LBB39_169:
	s_or_b32 exec_lo, exec_lo, s1
	ds_store_b64 v123, v[120:121]
.LBB39_170:
	s_or_b32 exec_lo, exec_lo, s2
	s_wait_dscnt 0x0
	s_barrier_signal -1
	s_barrier_wait -1
	ds_load_b64 v[118:119], v123
	s_mov_b32 s1, exec_lo
	v_cmpx_lt_u32_e32 18, v122
	s_cbranch_execz .LBB39_172
; %bb.171:
	ds_load_b64 v[120:121], v124 offset:152
	s_wait_dscnt 0x1
	v_pk_mul_f32 v[124:125], v[118:119], v[74:75] op_sel:[1,1] op_sel_hi:[0,1]
	s_delay_alu instid0(VALU_DEP_1) | instskip(SKIP_2) | instid1(VALU_DEP_2)
	v_pk_fma_f32 v[126:127], v[118:119], v[74:75], v[124:125] op_sel_hi:[1,0,1]
	v_pk_fma_f32 v[74:75], v[118:119], v[74:75], v[124:125] op_sel_hi:[1,0,1] neg_lo:[0,0,1] neg_hi:[0,0,1]
	s_wait_dscnt 0x0
	v_pk_mul_f32 v[124:125], v[120:121], v[126:127] op_sel:[1,1] op_sel_hi:[0,1]
	s_delay_alu instid0(VALU_DEP_1) | instskip(SKIP_1) | instid1(VALU_DEP_2)
	v_pk_fma_f32 v[128:129], v[120:121], v[74:75], v[124:125] op_sel_hi:[1,0,1]
	v_pk_fma_f32 v[120:121], v[120:121], v[74:75], v[124:125] neg_lo:[0,0,1] neg_hi:[0,0,1]
	v_dual_mov_b32 v75, v127 :: v_dual_mov_b32 v121, v129
	s_delay_alu instid0(VALU_DEP_1)
	v_pk_add_f32 v[78:79], v[78:79], v[120:121] neg_lo:[0,1] neg_hi:[0,1]
.LBB39_172:
	s_or_b32 exec_lo, exec_lo, s1
	s_delay_alu instid0(SALU_CYCLE_1)
	s_mov_b32 s2, exec_lo
	s_wait_dscnt 0x0
	s_barrier_signal -1
	s_barrier_wait -1
	v_cmpx_eq_u32_e32 19, v122
	s_cbranch_execz .LBB39_179
; %bb.173:
	v_cmp_neq_f32_e32 vcc_lo, 0, v78
	v_cmp_neq_f32_e64 s1, 0, v79
	ds_store_b64 v123, v[78:79]
	s_or_b32 s1, vcc_lo, s1
	s_delay_alu instid0(SALU_CYCLE_1)
	s_and_b32 exec_lo, exec_lo, s1
	s_cbranch_execz .LBB39_179
; %bb.174:
	v_cmp_ngt_f32_e64 s1, |v78|, |v79|
                                        ; implicit-def: $vgpr120_vgpr121
	s_and_saveexec_b32 s4, s1
	s_delay_alu instid0(SALU_CYCLE_1)
	s_xor_b32 s1, exec_lo, s4
	s_cbranch_execz .LBB39_176
; %bb.175:
	v_div_scale_f32 v120, null, v79, v79, v78
	v_div_scale_f32 v125, vcc_lo, v78, v79, v78
	s_delay_alu instid0(VALU_DEP_2) | instskip(SKIP_1) | instid1(TRANS32_DEP_1)
	v_rcp_f32_e32 v121, v120
	v_nop
	v_fma_f32 v124, -v120, v121, 1.0
	s_delay_alu instid0(VALU_DEP_1) | instskip(NEXT) | instid1(VALU_DEP_1)
	v_fmac_f32_e32 v121, v124, v121
	v_mul_f32_e32 v124, v125, v121
	s_delay_alu instid0(VALU_DEP_1) | instskip(NEXT) | instid1(VALU_DEP_1)
	v_fma_f32 v126, -v120, v124, v125
	v_fmac_f32_e32 v124, v126, v121
	s_delay_alu instid0(VALU_DEP_1) | instskip(NEXT) | instid1(VALU_DEP_1)
	v_fma_f32 v120, -v120, v124, v125
	v_div_fmas_f32 v120, v120, v121, v124
	s_delay_alu instid0(VALU_DEP_1) | instskip(NEXT) | instid1(VALU_DEP_1)
	v_div_fixup_f32 v120, v120, v79, v78
	v_fma_f32 v121, v78, v120, v79
	s_delay_alu instid0(VALU_DEP_1) | instskip(SKIP_1) | instid1(VALU_DEP_2)
	v_div_scale_f32 v124, null, v121, v121, 1.0
	v_div_scale_f32 v127, vcc_lo, 1.0, v121, 1.0
	v_rcp_f32_e32 v125, v124
	v_nop
	s_delay_alu instid0(TRANS32_DEP_1) | instskip(NEXT) | instid1(VALU_DEP_1)
	v_fma_f32 v126, -v124, v125, 1.0
	v_fmac_f32_e32 v125, v126, v125
	s_delay_alu instid0(VALU_DEP_1) | instskip(NEXT) | instid1(VALU_DEP_1)
	v_mul_f32_e32 v126, v127, v125
	v_fma_f32 v128, -v124, v126, v127
	s_delay_alu instid0(VALU_DEP_1) | instskip(NEXT) | instid1(VALU_DEP_1)
	v_fmac_f32_e32 v126, v128, v125
	v_fma_f32 v124, -v124, v126, v127
	s_delay_alu instid0(VALU_DEP_1) | instskip(NEXT) | instid1(VALU_DEP_1)
	v_div_fmas_f32 v124, v124, v125, v126
	v_div_fixup_f32 v121, v124, v121, 1.0
	s_delay_alu instid0(VALU_DEP_1)
	v_mul_f32_e32 v120, v120, v121
	v_xor_b32_e32 v121, 0x80000000, v121
.LBB39_176:
	s_and_not1_saveexec_b32 s1, s1
	s_cbranch_execz .LBB39_178
; %bb.177:
	v_div_scale_f32 v120, null, v78, v78, v79
	v_div_scale_f32 v125, vcc_lo, v79, v78, v79
	s_delay_alu instid0(VALU_DEP_2) | instskip(SKIP_1) | instid1(TRANS32_DEP_1)
	v_rcp_f32_e32 v121, v120
	v_nop
	v_fma_f32 v124, -v120, v121, 1.0
	s_delay_alu instid0(VALU_DEP_1) | instskip(NEXT) | instid1(VALU_DEP_1)
	v_fmac_f32_e32 v121, v124, v121
	v_mul_f32_e32 v124, v125, v121
	s_delay_alu instid0(VALU_DEP_1) | instskip(NEXT) | instid1(VALU_DEP_1)
	v_fma_f32 v126, -v120, v124, v125
	v_fmac_f32_e32 v124, v126, v121
	s_delay_alu instid0(VALU_DEP_1) | instskip(NEXT) | instid1(VALU_DEP_1)
	v_fma_f32 v120, -v120, v124, v125
	v_div_fmas_f32 v120, v120, v121, v124
	s_delay_alu instid0(VALU_DEP_1) | instskip(NEXT) | instid1(VALU_DEP_1)
	v_div_fixup_f32 v121, v120, v78, v79
	v_fma_f32 v120, v79, v121, v78
	s_delay_alu instid0(VALU_DEP_1) | instskip(NEXT) | instid1(VALU_DEP_1)
	v_div_scale_f32 v124, null, v120, v120, 1.0
	v_rcp_f32_e32 v125, v124
	v_nop
	s_delay_alu instid0(TRANS32_DEP_1) | instskip(NEXT) | instid1(VALU_DEP_1)
	v_fma_f32 v126, -v124, v125, 1.0
	v_fmac_f32_e32 v125, v126, v125
	v_div_scale_f32 v126, vcc_lo, 1.0, v120, 1.0
	s_delay_alu instid0(VALU_DEP_1) | instskip(NEXT) | instid1(VALU_DEP_1)
	v_mul_f32_e32 v127, v126, v125
	v_fma_f32 v128, -v124, v127, v126
	s_delay_alu instid0(VALU_DEP_1) | instskip(NEXT) | instid1(VALU_DEP_1)
	v_fmac_f32_e32 v127, v128, v125
	v_fma_f32 v124, -v124, v127, v126
	s_delay_alu instid0(VALU_DEP_1) | instskip(NEXT) | instid1(VALU_DEP_1)
	v_div_fmas_f32 v124, v124, v125, v127
	v_div_fixup_f32 v120, v124, v120, 1.0
	s_delay_alu instid0(VALU_DEP_1)
	v_mul_f32_e64 v121, v121, -v120
.LBB39_178:
	s_or_b32 exec_lo, exec_lo, s1
	ds_store_b64 v123, v[120:121]
.LBB39_179:
	s_or_b32 exec_lo, exec_lo, s2
	s_wait_dscnt 0x0
	s_barrier_signal -1
	s_barrier_wait -1
	ds_load_b64 v[120:121], v123
	s_wait_dscnt 0x0
	s_barrier_signal -1
	s_barrier_wait -1
	s_and_saveexec_b32 s4, s0
	s_cbranch_execz .LBB39_182
; %bb.180:
	v_lshl_add_u64 v[2:3], v[2:3], 2, s[6:7]
	v_cmp_eq_f32_e32 vcc_lo, 0, v82
	v_cmp_eq_f32_e64 s0, 0, v83
	v_cmp_neq_f32_e64 s1, 0, v84
	v_cmp_neq_f32_e64 s2, 0, v85
	global_load_b32 v123, v[2:3], off
	s_and_b32 s0, vcc_lo, s0
	s_delay_alu instid0(SALU_CYCLE_1) | instskip(SKIP_1) | instid1(SALU_CYCLE_1)
	v_cndmask_b32_e64 v82, 0, 1, s0
	s_or_b32 s1, s1, s2
	s_or_b32 vcc_lo, s1, s0
	v_cmp_eq_f32_e64 s0, 0, v87
	s_delay_alu instid0(VALU_DEP_2) | instskip(SKIP_1) | instid1(VALU_DEP_2)
	v_cndmask_b32_e32 v82, 2, v82, vcc_lo
	v_cmp_eq_f32_e32 vcc_lo, 0, v86
	v_cmp_eq_u32_e64 s1, 0, v82
	s_and_b32 s0, vcc_lo, s0
	v_cmp_eq_f32_e32 vcc_lo, 0, v88
	s_and_b32 s0, s0, s1
	s_delay_alu instid0(SALU_CYCLE_1) | instskip(SKIP_1) | instid1(VALU_DEP_2)
	v_cndmask_b32_e64 v82, v82, 3, s0
	v_cmp_eq_f32_e64 s0, 0, v89
	v_cmp_eq_u32_e64 s1, 0, v82
	s_and_b32 s0, vcc_lo, s0
	v_cmp_eq_f32_e32 vcc_lo, 0, v90
	s_and_b32 s0, s0, s1
	s_delay_alu instid0(SALU_CYCLE_1) | instskip(SKIP_1) | instid1(VALU_DEP_2)
	v_cndmask_b32_e64 v82, v82, 4, s0
	v_cmp_eq_f32_e64 s0, 0, v91
	v_cmp_eq_u32_e64 s1, 0, v82
	s_and_b32 s0, vcc_lo, s0
	v_cmp_eq_f32_e32 vcc_lo, 0, v92
	s_and_b32 s0, s0, s1
	s_delay_alu instid0(SALU_CYCLE_1) | instskip(SKIP_1) | instid1(VALU_DEP_2)
	v_cndmask_b32_e64 v82, v82, 5, s0
	v_cmp_eq_f32_e64 s0, 0, v93
	v_cmp_eq_u32_e64 s1, 0, v82
	s_and_b32 s0, vcc_lo, s0
	v_cmp_eq_f32_e32 vcc_lo, 0, v94
	s_and_b32 s0, s0, s1
	s_delay_alu instid0(SALU_CYCLE_1) | instskip(SKIP_1) | instid1(VALU_DEP_2)
	v_cndmask_b32_e64 v82, v82, 6, s0
	v_cmp_eq_f32_e64 s0, 0, v95
	v_cmp_eq_u32_e64 s1, 0, v82
	s_and_b32 s0, vcc_lo, s0
	v_cmp_eq_f32_e32 vcc_lo, 0, v96
	s_and_b32 s0, s0, s1
	s_delay_alu instid0(SALU_CYCLE_1) | instskip(SKIP_1) | instid1(VALU_DEP_2)
	v_cndmask_b32_e64 v82, v82, 7, s0
	v_cmp_eq_f32_e64 s0, 0, v97
	v_cmp_eq_u32_e64 s1, 0, v82
	s_and_b32 s0, vcc_lo, s0
	v_cmp_eq_f32_e32 vcc_lo, 0, v98
	s_and_b32 s0, s0, s1
	s_delay_alu instid0(SALU_CYCLE_1) | instskip(SKIP_1) | instid1(VALU_DEP_2)
	v_cndmask_b32_e64 v82, v82, 8, s0
	v_cmp_eq_f32_e64 s0, 0, v99
	v_cmp_eq_u32_e64 s1, 0, v82
	s_and_b32 s0, vcc_lo, s0
	v_cmp_eq_f32_e32 vcc_lo, 0, v100
	s_and_b32 s0, s0, s1
	s_delay_alu instid0(SALU_CYCLE_1) | instskip(SKIP_1) | instid1(VALU_DEP_2)
	v_cndmask_b32_e64 v82, v82, 9, s0
	v_cmp_eq_f32_e64 s0, 0, v101
	v_cmp_eq_u32_e64 s1, 0, v82
	s_and_b32 s0, vcc_lo, s0
	v_cmp_eq_f32_e32 vcc_lo, 0, v102
	s_and_b32 s0, s0, s1
	s_delay_alu instid0(SALU_CYCLE_1) | instskip(SKIP_1) | instid1(VALU_DEP_2)
	v_cndmask_b32_e64 v82, v82, 10, s0
	v_cmp_eq_f32_e64 s0, 0, v103
	v_cmp_eq_u32_e64 s1, 0, v82
	s_and_b32 s0, vcc_lo, s0
	v_cmp_eq_f32_e32 vcc_lo, 0, v104
	s_and_b32 s0, s0, s1
	s_delay_alu instid0(SALU_CYCLE_1) | instskip(SKIP_1) | instid1(VALU_DEP_2)
	v_cndmask_b32_e64 v82, v82, 11, s0
	v_cmp_eq_f32_e64 s0, 0, v105
	v_cmp_eq_u32_e64 s1, 0, v82
	s_and_b32 s0, vcc_lo, s0
	v_cmp_eq_f32_e32 vcc_lo, 0, v106
	s_and_b32 s0, s0, s1
	s_delay_alu instid0(SALU_CYCLE_1) | instskip(SKIP_1) | instid1(VALU_DEP_2)
	v_cndmask_b32_e64 v82, v82, 12, s0
	v_cmp_eq_f32_e64 s0, 0, v107
	v_cmp_eq_u32_e64 s1, 0, v82
	s_and_b32 s0, vcc_lo, s0
	v_cmp_eq_f32_e32 vcc_lo, 0, v108
	s_and_b32 s0, s0, s1
	s_delay_alu instid0(SALU_CYCLE_1) | instskip(SKIP_1) | instid1(VALU_DEP_2)
	v_cndmask_b32_e64 v82, v82, 13, s0
	v_cmp_eq_f32_e64 s0, 0, v109
	v_cmp_eq_u32_e64 s1, 0, v82
	s_and_b32 s0, vcc_lo, s0
	v_cmp_eq_f32_e32 vcc_lo, 0, v110
	s_and_b32 s0, s0, s1
	s_delay_alu instid0(SALU_CYCLE_1) | instskip(SKIP_1) | instid1(VALU_DEP_2)
	v_cndmask_b32_e64 v82, v82, 14, s0
	v_cmp_eq_f32_e64 s0, 0, v111
	v_cmp_eq_u32_e64 s1, 0, v82
	s_and_b32 s0, vcc_lo, s0
	v_cmp_eq_f32_e32 vcc_lo, 0, v112
	s_and_b32 s0, s0, s1
	s_delay_alu instid0(SALU_CYCLE_1) | instskip(SKIP_1) | instid1(VALU_DEP_2)
	v_cndmask_b32_e64 v82, v82, 15, s0
	v_cmp_eq_f32_e64 s0, 0, v113
	v_cmp_eq_u32_e64 s1, 0, v82
	s_and_b32 s0, vcc_lo, s0
	v_cmp_eq_f32_e32 vcc_lo, 0, v114
	s_and_b32 s0, s0, s1
	s_delay_alu instid0(SALU_CYCLE_1) | instskip(SKIP_1) | instid1(VALU_DEP_2)
	v_cndmask_b32_e64 v82, v82, 16, s0
	v_cmp_eq_f32_e64 s0, 0, v115
	v_cmp_eq_u32_e64 s1, 0, v82
	s_and_b32 s0, vcc_lo, s0
	v_cmp_eq_f32_e32 vcc_lo, 0, v116
	s_and_b32 s0, s0, s1
	s_delay_alu instid0(SALU_CYCLE_1) | instskip(SKIP_1) | instid1(VALU_DEP_2)
	v_cndmask_b32_e64 v82, v82, 17, s0
	v_cmp_eq_f32_e64 s0, 0, v117
	v_cmp_eq_u32_e64 s1, 0, v82
	s_and_b32 s0, vcc_lo, s0
	v_cmp_eq_f32_e32 vcc_lo, 0, v118
	s_and_b32 s0, s0, s1
	s_delay_alu instid0(SALU_CYCLE_1) | instskip(SKIP_1) | instid1(VALU_DEP_2)
	v_cndmask_b32_e64 v82, v82, 18, s0
	v_cmp_eq_f32_e64 s0, 0, v119
	v_cmp_eq_u32_e64 s1, 0, v82
	s_and_b32 s0, vcc_lo, s0
	v_cmp_eq_f32_e32 vcc_lo, 0, v120
	s_and_b32 s0, s0, s1
	s_delay_alu instid0(SALU_CYCLE_1) | instskip(SKIP_1) | instid1(VALU_DEP_2)
	v_cndmask_b32_e64 v82, v82, 19, s0
	v_cmp_eq_f32_e64 s0, 0, v121
	v_cmp_eq_u32_e64 s1, 0, v82
	s_and_b32 s0, vcc_lo, s0
	s_delay_alu instid0(SALU_CYCLE_1) | instskip(NEXT) | instid1(SALU_CYCLE_1)
	s_and_b32 s0, s0, s1
	v_cndmask_b32_e64 v82, v82, 20, s0
	s_delay_alu instid0(VALU_DEP_1) | instskip(SKIP_3) | instid1(SALU_CYCLE_1)
	v_cmp_ne_u32_e64 s0, 0, v82
	s_wait_loadcnt 0x0
	v_cmp_eq_u32_e32 vcc_lo, 0, v123
	s_and_b32 s0, vcc_lo, s0
	s_and_b32 exec_lo, exec_lo, s0
	s_cbranch_execz .LBB39_182
; %bb.181:
	v_add_nc_u32_e32 v82, s3, v82
	global_store_b32 v[2:3], v82, off
.LBB39_182:
	s_wait_xcnt 0x0
	s_or_b32 exec_lo, exec_lo, s4
	v_pk_mul_f32 v[2:3], v[120:121], v[78:79] op_sel:[1,1] op_sel_hi:[0,1]
	s_clause 0x1
	global_store_b64 v[18:19], v[54:55], off
	global_store_b64 v[30:31], v[56:57], off
	v_cmp_lt_u32_e32 vcc_lo, 19, v122
	s_clause 0x2
	global_store_b64 v[0:1], v[50:51], off
	global_store_b64 v[8:9], v[44:45], off
	;; [unrolled: 1-line block ×3, first 2 shown]
	s_wait_xcnt 0x4
	v_pk_fma_f32 v[18:19], v[120:121], v[78:79], v[2:3] op_sel_hi:[1,0,1]
	v_pk_fma_f32 v[2:3], v[120:121], v[78:79], v[2:3] neg_lo:[0,0,1] neg_hi:[0,0,1]
	s_wait_xcnt 0x2
	s_delay_alu instid0(VALU_DEP_1)
	v_dual_cndmask_b32 v1, v79, v19 :: v_dual_cndmask_b32 v0, v78, v2
	s_clause 0xe
	global_store_b64 v[4:5], v[24:25], off
	global_store_b64 v[6:7], v[26:27], off
	;; [unrolled: 1-line block ×15, first 2 shown]
.LBB39_183:
	s_sendmsg sendmsg(MSG_DEALLOC_VGPRS)
	s_endpgm
	.section	.rodata,"a",@progbits
	.p2align	6, 0x0
	.amdhsa_kernel _ZN9rocsolver6v33100L23getf2_npvt_small_kernelILi20E19rocblas_complex_numIfEiiPS3_EEvT1_T3_lS5_lPT2_S5_S5_
		.amdhsa_group_segment_fixed_size 0
		.amdhsa_private_segment_fixed_size 0
		.amdhsa_kernarg_size 312
		.amdhsa_user_sgpr_count 2
		.amdhsa_user_sgpr_dispatch_ptr 0
		.amdhsa_user_sgpr_queue_ptr 0
		.amdhsa_user_sgpr_kernarg_segment_ptr 1
		.amdhsa_user_sgpr_dispatch_id 0
		.amdhsa_user_sgpr_kernarg_preload_length 0
		.amdhsa_user_sgpr_kernarg_preload_offset 0
		.amdhsa_user_sgpr_private_segment_size 0
		.amdhsa_wavefront_size32 1
		.amdhsa_uses_dynamic_stack 0
		.amdhsa_enable_private_segment 0
		.amdhsa_system_sgpr_workgroup_id_x 1
		.amdhsa_system_sgpr_workgroup_id_y 1
		.amdhsa_system_sgpr_workgroup_id_z 0
		.amdhsa_system_sgpr_workgroup_info 0
		.amdhsa_system_vgpr_workitem_id 1
		.amdhsa_next_free_vgpr 140
		.amdhsa_next_free_sgpr 15
		.amdhsa_named_barrier_count 0
		.amdhsa_reserve_vcc 1
		.amdhsa_float_round_mode_32 0
		.amdhsa_float_round_mode_16_64 0
		.amdhsa_float_denorm_mode_32 3
		.amdhsa_float_denorm_mode_16_64 3
		.amdhsa_fp16_overflow 0
		.amdhsa_memory_ordered 1
		.amdhsa_forward_progress 1
		.amdhsa_inst_pref_size 198
		.amdhsa_round_robin_scheduling 0
		.amdhsa_exception_fp_ieee_invalid_op 0
		.amdhsa_exception_fp_denorm_src 0
		.amdhsa_exception_fp_ieee_div_zero 0
		.amdhsa_exception_fp_ieee_overflow 0
		.amdhsa_exception_fp_ieee_underflow 0
		.amdhsa_exception_fp_ieee_inexact 0
		.amdhsa_exception_int_div_zero 0
	.end_amdhsa_kernel
	.section	.text._ZN9rocsolver6v33100L23getf2_npvt_small_kernelILi20E19rocblas_complex_numIfEiiPS3_EEvT1_T3_lS5_lPT2_S5_S5_,"axG",@progbits,_ZN9rocsolver6v33100L23getf2_npvt_small_kernelILi20E19rocblas_complex_numIfEiiPS3_EEvT1_T3_lS5_lPT2_S5_S5_,comdat
.Lfunc_end39:
	.size	_ZN9rocsolver6v33100L23getf2_npvt_small_kernelILi20E19rocblas_complex_numIfEiiPS3_EEvT1_T3_lS5_lPT2_S5_S5_, .Lfunc_end39-_ZN9rocsolver6v33100L23getf2_npvt_small_kernelILi20E19rocblas_complex_numIfEiiPS3_EEvT1_T3_lS5_lPT2_S5_S5_
                                        ; -- End function
	.set _ZN9rocsolver6v33100L23getf2_npvt_small_kernelILi20E19rocblas_complex_numIfEiiPS3_EEvT1_T3_lS5_lPT2_S5_S5_.num_vgpr, 140
	.set _ZN9rocsolver6v33100L23getf2_npvt_small_kernelILi20E19rocblas_complex_numIfEiiPS3_EEvT1_T3_lS5_lPT2_S5_S5_.num_agpr, 0
	.set _ZN9rocsolver6v33100L23getf2_npvt_small_kernelILi20E19rocblas_complex_numIfEiiPS3_EEvT1_T3_lS5_lPT2_S5_S5_.numbered_sgpr, 15
	.set _ZN9rocsolver6v33100L23getf2_npvt_small_kernelILi20E19rocblas_complex_numIfEiiPS3_EEvT1_T3_lS5_lPT2_S5_S5_.num_named_barrier, 0
	.set _ZN9rocsolver6v33100L23getf2_npvt_small_kernelILi20E19rocblas_complex_numIfEiiPS3_EEvT1_T3_lS5_lPT2_S5_S5_.private_seg_size, 0
	.set _ZN9rocsolver6v33100L23getf2_npvt_small_kernelILi20E19rocblas_complex_numIfEiiPS3_EEvT1_T3_lS5_lPT2_S5_S5_.uses_vcc, 1
	.set _ZN9rocsolver6v33100L23getf2_npvt_small_kernelILi20E19rocblas_complex_numIfEiiPS3_EEvT1_T3_lS5_lPT2_S5_S5_.uses_flat_scratch, 0
	.set _ZN9rocsolver6v33100L23getf2_npvt_small_kernelILi20E19rocblas_complex_numIfEiiPS3_EEvT1_T3_lS5_lPT2_S5_S5_.has_dyn_sized_stack, 0
	.set _ZN9rocsolver6v33100L23getf2_npvt_small_kernelILi20E19rocblas_complex_numIfEiiPS3_EEvT1_T3_lS5_lPT2_S5_S5_.has_recursion, 0
	.set _ZN9rocsolver6v33100L23getf2_npvt_small_kernelILi20E19rocblas_complex_numIfEiiPS3_EEvT1_T3_lS5_lPT2_S5_S5_.has_indirect_call, 0
	.section	.AMDGPU.csdata,"",@progbits
; Kernel info:
; codeLenInByte = 25336
; TotalNumSgprs: 17
; NumVgprs: 140
; ScratchSize: 0
; MemoryBound: 0
; FloatMode: 240
; IeeeMode: 1
; LDSByteSize: 0 bytes/workgroup (compile time only)
; SGPRBlocks: 0
; VGPRBlocks: 8
; NumSGPRsForWavesPerEU: 17
; NumVGPRsForWavesPerEU: 140
; NamedBarCnt: 0
; Occupancy: 7
; WaveLimiterHint : 0
; COMPUTE_PGM_RSRC2:SCRATCH_EN: 0
; COMPUTE_PGM_RSRC2:USER_SGPR: 2
; COMPUTE_PGM_RSRC2:TRAP_HANDLER: 0
; COMPUTE_PGM_RSRC2:TGID_X_EN: 1
; COMPUTE_PGM_RSRC2:TGID_Y_EN: 1
; COMPUTE_PGM_RSRC2:TGID_Z_EN: 0
; COMPUTE_PGM_RSRC2:TIDIG_COMP_CNT: 1
	.section	.text._ZN9rocsolver6v33100L18getf2_small_kernelILi21E19rocblas_complex_numIfEiiPS3_EEvT1_T3_lS5_lPS5_llPT2_S5_S5_S7_l,"axG",@progbits,_ZN9rocsolver6v33100L18getf2_small_kernelILi21E19rocblas_complex_numIfEiiPS3_EEvT1_T3_lS5_lPS5_llPT2_S5_S5_S7_l,comdat
	.globl	_ZN9rocsolver6v33100L18getf2_small_kernelILi21E19rocblas_complex_numIfEiiPS3_EEvT1_T3_lS5_lPS5_llPT2_S5_S5_S7_l ; -- Begin function _ZN9rocsolver6v33100L18getf2_small_kernelILi21E19rocblas_complex_numIfEiiPS3_EEvT1_T3_lS5_lPS5_llPT2_S5_S5_S7_l
	.p2align	8
	.type	_ZN9rocsolver6v33100L18getf2_small_kernelILi21E19rocblas_complex_numIfEiiPS3_EEvT1_T3_lS5_lPS5_llPT2_S5_S5_S7_l,@function
_ZN9rocsolver6v33100L18getf2_small_kernelILi21E19rocblas_complex_numIfEiiPS3_EEvT1_T3_lS5_lPS5_llPT2_S5_S5_S7_l: ; @_ZN9rocsolver6v33100L18getf2_small_kernelILi21E19rocblas_complex_numIfEiiPS3_EEvT1_T3_lS5_lPS5_llPT2_S5_S5_S7_l
; %bb.0:
	s_clause 0x1
	s_load_u16 s2, s[0:1], 0x6e
	s_load_b64 s[12:13], s[0:1], 0x48
	s_bfe_u32 s3, ttmp6, 0x40010
	s_bfe_u32 s4, ttmp6, 0x40004
	s_add_co_i32 s3, s3, 1
	s_getreg_b32 s5, hwreg(HW_REG_IB_STS2, 6, 4)
	s_mul_i32 s3, ttmp7, s3
	v_bfe_u32 v50, v0, 10, 10
	s_add_co_i32 s4, s4, s3
	s_cmp_eq_u32 s5, 0
	s_cselect_b32 s3, ttmp7, s4
	s_wait_kmcnt 0x0
	v_mad_u32 v2, s3, s2, v50
	s_mov_b32 s2, exec_lo
	s_delay_alu instid0(VALU_DEP_1)
	v_cmpx_gt_i32_e64 s12, v2
	s_cbranch_execz .LBB40_442
; %bb.1:
	s_load_b128 s[4:7], s[0:1], 0x50
	v_mov_b64_e32 v[36:37], 0
	v_ashrrev_i32_e32 v3, 31, v2
	s_wait_kmcnt 0x0
	s_cmp_eq_u64 s[4:5], 0
	s_cselect_b32 s12, -1, 0
	s_delay_alu instid0(SALU_CYCLE_1)
	s_and_b32 vcc_lo, exec_lo, s12
	s_cbranch_vccnz .LBB40_3
; %bb.2:
	v_mul_u64_e32 v[4:5], s[6:7], v[2:3]
	s_delay_alu instid0(VALU_DEP_1)
	v_lshl_add_u64 v[36:37], v[4:5], 2, s[4:5]
.LBB40_3:
	s_clause 0x1
	s_load_b32 s2, s[0:1], 0x18
	s_load_b256 s[4:11], s[0:1], 0x20
	v_and_b32_e32 v55, 0x3ff, v0
	s_clause 0x1
	s_load_b128 s[16:19], s[0:1], 0x8
	s_load_b32 s14, s[0:1], 0x0
	v_mov_b32_e32 v49, 0
	s_wait_kmcnt 0x0
	v_add3_u32 v4, s2, s2, v55
	v_mul_u64_e32 v[0:1], s[4:5], v[2:3]
	v_lshlrev_b32_e32 v48, 3, v55
	s_ashr_i32 s3, s2, 31
	s_max_i32 s4, s14, 21
	v_dual_add_nc_u32 v6, s2, v4 :: v_dual_ashrrev_i32 v5, 31, v4
	s_cmp_lt_i32 s14, 2
	s_delay_alu instid0(VALU_DEP_1) | instskip(NEXT) | instid1(VALU_DEP_1)
	v_add_nc_u32_e32 v8, s2, v6
	v_add_nc_u32_e32 v10, s2, v8
	s_delay_alu instid0(VALU_DEP_1) | instskip(NEXT) | instid1(VALU_DEP_1)
	v_add_nc_u32_e32 v12, s2, v10
	v_dual_add_nc_u32 v14, s2, v12 :: v_dual_ashrrev_i32 v13, 31, v12
	s_delay_alu instid0(VALU_DEP_1) | instskip(SKIP_3) | instid1(VALU_DEP_4)
	v_dual_ashrrev_i32 v9, 31, v8 :: v_dual_add_nc_u32 v16, s2, v14
	v_ashrrev_i32_e32 v15, 31, v14
	v_ashrrev_i32_e32 v11, 31, v10
	v_lshl_add_u64 v[0:1], v[0:1], 3, s[16:17]
	v_dual_add_nc_u32 v18, s2, v16 :: v_dual_ashrrev_i32 v17, 31, v16
	s_delay_alu instid0(VALU_DEP_2) | instskip(NEXT) | instid1(VALU_DEP_2)
	v_lshl_add_u64 v[0:1], s[18:19], 3, v[0:1]
	v_add_nc_u32_e32 v20, s2, v18
	v_ashrrev_i32_e32 v7, 31, v6
	s_delay_alu instid0(VALU_DEP_3) | instskip(SKIP_1) | instid1(VALU_DEP_4)
	v_add_nc_u64_e32 v[26:27], v[0:1], v[48:49]
	v_lshl_add_u64 v[28:29], v[4:5], 3, v[0:1]
	v_dual_add_nc_u32 v22, s2, v20 :: v_dual_ashrrev_i32 v21, 31, v20
	v_lshl_add_u64 v[4:5], v[8:9], 3, v[0:1]
	v_lshl_add_u64 v[38:39], v[16:17], 3, v[0:1]
	v_lshl_add_u64 v[30:31], v[6:7], 3, v[0:1]
	s_delay_alu instid0(VALU_DEP_4)
	v_add_nc_u32_e32 v24, s2, v22
	v_ashrrev_i32_e32 v19, 31, v18
	v_ashrrev_i32_e32 v23, 31, v22
	v_lshl_add_u64 v[6:7], v[10:11], 3, v[0:1]
	v_lshl_add_u64 v[8:9], v[12:13], 3, v[0:1]
	v_add_nc_u32_e32 v32, s2, v24
	v_lshl_add_u64 v[40:41], v[18:19], 3, v[0:1]
	v_lshl_add_u64 v[20:21], v[20:21], 3, v[0:1]
	;; [unrolled: 1-line block ×4, first 2 shown]
	v_add_nc_u32_e32 v34, s2, v32
	v_lshl_add_u64 v[56:57], s[2:3], 3, v[26:27]
	s_clause 0xb
	global_load_b64 v[18:19], v[4:5], off
	global_load_b64 v[14:15], v[6:7], off
	;; [unrolled: 1-line block ×12, first 2 shown]
	v_dual_add_nc_u32 v46, s2, v34 :: v_dual_ashrrev_i32 v25, 31, v24
	v_dual_ashrrev_i32 v33, 31, v32 :: v_dual_ashrrev_i32 v35, 31, v34
	s_delay_alu instid0(VALU_DEP_2) | instskip(SKIP_1) | instid1(VALU_DEP_3)
	v_add_nc_u32_e32 v52, s2, v46
	s_wait_xcnt 0x1
	v_lshl_add_u64 v[30:31], v[24:25], 3, v[0:1]
	s_delay_alu instid0(VALU_DEP_3) | instskip(SKIP_2) | instid1(VALU_DEP_1)
	v_lshl_add_u64 v[32:33], v[32:33], 3, v[0:1]
	v_lshl_add_u64 v[34:35], v[34:35], 3, v[0:1]
	v_dual_add_nc_u32 v58, s2, v52 :: v_dual_ashrrev_i32 v53, 31, v52
	v_dual_ashrrev_i32 v59, 31, v58 :: v_dual_add_nc_u32 v20, s2, v58
	v_ashrrev_i32_e32 v47, 31, v46
	s_delay_alu instid0(VALU_DEP_3) | instskip(NEXT) | instid1(VALU_DEP_3)
	v_lshl_add_u64 v[52:53], v[52:53], 3, v[0:1]
	v_lshl_add_u64 v[58:59], v[58:59], 3, v[0:1]
	s_delay_alu instid0(VALU_DEP_4) | instskip(NEXT) | instid1(VALU_DEP_4)
	v_add_nc_u32_e32 v56, s2, v20
	v_lshl_add_u64 v[46:47], v[46:47], 3, v[0:1]
	s_clause 0x3
	global_load_b64 v[28:29], v[30:31], off
	global_load_b64 v[24:25], v[32:33], off
	;; [unrolled: 1-line block ×4, first 2 shown]
	s_wait_xcnt 0x3
	v_add_nc_u32_e32 v30, s2, v56
	v_ashrrev_i32_e32 v21, 31, v20
	s_delay_alu instid0(VALU_DEP_2) | instskip(NEXT) | instid1(VALU_DEP_2)
	v_dual_ashrrev_i32 v57, 31, v56 :: v_dual_ashrrev_i32 v31, 31, v30
	v_lshl_add_u64 v[60:61], v[20:21], 3, v[0:1]
	s_delay_alu instid0(VALU_DEP_2) | instskip(NEXT) | instid1(VALU_DEP_3)
	v_lshl_add_u64 v[56:57], v[56:57], 3, v[0:1]
	v_lshl_add_u64 v[62:63], v[30:31], 3, v[0:1]
	s_clause 0x4
	global_load_b64 v[20:21], v[52:53], off
	global_load_b64 v[34:35], v[58:59], off
	global_load_b64 v[32:33], v[60:61], off
	global_load_b64 v[30:31], v[56:57], off
	global_load_b64 v[46:47], v[62:63], off
	s_wait_xcnt 0x4
	v_mul_lo_u32 v53, s4, v50
	s_load_b64 s[4:5], s[0:1], 0x40
	s_delay_alu instid0(VALU_DEP_1) | instskip(NEXT) | instid1(VALU_DEP_1)
	v_lshl_add_u32 v52, v53, 3, 0
	v_dual_lshlrev_b32 v53, 3, v53 :: v_dual_add_nc_u32 v48, v52, v48
	s_wait_loadcnt 0x9
	ds_store_b64 v48, v[44:45]
	s_wait_loadcnt_dscnt 0x0
	s_barrier_signal -1
	s_barrier_wait -1
	ds_load_b64 v[50:51], v52
	s_cbranch_scc1 .LBB40_6
; %bb.4:
	v_add3_u32 v48, v53, 0, 8
	v_mov_b32_e32 v49, 0
	s_wait_xcnt 0x0
	s_mov_b32 s0, 1
.LBB40_5:                               ; =>This Inner Loop Header: Depth=1
	ds_load_b64 v[56:57], v48
	s_wait_dscnt 0x1
	v_cmp_gt_f32_e32 vcc_lo, 0, v50
	v_cndmask_b32_e64 v58, v50, -v50, vcc_lo
	v_cmp_gt_f32_e32 vcc_lo, 0, v51
	v_cndmask_b32_e64 v60, v51, -v51, vcc_lo
	s_wait_dscnt 0x0
	v_cmp_gt_f32_e32 vcc_lo, 0, v56
	v_cndmask_b32_e64 v59, v56, -v56, vcc_lo
	v_cmp_gt_f32_e32 vcc_lo, 0, v57
	v_cndmask_b32_e64 v61, v57, -v57, vcc_lo
	s_delay_alu instid0(VALU_DEP_1) | instskip(NEXT) | instid1(VALU_DEP_1)
	v_pk_add_f32 v[58:59], v[58:59], v[60:61]
	v_cmp_lt_f32_e32 vcc_lo, v58, v59
	v_dual_cndmask_b32 v51, v51, v57 :: v_dual_add_nc_u32 v48, 8, v48
	v_cndmask_b32_e32 v50, v50, v56, vcc_lo
	v_cndmask_b32_e64 v49, v49, s0, vcc_lo
	s_add_co_i32 s0, s0, 1
	s_delay_alu instid0(SALU_CYCLE_1)
	s_cmp_eq_u32 s14, s0
	s_cbranch_scc0 .LBB40_5
.LBB40_6:
	s_wait_dscnt 0x0
	v_cmp_neq_f32_e32 vcc_lo, 0, v50
	s_wait_xcnt 0x0
	v_cmp_neq_f32_e64 s0, 0, v51
	v_dual_mov_b32 v54, 1 :: v_dual_mov_b32 v57, 1
	s_or_b32 s1, vcc_lo, s0
	s_delay_alu instid0(SALU_CYCLE_1)
	s_and_saveexec_b32 s0, s1
	s_cbranch_execz .LBB40_12
; %bb.7:
	v_cmp_ngt_f32_e64 s1, |v50|, |v51|
	s_and_saveexec_b32 s15, s1
	s_delay_alu instid0(SALU_CYCLE_1)
	s_xor_b32 s1, exec_lo, s15
	s_cbranch_execz .LBB40_9
; %bb.8:
	v_div_scale_f32 v48, null, v51, v51, v50
	v_div_scale_f32 v57, vcc_lo, v50, v51, v50
	s_delay_alu instid0(VALU_DEP_2) | instskip(SKIP_1) | instid1(TRANS32_DEP_1)
	v_rcp_f32_e32 v54, v48
	v_nop
	v_fma_f32 v56, -v48, v54, 1.0
	s_delay_alu instid0(VALU_DEP_1) | instskip(NEXT) | instid1(VALU_DEP_1)
	v_fmac_f32_e32 v54, v56, v54
	v_mul_f32_e32 v56, v57, v54
	s_delay_alu instid0(VALU_DEP_1) | instskip(NEXT) | instid1(VALU_DEP_1)
	v_fma_f32 v58, -v48, v56, v57
	v_fmac_f32_e32 v56, v58, v54
	s_delay_alu instid0(VALU_DEP_1) | instskip(NEXT) | instid1(VALU_DEP_1)
	v_fma_f32 v48, -v48, v56, v57
	v_div_fmas_f32 v48, v48, v54, v56
	s_delay_alu instid0(VALU_DEP_1) | instskip(NEXT) | instid1(VALU_DEP_1)
	v_div_fixup_f32 v48, v48, v51, v50
	v_fmac_f32_e32 v51, v50, v48
	s_delay_alu instid0(VALU_DEP_1) | instskip(SKIP_1) | instid1(VALU_DEP_2)
	v_div_scale_f32 v50, null, v51, v51, 1.0
	v_div_scale_f32 v57, vcc_lo, 1.0, v51, 1.0
	v_rcp_f32_e32 v54, v50
	v_nop
	s_delay_alu instid0(TRANS32_DEP_1) | instskip(NEXT) | instid1(VALU_DEP_1)
	v_fma_f32 v56, -v50, v54, 1.0
	v_fmac_f32_e32 v54, v56, v54
	s_delay_alu instid0(VALU_DEP_1) | instskip(NEXT) | instid1(VALU_DEP_1)
	v_mul_f32_e32 v56, v57, v54
	v_fma_f32 v58, -v50, v56, v57
	s_delay_alu instid0(VALU_DEP_1) | instskip(NEXT) | instid1(VALU_DEP_1)
	v_fmac_f32_e32 v56, v58, v54
	v_fma_f32 v50, -v50, v56, v57
	s_delay_alu instid0(VALU_DEP_1) | instskip(NEXT) | instid1(VALU_DEP_1)
	v_div_fmas_f32 v50, v50, v54, v56
	v_div_fixup_f32 v51, v50, v51, 1.0
	s_delay_alu instid0(VALU_DEP_1)
	v_mul_f32_e32 v50, v48, v51
	v_xor_b32_e32 v51, 0x80000000, v51
.LBB40_9:
	s_and_not1_saveexec_b32 s1, s1
	s_cbranch_execz .LBB40_11
; %bb.10:
	s_delay_alu instid0(VALU_DEP_1) | instskip(SKIP_1) | instid1(VALU_DEP_2)
	v_div_scale_f32 v48, null, v50, v50, v51
	v_div_scale_f32 v57, vcc_lo, v51, v50, v51
	v_rcp_f32_e32 v54, v48
	v_nop
	s_delay_alu instid0(TRANS32_DEP_1) | instskip(NEXT) | instid1(VALU_DEP_1)
	v_fma_f32 v56, -v48, v54, 1.0
	v_fmac_f32_e32 v54, v56, v54
	s_delay_alu instid0(VALU_DEP_1) | instskip(NEXT) | instid1(VALU_DEP_1)
	v_mul_f32_e32 v56, v57, v54
	v_fma_f32 v58, -v48, v56, v57
	s_delay_alu instid0(VALU_DEP_1) | instskip(NEXT) | instid1(VALU_DEP_1)
	v_fmac_f32_e32 v56, v58, v54
	v_fma_f32 v48, -v48, v56, v57
	s_delay_alu instid0(VALU_DEP_1) | instskip(NEXT) | instid1(VALU_DEP_1)
	v_div_fmas_f32 v48, v48, v54, v56
	v_div_fixup_f32 v48, v48, v50, v51
	s_delay_alu instid0(VALU_DEP_1) | instskip(NEXT) | instid1(VALU_DEP_1)
	v_fmac_f32_e32 v50, v51, v48
	v_div_scale_f32 v51, null, v50, v50, 1.0
	s_delay_alu instid0(VALU_DEP_1) | instskip(SKIP_1) | instid1(TRANS32_DEP_1)
	v_rcp_f32_e32 v54, v51
	v_nop
	v_fma_f32 v56, -v51, v54, 1.0
	s_delay_alu instid0(VALU_DEP_1) | instskip(SKIP_1) | instid1(VALU_DEP_1)
	v_fmac_f32_e32 v54, v56, v54
	v_div_scale_f32 v56, vcc_lo, 1.0, v50, 1.0
	v_mul_f32_e32 v57, v56, v54
	s_delay_alu instid0(VALU_DEP_1) | instskip(NEXT) | instid1(VALU_DEP_1)
	v_fma_f32 v58, -v51, v57, v56
	v_fmac_f32_e32 v57, v58, v54
	s_delay_alu instid0(VALU_DEP_1) | instskip(NEXT) | instid1(VALU_DEP_1)
	v_fma_f32 v51, -v51, v57, v56
	v_div_fmas_f32 v51, v51, v54, v57
	s_delay_alu instid0(VALU_DEP_1) | instskip(NEXT) | instid1(VALU_DEP_1)
	v_div_fixup_f32 v50, v51, v50, 1.0
	v_mul_f32_e64 v51, v48, -v50
.LBB40_11:
	s_or_b32 exec_lo, exec_lo, s1
	v_dual_mov_b32 v57, 0 :: v_dual_mov_b32 v54, 2
.LBB40_12:
	s_or_b32 exec_lo, exec_lo, s0
	s_delay_alu instid0(SALU_CYCLE_1)
	s_mov_b32 s0, exec_lo
	v_cmpx_ne_u32_e64 v55, v49
	s_xor_b32 s0, exec_lo, s0
	s_cbranch_execz .LBB40_18
; %bb.13:
	s_mov_b32 s1, exec_lo
	v_cmpx_eq_u32_e32 0, v55
	s_cbranch_execz .LBB40_17
; %bb.14:
	v_cmp_ne_u32_e32 vcc_lo, 0, v49
	s_xor_b32 s15, s12, -1
	s_delay_alu instid0(SALU_CYCLE_1) | instskip(NEXT) | instid1(SALU_CYCLE_1)
	s_and_b32 s16, s15, vcc_lo
	s_and_saveexec_b32 s15, s16
	s_cbranch_execz .LBB40_16
; %bb.15:
	v_dual_mov_b32 v58, v49 :: v_dual_ashrrev_i32 v59, 31, v49
	s_delay_alu instid0(VALU_DEP_1)
	v_lshl_add_u64 v[58:59], v[58:59], 2, v[36:37]
	s_clause 0x1
	global_load_b32 v48, v[58:59], off
	global_load_b32 v55, v[36:37], off
	s_wait_loadcnt 0x1
	global_store_b32 v[36:37], v48, off
	s_wait_loadcnt 0x0
	global_store_b32 v[58:59], v55, off
.LBB40_16:
	s_wait_xcnt 0x0
	s_or_b32 exec_lo, exec_lo, s15
	v_mov_b32_e32 v55, v49
.LBB40_17:
	s_or_b32 exec_lo, exec_lo, s1
.LBB40_18:
	s_or_saveexec_b32 s0, s0
	s_delay_alu instid0(VALU_DEP_1)
	v_mov_b32_e32 v56, v55
	s_xor_b32 exec_lo, exec_lo, s0
	s_cbranch_execz .LBB40_20
; %bb.19:
	v_mov_b32_e32 v56, 0
	ds_store_2addr_b64 v52, v[40:41], v[42:43] offset0:1 offset1:2
	ds_store_2addr_b64 v52, v[38:39], v[18:19] offset0:3 offset1:4
	ds_store_2addr_b64 v52, v[14:15], v[16:17] offset0:5 offset1:6
	ds_store_2addr_b64 v52, v[12:13], v[10:11] offset0:7 offset1:8
	ds_store_2addr_b64 v52, v[6:7], v[8:9] offset0:9 offset1:10
	ds_store_2addr_b64 v52, v[4:5], v[28:29] offset0:11 offset1:12
	ds_store_2addr_b64 v52, v[24:25], v[26:27] offset0:13 offset1:14
	ds_store_2addr_b64 v52, v[22:23], v[20:21] offset0:15 offset1:16
	ds_store_2addr_b64 v52, v[34:35], v[32:33] offset0:17 offset1:18
	ds_store_2addr_b64 v52, v[30:31], v[46:47] offset0:19 offset1:20
.LBB40_20:
	s_or_b32 exec_lo, exec_lo, s0
	s_delay_alu instid0(SALU_CYCLE_1)
	s_mov_b32 s0, exec_lo
	s_wait_storecnt_dscnt 0x0
	s_barrier_signal -1
	s_barrier_wait -1
	v_cmpx_lt_i32_e32 0, v56
	s_cbranch_execz .LBB40_22
; %bb.21:
	v_pk_mul_f32 v[58:59], v[50:51], v[44:45] op_sel:[1,1] op_sel_hi:[0,1]
	s_delay_alu instid0(VALU_DEP_1)
	v_pk_fma_f32 v[48:49], v[50:51], v[44:45], v[58:59] op_sel_hi:[1,0,1] neg_lo:[0,0,1] neg_hi:[0,0,1]
	v_pk_fma_f32 v[50:51], v[50:51], v[44:45], v[58:59] op_sel_hi:[1,0,1]
	ds_load_2addr_b64 v[58:61], v52 offset0:1 offset1:2
	v_dual_mov_b32 v44, v48 :: v_dual_mov_b32 v45, v51
	s_wait_dscnt 0x0
	v_pk_mul_f32 v[62:63], v[58:59], v[50:51] op_sel:[0,1]
	s_delay_alu instid0(VALU_DEP_1) | instskip(SKIP_1) | instid1(VALU_DEP_1)
	v_pk_fma_f32 v[64:65], v[58:59], v[48:49], v[62:63] op_sel:[0,0,1] op_sel_hi:[1,1,0] neg_lo:[0,0,1] neg_hi:[0,0,1]
	v_pk_fma_f32 v[58:59], v[58:59], v[48:49], v[62:63] op_sel:[0,0,1] op_sel_hi:[1,0,0]
	v_mov_b32_e32 v65, v59
	v_pk_mul_f32 v[58:59], v[60:61], v[50:51] op_sel:[0,1]
	s_delay_alu instid0(VALU_DEP_1) | instskip(SKIP_1) | instid1(VALU_DEP_1)
	v_pk_fma_f32 v[62:63], v[60:61], v[48:49], v[58:59] op_sel:[0,0,1] op_sel_hi:[1,1,0] neg_lo:[0,0,1] neg_hi:[0,0,1]
	v_pk_fma_f32 v[58:59], v[60:61], v[48:49], v[58:59] op_sel:[0,0,1] op_sel_hi:[1,0,0]
	v_mov_b32_e32 v63, v59
	ds_load_2addr_b64 v[58:61], v52 offset0:3 offset1:4
	v_pk_add_f32 v[40:41], v[40:41], v[64:65] neg_lo:[0,1] neg_hi:[0,1]
	v_pk_add_f32 v[42:43], v[42:43], v[62:63] neg_lo:[0,1] neg_hi:[0,1]
	s_wait_dscnt 0x0
	v_pk_mul_f32 v[62:63], v[58:59], v[50:51] op_sel:[0,1]
	s_delay_alu instid0(VALU_DEP_1) | instskip(SKIP_2) | instid1(VALU_DEP_2)
	v_pk_fma_f32 v[64:65], v[58:59], v[48:49], v[62:63] op_sel:[0,0,1] op_sel_hi:[1,1,0] neg_lo:[0,0,1] neg_hi:[0,0,1]
	v_pk_fma_f32 v[58:59], v[58:59], v[48:49], v[62:63] op_sel:[0,0,1] op_sel_hi:[1,0,0]
	v_dual_mul_f32 v62, v61, v51 :: v_dual_mov_b32 v58, v61
	v_dual_mov_b32 v65, v59 :: v_dual_mov_b32 v59, v60
	s_delay_alu instid0(VALU_DEP_2) | instskip(SKIP_1) | instid1(VALU_DEP_3)
	v_pk_fma_f32 v[62:63], v[60:61], v[44:45], v[62:63] op_sel_hi:[1,1,0] neg_lo:[0,0,1] neg_hi:[0,0,1]
	v_mul_f32_e32 v60, v61, v48
	v_pk_add_f32 v[38:39], v[38:39], v[64:65] neg_lo:[0,1] neg_hi:[0,1]
	s_delay_alu instid0(VALU_DEP_2) | instskip(NEXT) | instid1(VALU_DEP_1)
	v_pk_fma_f32 v[58:59], v[58:59], v[44:45], v[60:61] op_sel_hi:[1,1,0]
	v_mov_b32_e32 v63, v59
	ds_load_2addr_b64 v[58:61], v52 offset0:5 offset1:6
	v_pk_add_f32 v[18:19], v[18:19], v[62:63] neg_lo:[0,1] neg_hi:[0,1]
	s_wait_dscnt 0x0
	v_pk_mul_f32 v[62:63], v[58:59], v[50:51] op_sel:[0,1]
	s_delay_alu instid0(VALU_DEP_1) | instskip(SKIP_1) | instid1(VALU_DEP_1)
	v_pk_fma_f32 v[64:65], v[58:59], v[48:49], v[62:63] op_sel:[0,0,1] op_sel_hi:[1,1,0] neg_lo:[0,0,1] neg_hi:[0,0,1]
	v_pk_fma_f32 v[58:59], v[58:59], v[48:49], v[62:63] op_sel:[0,0,1] op_sel_hi:[1,0,0]
	v_mov_b32_e32 v65, v59
	v_pk_mul_f32 v[58:59], v[60:61], v[50:51] op_sel:[0,1]
	s_delay_alu instid0(VALU_DEP_1) | instskip(SKIP_1) | instid1(VALU_DEP_1)
	v_pk_fma_f32 v[62:63], v[60:61], v[48:49], v[58:59] op_sel:[0,0,1] op_sel_hi:[1,1,0] neg_lo:[0,0,1] neg_hi:[0,0,1]
	v_pk_fma_f32 v[58:59], v[60:61], v[48:49], v[58:59] op_sel:[0,0,1] op_sel_hi:[1,0,0]
	v_mov_b32_e32 v63, v59
	ds_load_2addr_b64 v[58:61], v52 offset0:7 offset1:8
	v_pk_add_f32 v[14:15], v[14:15], v[64:65] neg_lo:[0,1] neg_hi:[0,1]
	v_pk_add_f32 v[16:17], v[16:17], v[62:63] neg_lo:[0,1] neg_hi:[0,1]
	s_wait_dscnt 0x0
	v_pk_mul_f32 v[62:63], v[58:59], v[50:51] op_sel:[0,1]
	s_delay_alu instid0(VALU_DEP_1) | instskip(SKIP_1) | instid1(VALU_DEP_1)
	v_pk_fma_f32 v[64:65], v[58:59], v[48:49], v[62:63] op_sel:[0,0,1] op_sel_hi:[1,1,0] neg_lo:[0,0,1] neg_hi:[0,0,1]
	v_pk_fma_f32 v[58:59], v[58:59], v[48:49], v[62:63] op_sel:[0,0,1] op_sel_hi:[1,0,0]
	v_mov_b32_e32 v65, v59
	v_pk_mul_f32 v[58:59], v[60:61], v[50:51] op_sel:[0,1]
	s_delay_alu instid0(VALU_DEP_1) | instskip(SKIP_1) | instid1(VALU_DEP_1)
	v_pk_fma_f32 v[62:63], v[60:61], v[48:49], v[58:59] op_sel:[0,0,1] op_sel_hi:[1,1,0] neg_lo:[0,0,1] neg_hi:[0,0,1]
	v_pk_fma_f32 v[58:59], v[60:61], v[48:49], v[58:59] op_sel:[0,0,1] op_sel_hi:[1,0,0]
	v_mov_b32_e32 v63, v59
	ds_load_2addr_b64 v[58:61], v52 offset0:9 offset1:10
	v_pk_add_f32 v[12:13], v[12:13], v[64:65] neg_lo:[0,1] neg_hi:[0,1]
	v_pk_add_f32 v[10:11], v[10:11], v[62:63] neg_lo:[0,1] neg_hi:[0,1]
	s_wait_dscnt 0x0
	v_dual_mul_f32 v62, v59, v51 :: v_dual_mul_f32 v64, v59, v48
	s_delay_alu instid0(VALU_DEP_1) | instskip(NEXT) | instid1(VALU_DEP_2)
	v_pk_fma_f32 v[62:63], v[58:59], v[44:45], v[62:63] op_sel_hi:[1,1,0] neg_lo:[0,0,1] neg_hi:[0,0,1]
	v_pk_fma_f32 v[58:59], v[58:59], v[44:45], v[64:65] op_sel:[1,0,0] op_sel_hi:[0,1,0]
	s_delay_alu instid0(VALU_DEP_1) | instskip(SKIP_1) | instid1(VALU_DEP_2)
	v_mov_b32_e32 v63, v59
	v_pk_mul_f32 v[58:59], v[60:61], v[50:51] op_sel:[0,1]
	v_pk_add_f32 v[6:7], v[6:7], v[62:63] neg_lo:[0,1] neg_hi:[0,1]
	s_delay_alu instid0(VALU_DEP_2) | instskip(SKIP_1) | instid1(VALU_DEP_1)
	v_pk_fma_f32 v[62:63], v[60:61], v[48:49], v[58:59] op_sel:[0,0,1] op_sel_hi:[1,1,0] neg_lo:[0,0,1] neg_hi:[0,0,1]
	v_pk_fma_f32 v[58:59], v[60:61], v[48:49], v[58:59] op_sel:[0,0,1] op_sel_hi:[1,0,0]
	v_mov_b32_e32 v63, v59
	ds_load_2addr_b64 v[58:61], v52 offset0:11 offset1:12
	v_pk_add_f32 v[8:9], v[8:9], v[62:63] neg_lo:[0,1] neg_hi:[0,1]
	s_wait_dscnt 0x0
	v_pk_mul_f32 v[62:63], v[58:59], v[50:51] op_sel:[0,1]
	s_delay_alu instid0(VALU_DEP_1) | instskip(SKIP_1) | instid1(VALU_DEP_1)
	v_pk_fma_f32 v[64:65], v[58:59], v[48:49], v[62:63] op_sel:[0,0,1] op_sel_hi:[1,1,0] neg_lo:[0,0,1] neg_hi:[0,0,1]
	v_pk_fma_f32 v[58:59], v[58:59], v[48:49], v[62:63] op_sel:[0,0,1] op_sel_hi:[1,0,0]
	v_mov_b32_e32 v65, v59
	v_pk_mul_f32 v[58:59], v[60:61], v[50:51] op_sel:[0,1]
	s_delay_alu instid0(VALU_DEP_2) | instskip(NEXT) | instid1(VALU_DEP_2)
	v_pk_add_f32 v[4:5], v[4:5], v[64:65] neg_lo:[0,1] neg_hi:[0,1]
	v_pk_fma_f32 v[62:63], v[60:61], v[48:49], v[58:59] op_sel:[0,0,1] op_sel_hi:[1,1,0] neg_lo:[0,0,1] neg_hi:[0,0,1]
	v_pk_fma_f32 v[58:59], v[60:61], v[48:49], v[58:59] op_sel:[0,0,1] op_sel_hi:[1,0,0]
	s_delay_alu instid0(VALU_DEP_1) | instskip(SKIP_4) | instid1(VALU_DEP_1)
	v_mov_b32_e32 v63, v59
	ds_load_2addr_b64 v[58:61], v52 offset0:13 offset1:14
	v_pk_add_f32 v[28:29], v[28:29], v[62:63] neg_lo:[0,1] neg_hi:[0,1]
	s_wait_dscnt 0x0
	v_pk_mul_f32 v[62:63], v[58:59], v[50:51] op_sel:[0,1]
	v_pk_fma_f32 v[64:65], v[58:59], v[48:49], v[62:63] op_sel:[0,0,1] op_sel_hi:[1,1,0] neg_lo:[0,0,1] neg_hi:[0,0,1]
	v_pk_fma_f32 v[58:59], v[58:59], v[48:49], v[62:63] op_sel:[0,0,1] op_sel_hi:[1,0,0]
	v_dual_mul_f32 v62, v61, v51 :: v_dual_mov_b32 v58, v61
	s_delay_alu instid0(VALU_DEP_2) | instskip(NEXT) | instid1(VALU_DEP_2)
	v_dual_mov_b32 v65, v59 :: v_dual_mov_b32 v59, v60
	v_pk_fma_f32 v[62:63], v[60:61], v[44:45], v[62:63] op_sel_hi:[1,1,0] neg_lo:[0,0,1] neg_hi:[0,0,1]
	v_mul_f32_e32 v60, v61, v48
	s_delay_alu instid0(VALU_DEP_3) | instskip(NEXT) | instid1(VALU_DEP_2)
	v_pk_add_f32 v[24:25], v[24:25], v[64:65] neg_lo:[0,1] neg_hi:[0,1]
	v_pk_fma_f32 v[58:59], v[58:59], v[44:45], v[60:61] op_sel_hi:[1,1,0]
	s_delay_alu instid0(VALU_DEP_1) | instskip(SKIP_4) | instid1(VALU_DEP_1)
	v_mov_b32_e32 v63, v59
	ds_load_2addr_b64 v[58:61], v52 offset0:15 offset1:16
	v_pk_add_f32 v[26:27], v[26:27], v[62:63] neg_lo:[0,1] neg_hi:[0,1]
	s_wait_dscnt 0x0
	v_pk_mul_f32 v[62:63], v[58:59], v[50:51] op_sel:[0,1]
	v_pk_fma_f32 v[64:65], v[58:59], v[48:49], v[62:63] op_sel:[0,0,1] op_sel_hi:[1,1,0] neg_lo:[0,0,1] neg_hi:[0,0,1]
	v_pk_fma_f32 v[58:59], v[58:59], v[48:49], v[62:63] op_sel:[0,0,1] op_sel_hi:[1,0,0]
	s_delay_alu instid0(VALU_DEP_1) | instskip(SKIP_1) | instid1(VALU_DEP_1)
	v_mov_b32_e32 v65, v59
	v_pk_mul_f32 v[58:59], v[60:61], v[50:51] op_sel:[0,1]
	v_pk_fma_f32 v[62:63], v[60:61], v[48:49], v[58:59] op_sel:[0,0,1] op_sel_hi:[1,1,0] neg_lo:[0,0,1] neg_hi:[0,0,1]
	v_pk_fma_f32 v[58:59], v[60:61], v[48:49], v[58:59] op_sel:[0,0,1] op_sel_hi:[1,0,0]
	s_delay_alu instid0(VALU_DEP_1)
	v_mov_b32_e32 v63, v59
	ds_load_2addr_b64 v[58:61], v52 offset0:17 offset1:18
	v_pk_add_f32 v[22:23], v[22:23], v[64:65] neg_lo:[0,1] neg_hi:[0,1]
	v_pk_add_f32 v[20:21], v[20:21], v[62:63] neg_lo:[0,1] neg_hi:[0,1]
	s_wait_dscnt 0x0
	v_pk_mul_f32 v[62:63], v[58:59], v[50:51] op_sel:[0,1]
	s_delay_alu instid0(VALU_DEP_1) | instskip(SKIP_1) | instid1(VALU_DEP_1)
	v_pk_fma_f32 v[64:65], v[58:59], v[48:49], v[62:63] op_sel:[0,0,1] op_sel_hi:[1,1,0] neg_lo:[0,0,1] neg_hi:[0,0,1]
	v_pk_fma_f32 v[58:59], v[58:59], v[48:49], v[62:63] op_sel:[0,0,1] op_sel_hi:[1,0,0]
	v_mov_b32_e32 v65, v59
	v_pk_mul_f32 v[58:59], v[60:61], v[50:51] op_sel:[0,1]
	s_delay_alu instid0(VALU_DEP_1) | instskip(SKIP_1) | instid1(VALU_DEP_1)
	v_pk_fma_f32 v[62:63], v[60:61], v[48:49], v[58:59] op_sel:[0,0,1] op_sel_hi:[1,1,0] neg_lo:[0,0,1] neg_hi:[0,0,1]
	v_pk_fma_f32 v[58:59], v[60:61], v[48:49], v[58:59] op_sel:[0,0,1] op_sel_hi:[1,0,0]
	v_mov_b32_e32 v63, v59
	ds_load_2addr_b64 v[58:61], v52 offset0:19 offset1:20
	v_pk_add_f32 v[34:35], v[34:35], v[64:65] neg_lo:[0,1] neg_hi:[0,1]
	v_pk_add_f32 v[32:33], v[32:33], v[62:63] neg_lo:[0,1] neg_hi:[0,1]
	s_wait_dscnt 0x0
	v_dual_mul_f32 v62, v59, v51 :: v_dual_mul_f32 v64, v59, v48
	v_pk_mul_f32 v[50:51], v[60:61], v[50:51] op_sel:[0,1]
	s_delay_alu instid0(VALU_DEP_2) | instskip(NEXT) | instid1(VALU_DEP_3)
	v_pk_fma_f32 v[62:63], v[58:59], v[44:45], v[62:63] op_sel_hi:[1,1,0] neg_lo:[0,0,1] neg_hi:[0,0,1]
	v_pk_fma_f32 v[58:59], v[58:59], v[44:45], v[64:65] op_sel:[1,0,0] op_sel_hi:[0,1,0]
	s_delay_alu instid0(VALU_DEP_1) | instskip(NEXT) | instid1(VALU_DEP_4)
	v_mov_b32_e32 v63, v59
	v_pk_fma_f32 v[58:59], v[60:61], v[48:49], v[50:51] op_sel:[0,0,1] op_sel_hi:[1,1,0] neg_lo:[0,0,1] neg_hi:[0,0,1]
	v_pk_fma_f32 v[48:49], v[60:61], v[48:49], v[50:51] op_sel:[0,0,1] op_sel_hi:[1,0,0]
	s_delay_alu instid0(VALU_DEP_1) | instskip(NEXT) | instid1(VALU_DEP_4)
	v_mov_b32_e32 v59, v49
	v_pk_add_f32 v[30:31], v[30:31], v[62:63] neg_lo:[0,1] neg_hi:[0,1]
	s_delay_alu instid0(VALU_DEP_2)
	v_pk_add_f32 v[46:47], v[46:47], v[58:59] neg_lo:[0,1] neg_hi:[0,1]
.LBB40_22:
	s_or_b32 exec_lo, exec_lo, s0
	v_lshl_add_u32 v48, v56, 3, v52
	s_barrier_signal -1
	s_barrier_wait -1
	ds_store_b64 v48, v[40:41]
	s_wait_dscnt 0x0
	s_barrier_signal -1
	s_barrier_wait -1
	ds_load_b64 v[50:51], v52 offset:8
	v_mov_b32_e32 v48, 1
	s_cmp_lt_i32 s14, 3
	s_cbranch_scc1 .LBB40_25
; %bb.23:
	v_add3_u32 v49, v53, 0, 16
	v_mov_b32_e32 v48, 1
	s_mov_b32 s0, 2
.LBB40_24:                              ; =>This Inner Loop Header: Depth=1
	ds_load_b64 v[58:59], v49
	s_wait_dscnt 0x1
	v_cmp_gt_f32_e32 vcc_lo, 0, v50
	v_cndmask_b32_e64 v60, v50, -v50, vcc_lo
	v_cmp_gt_f32_e32 vcc_lo, 0, v51
	v_cndmask_b32_e64 v62, v51, -v51, vcc_lo
	s_wait_dscnt 0x0
	v_cmp_gt_f32_e32 vcc_lo, 0, v58
	v_cndmask_b32_e64 v61, v58, -v58, vcc_lo
	v_cmp_gt_f32_e32 vcc_lo, 0, v59
	v_cndmask_b32_e64 v63, v59, -v59, vcc_lo
	s_delay_alu instid0(VALU_DEP_1) | instskip(NEXT) | instid1(VALU_DEP_1)
	v_pk_add_f32 v[60:61], v[60:61], v[62:63]
	v_cmp_lt_f32_e32 vcc_lo, v60, v61
	v_dual_add_nc_u32 v49, 8, v49 :: v_dual_cndmask_b32 v51, v51, v59, vcc_lo
	v_cndmask_b32_e32 v50, v50, v58, vcc_lo
	v_cndmask_b32_e64 v48, v48, s0, vcc_lo
	s_add_co_i32 s0, s0, 1
	s_delay_alu instid0(SALU_CYCLE_1)
	s_cmp_lg_u32 s14, s0
	s_cbranch_scc1 .LBB40_24
.LBB40_25:
	s_wait_dscnt 0x0
	v_cmp_neq_f32_e32 vcc_lo, 0, v50
	v_cmp_neq_f32_e64 s0, 0, v51
	s_or_b32 s1, vcc_lo, s0
	s_delay_alu instid0(SALU_CYCLE_1)
	s_and_saveexec_b32 s0, s1
	s_cbranch_execz .LBB40_31
; %bb.26:
	v_cmp_ngt_f32_e64 s1, |v50|, |v51|
	s_and_saveexec_b32 s15, s1
	s_delay_alu instid0(SALU_CYCLE_1)
	s_xor_b32 s1, exec_lo, s15
	s_cbranch_execz .LBB40_28
; %bb.27:
	v_div_scale_f32 v49, null, v51, v51, v50
	v_div_scale_f32 v59, vcc_lo, v50, v51, v50
	s_delay_alu instid0(VALU_DEP_2) | instskip(SKIP_1) | instid1(TRANS32_DEP_1)
	v_rcp_f32_e32 v54, v49
	v_nop
	v_fma_f32 v58, -v49, v54, 1.0
	s_delay_alu instid0(VALU_DEP_1) | instskip(NEXT) | instid1(VALU_DEP_1)
	v_fmac_f32_e32 v54, v58, v54
	v_mul_f32_e32 v58, v59, v54
	s_delay_alu instid0(VALU_DEP_1) | instskip(NEXT) | instid1(VALU_DEP_1)
	v_fma_f32 v60, -v49, v58, v59
	v_fmac_f32_e32 v58, v60, v54
	s_delay_alu instid0(VALU_DEP_1) | instskip(NEXT) | instid1(VALU_DEP_1)
	v_fma_f32 v49, -v49, v58, v59
	v_div_fmas_f32 v49, v49, v54, v58
	s_delay_alu instid0(VALU_DEP_1) | instskip(NEXT) | instid1(VALU_DEP_1)
	v_div_fixup_f32 v49, v49, v51, v50
	v_fmac_f32_e32 v51, v50, v49
	s_delay_alu instid0(VALU_DEP_1) | instskip(SKIP_1) | instid1(VALU_DEP_2)
	v_div_scale_f32 v50, null, v51, v51, 1.0
	v_div_scale_f32 v59, vcc_lo, 1.0, v51, 1.0
	v_rcp_f32_e32 v54, v50
	v_nop
	s_delay_alu instid0(TRANS32_DEP_1) | instskip(NEXT) | instid1(VALU_DEP_1)
	v_fma_f32 v58, -v50, v54, 1.0
	v_fmac_f32_e32 v54, v58, v54
	s_delay_alu instid0(VALU_DEP_1) | instskip(NEXT) | instid1(VALU_DEP_1)
	v_mul_f32_e32 v58, v59, v54
	v_fma_f32 v60, -v50, v58, v59
	s_delay_alu instid0(VALU_DEP_1) | instskip(NEXT) | instid1(VALU_DEP_1)
	v_fmac_f32_e32 v58, v60, v54
	v_fma_f32 v50, -v50, v58, v59
	s_delay_alu instid0(VALU_DEP_1) | instskip(NEXT) | instid1(VALU_DEP_1)
	v_div_fmas_f32 v50, v50, v54, v58
	v_div_fixup_f32 v51, v50, v51, 1.0
	s_delay_alu instid0(VALU_DEP_1)
	v_mul_f32_e32 v50, v49, v51
	v_xor_b32_e32 v51, 0x80000000, v51
.LBB40_28:
	s_and_not1_saveexec_b32 s1, s1
	s_cbranch_execz .LBB40_30
; %bb.29:
	s_delay_alu instid0(VALU_DEP_1) | instskip(SKIP_1) | instid1(VALU_DEP_2)
	v_div_scale_f32 v49, null, v50, v50, v51
	v_div_scale_f32 v59, vcc_lo, v51, v50, v51
	v_rcp_f32_e32 v54, v49
	v_nop
	s_delay_alu instid0(TRANS32_DEP_1) | instskip(NEXT) | instid1(VALU_DEP_1)
	v_fma_f32 v58, -v49, v54, 1.0
	v_fmac_f32_e32 v54, v58, v54
	s_delay_alu instid0(VALU_DEP_1) | instskip(NEXT) | instid1(VALU_DEP_1)
	v_mul_f32_e32 v58, v59, v54
	v_fma_f32 v60, -v49, v58, v59
	s_delay_alu instid0(VALU_DEP_1) | instskip(NEXT) | instid1(VALU_DEP_1)
	v_fmac_f32_e32 v58, v60, v54
	v_fma_f32 v49, -v49, v58, v59
	s_delay_alu instid0(VALU_DEP_1) | instskip(NEXT) | instid1(VALU_DEP_1)
	v_div_fmas_f32 v49, v49, v54, v58
	v_div_fixup_f32 v49, v49, v50, v51
	s_delay_alu instid0(VALU_DEP_1) | instskip(NEXT) | instid1(VALU_DEP_1)
	v_fmac_f32_e32 v50, v51, v49
	v_div_scale_f32 v51, null, v50, v50, 1.0
	s_delay_alu instid0(VALU_DEP_1) | instskip(SKIP_1) | instid1(TRANS32_DEP_1)
	v_rcp_f32_e32 v54, v51
	v_nop
	v_fma_f32 v58, -v51, v54, 1.0
	s_delay_alu instid0(VALU_DEP_1) | instskip(SKIP_1) | instid1(VALU_DEP_1)
	v_fmac_f32_e32 v54, v58, v54
	v_div_scale_f32 v58, vcc_lo, 1.0, v50, 1.0
	v_mul_f32_e32 v59, v58, v54
	s_delay_alu instid0(VALU_DEP_1) | instskip(NEXT) | instid1(VALU_DEP_1)
	v_fma_f32 v60, -v51, v59, v58
	v_fmac_f32_e32 v59, v60, v54
	s_delay_alu instid0(VALU_DEP_1) | instskip(NEXT) | instid1(VALU_DEP_1)
	v_fma_f32 v51, -v51, v59, v58
	v_div_fmas_f32 v51, v51, v54, v59
	s_delay_alu instid0(VALU_DEP_1) | instskip(NEXT) | instid1(VALU_DEP_1)
	v_div_fixup_f32 v50, v51, v50, 1.0
	v_mul_f32_e64 v51, v49, -v50
.LBB40_30:
	s_or_b32 exec_lo, exec_lo, s1
	v_mov_b32_e32 v54, v57
.LBB40_31:
	s_or_b32 exec_lo, exec_lo, s0
	s_delay_alu instid0(SALU_CYCLE_1)
	s_mov_b32 s0, exec_lo
	v_cmpx_ne_u32_e64 v56, v48
	s_xor_b32 s0, exec_lo, s0
	s_cbranch_execz .LBB40_37
; %bb.32:
	s_mov_b32 s1, exec_lo
	v_cmpx_eq_u32_e32 1, v56
	s_cbranch_execz .LBB40_36
; %bb.33:
	v_cmp_ne_u32_e32 vcc_lo, 1, v48
	s_xor_b32 s15, s12, -1
	s_delay_alu instid0(SALU_CYCLE_1) | instskip(NEXT) | instid1(SALU_CYCLE_1)
	s_and_b32 s16, s15, vcc_lo
	s_and_saveexec_b32 s15, s16
	s_cbranch_execz .LBB40_35
; %bb.34:
	v_ashrrev_i32_e32 v49, 31, v48
	s_delay_alu instid0(VALU_DEP_1)
	v_lshl_add_u64 v[56:57], v[48:49], 2, v[36:37]
	s_clause 0x1
	global_load_b32 v49, v[56:57], off
	global_load_b32 v55, v[36:37], off offset:4
	s_wait_loadcnt 0x1
	global_store_b32 v[36:37], v49, off offset:4
	s_wait_loadcnt 0x0
	global_store_b32 v[56:57], v55, off
.LBB40_35:
	s_wait_xcnt 0x0
	s_or_b32 exec_lo, exec_lo, s15
	v_dual_mov_b32 v56, v48 :: v_dual_mov_b32 v55, v48
.LBB40_36:
	s_or_b32 exec_lo, exec_lo, s1
.LBB40_37:
	s_and_not1_saveexec_b32 s0, s0
	s_cbranch_execz .LBB40_39
; %bb.38:
	v_dual_mov_b32 v48, v42 :: v_dual_mov_b32 v49, v43
	v_dual_mov_b32 v56, v38 :: v_dual_mov_b32 v57, v39
	;; [unrolled: 1-line block ×8, first 2 shown]
	ds_store_2addr_b64 v52, v[48:49], v[56:57] offset0:2 offset1:3
	ds_store_2addr_b64 v52, v[58:59], v[60:61] offset0:4 offset1:5
	;; [unrolled: 1-line block ×4, first 2 shown]
	v_dual_mov_b32 v48, v8 :: v_dual_mov_b32 v49, v9
	v_dual_mov_b32 v56, v4 :: v_dual_mov_b32 v57, v5
	;; [unrolled: 1-line block ×6, first 2 shown]
	ds_store_2addr_b64 v52, v[48:49], v[56:57] offset0:10 offset1:11
	ds_store_2addr_b64 v52, v[58:59], v[60:61] offset0:12 offset1:13
	v_dual_mov_b32 v56, 1 :: v_dual_mov_b32 v66, v20
	v_dual_mov_b32 v67, v21 :: v_dual_mov_b32 v68, v34
	;; [unrolled: 1-line block ×4, first 2 shown]
	v_mov_b32_e32 v73, v31
	ds_store_2addr_b64 v52, v[62:63], v[64:65] offset0:14 offset1:15
	ds_store_2addr_b64 v52, v[66:67], v[68:69] offset0:16 offset1:17
	ds_store_2addr_b64 v52, v[70:71], v[72:73] offset0:18 offset1:19
	ds_store_b64 v52, v[46:47] offset:160
.LBB40_39:
	s_or_b32 exec_lo, exec_lo, s0
	s_delay_alu instid0(SALU_CYCLE_1)
	s_mov_b32 s0, exec_lo
	s_wait_storecnt_dscnt 0x0
	s_barrier_signal -1
	s_barrier_wait -1
	v_cmpx_lt_i32_e32 1, v56
	s_cbranch_execz .LBB40_41
; %bb.40:
	v_pk_mul_f32 v[58:59], v[50:51], v[40:41] op_sel:[1,1] op_sel_hi:[0,1]
	s_delay_alu instid0(VALU_DEP_1)
	v_pk_fma_f32 v[48:49], v[50:51], v[40:41], v[58:59] op_sel_hi:[1,0,1] neg_lo:[0,0,1] neg_hi:[0,0,1]
	v_pk_fma_f32 v[50:51], v[50:51], v[40:41], v[58:59] op_sel_hi:[1,0,1]
	ds_load_2addr_b64 v[58:61], v52 offset0:2 offset1:3
	v_dual_mov_b32 v40, v48 :: v_dual_mov_b32 v41, v51
	s_wait_dscnt 0x0
	v_pk_mul_f32 v[62:63], v[58:59], v[50:51] op_sel:[0,1]
	s_delay_alu instid0(VALU_DEP_1) | instskip(SKIP_1) | instid1(VALU_DEP_1)
	v_pk_fma_f32 v[64:65], v[58:59], v[48:49], v[62:63] op_sel:[0,0,1] op_sel_hi:[1,1,0] neg_lo:[0,0,1] neg_hi:[0,0,1]
	v_pk_fma_f32 v[58:59], v[58:59], v[48:49], v[62:63] op_sel:[0,0,1] op_sel_hi:[1,0,0]
	v_mov_b32_e32 v65, v59
	v_pk_mul_f32 v[58:59], v[60:61], v[50:51] op_sel:[0,1]
	s_delay_alu instid0(VALU_DEP_1) | instskip(SKIP_1) | instid1(VALU_DEP_1)
	v_pk_fma_f32 v[62:63], v[60:61], v[48:49], v[58:59] op_sel:[0,0,1] op_sel_hi:[1,1,0] neg_lo:[0,0,1] neg_hi:[0,0,1]
	v_pk_fma_f32 v[58:59], v[60:61], v[48:49], v[58:59] op_sel:[0,0,1] op_sel_hi:[1,0,0]
	v_mov_b32_e32 v63, v59
	ds_load_2addr_b64 v[58:61], v52 offset0:4 offset1:5
	v_pk_add_f32 v[42:43], v[42:43], v[64:65] neg_lo:[0,1] neg_hi:[0,1]
	v_pk_add_f32 v[38:39], v[38:39], v[62:63] neg_lo:[0,1] neg_hi:[0,1]
	s_wait_dscnt 0x0
	v_pk_mul_f32 v[62:63], v[58:59], v[50:51] op_sel:[0,1]
	s_delay_alu instid0(VALU_DEP_1) | instskip(SKIP_2) | instid1(VALU_DEP_2)
	v_pk_fma_f32 v[64:65], v[58:59], v[48:49], v[62:63] op_sel:[0,0,1] op_sel_hi:[1,1,0] neg_lo:[0,0,1] neg_hi:[0,0,1]
	v_pk_fma_f32 v[58:59], v[58:59], v[48:49], v[62:63] op_sel:[0,0,1] op_sel_hi:[1,0,0]
	v_dual_mul_f32 v62, v61, v51 :: v_dual_mov_b32 v58, v61
	v_dual_mov_b32 v65, v59 :: v_dual_mov_b32 v59, v60
	s_delay_alu instid0(VALU_DEP_2) | instskip(SKIP_1) | instid1(VALU_DEP_3)
	v_pk_fma_f32 v[62:63], v[60:61], v[40:41], v[62:63] op_sel_hi:[1,1,0] neg_lo:[0,0,1] neg_hi:[0,0,1]
	v_mul_f32_e32 v60, v61, v48
	v_pk_add_f32 v[18:19], v[18:19], v[64:65] neg_lo:[0,1] neg_hi:[0,1]
	s_delay_alu instid0(VALU_DEP_2) | instskip(NEXT) | instid1(VALU_DEP_1)
	v_pk_fma_f32 v[58:59], v[58:59], v[40:41], v[60:61] op_sel_hi:[1,1,0]
	v_mov_b32_e32 v63, v59
	ds_load_2addr_b64 v[58:61], v52 offset0:6 offset1:7
	v_pk_add_f32 v[14:15], v[14:15], v[62:63] neg_lo:[0,1] neg_hi:[0,1]
	s_wait_dscnt 0x0
	v_pk_mul_f32 v[62:63], v[58:59], v[50:51] op_sel:[0,1]
	s_delay_alu instid0(VALU_DEP_1) | instskip(SKIP_1) | instid1(VALU_DEP_1)
	v_pk_fma_f32 v[64:65], v[58:59], v[48:49], v[62:63] op_sel:[0,0,1] op_sel_hi:[1,1,0] neg_lo:[0,0,1] neg_hi:[0,0,1]
	v_pk_fma_f32 v[58:59], v[58:59], v[48:49], v[62:63] op_sel:[0,0,1] op_sel_hi:[1,0,0]
	v_mov_b32_e32 v65, v59
	v_pk_mul_f32 v[58:59], v[60:61], v[50:51] op_sel:[0,1]
	s_delay_alu instid0(VALU_DEP_1) | instskip(SKIP_1) | instid1(VALU_DEP_1)
	v_pk_fma_f32 v[62:63], v[60:61], v[48:49], v[58:59] op_sel:[0,0,1] op_sel_hi:[1,1,0] neg_lo:[0,0,1] neg_hi:[0,0,1]
	v_pk_fma_f32 v[58:59], v[60:61], v[48:49], v[58:59] op_sel:[0,0,1] op_sel_hi:[1,0,0]
	v_mov_b32_e32 v63, v59
	ds_load_2addr_b64 v[58:61], v52 offset0:8 offset1:9
	v_pk_add_f32 v[16:17], v[16:17], v[64:65] neg_lo:[0,1] neg_hi:[0,1]
	v_pk_add_f32 v[12:13], v[12:13], v[62:63] neg_lo:[0,1] neg_hi:[0,1]
	s_wait_dscnt 0x0
	v_pk_mul_f32 v[62:63], v[58:59], v[50:51] op_sel:[0,1]
	s_delay_alu instid0(VALU_DEP_1) | instskip(SKIP_1) | instid1(VALU_DEP_1)
	v_pk_fma_f32 v[64:65], v[58:59], v[48:49], v[62:63] op_sel:[0,0,1] op_sel_hi:[1,1,0] neg_lo:[0,0,1] neg_hi:[0,0,1]
	v_pk_fma_f32 v[58:59], v[58:59], v[48:49], v[62:63] op_sel:[0,0,1] op_sel_hi:[1,0,0]
	v_mov_b32_e32 v65, v59
	v_pk_mul_f32 v[58:59], v[60:61], v[50:51] op_sel:[0,1]
	s_delay_alu instid0(VALU_DEP_1) | instskip(SKIP_1) | instid1(VALU_DEP_1)
	v_pk_fma_f32 v[62:63], v[60:61], v[48:49], v[58:59] op_sel:[0,0,1] op_sel_hi:[1,1,0] neg_lo:[0,0,1] neg_hi:[0,0,1]
	v_pk_fma_f32 v[58:59], v[60:61], v[48:49], v[58:59] op_sel:[0,0,1] op_sel_hi:[1,0,0]
	v_mov_b32_e32 v63, v59
	ds_load_2addr_b64 v[58:61], v52 offset0:10 offset1:11
	v_pk_add_f32 v[10:11], v[10:11], v[64:65] neg_lo:[0,1] neg_hi:[0,1]
	v_pk_add_f32 v[6:7], v[6:7], v[62:63] neg_lo:[0,1] neg_hi:[0,1]
	s_wait_dscnt 0x0
	v_dual_mul_f32 v62, v59, v51 :: v_dual_mul_f32 v64, v59, v48
	s_delay_alu instid0(VALU_DEP_1) | instskip(NEXT) | instid1(VALU_DEP_2)
	v_pk_fma_f32 v[62:63], v[58:59], v[40:41], v[62:63] op_sel_hi:[1,1,0] neg_lo:[0,0,1] neg_hi:[0,0,1]
	v_pk_fma_f32 v[58:59], v[58:59], v[40:41], v[64:65] op_sel:[1,0,0] op_sel_hi:[0,1,0]
	s_delay_alu instid0(VALU_DEP_1) | instskip(SKIP_1) | instid1(VALU_DEP_2)
	v_mov_b32_e32 v63, v59
	v_pk_mul_f32 v[58:59], v[60:61], v[50:51] op_sel:[0,1]
	v_pk_add_f32 v[8:9], v[8:9], v[62:63] neg_lo:[0,1] neg_hi:[0,1]
	s_delay_alu instid0(VALU_DEP_2) | instskip(SKIP_1) | instid1(VALU_DEP_1)
	v_pk_fma_f32 v[62:63], v[60:61], v[48:49], v[58:59] op_sel:[0,0,1] op_sel_hi:[1,1,0] neg_lo:[0,0,1] neg_hi:[0,0,1]
	v_pk_fma_f32 v[58:59], v[60:61], v[48:49], v[58:59] op_sel:[0,0,1] op_sel_hi:[1,0,0]
	v_mov_b32_e32 v63, v59
	ds_load_2addr_b64 v[58:61], v52 offset0:12 offset1:13
	v_pk_add_f32 v[4:5], v[4:5], v[62:63] neg_lo:[0,1] neg_hi:[0,1]
	s_wait_dscnt 0x0
	v_pk_mul_f32 v[62:63], v[58:59], v[50:51] op_sel:[0,1]
	s_delay_alu instid0(VALU_DEP_1) | instskip(SKIP_1) | instid1(VALU_DEP_1)
	v_pk_fma_f32 v[64:65], v[58:59], v[48:49], v[62:63] op_sel:[0,0,1] op_sel_hi:[1,1,0] neg_lo:[0,0,1] neg_hi:[0,0,1]
	v_pk_fma_f32 v[58:59], v[58:59], v[48:49], v[62:63] op_sel:[0,0,1] op_sel_hi:[1,0,0]
	v_mov_b32_e32 v65, v59
	v_pk_mul_f32 v[58:59], v[60:61], v[50:51] op_sel:[0,1]
	s_delay_alu instid0(VALU_DEP_2) | instskip(NEXT) | instid1(VALU_DEP_2)
	v_pk_add_f32 v[28:29], v[28:29], v[64:65] neg_lo:[0,1] neg_hi:[0,1]
	v_pk_fma_f32 v[62:63], v[60:61], v[48:49], v[58:59] op_sel:[0,0,1] op_sel_hi:[1,1,0] neg_lo:[0,0,1] neg_hi:[0,0,1]
	v_pk_fma_f32 v[58:59], v[60:61], v[48:49], v[58:59] op_sel:[0,0,1] op_sel_hi:[1,0,0]
	s_delay_alu instid0(VALU_DEP_1) | instskip(SKIP_4) | instid1(VALU_DEP_1)
	v_mov_b32_e32 v63, v59
	ds_load_2addr_b64 v[58:61], v52 offset0:14 offset1:15
	v_pk_add_f32 v[24:25], v[24:25], v[62:63] neg_lo:[0,1] neg_hi:[0,1]
	s_wait_dscnt 0x0
	v_pk_mul_f32 v[62:63], v[58:59], v[50:51] op_sel:[0,1]
	v_pk_fma_f32 v[64:65], v[58:59], v[48:49], v[62:63] op_sel:[0,0,1] op_sel_hi:[1,1,0] neg_lo:[0,0,1] neg_hi:[0,0,1]
	v_pk_fma_f32 v[58:59], v[58:59], v[48:49], v[62:63] op_sel:[0,0,1] op_sel_hi:[1,0,0]
	v_dual_mul_f32 v62, v61, v51 :: v_dual_mov_b32 v58, v61
	s_delay_alu instid0(VALU_DEP_2) | instskip(NEXT) | instid1(VALU_DEP_2)
	v_dual_mov_b32 v65, v59 :: v_dual_mov_b32 v59, v60
	v_pk_fma_f32 v[62:63], v[60:61], v[40:41], v[62:63] op_sel_hi:[1,1,0] neg_lo:[0,0,1] neg_hi:[0,0,1]
	v_mul_f32_e32 v60, v61, v48
	s_delay_alu instid0(VALU_DEP_3) | instskip(NEXT) | instid1(VALU_DEP_2)
	v_pk_add_f32 v[26:27], v[26:27], v[64:65] neg_lo:[0,1] neg_hi:[0,1]
	v_pk_fma_f32 v[58:59], v[58:59], v[40:41], v[60:61] op_sel_hi:[1,1,0]
	s_delay_alu instid0(VALU_DEP_1) | instskip(SKIP_4) | instid1(VALU_DEP_1)
	v_mov_b32_e32 v63, v59
	ds_load_2addr_b64 v[58:61], v52 offset0:16 offset1:17
	v_pk_add_f32 v[22:23], v[22:23], v[62:63] neg_lo:[0,1] neg_hi:[0,1]
	s_wait_dscnt 0x0
	v_pk_mul_f32 v[62:63], v[58:59], v[50:51] op_sel:[0,1]
	v_pk_fma_f32 v[64:65], v[58:59], v[48:49], v[62:63] op_sel:[0,0,1] op_sel_hi:[1,1,0] neg_lo:[0,0,1] neg_hi:[0,0,1]
	v_pk_fma_f32 v[58:59], v[58:59], v[48:49], v[62:63] op_sel:[0,0,1] op_sel_hi:[1,0,0]
	s_delay_alu instid0(VALU_DEP_1) | instskip(SKIP_1) | instid1(VALU_DEP_1)
	v_mov_b32_e32 v65, v59
	v_pk_mul_f32 v[58:59], v[60:61], v[50:51] op_sel:[0,1]
	v_pk_fma_f32 v[62:63], v[60:61], v[48:49], v[58:59] op_sel:[0,0,1] op_sel_hi:[1,1,0] neg_lo:[0,0,1] neg_hi:[0,0,1]
	v_pk_fma_f32 v[58:59], v[60:61], v[48:49], v[58:59] op_sel:[0,0,1] op_sel_hi:[1,0,0]
	s_delay_alu instid0(VALU_DEP_1)
	v_mov_b32_e32 v63, v59
	ds_load_2addr_b64 v[58:61], v52 offset0:18 offset1:19
	v_pk_add_f32 v[20:21], v[20:21], v[64:65] neg_lo:[0,1] neg_hi:[0,1]
	v_pk_add_f32 v[34:35], v[34:35], v[62:63] neg_lo:[0,1] neg_hi:[0,1]
	s_wait_dscnt 0x0
	v_pk_mul_f32 v[62:63], v[58:59], v[50:51] op_sel:[0,1]
	s_delay_alu instid0(VALU_DEP_1) | instskip(SKIP_1) | instid1(VALU_DEP_1)
	v_pk_fma_f32 v[64:65], v[58:59], v[48:49], v[62:63] op_sel:[0,0,1] op_sel_hi:[1,1,0] neg_lo:[0,0,1] neg_hi:[0,0,1]
	v_pk_fma_f32 v[58:59], v[58:59], v[48:49], v[62:63] op_sel:[0,0,1] op_sel_hi:[1,0,0]
	v_mov_b32_e32 v65, v59
	v_pk_mul_f32 v[58:59], v[60:61], v[50:51] op_sel:[0,1]
	s_delay_alu instid0(VALU_DEP_1) | instskip(SKIP_1) | instid1(VALU_DEP_1)
	v_pk_fma_f32 v[62:63], v[60:61], v[48:49], v[58:59] op_sel:[0,0,1] op_sel_hi:[1,1,0] neg_lo:[0,0,1] neg_hi:[0,0,1]
	v_pk_fma_f32 v[58:59], v[60:61], v[48:49], v[58:59] op_sel:[0,0,1] op_sel_hi:[1,0,0]
	v_mov_b32_e32 v63, v59
	ds_load_b64 v[58:59], v52 offset:160
	v_pk_add_f32 v[32:33], v[32:33], v[64:65] neg_lo:[0,1] neg_hi:[0,1]
	v_pk_add_f32 v[30:31], v[30:31], v[62:63] neg_lo:[0,1] neg_hi:[0,1]
	s_wait_dscnt 0x0
	v_pk_mul_f32 v[50:51], v[58:59], v[50:51] op_sel:[0,1]
	s_delay_alu instid0(VALU_DEP_1) | instskip(SKIP_1) | instid1(VALU_DEP_1)
	v_pk_fma_f32 v[60:61], v[58:59], v[48:49], v[50:51] op_sel:[0,0,1] op_sel_hi:[1,1,0] neg_lo:[0,0,1] neg_hi:[0,0,1]
	v_pk_fma_f32 v[48:49], v[58:59], v[48:49], v[50:51] op_sel:[0,0,1] op_sel_hi:[1,0,0]
	v_mov_b32_e32 v61, v49
	s_delay_alu instid0(VALU_DEP_1)
	v_pk_add_f32 v[46:47], v[46:47], v[60:61] neg_lo:[0,1] neg_hi:[0,1]
.LBB40_41:
	s_or_b32 exec_lo, exec_lo, s0
	v_lshl_add_u32 v48, v56, 3, v52
	s_barrier_signal -1
	s_barrier_wait -1
	ds_store_b64 v48, v[42:43]
	s_wait_dscnt 0x0
	s_barrier_signal -1
	s_barrier_wait -1
	ds_load_b64 v[50:51], v52 offset:16
	v_mov_b32_e32 v48, 2
	s_cmp_lt_i32 s14, 4
	s_mov_b32 s0, 3
	s_cbranch_scc1 .LBB40_44
; %bb.42:
	v_add3_u32 v49, v53, 0, 24
	v_mov_b32_e32 v48, 2
.LBB40_43:                              ; =>This Inner Loop Header: Depth=1
	ds_load_b64 v[58:59], v49
	s_wait_dscnt 0x1
	v_cmp_gt_f32_e32 vcc_lo, 0, v50
	v_cndmask_b32_e64 v60, v50, -v50, vcc_lo
	v_cmp_gt_f32_e32 vcc_lo, 0, v51
	v_cndmask_b32_e64 v62, v51, -v51, vcc_lo
	s_wait_dscnt 0x0
	v_cmp_gt_f32_e32 vcc_lo, 0, v58
	v_cndmask_b32_e64 v61, v58, -v58, vcc_lo
	v_cmp_gt_f32_e32 vcc_lo, 0, v59
	v_cndmask_b32_e64 v63, v59, -v59, vcc_lo
	s_delay_alu instid0(VALU_DEP_1) | instskip(NEXT) | instid1(VALU_DEP_1)
	v_pk_add_f32 v[60:61], v[60:61], v[62:63]
	v_cmp_lt_f32_e32 vcc_lo, v60, v61
	v_dual_add_nc_u32 v49, 8, v49 :: v_dual_cndmask_b32 v51, v51, v59, vcc_lo
	v_cndmask_b32_e32 v50, v50, v58, vcc_lo
	v_cndmask_b32_e64 v48, v48, s0, vcc_lo
	s_add_co_i32 s0, s0, 1
	s_delay_alu instid0(SALU_CYCLE_1)
	s_cmp_lg_u32 s14, s0
	s_cbranch_scc1 .LBB40_43
.LBB40_44:
	s_wait_dscnt 0x0
	v_cmp_eq_f32_e32 vcc_lo, 0, v50
	v_cmp_eq_f32_e64 s0, 0, v51
	s_and_b32 s0, vcc_lo, s0
	s_delay_alu instid0(SALU_CYCLE_1) | instskip(NEXT) | instid1(SALU_CYCLE_1)
	s_and_saveexec_b32 s1, s0
	s_xor_b32 s0, exec_lo, s1
; %bb.45:
	v_cmp_ne_u32_e32 vcc_lo, 0, v54
	v_cndmask_b32_e32 v54, 3, v54, vcc_lo
; %bb.46:
	s_and_not1_saveexec_b32 s0, s0
	s_cbranch_execz .LBB40_52
; %bb.47:
	v_cmp_ngt_f32_e64 s1, |v50|, |v51|
	s_and_saveexec_b32 s15, s1
	s_delay_alu instid0(SALU_CYCLE_1)
	s_xor_b32 s1, exec_lo, s15
	s_cbranch_execz .LBB40_49
; %bb.48:
	v_div_scale_f32 v49, null, v51, v51, v50
	v_div_scale_f32 v59, vcc_lo, v50, v51, v50
	s_delay_alu instid0(VALU_DEP_2) | instskip(SKIP_1) | instid1(TRANS32_DEP_1)
	v_rcp_f32_e32 v57, v49
	v_nop
	v_fma_f32 v58, -v49, v57, 1.0
	s_delay_alu instid0(VALU_DEP_1) | instskip(NEXT) | instid1(VALU_DEP_1)
	v_fmac_f32_e32 v57, v58, v57
	v_mul_f32_e32 v58, v59, v57
	s_delay_alu instid0(VALU_DEP_1) | instskip(NEXT) | instid1(VALU_DEP_1)
	v_fma_f32 v60, -v49, v58, v59
	v_fmac_f32_e32 v58, v60, v57
	s_delay_alu instid0(VALU_DEP_1) | instskip(NEXT) | instid1(VALU_DEP_1)
	v_fma_f32 v49, -v49, v58, v59
	v_div_fmas_f32 v49, v49, v57, v58
	s_delay_alu instid0(VALU_DEP_1) | instskip(NEXT) | instid1(VALU_DEP_1)
	v_div_fixup_f32 v49, v49, v51, v50
	v_fmac_f32_e32 v51, v50, v49
	s_delay_alu instid0(VALU_DEP_1) | instskip(SKIP_1) | instid1(VALU_DEP_2)
	v_div_scale_f32 v50, null, v51, v51, 1.0
	v_div_scale_f32 v59, vcc_lo, 1.0, v51, 1.0
	v_rcp_f32_e32 v57, v50
	v_nop
	s_delay_alu instid0(TRANS32_DEP_1) | instskip(NEXT) | instid1(VALU_DEP_1)
	v_fma_f32 v58, -v50, v57, 1.0
	v_fmac_f32_e32 v57, v58, v57
	s_delay_alu instid0(VALU_DEP_1) | instskip(NEXT) | instid1(VALU_DEP_1)
	v_mul_f32_e32 v58, v59, v57
	v_fma_f32 v60, -v50, v58, v59
	s_delay_alu instid0(VALU_DEP_1) | instskip(NEXT) | instid1(VALU_DEP_1)
	v_fmac_f32_e32 v58, v60, v57
	v_fma_f32 v50, -v50, v58, v59
	s_delay_alu instid0(VALU_DEP_1) | instskip(NEXT) | instid1(VALU_DEP_1)
	v_div_fmas_f32 v50, v50, v57, v58
	v_div_fixup_f32 v51, v50, v51, 1.0
	s_delay_alu instid0(VALU_DEP_1)
	v_mul_f32_e32 v50, v49, v51
	v_xor_b32_e32 v51, 0x80000000, v51
.LBB40_49:
	s_and_not1_saveexec_b32 s1, s1
	s_cbranch_execz .LBB40_51
; %bb.50:
	s_delay_alu instid0(VALU_DEP_1) | instskip(SKIP_1) | instid1(VALU_DEP_2)
	v_div_scale_f32 v49, null, v50, v50, v51
	v_div_scale_f32 v59, vcc_lo, v51, v50, v51
	v_rcp_f32_e32 v57, v49
	v_nop
	s_delay_alu instid0(TRANS32_DEP_1) | instskip(NEXT) | instid1(VALU_DEP_1)
	v_fma_f32 v58, -v49, v57, 1.0
	v_fmac_f32_e32 v57, v58, v57
	s_delay_alu instid0(VALU_DEP_1) | instskip(NEXT) | instid1(VALU_DEP_1)
	v_mul_f32_e32 v58, v59, v57
	v_fma_f32 v60, -v49, v58, v59
	s_delay_alu instid0(VALU_DEP_1) | instskip(NEXT) | instid1(VALU_DEP_1)
	v_fmac_f32_e32 v58, v60, v57
	v_fma_f32 v49, -v49, v58, v59
	s_delay_alu instid0(VALU_DEP_1) | instskip(NEXT) | instid1(VALU_DEP_1)
	v_div_fmas_f32 v49, v49, v57, v58
	v_div_fixup_f32 v49, v49, v50, v51
	s_delay_alu instid0(VALU_DEP_1) | instskip(NEXT) | instid1(VALU_DEP_1)
	v_fmac_f32_e32 v50, v51, v49
	v_div_scale_f32 v51, null, v50, v50, 1.0
	s_delay_alu instid0(VALU_DEP_1) | instskip(SKIP_1) | instid1(TRANS32_DEP_1)
	v_rcp_f32_e32 v57, v51
	v_nop
	v_fma_f32 v58, -v51, v57, 1.0
	s_delay_alu instid0(VALU_DEP_1) | instskip(SKIP_1) | instid1(VALU_DEP_1)
	v_fmac_f32_e32 v57, v58, v57
	v_div_scale_f32 v58, vcc_lo, 1.0, v50, 1.0
	v_mul_f32_e32 v59, v58, v57
	s_delay_alu instid0(VALU_DEP_1) | instskip(NEXT) | instid1(VALU_DEP_1)
	v_fma_f32 v60, -v51, v59, v58
	v_fmac_f32_e32 v59, v60, v57
	s_delay_alu instid0(VALU_DEP_1) | instskip(NEXT) | instid1(VALU_DEP_1)
	v_fma_f32 v51, -v51, v59, v58
	v_div_fmas_f32 v51, v51, v57, v59
	s_delay_alu instid0(VALU_DEP_1) | instskip(NEXT) | instid1(VALU_DEP_1)
	v_div_fixup_f32 v50, v51, v50, 1.0
	v_mul_f32_e64 v51, v49, -v50
.LBB40_51:
	s_or_b32 exec_lo, exec_lo, s1
.LBB40_52:
	s_delay_alu instid0(SALU_CYCLE_1) | instskip(NEXT) | instid1(SALU_CYCLE_1)
	s_or_b32 exec_lo, exec_lo, s0
	s_mov_b32 s0, exec_lo
	v_cmpx_ne_u32_e64 v56, v48
	s_xor_b32 s0, exec_lo, s0
	s_cbranch_execz .LBB40_58
; %bb.53:
	s_mov_b32 s1, exec_lo
	v_cmpx_eq_u32_e32 2, v56
	s_cbranch_execz .LBB40_57
; %bb.54:
	v_cmp_ne_u32_e32 vcc_lo, 2, v48
	s_xor_b32 s15, s12, -1
	s_delay_alu instid0(SALU_CYCLE_1) | instskip(NEXT) | instid1(SALU_CYCLE_1)
	s_and_b32 s16, s15, vcc_lo
	s_and_saveexec_b32 s15, s16
	s_cbranch_execz .LBB40_56
; %bb.55:
	v_ashrrev_i32_e32 v49, 31, v48
	s_delay_alu instid0(VALU_DEP_1)
	v_lshl_add_u64 v[56:57], v[48:49], 2, v[36:37]
	s_clause 0x1
	global_load_b32 v49, v[56:57], off
	global_load_b32 v55, v[36:37], off offset:8
	s_wait_loadcnt 0x1
	global_store_b32 v[36:37], v49, off offset:8
	s_wait_loadcnt 0x0
	global_store_b32 v[56:57], v55, off
.LBB40_56:
	s_wait_xcnt 0x0
	s_or_b32 exec_lo, exec_lo, s15
	v_dual_mov_b32 v56, v48 :: v_dual_mov_b32 v55, v48
.LBB40_57:
	s_or_b32 exec_lo, exec_lo, s1
.LBB40_58:
	s_and_not1_saveexec_b32 s0, s0
	s_cbranch_execz .LBB40_60
; %bb.59:
	v_mov_b32_e32 v56, 2
	ds_store_2addr_b64 v52, v[38:39], v[18:19] offset0:3 offset1:4
	ds_store_2addr_b64 v52, v[14:15], v[16:17] offset0:5 offset1:6
	;; [unrolled: 1-line block ×9, first 2 shown]
.LBB40_60:
	s_or_b32 exec_lo, exec_lo, s0
	s_delay_alu instid0(SALU_CYCLE_1)
	s_mov_b32 s0, exec_lo
	s_wait_storecnt_dscnt 0x0
	s_barrier_signal -1
	s_barrier_wait -1
	v_cmpx_lt_i32_e32 2, v56
	s_cbranch_execz .LBB40_62
; %bb.61:
	v_pk_mul_f32 v[58:59], v[50:51], v[42:43] op_sel:[1,1] op_sel_hi:[0,1]
	s_delay_alu instid0(VALU_DEP_1)
	v_pk_fma_f32 v[48:49], v[50:51], v[42:43], v[58:59] op_sel_hi:[1,0,1] neg_lo:[0,0,1] neg_hi:[0,0,1]
	v_pk_fma_f32 v[50:51], v[50:51], v[42:43], v[58:59] op_sel_hi:[1,0,1]
	ds_load_2addr_b64 v[58:61], v52 offset0:3 offset1:4
	v_dual_mov_b32 v42, v48 :: v_dual_mov_b32 v43, v51
	s_wait_dscnt 0x0
	v_pk_mul_f32 v[62:63], v[58:59], v[50:51] op_sel:[0,1]
	s_delay_alu instid0(VALU_DEP_1) | instskip(SKIP_1) | instid1(VALU_DEP_1)
	v_pk_fma_f32 v[64:65], v[58:59], v[48:49], v[62:63] op_sel:[0,0,1] op_sel_hi:[1,1,0] neg_lo:[0,0,1] neg_hi:[0,0,1]
	v_pk_fma_f32 v[58:59], v[58:59], v[48:49], v[62:63] op_sel:[0,0,1] op_sel_hi:[1,0,0]
	v_mov_b32_e32 v65, v59
	v_pk_mul_f32 v[58:59], v[60:61], v[50:51] op_sel:[0,1]
	s_delay_alu instid0(VALU_DEP_1) | instskip(SKIP_1) | instid1(VALU_DEP_1)
	v_pk_fma_f32 v[62:63], v[60:61], v[48:49], v[58:59] op_sel:[0,0,1] op_sel_hi:[1,1,0] neg_lo:[0,0,1] neg_hi:[0,0,1]
	v_pk_fma_f32 v[58:59], v[60:61], v[48:49], v[58:59] op_sel:[0,0,1] op_sel_hi:[1,0,0]
	v_mov_b32_e32 v63, v59
	ds_load_2addr_b64 v[58:61], v52 offset0:5 offset1:6
	v_pk_add_f32 v[38:39], v[38:39], v[64:65] neg_lo:[0,1] neg_hi:[0,1]
	v_pk_add_f32 v[18:19], v[18:19], v[62:63] neg_lo:[0,1] neg_hi:[0,1]
	s_wait_dscnt 0x0
	v_pk_mul_f32 v[62:63], v[58:59], v[50:51] op_sel:[0,1]
	s_delay_alu instid0(VALU_DEP_1) | instskip(SKIP_2) | instid1(VALU_DEP_2)
	v_pk_fma_f32 v[64:65], v[58:59], v[48:49], v[62:63] op_sel:[0,0,1] op_sel_hi:[1,1,0] neg_lo:[0,0,1] neg_hi:[0,0,1]
	v_pk_fma_f32 v[58:59], v[58:59], v[48:49], v[62:63] op_sel:[0,0,1] op_sel_hi:[1,0,0]
	v_dual_mul_f32 v62, v61, v51 :: v_dual_mov_b32 v58, v61
	v_dual_mov_b32 v65, v59 :: v_dual_mov_b32 v59, v60
	s_delay_alu instid0(VALU_DEP_2) | instskip(SKIP_1) | instid1(VALU_DEP_3)
	v_pk_fma_f32 v[62:63], v[60:61], v[42:43], v[62:63] op_sel_hi:[1,1,0] neg_lo:[0,0,1] neg_hi:[0,0,1]
	v_mul_f32_e32 v60, v61, v48
	v_pk_add_f32 v[14:15], v[14:15], v[64:65] neg_lo:[0,1] neg_hi:[0,1]
	s_delay_alu instid0(VALU_DEP_2) | instskip(NEXT) | instid1(VALU_DEP_1)
	v_pk_fma_f32 v[58:59], v[58:59], v[42:43], v[60:61] op_sel_hi:[1,1,0]
	v_mov_b32_e32 v63, v59
	ds_load_2addr_b64 v[58:61], v52 offset0:7 offset1:8
	v_pk_add_f32 v[16:17], v[16:17], v[62:63] neg_lo:[0,1] neg_hi:[0,1]
	s_wait_dscnt 0x0
	v_pk_mul_f32 v[62:63], v[58:59], v[50:51] op_sel:[0,1]
	s_delay_alu instid0(VALU_DEP_1) | instskip(SKIP_1) | instid1(VALU_DEP_1)
	v_pk_fma_f32 v[64:65], v[58:59], v[48:49], v[62:63] op_sel:[0,0,1] op_sel_hi:[1,1,0] neg_lo:[0,0,1] neg_hi:[0,0,1]
	v_pk_fma_f32 v[58:59], v[58:59], v[48:49], v[62:63] op_sel:[0,0,1] op_sel_hi:[1,0,0]
	v_mov_b32_e32 v65, v59
	v_pk_mul_f32 v[58:59], v[60:61], v[50:51] op_sel:[0,1]
	s_delay_alu instid0(VALU_DEP_1) | instskip(SKIP_1) | instid1(VALU_DEP_1)
	v_pk_fma_f32 v[62:63], v[60:61], v[48:49], v[58:59] op_sel:[0,0,1] op_sel_hi:[1,1,0] neg_lo:[0,0,1] neg_hi:[0,0,1]
	v_pk_fma_f32 v[58:59], v[60:61], v[48:49], v[58:59] op_sel:[0,0,1] op_sel_hi:[1,0,0]
	v_mov_b32_e32 v63, v59
	ds_load_2addr_b64 v[58:61], v52 offset0:9 offset1:10
	v_pk_add_f32 v[12:13], v[12:13], v[64:65] neg_lo:[0,1] neg_hi:[0,1]
	v_pk_add_f32 v[10:11], v[10:11], v[62:63] neg_lo:[0,1] neg_hi:[0,1]
	s_wait_dscnt 0x0
	v_pk_mul_f32 v[62:63], v[58:59], v[50:51] op_sel:[0,1]
	s_delay_alu instid0(VALU_DEP_1) | instskip(SKIP_1) | instid1(VALU_DEP_1)
	v_pk_fma_f32 v[64:65], v[58:59], v[48:49], v[62:63] op_sel:[0,0,1] op_sel_hi:[1,1,0] neg_lo:[0,0,1] neg_hi:[0,0,1]
	v_pk_fma_f32 v[58:59], v[58:59], v[48:49], v[62:63] op_sel:[0,0,1] op_sel_hi:[1,0,0]
	v_mov_b32_e32 v65, v59
	v_pk_mul_f32 v[58:59], v[60:61], v[50:51] op_sel:[0,1]
	s_delay_alu instid0(VALU_DEP_1) | instskip(SKIP_1) | instid1(VALU_DEP_1)
	v_pk_fma_f32 v[62:63], v[60:61], v[48:49], v[58:59] op_sel:[0,0,1] op_sel_hi:[1,1,0] neg_lo:[0,0,1] neg_hi:[0,0,1]
	v_pk_fma_f32 v[58:59], v[60:61], v[48:49], v[58:59] op_sel:[0,0,1] op_sel_hi:[1,0,0]
	v_mov_b32_e32 v63, v59
	ds_load_2addr_b64 v[58:61], v52 offset0:11 offset1:12
	v_pk_add_f32 v[6:7], v[6:7], v[64:65] neg_lo:[0,1] neg_hi:[0,1]
	v_pk_add_f32 v[8:9], v[8:9], v[62:63] neg_lo:[0,1] neg_hi:[0,1]
	s_wait_dscnt 0x0
	v_dual_mul_f32 v62, v59, v51 :: v_dual_mul_f32 v64, v59, v48
	s_delay_alu instid0(VALU_DEP_1) | instskip(NEXT) | instid1(VALU_DEP_2)
	v_pk_fma_f32 v[62:63], v[58:59], v[42:43], v[62:63] op_sel_hi:[1,1,0] neg_lo:[0,0,1] neg_hi:[0,0,1]
	v_pk_fma_f32 v[58:59], v[58:59], v[42:43], v[64:65] op_sel:[1,0,0] op_sel_hi:[0,1,0]
	s_delay_alu instid0(VALU_DEP_1) | instskip(SKIP_1) | instid1(VALU_DEP_2)
	v_mov_b32_e32 v63, v59
	v_pk_mul_f32 v[58:59], v[60:61], v[50:51] op_sel:[0,1]
	v_pk_add_f32 v[4:5], v[4:5], v[62:63] neg_lo:[0,1] neg_hi:[0,1]
	s_delay_alu instid0(VALU_DEP_2) | instskip(SKIP_1) | instid1(VALU_DEP_1)
	v_pk_fma_f32 v[62:63], v[60:61], v[48:49], v[58:59] op_sel:[0,0,1] op_sel_hi:[1,1,0] neg_lo:[0,0,1] neg_hi:[0,0,1]
	v_pk_fma_f32 v[58:59], v[60:61], v[48:49], v[58:59] op_sel:[0,0,1] op_sel_hi:[1,0,0]
	v_mov_b32_e32 v63, v59
	ds_load_2addr_b64 v[58:61], v52 offset0:13 offset1:14
	v_pk_add_f32 v[28:29], v[28:29], v[62:63] neg_lo:[0,1] neg_hi:[0,1]
	s_wait_dscnt 0x0
	v_pk_mul_f32 v[62:63], v[58:59], v[50:51] op_sel:[0,1]
	s_delay_alu instid0(VALU_DEP_1) | instskip(SKIP_1) | instid1(VALU_DEP_1)
	v_pk_fma_f32 v[64:65], v[58:59], v[48:49], v[62:63] op_sel:[0,0,1] op_sel_hi:[1,1,0] neg_lo:[0,0,1] neg_hi:[0,0,1]
	v_pk_fma_f32 v[58:59], v[58:59], v[48:49], v[62:63] op_sel:[0,0,1] op_sel_hi:[1,0,0]
	v_mov_b32_e32 v65, v59
	v_pk_mul_f32 v[58:59], v[60:61], v[50:51] op_sel:[0,1]
	s_delay_alu instid0(VALU_DEP_2) | instskip(NEXT) | instid1(VALU_DEP_2)
	v_pk_add_f32 v[24:25], v[24:25], v[64:65] neg_lo:[0,1] neg_hi:[0,1]
	v_pk_fma_f32 v[62:63], v[60:61], v[48:49], v[58:59] op_sel:[0,0,1] op_sel_hi:[1,1,0] neg_lo:[0,0,1] neg_hi:[0,0,1]
	v_pk_fma_f32 v[58:59], v[60:61], v[48:49], v[58:59] op_sel:[0,0,1] op_sel_hi:[1,0,0]
	s_delay_alu instid0(VALU_DEP_1) | instskip(SKIP_4) | instid1(VALU_DEP_1)
	v_mov_b32_e32 v63, v59
	ds_load_2addr_b64 v[58:61], v52 offset0:15 offset1:16
	v_pk_add_f32 v[26:27], v[26:27], v[62:63] neg_lo:[0,1] neg_hi:[0,1]
	s_wait_dscnt 0x0
	v_pk_mul_f32 v[62:63], v[58:59], v[50:51] op_sel:[0,1]
	v_pk_fma_f32 v[64:65], v[58:59], v[48:49], v[62:63] op_sel:[0,0,1] op_sel_hi:[1,1,0] neg_lo:[0,0,1] neg_hi:[0,0,1]
	v_pk_fma_f32 v[58:59], v[58:59], v[48:49], v[62:63] op_sel:[0,0,1] op_sel_hi:[1,0,0]
	v_dual_mul_f32 v62, v61, v51 :: v_dual_mov_b32 v58, v61
	s_delay_alu instid0(VALU_DEP_2) | instskip(NEXT) | instid1(VALU_DEP_2)
	v_dual_mov_b32 v65, v59 :: v_dual_mov_b32 v59, v60
	v_pk_fma_f32 v[62:63], v[60:61], v[42:43], v[62:63] op_sel_hi:[1,1,0] neg_lo:[0,0,1] neg_hi:[0,0,1]
	v_mul_f32_e32 v60, v61, v48
	s_delay_alu instid0(VALU_DEP_3) | instskip(NEXT) | instid1(VALU_DEP_2)
	v_pk_add_f32 v[22:23], v[22:23], v[64:65] neg_lo:[0,1] neg_hi:[0,1]
	v_pk_fma_f32 v[58:59], v[58:59], v[42:43], v[60:61] op_sel_hi:[1,1,0]
	s_delay_alu instid0(VALU_DEP_1) | instskip(SKIP_4) | instid1(VALU_DEP_1)
	v_mov_b32_e32 v63, v59
	ds_load_2addr_b64 v[58:61], v52 offset0:17 offset1:18
	v_pk_add_f32 v[20:21], v[20:21], v[62:63] neg_lo:[0,1] neg_hi:[0,1]
	s_wait_dscnt 0x0
	v_pk_mul_f32 v[62:63], v[58:59], v[50:51] op_sel:[0,1]
	v_pk_fma_f32 v[64:65], v[58:59], v[48:49], v[62:63] op_sel:[0,0,1] op_sel_hi:[1,1,0] neg_lo:[0,0,1] neg_hi:[0,0,1]
	v_pk_fma_f32 v[58:59], v[58:59], v[48:49], v[62:63] op_sel:[0,0,1] op_sel_hi:[1,0,0]
	s_delay_alu instid0(VALU_DEP_1) | instskip(SKIP_1) | instid1(VALU_DEP_1)
	v_mov_b32_e32 v65, v59
	v_pk_mul_f32 v[58:59], v[60:61], v[50:51] op_sel:[0,1]
	v_pk_fma_f32 v[62:63], v[60:61], v[48:49], v[58:59] op_sel:[0,0,1] op_sel_hi:[1,1,0] neg_lo:[0,0,1] neg_hi:[0,0,1]
	v_pk_fma_f32 v[58:59], v[60:61], v[48:49], v[58:59] op_sel:[0,0,1] op_sel_hi:[1,0,0]
	s_delay_alu instid0(VALU_DEP_1)
	v_mov_b32_e32 v63, v59
	ds_load_2addr_b64 v[58:61], v52 offset0:19 offset1:20
	v_pk_add_f32 v[34:35], v[34:35], v[64:65] neg_lo:[0,1] neg_hi:[0,1]
	v_pk_add_f32 v[32:33], v[32:33], v[62:63] neg_lo:[0,1] neg_hi:[0,1]
	s_wait_dscnt 0x0
	v_pk_mul_f32 v[62:63], v[58:59], v[50:51] op_sel:[0,1]
	v_mul_f32_e32 v50, v61, v51
	s_delay_alu instid0(VALU_DEP_2) | instskip(SKIP_2) | instid1(VALU_DEP_4)
	v_pk_fma_f32 v[64:65], v[58:59], v[48:49], v[62:63] op_sel:[0,0,1] op_sel_hi:[1,1,0] neg_lo:[0,0,1] neg_hi:[0,0,1]
	v_pk_fma_f32 v[58:59], v[58:59], v[48:49], v[62:63] op_sel:[0,0,1] op_sel_hi:[1,0,0]
	v_dual_mov_b32 v58, v61 :: v_dual_mul_f32 v48, v61, v48
	v_pk_fma_f32 v[50:51], v[60:61], v[42:43], v[50:51] op_sel_hi:[1,1,0] neg_lo:[0,0,1] neg_hi:[0,0,1]
	s_delay_alu instid0(VALU_DEP_3) | instskip(NEXT) | instid1(VALU_DEP_1)
	v_dual_mov_b32 v65, v59 :: v_dual_mov_b32 v59, v60
	v_pk_add_f32 v[30:31], v[30:31], v[64:65] neg_lo:[0,1] neg_hi:[0,1]
	s_delay_alu instid0(VALU_DEP_2) | instskip(NEXT) | instid1(VALU_DEP_1)
	v_pk_fma_f32 v[48:49], v[58:59], v[42:43], v[48:49] op_sel_hi:[1,1,0]
	v_mov_b32_e32 v51, v49
	s_delay_alu instid0(VALU_DEP_1)
	v_pk_add_f32 v[46:47], v[46:47], v[50:51] neg_lo:[0,1] neg_hi:[0,1]
.LBB40_62:
	s_or_b32 exec_lo, exec_lo, s0
	v_lshl_add_u32 v48, v56, 3, v52
	s_barrier_signal -1
	s_barrier_wait -1
	ds_store_b64 v48, v[38:39]
	s_wait_dscnt 0x0
	s_barrier_signal -1
	s_barrier_wait -1
	ds_load_b64 v[50:51], v52 offset:24
	v_mov_b32_e32 v48, 3
	s_cmp_lt_i32 s14, 5
	s_cbranch_scc1 .LBB40_65
; %bb.63:
	v_mov_b32_e32 v48, 3
	v_add3_u32 v49, v53, 0, 32
	s_mov_b32 s0, 4
.LBB40_64:                              ; =>This Inner Loop Header: Depth=1
	ds_load_b64 v[58:59], v49
	s_wait_dscnt 0x1
	v_cmp_gt_f32_e32 vcc_lo, 0, v50
	v_cndmask_b32_e64 v60, v50, -v50, vcc_lo
	v_cmp_gt_f32_e32 vcc_lo, 0, v51
	v_cndmask_b32_e64 v62, v51, -v51, vcc_lo
	s_wait_dscnt 0x0
	v_cmp_gt_f32_e32 vcc_lo, 0, v58
	v_cndmask_b32_e64 v61, v58, -v58, vcc_lo
	v_cmp_gt_f32_e32 vcc_lo, 0, v59
	v_cndmask_b32_e64 v63, v59, -v59, vcc_lo
	s_delay_alu instid0(VALU_DEP_1) | instskip(NEXT) | instid1(VALU_DEP_1)
	v_pk_add_f32 v[60:61], v[60:61], v[62:63]
	v_cmp_lt_f32_e32 vcc_lo, v60, v61
	v_dual_add_nc_u32 v49, 8, v49 :: v_dual_cndmask_b32 v51, v51, v59, vcc_lo
	v_cndmask_b32_e32 v50, v50, v58, vcc_lo
	v_cndmask_b32_e64 v48, v48, s0, vcc_lo
	s_add_co_i32 s0, s0, 1
	s_delay_alu instid0(SALU_CYCLE_1)
	s_cmp_lg_u32 s14, s0
	s_cbranch_scc1 .LBB40_64
.LBB40_65:
	s_wait_dscnt 0x0
	v_cmp_eq_f32_e32 vcc_lo, 0, v50
	v_cmp_eq_f32_e64 s0, 0, v51
	s_and_b32 s0, vcc_lo, s0
	s_delay_alu instid0(SALU_CYCLE_1) | instskip(NEXT) | instid1(SALU_CYCLE_1)
	s_and_saveexec_b32 s1, s0
	s_xor_b32 s0, exec_lo, s1
; %bb.66:
	v_cmp_ne_u32_e32 vcc_lo, 0, v54
	v_cndmask_b32_e32 v54, 4, v54, vcc_lo
; %bb.67:
	s_and_not1_saveexec_b32 s0, s0
	s_cbranch_execz .LBB40_73
; %bb.68:
	v_cmp_ngt_f32_e64 s1, |v50|, |v51|
	s_and_saveexec_b32 s15, s1
	s_delay_alu instid0(SALU_CYCLE_1)
	s_xor_b32 s1, exec_lo, s15
	s_cbranch_execz .LBB40_70
; %bb.69:
	v_div_scale_f32 v49, null, v51, v51, v50
	v_div_scale_f32 v59, vcc_lo, v50, v51, v50
	s_delay_alu instid0(VALU_DEP_2) | instskip(SKIP_1) | instid1(TRANS32_DEP_1)
	v_rcp_f32_e32 v57, v49
	v_nop
	v_fma_f32 v58, -v49, v57, 1.0
	s_delay_alu instid0(VALU_DEP_1) | instskip(NEXT) | instid1(VALU_DEP_1)
	v_fmac_f32_e32 v57, v58, v57
	v_mul_f32_e32 v58, v59, v57
	s_delay_alu instid0(VALU_DEP_1) | instskip(NEXT) | instid1(VALU_DEP_1)
	v_fma_f32 v60, -v49, v58, v59
	v_fmac_f32_e32 v58, v60, v57
	s_delay_alu instid0(VALU_DEP_1) | instskip(NEXT) | instid1(VALU_DEP_1)
	v_fma_f32 v49, -v49, v58, v59
	v_div_fmas_f32 v49, v49, v57, v58
	s_delay_alu instid0(VALU_DEP_1) | instskip(NEXT) | instid1(VALU_DEP_1)
	v_div_fixup_f32 v49, v49, v51, v50
	v_fmac_f32_e32 v51, v50, v49
	s_delay_alu instid0(VALU_DEP_1) | instskip(SKIP_1) | instid1(VALU_DEP_2)
	v_div_scale_f32 v50, null, v51, v51, 1.0
	v_div_scale_f32 v59, vcc_lo, 1.0, v51, 1.0
	v_rcp_f32_e32 v57, v50
	v_nop
	s_delay_alu instid0(TRANS32_DEP_1) | instskip(NEXT) | instid1(VALU_DEP_1)
	v_fma_f32 v58, -v50, v57, 1.0
	v_fmac_f32_e32 v57, v58, v57
	s_delay_alu instid0(VALU_DEP_1) | instskip(NEXT) | instid1(VALU_DEP_1)
	v_mul_f32_e32 v58, v59, v57
	v_fma_f32 v60, -v50, v58, v59
	s_delay_alu instid0(VALU_DEP_1) | instskip(NEXT) | instid1(VALU_DEP_1)
	v_fmac_f32_e32 v58, v60, v57
	v_fma_f32 v50, -v50, v58, v59
	s_delay_alu instid0(VALU_DEP_1) | instskip(NEXT) | instid1(VALU_DEP_1)
	v_div_fmas_f32 v50, v50, v57, v58
	v_div_fixup_f32 v51, v50, v51, 1.0
	s_delay_alu instid0(VALU_DEP_1)
	v_mul_f32_e32 v50, v49, v51
	v_xor_b32_e32 v51, 0x80000000, v51
.LBB40_70:
	s_and_not1_saveexec_b32 s1, s1
	s_cbranch_execz .LBB40_72
; %bb.71:
	s_delay_alu instid0(VALU_DEP_1) | instskip(SKIP_1) | instid1(VALU_DEP_2)
	v_div_scale_f32 v49, null, v50, v50, v51
	v_div_scale_f32 v59, vcc_lo, v51, v50, v51
	v_rcp_f32_e32 v57, v49
	v_nop
	s_delay_alu instid0(TRANS32_DEP_1) | instskip(NEXT) | instid1(VALU_DEP_1)
	v_fma_f32 v58, -v49, v57, 1.0
	v_fmac_f32_e32 v57, v58, v57
	s_delay_alu instid0(VALU_DEP_1) | instskip(NEXT) | instid1(VALU_DEP_1)
	v_mul_f32_e32 v58, v59, v57
	v_fma_f32 v60, -v49, v58, v59
	s_delay_alu instid0(VALU_DEP_1) | instskip(NEXT) | instid1(VALU_DEP_1)
	v_fmac_f32_e32 v58, v60, v57
	v_fma_f32 v49, -v49, v58, v59
	s_delay_alu instid0(VALU_DEP_1) | instskip(NEXT) | instid1(VALU_DEP_1)
	v_div_fmas_f32 v49, v49, v57, v58
	v_div_fixup_f32 v49, v49, v50, v51
	s_delay_alu instid0(VALU_DEP_1) | instskip(NEXT) | instid1(VALU_DEP_1)
	v_fmac_f32_e32 v50, v51, v49
	v_div_scale_f32 v51, null, v50, v50, 1.0
	s_delay_alu instid0(VALU_DEP_1) | instskip(SKIP_1) | instid1(TRANS32_DEP_1)
	v_rcp_f32_e32 v57, v51
	v_nop
	v_fma_f32 v58, -v51, v57, 1.0
	s_delay_alu instid0(VALU_DEP_1) | instskip(SKIP_1) | instid1(VALU_DEP_1)
	v_fmac_f32_e32 v57, v58, v57
	v_div_scale_f32 v58, vcc_lo, 1.0, v50, 1.0
	v_mul_f32_e32 v59, v58, v57
	s_delay_alu instid0(VALU_DEP_1) | instskip(NEXT) | instid1(VALU_DEP_1)
	v_fma_f32 v60, -v51, v59, v58
	v_fmac_f32_e32 v59, v60, v57
	s_delay_alu instid0(VALU_DEP_1) | instskip(NEXT) | instid1(VALU_DEP_1)
	v_fma_f32 v51, -v51, v59, v58
	v_div_fmas_f32 v51, v51, v57, v59
	s_delay_alu instid0(VALU_DEP_1) | instskip(NEXT) | instid1(VALU_DEP_1)
	v_div_fixup_f32 v50, v51, v50, 1.0
	v_mul_f32_e64 v51, v49, -v50
.LBB40_72:
	s_or_b32 exec_lo, exec_lo, s1
.LBB40_73:
	s_delay_alu instid0(SALU_CYCLE_1) | instskip(NEXT) | instid1(SALU_CYCLE_1)
	s_or_b32 exec_lo, exec_lo, s0
	s_mov_b32 s0, exec_lo
	v_cmpx_ne_u32_e64 v56, v48
	s_xor_b32 s0, exec_lo, s0
	s_cbranch_execz .LBB40_79
; %bb.74:
	s_mov_b32 s1, exec_lo
	v_cmpx_eq_u32_e32 3, v56
	s_cbranch_execz .LBB40_78
; %bb.75:
	v_cmp_ne_u32_e32 vcc_lo, 3, v48
	s_xor_b32 s15, s12, -1
	s_delay_alu instid0(SALU_CYCLE_1) | instskip(NEXT) | instid1(SALU_CYCLE_1)
	s_and_b32 s16, s15, vcc_lo
	s_and_saveexec_b32 s15, s16
	s_cbranch_execz .LBB40_77
; %bb.76:
	v_ashrrev_i32_e32 v49, 31, v48
	s_delay_alu instid0(VALU_DEP_1)
	v_lshl_add_u64 v[56:57], v[48:49], 2, v[36:37]
	s_clause 0x1
	global_load_b32 v49, v[56:57], off
	global_load_b32 v55, v[36:37], off offset:12
	s_wait_loadcnt 0x1
	global_store_b32 v[36:37], v49, off offset:12
	s_wait_loadcnt 0x0
	global_store_b32 v[56:57], v55, off
.LBB40_77:
	s_wait_xcnt 0x0
	s_or_b32 exec_lo, exec_lo, s15
	v_dual_mov_b32 v56, v48 :: v_dual_mov_b32 v55, v48
.LBB40_78:
	s_or_b32 exec_lo, exec_lo, s1
.LBB40_79:
	s_and_not1_saveexec_b32 s0, s0
	s_cbranch_execz .LBB40_81
; %bb.80:
	v_dual_mov_b32 v48, v18 :: v_dual_mov_b32 v49, v19
	v_dual_mov_b32 v56, v14 :: v_dual_mov_b32 v57, v15
	;; [unrolled: 1-line block ×8, first 2 shown]
	ds_store_2addr_b64 v52, v[48:49], v[56:57] offset0:4 offset1:5
	ds_store_2addr_b64 v52, v[58:59], v[60:61] offset0:6 offset1:7
	;; [unrolled: 1-line block ×4, first 2 shown]
	v_dual_mov_b32 v48, v28 :: v_dual_mov_b32 v49, v29
	v_dual_mov_b32 v58, v24 :: v_dual_mov_b32 v59, v25
	;; [unrolled: 1-line block ×8, first 2 shown]
	v_mov_b32_e32 v71, v31
	ds_store_2addr_b64 v52, v[48:49], v[58:59] offset0:12 offset1:13
	ds_store_2addr_b64 v52, v[60:61], v[62:63] offset0:14 offset1:15
	;; [unrolled: 1-line block ×4, first 2 shown]
	ds_store_b64 v52, v[46:47] offset:160
.LBB40_81:
	s_or_b32 exec_lo, exec_lo, s0
	s_delay_alu instid0(SALU_CYCLE_1)
	s_mov_b32 s0, exec_lo
	s_wait_storecnt_dscnt 0x0
	s_barrier_signal -1
	s_barrier_wait -1
	v_cmpx_lt_i32_e32 3, v56
	s_cbranch_execz .LBB40_83
; %bb.82:
	v_pk_mul_f32 v[58:59], v[50:51], v[38:39] op_sel:[1,1] op_sel_hi:[0,1]
	s_delay_alu instid0(VALU_DEP_1)
	v_pk_fma_f32 v[48:49], v[50:51], v[38:39], v[58:59] op_sel_hi:[1,0,1] neg_lo:[0,0,1] neg_hi:[0,0,1]
	v_pk_fma_f32 v[50:51], v[50:51], v[38:39], v[58:59] op_sel_hi:[1,0,1]
	ds_load_2addr_b64 v[58:61], v52 offset0:4 offset1:5
	v_dual_mov_b32 v38, v48 :: v_dual_mov_b32 v39, v51
	s_wait_dscnt 0x0
	v_pk_mul_f32 v[62:63], v[58:59], v[50:51] op_sel:[0,1]
	s_delay_alu instid0(VALU_DEP_1) | instskip(SKIP_1) | instid1(VALU_DEP_1)
	v_pk_fma_f32 v[64:65], v[58:59], v[48:49], v[62:63] op_sel:[0,0,1] op_sel_hi:[1,1,0] neg_lo:[0,0,1] neg_hi:[0,0,1]
	v_pk_fma_f32 v[58:59], v[58:59], v[48:49], v[62:63] op_sel:[0,0,1] op_sel_hi:[1,0,0]
	v_mov_b32_e32 v65, v59
	v_pk_mul_f32 v[58:59], v[60:61], v[50:51] op_sel:[0,1]
	s_delay_alu instid0(VALU_DEP_1) | instskip(SKIP_1) | instid1(VALU_DEP_1)
	v_pk_fma_f32 v[62:63], v[60:61], v[48:49], v[58:59] op_sel:[0,0,1] op_sel_hi:[1,1,0] neg_lo:[0,0,1] neg_hi:[0,0,1]
	v_pk_fma_f32 v[58:59], v[60:61], v[48:49], v[58:59] op_sel:[0,0,1] op_sel_hi:[1,0,0]
	v_mov_b32_e32 v63, v59
	ds_load_2addr_b64 v[58:61], v52 offset0:6 offset1:7
	v_pk_add_f32 v[18:19], v[18:19], v[64:65] neg_lo:[0,1] neg_hi:[0,1]
	v_pk_add_f32 v[14:15], v[14:15], v[62:63] neg_lo:[0,1] neg_hi:[0,1]
	s_wait_dscnt 0x0
	v_pk_mul_f32 v[62:63], v[58:59], v[50:51] op_sel:[0,1]
	s_delay_alu instid0(VALU_DEP_1) | instskip(SKIP_2) | instid1(VALU_DEP_2)
	v_pk_fma_f32 v[64:65], v[58:59], v[48:49], v[62:63] op_sel:[0,0,1] op_sel_hi:[1,1,0] neg_lo:[0,0,1] neg_hi:[0,0,1]
	v_pk_fma_f32 v[58:59], v[58:59], v[48:49], v[62:63] op_sel:[0,0,1] op_sel_hi:[1,0,0]
	v_dual_mul_f32 v62, v61, v51 :: v_dual_mov_b32 v58, v61
	v_dual_mov_b32 v65, v59 :: v_dual_mov_b32 v59, v60
	s_delay_alu instid0(VALU_DEP_2) | instskip(SKIP_1) | instid1(VALU_DEP_3)
	v_pk_fma_f32 v[62:63], v[60:61], v[38:39], v[62:63] op_sel_hi:[1,1,0] neg_lo:[0,0,1] neg_hi:[0,0,1]
	v_mul_f32_e32 v60, v61, v48
	v_pk_add_f32 v[16:17], v[16:17], v[64:65] neg_lo:[0,1] neg_hi:[0,1]
	s_delay_alu instid0(VALU_DEP_2) | instskip(NEXT) | instid1(VALU_DEP_1)
	v_pk_fma_f32 v[58:59], v[58:59], v[38:39], v[60:61] op_sel_hi:[1,1,0]
	v_mov_b32_e32 v63, v59
	ds_load_2addr_b64 v[58:61], v52 offset0:8 offset1:9
	v_pk_add_f32 v[12:13], v[12:13], v[62:63] neg_lo:[0,1] neg_hi:[0,1]
	s_wait_dscnt 0x0
	v_pk_mul_f32 v[62:63], v[58:59], v[50:51] op_sel:[0,1]
	s_delay_alu instid0(VALU_DEP_1) | instskip(SKIP_1) | instid1(VALU_DEP_1)
	v_pk_fma_f32 v[64:65], v[58:59], v[48:49], v[62:63] op_sel:[0,0,1] op_sel_hi:[1,1,0] neg_lo:[0,0,1] neg_hi:[0,0,1]
	v_pk_fma_f32 v[58:59], v[58:59], v[48:49], v[62:63] op_sel:[0,0,1] op_sel_hi:[1,0,0]
	v_mov_b32_e32 v65, v59
	v_pk_mul_f32 v[58:59], v[60:61], v[50:51] op_sel:[0,1]
	s_delay_alu instid0(VALU_DEP_1) | instskip(SKIP_1) | instid1(VALU_DEP_1)
	v_pk_fma_f32 v[62:63], v[60:61], v[48:49], v[58:59] op_sel:[0,0,1] op_sel_hi:[1,1,0] neg_lo:[0,0,1] neg_hi:[0,0,1]
	v_pk_fma_f32 v[58:59], v[60:61], v[48:49], v[58:59] op_sel:[0,0,1] op_sel_hi:[1,0,0]
	v_mov_b32_e32 v63, v59
	ds_load_2addr_b64 v[58:61], v52 offset0:10 offset1:11
	v_pk_add_f32 v[10:11], v[10:11], v[64:65] neg_lo:[0,1] neg_hi:[0,1]
	v_pk_add_f32 v[6:7], v[6:7], v[62:63] neg_lo:[0,1] neg_hi:[0,1]
	s_wait_dscnt 0x0
	v_pk_mul_f32 v[62:63], v[58:59], v[50:51] op_sel:[0,1]
	s_delay_alu instid0(VALU_DEP_1) | instskip(SKIP_1) | instid1(VALU_DEP_1)
	v_pk_fma_f32 v[64:65], v[58:59], v[48:49], v[62:63] op_sel:[0,0,1] op_sel_hi:[1,1,0] neg_lo:[0,0,1] neg_hi:[0,0,1]
	v_pk_fma_f32 v[58:59], v[58:59], v[48:49], v[62:63] op_sel:[0,0,1] op_sel_hi:[1,0,0]
	v_mov_b32_e32 v65, v59
	v_pk_mul_f32 v[58:59], v[60:61], v[50:51] op_sel:[0,1]
	s_delay_alu instid0(VALU_DEP_1) | instskip(SKIP_1) | instid1(VALU_DEP_1)
	v_pk_fma_f32 v[62:63], v[60:61], v[48:49], v[58:59] op_sel:[0,0,1] op_sel_hi:[1,1,0] neg_lo:[0,0,1] neg_hi:[0,0,1]
	v_pk_fma_f32 v[58:59], v[60:61], v[48:49], v[58:59] op_sel:[0,0,1] op_sel_hi:[1,0,0]
	v_mov_b32_e32 v63, v59
	ds_load_2addr_b64 v[58:61], v52 offset0:12 offset1:13
	v_pk_add_f32 v[8:9], v[8:9], v[64:65] neg_lo:[0,1] neg_hi:[0,1]
	v_pk_add_f32 v[4:5], v[4:5], v[62:63] neg_lo:[0,1] neg_hi:[0,1]
	s_wait_dscnt 0x0
	v_dual_mul_f32 v62, v59, v51 :: v_dual_mul_f32 v64, v59, v48
	s_delay_alu instid0(VALU_DEP_1) | instskip(NEXT) | instid1(VALU_DEP_2)
	v_pk_fma_f32 v[62:63], v[58:59], v[38:39], v[62:63] op_sel_hi:[1,1,0] neg_lo:[0,0,1] neg_hi:[0,0,1]
	v_pk_fma_f32 v[58:59], v[58:59], v[38:39], v[64:65] op_sel:[1,0,0] op_sel_hi:[0,1,0]
	s_delay_alu instid0(VALU_DEP_1) | instskip(SKIP_1) | instid1(VALU_DEP_2)
	v_mov_b32_e32 v63, v59
	v_pk_mul_f32 v[58:59], v[60:61], v[50:51] op_sel:[0,1]
	v_pk_add_f32 v[28:29], v[28:29], v[62:63] neg_lo:[0,1] neg_hi:[0,1]
	s_delay_alu instid0(VALU_DEP_2) | instskip(SKIP_1) | instid1(VALU_DEP_1)
	v_pk_fma_f32 v[62:63], v[60:61], v[48:49], v[58:59] op_sel:[0,0,1] op_sel_hi:[1,1,0] neg_lo:[0,0,1] neg_hi:[0,0,1]
	v_pk_fma_f32 v[58:59], v[60:61], v[48:49], v[58:59] op_sel:[0,0,1] op_sel_hi:[1,0,0]
	v_mov_b32_e32 v63, v59
	ds_load_2addr_b64 v[58:61], v52 offset0:14 offset1:15
	v_pk_add_f32 v[24:25], v[24:25], v[62:63] neg_lo:[0,1] neg_hi:[0,1]
	s_wait_dscnt 0x0
	v_pk_mul_f32 v[62:63], v[58:59], v[50:51] op_sel:[0,1]
	s_delay_alu instid0(VALU_DEP_1) | instskip(SKIP_1) | instid1(VALU_DEP_1)
	v_pk_fma_f32 v[64:65], v[58:59], v[48:49], v[62:63] op_sel:[0,0,1] op_sel_hi:[1,1,0] neg_lo:[0,0,1] neg_hi:[0,0,1]
	v_pk_fma_f32 v[58:59], v[58:59], v[48:49], v[62:63] op_sel:[0,0,1] op_sel_hi:[1,0,0]
	v_mov_b32_e32 v65, v59
	v_pk_mul_f32 v[58:59], v[60:61], v[50:51] op_sel:[0,1]
	s_delay_alu instid0(VALU_DEP_2) | instskip(NEXT) | instid1(VALU_DEP_2)
	v_pk_add_f32 v[26:27], v[26:27], v[64:65] neg_lo:[0,1] neg_hi:[0,1]
	v_pk_fma_f32 v[62:63], v[60:61], v[48:49], v[58:59] op_sel:[0,0,1] op_sel_hi:[1,1,0] neg_lo:[0,0,1] neg_hi:[0,0,1]
	v_pk_fma_f32 v[58:59], v[60:61], v[48:49], v[58:59] op_sel:[0,0,1] op_sel_hi:[1,0,0]
	s_delay_alu instid0(VALU_DEP_1) | instskip(SKIP_4) | instid1(VALU_DEP_1)
	v_mov_b32_e32 v63, v59
	ds_load_2addr_b64 v[58:61], v52 offset0:16 offset1:17
	v_pk_add_f32 v[22:23], v[22:23], v[62:63] neg_lo:[0,1] neg_hi:[0,1]
	s_wait_dscnt 0x0
	v_pk_mul_f32 v[62:63], v[58:59], v[50:51] op_sel:[0,1]
	v_pk_fma_f32 v[64:65], v[58:59], v[48:49], v[62:63] op_sel:[0,0,1] op_sel_hi:[1,1,0] neg_lo:[0,0,1] neg_hi:[0,0,1]
	v_pk_fma_f32 v[58:59], v[58:59], v[48:49], v[62:63] op_sel:[0,0,1] op_sel_hi:[1,0,0]
	v_dual_mul_f32 v62, v61, v51 :: v_dual_mov_b32 v58, v61
	s_delay_alu instid0(VALU_DEP_2) | instskip(NEXT) | instid1(VALU_DEP_2)
	v_dual_mov_b32 v65, v59 :: v_dual_mov_b32 v59, v60
	v_pk_fma_f32 v[62:63], v[60:61], v[38:39], v[62:63] op_sel_hi:[1,1,0] neg_lo:[0,0,1] neg_hi:[0,0,1]
	v_mul_f32_e32 v60, v61, v48
	s_delay_alu instid0(VALU_DEP_3) | instskip(NEXT) | instid1(VALU_DEP_2)
	v_pk_add_f32 v[20:21], v[20:21], v[64:65] neg_lo:[0,1] neg_hi:[0,1]
	v_pk_fma_f32 v[58:59], v[58:59], v[38:39], v[60:61] op_sel_hi:[1,1,0]
	s_delay_alu instid0(VALU_DEP_1) | instskip(SKIP_4) | instid1(VALU_DEP_1)
	v_mov_b32_e32 v63, v59
	ds_load_2addr_b64 v[58:61], v52 offset0:18 offset1:19
	v_pk_add_f32 v[34:35], v[34:35], v[62:63] neg_lo:[0,1] neg_hi:[0,1]
	s_wait_dscnt 0x0
	v_pk_mul_f32 v[62:63], v[58:59], v[50:51] op_sel:[0,1]
	v_pk_fma_f32 v[64:65], v[58:59], v[48:49], v[62:63] op_sel:[0,0,1] op_sel_hi:[1,1,0] neg_lo:[0,0,1] neg_hi:[0,0,1]
	v_pk_fma_f32 v[58:59], v[58:59], v[48:49], v[62:63] op_sel:[0,0,1] op_sel_hi:[1,0,0]
	s_delay_alu instid0(VALU_DEP_1) | instskip(SKIP_1) | instid1(VALU_DEP_1)
	v_mov_b32_e32 v65, v59
	v_pk_mul_f32 v[58:59], v[60:61], v[50:51] op_sel:[0,1]
	v_pk_fma_f32 v[62:63], v[60:61], v[48:49], v[58:59] op_sel:[0,0,1] op_sel_hi:[1,1,0] neg_lo:[0,0,1] neg_hi:[0,0,1]
	v_pk_fma_f32 v[58:59], v[60:61], v[48:49], v[58:59] op_sel:[0,0,1] op_sel_hi:[1,0,0]
	s_delay_alu instid0(VALU_DEP_1)
	v_mov_b32_e32 v63, v59
	ds_load_b64 v[58:59], v52 offset:160
	v_pk_add_f32 v[32:33], v[32:33], v[64:65] neg_lo:[0,1] neg_hi:[0,1]
	v_pk_add_f32 v[30:31], v[30:31], v[62:63] neg_lo:[0,1] neg_hi:[0,1]
	s_wait_dscnt 0x0
	v_pk_mul_f32 v[50:51], v[58:59], v[50:51] op_sel:[0,1]
	s_delay_alu instid0(VALU_DEP_1) | instskip(SKIP_1) | instid1(VALU_DEP_1)
	v_pk_fma_f32 v[60:61], v[58:59], v[48:49], v[50:51] op_sel:[0,0,1] op_sel_hi:[1,1,0] neg_lo:[0,0,1] neg_hi:[0,0,1]
	v_pk_fma_f32 v[48:49], v[58:59], v[48:49], v[50:51] op_sel:[0,0,1] op_sel_hi:[1,0,0]
	v_mov_b32_e32 v61, v49
	s_delay_alu instid0(VALU_DEP_1)
	v_pk_add_f32 v[46:47], v[46:47], v[60:61] neg_lo:[0,1] neg_hi:[0,1]
.LBB40_83:
	s_or_b32 exec_lo, exec_lo, s0
	v_lshl_add_u32 v48, v56, 3, v52
	s_barrier_signal -1
	s_barrier_wait -1
	ds_store_b64 v48, v[18:19]
	s_wait_dscnt 0x0
	s_barrier_signal -1
	s_barrier_wait -1
	ds_load_b64 v[50:51], v52 offset:32
	v_mov_b32_e32 v48, 4
	s_cmp_lt_i32 s14, 6
	s_cbranch_scc1 .LBB40_86
; %bb.84:
	v_add3_u32 v49, v53, 0, 40
	v_mov_b32_e32 v48, 4
	s_mov_b32 s0, 5
.LBB40_85:                              ; =>This Inner Loop Header: Depth=1
	ds_load_b64 v[58:59], v49
	s_wait_dscnt 0x1
	v_cmp_gt_f32_e32 vcc_lo, 0, v50
	v_cndmask_b32_e64 v60, v50, -v50, vcc_lo
	v_cmp_gt_f32_e32 vcc_lo, 0, v51
	v_cndmask_b32_e64 v62, v51, -v51, vcc_lo
	s_wait_dscnt 0x0
	v_cmp_gt_f32_e32 vcc_lo, 0, v58
	v_cndmask_b32_e64 v61, v58, -v58, vcc_lo
	v_cmp_gt_f32_e32 vcc_lo, 0, v59
	v_cndmask_b32_e64 v63, v59, -v59, vcc_lo
	s_delay_alu instid0(VALU_DEP_1) | instskip(NEXT) | instid1(VALU_DEP_1)
	v_pk_add_f32 v[60:61], v[60:61], v[62:63]
	v_cmp_lt_f32_e32 vcc_lo, v60, v61
	v_dual_add_nc_u32 v49, 8, v49 :: v_dual_cndmask_b32 v51, v51, v59, vcc_lo
	v_cndmask_b32_e32 v50, v50, v58, vcc_lo
	v_cndmask_b32_e64 v48, v48, s0, vcc_lo
	s_add_co_i32 s0, s0, 1
	s_delay_alu instid0(SALU_CYCLE_1)
	s_cmp_lg_u32 s14, s0
	s_cbranch_scc1 .LBB40_85
.LBB40_86:
	s_wait_dscnt 0x0
	v_cmp_eq_f32_e32 vcc_lo, 0, v50
	v_cmp_eq_f32_e64 s0, 0, v51
	s_and_b32 s0, vcc_lo, s0
	s_delay_alu instid0(SALU_CYCLE_1) | instskip(NEXT) | instid1(SALU_CYCLE_1)
	s_and_saveexec_b32 s1, s0
	s_xor_b32 s0, exec_lo, s1
; %bb.87:
	v_cmp_ne_u32_e32 vcc_lo, 0, v54
	v_cndmask_b32_e32 v54, 5, v54, vcc_lo
; %bb.88:
	s_and_not1_saveexec_b32 s0, s0
	s_cbranch_execz .LBB40_94
; %bb.89:
	v_cmp_ngt_f32_e64 s1, |v50|, |v51|
	s_and_saveexec_b32 s15, s1
	s_delay_alu instid0(SALU_CYCLE_1)
	s_xor_b32 s1, exec_lo, s15
	s_cbranch_execz .LBB40_91
; %bb.90:
	v_div_scale_f32 v49, null, v51, v51, v50
	v_div_scale_f32 v59, vcc_lo, v50, v51, v50
	s_delay_alu instid0(VALU_DEP_2) | instskip(SKIP_1) | instid1(TRANS32_DEP_1)
	v_rcp_f32_e32 v57, v49
	v_nop
	v_fma_f32 v58, -v49, v57, 1.0
	s_delay_alu instid0(VALU_DEP_1) | instskip(NEXT) | instid1(VALU_DEP_1)
	v_fmac_f32_e32 v57, v58, v57
	v_mul_f32_e32 v58, v59, v57
	s_delay_alu instid0(VALU_DEP_1) | instskip(NEXT) | instid1(VALU_DEP_1)
	v_fma_f32 v60, -v49, v58, v59
	v_fmac_f32_e32 v58, v60, v57
	s_delay_alu instid0(VALU_DEP_1) | instskip(NEXT) | instid1(VALU_DEP_1)
	v_fma_f32 v49, -v49, v58, v59
	v_div_fmas_f32 v49, v49, v57, v58
	s_delay_alu instid0(VALU_DEP_1) | instskip(NEXT) | instid1(VALU_DEP_1)
	v_div_fixup_f32 v49, v49, v51, v50
	v_fmac_f32_e32 v51, v50, v49
	s_delay_alu instid0(VALU_DEP_1) | instskip(SKIP_1) | instid1(VALU_DEP_2)
	v_div_scale_f32 v50, null, v51, v51, 1.0
	v_div_scale_f32 v59, vcc_lo, 1.0, v51, 1.0
	v_rcp_f32_e32 v57, v50
	v_nop
	s_delay_alu instid0(TRANS32_DEP_1) | instskip(NEXT) | instid1(VALU_DEP_1)
	v_fma_f32 v58, -v50, v57, 1.0
	v_fmac_f32_e32 v57, v58, v57
	s_delay_alu instid0(VALU_DEP_1) | instskip(NEXT) | instid1(VALU_DEP_1)
	v_mul_f32_e32 v58, v59, v57
	v_fma_f32 v60, -v50, v58, v59
	s_delay_alu instid0(VALU_DEP_1) | instskip(NEXT) | instid1(VALU_DEP_1)
	v_fmac_f32_e32 v58, v60, v57
	v_fma_f32 v50, -v50, v58, v59
	s_delay_alu instid0(VALU_DEP_1) | instskip(NEXT) | instid1(VALU_DEP_1)
	v_div_fmas_f32 v50, v50, v57, v58
	v_div_fixup_f32 v51, v50, v51, 1.0
	s_delay_alu instid0(VALU_DEP_1)
	v_mul_f32_e32 v50, v49, v51
	v_xor_b32_e32 v51, 0x80000000, v51
.LBB40_91:
	s_and_not1_saveexec_b32 s1, s1
	s_cbranch_execz .LBB40_93
; %bb.92:
	s_delay_alu instid0(VALU_DEP_1) | instskip(SKIP_1) | instid1(VALU_DEP_2)
	v_div_scale_f32 v49, null, v50, v50, v51
	v_div_scale_f32 v59, vcc_lo, v51, v50, v51
	v_rcp_f32_e32 v57, v49
	v_nop
	s_delay_alu instid0(TRANS32_DEP_1) | instskip(NEXT) | instid1(VALU_DEP_1)
	v_fma_f32 v58, -v49, v57, 1.0
	v_fmac_f32_e32 v57, v58, v57
	s_delay_alu instid0(VALU_DEP_1) | instskip(NEXT) | instid1(VALU_DEP_1)
	v_mul_f32_e32 v58, v59, v57
	v_fma_f32 v60, -v49, v58, v59
	s_delay_alu instid0(VALU_DEP_1) | instskip(NEXT) | instid1(VALU_DEP_1)
	v_fmac_f32_e32 v58, v60, v57
	v_fma_f32 v49, -v49, v58, v59
	s_delay_alu instid0(VALU_DEP_1) | instskip(NEXT) | instid1(VALU_DEP_1)
	v_div_fmas_f32 v49, v49, v57, v58
	v_div_fixup_f32 v49, v49, v50, v51
	s_delay_alu instid0(VALU_DEP_1) | instskip(NEXT) | instid1(VALU_DEP_1)
	v_fmac_f32_e32 v50, v51, v49
	v_div_scale_f32 v51, null, v50, v50, 1.0
	s_delay_alu instid0(VALU_DEP_1) | instskip(SKIP_1) | instid1(TRANS32_DEP_1)
	v_rcp_f32_e32 v57, v51
	v_nop
	v_fma_f32 v58, -v51, v57, 1.0
	s_delay_alu instid0(VALU_DEP_1) | instskip(SKIP_1) | instid1(VALU_DEP_1)
	v_fmac_f32_e32 v57, v58, v57
	v_div_scale_f32 v58, vcc_lo, 1.0, v50, 1.0
	v_mul_f32_e32 v59, v58, v57
	s_delay_alu instid0(VALU_DEP_1) | instskip(NEXT) | instid1(VALU_DEP_1)
	v_fma_f32 v60, -v51, v59, v58
	v_fmac_f32_e32 v59, v60, v57
	s_delay_alu instid0(VALU_DEP_1) | instskip(NEXT) | instid1(VALU_DEP_1)
	v_fma_f32 v51, -v51, v59, v58
	v_div_fmas_f32 v51, v51, v57, v59
	s_delay_alu instid0(VALU_DEP_1) | instskip(NEXT) | instid1(VALU_DEP_1)
	v_div_fixup_f32 v50, v51, v50, 1.0
	v_mul_f32_e64 v51, v49, -v50
.LBB40_93:
	s_or_b32 exec_lo, exec_lo, s1
.LBB40_94:
	s_delay_alu instid0(SALU_CYCLE_1) | instskip(NEXT) | instid1(SALU_CYCLE_1)
	s_or_b32 exec_lo, exec_lo, s0
	s_mov_b32 s0, exec_lo
	v_cmpx_ne_u32_e64 v56, v48
	s_xor_b32 s0, exec_lo, s0
	s_cbranch_execz .LBB40_100
; %bb.95:
	s_mov_b32 s1, exec_lo
	v_cmpx_eq_u32_e32 4, v56
	s_cbranch_execz .LBB40_99
; %bb.96:
	v_cmp_ne_u32_e32 vcc_lo, 4, v48
	s_xor_b32 s15, s12, -1
	s_delay_alu instid0(SALU_CYCLE_1) | instskip(NEXT) | instid1(SALU_CYCLE_1)
	s_and_b32 s16, s15, vcc_lo
	s_and_saveexec_b32 s15, s16
	s_cbranch_execz .LBB40_98
; %bb.97:
	v_ashrrev_i32_e32 v49, 31, v48
	s_delay_alu instid0(VALU_DEP_1)
	v_lshl_add_u64 v[56:57], v[48:49], 2, v[36:37]
	s_clause 0x1
	global_load_b32 v49, v[56:57], off
	global_load_b32 v55, v[36:37], off offset:16
	s_wait_loadcnt 0x1
	global_store_b32 v[36:37], v49, off offset:16
	s_wait_loadcnt 0x0
	global_store_b32 v[56:57], v55, off
.LBB40_98:
	s_wait_xcnt 0x0
	s_or_b32 exec_lo, exec_lo, s15
	v_dual_mov_b32 v56, v48 :: v_dual_mov_b32 v55, v48
.LBB40_99:
	s_or_b32 exec_lo, exec_lo, s1
.LBB40_100:
	s_and_not1_saveexec_b32 s0, s0
	s_cbranch_execz .LBB40_102
; %bb.101:
	v_mov_b32_e32 v56, 4
	ds_store_2addr_b64 v52, v[14:15], v[16:17] offset0:5 offset1:6
	ds_store_2addr_b64 v52, v[12:13], v[10:11] offset0:7 offset1:8
	;; [unrolled: 1-line block ×8, first 2 shown]
.LBB40_102:
	s_or_b32 exec_lo, exec_lo, s0
	s_delay_alu instid0(SALU_CYCLE_1)
	s_mov_b32 s0, exec_lo
	s_wait_storecnt_dscnt 0x0
	s_barrier_signal -1
	s_barrier_wait -1
	v_cmpx_lt_i32_e32 4, v56
	s_cbranch_execz .LBB40_104
; %bb.103:
	v_pk_mul_f32 v[58:59], v[50:51], v[18:19] op_sel:[1,1] op_sel_hi:[0,1]
	s_delay_alu instid0(VALU_DEP_1)
	v_pk_fma_f32 v[48:49], v[50:51], v[18:19], v[58:59] op_sel_hi:[1,0,1] neg_lo:[0,0,1] neg_hi:[0,0,1]
	v_pk_fma_f32 v[50:51], v[50:51], v[18:19], v[58:59] op_sel_hi:[1,0,1]
	ds_load_2addr_b64 v[58:61], v52 offset0:5 offset1:6
	v_dual_mov_b32 v18, v48 :: v_dual_mov_b32 v19, v51
	s_wait_dscnt 0x0
	v_pk_mul_f32 v[62:63], v[58:59], v[50:51] op_sel:[0,1]
	s_delay_alu instid0(VALU_DEP_1) | instskip(SKIP_1) | instid1(VALU_DEP_1)
	v_pk_fma_f32 v[64:65], v[58:59], v[48:49], v[62:63] op_sel:[0,0,1] op_sel_hi:[1,1,0] neg_lo:[0,0,1] neg_hi:[0,0,1]
	v_pk_fma_f32 v[58:59], v[58:59], v[48:49], v[62:63] op_sel:[0,0,1] op_sel_hi:[1,0,0]
	v_mov_b32_e32 v65, v59
	v_pk_mul_f32 v[58:59], v[60:61], v[50:51] op_sel:[0,1]
	s_delay_alu instid0(VALU_DEP_1) | instskip(SKIP_1) | instid1(VALU_DEP_1)
	v_pk_fma_f32 v[62:63], v[60:61], v[48:49], v[58:59] op_sel:[0,0,1] op_sel_hi:[1,1,0] neg_lo:[0,0,1] neg_hi:[0,0,1]
	v_pk_fma_f32 v[58:59], v[60:61], v[48:49], v[58:59] op_sel:[0,0,1] op_sel_hi:[1,0,0]
	v_mov_b32_e32 v63, v59
	ds_load_2addr_b64 v[58:61], v52 offset0:7 offset1:8
	v_pk_add_f32 v[14:15], v[14:15], v[64:65] neg_lo:[0,1] neg_hi:[0,1]
	v_pk_add_f32 v[16:17], v[16:17], v[62:63] neg_lo:[0,1] neg_hi:[0,1]
	s_wait_dscnt 0x0
	v_pk_mul_f32 v[62:63], v[58:59], v[50:51] op_sel:[0,1]
	s_delay_alu instid0(VALU_DEP_1) | instskip(SKIP_2) | instid1(VALU_DEP_2)
	v_pk_fma_f32 v[64:65], v[58:59], v[48:49], v[62:63] op_sel:[0,0,1] op_sel_hi:[1,1,0] neg_lo:[0,0,1] neg_hi:[0,0,1]
	v_pk_fma_f32 v[58:59], v[58:59], v[48:49], v[62:63] op_sel:[0,0,1] op_sel_hi:[1,0,0]
	v_dual_mul_f32 v62, v61, v51 :: v_dual_mov_b32 v58, v61
	v_dual_mov_b32 v65, v59 :: v_dual_mov_b32 v59, v60
	s_delay_alu instid0(VALU_DEP_2) | instskip(SKIP_1) | instid1(VALU_DEP_3)
	v_pk_fma_f32 v[62:63], v[60:61], v[18:19], v[62:63] op_sel_hi:[1,1,0] neg_lo:[0,0,1] neg_hi:[0,0,1]
	v_mul_f32_e32 v60, v61, v48
	v_pk_add_f32 v[12:13], v[12:13], v[64:65] neg_lo:[0,1] neg_hi:[0,1]
	s_delay_alu instid0(VALU_DEP_2) | instskip(NEXT) | instid1(VALU_DEP_1)
	v_pk_fma_f32 v[58:59], v[58:59], v[18:19], v[60:61] op_sel_hi:[1,1,0]
	v_mov_b32_e32 v63, v59
	ds_load_2addr_b64 v[58:61], v52 offset0:9 offset1:10
	v_pk_add_f32 v[10:11], v[10:11], v[62:63] neg_lo:[0,1] neg_hi:[0,1]
	s_wait_dscnt 0x0
	v_pk_mul_f32 v[62:63], v[58:59], v[50:51] op_sel:[0,1]
	s_delay_alu instid0(VALU_DEP_1) | instskip(SKIP_1) | instid1(VALU_DEP_1)
	v_pk_fma_f32 v[64:65], v[58:59], v[48:49], v[62:63] op_sel:[0,0,1] op_sel_hi:[1,1,0] neg_lo:[0,0,1] neg_hi:[0,0,1]
	v_pk_fma_f32 v[58:59], v[58:59], v[48:49], v[62:63] op_sel:[0,0,1] op_sel_hi:[1,0,0]
	v_mov_b32_e32 v65, v59
	v_pk_mul_f32 v[58:59], v[60:61], v[50:51] op_sel:[0,1]
	s_delay_alu instid0(VALU_DEP_1) | instskip(SKIP_1) | instid1(VALU_DEP_1)
	v_pk_fma_f32 v[62:63], v[60:61], v[48:49], v[58:59] op_sel:[0,0,1] op_sel_hi:[1,1,0] neg_lo:[0,0,1] neg_hi:[0,0,1]
	v_pk_fma_f32 v[58:59], v[60:61], v[48:49], v[58:59] op_sel:[0,0,1] op_sel_hi:[1,0,0]
	v_mov_b32_e32 v63, v59
	ds_load_2addr_b64 v[58:61], v52 offset0:11 offset1:12
	v_pk_add_f32 v[6:7], v[6:7], v[64:65] neg_lo:[0,1] neg_hi:[0,1]
	v_pk_add_f32 v[8:9], v[8:9], v[62:63] neg_lo:[0,1] neg_hi:[0,1]
	s_wait_dscnt 0x0
	v_pk_mul_f32 v[62:63], v[58:59], v[50:51] op_sel:[0,1]
	s_delay_alu instid0(VALU_DEP_1) | instskip(SKIP_1) | instid1(VALU_DEP_1)
	v_pk_fma_f32 v[64:65], v[58:59], v[48:49], v[62:63] op_sel:[0,0,1] op_sel_hi:[1,1,0] neg_lo:[0,0,1] neg_hi:[0,0,1]
	v_pk_fma_f32 v[58:59], v[58:59], v[48:49], v[62:63] op_sel:[0,0,1] op_sel_hi:[1,0,0]
	v_mov_b32_e32 v65, v59
	v_pk_mul_f32 v[58:59], v[60:61], v[50:51] op_sel:[0,1]
	s_delay_alu instid0(VALU_DEP_1) | instskip(SKIP_1) | instid1(VALU_DEP_1)
	v_pk_fma_f32 v[62:63], v[60:61], v[48:49], v[58:59] op_sel:[0,0,1] op_sel_hi:[1,1,0] neg_lo:[0,0,1] neg_hi:[0,0,1]
	v_pk_fma_f32 v[58:59], v[60:61], v[48:49], v[58:59] op_sel:[0,0,1] op_sel_hi:[1,0,0]
	v_mov_b32_e32 v63, v59
	ds_load_2addr_b64 v[58:61], v52 offset0:13 offset1:14
	v_pk_add_f32 v[4:5], v[4:5], v[64:65] neg_lo:[0,1] neg_hi:[0,1]
	v_pk_add_f32 v[28:29], v[28:29], v[62:63] neg_lo:[0,1] neg_hi:[0,1]
	s_wait_dscnt 0x0
	v_dual_mul_f32 v62, v59, v51 :: v_dual_mul_f32 v64, v59, v48
	s_delay_alu instid0(VALU_DEP_1) | instskip(NEXT) | instid1(VALU_DEP_2)
	v_pk_fma_f32 v[62:63], v[58:59], v[18:19], v[62:63] op_sel_hi:[1,1,0] neg_lo:[0,0,1] neg_hi:[0,0,1]
	v_pk_fma_f32 v[58:59], v[58:59], v[18:19], v[64:65] op_sel:[1,0,0] op_sel_hi:[0,1,0]
	s_delay_alu instid0(VALU_DEP_1) | instskip(SKIP_1) | instid1(VALU_DEP_2)
	v_mov_b32_e32 v63, v59
	v_pk_mul_f32 v[58:59], v[60:61], v[50:51] op_sel:[0,1]
	v_pk_add_f32 v[24:25], v[24:25], v[62:63] neg_lo:[0,1] neg_hi:[0,1]
	s_delay_alu instid0(VALU_DEP_2) | instskip(SKIP_1) | instid1(VALU_DEP_1)
	v_pk_fma_f32 v[62:63], v[60:61], v[48:49], v[58:59] op_sel:[0,0,1] op_sel_hi:[1,1,0] neg_lo:[0,0,1] neg_hi:[0,0,1]
	v_pk_fma_f32 v[58:59], v[60:61], v[48:49], v[58:59] op_sel:[0,0,1] op_sel_hi:[1,0,0]
	v_mov_b32_e32 v63, v59
	ds_load_2addr_b64 v[58:61], v52 offset0:15 offset1:16
	v_pk_add_f32 v[26:27], v[26:27], v[62:63] neg_lo:[0,1] neg_hi:[0,1]
	s_wait_dscnt 0x0
	v_pk_mul_f32 v[62:63], v[58:59], v[50:51] op_sel:[0,1]
	s_delay_alu instid0(VALU_DEP_1) | instskip(SKIP_1) | instid1(VALU_DEP_1)
	v_pk_fma_f32 v[64:65], v[58:59], v[48:49], v[62:63] op_sel:[0,0,1] op_sel_hi:[1,1,0] neg_lo:[0,0,1] neg_hi:[0,0,1]
	v_pk_fma_f32 v[58:59], v[58:59], v[48:49], v[62:63] op_sel:[0,0,1] op_sel_hi:[1,0,0]
	v_mov_b32_e32 v65, v59
	v_pk_mul_f32 v[58:59], v[60:61], v[50:51] op_sel:[0,1]
	s_delay_alu instid0(VALU_DEP_2) | instskip(NEXT) | instid1(VALU_DEP_2)
	v_pk_add_f32 v[22:23], v[22:23], v[64:65] neg_lo:[0,1] neg_hi:[0,1]
	v_pk_fma_f32 v[62:63], v[60:61], v[48:49], v[58:59] op_sel:[0,0,1] op_sel_hi:[1,1,0] neg_lo:[0,0,1] neg_hi:[0,0,1]
	v_pk_fma_f32 v[58:59], v[60:61], v[48:49], v[58:59] op_sel:[0,0,1] op_sel_hi:[1,0,0]
	s_delay_alu instid0(VALU_DEP_1) | instskip(SKIP_4) | instid1(VALU_DEP_1)
	v_mov_b32_e32 v63, v59
	ds_load_2addr_b64 v[58:61], v52 offset0:17 offset1:18
	v_pk_add_f32 v[20:21], v[20:21], v[62:63] neg_lo:[0,1] neg_hi:[0,1]
	s_wait_dscnt 0x0
	v_pk_mul_f32 v[62:63], v[58:59], v[50:51] op_sel:[0,1]
	v_pk_fma_f32 v[64:65], v[58:59], v[48:49], v[62:63] op_sel:[0,0,1] op_sel_hi:[1,1,0] neg_lo:[0,0,1] neg_hi:[0,0,1]
	v_pk_fma_f32 v[58:59], v[58:59], v[48:49], v[62:63] op_sel:[0,0,1] op_sel_hi:[1,0,0]
	v_dual_mul_f32 v62, v61, v51 :: v_dual_mov_b32 v58, v61
	s_delay_alu instid0(VALU_DEP_2) | instskip(NEXT) | instid1(VALU_DEP_2)
	v_dual_mov_b32 v65, v59 :: v_dual_mov_b32 v59, v60
	v_pk_fma_f32 v[62:63], v[60:61], v[18:19], v[62:63] op_sel_hi:[1,1,0] neg_lo:[0,0,1] neg_hi:[0,0,1]
	v_mul_f32_e32 v60, v61, v48
	s_delay_alu instid0(VALU_DEP_3) | instskip(NEXT) | instid1(VALU_DEP_2)
	v_pk_add_f32 v[34:35], v[34:35], v[64:65] neg_lo:[0,1] neg_hi:[0,1]
	v_pk_fma_f32 v[58:59], v[58:59], v[18:19], v[60:61] op_sel_hi:[1,1,0]
	s_delay_alu instid0(VALU_DEP_1)
	v_mov_b32_e32 v63, v59
	ds_load_2addr_b64 v[58:61], v52 offset0:19 offset1:20
	v_pk_add_f32 v[32:33], v[32:33], v[62:63] neg_lo:[0,1] neg_hi:[0,1]
	s_wait_dscnt 0x0
	v_pk_mul_f32 v[62:63], v[58:59], v[50:51] op_sel:[0,1]
	v_pk_mul_f32 v[50:51], v[60:61], v[50:51] op_sel:[0,1]
	s_delay_alu instid0(VALU_DEP_2) | instskip(SKIP_1) | instid1(VALU_DEP_1)
	v_pk_fma_f32 v[64:65], v[58:59], v[48:49], v[62:63] op_sel:[0,0,1] op_sel_hi:[1,1,0] neg_lo:[0,0,1] neg_hi:[0,0,1]
	v_pk_fma_f32 v[58:59], v[58:59], v[48:49], v[62:63] op_sel:[0,0,1] op_sel_hi:[1,0,0]
	v_mov_b32_e32 v65, v59
	s_delay_alu instid0(VALU_DEP_4) | instskip(SKIP_1) | instid1(VALU_DEP_1)
	v_pk_fma_f32 v[58:59], v[60:61], v[48:49], v[50:51] op_sel:[0,0,1] op_sel_hi:[1,1,0] neg_lo:[0,0,1] neg_hi:[0,0,1]
	v_pk_fma_f32 v[48:49], v[60:61], v[48:49], v[50:51] op_sel:[0,0,1] op_sel_hi:[1,0,0]
	v_mov_b32_e32 v59, v49
	s_delay_alu instid0(VALU_DEP_4) | instskip(NEXT) | instid1(VALU_DEP_2)
	v_pk_add_f32 v[30:31], v[30:31], v[64:65] neg_lo:[0,1] neg_hi:[0,1]
	v_pk_add_f32 v[46:47], v[46:47], v[58:59] neg_lo:[0,1] neg_hi:[0,1]
.LBB40_104:
	s_or_b32 exec_lo, exec_lo, s0
	v_lshl_add_u32 v48, v56, 3, v52
	s_barrier_signal -1
	s_barrier_wait -1
	ds_store_b64 v48, v[14:15]
	s_wait_dscnt 0x0
	s_barrier_signal -1
	s_barrier_wait -1
	ds_load_b64 v[50:51], v52 offset:40
	v_mov_b32_e32 v48, 5
	s_cmp_lt_i32 s14, 7
	s_cbranch_scc1 .LBB40_107
; %bb.105:
	v_add3_u32 v49, v53, 0, 48
	v_mov_b32_e32 v48, 5
	s_mov_b32 s0, 6
.LBB40_106:                             ; =>This Inner Loop Header: Depth=1
	ds_load_b64 v[58:59], v49
	s_wait_dscnt 0x1
	v_cmp_gt_f32_e32 vcc_lo, 0, v50
	v_cndmask_b32_e64 v60, v50, -v50, vcc_lo
	v_cmp_gt_f32_e32 vcc_lo, 0, v51
	v_cndmask_b32_e64 v62, v51, -v51, vcc_lo
	s_wait_dscnt 0x0
	v_cmp_gt_f32_e32 vcc_lo, 0, v58
	v_cndmask_b32_e64 v61, v58, -v58, vcc_lo
	v_cmp_gt_f32_e32 vcc_lo, 0, v59
	v_cndmask_b32_e64 v63, v59, -v59, vcc_lo
	s_delay_alu instid0(VALU_DEP_1) | instskip(NEXT) | instid1(VALU_DEP_1)
	v_pk_add_f32 v[60:61], v[60:61], v[62:63]
	v_cmp_lt_f32_e32 vcc_lo, v60, v61
	v_dual_add_nc_u32 v49, 8, v49 :: v_dual_cndmask_b32 v51, v51, v59, vcc_lo
	v_cndmask_b32_e32 v50, v50, v58, vcc_lo
	v_cndmask_b32_e64 v48, v48, s0, vcc_lo
	s_add_co_i32 s0, s0, 1
	s_delay_alu instid0(SALU_CYCLE_1)
	s_cmp_lg_u32 s14, s0
	s_cbranch_scc1 .LBB40_106
.LBB40_107:
	s_wait_dscnt 0x0
	v_cmp_eq_f32_e32 vcc_lo, 0, v50
	v_cmp_eq_f32_e64 s0, 0, v51
	s_and_b32 s0, vcc_lo, s0
	s_delay_alu instid0(SALU_CYCLE_1) | instskip(NEXT) | instid1(SALU_CYCLE_1)
	s_and_saveexec_b32 s1, s0
	s_xor_b32 s0, exec_lo, s1
; %bb.108:
	v_cmp_ne_u32_e32 vcc_lo, 0, v54
	v_cndmask_b32_e32 v54, 6, v54, vcc_lo
; %bb.109:
	s_and_not1_saveexec_b32 s0, s0
	s_cbranch_execz .LBB40_115
; %bb.110:
	v_cmp_ngt_f32_e64 s1, |v50|, |v51|
	s_and_saveexec_b32 s15, s1
	s_delay_alu instid0(SALU_CYCLE_1)
	s_xor_b32 s1, exec_lo, s15
	s_cbranch_execz .LBB40_112
; %bb.111:
	v_div_scale_f32 v49, null, v51, v51, v50
	v_div_scale_f32 v59, vcc_lo, v50, v51, v50
	s_delay_alu instid0(VALU_DEP_2) | instskip(SKIP_1) | instid1(TRANS32_DEP_1)
	v_rcp_f32_e32 v57, v49
	v_nop
	v_fma_f32 v58, -v49, v57, 1.0
	s_delay_alu instid0(VALU_DEP_1) | instskip(NEXT) | instid1(VALU_DEP_1)
	v_fmac_f32_e32 v57, v58, v57
	v_mul_f32_e32 v58, v59, v57
	s_delay_alu instid0(VALU_DEP_1) | instskip(NEXT) | instid1(VALU_DEP_1)
	v_fma_f32 v60, -v49, v58, v59
	v_fmac_f32_e32 v58, v60, v57
	s_delay_alu instid0(VALU_DEP_1) | instskip(NEXT) | instid1(VALU_DEP_1)
	v_fma_f32 v49, -v49, v58, v59
	v_div_fmas_f32 v49, v49, v57, v58
	s_delay_alu instid0(VALU_DEP_1) | instskip(NEXT) | instid1(VALU_DEP_1)
	v_div_fixup_f32 v49, v49, v51, v50
	v_fmac_f32_e32 v51, v50, v49
	s_delay_alu instid0(VALU_DEP_1) | instskip(SKIP_1) | instid1(VALU_DEP_2)
	v_div_scale_f32 v50, null, v51, v51, 1.0
	v_div_scale_f32 v59, vcc_lo, 1.0, v51, 1.0
	v_rcp_f32_e32 v57, v50
	v_nop
	s_delay_alu instid0(TRANS32_DEP_1) | instskip(NEXT) | instid1(VALU_DEP_1)
	v_fma_f32 v58, -v50, v57, 1.0
	v_fmac_f32_e32 v57, v58, v57
	s_delay_alu instid0(VALU_DEP_1) | instskip(NEXT) | instid1(VALU_DEP_1)
	v_mul_f32_e32 v58, v59, v57
	v_fma_f32 v60, -v50, v58, v59
	s_delay_alu instid0(VALU_DEP_1) | instskip(NEXT) | instid1(VALU_DEP_1)
	v_fmac_f32_e32 v58, v60, v57
	v_fma_f32 v50, -v50, v58, v59
	s_delay_alu instid0(VALU_DEP_1) | instskip(NEXT) | instid1(VALU_DEP_1)
	v_div_fmas_f32 v50, v50, v57, v58
	v_div_fixup_f32 v51, v50, v51, 1.0
	s_delay_alu instid0(VALU_DEP_1)
	v_mul_f32_e32 v50, v49, v51
	v_xor_b32_e32 v51, 0x80000000, v51
.LBB40_112:
	s_and_not1_saveexec_b32 s1, s1
	s_cbranch_execz .LBB40_114
; %bb.113:
	s_delay_alu instid0(VALU_DEP_1) | instskip(SKIP_1) | instid1(VALU_DEP_2)
	v_div_scale_f32 v49, null, v50, v50, v51
	v_div_scale_f32 v59, vcc_lo, v51, v50, v51
	v_rcp_f32_e32 v57, v49
	v_nop
	s_delay_alu instid0(TRANS32_DEP_1) | instskip(NEXT) | instid1(VALU_DEP_1)
	v_fma_f32 v58, -v49, v57, 1.0
	v_fmac_f32_e32 v57, v58, v57
	s_delay_alu instid0(VALU_DEP_1) | instskip(NEXT) | instid1(VALU_DEP_1)
	v_mul_f32_e32 v58, v59, v57
	v_fma_f32 v60, -v49, v58, v59
	s_delay_alu instid0(VALU_DEP_1) | instskip(NEXT) | instid1(VALU_DEP_1)
	v_fmac_f32_e32 v58, v60, v57
	v_fma_f32 v49, -v49, v58, v59
	s_delay_alu instid0(VALU_DEP_1) | instskip(NEXT) | instid1(VALU_DEP_1)
	v_div_fmas_f32 v49, v49, v57, v58
	v_div_fixup_f32 v49, v49, v50, v51
	s_delay_alu instid0(VALU_DEP_1) | instskip(NEXT) | instid1(VALU_DEP_1)
	v_fmac_f32_e32 v50, v51, v49
	v_div_scale_f32 v51, null, v50, v50, 1.0
	s_delay_alu instid0(VALU_DEP_1) | instskip(SKIP_1) | instid1(TRANS32_DEP_1)
	v_rcp_f32_e32 v57, v51
	v_nop
	v_fma_f32 v58, -v51, v57, 1.0
	s_delay_alu instid0(VALU_DEP_1) | instskip(SKIP_1) | instid1(VALU_DEP_1)
	v_fmac_f32_e32 v57, v58, v57
	v_div_scale_f32 v58, vcc_lo, 1.0, v50, 1.0
	v_mul_f32_e32 v59, v58, v57
	s_delay_alu instid0(VALU_DEP_1) | instskip(NEXT) | instid1(VALU_DEP_1)
	v_fma_f32 v60, -v51, v59, v58
	v_fmac_f32_e32 v59, v60, v57
	s_delay_alu instid0(VALU_DEP_1) | instskip(NEXT) | instid1(VALU_DEP_1)
	v_fma_f32 v51, -v51, v59, v58
	v_div_fmas_f32 v51, v51, v57, v59
	s_delay_alu instid0(VALU_DEP_1) | instskip(NEXT) | instid1(VALU_DEP_1)
	v_div_fixup_f32 v50, v51, v50, 1.0
	v_mul_f32_e64 v51, v49, -v50
.LBB40_114:
	s_or_b32 exec_lo, exec_lo, s1
.LBB40_115:
	s_delay_alu instid0(SALU_CYCLE_1) | instskip(NEXT) | instid1(SALU_CYCLE_1)
	s_or_b32 exec_lo, exec_lo, s0
	s_mov_b32 s0, exec_lo
	v_cmpx_ne_u32_e64 v56, v48
	s_xor_b32 s0, exec_lo, s0
	s_cbranch_execz .LBB40_121
; %bb.116:
	s_mov_b32 s1, exec_lo
	v_cmpx_eq_u32_e32 5, v56
	s_cbranch_execz .LBB40_120
; %bb.117:
	v_cmp_ne_u32_e32 vcc_lo, 5, v48
	s_xor_b32 s15, s12, -1
	s_delay_alu instid0(SALU_CYCLE_1) | instskip(NEXT) | instid1(SALU_CYCLE_1)
	s_and_b32 s16, s15, vcc_lo
	s_and_saveexec_b32 s15, s16
	s_cbranch_execz .LBB40_119
; %bb.118:
	v_ashrrev_i32_e32 v49, 31, v48
	s_delay_alu instid0(VALU_DEP_1)
	v_lshl_add_u64 v[56:57], v[48:49], 2, v[36:37]
	s_clause 0x1
	global_load_b32 v49, v[56:57], off
	global_load_b32 v55, v[36:37], off offset:20
	s_wait_loadcnt 0x1
	global_store_b32 v[36:37], v49, off offset:20
	s_wait_loadcnt 0x0
	global_store_b32 v[56:57], v55, off
.LBB40_119:
	s_wait_xcnt 0x0
	s_or_b32 exec_lo, exec_lo, s15
	v_dual_mov_b32 v56, v48 :: v_dual_mov_b32 v55, v48
.LBB40_120:
	s_or_b32 exec_lo, exec_lo, s1
.LBB40_121:
	s_and_not1_saveexec_b32 s0, s0
	s_cbranch_execz .LBB40_123
; %bb.122:
	v_dual_mov_b32 v48, v16 :: v_dual_mov_b32 v49, v17
	v_dual_mov_b32 v56, v12 :: v_dual_mov_b32 v57, v13
	;; [unrolled: 1-line block ×4, first 2 shown]
	ds_store_2addr_b64 v52, v[48:49], v[56:57] offset0:6 offset1:7
	ds_store_2addr_b64 v52, v[58:59], v[60:61] offset0:8 offset1:9
	v_dual_mov_b32 v48, v8 :: v_dual_mov_b32 v49, v9
	v_dual_mov_b32 v56, v4 :: v_dual_mov_b32 v57, v5
	;; [unrolled: 1-line block ×6, first 2 shown]
	ds_store_2addr_b64 v52, v[48:49], v[56:57] offset0:10 offset1:11
	ds_store_2addr_b64 v52, v[58:59], v[60:61] offset0:12 offset1:13
	v_dual_mov_b32 v56, 5 :: v_dual_mov_b32 v66, v20
	v_dual_mov_b32 v67, v21 :: v_dual_mov_b32 v68, v34
	;; [unrolled: 1-line block ×4, first 2 shown]
	v_mov_b32_e32 v73, v31
	ds_store_2addr_b64 v52, v[62:63], v[64:65] offset0:14 offset1:15
	ds_store_2addr_b64 v52, v[66:67], v[68:69] offset0:16 offset1:17
	;; [unrolled: 1-line block ×3, first 2 shown]
	ds_store_b64 v52, v[46:47] offset:160
.LBB40_123:
	s_or_b32 exec_lo, exec_lo, s0
	s_delay_alu instid0(SALU_CYCLE_1)
	s_mov_b32 s0, exec_lo
	s_wait_storecnt_dscnt 0x0
	s_barrier_signal -1
	s_barrier_wait -1
	v_cmpx_lt_i32_e32 5, v56
	s_cbranch_execz .LBB40_125
; %bb.124:
	v_pk_mul_f32 v[58:59], v[50:51], v[14:15] op_sel:[1,1] op_sel_hi:[0,1]
	s_delay_alu instid0(VALU_DEP_1)
	v_pk_fma_f32 v[48:49], v[50:51], v[14:15], v[58:59] op_sel_hi:[1,0,1] neg_lo:[0,0,1] neg_hi:[0,0,1]
	v_pk_fma_f32 v[50:51], v[50:51], v[14:15], v[58:59] op_sel_hi:[1,0,1]
	ds_load_2addr_b64 v[58:61], v52 offset0:6 offset1:7
	v_dual_mov_b32 v14, v48 :: v_dual_mov_b32 v15, v51
	s_wait_dscnt 0x0
	v_pk_mul_f32 v[62:63], v[58:59], v[50:51] op_sel:[0,1]
	s_delay_alu instid0(VALU_DEP_1) | instskip(SKIP_1) | instid1(VALU_DEP_1)
	v_pk_fma_f32 v[64:65], v[58:59], v[48:49], v[62:63] op_sel:[0,0,1] op_sel_hi:[1,1,0] neg_lo:[0,0,1] neg_hi:[0,0,1]
	v_pk_fma_f32 v[58:59], v[58:59], v[48:49], v[62:63] op_sel:[0,0,1] op_sel_hi:[1,0,0]
	v_mov_b32_e32 v65, v59
	v_pk_mul_f32 v[58:59], v[60:61], v[50:51] op_sel:[0,1]
	s_delay_alu instid0(VALU_DEP_1) | instskip(SKIP_1) | instid1(VALU_DEP_1)
	v_pk_fma_f32 v[62:63], v[60:61], v[48:49], v[58:59] op_sel:[0,0,1] op_sel_hi:[1,1,0] neg_lo:[0,0,1] neg_hi:[0,0,1]
	v_pk_fma_f32 v[58:59], v[60:61], v[48:49], v[58:59] op_sel:[0,0,1] op_sel_hi:[1,0,0]
	v_mov_b32_e32 v63, v59
	ds_load_2addr_b64 v[58:61], v52 offset0:8 offset1:9
	v_pk_add_f32 v[16:17], v[16:17], v[64:65] neg_lo:[0,1] neg_hi:[0,1]
	v_pk_add_f32 v[12:13], v[12:13], v[62:63] neg_lo:[0,1] neg_hi:[0,1]
	s_wait_dscnt 0x0
	v_pk_mul_f32 v[62:63], v[58:59], v[50:51] op_sel:[0,1]
	s_delay_alu instid0(VALU_DEP_1) | instskip(SKIP_2) | instid1(VALU_DEP_2)
	v_pk_fma_f32 v[64:65], v[58:59], v[48:49], v[62:63] op_sel:[0,0,1] op_sel_hi:[1,1,0] neg_lo:[0,0,1] neg_hi:[0,0,1]
	v_pk_fma_f32 v[58:59], v[58:59], v[48:49], v[62:63] op_sel:[0,0,1] op_sel_hi:[1,0,0]
	v_dual_mul_f32 v62, v61, v51 :: v_dual_mov_b32 v58, v61
	v_dual_mov_b32 v65, v59 :: v_dual_mov_b32 v59, v60
	s_delay_alu instid0(VALU_DEP_2) | instskip(SKIP_1) | instid1(VALU_DEP_3)
	v_pk_fma_f32 v[62:63], v[60:61], v[14:15], v[62:63] op_sel_hi:[1,1,0] neg_lo:[0,0,1] neg_hi:[0,0,1]
	v_mul_f32_e32 v60, v61, v48
	v_pk_add_f32 v[10:11], v[10:11], v[64:65] neg_lo:[0,1] neg_hi:[0,1]
	s_delay_alu instid0(VALU_DEP_2) | instskip(NEXT) | instid1(VALU_DEP_1)
	v_pk_fma_f32 v[58:59], v[58:59], v[14:15], v[60:61] op_sel_hi:[1,1,0]
	v_mov_b32_e32 v63, v59
	ds_load_2addr_b64 v[58:61], v52 offset0:10 offset1:11
	v_pk_add_f32 v[6:7], v[6:7], v[62:63] neg_lo:[0,1] neg_hi:[0,1]
	s_wait_dscnt 0x0
	v_pk_mul_f32 v[62:63], v[58:59], v[50:51] op_sel:[0,1]
	s_delay_alu instid0(VALU_DEP_1) | instskip(SKIP_1) | instid1(VALU_DEP_1)
	v_pk_fma_f32 v[64:65], v[58:59], v[48:49], v[62:63] op_sel:[0,0,1] op_sel_hi:[1,1,0] neg_lo:[0,0,1] neg_hi:[0,0,1]
	v_pk_fma_f32 v[58:59], v[58:59], v[48:49], v[62:63] op_sel:[0,0,1] op_sel_hi:[1,0,0]
	v_mov_b32_e32 v65, v59
	v_pk_mul_f32 v[58:59], v[60:61], v[50:51] op_sel:[0,1]
	s_delay_alu instid0(VALU_DEP_1) | instskip(SKIP_1) | instid1(VALU_DEP_1)
	v_pk_fma_f32 v[62:63], v[60:61], v[48:49], v[58:59] op_sel:[0,0,1] op_sel_hi:[1,1,0] neg_lo:[0,0,1] neg_hi:[0,0,1]
	v_pk_fma_f32 v[58:59], v[60:61], v[48:49], v[58:59] op_sel:[0,0,1] op_sel_hi:[1,0,0]
	v_mov_b32_e32 v63, v59
	ds_load_2addr_b64 v[58:61], v52 offset0:12 offset1:13
	v_pk_add_f32 v[8:9], v[8:9], v[64:65] neg_lo:[0,1] neg_hi:[0,1]
	v_pk_add_f32 v[4:5], v[4:5], v[62:63] neg_lo:[0,1] neg_hi:[0,1]
	s_wait_dscnt 0x0
	v_pk_mul_f32 v[62:63], v[58:59], v[50:51] op_sel:[0,1]
	s_delay_alu instid0(VALU_DEP_1) | instskip(SKIP_1) | instid1(VALU_DEP_1)
	v_pk_fma_f32 v[64:65], v[58:59], v[48:49], v[62:63] op_sel:[0,0,1] op_sel_hi:[1,1,0] neg_lo:[0,0,1] neg_hi:[0,0,1]
	v_pk_fma_f32 v[58:59], v[58:59], v[48:49], v[62:63] op_sel:[0,0,1] op_sel_hi:[1,0,0]
	v_mov_b32_e32 v65, v59
	v_pk_mul_f32 v[58:59], v[60:61], v[50:51] op_sel:[0,1]
	s_delay_alu instid0(VALU_DEP_1) | instskip(SKIP_1) | instid1(VALU_DEP_1)
	v_pk_fma_f32 v[62:63], v[60:61], v[48:49], v[58:59] op_sel:[0,0,1] op_sel_hi:[1,1,0] neg_lo:[0,0,1] neg_hi:[0,0,1]
	v_pk_fma_f32 v[58:59], v[60:61], v[48:49], v[58:59] op_sel:[0,0,1] op_sel_hi:[1,0,0]
	v_mov_b32_e32 v63, v59
	ds_load_2addr_b64 v[58:61], v52 offset0:14 offset1:15
	v_pk_add_f32 v[28:29], v[28:29], v[64:65] neg_lo:[0,1] neg_hi:[0,1]
	v_pk_add_f32 v[24:25], v[24:25], v[62:63] neg_lo:[0,1] neg_hi:[0,1]
	s_wait_dscnt 0x0
	v_dual_mul_f32 v62, v59, v51 :: v_dual_mul_f32 v64, v59, v48
	s_delay_alu instid0(VALU_DEP_1) | instskip(NEXT) | instid1(VALU_DEP_2)
	v_pk_fma_f32 v[62:63], v[58:59], v[14:15], v[62:63] op_sel_hi:[1,1,0] neg_lo:[0,0,1] neg_hi:[0,0,1]
	v_pk_fma_f32 v[58:59], v[58:59], v[14:15], v[64:65] op_sel:[1,0,0] op_sel_hi:[0,1,0]
	s_delay_alu instid0(VALU_DEP_1) | instskip(SKIP_1) | instid1(VALU_DEP_2)
	v_mov_b32_e32 v63, v59
	v_pk_mul_f32 v[58:59], v[60:61], v[50:51] op_sel:[0,1]
	v_pk_add_f32 v[26:27], v[26:27], v[62:63] neg_lo:[0,1] neg_hi:[0,1]
	s_delay_alu instid0(VALU_DEP_2) | instskip(SKIP_1) | instid1(VALU_DEP_1)
	v_pk_fma_f32 v[62:63], v[60:61], v[48:49], v[58:59] op_sel:[0,0,1] op_sel_hi:[1,1,0] neg_lo:[0,0,1] neg_hi:[0,0,1]
	v_pk_fma_f32 v[58:59], v[60:61], v[48:49], v[58:59] op_sel:[0,0,1] op_sel_hi:[1,0,0]
	v_mov_b32_e32 v63, v59
	ds_load_2addr_b64 v[58:61], v52 offset0:16 offset1:17
	v_pk_add_f32 v[22:23], v[22:23], v[62:63] neg_lo:[0,1] neg_hi:[0,1]
	s_wait_dscnt 0x0
	v_pk_mul_f32 v[62:63], v[58:59], v[50:51] op_sel:[0,1]
	s_delay_alu instid0(VALU_DEP_1) | instskip(SKIP_1) | instid1(VALU_DEP_1)
	v_pk_fma_f32 v[64:65], v[58:59], v[48:49], v[62:63] op_sel:[0,0,1] op_sel_hi:[1,1,0] neg_lo:[0,0,1] neg_hi:[0,0,1]
	v_pk_fma_f32 v[58:59], v[58:59], v[48:49], v[62:63] op_sel:[0,0,1] op_sel_hi:[1,0,0]
	v_mov_b32_e32 v65, v59
	v_pk_mul_f32 v[58:59], v[60:61], v[50:51] op_sel:[0,1]
	s_delay_alu instid0(VALU_DEP_2) | instskip(NEXT) | instid1(VALU_DEP_2)
	v_pk_add_f32 v[20:21], v[20:21], v[64:65] neg_lo:[0,1] neg_hi:[0,1]
	v_pk_fma_f32 v[62:63], v[60:61], v[48:49], v[58:59] op_sel:[0,0,1] op_sel_hi:[1,1,0] neg_lo:[0,0,1] neg_hi:[0,0,1]
	v_pk_fma_f32 v[58:59], v[60:61], v[48:49], v[58:59] op_sel:[0,0,1] op_sel_hi:[1,0,0]
	s_delay_alu instid0(VALU_DEP_1) | instskip(SKIP_4) | instid1(VALU_DEP_1)
	v_mov_b32_e32 v63, v59
	ds_load_2addr_b64 v[58:61], v52 offset0:18 offset1:19
	v_pk_add_f32 v[34:35], v[34:35], v[62:63] neg_lo:[0,1] neg_hi:[0,1]
	s_wait_dscnt 0x0
	v_pk_mul_f32 v[62:63], v[58:59], v[50:51] op_sel:[0,1]
	v_pk_fma_f32 v[64:65], v[58:59], v[48:49], v[62:63] op_sel:[0,0,1] op_sel_hi:[1,1,0] neg_lo:[0,0,1] neg_hi:[0,0,1]
	v_pk_fma_f32 v[58:59], v[58:59], v[48:49], v[62:63] op_sel:[0,0,1] op_sel_hi:[1,0,0]
	v_dual_mul_f32 v62, v61, v51 :: v_dual_mov_b32 v58, v61
	s_delay_alu instid0(VALU_DEP_2) | instskip(NEXT) | instid1(VALU_DEP_2)
	v_dual_mov_b32 v65, v59 :: v_dual_mov_b32 v59, v60
	v_pk_fma_f32 v[62:63], v[60:61], v[14:15], v[62:63] op_sel_hi:[1,1,0] neg_lo:[0,0,1] neg_hi:[0,0,1]
	v_mul_f32_e32 v60, v61, v48
	s_delay_alu instid0(VALU_DEP_3) | instskip(NEXT) | instid1(VALU_DEP_2)
	v_pk_add_f32 v[32:33], v[32:33], v[64:65] neg_lo:[0,1] neg_hi:[0,1]
	v_pk_fma_f32 v[58:59], v[58:59], v[14:15], v[60:61] op_sel_hi:[1,1,0]
	s_delay_alu instid0(VALU_DEP_1) | instskip(SKIP_4) | instid1(VALU_DEP_1)
	v_mov_b32_e32 v63, v59
	ds_load_b64 v[58:59], v52 offset:160
	v_pk_add_f32 v[30:31], v[30:31], v[62:63] neg_lo:[0,1] neg_hi:[0,1]
	s_wait_dscnt 0x0
	v_pk_mul_f32 v[50:51], v[58:59], v[50:51] op_sel:[0,1]
	v_pk_fma_f32 v[60:61], v[58:59], v[48:49], v[50:51] op_sel:[0,0,1] op_sel_hi:[1,1,0] neg_lo:[0,0,1] neg_hi:[0,0,1]
	v_pk_fma_f32 v[48:49], v[58:59], v[48:49], v[50:51] op_sel:[0,0,1] op_sel_hi:[1,0,0]
	s_delay_alu instid0(VALU_DEP_1) | instskip(NEXT) | instid1(VALU_DEP_1)
	v_mov_b32_e32 v61, v49
	v_pk_add_f32 v[46:47], v[46:47], v[60:61] neg_lo:[0,1] neg_hi:[0,1]
.LBB40_125:
	s_or_b32 exec_lo, exec_lo, s0
	v_lshl_add_u32 v48, v56, 3, v52
	s_barrier_signal -1
	s_barrier_wait -1
	ds_store_b64 v48, v[16:17]
	s_wait_dscnt 0x0
	s_barrier_signal -1
	s_barrier_wait -1
	ds_load_b64 v[50:51], v52 offset:48
	v_mov_b32_e32 v48, 6
	s_cmp_lt_i32 s14, 8
	s_cbranch_scc1 .LBB40_128
; %bb.126:
	v_add3_u32 v49, v53, 0, 56
	v_mov_b32_e32 v48, 6
	s_mov_b32 s0, 7
.LBB40_127:                             ; =>This Inner Loop Header: Depth=1
	ds_load_b64 v[58:59], v49
	s_wait_dscnt 0x1
	v_cmp_gt_f32_e32 vcc_lo, 0, v50
	v_cndmask_b32_e64 v60, v50, -v50, vcc_lo
	v_cmp_gt_f32_e32 vcc_lo, 0, v51
	v_cndmask_b32_e64 v62, v51, -v51, vcc_lo
	s_wait_dscnt 0x0
	v_cmp_gt_f32_e32 vcc_lo, 0, v58
	v_cndmask_b32_e64 v61, v58, -v58, vcc_lo
	v_cmp_gt_f32_e32 vcc_lo, 0, v59
	v_cndmask_b32_e64 v63, v59, -v59, vcc_lo
	s_delay_alu instid0(VALU_DEP_1) | instskip(NEXT) | instid1(VALU_DEP_1)
	v_pk_add_f32 v[60:61], v[60:61], v[62:63]
	v_cmp_lt_f32_e32 vcc_lo, v60, v61
	v_dual_add_nc_u32 v49, 8, v49 :: v_dual_cndmask_b32 v51, v51, v59, vcc_lo
	v_cndmask_b32_e32 v50, v50, v58, vcc_lo
	v_cndmask_b32_e64 v48, v48, s0, vcc_lo
	s_add_co_i32 s0, s0, 1
	s_delay_alu instid0(SALU_CYCLE_1)
	s_cmp_lg_u32 s14, s0
	s_cbranch_scc1 .LBB40_127
.LBB40_128:
	s_wait_dscnt 0x0
	v_cmp_eq_f32_e32 vcc_lo, 0, v50
	v_cmp_eq_f32_e64 s0, 0, v51
	s_and_b32 s0, vcc_lo, s0
	s_delay_alu instid0(SALU_CYCLE_1) | instskip(NEXT) | instid1(SALU_CYCLE_1)
	s_and_saveexec_b32 s1, s0
	s_xor_b32 s0, exec_lo, s1
; %bb.129:
	v_cmp_ne_u32_e32 vcc_lo, 0, v54
	v_cndmask_b32_e32 v54, 7, v54, vcc_lo
; %bb.130:
	s_and_not1_saveexec_b32 s0, s0
	s_cbranch_execz .LBB40_136
; %bb.131:
	v_cmp_ngt_f32_e64 s1, |v50|, |v51|
	s_and_saveexec_b32 s15, s1
	s_delay_alu instid0(SALU_CYCLE_1)
	s_xor_b32 s1, exec_lo, s15
	s_cbranch_execz .LBB40_133
; %bb.132:
	v_div_scale_f32 v49, null, v51, v51, v50
	v_div_scale_f32 v59, vcc_lo, v50, v51, v50
	s_delay_alu instid0(VALU_DEP_2) | instskip(SKIP_1) | instid1(TRANS32_DEP_1)
	v_rcp_f32_e32 v57, v49
	v_nop
	v_fma_f32 v58, -v49, v57, 1.0
	s_delay_alu instid0(VALU_DEP_1) | instskip(NEXT) | instid1(VALU_DEP_1)
	v_fmac_f32_e32 v57, v58, v57
	v_mul_f32_e32 v58, v59, v57
	s_delay_alu instid0(VALU_DEP_1) | instskip(NEXT) | instid1(VALU_DEP_1)
	v_fma_f32 v60, -v49, v58, v59
	v_fmac_f32_e32 v58, v60, v57
	s_delay_alu instid0(VALU_DEP_1) | instskip(NEXT) | instid1(VALU_DEP_1)
	v_fma_f32 v49, -v49, v58, v59
	v_div_fmas_f32 v49, v49, v57, v58
	s_delay_alu instid0(VALU_DEP_1) | instskip(NEXT) | instid1(VALU_DEP_1)
	v_div_fixup_f32 v49, v49, v51, v50
	v_fmac_f32_e32 v51, v50, v49
	s_delay_alu instid0(VALU_DEP_1) | instskip(SKIP_1) | instid1(VALU_DEP_2)
	v_div_scale_f32 v50, null, v51, v51, 1.0
	v_div_scale_f32 v59, vcc_lo, 1.0, v51, 1.0
	v_rcp_f32_e32 v57, v50
	v_nop
	s_delay_alu instid0(TRANS32_DEP_1) | instskip(NEXT) | instid1(VALU_DEP_1)
	v_fma_f32 v58, -v50, v57, 1.0
	v_fmac_f32_e32 v57, v58, v57
	s_delay_alu instid0(VALU_DEP_1) | instskip(NEXT) | instid1(VALU_DEP_1)
	v_mul_f32_e32 v58, v59, v57
	v_fma_f32 v60, -v50, v58, v59
	s_delay_alu instid0(VALU_DEP_1) | instskip(NEXT) | instid1(VALU_DEP_1)
	v_fmac_f32_e32 v58, v60, v57
	v_fma_f32 v50, -v50, v58, v59
	s_delay_alu instid0(VALU_DEP_1) | instskip(NEXT) | instid1(VALU_DEP_1)
	v_div_fmas_f32 v50, v50, v57, v58
	v_div_fixup_f32 v51, v50, v51, 1.0
	s_delay_alu instid0(VALU_DEP_1)
	v_mul_f32_e32 v50, v49, v51
	v_xor_b32_e32 v51, 0x80000000, v51
.LBB40_133:
	s_and_not1_saveexec_b32 s1, s1
	s_cbranch_execz .LBB40_135
; %bb.134:
	s_delay_alu instid0(VALU_DEP_1) | instskip(SKIP_1) | instid1(VALU_DEP_2)
	v_div_scale_f32 v49, null, v50, v50, v51
	v_div_scale_f32 v59, vcc_lo, v51, v50, v51
	v_rcp_f32_e32 v57, v49
	v_nop
	s_delay_alu instid0(TRANS32_DEP_1) | instskip(NEXT) | instid1(VALU_DEP_1)
	v_fma_f32 v58, -v49, v57, 1.0
	v_fmac_f32_e32 v57, v58, v57
	s_delay_alu instid0(VALU_DEP_1) | instskip(NEXT) | instid1(VALU_DEP_1)
	v_mul_f32_e32 v58, v59, v57
	v_fma_f32 v60, -v49, v58, v59
	s_delay_alu instid0(VALU_DEP_1) | instskip(NEXT) | instid1(VALU_DEP_1)
	v_fmac_f32_e32 v58, v60, v57
	v_fma_f32 v49, -v49, v58, v59
	s_delay_alu instid0(VALU_DEP_1) | instskip(NEXT) | instid1(VALU_DEP_1)
	v_div_fmas_f32 v49, v49, v57, v58
	v_div_fixup_f32 v49, v49, v50, v51
	s_delay_alu instid0(VALU_DEP_1) | instskip(NEXT) | instid1(VALU_DEP_1)
	v_fmac_f32_e32 v50, v51, v49
	v_div_scale_f32 v51, null, v50, v50, 1.0
	s_delay_alu instid0(VALU_DEP_1) | instskip(SKIP_1) | instid1(TRANS32_DEP_1)
	v_rcp_f32_e32 v57, v51
	v_nop
	v_fma_f32 v58, -v51, v57, 1.0
	s_delay_alu instid0(VALU_DEP_1) | instskip(SKIP_1) | instid1(VALU_DEP_1)
	v_fmac_f32_e32 v57, v58, v57
	v_div_scale_f32 v58, vcc_lo, 1.0, v50, 1.0
	v_mul_f32_e32 v59, v58, v57
	s_delay_alu instid0(VALU_DEP_1) | instskip(NEXT) | instid1(VALU_DEP_1)
	v_fma_f32 v60, -v51, v59, v58
	v_fmac_f32_e32 v59, v60, v57
	s_delay_alu instid0(VALU_DEP_1) | instskip(NEXT) | instid1(VALU_DEP_1)
	v_fma_f32 v51, -v51, v59, v58
	v_div_fmas_f32 v51, v51, v57, v59
	s_delay_alu instid0(VALU_DEP_1) | instskip(NEXT) | instid1(VALU_DEP_1)
	v_div_fixup_f32 v50, v51, v50, 1.0
	v_mul_f32_e64 v51, v49, -v50
.LBB40_135:
	s_or_b32 exec_lo, exec_lo, s1
.LBB40_136:
	s_delay_alu instid0(SALU_CYCLE_1) | instskip(NEXT) | instid1(SALU_CYCLE_1)
	s_or_b32 exec_lo, exec_lo, s0
	s_mov_b32 s0, exec_lo
	v_cmpx_ne_u32_e64 v56, v48
	s_xor_b32 s0, exec_lo, s0
	s_cbranch_execz .LBB40_142
; %bb.137:
	s_mov_b32 s1, exec_lo
	v_cmpx_eq_u32_e32 6, v56
	s_cbranch_execz .LBB40_141
; %bb.138:
	v_cmp_ne_u32_e32 vcc_lo, 6, v48
	s_xor_b32 s15, s12, -1
	s_delay_alu instid0(SALU_CYCLE_1) | instskip(NEXT) | instid1(SALU_CYCLE_1)
	s_and_b32 s16, s15, vcc_lo
	s_and_saveexec_b32 s15, s16
	s_cbranch_execz .LBB40_140
; %bb.139:
	v_ashrrev_i32_e32 v49, 31, v48
	s_delay_alu instid0(VALU_DEP_1)
	v_lshl_add_u64 v[56:57], v[48:49], 2, v[36:37]
	s_clause 0x1
	global_load_b32 v49, v[56:57], off
	global_load_b32 v55, v[36:37], off offset:24
	s_wait_loadcnt 0x1
	global_store_b32 v[36:37], v49, off offset:24
	s_wait_loadcnt 0x0
	global_store_b32 v[56:57], v55, off
.LBB40_140:
	s_wait_xcnt 0x0
	s_or_b32 exec_lo, exec_lo, s15
	v_dual_mov_b32 v56, v48 :: v_dual_mov_b32 v55, v48
.LBB40_141:
	s_or_b32 exec_lo, exec_lo, s1
.LBB40_142:
	s_and_not1_saveexec_b32 s0, s0
	s_cbranch_execz .LBB40_144
; %bb.143:
	v_mov_b32_e32 v56, 6
	ds_store_2addr_b64 v52, v[12:13], v[10:11] offset0:7 offset1:8
	ds_store_2addr_b64 v52, v[6:7], v[8:9] offset0:9 offset1:10
	;; [unrolled: 1-line block ×7, first 2 shown]
.LBB40_144:
	s_or_b32 exec_lo, exec_lo, s0
	s_delay_alu instid0(SALU_CYCLE_1)
	s_mov_b32 s0, exec_lo
	s_wait_storecnt_dscnt 0x0
	s_barrier_signal -1
	s_barrier_wait -1
	v_cmpx_lt_i32_e32 6, v56
	s_cbranch_execz .LBB40_146
; %bb.145:
	v_pk_mul_f32 v[58:59], v[50:51], v[16:17] op_sel:[1,1] op_sel_hi:[0,1]
	s_delay_alu instid0(VALU_DEP_1)
	v_pk_fma_f32 v[48:49], v[50:51], v[16:17], v[58:59] op_sel_hi:[1,0,1] neg_lo:[0,0,1] neg_hi:[0,0,1]
	v_pk_fma_f32 v[50:51], v[50:51], v[16:17], v[58:59] op_sel_hi:[1,0,1]
	ds_load_2addr_b64 v[58:61], v52 offset0:7 offset1:8
	v_dual_mov_b32 v16, v48 :: v_dual_mov_b32 v17, v51
	s_wait_dscnt 0x0
	v_pk_mul_f32 v[62:63], v[58:59], v[50:51] op_sel:[0,1]
	s_delay_alu instid0(VALU_DEP_1) | instskip(SKIP_1) | instid1(VALU_DEP_1)
	v_pk_fma_f32 v[64:65], v[58:59], v[48:49], v[62:63] op_sel:[0,0,1] op_sel_hi:[1,1,0] neg_lo:[0,0,1] neg_hi:[0,0,1]
	v_pk_fma_f32 v[58:59], v[58:59], v[48:49], v[62:63] op_sel:[0,0,1] op_sel_hi:[1,0,0]
	v_mov_b32_e32 v65, v59
	v_pk_mul_f32 v[58:59], v[60:61], v[50:51] op_sel:[0,1]
	s_delay_alu instid0(VALU_DEP_1) | instskip(SKIP_1) | instid1(VALU_DEP_1)
	v_pk_fma_f32 v[62:63], v[60:61], v[48:49], v[58:59] op_sel:[0,0,1] op_sel_hi:[1,1,0] neg_lo:[0,0,1] neg_hi:[0,0,1]
	v_pk_fma_f32 v[58:59], v[60:61], v[48:49], v[58:59] op_sel:[0,0,1] op_sel_hi:[1,0,0]
	v_mov_b32_e32 v63, v59
	ds_load_2addr_b64 v[58:61], v52 offset0:9 offset1:10
	v_pk_add_f32 v[12:13], v[12:13], v[64:65] neg_lo:[0,1] neg_hi:[0,1]
	v_pk_add_f32 v[10:11], v[10:11], v[62:63] neg_lo:[0,1] neg_hi:[0,1]
	s_wait_dscnt 0x0
	v_pk_mul_f32 v[62:63], v[58:59], v[50:51] op_sel:[0,1]
	s_delay_alu instid0(VALU_DEP_1) | instskip(SKIP_2) | instid1(VALU_DEP_2)
	v_pk_fma_f32 v[64:65], v[58:59], v[48:49], v[62:63] op_sel:[0,0,1] op_sel_hi:[1,1,0] neg_lo:[0,0,1] neg_hi:[0,0,1]
	v_pk_fma_f32 v[58:59], v[58:59], v[48:49], v[62:63] op_sel:[0,0,1] op_sel_hi:[1,0,0]
	v_dual_mul_f32 v62, v61, v51 :: v_dual_mov_b32 v58, v61
	v_dual_mov_b32 v65, v59 :: v_dual_mov_b32 v59, v60
	s_delay_alu instid0(VALU_DEP_2) | instskip(SKIP_1) | instid1(VALU_DEP_3)
	v_pk_fma_f32 v[62:63], v[60:61], v[16:17], v[62:63] op_sel_hi:[1,1,0] neg_lo:[0,0,1] neg_hi:[0,0,1]
	v_mul_f32_e32 v60, v61, v48
	v_pk_add_f32 v[6:7], v[6:7], v[64:65] neg_lo:[0,1] neg_hi:[0,1]
	s_delay_alu instid0(VALU_DEP_2) | instskip(NEXT) | instid1(VALU_DEP_1)
	v_pk_fma_f32 v[58:59], v[58:59], v[16:17], v[60:61] op_sel_hi:[1,1,0]
	v_mov_b32_e32 v63, v59
	ds_load_2addr_b64 v[58:61], v52 offset0:11 offset1:12
	v_pk_add_f32 v[8:9], v[8:9], v[62:63] neg_lo:[0,1] neg_hi:[0,1]
	s_wait_dscnt 0x0
	v_pk_mul_f32 v[62:63], v[58:59], v[50:51] op_sel:[0,1]
	s_delay_alu instid0(VALU_DEP_1) | instskip(SKIP_1) | instid1(VALU_DEP_1)
	v_pk_fma_f32 v[64:65], v[58:59], v[48:49], v[62:63] op_sel:[0,0,1] op_sel_hi:[1,1,0] neg_lo:[0,0,1] neg_hi:[0,0,1]
	v_pk_fma_f32 v[58:59], v[58:59], v[48:49], v[62:63] op_sel:[0,0,1] op_sel_hi:[1,0,0]
	v_mov_b32_e32 v65, v59
	v_pk_mul_f32 v[58:59], v[60:61], v[50:51] op_sel:[0,1]
	s_delay_alu instid0(VALU_DEP_1) | instskip(SKIP_1) | instid1(VALU_DEP_1)
	v_pk_fma_f32 v[62:63], v[60:61], v[48:49], v[58:59] op_sel:[0,0,1] op_sel_hi:[1,1,0] neg_lo:[0,0,1] neg_hi:[0,0,1]
	v_pk_fma_f32 v[58:59], v[60:61], v[48:49], v[58:59] op_sel:[0,0,1] op_sel_hi:[1,0,0]
	v_mov_b32_e32 v63, v59
	ds_load_2addr_b64 v[58:61], v52 offset0:13 offset1:14
	v_pk_add_f32 v[4:5], v[4:5], v[64:65] neg_lo:[0,1] neg_hi:[0,1]
	v_pk_add_f32 v[28:29], v[28:29], v[62:63] neg_lo:[0,1] neg_hi:[0,1]
	s_wait_dscnt 0x0
	v_pk_mul_f32 v[62:63], v[58:59], v[50:51] op_sel:[0,1]
	s_delay_alu instid0(VALU_DEP_1) | instskip(SKIP_1) | instid1(VALU_DEP_1)
	v_pk_fma_f32 v[64:65], v[58:59], v[48:49], v[62:63] op_sel:[0,0,1] op_sel_hi:[1,1,0] neg_lo:[0,0,1] neg_hi:[0,0,1]
	v_pk_fma_f32 v[58:59], v[58:59], v[48:49], v[62:63] op_sel:[0,0,1] op_sel_hi:[1,0,0]
	v_mov_b32_e32 v65, v59
	v_pk_mul_f32 v[58:59], v[60:61], v[50:51] op_sel:[0,1]
	s_delay_alu instid0(VALU_DEP_1) | instskip(SKIP_1) | instid1(VALU_DEP_1)
	v_pk_fma_f32 v[62:63], v[60:61], v[48:49], v[58:59] op_sel:[0,0,1] op_sel_hi:[1,1,0] neg_lo:[0,0,1] neg_hi:[0,0,1]
	v_pk_fma_f32 v[58:59], v[60:61], v[48:49], v[58:59] op_sel:[0,0,1] op_sel_hi:[1,0,0]
	v_mov_b32_e32 v63, v59
	ds_load_2addr_b64 v[58:61], v52 offset0:15 offset1:16
	v_pk_add_f32 v[24:25], v[24:25], v[64:65] neg_lo:[0,1] neg_hi:[0,1]
	v_pk_add_f32 v[26:27], v[26:27], v[62:63] neg_lo:[0,1] neg_hi:[0,1]
	s_wait_dscnt 0x0
	v_dual_mul_f32 v62, v59, v51 :: v_dual_mul_f32 v64, v59, v48
	s_delay_alu instid0(VALU_DEP_1) | instskip(NEXT) | instid1(VALU_DEP_2)
	v_pk_fma_f32 v[62:63], v[58:59], v[16:17], v[62:63] op_sel_hi:[1,1,0] neg_lo:[0,0,1] neg_hi:[0,0,1]
	v_pk_fma_f32 v[58:59], v[58:59], v[16:17], v[64:65] op_sel:[1,0,0] op_sel_hi:[0,1,0]
	s_delay_alu instid0(VALU_DEP_1) | instskip(SKIP_1) | instid1(VALU_DEP_2)
	v_mov_b32_e32 v63, v59
	v_pk_mul_f32 v[58:59], v[60:61], v[50:51] op_sel:[0,1]
	v_pk_add_f32 v[22:23], v[22:23], v[62:63] neg_lo:[0,1] neg_hi:[0,1]
	s_delay_alu instid0(VALU_DEP_2) | instskip(SKIP_1) | instid1(VALU_DEP_1)
	v_pk_fma_f32 v[62:63], v[60:61], v[48:49], v[58:59] op_sel:[0,0,1] op_sel_hi:[1,1,0] neg_lo:[0,0,1] neg_hi:[0,0,1]
	v_pk_fma_f32 v[58:59], v[60:61], v[48:49], v[58:59] op_sel:[0,0,1] op_sel_hi:[1,0,0]
	v_mov_b32_e32 v63, v59
	ds_load_2addr_b64 v[58:61], v52 offset0:17 offset1:18
	v_pk_add_f32 v[20:21], v[20:21], v[62:63] neg_lo:[0,1] neg_hi:[0,1]
	s_wait_dscnt 0x0
	v_pk_mul_f32 v[62:63], v[58:59], v[50:51] op_sel:[0,1]
	s_delay_alu instid0(VALU_DEP_1) | instskip(SKIP_1) | instid1(VALU_DEP_1)
	v_pk_fma_f32 v[64:65], v[58:59], v[48:49], v[62:63] op_sel:[0,0,1] op_sel_hi:[1,1,0] neg_lo:[0,0,1] neg_hi:[0,0,1]
	v_pk_fma_f32 v[58:59], v[58:59], v[48:49], v[62:63] op_sel:[0,0,1] op_sel_hi:[1,0,0]
	v_mov_b32_e32 v65, v59
	v_pk_mul_f32 v[58:59], v[60:61], v[50:51] op_sel:[0,1]
	s_delay_alu instid0(VALU_DEP_2) | instskip(NEXT) | instid1(VALU_DEP_2)
	v_pk_add_f32 v[34:35], v[34:35], v[64:65] neg_lo:[0,1] neg_hi:[0,1]
	v_pk_fma_f32 v[62:63], v[60:61], v[48:49], v[58:59] op_sel:[0,0,1] op_sel_hi:[1,1,0] neg_lo:[0,0,1] neg_hi:[0,0,1]
	v_pk_fma_f32 v[58:59], v[60:61], v[48:49], v[58:59] op_sel:[0,0,1] op_sel_hi:[1,0,0]
	s_delay_alu instid0(VALU_DEP_1)
	v_mov_b32_e32 v63, v59
	ds_load_2addr_b64 v[58:61], v52 offset0:19 offset1:20
	v_pk_add_f32 v[32:33], v[32:33], v[62:63] neg_lo:[0,1] neg_hi:[0,1]
	s_wait_dscnt 0x0
	v_pk_mul_f32 v[62:63], v[58:59], v[50:51] op_sel:[0,1]
	v_pk_mul_f32 v[50:51], v[60:61], v[50:51] op_sel:[0,1]
	s_delay_alu instid0(VALU_DEP_2) | instskip(SKIP_1) | instid1(VALU_DEP_1)
	v_pk_fma_f32 v[64:65], v[58:59], v[48:49], v[62:63] op_sel:[0,0,1] op_sel_hi:[1,1,0] neg_lo:[0,0,1] neg_hi:[0,0,1]
	v_pk_fma_f32 v[58:59], v[58:59], v[48:49], v[62:63] op_sel:[0,0,1] op_sel_hi:[1,0,0]
	v_mov_b32_e32 v65, v59
	s_delay_alu instid0(VALU_DEP_4) | instskip(SKIP_1) | instid1(VALU_DEP_3)
	v_pk_fma_f32 v[58:59], v[60:61], v[48:49], v[50:51] op_sel:[0,0,1] op_sel_hi:[1,1,0] neg_lo:[0,0,1] neg_hi:[0,0,1]
	v_pk_fma_f32 v[48:49], v[60:61], v[48:49], v[50:51] op_sel:[0,0,1] op_sel_hi:[1,0,0]
	v_pk_add_f32 v[30:31], v[30:31], v[64:65] neg_lo:[0,1] neg_hi:[0,1]
	s_delay_alu instid0(VALU_DEP_2) | instskip(NEXT) | instid1(VALU_DEP_1)
	v_mov_b32_e32 v59, v49
	v_pk_add_f32 v[46:47], v[46:47], v[58:59] neg_lo:[0,1] neg_hi:[0,1]
.LBB40_146:
	s_or_b32 exec_lo, exec_lo, s0
	v_lshl_add_u32 v48, v56, 3, v52
	s_barrier_signal -1
	s_barrier_wait -1
	ds_store_b64 v48, v[12:13]
	s_wait_dscnt 0x0
	s_barrier_signal -1
	s_barrier_wait -1
	ds_load_b64 v[48:49], v52 offset:56
	v_mov_b32_e32 v50, 7
	s_cmp_lt_i32 s14, 9
	s_cbranch_scc1 .LBB40_149
; %bb.147:
	v_add3_u32 v51, v53, 0, 64
	v_mov_b32_e32 v50, 7
	s_mov_b32 s0, 8
.LBB40_148:                             ; =>This Inner Loop Header: Depth=1
	ds_load_b64 v[58:59], v51
	s_wait_dscnt 0x1
	v_cmp_gt_f32_e32 vcc_lo, 0, v48
	v_cndmask_b32_e64 v60, v48, -v48, vcc_lo
	v_cmp_gt_f32_e32 vcc_lo, 0, v49
	v_cndmask_b32_e64 v62, v49, -v49, vcc_lo
	s_wait_dscnt 0x0
	v_cmp_gt_f32_e32 vcc_lo, 0, v58
	v_cndmask_b32_e64 v61, v58, -v58, vcc_lo
	v_cmp_gt_f32_e32 vcc_lo, 0, v59
	v_cndmask_b32_e64 v63, v59, -v59, vcc_lo
	s_delay_alu instid0(VALU_DEP_1) | instskip(NEXT) | instid1(VALU_DEP_1)
	v_pk_add_f32 v[60:61], v[60:61], v[62:63]
	v_cmp_lt_f32_e32 vcc_lo, v60, v61
	v_dual_cndmask_b32 v48, v48, v58 :: v_dual_add_nc_u32 v51, 8, v51
	v_cndmask_b32_e32 v49, v49, v59, vcc_lo
	v_cndmask_b32_e64 v50, v50, s0, vcc_lo
	s_add_co_i32 s0, s0, 1
	s_delay_alu instid0(SALU_CYCLE_1)
	s_cmp_lg_u32 s14, s0
	s_cbranch_scc1 .LBB40_148
.LBB40_149:
	s_wait_dscnt 0x0
	v_cmp_eq_f32_e32 vcc_lo, 0, v48
	v_cmp_eq_f32_e64 s0, 0, v49
	s_and_b32 s0, vcc_lo, s0
	s_delay_alu instid0(SALU_CYCLE_1) | instskip(NEXT) | instid1(SALU_CYCLE_1)
	s_and_saveexec_b32 s1, s0
	s_xor_b32 s0, exec_lo, s1
; %bb.150:
	v_cmp_ne_u32_e32 vcc_lo, 0, v54
	v_cndmask_b32_e32 v54, 8, v54, vcc_lo
; %bb.151:
	s_and_not1_saveexec_b32 s0, s0
	s_cbranch_execz .LBB40_157
; %bb.152:
	v_cmp_ngt_f32_e64 s1, |v48|, |v49|
	s_and_saveexec_b32 s15, s1
	s_delay_alu instid0(SALU_CYCLE_1)
	s_xor_b32 s1, exec_lo, s15
	s_cbranch_execz .LBB40_154
; %bb.153:
	v_div_scale_f32 v51, null, v49, v49, v48
	v_div_scale_f32 v59, vcc_lo, v48, v49, v48
	s_delay_alu instid0(VALU_DEP_2) | instskip(SKIP_1) | instid1(TRANS32_DEP_1)
	v_rcp_f32_e32 v57, v51
	v_nop
	v_fma_f32 v58, -v51, v57, 1.0
	s_delay_alu instid0(VALU_DEP_1) | instskip(NEXT) | instid1(VALU_DEP_1)
	v_fmac_f32_e32 v57, v58, v57
	v_mul_f32_e32 v58, v59, v57
	s_delay_alu instid0(VALU_DEP_1) | instskip(NEXT) | instid1(VALU_DEP_1)
	v_fma_f32 v60, -v51, v58, v59
	v_fmac_f32_e32 v58, v60, v57
	s_delay_alu instid0(VALU_DEP_1) | instskip(NEXT) | instid1(VALU_DEP_1)
	v_fma_f32 v51, -v51, v58, v59
	v_div_fmas_f32 v51, v51, v57, v58
	s_delay_alu instid0(VALU_DEP_1) | instskip(NEXT) | instid1(VALU_DEP_1)
	v_div_fixup_f32 v51, v51, v49, v48
	v_fmac_f32_e32 v49, v48, v51
	s_delay_alu instid0(VALU_DEP_1) | instskip(SKIP_1) | instid1(VALU_DEP_2)
	v_div_scale_f32 v48, null, v49, v49, 1.0
	v_div_scale_f32 v59, vcc_lo, 1.0, v49, 1.0
	v_rcp_f32_e32 v57, v48
	v_nop
	s_delay_alu instid0(TRANS32_DEP_1) | instskip(NEXT) | instid1(VALU_DEP_1)
	v_fma_f32 v58, -v48, v57, 1.0
	v_fmac_f32_e32 v57, v58, v57
	s_delay_alu instid0(VALU_DEP_1) | instskip(NEXT) | instid1(VALU_DEP_1)
	v_mul_f32_e32 v58, v59, v57
	v_fma_f32 v60, -v48, v58, v59
	s_delay_alu instid0(VALU_DEP_1) | instskip(NEXT) | instid1(VALU_DEP_1)
	v_fmac_f32_e32 v58, v60, v57
	v_fma_f32 v48, -v48, v58, v59
	s_delay_alu instid0(VALU_DEP_1) | instskip(NEXT) | instid1(VALU_DEP_1)
	v_div_fmas_f32 v48, v48, v57, v58
	v_div_fixup_f32 v49, v48, v49, 1.0
	s_delay_alu instid0(VALU_DEP_1)
	v_mul_f32_e32 v48, v51, v49
	v_xor_b32_e32 v49, 0x80000000, v49
.LBB40_154:
	s_and_not1_saveexec_b32 s1, s1
	s_cbranch_execz .LBB40_156
; %bb.155:
	s_delay_alu instid0(VALU_DEP_1) | instskip(SKIP_1) | instid1(VALU_DEP_2)
	v_div_scale_f32 v51, null, v48, v48, v49
	v_div_scale_f32 v59, vcc_lo, v49, v48, v49
	v_rcp_f32_e32 v57, v51
	v_nop
	s_delay_alu instid0(TRANS32_DEP_1) | instskip(NEXT) | instid1(VALU_DEP_1)
	v_fma_f32 v58, -v51, v57, 1.0
	v_fmac_f32_e32 v57, v58, v57
	s_delay_alu instid0(VALU_DEP_1) | instskip(NEXT) | instid1(VALU_DEP_1)
	v_mul_f32_e32 v58, v59, v57
	v_fma_f32 v60, -v51, v58, v59
	s_delay_alu instid0(VALU_DEP_1) | instskip(NEXT) | instid1(VALU_DEP_1)
	v_fmac_f32_e32 v58, v60, v57
	v_fma_f32 v51, -v51, v58, v59
	s_delay_alu instid0(VALU_DEP_1) | instskip(NEXT) | instid1(VALU_DEP_1)
	v_div_fmas_f32 v51, v51, v57, v58
	v_div_fixup_f32 v51, v51, v48, v49
	s_delay_alu instid0(VALU_DEP_1) | instskip(NEXT) | instid1(VALU_DEP_1)
	v_fmac_f32_e32 v48, v49, v51
	v_div_scale_f32 v49, null, v48, v48, 1.0
	s_delay_alu instid0(VALU_DEP_1) | instskip(SKIP_1) | instid1(TRANS32_DEP_1)
	v_rcp_f32_e32 v57, v49
	v_nop
	v_fma_f32 v58, -v49, v57, 1.0
	s_delay_alu instid0(VALU_DEP_1) | instskip(SKIP_1) | instid1(VALU_DEP_1)
	v_fmac_f32_e32 v57, v58, v57
	v_div_scale_f32 v58, vcc_lo, 1.0, v48, 1.0
	v_mul_f32_e32 v59, v58, v57
	s_delay_alu instid0(VALU_DEP_1) | instskip(NEXT) | instid1(VALU_DEP_1)
	v_fma_f32 v60, -v49, v59, v58
	v_fmac_f32_e32 v59, v60, v57
	s_delay_alu instid0(VALU_DEP_1) | instskip(NEXT) | instid1(VALU_DEP_1)
	v_fma_f32 v49, -v49, v59, v58
	v_div_fmas_f32 v49, v49, v57, v59
	s_delay_alu instid0(VALU_DEP_1) | instskip(NEXT) | instid1(VALU_DEP_1)
	v_div_fixup_f32 v48, v49, v48, 1.0
	v_mul_f32_e64 v49, v51, -v48
.LBB40_156:
	s_or_b32 exec_lo, exec_lo, s1
.LBB40_157:
	s_delay_alu instid0(SALU_CYCLE_1) | instskip(NEXT) | instid1(SALU_CYCLE_1)
	s_or_b32 exec_lo, exec_lo, s0
	s_mov_b32 s0, exec_lo
	v_cmpx_ne_u32_e64 v56, v50
	s_xor_b32 s0, exec_lo, s0
	s_cbranch_execz .LBB40_163
; %bb.158:
	s_mov_b32 s1, exec_lo
	v_cmpx_eq_u32_e32 7, v56
	s_cbranch_execz .LBB40_162
; %bb.159:
	v_cmp_ne_u32_e32 vcc_lo, 7, v50
	s_xor_b32 s15, s12, -1
	s_delay_alu instid0(SALU_CYCLE_1) | instskip(NEXT) | instid1(SALU_CYCLE_1)
	s_and_b32 s16, s15, vcc_lo
	s_and_saveexec_b32 s15, s16
	s_cbranch_execz .LBB40_161
; %bb.160:
	v_ashrrev_i32_e32 v51, 31, v50
	s_delay_alu instid0(VALU_DEP_1)
	v_lshl_add_u64 v[56:57], v[50:51], 2, v[36:37]
	s_clause 0x1
	global_load_b32 v51, v[56:57], off
	global_load_b32 v55, v[36:37], off offset:28
	s_wait_loadcnt 0x1
	global_store_b32 v[36:37], v51, off offset:28
	s_wait_loadcnt 0x0
	global_store_b32 v[56:57], v55, off
.LBB40_161:
	s_wait_xcnt 0x0
	s_or_b32 exec_lo, exec_lo, s15
	v_dual_mov_b32 v56, v50 :: v_dual_mov_b32 v55, v50
.LBB40_162:
	s_or_b32 exec_lo, exec_lo, s1
.LBB40_163:
	s_and_not1_saveexec_b32 s0, s0
	s_cbranch_execz .LBB40_165
; %bb.164:
	v_dual_mov_b32 v50, v10 :: v_dual_mov_b32 v51, v11
	v_dual_mov_b32 v56, v6 :: v_dual_mov_b32 v57, v7
	;; [unrolled: 1-line block ×4, first 2 shown]
	ds_store_2addr_b64 v52, v[50:51], v[56:57] offset0:8 offset1:9
	ds_store_2addr_b64 v52, v[58:59], v[60:61] offset0:10 offset1:11
	v_dual_mov_b32 v50, v28 :: v_dual_mov_b32 v51, v29
	v_dual_mov_b32 v58, v24 :: v_dual_mov_b32 v59, v25
	;; [unrolled: 1-line block ×8, first 2 shown]
	v_mov_b32_e32 v71, v31
	ds_store_2addr_b64 v52, v[50:51], v[58:59] offset0:12 offset1:13
	ds_store_2addr_b64 v52, v[60:61], v[62:63] offset0:14 offset1:15
	;; [unrolled: 1-line block ×4, first 2 shown]
	ds_store_b64 v52, v[46:47] offset:160
.LBB40_165:
	s_or_b32 exec_lo, exec_lo, s0
	s_delay_alu instid0(SALU_CYCLE_1)
	s_mov_b32 s0, exec_lo
	s_wait_storecnt_dscnt 0x0
	s_barrier_signal -1
	s_barrier_wait -1
	v_cmpx_lt_i32_e32 7, v56
	s_cbranch_execz .LBB40_167
; %bb.166:
	v_pk_mul_f32 v[50:51], v[48:49], v[12:13] op_sel:[1,1] op_sel_hi:[0,1]
	s_delay_alu instid0(VALU_DEP_1)
	v_pk_fma_f32 v[58:59], v[48:49], v[12:13], v[50:51] op_sel_hi:[1,0,1] neg_lo:[0,0,1] neg_hi:[0,0,1]
	v_pk_fma_f32 v[60:61], v[48:49], v[12:13], v[50:51] op_sel_hi:[1,0,1]
	ds_load_2addr_b64 v[48:51], v52 offset0:8 offset1:9
	v_dual_mov_b32 v12, v58 :: v_dual_mov_b32 v13, v61
	s_wait_dscnt 0x0
	v_pk_mul_f32 v[62:63], v[48:49], v[60:61] op_sel:[0,1]
	s_delay_alu instid0(VALU_DEP_1) | instskip(SKIP_1) | instid1(VALU_DEP_1)
	v_pk_fma_f32 v[64:65], v[48:49], v[58:59], v[62:63] op_sel:[0,0,1] op_sel_hi:[1,1,0] neg_lo:[0,0,1] neg_hi:[0,0,1]
	v_pk_fma_f32 v[48:49], v[48:49], v[58:59], v[62:63] op_sel:[0,0,1] op_sel_hi:[1,0,0]
	v_mov_b32_e32 v65, v49
	v_pk_mul_f32 v[48:49], v[50:51], v[60:61] op_sel:[0,1]
	s_delay_alu instid0(VALU_DEP_1) | instskip(SKIP_1) | instid1(VALU_DEP_1)
	v_pk_fma_f32 v[62:63], v[50:51], v[58:59], v[48:49] op_sel:[0,0,1] op_sel_hi:[1,1,0] neg_lo:[0,0,1] neg_hi:[0,0,1]
	v_pk_fma_f32 v[48:49], v[50:51], v[58:59], v[48:49] op_sel:[0,0,1] op_sel_hi:[1,0,0]
	v_mov_b32_e32 v63, v49
	ds_load_2addr_b64 v[48:51], v52 offset0:10 offset1:11
	v_pk_add_f32 v[10:11], v[10:11], v[64:65] neg_lo:[0,1] neg_hi:[0,1]
	v_pk_add_f32 v[6:7], v[6:7], v[62:63] neg_lo:[0,1] neg_hi:[0,1]
	s_wait_dscnt 0x0
	v_pk_mul_f32 v[62:63], v[48:49], v[60:61] op_sel:[0,1]
	s_delay_alu instid0(VALU_DEP_1) | instskip(SKIP_2) | instid1(VALU_DEP_2)
	v_pk_fma_f32 v[64:65], v[48:49], v[58:59], v[62:63] op_sel:[0,0,1] op_sel_hi:[1,1,0] neg_lo:[0,0,1] neg_hi:[0,0,1]
	v_pk_fma_f32 v[48:49], v[48:49], v[58:59], v[62:63] op_sel:[0,0,1] op_sel_hi:[1,0,0]
	v_dual_mul_f32 v62, v51, v61 :: v_dual_mov_b32 v48, v51
	v_dual_mov_b32 v65, v49 :: v_dual_mov_b32 v49, v50
	s_delay_alu instid0(VALU_DEP_2) | instskip(SKIP_1) | instid1(VALU_DEP_3)
	v_pk_fma_f32 v[62:63], v[50:51], v[12:13], v[62:63] op_sel_hi:[1,1,0] neg_lo:[0,0,1] neg_hi:[0,0,1]
	v_mul_f32_e32 v50, v51, v58
	v_pk_add_f32 v[8:9], v[8:9], v[64:65] neg_lo:[0,1] neg_hi:[0,1]
	s_delay_alu instid0(VALU_DEP_2) | instskip(NEXT) | instid1(VALU_DEP_1)
	v_pk_fma_f32 v[48:49], v[48:49], v[12:13], v[50:51] op_sel_hi:[1,1,0]
	v_mov_b32_e32 v63, v49
	ds_load_2addr_b64 v[48:51], v52 offset0:12 offset1:13
	v_pk_add_f32 v[4:5], v[4:5], v[62:63] neg_lo:[0,1] neg_hi:[0,1]
	s_wait_dscnt 0x0
	v_pk_mul_f32 v[62:63], v[48:49], v[60:61] op_sel:[0,1]
	s_delay_alu instid0(VALU_DEP_1) | instskip(SKIP_1) | instid1(VALU_DEP_1)
	v_pk_fma_f32 v[64:65], v[48:49], v[58:59], v[62:63] op_sel:[0,0,1] op_sel_hi:[1,1,0] neg_lo:[0,0,1] neg_hi:[0,0,1]
	v_pk_fma_f32 v[48:49], v[48:49], v[58:59], v[62:63] op_sel:[0,0,1] op_sel_hi:[1,0,0]
	v_mov_b32_e32 v65, v49
	v_pk_mul_f32 v[48:49], v[50:51], v[60:61] op_sel:[0,1]
	s_delay_alu instid0(VALU_DEP_1) | instskip(SKIP_1) | instid1(VALU_DEP_1)
	v_pk_fma_f32 v[62:63], v[50:51], v[58:59], v[48:49] op_sel:[0,0,1] op_sel_hi:[1,1,0] neg_lo:[0,0,1] neg_hi:[0,0,1]
	v_pk_fma_f32 v[48:49], v[50:51], v[58:59], v[48:49] op_sel:[0,0,1] op_sel_hi:[1,0,0]
	v_mov_b32_e32 v63, v49
	ds_load_2addr_b64 v[48:51], v52 offset0:14 offset1:15
	v_pk_add_f32 v[28:29], v[28:29], v[64:65] neg_lo:[0,1] neg_hi:[0,1]
	v_pk_add_f32 v[24:25], v[24:25], v[62:63] neg_lo:[0,1] neg_hi:[0,1]
	s_wait_dscnt 0x0
	v_pk_mul_f32 v[62:63], v[48:49], v[60:61] op_sel:[0,1]
	s_delay_alu instid0(VALU_DEP_1) | instskip(SKIP_1) | instid1(VALU_DEP_1)
	v_pk_fma_f32 v[64:65], v[48:49], v[58:59], v[62:63] op_sel:[0,0,1] op_sel_hi:[1,1,0] neg_lo:[0,0,1] neg_hi:[0,0,1]
	v_pk_fma_f32 v[48:49], v[48:49], v[58:59], v[62:63] op_sel:[0,0,1] op_sel_hi:[1,0,0]
	v_mov_b32_e32 v65, v49
	v_pk_mul_f32 v[48:49], v[50:51], v[60:61] op_sel:[0,1]
	s_delay_alu instid0(VALU_DEP_1) | instskip(SKIP_1) | instid1(VALU_DEP_1)
	v_pk_fma_f32 v[62:63], v[50:51], v[58:59], v[48:49] op_sel:[0,0,1] op_sel_hi:[1,1,0] neg_lo:[0,0,1] neg_hi:[0,0,1]
	v_pk_fma_f32 v[48:49], v[50:51], v[58:59], v[48:49] op_sel:[0,0,1] op_sel_hi:[1,0,0]
	v_mov_b32_e32 v63, v49
	ds_load_2addr_b64 v[48:51], v52 offset0:16 offset1:17
	v_pk_add_f32 v[26:27], v[26:27], v[64:65] neg_lo:[0,1] neg_hi:[0,1]
	v_pk_add_f32 v[22:23], v[22:23], v[62:63] neg_lo:[0,1] neg_hi:[0,1]
	s_wait_dscnt 0x0
	v_dual_mul_f32 v62, v49, v61 :: v_dual_mul_f32 v64, v49, v58
	s_delay_alu instid0(VALU_DEP_1) | instskip(NEXT) | instid1(VALU_DEP_2)
	v_pk_fma_f32 v[62:63], v[48:49], v[12:13], v[62:63] op_sel_hi:[1,1,0] neg_lo:[0,0,1] neg_hi:[0,0,1]
	v_pk_fma_f32 v[48:49], v[48:49], v[12:13], v[64:65] op_sel:[1,0,0] op_sel_hi:[0,1,0]
	s_delay_alu instid0(VALU_DEP_1) | instskip(SKIP_1) | instid1(VALU_DEP_2)
	v_mov_b32_e32 v63, v49
	v_pk_mul_f32 v[48:49], v[50:51], v[60:61] op_sel:[0,1]
	v_pk_add_f32 v[20:21], v[20:21], v[62:63] neg_lo:[0,1] neg_hi:[0,1]
	s_delay_alu instid0(VALU_DEP_2) | instskip(SKIP_1) | instid1(VALU_DEP_1)
	v_pk_fma_f32 v[62:63], v[50:51], v[58:59], v[48:49] op_sel:[0,0,1] op_sel_hi:[1,1,0] neg_lo:[0,0,1] neg_hi:[0,0,1]
	v_pk_fma_f32 v[48:49], v[50:51], v[58:59], v[48:49] op_sel:[0,0,1] op_sel_hi:[1,0,0]
	v_mov_b32_e32 v63, v49
	ds_load_2addr_b64 v[48:51], v52 offset0:18 offset1:19
	v_pk_add_f32 v[34:35], v[34:35], v[62:63] neg_lo:[0,1] neg_hi:[0,1]
	s_wait_dscnt 0x0
	v_pk_mul_f32 v[62:63], v[48:49], v[60:61] op_sel:[0,1]
	s_delay_alu instid0(VALU_DEP_1) | instskip(SKIP_1) | instid1(VALU_DEP_1)
	v_pk_fma_f32 v[64:65], v[48:49], v[58:59], v[62:63] op_sel:[0,0,1] op_sel_hi:[1,1,0] neg_lo:[0,0,1] neg_hi:[0,0,1]
	v_pk_fma_f32 v[48:49], v[48:49], v[58:59], v[62:63] op_sel:[0,0,1] op_sel_hi:[1,0,0]
	v_mov_b32_e32 v65, v49
	v_pk_mul_f32 v[48:49], v[50:51], v[60:61] op_sel:[0,1]
	s_delay_alu instid0(VALU_DEP_2) | instskip(NEXT) | instid1(VALU_DEP_2)
	v_pk_add_f32 v[32:33], v[32:33], v[64:65] neg_lo:[0,1] neg_hi:[0,1]
	v_pk_fma_f32 v[62:63], v[50:51], v[58:59], v[48:49] op_sel:[0,0,1] op_sel_hi:[1,1,0] neg_lo:[0,0,1] neg_hi:[0,0,1]
	v_pk_fma_f32 v[48:49], v[50:51], v[58:59], v[48:49] op_sel:[0,0,1] op_sel_hi:[1,0,0]
	s_delay_alu instid0(VALU_DEP_1) | instskip(SKIP_4) | instid1(VALU_DEP_1)
	v_mov_b32_e32 v63, v49
	ds_load_b64 v[48:49], v52 offset:160
	v_pk_add_f32 v[30:31], v[30:31], v[62:63] neg_lo:[0,1] neg_hi:[0,1]
	s_wait_dscnt 0x0
	v_pk_mul_f32 v[50:51], v[48:49], v[60:61] op_sel:[0,1]
	v_pk_fma_f32 v[60:61], v[48:49], v[58:59], v[50:51] op_sel:[0,0,1] op_sel_hi:[1,1,0] neg_lo:[0,0,1] neg_hi:[0,0,1]
	v_pk_fma_f32 v[48:49], v[48:49], v[58:59], v[50:51] op_sel:[0,0,1] op_sel_hi:[1,0,0]
	s_delay_alu instid0(VALU_DEP_1) | instskip(NEXT) | instid1(VALU_DEP_1)
	v_mov_b32_e32 v61, v49
	v_pk_add_f32 v[46:47], v[46:47], v[60:61] neg_lo:[0,1] neg_hi:[0,1]
.LBB40_167:
	s_or_b32 exec_lo, exec_lo, s0
	v_lshl_add_u32 v48, v56, 3, v52
	s_barrier_signal -1
	s_barrier_wait -1
	ds_store_b64 v48, v[10:11]
	s_wait_dscnt 0x0
	s_barrier_signal -1
	s_barrier_wait -1
	ds_load_b64 v[48:49], v52 offset:64
	v_mov_b32_e32 v50, 8
	s_cmp_lt_i32 s14, 10
	s_cbranch_scc1 .LBB40_170
; %bb.168:
	v_add3_u32 v51, v53, 0, 0x48
	v_mov_b32_e32 v50, 8
	s_mov_b32 s0, 9
.LBB40_169:                             ; =>This Inner Loop Header: Depth=1
	ds_load_b64 v[58:59], v51
	s_wait_dscnt 0x1
	v_cmp_gt_f32_e32 vcc_lo, 0, v48
	v_cndmask_b32_e64 v60, v48, -v48, vcc_lo
	v_cmp_gt_f32_e32 vcc_lo, 0, v49
	v_cndmask_b32_e64 v62, v49, -v49, vcc_lo
	s_wait_dscnt 0x0
	v_cmp_gt_f32_e32 vcc_lo, 0, v58
	v_cndmask_b32_e64 v61, v58, -v58, vcc_lo
	v_cmp_gt_f32_e32 vcc_lo, 0, v59
	v_cndmask_b32_e64 v63, v59, -v59, vcc_lo
	s_delay_alu instid0(VALU_DEP_1) | instskip(NEXT) | instid1(VALU_DEP_1)
	v_pk_add_f32 v[60:61], v[60:61], v[62:63]
	v_cmp_lt_f32_e32 vcc_lo, v60, v61
	v_dual_cndmask_b32 v48, v48, v58 :: v_dual_add_nc_u32 v51, 8, v51
	v_cndmask_b32_e32 v49, v49, v59, vcc_lo
	v_cndmask_b32_e64 v50, v50, s0, vcc_lo
	s_add_co_i32 s0, s0, 1
	s_delay_alu instid0(SALU_CYCLE_1)
	s_cmp_lg_u32 s14, s0
	s_cbranch_scc1 .LBB40_169
.LBB40_170:
	s_wait_dscnt 0x0
	v_cmp_eq_f32_e32 vcc_lo, 0, v48
	v_cmp_eq_f32_e64 s0, 0, v49
	s_and_b32 s0, vcc_lo, s0
	s_delay_alu instid0(SALU_CYCLE_1) | instskip(NEXT) | instid1(SALU_CYCLE_1)
	s_and_saveexec_b32 s1, s0
	s_xor_b32 s0, exec_lo, s1
; %bb.171:
	v_cmp_ne_u32_e32 vcc_lo, 0, v54
	v_cndmask_b32_e32 v54, 9, v54, vcc_lo
; %bb.172:
	s_and_not1_saveexec_b32 s0, s0
	s_cbranch_execz .LBB40_178
; %bb.173:
	v_cmp_ngt_f32_e64 s1, |v48|, |v49|
	s_and_saveexec_b32 s15, s1
	s_delay_alu instid0(SALU_CYCLE_1)
	s_xor_b32 s1, exec_lo, s15
	s_cbranch_execz .LBB40_175
; %bb.174:
	v_div_scale_f32 v51, null, v49, v49, v48
	v_div_scale_f32 v59, vcc_lo, v48, v49, v48
	s_delay_alu instid0(VALU_DEP_2) | instskip(SKIP_1) | instid1(TRANS32_DEP_1)
	v_rcp_f32_e32 v57, v51
	v_nop
	v_fma_f32 v58, -v51, v57, 1.0
	s_delay_alu instid0(VALU_DEP_1) | instskip(NEXT) | instid1(VALU_DEP_1)
	v_fmac_f32_e32 v57, v58, v57
	v_mul_f32_e32 v58, v59, v57
	s_delay_alu instid0(VALU_DEP_1) | instskip(NEXT) | instid1(VALU_DEP_1)
	v_fma_f32 v60, -v51, v58, v59
	v_fmac_f32_e32 v58, v60, v57
	s_delay_alu instid0(VALU_DEP_1) | instskip(NEXT) | instid1(VALU_DEP_1)
	v_fma_f32 v51, -v51, v58, v59
	v_div_fmas_f32 v51, v51, v57, v58
	s_delay_alu instid0(VALU_DEP_1) | instskip(NEXT) | instid1(VALU_DEP_1)
	v_div_fixup_f32 v51, v51, v49, v48
	v_fmac_f32_e32 v49, v48, v51
	s_delay_alu instid0(VALU_DEP_1) | instskip(SKIP_1) | instid1(VALU_DEP_2)
	v_div_scale_f32 v48, null, v49, v49, 1.0
	v_div_scale_f32 v59, vcc_lo, 1.0, v49, 1.0
	v_rcp_f32_e32 v57, v48
	v_nop
	s_delay_alu instid0(TRANS32_DEP_1) | instskip(NEXT) | instid1(VALU_DEP_1)
	v_fma_f32 v58, -v48, v57, 1.0
	v_fmac_f32_e32 v57, v58, v57
	s_delay_alu instid0(VALU_DEP_1) | instskip(NEXT) | instid1(VALU_DEP_1)
	v_mul_f32_e32 v58, v59, v57
	v_fma_f32 v60, -v48, v58, v59
	s_delay_alu instid0(VALU_DEP_1) | instskip(NEXT) | instid1(VALU_DEP_1)
	v_fmac_f32_e32 v58, v60, v57
	v_fma_f32 v48, -v48, v58, v59
	s_delay_alu instid0(VALU_DEP_1) | instskip(NEXT) | instid1(VALU_DEP_1)
	v_div_fmas_f32 v48, v48, v57, v58
	v_div_fixup_f32 v49, v48, v49, 1.0
	s_delay_alu instid0(VALU_DEP_1)
	v_mul_f32_e32 v48, v51, v49
	v_xor_b32_e32 v49, 0x80000000, v49
.LBB40_175:
	s_and_not1_saveexec_b32 s1, s1
	s_cbranch_execz .LBB40_177
; %bb.176:
	s_delay_alu instid0(VALU_DEP_1) | instskip(SKIP_1) | instid1(VALU_DEP_2)
	v_div_scale_f32 v51, null, v48, v48, v49
	v_div_scale_f32 v59, vcc_lo, v49, v48, v49
	v_rcp_f32_e32 v57, v51
	v_nop
	s_delay_alu instid0(TRANS32_DEP_1) | instskip(NEXT) | instid1(VALU_DEP_1)
	v_fma_f32 v58, -v51, v57, 1.0
	v_fmac_f32_e32 v57, v58, v57
	s_delay_alu instid0(VALU_DEP_1) | instskip(NEXT) | instid1(VALU_DEP_1)
	v_mul_f32_e32 v58, v59, v57
	v_fma_f32 v60, -v51, v58, v59
	s_delay_alu instid0(VALU_DEP_1) | instskip(NEXT) | instid1(VALU_DEP_1)
	v_fmac_f32_e32 v58, v60, v57
	v_fma_f32 v51, -v51, v58, v59
	s_delay_alu instid0(VALU_DEP_1) | instskip(NEXT) | instid1(VALU_DEP_1)
	v_div_fmas_f32 v51, v51, v57, v58
	v_div_fixup_f32 v51, v51, v48, v49
	s_delay_alu instid0(VALU_DEP_1) | instskip(NEXT) | instid1(VALU_DEP_1)
	v_fmac_f32_e32 v48, v49, v51
	v_div_scale_f32 v49, null, v48, v48, 1.0
	s_delay_alu instid0(VALU_DEP_1) | instskip(SKIP_1) | instid1(TRANS32_DEP_1)
	v_rcp_f32_e32 v57, v49
	v_nop
	v_fma_f32 v58, -v49, v57, 1.0
	s_delay_alu instid0(VALU_DEP_1) | instskip(SKIP_1) | instid1(VALU_DEP_1)
	v_fmac_f32_e32 v57, v58, v57
	v_div_scale_f32 v58, vcc_lo, 1.0, v48, 1.0
	v_mul_f32_e32 v59, v58, v57
	s_delay_alu instid0(VALU_DEP_1) | instskip(NEXT) | instid1(VALU_DEP_1)
	v_fma_f32 v60, -v49, v59, v58
	v_fmac_f32_e32 v59, v60, v57
	s_delay_alu instid0(VALU_DEP_1) | instskip(NEXT) | instid1(VALU_DEP_1)
	v_fma_f32 v49, -v49, v59, v58
	v_div_fmas_f32 v49, v49, v57, v59
	s_delay_alu instid0(VALU_DEP_1) | instskip(NEXT) | instid1(VALU_DEP_1)
	v_div_fixup_f32 v48, v49, v48, 1.0
	v_mul_f32_e64 v49, v51, -v48
.LBB40_177:
	s_or_b32 exec_lo, exec_lo, s1
.LBB40_178:
	s_delay_alu instid0(SALU_CYCLE_1) | instskip(NEXT) | instid1(SALU_CYCLE_1)
	s_or_b32 exec_lo, exec_lo, s0
	s_mov_b32 s0, exec_lo
	v_cmpx_ne_u32_e64 v56, v50
	s_xor_b32 s0, exec_lo, s0
	s_cbranch_execz .LBB40_184
; %bb.179:
	s_mov_b32 s1, exec_lo
	v_cmpx_eq_u32_e32 8, v56
	s_cbranch_execz .LBB40_183
; %bb.180:
	v_cmp_ne_u32_e32 vcc_lo, 8, v50
	s_xor_b32 s15, s12, -1
	s_delay_alu instid0(SALU_CYCLE_1) | instskip(NEXT) | instid1(SALU_CYCLE_1)
	s_and_b32 s16, s15, vcc_lo
	s_and_saveexec_b32 s15, s16
	s_cbranch_execz .LBB40_182
; %bb.181:
	v_ashrrev_i32_e32 v51, 31, v50
	s_delay_alu instid0(VALU_DEP_1)
	v_lshl_add_u64 v[56:57], v[50:51], 2, v[36:37]
	s_clause 0x1
	global_load_b32 v51, v[56:57], off
	global_load_b32 v55, v[36:37], off offset:32
	s_wait_loadcnt 0x1
	global_store_b32 v[36:37], v51, off offset:32
	s_wait_loadcnt 0x0
	global_store_b32 v[56:57], v55, off
.LBB40_182:
	s_wait_xcnt 0x0
	s_or_b32 exec_lo, exec_lo, s15
	v_dual_mov_b32 v56, v50 :: v_dual_mov_b32 v55, v50
.LBB40_183:
	s_or_b32 exec_lo, exec_lo, s1
.LBB40_184:
	s_and_not1_saveexec_b32 s0, s0
	s_cbranch_execz .LBB40_186
; %bb.185:
	v_mov_b32_e32 v56, 8
	ds_store_2addr_b64 v52, v[6:7], v[8:9] offset0:9 offset1:10
	ds_store_2addr_b64 v52, v[4:5], v[28:29] offset0:11 offset1:12
	ds_store_2addr_b64 v52, v[24:25], v[26:27] offset0:13 offset1:14
	ds_store_2addr_b64 v52, v[22:23], v[20:21] offset0:15 offset1:16
	ds_store_2addr_b64 v52, v[34:35], v[32:33] offset0:17 offset1:18
	ds_store_2addr_b64 v52, v[30:31], v[46:47] offset0:19 offset1:20
.LBB40_186:
	s_or_b32 exec_lo, exec_lo, s0
	s_delay_alu instid0(SALU_CYCLE_1)
	s_mov_b32 s0, exec_lo
	s_wait_storecnt_dscnt 0x0
	s_barrier_signal -1
	s_barrier_wait -1
	v_cmpx_lt_i32_e32 8, v56
	s_cbranch_execz .LBB40_188
; %bb.187:
	v_pk_mul_f32 v[50:51], v[48:49], v[10:11] op_sel:[1,1] op_sel_hi:[0,1]
	s_delay_alu instid0(VALU_DEP_1)
	v_pk_fma_f32 v[58:59], v[48:49], v[10:11], v[50:51] op_sel_hi:[1,0,1] neg_lo:[0,0,1] neg_hi:[0,0,1]
	v_pk_fma_f32 v[60:61], v[48:49], v[10:11], v[50:51] op_sel_hi:[1,0,1]
	ds_load_2addr_b64 v[48:51], v52 offset0:9 offset1:10
	v_dual_mov_b32 v10, v58 :: v_dual_mov_b32 v11, v61
	s_wait_dscnt 0x0
	v_pk_mul_f32 v[62:63], v[48:49], v[60:61] op_sel:[0,1]
	s_delay_alu instid0(VALU_DEP_1) | instskip(SKIP_1) | instid1(VALU_DEP_1)
	v_pk_fma_f32 v[64:65], v[48:49], v[58:59], v[62:63] op_sel:[0,0,1] op_sel_hi:[1,1,0] neg_lo:[0,0,1] neg_hi:[0,0,1]
	v_pk_fma_f32 v[48:49], v[48:49], v[58:59], v[62:63] op_sel:[0,0,1] op_sel_hi:[1,0,0]
	v_mov_b32_e32 v65, v49
	v_pk_mul_f32 v[48:49], v[50:51], v[60:61] op_sel:[0,1]
	s_delay_alu instid0(VALU_DEP_1) | instskip(SKIP_1) | instid1(VALU_DEP_1)
	v_pk_fma_f32 v[62:63], v[50:51], v[58:59], v[48:49] op_sel:[0,0,1] op_sel_hi:[1,1,0] neg_lo:[0,0,1] neg_hi:[0,0,1]
	v_pk_fma_f32 v[48:49], v[50:51], v[58:59], v[48:49] op_sel:[0,0,1] op_sel_hi:[1,0,0]
	v_mov_b32_e32 v63, v49
	ds_load_2addr_b64 v[48:51], v52 offset0:11 offset1:12
	v_pk_add_f32 v[6:7], v[6:7], v[64:65] neg_lo:[0,1] neg_hi:[0,1]
	v_pk_add_f32 v[8:9], v[8:9], v[62:63] neg_lo:[0,1] neg_hi:[0,1]
	s_wait_dscnt 0x0
	v_pk_mul_f32 v[62:63], v[48:49], v[60:61] op_sel:[0,1]
	s_delay_alu instid0(VALU_DEP_1) | instskip(SKIP_2) | instid1(VALU_DEP_2)
	v_pk_fma_f32 v[64:65], v[48:49], v[58:59], v[62:63] op_sel:[0,0,1] op_sel_hi:[1,1,0] neg_lo:[0,0,1] neg_hi:[0,0,1]
	v_pk_fma_f32 v[48:49], v[48:49], v[58:59], v[62:63] op_sel:[0,0,1] op_sel_hi:[1,0,0]
	v_dual_mul_f32 v62, v51, v61 :: v_dual_mov_b32 v48, v51
	v_dual_mov_b32 v65, v49 :: v_dual_mov_b32 v49, v50
	s_delay_alu instid0(VALU_DEP_2) | instskip(SKIP_1) | instid1(VALU_DEP_3)
	v_pk_fma_f32 v[62:63], v[50:51], v[10:11], v[62:63] op_sel_hi:[1,1,0] neg_lo:[0,0,1] neg_hi:[0,0,1]
	v_mul_f32_e32 v50, v51, v58
	v_pk_add_f32 v[4:5], v[4:5], v[64:65] neg_lo:[0,1] neg_hi:[0,1]
	s_delay_alu instid0(VALU_DEP_2) | instskip(NEXT) | instid1(VALU_DEP_1)
	v_pk_fma_f32 v[48:49], v[48:49], v[10:11], v[50:51] op_sel_hi:[1,1,0]
	v_mov_b32_e32 v63, v49
	ds_load_2addr_b64 v[48:51], v52 offset0:13 offset1:14
	v_pk_add_f32 v[28:29], v[28:29], v[62:63] neg_lo:[0,1] neg_hi:[0,1]
	s_wait_dscnt 0x0
	v_pk_mul_f32 v[62:63], v[48:49], v[60:61] op_sel:[0,1]
	s_delay_alu instid0(VALU_DEP_1) | instskip(SKIP_1) | instid1(VALU_DEP_1)
	v_pk_fma_f32 v[64:65], v[48:49], v[58:59], v[62:63] op_sel:[0,0,1] op_sel_hi:[1,1,0] neg_lo:[0,0,1] neg_hi:[0,0,1]
	v_pk_fma_f32 v[48:49], v[48:49], v[58:59], v[62:63] op_sel:[0,0,1] op_sel_hi:[1,0,0]
	v_mov_b32_e32 v65, v49
	v_pk_mul_f32 v[48:49], v[50:51], v[60:61] op_sel:[0,1]
	s_delay_alu instid0(VALU_DEP_1) | instskip(SKIP_1) | instid1(VALU_DEP_1)
	v_pk_fma_f32 v[62:63], v[50:51], v[58:59], v[48:49] op_sel:[0,0,1] op_sel_hi:[1,1,0] neg_lo:[0,0,1] neg_hi:[0,0,1]
	v_pk_fma_f32 v[48:49], v[50:51], v[58:59], v[48:49] op_sel:[0,0,1] op_sel_hi:[1,0,0]
	v_mov_b32_e32 v63, v49
	ds_load_2addr_b64 v[48:51], v52 offset0:15 offset1:16
	v_pk_add_f32 v[24:25], v[24:25], v[64:65] neg_lo:[0,1] neg_hi:[0,1]
	v_pk_add_f32 v[26:27], v[26:27], v[62:63] neg_lo:[0,1] neg_hi:[0,1]
	s_wait_dscnt 0x0
	v_pk_mul_f32 v[62:63], v[48:49], v[60:61] op_sel:[0,1]
	s_delay_alu instid0(VALU_DEP_1) | instskip(SKIP_1) | instid1(VALU_DEP_1)
	v_pk_fma_f32 v[64:65], v[48:49], v[58:59], v[62:63] op_sel:[0,0,1] op_sel_hi:[1,1,0] neg_lo:[0,0,1] neg_hi:[0,0,1]
	v_pk_fma_f32 v[48:49], v[48:49], v[58:59], v[62:63] op_sel:[0,0,1] op_sel_hi:[1,0,0]
	v_mov_b32_e32 v65, v49
	v_pk_mul_f32 v[48:49], v[50:51], v[60:61] op_sel:[0,1]
	s_delay_alu instid0(VALU_DEP_1) | instskip(SKIP_1) | instid1(VALU_DEP_1)
	v_pk_fma_f32 v[62:63], v[50:51], v[58:59], v[48:49] op_sel:[0,0,1] op_sel_hi:[1,1,0] neg_lo:[0,0,1] neg_hi:[0,0,1]
	v_pk_fma_f32 v[48:49], v[50:51], v[58:59], v[48:49] op_sel:[0,0,1] op_sel_hi:[1,0,0]
	v_mov_b32_e32 v63, v49
	ds_load_2addr_b64 v[48:51], v52 offset0:17 offset1:18
	v_pk_add_f32 v[22:23], v[22:23], v[64:65] neg_lo:[0,1] neg_hi:[0,1]
	v_pk_add_f32 v[20:21], v[20:21], v[62:63] neg_lo:[0,1] neg_hi:[0,1]
	s_wait_dscnt 0x0
	v_dual_mul_f32 v62, v49, v61 :: v_dual_mul_f32 v64, v49, v58
	s_delay_alu instid0(VALU_DEP_1) | instskip(NEXT) | instid1(VALU_DEP_2)
	v_pk_fma_f32 v[62:63], v[48:49], v[10:11], v[62:63] op_sel_hi:[1,1,0] neg_lo:[0,0,1] neg_hi:[0,0,1]
	v_pk_fma_f32 v[48:49], v[48:49], v[10:11], v[64:65] op_sel:[1,0,0] op_sel_hi:[0,1,0]
	s_delay_alu instid0(VALU_DEP_1) | instskip(SKIP_1) | instid1(VALU_DEP_2)
	v_mov_b32_e32 v63, v49
	v_pk_mul_f32 v[48:49], v[50:51], v[60:61] op_sel:[0,1]
	v_pk_add_f32 v[34:35], v[34:35], v[62:63] neg_lo:[0,1] neg_hi:[0,1]
	s_delay_alu instid0(VALU_DEP_2) | instskip(SKIP_1) | instid1(VALU_DEP_1)
	v_pk_fma_f32 v[62:63], v[50:51], v[58:59], v[48:49] op_sel:[0,0,1] op_sel_hi:[1,1,0] neg_lo:[0,0,1] neg_hi:[0,0,1]
	v_pk_fma_f32 v[48:49], v[50:51], v[58:59], v[48:49] op_sel:[0,0,1] op_sel_hi:[1,0,0]
	v_mov_b32_e32 v63, v49
	ds_load_2addr_b64 v[48:51], v52 offset0:19 offset1:20
	v_pk_add_f32 v[32:33], v[32:33], v[62:63] neg_lo:[0,1] neg_hi:[0,1]
	s_wait_dscnt 0x0
	v_pk_mul_f32 v[62:63], v[48:49], v[60:61] op_sel:[0,1]
	v_mul_f32_e32 v60, v51, v61
	s_delay_alu instid0(VALU_DEP_2) | instskip(SKIP_2) | instid1(VALU_DEP_4)
	v_pk_fma_f32 v[64:65], v[48:49], v[58:59], v[62:63] op_sel:[0,0,1] op_sel_hi:[1,1,0] neg_lo:[0,0,1] neg_hi:[0,0,1]
	v_pk_fma_f32 v[48:49], v[48:49], v[58:59], v[62:63] op_sel:[0,0,1] op_sel_hi:[1,0,0]
	v_mov_b32_e32 v48, v51
	v_pk_fma_f32 v[60:61], v[50:51], v[10:11], v[60:61] op_sel_hi:[1,1,0] neg_lo:[0,0,1] neg_hi:[0,0,1]
	s_delay_alu instid0(VALU_DEP_3) | instskip(SKIP_1) | instid1(VALU_DEP_2)
	v_dual_mov_b32 v65, v49 :: v_dual_mov_b32 v49, v50
	v_mul_f32_e32 v50, v51, v58
	v_pk_add_f32 v[30:31], v[30:31], v[64:65] neg_lo:[0,1] neg_hi:[0,1]
	s_delay_alu instid0(VALU_DEP_2) | instskip(NEXT) | instid1(VALU_DEP_1)
	v_pk_fma_f32 v[48:49], v[48:49], v[10:11], v[50:51] op_sel_hi:[1,1,0]
	v_mov_b32_e32 v61, v49
	s_delay_alu instid0(VALU_DEP_1)
	v_pk_add_f32 v[46:47], v[46:47], v[60:61] neg_lo:[0,1] neg_hi:[0,1]
.LBB40_188:
	s_or_b32 exec_lo, exec_lo, s0
	v_lshl_add_u32 v48, v56, 3, v52
	s_barrier_signal -1
	s_barrier_wait -1
	ds_store_b64 v48, v[6:7]
	s_wait_dscnt 0x0
	s_barrier_signal -1
	s_barrier_wait -1
	ds_load_b64 v[48:49], v52 offset:72
	v_mov_b32_e32 v50, 9
	s_cmp_lt_i32 s14, 11
	s_cbranch_scc1 .LBB40_191
; %bb.189:
	v_add3_u32 v51, v53, 0, 0x50
	v_mov_b32_e32 v50, 9
	s_mov_b32 s0, 10
.LBB40_190:                             ; =>This Inner Loop Header: Depth=1
	ds_load_b64 v[58:59], v51
	s_wait_dscnt 0x1
	v_cmp_gt_f32_e32 vcc_lo, 0, v48
	v_cndmask_b32_e64 v60, v48, -v48, vcc_lo
	v_cmp_gt_f32_e32 vcc_lo, 0, v49
	v_cndmask_b32_e64 v62, v49, -v49, vcc_lo
	s_wait_dscnt 0x0
	v_cmp_gt_f32_e32 vcc_lo, 0, v58
	v_cndmask_b32_e64 v61, v58, -v58, vcc_lo
	v_cmp_gt_f32_e32 vcc_lo, 0, v59
	v_cndmask_b32_e64 v63, v59, -v59, vcc_lo
	s_delay_alu instid0(VALU_DEP_1) | instskip(NEXT) | instid1(VALU_DEP_1)
	v_pk_add_f32 v[60:61], v[60:61], v[62:63]
	v_cmp_lt_f32_e32 vcc_lo, v60, v61
	v_dual_cndmask_b32 v48, v48, v58 :: v_dual_add_nc_u32 v51, 8, v51
	v_cndmask_b32_e32 v49, v49, v59, vcc_lo
	v_cndmask_b32_e64 v50, v50, s0, vcc_lo
	s_add_co_i32 s0, s0, 1
	s_delay_alu instid0(SALU_CYCLE_1)
	s_cmp_lg_u32 s14, s0
	s_cbranch_scc1 .LBB40_190
.LBB40_191:
	s_wait_dscnt 0x0
	v_cmp_eq_f32_e32 vcc_lo, 0, v48
	v_cmp_eq_f32_e64 s0, 0, v49
	s_and_b32 s0, vcc_lo, s0
	s_delay_alu instid0(SALU_CYCLE_1) | instskip(NEXT) | instid1(SALU_CYCLE_1)
	s_and_saveexec_b32 s1, s0
	s_xor_b32 s0, exec_lo, s1
; %bb.192:
	v_cmp_ne_u32_e32 vcc_lo, 0, v54
	v_cndmask_b32_e32 v54, 10, v54, vcc_lo
; %bb.193:
	s_and_not1_saveexec_b32 s0, s0
	s_cbranch_execz .LBB40_199
; %bb.194:
	v_cmp_ngt_f32_e64 s1, |v48|, |v49|
	s_and_saveexec_b32 s15, s1
	s_delay_alu instid0(SALU_CYCLE_1)
	s_xor_b32 s1, exec_lo, s15
	s_cbranch_execz .LBB40_196
; %bb.195:
	v_div_scale_f32 v51, null, v49, v49, v48
	v_div_scale_f32 v59, vcc_lo, v48, v49, v48
	s_delay_alu instid0(VALU_DEP_2) | instskip(SKIP_1) | instid1(TRANS32_DEP_1)
	v_rcp_f32_e32 v57, v51
	v_nop
	v_fma_f32 v58, -v51, v57, 1.0
	s_delay_alu instid0(VALU_DEP_1) | instskip(NEXT) | instid1(VALU_DEP_1)
	v_fmac_f32_e32 v57, v58, v57
	v_mul_f32_e32 v58, v59, v57
	s_delay_alu instid0(VALU_DEP_1) | instskip(NEXT) | instid1(VALU_DEP_1)
	v_fma_f32 v60, -v51, v58, v59
	v_fmac_f32_e32 v58, v60, v57
	s_delay_alu instid0(VALU_DEP_1) | instskip(NEXT) | instid1(VALU_DEP_1)
	v_fma_f32 v51, -v51, v58, v59
	v_div_fmas_f32 v51, v51, v57, v58
	s_delay_alu instid0(VALU_DEP_1) | instskip(NEXT) | instid1(VALU_DEP_1)
	v_div_fixup_f32 v51, v51, v49, v48
	v_fmac_f32_e32 v49, v48, v51
	s_delay_alu instid0(VALU_DEP_1) | instskip(SKIP_1) | instid1(VALU_DEP_2)
	v_div_scale_f32 v48, null, v49, v49, 1.0
	v_div_scale_f32 v59, vcc_lo, 1.0, v49, 1.0
	v_rcp_f32_e32 v57, v48
	v_nop
	s_delay_alu instid0(TRANS32_DEP_1) | instskip(NEXT) | instid1(VALU_DEP_1)
	v_fma_f32 v58, -v48, v57, 1.0
	v_fmac_f32_e32 v57, v58, v57
	s_delay_alu instid0(VALU_DEP_1) | instskip(NEXT) | instid1(VALU_DEP_1)
	v_mul_f32_e32 v58, v59, v57
	v_fma_f32 v60, -v48, v58, v59
	s_delay_alu instid0(VALU_DEP_1) | instskip(NEXT) | instid1(VALU_DEP_1)
	v_fmac_f32_e32 v58, v60, v57
	v_fma_f32 v48, -v48, v58, v59
	s_delay_alu instid0(VALU_DEP_1) | instskip(NEXT) | instid1(VALU_DEP_1)
	v_div_fmas_f32 v48, v48, v57, v58
	v_div_fixup_f32 v49, v48, v49, 1.0
	s_delay_alu instid0(VALU_DEP_1)
	v_mul_f32_e32 v48, v51, v49
	v_xor_b32_e32 v49, 0x80000000, v49
.LBB40_196:
	s_and_not1_saveexec_b32 s1, s1
	s_cbranch_execz .LBB40_198
; %bb.197:
	s_delay_alu instid0(VALU_DEP_1) | instskip(SKIP_1) | instid1(VALU_DEP_2)
	v_div_scale_f32 v51, null, v48, v48, v49
	v_div_scale_f32 v59, vcc_lo, v49, v48, v49
	v_rcp_f32_e32 v57, v51
	v_nop
	s_delay_alu instid0(TRANS32_DEP_1) | instskip(NEXT) | instid1(VALU_DEP_1)
	v_fma_f32 v58, -v51, v57, 1.0
	v_fmac_f32_e32 v57, v58, v57
	s_delay_alu instid0(VALU_DEP_1) | instskip(NEXT) | instid1(VALU_DEP_1)
	v_mul_f32_e32 v58, v59, v57
	v_fma_f32 v60, -v51, v58, v59
	s_delay_alu instid0(VALU_DEP_1) | instskip(NEXT) | instid1(VALU_DEP_1)
	v_fmac_f32_e32 v58, v60, v57
	v_fma_f32 v51, -v51, v58, v59
	s_delay_alu instid0(VALU_DEP_1) | instskip(NEXT) | instid1(VALU_DEP_1)
	v_div_fmas_f32 v51, v51, v57, v58
	v_div_fixup_f32 v51, v51, v48, v49
	s_delay_alu instid0(VALU_DEP_1) | instskip(NEXT) | instid1(VALU_DEP_1)
	v_fmac_f32_e32 v48, v49, v51
	v_div_scale_f32 v49, null, v48, v48, 1.0
	s_delay_alu instid0(VALU_DEP_1) | instskip(SKIP_1) | instid1(TRANS32_DEP_1)
	v_rcp_f32_e32 v57, v49
	v_nop
	v_fma_f32 v58, -v49, v57, 1.0
	s_delay_alu instid0(VALU_DEP_1) | instskip(SKIP_1) | instid1(VALU_DEP_1)
	v_fmac_f32_e32 v57, v58, v57
	v_div_scale_f32 v58, vcc_lo, 1.0, v48, 1.0
	v_mul_f32_e32 v59, v58, v57
	s_delay_alu instid0(VALU_DEP_1) | instskip(NEXT) | instid1(VALU_DEP_1)
	v_fma_f32 v60, -v49, v59, v58
	v_fmac_f32_e32 v59, v60, v57
	s_delay_alu instid0(VALU_DEP_1) | instskip(NEXT) | instid1(VALU_DEP_1)
	v_fma_f32 v49, -v49, v59, v58
	v_div_fmas_f32 v49, v49, v57, v59
	s_delay_alu instid0(VALU_DEP_1) | instskip(NEXT) | instid1(VALU_DEP_1)
	v_div_fixup_f32 v48, v49, v48, 1.0
	v_mul_f32_e64 v49, v51, -v48
.LBB40_198:
	s_or_b32 exec_lo, exec_lo, s1
.LBB40_199:
	s_delay_alu instid0(SALU_CYCLE_1) | instskip(NEXT) | instid1(SALU_CYCLE_1)
	s_or_b32 exec_lo, exec_lo, s0
	s_mov_b32 s0, exec_lo
	v_cmpx_ne_u32_e64 v56, v50
	s_xor_b32 s0, exec_lo, s0
	s_cbranch_execz .LBB40_205
; %bb.200:
	s_mov_b32 s1, exec_lo
	v_cmpx_eq_u32_e32 9, v56
	s_cbranch_execz .LBB40_204
; %bb.201:
	v_cmp_ne_u32_e32 vcc_lo, 9, v50
	s_xor_b32 s15, s12, -1
	s_delay_alu instid0(SALU_CYCLE_1) | instskip(NEXT) | instid1(SALU_CYCLE_1)
	s_and_b32 s16, s15, vcc_lo
	s_and_saveexec_b32 s15, s16
	s_cbranch_execz .LBB40_203
; %bb.202:
	v_ashrrev_i32_e32 v51, 31, v50
	s_delay_alu instid0(VALU_DEP_1)
	v_lshl_add_u64 v[56:57], v[50:51], 2, v[36:37]
	s_clause 0x1
	global_load_b32 v51, v[56:57], off
	global_load_b32 v55, v[36:37], off offset:36
	s_wait_loadcnt 0x1
	global_store_b32 v[36:37], v51, off offset:36
	s_wait_loadcnt 0x0
	global_store_b32 v[56:57], v55, off
.LBB40_203:
	s_wait_xcnt 0x0
	s_or_b32 exec_lo, exec_lo, s15
	v_dual_mov_b32 v56, v50 :: v_dual_mov_b32 v55, v50
.LBB40_204:
	s_or_b32 exec_lo, exec_lo, s1
.LBB40_205:
	s_and_not1_saveexec_b32 s0, s0
	s_cbranch_execz .LBB40_207
; %bb.206:
	v_dual_mov_b32 v50, v8 :: v_dual_mov_b32 v51, v9
	v_dual_mov_b32 v56, v4 :: v_dual_mov_b32 v57, v5
	v_dual_mov_b32 v58, v28 :: v_dual_mov_b32 v59, v29
	v_dual_mov_b32 v60, v24 :: v_dual_mov_b32 v61, v25
	v_dual_mov_b32 v62, v26 :: v_dual_mov_b32 v63, v27
	v_dual_mov_b32 v64, v22 :: v_dual_mov_b32 v65, v23
	ds_store_2addr_b64 v52, v[50:51], v[56:57] offset0:10 offset1:11
	ds_store_2addr_b64 v52, v[58:59], v[60:61] offset0:12 offset1:13
	v_dual_mov_b32 v56, 9 :: v_dual_mov_b32 v66, v20
	v_dual_mov_b32 v67, v21 :: v_dual_mov_b32 v68, v34
	;; [unrolled: 1-line block ×4, first 2 shown]
	v_mov_b32_e32 v73, v31
	ds_store_2addr_b64 v52, v[62:63], v[64:65] offset0:14 offset1:15
	ds_store_2addr_b64 v52, v[66:67], v[68:69] offset0:16 offset1:17
	;; [unrolled: 1-line block ×3, first 2 shown]
	ds_store_b64 v52, v[46:47] offset:160
.LBB40_207:
	s_or_b32 exec_lo, exec_lo, s0
	s_delay_alu instid0(SALU_CYCLE_1)
	s_mov_b32 s0, exec_lo
	s_wait_storecnt_dscnt 0x0
	s_barrier_signal -1
	s_barrier_wait -1
	v_cmpx_lt_i32_e32 9, v56
	s_cbranch_execz .LBB40_209
; %bb.208:
	v_pk_mul_f32 v[50:51], v[48:49], v[6:7] op_sel:[1,1] op_sel_hi:[0,1]
	s_delay_alu instid0(VALU_DEP_1)
	v_pk_fma_f32 v[58:59], v[48:49], v[6:7], v[50:51] op_sel_hi:[1,0,1] neg_lo:[0,0,1] neg_hi:[0,0,1]
	v_pk_fma_f32 v[60:61], v[48:49], v[6:7], v[50:51] op_sel_hi:[1,0,1]
	ds_load_2addr_b64 v[48:51], v52 offset0:10 offset1:11
	v_dual_mov_b32 v6, v58 :: v_dual_mov_b32 v7, v61
	s_wait_dscnt 0x0
	v_pk_mul_f32 v[62:63], v[48:49], v[60:61] op_sel:[0,1]
	s_delay_alu instid0(VALU_DEP_1) | instskip(SKIP_1) | instid1(VALU_DEP_1)
	v_pk_fma_f32 v[64:65], v[48:49], v[58:59], v[62:63] op_sel:[0,0,1] op_sel_hi:[1,1,0] neg_lo:[0,0,1] neg_hi:[0,0,1]
	v_pk_fma_f32 v[48:49], v[48:49], v[58:59], v[62:63] op_sel:[0,0,1] op_sel_hi:[1,0,0]
	v_mov_b32_e32 v65, v49
	v_pk_mul_f32 v[48:49], v[50:51], v[60:61] op_sel:[0,1]
	s_delay_alu instid0(VALU_DEP_1) | instskip(SKIP_1) | instid1(VALU_DEP_1)
	v_pk_fma_f32 v[62:63], v[50:51], v[58:59], v[48:49] op_sel:[0,0,1] op_sel_hi:[1,1,0] neg_lo:[0,0,1] neg_hi:[0,0,1]
	v_pk_fma_f32 v[48:49], v[50:51], v[58:59], v[48:49] op_sel:[0,0,1] op_sel_hi:[1,0,0]
	v_mov_b32_e32 v63, v49
	ds_load_2addr_b64 v[48:51], v52 offset0:12 offset1:13
	v_pk_add_f32 v[8:9], v[8:9], v[64:65] neg_lo:[0,1] neg_hi:[0,1]
	v_pk_add_f32 v[4:5], v[4:5], v[62:63] neg_lo:[0,1] neg_hi:[0,1]
	s_wait_dscnt 0x0
	v_pk_mul_f32 v[62:63], v[48:49], v[60:61] op_sel:[0,1]
	s_delay_alu instid0(VALU_DEP_1) | instskip(SKIP_2) | instid1(VALU_DEP_2)
	v_pk_fma_f32 v[64:65], v[48:49], v[58:59], v[62:63] op_sel:[0,0,1] op_sel_hi:[1,1,0] neg_lo:[0,0,1] neg_hi:[0,0,1]
	v_pk_fma_f32 v[48:49], v[48:49], v[58:59], v[62:63] op_sel:[0,0,1] op_sel_hi:[1,0,0]
	v_dual_mul_f32 v62, v51, v61 :: v_dual_mov_b32 v48, v51
	v_dual_mov_b32 v65, v49 :: v_dual_mov_b32 v49, v50
	s_delay_alu instid0(VALU_DEP_2) | instskip(SKIP_1) | instid1(VALU_DEP_3)
	v_pk_fma_f32 v[62:63], v[50:51], v[6:7], v[62:63] op_sel_hi:[1,1,0] neg_lo:[0,0,1] neg_hi:[0,0,1]
	v_mul_f32_e32 v50, v51, v58
	v_pk_add_f32 v[28:29], v[28:29], v[64:65] neg_lo:[0,1] neg_hi:[0,1]
	s_delay_alu instid0(VALU_DEP_2) | instskip(NEXT) | instid1(VALU_DEP_1)
	v_pk_fma_f32 v[48:49], v[48:49], v[6:7], v[50:51] op_sel_hi:[1,1,0]
	v_mov_b32_e32 v63, v49
	ds_load_2addr_b64 v[48:51], v52 offset0:14 offset1:15
	v_pk_add_f32 v[24:25], v[24:25], v[62:63] neg_lo:[0,1] neg_hi:[0,1]
	s_wait_dscnt 0x0
	v_pk_mul_f32 v[62:63], v[48:49], v[60:61] op_sel:[0,1]
	s_delay_alu instid0(VALU_DEP_1) | instskip(SKIP_1) | instid1(VALU_DEP_1)
	v_pk_fma_f32 v[64:65], v[48:49], v[58:59], v[62:63] op_sel:[0,0,1] op_sel_hi:[1,1,0] neg_lo:[0,0,1] neg_hi:[0,0,1]
	v_pk_fma_f32 v[48:49], v[48:49], v[58:59], v[62:63] op_sel:[0,0,1] op_sel_hi:[1,0,0]
	v_mov_b32_e32 v65, v49
	v_pk_mul_f32 v[48:49], v[50:51], v[60:61] op_sel:[0,1]
	s_delay_alu instid0(VALU_DEP_1) | instskip(SKIP_1) | instid1(VALU_DEP_1)
	v_pk_fma_f32 v[62:63], v[50:51], v[58:59], v[48:49] op_sel:[0,0,1] op_sel_hi:[1,1,0] neg_lo:[0,0,1] neg_hi:[0,0,1]
	v_pk_fma_f32 v[48:49], v[50:51], v[58:59], v[48:49] op_sel:[0,0,1] op_sel_hi:[1,0,0]
	v_mov_b32_e32 v63, v49
	ds_load_2addr_b64 v[48:51], v52 offset0:16 offset1:17
	v_pk_add_f32 v[26:27], v[26:27], v[64:65] neg_lo:[0,1] neg_hi:[0,1]
	v_pk_add_f32 v[22:23], v[22:23], v[62:63] neg_lo:[0,1] neg_hi:[0,1]
	s_wait_dscnt 0x0
	v_pk_mul_f32 v[62:63], v[48:49], v[60:61] op_sel:[0,1]
	s_delay_alu instid0(VALU_DEP_1) | instskip(SKIP_1) | instid1(VALU_DEP_1)
	v_pk_fma_f32 v[64:65], v[48:49], v[58:59], v[62:63] op_sel:[0,0,1] op_sel_hi:[1,1,0] neg_lo:[0,0,1] neg_hi:[0,0,1]
	v_pk_fma_f32 v[48:49], v[48:49], v[58:59], v[62:63] op_sel:[0,0,1] op_sel_hi:[1,0,0]
	v_mov_b32_e32 v65, v49
	v_pk_mul_f32 v[48:49], v[50:51], v[60:61] op_sel:[0,1]
	s_delay_alu instid0(VALU_DEP_1) | instskip(SKIP_1) | instid1(VALU_DEP_1)
	v_pk_fma_f32 v[62:63], v[50:51], v[58:59], v[48:49] op_sel:[0,0,1] op_sel_hi:[1,1,0] neg_lo:[0,0,1] neg_hi:[0,0,1]
	v_pk_fma_f32 v[48:49], v[50:51], v[58:59], v[48:49] op_sel:[0,0,1] op_sel_hi:[1,0,0]
	v_mov_b32_e32 v63, v49
	ds_load_2addr_b64 v[48:51], v52 offset0:18 offset1:19
	v_pk_add_f32 v[20:21], v[20:21], v[64:65] neg_lo:[0,1] neg_hi:[0,1]
	v_pk_add_f32 v[34:35], v[34:35], v[62:63] neg_lo:[0,1] neg_hi:[0,1]
	s_wait_dscnt 0x0
	v_dual_mul_f32 v62, v49, v61 :: v_dual_mul_f32 v64, v49, v58
	s_delay_alu instid0(VALU_DEP_1) | instskip(NEXT) | instid1(VALU_DEP_2)
	v_pk_fma_f32 v[62:63], v[48:49], v[6:7], v[62:63] op_sel_hi:[1,1,0] neg_lo:[0,0,1] neg_hi:[0,0,1]
	v_pk_fma_f32 v[48:49], v[48:49], v[6:7], v[64:65] op_sel:[1,0,0] op_sel_hi:[0,1,0]
	s_delay_alu instid0(VALU_DEP_1) | instskip(SKIP_1) | instid1(VALU_DEP_2)
	v_mov_b32_e32 v63, v49
	v_pk_mul_f32 v[48:49], v[50:51], v[60:61] op_sel:[0,1]
	v_pk_add_f32 v[32:33], v[32:33], v[62:63] neg_lo:[0,1] neg_hi:[0,1]
	s_delay_alu instid0(VALU_DEP_2) | instskip(SKIP_1) | instid1(VALU_DEP_1)
	v_pk_fma_f32 v[62:63], v[50:51], v[58:59], v[48:49] op_sel:[0,0,1] op_sel_hi:[1,1,0] neg_lo:[0,0,1] neg_hi:[0,0,1]
	v_pk_fma_f32 v[48:49], v[50:51], v[58:59], v[48:49] op_sel:[0,0,1] op_sel_hi:[1,0,0]
	v_mov_b32_e32 v63, v49
	ds_load_b64 v[48:49], v52 offset:160
	v_pk_add_f32 v[30:31], v[30:31], v[62:63] neg_lo:[0,1] neg_hi:[0,1]
	s_wait_dscnt 0x0
	v_pk_mul_f32 v[50:51], v[48:49], v[60:61] op_sel:[0,1]
	s_delay_alu instid0(VALU_DEP_1) | instskip(SKIP_1) | instid1(VALU_DEP_1)
	v_pk_fma_f32 v[60:61], v[48:49], v[58:59], v[50:51] op_sel:[0,0,1] op_sel_hi:[1,1,0] neg_lo:[0,0,1] neg_hi:[0,0,1]
	v_pk_fma_f32 v[48:49], v[48:49], v[58:59], v[50:51] op_sel:[0,0,1] op_sel_hi:[1,0,0]
	v_mov_b32_e32 v61, v49
	s_delay_alu instid0(VALU_DEP_1)
	v_pk_add_f32 v[46:47], v[46:47], v[60:61] neg_lo:[0,1] neg_hi:[0,1]
.LBB40_209:
	s_or_b32 exec_lo, exec_lo, s0
	v_lshl_add_u32 v48, v56, 3, v52
	s_barrier_signal -1
	s_barrier_wait -1
	ds_store_b64 v48, v[8:9]
	s_wait_dscnt 0x0
	s_barrier_signal -1
	s_barrier_wait -1
	ds_load_b64 v[48:49], v52 offset:80
	v_mov_b32_e32 v50, 10
	s_cmp_lt_i32 s14, 12
	s_cbranch_scc1 .LBB40_212
; %bb.210:
	v_add3_u32 v51, v53, 0, 0x58
	v_mov_b32_e32 v50, 10
	s_mov_b32 s0, 11
.LBB40_211:                             ; =>This Inner Loop Header: Depth=1
	ds_load_b64 v[58:59], v51
	s_wait_dscnt 0x1
	v_cmp_gt_f32_e32 vcc_lo, 0, v48
	v_cndmask_b32_e64 v60, v48, -v48, vcc_lo
	v_cmp_gt_f32_e32 vcc_lo, 0, v49
	v_cndmask_b32_e64 v62, v49, -v49, vcc_lo
	s_wait_dscnt 0x0
	v_cmp_gt_f32_e32 vcc_lo, 0, v58
	v_cndmask_b32_e64 v61, v58, -v58, vcc_lo
	v_cmp_gt_f32_e32 vcc_lo, 0, v59
	v_cndmask_b32_e64 v63, v59, -v59, vcc_lo
	s_delay_alu instid0(VALU_DEP_1) | instskip(NEXT) | instid1(VALU_DEP_1)
	v_pk_add_f32 v[60:61], v[60:61], v[62:63]
	v_cmp_lt_f32_e32 vcc_lo, v60, v61
	v_dual_cndmask_b32 v48, v48, v58 :: v_dual_add_nc_u32 v51, 8, v51
	v_cndmask_b32_e32 v49, v49, v59, vcc_lo
	v_cndmask_b32_e64 v50, v50, s0, vcc_lo
	s_add_co_i32 s0, s0, 1
	s_delay_alu instid0(SALU_CYCLE_1)
	s_cmp_lg_u32 s14, s0
	s_cbranch_scc1 .LBB40_211
.LBB40_212:
	s_wait_dscnt 0x0
	v_cmp_eq_f32_e32 vcc_lo, 0, v48
	v_cmp_eq_f32_e64 s0, 0, v49
	s_and_b32 s0, vcc_lo, s0
	s_delay_alu instid0(SALU_CYCLE_1) | instskip(NEXT) | instid1(SALU_CYCLE_1)
	s_and_saveexec_b32 s1, s0
	s_xor_b32 s0, exec_lo, s1
; %bb.213:
	v_cmp_ne_u32_e32 vcc_lo, 0, v54
	v_cndmask_b32_e32 v54, 11, v54, vcc_lo
; %bb.214:
	s_and_not1_saveexec_b32 s0, s0
	s_cbranch_execz .LBB40_220
; %bb.215:
	v_cmp_ngt_f32_e64 s1, |v48|, |v49|
	s_and_saveexec_b32 s15, s1
	s_delay_alu instid0(SALU_CYCLE_1)
	s_xor_b32 s1, exec_lo, s15
	s_cbranch_execz .LBB40_217
; %bb.216:
	v_div_scale_f32 v51, null, v49, v49, v48
	v_div_scale_f32 v59, vcc_lo, v48, v49, v48
	s_delay_alu instid0(VALU_DEP_2) | instskip(SKIP_1) | instid1(TRANS32_DEP_1)
	v_rcp_f32_e32 v57, v51
	v_nop
	v_fma_f32 v58, -v51, v57, 1.0
	s_delay_alu instid0(VALU_DEP_1) | instskip(NEXT) | instid1(VALU_DEP_1)
	v_fmac_f32_e32 v57, v58, v57
	v_mul_f32_e32 v58, v59, v57
	s_delay_alu instid0(VALU_DEP_1) | instskip(NEXT) | instid1(VALU_DEP_1)
	v_fma_f32 v60, -v51, v58, v59
	v_fmac_f32_e32 v58, v60, v57
	s_delay_alu instid0(VALU_DEP_1) | instskip(NEXT) | instid1(VALU_DEP_1)
	v_fma_f32 v51, -v51, v58, v59
	v_div_fmas_f32 v51, v51, v57, v58
	s_delay_alu instid0(VALU_DEP_1) | instskip(NEXT) | instid1(VALU_DEP_1)
	v_div_fixup_f32 v51, v51, v49, v48
	v_fmac_f32_e32 v49, v48, v51
	s_delay_alu instid0(VALU_DEP_1) | instskip(SKIP_1) | instid1(VALU_DEP_2)
	v_div_scale_f32 v48, null, v49, v49, 1.0
	v_div_scale_f32 v59, vcc_lo, 1.0, v49, 1.0
	v_rcp_f32_e32 v57, v48
	v_nop
	s_delay_alu instid0(TRANS32_DEP_1) | instskip(NEXT) | instid1(VALU_DEP_1)
	v_fma_f32 v58, -v48, v57, 1.0
	v_fmac_f32_e32 v57, v58, v57
	s_delay_alu instid0(VALU_DEP_1) | instskip(NEXT) | instid1(VALU_DEP_1)
	v_mul_f32_e32 v58, v59, v57
	v_fma_f32 v60, -v48, v58, v59
	s_delay_alu instid0(VALU_DEP_1) | instskip(NEXT) | instid1(VALU_DEP_1)
	v_fmac_f32_e32 v58, v60, v57
	v_fma_f32 v48, -v48, v58, v59
	s_delay_alu instid0(VALU_DEP_1) | instskip(NEXT) | instid1(VALU_DEP_1)
	v_div_fmas_f32 v48, v48, v57, v58
	v_div_fixup_f32 v49, v48, v49, 1.0
	s_delay_alu instid0(VALU_DEP_1)
	v_mul_f32_e32 v48, v51, v49
	v_xor_b32_e32 v49, 0x80000000, v49
.LBB40_217:
	s_and_not1_saveexec_b32 s1, s1
	s_cbranch_execz .LBB40_219
; %bb.218:
	s_delay_alu instid0(VALU_DEP_1) | instskip(SKIP_1) | instid1(VALU_DEP_2)
	v_div_scale_f32 v51, null, v48, v48, v49
	v_div_scale_f32 v59, vcc_lo, v49, v48, v49
	v_rcp_f32_e32 v57, v51
	v_nop
	s_delay_alu instid0(TRANS32_DEP_1) | instskip(NEXT) | instid1(VALU_DEP_1)
	v_fma_f32 v58, -v51, v57, 1.0
	v_fmac_f32_e32 v57, v58, v57
	s_delay_alu instid0(VALU_DEP_1) | instskip(NEXT) | instid1(VALU_DEP_1)
	v_mul_f32_e32 v58, v59, v57
	v_fma_f32 v60, -v51, v58, v59
	s_delay_alu instid0(VALU_DEP_1) | instskip(NEXT) | instid1(VALU_DEP_1)
	v_fmac_f32_e32 v58, v60, v57
	v_fma_f32 v51, -v51, v58, v59
	s_delay_alu instid0(VALU_DEP_1) | instskip(NEXT) | instid1(VALU_DEP_1)
	v_div_fmas_f32 v51, v51, v57, v58
	v_div_fixup_f32 v51, v51, v48, v49
	s_delay_alu instid0(VALU_DEP_1) | instskip(NEXT) | instid1(VALU_DEP_1)
	v_fmac_f32_e32 v48, v49, v51
	v_div_scale_f32 v49, null, v48, v48, 1.0
	s_delay_alu instid0(VALU_DEP_1) | instskip(SKIP_1) | instid1(TRANS32_DEP_1)
	v_rcp_f32_e32 v57, v49
	v_nop
	v_fma_f32 v58, -v49, v57, 1.0
	s_delay_alu instid0(VALU_DEP_1) | instskip(SKIP_1) | instid1(VALU_DEP_1)
	v_fmac_f32_e32 v57, v58, v57
	v_div_scale_f32 v58, vcc_lo, 1.0, v48, 1.0
	v_mul_f32_e32 v59, v58, v57
	s_delay_alu instid0(VALU_DEP_1) | instskip(NEXT) | instid1(VALU_DEP_1)
	v_fma_f32 v60, -v49, v59, v58
	v_fmac_f32_e32 v59, v60, v57
	s_delay_alu instid0(VALU_DEP_1) | instskip(NEXT) | instid1(VALU_DEP_1)
	v_fma_f32 v49, -v49, v59, v58
	v_div_fmas_f32 v49, v49, v57, v59
	s_delay_alu instid0(VALU_DEP_1) | instskip(NEXT) | instid1(VALU_DEP_1)
	v_div_fixup_f32 v48, v49, v48, 1.0
	v_mul_f32_e64 v49, v51, -v48
.LBB40_219:
	s_or_b32 exec_lo, exec_lo, s1
.LBB40_220:
	s_delay_alu instid0(SALU_CYCLE_1) | instskip(NEXT) | instid1(SALU_CYCLE_1)
	s_or_b32 exec_lo, exec_lo, s0
	s_mov_b32 s0, exec_lo
	v_cmpx_ne_u32_e64 v56, v50
	s_xor_b32 s0, exec_lo, s0
	s_cbranch_execz .LBB40_226
; %bb.221:
	s_mov_b32 s1, exec_lo
	v_cmpx_eq_u32_e32 10, v56
	s_cbranch_execz .LBB40_225
; %bb.222:
	v_cmp_ne_u32_e32 vcc_lo, 10, v50
	s_xor_b32 s15, s12, -1
	s_delay_alu instid0(SALU_CYCLE_1) | instskip(NEXT) | instid1(SALU_CYCLE_1)
	s_and_b32 s16, s15, vcc_lo
	s_and_saveexec_b32 s15, s16
	s_cbranch_execz .LBB40_224
; %bb.223:
	v_ashrrev_i32_e32 v51, 31, v50
	s_delay_alu instid0(VALU_DEP_1)
	v_lshl_add_u64 v[56:57], v[50:51], 2, v[36:37]
	s_clause 0x1
	global_load_b32 v51, v[56:57], off
	global_load_b32 v55, v[36:37], off offset:40
	s_wait_loadcnt 0x1
	global_store_b32 v[36:37], v51, off offset:40
	s_wait_loadcnt 0x0
	global_store_b32 v[56:57], v55, off
.LBB40_224:
	s_wait_xcnt 0x0
	s_or_b32 exec_lo, exec_lo, s15
	v_dual_mov_b32 v56, v50 :: v_dual_mov_b32 v55, v50
.LBB40_225:
	s_or_b32 exec_lo, exec_lo, s1
.LBB40_226:
	s_and_not1_saveexec_b32 s0, s0
	s_cbranch_execz .LBB40_228
; %bb.227:
	v_mov_b32_e32 v56, 10
	ds_store_2addr_b64 v52, v[4:5], v[28:29] offset0:11 offset1:12
	ds_store_2addr_b64 v52, v[24:25], v[26:27] offset0:13 offset1:14
	;; [unrolled: 1-line block ×5, first 2 shown]
.LBB40_228:
	s_or_b32 exec_lo, exec_lo, s0
	s_delay_alu instid0(SALU_CYCLE_1)
	s_mov_b32 s0, exec_lo
	s_wait_storecnt_dscnt 0x0
	s_barrier_signal -1
	s_barrier_wait -1
	v_cmpx_lt_i32_e32 10, v56
	s_cbranch_execz .LBB40_230
; %bb.229:
	v_pk_mul_f32 v[50:51], v[48:49], v[8:9] op_sel:[1,1] op_sel_hi:[0,1]
	s_delay_alu instid0(VALU_DEP_1)
	v_pk_fma_f32 v[58:59], v[48:49], v[8:9], v[50:51] op_sel_hi:[1,0,1] neg_lo:[0,0,1] neg_hi:[0,0,1]
	v_pk_fma_f32 v[60:61], v[48:49], v[8:9], v[50:51] op_sel_hi:[1,0,1]
	ds_load_2addr_b64 v[48:51], v52 offset0:11 offset1:12
	v_dual_mov_b32 v8, v58 :: v_dual_mov_b32 v9, v61
	s_wait_dscnt 0x0
	v_pk_mul_f32 v[62:63], v[48:49], v[60:61] op_sel:[0,1]
	s_delay_alu instid0(VALU_DEP_1) | instskip(SKIP_1) | instid1(VALU_DEP_1)
	v_pk_fma_f32 v[64:65], v[48:49], v[58:59], v[62:63] op_sel:[0,0,1] op_sel_hi:[1,1,0] neg_lo:[0,0,1] neg_hi:[0,0,1]
	v_pk_fma_f32 v[48:49], v[48:49], v[58:59], v[62:63] op_sel:[0,0,1] op_sel_hi:[1,0,0]
	v_mov_b32_e32 v65, v49
	v_pk_mul_f32 v[48:49], v[50:51], v[60:61] op_sel:[0,1]
	s_delay_alu instid0(VALU_DEP_1) | instskip(SKIP_1) | instid1(VALU_DEP_1)
	v_pk_fma_f32 v[62:63], v[50:51], v[58:59], v[48:49] op_sel:[0,0,1] op_sel_hi:[1,1,0] neg_lo:[0,0,1] neg_hi:[0,0,1]
	v_pk_fma_f32 v[48:49], v[50:51], v[58:59], v[48:49] op_sel:[0,0,1] op_sel_hi:[1,0,0]
	v_mov_b32_e32 v63, v49
	ds_load_2addr_b64 v[48:51], v52 offset0:13 offset1:14
	v_pk_add_f32 v[4:5], v[4:5], v[64:65] neg_lo:[0,1] neg_hi:[0,1]
	v_pk_add_f32 v[28:29], v[28:29], v[62:63] neg_lo:[0,1] neg_hi:[0,1]
	s_wait_dscnt 0x0
	v_pk_mul_f32 v[62:63], v[48:49], v[60:61] op_sel:[0,1]
	s_delay_alu instid0(VALU_DEP_1) | instskip(SKIP_2) | instid1(VALU_DEP_2)
	v_pk_fma_f32 v[64:65], v[48:49], v[58:59], v[62:63] op_sel:[0,0,1] op_sel_hi:[1,1,0] neg_lo:[0,0,1] neg_hi:[0,0,1]
	v_pk_fma_f32 v[48:49], v[48:49], v[58:59], v[62:63] op_sel:[0,0,1] op_sel_hi:[1,0,0]
	v_dual_mul_f32 v62, v51, v61 :: v_dual_mov_b32 v48, v51
	v_dual_mov_b32 v65, v49 :: v_dual_mov_b32 v49, v50
	s_delay_alu instid0(VALU_DEP_2) | instskip(SKIP_1) | instid1(VALU_DEP_3)
	v_pk_fma_f32 v[62:63], v[50:51], v[8:9], v[62:63] op_sel_hi:[1,1,0] neg_lo:[0,0,1] neg_hi:[0,0,1]
	v_mul_f32_e32 v50, v51, v58
	v_pk_add_f32 v[24:25], v[24:25], v[64:65] neg_lo:[0,1] neg_hi:[0,1]
	s_delay_alu instid0(VALU_DEP_2) | instskip(NEXT) | instid1(VALU_DEP_1)
	v_pk_fma_f32 v[48:49], v[48:49], v[8:9], v[50:51] op_sel_hi:[1,1,0]
	v_mov_b32_e32 v63, v49
	ds_load_2addr_b64 v[48:51], v52 offset0:15 offset1:16
	v_pk_add_f32 v[26:27], v[26:27], v[62:63] neg_lo:[0,1] neg_hi:[0,1]
	s_wait_dscnt 0x0
	v_pk_mul_f32 v[62:63], v[48:49], v[60:61] op_sel:[0,1]
	s_delay_alu instid0(VALU_DEP_1) | instskip(SKIP_1) | instid1(VALU_DEP_1)
	v_pk_fma_f32 v[64:65], v[48:49], v[58:59], v[62:63] op_sel:[0,0,1] op_sel_hi:[1,1,0] neg_lo:[0,0,1] neg_hi:[0,0,1]
	v_pk_fma_f32 v[48:49], v[48:49], v[58:59], v[62:63] op_sel:[0,0,1] op_sel_hi:[1,0,0]
	v_mov_b32_e32 v65, v49
	v_pk_mul_f32 v[48:49], v[50:51], v[60:61] op_sel:[0,1]
	s_delay_alu instid0(VALU_DEP_1) | instskip(SKIP_1) | instid1(VALU_DEP_1)
	v_pk_fma_f32 v[62:63], v[50:51], v[58:59], v[48:49] op_sel:[0,0,1] op_sel_hi:[1,1,0] neg_lo:[0,0,1] neg_hi:[0,0,1]
	v_pk_fma_f32 v[48:49], v[50:51], v[58:59], v[48:49] op_sel:[0,0,1] op_sel_hi:[1,0,0]
	v_mov_b32_e32 v63, v49
	ds_load_2addr_b64 v[48:51], v52 offset0:17 offset1:18
	v_pk_add_f32 v[22:23], v[22:23], v[64:65] neg_lo:[0,1] neg_hi:[0,1]
	v_pk_add_f32 v[20:21], v[20:21], v[62:63] neg_lo:[0,1] neg_hi:[0,1]
	s_wait_dscnt 0x0
	v_pk_mul_f32 v[62:63], v[48:49], v[60:61] op_sel:[0,1]
	s_delay_alu instid0(VALU_DEP_1) | instskip(SKIP_1) | instid1(VALU_DEP_1)
	v_pk_fma_f32 v[64:65], v[48:49], v[58:59], v[62:63] op_sel:[0,0,1] op_sel_hi:[1,1,0] neg_lo:[0,0,1] neg_hi:[0,0,1]
	v_pk_fma_f32 v[48:49], v[48:49], v[58:59], v[62:63] op_sel:[0,0,1] op_sel_hi:[1,0,0]
	v_mov_b32_e32 v65, v49
	v_pk_mul_f32 v[48:49], v[50:51], v[60:61] op_sel:[0,1]
	s_delay_alu instid0(VALU_DEP_1) | instskip(SKIP_1) | instid1(VALU_DEP_1)
	v_pk_fma_f32 v[62:63], v[50:51], v[58:59], v[48:49] op_sel:[0,0,1] op_sel_hi:[1,1,0] neg_lo:[0,0,1] neg_hi:[0,0,1]
	v_pk_fma_f32 v[48:49], v[50:51], v[58:59], v[48:49] op_sel:[0,0,1] op_sel_hi:[1,0,0]
	v_mov_b32_e32 v63, v49
	ds_load_2addr_b64 v[48:51], v52 offset0:19 offset1:20
	v_pk_add_f32 v[34:35], v[34:35], v[64:65] neg_lo:[0,1] neg_hi:[0,1]
	v_pk_add_f32 v[32:33], v[32:33], v[62:63] neg_lo:[0,1] neg_hi:[0,1]
	s_wait_dscnt 0x0
	v_dual_mul_f32 v62, v49, v61 :: v_dual_mul_f32 v64, v49, v58
	s_delay_alu instid0(VALU_DEP_1) | instskip(NEXT) | instid1(VALU_DEP_2)
	v_pk_fma_f32 v[62:63], v[48:49], v[8:9], v[62:63] op_sel_hi:[1,1,0] neg_lo:[0,0,1] neg_hi:[0,0,1]
	v_pk_fma_f32 v[48:49], v[48:49], v[8:9], v[64:65] op_sel:[1,0,0] op_sel_hi:[0,1,0]
	s_delay_alu instid0(VALU_DEP_1) | instskip(SKIP_1) | instid1(VALU_DEP_1)
	v_mov_b32_e32 v63, v49
	v_pk_mul_f32 v[48:49], v[50:51], v[60:61] op_sel:[0,1]
	v_pk_fma_f32 v[60:61], v[50:51], v[58:59], v[48:49] op_sel:[0,0,1] op_sel_hi:[1,1,0] neg_lo:[0,0,1] neg_hi:[0,0,1]
	v_pk_fma_f32 v[48:49], v[50:51], v[58:59], v[48:49] op_sel:[0,0,1] op_sel_hi:[1,0,0]
	s_delay_alu instid0(VALU_DEP_1) | instskip(SKIP_1) | instid1(VALU_DEP_2)
	v_mov_b32_e32 v61, v49
	v_pk_add_f32 v[30:31], v[30:31], v[62:63] neg_lo:[0,1] neg_hi:[0,1]
	v_pk_add_f32 v[46:47], v[46:47], v[60:61] neg_lo:[0,1] neg_hi:[0,1]
.LBB40_230:
	s_or_b32 exec_lo, exec_lo, s0
	v_lshl_add_u32 v48, v56, 3, v52
	s_barrier_signal -1
	s_barrier_wait -1
	ds_store_b64 v48, v[4:5]
	s_wait_dscnt 0x0
	s_barrier_signal -1
	s_barrier_wait -1
	ds_load_b64 v[48:49], v52 offset:88
	v_mov_b32_e32 v50, 11
	s_cmp_lt_i32 s14, 13
	s_cbranch_scc1 .LBB40_233
; %bb.231:
	v_add3_u32 v51, v53, 0, 0x60
	v_mov_b32_e32 v50, 11
	s_mov_b32 s0, 12
.LBB40_232:                             ; =>This Inner Loop Header: Depth=1
	ds_load_b64 v[58:59], v51
	s_wait_dscnt 0x1
	v_cmp_gt_f32_e32 vcc_lo, 0, v48
	v_cndmask_b32_e64 v60, v48, -v48, vcc_lo
	v_cmp_gt_f32_e32 vcc_lo, 0, v49
	v_cndmask_b32_e64 v62, v49, -v49, vcc_lo
	s_wait_dscnt 0x0
	v_cmp_gt_f32_e32 vcc_lo, 0, v58
	v_cndmask_b32_e64 v61, v58, -v58, vcc_lo
	v_cmp_gt_f32_e32 vcc_lo, 0, v59
	v_cndmask_b32_e64 v63, v59, -v59, vcc_lo
	s_delay_alu instid0(VALU_DEP_1) | instskip(NEXT) | instid1(VALU_DEP_1)
	v_pk_add_f32 v[60:61], v[60:61], v[62:63]
	v_cmp_lt_f32_e32 vcc_lo, v60, v61
	v_dual_cndmask_b32 v48, v48, v58 :: v_dual_add_nc_u32 v51, 8, v51
	v_cndmask_b32_e32 v49, v49, v59, vcc_lo
	v_cndmask_b32_e64 v50, v50, s0, vcc_lo
	s_add_co_i32 s0, s0, 1
	s_delay_alu instid0(SALU_CYCLE_1)
	s_cmp_lg_u32 s14, s0
	s_cbranch_scc1 .LBB40_232
.LBB40_233:
	s_wait_dscnt 0x0
	v_cmp_eq_f32_e32 vcc_lo, 0, v48
	v_cmp_eq_f32_e64 s0, 0, v49
	s_and_b32 s0, vcc_lo, s0
	s_delay_alu instid0(SALU_CYCLE_1) | instskip(NEXT) | instid1(SALU_CYCLE_1)
	s_and_saveexec_b32 s1, s0
	s_xor_b32 s0, exec_lo, s1
; %bb.234:
	v_cmp_ne_u32_e32 vcc_lo, 0, v54
	v_cndmask_b32_e32 v54, 12, v54, vcc_lo
; %bb.235:
	s_and_not1_saveexec_b32 s0, s0
	s_cbranch_execz .LBB40_241
; %bb.236:
	v_cmp_ngt_f32_e64 s1, |v48|, |v49|
	s_and_saveexec_b32 s15, s1
	s_delay_alu instid0(SALU_CYCLE_1)
	s_xor_b32 s1, exec_lo, s15
	s_cbranch_execz .LBB40_238
; %bb.237:
	v_div_scale_f32 v51, null, v49, v49, v48
	v_div_scale_f32 v59, vcc_lo, v48, v49, v48
	s_delay_alu instid0(VALU_DEP_2) | instskip(SKIP_1) | instid1(TRANS32_DEP_1)
	v_rcp_f32_e32 v57, v51
	v_nop
	v_fma_f32 v58, -v51, v57, 1.0
	s_delay_alu instid0(VALU_DEP_1) | instskip(NEXT) | instid1(VALU_DEP_1)
	v_fmac_f32_e32 v57, v58, v57
	v_mul_f32_e32 v58, v59, v57
	s_delay_alu instid0(VALU_DEP_1) | instskip(NEXT) | instid1(VALU_DEP_1)
	v_fma_f32 v60, -v51, v58, v59
	v_fmac_f32_e32 v58, v60, v57
	s_delay_alu instid0(VALU_DEP_1) | instskip(NEXT) | instid1(VALU_DEP_1)
	v_fma_f32 v51, -v51, v58, v59
	v_div_fmas_f32 v51, v51, v57, v58
	s_delay_alu instid0(VALU_DEP_1) | instskip(NEXT) | instid1(VALU_DEP_1)
	v_div_fixup_f32 v51, v51, v49, v48
	v_fmac_f32_e32 v49, v48, v51
	s_delay_alu instid0(VALU_DEP_1) | instskip(SKIP_1) | instid1(VALU_DEP_2)
	v_div_scale_f32 v48, null, v49, v49, 1.0
	v_div_scale_f32 v59, vcc_lo, 1.0, v49, 1.0
	v_rcp_f32_e32 v57, v48
	v_nop
	s_delay_alu instid0(TRANS32_DEP_1) | instskip(NEXT) | instid1(VALU_DEP_1)
	v_fma_f32 v58, -v48, v57, 1.0
	v_fmac_f32_e32 v57, v58, v57
	s_delay_alu instid0(VALU_DEP_1) | instskip(NEXT) | instid1(VALU_DEP_1)
	v_mul_f32_e32 v58, v59, v57
	v_fma_f32 v60, -v48, v58, v59
	s_delay_alu instid0(VALU_DEP_1) | instskip(NEXT) | instid1(VALU_DEP_1)
	v_fmac_f32_e32 v58, v60, v57
	v_fma_f32 v48, -v48, v58, v59
	s_delay_alu instid0(VALU_DEP_1) | instskip(NEXT) | instid1(VALU_DEP_1)
	v_div_fmas_f32 v48, v48, v57, v58
	v_div_fixup_f32 v49, v48, v49, 1.0
	s_delay_alu instid0(VALU_DEP_1)
	v_mul_f32_e32 v48, v51, v49
	v_xor_b32_e32 v49, 0x80000000, v49
.LBB40_238:
	s_and_not1_saveexec_b32 s1, s1
	s_cbranch_execz .LBB40_240
; %bb.239:
	s_delay_alu instid0(VALU_DEP_1) | instskip(SKIP_1) | instid1(VALU_DEP_2)
	v_div_scale_f32 v51, null, v48, v48, v49
	v_div_scale_f32 v59, vcc_lo, v49, v48, v49
	v_rcp_f32_e32 v57, v51
	v_nop
	s_delay_alu instid0(TRANS32_DEP_1) | instskip(NEXT) | instid1(VALU_DEP_1)
	v_fma_f32 v58, -v51, v57, 1.0
	v_fmac_f32_e32 v57, v58, v57
	s_delay_alu instid0(VALU_DEP_1) | instskip(NEXT) | instid1(VALU_DEP_1)
	v_mul_f32_e32 v58, v59, v57
	v_fma_f32 v60, -v51, v58, v59
	s_delay_alu instid0(VALU_DEP_1) | instskip(NEXT) | instid1(VALU_DEP_1)
	v_fmac_f32_e32 v58, v60, v57
	v_fma_f32 v51, -v51, v58, v59
	s_delay_alu instid0(VALU_DEP_1) | instskip(NEXT) | instid1(VALU_DEP_1)
	v_div_fmas_f32 v51, v51, v57, v58
	v_div_fixup_f32 v51, v51, v48, v49
	s_delay_alu instid0(VALU_DEP_1) | instskip(NEXT) | instid1(VALU_DEP_1)
	v_fmac_f32_e32 v48, v49, v51
	v_div_scale_f32 v49, null, v48, v48, 1.0
	s_delay_alu instid0(VALU_DEP_1) | instskip(SKIP_1) | instid1(TRANS32_DEP_1)
	v_rcp_f32_e32 v57, v49
	v_nop
	v_fma_f32 v58, -v49, v57, 1.0
	s_delay_alu instid0(VALU_DEP_1) | instskip(SKIP_1) | instid1(VALU_DEP_1)
	v_fmac_f32_e32 v57, v58, v57
	v_div_scale_f32 v58, vcc_lo, 1.0, v48, 1.0
	v_mul_f32_e32 v59, v58, v57
	s_delay_alu instid0(VALU_DEP_1) | instskip(NEXT) | instid1(VALU_DEP_1)
	v_fma_f32 v60, -v49, v59, v58
	v_fmac_f32_e32 v59, v60, v57
	s_delay_alu instid0(VALU_DEP_1) | instskip(NEXT) | instid1(VALU_DEP_1)
	v_fma_f32 v49, -v49, v59, v58
	v_div_fmas_f32 v49, v49, v57, v59
	s_delay_alu instid0(VALU_DEP_1) | instskip(NEXT) | instid1(VALU_DEP_1)
	v_div_fixup_f32 v48, v49, v48, 1.0
	v_mul_f32_e64 v49, v51, -v48
.LBB40_240:
	s_or_b32 exec_lo, exec_lo, s1
.LBB40_241:
	s_delay_alu instid0(SALU_CYCLE_1) | instskip(NEXT) | instid1(SALU_CYCLE_1)
	s_or_b32 exec_lo, exec_lo, s0
	s_mov_b32 s0, exec_lo
	v_cmpx_ne_u32_e64 v56, v50
	s_xor_b32 s0, exec_lo, s0
	s_cbranch_execz .LBB40_247
; %bb.242:
	s_mov_b32 s1, exec_lo
	v_cmpx_eq_u32_e32 11, v56
	s_cbranch_execz .LBB40_246
; %bb.243:
	v_cmp_ne_u32_e32 vcc_lo, 11, v50
	s_xor_b32 s15, s12, -1
	s_delay_alu instid0(SALU_CYCLE_1) | instskip(NEXT) | instid1(SALU_CYCLE_1)
	s_and_b32 s16, s15, vcc_lo
	s_and_saveexec_b32 s15, s16
	s_cbranch_execz .LBB40_245
; %bb.244:
	v_ashrrev_i32_e32 v51, 31, v50
	s_delay_alu instid0(VALU_DEP_1)
	v_lshl_add_u64 v[56:57], v[50:51], 2, v[36:37]
	s_clause 0x1
	global_load_b32 v51, v[56:57], off
	global_load_b32 v55, v[36:37], off offset:44
	s_wait_loadcnt 0x1
	global_store_b32 v[36:37], v51, off offset:44
	s_wait_loadcnt 0x0
	global_store_b32 v[56:57], v55, off
.LBB40_245:
	s_wait_xcnt 0x0
	s_or_b32 exec_lo, exec_lo, s15
	v_dual_mov_b32 v56, v50 :: v_dual_mov_b32 v55, v50
.LBB40_246:
	s_or_b32 exec_lo, exec_lo, s1
.LBB40_247:
	s_and_not1_saveexec_b32 s0, s0
	s_cbranch_execz .LBB40_249
; %bb.248:
	v_dual_mov_b32 v50, v28 :: v_dual_mov_b32 v51, v29
	v_dual_mov_b32 v58, v24 :: v_dual_mov_b32 v59, v25
	;; [unrolled: 1-line block ×8, first 2 shown]
	v_mov_b32_e32 v71, v31
	ds_store_2addr_b64 v52, v[50:51], v[58:59] offset0:12 offset1:13
	ds_store_2addr_b64 v52, v[60:61], v[62:63] offset0:14 offset1:15
	;; [unrolled: 1-line block ×4, first 2 shown]
	ds_store_b64 v52, v[46:47] offset:160
.LBB40_249:
	s_or_b32 exec_lo, exec_lo, s0
	s_delay_alu instid0(SALU_CYCLE_1)
	s_mov_b32 s0, exec_lo
	s_wait_storecnt_dscnt 0x0
	s_barrier_signal -1
	s_barrier_wait -1
	v_cmpx_lt_i32_e32 11, v56
	s_cbranch_execz .LBB40_251
; %bb.250:
	v_pk_mul_f32 v[50:51], v[48:49], v[4:5] op_sel:[1,1] op_sel_hi:[0,1]
	s_delay_alu instid0(VALU_DEP_1)
	v_pk_fma_f32 v[58:59], v[48:49], v[4:5], v[50:51] op_sel_hi:[1,0,1] neg_lo:[0,0,1] neg_hi:[0,0,1]
	v_pk_fma_f32 v[60:61], v[48:49], v[4:5], v[50:51] op_sel_hi:[1,0,1]
	ds_load_2addr_b64 v[48:51], v52 offset0:12 offset1:13
	v_dual_mov_b32 v4, v58 :: v_dual_mov_b32 v5, v61
	s_wait_dscnt 0x0
	v_pk_mul_f32 v[62:63], v[48:49], v[60:61] op_sel:[0,1]
	s_delay_alu instid0(VALU_DEP_1) | instskip(SKIP_1) | instid1(VALU_DEP_1)
	v_pk_fma_f32 v[64:65], v[48:49], v[58:59], v[62:63] op_sel:[0,0,1] op_sel_hi:[1,1,0] neg_lo:[0,0,1] neg_hi:[0,0,1]
	v_pk_fma_f32 v[48:49], v[48:49], v[58:59], v[62:63] op_sel:[0,0,1] op_sel_hi:[1,0,0]
	v_mov_b32_e32 v65, v49
	v_pk_mul_f32 v[48:49], v[50:51], v[60:61] op_sel:[0,1]
	s_delay_alu instid0(VALU_DEP_1) | instskip(SKIP_1) | instid1(VALU_DEP_1)
	v_pk_fma_f32 v[62:63], v[50:51], v[58:59], v[48:49] op_sel:[0,0,1] op_sel_hi:[1,1,0] neg_lo:[0,0,1] neg_hi:[0,0,1]
	v_pk_fma_f32 v[48:49], v[50:51], v[58:59], v[48:49] op_sel:[0,0,1] op_sel_hi:[1,0,0]
	v_mov_b32_e32 v63, v49
	ds_load_2addr_b64 v[48:51], v52 offset0:14 offset1:15
	v_pk_add_f32 v[28:29], v[28:29], v[64:65] neg_lo:[0,1] neg_hi:[0,1]
	v_pk_add_f32 v[24:25], v[24:25], v[62:63] neg_lo:[0,1] neg_hi:[0,1]
	s_wait_dscnt 0x0
	v_pk_mul_f32 v[62:63], v[48:49], v[60:61] op_sel:[0,1]
	s_delay_alu instid0(VALU_DEP_1) | instskip(SKIP_2) | instid1(VALU_DEP_2)
	v_pk_fma_f32 v[64:65], v[48:49], v[58:59], v[62:63] op_sel:[0,0,1] op_sel_hi:[1,1,0] neg_lo:[0,0,1] neg_hi:[0,0,1]
	v_pk_fma_f32 v[48:49], v[48:49], v[58:59], v[62:63] op_sel:[0,0,1] op_sel_hi:[1,0,0]
	v_dual_mul_f32 v62, v51, v61 :: v_dual_mov_b32 v48, v51
	v_dual_mov_b32 v65, v49 :: v_dual_mov_b32 v49, v50
	s_delay_alu instid0(VALU_DEP_2) | instskip(SKIP_1) | instid1(VALU_DEP_3)
	v_pk_fma_f32 v[62:63], v[50:51], v[4:5], v[62:63] op_sel_hi:[1,1,0] neg_lo:[0,0,1] neg_hi:[0,0,1]
	v_mul_f32_e32 v50, v51, v58
	v_pk_add_f32 v[26:27], v[26:27], v[64:65] neg_lo:[0,1] neg_hi:[0,1]
	s_delay_alu instid0(VALU_DEP_2) | instskip(NEXT) | instid1(VALU_DEP_1)
	v_pk_fma_f32 v[48:49], v[48:49], v[4:5], v[50:51] op_sel_hi:[1,1,0]
	v_mov_b32_e32 v63, v49
	ds_load_2addr_b64 v[48:51], v52 offset0:16 offset1:17
	v_pk_add_f32 v[22:23], v[22:23], v[62:63] neg_lo:[0,1] neg_hi:[0,1]
	s_wait_dscnt 0x0
	v_pk_mul_f32 v[62:63], v[48:49], v[60:61] op_sel:[0,1]
	s_delay_alu instid0(VALU_DEP_1) | instskip(SKIP_1) | instid1(VALU_DEP_1)
	v_pk_fma_f32 v[64:65], v[48:49], v[58:59], v[62:63] op_sel:[0,0,1] op_sel_hi:[1,1,0] neg_lo:[0,0,1] neg_hi:[0,0,1]
	v_pk_fma_f32 v[48:49], v[48:49], v[58:59], v[62:63] op_sel:[0,0,1] op_sel_hi:[1,0,0]
	v_mov_b32_e32 v65, v49
	v_pk_mul_f32 v[48:49], v[50:51], v[60:61] op_sel:[0,1]
	s_delay_alu instid0(VALU_DEP_1) | instskip(SKIP_1) | instid1(VALU_DEP_1)
	v_pk_fma_f32 v[62:63], v[50:51], v[58:59], v[48:49] op_sel:[0,0,1] op_sel_hi:[1,1,0] neg_lo:[0,0,1] neg_hi:[0,0,1]
	v_pk_fma_f32 v[48:49], v[50:51], v[58:59], v[48:49] op_sel:[0,0,1] op_sel_hi:[1,0,0]
	v_mov_b32_e32 v63, v49
	ds_load_2addr_b64 v[48:51], v52 offset0:18 offset1:19
	v_pk_add_f32 v[20:21], v[20:21], v[64:65] neg_lo:[0,1] neg_hi:[0,1]
	v_pk_add_f32 v[34:35], v[34:35], v[62:63] neg_lo:[0,1] neg_hi:[0,1]
	s_wait_dscnt 0x0
	v_pk_mul_f32 v[62:63], v[48:49], v[60:61] op_sel:[0,1]
	s_delay_alu instid0(VALU_DEP_1) | instskip(SKIP_1) | instid1(VALU_DEP_1)
	v_pk_fma_f32 v[64:65], v[48:49], v[58:59], v[62:63] op_sel:[0,0,1] op_sel_hi:[1,1,0] neg_lo:[0,0,1] neg_hi:[0,0,1]
	v_pk_fma_f32 v[48:49], v[48:49], v[58:59], v[62:63] op_sel:[0,0,1] op_sel_hi:[1,0,0]
	v_mov_b32_e32 v65, v49
	v_pk_mul_f32 v[48:49], v[50:51], v[60:61] op_sel:[0,1]
	s_delay_alu instid0(VALU_DEP_1) | instskip(SKIP_1) | instid1(VALU_DEP_1)
	v_pk_fma_f32 v[62:63], v[50:51], v[58:59], v[48:49] op_sel:[0,0,1] op_sel_hi:[1,1,0] neg_lo:[0,0,1] neg_hi:[0,0,1]
	v_pk_fma_f32 v[48:49], v[50:51], v[58:59], v[48:49] op_sel:[0,0,1] op_sel_hi:[1,0,0]
	v_mov_b32_e32 v63, v49
	ds_load_b64 v[48:49], v52 offset:160
	v_pk_add_f32 v[32:33], v[32:33], v[64:65] neg_lo:[0,1] neg_hi:[0,1]
	v_pk_add_f32 v[30:31], v[30:31], v[62:63] neg_lo:[0,1] neg_hi:[0,1]
	s_wait_dscnt 0x0
	v_pk_mul_f32 v[50:51], v[48:49], v[60:61] op_sel:[0,1]
	s_delay_alu instid0(VALU_DEP_1) | instskip(SKIP_1) | instid1(VALU_DEP_1)
	v_pk_fma_f32 v[60:61], v[48:49], v[58:59], v[50:51] op_sel:[0,0,1] op_sel_hi:[1,1,0] neg_lo:[0,0,1] neg_hi:[0,0,1]
	v_pk_fma_f32 v[48:49], v[48:49], v[58:59], v[50:51] op_sel:[0,0,1] op_sel_hi:[1,0,0]
	v_mov_b32_e32 v61, v49
	s_delay_alu instid0(VALU_DEP_1)
	v_pk_add_f32 v[46:47], v[46:47], v[60:61] neg_lo:[0,1] neg_hi:[0,1]
.LBB40_251:
	s_or_b32 exec_lo, exec_lo, s0
	v_lshl_add_u32 v48, v56, 3, v52
	s_barrier_signal -1
	s_barrier_wait -1
	ds_store_b64 v48, v[28:29]
	s_wait_dscnt 0x0
	s_barrier_signal -1
	s_barrier_wait -1
	ds_load_b64 v[48:49], v52 offset:96
	v_mov_b32_e32 v50, 12
	s_cmp_lt_i32 s14, 14
	s_cbranch_scc1 .LBB40_254
; %bb.252:
	v_add3_u32 v51, v53, 0, 0x68
	v_mov_b32_e32 v50, 12
	s_mov_b32 s0, 13
.LBB40_253:                             ; =>This Inner Loop Header: Depth=1
	ds_load_b64 v[58:59], v51
	s_wait_dscnt 0x1
	v_cmp_gt_f32_e32 vcc_lo, 0, v48
	v_cndmask_b32_e64 v60, v48, -v48, vcc_lo
	v_cmp_gt_f32_e32 vcc_lo, 0, v49
	v_cndmask_b32_e64 v62, v49, -v49, vcc_lo
	s_wait_dscnt 0x0
	v_cmp_gt_f32_e32 vcc_lo, 0, v58
	v_cndmask_b32_e64 v61, v58, -v58, vcc_lo
	v_cmp_gt_f32_e32 vcc_lo, 0, v59
	v_cndmask_b32_e64 v63, v59, -v59, vcc_lo
	s_delay_alu instid0(VALU_DEP_1) | instskip(NEXT) | instid1(VALU_DEP_1)
	v_pk_add_f32 v[60:61], v[60:61], v[62:63]
	v_cmp_lt_f32_e32 vcc_lo, v60, v61
	v_dual_cndmask_b32 v48, v48, v58 :: v_dual_add_nc_u32 v51, 8, v51
	v_cndmask_b32_e32 v49, v49, v59, vcc_lo
	v_cndmask_b32_e64 v50, v50, s0, vcc_lo
	s_add_co_i32 s0, s0, 1
	s_delay_alu instid0(SALU_CYCLE_1)
	s_cmp_lg_u32 s14, s0
	s_cbranch_scc1 .LBB40_253
.LBB40_254:
	s_wait_dscnt 0x0
	v_cmp_eq_f32_e32 vcc_lo, 0, v48
	v_cmp_eq_f32_e64 s0, 0, v49
	s_and_b32 s0, vcc_lo, s0
	s_delay_alu instid0(SALU_CYCLE_1) | instskip(NEXT) | instid1(SALU_CYCLE_1)
	s_and_saveexec_b32 s1, s0
	s_xor_b32 s0, exec_lo, s1
; %bb.255:
	v_cmp_ne_u32_e32 vcc_lo, 0, v54
	v_cndmask_b32_e32 v54, 13, v54, vcc_lo
; %bb.256:
	s_and_not1_saveexec_b32 s0, s0
	s_cbranch_execz .LBB40_262
; %bb.257:
	v_cmp_ngt_f32_e64 s1, |v48|, |v49|
	s_and_saveexec_b32 s15, s1
	s_delay_alu instid0(SALU_CYCLE_1)
	s_xor_b32 s1, exec_lo, s15
	s_cbranch_execz .LBB40_259
; %bb.258:
	v_div_scale_f32 v51, null, v49, v49, v48
	v_div_scale_f32 v59, vcc_lo, v48, v49, v48
	s_delay_alu instid0(VALU_DEP_2) | instskip(SKIP_1) | instid1(TRANS32_DEP_1)
	v_rcp_f32_e32 v57, v51
	v_nop
	v_fma_f32 v58, -v51, v57, 1.0
	s_delay_alu instid0(VALU_DEP_1) | instskip(NEXT) | instid1(VALU_DEP_1)
	v_fmac_f32_e32 v57, v58, v57
	v_mul_f32_e32 v58, v59, v57
	s_delay_alu instid0(VALU_DEP_1) | instskip(NEXT) | instid1(VALU_DEP_1)
	v_fma_f32 v60, -v51, v58, v59
	v_fmac_f32_e32 v58, v60, v57
	s_delay_alu instid0(VALU_DEP_1) | instskip(NEXT) | instid1(VALU_DEP_1)
	v_fma_f32 v51, -v51, v58, v59
	v_div_fmas_f32 v51, v51, v57, v58
	s_delay_alu instid0(VALU_DEP_1) | instskip(NEXT) | instid1(VALU_DEP_1)
	v_div_fixup_f32 v51, v51, v49, v48
	v_fmac_f32_e32 v49, v48, v51
	s_delay_alu instid0(VALU_DEP_1) | instskip(SKIP_1) | instid1(VALU_DEP_2)
	v_div_scale_f32 v48, null, v49, v49, 1.0
	v_div_scale_f32 v59, vcc_lo, 1.0, v49, 1.0
	v_rcp_f32_e32 v57, v48
	v_nop
	s_delay_alu instid0(TRANS32_DEP_1) | instskip(NEXT) | instid1(VALU_DEP_1)
	v_fma_f32 v58, -v48, v57, 1.0
	v_fmac_f32_e32 v57, v58, v57
	s_delay_alu instid0(VALU_DEP_1) | instskip(NEXT) | instid1(VALU_DEP_1)
	v_mul_f32_e32 v58, v59, v57
	v_fma_f32 v60, -v48, v58, v59
	s_delay_alu instid0(VALU_DEP_1) | instskip(NEXT) | instid1(VALU_DEP_1)
	v_fmac_f32_e32 v58, v60, v57
	v_fma_f32 v48, -v48, v58, v59
	s_delay_alu instid0(VALU_DEP_1) | instskip(NEXT) | instid1(VALU_DEP_1)
	v_div_fmas_f32 v48, v48, v57, v58
	v_div_fixup_f32 v49, v48, v49, 1.0
	s_delay_alu instid0(VALU_DEP_1)
	v_mul_f32_e32 v48, v51, v49
	v_xor_b32_e32 v49, 0x80000000, v49
.LBB40_259:
	s_and_not1_saveexec_b32 s1, s1
	s_cbranch_execz .LBB40_261
; %bb.260:
	s_delay_alu instid0(VALU_DEP_1) | instskip(SKIP_1) | instid1(VALU_DEP_2)
	v_div_scale_f32 v51, null, v48, v48, v49
	v_div_scale_f32 v59, vcc_lo, v49, v48, v49
	v_rcp_f32_e32 v57, v51
	v_nop
	s_delay_alu instid0(TRANS32_DEP_1) | instskip(NEXT) | instid1(VALU_DEP_1)
	v_fma_f32 v58, -v51, v57, 1.0
	v_fmac_f32_e32 v57, v58, v57
	s_delay_alu instid0(VALU_DEP_1) | instskip(NEXT) | instid1(VALU_DEP_1)
	v_mul_f32_e32 v58, v59, v57
	v_fma_f32 v60, -v51, v58, v59
	s_delay_alu instid0(VALU_DEP_1) | instskip(NEXT) | instid1(VALU_DEP_1)
	v_fmac_f32_e32 v58, v60, v57
	v_fma_f32 v51, -v51, v58, v59
	s_delay_alu instid0(VALU_DEP_1) | instskip(NEXT) | instid1(VALU_DEP_1)
	v_div_fmas_f32 v51, v51, v57, v58
	v_div_fixup_f32 v51, v51, v48, v49
	s_delay_alu instid0(VALU_DEP_1) | instskip(NEXT) | instid1(VALU_DEP_1)
	v_fmac_f32_e32 v48, v49, v51
	v_div_scale_f32 v49, null, v48, v48, 1.0
	s_delay_alu instid0(VALU_DEP_1) | instskip(SKIP_1) | instid1(TRANS32_DEP_1)
	v_rcp_f32_e32 v57, v49
	v_nop
	v_fma_f32 v58, -v49, v57, 1.0
	s_delay_alu instid0(VALU_DEP_1) | instskip(SKIP_1) | instid1(VALU_DEP_1)
	v_fmac_f32_e32 v57, v58, v57
	v_div_scale_f32 v58, vcc_lo, 1.0, v48, 1.0
	v_mul_f32_e32 v59, v58, v57
	s_delay_alu instid0(VALU_DEP_1) | instskip(NEXT) | instid1(VALU_DEP_1)
	v_fma_f32 v60, -v49, v59, v58
	v_fmac_f32_e32 v59, v60, v57
	s_delay_alu instid0(VALU_DEP_1) | instskip(NEXT) | instid1(VALU_DEP_1)
	v_fma_f32 v49, -v49, v59, v58
	v_div_fmas_f32 v49, v49, v57, v59
	s_delay_alu instid0(VALU_DEP_1) | instskip(NEXT) | instid1(VALU_DEP_1)
	v_div_fixup_f32 v48, v49, v48, 1.0
	v_mul_f32_e64 v49, v51, -v48
.LBB40_261:
	s_or_b32 exec_lo, exec_lo, s1
.LBB40_262:
	s_delay_alu instid0(SALU_CYCLE_1) | instskip(NEXT) | instid1(SALU_CYCLE_1)
	s_or_b32 exec_lo, exec_lo, s0
	s_mov_b32 s0, exec_lo
	v_cmpx_ne_u32_e64 v56, v50
	s_xor_b32 s0, exec_lo, s0
	s_cbranch_execz .LBB40_268
; %bb.263:
	s_mov_b32 s1, exec_lo
	v_cmpx_eq_u32_e32 12, v56
	s_cbranch_execz .LBB40_267
; %bb.264:
	v_cmp_ne_u32_e32 vcc_lo, 12, v50
	s_xor_b32 s15, s12, -1
	s_delay_alu instid0(SALU_CYCLE_1) | instskip(NEXT) | instid1(SALU_CYCLE_1)
	s_and_b32 s16, s15, vcc_lo
	s_and_saveexec_b32 s15, s16
	s_cbranch_execz .LBB40_266
; %bb.265:
	v_ashrrev_i32_e32 v51, 31, v50
	s_delay_alu instid0(VALU_DEP_1)
	v_lshl_add_u64 v[56:57], v[50:51], 2, v[36:37]
	s_clause 0x1
	global_load_b32 v51, v[56:57], off
	global_load_b32 v55, v[36:37], off offset:48
	s_wait_loadcnt 0x1
	global_store_b32 v[36:37], v51, off offset:48
	s_wait_loadcnt 0x0
	global_store_b32 v[56:57], v55, off
.LBB40_266:
	s_wait_xcnt 0x0
	s_or_b32 exec_lo, exec_lo, s15
	v_dual_mov_b32 v56, v50 :: v_dual_mov_b32 v55, v50
.LBB40_267:
	s_or_b32 exec_lo, exec_lo, s1
.LBB40_268:
	s_and_not1_saveexec_b32 s0, s0
	s_cbranch_execz .LBB40_270
; %bb.269:
	v_mov_b32_e32 v56, 12
	ds_store_2addr_b64 v52, v[24:25], v[26:27] offset0:13 offset1:14
	ds_store_2addr_b64 v52, v[22:23], v[20:21] offset0:15 offset1:16
	;; [unrolled: 1-line block ×4, first 2 shown]
.LBB40_270:
	s_or_b32 exec_lo, exec_lo, s0
	s_delay_alu instid0(SALU_CYCLE_1)
	s_mov_b32 s0, exec_lo
	s_wait_storecnt_dscnt 0x0
	s_barrier_signal -1
	s_barrier_wait -1
	v_cmpx_lt_i32_e32 12, v56
	s_cbranch_execz .LBB40_272
; %bb.271:
	v_pk_mul_f32 v[50:51], v[48:49], v[28:29] op_sel:[1,1] op_sel_hi:[0,1]
	s_delay_alu instid0(VALU_DEP_1)
	v_pk_fma_f32 v[58:59], v[48:49], v[28:29], v[50:51] op_sel_hi:[1,0,1] neg_lo:[0,0,1] neg_hi:[0,0,1]
	v_pk_fma_f32 v[60:61], v[48:49], v[28:29], v[50:51] op_sel_hi:[1,0,1]
	ds_load_2addr_b64 v[48:51], v52 offset0:13 offset1:14
	v_dual_mov_b32 v28, v58 :: v_dual_mov_b32 v29, v61
	s_wait_dscnt 0x0
	v_pk_mul_f32 v[62:63], v[48:49], v[60:61] op_sel:[0,1]
	s_delay_alu instid0(VALU_DEP_1) | instskip(SKIP_1) | instid1(VALU_DEP_1)
	v_pk_fma_f32 v[64:65], v[48:49], v[58:59], v[62:63] op_sel:[0,0,1] op_sel_hi:[1,1,0] neg_lo:[0,0,1] neg_hi:[0,0,1]
	v_pk_fma_f32 v[48:49], v[48:49], v[58:59], v[62:63] op_sel:[0,0,1] op_sel_hi:[1,0,0]
	v_mov_b32_e32 v65, v49
	v_pk_mul_f32 v[48:49], v[50:51], v[60:61] op_sel:[0,1]
	s_delay_alu instid0(VALU_DEP_1) | instskip(SKIP_1) | instid1(VALU_DEP_1)
	v_pk_fma_f32 v[62:63], v[50:51], v[58:59], v[48:49] op_sel:[0,0,1] op_sel_hi:[1,1,0] neg_lo:[0,0,1] neg_hi:[0,0,1]
	v_pk_fma_f32 v[48:49], v[50:51], v[58:59], v[48:49] op_sel:[0,0,1] op_sel_hi:[1,0,0]
	v_mov_b32_e32 v63, v49
	ds_load_2addr_b64 v[48:51], v52 offset0:15 offset1:16
	v_pk_add_f32 v[24:25], v[24:25], v[64:65] neg_lo:[0,1] neg_hi:[0,1]
	v_pk_add_f32 v[26:27], v[26:27], v[62:63] neg_lo:[0,1] neg_hi:[0,1]
	s_wait_dscnt 0x0
	v_pk_mul_f32 v[62:63], v[48:49], v[60:61] op_sel:[0,1]
	s_delay_alu instid0(VALU_DEP_1) | instskip(SKIP_2) | instid1(VALU_DEP_2)
	v_pk_fma_f32 v[64:65], v[48:49], v[58:59], v[62:63] op_sel:[0,0,1] op_sel_hi:[1,1,0] neg_lo:[0,0,1] neg_hi:[0,0,1]
	v_pk_fma_f32 v[48:49], v[48:49], v[58:59], v[62:63] op_sel:[0,0,1] op_sel_hi:[1,0,0]
	v_dual_mul_f32 v62, v51, v61 :: v_dual_mov_b32 v48, v51
	v_dual_mov_b32 v65, v49 :: v_dual_mov_b32 v49, v50
	s_delay_alu instid0(VALU_DEP_2) | instskip(SKIP_1) | instid1(VALU_DEP_3)
	v_pk_fma_f32 v[62:63], v[50:51], v[28:29], v[62:63] op_sel_hi:[1,1,0] neg_lo:[0,0,1] neg_hi:[0,0,1]
	v_mul_f32_e32 v50, v51, v58
	v_pk_add_f32 v[22:23], v[22:23], v[64:65] neg_lo:[0,1] neg_hi:[0,1]
	s_delay_alu instid0(VALU_DEP_2) | instskip(NEXT) | instid1(VALU_DEP_1)
	v_pk_fma_f32 v[48:49], v[48:49], v[28:29], v[50:51] op_sel_hi:[1,1,0]
	v_mov_b32_e32 v63, v49
	ds_load_2addr_b64 v[48:51], v52 offset0:17 offset1:18
	v_pk_add_f32 v[20:21], v[20:21], v[62:63] neg_lo:[0,1] neg_hi:[0,1]
	s_wait_dscnt 0x0
	v_pk_mul_f32 v[62:63], v[48:49], v[60:61] op_sel:[0,1]
	s_delay_alu instid0(VALU_DEP_1) | instskip(SKIP_1) | instid1(VALU_DEP_1)
	v_pk_fma_f32 v[64:65], v[48:49], v[58:59], v[62:63] op_sel:[0,0,1] op_sel_hi:[1,1,0] neg_lo:[0,0,1] neg_hi:[0,0,1]
	v_pk_fma_f32 v[48:49], v[48:49], v[58:59], v[62:63] op_sel:[0,0,1] op_sel_hi:[1,0,0]
	v_mov_b32_e32 v65, v49
	v_pk_mul_f32 v[48:49], v[50:51], v[60:61] op_sel:[0,1]
	s_delay_alu instid0(VALU_DEP_1) | instskip(SKIP_1) | instid1(VALU_DEP_1)
	v_pk_fma_f32 v[62:63], v[50:51], v[58:59], v[48:49] op_sel:[0,0,1] op_sel_hi:[1,1,0] neg_lo:[0,0,1] neg_hi:[0,0,1]
	v_pk_fma_f32 v[48:49], v[50:51], v[58:59], v[48:49] op_sel:[0,0,1] op_sel_hi:[1,0,0]
	v_mov_b32_e32 v63, v49
	ds_load_2addr_b64 v[48:51], v52 offset0:19 offset1:20
	v_pk_add_f32 v[34:35], v[34:35], v[64:65] neg_lo:[0,1] neg_hi:[0,1]
	v_pk_add_f32 v[32:33], v[32:33], v[62:63] neg_lo:[0,1] neg_hi:[0,1]
	s_wait_dscnt 0x0
	v_pk_mul_f32 v[62:63], v[48:49], v[60:61] op_sel:[0,1]
	s_delay_alu instid0(VALU_DEP_1) | instskip(SKIP_1) | instid1(VALU_DEP_1)
	v_pk_fma_f32 v[64:65], v[48:49], v[58:59], v[62:63] op_sel:[0,0,1] op_sel_hi:[1,1,0] neg_lo:[0,0,1] neg_hi:[0,0,1]
	v_pk_fma_f32 v[48:49], v[48:49], v[58:59], v[62:63] op_sel:[0,0,1] op_sel_hi:[1,0,0]
	v_mov_b32_e32 v65, v49
	v_pk_mul_f32 v[48:49], v[50:51], v[60:61] op_sel:[0,1]
	s_delay_alu instid0(VALU_DEP_1) | instskip(SKIP_1) | instid1(VALU_DEP_1)
	v_pk_fma_f32 v[60:61], v[50:51], v[58:59], v[48:49] op_sel:[0,0,1] op_sel_hi:[1,1,0] neg_lo:[0,0,1] neg_hi:[0,0,1]
	v_pk_fma_f32 v[48:49], v[50:51], v[58:59], v[48:49] op_sel:[0,0,1] op_sel_hi:[1,0,0]
	v_mov_b32_e32 v61, v49
	v_pk_add_f32 v[30:31], v[30:31], v[64:65] neg_lo:[0,1] neg_hi:[0,1]
	s_delay_alu instid0(VALU_DEP_2)
	v_pk_add_f32 v[46:47], v[46:47], v[60:61] neg_lo:[0,1] neg_hi:[0,1]
.LBB40_272:
	s_or_b32 exec_lo, exec_lo, s0
	v_lshl_add_u32 v48, v56, 3, v52
	s_barrier_signal -1
	s_barrier_wait -1
	ds_store_b64 v48, v[24:25]
	s_wait_dscnt 0x0
	s_barrier_signal -1
	s_barrier_wait -1
	ds_load_b64 v[48:49], v52 offset:104
	v_mov_b32_e32 v50, 13
	s_cmp_lt_i32 s14, 15
	s_cbranch_scc1 .LBB40_275
; %bb.273:
	v_add3_u32 v51, v53, 0, 0x70
	v_mov_b32_e32 v50, 13
	s_mov_b32 s0, 14
.LBB40_274:                             ; =>This Inner Loop Header: Depth=1
	ds_load_b64 v[58:59], v51
	s_wait_dscnt 0x1
	v_cmp_gt_f32_e32 vcc_lo, 0, v48
	v_cndmask_b32_e64 v60, v48, -v48, vcc_lo
	v_cmp_gt_f32_e32 vcc_lo, 0, v49
	v_cndmask_b32_e64 v62, v49, -v49, vcc_lo
	s_wait_dscnt 0x0
	v_cmp_gt_f32_e32 vcc_lo, 0, v58
	v_cndmask_b32_e64 v61, v58, -v58, vcc_lo
	v_cmp_gt_f32_e32 vcc_lo, 0, v59
	v_cndmask_b32_e64 v63, v59, -v59, vcc_lo
	s_delay_alu instid0(VALU_DEP_1) | instskip(NEXT) | instid1(VALU_DEP_1)
	v_pk_add_f32 v[60:61], v[60:61], v[62:63]
	v_cmp_lt_f32_e32 vcc_lo, v60, v61
	v_dual_cndmask_b32 v48, v48, v58 :: v_dual_add_nc_u32 v51, 8, v51
	v_cndmask_b32_e32 v49, v49, v59, vcc_lo
	v_cndmask_b32_e64 v50, v50, s0, vcc_lo
	s_add_co_i32 s0, s0, 1
	s_delay_alu instid0(SALU_CYCLE_1)
	s_cmp_lg_u32 s14, s0
	s_cbranch_scc1 .LBB40_274
.LBB40_275:
	s_wait_dscnt 0x0
	v_cmp_eq_f32_e32 vcc_lo, 0, v48
	v_cmp_eq_f32_e64 s0, 0, v49
	s_and_b32 s0, vcc_lo, s0
	s_delay_alu instid0(SALU_CYCLE_1) | instskip(NEXT) | instid1(SALU_CYCLE_1)
	s_and_saveexec_b32 s1, s0
	s_xor_b32 s0, exec_lo, s1
; %bb.276:
	v_cmp_ne_u32_e32 vcc_lo, 0, v54
	v_cndmask_b32_e32 v54, 14, v54, vcc_lo
; %bb.277:
	s_and_not1_saveexec_b32 s0, s0
	s_cbranch_execz .LBB40_283
; %bb.278:
	v_cmp_ngt_f32_e64 s1, |v48|, |v49|
	s_and_saveexec_b32 s15, s1
	s_delay_alu instid0(SALU_CYCLE_1)
	s_xor_b32 s1, exec_lo, s15
	s_cbranch_execz .LBB40_280
; %bb.279:
	v_div_scale_f32 v51, null, v49, v49, v48
	v_div_scale_f32 v59, vcc_lo, v48, v49, v48
	s_delay_alu instid0(VALU_DEP_2) | instskip(SKIP_1) | instid1(TRANS32_DEP_1)
	v_rcp_f32_e32 v57, v51
	v_nop
	v_fma_f32 v58, -v51, v57, 1.0
	s_delay_alu instid0(VALU_DEP_1) | instskip(NEXT) | instid1(VALU_DEP_1)
	v_fmac_f32_e32 v57, v58, v57
	v_mul_f32_e32 v58, v59, v57
	s_delay_alu instid0(VALU_DEP_1) | instskip(NEXT) | instid1(VALU_DEP_1)
	v_fma_f32 v60, -v51, v58, v59
	v_fmac_f32_e32 v58, v60, v57
	s_delay_alu instid0(VALU_DEP_1) | instskip(NEXT) | instid1(VALU_DEP_1)
	v_fma_f32 v51, -v51, v58, v59
	v_div_fmas_f32 v51, v51, v57, v58
	s_delay_alu instid0(VALU_DEP_1) | instskip(NEXT) | instid1(VALU_DEP_1)
	v_div_fixup_f32 v51, v51, v49, v48
	v_fmac_f32_e32 v49, v48, v51
	s_delay_alu instid0(VALU_DEP_1) | instskip(SKIP_1) | instid1(VALU_DEP_2)
	v_div_scale_f32 v48, null, v49, v49, 1.0
	v_div_scale_f32 v59, vcc_lo, 1.0, v49, 1.0
	v_rcp_f32_e32 v57, v48
	v_nop
	s_delay_alu instid0(TRANS32_DEP_1) | instskip(NEXT) | instid1(VALU_DEP_1)
	v_fma_f32 v58, -v48, v57, 1.0
	v_fmac_f32_e32 v57, v58, v57
	s_delay_alu instid0(VALU_DEP_1) | instskip(NEXT) | instid1(VALU_DEP_1)
	v_mul_f32_e32 v58, v59, v57
	v_fma_f32 v60, -v48, v58, v59
	s_delay_alu instid0(VALU_DEP_1) | instskip(NEXT) | instid1(VALU_DEP_1)
	v_fmac_f32_e32 v58, v60, v57
	v_fma_f32 v48, -v48, v58, v59
	s_delay_alu instid0(VALU_DEP_1) | instskip(NEXT) | instid1(VALU_DEP_1)
	v_div_fmas_f32 v48, v48, v57, v58
	v_div_fixup_f32 v49, v48, v49, 1.0
	s_delay_alu instid0(VALU_DEP_1)
	v_mul_f32_e32 v48, v51, v49
	v_xor_b32_e32 v49, 0x80000000, v49
.LBB40_280:
	s_and_not1_saveexec_b32 s1, s1
	s_cbranch_execz .LBB40_282
; %bb.281:
	s_delay_alu instid0(VALU_DEP_1) | instskip(SKIP_1) | instid1(VALU_DEP_2)
	v_div_scale_f32 v51, null, v48, v48, v49
	v_div_scale_f32 v59, vcc_lo, v49, v48, v49
	v_rcp_f32_e32 v57, v51
	v_nop
	s_delay_alu instid0(TRANS32_DEP_1) | instskip(NEXT) | instid1(VALU_DEP_1)
	v_fma_f32 v58, -v51, v57, 1.0
	v_fmac_f32_e32 v57, v58, v57
	s_delay_alu instid0(VALU_DEP_1) | instskip(NEXT) | instid1(VALU_DEP_1)
	v_mul_f32_e32 v58, v59, v57
	v_fma_f32 v60, -v51, v58, v59
	s_delay_alu instid0(VALU_DEP_1) | instskip(NEXT) | instid1(VALU_DEP_1)
	v_fmac_f32_e32 v58, v60, v57
	v_fma_f32 v51, -v51, v58, v59
	s_delay_alu instid0(VALU_DEP_1) | instskip(NEXT) | instid1(VALU_DEP_1)
	v_div_fmas_f32 v51, v51, v57, v58
	v_div_fixup_f32 v51, v51, v48, v49
	s_delay_alu instid0(VALU_DEP_1) | instskip(NEXT) | instid1(VALU_DEP_1)
	v_fmac_f32_e32 v48, v49, v51
	v_div_scale_f32 v49, null, v48, v48, 1.0
	s_delay_alu instid0(VALU_DEP_1) | instskip(SKIP_1) | instid1(TRANS32_DEP_1)
	v_rcp_f32_e32 v57, v49
	v_nop
	v_fma_f32 v58, -v49, v57, 1.0
	s_delay_alu instid0(VALU_DEP_1) | instskip(SKIP_1) | instid1(VALU_DEP_1)
	v_fmac_f32_e32 v57, v58, v57
	v_div_scale_f32 v58, vcc_lo, 1.0, v48, 1.0
	v_mul_f32_e32 v59, v58, v57
	s_delay_alu instid0(VALU_DEP_1) | instskip(NEXT) | instid1(VALU_DEP_1)
	v_fma_f32 v60, -v49, v59, v58
	v_fmac_f32_e32 v59, v60, v57
	s_delay_alu instid0(VALU_DEP_1) | instskip(NEXT) | instid1(VALU_DEP_1)
	v_fma_f32 v49, -v49, v59, v58
	v_div_fmas_f32 v49, v49, v57, v59
	s_delay_alu instid0(VALU_DEP_1) | instskip(NEXT) | instid1(VALU_DEP_1)
	v_div_fixup_f32 v48, v49, v48, 1.0
	v_mul_f32_e64 v49, v51, -v48
.LBB40_282:
	s_or_b32 exec_lo, exec_lo, s1
.LBB40_283:
	s_delay_alu instid0(SALU_CYCLE_1) | instskip(NEXT) | instid1(SALU_CYCLE_1)
	s_or_b32 exec_lo, exec_lo, s0
	s_mov_b32 s0, exec_lo
	v_cmpx_ne_u32_e64 v56, v50
	s_xor_b32 s0, exec_lo, s0
	s_cbranch_execz .LBB40_289
; %bb.284:
	s_mov_b32 s1, exec_lo
	v_cmpx_eq_u32_e32 13, v56
	s_cbranch_execz .LBB40_288
; %bb.285:
	v_cmp_ne_u32_e32 vcc_lo, 13, v50
	s_xor_b32 s15, s12, -1
	s_delay_alu instid0(SALU_CYCLE_1) | instskip(NEXT) | instid1(SALU_CYCLE_1)
	s_and_b32 s16, s15, vcc_lo
	s_and_saveexec_b32 s15, s16
	s_cbranch_execz .LBB40_287
; %bb.286:
	v_ashrrev_i32_e32 v51, 31, v50
	s_delay_alu instid0(VALU_DEP_1)
	v_lshl_add_u64 v[56:57], v[50:51], 2, v[36:37]
	s_clause 0x1
	global_load_b32 v51, v[56:57], off
	global_load_b32 v55, v[36:37], off offset:52
	s_wait_loadcnt 0x1
	global_store_b32 v[36:37], v51, off offset:52
	s_wait_loadcnt 0x0
	global_store_b32 v[56:57], v55, off
.LBB40_287:
	s_wait_xcnt 0x0
	s_or_b32 exec_lo, exec_lo, s15
	v_dual_mov_b32 v56, v50 :: v_dual_mov_b32 v55, v50
.LBB40_288:
	s_or_b32 exec_lo, exec_lo, s1
.LBB40_289:
	s_and_not1_saveexec_b32 s0, s0
	s_cbranch_execz .LBB40_291
; %bb.290:
	v_dual_mov_b32 v50, v26 :: v_dual_mov_b32 v51, v27
	v_dual_mov_b32 v58, v22 :: v_dual_mov_b32 v59, v23
	;; [unrolled: 1-line block ×6, first 2 shown]
	v_mov_b32_e32 v67, v31
	ds_store_2addr_b64 v52, v[50:51], v[58:59] offset0:14 offset1:15
	ds_store_2addr_b64 v52, v[60:61], v[62:63] offset0:16 offset1:17
	;; [unrolled: 1-line block ×3, first 2 shown]
	ds_store_b64 v52, v[46:47] offset:160
.LBB40_291:
	s_or_b32 exec_lo, exec_lo, s0
	s_delay_alu instid0(SALU_CYCLE_1)
	s_mov_b32 s0, exec_lo
	s_wait_storecnt_dscnt 0x0
	s_barrier_signal -1
	s_barrier_wait -1
	v_cmpx_lt_i32_e32 13, v56
	s_cbranch_execz .LBB40_293
; %bb.292:
	v_pk_mul_f32 v[50:51], v[48:49], v[24:25] op_sel:[1,1] op_sel_hi:[0,1]
	s_delay_alu instid0(VALU_DEP_1)
	v_pk_fma_f32 v[58:59], v[48:49], v[24:25], v[50:51] op_sel_hi:[1,0,1] neg_lo:[0,0,1] neg_hi:[0,0,1]
	v_pk_fma_f32 v[60:61], v[48:49], v[24:25], v[50:51] op_sel_hi:[1,0,1]
	ds_load_2addr_b64 v[48:51], v52 offset0:14 offset1:15
	v_dual_mov_b32 v24, v58 :: v_dual_mov_b32 v25, v61
	s_wait_dscnt 0x0
	v_pk_mul_f32 v[62:63], v[48:49], v[60:61] op_sel:[0,1]
	s_delay_alu instid0(VALU_DEP_1) | instskip(SKIP_1) | instid1(VALU_DEP_1)
	v_pk_fma_f32 v[64:65], v[48:49], v[58:59], v[62:63] op_sel:[0,0,1] op_sel_hi:[1,1,0] neg_lo:[0,0,1] neg_hi:[0,0,1]
	v_pk_fma_f32 v[48:49], v[48:49], v[58:59], v[62:63] op_sel:[0,0,1] op_sel_hi:[1,0,0]
	v_mov_b32_e32 v65, v49
	v_pk_mul_f32 v[48:49], v[50:51], v[60:61] op_sel:[0,1]
	s_delay_alu instid0(VALU_DEP_1) | instskip(SKIP_1) | instid1(VALU_DEP_1)
	v_pk_fma_f32 v[62:63], v[50:51], v[58:59], v[48:49] op_sel:[0,0,1] op_sel_hi:[1,1,0] neg_lo:[0,0,1] neg_hi:[0,0,1]
	v_pk_fma_f32 v[48:49], v[50:51], v[58:59], v[48:49] op_sel:[0,0,1] op_sel_hi:[1,0,0]
	v_mov_b32_e32 v63, v49
	ds_load_2addr_b64 v[48:51], v52 offset0:16 offset1:17
	v_pk_add_f32 v[26:27], v[26:27], v[64:65] neg_lo:[0,1] neg_hi:[0,1]
	v_pk_add_f32 v[22:23], v[22:23], v[62:63] neg_lo:[0,1] neg_hi:[0,1]
	s_wait_dscnt 0x0
	v_pk_mul_f32 v[62:63], v[48:49], v[60:61] op_sel:[0,1]
	s_delay_alu instid0(VALU_DEP_1) | instskip(SKIP_2) | instid1(VALU_DEP_2)
	v_pk_fma_f32 v[64:65], v[48:49], v[58:59], v[62:63] op_sel:[0,0,1] op_sel_hi:[1,1,0] neg_lo:[0,0,1] neg_hi:[0,0,1]
	v_pk_fma_f32 v[48:49], v[48:49], v[58:59], v[62:63] op_sel:[0,0,1] op_sel_hi:[1,0,0]
	v_dual_mul_f32 v62, v51, v61 :: v_dual_mov_b32 v48, v51
	v_dual_mov_b32 v65, v49 :: v_dual_mov_b32 v49, v50
	s_delay_alu instid0(VALU_DEP_2) | instskip(SKIP_1) | instid1(VALU_DEP_3)
	v_pk_fma_f32 v[62:63], v[50:51], v[24:25], v[62:63] op_sel_hi:[1,1,0] neg_lo:[0,0,1] neg_hi:[0,0,1]
	v_mul_f32_e32 v50, v51, v58
	v_pk_add_f32 v[20:21], v[20:21], v[64:65] neg_lo:[0,1] neg_hi:[0,1]
	s_delay_alu instid0(VALU_DEP_2) | instskip(NEXT) | instid1(VALU_DEP_1)
	v_pk_fma_f32 v[48:49], v[48:49], v[24:25], v[50:51] op_sel_hi:[1,1,0]
	v_mov_b32_e32 v63, v49
	ds_load_2addr_b64 v[48:51], v52 offset0:18 offset1:19
	v_pk_add_f32 v[34:35], v[34:35], v[62:63] neg_lo:[0,1] neg_hi:[0,1]
	s_wait_dscnt 0x0
	v_pk_mul_f32 v[62:63], v[48:49], v[60:61] op_sel:[0,1]
	s_delay_alu instid0(VALU_DEP_1) | instskip(SKIP_1) | instid1(VALU_DEP_1)
	v_pk_fma_f32 v[64:65], v[48:49], v[58:59], v[62:63] op_sel:[0,0,1] op_sel_hi:[1,1,0] neg_lo:[0,0,1] neg_hi:[0,0,1]
	v_pk_fma_f32 v[48:49], v[48:49], v[58:59], v[62:63] op_sel:[0,0,1] op_sel_hi:[1,0,0]
	v_mov_b32_e32 v65, v49
	v_pk_mul_f32 v[48:49], v[50:51], v[60:61] op_sel:[0,1]
	s_delay_alu instid0(VALU_DEP_1) | instskip(SKIP_1) | instid1(VALU_DEP_1)
	v_pk_fma_f32 v[62:63], v[50:51], v[58:59], v[48:49] op_sel:[0,0,1] op_sel_hi:[1,1,0] neg_lo:[0,0,1] neg_hi:[0,0,1]
	v_pk_fma_f32 v[48:49], v[50:51], v[58:59], v[48:49] op_sel:[0,0,1] op_sel_hi:[1,0,0]
	v_mov_b32_e32 v63, v49
	ds_load_b64 v[48:49], v52 offset:160
	v_pk_add_f32 v[32:33], v[32:33], v[64:65] neg_lo:[0,1] neg_hi:[0,1]
	v_pk_add_f32 v[30:31], v[30:31], v[62:63] neg_lo:[0,1] neg_hi:[0,1]
	s_wait_dscnt 0x0
	v_pk_mul_f32 v[50:51], v[48:49], v[60:61] op_sel:[0,1]
	s_delay_alu instid0(VALU_DEP_1) | instskip(SKIP_1) | instid1(VALU_DEP_1)
	v_pk_fma_f32 v[60:61], v[48:49], v[58:59], v[50:51] op_sel:[0,0,1] op_sel_hi:[1,1,0] neg_lo:[0,0,1] neg_hi:[0,0,1]
	v_pk_fma_f32 v[48:49], v[48:49], v[58:59], v[50:51] op_sel:[0,0,1] op_sel_hi:[1,0,0]
	v_mov_b32_e32 v61, v49
	s_delay_alu instid0(VALU_DEP_1)
	v_pk_add_f32 v[46:47], v[46:47], v[60:61] neg_lo:[0,1] neg_hi:[0,1]
.LBB40_293:
	s_or_b32 exec_lo, exec_lo, s0
	v_lshl_add_u32 v48, v56, 3, v52
	s_barrier_signal -1
	s_barrier_wait -1
	ds_store_b64 v48, v[26:27]
	s_wait_dscnt 0x0
	s_barrier_signal -1
	s_barrier_wait -1
	ds_load_b64 v[48:49], v52 offset:112
	v_mov_b32_e32 v50, 14
	s_cmp_lt_i32 s14, 16
	s_cbranch_scc1 .LBB40_296
; %bb.294:
	v_add3_u32 v51, v53, 0, 0x78
	v_mov_b32_e32 v50, 14
	s_mov_b32 s0, 15
.LBB40_295:                             ; =>This Inner Loop Header: Depth=1
	ds_load_b64 v[58:59], v51
	s_wait_dscnt 0x1
	v_cmp_gt_f32_e32 vcc_lo, 0, v48
	v_cndmask_b32_e64 v60, v48, -v48, vcc_lo
	v_cmp_gt_f32_e32 vcc_lo, 0, v49
	v_cndmask_b32_e64 v62, v49, -v49, vcc_lo
	s_wait_dscnt 0x0
	v_cmp_gt_f32_e32 vcc_lo, 0, v58
	v_cndmask_b32_e64 v61, v58, -v58, vcc_lo
	v_cmp_gt_f32_e32 vcc_lo, 0, v59
	v_cndmask_b32_e64 v63, v59, -v59, vcc_lo
	s_delay_alu instid0(VALU_DEP_1) | instskip(NEXT) | instid1(VALU_DEP_1)
	v_pk_add_f32 v[60:61], v[60:61], v[62:63]
	v_cmp_lt_f32_e32 vcc_lo, v60, v61
	v_dual_cndmask_b32 v48, v48, v58 :: v_dual_add_nc_u32 v51, 8, v51
	v_cndmask_b32_e32 v49, v49, v59, vcc_lo
	v_cndmask_b32_e64 v50, v50, s0, vcc_lo
	s_add_co_i32 s0, s0, 1
	s_delay_alu instid0(SALU_CYCLE_1)
	s_cmp_lg_u32 s14, s0
	s_cbranch_scc1 .LBB40_295
.LBB40_296:
	s_wait_dscnt 0x0
	v_cmp_eq_f32_e32 vcc_lo, 0, v48
	v_cmp_eq_f32_e64 s0, 0, v49
	s_and_b32 s0, vcc_lo, s0
	s_delay_alu instid0(SALU_CYCLE_1) | instskip(NEXT) | instid1(SALU_CYCLE_1)
	s_and_saveexec_b32 s1, s0
	s_xor_b32 s0, exec_lo, s1
; %bb.297:
	v_cmp_ne_u32_e32 vcc_lo, 0, v54
	v_cndmask_b32_e32 v54, 15, v54, vcc_lo
; %bb.298:
	s_and_not1_saveexec_b32 s0, s0
	s_cbranch_execz .LBB40_304
; %bb.299:
	v_cmp_ngt_f32_e64 s1, |v48|, |v49|
	s_and_saveexec_b32 s15, s1
	s_delay_alu instid0(SALU_CYCLE_1)
	s_xor_b32 s1, exec_lo, s15
	s_cbranch_execz .LBB40_301
; %bb.300:
	v_div_scale_f32 v51, null, v49, v49, v48
	v_div_scale_f32 v59, vcc_lo, v48, v49, v48
	s_delay_alu instid0(VALU_DEP_2) | instskip(SKIP_1) | instid1(TRANS32_DEP_1)
	v_rcp_f32_e32 v57, v51
	v_nop
	v_fma_f32 v58, -v51, v57, 1.0
	s_delay_alu instid0(VALU_DEP_1) | instskip(NEXT) | instid1(VALU_DEP_1)
	v_fmac_f32_e32 v57, v58, v57
	v_mul_f32_e32 v58, v59, v57
	s_delay_alu instid0(VALU_DEP_1) | instskip(NEXT) | instid1(VALU_DEP_1)
	v_fma_f32 v60, -v51, v58, v59
	v_fmac_f32_e32 v58, v60, v57
	s_delay_alu instid0(VALU_DEP_1) | instskip(NEXT) | instid1(VALU_DEP_1)
	v_fma_f32 v51, -v51, v58, v59
	v_div_fmas_f32 v51, v51, v57, v58
	s_delay_alu instid0(VALU_DEP_1) | instskip(NEXT) | instid1(VALU_DEP_1)
	v_div_fixup_f32 v51, v51, v49, v48
	v_fmac_f32_e32 v49, v48, v51
	s_delay_alu instid0(VALU_DEP_1) | instskip(SKIP_1) | instid1(VALU_DEP_2)
	v_div_scale_f32 v48, null, v49, v49, 1.0
	v_div_scale_f32 v59, vcc_lo, 1.0, v49, 1.0
	v_rcp_f32_e32 v57, v48
	v_nop
	s_delay_alu instid0(TRANS32_DEP_1) | instskip(NEXT) | instid1(VALU_DEP_1)
	v_fma_f32 v58, -v48, v57, 1.0
	v_fmac_f32_e32 v57, v58, v57
	s_delay_alu instid0(VALU_DEP_1) | instskip(NEXT) | instid1(VALU_DEP_1)
	v_mul_f32_e32 v58, v59, v57
	v_fma_f32 v60, -v48, v58, v59
	s_delay_alu instid0(VALU_DEP_1) | instskip(NEXT) | instid1(VALU_DEP_1)
	v_fmac_f32_e32 v58, v60, v57
	v_fma_f32 v48, -v48, v58, v59
	s_delay_alu instid0(VALU_DEP_1) | instskip(NEXT) | instid1(VALU_DEP_1)
	v_div_fmas_f32 v48, v48, v57, v58
	v_div_fixup_f32 v49, v48, v49, 1.0
	s_delay_alu instid0(VALU_DEP_1)
	v_mul_f32_e32 v48, v51, v49
	v_xor_b32_e32 v49, 0x80000000, v49
.LBB40_301:
	s_and_not1_saveexec_b32 s1, s1
	s_cbranch_execz .LBB40_303
; %bb.302:
	s_delay_alu instid0(VALU_DEP_1) | instskip(SKIP_1) | instid1(VALU_DEP_2)
	v_div_scale_f32 v51, null, v48, v48, v49
	v_div_scale_f32 v59, vcc_lo, v49, v48, v49
	v_rcp_f32_e32 v57, v51
	v_nop
	s_delay_alu instid0(TRANS32_DEP_1) | instskip(NEXT) | instid1(VALU_DEP_1)
	v_fma_f32 v58, -v51, v57, 1.0
	v_fmac_f32_e32 v57, v58, v57
	s_delay_alu instid0(VALU_DEP_1) | instskip(NEXT) | instid1(VALU_DEP_1)
	v_mul_f32_e32 v58, v59, v57
	v_fma_f32 v60, -v51, v58, v59
	s_delay_alu instid0(VALU_DEP_1) | instskip(NEXT) | instid1(VALU_DEP_1)
	v_fmac_f32_e32 v58, v60, v57
	v_fma_f32 v51, -v51, v58, v59
	s_delay_alu instid0(VALU_DEP_1) | instskip(NEXT) | instid1(VALU_DEP_1)
	v_div_fmas_f32 v51, v51, v57, v58
	v_div_fixup_f32 v51, v51, v48, v49
	s_delay_alu instid0(VALU_DEP_1) | instskip(NEXT) | instid1(VALU_DEP_1)
	v_fmac_f32_e32 v48, v49, v51
	v_div_scale_f32 v49, null, v48, v48, 1.0
	s_delay_alu instid0(VALU_DEP_1) | instskip(SKIP_1) | instid1(TRANS32_DEP_1)
	v_rcp_f32_e32 v57, v49
	v_nop
	v_fma_f32 v58, -v49, v57, 1.0
	s_delay_alu instid0(VALU_DEP_1) | instskip(SKIP_1) | instid1(VALU_DEP_1)
	v_fmac_f32_e32 v57, v58, v57
	v_div_scale_f32 v58, vcc_lo, 1.0, v48, 1.0
	v_mul_f32_e32 v59, v58, v57
	s_delay_alu instid0(VALU_DEP_1) | instskip(NEXT) | instid1(VALU_DEP_1)
	v_fma_f32 v60, -v49, v59, v58
	v_fmac_f32_e32 v59, v60, v57
	s_delay_alu instid0(VALU_DEP_1) | instskip(NEXT) | instid1(VALU_DEP_1)
	v_fma_f32 v49, -v49, v59, v58
	v_div_fmas_f32 v49, v49, v57, v59
	s_delay_alu instid0(VALU_DEP_1) | instskip(NEXT) | instid1(VALU_DEP_1)
	v_div_fixup_f32 v48, v49, v48, 1.0
	v_mul_f32_e64 v49, v51, -v48
.LBB40_303:
	s_or_b32 exec_lo, exec_lo, s1
.LBB40_304:
	s_delay_alu instid0(SALU_CYCLE_1) | instskip(NEXT) | instid1(SALU_CYCLE_1)
	s_or_b32 exec_lo, exec_lo, s0
	s_mov_b32 s0, exec_lo
	v_cmpx_ne_u32_e64 v56, v50
	s_xor_b32 s0, exec_lo, s0
	s_cbranch_execz .LBB40_310
; %bb.305:
	s_mov_b32 s1, exec_lo
	v_cmpx_eq_u32_e32 14, v56
	s_cbranch_execz .LBB40_309
; %bb.306:
	v_cmp_ne_u32_e32 vcc_lo, 14, v50
	s_xor_b32 s15, s12, -1
	s_delay_alu instid0(SALU_CYCLE_1) | instskip(NEXT) | instid1(SALU_CYCLE_1)
	s_and_b32 s16, s15, vcc_lo
	s_and_saveexec_b32 s15, s16
	s_cbranch_execz .LBB40_308
; %bb.307:
	v_ashrrev_i32_e32 v51, 31, v50
	s_delay_alu instid0(VALU_DEP_1)
	v_lshl_add_u64 v[56:57], v[50:51], 2, v[36:37]
	s_clause 0x1
	global_load_b32 v51, v[56:57], off
	global_load_b32 v55, v[36:37], off offset:56
	s_wait_loadcnt 0x1
	global_store_b32 v[36:37], v51, off offset:56
	s_wait_loadcnt 0x0
	global_store_b32 v[56:57], v55, off
.LBB40_308:
	s_wait_xcnt 0x0
	s_or_b32 exec_lo, exec_lo, s15
	v_dual_mov_b32 v56, v50 :: v_dual_mov_b32 v55, v50
.LBB40_309:
	s_or_b32 exec_lo, exec_lo, s1
.LBB40_310:
	s_and_not1_saveexec_b32 s0, s0
	s_cbranch_execz .LBB40_312
; %bb.311:
	v_mov_b32_e32 v56, 14
	ds_store_2addr_b64 v52, v[22:23], v[20:21] offset0:15 offset1:16
	ds_store_2addr_b64 v52, v[34:35], v[32:33] offset0:17 offset1:18
	;; [unrolled: 1-line block ×3, first 2 shown]
.LBB40_312:
	s_or_b32 exec_lo, exec_lo, s0
	s_delay_alu instid0(SALU_CYCLE_1)
	s_mov_b32 s0, exec_lo
	s_wait_storecnt_dscnt 0x0
	s_barrier_signal -1
	s_barrier_wait -1
	v_cmpx_lt_i32_e32 14, v56
	s_cbranch_execz .LBB40_314
; %bb.313:
	v_pk_mul_f32 v[50:51], v[48:49], v[26:27] op_sel:[1,1] op_sel_hi:[0,1]
	s_delay_alu instid0(VALU_DEP_1)
	v_pk_fma_f32 v[58:59], v[48:49], v[26:27], v[50:51] op_sel_hi:[1,0,1] neg_lo:[0,0,1] neg_hi:[0,0,1]
	v_pk_fma_f32 v[60:61], v[48:49], v[26:27], v[50:51] op_sel_hi:[1,0,1]
	ds_load_2addr_b64 v[48:51], v52 offset0:15 offset1:16
	v_dual_mov_b32 v26, v58 :: v_dual_mov_b32 v27, v61
	s_wait_dscnt 0x0
	v_pk_mul_f32 v[62:63], v[48:49], v[60:61] op_sel:[0,1]
	s_delay_alu instid0(VALU_DEP_1) | instskip(SKIP_1) | instid1(VALU_DEP_1)
	v_pk_fma_f32 v[64:65], v[48:49], v[58:59], v[62:63] op_sel:[0,0,1] op_sel_hi:[1,1,0] neg_lo:[0,0,1] neg_hi:[0,0,1]
	v_pk_fma_f32 v[48:49], v[48:49], v[58:59], v[62:63] op_sel:[0,0,1] op_sel_hi:[1,0,0]
	v_mov_b32_e32 v65, v49
	v_pk_mul_f32 v[48:49], v[50:51], v[60:61] op_sel:[0,1]
	s_delay_alu instid0(VALU_DEP_1) | instskip(SKIP_1) | instid1(VALU_DEP_1)
	v_pk_fma_f32 v[62:63], v[50:51], v[58:59], v[48:49] op_sel:[0,0,1] op_sel_hi:[1,1,0] neg_lo:[0,0,1] neg_hi:[0,0,1]
	v_pk_fma_f32 v[48:49], v[50:51], v[58:59], v[48:49] op_sel:[0,0,1] op_sel_hi:[1,0,0]
	v_mov_b32_e32 v63, v49
	ds_load_2addr_b64 v[48:51], v52 offset0:17 offset1:18
	v_pk_add_f32 v[22:23], v[22:23], v[64:65] neg_lo:[0,1] neg_hi:[0,1]
	v_pk_add_f32 v[20:21], v[20:21], v[62:63] neg_lo:[0,1] neg_hi:[0,1]
	s_wait_dscnt 0x0
	v_pk_mul_f32 v[62:63], v[48:49], v[60:61] op_sel:[0,1]
	s_delay_alu instid0(VALU_DEP_1) | instskip(SKIP_2) | instid1(VALU_DEP_2)
	v_pk_fma_f32 v[64:65], v[48:49], v[58:59], v[62:63] op_sel:[0,0,1] op_sel_hi:[1,1,0] neg_lo:[0,0,1] neg_hi:[0,0,1]
	v_pk_fma_f32 v[48:49], v[48:49], v[58:59], v[62:63] op_sel:[0,0,1] op_sel_hi:[1,0,0]
	v_dual_mul_f32 v62, v51, v61 :: v_dual_mov_b32 v48, v51
	v_dual_mov_b32 v65, v49 :: v_dual_mov_b32 v49, v50
	s_delay_alu instid0(VALU_DEP_2) | instskip(SKIP_1) | instid1(VALU_DEP_3)
	v_pk_fma_f32 v[62:63], v[50:51], v[26:27], v[62:63] op_sel_hi:[1,1,0] neg_lo:[0,0,1] neg_hi:[0,0,1]
	v_mul_f32_e32 v50, v51, v58
	v_pk_add_f32 v[34:35], v[34:35], v[64:65] neg_lo:[0,1] neg_hi:[0,1]
	s_delay_alu instid0(VALU_DEP_2) | instskip(NEXT) | instid1(VALU_DEP_1)
	v_pk_fma_f32 v[48:49], v[48:49], v[26:27], v[50:51] op_sel_hi:[1,1,0]
	v_mov_b32_e32 v63, v49
	ds_load_2addr_b64 v[48:51], v52 offset0:19 offset1:20
	v_pk_add_f32 v[32:33], v[32:33], v[62:63] neg_lo:[0,1] neg_hi:[0,1]
	s_wait_dscnt 0x0
	v_pk_mul_f32 v[62:63], v[48:49], v[60:61] op_sel:[0,1]
	v_mul_f32_e32 v60, v51, v61
	s_delay_alu instid0(VALU_DEP_2) | instskip(SKIP_2) | instid1(VALU_DEP_4)
	v_pk_fma_f32 v[64:65], v[48:49], v[58:59], v[62:63] op_sel:[0,0,1] op_sel_hi:[1,1,0] neg_lo:[0,0,1] neg_hi:[0,0,1]
	v_pk_fma_f32 v[48:49], v[48:49], v[58:59], v[62:63] op_sel:[0,0,1] op_sel_hi:[1,0,0]
	v_mov_b32_e32 v48, v51
	v_pk_fma_f32 v[60:61], v[50:51], v[26:27], v[60:61] op_sel_hi:[1,1,0] neg_lo:[0,0,1] neg_hi:[0,0,1]
	s_delay_alu instid0(VALU_DEP_3) | instskip(SKIP_1) | instid1(VALU_DEP_2)
	v_dual_mov_b32 v65, v49 :: v_dual_mov_b32 v49, v50
	v_mul_f32_e32 v50, v51, v58
	v_pk_add_f32 v[30:31], v[30:31], v[64:65] neg_lo:[0,1] neg_hi:[0,1]
	s_delay_alu instid0(VALU_DEP_2) | instskip(NEXT) | instid1(VALU_DEP_1)
	v_pk_fma_f32 v[48:49], v[48:49], v[26:27], v[50:51] op_sel_hi:[1,1,0]
	v_mov_b32_e32 v61, v49
	s_delay_alu instid0(VALU_DEP_1)
	v_pk_add_f32 v[46:47], v[46:47], v[60:61] neg_lo:[0,1] neg_hi:[0,1]
.LBB40_314:
	s_or_b32 exec_lo, exec_lo, s0
	v_lshl_add_u32 v48, v56, 3, v52
	s_barrier_signal -1
	s_barrier_wait -1
	ds_store_b64 v48, v[22:23]
	s_wait_dscnt 0x0
	s_barrier_signal -1
	s_barrier_wait -1
	ds_load_b64 v[48:49], v52 offset:120
	v_mov_b32_e32 v50, 15
	s_cmp_lt_i32 s14, 17
	s_cbranch_scc1 .LBB40_317
; %bb.315:
	v_add3_u32 v51, v53, 0, 0x80
	v_mov_b32_e32 v50, 15
	s_mov_b32 s0, 16
.LBB40_316:                             ; =>This Inner Loop Header: Depth=1
	ds_load_b64 v[58:59], v51
	s_wait_dscnt 0x1
	v_cmp_gt_f32_e32 vcc_lo, 0, v48
	v_cndmask_b32_e64 v60, v48, -v48, vcc_lo
	v_cmp_gt_f32_e32 vcc_lo, 0, v49
	v_cndmask_b32_e64 v62, v49, -v49, vcc_lo
	s_wait_dscnt 0x0
	v_cmp_gt_f32_e32 vcc_lo, 0, v58
	v_cndmask_b32_e64 v61, v58, -v58, vcc_lo
	v_cmp_gt_f32_e32 vcc_lo, 0, v59
	v_cndmask_b32_e64 v63, v59, -v59, vcc_lo
	s_delay_alu instid0(VALU_DEP_1) | instskip(NEXT) | instid1(VALU_DEP_1)
	v_pk_add_f32 v[60:61], v[60:61], v[62:63]
	v_cmp_lt_f32_e32 vcc_lo, v60, v61
	v_dual_cndmask_b32 v48, v48, v58 :: v_dual_add_nc_u32 v51, 8, v51
	v_cndmask_b32_e32 v49, v49, v59, vcc_lo
	v_cndmask_b32_e64 v50, v50, s0, vcc_lo
	s_add_co_i32 s0, s0, 1
	s_delay_alu instid0(SALU_CYCLE_1)
	s_cmp_lg_u32 s14, s0
	s_cbranch_scc1 .LBB40_316
.LBB40_317:
	s_wait_dscnt 0x0
	v_cmp_eq_f32_e32 vcc_lo, 0, v48
	v_cmp_eq_f32_e64 s0, 0, v49
	s_and_b32 s0, vcc_lo, s0
	s_delay_alu instid0(SALU_CYCLE_1) | instskip(NEXT) | instid1(SALU_CYCLE_1)
	s_and_saveexec_b32 s1, s0
	s_xor_b32 s0, exec_lo, s1
; %bb.318:
	v_cmp_ne_u32_e32 vcc_lo, 0, v54
	v_cndmask_b32_e32 v54, 16, v54, vcc_lo
; %bb.319:
	s_and_not1_saveexec_b32 s0, s0
	s_cbranch_execz .LBB40_325
; %bb.320:
	v_cmp_ngt_f32_e64 s1, |v48|, |v49|
	s_and_saveexec_b32 s15, s1
	s_delay_alu instid0(SALU_CYCLE_1)
	s_xor_b32 s1, exec_lo, s15
	s_cbranch_execz .LBB40_322
; %bb.321:
	v_div_scale_f32 v51, null, v49, v49, v48
	v_div_scale_f32 v59, vcc_lo, v48, v49, v48
	s_delay_alu instid0(VALU_DEP_2) | instskip(SKIP_1) | instid1(TRANS32_DEP_1)
	v_rcp_f32_e32 v57, v51
	v_nop
	v_fma_f32 v58, -v51, v57, 1.0
	s_delay_alu instid0(VALU_DEP_1) | instskip(NEXT) | instid1(VALU_DEP_1)
	v_fmac_f32_e32 v57, v58, v57
	v_mul_f32_e32 v58, v59, v57
	s_delay_alu instid0(VALU_DEP_1) | instskip(NEXT) | instid1(VALU_DEP_1)
	v_fma_f32 v60, -v51, v58, v59
	v_fmac_f32_e32 v58, v60, v57
	s_delay_alu instid0(VALU_DEP_1) | instskip(NEXT) | instid1(VALU_DEP_1)
	v_fma_f32 v51, -v51, v58, v59
	v_div_fmas_f32 v51, v51, v57, v58
	s_delay_alu instid0(VALU_DEP_1) | instskip(NEXT) | instid1(VALU_DEP_1)
	v_div_fixup_f32 v51, v51, v49, v48
	v_fmac_f32_e32 v49, v48, v51
	s_delay_alu instid0(VALU_DEP_1) | instskip(SKIP_1) | instid1(VALU_DEP_2)
	v_div_scale_f32 v48, null, v49, v49, 1.0
	v_div_scale_f32 v59, vcc_lo, 1.0, v49, 1.0
	v_rcp_f32_e32 v57, v48
	v_nop
	s_delay_alu instid0(TRANS32_DEP_1) | instskip(NEXT) | instid1(VALU_DEP_1)
	v_fma_f32 v58, -v48, v57, 1.0
	v_fmac_f32_e32 v57, v58, v57
	s_delay_alu instid0(VALU_DEP_1) | instskip(NEXT) | instid1(VALU_DEP_1)
	v_mul_f32_e32 v58, v59, v57
	v_fma_f32 v60, -v48, v58, v59
	s_delay_alu instid0(VALU_DEP_1) | instskip(NEXT) | instid1(VALU_DEP_1)
	v_fmac_f32_e32 v58, v60, v57
	v_fma_f32 v48, -v48, v58, v59
	s_delay_alu instid0(VALU_DEP_1) | instskip(NEXT) | instid1(VALU_DEP_1)
	v_div_fmas_f32 v48, v48, v57, v58
	v_div_fixup_f32 v49, v48, v49, 1.0
	s_delay_alu instid0(VALU_DEP_1)
	v_mul_f32_e32 v48, v51, v49
	v_xor_b32_e32 v49, 0x80000000, v49
.LBB40_322:
	s_and_not1_saveexec_b32 s1, s1
	s_cbranch_execz .LBB40_324
; %bb.323:
	s_delay_alu instid0(VALU_DEP_1) | instskip(SKIP_1) | instid1(VALU_DEP_2)
	v_div_scale_f32 v51, null, v48, v48, v49
	v_div_scale_f32 v59, vcc_lo, v49, v48, v49
	v_rcp_f32_e32 v57, v51
	v_nop
	s_delay_alu instid0(TRANS32_DEP_1) | instskip(NEXT) | instid1(VALU_DEP_1)
	v_fma_f32 v58, -v51, v57, 1.0
	v_fmac_f32_e32 v57, v58, v57
	s_delay_alu instid0(VALU_DEP_1) | instskip(NEXT) | instid1(VALU_DEP_1)
	v_mul_f32_e32 v58, v59, v57
	v_fma_f32 v60, -v51, v58, v59
	s_delay_alu instid0(VALU_DEP_1) | instskip(NEXT) | instid1(VALU_DEP_1)
	v_fmac_f32_e32 v58, v60, v57
	v_fma_f32 v51, -v51, v58, v59
	s_delay_alu instid0(VALU_DEP_1) | instskip(NEXT) | instid1(VALU_DEP_1)
	v_div_fmas_f32 v51, v51, v57, v58
	v_div_fixup_f32 v51, v51, v48, v49
	s_delay_alu instid0(VALU_DEP_1) | instskip(NEXT) | instid1(VALU_DEP_1)
	v_fmac_f32_e32 v48, v49, v51
	v_div_scale_f32 v49, null, v48, v48, 1.0
	s_delay_alu instid0(VALU_DEP_1) | instskip(SKIP_1) | instid1(TRANS32_DEP_1)
	v_rcp_f32_e32 v57, v49
	v_nop
	v_fma_f32 v58, -v49, v57, 1.0
	s_delay_alu instid0(VALU_DEP_1) | instskip(SKIP_1) | instid1(VALU_DEP_1)
	v_fmac_f32_e32 v57, v58, v57
	v_div_scale_f32 v58, vcc_lo, 1.0, v48, 1.0
	v_mul_f32_e32 v59, v58, v57
	s_delay_alu instid0(VALU_DEP_1) | instskip(NEXT) | instid1(VALU_DEP_1)
	v_fma_f32 v60, -v49, v59, v58
	v_fmac_f32_e32 v59, v60, v57
	s_delay_alu instid0(VALU_DEP_1) | instskip(NEXT) | instid1(VALU_DEP_1)
	v_fma_f32 v49, -v49, v59, v58
	v_div_fmas_f32 v49, v49, v57, v59
	s_delay_alu instid0(VALU_DEP_1) | instskip(NEXT) | instid1(VALU_DEP_1)
	v_div_fixup_f32 v48, v49, v48, 1.0
	v_mul_f32_e64 v49, v51, -v48
.LBB40_324:
	s_or_b32 exec_lo, exec_lo, s1
.LBB40_325:
	s_delay_alu instid0(SALU_CYCLE_1) | instskip(NEXT) | instid1(SALU_CYCLE_1)
	s_or_b32 exec_lo, exec_lo, s0
	s_mov_b32 s0, exec_lo
	v_cmpx_ne_u32_e64 v56, v50
	s_xor_b32 s0, exec_lo, s0
	s_cbranch_execz .LBB40_331
; %bb.326:
	s_mov_b32 s1, exec_lo
	v_cmpx_eq_u32_e32 15, v56
	s_cbranch_execz .LBB40_330
; %bb.327:
	v_cmp_ne_u32_e32 vcc_lo, 15, v50
	s_xor_b32 s15, s12, -1
	s_delay_alu instid0(SALU_CYCLE_1) | instskip(NEXT) | instid1(SALU_CYCLE_1)
	s_and_b32 s16, s15, vcc_lo
	s_and_saveexec_b32 s15, s16
	s_cbranch_execz .LBB40_329
; %bb.328:
	v_ashrrev_i32_e32 v51, 31, v50
	s_delay_alu instid0(VALU_DEP_1)
	v_lshl_add_u64 v[56:57], v[50:51], 2, v[36:37]
	s_clause 0x1
	global_load_b32 v51, v[56:57], off
	global_load_b32 v55, v[36:37], off offset:60
	s_wait_loadcnt 0x1
	global_store_b32 v[36:37], v51, off offset:60
	s_wait_loadcnt 0x0
	global_store_b32 v[56:57], v55, off
.LBB40_329:
	s_wait_xcnt 0x0
	s_or_b32 exec_lo, exec_lo, s15
	v_dual_mov_b32 v56, v50 :: v_dual_mov_b32 v55, v50
.LBB40_330:
	s_or_b32 exec_lo, exec_lo, s1
.LBB40_331:
	s_and_not1_saveexec_b32 s0, s0
	s_cbranch_execz .LBB40_333
; %bb.332:
	v_dual_mov_b32 v50, v20 :: v_dual_mov_b32 v51, v21
	v_dual_mov_b32 v58, v34 :: v_dual_mov_b32 v59, v35
	;; [unrolled: 1-line block ×4, first 2 shown]
	v_mov_b32_e32 v63, v31
	ds_store_2addr_b64 v52, v[50:51], v[58:59] offset0:16 offset1:17
	ds_store_2addr_b64 v52, v[60:61], v[62:63] offset0:18 offset1:19
	ds_store_b64 v52, v[46:47] offset:160
.LBB40_333:
	s_or_b32 exec_lo, exec_lo, s0
	s_delay_alu instid0(SALU_CYCLE_1)
	s_mov_b32 s0, exec_lo
	s_wait_storecnt_dscnt 0x0
	s_barrier_signal -1
	s_barrier_wait -1
	v_cmpx_lt_i32_e32 15, v56
	s_cbranch_execz .LBB40_335
; %bb.334:
	ds_load_2addr_b64 v[58:61], v52 offset0:16 offset1:17
	ds_load_2addr_b64 v[62:65], v52 offset0:18 offset1:19
	ds_load_b64 v[50:51], v52 offset:160
	v_pk_mul_f32 v[66:67], v[48:49], v[22:23] op_sel:[1,1] op_sel_hi:[0,1]
	s_delay_alu instid0(VALU_DEP_1) | instskip(SKIP_1) | instid1(VALU_DEP_1)
	v_pk_fma_f32 v[68:69], v[48:49], v[22:23], v[66:67] op_sel_hi:[1,0,1] neg_lo:[0,0,1] neg_hi:[0,0,1]
	v_pk_fma_f32 v[48:49], v[48:49], v[22:23], v[66:67] op_sel_hi:[1,0,1]
	v_dual_mov_b32 v22, v68 :: v_dual_mov_b32 v23, v49
	s_wait_dscnt 0x2
	s_delay_alu instid0(VALU_DEP_2)
	v_pk_mul_f32 v[66:67], v[58:59], v[48:49] op_sel:[0,1]
	v_pk_mul_f32 v[70:71], v[60:61], v[48:49] op_sel:[0,1]
	s_wait_dscnt 0x1
	v_pk_mul_f32 v[72:73], v[62:63], v[48:49] op_sel:[0,1]
	v_dual_mov_b32 v74, v65 :: v_dual_mov_b32 v75, v64
	v_dual_mul_f32 v76, v65, v49 :: v_dual_mul_f32 v78, v65, v68
	s_wait_dscnt 0x0
	v_pk_mul_f32 v[48:49], v[50:51], v[48:49] op_sel:[0,1]
	v_pk_fma_f32 v[80:81], v[58:59], v[68:69], v[66:67] op_sel:[0,0,1] op_sel_hi:[1,1,0] neg_lo:[0,0,1] neg_hi:[0,0,1]
	v_pk_fma_f32 v[58:59], v[58:59], v[68:69], v[66:67] op_sel:[0,0,1] op_sel_hi:[1,0,0]
	v_pk_fma_f32 v[66:67], v[60:61], v[68:69], v[70:71] op_sel:[0,0,1] op_sel_hi:[1,1,0] neg_lo:[0,0,1] neg_hi:[0,0,1]
	v_pk_fma_f32 v[60:61], v[60:61], v[68:69], v[70:71] op_sel:[0,0,1] op_sel_hi:[1,0,0]
	;; [unrolled: 2-line block ×3, first 2 shown]
	v_pk_fma_f32 v[72:73], v[74:75], v[22:23], v[78:79] op_sel_hi:[1,1,0]
	v_pk_fma_f32 v[74:75], v[50:51], v[68:69], v[48:49] op_sel:[0,0,1] op_sel_hi:[1,1,0] neg_lo:[0,0,1] neg_hi:[0,0,1]
	v_pk_fma_f32 v[48:49], v[50:51], v[68:69], v[48:49] op_sel:[0,0,1] op_sel_hi:[1,0,0]
	v_pk_fma_f32 v[64:65], v[64:65], v[22:23], v[76:77] op_sel_hi:[1,1,0] neg_lo:[0,0,1] neg_hi:[0,0,1]
	v_dual_mov_b32 v81, v59 :: v_dual_mov_b32 v67, v61
	v_dual_mov_b32 v71, v63 :: v_dual_mov_b32 v65, v73
	s_delay_alu instid0(VALU_DEP_4) | instskip(NEXT) | instid1(VALU_DEP_3)
	v_mov_b32_e32 v75, v49
	v_pk_add_f32 v[20:21], v[20:21], v[80:81] neg_lo:[0,1] neg_hi:[0,1]
	s_delay_alu instid0(VALU_DEP_4) | instskip(NEXT) | instid1(VALU_DEP_4)
	v_pk_add_f32 v[34:35], v[34:35], v[66:67] neg_lo:[0,1] neg_hi:[0,1]
	v_pk_add_f32 v[32:33], v[32:33], v[70:71] neg_lo:[0,1] neg_hi:[0,1]
	;; [unrolled: 1-line block ×4, first 2 shown]
.LBB40_335:
	s_or_b32 exec_lo, exec_lo, s0
	v_lshl_add_u32 v48, v56, 3, v52
	s_barrier_signal -1
	s_barrier_wait -1
	ds_store_b64 v48, v[20:21]
	s_wait_dscnt 0x0
	s_barrier_signal -1
	s_barrier_wait -1
	ds_load_b64 v[48:49], v52 offset:128
	v_mov_b32_e32 v50, 16
	s_cmp_lt_i32 s14, 18
	s_cbranch_scc1 .LBB40_338
; %bb.336:
	v_add3_u32 v51, v53, 0, 0x88
	v_mov_b32_e32 v50, 16
	s_mov_b32 s0, 17
.LBB40_337:                             ; =>This Inner Loop Header: Depth=1
	ds_load_b64 v[58:59], v51
	s_wait_dscnt 0x1
	v_cmp_gt_f32_e32 vcc_lo, 0, v48
	v_cndmask_b32_e64 v60, v48, -v48, vcc_lo
	v_cmp_gt_f32_e32 vcc_lo, 0, v49
	v_cndmask_b32_e64 v62, v49, -v49, vcc_lo
	s_wait_dscnt 0x0
	v_cmp_gt_f32_e32 vcc_lo, 0, v58
	v_cndmask_b32_e64 v61, v58, -v58, vcc_lo
	v_cmp_gt_f32_e32 vcc_lo, 0, v59
	v_cndmask_b32_e64 v63, v59, -v59, vcc_lo
	s_delay_alu instid0(VALU_DEP_1) | instskip(NEXT) | instid1(VALU_DEP_1)
	v_pk_add_f32 v[60:61], v[60:61], v[62:63]
	v_cmp_lt_f32_e32 vcc_lo, v60, v61
	v_dual_cndmask_b32 v48, v48, v58 :: v_dual_add_nc_u32 v51, 8, v51
	v_cndmask_b32_e32 v49, v49, v59, vcc_lo
	v_cndmask_b32_e64 v50, v50, s0, vcc_lo
	s_add_co_i32 s0, s0, 1
	s_delay_alu instid0(SALU_CYCLE_1)
	s_cmp_lg_u32 s14, s0
	s_cbranch_scc1 .LBB40_337
.LBB40_338:
	s_wait_dscnt 0x0
	v_cmp_eq_f32_e32 vcc_lo, 0, v48
	v_cmp_eq_f32_e64 s0, 0, v49
	s_and_b32 s0, vcc_lo, s0
	s_delay_alu instid0(SALU_CYCLE_1) | instskip(NEXT) | instid1(SALU_CYCLE_1)
	s_and_saveexec_b32 s1, s0
	s_xor_b32 s0, exec_lo, s1
; %bb.339:
	v_cmp_ne_u32_e32 vcc_lo, 0, v54
	v_cndmask_b32_e32 v54, 17, v54, vcc_lo
; %bb.340:
	s_and_not1_saveexec_b32 s0, s0
	s_cbranch_execz .LBB40_346
; %bb.341:
	v_cmp_ngt_f32_e64 s1, |v48|, |v49|
	s_and_saveexec_b32 s15, s1
	s_delay_alu instid0(SALU_CYCLE_1)
	s_xor_b32 s1, exec_lo, s15
	s_cbranch_execz .LBB40_343
; %bb.342:
	v_div_scale_f32 v51, null, v49, v49, v48
	v_div_scale_f32 v59, vcc_lo, v48, v49, v48
	s_delay_alu instid0(VALU_DEP_2) | instskip(SKIP_1) | instid1(TRANS32_DEP_1)
	v_rcp_f32_e32 v57, v51
	v_nop
	v_fma_f32 v58, -v51, v57, 1.0
	s_delay_alu instid0(VALU_DEP_1) | instskip(NEXT) | instid1(VALU_DEP_1)
	v_fmac_f32_e32 v57, v58, v57
	v_mul_f32_e32 v58, v59, v57
	s_delay_alu instid0(VALU_DEP_1) | instskip(NEXT) | instid1(VALU_DEP_1)
	v_fma_f32 v60, -v51, v58, v59
	v_fmac_f32_e32 v58, v60, v57
	s_delay_alu instid0(VALU_DEP_1) | instskip(NEXT) | instid1(VALU_DEP_1)
	v_fma_f32 v51, -v51, v58, v59
	v_div_fmas_f32 v51, v51, v57, v58
	s_delay_alu instid0(VALU_DEP_1) | instskip(NEXT) | instid1(VALU_DEP_1)
	v_div_fixup_f32 v51, v51, v49, v48
	v_fmac_f32_e32 v49, v48, v51
	s_delay_alu instid0(VALU_DEP_1) | instskip(SKIP_1) | instid1(VALU_DEP_2)
	v_div_scale_f32 v48, null, v49, v49, 1.0
	v_div_scale_f32 v59, vcc_lo, 1.0, v49, 1.0
	v_rcp_f32_e32 v57, v48
	v_nop
	s_delay_alu instid0(TRANS32_DEP_1) | instskip(NEXT) | instid1(VALU_DEP_1)
	v_fma_f32 v58, -v48, v57, 1.0
	v_fmac_f32_e32 v57, v58, v57
	s_delay_alu instid0(VALU_DEP_1) | instskip(NEXT) | instid1(VALU_DEP_1)
	v_mul_f32_e32 v58, v59, v57
	v_fma_f32 v60, -v48, v58, v59
	s_delay_alu instid0(VALU_DEP_1) | instskip(NEXT) | instid1(VALU_DEP_1)
	v_fmac_f32_e32 v58, v60, v57
	v_fma_f32 v48, -v48, v58, v59
	s_delay_alu instid0(VALU_DEP_1) | instskip(NEXT) | instid1(VALU_DEP_1)
	v_div_fmas_f32 v48, v48, v57, v58
	v_div_fixup_f32 v49, v48, v49, 1.0
	s_delay_alu instid0(VALU_DEP_1)
	v_mul_f32_e32 v48, v51, v49
	v_xor_b32_e32 v49, 0x80000000, v49
.LBB40_343:
	s_and_not1_saveexec_b32 s1, s1
	s_cbranch_execz .LBB40_345
; %bb.344:
	s_delay_alu instid0(VALU_DEP_1) | instskip(SKIP_1) | instid1(VALU_DEP_2)
	v_div_scale_f32 v51, null, v48, v48, v49
	v_div_scale_f32 v59, vcc_lo, v49, v48, v49
	v_rcp_f32_e32 v57, v51
	v_nop
	s_delay_alu instid0(TRANS32_DEP_1) | instskip(NEXT) | instid1(VALU_DEP_1)
	v_fma_f32 v58, -v51, v57, 1.0
	v_fmac_f32_e32 v57, v58, v57
	s_delay_alu instid0(VALU_DEP_1) | instskip(NEXT) | instid1(VALU_DEP_1)
	v_mul_f32_e32 v58, v59, v57
	v_fma_f32 v60, -v51, v58, v59
	s_delay_alu instid0(VALU_DEP_1) | instskip(NEXT) | instid1(VALU_DEP_1)
	v_fmac_f32_e32 v58, v60, v57
	v_fma_f32 v51, -v51, v58, v59
	s_delay_alu instid0(VALU_DEP_1) | instskip(NEXT) | instid1(VALU_DEP_1)
	v_div_fmas_f32 v51, v51, v57, v58
	v_div_fixup_f32 v51, v51, v48, v49
	s_delay_alu instid0(VALU_DEP_1) | instskip(NEXT) | instid1(VALU_DEP_1)
	v_fmac_f32_e32 v48, v49, v51
	v_div_scale_f32 v49, null, v48, v48, 1.0
	s_delay_alu instid0(VALU_DEP_1) | instskip(SKIP_1) | instid1(TRANS32_DEP_1)
	v_rcp_f32_e32 v57, v49
	v_nop
	v_fma_f32 v58, -v49, v57, 1.0
	s_delay_alu instid0(VALU_DEP_1) | instskip(SKIP_1) | instid1(VALU_DEP_1)
	v_fmac_f32_e32 v57, v58, v57
	v_div_scale_f32 v58, vcc_lo, 1.0, v48, 1.0
	v_mul_f32_e32 v59, v58, v57
	s_delay_alu instid0(VALU_DEP_1) | instskip(NEXT) | instid1(VALU_DEP_1)
	v_fma_f32 v60, -v49, v59, v58
	v_fmac_f32_e32 v59, v60, v57
	s_delay_alu instid0(VALU_DEP_1) | instskip(NEXT) | instid1(VALU_DEP_1)
	v_fma_f32 v49, -v49, v59, v58
	v_div_fmas_f32 v49, v49, v57, v59
	s_delay_alu instid0(VALU_DEP_1) | instskip(NEXT) | instid1(VALU_DEP_1)
	v_div_fixup_f32 v48, v49, v48, 1.0
	v_mul_f32_e64 v49, v51, -v48
.LBB40_345:
	s_or_b32 exec_lo, exec_lo, s1
.LBB40_346:
	s_delay_alu instid0(SALU_CYCLE_1) | instskip(NEXT) | instid1(SALU_CYCLE_1)
	s_or_b32 exec_lo, exec_lo, s0
	s_mov_b32 s0, exec_lo
	v_cmpx_ne_u32_e64 v56, v50
	s_xor_b32 s0, exec_lo, s0
	s_cbranch_execz .LBB40_352
; %bb.347:
	s_mov_b32 s1, exec_lo
	v_cmpx_eq_u32_e32 16, v56
	s_cbranch_execz .LBB40_351
; %bb.348:
	v_cmp_ne_u32_e32 vcc_lo, 16, v50
	s_xor_b32 s15, s12, -1
	s_delay_alu instid0(SALU_CYCLE_1) | instskip(NEXT) | instid1(SALU_CYCLE_1)
	s_and_b32 s16, s15, vcc_lo
	s_and_saveexec_b32 s15, s16
	s_cbranch_execz .LBB40_350
; %bb.349:
	v_ashrrev_i32_e32 v51, 31, v50
	s_delay_alu instid0(VALU_DEP_1)
	v_lshl_add_u64 v[56:57], v[50:51], 2, v[36:37]
	s_clause 0x1
	global_load_b32 v51, v[56:57], off
	global_load_b32 v55, v[36:37], off offset:64
	s_wait_loadcnt 0x1
	global_store_b32 v[36:37], v51, off offset:64
	s_wait_loadcnt 0x0
	global_store_b32 v[56:57], v55, off
.LBB40_350:
	s_wait_xcnt 0x0
	s_or_b32 exec_lo, exec_lo, s15
	v_dual_mov_b32 v56, v50 :: v_dual_mov_b32 v55, v50
.LBB40_351:
	s_or_b32 exec_lo, exec_lo, s1
.LBB40_352:
	s_and_not1_saveexec_b32 s0, s0
	s_cbranch_execz .LBB40_354
; %bb.353:
	v_mov_b32_e32 v56, 16
	ds_store_2addr_b64 v52, v[34:35], v[32:33] offset0:17 offset1:18
	ds_store_2addr_b64 v52, v[30:31], v[46:47] offset0:19 offset1:20
.LBB40_354:
	s_or_b32 exec_lo, exec_lo, s0
	s_delay_alu instid0(SALU_CYCLE_1)
	s_mov_b32 s0, exec_lo
	s_wait_storecnt_dscnt 0x0
	s_barrier_signal -1
	s_barrier_wait -1
	v_cmpx_lt_i32_e32 16, v56
	s_cbranch_execz .LBB40_356
; %bb.355:
	ds_load_2addr_b64 v[58:61], v52 offset0:17 offset1:18
	ds_load_2addr_b64 v[62:65], v52 offset0:19 offset1:20
	v_pk_mul_f32 v[50:51], v[48:49], v[20:21] op_sel:[1,1] op_sel_hi:[0,1]
	s_delay_alu instid0(VALU_DEP_1) | instskip(SKIP_1) | instid1(VALU_DEP_1)
	v_pk_fma_f32 v[66:67], v[48:49], v[20:21], v[50:51] op_sel_hi:[1,0,1] neg_lo:[0,0,1] neg_hi:[0,0,1]
	v_pk_fma_f32 v[48:49], v[48:49], v[20:21], v[50:51] op_sel_hi:[1,0,1]
	v_dual_mov_b32 v20, v66 :: v_dual_mov_b32 v21, v49
	s_wait_dscnt 0x1
	s_delay_alu instid0(VALU_DEP_2)
	v_pk_mul_f32 v[50:51], v[58:59], v[48:49] op_sel:[0,1]
	s_wait_dscnt 0x0
	v_mov_b32_e32 v68, v65
	v_pk_mul_f32 v[70:71], v[60:61], v[48:49] op_sel:[0,1]
	v_pk_mul_f32 v[72:73], v[62:63], v[48:49] op_sel:[0,1]
	v_pk_fma_f32 v[74:75], v[58:59], v[66:67], v[50:51] op_sel:[0,0,1] op_sel_hi:[1,1,0] neg_lo:[0,0,1] neg_hi:[0,0,1]
	v_pk_fma_f32 v[50:51], v[58:59], v[66:67], v[50:51] op_sel:[0,0,1] op_sel_hi:[1,0,0]
	s_delay_alu instid0(VALU_DEP_1) | instskip(NEXT) | instid1(VALU_DEP_1)
	v_dual_mov_b32 v69, v64 :: v_dual_mov_b32 v75, v51
	v_pk_mul_f32 v[58:59], v[68:69], v[48:49] op_sel:[0,1]
	v_pk_fma_f32 v[68:69], v[60:61], v[66:67], v[70:71] op_sel:[0,0,1] op_sel_hi:[1,0,0]
	v_pk_fma_f32 v[60:61], v[60:61], v[66:67], v[70:71] op_sel:[0,0,1] op_sel_hi:[1,1,0] neg_lo:[0,0,1] neg_hi:[0,0,1]
	v_pk_fma_f32 v[70:71], v[62:63], v[66:67], v[72:73] op_sel:[0,0,1] op_sel_hi:[1,0,0]
	v_pk_fma_f32 v[62:63], v[62:63], v[66:67], v[72:73] op_sel:[0,0,1] op_sel_hi:[1,1,0] neg_lo:[0,0,1] neg_hi:[0,0,1]
	v_pk_fma_f32 v[50:51], v[64:65], v[66:67], v[58:59] op_sel_hi:[1,0,1]
	v_pk_fma_f32 v[58:59], v[64:65], v[66:67], v[58:59] neg_lo:[0,0,1] neg_hi:[0,0,1]
	s_delay_alu instid0(VALU_DEP_4) | instskip(SKIP_1) | instid1(VALU_DEP_4)
	v_dual_mov_b32 v61, v69 :: v_dual_mov_b32 v63, v71
	v_pk_add_f32 v[34:35], v[34:35], v[74:75] neg_lo:[0,1] neg_hi:[0,1]
	v_mov_b32_e32 v59, v51
	s_delay_alu instid0(VALU_DEP_3) | instskip(NEXT) | instid1(VALU_DEP_4)
	v_pk_add_f32 v[32:33], v[32:33], v[60:61] neg_lo:[0,1] neg_hi:[0,1]
	v_pk_add_f32 v[30:31], v[30:31], v[62:63] neg_lo:[0,1] neg_hi:[0,1]
	s_delay_alu instid0(VALU_DEP_3)
	v_pk_add_f32 v[46:47], v[46:47], v[58:59] neg_lo:[0,1] neg_hi:[0,1]
.LBB40_356:
	s_or_b32 exec_lo, exec_lo, s0
	v_lshl_add_u32 v48, v56, 3, v52
	s_barrier_signal -1
	s_barrier_wait -1
	ds_store_b64 v48, v[34:35]
	s_wait_dscnt 0x0
	s_barrier_signal -1
	s_barrier_wait -1
	ds_load_b64 v[48:49], v52 offset:136
	v_mov_b32_e32 v50, 17
	s_cmp_lt_i32 s14, 19
	s_cbranch_scc1 .LBB40_359
; %bb.357:
	v_add3_u32 v51, v53, 0, 0x90
	v_mov_b32_e32 v50, 17
	s_mov_b32 s0, 18
.LBB40_358:                             ; =>This Inner Loop Header: Depth=1
	ds_load_b64 v[58:59], v51
	s_wait_dscnt 0x1
	v_cmp_gt_f32_e32 vcc_lo, 0, v48
	v_cndmask_b32_e64 v60, v48, -v48, vcc_lo
	v_cmp_gt_f32_e32 vcc_lo, 0, v49
	v_cndmask_b32_e64 v62, v49, -v49, vcc_lo
	s_wait_dscnt 0x0
	v_cmp_gt_f32_e32 vcc_lo, 0, v58
	v_cndmask_b32_e64 v61, v58, -v58, vcc_lo
	v_cmp_gt_f32_e32 vcc_lo, 0, v59
	v_cndmask_b32_e64 v63, v59, -v59, vcc_lo
	s_delay_alu instid0(VALU_DEP_1) | instskip(NEXT) | instid1(VALU_DEP_1)
	v_pk_add_f32 v[60:61], v[60:61], v[62:63]
	v_cmp_lt_f32_e32 vcc_lo, v60, v61
	v_dual_cndmask_b32 v48, v48, v58 :: v_dual_add_nc_u32 v51, 8, v51
	v_cndmask_b32_e32 v49, v49, v59, vcc_lo
	v_cndmask_b32_e64 v50, v50, s0, vcc_lo
	s_add_co_i32 s0, s0, 1
	s_delay_alu instid0(SALU_CYCLE_1)
	s_cmp_lg_u32 s14, s0
	s_cbranch_scc1 .LBB40_358
.LBB40_359:
	s_wait_dscnt 0x0
	v_cmp_eq_f32_e32 vcc_lo, 0, v48
	v_cmp_eq_f32_e64 s0, 0, v49
	s_and_b32 s0, vcc_lo, s0
	s_delay_alu instid0(SALU_CYCLE_1) | instskip(NEXT) | instid1(SALU_CYCLE_1)
	s_and_saveexec_b32 s1, s0
	s_xor_b32 s0, exec_lo, s1
; %bb.360:
	v_cmp_ne_u32_e32 vcc_lo, 0, v54
	v_cndmask_b32_e32 v54, 18, v54, vcc_lo
; %bb.361:
	s_and_not1_saveexec_b32 s0, s0
	s_cbranch_execz .LBB40_367
; %bb.362:
	v_cmp_ngt_f32_e64 s1, |v48|, |v49|
	s_and_saveexec_b32 s15, s1
	s_delay_alu instid0(SALU_CYCLE_1)
	s_xor_b32 s1, exec_lo, s15
	s_cbranch_execz .LBB40_364
; %bb.363:
	v_div_scale_f32 v51, null, v49, v49, v48
	v_div_scale_f32 v59, vcc_lo, v48, v49, v48
	s_delay_alu instid0(VALU_DEP_2) | instskip(SKIP_1) | instid1(TRANS32_DEP_1)
	v_rcp_f32_e32 v57, v51
	v_nop
	v_fma_f32 v58, -v51, v57, 1.0
	s_delay_alu instid0(VALU_DEP_1) | instskip(NEXT) | instid1(VALU_DEP_1)
	v_fmac_f32_e32 v57, v58, v57
	v_mul_f32_e32 v58, v59, v57
	s_delay_alu instid0(VALU_DEP_1) | instskip(NEXT) | instid1(VALU_DEP_1)
	v_fma_f32 v60, -v51, v58, v59
	v_fmac_f32_e32 v58, v60, v57
	s_delay_alu instid0(VALU_DEP_1) | instskip(NEXT) | instid1(VALU_DEP_1)
	v_fma_f32 v51, -v51, v58, v59
	v_div_fmas_f32 v51, v51, v57, v58
	s_delay_alu instid0(VALU_DEP_1) | instskip(NEXT) | instid1(VALU_DEP_1)
	v_div_fixup_f32 v51, v51, v49, v48
	v_fmac_f32_e32 v49, v48, v51
	s_delay_alu instid0(VALU_DEP_1) | instskip(SKIP_1) | instid1(VALU_DEP_2)
	v_div_scale_f32 v48, null, v49, v49, 1.0
	v_div_scale_f32 v59, vcc_lo, 1.0, v49, 1.0
	v_rcp_f32_e32 v57, v48
	v_nop
	s_delay_alu instid0(TRANS32_DEP_1) | instskip(NEXT) | instid1(VALU_DEP_1)
	v_fma_f32 v58, -v48, v57, 1.0
	v_fmac_f32_e32 v57, v58, v57
	s_delay_alu instid0(VALU_DEP_1) | instskip(NEXT) | instid1(VALU_DEP_1)
	v_mul_f32_e32 v58, v59, v57
	v_fma_f32 v60, -v48, v58, v59
	s_delay_alu instid0(VALU_DEP_1) | instskip(NEXT) | instid1(VALU_DEP_1)
	v_fmac_f32_e32 v58, v60, v57
	v_fma_f32 v48, -v48, v58, v59
	s_delay_alu instid0(VALU_DEP_1) | instskip(NEXT) | instid1(VALU_DEP_1)
	v_div_fmas_f32 v48, v48, v57, v58
	v_div_fixup_f32 v49, v48, v49, 1.0
	s_delay_alu instid0(VALU_DEP_1)
	v_mul_f32_e32 v48, v51, v49
	v_xor_b32_e32 v49, 0x80000000, v49
.LBB40_364:
	s_and_not1_saveexec_b32 s1, s1
	s_cbranch_execz .LBB40_366
; %bb.365:
	s_delay_alu instid0(VALU_DEP_1) | instskip(SKIP_1) | instid1(VALU_DEP_2)
	v_div_scale_f32 v51, null, v48, v48, v49
	v_div_scale_f32 v59, vcc_lo, v49, v48, v49
	v_rcp_f32_e32 v57, v51
	v_nop
	s_delay_alu instid0(TRANS32_DEP_1) | instskip(NEXT) | instid1(VALU_DEP_1)
	v_fma_f32 v58, -v51, v57, 1.0
	v_fmac_f32_e32 v57, v58, v57
	s_delay_alu instid0(VALU_DEP_1) | instskip(NEXT) | instid1(VALU_DEP_1)
	v_mul_f32_e32 v58, v59, v57
	v_fma_f32 v60, -v51, v58, v59
	s_delay_alu instid0(VALU_DEP_1) | instskip(NEXT) | instid1(VALU_DEP_1)
	v_fmac_f32_e32 v58, v60, v57
	v_fma_f32 v51, -v51, v58, v59
	s_delay_alu instid0(VALU_DEP_1) | instskip(NEXT) | instid1(VALU_DEP_1)
	v_div_fmas_f32 v51, v51, v57, v58
	v_div_fixup_f32 v51, v51, v48, v49
	s_delay_alu instid0(VALU_DEP_1) | instskip(NEXT) | instid1(VALU_DEP_1)
	v_fmac_f32_e32 v48, v49, v51
	v_div_scale_f32 v49, null, v48, v48, 1.0
	s_delay_alu instid0(VALU_DEP_1) | instskip(SKIP_1) | instid1(TRANS32_DEP_1)
	v_rcp_f32_e32 v57, v49
	v_nop
	v_fma_f32 v58, -v49, v57, 1.0
	s_delay_alu instid0(VALU_DEP_1) | instskip(SKIP_1) | instid1(VALU_DEP_1)
	v_fmac_f32_e32 v57, v58, v57
	v_div_scale_f32 v58, vcc_lo, 1.0, v48, 1.0
	v_mul_f32_e32 v59, v58, v57
	s_delay_alu instid0(VALU_DEP_1) | instskip(NEXT) | instid1(VALU_DEP_1)
	v_fma_f32 v60, -v49, v59, v58
	v_fmac_f32_e32 v59, v60, v57
	s_delay_alu instid0(VALU_DEP_1) | instskip(NEXT) | instid1(VALU_DEP_1)
	v_fma_f32 v49, -v49, v59, v58
	v_div_fmas_f32 v49, v49, v57, v59
	s_delay_alu instid0(VALU_DEP_1) | instskip(NEXT) | instid1(VALU_DEP_1)
	v_div_fixup_f32 v48, v49, v48, 1.0
	v_mul_f32_e64 v49, v51, -v48
.LBB40_366:
	s_or_b32 exec_lo, exec_lo, s1
.LBB40_367:
	s_delay_alu instid0(SALU_CYCLE_1) | instskip(NEXT) | instid1(SALU_CYCLE_1)
	s_or_b32 exec_lo, exec_lo, s0
	s_mov_b32 s0, exec_lo
	v_cmpx_ne_u32_e64 v56, v50
	s_xor_b32 s0, exec_lo, s0
	s_cbranch_execz .LBB40_373
; %bb.368:
	s_mov_b32 s1, exec_lo
	v_cmpx_eq_u32_e32 17, v56
	s_cbranch_execz .LBB40_372
; %bb.369:
	v_cmp_ne_u32_e32 vcc_lo, 17, v50
	s_xor_b32 s15, s12, -1
	s_delay_alu instid0(SALU_CYCLE_1) | instskip(NEXT) | instid1(SALU_CYCLE_1)
	s_and_b32 s16, s15, vcc_lo
	s_and_saveexec_b32 s15, s16
	s_cbranch_execz .LBB40_371
; %bb.370:
	v_ashrrev_i32_e32 v51, 31, v50
	s_delay_alu instid0(VALU_DEP_1)
	v_lshl_add_u64 v[56:57], v[50:51], 2, v[36:37]
	s_clause 0x1
	global_load_b32 v51, v[56:57], off
	global_load_b32 v55, v[36:37], off offset:68
	s_wait_loadcnt 0x1
	global_store_b32 v[36:37], v51, off offset:68
	s_wait_loadcnt 0x0
	global_store_b32 v[56:57], v55, off
.LBB40_371:
	s_wait_xcnt 0x0
	s_or_b32 exec_lo, exec_lo, s15
	v_dual_mov_b32 v56, v50 :: v_dual_mov_b32 v55, v50
.LBB40_372:
	s_or_b32 exec_lo, exec_lo, s1
.LBB40_373:
	s_and_not1_saveexec_b32 s0, s0
	s_cbranch_execz .LBB40_375
; %bb.374:
	v_dual_mov_b32 v50, v32 :: v_dual_mov_b32 v51, v33
	v_dual_mov_b32 v58, v30 :: v_dual_mov_b32 v59, v31
	v_mov_b32_e32 v56, 17
	ds_store_2addr_b64 v52, v[50:51], v[58:59] offset0:18 offset1:19
	ds_store_b64 v52, v[46:47] offset:160
.LBB40_375:
	s_or_b32 exec_lo, exec_lo, s0
	s_delay_alu instid0(SALU_CYCLE_1)
	s_mov_b32 s0, exec_lo
	s_wait_storecnt_dscnt 0x0
	s_barrier_signal -1
	s_barrier_wait -1
	v_cmpx_lt_i32_e32 17, v56
	s_cbranch_execz .LBB40_377
; %bb.376:
	ds_load_2addr_b64 v[58:61], v52 offset0:18 offset1:19
	ds_load_b64 v[50:51], v52 offset:160
	v_pk_mul_f32 v[62:63], v[48:49], v[34:35] op_sel:[1,1] op_sel_hi:[0,1]
	s_delay_alu instid0(VALU_DEP_1) | instskip(SKIP_2) | instid1(VALU_DEP_2)
	v_pk_fma_f32 v[64:65], v[48:49], v[34:35], v[62:63] op_sel_hi:[1,0,1]
	v_pk_fma_f32 v[34:35], v[48:49], v[34:35], v[62:63] op_sel_hi:[1,0,1] neg_lo:[0,0,1] neg_hi:[0,0,1]
	s_wait_dscnt 0x1
	v_pk_mul_f32 v[48:49], v[58:59], v[64:65] op_sel:[0,1]
	v_pk_mul_f32 v[62:63], v[60:61], v[64:65] op_sel:[0,1]
	s_wait_dscnt 0x0
	v_pk_mul_f32 v[66:67], v[50:51], v[64:65] op_sel:[1,1] op_sel_hi:[0,1]
	s_delay_alu instid0(VALU_DEP_3) | instskip(SKIP_2) | instid1(VALU_DEP_4)
	v_pk_fma_f32 v[68:69], v[58:59], v[34:35], v[48:49] op_sel:[0,0,1] op_sel_hi:[1,1,0] neg_lo:[0,0,1] neg_hi:[0,0,1]
	v_pk_fma_f32 v[48:49], v[58:59], v[34:35], v[48:49] op_sel:[0,0,1] op_sel_hi:[1,0,0]
	v_pk_fma_f32 v[58:59], v[60:61], v[34:35], v[62:63] op_sel:[0,0,1] op_sel_hi:[1,0,0]
	v_pk_fma_f32 v[70:71], v[50:51], v[34:35], v[66:67] op_sel_hi:[1,0,1]
	v_pk_fma_f32 v[60:61], v[60:61], v[34:35], v[62:63] op_sel:[0,0,1] op_sel_hi:[1,1,0] neg_lo:[0,0,1] neg_hi:[0,0,1]
	v_pk_fma_f32 v[50:51], v[50:51], v[34:35], v[66:67] neg_lo:[0,0,1] neg_hi:[0,0,1]
	s_delay_alu instid0(VALU_DEP_4) | instskip(NEXT) | instid1(VALU_DEP_4)
	v_dual_mov_b32 v69, v49 :: v_dual_mov_b32 v61, v59
	v_dual_mov_b32 v51, v71 :: v_dual_mov_b32 v35, v65
	s_delay_alu instid0(VALU_DEP_2) | instskip(NEXT) | instid1(VALU_DEP_3)
	v_pk_add_f32 v[32:33], v[32:33], v[68:69] neg_lo:[0,1] neg_hi:[0,1]
	v_pk_add_f32 v[30:31], v[30:31], v[60:61] neg_lo:[0,1] neg_hi:[0,1]
	s_delay_alu instid0(VALU_DEP_3)
	v_pk_add_f32 v[46:47], v[46:47], v[50:51] neg_lo:[0,1] neg_hi:[0,1]
.LBB40_377:
	s_or_b32 exec_lo, exec_lo, s0
	v_lshl_add_u32 v48, v56, 3, v52
	s_barrier_signal -1
	s_barrier_wait -1
	ds_store_b64 v48, v[32:33]
	s_wait_dscnt 0x0
	s_barrier_signal -1
	s_barrier_wait -1
	ds_load_b64 v[48:49], v52 offset:144
	v_mov_b32_e32 v50, 18
	s_cmp_lt_i32 s14, 20
	s_cbranch_scc1 .LBB40_380
; %bb.378:
	v_add3_u32 v51, v53, 0, 0x98
	v_mov_b32_e32 v50, 18
	s_mov_b32 s0, 19
.LBB40_379:                             ; =>This Inner Loop Header: Depth=1
	ds_load_b64 v[58:59], v51
	s_wait_dscnt 0x1
	v_cmp_gt_f32_e32 vcc_lo, 0, v48
	v_cndmask_b32_e64 v60, v48, -v48, vcc_lo
	v_cmp_gt_f32_e32 vcc_lo, 0, v49
	v_cndmask_b32_e64 v62, v49, -v49, vcc_lo
	s_wait_dscnt 0x0
	v_cmp_gt_f32_e32 vcc_lo, 0, v58
	v_cndmask_b32_e64 v61, v58, -v58, vcc_lo
	v_cmp_gt_f32_e32 vcc_lo, 0, v59
	v_cndmask_b32_e64 v63, v59, -v59, vcc_lo
	s_delay_alu instid0(VALU_DEP_1) | instskip(NEXT) | instid1(VALU_DEP_1)
	v_pk_add_f32 v[60:61], v[60:61], v[62:63]
	v_cmp_lt_f32_e32 vcc_lo, v60, v61
	v_dual_cndmask_b32 v48, v48, v58 :: v_dual_add_nc_u32 v51, 8, v51
	v_cndmask_b32_e32 v49, v49, v59, vcc_lo
	v_cndmask_b32_e64 v50, v50, s0, vcc_lo
	s_add_co_i32 s0, s0, 1
	s_delay_alu instid0(SALU_CYCLE_1)
	s_cmp_lg_u32 s14, s0
	s_cbranch_scc1 .LBB40_379
.LBB40_380:
	s_wait_dscnt 0x0
	v_cmp_eq_f32_e32 vcc_lo, 0, v48
	v_cmp_eq_f32_e64 s0, 0, v49
	s_and_b32 s0, vcc_lo, s0
	s_delay_alu instid0(SALU_CYCLE_1) | instskip(NEXT) | instid1(SALU_CYCLE_1)
	s_and_saveexec_b32 s1, s0
	s_xor_b32 s0, exec_lo, s1
; %bb.381:
	v_cmp_ne_u32_e32 vcc_lo, 0, v54
	v_cndmask_b32_e32 v54, 19, v54, vcc_lo
; %bb.382:
	s_and_not1_saveexec_b32 s0, s0
	s_cbranch_execz .LBB40_388
; %bb.383:
	v_cmp_ngt_f32_e64 s1, |v48|, |v49|
	s_and_saveexec_b32 s15, s1
	s_delay_alu instid0(SALU_CYCLE_1)
	s_xor_b32 s1, exec_lo, s15
	s_cbranch_execz .LBB40_385
; %bb.384:
	v_div_scale_f32 v51, null, v49, v49, v48
	v_div_scale_f32 v59, vcc_lo, v48, v49, v48
	s_delay_alu instid0(VALU_DEP_2) | instskip(SKIP_1) | instid1(TRANS32_DEP_1)
	v_rcp_f32_e32 v57, v51
	v_nop
	v_fma_f32 v58, -v51, v57, 1.0
	s_delay_alu instid0(VALU_DEP_1) | instskip(NEXT) | instid1(VALU_DEP_1)
	v_fmac_f32_e32 v57, v58, v57
	v_mul_f32_e32 v58, v59, v57
	s_delay_alu instid0(VALU_DEP_1) | instskip(NEXT) | instid1(VALU_DEP_1)
	v_fma_f32 v60, -v51, v58, v59
	v_fmac_f32_e32 v58, v60, v57
	s_delay_alu instid0(VALU_DEP_1) | instskip(NEXT) | instid1(VALU_DEP_1)
	v_fma_f32 v51, -v51, v58, v59
	v_div_fmas_f32 v51, v51, v57, v58
	s_delay_alu instid0(VALU_DEP_1) | instskip(NEXT) | instid1(VALU_DEP_1)
	v_div_fixup_f32 v51, v51, v49, v48
	v_fmac_f32_e32 v49, v48, v51
	s_delay_alu instid0(VALU_DEP_1) | instskip(SKIP_1) | instid1(VALU_DEP_2)
	v_div_scale_f32 v48, null, v49, v49, 1.0
	v_div_scale_f32 v59, vcc_lo, 1.0, v49, 1.0
	v_rcp_f32_e32 v57, v48
	v_nop
	s_delay_alu instid0(TRANS32_DEP_1) | instskip(NEXT) | instid1(VALU_DEP_1)
	v_fma_f32 v58, -v48, v57, 1.0
	v_fmac_f32_e32 v57, v58, v57
	s_delay_alu instid0(VALU_DEP_1) | instskip(NEXT) | instid1(VALU_DEP_1)
	v_mul_f32_e32 v58, v59, v57
	v_fma_f32 v60, -v48, v58, v59
	s_delay_alu instid0(VALU_DEP_1) | instskip(NEXT) | instid1(VALU_DEP_1)
	v_fmac_f32_e32 v58, v60, v57
	v_fma_f32 v48, -v48, v58, v59
	s_delay_alu instid0(VALU_DEP_1) | instskip(NEXT) | instid1(VALU_DEP_1)
	v_div_fmas_f32 v48, v48, v57, v58
	v_div_fixup_f32 v49, v48, v49, 1.0
	s_delay_alu instid0(VALU_DEP_1)
	v_mul_f32_e32 v48, v51, v49
	v_xor_b32_e32 v49, 0x80000000, v49
.LBB40_385:
	s_and_not1_saveexec_b32 s1, s1
	s_cbranch_execz .LBB40_387
; %bb.386:
	s_delay_alu instid0(VALU_DEP_1) | instskip(SKIP_1) | instid1(VALU_DEP_2)
	v_div_scale_f32 v51, null, v48, v48, v49
	v_div_scale_f32 v59, vcc_lo, v49, v48, v49
	v_rcp_f32_e32 v57, v51
	v_nop
	s_delay_alu instid0(TRANS32_DEP_1) | instskip(NEXT) | instid1(VALU_DEP_1)
	v_fma_f32 v58, -v51, v57, 1.0
	v_fmac_f32_e32 v57, v58, v57
	s_delay_alu instid0(VALU_DEP_1) | instskip(NEXT) | instid1(VALU_DEP_1)
	v_mul_f32_e32 v58, v59, v57
	v_fma_f32 v60, -v51, v58, v59
	s_delay_alu instid0(VALU_DEP_1) | instskip(NEXT) | instid1(VALU_DEP_1)
	v_fmac_f32_e32 v58, v60, v57
	v_fma_f32 v51, -v51, v58, v59
	s_delay_alu instid0(VALU_DEP_1) | instskip(NEXT) | instid1(VALU_DEP_1)
	v_div_fmas_f32 v51, v51, v57, v58
	v_div_fixup_f32 v51, v51, v48, v49
	s_delay_alu instid0(VALU_DEP_1) | instskip(NEXT) | instid1(VALU_DEP_1)
	v_fmac_f32_e32 v48, v49, v51
	v_div_scale_f32 v49, null, v48, v48, 1.0
	s_delay_alu instid0(VALU_DEP_1) | instskip(SKIP_1) | instid1(TRANS32_DEP_1)
	v_rcp_f32_e32 v57, v49
	v_nop
	v_fma_f32 v58, -v49, v57, 1.0
	s_delay_alu instid0(VALU_DEP_1) | instskip(SKIP_1) | instid1(VALU_DEP_1)
	v_fmac_f32_e32 v57, v58, v57
	v_div_scale_f32 v58, vcc_lo, 1.0, v48, 1.0
	v_mul_f32_e32 v59, v58, v57
	s_delay_alu instid0(VALU_DEP_1) | instskip(NEXT) | instid1(VALU_DEP_1)
	v_fma_f32 v60, -v49, v59, v58
	v_fmac_f32_e32 v59, v60, v57
	s_delay_alu instid0(VALU_DEP_1) | instskip(NEXT) | instid1(VALU_DEP_1)
	v_fma_f32 v49, -v49, v59, v58
	v_div_fmas_f32 v49, v49, v57, v59
	s_delay_alu instid0(VALU_DEP_1) | instskip(NEXT) | instid1(VALU_DEP_1)
	v_div_fixup_f32 v48, v49, v48, 1.0
	v_mul_f32_e64 v49, v51, -v48
.LBB40_387:
	s_or_b32 exec_lo, exec_lo, s1
.LBB40_388:
	s_delay_alu instid0(SALU_CYCLE_1) | instskip(NEXT) | instid1(SALU_CYCLE_1)
	s_or_b32 exec_lo, exec_lo, s0
	s_mov_b32 s0, exec_lo
	v_cmpx_ne_u32_e64 v56, v50
	s_xor_b32 s0, exec_lo, s0
	s_cbranch_execz .LBB40_394
; %bb.389:
	s_mov_b32 s1, exec_lo
	v_cmpx_eq_u32_e32 18, v56
	s_cbranch_execz .LBB40_393
; %bb.390:
	v_cmp_ne_u32_e32 vcc_lo, 18, v50
	s_xor_b32 s15, s12, -1
	s_delay_alu instid0(SALU_CYCLE_1) | instskip(NEXT) | instid1(SALU_CYCLE_1)
	s_and_b32 s16, s15, vcc_lo
	s_and_saveexec_b32 s15, s16
	s_cbranch_execz .LBB40_392
; %bb.391:
	v_ashrrev_i32_e32 v51, 31, v50
	s_delay_alu instid0(VALU_DEP_1)
	v_lshl_add_u64 v[56:57], v[50:51], 2, v[36:37]
	s_clause 0x1
	global_load_b32 v51, v[56:57], off
	global_load_b32 v55, v[36:37], off offset:72
	s_wait_loadcnt 0x1
	global_store_b32 v[36:37], v51, off offset:72
	s_wait_loadcnt 0x0
	global_store_b32 v[56:57], v55, off
.LBB40_392:
	s_wait_xcnt 0x0
	s_or_b32 exec_lo, exec_lo, s15
	v_dual_mov_b32 v56, v50 :: v_dual_mov_b32 v55, v50
.LBB40_393:
	s_or_b32 exec_lo, exec_lo, s1
.LBB40_394:
	s_and_not1_saveexec_b32 s0, s0
; %bb.395:
	v_mov_b32_e32 v56, 18
	ds_store_2addr_b64 v52, v[30:31], v[46:47] offset0:19 offset1:20
; %bb.396:
	s_or_b32 exec_lo, exec_lo, s0
	s_delay_alu instid0(SALU_CYCLE_1)
	s_mov_b32 s0, exec_lo
	s_wait_storecnt_dscnt 0x0
	s_barrier_signal -1
	s_barrier_wait -1
	v_cmpx_lt_i32_e32 18, v56
	s_cbranch_execz .LBB40_398
; %bb.397:
	ds_load_2addr_b64 v[58:61], v52 offset0:19 offset1:20
	v_pk_mul_f32 v[50:51], v[48:49], v[32:33] op_sel:[1,1] op_sel_hi:[0,1]
	s_delay_alu instid0(VALU_DEP_1) | instskip(SKIP_3) | instid1(VALU_DEP_3)
	v_pk_fma_f32 v[62:63], v[48:49], v[32:33], v[50:51] op_sel_hi:[1,0,1]
	v_pk_fma_f32 v[32:33], v[48:49], v[32:33], v[50:51] op_sel_hi:[1,0,1] neg_lo:[0,0,1] neg_hi:[0,0,1]
	s_wait_dscnt 0x0
	v_dual_mov_b32 v64, v61 :: v_dual_mov_b32 v65, v60
	v_pk_mul_f32 v[48:49], v[58:59], v[62:63] op_sel:[0,1]
	s_delay_alu instid0(VALU_DEP_2) | instskip(NEXT) | instid1(VALU_DEP_2)
	v_pk_mul_f32 v[50:51], v[64:65], v[62:63] op_sel:[0,1]
	v_pk_fma_f32 v[64:65], v[58:59], v[32:33], v[48:49] op_sel:[0,0,1] op_sel_hi:[1,0,0]
	v_pk_fma_f32 v[48:49], v[58:59], v[32:33], v[48:49] op_sel:[0,0,1] op_sel_hi:[1,1,0] neg_lo:[0,0,1] neg_hi:[0,0,1]
	s_delay_alu instid0(VALU_DEP_3) | instskip(SKIP_1) | instid1(VALU_DEP_4)
	v_pk_fma_f32 v[66:67], v[60:61], v[32:33], v[50:51] op_sel_hi:[1,0,1]
	v_pk_fma_f32 v[50:51], v[60:61], v[32:33], v[50:51] neg_lo:[0,0,1] neg_hi:[0,0,1]
	v_dual_mov_b32 v49, v65 :: v_dual_mov_b32 v33, v63
	s_delay_alu instid0(VALU_DEP_3) | instskip(NEXT) | instid1(VALU_DEP_2)
	v_mov_b32_e32 v51, v67
	v_pk_add_f32 v[30:31], v[30:31], v[48:49] neg_lo:[0,1] neg_hi:[0,1]
	s_delay_alu instid0(VALU_DEP_2)
	v_pk_add_f32 v[46:47], v[46:47], v[50:51] neg_lo:[0,1] neg_hi:[0,1]
.LBB40_398:
	s_or_b32 exec_lo, exec_lo, s0
	v_lshl_add_u32 v48, v56, 3, v52
	s_barrier_signal -1
	s_barrier_wait -1
	ds_store_b64 v48, v[30:31]
	s_wait_dscnt 0x0
	s_barrier_signal -1
	s_barrier_wait -1
	ds_load_b64 v[48:49], v52 offset:152
	v_mov_b32_e32 v50, 19
	s_cmp_lt_i32 s14, 21
	s_cbranch_scc1 .LBB40_401
; %bb.399:
	v_add3_u32 v51, v53, 0, 0xa0
	v_mov_b32_e32 v50, 19
	s_mov_b32 s0, 20
.LBB40_400:                             ; =>This Inner Loop Header: Depth=1
	ds_load_b64 v[58:59], v51
	s_wait_dscnt 0x1
	v_cmp_gt_f32_e32 vcc_lo, 0, v48
	v_cndmask_b32_e64 v60, v48, -v48, vcc_lo
	v_cmp_gt_f32_e32 vcc_lo, 0, v49
	v_cndmask_b32_e64 v62, v49, -v49, vcc_lo
	s_wait_dscnt 0x0
	v_cmp_gt_f32_e32 vcc_lo, 0, v58
	v_cndmask_b32_e64 v61, v58, -v58, vcc_lo
	v_cmp_gt_f32_e32 vcc_lo, 0, v59
	v_cndmask_b32_e64 v63, v59, -v59, vcc_lo
	s_delay_alu instid0(VALU_DEP_1) | instskip(NEXT) | instid1(VALU_DEP_1)
	v_pk_add_f32 v[60:61], v[60:61], v[62:63]
	v_cmp_lt_f32_e32 vcc_lo, v60, v61
	v_dual_cndmask_b32 v48, v48, v58 :: v_dual_add_nc_u32 v51, 8, v51
	v_cndmask_b32_e32 v49, v49, v59, vcc_lo
	v_cndmask_b32_e64 v50, v50, s0, vcc_lo
	s_add_co_i32 s0, s0, 1
	s_delay_alu instid0(SALU_CYCLE_1)
	s_cmp_lg_u32 s14, s0
	s_cbranch_scc1 .LBB40_400
.LBB40_401:
	s_wait_dscnt 0x0
	v_cmp_eq_f32_e32 vcc_lo, 0, v48
	v_cmp_eq_f32_e64 s0, 0, v49
	s_and_b32 s0, vcc_lo, s0
	s_delay_alu instid0(SALU_CYCLE_1) | instskip(NEXT) | instid1(SALU_CYCLE_1)
	s_and_saveexec_b32 s1, s0
	s_xor_b32 s0, exec_lo, s1
; %bb.402:
	v_cmp_ne_u32_e32 vcc_lo, 0, v54
	v_cndmask_b32_e32 v54, 20, v54, vcc_lo
; %bb.403:
	s_and_not1_saveexec_b32 s0, s0
	s_cbranch_execz .LBB40_409
; %bb.404:
	v_cmp_ngt_f32_e64 s1, |v48|, |v49|
	s_and_saveexec_b32 s15, s1
	s_delay_alu instid0(SALU_CYCLE_1)
	s_xor_b32 s1, exec_lo, s15
	s_cbranch_execz .LBB40_406
; %bb.405:
	v_div_scale_f32 v51, null, v49, v49, v48
	v_div_scale_f32 v59, vcc_lo, v48, v49, v48
	s_delay_alu instid0(VALU_DEP_2) | instskip(SKIP_1) | instid1(TRANS32_DEP_1)
	v_rcp_f32_e32 v57, v51
	v_nop
	v_fma_f32 v58, -v51, v57, 1.0
	s_delay_alu instid0(VALU_DEP_1) | instskip(NEXT) | instid1(VALU_DEP_1)
	v_fmac_f32_e32 v57, v58, v57
	v_mul_f32_e32 v58, v59, v57
	s_delay_alu instid0(VALU_DEP_1) | instskip(NEXT) | instid1(VALU_DEP_1)
	v_fma_f32 v60, -v51, v58, v59
	v_fmac_f32_e32 v58, v60, v57
	s_delay_alu instid0(VALU_DEP_1) | instskip(NEXT) | instid1(VALU_DEP_1)
	v_fma_f32 v51, -v51, v58, v59
	v_div_fmas_f32 v51, v51, v57, v58
	s_delay_alu instid0(VALU_DEP_1) | instskip(NEXT) | instid1(VALU_DEP_1)
	v_div_fixup_f32 v51, v51, v49, v48
	v_fmac_f32_e32 v49, v48, v51
	s_delay_alu instid0(VALU_DEP_1) | instskip(SKIP_1) | instid1(VALU_DEP_2)
	v_div_scale_f32 v48, null, v49, v49, 1.0
	v_div_scale_f32 v59, vcc_lo, 1.0, v49, 1.0
	v_rcp_f32_e32 v57, v48
	v_nop
	s_delay_alu instid0(TRANS32_DEP_1) | instskip(NEXT) | instid1(VALU_DEP_1)
	v_fma_f32 v58, -v48, v57, 1.0
	v_fmac_f32_e32 v57, v58, v57
	s_delay_alu instid0(VALU_DEP_1) | instskip(NEXT) | instid1(VALU_DEP_1)
	v_mul_f32_e32 v58, v59, v57
	v_fma_f32 v60, -v48, v58, v59
	s_delay_alu instid0(VALU_DEP_1) | instskip(NEXT) | instid1(VALU_DEP_1)
	v_fmac_f32_e32 v58, v60, v57
	v_fma_f32 v48, -v48, v58, v59
	s_delay_alu instid0(VALU_DEP_1) | instskip(NEXT) | instid1(VALU_DEP_1)
	v_div_fmas_f32 v48, v48, v57, v58
	v_div_fixup_f32 v49, v48, v49, 1.0
	s_delay_alu instid0(VALU_DEP_1)
	v_mul_f32_e32 v48, v51, v49
	v_xor_b32_e32 v49, 0x80000000, v49
.LBB40_406:
	s_and_not1_saveexec_b32 s1, s1
	s_cbranch_execz .LBB40_408
; %bb.407:
	s_delay_alu instid0(VALU_DEP_1) | instskip(SKIP_1) | instid1(VALU_DEP_2)
	v_div_scale_f32 v51, null, v48, v48, v49
	v_div_scale_f32 v59, vcc_lo, v49, v48, v49
	v_rcp_f32_e32 v57, v51
	v_nop
	s_delay_alu instid0(TRANS32_DEP_1) | instskip(NEXT) | instid1(VALU_DEP_1)
	v_fma_f32 v58, -v51, v57, 1.0
	v_fmac_f32_e32 v57, v58, v57
	s_delay_alu instid0(VALU_DEP_1) | instskip(NEXT) | instid1(VALU_DEP_1)
	v_mul_f32_e32 v58, v59, v57
	v_fma_f32 v60, -v51, v58, v59
	s_delay_alu instid0(VALU_DEP_1) | instskip(NEXT) | instid1(VALU_DEP_1)
	v_fmac_f32_e32 v58, v60, v57
	v_fma_f32 v51, -v51, v58, v59
	s_delay_alu instid0(VALU_DEP_1) | instskip(NEXT) | instid1(VALU_DEP_1)
	v_div_fmas_f32 v51, v51, v57, v58
	v_div_fixup_f32 v51, v51, v48, v49
	s_delay_alu instid0(VALU_DEP_1) | instskip(NEXT) | instid1(VALU_DEP_1)
	v_fmac_f32_e32 v48, v49, v51
	v_div_scale_f32 v49, null, v48, v48, 1.0
	s_delay_alu instid0(VALU_DEP_1) | instskip(SKIP_1) | instid1(TRANS32_DEP_1)
	v_rcp_f32_e32 v57, v49
	v_nop
	v_fma_f32 v58, -v49, v57, 1.0
	s_delay_alu instid0(VALU_DEP_1) | instskip(SKIP_1) | instid1(VALU_DEP_1)
	v_fmac_f32_e32 v57, v58, v57
	v_div_scale_f32 v58, vcc_lo, 1.0, v48, 1.0
	v_mul_f32_e32 v59, v58, v57
	s_delay_alu instid0(VALU_DEP_1) | instskip(NEXT) | instid1(VALU_DEP_1)
	v_fma_f32 v60, -v49, v59, v58
	v_fmac_f32_e32 v59, v60, v57
	s_delay_alu instid0(VALU_DEP_1) | instskip(NEXT) | instid1(VALU_DEP_1)
	v_fma_f32 v49, -v49, v59, v58
	v_div_fmas_f32 v49, v49, v57, v59
	s_delay_alu instid0(VALU_DEP_1) | instskip(NEXT) | instid1(VALU_DEP_1)
	v_div_fixup_f32 v48, v49, v48, 1.0
	v_mul_f32_e64 v49, v51, -v48
.LBB40_408:
	s_or_b32 exec_lo, exec_lo, s1
.LBB40_409:
	s_delay_alu instid0(SALU_CYCLE_1) | instskip(NEXT) | instid1(SALU_CYCLE_1)
	s_or_b32 exec_lo, exec_lo, s0
	s_mov_b32 s0, exec_lo
	v_cmpx_ne_u32_e64 v56, v50
	s_xor_b32 s0, exec_lo, s0
	s_cbranch_execz .LBB40_415
; %bb.410:
	s_mov_b32 s1, exec_lo
	v_cmpx_eq_u32_e32 19, v56
	s_cbranch_execz .LBB40_414
; %bb.411:
	v_cmp_ne_u32_e32 vcc_lo, 19, v50
	s_xor_b32 s15, s12, -1
	s_delay_alu instid0(SALU_CYCLE_1) | instskip(NEXT) | instid1(SALU_CYCLE_1)
	s_and_b32 s16, s15, vcc_lo
	s_and_saveexec_b32 s15, s16
	s_cbranch_execz .LBB40_413
; %bb.412:
	v_ashrrev_i32_e32 v51, 31, v50
	s_delay_alu instid0(VALU_DEP_1)
	v_lshl_add_u64 v[56:57], v[50:51], 2, v[36:37]
	s_clause 0x1
	global_load_b32 v51, v[56:57], off
	global_load_b32 v55, v[36:37], off offset:76
	s_wait_loadcnt 0x1
	global_store_b32 v[36:37], v51, off offset:76
	s_wait_loadcnt 0x0
	global_store_b32 v[56:57], v55, off
.LBB40_413:
	s_wait_xcnt 0x0
	s_or_b32 exec_lo, exec_lo, s15
	v_dual_mov_b32 v56, v50 :: v_dual_mov_b32 v55, v50
.LBB40_414:
	s_or_b32 exec_lo, exec_lo, s1
.LBB40_415:
	s_and_not1_saveexec_b32 s0, s0
; %bb.416:
	v_mov_b32_e32 v56, 19
	ds_store_b64 v52, v[46:47] offset:160
; %bb.417:
	s_or_b32 exec_lo, exec_lo, s0
	s_delay_alu instid0(SALU_CYCLE_1)
	s_mov_b32 s0, exec_lo
	s_wait_storecnt_dscnt 0x0
	s_barrier_signal -1
	s_barrier_wait -1
	v_cmpx_lt_i32_e32 19, v56
	s_cbranch_execz .LBB40_419
; %bb.418:
	ds_load_b64 v[50:51], v52 offset:160
	v_pk_mul_f32 v[58:59], v[48:49], v[30:31] op_sel:[1,1] op_sel_hi:[0,1]
	s_delay_alu instid0(VALU_DEP_1) | instskip(SKIP_2) | instid1(VALU_DEP_2)
	v_pk_fma_f32 v[60:61], v[48:49], v[30:31], v[58:59] op_sel_hi:[1,0,1]
	v_pk_fma_f32 v[30:31], v[48:49], v[30:31], v[58:59] op_sel_hi:[1,0,1] neg_lo:[0,0,1] neg_hi:[0,0,1]
	s_wait_dscnt 0x0
	v_pk_mul_f32 v[48:49], v[50:51], v[60:61] op_sel:[1,1] op_sel_hi:[0,1]
	s_delay_alu instid0(VALU_DEP_1) | instskip(SKIP_1) | instid1(VALU_DEP_2)
	v_pk_fma_f32 v[58:59], v[50:51], v[30:31], v[48:49] op_sel_hi:[1,0,1]
	v_pk_fma_f32 v[48:49], v[50:51], v[30:31], v[48:49] neg_lo:[0,0,1] neg_hi:[0,0,1]
	v_dual_mov_b32 v31, v61 :: v_dual_mov_b32 v49, v59
	s_delay_alu instid0(VALU_DEP_1)
	v_pk_add_f32 v[46:47], v[46:47], v[48:49] neg_lo:[0,1] neg_hi:[0,1]
.LBB40_419:
	s_or_b32 exec_lo, exec_lo, s0
	v_lshl_add_u32 v48, v56, 3, v52
	s_barrier_signal -1
	s_barrier_wait -1
	ds_store_b64 v48, v[46:47]
	s_wait_dscnt 0x0
	s_barrier_signal -1
	s_barrier_wait -1
	ds_load_b64 v[48:49], v52 offset:160
	v_mov_b32_e32 v50, 20
	s_cmp_lt_i32 s14, 22
	s_cbranch_scc1 .LBB40_422
; %bb.420:
	v_add3_u32 v51, v53, 0, 0xa8
	v_mov_b32_e32 v50, 20
	s_mov_b32 s0, 21
.LBB40_421:                             ; =>This Inner Loop Header: Depth=1
	ds_load_b64 v[52:53], v51
	s_wait_dscnt 0x1
	v_cmp_gt_f32_e32 vcc_lo, 0, v48
	v_cndmask_b32_e64 v58, v48, -v48, vcc_lo
	v_cmp_gt_f32_e32 vcc_lo, 0, v49
	v_cndmask_b32_e64 v60, v49, -v49, vcc_lo
	s_wait_dscnt 0x0
	v_cmp_gt_f32_e32 vcc_lo, 0, v52
	v_cndmask_b32_e64 v59, v52, -v52, vcc_lo
	v_cmp_gt_f32_e32 vcc_lo, 0, v53
	v_cndmask_b32_e64 v61, v53, -v53, vcc_lo
	s_delay_alu instid0(VALU_DEP_1) | instskip(NEXT) | instid1(VALU_DEP_1)
	v_pk_add_f32 v[58:59], v[58:59], v[60:61]
	v_cmp_lt_f32_e32 vcc_lo, v58, v59
	v_dual_add_nc_u32 v51, 8, v51 :: v_dual_cndmask_b32 v49, v49, v53, vcc_lo
	v_cndmask_b32_e32 v48, v48, v52, vcc_lo
	v_cndmask_b32_e64 v50, v50, s0, vcc_lo
	s_add_co_i32 s0, s0, 1
	s_delay_alu instid0(SALU_CYCLE_1)
	s_cmp_lg_u32 s14, s0
	s_cbranch_scc1 .LBB40_421
.LBB40_422:
	s_wait_dscnt 0x0
	v_cmp_eq_f32_e32 vcc_lo, 0, v48
	v_cmp_eq_f32_e64 s0, 0, v49
	s_and_b32 s0, vcc_lo, s0
	s_delay_alu instid0(SALU_CYCLE_1) | instskip(NEXT) | instid1(SALU_CYCLE_1)
	s_and_saveexec_b32 s1, s0
	s_xor_b32 s0, exec_lo, s1
; %bb.423:
	v_cmp_ne_u32_e32 vcc_lo, 0, v54
	v_cndmask_b32_e32 v54, 21, v54, vcc_lo
; %bb.424:
	s_and_not1_saveexec_b32 s0, s0
	s_cbranch_execz .LBB40_430
; %bb.425:
	v_cmp_ngt_f32_e64 s1, |v48|, |v49|
	s_and_saveexec_b32 s14, s1
	s_delay_alu instid0(SALU_CYCLE_1)
	s_xor_b32 s1, exec_lo, s14
	s_cbranch_execz .LBB40_427
; %bb.426:
	v_div_scale_f32 v51, null, v49, v49, v48
	v_div_scale_f32 v57, vcc_lo, v48, v49, v48
	s_delay_alu instid0(VALU_DEP_2) | instskip(SKIP_1) | instid1(TRANS32_DEP_1)
	v_rcp_f32_e32 v52, v51
	v_nop
	v_fma_f32 v53, -v51, v52, 1.0
	s_delay_alu instid0(VALU_DEP_1) | instskip(NEXT) | instid1(VALU_DEP_1)
	v_fmac_f32_e32 v52, v53, v52
	v_mul_f32_e32 v53, v57, v52
	s_delay_alu instid0(VALU_DEP_1) | instskip(NEXT) | instid1(VALU_DEP_1)
	v_fma_f32 v58, -v51, v53, v57
	v_fmac_f32_e32 v53, v58, v52
	s_delay_alu instid0(VALU_DEP_1) | instskip(NEXT) | instid1(VALU_DEP_1)
	v_fma_f32 v51, -v51, v53, v57
	v_div_fmas_f32 v51, v51, v52, v53
	s_delay_alu instid0(VALU_DEP_1) | instskip(NEXT) | instid1(VALU_DEP_1)
	v_div_fixup_f32 v51, v51, v49, v48
	v_fmac_f32_e32 v49, v48, v51
	s_delay_alu instid0(VALU_DEP_1) | instskip(SKIP_1) | instid1(VALU_DEP_2)
	v_div_scale_f32 v48, null, v49, v49, 1.0
	v_div_scale_f32 v57, vcc_lo, 1.0, v49, 1.0
	v_rcp_f32_e32 v52, v48
	v_nop
	s_delay_alu instid0(TRANS32_DEP_1) | instskip(NEXT) | instid1(VALU_DEP_1)
	v_fma_f32 v53, -v48, v52, 1.0
	v_fmac_f32_e32 v52, v53, v52
	s_delay_alu instid0(VALU_DEP_1) | instskip(NEXT) | instid1(VALU_DEP_1)
	v_mul_f32_e32 v53, v57, v52
	v_fma_f32 v58, -v48, v53, v57
	s_delay_alu instid0(VALU_DEP_1) | instskip(NEXT) | instid1(VALU_DEP_1)
	v_fmac_f32_e32 v53, v58, v52
	v_fma_f32 v48, -v48, v53, v57
	s_delay_alu instid0(VALU_DEP_1) | instskip(NEXT) | instid1(VALU_DEP_1)
	v_div_fmas_f32 v48, v48, v52, v53
	v_div_fixup_f32 v49, v48, v49, 1.0
	s_delay_alu instid0(VALU_DEP_1)
	v_mul_f32_e32 v48, v51, v49
	v_xor_b32_e32 v49, 0x80000000, v49
.LBB40_427:
	s_and_not1_saveexec_b32 s1, s1
	s_cbranch_execz .LBB40_429
; %bb.428:
	s_delay_alu instid0(VALU_DEP_1) | instskip(SKIP_1) | instid1(VALU_DEP_2)
	v_div_scale_f32 v51, null, v48, v48, v49
	v_div_scale_f32 v57, vcc_lo, v49, v48, v49
	v_rcp_f32_e32 v52, v51
	v_nop
	s_delay_alu instid0(TRANS32_DEP_1) | instskip(NEXT) | instid1(VALU_DEP_1)
	v_fma_f32 v53, -v51, v52, 1.0
	v_fmac_f32_e32 v52, v53, v52
	s_delay_alu instid0(VALU_DEP_1) | instskip(NEXT) | instid1(VALU_DEP_1)
	v_mul_f32_e32 v53, v57, v52
	v_fma_f32 v58, -v51, v53, v57
	s_delay_alu instid0(VALU_DEP_1) | instskip(NEXT) | instid1(VALU_DEP_1)
	v_fmac_f32_e32 v53, v58, v52
	v_fma_f32 v51, -v51, v53, v57
	s_delay_alu instid0(VALU_DEP_1) | instskip(NEXT) | instid1(VALU_DEP_1)
	v_div_fmas_f32 v51, v51, v52, v53
	v_div_fixup_f32 v51, v51, v48, v49
	s_delay_alu instid0(VALU_DEP_1) | instskip(NEXT) | instid1(VALU_DEP_1)
	v_fmac_f32_e32 v48, v49, v51
	v_div_scale_f32 v49, null, v48, v48, 1.0
	s_delay_alu instid0(VALU_DEP_1) | instskip(SKIP_1) | instid1(TRANS32_DEP_1)
	v_rcp_f32_e32 v52, v49
	v_nop
	v_fma_f32 v53, -v49, v52, 1.0
	s_delay_alu instid0(VALU_DEP_1) | instskip(SKIP_1) | instid1(VALU_DEP_1)
	v_fmac_f32_e32 v52, v53, v52
	v_div_scale_f32 v53, vcc_lo, 1.0, v48, 1.0
	v_mul_f32_e32 v57, v53, v52
	s_delay_alu instid0(VALU_DEP_1) | instskip(NEXT) | instid1(VALU_DEP_1)
	v_fma_f32 v58, -v49, v57, v53
	v_fmac_f32_e32 v57, v58, v52
	s_delay_alu instid0(VALU_DEP_1) | instskip(NEXT) | instid1(VALU_DEP_1)
	v_fma_f32 v49, -v49, v57, v53
	v_div_fmas_f32 v49, v49, v52, v57
	s_delay_alu instid0(VALU_DEP_1) | instskip(NEXT) | instid1(VALU_DEP_1)
	v_div_fixup_f32 v48, v49, v48, 1.0
	v_mul_f32_e64 v49, v51, -v48
.LBB40_429:
	s_or_b32 exec_lo, exec_lo, s1
.LBB40_430:
	s_delay_alu instid0(SALU_CYCLE_1)
	s_or_b32 exec_lo, exec_lo, s0
	v_mov_b32_e32 v52, 20
	s_mov_b32 s0, exec_lo
	v_cmpx_ne_u32_e64 v56, v50
	s_cbranch_execz .LBB40_436
; %bb.431:
	s_mov_b32 s1, exec_lo
	v_cmpx_eq_u32_e32 20, v56
	s_cbranch_execz .LBB40_435
; %bb.432:
	v_cmp_ne_u32_e32 vcc_lo, 20, v50
	s_xor_b32 s12, s12, -1
	s_delay_alu instid0(SALU_CYCLE_1) | instskip(NEXT) | instid1(SALU_CYCLE_1)
	s_and_b32 s14, s12, vcc_lo
	s_and_saveexec_b32 s12, s14
	s_cbranch_execz .LBB40_434
; %bb.433:
	v_ashrrev_i32_e32 v51, 31, v50
	s_delay_alu instid0(VALU_DEP_1)
	v_lshl_add_u64 v[52:53], v[50:51], 2, v[36:37]
	s_clause 0x1
	global_load_b32 v51, v[52:53], off
	global_load_b32 v55, v[36:37], off offset:80
	s_wait_loadcnt 0x1
	global_store_b32 v[36:37], v51, off offset:80
	s_wait_loadcnt 0x0
	global_store_b32 v[52:53], v55, off
.LBB40_434:
	s_wait_xcnt 0x0
	s_or_b32 exec_lo, exec_lo, s12
	v_dual_mov_b32 v56, v50 :: v_dual_mov_b32 v55, v50
.LBB40_435:
	s_or_b32 exec_lo, exec_lo, s1
	s_delay_alu instid0(VALU_DEP_1)
	v_mov_b32_e32 v52, v56
.LBB40_436:
	s_or_b32 exec_lo, exec_lo, s0
	s_delay_alu instid0(VALU_DEP_1)
	v_ashrrev_i32_e32 v53, 31, v52
	s_mov_b32 s0, exec_lo
	s_wait_storecnt 0x0
	s_barrier_signal -1
	s_barrier_wait -1
	s_barrier_signal -1
	s_barrier_wait -1
	v_cmpx_gt_i32_e32 21, v52
	s_cbranch_execz .LBB40_438
; %bb.437:
	v_mul_u64_e32 v[36:37], s[10:11], v[2:3]
	v_add3_u32 v50, v55, s13, 1
	s_delay_alu instid0(VALU_DEP_2) | instskip(NEXT) | instid1(VALU_DEP_1)
	v_lshl_add_u64 v[36:37], v[36:37], 2, s[6:7]
	v_lshl_add_u64 v[36:37], s[8:9], 2, v[36:37]
	s_delay_alu instid0(VALU_DEP_1)
	v_lshl_add_u64 v[36:37], v[52:53], 2, v[36:37]
	global_store_b32 v[36:37], v50, off
.LBB40_438:
	s_wait_xcnt 0x0
	s_or_b32 exec_lo, exec_lo, s0
	s_delay_alu instid0(SALU_CYCLE_1)
	s_mov_b32 s1, exec_lo
	v_cmpx_eq_u32_e32 0, v52
	s_cbranch_execz .LBB40_441
; %bb.439:
	s_wait_kmcnt 0x0
	v_lshl_add_u64 v[2:3], v[2:3], 2, s[4:5]
	v_cmp_ne_u32_e64 s0, 0, v54
	global_load_b32 v36, v[2:3], off
	s_wait_loadcnt 0x0
	v_cmp_eq_u32_e32 vcc_lo, 0, v36
	s_and_b32 s0, vcc_lo, s0
	s_wait_xcnt 0x0
	s_and_b32 exec_lo, exec_lo, s0
	s_cbranch_execz .LBB40_441
; %bb.440:
	v_add_nc_u32_e32 v36, s13, v54
	global_store_b32 v[2:3], v36, off
.LBB40_441:
	s_wait_xcnt 0x0
	s_or_b32 exec_lo, exec_lo, s1
	v_add3_u32 v2, s2, s2, v52
	v_pk_mul_f32 v[58:59], v[48:49], v[46:47] op_sel:[1,1] op_sel_hi:[0,1]
	v_cmp_lt_i32_e32 vcc_lo, 20, v52
	v_lshl_add_u64 v[52:53], v[52:53], 3, v[0:1]
	s_delay_alu instid0(VALU_DEP_4) | instskip(NEXT) | instid1(VALU_DEP_4)
	v_add_nc_u32_e32 v36, s2, v2
	v_pk_fma_f32 v[62:63], v[48:49], v[46:47], v[58:59] op_sel_hi:[1,0,1]
	v_pk_fma_f32 v[48:49], v[48:49], v[46:47], v[58:59] neg_lo:[0,0,1] neg_hi:[0,0,1]
	s_delay_alu instid0(VALU_DEP_3) | instskip(NEXT) | instid1(VALU_DEP_3)
	v_dual_ashrrev_i32 v3, 31, v2 :: v_dual_add_nc_u32 v50, s2, v36
	v_cndmask_b32_e32 v47, v47, v63, vcc_lo
	s_delay_alu instid0(VALU_DEP_2) | instskip(NEXT) | instid1(VALU_DEP_3)
	v_lshl_add_u64 v[2:3], v[2:3], 3, v[0:1]
	v_add_nc_u32_e32 v54, s2, v50
	s_delay_alu instid0(VALU_DEP_1) | instskip(NEXT) | instid1(VALU_DEP_1)
	v_add_nc_u32_e32 v56, s2, v54
	v_dual_ashrrev_i32 v51, 31, v50 :: v_dual_add_nc_u32 v60, s2, v56
	v_ashrrev_i32_e32 v57, 31, v56
	s_delay_alu instid0(VALU_DEP_2) | instskip(SKIP_1) | instid1(VALU_DEP_2)
	v_add_nc_u32_e32 v58, s2, v60
	v_dual_ashrrev_i32 v37, 31, v36 :: v_dual_ashrrev_i32 v55, 31, v54
	v_dual_add_nc_u32 v62, s2, v58 :: v_dual_cndmask_b32 v46, v46, v48, vcc_lo
	v_lshl_add_u64 v[48:49], s[2:3], 3, v[52:53]
	s_delay_alu instid0(VALU_DEP_3)
	v_lshl_add_u64 v[36:37], v[36:37], 3, v[0:1]
	s_clause 0x3
	global_store_b64 v[52:53], v[44:45], off
	global_store_b64 v[48:49], v[40:41], off
	;; [unrolled: 1-line block ×4, first 2 shown]
	v_add_nc_u32_e32 v64, s2, v62
	s_wait_xcnt 0x2
	v_lshl_add_u64 v[40:41], v[54:55], 3, v[0:1]
	s_wait_xcnt 0x1
	v_lshl_add_u64 v[42:43], v[56:57], 3, v[0:1]
	s_wait_xcnt 0x0
	v_lshl_add_u64 v[38:39], v[50:51], 3, v[0:1]
	v_dual_ashrrev_i32 v59, 31, v58 :: v_dual_add_nc_u32 v2, s2, v64
	v_ashrrev_i32_e32 v61, 31, v60
	v_dual_ashrrev_i32 v65, 31, v64 :: v_dual_ashrrev_i32 v63, 31, v62
	s_delay_alu instid0(VALU_DEP_3) | instskip(NEXT) | instid1(VALU_DEP_3)
	v_add_nc_u32_e32 v36, s2, v2
	v_lshl_add_u64 v[44:45], v[60:61], 3, v[0:1]
	s_clause 0x3
	global_store_b64 v[38:39], v[18:19], off
	global_store_b64 v[40:41], v[14:15], off
	;; [unrolled: 1-line block ×4, first 2 shown]
	v_dual_ashrrev_i32 v3, 31, v2 :: v_dual_add_nc_u32 v48, s2, v36
	s_wait_xcnt 0x1
	v_lshl_add_u64 v[16:17], v[58:59], 3, v[0:1]
	v_lshl_add_u64 v[38:39], v[64:65], 3, v[0:1]
	;; [unrolled: 1-line block ×4, first 2 shown]
	s_wait_xcnt 0x0
	v_add_nc_u32_e32 v12, s2, v48
	s_clause 0x3
	global_store_b64 v[16:17], v[10:11], off
	global_store_b64 v[18:19], v[6:7], off
	;; [unrolled: 1-line block ×4, first 2 shown]
	v_ashrrev_i32_e32 v37, 31, v36
	v_dual_add_nc_u32 v14, s2, v12 :: v_dual_ashrrev_i32 v13, 31, v12
	s_wait_xcnt 0x2
	s_delay_alu instid0(VALU_DEP_2) | instskip(NEXT) | instid1(VALU_DEP_2)
	v_lshl_add_u64 v[6:7], v[36:37], 3, v[0:1]
	v_dual_add_nc_u32 v40, s2, v14 :: v_dual_ashrrev_i32 v15, 31, v14
	s_delay_alu instid0(VALU_DEP_3) | instskip(SKIP_1) | instid1(VALU_DEP_2)
	v_lshl_add_u64 v[10:11], v[12:13], 3, v[0:1]
	s_wait_xcnt 0x0
	v_add_nc_u32_e32 v2, s2, v40
	v_ashrrev_i32_e32 v49, 31, v48
	v_lshl_add_u64 v[12:13], v[14:15], 3, v[0:1]
	s_delay_alu instid0(VALU_DEP_3) | instskip(NEXT) | instid1(VALU_DEP_3)
	v_dual_ashrrev_i32 v41, 31, v40 :: v_dual_add_nc_u32 v4, s2, v2
	v_lshl_add_u64 v[8:9], v[48:49], 3, v[0:1]
	s_clause 0x3
	global_store_b64 v[6:7], v[28:29], off
	global_store_b64 v[8:9], v[24:25], off
	;; [unrolled: 1-line block ×4, first 2 shown]
	v_dual_add_nc_u32 v14, s2, v4 :: v_dual_ashrrev_i32 v3, 31, v2
	v_ashrrev_i32_e32 v5, 31, v4
	s_wait_xcnt 0x2
	v_lshl_add_u64 v[8:9], v[40:41], 3, v[0:1]
	s_delay_alu instid0(VALU_DEP_3) | instskip(SKIP_2) | instid1(VALU_DEP_3)
	v_dual_add_nc_u32 v6, s2, v14 :: v_dual_ashrrev_i32 v15, 31, v14
	v_lshl_add_u64 v[2:3], v[2:3], 3, v[0:1]
	v_lshl_add_u64 v[4:5], v[4:5], 3, v[0:1]
	v_ashrrev_i32_e32 v7, 31, v6
	s_wait_xcnt 0x1
	v_lshl_add_u64 v[10:11], v[14:15], 3, v[0:1]
	s_delay_alu instid0(VALU_DEP_2)
	v_lshl_add_u64 v[0:1], v[6:7], 3, v[0:1]
	s_clause 0x4
	global_store_b64 v[8:9], v[20:21], off
	global_store_b64 v[2:3], v[34:35], off
	;; [unrolled: 1-line block ×5, first 2 shown]
.LBB40_442:
	s_sendmsg sendmsg(MSG_DEALLOC_VGPRS)
	s_endpgm
	.section	.rodata,"a",@progbits
	.p2align	6, 0x0
	.amdhsa_kernel _ZN9rocsolver6v33100L18getf2_small_kernelILi21E19rocblas_complex_numIfEiiPS3_EEvT1_T3_lS5_lPS5_llPT2_S5_S5_S7_l
		.amdhsa_group_segment_fixed_size 0
		.amdhsa_private_segment_fixed_size 0
		.amdhsa_kernarg_size 352
		.amdhsa_user_sgpr_count 2
		.amdhsa_user_sgpr_dispatch_ptr 0
		.amdhsa_user_sgpr_queue_ptr 0
		.amdhsa_user_sgpr_kernarg_segment_ptr 1
		.amdhsa_user_sgpr_dispatch_id 0
		.amdhsa_user_sgpr_kernarg_preload_length 0
		.amdhsa_user_sgpr_kernarg_preload_offset 0
		.amdhsa_user_sgpr_private_segment_size 0
		.amdhsa_wavefront_size32 1
		.amdhsa_uses_dynamic_stack 0
		.amdhsa_enable_private_segment 0
		.amdhsa_system_sgpr_workgroup_id_x 1
		.amdhsa_system_sgpr_workgroup_id_y 1
		.amdhsa_system_sgpr_workgroup_id_z 0
		.amdhsa_system_sgpr_workgroup_info 0
		.amdhsa_system_vgpr_workitem_id 1
		.amdhsa_next_free_vgpr 82
		.amdhsa_next_free_sgpr 20
		.amdhsa_named_barrier_count 0
		.amdhsa_reserve_vcc 1
		.amdhsa_float_round_mode_32 0
		.amdhsa_float_round_mode_16_64 0
		.amdhsa_float_denorm_mode_32 3
		.amdhsa_float_denorm_mode_16_64 3
		.amdhsa_fp16_overflow 0
		.amdhsa_memory_ordered 1
		.amdhsa_forward_progress 1
		.amdhsa_inst_pref_size 255
		.amdhsa_round_robin_scheduling 0
		.amdhsa_exception_fp_ieee_invalid_op 0
		.amdhsa_exception_fp_denorm_src 0
		.amdhsa_exception_fp_ieee_div_zero 0
		.amdhsa_exception_fp_ieee_overflow 0
		.amdhsa_exception_fp_ieee_underflow 0
		.amdhsa_exception_fp_ieee_inexact 0
		.amdhsa_exception_int_div_zero 0
	.end_amdhsa_kernel
	.section	.text._ZN9rocsolver6v33100L18getf2_small_kernelILi21E19rocblas_complex_numIfEiiPS3_EEvT1_T3_lS5_lPS5_llPT2_S5_S5_S7_l,"axG",@progbits,_ZN9rocsolver6v33100L18getf2_small_kernelILi21E19rocblas_complex_numIfEiiPS3_EEvT1_T3_lS5_lPS5_llPT2_S5_S5_S7_l,comdat
.Lfunc_end40:
	.size	_ZN9rocsolver6v33100L18getf2_small_kernelILi21E19rocblas_complex_numIfEiiPS3_EEvT1_T3_lS5_lPS5_llPT2_S5_S5_S7_l, .Lfunc_end40-_ZN9rocsolver6v33100L18getf2_small_kernelILi21E19rocblas_complex_numIfEiiPS3_EEvT1_T3_lS5_lPS5_llPT2_S5_S5_S7_l
                                        ; -- End function
	.set _ZN9rocsolver6v33100L18getf2_small_kernelILi21E19rocblas_complex_numIfEiiPS3_EEvT1_T3_lS5_lPS5_llPT2_S5_S5_S7_l.num_vgpr, 82
	.set _ZN9rocsolver6v33100L18getf2_small_kernelILi21E19rocblas_complex_numIfEiiPS3_EEvT1_T3_lS5_lPS5_llPT2_S5_S5_S7_l.num_agpr, 0
	.set _ZN9rocsolver6v33100L18getf2_small_kernelILi21E19rocblas_complex_numIfEiiPS3_EEvT1_T3_lS5_lPS5_llPT2_S5_S5_S7_l.numbered_sgpr, 20
	.set _ZN9rocsolver6v33100L18getf2_small_kernelILi21E19rocblas_complex_numIfEiiPS3_EEvT1_T3_lS5_lPS5_llPT2_S5_S5_S7_l.num_named_barrier, 0
	.set _ZN9rocsolver6v33100L18getf2_small_kernelILi21E19rocblas_complex_numIfEiiPS3_EEvT1_T3_lS5_lPS5_llPT2_S5_S5_S7_l.private_seg_size, 0
	.set _ZN9rocsolver6v33100L18getf2_small_kernelILi21E19rocblas_complex_numIfEiiPS3_EEvT1_T3_lS5_lPS5_llPT2_S5_S5_S7_l.uses_vcc, 1
	.set _ZN9rocsolver6v33100L18getf2_small_kernelILi21E19rocblas_complex_numIfEiiPS3_EEvT1_T3_lS5_lPS5_llPT2_S5_S5_S7_l.uses_flat_scratch, 0
	.set _ZN9rocsolver6v33100L18getf2_small_kernelILi21E19rocblas_complex_numIfEiiPS3_EEvT1_T3_lS5_lPS5_llPT2_S5_S5_S7_l.has_dyn_sized_stack, 0
	.set _ZN9rocsolver6v33100L18getf2_small_kernelILi21E19rocblas_complex_numIfEiiPS3_EEvT1_T3_lS5_lPS5_llPT2_S5_S5_S7_l.has_recursion, 0
	.set _ZN9rocsolver6v33100L18getf2_small_kernelILi21E19rocblas_complex_numIfEiiPS3_EEvT1_T3_lS5_lPS5_llPT2_S5_S5_S7_l.has_indirect_call, 0
	.section	.AMDGPU.csdata,"",@progbits
; Kernel info:
; codeLenInByte = 33648
; TotalNumSgprs: 22
; NumVgprs: 82
; ScratchSize: 0
; MemoryBound: 0
; FloatMode: 240
; IeeeMode: 1
; LDSByteSize: 0 bytes/workgroup (compile time only)
; SGPRBlocks: 0
; VGPRBlocks: 5
; NumSGPRsForWavesPerEU: 22
; NumVGPRsForWavesPerEU: 82
; NamedBarCnt: 0
; Occupancy: 10
; WaveLimiterHint : 0
; COMPUTE_PGM_RSRC2:SCRATCH_EN: 0
; COMPUTE_PGM_RSRC2:USER_SGPR: 2
; COMPUTE_PGM_RSRC2:TRAP_HANDLER: 0
; COMPUTE_PGM_RSRC2:TGID_X_EN: 1
; COMPUTE_PGM_RSRC2:TGID_Y_EN: 1
; COMPUTE_PGM_RSRC2:TGID_Z_EN: 0
; COMPUTE_PGM_RSRC2:TIDIG_COMP_CNT: 1
	.section	.text._ZN9rocsolver6v33100L23getf2_npvt_small_kernelILi21E19rocblas_complex_numIfEiiPS3_EEvT1_T3_lS5_lPT2_S5_S5_,"axG",@progbits,_ZN9rocsolver6v33100L23getf2_npvt_small_kernelILi21E19rocblas_complex_numIfEiiPS3_EEvT1_T3_lS5_lPT2_S5_S5_,comdat
	.globl	_ZN9rocsolver6v33100L23getf2_npvt_small_kernelILi21E19rocblas_complex_numIfEiiPS3_EEvT1_T3_lS5_lPT2_S5_S5_ ; -- Begin function _ZN9rocsolver6v33100L23getf2_npvt_small_kernelILi21E19rocblas_complex_numIfEiiPS3_EEvT1_T3_lS5_lPT2_S5_S5_
	.p2align	8
	.type	_ZN9rocsolver6v33100L23getf2_npvt_small_kernelILi21E19rocblas_complex_numIfEiiPS3_EEvT1_T3_lS5_lPT2_S5_S5_,@function
_ZN9rocsolver6v33100L23getf2_npvt_small_kernelILi21E19rocblas_complex_numIfEiiPS3_EEvT1_T3_lS5_lPT2_S5_S5_: ; @_ZN9rocsolver6v33100L23getf2_npvt_small_kernelILi21E19rocblas_complex_numIfEiiPS3_EEvT1_T3_lS5_lPT2_S5_S5_
; %bb.0:
	s_clause 0x1
	s_load_u16 s14, s[0:1], 0x46
	s_load_b64 s[2:3], s[0:1], 0x30
	s_bfe_u32 s4, ttmp6, 0x40010
	s_bfe_u32 s5, ttmp6, 0x40004
	s_add_co_i32 s4, s4, 1
	s_getreg_b32 s6, hwreg(HW_REG_IB_STS2, 6, 4)
	s_mul_i32 s4, ttmp7, s4
	v_bfe_u32 v86, v0, 10, 10
	s_add_co_i32 s5, s5, s4
	s_cmp_eq_u32 s6, 0
	s_cselect_b32 s4, ttmp7, s5
	s_wait_kmcnt 0x0
	v_mad_u32 v2, s4, s14, v86
	s_delay_alu instid0(VALU_DEP_1)
	v_cmp_gt_i32_e32 vcc_lo, s2, v2
	s_and_saveexec_b32 s2, vcc_lo
	s_cbranch_execz .LBB41_192
; %bb.1:
	s_clause 0x1
	s_load_b32 s12, s[0:1], 0x18
	s_load_b128 s[4:7], s[0:1], 0x20
	v_and_b32_e32 v128, 0x3ff, v0
	s_load_b128 s[8:11], s[0:1], 0x8
	v_dual_mov_b32 v13, 0 :: v_dual_lshlrev_b32 v87, 3, v86
	s_mulk_i32 s14, 0xa8
	s_delay_alu instid0(VALU_DEP_2)
	v_lshlrev_b32_e32 v12, 3, v128
	v_mad_u32_u24 v130, 0xa8, v86, 0
	s_wait_xcnt 0x0
	v_cmp_ne_u32_e64 s1, 0, v128
	v_add3_u32 v129, 0, s14, v87
	v_cmp_eq_u32_e64 s0, 0, v128
	v_ashrrev_i32_e32 v3, 31, v2
	s_wait_kmcnt 0x0
	v_add3_u32 v0, s12, s12, v128
	s_ashr_i32 s13, s12, 31
	s_delay_alu instid0(VALU_DEP_2) | instskip(NEXT) | instid1(VALU_DEP_2)
	v_mul_u64_e32 v[8:9], s[4:5], v[2:3]
	v_dual_add_nc_u32 v4, s12, v0 :: v_dual_ashrrev_i32 v1, 31, v0
	s_delay_alu instid0(VALU_DEP_1) | instskip(NEXT) | instid1(VALU_DEP_1)
	v_add_nc_u32_e32 v6, s12, v4
	v_add_nc_u32_e32 v10, s12, v6
	s_delay_alu instid0(VALU_DEP_1) | instskip(SKIP_1) | instid1(VALU_DEP_2)
	v_dual_add_nc_u32 v14, s12, v10 :: v_dual_ashrrev_i32 v5, 31, v4
	v_ashrrev_i32_e32 v7, 31, v6
	v_add_nc_u32_e32 v16, s12, v14
	s_delay_alu instid0(VALU_DEP_1) | instskip(SKIP_1) | instid1(VALU_DEP_2)
	v_dual_add_nc_u32 v20, s12, v16 :: v_dual_ashrrev_i32 v11, 31, v10
	v_lshl_add_u64 v[8:9], v[8:9], 3, s[8:9]
	v_dual_add_nc_u32 v22, s12, v20 :: v_dual_ashrrev_i32 v15, 31, v14
	v_ashrrev_i32_e32 v17, 31, v16
	v_ashrrev_i32_e32 v21, 31, v20
	s_delay_alu instid0(VALU_DEP_4) | instskip(NEXT) | instid1(VALU_DEP_4)
	v_lshl_add_u64 v[54:55], s[10:11], 3, v[8:9]
	v_add_nc_u32_e32 v32, s12, v22
	s_delay_alu instid0(VALU_DEP_2) | instskip(NEXT) | instid1(VALU_DEP_2)
	v_add_nc_u64_e32 v[18:19], v[54:55], v[12:13]
	v_add_nc_u32_e32 v34, s12, v32
	v_lshl_add_u64 v[12:13], v[6:7], 3, v[54:55]
	v_lshl_add_u64 v[6:7], v[14:15], 3, v[54:55]
	;; [unrolled: 1-line block ×4, first 2 shown]
	v_add_nc_u32_e32 v36, s12, v34
	v_ashrrev_i32_e32 v23, 31, v22
	v_lshl_add_u64 v[10:11], v[16:17], 3, v[54:55]
	v_lshl_add_u64 v[0:1], v[0:1], 3, v[54:55]
	v_lshl_add_u64 v[14:15], v[20:21], 3, v[54:55]
	v_add_nc_u32_e32 v38, s12, v36
	v_lshl_add_u64 v[16:17], v[22:23], 3, v[54:55]
	s_clause 0x3
	global_load_b64 v[28:29], v[12:13], off
	global_load_b64 v[24:25], v[4:5], off
	;; [unrolled: 1-line block ×4, first 2 shown]
	v_lshl_add_u64 v[30:31], s[12:13], 3, v[18:19]
	v_dual_ashrrev_i32 v33, 31, v32 :: v_dual_add_nc_u32 v40, s12, v38
	s_clause 0x3
	global_load_b64 v[56:57], v[18:19], off
	global_load_b64 v[58:59], v[30:31], off
	;; [unrolled: 1-line block ×4, first 2 shown]
	v_ashrrev_i32_e32 v35, 31, v34
	v_lshl_add_u64 v[20:21], v[32:33], 3, v[54:55]
	v_dual_add_nc_u32 v60, s12, v40 :: v_dual_ashrrev_i32 v39, 31, v38
	s_delay_alu instid0(VALU_DEP_3)
	v_lshl_add_u64 v[32:33], v[34:35], 3, v[54:55]
	s_clause 0x3
	global_load_b64 v[52:53], v[14:15], off
	global_load_b64 v[48:49], v[16:17], off
	;; [unrolled: 1-line block ×4, first 2 shown]
	v_add_nc_u32_e32 v62, s12, v60
	s_delay_alu instid0(VALU_DEP_1) | instskip(NEXT) | instid1(VALU_DEP_1)
	v_dual_ashrrev_i32 v37, 31, v36 :: v_dual_add_nc_u32 v64, s12, v62
	v_lshl_add_u64 v[34:35], v[36:37], 3, v[54:55]
	v_lshl_add_u64 v[36:37], v[38:39], 3, v[54:55]
	s_delay_alu instid0(VALU_DEP_3) | instskip(SKIP_1) | instid1(VALU_DEP_2)
	v_dual_ashrrev_i32 v63, 31, v62 :: v_dual_add_nc_u32 v66, s12, v64
	v_ashrrev_i32_e32 v41, 31, v40
	v_dual_ashrrev_i32 v61, 31, v60 :: v_dual_ashrrev_i32 v67, 31, v66
	v_add_nc_u32_e32 v68, s12, v66
	s_delay_alu instid0(VALU_DEP_3) | instskip(NEXT) | instid1(VALU_DEP_3)
	v_lshl_add_u64 v[38:39], v[40:41], 3, v[54:55]
	v_lshl_add_u64 v[40:41], v[60:61], 3, v[54:55]
	v_lshl_add_u64 v[60:61], v[62:63], 3, v[54:55]
	s_delay_alu instid0(VALU_DEP_4) | instskip(NEXT) | instid1(VALU_DEP_1)
	v_dual_add_nc_u32 v70, s12, v68 :: v_dual_ashrrev_i32 v69, 31, v68
	v_dual_ashrrev_i32 v65, 31, v64 :: v_dual_ashrrev_i32 v71, 31, v70
	s_delay_alu instid0(VALU_DEP_1) | instskip(SKIP_1) | instid1(VALU_DEP_4)
	v_lshl_add_u64 v[62:63], v[64:65], 3, v[54:55]
	v_lshl_add_u64 v[64:65], v[66:67], 3, v[54:55]
	;; [unrolled: 1-line block ×3, first 2 shown]
	s_delay_alu instid0(VALU_DEP_4)
	v_lshl_add_u64 v[54:55], v[70:71], 3, v[54:55]
	s_clause 0x8
	global_load_b64 v[76:77], v[34:35], off
	global_load_b64 v[70:71], v[36:37], off
	;; [unrolled: 1-line block ×9, first 2 shown]
	s_wait_xcnt 0x0
	s_and_saveexec_b32 s4, s0
	s_cbranch_execz .LBB41_8
; %bb.2:
	s_wait_loadcnt 0x10
	ds_store_b64 v129, v[56:57]
	s_wait_loadcnt 0xe
	ds_store_2addr_b64 v130, v[58:59], v[44:45] offset0:1 offset1:2
	s_wait_loadcnt 0xd
	ds_store_2addr_b64 v130, v[42:43], v[28:29] offset0:3 offset1:4
	ds_store_2addr_b64 v130, v[24:25], v[26:27] offset0:5 offset1:6
	s_wait_loadcnt 0xc
	ds_store_2addr_b64 v130, v[22:23], v[52:53] offset0:7 offset1:8
	s_wait_loadcnt 0xa
	;; [unrolled: 2-line block ×7, first 2 shown]
	ds_store_2addr_b64 v130, v[78:79], v[84:85] offset0:19 offset1:20
	ds_load_b64 v[86:87], v129
	s_wait_dscnt 0x0
	v_cmp_neq_f32_e32 vcc_lo, 0, v86
	v_cmp_neq_f32_e64 s2, 0, v87
	s_or_b32 s2, vcc_lo, s2
	s_delay_alu instid0(SALU_CYCLE_1)
	s_and_b32 exec_lo, exec_lo, s2
	s_cbranch_execz .LBB41_8
; %bb.3:
	v_cmp_ngt_f32_e64 s2, |v86|, |v87|
                                        ; implicit-def: $vgpr88_vgpr89
	s_and_saveexec_b32 s5, s2
	s_delay_alu instid0(SALU_CYCLE_1)
	s_xor_b32 s2, exec_lo, s5
	s_cbranch_execz .LBB41_5
; %bb.4:
	v_div_scale_f32 v88, null, v87, v87, v86
	v_div_scale_f32 v91, vcc_lo, v86, v87, v86
	s_delay_alu instid0(VALU_DEP_2) | instskip(SKIP_1) | instid1(TRANS32_DEP_1)
	v_rcp_f32_e32 v89, v88
	v_nop
	v_fma_f32 v90, -v88, v89, 1.0
	s_delay_alu instid0(VALU_DEP_1) | instskip(NEXT) | instid1(VALU_DEP_1)
	v_fmac_f32_e32 v89, v90, v89
	v_mul_f32_e32 v90, v91, v89
	s_delay_alu instid0(VALU_DEP_1) | instskip(NEXT) | instid1(VALU_DEP_1)
	v_fma_f32 v92, -v88, v90, v91
	v_fmac_f32_e32 v90, v92, v89
	s_delay_alu instid0(VALU_DEP_1) | instskip(NEXT) | instid1(VALU_DEP_1)
	v_fma_f32 v88, -v88, v90, v91
	v_div_fmas_f32 v88, v88, v89, v90
	s_delay_alu instid0(VALU_DEP_1) | instskip(NEXT) | instid1(VALU_DEP_1)
	v_div_fixup_f32 v88, v88, v87, v86
	v_fmac_f32_e32 v87, v86, v88
	s_delay_alu instid0(VALU_DEP_1) | instskip(SKIP_1) | instid1(VALU_DEP_2)
	v_div_scale_f32 v86, null, v87, v87, 1.0
	v_div_scale_f32 v91, vcc_lo, 1.0, v87, 1.0
	v_rcp_f32_e32 v89, v86
	v_nop
	s_delay_alu instid0(TRANS32_DEP_1) | instskip(NEXT) | instid1(VALU_DEP_1)
	v_fma_f32 v90, -v86, v89, 1.0
	v_fmac_f32_e32 v89, v90, v89
	s_delay_alu instid0(VALU_DEP_1) | instskip(NEXT) | instid1(VALU_DEP_1)
	v_mul_f32_e32 v90, v91, v89
	v_fma_f32 v92, -v86, v90, v91
	s_delay_alu instid0(VALU_DEP_1) | instskip(NEXT) | instid1(VALU_DEP_1)
	v_fmac_f32_e32 v90, v92, v89
	v_fma_f32 v86, -v86, v90, v91
	s_delay_alu instid0(VALU_DEP_1) | instskip(NEXT) | instid1(VALU_DEP_1)
	v_div_fmas_f32 v86, v86, v89, v90
	v_div_fixup_f32 v86, v86, v87, 1.0
	s_delay_alu instid0(VALU_DEP_1)
	v_mul_f32_e32 v88, v88, v86
	v_xor_b32_e32 v89, 0x80000000, v86
                                        ; implicit-def: $vgpr86_vgpr87
.LBB41_5:
	s_and_not1_saveexec_b32 s2, s2
	s_cbranch_execz .LBB41_7
; %bb.6:
	v_div_scale_f32 v88, null, v86, v86, v87
	v_div_scale_f32 v91, vcc_lo, v87, v86, v87
	s_delay_alu instid0(VALU_DEP_2) | instskip(SKIP_1) | instid1(TRANS32_DEP_1)
	v_rcp_f32_e32 v89, v88
	v_nop
	v_fma_f32 v90, -v88, v89, 1.0
	s_delay_alu instid0(VALU_DEP_1) | instskip(NEXT) | instid1(VALU_DEP_1)
	v_fmac_f32_e32 v89, v90, v89
	v_mul_f32_e32 v90, v91, v89
	s_delay_alu instid0(VALU_DEP_1) | instskip(NEXT) | instid1(VALU_DEP_1)
	v_fma_f32 v92, -v88, v90, v91
	v_fmac_f32_e32 v90, v92, v89
	s_delay_alu instid0(VALU_DEP_1) | instskip(NEXT) | instid1(VALU_DEP_1)
	v_fma_f32 v88, -v88, v90, v91
	v_div_fmas_f32 v88, v88, v89, v90
	s_delay_alu instid0(VALU_DEP_1) | instskip(NEXT) | instid1(VALU_DEP_1)
	v_div_fixup_f32 v89, v88, v86, v87
	v_fmac_f32_e32 v86, v87, v89
	s_delay_alu instid0(VALU_DEP_1) | instskip(NEXT) | instid1(VALU_DEP_1)
	v_div_scale_f32 v87, null, v86, v86, 1.0
	v_rcp_f32_e32 v88, v87
	v_nop
	s_delay_alu instid0(TRANS32_DEP_1) | instskip(NEXT) | instid1(VALU_DEP_1)
	v_fma_f32 v90, -v87, v88, 1.0
	v_fmac_f32_e32 v88, v90, v88
	v_div_scale_f32 v90, vcc_lo, 1.0, v86, 1.0
	s_delay_alu instid0(VALU_DEP_1) | instskip(NEXT) | instid1(VALU_DEP_1)
	v_mul_f32_e32 v91, v90, v88
	v_fma_f32 v92, -v87, v91, v90
	s_delay_alu instid0(VALU_DEP_1) | instskip(NEXT) | instid1(VALU_DEP_1)
	v_fmac_f32_e32 v91, v92, v88
	v_fma_f32 v87, -v87, v91, v90
	s_delay_alu instid0(VALU_DEP_1) | instskip(NEXT) | instid1(VALU_DEP_1)
	v_div_fmas_f32 v87, v87, v88, v91
	v_div_fixup_f32 v88, v87, v86, 1.0
	s_delay_alu instid0(VALU_DEP_1)
	v_mul_f32_e64 v89, v89, -v88
.LBB41_7:
	s_or_b32 exec_lo, exec_lo, s2
	ds_store_b64 v129, v[88:89]
.LBB41_8:
	s_or_b32 exec_lo, exec_lo, s4
	s_wait_loadcnt_dscnt 0x0
	s_barrier_signal -1
	s_barrier_wait -1
	ds_load_b64 v[86:87], v129
	s_and_saveexec_b32 s2, s1
	s_cbranch_execz .LBB41_10
; %bb.9:
	ds_load_2addr_b64 v[92:95], v130 offset0:1 offset1:2
	s_wait_dscnt 0x1
	v_pk_mul_f32 v[90:91], v[86:87], v[56:57] op_sel:[1,1] op_sel_hi:[0,1]
	s_delay_alu instid0(VALU_DEP_1) | instskip(SKIP_1) | instid1(VALU_DEP_1)
	v_pk_fma_f32 v[88:89], v[86:87], v[56:57], v[90:91] op_sel_hi:[1,0,1] neg_lo:[0,0,1] neg_hi:[0,0,1]
	v_pk_fma_f32 v[90:91], v[86:87], v[56:57], v[90:91] op_sel_hi:[1,0,1]
	v_dual_mov_b32 v56, v88 :: v_dual_mov_b32 v57, v91
	s_wait_dscnt 0x0
	s_delay_alu instid0(VALU_DEP_2) | instskip(NEXT) | instid1(VALU_DEP_1)
	v_pk_mul_f32 v[96:97], v[92:93], v[90:91] op_sel:[0,1]
	v_pk_fma_f32 v[98:99], v[92:93], v[88:89], v[96:97] op_sel:[0,0,1] op_sel_hi:[1,1,0] neg_lo:[0,0,1] neg_hi:[0,0,1]
	v_pk_fma_f32 v[92:93], v[92:93], v[88:89], v[96:97] op_sel:[0,0,1] op_sel_hi:[1,0,0]
	s_delay_alu instid0(VALU_DEP_1) | instskip(SKIP_1) | instid1(VALU_DEP_1)
	v_mov_b32_e32 v99, v93
	v_pk_mul_f32 v[92:93], v[94:95], v[90:91] op_sel:[0,1]
	v_pk_fma_f32 v[96:97], v[94:95], v[88:89], v[92:93] op_sel:[0,0,1] op_sel_hi:[1,1,0] neg_lo:[0,0,1] neg_hi:[0,0,1]
	v_pk_fma_f32 v[92:93], v[94:95], v[88:89], v[92:93] op_sel:[0,0,1] op_sel_hi:[1,0,0]
	s_delay_alu instid0(VALU_DEP_1)
	v_mov_b32_e32 v97, v93
	ds_load_2addr_b64 v[92:95], v130 offset0:3 offset1:4
	v_pk_add_f32 v[58:59], v[58:59], v[98:99] neg_lo:[0,1] neg_hi:[0,1]
	v_pk_add_f32 v[44:45], v[44:45], v[96:97] neg_lo:[0,1] neg_hi:[0,1]
	s_wait_dscnt 0x0
	v_pk_mul_f32 v[96:97], v[92:93], v[90:91] op_sel:[0,1]
	s_delay_alu instid0(VALU_DEP_1) | instskip(SKIP_2) | instid1(VALU_DEP_2)
	v_pk_fma_f32 v[98:99], v[92:93], v[88:89], v[96:97] op_sel:[0,0,1] op_sel_hi:[1,1,0] neg_lo:[0,0,1] neg_hi:[0,0,1]
	v_pk_fma_f32 v[92:93], v[92:93], v[88:89], v[96:97] op_sel:[0,0,1] op_sel_hi:[1,0,0]
	v_dual_mul_f32 v96, v95, v91 :: v_dual_mov_b32 v92, v95
	v_dual_mov_b32 v99, v93 :: v_dual_mov_b32 v93, v94
	s_delay_alu instid0(VALU_DEP_2) | instskip(SKIP_1) | instid1(VALU_DEP_3)
	v_pk_fma_f32 v[96:97], v[94:95], v[56:57], v[96:97] op_sel_hi:[1,1,0] neg_lo:[0,0,1] neg_hi:[0,0,1]
	v_mul_f32_e32 v94, v95, v88
	v_pk_add_f32 v[42:43], v[42:43], v[98:99] neg_lo:[0,1] neg_hi:[0,1]
	s_delay_alu instid0(VALU_DEP_2) | instskip(NEXT) | instid1(VALU_DEP_1)
	v_pk_fma_f32 v[92:93], v[92:93], v[56:57], v[94:95] op_sel_hi:[1,1,0]
	v_mov_b32_e32 v97, v93
	ds_load_2addr_b64 v[92:95], v130 offset0:5 offset1:6
	v_pk_add_f32 v[28:29], v[28:29], v[96:97] neg_lo:[0,1] neg_hi:[0,1]
	s_wait_dscnt 0x0
	v_pk_mul_f32 v[96:97], v[92:93], v[90:91] op_sel:[0,1]
	s_delay_alu instid0(VALU_DEP_1) | instskip(SKIP_1) | instid1(VALU_DEP_1)
	v_pk_fma_f32 v[98:99], v[92:93], v[88:89], v[96:97] op_sel:[0,0,1] op_sel_hi:[1,1,0] neg_lo:[0,0,1] neg_hi:[0,0,1]
	v_pk_fma_f32 v[92:93], v[92:93], v[88:89], v[96:97] op_sel:[0,0,1] op_sel_hi:[1,0,0]
	v_mov_b32_e32 v99, v93
	v_pk_mul_f32 v[92:93], v[94:95], v[90:91] op_sel:[0,1]
	s_delay_alu instid0(VALU_DEP_1) | instskip(SKIP_1) | instid1(VALU_DEP_1)
	v_pk_fma_f32 v[96:97], v[94:95], v[88:89], v[92:93] op_sel:[0,0,1] op_sel_hi:[1,1,0] neg_lo:[0,0,1] neg_hi:[0,0,1]
	v_pk_fma_f32 v[92:93], v[94:95], v[88:89], v[92:93] op_sel:[0,0,1] op_sel_hi:[1,0,0]
	v_mov_b32_e32 v97, v93
	ds_load_2addr_b64 v[92:95], v130 offset0:7 offset1:8
	v_pk_add_f32 v[24:25], v[24:25], v[98:99] neg_lo:[0,1] neg_hi:[0,1]
	v_pk_add_f32 v[26:27], v[26:27], v[96:97] neg_lo:[0,1] neg_hi:[0,1]
	s_wait_dscnt 0x0
	v_pk_mul_f32 v[96:97], v[92:93], v[90:91] op_sel:[0,1]
	s_delay_alu instid0(VALU_DEP_1) | instskip(SKIP_1) | instid1(VALU_DEP_1)
	v_pk_fma_f32 v[98:99], v[92:93], v[88:89], v[96:97] op_sel:[0,0,1] op_sel_hi:[1,1,0] neg_lo:[0,0,1] neg_hi:[0,0,1]
	v_pk_fma_f32 v[92:93], v[92:93], v[88:89], v[96:97] op_sel:[0,0,1] op_sel_hi:[1,0,0]
	v_mov_b32_e32 v99, v93
	v_pk_mul_f32 v[92:93], v[94:95], v[90:91] op_sel:[0,1]
	s_delay_alu instid0(VALU_DEP_1) | instskip(SKIP_1) | instid1(VALU_DEP_1)
	v_pk_fma_f32 v[96:97], v[94:95], v[88:89], v[92:93] op_sel:[0,0,1] op_sel_hi:[1,1,0] neg_lo:[0,0,1] neg_hi:[0,0,1]
	v_pk_fma_f32 v[92:93], v[94:95], v[88:89], v[92:93] op_sel:[0,0,1] op_sel_hi:[1,0,0]
	v_mov_b32_e32 v97, v93
	ds_load_2addr_b64 v[92:95], v130 offset0:9 offset1:10
	v_pk_add_f32 v[22:23], v[22:23], v[98:99] neg_lo:[0,1] neg_hi:[0,1]
	v_pk_add_f32 v[52:53], v[52:53], v[96:97] neg_lo:[0,1] neg_hi:[0,1]
	s_wait_dscnt 0x0
	v_dual_mul_f32 v96, v93, v91 :: v_dual_mul_f32 v98, v93, v88
	s_delay_alu instid0(VALU_DEP_1) | instskip(NEXT) | instid1(VALU_DEP_2)
	v_pk_fma_f32 v[96:97], v[92:93], v[56:57], v[96:97] op_sel_hi:[1,1,0] neg_lo:[0,0,1] neg_hi:[0,0,1]
	v_pk_fma_f32 v[92:93], v[92:93], v[56:57], v[98:99] op_sel:[1,0,0] op_sel_hi:[0,1,0]
	s_delay_alu instid0(VALU_DEP_1) | instskip(SKIP_1) | instid1(VALU_DEP_2)
	v_mov_b32_e32 v97, v93
	v_pk_mul_f32 v[92:93], v[94:95], v[90:91] op_sel:[0,1]
	v_pk_add_f32 v[48:49], v[48:49], v[96:97] neg_lo:[0,1] neg_hi:[0,1]
	s_delay_alu instid0(VALU_DEP_2) | instskip(SKIP_1) | instid1(VALU_DEP_1)
	v_pk_fma_f32 v[96:97], v[94:95], v[88:89], v[92:93] op_sel:[0,0,1] op_sel_hi:[1,1,0] neg_lo:[0,0,1] neg_hi:[0,0,1]
	v_pk_fma_f32 v[92:93], v[94:95], v[88:89], v[92:93] op_sel:[0,0,1] op_sel_hi:[1,0,0]
	v_mov_b32_e32 v97, v93
	ds_load_2addr_b64 v[92:95], v130 offset0:11 offset1:12
	v_pk_add_f32 v[50:51], v[50:51], v[96:97] neg_lo:[0,1] neg_hi:[0,1]
	s_wait_dscnt 0x0
	v_pk_mul_f32 v[96:97], v[92:93], v[90:91] op_sel:[0,1]
	s_delay_alu instid0(VALU_DEP_1) | instskip(SKIP_1) | instid1(VALU_DEP_1)
	v_pk_fma_f32 v[98:99], v[92:93], v[88:89], v[96:97] op_sel:[0,0,1] op_sel_hi:[1,1,0] neg_lo:[0,0,1] neg_hi:[0,0,1]
	v_pk_fma_f32 v[92:93], v[92:93], v[88:89], v[96:97] op_sel:[0,0,1] op_sel_hi:[1,0,0]
	v_mov_b32_e32 v99, v93
	v_pk_mul_f32 v[92:93], v[94:95], v[90:91] op_sel:[0,1]
	s_delay_alu instid0(VALU_DEP_2) | instskip(NEXT) | instid1(VALU_DEP_2)
	v_pk_add_f32 v[46:47], v[46:47], v[98:99] neg_lo:[0,1] neg_hi:[0,1]
	v_pk_fma_f32 v[96:97], v[94:95], v[88:89], v[92:93] op_sel:[0,0,1] op_sel_hi:[1,1,0] neg_lo:[0,0,1] neg_hi:[0,0,1]
	v_pk_fma_f32 v[92:93], v[94:95], v[88:89], v[92:93] op_sel:[0,0,1] op_sel_hi:[1,0,0]
	s_delay_alu instid0(VALU_DEP_1) | instskip(SKIP_4) | instid1(VALU_DEP_1)
	v_mov_b32_e32 v97, v93
	ds_load_2addr_b64 v[92:95], v130 offset0:13 offset1:14
	v_pk_add_f32 v[76:77], v[76:77], v[96:97] neg_lo:[0,1] neg_hi:[0,1]
	s_wait_dscnt 0x0
	v_pk_mul_f32 v[96:97], v[92:93], v[90:91] op_sel:[0,1]
	v_pk_fma_f32 v[98:99], v[92:93], v[88:89], v[96:97] op_sel:[0,0,1] op_sel_hi:[1,1,0] neg_lo:[0,0,1] neg_hi:[0,0,1]
	v_pk_fma_f32 v[92:93], v[92:93], v[88:89], v[96:97] op_sel:[0,0,1] op_sel_hi:[1,0,0]
	v_dual_mul_f32 v96, v95, v91 :: v_dual_mov_b32 v92, v95
	s_delay_alu instid0(VALU_DEP_2) | instskip(NEXT) | instid1(VALU_DEP_2)
	v_dual_mov_b32 v99, v93 :: v_dual_mov_b32 v93, v94
	v_pk_fma_f32 v[96:97], v[94:95], v[56:57], v[96:97] op_sel_hi:[1,1,0] neg_lo:[0,0,1] neg_hi:[0,0,1]
	v_mul_f32_e32 v94, v95, v88
	s_delay_alu instid0(VALU_DEP_3) | instskip(NEXT) | instid1(VALU_DEP_2)
	v_pk_add_f32 v[70:71], v[70:71], v[98:99] neg_lo:[0,1] neg_hi:[0,1]
	v_pk_fma_f32 v[92:93], v[92:93], v[56:57], v[94:95] op_sel_hi:[1,1,0]
	s_delay_alu instid0(VALU_DEP_1) | instskip(SKIP_4) | instid1(VALU_DEP_1)
	v_mov_b32_e32 v97, v93
	ds_load_2addr_b64 v[92:95], v130 offset0:15 offset1:16
	v_pk_add_f32 v[74:75], v[74:75], v[96:97] neg_lo:[0,1] neg_hi:[0,1]
	s_wait_dscnt 0x0
	v_pk_mul_f32 v[96:97], v[92:93], v[90:91] op_sel:[0,1]
	v_pk_fma_f32 v[98:99], v[92:93], v[88:89], v[96:97] op_sel:[0,0,1] op_sel_hi:[1,1,0] neg_lo:[0,0,1] neg_hi:[0,0,1]
	v_pk_fma_f32 v[92:93], v[92:93], v[88:89], v[96:97] op_sel:[0,0,1] op_sel_hi:[1,0,0]
	s_delay_alu instid0(VALU_DEP_1) | instskip(SKIP_1) | instid1(VALU_DEP_1)
	v_mov_b32_e32 v99, v93
	v_pk_mul_f32 v[92:93], v[94:95], v[90:91] op_sel:[0,1]
	v_pk_fma_f32 v[96:97], v[94:95], v[88:89], v[92:93] op_sel:[0,0,1] op_sel_hi:[1,1,0] neg_lo:[0,0,1] neg_hi:[0,0,1]
	v_pk_fma_f32 v[92:93], v[94:95], v[88:89], v[92:93] op_sel:[0,0,1] op_sel_hi:[1,0,0]
	s_delay_alu instid0(VALU_DEP_1)
	v_mov_b32_e32 v97, v93
	ds_load_2addr_b64 v[92:95], v130 offset0:17 offset1:18
	v_pk_add_f32 v[68:69], v[68:69], v[98:99] neg_lo:[0,1] neg_hi:[0,1]
	v_pk_add_f32 v[72:73], v[72:73], v[96:97] neg_lo:[0,1] neg_hi:[0,1]
	s_wait_dscnt 0x0
	v_pk_mul_f32 v[96:97], v[92:93], v[90:91] op_sel:[0,1]
	s_delay_alu instid0(VALU_DEP_1) | instskip(SKIP_1) | instid1(VALU_DEP_1)
	v_pk_fma_f32 v[98:99], v[92:93], v[88:89], v[96:97] op_sel:[0,0,1] op_sel_hi:[1,1,0] neg_lo:[0,0,1] neg_hi:[0,0,1]
	v_pk_fma_f32 v[92:93], v[92:93], v[88:89], v[96:97] op_sel:[0,0,1] op_sel_hi:[1,0,0]
	v_mov_b32_e32 v99, v93
	v_pk_mul_f32 v[92:93], v[94:95], v[90:91] op_sel:[0,1]
	s_delay_alu instid0(VALU_DEP_1) | instskip(SKIP_1) | instid1(VALU_DEP_1)
	v_pk_fma_f32 v[96:97], v[94:95], v[88:89], v[92:93] op_sel:[0,0,1] op_sel_hi:[1,1,0] neg_lo:[0,0,1] neg_hi:[0,0,1]
	v_pk_fma_f32 v[92:93], v[94:95], v[88:89], v[92:93] op_sel:[0,0,1] op_sel_hi:[1,0,0]
	v_mov_b32_e32 v97, v93
	ds_load_2addr_b64 v[92:95], v130 offset0:19 offset1:20
	v_pk_add_f32 v[82:83], v[82:83], v[98:99] neg_lo:[0,1] neg_hi:[0,1]
	v_pk_add_f32 v[80:81], v[80:81], v[96:97] neg_lo:[0,1] neg_hi:[0,1]
	s_wait_dscnt 0x0
	v_dual_mul_f32 v96, v93, v91 :: v_dual_mul_f32 v98, v93, v88
	v_pk_mul_f32 v[90:91], v[94:95], v[90:91] op_sel:[0,1]
	s_delay_alu instid0(VALU_DEP_2) | instskip(NEXT) | instid1(VALU_DEP_3)
	v_pk_fma_f32 v[96:97], v[92:93], v[56:57], v[96:97] op_sel_hi:[1,1,0] neg_lo:[0,0,1] neg_hi:[0,0,1]
	v_pk_fma_f32 v[92:93], v[92:93], v[56:57], v[98:99] op_sel:[1,0,0] op_sel_hi:[0,1,0]
	s_delay_alu instid0(VALU_DEP_1) | instskip(NEXT) | instid1(VALU_DEP_4)
	v_mov_b32_e32 v97, v93
	v_pk_fma_f32 v[92:93], v[94:95], v[88:89], v[90:91] op_sel:[0,0,1] op_sel_hi:[1,1,0] neg_lo:[0,0,1] neg_hi:[0,0,1]
	v_pk_fma_f32 v[88:89], v[94:95], v[88:89], v[90:91] op_sel:[0,0,1] op_sel_hi:[1,0,0]
	s_delay_alu instid0(VALU_DEP_1) | instskip(NEXT) | instid1(VALU_DEP_4)
	v_mov_b32_e32 v93, v89
	v_pk_add_f32 v[78:79], v[78:79], v[96:97] neg_lo:[0,1] neg_hi:[0,1]
	s_delay_alu instid0(VALU_DEP_2)
	v_pk_add_f32 v[84:85], v[84:85], v[92:93] neg_lo:[0,1] neg_hi:[0,1]
.LBB41_10:
	s_or_b32 exec_lo, exec_lo, s2
	s_delay_alu instid0(SALU_CYCLE_1)
	s_mov_b32 s2, exec_lo
	s_wait_dscnt 0x0
	s_barrier_signal -1
	s_barrier_wait -1
	v_cmpx_eq_u32_e32 1, v128
	s_cbranch_execz .LBB41_17
; %bb.11:
	v_dual_mov_b32 v88, v44 :: v_dual_mov_b32 v89, v45
	v_dual_mov_b32 v90, v42 :: v_dual_mov_b32 v91, v43
	v_dual_mov_b32 v92, v28 :: v_dual_mov_b32 v93, v29
	v_dual_mov_b32 v94, v24 :: v_dual_mov_b32 v95, v25
	v_dual_mov_b32 v96, v26 :: v_dual_mov_b32 v97, v27
	v_dual_mov_b32 v98, v22 :: v_dual_mov_b32 v99, v23
	v_dual_mov_b32 v100, v52 :: v_dual_mov_b32 v101, v53
	v_dual_mov_b32 v102, v48 :: v_dual_mov_b32 v103, v49
	ds_store_b64 v129, v[58:59]
	ds_store_2addr_b64 v130, v[88:89], v[90:91] offset0:2 offset1:3
	ds_store_2addr_b64 v130, v[92:93], v[94:95] offset0:4 offset1:5
	;; [unrolled: 1-line block ×4, first 2 shown]
	v_dual_mov_b32 v88, v50 :: v_dual_mov_b32 v89, v51
	v_dual_mov_b32 v90, v46 :: v_dual_mov_b32 v91, v47
	;; [unrolled: 1-line block ×10, first 2 shown]
	ds_store_2addr_b64 v130, v[88:89], v[90:91] offset0:10 offset1:11
	ds_store_2addr_b64 v130, v[92:93], v[94:95] offset0:12 offset1:13
	;; [unrolled: 1-line block ×5, first 2 shown]
	ds_store_b64 v130, v[84:85] offset:160
	ds_load_b64 v[88:89], v129
	s_wait_dscnt 0x0
	v_cmp_neq_f32_e32 vcc_lo, 0, v88
	v_cmp_neq_f32_e64 s1, 0, v89
	s_or_b32 s1, vcc_lo, s1
	s_delay_alu instid0(SALU_CYCLE_1)
	s_and_b32 exec_lo, exec_lo, s1
	s_cbranch_execz .LBB41_17
; %bb.12:
	v_cmp_ngt_f32_e64 s1, |v88|, |v89|
                                        ; implicit-def: $vgpr90_vgpr91
	s_and_saveexec_b32 s4, s1
	s_delay_alu instid0(SALU_CYCLE_1)
	s_xor_b32 s1, exec_lo, s4
	s_cbranch_execz .LBB41_14
; %bb.13:
	v_div_scale_f32 v90, null, v89, v89, v88
	v_div_scale_f32 v93, vcc_lo, v88, v89, v88
	s_delay_alu instid0(VALU_DEP_2) | instskip(SKIP_1) | instid1(TRANS32_DEP_1)
	v_rcp_f32_e32 v91, v90
	v_nop
	v_fma_f32 v92, -v90, v91, 1.0
	s_delay_alu instid0(VALU_DEP_1) | instskip(NEXT) | instid1(VALU_DEP_1)
	v_fmac_f32_e32 v91, v92, v91
	v_mul_f32_e32 v92, v93, v91
	s_delay_alu instid0(VALU_DEP_1) | instskip(NEXT) | instid1(VALU_DEP_1)
	v_fma_f32 v94, -v90, v92, v93
	v_fmac_f32_e32 v92, v94, v91
	s_delay_alu instid0(VALU_DEP_1) | instskip(NEXT) | instid1(VALU_DEP_1)
	v_fma_f32 v90, -v90, v92, v93
	v_div_fmas_f32 v90, v90, v91, v92
	s_delay_alu instid0(VALU_DEP_1) | instskip(NEXT) | instid1(VALU_DEP_1)
	v_div_fixup_f32 v90, v90, v89, v88
	v_fmac_f32_e32 v89, v88, v90
	s_delay_alu instid0(VALU_DEP_1) | instskip(SKIP_1) | instid1(VALU_DEP_2)
	v_div_scale_f32 v88, null, v89, v89, 1.0
	v_div_scale_f32 v93, vcc_lo, 1.0, v89, 1.0
	v_rcp_f32_e32 v91, v88
	v_nop
	s_delay_alu instid0(TRANS32_DEP_1) | instskip(NEXT) | instid1(VALU_DEP_1)
	v_fma_f32 v92, -v88, v91, 1.0
	v_fmac_f32_e32 v91, v92, v91
	s_delay_alu instid0(VALU_DEP_1) | instskip(NEXT) | instid1(VALU_DEP_1)
	v_mul_f32_e32 v92, v93, v91
	v_fma_f32 v94, -v88, v92, v93
	s_delay_alu instid0(VALU_DEP_1) | instskip(NEXT) | instid1(VALU_DEP_1)
	v_fmac_f32_e32 v92, v94, v91
	v_fma_f32 v88, -v88, v92, v93
	s_delay_alu instid0(VALU_DEP_1) | instskip(NEXT) | instid1(VALU_DEP_1)
	v_div_fmas_f32 v88, v88, v91, v92
	v_div_fixup_f32 v88, v88, v89, 1.0
	s_delay_alu instid0(VALU_DEP_1)
	v_mul_f32_e32 v90, v90, v88
	v_xor_b32_e32 v91, 0x80000000, v88
                                        ; implicit-def: $vgpr88_vgpr89
.LBB41_14:
	s_and_not1_saveexec_b32 s1, s1
	s_cbranch_execz .LBB41_16
; %bb.15:
	v_div_scale_f32 v90, null, v88, v88, v89
	v_div_scale_f32 v93, vcc_lo, v89, v88, v89
	s_delay_alu instid0(VALU_DEP_2) | instskip(SKIP_1) | instid1(TRANS32_DEP_1)
	v_rcp_f32_e32 v91, v90
	v_nop
	v_fma_f32 v92, -v90, v91, 1.0
	s_delay_alu instid0(VALU_DEP_1) | instskip(NEXT) | instid1(VALU_DEP_1)
	v_fmac_f32_e32 v91, v92, v91
	v_mul_f32_e32 v92, v93, v91
	s_delay_alu instid0(VALU_DEP_1) | instskip(NEXT) | instid1(VALU_DEP_1)
	v_fma_f32 v94, -v90, v92, v93
	v_fmac_f32_e32 v92, v94, v91
	s_delay_alu instid0(VALU_DEP_1) | instskip(NEXT) | instid1(VALU_DEP_1)
	v_fma_f32 v90, -v90, v92, v93
	v_div_fmas_f32 v90, v90, v91, v92
	s_delay_alu instid0(VALU_DEP_1) | instskip(NEXT) | instid1(VALU_DEP_1)
	v_div_fixup_f32 v91, v90, v88, v89
	v_fmac_f32_e32 v88, v89, v91
	s_delay_alu instid0(VALU_DEP_1) | instskip(NEXT) | instid1(VALU_DEP_1)
	v_div_scale_f32 v89, null, v88, v88, 1.0
	v_rcp_f32_e32 v90, v89
	v_nop
	s_delay_alu instid0(TRANS32_DEP_1) | instskip(NEXT) | instid1(VALU_DEP_1)
	v_fma_f32 v92, -v89, v90, 1.0
	v_fmac_f32_e32 v90, v92, v90
	v_div_scale_f32 v92, vcc_lo, 1.0, v88, 1.0
	s_delay_alu instid0(VALU_DEP_1) | instskip(NEXT) | instid1(VALU_DEP_1)
	v_mul_f32_e32 v93, v92, v90
	v_fma_f32 v94, -v89, v93, v92
	s_delay_alu instid0(VALU_DEP_1) | instskip(NEXT) | instid1(VALU_DEP_1)
	v_fmac_f32_e32 v93, v94, v90
	v_fma_f32 v89, -v89, v93, v92
	s_delay_alu instid0(VALU_DEP_1) | instskip(NEXT) | instid1(VALU_DEP_1)
	v_div_fmas_f32 v89, v89, v90, v93
	v_div_fixup_f32 v90, v89, v88, 1.0
	s_delay_alu instid0(VALU_DEP_1)
	v_mul_f32_e64 v91, v91, -v90
.LBB41_16:
	s_or_b32 exec_lo, exec_lo, s1
	ds_store_b64 v129, v[90:91]
.LBB41_17:
	s_or_b32 exec_lo, exec_lo, s2
	s_wait_dscnt 0x0
	s_barrier_signal -1
	s_barrier_wait -1
	ds_load_b64 v[88:89], v129
	s_mov_b32 s1, exec_lo
	v_cmpx_lt_u32_e32 1, v128
	s_cbranch_execz .LBB41_19
; %bb.18:
	ds_load_2addr_b64 v[94:97], v130 offset0:2 offset1:3
	s_wait_dscnt 0x1
	v_pk_mul_f32 v[92:93], v[88:89], v[58:59] op_sel:[1,1] op_sel_hi:[0,1]
	s_delay_alu instid0(VALU_DEP_1) | instskip(SKIP_1) | instid1(VALU_DEP_1)
	v_pk_fma_f32 v[90:91], v[88:89], v[58:59], v[92:93] op_sel_hi:[1,0,1] neg_lo:[0,0,1] neg_hi:[0,0,1]
	v_pk_fma_f32 v[92:93], v[88:89], v[58:59], v[92:93] op_sel_hi:[1,0,1]
	v_dual_mov_b32 v58, v90 :: v_dual_mov_b32 v59, v93
	s_wait_dscnt 0x0
	s_delay_alu instid0(VALU_DEP_2) | instskip(NEXT) | instid1(VALU_DEP_1)
	v_pk_mul_f32 v[98:99], v[94:95], v[92:93] op_sel:[0,1]
	v_pk_fma_f32 v[100:101], v[94:95], v[90:91], v[98:99] op_sel:[0,0,1] op_sel_hi:[1,1,0] neg_lo:[0,0,1] neg_hi:[0,0,1]
	v_pk_fma_f32 v[94:95], v[94:95], v[90:91], v[98:99] op_sel:[0,0,1] op_sel_hi:[1,0,0]
	s_delay_alu instid0(VALU_DEP_1) | instskip(SKIP_1) | instid1(VALU_DEP_1)
	v_mov_b32_e32 v101, v95
	v_pk_mul_f32 v[94:95], v[96:97], v[92:93] op_sel:[0,1]
	v_pk_fma_f32 v[98:99], v[96:97], v[90:91], v[94:95] op_sel:[0,0,1] op_sel_hi:[1,1,0] neg_lo:[0,0,1] neg_hi:[0,0,1]
	v_pk_fma_f32 v[94:95], v[96:97], v[90:91], v[94:95] op_sel:[0,0,1] op_sel_hi:[1,0,0]
	s_delay_alu instid0(VALU_DEP_1)
	v_mov_b32_e32 v99, v95
	ds_load_2addr_b64 v[94:97], v130 offset0:4 offset1:5
	v_pk_add_f32 v[44:45], v[44:45], v[100:101] neg_lo:[0,1] neg_hi:[0,1]
	v_pk_add_f32 v[42:43], v[42:43], v[98:99] neg_lo:[0,1] neg_hi:[0,1]
	s_wait_dscnt 0x0
	v_pk_mul_f32 v[98:99], v[94:95], v[92:93] op_sel:[0,1]
	s_delay_alu instid0(VALU_DEP_1) | instskip(SKIP_2) | instid1(VALU_DEP_2)
	v_pk_fma_f32 v[100:101], v[94:95], v[90:91], v[98:99] op_sel:[0,0,1] op_sel_hi:[1,1,0] neg_lo:[0,0,1] neg_hi:[0,0,1]
	v_pk_fma_f32 v[94:95], v[94:95], v[90:91], v[98:99] op_sel:[0,0,1] op_sel_hi:[1,0,0]
	v_dual_mul_f32 v98, v97, v93 :: v_dual_mov_b32 v94, v97
	v_dual_mov_b32 v101, v95 :: v_dual_mov_b32 v95, v96
	s_delay_alu instid0(VALU_DEP_2) | instskip(SKIP_1) | instid1(VALU_DEP_3)
	v_pk_fma_f32 v[98:99], v[96:97], v[58:59], v[98:99] op_sel_hi:[1,1,0] neg_lo:[0,0,1] neg_hi:[0,0,1]
	v_mul_f32_e32 v96, v97, v90
	v_pk_add_f32 v[28:29], v[28:29], v[100:101] neg_lo:[0,1] neg_hi:[0,1]
	s_delay_alu instid0(VALU_DEP_2) | instskip(NEXT) | instid1(VALU_DEP_1)
	v_pk_fma_f32 v[94:95], v[94:95], v[58:59], v[96:97] op_sel_hi:[1,1,0]
	v_mov_b32_e32 v99, v95
	ds_load_2addr_b64 v[94:97], v130 offset0:6 offset1:7
	v_pk_add_f32 v[24:25], v[24:25], v[98:99] neg_lo:[0,1] neg_hi:[0,1]
	s_wait_dscnt 0x0
	v_pk_mul_f32 v[98:99], v[94:95], v[92:93] op_sel:[0,1]
	s_delay_alu instid0(VALU_DEP_1) | instskip(SKIP_1) | instid1(VALU_DEP_1)
	v_pk_fma_f32 v[100:101], v[94:95], v[90:91], v[98:99] op_sel:[0,0,1] op_sel_hi:[1,1,0] neg_lo:[0,0,1] neg_hi:[0,0,1]
	v_pk_fma_f32 v[94:95], v[94:95], v[90:91], v[98:99] op_sel:[0,0,1] op_sel_hi:[1,0,0]
	v_mov_b32_e32 v101, v95
	v_pk_mul_f32 v[94:95], v[96:97], v[92:93] op_sel:[0,1]
	s_delay_alu instid0(VALU_DEP_1) | instskip(SKIP_1) | instid1(VALU_DEP_1)
	v_pk_fma_f32 v[98:99], v[96:97], v[90:91], v[94:95] op_sel:[0,0,1] op_sel_hi:[1,1,0] neg_lo:[0,0,1] neg_hi:[0,0,1]
	v_pk_fma_f32 v[94:95], v[96:97], v[90:91], v[94:95] op_sel:[0,0,1] op_sel_hi:[1,0,0]
	v_mov_b32_e32 v99, v95
	ds_load_2addr_b64 v[94:97], v130 offset0:8 offset1:9
	v_pk_add_f32 v[26:27], v[26:27], v[100:101] neg_lo:[0,1] neg_hi:[0,1]
	v_pk_add_f32 v[22:23], v[22:23], v[98:99] neg_lo:[0,1] neg_hi:[0,1]
	s_wait_dscnt 0x0
	v_pk_mul_f32 v[98:99], v[94:95], v[92:93] op_sel:[0,1]
	s_delay_alu instid0(VALU_DEP_1) | instskip(SKIP_1) | instid1(VALU_DEP_1)
	v_pk_fma_f32 v[100:101], v[94:95], v[90:91], v[98:99] op_sel:[0,0,1] op_sel_hi:[1,1,0] neg_lo:[0,0,1] neg_hi:[0,0,1]
	v_pk_fma_f32 v[94:95], v[94:95], v[90:91], v[98:99] op_sel:[0,0,1] op_sel_hi:[1,0,0]
	v_mov_b32_e32 v101, v95
	v_pk_mul_f32 v[94:95], v[96:97], v[92:93] op_sel:[0,1]
	s_delay_alu instid0(VALU_DEP_1) | instskip(SKIP_1) | instid1(VALU_DEP_1)
	v_pk_fma_f32 v[98:99], v[96:97], v[90:91], v[94:95] op_sel:[0,0,1] op_sel_hi:[1,1,0] neg_lo:[0,0,1] neg_hi:[0,0,1]
	v_pk_fma_f32 v[94:95], v[96:97], v[90:91], v[94:95] op_sel:[0,0,1] op_sel_hi:[1,0,0]
	v_mov_b32_e32 v99, v95
	ds_load_2addr_b64 v[94:97], v130 offset0:10 offset1:11
	v_pk_add_f32 v[52:53], v[52:53], v[100:101] neg_lo:[0,1] neg_hi:[0,1]
	v_pk_add_f32 v[48:49], v[48:49], v[98:99] neg_lo:[0,1] neg_hi:[0,1]
	s_wait_dscnt 0x0
	v_dual_mul_f32 v98, v95, v93 :: v_dual_mul_f32 v100, v95, v90
	s_delay_alu instid0(VALU_DEP_1) | instskip(NEXT) | instid1(VALU_DEP_2)
	v_pk_fma_f32 v[98:99], v[94:95], v[58:59], v[98:99] op_sel_hi:[1,1,0] neg_lo:[0,0,1] neg_hi:[0,0,1]
	v_pk_fma_f32 v[94:95], v[94:95], v[58:59], v[100:101] op_sel:[1,0,0] op_sel_hi:[0,1,0]
	s_delay_alu instid0(VALU_DEP_1) | instskip(SKIP_1) | instid1(VALU_DEP_2)
	v_mov_b32_e32 v99, v95
	v_pk_mul_f32 v[94:95], v[96:97], v[92:93] op_sel:[0,1]
	v_pk_add_f32 v[50:51], v[50:51], v[98:99] neg_lo:[0,1] neg_hi:[0,1]
	s_delay_alu instid0(VALU_DEP_2) | instskip(SKIP_1) | instid1(VALU_DEP_1)
	v_pk_fma_f32 v[98:99], v[96:97], v[90:91], v[94:95] op_sel:[0,0,1] op_sel_hi:[1,1,0] neg_lo:[0,0,1] neg_hi:[0,0,1]
	v_pk_fma_f32 v[94:95], v[96:97], v[90:91], v[94:95] op_sel:[0,0,1] op_sel_hi:[1,0,0]
	v_mov_b32_e32 v99, v95
	ds_load_2addr_b64 v[94:97], v130 offset0:12 offset1:13
	v_pk_add_f32 v[46:47], v[46:47], v[98:99] neg_lo:[0,1] neg_hi:[0,1]
	s_wait_dscnt 0x0
	v_pk_mul_f32 v[98:99], v[94:95], v[92:93] op_sel:[0,1]
	s_delay_alu instid0(VALU_DEP_1) | instskip(SKIP_1) | instid1(VALU_DEP_1)
	v_pk_fma_f32 v[100:101], v[94:95], v[90:91], v[98:99] op_sel:[0,0,1] op_sel_hi:[1,1,0] neg_lo:[0,0,1] neg_hi:[0,0,1]
	v_pk_fma_f32 v[94:95], v[94:95], v[90:91], v[98:99] op_sel:[0,0,1] op_sel_hi:[1,0,0]
	v_mov_b32_e32 v101, v95
	v_pk_mul_f32 v[94:95], v[96:97], v[92:93] op_sel:[0,1]
	s_delay_alu instid0(VALU_DEP_2) | instskip(NEXT) | instid1(VALU_DEP_2)
	v_pk_add_f32 v[76:77], v[76:77], v[100:101] neg_lo:[0,1] neg_hi:[0,1]
	v_pk_fma_f32 v[98:99], v[96:97], v[90:91], v[94:95] op_sel:[0,0,1] op_sel_hi:[1,1,0] neg_lo:[0,0,1] neg_hi:[0,0,1]
	v_pk_fma_f32 v[94:95], v[96:97], v[90:91], v[94:95] op_sel:[0,0,1] op_sel_hi:[1,0,0]
	s_delay_alu instid0(VALU_DEP_1) | instskip(SKIP_4) | instid1(VALU_DEP_1)
	v_mov_b32_e32 v99, v95
	ds_load_2addr_b64 v[94:97], v130 offset0:14 offset1:15
	v_pk_add_f32 v[70:71], v[70:71], v[98:99] neg_lo:[0,1] neg_hi:[0,1]
	s_wait_dscnt 0x0
	v_pk_mul_f32 v[98:99], v[94:95], v[92:93] op_sel:[0,1]
	v_pk_fma_f32 v[100:101], v[94:95], v[90:91], v[98:99] op_sel:[0,0,1] op_sel_hi:[1,1,0] neg_lo:[0,0,1] neg_hi:[0,0,1]
	v_pk_fma_f32 v[94:95], v[94:95], v[90:91], v[98:99] op_sel:[0,0,1] op_sel_hi:[1,0,0]
	v_dual_mul_f32 v98, v97, v93 :: v_dual_mov_b32 v94, v97
	s_delay_alu instid0(VALU_DEP_2) | instskip(NEXT) | instid1(VALU_DEP_2)
	v_dual_mov_b32 v101, v95 :: v_dual_mov_b32 v95, v96
	v_pk_fma_f32 v[98:99], v[96:97], v[58:59], v[98:99] op_sel_hi:[1,1,0] neg_lo:[0,0,1] neg_hi:[0,0,1]
	v_mul_f32_e32 v96, v97, v90
	s_delay_alu instid0(VALU_DEP_3) | instskip(NEXT) | instid1(VALU_DEP_2)
	v_pk_add_f32 v[74:75], v[74:75], v[100:101] neg_lo:[0,1] neg_hi:[0,1]
	v_pk_fma_f32 v[94:95], v[94:95], v[58:59], v[96:97] op_sel_hi:[1,1,0]
	s_delay_alu instid0(VALU_DEP_1) | instskip(SKIP_4) | instid1(VALU_DEP_1)
	v_mov_b32_e32 v99, v95
	ds_load_2addr_b64 v[94:97], v130 offset0:16 offset1:17
	v_pk_add_f32 v[68:69], v[68:69], v[98:99] neg_lo:[0,1] neg_hi:[0,1]
	s_wait_dscnt 0x0
	v_pk_mul_f32 v[98:99], v[94:95], v[92:93] op_sel:[0,1]
	v_pk_fma_f32 v[100:101], v[94:95], v[90:91], v[98:99] op_sel:[0,0,1] op_sel_hi:[1,1,0] neg_lo:[0,0,1] neg_hi:[0,0,1]
	v_pk_fma_f32 v[94:95], v[94:95], v[90:91], v[98:99] op_sel:[0,0,1] op_sel_hi:[1,0,0]
	s_delay_alu instid0(VALU_DEP_1) | instskip(SKIP_1) | instid1(VALU_DEP_1)
	v_mov_b32_e32 v101, v95
	v_pk_mul_f32 v[94:95], v[96:97], v[92:93] op_sel:[0,1]
	v_pk_fma_f32 v[98:99], v[96:97], v[90:91], v[94:95] op_sel:[0,0,1] op_sel_hi:[1,1,0] neg_lo:[0,0,1] neg_hi:[0,0,1]
	v_pk_fma_f32 v[94:95], v[96:97], v[90:91], v[94:95] op_sel:[0,0,1] op_sel_hi:[1,0,0]
	s_delay_alu instid0(VALU_DEP_1)
	v_mov_b32_e32 v99, v95
	ds_load_2addr_b64 v[94:97], v130 offset0:18 offset1:19
	v_pk_add_f32 v[72:73], v[72:73], v[100:101] neg_lo:[0,1] neg_hi:[0,1]
	v_pk_add_f32 v[82:83], v[82:83], v[98:99] neg_lo:[0,1] neg_hi:[0,1]
	s_wait_dscnt 0x0
	v_pk_mul_f32 v[98:99], v[94:95], v[92:93] op_sel:[0,1]
	s_delay_alu instid0(VALU_DEP_1) | instskip(SKIP_1) | instid1(VALU_DEP_1)
	v_pk_fma_f32 v[100:101], v[94:95], v[90:91], v[98:99] op_sel:[0,0,1] op_sel_hi:[1,1,0] neg_lo:[0,0,1] neg_hi:[0,0,1]
	v_pk_fma_f32 v[94:95], v[94:95], v[90:91], v[98:99] op_sel:[0,0,1] op_sel_hi:[1,0,0]
	v_mov_b32_e32 v101, v95
	v_pk_mul_f32 v[94:95], v[96:97], v[92:93] op_sel:[0,1]
	s_delay_alu instid0(VALU_DEP_1) | instskip(SKIP_1) | instid1(VALU_DEP_1)
	v_pk_fma_f32 v[98:99], v[96:97], v[90:91], v[94:95] op_sel:[0,0,1] op_sel_hi:[1,1,0] neg_lo:[0,0,1] neg_hi:[0,0,1]
	v_pk_fma_f32 v[94:95], v[96:97], v[90:91], v[94:95] op_sel:[0,0,1] op_sel_hi:[1,0,0]
	v_mov_b32_e32 v99, v95
	ds_load_b64 v[94:95], v130 offset:160
	v_pk_add_f32 v[80:81], v[80:81], v[100:101] neg_lo:[0,1] neg_hi:[0,1]
	v_pk_add_f32 v[78:79], v[78:79], v[98:99] neg_lo:[0,1] neg_hi:[0,1]
	s_wait_dscnt 0x0
	v_pk_mul_f32 v[92:93], v[94:95], v[92:93] op_sel:[0,1]
	s_delay_alu instid0(VALU_DEP_1) | instskip(SKIP_1) | instid1(VALU_DEP_1)
	v_pk_fma_f32 v[96:97], v[94:95], v[90:91], v[92:93] op_sel:[0,0,1] op_sel_hi:[1,1,0] neg_lo:[0,0,1] neg_hi:[0,0,1]
	v_pk_fma_f32 v[90:91], v[94:95], v[90:91], v[92:93] op_sel:[0,0,1] op_sel_hi:[1,0,0]
	v_mov_b32_e32 v97, v91
	s_delay_alu instid0(VALU_DEP_1)
	v_pk_add_f32 v[84:85], v[84:85], v[96:97] neg_lo:[0,1] neg_hi:[0,1]
.LBB41_19:
	s_or_b32 exec_lo, exec_lo, s1
	s_delay_alu instid0(SALU_CYCLE_1)
	s_mov_b32 s2, exec_lo
	s_wait_dscnt 0x0
	s_barrier_signal -1
	s_barrier_wait -1
	v_cmpx_eq_u32_e32 2, v128
	s_cbranch_execz .LBB41_26
; %bb.20:
	ds_store_b64 v129, v[44:45]
	ds_store_2addr_b64 v130, v[42:43], v[28:29] offset0:3 offset1:4
	ds_store_2addr_b64 v130, v[24:25], v[26:27] offset0:5 offset1:6
	;; [unrolled: 1-line block ×9, first 2 shown]
	ds_load_b64 v[90:91], v129
	s_wait_dscnt 0x0
	v_cmp_neq_f32_e32 vcc_lo, 0, v90
	v_cmp_neq_f32_e64 s1, 0, v91
	s_or_b32 s1, vcc_lo, s1
	s_delay_alu instid0(SALU_CYCLE_1)
	s_and_b32 exec_lo, exec_lo, s1
	s_cbranch_execz .LBB41_26
; %bb.21:
	v_cmp_ngt_f32_e64 s1, |v90|, |v91|
                                        ; implicit-def: $vgpr92_vgpr93
	s_and_saveexec_b32 s4, s1
	s_delay_alu instid0(SALU_CYCLE_1)
	s_xor_b32 s1, exec_lo, s4
	s_cbranch_execz .LBB41_23
; %bb.22:
	v_div_scale_f32 v92, null, v91, v91, v90
	v_div_scale_f32 v95, vcc_lo, v90, v91, v90
	s_delay_alu instid0(VALU_DEP_2) | instskip(SKIP_1) | instid1(TRANS32_DEP_1)
	v_rcp_f32_e32 v93, v92
	v_nop
	v_fma_f32 v94, -v92, v93, 1.0
	s_delay_alu instid0(VALU_DEP_1) | instskip(NEXT) | instid1(VALU_DEP_1)
	v_fmac_f32_e32 v93, v94, v93
	v_mul_f32_e32 v94, v95, v93
	s_delay_alu instid0(VALU_DEP_1) | instskip(NEXT) | instid1(VALU_DEP_1)
	v_fma_f32 v96, -v92, v94, v95
	v_fmac_f32_e32 v94, v96, v93
	s_delay_alu instid0(VALU_DEP_1) | instskip(NEXT) | instid1(VALU_DEP_1)
	v_fma_f32 v92, -v92, v94, v95
	v_div_fmas_f32 v92, v92, v93, v94
	s_delay_alu instid0(VALU_DEP_1) | instskip(NEXT) | instid1(VALU_DEP_1)
	v_div_fixup_f32 v92, v92, v91, v90
	v_fmac_f32_e32 v91, v90, v92
	s_delay_alu instid0(VALU_DEP_1) | instskip(SKIP_1) | instid1(VALU_DEP_2)
	v_div_scale_f32 v90, null, v91, v91, 1.0
	v_div_scale_f32 v95, vcc_lo, 1.0, v91, 1.0
	v_rcp_f32_e32 v93, v90
	v_nop
	s_delay_alu instid0(TRANS32_DEP_1) | instskip(NEXT) | instid1(VALU_DEP_1)
	v_fma_f32 v94, -v90, v93, 1.0
	v_fmac_f32_e32 v93, v94, v93
	s_delay_alu instid0(VALU_DEP_1) | instskip(NEXT) | instid1(VALU_DEP_1)
	v_mul_f32_e32 v94, v95, v93
	v_fma_f32 v96, -v90, v94, v95
	s_delay_alu instid0(VALU_DEP_1) | instskip(NEXT) | instid1(VALU_DEP_1)
	v_fmac_f32_e32 v94, v96, v93
	v_fma_f32 v90, -v90, v94, v95
	s_delay_alu instid0(VALU_DEP_1) | instskip(NEXT) | instid1(VALU_DEP_1)
	v_div_fmas_f32 v90, v90, v93, v94
	v_div_fixup_f32 v90, v90, v91, 1.0
	s_delay_alu instid0(VALU_DEP_1)
	v_mul_f32_e32 v92, v92, v90
	v_xor_b32_e32 v93, 0x80000000, v90
                                        ; implicit-def: $vgpr90_vgpr91
.LBB41_23:
	s_and_not1_saveexec_b32 s1, s1
	s_cbranch_execz .LBB41_25
; %bb.24:
	v_div_scale_f32 v92, null, v90, v90, v91
	v_div_scale_f32 v95, vcc_lo, v91, v90, v91
	s_delay_alu instid0(VALU_DEP_2) | instskip(SKIP_1) | instid1(TRANS32_DEP_1)
	v_rcp_f32_e32 v93, v92
	v_nop
	v_fma_f32 v94, -v92, v93, 1.0
	s_delay_alu instid0(VALU_DEP_1) | instskip(NEXT) | instid1(VALU_DEP_1)
	v_fmac_f32_e32 v93, v94, v93
	v_mul_f32_e32 v94, v95, v93
	s_delay_alu instid0(VALU_DEP_1) | instskip(NEXT) | instid1(VALU_DEP_1)
	v_fma_f32 v96, -v92, v94, v95
	v_fmac_f32_e32 v94, v96, v93
	s_delay_alu instid0(VALU_DEP_1) | instskip(NEXT) | instid1(VALU_DEP_1)
	v_fma_f32 v92, -v92, v94, v95
	v_div_fmas_f32 v92, v92, v93, v94
	s_delay_alu instid0(VALU_DEP_1) | instskip(NEXT) | instid1(VALU_DEP_1)
	v_div_fixup_f32 v93, v92, v90, v91
	v_fmac_f32_e32 v90, v91, v93
	s_delay_alu instid0(VALU_DEP_1) | instskip(NEXT) | instid1(VALU_DEP_1)
	v_div_scale_f32 v91, null, v90, v90, 1.0
	v_rcp_f32_e32 v92, v91
	v_nop
	s_delay_alu instid0(TRANS32_DEP_1) | instskip(NEXT) | instid1(VALU_DEP_1)
	v_fma_f32 v94, -v91, v92, 1.0
	v_fmac_f32_e32 v92, v94, v92
	v_div_scale_f32 v94, vcc_lo, 1.0, v90, 1.0
	s_delay_alu instid0(VALU_DEP_1) | instskip(NEXT) | instid1(VALU_DEP_1)
	v_mul_f32_e32 v95, v94, v92
	v_fma_f32 v96, -v91, v95, v94
	s_delay_alu instid0(VALU_DEP_1) | instskip(NEXT) | instid1(VALU_DEP_1)
	v_fmac_f32_e32 v95, v96, v92
	v_fma_f32 v91, -v91, v95, v94
	s_delay_alu instid0(VALU_DEP_1) | instskip(NEXT) | instid1(VALU_DEP_1)
	v_div_fmas_f32 v91, v91, v92, v95
	v_div_fixup_f32 v92, v91, v90, 1.0
	s_delay_alu instid0(VALU_DEP_1)
	v_mul_f32_e64 v93, v93, -v92
.LBB41_25:
	s_or_b32 exec_lo, exec_lo, s1
	ds_store_b64 v129, v[92:93]
.LBB41_26:
	s_or_b32 exec_lo, exec_lo, s2
	s_wait_dscnt 0x0
	s_barrier_signal -1
	s_barrier_wait -1
	ds_load_b64 v[90:91], v129
	s_mov_b32 s1, exec_lo
	v_cmpx_lt_u32_e32 2, v128
	s_cbranch_execz .LBB41_28
; %bb.27:
	ds_load_2addr_b64 v[96:99], v130 offset0:3 offset1:4
	s_wait_dscnt 0x1
	v_pk_mul_f32 v[94:95], v[90:91], v[44:45] op_sel:[1,1] op_sel_hi:[0,1]
	s_delay_alu instid0(VALU_DEP_1) | instskip(SKIP_1) | instid1(VALU_DEP_1)
	v_pk_fma_f32 v[92:93], v[90:91], v[44:45], v[94:95] op_sel_hi:[1,0,1] neg_lo:[0,0,1] neg_hi:[0,0,1]
	v_pk_fma_f32 v[94:95], v[90:91], v[44:45], v[94:95] op_sel_hi:[1,0,1]
	v_dual_mov_b32 v44, v92 :: v_dual_mov_b32 v45, v95
	s_wait_dscnt 0x0
	s_delay_alu instid0(VALU_DEP_2) | instskip(NEXT) | instid1(VALU_DEP_1)
	v_pk_mul_f32 v[100:101], v[96:97], v[94:95] op_sel:[0,1]
	v_pk_fma_f32 v[102:103], v[96:97], v[92:93], v[100:101] op_sel:[0,0,1] op_sel_hi:[1,1,0] neg_lo:[0,0,1] neg_hi:[0,0,1]
	v_pk_fma_f32 v[96:97], v[96:97], v[92:93], v[100:101] op_sel:[0,0,1] op_sel_hi:[1,0,0]
	s_delay_alu instid0(VALU_DEP_1) | instskip(SKIP_1) | instid1(VALU_DEP_1)
	v_mov_b32_e32 v103, v97
	v_pk_mul_f32 v[96:97], v[98:99], v[94:95] op_sel:[0,1]
	v_pk_fma_f32 v[100:101], v[98:99], v[92:93], v[96:97] op_sel:[0,0,1] op_sel_hi:[1,1,0] neg_lo:[0,0,1] neg_hi:[0,0,1]
	v_pk_fma_f32 v[96:97], v[98:99], v[92:93], v[96:97] op_sel:[0,0,1] op_sel_hi:[1,0,0]
	s_delay_alu instid0(VALU_DEP_1)
	v_mov_b32_e32 v101, v97
	ds_load_2addr_b64 v[96:99], v130 offset0:5 offset1:6
	v_pk_add_f32 v[42:43], v[42:43], v[102:103] neg_lo:[0,1] neg_hi:[0,1]
	v_pk_add_f32 v[28:29], v[28:29], v[100:101] neg_lo:[0,1] neg_hi:[0,1]
	s_wait_dscnt 0x0
	v_pk_mul_f32 v[100:101], v[96:97], v[94:95] op_sel:[0,1]
	s_delay_alu instid0(VALU_DEP_1) | instskip(SKIP_2) | instid1(VALU_DEP_2)
	v_pk_fma_f32 v[102:103], v[96:97], v[92:93], v[100:101] op_sel:[0,0,1] op_sel_hi:[1,1,0] neg_lo:[0,0,1] neg_hi:[0,0,1]
	v_pk_fma_f32 v[96:97], v[96:97], v[92:93], v[100:101] op_sel:[0,0,1] op_sel_hi:[1,0,0]
	v_dual_mul_f32 v100, v99, v95 :: v_dual_mov_b32 v96, v99
	v_dual_mov_b32 v103, v97 :: v_dual_mov_b32 v97, v98
	s_delay_alu instid0(VALU_DEP_2) | instskip(SKIP_1) | instid1(VALU_DEP_3)
	v_pk_fma_f32 v[100:101], v[98:99], v[44:45], v[100:101] op_sel_hi:[1,1,0] neg_lo:[0,0,1] neg_hi:[0,0,1]
	v_mul_f32_e32 v98, v99, v92
	v_pk_add_f32 v[24:25], v[24:25], v[102:103] neg_lo:[0,1] neg_hi:[0,1]
	s_delay_alu instid0(VALU_DEP_2) | instskip(NEXT) | instid1(VALU_DEP_1)
	v_pk_fma_f32 v[96:97], v[96:97], v[44:45], v[98:99] op_sel_hi:[1,1,0]
	v_mov_b32_e32 v101, v97
	ds_load_2addr_b64 v[96:99], v130 offset0:7 offset1:8
	v_pk_add_f32 v[26:27], v[26:27], v[100:101] neg_lo:[0,1] neg_hi:[0,1]
	s_wait_dscnt 0x0
	v_pk_mul_f32 v[100:101], v[96:97], v[94:95] op_sel:[0,1]
	s_delay_alu instid0(VALU_DEP_1) | instskip(SKIP_1) | instid1(VALU_DEP_1)
	v_pk_fma_f32 v[102:103], v[96:97], v[92:93], v[100:101] op_sel:[0,0,1] op_sel_hi:[1,1,0] neg_lo:[0,0,1] neg_hi:[0,0,1]
	v_pk_fma_f32 v[96:97], v[96:97], v[92:93], v[100:101] op_sel:[0,0,1] op_sel_hi:[1,0,0]
	v_mov_b32_e32 v103, v97
	v_pk_mul_f32 v[96:97], v[98:99], v[94:95] op_sel:[0,1]
	s_delay_alu instid0(VALU_DEP_1) | instskip(SKIP_1) | instid1(VALU_DEP_1)
	v_pk_fma_f32 v[100:101], v[98:99], v[92:93], v[96:97] op_sel:[0,0,1] op_sel_hi:[1,1,0] neg_lo:[0,0,1] neg_hi:[0,0,1]
	v_pk_fma_f32 v[96:97], v[98:99], v[92:93], v[96:97] op_sel:[0,0,1] op_sel_hi:[1,0,0]
	v_mov_b32_e32 v101, v97
	ds_load_2addr_b64 v[96:99], v130 offset0:9 offset1:10
	v_pk_add_f32 v[22:23], v[22:23], v[102:103] neg_lo:[0,1] neg_hi:[0,1]
	v_pk_add_f32 v[52:53], v[52:53], v[100:101] neg_lo:[0,1] neg_hi:[0,1]
	s_wait_dscnt 0x0
	v_pk_mul_f32 v[100:101], v[96:97], v[94:95] op_sel:[0,1]
	s_delay_alu instid0(VALU_DEP_1) | instskip(SKIP_1) | instid1(VALU_DEP_1)
	v_pk_fma_f32 v[102:103], v[96:97], v[92:93], v[100:101] op_sel:[0,0,1] op_sel_hi:[1,1,0] neg_lo:[0,0,1] neg_hi:[0,0,1]
	v_pk_fma_f32 v[96:97], v[96:97], v[92:93], v[100:101] op_sel:[0,0,1] op_sel_hi:[1,0,0]
	v_mov_b32_e32 v103, v97
	v_pk_mul_f32 v[96:97], v[98:99], v[94:95] op_sel:[0,1]
	s_delay_alu instid0(VALU_DEP_1) | instskip(SKIP_1) | instid1(VALU_DEP_1)
	v_pk_fma_f32 v[100:101], v[98:99], v[92:93], v[96:97] op_sel:[0,0,1] op_sel_hi:[1,1,0] neg_lo:[0,0,1] neg_hi:[0,0,1]
	v_pk_fma_f32 v[96:97], v[98:99], v[92:93], v[96:97] op_sel:[0,0,1] op_sel_hi:[1,0,0]
	v_mov_b32_e32 v101, v97
	ds_load_2addr_b64 v[96:99], v130 offset0:11 offset1:12
	v_pk_add_f32 v[48:49], v[48:49], v[102:103] neg_lo:[0,1] neg_hi:[0,1]
	v_pk_add_f32 v[50:51], v[50:51], v[100:101] neg_lo:[0,1] neg_hi:[0,1]
	s_wait_dscnt 0x0
	v_dual_mul_f32 v100, v97, v95 :: v_dual_mul_f32 v102, v97, v92
	s_delay_alu instid0(VALU_DEP_1) | instskip(NEXT) | instid1(VALU_DEP_2)
	v_pk_fma_f32 v[100:101], v[96:97], v[44:45], v[100:101] op_sel_hi:[1,1,0] neg_lo:[0,0,1] neg_hi:[0,0,1]
	v_pk_fma_f32 v[96:97], v[96:97], v[44:45], v[102:103] op_sel:[1,0,0] op_sel_hi:[0,1,0]
	s_delay_alu instid0(VALU_DEP_1) | instskip(SKIP_1) | instid1(VALU_DEP_2)
	v_mov_b32_e32 v101, v97
	v_pk_mul_f32 v[96:97], v[98:99], v[94:95] op_sel:[0,1]
	v_pk_add_f32 v[46:47], v[46:47], v[100:101] neg_lo:[0,1] neg_hi:[0,1]
	s_delay_alu instid0(VALU_DEP_2) | instskip(SKIP_1) | instid1(VALU_DEP_1)
	v_pk_fma_f32 v[100:101], v[98:99], v[92:93], v[96:97] op_sel:[0,0,1] op_sel_hi:[1,1,0] neg_lo:[0,0,1] neg_hi:[0,0,1]
	v_pk_fma_f32 v[96:97], v[98:99], v[92:93], v[96:97] op_sel:[0,0,1] op_sel_hi:[1,0,0]
	v_mov_b32_e32 v101, v97
	ds_load_2addr_b64 v[96:99], v130 offset0:13 offset1:14
	v_pk_add_f32 v[76:77], v[76:77], v[100:101] neg_lo:[0,1] neg_hi:[0,1]
	s_wait_dscnt 0x0
	v_pk_mul_f32 v[100:101], v[96:97], v[94:95] op_sel:[0,1]
	s_delay_alu instid0(VALU_DEP_1) | instskip(SKIP_1) | instid1(VALU_DEP_1)
	v_pk_fma_f32 v[102:103], v[96:97], v[92:93], v[100:101] op_sel:[0,0,1] op_sel_hi:[1,1,0] neg_lo:[0,0,1] neg_hi:[0,0,1]
	v_pk_fma_f32 v[96:97], v[96:97], v[92:93], v[100:101] op_sel:[0,0,1] op_sel_hi:[1,0,0]
	v_mov_b32_e32 v103, v97
	v_pk_mul_f32 v[96:97], v[98:99], v[94:95] op_sel:[0,1]
	s_delay_alu instid0(VALU_DEP_2) | instskip(NEXT) | instid1(VALU_DEP_2)
	v_pk_add_f32 v[70:71], v[70:71], v[102:103] neg_lo:[0,1] neg_hi:[0,1]
	v_pk_fma_f32 v[100:101], v[98:99], v[92:93], v[96:97] op_sel:[0,0,1] op_sel_hi:[1,1,0] neg_lo:[0,0,1] neg_hi:[0,0,1]
	v_pk_fma_f32 v[96:97], v[98:99], v[92:93], v[96:97] op_sel:[0,0,1] op_sel_hi:[1,0,0]
	s_delay_alu instid0(VALU_DEP_1) | instskip(SKIP_4) | instid1(VALU_DEP_1)
	v_mov_b32_e32 v101, v97
	ds_load_2addr_b64 v[96:99], v130 offset0:15 offset1:16
	v_pk_add_f32 v[74:75], v[74:75], v[100:101] neg_lo:[0,1] neg_hi:[0,1]
	s_wait_dscnt 0x0
	v_pk_mul_f32 v[100:101], v[96:97], v[94:95] op_sel:[0,1]
	v_pk_fma_f32 v[102:103], v[96:97], v[92:93], v[100:101] op_sel:[0,0,1] op_sel_hi:[1,1,0] neg_lo:[0,0,1] neg_hi:[0,0,1]
	v_pk_fma_f32 v[96:97], v[96:97], v[92:93], v[100:101] op_sel:[0,0,1] op_sel_hi:[1,0,0]
	v_dual_mul_f32 v100, v99, v95 :: v_dual_mov_b32 v96, v99
	s_delay_alu instid0(VALU_DEP_2) | instskip(NEXT) | instid1(VALU_DEP_2)
	v_dual_mov_b32 v103, v97 :: v_dual_mov_b32 v97, v98
	v_pk_fma_f32 v[100:101], v[98:99], v[44:45], v[100:101] op_sel_hi:[1,1,0] neg_lo:[0,0,1] neg_hi:[0,0,1]
	v_mul_f32_e32 v98, v99, v92
	s_delay_alu instid0(VALU_DEP_3) | instskip(NEXT) | instid1(VALU_DEP_2)
	v_pk_add_f32 v[68:69], v[68:69], v[102:103] neg_lo:[0,1] neg_hi:[0,1]
	v_pk_fma_f32 v[96:97], v[96:97], v[44:45], v[98:99] op_sel_hi:[1,1,0]
	s_delay_alu instid0(VALU_DEP_1) | instskip(SKIP_4) | instid1(VALU_DEP_1)
	v_mov_b32_e32 v101, v97
	ds_load_2addr_b64 v[96:99], v130 offset0:17 offset1:18
	v_pk_add_f32 v[72:73], v[72:73], v[100:101] neg_lo:[0,1] neg_hi:[0,1]
	s_wait_dscnt 0x0
	v_pk_mul_f32 v[100:101], v[96:97], v[94:95] op_sel:[0,1]
	v_pk_fma_f32 v[102:103], v[96:97], v[92:93], v[100:101] op_sel:[0,0,1] op_sel_hi:[1,1,0] neg_lo:[0,0,1] neg_hi:[0,0,1]
	v_pk_fma_f32 v[96:97], v[96:97], v[92:93], v[100:101] op_sel:[0,0,1] op_sel_hi:[1,0,0]
	s_delay_alu instid0(VALU_DEP_1) | instskip(SKIP_1) | instid1(VALU_DEP_1)
	v_mov_b32_e32 v103, v97
	v_pk_mul_f32 v[96:97], v[98:99], v[94:95] op_sel:[0,1]
	v_pk_fma_f32 v[100:101], v[98:99], v[92:93], v[96:97] op_sel:[0,0,1] op_sel_hi:[1,1,0] neg_lo:[0,0,1] neg_hi:[0,0,1]
	v_pk_fma_f32 v[96:97], v[98:99], v[92:93], v[96:97] op_sel:[0,0,1] op_sel_hi:[1,0,0]
	s_delay_alu instid0(VALU_DEP_1)
	v_mov_b32_e32 v101, v97
	ds_load_2addr_b64 v[96:99], v130 offset0:19 offset1:20
	v_pk_add_f32 v[82:83], v[82:83], v[102:103] neg_lo:[0,1] neg_hi:[0,1]
	v_pk_add_f32 v[80:81], v[80:81], v[100:101] neg_lo:[0,1] neg_hi:[0,1]
	s_wait_dscnt 0x0
	v_pk_mul_f32 v[100:101], v[96:97], v[94:95] op_sel:[0,1]
	v_mul_f32_e32 v94, v99, v95
	s_delay_alu instid0(VALU_DEP_2) | instskip(SKIP_2) | instid1(VALU_DEP_4)
	v_pk_fma_f32 v[102:103], v[96:97], v[92:93], v[100:101] op_sel:[0,0,1] op_sel_hi:[1,1,0] neg_lo:[0,0,1] neg_hi:[0,0,1]
	v_pk_fma_f32 v[96:97], v[96:97], v[92:93], v[100:101] op_sel:[0,0,1] op_sel_hi:[1,0,0]
	v_dual_mov_b32 v96, v99 :: v_dual_mul_f32 v92, v99, v92
	v_pk_fma_f32 v[94:95], v[98:99], v[44:45], v[94:95] op_sel_hi:[1,1,0] neg_lo:[0,0,1] neg_hi:[0,0,1]
	s_delay_alu instid0(VALU_DEP_3) | instskip(NEXT) | instid1(VALU_DEP_1)
	v_dual_mov_b32 v103, v97 :: v_dual_mov_b32 v97, v98
	v_pk_add_f32 v[78:79], v[78:79], v[102:103] neg_lo:[0,1] neg_hi:[0,1]
	s_delay_alu instid0(VALU_DEP_2) | instskip(NEXT) | instid1(VALU_DEP_1)
	v_pk_fma_f32 v[92:93], v[96:97], v[44:45], v[92:93] op_sel_hi:[1,1,0]
	v_mov_b32_e32 v95, v93
	s_delay_alu instid0(VALU_DEP_1)
	v_pk_add_f32 v[84:85], v[84:85], v[94:95] neg_lo:[0,1] neg_hi:[0,1]
.LBB41_28:
	s_or_b32 exec_lo, exec_lo, s1
	s_delay_alu instid0(SALU_CYCLE_1)
	s_mov_b32 s2, exec_lo
	s_wait_dscnt 0x0
	s_barrier_signal -1
	s_barrier_wait -1
	v_cmpx_eq_u32_e32 3, v128
	s_cbranch_execz .LBB41_35
; %bb.29:
	v_dual_mov_b32 v92, v28 :: v_dual_mov_b32 v93, v29
	v_dual_mov_b32 v94, v24 :: v_dual_mov_b32 v95, v25
	ds_store_b64 v129, v[42:43]
	ds_store_2addr_b64 v130, v[92:93], v[94:95] offset0:4 offset1:5
	v_dual_mov_b32 v92, v26 :: v_dual_mov_b32 v93, v27
	v_dual_mov_b32 v94, v22 :: v_dual_mov_b32 v95, v23
	ds_store_2addr_b64 v130, v[92:93], v[94:95] offset0:6 offset1:7
	v_dual_mov_b32 v92, v52 :: v_dual_mov_b32 v93, v53
	v_dual_mov_b32 v94, v48 :: v_dual_mov_b32 v95, v49
	;; [unrolled: 3-line block ×7, first 2 shown]
	ds_store_2addr_b64 v130, v[92:93], v[94:95] offset0:18 offset1:19
	ds_store_b64 v130, v[84:85] offset:160
	ds_load_b64 v[92:93], v129
	s_wait_dscnt 0x0
	v_cmp_neq_f32_e32 vcc_lo, 0, v92
	v_cmp_neq_f32_e64 s1, 0, v93
	s_or_b32 s1, vcc_lo, s1
	s_delay_alu instid0(SALU_CYCLE_1)
	s_and_b32 exec_lo, exec_lo, s1
	s_cbranch_execz .LBB41_35
; %bb.30:
	v_cmp_ngt_f32_e64 s1, |v92|, |v93|
                                        ; implicit-def: $vgpr94_vgpr95
	s_and_saveexec_b32 s4, s1
	s_delay_alu instid0(SALU_CYCLE_1)
	s_xor_b32 s1, exec_lo, s4
	s_cbranch_execz .LBB41_32
; %bb.31:
	v_div_scale_f32 v94, null, v93, v93, v92
	v_div_scale_f32 v97, vcc_lo, v92, v93, v92
	s_delay_alu instid0(VALU_DEP_2) | instskip(SKIP_1) | instid1(TRANS32_DEP_1)
	v_rcp_f32_e32 v95, v94
	v_nop
	v_fma_f32 v96, -v94, v95, 1.0
	s_delay_alu instid0(VALU_DEP_1) | instskip(NEXT) | instid1(VALU_DEP_1)
	v_fmac_f32_e32 v95, v96, v95
	v_mul_f32_e32 v96, v97, v95
	s_delay_alu instid0(VALU_DEP_1) | instskip(NEXT) | instid1(VALU_DEP_1)
	v_fma_f32 v98, -v94, v96, v97
	v_fmac_f32_e32 v96, v98, v95
	s_delay_alu instid0(VALU_DEP_1) | instskip(NEXT) | instid1(VALU_DEP_1)
	v_fma_f32 v94, -v94, v96, v97
	v_div_fmas_f32 v94, v94, v95, v96
	s_delay_alu instid0(VALU_DEP_1) | instskip(NEXT) | instid1(VALU_DEP_1)
	v_div_fixup_f32 v94, v94, v93, v92
	v_fmac_f32_e32 v93, v92, v94
	s_delay_alu instid0(VALU_DEP_1) | instskip(SKIP_1) | instid1(VALU_DEP_2)
	v_div_scale_f32 v92, null, v93, v93, 1.0
	v_div_scale_f32 v97, vcc_lo, 1.0, v93, 1.0
	v_rcp_f32_e32 v95, v92
	v_nop
	s_delay_alu instid0(TRANS32_DEP_1) | instskip(NEXT) | instid1(VALU_DEP_1)
	v_fma_f32 v96, -v92, v95, 1.0
	v_fmac_f32_e32 v95, v96, v95
	s_delay_alu instid0(VALU_DEP_1) | instskip(NEXT) | instid1(VALU_DEP_1)
	v_mul_f32_e32 v96, v97, v95
	v_fma_f32 v98, -v92, v96, v97
	s_delay_alu instid0(VALU_DEP_1) | instskip(NEXT) | instid1(VALU_DEP_1)
	v_fmac_f32_e32 v96, v98, v95
	v_fma_f32 v92, -v92, v96, v97
	s_delay_alu instid0(VALU_DEP_1) | instskip(NEXT) | instid1(VALU_DEP_1)
	v_div_fmas_f32 v92, v92, v95, v96
	v_div_fixup_f32 v92, v92, v93, 1.0
	s_delay_alu instid0(VALU_DEP_1)
	v_mul_f32_e32 v94, v94, v92
	v_xor_b32_e32 v95, 0x80000000, v92
                                        ; implicit-def: $vgpr92_vgpr93
.LBB41_32:
	s_and_not1_saveexec_b32 s1, s1
	s_cbranch_execz .LBB41_34
; %bb.33:
	v_div_scale_f32 v94, null, v92, v92, v93
	v_div_scale_f32 v97, vcc_lo, v93, v92, v93
	s_delay_alu instid0(VALU_DEP_2) | instskip(SKIP_1) | instid1(TRANS32_DEP_1)
	v_rcp_f32_e32 v95, v94
	v_nop
	v_fma_f32 v96, -v94, v95, 1.0
	s_delay_alu instid0(VALU_DEP_1) | instskip(NEXT) | instid1(VALU_DEP_1)
	v_fmac_f32_e32 v95, v96, v95
	v_mul_f32_e32 v96, v97, v95
	s_delay_alu instid0(VALU_DEP_1) | instskip(NEXT) | instid1(VALU_DEP_1)
	v_fma_f32 v98, -v94, v96, v97
	v_fmac_f32_e32 v96, v98, v95
	s_delay_alu instid0(VALU_DEP_1) | instskip(NEXT) | instid1(VALU_DEP_1)
	v_fma_f32 v94, -v94, v96, v97
	v_div_fmas_f32 v94, v94, v95, v96
	s_delay_alu instid0(VALU_DEP_1) | instskip(NEXT) | instid1(VALU_DEP_1)
	v_div_fixup_f32 v95, v94, v92, v93
	v_fmac_f32_e32 v92, v93, v95
	s_delay_alu instid0(VALU_DEP_1) | instskip(NEXT) | instid1(VALU_DEP_1)
	v_div_scale_f32 v93, null, v92, v92, 1.0
	v_rcp_f32_e32 v94, v93
	v_nop
	s_delay_alu instid0(TRANS32_DEP_1) | instskip(NEXT) | instid1(VALU_DEP_1)
	v_fma_f32 v96, -v93, v94, 1.0
	v_fmac_f32_e32 v94, v96, v94
	v_div_scale_f32 v96, vcc_lo, 1.0, v92, 1.0
	s_delay_alu instid0(VALU_DEP_1) | instskip(NEXT) | instid1(VALU_DEP_1)
	v_mul_f32_e32 v97, v96, v94
	v_fma_f32 v98, -v93, v97, v96
	s_delay_alu instid0(VALU_DEP_1) | instskip(NEXT) | instid1(VALU_DEP_1)
	v_fmac_f32_e32 v97, v98, v94
	v_fma_f32 v93, -v93, v97, v96
	s_delay_alu instid0(VALU_DEP_1) | instskip(NEXT) | instid1(VALU_DEP_1)
	v_div_fmas_f32 v93, v93, v94, v97
	v_div_fixup_f32 v94, v93, v92, 1.0
	s_delay_alu instid0(VALU_DEP_1)
	v_mul_f32_e64 v95, v95, -v94
.LBB41_34:
	s_or_b32 exec_lo, exec_lo, s1
	ds_store_b64 v129, v[94:95]
.LBB41_35:
	s_or_b32 exec_lo, exec_lo, s2
	s_wait_dscnt 0x0
	s_barrier_signal -1
	s_barrier_wait -1
	ds_load_b64 v[92:93], v129
	s_mov_b32 s1, exec_lo
	v_cmpx_lt_u32_e32 3, v128
	s_cbranch_execz .LBB41_37
; %bb.36:
	ds_load_2addr_b64 v[98:101], v130 offset0:4 offset1:5
	s_wait_dscnt 0x1
	v_pk_mul_f32 v[96:97], v[92:93], v[42:43] op_sel:[1,1] op_sel_hi:[0,1]
	s_delay_alu instid0(VALU_DEP_1) | instskip(SKIP_1) | instid1(VALU_DEP_1)
	v_pk_fma_f32 v[94:95], v[92:93], v[42:43], v[96:97] op_sel_hi:[1,0,1] neg_lo:[0,0,1] neg_hi:[0,0,1]
	v_pk_fma_f32 v[96:97], v[92:93], v[42:43], v[96:97] op_sel_hi:[1,0,1]
	v_dual_mov_b32 v42, v94 :: v_dual_mov_b32 v43, v97
	s_wait_dscnt 0x0
	s_delay_alu instid0(VALU_DEP_2) | instskip(NEXT) | instid1(VALU_DEP_1)
	v_pk_mul_f32 v[102:103], v[98:99], v[96:97] op_sel:[0,1]
	v_pk_fma_f32 v[104:105], v[98:99], v[94:95], v[102:103] op_sel:[0,0,1] op_sel_hi:[1,1,0] neg_lo:[0,0,1] neg_hi:[0,0,1]
	v_pk_fma_f32 v[98:99], v[98:99], v[94:95], v[102:103] op_sel:[0,0,1] op_sel_hi:[1,0,0]
	s_delay_alu instid0(VALU_DEP_1) | instskip(SKIP_1) | instid1(VALU_DEP_1)
	v_mov_b32_e32 v105, v99
	v_pk_mul_f32 v[98:99], v[100:101], v[96:97] op_sel:[0,1]
	v_pk_fma_f32 v[102:103], v[100:101], v[94:95], v[98:99] op_sel:[0,0,1] op_sel_hi:[1,1,0] neg_lo:[0,0,1] neg_hi:[0,0,1]
	v_pk_fma_f32 v[98:99], v[100:101], v[94:95], v[98:99] op_sel:[0,0,1] op_sel_hi:[1,0,0]
	s_delay_alu instid0(VALU_DEP_1)
	v_mov_b32_e32 v103, v99
	ds_load_2addr_b64 v[98:101], v130 offset0:6 offset1:7
	v_pk_add_f32 v[28:29], v[28:29], v[104:105] neg_lo:[0,1] neg_hi:[0,1]
	v_pk_add_f32 v[24:25], v[24:25], v[102:103] neg_lo:[0,1] neg_hi:[0,1]
	s_wait_dscnt 0x0
	v_pk_mul_f32 v[102:103], v[98:99], v[96:97] op_sel:[0,1]
	s_delay_alu instid0(VALU_DEP_1) | instskip(SKIP_2) | instid1(VALU_DEP_2)
	v_pk_fma_f32 v[104:105], v[98:99], v[94:95], v[102:103] op_sel:[0,0,1] op_sel_hi:[1,1,0] neg_lo:[0,0,1] neg_hi:[0,0,1]
	v_pk_fma_f32 v[98:99], v[98:99], v[94:95], v[102:103] op_sel:[0,0,1] op_sel_hi:[1,0,0]
	v_dual_mul_f32 v102, v101, v97 :: v_dual_mov_b32 v98, v101
	v_dual_mov_b32 v105, v99 :: v_dual_mov_b32 v99, v100
	s_delay_alu instid0(VALU_DEP_2) | instskip(SKIP_1) | instid1(VALU_DEP_3)
	v_pk_fma_f32 v[102:103], v[100:101], v[42:43], v[102:103] op_sel_hi:[1,1,0] neg_lo:[0,0,1] neg_hi:[0,0,1]
	v_mul_f32_e32 v100, v101, v94
	v_pk_add_f32 v[26:27], v[26:27], v[104:105] neg_lo:[0,1] neg_hi:[0,1]
	s_delay_alu instid0(VALU_DEP_2) | instskip(NEXT) | instid1(VALU_DEP_1)
	v_pk_fma_f32 v[98:99], v[98:99], v[42:43], v[100:101] op_sel_hi:[1,1,0]
	v_mov_b32_e32 v103, v99
	ds_load_2addr_b64 v[98:101], v130 offset0:8 offset1:9
	v_pk_add_f32 v[22:23], v[22:23], v[102:103] neg_lo:[0,1] neg_hi:[0,1]
	s_wait_dscnt 0x0
	v_pk_mul_f32 v[102:103], v[98:99], v[96:97] op_sel:[0,1]
	s_delay_alu instid0(VALU_DEP_1) | instskip(SKIP_1) | instid1(VALU_DEP_1)
	v_pk_fma_f32 v[104:105], v[98:99], v[94:95], v[102:103] op_sel:[0,0,1] op_sel_hi:[1,1,0] neg_lo:[0,0,1] neg_hi:[0,0,1]
	v_pk_fma_f32 v[98:99], v[98:99], v[94:95], v[102:103] op_sel:[0,0,1] op_sel_hi:[1,0,0]
	v_mov_b32_e32 v105, v99
	v_pk_mul_f32 v[98:99], v[100:101], v[96:97] op_sel:[0,1]
	s_delay_alu instid0(VALU_DEP_1) | instskip(SKIP_1) | instid1(VALU_DEP_1)
	v_pk_fma_f32 v[102:103], v[100:101], v[94:95], v[98:99] op_sel:[0,0,1] op_sel_hi:[1,1,0] neg_lo:[0,0,1] neg_hi:[0,0,1]
	v_pk_fma_f32 v[98:99], v[100:101], v[94:95], v[98:99] op_sel:[0,0,1] op_sel_hi:[1,0,0]
	v_mov_b32_e32 v103, v99
	ds_load_2addr_b64 v[98:101], v130 offset0:10 offset1:11
	v_pk_add_f32 v[52:53], v[52:53], v[104:105] neg_lo:[0,1] neg_hi:[0,1]
	v_pk_add_f32 v[48:49], v[48:49], v[102:103] neg_lo:[0,1] neg_hi:[0,1]
	s_wait_dscnt 0x0
	v_pk_mul_f32 v[102:103], v[98:99], v[96:97] op_sel:[0,1]
	s_delay_alu instid0(VALU_DEP_1) | instskip(SKIP_1) | instid1(VALU_DEP_1)
	v_pk_fma_f32 v[104:105], v[98:99], v[94:95], v[102:103] op_sel:[0,0,1] op_sel_hi:[1,1,0] neg_lo:[0,0,1] neg_hi:[0,0,1]
	v_pk_fma_f32 v[98:99], v[98:99], v[94:95], v[102:103] op_sel:[0,0,1] op_sel_hi:[1,0,0]
	v_mov_b32_e32 v105, v99
	v_pk_mul_f32 v[98:99], v[100:101], v[96:97] op_sel:[0,1]
	s_delay_alu instid0(VALU_DEP_1) | instskip(SKIP_1) | instid1(VALU_DEP_1)
	v_pk_fma_f32 v[102:103], v[100:101], v[94:95], v[98:99] op_sel:[0,0,1] op_sel_hi:[1,1,0] neg_lo:[0,0,1] neg_hi:[0,0,1]
	v_pk_fma_f32 v[98:99], v[100:101], v[94:95], v[98:99] op_sel:[0,0,1] op_sel_hi:[1,0,0]
	v_mov_b32_e32 v103, v99
	ds_load_2addr_b64 v[98:101], v130 offset0:12 offset1:13
	v_pk_add_f32 v[50:51], v[50:51], v[104:105] neg_lo:[0,1] neg_hi:[0,1]
	v_pk_add_f32 v[46:47], v[46:47], v[102:103] neg_lo:[0,1] neg_hi:[0,1]
	s_wait_dscnt 0x0
	v_dual_mul_f32 v102, v99, v97 :: v_dual_mul_f32 v104, v99, v94
	s_delay_alu instid0(VALU_DEP_1) | instskip(NEXT) | instid1(VALU_DEP_2)
	v_pk_fma_f32 v[102:103], v[98:99], v[42:43], v[102:103] op_sel_hi:[1,1,0] neg_lo:[0,0,1] neg_hi:[0,0,1]
	v_pk_fma_f32 v[98:99], v[98:99], v[42:43], v[104:105] op_sel:[1,0,0] op_sel_hi:[0,1,0]
	s_delay_alu instid0(VALU_DEP_1) | instskip(SKIP_1) | instid1(VALU_DEP_2)
	v_mov_b32_e32 v103, v99
	v_pk_mul_f32 v[98:99], v[100:101], v[96:97] op_sel:[0,1]
	v_pk_add_f32 v[76:77], v[76:77], v[102:103] neg_lo:[0,1] neg_hi:[0,1]
	s_delay_alu instid0(VALU_DEP_2) | instskip(SKIP_1) | instid1(VALU_DEP_1)
	v_pk_fma_f32 v[102:103], v[100:101], v[94:95], v[98:99] op_sel:[0,0,1] op_sel_hi:[1,1,0] neg_lo:[0,0,1] neg_hi:[0,0,1]
	v_pk_fma_f32 v[98:99], v[100:101], v[94:95], v[98:99] op_sel:[0,0,1] op_sel_hi:[1,0,0]
	v_mov_b32_e32 v103, v99
	ds_load_2addr_b64 v[98:101], v130 offset0:14 offset1:15
	v_pk_add_f32 v[70:71], v[70:71], v[102:103] neg_lo:[0,1] neg_hi:[0,1]
	s_wait_dscnt 0x0
	v_pk_mul_f32 v[102:103], v[98:99], v[96:97] op_sel:[0,1]
	s_delay_alu instid0(VALU_DEP_1) | instskip(SKIP_1) | instid1(VALU_DEP_1)
	v_pk_fma_f32 v[104:105], v[98:99], v[94:95], v[102:103] op_sel:[0,0,1] op_sel_hi:[1,1,0] neg_lo:[0,0,1] neg_hi:[0,0,1]
	v_pk_fma_f32 v[98:99], v[98:99], v[94:95], v[102:103] op_sel:[0,0,1] op_sel_hi:[1,0,0]
	v_mov_b32_e32 v105, v99
	v_pk_mul_f32 v[98:99], v[100:101], v[96:97] op_sel:[0,1]
	s_delay_alu instid0(VALU_DEP_2) | instskip(NEXT) | instid1(VALU_DEP_2)
	v_pk_add_f32 v[74:75], v[74:75], v[104:105] neg_lo:[0,1] neg_hi:[0,1]
	v_pk_fma_f32 v[102:103], v[100:101], v[94:95], v[98:99] op_sel:[0,0,1] op_sel_hi:[1,1,0] neg_lo:[0,0,1] neg_hi:[0,0,1]
	v_pk_fma_f32 v[98:99], v[100:101], v[94:95], v[98:99] op_sel:[0,0,1] op_sel_hi:[1,0,0]
	s_delay_alu instid0(VALU_DEP_1) | instskip(SKIP_4) | instid1(VALU_DEP_1)
	v_mov_b32_e32 v103, v99
	ds_load_2addr_b64 v[98:101], v130 offset0:16 offset1:17
	v_pk_add_f32 v[68:69], v[68:69], v[102:103] neg_lo:[0,1] neg_hi:[0,1]
	s_wait_dscnt 0x0
	v_pk_mul_f32 v[102:103], v[98:99], v[96:97] op_sel:[0,1]
	v_pk_fma_f32 v[104:105], v[98:99], v[94:95], v[102:103] op_sel:[0,0,1] op_sel_hi:[1,1,0] neg_lo:[0,0,1] neg_hi:[0,0,1]
	v_pk_fma_f32 v[98:99], v[98:99], v[94:95], v[102:103] op_sel:[0,0,1] op_sel_hi:[1,0,0]
	v_dual_mul_f32 v102, v101, v97 :: v_dual_mov_b32 v98, v101
	s_delay_alu instid0(VALU_DEP_2) | instskip(NEXT) | instid1(VALU_DEP_2)
	v_dual_mov_b32 v105, v99 :: v_dual_mov_b32 v99, v100
	v_pk_fma_f32 v[102:103], v[100:101], v[42:43], v[102:103] op_sel_hi:[1,1,0] neg_lo:[0,0,1] neg_hi:[0,0,1]
	v_mul_f32_e32 v100, v101, v94
	s_delay_alu instid0(VALU_DEP_3) | instskip(NEXT) | instid1(VALU_DEP_2)
	v_pk_add_f32 v[72:73], v[72:73], v[104:105] neg_lo:[0,1] neg_hi:[0,1]
	v_pk_fma_f32 v[98:99], v[98:99], v[42:43], v[100:101] op_sel_hi:[1,1,0]
	s_delay_alu instid0(VALU_DEP_1) | instskip(SKIP_4) | instid1(VALU_DEP_1)
	v_mov_b32_e32 v103, v99
	ds_load_2addr_b64 v[98:101], v130 offset0:18 offset1:19
	v_pk_add_f32 v[82:83], v[82:83], v[102:103] neg_lo:[0,1] neg_hi:[0,1]
	s_wait_dscnt 0x0
	v_pk_mul_f32 v[102:103], v[98:99], v[96:97] op_sel:[0,1]
	v_pk_fma_f32 v[104:105], v[98:99], v[94:95], v[102:103] op_sel:[0,0,1] op_sel_hi:[1,1,0] neg_lo:[0,0,1] neg_hi:[0,0,1]
	v_pk_fma_f32 v[98:99], v[98:99], v[94:95], v[102:103] op_sel:[0,0,1] op_sel_hi:[1,0,0]
	s_delay_alu instid0(VALU_DEP_1) | instskip(SKIP_1) | instid1(VALU_DEP_1)
	v_mov_b32_e32 v105, v99
	v_pk_mul_f32 v[98:99], v[100:101], v[96:97] op_sel:[0,1]
	v_pk_fma_f32 v[102:103], v[100:101], v[94:95], v[98:99] op_sel:[0,0,1] op_sel_hi:[1,1,0] neg_lo:[0,0,1] neg_hi:[0,0,1]
	v_pk_fma_f32 v[98:99], v[100:101], v[94:95], v[98:99] op_sel:[0,0,1] op_sel_hi:[1,0,0]
	s_delay_alu instid0(VALU_DEP_1)
	v_mov_b32_e32 v103, v99
	ds_load_b64 v[98:99], v130 offset:160
	v_pk_add_f32 v[80:81], v[80:81], v[104:105] neg_lo:[0,1] neg_hi:[0,1]
	v_pk_add_f32 v[78:79], v[78:79], v[102:103] neg_lo:[0,1] neg_hi:[0,1]
	s_wait_dscnt 0x0
	v_pk_mul_f32 v[96:97], v[98:99], v[96:97] op_sel:[0,1]
	s_delay_alu instid0(VALU_DEP_1) | instskip(SKIP_1) | instid1(VALU_DEP_1)
	v_pk_fma_f32 v[100:101], v[98:99], v[94:95], v[96:97] op_sel:[0,0,1] op_sel_hi:[1,1,0] neg_lo:[0,0,1] neg_hi:[0,0,1]
	v_pk_fma_f32 v[94:95], v[98:99], v[94:95], v[96:97] op_sel:[0,0,1] op_sel_hi:[1,0,0]
	v_mov_b32_e32 v101, v95
	s_delay_alu instid0(VALU_DEP_1)
	v_pk_add_f32 v[84:85], v[84:85], v[100:101] neg_lo:[0,1] neg_hi:[0,1]
.LBB41_37:
	s_or_b32 exec_lo, exec_lo, s1
	s_delay_alu instid0(SALU_CYCLE_1)
	s_mov_b32 s2, exec_lo
	s_wait_dscnt 0x0
	s_barrier_signal -1
	s_barrier_wait -1
	v_cmpx_eq_u32_e32 4, v128
	s_cbranch_execz .LBB41_44
; %bb.38:
	ds_store_b64 v129, v[28:29]
	ds_store_2addr_b64 v130, v[24:25], v[26:27] offset0:5 offset1:6
	ds_store_2addr_b64 v130, v[22:23], v[52:53] offset0:7 offset1:8
	;; [unrolled: 1-line block ×8, first 2 shown]
	ds_load_b64 v[94:95], v129
	s_wait_dscnt 0x0
	v_cmp_neq_f32_e32 vcc_lo, 0, v94
	v_cmp_neq_f32_e64 s1, 0, v95
	s_or_b32 s1, vcc_lo, s1
	s_delay_alu instid0(SALU_CYCLE_1)
	s_and_b32 exec_lo, exec_lo, s1
	s_cbranch_execz .LBB41_44
; %bb.39:
	v_cmp_ngt_f32_e64 s1, |v94|, |v95|
                                        ; implicit-def: $vgpr96_vgpr97
	s_and_saveexec_b32 s4, s1
	s_delay_alu instid0(SALU_CYCLE_1)
	s_xor_b32 s1, exec_lo, s4
	s_cbranch_execz .LBB41_41
; %bb.40:
	v_div_scale_f32 v96, null, v95, v95, v94
	v_div_scale_f32 v99, vcc_lo, v94, v95, v94
	s_delay_alu instid0(VALU_DEP_2) | instskip(SKIP_1) | instid1(TRANS32_DEP_1)
	v_rcp_f32_e32 v97, v96
	v_nop
	v_fma_f32 v98, -v96, v97, 1.0
	s_delay_alu instid0(VALU_DEP_1) | instskip(NEXT) | instid1(VALU_DEP_1)
	v_fmac_f32_e32 v97, v98, v97
	v_mul_f32_e32 v98, v99, v97
	s_delay_alu instid0(VALU_DEP_1) | instskip(NEXT) | instid1(VALU_DEP_1)
	v_fma_f32 v100, -v96, v98, v99
	v_fmac_f32_e32 v98, v100, v97
	s_delay_alu instid0(VALU_DEP_1) | instskip(NEXT) | instid1(VALU_DEP_1)
	v_fma_f32 v96, -v96, v98, v99
	v_div_fmas_f32 v96, v96, v97, v98
	s_delay_alu instid0(VALU_DEP_1) | instskip(NEXT) | instid1(VALU_DEP_1)
	v_div_fixup_f32 v96, v96, v95, v94
	v_fmac_f32_e32 v95, v94, v96
	s_delay_alu instid0(VALU_DEP_1) | instskip(SKIP_1) | instid1(VALU_DEP_2)
	v_div_scale_f32 v94, null, v95, v95, 1.0
	v_div_scale_f32 v99, vcc_lo, 1.0, v95, 1.0
	v_rcp_f32_e32 v97, v94
	v_nop
	s_delay_alu instid0(TRANS32_DEP_1) | instskip(NEXT) | instid1(VALU_DEP_1)
	v_fma_f32 v98, -v94, v97, 1.0
	v_fmac_f32_e32 v97, v98, v97
	s_delay_alu instid0(VALU_DEP_1) | instskip(NEXT) | instid1(VALU_DEP_1)
	v_mul_f32_e32 v98, v99, v97
	v_fma_f32 v100, -v94, v98, v99
	s_delay_alu instid0(VALU_DEP_1) | instskip(NEXT) | instid1(VALU_DEP_1)
	v_fmac_f32_e32 v98, v100, v97
	v_fma_f32 v94, -v94, v98, v99
	s_delay_alu instid0(VALU_DEP_1) | instskip(NEXT) | instid1(VALU_DEP_1)
	v_div_fmas_f32 v94, v94, v97, v98
	v_div_fixup_f32 v94, v94, v95, 1.0
	s_delay_alu instid0(VALU_DEP_1)
	v_mul_f32_e32 v96, v96, v94
	v_xor_b32_e32 v97, 0x80000000, v94
                                        ; implicit-def: $vgpr94_vgpr95
.LBB41_41:
	s_and_not1_saveexec_b32 s1, s1
	s_cbranch_execz .LBB41_43
; %bb.42:
	v_div_scale_f32 v96, null, v94, v94, v95
	v_div_scale_f32 v99, vcc_lo, v95, v94, v95
	s_delay_alu instid0(VALU_DEP_2) | instskip(SKIP_1) | instid1(TRANS32_DEP_1)
	v_rcp_f32_e32 v97, v96
	v_nop
	v_fma_f32 v98, -v96, v97, 1.0
	s_delay_alu instid0(VALU_DEP_1) | instskip(NEXT) | instid1(VALU_DEP_1)
	v_fmac_f32_e32 v97, v98, v97
	v_mul_f32_e32 v98, v99, v97
	s_delay_alu instid0(VALU_DEP_1) | instskip(NEXT) | instid1(VALU_DEP_1)
	v_fma_f32 v100, -v96, v98, v99
	v_fmac_f32_e32 v98, v100, v97
	s_delay_alu instid0(VALU_DEP_1) | instskip(NEXT) | instid1(VALU_DEP_1)
	v_fma_f32 v96, -v96, v98, v99
	v_div_fmas_f32 v96, v96, v97, v98
	s_delay_alu instid0(VALU_DEP_1) | instskip(NEXT) | instid1(VALU_DEP_1)
	v_div_fixup_f32 v97, v96, v94, v95
	v_fmac_f32_e32 v94, v95, v97
	s_delay_alu instid0(VALU_DEP_1) | instskip(NEXT) | instid1(VALU_DEP_1)
	v_div_scale_f32 v95, null, v94, v94, 1.0
	v_rcp_f32_e32 v96, v95
	v_nop
	s_delay_alu instid0(TRANS32_DEP_1) | instskip(NEXT) | instid1(VALU_DEP_1)
	v_fma_f32 v98, -v95, v96, 1.0
	v_fmac_f32_e32 v96, v98, v96
	v_div_scale_f32 v98, vcc_lo, 1.0, v94, 1.0
	s_delay_alu instid0(VALU_DEP_1) | instskip(NEXT) | instid1(VALU_DEP_1)
	v_mul_f32_e32 v99, v98, v96
	v_fma_f32 v100, -v95, v99, v98
	s_delay_alu instid0(VALU_DEP_1) | instskip(NEXT) | instid1(VALU_DEP_1)
	v_fmac_f32_e32 v99, v100, v96
	v_fma_f32 v95, -v95, v99, v98
	s_delay_alu instid0(VALU_DEP_1) | instskip(NEXT) | instid1(VALU_DEP_1)
	v_div_fmas_f32 v95, v95, v96, v99
	v_div_fixup_f32 v96, v95, v94, 1.0
	s_delay_alu instid0(VALU_DEP_1)
	v_mul_f32_e64 v97, v97, -v96
.LBB41_43:
	s_or_b32 exec_lo, exec_lo, s1
	ds_store_b64 v129, v[96:97]
.LBB41_44:
	s_or_b32 exec_lo, exec_lo, s2
	s_wait_dscnt 0x0
	s_barrier_signal -1
	s_barrier_wait -1
	ds_load_b64 v[94:95], v129
	s_mov_b32 s1, exec_lo
	v_cmpx_lt_u32_e32 4, v128
	s_cbranch_execz .LBB41_46
; %bb.45:
	ds_load_2addr_b64 v[100:103], v130 offset0:5 offset1:6
	s_wait_dscnt 0x1
	v_pk_mul_f32 v[98:99], v[94:95], v[28:29] op_sel:[1,1] op_sel_hi:[0,1]
	s_delay_alu instid0(VALU_DEP_1) | instskip(SKIP_1) | instid1(VALU_DEP_1)
	v_pk_fma_f32 v[96:97], v[94:95], v[28:29], v[98:99] op_sel_hi:[1,0,1] neg_lo:[0,0,1] neg_hi:[0,0,1]
	v_pk_fma_f32 v[98:99], v[94:95], v[28:29], v[98:99] op_sel_hi:[1,0,1]
	v_dual_mov_b32 v28, v96 :: v_dual_mov_b32 v29, v99
	s_wait_dscnt 0x0
	s_delay_alu instid0(VALU_DEP_2) | instskip(NEXT) | instid1(VALU_DEP_1)
	v_pk_mul_f32 v[104:105], v[100:101], v[98:99] op_sel:[0,1]
	v_pk_fma_f32 v[106:107], v[100:101], v[96:97], v[104:105] op_sel:[0,0,1] op_sel_hi:[1,1,0] neg_lo:[0,0,1] neg_hi:[0,0,1]
	v_pk_fma_f32 v[100:101], v[100:101], v[96:97], v[104:105] op_sel:[0,0,1] op_sel_hi:[1,0,0]
	s_delay_alu instid0(VALU_DEP_1) | instskip(SKIP_1) | instid1(VALU_DEP_1)
	v_mov_b32_e32 v107, v101
	v_pk_mul_f32 v[100:101], v[102:103], v[98:99] op_sel:[0,1]
	v_pk_fma_f32 v[104:105], v[102:103], v[96:97], v[100:101] op_sel:[0,0,1] op_sel_hi:[1,1,0] neg_lo:[0,0,1] neg_hi:[0,0,1]
	v_pk_fma_f32 v[100:101], v[102:103], v[96:97], v[100:101] op_sel:[0,0,1] op_sel_hi:[1,0,0]
	s_delay_alu instid0(VALU_DEP_1)
	v_mov_b32_e32 v105, v101
	ds_load_2addr_b64 v[100:103], v130 offset0:7 offset1:8
	v_pk_add_f32 v[24:25], v[24:25], v[106:107] neg_lo:[0,1] neg_hi:[0,1]
	v_pk_add_f32 v[26:27], v[26:27], v[104:105] neg_lo:[0,1] neg_hi:[0,1]
	s_wait_dscnt 0x0
	v_pk_mul_f32 v[104:105], v[100:101], v[98:99] op_sel:[0,1]
	s_delay_alu instid0(VALU_DEP_1) | instskip(SKIP_2) | instid1(VALU_DEP_2)
	v_pk_fma_f32 v[106:107], v[100:101], v[96:97], v[104:105] op_sel:[0,0,1] op_sel_hi:[1,1,0] neg_lo:[0,0,1] neg_hi:[0,0,1]
	v_pk_fma_f32 v[100:101], v[100:101], v[96:97], v[104:105] op_sel:[0,0,1] op_sel_hi:[1,0,0]
	v_dual_mul_f32 v104, v103, v99 :: v_dual_mov_b32 v100, v103
	v_dual_mov_b32 v107, v101 :: v_dual_mov_b32 v101, v102
	s_delay_alu instid0(VALU_DEP_2) | instskip(SKIP_1) | instid1(VALU_DEP_3)
	v_pk_fma_f32 v[104:105], v[102:103], v[28:29], v[104:105] op_sel_hi:[1,1,0] neg_lo:[0,0,1] neg_hi:[0,0,1]
	v_mul_f32_e32 v102, v103, v96
	v_pk_add_f32 v[22:23], v[22:23], v[106:107] neg_lo:[0,1] neg_hi:[0,1]
	s_delay_alu instid0(VALU_DEP_2) | instskip(NEXT) | instid1(VALU_DEP_1)
	v_pk_fma_f32 v[100:101], v[100:101], v[28:29], v[102:103] op_sel_hi:[1,1,0]
	v_mov_b32_e32 v105, v101
	ds_load_2addr_b64 v[100:103], v130 offset0:9 offset1:10
	v_pk_add_f32 v[52:53], v[52:53], v[104:105] neg_lo:[0,1] neg_hi:[0,1]
	s_wait_dscnt 0x0
	v_pk_mul_f32 v[104:105], v[100:101], v[98:99] op_sel:[0,1]
	s_delay_alu instid0(VALU_DEP_1) | instskip(SKIP_1) | instid1(VALU_DEP_1)
	v_pk_fma_f32 v[106:107], v[100:101], v[96:97], v[104:105] op_sel:[0,0,1] op_sel_hi:[1,1,0] neg_lo:[0,0,1] neg_hi:[0,0,1]
	v_pk_fma_f32 v[100:101], v[100:101], v[96:97], v[104:105] op_sel:[0,0,1] op_sel_hi:[1,0,0]
	v_mov_b32_e32 v107, v101
	v_pk_mul_f32 v[100:101], v[102:103], v[98:99] op_sel:[0,1]
	s_delay_alu instid0(VALU_DEP_1) | instskip(SKIP_1) | instid1(VALU_DEP_1)
	v_pk_fma_f32 v[104:105], v[102:103], v[96:97], v[100:101] op_sel:[0,0,1] op_sel_hi:[1,1,0] neg_lo:[0,0,1] neg_hi:[0,0,1]
	v_pk_fma_f32 v[100:101], v[102:103], v[96:97], v[100:101] op_sel:[0,0,1] op_sel_hi:[1,0,0]
	v_mov_b32_e32 v105, v101
	ds_load_2addr_b64 v[100:103], v130 offset0:11 offset1:12
	v_pk_add_f32 v[48:49], v[48:49], v[106:107] neg_lo:[0,1] neg_hi:[0,1]
	v_pk_add_f32 v[50:51], v[50:51], v[104:105] neg_lo:[0,1] neg_hi:[0,1]
	s_wait_dscnt 0x0
	v_pk_mul_f32 v[104:105], v[100:101], v[98:99] op_sel:[0,1]
	s_delay_alu instid0(VALU_DEP_1) | instskip(SKIP_1) | instid1(VALU_DEP_1)
	v_pk_fma_f32 v[106:107], v[100:101], v[96:97], v[104:105] op_sel:[0,0,1] op_sel_hi:[1,1,0] neg_lo:[0,0,1] neg_hi:[0,0,1]
	v_pk_fma_f32 v[100:101], v[100:101], v[96:97], v[104:105] op_sel:[0,0,1] op_sel_hi:[1,0,0]
	v_mov_b32_e32 v107, v101
	v_pk_mul_f32 v[100:101], v[102:103], v[98:99] op_sel:[0,1]
	s_delay_alu instid0(VALU_DEP_1) | instskip(SKIP_1) | instid1(VALU_DEP_1)
	v_pk_fma_f32 v[104:105], v[102:103], v[96:97], v[100:101] op_sel:[0,0,1] op_sel_hi:[1,1,0] neg_lo:[0,0,1] neg_hi:[0,0,1]
	v_pk_fma_f32 v[100:101], v[102:103], v[96:97], v[100:101] op_sel:[0,0,1] op_sel_hi:[1,0,0]
	v_mov_b32_e32 v105, v101
	ds_load_2addr_b64 v[100:103], v130 offset0:13 offset1:14
	v_pk_add_f32 v[46:47], v[46:47], v[106:107] neg_lo:[0,1] neg_hi:[0,1]
	v_pk_add_f32 v[76:77], v[76:77], v[104:105] neg_lo:[0,1] neg_hi:[0,1]
	s_wait_dscnt 0x0
	v_dual_mul_f32 v104, v101, v99 :: v_dual_mul_f32 v106, v101, v96
	s_delay_alu instid0(VALU_DEP_1) | instskip(NEXT) | instid1(VALU_DEP_2)
	v_pk_fma_f32 v[104:105], v[100:101], v[28:29], v[104:105] op_sel_hi:[1,1,0] neg_lo:[0,0,1] neg_hi:[0,0,1]
	v_pk_fma_f32 v[100:101], v[100:101], v[28:29], v[106:107] op_sel:[1,0,0] op_sel_hi:[0,1,0]
	s_delay_alu instid0(VALU_DEP_1) | instskip(SKIP_1) | instid1(VALU_DEP_2)
	v_mov_b32_e32 v105, v101
	v_pk_mul_f32 v[100:101], v[102:103], v[98:99] op_sel:[0,1]
	v_pk_add_f32 v[70:71], v[70:71], v[104:105] neg_lo:[0,1] neg_hi:[0,1]
	s_delay_alu instid0(VALU_DEP_2) | instskip(SKIP_1) | instid1(VALU_DEP_1)
	v_pk_fma_f32 v[104:105], v[102:103], v[96:97], v[100:101] op_sel:[0,0,1] op_sel_hi:[1,1,0] neg_lo:[0,0,1] neg_hi:[0,0,1]
	v_pk_fma_f32 v[100:101], v[102:103], v[96:97], v[100:101] op_sel:[0,0,1] op_sel_hi:[1,0,0]
	v_mov_b32_e32 v105, v101
	ds_load_2addr_b64 v[100:103], v130 offset0:15 offset1:16
	v_pk_add_f32 v[74:75], v[74:75], v[104:105] neg_lo:[0,1] neg_hi:[0,1]
	s_wait_dscnt 0x0
	v_pk_mul_f32 v[104:105], v[100:101], v[98:99] op_sel:[0,1]
	s_delay_alu instid0(VALU_DEP_1) | instskip(SKIP_1) | instid1(VALU_DEP_1)
	v_pk_fma_f32 v[106:107], v[100:101], v[96:97], v[104:105] op_sel:[0,0,1] op_sel_hi:[1,1,0] neg_lo:[0,0,1] neg_hi:[0,0,1]
	v_pk_fma_f32 v[100:101], v[100:101], v[96:97], v[104:105] op_sel:[0,0,1] op_sel_hi:[1,0,0]
	v_mov_b32_e32 v107, v101
	v_pk_mul_f32 v[100:101], v[102:103], v[98:99] op_sel:[0,1]
	s_delay_alu instid0(VALU_DEP_2) | instskip(NEXT) | instid1(VALU_DEP_2)
	v_pk_add_f32 v[68:69], v[68:69], v[106:107] neg_lo:[0,1] neg_hi:[0,1]
	v_pk_fma_f32 v[104:105], v[102:103], v[96:97], v[100:101] op_sel:[0,0,1] op_sel_hi:[1,1,0] neg_lo:[0,0,1] neg_hi:[0,0,1]
	v_pk_fma_f32 v[100:101], v[102:103], v[96:97], v[100:101] op_sel:[0,0,1] op_sel_hi:[1,0,0]
	s_delay_alu instid0(VALU_DEP_1) | instskip(SKIP_4) | instid1(VALU_DEP_1)
	v_mov_b32_e32 v105, v101
	ds_load_2addr_b64 v[100:103], v130 offset0:17 offset1:18
	v_pk_add_f32 v[72:73], v[72:73], v[104:105] neg_lo:[0,1] neg_hi:[0,1]
	s_wait_dscnt 0x0
	v_pk_mul_f32 v[104:105], v[100:101], v[98:99] op_sel:[0,1]
	v_pk_fma_f32 v[106:107], v[100:101], v[96:97], v[104:105] op_sel:[0,0,1] op_sel_hi:[1,1,0] neg_lo:[0,0,1] neg_hi:[0,0,1]
	v_pk_fma_f32 v[100:101], v[100:101], v[96:97], v[104:105] op_sel:[0,0,1] op_sel_hi:[1,0,0]
	v_dual_mul_f32 v104, v103, v99 :: v_dual_mov_b32 v100, v103
	s_delay_alu instid0(VALU_DEP_2) | instskip(NEXT) | instid1(VALU_DEP_2)
	v_dual_mov_b32 v107, v101 :: v_dual_mov_b32 v101, v102
	v_pk_fma_f32 v[104:105], v[102:103], v[28:29], v[104:105] op_sel_hi:[1,1,0] neg_lo:[0,0,1] neg_hi:[0,0,1]
	v_mul_f32_e32 v102, v103, v96
	s_delay_alu instid0(VALU_DEP_3) | instskip(NEXT) | instid1(VALU_DEP_2)
	v_pk_add_f32 v[82:83], v[82:83], v[106:107] neg_lo:[0,1] neg_hi:[0,1]
	v_pk_fma_f32 v[100:101], v[100:101], v[28:29], v[102:103] op_sel_hi:[1,1,0]
	s_delay_alu instid0(VALU_DEP_1)
	v_mov_b32_e32 v105, v101
	ds_load_2addr_b64 v[100:103], v130 offset0:19 offset1:20
	v_pk_add_f32 v[80:81], v[80:81], v[104:105] neg_lo:[0,1] neg_hi:[0,1]
	s_wait_dscnt 0x0
	v_pk_mul_f32 v[104:105], v[100:101], v[98:99] op_sel:[0,1]
	v_pk_mul_f32 v[98:99], v[102:103], v[98:99] op_sel:[0,1]
	s_delay_alu instid0(VALU_DEP_2) | instskip(SKIP_1) | instid1(VALU_DEP_1)
	v_pk_fma_f32 v[106:107], v[100:101], v[96:97], v[104:105] op_sel:[0,0,1] op_sel_hi:[1,1,0] neg_lo:[0,0,1] neg_hi:[0,0,1]
	v_pk_fma_f32 v[100:101], v[100:101], v[96:97], v[104:105] op_sel:[0,0,1] op_sel_hi:[1,0,0]
	v_mov_b32_e32 v107, v101
	s_delay_alu instid0(VALU_DEP_4) | instskip(SKIP_1) | instid1(VALU_DEP_1)
	v_pk_fma_f32 v[100:101], v[102:103], v[96:97], v[98:99] op_sel:[0,0,1] op_sel_hi:[1,1,0] neg_lo:[0,0,1] neg_hi:[0,0,1]
	v_pk_fma_f32 v[96:97], v[102:103], v[96:97], v[98:99] op_sel:[0,0,1] op_sel_hi:[1,0,0]
	v_mov_b32_e32 v101, v97
	s_delay_alu instid0(VALU_DEP_4) | instskip(NEXT) | instid1(VALU_DEP_2)
	v_pk_add_f32 v[78:79], v[78:79], v[106:107] neg_lo:[0,1] neg_hi:[0,1]
	v_pk_add_f32 v[84:85], v[84:85], v[100:101] neg_lo:[0,1] neg_hi:[0,1]
.LBB41_46:
	s_or_b32 exec_lo, exec_lo, s1
	s_delay_alu instid0(SALU_CYCLE_1)
	s_mov_b32 s2, exec_lo
	s_wait_dscnt 0x0
	s_barrier_signal -1
	s_barrier_wait -1
	v_cmpx_eq_u32_e32 5, v128
	s_cbranch_execz .LBB41_53
; %bb.47:
	v_dual_mov_b32 v96, v26 :: v_dual_mov_b32 v97, v27
	v_dual_mov_b32 v98, v22 :: v_dual_mov_b32 v99, v23
	ds_store_b64 v129, v[24:25]
	ds_store_2addr_b64 v130, v[96:97], v[98:99] offset0:6 offset1:7
	v_dual_mov_b32 v96, v52 :: v_dual_mov_b32 v97, v53
	v_dual_mov_b32 v98, v48 :: v_dual_mov_b32 v99, v49
	ds_store_2addr_b64 v130, v[96:97], v[98:99] offset0:8 offset1:9
	v_dual_mov_b32 v96, v50 :: v_dual_mov_b32 v97, v51
	v_dual_mov_b32 v98, v46 :: v_dual_mov_b32 v99, v47
	;; [unrolled: 3-line block ×6, first 2 shown]
	ds_store_2addr_b64 v130, v[96:97], v[98:99] offset0:18 offset1:19
	ds_store_b64 v130, v[84:85] offset:160
	ds_load_b64 v[96:97], v129
	s_wait_dscnt 0x0
	v_cmp_neq_f32_e32 vcc_lo, 0, v96
	v_cmp_neq_f32_e64 s1, 0, v97
	s_or_b32 s1, vcc_lo, s1
	s_delay_alu instid0(SALU_CYCLE_1)
	s_and_b32 exec_lo, exec_lo, s1
	s_cbranch_execz .LBB41_53
; %bb.48:
	v_cmp_ngt_f32_e64 s1, |v96|, |v97|
                                        ; implicit-def: $vgpr98_vgpr99
	s_and_saveexec_b32 s4, s1
	s_delay_alu instid0(SALU_CYCLE_1)
	s_xor_b32 s1, exec_lo, s4
	s_cbranch_execz .LBB41_50
; %bb.49:
	v_div_scale_f32 v98, null, v97, v97, v96
	v_div_scale_f32 v101, vcc_lo, v96, v97, v96
	s_delay_alu instid0(VALU_DEP_2) | instskip(SKIP_1) | instid1(TRANS32_DEP_1)
	v_rcp_f32_e32 v99, v98
	v_nop
	v_fma_f32 v100, -v98, v99, 1.0
	s_delay_alu instid0(VALU_DEP_1) | instskip(NEXT) | instid1(VALU_DEP_1)
	v_fmac_f32_e32 v99, v100, v99
	v_mul_f32_e32 v100, v101, v99
	s_delay_alu instid0(VALU_DEP_1) | instskip(NEXT) | instid1(VALU_DEP_1)
	v_fma_f32 v102, -v98, v100, v101
	v_fmac_f32_e32 v100, v102, v99
	s_delay_alu instid0(VALU_DEP_1) | instskip(NEXT) | instid1(VALU_DEP_1)
	v_fma_f32 v98, -v98, v100, v101
	v_div_fmas_f32 v98, v98, v99, v100
	s_delay_alu instid0(VALU_DEP_1) | instskip(NEXT) | instid1(VALU_DEP_1)
	v_div_fixup_f32 v98, v98, v97, v96
	v_fmac_f32_e32 v97, v96, v98
	s_delay_alu instid0(VALU_DEP_1) | instskip(SKIP_1) | instid1(VALU_DEP_2)
	v_div_scale_f32 v96, null, v97, v97, 1.0
	v_div_scale_f32 v101, vcc_lo, 1.0, v97, 1.0
	v_rcp_f32_e32 v99, v96
	v_nop
	s_delay_alu instid0(TRANS32_DEP_1) | instskip(NEXT) | instid1(VALU_DEP_1)
	v_fma_f32 v100, -v96, v99, 1.0
	v_fmac_f32_e32 v99, v100, v99
	s_delay_alu instid0(VALU_DEP_1) | instskip(NEXT) | instid1(VALU_DEP_1)
	v_mul_f32_e32 v100, v101, v99
	v_fma_f32 v102, -v96, v100, v101
	s_delay_alu instid0(VALU_DEP_1) | instskip(NEXT) | instid1(VALU_DEP_1)
	v_fmac_f32_e32 v100, v102, v99
	v_fma_f32 v96, -v96, v100, v101
	s_delay_alu instid0(VALU_DEP_1) | instskip(NEXT) | instid1(VALU_DEP_1)
	v_div_fmas_f32 v96, v96, v99, v100
	v_div_fixup_f32 v96, v96, v97, 1.0
	s_delay_alu instid0(VALU_DEP_1)
	v_mul_f32_e32 v98, v98, v96
	v_xor_b32_e32 v99, 0x80000000, v96
                                        ; implicit-def: $vgpr96_vgpr97
.LBB41_50:
	s_and_not1_saveexec_b32 s1, s1
	s_cbranch_execz .LBB41_52
; %bb.51:
	v_div_scale_f32 v98, null, v96, v96, v97
	v_div_scale_f32 v101, vcc_lo, v97, v96, v97
	s_delay_alu instid0(VALU_DEP_2) | instskip(SKIP_1) | instid1(TRANS32_DEP_1)
	v_rcp_f32_e32 v99, v98
	v_nop
	v_fma_f32 v100, -v98, v99, 1.0
	s_delay_alu instid0(VALU_DEP_1) | instskip(NEXT) | instid1(VALU_DEP_1)
	v_fmac_f32_e32 v99, v100, v99
	v_mul_f32_e32 v100, v101, v99
	s_delay_alu instid0(VALU_DEP_1) | instskip(NEXT) | instid1(VALU_DEP_1)
	v_fma_f32 v102, -v98, v100, v101
	v_fmac_f32_e32 v100, v102, v99
	s_delay_alu instid0(VALU_DEP_1) | instskip(NEXT) | instid1(VALU_DEP_1)
	v_fma_f32 v98, -v98, v100, v101
	v_div_fmas_f32 v98, v98, v99, v100
	s_delay_alu instid0(VALU_DEP_1) | instskip(NEXT) | instid1(VALU_DEP_1)
	v_div_fixup_f32 v99, v98, v96, v97
	v_fmac_f32_e32 v96, v97, v99
	s_delay_alu instid0(VALU_DEP_1) | instskip(NEXT) | instid1(VALU_DEP_1)
	v_div_scale_f32 v97, null, v96, v96, 1.0
	v_rcp_f32_e32 v98, v97
	v_nop
	s_delay_alu instid0(TRANS32_DEP_1) | instskip(NEXT) | instid1(VALU_DEP_1)
	v_fma_f32 v100, -v97, v98, 1.0
	v_fmac_f32_e32 v98, v100, v98
	v_div_scale_f32 v100, vcc_lo, 1.0, v96, 1.0
	s_delay_alu instid0(VALU_DEP_1) | instskip(NEXT) | instid1(VALU_DEP_1)
	v_mul_f32_e32 v101, v100, v98
	v_fma_f32 v102, -v97, v101, v100
	s_delay_alu instid0(VALU_DEP_1) | instskip(NEXT) | instid1(VALU_DEP_1)
	v_fmac_f32_e32 v101, v102, v98
	v_fma_f32 v97, -v97, v101, v100
	s_delay_alu instid0(VALU_DEP_1) | instskip(NEXT) | instid1(VALU_DEP_1)
	v_div_fmas_f32 v97, v97, v98, v101
	v_div_fixup_f32 v98, v97, v96, 1.0
	s_delay_alu instid0(VALU_DEP_1)
	v_mul_f32_e64 v99, v99, -v98
.LBB41_52:
	s_or_b32 exec_lo, exec_lo, s1
	ds_store_b64 v129, v[98:99]
.LBB41_53:
	s_or_b32 exec_lo, exec_lo, s2
	s_wait_dscnt 0x0
	s_barrier_signal -1
	s_barrier_wait -1
	ds_load_b64 v[96:97], v129
	s_mov_b32 s1, exec_lo
	v_cmpx_lt_u32_e32 5, v128
	s_cbranch_execz .LBB41_55
; %bb.54:
	ds_load_2addr_b64 v[102:105], v130 offset0:6 offset1:7
	s_wait_dscnt 0x1
	v_pk_mul_f32 v[100:101], v[96:97], v[24:25] op_sel:[1,1] op_sel_hi:[0,1]
	s_delay_alu instid0(VALU_DEP_1) | instskip(SKIP_1) | instid1(VALU_DEP_1)
	v_pk_fma_f32 v[98:99], v[96:97], v[24:25], v[100:101] op_sel_hi:[1,0,1] neg_lo:[0,0,1] neg_hi:[0,0,1]
	v_pk_fma_f32 v[100:101], v[96:97], v[24:25], v[100:101] op_sel_hi:[1,0,1]
	v_dual_mov_b32 v24, v98 :: v_dual_mov_b32 v25, v101
	s_wait_dscnt 0x0
	s_delay_alu instid0(VALU_DEP_2) | instskip(NEXT) | instid1(VALU_DEP_1)
	v_pk_mul_f32 v[106:107], v[102:103], v[100:101] op_sel:[0,1]
	v_pk_fma_f32 v[108:109], v[102:103], v[98:99], v[106:107] op_sel:[0,0,1] op_sel_hi:[1,1,0] neg_lo:[0,0,1] neg_hi:[0,0,1]
	v_pk_fma_f32 v[102:103], v[102:103], v[98:99], v[106:107] op_sel:[0,0,1] op_sel_hi:[1,0,0]
	s_delay_alu instid0(VALU_DEP_1) | instskip(SKIP_1) | instid1(VALU_DEP_1)
	v_mov_b32_e32 v109, v103
	v_pk_mul_f32 v[102:103], v[104:105], v[100:101] op_sel:[0,1]
	v_pk_fma_f32 v[106:107], v[104:105], v[98:99], v[102:103] op_sel:[0,0,1] op_sel_hi:[1,1,0] neg_lo:[0,0,1] neg_hi:[0,0,1]
	v_pk_fma_f32 v[102:103], v[104:105], v[98:99], v[102:103] op_sel:[0,0,1] op_sel_hi:[1,0,0]
	s_delay_alu instid0(VALU_DEP_1)
	v_mov_b32_e32 v107, v103
	ds_load_2addr_b64 v[102:105], v130 offset0:8 offset1:9
	v_pk_add_f32 v[26:27], v[26:27], v[108:109] neg_lo:[0,1] neg_hi:[0,1]
	v_pk_add_f32 v[22:23], v[22:23], v[106:107] neg_lo:[0,1] neg_hi:[0,1]
	s_wait_dscnt 0x0
	v_pk_mul_f32 v[106:107], v[102:103], v[100:101] op_sel:[0,1]
	s_delay_alu instid0(VALU_DEP_1) | instskip(SKIP_2) | instid1(VALU_DEP_2)
	v_pk_fma_f32 v[108:109], v[102:103], v[98:99], v[106:107] op_sel:[0,0,1] op_sel_hi:[1,1,0] neg_lo:[0,0,1] neg_hi:[0,0,1]
	v_pk_fma_f32 v[102:103], v[102:103], v[98:99], v[106:107] op_sel:[0,0,1] op_sel_hi:[1,0,0]
	v_dual_mul_f32 v106, v105, v101 :: v_dual_mov_b32 v102, v105
	v_dual_mov_b32 v109, v103 :: v_dual_mov_b32 v103, v104
	s_delay_alu instid0(VALU_DEP_2) | instskip(SKIP_1) | instid1(VALU_DEP_3)
	v_pk_fma_f32 v[106:107], v[104:105], v[24:25], v[106:107] op_sel_hi:[1,1,0] neg_lo:[0,0,1] neg_hi:[0,0,1]
	v_mul_f32_e32 v104, v105, v98
	v_pk_add_f32 v[52:53], v[52:53], v[108:109] neg_lo:[0,1] neg_hi:[0,1]
	s_delay_alu instid0(VALU_DEP_2) | instskip(NEXT) | instid1(VALU_DEP_1)
	v_pk_fma_f32 v[102:103], v[102:103], v[24:25], v[104:105] op_sel_hi:[1,1,0]
	v_mov_b32_e32 v107, v103
	ds_load_2addr_b64 v[102:105], v130 offset0:10 offset1:11
	v_pk_add_f32 v[48:49], v[48:49], v[106:107] neg_lo:[0,1] neg_hi:[0,1]
	s_wait_dscnt 0x0
	v_pk_mul_f32 v[106:107], v[102:103], v[100:101] op_sel:[0,1]
	s_delay_alu instid0(VALU_DEP_1) | instskip(SKIP_1) | instid1(VALU_DEP_1)
	v_pk_fma_f32 v[108:109], v[102:103], v[98:99], v[106:107] op_sel:[0,0,1] op_sel_hi:[1,1,0] neg_lo:[0,0,1] neg_hi:[0,0,1]
	v_pk_fma_f32 v[102:103], v[102:103], v[98:99], v[106:107] op_sel:[0,0,1] op_sel_hi:[1,0,0]
	v_mov_b32_e32 v109, v103
	v_pk_mul_f32 v[102:103], v[104:105], v[100:101] op_sel:[0,1]
	s_delay_alu instid0(VALU_DEP_1) | instskip(SKIP_1) | instid1(VALU_DEP_1)
	v_pk_fma_f32 v[106:107], v[104:105], v[98:99], v[102:103] op_sel:[0,0,1] op_sel_hi:[1,1,0] neg_lo:[0,0,1] neg_hi:[0,0,1]
	v_pk_fma_f32 v[102:103], v[104:105], v[98:99], v[102:103] op_sel:[0,0,1] op_sel_hi:[1,0,0]
	v_mov_b32_e32 v107, v103
	ds_load_2addr_b64 v[102:105], v130 offset0:12 offset1:13
	v_pk_add_f32 v[50:51], v[50:51], v[108:109] neg_lo:[0,1] neg_hi:[0,1]
	v_pk_add_f32 v[46:47], v[46:47], v[106:107] neg_lo:[0,1] neg_hi:[0,1]
	s_wait_dscnt 0x0
	v_pk_mul_f32 v[106:107], v[102:103], v[100:101] op_sel:[0,1]
	s_delay_alu instid0(VALU_DEP_1) | instskip(SKIP_1) | instid1(VALU_DEP_1)
	v_pk_fma_f32 v[108:109], v[102:103], v[98:99], v[106:107] op_sel:[0,0,1] op_sel_hi:[1,1,0] neg_lo:[0,0,1] neg_hi:[0,0,1]
	v_pk_fma_f32 v[102:103], v[102:103], v[98:99], v[106:107] op_sel:[0,0,1] op_sel_hi:[1,0,0]
	v_mov_b32_e32 v109, v103
	v_pk_mul_f32 v[102:103], v[104:105], v[100:101] op_sel:[0,1]
	s_delay_alu instid0(VALU_DEP_1) | instskip(SKIP_1) | instid1(VALU_DEP_1)
	v_pk_fma_f32 v[106:107], v[104:105], v[98:99], v[102:103] op_sel:[0,0,1] op_sel_hi:[1,1,0] neg_lo:[0,0,1] neg_hi:[0,0,1]
	v_pk_fma_f32 v[102:103], v[104:105], v[98:99], v[102:103] op_sel:[0,0,1] op_sel_hi:[1,0,0]
	v_mov_b32_e32 v107, v103
	ds_load_2addr_b64 v[102:105], v130 offset0:14 offset1:15
	v_pk_add_f32 v[76:77], v[76:77], v[108:109] neg_lo:[0,1] neg_hi:[0,1]
	v_pk_add_f32 v[70:71], v[70:71], v[106:107] neg_lo:[0,1] neg_hi:[0,1]
	s_wait_dscnt 0x0
	v_dual_mul_f32 v106, v103, v101 :: v_dual_mul_f32 v108, v103, v98
	s_delay_alu instid0(VALU_DEP_1) | instskip(NEXT) | instid1(VALU_DEP_2)
	v_pk_fma_f32 v[106:107], v[102:103], v[24:25], v[106:107] op_sel_hi:[1,1,0] neg_lo:[0,0,1] neg_hi:[0,0,1]
	v_pk_fma_f32 v[102:103], v[102:103], v[24:25], v[108:109] op_sel:[1,0,0] op_sel_hi:[0,1,0]
	s_delay_alu instid0(VALU_DEP_1) | instskip(SKIP_1) | instid1(VALU_DEP_2)
	v_mov_b32_e32 v107, v103
	v_pk_mul_f32 v[102:103], v[104:105], v[100:101] op_sel:[0,1]
	v_pk_add_f32 v[74:75], v[74:75], v[106:107] neg_lo:[0,1] neg_hi:[0,1]
	s_delay_alu instid0(VALU_DEP_2) | instskip(SKIP_1) | instid1(VALU_DEP_1)
	v_pk_fma_f32 v[106:107], v[104:105], v[98:99], v[102:103] op_sel:[0,0,1] op_sel_hi:[1,1,0] neg_lo:[0,0,1] neg_hi:[0,0,1]
	v_pk_fma_f32 v[102:103], v[104:105], v[98:99], v[102:103] op_sel:[0,0,1] op_sel_hi:[1,0,0]
	v_mov_b32_e32 v107, v103
	ds_load_2addr_b64 v[102:105], v130 offset0:16 offset1:17
	v_pk_add_f32 v[68:69], v[68:69], v[106:107] neg_lo:[0,1] neg_hi:[0,1]
	s_wait_dscnt 0x0
	v_pk_mul_f32 v[106:107], v[102:103], v[100:101] op_sel:[0,1]
	s_delay_alu instid0(VALU_DEP_1) | instskip(SKIP_1) | instid1(VALU_DEP_1)
	v_pk_fma_f32 v[108:109], v[102:103], v[98:99], v[106:107] op_sel:[0,0,1] op_sel_hi:[1,1,0] neg_lo:[0,0,1] neg_hi:[0,0,1]
	v_pk_fma_f32 v[102:103], v[102:103], v[98:99], v[106:107] op_sel:[0,0,1] op_sel_hi:[1,0,0]
	v_mov_b32_e32 v109, v103
	v_pk_mul_f32 v[102:103], v[104:105], v[100:101] op_sel:[0,1]
	s_delay_alu instid0(VALU_DEP_2) | instskip(NEXT) | instid1(VALU_DEP_2)
	v_pk_add_f32 v[72:73], v[72:73], v[108:109] neg_lo:[0,1] neg_hi:[0,1]
	v_pk_fma_f32 v[106:107], v[104:105], v[98:99], v[102:103] op_sel:[0,0,1] op_sel_hi:[1,1,0] neg_lo:[0,0,1] neg_hi:[0,0,1]
	v_pk_fma_f32 v[102:103], v[104:105], v[98:99], v[102:103] op_sel:[0,0,1] op_sel_hi:[1,0,0]
	s_delay_alu instid0(VALU_DEP_1) | instskip(SKIP_4) | instid1(VALU_DEP_1)
	v_mov_b32_e32 v107, v103
	ds_load_2addr_b64 v[102:105], v130 offset0:18 offset1:19
	v_pk_add_f32 v[82:83], v[82:83], v[106:107] neg_lo:[0,1] neg_hi:[0,1]
	s_wait_dscnt 0x0
	v_pk_mul_f32 v[106:107], v[102:103], v[100:101] op_sel:[0,1]
	v_pk_fma_f32 v[108:109], v[102:103], v[98:99], v[106:107] op_sel:[0,0,1] op_sel_hi:[1,1,0] neg_lo:[0,0,1] neg_hi:[0,0,1]
	v_pk_fma_f32 v[102:103], v[102:103], v[98:99], v[106:107] op_sel:[0,0,1] op_sel_hi:[1,0,0]
	v_dual_mul_f32 v106, v105, v101 :: v_dual_mov_b32 v102, v105
	s_delay_alu instid0(VALU_DEP_2) | instskip(NEXT) | instid1(VALU_DEP_2)
	v_dual_mov_b32 v109, v103 :: v_dual_mov_b32 v103, v104
	v_pk_fma_f32 v[106:107], v[104:105], v[24:25], v[106:107] op_sel_hi:[1,1,0] neg_lo:[0,0,1] neg_hi:[0,0,1]
	v_mul_f32_e32 v104, v105, v98
	s_delay_alu instid0(VALU_DEP_3) | instskip(NEXT) | instid1(VALU_DEP_2)
	v_pk_add_f32 v[80:81], v[80:81], v[108:109] neg_lo:[0,1] neg_hi:[0,1]
	v_pk_fma_f32 v[102:103], v[102:103], v[24:25], v[104:105] op_sel_hi:[1,1,0]
	s_delay_alu instid0(VALU_DEP_1) | instskip(SKIP_4) | instid1(VALU_DEP_1)
	v_mov_b32_e32 v107, v103
	ds_load_b64 v[102:103], v130 offset:160
	v_pk_add_f32 v[78:79], v[78:79], v[106:107] neg_lo:[0,1] neg_hi:[0,1]
	s_wait_dscnt 0x0
	v_pk_mul_f32 v[100:101], v[102:103], v[100:101] op_sel:[0,1]
	v_pk_fma_f32 v[104:105], v[102:103], v[98:99], v[100:101] op_sel:[0,0,1] op_sel_hi:[1,1,0] neg_lo:[0,0,1] neg_hi:[0,0,1]
	v_pk_fma_f32 v[98:99], v[102:103], v[98:99], v[100:101] op_sel:[0,0,1] op_sel_hi:[1,0,0]
	s_delay_alu instid0(VALU_DEP_1) | instskip(NEXT) | instid1(VALU_DEP_1)
	v_mov_b32_e32 v105, v99
	v_pk_add_f32 v[84:85], v[84:85], v[104:105] neg_lo:[0,1] neg_hi:[0,1]
.LBB41_55:
	s_or_b32 exec_lo, exec_lo, s1
	s_delay_alu instid0(SALU_CYCLE_1)
	s_mov_b32 s2, exec_lo
	s_wait_dscnt 0x0
	s_barrier_signal -1
	s_barrier_wait -1
	v_cmpx_eq_u32_e32 6, v128
	s_cbranch_execz .LBB41_62
; %bb.56:
	ds_store_b64 v129, v[26:27]
	ds_store_2addr_b64 v130, v[22:23], v[52:53] offset0:7 offset1:8
	ds_store_2addr_b64 v130, v[48:49], v[50:51] offset0:9 offset1:10
	;; [unrolled: 1-line block ×7, first 2 shown]
	ds_load_b64 v[98:99], v129
	s_wait_dscnt 0x0
	v_cmp_neq_f32_e32 vcc_lo, 0, v98
	v_cmp_neq_f32_e64 s1, 0, v99
	s_or_b32 s1, vcc_lo, s1
	s_delay_alu instid0(SALU_CYCLE_1)
	s_and_b32 exec_lo, exec_lo, s1
	s_cbranch_execz .LBB41_62
; %bb.57:
	v_cmp_ngt_f32_e64 s1, |v98|, |v99|
                                        ; implicit-def: $vgpr100_vgpr101
	s_and_saveexec_b32 s4, s1
	s_delay_alu instid0(SALU_CYCLE_1)
	s_xor_b32 s1, exec_lo, s4
	s_cbranch_execz .LBB41_59
; %bb.58:
	v_div_scale_f32 v100, null, v99, v99, v98
	v_div_scale_f32 v103, vcc_lo, v98, v99, v98
	s_delay_alu instid0(VALU_DEP_2) | instskip(SKIP_1) | instid1(TRANS32_DEP_1)
	v_rcp_f32_e32 v101, v100
	v_nop
	v_fma_f32 v102, -v100, v101, 1.0
	s_delay_alu instid0(VALU_DEP_1) | instskip(NEXT) | instid1(VALU_DEP_1)
	v_fmac_f32_e32 v101, v102, v101
	v_mul_f32_e32 v102, v103, v101
	s_delay_alu instid0(VALU_DEP_1) | instskip(NEXT) | instid1(VALU_DEP_1)
	v_fma_f32 v104, -v100, v102, v103
	v_fmac_f32_e32 v102, v104, v101
	s_delay_alu instid0(VALU_DEP_1) | instskip(NEXT) | instid1(VALU_DEP_1)
	v_fma_f32 v100, -v100, v102, v103
	v_div_fmas_f32 v100, v100, v101, v102
	s_delay_alu instid0(VALU_DEP_1) | instskip(NEXT) | instid1(VALU_DEP_1)
	v_div_fixup_f32 v100, v100, v99, v98
	v_fmac_f32_e32 v99, v98, v100
	s_delay_alu instid0(VALU_DEP_1) | instskip(SKIP_1) | instid1(VALU_DEP_2)
	v_div_scale_f32 v98, null, v99, v99, 1.0
	v_div_scale_f32 v103, vcc_lo, 1.0, v99, 1.0
	v_rcp_f32_e32 v101, v98
	v_nop
	s_delay_alu instid0(TRANS32_DEP_1) | instskip(NEXT) | instid1(VALU_DEP_1)
	v_fma_f32 v102, -v98, v101, 1.0
	v_fmac_f32_e32 v101, v102, v101
	s_delay_alu instid0(VALU_DEP_1) | instskip(NEXT) | instid1(VALU_DEP_1)
	v_mul_f32_e32 v102, v103, v101
	v_fma_f32 v104, -v98, v102, v103
	s_delay_alu instid0(VALU_DEP_1) | instskip(NEXT) | instid1(VALU_DEP_1)
	v_fmac_f32_e32 v102, v104, v101
	v_fma_f32 v98, -v98, v102, v103
	s_delay_alu instid0(VALU_DEP_1) | instskip(NEXT) | instid1(VALU_DEP_1)
	v_div_fmas_f32 v98, v98, v101, v102
	v_div_fixup_f32 v98, v98, v99, 1.0
	s_delay_alu instid0(VALU_DEP_1)
	v_mul_f32_e32 v100, v100, v98
	v_xor_b32_e32 v101, 0x80000000, v98
                                        ; implicit-def: $vgpr98_vgpr99
.LBB41_59:
	s_and_not1_saveexec_b32 s1, s1
	s_cbranch_execz .LBB41_61
; %bb.60:
	v_div_scale_f32 v100, null, v98, v98, v99
	v_div_scale_f32 v103, vcc_lo, v99, v98, v99
	s_delay_alu instid0(VALU_DEP_2) | instskip(SKIP_1) | instid1(TRANS32_DEP_1)
	v_rcp_f32_e32 v101, v100
	v_nop
	v_fma_f32 v102, -v100, v101, 1.0
	s_delay_alu instid0(VALU_DEP_1) | instskip(NEXT) | instid1(VALU_DEP_1)
	v_fmac_f32_e32 v101, v102, v101
	v_mul_f32_e32 v102, v103, v101
	s_delay_alu instid0(VALU_DEP_1) | instskip(NEXT) | instid1(VALU_DEP_1)
	v_fma_f32 v104, -v100, v102, v103
	v_fmac_f32_e32 v102, v104, v101
	s_delay_alu instid0(VALU_DEP_1) | instskip(NEXT) | instid1(VALU_DEP_1)
	v_fma_f32 v100, -v100, v102, v103
	v_div_fmas_f32 v100, v100, v101, v102
	s_delay_alu instid0(VALU_DEP_1) | instskip(NEXT) | instid1(VALU_DEP_1)
	v_div_fixup_f32 v101, v100, v98, v99
	v_fmac_f32_e32 v98, v99, v101
	s_delay_alu instid0(VALU_DEP_1) | instskip(NEXT) | instid1(VALU_DEP_1)
	v_div_scale_f32 v99, null, v98, v98, 1.0
	v_rcp_f32_e32 v100, v99
	v_nop
	s_delay_alu instid0(TRANS32_DEP_1) | instskip(NEXT) | instid1(VALU_DEP_1)
	v_fma_f32 v102, -v99, v100, 1.0
	v_fmac_f32_e32 v100, v102, v100
	v_div_scale_f32 v102, vcc_lo, 1.0, v98, 1.0
	s_delay_alu instid0(VALU_DEP_1) | instskip(NEXT) | instid1(VALU_DEP_1)
	v_mul_f32_e32 v103, v102, v100
	v_fma_f32 v104, -v99, v103, v102
	s_delay_alu instid0(VALU_DEP_1) | instskip(NEXT) | instid1(VALU_DEP_1)
	v_fmac_f32_e32 v103, v104, v100
	v_fma_f32 v99, -v99, v103, v102
	s_delay_alu instid0(VALU_DEP_1) | instskip(NEXT) | instid1(VALU_DEP_1)
	v_div_fmas_f32 v99, v99, v100, v103
	v_div_fixup_f32 v100, v99, v98, 1.0
	s_delay_alu instid0(VALU_DEP_1)
	v_mul_f32_e64 v101, v101, -v100
.LBB41_61:
	s_or_b32 exec_lo, exec_lo, s1
	ds_store_b64 v129, v[100:101]
.LBB41_62:
	s_or_b32 exec_lo, exec_lo, s2
	s_wait_dscnt 0x0
	s_barrier_signal -1
	s_barrier_wait -1
	ds_load_b64 v[98:99], v129
	s_mov_b32 s1, exec_lo
	v_cmpx_lt_u32_e32 6, v128
	s_cbranch_execz .LBB41_64
; %bb.63:
	s_wait_dscnt 0x0
	v_pk_mul_f32 v[100:101], v[98:99], v[26:27] op_sel:[1,1] op_sel_hi:[0,1]
	s_delay_alu instid0(VALU_DEP_1)
	v_pk_fma_f32 v[104:105], v[98:99], v[26:27], v[100:101] op_sel_hi:[1,0,1] neg_lo:[0,0,1] neg_hi:[0,0,1]
	v_pk_fma_f32 v[106:107], v[98:99], v[26:27], v[100:101] op_sel_hi:[1,0,1]
	ds_load_2addr_b64 v[100:103], v130 offset0:7 offset1:8
	v_dual_mov_b32 v26, v104 :: v_dual_mov_b32 v27, v107
	s_wait_dscnt 0x0
	v_pk_mul_f32 v[108:109], v[100:101], v[106:107] op_sel:[0,1]
	s_delay_alu instid0(VALU_DEP_1) | instskip(SKIP_1) | instid1(VALU_DEP_1)
	v_pk_fma_f32 v[110:111], v[100:101], v[104:105], v[108:109] op_sel:[0,0,1] op_sel_hi:[1,1,0] neg_lo:[0,0,1] neg_hi:[0,0,1]
	v_pk_fma_f32 v[100:101], v[100:101], v[104:105], v[108:109] op_sel:[0,0,1] op_sel_hi:[1,0,0]
	v_mov_b32_e32 v111, v101
	v_pk_mul_f32 v[100:101], v[102:103], v[106:107] op_sel:[0,1]
	s_delay_alu instid0(VALU_DEP_1) | instskip(SKIP_1) | instid1(VALU_DEP_1)
	v_pk_fma_f32 v[108:109], v[102:103], v[104:105], v[100:101] op_sel:[0,0,1] op_sel_hi:[1,1,0] neg_lo:[0,0,1] neg_hi:[0,0,1]
	v_pk_fma_f32 v[100:101], v[102:103], v[104:105], v[100:101] op_sel:[0,0,1] op_sel_hi:[1,0,0]
	v_mov_b32_e32 v109, v101
	ds_load_2addr_b64 v[100:103], v130 offset0:9 offset1:10
	v_pk_add_f32 v[22:23], v[22:23], v[110:111] neg_lo:[0,1] neg_hi:[0,1]
	v_pk_add_f32 v[52:53], v[52:53], v[108:109] neg_lo:[0,1] neg_hi:[0,1]
	s_wait_dscnt 0x0
	v_pk_mul_f32 v[108:109], v[100:101], v[106:107] op_sel:[0,1]
	s_delay_alu instid0(VALU_DEP_1) | instskip(SKIP_2) | instid1(VALU_DEP_2)
	v_pk_fma_f32 v[110:111], v[100:101], v[104:105], v[108:109] op_sel:[0,0,1] op_sel_hi:[1,1,0] neg_lo:[0,0,1] neg_hi:[0,0,1]
	v_pk_fma_f32 v[100:101], v[100:101], v[104:105], v[108:109] op_sel:[0,0,1] op_sel_hi:[1,0,0]
	v_dual_mul_f32 v108, v103, v107 :: v_dual_mov_b32 v100, v103
	v_dual_mov_b32 v111, v101 :: v_dual_mov_b32 v101, v102
	s_delay_alu instid0(VALU_DEP_2) | instskip(SKIP_1) | instid1(VALU_DEP_3)
	v_pk_fma_f32 v[108:109], v[102:103], v[26:27], v[108:109] op_sel_hi:[1,1,0] neg_lo:[0,0,1] neg_hi:[0,0,1]
	v_mul_f32_e32 v102, v103, v104
	v_pk_add_f32 v[48:49], v[48:49], v[110:111] neg_lo:[0,1] neg_hi:[0,1]
	s_delay_alu instid0(VALU_DEP_2) | instskip(NEXT) | instid1(VALU_DEP_1)
	v_pk_fma_f32 v[100:101], v[100:101], v[26:27], v[102:103] op_sel_hi:[1,1,0]
	v_mov_b32_e32 v109, v101
	ds_load_2addr_b64 v[100:103], v130 offset0:11 offset1:12
	v_pk_add_f32 v[50:51], v[50:51], v[108:109] neg_lo:[0,1] neg_hi:[0,1]
	s_wait_dscnt 0x0
	v_pk_mul_f32 v[108:109], v[100:101], v[106:107] op_sel:[0,1]
	s_delay_alu instid0(VALU_DEP_1) | instskip(SKIP_1) | instid1(VALU_DEP_1)
	v_pk_fma_f32 v[110:111], v[100:101], v[104:105], v[108:109] op_sel:[0,0,1] op_sel_hi:[1,1,0] neg_lo:[0,0,1] neg_hi:[0,0,1]
	v_pk_fma_f32 v[100:101], v[100:101], v[104:105], v[108:109] op_sel:[0,0,1] op_sel_hi:[1,0,0]
	v_mov_b32_e32 v111, v101
	v_pk_mul_f32 v[100:101], v[102:103], v[106:107] op_sel:[0,1]
	s_delay_alu instid0(VALU_DEP_1) | instskip(SKIP_1) | instid1(VALU_DEP_1)
	v_pk_fma_f32 v[108:109], v[102:103], v[104:105], v[100:101] op_sel:[0,0,1] op_sel_hi:[1,1,0] neg_lo:[0,0,1] neg_hi:[0,0,1]
	v_pk_fma_f32 v[100:101], v[102:103], v[104:105], v[100:101] op_sel:[0,0,1] op_sel_hi:[1,0,0]
	v_mov_b32_e32 v109, v101
	ds_load_2addr_b64 v[100:103], v130 offset0:13 offset1:14
	v_pk_add_f32 v[46:47], v[46:47], v[110:111] neg_lo:[0,1] neg_hi:[0,1]
	v_pk_add_f32 v[76:77], v[76:77], v[108:109] neg_lo:[0,1] neg_hi:[0,1]
	s_wait_dscnt 0x0
	v_pk_mul_f32 v[108:109], v[100:101], v[106:107] op_sel:[0,1]
	s_delay_alu instid0(VALU_DEP_1) | instskip(SKIP_1) | instid1(VALU_DEP_1)
	v_pk_fma_f32 v[110:111], v[100:101], v[104:105], v[108:109] op_sel:[0,0,1] op_sel_hi:[1,1,0] neg_lo:[0,0,1] neg_hi:[0,0,1]
	v_pk_fma_f32 v[100:101], v[100:101], v[104:105], v[108:109] op_sel:[0,0,1] op_sel_hi:[1,0,0]
	v_mov_b32_e32 v111, v101
	v_pk_mul_f32 v[100:101], v[102:103], v[106:107] op_sel:[0,1]
	s_delay_alu instid0(VALU_DEP_1) | instskip(SKIP_1) | instid1(VALU_DEP_1)
	v_pk_fma_f32 v[108:109], v[102:103], v[104:105], v[100:101] op_sel:[0,0,1] op_sel_hi:[1,1,0] neg_lo:[0,0,1] neg_hi:[0,0,1]
	v_pk_fma_f32 v[100:101], v[102:103], v[104:105], v[100:101] op_sel:[0,0,1] op_sel_hi:[1,0,0]
	v_mov_b32_e32 v109, v101
	ds_load_2addr_b64 v[100:103], v130 offset0:15 offset1:16
	v_pk_add_f32 v[70:71], v[70:71], v[110:111] neg_lo:[0,1] neg_hi:[0,1]
	v_pk_add_f32 v[74:75], v[74:75], v[108:109] neg_lo:[0,1] neg_hi:[0,1]
	s_wait_dscnt 0x0
	v_dual_mul_f32 v108, v101, v107 :: v_dual_mul_f32 v110, v101, v104
	s_delay_alu instid0(VALU_DEP_1) | instskip(NEXT) | instid1(VALU_DEP_2)
	v_pk_fma_f32 v[108:109], v[100:101], v[26:27], v[108:109] op_sel_hi:[1,1,0] neg_lo:[0,0,1] neg_hi:[0,0,1]
	v_pk_fma_f32 v[100:101], v[100:101], v[26:27], v[110:111] op_sel:[1,0,0] op_sel_hi:[0,1,0]
	s_delay_alu instid0(VALU_DEP_1) | instskip(SKIP_1) | instid1(VALU_DEP_2)
	v_mov_b32_e32 v109, v101
	v_pk_mul_f32 v[100:101], v[102:103], v[106:107] op_sel:[0,1]
	v_pk_add_f32 v[68:69], v[68:69], v[108:109] neg_lo:[0,1] neg_hi:[0,1]
	s_delay_alu instid0(VALU_DEP_2) | instskip(SKIP_1) | instid1(VALU_DEP_1)
	v_pk_fma_f32 v[108:109], v[102:103], v[104:105], v[100:101] op_sel:[0,0,1] op_sel_hi:[1,1,0] neg_lo:[0,0,1] neg_hi:[0,0,1]
	v_pk_fma_f32 v[100:101], v[102:103], v[104:105], v[100:101] op_sel:[0,0,1] op_sel_hi:[1,0,0]
	v_mov_b32_e32 v109, v101
	ds_load_2addr_b64 v[100:103], v130 offset0:17 offset1:18
	v_pk_add_f32 v[72:73], v[72:73], v[108:109] neg_lo:[0,1] neg_hi:[0,1]
	s_wait_dscnt 0x0
	v_pk_mul_f32 v[108:109], v[100:101], v[106:107] op_sel:[0,1]
	s_delay_alu instid0(VALU_DEP_1) | instskip(SKIP_1) | instid1(VALU_DEP_1)
	v_pk_fma_f32 v[110:111], v[100:101], v[104:105], v[108:109] op_sel:[0,0,1] op_sel_hi:[1,1,0] neg_lo:[0,0,1] neg_hi:[0,0,1]
	v_pk_fma_f32 v[100:101], v[100:101], v[104:105], v[108:109] op_sel:[0,0,1] op_sel_hi:[1,0,0]
	v_mov_b32_e32 v111, v101
	v_pk_mul_f32 v[100:101], v[102:103], v[106:107] op_sel:[0,1]
	s_delay_alu instid0(VALU_DEP_2) | instskip(NEXT) | instid1(VALU_DEP_2)
	v_pk_add_f32 v[82:83], v[82:83], v[110:111] neg_lo:[0,1] neg_hi:[0,1]
	v_pk_fma_f32 v[108:109], v[102:103], v[104:105], v[100:101] op_sel:[0,0,1] op_sel_hi:[1,1,0] neg_lo:[0,0,1] neg_hi:[0,0,1]
	v_pk_fma_f32 v[100:101], v[102:103], v[104:105], v[100:101] op_sel:[0,0,1] op_sel_hi:[1,0,0]
	s_delay_alu instid0(VALU_DEP_1) | instskip(SKIP_4) | instid1(VALU_DEP_1)
	v_mov_b32_e32 v109, v101
	ds_load_2addr_b64 v[100:103], v130 offset0:19 offset1:20
	v_pk_add_f32 v[80:81], v[80:81], v[108:109] neg_lo:[0,1] neg_hi:[0,1]
	s_wait_dscnt 0x0
	v_pk_mul_f32 v[108:109], v[100:101], v[106:107] op_sel:[0,1]
	v_pk_fma_f32 v[110:111], v[100:101], v[104:105], v[108:109] op_sel:[0,0,1] op_sel_hi:[1,1,0] neg_lo:[0,0,1] neg_hi:[0,0,1]
	v_pk_fma_f32 v[100:101], v[100:101], v[104:105], v[108:109] op_sel:[0,0,1] op_sel_hi:[1,0,0]
	s_delay_alu instid0(VALU_DEP_1) | instskip(SKIP_1) | instid1(VALU_DEP_2)
	v_mov_b32_e32 v111, v101
	v_pk_mul_f32 v[100:101], v[102:103], v[106:107] op_sel:[0,1]
	v_pk_add_f32 v[78:79], v[78:79], v[110:111] neg_lo:[0,1] neg_hi:[0,1]
	s_delay_alu instid0(VALU_DEP_2) | instskip(SKIP_1) | instid1(VALU_DEP_1)
	v_pk_fma_f32 v[106:107], v[102:103], v[104:105], v[100:101] op_sel:[0,0,1] op_sel_hi:[1,1,0] neg_lo:[0,0,1] neg_hi:[0,0,1]
	v_pk_fma_f32 v[100:101], v[102:103], v[104:105], v[100:101] op_sel:[0,0,1] op_sel_hi:[1,0,0]
	v_mov_b32_e32 v107, v101
	s_delay_alu instid0(VALU_DEP_1)
	v_pk_add_f32 v[84:85], v[84:85], v[106:107] neg_lo:[0,1] neg_hi:[0,1]
.LBB41_64:
	s_or_b32 exec_lo, exec_lo, s1
	s_delay_alu instid0(SALU_CYCLE_1)
	s_mov_b32 s2, exec_lo
	s_wait_dscnt 0x0
	s_barrier_signal -1
	s_barrier_wait -1
	v_cmpx_eq_u32_e32 7, v128
	s_cbranch_execz .LBB41_71
; %bb.65:
	v_dual_mov_b32 v100, v52 :: v_dual_mov_b32 v101, v53
	v_dual_mov_b32 v102, v48 :: v_dual_mov_b32 v103, v49
	;; [unrolled: 1-line block ×10, first 2 shown]
	ds_store_b64 v129, v[22:23]
	v_dual_mov_b32 v120, v80 :: v_dual_mov_b32 v121, v81
	v_dual_mov_b32 v122, v78 :: v_dual_mov_b32 v123, v79
	ds_store_2addr_b64 v130, v[100:101], v[102:103] offset0:8 offset1:9
	ds_store_2addr_b64 v130, v[104:105], v[106:107] offset0:10 offset1:11
	;; [unrolled: 1-line block ×6, first 2 shown]
	ds_store_b64 v130, v[84:85] offset:160
	ds_load_b64 v[100:101], v129
	s_wait_dscnt 0x0
	v_cmp_neq_f32_e32 vcc_lo, 0, v100
	v_cmp_neq_f32_e64 s1, 0, v101
	s_or_b32 s1, vcc_lo, s1
	s_delay_alu instid0(SALU_CYCLE_1)
	s_and_b32 exec_lo, exec_lo, s1
	s_cbranch_execz .LBB41_71
; %bb.66:
	v_cmp_ngt_f32_e64 s1, |v100|, |v101|
                                        ; implicit-def: $vgpr102_vgpr103
	s_and_saveexec_b32 s4, s1
	s_delay_alu instid0(SALU_CYCLE_1)
	s_xor_b32 s1, exec_lo, s4
	s_cbranch_execz .LBB41_68
; %bb.67:
	v_div_scale_f32 v102, null, v101, v101, v100
	v_div_scale_f32 v105, vcc_lo, v100, v101, v100
	s_delay_alu instid0(VALU_DEP_2) | instskip(SKIP_1) | instid1(TRANS32_DEP_1)
	v_rcp_f32_e32 v103, v102
	v_nop
	v_fma_f32 v104, -v102, v103, 1.0
	s_delay_alu instid0(VALU_DEP_1) | instskip(NEXT) | instid1(VALU_DEP_1)
	v_fmac_f32_e32 v103, v104, v103
	v_mul_f32_e32 v104, v105, v103
	s_delay_alu instid0(VALU_DEP_1) | instskip(NEXT) | instid1(VALU_DEP_1)
	v_fma_f32 v106, -v102, v104, v105
	v_fmac_f32_e32 v104, v106, v103
	s_delay_alu instid0(VALU_DEP_1) | instskip(NEXT) | instid1(VALU_DEP_1)
	v_fma_f32 v102, -v102, v104, v105
	v_div_fmas_f32 v102, v102, v103, v104
	s_delay_alu instid0(VALU_DEP_1) | instskip(NEXT) | instid1(VALU_DEP_1)
	v_div_fixup_f32 v102, v102, v101, v100
	v_fmac_f32_e32 v101, v100, v102
	s_delay_alu instid0(VALU_DEP_1) | instskip(SKIP_1) | instid1(VALU_DEP_2)
	v_div_scale_f32 v100, null, v101, v101, 1.0
	v_div_scale_f32 v105, vcc_lo, 1.0, v101, 1.0
	v_rcp_f32_e32 v103, v100
	v_nop
	s_delay_alu instid0(TRANS32_DEP_1) | instskip(NEXT) | instid1(VALU_DEP_1)
	v_fma_f32 v104, -v100, v103, 1.0
	v_fmac_f32_e32 v103, v104, v103
	s_delay_alu instid0(VALU_DEP_1) | instskip(NEXT) | instid1(VALU_DEP_1)
	v_mul_f32_e32 v104, v105, v103
	v_fma_f32 v106, -v100, v104, v105
	s_delay_alu instid0(VALU_DEP_1) | instskip(NEXT) | instid1(VALU_DEP_1)
	v_fmac_f32_e32 v104, v106, v103
	v_fma_f32 v100, -v100, v104, v105
	s_delay_alu instid0(VALU_DEP_1) | instskip(NEXT) | instid1(VALU_DEP_1)
	v_div_fmas_f32 v100, v100, v103, v104
	v_div_fixup_f32 v100, v100, v101, 1.0
	s_delay_alu instid0(VALU_DEP_1)
	v_mul_f32_e32 v102, v102, v100
	v_xor_b32_e32 v103, 0x80000000, v100
                                        ; implicit-def: $vgpr100_vgpr101
.LBB41_68:
	s_and_not1_saveexec_b32 s1, s1
	s_cbranch_execz .LBB41_70
; %bb.69:
	v_div_scale_f32 v102, null, v100, v100, v101
	v_div_scale_f32 v105, vcc_lo, v101, v100, v101
	s_delay_alu instid0(VALU_DEP_2) | instskip(SKIP_1) | instid1(TRANS32_DEP_1)
	v_rcp_f32_e32 v103, v102
	v_nop
	v_fma_f32 v104, -v102, v103, 1.0
	s_delay_alu instid0(VALU_DEP_1) | instskip(NEXT) | instid1(VALU_DEP_1)
	v_fmac_f32_e32 v103, v104, v103
	v_mul_f32_e32 v104, v105, v103
	s_delay_alu instid0(VALU_DEP_1) | instskip(NEXT) | instid1(VALU_DEP_1)
	v_fma_f32 v106, -v102, v104, v105
	v_fmac_f32_e32 v104, v106, v103
	s_delay_alu instid0(VALU_DEP_1) | instskip(NEXT) | instid1(VALU_DEP_1)
	v_fma_f32 v102, -v102, v104, v105
	v_div_fmas_f32 v102, v102, v103, v104
	s_delay_alu instid0(VALU_DEP_1) | instskip(NEXT) | instid1(VALU_DEP_1)
	v_div_fixup_f32 v103, v102, v100, v101
	v_fmac_f32_e32 v100, v101, v103
	s_delay_alu instid0(VALU_DEP_1) | instskip(NEXT) | instid1(VALU_DEP_1)
	v_div_scale_f32 v101, null, v100, v100, 1.0
	v_rcp_f32_e32 v102, v101
	v_nop
	s_delay_alu instid0(TRANS32_DEP_1) | instskip(NEXT) | instid1(VALU_DEP_1)
	v_fma_f32 v104, -v101, v102, 1.0
	v_fmac_f32_e32 v102, v104, v102
	v_div_scale_f32 v104, vcc_lo, 1.0, v100, 1.0
	s_delay_alu instid0(VALU_DEP_1) | instskip(NEXT) | instid1(VALU_DEP_1)
	v_mul_f32_e32 v105, v104, v102
	v_fma_f32 v106, -v101, v105, v104
	s_delay_alu instid0(VALU_DEP_1) | instskip(NEXT) | instid1(VALU_DEP_1)
	v_fmac_f32_e32 v105, v106, v102
	v_fma_f32 v101, -v101, v105, v104
	s_delay_alu instid0(VALU_DEP_1) | instskip(NEXT) | instid1(VALU_DEP_1)
	v_div_fmas_f32 v101, v101, v102, v105
	v_div_fixup_f32 v102, v101, v100, 1.0
	s_delay_alu instid0(VALU_DEP_1)
	v_mul_f32_e64 v103, v103, -v102
.LBB41_70:
	s_or_b32 exec_lo, exec_lo, s1
	ds_store_b64 v129, v[102:103]
.LBB41_71:
	s_or_b32 exec_lo, exec_lo, s2
	s_wait_dscnt 0x0
	s_barrier_signal -1
	s_barrier_wait -1
	ds_load_b64 v[100:101], v129
	s_mov_b32 s1, exec_lo
	v_cmpx_lt_u32_e32 7, v128
	s_cbranch_execz .LBB41_73
; %bb.72:
	s_wait_dscnt 0x0
	v_pk_mul_f32 v[102:103], v[100:101], v[22:23] op_sel:[1,1] op_sel_hi:[0,1]
	s_delay_alu instid0(VALU_DEP_1)
	v_pk_fma_f32 v[106:107], v[100:101], v[22:23], v[102:103] op_sel_hi:[1,0,1] neg_lo:[0,0,1] neg_hi:[0,0,1]
	v_pk_fma_f32 v[108:109], v[100:101], v[22:23], v[102:103] op_sel_hi:[1,0,1]
	ds_load_2addr_b64 v[102:105], v130 offset0:8 offset1:9
	v_dual_mov_b32 v22, v106 :: v_dual_mov_b32 v23, v109
	s_wait_dscnt 0x0
	v_pk_mul_f32 v[110:111], v[102:103], v[108:109] op_sel:[0,1]
	s_delay_alu instid0(VALU_DEP_1) | instskip(SKIP_1) | instid1(VALU_DEP_1)
	v_pk_fma_f32 v[112:113], v[102:103], v[106:107], v[110:111] op_sel:[0,0,1] op_sel_hi:[1,1,0] neg_lo:[0,0,1] neg_hi:[0,0,1]
	v_pk_fma_f32 v[102:103], v[102:103], v[106:107], v[110:111] op_sel:[0,0,1] op_sel_hi:[1,0,0]
	v_mov_b32_e32 v113, v103
	v_pk_mul_f32 v[102:103], v[104:105], v[108:109] op_sel:[0,1]
	s_delay_alu instid0(VALU_DEP_1) | instskip(SKIP_1) | instid1(VALU_DEP_1)
	v_pk_fma_f32 v[110:111], v[104:105], v[106:107], v[102:103] op_sel:[0,0,1] op_sel_hi:[1,1,0] neg_lo:[0,0,1] neg_hi:[0,0,1]
	v_pk_fma_f32 v[102:103], v[104:105], v[106:107], v[102:103] op_sel:[0,0,1] op_sel_hi:[1,0,0]
	v_mov_b32_e32 v111, v103
	ds_load_2addr_b64 v[102:105], v130 offset0:10 offset1:11
	v_pk_add_f32 v[52:53], v[52:53], v[112:113] neg_lo:[0,1] neg_hi:[0,1]
	v_pk_add_f32 v[48:49], v[48:49], v[110:111] neg_lo:[0,1] neg_hi:[0,1]
	s_wait_dscnt 0x0
	v_pk_mul_f32 v[110:111], v[102:103], v[108:109] op_sel:[0,1]
	s_delay_alu instid0(VALU_DEP_1) | instskip(SKIP_2) | instid1(VALU_DEP_2)
	v_pk_fma_f32 v[112:113], v[102:103], v[106:107], v[110:111] op_sel:[0,0,1] op_sel_hi:[1,1,0] neg_lo:[0,0,1] neg_hi:[0,0,1]
	v_pk_fma_f32 v[102:103], v[102:103], v[106:107], v[110:111] op_sel:[0,0,1] op_sel_hi:[1,0,0]
	v_dual_mul_f32 v110, v105, v109 :: v_dual_mov_b32 v102, v105
	v_dual_mov_b32 v113, v103 :: v_dual_mov_b32 v103, v104
	s_delay_alu instid0(VALU_DEP_2) | instskip(SKIP_1) | instid1(VALU_DEP_3)
	v_pk_fma_f32 v[110:111], v[104:105], v[22:23], v[110:111] op_sel_hi:[1,1,0] neg_lo:[0,0,1] neg_hi:[0,0,1]
	v_mul_f32_e32 v104, v105, v106
	v_pk_add_f32 v[50:51], v[50:51], v[112:113] neg_lo:[0,1] neg_hi:[0,1]
	s_delay_alu instid0(VALU_DEP_2) | instskip(NEXT) | instid1(VALU_DEP_1)
	v_pk_fma_f32 v[102:103], v[102:103], v[22:23], v[104:105] op_sel_hi:[1,1,0]
	v_mov_b32_e32 v111, v103
	ds_load_2addr_b64 v[102:105], v130 offset0:12 offset1:13
	v_pk_add_f32 v[46:47], v[46:47], v[110:111] neg_lo:[0,1] neg_hi:[0,1]
	s_wait_dscnt 0x0
	v_pk_mul_f32 v[110:111], v[102:103], v[108:109] op_sel:[0,1]
	s_delay_alu instid0(VALU_DEP_1) | instskip(SKIP_1) | instid1(VALU_DEP_1)
	v_pk_fma_f32 v[112:113], v[102:103], v[106:107], v[110:111] op_sel:[0,0,1] op_sel_hi:[1,1,0] neg_lo:[0,0,1] neg_hi:[0,0,1]
	v_pk_fma_f32 v[102:103], v[102:103], v[106:107], v[110:111] op_sel:[0,0,1] op_sel_hi:[1,0,0]
	v_mov_b32_e32 v113, v103
	v_pk_mul_f32 v[102:103], v[104:105], v[108:109] op_sel:[0,1]
	s_delay_alu instid0(VALU_DEP_1) | instskip(SKIP_1) | instid1(VALU_DEP_1)
	v_pk_fma_f32 v[110:111], v[104:105], v[106:107], v[102:103] op_sel:[0,0,1] op_sel_hi:[1,1,0] neg_lo:[0,0,1] neg_hi:[0,0,1]
	v_pk_fma_f32 v[102:103], v[104:105], v[106:107], v[102:103] op_sel:[0,0,1] op_sel_hi:[1,0,0]
	v_mov_b32_e32 v111, v103
	ds_load_2addr_b64 v[102:105], v130 offset0:14 offset1:15
	v_pk_add_f32 v[76:77], v[76:77], v[112:113] neg_lo:[0,1] neg_hi:[0,1]
	v_pk_add_f32 v[70:71], v[70:71], v[110:111] neg_lo:[0,1] neg_hi:[0,1]
	s_wait_dscnt 0x0
	v_pk_mul_f32 v[110:111], v[102:103], v[108:109] op_sel:[0,1]
	s_delay_alu instid0(VALU_DEP_1) | instskip(SKIP_1) | instid1(VALU_DEP_1)
	v_pk_fma_f32 v[112:113], v[102:103], v[106:107], v[110:111] op_sel:[0,0,1] op_sel_hi:[1,1,0] neg_lo:[0,0,1] neg_hi:[0,0,1]
	v_pk_fma_f32 v[102:103], v[102:103], v[106:107], v[110:111] op_sel:[0,0,1] op_sel_hi:[1,0,0]
	v_mov_b32_e32 v113, v103
	v_pk_mul_f32 v[102:103], v[104:105], v[108:109] op_sel:[0,1]
	s_delay_alu instid0(VALU_DEP_1) | instskip(SKIP_1) | instid1(VALU_DEP_1)
	v_pk_fma_f32 v[110:111], v[104:105], v[106:107], v[102:103] op_sel:[0,0,1] op_sel_hi:[1,1,0] neg_lo:[0,0,1] neg_hi:[0,0,1]
	v_pk_fma_f32 v[102:103], v[104:105], v[106:107], v[102:103] op_sel:[0,0,1] op_sel_hi:[1,0,0]
	v_mov_b32_e32 v111, v103
	ds_load_2addr_b64 v[102:105], v130 offset0:16 offset1:17
	v_pk_add_f32 v[74:75], v[74:75], v[112:113] neg_lo:[0,1] neg_hi:[0,1]
	v_pk_add_f32 v[68:69], v[68:69], v[110:111] neg_lo:[0,1] neg_hi:[0,1]
	s_wait_dscnt 0x0
	v_dual_mul_f32 v110, v103, v109 :: v_dual_mul_f32 v112, v103, v106
	s_delay_alu instid0(VALU_DEP_1) | instskip(NEXT) | instid1(VALU_DEP_2)
	v_pk_fma_f32 v[110:111], v[102:103], v[22:23], v[110:111] op_sel_hi:[1,1,0] neg_lo:[0,0,1] neg_hi:[0,0,1]
	v_pk_fma_f32 v[102:103], v[102:103], v[22:23], v[112:113] op_sel:[1,0,0] op_sel_hi:[0,1,0]
	s_delay_alu instid0(VALU_DEP_1) | instskip(SKIP_1) | instid1(VALU_DEP_2)
	v_mov_b32_e32 v111, v103
	v_pk_mul_f32 v[102:103], v[104:105], v[108:109] op_sel:[0,1]
	v_pk_add_f32 v[72:73], v[72:73], v[110:111] neg_lo:[0,1] neg_hi:[0,1]
	s_delay_alu instid0(VALU_DEP_2) | instskip(SKIP_1) | instid1(VALU_DEP_1)
	v_pk_fma_f32 v[110:111], v[104:105], v[106:107], v[102:103] op_sel:[0,0,1] op_sel_hi:[1,1,0] neg_lo:[0,0,1] neg_hi:[0,0,1]
	v_pk_fma_f32 v[102:103], v[104:105], v[106:107], v[102:103] op_sel:[0,0,1] op_sel_hi:[1,0,0]
	v_mov_b32_e32 v111, v103
	ds_load_2addr_b64 v[102:105], v130 offset0:18 offset1:19
	v_pk_add_f32 v[82:83], v[82:83], v[110:111] neg_lo:[0,1] neg_hi:[0,1]
	s_wait_dscnt 0x0
	v_pk_mul_f32 v[110:111], v[102:103], v[108:109] op_sel:[0,1]
	s_delay_alu instid0(VALU_DEP_1) | instskip(SKIP_1) | instid1(VALU_DEP_1)
	v_pk_fma_f32 v[112:113], v[102:103], v[106:107], v[110:111] op_sel:[0,0,1] op_sel_hi:[1,1,0] neg_lo:[0,0,1] neg_hi:[0,0,1]
	v_pk_fma_f32 v[102:103], v[102:103], v[106:107], v[110:111] op_sel:[0,0,1] op_sel_hi:[1,0,0]
	v_mov_b32_e32 v113, v103
	v_pk_mul_f32 v[102:103], v[104:105], v[108:109] op_sel:[0,1]
	s_delay_alu instid0(VALU_DEP_2) | instskip(NEXT) | instid1(VALU_DEP_2)
	v_pk_add_f32 v[80:81], v[80:81], v[112:113] neg_lo:[0,1] neg_hi:[0,1]
	v_pk_fma_f32 v[110:111], v[104:105], v[106:107], v[102:103] op_sel:[0,0,1] op_sel_hi:[1,1,0] neg_lo:[0,0,1] neg_hi:[0,0,1]
	v_pk_fma_f32 v[102:103], v[104:105], v[106:107], v[102:103] op_sel:[0,0,1] op_sel_hi:[1,0,0]
	s_delay_alu instid0(VALU_DEP_1) | instskip(SKIP_4) | instid1(VALU_DEP_1)
	v_mov_b32_e32 v111, v103
	ds_load_b64 v[102:103], v130 offset:160
	v_pk_add_f32 v[78:79], v[78:79], v[110:111] neg_lo:[0,1] neg_hi:[0,1]
	s_wait_dscnt 0x0
	v_pk_mul_f32 v[104:105], v[102:103], v[108:109] op_sel:[0,1]
	v_pk_fma_f32 v[108:109], v[102:103], v[106:107], v[104:105] op_sel:[0,0,1] op_sel_hi:[1,1,0] neg_lo:[0,0,1] neg_hi:[0,0,1]
	v_pk_fma_f32 v[102:103], v[102:103], v[106:107], v[104:105] op_sel:[0,0,1] op_sel_hi:[1,0,0]
	s_delay_alu instid0(VALU_DEP_1) | instskip(NEXT) | instid1(VALU_DEP_1)
	v_mov_b32_e32 v109, v103
	v_pk_add_f32 v[84:85], v[84:85], v[108:109] neg_lo:[0,1] neg_hi:[0,1]
.LBB41_73:
	s_or_b32 exec_lo, exec_lo, s1
	s_delay_alu instid0(SALU_CYCLE_1)
	s_mov_b32 s2, exec_lo
	s_wait_dscnt 0x0
	s_barrier_signal -1
	s_barrier_wait -1
	v_cmpx_eq_u32_e32 8, v128
	s_cbranch_execz .LBB41_80
; %bb.74:
	ds_store_b64 v129, v[52:53]
	ds_store_2addr_b64 v130, v[48:49], v[50:51] offset0:9 offset1:10
	ds_store_2addr_b64 v130, v[46:47], v[76:77] offset0:11 offset1:12
	;; [unrolled: 1-line block ×6, first 2 shown]
	ds_load_b64 v[102:103], v129
	s_wait_dscnt 0x0
	v_cmp_neq_f32_e32 vcc_lo, 0, v102
	v_cmp_neq_f32_e64 s1, 0, v103
	s_or_b32 s1, vcc_lo, s1
	s_delay_alu instid0(SALU_CYCLE_1)
	s_and_b32 exec_lo, exec_lo, s1
	s_cbranch_execz .LBB41_80
; %bb.75:
	v_cmp_ngt_f32_e64 s1, |v102|, |v103|
                                        ; implicit-def: $vgpr104_vgpr105
	s_and_saveexec_b32 s4, s1
	s_delay_alu instid0(SALU_CYCLE_1)
	s_xor_b32 s1, exec_lo, s4
	s_cbranch_execz .LBB41_77
; %bb.76:
	v_div_scale_f32 v104, null, v103, v103, v102
	v_div_scale_f32 v107, vcc_lo, v102, v103, v102
	s_delay_alu instid0(VALU_DEP_2) | instskip(SKIP_1) | instid1(TRANS32_DEP_1)
	v_rcp_f32_e32 v105, v104
	v_nop
	v_fma_f32 v106, -v104, v105, 1.0
	s_delay_alu instid0(VALU_DEP_1) | instskip(NEXT) | instid1(VALU_DEP_1)
	v_fmac_f32_e32 v105, v106, v105
	v_mul_f32_e32 v106, v107, v105
	s_delay_alu instid0(VALU_DEP_1) | instskip(NEXT) | instid1(VALU_DEP_1)
	v_fma_f32 v108, -v104, v106, v107
	v_fmac_f32_e32 v106, v108, v105
	s_delay_alu instid0(VALU_DEP_1) | instskip(NEXT) | instid1(VALU_DEP_1)
	v_fma_f32 v104, -v104, v106, v107
	v_div_fmas_f32 v104, v104, v105, v106
	s_delay_alu instid0(VALU_DEP_1) | instskip(NEXT) | instid1(VALU_DEP_1)
	v_div_fixup_f32 v104, v104, v103, v102
	v_fmac_f32_e32 v103, v102, v104
	s_delay_alu instid0(VALU_DEP_1) | instskip(SKIP_1) | instid1(VALU_DEP_2)
	v_div_scale_f32 v102, null, v103, v103, 1.0
	v_div_scale_f32 v107, vcc_lo, 1.0, v103, 1.0
	v_rcp_f32_e32 v105, v102
	v_nop
	s_delay_alu instid0(TRANS32_DEP_1) | instskip(NEXT) | instid1(VALU_DEP_1)
	v_fma_f32 v106, -v102, v105, 1.0
	v_fmac_f32_e32 v105, v106, v105
	s_delay_alu instid0(VALU_DEP_1) | instskip(NEXT) | instid1(VALU_DEP_1)
	v_mul_f32_e32 v106, v107, v105
	v_fma_f32 v108, -v102, v106, v107
	s_delay_alu instid0(VALU_DEP_1) | instskip(NEXT) | instid1(VALU_DEP_1)
	v_fmac_f32_e32 v106, v108, v105
	v_fma_f32 v102, -v102, v106, v107
	s_delay_alu instid0(VALU_DEP_1) | instskip(NEXT) | instid1(VALU_DEP_1)
	v_div_fmas_f32 v102, v102, v105, v106
	v_div_fixup_f32 v102, v102, v103, 1.0
	s_delay_alu instid0(VALU_DEP_1)
	v_mul_f32_e32 v104, v104, v102
	v_xor_b32_e32 v105, 0x80000000, v102
                                        ; implicit-def: $vgpr102_vgpr103
.LBB41_77:
	s_and_not1_saveexec_b32 s1, s1
	s_cbranch_execz .LBB41_79
; %bb.78:
	v_div_scale_f32 v104, null, v102, v102, v103
	v_div_scale_f32 v107, vcc_lo, v103, v102, v103
	s_delay_alu instid0(VALU_DEP_2) | instskip(SKIP_1) | instid1(TRANS32_DEP_1)
	v_rcp_f32_e32 v105, v104
	v_nop
	v_fma_f32 v106, -v104, v105, 1.0
	s_delay_alu instid0(VALU_DEP_1) | instskip(NEXT) | instid1(VALU_DEP_1)
	v_fmac_f32_e32 v105, v106, v105
	v_mul_f32_e32 v106, v107, v105
	s_delay_alu instid0(VALU_DEP_1) | instskip(NEXT) | instid1(VALU_DEP_1)
	v_fma_f32 v108, -v104, v106, v107
	v_fmac_f32_e32 v106, v108, v105
	s_delay_alu instid0(VALU_DEP_1) | instskip(NEXT) | instid1(VALU_DEP_1)
	v_fma_f32 v104, -v104, v106, v107
	v_div_fmas_f32 v104, v104, v105, v106
	s_delay_alu instid0(VALU_DEP_1) | instskip(NEXT) | instid1(VALU_DEP_1)
	v_div_fixup_f32 v105, v104, v102, v103
	v_fmac_f32_e32 v102, v103, v105
	s_delay_alu instid0(VALU_DEP_1) | instskip(NEXT) | instid1(VALU_DEP_1)
	v_div_scale_f32 v103, null, v102, v102, 1.0
	v_rcp_f32_e32 v104, v103
	v_nop
	s_delay_alu instid0(TRANS32_DEP_1) | instskip(NEXT) | instid1(VALU_DEP_1)
	v_fma_f32 v106, -v103, v104, 1.0
	v_fmac_f32_e32 v104, v106, v104
	v_div_scale_f32 v106, vcc_lo, 1.0, v102, 1.0
	s_delay_alu instid0(VALU_DEP_1) | instskip(NEXT) | instid1(VALU_DEP_1)
	v_mul_f32_e32 v107, v106, v104
	v_fma_f32 v108, -v103, v107, v106
	s_delay_alu instid0(VALU_DEP_1) | instskip(NEXT) | instid1(VALU_DEP_1)
	v_fmac_f32_e32 v107, v108, v104
	v_fma_f32 v103, -v103, v107, v106
	s_delay_alu instid0(VALU_DEP_1) | instskip(NEXT) | instid1(VALU_DEP_1)
	v_div_fmas_f32 v103, v103, v104, v107
	v_div_fixup_f32 v104, v103, v102, 1.0
	s_delay_alu instid0(VALU_DEP_1)
	v_mul_f32_e64 v105, v105, -v104
.LBB41_79:
	s_or_b32 exec_lo, exec_lo, s1
	ds_store_b64 v129, v[104:105]
.LBB41_80:
	s_or_b32 exec_lo, exec_lo, s2
	s_wait_dscnt 0x0
	s_barrier_signal -1
	s_barrier_wait -1
	ds_load_b64 v[102:103], v129
	s_mov_b32 s1, exec_lo
	v_cmpx_lt_u32_e32 8, v128
	s_cbranch_execz .LBB41_82
; %bb.81:
	s_wait_dscnt 0x0
	v_pk_mul_f32 v[104:105], v[102:103], v[52:53] op_sel:[1,1] op_sel_hi:[0,1]
	s_delay_alu instid0(VALU_DEP_1)
	v_pk_fma_f32 v[108:109], v[102:103], v[52:53], v[104:105] op_sel_hi:[1,0,1] neg_lo:[0,0,1] neg_hi:[0,0,1]
	v_pk_fma_f32 v[110:111], v[102:103], v[52:53], v[104:105] op_sel_hi:[1,0,1]
	ds_load_2addr_b64 v[104:107], v130 offset0:9 offset1:10
	v_dual_mov_b32 v52, v108 :: v_dual_mov_b32 v53, v111
	s_wait_dscnt 0x0
	v_pk_mul_f32 v[112:113], v[104:105], v[110:111] op_sel:[0,1]
	s_delay_alu instid0(VALU_DEP_1) | instskip(SKIP_1) | instid1(VALU_DEP_1)
	v_pk_fma_f32 v[114:115], v[104:105], v[108:109], v[112:113] op_sel:[0,0,1] op_sel_hi:[1,1,0] neg_lo:[0,0,1] neg_hi:[0,0,1]
	v_pk_fma_f32 v[104:105], v[104:105], v[108:109], v[112:113] op_sel:[0,0,1] op_sel_hi:[1,0,0]
	v_mov_b32_e32 v115, v105
	v_pk_mul_f32 v[104:105], v[106:107], v[110:111] op_sel:[0,1]
	s_delay_alu instid0(VALU_DEP_1) | instskip(SKIP_1) | instid1(VALU_DEP_1)
	v_pk_fma_f32 v[112:113], v[106:107], v[108:109], v[104:105] op_sel:[0,0,1] op_sel_hi:[1,1,0] neg_lo:[0,0,1] neg_hi:[0,0,1]
	v_pk_fma_f32 v[104:105], v[106:107], v[108:109], v[104:105] op_sel:[0,0,1] op_sel_hi:[1,0,0]
	v_mov_b32_e32 v113, v105
	ds_load_2addr_b64 v[104:107], v130 offset0:11 offset1:12
	v_pk_add_f32 v[48:49], v[48:49], v[114:115] neg_lo:[0,1] neg_hi:[0,1]
	v_pk_add_f32 v[50:51], v[50:51], v[112:113] neg_lo:[0,1] neg_hi:[0,1]
	s_wait_dscnt 0x0
	v_pk_mul_f32 v[112:113], v[104:105], v[110:111] op_sel:[0,1]
	s_delay_alu instid0(VALU_DEP_1) | instskip(SKIP_2) | instid1(VALU_DEP_2)
	v_pk_fma_f32 v[114:115], v[104:105], v[108:109], v[112:113] op_sel:[0,0,1] op_sel_hi:[1,1,0] neg_lo:[0,0,1] neg_hi:[0,0,1]
	v_pk_fma_f32 v[104:105], v[104:105], v[108:109], v[112:113] op_sel:[0,0,1] op_sel_hi:[1,0,0]
	v_dual_mul_f32 v112, v107, v111 :: v_dual_mov_b32 v104, v107
	v_dual_mov_b32 v115, v105 :: v_dual_mov_b32 v105, v106
	s_delay_alu instid0(VALU_DEP_2) | instskip(SKIP_1) | instid1(VALU_DEP_3)
	v_pk_fma_f32 v[112:113], v[106:107], v[52:53], v[112:113] op_sel_hi:[1,1,0] neg_lo:[0,0,1] neg_hi:[0,0,1]
	v_mul_f32_e32 v106, v107, v108
	v_pk_add_f32 v[46:47], v[46:47], v[114:115] neg_lo:[0,1] neg_hi:[0,1]
	s_delay_alu instid0(VALU_DEP_2) | instskip(NEXT) | instid1(VALU_DEP_1)
	v_pk_fma_f32 v[104:105], v[104:105], v[52:53], v[106:107] op_sel_hi:[1,1,0]
	v_mov_b32_e32 v113, v105
	ds_load_2addr_b64 v[104:107], v130 offset0:13 offset1:14
	v_pk_add_f32 v[76:77], v[76:77], v[112:113] neg_lo:[0,1] neg_hi:[0,1]
	s_wait_dscnt 0x0
	v_pk_mul_f32 v[112:113], v[104:105], v[110:111] op_sel:[0,1]
	s_delay_alu instid0(VALU_DEP_1) | instskip(SKIP_1) | instid1(VALU_DEP_1)
	v_pk_fma_f32 v[114:115], v[104:105], v[108:109], v[112:113] op_sel:[0,0,1] op_sel_hi:[1,1,0] neg_lo:[0,0,1] neg_hi:[0,0,1]
	v_pk_fma_f32 v[104:105], v[104:105], v[108:109], v[112:113] op_sel:[0,0,1] op_sel_hi:[1,0,0]
	v_mov_b32_e32 v115, v105
	v_pk_mul_f32 v[104:105], v[106:107], v[110:111] op_sel:[0,1]
	s_delay_alu instid0(VALU_DEP_1) | instskip(SKIP_1) | instid1(VALU_DEP_1)
	v_pk_fma_f32 v[112:113], v[106:107], v[108:109], v[104:105] op_sel:[0,0,1] op_sel_hi:[1,1,0] neg_lo:[0,0,1] neg_hi:[0,0,1]
	v_pk_fma_f32 v[104:105], v[106:107], v[108:109], v[104:105] op_sel:[0,0,1] op_sel_hi:[1,0,0]
	v_mov_b32_e32 v113, v105
	ds_load_2addr_b64 v[104:107], v130 offset0:15 offset1:16
	v_pk_add_f32 v[70:71], v[70:71], v[114:115] neg_lo:[0,1] neg_hi:[0,1]
	v_pk_add_f32 v[74:75], v[74:75], v[112:113] neg_lo:[0,1] neg_hi:[0,1]
	s_wait_dscnt 0x0
	v_pk_mul_f32 v[112:113], v[104:105], v[110:111] op_sel:[0,1]
	s_delay_alu instid0(VALU_DEP_1) | instskip(SKIP_1) | instid1(VALU_DEP_1)
	v_pk_fma_f32 v[114:115], v[104:105], v[108:109], v[112:113] op_sel:[0,0,1] op_sel_hi:[1,1,0] neg_lo:[0,0,1] neg_hi:[0,0,1]
	v_pk_fma_f32 v[104:105], v[104:105], v[108:109], v[112:113] op_sel:[0,0,1] op_sel_hi:[1,0,0]
	v_mov_b32_e32 v115, v105
	v_pk_mul_f32 v[104:105], v[106:107], v[110:111] op_sel:[0,1]
	s_delay_alu instid0(VALU_DEP_1) | instskip(SKIP_1) | instid1(VALU_DEP_1)
	v_pk_fma_f32 v[112:113], v[106:107], v[108:109], v[104:105] op_sel:[0,0,1] op_sel_hi:[1,1,0] neg_lo:[0,0,1] neg_hi:[0,0,1]
	v_pk_fma_f32 v[104:105], v[106:107], v[108:109], v[104:105] op_sel:[0,0,1] op_sel_hi:[1,0,0]
	v_mov_b32_e32 v113, v105
	ds_load_2addr_b64 v[104:107], v130 offset0:17 offset1:18
	v_pk_add_f32 v[68:69], v[68:69], v[114:115] neg_lo:[0,1] neg_hi:[0,1]
	v_pk_add_f32 v[72:73], v[72:73], v[112:113] neg_lo:[0,1] neg_hi:[0,1]
	s_wait_dscnt 0x0
	v_dual_mul_f32 v112, v105, v111 :: v_dual_mul_f32 v114, v105, v108
	s_delay_alu instid0(VALU_DEP_1) | instskip(NEXT) | instid1(VALU_DEP_2)
	v_pk_fma_f32 v[112:113], v[104:105], v[52:53], v[112:113] op_sel_hi:[1,1,0] neg_lo:[0,0,1] neg_hi:[0,0,1]
	v_pk_fma_f32 v[104:105], v[104:105], v[52:53], v[114:115] op_sel:[1,0,0] op_sel_hi:[0,1,0]
	s_delay_alu instid0(VALU_DEP_1) | instskip(SKIP_1) | instid1(VALU_DEP_2)
	v_mov_b32_e32 v113, v105
	v_pk_mul_f32 v[104:105], v[106:107], v[110:111] op_sel:[0,1]
	v_pk_add_f32 v[82:83], v[82:83], v[112:113] neg_lo:[0,1] neg_hi:[0,1]
	s_delay_alu instid0(VALU_DEP_2) | instskip(SKIP_1) | instid1(VALU_DEP_1)
	v_pk_fma_f32 v[112:113], v[106:107], v[108:109], v[104:105] op_sel:[0,0,1] op_sel_hi:[1,1,0] neg_lo:[0,0,1] neg_hi:[0,0,1]
	v_pk_fma_f32 v[104:105], v[106:107], v[108:109], v[104:105] op_sel:[0,0,1] op_sel_hi:[1,0,0]
	v_mov_b32_e32 v113, v105
	ds_load_2addr_b64 v[104:107], v130 offset0:19 offset1:20
	v_pk_add_f32 v[80:81], v[80:81], v[112:113] neg_lo:[0,1] neg_hi:[0,1]
	s_wait_dscnt 0x0
	v_pk_mul_f32 v[112:113], v[104:105], v[110:111] op_sel:[0,1]
	v_mul_f32_e32 v110, v107, v111
	s_delay_alu instid0(VALU_DEP_2) | instskip(SKIP_2) | instid1(VALU_DEP_4)
	v_pk_fma_f32 v[114:115], v[104:105], v[108:109], v[112:113] op_sel:[0,0,1] op_sel_hi:[1,1,0] neg_lo:[0,0,1] neg_hi:[0,0,1]
	v_pk_fma_f32 v[104:105], v[104:105], v[108:109], v[112:113] op_sel:[0,0,1] op_sel_hi:[1,0,0]
	v_mov_b32_e32 v104, v107
	v_pk_fma_f32 v[110:111], v[106:107], v[52:53], v[110:111] op_sel_hi:[1,1,0] neg_lo:[0,0,1] neg_hi:[0,0,1]
	s_delay_alu instid0(VALU_DEP_3) | instskip(SKIP_1) | instid1(VALU_DEP_2)
	v_dual_mov_b32 v115, v105 :: v_dual_mov_b32 v105, v106
	v_mul_f32_e32 v106, v107, v108
	v_pk_add_f32 v[78:79], v[78:79], v[114:115] neg_lo:[0,1] neg_hi:[0,1]
	s_delay_alu instid0(VALU_DEP_2) | instskip(NEXT) | instid1(VALU_DEP_1)
	v_pk_fma_f32 v[104:105], v[104:105], v[52:53], v[106:107] op_sel_hi:[1,1,0]
	v_mov_b32_e32 v111, v105
	s_delay_alu instid0(VALU_DEP_1)
	v_pk_add_f32 v[84:85], v[84:85], v[110:111] neg_lo:[0,1] neg_hi:[0,1]
.LBB41_82:
	s_or_b32 exec_lo, exec_lo, s1
	s_delay_alu instid0(SALU_CYCLE_1)
	s_mov_b32 s2, exec_lo
	s_wait_dscnt 0x0
	s_barrier_signal -1
	s_barrier_wait -1
	v_cmpx_eq_u32_e32 9, v128
	s_cbranch_execz .LBB41_89
; %bb.83:
	v_dual_mov_b32 v104, v50 :: v_dual_mov_b32 v105, v51
	v_dual_mov_b32 v106, v46 :: v_dual_mov_b32 v107, v47
	;; [unrolled: 1-line block ×10, first 2 shown]
	ds_store_b64 v129, v[48:49]
	ds_store_2addr_b64 v130, v[104:105], v[106:107] offset0:10 offset1:11
	ds_store_2addr_b64 v130, v[108:109], v[110:111] offset0:12 offset1:13
	;; [unrolled: 1-line block ×5, first 2 shown]
	ds_store_b64 v130, v[84:85] offset:160
	ds_load_b64 v[104:105], v129
	s_wait_dscnt 0x0
	v_cmp_neq_f32_e32 vcc_lo, 0, v104
	v_cmp_neq_f32_e64 s1, 0, v105
	s_or_b32 s1, vcc_lo, s1
	s_delay_alu instid0(SALU_CYCLE_1)
	s_and_b32 exec_lo, exec_lo, s1
	s_cbranch_execz .LBB41_89
; %bb.84:
	v_cmp_ngt_f32_e64 s1, |v104|, |v105|
                                        ; implicit-def: $vgpr106_vgpr107
	s_and_saveexec_b32 s4, s1
	s_delay_alu instid0(SALU_CYCLE_1)
	s_xor_b32 s1, exec_lo, s4
	s_cbranch_execz .LBB41_86
; %bb.85:
	v_div_scale_f32 v106, null, v105, v105, v104
	v_div_scale_f32 v109, vcc_lo, v104, v105, v104
	s_delay_alu instid0(VALU_DEP_2) | instskip(SKIP_1) | instid1(TRANS32_DEP_1)
	v_rcp_f32_e32 v107, v106
	v_nop
	v_fma_f32 v108, -v106, v107, 1.0
	s_delay_alu instid0(VALU_DEP_1) | instskip(NEXT) | instid1(VALU_DEP_1)
	v_fmac_f32_e32 v107, v108, v107
	v_mul_f32_e32 v108, v109, v107
	s_delay_alu instid0(VALU_DEP_1) | instskip(NEXT) | instid1(VALU_DEP_1)
	v_fma_f32 v110, -v106, v108, v109
	v_fmac_f32_e32 v108, v110, v107
	s_delay_alu instid0(VALU_DEP_1) | instskip(NEXT) | instid1(VALU_DEP_1)
	v_fma_f32 v106, -v106, v108, v109
	v_div_fmas_f32 v106, v106, v107, v108
	s_delay_alu instid0(VALU_DEP_1) | instskip(NEXT) | instid1(VALU_DEP_1)
	v_div_fixup_f32 v106, v106, v105, v104
	v_fmac_f32_e32 v105, v104, v106
	s_delay_alu instid0(VALU_DEP_1) | instskip(SKIP_1) | instid1(VALU_DEP_2)
	v_div_scale_f32 v104, null, v105, v105, 1.0
	v_div_scale_f32 v109, vcc_lo, 1.0, v105, 1.0
	v_rcp_f32_e32 v107, v104
	v_nop
	s_delay_alu instid0(TRANS32_DEP_1) | instskip(NEXT) | instid1(VALU_DEP_1)
	v_fma_f32 v108, -v104, v107, 1.0
	v_fmac_f32_e32 v107, v108, v107
	s_delay_alu instid0(VALU_DEP_1) | instskip(NEXT) | instid1(VALU_DEP_1)
	v_mul_f32_e32 v108, v109, v107
	v_fma_f32 v110, -v104, v108, v109
	s_delay_alu instid0(VALU_DEP_1) | instskip(NEXT) | instid1(VALU_DEP_1)
	v_fmac_f32_e32 v108, v110, v107
	v_fma_f32 v104, -v104, v108, v109
	s_delay_alu instid0(VALU_DEP_1) | instskip(NEXT) | instid1(VALU_DEP_1)
	v_div_fmas_f32 v104, v104, v107, v108
	v_div_fixup_f32 v104, v104, v105, 1.0
	s_delay_alu instid0(VALU_DEP_1)
	v_mul_f32_e32 v106, v106, v104
	v_xor_b32_e32 v107, 0x80000000, v104
                                        ; implicit-def: $vgpr104_vgpr105
.LBB41_86:
	s_and_not1_saveexec_b32 s1, s1
	s_cbranch_execz .LBB41_88
; %bb.87:
	v_div_scale_f32 v106, null, v104, v104, v105
	v_div_scale_f32 v109, vcc_lo, v105, v104, v105
	s_delay_alu instid0(VALU_DEP_2) | instskip(SKIP_1) | instid1(TRANS32_DEP_1)
	v_rcp_f32_e32 v107, v106
	v_nop
	v_fma_f32 v108, -v106, v107, 1.0
	s_delay_alu instid0(VALU_DEP_1) | instskip(NEXT) | instid1(VALU_DEP_1)
	v_fmac_f32_e32 v107, v108, v107
	v_mul_f32_e32 v108, v109, v107
	s_delay_alu instid0(VALU_DEP_1) | instskip(NEXT) | instid1(VALU_DEP_1)
	v_fma_f32 v110, -v106, v108, v109
	v_fmac_f32_e32 v108, v110, v107
	s_delay_alu instid0(VALU_DEP_1) | instskip(NEXT) | instid1(VALU_DEP_1)
	v_fma_f32 v106, -v106, v108, v109
	v_div_fmas_f32 v106, v106, v107, v108
	s_delay_alu instid0(VALU_DEP_1) | instskip(NEXT) | instid1(VALU_DEP_1)
	v_div_fixup_f32 v107, v106, v104, v105
	v_fmac_f32_e32 v104, v105, v107
	s_delay_alu instid0(VALU_DEP_1) | instskip(NEXT) | instid1(VALU_DEP_1)
	v_div_scale_f32 v105, null, v104, v104, 1.0
	v_rcp_f32_e32 v106, v105
	v_nop
	s_delay_alu instid0(TRANS32_DEP_1) | instskip(NEXT) | instid1(VALU_DEP_1)
	v_fma_f32 v108, -v105, v106, 1.0
	v_fmac_f32_e32 v106, v108, v106
	v_div_scale_f32 v108, vcc_lo, 1.0, v104, 1.0
	s_delay_alu instid0(VALU_DEP_1) | instskip(NEXT) | instid1(VALU_DEP_1)
	v_mul_f32_e32 v109, v108, v106
	v_fma_f32 v110, -v105, v109, v108
	s_delay_alu instid0(VALU_DEP_1) | instskip(NEXT) | instid1(VALU_DEP_1)
	v_fmac_f32_e32 v109, v110, v106
	v_fma_f32 v105, -v105, v109, v108
	s_delay_alu instid0(VALU_DEP_1) | instskip(NEXT) | instid1(VALU_DEP_1)
	v_div_fmas_f32 v105, v105, v106, v109
	v_div_fixup_f32 v106, v105, v104, 1.0
	s_delay_alu instid0(VALU_DEP_1)
	v_mul_f32_e64 v107, v107, -v106
.LBB41_88:
	s_or_b32 exec_lo, exec_lo, s1
	ds_store_b64 v129, v[106:107]
.LBB41_89:
	s_or_b32 exec_lo, exec_lo, s2
	s_wait_dscnt 0x0
	s_barrier_signal -1
	s_barrier_wait -1
	ds_load_b64 v[104:105], v129
	s_mov_b32 s1, exec_lo
	v_cmpx_lt_u32_e32 9, v128
	s_cbranch_execz .LBB41_91
; %bb.90:
	s_wait_dscnt 0x0
	v_pk_mul_f32 v[106:107], v[104:105], v[48:49] op_sel:[1,1] op_sel_hi:[0,1]
	s_delay_alu instid0(VALU_DEP_1)
	v_pk_fma_f32 v[110:111], v[104:105], v[48:49], v[106:107] op_sel_hi:[1,0,1] neg_lo:[0,0,1] neg_hi:[0,0,1]
	v_pk_fma_f32 v[112:113], v[104:105], v[48:49], v[106:107] op_sel_hi:[1,0,1]
	ds_load_2addr_b64 v[106:109], v130 offset0:10 offset1:11
	v_dual_mov_b32 v48, v110 :: v_dual_mov_b32 v49, v113
	s_wait_dscnt 0x0
	v_pk_mul_f32 v[114:115], v[106:107], v[112:113] op_sel:[0,1]
	s_delay_alu instid0(VALU_DEP_1) | instskip(SKIP_1) | instid1(VALU_DEP_1)
	v_pk_fma_f32 v[116:117], v[106:107], v[110:111], v[114:115] op_sel:[0,0,1] op_sel_hi:[1,1,0] neg_lo:[0,0,1] neg_hi:[0,0,1]
	v_pk_fma_f32 v[106:107], v[106:107], v[110:111], v[114:115] op_sel:[0,0,1] op_sel_hi:[1,0,0]
	v_mov_b32_e32 v117, v107
	v_pk_mul_f32 v[106:107], v[108:109], v[112:113] op_sel:[0,1]
	s_delay_alu instid0(VALU_DEP_1) | instskip(SKIP_1) | instid1(VALU_DEP_1)
	v_pk_fma_f32 v[114:115], v[108:109], v[110:111], v[106:107] op_sel:[0,0,1] op_sel_hi:[1,1,0] neg_lo:[0,0,1] neg_hi:[0,0,1]
	v_pk_fma_f32 v[106:107], v[108:109], v[110:111], v[106:107] op_sel:[0,0,1] op_sel_hi:[1,0,0]
	v_mov_b32_e32 v115, v107
	ds_load_2addr_b64 v[106:109], v130 offset0:12 offset1:13
	v_pk_add_f32 v[50:51], v[50:51], v[116:117] neg_lo:[0,1] neg_hi:[0,1]
	v_pk_add_f32 v[46:47], v[46:47], v[114:115] neg_lo:[0,1] neg_hi:[0,1]
	s_wait_dscnt 0x0
	v_pk_mul_f32 v[114:115], v[106:107], v[112:113] op_sel:[0,1]
	s_delay_alu instid0(VALU_DEP_1) | instskip(SKIP_2) | instid1(VALU_DEP_2)
	v_pk_fma_f32 v[116:117], v[106:107], v[110:111], v[114:115] op_sel:[0,0,1] op_sel_hi:[1,1,0] neg_lo:[0,0,1] neg_hi:[0,0,1]
	v_pk_fma_f32 v[106:107], v[106:107], v[110:111], v[114:115] op_sel:[0,0,1] op_sel_hi:[1,0,0]
	v_dual_mul_f32 v114, v109, v113 :: v_dual_mov_b32 v106, v109
	v_dual_mov_b32 v117, v107 :: v_dual_mov_b32 v107, v108
	s_delay_alu instid0(VALU_DEP_2) | instskip(SKIP_1) | instid1(VALU_DEP_3)
	v_pk_fma_f32 v[114:115], v[108:109], v[48:49], v[114:115] op_sel_hi:[1,1,0] neg_lo:[0,0,1] neg_hi:[0,0,1]
	v_mul_f32_e32 v108, v109, v110
	v_pk_add_f32 v[76:77], v[76:77], v[116:117] neg_lo:[0,1] neg_hi:[0,1]
	s_delay_alu instid0(VALU_DEP_2) | instskip(NEXT) | instid1(VALU_DEP_1)
	v_pk_fma_f32 v[106:107], v[106:107], v[48:49], v[108:109] op_sel_hi:[1,1,0]
	v_mov_b32_e32 v115, v107
	ds_load_2addr_b64 v[106:109], v130 offset0:14 offset1:15
	v_pk_add_f32 v[70:71], v[70:71], v[114:115] neg_lo:[0,1] neg_hi:[0,1]
	s_wait_dscnt 0x0
	v_pk_mul_f32 v[114:115], v[106:107], v[112:113] op_sel:[0,1]
	s_delay_alu instid0(VALU_DEP_1) | instskip(SKIP_1) | instid1(VALU_DEP_1)
	v_pk_fma_f32 v[116:117], v[106:107], v[110:111], v[114:115] op_sel:[0,0,1] op_sel_hi:[1,1,0] neg_lo:[0,0,1] neg_hi:[0,0,1]
	v_pk_fma_f32 v[106:107], v[106:107], v[110:111], v[114:115] op_sel:[0,0,1] op_sel_hi:[1,0,0]
	v_mov_b32_e32 v117, v107
	v_pk_mul_f32 v[106:107], v[108:109], v[112:113] op_sel:[0,1]
	s_delay_alu instid0(VALU_DEP_1) | instskip(SKIP_1) | instid1(VALU_DEP_1)
	v_pk_fma_f32 v[114:115], v[108:109], v[110:111], v[106:107] op_sel:[0,0,1] op_sel_hi:[1,1,0] neg_lo:[0,0,1] neg_hi:[0,0,1]
	v_pk_fma_f32 v[106:107], v[108:109], v[110:111], v[106:107] op_sel:[0,0,1] op_sel_hi:[1,0,0]
	v_mov_b32_e32 v115, v107
	ds_load_2addr_b64 v[106:109], v130 offset0:16 offset1:17
	v_pk_add_f32 v[74:75], v[74:75], v[116:117] neg_lo:[0,1] neg_hi:[0,1]
	v_pk_add_f32 v[68:69], v[68:69], v[114:115] neg_lo:[0,1] neg_hi:[0,1]
	s_wait_dscnt 0x0
	v_pk_mul_f32 v[114:115], v[106:107], v[112:113] op_sel:[0,1]
	s_delay_alu instid0(VALU_DEP_1) | instskip(SKIP_1) | instid1(VALU_DEP_1)
	v_pk_fma_f32 v[116:117], v[106:107], v[110:111], v[114:115] op_sel:[0,0,1] op_sel_hi:[1,1,0] neg_lo:[0,0,1] neg_hi:[0,0,1]
	v_pk_fma_f32 v[106:107], v[106:107], v[110:111], v[114:115] op_sel:[0,0,1] op_sel_hi:[1,0,0]
	v_mov_b32_e32 v117, v107
	v_pk_mul_f32 v[106:107], v[108:109], v[112:113] op_sel:[0,1]
	s_delay_alu instid0(VALU_DEP_1) | instskip(SKIP_1) | instid1(VALU_DEP_1)
	v_pk_fma_f32 v[114:115], v[108:109], v[110:111], v[106:107] op_sel:[0,0,1] op_sel_hi:[1,1,0] neg_lo:[0,0,1] neg_hi:[0,0,1]
	v_pk_fma_f32 v[106:107], v[108:109], v[110:111], v[106:107] op_sel:[0,0,1] op_sel_hi:[1,0,0]
	v_mov_b32_e32 v115, v107
	ds_load_2addr_b64 v[106:109], v130 offset0:18 offset1:19
	v_pk_add_f32 v[72:73], v[72:73], v[116:117] neg_lo:[0,1] neg_hi:[0,1]
	v_pk_add_f32 v[82:83], v[82:83], v[114:115] neg_lo:[0,1] neg_hi:[0,1]
	s_wait_dscnt 0x0
	v_dual_mul_f32 v114, v107, v113 :: v_dual_mul_f32 v116, v107, v110
	s_delay_alu instid0(VALU_DEP_1) | instskip(NEXT) | instid1(VALU_DEP_2)
	v_pk_fma_f32 v[114:115], v[106:107], v[48:49], v[114:115] op_sel_hi:[1,1,0] neg_lo:[0,0,1] neg_hi:[0,0,1]
	v_pk_fma_f32 v[106:107], v[106:107], v[48:49], v[116:117] op_sel:[1,0,0] op_sel_hi:[0,1,0]
	s_delay_alu instid0(VALU_DEP_1) | instskip(SKIP_1) | instid1(VALU_DEP_2)
	v_mov_b32_e32 v115, v107
	v_pk_mul_f32 v[106:107], v[108:109], v[112:113] op_sel:[0,1]
	v_pk_add_f32 v[80:81], v[80:81], v[114:115] neg_lo:[0,1] neg_hi:[0,1]
	s_delay_alu instid0(VALU_DEP_2) | instskip(SKIP_1) | instid1(VALU_DEP_1)
	v_pk_fma_f32 v[114:115], v[108:109], v[110:111], v[106:107] op_sel:[0,0,1] op_sel_hi:[1,1,0] neg_lo:[0,0,1] neg_hi:[0,0,1]
	v_pk_fma_f32 v[106:107], v[108:109], v[110:111], v[106:107] op_sel:[0,0,1] op_sel_hi:[1,0,0]
	v_mov_b32_e32 v115, v107
	ds_load_b64 v[106:107], v130 offset:160
	v_pk_add_f32 v[78:79], v[78:79], v[114:115] neg_lo:[0,1] neg_hi:[0,1]
	s_wait_dscnt 0x0
	v_pk_mul_f32 v[108:109], v[106:107], v[112:113] op_sel:[0,1]
	s_delay_alu instid0(VALU_DEP_1) | instskip(SKIP_1) | instid1(VALU_DEP_1)
	v_pk_fma_f32 v[112:113], v[106:107], v[110:111], v[108:109] op_sel:[0,0,1] op_sel_hi:[1,1,0] neg_lo:[0,0,1] neg_hi:[0,0,1]
	v_pk_fma_f32 v[106:107], v[106:107], v[110:111], v[108:109] op_sel:[0,0,1] op_sel_hi:[1,0,0]
	v_mov_b32_e32 v113, v107
	s_delay_alu instid0(VALU_DEP_1)
	v_pk_add_f32 v[84:85], v[84:85], v[112:113] neg_lo:[0,1] neg_hi:[0,1]
.LBB41_91:
	s_or_b32 exec_lo, exec_lo, s1
	s_delay_alu instid0(SALU_CYCLE_1)
	s_mov_b32 s2, exec_lo
	s_wait_dscnt 0x0
	s_barrier_signal -1
	s_barrier_wait -1
	v_cmpx_eq_u32_e32 10, v128
	s_cbranch_execz .LBB41_98
; %bb.92:
	ds_store_b64 v129, v[50:51]
	ds_store_2addr_b64 v130, v[46:47], v[76:77] offset0:11 offset1:12
	ds_store_2addr_b64 v130, v[70:71], v[74:75] offset0:13 offset1:14
	ds_store_2addr_b64 v130, v[68:69], v[72:73] offset0:15 offset1:16
	ds_store_2addr_b64 v130, v[82:83], v[80:81] offset0:17 offset1:18
	ds_store_2addr_b64 v130, v[78:79], v[84:85] offset0:19 offset1:20
	ds_load_b64 v[106:107], v129
	s_wait_dscnt 0x0
	v_cmp_neq_f32_e32 vcc_lo, 0, v106
	v_cmp_neq_f32_e64 s1, 0, v107
	s_or_b32 s1, vcc_lo, s1
	s_delay_alu instid0(SALU_CYCLE_1)
	s_and_b32 exec_lo, exec_lo, s1
	s_cbranch_execz .LBB41_98
; %bb.93:
	v_cmp_ngt_f32_e64 s1, |v106|, |v107|
                                        ; implicit-def: $vgpr108_vgpr109
	s_and_saveexec_b32 s4, s1
	s_delay_alu instid0(SALU_CYCLE_1)
	s_xor_b32 s1, exec_lo, s4
	s_cbranch_execz .LBB41_95
; %bb.94:
	v_div_scale_f32 v108, null, v107, v107, v106
	v_div_scale_f32 v111, vcc_lo, v106, v107, v106
	s_delay_alu instid0(VALU_DEP_2) | instskip(SKIP_1) | instid1(TRANS32_DEP_1)
	v_rcp_f32_e32 v109, v108
	v_nop
	v_fma_f32 v110, -v108, v109, 1.0
	s_delay_alu instid0(VALU_DEP_1) | instskip(NEXT) | instid1(VALU_DEP_1)
	v_fmac_f32_e32 v109, v110, v109
	v_mul_f32_e32 v110, v111, v109
	s_delay_alu instid0(VALU_DEP_1) | instskip(NEXT) | instid1(VALU_DEP_1)
	v_fma_f32 v112, -v108, v110, v111
	v_fmac_f32_e32 v110, v112, v109
	s_delay_alu instid0(VALU_DEP_1) | instskip(NEXT) | instid1(VALU_DEP_1)
	v_fma_f32 v108, -v108, v110, v111
	v_div_fmas_f32 v108, v108, v109, v110
	s_delay_alu instid0(VALU_DEP_1) | instskip(NEXT) | instid1(VALU_DEP_1)
	v_div_fixup_f32 v108, v108, v107, v106
	v_fmac_f32_e32 v107, v106, v108
	s_delay_alu instid0(VALU_DEP_1) | instskip(SKIP_1) | instid1(VALU_DEP_2)
	v_div_scale_f32 v106, null, v107, v107, 1.0
	v_div_scale_f32 v111, vcc_lo, 1.0, v107, 1.0
	v_rcp_f32_e32 v109, v106
	v_nop
	s_delay_alu instid0(TRANS32_DEP_1) | instskip(NEXT) | instid1(VALU_DEP_1)
	v_fma_f32 v110, -v106, v109, 1.0
	v_fmac_f32_e32 v109, v110, v109
	s_delay_alu instid0(VALU_DEP_1) | instskip(NEXT) | instid1(VALU_DEP_1)
	v_mul_f32_e32 v110, v111, v109
	v_fma_f32 v112, -v106, v110, v111
	s_delay_alu instid0(VALU_DEP_1) | instskip(NEXT) | instid1(VALU_DEP_1)
	v_fmac_f32_e32 v110, v112, v109
	v_fma_f32 v106, -v106, v110, v111
	s_delay_alu instid0(VALU_DEP_1) | instskip(NEXT) | instid1(VALU_DEP_1)
	v_div_fmas_f32 v106, v106, v109, v110
	v_div_fixup_f32 v106, v106, v107, 1.0
	s_delay_alu instid0(VALU_DEP_1)
	v_mul_f32_e32 v108, v108, v106
	v_xor_b32_e32 v109, 0x80000000, v106
                                        ; implicit-def: $vgpr106_vgpr107
.LBB41_95:
	s_and_not1_saveexec_b32 s1, s1
	s_cbranch_execz .LBB41_97
; %bb.96:
	v_div_scale_f32 v108, null, v106, v106, v107
	v_div_scale_f32 v111, vcc_lo, v107, v106, v107
	s_delay_alu instid0(VALU_DEP_2) | instskip(SKIP_1) | instid1(TRANS32_DEP_1)
	v_rcp_f32_e32 v109, v108
	v_nop
	v_fma_f32 v110, -v108, v109, 1.0
	s_delay_alu instid0(VALU_DEP_1) | instskip(NEXT) | instid1(VALU_DEP_1)
	v_fmac_f32_e32 v109, v110, v109
	v_mul_f32_e32 v110, v111, v109
	s_delay_alu instid0(VALU_DEP_1) | instskip(NEXT) | instid1(VALU_DEP_1)
	v_fma_f32 v112, -v108, v110, v111
	v_fmac_f32_e32 v110, v112, v109
	s_delay_alu instid0(VALU_DEP_1) | instskip(NEXT) | instid1(VALU_DEP_1)
	v_fma_f32 v108, -v108, v110, v111
	v_div_fmas_f32 v108, v108, v109, v110
	s_delay_alu instid0(VALU_DEP_1) | instskip(NEXT) | instid1(VALU_DEP_1)
	v_div_fixup_f32 v109, v108, v106, v107
	v_fmac_f32_e32 v106, v107, v109
	s_delay_alu instid0(VALU_DEP_1) | instskip(NEXT) | instid1(VALU_DEP_1)
	v_div_scale_f32 v107, null, v106, v106, 1.0
	v_rcp_f32_e32 v108, v107
	v_nop
	s_delay_alu instid0(TRANS32_DEP_1) | instskip(NEXT) | instid1(VALU_DEP_1)
	v_fma_f32 v110, -v107, v108, 1.0
	v_fmac_f32_e32 v108, v110, v108
	v_div_scale_f32 v110, vcc_lo, 1.0, v106, 1.0
	s_delay_alu instid0(VALU_DEP_1) | instskip(NEXT) | instid1(VALU_DEP_1)
	v_mul_f32_e32 v111, v110, v108
	v_fma_f32 v112, -v107, v111, v110
	s_delay_alu instid0(VALU_DEP_1) | instskip(NEXT) | instid1(VALU_DEP_1)
	v_fmac_f32_e32 v111, v112, v108
	v_fma_f32 v107, -v107, v111, v110
	s_delay_alu instid0(VALU_DEP_1) | instskip(NEXT) | instid1(VALU_DEP_1)
	v_div_fmas_f32 v107, v107, v108, v111
	v_div_fixup_f32 v108, v107, v106, 1.0
	s_delay_alu instid0(VALU_DEP_1)
	v_mul_f32_e64 v109, v109, -v108
.LBB41_97:
	s_or_b32 exec_lo, exec_lo, s1
	ds_store_b64 v129, v[108:109]
.LBB41_98:
	s_or_b32 exec_lo, exec_lo, s2
	s_wait_dscnt 0x0
	s_barrier_signal -1
	s_barrier_wait -1
	ds_load_b64 v[106:107], v129
	s_mov_b32 s1, exec_lo
	v_cmpx_lt_u32_e32 10, v128
	s_cbranch_execz .LBB41_100
; %bb.99:
	s_wait_dscnt 0x0
	v_pk_mul_f32 v[108:109], v[106:107], v[50:51] op_sel:[1,1] op_sel_hi:[0,1]
	s_delay_alu instid0(VALU_DEP_1)
	v_pk_fma_f32 v[112:113], v[106:107], v[50:51], v[108:109] op_sel_hi:[1,0,1] neg_lo:[0,0,1] neg_hi:[0,0,1]
	v_pk_fma_f32 v[114:115], v[106:107], v[50:51], v[108:109] op_sel_hi:[1,0,1]
	ds_load_2addr_b64 v[108:111], v130 offset0:11 offset1:12
	v_dual_mov_b32 v50, v112 :: v_dual_mov_b32 v51, v115
	s_wait_dscnt 0x0
	v_pk_mul_f32 v[116:117], v[108:109], v[114:115] op_sel:[0,1]
	s_delay_alu instid0(VALU_DEP_1) | instskip(SKIP_1) | instid1(VALU_DEP_1)
	v_pk_fma_f32 v[118:119], v[108:109], v[112:113], v[116:117] op_sel:[0,0,1] op_sel_hi:[1,1,0] neg_lo:[0,0,1] neg_hi:[0,0,1]
	v_pk_fma_f32 v[108:109], v[108:109], v[112:113], v[116:117] op_sel:[0,0,1] op_sel_hi:[1,0,0]
	v_mov_b32_e32 v119, v109
	v_pk_mul_f32 v[108:109], v[110:111], v[114:115] op_sel:[0,1]
	s_delay_alu instid0(VALU_DEP_1) | instskip(SKIP_1) | instid1(VALU_DEP_1)
	v_pk_fma_f32 v[116:117], v[110:111], v[112:113], v[108:109] op_sel:[0,0,1] op_sel_hi:[1,1,0] neg_lo:[0,0,1] neg_hi:[0,0,1]
	v_pk_fma_f32 v[108:109], v[110:111], v[112:113], v[108:109] op_sel:[0,0,1] op_sel_hi:[1,0,0]
	v_mov_b32_e32 v117, v109
	ds_load_2addr_b64 v[108:111], v130 offset0:13 offset1:14
	v_pk_add_f32 v[46:47], v[46:47], v[118:119] neg_lo:[0,1] neg_hi:[0,1]
	v_pk_add_f32 v[76:77], v[76:77], v[116:117] neg_lo:[0,1] neg_hi:[0,1]
	s_wait_dscnt 0x0
	v_pk_mul_f32 v[116:117], v[108:109], v[114:115] op_sel:[0,1]
	s_delay_alu instid0(VALU_DEP_1) | instskip(SKIP_2) | instid1(VALU_DEP_2)
	v_pk_fma_f32 v[118:119], v[108:109], v[112:113], v[116:117] op_sel:[0,0,1] op_sel_hi:[1,1,0] neg_lo:[0,0,1] neg_hi:[0,0,1]
	v_pk_fma_f32 v[108:109], v[108:109], v[112:113], v[116:117] op_sel:[0,0,1] op_sel_hi:[1,0,0]
	v_dual_mul_f32 v116, v111, v115 :: v_dual_mov_b32 v108, v111
	v_dual_mov_b32 v119, v109 :: v_dual_mov_b32 v109, v110
	s_delay_alu instid0(VALU_DEP_2) | instskip(SKIP_1) | instid1(VALU_DEP_3)
	v_pk_fma_f32 v[116:117], v[110:111], v[50:51], v[116:117] op_sel_hi:[1,1,0] neg_lo:[0,0,1] neg_hi:[0,0,1]
	v_mul_f32_e32 v110, v111, v112
	v_pk_add_f32 v[70:71], v[70:71], v[118:119] neg_lo:[0,1] neg_hi:[0,1]
	s_delay_alu instid0(VALU_DEP_2) | instskip(NEXT) | instid1(VALU_DEP_1)
	v_pk_fma_f32 v[108:109], v[108:109], v[50:51], v[110:111] op_sel_hi:[1,1,0]
	v_mov_b32_e32 v117, v109
	ds_load_2addr_b64 v[108:111], v130 offset0:15 offset1:16
	v_pk_add_f32 v[74:75], v[74:75], v[116:117] neg_lo:[0,1] neg_hi:[0,1]
	s_wait_dscnt 0x0
	v_pk_mul_f32 v[116:117], v[108:109], v[114:115] op_sel:[0,1]
	s_delay_alu instid0(VALU_DEP_1) | instskip(SKIP_1) | instid1(VALU_DEP_1)
	v_pk_fma_f32 v[118:119], v[108:109], v[112:113], v[116:117] op_sel:[0,0,1] op_sel_hi:[1,1,0] neg_lo:[0,0,1] neg_hi:[0,0,1]
	v_pk_fma_f32 v[108:109], v[108:109], v[112:113], v[116:117] op_sel:[0,0,1] op_sel_hi:[1,0,0]
	v_mov_b32_e32 v119, v109
	v_pk_mul_f32 v[108:109], v[110:111], v[114:115] op_sel:[0,1]
	s_delay_alu instid0(VALU_DEP_1) | instskip(SKIP_1) | instid1(VALU_DEP_1)
	v_pk_fma_f32 v[116:117], v[110:111], v[112:113], v[108:109] op_sel:[0,0,1] op_sel_hi:[1,1,0] neg_lo:[0,0,1] neg_hi:[0,0,1]
	v_pk_fma_f32 v[108:109], v[110:111], v[112:113], v[108:109] op_sel:[0,0,1] op_sel_hi:[1,0,0]
	v_mov_b32_e32 v117, v109
	ds_load_2addr_b64 v[108:111], v130 offset0:17 offset1:18
	v_pk_add_f32 v[68:69], v[68:69], v[118:119] neg_lo:[0,1] neg_hi:[0,1]
	v_pk_add_f32 v[72:73], v[72:73], v[116:117] neg_lo:[0,1] neg_hi:[0,1]
	s_wait_dscnt 0x0
	v_pk_mul_f32 v[116:117], v[108:109], v[114:115] op_sel:[0,1]
	s_delay_alu instid0(VALU_DEP_1) | instskip(SKIP_1) | instid1(VALU_DEP_1)
	v_pk_fma_f32 v[118:119], v[108:109], v[112:113], v[116:117] op_sel:[0,0,1] op_sel_hi:[1,1,0] neg_lo:[0,0,1] neg_hi:[0,0,1]
	v_pk_fma_f32 v[108:109], v[108:109], v[112:113], v[116:117] op_sel:[0,0,1] op_sel_hi:[1,0,0]
	v_mov_b32_e32 v119, v109
	v_pk_mul_f32 v[108:109], v[110:111], v[114:115] op_sel:[0,1]
	s_delay_alu instid0(VALU_DEP_1) | instskip(SKIP_1) | instid1(VALU_DEP_1)
	v_pk_fma_f32 v[116:117], v[110:111], v[112:113], v[108:109] op_sel:[0,0,1] op_sel_hi:[1,1,0] neg_lo:[0,0,1] neg_hi:[0,0,1]
	v_pk_fma_f32 v[108:109], v[110:111], v[112:113], v[108:109] op_sel:[0,0,1] op_sel_hi:[1,0,0]
	v_mov_b32_e32 v117, v109
	ds_load_2addr_b64 v[108:111], v130 offset0:19 offset1:20
	v_pk_add_f32 v[82:83], v[82:83], v[118:119] neg_lo:[0,1] neg_hi:[0,1]
	v_pk_add_f32 v[80:81], v[80:81], v[116:117] neg_lo:[0,1] neg_hi:[0,1]
	s_wait_dscnt 0x0
	v_dual_mul_f32 v116, v109, v115 :: v_dual_mul_f32 v118, v109, v112
	s_delay_alu instid0(VALU_DEP_1) | instskip(NEXT) | instid1(VALU_DEP_2)
	v_pk_fma_f32 v[116:117], v[108:109], v[50:51], v[116:117] op_sel_hi:[1,1,0] neg_lo:[0,0,1] neg_hi:[0,0,1]
	v_pk_fma_f32 v[108:109], v[108:109], v[50:51], v[118:119] op_sel:[1,0,0] op_sel_hi:[0,1,0]
	s_delay_alu instid0(VALU_DEP_1) | instskip(SKIP_1) | instid1(VALU_DEP_1)
	v_mov_b32_e32 v117, v109
	v_pk_mul_f32 v[108:109], v[110:111], v[114:115] op_sel:[0,1]
	v_pk_fma_f32 v[114:115], v[110:111], v[112:113], v[108:109] op_sel:[0,0,1] op_sel_hi:[1,1,0] neg_lo:[0,0,1] neg_hi:[0,0,1]
	v_pk_fma_f32 v[108:109], v[110:111], v[112:113], v[108:109] op_sel:[0,0,1] op_sel_hi:[1,0,0]
	s_delay_alu instid0(VALU_DEP_1) | instskip(SKIP_1) | instid1(VALU_DEP_2)
	v_mov_b32_e32 v115, v109
	v_pk_add_f32 v[78:79], v[78:79], v[116:117] neg_lo:[0,1] neg_hi:[0,1]
	v_pk_add_f32 v[84:85], v[84:85], v[114:115] neg_lo:[0,1] neg_hi:[0,1]
.LBB41_100:
	s_or_b32 exec_lo, exec_lo, s1
	s_delay_alu instid0(SALU_CYCLE_1)
	s_mov_b32 s2, exec_lo
	s_wait_dscnt 0x0
	s_barrier_signal -1
	s_barrier_wait -1
	v_cmpx_eq_u32_e32 11, v128
	s_cbranch_execz .LBB41_107
; %bb.101:
	v_dual_mov_b32 v108, v76 :: v_dual_mov_b32 v109, v77
	v_dual_mov_b32 v110, v70 :: v_dual_mov_b32 v111, v71
	;; [unrolled: 1-line block ×8, first 2 shown]
	ds_store_b64 v129, v[46:47]
	ds_store_2addr_b64 v130, v[108:109], v[110:111] offset0:12 offset1:13
	ds_store_2addr_b64 v130, v[112:113], v[114:115] offset0:14 offset1:15
	;; [unrolled: 1-line block ×4, first 2 shown]
	ds_store_b64 v130, v[84:85] offset:160
	ds_load_b64 v[108:109], v129
	s_wait_dscnt 0x0
	v_cmp_neq_f32_e32 vcc_lo, 0, v108
	v_cmp_neq_f32_e64 s1, 0, v109
	s_or_b32 s1, vcc_lo, s1
	s_delay_alu instid0(SALU_CYCLE_1)
	s_and_b32 exec_lo, exec_lo, s1
	s_cbranch_execz .LBB41_107
; %bb.102:
	v_cmp_ngt_f32_e64 s1, |v108|, |v109|
                                        ; implicit-def: $vgpr110_vgpr111
	s_and_saveexec_b32 s4, s1
	s_delay_alu instid0(SALU_CYCLE_1)
	s_xor_b32 s1, exec_lo, s4
	s_cbranch_execz .LBB41_104
; %bb.103:
	v_div_scale_f32 v110, null, v109, v109, v108
	v_div_scale_f32 v113, vcc_lo, v108, v109, v108
	s_delay_alu instid0(VALU_DEP_2) | instskip(SKIP_1) | instid1(TRANS32_DEP_1)
	v_rcp_f32_e32 v111, v110
	v_nop
	v_fma_f32 v112, -v110, v111, 1.0
	s_delay_alu instid0(VALU_DEP_1) | instskip(NEXT) | instid1(VALU_DEP_1)
	v_fmac_f32_e32 v111, v112, v111
	v_mul_f32_e32 v112, v113, v111
	s_delay_alu instid0(VALU_DEP_1) | instskip(NEXT) | instid1(VALU_DEP_1)
	v_fma_f32 v114, -v110, v112, v113
	v_fmac_f32_e32 v112, v114, v111
	s_delay_alu instid0(VALU_DEP_1) | instskip(NEXT) | instid1(VALU_DEP_1)
	v_fma_f32 v110, -v110, v112, v113
	v_div_fmas_f32 v110, v110, v111, v112
	s_delay_alu instid0(VALU_DEP_1) | instskip(NEXT) | instid1(VALU_DEP_1)
	v_div_fixup_f32 v110, v110, v109, v108
	v_fmac_f32_e32 v109, v108, v110
	s_delay_alu instid0(VALU_DEP_1) | instskip(SKIP_1) | instid1(VALU_DEP_2)
	v_div_scale_f32 v108, null, v109, v109, 1.0
	v_div_scale_f32 v113, vcc_lo, 1.0, v109, 1.0
	v_rcp_f32_e32 v111, v108
	v_nop
	s_delay_alu instid0(TRANS32_DEP_1) | instskip(NEXT) | instid1(VALU_DEP_1)
	v_fma_f32 v112, -v108, v111, 1.0
	v_fmac_f32_e32 v111, v112, v111
	s_delay_alu instid0(VALU_DEP_1) | instskip(NEXT) | instid1(VALU_DEP_1)
	v_mul_f32_e32 v112, v113, v111
	v_fma_f32 v114, -v108, v112, v113
	s_delay_alu instid0(VALU_DEP_1) | instskip(NEXT) | instid1(VALU_DEP_1)
	v_fmac_f32_e32 v112, v114, v111
	v_fma_f32 v108, -v108, v112, v113
	s_delay_alu instid0(VALU_DEP_1) | instskip(NEXT) | instid1(VALU_DEP_1)
	v_div_fmas_f32 v108, v108, v111, v112
	v_div_fixup_f32 v108, v108, v109, 1.0
	s_delay_alu instid0(VALU_DEP_1)
	v_mul_f32_e32 v110, v110, v108
	v_xor_b32_e32 v111, 0x80000000, v108
                                        ; implicit-def: $vgpr108_vgpr109
.LBB41_104:
	s_and_not1_saveexec_b32 s1, s1
	s_cbranch_execz .LBB41_106
; %bb.105:
	v_div_scale_f32 v110, null, v108, v108, v109
	v_div_scale_f32 v113, vcc_lo, v109, v108, v109
	s_delay_alu instid0(VALU_DEP_2) | instskip(SKIP_1) | instid1(TRANS32_DEP_1)
	v_rcp_f32_e32 v111, v110
	v_nop
	v_fma_f32 v112, -v110, v111, 1.0
	s_delay_alu instid0(VALU_DEP_1) | instskip(NEXT) | instid1(VALU_DEP_1)
	v_fmac_f32_e32 v111, v112, v111
	v_mul_f32_e32 v112, v113, v111
	s_delay_alu instid0(VALU_DEP_1) | instskip(NEXT) | instid1(VALU_DEP_1)
	v_fma_f32 v114, -v110, v112, v113
	v_fmac_f32_e32 v112, v114, v111
	s_delay_alu instid0(VALU_DEP_1) | instskip(NEXT) | instid1(VALU_DEP_1)
	v_fma_f32 v110, -v110, v112, v113
	v_div_fmas_f32 v110, v110, v111, v112
	s_delay_alu instid0(VALU_DEP_1) | instskip(NEXT) | instid1(VALU_DEP_1)
	v_div_fixup_f32 v111, v110, v108, v109
	v_fmac_f32_e32 v108, v109, v111
	s_delay_alu instid0(VALU_DEP_1) | instskip(NEXT) | instid1(VALU_DEP_1)
	v_div_scale_f32 v109, null, v108, v108, 1.0
	v_rcp_f32_e32 v110, v109
	v_nop
	s_delay_alu instid0(TRANS32_DEP_1) | instskip(NEXT) | instid1(VALU_DEP_1)
	v_fma_f32 v112, -v109, v110, 1.0
	v_fmac_f32_e32 v110, v112, v110
	v_div_scale_f32 v112, vcc_lo, 1.0, v108, 1.0
	s_delay_alu instid0(VALU_DEP_1) | instskip(NEXT) | instid1(VALU_DEP_1)
	v_mul_f32_e32 v113, v112, v110
	v_fma_f32 v114, -v109, v113, v112
	s_delay_alu instid0(VALU_DEP_1) | instskip(NEXT) | instid1(VALU_DEP_1)
	v_fmac_f32_e32 v113, v114, v110
	v_fma_f32 v109, -v109, v113, v112
	s_delay_alu instid0(VALU_DEP_1) | instskip(NEXT) | instid1(VALU_DEP_1)
	v_div_fmas_f32 v109, v109, v110, v113
	v_div_fixup_f32 v110, v109, v108, 1.0
	s_delay_alu instid0(VALU_DEP_1)
	v_mul_f32_e64 v111, v111, -v110
.LBB41_106:
	s_or_b32 exec_lo, exec_lo, s1
	ds_store_b64 v129, v[110:111]
.LBB41_107:
	s_or_b32 exec_lo, exec_lo, s2
	s_wait_dscnt 0x0
	s_barrier_signal -1
	s_barrier_wait -1
	ds_load_b64 v[108:109], v129
	s_mov_b32 s1, exec_lo
	v_cmpx_lt_u32_e32 11, v128
	s_cbranch_execz .LBB41_109
; %bb.108:
	s_wait_dscnt 0x0
	v_pk_mul_f32 v[110:111], v[108:109], v[46:47] op_sel:[1,1] op_sel_hi:[0,1]
	s_delay_alu instid0(VALU_DEP_1)
	v_pk_fma_f32 v[114:115], v[108:109], v[46:47], v[110:111] op_sel_hi:[1,0,1] neg_lo:[0,0,1] neg_hi:[0,0,1]
	v_pk_fma_f32 v[116:117], v[108:109], v[46:47], v[110:111] op_sel_hi:[1,0,1]
	ds_load_2addr_b64 v[110:113], v130 offset0:12 offset1:13
	v_dual_mov_b32 v46, v114 :: v_dual_mov_b32 v47, v117
	s_wait_dscnt 0x0
	v_pk_mul_f32 v[118:119], v[110:111], v[116:117] op_sel:[0,1]
	s_delay_alu instid0(VALU_DEP_1) | instskip(SKIP_1) | instid1(VALU_DEP_1)
	v_pk_fma_f32 v[120:121], v[110:111], v[114:115], v[118:119] op_sel:[0,0,1] op_sel_hi:[1,1,0] neg_lo:[0,0,1] neg_hi:[0,0,1]
	v_pk_fma_f32 v[110:111], v[110:111], v[114:115], v[118:119] op_sel:[0,0,1] op_sel_hi:[1,0,0]
	v_mov_b32_e32 v121, v111
	v_pk_mul_f32 v[110:111], v[112:113], v[116:117] op_sel:[0,1]
	s_delay_alu instid0(VALU_DEP_1) | instskip(SKIP_1) | instid1(VALU_DEP_1)
	v_pk_fma_f32 v[118:119], v[112:113], v[114:115], v[110:111] op_sel:[0,0,1] op_sel_hi:[1,1,0] neg_lo:[0,0,1] neg_hi:[0,0,1]
	v_pk_fma_f32 v[110:111], v[112:113], v[114:115], v[110:111] op_sel:[0,0,1] op_sel_hi:[1,0,0]
	v_mov_b32_e32 v119, v111
	ds_load_2addr_b64 v[110:113], v130 offset0:14 offset1:15
	v_pk_add_f32 v[76:77], v[76:77], v[120:121] neg_lo:[0,1] neg_hi:[0,1]
	v_pk_add_f32 v[70:71], v[70:71], v[118:119] neg_lo:[0,1] neg_hi:[0,1]
	s_wait_dscnt 0x0
	v_pk_mul_f32 v[118:119], v[110:111], v[116:117] op_sel:[0,1]
	s_delay_alu instid0(VALU_DEP_1) | instskip(SKIP_2) | instid1(VALU_DEP_2)
	v_pk_fma_f32 v[120:121], v[110:111], v[114:115], v[118:119] op_sel:[0,0,1] op_sel_hi:[1,1,0] neg_lo:[0,0,1] neg_hi:[0,0,1]
	v_pk_fma_f32 v[110:111], v[110:111], v[114:115], v[118:119] op_sel:[0,0,1] op_sel_hi:[1,0,0]
	v_dual_mul_f32 v118, v113, v117 :: v_dual_mov_b32 v110, v113
	v_dual_mov_b32 v121, v111 :: v_dual_mov_b32 v111, v112
	s_delay_alu instid0(VALU_DEP_2) | instskip(SKIP_1) | instid1(VALU_DEP_3)
	v_pk_fma_f32 v[118:119], v[112:113], v[46:47], v[118:119] op_sel_hi:[1,1,0] neg_lo:[0,0,1] neg_hi:[0,0,1]
	v_mul_f32_e32 v112, v113, v114
	v_pk_add_f32 v[74:75], v[74:75], v[120:121] neg_lo:[0,1] neg_hi:[0,1]
	s_delay_alu instid0(VALU_DEP_2) | instskip(NEXT) | instid1(VALU_DEP_1)
	v_pk_fma_f32 v[110:111], v[110:111], v[46:47], v[112:113] op_sel_hi:[1,1,0]
	v_mov_b32_e32 v119, v111
	ds_load_2addr_b64 v[110:113], v130 offset0:16 offset1:17
	v_pk_add_f32 v[68:69], v[68:69], v[118:119] neg_lo:[0,1] neg_hi:[0,1]
	s_wait_dscnt 0x0
	v_pk_mul_f32 v[118:119], v[110:111], v[116:117] op_sel:[0,1]
	s_delay_alu instid0(VALU_DEP_1) | instskip(SKIP_1) | instid1(VALU_DEP_1)
	v_pk_fma_f32 v[120:121], v[110:111], v[114:115], v[118:119] op_sel:[0,0,1] op_sel_hi:[1,1,0] neg_lo:[0,0,1] neg_hi:[0,0,1]
	v_pk_fma_f32 v[110:111], v[110:111], v[114:115], v[118:119] op_sel:[0,0,1] op_sel_hi:[1,0,0]
	v_mov_b32_e32 v121, v111
	v_pk_mul_f32 v[110:111], v[112:113], v[116:117] op_sel:[0,1]
	s_delay_alu instid0(VALU_DEP_1) | instskip(SKIP_1) | instid1(VALU_DEP_1)
	v_pk_fma_f32 v[118:119], v[112:113], v[114:115], v[110:111] op_sel:[0,0,1] op_sel_hi:[1,1,0] neg_lo:[0,0,1] neg_hi:[0,0,1]
	v_pk_fma_f32 v[110:111], v[112:113], v[114:115], v[110:111] op_sel:[0,0,1] op_sel_hi:[1,0,0]
	v_mov_b32_e32 v119, v111
	ds_load_2addr_b64 v[110:113], v130 offset0:18 offset1:19
	v_pk_add_f32 v[72:73], v[72:73], v[120:121] neg_lo:[0,1] neg_hi:[0,1]
	v_pk_add_f32 v[82:83], v[82:83], v[118:119] neg_lo:[0,1] neg_hi:[0,1]
	s_wait_dscnt 0x0
	v_pk_mul_f32 v[118:119], v[110:111], v[116:117] op_sel:[0,1]
	s_delay_alu instid0(VALU_DEP_1) | instskip(SKIP_1) | instid1(VALU_DEP_1)
	v_pk_fma_f32 v[120:121], v[110:111], v[114:115], v[118:119] op_sel:[0,0,1] op_sel_hi:[1,1,0] neg_lo:[0,0,1] neg_hi:[0,0,1]
	v_pk_fma_f32 v[110:111], v[110:111], v[114:115], v[118:119] op_sel:[0,0,1] op_sel_hi:[1,0,0]
	v_mov_b32_e32 v121, v111
	v_pk_mul_f32 v[110:111], v[112:113], v[116:117] op_sel:[0,1]
	s_delay_alu instid0(VALU_DEP_1) | instskip(SKIP_1) | instid1(VALU_DEP_1)
	v_pk_fma_f32 v[118:119], v[112:113], v[114:115], v[110:111] op_sel:[0,0,1] op_sel_hi:[1,1,0] neg_lo:[0,0,1] neg_hi:[0,0,1]
	v_pk_fma_f32 v[110:111], v[112:113], v[114:115], v[110:111] op_sel:[0,0,1] op_sel_hi:[1,0,0]
	v_mov_b32_e32 v119, v111
	ds_load_b64 v[110:111], v130 offset:160
	v_pk_add_f32 v[80:81], v[80:81], v[120:121] neg_lo:[0,1] neg_hi:[0,1]
	v_pk_add_f32 v[78:79], v[78:79], v[118:119] neg_lo:[0,1] neg_hi:[0,1]
	s_wait_dscnt 0x0
	v_pk_mul_f32 v[112:113], v[110:111], v[116:117] op_sel:[0,1]
	s_delay_alu instid0(VALU_DEP_1) | instskip(SKIP_1) | instid1(VALU_DEP_1)
	v_pk_fma_f32 v[116:117], v[110:111], v[114:115], v[112:113] op_sel:[0,0,1] op_sel_hi:[1,1,0] neg_lo:[0,0,1] neg_hi:[0,0,1]
	v_pk_fma_f32 v[110:111], v[110:111], v[114:115], v[112:113] op_sel:[0,0,1] op_sel_hi:[1,0,0]
	v_mov_b32_e32 v117, v111
	s_delay_alu instid0(VALU_DEP_1)
	v_pk_add_f32 v[84:85], v[84:85], v[116:117] neg_lo:[0,1] neg_hi:[0,1]
.LBB41_109:
	s_or_b32 exec_lo, exec_lo, s1
	s_delay_alu instid0(SALU_CYCLE_1)
	s_mov_b32 s2, exec_lo
	s_wait_dscnt 0x0
	s_barrier_signal -1
	s_barrier_wait -1
	v_cmpx_eq_u32_e32 12, v128
	s_cbranch_execz .LBB41_116
; %bb.110:
	ds_store_b64 v129, v[76:77]
	ds_store_2addr_b64 v130, v[70:71], v[74:75] offset0:13 offset1:14
	ds_store_2addr_b64 v130, v[68:69], v[72:73] offset0:15 offset1:16
	;; [unrolled: 1-line block ×4, first 2 shown]
	ds_load_b64 v[110:111], v129
	s_wait_dscnt 0x0
	v_cmp_neq_f32_e32 vcc_lo, 0, v110
	v_cmp_neq_f32_e64 s1, 0, v111
	s_or_b32 s1, vcc_lo, s1
	s_delay_alu instid0(SALU_CYCLE_1)
	s_and_b32 exec_lo, exec_lo, s1
	s_cbranch_execz .LBB41_116
; %bb.111:
	v_cmp_ngt_f32_e64 s1, |v110|, |v111|
                                        ; implicit-def: $vgpr112_vgpr113
	s_and_saveexec_b32 s4, s1
	s_delay_alu instid0(SALU_CYCLE_1)
	s_xor_b32 s1, exec_lo, s4
	s_cbranch_execz .LBB41_113
; %bb.112:
	v_div_scale_f32 v112, null, v111, v111, v110
	v_div_scale_f32 v115, vcc_lo, v110, v111, v110
	s_delay_alu instid0(VALU_DEP_2) | instskip(SKIP_1) | instid1(TRANS32_DEP_1)
	v_rcp_f32_e32 v113, v112
	v_nop
	v_fma_f32 v114, -v112, v113, 1.0
	s_delay_alu instid0(VALU_DEP_1) | instskip(NEXT) | instid1(VALU_DEP_1)
	v_fmac_f32_e32 v113, v114, v113
	v_mul_f32_e32 v114, v115, v113
	s_delay_alu instid0(VALU_DEP_1) | instskip(NEXT) | instid1(VALU_DEP_1)
	v_fma_f32 v116, -v112, v114, v115
	v_fmac_f32_e32 v114, v116, v113
	s_delay_alu instid0(VALU_DEP_1) | instskip(NEXT) | instid1(VALU_DEP_1)
	v_fma_f32 v112, -v112, v114, v115
	v_div_fmas_f32 v112, v112, v113, v114
	s_delay_alu instid0(VALU_DEP_1) | instskip(NEXT) | instid1(VALU_DEP_1)
	v_div_fixup_f32 v112, v112, v111, v110
	v_fmac_f32_e32 v111, v110, v112
	s_delay_alu instid0(VALU_DEP_1) | instskip(SKIP_1) | instid1(VALU_DEP_2)
	v_div_scale_f32 v110, null, v111, v111, 1.0
	v_div_scale_f32 v115, vcc_lo, 1.0, v111, 1.0
	v_rcp_f32_e32 v113, v110
	v_nop
	s_delay_alu instid0(TRANS32_DEP_1) | instskip(NEXT) | instid1(VALU_DEP_1)
	v_fma_f32 v114, -v110, v113, 1.0
	v_fmac_f32_e32 v113, v114, v113
	s_delay_alu instid0(VALU_DEP_1) | instskip(NEXT) | instid1(VALU_DEP_1)
	v_mul_f32_e32 v114, v115, v113
	v_fma_f32 v116, -v110, v114, v115
	s_delay_alu instid0(VALU_DEP_1) | instskip(NEXT) | instid1(VALU_DEP_1)
	v_fmac_f32_e32 v114, v116, v113
	v_fma_f32 v110, -v110, v114, v115
	s_delay_alu instid0(VALU_DEP_1) | instskip(NEXT) | instid1(VALU_DEP_1)
	v_div_fmas_f32 v110, v110, v113, v114
	v_div_fixup_f32 v110, v110, v111, 1.0
	s_delay_alu instid0(VALU_DEP_1)
	v_mul_f32_e32 v112, v112, v110
	v_xor_b32_e32 v113, 0x80000000, v110
                                        ; implicit-def: $vgpr110_vgpr111
.LBB41_113:
	s_and_not1_saveexec_b32 s1, s1
	s_cbranch_execz .LBB41_115
; %bb.114:
	v_div_scale_f32 v112, null, v110, v110, v111
	v_div_scale_f32 v115, vcc_lo, v111, v110, v111
	s_delay_alu instid0(VALU_DEP_2) | instskip(SKIP_1) | instid1(TRANS32_DEP_1)
	v_rcp_f32_e32 v113, v112
	v_nop
	v_fma_f32 v114, -v112, v113, 1.0
	s_delay_alu instid0(VALU_DEP_1) | instskip(NEXT) | instid1(VALU_DEP_1)
	v_fmac_f32_e32 v113, v114, v113
	v_mul_f32_e32 v114, v115, v113
	s_delay_alu instid0(VALU_DEP_1) | instskip(NEXT) | instid1(VALU_DEP_1)
	v_fma_f32 v116, -v112, v114, v115
	v_fmac_f32_e32 v114, v116, v113
	s_delay_alu instid0(VALU_DEP_1) | instskip(NEXT) | instid1(VALU_DEP_1)
	v_fma_f32 v112, -v112, v114, v115
	v_div_fmas_f32 v112, v112, v113, v114
	s_delay_alu instid0(VALU_DEP_1) | instskip(NEXT) | instid1(VALU_DEP_1)
	v_div_fixup_f32 v113, v112, v110, v111
	v_fmac_f32_e32 v110, v111, v113
	s_delay_alu instid0(VALU_DEP_1) | instskip(NEXT) | instid1(VALU_DEP_1)
	v_div_scale_f32 v111, null, v110, v110, 1.0
	v_rcp_f32_e32 v112, v111
	v_nop
	s_delay_alu instid0(TRANS32_DEP_1) | instskip(NEXT) | instid1(VALU_DEP_1)
	v_fma_f32 v114, -v111, v112, 1.0
	v_fmac_f32_e32 v112, v114, v112
	v_div_scale_f32 v114, vcc_lo, 1.0, v110, 1.0
	s_delay_alu instid0(VALU_DEP_1) | instskip(NEXT) | instid1(VALU_DEP_1)
	v_mul_f32_e32 v115, v114, v112
	v_fma_f32 v116, -v111, v115, v114
	s_delay_alu instid0(VALU_DEP_1) | instskip(NEXT) | instid1(VALU_DEP_1)
	v_fmac_f32_e32 v115, v116, v112
	v_fma_f32 v111, -v111, v115, v114
	s_delay_alu instid0(VALU_DEP_1) | instskip(NEXT) | instid1(VALU_DEP_1)
	v_div_fmas_f32 v111, v111, v112, v115
	v_div_fixup_f32 v112, v111, v110, 1.0
	s_delay_alu instid0(VALU_DEP_1)
	v_mul_f32_e64 v113, v113, -v112
.LBB41_115:
	s_or_b32 exec_lo, exec_lo, s1
	ds_store_b64 v129, v[112:113]
.LBB41_116:
	s_or_b32 exec_lo, exec_lo, s2
	s_wait_dscnt 0x0
	s_barrier_signal -1
	s_barrier_wait -1
	ds_load_b64 v[110:111], v129
	s_mov_b32 s1, exec_lo
	v_cmpx_lt_u32_e32 12, v128
	s_cbranch_execz .LBB41_118
; %bb.117:
	s_wait_dscnt 0x0
	v_pk_mul_f32 v[112:113], v[110:111], v[76:77] op_sel:[1,1] op_sel_hi:[0,1]
	s_delay_alu instid0(VALU_DEP_1)
	v_pk_fma_f32 v[116:117], v[110:111], v[76:77], v[112:113] op_sel_hi:[1,0,1] neg_lo:[0,0,1] neg_hi:[0,0,1]
	v_pk_fma_f32 v[118:119], v[110:111], v[76:77], v[112:113] op_sel_hi:[1,0,1]
	ds_load_2addr_b64 v[112:115], v130 offset0:13 offset1:14
	v_dual_mov_b32 v76, v116 :: v_dual_mov_b32 v77, v119
	s_wait_dscnt 0x0
	v_pk_mul_f32 v[120:121], v[112:113], v[118:119] op_sel:[0,1]
	s_delay_alu instid0(VALU_DEP_1) | instskip(SKIP_1) | instid1(VALU_DEP_1)
	v_pk_fma_f32 v[122:123], v[112:113], v[116:117], v[120:121] op_sel:[0,0,1] op_sel_hi:[1,1,0] neg_lo:[0,0,1] neg_hi:[0,0,1]
	v_pk_fma_f32 v[112:113], v[112:113], v[116:117], v[120:121] op_sel:[0,0,1] op_sel_hi:[1,0,0]
	v_mov_b32_e32 v123, v113
	v_pk_mul_f32 v[112:113], v[114:115], v[118:119] op_sel:[0,1]
	s_delay_alu instid0(VALU_DEP_1) | instskip(SKIP_1) | instid1(VALU_DEP_1)
	v_pk_fma_f32 v[120:121], v[114:115], v[116:117], v[112:113] op_sel:[0,0,1] op_sel_hi:[1,1,0] neg_lo:[0,0,1] neg_hi:[0,0,1]
	v_pk_fma_f32 v[112:113], v[114:115], v[116:117], v[112:113] op_sel:[0,0,1] op_sel_hi:[1,0,0]
	v_mov_b32_e32 v121, v113
	ds_load_2addr_b64 v[112:115], v130 offset0:15 offset1:16
	v_pk_add_f32 v[70:71], v[70:71], v[122:123] neg_lo:[0,1] neg_hi:[0,1]
	v_pk_add_f32 v[74:75], v[74:75], v[120:121] neg_lo:[0,1] neg_hi:[0,1]
	s_wait_dscnt 0x0
	v_pk_mul_f32 v[120:121], v[112:113], v[118:119] op_sel:[0,1]
	s_delay_alu instid0(VALU_DEP_1) | instskip(SKIP_2) | instid1(VALU_DEP_2)
	v_pk_fma_f32 v[122:123], v[112:113], v[116:117], v[120:121] op_sel:[0,0,1] op_sel_hi:[1,1,0] neg_lo:[0,0,1] neg_hi:[0,0,1]
	v_pk_fma_f32 v[112:113], v[112:113], v[116:117], v[120:121] op_sel:[0,0,1] op_sel_hi:[1,0,0]
	v_dual_mul_f32 v120, v115, v119 :: v_dual_mov_b32 v112, v115
	v_dual_mov_b32 v123, v113 :: v_dual_mov_b32 v113, v114
	s_delay_alu instid0(VALU_DEP_2) | instskip(SKIP_1) | instid1(VALU_DEP_3)
	v_pk_fma_f32 v[120:121], v[114:115], v[76:77], v[120:121] op_sel_hi:[1,1,0] neg_lo:[0,0,1] neg_hi:[0,0,1]
	v_mul_f32_e32 v114, v115, v116
	v_pk_add_f32 v[68:69], v[68:69], v[122:123] neg_lo:[0,1] neg_hi:[0,1]
	s_delay_alu instid0(VALU_DEP_2) | instskip(NEXT) | instid1(VALU_DEP_1)
	v_pk_fma_f32 v[112:113], v[112:113], v[76:77], v[114:115] op_sel_hi:[1,1,0]
	v_mov_b32_e32 v121, v113
	ds_load_2addr_b64 v[112:115], v130 offset0:17 offset1:18
	v_pk_add_f32 v[72:73], v[72:73], v[120:121] neg_lo:[0,1] neg_hi:[0,1]
	s_wait_dscnt 0x0
	v_pk_mul_f32 v[120:121], v[112:113], v[118:119] op_sel:[0,1]
	s_delay_alu instid0(VALU_DEP_1) | instskip(SKIP_1) | instid1(VALU_DEP_1)
	v_pk_fma_f32 v[122:123], v[112:113], v[116:117], v[120:121] op_sel:[0,0,1] op_sel_hi:[1,1,0] neg_lo:[0,0,1] neg_hi:[0,0,1]
	v_pk_fma_f32 v[112:113], v[112:113], v[116:117], v[120:121] op_sel:[0,0,1] op_sel_hi:[1,0,0]
	v_mov_b32_e32 v123, v113
	v_pk_mul_f32 v[112:113], v[114:115], v[118:119] op_sel:[0,1]
	s_delay_alu instid0(VALU_DEP_1) | instskip(SKIP_1) | instid1(VALU_DEP_1)
	v_pk_fma_f32 v[120:121], v[114:115], v[116:117], v[112:113] op_sel:[0,0,1] op_sel_hi:[1,1,0] neg_lo:[0,0,1] neg_hi:[0,0,1]
	v_pk_fma_f32 v[112:113], v[114:115], v[116:117], v[112:113] op_sel:[0,0,1] op_sel_hi:[1,0,0]
	v_mov_b32_e32 v121, v113
	ds_load_2addr_b64 v[112:115], v130 offset0:19 offset1:20
	v_pk_add_f32 v[82:83], v[82:83], v[122:123] neg_lo:[0,1] neg_hi:[0,1]
	v_pk_add_f32 v[80:81], v[80:81], v[120:121] neg_lo:[0,1] neg_hi:[0,1]
	s_wait_dscnt 0x0
	v_pk_mul_f32 v[120:121], v[112:113], v[118:119] op_sel:[0,1]
	s_delay_alu instid0(VALU_DEP_1) | instskip(SKIP_1) | instid1(VALU_DEP_1)
	v_pk_fma_f32 v[122:123], v[112:113], v[116:117], v[120:121] op_sel:[0,0,1] op_sel_hi:[1,1,0] neg_lo:[0,0,1] neg_hi:[0,0,1]
	v_pk_fma_f32 v[112:113], v[112:113], v[116:117], v[120:121] op_sel:[0,0,1] op_sel_hi:[1,0,0]
	v_mov_b32_e32 v123, v113
	v_pk_mul_f32 v[112:113], v[114:115], v[118:119] op_sel:[0,1]
	s_delay_alu instid0(VALU_DEP_1) | instskip(SKIP_1) | instid1(VALU_DEP_1)
	v_pk_fma_f32 v[118:119], v[114:115], v[116:117], v[112:113] op_sel:[0,0,1] op_sel_hi:[1,1,0] neg_lo:[0,0,1] neg_hi:[0,0,1]
	v_pk_fma_f32 v[112:113], v[114:115], v[116:117], v[112:113] op_sel:[0,0,1] op_sel_hi:[1,0,0]
	v_mov_b32_e32 v119, v113
	v_pk_add_f32 v[78:79], v[78:79], v[122:123] neg_lo:[0,1] neg_hi:[0,1]
	s_delay_alu instid0(VALU_DEP_2)
	v_pk_add_f32 v[84:85], v[84:85], v[118:119] neg_lo:[0,1] neg_hi:[0,1]
.LBB41_118:
	s_or_b32 exec_lo, exec_lo, s1
	s_delay_alu instid0(SALU_CYCLE_1)
	s_mov_b32 s2, exec_lo
	s_wait_dscnt 0x0
	s_barrier_signal -1
	s_barrier_wait -1
	v_cmpx_eq_u32_e32 13, v128
	s_cbranch_execz .LBB41_125
; %bb.119:
	v_dual_mov_b32 v112, v74 :: v_dual_mov_b32 v113, v75
	v_dual_mov_b32 v114, v68 :: v_dual_mov_b32 v115, v69
	;; [unrolled: 1-line block ×6, first 2 shown]
	ds_store_b64 v129, v[70:71]
	ds_store_2addr_b64 v130, v[112:113], v[114:115] offset0:14 offset1:15
	ds_store_2addr_b64 v130, v[116:117], v[118:119] offset0:16 offset1:17
	;; [unrolled: 1-line block ×3, first 2 shown]
	ds_store_b64 v130, v[84:85] offset:160
	ds_load_b64 v[112:113], v129
	s_wait_dscnt 0x0
	v_cmp_neq_f32_e32 vcc_lo, 0, v112
	v_cmp_neq_f32_e64 s1, 0, v113
	s_or_b32 s1, vcc_lo, s1
	s_delay_alu instid0(SALU_CYCLE_1)
	s_and_b32 exec_lo, exec_lo, s1
	s_cbranch_execz .LBB41_125
; %bb.120:
	v_cmp_ngt_f32_e64 s1, |v112|, |v113|
                                        ; implicit-def: $vgpr114_vgpr115
	s_and_saveexec_b32 s4, s1
	s_delay_alu instid0(SALU_CYCLE_1)
	s_xor_b32 s1, exec_lo, s4
	s_cbranch_execz .LBB41_122
; %bb.121:
	v_div_scale_f32 v114, null, v113, v113, v112
	v_div_scale_f32 v117, vcc_lo, v112, v113, v112
	s_delay_alu instid0(VALU_DEP_2) | instskip(SKIP_1) | instid1(TRANS32_DEP_1)
	v_rcp_f32_e32 v115, v114
	v_nop
	v_fma_f32 v116, -v114, v115, 1.0
	s_delay_alu instid0(VALU_DEP_1) | instskip(NEXT) | instid1(VALU_DEP_1)
	v_fmac_f32_e32 v115, v116, v115
	v_mul_f32_e32 v116, v117, v115
	s_delay_alu instid0(VALU_DEP_1) | instskip(NEXT) | instid1(VALU_DEP_1)
	v_fma_f32 v118, -v114, v116, v117
	v_fmac_f32_e32 v116, v118, v115
	s_delay_alu instid0(VALU_DEP_1) | instskip(NEXT) | instid1(VALU_DEP_1)
	v_fma_f32 v114, -v114, v116, v117
	v_div_fmas_f32 v114, v114, v115, v116
	s_delay_alu instid0(VALU_DEP_1) | instskip(NEXT) | instid1(VALU_DEP_1)
	v_div_fixup_f32 v114, v114, v113, v112
	v_fmac_f32_e32 v113, v112, v114
	s_delay_alu instid0(VALU_DEP_1) | instskip(SKIP_1) | instid1(VALU_DEP_2)
	v_div_scale_f32 v112, null, v113, v113, 1.0
	v_div_scale_f32 v117, vcc_lo, 1.0, v113, 1.0
	v_rcp_f32_e32 v115, v112
	v_nop
	s_delay_alu instid0(TRANS32_DEP_1) | instskip(NEXT) | instid1(VALU_DEP_1)
	v_fma_f32 v116, -v112, v115, 1.0
	v_fmac_f32_e32 v115, v116, v115
	s_delay_alu instid0(VALU_DEP_1) | instskip(NEXT) | instid1(VALU_DEP_1)
	v_mul_f32_e32 v116, v117, v115
	v_fma_f32 v118, -v112, v116, v117
	s_delay_alu instid0(VALU_DEP_1) | instskip(NEXT) | instid1(VALU_DEP_1)
	v_fmac_f32_e32 v116, v118, v115
	v_fma_f32 v112, -v112, v116, v117
	s_delay_alu instid0(VALU_DEP_1) | instskip(NEXT) | instid1(VALU_DEP_1)
	v_div_fmas_f32 v112, v112, v115, v116
	v_div_fixup_f32 v112, v112, v113, 1.0
	s_delay_alu instid0(VALU_DEP_1)
	v_mul_f32_e32 v114, v114, v112
	v_xor_b32_e32 v115, 0x80000000, v112
                                        ; implicit-def: $vgpr112_vgpr113
.LBB41_122:
	s_and_not1_saveexec_b32 s1, s1
	s_cbranch_execz .LBB41_124
; %bb.123:
	v_div_scale_f32 v114, null, v112, v112, v113
	v_div_scale_f32 v117, vcc_lo, v113, v112, v113
	s_delay_alu instid0(VALU_DEP_2) | instskip(SKIP_1) | instid1(TRANS32_DEP_1)
	v_rcp_f32_e32 v115, v114
	v_nop
	v_fma_f32 v116, -v114, v115, 1.0
	s_delay_alu instid0(VALU_DEP_1) | instskip(NEXT) | instid1(VALU_DEP_1)
	v_fmac_f32_e32 v115, v116, v115
	v_mul_f32_e32 v116, v117, v115
	s_delay_alu instid0(VALU_DEP_1) | instskip(NEXT) | instid1(VALU_DEP_1)
	v_fma_f32 v118, -v114, v116, v117
	v_fmac_f32_e32 v116, v118, v115
	s_delay_alu instid0(VALU_DEP_1) | instskip(NEXT) | instid1(VALU_DEP_1)
	v_fma_f32 v114, -v114, v116, v117
	v_div_fmas_f32 v114, v114, v115, v116
	s_delay_alu instid0(VALU_DEP_1) | instskip(NEXT) | instid1(VALU_DEP_1)
	v_div_fixup_f32 v115, v114, v112, v113
	v_fmac_f32_e32 v112, v113, v115
	s_delay_alu instid0(VALU_DEP_1) | instskip(NEXT) | instid1(VALU_DEP_1)
	v_div_scale_f32 v113, null, v112, v112, 1.0
	v_rcp_f32_e32 v114, v113
	v_nop
	s_delay_alu instid0(TRANS32_DEP_1) | instskip(NEXT) | instid1(VALU_DEP_1)
	v_fma_f32 v116, -v113, v114, 1.0
	v_fmac_f32_e32 v114, v116, v114
	v_div_scale_f32 v116, vcc_lo, 1.0, v112, 1.0
	s_delay_alu instid0(VALU_DEP_1) | instskip(NEXT) | instid1(VALU_DEP_1)
	v_mul_f32_e32 v117, v116, v114
	v_fma_f32 v118, -v113, v117, v116
	s_delay_alu instid0(VALU_DEP_1) | instskip(NEXT) | instid1(VALU_DEP_1)
	v_fmac_f32_e32 v117, v118, v114
	v_fma_f32 v113, -v113, v117, v116
	s_delay_alu instid0(VALU_DEP_1) | instskip(NEXT) | instid1(VALU_DEP_1)
	v_div_fmas_f32 v113, v113, v114, v117
	v_div_fixup_f32 v114, v113, v112, 1.0
	s_delay_alu instid0(VALU_DEP_1)
	v_mul_f32_e64 v115, v115, -v114
.LBB41_124:
	s_or_b32 exec_lo, exec_lo, s1
	ds_store_b64 v129, v[114:115]
.LBB41_125:
	s_or_b32 exec_lo, exec_lo, s2
	s_wait_dscnt 0x0
	s_barrier_signal -1
	s_barrier_wait -1
	ds_load_b64 v[112:113], v129
	s_mov_b32 s1, exec_lo
	v_cmpx_lt_u32_e32 13, v128
	s_cbranch_execz .LBB41_127
; %bb.126:
	s_wait_dscnt 0x0
	v_pk_mul_f32 v[114:115], v[112:113], v[70:71] op_sel:[1,1] op_sel_hi:[0,1]
	s_delay_alu instid0(VALU_DEP_1)
	v_pk_fma_f32 v[118:119], v[112:113], v[70:71], v[114:115] op_sel_hi:[1,0,1] neg_lo:[0,0,1] neg_hi:[0,0,1]
	v_pk_fma_f32 v[120:121], v[112:113], v[70:71], v[114:115] op_sel_hi:[1,0,1]
	ds_load_2addr_b64 v[114:117], v130 offset0:14 offset1:15
	v_dual_mov_b32 v70, v118 :: v_dual_mov_b32 v71, v121
	s_wait_dscnt 0x0
	v_pk_mul_f32 v[122:123], v[114:115], v[120:121] op_sel:[0,1]
	s_delay_alu instid0(VALU_DEP_1) | instskip(SKIP_1) | instid1(VALU_DEP_1)
	v_pk_fma_f32 v[124:125], v[114:115], v[118:119], v[122:123] op_sel:[0,0,1] op_sel_hi:[1,1,0] neg_lo:[0,0,1] neg_hi:[0,0,1]
	v_pk_fma_f32 v[114:115], v[114:115], v[118:119], v[122:123] op_sel:[0,0,1] op_sel_hi:[1,0,0]
	v_mov_b32_e32 v125, v115
	v_pk_mul_f32 v[114:115], v[116:117], v[120:121] op_sel:[0,1]
	s_delay_alu instid0(VALU_DEP_1) | instskip(SKIP_1) | instid1(VALU_DEP_1)
	v_pk_fma_f32 v[122:123], v[116:117], v[118:119], v[114:115] op_sel:[0,0,1] op_sel_hi:[1,1,0] neg_lo:[0,0,1] neg_hi:[0,0,1]
	v_pk_fma_f32 v[114:115], v[116:117], v[118:119], v[114:115] op_sel:[0,0,1] op_sel_hi:[1,0,0]
	v_mov_b32_e32 v123, v115
	ds_load_2addr_b64 v[114:117], v130 offset0:16 offset1:17
	v_pk_add_f32 v[74:75], v[74:75], v[124:125] neg_lo:[0,1] neg_hi:[0,1]
	v_pk_add_f32 v[68:69], v[68:69], v[122:123] neg_lo:[0,1] neg_hi:[0,1]
	s_wait_dscnt 0x0
	v_pk_mul_f32 v[122:123], v[114:115], v[120:121] op_sel:[0,1]
	s_delay_alu instid0(VALU_DEP_1) | instskip(SKIP_2) | instid1(VALU_DEP_2)
	v_pk_fma_f32 v[124:125], v[114:115], v[118:119], v[122:123] op_sel:[0,0,1] op_sel_hi:[1,1,0] neg_lo:[0,0,1] neg_hi:[0,0,1]
	v_pk_fma_f32 v[114:115], v[114:115], v[118:119], v[122:123] op_sel:[0,0,1] op_sel_hi:[1,0,0]
	v_dual_mul_f32 v122, v117, v121 :: v_dual_mov_b32 v114, v117
	v_dual_mov_b32 v125, v115 :: v_dual_mov_b32 v115, v116
	s_delay_alu instid0(VALU_DEP_2) | instskip(SKIP_1) | instid1(VALU_DEP_3)
	v_pk_fma_f32 v[122:123], v[116:117], v[70:71], v[122:123] op_sel_hi:[1,1,0] neg_lo:[0,0,1] neg_hi:[0,0,1]
	v_mul_f32_e32 v116, v117, v118
	v_pk_add_f32 v[72:73], v[72:73], v[124:125] neg_lo:[0,1] neg_hi:[0,1]
	s_delay_alu instid0(VALU_DEP_2) | instskip(NEXT) | instid1(VALU_DEP_1)
	v_pk_fma_f32 v[114:115], v[114:115], v[70:71], v[116:117] op_sel_hi:[1,1,0]
	v_mov_b32_e32 v123, v115
	ds_load_2addr_b64 v[114:117], v130 offset0:18 offset1:19
	v_pk_add_f32 v[82:83], v[82:83], v[122:123] neg_lo:[0,1] neg_hi:[0,1]
	s_wait_dscnt 0x0
	v_pk_mul_f32 v[122:123], v[114:115], v[120:121] op_sel:[0,1]
	s_delay_alu instid0(VALU_DEP_1) | instskip(SKIP_1) | instid1(VALU_DEP_1)
	v_pk_fma_f32 v[124:125], v[114:115], v[118:119], v[122:123] op_sel:[0,0,1] op_sel_hi:[1,1,0] neg_lo:[0,0,1] neg_hi:[0,0,1]
	v_pk_fma_f32 v[114:115], v[114:115], v[118:119], v[122:123] op_sel:[0,0,1] op_sel_hi:[1,0,0]
	v_mov_b32_e32 v125, v115
	v_pk_mul_f32 v[114:115], v[116:117], v[120:121] op_sel:[0,1]
	s_delay_alu instid0(VALU_DEP_1) | instskip(SKIP_1) | instid1(VALU_DEP_1)
	v_pk_fma_f32 v[122:123], v[116:117], v[118:119], v[114:115] op_sel:[0,0,1] op_sel_hi:[1,1,0] neg_lo:[0,0,1] neg_hi:[0,0,1]
	v_pk_fma_f32 v[114:115], v[116:117], v[118:119], v[114:115] op_sel:[0,0,1] op_sel_hi:[1,0,0]
	v_mov_b32_e32 v123, v115
	ds_load_b64 v[114:115], v130 offset:160
	v_pk_add_f32 v[80:81], v[80:81], v[124:125] neg_lo:[0,1] neg_hi:[0,1]
	v_pk_add_f32 v[78:79], v[78:79], v[122:123] neg_lo:[0,1] neg_hi:[0,1]
	s_wait_dscnt 0x0
	v_pk_mul_f32 v[116:117], v[114:115], v[120:121] op_sel:[0,1]
	s_delay_alu instid0(VALU_DEP_1) | instskip(SKIP_1) | instid1(VALU_DEP_1)
	v_pk_fma_f32 v[120:121], v[114:115], v[118:119], v[116:117] op_sel:[0,0,1] op_sel_hi:[1,1,0] neg_lo:[0,0,1] neg_hi:[0,0,1]
	v_pk_fma_f32 v[114:115], v[114:115], v[118:119], v[116:117] op_sel:[0,0,1] op_sel_hi:[1,0,0]
	v_mov_b32_e32 v121, v115
	s_delay_alu instid0(VALU_DEP_1)
	v_pk_add_f32 v[84:85], v[84:85], v[120:121] neg_lo:[0,1] neg_hi:[0,1]
.LBB41_127:
	s_or_b32 exec_lo, exec_lo, s1
	s_delay_alu instid0(SALU_CYCLE_1)
	s_mov_b32 s2, exec_lo
	s_wait_dscnt 0x0
	s_barrier_signal -1
	s_barrier_wait -1
	v_cmpx_eq_u32_e32 14, v128
	s_cbranch_execz .LBB41_134
; %bb.128:
	ds_store_b64 v129, v[74:75]
	ds_store_2addr_b64 v130, v[68:69], v[72:73] offset0:15 offset1:16
	ds_store_2addr_b64 v130, v[82:83], v[80:81] offset0:17 offset1:18
	;; [unrolled: 1-line block ×3, first 2 shown]
	ds_load_b64 v[114:115], v129
	s_wait_dscnt 0x0
	v_cmp_neq_f32_e32 vcc_lo, 0, v114
	v_cmp_neq_f32_e64 s1, 0, v115
	s_or_b32 s1, vcc_lo, s1
	s_delay_alu instid0(SALU_CYCLE_1)
	s_and_b32 exec_lo, exec_lo, s1
	s_cbranch_execz .LBB41_134
; %bb.129:
	v_cmp_ngt_f32_e64 s1, |v114|, |v115|
                                        ; implicit-def: $vgpr116_vgpr117
	s_and_saveexec_b32 s4, s1
	s_delay_alu instid0(SALU_CYCLE_1)
	s_xor_b32 s1, exec_lo, s4
	s_cbranch_execz .LBB41_131
; %bb.130:
	v_div_scale_f32 v116, null, v115, v115, v114
	v_div_scale_f32 v119, vcc_lo, v114, v115, v114
	s_delay_alu instid0(VALU_DEP_2) | instskip(SKIP_1) | instid1(TRANS32_DEP_1)
	v_rcp_f32_e32 v117, v116
	v_nop
	v_fma_f32 v118, -v116, v117, 1.0
	s_delay_alu instid0(VALU_DEP_1) | instskip(NEXT) | instid1(VALU_DEP_1)
	v_fmac_f32_e32 v117, v118, v117
	v_mul_f32_e32 v118, v119, v117
	s_delay_alu instid0(VALU_DEP_1) | instskip(NEXT) | instid1(VALU_DEP_1)
	v_fma_f32 v120, -v116, v118, v119
	v_fmac_f32_e32 v118, v120, v117
	s_delay_alu instid0(VALU_DEP_1) | instskip(NEXT) | instid1(VALU_DEP_1)
	v_fma_f32 v116, -v116, v118, v119
	v_div_fmas_f32 v116, v116, v117, v118
	s_delay_alu instid0(VALU_DEP_1) | instskip(NEXT) | instid1(VALU_DEP_1)
	v_div_fixup_f32 v116, v116, v115, v114
	v_fmac_f32_e32 v115, v114, v116
	s_delay_alu instid0(VALU_DEP_1) | instskip(SKIP_1) | instid1(VALU_DEP_2)
	v_div_scale_f32 v114, null, v115, v115, 1.0
	v_div_scale_f32 v119, vcc_lo, 1.0, v115, 1.0
	v_rcp_f32_e32 v117, v114
	v_nop
	s_delay_alu instid0(TRANS32_DEP_1) | instskip(NEXT) | instid1(VALU_DEP_1)
	v_fma_f32 v118, -v114, v117, 1.0
	v_fmac_f32_e32 v117, v118, v117
	s_delay_alu instid0(VALU_DEP_1) | instskip(NEXT) | instid1(VALU_DEP_1)
	v_mul_f32_e32 v118, v119, v117
	v_fma_f32 v120, -v114, v118, v119
	s_delay_alu instid0(VALU_DEP_1) | instskip(NEXT) | instid1(VALU_DEP_1)
	v_fmac_f32_e32 v118, v120, v117
	v_fma_f32 v114, -v114, v118, v119
	s_delay_alu instid0(VALU_DEP_1) | instskip(NEXT) | instid1(VALU_DEP_1)
	v_div_fmas_f32 v114, v114, v117, v118
	v_div_fixup_f32 v114, v114, v115, 1.0
	s_delay_alu instid0(VALU_DEP_1)
	v_mul_f32_e32 v116, v116, v114
	v_xor_b32_e32 v117, 0x80000000, v114
                                        ; implicit-def: $vgpr114_vgpr115
.LBB41_131:
	s_and_not1_saveexec_b32 s1, s1
	s_cbranch_execz .LBB41_133
; %bb.132:
	v_div_scale_f32 v116, null, v114, v114, v115
	v_div_scale_f32 v119, vcc_lo, v115, v114, v115
	s_delay_alu instid0(VALU_DEP_2) | instskip(SKIP_1) | instid1(TRANS32_DEP_1)
	v_rcp_f32_e32 v117, v116
	v_nop
	v_fma_f32 v118, -v116, v117, 1.0
	s_delay_alu instid0(VALU_DEP_1) | instskip(NEXT) | instid1(VALU_DEP_1)
	v_fmac_f32_e32 v117, v118, v117
	v_mul_f32_e32 v118, v119, v117
	s_delay_alu instid0(VALU_DEP_1) | instskip(NEXT) | instid1(VALU_DEP_1)
	v_fma_f32 v120, -v116, v118, v119
	v_fmac_f32_e32 v118, v120, v117
	s_delay_alu instid0(VALU_DEP_1) | instskip(NEXT) | instid1(VALU_DEP_1)
	v_fma_f32 v116, -v116, v118, v119
	v_div_fmas_f32 v116, v116, v117, v118
	s_delay_alu instid0(VALU_DEP_1) | instskip(NEXT) | instid1(VALU_DEP_1)
	v_div_fixup_f32 v117, v116, v114, v115
	v_fmac_f32_e32 v114, v115, v117
	s_delay_alu instid0(VALU_DEP_1) | instskip(NEXT) | instid1(VALU_DEP_1)
	v_div_scale_f32 v115, null, v114, v114, 1.0
	v_rcp_f32_e32 v116, v115
	v_nop
	s_delay_alu instid0(TRANS32_DEP_1) | instskip(NEXT) | instid1(VALU_DEP_1)
	v_fma_f32 v118, -v115, v116, 1.0
	v_fmac_f32_e32 v116, v118, v116
	v_div_scale_f32 v118, vcc_lo, 1.0, v114, 1.0
	s_delay_alu instid0(VALU_DEP_1) | instskip(NEXT) | instid1(VALU_DEP_1)
	v_mul_f32_e32 v119, v118, v116
	v_fma_f32 v120, -v115, v119, v118
	s_delay_alu instid0(VALU_DEP_1) | instskip(NEXT) | instid1(VALU_DEP_1)
	v_fmac_f32_e32 v119, v120, v116
	v_fma_f32 v115, -v115, v119, v118
	s_delay_alu instid0(VALU_DEP_1) | instskip(NEXT) | instid1(VALU_DEP_1)
	v_div_fmas_f32 v115, v115, v116, v119
	v_div_fixup_f32 v116, v115, v114, 1.0
	s_delay_alu instid0(VALU_DEP_1)
	v_mul_f32_e64 v117, v117, -v116
.LBB41_133:
	s_or_b32 exec_lo, exec_lo, s1
	ds_store_b64 v129, v[116:117]
.LBB41_134:
	s_or_b32 exec_lo, exec_lo, s2
	s_wait_dscnt 0x0
	s_barrier_signal -1
	s_barrier_wait -1
	ds_load_b64 v[114:115], v129
	s_mov_b32 s1, exec_lo
	v_cmpx_lt_u32_e32 14, v128
	s_cbranch_execz .LBB41_136
; %bb.135:
	s_wait_dscnt 0x0
	v_pk_mul_f32 v[116:117], v[114:115], v[74:75] op_sel:[1,1] op_sel_hi:[0,1]
	s_delay_alu instid0(VALU_DEP_1)
	v_pk_fma_f32 v[120:121], v[114:115], v[74:75], v[116:117] op_sel_hi:[1,0,1] neg_lo:[0,0,1] neg_hi:[0,0,1]
	v_pk_fma_f32 v[122:123], v[114:115], v[74:75], v[116:117] op_sel_hi:[1,0,1]
	ds_load_2addr_b64 v[116:119], v130 offset0:15 offset1:16
	v_dual_mov_b32 v74, v120 :: v_dual_mov_b32 v75, v123
	s_wait_dscnt 0x0
	v_pk_mul_f32 v[124:125], v[116:117], v[122:123] op_sel:[0,1]
	s_delay_alu instid0(VALU_DEP_1) | instskip(SKIP_1) | instid1(VALU_DEP_1)
	v_pk_fma_f32 v[126:127], v[116:117], v[120:121], v[124:125] op_sel:[0,0,1] op_sel_hi:[1,1,0] neg_lo:[0,0,1] neg_hi:[0,0,1]
	v_pk_fma_f32 v[116:117], v[116:117], v[120:121], v[124:125] op_sel:[0,0,1] op_sel_hi:[1,0,0]
	v_mov_b32_e32 v127, v117
	v_pk_mul_f32 v[116:117], v[118:119], v[122:123] op_sel:[0,1]
	s_delay_alu instid0(VALU_DEP_1) | instskip(SKIP_1) | instid1(VALU_DEP_1)
	v_pk_fma_f32 v[124:125], v[118:119], v[120:121], v[116:117] op_sel:[0,0,1] op_sel_hi:[1,1,0] neg_lo:[0,0,1] neg_hi:[0,0,1]
	v_pk_fma_f32 v[116:117], v[118:119], v[120:121], v[116:117] op_sel:[0,0,1] op_sel_hi:[1,0,0]
	v_mov_b32_e32 v125, v117
	ds_load_2addr_b64 v[116:119], v130 offset0:17 offset1:18
	v_pk_add_f32 v[68:69], v[68:69], v[126:127] neg_lo:[0,1] neg_hi:[0,1]
	v_pk_add_f32 v[72:73], v[72:73], v[124:125] neg_lo:[0,1] neg_hi:[0,1]
	s_wait_dscnt 0x0
	v_pk_mul_f32 v[124:125], v[116:117], v[122:123] op_sel:[0,1]
	s_delay_alu instid0(VALU_DEP_1) | instskip(SKIP_2) | instid1(VALU_DEP_2)
	v_pk_fma_f32 v[126:127], v[116:117], v[120:121], v[124:125] op_sel:[0,0,1] op_sel_hi:[1,1,0] neg_lo:[0,0,1] neg_hi:[0,0,1]
	v_pk_fma_f32 v[116:117], v[116:117], v[120:121], v[124:125] op_sel:[0,0,1] op_sel_hi:[1,0,0]
	v_dual_mul_f32 v124, v119, v123 :: v_dual_mov_b32 v116, v119
	v_dual_mov_b32 v127, v117 :: v_dual_mov_b32 v117, v118
	s_delay_alu instid0(VALU_DEP_2) | instskip(SKIP_1) | instid1(VALU_DEP_3)
	v_pk_fma_f32 v[124:125], v[118:119], v[74:75], v[124:125] op_sel_hi:[1,1,0] neg_lo:[0,0,1] neg_hi:[0,0,1]
	v_mul_f32_e32 v118, v119, v120
	v_pk_add_f32 v[82:83], v[82:83], v[126:127] neg_lo:[0,1] neg_hi:[0,1]
	s_delay_alu instid0(VALU_DEP_2) | instskip(NEXT) | instid1(VALU_DEP_1)
	v_pk_fma_f32 v[116:117], v[116:117], v[74:75], v[118:119] op_sel_hi:[1,1,0]
	v_mov_b32_e32 v125, v117
	ds_load_2addr_b64 v[116:119], v130 offset0:19 offset1:20
	v_pk_add_f32 v[80:81], v[80:81], v[124:125] neg_lo:[0,1] neg_hi:[0,1]
	s_wait_dscnt 0x0
	v_pk_mul_f32 v[124:125], v[116:117], v[122:123] op_sel:[0,1]
	v_mul_f32_e32 v122, v119, v123
	s_delay_alu instid0(VALU_DEP_2) | instskip(SKIP_2) | instid1(VALU_DEP_4)
	v_pk_fma_f32 v[126:127], v[116:117], v[120:121], v[124:125] op_sel:[0,0,1] op_sel_hi:[1,1,0] neg_lo:[0,0,1] neg_hi:[0,0,1]
	v_pk_fma_f32 v[116:117], v[116:117], v[120:121], v[124:125] op_sel:[0,0,1] op_sel_hi:[1,0,0]
	v_mov_b32_e32 v116, v119
	v_pk_fma_f32 v[122:123], v[118:119], v[74:75], v[122:123] op_sel_hi:[1,1,0] neg_lo:[0,0,1] neg_hi:[0,0,1]
	s_delay_alu instid0(VALU_DEP_3) | instskip(SKIP_1) | instid1(VALU_DEP_2)
	v_dual_mov_b32 v127, v117 :: v_dual_mov_b32 v117, v118
	v_mul_f32_e32 v118, v119, v120
	v_pk_add_f32 v[78:79], v[78:79], v[126:127] neg_lo:[0,1] neg_hi:[0,1]
	s_delay_alu instid0(VALU_DEP_2) | instskip(NEXT) | instid1(VALU_DEP_1)
	v_pk_fma_f32 v[116:117], v[116:117], v[74:75], v[118:119] op_sel_hi:[1,1,0]
	v_mov_b32_e32 v123, v117
	s_delay_alu instid0(VALU_DEP_1)
	v_pk_add_f32 v[84:85], v[84:85], v[122:123] neg_lo:[0,1] neg_hi:[0,1]
.LBB41_136:
	s_or_b32 exec_lo, exec_lo, s1
	s_delay_alu instid0(SALU_CYCLE_1)
	s_mov_b32 s2, exec_lo
	s_wait_dscnt 0x0
	s_barrier_signal -1
	s_barrier_wait -1
	v_cmpx_eq_u32_e32 15, v128
	s_cbranch_execz .LBB41_143
; %bb.137:
	v_dual_mov_b32 v116, v72 :: v_dual_mov_b32 v117, v73
	v_dual_mov_b32 v118, v82 :: v_dual_mov_b32 v119, v83
	v_dual_mov_b32 v120, v80 :: v_dual_mov_b32 v121, v81
	v_dual_mov_b32 v122, v78 :: v_dual_mov_b32 v123, v79
	ds_store_b64 v129, v[68:69]
	ds_store_2addr_b64 v130, v[116:117], v[118:119] offset0:16 offset1:17
	ds_store_2addr_b64 v130, v[120:121], v[122:123] offset0:18 offset1:19
	ds_store_b64 v130, v[84:85] offset:160
	ds_load_b64 v[116:117], v129
	s_wait_dscnt 0x0
	v_cmp_neq_f32_e32 vcc_lo, 0, v116
	v_cmp_neq_f32_e64 s1, 0, v117
	s_or_b32 s1, vcc_lo, s1
	s_delay_alu instid0(SALU_CYCLE_1)
	s_and_b32 exec_lo, exec_lo, s1
	s_cbranch_execz .LBB41_143
; %bb.138:
	v_cmp_ngt_f32_e64 s1, |v116|, |v117|
                                        ; implicit-def: $vgpr118_vgpr119
	s_and_saveexec_b32 s4, s1
	s_delay_alu instid0(SALU_CYCLE_1)
	s_xor_b32 s1, exec_lo, s4
	s_cbranch_execz .LBB41_140
; %bb.139:
	v_div_scale_f32 v118, null, v117, v117, v116
	v_div_scale_f32 v121, vcc_lo, v116, v117, v116
	s_delay_alu instid0(VALU_DEP_2) | instskip(SKIP_1) | instid1(TRANS32_DEP_1)
	v_rcp_f32_e32 v119, v118
	v_nop
	v_fma_f32 v120, -v118, v119, 1.0
	s_delay_alu instid0(VALU_DEP_1) | instskip(NEXT) | instid1(VALU_DEP_1)
	v_fmac_f32_e32 v119, v120, v119
	v_mul_f32_e32 v120, v121, v119
	s_delay_alu instid0(VALU_DEP_1) | instskip(NEXT) | instid1(VALU_DEP_1)
	v_fma_f32 v122, -v118, v120, v121
	v_fmac_f32_e32 v120, v122, v119
	s_delay_alu instid0(VALU_DEP_1) | instskip(NEXT) | instid1(VALU_DEP_1)
	v_fma_f32 v118, -v118, v120, v121
	v_div_fmas_f32 v118, v118, v119, v120
	s_delay_alu instid0(VALU_DEP_1) | instskip(NEXT) | instid1(VALU_DEP_1)
	v_div_fixup_f32 v118, v118, v117, v116
	v_fmac_f32_e32 v117, v116, v118
	s_delay_alu instid0(VALU_DEP_1) | instskip(SKIP_1) | instid1(VALU_DEP_2)
	v_div_scale_f32 v116, null, v117, v117, 1.0
	v_div_scale_f32 v121, vcc_lo, 1.0, v117, 1.0
	v_rcp_f32_e32 v119, v116
	v_nop
	s_delay_alu instid0(TRANS32_DEP_1) | instskip(NEXT) | instid1(VALU_DEP_1)
	v_fma_f32 v120, -v116, v119, 1.0
	v_fmac_f32_e32 v119, v120, v119
	s_delay_alu instid0(VALU_DEP_1) | instskip(NEXT) | instid1(VALU_DEP_1)
	v_mul_f32_e32 v120, v121, v119
	v_fma_f32 v122, -v116, v120, v121
	s_delay_alu instid0(VALU_DEP_1) | instskip(NEXT) | instid1(VALU_DEP_1)
	v_fmac_f32_e32 v120, v122, v119
	v_fma_f32 v116, -v116, v120, v121
	s_delay_alu instid0(VALU_DEP_1) | instskip(NEXT) | instid1(VALU_DEP_1)
	v_div_fmas_f32 v116, v116, v119, v120
	v_div_fixup_f32 v116, v116, v117, 1.0
	s_delay_alu instid0(VALU_DEP_1)
	v_mul_f32_e32 v118, v118, v116
	v_xor_b32_e32 v119, 0x80000000, v116
                                        ; implicit-def: $vgpr116_vgpr117
.LBB41_140:
	s_and_not1_saveexec_b32 s1, s1
	s_cbranch_execz .LBB41_142
; %bb.141:
	v_div_scale_f32 v118, null, v116, v116, v117
	v_div_scale_f32 v121, vcc_lo, v117, v116, v117
	s_delay_alu instid0(VALU_DEP_2) | instskip(SKIP_1) | instid1(TRANS32_DEP_1)
	v_rcp_f32_e32 v119, v118
	v_nop
	v_fma_f32 v120, -v118, v119, 1.0
	s_delay_alu instid0(VALU_DEP_1) | instskip(NEXT) | instid1(VALU_DEP_1)
	v_fmac_f32_e32 v119, v120, v119
	v_mul_f32_e32 v120, v121, v119
	s_delay_alu instid0(VALU_DEP_1) | instskip(NEXT) | instid1(VALU_DEP_1)
	v_fma_f32 v122, -v118, v120, v121
	v_fmac_f32_e32 v120, v122, v119
	s_delay_alu instid0(VALU_DEP_1) | instskip(NEXT) | instid1(VALU_DEP_1)
	v_fma_f32 v118, -v118, v120, v121
	v_div_fmas_f32 v118, v118, v119, v120
	s_delay_alu instid0(VALU_DEP_1) | instskip(NEXT) | instid1(VALU_DEP_1)
	v_div_fixup_f32 v119, v118, v116, v117
	v_fmac_f32_e32 v116, v117, v119
	s_delay_alu instid0(VALU_DEP_1) | instskip(NEXT) | instid1(VALU_DEP_1)
	v_div_scale_f32 v117, null, v116, v116, 1.0
	v_rcp_f32_e32 v118, v117
	v_nop
	s_delay_alu instid0(TRANS32_DEP_1) | instskip(NEXT) | instid1(VALU_DEP_1)
	v_fma_f32 v120, -v117, v118, 1.0
	v_fmac_f32_e32 v118, v120, v118
	v_div_scale_f32 v120, vcc_lo, 1.0, v116, 1.0
	s_delay_alu instid0(VALU_DEP_1) | instskip(NEXT) | instid1(VALU_DEP_1)
	v_mul_f32_e32 v121, v120, v118
	v_fma_f32 v122, -v117, v121, v120
	s_delay_alu instid0(VALU_DEP_1) | instskip(NEXT) | instid1(VALU_DEP_1)
	v_fmac_f32_e32 v121, v122, v118
	v_fma_f32 v117, -v117, v121, v120
	s_delay_alu instid0(VALU_DEP_1) | instskip(NEXT) | instid1(VALU_DEP_1)
	v_div_fmas_f32 v117, v117, v118, v121
	v_div_fixup_f32 v118, v117, v116, 1.0
	s_delay_alu instid0(VALU_DEP_1)
	v_mul_f32_e64 v119, v119, -v118
.LBB41_142:
	s_or_b32 exec_lo, exec_lo, s1
	ds_store_b64 v129, v[118:119]
.LBB41_143:
	s_or_b32 exec_lo, exec_lo, s2
	s_wait_dscnt 0x0
	s_barrier_signal -1
	s_barrier_wait -1
	ds_load_b64 v[116:117], v129
	s_mov_b32 s1, exec_lo
	v_cmpx_lt_u32_e32 15, v128
	s_cbranch_execz .LBB41_145
; %bb.144:
	s_wait_dscnt 0x0
	v_pk_mul_f32 v[118:119], v[116:117], v[68:69] op_sel:[1,1] op_sel_hi:[0,1]
	s_delay_alu instid0(VALU_DEP_1)
	v_pk_fma_f32 v[122:123], v[116:117], v[68:69], v[118:119] op_sel_hi:[1,0,1] neg_lo:[0,0,1] neg_hi:[0,0,1]
	v_pk_fma_f32 v[124:125], v[116:117], v[68:69], v[118:119] op_sel_hi:[1,0,1]
	ds_load_2addr_b64 v[118:121], v130 offset0:16 offset1:17
	v_dual_mov_b32 v68, v122 :: v_dual_mov_b32 v69, v125
	s_wait_dscnt 0x0
	v_pk_mul_f32 v[126:127], v[118:119], v[124:125] op_sel:[0,1]
	s_delay_alu instid0(VALU_DEP_1) | instskip(SKIP_1) | instid1(VALU_DEP_1)
	v_pk_fma_f32 v[132:133], v[118:119], v[122:123], v[126:127] op_sel:[0,0,1] op_sel_hi:[1,1,0] neg_lo:[0,0,1] neg_hi:[0,0,1]
	v_pk_fma_f32 v[118:119], v[118:119], v[122:123], v[126:127] op_sel:[0,0,1] op_sel_hi:[1,0,0]
	v_mov_b32_e32 v133, v119
	v_pk_mul_f32 v[118:119], v[120:121], v[124:125] op_sel:[0,1]
	s_delay_alu instid0(VALU_DEP_1) | instskip(SKIP_1) | instid1(VALU_DEP_1)
	v_pk_fma_f32 v[126:127], v[120:121], v[122:123], v[118:119] op_sel:[0,0,1] op_sel_hi:[1,1,0] neg_lo:[0,0,1] neg_hi:[0,0,1]
	v_pk_fma_f32 v[118:119], v[120:121], v[122:123], v[118:119] op_sel:[0,0,1] op_sel_hi:[1,0,0]
	v_mov_b32_e32 v127, v119
	ds_load_2addr_b64 v[118:121], v130 offset0:18 offset1:19
	v_pk_add_f32 v[72:73], v[72:73], v[132:133] neg_lo:[0,1] neg_hi:[0,1]
	v_pk_add_f32 v[82:83], v[82:83], v[126:127] neg_lo:[0,1] neg_hi:[0,1]
	s_wait_dscnt 0x0
	v_pk_mul_f32 v[126:127], v[118:119], v[124:125] op_sel:[0,1]
	s_delay_alu instid0(VALU_DEP_1) | instskip(SKIP_2) | instid1(VALU_DEP_2)
	v_pk_fma_f32 v[132:133], v[118:119], v[122:123], v[126:127] op_sel:[0,0,1] op_sel_hi:[1,1,0] neg_lo:[0,0,1] neg_hi:[0,0,1]
	v_pk_fma_f32 v[118:119], v[118:119], v[122:123], v[126:127] op_sel:[0,0,1] op_sel_hi:[1,0,0]
	v_dual_mul_f32 v126, v121, v125 :: v_dual_mov_b32 v118, v121
	v_dual_mov_b32 v133, v119 :: v_dual_mov_b32 v119, v120
	s_delay_alu instid0(VALU_DEP_2) | instskip(SKIP_1) | instid1(VALU_DEP_3)
	v_pk_fma_f32 v[126:127], v[120:121], v[68:69], v[126:127] op_sel_hi:[1,1,0] neg_lo:[0,0,1] neg_hi:[0,0,1]
	v_mul_f32_e32 v120, v121, v122
	v_pk_add_f32 v[80:81], v[80:81], v[132:133] neg_lo:[0,1] neg_hi:[0,1]
	s_delay_alu instid0(VALU_DEP_2) | instskip(NEXT) | instid1(VALU_DEP_1)
	v_pk_fma_f32 v[118:119], v[118:119], v[68:69], v[120:121] op_sel_hi:[1,1,0]
	v_mov_b32_e32 v127, v119
	ds_load_b64 v[118:119], v130 offset:160
	v_pk_add_f32 v[78:79], v[78:79], v[126:127] neg_lo:[0,1] neg_hi:[0,1]
	s_wait_dscnt 0x0
	v_pk_mul_f32 v[120:121], v[118:119], v[124:125] op_sel:[0,1]
	s_delay_alu instid0(VALU_DEP_1) | instskip(SKIP_1) | instid1(VALU_DEP_1)
	v_pk_fma_f32 v[124:125], v[118:119], v[122:123], v[120:121] op_sel:[0,0,1] op_sel_hi:[1,1,0] neg_lo:[0,0,1] neg_hi:[0,0,1]
	v_pk_fma_f32 v[118:119], v[118:119], v[122:123], v[120:121] op_sel:[0,0,1] op_sel_hi:[1,0,0]
	v_mov_b32_e32 v125, v119
	s_delay_alu instid0(VALU_DEP_1)
	v_pk_add_f32 v[84:85], v[84:85], v[124:125] neg_lo:[0,1] neg_hi:[0,1]
.LBB41_145:
	s_or_b32 exec_lo, exec_lo, s1
	s_delay_alu instid0(SALU_CYCLE_1)
	s_mov_b32 s2, exec_lo
	s_wait_dscnt 0x0
	s_barrier_signal -1
	s_barrier_wait -1
	v_cmpx_eq_u32_e32 16, v128
	s_cbranch_execz .LBB41_152
; %bb.146:
	ds_store_b64 v129, v[72:73]
	ds_store_2addr_b64 v130, v[82:83], v[80:81] offset0:17 offset1:18
	ds_store_2addr_b64 v130, v[78:79], v[84:85] offset0:19 offset1:20
	ds_load_b64 v[118:119], v129
	s_wait_dscnt 0x0
	v_cmp_neq_f32_e32 vcc_lo, 0, v118
	v_cmp_neq_f32_e64 s1, 0, v119
	s_or_b32 s1, vcc_lo, s1
	s_delay_alu instid0(SALU_CYCLE_1)
	s_and_b32 exec_lo, exec_lo, s1
	s_cbranch_execz .LBB41_152
; %bb.147:
	v_cmp_ngt_f32_e64 s1, |v118|, |v119|
                                        ; implicit-def: $vgpr120_vgpr121
	s_and_saveexec_b32 s4, s1
	s_delay_alu instid0(SALU_CYCLE_1)
	s_xor_b32 s1, exec_lo, s4
	s_cbranch_execz .LBB41_149
; %bb.148:
	v_div_scale_f32 v120, null, v119, v119, v118
	v_div_scale_f32 v123, vcc_lo, v118, v119, v118
	s_delay_alu instid0(VALU_DEP_2) | instskip(SKIP_1) | instid1(TRANS32_DEP_1)
	v_rcp_f32_e32 v121, v120
	v_nop
	v_fma_f32 v122, -v120, v121, 1.0
	s_delay_alu instid0(VALU_DEP_1) | instskip(NEXT) | instid1(VALU_DEP_1)
	v_fmac_f32_e32 v121, v122, v121
	v_mul_f32_e32 v122, v123, v121
	s_delay_alu instid0(VALU_DEP_1) | instskip(NEXT) | instid1(VALU_DEP_1)
	v_fma_f32 v124, -v120, v122, v123
	v_fmac_f32_e32 v122, v124, v121
	s_delay_alu instid0(VALU_DEP_1) | instskip(NEXT) | instid1(VALU_DEP_1)
	v_fma_f32 v120, -v120, v122, v123
	v_div_fmas_f32 v120, v120, v121, v122
	s_delay_alu instid0(VALU_DEP_1) | instskip(NEXT) | instid1(VALU_DEP_1)
	v_div_fixup_f32 v120, v120, v119, v118
	v_fmac_f32_e32 v119, v118, v120
	s_delay_alu instid0(VALU_DEP_1) | instskip(SKIP_1) | instid1(VALU_DEP_2)
	v_div_scale_f32 v118, null, v119, v119, 1.0
	v_div_scale_f32 v123, vcc_lo, 1.0, v119, 1.0
	v_rcp_f32_e32 v121, v118
	v_nop
	s_delay_alu instid0(TRANS32_DEP_1) | instskip(NEXT) | instid1(VALU_DEP_1)
	v_fma_f32 v122, -v118, v121, 1.0
	v_fmac_f32_e32 v121, v122, v121
	s_delay_alu instid0(VALU_DEP_1) | instskip(NEXT) | instid1(VALU_DEP_1)
	v_mul_f32_e32 v122, v123, v121
	v_fma_f32 v124, -v118, v122, v123
	s_delay_alu instid0(VALU_DEP_1) | instskip(NEXT) | instid1(VALU_DEP_1)
	v_fmac_f32_e32 v122, v124, v121
	v_fma_f32 v118, -v118, v122, v123
	s_delay_alu instid0(VALU_DEP_1) | instskip(NEXT) | instid1(VALU_DEP_1)
	v_div_fmas_f32 v118, v118, v121, v122
	v_div_fixup_f32 v118, v118, v119, 1.0
	s_delay_alu instid0(VALU_DEP_1)
	v_mul_f32_e32 v120, v120, v118
	v_xor_b32_e32 v121, 0x80000000, v118
                                        ; implicit-def: $vgpr118_vgpr119
.LBB41_149:
	s_and_not1_saveexec_b32 s1, s1
	s_cbranch_execz .LBB41_151
; %bb.150:
	v_div_scale_f32 v120, null, v118, v118, v119
	v_div_scale_f32 v123, vcc_lo, v119, v118, v119
	s_delay_alu instid0(VALU_DEP_2) | instskip(SKIP_1) | instid1(TRANS32_DEP_1)
	v_rcp_f32_e32 v121, v120
	v_nop
	v_fma_f32 v122, -v120, v121, 1.0
	s_delay_alu instid0(VALU_DEP_1) | instskip(NEXT) | instid1(VALU_DEP_1)
	v_fmac_f32_e32 v121, v122, v121
	v_mul_f32_e32 v122, v123, v121
	s_delay_alu instid0(VALU_DEP_1) | instskip(NEXT) | instid1(VALU_DEP_1)
	v_fma_f32 v124, -v120, v122, v123
	v_fmac_f32_e32 v122, v124, v121
	s_delay_alu instid0(VALU_DEP_1) | instskip(NEXT) | instid1(VALU_DEP_1)
	v_fma_f32 v120, -v120, v122, v123
	v_div_fmas_f32 v120, v120, v121, v122
	s_delay_alu instid0(VALU_DEP_1) | instskip(NEXT) | instid1(VALU_DEP_1)
	v_div_fixup_f32 v121, v120, v118, v119
	v_fmac_f32_e32 v118, v119, v121
	s_delay_alu instid0(VALU_DEP_1) | instskip(NEXT) | instid1(VALU_DEP_1)
	v_div_scale_f32 v119, null, v118, v118, 1.0
	v_rcp_f32_e32 v120, v119
	v_nop
	s_delay_alu instid0(TRANS32_DEP_1) | instskip(NEXT) | instid1(VALU_DEP_1)
	v_fma_f32 v122, -v119, v120, 1.0
	v_fmac_f32_e32 v120, v122, v120
	v_div_scale_f32 v122, vcc_lo, 1.0, v118, 1.0
	s_delay_alu instid0(VALU_DEP_1) | instskip(NEXT) | instid1(VALU_DEP_1)
	v_mul_f32_e32 v123, v122, v120
	v_fma_f32 v124, -v119, v123, v122
	s_delay_alu instid0(VALU_DEP_1) | instskip(NEXT) | instid1(VALU_DEP_1)
	v_fmac_f32_e32 v123, v124, v120
	v_fma_f32 v119, -v119, v123, v122
	s_delay_alu instid0(VALU_DEP_1) | instskip(NEXT) | instid1(VALU_DEP_1)
	v_div_fmas_f32 v119, v119, v120, v123
	v_div_fixup_f32 v120, v119, v118, 1.0
	s_delay_alu instid0(VALU_DEP_1)
	v_mul_f32_e64 v121, v121, -v120
.LBB41_151:
	s_or_b32 exec_lo, exec_lo, s1
	ds_store_b64 v129, v[120:121]
.LBB41_152:
	s_or_b32 exec_lo, exec_lo, s2
	s_wait_dscnt 0x0
	s_barrier_signal -1
	s_barrier_wait -1
	ds_load_b64 v[118:119], v129
	s_mov_b32 s1, exec_lo
	v_cmpx_lt_u32_e32 16, v128
	s_cbranch_execz .LBB41_154
; %bb.153:
	s_wait_dscnt 0x0
	v_pk_mul_f32 v[120:121], v[118:119], v[72:73] op_sel:[1,1] op_sel_hi:[0,1]
	s_delay_alu instid0(VALU_DEP_1)
	v_pk_fma_f32 v[124:125], v[118:119], v[72:73], v[120:121] op_sel_hi:[1,0,1] neg_lo:[0,0,1] neg_hi:[0,0,1]
	v_pk_fma_f32 v[126:127], v[118:119], v[72:73], v[120:121] op_sel_hi:[1,0,1]
	ds_load_2addr_b64 v[120:123], v130 offset0:17 offset1:18
	v_dual_mov_b32 v72, v124 :: v_dual_mov_b32 v73, v127
	s_wait_dscnt 0x0
	v_pk_mul_f32 v[132:133], v[120:121], v[126:127] op_sel:[0,1]
	s_delay_alu instid0(VALU_DEP_1) | instskip(SKIP_1) | instid1(VALU_DEP_1)
	v_pk_fma_f32 v[134:135], v[120:121], v[124:125], v[132:133] op_sel:[0,0,1] op_sel_hi:[1,1,0] neg_lo:[0,0,1] neg_hi:[0,0,1]
	v_pk_fma_f32 v[120:121], v[120:121], v[124:125], v[132:133] op_sel:[0,0,1] op_sel_hi:[1,0,0]
	v_mov_b32_e32 v135, v121
	v_pk_mul_f32 v[120:121], v[122:123], v[126:127] op_sel:[0,1]
	s_delay_alu instid0(VALU_DEP_1) | instskip(SKIP_1) | instid1(VALU_DEP_1)
	v_pk_fma_f32 v[132:133], v[122:123], v[124:125], v[120:121] op_sel:[0,0,1] op_sel_hi:[1,1,0] neg_lo:[0,0,1] neg_hi:[0,0,1]
	v_pk_fma_f32 v[120:121], v[122:123], v[124:125], v[120:121] op_sel:[0,0,1] op_sel_hi:[1,0,0]
	v_mov_b32_e32 v133, v121
	ds_load_2addr_b64 v[120:123], v130 offset0:19 offset1:20
	v_pk_add_f32 v[82:83], v[82:83], v[134:135] neg_lo:[0,1] neg_hi:[0,1]
	v_pk_add_f32 v[80:81], v[80:81], v[132:133] neg_lo:[0,1] neg_hi:[0,1]
	s_wait_dscnt 0x0
	v_pk_mul_f32 v[132:133], v[120:121], v[126:127] op_sel:[0,1]
	s_delay_alu instid0(VALU_DEP_1) | instskip(SKIP_1) | instid1(VALU_DEP_1)
	v_pk_fma_f32 v[134:135], v[120:121], v[124:125], v[132:133] op_sel:[0,0,1] op_sel_hi:[1,1,0] neg_lo:[0,0,1] neg_hi:[0,0,1]
	v_pk_fma_f32 v[120:121], v[120:121], v[124:125], v[132:133] op_sel:[0,0,1] op_sel_hi:[1,0,0]
	v_dual_mov_b32 v120, v123 :: v_dual_mov_b32 v135, v121
	v_mov_b32_e32 v121, v122
	s_delay_alu instid0(VALU_DEP_2) | instskip(NEXT) | instid1(VALU_DEP_2)
	v_pk_add_f32 v[78:79], v[78:79], v[134:135] neg_lo:[0,1] neg_hi:[0,1]
	v_pk_mul_f32 v[120:121], v[120:121], v[126:127] op_sel:[0,1]
	s_delay_alu instid0(VALU_DEP_1) | instskip(SKIP_1) | instid1(VALU_DEP_1)
	v_pk_fma_f32 v[126:127], v[122:123], v[124:125], v[120:121] neg_lo:[0,0,1] neg_hi:[0,0,1]
	v_pk_fma_f32 v[120:121], v[122:123], v[124:125], v[120:121] op_sel_hi:[1,0,1]
	v_mov_b32_e32 v127, v121
	s_delay_alu instid0(VALU_DEP_1)
	v_pk_add_f32 v[84:85], v[84:85], v[126:127] neg_lo:[0,1] neg_hi:[0,1]
.LBB41_154:
	s_or_b32 exec_lo, exec_lo, s1
	s_delay_alu instid0(SALU_CYCLE_1)
	s_mov_b32 s2, exec_lo
	s_wait_dscnt 0x0
	s_barrier_signal -1
	s_barrier_wait -1
	v_cmpx_eq_u32_e32 17, v128
	s_cbranch_execz .LBB41_161
; %bb.155:
	v_dual_mov_b32 v120, v80 :: v_dual_mov_b32 v121, v81
	v_dual_mov_b32 v122, v78 :: v_dual_mov_b32 v123, v79
	ds_store_b64 v129, v[82:83]
	ds_store_2addr_b64 v130, v[120:121], v[122:123] offset0:18 offset1:19
	ds_store_b64 v130, v[84:85] offset:160
	ds_load_b64 v[120:121], v129
	s_wait_dscnt 0x0
	v_cmp_neq_f32_e32 vcc_lo, 0, v120
	v_cmp_neq_f32_e64 s1, 0, v121
	s_or_b32 s1, vcc_lo, s1
	s_delay_alu instid0(SALU_CYCLE_1)
	s_and_b32 exec_lo, exec_lo, s1
	s_cbranch_execz .LBB41_161
; %bb.156:
	v_cmp_ngt_f32_e64 s1, |v120|, |v121|
                                        ; implicit-def: $vgpr122_vgpr123
	s_and_saveexec_b32 s4, s1
	s_delay_alu instid0(SALU_CYCLE_1)
	s_xor_b32 s1, exec_lo, s4
	s_cbranch_execz .LBB41_158
; %bb.157:
	v_div_scale_f32 v122, null, v121, v121, v120
	v_div_scale_f32 v125, vcc_lo, v120, v121, v120
	s_delay_alu instid0(VALU_DEP_2) | instskip(SKIP_1) | instid1(TRANS32_DEP_1)
	v_rcp_f32_e32 v123, v122
	v_nop
	v_fma_f32 v124, -v122, v123, 1.0
	s_delay_alu instid0(VALU_DEP_1) | instskip(NEXT) | instid1(VALU_DEP_1)
	v_fmac_f32_e32 v123, v124, v123
	v_mul_f32_e32 v124, v125, v123
	s_delay_alu instid0(VALU_DEP_1) | instskip(NEXT) | instid1(VALU_DEP_1)
	v_fma_f32 v126, -v122, v124, v125
	v_fmac_f32_e32 v124, v126, v123
	s_delay_alu instid0(VALU_DEP_1) | instskip(NEXT) | instid1(VALU_DEP_1)
	v_fma_f32 v122, -v122, v124, v125
	v_div_fmas_f32 v122, v122, v123, v124
	s_delay_alu instid0(VALU_DEP_1) | instskip(NEXT) | instid1(VALU_DEP_1)
	v_div_fixup_f32 v122, v122, v121, v120
	v_fmac_f32_e32 v121, v120, v122
	s_delay_alu instid0(VALU_DEP_1) | instskip(SKIP_1) | instid1(VALU_DEP_2)
	v_div_scale_f32 v120, null, v121, v121, 1.0
	v_div_scale_f32 v125, vcc_lo, 1.0, v121, 1.0
	v_rcp_f32_e32 v123, v120
	v_nop
	s_delay_alu instid0(TRANS32_DEP_1) | instskip(NEXT) | instid1(VALU_DEP_1)
	v_fma_f32 v124, -v120, v123, 1.0
	v_fmac_f32_e32 v123, v124, v123
	s_delay_alu instid0(VALU_DEP_1) | instskip(NEXT) | instid1(VALU_DEP_1)
	v_mul_f32_e32 v124, v125, v123
	v_fma_f32 v126, -v120, v124, v125
	s_delay_alu instid0(VALU_DEP_1) | instskip(NEXT) | instid1(VALU_DEP_1)
	v_fmac_f32_e32 v124, v126, v123
	v_fma_f32 v120, -v120, v124, v125
	s_delay_alu instid0(VALU_DEP_1) | instskip(NEXT) | instid1(VALU_DEP_1)
	v_div_fmas_f32 v120, v120, v123, v124
	v_div_fixup_f32 v120, v120, v121, 1.0
	s_delay_alu instid0(VALU_DEP_1)
	v_mul_f32_e32 v122, v122, v120
	v_xor_b32_e32 v123, 0x80000000, v120
                                        ; implicit-def: $vgpr120_vgpr121
.LBB41_158:
	s_and_not1_saveexec_b32 s1, s1
	s_cbranch_execz .LBB41_160
; %bb.159:
	v_div_scale_f32 v122, null, v120, v120, v121
	v_div_scale_f32 v125, vcc_lo, v121, v120, v121
	s_delay_alu instid0(VALU_DEP_2) | instskip(SKIP_1) | instid1(TRANS32_DEP_1)
	v_rcp_f32_e32 v123, v122
	v_nop
	v_fma_f32 v124, -v122, v123, 1.0
	s_delay_alu instid0(VALU_DEP_1) | instskip(NEXT) | instid1(VALU_DEP_1)
	v_fmac_f32_e32 v123, v124, v123
	v_mul_f32_e32 v124, v125, v123
	s_delay_alu instid0(VALU_DEP_1) | instskip(NEXT) | instid1(VALU_DEP_1)
	v_fma_f32 v126, -v122, v124, v125
	v_fmac_f32_e32 v124, v126, v123
	s_delay_alu instid0(VALU_DEP_1) | instskip(NEXT) | instid1(VALU_DEP_1)
	v_fma_f32 v122, -v122, v124, v125
	v_div_fmas_f32 v122, v122, v123, v124
	s_delay_alu instid0(VALU_DEP_1) | instskip(NEXT) | instid1(VALU_DEP_1)
	v_div_fixup_f32 v123, v122, v120, v121
	v_fmac_f32_e32 v120, v121, v123
	s_delay_alu instid0(VALU_DEP_1) | instskip(NEXT) | instid1(VALU_DEP_1)
	v_div_scale_f32 v121, null, v120, v120, 1.0
	v_rcp_f32_e32 v122, v121
	v_nop
	s_delay_alu instid0(TRANS32_DEP_1) | instskip(NEXT) | instid1(VALU_DEP_1)
	v_fma_f32 v124, -v121, v122, 1.0
	v_fmac_f32_e32 v122, v124, v122
	v_div_scale_f32 v124, vcc_lo, 1.0, v120, 1.0
	s_delay_alu instid0(VALU_DEP_1) | instskip(NEXT) | instid1(VALU_DEP_1)
	v_mul_f32_e32 v125, v124, v122
	v_fma_f32 v126, -v121, v125, v124
	s_delay_alu instid0(VALU_DEP_1) | instskip(NEXT) | instid1(VALU_DEP_1)
	v_fmac_f32_e32 v125, v126, v122
	v_fma_f32 v121, -v121, v125, v124
	s_delay_alu instid0(VALU_DEP_1) | instskip(NEXT) | instid1(VALU_DEP_1)
	v_div_fmas_f32 v121, v121, v122, v125
	v_div_fixup_f32 v122, v121, v120, 1.0
	s_delay_alu instid0(VALU_DEP_1)
	v_mul_f32_e64 v123, v123, -v122
.LBB41_160:
	s_or_b32 exec_lo, exec_lo, s1
	ds_store_b64 v129, v[122:123]
.LBB41_161:
	s_or_b32 exec_lo, exec_lo, s2
	s_wait_dscnt 0x0
	s_barrier_signal -1
	s_barrier_wait -1
	ds_load_b64 v[120:121], v129
	s_mov_b32 s1, exec_lo
	v_cmpx_lt_u32_e32 17, v128
	s_cbranch_execz .LBB41_163
; %bb.162:
	ds_load_2addr_b64 v[122:125], v130 offset0:18 offset1:19
	ds_load_b64 v[126:127], v130 offset:160
	s_wait_dscnt 0x2
	v_pk_mul_f32 v[132:133], v[120:121], v[82:83] op_sel:[1,1] op_sel_hi:[0,1]
	s_delay_alu instid0(VALU_DEP_1) | instskip(SKIP_2) | instid1(VALU_DEP_2)
	v_pk_fma_f32 v[134:135], v[120:121], v[82:83], v[132:133] op_sel_hi:[1,0,1]
	v_pk_fma_f32 v[82:83], v[120:121], v[82:83], v[132:133] op_sel_hi:[1,0,1] neg_lo:[0,0,1] neg_hi:[0,0,1]
	s_wait_dscnt 0x1
	v_pk_mul_f32 v[132:133], v[122:123], v[134:135] op_sel:[0,1]
	v_pk_mul_f32 v[136:137], v[124:125], v[134:135] op_sel:[0,1]
	s_wait_dscnt 0x0
	v_pk_mul_f32 v[138:139], v[126:127], v[134:135] op_sel:[1,1] op_sel_hi:[0,1]
	s_delay_alu instid0(VALU_DEP_3) | instskip(SKIP_2) | instid1(VALU_DEP_4)
	v_pk_fma_f32 v[140:141], v[122:123], v[82:83], v[132:133] op_sel:[0,0,1] op_sel_hi:[1,1,0] neg_lo:[0,0,1] neg_hi:[0,0,1]
	v_pk_fma_f32 v[122:123], v[122:123], v[82:83], v[132:133] op_sel:[0,0,1] op_sel_hi:[1,0,0]
	v_pk_fma_f32 v[132:133], v[124:125], v[82:83], v[136:137] op_sel:[0,0,1] op_sel_hi:[1,0,0]
	v_pk_fma_f32 v[142:143], v[126:127], v[82:83], v[138:139] op_sel_hi:[1,0,1]
	v_pk_fma_f32 v[124:125], v[124:125], v[82:83], v[136:137] op_sel:[0,0,1] op_sel_hi:[1,1,0] neg_lo:[0,0,1] neg_hi:[0,0,1]
	v_pk_fma_f32 v[126:127], v[126:127], v[82:83], v[138:139] neg_lo:[0,0,1] neg_hi:[0,0,1]
	s_delay_alu instid0(VALU_DEP_4) | instskip(NEXT) | instid1(VALU_DEP_4)
	v_dual_mov_b32 v141, v123 :: v_dual_mov_b32 v125, v133
	v_dual_mov_b32 v127, v143 :: v_dual_mov_b32 v83, v135
	s_delay_alu instid0(VALU_DEP_2) | instskip(NEXT) | instid1(VALU_DEP_3)
	v_pk_add_f32 v[80:81], v[80:81], v[140:141] neg_lo:[0,1] neg_hi:[0,1]
	v_pk_add_f32 v[78:79], v[78:79], v[124:125] neg_lo:[0,1] neg_hi:[0,1]
	s_delay_alu instid0(VALU_DEP_3)
	v_pk_add_f32 v[84:85], v[84:85], v[126:127] neg_lo:[0,1] neg_hi:[0,1]
.LBB41_163:
	s_or_b32 exec_lo, exec_lo, s1
	s_delay_alu instid0(SALU_CYCLE_1)
	s_mov_b32 s2, exec_lo
	s_wait_dscnt 0x0
	s_barrier_signal -1
	s_barrier_wait -1
	v_cmpx_eq_u32_e32 18, v128
	s_cbranch_execz .LBB41_170
; %bb.164:
	ds_store_b64 v129, v[80:81]
	ds_store_2addr_b64 v130, v[78:79], v[84:85] offset0:19 offset1:20
	ds_load_b64 v[122:123], v129
	s_wait_dscnt 0x0
	v_cmp_neq_f32_e32 vcc_lo, 0, v122
	v_cmp_neq_f32_e64 s1, 0, v123
	s_or_b32 s1, vcc_lo, s1
	s_delay_alu instid0(SALU_CYCLE_1)
	s_and_b32 exec_lo, exec_lo, s1
	s_cbranch_execz .LBB41_170
; %bb.165:
	v_cmp_ngt_f32_e64 s1, |v122|, |v123|
                                        ; implicit-def: $vgpr124_vgpr125
	s_and_saveexec_b32 s4, s1
	s_delay_alu instid0(SALU_CYCLE_1)
	s_xor_b32 s1, exec_lo, s4
	s_cbranch_execz .LBB41_167
; %bb.166:
	v_div_scale_f32 v124, null, v123, v123, v122
	v_div_scale_f32 v127, vcc_lo, v122, v123, v122
	s_delay_alu instid0(VALU_DEP_2) | instskip(SKIP_1) | instid1(TRANS32_DEP_1)
	v_rcp_f32_e32 v125, v124
	v_nop
	v_fma_f32 v126, -v124, v125, 1.0
	s_delay_alu instid0(VALU_DEP_1) | instskip(NEXT) | instid1(VALU_DEP_1)
	v_fmac_f32_e32 v125, v126, v125
	v_mul_f32_e32 v126, v127, v125
	s_delay_alu instid0(VALU_DEP_1) | instskip(NEXT) | instid1(VALU_DEP_1)
	v_fma_f32 v131, -v124, v126, v127
	v_fmac_f32_e32 v126, v131, v125
	s_delay_alu instid0(VALU_DEP_1) | instskip(NEXT) | instid1(VALU_DEP_1)
	v_fma_f32 v124, -v124, v126, v127
	v_div_fmas_f32 v124, v124, v125, v126
	s_delay_alu instid0(VALU_DEP_1) | instskip(NEXT) | instid1(VALU_DEP_1)
	v_div_fixup_f32 v124, v124, v123, v122
	v_fmac_f32_e32 v123, v122, v124
	s_delay_alu instid0(VALU_DEP_1) | instskip(SKIP_1) | instid1(VALU_DEP_2)
	v_div_scale_f32 v122, null, v123, v123, 1.0
	v_div_scale_f32 v127, vcc_lo, 1.0, v123, 1.0
	v_rcp_f32_e32 v125, v122
	v_nop
	s_delay_alu instid0(TRANS32_DEP_1) | instskip(NEXT) | instid1(VALU_DEP_1)
	v_fma_f32 v126, -v122, v125, 1.0
	v_fmac_f32_e32 v125, v126, v125
	s_delay_alu instid0(VALU_DEP_1) | instskip(NEXT) | instid1(VALU_DEP_1)
	v_mul_f32_e32 v126, v127, v125
	v_fma_f32 v131, -v122, v126, v127
	s_delay_alu instid0(VALU_DEP_1) | instskip(NEXT) | instid1(VALU_DEP_1)
	v_fmac_f32_e32 v126, v131, v125
	v_fma_f32 v122, -v122, v126, v127
	s_delay_alu instid0(VALU_DEP_1) | instskip(NEXT) | instid1(VALU_DEP_1)
	v_div_fmas_f32 v122, v122, v125, v126
	v_div_fixup_f32 v122, v122, v123, 1.0
	s_delay_alu instid0(VALU_DEP_1)
	v_mul_f32_e32 v124, v124, v122
	v_xor_b32_e32 v125, 0x80000000, v122
                                        ; implicit-def: $vgpr122_vgpr123
.LBB41_167:
	s_and_not1_saveexec_b32 s1, s1
	s_cbranch_execz .LBB41_169
; %bb.168:
	v_div_scale_f32 v124, null, v122, v122, v123
	v_div_scale_f32 v127, vcc_lo, v123, v122, v123
	s_delay_alu instid0(VALU_DEP_2) | instskip(SKIP_1) | instid1(TRANS32_DEP_1)
	v_rcp_f32_e32 v125, v124
	v_nop
	v_fma_f32 v126, -v124, v125, 1.0
	s_delay_alu instid0(VALU_DEP_1) | instskip(NEXT) | instid1(VALU_DEP_1)
	v_fmac_f32_e32 v125, v126, v125
	v_mul_f32_e32 v126, v127, v125
	s_delay_alu instid0(VALU_DEP_1) | instskip(NEXT) | instid1(VALU_DEP_1)
	v_fma_f32 v131, -v124, v126, v127
	v_fmac_f32_e32 v126, v131, v125
	s_delay_alu instid0(VALU_DEP_1) | instskip(NEXT) | instid1(VALU_DEP_1)
	v_fma_f32 v124, -v124, v126, v127
	v_div_fmas_f32 v124, v124, v125, v126
	s_delay_alu instid0(VALU_DEP_1) | instskip(NEXT) | instid1(VALU_DEP_1)
	v_div_fixup_f32 v125, v124, v122, v123
	v_fmac_f32_e32 v122, v123, v125
	s_delay_alu instid0(VALU_DEP_1) | instskip(NEXT) | instid1(VALU_DEP_1)
	v_div_scale_f32 v123, null, v122, v122, 1.0
	v_rcp_f32_e32 v124, v123
	v_nop
	s_delay_alu instid0(TRANS32_DEP_1) | instskip(NEXT) | instid1(VALU_DEP_1)
	v_fma_f32 v126, -v123, v124, 1.0
	v_fmac_f32_e32 v124, v126, v124
	v_div_scale_f32 v126, vcc_lo, 1.0, v122, 1.0
	s_delay_alu instid0(VALU_DEP_1) | instskip(NEXT) | instid1(VALU_DEP_1)
	v_mul_f32_e32 v127, v126, v124
	v_fma_f32 v131, -v123, v127, v126
	s_delay_alu instid0(VALU_DEP_1) | instskip(NEXT) | instid1(VALU_DEP_1)
	v_fmac_f32_e32 v127, v131, v124
	v_fma_f32 v123, -v123, v127, v126
	s_delay_alu instid0(VALU_DEP_1) | instskip(NEXT) | instid1(VALU_DEP_1)
	v_div_fmas_f32 v123, v123, v124, v127
	v_div_fixup_f32 v124, v123, v122, 1.0
	s_delay_alu instid0(VALU_DEP_1)
	v_mul_f32_e64 v125, v125, -v124
.LBB41_169:
	s_or_b32 exec_lo, exec_lo, s1
	ds_store_b64 v129, v[124:125]
.LBB41_170:
	s_or_b32 exec_lo, exec_lo, s2
	s_wait_dscnt 0x0
	s_barrier_signal -1
	s_barrier_wait -1
	ds_load_b64 v[122:123], v129
	s_mov_b32 s1, exec_lo
	v_cmpx_lt_u32_e32 18, v128
	s_cbranch_execz .LBB41_172
; %bb.171:
	ds_load_2addr_b64 v[124:127], v130 offset0:19 offset1:20
	s_wait_dscnt 0x1
	v_pk_mul_f32 v[132:133], v[122:123], v[80:81] op_sel:[1,1] op_sel_hi:[0,1]
	s_delay_alu instid0(VALU_DEP_1) | instskip(SKIP_3) | instid1(VALU_DEP_3)
	v_pk_fma_f32 v[134:135], v[122:123], v[80:81], v[132:133] op_sel_hi:[1,0,1]
	v_pk_fma_f32 v[80:81], v[122:123], v[80:81], v[132:133] op_sel_hi:[1,0,1] neg_lo:[0,0,1] neg_hi:[0,0,1]
	s_wait_dscnt 0x0
	v_dual_mov_b32 v136, v127 :: v_dual_mov_b32 v137, v126
	v_pk_mul_f32 v[132:133], v[124:125], v[134:135] op_sel:[0,1]
	s_delay_alu instid0(VALU_DEP_2) | instskip(NEXT) | instid1(VALU_DEP_2)
	v_pk_mul_f32 v[136:137], v[136:137], v[134:135] op_sel:[0,1]
	v_pk_fma_f32 v[138:139], v[124:125], v[80:81], v[132:133] op_sel:[0,0,1] op_sel_hi:[1,0,0]
	v_pk_fma_f32 v[124:125], v[124:125], v[80:81], v[132:133] op_sel:[0,0,1] op_sel_hi:[1,1,0] neg_lo:[0,0,1] neg_hi:[0,0,1]
	s_delay_alu instid0(VALU_DEP_3) | instskip(SKIP_1) | instid1(VALU_DEP_4)
	v_pk_fma_f32 v[140:141], v[126:127], v[80:81], v[136:137] op_sel_hi:[1,0,1]
	v_pk_fma_f32 v[126:127], v[126:127], v[80:81], v[136:137] neg_lo:[0,0,1] neg_hi:[0,0,1]
	v_dual_mov_b32 v125, v139 :: v_dual_mov_b32 v81, v135
	s_delay_alu instid0(VALU_DEP_3) | instskip(NEXT) | instid1(VALU_DEP_2)
	v_mov_b32_e32 v127, v141
	v_pk_add_f32 v[78:79], v[78:79], v[124:125] neg_lo:[0,1] neg_hi:[0,1]
	s_delay_alu instid0(VALU_DEP_2)
	v_pk_add_f32 v[84:85], v[84:85], v[126:127] neg_lo:[0,1] neg_hi:[0,1]
.LBB41_172:
	s_or_b32 exec_lo, exec_lo, s1
	s_delay_alu instid0(SALU_CYCLE_1)
	s_mov_b32 s2, exec_lo
	s_wait_dscnt 0x0
	s_barrier_signal -1
	s_barrier_wait -1
	v_cmpx_eq_u32_e32 19, v128
	s_cbranch_execz .LBB41_179
; %bb.173:
	ds_store_b64 v129, v[78:79]
	ds_store_b64 v130, v[84:85] offset:160
	ds_load_b64 v[124:125], v129
	s_wait_dscnt 0x0
	v_cmp_neq_f32_e32 vcc_lo, 0, v124
	v_cmp_neq_f32_e64 s1, 0, v125
	s_or_b32 s1, vcc_lo, s1
	s_delay_alu instid0(SALU_CYCLE_1)
	s_and_b32 exec_lo, exec_lo, s1
	s_cbranch_execz .LBB41_179
; %bb.174:
	v_cmp_ngt_f32_e64 s1, |v124|, |v125|
                                        ; implicit-def: $vgpr126_vgpr127
	s_and_saveexec_b32 s4, s1
	s_delay_alu instid0(SALU_CYCLE_1)
	s_xor_b32 s1, exec_lo, s4
	s_cbranch_execz .LBB41_176
; %bb.175:
	v_div_scale_f32 v126, null, v125, v125, v124
	v_div_scale_f32 v132, vcc_lo, v124, v125, v124
	s_delay_alu instid0(VALU_DEP_2) | instskip(SKIP_1) | instid1(TRANS32_DEP_1)
	v_rcp_f32_e32 v127, v126
	v_nop
	v_fma_f32 v131, -v126, v127, 1.0
	s_delay_alu instid0(VALU_DEP_1) | instskip(NEXT) | instid1(VALU_DEP_1)
	v_fmac_f32_e32 v127, v131, v127
	v_mul_f32_e32 v131, v132, v127
	s_delay_alu instid0(VALU_DEP_1) | instskip(NEXT) | instid1(VALU_DEP_1)
	v_fma_f32 v133, -v126, v131, v132
	v_fmac_f32_e32 v131, v133, v127
	s_delay_alu instid0(VALU_DEP_1) | instskip(NEXT) | instid1(VALU_DEP_1)
	v_fma_f32 v126, -v126, v131, v132
	v_div_fmas_f32 v126, v126, v127, v131
	s_delay_alu instid0(VALU_DEP_1) | instskip(NEXT) | instid1(VALU_DEP_1)
	v_div_fixup_f32 v126, v126, v125, v124
	v_fmac_f32_e32 v125, v124, v126
	s_delay_alu instid0(VALU_DEP_1) | instskip(SKIP_1) | instid1(VALU_DEP_2)
	v_div_scale_f32 v124, null, v125, v125, 1.0
	v_div_scale_f32 v132, vcc_lo, 1.0, v125, 1.0
	v_rcp_f32_e32 v127, v124
	v_nop
	s_delay_alu instid0(TRANS32_DEP_1) | instskip(NEXT) | instid1(VALU_DEP_1)
	v_fma_f32 v131, -v124, v127, 1.0
	v_fmac_f32_e32 v127, v131, v127
	s_delay_alu instid0(VALU_DEP_1) | instskip(NEXT) | instid1(VALU_DEP_1)
	v_mul_f32_e32 v131, v132, v127
	v_fma_f32 v133, -v124, v131, v132
	s_delay_alu instid0(VALU_DEP_1) | instskip(NEXT) | instid1(VALU_DEP_1)
	v_fmac_f32_e32 v131, v133, v127
	v_fma_f32 v124, -v124, v131, v132
	s_delay_alu instid0(VALU_DEP_1) | instskip(NEXT) | instid1(VALU_DEP_1)
	v_div_fmas_f32 v124, v124, v127, v131
	v_div_fixup_f32 v124, v124, v125, 1.0
	s_delay_alu instid0(VALU_DEP_1)
	v_mul_f32_e32 v126, v126, v124
	v_xor_b32_e32 v127, 0x80000000, v124
                                        ; implicit-def: $vgpr124_vgpr125
.LBB41_176:
	s_and_not1_saveexec_b32 s1, s1
	s_cbranch_execz .LBB41_178
; %bb.177:
	v_div_scale_f32 v126, null, v124, v124, v125
	v_div_scale_f32 v132, vcc_lo, v125, v124, v125
	s_delay_alu instid0(VALU_DEP_2) | instskip(SKIP_1) | instid1(TRANS32_DEP_1)
	v_rcp_f32_e32 v127, v126
	v_nop
	v_fma_f32 v131, -v126, v127, 1.0
	s_delay_alu instid0(VALU_DEP_1) | instskip(NEXT) | instid1(VALU_DEP_1)
	v_fmac_f32_e32 v127, v131, v127
	v_mul_f32_e32 v131, v132, v127
	s_delay_alu instid0(VALU_DEP_1) | instskip(NEXT) | instid1(VALU_DEP_1)
	v_fma_f32 v133, -v126, v131, v132
	v_fmac_f32_e32 v131, v133, v127
	s_delay_alu instid0(VALU_DEP_1) | instskip(NEXT) | instid1(VALU_DEP_1)
	v_fma_f32 v126, -v126, v131, v132
	v_div_fmas_f32 v126, v126, v127, v131
	s_delay_alu instid0(VALU_DEP_1) | instskip(NEXT) | instid1(VALU_DEP_1)
	v_div_fixup_f32 v127, v126, v124, v125
	v_fmac_f32_e32 v124, v125, v127
	s_delay_alu instid0(VALU_DEP_1) | instskip(NEXT) | instid1(VALU_DEP_1)
	v_div_scale_f32 v125, null, v124, v124, 1.0
	v_rcp_f32_e32 v126, v125
	v_nop
	s_delay_alu instid0(TRANS32_DEP_1) | instskip(NEXT) | instid1(VALU_DEP_1)
	v_fma_f32 v131, -v125, v126, 1.0
	v_fmac_f32_e32 v126, v131, v126
	v_div_scale_f32 v131, vcc_lo, 1.0, v124, 1.0
	s_delay_alu instid0(VALU_DEP_1) | instskip(NEXT) | instid1(VALU_DEP_1)
	v_mul_f32_e32 v132, v131, v126
	v_fma_f32 v133, -v125, v132, v131
	s_delay_alu instid0(VALU_DEP_1) | instskip(NEXT) | instid1(VALU_DEP_1)
	v_fmac_f32_e32 v132, v133, v126
	v_fma_f32 v125, -v125, v132, v131
	s_delay_alu instid0(VALU_DEP_1) | instskip(NEXT) | instid1(VALU_DEP_1)
	v_div_fmas_f32 v125, v125, v126, v132
	v_div_fixup_f32 v126, v125, v124, 1.0
	s_delay_alu instid0(VALU_DEP_1)
	v_mul_f32_e64 v127, v127, -v126
.LBB41_178:
	s_or_b32 exec_lo, exec_lo, s1
	ds_store_b64 v129, v[126:127]
.LBB41_179:
	s_or_b32 exec_lo, exec_lo, s2
	s_wait_dscnt 0x0
	s_barrier_signal -1
	s_barrier_wait -1
	ds_load_b64 v[124:125], v129
	s_mov_b32 s1, exec_lo
	v_cmpx_lt_u32_e32 19, v128
	s_cbranch_execz .LBB41_181
; %bb.180:
	ds_load_b64 v[126:127], v130 offset:160
	s_wait_dscnt 0x1
	v_pk_mul_f32 v[130:131], v[124:125], v[78:79] op_sel:[1,1] op_sel_hi:[0,1]
	s_delay_alu instid0(VALU_DEP_1) | instskip(SKIP_2) | instid1(VALU_DEP_2)
	v_pk_fma_f32 v[132:133], v[124:125], v[78:79], v[130:131] op_sel_hi:[1,0,1]
	v_pk_fma_f32 v[78:79], v[124:125], v[78:79], v[130:131] op_sel_hi:[1,0,1] neg_lo:[0,0,1] neg_hi:[0,0,1]
	s_wait_dscnt 0x0
	v_pk_mul_f32 v[130:131], v[126:127], v[132:133] op_sel:[1,1] op_sel_hi:[0,1]
	s_delay_alu instid0(VALU_DEP_1) | instskip(SKIP_1) | instid1(VALU_DEP_2)
	v_pk_fma_f32 v[134:135], v[126:127], v[78:79], v[130:131] op_sel_hi:[1,0,1]
	v_pk_fma_f32 v[126:127], v[126:127], v[78:79], v[130:131] neg_lo:[0,0,1] neg_hi:[0,0,1]
	v_dual_mov_b32 v79, v133 :: v_dual_mov_b32 v127, v135
	s_delay_alu instid0(VALU_DEP_1)
	v_pk_add_f32 v[84:85], v[84:85], v[126:127] neg_lo:[0,1] neg_hi:[0,1]
.LBB41_181:
	s_or_b32 exec_lo, exec_lo, s1
	s_delay_alu instid0(SALU_CYCLE_1)
	s_mov_b32 s2, exec_lo
	s_wait_dscnt 0x0
	s_barrier_signal -1
	s_barrier_wait -1
	v_cmpx_eq_u32_e32 20, v128
	s_cbranch_execz .LBB41_188
; %bb.182:
	v_cmp_neq_f32_e32 vcc_lo, 0, v84
	v_cmp_neq_f32_e64 s1, 0, v85
	ds_store_b64 v129, v[84:85]
	s_or_b32 s1, vcc_lo, s1
	s_delay_alu instid0(SALU_CYCLE_1)
	s_and_b32 exec_lo, exec_lo, s1
	s_cbranch_execz .LBB41_188
; %bb.183:
	v_cmp_ngt_f32_e64 s1, |v84|, |v85|
                                        ; implicit-def: $vgpr126_vgpr127
	s_and_saveexec_b32 s4, s1
	s_delay_alu instid0(SALU_CYCLE_1)
	s_xor_b32 s1, exec_lo, s4
	s_cbranch_execz .LBB41_185
; %bb.184:
	v_div_scale_f32 v126, null, v85, v85, v84
	v_div_scale_f32 v131, vcc_lo, v84, v85, v84
	s_delay_alu instid0(VALU_DEP_2) | instskip(SKIP_1) | instid1(TRANS32_DEP_1)
	v_rcp_f32_e32 v127, v126
	v_nop
	v_fma_f32 v130, -v126, v127, 1.0
	s_delay_alu instid0(VALU_DEP_1) | instskip(NEXT) | instid1(VALU_DEP_1)
	v_fmac_f32_e32 v127, v130, v127
	v_mul_f32_e32 v130, v131, v127
	s_delay_alu instid0(VALU_DEP_1) | instskip(NEXT) | instid1(VALU_DEP_1)
	v_fma_f32 v132, -v126, v130, v131
	v_fmac_f32_e32 v130, v132, v127
	s_delay_alu instid0(VALU_DEP_1) | instskip(NEXT) | instid1(VALU_DEP_1)
	v_fma_f32 v126, -v126, v130, v131
	v_div_fmas_f32 v126, v126, v127, v130
	s_delay_alu instid0(VALU_DEP_1) | instskip(NEXT) | instid1(VALU_DEP_1)
	v_div_fixup_f32 v126, v126, v85, v84
	v_fma_f32 v127, v84, v126, v85
	s_delay_alu instid0(VALU_DEP_1) | instskip(SKIP_1) | instid1(VALU_DEP_2)
	v_div_scale_f32 v130, null, v127, v127, 1.0
	v_div_scale_f32 v133, vcc_lo, 1.0, v127, 1.0
	v_rcp_f32_e32 v131, v130
	v_nop
	s_delay_alu instid0(TRANS32_DEP_1) | instskip(NEXT) | instid1(VALU_DEP_1)
	v_fma_f32 v132, -v130, v131, 1.0
	v_fmac_f32_e32 v131, v132, v131
	s_delay_alu instid0(VALU_DEP_1) | instskip(NEXT) | instid1(VALU_DEP_1)
	v_mul_f32_e32 v132, v133, v131
	v_fma_f32 v134, -v130, v132, v133
	s_delay_alu instid0(VALU_DEP_1) | instskip(NEXT) | instid1(VALU_DEP_1)
	v_fmac_f32_e32 v132, v134, v131
	v_fma_f32 v130, -v130, v132, v133
	s_delay_alu instid0(VALU_DEP_1) | instskip(NEXT) | instid1(VALU_DEP_1)
	v_div_fmas_f32 v130, v130, v131, v132
	v_div_fixup_f32 v127, v130, v127, 1.0
	s_delay_alu instid0(VALU_DEP_1)
	v_mul_f32_e32 v126, v126, v127
	v_xor_b32_e32 v127, 0x80000000, v127
.LBB41_185:
	s_and_not1_saveexec_b32 s1, s1
	s_cbranch_execz .LBB41_187
; %bb.186:
	v_div_scale_f32 v126, null, v84, v84, v85
	v_div_scale_f32 v131, vcc_lo, v85, v84, v85
	s_delay_alu instid0(VALU_DEP_2) | instskip(SKIP_1) | instid1(TRANS32_DEP_1)
	v_rcp_f32_e32 v127, v126
	v_nop
	v_fma_f32 v130, -v126, v127, 1.0
	s_delay_alu instid0(VALU_DEP_1) | instskip(NEXT) | instid1(VALU_DEP_1)
	v_fmac_f32_e32 v127, v130, v127
	v_mul_f32_e32 v130, v131, v127
	s_delay_alu instid0(VALU_DEP_1) | instskip(NEXT) | instid1(VALU_DEP_1)
	v_fma_f32 v132, -v126, v130, v131
	v_fmac_f32_e32 v130, v132, v127
	s_delay_alu instid0(VALU_DEP_1) | instskip(NEXT) | instid1(VALU_DEP_1)
	v_fma_f32 v126, -v126, v130, v131
	v_div_fmas_f32 v126, v126, v127, v130
	s_delay_alu instid0(VALU_DEP_1) | instskip(NEXT) | instid1(VALU_DEP_1)
	v_div_fixup_f32 v127, v126, v84, v85
	v_fma_f32 v126, v85, v127, v84
	s_delay_alu instid0(VALU_DEP_1) | instskip(NEXT) | instid1(VALU_DEP_1)
	v_div_scale_f32 v130, null, v126, v126, 1.0
	v_rcp_f32_e32 v131, v130
	v_nop
	s_delay_alu instid0(TRANS32_DEP_1) | instskip(NEXT) | instid1(VALU_DEP_1)
	v_fma_f32 v132, -v130, v131, 1.0
	v_fmac_f32_e32 v131, v132, v131
	v_div_scale_f32 v132, vcc_lo, 1.0, v126, 1.0
	s_delay_alu instid0(VALU_DEP_1) | instskip(NEXT) | instid1(VALU_DEP_1)
	v_mul_f32_e32 v133, v132, v131
	v_fma_f32 v134, -v130, v133, v132
	s_delay_alu instid0(VALU_DEP_1) | instskip(NEXT) | instid1(VALU_DEP_1)
	v_fmac_f32_e32 v133, v134, v131
	v_fma_f32 v130, -v130, v133, v132
	s_delay_alu instid0(VALU_DEP_1) | instskip(NEXT) | instid1(VALU_DEP_1)
	v_div_fmas_f32 v130, v130, v131, v133
	v_div_fixup_f32 v126, v130, v126, 1.0
	s_delay_alu instid0(VALU_DEP_1)
	v_mul_f32_e64 v127, v127, -v126
.LBB41_187:
	s_or_b32 exec_lo, exec_lo, s1
	ds_store_b64 v129, v[126:127]
.LBB41_188:
	s_or_b32 exec_lo, exec_lo, s2
	s_wait_dscnt 0x0
	s_barrier_signal -1
	s_barrier_wait -1
	ds_load_b64 v[126:127], v129
	s_wait_dscnt 0x0
	s_barrier_signal -1
	s_barrier_wait -1
	s_and_saveexec_b32 s4, s0
	s_cbranch_execz .LBB41_191
; %bb.189:
	v_lshl_add_u64 v[2:3], v[2:3], 2, s[6:7]
	v_cmp_eq_f32_e32 vcc_lo, 0, v86
	v_cmp_eq_f32_e64 s0, 0, v87
	v_cmp_neq_f32_e64 s1, 0, v88
	v_cmp_neq_f32_e64 s2, 0, v89
	global_load_b32 v129, v[2:3], off
	s_and_b32 s0, vcc_lo, s0
	s_delay_alu instid0(SALU_CYCLE_1) | instskip(SKIP_1) | instid1(SALU_CYCLE_1)
	v_cndmask_b32_e64 v86, 0, 1, s0
	s_or_b32 s1, s1, s2
	s_or_b32 vcc_lo, s1, s0
	v_cmp_eq_f32_e64 s0, 0, v91
	s_delay_alu instid0(VALU_DEP_2) | instskip(SKIP_1) | instid1(VALU_DEP_2)
	v_cndmask_b32_e32 v86, 2, v86, vcc_lo
	v_cmp_eq_f32_e32 vcc_lo, 0, v90
	v_cmp_eq_u32_e64 s1, 0, v86
	s_and_b32 s0, vcc_lo, s0
	v_cmp_eq_f32_e32 vcc_lo, 0, v92
	s_and_b32 s0, s0, s1
	s_delay_alu instid0(SALU_CYCLE_1) | instskip(SKIP_1) | instid1(VALU_DEP_2)
	v_cndmask_b32_e64 v86, v86, 3, s0
	v_cmp_eq_f32_e64 s0, 0, v93
	v_cmp_eq_u32_e64 s1, 0, v86
	s_and_b32 s0, vcc_lo, s0
	v_cmp_eq_f32_e32 vcc_lo, 0, v94
	s_and_b32 s0, s0, s1
	s_delay_alu instid0(SALU_CYCLE_1) | instskip(SKIP_1) | instid1(VALU_DEP_2)
	v_cndmask_b32_e64 v86, v86, 4, s0
	v_cmp_eq_f32_e64 s0, 0, v95
	;; [unrolled: 7-line block ×18, first 2 shown]
	v_cmp_eq_u32_e64 s1, 0, v86
	s_and_b32 s0, vcc_lo, s0
	s_delay_alu instid0(SALU_CYCLE_1) | instskip(NEXT) | instid1(SALU_CYCLE_1)
	s_and_b32 s0, s0, s1
	v_cndmask_b32_e64 v86, v86, 21, s0
	s_delay_alu instid0(VALU_DEP_1) | instskip(SKIP_3) | instid1(SALU_CYCLE_1)
	v_cmp_ne_u32_e64 s0, 0, v86
	s_wait_loadcnt 0x0
	v_cmp_eq_u32_e32 vcc_lo, 0, v129
	s_and_b32 s0, vcc_lo, s0
	s_and_b32 exec_lo, exec_lo, s0
	s_cbranch_execz .LBB41_191
; %bb.190:
	v_add_nc_u32_e32 v86, s3, v86
	global_store_b32 v[2:3], v86, off
.LBB41_191:
	s_wait_xcnt 0x0
	s_or_b32 exec_lo, exec_lo, s4
	v_pk_mul_f32 v[2:3], v[126:127], v[84:85] op_sel:[1,1] op_sel_hi:[0,1]
	s_clause 0x1
	global_store_b64 v[18:19], v[56:57], off
	global_store_b64 v[30:31], v[58:59], off
	v_cmp_lt_u32_e32 vcc_lo, 20, v128
	s_clause 0x2
	global_store_b64 v[0:1], v[44:45], off
	global_store_b64 v[8:9], v[42:43], off
	;; [unrolled: 1-line block ×3, first 2 shown]
	s_wait_xcnt 0x4
	v_pk_fma_f32 v[18:19], v[126:127], v[84:85], v[2:3] op_sel_hi:[1,0,1]
	v_pk_fma_f32 v[2:3], v[126:127], v[84:85], v[2:3] neg_lo:[0,0,1] neg_hi:[0,0,1]
	s_wait_xcnt 0x2
	s_delay_alu instid0(VALU_DEP_1)
	v_dual_cndmask_b32 v1, v85, v19 :: v_dual_cndmask_b32 v0, v84, v2
	s_clause 0xf
	global_store_b64 v[4:5], v[24:25], off
	global_store_b64 v[6:7], v[26:27], off
	;; [unrolled: 1-line block ×16, first 2 shown]
.LBB41_192:
	s_sendmsg sendmsg(MSG_DEALLOC_VGPRS)
	s_endpgm
	.section	.rodata,"a",@progbits
	.p2align	6, 0x0
	.amdhsa_kernel _ZN9rocsolver6v33100L23getf2_npvt_small_kernelILi21E19rocblas_complex_numIfEiiPS3_EEvT1_T3_lS5_lPT2_S5_S5_
		.amdhsa_group_segment_fixed_size 0
		.amdhsa_private_segment_fixed_size 0
		.amdhsa_kernarg_size 312
		.amdhsa_user_sgpr_count 2
		.amdhsa_user_sgpr_dispatch_ptr 0
		.amdhsa_user_sgpr_queue_ptr 0
		.amdhsa_user_sgpr_kernarg_segment_ptr 1
		.amdhsa_user_sgpr_dispatch_id 0
		.amdhsa_user_sgpr_kernarg_preload_length 0
		.amdhsa_user_sgpr_kernarg_preload_offset 0
		.amdhsa_user_sgpr_private_segment_size 0
		.amdhsa_wavefront_size32 1
		.amdhsa_uses_dynamic_stack 0
		.amdhsa_enable_private_segment 0
		.amdhsa_system_sgpr_workgroup_id_x 1
		.amdhsa_system_sgpr_workgroup_id_y 1
		.amdhsa_system_sgpr_workgroup_id_z 0
		.amdhsa_system_sgpr_workgroup_info 0
		.amdhsa_system_vgpr_workitem_id 1
		.amdhsa_next_free_vgpr 144
		.amdhsa_next_free_sgpr 15
		.amdhsa_named_barrier_count 0
		.amdhsa_reserve_vcc 1
		.amdhsa_float_round_mode_32 0
		.amdhsa_float_round_mode_16_64 0
		.amdhsa_float_denorm_mode_32 3
		.amdhsa_float_denorm_mode_16_64 3
		.amdhsa_fp16_overflow 0
		.amdhsa_memory_ordered 1
		.amdhsa_forward_progress 1
		.amdhsa_inst_pref_size 213
		.amdhsa_round_robin_scheduling 0
		.amdhsa_exception_fp_ieee_invalid_op 0
		.amdhsa_exception_fp_denorm_src 0
		.amdhsa_exception_fp_ieee_div_zero 0
		.amdhsa_exception_fp_ieee_overflow 0
		.amdhsa_exception_fp_ieee_underflow 0
		.amdhsa_exception_fp_ieee_inexact 0
		.amdhsa_exception_int_div_zero 0
	.end_amdhsa_kernel
	.section	.text._ZN9rocsolver6v33100L23getf2_npvt_small_kernelILi21E19rocblas_complex_numIfEiiPS3_EEvT1_T3_lS5_lPT2_S5_S5_,"axG",@progbits,_ZN9rocsolver6v33100L23getf2_npvt_small_kernelILi21E19rocblas_complex_numIfEiiPS3_EEvT1_T3_lS5_lPT2_S5_S5_,comdat
.Lfunc_end41:
	.size	_ZN9rocsolver6v33100L23getf2_npvt_small_kernelILi21E19rocblas_complex_numIfEiiPS3_EEvT1_T3_lS5_lPT2_S5_S5_, .Lfunc_end41-_ZN9rocsolver6v33100L23getf2_npvt_small_kernelILi21E19rocblas_complex_numIfEiiPS3_EEvT1_T3_lS5_lPT2_S5_S5_
                                        ; -- End function
	.set _ZN9rocsolver6v33100L23getf2_npvt_small_kernelILi21E19rocblas_complex_numIfEiiPS3_EEvT1_T3_lS5_lPT2_S5_S5_.num_vgpr, 144
	.set _ZN9rocsolver6v33100L23getf2_npvt_small_kernelILi21E19rocblas_complex_numIfEiiPS3_EEvT1_T3_lS5_lPT2_S5_S5_.num_agpr, 0
	.set _ZN9rocsolver6v33100L23getf2_npvt_small_kernelILi21E19rocblas_complex_numIfEiiPS3_EEvT1_T3_lS5_lPT2_S5_S5_.numbered_sgpr, 15
	.set _ZN9rocsolver6v33100L23getf2_npvt_small_kernelILi21E19rocblas_complex_numIfEiiPS3_EEvT1_T3_lS5_lPT2_S5_S5_.num_named_barrier, 0
	.set _ZN9rocsolver6v33100L23getf2_npvt_small_kernelILi21E19rocblas_complex_numIfEiiPS3_EEvT1_T3_lS5_lPT2_S5_S5_.private_seg_size, 0
	.set _ZN9rocsolver6v33100L23getf2_npvt_small_kernelILi21E19rocblas_complex_numIfEiiPS3_EEvT1_T3_lS5_lPT2_S5_S5_.uses_vcc, 1
	.set _ZN9rocsolver6v33100L23getf2_npvt_small_kernelILi21E19rocblas_complex_numIfEiiPS3_EEvT1_T3_lS5_lPT2_S5_S5_.uses_flat_scratch, 0
	.set _ZN9rocsolver6v33100L23getf2_npvt_small_kernelILi21E19rocblas_complex_numIfEiiPS3_EEvT1_T3_lS5_lPT2_S5_S5_.has_dyn_sized_stack, 0
	.set _ZN9rocsolver6v33100L23getf2_npvt_small_kernelILi21E19rocblas_complex_numIfEiiPS3_EEvT1_T3_lS5_lPT2_S5_S5_.has_recursion, 0
	.set _ZN9rocsolver6v33100L23getf2_npvt_small_kernelILi21E19rocblas_complex_numIfEiiPS3_EEvT1_T3_lS5_lPT2_S5_S5_.has_indirect_call, 0
	.section	.AMDGPU.csdata,"",@progbits
; Kernel info:
; codeLenInByte = 27188
; TotalNumSgprs: 17
; NumVgprs: 144
; ScratchSize: 0
; MemoryBound: 0
; FloatMode: 240
; IeeeMode: 1
; LDSByteSize: 0 bytes/workgroup (compile time only)
; SGPRBlocks: 0
; VGPRBlocks: 8
; NumSGPRsForWavesPerEU: 17
; NumVGPRsForWavesPerEU: 144
; NamedBarCnt: 0
; Occupancy: 7
; WaveLimiterHint : 0
; COMPUTE_PGM_RSRC2:SCRATCH_EN: 0
; COMPUTE_PGM_RSRC2:USER_SGPR: 2
; COMPUTE_PGM_RSRC2:TRAP_HANDLER: 0
; COMPUTE_PGM_RSRC2:TGID_X_EN: 1
; COMPUTE_PGM_RSRC2:TGID_Y_EN: 1
; COMPUTE_PGM_RSRC2:TGID_Z_EN: 0
; COMPUTE_PGM_RSRC2:TIDIG_COMP_CNT: 1
	.section	.text._ZN9rocsolver6v33100L18getf2_small_kernelILi22E19rocblas_complex_numIfEiiPS3_EEvT1_T3_lS5_lPS5_llPT2_S5_S5_S7_l,"axG",@progbits,_ZN9rocsolver6v33100L18getf2_small_kernelILi22E19rocblas_complex_numIfEiiPS3_EEvT1_T3_lS5_lPS5_llPT2_S5_S5_S7_l,comdat
	.globl	_ZN9rocsolver6v33100L18getf2_small_kernelILi22E19rocblas_complex_numIfEiiPS3_EEvT1_T3_lS5_lPS5_llPT2_S5_S5_S7_l ; -- Begin function _ZN9rocsolver6v33100L18getf2_small_kernelILi22E19rocblas_complex_numIfEiiPS3_EEvT1_T3_lS5_lPS5_llPT2_S5_S5_S7_l
	.p2align	8
	.type	_ZN9rocsolver6v33100L18getf2_small_kernelILi22E19rocblas_complex_numIfEiiPS3_EEvT1_T3_lS5_lPS5_llPT2_S5_S5_S7_l,@function
_ZN9rocsolver6v33100L18getf2_small_kernelILi22E19rocblas_complex_numIfEiiPS3_EEvT1_T3_lS5_lPS5_llPT2_S5_S5_S7_l: ; @_ZN9rocsolver6v33100L18getf2_small_kernelILi22E19rocblas_complex_numIfEiiPS3_EEvT1_T3_lS5_lPS5_llPT2_S5_S5_S7_l
; %bb.0:
	s_clause 0x1
	s_load_u16 s2, s[0:1], 0x6e
	s_load_b64 s[12:13], s[0:1], 0x48
	s_bfe_u32 s3, ttmp6, 0x40010
	s_bfe_u32 s4, ttmp6, 0x40004
	s_add_co_i32 s3, s3, 1
	s_getreg_b32 s5, hwreg(HW_REG_IB_STS2, 6, 4)
	s_mul_i32 s3, ttmp7, s3
	v_bfe_u32 v52, v0, 10, 10
	s_add_co_i32 s4, s4, s3
	s_cmp_eq_u32 s5, 0
	s_cselect_b32 s3, ttmp7, s4
	s_wait_kmcnt 0x0
	v_mad_u32 v2, s3, s2, v52
	s_mov_b32 s2, exec_lo
	s_delay_alu instid0(VALU_DEP_1)
	v_cmpx_gt_i32_e64 s12, v2
	s_cbranch_execz .LBB42_463
; %bb.1:
	s_load_b128 s[4:7], s[0:1], 0x50
	v_mov_b64_e32 v[34:35], 0
	v_ashrrev_i32_e32 v3, 31, v2
	s_wait_kmcnt 0x0
	s_cmp_eq_u64 s[4:5], 0
	s_cselect_b32 s12, -1, 0
	s_delay_alu instid0(SALU_CYCLE_1)
	s_and_b32 vcc_lo, exec_lo, s12
	s_cbranch_vccnz .LBB42_3
; %bb.2:
	v_mul_u64_e32 v[4:5], s[6:7], v[2:3]
	s_delay_alu instid0(VALU_DEP_1)
	v_lshl_add_u64 v[34:35], v[4:5], 2, s[4:5]
.LBB42_3:
	s_clause 0x1
	s_load_b32 s2, s[0:1], 0x18
	s_load_b256 s[4:11], s[0:1], 0x20
	v_and_b32_e32 v57, 0x3ff, v0
	s_clause 0x1
	s_load_b128 s[16:19], s[0:1], 0x8
	s_load_b32 s14, s[0:1], 0x0
	v_mov_b32_e32 v51, 0
	s_wait_kmcnt 0x0
	v_add3_u32 v4, s2, s2, v57
	v_mul_u64_e32 v[0:1], s[4:5], v[2:3]
	v_lshlrev_b32_e32 v50, 3, v57
	s_ashr_i32 s3, s2, 31
	s_max_i32 s4, s14, 22
	v_dual_add_nc_u32 v6, s2, v4 :: v_dual_ashrrev_i32 v5, 31, v4
	s_cmp_lt_i32 s14, 2
	s_delay_alu instid0(VALU_DEP_1) | instskip(NEXT) | instid1(VALU_DEP_1)
	v_add_nc_u32_e32 v8, s2, v6
	v_add_nc_u32_e32 v10, s2, v8
	s_delay_alu instid0(VALU_DEP_1) | instskip(NEXT) | instid1(VALU_DEP_1)
	v_add_nc_u32_e32 v12, s2, v10
	v_dual_ashrrev_i32 v7, 31, v6 :: v_dual_ashrrev_i32 v13, 31, v12
	v_add_nc_u32_e32 v14, s2, v12
	s_delay_alu instid0(VALU_DEP_1) | instskip(SKIP_2) | instid1(VALU_DEP_3)
	v_dual_ashrrev_i32 v9, 31, v8 :: v_dual_add_nc_u32 v16, s2, v14
	v_ashrrev_i32_e32 v11, 31, v10
	v_lshl_add_u64 v[0:1], v[0:1], 3, s[16:17]
	v_dual_add_nc_u32 v18, s2, v16 :: v_dual_ashrrev_i32 v17, 31, v16
	s_delay_alu instid0(VALU_DEP_2) | instskip(NEXT) | instid1(VALU_DEP_2)
	v_lshl_add_u64 v[0:1], s[18:19], 3, v[0:1]
	v_add_nc_u32_e32 v22, s2, v18
	s_delay_alu instid0(VALU_DEP_2) | instskip(SKIP_2) | instid1(VALU_DEP_4)
	v_add_nc_u64_e32 v[26:27], v[0:1], v[50:51]
	v_lshl_add_u64 v[10:11], v[10:11], 3, v[0:1]
	v_lshl_add_u64 v[36:37], v[8:9], 3, v[0:1]
	v_dual_add_nc_u32 v24, s2, v22 :: v_dual_ashrrev_i32 v23, 31, v22
	v_ashrrev_i32_e32 v15, 31, v14
	v_lshl_add_u64 v[12:13], v[12:13], 3, v[0:1]
	v_lshl_add_u64 v[28:29], v[4:5], 3, v[0:1]
	s_delay_alu instid0(VALU_DEP_4) | instskip(SKIP_3) | instid1(VALU_DEP_4)
	v_add_nc_u32_e32 v30, s2, v24
	v_lshl_add_u64 v[32:33], v[6:7], 3, v[0:1]
	v_lshl_add_u64 v[14:15], v[14:15], 3, v[0:1]
	;; [unrolled: 1-line block ×3, first 2 shown]
	v_dual_ashrrev_i32 v25, 31, v24 :: v_dual_add_nc_u32 v42, s2, v30
	s_clause 0x3
	global_load_b64 v[20:21], v[36:37], off
	global_load_b64 v[6:7], v[10:11], off
	;; [unrolled: 1-line block ×4, first 2 shown]
	s_wait_xcnt 0x2
	v_lshl_add_u64 v[10:11], v[22:23], 3, v[0:1]
	v_lshl_add_u64 v[16:17], v[16:17], 3, v[0:1]
	s_clause 0x3
	global_load_b64 v[38:39], v[44:45], off
	global_load_b64 v[40:41], v[28:29], off
	;; [unrolled: 1-line block ×4, first 2 shown]
	v_add_nc_u32_e32 v48, s2, v42
	v_ashrrev_i32_e32 v19, 31, v18
	s_wait_xcnt 0x5
	v_lshl_add_u64 v[12:13], v[24:25], 3, v[0:1]
	s_delay_alu instid0(VALU_DEP_3) | instskip(NEXT) | instid1(VALU_DEP_3)
	v_dual_ashrrev_i32 v31, 31, v30 :: v_dual_add_nc_u32 v54, s2, v48
	v_lshl_add_u64 v[18:19], v[18:19], 3, v[0:1]
	s_clause 0x3
	global_load_b64 v[44:45], v[16:17], off
	global_load_b64 v[26:27], v[18:19], off
	;; [unrolled: 1-line block ×4, first 2 shown]
	v_add_nc_u32_e32 v22, s2, v54
	s_wait_xcnt 0x2
	v_lshl_add_u64 v[18:19], v[30:31], 3, v[0:1]
	s_delay_alu instid0(VALU_DEP_2) | instskip(SKIP_1) | instid1(VALU_DEP_1)
	v_add_nc_u32_e32 v32, s2, v22
	s_wait_xcnt 0x1
	v_add_nc_u32_e32 v10, s2, v32
	v_dual_ashrrev_i32 v49, 31, v48 :: v_dual_ashrrev_i32 v23, 31, v22
	v_dual_ashrrev_i32 v55, 31, v54 :: v_dual_ashrrev_i32 v33, 31, v32
	s_delay_alu instid0(VALU_DEP_3) | instskip(NEXT) | instid1(VALU_DEP_3)
	v_dual_add_nc_u32 v30, s2, v10 :: v_dual_ashrrev_i32 v11, 31, v10
	v_lshl_add_u64 v[48:49], v[48:49], 3, v[0:1]
	s_delay_alu instid0(VALU_DEP_3) | instskip(NEXT) | instid1(VALU_DEP_3)
	v_lshl_add_u64 v[54:55], v[54:55], 3, v[0:1]
	v_add_nc_u32_e32 v60, s2, v30
	v_ashrrev_i32_e32 v43, 31, v42
	v_ashrrev_i32_e32 v31, 31, v30
	v_lshl_add_u64 v[62:63], v[10:11], 3, v[0:1]
	s_delay_alu instid0(VALU_DEP_4) | instskip(NEXT) | instid1(VALU_DEP_4)
	v_ashrrev_i32_e32 v61, 31, v60
	v_lshl_add_u64 v[58:59], v[42:43], 3, v[0:1]
	s_clause 0x3
	global_load_b64 v[42:43], v[18:19], off
	global_load_b64 v[14:15], v[58:59], off
	;; [unrolled: 1-line block ×4, first 2 shown]
	s_wait_xcnt 0x3
	v_add_nc_u32_e32 v18, s2, v60
	s_wait_xcnt 0x0
	v_lshl_add_u64 v[54:55], v[22:23], 3, v[0:1]
	v_lshl_add_u64 v[58:59], v[32:33], 3, v[0:1]
	;; [unrolled: 1-line block ×4, first 2 shown]
	v_ashrrev_i32_e32 v19, 31, v18
	s_delay_alu instid0(VALU_DEP_1)
	v_lshl_add_u64 v[66:67], v[18:19], 3, v[0:1]
	s_clause 0x5
	global_load_b64 v[32:33], v[54:55], off
	global_load_b64 v[10:11], v[58:59], off
	;; [unrolled: 1-line block ×6, first 2 shown]
	s_wait_xcnt 0x5
	v_mul_lo_u32 v55, s4, v52
	s_load_b64 s[4:5], s[0:1], 0x40
	s_delay_alu instid0(VALU_DEP_1) | instskip(NEXT) | instid1(VALU_DEP_1)
	v_lshl_add_u32 v54, v55, 3, 0
	v_dual_lshlrev_b32 v55, 3, v55 :: v_dual_add_nc_u32 v50, v54, v50
	s_wait_loadcnt 0xe
	ds_store_b64 v50, v[46:47]
	s_wait_loadcnt_dscnt 0x0
	s_barrier_signal -1
	s_barrier_wait -1
	ds_load_b64 v[52:53], v54
	s_cbranch_scc1 .LBB42_6
; %bb.4:
	v_add3_u32 v50, v55, 0, 8
	v_mov_b32_e32 v51, 0
	s_wait_xcnt 0x0
	s_mov_b32 s1, 1
.LBB42_5:                               ; =>This Inner Loop Header: Depth=1
	ds_load_b64 v[58:59], v50
	s_wait_dscnt 0x1
	v_cmp_gt_f32_e32 vcc_lo, 0, v52
	v_cmp_gt_f32_e64 s0, 0, v53
	s_delay_alu instid0(VALU_DEP_1) | instskip(SKIP_3) | instid1(VALU_DEP_1)
	v_dual_cndmask_b32 v60, v52, -v52, vcc_lo :: v_dual_cndmask_b32 v62, v53, -v53, s0
	s_wait_dscnt 0x0
	v_cmp_gt_f32_e32 vcc_lo, 0, v58
	v_cmp_gt_f32_e64 s0, 0, v59
	v_dual_cndmask_b32 v61, v58, -v58, vcc_lo :: v_dual_cndmask_b32 v63, v59, -v59, s0
	s_delay_alu instid0(VALU_DEP_1) | instskip(NEXT) | instid1(VALU_DEP_1)
	v_pk_add_f32 v[60:61], v[60:61], v[62:63]
	v_cmp_lt_f32_e32 vcc_lo, v60, v61
	v_dual_cndmask_b32 v53, v53, v59 :: v_dual_add_nc_u32 v50, 8, v50
	v_cndmask_b32_e32 v52, v52, v58, vcc_lo
	v_cndmask_b32_e64 v51, v51, s1, vcc_lo
	s_add_co_i32 s1, s1, 1
	s_delay_alu instid0(SALU_CYCLE_1)
	s_cmp_eq_u32 s14, s1
	s_cbranch_scc0 .LBB42_5
.LBB42_6:
	s_wait_dscnt 0x0
	v_cmp_neq_f32_e32 vcc_lo, 0, v52
	s_wait_xcnt 0x0
	v_cmp_neq_f32_e64 s0, 0, v53
	v_dual_mov_b32 v56, 1 :: v_dual_mov_b32 v59, 1
	s_or_b32 s1, vcc_lo, s0
	s_delay_alu instid0(SALU_CYCLE_1)
	s_and_saveexec_b32 s0, s1
	s_cbranch_execz .LBB42_12
; %bb.7:
	v_cmp_ngt_f32_e64 s1, |v52|, |v53|
	s_and_saveexec_b32 s15, s1
	s_delay_alu instid0(SALU_CYCLE_1)
	s_xor_b32 s1, exec_lo, s15
	s_cbranch_execz .LBB42_9
; %bb.8:
	v_div_scale_f32 v50, null, v53, v53, v52
	v_div_scale_f32 v59, vcc_lo, v52, v53, v52
	s_delay_alu instid0(VALU_DEP_2) | instskip(SKIP_1) | instid1(TRANS32_DEP_1)
	v_rcp_f32_e32 v56, v50
	v_nop
	v_fma_f32 v58, -v50, v56, 1.0
	s_delay_alu instid0(VALU_DEP_1) | instskip(NEXT) | instid1(VALU_DEP_1)
	v_fmac_f32_e32 v56, v58, v56
	v_mul_f32_e32 v58, v59, v56
	s_delay_alu instid0(VALU_DEP_1) | instskip(NEXT) | instid1(VALU_DEP_1)
	v_fma_f32 v60, -v50, v58, v59
	v_fmac_f32_e32 v58, v60, v56
	s_delay_alu instid0(VALU_DEP_1) | instskip(NEXT) | instid1(VALU_DEP_1)
	v_fma_f32 v50, -v50, v58, v59
	v_div_fmas_f32 v50, v50, v56, v58
	s_delay_alu instid0(VALU_DEP_1) | instskip(NEXT) | instid1(VALU_DEP_1)
	v_div_fixup_f32 v50, v50, v53, v52
	v_fmac_f32_e32 v53, v52, v50
	s_delay_alu instid0(VALU_DEP_1) | instskip(SKIP_1) | instid1(VALU_DEP_2)
	v_div_scale_f32 v52, null, v53, v53, 1.0
	v_div_scale_f32 v59, vcc_lo, 1.0, v53, 1.0
	v_rcp_f32_e32 v56, v52
	v_nop
	s_delay_alu instid0(TRANS32_DEP_1) | instskip(NEXT) | instid1(VALU_DEP_1)
	v_fma_f32 v58, -v52, v56, 1.0
	v_fmac_f32_e32 v56, v58, v56
	s_delay_alu instid0(VALU_DEP_1) | instskip(NEXT) | instid1(VALU_DEP_1)
	v_mul_f32_e32 v58, v59, v56
	v_fma_f32 v60, -v52, v58, v59
	s_delay_alu instid0(VALU_DEP_1) | instskip(NEXT) | instid1(VALU_DEP_1)
	v_fmac_f32_e32 v58, v60, v56
	v_fma_f32 v52, -v52, v58, v59
	s_delay_alu instid0(VALU_DEP_1) | instskip(NEXT) | instid1(VALU_DEP_1)
	v_div_fmas_f32 v52, v52, v56, v58
	v_div_fixup_f32 v53, v52, v53, 1.0
	s_delay_alu instid0(VALU_DEP_1)
	v_mul_f32_e32 v52, v50, v53
	v_xor_b32_e32 v53, 0x80000000, v53
.LBB42_9:
	s_and_not1_saveexec_b32 s1, s1
	s_cbranch_execz .LBB42_11
; %bb.10:
	s_delay_alu instid0(VALU_DEP_1) | instskip(SKIP_1) | instid1(VALU_DEP_2)
	v_div_scale_f32 v50, null, v52, v52, v53
	v_div_scale_f32 v59, vcc_lo, v53, v52, v53
	v_rcp_f32_e32 v56, v50
	v_nop
	s_delay_alu instid0(TRANS32_DEP_1) | instskip(NEXT) | instid1(VALU_DEP_1)
	v_fma_f32 v58, -v50, v56, 1.0
	v_fmac_f32_e32 v56, v58, v56
	s_delay_alu instid0(VALU_DEP_1) | instskip(NEXT) | instid1(VALU_DEP_1)
	v_mul_f32_e32 v58, v59, v56
	v_fma_f32 v60, -v50, v58, v59
	s_delay_alu instid0(VALU_DEP_1) | instskip(NEXT) | instid1(VALU_DEP_1)
	v_fmac_f32_e32 v58, v60, v56
	v_fma_f32 v50, -v50, v58, v59
	s_delay_alu instid0(VALU_DEP_1) | instskip(NEXT) | instid1(VALU_DEP_1)
	v_div_fmas_f32 v50, v50, v56, v58
	v_div_fixup_f32 v50, v50, v52, v53
	s_delay_alu instid0(VALU_DEP_1) | instskip(NEXT) | instid1(VALU_DEP_1)
	v_fmac_f32_e32 v52, v53, v50
	v_div_scale_f32 v53, null, v52, v52, 1.0
	s_delay_alu instid0(VALU_DEP_1) | instskip(SKIP_1) | instid1(TRANS32_DEP_1)
	v_rcp_f32_e32 v56, v53
	v_nop
	v_fma_f32 v58, -v53, v56, 1.0
	s_delay_alu instid0(VALU_DEP_1) | instskip(SKIP_1) | instid1(VALU_DEP_1)
	v_fmac_f32_e32 v56, v58, v56
	v_div_scale_f32 v58, vcc_lo, 1.0, v52, 1.0
	v_mul_f32_e32 v59, v58, v56
	s_delay_alu instid0(VALU_DEP_1) | instskip(NEXT) | instid1(VALU_DEP_1)
	v_fma_f32 v60, -v53, v59, v58
	v_fmac_f32_e32 v59, v60, v56
	s_delay_alu instid0(VALU_DEP_1) | instskip(NEXT) | instid1(VALU_DEP_1)
	v_fma_f32 v53, -v53, v59, v58
	v_div_fmas_f32 v53, v53, v56, v59
	s_delay_alu instid0(VALU_DEP_1) | instskip(NEXT) | instid1(VALU_DEP_1)
	v_div_fixup_f32 v52, v53, v52, 1.0
	v_mul_f32_e64 v53, v50, -v52
.LBB42_11:
	s_or_b32 exec_lo, exec_lo, s1
	v_dual_mov_b32 v59, 0 :: v_dual_mov_b32 v56, 2
.LBB42_12:
	s_or_b32 exec_lo, exec_lo, s0
	s_delay_alu instid0(SALU_CYCLE_1)
	s_mov_b32 s0, exec_lo
	v_cmpx_ne_u32_e64 v57, v51
	s_xor_b32 s0, exec_lo, s0
	s_cbranch_execz .LBB42_18
; %bb.13:
	s_mov_b32 s1, exec_lo
	v_cmpx_eq_u32_e32 0, v57
	s_cbranch_execz .LBB42_17
; %bb.14:
	v_cmp_ne_u32_e32 vcc_lo, 0, v51
	s_xor_b32 s15, s12, -1
	s_delay_alu instid0(SALU_CYCLE_1) | instskip(NEXT) | instid1(SALU_CYCLE_1)
	s_and_b32 s16, s15, vcc_lo
	s_and_saveexec_b32 s15, s16
	s_cbranch_execz .LBB42_16
; %bb.15:
	v_dual_mov_b32 v60, v51 :: v_dual_ashrrev_i32 v61, 31, v51
	s_delay_alu instid0(VALU_DEP_1)
	v_lshl_add_u64 v[60:61], v[60:61], 2, v[34:35]
	s_clause 0x1
	global_load_b32 v50, v[60:61], off
	global_load_b32 v57, v[34:35], off
	s_wait_loadcnt 0x1
	global_store_b32 v[34:35], v50, off
	s_wait_loadcnt 0x0
	global_store_b32 v[60:61], v57, off
.LBB42_16:
	s_wait_xcnt 0x0
	s_or_b32 exec_lo, exec_lo, s15
	v_mov_b32_e32 v57, v51
.LBB42_17:
	s_or_b32 exec_lo, exec_lo, s1
.LBB42_18:
	s_or_saveexec_b32 s0, s0
	s_delay_alu instid0(VALU_DEP_1)
	v_mov_b32_e32 v58, v57
	s_xor_b32 exec_lo, exec_lo, s0
	s_cbranch_execz .LBB42_20
; %bb.19:
	v_mov_b32_e32 v58, 0
	ds_store_2addr_b64 v54, v[38:39], v[40:41] offset0:1 offset1:2
	ds_store_2addr_b64 v54, v[36:37], v[20:21] offset0:3 offset1:4
	;; [unrolled: 1-line block ×10, first 2 shown]
	ds_store_b64 v54, v[48:49] offset:168
.LBB42_20:
	s_or_b32 exec_lo, exec_lo, s0
	s_delay_alu instid0(SALU_CYCLE_1)
	s_mov_b32 s0, exec_lo
	s_wait_storecnt_dscnt 0x0
	s_barrier_signal -1
	s_barrier_wait -1
	v_cmpx_lt_i32_e32 0, v58
	s_cbranch_execz .LBB42_22
; %bb.21:
	v_pk_mul_f32 v[60:61], v[52:53], v[46:47] op_sel:[1,1] op_sel_hi:[0,1]
	s_delay_alu instid0(VALU_DEP_1)
	v_pk_fma_f32 v[50:51], v[52:53], v[46:47], v[60:61] op_sel_hi:[1,0,1] neg_lo:[0,0,1] neg_hi:[0,0,1]
	v_pk_fma_f32 v[52:53], v[52:53], v[46:47], v[60:61] op_sel_hi:[1,0,1]
	ds_load_2addr_b64 v[60:63], v54 offset0:1 offset1:2
	v_dual_mov_b32 v46, v50 :: v_dual_mov_b32 v47, v53
	s_wait_dscnt 0x0
	v_pk_mul_f32 v[64:65], v[60:61], v[52:53] op_sel:[0,1]
	s_delay_alu instid0(VALU_DEP_1) | instskip(SKIP_1) | instid1(VALU_DEP_1)
	v_pk_fma_f32 v[66:67], v[60:61], v[50:51], v[64:65] op_sel:[0,0,1] op_sel_hi:[1,1,0] neg_lo:[0,0,1] neg_hi:[0,0,1]
	v_pk_fma_f32 v[60:61], v[60:61], v[50:51], v[64:65] op_sel:[0,0,1] op_sel_hi:[1,0,0]
	v_mov_b32_e32 v67, v61
	v_pk_mul_f32 v[60:61], v[62:63], v[52:53] op_sel:[0,1]
	s_delay_alu instid0(VALU_DEP_1) | instskip(SKIP_1) | instid1(VALU_DEP_1)
	v_pk_fma_f32 v[64:65], v[62:63], v[50:51], v[60:61] op_sel:[0,0,1] op_sel_hi:[1,1,0] neg_lo:[0,0,1] neg_hi:[0,0,1]
	v_pk_fma_f32 v[60:61], v[62:63], v[50:51], v[60:61] op_sel:[0,0,1] op_sel_hi:[1,0,0]
	v_mov_b32_e32 v65, v61
	ds_load_2addr_b64 v[60:63], v54 offset0:3 offset1:4
	v_pk_add_f32 v[38:39], v[38:39], v[66:67] neg_lo:[0,1] neg_hi:[0,1]
	v_pk_add_f32 v[40:41], v[40:41], v[64:65] neg_lo:[0,1] neg_hi:[0,1]
	s_wait_dscnt 0x0
	v_pk_mul_f32 v[64:65], v[60:61], v[52:53] op_sel:[0,1]
	s_delay_alu instid0(VALU_DEP_1) | instskip(SKIP_2) | instid1(VALU_DEP_2)
	v_pk_fma_f32 v[66:67], v[60:61], v[50:51], v[64:65] op_sel:[0,0,1] op_sel_hi:[1,1,0] neg_lo:[0,0,1] neg_hi:[0,0,1]
	v_pk_fma_f32 v[60:61], v[60:61], v[50:51], v[64:65] op_sel:[0,0,1] op_sel_hi:[1,0,0]
	v_dual_mul_f32 v64, v63, v53 :: v_dual_mov_b32 v60, v63
	v_dual_mov_b32 v67, v61 :: v_dual_mov_b32 v61, v62
	s_delay_alu instid0(VALU_DEP_2) | instskip(SKIP_1) | instid1(VALU_DEP_3)
	v_pk_fma_f32 v[64:65], v[62:63], v[46:47], v[64:65] op_sel_hi:[1,1,0] neg_lo:[0,0,1] neg_hi:[0,0,1]
	v_mul_f32_e32 v62, v63, v50
	v_pk_add_f32 v[36:37], v[36:37], v[66:67] neg_lo:[0,1] neg_hi:[0,1]
	s_delay_alu instid0(VALU_DEP_2) | instskip(NEXT) | instid1(VALU_DEP_1)
	v_pk_fma_f32 v[60:61], v[60:61], v[46:47], v[62:63] op_sel_hi:[1,1,0]
	v_mov_b32_e32 v65, v61
	ds_load_2addr_b64 v[60:63], v54 offset0:5 offset1:6
	v_pk_add_f32 v[20:21], v[20:21], v[64:65] neg_lo:[0,1] neg_hi:[0,1]
	s_wait_dscnt 0x0
	v_pk_mul_f32 v[64:65], v[60:61], v[52:53] op_sel:[0,1]
	s_delay_alu instid0(VALU_DEP_1) | instskip(SKIP_1) | instid1(VALU_DEP_1)
	v_pk_fma_f32 v[66:67], v[60:61], v[50:51], v[64:65] op_sel:[0,0,1] op_sel_hi:[1,1,0] neg_lo:[0,0,1] neg_hi:[0,0,1]
	v_pk_fma_f32 v[60:61], v[60:61], v[50:51], v[64:65] op_sel:[0,0,1] op_sel_hi:[1,0,0]
	v_mov_b32_e32 v67, v61
	v_pk_mul_f32 v[60:61], v[62:63], v[52:53] op_sel:[0,1]
	s_delay_alu instid0(VALU_DEP_1) | instskip(SKIP_1) | instid1(VALU_DEP_1)
	v_pk_fma_f32 v[64:65], v[62:63], v[50:51], v[60:61] op_sel:[0,0,1] op_sel_hi:[1,1,0] neg_lo:[0,0,1] neg_hi:[0,0,1]
	v_pk_fma_f32 v[60:61], v[62:63], v[50:51], v[60:61] op_sel:[0,0,1] op_sel_hi:[1,0,0]
	v_mov_b32_e32 v65, v61
	ds_load_2addr_b64 v[60:63], v54 offset0:7 offset1:8
	v_pk_add_f32 v[6:7], v[6:7], v[66:67] neg_lo:[0,1] neg_hi:[0,1]
	v_pk_add_f32 v[8:9], v[8:9], v[64:65] neg_lo:[0,1] neg_hi:[0,1]
	s_wait_dscnt 0x0
	v_pk_mul_f32 v[64:65], v[60:61], v[52:53] op_sel:[0,1]
	s_delay_alu instid0(VALU_DEP_1) | instskip(SKIP_1) | instid1(VALU_DEP_1)
	v_pk_fma_f32 v[66:67], v[60:61], v[50:51], v[64:65] op_sel:[0,0,1] op_sel_hi:[1,1,0] neg_lo:[0,0,1] neg_hi:[0,0,1]
	v_pk_fma_f32 v[60:61], v[60:61], v[50:51], v[64:65] op_sel:[0,0,1] op_sel_hi:[1,0,0]
	v_mov_b32_e32 v67, v61
	v_pk_mul_f32 v[60:61], v[62:63], v[52:53] op_sel:[0,1]
	s_delay_alu instid0(VALU_DEP_1) | instskip(SKIP_1) | instid1(VALU_DEP_1)
	v_pk_fma_f32 v[64:65], v[62:63], v[50:51], v[60:61] op_sel:[0,0,1] op_sel_hi:[1,1,0] neg_lo:[0,0,1] neg_hi:[0,0,1]
	v_pk_fma_f32 v[60:61], v[62:63], v[50:51], v[60:61] op_sel:[0,0,1] op_sel_hi:[1,0,0]
	v_mov_b32_e32 v65, v61
	ds_load_2addr_b64 v[60:63], v54 offset0:9 offset1:10
	v_pk_add_f32 v[4:5], v[4:5], v[66:67] neg_lo:[0,1] neg_hi:[0,1]
	v_pk_add_f32 v[44:45], v[44:45], v[64:65] neg_lo:[0,1] neg_hi:[0,1]
	s_wait_dscnt 0x0
	v_dual_mul_f32 v64, v61, v53 :: v_dual_mul_f32 v66, v61, v50
	s_delay_alu instid0(VALU_DEP_1) | instskip(NEXT) | instid1(VALU_DEP_2)
	v_pk_fma_f32 v[64:65], v[60:61], v[46:47], v[64:65] op_sel_hi:[1,1,0] neg_lo:[0,0,1] neg_hi:[0,0,1]
	v_pk_fma_f32 v[60:61], v[60:61], v[46:47], v[66:67] op_sel:[1,0,0] op_sel_hi:[0,1,0]
	s_delay_alu instid0(VALU_DEP_1) | instskip(SKIP_1) | instid1(VALU_DEP_2)
	v_mov_b32_e32 v65, v61
	v_pk_mul_f32 v[60:61], v[62:63], v[52:53] op_sel:[0,1]
	v_pk_add_f32 v[26:27], v[26:27], v[64:65] neg_lo:[0,1] neg_hi:[0,1]
	s_delay_alu instid0(VALU_DEP_2) | instskip(SKIP_1) | instid1(VALU_DEP_1)
	v_pk_fma_f32 v[64:65], v[62:63], v[50:51], v[60:61] op_sel:[0,0,1] op_sel_hi:[1,1,0] neg_lo:[0,0,1] neg_hi:[0,0,1]
	v_pk_fma_f32 v[60:61], v[62:63], v[50:51], v[60:61] op_sel:[0,0,1] op_sel_hi:[1,0,0]
	v_mov_b32_e32 v65, v61
	ds_load_2addr_b64 v[60:63], v54 offset0:11 offset1:12
	v_pk_add_f32 v[28:29], v[28:29], v[64:65] neg_lo:[0,1] neg_hi:[0,1]
	s_wait_dscnt 0x0
	v_pk_mul_f32 v[64:65], v[60:61], v[52:53] op_sel:[0,1]
	s_delay_alu instid0(VALU_DEP_1) | instskip(SKIP_1) | instid1(VALU_DEP_1)
	v_pk_fma_f32 v[66:67], v[60:61], v[50:51], v[64:65] op_sel:[0,0,1] op_sel_hi:[1,1,0] neg_lo:[0,0,1] neg_hi:[0,0,1]
	v_pk_fma_f32 v[60:61], v[60:61], v[50:51], v[64:65] op_sel:[0,0,1] op_sel_hi:[1,0,0]
	v_mov_b32_e32 v67, v61
	v_pk_mul_f32 v[60:61], v[62:63], v[52:53] op_sel:[0,1]
	s_delay_alu instid0(VALU_DEP_2) | instskip(NEXT) | instid1(VALU_DEP_2)
	v_pk_add_f32 v[24:25], v[24:25], v[66:67] neg_lo:[0,1] neg_hi:[0,1]
	v_pk_fma_f32 v[64:65], v[62:63], v[50:51], v[60:61] op_sel:[0,0,1] op_sel_hi:[1,1,0] neg_lo:[0,0,1] neg_hi:[0,0,1]
	v_pk_fma_f32 v[60:61], v[62:63], v[50:51], v[60:61] op_sel:[0,0,1] op_sel_hi:[1,0,0]
	s_delay_alu instid0(VALU_DEP_1) | instskip(SKIP_4) | instid1(VALU_DEP_1)
	v_mov_b32_e32 v65, v61
	ds_load_2addr_b64 v[60:63], v54 offset0:13 offset1:14
	v_pk_add_f32 v[42:43], v[42:43], v[64:65] neg_lo:[0,1] neg_hi:[0,1]
	s_wait_dscnt 0x0
	v_pk_mul_f32 v[64:65], v[60:61], v[52:53] op_sel:[0,1]
	v_pk_fma_f32 v[66:67], v[60:61], v[50:51], v[64:65] op_sel:[0,0,1] op_sel_hi:[1,1,0] neg_lo:[0,0,1] neg_hi:[0,0,1]
	v_pk_fma_f32 v[60:61], v[60:61], v[50:51], v[64:65] op_sel:[0,0,1] op_sel_hi:[1,0,0]
	v_dual_mul_f32 v64, v63, v53 :: v_dual_mov_b32 v60, v63
	s_delay_alu instid0(VALU_DEP_2) | instskip(NEXT) | instid1(VALU_DEP_2)
	v_dual_mov_b32 v67, v61 :: v_dual_mov_b32 v61, v62
	v_pk_fma_f32 v[64:65], v[62:63], v[46:47], v[64:65] op_sel_hi:[1,1,0] neg_lo:[0,0,1] neg_hi:[0,0,1]
	v_mul_f32_e32 v62, v63, v50
	s_delay_alu instid0(VALU_DEP_3) | instskip(NEXT) | instid1(VALU_DEP_2)
	v_pk_add_f32 v[14:15], v[14:15], v[66:67] neg_lo:[0,1] neg_hi:[0,1]
	v_pk_fma_f32 v[60:61], v[60:61], v[46:47], v[62:63] op_sel_hi:[1,1,0]
	s_delay_alu instid0(VALU_DEP_1) | instskip(SKIP_4) | instid1(VALU_DEP_1)
	v_mov_b32_e32 v65, v61
	ds_load_2addr_b64 v[60:63], v54 offset0:15 offset1:16
	v_pk_add_f32 v[16:17], v[16:17], v[64:65] neg_lo:[0,1] neg_hi:[0,1]
	s_wait_dscnt 0x0
	v_pk_mul_f32 v[64:65], v[60:61], v[52:53] op_sel:[0,1]
	v_pk_fma_f32 v[66:67], v[60:61], v[50:51], v[64:65] op_sel:[0,0,1] op_sel_hi:[1,1,0] neg_lo:[0,0,1] neg_hi:[0,0,1]
	v_pk_fma_f32 v[60:61], v[60:61], v[50:51], v[64:65] op_sel:[0,0,1] op_sel_hi:[1,0,0]
	s_delay_alu instid0(VALU_DEP_1) | instskip(SKIP_1) | instid1(VALU_DEP_1)
	v_mov_b32_e32 v67, v61
	v_pk_mul_f32 v[60:61], v[62:63], v[52:53] op_sel:[0,1]
	v_pk_fma_f32 v[64:65], v[62:63], v[50:51], v[60:61] op_sel:[0,0,1] op_sel_hi:[1,1,0] neg_lo:[0,0,1] neg_hi:[0,0,1]
	v_pk_fma_f32 v[60:61], v[62:63], v[50:51], v[60:61] op_sel:[0,0,1] op_sel_hi:[1,0,0]
	s_delay_alu instid0(VALU_DEP_1)
	v_mov_b32_e32 v65, v61
	ds_load_2addr_b64 v[60:63], v54 offset0:17 offset1:18
	v_pk_add_f32 v[12:13], v[12:13], v[66:67] neg_lo:[0,1] neg_hi:[0,1]
	v_pk_add_f32 v[32:33], v[32:33], v[64:65] neg_lo:[0,1] neg_hi:[0,1]
	s_wait_dscnt 0x0
	v_pk_mul_f32 v[64:65], v[60:61], v[52:53] op_sel:[0,1]
	s_delay_alu instid0(VALU_DEP_1) | instskip(SKIP_1) | instid1(VALU_DEP_1)
	v_pk_fma_f32 v[66:67], v[60:61], v[50:51], v[64:65] op_sel:[0,0,1] op_sel_hi:[1,1,0] neg_lo:[0,0,1] neg_hi:[0,0,1]
	v_pk_fma_f32 v[60:61], v[60:61], v[50:51], v[64:65] op_sel:[0,0,1] op_sel_hi:[1,0,0]
	v_mov_b32_e32 v67, v61
	v_pk_mul_f32 v[60:61], v[62:63], v[52:53] op_sel:[0,1]
	s_delay_alu instid0(VALU_DEP_1) | instskip(SKIP_1) | instid1(VALU_DEP_1)
	v_pk_fma_f32 v[64:65], v[62:63], v[50:51], v[60:61] op_sel:[0,0,1] op_sel_hi:[1,1,0] neg_lo:[0,0,1] neg_hi:[0,0,1]
	v_pk_fma_f32 v[60:61], v[62:63], v[50:51], v[60:61] op_sel:[0,0,1] op_sel_hi:[1,0,0]
	v_mov_b32_e32 v65, v61
	ds_load_2addr_b64 v[60:63], v54 offset0:19 offset1:20
	v_pk_add_f32 v[10:11], v[10:11], v[66:67] neg_lo:[0,1] neg_hi:[0,1]
	v_pk_add_f32 v[30:31], v[30:31], v[64:65] neg_lo:[0,1] neg_hi:[0,1]
	s_wait_dscnt 0x0
	v_dual_mul_f32 v64, v61, v53 :: v_dual_mul_f32 v66, v61, v50
	s_delay_alu instid0(VALU_DEP_1) | instskip(NEXT) | instid1(VALU_DEP_2)
	v_pk_fma_f32 v[64:65], v[60:61], v[46:47], v[64:65] op_sel_hi:[1,1,0] neg_lo:[0,0,1] neg_hi:[0,0,1]
	v_pk_fma_f32 v[60:61], v[60:61], v[46:47], v[66:67] op_sel:[1,0,0] op_sel_hi:[0,1,0]
	s_delay_alu instid0(VALU_DEP_1) | instskip(SKIP_1) | instid1(VALU_DEP_2)
	v_mov_b32_e32 v65, v61
	v_pk_mul_f32 v[60:61], v[62:63], v[52:53] op_sel:[0,1]
	v_pk_add_f32 v[22:23], v[22:23], v[64:65] neg_lo:[0,1] neg_hi:[0,1]
	s_delay_alu instid0(VALU_DEP_2) | instskip(SKIP_1) | instid1(VALU_DEP_1)
	v_pk_fma_f32 v[64:65], v[62:63], v[50:51], v[60:61] op_sel:[0,0,1] op_sel_hi:[1,1,0] neg_lo:[0,0,1] neg_hi:[0,0,1]
	v_pk_fma_f32 v[60:61], v[62:63], v[50:51], v[60:61] op_sel:[0,0,1] op_sel_hi:[1,0,0]
	v_mov_b32_e32 v65, v61
	ds_load_b64 v[60:61], v54 offset:168
	v_pk_add_f32 v[18:19], v[18:19], v[64:65] neg_lo:[0,1] neg_hi:[0,1]
	s_wait_dscnt 0x0
	v_pk_mul_f32 v[52:53], v[60:61], v[52:53] op_sel:[0,1]
	s_delay_alu instid0(VALU_DEP_1) | instskip(SKIP_1) | instid1(VALU_DEP_1)
	v_pk_fma_f32 v[62:63], v[60:61], v[50:51], v[52:53] op_sel:[0,0,1] op_sel_hi:[1,1,0] neg_lo:[0,0,1] neg_hi:[0,0,1]
	v_pk_fma_f32 v[50:51], v[60:61], v[50:51], v[52:53] op_sel:[0,0,1] op_sel_hi:[1,0,0]
	v_mov_b32_e32 v63, v51
	s_delay_alu instid0(VALU_DEP_1)
	v_pk_add_f32 v[48:49], v[48:49], v[62:63] neg_lo:[0,1] neg_hi:[0,1]
.LBB42_22:
	s_or_b32 exec_lo, exec_lo, s0
	v_lshl_add_u32 v50, v58, 3, v54
	s_barrier_signal -1
	s_barrier_wait -1
	ds_store_b64 v50, v[38:39]
	s_wait_dscnt 0x0
	s_barrier_signal -1
	s_barrier_wait -1
	ds_load_b64 v[52:53], v54 offset:8
	v_mov_b32_e32 v50, 1
	s_cmp_lt_i32 s14, 3
	s_cbranch_scc1 .LBB42_25
; %bb.23:
	v_add3_u32 v51, v55, 0, 16
	v_mov_b32_e32 v50, 1
	s_mov_b32 s0, 2
.LBB42_24:                              ; =>This Inner Loop Header: Depth=1
	ds_load_b64 v[60:61], v51
	s_wait_dscnt 0x1
	v_cmp_gt_f32_e32 vcc_lo, 0, v52
	v_cndmask_b32_e64 v62, v52, -v52, vcc_lo
	v_cmp_gt_f32_e32 vcc_lo, 0, v53
	v_cndmask_b32_e64 v64, v53, -v53, vcc_lo
	s_wait_dscnt 0x0
	v_cmp_gt_f32_e32 vcc_lo, 0, v60
	v_cndmask_b32_e64 v63, v60, -v60, vcc_lo
	v_cmp_gt_f32_e32 vcc_lo, 0, v61
	v_cndmask_b32_e64 v65, v61, -v61, vcc_lo
	s_delay_alu instid0(VALU_DEP_1) | instskip(NEXT) | instid1(VALU_DEP_1)
	v_pk_add_f32 v[62:63], v[62:63], v[64:65]
	v_cmp_lt_f32_e32 vcc_lo, v62, v63
	v_dual_add_nc_u32 v51, 8, v51 :: v_dual_cndmask_b32 v53, v53, v61, vcc_lo
	v_cndmask_b32_e32 v52, v52, v60, vcc_lo
	v_cndmask_b32_e64 v50, v50, s0, vcc_lo
	s_add_co_i32 s0, s0, 1
	s_delay_alu instid0(SALU_CYCLE_1)
	s_cmp_lg_u32 s14, s0
	s_cbranch_scc1 .LBB42_24
.LBB42_25:
	s_wait_dscnt 0x0
	v_cmp_neq_f32_e32 vcc_lo, 0, v52
	v_cmp_neq_f32_e64 s0, 0, v53
	s_or_b32 s1, vcc_lo, s0
	s_delay_alu instid0(SALU_CYCLE_1)
	s_and_saveexec_b32 s0, s1
	s_cbranch_execz .LBB42_31
; %bb.26:
	v_cmp_ngt_f32_e64 s1, |v52|, |v53|
	s_and_saveexec_b32 s15, s1
	s_delay_alu instid0(SALU_CYCLE_1)
	s_xor_b32 s1, exec_lo, s15
	s_cbranch_execz .LBB42_28
; %bb.27:
	v_div_scale_f32 v51, null, v53, v53, v52
	v_div_scale_f32 v61, vcc_lo, v52, v53, v52
	s_delay_alu instid0(VALU_DEP_2) | instskip(SKIP_1) | instid1(TRANS32_DEP_1)
	v_rcp_f32_e32 v56, v51
	v_nop
	v_fma_f32 v60, -v51, v56, 1.0
	s_delay_alu instid0(VALU_DEP_1) | instskip(NEXT) | instid1(VALU_DEP_1)
	v_fmac_f32_e32 v56, v60, v56
	v_mul_f32_e32 v60, v61, v56
	s_delay_alu instid0(VALU_DEP_1) | instskip(NEXT) | instid1(VALU_DEP_1)
	v_fma_f32 v62, -v51, v60, v61
	v_fmac_f32_e32 v60, v62, v56
	s_delay_alu instid0(VALU_DEP_1) | instskip(NEXT) | instid1(VALU_DEP_1)
	v_fma_f32 v51, -v51, v60, v61
	v_div_fmas_f32 v51, v51, v56, v60
	s_delay_alu instid0(VALU_DEP_1) | instskip(NEXT) | instid1(VALU_DEP_1)
	v_div_fixup_f32 v51, v51, v53, v52
	v_fmac_f32_e32 v53, v52, v51
	s_delay_alu instid0(VALU_DEP_1) | instskip(SKIP_1) | instid1(VALU_DEP_2)
	v_div_scale_f32 v52, null, v53, v53, 1.0
	v_div_scale_f32 v61, vcc_lo, 1.0, v53, 1.0
	v_rcp_f32_e32 v56, v52
	v_nop
	s_delay_alu instid0(TRANS32_DEP_1) | instskip(NEXT) | instid1(VALU_DEP_1)
	v_fma_f32 v60, -v52, v56, 1.0
	v_fmac_f32_e32 v56, v60, v56
	s_delay_alu instid0(VALU_DEP_1) | instskip(NEXT) | instid1(VALU_DEP_1)
	v_mul_f32_e32 v60, v61, v56
	v_fma_f32 v62, -v52, v60, v61
	s_delay_alu instid0(VALU_DEP_1) | instskip(NEXT) | instid1(VALU_DEP_1)
	v_fmac_f32_e32 v60, v62, v56
	v_fma_f32 v52, -v52, v60, v61
	s_delay_alu instid0(VALU_DEP_1) | instskip(NEXT) | instid1(VALU_DEP_1)
	v_div_fmas_f32 v52, v52, v56, v60
	v_div_fixup_f32 v53, v52, v53, 1.0
	s_delay_alu instid0(VALU_DEP_1)
	v_mul_f32_e32 v52, v51, v53
	v_xor_b32_e32 v53, 0x80000000, v53
.LBB42_28:
	s_and_not1_saveexec_b32 s1, s1
	s_cbranch_execz .LBB42_30
; %bb.29:
	s_delay_alu instid0(VALU_DEP_1) | instskip(SKIP_1) | instid1(VALU_DEP_2)
	v_div_scale_f32 v51, null, v52, v52, v53
	v_div_scale_f32 v61, vcc_lo, v53, v52, v53
	v_rcp_f32_e32 v56, v51
	v_nop
	s_delay_alu instid0(TRANS32_DEP_1) | instskip(NEXT) | instid1(VALU_DEP_1)
	v_fma_f32 v60, -v51, v56, 1.0
	v_fmac_f32_e32 v56, v60, v56
	s_delay_alu instid0(VALU_DEP_1) | instskip(NEXT) | instid1(VALU_DEP_1)
	v_mul_f32_e32 v60, v61, v56
	v_fma_f32 v62, -v51, v60, v61
	s_delay_alu instid0(VALU_DEP_1) | instskip(NEXT) | instid1(VALU_DEP_1)
	v_fmac_f32_e32 v60, v62, v56
	v_fma_f32 v51, -v51, v60, v61
	s_delay_alu instid0(VALU_DEP_1) | instskip(NEXT) | instid1(VALU_DEP_1)
	v_div_fmas_f32 v51, v51, v56, v60
	v_div_fixup_f32 v51, v51, v52, v53
	s_delay_alu instid0(VALU_DEP_1) | instskip(NEXT) | instid1(VALU_DEP_1)
	v_fmac_f32_e32 v52, v53, v51
	v_div_scale_f32 v53, null, v52, v52, 1.0
	s_delay_alu instid0(VALU_DEP_1) | instskip(SKIP_1) | instid1(TRANS32_DEP_1)
	v_rcp_f32_e32 v56, v53
	v_nop
	v_fma_f32 v60, -v53, v56, 1.0
	s_delay_alu instid0(VALU_DEP_1) | instskip(SKIP_1) | instid1(VALU_DEP_1)
	v_fmac_f32_e32 v56, v60, v56
	v_div_scale_f32 v60, vcc_lo, 1.0, v52, 1.0
	v_mul_f32_e32 v61, v60, v56
	s_delay_alu instid0(VALU_DEP_1) | instskip(NEXT) | instid1(VALU_DEP_1)
	v_fma_f32 v62, -v53, v61, v60
	v_fmac_f32_e32 v61, v62, v56
	s_delay_alu instid0(VALU_DEP_1) | instskip(NEXT) | instid1(VALU_DEP_1)
	v_fma_f32 v53, -v53, v61, v60
	v_div_fmas_f32 v53, v53, v56, v61
	s_delay_alu instid0(VALU_DEP_1) | instskip(NEXT) | instid1(VALU_DEP_1)
	v_div_fixup_f32 v52, v53, v52, 1.0
	v_mul_f32_e64 v53, v51, -v52
.LBB42_30:
	s_or_b32 exec_lo, exec_lo, s1
	v_mov_b32_e32 v56, v59
.LBB42_31:
	s_or_b32 exec_lo, exec_lo, s0
	s_delay_alu instid0(SALU_CYCLE_1)
	s_mov_b32 s0, exec_lo
	v_cmpx_ne_u32_e64 v58, v50
	s_xor_b32 s0, exec_lo, s0
	s_cbranch_execz .LBB42_37
; %bb.32:
	s_mov_b32 s1, exec_lo
	v_cmpx_eq_u32_e32 1, v58
	s_cbranch_execz .LBB42_36
; %bb.33:
	v_cmp_ne_u32_e32 vcc_lo, 1, v50
	s_xor_b32 s15, s12, -1
	s_delay_alu instid0(SALU_CYCLE_1) | instskip(NEXT) | instid1(SALU_CYCLE_1)
	s_and_b32 s16, s15, vcc_lo
	s_and_saveexec_b32 s15, s16
	s_cbranch_execz .LBB42_35
; %bb.34:
	v_ashrrev_i32_e32 v51, 31, v50
	s_delay_alu instid0(VALU_DEP_1)
	v_lshl_add_u64 v[58:59], v[50:51], 2, v[34:35]
	s_clause 0x1
	global_load_b32 v51, v[58:59], off
	global_load_b32 v57, v[34:35], off offset:4
	s_wait_loadcnt 0x1
	global_store_b32 v[34:35], v51, off offset:4
	s_wait_loadcnt 0x0
	global_store_b32 v[58:59], v57, off
.LBB42_35:
	s_wait_xcnt 0x0
	s_or_b32 exec_lo, exec_lo, s15
	v_dual_mov_b32 v58, v50 :: v_dual_mov_b32 v57, v50
.LBB42_36:
	s_or_b32 exec_lo, exec_lo, s1
.LBB42_37:
	s_and_not1_saveexec_b32 s0, s0
	s_cbranch_execz .LBB42_39
; %bb.38:
	v_dual_mov_b32 v50, v40 :: v_dual_mov_b32 v51, v41
	v_dual_mov_b32 v58, v36 :: v_dual_mov_b32 v59, v37
	;; [unrolled: 1-line block ×12, first 2 shown]
	ds_store_2addr_b64 v54, v[50:51], v[58:59] offset0:2 offset1:3
	ds_store_2addr_b64 v54, v[60:61], v[62:63] offset0:4 offset1:5
	ds_store_2addr_b64 v54, v[64:65], v[66:67] offset0:6 offset1:7
	ds_store_2addr_b64 v54, v[68:69], v[70:71] offset0:8 offset1:9
	ds_store_2addr_b64 v54, v[72:73], v[74:75] offset0:10 offset1:11
	ds_store_2addr_b64 v54, v[76:77], v[78:79] offset0:12 offset1:13
	v_dual_mov_b32 v50, v16 :: v_dual_mov_b32 v51, v17
	v_dual_mov_b32 v60, v12 :: v_dual_mov_b32 v61, v13
	;; [unrolled: 1-line block ×7, first 2 shown]
	v_mov_b32_e32 v71, v19
	ds_store_2addr_b64 v54, v[50:51], v[60:61] offset0:14 offset1:15
	ds_store_2addr_b64 v54, v[62:63], v[64:65] offset0:16 offset1:17
	;; [unrolled: 1-line block ×4, first 2 shown]
.LBB42_39:
	s_or_b32 exec_lo, exec_lo, s0
	s_delay_alu instid0(SALU_CYCLE_1)
	s_mov_b32 s0, exec_lo
	s_wait_storecnt_dscnt 0x0
	s_barrier_signal -1
	s_barrier_wait -1
	v_cmpx_lt_i32_e32 1, v58
	s_cbranch_execz .LBB42_41
; %bb.40:
	v_pk_mul_f32 v[60:61], v[52:53], v[38:39] op_sel:[1,1] op_sel_hi:[0,1]
	s_delay_alu instid0(VALU_DEP_1)
	v_pk_fma_f32 v[50:51], v[52:53], v[38:39], v[60:61] op_sel_hi:[1,0,1] neg_lo:[0,0,1] neg_hi:[0,0,1]
	v_pk_fma_f32 v[52:53], v[52:53], v[38:39], v[60:61] op_sel_hi:[1,0,1]
	ds_load_2addr_b64 v[60:63], v54 offset0:2 offset1:3
	v_dual_mov_b32 v38, v50 :: v_dual_mov_b32 v39, v53
	s_wait_dscnt 0x0
	v_pk_mul_f32 v[64:65], v[60:61], v[52:53] op_sel:[0,1]
	s_delay_alu instid0(VALU_DEP_1) | instskip(SKIP_1) | instid1(VALU_DEP_1)
	v_pk_fma_f32 v[66:67], v[60:61], v[50:51], v[64:65] op_sel:[0,0,1] op_sel_hi:[1,1,0] neg_lo:[0,0,1] neg_hi:[0,0,1]
	v_pk_fma_f32 v[60:61], v[60:61], v[50:51], v[64:65] op_sel:[0,0,1] op_sel_hi:[1,0,0]
	v_mov_b32_e32 v67, v61
	v_pk_mul_f32 v[60:61], v[62:63], v[52:53] op_sel:[0,1]
	s_delay_alu instid0(VALU_DEP_1) | instskip(SKIP_1) | instid1(VALU_DEP_1)
	v_pk_fma_f32 v[64:65], v[62:63], v[50:51], v[60:61] op_sel:[0,0,1] op_sel_hi:[1,1,0] neg_lo:[0,0,1] neg_hi:[0,0,1]
	v_pk_fma_f32 v[60:61], v[62:63], v[50:51], v[60:61] op_sel:[0,0,1] op_sel_hi:[1,0,0]
	v_mov_b32_e32 v65, v61
	ds_load_2addr_b64 v[60:63], v54 offset0:4 offset1:5
	v_pk_add_f32 v[40:41], v[40:41], v[66:67] neg_lo:[0,1] neg_hi:[0,1]
	v_pk_add_f32 v[36:37], v[36:37], v[64:65] neg_lo:[0,1] neg_hi:[0,1]
	s_wait_dscnt 0x0
	v_pk_mul_f32 v[64:65], v[60:61], v[52:53] op_sel:[0,1]
	s_delay_alu instid0(VALU_DEP_1) | instskip(SKIP_2) | instid1(VALU_DEP_2)
	v_pk_fma_f32 v[66:67], v[60:61], v[50:51], v[64:65] op_sel:[0,0,1] op_sel_hi:[1,1,0] neg_lo:[0,0,1] neg_hi:[0,0,1]
	v_pk_fma_f32 v[60:61], v[60:61], v[50:51], v[64:65] op_sel:[0,0,1] op_sel_hi:[1,0,0]
	v_dual_mul_f32 v64, v63, v53 :: v_dual_mov_b32 v60, v63
	v_dual_mov_b32 v67, v61 :: v_dual_mov_b32 v61, v62
	s_delay_alu instid0(VALU_DEP_2) | instskip(SKIP_1) | instid1(VALU_DEP_3)
	v_pk_fma_f32 v[64:65], v[62:63], v[38:39], v[64:65] op_sel_hi:[1,1,0] neg_lo:[0,0,1] neg_hi:[0,0,1]
	v_mul_f32_e32 v62, v63, v50
	v_pk_add_f32 v[20:21], v[20:21], v[66:67] neg_lo:[0,1] neg_hi:[0,1]
	s_delay_alu instid0(VALU_DEP_2) | instskip(NEXT) | instid1(VALU_DEP_1)
	v_pk_fma_f32 v[60:61], v[60:61], v[38:39], v[62:63] op_sel_hi:[1,1,0]
	v_mov_b32_e32 v65, v61
	ds_load_2addr_b64 v[60:63], v54 offset0:6 offset1:7
	v_pk_add_f32 v[6:7], v[6:7], v[64:65] neg_lo:[0,1] neg_hi:[0,1]
	s_wait_dscnt 0x0
	v_pk_mul_f32 v[64:65], v[60:61], v[52:53] op_sel:[0,1]
	s_delay_alu instid0(VALU_DEP_1) | instskip(SKIP_1) | instid1(VALU_DEP_1)
	v_pk_fma_f32 v[66:67], v[60:61], v[50:51], v[64:65] op_sel:[0,0,1] op_sel_hi:[1,1,0] neg_lo:[0,0,1] neg_hi:[0,0,1]
	v_pk_fma_f32 v[60:61], v[60:61], v[50:51], v[64:65] op_sel:[0,0,1] op_sel_hi:[1,0,0]
	v_mov_b32_e32 v67, v61
	v_pk_mul_f32 v[60:61], v[62:63], v[52:53] op_sel:[0,1]
	s_delay_alu instid0(VALU_DEP_1) | instskip(SKIP_1) | instid1(VALU_DEP_1)
	v_pk_fma_f32 v[64:65], v[62:63], v[50:51], v[60:61] op_sel:[0,0,1] op_sel_hi:[1,1,0] neg_lo:[0,0,1] neg_hi:[0,0,1]
	v_pk_fma_f32 v[60:61], v[62:63], v[50:51], v[60:61] op_sel:[0,0,1] op_sel_hi:[1,0,0]
	v_mov_b32_e32 v65, v61
	ds_load_2addr_b64 v[60:63], v54 offset0:8 offset1:9
	v_pk_add_f32 v[8:9], v[8:9], v[66:67] neg_lo:[0,1] neg_hi:[0,1]
	v_pk_add_f32 v[4:5], v[4:5], v[64:65] neg_lo:[0,1] neg_hi:[0,1]
	s_wait_dscnt 0x0
	v_pk_mul_f32 v[64:65], v[60:61], v[52:53] op_sel:[0,1]
	s_delay_alu instid0(VALU_DEP_1) | instskip(SKIP_1) | instid1(VALU_DEP_1)
	v_pk_fma_f32 v[66:67], v[60:61], v[50:51], v[64:65] op_sel:[0,0,1] op_sel_hi:[1,1,0] neg_lo:[0,0,1] neg_hi:[0,0,1]
	v_pk_fma_f32 v[60:61], v[60:61], v[50:51], v[64:65] op_sel:[0,0,1] op_sel_hi:[1,0,0]
	v_mov_b32_e32 v67, v61
	v_pk_mul_f32 v[60:61], v[62:63], v[52:53] op_sel:[0,1]
	s_delay_alu instid0(VALU_DEP_1) | instskip(SKIP_1) | instid1(VALU_DEP_1)
	v_pk_fma_f32 v[64:65], v[62:63], v[50:51], v[60:61] op_sel:[0,0,1] op_sel_hi:[1,1,0] neg_lo:[0,0,1] neg_hi:[0,0,1]
	v_pk_fma_f32 v[60:61], v[62:63], v[50:51], v[60:61] op_sel:[0,0,1] op_sel_hi:[1,0,0]
	v_mov_b32_e32 v65, v61
	ds_load_2addr_b64 v[60:63], v54 offset0:10 offset1:11
	v_pk_add_f32 v[44:45], v[44:45], v[66:67] neg_lo:[0,1] neg_hi:[0,1]
	v_pk_add_f32 v[26:27], v[26:27], v[64:65] neg_lo:[0,1] neg_hi:[0,1]
	s_wait_dscnt 0x0
	v_dual_mul_f32 v64, v61, v53 :: v_dual_mul_f32 v66, v61, v50
	s_delay_alu instid0(VALU_DEP_1) | instskip(NEXT) | instid1(VALU_DEP_2)
	v_pk_fma_f32 v[64:65], v[60:61], v[38:39], v[64:65] op_sel_hi:[1,1,0] neg_lo:[0,0,1] neg_hi:[0,0,1]
	v_pk_fma_f32 v[60:61], v[60:61], v[38:39], v[66:67] op_sel:[1,0,0] op_sel_hi:[0,1,0]
	s_delay_alu instid0(VALU_DEP_1) | instskip(SKIP_1) | instid1(VALU_DEP_2)
	v_mov_b32_e32 v65, v61
	v_pk_mul_f32 v[60:61], v[62:63], v[52:53] op_sel:[0,1]
	v_pk_add_f32 v[28:29], v[28:29], v[64:65] neg_lo:[0,1] neg_hi:[0,1]
	s_delay_alu instid0(VALU_DEP_2) | instskip(SKIP_1) | instid1(VALU_DEP_1)
	v_pk_fma_f32 v[64:65], v[62:63], v[50:51], v[60:61] op_sel:[0,0,1] op_sel_hi:[1,1,0] neg_lo:[0,0,1] neg_hi:[0,0,1]
	v_pk_fma_f32 v[60:61], v[62:63], v[50:51], v[60:61] op_sel:[0,0,1] op_sel_hi:[1,0,0]
	v_mov_b32_e32 v65, v61
	ds_load_2addr_b64 v[60:63], v54 offset0:12 offset1:13
	v_pk_add_f32 v[24:25], v[24:25], v[64:65] neg_lo:[0,1] neg_hi:[0,1]
	s_wait_dscnt 0x0
	v_pk_mul_f32 v[64:65], v[60:61], v[52:53] op_sel:[0,1]
	s_delay_alu instid0(VALU_DEP_1) | instskip(SKIP_1) | instid1(VALU_DEP_1)
	v_pk_fma_f32 v[66:67], v[60:61], v[50:51], v[64:65] op_sel:[0,0,1] op_sel_hi:[1,1,0] neg_lo:[0,0,1] neg_hi:[0,0,1]
	v_pk_fma_f32 v[60:61], v[60:61], v[50:51], v[64:65] op_sel:[0,0,1] op_sel_hi:[1,0,0]
	v_mov_b32_e32 v67, v61
	v_pk_mul_f32 v[60:61], v[62:63], v[52:53] op_sel:[0,1]
	s_delay_alu instid0(VALU_DEP_2) | instskip(NEXT) | instid1(VALU_DEP_2)
	v_pk_add_f32 v[42:43], v[42:43], v[66:67] neg_lo:[0,1] neg_hi:[0,1]
	v_pk_fma_f32 v[64:65], v[62:63], v[50:51], v[60:61] op_sel:[0,0,1] op_sel_hi:[1,1,0] neg_lo:[0,0,1] neg_hi:[0,0,1]
	v_pk_fma_f32 v[60:61], v[62:63], v[50:51], v[60:61] op_sel:[0,0,1] op_sel_hi:[1,0,0]
	s_delay_alu instid0(VALU_DEP_1) | instskip(SKIP_4) | instid1(VALU_DEP_1)
	v_mov_b32_e32 v65, v61
	ds_load_2addr_b64 v[60:63], v54 offset0:14 offset1:15
	v_pk_add_f32 v[14:15], v[14:15], v[64:65] neg_lo:[0,1] neg_hi:[0,1]
	s_wait_dscnt 0x0
	v_pk_mul_f32 v[64:65], v[60:61], v[52:53] op_sel:[0,1]
	v_pk_fma_f32 v[66:67], v[60:61], v[50:51], v[64:65] op_sel:[0,0,1] op_sel_hi:[1,1,0] neg_lo:[0,0,1] neg_hi:[0,0,1]
	v_pk_fma_f32 v[60:61], v[60:61], v[50:51], v[64:65] op_sel:[0,0,1] op_sel_hi:[1,0,0]
	v_dual_mul_f32 v64, v63, v53 :: v_dual_mov_b32 v60, v63
	s_delay_alu instid0(VALU_DEP_2) | instskip(NEXT) | instid1(VALU_DEP_2)
	v_dual_mov_b32 v67, v61 :: v_dual_mov_b32 v61, v62
	v_pk_fma_f32 v[64:65], v[62:63], v[38:39], v[64:65] op_sel_hi:[1,1,0] neg_lo:[0,0,1] neg_hi:[0,0,1]
	v_mul_f32_e32 v62, v63, v50
	s_delay_alu instid0(VALU_DEP_3) | instskip(NEXT) | instid1(VALU_DEP_2)
	v_pk_add_f32 v[16:17], v[16:17], v[66:67] neg_lo:[0,1] neg_hi:[0,1]
	v_pk_fma_f32 v[60:61], v[60:61], v[38:39], v[62:63] op_sel_hi:[1,1,0]
	s_delay_alu instid0(VALU_DEP_1) | instskip(SKIP_4) | instid1(VALU_DEP_1)
	v_mov_b32_e32 v65, v61
	ds_load_2addr_b64 v[60:63], v54 offset0:16 offset1:17
	v_pk_add_f32 v[12:13], v[12:13], v[64:65] neg_lo:[0,1] neg_hi:[0,1]
	s_wait_dscnt 0x0
	v_pk_mul_f32 v[64:65], v[60:61], v[52:53] op_sel:[0,1]
	v_pk_fma_f32 v[66:67], v[60:61], v[50:51], v[64:65] op_sel:[0,0,1] op_sel_hi:[1,1,0] neg_lo:[0,0,1] neg_hi:[0,0,1]
	v_pk_fma_f32 v[60:61], v[60:61], v[50:51], v[64:65] op_sel:[0,0,1] op_sel_hi:[1,0,0]
	s_delay_alu instid0(VALU_DEP_1) | instskip(SKIP_1) | instid1(VALU_DEP_1)
	v_mov_b32_e32 v67, v61
	v_pk_mul_f32 v[60:61], v[62:63], v[52:53] op_sel:[0,1]
	v_pk_fma_f32 v[64:65], v[62:63], v[50:51], v[60:61] op_sel:[0,0,1] op_sel_hi:[1,1,0] neg_lo:[0,0,1] neg_hi:[0,0,1]
	v_pk_fma_f32 v[60:61], v[62:63], v[50:51], v[60:61] op_sel:[0,0,1] op_sel_hi:[1,0,0]
	s_delay_alu instid0(VALU_DEP_1)
	v_mov_b32_e32 v65, v61
	ds_load_2addr_b64 v[60:63], v54 offset0:18 offset1:19
	v_pk_add_f32 v[32:33], v[32:33], v[66:67] neg_lo:[0,1] neg_hi:[0,1]
	v_pk_add_f32 v[10:11], v[10:11], v[64:65] neg_lo:[0,1] neg_hi:[0,1]
	s_wait_dscnt 0x0
	v_pk_mul_f32 v[64:65], v[60:61], v[52:53] op_sel:[0,1]
	s_delay_alu instid0(VALU_DEP_1) | instskip(SKIP_1) | instid1(VALU_DEP_1)
	v_pk_fma_f32 v[66:67], v[60:61], v[50:51], v[64:65] op_sel:[0,0,1] op_sel_hi:[1,1,0] neg_lo:[0,0,1] neg_hi:[0,0,1]
	v_pk_fma_f32 v[60:61], v[60:61], v[50:51], v[64:65] op_sel:[0,0,1] op_sel_hi:[1,0,0]
	v_mov_b32_e32 v67, v61
	v_pk_mul_f32 v[60:61], v[62:63], v[52:53] op_sel:[0,1]
	s_delay_alu instid0(VALU_DEP_1) | instskip(SKIP_1) | instid1(VALU_DEP_1)
	v_pk_fma_f32 v[64:65], v[62:63], v[50:51], v[60:61] op_sel:[0,0,1] op_sel_hi:[1,1,0] neg_lo:[0,0,1] neg_hi:[0,0,1]
	v_pk_fma_f32 v[60:61], v[62:63], v[50:51], v[60:61] op_sel:[0,0,1] op_sel_hi:[1,0,0]
	v_mov_b32_e32 v65, v61
	ds_load_2addr_b64 v[60:63], v54 offset0:20 offset1:21
	v_pk_add_f32 v[30:31], v[30:31], v[66:67] neg_lo:[0,1] neg_hi:[0,1]
	v_pk_add_f32 v[22:23], v[22:23], v[64:65] neg_lo:[0,1] neg_hi:[0,1]
	s_wait_dscnt 0x0
	v_dual_mul_f32 v64, v61, v53 :: v_dual_mul_f32 v66, v61, v50
	v_pk_mul_f32 v[52:53], v[62:63], v[52:53] op_sel:[0,1]
	s_delay_alu instid0(VALU_DEP_2) | instskip(NEXT) | instid1(VALU_DEP_3)
	v_pk_fma_f32 v[64:65], v[60:61], v[38:39], v[64:65] op_sel_hi:[1,1,0] neg_lo:[0,0,1] neg_hi:[0,0,1]
	v_pk_fma_f32 v[60:61], v[60:61], v[38:39], v[66:67] op_sel:[1,0,0] op_sel_hi:[0,1,0]
	s_delay_alu instid0(VALU_DEP_1) | instskip(NEXT) | instid1(VALU_DEP_4)
	v_mov_b32_e32 v65, v61
	v_pk_fma_f32 v[60:61], v[62:63], v[50:51], v[52:53] op_sel:[0,0,1] op_sel_hi:[1,1,0] neg_lo:[0,0,1] neg_hi:[0,0,1]
	v_pk_fma_f32 v[50:51], v[62:63], v[50:51], v[52:53] op_sel:[0,0,1] op_sel_hi:[1,0,0]
	s_delay_alu instid0(VALU_DEP_1) | instskip(NEXT) | instid1(VALU_DEP_4)
	v_mov_b32_e32 v61, v51
	v_pk_add_f32 v[18:19], v[18:19], v[64:65] neg_lo:[0,1] neg_hi:[0,1]
	s_delay_alu instid0(VALU_DEP_2)
	v_pk_add_f32 v[48:49], v[48:49], v[60:61] neg_lo:[0,1] neg_hi:[0,1]
.LBB42_41:
	s_or_b32 exec_lo, exec_lo, s0
	v_lshl_add_u32 v50, v58, 3, v54
	s_barrier_signal -1
	s_barrier_wait -1
	ds_store_b64 v50, v[40:41]
	s_wait_dscnt 0x0
	s_barrier_signal -1
	s_barrier_wait -1
	ds_load_b64 v[52:53], v54 offset:16
	v_mov_b32_e32 v50, 2
	s_cmp_lt_i32 s14, 4
	s_mov_b32 s0, 3
	s_cbranch_scc1 .LBB42_44
; %bb.42:
	v_add3_u32 v51, v55, 0, 24
	v_mov_b32_e32 v50, 2
.LBB42_43:                              ; =>This Inner Loop Header: Depth=1
	ds_load_b64 v[60:61], v51
	s_wait_dscnt 0x1
	v_cmp_gt_f32_e32 vcc_lo, 0, v52
	v_cndmask_b32_e64 v62, v52, -v52, vcc_lo
	v_cmp_gt_f32_e32 vcc_lo, 0, v53
	v_cndmask_b32_e64 v64, v53, -v53, vcc_lo
	s_wait_dscnt 0x0
	v_cmp_gt_f32_e32 vcc_lo, 0, v60
	v_cndmask_b32_e64 v63, v60, -v60, vcc_lo
	v_cmp_gt_f32_e32 vcc_lo, 0, v61
	v_cndmask_b32_e64 v65, v61, -v61, vcc_lo
	s_delay_alu instid0(VALU_DEP_1) | instskip(NEXT) | instid1(VALU_DEP_1)
	v_pk_add_f32 v[62:63], v[62:63], v[64:65]
	v_cmp_lt_f32_e32 vcc_lo, v62, v63
	v_dual_add_nc_u32 v51, 8, v51 :: v_dual_cndmask_b32 v53, v53, v61, vcc_lo
	v_cndmask_b32_e32 v52, v52, v60, vcc_lo
	v_cndmask_b32_e64 v50, v50, s0, vcc_lo
	s_add_co_i32 s0, s0, 1
	s_delay_alu instid0(SALU_CYCLE_1)
	s_cmp_lg_u32 s14, s0
	s_cbranch_scc1 .LBB42_43
.LBB42_44:
	s_wait_dscnt 0x0
	v_cmp_eq_f32_e32 vcc_lo, 0, v52
	v_cmp_eq_f32_e64 s0, 0, v53
	s_and_b32 s0, vcc_lo, s0
	s_delay_alu instid0(SALU_CYCLE_1) | instskip(NEXT) | instid1(SALU_CYCLE_1)
	s_and_saveexec_b32 s1, s0
	s_xor_b32 s0, exec_lo, s1
; %bb.45:
	v_cmp_ne_u32_e32 vcc_lo, 0, v56
	v_cndmask_b32_e32 v56, 3, v56, vcc_lo
; %bb.46:
	s_and_not1_saveexec_b32 s0, s0
	s_cbranch_execz .LBB42_52
; %bb.47:
	v_cmp_ngt_f32_e64 s1, |v52|, |v53|
	s_and_saveexec_b32 s15, s1
	s_delay_alu instid0(SALU_CYCLE_1)
	s_xor_b32 s1, exec_lo, s15
	s_cbranch_execz .LBB42_49
; %bb.48:
	v_div_scale_f32 v51, null, v53, v53, v52
	v_div_scale_f32 v61, vcc_lo, v52, v53, v52
	s_delay_alu instid0(VALU_DEP_2) | instskip(SKIP_1) | instid1(TRANS32_DEP_1)
	v_rcp_f32_e32 v59, v51
	v_nop
	v_fma_f32 v60, -v51, v59, 1.0
	s_delay_alu instid0(VALU_DEP_1) | instskip(NEXT) | instid1(VALU_DEP_1)
	v_fmac_f32_e32 v59, v60, v59
	v_mul_f32_e32 v60, v61, v59
	s_delay_alu instid0(VALU_DEP_1) | instskip(NEXT) | instid1(VALU_DEP_1)
	v_fma_f32 v62, -v51, v60, v61
	v_fmac_f32_e32 v60, v62, v59
	s_delay_alu instid0(VALU_DEP_1) | instskip(NEXT) | instid1(VALU_DEP_1)
	v_fma_f32 v51, -v51, v60, v61
	v_div_fmas_f32 v51, v51, v59, v60
	s_delay_alu instid0(VALU_DEP_1) | instskip(NEXT) | instid1(VALU_DEP_1)
	v_div_fixup_f32 v51, v51, v53, v52
	v_fmac_f32_e32 v53, v52, v51
	s_delay_alu instid0(VALU_DEP_1) | instskip(SKIP_1) | instid1(VALU_DEP_2)
	v_div_scale_f32 v52, null, v53, v53, 1.0
	v_div_scale_f32 v61, vcc_lo, 1.0, v53, 1.0
	v_rcp_f32_e32 v59, v52
	v_nop
	s_delay_alu instid0(TRANS32_DEP_1) | instskip(NEXT) | instid1(VALU_DEP_1)
	v_fma_f32 v60, -v52, v59, 1.0
	v_fmac_f32_e32 v59, v60, v59
	s_delay_alu instid0(VALU_DEP_1) | instskip(NEXT) | instid1(VALU_DEP_1)
	v_mul_f32_e32 v60, v61, v59
	v_fma_f32 v62, -v52, v60, v61
	s_delay_alu instid0(VALU_DEP_1) | instskip(NEXT) | instid1(VALU_DEP_1)
	v_fmac_f32_e32 v60, v62, v59
	v_fma_f32 v52, -v52, v60, v61
	s_delay_alu instid0(VALU_DEP_1) | instskip(NEXT) | instid1(VALU_DEP_1)
	v_div_fmas_f32 v52, v52, v59, v60
	v_div_fixup_f32 v53, v52, v53, 1.0
	s_delay_alu instid0(VALU_DEP_1)
	v_mul_f32_e32 v52, v51, v53
	v_xor_b32_e32 v53, 0x80000000, v53
.LBB42_49:
	s_and_not1_saveexec_b32 s1, s1
	s_cbranch_execz .LBB42_51
; %bb.50:
	s_delay_alu instid0(VALU_DEP_1) | instskip(SKIP_1) | instid1(VALU_DEP_2)
	v_div_scale_f32 v51, null, v52, v52, v53
	v_div_scale_f32 v61, vcc_lo, v53, v52, v53
	v_rcp_f32_e32 v59, v51
	v_nop
	s_delay_alu instid0(TRANS32_DEP_1) | instskip(NEXT) | instid1(VALU_DEP_1)
	v_fma_f32 v60, -v51, v59, 1.0
	v_fmac_f32_e32 v59, v60, v59
	s_delay_alu instid0(VALU_DEP_1) | instskip(NEXT) | instid1(VALU_DEP_1)
	v_mul_f32_e32 v60, v61, v59
	v_fma_f32 v62, -v51, v60, v61
	s_delay_alu instid0(VALU_DEP_1) | instskip(NEXT) | instid1(VALU_DEP_1)
	v_fmac_f32_e32 v60, v62, v59
	v_fma_f32 v51, -v51, v60, v61
	s_delay_alu instid0(VALU_DEP_1) | instskip(NEXT) | instid1(VALU_DEP_1)
	v_div_fmas_f32 v51, v51, v59, v60
	v_div_fixup_f32 v51, v51, v52, v53
	s_delay_alu instid0(VALU_DEP_1) | instskip(NEXT) | instid1(VALU_DEP_1)
	v_fmac_f32_e32 v52, v53, v51
	v_div_scale_f32 v53, null, v52, v52, 1.0
	s_delay_alu instid0(VALU_DEP_1) | instskip(SKIP_1) | instid1(TRANS32_DEP_1)
	v_rcp_f32_e32 v59, v53
	v_nop
	v_fma_f32 v60, -v53, v59, 1.0
	s_delay_alu instid0(VALU_DEP_1) | instskip(SKIP_1) | instid1(VALU_DEP_1)
	v_fmac_f32_e32 v59, v60, v59
	v_div_scale_f32 v60, vcc_lo, 1.0, v52, 1.0
	v_mul_f32_e32 v61, v60, v59
	s_delay_alu instid0(VALU_DEP_1) | instskip(NEXT) | instid1(VALU_DEP_1)
	v_fma_f32 v62, -v53, v61, v60
	v_fmac_f32_e32 v61, v62, v59
	s_delay_alu instid0(VALU_DEP_1) | instskip(NEXT) | instid1(VALU_DEP_1)
	v_fma_f32 v53, -v53, v61, v60
	v_div_fmas_f32 v53, v53, v59, v61
	s_delay_alu instid0(VALU_DEP_1) | instskip(NEXT) | instid1(VALU_DEP_1)
	v_div_fixup_f32 v52, v53, v52, 1.0
	v_mul_f32_e64 v53, v51, -v52
.LBB42_51:
	s_or_b32 exec_lo, exec_lo, s1
.LBB42_52:
	s_delay_alu instid0(SALU_CYCLE_1) | instskip(NEXT) | instid1(SALU_CYCLE_1)
	s_or_b32 exec_lo, exec_lo, s0
	s_mov_b32 s0, exec_lo
	v_cmpx_ne_u32_e64 v58, v50
	s_xor_b32 s0, exec_lo, s0
	s_cbranch_execz .LBB42_58
; %bb.53:
	s_mov_b32 s1, exec_lo
	v_cmpx_eq_u32_e32 2, v58
	s_cbranch_execz .LBB42_57
; %bb.54:
	v_cmp_ne_u32_e32 vcc_lo, 2, v50
	s_xor_b32 s15, s12, -1
	s_delay_alu instid0(SALU_CYCLE_1) | instskip(NEXT) | instid1(SALU_CYCLE_1)
	s_and_b32 s16, s15, vcc_lo
	s_and_saveexec_b32 s15, s16
	s_cbranch_execz .LBB42_56
; %bb.55:
	v_ashrrev_i32_e32 v51, 31, v50
	s_delay_alu instid0(VALU_DEP_1)
	v_lshl_add_u64 v[58:59], v[50:51], 2, v[34:35]
	s_clause 0x1
	global_load_b32 v51, v[58:59], off
	global_load_b32 v57, v[34:35], off offset:8
	s_wait_loadcnt 0x1
	global_store_b32 v[34:35], v51, off offset:8
	s_wait_loadcnt 0x0
	global_store_b32 v[58:59], v57, off
.LBB42_56:
	s_wait_xcnt 0x0
	s_or_b32 exec_lo, exec_lo, s15
	v_dual_mov_b32 v58, v50 :: v_dual_mov_b32 v57, v50
.LBB42_57:
	s_or_b32 exec_lo, exec_lo, s1
.LBB42_58:
	s_and_not1_saveexec_b32 s0, s0
	s_cbranch_execz .LBB42_60
; %bb.59:
	v_mov_b32_e32 v58, 2
	ds_store_2addr_b64 v54, v[36:37], v[20:21] offset0:3 offset1:4
	ds_store_2addr_b64 v54, v[6:7], v[8:9] offset0:5 offset1:6
	;; [unrolled: 1-line block ×9, first 2 shown]
	ds_store_b64 v54, v[48:49] offset:168
.LBB42_60:
	s_or_b32 exec_lo, exec_lo, s0
	s_delay_alu instid0(SALU_CYCLE_1)
	s_mov_b32 s0, exec_lo
	s_wait_storecnt_dscnt 0x0
	s_barrier_signal -1
	s_barrier_wait -1
	v_cmpx_lt_i32_e32 2, v58
	s_cbranch_execz .LBB42_62
; %bb.61:
	v_pk_mul_f32 v[60:61], v[52:53], v[40:41] op_sel:[1,1] op_sel_hi:[0,1]
	s_delay_alu instid0(VALU_DEP_1)
	v_pk_fma_f32 v[50:51], v[52:53], v[40:41], v[60:61] op_sel_hi:[1,0,1] neg_lo:[0,0,1] neg_hi:[0,0,1]
	v_pk_fma_f32 v[52:53], v[52:53], v[40:41], v[60:61] op_sel_hi:[1,0,1]
	ds_load_2addr_b64 v[60:63], v54 offset0:3 offset1:4
	v_dual_mov_b32 v40, v50 :: v_dual_mov_b32 v41, v53
	s_wait_dscnt 0x0
	v_pk_mul_f32 v[64:65], v[60:61], v[52:53] op_sel:[0,1]
	s_delay_alu instid0(VALU_DEP_1) | instskip(SKIP_1) | instid1(VALU_DEP_1)
	v_pk_fma_f32 v[66:67], v[60:61], v[50:51], v[64:65] op_sel:[0,0,1] op_sel_hi:[1,1,0] neg_lo:[0,0,1] neg_hi:[0,0,1]
	v_pk_fma_f32 v[60:61], v[60:61], v[50:51], v[64:65] op_sel:[0,0,1] op_sel_hi:[1,0,0]
	v_mov_b32_e32 v67, v61
	v_pk_mul_f32 v[60:61], v[62:63], v[52:53] op_sel:[0,1]
	s_delay_alu instid0(VALU_DEP_1) | instskip(SKIP_1) | instid1(VALU_DEP_1)
	v_pk_fma_f32 v[64:65], v[62:63], v[50:51], v[60:61] op_sel:[0,0,1] op_sel_hi:[1,1,0] neg_lo:[0,0,1] neg_hi:[0,0,1]
	v_pk_fma_f32 v[60:61], v[62:63], v[50:51], v[60:61] op_sel:[0,0,1] op_sel_hi:[1,0,0]
	v_mov_b32_e32 v65, v61
	ds_load_2addr_b64 v[60:63], v54 offset0:5 offset1:6
	v_pk_add_f32 v[36:37], v[36:37], v[66:67] neg_lo:[0,1] neg_hi:[0,1]
	v_pk_add_f32 v[20:21], v[20:21], v[64:65] neg_lo:[0,1] neg_hi:[0,1]
	s_wait_dscnt 0x0
	v_pk_mul_f32 v[64:65], v[60:61], v[52:53] op_sel:[0,1]
	s_delay_alu instid0(VALU_DEP_1) | instskip(SKIP_2) | instid1(VALU_DEP_2)
	v_pk_fma_f32 v[66:67], v[60:61], v[50:51], v[64:65] op_sel:[0,0,1] op_sel_hi:[1,1,0] neg_lo:[0,0,1] neg_hi:[0,0,1]
	v_pk_fma_f32 v[60:61], v[60:61], v[50:51], v[64:65] op_sel:[0,0,1] op_sel_hi:[1,0,0]
	v_dual_mul_f32 v64, v63, v53 :: v_dual_mov_b32 v60, v63
	v_dual_mov_b32 v67, v61 :: v_dual_mov_b32 v61, v62
	s_delay_alu instid0(VALU_DEP_2) | instskip(SKIP_1) | instid1(VALU_DEP_3)
	v_pk_fma_f32 v[64:65], v[62:63], v[40:41], v[64:65] op_sel_hi:[1,1,0] neg_lo:[0,0,1] neg_hi:[0,0,1]
	v_mul_f32_e32 v62, v63, v50
	v_pk_add_f32 v[6:7], v[6:7], v[66:67] neg_lo:[0,1] neg_hi:[0,1]
	s_delay_alu instid0(VALU_DEP_2) | instskip(NEXT) | instid1(VALU_DEP_1)
	v_pk_fma_f32 v[60:61], v[60:61], v[40:41], v[62:63] op_sel_hi:[1,1,0]
	v_mov_b32_e32 v65, v61
	ds_load_2addr_b64 v[60:63], v54 offset0:7 offset1:8
	v_pk_add_f32 v[8:9], v[8:9], v[64:65] neg_lo:[0,1] neg_hi:[0,1]
	s_wait_dscnt 0x0
	v_pk_mul_f32 v[64:65], v[60:61], v[52:53] op_sel:[0,1]
	s_delay_alu instid0(VALU_DEP_1) | instskip(SKIP_1) | instid1(VALU_DEP_1)
	v_pk_fma_f32 v[66:67], v[60:61], v[50:51], v[64:65] op_sel:[0,0,1] op_sel_hi:[1,1,0] neg_lo:[0,0,1] neg_hi:[0,0,1]
	v_pk_fma_f32 v[60:61], v[60:61], v[50:51], v[64:65] op_sel:[0,0,1] op_sel_hi:[1,0,0]
	v_mov_b32_e32 v67, v61
	v_pk_mul_f32 v[60:61], v[62:63], v[52:53] op_sel:[0,1]
	s_delay_alu instid0(VALU_DEP_1) | instskip(SKIP_1) | instid1(VALU_DEP_1)
	v_pk_fma_f32 v[64:65], v[62:63], v[50:51], v[60:61] op_sel:[0,0,1] op_sel_hi:[1,1,0] neg_lo:[0,0,1] neg_hi:[0,0,1]
	v_pk_fma_f32 v[60:61], v[62:63], v[50:51], v[60:61] op_sel:[0,0,1] op_sel_hi:[1,0,0]
	v_mov_b32_e32 v65, v61
	ds_load_2addr_b64 v[60:63], v54 offset0:9 offset1:10
	v_pk_add_f32 v[4:5], v[4:5], v[66:67] neg_lo:[0,1] neg_hi:[0,1]
	v_pk_add_f32 v[44:45], v[44:45], v[64:65] neg_lo:[0,1] neg_hi:[0,1]
	s_wait_dscnt 0x0
	v_pk_mul_f32 v[64:65], v[60:61], v[52:53] op_sel:[0,1]
	s_delay_alu instid0(VALU_DEP_1) | instskip(SKIP_1) | instid1(VALU_DEP_1)
	v_pk_fma_f32 v[66:67], v[60:61], v[50:51], v[64:65] op_sel:[0,0,1] op_sel_hi:[1,1,0] neg_lo:[0,0,1] neg_hi:[0,0,1]
	v_pk_fma_f32 v[60:61], v[60:61], v[50:51], v[64:65] op_sel:[0,0,1] op_sel_hi:[1,0,0]
	v_mov_b32_e32 v67, v61
	v_pk_mul_f32 v[60:61], v[62:63], v[52:53] op_sel:[0,1]
	s_delay_alu instid0(VALU_DEP_1) | instskip(SKIP_1) | instid1(VALU_DEP_1)
	v_pk_fma_f32 v[64:65], v[62:63], v[50:51], v[60:61] op_sel:[0,0,1] op_sel_hi:[1,1,0] neg_lo:[0,0,1] neg_hi:[0,0,1]
	v_pk_fma_f32 v[60:61], v[62:63], v[50:51], v[60:61] op_sel:[0,0,1] op_sel_hi:[1,0,0]
	v_mov_b32_e32 v65, v61
	ds_load_2addr_b64 v[60:63], v54 offset0:11 offset1:12
	v_pk_add_f32 v[26:27], v[26:27], v[66:67] neg_lo:[0,1] neg_hi:[0,1]
	v_pk_add_f32 v[28:29], v[28:29], v[64:65] neg_lo:[0,1] neg_hi:[0,1]
	s_wait_dscnt 0x0
	v_dual_mul_f32 v64, v61, v53 :: v_dual_mul_f32 v66, v61, v50
	s_delay_alu instid0(VALU_DEP_1) | instskip(NEXT) | instid1(VALU_DEP_2)
	v_pk_fma_f32 v[64:65], v[60:61], v[40:41], v[64:65] op_sel_hi:[1,1,0] neg_lo:[0,0,1] neg_hi:[0,0,1]
	v_pk_fma_f32 v[60:61], v[60:61], v[40:41], v[66:67] op_sel:[1,0,0] op_sel_hi:[0,1,0]
	s_delay_alu instid0(VALU_DEP_1) | instskip(SKIP_1) | instid1(VALU_DEP_2)
	v_mov_b32_e32 v65, v61
	v_pk_mul_f32 v[60:61], v[62:63], v[52:53] op_sel:[0,1]
	v_pk_add_f32 v[24:25], v[24:25], v[64:65] neg_lo:[0,1] neg_hi:[0,1]
	s_delay_alu instid0(VALU_DEP_2) | instskip(SKIP_1) | instid1(VALU_DEP_1)
	v_pk_fma_f32 v[64:65], v[62:63], v[50:51], v[60:61] op_sel:[0,0,1] op_sel_hi:[1,1,0] neg_lo:[0,0,1] neg_hi:[0,0,1]
	v_pk_fma_f32 v[60:61], v[62:63], v[50:51], v[60:61] op_sel:[0,0,1] op_sel_hi:[1,0,0]
	v_mov_b32_e32 v65, v61
	ds_load_2addr_b64 v[60:63], v54 offset0:13 offset1:14
	v_pk_add_f32 v[42:43], v[42:43], v[64:65] neg_lo:[0,1] neg_hi:[0,1]
	s_wait_dscnt 0x0
	v_pk_mul_f32 v[64:65], v[60:61], v[52:53] op_sel:[0,1]
	s_delay_alu instid0(VALU_DEP_1) | instskip(SKIP_1) | instid1(VALU_DEP_1)
	v_pk_fma_f32 v[66:67], v[60:61], v[50:51], v[64:65] op_sel:[0,0,1] op_sel_hi:[1,1,0] neg_lo:[0,0,1] neg_hi:[0,0,1]
	v_pk_fma_f32 v[60:61], v[60:61], v[50:51], v[64:65] op_sel:[0,0,1] op_sel_hi:[1,0,0]
	v_mov_b32_e32 v67, v61
	v_pk_mul_f32 v[60:61], v[62:63], v[52:53] op_sel:[0,1]
	s_delay_alu instid0(VALU_DEP_2) | instskip(NEXT) | instid1(VALU_DEP_2)
	v_pk_add_f32 v[14:15], v[14:15], v[66:67] neg_lo:[0,1] neg_hi:[0,1]
	v_pk_fma_f32 v[64:65], v[62:63], v[50:51], v[60:61] op_sel:[0,0,1] op_sel_hi:[1,1,0] neg_lo:[0,0,1] neg_hi:[0,0,1]
	v_pk_fma_f32 v[60:61], v[62:63], v[50:51], v[60:61] op_sel:[0,0,1] op_sel_hi:[1,0,0]
	s_delay_alu instid0(VALU_DEP_1) | instskip(SKIP_4) | instid1(VALU_DEP_1)
	v_mov_b32_e32 v65, v61
	ds_load_2addr_b64 v[60:63], v54 offset0:15 offset1:16
	v_pk_add_f32 v[16:17], v[16:17], v[64:65] neg_lo:[0,1] neg_hi:[0,1]
	s_wait_dscnt 0x0
	v_pk_mul_f32 v[64:65], v[60:61], v[52:53] op_sel:[0,1]
	v_pk_fma_f32 v[66:67], v[60:61], v[50:51], v[64:65] op_sel:[0,0,1] op_sel_hi:[1,1,0] neg_lo:[0,0,1] neg_hi:[0,0,1]
	v_pk_fma_f32 v[60:61], v[60:61], v[50:51], v[64:65] op_sel:[0,0,1] op_sel_hi:[1,0,0]
	v_dual_mul_f32 v64, v63, v53 :: v_dual_mov_b32 v60, v63
	s_delay_alu instid0(VALU_DEP_2) | instskip(NEXT) | instid1(VALU_DEP_2)
	v_dual_mov_b32 v67, v61 :: v_dual_mov_b32 v61, v62
	v_pk_fma_f32 v[64:65], v[62:63], v[40:41], v[64:65] op_sel_hi:[1,1,0] neg_lo:[0,0,1] neg_hi:[0,0,1]
	v_mul_f32_e32 v62, v63, v50
	s_delay_alu instid0(VALU_DEP_3) | instskip(NEXT) | instid1(VALU_DEP_2)
	v_pk_add_f32 v[12:13], v[12:13], v[66:67] neg_lo:[0,1] neg_hi:[0,1]
	v_pk_fma_f32 v[60:61], v[60:61], v[40:41], v[62:63] op_sel_hi:[1,1,0]
	s_delay_alu instid0(VALU_DEP_1) | instskip(SKIP_4) | instid1(VALU_DEP_1)
	v_mov_b32_e32 v65, v61
	ds_load_2addr_b64 v[60:63], v54 offset0:17 offset1:18
	v_pk_add_f32 v[32:33], v[32:33], v[64:65] neg_lo:[0,1] neg_hi:[0,1]
	s_wait_dscnt 0x0
	v_pk_mul_f32 v[64:65], v[60:61], v[52:53] op_sel:[0,1]
	v_pk_fma_f32 v[66:67], v[60:61], v[50:51], v[64:65] op_sel:[0,0,1] op_sel_hi:[1,1,0] neg_lo:[0,0,1] neg_hi:[0,0,1]
	v_pk_fma_f32 v[60:61], v[60:61], v[50:51], v[64:65] op_sel:[0,0,1] op_sel_hi:[1,0,0]
	s_delay_alu instid0(VALU_DEP_1) | instskip(SKIP_1) | instid1(VALU_DEP_1)
	v_mov_b32_e32 v67, v61
	v_pk_mul_f32 v[60:61], v[62:63], v[52:53] op_sel:[0,1]
	v_pk_fma_f32 v[64:65], v[62:63], v[50:51], v[60:61] op_sel:[0,0,1] op_sel_hi:[1,1,0] neg_lo:[0,0,1] neg_hi:[0,0,1]
	v_pk_fma_f32 v[60:61], v[62:63], v[50:51], v[60:61] op_sel:[0,0,1] op_sel_hi:[1,0,0]
	s_delay_alu instid0(VALU_DEP_1)
	v_mov_b32_e32 v65, v61
	ds_load_2addr_b64 v[60:63], v54 offset0:19 offset1:20
	v_pk_add_f32 v[10:11], v[10:11], v[66:67] neg_lo:[0,1] neg_hi:[0,1]
	v_pk_add_f32 v[30:31], v[30:31], v[64:65] neg_lo:[0,1] neg_hi:[0,1]
	s_wait_dscnt 0x0
	v_pk_mul_f32 v[64:65], v[60:61], v[52:53] op_sel:[0,1]
	s_delay_alu instid0(VALU_DEP_1) | instskip(SKIP_1) | instid1(VALU_DEP_1)
	v_pk_fma_f32 v[66:67], v[60:61], v[50:51], v[64:65] op_sel:[0,0,1] op_sel_hi:[1,1,0] neg_lo:[0,0,1] neg_hi:[0,0,1]
	v_pk_fma_f32 v[60:61], v[60:61], v[50:51], v[64:65] op_sel:[0,0,1] op_sel_hi:[1,0,0]
	v_mov_b32_e32 v67, v61
	v_pk_mul_f32 v[60:61], v[62:63], v[52:53] op_sel:[0,1]
	s_delay_alu instid0(VALU_DEP_1) | instskip(SKIP_1) | instid1(VALU_DEP_1)
	v_pk_fma_f32 v[64:65], v[62:63], v[50:51], v[60:61] op_sel:[0,0,1] op_sel_hi:[1,1,0] neg_lo:[0,0,1] neg_hi:[0,0,1]
	v_pk_fma_f32 v[60:61], v[62:63], v[50:51], v[60:61] op_sel:[0,0,1] op_sel_hi:[1,0,0]
	v_mov_b32_e32 v65, v61
	ds_load_b64 v[60:61], v54 offset:168
	v_pk_add_f32 v[22:23], v[22:23], v[66:67] neg_lo:[0,1] neg_hi:[0,1]
	v_pk_add_f32 v[18:19], v[18:19], v[64:65] neg_lo:[0,1] neg_hi:[0,1]
	s_wait_dscnt 0x0
	v_pk_mul_f32 v[52:53], v[60:61], v[52:53] op_sel:[0,1]
	s_delay_alu instid0(VALU_DEP_1) | instskip(SKIP_1) | instid1(VALU_DEP_1)
	v_pk_fma_f32 v[62:63], v[60:61], v[50:51], v[52:53] op_sel:[0,0,1] op_sel_hi:[1,1,0] neg_lo:[0,0,1] neg_hi:[0,0,1]
	v_pk_fma_f32 v[50:51], v[60:61], v[50:51], v[52:53] op_sel:[0,0,1] op_sel_hi:[1,0,0]
	v_mov_b32_e32 v63, v51
	s_delay_alu instid0(VALU_DEP_1)
	v_pk_add_f32 v[48:49], v[48:49], v[62:63] neg_lo:[0,1] neg_hi:[0,1]
.LBB42_62:
	s_or_b32 exec_lo, exec_lo, s0
	v_lshl_add_u32 v50, v58, 3, v54
	s_barrier_signal -1
	s_barrier_wait -1
	ds_store_b64 v50, v[36:37]
	s_wait_dscnt 0x0
	s_barrier_signal -1
	s_barrier_wait -1
	ds_load_b64 v[52:53], v54 offset:24
	v_mov_b32_e32 v50, 3
	s_cmp_lt_i32 s14, 5
	s_cbranch_scc1 .LBB42_65
; %bb.63:
	v_mov_b32_e32 v50, 3
	v_add3_u32 v51, v55, 0, 32
	s_mov_b32 s0, 4
.LBB42_64:                              ; =>This Inner Loop Header: Depth=1
	ds_load_b64 v[60:61], v51
	s_wait_dscnt 0x1
	v_cmp_gt_f32_e32 vcc_lo, 0, v52
	v_cndmask_b32_e64 v62, v52, -v52, vcc_lo
	v_cmp_gt_f32_e32 vcc_lo, 0, v53
	v_cndmask_b32_e64 v64, v53, -v53, vcc_lo
	s_wait_dscnt 0x0
	v_cmp_gt_f32_e32 vcc_lo, 0, v60
	v_cndmask_b32_e64 v63, v60, -v60, vcc_lo
	v_cmp_gt_f32_e32 vcc_lo, 0, v61
	v_cndmask_b32_e64 v65, v61, -v61, vcc_lo
	s_delay_alu instid0(VALU_DEP_1) | instskip(NEXT) | instid1(VALU_DEP_1)
	v_pk_add_f32 v[62:63], v[62:63], v[64:65]
	v_cmp_lt_f32_e32 vcc_lo, v62, v63
	v_dual_add_nc_u32 v51, 8, v51 :: v_dual_cndmask_b32 v53, v53, v61, vcc_lo
	v_cndmask_b32_e32 v52, v52, v60, vcc_lo
	v_cndmask_b32_e64 v50, v50, s0, vcc_lo
	s_add_co_i32 s0, s0, 1
	s_delay_alu instid0(SALU_CYCLE_1)
	s_cmp_lg_u32 s14, s0
	s_cbranch_scc1 .LBB42_64
.LBB42_65:
	s_wait_dscnt 0x0
	v_cmp_eq_f32_e32 vcc_lo, 0, v52
	v_cmp_eq_f32_e64 s0, 0, v53
	s_and_b32 s0, vcc_lo, s0
	s_delay_alu instid0(SALU_CYCLE_1) | instskip(NEXT) | instid1(SALU_CYCLE_1)
	s_and_saveexec_b32 s1, s0
	s_xor_b32 s0, exec_lo, s1
; %bb.66:
	v_cmp_ne_u32_e32 vcc_lo, 0, v56
	v_cndmask_b32_e32 v56, 4, v56, vcc_lo
; %bb.67:
	s_and_not1_saveexec_b32 s0, s0
	s_cbranch_execz .LBB42_73
; %bb.68:
	v_cmp_ngt_f32_e64 s1, |v52|, |v53|
	s_and_saveexec_b32 s15, s1
	s_delay_alu instid0(SALU_CYCLE_1)
	s_xor_b32 s1, exec_lo, s15
	s_cbranch_execz .LBB42_70
; %bb.69:
	v_div_scale_f32 v51, null, v53, v53, v52
	v_div_scale_f32 v61, vcc_lo, v52, v53, v52
	s_delay_alu instid0(VALU_DEP_2) | instskip(SKIP_1) | instid1(TRANS32_DEP_1)
	v_rcp_f32_e32 v59, v51
	v_nop
	v_fma_f32 v60, -v51, v59, 1.0
	s_delay_alu instid0(VALU_DEP_1) | instskip(NEXT) | instid1(VALU_DEP_1)
	v_fmac_f32_e32 v59, v60, v59
	v_mul_f32_e32 v60, v61, v59
	s_delay_alu instid0(VALU_DEP_1) | instskip(NEXT) | instid1(VALU_DEP_1)
	v_fma_f32 v62, -v51, v60, v61
	v_fmac_f32_e32 v60, v62, v59
	s_delay_alu instid0(VALU_DEP_1) | instskip(NEXT) | instid1(VALU_DEP_1)
	v_fma_f32 v51, -v51, v60, v61
	v_div_fmas_f32 v51, v51, v59, v60
	s_delay_alu instid0(VALU_DEP_1) | instskip(NEXT) | instid1(VALU_DEP_1)
	v_div_fixup_f32 v51, v51, v53, v52
	v_fmac_f32_e32 v53, v52, v51
	s_delay_alu instid0(VALU_DEP_1) | instskip(SKIP_1) | instid1(VALU_DEP_2)
	v_div_scale_f32 v52, null, v53, v53, 1.0
	v_div_scale_f32 v61, vcc_lo, 1.0, v53, 1.0
	v_rcp_f32_e32 v59, v52
	v_nop
	s_delay_alu instid0(TRANS32_DEP_1) | instskip(NEXT) | instid1(VALU_DEP_1)
	v_fma_f32 v60, -v52, v59, 1.0
	v_fmac_f32_e32 v59, v60, v59
	s_delay_alu instid0(VALU_DEP_1) | instskip(NEXT) | instid1(VALU_DEP_1)
	v_mul_f32_e32 v60, v61, v59
	v_fma_f32 v62, -v52, v60, v61
	s_delay_alu instid0(VALU_DEP_1) | instskip(NEXT) | instid1(VALU_DEP_1)
	v_fmac_f32_e32 v60, v62, v59
	v_fma_f32 v52, -v52, v60, v61
	s_delay_alu instid0(VALU_DEP_1) | instskip(NEXT) | instid1(VALU_DEP_1)
	v_div_fmas_f32 v52, v52, v59, v60
	v_div_fixup_f32 v53, v52, v53, 1.0
	s_delay_alu instid0(VALU_DEP_1)
	v_mul_f32_e32 v52, v51, v53
	v_xor_b32_e32 v53, 0x80000000, v53
.LBB42_70:
	s_and_not1_saveexec_b32 s1, s1
	s_cbranch_execz .LBB42_72
; %bb.71:
	s_delay_alu instid0(VALU_DEP_1) | instskip(SKIP_1) | instid1(VALU_DEP_2)
	v_div_scale_f32 v51, null, v52, v52, v53
	v_div_scale_f32 v61, vcc_lo, v53, v52, v53
	v_rcp_f32_e32 v59, v51
	v_nop
	s_delay_alu instid0(TRANS32_DEP_1) | instskip(NEXT) | instid1(VALU_DEP_1)
	v_fma_f32 v60, -v51, v59, 1.0
	v_fmac_f32_e32 v59, v60, v59
	s_delay_alu instid0(VALU_DEP_1) | instskip(NEXT) | instid1(VALU_DEP_1)
	v_mul_f32_e32 v60, v61, v59
	v_fma_f32 v62, -v51, v60, v61
	s_delay_alu instid0(VALU_DEP_1) | instskip(NEXT) | instid1(VALU_DEP_1)
	v_fmac_f32_e32 v60, v62, v59
	v_fma_f32 v51, -v51, v60, v61
	s_delay_alu instid0(VALU_DEP_1) | instskip(NEXT) | instid1(VALU_DEP_1)
	v_div_fmas_f32 v51, v51, v59, v60
	v_div_fixup_f32 v51, v51, v52, v53
	s_delay_alu instid0(VALU_DEP_1) | instskip(NEXT) | instid1(VALU_DEP_1)
	v_fmac_f32_e32 v52, v53, v51
	v_div_scale_f32 v53, null, v52, v52, 1.0
	s_delay_alu instid0(VALU_DEP_1) | instskip(SKIP_1) | instid1(TRANS32_DEP_1)
	v_rcp_f32_e32 v59, v53
	v_nop
	v_fma_f32 v60, -v53, v59, 1.0
	s_delay_alu instid0(VALU_DEP_1) | instskip(SKIP_1) | instid1(VALU_DEP_1)
	v_fmac_f32_e32 v59, v60, v59
	v_div_scale_f32 v60, vcc_lo, 1.0, v52, 1.0
	v_mul_f32_e32 v61, v60, v59
	s_delay_alu instid0(VALU_DEP_1) | instskip(NEXT) | instid1(VALU_DEP_1)
	v_fma_f32 v62, -v53, v61, v60
	v_fmac_f32_e32 v61, v62, v59
	s_delay_alu instid0(VALU_DEP_1) | instskip(NEXT) | instid1(VALU_DEP_1)
	v_fma_f32 v53, -v53, v61, v60
	v_div_fmas_f32 v53, v53, v59, v61
	s_delay_alu instid0(VALU_DEP_1) | instskip(NEXT) | instid1(VALU_DEP_1)
	v_div_fixup_f32 v52, v53, v52, 1.0
	v_mul_f32_e64 v53, v51, -v52
.LBB42_72:
	s_or_b32 exec_lo, exec_lo, s1
.LBB42_73:
	s_delay_alu instid0(SALU_CYCLE_1) | instskip(NEXT) | instid1(SALU_CYCLE_1)
	s_or_b32 exec_lo, exec_lo, s0
	s_mov_b32 s0, exec_lo
	v_cmpx_ne_u32_e64 v58, v50
	s_xor_b32 s0, exec_lo, s0
	s_cbranch_execz .LBB42_79
; %bb.74:
	s_mov_b32 s1, exec_lo
	v_cmpx_eq_u32_e32 3, v58
	s_cbranch_execz .LBB42_78
; %bb.75:
	v_cmp_ne_u32_e32 vcc_lo, 3, v50
	s_xor_b32 s15, s12, -1
	s_delay_alu instid0(SALU_CYCLE_1) | instskip(NEXT) | instid1(SALU_CYCLE_1)
	s_and_b32 s16, s15, vcc_lo
	s_and_saveexec_b32 s15, s16
	s_cbranch_execz .LBB42_77
; %bb.76:
	v_ashrrev_i32_e32 v51, 31, v50
	s_delay_alu instid0(VALU_DEP_1)
	v_lshl_add_u64 v[58:59], v[50:51], 2, v[34:35]
	s_clause 0x1
	global_load_b32 v51, v[58:59], off
	global_load_b32 v57, v[34:35], off offset:12
	s_wait_loadcnt 0x1
	global_store_b32 v[34:35], v51, off offset:12
	s_wait_loadcnt 0x0
	global_store_b32 v[58:59], v57, off
.LBB42_77:
	s_wait_xcnt 0x0
	s_or_b32 exec_lo, exec_lo, s15
	v_dual_mov_b32 v58, v50 :: v_dual_mov_b32 v57, v50
.LBB42_78:
	s_or_b32 exec_lo, exec_lo, s1
.LBB42_79:
	s_and_not1_saveexec_b32 s0, s0
	s_cbranch_execz .LBB42_81
; %bb.80:
	v_dual_mov_b32 v50, v20 :: v_dual_mov_b32 v51, v21
	v_dual_mov_b32 v58, v6 :: v_dual_mov_b32 v59, v7
	;; [unrolled: 1-line block ×8, first 2 shown]
	ds_store_2addr_b64 v54, v[50:51], v[58:59] offset0:4 offset1:5
	ds_store_2addr_b64 v54, v[60:61], v[62:63] offset0:6 offset1:7
	;; [unrolled: 1-line block ×4, first 2 shown]
	v_dual_mov_b32 v50, v42 :: v_dual_mov_b32 v51, v43
	v_dual_mov_b32 v60, v14 :: v_dual_mov_b32 v61, v15
	;; [unrolled: 1-line block ×9, first 2 shown]
	v_mov_b32_e32 v75, v19
	ds_store_2addr_b64 v54, v[50:51], v[60:61] offset0:12 offset1:13
	ds_store_2addr_b64 v54, v[62:63], v[64:65] offset0:14 offset1:15
	;; [unrolled: 1-line block ×5, first 2 shown]
.LBB42_81:
	s_or_b32 exec_lo, exec_lo, s0
	s_delay_alu instid0(SALU_CYCLE_1)
	s_mov_b32 s0, exec_lo
	s_wait_storecnt_dscnt 0x0
	s_barrier_signal -1
	s_barrier_wait -1
	v_cmpx_lt_i32_e32 3, v58
	s_cbranch_execz .LBB42_83
; %bb.82:
	v_pk_mul_f32 v[60:61], v[52:53], v[36:37] op_sel:[1,1] op_sel_hi:[0,1]
	s_delay_alu instid0(VALU_DEP_1)
	v_pk_fma_f32 v[50:51], v[52:53], v[36:37], v[60:61] op_sel_hi:[1,0,1] neg_lo:[0,0,1] neg_hi:[0,0,1]
	v_pk_fma_f32 v[52:53], v[52:53], v[36:37], v[60:61] op_sel_hi:[1,0,1]
	ds_load_2addr_b64 v[60:63], v54 offset0:4 offset1:5
	v_dual_mov_b32 v36, v50 :: v_dual_mov_b32 v37, v53
	s_wait_dscnt 0x0
	v_pk_mul_f32 v[64:65], v[60:61], v[52:53] op_sel:[0,1]
	s_delay_alu instid0(VALU_DEP_1) | instskip(SKIP_1) | instid1(VALU_DEP_1)
	v_pk_fma_f32 v[66:67], v[60:61], v[50:51], v[64:65] op_sel:[0,0,1] op_sel_hi:[1,1,0] neg_lo:[0,0,1] neg_hi:[0,0,1]
	v_pk_fma_f32 v[60:61], v[60:61], v[50:51], v[64:65] op_sel:[0,0,1] op_sel_hi:[1,0,0]
	v_mov_b32_e32 v67, v61
	v_pk_mul_f32 v[60:61], v[62:63], v[52:53] op_sel:[0,1]
	s_delay_alu instid0(VALU_DEP_1) | instskip(SKIP_1) | instid1(VALU_DEP_1)
	v_pk_fma_f32 v[64:65], v[62:63], v[50:51], v[60:61] op_sel:[0,0,1] op_sel_hi:[1,1,0] neg_lo:[0,0,1] neg_hi:[0,0,1]
	v_pk_fma_f32 v[60:61], v[62:63], v[50:51], v[60:61] op_sel:[0,0,1] op_sel_hi:[1,0,0]
	v_mov_b32_e32 v65, v61
	ds_load_2addr_b64 v[60:63], v54 offset0:6 offset1:7
	v_pk_add_f32 v[20:21], v[20:21], v[66:67] neg_lo:[0,1] neg_hi:[0,1]
	v_pk_add_f32 v[6:7], v[6:7], v[64:65] neg_lo:[0,1] neg_hi:[0,1]
	s_wait_dscnt 0x0
	v_pk_mul_f32 v[64:65], v[60:61], v[52:53] op_sel:[0,1]
	s_delay_alu instid0(VALU_DEP_1) | instskip(SKIP_2) | instid1(VALU_DEP_2)
	v_pk_fma_f32 v[66:67], v[60:61], v[50:51], v[64:65] op_sel:[0,0,1] op_sel_hi:[1,1,0] neg_lo:[0,0,1] neg_hi:[0,0,1]
	v_pk_fma_f32 v[60:61], v[60:61], v[50:51], v[64:65] op_sel:[0,0,1] op_sel_hi:[1,0,0]
	v_dual_mul_f32 v64, v63, v53 :: v_dual_mov_b32 v60, v63
	v_dual_mov_b32 v67, v61 :: v_dual_mov_b32 v61, v62
	s_delay_alu instid0(VALU_DEP_2) | instskip(SKIP_1) | instid1(VALU_DEP_3)
	v_pk_fma_f32 v[64:65], v[62:63], v[36:37], v[64:65] op_sel_hi:[1,1,0] neg_lo:[0,0,1] neg_hi:[0,0,1]
	v_mul_f32_e32 v62, v63, v50
	v_pk_add_f32 v[8:9], v[8:9], v[66:67] neg_lo:[0,1] neg_hi:[0,1]
	s_delay_alu instid0(VALU_DEP_2) | instskip(NEXT) | instid1(VALU_DEP_1)
	v_pk_fma_f32 v[60:61], v[60:61], v[36:37], v[62:63] op_sel_hi:[1,1,0]
	v_mov_b32_e32 v65, v61
	ds_load_2addr_b64 v[60:63], v54 offset0:8 offset1:9
	v_pk_add_f32 v[4:5], v[4:5], v[64:65] neg_lo:[0,1] neg_hi:[0,1]
	s_wait_dscnt 0x0
	v_pk_mul_f32 v[64:65], v[60:61], v[52:53] op_sel:[0,1]
	s_delay_alu instid0(VALU_DEP_1) | instskip(SKIP_1) | instid1(VALU_DEP_1)
	v_pk_fma_f32 v[66:67], v[60:61], v[50:51], v[64:65] op_sel:[0,0,1] op_sel_hi:[1,1,0] neg_lo:[0,0,1] neg_hi:[0,0,1]
	v_pk_fma_f32 v[60:61], v[60:61], v[50:51], v[64:65] op_sel:[0,0,1] op_sel_hi:[1,0,0]
	v_mov_b32_e32 v67, v61
	v_pk_mul_f32 v[60:61], v[62:63], v[52:53] op_sel:[0,1]
	s_delay_alu instid0(VALU_DEP_1) | instskip(SKIP_1) | instid1(VALU_DEP_1)
	v_pk_fma_f32 v[64:65], v[62:63], v[50:51], v[60:61] op_sel:[0,0,1] op_sel_hi:[1,1,0] neg_lo:[0,0,1] neg_hi:[0,0,1]
	v_pk_fma_f32 v[60:61], v[62:63], v[50:51], v[60:61] op_sel:[0,0,1] op_sel_hi:[1,0,0]
	v_mov_b32_e32 v65, v61
	ds_load_2addr_b64 v[60:63], v54 offset0:10 offset1:11
	v_pk_add_f32 v[44:45], v[44:45], v[66:67] neg_lo:[0,1] neg_hi:[0,1]
	v_pk_add_f32 v[26:27], v[26:27], v[64:65] neg_lo:[0,1] neg_hi:[0,1]
	s_wait_dscnt 0x0
	v_pk_mul_f32 v[64:65], v[60:61], v[52:53] op_sel:[0,1]
	s_delay_alu instid0(VALU_DEP_1) | instskip(SKIP_1) | instid1(VALU_DEP_1)
	v_pk_fma_f32 v[66:67], v[60:61], v[50:51], v[64:65] op_sel:[0,0,1] op_sel_hi:[1,1,0] neg_lo:[0,0,1] neg_hi:[0,0,1]
	v_pk_fma_f32 v[60:61], v[60:61], v[50:51], v[64:65] op_sel:[0,0,1] op_sel_hi:[1,0,0]
	v_mov_b32_e32 v67, v61
	v_pk_mul_f32 v[60:61], v[62:63], v[52:53] op_sel:[0,1]
	s_delay_alu instid0(VALU_DEP_1) | instskip(SKIP_1) | instid1(VALU_DEP_1)
	v_pk_fma_f32 v[64:65], v[62:63], v[50:51], v[60:61] op_sel:[0,0,1] op_sel_hi:[1,1,0] neg_lo:[0,0,1] neg_hi:[0,0,1]
	v_pk_fma_f32 v[60:61], v[62:63], v[50:51], v[60:61] op_sel:[0,0,1] op_sel_hi:[1,0,0]
	v_mov_b32_e32 v65, v61
	ds_load_2addr_b64 v[60:63], v54 offset0:12 offset1:13
	v_pk_add_f32 v[28:29], v[28:29], v[66:67] neg_lo:[0,1] neg_hi:[0,1]
	v_pk_add_f32 v[24:25], v[24:25], v[64:65] neg_lo:[0,1] neg_hi:[0,1]
	s_wait_dscnt 0x0
	v_dual_mul_f32 v64, v61, v53 :: v_dual_mul_f32 v66, v61, v50
	s_delay_alu instid0(VALU_DEP_1) | instskip(NEXT) | instid1(VALU_DEP_2)
	v_pk_fma_f32 v[64:65], v[60:61], v[36:37], v[64:65] op_sel_hi:[1,1,0] neg_lo:[0,0,1] neg_hi:[0,0,1]
	v_pk_fma_f32 v[60:61], v[60:61], v[36:37], v[66:67] op_sel:[1,0,0] op_sel_hi:[0,1,0]
	s_delay_alu instid0(VALU_DEP_1) | instskip(SKIP_1) | instid1(VALU_DEP_2)
	v_mov_b32_e32 v65, v61
	v_pk_mul_f32 v[60:61], v[62:63], v[52:53] op_sel:[0,1]
	v_pk_add_f32 v[42:43], v[42:43], v[64:65] neg_lo:[0,1] neg_hi:[0,1]
	s_delay_alu instid0(VALU_DEP_2) | instskip(SKIP_1) | instid1(VALU_DEP_1)
	v_pk_fma_f32 v[64:65], v[62:63], v[50:51], v[60:61] op_sel:[0,0,1] op_sel_hi:[1,1,0] neg_lo:[0,0,1] neg_hi:[0,0,1]
	v_pk_fma_f32 v[60:61], v[62:63], v[50:51], v[60:61] op_sel:[0,0,1] op_sel_hi:[1,0,0]
	v_mov_b32_e32 v65, v61
	ds_load_2addr_b64 v[60:63], v54 offset0:14 offset1:15
	v_pk_add_f32 v[14:15], v[14:15], v[64:65] neg_lo:[0,1] neg_hi:[0,1]
	s_wait_dscnt 0x0
	v_pk_mul_f32 v[64:65], v[60:61], v[52:53] op_sel:[0,1]
	s_delay_alu instid0(VALU_DEP_1) | instskip(SKIP_1) | instid1(VALU_DEP_1)
	v_pk_fma_f32 v[66:67], v[60:61], v[50:51], v[64:65] op_sel:[0,0,1] op_sel_hi:[1,1,0] neg_lo:[0,0,1] neg_hi:[0,0,1]
	v_pk_fma_f32 v[60:61], v[60:61], v[50:51], v[64:65] op_sel:[0,0,1] op_sel_hi:[1,0,0]
	v_mov_b32_e32 v67, v61
	v_pk_mul_f32 v[60:61], v[62:63], v[52:53] op_sel:[0,1]
	s_delay_alu instid0(VALU_DEP_2) | instskip(NEXT) | instid1(VALU_DEP_2)
	v_pk_add_f32 v[16:17], v[16:17], v[66:67] neg_lo:[0,1] neg_hi:[0,1]
	v_pk_fma_f32 v[64:65], v[62:63], v[50:51], v[60:61] op_sel:[0,0,1] op_sel_hi:[1,1,0] neg_lo:[0,0,1] neg_hi:[0,0,1]
	v_pk_fma_f32 v[60:61], v[62:63], v[50:51], v[60:61] op_sel:[0,0,1] op_sel_hi:[1,0,0]
	s_delay_alu instid0(VALU_DEP_1) | instskip(SKIP_4) | instid1(VALU_DEP_1)
	v_mov_b32_e32 v65, v61
	ds_load_2addr_b64 v[60:63], v54 offset0:16 offset1:17
	v_pk_add_f32 v[12:13], v[12:13], v[64:65] neg_lo:[0,1] neg_hi:[0,1]
	s_wait_dscnt 0x0
	v_pk_mul_f32 v[64:65], v[60:61], v[52:53] op_sel:[0,1]
	v_pk_fma_f32 v[66:67], v[60:61], v[50:51], v[64:65] op_sel:[0,0,1] op_sel_hi:[1,1,0] neg_lo:[0,0,1] neg_hi:[0,0,1]
	v_pk_fma_f32 v[60:61], v[60:61], v[50:51], v[64:65] op_sel:[0,0,1] op_sel_hi:[1,0,0]
	v_dual_mul_f32 v64, v63, v53 :: v_dual_mov_b32 v60, v63
	s_delay_alu instid0(VALU_DEP_2) | instskip(NEXT) | instid1(VALU_DEP_2)
	v_dual_mov_b32 v67, v61 :: v_dual_mov_b32 v61, v62
	v_pk_fma_f32 v[64:65], v[62:63], v[36:37], v[64:65] op_sel_hi:[1,1,0] neg_lo:[0,0,1] neg_hi:[0,0,1]
	v_mul_f32_e32 v62, v63, v50
	s_delay_alu instid0(VALU_DEP_3) | instskip(NEXT) | instid1(VALU_DEP_2)
	v_pk_add_f32 v[32:33], v[32:33], v[66:67] neg_lo:[0,1] neg_hi:[0,1]
	v_pk_fma_f32 v[60:61], v[60:61], v[36:37], v[62:63] op_sel_hi:[1,1,0]
	s_delay_alu instid0(VALU_DEP_1) | instskip(SKIP_4) | instid1(VALU_DEP_1)
	v_mov_b32_e32 v65, v61
	ds_load_2addr_b64 v[60:63], v54 offset0:18 offset1:19
	v_pk_add_f32 v[10:11], v[10:11], v[64:65] neg_lo:[0,1] neg_hi:[0,1]
	s_wait_dscnt 0x0
	v_pk_mul_f32 v[64:65], v[60:61], v[52:53] op_sel:[0,1]
	v_pk_fma_f32 v[66:67], v[60:61], v[50:51], v[64:65] op_sel:[0,0,1] op_sel_hi:[1,1,0] neg_lo:[0,0,1] neg_hi:[0,0,1]
	v_pk_fma_f32 v[60:61], v[60:61], v[50:51], v[64:65] op_sel:[0,0,1] op_sel_hi:[1,0,0]
	s_delay_alu instid0(VALU_DEP_1) | instskip(SKIP_1) | instid1(VALU_DEP_1)
	v_mov_b32_e32 v67, v61
	v_pk_mul_f32 v[60:61], v[62:63], v[52:53] op_sel:[0,1]
	v_pk_fma_f32 v[64:65], v[62:63], v[50:51], v[60:61] op_sel:[0,0,1] op_sel_hi:[1,1,0] neg_lo:[0,0,1] neg_hi:[0,0,1]
	v_pk_fma_f32 v[60:61], v[62:63], v[50:51], v[60:61] op_sel:[0,0,1] op_sel_hi:[1,0,0]
	s_delay_alu instid0(VALU_DEP_1)
	v_mov_b32_e32 v65, v61
	ds_load_2addr_b64 v[60:63], v54 offset0:20 offset1:21
	v_pk_add_f32 v[30:31], v[30:31], v[66:67] neg_lo:[0,1] neg_hi:[0,1]
	v_pk_add_f32 v[22:23], v[22:23], v[64:65] neg_lo:[0,1] neg_hi:[0,1]
	s_wait_dscnt 0x0
	v_pk_mul_f32 v[64:65], v[60:61], v[52:53] op_sel:[0,1]
	v_mul_f32_e32 v52, v63, v53
	s_delay_alu instid0(VALU_DEP_2) | instskip(SKIP_2) | instid1(VALU_DEP_4)
	v_pk_fma_f32 v[66:67], v[60:61], v[50:51], v[64:65] op_sel:[0,0,1] op_sel_hi:[1,1,0] neg_lo:[0,0,1] neg_hi:[0,0,1]
	v_pk_fma_f32 v[60:61], v[60:61], v[50:51], v[64:65] op_sel:[0,0,1] op_sel_hi:[1,0,0]
	v_dual_mov_b32 v60, v63 :: v_dual_mul_f32 v50, v63, v50
	v_pk_fma_f32 v[52:53], v[62:63], v[36:37], v[52:53] op_sel_hi:[1,1,0] neg_lo:[0,0,1] neg_hi:[0,0,1]
	s_delay_alu instid0(VALU_DEP_3) | instskip(NEXT) | instid1(VALU_DEP_1)
	v_dual_mov_b32 v67, v61 :: v_dual_mov_b32 v61, v62
	v_pk_add_f32 v[18:19], v[18:19], v[66:67] neg_lo:[0,1] neg_hi:[0,1]
	s_delay_alu instid0(VALU_DEP_2) | instskip(NEXT) | instid1(VALU_DEP_1)
	v_pk_fma_f32 v[50:51], v[60:61], v[36:37], v[50:51] op_sel_hi:[1,1,0]
	v_mov_b32_e32 v53, v51
	s_delay_alu instid0(VALU_DEP_1)
	v_pk_add_f32 v[48:49], v[48:49], v[52:53] neg_lo:[0,1] neg_hi:[0,1]
.LBB42_83:
	s_or_b32 exec_lo, exec_lo, s0
	v_lshl_add_u32 v50, v58, 3, v54
	s_barrier_signal -1
	s_barrier_wait -1
	ds_store_b64 v50, v[20:21]
	s_wait_dscnt 0x0
	s_barrier_signal -1
	s_barrier_wait -1
	ds_load_b64 v[52:53], v54 offset:32
	v_mov_b32_e32 v50, 4
	s_cmp_lt_i32 s14, 6
	s_cbranch_scc1 .LBB42_86
; %bb.84:
	v_add3_u32 v51, v55, 0, 40
	v_mov_b32_e32 v50, 4
	s_mov_b32 s0, 5
.LBB42_85:                              ; =>This Inner Loop Header: Depth=1
	ds_load_b64 v[60:61], v51
	s_wait_dscnt 0x1
	v_cmp_gt_f32_e32 vcc_lo, 0, v52
	v_cndmask_b32_e64 v62, v52, -v52, vcc_lo
	v_cmp_gt_f32_e32 vcc_lo, 0, v53
	v_cndmask_b32_e64 v64, v53, -v53, vcc_lo
	s_wait_dscnt 0x0
	v_cmp_gt_f32_e32 vcc_lo, 0, v60
	v_cndmask_b32_e64 v63, v60, -v60, vcc_lo
	v_cmp_gt_f32_e32 vcc_lo, 0, v61
	v_cndmask_b32_e64 v65, v61, -v61, vcc_lo
	s_delay_alu instid0(VALU_DEP_1) | instskip(NEXT) | instid1(VALU_DEP_1)
	v_pk_add_f32 v[62:63], v[62:63], v[64:65]
	v_cmp_lt_f32_e32 vcc_lo, v62, v63
	v_dual_add_nc_u32 v51, 8, v51 :: v_dual_cndmask_b32 v53, v53, v61, vcc_lo
	v_cndmask_b32_e32 v52, v52, v60, vcc_lo
	v_cndmask_b32_e64 v50, v50, s0, vcc_lo
	s_add_co_i32 s0, s0, 1
	s_delay_alu instid0(SALU_CYCLE_1)
	s_cmp_lg_u32 s14, s0
	s_cbranch_scc1 .LBB42_85
.LBB42_86:
	s_wait_dscnt 0x0
	v_cmp_eq_f32_e32 vcc_lo, 0, v52
	v_cmp_eq_f32_e64 s0, 0, v53
	s_and_b32 s0, vcc_lo, s0
	s_delay_alu instid0(SALU_CYCLE_1) | instskip(NEXT) | instid1(SALU_CYCLE_1)
	s_and_saveexec_b32 s1, s0
	s_xor_b32 s0, exec_lo, s1
; %bb.87:
	v_cmp_ne_u32_e32 vcc_lo, 0, v56
	v_cndmask_b32_e32 v56, 5, v56, vcc_lo
; %bb.88:
	s_and_not1_saveexec_b32 s0, s0
	s_cbranch_execz .LBB42_94
; %bb.89:
	v_cmp_ngt_f32_e64 s1, |v52|, |v53|
	s_and_saveexec_b32 s15, s1
	s_delay_alu instid0(SALU_CYCLE_1)
	s_xor_b32 s1, exec_lo, s15
	s_cbranch_execz .LBB42_91
; %bb.90:
	v_div_scale_f32 v51, null, v53, v53, v52
	v_div_scale_f32 v61, vcc_lo, v52, v53, v52
	s_delay_alu instid0(VALU_DEP_2) | instskip(SKIP_1) | instid1(TRANS32_DEP_1)
	v_rcp_f32_e32 v59, v51
	v_nop
	v_fma_f32 v60, -v51, v59, 1.0
	s_delay_alu instid0(VALU_DEP_1) | instskip(NEXT) | instid1(VALU_DEP_1)
	v_fmac_f32_e32 v59, v60, v59
	v_mul_f32_e32 v60, v61, v59
	s_delay_alu instid0(VALU_DEP_1) | instskip(NEXT) | instid1(VALU_DEP_1)
	v_fma_f32 v62, -v51, v60, v61
	v_fmac_f32_e32 v60, v62, v59
	s_delay_alu instid0(VALU_DEP_1) | instskip(NEXT) | instid1(VALU_DEP_1)
	v_fma_f32 v51, -v51, v60, v61
	v_div_fmas_f32 v51, v51, v59, v60
	s_delay_alu instid0(VALU_DEP_1) | instskip(NEXT) | instid1(VALU_DEP_1)
	v_div_fixup_f32 v51, v51, v53, v52
	v_fmac_f32_e32 v53, v52, v51
	s_delay_alu instid0(VALU_DEP_1) | instskip(SKIP_1) | instid1(VALU_DEP_2)
	v_div_scale_f32 v52, null, v53, v53, 1.0
	v_div_scale_f32 v61, vcc_lo, 1.0, v53, 1.0
	v_rcp_f32_e32 v59, v52
	v_nop
	s_delay_alu instid0(TRANS32_DEP_1) | instskip(NEXT) | instid1(VALU_DEP_1)
	v_fma_f32 v60, -v52, v59, 1.0
	v_fmac_f32_e32 v59, v60, v59
	s_delay_alu instid0(VALU_DEP_1) | instskip(NEXT) | instid1(VALU_DEP_1)
	v_mul_f32_e32 v60, v61, v59
	v_fma_f32 v62, -v52, v60, v61
	s_delay_alu instid0(VALU_DEP_1) | instskip(NEXT) | instid1(VALU_DEP_1)
	v_fmac_f32_e32 v60, v62, v59
	v_fma_f32 v52, -v52, v60, v61
	s_delay_alu instid0(VALU_DEP_1) | instskip(NEXT) | instid1(VALU_DEP_1)
	v_div_fmas_f32 v52, v52, v59, v60
	v_div_fixup_f32 v53, v52, v53, 1.0
	s_delay_alu instid0(VALU_DEP_1)
	v_mul_f32_e32 v52, v51, v53
	v_xor_b32_e32 v53, 0x80000000, v53
.LBB42_91:
	s_and_not1_saveexec_b32 s1, s1
	s_cbranch_execz .LBB42_93
; %bb.92:
	s_delay_alu instid0(VALU_DEP_1) | instskip(SKIP_1) | instid1(VALU_DEP_2)
	v_div_scale_f32 v51, null, v52, v52, v53
	v_div_scale_f32 v61, vcc_lo, v53, v52, v53
	v_rcp_f32_e32 v59, v51
	v_nop
	s_delay_alu instid0(TRANS32_DEP_1) | instskip(NEXT) | instid1(VALU_DEP_1)
	v_fma_f32 v60, -v51, v59, 1.0
	v_fmac_f32_e32 v59, v60, v59
	s_delay_alu instid0(VALU_DEP_1) | instskip(NEXT) | instid1(VALU_DEP_1)
	v_mul_f32_e32 v60, v61, v59
	v_fma_f32 v62, -v51, v60, v61
	s_delay_alu instid0(VALU_DEP_1) | instskip(NEXT) | instid1(VALU_DEP_1)
	v_fmac_f32_e32 v60, v62, v59
	v_fma_f32 v51, -v51, v60, v61
	s_delay_alu instid0(VALU_DEP_1) | instskip(NEXT) | instid1(VALU_DEP_1)
	v_div_fmas_f32 v51, v51, v59, v60
	v_div_fixup_f32 v51, v51, v52, v53
	s_delay_alu instid0(VALU_DEP_1) | instskip(NEXT) | instid1(VALU_DEP_1)
	v_fmac_f32_e32 v52, v53, v51
	v_div_scale_f32 v53, null, v52, v52, 1.0
	s_delay_alu instid0(VALU_DEP_1) | instskip(SKIP_1) | instid1(TRANS32_DEP_1)
	v_rcp_f32_e32 v59, v53
	v_nop
	v_fma_f32 v60, -v53, v59, 1.0
	s_delay_alu instid0(VALU_DEP_1) | instskip(SKIP_1) | instid1(VALU_DEP_1)
	v_fmac_f32_e32 v59, v60, v59
	v_div_scale_f32 v60, vcc_lo, 1.0, v52, 1.0
	v_mul_f32_e32 v61, v60, v59
	s_delay_alu instid0(VALU_DEP_1) | instskip(NEXT) | instid1(VALU_DEP_1)
	v_fma_f32 v62, -v53, v61, v60
	v_fmac_f32_e32 v61, v62, v59
	s_delay_alu instid0(VALU_DEP_1) | instskip(NEXT) | instid1(VALU_DEP_1)
	v_fma_f32 v53, -v53, v61, v60
	v_div_fmas_f32 v53, v53, v59, v61
	s_delay_alu instid0(VALU_DEP_1) | instskip(NEXT) | instid1(VALU_DEP_1)
	v_div_fixup_f32 v52, v53, v52, 1.0
	v_mul_f32_e64 v53, v51, -v52
.LBB42_93:
	s_or_b32 exec_lo, exec_lo, s1
.LBB42_94:
	s_delay_alu instid0(SALU_CYCLE_1) | instskip(NEXT) | instid1(SALU_CYCLE_1)
	s_or_b32 exec_lo, exec_lo, s0
	s_mov_b32 s0, exec_lo
	v_cmpx_ne_u32_e64 v58, v50
	s_xor_b32 s0, exec_lo, s0
	s_cbranch_execz .LBB42_100
; %bb.95:
	s_mov_b32 s1, exec_lo
	v_cmpx_eq_u32_e32 4, v58
	s_cbranch_execz .LBB42_99
; %bb.96:
	v_cmp_ne_u32_e32 vcc_lo, 4, v50
	s_xor_b32 s15, s12, -1
	s_delay_alu instid0(SALU_CYCLE_1) | instskip(NEXT) | instid1(SALU_CYCLE_1)
	s_and_b32 s16, s15, vcc_lo
	s_and_saveexec_b32 s15, s16
	s_cbranch_execz .LBB42_98
; %bb.97:
	v_ashrrev_i32_e32 v51, 31, v50
	s_delay_alu instid0(VALU_DEP_1)
	v_lshl_add_u64 v[58:59], v[50:51], 2, v[34:35]
	s_clause 0x1
	global_load_b32 v51, v[58:59], off
	global_load_b32 v57, v[34:35], off offset:16
	s_wait_loadcnt 0x1
	global_store_b32 v[34:35], v51, off offset:16
	s_wait_loadcnt 0x0
	global_store_b32 v[58:59], v57, off
.LBB42_98:
	s_wait_xcnt 0x0
	s_or_b32 exec_lo, exec_lo, s15
	v_dual_mov_b32 v58, v50 :: v_dual_mov_b32 v57, v50
.LBB42_99:
	s_or_b32 exec_lo, exec_lo, s1
.LBB42_100:
	s_and_not1_saveexec_b32 s0, s0
	s_cbranch_execz .LBB42_102
; %bb.101:
	v_mov_b32_e32 v58, 4
	ds_store_2addr_b64 v54, v[6:7], v[8:9] offset0:5 offset1:6
	ds_store_2addr_b64 v54, v[4:5], v[44:45] offset0:7 offset1:8
	;; [unrolled: 1-line block ×8, first 2 shown]
	ds_store_b64 v54, v[48:49] offset:168
.LBB42_102:
	s_or_b32 exec_lo, exec_lo, s0
	s_delay_alu instid0(SALU_CYCLE_1)
	s_mov_b32 s0, exec_lo
	s_wait_storecnt_dscnt 0x0
	s_barrier_signal -1
	s_barrier_wait -1
	v_cmpx_lt_i32_e32 4, v58
	s_cbranch_execz .LBB42_104
; %bb.103:
	v_pk_mul_f32 v[60:61], v[52:53], v[20:21] op_sel:[1,1] op_sel_hi:[0,1]
	s_delay_alu instid0(VALU_DEP_1)
	v_pk_fma_f32 v[50:51], v[52:53], v[20:21], v[60:61] op_sel_hi:[1,0,1] neg_lo:[0,0,1] neg_hi:[0,0,1]
	v_pk_fma_f32 v[52:53], v[52:53], v[20:21], v[60:61] op_sel_hi:[1,0,1]
	ds_load_2addr_b64 v[60:63], v54 offset0:5 offset1:6
	v_dual_mov_b32 v20, v50 :: v_dual_mov_b32 v21, v53
	s_wait_dscnt 0x0
	v_pk_mul_f32 v[64:65], v[60:61], v[52:53] op_sel:[0,1]
	s_delay_alu instid0(VALU_DEP_1) | instskip(SKIP_1) | instid1(VALU_DEP_1)
	v_pk_fma_f32 v[66:67], v[60:61], v[50:51], v[64:65] op_sel:[0,0,1] op_sel_hi:[1,1,0] neg_lo:[0,0,1] neg_hi:[0,0,1]
	v_pk_fma_f32 v[60:61], v[60:61], v[50:51], v[64:65] op_sel:[0,0,1] op_sel_hi:[1,0,0]
	v_mov_b32_e32 v67, v61
	v_pk_mul_f32 v[60:61], v[62:63], v[52:53] op_sel:[0,1]
	s_delay_alu instid0(VALU_DEP_1) | instskip(SKIP_1) | instid1(VALU_DEP_1)
	v_pk_fma_f32 v[64:65], v[62:63], v[50:51], v[60:61] op_sel:[0,0,1] op_sel_hi:[1,1,0] neg_lo:[0,0,1] neg_hi:[0,0,1]
	v_pk_fma_f32 v[60:61], v[62:63], v[50:51], v[60:61] op_sel:[0,0,1] op_sel_hi:[1,0,0]
	v_mov_b32_e32 v65, v61
	ds_load_2addr_b64 v[60:63], v54 offset0:7 offset1:8
	v_pk_add_f32 v[6:7], v[6:7], v[66:67] neg_lo:[0,1] neg_hi:[0,1]
	v_pk_add_f32 v[8:9], v[8:9], v[64:65] neg_lo:[0,1] neg_hi:[0,1]
	s_wait_dscnt 0x0
	v_pk_mul_f32 v[64:65], v[60:61], v[52:53] op_sel:[0,1]
	s_delay_alu instid0(VALU_DEP_1) | instskip(SKIP_2) | instid1(VALU_DEP_2)
	v_pk_fma_f32 v[66:67], v[60:61], v[50:51], v[64:65] op_sel:[0,0,1] op_sel_hi:[1,1,0] neg_lo:[0,0,1] neg_hi:[0,0,1]
	v_pk_fma_f32 v[60:61], v[60:61], v[50:51], v[64:65] op_sel:[0,0,1] op_sel_hi:[1,0,0]
	v_dual_mul_f32 v64, v63, v53 :: v_dual_mov_b32 v60, v63
	v_dual_mov_b32 v67, v61 :: v_dual_mov_b32 v61, v62
	s_delay_alu instid0(VALU_DEP_2) | instskip(SKIP_1) | instid1(VALU_DEP_3)
	v_pk_fma_f32 v[64:65], v[62:63], v[20:21], v[64:65] op_sel_hi:[1,1,0] neg_lo:[0,0,1] neg_hi:[0,0,1]
	v_mul_f32_e32 v62, v63, v50
	v_pk_add_f32 v[4:5], v[4:5], v[66:67] neg_lo:[0,1] neg_hi:[0,1]
	s_delay_alu instid0(VALU_DEP_2) | instskip(NEXT) | instid1(VALU_DEP_1)
	v_pk_fma_f32 v[60:61], v[60:61], v[20:21], v[62:63] op_sel_hi:[1,1,0]
	v_mov_b32_e32 v65, v61
	ds_load_2addr_b64 v[60:63], v54 offset0:9 offset1:10
	v_pk_add_f32 v[44:45], v[44:45], v[64:65] neg_lo:[0,1] neg_hi:[0,1]
	s_wait_dscnt 0x0
	v_pk_mul_f32 v[64:65], v[60:61], v[52:53] op_sel:[0,1]
	s_delay_alu instid0(VALU_DEP_1) | instskip(SKIP_1) | instid1(VALU_DEP_1)
	v_pk_fma_f32 v[66:67], v[60:61], v[50:51], v[64:65] op_sel:[0,0,1] op_sel_hi:[1,1,0] neg_lo:[0,0,1] neg_hi:[0,0,1]
	v_pk_fma_f32 v[60:61], v[60:61], v[50:51], v[64:65] op_sel:[0,0,1] op_sel_hi:[1,0,0]
	v_mov_b32_e32 v67, v61
	v_pk_mul_f32 v[60:61], v[62:63], v[52:53] op_sel:[0,1]
	s_delay_alu instid0(VALU_DEP_1) | instskip(SKIP_1) | instid1(VALU_DEP_1)
	v_pk_fma_f32 v[64:65], v[62:63], v[50:51], v[60:61] op_sel:[0,0,1] op_sel_hi:[1,1,0] neg_lo:[0,0,1] neg_hi:[0,0,1]
	v_pk_fma_f32 v[60:61], v[62:63], v[50:51], v[60:61] op_sel:[0,0,1] op_sel_hi:[1,0,0]
	v_mov_b32_e32 v65, v61
	ds_load_2addr_b64 v[60:63], v54 offset0:11 offset1:12
	v_pk_add_f32 v[26:27], v[26:27], v[66:67] neg_lo:[0,1] neg_hi:[0,1]
	v_pk_add_f32 v[28:29], v[28:29], v[64:65] neg_lo:[0,1] neg_hi:[0,1]
	s_wait_dscnt 0x0
	v_pk_mul_f32 v[64:65], v[60:61], v[52:53] op_sel:[0,1]
	s_delay_alu instid0(VALU_DEP_1) | instskip(SKIP_1) | instid1(VALU_DEP_1)
	v_pk_fma_f32 v[66:67], v[60:61], v[50:51], v[64:65] op_sel:[0,0,1] op_sel_hi:[1,1,0] neg_lo:[0,0,1] neg_hi:[0,0,1]
	v_pk_fma_f32 v[60:61], v[60:61], v[50:51], v[64:65] op_sel:[0,0,1] op_sel_hi:[1,0,0]
	v_mov_b32_e32 v67, v61
	v_pk_mul_f32 v[60:61], v[62:63], v[52:53] op_sel:[0,1]
	s_delay_alu instid0(VALU_DEP_1) | instskip(SKIP_1) | instid1(VALU_DEP_1)
	v_pk_fma_f32 v[64:65], v[62:63], v[50:51], v[60:61] op_sel:[0,0,1] op_sel_hi:[1,1,0] neg_lo:[0,0,1] neg_hi:[0,0,1]
	v_pk_fma_f32 v[60:61], v[62:63], v[50:51], v[60:61] op_sel:[0,0,1] op_sel_hi:[1,0,0]
	v_mov_b32_e32 v65, v61
	ds_load_2addr_b64 v[60:63], v54 offset0:13 offset1:14
	v_pk_add_f32 v[24:25], v[24:25], v[66:67] neg_lo:[0,1] neg_hi:[0,1]
	v_pk_add_f32 v[42:43], v[42:43], v[64:65] neg_lo:[0,1] neg_hi:[0,1]
	s_wait_dscnt 0x0
	v_dual_mul_f32 v64, v61, v53 :: v_dual_mul_f32 v66, v61, v50
	s_delay_alu instid0(VALU_DEP_1) | instskip(NEXT) | instid1(VALU_DEP_2)
	v_pk_fma_f32 v[64:65], v[60:61], v[20:21], v[64:65] op_sel_hi:[1,1,0] neg_lo:[0,0,1] neg_hi:[0,0,1]
	v_pk_fma_f32 v[60:61], v[60:61], v[20:21], v[66:67] op_sel:[1,0,0] op_sel_hi:[0,1,0]
	s_delay_alu instid0(VALU_DEP_1) | instskip(SKIP_1) | instid1(VALU_DEP_2)
	v_mov_b32_e32 v65, v61
	v_pk_mul_f32 v[60:61], v[62:63], v[52:53] op_sel:[0,1]
	v_pk_add_f32 v[14:15], v[14:15], v[64:65] neg_lo:[0,1] neg_hi:[0,1]
	s_delay_alu instid0(VALU_DEP_2) | instskip(SKIP_1) | instid1(VALU_DEP_1)
	v_pk_fma_f32 v[64:65], v[62:63], v[50:51], v[60:61] op_sel:[0,0,1] op_sel_hi:[1,1,0] neg_lo:[0,0,1] neg_hi:[0,0,1]
	v_pk_fma_f32 v[60:61], v[62:63], v[50:51], v[60:61] op_sel:[0,0,1] op_sel_hi:[1,0,0]
	v_mov_b32_e32 v65, v61
	ds_load_2addr_b64 v[60:63], v54 offset0:15 offset1:16
	v_pk_add_f32 v[16:17], v[16:17], v[64:65] neg_lo:[0,1] neg_hi:[0,1]
	s_wait_dscnt 0x0
	v_pk_mul_f32 v[64:65], v[60:61], v[52:53] op_sel:[0,1]
	s_delay_alu instid0(VALU_DEP_1) | instskip(SKIP_1) | instid1(VALU_DEP_1)
	v_pk_fma_f32 v[66:67], v[60:61], v[50:51], v[64:65] op_sel:[0,0,1] op_sel_hi:[1,1,0] neg_lo:[0,0,1] neg_hi:[0,0,1]
	v_pk_fma_f32 v[60:61], v[60:61], v[50:51], v[64:65] op_sel:[0,0,1] op_sel_hi:[1,0,0]
	v_mov_b32_e32 v67, v61
	v_pk_mul_f32 v[60:61], v[62:63], v[52:53] op_sel:[0,1]
	s_delay_alu instid0(VALU_DEP_2) | instskip(NEXT) | instid1(VALU_DEP_2)
	v_pk_add_f32 v[12:13], v[12:13], v[66:67] neg_lo:[0,1] neg_hi:[0,1]
	v_pk_fma_f32 v[64:65], v[62:63], v[50:51], v[60:61] op_sel:[0,0,1] op_sel_hi:[1,1,0] neg_lo:[0,0,1] neg_hi:[0,0,1]
	v_pk_fma_f32 v[60:61], v[62:63], v[50:51], v[60:61] op_sel:[0,0,1] op_sel_hi:[1,0,0]
	s_delay_alu instid0(VALU_DEP_1) | instskip(SKIP_4) | instid1(VALU_DEP_1)
	v_mov_b32_e32 v65, v61
	ds_load_2addr_b64 v[60:63], v54 offset0:17 offset1:18
	v_pk_add_f32 v[32:33], v[32:33], v[64:65] neg_lo:[0,1] neg_hi:[0,1]
	s_wait_dscnt 0x0
	v_pk_mul_f32 v[64:65], v[60:61], v[52:53] op_sel:[0,1]
	v_pk_fma_f32 v[66:67], v[60:61], v[50:51], v[64:65] op_sel:[0,0,1] op_sel_hi:[1,1,0] neg_lo:[0,0,1] neg_hi:[0,0,1]
	v_pk_fma_f32 v[60:61], v[60:61], v[50:51], v[64:65] op_sel:[0,0,1] op_sel_hi:[1,0,0]
	v_dual_mul_f32 v64, v63, v53 :: v_dual_mov_b32 v60, v63
	s_delay_alu instid0(VALU_DEP_2) | instskip(NEXT) | instid1(VALU_DEP_2)
	v_dual_mov_b32 v67, v61 :: v_dual_mov_b32 v61, v62
	v_pk_fma_f32 v[64:65], v[62:63], v[20:21], v[64:65] op_sel_hi:[1,1,0] neg_lo:[0,0,1] neg_hi:[0,0,1]
	v_mul_f32_e32 v62, v63, v50
	s_delay_alu instid0(VALU_DEP_3) | instskip(NEXT) | instid1(VALU_DEP_2)
	v_pk_add_f32 v[10:11], v[10:11], v[66:67] neg_lo:[0,1] neg_hi:[0,1]
	v_pk_fma_f32 v[60:61], v[60:61], v[20:21], v[62:63] op_sel_hi:[1,1,0]
	s_delay_alu instid0(VALU_DEP_1) | instskip(SKIP_4) | instid1(VALU_DEP_1)
	v_mov_b32_e32 v65, v61
	ds_load_2addr_b64 v[60:63], v54 offset0:19 offset1:20
	v_pk_add_f32 v[30:31], v[30:31], v[64:65] neg_lo:[0,1] neg_hi:[0,1]
	s_wait_dscnt 0x0
	v_pk_mul_f32 v[64:65], v[60:61], v[52:53] op_sel:[0,1]
	v_pk_fma_f32 v[66:67], v[60:61], v[50:51], v[64:65] op_sel:[0,0,1] op_sel_hi:[1,1,0] neg_lo:[0,0,1] neg_hi:[0,0,1]
	v_pk_fma_f32 v[60:61], v[60:61], v[50:51], v[64:65] op_sel:[0,0,1] op_sel_hi:[1,0,0]
	s_delay_alu instid0(VALU_DEP_1) | instskip(SKIP_1) | instid1(VALU_DEP_1)
	v_mov_b32_e32 v67, v61
	v_pk_mul_f32 v[60:61], v[62:63], v[52:53] op_sel:[0,1]
	v_pk_fma_f32 v[64:65], v[62:63], v[50:51], v[60:61] op_sel:[0,0,1] op_sel_hi:[1,1,0] neg_lo:[0,0,1] neg_hi:[0,0,1]
	v_pk_fma_f32 v[60:61], v[62:63], v[50:51], v[60:61] op_sel:[0,0,1] op_sel_hi:[1,0,0]
	s_delay_alu instid0(VALU_DEP_1)
	v_mov_b32_e32 v65, v61
	ds_load_b64 v[60:61], v54 offset:168
	v_pk_add_f32 v[22:23], v[22:23], v[66:67] neg_lo:[0,1] neg_hi:[0,1]
	v_pk_add_f32 v[18:19], v[18:19], v[64:65] neg_lo:[0,1] neg_hi:[0,1]
	s_wait_dscnt 0x0
	v_pk_mul_f32 v[52:53], v[60:61], v[52:53] op_sel:[0,1]
	s_delay_alu instid0(VALU_DEP_1) | instskip(SKIP_1) | instid1(VALU_DEP_1)
	v_pk_fma_f32 v[62:63], v[60:61], v[50:51], v[52:53] op_sel:[0,0,1] op_sel_hi:[1,1,0] neg_lo:[0,0,1] neg_hi:[0,0,1]
	v_pk_fma_f32 v[50:51], v[60:61], v[50:51], v[52:53] op_sel:[0,0,1] op_sel_hi:[1,0,0]
	v_mov_b32_e32 v63, v51
	s_delay_alu instid0(VALU_DEP_1)
	v_pk_add_f32 v[48:49], v[48:49], v[62:63] neg_lo:[0,1] neg_hi:[0,1]
.LBB42_104:
	s_or_b32 exec_lo, exec_lo, s0
	v_lshl_add_u32 v50, v58, 3, v54
	s_barrier_signal -1
	s_barrier_wait -1
	ds_store_b64 v50, v[6:7]
	s_wait_dscnt 0x0
	s_barrier_signal -1
	s_barrier_wait -1
	ds_load_b64 v[52:53], v54 offset:40
	v_mov_b32_e32 v50, 5
	s_cmp_lt_i32 s14, 7
	s_cbranch_scc1 .LBB42_107
; %bb.105:
	v_add3_u32 v51, v55, 0, 48
	v_mov_b32_e32 v50, 5
	s_mov_b32 s0, 6
.LBB42_106:                             ; =>This Inner Loop Header: Depth=1
	ds_load_b64 v[60:61], v51
	s_wait_dscnt 0x1
	v_cmp_gt_f32_e32 vcc_lo, 0, v52
	v_cndmask_b32_e64 v62, v52, -v52, vcc_lo
	v_cmp_gt_f32_e32 vcc_lo, 0, v53
	v_cndmask_b32_e64 v64, v53, -v53, vcc_lo
	s_wait_dscnt 0x0
	v_cmp_gt_f32_e32 vcc_lo, 0, v60
	v_cndmask_b32_e64 v63, v60, -v60, vcc_lo
	v_cmp_gt_f32_e32 vcc_lo, 0, v61
	v_cndmask_b32_e64 v65, v61, -v61, vcc_lo
	s_delay_alu instid0(VALU_DEP_1) | instskip(NEXT) | instid1(VALU_DEP_1)
	v_pk_add_f32 v[62:63], v[62:63], v[64:65]
	v_cmp_lt_f32_e32 vcc_lo, v62, v63
	v_dual_add_nc_u32 v51, 8, v51 :: v_dual_cndmask_b32 v53, v53, v61, vcc_lo
	v_cndmask_b32_e32 v52, v52, v60, vcc_lo
	v_cndmask_b32_e64 v50, v50, s0, vcc_lo
	s_add_co_i32 s0, s0, 1
	s_delay_alu instid0(SALU_CYCLE_1)
	s_cmp_lg_u32 s14, s0
	s_cbranch_scc1 .LBB42_106
.LBB42_107:
	s_wait_dscnt 0x0
	v_cmp_eq_f32_e32 vcc_lo, 0, v52
	v_cmp_eq_f32_e64 s0, 0, v53
	s_and_b32 s0, vcc_lo, s0
	s_delay_alu instid0(SALU_CYCLE_1) | instskip(NEXT) | instid1(SALU_CYCLE_1)
	s_and_saveexec_b32 s1, s0
	s_xor_b32 s0, exec_lo, s1
; %bb.108:
	v_cmp_ne_u32_e32 vcc_lo, 0, v56
	v_cndmask_b32_e32 v56, 6, v56, vcc_lo
; %bb.109:
	s_and_not1_saveexec_b32 s0, s0
	s_cbranch_execz .LBB42_115
; %bb.110:
	v_cmp_ngt_f32_e64 s1, |v52|, |v53|
	s_and_saveexec_b32 s15, s1
	s_delay_alu instid0(SALU_CYCLE_1)
	s_xor_b32 s1, exec_lo, s15
	s_cbranch_execz .LBB42_112
; %bb.111:
	v_div_scale_f32 v51, null, v53, v53, v52
	v_div_scale_f32 v61, vcc_lo, v52, v53, v52
	s_delay_alu instid0(VALU_DEP_2) | instskip(SKIP_1) | instid1(TRANS32_DEP_1)
	v_rcp_f32_e32 v59, v51
	v_nop
	v_fma_f32 v60, -v51, v59, 1.0
	s_delay_alu instid0(VALU_DEP_1) | instskip(NEXT) | instid1(VALU_DEP_1)
	v_fmac_f32_e32 v59, v60, v59
	v_mul_f32_e32 v60, v61, v59
	s_delay_alu instid0(VALU_DEP_1) | instskip(NEXT) | instid1(VALU_DEP_1)
	v_fma_f32 v62, -v51, v60, v61
	v_fmac_f32_e32 v60, v62, v59
	s_delay_alu instid0(VALU_DEP_1) | instskip(NEXT) | instid1(VALU_DEP_1)
	v_fma_f32 v51, -v51, v60, v61
	v_div_fmas_f32 v51, v51, v59, v60
	s_delay_alu instid0(VALU_DEP_1) | instskip(NEXT) | instid1(VALU_DEP_1)
	v_div_fixup_f32 v51, v51, v53, v52
	v_fmac_f32_e32 v53, v52, v51
	s_delay_alu instid0(VALU_DEP_1) | instskip(SKIP_1) | instid1(VALU_DEP_2)
	v_div_scale_f32 v52, null, v53, v53, 1.0
	v_div_scale_f32 v61, vcc_lo, 1.0, v53, 1.0
	v_rcp_f32_e32 v59, v52
	v_nop
	s_delay_alu instid0(TRANS32_DEP_1) | instskip(NEXT) | instid1(VALU_DEP_1)
	v_fma_f32 v60, -v52, v59, 1.0
	v_fmac_f32_e32 v59, v60, v59
	s_delay_alu instid0(VALU_DEP_1) | instskip(NEXT) | instid1(VALU_DEP_1)
	v_mul_f32_e32 v60, v61, v59
	v_fma_f32 v62, -v52, v60, v61
	s_delay_alu instid0(VALU_DEP_1) | instskip(NEXT) | instid1(VALU_DEP_1)
	v_fmac_f32_e32 v60, v62, v59
	v_fma_f32 v52, -v52, v60, v61
	s_delay_alu instid0(VALU_DEP_1) | instskip(NEXT) | instid1(VALU_DEP_1)
	v_div_fmas_f32 v52, v52, v59, v60
	v_div_fixup_f32 v53, v52, v53, 1.0
	s_delay_alu instid0(VALU_DEP_1)
	v_mul_f32_e32 v52, v51, v53
	v_xor_b32_e32 v53, 0x80000000, v53
.LBB42_112:
	s_and_not1_saveexec_b32 s1, s1
	s_cbranch_execz .LBB42_114
; %bb.113:
	s_delay_alu instid0(VALU_DEP_1) | instskip(SKIP_1) | instid1(VALU_DEP_2)
	v_div_scale_f32 v51, null, v52, v52, v53
	v_div_scale_f32 v61, vcc_lo, v53, v52, v53
	v_rcp_f32_e32 v59, v51
	v_nop
	s_delay_alu instid0(TRANS32_DEP_1) | instskip(NEXT) | instid1(VALU_DEP_1)
	v_fma_f32 v60, -v51, v59, 1.0
	v_fmac_f32_e32 v59, v60, v59
	s_delay_alu instid0(VALU_DEP_1) | instskip(NEXT) | instid1(VALU_DEP_1)
	v_mul_f32_e32 v60, v61, v59
	v_fma_f32 v62, -v51, v60, v61
	s_delay_alu instid0(VALU_DEP_1) | instskip(NEXT) | instid1(VALU_DEP_1)
	v_fmac_f32_e32 v60, v62, v59
	v_fma_f32 v51, -v51, v60, v61
	s_delay_alu instid0(VALU_DEP_1) | instskip(NEXT) | instid1(VALU_DEP_1)
	v_div_fmas_f32 v51, v51, v59, v60
	v_div_fixup_f32 v51, v51, v52, v53
	s_delay_alu instid0(VALU_DEP_1) | instskip(NEXT) | instid1(VALU_DEP_1)
	v_fmac_f32_e32 v52, v53, v51
	v_div_scale_f32 v53, null, v52, v52, 1.0
	s_delay_alu instid0(VALU_DEP_1) | instskip(SKIP_1) | instid1(TRANS32_DEP_1)
	v_rcp_f32_e32 v59, v53
	v_nop
	v_fma_f32 v60, -v53, v59, 1.0
	s_delay_alu instid0(VALU_DEP_1) | instskip(SKIP_1) | instid1(VALU_DEP_1)
	v_fmac_f32_e32 v59, v60, v59
	v_div_scale_f32 v60, vcc_lo, 1.0, v52, 1.0
	v_mul_f32_e32 v61, v60, v59
	s_delay_alu instid0(VALU_DEP_1) | instskip(NEXT) | instid1(VALU_DEP_1)
	v_fma_f32 v62, -v53, v61, v60
	v_fmac_f32_e32 v61, v62, v59
	s_delay_alu instid0(VALU_DEP_1) | instskip(NEXT) | instid1(VALU_DEP_1)
	v_fma_f32 v53, -v53, v61, v60
	v_div_fmas_f32 v53, v53, v59, v61
	s_delay_alu instid0(VALU_DEP_1) | instskip(NEXT) | instid1(VALU_DEP_1)
	v_div_fixup_f32 v52, v53, v52, 1.0
	v_mul_f32_e64 v53, v51, -v52
.LBB42_114:
	s_or_b32 exec_lo, exec_lo, s1
.LBB42_115:
	s_delay_alu instid0(SALU_CYCLE_1) | instskip(NEXT) | instid1(SALU_CYCLE_1)
	s_or_b32 exec_lo, exec_lo, s0
	s_mov_b32 s0, exec_lo
	v_cmpx_ne_u32_e64 v58, v50
	s_xor_b32 s0, exec_lo, s0
	s_cbranch_execz .LBB42_121
; %bb.116:
	s_mov_b32 s1, exec_lo
	v_cmpx_eq_u32_e32 5, v58
	s_cbranch_execz .LBB42_120
; %bb.117:
	v_cmp_ne_u32_e32 vcc_lo, 5, v50
	s_xor_b32 s15, s12, -1
	s_delay_alu instid0(SALU_CYCLE_1) | instskip(NEXT) | instid1(SALU_CYCLE_1)
	s_and_b32 s16, s15, vcc_lo
	s_and_saveexec_b32 s15, s16
	s_cbranch_execz .LBB42_119
; %bb.118:
	v_ashrrev_i32_e32 v51, 31, v50
	s_delay_alu instid0(VALU_DEP_1)
	v_lshl_add_u64 v[58:59], v[50:51], 2, v[34:35]
	s_clause 0x1
	global_load_b32 v51, v[58:59], off
	global_load_b32 v57, v[34:35], off offset:20
	s_wait_loadcnt 0x1
	global_store_b32 v[34:35], v51, off offset:20
	s_wait_loadcnt 0x0
	global_store_b32 v[58:59], v57, off
.LBB42_119:
	s_wait_xcnt 0x0
	s_or_b32 exec_lo, exec_lo, s15
	v_dual_mov_b32 v58, v50 :: v_dual_mov_b32 v57, v50
.LBB42_120:
	s_or_b32 exec_lo, exec_lo, s1
.LBB42_121:
	s_and_not1_saveexec_b32 s0, s0
	s_cbranch_execz .LBB42_123
; %bb.122:
	v_dual_mov_b32 v50, v8 :: v_dual_mov_b32 v51, v9
	v_dual_mov_b32 v58, v4 :: v_dual_mov_b32 v59, v5
	;; [unrolled: 1-line block ×8, first 2 shown]
	ds_store_2addr_b64 v54, v[50:51], v[58:59] offset0:6 offset1:7
	ds_store_2addr_b64 v54, v[60:61], v[62:63] offset0:8 offset1:9
	;; [unrolled: 1-line block ×4, first 2 shown]
	v_dual_mov_b32 v50, v16 :: v_dual_mov_b32 v51, v17
	v_dual_mov_b32 v60, v12 :: v_dual_mov_b32 v61, v13
	;; [unrolled: 1-line block ×7, first 2 shown]
	v_mov_b32_e32 v71, v19
	ds_store_2addr_b64 v54, v[50:51], v[60:61] offset0:14 offset1:15
	ds_store_2addr_b64 v54, v[62:63], v[64:65] offset0:16 offset1:17
	;; [unrolled: 1-line block ×4, first 2 shown]
.LBB42_123:
	s_or_b32 exec_lo, exec_lo, s0
	s_delay_alu instid0(SALU_CYCLE_1)
	s_mov_b32 s0, exec_lo
	s_wait_storecnt_dscnt 0x0
	s_barrier_signal -1
	s_barrier_wait -1
	v_cmpx_lt_i32_e32 5, v58
	s_cbranch_execz .LBB42_125
; %bb.124:
	v_pk_mul_f32 v[60:61], v[52:53], v[6:7] op_sel:[1,1] op_sel_hi:[0,1]
	s_delay_alu instid0(VALU_DEP_1)
	v_pk_fma_f32 v[50:51], v[52:53], v[6:7], v[60:61] op_sel_hi:[1,0,1] neg_lo:[0,0,1] neg_hi:[0,0,1]
	v_pk_fma_f32 v[52:53], v[52:53], v[6:7], v[60:61] op_sel_hi:[1,0,1]
	ds_load_2addr_b64 v[60:63], v54 offset0:6 offset1:7
	v_dual_mov_b32 v6, v50 :: v_dual_mov_b32 v7, v53
	s_wait_dscnt 0x0
	v_pk_mul_f32 v[64:65], v[60:61], v[52:53] op_sel:[0,1]
	s_delay_alu instid0(VALU_DEP_1) | instskip(SKIP_1) | instid1(VALU_DEP_1)
	v_pk_fma_f32 v[66:67], v[60:61], v[50:51], v[64:65] op_sel:[0,0,1] op_sel_hi:[1,1,0] neg_lo:[0,0,1] neg_hi:[0,0,1]
	v_pk_fma_f32 v[60:61], v[60:61], v[50:51], v[64:65] op_sel:[0,0,1] op_sel_hi:[1,0,0]
	v_mov_b32_e32 v67, v61
	v_pk_mul_f32 v[60:61], v[62:63], v[52:53] op_sel:[0,1]
	s_delay_alu instid0(VALU_DEP_1) | instskip(SKIP_1) | instid1(VALU_DEP_1)
	v_pk_fma_f32 v[64:65], v[62:63], v[50:51], v[60:61] op_sel:[0,0,1] op_sel_hi:[1,1,0] neg_lo:[0,0,1] neg_hi:[0,0,1]
	v_pk_fma_f32 v[60:61], v[62:63], v[50:51], v[60:61] op_sel:[0,0,1] op_sel_hi:[1,0,0]
	v_mov_b32_e32 v65, v61
	ds_load_2addr_b64 v[60:63], v54 offset0:8 offset1:9
	v_pk_add_f32 v[8:9], v[8:9], v[66:67] neg_lo:[0,1] neg_hi:[0,1]
	v_pk_add_f32 v[4:5], v[4:5], v[64:65] neg_lo:[0,1] neg_hi:[0,1]
	s_wait_dscnt 0x0
	v_pk_mul_f32 v[64:65], v[60:61], v[52:53] op_sel:[0,1]
	s_delay_alu instid0(VALU_DEP_1) | instskip(SKIP_2) | instid1(VALU_DEP_2)
	v_pk_fma_f32 v[66:67], v[60:61], v[50:51], v[64:65] op_sel:[0,0,1] op_sel_hi:[1,1,0] neg_lo:[0,0,1] neg_hi:[0,0,1]
	v_pk_fma_f32 v[60:61], v[60:61], v[50:51], v[64:65] op_sel:[0,0,1] op_sel_hi:[1,0,0]
	v_dual_mul_f32 v64, v63, v53 :: v_dual_mov_b32 v60, v63
	v_dual_mov_b32 v67, v61 :: v_dual_mov_b32 v61, v62
	s_delay_alu instid0(VALU_DEP_2) | instskip(SKIP_1) | instid1(VALU_DEP_3)
	v_pk_fma_f32 v[64:65], v[62:63], v[6:7], v[64:65] op_sel_hi:[1,1,0] neg_lo:[0,0,1] neg_hi:[0,0,1]
	v_mul_f32_e32 v62, v63, v50
	v_pk_add_f32 v[44:45], v[44:45], v[66:67] neg_lo:[0,1] neg_hi:[0,1]
	s_delay_alu instid0(VALU_DEP_2) | instskip(NEXT) | instid1(VALU_DEP_1)
	v_pk_fma_f32 v[60:61], v[60:61], v[6:7], v[62:63] op_sel_hi:[1,1,0]
	v_mov_b32_e32 v65, v61
	ds_load_2addr_b64 v[60:63], v54 offset0:10 offset1:11
	v_pk_add_f32 v[26:27], v[26:27], v[64:65] neg_lo:[0,1] neg_hi:[0,1]
	s_wait_dscnt 0x0
	v_pk_mul_f32 v[64:65], v[60:61], v[52:53] op_sel:[0,1]
	s_delay_alu instid0(VALU_DEP_1) | instskip(SKIP_1) | instid1(VALU_DEP_1)
	v_pk_fma_f32 v[66:67], v[60:61], v[50:51], v[64:65] op_sel:[0,0,1] op_sel_hi:[1,1,0] neg_lo:[0,0,1] neg_hi:[0,0,1]
	v_pk_fma_f32 v[60:61], v[60:61], v[50:51], v[64:65] op_sel:[0,0,1] op_sel_hi:[1,0,0]
	v_mov_b32_e32 v67, v61
	v_pk_mul_f32 v[60:61], v[62:63], v[52:53] op_sel:[0,1]
	s_delay_alu instid0(VALU_DEP_1) | instskip(SKIP_1) | instid1(VALU_DEP_1)
	v_pk_fma_f32 v[64:65], v[62:63], v[50:51], v[60:61] op_sel:[0,0,1] op_sel_hi:[1,1,0] neg_lo:[0,0,1] neg_hi:[0,0,1]
	v_pk_fma_f32 v[60:61], v[62:63], v[50:51], v[60:61] op_sel:[0,0,1] op_sel_hi:[1,0,0]
	v_mov_b32_e32 v65, v61
	ds_load_2addr_b64 v[60:63], v54 offset0:12 offset1:13
	v_pk_add_f32 v[28:29], v[28:29], v[66:67] neg_lo:[0,1] neg_hi:[0,1]
	v_pk_add_f32 v[24:25], v[24:25], v[64:65] neg_lo:[0,1] neg_hi:[0,1]
	s_wait_dscnt 0x0
	v_pk_mul_f32 v[64:65], v[60:61], v[52:53] op_sel:[0,1]
	s_delay_alu instid0(VALU_DEP_1) | instskip(SKIP_1) | instid1(VALU_DEP_1)
	v_pk_fma_f32 v[66:67], v[60:61], v[50:51], v[64:65] op_sel:[0,0,1] op_sel_hi:[1,1,0] neg_lo:[0,0,1] neg_hi:[0,0,1]
	v_pk_fma_f32 v[60:61], v[60:61], v[50:51], v[64:65] op_sel:[0,0,1] op_sel_hi:[1,0,0]
	v_mov_b32_e32 v67, v61
	v_pk_mul_f32 v[60:61], v[62:63], v[52:53] op_sel:[0,1]
	s_delay_alu instid0(VALU_DEP_1) | instskip(SKIP_1) | instid1(VALU_DEP_1)
	v_pk_fma_f32 v[64:65], v[62:63], v[50:51], v[60:61] op_sel:[0,0,1] op_sel_hi:[1,1,0] neg_lo:[0,0,1] neg_hi:[0,0,1]
	v_pk_fma_f32 v[60:61], v[62:63], v[50:51], v[60:61] op_sel:[0,0,1] op_sel_hi:[1,0,0]
	v_mov_b32_e32 v65, v61
	ds_load_2addr_b64 v[60:63], v54 offset0:14 offset1:15
	v_pk_add_f32 v[42:43], v[42:43], v[66:67] neg_lo:[0,1] neg_hi:[0,1]
	v_pk_add_f32 v[14:15], v[14:15], v[64:65] neg_lo:[0,1] neg_hi:[0,1]
	s_wait_dscnt 0x0
	v_dual_mul_f32 v64, v61, v53 :: v_dual_mul_f32 v66, v61, v50
	s_delay_alu instid0(VALU_DEP_1) | instskip(NEXT) | instid1(VALU_DEP_2)
	v_pk_fma_f32 v[64:65], v[60:61], v[6:7], v[64:65] op_sel_hi:[1,1,0] neg_lo:[0,0,1] neg_hi:[0,0,1]
	v_pk_fma_f32 v[60:61], v[60:61], v[6:7], v[66:67] op_sel:[1,0,0] op_sel_hi:[0,1,0]
	s_delay_alu instid0(VALU_DEP_1) | instskip(SKIP_1) | instid1(VALU_DEP_2)
	v_mov_b32_e32 v65, v61
	v_pk_mul_f32 v[60:61], v[62:63], v[52:53] op_sel:[0,1]
	v_pk_add_f32 v[16:17], v[16:17], v[64:65] neg_lo:[0,1] neg_hi:[0,1]
	s_delay_alu instid0(VALU_DEP_2) | instskip(SKIP_1) | instid1(VALU_DEP_1)
	v_pk_fma_f32 v[64:65], v[62:63], v[50:51], v[60:61] op_sel:[0,0,1] op_sel_hi:[1,1,0] neg_lo:[0,0,1] neg_hi:[0,0,1]
	v_pk_fma_f32 v[60:61], v[62:63], v[50:51], v[60:61] op_sel:[0,0,1] op_sel_hi:[1,0,0]
	v_mov_b32_e32 v65, v61
	ds_load_2addr_b64 v[60:63], v54 offset0:16 offset1:17
	v_pk_add_f32 v[12:13], v[12:13], v[64:65] neg_lo:[0,1] neg_hi:[0,1]
	s_wait_dscnt 0x0
	v_pk_mul_f32 v[64:65], v[60:61], v[52:53] op_sel:[0,1]
	s_delay_alu instid0(VALU_DEP_1) | instskip(SKIP_1) | instid1(VALU_DEP_1)
	v_pk_fma_f32 v[66:67], v[60:61], v[50:51], v[64:65] op_sel:[0,0,1] op_sel_hi:[1,1,0] neg_lo:[0,0,1] neg_hi:[0,0,1]
	v_pk_fma_f32 v[60:61], v[60:61], v[50:51], v[64:65] op_sel:[0,0,1] op_sel_hi:[1,0,0]
	v_mov_b32_e32 v67, v61
	v_pk_mul_f32 v[60:61], v[62:63], v[52:53] op_sel:[0,1]
	s_delay_alu instid0(VALU_DEP_2) | instskip(NEXT) | instid1(VALU_DEP_2)
	v_pk_add_f32 v[32:33], v[32:33], v[66:67] neg_lo:[0,1] neg_hi:[0,1]
	v_pk_fma_f32 v[64:65], v[62:63], v[50:51], v[60:61] op_sel:[0,0,1] op_sel_hi:[1,1,0] neg_lo:[0,0,1] neg_hi:[0,0,1]
	v_pk_fma_f32 v[60:61], v[62:63], v[50:51], v[60:61] op_sel:[0,0,1] op_sel_hi:[1,0,0]
	s_delay_alu instid0(VALU_DEP_1) | instskip(SKIP_4) | instid1(VALU_DEP_1)
	v_mov_b32_e32 v65, v61
	ds_load_2addr_b64 v[60:63], v54 offset0:18 offset1:19
	v_pk_add_f32 v[10:11], v[10:11], v[64:65] neg_lo:[0,1] neg_hi:[0,1]
	s_wait_dscnt 0x0
	v_pk_mul_f32 v[64:65], v[60:61], v[52:53] op_sel:[0,1]
	v_pk_fma_f32 v[66:67], v[60:61], v[50:51], v[64:65] op_sel:[0,0,1] op_sel_hi:[1,1,0] neg_lo:[0,0,1] neg_hi:[0,0,1]
	v_pk_fma_f32 v[60:61], v[60:61], v[50:51], v[64:65] op_sel:[0,0,1] op_sel_hi:[1,0,0]
	v_dual_mul_f32 v64, v63, v53 :: v_dual_mov_b32 v60, v63
	s_delay_alu instid0(VALU_DEP_2) | instskip(NEXT) | instid1(VALU_DEP_2)
	v_dual_mov_b32 v67, v61 :: v_dual_mov_b32 v61, v62
	v_pk_fma_f32 v[64:65], v[62:63], v[6:7], v[64:65] op_sel_hi:[1,1,0] neg_lo:[0,0,1] neg_hi:[0,0,1]
	v_mul_f32_e32 v62, v63, v50
	s_delay_alu instid0(VALU_DEP_3) | instskip(NEXT) | instid1(VALU_DEP_2)
	v_pk_add_f32 v[30:31], v[30:31], v[66:67] neg_lo:[0,1] neg_hi:[0,1]
	v_pk_fma_f32 v[60:61], v[60:61], v[6:7], v[62:63] op_sel_hi:[1,1,0]
	s_delay_alu instid0(VALU_DEP_1)
	v_mov_b32_e32 v65, v61
	ds_load_2addr_b64 v[60:63], v54 offset0:20 offset1:21
	v_pk_add_f32 v[22:23], v[22:23], v[64:65] neg_lo:[0,1] neg_hi:[0,1]
	s_wait_dscnt 0x0
	v_pk_mul_f32 v[64:65], v[60:61], v[52:53] op_sel:[0,1]
	v_pk_mul_f32 v[52:53], v[62:63], v[52:53] op_sel:[0,1]
	s_delay_alu instid0(VALU_DEP_2) | instskip(SKIP_1) | instid1(VALU_DEP_1)
	v_pk_fma_f32 v[66:67], v[60:61], v[50:51], v[64:65] op_sel:[0,0,1] op_sel_hi:[1,1,0] neg_lo:[0,0,1] neg_hi:[0,0,1]
	v_pk_fma_f32 v[60:61], v[60:61], v[50:51], v[64:65] op_sel:[0,0,1] op_sel_hi:[1,0,0]
	v_mov_b32_e32 v67, v61
	s_delay_alu instid0(VALU_DEP_4) | instskip(SKIP_1) | instid1(VALU_DEP_1)
	v_pk_fma_f32 v[60:61], v[62:63], v[50:51], v[52:53] op_sel:[0,0,1] op_sel_hi:[1,1,0] neg_lo:[0,0,1] neg_hi:[0,0,1]
	v_pk_fma_f32 v[50:51], v[62:63], v[50:51], v[52:53] op_sel:[0,0,1] op_sel_hi:[1,0,0]
	v_mov_b32_e32 v61, v51
	s_delay_alu instid0(VALU_DEP_4) | instskip(NEXT) | instid1(VALU_DEP_2)
	v_pk_add_f32 v[18:19], v[18:19], v[66:67] neg_lo:[0,1] neg_hi:[0,1]
	v_pk_add_f32 v[48:49], v[48:49], v[60:61] neg_lo:[0,1] neg_hi:[0,1]
.LBB42_125:
	s_or_b32 exec_lo, exec_lo, s0
	v_lshl_add_u32 v50, v58, 3, v54
	s_barrier_signal -1
	s_barrier_wait -1
	ds_store_b64 v50, v[8:9]
	s_wait_dscnt 0x0
	s_barrier_signal -1
	s_barrier_wait -1
	ds_load_b64 v[52:53], v54 offset:48
	v_mov_b32_e32 v50, 6
	s_cmp_lt_i32 s14, 8
	s_cbranch_scc1 .LBB42_128
; %bb.126:
	v_add3_u32 v51, v55, 0, 56
	v_mov_b32_e32 v50, 6
	s_mov_b32 s0, 7
.LBB42_127:                             ; =>This Inner Loop Header: Depth=1
	ds_load_b64 v[60:61], v51
	s_wait_dscnt 0x1
	v_cmp_gt_f32_e32 vcc_lo, 0, v52
	v_cndmask_b32_e64 v62, v52, -v52, vcc_lo
	v_cmp_gt_f32_e32 vcc_lo, 0, v53
	v_cndmask_b32_e64 v64, v53, -v53, vcc_lo
	s_wait_dscnt 0x0
	v_cmp_gt_f32_e32 vcc_lo, 0, v60
	v_cndmask_b32_e64 v63, v60, -v60, vcc_lo
	v_cmp_gt_f32_e32 vcc_lo, 0, v61
	v_cndmask_b32_e64 v65, v61, -v61, vcc_lo
	s_delay_alu instid0(VALU_DEP_1) | instskip(NEXT) | instid1(VALU_DEP_1)
	v_pk_add_f32 v[62:63], v[62:63], v[64:65]
	v_cmp_lt_f32_e32 vcc_lo, v62, v63
	v_dual_add_nc_u32 v51, 8, v51 :: v_dual_cndmask_b32 v53, v53, v61, vcc_lo
	v_cndmask_b32_e32 v52, v52, v60, vcc_lo
	v_cndmask_b32_e64 v50, v50, s0, vcc_lo
	s_add_co_i32 s0, s0, 1
	s_delay_alu instid0(SALU_CYCLE_1)
	s_cmp_lg_u32 s14, s0
	s_cbranch_scc1 .LBB42_127
.LBB42_128:
	s_wait_dscnt 0x0
	v_cmp_eq_f32_e32 vcc_lo, 0, v52
	v_cmp_eq_f32_e64 s0, 0, v53
	s_and_b32 s0, vcc_lo, s0
	s_delay_alu instid0(SALU_CYCLE_1) | instskip(NEXT) | instid1(SALU_CYCLE_1)
	s_and_saveexec_b32 s1, s0
	s_xor_b32 s0, exec_lo, s1
; %bb.129:
	v_cmp_ne_u32_e32 vcc_lo, 0, v56
	v_cndmask_b32_e32 v56, 7, v56, vcc_lo
; %bb.130:
	s_and_not1_saveexec_b32 s0, s0
	s_cbranch_execz .LBB42_136
; %bb.131:
	v_cmp_ngt_f32_e64 s1, |v52|, |v53|
	s_and_saveexec_b32 s15, s1
	s_delay_alu instid0(SALU_CYCLE_1)
	s_xor_b32 s1, exec_lo, s15
	s_cbranch_execz .LBB42_133
; %bb.132:
	v_div_scale_f32 v51, null, v53, v53, v52
	v_div_scale_f32 v61, vcc_lo, v52, v53, v52
	s_delay_alu instid0(VALU_DEP_2) | instskip(SKIP_1) | instid1(TRANS32_DEP_1)
	v_rcp_f32_e32 v59, v51
	v_nop
	v_fma_f32 v60, -v51, v59, 1.0
	s_delay_alu instid0(VALU_DEP_1) | instskip(NEXT) | instid1(VALU_DEP_1)
	v_fmac_f32_e32 v59, v60, v59
	v_mul_f32_e32 v60, v61, v59
	s_delay_alu instid0(VALU_DEP_1) | instskip(NEXT) | instid1(VALU_DEP_1)
	v_fma_f32 v62, -v51, v60, v61
	v_fmac_f32_e32 v60, v62, v59
	s_delay_alu instid0(VALU_DEP_1) | instskip(NEXT) | instid1(VALU_DEP_1)
	v_fma_f32 v51, -v51, v60, v61
	v_div_fmas_f32 v51, v51, v59, v60
	s_delay_alu instid0(VALU_DEP_1) | instskip(NEXT) | instid1(VALU_DEP_1)
	v_div_fixup_f32 v51, v51, v53, v52
	v_fmac_f32_e32 v53, v52, v51
	s_delay_alu instid0(VALU_DEP_1) | instskip(SKIP_1) | instid1(VALU_DEP_2)
	v_div_scale_f32 v52, null, v53, v53, 1.0
	v_div_scale_f32 v61, vcc_lo, 1.0, v53, 1.0
	v_rcp_f32_e32 v59, v52
	v_nop
	s_delay_alu instid0(TRANS32_DEP_1) | instskip(NEXT) | instid1(VALU_DEP_1)
	v_fma_f32 v60, -v52, v59, 1.0
	v_fmac_f32_e32 v59, v60, v59
	s_delay_alu instid0(VALU_DEP_1) | instskip(NEXT) | instid1(VALU_DEP_1)
	v_mul_f32_e32 v60, v61, v59
	v_fma_f32 v62, -v52, v60, v61
	s_delay_alu instid0(VALU_DEP_1) | instskip(NEXT) | instid1(VALU_DEP_1)
	v_fmac_f32_e32 v60, v62, v59
	v_fma_f32 v52, -v52, v60, v61
	s_delay_alu instid0(VALU_DEP_1) | instskip(NEXT) | instid1(VALU_DEP_1)
	v_div_fmas_f32 v52, v52, v59, v60
	v_div_fixup_f32 v53, v52, v53, 1.0
	s_delay_alu instid0(VALU_DEP_1)
	v_mul_f32_e32 v52, v51, v53
	v_xor_b32_e32 v53, 0x80000000, v53
.LBB42_133:
	s_and_not1_saveexec_b32 s1, s1
	s_cbranch_execz .LBB42_135
; %bb.134:
	s_delay_alu instid0(VALU_DEP_1) | instskip(SKIP_1) | instid1(VALU_DEP_2)
	v_div_scale_f32 v51, null, v52, v52, v53
	v_div_scale_f32 v61, vcc_lo, v53, v52, v53
	v_rcp_f32_e32 v59, v51
	v_nop
	s_delay_alu instid0(TRANS32_DEP_1) | instskip(NEXT) | instid1(VALU_DEP_1)
	v_fma_f32 v60, -v51, v59, 1.0
	v_fmac_f32_e32 v59, v60, v59
	s_delay_alu instid0(VALU_DEP_1) | instskip(NEXT) | instid1(VALU_DEP_1)
	v_mul_f32_e32 v60, v61, v59
	v_fma_f32 v62, -v51, v60, v61
	s_delay_alu instid0(VALU_DEP_1) | instskip(NEXT) | instid1(VALU_DEP_1)
	v_fmac_f32_e32 v60, v62, v59
	v_fma_f32 v51, -v51, v60, v61
	s_delay_alu instid0(VALU_DEP_1) | instskip(NEXT) | instid1(VALU_DEP_1)
	v_div_fmas_f32 v51, v51, v59, v60
	v_div_fixup_f32 v51, v51, v52, v53
	s_delay_alu instid0(VALU_DEP_1) | instskip(NEXT) | instid1(VALU_DEP_1)
	v_fmac_f32_e32 v52, v53, v51
	v_div_scale_f32 v53, null, v52, v52, 1.0
	s_delay_alu instid0(VALU_DEP_1) | instskip(SKIP_1) | instid1(TRANS32_DEP_1)
	v_rcp_f32_e32 v59, v53
	v_nop
	v_fma_f32 v60, -v53, v59, 1.0
	s_delay_alu instid0(VALU_DEP_1) | instskip(SKIP_1) | instid1(VALU_DEP_1)
	v_fmac_f32_e32 v59, v60, v59
	v_div_scale_f32 v60, vcc_lo, 1.0, v52, 1.0
	v_mul_f32_e32 v61, v60, v59
	s_delay_alu instid0(VALU_DEP_1) | instskip(NEXT) | instid1(VALU_DEP_1)
	v_fma_f32 v62, -v53, v61, v60
	v_fmac_f32_e32 v61, v62, v59
	s_delay_alu instid0(VALU_DEP_1) | instskip(NEXT) | instid1(VALU_DEP_1)
	v_fma_f32 v53, -v53, v61, v60
	v_div_fmas_f32 v53, v53, v59, v61
	s_delay_alu instid0(VALU_DEP_1) | instskip(NEXT) | instid1(VALU_DEP_1)
	v_div_fixup_f32 v52, v53, v52, 1.0
	v_mul_f32_e64 v53, v51, -v52
.LBB42_135:
	s_or_b32 exec_lo, exec_lo, s1
.LBB42_136:
	s_delay_alu instid0(SALU_CYCLE_1) | instskip(NEXT) | instid1(SALU_CYCLE_1)
	s_or_b32 exec_lo, exec_lo, s0
	s_mov_b32 s0, exec_lo
	v_cmpx_ne_u32_e64 v58, v50
	s_xor_b32 s0, exec_lo, s0
	s_cbranch_execz .LBB42_142
; %bb.137:
	s_mov_b32 s1, exec_lo
	v_cmpx_eq_u32_e32 6, v58
	s_cbranch_execz .LBB42_141
; %bb.138:
	v_cmp_ne_u32_e32 vcc_lo, 6, v50
	s_xor_b32 s15, s12, -1
	s_delay_alu instid0(SALU_CYCLE_1) | instskip(NEXT) | instid1(SALU_CYCLE_1)
	s_and_b32 s16, s15, vcc_lo
	s_and_saveexec_b32 s15, s16
	s_cbranch_execz .LBB42_140
; %bb.139:
	v_ashrrev_i32_e32 v51, 31, v50
	s_delay_alu instid0(VALU_DEP_1)
	v_lshl_add_u64 v[58:59], v[50:51], 2, v[34:35]
	s_clause 0x1
	global_load_b32 v51, v[58:59], off
	global_load_b32 v57, v[34:35], off offset:24
	s_wait_loadcnt 0x1
	global_store_b32 v[34:35], v51, off offset:24
	s_wait_loadcnt 0x0
	global_store_b32 v[58:59], v57, off
.LBB42_140:
	s_wait_xcnt 0x0
	s_or_b32 exec_lo, exec_lo, s15
	v_dual_mov_b32 v58, v50 :: v_dual_mov_b32 v57, v50
.LBB42_141:
	s_or_b32 exec_lo, exec_lo, s1
.LBB42_142:
	s_and_not1_saveexec_b32 s0, s0
	s_cbranch_execz .LBB42_144
; %bb.143:
	v_mov_b32_e32 v58, 6
	ds_store_2addr_b64 v54, v[4:5], v[44:45] offset0:7 offset1:8
	ds_store_2addr_b64 v54, v[26:27], v[28:29] offset0:9 offset1:10
	;; [unrolled: 1-line block ×7, first 2 shown]
	ds_store_b64 v54, v[48:49] offset:168
.LBB42_144:
	s_or_b32 exec_lo, exec_lo, s0
	s_delay_alu instid0(SALU_CYCLE_1)
	s_mov_b32 s0, exec_lo
	s_wait_storecnt_dscnt 0x0
	s_barrier_signal -1
	s_barrier_wait -1
	v_cmpx_lt_i32_e32 6, v58
	s_cbranch_execz .LBB42_146
; %bb.145:
	v_pk_mul_f32 v[60:61], v[52:53], v[8:9] op_sel:[1,1] op_sel_hi:[0,1]
	s_delay_alu instid0(VALU_DEP_1)
	v_pk_fma_f32 v[50:51], v[52:53], v[8:9], v[60:61] op_sel_hi:[1,0,1] neg_lo:[0,0,1] neg_hi:[0,0,1]
	v_pk_fma_f32 v[52:53], v[52:53], v[8:9], v[60:61] op_sel_hi:[1,0,1]
	ds_load_2addr_b64 v[60:63], v54 offset0:7 offset1:8
	v_dual_mov_b32 v8, v50 :: v_dual_mov_b32 v9, v53
	s_wait_dscnt 0x0
	v_pk_mul_f32 v[64:65], v[60:61], v[52:53] op_sel:[0,1]
	s_delay_alu instid0(VALU_DEP_1) | instskip(SKIP_1) | instid1(VALU_DEP_1)
	v_pk_fma_f32 v[66:67], v[60:61], v[50:51], v[64:65] op_sel:[0,0,1] op_sel_hi:[1,1,0] neg_lo:[0,0,1] neg_hi:[0,0,1]
	v_pk_fma_f32 v[60:61], v[60:61], v[50:51], v[64:65] op_sel:[0,0,1] op_sel_hi:[1,0,0]
	v_mov_b32_e32 v67, v61
	v_pk_mul_f32 v[60:61], v[62:63], v[52:53] op_sel:[0,1]
	s_delay_alu instid0(VALU_DEP_1) | instskip(SKIP_1) | instid1(VALU_DEP_1)
	v_pk_fma_f32 v[64:65], v[62:63], v[50:51], v[60:61] op_sel:[0,0,1] op_sel_hi:[1,1,0] neg_lo:[0,0,1] neg_hi:[0,0,1]
	v_pk_fma_f32 v[60:61], v[62:63], v[50:51], v[60:61] op_sel:[0,0,1] op_sel_hi:[1,0,0]
	v_mov_b32_e32 v65, v61
	ds_load_2addr_b64 v[60:63], v54 offset0:9 offset1:10
	v_pk_add_f32 v[4:5], v[4:5], v[66:67] neg_lo:[0,1] neg_hi:[0,1]
	v_pk_add_f32 v[44:45], v[44:45], v[64:65] neg_lo:[0,1] neg_hi:[0,1]
	s_wait_dscnt 0x0
	v_pk_mul_f32 v[64:65], v[60:61], v[52:53] op_sel:[0,1]
	s_delay_alu instid0(VALU_DEP_1) | instskip(SKIP_2) | instid1(VALU_DEP_2)
	v_pk_fma_f32 v[66:67], v[60:61], v[50:51], v[64:65] op_sel:[0,0,1] op_sel_hi:[1,1,0] neg_lo:[0,0,1] neg_hi:[0,0,1]
	v_pk_fma_f32 v[60:61], v[60:61], v[50:51], v[64:65] op_sel:[0,0,1] op_sel_hi:[1,0,0]
	v_dual_mul_f32 v64, v63, v53 :: v_dual_mov_b32 v60, v63
	v_dual_mov_b32 v67, v61 :: v_dual_mov_b32 v61, v62
	s_delay_alu instid0(VALU_DEP_2) | instskip(SKIP_1) | instid1(VALU_DEP_3)
	v_pk_fma_f32 v[64:65], v[62:63], v[8:9], v[64:65] op_sel_hi:[1,1,0] neg_lo:[0,0,1] neg_hi:[0,0,1]
	v_mul_f32_e32 v62, v63, v50
	v_pk_add_f32 v[26:27], v[26:27], v[66:67] neg_lo:[0,1] neg_hi:[0,1]
	s_delay_alu instid0(VALU_DEP_2) | instskip(NEXT) | instid1(VALU_DEP_1)
	v_pk_fma_f32 v[60:61], v[60:61], v[8:9], v[62:63] op_sel_hi:[1,1,0]
	v_mov_b32_e32 v65, v61
	ds_load_2addr_b64 v[60:63], v54 offset0:11 offset1:12
	v_pk_add_f32 v[28:29], v[28:29], v[64:65] neg_lo:[0,1] neg_hi:[0,1]
	s_wait_dscnt 0x0
	v_pk_mul_f32 v[64:65], v[60:61], v[52:53] op_sel:[0,1]
	s_delay_alu instid0(VALU_DEP_1) | instskip(SKIP_1) | instid1(VALU_DEP_1)
	v_pk_fma_f32 v[66:67], v[60:61], v[50:51], v[64:65] op_sel:[0,0,1] op_sel_hi:[1,1,0] neg_lo:[0,0,1] neg_hi:[0,0,1]
	v_pk_fma_f32 v[60:61], v[60:61], v[50:51], v[64:65] op_sel:[0,0,1] op_sel_hi:[1,0,0]
	v_mov_b32_e32 v67, v61
	v_pk_mul_f32 v[60:61], v[62:63], v[52:53] op_sel:[0,1]
	s_delay_alu instid0(VALU_DEP_1) | instskip(SKIP_1) | instid1(VALU_DEP_1)
	v_pk_fma_f32 v[64:65], v[62:63], v[50:51], v[60:61] op_sel:[0,0,1] op_sel_hi:[1,1,0] neg_lo:[0,0,1] neg_hi:[0,0,1]
	v_pk_fma_f32 v[60:61], v[62:63], v[50:51], v[60:61] op_sel:[0,0,1] op_sel_hi:[1,0,0]
	v_mov_b32_e32 v65, v61
	ds_load_2addr_b64 v[60:63], v54 offset0:13 offset1:14
	v_pk_add_f32 v[24:25], v[24:25], v[66:67] neg_lo:[0,1] neg_hi:[0,1]
	v_pk_add_f32 v[42:43], v[42:43], v[64:65] neg_lo:[0,1] neg_hi:[0,1]
	s_wait_dscnt 0x0
	v_pk_mul_f32 v[64:65], v[60:61], v[52:53] op_sel:[0,1]
	s_delay_alu instid0(VALU_DEP_1) | instskip(SKIP_1) | instid1(VALU_DEP_1)
	v_pk_fma_f32 v[66:67], v[60:61], v[50:51], v[64:65] op_sel:[0,0,1] op_sel_hi:[1,1,0] neg_lo:[0,0,1] neg_hi:[0,0,1]
	v_pk_fma_f32 v[60:61], v[60:61], v[50:51], v[64:65] op_sel:[0,0,1] op_sel_hi:[1,0,0]
	v_mov_b32_e32 v67, v61
	v_pk_mul_f32 v[60:61], v[62:63], v[52:53] op_sel:[0,1]
	s_delay_alu instid0(VALU_DEP_1) | instskip(SKIP_1) | instid1(VALU_DEP_1)
	v_pk_fma_f32 v[64:65], v[62:63], v[50:51], v[60:61] op_sel:[0,0,1] op_sel_hi:[1,1,0] neg_lo:[0,0,1] neg_hi:[0,0,1]
	v_pk_fma_f32 v[60:61], v[62:63], v[50:51], v[60:61] op_sel:[0,0,1] op_sel_hi:[1,0,0]
	v_mov_b32_e32 v65, v61
	ds_load_2addr_b64 v[60:63], v54 offset0:15 offset1:16
	v_pk_add_f32 v[14:15], v[14:15], v[66:67] neg_lo:[0,1] neg_hi:[0,1]
	v_pk_add_f32 v[16:17], v[16:17], v[64:65] neg_lo:[0,1] neg_hi:[0,1]
	s_wait_dscnt 0x0
	v_dual_mul_f32 v64, v61, v53 :: v_dual_mul_f32 v66, v61, v50
	s_delay_alu instid0(VALU_DEP_1) | instskip(NEXT) | instid1(VALU_DEP_2)
	v_pk_fma_f32 v[64:65], v[60:61], v[8:9], v[64:65] op_sel_hi:[1,1,0] neg_lo:[0,0,1] neg_hi:[0,0,1]
	v_pk_fma_f32 v[60:61], v[60:61], v[8:9], v[66:67] op_sel:[1,0,0] op_sel_hi:[0,1,0]
	s_delay_alu instid0(VALU_DEP_1) | instskip(SKIP_1) | instid1(VALU_DEP_2)
	v_mov_b32_e32 v65, v61
	v_pk_mul_f32 v[60:61], v[62:63], v[52:53] op_sel:[0,1]
	v_pk_add_f32 v[12:13], v[12:13], v[64:65] neg_lo:[0,1] neg_hi:[0,1]
	s_delay_alu instid0(VALU_DEP_2) | instskip(SKIP_1) | instid1(VALU_DEP_1)
	v_pk_fma_f32 v[64:65], v[62:63], v[50:51], v[60:61] op_sel:[0,0,1] op_sel_hi:[1,1,0] neg_lo:[0,0,1] neg_hi:[0,0,1]
	v_pk_fma_f32 v[60:61], v[62:63], v[50:51], v[60:61] op_sel:[0,0,1] op_sel_hi:[1,0,0]
	v_mov_b32_e32 v65, v61
	ds_load_2addr_b64 v[60:63], v54 offset0:17 offset1:18
	v_pk_add_f32 v[32:33], v[32:33], v[64:65] neg_lo:[0,1] neg_hi:[0,1]
	s_wait_dscnt 0x0
	v_pk_mul_f32 v[64:65], v[60:61], v[52:53] op_sel:[0,1]
	s_delay_alu instid0(VALU_DEP_1) | instskip(SKIP_1) | instid1(VALU_DEP_1)
	v_pk_fma_f32 v[66:67], v[60:61], v[50:51], v[64:65] op_sel:[0,0,1] op_sel_hi:[1,1,0] neg_lo:[0,0,1] neg_hi:[0,0,1]
	v_pk_fma_f32 v[60:61], v[60:61], v[50:51], v[64:65] op_sel:[0,0,1] op_sel_hi:[1,0,0]
	v_mov_b32_e32 v67, v61
	v_pk_mul_f32 v[60:61], v[62:63], v[52:53] op_sel:[0,1]
	s_delay_alu instid0(VALU_DEP_2) | instskip(NEXT) | instid1(VALU_DEP_2)
	v_pk_add_f32 v[10:11], v[10:11], v[66:67] neg_lo:[0,1] neg_hi:[0,1]
	v_pk_fma_f32 v[64:65], v[62:63], v[50:51], v[60:61] op_sel:[0,0,1] op_sel_hi:[1,1,0] neg_lo:[0,0,1] neg_hi:[0,0,1]
	v_pk_fma_f32 v[60:61], v[62:63], v[50:51], v[60:61] op_sel:[0,0,1] op_sel_hi:[1,0,0]
	s_delay_alu instid0(VALU_DEP_1) | instskip(SKIP_4) | instid1(VALU_DEP_1)
	v_mov_b32_e32 v65, v61
	ds_load_2addr_b64 v[60:63], v54 offset0:19 offset1:20
	v_pk_add_f32 v[30:31], v[30:31], v[64:65] neg_lo:[0,1] neg_hi:[0,1]
	s_wait_dscnt 0x0
	v_pk_mul_f32 v[64:65], v[60:61], v[52:53] op_sel:[0,1]
	v_pk_fma_f32 v[66:67], v[60:61], v[50:51], v[64:65] op_sel:[0,0,1] op_sel_hi:[1,1,0] neg_lo:[0,0,1] neg_hi:[0,0,1]
	v_pk_fma_f32 v[60:61], v[60:61], v[50:51], v[64:65] op_sel:[0,0,1] op_sel_hi:[1,0,0]
	v_dual_mul_f32 v64, v63, v53 :: v_dual_mov_b32 v60, v63
	s_delay_alu instid0(VALU_DEP_2) | instskip(NEXT) | instid1(VALU_DEP_2)
	v_dual_mov_b32 v67, v61 :: v_dual_mov_b32 v61, v62
	v_pk_fma_f32 v[64:65], v[62:63], v[8:9], v[64:65] op_sel_hi:[1,1,0] neg_lo:[0,0,1] neg_hi:[0,0,1]
	v_mul_f32_e32 v62, v63, v50
	s_delay_alu instid0(VALU_DEP_3) | instskip(NEXT) | instid1(VALU_DEP_2)
	v_pk_add_f32 v[22:23], v[22:23], v[66:67] neg_lo:[0,1] neg_hi:[0,1]
	v_pk_fma_f32 v[60:61], v[60:61], v[8:9], v[62:63] op_sel_hi:[1,1,0]
	s_delay_alu instid0(VALU_DEP_1) | instskip(SKIP_4) | instid1(VALU_DEP_1)
	v_mov_b32_e32 v65, v61
	ds_load_b64 v[60:61], v54 offset:168
	v_pk_add_f32 v[18:19], v[18:19], v[64:65] neg_lo:[0,1] neg_hi:[0,1]
	s_wait_dscnt 0x0
	v_pk_mul_f32 v[52:53], v[60:61], v[52:53] op_sel:[0,1]
	v_pk_fma_f32 v[62:63], v[60:61], v[50:51], v[52:53] op_sel:[0,0,1] op_sel_hi:[1,1,0] neg_lo:[0,0,1] neg_hi:[0,0,1]
	v_pk_fma_f32 v[50:51], v[60:61], v[50:51], v[52:53] op_sel:[0,0,1] op_sel_hi:[1,0,0]
	s_delay_alu instid0(VALU_DEP_1) | instskip(NEXT) | instid1(VALU_DEP_1)
	v_mov_b32_e32 v63, v51
	v_pk_add_f32 v[48:49], v[48:49], v[62:63] neg_lo:[0,1] neg_hi:[0,1]
.LBB42_146:
	s_or_b32 exec_lo, exec_lo, s0
	v_lshl_add_u32 v50, v58, 3, v54
	s_barrier_signal -1
	s_barrier_wait -1
	ds_store_b64 v50, v[4:5]
	s_wait_dscnt 0x0
	s_barrier_signal -1
	s_barrier_wait -1
	ds_load_b64 v[52:53], v54 offset:56
	v_mov_b32_e32 v50, 7
	s_cmp_lt_i32 s14, 9
	s_cbranch_scc1 .LBB42_149
; %bb.147:
	v_add3_u32 v51, v55, 0, 64
	v_mov_b32_e32 v50, 7
	s_mov_b32 s0, 8
.LBB42_148:                             ; =>This Inner Loop Header: Depth=1
	ds_load_b64 v[60:61], v51
	s_wait_dscnt 0x1
	v_cmp_gt_f32_e32 vcc_lo, 0, v52
	v_cndmask_b32_e64 v62, v52, -v52, vcc_lo
	v_cmp_gt_f32_e32 vcc_lo, 0, v53
	v_cndmask_b32_e64 v64, v53, -v53, vcc_lo
	s_wait_dscnt 0x0
	v_cmp_gt_f32_e32 vcc_lo, 0, v60
	v_cndmask_b32_e64 v63, v60, -v60, vcc_lo
	v_cmp_gt_f32_e32 vcc_lo, 0, v61
	v_cndmask_b32_e64 v65, v61, -v61, vcc_lo
	s_delay_alu instid0(VALU_DEP_1) | instskip(NEXT) | instid1(VALU_DEP_1)
	v_pk_add_f32 v[62:63], v[62:63], v[64:65]
	v_cmp_lt_f32_e32 vcc_lo, v62, v63
	v_dual_add_nc_u32 v51, 8, v51 :: v_dual_cndmask_b32 v53, v53, v61, vcc_lo
	v_cndmask_b32_e32 v52, v52, v60, vcc_lo
	v_cndmask_b32_e64 v50, v50, s0, vcc_lo
	s_add_co_i32 s0, s0, 1
	s_delay_alu instid0(SALU_CYCLE_1)
	s_cmp_lg_u32 s14, s0
	s_cbranch_scc1 .LBB42_148
.LBB42_149:
	s_wait_dscnt 0x0
	v_cmp_eq_f32_e32 vcc_lo, 0, v52
	v_cmp_eq_f32_e64 s0, 0, v53
	s_and_b32 s0, vcc_lo, s0
	s_delay_alu instid0(SALU_CYCLE_1) | instskip(NEXT) | instid1(SALU_CYCLE_1)
	s_and_saveexec_b32 s1, s0
	s_xor_b32 s0, exec_lo, s1
; %bb.150:
	v_cmp_ne_u32_e32 vcc_lo, 0, v56
	v_cndmask_b32_e32 v56, 8, v56, vcc_lo
; %bb.151:
	s_and_not1_saveexec_b32 s0, s0
	s_cbranch_execz .LBB42_157
; %bb.152:
	v_cmp_ngt_f32_e64 s1, |v52|, |v53|
	s_and_saveexec_b32 s15, s1
	s_delay_alu instid0(SALU_CYCLE_1)
	s_xor_b32 s1, exec_lo, s15
	s_cbranch_execz .LBB42_154
; %bb.153:
	v_div_scale_f32 v51, null, v53, v53, v52
	v_div_scale_f32 v61, vcc_lo, v52, v53, v52
	s_delay_alu instid0(VALU_DEP_2) | instskip(SKIP_1) | instid1(TRANS32_DEP_1)
	v_rcp_f32_e32 v59, v51
	v_nop
	v_fma_f32 v60, -v51, v59, 1.0
	s_delay_alu instid0(VALU_DEP_1) | instskip(NEXT) | instid1(VALU_DEP_1)
	v_fmac_f32_e32 v59, v60, v59
	v_mul_f32_e32 v60, v61, v59
	s_delay_alu instid0(VALU_DEP_1) | instskip(NEXT) | instid1(VALU_DEP_1)
	v_fma_f32 v62, -v51, v60, v61
	v_fmac_f32_e32 v60, v62, v59
	s_delay_alu instid0(VALU_DEP_1) | instskip(NEXT) | instid1(VALU_DEP_1)
	v_fma_f32 v51, -v51, v60, v61
	v_div_fmas_f32 v51, v51, v59, v60
	s_delay_alu instid0(VALU_DEP_1) | instskip(NEXT) | instid1(VALU_DEP_1)
	v_div_fixup_f32 v51, v51, v53, v52
	v_fmac_f32_e32 v53, v52, v51
	s_delay_alu instid0(VALU_DEP_1) | instskip(SKIP_1) | instid1(VALU_DEP_2)
	v_div_scale_f32 v52, null, v53, v53, 1.0
	v_div_scale_f32 v61, vcc_lo, 1.0, v53, 1.0
	v_rcp_f32_e32 v59, v52
	v_nop
	s_delay_alu instid0(TRANS32_DEP_1) | instskip(NEXT) | instid1(VALU_DEP_1)
	v_fma_f32 v60, -v52, v59, 1.0
	v_fmac_f32_e32 v59, v60, v59
	s_delay_alu instid0(VALU_DEP_1) | instskip(NEXT) | instid1(VALU_DEP_1)
	v_mul_f32_e32 v60, v61, v59
	v_fma_f32 v62, -v52, v60, v61
	s_delay_alu instid0(VALU_DEP_1) | instskip(NEXT) | instid1(VALU_DEP_1)
	v_fmac_f32_e32 v60, v62, v59
	v_fma_f32 v52, -v52, v60, v61
	s_delay_alu instid0(VALU_DEP_1) | instskip(NEXT) | instid1(VALU_DEP_1)
	v_div_fmas_f32 v52, v52, v59, v60
	v_div_fixup_f32 v53, v52, v53, 1.0
	s_delay_alu instid0(VALU_DEP_1)
	v_mul_f32_e32 v52, v51, v53
	v_xor_b32_e32 v53, 0x80000000, v53
.LBB42_154:
	s_and_not1_saveexec_b32 s1, s1
	s_cbranch_execz .LBB42_156
; %bb.155:
	s_delay_alu instid0(VALU_DEP_1) | instskip(SKIP_1) | instid1(VALU_DEP_2)
	v_div_scale_f32 v51, null, v52, v52, v53
	v_div_scale_f32 v61, vcc_lo, v53, v52, v53
	v_rcp_f32_e32 v59, v51
	v_nop
	s_delay_alu instid0(TRANS32_DEP_1) | instskip(NEXT) | instid1(VALU_DEP_1)
	v_fma_f32 v60, -v51, v59, 1.0
	v_fmac_f32_e32 v59, v60, v59
	s_delay_alu instid0(VALU_DEP_1) | instskip(NEXT) | instid1(VALU_DEP_1)
	v_mul_f32_e32 v60, v61, v59
	v_fma_f32 v62, -v51, v60, v61
	s_delay_alu instid0(VALU_DEP_1) | instskip(NEXT) | instid1(VALU_DEP_1)
	v_fmac_f32_e32 v60, v62, v59
	v_fma_f32 v51, -v51, v60, v61
	s_delay_alu instid0(VALU_DEP_1) | instskip(NEXT) | instid1(VALU_DEP_1)
	v_div_fmas_f32 v51, v51, v59, v60
	v_div_fixup_f32 v51, v51, v52, v53
	s_delay_alu instid0(VALU_DEP_1) | instskip(NEXT) | instid1(VALU_DEP_1)
	v_fmac_f32_e32 v52, v53, v51
	v_div_scale_f32 v53, null, v52, v52, 1.0
	s_delay_alu instid0(VALU_DEP_1) | instskip(SKIP_1) | instid1(TRANS32_DEP_1)
	v_rcp_f32_e32 v59, v53
	v_nop
	v_fma_f32 v60, -v53, v59, 1.0
	s_delay_alu instid0(VALU_DEP_1) | instskip(SKIP_1) | instid1(VALU_DEP_1)
	v_fmac_f32_e32 v59, v60, v59
	v_div_scale_f32 v60, vcc_lo, 1.0, v52, 1.0
	v_mul_f32_e32 v61, v60, v59
	s_delay_alu instid0(VALU_DEP_1) | instskip(NEXT) | instid1(VALU_DEP_1)
	v_fma_f32 v62, -v53, v61, v60
	v_fmac_f32_e32 v61, v62, v59
	s_delay_alu instid0(VALU_DEP_1) | instskip(NEXT) | instid1(VALU_DEP_1)
	v_fma_f32 v53, -v53, v61, v60
	v_div_fmas_f32 v53, v53, v59, v61
	s_delay_alu instid0(VALU_DEP_1) | instskip(NEXT) | instid1(VALU_DEP_1)
	v_div_fixup_f32 v52, v53, v52, 1.0
	v_mul_f32_e64 v53, v51, -v52
.LBB42_156:
	s_or_b32 exec_lo, exec_lo, s1
.LBB42_157:
	s_delay_alu instid0(SALU_CYCLE_1) | instskip(NEXT) | instid1(SALU_CYCLE_1)
	s_or_b32 exec_lo, exec_lo, s0
	s_mov_b32 s0, exec_lo
	v_cmpx_ne_u32_e64 v58, v50
	s_xor_b32 s0, exec_lo, s0
	s_cbranch_execz .LBB42_163
; %bb.158:
	s_mov_b32 s1, exec_lo
	v_cmpx_eq_u32_e32 7, v58
	s_cbranch_execz .LBB42_162
; %bb.159:
	v_cmp_ne_u32_e32 vcc_lo, 7, v50
	s_xor_b32 s15, s12, -1
	s_delay_alu instid0(SALU_CYCLE_1) | instskip(NEXT) | instid1(SALU_CYCLE_1)
	s_and_b32 s16, s15, vcc_lo
	s_and_saveexec_b32 s15, s16
	s_cbranch_execz .LBB42_161
; %bb.160:
	v_ashrrev_i32_e32 v51, 31, v50
	s_delay_alu instid0(VALU_DEP_1)
	v_lshl_add_u64 v[58:59], v[50:51], 2, v[34:35]
	s_clause 0x1
	global_load_b32 v51, v[58:59], off
	global_load_b32 v57, v[34:35], off offset:28
	s_wait_loadcnt 0x1
	global_store_b32 v[34:35], v51, off offset:28
	s_wait_loadcnt 0x0
	global_store_b32 v[58:59], v57, off
.LBB42_161:
	s_wait_xcnt 0x0
	s_or_b32 exec_lo, exec_lo, s15
	v_dual_mov_b32 v58, v50 :: v_dual_mov_b32 v57, v50
.LBB42_162:
	s_or_b32 exec_lo, exec_lo, s1
.LBB42_163:
	s_and_not1_saveexec_b32 s0, s0
	s_cbranch_execz .LBB42_165
; %bb.164:
	v_dual_mov_b32 v50, v44 :: v_dual_mov_b32 v51, v45
	v_dual_mov_b32 v58, v26 :: v_dual_mov_b32 v59, v27
	;; [unrolled: 1-line block ×4, first 2 shown]
	ds_store_2addr_b64 v54, v[50:51], v[58:59] offset0:8 offset1:9
	ds_store_2addr_b64 v54, v[60:61], v[62:63] offset0:10 offset1:11
	v_dual_mov_b32 v50, v42 :: v_dual_mov_b32 v51, v43
	v_dual_mov_b32 v60, v14 :: v_dual_mov_b32 v61, v15
	;; [unrolled: 1-line block ×9, first 2 shown]
	v_mov_b32_e32 v75, v19
	ds_store_2addr_b64 v54, v[50:51], v[60:61] offset0:12 offset1:13
	ds_store_2addr_b64 v54, v[62:63], v[64:65] offset0:14 offset1:15
	ds_store_2addr_b64 v54, v[66:67], v[68:69] offset0:16 offset1:17
	ds_store_2addr_b64 v54, v[70:71], v[72:73] offset0:18 offset1:19
	ds_store_2addr_b64 v54, v[74:75], v[48:49] offset0:20 offset1:21
.LBB42_165:
	s_or_b32 exec_lo, exec_lo, s0
	s_delay_alu instid0(SALU_CYCLE_1)
	s_mov_b32 s0, exec_lo
	s_wait_storecnt_dscnt 0x0
	s_barrier_signal -1
	s_barrier_wait -1
	v_cmpx_lt_i32_e32 7, v58
	s_cbranch_execz .LBB42_167
; %bb.166:
	v_pk_mul_f32 v[60:61], v[52:53], v[4:5] op_sel:[1,1] op_sel_hi:[0,1]
	s_delay_alu instid0(VALU_DEP_1)
	v_pk_fma_f32 v[50:51], v[52:53], v[4:5], v[60:61] op_sel_hi:[1,0,1] neg_lo:[0,0,1] neg_hi:[0,0,1]
	v_pk_fma_f32 v[52:53], v[52:53], v[4:5], v[60:61] op_sel_hi:[1,0,1]
	ds_load_2addr_b64 v[60:63], v54 offset0:8 offset1:9
	v_dual_mov_b32 v4, v50 :: v_dual_mov_b32 v5, v53
	s_wait_dscnt 0x0
	v_pk_mul_f32 v[64:65], v[60:61], v[52:53] op_sel:[0,1]
	s_delay_alu instid0(VALU_DEP_1) | instskip(SKIP_1) | instid1(VALU_DEP_1)
	v_pk_fma_f32 v[66:67], v[60:61], v[50:51], v[64:65] op_sel:[0,0,1] op_sel_hi:[1,1,0] neg_lo:[0,0,1] neg_hi:[0,0,1]
	v_pk_fma_f32 v[60:61], v[60:61], v[50:51], v[64:65] op_sel:[0,0,1] op_sel_hi:[1,0,0]
	v_mov_b32_e32 v67, v61
	v_pk_mul_f32 v[60:61], v[62:63], v[52:53] op_sel:[0,1]
	s_delay_alu instid0(VALU_DEP_1) | instskip(SKIP_1) | instid1(VALU_DEP_1)
	v_pk_fma_f32 v[64:65], v[62:63], v[50:51], v[60:61] op_sel:[0,0,1] op_sel_hi:[1,1,0] neg_lo:[0,0,1] neg_hi:[0,0,1]
	v_pk_fma_f32 v[60:61], v[62:63], v[50:51], v[60:61] op_sel:[0,0,1] op_sel_hi:[1,0,0]
	v_mov_b32_e32 v65, v61
	ds_load_2addr_b64 v[60:63], v54 offset0:10 offset1:11
	v_pk_add_f32 v[44:45], v[44:45], v[66:67] neg_lo:[0,1] neg_hi:[0,1]
	v_pk_add_f32 v[26:27], v[26:27], v[64:65] neg_lo:[0,1] neg_hi:[0,1]
	s_wait_dscnt 0x0
	v_pk_mul_f32 v[64:65], v[60:61], v[52:53] op_sel:[0,1]
	s_delay_alu instid0(VALU_DEP_1) | instskip(SKIP_2) | instid1(VALU_DEP_2)
	v_pk_fma_f32 v[66:67], v[60:61], v[50:51], v[64:65] op_sel:[0,0,1] op_sel_hi:[1,1,0] neg_lo:[0,0,1] neg_hi:[0,0,1]
	v_pk_fma_f32 v[60:61], v[60:61], v[50:51], v[64:65] op_sel:[0,0,1] op_sel_hi:[1,0,0]
	v_dual_mul_f32 v64, v63, v53 :: v_dual_mov_b32 v60, v63
	v_dual_mov_b32 v67, v61 :: v_dual_mov_b32 v61, v62
	s_delay_alu instid0(VALU_DEP_2) | instskip(SKIP_1) | instid1(VALU_DEP_3)
	v_pk_fma_f32 v[64:65], v[62:63], v[4:5], v[64:65] op_sel_hi:[1,1,0] neg_lo:[0,0,1] neg_hi:[0,0,1]
	v_mul_f32_e32 v62, v63, v50
	v_pk_add_f32 v[28:29], v[28:29], v[66:67] neg_lo:[0,1] neg_hi:[0,1]
	s_delay_alu instid0(VALU_DEP_2) | instskip(NEXT) | instid1(VALU_DEP_1)
	v_pk_fma_f32 v[60:61], v[60:61], v[4:5], v[62:63] op_sel_hi:[1,1,0]
	v_mov_b32_e32 v65, v61
	ds_load_2addr_b64 v[60:63], v54 offset0:12 offset1:13
	v_pk_add_f32 v[24:25], v[24:25], v[64:65] neg_lo:[0,1] neg_hi:[0,1]
	s_wait_dscnt 0x0
	v_pk_mul_f32 v[64:65], v[60:61], v[52:53] op_sel:[0,1]
	s_delay_alu instid0(VALU_DEP_1) | instskip(SKIP_1) | instid1(VALU_DEP_1)
	v_pk_fma_f32 v[66:67], v[60:61], v[50:51], v[64:65] op_sel:[0,0,1] op_sel_hi:[1,1,0] neg_lo:[0,0,1] neg_hi:[0,0,1]
	v_pk_fma_f32 v[60:61], v[60:61], v[50:51], v[64:65] op_sel:[0,0,1] op_sel_hi:[1,0,0]
	v_mov_b32_e32 v67, v61
	v_pk_mul_f32 v[60:61], v[62:63], v[52:53] op_sel:[0,1]
	s_delay_alu instid0(VALU_DEP_1) | instskip(SKIP_1) | instid1(VALU_DEP_1)
	v_pk_fma_f32 v[64:65], v[62:63], v[50:51], v[60:61] op_sel:[0,0,1] op_sel_hi:[1,1,0] neg_lo:[0,0,1] neg_hi:[0,0,1]
	v_pk_fma_f32 v[60:61], v[62:63], v[50:51], v[60:61] op_sel:[0,0,1] op_sel_hi:[1,0,0]
	v_mov_b32_e32 v65, v61
	ds_load_2addr_b64 v[60:63], v54 offset0:14 offset1:15
	v_pk_add_f32 v[42:43], v[42:43], v[66:67] neg_lo:[0,1] neg_hi:[0,1]
	v_pk_add_f32 v[14:15], v[14:15], v[64:65] neg_lo:[0,1] neg_hi:[0,1]
	s_wait_dscnt 0x0
	v_pk_mul_f32 v[64:65], v[60:61], v[52:53] op_sel:[0,1]
	s_delay_alu instid0(VALU_DEP_1) | instskip(SKIP_1) | instid1(VALU_DEP_1)
	v_pk_fma_f32 v[66:67], v[60:61], v[50:51], v[64:65] op_sel:[0,0,1] op_sel_hi:[1,1,0] neg_lo:[0,0,1] neg_hi:[0,0,1]
	v_pk_fma_f32 v[60:61], v[60:61], v[50:51], v[64:65] op_sel:[0,0,1] op_sel_hi:[1,0,0]
	v_mov_b32_e32 v67, v61
	v_pk_mul_f32 v[60:61], v[62:63], v[52:53] op_sel:[0,1]
	s_delay_alu instid0(VALU_DEP_1) | instskip(SKIP_1) | instid1(VALU_DEP_1)
	v_pk_fma_f32 v[64:65], v[62:63], v[50:51], v[60:61] op_sel:[0,0,1] op_sel_hi:[1,1,0] neg_lo:[0,0,1] neg_hi:[0,0,1]
	v_pk_fma_f32 v[60:61], v[62:63], v[50:51], v[60:61] op_sel:[0,0,1] op_sel_hi:[1,0,0]
	v_mov_b32_e32 v65, v61
	ds_load_2addr_b64 v[60:63], v54 offset0:16 offset1:17
	v_pk_add_f32 v[16:17], v[16:17], v[66:67] neg_lo:[0,1] neg_hi:[0,1]
	v_pk_add_f32 v[12:13], v[12:13], v[64:65] neg_lo:[0,1] neg_hi:[0,1]
	s_wait_dscnt 0x0
	v_dual_mul_f32 v64, v61, v53 :: v_dual_mul_f32 v66, v61, v50
	s_delay_alu instid0(VALU_DEP_1) | instskip(NEXT) | instid1(VALU_DEP_2)
	v_pk_fma_f32 v[64:65], v[60:61], v[4:5], v[64:65] op_sel_hi:[1,1,0] neg_lo:[0,0,1] neg_hi:[0,0,1]
	v_pk_fma_f32 v[60:61], v[60:61], v[4:5], v[66:67] op_sel:[1,0,0] op_sel_hi:[0,1,0]
	s_delay_alu instid0(VALU_DEP_1) | instskip(SKIP_1) | instid1(VALU_DEP_2)
	v_mov_b32_e32 v65, v61
	v_pk_mul_f32 v[60:61], v[62:63], v[52:53] op_sel:[0,1]
	v_pk_add_f32 v[32:33], v[32:33], v[64:65] neg_lo:[0,1] neg_hi:[0,1]
	s_delay_alu instid0(VALU_DEP_2) | instskip(SKIP_1) | instid1(VALU_DEP_1)
	v_pk_fma_f32 v[64:65], v[62:63], v[50:51], v[60:61] op_sel:[0,0,1] op_sel_hi:[1,1,0] neg_lo:[0,0,1] neg_hi:[0,0,1]
	v_pk_fma_f32 v[60:61], v[62:63], v[50:51], v[60:61] op_sel:[0,0,1] op_sel_hi:[1,0,0]
	v_mov_b32_e32 v65, v61
	ds_load_2addr_b64 v[60:63], v54 offset0:18 offset1:19
	v_pk_add_f32 v[10:11], v[10:11], v[64:65] neg_lo:[0,1] neg_hi:[0,1]
	s_wait_dscnt 0x0
	v_pk_mul_f32 v[64:65], v[60:61], v[52:53] op_sel:[0,1]
	s_delay_alu instid0(VALU_DEP_1) | instskip(SKIP_1) | instid1(VALU_DEP_1)
	v_pk_fma_f32 v[66:67], v[60:61], v[50:51], v[64:65] op_sel:[0,0,1] op_sel_hi:[1,1,0] neg_lo:[0,0,1] neg_hi:[0,0,1]
	v_pk_fma_f32 v[60:61], v[60:61], v[50:51], v[64:65] op_sel:[0,0,1] op_sel_hi:[1,0,0]
	v_mov_b32_e32 v67, v61
	v_pk_mul_f32 v[60:61], v[62:63], v[52:53] op_sel:[0,1]
	s_delay_alu instid0(VALU_DEP_2) | instskip(NEXT) | instid1(VALU_DEP_2)
	v_pk_add_f32 v[30:31], v[30:31], v[66:67] neg_lo:[0,1] neg_hi:[0,1]
	v_pk_fma_f32 v[64:65], v[62:63], v[50:51], v[60:61] op_sel:[0,0,1] op_sel_hi:[1,1,0] neg_lo:[0,0,1] neg_hi:[0,0,1]
	v_pk_fma_f32 v[60:61], v[62:63], v[50:51], v[60:61] op_sel:[0,0,1] op_sel_hi:[1,0,0]
	s_delay_alu instid0(VALU_DEP_1)
	v_mov_b32_e32 v65, v61
	ds_load_2addr_b64 v[60:63], v54 offset0:20 offset1:21
	v_pk_add_f32 v[22:23], v[22:23], v[64:65] neg_lo:[0,1] neg_hi:[0,1]
	s_wait_dscnt 0x0
	v_pk_mul_f32 v[64:65], v[60:61], v[52:53] op_sel:[0,1]
	v_pk_mul_f32 v[52:53], v[62:63], v[52:53] op_sel:[0,1]
	s_delay_alu instid0(VALU_DEP_2) | instskip(SKIP_1) | instid1(VALU_DEP_1)
	v_pk_fma_f32 v[66:67], v[60:61], v[50:51], v[64:65] op_sel:[0,0,1] op_sel_hi:[1,1,0] neg_lo:[0,0,1] neg_hi:[0,0,1]
	v_pk_fma_f32 v[60:61], v[60:61], v[50:51], v[64:65] op_sel:[0,0,1] op_sel_hi:[1,0,0]
	v_mov_b32_e32 v67, v61
	s_delay_alu instid0(VALU_DEP_4) | instskip(SKIP_1) | instid1(VALU_DEP_3)
	v_pk_fma_f32 v[60:61], v[62:63], v[50:51], v[52:53] op_sel:[0,0,1] op_sel_hi:[1,1,0] neg_lo:[0,0,1] neg_hi:[0,0,1]
	v_pk_fma_f32 v[50:51], v[62:63], v[50:51], v[52:53] op_sel:[0,0,1] op_sel_hi:[1,0,0]
	v_pk_add_f32 v[18:19], v[18:19], v[66:67] neg_lo:[0,1] neg_hi:[0,1]
	s_delay_alu instid0(VALU_DEP_2) | instskip(NEXT) | instid1(VALU_DEP_1)
	v_mov_b32_e32 v61, v51
	v_pk_add_f32 v[48:49], v[48:49], v[60:61] neg_lo:[0,1] neg_hi:[0,1]
.LBB42_167:
	s_or_b32 exec_lo, exec_lo, s0
	v_lshl_add_u32 v50, v58, 3, v54
	s_barrier_signal -1
	s_barrier_wait -1
	ds_store_b64 v50, v[44:45]
	s_wait_dscnt 0x0
	s_barrier_signal -1
	s_barrier_wait -1
	ds_load_b64 v[50:51], v54 offset:64
	v_mov_b32_e32 v52, 8
	s_cmp_lt_i32 s14, 10
	s_cbranch_scc1 .LBB42_170
; %bb.168:
	v_add3_u32 v53, v55, 0, 0x48
	v_mov_b32_e32 v52, 8
	s_mov_b32 s0, 9
.LBB42_169:                             ; =>This Inner Loop Header: Depth=1
	ds_load_b64 v[60:61], v53
	s_wait_dscnt 0x1
	v_cmp_gt_f32_e32 vcc_lo, 0, v50
	v_cndmask_b32_e64 v62, v50, -v50, vcc_lo
	v_cmp_gt_f32_e32 vcc_lo, 0, v51
	v_cndmask_b32_e64 v64, v51, -v51, vcc_lo
	s_wait_dscnt 0x0
	v_cmp_gt_f32_e32 vcc_lo, 0, v60
	v_cndmask_b32_e64 v63, v60, -v60, vcc_lo
	v_cmp_gt_f32_e32 vcc_lo, 0, v61
	v_cndmask_b32_e64 v65, v61, -v61, vcc_lo
	s_delay_alu instid0(VALU_DEP_1) | instskip(NEXT) | instid1(VALU_DEP_1)
	v_pk_add_f32 v[62:63], v[62:63], v[64:65]
	v_cmp_lt_f32_e32 vcc_lo, v62, v63
	v_dual_cndmask_b32 v50, v50, v60 :: v_dual_add_nc_u32 v53, 8, v53
	v_cndmask_b32_e32 v51, v51, v61, vcc_lo
	v_cndmask_b32_e64 v52, v52, s0, vcc_lo
	s_add_co_i32 s0, s0, 1
	s_delay_alu instid0(SALU_CYCLE_1)
	s_cmp_lg_u32 s14, s0
	s_cbranch_scc1 .LBB42_169
.LBB42_170:
	s_wait_dscnt 0x0
	v_cmp_eq_f32_e32 vcc_lo, 0, v50
	v_cmp_eq_f32_e64 s0, 0, v51
	s_and_b32 s0, vcc_lo, s0
	s_delay_alu instid0(SALU_CYCLE_1) | instskip(NEXT) | instid1(SALU_CYCLE_1)
	s_and_saveexec_b32 s1, s0
	s_xor_b32 s0, exec_lo, s1
; %bb.171:
	v_cmp_ne_u32_e32 vcc_lo, 0, v56
	v_cndmask_b32_e32 v56, 9, v56, vcc_lo
; %bb.172:
	s_and_not1_saveexec_b32 s0, s0
	s_cbranch_execz .LBB42_178
; %bb.173:
	v_cmp_ngt_f32_e64 s1, |v50|, |v51|
	s_and_saveexec_b32 s15, s1
	s_delay_alu instid0(SALU_CYCLE_1)
	s_xor_b32 s1, exec_lo, s15
	s_cbranch_execz .LBB42_175
; %bb.174:
	v_div_scale_f32 v53, null, v51, v51, v50
	v_div_scale_f32 v61, vcc_lo, v50, v51, v50
	s_delay_alu instid0(VALU_DEP_2) | instskip(SKIP_1) | instid1(TRANS32_DEP_1)
	v_rcp_f32_e32 v59, v53
	v_nop
	v_fma_f32 v60, -v53, v59, 1.0
	s_delay_alu instid0(VALU_DEP_1) | instskip(NEXT) | instid1(VALU_DEP_1)
	v_fmac_f32_e32 v59, v60, v59
	v_mul_f32_e32 v60, v61, v59
	s_delay_alu instid0(VALU_DEP_1) | instskip(NEXT) | instid1(VALU_DEP_1)
	v_fma_f32 v62, -v53, v60, v61
	v_fmac_f32_e32 v60, v62, v59
	s_delay_alu instid0(VALU_DEP_1) | instskip(NEXT) | instid1(VALU_DEP_1)
	v_fma_f32 v53, -v53, v60, v61
	v_div_fmas_f32 v53, v53, v59, v60
	s_delay_alu instid0(VALU_DEP_1) | instskip(NEXT) | instid1(VALU_DEP_1)
	v_div_fixup_f32 v53, v53, v51, v50
	v_fmac_f32_e32 v51, v50, v53
	s_delay_alu instid0(VALU_DEP_1) | instskip(SKIP_1) | instid1(VALU_DEP_2)
	v_div_scale_f32 v50, null, v51, v51, 1.0
	v_div_scale_f32 v61, vcc_lo, 1.0, v51, 1.0
	v_rcp_f32_e32 v59, v50
	v_nop
	s_delay_alu instid0(TRANS32_DEP_1) | instskip(NEXT) | instid1(VALU_DEP_1)
	v_fma_f32 v60, -v50, v59, 1.0
	v_fmac_f32_e32 v59, v60, v59
	s_delay_alu instid0(VALU_DEP_1) | instskip(NEXT) | instid1(VALU_DEP_1)
	v_mul_f32_e32 v60, v61, v59
	v_fma_f32 v62, -v50, v60, v61
	s_delay_alu instid0(VALU_DEP_1) | instskip(NEXT) | instid1(VALU_DEP_1)
	v_fmac_f32_e32 v60, v62, v59
	v_fma_f32 v50, -v50, v60, v61
	s_delay_alu instid0(VALU_DEP_1) | instskip(NEXT) | instid1(VALU_DEP_1)
	v_div_fmas_f32 v50, v50, v59, v60
	v_div_fixup_f32 v51, v50, v51, 1.0
	s_delay_alu instid0(VALU_DEP_1)
	v_mul_f32_e32 v50, v53, v51
	v_xor_b32_e32 v51, 0x80000000, v51
.LBB42_175:
	s_and_not1_saveexec_b32 s1, s1
	s_cbranch_execz .LBB42_177
; %bb.176:
	s_delay_alu instid0(VALU_DEP_1) | instskip(SKIP_1) | instid1(VALU_DEP_2)
	v_div_scale_f32 v53, null, v50, v50, v51
	v_div_scale_f32 v61, vcc_lo, v51, v50, v51
	v_rcp_f32_e32 v59, v53
	v_nop
	s_delay_alu instid0(TRANS32_DEP_1) | instskip(NEXT) | instid1(VALU_DEP_1)
	v_fma_f32 v60, -v53, v59, 1.0
	v_fmac_f32_e32 v59, v60, v59
	s_delay_alu instid0(VALU_DEP_1) | instskip(NEXT) | instid1(VALU_DEP_1)
	v_mul_f32_e32 v60, v61, v59
	v_fma_f32 v62, -v53, v60, v61
	s_delay_alu instid0(VALU_DEP_1) | instskip(NEXT) | instid1(VALU_DEP_1)
	v_fmac_f32_e32 v60, v62, v59
	v_fma_f32 v53, -v53, v60, v61
	s_delay_alu instid0(VALU_DEP_1) | instskip(NEXT) | instid1(VALU_DEP_1)
	v_div_fmas_f32 v53, v53, v59, v60
	v_div_fixup_f32 v53, v53, v50, v51
	s_delay_alu instid0(VALU_DEP_1) | instskip(NEXT) | instid1(VALU_DEP_1)
	v_fmac_f32_e32 v50, v51, v53
	v_div_scale_f32 v51, null, v50, v50, 1.0
	s_delay_alu instid0(VALU_DEP_1) | instskip(SKIP_1) | instid1(TRANS32_DEP_1)
	v_rcp_f32_e32 v59, v51
	v_nop
	v_fma_f32 v60, -v51, v59, 1.0
	s_delay_alu instid0(VALU_DEP_1) | instskip(SKIP_1) | instid1(VALU_DEP_1)
	v_fmac_f32_e32 v59, v60, v59
	v_div_scale_f32 v60, vcc_lo, 1.0, v50, 1.0
	v_mul_f32_e32 v61, v60, v59
	s_delay_alu instid0(VALU_DEP_1) | instskip(NEXT) | instid1(VALU_DEP_1)
	v_fma_f32 v62, -v51, v61, v60
	v_fmac_f32_e32 v61, v62, v59
	s_delay_alu instid0(VALU_DEP_1) | instskip(NEXT) | instid1(VALU_DEP_1)
	v_fma_f32 v51, -v51, v61, v60
	v_div_fmas_f32 v51, v51, v59, v61
	s_delay_alu instid0(VALU_DEP_1) | instskip(NEXT) | instid1(VALU_DEP_1)
	v_div_fixup_f32 v50, v51, v50, 1.0
	v_mul_f32_e64 v51, v53, -v50
.LBB42_177:
	s_or_b32 exec_lo, exec_lo, s1
.LBB42_178:
	s_delay_alu instid0(SALU_CYCLE_1) | instskip(NEXT) | instid1(SALU_CYCLE_1)
	s_or_b32 exec_lo, exec_lo, s0
	s_mov_b32 s0, exec_lo
	v_cmpx_ne_u32_e64 v58, v52
	s_xor_b32 s0, exec_lo, s0
	s_cbranch_execz .LBB42_184
; %bb.179:
	s_mov_b32 s1, exec_lo
	v_cmpx_eq_u32_e32 8, v58
	s_cbranch_execz .LBB42_183
; %bb.180:
	v_cmp_ne_u32_e32 vcc_lo, 8, v52
	s_xor_b32 s15, s12, -1
	s_delay_alu instid0(SALU_CYCLE_1) | instskip(NEXT) | instid1(SALU_CYCLE_1)
	s_and_b32 s16, s15, vcc_lo
	s_and_saveexec_b32 s15, s16
	s_cbranch_execz .LBB42_182
; %bb.181:
	v_ashrrev_i32_e32 v53, 31, v52
	s_delay_alu instid0(VALU_DEP_1)
	v_lshl_add_u64 v[58:59], v[52:53], 2, v[34:35]
	s_clause 0x1
	global_load_b32 v53, v[58:59], off
	global_load_b32 v57, v[34:35], off offset:32
	s_wait_loadcnt 0x1
	global_store_b32 v[34:35], v53, off offset:32
	s_wait_loadcnt 0x0
	global_store_b32 v[58:59], v57, off
.LBB42_182:
	s_wait_xcnt 0x0
	s_or_b32 exec_lo, exec_lo, s15
	v_dual_mov_b32 v58, v52 :: v_dual_mov_b32 v57, v52
.LBB42_183:
	s_or_b32 exec_lo, exec_lo, s1
.LBB42_184:
	s_and_not1_saveexec_b32 s0, s0
	s_cbranch_execz .LBB42_186
; %bb.185:
	v_mov_b32_e32 v58, 8
	ds_store_2addr_b64 v54, v[26:27], v[28:29] offset0:9 offset1:10
	ds_store_2addr_b64 v54, v[24:25], v[42:43] offset0:11 offset1:12
	;; [unrolled: 1-line block ×6, first 2 shown]
	ds_store_b64 v54, v[48:49] offset:168
.LBB42_186:
	s_or_b32 exec_lo, exec_lo, s0
	s_delay_alu instid0(SALU_CYCLE_1)
	s_mov_b32 s0, exec_lo
	s_wait_storecnt_dscnt 0x0
	s_barrier_signal -1
	s_barrier_wait -1
	v_cmpx_lt_i32_e32 8, v58
	s_cbranch_execz .LBB42_188
; %bb.187:
	v_pk_mul_f32 v[52:53], v[50:51], v[44:45] op_sel:[1,1] op_sel_hi:[0,1]
	s_delay_alu instid0(VALU_DEP_1)
	v_pk_fma_f32 v[60:61], v[50:51], v[44:45], v[52:53] op_sel_hi:[1,0,1] neg_lo:[0,0,1] neg_hi:[0,0,1]
	v_pk_fma_f32 v[62:63], v[50:51], v[44:45], v[52:53] op_sel_hi:[1,0,1]
	ds_load_2addr_b64 v[50:53], v54 offset0:9 offset1:10
	v_dual_mov_b32 v44, v60 :: v_dual_mov_b32 v45, v63
	s_wait_dscnt 0x0
	v_pk_mul_f32 v[64:65], v[50:51], v[62:63] op_sel:[0,1]
	s_delay_alu instid0(VALU_DEP_1) | instskip(SKIP_1) | instid1(VALU_DEP_1)
	v_pk_fma_f32 v[66:67], v[50:51], v[60:61], v[64:65] op_sel:[0,0,1] op_sel_hi:[1,1,0] neg_lo:[0,0,1] neg_hi:[0,0,1]
	v_pk_fma_f32 v[50:51], v[50:51], v[60:61], v[64:65] op_sel:[0,0,1] op_sel_hi:[1,0,0]
	v_mov_b32_e32 v67, v51
	v_pk_mul_f32 v[50:51], v[52:53], v[62:63] op_sel:[0,1]
	s_delay_alu instid0(VALU_DEP_1) | instskip(SKIP_1) | instid1(VALU_DEP_1)
	v_pk_fma_f32 v[64:65], v[52:53], v[60:61], v[50:51] op_sel:[0,0,1] op_sel_hi:[1,1,0] neg_lo:[0,0,1] neg_hi:[0,0,1]
	v_pk_fma_f32 v[50:51], v[52:53], v[60:61], v[50:51] op_sel:[0,0,1] op_sel_hi:[1,0,0]
	v_mov_b32_e32 v65, v51
	ds_load_2addr_b64 v[50:53], v54 offset0:11 offset1:12
	v_pk_add_f32 v[26:27], v[26:27], v[66:67] neg_lo:[0,1] neg_hi:[0,1]
	v_pk_add_f32 v[28:29], v[28:29], v[64:65] neg_lo:[0,1] neg_hi:[0,1]
	s_wait_dscnt 0x0
	v_pk_mul_f32 v[64:65], v[50:51], v[62:63] op_sel:[0,1]
	s_delay_alu instid0(VALU_DEP_1) | instskip(SKIP_2) | instid1(VALU_DEP_2)
	v_pk_fma_f32 v[66:67], v[50:51], v[60:61], v[64:65] op_sel:[0,0,1] op_sel_hi:[1,1,0] neg_lo:[0,0,1] neg_hi:[0,0,1]
	v_pk_fma_f32 v[50:51], v[50:51], v[60:61], v[64:65] op_sel:[0,0,1] op_sel_hi:[1,0,0]
	v_dual_mul_f32 v64, v53, v63 :: v_dual_mov_b32 v50, v53
	v_dual_mov_b32 v67, v51 :: v_dual_mov_b32 v51, v52
	s_delay_alu instid0(VALU_DEP_2) | instskip(SKIP_1) | instid1(VALU_DEP_3)
	v_pk_fma_f32 v[64:65], v[52:53], v[44:45], v[64:65] op_sel_hi:[1,1,0] neg_lo:[0,0,1] neg_hi:[0,0,1]
	v_mul_f32_e32 v52, v53, v60
	v_pk_add_f32 v[24:25], v[24:25], v[66:67] neg_lo:[0,1] neg_hi:[0,1]
	s_delay_alu instid0(VALU_DEP_2) | instskip(NEXT) | instid1(VALU_DEP_1)
	v_pk_fma_f32 v[50:51], v[50:51], v[44:45], v[52:53] op_sel_hi:[1,1,0]
	v_mov_b32_e32 v65, v51
	ds_load_2addr_b64 v[50:53], v54 offset0:13 offset1:14
	v_pk_add_f32 v[42:43], v[42:43], v[64:65] neg_lo:[0,1] neg_hi:[0,1]
	s_wait_dscnt 0x0
	v_pk_mul_f32 v[64:65], v[50:51], v[62:63] op_sel:[0,1]
	s_delay_alu instid0(VALU_DEP_1) | instskip(SKIP_1) | instid1(VALU_DEP_1)
	v_pk_fma_f32 v[66:67], v[50:51], v[60:61], v[64:65] op_sel:[0,0,1] op_sel_hi:[1,1,0] neg_lo:[0,0,1] neg_hi:[0,0,1]
	v_pk_fma_f32 v[50:51], v[50:51], v[60:61], v[64:65] op_sel:[0,0,1] op_sel_hi:[1,0,0]
	v_mov_b32_e32 v67, v51
	v_pk_mul_f32 v[50:51], v[52:53], v[62:63] op_sel:[0,1]
	s_delay_alu instid0(VALU_DEP_1) | instskip(SKIP_1) | instid1(VALU_DEP_1)
	v_pk_fma_f32 v[64:65], v[52:53], v[60:61], v[50:51] op_sel:[0,0,1] op_sel_hi:[1,1,0] neg_lo:[0,0,1] neg_hi:[0,0,1]
	v_pk_fma_f32 v[50:51], v[52:53], v[60:61], v[50:51] op_sel:[0,0,1] op_sel_hi:[1,0,0]
	v_mov_b32_e32 v65, v51
	ds_load_2addr_b64 v[50:53], v54 offset0:15 offset1:16
	v_pk_add_f32 v[14:15], v[14:15], v[66:67] neg_lo:[0,1] neg_hi:[0,1]
	v_pk_add_f32 v[16:17], v[16:17], v[64:65] neg_lo:[0,1] neg_hi:[0,1]
	s_wait_dscnt 0x0
	v_pk_mul_f32 v[64:65], v[50:51], v[62:63] op_sel:[0,1]
	s_delay_alu instid0(VALU_DEP_1) | instskip(SKIP_1) | instid1(VALU_DEP_1)
	v_pk_fma_f32 v[66:67], v[50:51], v[60:61], v[64:65] op_sel:[0,0,1] op_sel_hi:[1,1,0] neg_lo:[0,0,1] neg_hi:[0,0,1]
	v_pk_fma_f32 v[50:51], v[50:51], v[60:61], v[64:65] op_sel:[0,0,1] op_sel_hi:[1,0,0]
	v_mov_b32_e32 v67, v51
	v_pk_mul_f32 v[50:51], v[52:53], v[62:63] op_sel:[0,1]
	s_delay_alu instid0(VALU_DEP_1) | instskip(SKIP_1) | instid1(VALU_DEP_1)
	v_pk_fma_f32 v[64:65], v[52:53], v[60:61], v[50:51] op_sel:[0,0,1] op_sel_hi:[1,1,0] neg_lo:[0,0,1] neg_hi:[0,0,1]
	v_pk_fma_f32 v[50:51], v[52:53], v[60:61], v[50:51] op_sel:[0,0,1] op_sel_hi:[1,0,0]
	v_mov_b32_e32 v65, v51
	ds_load_2addr_b64 v[50:53], v54 offset0:17 offset1:18
	v_pk_add_f32 v[12:13], v[12:13], v[66:67] neg_lo:[0,1] neg_hi:[0,1]
	v_pk_add_f32 v[32:33], v[32:33], v[64:65] neg_lo:[0,1] neg_hi:[0,1]
	s_wait_dscnt 0x0
	v_dual_mul_f32 v64, v51, v63 :: v_dual_mul_f32 v66, v51, v60
	s_delay_alu instid0(VALU_DEP_1) | instskip(NEXT) | instid1(VALU_DEP_2)
	v_pk_fma_f32 v[64:65], v[50:51], v[44:45], v[64:65] op_sel_hi:[1,1,0] neg_lo:[0,0,1] neg_hi:[0,0,1]
	v_pk_fma_f32 v[50:51], v[50:51], v[44:45], v[66:67] op_sel:[1,0,0] op_sel_hi:[0,1,0]
	s_delay_alu instid0(VALU_DEP_1) | instskip(SKIP_1) | instid1(VALU_DEP_2)
	v_mov_b32_e32 v65, v51
	v_pk_mul_f32 v[50:51], v[52:53], v[62:63] op_sel:[0,1]
	v_pk_add_f32 v[10:11], v[10:11], v[64:65] neg_lo:[0,1] neg_hi:[0,1]
	s_delay_alu instid0(VALU_DEP_2) | instskip(SKIP_1) | instid1(VALU_DEP_1)
	v_pk_fma_f32 v[64:65], v[52:53], v[60:61], v[50:51] op_sel:[0,0,1] op_sel_hi:[1,1,0] neg_lo:[0,0,1] neg_hi:[0,0,1]
	v_pk_fma_f32 v[50:51], v[52:53], v[60:61], v[50:51] op_sel:[0,0,1] op_sel_hi:[1,0,0]
	v_mov_b32_e32 v65, v51
	ds_load_2addr_b64 v[50:53], v54 offset0:19 offset1:20
	v_pk_add_f32 v[30:31], v[30:31], v[64:65] neg_lo:[0,1] neg_hi:[0,1]
	s_wait_dscnt 0x0
	v_pk_mul_f32 v[64:65], v[50:51], v[62:63] op_sel:[0,1]
	s_delay_alu instid0(VALU_DEP_1) | instskip(SKIP_1) | instid1(VALU_DEP_1)
	v_pk_fma_f32 v[66:67], v[50:51], v[60:61], v[64:65] op_sel:[0,0,1] op_sel_hi:[1,1,0] neg_lo:[0,0,1] neg_hi:[0,0,1]
	v_pk_fma_f32 v[50:51], v[50:51], v[60:61], v[64:65] op_sel:[0,0,1] op_sel_hi:[1,0,0]
	v_mov_b32_e32 v67, v51
	v_pk_mul_f32 v[50:51], v[52:53], v[62:63] op_sel:[0,1]
	s_delay_alu instid0(VALU_DEP_2) | instskip(NEXT) | instid1(VALU_DEP_2)
	v_pk_add_f32 v[22:23], v[22:23], v[66:67] neg_lo:[0,1] neg_hi:[0,1]
	v_pk_fma_f32 v[64:65], v[52:53], v[60:61], v[50:51] op_sel:[0,0,1] op_sel_hi:[1,1,0] neg_lo:[0,0,1] neg_hi:[0,0,1]
	v_pk_fma_f32 v[50:51], v[52:53], v[60:61], v[50:51] op_sel:[0,0,1] op_sel_hi:[1,0,0]
	s_delay_alu instid0(VALU_DEP_1) | instskip(SKIP_4) | instid1(VALU_DEP_1)
	v_mov_b32_e32 v65, v51
	ds_load_b64 v[50:51], v54 offset:168
	v_pk_add_f32 v[18:19], v[18:19], v[64:65] neg_lo:[0,1] neg_hi:[0,1]
	s_wait_dscnt 0x0
	v_pk_mul_f32 v[52:53], v[50:51], v[62:63] op_sel:[0,1]
	v_pk_fma_f32 v[62:63], v[50:51], v[60:61], v[52:53] op_sel:[0,0,1] op_sel_hi:[1,1,0] neg_lo:[0,0,1] neg_hi:[0,0,1]
	v_pk_fma_f32 v[50:51], v[50:51], v[60:61], v[52:53] op_sel:[0,0,1] op_sel_hi:[1,0,0]
	s_delay_alu instid0(VALU_DEP_1) | instskip(NEXT) | instid1(VALU_DEP_1)
	v_mov_b32_e32 v63, v51
	v_pk_add_f32 v[48:49], v[48:49], v[62:63] neg_lo:[0,1] neg_hi:[0,1]
.LBB42_188:
	s_or_b32 exec_lo, exec_lo, s0
	v_lshl_add_u32 v50, v58, 3, v54
	s_barrier_signal -1
	s_barrier_wait -1
	ds_store_b64 v50, v[26:27]
	s_wait_dscnt 0x0
	s_barrier_signal -1
	s_barrier_wait -1
	ds_load_b64 v[50:51], v54 offset:72
	v_mov_b32_e32 v52, 9
	s_cmp_lt_i32 s14, 11
	s_cbranch_scc1 .LBB42_191
; %bb.189:
	v_add3_u32 v53, v55, 0, 0x50
	v_mov_b32_e32 v52, 9
	s_mov_b32 s0, 10
.LBB42_190:                             ; =>This Inner Loop Header: Depth=1
	ds_load_b64 v[60:61], v53
	s_wait_dscnt 0x1
	v_cmp_gt_f32_e32 vcc_lo, 0, v50
	v_cndmask_b32_e64 v62, v50, -v50, vcc_lo
	v_cmp_gt_f32_e32 vcc_lo, 0, v51
	v_cndmask_b32_e64 v64, v51, -v51, vcc_lo
	s_wait_dscnt 0x0
	v_cmp_gt_f32_e32 vcc_lo, 0, v60
	v_cndmask_b32_e64 v63, v60, -v60, vcc_lo
	v_cmp_gt_f32_e32 vcc_lo, 0, v61
	v_cndmask_b32_e64 v65, v61, -v61, vcc_lo
	s_delay_alu instid0(VALU_DEP_1) | instskip(NEXT) | instid1(VALU_DEP_1)
	v_pk_add_f32 v[62:63], v[62:63], v[64:65]
	v_cmp_lt_f32_e32 vcc_lo, v62, v63
	v_dual_cndmask_b32 v50, v50, v60 :: v_dual_add_nc_u32 v53, 8, v53
	v_cndmask_b32_e32 v51, v51, v61, vcc_lo
	v_cndmask_b32_e64 v52, v52, s0, vcc_lo
	s_add_co_i32 s0, s0, 1
	s_delay_alu instid0(SALU_CYCLE_1)
	s_cmp_lg_u32 s14, s0
	s_cbranch_scc1 .LBB42_190
.LBB42_191:
	s_wait_dscnt 0x0
	v_cmp_eq_f32_e32 vcc_lo, 0, v50
	v_cmp_eq_f32_e64 s0, 0, v51
	s_and_b32 s0, vcc_lo, s0
	s_delay_alu instid0(SALU_CYCLE_1) | instskip(NEXT) | instid1(SALU_CYCLE_1)
	s_and_saveexec_b32 s1, s0
	s_xor_b32 s0, exec_lo, s1
; %bb.192:
	v_cmp_ne_u32_e32 vcc_lo, 0, v56
	v_cndmask_b32_e32 v56, 10, v56, vcc_lo
; %bb.193:
	s_and_not1_saveexec_b32 s0, s0
	s_cbranch_execz .LBB42_199
; %bb.194:
	v_cmp_ngt_f32_e64 s1, |v50|, |v51|
	s_and_saveexec_b32 s15, s1
	s_delay_alu instid0(SALU_CYCLE_1)
	s_xor_b32 s1, exec_lo, s15
	s_cbranch_execz .LBB42_196
; %bb.195:
	v_div_scale_f32 v53, null, v51, v51, v50
	v_div_scale_f32 v61, vcc_lo, v50, v51, v50
	s_delay_alu instid0(VALU_DEP_2) | instskip(SKIP_1) | instid1(TRANS32_DEP_1)
	v_rcp_f32_e32 v59, v53
	v_nop
	v_fma_f32 v60, -v53, v59, 1.0
	s_delay_alu instid0(VALU_DEP_1) | instskip(NEXT) | instid1(VALU_DEP_1)
	v_fmac_f32_e32 v59, v60, v59
	v_mul_f32_e32 v60, v61, v59
	s_delay_alu instid0(VALU_DEP_1) | instskip(NEXT) | instid1(VALU_DEP_1)
	v_fma_f32 v62, -v53, v60, v61
	v_fmac_f32_e32 v60, v62, v59
	s_delay_alu instid0(VALU_DEP_1) | instskip(NEXT) | instid1(VALU_DEP_1)
	v_fma_f32 v53, -v53, v60, v61
	v_div_fmas_f32 v53, v53, v59, v60
	s_delay_alu instid0(VALU_DEP_1) | instskip(NEXT) | instid1(VALU_DEP_1)
	v_div_fixup_f32 v53, v53, v51, v50
	v_fmac_f32_e32 v51, v50, v53
	s_delay_alu instid0(VALU_DEP_1) | instskip(SKIP_1) | instid1(VALU_DEP_2)
	v_div_scale_f32 v50, null, v51, v51, 1.0
	v_div_scale_f32 v61, vcc_lo, 1.0, v51, 1.0
	v_rcp_f32_e32 v59, v50
	v_nop
	s_delay_alu instid0(TRANS32_DEP_1) | instskip(NEXT) | instid1(VALU_DEP_1)
	v_fma_f32 v60, -v50, v59, 1.0
	v_fmac_f32_e32 v59, v60, v59
	s_delay_alu instid0(VALU_DEP_1) | instskip(NEXT) | instid1(VALU_DEP_1)
	v_mul_f32_e32 v60, v61, v59
	v_fma_f32 v62, -v50, v60, v61
	s_delay_alu instid0(VALU_DEP_1) | instskip(NEXT) | instid1(VALU_DEP_1)
	v_fmac_f32_e32 v60, v62, v59
	v_fma_f32 v50, -v50, v60, v61
	s_delay_alu instid0(VALU_DEP_1) | instskip(NEXT) | instid1(VALU_DEP_1)
	v_div_fmas_f32 v50, v50, v59, v60
	v_div_fixup_f32 v51, v50, v51, 1.0
	s_delay_alu instid0(VALU_DEP_1)
	v_mul_f32_e32 v50, v53, v51
	v_xor_b32_e32 v51, 0x80000000, v51
.LBB42_196:
	s_and_not1_saveexec_b32 s1, s1
	s_cbranch_execz .LBB42_198
; %bb.197:
	s_delay_alu instid0(VALU_DEP_1) | instskip(SKIP_1) | instid1(VALU_DEP_2)
	v_div_scale_f32 v53, null, v50, v50, v51
	v_div_scale_f32 v61, vcc_lo, v51, v50, v51
	v_rcp_f32_e32 v59, v53
	v_nop
	s_delay_alu instid0(TRANS32_DEP_1) | instskip(NEXT) | instid1(VALU_DEP_1)
	v_fma_f32 v60, -v53, v59, 1.0
	v_fmac_f32_e32 v59, v60, v59
	s_delay_alu instid0(VALU_DEP_1) | instskip(NEXT) | instid1(VALU_DEP_1)
	v_mul_f32_e32 v60, v61, v59
	v_fma_f32 v62, -v53, v60, v61
	s_delay_alu instid0(VALU_DEP_1) | instskip(NEXT) | instid1(VALU_DEP_1)
	v_fmac_f32_e32 v60, v62, v59
	v_fma_f32 v53, -v53, v60, v61
	s_delay_alu instid0(VALU_DEP_1) | instskip(NEXT) | instid1(VALU_DEP_1)
	v_div_fmas_f32 v53, v53, v59, v60
	v_div_fixup_f32 v53, v53, v50, v51
	s_delay_alu instid0(VALU_DEP_1) | instskip(NEXT) | instid1(VALU_DEP_1)
	v_fmac_f32_e32 v50, v51, v53
	v_div_scale_f32 v51, null, v50, v50, 1.0
	s_delay_alu instid0(VALU_DEP_1) | instskip(SKIP_1) | instid1(TRANS32_DEP_1)
	v_rcp_f32_e32 v59, v51
	v_nop
	v_fma_f32 v60, -v51, v59, 1.0
	s_delay_alu instid0(VALU_DEP_1) | instskip(SKIP_1) | instid1(VALU_DEP_1)
	v_fmac_f32_e32 v59, v60, v59
	v_div_scale_f32 v60, vcc_lo, 1.0, v50, 1.0
	v_mul_f32_e32 v61, v60, v59
	s_delay_alu instid0(VALU_DEP_1) | instskip(NEXT) | instid1(VALU_DEP_1)
	v_fma_f32 v62, -v51, v61, v60
	v_fmac_f32_e32 v61, v62, v59
	s_delay_alu instid0(VALU_DEP_1) | instskip(NEXT) | instid1(VALU_DEP_1)
	v_fma_f32 v51, -v51, v61, v60
	v_div_fmas_f32 v51, v51, v59, v61
	s_delay_alu instid0(VALU_DEP_1) | instskip(NEXT) | instid1(VALU_DEP_1)
	v_div_fixup_f32 v50, v51, v50, 1.0
	v_mul_f32_e64 v51, v53, -v50
.LBB42_198:
	s_or_b32 exec_lo, exec_lo, s1
.LBB42_199:
	s_delay_alu instid0(SALU_CYCLE_1) | instskip(NEXT) | instid1(SALU_CYCLE_1)
	s_or_b32 exec_lo, exec_lo, s0
	s_mov_b32 s0, exec_lo
	v_cmpx_ne_u32_e64 v58, v52
	s_xor_b32 s0, exec_lo, s0
	s_cbranch_execz .LBB42_205
; %bb.200:
	s_mov_b32 s1, exec_lo
	v_cmpx_eq_u32_e32 9, v58
	s_cbranch_execz .LBB42_204
; %bb.201:
	v_cmp_ne_u32_e32 vcc_lo, 9, v52
	s_xor_b32 s15, s12, -1
	s_delay_alu instid0(SALU_CYCLE_1) | instskip(NEXT) | instid1(SALU_CYCLE_1)
	s_and_b32 s16, s15, vcc_lo
	s_and_saveexec_b32 s15, s16
	s_cbranch_execz .LBB42_203
; %bb.202:
	v_ashrrev_i32_e32 v53, 31, v52
	s_delay_alu instid0(VALU_DEP_1)
	v_lshl_add_u64 v[58:59], v[52:53], 2, v[34:35]
	s_clause 0x1
	global_load_b32 v53, v[58:59], off
	global_load_b32 v57, v[34:35], off offset:36
	s_wait_loadcnt 0x1
	global_store_b32 v[34:35], v53, off offset:36
	s_wait_loadcnt 0x0
	global_store_b32 v[58:59], v57, off
.LBB42_203:
	s_wait_xcnt 0x0
	s_or_b32 exec_lo, exec_lo, s15
	v_dual_mov_b32 v58, v52 :: v_dual_mov_b32 v57, v52
.LBB42_204:
	s_or_b32 exec_lo, exec_lo, s1
.LBB42_205:
	s_and_not1_saveexec_b32 s0, s0
	s_cbranch_execz .LBB42_207
; %bb.206:
	v_dual_mov_b32 v52, v28 :: v_dual_mov_b32 v53, v29
	v_dual_mov_b32 v58, v24 :: v_dual_mov_b32 v59, v25
	;; [unrolled: 1-line block ×4, first 2 shown]
	ds_store_2addr_b64 v54, v[52:53], v[58:59] offset0:10 offset1:11
	ds_store_2addr_b64 v54, v[60:61], v[62:63] offset0:12 offset1:13
	v_dual_mov_b32 v52, v16 :: v_dual_mov_b32 v53, v17
	v_dual_mov_b32 v60, v12 :: v_dual_mov_b32 v61, v13
	v_dual_mov_b32 v58, 9 :: v_dual_mov_b32 v62, v32
	v_dual_mov_b32 v63, v33 :: v_dual_mov_b32 v64, v10
	v_dual_mov_b32 v65, v11 :: v_dual_mov_b32 v66, v30
	v_dual_mov_b32 v67, v31 :: v_dual_mov_b32 v68, v22
	v_dual_mov_b32 v69, v23 :: v_dual_mov_b32 v70, v18
	v_mov_b32_e32 v71, v19
	ds_store_2addr_b64 v54, v[52:53], v[60:61] offset0:14 offset1:15
	ds_store_2addr_b64 v54, v[62:63], v[64:65] offset0:16 offset1:17
	;; [unrolled: 1-line block ×4, first 2 shown]
.LBB42_207:
	s_or_b32 exec_lo, exec_lo, s0
	s_delay_alu instid0(SALU_CYCLE_1)
	s_mov_b32 s0, exec_lo
	s_wait_storecnt_dscnt 0x0
	s_barrier_signal -1
	s_barrier_wait -1
	v_cmpx_lt_i32_e32 9, v58
	s_cbranch_execz .LBB42_209
; %bb.208:
	v_pk_mul_f32 v[52:53], v[50:51], v[26:27] op_sel:[1,1] op_sel_hi:[0,1]
	s_delay_alu instid0(VALU_DEP_1)
	v_pk_fma_f32 v[60:61], v[50:51], v[26:27], v[52:53] op_sel_hi:[1,0,1] neg_lo:[0,0,1] neg_hi:[0,0,1]
	v_pk_fma_f32 v[62:63], v[50:51], v[26:27], v[52:53] op_sel_hi:[1,0,1]
	ds_load_2addr_b64 v[50:53], v54 offset0:10 offset1:11
	v_dual_mov_b32 v26, v60 :: v_dual_mov_b32 v27, v63
	s_wait_dscnt 0x0
	v_pk_mul_f32 v[64:65], v[50:51], v[62:63] op_sel:[0,1]
	s_delay_alu instid0(VALU_DEP_1) | instskip(SKIP_1) | instid1(VALU_DEP_1)
	v_pk_fma_f32 v[66:67], v[50:51], v[60:61], v[64:65] op_sel:[0,0,1] op_sel_hi:[1,1,0] neg_lo:[0,0,1] neg_hi:[0,0,1]
	v_pk_fma_f32 v[50:51], v[50:51], v[60:61], v[64:65] op_sel:[0,0,1] op_sel_hi:[1,0,0]
	v_mov_b32_e32 v67, v51
	v_pk_mul_f32 v[50:51], v[52:53], v[62:63] op_sel:[0,1]
	s_delay_alu instid0(VALU_DEP_1) | instskip(SKIP_1) | instid1(VALU_DEP_1)
	v_pk_fma_f32 v[64:65], v[52:53], v[60:61], v[50:51] op_sel:[0,0,1] op_sel_hi:[1,1,0] neg_lo:[0,0,1] neg_hi:[0,0,1]
	v_pk_fma_f32 v[50:51], v[52:53], v[60:61], v[50:51] op_sel:[0,0,1] op_sel_hi:[1,0,0]
	v_mov_b32_e32 v65, v51
	ds_load_2addr_b64 v[50:53], v54 offset0:12 offset1:13
	v_pk_add_f32 v[28:29], v[28:29], v[66:67] neg_lo:[0,1] neg_hi:[0,1]
	v_pk_add_f32 v[24:25], v[24:25], v[64:65] neg_lo:[0,1] neg_hi:[0,1]
	s_wait_dscnt 0x0
	v_pk_mul_f32 v[64:65], v[50:51], v[62:63] op_sel:[0,1]
	s_delay_alu instid0(VALU_DEP_1) | instskip(SKIP_2) | instid1(VALU_DEP_2)
	v_pk_fma_f32 v[66:67], v[50:51], v[60:61], v[64:65] op_sel:[0,0,1] op_sel_hi:[1,1,0] neg_lo:[0,0,1] neg_hi:[0,0,1]
	v_pk_fma_f32 v[50:51], v[50:51], v[60:61], v[64:65] op_sel:[0,0,1] op_sel_hi:[1,0,0]
	v_dual_mul_f32 v64, v53, v63 :: v_dual_mov_b32 v50, v53
	v_dual_mov_b32 v67, v51 :: v_dual_mov_b32 v51, v52
	s_delay_alu instid0(VALU_DEP_2) | instskip(SKIP_1) | instid1(VALU_DEP_3)
	v_pk_fma_f32 v[64:65], v[52:53], v[26:27], v[64:65] op_sel_hi:[1,1,0] neg_lo:[0,0,1] neg_hi:[0,0,1]
	v_mul_f32_e32 v52, v53, v60
	v_pk_add_f32 v[42:43], v[42:43], v[66:67] neg_lo:[0,1] neg_hi:[0,1]
	s_delay_alu instid0(VALU_DEP_2) | instskip(NEXT) | instid1(VALU_DEP_1)
	v_pk_fma_f32 v[50:51], v[50:51], v[26:27], v[52:53] op_sel_hi:[1,1,0]
	v_mov_b32_e32 v65, v51
	ds_load_2addr_b64 v[50:53], v54 offset0:14 offset1:15
	v_pk_add_f32 v[14:15], v[14:15], v[64:65] neg_lo:[0,1] neg_hi:[0,1]
	s_wait_dscnt 0x0
	v_pk_mul_f32 v[64:65], v[50:51], v[62:63] op_sel:[0,1]
	s_delay_alu instid0(VALU_DEP_1) | instskip(SKIP_1) | instid1(VALU_DEP_1)
	v_pk_fma_f32 v[66:67], v[50:51], v[60:61], v[64:65] op_sel:[0,0,1] op_sel_hi:[1,1,0] neg_lo:[0,0,1] neg_hi:[0,0,1]
	v_pk_fma_f32 v[50:51], v[50:51], v[60:61], v[64:65] op_sel:[0,0,1] op_sel_hi:[1,0,0]
	v_mov_b32_e32 v67, v51
	v_pk_mul_f32 v[50:51], v[52:53], v[62:63] op_sel:[0,1]
	s_delay_alu instid0(VALU_DEP_1) | instskip(SKIP_1) | instid1(VALU_DEP_1)
	v_pk_fma_f32 v[64:65], v[52:53], v[60:61], v[50:51] op_sel:[0,0,1] op_sel_hi:[1,1,0] neg_lo:[0,0,1] neg_hi:[0,0,1]
	v_pk_fma_f32 v[50:51], v[52:53], v[60:61], v[50:51] op_sel:[0,0,1] op_sel_hi:[1,0,0]
	v_mov_b32_e32 v65, v51
	ds_load_2addr_b64 v[50:53], v54 offset0:16 offset1:17
	v_pk_add_f32 v[16:17], v[16:17], v[66:67] neg_lo:[0,1] neg_hi:[0,1]
	v_pk_add_f32 v[12:13], v[12:13], v[64:65] neg_lo:[0,1] neg_hi:[0,1]
	s_wait_dscnt 0x0
	v_pk_mul_f32 v[64:65], v[50:51], v[62:63] op_sel:[0,1]
	s_delay_alu instid0(VALU_DEP_1) | instskip(SKIP_1) | instid1(VALU_DEP_1)
	v_pk_fma_f32 v[66:67], v[50:51], v[60:61], v[64:65] op_sel:[0,0,1] op_sel_hi:[1,1,0] neg_lo:[0,0,1] neg_hi:[0,0,1]
	v_pk_fma_f32 v[50:51], v[50:51], v[60:61], v[64:65] op_sel:[0,0,1] op_sel_hi:[1,0,0]
	v_mov_b32_e32 v67, v51
	v_pk_mul_f32 v[50:51], v[52:53], v[62:63] op_sel:[0,1]
	s_delay_alu instid0(VALU_DEP_1) | instskip(SKIP_1) | instid1(VALU_DEP_1)
	v_pk_fma_f32 v[64:65], v[52:53], v[60:61], v[50:51] op_sel:[0,0,1] op_sel_hi:[1,1,0] neg_lo:[0,0,1] neg_hi:[0,0,1]
	v_pk_fma_f32 v[50:51], v[52:53], v[60:61], v[50:51] op_sel:[0,0,1] op_sel_hi:[1,0,0]
	v_mov_b32_e32 v65, v51
	ds_load_2addr_b64 v[50:53], v54 offset0:18 offset1:19
	v_pk_add_f32 v[32:33], v[32:33], v[66:67] neg_lo:[0,1] neg_hi:[0,1]
	v_pk_add_f32 v[10:11], v[10:11], v[64:65] neg_lo:[0,1] neg_hi:[0,1]
	s_wait_dscnt 0x0
	v_dual_mul_f32 v64, v51, v63 :: v_dual_mul_f32 v66, v51, v60
	s_delay_alu instid0(VALU_DEP_1) | instskip(NEXT) | instid1(VALU_DEP_2)
	v_pk_fma_f32 v[64:65], v[50:51], v[26:27], v[64:65] op_sel_hi:[1,1,0] neg_lo:[0,0,1] neg_hi:[0,0,1]
	v_pk_fma_f32 v[50:51], v[50:51], v[26:27], v[66:67] op_sel:[1,0,0] op_sel_hi:[0,1,0]
	s_delay_alu instid0(VALU_DEP_1) | instskip(SKIP_1) | instid1(VALU_DEP_2)
	v_mov_b32_e32 v65, v51
	v_pk_mul_f32 v[50:51], v[52:53], v[62:63] op_sel:[0,1]
	v_pk_add_f32 v[30:31], v[30:31], v[64:65] neg_lo:[0,1] neg_hi:[0,1]
	s_delay_alu instid0(VALU_DEP_2) | instskip(SKIP_1) | instid1(VALU_DEP_1)
	v_pk_fma_f32 v[64:65], v[52:53], v[60:61], v[50:51] op_sel:[0,0,1] op_sel_hi:[1,1,0] neg_lo:[0,0,1] neg_hi:[0,0,1]
	v_pk_fma_f32 v[50:51], v[52:53], v[60:61], v[50:51] op_sel:[0,0,1] op_sel_hi:[1,0,0]
	v_mov_b32_e32 v65, v51
	ds_load_2addr_b64 v[50:53], v54 offset0:20 offset1:21
	v_pk_add_f32 v[22:23], v[22:23], v[64:65] neg_lo:[0,1] neg_hi:[0,1]
	s_wait_dscnt 0x0
	v_pk_mul_f32 v[64:65], v[50:51], v[62:63] op_sel:[0,1]
	v_mul_f32_e32 v62, v53, v63
	s_delay_alu instid0(VALU_DEP_2) | instskip(SKIP_2) | instid1(VALU_DEP_4)
	v_pk_fma_f32 v[66:67], v[50:51], v[60:61], v[64:65] op_sel:[0,0,1] op_sel_hi:[1,1,0] neg_lo:[0,0,1] neg_hi:[0,0,1]
	v_pk_fma_f32 v[50:51], v[50:51], v[60:61], v[64:65] op_sel:[0,0,1] op_sel_hi:[1,0,0]
	v_mov_b32_e32 v50, v53
	v_pk_fma_f32 v[62:63], v[52:53], v[26:27], v[62:63] op_sel_hi:[1,1,0] neg_lo:[0,0,1] neg_hi:[0,0,1]
	s_delay_alu instid0(VALU_DEP_3) | instskip(SKIP_1) | instid1(VALU_DEP_2)
	v_dual_mov_b32 v67, v51 :: v_dual_mov_b32 v51, v52
	v_mul_f32_e32 v52, v53, v60
	v_pk_add_f32 v[18:19], v[18:19], v[66:67] neg_lo:[0,1] neg_hi:[0,1]
	s_delay_alu instid0(VALU_DEP_2) | instskip(NEXT) | instid1(VALU_DEP_1)
	v_pk_fma_f32 v[50:51], v[50:51], v[26:27], v[52:53] op_sel_hi:[1,1,0]
	v_mov_b32_e32 v63, v51
	s_delay_alu instid0(VALU_DEP_1)
	v_pk_add_f32 v[48:49], v[48:49], v[62:63] neg_lo:[0,1] neg_hi:[0,1]
.LBB42_209:
	s_or_b32 exec_lo, exec_lo, s0
	v_lshl_add_u32 v50, v58, 3, v54
	s_barrier_signal -1
	s_barrier_wait -1
	ds_store_b64 v50, v[28:29]
	s_wait_dscnt 0x0
	s_barrier_signal -1
	s_barrier_wait -1
	ds_load_b64 v[50:51], v54 offset:80
	v_mov_b32_e32 v52, 10
	s_cmp_lt_i32 s14, 12
	s_cbranch_scc1 .LBB42_212
; %bb.210:
	v_add3_u32 v53, v55, 0, 0x58
	v_mov_b32_e32 v52, 10
	s_mov_b32 s0, 11
.LBB42_211:                             ; =>This Inner Loop Header: Depth=1
	ds_load_b64 v[60:61], v53
	s_wait_dscnt 0x1
	v_cmp_gt_f32_e32 vcc_lo, 0, v50
	v_cndmask_b32_e64 v62, v50, -v50, vcc_lo
	v_cmp_gt_f32_e32 vcc_lo, 0, v51
	v_cndmask_b32_e64 v64, v51, -v51, vcc_lo
	s_wait_dscnt 0x0
	v_cmp_gt_f32_e32 vcc_lo, 0, v60
	v_cndmask_b32_e64 v63, v60, -v60, vcc_lo
	v_cmp_gt_f32_e32 vcc_lo, 0, v61
	v_cndmask_b32_e64 v65, v61, -v61, vcc_lo
	s_delay_alu instid0(VALU_DEP_1) | instskip(NEXT) | instid1(VALU_DEP_1)
	v_pk_add_f32 v[62:63], v[62:63], v[64:65]
	v_cmp_lt_f32_e32 vcc_lo, v62, v63
	v_dual_cndmask_b32 v50, v50, v60 :: v_dual_add_nc_u32 v53, 8, v53
	v_cndmask_b32_e32 v51, v51, v61, vcc_lo
	v_cndmask_b32_e64 v52, v52, s0, vcc_lo
	s_add_co_i32 s0, s0, 1
	s_delay_alu instid0(SALU_CYCLE_1)
	s_cmp_lg_u32 s14, s0
	s_cbranch_scc1 .LBB42_211
.LBB42_212:
	s_wait_dscnt 0x0
	v_cmp_eq_f32_e32 vcc_lo, 0, v50
	v_cmp_eq_f32_e64 s0, 0, v51
	s_and_b32 s0, vcc_lo, s0
	s_delay_alu instid0(SALU_CYCLE_1) | instskip(NEXT) | instid1(SALU_CYCLE_1)
	s_and_saveexec_b32 s1, s0
	s_xor_b32 s0, exec_lo, s1
; %bb.213:
	v_cmp_ne_u32_e32 vcc_lo, 0, v56
	v_cndmask_b32_e32 v56, 11, v56, vcc_lo
; %bb.214:
	s_and_not1_saveexec_b32 s0, s0
	s_cbranch_execz .LBB42_220
; %bb.215:
	v_cmp_ngt_f32_e64 s1, |v50|, |v51|
	s_and_saveexec_b32 s15, s1
	s_delay_alu instid0(SALU_CYCLE_1)
	s_xor_b32 s1, exec_lo, s15
	s_cbranch_execz .LBB42_217
; %bb.216:
	v_div_scale_f32 v53, null, v51, v51, v50
	v_div_scale_f32 v61, vcc_lo, v50, v51, v50
	s_delay_alu instid0(VALU_DEP_2) | instskip(SKIP_1) | instid1(TRANS32_DEP_1)
	v_rcp_f32_e32 v59, v53
	v_nop
	v_fma_f32 v60, -v53, v59, 1.0
	s_delay_alu instid0(VALU_DEP_1) | instskip(NEXT) | instid1(VALU_DEP_1)
	v_fmac_f32_e32 v59, v60, v59
	v_mul_f32_e32 v60, v61, v59
	s_delay_alu instid0(VALU_DEP_1) | instskip(NEXT) | instid1(VALU_DEP_1)
	v_fma_f32 v62, -v53, v60, v61
	v_fmac_f32_e32 v60, v62, v59
	s_delay_alu instid0(VALU_DEP_1) | instskip(NEXT) | instid1(VALU_DEP_1)
	v_fma_f32 v53, -v53, v60, v61
	v_div_fmas_f32 v53, v53, v59, v60
	s_delay_alu instid0(VALU_DEP_1) | instskip(NEXT) | instid1(VALU_DEP_1)
	v_div_fixup_f32 v53, v53, v51, v50
	v_fmac_f32_e32 v51, v50, v53
	s_delay_alu instid0(VALU_DEP_1) | instskip(SKIP_1) | instid1(VALU_DEP_2)
	v_div_scale_f32 v50, null, v51, v51, 1.0
	v_div_scale_f32 v61, vcc_lo, 1.0, v51, 1.0
	v_rcp_f32_e32 v59, v50
	v_nop
	s_delay_alu instid0(TRANS32_DEP_1) | instskip(NEXT) | instid1(VALU_DEP_1)
	v_fma_f32 v60, -v50, v59, 1.0
	v_fmac_f32_e32 v59, v60, v59
	s_delay_alu instid0(VALU_DEP_1) | instskip(NEXT) | instid1(VALU_DEP_1)
	v_mul_f32_e32 v60, v61, v59
	v_fma_f32 v62, -v50, v60, v61
	s_delay_alu instid0(VALU_DEP_1) | instskip(NEXT) | instid1(VALU_DEP_1)
	v_fmac_f32_e32 v60, v62, v59
	v_fma_f32 v50, -v50, v60, v61
	s_delay_alu instid0(VALU_DEP_1) | instskip(NEXT) | instid1(VALU_DEP_1)
	v_div_fmas_f32 v50, v50, v59, v60
	v_div_fixup_f32 v51, v50, v51, 1.0
	s_delay_alu instid0(VALU_DEP_1)
	v_mul_f32_e32 v50, v53, v51
	v_xor_b32_e32 v51, 0x80000000, v51
.LBB42_217:
	s_and_not1_saveexec_b32 s1, s1
	s_cbranch_execz .LBB42_219
; %bb.218:
	s_delay_alu instid0(VALU_DEP_1) | instskip(SKIP_1) | instid1(VALU_DEP_2)
	v_div_scale_f32 v53, null, v50, v50, v51
	v_div_scale_f32 v61, vcc_lo, v51, v50, v51
	v_rcp_f32_e32 v59, v53
	v_nop
	s_delay_alu instid0(TRANS32_DEP_1) | instskip(NEXT) | instid1(VALU_DEP_1)
	v_fma_f32 v60, -v53, v59, 1.0
	v_fmac_f32_e32 v59, v60, v59
	s_delay_alu instid0(VALU_DEP_1) | instskip(NEXT) | instid1(VALU_DEP_1)
	v_mul_f32_e32 v60, v61, v59
	v_fma_f32 v62, -v53, v60, v61
	s_delay_alu instid0(VALU_DEP_1) | instskip(NEXT) | instid1(VALU_DEP_1)
	v_fmac_f32_e32 v60, v62, v59
	v_fma_f32 v53, -v53, v60, v61
	s_delay_alu instid0(VALU_DEP_1) | instskip(NEXT) | instid1(VALU_DEP_1)
	v_div_fmas_f32 v53, v53, v59, v60
	v_div_fixup_f32 v53, v53, v50, v51
	s_delay_alu instid0(VALU_DEP_1) | instskip(NEXT) | instid1(VALU_DEP_1)
	v_fmac_f32_e32 v50, v51, v53
	v_div_scale_f32 v51, null, v50, v50, 1.0
	s_delay_alu instid0(VALU_DEP_1) | instskip(SKIP_1) | instid1(TRANS32_DEP_1)
	v_rcp_f32_e32 v59, v51
	v_nop
	v_fma_f32 v60, -v51, v59, 1.0
	s_delay_alu instid0(VALU_DEP_1) | instskip(SKIP_1) | instid1(VALU_DEP_1)
	v_fmac_f32_e32 v59, v60, v59
	v_div_scale_f32 v60, vcc_lo, 1.0, v50, 1.0
	v_mul_f32_e32 v61, v60, v59
	s_delay_alu instid0(VALU_DEP_1) | instskip(NEXT) | instid1(VALU_DEP_1)
	v_fma_f32 v62, -v51, v61, v60
	v_fmac_f32_e32 v61, v62, v59
	s_delay_alu instid0(VALU_DEP_1) | instskip(NEXT) | instid1(VALU_DEP_1)
	v_fma_f32 v51, -v51, v61, v60
	v_div_fmas_f32 v51, v51, v59, v61
	s_delay_alu instid0(VALU_DEP_1) | instskip(NEXT) | instid1(VALU_DEP_1)
	v_div_fixup_f32 v50, v51, v50, 1.0
	v_mul_f32_e64 v51, v53, -v50
.LBB42_219:
	s_or_b32 exec_lo, exec_lo, s1
.LBB42_220:
	s_delay_alu instid0(SALU_CYCLE_1) | instskip(NEXT) | instid1(SALU_CYCLE_1)
	s_or_b32 exec_lo, exec_lo, s0
	s_mov_b32 s0, exec_lo
	v_cmpx_ne_u32_e64 v58, v52
	s_xor_b32 s0, exec_lo, s0
	s_cbranch_execz .LBB42_226
; %bb.221:
	s_mov_b32 s1, exec_lo
	v_cmpx_eq_u32_e32 10, v58
	s_cbranch_execz .LBB42_225
; %bb.222:
	v_cmp_ne_u32_e32 vcc_lo, 10, v52
	s_xor_b32 s15, s12, -1
	s_delay_alu instid0(SALU_CYCLE_1) | instskip(NEXT) | instid1(SALU_CYCLE_1)
	s_and_b32 s16, s15, vcc_lo
	s_and_saveexec_b32 s15, s16
	s_cbranch_execz .LBB42_224
; %bb.223:
	v_ashrrev_i32_e32 v53, 31, v52
	s_delay_alu instid0(VALU_DEP_1)
	v_lshl_add_u64 v[58:59], v[52:53], 2, v[34:35]
	s_clause 0x1
	global_load_b32 v53, v[58:59], off
	global_load_b32 v57, v[34:35], off offset:40
	s_wait_loadcnt 0x1
	global_store_b32 v[34:35], v53, off offset:40
	s_wait_loadcnt 0x0
	global_store_b32 v[58:59], v57, off
.LBB42_224:
	s_wait_xcnt 0x0
	s_or_b32 exec_lo, exec_lo, s15
	v_dual_mov_b32 v58, v52 :: v_dual_mov_b32 v57, v52
.LBB42_225:
	s_or_b32 exec_lo, exec_lo, s1
.LBB42_226:
	s_and_not1_saveexec_b32 s0, s0
	s_cbranch_execz .LBB42_228
; %bb.227:
	v_mov_b32_e32 v58, 10
	ds_store_2addr_b64 v54, v[24:25], v[42:43] offset0:11 offset1:12
	ds_store_2addr_b64 v54, v[14:15], v[16:17] offset0:13 offset1:14
	ds_store_2addr_b64 v54, v[12:13], v[32:33] offset0:15 offset1:16
	ds_store_2addr_b64 v54, v[10:11], v[30:31] offset0:17 offset1:18
	ds_store_2addr_b64 v54, v[22:23], v[18:19] offset0:19 offset1:20
	ds_store_b64 v54, v[48:49] offset:168
.LBB42_228:
	s_or_b32 exec_lo, exec_lo, s0
	s_delay_alu instid0(SALU_CYCLE_1)
	s_mov_b32 s0, exec_lo
	s_wait_storecnt_dscnt 0x0
	s_barrier_signal -1
	s_barrier_wait -1
	v_cmpx_lt_i32_e32 10, v58
	s_cbranch_execz .LBB42_230
; %bb.229:
	v_pk_mul_f32 v[52:53], v[50:51], v[28:29] op_sel:[1,1] op_sel_hi:[0,1]
	s_delay_alu instid0(VALU_DEP_1)
	v_pk_fma_f32 v[60:61], v[50:51], v[28:29], v[52:53] op_sel_hi:[1,0,1] neg_lo:[0,0,1] neg_hi:[0,0,1]
	v_pk_fma_f32 v[62:63], v[50:51], v[28:29], v[52:53] op_sel_hi:[1,0,1]
	ds_load_2addr_b64 v[50:53], v54 offset0:11 offset1:12
	v_dual_mov_b32 v28, v60 :: v_dual_mov_b32 v29, v63
	s_wait_dscnt 0x0
	v_pk_mul_f32 v[64:65], v[50:51], v[62:63] op_sel:[0,1]
	s_delay_alu instid0(VALU_DEP_1) | instskip(SKIP_1) | instid1(VALU_DEP_1)
	v_pk_fma_f32 v[66:67], v[50:51], v[60:61], v[64:65] op_sel:[0,0,1] op_sel_hi:[1,1,0] neg_lo:[0,0,1] neg_hi:[0,0,1]
	v_pk_fma_f32 v[50:51], v[50:51], v[60:61], v[64:65] op_sel:[0,0,1] op_sel_hi:[1,0,0]
	v_mov_b32_e32 v67, v51
	v_pk_mul_f32 v[50:51], v[52:53], v[62:63] op_sel:[0,1]
	s_delay_alu instid0(VALU_DEP_1) | instskip(SKIP_1) | instid1(VALU_DEP_1)
	v_pk_fma_f32 v[64:65], v[52:53], v[60:61], v[50:51] op_sel:[0,0,1] op_sel_hi:[1,1,0] neg_lo:[0,0,1] neg_hi:[0,0,1]
	v_pk_fma_f32 v[50:51], v[52:53], v[60:61], v[50:51] op_sel:[0,0,1] op_sel_hi:[1,0,0]
	v_mov_b32_e32 v65, v51
	ds_load_2addr_b64 v[50:53], v54 offset0:13 offset1:14
	v_pk_add_f32 v[24:25], v[24:25], v[66:67] neg_lo:[0,1] neg_hi:[0,1]
	v_pk_add_f32 v[42:43], v[42:43], v[64:65] neg_lo:[0,1] neg_hi:[0,1]
	s_wait_dscnt 0x0
	v_pk_mul_f32 v[64:65], v[50:51], v[62:63] op_sel:[0,1]
	s_delay_alu instid0(VALU_DEP_1) | instskip(SKIP_2) | instid1(VALU_DEP_2)
	v_pk_fma_f32 v[66:67], v[50:51], v[60:61], v[64:65] op_sel:[0,0,1] op_sel_hi:[1,1,0] neg_lo:[0,0,1] neg_hi:[0,0,1]
	v_pk_fma_f32 v[50:51], v[50:51], v[60:61], v[64:65] op_sel:[0,0,1] op_sel_hi:[1,0,0]
	v_dual_mul_f32 v64, v53, v63 :: v_dual_mov_b32 v50, v53
	v_dual_mov_b32 v67, v51 :: v_dual_mov_b32 v51, v52
	s_delay_alu instid0(VALU_DEP_2) | instskip(SKIP_1) | instid1(VALU_DEP_3)
	v_pk_fma_f32 v[64:65], v[52:53], v[28:29], v[64:65] op_sel_hi:[1,1,0] neg_lo:[0,0,1] neg_hi:[0,0,1]
	v_mul_f32_e32 v52, v53, v60
	v_pk_add_f32 v[14:15], v[14:15], v[66:67] neg_lo:[0,1] neg_hi:[0,1]
	s_delay_alu instid0(VALU_DEP_2) | instskip(NEXT) | instid1(VALU_DEP_1)
	v_pk_fma_f32 v[50:51], v[50:51], v[28:29], v[52:53] op_sel_hi:[1,1,0]
	v_mov_b32_e32 v65, v51
	ds_load_2addr_b64 v[50:53], v54 offset0:15 offset1:16
	v_pk_add_f32 v[16:17], v[16:17], v[64:65] neg_lo:[0,1] neg_hi:[0,1]
	s_wait_dscnt 0x0
	v_pk_mul_f32 v[64:65], v[50:51], v[62:63] op_sel:[0,1]
	s_delay_alu instid0(VALU_DEP_1) | instskip(SKIP_1) | instid1(VALU_DEP_1)
	v_pk_fma_f32 v[66:67], v[50:51], v[60:61], v[64:65] op_sel:[0,0,1] op_sel_hi:[1,1,0] neg_lo:[0,0,1] neg_hi:[0,0,1]
	v_pk_fma_f32 v[50:51], v[50:51], v[60:61], v[64:65] op_sel:[0,0,1] op_sel_hi:[1,0,0]
	v_mov_b32_e32 v67, v51
	v_pk_mul_f32 v[50:51], v[52:53], v[62:63] op_sel:[0,1]
	s_delay_alu instid0(VALU_DEP_1) | instskip(SKIP_1) | instid1(VALU_DEP_1)
	v_pk_fma_f32 v[64:65], v[52:53], v[60:61], v[50:51] op_sel:[0,0,1] op_sel_hi:[1,1,0] neg_lo:[0,0,1] neg_hi:[0,0,1]
	v_pk_fma_f32 v[50:51], v[52:53], v[60:61], v[50:51] op_sel:[0,0,1] op_sel_hi:[1,0,0]
	v_mov_b32_e32 v65, v51
	ds_load_2addr_b64 v[50:53], v54 offset0:17 offset1:18
	v_pk_add_f32 v[12:13], v[12:13], v[66:67] neg_lo:[0,1] neg_hi:[0,1]
	v_pk_add_f32 v[32:33], v[32:33], v[64:65] neg_lo:[0,1] neg_hi:[0,1]
	s_wait_dscnt 0x0
	v_pk_mul_f32 v[64:65], v[50:51], v[62:63] op_sel:[0,1]
	s_delay_alu instid0(VALU_DEP_1) | instskip(SKIP_1) | instid1(VALU_DEP_1)
	v_pk_fma_f32 v[66:67], v[50:51], v[60:61], v[64:65] op_sel:[0,0,1] op_sel_hi:[1,1,0] neg_lo:[0,0,1] neg_hi:[0,0,1]
	v_pk_fma_f32 v[50:51], v[50:51], v[60:61], v[64:65] op_sel:[0,0,1] op_sel_hi:[1,0,0]
	v_mov_b32_e32 v67, v51
	v_pk_mul_f32 v[50:51], v[52:53], v[62:63] op_sel:[0,1]
	s_delay_alu instid0(VALU_DEP_1) | instskip(SKIP_1) | instid1(VALU_DEP_1)
	v_pk_fma_f32 v[64:65], v[52:53], v[60:61], v[50:51] op_sel:[0,0,1] op_sel_hi:[1,1,0] neg_lo:[0,0,1] neg_hi:[0,0,1]
	v_pk_fma_f32 v[50:51], v[52:53], v[60:61], v[50:51] op_sel:[0,0,1] op_sel_hi:[1,0,0]
	v_mov_b32_e32 v65, v51
	ds_load_2addr_b64 v[50:53], v54 offset0:19 offset1:20
	v_pk_add_f32 v[10:11], v[10:11], v[66:67] neg_lo:[0,1] neg_hi:[0,1]
	v_pk_add_f32 v[30:31], v[30:31], v[64:65] neg_lo:[0,1] neg_hi:[0,1]
	s_wait_dscnt 0x0
	v_dual_mul_f32 v64, v51, v63 :: v_dual_mul_f32 v66, v51, v60
	s_delay_alu instid0(VALU_DEP_1) | instskip(NEXT) | instid1(VALU_DEP_2)
	v_pk_fma_f32 v[64:65], v[50:51], v[28:29], v[64:65] op_sel_hi:[1,1,0] neg_lo:[0,0,1] neg_hi:[0,0,1]
	v_pk_fma_f32 v[50:51], v[50:51], v[28:29], v[66:67] op_sel:[1,0,0] op_sel_hi:[0,1,0]
	s_delay_alu instid0(VALU_DEP_1) | instskip(SKIP_1) | instid1(VALU_DEP_2)
	v_mov_b32_e32 v65, v51
	v_pk_mul_f32 v[50:51], v[52:53], v[62:63] op_sel:[0,1]
	v_pk_add_f32 v[22:23], v[22:23], v[64:65] neg_lo:[0,1] neg_hi:[0,1]
	s_delay_alu instid0(VALU_DEP_2) | instskip(SKIP_1) | instid1(VALU_DEP_1)
	v_pk_fma_f32 v[64:65], v[52:53], v[60:61], v[50:51] op_sel:[0,0,1] op_sel_hi:[1,1,0] neg_lo:[0,0,1] neg_hi:[0,0,1]
	v_pk_fma_f32 v[50:51], v[52:53], v[60:61], v[50:51] op_sel:[0,0,1] op_sel_hi:[1,0,0]
	v_mov_b32_e32 v65, v51
	ds_load_b64 v[50:51], v54 offset:168
	v_pk_add_f32 v[18:19], v[18:19], v[64:65] neg_lo:[0,1] neg_hi:[0,1]
	s_wait_dscnt 0x0
	v_pk_mul_f32 v[52:53], v[50:51], v[62:63] op_sel:[0,1]
	s_delay_alu instid0(VALU_DEP_1) | instskip(SKIP_1) | instid1(VALU_DEP_1)
	v_pk_fma_f32 v[62:63], v[50:51], v[60:61], v[52:53] op_sel:[0,0,1] op_sel_hi:[1,1,0] neg_lo:[0,0,1] neg_hi:[0,0,1]
	v_pk_fma_f32 v[50:51], v[50:51], v[60:61], v[52:53] op_sel:[0,0,1] op_sel_hi:[1,0,0]
	v_mov_b32_e32 v63, v51
	s_delay_alu instid0(VALU_DEP_1)
	v_pk_add_f32 v[48:49], v[48:49], v[62:63] neg_lo:[0,1] neg_hi:[0,1]
.LBB42_230:
	s_or_b32 exec_lo, exec_lo, s0
	v_lshl_add_u32 v50, v58, 3, v54
	s_barrier_signal -1
	s_barrier_wait -1
	ds_store_b64 v50, v[24:25]
	s_wait_dscnt 0x0
	s_barrier_signal -1
	s_barrier_wait -1
	ds_load_b64 v[50:51], v54 offset:88
	v_mov_b32_e32 v52, 11
	s_cmp_lt_i32 s14, 13
	s_cbranch_scc1 .LBB42_233
; %bb.231:
	v_add3_u32 v53, v55, 0, 0x60
	v_mov_b32_e32 v52, 11
	s_mov_b32 s0, 12
.LBB42_232:                             ; =>This Inner Loop Header: Depth=1
	ds_load_b64 v[60:61], v53
	s_wait_dscnt 0x1
	v_cmp_gt_f32_e32 vcc_lo, 0, v50
	v_cndmask_b32_e64 v62, v50, -v50, vcc_lo
	v_cmp_gt_f32_e32 vcc_lo, 0, v51
	v_cndmask_b32_e64 v64, v51, -v51, vcc_lo
	s_wait_dscnt 0x0
	v_cmp_gt_f32_e32 vcc_lo, 0, v60
	v_cndmask_b32_e64 v63, v60, -v60, vcc_lo
	v_cmp_gt_f32_e32 vcc_lo, 0, v61
	v_cndmask_b32_e64 v65, v61, -v61, vcc_lo
	s_delay_alu instid0(VALU_DEP_1) | instskip(NEXT) | instid1(VALU_DEP_1)
	v_pk_add_f32 v[62:63], v[62:63], v[64:65]
	v_cmp_lt_f32_e32 vcc_lo, v62, v63
	v_dual_cndmask_b32 v50, v50, v60 :: v_dual_add_nc_u32 v53, 8, v53
	v_cndmask_b32_e32 v51, v51, v61, vcc_lo
	v_cndmask_b32_e64 v52, v52, s0, vcc_lo
	s_add_co_i32 s0, s0, 1
	s_delay_alu instid0(SALU_CYCLE_1)
	s_cmp_lg_u32 s14, s0
	s_cbranch_scc1 .LBB42_232
.LBB42_233:
	s_wait_dscnt 0x0
	v_cmp_eq_f32_e32 vcc_lo, 0, v50
	v_cmp_eq_f32_e64 s0, 0, v51
	s_and_b32 s0, vcc_lo, s0
	s_delay_alu instid0(SALU_CYCLE_1) | instskip(NEXT) | instid1(SALU_CYCLE_1)
	s_and_saveexec_b32 s1, s0
	s_xor_b32 s0, exec_lo, s1
; %bb.234:
	v_cmp_ne_u32_e32 vcc_lo, 0, v56
	v_cndmask_b32_e32 v56, 12, v56, vcc_lo
; %bb.235:
	s_and_not1_saveexec_b32 s0, s0
	s_cbranch_execz .LBB42_241
; %bb.236:
	v_cmp_ngt_f32_e64 s1, |v50|, |v51|
	s_and_saveexec_b32 s15, s1
	s_delay_alu instid0(SALU_CYCLE_1)
	s_xor_b32 s1, exec_lo, s15
	s_cbranch_execz .LBB42_238
; %bb.237:
	v_div_scale_f32 v53, null, v51, v51, v50
	v_div_scale_f32 v61, vcc_lo, v50, v51, v50
	s_delay_alu instid0(VALU_DEP_2) | instskip(SKIP_1) | instid1(TRANS32_DEP_1)
	v_rcp_f32_e32 v59, v53
	v_nop
	v_fma_f32 v60, -v53, v59, 1.0
	s_delay_alu instid0(VALU_DEP_1) | instskip(NEXT) | instid1(VALU_DEP_1)
	v_fmac_f32_e32 v59, v60, v59
	v_mul_f32_e32 v60, v61, v59
	s_delay_alu instid0(VALU_DEP_1) | instskip(NEXT) | instid1(VALU_DEP_1)
	v_fma_f32 v62, -v53, v60, v61
	v_fmac_f32_e32 v60, v62, v59
	s_delay_alu instid0(VALU_DEP_1) | instskip(NEXT) | instid1(VALU_DEP_1)
	v_fma_f32 v53, -v53, v60, v61
	v_div_fmas_f32 v53, v53, v59, v60
	s_delay_alu instid0(VALU_DEP_1) | instskip(NEXT) | instid1(VALU_DEP_1)
	v_div_fixup_f32 v53, v53, v51, v50
	v_fmac_f32_e32 v51, v50, v53
	s_delay_alu instid0(VALU_DEP_1) | instskip(SKIP_1) | instid1(VALU_DEP_2)
	v_div_scale_f32 v50, null, v51, v51, 1.0
	v_div_scale_f32 v61, vcc_lo, 1.0, v51, 1.0
	v_rcp_f32_e32 v59, v50
	v_nop
	s_delay_alu instid0(TRANS32_DEP_1) | instskip(NEXT) | instid1(VALU_DEP_1)
	v_fma_f32 v60, -v50, v59, 1.0
	v_fmac_f32_e32 v59, v60, v59
	s_delay_alu instid0(VALU_DEP_1) | instskip(NEXT) | instid1(VALU_DEP_1)
	v_mul_f32_e32 v60, v61, v59
	v_fma_f32 v62, -v50, v60, v61
	s_delay_alu instid0(VALU_DEP_1) | instskip(NEXT) | instid1(VALU_DEP_1)
	v_fmac_f32_e32 v60, v62, v59
	v_fma_f32 v50, -v50, v60, v61
	s_delay_alu instid0(VALU_DEP_1) | instskip(NEXT) | instid1(VALU_DEP_1)
	v_div_fmas_f32 v50, v50, v59, v60
	v_div_fixup_f32 v51, v50, v51, 1.0
	s_delay_alu instid0(VALU_DEP_1)
	v_mul_f32_e32 v50, v53, v51
	v_xor_b32_e32 v51, 0x80000000, v51
.LBB42_238:
	s_and_not1_saveexec_b32 s1, s1
	s_cbranch_execz .LBB42_240
; %bb.239:
	s_delay_alu instid0(VALU_DEP_1) | instskip(SKIP_1) | instid1(VALU_DEP_2)
	v_div_scale_f32 v53, null, v50, v50, v51
	v_div_scale_f32 v61, vcc_lo, v51, v50, v51
	v_rcp_f32_e32 v59, v53
	v_nop
	s_delay_alu instid0(TRANS32_DEP_1) | instskip(NEXT) | instid1(VALU_DEP_1)
	v_fma_f32 v60, -v53, v59, 1.0
	v_fmac_f32_e32 v59, v60, v59
	s_delay_alu instid0(VALU_DEP_1) | instskip(NEXT) | instid1(VALU_DEP_1)
	v_mul_f32_e32 v60, v61, v59
	v_fma_f32 v62, -v53, v60, v61
	s_delay_alu instid0(VALU_DEP_1) | instskip(NEXT) | instid1(VALU_DEP_1)
	v_fmac_f32_e32 v60, v62, v59
	v_fma_f32 v53, -v53, v60, v61
	s_delay_alu instid0(VALU_DEP_1) | instskip(NEXT) | instid1(VALU_DEP_1)
	v_div_fmas_f32 v53, v53, v59, v60
	v_div_fixup_f32 v53, v53, v50, v51
	s_delay_alu instid0(VALU_DEP_1) | instskip(NEXT) | instid1(VALU_DEP_1)
	v_fmac_f32_e32 v50, v51, v53
	v_div_scale_f32 v51, null, v50, v50, 1.0
	s_delay_alu instid0(VALU_DEP_1) | instskip(SKIP_1) | instid1(TRANS32_DEP_1)
	v_rcp_f32_e32 v59, v51
	v_nop
	v_fma_f32 v60, -v51, v59, 1.0
	s_delay_alu instid0(VALU_DEP_1) | instskip(SKIP_1) | instid1(VALU_DEP_1)
	v_fmac_f32_e32 v59, v60, v59
	v_div_scale_f32 v60, vcc_lo, 1.0, v50, 1.0
	v_mul_f32_e32 v61, v60, v59
	s_delay_alu instid0(VALU_DEP_1) | instskip(NEXT) | instid1(VALU_DEP_1)
	v_fma_f32 v62, -v51, v61, v60
	v_fmac_f32_e32 v61, v62, v59
	s_delay_alu instid0(VALU_DEP_1) | instskip(NEXT) | instid1(VALU_DEP_1)
	v_fma_f32 v51, -v51, v61, v60
	v_div_fmas_f32 v51, v51, v59, v61
	s_delay_alu instid0(VALU_DEP_1) | instskip(NEXT) | instid1(VALU_DEP_1)
	v_div_fixup_f32 v50, v51, v50, 1.0
	v_mul_f32_e64 v51, v53, -v50
.LBB42_240:
	s_or_b32 exec_lo, exec_lo, s1
.LBB42_241:
	s_delay_alu instid0(SALU_CYCLE_1) | instskip(NEXT) | instid1(SALU_CYCLE_1)
	s_or_b32 exec_lo, exec_lo, s0
	s_mov_b32 s0, exec_lo
	v_cmpx_ne_u32_e64 v58, v52
	s_xor_b32 s0, exec_lo, s0
	s_cbranch_execz .LBB42_247
; %bb.242:
	s_mov_b32 s1, exec_lo
	v_cmpx_eq_u32_e32 11, v58
	s_cbranch_execz .LBB42_246
; %bb.243:
	v_cmp_ne_u32_e32 vcc_lo, 11, v52
	s_xor_b32 s15, s12, -1
	s_delay_alu instid0(SALU_CYCLE_1) | instskip(NEXT) | instid1(SALU_CYCLE_1)
	s_and_b32 s16, s15, vcc_lo
	s_and_saveexec_b32 s15, s16
	s_cbranch_execz .LBB42_245
; %bb.244:
	v_ashrrev_i32_e32 v53, 31, v52
	s_delay_alu instid0(VALU_DEP_1)
	v_lshl_add_u64 v[58:59], v[52:53], 2, v[34:35]
	s_clause 0x1
	global_load_b32 v53, v[58:59], off
	global_load_b32 v57, v[34:35], off offset:44
	s_wait_loadcnt 0x1
	global_store_b32 v[34:35], v53, off offset:44
	s_wait_loadcnt 0x0
	global_store_b32 v[58:59], v57, off
.LBB42_245:
	s_wait_xcnt 0x0
	s_or_b32 exec_lo, exec_lo, s15
	v_dual_mov_b32 v58, v52 :: v_dual_mov_b32 v57, v52
.LBB42_246:
	s_or_b32 exec_lo, exec_lo, s1
.LBB42_247:
	s_and_not1_saveexec_b32 s0, s0
	s_cbranch_execz .LBB42_249
; %bb.248:
	v_dual_mov_b32 v52, v42 :: v_dual_mov_b32 v53, v43
	v_dual_mov_b32 v60, v14 :: v_dual_mov_b32 v61, v15
	;; [unrolled: 1-line block ×9, first 2 shown]
	v_mov_b32_e32 v75, v19
	ds_store_2addr_b64 v54, v[52:53], v[60:61] offset0:12 offset1:13
	ds_store_2addr_b64 v54, v[62:63], v[64:65] offset0:14 offset1:15
	;; [unrolled: 1-line block ×5, first 2 shown]
.LBB42_249:
	s_or_b32 exec_lo, exec_lo, s0
	s_delay_alu instid0(SALU_CYCLE_1)
	s_mov_b32 s0, exec_lo
	s_wait_storecnt_dscnt 0x0
	s_barrier_signal -1
	s_barrier_wait -1
	v_cmpx_lt_i32_e32 11, v58
	s_cbranch_execz .LBB42_251
; %bb.250:
	v_pk_mul_f32 v[52:53], v[50:51], v[24:25] op_sel:[1,1] op_sel_hi:[0,1]
	s_delay_alu instid0(VALU_DEP_1)
	v_pk_fma_f32 v[60:61], v[50:51], v[24:25], v[52:53] op_sel_hi:[1,0,1] neg_lo:[0,0,1] neg_hi:[0,0,1]
	v_pk_fma_f32 v[62:63], v[50:51], v[24:25], v[52:53] op_sel_hi:[1,0,1]
	ds_load_2addr_b64 v[50:53], v54 offset0:12 offset1:13
	v_dual_mov_b32 v24, v60 :: v_dual_mov_b32 v25, v63
	s_wait_dscnt 0x0
	v_pk_mul_f32 v[64:65], v[50:51], v[62:63] op_sel:[0,1]
	s_delay_alu instid0(VALU_DEP_1) | instskip(SKIP_1) | instid1(VALU_DEP_1)
	v_pk_fma_f32 v[66:67], v[50:51], v[60:61], v[64:65] op_sel:[0,0,1] op_sel_hi:[1,1,0] neg_lo:[0,0,1] neg_hi:[0,0,1]
	v_pk_fma_f32 v[50:51], v[50:51], v[60:61], v[64:65] op_sel:[0,0,1] op_sel_hi:[1,0,0]
	v_mov_b32_e32 v67, v51
	v_pk_mul_f32 v[50:51], v[52:53], v[62:63] op_sel:[0,1]
	s_delay_alu instid0(VALU_DEP_1) | instskip(SKIP_1) | instid1(VALU_DEP_1)
	v_pk_fma_f32 v[64:65], v[52:53], v[60:61], v[50:51] op_sel:[0,0,1] op_sel_hi:[1,1,0] neg_lo:[0,0,1] neg_hi:[0,0,1]
	v_pk_fma_f32 v[50:51], v[52:53], v[60:61], v[50:51] op_sel:[0,0,1] op_sel_hi:[1,0,0]
	v_mov_b32_e32 v65, v51
	ds_load_2addr_b64 v[50:53], v54 offset0:14 offset1:15
	v_pk_add_f32 v[42:43], v[42:43], v[66:67] neg_lo:[0,1] neg_hi:[0,1]
	v_pk_add_f32 v[14:15], v[14:15], v[64:65] neg_lo:[0,1] neg_hi:[0,1]
	s_wait_dscnt 0x0
	v_pk_mul_f32 v[64:65], v[50:51], v[62:63] op_sel:[0,1]
	s_delay_alu instid0(VALU_DEP_1) | instskip(SKIP_2) | instid1(VALU_DEP_2)
	v_pk_fma_f32 v[66:67], v[50:51], v[60:61], v[64:65] op_sel:[0,0,1] op_sel_hi:[1,1,0] neg_lo:[0,0,1] neg_hi:[0,0,1]
	v_pk_fma_f32 v[50:51], v[50:51], v[60:61], v[64:65] op_sel:[0,0,1] op_sel_hi:[1,0,0]
	v_dual_mul_f32 v64, v53, v63 :: v_dual_mov_b32 v50, v53
	v_dual_mov_b32 v67, v51 :: v_dual_mov_b32 v51, v52
	s_delay_alu instid0(VALU_DEP_2) | instskip(SKIP_1) | instid1(VALU_DEP_3)
	v_pk_fma_f32 v[64:65], v[52:53], v[24:25], v[64:65] op_sel_hi:[1,1,0] neg_lo:[0,0,1] neg_hi:[0,0,1]
	v_mul_f32_e32 v52, v53, v60
	v_pk_add_f32 v[16:17], v[16:17], v[66:67] neg_lo:[0,1] neg_hi:[0,1]
	s_delay_alu instid0(VALU_DEP_2) | instskip(NEXT) | instid1(VALU_DEP_1)
	v_pk_fma_f32 v[50:51], v[50:51], v[24:25], v[52:53] op_sel_hi:[1,1,0]
	v_mov_b32_e32 v65, v51
	ds_load_2addr_b64 v[50:53], v54 offset0:16 offset1:17
	v_pk_add_f32 v[12:13], v[12:13], v[64:65] neg_lo:[0,1] neg_hi:[0,1]
	s_wait_dscnt 0x0
	v_pk_mul_f32 v[64:65], v[50:51], v[62:63] op_sel:[0,1]
	s_delay_alu instid0(VALU_DEP_1) | instskip(SKIP_1) | instid1(VALU_DEP_1)
	v_pk_fma_f32 v[66:67], v[50:51], v[60:61], v[64:65] op_sel:[0,0,1] op_sel_hi:[1,1,0] neg_lo:[0,0,1] neg_hi:[0,0,1]
	v_pk_fma_f32 v[50:51], v[50:51], v[60:61], v[64:65] op_sel:[0,0,1] op_sel_hi:[1,0,0]
	v_mov_b32_e32 v67, v51
	v_pk_mul_f32 v[50:51], v[52:53], v[62:63] op_sel:[0,1]
	s_delay_alu instid0(VALU_DEP_1) | instskip(SKIP_1) | instid1(VALU_DEP_1)
	v_pk_fma_f32 v[64:65], v[52:53], v[60:61], v[50:51] op_sel:[0,0,1] op_sel_hi:[1,1,0] neg_lo:[0,0,1] neg_hi:[0,0,1]
	v_pk_fma_f32 v[50:51], v[52:53], v[60:61], v[50:51] op_sel:[0,0,1] op_sel_hi:[1,0,0]
	v_mov_b32_e32 v65, v51
	ds_load_2addr_b64 v[50:53], v54 offset0:18 offset1:19
	v_pk_add_f32 v[32:33], v[32:33], v[66:67] neg_lo:[0,1] neg_hi:[0,1]
	v_pk_add_f32 v[10:11], v[10:11], v[64:65] neg_lo:[0,1] neg_hi:[0,1]
	s_wait_dscnt 0x0
	v_pk_mul_f32 v[64:65], v[50:51], v[62:63] op_sel:[0,1]
	s_delay_alu instid0(VALU_DEP_1) | instskip(SKIP_1) | instid1(VALU_DEP_1)
	v_pk_fma_f32 v[66:67], v[50:51], v[60:61], v[64:65] op_sel:[0,0,1] op_sel_hi:[1,1,0] neg_lo:[0,0,1] neg_hi:[0,0,1]
	v_pk_fma_f32 v[50:51], v[50:51], v[60:61], v[64:65] op_sel:[0,0,1] op_sel_hi:[1,0,0]
	v_mov_b32_e32 v67, v51
	v_pk_mul_f32 v[50:51], v[52:53], v[62:63] op_sel:[0,1]
	s_delay_alu instid0(VALU_DEP_1) | instskip(SKIP_1) | instid1(VALU_DEP_1)
	v_pk_fma_f32 v[64:65], v[52:53], v[60:61], v[50:51] op_sel:[0,0,1] op_sel_hi:[1,1,0] neg_lo:[0,0,1] neg_hi:[0,0,1]
	v_pk_fma_f32 v[50:51], v[52:53], v[60:61], v[50:51] op_sel:[0,0,1] op_sel_hi:[1,0,0]
	v_mov_b32_e32 v65, v51
	ds_load_2addr_b64 v[50:53], v54 offset0:20 offset1:21
	v_pk_add_f32 v[30:31], v[30:31], v[66:67] neg_lo:[0,1] neg_hi:[0,1]
	v_pk_add_f32 v[22:23], v[22:23], v[64:65] neg_lo:[0,1] neg_hi:[0,1]
	s_wait_dscnt 0x0
	v_dual_mul_f32 v64, v51, v63 :: v_dual_mul_f32 v66, v51, v60
	s_delay_alu instid0(VALU_DEP_1) | instskip(NEXT) | instid1(VALU_DEP_2)
	v_pk_fma_f32 v[64:65], v[50:51], v[24:25], v[64:65] op_sel_hi:[1,1,0] neg_lo:[0,0,1] neg_hi:[0,0,1]
	v_pk_fma_f32 v[50:51], v[50:51], v[24:25], v[66:67] op_sel:[1,0,0] op_sel_hi:[0,1,0]
	s_delay_alu instid0(VALU_DEP_1) | instskip(SKIP_1) | instid1(VALU_DEP_1)
	v_mov_b32_e32 v65, v51
	v_pk_mul_f32 v[50:51], v[52:53], v[62:63] op_sel:[0,1]
	v_pk_fma_f32 v[62:63], v[52:53], v[60:61], v[50:51] op_sel:[0,0,1] op_sel_hi:[1,1,0] neg_lo:[0,0,1] neg_hi:[0,0,1]
	v_pk_fma_f32 v[50:51], v[52:53], v[60:61], v[50:51] op_sel:[0,0,1] op_sel_hi:[1,0,0]
	s_delay_alu instid0(VALU_DEP_1) | instskip(SKIP_1) | instid1(VALU_DEP_2)
	v_mov_b32_e32 v63, v51
	v_pk_add_f32 v[18:19], v[18:19], v[64:65] neg_lo:[0,1] neg_hi:[0,1]
	v_pk_add_f32 v[48:49], v[48:49], v[62:63] neg_lo:[0,1] neg_hi:[0,1]
.LBB42_251:
	s_or_b32 exec_lo, exec_lo, s0
	v_lshl_add_u32 v50, v58, 3, v54
	s_barrier_signal -1
	s_barrier_wait -1
	ds_store_b64 v50, v[42:43]
	s_wait_dscnt 0x0
	s_barrier_signal -1
	s_barrier_wait -1
	ds_load_b64 v[50:51], v54 offset:96
	v_mov_b32_e32 v52, 12
	s_cmp_lt_i32 s14, 14
	s_cbranch_scc1 .LBB42_254
; %bb.252:
	v_add3_u32 v53, v55, 0, 0x68
	v_mov_b32_e32 v52, 12
	s_mov_b32 s0, 13
.LBB42_253:                             ; =>This Inner Loop Header: Depth=1
	ds_load_b64 v[60:61], v53
	s_wait_dscnt 0x1
	v_cmp_gt_f32_e32 vcc_lo, 0, v50
	v_cndmask_b32_e64 v62, v50, -v50, vcc_lo
	v_cmp_gt_f32_e32 vcc_lo, 0, v51
	v_cndmask_b32_e64 v64, v51, -v51, vcc_lo
	s_wait_dscnt 0x0
	v_cmp_gt_f32_e32 vcc_lo, 0, v60
	v_cndmask_b32_e64 v63, v60, -v60, vcc_lo
	v_cmp_gt_f32_e32 vcc_lo, 0, v61
	v_cndmask_b32_e64 v65, v61, -v61, vcc_lo
	s_delay_alu instid0(VALU_DEP_1) | instskip(NEXT) | instid1(VALU_DEP_1)
	v_pk_add_f32 v[62:63], v[62:63], v[64:65]
	v_cmp_lt_f32_e32 vcc_lo, v62, v63
	v_dual_cndmask_b32 v50, v50, v60 :: v_dual_add_nc_u32 v53, 8, v53
	v_cndmask_b32_e32 v51, v51, v61, vcc_lo
	v_cndmask_b32_e64 v52, v52, s0, vcc_lo
	s_add_co_i32 s0, s0, 1
	s_delay_alu instid0(SALU_CYCLE_1)
	s_cmp_lg_u32 s14, s0
	s_cbranch_scc1 .LBB42_253
.LBB42_254:
	s_wait_dscnt 0x0
	v_cmp_eq_f32_e32 vcc_lo, 0, v50
	v_cmp_eq_f32_e64 s0, 0, v51
	s_and_b32 s0, vcc_lo, s0
	s_delay_alu instid0(SALU_CYCLE_1) | instskip(NEXT) | instid1(SALU_CYCLE_1)
	s_and_saveexec_b32 s1, s0
	s_xor_b32 s0, exec_lo, s1
; %bb.255:
	v_cmp_ne_u32_e32 vcc_lo, 0, v56
	v_cndmask_b32_e32 v56, 13, v56, vcc_lo
; %bb.256:
	s_and_not1_saveexec_b32 s0, s0
	s_cbranch_execz .LBB42_262
; %bb.257:
	v_cmp_ngt_f32_e64 s1, |v50|, |v51|
	s_and_saveexec_b32 s15, s1
	s_delay_alu instid0(SALU_CYCLE_1)
	s_xor_b32 s1, exec_lo, s15
	s_cbranch_execz .LBB42_259
; %bb.258:
	v_div_scale_f32 v53, null, v51, v51, v50
	v_div_scale_f32 v61, vcc_lo, v50, v51, v50
	s_delay_alu instid0(VALU_DEP_2) | instskip(SKIP_1) | instid1(TRANS32_DEP_1)
	v_rcp_f32_e32 v59, v53
	v_nop
	v_fma_f32 v60, -v53, v59, 1.0
	s_delay_alu instid0(VALU_DEP_1) | instskip(NEXT) | instid1(VALU_DEP_1)
	v_fmac_f32_e32 v59, v60, v59
	v_mul_f32_e32 v60, v61, v59
	s_delay_alu instid0(VALU_DEP_1) | instskip(NEXT) | instid1(VALU_DEP_1)
	v_fma_f32 v62, -v53, v60, v61
	v_fmac_f32_e32 v60, v62, v59
	s_delay_alu instid0(VALU_DEP_1) | instskip(NEXT) | instid1(VALU_DEP_1)
	v_fma_f32 v53, -v53, v60, v61
	v_div_fmas_f32 v53, v53, v59, v60
	s_delay_alu instid0(VALU_DEP_1) | instskip(NEXT) | instid1(VALU_DEP_1)
	v_div_fixup_f32 v53, v53, v51, v50
	v_fmac_f32_e32 v51, v50, v53
	s_delay_alu instid0(VALU_DEP_1) | instskip(SKIP_1) | instid1(VALU_DEP_2)
	v_div_scale_f32 v50, null, v51, v51, 1.0
	v_div_scale_f32 v61, vcc_lo, 1.0, v51, 1.0
	v_rcp_f32_e32 v59, v50
	v_nop
	s_delay_alu instid0(TRANS32_DEP_1) | instskip(NEXT) | instid1(VALU_DEP_1)
	v_fma_f32 v60, -v50, v59, 1.0
	v_fmac_f32_e32 v59, v60, v59
	s_delay_alu instid0(VALU_DEP_1) | instskip(NEXT) | instid1(VALU_DEP_1)
	v_mul_f32_e32 v60, v61, v59
	v_fma_f32 v62, -v50, v60, v61
	s_delay_alu instid0(VALU_DEP_1) | instskip(NEXT) | instid1(VALU_DEP_1)
	v_fmac_f32_e32 v60, v62, v59
	v_fma_f32 v50, -v50, v60, v61
	s_delay_alu instid0(VALU_DEP_1) | instskip(NEXT) | instid1(VALU_DEP_1)
	v_div_fmas_f32 v50, v50, v59, v60
	v_div_fixup_f32 v51, v50, v51, 1.0
	s_delay_alu instid0(VALU_DEP_1)
	v_mul_f32_e32 v50, v53, v51
	v_xor_b32_e32 v51, 0x80000000, v51
.LBB42_259:
	s_and_not1_saveexec_b32 s1, s1
	s_cbranch_execz .LBB42_261
; %bb.260:
	s_delay_alu instid0(VALU_DEP_1) | instskip(SKIP_1) | instid1(VALU_DEP_2)
	v_div_scale_f32 v53, null, v50, v50, v51
	v_div_scale_f32 v61, vcc_lo, v51, v50, v51
	v_rcp_f32_e32 v59, v53
	v_nop
	s_delay_alu instid0(TRANS32_DEP_1) | instskip(NEXT) | instid1(VALU_DEP_1)
	v_fma_f32 v60, -v53, v59, 1.0
	v_fmac_f32_e32 v59, v60, v59
	s_delay_alu instid0(VALU_DEP_1) | instskip(NEXT) | instid1(VALU_DEP_1)
	v_mul_f32_e32 v60, v61, v59
	v_fma_f32 v62, -v53, v60, v61
	s_delay_alu instid0(VALU_DEP_1) | instskip(NEXT) | instid1(VALU_DEP_1)
	v_fmac_f32_e32 v60, v62, v59
	v_fma_f32 v53, -v53, v60, v61
	s_delay_alu instid0(VALU_DEP_1) | instskip(NEXT) | instid1(VALU_DEP_1)
	v_div_fmas_f32 v53, v53, v59, v60
	v_div_fixup_f32 v53, v53, v50, v51
	s_delay_alu instid0(VALU_DEP_1) | instskip(NEXT) | instid1(VALU_DEP_1)
	v_fmac_f32_e32 v50, v51, v53
	v_div_scale_f32 v51, null, v50, v50, 1.0
	s_delay_alu instid0(VALU_DEP_1) | instskip(SKIP_1) | instid1(TRANS32_DEP_1)
	v_rcp_f32_e32 v59, v51
	v_nop
	v_fma_f32 v60, -v51, v59, 1.0
	s_delay_alu instid0(VALU_DEP_1) | instskip(SKIP_1) | instid1(VALU_DEP_1)
	v_fmac_f32_e32 v59, v60, v59
	v_div_scale_f32 v60, vcc_lo, 1.0, v50, 1.0
	v_mul_f32_e32 v61, v60, v59
	s_delay_alu instid0(VALU_DEP_1) | instskip(NEXT) | instid1(VALU_DEP_1)
	v_fma_f32 v62, -v51, v61, v60
	v_fmac_f32_e32 v61, v62, v59
	s_delay_alu instid0(VALU_DEP_1) | instskip(NEXT) | instid1(VALU_DEP_1)
	v_fma_f32 v51, -v51, v61, v60
	v_div_fmas_f32 v51, v51, v59, v61
	s_delay_alu instid0(VALU_DEP_1) | instskip(NEXT) | instid1(VALU_DEP_1)
	v_div_fixup_f32 v50, v51, v50, 1.0
	v_mul_f32_e64 v51, v53, -v50
.LBB42_261:
	s_or_b32 exec_lo, exec_lo, s1
.LBB42_262:
	s_delay_alu instid0(SALU_CYCLE_1) | instskip(NEXT) | instid1(SALU_CYCLE_1)
	s_or_b32 exec_lo, exec_lo, s0
	s_mov_b32 s0, exec_lo
	v_cmpx_ne_u32_e64 v58, v52
	s_xor_b32 s0, exec_lo, s0
	s_cbranch_execz .LBB42_268
; %bb.263:
	s_mov_b32 s1, exec_lo
	v_cmpx_eq_u32_e32 12, v58
	s_cbranch_execz .LBB42_267
; %bb.264:
	v_cmp_ne_u32_e32 vcc_lo, 12, v52
	s_xor_b32 s15, s12, -1
	s_delay_alu instid0(SALU_CYCLE_1) | instskip(NEXT) | instid1(SALU_CYCLE_1)
	s_and_b32 s16, s15, vcc_lo
	s_and_saveexec_b32 s15, s16
	s_cbranch_execz .LBB42_266
; %bb.265:
	v_ashrrev_i32_e32 v53, 31, v52
	s_delay_alu instid0(VALU_DEP_1)
	v_lshl_add_u64 v[58:59], v[52:53], 2, v[34:35]
	s_clause 0x1
	global_load_b32 v53, v[58:59], off
	global_load_b32 v57, v[34:35], off offset:48
	s_wait_loadcnt 0x1
	global_store_b32 v[34:35], v53, off offset:48
	s_wait_loadcnt 0x0
	global_store_b32 v[58:59], v57, off
.LBB42_266:
	s_wait_xcnt 0x0
	s_or_b32 exec_lo, exec_lo, s15
	v_dual_mov_b32 v58, v52 :: v_dual_mov_b32 v57, v52
.LBB42_267:
	s_or_b32 exec_lo, exec_lo, s1
.LBB42_268:
	s_and_not1_saveexec_b32 s0, s0
	s_cbranch_execz .LBB42_270
; %bb.269:
	v_mov_b32_e32 v58, 12
	ds_store_2addr_b64 v54, v[14:15], v[16:17] offset0:13 offset1:14
	ds_store_2addr_b64 v54, v[12:13], v[32:33] offset0:15 offset1:16
	;; [unrolled: 1-line block ×4, first 2 shown]
	ds_store_b64 v54, v[48:49] offset:168
.LBB42_270:
	s_or_b32 exec_lo, exec_lo, s0
	s_delay_alu instid0(SALU_CYCLE_1)
	s_mov_b32 s0, exec_lo
	s_wait_storecnt_dscnt 0x0
	s_barrier_signal -1
	s_barrier_wait -1
	v_cmpx_lt_i32_e32 12, v58
	s_cbranch_execz .LBB42_272
; %bb.271:
	v_pk_mul_f32 v[52:53], v[50:51], v[42:43] op_sel:[1,1] op_sel_hi:[0,1]
	s_delay_alu instid0(VALU_DEP_1)
	v_pk_fma_f32 v[60:61], v[50:51], v[42:43], v[52:53] op_sel_hi:[1,0,1] neg_lo:[0,0,1] neg_hi:[0,0,1]
	v_pk_fma_f32 v[62:63], v[50:51], v[42:43], v[52:53] op_sel_hi:[1,0,1]
	ds_load_2addr_b64 v[50:53], v54 offset0:13 offset1:14
	v_dual_mov_b32 v42, v60 :: v_dual_mov_b32 v43, v63
	s_wait_dscnt 0x0
	v_pk_mul_f32 v[64:65], v[50:51], v[62:63] op_sel:[0,1]
	s_delay_alu instid0(VALU_DEP_1) | instskip(SKIP_1) | instid1(VALU_DEP_1)
	v_pk_fma_f32 v[66:67], v[50:51], v[60:61], v[64:65] op_sel:[0,0,1] op_sel_hi:[1,1,0] neg_lo:[0,0,1] neg_hi:[0,0,1]
	v_pk_fma_f32 v[50:51], v[50:51], v[60:61], v[64:65] op_sel:[0,0,1] op_sel_hi:[1,0,0]
	v_mov_b32_e32 v67, v51
	v_pk_mul_f32 v[50:51], v[52:53], v[62:63] op_sel:[0,1]
	s_delay_alu instid0(VALU_DEP_1) | instskip(SKIP_1) | instid1(VALU_DEP_1)
	v_pk_fma_f32 v[64:65], v[52:53], v[60:61], v[50:51] op_sel:[0,0,1] op_sel_hi:[1,1,0] neg_lo:[0,0,1] neg_hi:[0,0,1]
	v_pk_fma_f32 v[50:51], v[52:53], v[60:61], v[50:51] op_sel:[0,0,1] op_sel_hi:[1,0,0]
	v_mov_b32_e32 v65, v51
	ds_load_2addr_b64 v[50:53], v54 offset0:15 offset1:16
	v_pk_add_f32 v[14:15], v[14:15], v[66:67] neg_lo:[0,1] neg_hi:[0,1]
	v_pk_add_f32 v[16:17], v[16:17], v[64:65] neg_lo:[0,1] neg_hi:[0,1]
	s_wait_dscnt 0x0
	v_pk_mul_f32 v[64:65], v[50:51], v[62:63] op_sel:[0,1]
	s_delay_alu instid0(VALU_DEP_1) | instskip(SKIP_2) | instid1(VALU_DEP_2)
	v_pk_fma_f32 v[66:67], v[50:51], v[60:61], v[64:65] op_sel:[0,0,1] op_sel_hi:[1,1,0] neg_lo:[0,0,1] neg_hi:[0,0,1]
	v_pk_fma_f32 v[50:51], v[50:51], v[60:61], v[64:65] op_sel:[0,0,1] op_sel_hi:[1,0,0]
	v_dual_mul_f32 v64, v53, v63 :: v_dual_mov_b32 v50, v53
	v_dual_mov_b32 v67, v51 :: v_dual_mov_b32 v51, v52
	s_delay_alu instid0(VALU_DEP_2) | instskip(SKIP_1) | instid1(VALU_DEP_3)
	v_pk_fma_f32 v[64:65], v[52:53], v[42:43], v[64:65] op_sel_hi:[1,1,0] neg_lo:[0,0,1] neg_hi:[0,0,1]
	v_mul_f32_e32 v52, v53, v60
	v_pk_add_f32 v[12:13], v[12:13], v[66:67] neg_lo:[0,1] neg_hi:[0,1]
	s_delay_alu instid0(VALU_DEP_2) | instskip(NEXT) | instid1(VALU_DEP_1)
	v_pk_fma_f32 v[50:51], v[50:51], v[42:43], v[52:53] op_sel_hi:[1,1,0]
	v_mov_b32_e32 v65, v51
	ds_load_2addr_b64 v[50:53], v54 offset0:17 offset1:18
	v_pk_add_f32 v[32:33], v[32:33], v[64:65] neg_lo:[0,1] neg_hi:[0,1]
	s_wait_dscnt 0x0
	v_pk_mul_f32 v[64:65], v[50:51], v[62:63] op_sel:[0,1]
	s_delay_alu instid0(VALU_DEP_1) | instskip(SKIP_1) | instid1(VALU_DEP_1)
	v_pk_fma_f32 v[66:67], v[50:51], v[60:61], v[64:65] op_sel:[0,0,1] op_sel_hi:[1,1,0] neg_lo:[0,0,1] neg_hi:[0,0,1]
	v_pk_fma_f32 v[50:51], v[50:51], v[60:61], v[64:65] op_sel:[0,0,1] op_sel_hi:[1,0,0]
	v_mov_b32_e32 v67, v51
	v_pk_mul_f32 v[50:51], v[52:53], v[62:63] op_sel:[0,1]
	s_delay_alu instid0(VALU_DEP_1) | instskip(SKIP_1) | instid1(VALU_DEP_1)
	v_pk_fma_f32 v[64:65], v[52:53], v[60:61], v[50:51] op_sel:[0,0,1] op_sel_hi:[1,1,0] neg_lo:[0,0,1] neg_hi:[0,0,1]
	v_pk_fma_f32 v[50:51], v[52:53], v[60:61], v[50:51] op_sel:[0,0,1] op_sel_hi:[1,0,0]
	v_mov_b32_e32 v65, v51
	ds_load_2addr_b64 v[50:53], v54 offset0:19 offset1:20
	v_pk_add_f32 v[10:11], v[10:11], v[66:67] neg_lo:[0,1] neg_hi:[0,1]
	v_pk_add_f32 v[30:31], v[30:31], v[64:65] neg_lo:[0,1] neg_hi:[0,1]
	s_wait_dscnt 0x0
	v_pk_mul_f32 v[64:65], v[50:51], v[62:63] op_sel:[0,1]
	s_delay_alu instid0(VALU_DEP_1) | instskip(SKIP_1) | instid1(VALU_DEP_1)
	v_pk_fma_f32 v[66:67], v[50:51], v[60:61], v[64:65] op_sel:[0,0,1] op_sel_hi:[1,1,0] neg_lo:[0,0,1] neg_hi:[0,0,1]
	v_pk_fma_f32 v[50:51], v[50:51], v[60:61], v[64:65] op_sel:[0,0,1] op_sel_hi:[1,0,0]
	v_mov_b32_e32 v67, v51
	v_pk_mul_f32 v[50:51], v[52:53], v[62:63] op_sel:[0,1]
	s_delay_alu instid0(VALU_DEP_1) | instskip(SKIP_1) | instid1(VALU_DEP_1)
	v_pk_fma_f32 v[64:65], v[52:53], v[60:61], v[50:51] op_sel:[0,0,1] op_sel_hi:[1,1,0] neg_lo:[0,0,1] neg_hi:[0,0,1]
	v_pk_fma_f32 v[50:51], v[52:53], v[60:61], v[50:51] op_sel:[0,0,1] op_sel_hi:[1,0,0]
	v_mov_b32_e32 v65, v51
	ds_load_b64 v[50:51], v54 offset:168
	v_pk_add_f32 v[22:23], v[22:23], v[66:67] neg_lo:[0,1] neg_hi:[0,1]
	v_pk_add_f32 v[18:19], v[18:19], v[64:65] neg_lo:[0,1] neg_hi:[0,1]
	s_wait_dscnt 0x0
	v_pk_mul_f32 v[52:53], v[50:51], v[62:63] op_sel:[0,1]
	s_delay_alu instid0(VALU_DEP_1) | instskip(SKIP_1) | instid1(VALU_DEP_1)
	v_pk_fma_f32 v[62:63], v[50:51], v[60:61], v[52:53] op_sel:[0,0,1] op_sel_hi:[1,1,0] neg_lo:[0,0,1] neg_hi:[0,0,1]
	v_pk_fma_f32 v[50:51], v[50:51], v[60:61], v[52:53] op_sel:[0,0,1] op_sel_hi:[1,0,0]
	v_mov_b32_e32 v63, v51
	s_delay_alu instid0(VALU_DEP_1)
	v_pk_add_f32 v[48:49], v[48:49], v[62:63] neg_lo:[0,1] neg_hi:[0,1]
.LBB42_272:
	s_or_b32 exec_lo, exec_lo, s0
	v_lshl_add_u32 v50, v58, 3, v54
	s_barrier_signal -1
	s_barrier_wait -1
	ds_store_b64 v50, v[14:15]
	s_wait_dscnt 0x0
	s_barrier_signal -1
	s_barrier_wait -1
	ds_load_b64 v[50:51], v54 offset:104
	v_mov_b32_e32 v52, 13
	s_cmp_lt_i32 s14, 15
	s_cbranch_scc1 .LBB42_275
; %bb.273:
	v_add3_u32 v53, v55, 0, 0x70
	v_mov_b32_e32 v52, 13
	s_mov_b32 s0, 14
.LBB42_274:                             ; =>This Inner Loop Header: Depth=1
	ds_load_b64 v[60:61], v53
	s_wait_dscnt 0x1
	v_cmp_gt_f32_e32 vcc_lo, 0, v50
	v_cndmask_b32_e64 v62, v50, -v50, vcc_lo
	v_cmp_gt_f32_e32 vcc_lo, 0, v51
	v_cndmask_b32_e64 v64, v51, -v51, vcc_lo
	s_wait_dscnt 0x0
	v_cmp_gt_f32_e32 vcc_lo, 0, v60
	v_cndmask_b32_e64 v63, v60, -v60, vcc_lo
	v_cmp_gt_f32_e32 vcc_lo, 0, v61
	v_cndmask_b32_e64 v65, v61, -v61, vcc_lo
	s_delay_alu instid0(VALU_DEP_1) | instskip(NEXT) | instid1(VALU_DEP_1)
	v_pk_add_f32 v[62:63], v[62:63], v[64:65]
	v_cmp_lt_f32_e32 vcc_lo, v62, v63
	v_dual_cndmask_b32 v50, v50, v60 :: v_dual_add_nc_u32 v53, 8, v53
	v_cndmask_b32_e32 v51, v51, v61, vcc_lo
	v_cndmask_b32_e64 v52, v52, s0, vcc_lo
	s_add_co_i32 s0, s0, 1
	s_delay_alu instid0(SALU_CYCLE_1)
	s_cmp_lg_u32 s14, s0
	s_cbranch_scc1 .LBB42_274
.LBB42_275:
	s_wait_dscnt 0x0
	v_cmp_eq_f32_e32 vcc_lo, 0, v50
	v_cmp_eq_f32_e64 s0, 0, v51
	s_and_b32 s0, vcc_lo, s0
	s_delay_alu instid0(SALU_CYCLE_1) | instskip(NEXT) | instid1(SALU_CYCLE_1)
	s_and_saveexec_b32 s1, s0
	s_xor_b32 s0, exec_lo, s1
; %bb.276:
	v_cmp_ne_u32_e32 vcc_lo, 0, v56
	v_cndmask_b32_e32 v56, 14, v56, vcc_lo
; %bb.277:
	s_and_not1_saveexec_b32 s0, s0
	s_cbranch_execz .LBB42_283
; %bb.278:
	v_cmp_ngt_f32_e64 s1, |v50|, |v51|
	s_and_saveexec_b32 s15, s1
	s_delay_alu instid0(SALU_CYCLE_1)
	s_xor_b32 s1, exec_lo, s15
	s_cbranch_execz .LBB42_280
; %bb.279:
	v_div_scale_f32 v53, null, v51, v51, v50
	v_div_scale_f32 v61, vcc_lo, v50, v51, v50
	s_delay_alu instid0(VALU_DEP_2) | instskip(SKIP_1) | instid1(TRANS32_DEP_1)
	v_rcp_f32_e32 v59, v53
	v_nop
	v_fma_f32 v60, -v53, v59, 1.0
	s_delay_alu instid0(VALU_DEP_1) | instskip(NEXT) | instid1(VALU_DEP_1)
	v_fmac_f32_e32 v59, v60, v59
	v_mul_f32_e32 v60, v61, v59
	s_delay_alu instid0(VALU_DEP_1) | instskip(NEXT) | instid1(VALU_DEP_1)
	v_fma_f32 v62, -v53, v60, v61
	v_fmac_f32_e32 v60, v62, v59
	s_delay_alu instid0(VALU_DEP_1) | instskip(NEXT) | instid1(VALU_DEP_1)
	v_fma_f32 v53, -v53, v60, v61
	v_div_fmas_f32 v53, v53, v59, v60
	s_delay_alu instid0(VALU_DEP_1) | instskip(NEXT) | instid1(VALU_DEP_1)
	v_div_fixup_f32 v53, v53, v51, v50
	v_fmac_f32_e32 v51, v50, v53
	s_delay_alu instid0(VALU_DEP_1) | instskip(SKIP_1) | instid1(VALU_DEP_2)
	v_div_scale_f32 v50, null, v51, v51, 1.0
	v_div_scale_f32 v61, vcc_lo, 1.0, v51, 1.0
	v_rcp_f32_e32 v59, v50
	v_nop
	s_delay_alu instid0(TRANS32_DEP_1) | instskip(NEXT) | instid1(VALU_DEP_1)
	v_fma_f32 v60, -v50, v59, 1.0
	v_fmac_f32_e32 v59, v60, v59
	s_delay_alu instid0(VALU_DEP_1) | instskip(NEXT) | instid1(VALU_DEP_1)
	v_mul_f32_e32 v60, v61, v59
	v_fma_f32 v62, -v50, v60, v61
	s_delay_alu instid0(VALU_DEP_1) | instskip(NEXT) | instid1(VALU_DEP_1)
	v_fmac_f32_e32 v60, v62, v59
	v_fma_f32 v50, -v50, v60, v61
	s_delay_alu instid0(VALU_DEP_1) | instskip(NEXT) | instid1(VALU_DEP_1)
	v_div_fmas_f32 v50, v50, v59, v60
	v_div_fixup_f32 v51, v50, v51, 1.0
	s_delay_alu instid0(VALU_DEP_1)
	v_mul_f32_e32 v50, v53, v51
	v_xor_b32_e32 v51, 0x80000000, v51
.LBB42_280:
	s_and_not1_saveexec_b32 s1, s1
	s_cbranch_execz .LBB42_282
; %bb.281:
	s_delay_alu instid0(VALU_DEP_1) | instskip(SKIP_1) | instid1(VALU_DEP_2)
	v_div_scale_f32 v53, null, v50, v50, v51
	v_div_scale_f32 v61, vcc_lo, v51, v50, v51
	v_rcp_f32_e32 v59, v53
	v_nop
	s_delay_alu instid0(TRANS32_DEP_1) | instskip(NEXT) | instid1(VALU_DEP_1)
	v_fma_f32 v60, -v53, v59, 1.0
	v_fmac_f32_e32 v59, v60, v59
	s_delay_alu instid0(VALU_DEP_1) | instskip(NEXT) | instid1(VALU_DEP_1)
	v_mul_f32_e32 v60, v61, v59
	v_fma_f32 v62, -v53, v60, v61
	s_delay_alu instid0(VALU_DEP_1) | instskip(NEXT) | instid1(VALU_DEP_1)
	v_fmac_f32_e32 v60, v62, v59
	v_fma_f32 v53, -v53, v60, v61
	s_delay_alu instid0(VALU_DEP_1) | instskip(NEXT) | instid1(VALU_DEP_1)
	v_div_fmas_f32 v53, v53, v59, v60
	v_div_fixup_f32 v53, v53, v50, v51
	s_delay_alu instid0(VALU_DEP_1) | instskip(NEXT) | instid1(VALU_DEP_1)
	v_fmac_f32_e32 v50, v51, v53
	v_div_scale_f32 v51, null, v50, v50, 1.0
	s_delay_alu instid0(VALU_DEP_1) | instskip(SKIP_1) | instid1(TRANS32_DEP_1)
	v_rcp_f32_e32 v59, v51
	v_nop
	v_fma_f32 v60, -v51, v59, 1.0
	s_delay_alu instid0(VALU_DEP_1) | instskip(SKIP_1) | instid1(VALU_DEP_1)
	v_fmac_f32_e32 v59, v60, v59
	v_div_scale_f32 v60, vcc_lo, 1.0, v50, 1.0
	v_mul_f32_e32 v61, v60, v59
	s_delay_alu instid0(VALU_DEP_1) | instskip(NEXT) | instid1(VALU_DEP_1)
	v_fma_f32 v62, -v51, v61, v60
	v_fmac_f32_e32 v61, v62, v59
	s_delay_alu instid0(VALU_DEP_1) | instskip(NEXT) | instid1(VALU_DEP_1)
	v_fma_f32 v51, -v51, v61, v60
	v_div_fmas_f32 v51, v51, v59, v61
	s_delay_alu instid0(VALU_DEP_1) | instskip(NEXT) | instid1(VALU_DEP_1)
	v_div_fixup_f32 v50, v51, v50, 1.0
	v_mul_f32_e64 v51, v53, -v50
.LBB42_282:
	s_or_b32 exec_lo, exec_lo, s1
.LBB42_283:
	s_delay_alu instid0(SALU_CYCLE_1) | instskip(NEXT) | instid1(SALU_CYCLE_1)
	s_or_b32 exec_lo, exec_lo, s0
	s_mov_b32 s0, exec_lo
	v_cmpx_ne_u32_e64 v58, v52
	s_xor_b32 s0, exec_lo, s0
	s_cbranch_execz .LBB42_289
; %bb.284:
	s_mov_b32 s1, exec_lo
	v_cmpx_eq_u32_e32 13, v58
	s_cbranch_execz .LBB42_288
; %bb.285:
	v_cmp_ne_u32_e32 vcc_lo, 13, v52
	s_xor_b32 s15, s12, -1
	s_delay_alu instid0(SALU_CYCLE_1) | instskip(NEXT) | instid1(SALU_CYCLE_1)
	s_and_b32 s16, s15, vcc_lo
	s_and_saveexec_b32 s15, s16
	s_cbranch_execz .LBB42_287
; %bb.286:
	v_ashrrev_i32_e32 v53, 31, v52
	s_delay_alu instid0(VALU_DEP_1)
	v_lshl_add_u64 v[58:59], v[52:53], 2, v[34:35]
	s_clause 0x1
	global_load_b32 v53, v[58:59], off
	global_load_b32 v57, v[34:35], off offset:52
	s_wait_loadcnt 0x1
	global_store_b32 v[34:35], v53, off offset:52
	s_wait_loadcnt 0x0
	global_store_b32 v[58:59], v57, off
.LBB42_287:
	s_wait_xcnt 0x0
	s_or_b32 exec_lo, exec_lo, s15
	v_dual_mov_b32 v58, v52 :: v_dual_mov_b32 v57, v52
.LBB42_288:
	s_or_b32 exec_lo, exec_lo, s1
.LBB42_289:
	s_and_not1_saveexec_b32 s0, s0
	s_cbranch_execz .LBB42_291
; %bb.290:
	v_dual_mov_b32 v52, v16 :: v_dual_mov_b32 v53, v17
	v_dual_mov_b32 v60, v12 :: v_dual_mov_b32 v61, v13
	;; [unrolled: 1-line block ×7, first 2 shown]
	v_mov_b32_e32 v71, v19
	ds_store_2addr_b64 v54, v[52:53], v[60:61] offset0:14 offset1:15
	ds_store_2addr_b64 v54, v[62:63], v[64:65] offset0:16 offset1:17
	;; [unrolled: 1-line block ×4, first 2 shown]
.LBB42_291:
	s_or_b32 exec_lo, exec_lo, s0
	s_delay_alu instid0(SALU_CYCLE_1)
	s_mov_b32 s0, exec_lo
	s_wait_storecnt_dscnt 0x0
	s_barrier_signal -1
	s_barrier_wait -1
	v_cmpx_lt_i32_e32 13, v58
	s_cbranch_execz .LBB42_293
; %bb.292:
	v_pk_mul_f32 v[52:53], v[50:51], v[14:15] op_sel:[1,1] op_sel_hi:[0,1]
	s_delay_alu instid0(VALU_DEP_1)
	v_pk_fma_f32 v[60:61], v[50:51], v[14:15], v[52:53] op_sel_hi:[1,0,1] neg_lo:[0,0,1] neg_hi:[0,0,1]
	v_pk_fma_f32 v[62:63], v[50:51], v[14:15], v[52:53] op_sel_hi:[1,0,1]
	ds_load_2addr_b64 v[50:53], v54 offset0:14 offset1:15
	v_dual_mov_b32 v14, v60 :: v_dual_mov_b32 v15, v63
	s_wait_dscnt 0x0
	v_pk_mul_f32 v[64:65], v[50:51], v[62:63] op_sel:[0,1]
	s_delay_alu instid0(VALU_DEP_1) | instskip(SKIP_1) | instid1(VALU_DEP_1)
	v_pk_fma_f32 v[66:67], v[50:51], v[60:61], v[64:65] op_sel:[0,0,1] op_sel_hi:[1,1,0] neg_lo:[0,0,1] neg_hi:[0,0,1]
	v_pk_fma_f32 v[50:51], v[50:51], v[60:61], v[64:65] op_sel:[0,0,1] op_sel_hi:[1,0,0]
	v_mov_b32_e32 v67, v51
	v_pk_mul_f32 v[50:51], v[52:53], v[62:63] op_sel:[0,1]
	s_delay_alu instid0(VALU_DEP_1) | instskip(SKIP_1) | instid1(VALU_DEP_1)
	v_pk_fma_f32 v[64:65], v[52:53], v[60:61], v[50:51] op_sel:[0,0,1] op_sel_hi:[1,1,0] neg_lo:[0,0,1] neg_hi:[0,0,1]
	v_pk_fma_f32 v[50:51], v[52:53], v[60:61], v[50:51] op_sel:[0,0,1] op_sel_hi:[1,0,0]
	v_mov_b32_e32 v65, v51
	ds_load_2addr_b64 v[50:53], v54 offset0:16 offset1:17
	v_pk_add_f32 v[16:17], v[16:17], v[66:67] neg_lo:[0,1] neg_hi:[0,1]
	v_pk_add_f32 v[12:13], v[12:13], v[64:65] neg_lo:[0,1] neg_hi:[0,1]
	s_wait_dscnt 0x0
	v_pk_mul_f32 v[64:65], v[50:51], v[62:63] op_sel:[0,1]
	s_delay_alu instid0(VALU_DEP_1) | instskip(SKIP_2) | instid1(VALU_DEP_2)
	v_pk_fma_f32 v[66:67], v[50:51], v[60:61], v[64:65] op_sel:[0,0,1] op_sel_hi:[1,1,0] neg_lo:[0,0,1] neg_hi:[0,0,1]
	v_pk_fma_f32 v[50:51], v[50:51], v[60:61], v[64:65] op_sel:[0,0,1] op_sel_hi:[1,0,0]
	v_dual_mul_f32 v64, v53, v63 :: v_dual_mov_b32 v50, v53
	v_dual_mov_b32 v67, v51 :: v_dual_mov_b32 v51, v52
	s_delay_alu instid0(VALU_DEP_2) | instskip(SKIP_1) | instid1(VALU_DEP_3)
	v_pk_fma_f32 v[64:65], v[52:53], v[14:15], v[64:65] op_sel_hi:[1,1,0] neg_lo:[0,0,1] neg_hi:[0,0,1]
	v_mul_f32_e32 v52, v53, v60
	v_pk_add_f32 v[32:33], v[32:33], v[66:67] neg_lo:[0,1] neg_hi:[0,1]
	s_delay_alu instid0(VALU_DEP_2) | instskip(NEXT) | instid1(VALU_DEP_1)
	v_pk_fma_f32 v[50:51], v[50:51], v[14:15], v[52:53] op_sel_hi:[1,1,0]
	v_mov_b32_e32 v65, v51
	ds_load_2addr_b64 v[50:53], v54 offset0:18 offset1:19
	v_pk_add_f32 v[10:11], v[10:11], v[64:65] neg_lo:[0,1] neg_hi:[0,1]
	s_wait_dscnt 0x0
	v_pk_mul_f32 v[64:65], v[50:51], v[62:63] op_sel:[0,1]
	s_delay_alu instid0(VALU_DEP_1) | instskip(SKIP_1) | instid1(VALU_DEP_1)
	v_pk_fma_f32 v[66:67], v[50:51], v[60:61], v[64:65] op_sel:[0,0,1] op_sel_hi:[1,1,0] neg_lo:[0,0,1] neg_hi:[0,0,1]
	v_pk_fma_f32 v[50:51], v[50:51], v[60:61], v[64:65] op_sel:[0,0,1] op_sel_hi:[1,0,0]
	v_mov_b32_e32 v67, v51
	v_pk_mul_f32 v[50:51], v[52:53], v[62:63] op_sel:[0,1]
	s_delay_alu instid0(VALU_DEP_1) | instskip(SKIP_1) | instid1(VALU_DEP_1)
	v_pk_fma_f32 v[64:65], v[52:53], v[60:61], v[50:51] op_sel:[0,0,1] op_sel_hi:[1,1,0] neg_lo:[0,0,1] neg_hi:[0,0,1]
	v_pk_fma_f32 v[50:51], v[52:53], v[60:61], v[50:51] op_sel:[0,0,1] op_sel_hi:[1,0,0]
	v_mov_b32_e32 v65, v51
	ds_load_2addr_b64 v[50:53], v54 offset0:20 offset1:21
	v_pk_add_f32 v[30:31], v[30:31], v[66:67] neg_lo:[0,1] neg_hi:[0,1]
	v_pk_add_f32 v[22:23], v[22:23], v[64:65] neg_lo:[0,1] neg_hi:[0,1]
	s_wait_dscnt 0x0
	v_pk_mul_f32 v[64:65], v[50:51], v[62:63] op_sel:[0,1]
	s_delay_alu instid0(VALU_DEP_1) | instskip(SKIP_1) | instid1(VALU_DEP_1)
	v_pk_fma_f32 v[66:67], v[50:51], v[60:61], v[64:65] op_sel:[0,0,1] op_sel_hi:[1,1,0] neg_lo:[0,0,1] neg_hi:[0,0,1]
	v_pk_fma_f32 v[50:51], v[50:51], v[60:61], v[64:65] op_sel:[0,0,1] op_sel_hi:[1,0,0]
	v_mov_b32_e32 v67, v51
	v_pk_mul_f32 v[50:51], v[52:53], v[62:63] op_sel:[0,1]
	s_delay_alu instid0(VALU_DEP_1) | instskip(SKIP_1) | instid1(VALU_DEP_1)
	v_pk_fma_f32 v[62:63], v[52:53], v[60:61], v[50:51] op_sel:[0,0,1] op_sel_hi:[1,1,0] neg_lo:[0,0,1] neg_hi:[0,0,1]
	v_pk_fma_f32 v[50:51], v[52:53], v[60:61], v[50:51] op_sel:[0,0,1] op_sel_hi:[1,0,0]
	v_mov_b32_e32 v63, v51
	v_pk_add_f32 v[18:19], v[18:19], v[66:67] neg_lo:[0,1] neg_hi:[0,1]
	s_delay_alu instid0(VALU_DEP_2)
	v_pk_add_f32 v[48:49], v[48:49], v[62:63] neg_lo:[0,1] neg_hi:[0,1]
.LBB42_293:
	s_or_b32 exec_lo, exec_lo, s0
	v_lshl_add_u32 v50, v58, 3, v54
	s_barrier_signal -1
	s_barrier_wait -1
	ds_store_b64 v50, v[16:17]
	s_wait_dscnt 0x0
	s_barrier_signal -1
	s_barrier_wait -1
	ds_load_b64 v[50:51], v54 offset:112
	v_mov_b32_e32 v52, 14
	s_cmp_lt_i32 s14, 16
	s_cbranch_scc1 .LBB42_296
; %bb.294:
	v_add3_u32 v53, v55, 0, 0x78
	v_mov_b32_e32 v52, 14
	s_mov_b32 s0, 15
.LBB42_295:                             ; =>This Inner Loop Header: Depth=1
	ds_load_b64 v[60:61], v53
	s_wait_dscnt 0x1
	v_cmp_gt_f32_e32 vcc_lo, 0, v50
	v_cndmask_b32_e64 v62, v50, -v50, vcc_lo
	v_cmp_gt_f32_e32 vcc_lo, 0, v51
	v_cndmask_b32_e64 v64, v51, -v51, vcc_lo
	s_wait_dscnt 0x0
	v_cmp_gt_f32_e32 vcc_lo, 0, v60
	v_cndmask_b32_e64 v63, v60, -v60, vcc_lo
	v_cmp_gt_f32_e32 vcc_lo, 0, v61
	v_cndmask_b32_e64 v65, v61, -v61, vcc_lo
	s_delay_alu instid0(VALU_DEP_1) | instskip(NEXT) | instid1(VALU_DEP_1)
	v_pk_add_f32 v[62:63], v[62:63], v[64:65]
	v_cmp_lt_f32_e32 vcc_lo, v62, v63
	v_dual_cndmask_b32 v50, v50, v60 :: v_dual_add_nc_u32 v53, 8, v53
	v_cndmask_b32_e32 v51, v51, v61, vcc_lo
	v_cndmask_b32_e64 v52, v52, s0, vcc_lo
	s_add_co_i32 s0, s0, 1
	s_delay_alu instid0(SALU_CYCLE_1)
	s_cmp_lg_u32 s14, s0
	s_cbranch_scc1 .LBB42_295
.LBB42_296:
	s_wait_dscnt 0x0
	v_cmp_eq_f32_e32 vcc_lo, 0, v50
	v_cmp_eq_f32_e64 s0, 0, v51
	s_and_b32 s0, vcc_lo, s0
	s_delay_alu instid0(SALU_CYCLE_1) | instskip(NEXT) | instid1(SALU_CYCLE_1)
	s_and_saveexec_b32 s1, s0
	s_xor_b32 s0, exec_lo, s1
; %bb.297:
	v_cmp_ne_u32_e32 vcc_lo, 0, v56
	v_cndmask_b32_e32 v56, 15, v56, vcc_lo
; %bb.298:
	s_and_not1_saveexec_b32 s0, s0
	s_cbranch_execz .LBB42_304
; %bb.299:
	v_cmp_ngt_f32_e64 s1, |v50|, |v51|
	s_and_saveexec_b32 s15, s1
	s_delay_alu instid0(SALU_CYCLE_1)
	s_xor_b32 s1, exec_lo, s15
	s_cbranch_execz .LBB42_301
; %bb.300:
	v_div_scale_f32 v53, null, v51, v51, v50
	v_div_scale_f32 v61, vcc_lo, v50, v51, v50
	s_delay_alu instid0(VALU_DEP_2) | instskip(SKIP_1) | instid1(TRANS32_DEP_1)
	v_rcp_f32_e32 v59, v53
	v_nop
	v_fma_f32 v60, -v53, v59, 1.0
	s_delay_alu instid0(VALU_DEP_1) | instskip(NEXT) | instid1(VALU_DEP_1)
	v_fmac_f32_e32 v59, v60, v59
	v_mul_f32_e32 v60, v61, v59
	s_delay_alu instid0(VALU_DEP_1) | instskip(NEXT) | instid1(VALU_DEP_1)
	v_fma_f32 v62, -v53, v60, v61
	v_fmac_f32_e32 v60, v62, v59
	s_delay_alu instid0(VALU_DEP_1) | instskip(NEXT) | instid1(VALU_DEP_1)
	v_fma_f32 v53, -v53, v60, v61
	v_div_fmas_f32 v53, v53, v59, v60
	s_delay_alu instid0(VALU_DEP_1) | instskip(NEXT) | instid1(VALU_DEP_1)
	v_div_fixup_f32 v53, v53, v51, v50
	v_fmac_f32_e32 v51, v50, v53
	s_delay_alu instid0(VALU_DEP_1) | instskip(SKIP_1) | instid1(VALU_DEP_2)
	v_div_scale_f32 v50, null, v51, v51, 1.0
	v_div_scale_f32 v61, vcc_lo, 1.0, v51, 1.0
	v_rcp_f32_e32 v59, v50
	v_nop
	s_delay_alu instid0(TRANS32_DEP_1) | instskip(NEXT) | instid1(VALU_DEP_1)
	v_fma_f32 v60, -v50, v59, 1.0
	v_fmac_f32_e32 v59, v60, v59
	s_delay_alu instid0(VALU_DEP_1) | instskip(NEXT) | instid1(VALU_DEP_1)
	v_mul_f32_e32 v60, v61, v59
	v_fma_f32 v62, -v50, v60, v61
	s_delay_alu instid0(VALU_DEP_1) | instskip(NEXT) | instid1(VALU_DEP_1)
	v_fmac_f32_e32 v60, v62, v59
	v_fma_f32 v50, -v50, v60, v61
	s_delay_alu instid0(VALU_DEP_1) | instskip(NEXT) | instid1(VALU_DEP_1)
	v_div_fmas_f32 v50, v50, v59, v60
	v_div_fixup_f32 v51, v50, v51, 1.0
	s_delay_alu instid0(VALU_DEP_1)
	v_mul_f32_e32 v50, v53, v51
	v_xor_b32_e32 v51, 0x80000000, v51
.LBB42_301:
	s_and_not1_saveexec_b32 s1, s1
	s_cbranch_execz .LBB42_303
; %bb.302:
	s_delay_alu instid0(VALU_DEP_1) | instskip(SKIP_1) | instid1(VALU_DEP_2)
	v_div_scale_f32 v53, null, v50, v50, v51
	v_div_scale_f32 v61, vcc_lo, v51, v50, v51
	v_rcp_f32_e32 v59, v53
	v_nop
	s_delay_alu instid0(TRANS32_DEP_1) | instskip(NEXT) | instid1(VALU_DEP_1)
	v_fma_f32 v60, -v53, v59, 1.0
	v_fmac_f32_e32 v59, v60, v59
	s_delay_alu instid0(VALU_DEP_1) | instskip(NEXT) | instid1(VALU_DEP_1)
	v_mul_f32_e32 v60, v61, v59
	v_fma_f32 v62, -v53, v60, v61
	s_delay_alu instid0(VALU_DEP_1) | instskip(NEXT) | instid1(VALU_DEP_1)
	v_fmac_f32_e32 v60, v62, v59
	v_fma_f32 v53, -v53, v60, v61
	s_delay_alu instid0(VALU_DEP_1) | instskip(NEXT) | instid1(VALU_DEP_1)
	v_div_fmas_f32 v53, v53, v59, v60
	v_div_fixup_f32 v53, v53, v50, v51
	s_delay_alu instid0(VALU_DEP_1) | instskip(NEXT) | instid1(VALU_DEP_1)
	v_fmac_f32_e32 v50, v51, v53
	v_div_scale_f32 v51, null, v50, v50, 1.0
	s_delay_alu instid0(VALU_DEP_1) | instskip(SKIP_1) | instid1(TRANS32_DEP_1)
	v_rcp_f32_e32 v59, v51
	v_nop
	v_fma_f32 v60, -v51, v59, 1.0
	s_delay_alu instid0(VALU_DEP_1) | instskip(SKIP_1) | instid1(VALU_DEP_1)
	v_fmac_f32_e32 v59, v60, v59
	v_div_scale_f32 v60, vcc_lo, 1.0, v50, 1.0
	v_mul_f32_e32 v61, v60, v59
	s_delay_alu instid0(VALU_DEP_1) | instskip(NEXT) | instid1(VALU_DEP_1)
	v_fma_f32 v62, -v51, v61, v60
	v_fmac_f32_e32 v61, v62, v59
	s_delay_alu instid0(VALU_DEP_1) | instskip(NEXT) | instid1(VALU_DEP_1)
	v_fma_f32 v51, -v51, v61, v60
	v_div_fmas_f32 v51, v51, v59, v61
	s_delay_alu instid0(VALU_DEP_1) | instskip(NEXT) | instid1(VALU_DEP_1)
	v_div_fixup_f32 v50, v51, v50, 1.0
	v_mul_f32_e64 v51, v53, -v50
.LBB42_303:
	s_or_b32 exec_lo, exec_lo, s1
.LBB42_304:
	s_delay_alu instid0(SALU_CYCLE_1) | instskip(NEXT) | instid1(SALU_CYCLE_1)
	s_or_b32 exec_lo, exec_lo, s0
	s_mov_b32 s0, exec_lo
	v_cmpx_ne_u32_e64 v58, v52
	s_xor_b32 s0, exec_lo, s0
	s_cbranch_execz .LBB42_310
; %bb.305:
	s_mov_b32 s1, exec_lo
	v_cmpx_eq_u32_e32 14, v58
	s_cbranch_execz .LBB42_309
; %bb.306:
	v_cmp_ne_u32_e32 vcc_lo, 14, v52
	s_xor_b32 s15, s12, -1
	s_delay_alu instid0(SALU_CYCLE_1) | instskip(NEXT) | instid1(SALU_CYCLE_1)
	s_and_b32 s16, s15, vcc_lo
	s_and_saveexec_b32 s15, s16
	s_cbranch_execz .LBB42_308
; %bb.307:
	v_ashrrev_i32_e32 v53, 31, v52
	s_delay_alu instid0(VALU_DEP_1)
	v_lshl_add_u64 v[58:59], v[52:53], 2, v[34:35]
	s_clause 0x1
	global_load_b32 v53, v[58:59], off
	global_load_b32 v57, v[34:35], off offset:56
	s_wait_loadcnt 0x1
	global_store_b32 v[34:35], v53, off offset:56
	s_wait_loadcnt 0x0
	global_store_b32 v[58:59], v57, off
.LBB42_308:
	s_wait_xcnt 0x0
	s_or_b32 exec_lo, exec_lo, s15
	v_dual_mov_b32 v58, v52 :: v_dual_mov_b32 v57, v52
.LBB42_309:
	s_or_b32 exec_lo, exec_lo, s1
.LBB42_310:
	s_and_not1_saveexec_b32 s0, s0
	s_cbranch_execz .LBB42_312
; %bb.311:
	v_mov_b32_e32 v58, 14
	ds_store_2addr_b64 v54, v[12:13], v[32:33] offset0:15 offset1:16
	ds_store_2addr_b64 v54, v[10:11], v[30:31] offset0:17 offset1:18
	ds_store_2addr_b64 v54, v[22:23], v[18:19] offset0:19 offset1:20
	ds_store_b64 v54, v[48:49] offset:168
.LBB42_312:
	s_or_b32 exec_lo, exec_lo, s0
	s_delay_alu instid0(SALU_CYCLE_1)
	s_mov_b32 s0, exec_lo
	s_wait_storecnt_dscnt 0x0
	s_barrier_signal -1
	s_barrier_wait -1
	v_cmpx_lt_i32_e32 14, v58
	s_cbranch_execz .LBB42_314
; %bb.313:
	v_pk_mul_f32 v[52:53], v[50:51], v[16:17] op_sel:[1,1] op_sel_hi:[0,1]
	s_delay_alu instid0(VALU_DEP_1)
	v_pk_fma_f32 v[60:61], v[50:51], v[16:17], v[52:53] op_sel_hi:[1,0,1] neg_lo:[0,0,1] neg_hi:[0,0,1]
	v_pk_fma_f32 v[62:63], v[50:51], v[16:17], v[52:53] op_sel_hi:[1,0,1]
	ds_load_2addr_b64 v[50:53], v54 offset0:15 offset1:16
	v_dual_mov_b32 v16, v60 :: v_dual_mov_b32 v17, v63
	s_wait_dscnt 0x0
	v_pk_mul_f32 v[64:65], v[50:51], v[62:63] op_sel:[0,1]
	s_delay_alu instid0(VALU_DEP_1) | instskip(SKIP_1) | instid1(VALU_DEP_1)
	v_pk_fma_f32 v[66:67], v[50:51], v[60:61], v[64:65] op_sel:[0,0,1] op_sel_hi:[1,1,0] neg_lo:[0,0,1] neg_hi:[0,0,1]
	v_pk_fma_f32 v[50:51], v[50:51], v[60:61], v[64:65] op_sel:[0,0,1] op_sel_hi:[1,0,0]
	v_mov_b32_e32 v67, v51
	v_pk_mul_f32 v[50:51], v[52:53], v[62:63] op_sel:[0,1]
	s_delay_alu instid0(VALU_DEP_1) | instskip(SKIP_1) | instid1(VALU_DEP_1)
	v_pk_fma_f32 v[64:65], v[52:53], v[60:61], v[50:51] op_sel:[0,0,1] op_sel_hi:[1,1,0] neg_lo:[0,0,1] neg_hi:[0,0,1]
	v_pk_fma_f32 v[50:51], v[52:53], v[60:61], v[50:51] op_sel:[0,0,1] op_sel_hi:[1,0,0]
	v_mov_b32_e32 v65, v51
	ds_load_2addr_b64 v[50:53], v54 offset0:17 offset1:18
	v_pk_add_f32 v[12:13], v[12:13], v[66:67] neg_lo:[0,1] neg_hi:[0,1]
	v_pk_add_f32 v[32:33], v[32:33], v[64:65] neg_lo:[0,1] neg_hi:[0,1]
	s_wait_dscnt 0x0
	v_pk_mul_f32 v[64:65], v[50:51], v[62:63] op_sel:[0,1]
	s_delay_alu instid0(VALU_DEP_1) | instskip(SKIP_2) | instid1(VALU_DEP_2)
	v_pk_fma_f32 v[66:67], v[50:51], v[60:61], v[64:65] op_sel:[0,0,1] op_sel_hi:[1,1,0] neg_lo:[0,0,1] neg_hi:[0,0,1]
	v_pk_fma_f32 v[50:51], v[50:51], v[60:61], v[64:65] op_sel:[0,0,1] op_sel_hi:[1,0,0]
	v_dual_mul_f32 v64, v53, v63 :: v_dual_mov_b32 v50, v53
	v_dual_mov_b32 v67, v51 :: v_dual_mov_b32 v51, v52
	s_delay_alu instid0(VALU_DEP_2) | instskip(SKIP_1) | instid1(VALU_DEP_3)
	v_pk_fma_f32 v[64:65], v[52:53], v[16:17], v[64:65] op_sel_hi:[1,1,0] neg_lo:[0,0,1] neg_hi:[0,0,1]
	v_mul_f32_e32 v52, v53, v60
	v_pk_add_f32 v[10:11], v[10:11], v[66:67] neg_lo:[0,1] neg_hi:[0,1]
	s_delay_alu instid0(VALU_DEP_2) | instskip(NEXT) | instid1(VALU_DEP_1)
	v_pk_fma_f32 v[50:51], v[50:51], v[16:17], v[52:53] op_sel_hi:[1,1,0]
	v_mov_b32_e32 v65, v51
	ds_load_2addr_b64 v[50:53], v54 offset0:19 offset1:20
	v_pk_add_f32 v[30:31], v[30:31], v[64:65] neg_lo:[0,1] neg_hi:[0,1]
	s_wait_dscnt 0x0
	v_pk_mul_f32 v[64:65], v[50:51], v[62:63] op_sel:[0,1]
	s_delay_alu instid0(VALU_DEP_1) | instskip(SKIP_1) | instid1(VALU_DEP_1)
	v_pk_fma_f32 v[66:67], v[50:51], v[60:61], v[64:65] op_sel:[0,0,1] op_sel_hi:[1,1,0] neg_lo:[0,0,1] neg_hi:[0,0,1]
	v_pk_fma_f32 v[50:51], v[50:51], v[60:61], v[64:65] op_sel:[0,0,1] op_sel_hi:[1,0,0]
	v_mov_b32_e32 v67, v51
	v_pk_mul_f32 v[50:51], v[52:53], v[62:63] op_sel:[0,1]
	s_delay_alu instid0(VALU_DEP_1) | instskip(SKIP_1) | instid1(VALU_DEP_1)
	v_pk_fma_f32 v[64:65], v[52:53], v[60:61], v[50:51] op_sel:[0,0,1] op_sel_hi:[1,1,0] neg_lo:[0,0,1] neg_hi:[0,0,1]
	v_pk_fma_f32 v[50:51], v[52:53], v[60:61], v[50:51] op_sel:[0,0,1] op_sel_hi:[1,0,0]
	v_mov_b32_e32 v65, v51
	ds_load_b64 v[50:51], v54 offset:168
	v_pk_add_f32 v[22:23], v[22:23], v[66:67] neg_lo:[0,1] neg_hi:[0,1]
	v_pk_add_f32 v[18:19], v[18:19], v[64:65] neg_lo:[0,1] neg_hi:[0,1]
	s_wait_dscnt 0x0
	v_pk_mul_f32 v[52:53], v[50:51], v[62:63] op_sel:[0,1]
	s_delay_alu instid0(VALU_DEP_1) | instskip(SKIP_1) | instid1(VALU_DEP_1)
	v_pk_fma_f32 v[62:63], v[50:51], v[60:61], v[52:53] op_sel:[0,0,1] op_sel_hi:[1,1,0] neg_lo:[0,0,1] neg_hi:[0,0,1]
	v_pk_fma_f32 v[50:51], v[50:51], v[60:61], v[52:53] op_sel:[0,0,1] op_sel_hi:[1,0,0]
	v_mov_b32_e32 v63, v51
	s_delay_alu instid0(VALU_DEP_1)
	v_pk_add_f32 v[48:49], v[48:49], v[62:63] neg_lo:[0,1] neg_hi:[0,1]
.LBB42_314:
	s_or_b32 exec_lo, exec_lo, s0
	v_lshl_add_u32 v50, v58, 3, v54
	s_barrier_signal -1
	s_barrier_wait -1
	ds_store_b64 v50, v[12:13]
	s_wait_dscnt 0x0
	s_barrier_signal -1
	s_barrier_wait -1
	ds_load_b64 v[50:51], v54 offset:120
	v_mov_b32_e32 v52, 15
	s_cmp_lt_i32 s14, 17
	s_cbranch_scc1 .LBB42_317
; %bb.315:
	v_add3_u32 v53, v55, 0, 0x80
	v_mov_b32_e32 v52, 15
	s_mov_b32 s0, 16
.LBB42_316:                             ; =>This Inner Loop Header: Depth=1
	ds_load_b64 v[60:61], v53
	s_wait_dscnt 0x1
	v_cmp_gt_f32_e32 vcc_lo, 0, v50
	v_cndmask_b32_e64 v62, v50, -v50, vcc_lo
	v_cmp_gt_f32_e32 vcc_lo, 0, v51
	v_cndmask_b32_e64 v64, v51, -v51, vcc_lo
	s_wait_dscnt 0x0
	v_cmp_gt_f32_e32 vcc_lo, 0, v60
	v_cndmask_b32_e64 v63, v60, -v60, vcc_lo
	v_cmp_gt_f32_e32 vcc_lo, 0, v61
	v_cndmask_b32_e64 v65, v61, -v61, vcc_lo
	s_delay_alu instid0(VALU_DEP_1) | instskip(NEXT) | instid1(VALU_DEP_1)
	v_pk_add_f32 v[62:63], v[62:63], v[64:65]
	v_cmp_lt_f32_e32 vcc_lo, v62, v63
	v_dual_cndmask_b32 v50, v50, v60 :: v_dual_add_nc_u32 v53, 8, v53
	v_cndmask_b32_e32 v51, v51, v61, vcc_lo
	v_cndmask_b32_e64 v52, v52, s0, vcc_lo
	s_add_co_i32 s0, s0, 1
	s_delay_alu instid0(SALU_CYCLE_1)
	s_cmp_lg_u32 s14, s0
	s_cbranch_scc1 .LBB42_316
.LBB42_317:
	s_wait_dscnt 0x0
	v_cmp_eq_f32_e32 vcc_lo, 0, v50
	v_cmp_eq_f32_e64 s0, 0, v51
	s_and_b32 s0, vcc_lo, s0
	s_delay_alu instid0(SALU_CYCLE_1) | instskip(NEXT) | instid1(SALU_CYCLE_1)
	s_and_saveexec_b32 s1, s0
	s_xor_b32 s0, exec_lo, s1
; %bb.318:
	v_cmp_ne_u32_e32 vcc_lo, 0, v56
	v_cndmask_b32_e32 v56, 16, v56, vcc_lo
; %bb.319:
	s_and_not1_saveexec_b32 s0, s0
	s_cbranch_execz .LBB42_325
; %bb.320:
	v_cmp_ngt_f32_e64 s1, |v50|, |v51|
	s_and_saveexec_b32 s15, s1
	s_delay_alu instid0(SALU_CYCLE_1)
	s_xor_b32 s1, exec_lo, s15
	s_cbranch_execz .LBB42_322
; %bb.321:
	v_div_scale_f32 v53, null, v51, v51, v50
	v_div_scale_f32 v61, vcc_lo, v50, v51, v50
	s_delay_alu instid0(VALU_DEP_2) | instskip(SKIP_1) | instid1(TRANS32_DEP_1)
	v_rcp_f32_e32 v59, v53
	v_nop
	v_fma_f32 v60, -v53, v59, 1.0
	s_delay_alu instid0(VALU_DEP_1) | instskip(NEXT) | instid1(VALU_DEP_1)
	v_fmac_f32_e32 v59, v60, v59
	v_mul_f32_e32 v60, v61, v59
	s_delay_alu instid0(VALU_DEP_1) | instskip(NEXT) | instid1(VALU_DEP_1)
	v_fma_f32 v62, -v53, v60, v61
	v_fmac_f32_e32 v60, v62, v59
	s_delay_alu instid0(VALU_DEP_1) | instskip(NEXT) | instid1(VALU_DEP_1)
	v_fma_f32 v53, -v53, v60, v61
	v_div_fmas_f32 v53, v53, v59, v60
	s_delay_alu instid0(VALU_DEP_1) | instskip(NEXT) | instid1(VALU_DEP_1)
	v_div_fixup_f32 v53, v53, v51, v50
	v_fmac_f32_e32 v51, v50, v53
	s_delay_alu instid0(VALU_DEP_1) | instskip(SKIP_1) | instid1(VALU_DEP_2)
	v_div_scale_f32 v50, null, v51, v51, 1.0
	v_div_scale_f32 v61, vcc_lo, 1.0, v51, 1.0
	v_rcp_f32_e32 v59, v50
	v_nop
	s_delay_alu instid0(TRANS32_DEP_1) | instskip(NEXT) | instid1(VALU_DEP_1)
	v_fma_f32 v60, -v50, v59, 1.0
	v_fmac_f32_e32 v59, v60, v59
	s_delay_alu instid0(VALU_DEP_1) | instskip(NEXT) | instid1(VALU_DEP_1)
	v_mul_f32_e32 v60, v61, v59
	v_fma_f32 v62, -v50, v60, v61
	s_delay_alu instid0(VALU_DEP_1) | instskip(NEXT) | instid1(VALU_DEP_1)
	v_fmac_f32_e32 v60, v62, v59
	v_fma_f32 v50, -v50, v60, v61
	s_delay_alu instid0(VALU_DEP_1) | instskip(NEXT) | instid1(VALU_DEP_1)
	v_div_fmas_f32 v50, v50, v59, v60
	v_div_fixup_f32 v51, v50, v51, 1.0
	s_delay_alu instid0(VALU_DEP_1)
	v_mul_f32_e32 v50, v53, v51
	v_xor_b32_e32 v51, 0x80000000, v51
.LBB42_322:
	s_and_not1_saveexec_b32 s1, s1
	s_cbranch_execz .LBB42_324
; %bb.323:
	s_delay_alu instid0(VALU_DEP_1) | instskip(SKIP_1) | instid1(VALU_DEP_2)
	v_div_scale_f32 v53, null, v50, v50, v51
	v_div_scale_f32 v61, vcc_lo, v51, v50, v51
	v_rcp_f32_e32 v59, v53
	v_nop
	s_delay_alu instid0(TRANS32_DEP_1) | instskip(NEXT) | instid1(VALU_DEP_1)
	v_fma_f32 v60, -v53, v59, 1.0
	v_fmac_f32_e32 v59, v60, v59
	s_delay_alu instid0(VALU_DEP_1) | instskip(NEXT) | instid1(VALU_DEP_1)
	v_mul_f32_e32 v60, v61, v59
	v_fma_f32 v62, -v53, v60, v61
	s_delay_alu instid0(VALU_DEP_1) | instskip(NEXT) | instid1(VALU_DEP_1)
	v_fmac_f32_e32 v60, v62, v59
	v_fma_f32 v53, -v53, v60, v61
	s_delay_alu instid0(VALU_DEP_1) | instskip(NEXT) | instid1(VALU_DEP_1)
	v_div_fmas_f32 v53, v53, v59, v60
	v_div_fixup_f32 v53, v53, v50, v51
	s_delay_alu instid0(VALU_DEP_1) | instskip(NEXT) | instid1(VALU_DEP_1)
	v_fmac_f32_e32 v50, v51, v53
	v_div_scale_f32 v51, null, v50, v50, 1.0
	s_delay_alu instid0(VALU_DEP_1) | instskip(SKIP_1) | instid1(TRANS32_DEP_1)
	v_rcp_f32_e32 v59, v51
	v_nop
	v_fma_f32 v60, -v51, v59, 1.0
	s_delay_alu instid0(VALU_DEP_1) | instskip(SKIP_1) | instid1(VALU_DEP_1)
	v_fmac_f32_e32 v59, v60, v59
	v_div_scale_f32 v60, vcc_lo, 1.0, v50, 1.0
	v_mul_f32_e32 v61, v60, v59
	s_delay_alu instid0(VALU_DEP_1) | instskip(NEXT) | instid1(VALU_DEP_1)
	v_fma_f32 v62, -v51, v61, v60
	v_fmac_f32_e32 v61, v62, v59
	s_delay_alu instid0(VALU_DEP_1) | instskip(NEXT) | instid1(VALU_DEP_1)
	v_fma_f32 v51, -v51, v61, v60
	v_div_fmas_f32 v51, v51, v59, v61
	s_delay_alu instid0(VALU_DEP_1) | instskip(NEXT) | instid1(VALU_DEP_1)
	v_div_fixup_f32 v50, v51, v50, 1.0
	v_mul_f32_e64 v51, v53, -v50
.LBB42_324:
	s_or_b32 exec_lo, exec_lo, s1
.LBB42_325:
	s_delay_alu instid0(SALU_CYCLE_1) | instskip(NEXT) | instid1(SALU_CYCLE_1)
	s_or_b32 exec_lo, exec_lo, s0
	s_mov_b32 s0, exec_lo
	v_cmpx_ne_u32_e64 v58, v52
	s_xor_b32 s0, exec_lo, s0
	s_cbranch_execz .LBB42_331
; %bb.326:
	s_mov_b32 s1, exec_lo
	v_cmpx_eq_u32_e32 15, v58
	s_cbranch_execz .LBB42_330
; %bb.327:
	v_cmp_ne_u32_e32 vcc_lo, 15, v52
	s_xor_b32 s15, s12, -1
	s_delay_alu instid0(SALU_CYCLE_1) | instskip(NEXT) | instid1(SALU_CYCLE_1)
	s_and_b32 s16, s15, vcc_lo
	s_and_saveexec_b32 s15, s16
	s_cbranch_execz .LBB42_329
; %bb.328:
	v_ashrrev_i32_e32 v53, 31, v52
	s_delay_alu instid0(VALU_DEP_1)
	v_lshl_add_u64 v[58:59], v[52:53], 2, v[34:35]
	s_clause 0x1
	global_load_b32 v53, v[58:59], off
	global_load_b32 v57, v[34:35], off offset:60
	s_wait_loadcnt 0x1
	global_store_b32 v[34:35], v53, off offset:60
	s_wait_loadcnt 0x0
	global_store_b32 v[58:59], v57, off
.LBB42_329:
	s_wait_xcnt 0x0
	s_or_b32 exec_lo, exec_lo, s15
	v_dual_mov_b32 v58, v52 :: v_dual_mov_b32 v57, v52
.LBB42_330:
	s_or_b32 exec_lo, exec_lo, s1
.LBB42_331:
	s_and_not1_saveexec_b32 s0, s0
	s_cbranch_execz .LBB42_333
; %bb.332:
	v_dual_mov_b32 v52, v32 :: v_dual_mov_b32 v53, v33
	v_dual_mov_b32 v60, v10 :: v_dual_mov_b32 v61, v11
	;; [unrolled: 1-line block ×5, first 2 shown]
	v_mov_b32_e32 v67, v19
	ds_store_2addr_b64 v54, v[52:53], v[60:61] offset0:16 offset1:17
	ds_store_2addr_b64 v54, v[62:63], v[64:65] offset0:18 offset1:19
	;; [unrolled: 1-line block ×3, first 2 shown]
.LBB42_333:
	s_or_b32 exec_lo, exec_lo, s0
	s_delay_alu instid0(SALU_CYCLE_1)
	s_mov_b32 s0, exec_lo
	s_wait_storecnt_dscnt 0x0
	s_barrier_signal -1
	s_barrier_wait -1
	v_cmpx_lt_i32_e32 15, v58
	s_cbranch_execz .LBB42_335
; %bb.334:
	v_pk_mul_f32 v[52:53], v[50:51], v[12:13] op_sel:[1,1] op_sel_hi:[0,1]
	s_delay_alu instid0(VALU_DEP_1)
	v_pk_fma_f32 v[60:61], v[50:51], v[12:13], v[52:53] op_sel_hi:[1,0,1] neg_lo:[0,0,1] neg_hi:[0,0,1]
	v_pk_fma_f32 v[62:63], v[50:51], v[12:13], v[52:53] op_sel_hi:[1,0,1]
	ds_load_2addr_b64 v[50:53], v54 offset0:16 offset1:17
	v_dual_mov_b32 v12, v60 :: v_dual_mov_b32 v13, v63
	s_wait_dscnt 0x0
	v_pk_mul_f32 v[64:65], v[50:51], v[62:63] op_sel:[0,1]
	s_delay_alu instid0(VALU_DEP_1) | instskip(SKIP_1) | instid1(VALU_DEP_1)
	v_pk_fma_f32 v[66:67], v[50:51], v[60:61], v[64:65] op_sel:[0,0,1] op_sel_hi:[1,1,0] neg_lo:[0,0,1] neg_hi:[0,0,1]
	v_pk_fma_f32 v[50:51], v[50:51], v[60:61], v[64:65] op_sel:[0,0,1] op_sel_hi:[1,0,0]
	v_mov_b32_e32 v67, v51
	v_pk_mul_f32 v[50:51], v[52:53], v[62:63] op_sel:[0,1]
	s_delay_alu instid0(VALU_DEP_1) | instskip(SKIP_1) | instid1(VALU_DEP_1)
	v_pk_fma_f32 v[64:65], v[52:53], v[60:61], v[50:51] op_sel:[0,0,1] op_sel_hi:[1,1,0] neg_lo:[0,0,1] neg_hi:[0,0,1]
	v_pk_fma_f32 v[50:51], v[52:53], v[60:61], v[50:51] op_sel:[0,0,1] op_sel_hi:[1,0,0]
	v_mov_b32_e32 v65, v51
	ds_load_2addr_b64 v[50:53], v54 offset0:18 offset1:19
	v_pk_add_f32 v[32:33], v[32:33], v[66:67] neg_lo:[0,1] neg_hi:[0,1]
	v_pk_add_f32 v[10:11], v[10:11], v[64:65] neg_lo:[0,1] neg_hi:[0,1]
	s_wait_dscnt 0x0
	v_pk_mul_f32 v[64:65], v[50:51], v[62:63] op_sel:[0,1]
	s_delay_alu instid0(VALU_DEP_1) | instskip(SKIP_2) | instid1(VALU_DEP_2)
	v_pk_fma_f32 v[66:67], v[50:51], v[60:61], v[64:65] op_sel:[0,0,1] op_sel_hi:[1,1,0] neg_lo:[0,0,1] neg_hi:[0,0,1]
	v_pk_fma_f32 v[50:51], v[50:51], v[60:61], v[64:65] op_sel:[0,0,1] op_sel_hi:[1,0,0]
	v_dual_mul_f32 v64, v53, v63 :: v_dual_mov_b32 v50, v53
	v_dual_mov_b32 v67, v51 :: v_dual_mov_b32 v51, v52
	s_delay_alu instid0(VALU_DEP_2) | instskip(SKIP_1) | instid1(VALU_DEP_3)
	v_pk_fma_f32 v[64:65], v[52:53], v[12:13], v[64:65] op_sel_hi:[1,1,0] neg_lo:[0,0,1] neg_hi:[0,0,1]
	v_mul_f32_e32 v52, v53, v60
	v_pk_add_f32 v[30:31], v[30:31], v[66:67] neg_lo:[0,1] neg_hi:[0,1]
	s_delay_alu instid0(VALU_DEP_2) | instskip(NEXT) | instid1(VALU_DEP_1)
	v_pk_fma_f32 v[50:51], v[50:51], v[12:13], v[52:53] op_sel_hi:[1,1,0]
	v_mov_b32_e32 v65, v51
	ds_load_2addr_b64 v[50:53], v54 offset0:20 offset1:21
	v_pk_add_f32 v[22:23], v[22:23], v[64:65] neg_lo:[0,1] neg_hi:[0,1]
	s_wait_dscnt 0x0
	v_pk_mul_f32 v[64:65], v[50:51], v[62:63] op_sel:[0,1]
	v_mul_f32_e32 v62, v53, v63
	s_delay_alu instid0(VALU_DEP_2) | instskip(SKIP_2) | instid1(VALU_DEP_4)
	v_pk_fma_f32 v[66:67], v[50:51], v[60:61], v[64:65] op_sel:[0,0,1] op_sel_hi:[1,1,0] neg_lo:[0,0,1] neg_hi:[0,0,1]
	v_pk_fma_f32 v[50:51], v[50:51], v[60:61], v[64:65] op_sel:[0,0,1] op_sel_hi:[1,0,0]
	v_mov_b32_e32 v50, v53
	v_pk_fma_f32 v[62:63], v[52:53], v[12:13], v[62:63] op_sel_hi:[1,1,0] neg_lo:[0,0,1] neg_hi:[0,0,1]
	s_delay_alu instid0(VALU_DEP_3) | instskip(SKIP_1) | instid1(VALU_DEP_2)
	v_dual_mov_b32 v67, v51 :: v_dual_mov_b32 v51, v52
	v_mul_f32_e32 v52, v53, v60
	v_pk_add_f32 v[18:19], v[18:19], v[66:67] neg_lo:[0,1] neg_hi:[0,1]
	s_delay_alu instid0(VALU_DEP_2) | instskip(NEXT) | instid1(VALU_DEP_1)
	v_pk_fma_f32 v[50:51], v[50:51], v[12:13], v[52:53] op_sel_hi:[1,1,0]
	v_mov_b32_e32 v63, v51
	s_delay_alu instid0(VALU_DEP_1)
	v_pk_add_f32 v[48:49], v[48:49], v[62:63] neg_lo:[0,1] neg_hi:[0,1]
.LBB42_335:
	s_or_b32 exec_lo, exec_lo, s0
	v_lshl_add_u32 v50, v58, 3, v54
	s_barrier_signal -1
	s_barrier_wait -1
	ds_store_b64 v50, v[32:33]
	s_wait_dscnt 0x0
	s_barrier_signal -1
	s_barrier_wait -1
	ds_load_b64 v[50:51], v54 offset:128
	v_mov_b32_e32 v52, 16
	s_cmp_lt_i32 s14, 18
	s_cbranch_scc1 .LBB42_338
; %bb.336:
	v_add3_u32 v53, v55, 0, 0x88
	v_mov_b32_e32 v52, 16
	s_mov_b32 s0, 17
.LBB42_337:                             ; =>This Inner Loop Header: Depth=1
	ds_load_b64 v[60:61], v53
	s_wait_dscnt 0x1
	v_cmp_gt_f32_e32 vcc_lo, 0, v50
	v_cndmask_b32_e64 v62, v50, -v50, vcc_lo
	v_cmp_gt_f32_e32 vcc_lo, 0, v51
	v_cndmask_b32_e64 v64, v51, -v51, vcc_lo
	s_wait_dscnt 0x0
	v_cmp_gt_f32_e32 vcc_lo, 0, v60
	v_cndmask_b32_e64 v63, v60, -v60, vcc_lo
	v_cmp_gt_f32_e32 vcc_lo, 0, v61
	v_cndmask_b32_e64 v65, v61, -v61, vcc_lo
	s_delay_alu instid0(VALU_DEP_1) | instskip(NEXT) | instid1(VALU_DEP_1)
	v_pk_add_f32 v[62:63], v[62:63], v[64:65]
	v_cmp_lt_f32_e32 vcc_lo, v62, v63
	v_dual_cndmask_b32 v50, v50, v60 :: v_dual_add_nc_u32 v53, 8, v53
	v_cndmask_b32_e32 v51, v51, v61, vcc_lo
	v_cndmask_b32_e64 v52, v52, s0, vcc_lo
	s_add_co_i32 s0, s0, 1
	s_delay_alu instid0(SALU_CYCLE_1)
	s_cmp_lg_u32 s14, s0
	s_cbranch_scc1 .LBB42_337
.LBB42_338:
	s_wait_dscnt 0x0
	v_cmp_eq_f32_e32 vcc_lo, 0, v50
	v_cmp_eq_f32_e64 s0, 0, v51
	s_and_b32 s0, vcc_lo, s0
	s_delay_alu instid0(SALU_CYCLE_1) | instskip(NEXT) | instid1(SALU_CYCLE_1)
	s_and_saveexec_b32 s1, s0
	s_xor_b32 s0, exec_lo, s1
; %bb.339:
	v_cmp_ne_u32_e32 vcc_lo, 0, v56
	v_cndmask_b32_e32 v56, 17, v56, vcc_lo
; %bb.340:
	s_and_not1_saveexec_b32 s0, s0
	s_cbranch_execz .LBB42_346
; %bb.341:
	v_cmp_ngt_f32_e64 s1, |v50|, |v51|
	s_and_saveexec_b32 s15, s1
	s_delay_alu instid0(SALU_CYCLE_1)
	s_xor_b32 s1, exec_lo, s15
	s_cbranch_execz .LBB42_343
; %bb.342:
	v_div_scale_f32 v53, null, v51, v51, v50
	v_div_scale_f32 v61, vcc_lo, v50, v51, v50
	s_delay_alu instid0(VALU_DEP_2) | instskip(SKIP_1) | instid1(TRANS32_DEP_1)
	v_rcp_f32_e32 v59, v53
	v_nop
	v_fma_f32 v60, -v53, v59, 1.0
	s_delay_alu instid0(VALU_DEP_1) | instskip(NEXT) | instid1(VALU_DEP_1)
	v_fmac_f32_e32 v59, v60, v59
	v_mul_f32_e32 v60, v61, v59
	s_delay_alu instid0(VALU_DEP_1) | instskip(NEXT) | instid1(VALU_DEP_1)
	v_fma_f32 v62, -v53, v60, v61
	v_fmac_f32_e32 v60, v62, v59
	s_delay_alu instid0(VALU_DEP_1) | instskip(NEXT) | instid1(VALU_DEP_1)
	v_fma_f32 v53, -v53, v60, v61
	v_div_fmas_f32 v53, v53, v59, v60
	s_delay_alu instid0(VALU_DEP_1) | instskip(NEXT) | instid1(VALU_DEP_1)
	v_div_fixup_f32 v53, v53, v51, v50
	v_fmac_f32_e32 v51, v50, v53
	s_delay_alu instid0(VALU_DEP_1) | instskip(SKIP_1) | instid1(VALU_DEP_2)
	v_div_scale_f32 v50, null, v51, v51, 1.0
	v_div_scale_f32 v61, vcc_lo, 1.0, v51, 1.0
	v_rcp_f32_e32 v59, v50
	v_nop
	s_delay_alu instid0(TRANS32_DEP_1) | instskip(NEXT) | instid1(VALU_DEP_1)
	v_fma_f32 v60, -v50, v59, 1.0
	v_fmac_f32_e32 v59, v60, v59
	s_delay_alu instid0(VALU_DEP_1) | instskip(NEXT) | instid1(VALU_DEP_1)
	v_mul_f32_e32 v60, v61, v59
	v_fma_f32 v62, -v50, v60, v61
	s_delay_alu instid0(VALU_DEP_1) | instskip(NEXT) | instid1(VALU_DEP_1)
	v_fmac_f32_e32 v60, v62, v59
	v_fma_f32 v50, -v50, v60, v61
	s_delay_alu instid0(VALU_DEP_1) | instskip(NEXT) | instid1(VALU_DEP_1)
	v_div_fmas_f32 v50, v50, v59, v60
	v_div_fixup_f32 v51, v50, v51, 1.0
	s_delay_alu instid0(VALU_DEP_1)
	v_mul_f32_e32 v50, v53, v51
	v_xor_b32_e32 v51, 0x80000000, v51
.LBB42_343:
	s_and_not1_saveexec_b32 s1, s1
	s_cbranch_execz .LBB42_345
; %bb.344:
	s_delay_alu instid0(VALU_DEP_1) | instskip(SKIP_1) | instid1(VALU_DEP_2)
	v_div_scale_f32 v53, null, v50, v50, v51
	v_div_scale_f32 v61, vcc_lo, v51, v50, v51
	v_rcp_f32_e32 v59, v53
	v_nop
	s_delay_alu instid0(TRANS32_DEP_1) | instskip(NEXT) | instid1(VALU_DEP_1)
	v_fma_f32 v60, -v53, v59, 1.0
	v_fmac_f32_e32 v59, v60, v59
	s_delay_alu instid0(VALU_DEP_1) | instskip(NEXT) | instid1(VALU_DEP_1)
	v_mul_f32_e32 v60, v61, v59
	v_fma_f32 v62, -v53, v60, v61
	s_delay_alu instid0(VALU_DEP_1) | instskip(NEXT) | instid1(VALU_DEP_1)
	v_fmac_f32_e32 v60, v62, v59
	v_fma_f32 v53, -v53, v60, v61
	s_delay_alu instid0(VALU_DEP_1) | instskip(NEXT) | instid1(VALU_DEP_1)
	v_div_fmas_f32 v53, v53, v59, v60
	v_div_fixup_f32 v53, v53, v50, v51
	s_delay_alu instid0(VALU_DEP_1) | instskip(NEXT) | instid1(VALU_DEP_1)
	v_fmac_f32_e32 v50, v51, v53
	v_div_scale_f32 v51, null, v50, v50, 1.0
	s_delay_alu instid0(VALU_DEP_1) | instskip(SKIP_1) | instid1(TRANS32_DEP_1)
	v_rcp_f32_e32 v59, v51
	v_nop
	v_fma_f32 v60, -v51, v59, 1.0
	s_delay_alu instid0(VALU_DEP_1) | instskip(SKIP_1) | instid1(VALU_DEP_1)
	v_fmac_f32_e32 v59, v60, v59
	v_div_scale_f32 v60, vcc_lo, 1.0, v50, 1.0
	v_mul_f32_e32 v61, v60, v59
	s_delay_alu instid0(VALU_DEP_1) | instskip(NEXT) | instid1(VALU_DEP_1)
	v_fma_f32 v62, -v51, v61, v60
	v_fmac_f32_e32 v61, v62, v59
	s_delay_alu instid0(VALU_DEP_1) | instskip(NEXT) | instid1(VALU_DEP_1)
	v_fma_f32 v51, -v51, v61, v60
	v_div_fmas_f32 v51, v51, v59, v61
	s_delay_alu instid0(VALU_DEP_1) | instskip(NEXT) | instid1(VALU_DEP_1)
	v_div_fixup_f32 v50, v51, v50, 1.0
	v_mul_f32_e64 v51, v53, -v50
.LBB42_345:
	s_or_b32 exec_lo, exec_lo, s1
.LBB42_346:
	s_delay_alu instid0(SALU_CYCLE_1) | instskip(NEXT) | instid1(SALU_CYCLE_1)
	s_or_b32 exec_lo, exec_lo, s0
	s_mov_b32 s0, exec_lo
	v_cmpx_ne_u32_e64 v58, v52
	s_xor_b32 s0, exec_lo, s0
	s_cbranch_execz .LBB42_352
; %bb.347:
	s_mov_b32 s1, exec_lo
	v_cmpx_eq_u32_e32 16, v58
	s_cbranch_execz .LBB42_351
; %bb.348:
	v_cmp_ne_u32_e32 vcc_lo, 16, v52
	s_xor_b32 s15, s12, -1
	s_delay_alu instid0(SALU_CYCLE_1) | instskip(NEXT) | instid1(SALU_CYCLE_1)
	s_and_b32 s16, s15, vcc_lo
	s_and_saveexec_b32 s15, s16
	s_cbranch_execz .LBB42_350
; %bb.349:
	v_ashrrev_i32_e32 v53, 31, v52
	s_delay_alu instid0(VALU_DEP_1)
	v_lshl_add_u64 v[58:59], v[52:53], 2, v[34:35]
	s_clause 0x1
	global_load_b32 v53, v[58:59], off
	global_load_b32 v57, v[34:35], off offset:64
	s_wait_loadcnt 0x1
	global_store_b32 v[34:35], v53, off offset:64
	s_wait_loadcnt 0x0
	global_store_b32 v[58:59], v57, off
.LBB42_350:
	s_wait_xcnt 0x0
	s_or_b32 exec_lo, exec_lo, s15
	v_dual_mov_b32 v58, v52 :: v_dual_mov_b32 v57, v52
.LBB42_351:
	s_or_b32 exec_lo, exec_lo, s1
.LBB42_352:
	s_and_not1_saveexec_b32 s0, s0
	s_cbranch_execz .LBB42_354
; %bb.353:
	v_mov_b32_e32 v58, 16
	ds_store_2addr_b64 v54, v[10:11], v[30:31] offset0:17 offset1:18
	ds_store_2addr_b64 v54, v[22:23], v[18:19] offset0:19 offset1:20
	ds_store_b64 v54, v[48:49] offset:168
.LBB42_354:
	s_or_b32 exec_lo, exec_lo, s0
	s_delay_alu instid0(SALU_CYCLE_1)
	s_mov_b32 s0, exec_lo
	s_wait_storecnt_dscnt 0x0
	s_barrier_signal -1
	s_barrier_wait -1
	v_cmpx_lt_i32_e32 16, v58
	s_cbranch_execz .LBB42_356
; %bb.355:
	v_pk_mul_f32 v[52:53], v[50:51], v[32:33] op_sel:[1,1] op_sel_hi:[0,1]
	s_delay_alu instid0(VALU_DEP_1)
	v_pk_fma_f32 v[60:61], v[50:51], v[32:33], v[52:53] op_sel_hi:[1,0,1] neg_lo:[0,0,1] neg_hi:[0,0,1]
	v_pk_fma_f32 v[62:63], v[50:51], v[32:33], v[52:53] op_sel_hi:[1,0,1]
	ds_load_2addr_b64 v[50:53], v54 offset0:17 offset1:18
	v_dual_mov_b32 v32, v60 :: v_dual_mov_b32 v33, v63
	s_wait_dscnt 0x0
	v_pk_mul_f32 v[64:65], v[50:51], v[62:63] op_sel:[0,1]
	s_delay_alu instid0(VALU_DEP_1) | instskip(SKIP_1) | instid1(VALU_DEP_1)
	v_pk_fma_f32 v[66:67], v[50:51], v[60:61], v[64:65] op_sel:[0,0,1] op_sel_hi:[1,1,0] neg_lo:[0,0,1] neg_hi:[0,0,1]
	v_pk_fma_f32 v[50:51], v[50:51], v[60:61], v[64:65] op_sel:[0,0,1] op_sel_hi:[1,0,0]
	v_mov_b32_e32 v67, v51
	v_pk_mul_f32 v[50:51], v[52:53], v[62:63] op_sel:[0,1]
	s_delay_alu instid0(VALU_DEP_1) | instskip(SKIP_1) | instid1(VALU_DEP_1)
	v_pk_fma_f32 v[64:65], v[52:53], v[60:61], v[50:51] op_sel:[0,0,1] op_sel_hi:[1,1,0] neg_lo:[0,0,1] neg_hi:[0,0,1]
	v_pk_fma_f32 v[50:51], v[52:53], v[60:61], v[50:51] op_sel:[0,0,1] op_sel_hi:[1,0,0]
	v_mov_b32_e32 v65, v51
	ds_load_2addr_b64 v[50:53], v54 offset0:19 offset1:20
	v_pk_add_f32 v[10:11], v[10:11], v[66:67] neg_lo:[0,1] neg_hi:[0,1]
	v_pk_add_f32 v[30:31], v[30:31], v[64:65] neg_lo:[0,1] neg_hi:[0,1]
	s_wait_dscnt 0x0
	v_pk_mul_f32 v[64:65], v[50:51], v[62:63] op_sel:[0,1]
	s_delay_alu instid0(VALU_DEP_1) | instskip(SKIP_2) | instid1(VALU_DEP_2)
	v_pk_fma_f32 v[66:67], v[50:51], v[60:61], v[64:65] op_sel:[0,0,1] op_sel_hi:[1,1,0] neg_lo:[0,0,1] neg_hi:[0,0,1]
	v_pk_fma_f32 v[50:51], v[50:51], v[60:61], v[64:65] op_sel:[0,0,1] op_sel_hi:[1,0,0]
	v_dual_mul_f32 v64, v53, v63 :: v_dual_mov_b32 v50, v53
	v_dual_mov_b32 v67, v51 :: v_dual_mov_b32 v51, v52
	s_delay_alu instid0(VALU_DEP_2) | instskip(SKIP_1) | instid1(VALU_DEP_3)
	v_pk_fma_f32 v[64:65], v[52:53], v[32:33], v[64:65] op_sel_hi:[1,1,0] neg_lo:[0,0,1] neg_hi:[0,0,1]
	v_mul_f32_e32 v52, v53, v60
	v_pk_add_f32 v[22:23], v[22:23], v[66:67] neg_lo:[0,1] neg_hi:[0,1]
	s_delay_alu instid0(VALU_DEP_2) | instskip(NEXT) | instid1(VALU_DEP_1)
	v_pk_fma_f32 v[50:51], v[50:51], v[32:33], v[52:53] op_sel_hi:[1,1,0]
	v_mov_b32_e32 v65, v51
	ds_load_b64 v[50:51], v54 offset:168
	v_pk_add_f32 v[18:19], v[18:19], v[64:65] neg_lo:[0,1] neg_hi:[0,1]
	s_wait_dscnt 0x0
	v_pk_mul_f32 v[52:53], v[50:51], v[62:63] op_sel:[0,1]
	s_delay_alu instid0(VALU_DEP_1) | instskip(SKIP_1) | instid1(VALU_DEP_1)
	v_pk_fma_f32 v[62:63], v[50:51], v[60:61], v[52:53] op_sel:[0,0,1] op_sel_hi:[1,1,0] neg_lo:[0,0,1] neg_hi:[0,0,1]
	v_pk_fma_f32 v[50:51], v[50:51], v[60:61], v[52:53] op_sel:[0,0,1] op_sel_hi:[1,0,0]
	v_mov_b32_e32 v63, v51
	s_delay_alu instid0(VALU_DEP_1)
	v_pk_add_f32 v[48:49], v[48:49], v[62:63] neg_lo:[0,1] neg_hi:[0,1]
.LBB42_356:
	s_or_b32 exec_lo, exec_lo, s0
	v_lshl_add_u32 v50, v58, 3, v54
	s_barrier_signal -1
	s_barrier_wait -1
	ds_store_b64 v50, v[10:11]
	s_wait_dscnt 0x0
	s_barrier_signal -1
	s_barrier_wait -1
	ds_load_b64 v[50:51], v54 offset:136
	v_mov_b32_e32 v52, 17
	s_cmp_lt_i32 s14, 19
	s_cbranch_scc1 .LBB42_359
; %bb.357:
	v_add3_u32 v53, v55, 0, 0x90
	v_mov_b32_e32 v52, 17
	s_mov_b32 s0, 18
.LBB42_358:                             ; =>This Inner Loop Header: Depth=1
	ds_load_b64 v[60:61], v53
	s_wait_dscnt 0x1
	v_cmp_gt_f32_e32 vcc_lo, 0, v50
	v_cndmask_b32_e64 v62, v50, -v50, vcc_lo
	v_cmp_gt_f32_e32 vcc_lo, 0, v51
	v_cndmask_b32_e64 v64, v51, -v51, vcc_lo
	s_wait_dscnt 0x0
	v_cmp_gt_f32_e32 vcc_lo, 0, v60
	v_cndmask_b32_e64 v63, v60, -v60, vcc_lo
	v_cmp_gt_f32_e32 vcc_lo, 0, v61
	v_cndmask_b32_e64 v65, v61, -v61, vcc_lo
	s_delay_alu instid0(VALU_DEP_1) | instskip(NEXT) | instid1(VALU_DEP_1)
	v_pk_add_f32 v[62:63], v[62:63], v[64:65]
	v_cmp_lt_f32_e32 vcc_lo, v62, v63
	v_dual_cndmask_b32 v50, v50, v60 :: v_dual_add_nc_u32 v53, 8, v53
	v_cndmask_b32_e32 v51, v51, v61, vcc_lo
	v_cndmask_b32_e64 v52, v52, s0, vcc_lo
	s_add_co_i32 s0, s0, 1
	s_delay_alu instid0(SALU_CYCLE_1)
	s_cmp_lg_u32 s14, s0
	s_cbranch_scc1 .LBB42_358
.LBB42_359:
	s_wait_dscnt 0x0
	v_cmp_eq_f32_e32 vcc_lo, 0, v50
	v_cmp_eq_f32_e64 s0, 0, v51
	s_and_b32 s0, vcc_lo, s0
	s_delay_alu instid0(SALU_CYCLE_1) | instskip(NEXT) | instid1(SALU_CYCLE_1)
	s_and_saveexec_b32 s1, s0
	s_xor_b32 s0, exec_lo, s1
; %bb.360:
	v_cmp_ne_u32_e32 vcc_lo, 0, v56
	v_cndmask_b32_e32 v56, 18, v56, vcc_lo
; %bb.361:
	s_and_not1_saveexec_b32 s0, s0
	s_cbranch_execz .LBB42_367
; %bb.362:
	v_cmp_ngt_f32_e64 s1, |v50|, |v51|
	s_and_saveexec_b32 s15, s1
	s_delay_alu instid0(SALU_CYCLE_1)
	s_xor_b32 s1, exec_lo, s15
	s_cbranch_execz .LBB42_364
; %bb.363:
	v_div_scale_f32 v53, null, v51, v51, v50
	v_div_scale_f32 v61, vcc_lo, v50, v51, v50
	s_delay_alu instid0(VALU_DEP_2) | instskip(SKIP_1) | instid1(TRANS32_DEP_1)
	v_rcp_f32_e32 v59, v53
	v_nop
	v_fma_f32 v60, -v53, v59, 1.0
	s_delay_alu instid0(VALU_DEP_1) | instskip(NEXT) | instid1(VALU_DEP_1)
	v_fmac_f32_e32 v59, v60, v59
	v_mul_f32_e32 v60, v61, v59
	s_delay_alu instid0(VALU_DEP_1) | instskip(NEXT) | instid1(VALU_DEP_1)
	v_fma_f32 v62, -v53, v60, v61
	v_fmac_f32_e32 v60, v62, v59
	s_delay_alu instid0(VALU_DEP_1) | instskip(NEXT) | instid1(VALU_DEP_1)
	v_fma_f32 v53, -v53, v60, v61
	v_div_fmas_f32 v53, v53, v59, v60
	s_delay_alu instid0(VALU_DEP_1) | instskip(NEXT) | instid1(VALU_DEP_1)
	v_div_fixup_f32 v53, v53, v51, v50
	v_fmac_f32_e32 v51, v50, v53
	s_delay_alu instid0(VALU_DEP_1) | instskip(SKIP_1) | instid1(VALU_DEP_2)
	v_div_scale_f32 v50, null, v51, v51, 1.0
	v_div_scale_f32 v61, vcc_lo, 1.0, v51, 1.0
	v_rcp_f32_e32 v59, v50
	v_nop
	s_delay_alu instid0(TRANS32_DEP_1) | instskip(NEXT) | instid1(VALU_DEP_1)
	v_fma_f32 v60, -v50, v59, 1.0
	v_fmac_f32_e32 v59, v60, v59
	s_delay_alu instid0(VALU_DEP_1) | instskip(NEXT) | instid1(VALU_DEP_1)
	v_mul_f32_e32 v60, v61, v59
	v_fma_f32 v62, -v50, v60, v61
	s_delay_alu instid0(VALU_DEP_1) | instskip(NEXT) | instid1(VALU_DEP_1)
	v_fmac_f32_e32 v60, v62, v59
	v_fma_f32 v50, -v50, v60, v61
	s_delay_alu instid0(VALU_DEP_1) | instskip(NEXT) | instid1(VALU_DEP_1)
	v_div_fmas_f32 v50, v50, v59, v60
	v_div_fixup_f32 v51, v50, v51, 1.0
	s_delay_alu instid0(VALU_DEP_1)
	v_mul_f32_e32 v50, v53, v51
	v_xor_b32_e32 v51, 0x80000000, v51
.LBB42_364:
	s_and_not1_saveexec_b32 s1, s1
	s_cbranch_execz .LBB42_366
; %bb.365:
	s_delay_alu instid0(VALU_DEP_1) | instskip(SKIP_1) | instid1(VALU_DEP_2)
	v_div_scale_f32 v53, null, v50, v50, v51
	v_div_scale_f32 v61, vcc_lo, v51, v50, v51
	v_rcp_f32_e32 v59, v53
	v_nop
	s_delay_alu instid0(TRANS32_DEP_1) | instskip(NEXT) | instid1(VALU_DEP_1)
	v_fma_f32 v60, -v53, v59, 1.0
	v_fmac_f32_e32 v59, v60, v59
	s_delay_alu instid0(VALU_DEP_1) | instskip(NEXT) | instid1(VALU_DEP_1)
	v_mul_f32_e32 v60, v61, v59
	v_fma_f32 v62, -v53, v60, v61
	s_delay_alu instid0(VALU_DEP_1) | instskip(NEXT) | instid1(VALU_DEP_1)
	v_fmac_f32_e32 v60, v62, v59
	v_fma_f32 v53, -v53, v60, v61
	s_delay_alu instid0(VALU_DEP_1) | instskip(NEXT) | instid1(VALU_DEP_1)
	v_div_fmas_f32 v53, v53, v59, v60
	v_div_fixup_f32 v53, v53, v50, v51
	s_delay_alu instid0(VALU_DEP_1) | instskip(NEXT) | instid1(VALU_DEP_1)
	v_fmac_f32_e32 v50, v51, v53
	v_div_scale_f32 v51, null, v50, v50, 1.0
	s_delay_alu instid0(VALU_DEP_1) | instskip(SKIP_1) | instid1(TRANS32_DEP_1)
	v_rcp_f32_e32 v59, v51
	v_nop
	v_fma_f32 v60, -v51, v59, 1.0
	s_delay_alu instid0(VALU_DEP_1) | instskip(SKIP_1) | instid1(VALU_DEP_1)
	v_fmac_f32_e32 v59, v60, v59
	v_div_scale_f32 v60, vcc_lo, 1.0, v50, 1.0
	v_mul_f32_e32 v61, v60, v59
	s_delay_alu instid0(VALU_DEP_1) | instskip(NEXT) | instid1(VALU_DEP_1)
	v_fma_f32 v62, -v51, v61, v60
	v_fmac_f32_e32 v61, v62, v59
	s_delay_alu instid0(VALU_DEP_1) | instskip(NEXT) | instid1(VALU_DEP_1)
	v_fma_f32 v51, -v51, v61, v60
	v_div_fmas_f32 v51, v51, v59, v61
	s_delay_alu instid0(VALU_DEP_1) | instskip(NEXT) | instid1(VALU_DEP_1)
	v_div_fixup_f32 v50, v51, v50, 1.0
	v_mul_f32_e64 v51, v53, -v50
.LBB42_366:
	s_or_b32 exec_lo, exec_lo, s1
.LBB42_367:
	s_delay_alu instid0(SALU_CYCLE_1) | instskip(NEXT) | instid1(SALU_CYCLE_1)
	s_or_b32 exec_lo, exec_lo, s0
	s_mov_b32 s0, exec_lo
	v_cmpx_ne_u32_e64 v58, v52
	s_xor_b32 s0, exec_lo, s0
	s_cbranch_execz .LBB42_373
; %bb.368:
	s_mov_b32 s1, exec_lo
	v_cmpx_eq_u32_e32 17, v58
	s_cbranch_execz .LBB42_372
; %bb.369:
	v_cmp_ne_u32_e32 vcc_lo, 17, v52
	s_xor_b32 s15, s12, -1
	s_delay_alu instid0(SALU_CYCLE_1) | instskip(NEXT) | instid1(SALU_CYCLE_1)
	s_and_b32 s16, s15, vcc_lo
	s_and_saveexec_b32 s15, s16
	s_cbranch_execz .LBB42_371
; %bb.370:
	v_ashrrev_i32_e32 v53, 31, v52
	s_delay_alu instid0(VALU_DEP_1)
	v_lshl_add_u64 v[58:59], v[52:53], 2, v[34:35]
	s_clause 0x1
	global_load_b32 v53, v[58:59], off
	global_load_b32 v57, v[34:35], off offset:68
	s_wait_loadcnt 0x1
	global_store_b32 v[34:35], v53, off offset:68
	s_wait_loadcnt 0x0
	global_store_b32 v[58:59], v57, off
.LBB42_371:
	s_wait_xcnt 0x0
	s_or_b32 exec_lo, exec_lo, s15
	v_dual_mov_b32 v58, v52 :: v_dual_mov_b32 v57, v52
.LBB42_372:
	s_or_b32 exec_lo, exec_lo, s1
.LBB42_373:
	s_and_not1_saveexec_b32 s0, s0
	s_cbranch_execz .LBB42_375
; %bb.374:
	v_dual_mov_b32 v52, v30 :: v_dual_mov_b32 v53, v31
	v_dual_mov_b32 v60, v22 :: v_dual_mov_b32 v61, v23
	v_dual_mov_b32 v58, 17 :: v_dual_mov_b32 v62, v18
	v_mov_b32_e32 v63, v19
	ds_store_2addr_b64 v54, v[52:53], v[60:61] offset0:18 offset1:19
	ds_store_2addr_b64 v54, v[62:63], v[48:49] offset0:20 offset1:21
.LBB42_375:
	s_or_b32 exec_lo, exec_lo, s0
	s_delay_alu instid0(SALU_CYCLE_1)
	s_mov_b32 s0, exec_lo
	s_wait_storecnt_dscnt 0x0
	s_barrier_signal -1
	s_barrier_wait -1
	v_cmpx_lt_i32_e32 17, v58
	s_cbranch_execz .LBB42_377
; %bb.376:
	ds_load_2addr_b64 v[60:63], v54 offset0:18 offset1:19
	ds_load_2addr_b64 v[64:67], v54 offset0:20 offset1:21
	v_pk_mul_f32 v[52:53], v[50:51], v[10:11] op_sel:[1,1] op_sel_hi:[0,1]
	s_delay_alu instid0(VALU_DEP_1) | instskip(SKIP_1) | instid1(VALU_DEP_1)
	v_pk_fma_f32 v[68:69], v[50:51], v[10:11], v[52:53] op_sel_hi:[1,0,1] neg_lo:[0,0,1] neg_hi:[0,0,1]
	v_pk_fma_f32 v[50:51], v[50:51], v[10:11], v[52:53] op_sel_hi:[1,0,1]
	v_dual_mov_b32 v10, v68 :: v_dual_mov_b32 v11, v51
	s_wait_dscnt 0x1
	s_delay_alu instid0(VALU_DEP_2)
	v_pk_mul_f32 v[52:53], v[60:61], v[50:51] op_sel:[0,1]
	s_wait_dscnt 0x0
	v_mov_b32_e32 v70, v67
	v_pk_mul_f32 v[72:73], v[62:63], v[50:51] op_sel:[0,1]
	v_pk_mul_f32 v[74:75], v[64:65], v[50:51] op_sel:[0,1]
	v_pk_fma_f32 v[76:77], v[60:61], v[68:69], v[52:53] op_sel:[0,0,1] op_sel_hi:[1,1,0] neg_lo:[0,0,1] neg_hi:[0,0,1]
	v_pk_fma_f32 v[52:53], v[60:61], v[68:69], v[52:53] op_sel:[0,0,1] op_sel_hi:[1,0,0]
	s_delay_alu instid0(VALU_DEP_1) | instskip(NEXT) | instid1(VALU_DEP_1)
	v_dual_mov_b32 v71, v66 :: v_dual_mov_b32 v77, v53
	v_pk_mul_f32 v[60:61], v[70:71], v[50:51] op_sel:[0,1]
	v_pk_fma_f32 v[70:71], v[62:63], v[68:69], v[72:73] op_sel:[0,0,1] op_sel_hi:[1,0,0]
	v_pk_fma_f32 v[62:63], v[62:63], v[68:69], v[72:73] op_sel:[0,0,1] op_sel_hi:[1,1,0] neg_lo:[0,0,1] neg_hi:[0,0,1]
	v_pk_fma_f32 v[72:73], v[64:65], v[68:69], v[74:75] op_sel:[0,0,1] op_sel_hi:[1,0,0]
	v_pk_fma_f32 v[64:65], v[64:65], v[68:69], v[74:75] op_sel:[0,0,1] op_sel_hi:[1,1,0] neg_lo:[0,0,1] neg_hi:[0,0,1]
	v_pk_fma_f32 v[52:53], v[66:67], v[68:69], v[60:61] op_sel_hi:[1,0,1]
	v_pk_fma_f32 v[60:61], v[66:67], v[68:69], v[60:61] neg_lo:[0,0,1] neg_hi:[0,0,1]
	s_delay_alu instid0(VALU_DEP_4) | instskip(SKIP_1) | instid1(VALU_DEP_4)
	v_dual_mov_b32 v63, v71 :: v_dual_mov_b32 v65, v73
	v_pk_add_f32 v[30:31], v[30:31], v[76:77] neg_lo:[0,1] neg_hi:[0,1]
	v_mov_b32_e32 v61, v53
	s_delay_alu instid0(VALU_DEP_3) | instskip(NEXT) | instid1(VALU_DEP_4)
	v_pk_add_f32 v[22:23], v[22:23], v[62:63] neg_lo:[0,1] neg_hi:[0,1]
	v_pk_add_f32 v[18:19], v[18:19], v[64:65] neg_lo:[0,1] neg_hi:[0,1]
	s_delay_alu instid0(VALU_DEP_3)
	v_pk_add_f32 v[48:49], v[48:49], v[60:61] neg_lo:[0,1] neg_hi:[0,1]
.LBB42_377:
	s_or_b32 exec_lo, exec_lo, s0
	v_lshl_add_u32 v50, v58, 3, v54
	s_barrier_signal -1
	s_barrier_wait -1
	ds_store_b64 v50, v[30:31]
	s_wait_dscnt 0x0
	s_barrier_signal -1
	s_barrier_wait -1
	ds_load_b64 v[50:51], v54 offset:144
	v_mov_b32_e32 v52, 18
	s_cmp_lt_i32 s14, 20
	s_cbranch_scc1 .LBB42_380
; %bb.378:
	v_add3_u32 v53, v55, 0, 0x98
	v_mov_b32_e32 v52, 18
	s_mov_b32 s0, 19
.LBB42_379:                             ; =>This Inner Loop Header: Depth=1
	ds_load_b64 v[60:61], v53
	s_wait_dscnt 0x1
	v_cmp_gt_f32_e32 vcc_lo, 0, v50
	v_cndmask_b32_e64 v62, v50, -v50, vcc_lo
	v_cmp_gt_f32_e32 vcc_lo, 0, v51
	v_cndmask_b32_e64 v64, v51, -v51, vcc_lo
	s_wait_dscnt 0x0
	v_cmp_gt_f32_e32 vcc_lo, 0, v60
	v_cndmask_b32_e64 v63, v60, -v60, vcc_lo
	v_cmp_gt_f32_e32 vcc_lo, 0, v61
	v_cndmask_b32_e64 v65, v61, -v61, vcc_lo
	s_delay_alu instid0(VALU_DEP_1) | instskip(NEXT) | instid1(VALU_DEP_1)
	v_pk_add_f32 v[62:63], v[62:63], v[64:65]
	v_cmp_lt_f32_e32 vcc_lo, v62, v63
	v_dual_cndmask_b32 v50, v50, v60 :: v_dual_add_nc_u32 v53, 8, v53
	v_cndmask_b32_e32 v51, v51, v61, vcc_lo
	v_cndmask_b32_e64 v52, v52, s0, vcc_lo
	s_add_co_i32 s0, s0, 1
	s_delay_alu instid0(SALU_CYCLE_1)
	s_cmp_lg_u32 s14, s0
	s_cbranch_scc1 .LBB42_379
.LBB42_380:
	s_wait_dscnt 0x0
	v_cmp_eq_f32_e32 vcc_lo, 0, v50
	v_cmp_eq_f32_e64 s0, 0, v51
	s_and_b32 s0, vcc_lo, s0
	s_delay_alu instid0(SALU_CYCLE_1) | instskip(NEXT) | instid1(SALU_CYCLE_1)
	s_and_saveexec_b32 s1, s0
	s_xor_b32 s0, exec_lo, s1
; %bb.381:
	v_cmp_ne_u32_e32 vcc_lo, 0, v56
	v_cndmask_b32_e32 v56, 19, v56, vcc_lo
; %bb.382:
	s_and_not1_saveexec_b32 s0, s0
	s_cbranch_execz .LBB42_388
; %bb.383:
	v_cmp_ngt_f32_e64 s1, |v50|, |v51|
	s_and_saveexec_b32 s15, s1
	s_delay_alu instid0(SALU_CYCLE_1)
	s_xor_b32 s1, exec_lo, s15
	s_cbranch_execz .LBB42_385
; %bb.384:
	v_div_scale_f32 v53, null, v51, v51, v50
	v_div_scale_f32 v61, vcc_lo, v50, v51, v50
	s_delay_alu instid0(VALU_DEP_2) | instskip(SKIP_1) | instid1(TRANS32_DEP_1)
	v_rcp_f32_e32 v59, v53
	v_nop
	v_fma_f32 v60, -v53, v59, 1.0
	s_delay_alu instid0(VALU_DEP_1) | instskip(NEXT) | instid1(VALU_DEP_1)
	v_fmac_f32_e32 v59, v60, v59
	v_mul_f32_e32 v60, v61, v59
	s_delay_alu instid0(VALU_DEP_1) | instskip(NEXT) | instid1(VALU_DEP_1)
	v_fma_f32 v62, -v53, v60, v61
	v_fmac_f32_e32 v60, v62, v59
	s_delay_alu instid0(VALU_DEP_1) | instskip(NEXT) | instid1(VALU_DEP_1)
	v_fma_f32 v53, -v53, v60, v61
	v_div_fmas_f32 v53, v53, v59, v60
	s_delay_alu instid0(VALU_DEP_1) | instskip(NEXT) | instid1(VALU_DEP_1)
	v_div_fixup_f32 v53, v53, v51, v50
	v_fmac_f32_e32 v51, v50, v53
	s_delay_alu instid0(VALU_DEP_1) | instskip(SKIP_1) | instid1(VALU_DEP_2)
	v_div_scale_f32 v50, null, v51, v51, 1.0
	v_div_scale_f32 v61, vcc_lo, 1.0, v51, 1.0
	v_rcp_f32_e32 v59, v50
	v_nop
	s_delay_alu instid0(TRANS32_DEP_1) | instskip(NEXT) | instid1(VALU_DEP_1)
	v_fma_f32 v60, -v50, v59, 1.0
	v_fmac_f32_e32 v59, v60, v59
	s_delay_alu instid0(VALU_DEP_1) | instskip(NEXT) | instid1(VALU_DEP_1)
	v_mul_f32_e32 v60, v61, v59
	v_fma_f32 v62, -v50, v60, v61
	s_delay_alu instid0(VALU_DEP_1) | instskip(NEXT) | instid1(VALU_DEP_1)
	v_fmac_f32_e32 v60, v62, v59
	v_fma_f32 v50, -v50, v60, v61
	s_delay_alu instid0(VALU_DEP_1) | instskip(NEXT) | instid1(VALU_DEP_1)
	v_div_fmas_f32 v50, v50, v59, v60
	v_div_fixup_f32 v51, v50, v51, 1.0
	s_delay_alu instid0(VALU_DEP_1)
	v_mul_f32_e32 v50, v53, v51
	v_xor_b32_e32 v51, 0x80000000, v51
.LBB42_385:
	s_and_not1_saveexec_b32 s1, s1
	s_cbranch_execz .LBB42_387
; %bb.386:
	s_delay_alu instid0(VALU_DEP_1) | instskip(SKIP_1) | instid1(VALU_DEP_2)
	v_div_scale_f32 v53, null, v50, v50, v51
	v_div_scale_f32 v61, vcc_lo, v51, v50, v51
	v_rcp_f32_e32 v59, v53
	v_nop
	s_delay_alu instid0(TRANS32_DEP_1) | instskip(NEXT) | instid1(VALU_DEP_1)
	v_fma_f32 v60, -v53, v59, 1.0
	v_fmac_f32_e32 v59, v60, v59
	s_delay_alu instid0(VALU_DEP_1) | instskip(NEXT) | instid1(VALU_DEP_1)
	v_mul_f32_e32 v60, v61, v59
	v_fma_f32 v62, -v53, v60, v61
	s_delay_alu instid0(VALU_DEP_1) | instskip(NEXT) | instid1(VALU_DEP_1)
	v_fmac_f32_e32 v60, v62, v59
	v_fma_f32 v53, -v53, v60, v61
	s_delay_alu instid0(VALU_DEP_1) | instskip(NEXT) | instid1(VALU_DEP_1)
	v_div_fmas_f32 v53, v53, v59, v60
	v_div_fixup_f32 v53, v53, v50, v51
	s_delay_alu instid0(VALU_DEP_1) | instskip(NEXT) | instid1(VALU_DEP_1)
	v_fmac_f32_e32 v50, v51, v53
	v_div_scale_f32 v51, null, v50, v50, 1.0
	s_delay_alu instid0(VALU_DEP_1) | instskip(SKIP_1) | instid1(TRANS32_DEP_1)
	v_rcp_f32_e32 v59, v51
	v_nop
	v_fma_f32 v60, -v51, v59, 1.0
	s_delay_alu instid0(VALU_DEP_1) | instskip(SKIP_1) | instid1(VALU_DEP_1)
	v_fmac_f32_e32 v59, v60, v59
	v_div_scale_f32 v60, vcc_lo, 1.0, v50, 1.0
	v_mul_f32_e32 v61, v60, v59
	s_delay_alu instid0(VALU_DEP_1) | instskip(NEXT) | instid1(VALU_DEP_1)
	v_fma_f32 v62, -v51, v61, v60
	v_fmac_f32_e32 v61, v62, v59
	s_delay_alu instid0(VALU_DEP_1) | instskip(NEXT) | instid1(VALU_DEP_1)
	v_fma_f32 v51, -v51, v61, v60
	v_div_fmas_f32 v51, v51, v59, v61
	s_delay_alu instid0(VALU_DEP_1) | instskip(NEXT) | instid1(VALU_DEP_1)
	v_div_fixup_f32 v50, v51, v50, 1.0
	v_mul_f32_e64 v51, v53, -v50
.LBB42_387:
	s_or_b32 exec_lo, exec_lo, s1
.LBB42_388:
	s_delay_alu instid0(SALU_CYCLE_1) | instskip(NEXT) | instid1(SALU_CYCLE_1)
	s_or_b32 exec_lo, exec_lo, s0
	s_mov_b32 s0, exec_lo
	v_cmpx_ne_u32_e64 v58, v52
	s_xor_b32 s0, exec_lo, s0
	s_cbranch_execz .LBB42_394
; %bb.389:
	s_mov_b32 s1, exec_lo
	v_cmpx_eq_u32_e32 18, v58
	s_cbranch_execz .LBB42_393
; %bb.390:
	v_cmp_ne_u32_e32 vcc_lo, 18, v52
	s_xor_b32 s15, s12, -1
	s_delay_alu instid0(SALU_CYCLE_1) | instskip(NEXT) | instid1(SALU_CYCLE_1)
	s_and_b32 s16, s15, vcc_lo
	s_and_saveexec_b32 s15, s16
	s_cbranch_execz .LBB42_392
; %bb.391:
	v_ashrrev_i32_e32 v53, 31, v52
	s_delay_alu instid0(VALU_DEP_1)
	v_lshl_add_u64 v[58:59], v[52:53], 2, v[34:35]
	s_clause 0x1
	global_load_b32 v53, v[58:59], off
	global_load_b32 v57, v[34:35], off offset:72
	s_wait_loadcnt 0x1
	global_store_b32 v[34:35], v53, off offset:72
	s_wait_loadcnt 0x0
	global_store_b32 v[58:59], v57, off
.LBB42_392:
	s_wait_xcnt 0x0
	s_or_b32 exec_lo, exec_lo, s15
	v_dual_mov_b32 v58, v52 :: v_dual_mov_b32 v57, v52
.LBB42_393:
	s_or_b32 exec_lo, exec_lo, s1
.LBB42_394:
	s_and_not1_saveexec_b32 s0, s0
	s_cbranch_execz .LBB42_396
; %bb.395:
	v_mov_b32_e32 v58, 18
	ds_store_2addr_b64 v54, v[22:23], v[18:19] offset0:19 offset1:20
	ds_store_b64 v54, v[48:49] offset:168
.LBB42_396:
	s_or_b32 exec_lo, exec_lo, s0
	s_delay_alu instid0(SALU_CYCLE_1)
	s_mov_b32 s0, exec_lo
	s_wait_storecnt_dscnt 0x0
	s_barrier_signal -1
	s_barrier_wait -1
	v_cmpx_lt_i32_e32 18, v58
	s_cbranch_execz .LBB42_398
; %bb.397:
	ds_load_2addr_b64 v[60:63], v54 offset0:19 offset1:20
	ds_load_b64 v[52:53], v54 offset:168
	v_pk_mul_f32 v[64:65], v[50:51], v[30:31] op_sel:[1,1] op_sel_hi:[0,1]
	s_delay_alu instid0(VALU_DEP_1) | instskip(SKIP_2) | instid1(VALU_DEP_2)
	v_pk_fma_f32 v[66:67], v[50:51], v[30:31], v[64:65] op_sel_hi:[1,0,1]
	v_pk_fma_f32 v[30:31], v[50:51], v[30:31], v[64:65] op_sel_hi:[1,0,1] neg_lo:[0,0,1] neg_hi:[0,0,1]
	s_wait_dscnt 0x1
	v_pk_mul_f32 v[50:51], v[60:61], v[66:67] op_sel:[0,1]
	v_pk_mul_f32 v[64:65], v[62:63], v[66:67] op_sel:[0,1]
	s_wait_dscnt 0x0
	v_pk_mul_f32 v[68:69], v[52:53], v[66:67] op_sel:[1,1] op_sel_hi:[0,1]
	s_delay_alu instid0(VALU_DEP_3) | instskip(SKIP_2) | instid1(VALU_DEP_4)
	v_pk_fma_f32 v[70:71], v[60:61], v[30:31], v[50:51] op_sel:[0,0,1] op_sel_hi:[1,1,0] neg_lo:[0,0,1] neg_hi:[0,0,1]
	v_pk_fma_f32 v[50:51], v[60:61], v[30:31], v[50:51] op_sel:[0,0,1] op_sel_hi:[1,0,0]
	v_pk_fma_f32 v[60:61], v[62:63], v[30:31], v[64:65] op_sel:[0,0,1] op_sel_hi:[1,0,0]
	v_pk_fma_f32 v[72:73], v[52:53], v[30:31], v[68:69] op_sel_hi:[1,0,1]
	v_pk_fma_f32 v[62:63], v[62:63], v[30:31], v[64:65] op_sel:[0,0,1] op_sel_hi:[1,1,0] neg_lo:[0,0,1] neg_hi:[0,0,1]
	v_pk_fma_f32 v[52:53], v[52:53], v[30:31], v[68:69] neg_lo:[0,0,1] neg_hi:[0,0,1]
	s_delay_alu instid0(VALU_DEP_4) | instskip(NEXT) | instid1(VALU_DEP_4)
	v_dual_mov_b32 v71, v51 :: v_dual_mov_b32 v63, v61
	v_dual_mov_b32 v53, v73 :: v_dual_mov_b32 v31, v67
	s_delay_alu instid0(VALU_DEP_2) | instskip(NEXT) | instid1(VALU_DEP_3)
	v_pk_add_f32 v[22:23], v[22:23], v[70:71] neg_lo:[0,1] neg_hi:[0,1]
	v_pk_add_f32 v[18:19], v[18:19], v[62:63] neg_lo:[0,1] neg_hi:[0,1]
	s_delay_alu instid0(VALU_DEP_3)
	v_pk_add_f32 v[48:49], v[48:49], v[52:53] neg_lo:[0,1] neg_hi:[0,1]
.LBB42_398:
	s_or_b32 exec_lo, exec_lo, s0
	v_lshl_add_u32 v50, v58, 3, v54
	s_barrier_signal -1
	s_barrier_wait -1
	ds_store_b64 v50, v[22:23]
	s_wait_dscnt 0x0
	s_barrier_signal -1
	s_barrier_wait -1
	ds_load_b64 v[50:51], v54 offset:152
	v_mov_b32_e32 v52, 19
	s_cmp_lt_i32 s14, 21
	s_cbranch_scc1 .LBB42_401
; %bb.399:
	v_add3_u32 v53, v55, 0, 0xa0
	v_mov_b32_e32 v52, 19
	s_mov_b32 s0, 20
.LBB42_400:                             ; =>This Inner Loop Header: Depth=1
	ds_load_b64 v[60:61], v53
	s_wait_dscnt 0x1
	v_cmp_gt_f32_e32 vcc_lo, 0, v50
	v_cndmask_b32_e64 v62, v50, -v50, vcc_lo
	v_cmp_gt_f32_e32 vcc_lo, 0, v51
	v_cndmask_b32_e64 v64, v51, -v51, vcc_lo
	s_wait_dscnt 0x0
	v_cmp_gt_f32_e32 vcc_lo, 0, v60
	v_cndmask_b32_e64 v63, v60, -v60, vcc_lo
	v_cmp_gt_f32_e32 vcc_lo, 0, v61
	v_cndmask_b32_e64 v65, v61, -v61, vcc_lo
	s_delay_alu instid0(VALU_DEP_1) | instskip(NEXT) | instid1(VALU_DEP_1)
	v_pk_add_f32 v[62:63], v[62:63], v[64:65]
	v_cmp_lt_f32_e32 vcc_lo, v62, v63
	v_dual_cndmask_b32 v50, v50, v60 :: v_dual_add_nc_u32 v53, 8, v53
	v_cndmask_b32_e32 v51, v51, v61, vcc_lo
	v_cndmask_b32_e64 v52, v52, s0, vcc_lo
	s_add_co_i32 s0, s0, 1
	s_delay_alu instid0(SALU_CYCLE_1)
	s_cmp_lg_u32 s14, s0
	s_cbranch_scc1 .LBB42_400
.LBB42_401:
	s_wait_dscnt 0x0
	v_cmp_eq_f32_e32 vcc_lo, 0, v50
	v_cmp_eq_f32_e64 s0, 0, v51
	s_and_b32 s0, vcc_lo, s0
	s_delay_alu instid0(SALU_CYCLE_1) | instskip(NEXT) | instid1(SALU_CYCLE_1)
	s_and_saveexec_b32 s1, s0
	s_xor_b32 s0, exec_lo, s1
; %bb.402:
	v_cmp_ne_u32_e32 vcc_lo, 0, v56
	v_cndmask_b32_e32 v56, 20, v56, vcc_lo
; %bb.403:
	s_and_not1_saveexec_b32 s0, s0
	s_cbranch_execz .LBB42_409
; %bb.404:
	v_cmp_ngt_f32_e64 s1, |v50|, |v51|
	s_and_saveexec_b32 s15, s1
	s_delay_alu instid0(SALU_CYCLE_1)
	s_xor_b32 s1, exec_lo, s15
	s_cbranch_execz .LBB42_406
; %bb.405:
	v_div_scale_f32 v53, null, v51, v51, v50
	v_div_scale_f32 v61, vcc_lo, v50, v51, v50
	s_delay_alu instid0(VALU_DEP_2) | instskip(SKIP_1) | instid1(TRANS32_DEP_1)
	v_rcp_f32_e32 v59, v53
	v_nop
	v_fma_f32 v60, -v53, v59, 1.0
	s_delay_alu instid0(VALU_DEP_1) | instskip(NEXT) | instid1(VALU_DEP_1)
	v_fmac_f32_e32 v59, v60, v59
	v_mul_f32_e32 v60, v61, v59
	s_delay_alu instid0(VALU_DEP_1) | instskip(NEXT) | instid1(VALU_DEP_1)
	v_fma_f32 v62, -v53, v60, v61
	v_fmac_f32_e32 v60, v62, v59
	s_delay_alu instid0(VALU_DEP_1) | instskip(NEXT) | instid1(VALU_DEP_1)
	v_fma_f32 v53, -v53, v60, v61
	v_div_fmas_f32 v53, v53, v59, v60
	s_delay_alu instid0(VALU_DEP_1) | instskip(NEXT) | instid1(VALU_DEP_1)
	v_div_fixup_f32 v53, v53, v51, v50
	v_fmac_f32_e32 v51, v50, v53
	s_delay_alu instid0(VALU_DEP_1) | instskip(SKIP_1) | instid1(VALU_DEP_2)
	v_div_scale_f32 v50, null, v51, v51, 1.0
	v_div_scale_f32 v61, vcc_lo, 1.0, v51, 1.0
	v_rcp_f32_e32 v59, v50
	v_nop
	s_delay_alu instid0(TRANS32_DEP_1) | instskip(NEXT) | instid1(VALU_DEP_1)
	v_fma_f32 v60, -v50, v59, 1.0
	v_fmac_f32_e32 v59, v60, v59
	s_delay_alu instid0(VALU_DEP_1) | instskip(NEXT) | instid1(VALU_DEP_1)
	v_mul_f32_e32 v60, v61, v59
	v_fma_f32 v62, -v50, v60, v61
	s_delay_alu instid0(VALU_DEP_1) | instskip(NEXT) | instid1(VALU_DEP_1)
	v_fmac_f32_e32 v60, v62, v59
	v_fma_f32 v50, -v50, v60, v61
	s_delay_alu instid0(VALU_DEP_1) | instskip(NEXT) | instid1(VALU_DEP_1)
	v_div_fmas_f32 v50, v50, v59, v60
	v_div_fixup_f32 v51, v50, v51, 1.0
	s_delay_alu instid0(VALU_DEP_1)
	v_mul_f32_e32 v50, v53, v51
	v_xor_b32_e32 v51, 0x80000000, v51
.LBB42_406:
	s_and_not1_saveexec_b32 s1, s1
	s_cbranch_execz .LBB42_408
; %bb.407:
	s_delay_alu instid0(VALU_DEP_1) | instskip(SKIP_1) | instid1(VALU_DEP_2)
	v_div_scale_f32 v53, null, v50, v50, v51
	v_div_scale_f32 v61, vcc_lo, v51, v50, v51
	v_rcp_f32_e32 v59, v53
	v_nop
	s_delay_alu instid0(TRANS32_DEP_1) | instskip(NEXT) | instid1(VALU_DEP_1)
	v_fma_f32 v60, -v53, v59, 1.0
	v_fmac_f32_e32 v59, v60, v59
	s_delay_alu instid0(VALU_DEP_1) | instskip(NEXT) | instid1(VALU_DEP_1)
	v_mul_f32_e32 v60, v61, v59
	v_fma_f32 v62, -v53, v60, v61
	s_delay_alu instid0(VALU_DEP_1) | instskip(NEXT) | instid1(VALU_DEP_1)
	v_fmac_f32_e32 v60, v62, v59
	v_fma_f32 v53, -v53, v60, v61
	s_delay_alu instid0(VALU_DEP_1) | instskip(NEXT) | instid1(VALU_DEP_1)
	v_div_fmas_f32 v53, v53, v59, v60
	v_div_fixup_f32 v53, v53, v50, v51
	s_delay_alu instid0(VALU_DEP_1) | instskip(NEXT) | instid1(VALU_DEP_1)
	v_fmac_f32_e32 v50, v51, v53
	v_div_scale_f32 v51, null, v50, v50, 1.0
	s_delay_alu instid0(VALU_DEP_1) | instskip(SKIP_1) | instid1(TRANS32_DEP_1)
	v_rcp_f32_e32 v59, v51
	v_nop
	v_fma_f32 v60, -v51, v59, 1.0
	s_delay_alu instid0(VALU_DEP_1) | instskip(SKIP_1) | instid1(VALU_DEP_1)
	v_fmac_f32_e32 v59, v60, v59
	v_div_scale_f32 v60, vcc_lo, 1.0, v50, 1.0
	v_mul_f32_e32 v61, v60, v59
	s_delay_alu instid0(VALU_DEP_1) | instskip(NEXT) | instid1(VALU_DEP_1)
	v_fma_f32 v62, -v51, v61, v60
	v_fmac_f32_e32 v61, v62, v59
	s_delay_alu instid0(VALU_DEP_1) | instskip(NEXT) | instid1(VALU_DEP_1)
	v_fma_f32 v51, -v51, v61, v60
	v_div_fmas_f32 v51, v51, v59, v61
	s_delay_alu instid0(VALU_DEP_1) | instskip(NEXT) | instid1(VALU_DEP_1)
	v_div_fixup_f32 v50, v51, v50, 1.0
	v_mul_f32_e64 v51, v53, -v50
.LBB42_408:
	s_or_b32 exec_lo, exec_lo, s1
.LBB42_409:
	s_delay_alu instid0(SALU_CYCLE_1) | instskip(NEXT) | instid1(SALU_CYCLE_1)
	s_or_b32 exec_lo, exec_lo, s0
	s_mov_b32 s0, exec_lo
	v_cmpx_ne_u32_e64 v58, v52
	s_xor_b32 s0, exec_lo, s0
	s_cbranch_execz .LBB42_415
; %bb.410:
	s_mov_b32 s1, exec_lo
	v_cmpx_eq_u32_e32 19, v58
	s_cbranch_execz .LBB42_414
; %bb.411:
	v_cmp_ne_u32_e32 vcc_lo, 19, v52
	s_xor_b32 s15, s12, -1
	s_delay_alu instid0(SALU_CYCLE_1) | instskip(NEXT) | instid1(SALU_CYCLE_1)
	s_and_b32 s16, s15, vcc_lo
	s_and_saveexec_b32 s15, s16
	s_cbranch_execz .LBB42_413
; %bb.412:
	v_ashrrev_i32_e32 v53, 31, v52
	s_delay_alu instid0(VALU_DEP_1)
	v_lshl_add_u64 v[58:59], v[52:53], 2, v[34:35]
	s_clause 0x1
	global_load_b32 v53, v[58:59], off
	global_load_b32 v57, v[34:35], off offset:76
	s_wait_loadcnt 0x1
	global_store_b32 v[34:35], v53, off offset:76
	s_wait_loadcnt 0x0
	global_store_b32 v[58:59], v57, off
.LBB42_413:
	s_wait_xcnt 0x0
	s_or_b32 exec_lo, exec_lo, s15
	v_dual_mov_b32 v58, v52 :: v_dual_mov_b32 v57, v52
.LBB42_414:
	s_or_b32 exec_lo, exec_lo, s1
.LBB42_415:
	s_and_not1_saveexec_b32 s0, s0
; %bb.416:
	v_dual_mov_b32 v52, v18 :: v_dual_mov_b32 v53, v19
	v_mov_b32_e32 v58, 19
	ds_store_2addr_b64 v54, v[52:53], v[48:49] offset0:20 offset1:21
; %bb.417:
	s_or_b32 exec_lo, exec_lo, s0
	s_delay_alu instid0(SALU_CYCLE_1)
	s_mov_b32 s0, exec_lo
	s_wait_storecnt_dscnt 0x0
	s_barrier_signal -1
	s_barrier_wait -1
	v_cmpx_lt_i32_e32 19, v58
	s_cbranch_execz .LBB42_419
; %bb.418:
	ds_load_2addr_b64 v[60:63], v54 offset0:20 offset1:21
	v_pk_mul_f32 v[52:53], v[50:51], v[22:23] op_sel:[1,1] op_sel_hi:[0,1]
	s_delay_alu instid0(VALU_DEP_1) | instskip(SKIP_3) | instid1(VALU_DEP_3)
	v_pk_fma_f32 v[64:65], v[50:51], v[22:23], v[52:53] op_sel_hi:[1,0,1]
	v_pk_fma_f32 v[22:23], v[50:51], v[22:23], v[52:53] op_sel_hi:[1,0,1] neg_lo:[0,0,1] neg_hi:[0,0,1]
	s_wait_dscnt 0x0
	v_dual_mov_b32 v66, v63 :: v_dual_mov_b32 v67, v62
	v_pk_mul_f32 v[50:51], v[60:61], v[64:65] op_sel:[0,1]
	s_delay_alu instid0(VALU_DEP_2) | instskip(NEXT) | instid1(VALU_DEP_2)
	v_pk_mul_f32 v[52:53], v[66:67], v[64:65] op_sel:[0,1]
	v_pk_fma_f32 v[66:67], v[60:61], v[22:23], v[50:51] op_sel:[0,0,1] op_sel_hi:[1,0,0]
	v_pk_fma_f32 v[50:51], v[60:61], v[22:23], v[50:51] op_sel:[0,0,1] op_sel_hi:[1,1,0] neg_lo:[0,0,1] neg_hi:[0,0,1]
	s_delay_alu instid0(VALU_DEP_3) | instskip(SKIP_1) | instid1(VALU_DEP_4)
	v_pk_fma_f32 v[68:69], v[62:63], v[22:23], v[52:53] op_sel_hi:[1,0,1]
	v_pk_fma_f32 v[52:53], v[62:63], v[22:23], v[52:53] neg_lo:[0,0,1] neg_hi:[0,0,1]
	v_dual_mov_b32 v51, v67 :: v_dual_mov_b32 v23, v65
	s_delay_alu instid0(VALU_DEP_3) | instskip(NEXT) | instid1(VALU_DEP_2)
	v_mov_b32_e32 v53, v69
	v_pk_add_f32 v[18:19], v[18:19], v[50:51] neg_lo:[0,1] neg_hi:[0,1]
	s_delay_alu instid0(VALU_DEP_2)
	v_pk_add_f32 v[48:49], v[48:49], v[52:53] neg_lo:[0,1] neg_hi:[0,1]
.LBB42_419:
	s_or_b32 exec_lo, exec_lo, s0
	v_lshl_add_u32 v50, v58, 3, v54
	s_barrier_signal -1
	s_barrier_wait -1
	ds_store_b64 v50, v[18:19]
	s_wait_dscnt 0x0
	s_barrier_signal -1
	s_barrier_wait -1
	ds_load_b64 v[50:51], v54 offset:160
	v_mov_b32_e32 v52, 20
	s_cmp_lt_i32 s14, 22
	s_cbranch_scc1 .LBB42_422
; %bb.420:
	v_add3_u32 v53, v55, 0, 0xa8
	v_mov_b32_e32 v52, 20
	s_mov_b32 s0, 21
.LBB42_421:                             ; =>This Inner Loop Header: Depth=1
	ds_load_b64 v[60:61], v53
	s_wait_dscnt 0x1
	v_cmp_gt_f32_e32 vcc_lo, 0, v50
	v_cndmask_b32_e64 v62, v50, -v50, vcc_lo
	v_cmp_gt_f32_e32 vcc_lo, 0, v51
	v_cndmask_b32_e64 v64, v51, -v51, vcc_lo
	s_wait_dscnt 0x0
	v_cmp_gt_f32_e32 vcc_lo, 0, v60
	v_cndmask_b32_e64 v63, v60, -v60, vcc_lo
	v_cmp_gt_f32_e32 vcc_lo, 0, v61
	v_cndmask_b32_e64 v65, v61, -v61, vcc_lo
	s_delay_alu instid0(VALU_DEP_1) | instskip(NEXT) | instid1(VALU_DEP_1)
	v_pk_add_f32 v[62:63], v[62:63], v[64:65]
	v_cmp_lt_f32_e32 vcc_lo, v62, v63
	v_dual_cndmask_b32 v50, v50, v60 :: v_dual_add_nc_u32 v53, 8, v53
	v_cndmask_b32_e32 v51, v51, v61, vcc_lo
	v_cndmask_b32_e64 v52, v52, s0, vcc_lo
	s_add_co_i32 s0, s0, 1
	s_delay_alu instid0(SALU_CYCLE_1)
	s_cmp_lg_u32 s14, s0
	s_cbranch_scc1 .LBB42_421
.LBB42_422:
	s_wait_dscnt 0x0
	v_cmp_eq_f32_e32 vcc_lo, 0, v50
	v_cmp_eq_f32_e64 s0, 0, v51
	s_and_b32 s0, vcc_lo, s0
	s_delay_alu instid0(SALU_CYCLE_1) | instskip(NEXT) | instid1(SALU_CYCLE_1)
	s_and_saveexec_b32 s1, s0
	s_xor_b32 s0, exec_lo, s1
; %bb.423:
	v_cmp_ne_u32_e32 vcc_lo, 0, v56
	v_cndmask_b32_e32 v56, 21, v56, vcc_lo
; %bb.424:
	s_and_not1_saveexec_b32 s0, s0
	s_cbranch_execz .LBB42_430
; %bb.425:
	v_cmp_ngt_f32_e64 s1, |v50|, |v51|
	s_and_saveexec_b32 s15, s1
	s_delay_alu instid0(SALU_CYCLE_1)
	s_xor_b32 s1, exec_lo, s15
	s_cbranch_execz .LBB42_427
; %bb.426:
	v_div_scale_f32 v53, null, v51, v51, v50
	v_div_scale_f32 v61, vcc_lo, v50, v51, v50
	s_delay_alu instid0(VALU_DEP_2) | instskip(SKIP_1) | instid1(TRANS32_DEP_1)
	v_rcp_f32_e32 v59, v53
	v_nop
	v_fma_f32 v60, -v53, v59, 1.0
	s_delay_alu instid0(VALU_DEP_1) | instskip(NEXT) | instid1(VALU_DEP_1)
	v_fmac_f32_e32 v59, v60, v59
	v_mul_f32_e32 v60, v61, v59
	s_delay_alu instid0(VALU_DEP_1) | instskip(NEXT) | instid1(VALU_DEP_1)
	v_fma_f32 v62, -v53, v60, v61
	v_fmac_f32_e32 v60, v62, v59
	s_delay_alu instid0(VALU_DEP_1) | instskip(NEXT) | instid1(VALU_DEP_1)
	v_fma_f32 v53, -v53, v60, v61
	v_div_fmas_f32 v53, v53, v59, v60
	s_delay_alu instid0(VALU_DEP_1) | instskip(NEXT) | instid1(VALU_DEP_1)
	v_div_fixup_f32 v53, v53, v51, v50
	v_fmac_f32_e32 v51, v50, v53
	s_delay_alu instid0(VALU_DEP_1) | instskip(SKIP_1) | instid1(VALU_DEP_2)
	v_div_scale_f32 v50, null, v51, v51, 1.0
	v_div_scale_f32 v61, vcc_lo, 1.0, v51, 1.0
	v_rcp_f32_e32 v59, v50
	v_nop
	s_delay_alu instid0(TRANS32_DEP_1) | instskip(NEXT) | instid1(VALU_DEP_1)
	v_fma_f32 v60, -v50, v59, 1.0
	v_fmac_f32_e32 v59, v60, v59
	s_delay_alu instid0(VALU_DEP_1) | instskip(NEXT) | instid1(VALU_DEP_1)
	v_mul_f32_e32 v60, v61, v59
	v_fma_f32 v62, -v50, v60, v61
	s_delay_alu instid0(VALU_DEP_1) | instskip(NEXT) | instid1(VALU_DEP_1)
	v_fmac_f32_e32 v60, v62, v59
	v_fma_f32 v50, -v50, v60, v61
	s_delay_alu instid0(VALU_DEP_1) | instskip(NEXT) | instid1(VALU_DEP_1)
	v_div_fmas_f32 v50, v50, v59, v60
	v_div_fixup_f32 v51, v50, v51, 1.0
	s_delay_alu instid0(VALU_DEP_1)
	v_mul_f32_e32 v50, v53, v51
	v_xor_b32_e32 v51, 0x80000000, v51
.LBB42_427:
	s_and_not1_saveexec_b32 s1, s1
	s_cbranch_execz .LBB42_429
; %bb.428:
	s_delay_alu instid0(VALU_DEP_1) | instskip(SKIP_1) | instid1(VALU_DEP_2)
	v_div_scale_f32 v53, null, v50, v50, v51
	v_div_scale_f32 v61, vcc_lo, v51, v50, v51
	v_rcp_f32_e32 v59, v53
	v_nop
	s_delay_alu instid0(TRANS32_DEP_1) | instskip(NEXT) | instid1(VALU_DEP_1)
	v_fma_f32 v60, -v53, v59, 1.0
	v_fmac_f32_e32 v59, v60, v59
	s_delay_alu instid0(VALU_DEP_1) | instskip(NEXT) | instid1(VALU_DEP_1)
	v_mul_f32_e32 v60, v61, v59
	v_fma_f32 v62, -v53, v60, v61
	s_delay_alu instid0(VALU_DEP_1) | instskip(NEXT) | instid1(VALU_DEP_1)
	v_fmac_f32_e32 v60, v62, v59
	v_fma_f32 v53, -v53, v60, v61
	s_delay_alu instid0(VALU_DEP_1) | instskip(NEXT) | instid1(VALU_DEP_1)
	v_div_fmas_f32 v53, v53, v59, v60
	v_div_fixup_f32 v53, v53, v50, v51
	s_delay_alu instid0(VALU_DEP_1) | instskip(NEXT) | instid1(VALU_DEP_1)
	v_fmac_f32_e32 v50, v51, v53
	v_div_scale_f32 v51, null, v50, v50, 1.0
	s_delay_alu instid0(VALU_DEP_1) | instskip(SKIP_1) | instid1(TRANS32_DEP_1)
	v_rcp_f32_e32 v59, v51
	v_nop
	v_fma_f32 v60, -v51, v59, 1.0
	s_delay_alu instid0(VALU_DEP_1) | instskip(SKIP_1) | instid1(VALU_DEP_1)
	v_fmac_f32_e32 v59, v60, v59
	v_div_scale_f32 v60, vcc_lo, 1.0, v50, 1.0
	v_mul_f32_e32 v61, v60, v59
	s_delay_alu instid0(VALU_DEP_1) | instskip(NEXT) | instid1(VALU_DEP_1)
	v_fma_f32 v62, -v51, v61, v60
	v_fmac_f32_e32 v61, v62, v59
	s_delay_alu instid0(VALU_DEP_1) | instskip(NEXT) | instid1(VALU_DEP_1)
	v_fma_f32 v51, -v51, v61, v60
	v_div_fmas_f32 v51, v51, v59, v61
	s_delay_alu instid0(VALU_DEP_1) | instskip(NEXT) | instid1(VALU_DEP_1)
	v_div_fixup_f32 v50, v51, v50, 1.0
	v_mul_f32_e64 v51, v53, -v50
.LBB42_429:
	s_or_b32 exec_lo, exec_lo, s1
.LBB42_430:
	s_delay_alu instid0(SALU_CYCLE_1) | instskip(NEXT) | instid1(SALU_CYCLE_1)
	s_or_b32 exec_lo, exec_lo, s0
	s_mov_b32 s0, exec_lo
	v_cmpx_ne_u32_e64 v58, v52
	s_xor_b32 s0, exec_lo, s0
	s_cbranch_execz .LBB42_436
; %bb.431:
	s_mov_b32 s1, exec_lo
	v_cmpx_eq_u32_e32 20, v58
	s_cbranch_execz .LBB42_435
; %bb.432:
	v_cmp_ne_u32_e32 vcc_lo, 20, v52
	s_xor_b32 s15, s12, -1
	s_delay_alu instid0(SALU_CYCLE_1) | instskip(NEXT) | instid1(SALU_CYCLE_1)
	s_and_b32 s16, s15, vcc_lo
	s_and_saveexec_b32 s15, s16
	s_cbranch_execz .LBB42_434
; %bb.433:
	v_ashrrev_i32_e32 v53, 31, v52
	s_delay_alu instid0(VALU_DEP_1)
	v_lshl_add_u64 v[58:59], v[52:53], 2, v[34:35]
	s_clause 0x1
	global_load_b32 v53, v[58:59], off
	global_load_b32 v57, v[34:35], off offset:80
	s_wait_loadcnt 0x1
	global_store_b32 v[34:35], v53, off offset:80
	s_wait_loadcnt 0x0
	global_store_b32 v[58:59], v57, off
.LBB42_434:
	s_wait_xcnt 0x0
	s_or_b32 exec_lo, exec_lo, s15
	v_dual_mov_b32 v58, v52 :: v_dual_mov_b32 v57, v52
.LBB42_435:
	s_or_b32 exec_lo, exec_lo, s1
.LBB42_436:
	s_and_not1_saveexec_b32 s0, s0
; %bb.437:
	v_mov_b32_e32 v58, 20
	ds_store_b64 v54, v[48:49] offset:168
; %bb.438:
	s_or_b32 exec_lo, exec_lo, s0
	s_delay_alu instid0(SALU_CYCLE_1)
	s_mov_b32 s0, exec_lo
	s_wait_storecnt_dscnt 0x0
	s_barrier_signal -1
	s_barrier_wait -1
	v_cmpx_lt_i32_e32 20, v58
	s_cbranch_execz .LBB42_440
; %bb.439:
	ds_load_b64 v[52:53], v54 offset:168
	v_pk_mul_f32 v[60:61], v[50:51], v[18:19] op_sel:[1,1] op_sel_hi:[0,1]
	s_delay_alu instid0(VALU_DEP_1) | instskip(SKIP_2) | instid1(VALU_DEP_2)
	v_pk_fma_f32 v[62:63], v[50:51], v[18:19], v[60:61] op_sel_hi:[1,0,1]
	v_pk_fma_f32 v[18:19], v[50:51], v[18:19], v[60:61] op_sel_hi:[1,0,1] neg_lo:[0,0,1] neg_hi:[0,0,1]
	s_wait_dscnt 0x0
	v_pk_mul_f32 v[50:51], v[52:53], v[62:63] op_sel:[1,1] op_sel_hi:[0,1]
	s_delay_alu instid0(VALU_DEP_1) | instskip(SKIP_1) | instid1(VALU_DEP_2)
	v_pk_fma_f32 v[60:61], v[52:53], v[18:19], v[50:51] op_sel_hi:[1,0,1]
	v_pk_fma_f32 v[50:51], v[52:53], v[18:19], v[50:51] neg_lo:[0,0,1] neg_hi:[0,0,1]
	v_dual_mov_b32 v19, v63 :: v_dual_mov_b32 v51, v61
	s_delay_alu instid0(VALU_DEP_1)
	v_pk_add_f32 v[48:49], v[48:49], v[50:51] neg_lo:[0,1] neg_hi:[0,1]
.LBB42_440:
	s_or_b32 exec_lo, exec_lo, s0
	v_lshl_add_u32 v50, v58, 3, v54
	s_barrier_signal -1
	s_barrier_wait -1
	ds_store_b64 v50, v[48:49]
	s_wait_dscnt 0x0
	s_barrier_signal -1
	s_barrier_wait -1
	ds_load_b64 v[50:51], v54 offset:168
	v_mov_b32_e32 v52, 21
	s_cmp_lt_i32 s14, 23
	s_cbranch_scc1 .LBB42_443
; %bb.441:
	v_add3_u32 v53, v55, 0, 0xb0
	v_mov_b32_e32 v52, 21
	s_mov_b32 s0, 22
.LBB42_442:                             ; =>This Inner Loop Header: Depth=1
	ds_load_b64 v[54:55], v53
	s_wait_dscnt 0x1
	v_cmp_gt_f32_e32 vcc_lo, 0, v50
	v_cndmask_b32_e64 v60, v50, -v50, vcc_lo
	v_cmp_gt_f32_e32 vcc_lo, 0, v51
	v_cndmask_b32_e64 v62, v51, -v51, vcc_lo
	s_wait_dscnt 0x0
	v_cmp_gt_f32_e32 vcc_lo, 0, v54
	v_cndmask_b32_e64 v61, v54, -v54, vcc_lo
	v_cmp_gt_f32_e32 vcc_lo, 0, v55
	v_cndmask_b32_e64 v63, v55, -v55, vcc_lo
	s_delay_alu instid0(VALU_DEP_1) | instskip(NEXT) | instid1(VALU_DEP_1)
	v_pk_add_f32 v[60:61], v[60:61], v[62:63]
	v_cmp_lt_f32_e32 vcc_lo, v60, v61
	v_dual_add_nc_u32 v53, 8, v53 :: v_dual_cndmask_b32 v51, v51, v55, vcc_lo
	v_cndmask_b32_e32 v50, v50, v54, vcc_lo
	v_cndmask_b32_e64 v52, v52, s0, vcc_lo
	s_add_co_i32 s0, s0, 1
	s_delay_alu instid0(SALU_CYCLE_1)
	s_cmp_lg_u32 s14, s0
	s_cbranch_scc1 .LBB42_442
.LBB42_443:
	s_wait_dscnt 0x0
	v_cmp_eq_f32_e32 vcc_lo, 0, v50
	v_cmp_eq_f32_e64 s0, 0, v51
	s_and_b32 s0, vcc_lo, s0
	s_delay_alu instid0(SALU_CYCLE_1) | instskip(NEXT) | instid1(SALU_CYCLE_1)
	s_and_saveexec_b32 s1, s0
	s_xor_b32 s0, exec_lo, s1
; %bb.444:
	v_cmp_ne_u32_e32 vcc_lo, 0, v56
	v_cndmask_b32_e32 v56, 22, v56, vcc_lo
; %bb.445:
	s_and_not1_saveexec_b32 s0, s0
	s_cbranch_execz .LBB42_451
; %bb.446:
	v_cmp_ngt_f32_e64 s1, |v50|, |v51|
	s_and_saveexec_b32 s14, s1
	s_delay_alu instid0(SALU_CYCLE_1)
	s_xor_b32 s1, exec_lo, s14
	s_cbranch_execz .LBB42_448
; %bb.447:
	v_div_scale_f32 v53, null, v51, v51, v50
	v_div_scale_f32 v59, vcc_lo, v50, v51, v50
	s_delay_alu instid0(VALU_DEP_2) | instskip(SKIP_1) | instid1(TRANS32_DEP_1)
	v_rcp_f32_e32 v54, v53
	v_nop
	v_fma_f32 v55, -v53, v54, 1.0
	s_delay_alu instid0(VALU_DEP_1) | instskip(NEXT) | instid1(VALU_DEP_1)
	v_fmac_f32_e32 v54, v55, v54
	v_mul_f32_e32 v55, v59, v54
	s_delay_alu instid0(VALU_DEP_1) | instskip(NEXT) | instid1(VALU_DEP_1)
	v_fma_f32 v60, -v53, v55, v59
	v_fmac_f32_e32 v55, v60, v54
	s_delay_alu instid0(VALU_DEP_1) | instskip(NEXT) | instid1(VALU_DEP_1)
	v_fma_f32 v53, -v53, v55, v59
	v_div_fmas_f32 v53, v53, v54, v55
	s_delay_alu instid0(VALU_DEP_1) | instskip(NEXT) | instid1(VALU_DEP_1)
	v_div_fixup_f32 v53, v53, v51, v50
	v_fmac_f32_e32 v51, v50, v53
	s_delay_alu instid0(VALU_DEP_1) | instskip(SKIP_1) | instid1(VALU_DEP_2)
	v_div_scale_f32 v50, null, v51, v51, 1.0
	v_div_scale_f32 v59, vcc_lo, 1.0, v51, 1.0
	v_rcp_f32_e32 v54, v50
	v_nop
	s_delay_alu instid0(TRANS32_DEP_1) | instskip(NEXT) | instid1(VALU_DEP_1)
	v_fma_f32 v55, -v50, v54, 1.0
	v_fmac_f32_e32 v54, v55, v54
	s_delay_alu instid0(VALU_DEP_1) | instskip(NEXT) | instid1(VALU_DEP_1)
	v_mul_f32_e32 v55, v59, v54
	v_fma_f32 v60, -v50, v55, v59
	s_delay_alu instid0(VALU_DEP_1) | instskip(NEXT) | instid1(VALU_DEP_1)
	v_fmac_f32_e32 v55, v60, v54
	v_fma_f32 v50, -v50, v55, v59
	s_delay_alu instid0(VALU_DEP_1) | instskip(NEXT) | instid1(VALU_DEP_1)
	v_div_fmas_f32 v50, v50, v54, v55
	v_div_fixup_f32 v51, v50, v51, 1.0
	s_delay_alu instid0(VALU_DEP_1)
	v_mul_f32_e32 v50, v53, v51
	v_xor_b32_e32 v51, 0x80000000, v51
.LBB42_448:
	s_and_not1_saveexec_b32 s1, s1
	s_cbranch_execz .LBB42_450
; %bb.449:
	s_delay_alu instid0(VALU_DEP_1) | instskip(SKIP_1) | instid1(VALU_DEP_2)
	v_div_scale_f32 v53, null, v50, v50, v51
	v_div_scale_f32 v59, vcc_lo, v51, v50, v51
	v_rcp_f32_e32 v54, v53
	v_nop
	s_delay_alu instid0(TRANS32_DEP_1) | instskip(NEXT) | instid1(VALU_DEP_1)
	v_fma_f32 v55, -v53, v54, 1.0
	v_fmac_f32_e32 v54, v55, v54
	s_delay_alu instid0(VALU_DEP_1) | instskip(NEXT) | instid1(VALU_DEP_1)
	v_mul_f32_e32 v55, v59, v54
	v_fma_f32 v60, -v53, v55, v59
	s_delay_alu instid0(VALU_DEP_1) | instskip(NEXT) | instid1(VALU_DEP_1)
	v_fmac_f32_e32 v55, v60, v54
	v_fma_f32 v53, -v53, v55, v59
	s_delay_alu instid0(VALU_DEP_1) | instskip(NEXT) | instid1(VALU_DEP_1)
	v_div_fmas_f32 v53, v53, v54, v55
	v_div_fixup_f32 v53, v53, v50, v51
	s_delay_alu instid0(VALU_DEP_1) | instskip(NEXT) | instid1(VALU_DEP_1)
	v_fmac_f32_e32 v50, v51, v53
	v_div_scale_f32 v51, null, v50, v50, 1.0
	s_delay_alu instid0(VALU_DEP_1) | instskip(SKIP_1) | instid1(TRANS32_DEP_1)
	v_rcp_f32_e32 v54, v51
	v_nop
	v_fma_f32 v55, -v51, v54, 1.0
	s_delay_alu instid0(VALU_DEP_1) | instskip(SKIP_1) | instid1(VALU_DEP_1)
	v_fmac_f32_e32 v54, v55, v54
	v_div_scale_f32 v55, vcc_lo, 1.0, v50, 1.0
	v_mul_f32_e32 v59, v55, v54
	s_delay_alu instid0(VALU_DEP_1) | instskip(NEXT) | instid1(VALU_DEP_1)
	v_fma_f32 v60, -v51, v59, v55
	v_fmac_f32_e32 v59, v60, v54
	s_delay_alu instid0(VALU_DEP_1) | instskip(NEXT) | instid1(VALU_DEP_1)
	v_fma_f32 v51, -v51, v59, v55
	v_div_fmas_f32 v51, v51, v54, v59
	s_delay_alu instid0(VALU_DEP_1) | instskip(NEXT) | instid1(VALU_DEP_1)
	v_div_fixup_f32 v50, v51, v50, 1.0
	v_mul_f32_e64 v51, v53, -v50
.LBB42_450:
	s_or_b32 exec_lo, exec_lo, s1
.LBB42_451:
	s_delay_alu instid0(SALU_CYCLE_1)
	s_or_b32 exec_lo, exec_lo, s0
	v_mov_b32_e32 v54, 21
	s_mov_b32 s0, exec_lo
	v_cmpx_ne_u32_e64 v58, v52
	s_cbranch_execz .LBB42_457
; %bb.452:
	s_mov_b32 s1, exec_lo
	v_cmpx_eq_u32_e32 21, v58
	s_cbranch_execz .LBB42_456
; %bb.453:
	v_cmp_ne_u32_e32 vcc_lo, 21, v52
	s_xor_b32 s12, s12, -1
	s_delay_alu instid0(SALU_CYCLE_1) | instskip(NEXT) | instid1(SALU_CYCLE_1)
	s_and_b32 s14, s12, vcc_lo
	s_and_saveexec_b32 s12, s14
	s_cbranch_execz .LBB42_455
; %bb.454:
	v_ashrrev_i32_e32 v53, 31, v52
	s_delay_alu instid0(VALU_DEP_1)
	v_lshl_add_u64 v[54:55], v[52:53], 2, v[34:35]
	s_clause 0x1
	global_load_b32 v53, v[54:55], off
	global_load_b32 v57, v[34:35], off offset:84
	s_wait_loadcnt 0x1
	global_store_b32 v[34:35], v53, off offset:84
	s_wait_loadcnt 0x0
	global_store_b32 v[54:55], v57, off
.LBB42_455:
	s_wait_xcnt 0x0
	s_or_b32 exec_lo, exec_lo, s12
	v_dual_mov_b32 v58, v52 :: v_dual_mov_b32 v57, v52
.LBB42_456:
	s_or_b32 exec_lo, exec_lo, s1
	s_delay_alu instid0(VALU_DEP_1)
	v_mov_b32_e32 v54, v58
.LBB42_457:
	s_or_b32 exec_lo, exec_lo, s0
	s_delay_alu instid0(VALU_DEP_1)
	v_ashrrev_i32_e32 v55, 31, v54
	s_mov_b32 s0, exec_lo
	s_wait_storecnt 0x0
	s_barrier_signal -1
	s_barrier_wait -1
	s_barrier_signal -1
	s_barrier_wait -1
	v_cmpx_gt_i32_e32 22, v54
	s_cbranch_execz .LBB42_459
; %bb.458:
	v_mul_u64_e32 v[34:35], s[10:11], v[2:3]
	v_add3_u32 v52, v57, s13, 1
	s_delay_alu instid0(VALU_DEP_2) | instskip(NEXT) | instid1(VALU_DEP_1)
	v_lshl_add_u64 v[34:35], v[34:35], 2, s[6:7]
	v_lshl_add_u64 v[34:35], s[8:9], 2, v[34:35]
	s_delay_alu instid0(VALU_DEP_1)
	v_lshl_add_u64 v[34:35], v[54:55], 2, v[34:35]
	global_store_b32 v[34:35], v52, off
.LBB42_459:
	s_wait_xcnt 0x0
	s_or_b32 exec_lo, exec_lo, s0
	s_delay_alu instid0(SALU_CYCLE_1)
	s_mov_b32 s1, exec_lo
	v_cmpx_eq_u32_e32 0, v54
	s_cbranch_execz .LBB42_462
; %bb.460:
	s_wait_kmcnt 0x0
	v_lshl_add_u64 v[2:3], v[2:3], 2, s[4:5]
	v_cmp_ne_u32_e64 s0, 0, v56
	global_load_b32 v34, v[2:3], off
	s_wait_loadcnt 0x0
	v_cmp_eq_u32_e32 vcc_lo, 0, v34
	s_and_b32 s0, vcc_lo, s0
	s_wait_xcnt 0x0
	s_and_b32 exec_lo, exec_lo, s0
	s_cbranch_execz .LBB42_462
; %bb.461:
	v_add_nc_u32_e32 v34, s13, v56
	global_store_b32 v[2:3], v34, off
.LBB42_462:
	s_wait_xcnt 0x0
	s_or_b32 exec_lo, exec_lo, s1
	v_add3_u32 v2, s2, s2, v54
	v_pk_mul_f32 v[60:61], v[50:51], v[48:49] op_sel:[1,1] op_sel_hi:[0,1]
	v_cmp_lt_i32_e32 vcc_lo, 21, v54
	v_lshl_add_u64 v[54:55], v[54:55], 3, v[0:1]
	s_delay_alu instid0(VALU_DEP_4) | instskip(NEXT) | instid1(VALU_DEP_4)
	v_add_nc_u32_e32 v34, s2, v2
	v_pk_fma_f32 v[64:65], v[50:51], v[48:49], v[60:61] op_sel_hi:[1,0,1]
	v_pk_fma_f32 v[50:51], v[50:51], v[48:49], v[60:61] neg_lo:[0,0,1] neg_hi:[0,0,1]
	global_store_b64 v[54:55], v[46:47], off
	s_wait_xcnt 0x0
	v_lshl_add_u64 v[54:55], s[2:3], 3, v[54:55]
	v_dual_cndmask_b32 v49, v49, v65 :: v_dual_add_nc_u32 v52, s2, v34
	s_delay_alu instid0(VALU_DEP_1) | instskip(NEXT) | instid1(VALU_DEP_1)
	v_dual_add_nc_u32 v56, s2, v52 :: v_dual_ashrrev_i32 v35, 31, v34
	v_dual_ashrrev_i32 v57, 31, v56 :: v_dual_add_nc_u32 v58, s2, v56
	s_delay_alu instid0(VALU_DEP_2) | instskip(NEXT) | instid1(VALU_DEP_2)
	v_lshl_add_u64 v[34:35], v[34:35], 3, v[0:1]
	v_dual_ashrrev_i32 v53, 31, v52 :: v_dual_add_nc_u32 v62, s2, v58
	s_delay_alu instid0(VALU_DEP_1) | instskip(NEXT) | instid1(VALU_DEP_2)
	v_lshl_add_u64 v[52:53], v[52:53], 3, v[0:1]
	v_add_nc_u32_e32 v60, s2, v62
	s_delay_alu instid0(VALU_DEP_1) | instskip(NEXT) | instid1(VALU_DEP_1)
	v_dual_cndmask_b32 v48, v48, v50, vcc_lo :: v_dual_add_nc_u32 v50, s2, v60
	v_dual_ashrrev_i32 v61, 31, v60 :: v_dual_add_nc_u32 v46, s2, v50
	s_delay_alu instid0(VALU_DEP_1) | instskip(SKIP_1) | instid1(VALU_DEP_1)
	v_add_nc_u32_e32 v64, s2, v46
	v_ashrrev_i32_e32 v3, 31, v2
	v_lshl_add_u64 v[2:3], v[2:3], 3, v[0:1]
	s_clause 0x3
	global_store_b64 v[54:55], v[38:39], off
	global_store_b64 v[2:3], v[40:41], off
	;; [unrolled: 1-line block ×4, first 2 shown]
	s_wait_xcnt 0x2
	v_add_nc_u32_e32 v2, s2, v64
	s_wait_xcnt 0x1
	v_lshl_add_u64 v[34:35], v[56:57], 3, v[0:1]
	v_lshl_add_u64 v[40:41], v[60:61], 3, v[0:1]
	s_wait_xcnt 0x0
	v_dual_add_nc_u32 v20, s2, v2 :: v_dual_ashrrev_i32 v3, 31, v2
	s_delay_alu instid0(VALU_DEP_1) | instskip(SKIP_2) | instid1(VALU_DEP_4)
	v_dual_ashrrev_i32 v47, 31, v46 :: v_dual_ashrrev_i32 v21, 31, v20
	v_dual_add_nc_u32 v52, s2, v20 :: v_dual_ashrrev_i32 v59, 31, v58
	v_dual_ashrrev_i32 v63, 31, v62 :: v_dual_ashrrev_i32 v65, 31, v64
	v_lshl_add_u64 v[2:3], v[2:3], 3, v[0:1]
	s_delay_alu instid0(VALU_DEP_4) | instskip(NEXT) | instid1(VALU_DEP_4)
	v_lshl_add_u64 v[20:21], v[20:21], 3, v[0:1]
	v_lshl_add_u64 v[36:37], v[58:59], 3, v[0:1]
	s_delay_alu instid0(VALU_DEP_4)
	v_lshl_add_u64 v[38:39], v[62:63], 3, v[0:1]
	s_clause 0x3
	global_store_b64 v[34:35], v[6:7], off
	global_store_b64 v[36:37], v[8:9], off
	;; [unrolled: 1-line block ×4, first 2 shown]
	s_wait_xcnt 0x1
	v_dual_add_nc_u32 v4, s2, v52 :: v_dual_ashrrev_i32 v51, 31, v50
	v_lshl_add_u64 v[34:35], v[46:47], 3, v[0:1]
	v_lshl_add_u64 v[36:37], v[64:65], 3, v[0:1]
	v_ashrrev_i32_e32 v53, 31, v52
	s_delay_alu instid0(VALU_DEP_4)
	v_add_nc_u32_e32 v6, s2, v4
	v_lshl_add_u64 v[8:9], v[50:51], 3, v[0:1]
	s_clause 0x3
	global_store_b64 v[8:9], v[26:27], off
	global_store_b64 v[34:35], v[28:29], off
	;; [unrolled: 1-line block ×4, first 2 shown]
	v_dual_add_nc_u32 v38, s2, v6 :: v_dual_ashrrev_i32 v5, 31, v4
	s_wait_xcnt 0x1
	v_lshl_add_u64 v[24:25], v[52:53], 3, v[0:1]
	s_wait_xcnt 0x0
	s_delay_alu instid0(VALU_DEP_2) | instskip(SKIP_1) | instid1(VALU_DEP_2)
	v_add_nc_u32_e32 v2, s2, v38
	v_lshl_add_u64 v[4:5], v[4:5], 3, v[0:1]
	v_dual_add_nc_u32 v8, s2, v2 :: v_dual_ashrrev_i32 v3, 31, v2
	s_delay_alu instid0(VALU_DEP_1) | instskip(SKIP_1) | instid1(VALU_DEP_2)
	v_dual_ashrrev_i32 v7, 31, v6 :: v_dual_add_nc_u32 v26, s2, v8
	v_ashrrev_i32_e32 v9, 31, v8
	v_lshl_add_u64 v[6:7], v[6:7], 3, v[0:1]
	s_clause 0x3
	global_store_b64 v[20:21], v[14:15], off
	global_store_b64 v[24:25], v[16:17], off
	;; [unrolled: 1-line block ×4, first 2 shown]
	s_wait_xcnt 0x1
	v_add_nc_u32_e32 v4, s2, v26
	v_ashrrev_i32_e32 v39, 31, v38
	v_ashrrev_i32_e32 v27, 31, v26
	v_lshl_add_u64 v[2:3], v[2:3], 3, v[0:1]
	v_lshl_add_u64 v[8:9], v[8:9], 3, v[0:1]
	v_ashrrev_i32_e32 v5, 31, v4
	s_wait_xcnt 0x0
	v_lshl_add_u64 v[6:7], v[38:39], 3, v[0:1]
	v_lshl_add_u64 v[12:13], v[26:27], 3, v[0:1]
	s_delay_alu instid0(VALU_DEP_3)
	v_lshl_add_u64 v[0:1], v[4:5], 3, v[0:1]
	s_clause 0x4
	global_store_b64 v[6:7], v[10:11], off
	global_store_b64 v[2:3], v[30:31], off
	;; [unrolled: 1-line block ×5, first 2 shown]
.LBB42_463:
	s_sendmsg sendmsg(MSG_DEALLOC_VGPRS)
	s_endpgm
	.section	.rodata,"a",@progbits
	.p2align	6, 0x0
	.amdhsa_kernel _ZN9rocsolver6v33100L18getf2_small_kernelILi22E19rocblas_complex_numIfEiiPS3_EEvT1_T3_lS5_lPS5_llPT2_S5_S5_S7_l
		.amdhsa_group_segment_fixed_size 0
		.amdhsa_private_segment_fixed_size 0
		.amdhsa_kernarg_size 352
		.amdhsa_user_sgpr_count 2
		.amdhsa_user_sgpr_dispatch_ptr 0
		.amdhsa_user_sgpr_queue_ptr 0
		.amdhsa_user_sgpr_kernarg_segment_ptr 1
		.amdhsa_user_sgpr_dispatch_id 0
		.amdhsa_user_sgpr_kernarg_preload_length 0
		.amdhsa_user_sgpr_kernarg_preload_offset 0
		.amdhsa_user_sgpr_private_segment_size 0
		.amdhsa_wavefront_size32 1
		.amdhsa_uses_dynamic_stack 0
		.amdhsa_enable_private_segment 0
		.amdhsa_system_sgpr_workgroup_id_x 1
		.amdhsa_system_sgpr_workgroup_id_y 1
		.amdhsa_system_sgpr_workgroup_id_z 0
		.amdhsa_system_sgpr_workgroup_info 0
		.amdhsa_system_vgpr_workitem_id 1
		.amdhsa_next_free_vgpr 80
		.amdhsa_next_free_sgpr 20
		.amdhsa_named_barrier_count 0
		.amdhsa_reserve_vcc 1
		.amdhsa_float_round_mode_32 0
		.amdhsa_float_round_mode_16_64 0
		.amdhsa_float_denorm_mode_32 3
		.amdhsa_float_denorm_mode_16_64 3
		.amdhsa_fp16_overflow 0
		.amdhsa_memory_ordered 1
		.amdhsa_forward_progress 1
		.amdhsa_inst_pref_size 255
		.amdhsa_round_robin_scheduling 0
		.amdhsa_exception_fp_ieee_invalid_op 0
		.amdhsa_exception_fp_denorm_src 0
		.amdhsa_exception_fp_ieee_div_zero 0
		.amdhsa_exception_fp_ieee_overflow 0
		.amdhsa_exception_fp_ieee_underflow 0
		.amdhsa_exception_fp_ieee_inexact 0
		.amdhsa_exception_int_div_zero 0
	.end_amdhsa_kernel
	.section	.text._ZN9rocsolver6v33100L18getf2_small_kernelILi22E19rocblas_complex_numIfEiiPS3_EEvT1_T3_lS5_lPS5_llPT2_S5_S5_S7_l,"axG",@progbits,_ZN9rocsolver6v33100L18getf2_small_kernelILi22E19rocblas_complex_numIfEiiPS3_EEvT1_T3_lS5_lPS5_llPT2_S5_S5_S7_l,comdat
.Lfunc_end42:
	.size	_ZN9rocsolver6v33100L18getf2_small_kernelILi22E19rocblas_complex_numIfEiiPS3_EEvT1_T3_lS5_lPS5_llPT2_S5_S5_S7_l, .Lfunc_end42-_ZN9rocsolver6v33100L18getf2_small_kernelILi22E19rocblas_complex_numIfEiiPS3_EEvT1_T3_lS5_lPS5_llPT2_S5_S5_S7_l
                                        ; -- End function
	.set _ZN9rocsolver6v33100L18getf2_small_kernelILi22E19rocblas_complex_numIfEiiPS3_EEvT1_T3_lS5_lPS5_llPT2_S5_S5_S7_l.num_vgpr, 80
	.set _ZN9rocsolver6v33100L18getf2_small_kernelILi22E19rocblas_complex_numIfEiiPS3_EEvT1_T3_lS5_lPS5_llPT2_S5_S5_S7_l.num_agpr, 0
	.set _ZN9rocsolver6v33100L18getf2_small_kernelILi22E19rocblas_complex_numIfEiiPS3_EEvT1_T3_lS5_lPS5_llPT2_S5_S5_S7_l.numbered_sgpr, 20
	.set _ZN9rocsolver6v33100L18getf2_small_kernelILi22E19rocblas_complex_numIfEiiPS3_EEvT1_T3_lS5_lPS5_llPT2_S5_S5_S7_l.num_named_barrier, 0
	.set _ZN9rocsolver6v33100L18getf2_small_kernelILi22E19rocblas_complex_numIfEiiPS3_EEvT1_T3_lS5_lPS5_llPT2_S5_S5_S7_l.private_seg_size, 0
	.set _ZN9rocsolver6v33100L18getf2_small_kernelILi22E19rocblas_complex_numIfEiiPS3_EEvT1_T3_lS5_lPS5_llPT2_S5_S5_S7_l.uses_vcc, 1
	.set _ZN9rocsolver6v33100L18getf2_small_kernelILi22E19rocblas_complex_numIfEiiPS3_EEvT1_T3_lS5_lPS5_llPT2_S5_S5_S7_l.uses_flat_scratch, 0
	.set _ZN9rocsolver6v33100L18getf2_small_kernelILi22E19rocblas_complex_numIfEiiPS3_EEvT1_T3_lS5_lPS5_llPT2_S5_S5_S7_l.has_dyn_sized_stack, 0
	.set _ZN9rocsolver6v33100L18getf2_small_kernelILi22E19rocblas_complex_numIfEiiPS3_EEvT1_T3_lS5_lPS5_llPT2_S5_S5_S7_l.has_recursion, 0
	.set _ZN9rocsolver6v33100L18getf2_small_kernelILi22E19rocblas_complex_numIfEiiPS3_EEvT1_T3_lS5_lPS5_llPT2_S5_S5_S7_l.has_indirect_call, 0
	.section	.AMDGPU.csdata,"",@progbits
; Kernel info:
; codeLenInByte = 35904
; TotalNumSgprs: 22
; NumVgprs: 80
; ScratchSize: 0
; MemoryBound: 0
; FloatMode: 240
; IeeeMode: 1
; LDSByteSize: 0 bytes/workgroup (compile time only)
; SGPRBlocks: 0
; VGPRBlocks: 4
; NumSGPRsForWavesPerEU: 22
; NumVGPRsForWavesPerEU: 80
; NamedBarCnt: 0
; Occupancy: 12
; WaveLimiterHint : 0
; COMPUTE_PGM_RSRC2:SCRATCH_EN: 0
; COMPUTE_PGM_RSRC2:USER_SGPR: 2
; COMPUTE_PGM_RSRC2:TRAP_HANDLER: 0
; COMPUTE_PGM_RSRC2:TGID_X_EN: 1
; COMPUTE_PGM_RSRC2:TGID_Y_EN: 1
; COMPUTE_PGM_RSRC2:TGID_Z_EN: 0
; COMPUTE_PGM_RSRC2:TIDIG_COMP_CNT: 1
	.section	.text._ZN9rocsolver6v33100L23getf2_npvt_small_kernelILi22E19rocblas_complex_numIfEiiPS3_EEvT1_T3_lS5_lPT2_S5_S5_,"axG",@progbits,_ZN9rocsolver6v33100L23getf2_npvt_small_kernelILi22E19rocblas_complex_numIfEiiPS3_EEvT1_T3_lS5_lPT2_S5_S5_,comdat
	.globl	_ZN9rocsolver6v33100L23getf2_npvt_small_kernelILi22E19rocblas_complex_numIfEiiPS3_EEvT1_T3_lS5_lPT2_S5_S5_ ; -- Begin function _ZN9rocsolver6v33100L23getf2_npvt_small_kernelILi22E19rocblas_complex_numIfEiiPS3_EEvT1_T3_lS5_lPT2_S5_S5_
	.p2align	8
	.type	_ZN9rocsolver6v33100L23getf2_npvt_small_kernelILi22E19rocblas_complex_numIfEiiPS3_EEvT1_T3_lS5_lPT2_S5_S5_,@function
_ZN9rocsolver6v33100L23getf2_npvt_small_kernelILi22E19rocblas_complex_numIfEiiPS3_EEvT1_T3_lS5_lPT2_S5_S5_: ; @_ZN9rocsolver6v33100L23getf2_npvt_small_kernelILi22E19rocblas_complex_numIfEiiPS3_EEvT1_T3_lS5_lPT2_S5_S5_
; %bb.0:
	s_clause 0x1
	s_load_u16 s14, s[0:1], 0x46
	s_load_b64 s[2:3], s[0:1], 0x30
	s_bfe_u32 s4, ttmp6, 0x40010
	s_bfe_u32 s5, ttmp6, 0x40004
	s_add_co_i32 s4, s4, 1
	s_getreg_b32 s6, hwreg(HW_REG_IB_STS2, 6, 4)
	s_mul_i32 s4, ttmp7, s4
	v_bfe_u32 v90, v0, 10, 10
	s_add_co_i32 s5, s5, s4
	s_cmp_eq_u32 s6, 0
	s_cselect_b32 s4, ttmp7, s5
	s_wait_kmcnt 0x0
	v_mad_u32 v2, s4, s14, v90
	s_delay_alu instid0(VALU_DEP_1)
	v_cmp_gt_i32_e32 vcc_lo, s2, v2
	s_and_saveexec_b32 s2, vcc_lo
	s_cbranch_execz .LBB43_201
; %bb.1:
	s_clause 0x1
	s_load_b32 s12, s[0:1], 0x18
	s_load_b128 s[4:7], s[0:1], 0x20
	v_and_b32_e32 v134, 0x3ff, v0
	s_load_b128 s[8:11], s[0:1], 0x8
	v_lshlrev_b32_e32 v91, 3, v90
	s_mulk_i32 s14, 0xb0
	v_mad_u32_u24 v136, 0xb0, v90, 0
	s_wait_xcnt 0x0
	v_cmp_ne_u32_e64 s1, 0, v134
	v_cmp_eq_u32_e64 s0, 0, v134
	v_add3_u32 v135, 0, s14, v91
	v_dual_ashrrev_i32 v3, 31, v2 :: v_dual_mov_b32 v11, 0
	v_lshlrev_b32_e32 v10, 3, v134
	s_wait_kmcnt 0x0
	v_add3_u32 v0, s12, s12, v134
	s_delay_alu instid0(VALU_DEP_3) | instskip(SKIP_1) | instid1(VALU_DEP_2)
	v_mul_u64_e32 v[8:9], s[4:5], v[2:3]
	s_ashr_i32 s13, s12, 31
	v_dual_add_nc_u32 v4, s12, v0 :: v_dual_ashrrev_i32 v1, 31, v0
	s_delay_alu instid0(VALU_DEP_1) | instskip(NEXT) | instid1(VALU_DEP_1)
	v_add_nc_u32_e32 v6, s12, v4
	v_add_nc_u32_e32 v12, s12, v6
	s_delay_alu instid0(VALU_DEP_1) | instskip(NEXT) | instid1(VALU_DEP_1)
	v_add_nc_u32_e32 v14, s12, v12
	v_dual_add_nc_u32 v16, s12, v14 :: v_dual_ashrrev_i32 v5, 31, v4
	v_ashrrev_i32_e32 v7, 31, v6
	s_delay_alu instid0(VALU_DEP_2) | instskip(SKIP_1) | instid1(VALU_DEP_2)
	v_dual_ashrrev_i32 v15, 31, v14 :: v_dual_add_nc_u32 v20, s12, v16
	v_lshl_add_u64 v[8:9], v[8:9], 3, s[8:9]
	v_add_nc_u32_e32 v22, s12, v20
	v_ashrrev_i32_e32 v13, 31, v12
	s_delay_alu instid0(VALU_DEP_3) | instskip(NEXT) | instid1(VALU_DEP_3)
	v_lshl_add_u64 v[60:61], s[10:11], 3, v[8:9]
	v_dual_add_nc_u32 v28, s12, v22 :: v_dual_ashrrev_i32 v23, 31, v22
	s_delay_alu instid0(VALU_DEP_2) | instskip(SKIP_1) | instid1(VALU_DEP_3)
	v_add_nc_u64_e32 v[18:19], v[60:61], v[10:11]
	v_lshl_add_u64 v[10:11], v[6:7], 3, v[60:61]
	v_add_nc_u32_e32 v32, s12, v28
	v_lshl_add_u64 v[6:7], v[14:15], 3, v[60:61]
	v_lshl_add_u64 v[8:9], v[4:5], 3, v[60:61]
	;; [unrolled: 1-line block ×4, first 2 shown]
	v_add_nc_u32_e32 v34, s12, v32
	v_ashrrev_i32_e32 v17, 31, v16
	v_lshl_add_u64 v[30:31], s[12:13], 3, v[18:19]
	s_delay_alu instid0(VALU_DEP_3) | instskip(NEXT) | instid1(VALU_DEP_3)
	v_add_nc_u32_e32 v44, s12, v34
	v_lshl_add_u64 v[12:13], v[16:17], 3, v[60:61]
	v_lshl_add_u64 v[16:17], v[22:23], 3, v[60:61]
	s_delay_alu instid0(VALU_DEP_3) | instskip(NEXT) | instid1(VALU_DEP_1)
	v_add_nc_u32_e32 v50, s12, v44
	v_dual_add_nc_u32 v52, s12, v50 :: v_dual_ashrrev_i32 v21, 31, v20
	s_delay_alu instid0(VALU_DEP_1) | instskip(NEXT) | instid1(VALU_DEP_2)
	v_dual_ashrrev_i32 v35, 31, v34 :: v_dual_add_nc_u32 v54, s12, v52
	v_lshl_add_u64 v[14:15], v[20:21], 3, v[60:61]
	s_delay_alu instid0(VALU_DEP_2)
	v_lshl_add_u64 v[34:35], v[34:35], 3, v[60:61]
	s_clause 0x7
	global_load_b64 v[26:27], v[10:11], off
	global_load_b64 v[22:23], v[4:5], off
	;; [unrolled: 1-line block ×8, first 2 shown]
	v_dual_add_nc_u32 v70, s12, v54 :: v_dual_ashrrev_i32 v29, 31, v28
	v_dual_ashrrev_i32 v51, 31, v50 :: v_dual_ashrrev_i32 v33, 31, v32
	v_ashrrev_i32_e32 v55, 31, v54
	s_delay_alu instid0(VALU_DEP_3) | instskip(NEXT) | instid1(VALU_DEP_4)
	v_add_nc_u32_e32 v72, s12, v70
	v_lshl_add_u64 v[28:29], v[28:29], 3, v[60:61]
	s_delay_alu instid0(VALU_DEP_4)
	v_lshl_add_u64 v[50:51], v[50:51], 3, v[60:61]
	v_lshl_add_u64 v[32:33], v[32:33], 3, v[60:61]
	;; [unrolled: 1-line block ×3, first 2 shown]
	v_dual_add_nc_u32 v74, s12, v72 :: v_dual_ashrrev_i32 v71, 31, v70
	v_ashrrev_i32_e32 v45, 31, v44
	v_ashrrev_i32_e32 v53, 31, v52
	s_clause 0x3
	global_load_b64 v[42:43], v[14:15], off
	global_load_b64 v[38:39], v[16:17], off
	;; [unrolled: 1-line block ×4, first 2 shown]
	v_dual_add_nc_u32 v76, s12, v74 :: v_dual_ashrrev_i32 v75, 31, v74
	v_lshl_add_u64 v[44:45], v[44:45], 3, v[60:61]
	v_lshl_add_u64 v[70:71], v[70:71], 3, v[60:61]
	;; [unrolled: 1-line block ×3, first 2 shown]
	s_delay_alu instid0(VALU_DEP_4)
	v_dual_add_nc_u32 v78, s12, v76 :: v_dual_ashrrev_i32 v77, 31, v76
	v_ashrrev_i32_e32 v73, 31, v72
	v_lshl_add_u64 v[74:75], v[74:75], 3, v[60:61]
	s_clause 0x3
	global_load_b64 v[68:69], v[34:35], off
	global_load_b64 v[64:65], v[44:45], off
	;; [unrolled: 1-line block ×4, first 2 shown]
	v_ashrrev_i32_e32 v79, 31, v78
	v_lshl_add_u64 v[76:77], v[76:77], 3, v[60:61]
	v_lshl_add_u64 v[72:73], v[72:73], 3, v[60:61]
	s_delay_alu instid0(VALU_DEP_3)
	v_lshl_add_u64 v[60:61], v[78:79], 3, v[60:61]
	s_clause 0x5
	global_load_b64 v[82:83], v[54:55], off
	global_load_b64 v[78:79], v[70:71], off
	global_load_b64 v[80:81], v[72:73], off
	global_load_b64 v[86:87], v[74:75], off
	global_load_b64 v[84:85], v[76:77], off
	global_load_b64 v[88:89], v[60:61], off
	s_wait_xcnt 0x0
	s_and_saveexec_b32 s4, s0
	s_cbranch_execz .LBB43_8
; %bb.2:
	s_wait_loadcnt 0x11
	ds_store_b64 v135, v[56:57]
	s_wait_loadcnt 0xf
	ds_store_2addr_b64 v136, v[58:59], v[48:49] offset0:1 offset1:2
	s_wait_loadcnt 0xe
	ds_store_2addr_b64 v136, v[46:47], v[26:27] offset0:3 offset1:4
	ds_store_2addr_b64 v136, v[22:23], v[24:25] offset0:5 offset1:6
	s_wait_loadcnt 0xd
	ds_store_2addr_b64 v136, v[20:21], v[42:43] offset0:7 offset1:8
	s_wait_loadcnt 0xb
	;; [unrolled: 2-line block ×8, first 2 shown]
	ds_store_b64 v136, v[88:89] offset:168
	ds_load_b64 v[90:91], v135
	s_wait_dscnt 0x0
	v_cmp_neq_f32_e32 vcc_lo, 0, v90
	v_cmp_neq_f32_e64 s2, 0, v91
	s_or_b32 s2, vcc_lo, s2
	s_delay_alu instid0(SALU_CYCLE_1)
	s_and_b32 exec_lo, exec_lo, s2
	s_cbranch_execz .LBB43_8
; %bb.3:
	v_cmp_ngt_f32_e64 s2, |v90|, |v91|
                                        ; implicit-def: $vgpr92_vgpr93
	s_and_saveexec_b32 s5, s2
	s_delay_alu instid0(SALU_CYCLE_1)
	s_xor_b32 s2, exec_lo, s5
	s_cbranch_execz .LBB43_5
; %bb.4:
	v_div_scale_f32 v92, null, v91, v91, v90
	v_div_scale_f32 v95, vcc_lo, v90, v91, v90
	s_delay_alu instid0(VALU_DEP_2) | instskip(SKIP_1) | instid1(TRANS32_DEP_1)
	v_rcp_f32_e32 v93, v92
	v_nop
	v_fma_f32 v94, -v92, v93, 1.0
	s_delay_alu instid0(VALU_DEP_1) | instskip(NEXT) | instid1(VALU_DEP_1)
	v_fmac_f32_e32 v93, v94, v93
	v_mul_f32_e32 v94, v95, v93
	s_delay_alu instid0(VALU_DEP_1) | instskip(NEXT) | instid1(VALU_DEP_1)
	v_fma_f32 v96, -v92, v94, v95
	v_fmac_f32_e32 v94, v96, v93
	s_delay_alu instid0(VALU_DEP_1) | instskip(NEXT) | instid1(VALU_DEP_1)
	v_fma_f32 v92, -v92, v94, v95
	v_div_fmas_f32 v92, v92, v93, v94
	s_delay_alu instid0(VALU_DEP_1) | instskip(NEXT) | instid1(VALU_DEP_1)
	v_div_fixup_f32 v92, v92, v91, v90
	v_fmac_f32_e32 v91, v90, v92
	s_delay_alu instid0(VALU_DEP_1) | instskip(SKIP_1) | instid1(VALU_DEP_2)
	v_div_scale_f32 v90, null, v91, v91, 1.0
	v_div_scale_f32 v95, vcc_lo, 1.0, v91, 1.0
	v_rcp_f32_e32 v93, v90
	v_nop
	s_delay_alu instid0(TRANS32_DEP_1) | instskip(NEXT) | instid1(VALU_DEP_1)
	v_fma_f32 v94, -v90, v93, 1.0
	v_fmac_f32_e32 v93, v94, v93
	s_delay_alu instid0(VALU_DEP_1) | instskip(NEXT) | instid1(VALU_DEP_1)
	v_mul_f32_e32 v94, v95, v93
	v_fma_f32 v96, -v90, v94, v95
	s_delay_alu instid0(VALU_DEP_1) | instskip(NEXT) | instid1(VALU_DEP_1)
	v_fmac_f32_e32 v94, v96, v93
	v_fma_f32 v90, -v90, v94, v95
	s_delay_alu instid0(VALU_DEP_1) | instskip(NEXT) | instid1(VALU_DEP_1)
	v_div_fmas_f32 v90, v90, v93, v94
	v_div_fixup_f32 v90, v90, v91, 1.0
	s_delay_alu instid0(VALU_DEP_1)
	v_mul_f32_e32 v92, v92, v90
	v_xor_b32_e32 v93, 0x80000000, v90
                                        ; implicit-def: $vgpr90_vgpr91
.LBB43_5:
	s_and_not1_saveexec_b32 s2, s2
	s_cbranch_execz .LBB43_7
; %bb.6:
	v_div_scale_f32 v92, null, v90, v90, v91
	v_div_scale_f32 v95, vcc_lo, v91, v90, v91
	s_delay_alu instid0(VALU_DEP_2) | instskip(SKIP_1) | instid1(TRANS32_DEP_1)
	v_rcp_f32_e32 v93, v92
	v_nop
	v_fma_f32 v94, -v92, v93, 1.0
	s_delay_alu instid0(VALU_DEP_1) | instskip(NEXT) | instid1(VALU_DEP_1)
	v_fmac_f32_e32 v93, v94, v93
	v_mul_f32_e32 v94, v95, v93
	s_delay_alu instid0(VALU_DEP_1) | instskip(NEXT) | instid1(VALU_DEP_1)
	v_fma_f32 v96, -v92, v94, v95
	v_fmac_f32_e32 v94, v96, v93
	s_delay_alu instid0(VALU_DEP_1) | instskip(NEXT) | instid1(VALU_DEP_1)
	v_fma_f32 v92, -v92, v94, v95
	v_div_fmas_f32 v92, v92, v93, v94
	s_delay_alu instid0(VALU_DEP_1) | instskip(NEXT) | instid1(VALU_DEP_1)
	v_div_fixup_f32 v93, v92, v90, v91
	v_fmac_f32_e32 v90, v91, v93
	s_delay_alu instid0(VALU_DEP_1) | instskip(NEXT) | instid1(VALU_DEP_1)
	v_div_scale_f32 v91, null, v90, v90, 1.0
	v_rcp_f32_e32 v92, v91
	v_nop
	s_delay_alu instid0(TRANS32_DEP_1) | instskip(NEXT) | instid1(VALU_DEP_1)
	v_fma_f32 v94, -v91, v92, 1.0
	v_fmac_f32_e32 v92, v94, v92
	v_div_scale_f32 v94, vcc_lo, 1.0, v90, 1.0
	s_delay_alu instid0(VALU_DEP_1) | instskip(NEXT) | instid1(VALU_DEP_1)
	v_mul_f32_e32 v95, v94, v92
	v_fma_f32 v96, -v91, v95, v94
	s_delay_alu instid0(VALU_DEP_1) | instskip(NEXT) | instid1(VALU_DEP_1)
	v_fmac_f32_e32 v95, v96, v92
	v_fma_f32 v91, -v91, v95, v94
	s_delay_alu instid0(VALU_DEP_1) | instskip(NEXT) | instid1(VALU_DEP_1)
	v_div_fmas_f32 v91, v91, v92, v95
	v_div_fixup_f32 v92, v91, v90, 1.0
	s_delay_alu instid0(VALU_DEP_1)
	v_mul_f32_e64 v93, v93, -v92
.LBB43_7:
	s_or_b32 exec_lo, exec_lo, s2
	ds_store_b64 v135, v[92:93]
.LBB43_8:
	s_or_b32 exec_lo, exec_lo, s4
	s_wait_loadcnt_dscnt 0x0
	s_barrier_signal -1
	s_barrier_wait -1
	ds_load_b64 v[90:91], v135
	s_and_saveexec_b32 s2, s1
	s_cbranch_execz .LBB43_10
; %bb.9:
	ds_load_2addr_b64 v[96:99], v136 offset0:1 offset1:2
	s_wait_dscnt 0x1
	v_pk_mul_f32 v[94:95], v[90:91], v[56:57] op_sel:[1,1] op_sel_hi:[0,1]
	s_delay_alu instid0(VALU_DEP_1) | instskip(SKIP_1) | instid1(VALU_DEP_1)
	v_pk_fma_f32 v[92:93], v[90:91], v[56:57], v[94:95] op_sel_hi:[1,0,1] neg_lo:[0,0,1] neg_hi:[0,0,1]
	v_pk_fma_f32 v[94:95], v[90:91], v[56:57], v[94:95] op_sel_hi:[1,0,1]
	v_dual_mov_b32 v56, v92 :: v_dual_mov_b32 v57, v95
	s_wait_dscnt 0x0
	s_delay_alu instid0(VALU_DEP_2) | instskip(NEXT) | instid1(VALU_DEP_1)
	v_pk_mul_f32 v[100:101], v[96:97], v[94:95] op_sel:[0,1]
	v_pk_fma_f32 v[102:103], v[96:97], v[92:93], v[100:101] op_sel:[0,0,1] op_sel_hi:[1,1,0] neg_lo:[0,0,1] neg_hi:[0,0,1]
	v_pk_fma_f32 v[96:97], v[96:97], v[92:93], v[100:101] op_sel:[0,0,1] op_sel_hi:[1,0,0]
	s_delay_alu instid0(VALU_DEP_1) | instskip(SKIP_1) | instid1(VALU_DEP_1)
	v_mov_b32_e32 v103, v97
	v_pk_mul_f32 v[96:97], v[98:99], v[94:95] op_sel:[0,1]
	v_pk_fma_f32 v[100:101], v[98:99], v[92:93], v[96:97] op_sel:[0,0,1] op_sel_hi:[1,1,0] neg_lo:[0,0,1] neg_hi:[0,0,1]
	v_pk_fma_f32 v[96:97], v[98:99], v[92:93], v[96:97] op_sel:[0,0,1] op_sel_hi:[1,0,0]
	s_delay_alu instid0(VALU_DEP_1)
	v_mov_b32_e32 v101, v97
	ds_load_2addr_b64 v[96:99], v136 offset0:3 offset1:4
	v_pk_add_f32 v[58:59], v[58:59], v[102:103] neg_lo:[0,1] neg_hi:[0,1]
	v_pk_add_f32 v[48:49], v[48:49], v[100:101] neg_lo:[0,1] neg_hi:[0,1]
	s_wait_dscnt 0x0
	v_pk_mul_f32 v[100:101], v[96:97], v[94:95] op_sel:[0,1]
	s_delay_alu instid0(VALU_DEP_1) | instskip(SKIP_2) | instid1(VALU_DEP_2)
	v_pk_fma_f32 v[102:103], v[96:97], v[92:93], v[100:101] op_sel:[0,0,1] op_sel_hi:[1,1,0] neg_lo:[0,0,1] neg_hi:[0,0,1]
	v_pk_fma_f32 v[96:97], v[96:97], v[92:93], v[100:101] op_sel:[0,0,1] op_sel_hi:[1,0,0]
	v_dual_mul_f32 v100, v99, v95 :: v_dual_mov_b32 v96, v99
	v_dual_mov_b32 v103, v97 :: v_dual_mov_b32 v97, v98
	s_delay_alu instid0(VALU_DEP_2) | instskip(SKIP_1) | instid1(VALU_DEP_3)
	v_pk_fma_f32 v[100:101], v[98:99], v[56:57], v[100:101] op_sel_hi:[1,1,0] neg_lo:[0,0,1] neg_hi:[0,0,1]
	v_mul_f32_e32 v98, v99, v92
	v_pk_add_f32 v[46:47], v[46:47], v[102:103] neg_lo:[0,1] neg_hi:[0,1]
	s_delay_alu instid0(VALU_DEP_2) | instskip(NEXT) | instid1(VALU_DEP_1)
	v_pk_fma_f32 v[96:97], v[96:97], v[56:57], v[98:99] op_sel_hi:[1,1,0]
	v_mov_b32_e32 v101, v97
	ds_load_2addr_b64 v[96:99], v136 offset0:5 offset1:6
	v_pk_add_f32 v[26:27], v[26:27], v[100:101] neg_lo:[0,1] neg_hi:[0,1]
	s_wait_dscnt 0x0
	v_pk_mul_f32 v[100:101], v[96:97], v[94:95] op_sel:[0,1]
	s_delay_alu instid0(VALU_DEP_1) | instskip(SKIP_1) | instid1(VALU_DEP_1)
	v_pk_fma_f32 v[102:103], v[96:97], v[92:93], v[100:101] op_sel:[0,0,1] op_sel_hi:[1,1,0] neg_lo:[0,0,1] neg_hi:[0,0,1]
	v_pk_fma_f32 v[96:97], v[96:97], v[92:93], v[100:101] op_sel:[0,0,1] op_sel_hi:[1,0,0]
	v_mov_b32_e32 v103, v97
	v_pk_mul_f32 v[96:97], v[98:99], v[94:95] op_sel:[0,1]
	s_delay_alu instid0(VALU_DEP_1) | instskip(SKIP_1) | instid1(VALU_DEP_1)
	v_pk_fma_f32 v[100:101], v[98:99], v[92:93], v[96:97] op_sel:[0,0,1] op_sel_hi:[1,1,0] neg_lo:[0,0,1] neg_hi:[0,0,1]
	v_pk_fma_f32 v[96:97], v[98:99], v[92:93], v[96:97] op_sel:[0,0,1] op_sel_hi:[1,0,0]
	v_mov_b32_e32 v101, v97
	ds_load_2addr_b64 v[96:99], v136 offset0:7 offset1:8
	v_pk_add_f32 v[22:23], v[22:23], v[102:103] neg_lo:[0,1] neg_hi:[0,1]
	v_pk_add_f32 v[24:25], v[24:25], v[100:101] neg_lo:[0,1] neg_hi:[0,1]
	s_wait_dscnt 0x0
	v_pk_mul_f32 v[100:101], v[96:97], v[94:95] op_sel:[0,1]
	s_delay_alu instid0(VALU_DEP_1) | instskip(SKIP_1) | instid1(VALU_DEP_1)
	v_pk_fma_f32 v[102:103], v[96:97], v[92:93], v[100:101] op_sel:[0,0,1] op_sel_hi:[1,1,0] neg_lo:[0,0,1] neg_hi:[0,0,1]
	v_pk_fma_f32 v[96:97], v[96:97], v[92:93], v[100:101] op_sel:[0,0,1] op_sel_hi:[1,0,0]
	v_mov_b32_e32 v103, v97
	v_pk_mul_f32 v[96:97], v[98:99], v[94:95] op_sel:[0,1]
	s_delay_alu instid0(VALU_DEP_1) | instskip(SKIP_1) | instid1(VALU_DEP_1)
	v_pk_fma_f32 v[100:101], v[98:99], v[92:93], v[96:97] op_sel:[0,0,1] op_sel_hi:[1,1,0] neg_lo:[0,0,1] neg_hi:[0,0,1]
	v_pk_fma_f32 v[96:97], v[98:99], v[92:93], v[96:97] op_sel:[0,0,1] op_sel_hi:[1,0,0]
	v_mov_b32_e32 v101, v97
	ds_load_2addr_b64 v[96:99], v136 offset0:9 offset1:10
	v_pk_add_f32 v[20:21], v[20:21], v[102:103] neg_lo:[0,1] neg_hi:[0,1]
	v_pk_add_f32 v[42:43], v[42:43], v[100:101] neg_lo:[0,1] neg_hi:[0,1]
	s_wait_dscnt 0x0
	v_dual_mul_f32 v100, v97, v95 :: v_dual_mul_f32 v102, v97, v92
	s_delay_alu instid0(VALU_DEP_1) | instskip(NEXT) | instid1(VALU_DEP_2)
	v_pk_fma_f32 v[100:101], v[96:97], v[56:57], v[100:101] op_sel_hi:[1,1,0] neg_lo:[0,0,1] neg_hi:[0,0,1]
	v_pk_fma_f32 v[96:97], v[96:97], v[56:57], v[102:103] op_sel:[1,0,0] op_sel_hi:[0,1,0]
	s_delay_alu instid0(VALU_DEP_1) | instskip(SKIP_1) | instid1(VALU_DEP_2)
	v_mov_b32_e32 v101, v97
	v_pk_mul_f32 v[96:97], v[98:99], v[94:95] op_sel:[0,1]
	v_pk_add_f32 v[38:39], v[38:39], v[100:101] neg_lo:[0,1] neg_hi:[0,1]
	s_delay_alu instid0(VALU_DEP_2) | instskip(SKIP_1) | instid1(VALU_DEP_1)
	v_pk_fma_f32 v[100:101], v[98:99], v[92:93], v[96:97] op_sel:[0,0,1] op_sel_hi:[1,1,0] neg_lo:[0,0,1] neg_hi:[0,0,1]
	v_pk_fma_f32 v[96:97], v[98:99], v[92:93], v[96:97] op_sel:[0,0,1] op_sel_hi:[1,0,0]
	v_mov_b32_e32 v101, v97
	ds_load_2addr_b64 v[96:99], v136 offset0:11 offset1:12
	v_pk_add_f32 v[40:41], v[40:41], v[100:101] neg_lo:[0,1] neg_hi:[0,1]
	s_wait_dscnt 0x0
	v_pk_mul_f32 v[100:101], v[96:97], v[94:95] op_sel:[0,1]
	s_delay_alu instid0(VALU_DEP_1) | instskip(SKIP_1) | instid1(VALU_DEP_1)
	v_pk_fma_f32 v[102:103], v[96:97], v[92:93], v[100:101] op_sel:[0,0,1] op_sel_hi:[1,1,0] neg_lo:[0,0,1] neg_hi:[0,0,1]
	v_pk_fma_f32 v[96:97], v[96:97], v[92:93], v[100:101] op_sel:[0,0,1] op_sel_hi:[1,0,0]
	v_mov_b32_e32 v103, v97
	v_pk_mul_f32 v[96:97], v[98:99], v[94:95] op_sel:[0,1]
	s_delay_alu instid0(VALU_DEP_2) | instskip(NEXT) | instid1(VALU_DEP_2)
	v_pk_add_f32 v[36:37], v[36:37], v[102:103] neg_lo:[0,1] neg_hi:[0,1]
	v_pk_fma_f32 v[100:101], v[98:99], v[92:93], v[96:97] op_sel:[0,0,1] op_sel_hi:[1,1,0] neg_lo:[0,0,1] neg_hi:[0,0,1]
	v_pk_fma_f32 v[96:97], v[98:99], v[92:93], v[96:97] op_sel:[0,0,1] op_sel_hi:[1,0,0]
	s_delay_alu instid0(VALU_DEP_1) | instskip(SKIP_4) | instid1(VALU_DEP_1)
	v_mov_b32_e32 v101, v97
	ds_load_2addr_b64 v[96:99], v136 offset0:13 offset1:14
	v_pk_add_f32 v[68:69], v[68:69], v[100:101] neg_lo:[0,1] neg_hi:[0,1]
	s_wait_dscnt 0x0
	v_pk_mul_f32 v[100:101], v[96:97], v[94:95] op_sel:[0,1]
	v_pk_fma_f32 v[102:103], v[96:97], v[92:93], v[100:101] op_sel:[0,0,1] op_sel_hi:[1,1,0] neg_lo:[0,0,1] neg_hi:[0,0,1]
	v_pk_fma_f32 v[96:97], v[96:97], v[92:93], v[100:101] op_sel:[0,0,1] op_sel_hi:[1,0,0]
	v_dual_mul_f32 v100, v99, v95 :: v_dual_mov_b32 v96, v99
	s_delay_alu instid0(VALU_DEP_2) | instskip(NEXT) | instid1(VALU_DEP_2)
	v_dual_mov_b32 v103, v97 :: v_dual_mov_b32 v97, v98
	v_pk_fma_f32 v[100:101], v[98:99], v[56:57], v[100:101] op_sel_hi:[1,1,0] neg_lo:[0,0,1] neg_hi:[0,0,1]
	v_mul_f32_e32 v98, v99, v92
	s_delay_alu instid0(VALU_DEP_3) | instskip(NEXT) | instid1(VALU_DEP_2)
	v_pk_add_f32 v[64:65], v[64:65], v[102:103] neg_lo:[0,1] neg_hi:[0,1]
	v_pk_fma_f32 v[96:97], v[96:97], v[56:57], v[98:99] op_sel_hi:[1,1,0]
	s_delay_alu instid0(VALU_DEP_1) | instskip(SKIP_4) | instid1(VALU_DEP_1)
	v_mov_b32_e32 v101, v97
	ds_load_2addr_b64 v[96:99], v136 offset0:15 offset1:16
	v_pk_add_f32 v[66:67], v[66:67], v[100:101] neg_lo:[0,1] neg_hi:[0,1]
	s_wait_dscnt 0x0
	v_pk_mul_f32 v[100:101], v[96:97], v[94:95] op_sel:[0,1]
	v_pk_fma_f32 v[102:103], v[96:97], v[92:93], v[100:101] op_sel:[0,0,1] op_sel_hi:[1,1,0] neg_lo:[0,0,1] neg_hi:[0,0,1]
	v_pk_fma_f32 v[96:97], v[96:97], v[92:93], v[100:101] op_sel:[0,0,1] op_sel_hi:[1,0,0]
	s_delay_alu instid0(VALU_DEP_1) | instskip(SKIP_1) | instid1(VALU_DEP_1)
	v_mov_b32_e32 v103, v97
	v_pk_mul_f32 v[96:97], v[98:99], v[94:95] op_sel:[0,1]
	v_pk_fma_f32 v[100:101], v[98:99], v[92:93], v[96:97] op_sel:[0,0,1] op_sel_hi:[1,1,0] neg_lo:[0,0,1] neg_hi:[0,0,1]
	v_pk_fma_f32 v[96:97], v[98:99], v[92:93], v[96:97] op_sel:[0,0,1] op_sel_hi:[1,0,0]
	s_delay_alu instid0(VALU_DEP_1)
	v_mov_b32_e32 v101, v97
	ds_load_2addr_b64 v[96:99], v136 offset0:17 offset1:18
	v_pk_add_f32 v[62:63], v[62:63], v[102:103] neg_lo:[0,1] neg_hi:[0,1]
	v_pk_add_f32 v[82:83], v[82:83], v[100:101] neg_lo:[0,1] neg_hi:[0,1]
	s_wait_dscnt 0x0
	v_pk_mul_f32 v[100:101], v[96:97], v[94:95] op_sel:[0,1]
	s_delay_alu instid0(VALU_DEP_1) | instskip(SKIP_1) | instid1(VALU_DEP_1)
	v_pk_fma_f32 v[102:103], v[96:97], v[92:93], v[100:101] op_sel:[0,0,1] op_sel_hi:[1,1,0] neg_lo:[0,0,1] neg_hi:[0,0,1]
	v_pk_fma_f32 v[96:97], v[96:97], v[92:93], v[100:101] op_sel:[0,0,1] op_sel_hi:[1,0,0]
	v_mov_b32_e32 v103, v97
	v_pk_mul_f32 v[96:97], v[98:99], v[94:95] op_sel:[0,1]
	s_delay_alu instid0(VALU_DEP_1) | instskip(SKIP_1) | instid1(VALU_DEP_1)
	v_pk_fma_f32 v[100:101], v[98:99], v[92:93], v[96:97] op_sel:[0,0,1] op_sel_hi:[1,1,0] neg_lo:[0,0,1] neg_hi:[0,0,1]
	v_pk_fma_f32 v[96:97], v[98:99], v[92:93], v[96:97] op_sel:[0,0,1] op_sel_hi:[1,0,0]
	v_mov_b32_e32 v101, v97
	ds_load_2addr_b64 v[96:99], v136 offset0:19 offset1:20
	v_pk_add_f32 v[78:79], v[78:79], v[102:103] neg_lo:[0,1] neg_hi:[0,1]
	v_pk_add_f32 v[80:81], v[80:81], v[100:101] neg_lo:[0,1] neg_hi:[0,1]
	s_wait_dscnt 0x0
	v_dual_mul_f32 v100, v97, v95 :: v_dual_mul_f32 v102, v97, v92
	s_delay_alu instid0(VALU_DEP_1) | instskip(NEXT) | instid1(VALU_DEP_2)
	v_pk_fma_f32 v[100:101], v[96:97], v[56:57], v[100:101] op_sel_hi:[1,1,0] neg_lo:[0,0,1] neg_hi:[0,0,1]
	v_pk_fma_f32 v[96:97], v[96:97], v[56:57], v[102:103] op_sel:[1,0,0] op_sel_hi:[0,1,0]
	s_delay_alu instid0(VALU_DEP_1) | instskip(SKIP_1) | instid1(VALU_DEP_2)
	v_mov_b32_e32 v101, v97
	v_pk_mul_f32 v[96:97], v[98:99], v[94:95] op_sel:[0,1]
	v_pk_add_f32 v[86:87], v[86:87], v[100:101] neg_lo:[0,1] neg_hi:[0,1]
	s_delay_alu instid0(VALU_DEP_2) | instskip(SKIP_1) | instid1(VALU_DEP_1)
	v_pk_fma_f32 v[100:101], v[98:99], v[92:93], v[96:97] op_sel:[0,0,1] op_sel_hi:[1,1,0] neg_lo:[0,0,1] neg_hi:[0,0,1]
	v_pk_fma_f32 v[96:97], v[98:99], v[92:93], v[96:97] op_sel:[0,0,1] op_sel_hi:[1,0,0]
	v_mov_b32_e32 v101, v97
	ds_load_b64 v[96:97], v136 offset:168
	v_pk_add_f32 v[84:85], v[84:85], v[100:101] neg_lo:[0,1] neg_hi:[0,1]
	s_wait_dscnt 0x0
	v_pk_mul_f32 v[94:95], v[96:97], v[94:95] op_sel:[0,1]
	s_delay_alu instid0(VALU_DEP_1) | instskip(SKIP_1) | instid1(VALU_DEP_1)
	v_pk_fma_f32 v[98:99], v[96:97], v[92:93], v[94:95] op_sel:[0,0,1] op_sel_hi:[1,1,0] neg_lo:[0,0,1] neg_hi:[0,0,1]
	v_pk_fma_f32 v[92:93], v[96:97], v[92:93], v[94:95] op_sel:[0,0,1] op_sel_hi:[1,0,0]
	v_mov_b32_e32 v99, v93
	s_delay_alu instid0(VALU_DEP_1)
	v_pk_add_f32 v[88:89], v[88:89], v[98:99] neg_lo:[0,1] neg_hi:[0,1]
.LBB43_10:
	s_or_b32 exec_lo, exec_lo, s2
	s_delay_alu instid0(SALU_CYCLE_1)
	s_mov_b32 s2, exec_lo
	s_wait_dscnt 0x0
	s_barrier_signal -1
	s_barrier_wait -1
	v_cmpx_eq_u32_e32 1, v134
	s_cbranch_execz .LBB43_17
; %bb.11:
	v_dual_mov_b32 v92, v48 :: v_dual_mov_b32 v93, v49
	v_dual_mov_b32 v94, v46 :: v_dual_mov_b32 v95, v47
	ds_store_b64 v135, v[58:59]
	ds_store_2addr_b64 v136, v[92:93], v[94:95] offset0:2 offset1:3
	v_dual_mov_b32 v92, v26 :: v_dual_mov_b32 v93, v27
	v_dual_mov_b32 v94, v22 :: v_dual_mov_b32 v95, v23
	ds_store_2addr_b64 v136, v[92:93], v[94:95] offset0:4 offset1:5
	v_dual_mov_b32 v92, v24 :: v_dual_mov_b32 v93, v25
	v_dual_mov_b32 v94, v20 :: v_dual_mov_b32 v95, v21
	;; [unrolled: 3-line block ×8, first 2 shown]
	ds_store_2addr_b64 v136, v[92:93], v[94:95] offset0:18 offset1:19
	v_dual_mov_b32 v92, v84 :: v_dual_mov_b32 v93, v85
	ds_store_2addr_b64 v136, v[92:93], v[88:89] offset0:20 offset1:21
	ds_load_b64 v[92:93], v135
	s_wait_dscnt 0x0
	v_cmp_neq_f32_e32 vcc_lo, 0, v92
	v_cmp_neq_f32_e64 s1, 0, v93
	s_or_b32 s1, vcc_lo, s1
	s_delay_alu instid0(SALU_CYCLE_1)
	s_and_b32 exec_lo, exec_lo, s1
	s_cbranch_execz .LBB43_17
; %bb.12:
	v_cmp_ngt_f32_e64 s1, |v92|, |v93|
                                        ; implicit-def: $vgpr94_vgpr95
	s_and_saveexec_b32 s4, s1
	s_delay_alu instid0(SALU_CYCLE_1)
	s_xor_b32 s1, exec_lo, s4
	s_cbranch_execz .LBB43_14
; %bb.13:
	v_div_scale_f32 v94, null, v93, v93, v92
	v_div_scale_f32 v97, vcc_lo, v92, v93, v92
	s_delay_alu instid0(VALU_DEP_2) | instskip(SKIP_1) | instid1(TRANS32_DEP_1)
	v_rcp_f32_e32 v95, v94
	v_nop
	v_fma_f32 v96, -v94, v95, 1.0
	s_delay_alu instid0(VALU_DEP_1) | instskip(NEXT) | instid1(VALU_DEP_1)
	v_fmac_f32_e32 v95, v96, v95
	v_mul_f32_e32 v96, v97, v95
	s_delay_alu instid0(VALU_DEP_1) | instskip(NEXT) | instid1(VALU_DEP_1)
	v_fma_f32 v98, -v94, v96, v97
	v_fmac_f32_e32 v96, v98, v95
	s_delay_alu instid0(VALU_DEP_1) | instskip(NEXT) | instid1(VALU_DEP_1)
	v_fma_f32 v94, -v94, v96, v97
	v_div_fmas_f32 v94, v94, v95, v96
	s_delay_alu instid0(VALU_DEP_1) | instskip(NEXT) | instid1(VALU_DEP_1)
	v_div_fixup_f32 v94, v94, v93, v92
	v_fmac_f32_e32 v93, v92, v94
	s_delay_alu instid0(VALU_DEP_1) | instskip(SKIP_1) | instid1(VALU_DEP_2)
	v_div_scale_f32 v92, null, v93, v93, 1.0
	v_div_scale_f32 v97, vcc_lo, 1.0, v93, 1.0
	v_rcp_f32_e32 v95, v92
	v_nop
	s_delay_alu instid0(TRANS32_DEP_1) | instskip(NEXT) | instid1(VALU_DEP_1)
	v_fma_f32 v96, -v92, v95, 1.0
	v_fmac_f32_e32 v95, v96, v95
	s_delay_alu instid0(VALU_DEP_1) | instskip(NEXT) | instid1(VALU_DEP_1)
	v_mul_f32_e32 v96, v97, v95
	v_fma_f32 v98, -v92, v96, v97
	s_delay_alu instid0(VALU_DEP_1) | instskip(NEXT) | instid1(VALU_DEP_1)
	v_fmac_f32_e32 v96, v98, v95
	v_fma_f32 v92, -v92, v96, v97
	s_delay_alu instid0(VALU_DEP_1) | instskip(NEXT) | instid1(VALU_DEP_1)
	v_div_fmas_f32 v92, v92, v95, v96
	v_div_fixup_f32 v92, v92, v93, 1.0
	s_delay_alu instid0(VALU_DEP_1)
	v_mul_f32_e32 v94, v94, v92
	v_xor_b32_e32 v95, 0x80000000, v92
                                        ; implicit-def: $vgpr92_vgpr93
.LBB43_14:
	s_and_not1_saveexec_b32 s1, s1
	s_cbranch_execz .LBB43_16
; %bb.15:
	v_div_scale_f32 v94, null, v92, v92, v93
	v_div_scale_f32 v97, vcc_lo, v93, v92, v93
	s_delay_alu instid0(VALU_DEP_2) | instskip(SKIP_1) | instid1(TRANS32_DEP_1)
	v_rcp_f32_e32 v95, v94
	v_nop
	v_fma_f32 v96, -v94, v95, 1.0
	s_delay_alu instid0(VALU_DEP_1) | instskip(NEXT) | instid1(VALU_DEP_1)
	v_fmac_f32_e32 v95, v96, v95
	v_mul_f32_e32 v96, v97, v95
	s_delay_alu instid0(VALU_DEP_1) | instskip(NEXT) | instid1(VALU_DEP_1)
	v_fma_f32 v98, -v94, v96, v97
	v_fmac_f32_e32 v96, v98, v95
	s_delay_alu instid0(VALU_DEP_1) | instskip(NEXT) | instid1(VALU_DEP_1)
	v_fma_f32 v94, -v94, v96, v97
	v_div_fmas_f32 v94, v94, v95, v96
	s_delay_alu instid0(VALU_DEP_1) | instskip(NEXT) | instid1(VALU_DEP_1)
	v_div_fixup_f32 v95, v94, v92, v93
	v_fmac_f32_e32 v92, v93, v95
	s_delay_alu instid0(VALU_DEP_1) | instskip(NEXT) | instid1(VALU_DEP_1)
	v_div_scale_f32 v93, null, v92, v92, 1.0
	v_rcp_f32_e32 v94, v93
	v_nop
	s_delay_alu instid0(TRANS32_DEP_1) | instskip(NEXT) | instid1(VALU_DEP_1)
	v_fma_f32 v96, -v93, v94, 1.0
	v_fmac_f32_e32 v94, v96, v94
	v_div_scale_f32 v96, vcc_lo, 1.0, v92, 1.0
	s_delay_alu instid0(VALU_DEP_1) | instskip(NEXT) | instid1(VALU_DEP_1)
	v_mul_f32_e32 v97, v96, v94
	v_fma_f32 v98, -v93, v97, v96
	s_delay_alu instid0(VALU_DEP_1) | instskip(NEXT) | instid1(VALU_DEP_1)
	v_fmac_f32_e32 v97, v98, v94
	v_fma_f32 v93, -v93, v97, v96
	s_delay_alu instid0(VALU_DEP_1) | instskip(NEXT) | instid1(VALU_DEP_1)
	v_div_fmas_f32 v93, v93, v94, v97
	v_div_fixup_f32 v94, v93, v92, 1.0
	s_delay_alu instid0(VALU_DEP_1)
	v_mul_f32_e64 v95, v95, -v94
.LBB43_16:
	s_or_b32 exec_lo, exec_lo, s1
	ds_store_b64 v135, v[94:95]
.LBB43_17:
	s_or_b32 exec_lo, exec_lo, s2
	s_wait_dscnt 0x0
	s_barrier_signal -1
	s_barrier_wait -1
	ds_load_b64 v[92:93], v135
	s_mov_b32 s1, exec_lo
	v_cmpx_lt_u32_e32 1, v134
	s_cbranch_execz .LBB43_19
; %bb.18:
	ds_load_2addr_b64 v[98:101], v136 offset0:2 offset1:3
	s_wait_dscnt 0x1
	v_pk_mul_f32 v[96:97], v[92:93], v[58:59] op_sel:[1,1] op_sel_hi:[0,1]
	s_delay_alu instid0(VALU_DEP_1) | instskip(SKIP_1) | instid1(VALU_DEP_1)
	v_pk_fma_f32 v[94:95], v[92:93], v[58:59], v[96:97] op_sel_hi:[1,0,1] neg_lo:[0,0,1] neg_hi:[0,0,1]
	v_pk_fma_f32 v[96:97], v[92:93], v[58:59], v[96:97] op_sel_hi:[1,0,1]
	v_dual_mov_b32 v58, v94 :: v_dual_mov_b32 v59, v97
	s_wait_dscnt 0x0
	s_delay_alu instid0(VALU_DEP_2) | instskip(NEXT) | instid1(VALU_DEP_1)
	v_pk_mul_f32 v[102:103], v[98:99], v[96:97] op_sel:[0,1]
	v_pk_fma_f32 v[104:105], v[98:99], v[94:95], v[102:103] op_sel:[0,0,1] op_sel_hi:[1,1,0] neg_lo:[0,0,1] neg_hi:[0,0,1]
	v_pk_fma_f32 v[98:99], v[98:99], v[94:95], v[102:103] op_sel:[0,0,1] op_sel_hi:[1,0,0]
	s_delay_alu instid0(VALU_DEP_1) | instskip(SKIP_1) | instid1(VALU_DEP_1)
	v_mov_b32_e32 v105, v99
	v_pk_mul_f32 v[98:99], v[100:101], v[96:97] op_sel:[0,1]
	v_pk_fma_f32 v[102:103], v[100:101], v[94:95], v[98:99] op_sel:[0,0,1] op_sel_hi:[1,1,0] neg_lo:[0,0,1] neg_hi:[0,0,1]
	v_pk_fma_f32 v[98:99], v[100:101], v[94:95], v[98:99] op_sel:[0,0,1] op_sel_hi:[1,0,0]
	s_delay_alu instid0(VALU_DEP_1)
	v_mov_b32_e32 v103, v99
	ds_load_2addr_b64 v[98:101], v136 offset0:4 offset1:5
	v_pk_add_f32 v[48:49], v[48:49], v[104:105] neg_lo:[0,1] neg_hi:[0,1]
	v_pk_add_f32 v[46:47], v[46:47], v[102:103] neg_lo:[0,1] neg_hi:[0,1]
	s_wait_dscnt 0x0
	v_pk_mul_f32 v[102:103], v[98:99], v[96:97] op_sel:[0,1]
	s_delay_alu instid0(VALU_DEP_1) | instskip(SKIP_2) | instid1(VALU_DEP_2)
	v_pk_fma_f32 v[104:105], v[98:99], v[94:95], v[102:103] op_sel:[0,0,1] op_sel_hi:[1,1,0] neg_lo:[0,0,1] neg_hi:[0,0,1]
	v_pk_fma_f32 v[98:99], v[98:99], v[94:95], v[102:103] op_sel:[0,0,1] op_sel_hi:[1,0,0]
	v_dual_mul_f32 v102, v101, v97 :: v_dual_mov_b32 v98, v101
	v_dual_mov_b32 v105, v99 :: v_dual_mov_b32 v99, v100
	s_delay_alu instid0(VALU_DEP_2) | instskip(SKIP_1) | instid1(VALU_DEP_3)
	v_pk_fma_f32 v[102:103], v[100:101], v[58:59], v[102:103] op_sel_hi:[1,1,0] neg_lo:[0,0,1] neg_hi:[0,0,1]
	v_mul_f32_e32 v100, v101, v94
	v_pk_add_f32 v[26:27], v[26:27], v[104:105] neg_lo:[0,1] neg_hi:[0,1]
	s_delay_alu instid0(VALU_DEP_2) | instskip(NEXT) | instid1(VALU_DEP_1)
	v_pk_fma_f32 v[98:99], v[98:99], v[58:59], v[100:101] op_sel_hi:[1,1,0]
	v_mov_b32_e32 v103, v99
	ds_load_2addr_b64 v[98:101], v136 offset0:6 offset1:7
	v_pk_add_f32 v[22:23], v[22:23], v[102:103] neg_lo:[0,1] neg_hi:[0,1]
	s_wait_dscnt 0x0
	v_pk_mul_f32 v[102:103], v[98:99], v[96:97] op_sel:[0,1]
	s_delay_alu instid0(VALU_DEP_1) | instskip(SKIP_1) | instid1(VALU_DEP_1)
	v_pk_fma_f32 v[104:105], v[98:99], v[94:95], v[102:103] op_sel:[0,0,1] op_sel_hi:[1,1,0] neg_lo:[0,0,1] neg_hi:[0,0,1]
	v_pk_fma_f32 v[98:99], v[98:99], v[94:95], v[102:103] op_sel:[0,0,1] op_sel_hi:[1,0,0]
	v_mov_b32_e32 v105, v99
	v_pk_mul_f32 v[98:99], v[100:101], v[96:97] op_sel:[0,1]
	s_delay_alu instid0(VALU_DEP_1) | instskip(SKIP_1) | instid1(VALU_DEP_1)
	v_pk_fma_f32 v[102:103], v[100:101], v[94:95], v[98:99] op_sel:[0,0,1] op_sel_hi:[1,1,0] neg_lo:[0,0,1] neg_hi:[0,0,1]
	v_pk_fma_f32 v[98:99], v[100:101], v[94:95], v[98:99] op_sel:[0,0,1] op_sel_hi:[1,0,0]
	v_mov_b32_e32 v103, v99
	ds_load_2addr_b64 v[98:101], v136 offset0:8 offset1:9
	v_pk_add_f32 v[24:25], v[24:25], v[104:105] neg_lo:[0,1] neg_hi:[0,1]
	v_pk_add_f32 v[20:21], v[20:21], v[102:103] neg_lo:[0,1] neg_hi:[0,1]
	s_wait_dscnt 0x0
	v_pk_mul_f32 v[102:103], v[98:99], v[96:97] op_sel:[0,1]
	s_delay_alu instid0(VALU_DEP_1) | instskip(SKIP_1) | instid1(VALU_DEP_1)
	v_pk_fma_f32 v[104:105], v[98:99], v[94:95], v[102:103] op_sel:[0,0,1] op_sel_hi:[1,1,0] neg_lo:[0,0,1] neg_hi:[0,0,1]
	v_pk_fma_f32 v[98:99], v[98:99], v[94:95], v[102:103] op_sel:[0,0,1] op_sel_hi:[1,0,0]
	v_mov_b32_e32 v105, v99
	v_pk_mul_f32 v[98:99], v[100:101], v[96:97] op_sel:[0,1]
	s_delay_alu instid0(VALU_DEP_1) | instskip(SKIP_1) | instid1(VALU_DEP_1)
	v_pk_fma_f32 v[102:103], v[100:101], v[94:95], v[98:99] op_sel:[0,0,1] op_sel_hi:[1,1,0] neg_lo:[0,0,1] neg_hi:[0,0,1]
	v_pk_fma_f32 v[98:99], v[100:101], v[94:95], v[98:99] op_sel:[0,0,1] op_sel_hi:[1,0,0]
	v_mov_b32_e32 v103, v99
	ds_load_2addr_b64 v[98:101], v136 offset0:10 offset1:11
	v_pk_add_f32 v[42:43], v[42:43], v[104:105] neg_lo:[0,1] neg_hi:[0,1]
	v_pk_add_f32 v[38:39], v[38:39], v[102:103] neg_lo:[0,1] neg_hi:[0,1]
	s_wait_dscnt 0x0
	v_dual_mul_f32 v102, v99, v97 :: v_dual_mul_f32 v104, v99, v94
	s_delay_alu instid0(VALU_DEP_1) | instskip(NEXT) | instid1(VALU_DEP_2)
	v_pk_fma_f32 v[102:103], v[98:99], v[58:59], v[102:103] op_sel_hi:[1,1,0] neg_lo:[0,0,1] neg_hi:[0,0,1]
	v_pk_fma_f32 v[98:99], v[98:99], v[58:59], v[104:105] op_sel:[1,0,0] op_sel_hi:[0,1,0]
	s_delay_alu instid0(VALU_DEP_1) | instskip(SKIP_1) | instid1(VALU_DEP_2)
	v_mov_b32_e32 v103, v99
	v_pk_mul_f32 v[98:99], v[100:101], v[96:97] op_sel:[0,1]
	v_pk_add_f32 v[40:41], v[40:41], v[102:103] neg_lo:[0,1] neg_hi:[0,1]
	s_delay_alu instid0(VALU_DEP_2) | instskip(SKIP_1) | instid1(VALU_DEP_1)
	v_pk_fma_f32 v[102:103], v[100:101], v[94:95], v[98:99] op_sel:[0,0,1] op_sel_hi:[1,1,0] neg_lo:[0,0,1] neg_hi:[0,0,1]
	v_pk_fma_f32 v[98:99], v[100:101], v[94:95], v[98:99] op_sel:[0,0,1] op_sel_hi:[1,0,0]
	v_mov_b32_e32 v103, v99
	ds_load_2addr_b64 v[98:101], v136 offset0:12 offset1:13
	v_pk_add_f32 v[36:37], v[36:37], v[102:103] neg_lo:[0,1] neg_hi:[0,1]
	s_wait_dscnt 0x0
	v_pk_mul_f32 v[102:103], v[98:99], v[96:97] op_sel:[0,1]
	s_delay_alu instid0(VALU_DEP_1) | instskip(SKIP_1) | instid1(VALU_DEP_1)
	v_pk_fma_f32 v[104:105], v[98:99], v[94:95], v[102:103] op_sel:[0,0,1] op_sel_hi:[1,1,0] neg_lo:[0,0,1] neg_hi:[0,0,1]
	v_pk_fma_f32 v[98:99], v[98:99], v[94:95], v[102:103] op_sel:[0,0,1] op_sel_hi:[1,0,0]
	v_mov_b32_e32 v105, v99
	v_pk_mul_f32 v[98:99], v[100:101], v[96:97] op_sel:[0,1]
	s_delay_alu instid0(VALU_DEP_2) | instskip(NEXT) | instid1(VALU_DEP_2)
	v_pk_add_f32 v[68:69], v[68:69], v[104:105] neg_lo:[0,1] neg_hi:[0,1]
	v_pk_fma_f32 v[102:103], v[100:101], v[94:95], v[98:99] op_sel:[0,0,1] op_sel_hi:[1,1,0] neg_lo:[0,0,1] neg_hi:[0,0,1]
	v_pk_fma_f32 v[98:99], v[100:101], v[94:95], v[98:99] op_sel:[0,0,1] op_sel_hi:[1,0,0]
	s_delay_alu instid0(VALU_DEP_1) | instskip(SKIP_4) | instid1(VALU_DEP_1)
	v_mov_b32_e32 v103, v99
	ds_load_2addr_b64 v[98:101], v136 offset0:14 offset1:15
	v_pk_add_f32 v[64:65], v[64:65], v[102:103] neg_lo:[0,1] neg_hi:[0,1]
	s_wait_dscnt 0x0
	v_pk_mul_f32 v[102:103], v[98:99], v[96:97] op_sel:[0,1]
	v_pk_fma_f32 v[104:105], v[98:99], v[94:95], v[102:103] op_sel:[0,0,1] op_sel_hi:[1,1,0] neg_lo:[0,0,1] neg_hi:[0,0,1]
	v_pk_fma_f32 v[98:99], v[98:99], v[94:95], v[102:103] op_sel:[0,0,1] op_sel_hi:[1,0,0]
	v_dual_mul_f32 v102, v101, v97 :: v_dual_mov_b32 v98, v101
	s_delay_alu instid0(VALU_DEP_2) | instskip(NEXT) | instid1(VALU_DEP_2)
	v_dual_mov_b32 v105, v99 :: v_dual_mov_b32 v99, v100
	v_pk_fma_f32 v[102:103], v[100:101], v[58:59], v[102:103] op_sel_hi:[1,1,0] neg_lo:[0,0,1] neg_hi:[0,0,1]
	v_mul_f32_e32 v100, v101, v94
	s_delay_alu instid0(VALU_DEP_3) | instskip(NEXT) | instid1(VALU_DEP_2)
	v_pk_add_f32 v[66:67], v[66:67], v[104:105] neg_lo:[0,1] neg_hi:[0,1]
	v_pk_fma_f32 v[98:99], v[98:99], v[58:59], v[100:101] op_sel_hi:[1,1,0]
	s_delay_alu instid0(VALU_DEP_1) | instskip(SKIP_4) | instid1(VALU_DEP_1)
	v_mov_b32_e32 v103, v99
	ds_load_2addr_b64 v[98:101], v136 offset0:16 offset1:17
	v_pk_add_f32 v[62:63], v[62:63], v[102:103] neg_lo:[0,1] neg_hi:[0,1]
	s_wait_dscnt 0x0
	v_pk_mul_f32 v[102:103], v[98:99], v[96:97] op_sel:[0,1]
	v_pk_fma_f32 v[104:105], v[98:99], v[94:95], v[102:103] op_sel:[0,0,1] op_sel_hi:[1,1,0] neg_lo:[0,0,1] neg_hi:[0,0,1]
	v_pk_fma_f32 v[98:99], v[98:99], v[94:95], v[102:103] op_sel:[0,0,1] op_sel_hi:[1,0,0]
	s_delay_alu instid0(VALU_DEP_1) | instskip(SKIP_1) | instid1(VALU_DEP_1)
	v_mov_b32_e32 v105, v99
	v_pk_mul_f32 v[98:99], v[100:101], v[96:97] op_sel:[0,1]
	v_pk_fma_f32 v[102:103], v[100:101], v[94:95], v[98:99] op_sel:[0,0,1] op_sel_hi:[1,1,0] neg_lo:[0,0,1] neg_hi:[0,0,1]
	v_pk_fma_f32 v[98:99], v[100:101], v[94:95], v[98:99] op_sel:[0,0,1] op_sel_hi:[1,0,0]
	s_delay_alu instid0(VALU_DEP_1)
	v_mov_b32_e32 v103, v99
	ds_load_2addr_b64 v[98:101], v136 offset0:18 offset1:19
	v_pk_add_f32 v[82:83], v[82:83], v[104:105] neg_lo:[0,1] neg_hi:[0,1]
	v_pk_add_f32 v[78:79], v[78:79], v[102:103] neg_lo:[0,1] neg_hi:[0,1]
	s_wait_dscnt 0x0
	v_pk_mul_f32 v[102:103], v[98:99], v[96:97] op_sel:[0,1]
	s_delay_alu instid0(VALU_DEP_1) | instskip(SKIP_1) | instid1(VALU_DEP_1)
	v_pk_fma_f32 v[104:105], v[98:99], v[94:95], v[102:103] op_sel:[0,0,1] op_sel_hi:[1,1,0] neg_lo:[0,0,1] neg_hi:[0,0,1]
	v_pk_fma_f32 v[98:99], v[98:99], v[94:95], v[102:103] op_sel:[0,0,1] op_sel_hi:[1,0,0]
	v_mov_b32_e32 v105, v99
	v_pk_mul_f32 v[98:99], v[100:101], v[96:97] op_sel:[0,1]
	s_delay_alu instid0(VALU_DEP_1) | instskip(SKIP_1) | instid1(VALU_DEP_1)
	v_pk_fma_f32 v[102:103], v[100:101], v[94:95], v[98:99] op_sel:[0,0,1] op_sel_hi:[1,1,0] neg_lo:[0,0,1] neg_hi:[0,0,1]
	v_pk_fma_f32 v[98:99], v[100:101], v[94:95], v[98:99] op_sel:[0,0,1] op_sel_hi:[1,0,0]
	v_mov_b32_e32 v103, v99
	ds_load_2addr_b64 v[98:101], v136 offset0:20 offset1:21
	v_pk_add_f32 v[80:81], v[80:81], v[104:105] neg_lo:[0,1] neg_hi:[0,1]
	v_pk_add_f32 v[86:87], v[86:87], v[102:103] neg_lo:[0,1] neg_hi:[0,1]
	s_wait_dscnt 0x0
	v_dual_mul_f32 v102, v99, v97 :: v_dual_mul_f32 v104, v99, v94
	v_pk_mul_f32 v[96:97], v[100:101], v[96:97] op_sel:[0,1]
	s_delay_alu instid0(VALU_DEP_2) | instskip(NEXT) | instid1(VALU_DEP_3)
	v_pk_fma_f32 v[102:103], v[98:99], v[58:59], v[102:103] op_sel_hi:[1,1,0] neg_lo:[0,0,1] neg_hi:[0,0,1]
	v_pk_fma_f32 v[98:99], v[98:99], v[58:59], v[104:105] op_sel:[1,0,0] op_sel_hi:[0,1,0]
	s_delay_alu instid0(VALU_DEP_1) | instskip(NEXT) | instid1(VALU_DEP_4)
	v_mov_b32_e32 v103, v99
	v_pk_fma_f32 v[98:99], v[100:101], v[94:95], v[96:97] op_sel:[0,0,1] op_sel_hi:[1,1,0] neg_lo:[0,0,1] neg_hi:[0,0,1]
	v_pk_fma_f32 v[94:95], v[100:101], v[94:95], v[96:97] op_sel:[0,0,1] op_sel_hi:[1,0,0]
	s_delay_alu instid0(VALU_DEP_1) | instskip(NEXT) | instid1(VALU_DEP_4)
	v_mov_b32_e32 v99, v95
	v_pk_add_f32 v[84:85], v[84:85], v[102:103] neg_lo:[0,1] neg_hi:[0,1]
	s_delay_alu instid0(VALU_DEP_2)
	v_pk_add_f32 v[88:89], v[88:89], v[98:99] neg_lo:[0,1] neg_hi:[0,1]
.LBB43_19:
	s_or_b32 exec_lo, exec_lo, s1
	s_delay_alu instid0(SALU_CYCLE_1)
	s_mov_b32 s2, exec_lo
	s_wait_dscnt 0x0
	s_barrier_signal -1
	s_barrier_wait -1
	v_cmpx_eq_u32_e32 2, v134
	s_cbranch_execz .LBB43_26
; %bb.20:
	ds_store_b64 v135, v[48:49]
	ds_store_2addr_b64 v136, v[46:47], v[26:27] offset0:3 offset1:4
	ds_store_2addr_b64 v136, v[22:23], v[24:25] offset0:5 offset1:6
	;; [unrolled: 1-line block ×9, first 2 shown]
	ds_store_b64 v136, v[88:89] offset:168
	ds_load_b64 v[94:95], v135
	s_wait_dscnt 0x0
	v_cmp_neq_f32_e32 vcc_lo, 0, v94
	v_cmp_neq_f32_e64 s1, 0, v95
	s_or_b32 s1, vcc_lo, s1
	s_delay_alu instid0(SALU_CYCLE_1)
	s_and_b32 exec_lo, exec_lo, s1
	s_cbranch_execz .LBB43_26
; %bb.21:
	v_cmp_ngt_f32_e64 s1, |v94|, |v95|
                                        ; implicit-def: $vgpr96_vgpr97
	s_and_saveexec_b32 s4, s1
	s_delay_alu instid0(SALU_CYCLE_1)
	s_xor_b32 s1, exec_lo, s4
	s_cbranch_execz .LBB43_23
; %bb.22:
	v_div_scale_f32 v96, null, v95, v95, v94
	v_div_scale_f32 v99, vcc_lo, v94, v95, v94
	s_delay_alu instid0(VALU_DEP_2) | instskip(SKIP_1) | instid1(TRANS32_DEP_1)
	v_rcp_f32_e32 v97, v96
	v_nop
	v_fma_f32 v98, -v96, v97, 1.0
	s_delay_alu instid0(VALU_DEP_1) | instskip(NEXT) | instid1(VALU_DEP_1)
	v_fmac_f32_e32 v97, v98, v97
	v_mul_f32_e32 v98, v99, v97
	s_delay_alu instid0(VALU_DEP_1) | instskip(NEXT) | instid1(VALU_DEP_1)
	v_fma_f32 v100, -v96, v98, v99
	v_fmac_f32_e32 v98, v100, v97
	s_delay_alu instid0(VALU_DEP_1) | instskip(NEXT) | instid1(VALU_DEP_1)
	v_fma_f32 v96, -v96, v98, v99
	v_div_fmas_f32 v96, v96, v97, v98
	s_delay_alu instid0(VALU_DEP_1) | instskip(NEXT) | instid1(VALU_DEP_1)
	v_div_fixup_f32 v96, v96, v95, v94
	v_fmac_f32_e32 v95, v94, v96
	s_delay_alu instid0(VALU_DEP_1) | instskip(SKIP_1) | instid1(VALU_DEP_2)
	v_div_scale_f32 v94, null, v95, v95, 1.0
	v_div_scale_f32 v99, vcc_lo, 1.0, v95, 1.0
	v_rcp_f32_e32 v97, v94
	v_nop
	s_delay_alu instid0(TRANS32_DEP_1) | instskip(NEXT) | instid1(VALU_DEP_1)
	v_fma_f32 v98, -v94, v97, 1.0
	v_fmac_f32_e32 v97, v98, v97
	s_delay_alu instid0(VALU_DEP_1) | instskip(NEXT) | instid1(VALU_DEP_1)
	v_mul_f32_e32 v98, v99, v97
	v_fma_f32 v100, -v94, v98, v99
	s_delay_alu instid0(VALU_DEP_1) | instskip(NEXT) | instid1(VALU_DEP_1)
	v_fmac_f32_e32 v98, v100, v97
	v_fma_f32 v94, -v94, v98, v99
	s_delay_alu instid0(VALU_DEP_1) | instskip(NEXT) | instid1(VALU_DEP_1)
	v_div_fmas_f32 v94, v94, v97, v98
	v_div_fixup_f32 v94, v94, v95, 1.0
	s_delay_alu instid0(VALU_DEP_1)
	v_mul_f32_e32 v96, v96, v94
	v_xor_b32_e32 v97, 0x80000000, v94
                                        ; implicit-def: $vgpr94_vgpr95
.LBB43_23:
	s_and_not1_saveexec_b32 s1, s1
	s_cbranch_execz .LBB43_25
; %bb.24:
	v_div_scale_f32 v96, null, v94, v94, v95
	v_div_scale_f32 v99, vcc_lo, v95, v94, v95
	s_delay_alu instid0(VALU_DEP_2) | instskip(SKIP_1) | instid1(TRANS32_DEP_1)
	v_rcp_f32_e32 v97, v96
	v_nop
	v_fma_f32 v98, -v96, v97, 1.0
	s_delay_alu instid0(VALU_DEP_1) | instskip(NEXT) | instid1(VALU_DEP_1)
	v_fmac_f32_e32 v97, v98, v97
	v_mul_f32_e32 v98, v99, v97
	s_delay_alu instid0(VALU_DEP_1) | instskip(NEXT) | instid1(VALU_DEP_1)
	v_fma_f32 v100, -v96, v98, v99
	v_fmac_f32_e32 v98, v100, v97
	s_delay_alu instid0(VALU_DEP_1) | instskip(NEXT) | instid1(VALU_DEP_1)
	v_fma_f32 v96, -v96, v98, v99
	v_div_fmas_f32 v96, v96, v97, v98
	s_delay_alu instid0(VALU_DEP_1) | instskip(NEXT) | instid1(VALU_DEP_1)
	v_div_fixup_f32 v97, v96, v94, v95
	v_fmac_f32_e32 v94, v95, v97
	s_delay_alu instid0(VALU_DEP_1) | instskip(NEXT) | instid1(VALU_DEP_1)
	v_div_scale_f32 v95, null, v94, v94, 1.0
	v_rcp_f32_e32 v96, v95
	v_nop
	s_delay_alu instid0(TRANS32_DEP_1) | instskip(NEXT) | instid1(VALU_DEP_1)
	v_fma_f32 v98, -v95, v96, 1.0
	v_fmac_f32_e32 v96, v98, v96
	v_div_scale_f32 v98, vcc_lo, 1.0, v94, 1.0
	s_delay_alu instid0(VALU_DEP_1) | instskip(NEXT) | instid1(VALU_DEP_1)
	v_mul_f32_e32 v99, v98, v96
	v_fma_f32 v100, -v95, v99, v98
	s_delay_alu instid0(VALU_DEP_1) | instskip(NEXT) | instid1(VALU_DEP_1)
	v_fmac_f32_e32 v99, v100, v96
	v_fma_f32 v95, -v95, v99, v98
	s_delay_alu instid0(VALU_DEP_1) | instskip(NEXT) | instid1(VALU_DEP_1)
	v_div_fmas_f32 v95, v95, v96, v99
	v_div_fixup_f32 v96, v95, v94, 1.0
	s_delay_alu instid0(VALU_DEP_1)
	v_mul_f32_e64 v97, v97, -v96
.LBB43_25:
	s_or_b32 exec_lo, exec_lo, s1
	ds_store_b64 v135, v[96:97]
.LBB43_26:
	s_or_b32 exec_lo, exec_lo, s2
	s_wait_dscnt 0x0
	s_barrier_signal -1
	s_barrier_wait -1
	ds_load_b64 v[94:95], v135
	s_mov_b32 s1, exec_lo
	v_cmpx_lt_u32_e32 2, v134
	s_cbranch_execz .LBB43_28
; %bb.27:
	ds_load_2addr_b64 v[100:103], v136 offset0:3 offset1:4
	s_wait_dscnt 0x1
	v_pk_mul_f32 v[98:99], v[94:95], v[48:49] op_sel:[1,1] op_sel_hi:[0,1]
	s_delay_alu instid0(VALU_DEP_1) | instskip(SKIP_1) | instid1(VALU_DEP_1)
	v_pk_fma_f32 v[96:97], v[94:95], v[48:49], v[98:99] op_sel_hi:[1,0,1] neg_lo:[0,0,1] neg_hi:[0,0,1]
	v_pk_fma_f32 v[98:99], v[94:95], v[48:49], v[98:99] op_sel_hi:[1,0,1]
	v_dual_mov_b32 v48, v96 :: v_dual_mov_b32 v49, v99
	s_wait_dscnt 0x0
	s_delay_alu instid0(VALU_DEP_2) | instskip(NEXT) | instid1(VALU_DEP_1)
	v_pk_mul_f32 v[104:105], v[100:101], v[98:99] op_sel:[0,1]
	v_pk_fma_f32 v[106:107], v[100:101], v[96:97], v[104:105] op_sel:[0,0,1] op_sel_hi:[1,1,0] neg_lo:[0,0,1] neg_hi:[0,0,1]
	v_pk_fma_f32 v[100:101], v[100:101], v[96:97], v[104:105] op_sel:[0,0,1] op_sel_hi:[1,0,0]
	s_delay_alu instid0(VALU_DEP_1) | instskip(SKIP_1) | instid1(VALU_DEP_1)
	v_mov_b32_e32 v107, v101
	v_pk_mul_f32 v[100:101], v[102:103], v[98:99] op_sel:[0,1]
	v_pk_fma_f32 v[104:105], v[102:103], v[96:97], v[100:101] op_sel:[0,0,1] op_sel_hi:[1,1,0] neg_lo:[0,0,1] neg_hi:[0,0,1]
	v_pk_fma_f32 v[100:101], v[102:103], v[96:97], v[100:101] op_sel:[0,0,1] op_sel_hi:[1,0,0]
	s_delay_alu instid0(VALU_DEP_1)
	v_mov_b32_e32 v105, v101
	ds_load_2addr_b64 v[100:103], v136 offset0:5 offset1:6
	v_pk_add_f32 v[46:47], v[46:47], v[106:107] neg_lo:[0,1] neg_hi:[0,1]
	v_pk_add_f32 v[26:27], v[26:27], v[104:105] neg_lo:[0,1] neg_hi:[0,1]
	s_wait_dscnt 0x0
	v_pk_mul_f32 v[104:105], v[100:101], v[98:99] op_sel:[0,1]
	s_delay_alu instid0(VALU_DEP_1) | instskip(SKIP_2) | instid1(VALU_DEP_2)
	v_pk_fma_f32 v[106:107], v[100:101], v[96:97], v[104:105] op_sel:[0,0,1] op_sel_hi:[1,1,0] neg_lo:[0,0,1] neg_hi:[0,0,1]
	v_pk_fma_f32 v[100:101], v[100:101], v[96:97], v[104:105] op_sel:[0,0,1] op_sel_hi:[1,0,0]
	v_dual_mul_f32 v104, v103, v99 :: v_dual_mov_b32 v100, v103
	v_dual_mov_b32 v107, v101 :: v_dual_mov_b32 v101, v102
	s_delay_alu instid0(VALU_DEP_2) | instskip(SKIP_1) | instid1(VALU_DEP_3)
	v_pk_fma_f32 v[104:105], v[102:103], v[48:49], v[104:105] op_sel_hi:[1,1,0] neg_lo:[0,0,1] neg_hi:[0,0,1]
	v_mul_f32_e32 v102, v103, v96
	v_pk_add_f32 v[22:23], v[22:23], v[106:107] neg_lo:[0,1] neg_hi:[0,1]
	s_delay_alu instid0(VALU_DEP_2) | instskip(NEXT) | instid1(VALU_DEP_1)
	v_pk_fma_f32 v[100:101], v[100:101], v[48:49], v[102:103] op_sel_hi:[1,1,0]
	v_mov_b32_e32 v105, v101
	ds_load_2addr_b64 v[100:103], v136 offset0:7 offset1:8
	v_pk_add_f32 v[24:25], v[24:25], v[104:105] neg_lo:[0,1] neg_hi:[0,1]
	s_wait_dscnt 0x0
	v_pk_mul_f32 v[104:105], v[100:101], v[98:99] op_sel:[0,1]
	s_delay_alu instid0(VALU_DEP_1) | instskip(SKIP_1) | instid1(VALU_DEP_1)
	v_pk_fma_f32 v[106:107], v[100:101], v[96:97], v[104:105] op_sel:[0,0,1] op_sel_hi:[1,1,0] neg_lo:[0,0,1] neg_hi:[0,0,1]
	v_pk_fma_f32 v[100:101], v[100:101], v[96:97], v[104:105] op_sel:[0,0,1] op_sel_hi:[1,0,0]
	v_mov_b32_e32 v107, v101
	v_pk_mul_f32 v[100:101], v[102:103], v[98:99] op_sel:[0,1]
	s_delay_alu instid0(VALU_DEP_1) | instskip(SKIP_1) | instid1(VALU_DEP_1)
	v_pk_fma_f32 v[104:105], v[102:103], v[96:97], v[100:101] op_sel:[0,0,1] op_sel_hi:[1,1,0] neg_lo:[0,0,1] neg_hi:[0,0,1]
	v_pk_fma_f32 v[100:101], v[102:103], v[96:97], v[100:101] op_sel:[0,0,1] op_sel_hi:[1,0,0]
	v_mov_b32_e32 v105, v101
	ds_load_2addr_b64 v[100:103], v136 offset0:9 offset1:10
	v_pk_add_f32 v[20:21], v[20:21], v[106:107] neg_lo:[0,1] neg_hi:[0,1]
	v_pk_add_f32 v[42:43], v[42:43], v[104:105] neg_lo:[0,1] neg_hi:[0,1]
	s_wait_dscnt 0x0
	v_pk_mul_f32 v[104:105], v[100:101], v[98:99] op_sel:[0,1]
	s_delay_alu instid0(VALU_DEP_1) | instskip(SKIP_1) | instid1(VALU_DEP_1)
	v_pk_fma_f32 v[106:107], v[100:101], v[96:97], v[104:105] op_sel:[0,0,1] op_sel_hi:[1,1,0] neg_lo:[0,0,1] neg_hi:[0,0,1]
	v_pk_fma_f32 v[100:101], v[100:101], v[96:97], v[104:105] op_sel:[0,0,1] op_sel_hi:[1,0,0]
	v_mov_b32_e32 v107, v101
	v_pk_mul_f32 v[100:101], v[102:103], v[98:99] op_sel:[0,1]
	s_delay_alu instid0(VALU_DEP_1) | instskip(SKIP_1) | instid1(VALU_DEP_1)
	v_pk_fma_f32 v[104:105], v[102:103], v[96:97], v[100:101] op_sel:[0,0,1] op_sel_hi:[1,1,0] neg_lo:[0,0,1] neg_hi:[0,0,1]
	v_pk_fma_f32 v[100:101], v[102:103], v[96:97], v[100:101] op_sel:[0,0,1] op_sel_hi:[1,0,0]
	v_mov_b32_e32 v105, v101
	ds_load_2addr_b64 v[100:103], v136 offset0:11 offset1:12
	v_pk_add_f32 v[38:39], v[38:39], v[106:107] neg_lo:[0,1] neg_hi:[0,1]
	v_pk_add_f32 v[40:41], v[40:41], v[104:105] neg_lo:[0,1] neg_hi:[0,1]
	s_wait_dscnt 0x0
	v_dual_mul_f32 v104, v101, v99 :: v_dual_mul_f32 v106, v101, v96
	s_delay_alu instid0(VALU_DEP_1) | instskip(NEXT) | instid1(VALU_DEP_2)
	v_pk_fma_f32 v[104:105], v[100:101], v[48:49], v[104:105] op_sel_hi:[1,1,0] neg_lo:[0,0,1] neg_hi:[0,0,1]
	v_pk_fma_f32 v[100:101], v[100:101], v[48:49], v[106:107] op_sel:[1,0,0] op_sel_hi:[0,1,0]
	s_delay_alu instid0(VALU_DEP_1) | instskip(SKIP_1) | instid1(VALU_DEP_2)
	v_mov_b32_e32 v105, v101
	v_pk_mul_f32 v[100:101], v[102:103], v[98:99] op_sel:[0,1]
	v_pk_add_f32 v[36:37], v[36:37], v[104:105] neg_lo:[0,1] neg_hi:[0,1]
	s_delay_alu instid0(VALU_DEP_2) | instskip(SKIP_1) | instid1(VALU_DEP_1)
	v_pk_fma_f32 v[104:105], v[102:103], v[96:97], v[100:101] op_sel:[0,0,1] op_sel_hi:[1,1,0] neg_lo:[0,0,1] neg_hi:[0,0,1]
	v_pk_fma_f32 v[100:101], v[102:103], v[96:97], v[100:101] op_sel:[0,0,1] op_sel_hi:[1,0,0]
	v_mov_b32_e32 v105, v101
	ds_load_2addr_b64 v[100:103], v136 offset0:13 offset1:14
	v_pk_add_f32 v[68:69], v[68:69], v[104:105] neg_lo:[0,1] neg_hi:[0,1]
	s_wait_dscnt 0x0
	v_pk_mul_f32 v[104:105], v[100:101], v[98:99] op_sel:[0,1]
	s_delay_alu instid0(VALU_DEP_1) | instskip(SKIP_1) | instid1(VALU_DEP_1)
	v_pk_fma_f32 v[106:107], v[100:101], v[96:97], v[104:105] op_sel:[0,0,1] op_sel_hi:[1,1,0] neg_lo:[0,0,1] neg_hi:[0,0,1]
	v_pk_fma_f32 v[100:101], v[100:101], v[96:97], v[104:105] op_sel:[0,0,1] op_sel_hi:[1,0,0]
	v_mov_b32_e32 v107, v101
	v_pk_mul_f32 v[100:101], v[102:103], v[98:99] op_sel:[0,1]
	s_delay_alu instid0(VALU_DEP_2) | instskip(NEXT) | instid1(VALU_DEP_2)
	v_pk_add_f32 v[64:65], v[64:65], v[106:107] neg_lo:[0,1] neg_hi:[0,1]
	v_pk_fma_f32 v[104:105], v[102:103], v[96:97], v[100:101] op_sel:[0,0,1] op_sel_hi:[1,1,0] neg_lo:[0,0,1] neg_hi:[0,0,1]
	v_pk_fma_f32 v[100:101], v[102:103], v[96:97], v[100:101] op_sel:[0,0,1] op_sel_hi:[1,0,0]
	s_delay_alu instid0(VALU_DEP_1) | instskip(SKIP_4) | instid1(VALU_DEP_1)
	v_mov_b32_e32 v105, v101
	ds_load_2addr_b64 v[100:103], v136 offset0:15 offset1:16
	v_pk_add_f32 v[66:67], v[66:67], v[104:105] neg_lo:[0,1] neg_hi:[0,1]
	s_wait_dscnt 0x0
	v_pk_mul_f32 v[104:105], v[100:101], v[98:99] op_sel:[0,1]
	v_pk_fma_f32 v[106:107], v[100:101], v[96:97], v[104:105] op_sel:[0,0,1] op_sel_hi:[1,1,0] neg_lo:[0,0,1] neg_hi:[0,0,1]
	v_pk_fma_f32 v[100:101], v[100:101], v[96:97], v[104:105] op_sel:[0,0,1] op_sel_hi:[1,0,0]
	v_dual_mul_f32 v104, v103, v99 :: v_dual_mov_b32 v100, v103
	s_delay_alu instid0(VALU_DEP_2) | instskip(NEXT) | instid1(VALU_DEP_2)
	v_dual_mov_b32 v107, v101 :: v_dual_mov_b32 v101, v102
	v_pk_fma_f32 v[104:105], v[102:103], v[48:49], v[104:105] op_sel_hi:[1,1,0] neg_lo:[0,0,1] neg_hi:[0,0,1]
	v_mul_f32_e32 v102, v103, v96
	s_delay_alu instid0(VALU_DEP_3) | instskip(NEXT) | instid1(VALU_DEP_2)
	v_pk_add_f32 v[62:63], v[62:63], v[106:107] neg_lo:[0,1] neg_hi:[0,1]
	v_pk_fma_f32 v[100:101], v[100:101], v[48:49], v[102:103] op_sel_hi:[1,1,0]
	s_delay_alu instid0(VALU_DEP_1) | instskip(SKIP_4) | instid1(VALU_DEP_1)
	v_mov_b32_e32 v105, v101
	ds_load_2addr_b64 v[100:103], v136 offset0:17 offset1:18
	v_pk_add_f32 v[82:83], v[82:83], v[104:105] neg_lo:[0,1] neg_hi:[0,1]
	s_wait_dscnt 0x0
	v_pk_mul_f32 v[104:105], v[100:101], v[98:99] op_sel:[0,1]
	v_pk_fma_f32 v[106:107], v[100:101], v[96:97], v[104:105] op_sel:[0,0,1] op_sel_hi:[1,1,0] neg_lo:[0,0,1] neg_hi:[0,0,1]
	v_pk_fma_f32 v[100:101], v[100:101], v[96:97], v[104:105] op_sel:[0,0,1] op_sel_hi:[1,0,0]
	s_delay_alu instid0(VALU_DEP_1) | instskip(SKIP_1) | instid1(VALU_DEP_1)
	v_mov_b32_e32 v107, v101
	v_pk_mul_f32 v[100:101], v[102:103], v[98:99] op_sel:[0,1]
	v_pk_fma_f32 v[104:105], v[102:103], v[96:97], v[100:101] op_sel:[0,0,1] op_sel_hi:[1,1,0] neg_lo:[0,0,1] neg_hi:[0,0,1]
	v_pk_fma_f32 v[100:101], v[102:103], v[96:97], v[100:101] op_sel:[0,0,1] op_sel_hi:[1,0,0]
	s_delay_alu instid0(VALU_DEP_1)
	v_mov_b32_e32 v105, v101
	ds_load_2addr_b64 v[100:103], v136 offset0:19 offset1:20
	v_pk_add_f32 v[78:79], v[78:79], v[106:107] neg_lo:[0,1] neg_hi:[0,1]
	v_pk_add_f32 v[80:81], v[80:81], v[104:105] neg_lo:[0,1] neg_hi:[0,1]
	s_wait_dscnt 0x0
	v_pk_mul_f32 v[104:105], v[100:101], v[98:99] op_sel:[0,1]
	s_delay_alu instid0(VALU_DEP_1) | instskip(SKIP_1) | instid1(VALU_DEP_1)
	v_pk_fma_f32 v[106:107], v[100:101], v[96:97], v[104:105] op_sel:[0,0,1] op_sel_hi:[1,1,0] neg_lo:[0,0,1] neg_hi:[0,0,1]
	v_pk_fma_f32 v[100:101], v[100:101], v[96:97], v[104:105] op_sel:[0,0,1] op_sel_hi:[1,0,0]
	v_mov_b32_e32 v107, v101
	v_pk_mul_f32 v[100:101], v[102:103], v[98:99] op_sel:[0,1]
	s_delay_alu instid0(VALU_DEP_1) | instskip(SKIP_1) | instid1(VALU_DEP_1)
	v_pk_fma_f32 v[104:105], v[102:103], v[96:97], v[100:101] op_sel:[0,0,1] op_sel_hi:[1,1,0] neg_lo:[0,0,1] neg_hi:[0,0,1]
	v_pk_fma_f32 v[100:101], v[102:103], v[96:97], v[100:101] op_sel:[0,0,1] op_sel_hi:[1,0,0]
	v_mov_b32_e32 v105, v101
	ds_load_b64 v[100:101], v136 offset:168
	v_pk_add_f32 v[86:87], v[86:87], v[106:107] neg_lo:[0,1] neg_hi:[0,1]
	v_pk_add_f32 v[84:85], v[84:85], v[104:105] neg_lo:[0,1] neg_hi:[0,1]
	s_wait_dscnt 0x0
	v_pk_mul_f32 v[98:99], v[100:101], v[98:99] op_sel:[0,1]
	s_delay_alu instid0(VALU_DEP_1) | instskip(SKIP_1) | instid1(VALU_DEP_1)
	v_pk_fma_f32 v[102:103], v[100:101], v[96:97], v[98:99] op_sel:[0,0,1] op_sel_hi:[1,1,0] neg_lo:[0,0,1] neg_hi:[0,0,1]
	v_pk_fma_f32 v[96:97], v[100:101], v[96:97], v[98:99] op_sel:[0,0,1] op_sel_hi:[1,0,0]
	v_mov_b32_e32 v103, v97
	s_delay_alu instid0(VALU_DEP_1)
	v_pk_add_f32 v[88:89], v[88:89], v[102:103] neg_lo:[0,1] neg_hi:[0,1]
.LBB43_28:
	s_or_b32 exec_lo, exec_lo, s1
	s_delay_alu instid0(SALU_CYCLE_1)
	s_mov_b32 s2, exec_lo
	s_wait_dscnt 0x0
	s_barrier_signal -1
	s_barrier_wait -1
	v_cmpx_eq_u32_e32 3, v134
	s_cbranch_execz .LBB43_35
; %bb.29:
	v_dual_mov_b32 v96, v26 :: v_dual_mov_b32 v97, v27
	v_dual_mov_b32 v98, v22 :: v_dual_mov_b32 v99, v23
	ds_store_b64 v135, v[46:47]
	ds_store_2addr_b64 v136, v[96:97], v[98:99] offset0:4 offset1:5
	v_dual_mov_b32 v96, v24 :: v_dual_mov_b32 v97, v25
	v_dual_mov_b32 v98, v20 :: v_dual_mov_b32 v99, v21
	ds_store_2addr_b64 v136, v[96:97], v[98:99] offset0:6 offset1:7
	v_dual_mov_b32 v96, v42 :: v_dual_mov_b32 v97, v43
	v_dual_mov_b32 v98, v38 :: v_dual_mov_b32 v99, v39
	;; [unrolled: 3-line block ×7, first 2 shown]
	ds_store_2addr_b64 v136, v[96:97], v[98:99] offset0:18 offset1:19
	v_dual_mov_b32 v96, v84 :: v_dual_mov_b32 v97, v85
	ds_store_2addr_b64 v136, v[96:97], v[88:89] offset0:20 offset1:21
	ds_load_b64 v[96:97], v135
	s_wait_dscnt 0x0
	v_cmp_neq_f32_e32 vcc_lo, 0, v96
	v_cmp_neq_f32_e64 s1, 0, v97
	s_or_b32 s1, vcc_lo, s1
	s_delay_alu instid0(SALU_CYCLE_1)
	s_and_b32 exec_lo, exec_lo, s1
	s_cbranch_execz .LBB43_35
; %bb.30:
	v_cmp_ngt_f32_e64 s1, |v96|, |v97|
                                        ; implicit-def: $vgpr98_vgpr99
	s_and_saveexec_b32 s4, s1
	s_delay_alu instid0(SALU_CYCLE_1)
	s_xor_b32 s1, exec_lo, s4
	s_cbranch_execz .LBB43_32
; %bb.31:
	v_div_scale_f32 v98, null, v97, v97, v96
	v_div_scale_f32 v101, vcc_lo, v96, v97, v96
	s_delay_alu instid0(VALU_DEP_2) | instskip(SKIP_1) | instid1(TRANS32_DEP_1)
	v_rcp_f32_e32 v99, v98
	v_nop
	v_fma_f32 v100, -v98, v99, 1.0
	s_delay_alu instid0(VALU_DEP_1) | instskip(NEXT) | instid1(VALU_DEP_1)
	v_fmac_f32_e32 v99, v100, v99
	v_mul_f32_e32 v100, v101, v99
	s_delay_alu instid0(VALU_DEP_1) | instskip(NEXT) | instid1(VALU_DEP_1)
	v_fma_f32 v102, -v98, v100, v101
	v_fmac_f32_e32 v100, v102, v99
	s_delay_alu instid0(VALU_DEP_1) | instskip(NEXT) | instid1(VALU_DEP_1)
	v_fma_f32 v98, -v98, v100, v101
	v_div_fmas_f32 v98, v98, v99, v100
	s_delay_alu instid0(VALU_DEP_1) | instskip(NEXT) | instid1(VALU_DEP_1)
	v_div_fixup_f32 v98, v98, v97, v96
	v_fmac_f32_e32 v97, v96, v98
	s_delay_alu instid0(VALU_DEP_1) | instskip(SKIP_1) | instid1(VALU_DEP_2)
	v_div_scale_f32 v96, null, v97, v97, 1.0
	v_div_scale_f32 v101, vcc_lo, 1.0, v97, 1.0
	v_rcp_f32_e32 v99, v96
	v_nop
	s_delay_alu instid0(TRANS32_DEP_1) | instskip(NEXT) | instid1(VALU_DEP_1)
	v_fma_f32 v100, -v96, v99, 1.0
	v_fmac_f32_e32 v99, v100, v99
	s_delay_alu instid0(VALU_DEP_1) | instskip(NEXT) | instid1(VALU_DEP_1)
	v_mul_f32_e32 v100, v101, v99
	v_fma_f32 v102, -v96, v100, v101
	s_delay_alu instid0(VALU_DEP_1) | instskip(NEXT) | instid1(VALU_DEP_1)
	v_fmac_f32_e32 v100, v102, v99
	v_fma_f32 v96, -v96, v100, v101
	s_delay_alu instid0(VALU_DEP_1) | instskip(NEXT) | instid1(VALU_DEP_1)
	v_div_fmas_f32 v96, v96, v99, v100
	v_div_fixup_f32 v96, v96, v97, 1.0
	s_delay_alu instid0(VALU_DEP_1)
	v_mul_f32_e32 v98, v98, v96
	v_xor_b32_e32 v99, 0x80000000, v96
                                        ; implicit-def: $vgpr96_vgpr97
.LBB43_32:
	s_and_not1_saveexec_b32 s1, s1
	s_cbranch_execz .LBB43_34
; %bb.33:
	v_div_scale_f32 v98, null, v96, v96, v97
	v_div_scale_f32 v101, vcc_lo, v97, v96, v97
	s_delay_alu instid0(VALU_DEP_2) | instskip(SKIP_1) | instid1(TRANS32_DEP_1)
	v_rcp_f32_e32 v99, v98
	v_nop
	v_fma_f32 v100, -v98, v99, 1.0
	s_delay_alu instid0(VALU_DEP_1) | instskip(NEXT) | instid1(VALU_DEP_1)
	v_fmac_f32_e32 v99, v100, v99
	v_mul_f32_e32 v100, v101, v99
	s_delay_alu instid0(VALU_DEP_1) | instskip(NEXT) | instid1(VALU_DEP_1)
	v_fma_f32 v102, -v98, v100, v101
	v_fmac_f32_e32 v100, v102, v99
	s_delay_alu instid0(VALU_DEP_1) | instskip(NEXT) | instid1(VALU_DEP_1)
	v_fma_f32 v98, -v98, v100, v101
	v_div_fmas_f32 v98, v98, v99, v100
	s_delay_alu instid0(VALU_DEP_1) | instskip(NEXT) | instid1(VALU_DEP_1)
	v_div_fixup_f32 v99, v98, v96, v97
	v_fmac_f32_e32 v96, v97, v99
	s_delay_alu instid0(VALU_DEP_1) | instskip(NEXT) | instid1(VALU_DEP_1)
	v_div_scale_f32 v97, null, v96, v96, 1.0
	v_rcp_f32_e32 v98, v97
	v_nop
	s_delay_alu instid0(TRANS32_DEP_1) | instskip(NEXT) | instid1(VALU_DEP_1)
	v_fma_f32 v100, -v97, v98, 1.0
	v_fmac_f32_e32 v98, v100, v98
	v_div_scale_f32 v100, vcc_lo, 1.0, v96, 1.0
	s_delay_alu instid0(VALU_DEP_1) | instskip(NEXT) | instid1(VALU_DEP_1)
	v_mul_f32_e32 v101, v100, v98
	v_fma_f32 v102, -v97, v101, v100
	s_delay_alu instid0(VALU_DEP_1) | instskip(NEXT) | instid1(VALU_DEP_1)
	v_fmac_f32_e32 v101, v102, v98
	v_fma_f32 v97, -v97, v101, v100
	s_delay_alu instid0(VALU_DEP_1) | instskip(NEXT) | instid1(VALU_DEP_1)
	v_div_fmas_f32 v97, v97, v98, v101
	v_div_fixup_f32 v98, v97, v96, 1.0
	s_delay_alu instid0(VALU_DEP_1)
	v_mul_f32_e64 v99, v99, -v98
.LBB43_34:
	s_or_b32 exec_lo, exec_lo, s1
	ds_store_b64 v135, v[98:99]
.LBB43_35:
	s_or_b32 exec_lo, exec_lo, s2
	s_wait_dscnt 0x0
	s_barrier_signal -1
	s_barrier_wait -1
	ds_load_b64 v[96:97], v135
	s_mov_b32 s1, exec_lo
	v_cmpx_lt_u32_e32 3, v134
	s_cbranch_execz .LBB43_37
; %bb.36:
	ds_load_2addr_b64 v[102:105], v136 offset0:4 offset1:5
	s_wait_dscnt 0x1
	v_pk_mul_f32 v[100:101], v[96:97], v[46:47] op_sel:[1,1] op_sel_hi:[0,1]
	s_delay_alu instid0(VALU_DEP_1) | instskip(SKIP_1) | instid1(VALU_DEP_1)
	v_pk_fma_f32 v[98:99], v[96:97], v[46:47], v[100:101] op_sel_hi:[1,0,1] neg_lo:[0,0,1] neg_hi:[0,0,1]
	v_pk_fma_f32 v[100:101], v[96:97], v[46:47], v[100:101] op_sel_hi:[1,0,1]
	v_dual_mov_b32 v46, v98 :: v_dual_mov_b32 v47, v101
	s_wait_dscnt 0x0
	s_delay_alu instid0(VALU_DEP_2) | instskip(NEXT) | instid1(VALU_DEP_1)
	v_pk_mul_f32 v[106:107], v[102:103], v[100:101] op_sel:[0,1]
	v_pk_fma_f32 v[108:109], v[102:103], v[98:99], v[106:107] op_sel:[0,0,1] op_sel_hi:[1,1,0] neg_lo:[0,0,1] neg_hi:[0,0,1]
	v_pk_fma_f32 v[102:103], v[102:103], v[98:99], v[106:107] op_sel:[0,0,1] op_sel_hi:[1,0,0]
	s_delay_alu instid0(VALU_DEP_1) | instskip(SKIP_1) | instid1(VALU_DEP_1)
	v_mov_b32_e32 v109, v103
	v_pk_mul_f32 v[102:103], v[104:105], v[100:101] op_sel:[0,1]
	v_pk_fma_f32 v[106:107], v[104:105], v[98:99], v[102:103] op_sel:[0,0,1] op_sel_hi:[1,1,0] neg_lo:[0,0,1] neg_hi:[0,0,1]
	v_pk_fma_f32 v[102:103], v[104:105], v[98:99], v[102:103] op_sel:[0,0,1] op_sel_hi:[1,0,0]
	s_delay_alu instid0(VALU_DEP_1)
	v_mov_b32_e32 v107, v103
	ds_load_2addr_b64 v[102:105], v136 offset0:6 offset1:7
	v_pk_add_f32 v[26:27], v[26:27], v[108:109] neg_lo:[0,1] neg_hi:[0,1]
	v_pk_add_f32 v[22:23], v[22:23], v[106:107] neg_lo:[0,1] neg_hi:[0,1]
	s_wait_dscnt 0x0
	v_pk_mul_f32 v[106:107], v[102:103], v[100:101] op_sel:[0,1]
	s_delay_alu instid0(VALU_DEP_1) | instskip(SKIP_2) | instid1(VALU_DEP_2)
	v_pk_fma_f32 v[108:109], v[102:103], v[98:99], v[106:107] op_sel:[0,0,1] op_sel_hi:[1,1,0] neg_lo:[0,0,1] neg_hi:[0,0,1]
	v_pk_fma_f32 v[102:103], v[102:103], v[98:99], v[106:107] op_sel:[0,0,1] op_sel_hi:[1,0,0]
	v_dual_mul_f32 v106, v105, v101 :: v_dual_mov_b32 v102, v105
	v_dual_mov_b32 v109, v103 :: v_dual_mov_b32 v103, v104
	s_delay_alu instid0(VALU_DEP_2) | instskip(SKIP_1) | instid1(VALU_DEP_3)
	v_pk_fma_f32 v[106:107], v[104:105], v[46:47], v[106:107] op_sel_hi:[1,1,0] neg_lo:[0,0,1] neg_hi:[0,0,1]
	v_mul_f32_e32 v104, v105, v98
	v_pk_add_f32 v[24:25], v[24:25], v[108:109] neg_lo:[0,1] neg_hi:[0,1]
	s_delay_alu instid0(VALU_DEP_2) | instskip(NEXT) | instid1(VALU_DEP_1)
	v_pk_fma_f32 v[102:103], v[102:103], v[46:47], v[104:105] op_sel_hi:[1,1,0]
	v_mov_b32_e32 v107, v103
	ds_load_2addr_b64 v[102:105], v136 offset0:8 offset1:9
	v_pk_add_f32 v[20:21], v[20:21], v[106:107] neg_lo:[0,1] neg_hi:[0,1]
	s_wait_dscnt 0x0
	v_pk_mul_f32 v[106:107], v[102:103], v[100:101] op_sel:[0,1]
	s_delay_alu instid0(VALU_DEP_1) | instskip(SKIP_1) | instid1(VALU_DEP_1)
	v_pk_fma_f32 v[108:109], v[102:103], v[98:99], v[106:107] op_sel:[0,0,1] op_sel_hi:[1,1,0] neg_lo:[0,0,1] neg_hi:[0,0,1]
	v_pk_fma_f32 v[102:103], v[102:103], v[98:99], v[106:107] op_sel:[0,0,1] op_sel_hi:[1,0,0]
	v_mov_b32_e32 v109, v103
	v_pk_mul_f32 v[102:103], v[104:105], v[100:101] op_sel:[0,1]
	s_delay_alu instid0(VALU_DEP_1) | instskip(SKIP_1) | instid1(VALU_DEP_1)
	v_pk_fma_f32 v[106:107], v[104:105], v[98:99], v[102:103] op_sel:[0,0,1] op_sel_hi:[1,1,0] neg_lo:[0,0,1] neg_hi:[0,0,1]
	v_pk_fma_f32 v[102:103], v[104:105], v[98:99], v[102:103] op_sel:[0,0,1] op_sel_hi:[1,0,0]
	v_mov_b32_e32 v107, v103
	ds_load_2addr_b64 v[102:105], v136 offset0:10 offset1:11
	v_pk_add_f32 v[42:43], v[42:43], v[108:109] neg_lo:[0,1] neg_hi:[0,1]
	v_pk_add_f32 v[38:39], v[38:39], v[106:107] neg_lo:[0,1] neg_hi:[0,1]
	s_wait_dscnt 0x0
	v_pk_mul_f32 v[106:107], v[102:103], v[100:101] op_sel:[0,1]
	s_delay_alu instid0(VALU_DEP_1) | instskip(SKIP_1) | instid1(VALU_DEP_1)
	v_pk_fma_f32 v[108:109], v[102:103], v[98:99], v[106:107] op_sel:[0,0,1] op_sel_hi:[1,1,0] neg_lo:[0,0,1] neg_hi:[0,0,1]
	v_pk_fma_f32 v[102:103], v[102:103], v[98:99], v[106:107] op_sel:[0,0,1] op_sel_hi:[1,0,0]
	v_mov_b32_e32 v109, v103
	v_pk_mul_f32 v[102:103], v[104:105], v[100:101] op_sel:[0,1]
	s_delay_alu instid0(VALU_DEP_1) | instskip(SKIP_1) | instid1(VALU_DEP_1)
	v_pk_fma_f32 v[106:107], v[104:105], v[98:99], v[102:103] op_sel:[0,0,1] op_sel_hi:[1,1,0] neg_lo:[0,0,1] neg_hi:[0,0,1]
	v_pk_fma_f32 v[102:103], v[104:105], v[98:99], v[102:103] op_sel:[0,0,1] op_sel_hi:[1,0,0]
	v_mov_b32_e32 v107, v103
	ds_load_2addr_b64 v[102:105], v136 offset0:12 offset1:13
	v_pk_add_f32 v[40:41], v[40:41], v[108:109] neg_lo:[0,1] neg_hi:[0,1]
	v_pk_add_f32 v[36:37], v[36:37], v[106:107] neg_lo:[0,1] neg_hi:[0,1]
	s_wait_dscnt 0x0
	v_dual_mul_f32 v106, v103, v101 :: v_dual_mul_f32 v108, v103, v98
	s_delay_alu instid0(VALU_DEP_1) | instskip(NEXT) | instid1(VALU_DEP_2)
	v_pk_fma_f32 v[106:107], v[102:103], v[46:47], v[106:107] op_sel_hi:[1,1,0] neg_lo:[0,0,1] neg_hi:[0,0,1]
	v_pk_fma_f32 v[102:103], v[102:103], v[46:47], v[108:109] op_sel:[1,0,0] op_sel_hi:[0,1,0]
	s_delay_alu instid0(VALU_DEP_1) | instskip(SKIP_1) | instid1(VALU_DEP_2)
	v_mov_b32_e32 v107, v103
	v_pk_mul_f32 v[102:103], v[104:105], v[100:101] op_sel:[0,1]
	v_pk_add_f32 v[68:69], v[68:69], v[106:107] neg_lo:[0,1] neg_hi:[0,1]
	s_delay_alu instid0(VALU_DEP_2) | instskip(SKIP_1) | instid1(VALU_DEP_1)
	v_pk_fma_f32 v[106:107], v[104:105], v[98:99], v[102:103] op_sel:[0,0,1] op_sel_hi:[1,1,0] neg_lo:[0,0,1] neg_hi:[0,0,1]
	v_pk_fma_f32 v[102:103], v[104:105], v[98:99], v[102:103] op_sel:[0,0,1] op_sel_hi:[1,0,0]
	v_mov_b32_e32 v107, v103
	ds_load_2addr_b64 v[102:105], v136 offset0:14 offset1:15
	v_pk_add_f32 v[64:65], v[64:65], v[106:107] neg_lo:[0,1] neg_hi:[0,1]
	s_wait_dscnt 0x0
	v_pk_mul_f32 v[106:107], v[102:103], v[100:101] op_sel:[0,1]
	s_delay_alu instid0(VALU_DEP_1) | instskip(SKIP_1) | instid1(VALU_DEP_1)
	v_pk_fma_f32 v[108:109], v[102:103], v[98:99], v[106:107] op_sel:[0,0,1] op_sel_hi:[1,1,0] neg_lo:[0,0,1] neg_hi:[0,0,1]
	v_pk_fma_f32 v[102:103], v[102:103], v[98:99], v[106:107] op_sel:[0,0,1] op_sel_hi:[1,0,0]
	v_mov_b32_e32 v109, v103
	v_pk_mul_f32 v[102:103], v[104:105], v[100:101] op_sel:[0,1]
	s_delay_alu instid0(VALU_DEP_2) | instskip(NEXT) | instid1(VALU_DEP_2)
	v_pk_add_f32 v[66:67], v[66:67], v[108:109] neg_lo:[0,1] neg_hi:[0,1]
	v_pk_fma_f32 v[106:107], v[104:105], v[98:99], v[102:103] op_sel:[0,0,1] op_sel_hi:[1,1,0] neg_lo:[0,0,1] neg_hi:[0,0,1]
	v_pk_fma_f32 v[102:103], v[104:105], v[98:99], v[102:103] op_sel:[0,0,1] op_sel_hi:[1,0,0]
	s_delay_alu instid0(VALU_DEP_1) | instskip(SKIP_4) | instid1(VALU_DEP_1)
	v_mov_b32_e32 v107, v103
	ds_load_2addr_b64 v[102:105], v136 offset0:16 offset1:17
	v_pk_add_f32 v[62:63], v[62:63], v[106:107] neg_lo:[0,1] neg_hi:[0,1]
	s_wait_dscnt 0x0
	v_pk_mul_f32 v[106:107], v[102:103], v[100:101] op_sel:[0,1]
	v_pk_fma_f32 v[108:109], v[102:103], v[98:99], v[106:107] op_sel:[0,0,1] op_sel_hi:[1,1,0] neg_lo:[0,0,1] neg_hi:[0,0,1]
	v_pk_fma_f32 v[102:103], v[102:103], v[98:99], v[106:107] op_sel:[0,0,1] op_sel_hi:[1,0,0]
	v_dual_mul_f32 v106, v105, v101 :: v_dual_mov_b32 v102, v105
	s_delay_alu instid0(VALU_DEP_2) | instskip(NEXT) | instid1(VALU_DEP_2)
	v_dual_mov_b32 v109, v103 :: v_dual_mov_b32 v103, v104
	v_pk_fma_f32 v[106:107], v[104:105], v[46:47], v[106:107] op_sel_hi:[1,1,0] neg_lo:[0,0,1] neg_hi:[0,0,1]
	v_mul_f32_e32 v104, v105, v98
	s_delay_alu instid0(VALU_DEP_3) | instskip(NEXT) | instid1(VALU_DEP_2)
	v_pk_add_f32 v[82:83], v[82:83], v[108:109] neg_lo:[0,1] neg_hi:[0,1]
	v_pk_fma_f32 v[102:103], v[102:103], v[46:47], v[104:105] op_sel_hi:[1,1,0]
	s_delay_alu instid0(VALU_DEP_1) | instskip(SKIP_4) | instid1(VALU_DEP_1)
	v_mov_b32_e32 v107, v103
	ds_load_2addr_b64 v[102:105], v136 offset0:18 offset1:19
	v_pk_add_f32 v[78:79], v[78:79], v[106:107] neg_lo:[0,1] neg_hi:[0,1]
	s_wait_dscnt 0x0
	v_pk_mul_f32 v[106:107], v[102:103], v[100:101] op_sel:[0,1]
	v_pk_fma_f32 v[108:109], v[102:103], v[98:99], v[106:107] op_sel:[0,0,1] op_sel_hi:[1,1,0] neg_lo:[0,0,1] neg_hi:[0,0,1]
	v_pk_fma_f32 v[102:103], v[102:103], v[98:99], v[106:107] op_sel:[0,0,1] op_sel_hi:[1,0,0]
	s_delay_alu instid0(VALU_DEP_1) | instskip(SKIP_1) | instid1(VALU_DEP_1)
	v_mov_b32_e32 v109, v103
	v_pk_mul_f32 v[102:103], v[104:105], v[100:101] op_sel:[0,1]
	v_pk_fma_f32 v[106:107], v[104:105], v[98:99], v[102:103] op_sel:[0,0,1] op_sel_hi:[1,1,0] neg_lo:[0,0,1] neg_hi:[0,0,1]
	v_pk_fma_f32 v[102:103], v[104:105], v[98:99], v[102:103] op_sel:[0,0,1] op_sel_hi:[1,0,0]
	s_delay_alu instid0(VALU_DEP_1)
	v_mov_b32_e32 v107, v103
	ds_load_2addr_b64 v[102:105], v136 offset0:20 offset1:21
	v_pk_add_f32 v[80:81], v[80:81], v[108:109] neg_lo:[0,1] neg_hi:[0,1]
	v_pk_add_f32 v[86:87], v[86:87], v[106:107] neg_lo:[0,1] neg_hi:[0,1]
	s_wait_dscnt 0x0
	v_pk_mul_f32 v[106:107], v[102:103], v[100:101] op_sel:[0,1]
	v_mul_f32_e32 v100, v105, v101
	s_delay_alu instid0(VALU_DEP_2) | instskip(SKIP_2) | instid1(VALU_DEP_4)
	v_pk_fma_f32 v[108:109], v[102:103], v[98:99], v[106:107] op_sel:[0,0,1] op_sel_hi:[1,1,0] neg_lo:[0,0,1] neg_hi:[0,0,1]
	v_pk_fma_f32 v[102:103], v[102:103], v[98:99], v[106:107] op_sel:[0,0,1] op_sel_hi:[1,0,0]
	v_dual_mov_b32 v102, v105 :: v_dual_mul_f32 v98, v105, v98
	v_pk_fma_f32 v[100:101], v[104:105], v[46:47], v[100:101] op_sel_hi:[1,1,0] neg_lo:[0,0,1] neg_hi:[0,0,1]
	s_delay_alu instid0(VALU_DEP_3) | instskip(NEXT) | instid1(VALU_DEP_1)
	v_dual_mov_b32 v109, v103 :: v_dual_mov_b32 v103, v104
	v_pk_add_f32 v[84:85], v[84:85], v[108:109] neg_lo:[0,1] neg_hi:[0,1]
	s_delay_alu instid0(VALU_DEP_2) | instskip(NEXT) | instid1(VALU_DEP_1)
	v_pk_fma_f32 v[98:99], v[102:103], v[46:47], v[98:99] op_sel_hi:[1,1,0]
	v_mov_b32_e32 v101, v99
	s_delay_alu instid0(VALU_DEP_1)
	v_pk_add_f32 v[88:89], v[88:89], v[100:101] neg_lo:[0,1] neg_hi:[0,1]
.LBB43_37:
	s_or_b32 exec_lo, exec_lo, s1
	s_delay_alu instid0(SALU_CYCLE_1)
	s_mov_b32 s2, exec_lo
	s_wait_dscnt 0x0
	s_barrier_signal -1
	s_barrier_wait -1
	v_cmpx_eq_u32_e32 4, v134
	s_cbranch_execz .LBB43_44
; %bb.38:
	ds_store_b64 v135, v[26:27]
	ds_store_2addr_b64 v136, v[22:23], v[24:25] offset0:5 offset1:6
	ds_store_2addr_b64 v136, v[20:21], v[42:43] offset0:7 offset1:8
	;; [unrolled: 1-line block ×8, first 2 shown]
	ds_store_b64 v136, v[88:89] offset:168
	ds_load_b64 v[98:99], v135
	s_wait_dscnt 0x0
	v_cmp_neq_f32_e32 vcc_lo, 0, v98
	v_cmp_neq_f32_e64 s1, 0, v99
	s_or_b32 s1, vcc_lo, s1
	s_delay_alu instid0(SALU_CYCLE_1)
	s_and_b32 exec_lo, exec_lo, s1
	s_cbranch_execz .LBB43_44
; %bb.39:
	v_cmp_ngt_f32_e64 s1, |v98|, |v99|
                                        ; implicit-def: $vgpr100_vgpr101
	s_and_saveexec_b32 s4, s1
	s_delay_alu instid0(SALU_CYCLE_1)
	s_xor_b32 s1, exec_lo, s4
	s_cbranch_execz .LBB43_41
; %bb.40:
	v_div_scale_f32 v100, null, v99, v99, v98
	v_div_scale_f32 v103, vcc_lo, v98, v99, v98
	s_delay_alu instid0(VALU_DEP_2) | instskip(SKIP_1) | instid1(TRANS32_DEP_1)
	v_rcp_f32_e32 v101, v100
	v_nop
	v_fma_f32 v102, -v100, v101, 1.0
	s_delay_alu instid0(VALU_DEP_1) | instskip(NEXT) | instid1(VALU_DEP_1)
	v_fmac_f32_e32 v101, v102, v101
	v_mul_f32_e32 v102, v103, v101
	s_delay_alu instid0(VALU_DEP_1) | instskip(NEXT) | instid1(VALU_DEP_1)
	v_fma_f32 v104, -v100, v102, v103
	v_fmac_f32_e32 v102, v104, v101
	s_delay_alu instid0(VALU_DEP_1) | instskip(NEXT) | instid1(VALU_DEP_1)
	v_fma_f32 v100, -v100, v102, v103
	v_div_fmas_f32 v100, v100, v101, v102
	s_delay_alu instid0(VALU_DEP_1) | instskip(NEXT) | instid1(VALU_DEP_1)
	v_div_fixup_f32 v100, v100, v99, v98
	v_fmac_f32_e32 v99, v98, v100
	s_delay_alu instid0(VALU_DEP_1) | instskip(SKIP_1) | instid1(VALU_DEP_2)
	v_div_scale_f32 v98, null, v99, v99, 1.0
	v_div_scale_f32 v103, vcc_lo, 1.0, v99, 1.0
	v_rcp_f32_e32 v101, v98
	v_nop
	s_delay_alu instid0(TRANS32_DEP_1) | instskip(NEXT) | instid1(VALU_DEP_1)
	v_fma_f32 v102, -v98, v101, 1.0
	v_fmac_f32_e32 v101, v102, v101
	s_delay_alu instid0(VALU_DEP_1) | instskip(NEXT) | instid1(VALU_DEP_1)
	v_mul_f32_e32 v102, v103, v101
	v_fma_f32 v104, -v98, v102, v103
	s_delay_alu instid0(VALU_DEP_1) | instskip(NEXT) | instid1(VALU_DEP_1)
	v_fmac_f32_e32 v102, v104, v101
	v_fma_f32 v98, -v98, v102, v103
	s_delay_alu instid0(VALU_DEP_1) | instskip(NEXT) | instid1(VALU_DEP_1)
	v_div_fmas_f32 v98, v98, v101, v102
	v_div_fixup_f32 v98, v98, v99, 1.0
	s_delay_alu instid0(VALU_DEP_1)
	v_mul_f32_e32 v100, v100, v98
	v_xor_b32_e32 v101, 0x80000000, v98
                                        ; implicit-def: $vgpr98_vgpr99
.LBB43_41:
	s_and_not1_saveexec_b32 s1, s1
	s_cbranch_execz .LBB43_43
; %bb.42:
	v_div_scale_f32 v100, null, v98, v98, v99
	v_div_scale_f32 v103, vcc_lo, v99, v98, v99
	s_delay_alu instid0(VALU_DEP_2) | instskip(SKIP_1) | instid1(TRANS32_DEP_1)
	v_rcp_f32_e32 v101, v100
	v_nop
	v_fma_f32 v102, -v100, v101, 1.0
	s_delay_alu instid0(VALU_DEP_1) | instskip(NEXT) | instid1(VALU_DEP_1)
	v_fmac_f32_e32 v101, v102, v101
	v_mul_f32_e32 v102, v103, v101
	s_delay_alu instid0(VALU_DEP_1) | instskip(NEXT) | instid1(VALU_DEP_1)
	v_fma_f32 v104, -v100, v102, v103
	v_fmac_f32_e32 v102, v104, v101
	s_delay_alu instid0(VALU_DEP_1) | instskip(NEXT) | instid1(VALU_DEP_1)
	v_fma_f32 v100, -v100, v102, v103
	v_div_fmas_f32 v100, v100, v101, v102
	s_delay_alu instid0(VALU_DEP_1) | instskip(NEXT) | instid1(VALU_DEP_1)
	v_div_fixup_f32 v101, v100, v98, v99
	v_fmac_f32_e32 v98, v99, v101
	s_delay_alu instid0(VALU_DEP_1) | instskip(NEXT) | instid1(VALU_DEP_1)
	v_div_scale_f32 v99, null, v98, v98, 1.0
	v_rcp_f32_e32 v100, v99
	v_nop
	s_delay_alu instid0(TRANS32_DEP_1) | instskip(NEXT) | instid1(VALU_DEP_1)
	v_fma_f32 v102, -v99, v100, 1.0
	v_fmac_f32_e32 v100, v102, v100
	v_div_scale_f32 v102, vcc_lo, 1.0, v98, 1.0
	s_delay_alu instid0(VALU_DEP_1) | instskip(NEXT) | instid1(VALU_DEP_1)
	v_mul_f32_e32 v103, v102, v100
	v_fma_f32 v104, -v99, v103, v102
	s_delay_alu instid0(VALU_DEP_1) | instskip(NEXT) | instid1(VALU_DEP_1)
	v_fmac_f32_e32 v103, v104, v100
	v_fma_f32 v99, -v99, v103, v102
	s_delay_alu instid0(VALU_DEP_1) | instskip(NEXT) | instid1(VALU_DEP_1)
	v_div_fmas_f32 v99, v99, v100, v103
	v_div_fixup_f32 v100, v99, v98, 1.0
	s_delay_alu instid0(VALU_DEP_1)
	v_mul_f32_e64 v101, v101, -v100
.LBB43_43:
	s_or_b32 exec_lo, exec_lo, s1
	ds_store_b64 v135, v[100:101]
.LBB43_44:
	s_or_b32 exec_lo, exec_lo, s2
	s_wait_dscnt 0x0
	s_barrier_signal -1
	s_barrier_wait -1
	ds_load_b64 v[98:99], v135
	s_mov_b32 s1, exec_lo
	v_cmpx_lt_u32_e32 4, v134
	s_cbranch_execz .LBB43_46
; %bb.45:
	ds_load_2addr_b64 v[104:107], v136 offset0:5 offset1:6
	s_wait_dscnt 0x1
	v_pk_mul_f32 v[102:103], v[98:99], v[26:27] op_sel:[1,1] op_sel_hi:[0,1]
	s_delay_alu instid0(VALU_DEP_1) | instskip(SKIP_1) | instid1(VALU_DEP_1)
	v_pk_fma_f32 v[100:101], v[98:99], v[26:27], v[102:103] op_sel_hi:[1,0,1] neg_lo:[0,0,1] neg_hi:[0,0,1]
	v_pk_fma_f32 v[102:103], v[98:99], v[26:27], v[102:103] op_sel_hi:[1,0,1]
	v_dual_mov_b32 v26, v100 :: v_dual_mov_b32 v27, v103
	s_wait_dscnt 0x0
	s_delay_alu instid0(VALU_DEP_2) | instskip(NEXT) | instid1(VALU_DEP_1)
	v_pk_mul_f32 v[108:109], v[104:105], v[102:103] op_sel:[0,1]
	v_pk_fma_f32 v[110:111], v[104:105], v[100:101], v[108:109] op_sel:[0,0,1] op_sel_hi:[1,1,0] neg_lo:[0,0,1] neg_hi:[0,0,1]
	v_pk_fma_f32 v[104:105], v[104:105], v[100:101], v[108:109] op_sel:[0,0,1] op_sel_hi:[1,0,0]
	s_delay_alu instid0(VALU_DEP_1) | instskip(SKIP_1) | instid1(VALU_DEP_1)
	v_mov_b32_e32 v111, v105
	v_pk_mul_f32 v[104:105], v[106:107], v[102:103] op_sel:[0,1]
	v_pk_fma_f32 v[108:109], v[106:107], v[100:101], v[104:105] op_sel:[0,0,1] op_sel_hi:[1,1,0] neg_lo:[0,0,1] neg_hi:[0,0,1]
	v_pk_fma_f32 v[104:105], v[106:107], v[100:101], v[104:105] op_sel:[0,0,1] op_sel_hi:[1,0,0]
	s_delay_alu instid0(VALU_DEP_1)
	v_mov_b32_e32 v109, v105
	ds_load_2addr_b64 v[104:107], v136 offset0:7 offset1:8
	v_pk_add_f32 v[22:23], v[22:23], v[110:111] neg_lo:[0,1] neg_hi:[0,1]
	v_pk_add_f32 v[24:25], v[24:25], v[108:109] neg_lo:[0,1] neg_hi:[0,1]
	s_wait_dscnt 0x0
	v_pk_mul_f32 v[108:109], v[104:105], v[102:103] op_sel:[0,1]
	s_delay_alu instid0(VALU_DEP_1) | instskip(SKIP_2) | instid1(VALU_DEP_2)
	v_pk_fma_f32 v[110:111], v[104:105], v[100:101], v[108:109] op_sel:[0,0,1] op_sel_hi:[1,1,0] neg_lo:[0,0,1] neg_hi:[0,0,1]
	v_pk_fma_f32 v[104:105], v[104:105], v[100:101], v[108:109] op_sel:[0,0,1] op_sel_hi:[1,0,0]
	v_dual_mul_f32 v108, v107, v103 :: v_dual_mov_b32 v104, v107
	v_dual_mov_b32 v111, v105 :: v_dual_mov_b32 v105, v106
	s_delay_alu instid0(VALU_DEP_2) | instskip(SKIP_1) | instid1(VALU_DEP_3)
	v_pk_fma_f32 v[108:109], v[106:107], v[26:27], v[108:109] op_sel_hi:[1,1,0] neg_lo:[0,0,1] neg_hi:[0,0,1]
	v_mul_f32_e32 v106, v107, v100
	v_pk_add_f32 v[20:21], v[20:21], v[110:111] neg_lo:[0,1] neg_hi:[0,1]
	s_delay_alu instid0(VALU_DEP_2) | instskip(NEXT) | instid1(VALU_DEP_1)
	v_pk_fma_f32 v[104:105], v[104:105], v[26:27], v[106:107] op_sel_hi:[1,1,0]
	v_mov_b32_e32 v109, v105
	ds_load_2addr_b64 v[104:107], v136 offset0:9 offset1:10
	v_pk_add_f32 v[42:43], v[42:43], v[108:109] neg_lo:[0,1] neg_hi:[0,1]
	s_wait_dscnt 0x0
	v_pk_mul_f32 v[108:109], v[104:105], v[102:103] op_sel:[0,1]
	s_delay_alu instid0(VALU_DEP_1) | instskip(SKIP_1) | instid1(VALU_DEP_1)
	v_pk_fma_f32 v[110:111], v[104:105], v[100:101], v[108:109] op_sel:[0,0,1] op_sel_hi:[1,1,0] neg_lo:[0,0,1] neg_hi:[0,0,1]
	v_pk_fma_f32 v[104:105], v[104:105], v[100:101], v[108:109] op_sel:[0,0,1] op_sel_hi:[1,0,0]
	v_mov_b32_e32 v111, v105
	v_pk_mul_f32 v[104:105], v[106:107], v[102:103] op_sel:[0,1]
	s_delay_alu instid0(VALU_DEP_1) | instskip(SKIP_1) | instid1(VALU_DEP_1)
	v_pk_fma_f32 v[108:109], v[106:107], v[100:101], v[104:105] op_sel:[0,0,1] op_sel_hi:[1,1,0] neg_lo:[0,0,1] neg_hi:[0,0,1]
	v_pk_fma_f32 v[104:105], v[106:107], v[100:101], v[104:105] op_sel:[0,0,1] op_sel_hi:[1,0,0]
	v_mov_b32_e32 v109, v105
	ds_load_2addr_b64 v[104:107], v136 offset0:11 offset1:12
	v_pk_add_f32 v[38:39], v[38:39], v[110:111] neg_lo:[0,1] neg_hi:[0,1]
	v_pk_add_f32 v[40:41], v[40:41], v[108:109] neg_lo:[0,1] neg_hi:[0,1]
	s_wait_dscnt 0x0
	v_pk_mul_f32 v[108:109], v[104:105], v[102:103] op_sel:[0,1]
	s_delay_alu instid0(VALU_DEP_1) | instskip(SKIP_1) | instid1(VALU_DEP_1)
	v_pk_fma_f32 v[110:111], v[104:105], v[100:101], v[108:109] op_sel:[0,0,1] op_sel_hi:[1,1,0] neg_lo:[0,0,1] neg_hi:[0,0,1]
	v_pk_fma_f32 v[104:105], v[104:105], v[100:101], v[108:109] op_sel:[0,0,1] op_sel_hi:[1,0,0]
	v_mov_b32_e32 v111, v105
	v_pk_mul_f32 v[104:105], v[106:107], v[102:103] op_sel:[0,1]
	s_delay_alu instid0(VALU_DEP_1) | instskip(SKIP_1) | instid1(VALU_DEP_1)
	v_pk_fma_f32 v[108:109], v[106:107], v[100:101], v[104:105] op_sel:[0,0,1] op_sel_hi:[1,1,0] neg_lo:[0,0,1] neg_hi:[0,0,1]
	v_pk_fma_f32 v[104:105], v[106:107], v[100:101], v[104:105] op_sel:[0,0,1] op_sel_hi:[1,0,0]
	v_mov_b32_e32 v109, v105
	ds_load_2addr_b64 v[104:107], v136 offset0:13 offset1:14
	v_pk_add_f32 v[36:37], v[36:37], v[110:111] neg_lo:[0,1] neg_hi:[0,1]
	v_pk_add_f32 v[68:69], v[68:69], v[108:109] neg_lo:[0,1] neg_hi:[0,1]
	s_wait_dscnt 0x0
	v_dual_mul_f32 v108, v105, v103 :: v_dual_mul_f32 v110, v105, v100
	s_delay_alu instid0(VALU_DEP_1) | instskip(NEXT) | instid1(VALU_DEP_2)
	v_pk_fma_f32 v[108:109], v[104:105], v[26:27], v[108:109] op_sel_hi:[1,1,0] neg_lo:[0,0,1] neg_hi:[0,0,1]
	v_pk_fma_f32 v[104:105], v[104:105], v[26:27], v[110:111] op_sel:[1,0,0] op_sel_hi:[0,1,0]
	s_delay_alu instid0(VALU_DEP_1) | instskip(SKIP_1) | instid1(VALU_DEP_2)
	v_mov_b32_e32 v109, v105
	v_pk_mul_f32 v[104:105], v[106:107], v[102:103] op_sel:[0,1]
	v_pk_add_f32 v[64:65], v[64:65], v[108:109] neg_lo:[0,1] neg_hi:[0,1]
	s_delay_alu instid0(VALU_DEP_2) | instskip(SKIP_1) | instid1(VALU_DEP_1)
	v_pk_fma_f32 v[108:109], v[106:107], v[100:101], v[104:105] op_sel:[0,0,1] op_sel_hi:[1,1,0] neg_lo:[0,0,1] neg_hi:[0,0,1]
	v_pk_fma_f32 v[104:105], v[106:107], v[100:101], v[104:105] op_sel:[0,0,1] op_sel_hi:[1,0,0]
	v_mov_b32_e32 v109, v105
	ds_load_2addr_b64 v[104:107], v136 offset0:15 offset1:16
	v_pk_add_f32 v[66:67], v[66:67], v[108:109] neg_lo:[0,1] neg_hi:[0,1]
	s_wait_dscnt 0x0
	v_pk_mul_f32 v[108:109], v[104:105], v[102:103] op_sel:[0,1]
	s_delay_alu instid0(VALU_DEP_1) | instskip(SKIP_1) | instid1(VALU_DEP_1)
	v_pk_fma_f32 v[110:111], v[104:105], v[100:101], v[108:109] op_sel:[0,0,1] op_sel_hi:[1,1,0] neg_lo:[0,0,1] neg_hi:[0,0,1]
	v_pk_fma_f32 v[104:105], v[104:105], v[100:101], v[108:109] op_sel:[0,0,1] op_sel_hi:[1,0,0]
	v_mov_b32_e32 v111, v105
	v_pk_mul_f32 v[104:105], v[106:107], v[102:103] op_sel:[0,1]
	s_delay_alu instid0(VALU_DEP_2) | instskip(NEXT) | instid1(VALU_DEP_2)
	v_pk_add_f32 v[62:63], v[62:63], v[110:111] neg_lo:[0,1] neg_hi:[0,1]
	v_pk_fma_f32 v[108:109], v[106:107], v[100:101], v[104:105] op_sel:[0,0,1] op_sel_hi:[1,1,0] neg_lo:[0,0,1] neg_hi:[0,0,1]
	v_pk_fma_f32 v[104:105], v[106:107], v[100:101], v[104:105] op_sel:[0,0,1] op_sel_hi:[1,0,0]
	s_delay_alu instid0(VALU_DEP_1) | instskip(SKIP_4) | instid1(VALU_DEP_1)
	v_mov_b32_e32 v109, v105
	ds_load_2addr_b64 v[104:107], v136 offset0:17 offset1:18
	v_pk_add_f32 v[82:83], v[82:83], v[108:109] neg_lo:[0,1] neg_hi:[0,1]
	s_wait_dscnt 0x0
	v_pk_mul_f32 v[108:109], v[104:105], v[102:103] op_sel:[0,1]
	v_pk_fma_f32 v[110:111], v[104:105], v[100:101], v[108:109] op_sel:[0,0,1] op_sel_hi:[1,1,0] neg_lo:[0,0,1] neg_hi:[0,0,1]
	v_pk_fma_f32 v[104:105], v[104:105], v[100:101], v[108:109] op_sel:[0,0,1] op_sel_hi:[1,0,0]
	v_dual_mul_f32 v108, v107, v103 :: v_dual_mov_b32 v104, v107
	s_delay_alu instid0(VALU_DEP_2) | instskip(NEXT) | instid1(VALU_DEP_2)
	v_dual_mov_b32 v111, v105 :: v_dual_mov_b32 v105, v106
	v_pk_fma_f32 v[108:109], v[106:107], v[26:27], v[108:109] op_sel_hi:[1,1,0] neg_lo:[0,0,1] neg_hi:[0,0,1]
	v_mul_f32_e32 v106, v107, v100
	s_delay_alu instid0(VALU_DEP_3) | instskip(NEXT) | instid1(VALU_DEP_2)
	v_pk_add_f32 v[78:79], v[78:79], v[110:111] neg_lo:[0,1] neg_hi:[0,1]
	v_pk_fma_f32 v[104:105], v[104:105], v[26:27], v[106:107] op_sel_hi:[1,1,0]
	s_delay_alu instid0(VALU_DEP_1) | instskip(SKIP_4) | instid1(VALU_DEP_1)
	v_mov_b32_e32 v109, v105
	ds_load_2addr_b64 v[104:107], v136 offset0:19 offset1:20
	v_pk_add_f32 v[80:81], v[80:81], v[108:109] neg_lo:[0,1] neg_hi:[0,1]
	s_wait_dscnt 0x0
	v_pk_mul_f32 v[108:109], v[104:105], v[102:103] op_sel:[0,1]
	v_pk_fma_f32 v[110:111], v[104:105], v[100:101], v[108:109] op_sel:[0,0,1] op_sel_hi:[1,1,0] neg_lo:[0,0,1] neg_hi:[0,0,1]
	v_pk_fma_f32 v[104:105], v[104:105], v[100:101], v[108:109] op_sel:[0,0,1] op_sel_hi:[1,0,0]
	s_delay_alu instid0(VALU_DEP_1) | instskip(SKIP_1) | instid1(VALU_DEP_1)
	v_mov_b32_e32 v111, v105
	v_pk_mul_f32 v[104:105], v[106:107], v[102:103] op_sel:[0,1]
	v_pk_fma_f32 v[108:109], v[106:107], v[100:101], v[104:105] op_sel:[0,0,1] op_sel_hi:[1,1,0] neg_lo:[0,0,1] neg_hi:[0,0,1]
	v_pk_fma_f32 v[104:105], v[106:107], v[100:101], v[104:105] op_sel:[0,0,1] op_sel_hi:[1,0,0]
	s_delay_alu instid0(VALU_DEP_1)
	v_mov_b32_e32 v109, v105
	ds_load_b64 v[104:105], v136 offset:168
	v_pk_add_f32 v[86:87], v[86:87], v[110:111] neg_lo:[0,1] neg_hi:[0,1]
	v_pk_add_f32 v[84:85], v[84:85], v[108:109] neg_lo:[0,1] neg_hi:[0,1]
	s_wait_dscnt 0x0
	v_pk_mul_f32 v[102:103], v[104:105], v[102:103] op_sel:[0,1]
	s_delay_alu instid0(VALU_DEP_1) | instskip(SKIP_1) | instid1(VALU_DEP_1)
	v_pk_fma_f32 v[106:107], v[104:105], v[100:101], v[102:103] op_sel:[0,0,1] op_sel_hi:[1,1,0] neg_lo:[0,0,1] neg_hi:[0,0,1]
	v_pk_fma_f32 v[100:101], v[104:105], v[100:101], v[102:103] op_sel:[0,0,1] op_sel_hi:[1,0,0]
	v_mov_b32_e32 v107, v101
	s_delay_alu instid0(VALU_DEP_1)
	v_pk_add_f32 v[88:89], v[88:89], v[106:107] neg_lo:[0,1] neg_hi:[0,1]
.LBB43_46:
	s_or_b32 exec_lo, exec_lo, s1
	s_delay_alu instid0(SALU_CYCLE_1)
	s_mov_b32 s2, exec_lo
	s_wait_dscnt 0x0
	s_barrier_signal -1
	s_barrier_wait -1
	v_cmpx_eq_u32_e32 5, v134
	s_cbranch_execz .LBB43_53
; %bb.47:
	v_dual_mov_b32 v100, v24 :: v_dual_mov_b32 v101, v25
	v_dual_mov_b32 v102, v20 :: v_dual_mov_b32 v103, v21
	;; [unrolled: 1-line block ×4, first 2 shown]
	ds_store_b64 v135, v[22:23]
	ds_store_2addr_b64 v136, v[100:101], v[102:103] offset0:6 offset1:7
	ds_store_2addr_b64 v136, v[104:105], v[106:107] offset0:8 offset1:9
	v_dual_mov_b32 v100, v40 :: v_dual_mov_b32 v101, v41
	v_dual_mov_b32 v102, v36 :: v_dual_mov_b32 v103, v37
	;; [unrolled: 1-line block ×11, first 2 shown]
	ds_store_2addr_b64 v136, v[100:101], v[102:103] offset0:10 offset1:11
	ds_store_2addr_b64 v136, v[104:105], v[106:107] offset0:12 offset1:13
	;; [unrolled: 1-line block ×6, first 2 shown]
	ds_load_b64 v[100:101], v135
	s_wait_dscnt 0x0
	v_cmp_neq_f32_e32 vcc_lo, 0, v100
	v_cmp_neq_f32_e64 s1, 0, v101
	s_or_b32 s1, vcc_lo, s1
	s_delay_alu instid0(SALU_CYCLE_1)
	s_and_b32 exec_lo, exec_lo, s1
	s_cbranch_execz .LBB43_53
; %bb.48:
	v_cmp_ngt_f32_e64 s1, |v100|, |v101|
                                        ; implicit-def: $vgpr102_vgpr103
	s_and_saveexec_b32 s4, s1
	s_delay_alu instid0(SALU_CYCLE_1)
	s_xor_b32 s1, exec_lo, s4
	s_cbranch_execz .LBB43_50
; %bb.49:
	v_div_scale_f32 v102, null, v101, v101, v100
	v_div_scale_f32 v105, vcc_lo, v100, v101, v100
	s_delay_alu instid0(VALU_DEP_2) | instskip(SKIP_1) | instid1(TRANS32_DEP_1)
	v_rcp_f32_e32 v103, v102
	v_nop
	v_fma_f32 v104, -v102, v103, 1.0
	s_delay_alu instid0(VALU_DEP_1) | instskip(NEXT) | instid1(VALU_DEP_1)
	v_fmac_f32_e32 v103, v104, v103
	v_mul_f32_e32 v104, v105, v103
	s_delay_alu instid0(VALU_DEP_1) | instskip(NEXT) | instid1(VALU_DEP_1)
	v_fma_f32 v106, -v102, v104, v105
	v_fmac_f32_e32 v104, v106, v103
	s_delay_alu instid0(VALU_DEP_1) | instskip(NEXT) | instid1(VALU_DEP_1)
	v_fma_f32 v102, -v102, v104, v105
	v_div_fmas_f32 v102, v102, v103, v104
	s_delay_alu instid0(VALU_DEP_1) | instskip(NEXT) | instid1(VALU_DEP_1)
	v_div_fixup_f32 v102, v102, v101, v100
	v_fmac_f32_e32 v101, v100, v102
	s_delay_alu instid0(VALU_DEP_1) | instskip(SKIP_1) | instid1(VALU_DEP_2)
	v_div_scale_f32 v100, null, v101, v101, 1.0
	v_div_scale_f32 v105, vcc_lo, 1.0, v101, 1.0
	v_rcp_f32_e32 v103, v100
	v_nop
	s_delay_alu instid0(TRANS32_DEP_1) | instskip(NEXT) | instid1(VALU_DEP_1)
	v_fma_f32 v104, -v100, v103, 1.0
	v_fmac_f32_e32 v103, v104, v103
	s_delay_alu instid0(VALU_DEP_1) | instskip(NEXT) | instid1(VALU_DEP_1)
	v_mul_f32_e32 v104, v105, v103
	v_fma_f32 v106, -v100, v104, v105
	s_delay_alu instid0(VALU_DEP_1) | instskip(NEXT) | instid1(VALU_DEP_1)
	v_fmac_f32_e32 v104, v106, v103
	v_fma_f32 v100, -v100, v104, v105
	s_delay_alu instid0(VALU_DEP_1) | instskip(NEXT) | instid1(VALU_DEP_1)
	v_div_fmas_f32 v100, v100, v103, v104
	v_div_fixup_f32 v100, v100, v101, 1.0
	s_delay_alu instid0(VALU_DEP_1)
	v_mul_f32_e32 v102, v102, v100
	v_xor_b32_e32 v103, 0x80000000, v100
                                        ; implicit-def: $vgpr100_vgpr101
.LBB43_50:
	s_and_not1_saveexec_b32 s1, s1
	s_cbranch_execz .LBB43_52
; %bb.51:
	v_div_scale_f32 v102, null, v100, v100, v101
	v_div_scale_f32 v105, vcc_lo, v101, v100, v101
	s_delay_alu instid0(VALU_DEP_2) | instskip(SKIP_1) | instid1(TRANS32_DEP_1)
	v_rcp_f32_e32 v103, v102
	v_nop
	v_fma_f32 v104, -v102, v103, 1.0
	s_delay_alu instid0(VALU_DEP_1) | instskip(NEXT) | instid1(VALU_DEP_1)
	v_fmac_f32_e32 v103, v104, v103
	v_mul_f32_e32 v104, v105, v103
	s_delay_alu instid0(VALU_DEP_1) | instskip(NEXT) | instid1(VALU_DEP_1)
	v_fma_f32 v106, -v102, v104, v105
	v_fmac_f32_e32 v104, v106, v103
	s_delay_alu instid0(VALU_DEP_1) | instskip(NEXT) | instid1(VALU_DEP_1)
	v_fma_f32 v102, -v102, v104, v105
	v_div_fmas_f32 v102, v102, v103, v104
	s_delay_alu instid0(VALU_DEP_1) | instskip(NEXT) | instid1(VALU_DEP_1)
	v_div_fixup_f32 v103, v102, v100, v101
	v_fmac_f32_e32 v100, v101, v103
	s_delay_alu instid0(VALU_DEP_1) | instskip(NEXT) | instid1(VALU_DEP_1)
	v_div_scale_f32 v101, null, v100, v100, 1.0
	v_rcp_f32_e32 v102, v101
	v_nop
	s_delay_alu instid0(TRANS32_DEP_1) | instskip(NEXT) | instid1(VALU_DEP_1)
	v_fma_f32 v104, -v101, v102, 1.0
	v_fmac_f32_e32 v102, v104, v102
	v_div_scale_f32 v104, vcc_lo, 1.0, v100, 1.0
	s_delay_alu instid0(VALU_DEP_1) | instskip(NEXT) | instid1(VALU_DEP_1)
	v_mul_f32_e32 v105, v104, v102
	v_fma_f32 v106, -v101, v105, v104
	s_delay_alu instid0(VALU_DEP_1) | instskip(NEXT) | instid1(VALU_DEP_1)
	v_fmac_f32_e32 v105, v106, v102
	v_fma_f32 v101, -v101, v105, v104
	s_delay_alu instid0(VALU_DEP_1) | instskip(NEXT) | instid1(VALU_DEP_1)
	v_div_fmas_f32 v101, v101, v102, v105
	v_div_fixup_f32 v102, v101, v100, 1.0
	s_delay_alu instid0(VALU_DEP_1)
	v_mul_f32_e64 v103, v103, -v102
.LBB43_52:
	s_or_b32 exec_lo, exec_lo, s1
	ds_store_b64 v135, v[102:103]
.LBB43_53:
	s_or_b32 exec_lo, exec_lo, s2
	s_wait_dscnt 0x0
	s_barrier_signal -1
	s_barrier_wait -1
	ds_load_b64 v[100:101], v135
	s_mov_b32 s1, exec_lo
	v_cmpx_lt_u32_e32 5, v134
	s_cbranch_execz .LBB43_55
; %bb.54:
	ds_load_2addr_b64 v[106:109], v136 offset0:6 offset1:7
	s_wait_dscnt 0x1
	v_pk_mul_f32 v[104:105], v[100:101], v[22:23] op_sel:[1,1] op_sel_hi:[0,1]
	s_delay_alu instid0(VALU_DEP_1) | instskip(SKIP_1) | instid1(VALU_DEP_1)
	v_pk_fma_f32 v[102:103], v[100:101], v[22:23], v[104:105] op_sel_hi:[1,0,1] neg_lo:[0,0,1] neg_hi:[0,0,1]
	v_pk_fma_f32 v[104:105], v[100:101], v[22:23], v[104:105] op_sel_hi:[1,0,1]
	v_dual_mov_b32 v22, v102 :: v_dual_mov_b32 v23, v105
	s_wait_dscnt 0x0
	s_delay_alu instid0(VALU_DEP_2) | instskip(NEXT) | instid1(VALU_DEP_1)
	v_pk_mul_f32 v[110:111], v[106:107], v[104:105] op_sel:[0,1]
	v_pk_fma_f32 v[112:113], v[106:107], v[102:103], v[110:111] op_sel:[0,0,1] op_sel_hi:[1,1,0] neg_lo:[0,0,1] neg_hi:[0,0,1]
	v_pk_fma_f32 v[106:107], v[106:107], v[102:103], v[110:111] op_sel:[0,0,1] op_sel_hi:[1,0,0]
	s_delay_alu instid0(VALU_DEP_1) | instskip(SKIP_1) | instid1(VALU_DEP_1)
	v_mov_b32_e32 v113, v107
	v_pk_mul_f32 v[106:107], v[108:109], v[104:105] op_sel:[0,1]
	v_pk_fma_f32 v[110:111], v[108:109], v[102:103], v[106:107] op_sel:[0,0,1] op_sel_hi:[1,1,0] neg_lo:[0,0,1] neg_hi:[0,0,1]
	v_pk_fma_f32 v[106:107], v[108:109], v[102:103], v[106:107] op_sel:[0,0,1] op_sel_hi:[1,0,0]
	s_delay_alu instid0(VALU_DEP_1)
	v_mov_b32_e32 v111, v107
	ds_load_2addr_b64 v[106:109], v136 offset0:8 offset1:9
	v_pk_add_f32 v[24:25], v[24:25], v[112:113] neg_lo:[0,1] neg_hi:[0,1]
	v_pk_add_f32 v[20:21], v[20:21], v[110:111] neg_lo:[0,1] neg_hi:[0,1]
	s_wait_dscnt 0x0
	v_pk_mul_f32 v[110:111], v[106:107], v[104:105] op_sel:[0,1]
	s_delay_alu instid0(VALU_DEP_1) | instskip(SKIP_2) | instid1(VALU_DEP_2)
	v_pk_fma_f32 v[112:113], v[106:107], v[102:103], v[110:111] op_sel:[0,0,1] op_sel_hi:[1,1,0] neg_lo:[0,0,1] neg_hi:[0,0,1]
	v_pk_fma_f32 v[106:107], v[106:107], v[102:103], v[110:111] op_sel:[0,0,1] op_sel_hi:[1,0,0]
	v_dual_mul_f32 v110, v109, v105 :: v_dual_mov_b32 v106, v109
	v_dual_mov_b32 v113, v107 :: v_dual_mov_b32 v107, v108
	s_delay_alu instid0(VALU_DEP_2) | instskip(SKIP_1) | instid1(VALU_DEP_3)
	v_pk_fma_f32 v[110:111], v[108:109], v[22:23], v[110:111] op_sel_hi:[1,1,0] neg_lo:[0,0,1] neg_hi:[0,0,1]
	v_mul_f32_e32 v108, v109, v102
	v_pk_add_f32 v[42:43], v[42:43], v[112:113] neg_lo:[0,1] neg_hi:[0,1]
	s_delay_alu instid0(VALU_DEP_2) | instskip(NEXT) | instid1(VALU_DEP_1)
	v_pk_fma_f32 v[106:107], v[106:107], v[22:23], v[108:109] op_sel_hi:[1,1,0]
	v_mov_b32_e32 v111, v107
	ds_load_2addr_b64 v[106:109], v136 offset0:10 offset1:11
	v_pk_add_f32 v[38:39], v[38:39], v[110:111] neg_lo:[0,1] neg_hi:[0,1]
	s_wait_dscnt 0x0
	v_pk_mul_f32 v[110:111], v[106:107], v[104:105] op_sel:[0,1]
	s_delay_alu instid0(VALU_DEP_1) | instskip(SKIP_1) | instid1(VALU_DEP_1)
	v_pk_fma_f32 v[112:113], v[106:107], v[102:103], v[110:111] op_sel:[0,0,1] op_sel_hi:[1,1,0] neg_lo:[0,0,1] neg_hi:[0,0,1]
	v_pk_fma_f32 v[106:107], v[106:107], v[102:103], v[110:111] op_sel:[0,0,1] op_sel_hi:[1,0,0]
	v_mov_b32_e32 v113, v107
	v_pk_mul_f32 v[106:107], v[108:109], v[104:105] op_sel:[0,1]
	s_delay_alu instid0(VALU_DEP_1) | instskip(SKIP_1) | instid1(VALU_DEP_1)
	v_pk_fma_f32 v[110:111], v[108:109], v[102:103], v[106:107] op_sel:[0,0,1] op_sel_hi:[1,1,0] neg_lo:[0,0,1] neg_hi:[0,0,1]
	v_pk_fma_f32 v[106:107], v[108:109], v[102:103], v[106:107] op_sel:[0,0,1] op_sel_hi:[1,0,0]
	v_mov_b32_e32 v111, v107
	ds_load_2addr_b64 v[106:109], v136 offset0:12 offset1:13
	v_pk_add_f32 v[40:41], v[40:41], v[112:113] neg_lo:[0,1] neg_hi:[0,1]
	v_pk_add_f32 v[36:37], v[36:37], v[110:111] neg_lo:[0,1] neg_hi:[0,1]
	s_wait_dscnt 0x0
	v_pk_mul_f32 v[110:111], v[106:107], v[104:105] op_sel:[0,1]
	s_delay_alu instid0(VALU_DEP_1) | instskip(SKIP_1) | instid1(VALU_DEP_1)
	v_pk_fma_f32 v[112:113], v[106:107], v[102:103], v[110:111] op_sel:[0,0,1] op_sel_hi:[1,1,0] neg_lo:[0,0,1] neg_hi:[0,0,1]
	v_pk_fma_f32 v[106:107], v[106:107], v[102:103], v[110:111] op_sel:[0,0,1] op_sel_hi:[1,0,0]
	v_mov_b32_e32 v113, v107
	v_pk_mul_f32 v[106:107], v[108:109], v[104:105] op_sel:[0,1]
	s_delay_alu instid0(VALU_DEP_1) | instskip(SKIP_1) | instid1(VALU_DEP_1)
	v_pk_fma_f32 v[110:111], v[108:109], v[102:103], v[106:107] op_sel:[0,0,1] op_sel_hi:[1,1,0] neg_lo:[0,0,1] neg_hi:[0,0,1]
	v_pk_fma_f32 v[106:107], v[108:109], v[102:103], v[106:107] op_sel:[0,0,1] op_sel_hi:[1,0,0]
	v_mov_b32_e32 v111, v107
	ds_load_2addr_b64 v[106:109], v136 offset0:14 offset1:15
	v_pk_add_f32 v[68:69], v[68:69], v[112:113] neg_lo:[0,1] neg_hi:[0,1]
	v_pk_add_f32 v[64:65], v[64:65], v[110:111] neg_lo:[0,1] neg_hi:[0,1]
	s_wait_dscnt 0x0
	v_dual_mul_f32 v110, v107, v105 :: v_dual_mul_f32 v112, v107, v102
	s_delay_alu instid0(VALU_DEP_1) | instskip(NEXT) | instid1(VALU_DEP_2)
	v_pk_fma_f32 v[110:111], v[106:107], v[22:23], v[110:111] op_sel_hi:[1,1,0] neg_lo:[0,0,1] neg_hi:[0,0,1]
	v_pk_fma_f32 v[106:107], v[106:107], v[22:23], v[112:113] op_sel:[1,0,0] op_sel_hi:[0,1,0]
	s_delay_alu instid0(VALU_DEP_1) | instskip(SKIP_1) | instid1(VALU_DEP_2)
	v_mov_b32_e32 v111, v107
	v_pk_mul_f32 v[106:107], v[108:109], v[104:105] op_sel:[0,1]
	v_pk_add_f32 v[66:67], v[66:67], v[110:111] neg_lo:[0,1] neg_hi:[0,1]
	s_delay_alu instid0(VALU_DEP_2) | instskip(SKIP_1) | instid1(VALU_DEP_1)
	v_pk_fma_f32 v[110:111], v[108:109], v[102:103], v[106:107] op_sel:[0,0,1] op_sel_hi:[1,1,0] neg_lo:[0,0,1] neg_hi:[0,0,1]
	v_pk_fma_f32 v[106:107], v[108:109], v[102:103], v[106:107] op_sel:[0,0,1] op_sel_hi:[1,0,0]
	v_mov_b32_e32 v111, v107
	ds_load_2addr_b64 v[106:109], v136 offset0:16 offset1:17
	v_pk_add_f32 v[62:63], v[62:63], v[110:111] neg_lo:[0,1] neg_hi:[0,1]
	s_wait_dscnt 0x0
	v_pk_mul_f32 v[110:111], v[106:107], v[104:105] op_sel:[0,1]
	s_delay_alu instid0(VALU_DEP_1) | instskip(SKIP_1) | instid1(VALU_DEP_1)
	v_pk_fma_f32 v[112:113], v[106:107], v[102:103], v[110:111] op_sel:[0,0,1] op_sel_hi:[1,1,0] neg_lo:[0,0,1] neg_hi:[0,0,1]
	v_pk_fma_f32 v[106:107], v[106:107], v[102:103], v[110:111] op_sel:[0,0,1] op_sel_hi:[1,0,0]
	v_mov_b32_e32 v113, v107
	v_pk_mul_f32 v[106:107], v[108:109], v[104:105] op_sel:[0,1]
	s_delay_alu instid0(VALU_DEP_2) | instskip(NEXT) | instid1(VALU_DEP_2)
	v_pk_add_f32 v[82:83], v[82:83], v[112:113] neg_lo:[0,1] neg_hi:[0,1]
	v_pk_fma_f32 v[110:111], v[108:109], v[102:103], v[106:107] op_sel:[0,0,1] op_sel_hi:[1,1,0] neg_lo:[0,0,1] neg_hi:[0,0,1]
	v_pk_fma_f32 v[106:107], v[108:109], v[102:103], v[106:107] op_sel:[0,0,1] op_sel_hi:[1,0,0]
	s_delay_alu instid0(VALU_DEP_1) | instskip(SKIP_4) | instid1(VALU_DEP_1)
	v_mov_b32_e32 v111, v107
	ds_load_2addr_b64 v[106:109], v136 offset0:18 offset1:19
	v_pk_add_f32 v[78:79], v[78:79], v[110:111] neg_lo:[0,1] neg_hi:[0,1]
	s_wait_dscnt 0x0
	v_pk_mul_f32 v[110:111], v[106:107], v[104:105] op_sel:[0,1]
	v_pk_fma_f32 v[112:113], v[106:107], v[102:103], v[110:111] op_sel:[0,0,1] op_sel_hi:[1,1,0] neg_lo:[0,0,1] neg_hi:[0,0,1]
	v_pk_fma_f32 v[106:107], v[106:107], v[102:103], v[110:111] op_sel:[0,0,1] op_sel_hi:[1,0,0]
	v_dual_mul_f32 v110, v109, v105 :: v_dual_mov_b32 v106, v109
	s_delay_alu instid0(VALU_DEP_2) | instskip(NEXT) | instid1(VALU_DEP_2)
	v_dual_mov_b32 v113, v107 :: v_dual_mov_b32 v107, v108
	v_pk_fma_f32 v[110:111], v[108:109], v[22:23], v[110:111] op_sel_hi:[1,1,0] neg_lo:[0,0,1] neg_hi:[0,0,1]
	v_mul_f32_e32 v108, v109, v102
	s_delay_alu instid0(VALU_DEP_3) | instskip(NEXT) | instid1(VALU_DEP_2)
	v_pk_add_f32 v[80:81], v[80:81], v[112:113] neg_lo:[0,1] neg_hi:[0,1]
	v_pk_fma_f32 v[106:107], v[106:107], v[22:23], v[108:109] op_sel_hi:[1,1,0]
	s_delay_alu instid0(VALU_DEP_1)
	v_mov_b32_e32 v111, v107
	ds_load_2addr_b64 v[106:109], v136 offset0:20 offset1:21
	v_pk_add_f32 v[86:87], v[86:87], v[110:111] neg_lo:[0,1] neg_hi:[0,1]
	s_wait_dscnt 0x0
	v_pk_mul_f32 v[110:111], v[106:107], v[104:105] op_sel:[0,1]
	v_pk_mul_f32 v[104:105], v[108:109], v[104:105] op_sel:[0,1]
	s_delay_alu instid0(VALU_DEP_2) | instskip(SKIP_1) | instid1(VALU_DEP_1)
	v_pk_fma_f32 v[112:113], v[106:107], v[102:103], v[110:111] op_sel:[0,0,1] op_sel_hi:[1,1,0] neg_lo:[0,0,1] neg_hi:[0,0,1]
	v_pk_fma_f32 v[106:107], v[106:107], v[102:103], v[110:111] op_sel:[0,0,1] op_sel_hi:[1,0,0]
	v_mov_b32_e32 v113, v107
	s_delay_alu instid0(VALU_DEP_4) | instskip(SKIP_1) | instid1(VALU_DEP_1)
	v_pk_fma_f32 v[106:107], v[108:109], v[102:103], v[104:105] op_sel:[0,0,1] op_sel_hi:[1,1,0] neg_lo:[0,0,1] neg_hi:[0,0,1]
	v_pk_fma_f32 v[102:103], v[108:109], v[102:103], v[104:105] op_sel:[0,0,1] op_sel_hi:[1,0,0]
	v_mov_b32_e32 v107, v103
	s_delay_alu instid0(VALU_DEP_4) | instskip(NEXT) | instid1(VALU_DEP_2)
	v_pk_add_f32 v[84:85], v[84:85], v[112:113] neg_lo:[0,1] neg_hi:[0,1]
	v_pk_add_f32 v[88:89], v[88:89], v[106:107] neg_lo:[0,1] neg_hi:[0,1]
.LBB43_55:
	s_or_b32 exec_lo, exec_lo, s1
	s_delay_alu instid0(SALU_CYCLE_1)
	s_mov_b32 s2, exec_lo
	s_wait_dscnt 0x0
	s_barrier_signal -1
	s_barrier_wait -1
	v_cmpx_eq_u32_e32 6, v134
	s_cbranch_execz .LBB43_62
; %bb.56:
	ds_store_b64 v135, v[24:25]
	ds_store_2addr_b64 v136, v[20:21], v[42:43] offset0:7 offset1:8
	ds_store_2addr_b64 v136, v[38:39], v[40:41] offset0:9 offset1:10
	;; [unrolled: 1-line block ×7, first 2 shown]
	ds_store_b64 v136, v[88:89] offset:168
	ds_load_b64 v[102:103], v135
	s_wait_dscnt 0x0
	v_cmp_neq_f32_e32 vcc_lo, 0, v102
	v_cmp_neq_f32_e64 s1, 0, v103
	s_or_b32 s1, vcc_lo, s1
	s_delay_alu instid0(SALU_CYCLE_1)
	s_and_b32 exec_lo, exec_lo, s1
	s_cbranch_execz .LBB43_62
; %bb.57:
	v_cmp_ngt_f32_e64 s1, |v102|, |v103|
                                        ; implicit-def: $vgpr104_vgpr105
	s_and_saveexec_b32 s4, s1
	s_delay_alu instid0(SALU_CYCLE_1)
	s_xor_b32 s1, exec_lo, s4
	s_cbranch_execz .LBB43_59
; %bb.58:
	v_div_scale_f32 v104, null, v103, v103, v102
	v_div_scale_f32 v107, vcc_lo, v102, v103, v102
	s_delay_alu instid0(VALU_DEP_2) | instskip(SKIP_1) | instid1(TRANS32_DEP_1)
	v_rcp_f32_e32 v105, v104
	v_nop
	v_fma_f32 v106, -v104, v105, 1.0
	s_delay_alu instid0(VALU_DEP_1) | instskip(NEXT) | instid1(VALU_DEP_1)
	v_fmac_f32_e32 v105, v106, v105
	v_mul_f32_e32 v106, v107, v105
	s_delay_alu instid0(VALU_DEP_1) | instskip(NEXT) | instid1(VALU_DEP_1)
	v_fma_f32 v108, -v104, v106, v107
	v_fmac_f32_e32 v106, v108, v105
	s_delay_alu instid0(VALU_DEP_1) | instskip(NEXT) | instid1(VALU_DEP_1)
	v_fma_f32 v104, -v104, v106, v107
	v_div_fmas_f32 v104, v104, v105, v106
	s_delay_alu instid0(VALU_DEP_1) | instskip(NEXT) | instid1(VALU_DEP_1)
	v_div_fixup_f32 v104, v104, v103, v102
	v_fmac_f32_e32 v103, v102, v104
	s_delay_alu instid0(VALU_DEP_1) | instskip(SKIP_1) | instid1(VALU_DEP_2)
	v_div_scale_f32 v102, null, v103, v103, 1.0
	v_div_scale_f32 v107, vcc_lo, 1.0, v103, 1.0
	v_rcp_f32_e32 v105, v102
	v_nop
	s_delay_alu instid0(TRANS32_DEP_1) | instskip(NEXT) | instid1(VALU_DEP_1)
	v_fma_f32 v106, -v102, v105, 1.0
	v_fmac_f32_e32 v105, v106, v105
	s_delay_alu instid0(VALU_DEP_1) | instskip(NEXT) | instid1(VALU_DEP_1)
	v_mul_f32_e32 v106, v107, v105
	v_fma_f32 v108, -v102, v106, v107
	s_delay_alu instid0(VALU_DEP_1) | instskip(NEXT) | instid1(VALU_DEP_1)
	v_fmac_f32_e32 v106, v108, v105
	v_fma_f32 v102, -v102, v106, v107
	s_delay_alu instid0(VALU_DEP_1) | instskip(NEXT) | instid1(VALU_DEP_1)
	v_div_fmas_f32 v102, v102, v105, v106
	v_div_fixup_f32 v102, v102, v103, 1.0
	s_delay_alu instid0(VALU_DEP_1)
	v_mul_f32_e32 v104, v104, v102
	v_xor_b32_e32 v105, 0x80000000, v102
                                        ; implicit-def: $vgpr102_vgpr103
.LBB43_59:
	s_and_not1_saveexec_b32 s1, s1
	s_cbranch_execz .LBB43_61
; %bb.60:
	v_div_scale_f32 v104, null, v102, v102, v103
	v_div_scale_f32 v107, vcc_lo, v103, v102, v103
	s_delay_alu instid0(VALU_DEP_2) | instskip(SKIP_1) | instid1(TRANS32_DEP_1)
	v_rcp_f32_e32 v105, v104
	v_nop
	v_fma_f32 v106, -v104, v105, 1.0
	s_delay_alu instid0(VALU_DEP_1) | instskip(NEXT) | instid1(VALU_DEP_1)
	v_fmac_f32_e32 v105, v106, v105
	v_mul_f32_e32 v106, v107, v105
	s_delay_alu instid0(VALU_DEP_1) | instskip(NEXT) | instid1(VALU_DEP_1)
	v_fma_f32 v108, -v104, v106, v107
	v_fmac_f32_e32 v106, v108, v105
	s_delay_alu instid0(VALU_DEP_1) | instskip(NEXT) | instid1(VALU_DEP_1)
	v_fma_f32 v104, -v104, v106, v107
	v_div_fmas_f32 v104, v104, v105, v106
	s_delay_alu instid0(VALU_DEP_1) | instskip(NEXT) | instid1(VALU_DEP_1)
	v_div_fixup_f32 v105, v104, v102, v103
	v_fmac_f32_e32 v102, v103, v105
	s_delay_alu instid0(VALU_DEP_1) | instskip(NEXT) | instid1(VALU_DEP_1)
	v_div_scale_f32 v103, null, v102, v102, 1.0
	v_rcp_f32_e32 v104, v103
	v_nop
	s_delay_alu instid0(TRANS32_DEP_1) | instskip(NEXT) | instid1(VALU_DEP_1)
	v_fma_f32 v106, -v103, v104, 1.0
	v_fmac_f32_e32 v104, v106, v104
	v_div_scale_f32 v106, vcc_lo, 1.0, v102, 1.0
	s_delay_alu instid0(VALU_DEP_1) | instskip(NEXT) | instid1(VALU_DEP_1)
	v_mul_f32_e32 v107, v106, v104
	v_fma_f32 v108, -v103, v107, v106
	s_delay_alu instid0(VALU_DEP_1) | instskip(NEXT) | instid1(VALU_DEP_1)
	v_fmac_f32_e32 v107, v108, v104
	v_fma_f32 v103, -v103, v107, v106
	s_delay_alu instid0(VALU_DEP_1) | instskip(NEXT) | instid1(VALU_DEP_1)
	v_div_fmas_f32 v103, v103, v104, v107
	v_div_fixup_f32 v104, v103, v102, 1.0
	s_delay_alu instid0(VALU_DEP_1)
	v_mul_f32_e64 v105, v105, -v104
.LBB43_61:
	s_or_b32 exec_lo, exec_lo, s1
	ds_store_b64 v135, v[104:105]
.LBB43_62:
	s_or_b32 exec_lo, exec_lo, s2
	s_wait_dscnt 0x0
	s_barrier_signal -1
	s_barrier_wait -1
	ds_load_b64 v[102:103], v135
	s_mov_b32 s1, exec_lo
	v_cmpx_lt_u32_e32 6, v134
	s_cbranch_execz .LBB43_64
; %bb.63:
	ds_load_2addr_b64 v[108:111], v136 offset0:7 offset1:8
	s_wait_dscnt 0x1
	v_pk_mul_f32 v[106:107], v[102:103], v[24:25] op_sel:[1,1] op_sel_hi:[0,1]
	s_delay_alu instid0(VALU_DEP_1) | instskip(SKIP_1) | instid1(VALU_DEP_1)
	v_pk_fma_f32 v[104:105], v[102:103], v[24:25], v[106:107] op_sel_hi:[1,0,1] neg_lo:[0,0,1] neg_hi:[0,0,1]
	v_pk_fma_f32 v[106:107], v[102:103], v[24:25], v[106:107] op_sel_hi:[1,0,1]
	v_dual_mov_b32 v24, v104 :: v_dual_mov_b32 v25, v107
	s_wait_dscnt 0x0
	s_delay_alu instid0(VALU_DEP_2) | instskip(NEXT) | instid1(VALU_DEP_1)
	v_pk_mul_f32 v[112:113], v[108:109], v[106:107] op_sel:[0,1]
	v_pk_fma_f32 v[114:115], v[108:109], v[104:105], v[112:113] op_sel:[0,0,1] op_sel_hi:[1,1,0] neg_lo:[0,0,1] neg_hi:[0,0,1]
	v_pk_fma_f32 v[108:109], v[108:109], v[104:105], v[112:113] op_sel:[0,0,1] op_sel_hi:[1,0,0]
	s_delay_alu instid0(VALU_DEP_1) | instskip(SKIP_1) | instid1(VALU_DEP_1)
	v_mov_b32_e32 v115, v109
	v_pk_mul_f32 v[108:109], v[110:111], v[106:107] op_sel:[0,1]
	v_pk_fma_f32 v[112:113], v[110:111], v[104:105], v[108:109] op_sel:[0,0,1] op_sel_hi:[1,1,0] neg_lo:[0,0,1] neg_hi:[0,0,1]
	v_pk_fma_f32 v[108:109], v[110:111], v[104:105], v[108:109] op_sel:[0,0,1] op_sel_hi:[1,0,0]
	s_delay_alu instid0(VALU_DEP_1)
	v_mov_b32_e32 v113, v109
	ds_load_2addr_b64 v[108:111], v136 offset0:9 offset1:10
	v_pk_add_f32 v[20:21], v[20:21], v[114:115] neg_lo:[0,1] neg_hi:[0,1]
	v_pk_add_f32 v[42:43], v[42:43], v[112:113] neg_lo:[0,1] neg_hi:[0,1]
	s_wait_dscnt 0x0
	v_pk_mul_f32 v[112:113], v[108:109], v[106:107] op_sel:[0,1]
	s_delay_alu instid0(VALU_DEP_1) | instskip(SKIP_2) | instid1(VALU_DEP_2)
	v_pk_fma_f32 v[114:115], v[108:109], v[104:105], v[112:113] op_sel:[0,0,1] op_sel_hi:[1,1,0] neg_lo:[0,0,1] neg_hi:[0,0,1]
	v_pk_fma_f32 v[108:109], v[108:109], v[104:105], v[112:113] op_sel:[0,0,1] op_sel_hi:[1,0,0]
	v_dual_mul_f32 v112, v111, v107 :: v_dual_mov_b32 v108, v111
	v_dual_mov_b32 v115, v109 :: v_dual_mov_b32 v109, v110
	s_delay_alu instid0(VALU_DEP_2) | instskip(SKIP_1) | instid1(VALU_DEP_3)
	v_pk_fma_f32 v[112:113], v[110:111], v[24:25], v[112:113] op_sel_hi:[1,1,0] neg_lo:[0,0,1] neg_hi:[0,0,1]
	v_mul_f32_e32 v110, v111, v104
	v_pk_add_f32 v[38:39], v[38:39], v[114:115] neg_lo:[0,1] neg_hi:[0,1]
	s_delay_alu instid0(VALU_DEP_2) | instskip(NEXT) | instid1(VALU_DEP_1)
	v_pk_fma_f32 v[108:109], v[108:109], v[24:25], v[110:111] op_sel_hi:[1,1,0]
	v_mov_b32_e32 v113, v109
	ds_load_2addr_b64 v[108:111], v136 offset0:11 offset1:12
	v_pk_add_f32 v[40:41], v[40:41], v[112:113] neg_lo:[0,1] neg_hi:[0,1]
	s_wait_dscnt 0x0
	v_pk_mul_f32 v[112:113], v[108:109], v[106:107] op_sel:[0,1]
	s_delay_alu instid0(VALU_DEP_1) | instskip(SKIP_1) | instid1(VALU_DEP_1)
	v_pk_fma_f32 v[114:115], v[108:109], v[104:105], v[112:113] op_sel:[0,0,1] op_sel_hi:[1,1,0] neg_lo:[0,0,1] neg_hi:[0,0,1]
	v_pk_fma_f32 v[108:109], v[108:109], v[104:105], v[112:113] op_sel:[0,0,1] op_sel_hi:[1,0,0]
	v_mov_b32_e32 v115, v109
	v_pk_mul_f32 v[108:109], v[110:111], v[106:107] op_sel:[0,1]
	s_delay_alu instid0(VALU_DEP_1) | instskip(SKIP_1) | instid1(VALU_DEP_1)
	v_pk_fma_f32 v[112:113], v[110:111], v[104:105], v[108:109] op_sel:[0,0,1] op_sel_hi:[1,1,0] neg_lo:[0,0,1] neg_hi:[0,0,1]
	v_pk_fma_f32 v[108:109], v[110:111], v[104:105], v[108:109] op_sel:[0,0,1] op_sel_hi:[1,0,0]
	v_mov_b32_e32 v113, v109
	ds_load_2addr_b64 v[108:111], v136 offset0:13 offset1:14
	v_pk_add_f32 v[36:37], v[36:37], v[114:115] neg_lo:[0,1] neg_hi:[0,1]
	v_pk_add_f32 v[68:69], v[68:69], v[112:113] neg_lo:[0,1] neg_hi:[0,1]
	s_wait_dscnt 0x0
	v_pk_mul_f32 v[112:113], v[108:109], v[106:107] op_sel:[0,1]
	s_delay_alu instid0(VALU_DEP_1) | instskip(SKIP_1) | instid1(VALU_DEP_1)
	v_pk_fma_f32 v[114:115], v[108:109], v[104:105], v[112:113] op_sel:[0,0,1] op_sel_hi:[1,1,0] neg_lo:[0,0,1] neg_hi:[0,0,1]
	v_pk_fma_f32 v[108:109], v[108:109], v[104:105], v[112:113] op_sel:[0,0,1] op_sel_hi:[1,0,0]
	v_mov_b32_e32 v115, v109
	v_pk_mul_f32 v[108:109], v[110:111], v[106:107] op_sel:[0,1]
	s_delay_alu instid0(VALU_DEP_1) | instskip(SKIP_1) | instid1(VALU_DEP_1)
	v_pk_fma_f32 v[112:113], v[110:111], v[104:105], v[108:109] op_sel:[0,0,1] op_sel_hi:[1,1,0] neg_lo:[0,0,1] neg_hi:[0,0,1]
	v_pk_fma_f32 v[108:109], v[110:111], v[104:105], v[108:109] op_sel:[0,0,1] op_sel_hi:[1,0,0]
	v_mov_b32_e32 v113, v109
	ds_load_2addr_b64 v[108:111], v136 offset0:15 offset1:16
	v_pk_add_f32 v[64:65], v[64:65], v[114:115] neg_lo:[0,1] neg_hi:[0,1]
	v_pk_add_f32 v[66:67], v[66:67], v[112:113] neg_lo:[0,1] neg_hi:[0,1]
	s_wait_dscnt 0x0
	v_dual_mul_f32 v112, v109, v107 :: v_dual_mul_f32 v114, v109, v104
	s_delay_alu instid0(VALU_DEP_1) | instskip(NEXT) | instid1(VALU_DEP_2)
	v_pk_fma_f32 v[112:113], v[108:109], v[24:25], v[112:113] op_sel_hi:[1,1,0] neg_lo:[0,0,1] neg_hi:[0,0,1]
	v_pk_fma_f32 v[108:109], v[108:109], v[24:25], v[114:115] op_sel:[1,0,0] op_sel_hi:[0,1,0]
	s_delay_alu instid0(VALU_DEP_1) | instskip(SKIP_1) | instid1(VALU_DEP_2)
	v_mov_b32_e32 v113, v109
	v_pk_mul_f32 v[108:109], v[110:111], v[106:107] op_sel:[0,1]
	v_pk_add_f32 v[62:63], v[62:63], v[112:113] neg_lo:[0,1] neg_hi:[0,1]
	s_delay_alu instid0(VALU_DEP_2) | instskip(SKIP_1) | instid1(VALU_DEP_1)
	v_pk_fma_f32 v[112:113], v[110:111], v[104:105], v[108:109] op_sel:[0,0,1] op_sel_hi:[1,1,0] neg_lo:[0,0,1] neg_hi:[0,0,1]
	v_pk_fma_f32 v[108:109], v[110:111], v[104:105], v[108:109] op_sel:[0,0,1] op_sel_hi:[1,0,0]
	v_mov_b32_e32 v113, v109
	ds_load_2addr_b64 v[108:111], v136 offset0:17 offset1:18
	v_pk_add_f32 v[82:83], v[82:83], v[112:113] neg_lo:[0,1] neg_hi:[0,1]
	s_wait_dscnt 0x0
	v_pk_mul_f32 v[112:113], v[108:109], v[106:107] op_sel:[0,1]
	s_delay_alu instid0(VALU_DEP_1) | instskip(SKIP_1) | instid1(VALU_DEP_1)
	v_pk_fma_f32 v[114:115], v[108:109], v[104:105], v[112:113] op_sel:[0,0,1] op_sel_hi:[1,1,0] neg_lo:[0,0,1] neg_hi:[0,0,1]
	v_pk_fma_f32 v[108:109], v[108:109], v[104:105], v[112:113] op_sel:[0,0,1] op_sel_hi:[1,0,0]
	v_mov_b32_e32 v115, v109
	v_pk_mul_f32 v[108:109], v[110:111], v[106:107] op_sel:[0,1]
	s_delay_alu instid0(VALU_DEP_2) | instskip(NEXT) | instid1(VALU_DEP_2)
	v_pk_add_f32 v[78:79], v[78:79], v[114:115] neg_lo:[0,1] neg_hi:[0,1]
	v_pk_fma_f32 v[112:113], v[110:111], v[104:105], v[108:109] op_sel:[0,0,1] op_sel_hi:[1,1,0] neg_lo:[0,0,1] neg_hi:[0,0,1]
	v_pk_fma_f32 v[108:109], v[110:111], v[104:105], v[108:109] op_sel:[0,0,1] op_sel_hi:[1,0,0]
	s_delay_alu instid0(VALU_DEP_1) | instskip(SKIP_4) | instid1(VALU_DEP_1)
	v_mov_b32_e32 v113, v109
	ds_load_2addr_b64 v[108:111], v136 offset0:19 offset1:20
	v_pk_add_f32 v[80:81], v[80:81], v[112:113] neg_lo:[0,1] neg_hi:[0,1]
	s_wait_dscnt 0x0
	v_pk_mul_f32 v[112:113], v[108:109], v[106:107] op_sel:[0,1]
	v_pk_fma_f32 v[114:115], v[108:109], v[104:105], v[112:113] op_sel:[0,0,1] op_sel_hi:[1,1,0] neg_lo:[0,0,1] neg_hi:[0,0,1]
	v_pk_fma_f32 v[108:109], v[108:109], v[104:105], v[112:113] op_sel:[0,0,1] op_sel_hi:[1,0,0]
	v_dual_mul_f32 v112, v111, v107 :: v_dual_mov_b32 v108, v111
	s_delay_alu instid0(VALU_DEP_2) | instskip(NEXT) | instid1(VALU_DEP_2)
	v_dual_mov_b32 v115, v109 :: v_dual_mov_b32 v109, v110
	v_pk_fma_f32 v[112:113], v[110:111], v[24:25], v[112:113] op_sel_hi:[1,1,0] neg_lo:[0,0,1] neg_hi:[0,0,1]
	v_mul_f32_e32 v110, v111, v104
	s_delay_alu instid0(VALU_DEP_3) | instskip(NEXT) | instid1(VALU_DEP_2)
	v_pk_add_f32 v[86:87], v[86:87], v[114:115] neg_lo:[0,1] neg_hi:[0,1]
	v_pk_fma_f32 v[108:109], v[108:109], v[24:25], v[110:111] op_sel_hi:[1,1,0]
	s_delay_alu instid0(VALU_DEP_1) | instskip(SKIP_4) | instid1(VALU_DEP_1)
	v_mov_b32_e32 v113, v109
	ds_load_b64 v[108:109], v136 offset:168
	v_pk_add_f32 v[84:85], v[84:85], v[112:113] neg_lo:[0,1] neg_hi:[0,1]
	s_wait_dscnt 0x0
	v_pk_mul_f32 v[106:107], v[108:109], v[106:107] op_sel:[0,1]
	v_pk_fma_f32 v[110:111], v[108:109], v[104:105], v[106:107] op_sel:[0,0,1] op_sel_hi:[1,1,0] neg_lo:[0,0,1] neg_hi:[0,0,1]
	v_pk_fma_f32 v[104:105], v[108:109], v[104:105], v[106:107] op_sel:[0,0,1] op_sel_hi:[1,0,0]
	s_delay_alu instid0(VALU_DEP_1) | instskip(NEXT) | instid1(VALU_DEP_1)
	v_mov_b32_e32 v111, v105
	v_pk_add_f32 v[88:89], v[88:89], v[110:111] neg_lo:[0,1] neg_hi:[0,1]
.LBB43_64:
	s_or_b32 exec_lo, exec_lo, s1
	s_delay_alu instid0(SALU_CYCLE_1)
	s_mov_b32 s2, exec_lo
	s_wait_dscnt 0x0
	s_barrier_signal -1
	s_barrier_wait -1
	v_cmpx_eq_u32_e32 7, v134
	s_cbranch_execz .LBB43_71
; %bb.65:
	v_dual_mov_b32 v104, v42 :: v_dual_mov_b32 v105, v43
	v_dual_mov_b32 v106, v38 :: v_dual_mov_b32 v107, v39
	;; [unrolled: 1-line block ×4, first 2 shown]
	ds_store_b64 v135, v[20:21]
	ds_store_2addr_b64 v136, v[104:105], v[106:107] offset0:8 offset1:9
	ds_store_2addr_b64 v136, v[108:109], v[110:111] offset0:10 offset1:11
	v_dual_mov_b32 v104, v68 :: v_dual_mov_b32 v105, v69
	v_dual_mov_b32 v106, v64 :: v_dual_mov_b32 v107, v65
	;; [unrolled: 1-line block ×9, first 2 shown]
	ds_store_2addr_b64 v136, v[104:105], v[106:107] offset0:12 offset1:13
	ds_store_2addr_b64 v136, v[108:109], v[110:111] offset0:14 offset1:15
	;; [unrolled: 1-line block ×5, first 2 shown]
	ds_load_b64 v[104:105], v135
	s_wait_dscnt 0x0
	v_cmp_neq_f32_e32 vcc_lo, 0, v104
	v_cmp_neq_f32_e64 s1, 0, v105
	s_or_b32 s1, vcc_lo, s1
	s_delay_alu instid0(SALU_CYCLE_1)
	s_and_b32 exec_lo, exec_lo, s1
	s_cbranch_execz .LBB43_71
; %bb.66:
	v_cmp_ngt_f32_e64 s1, |v104|, |v105|
                                        ; implicit-def: $vgpr106_vgpr107
	s_and_saveexec_b32 s4, s1
	s_delay_alu instid0(SALU_CYCLE_1)
	s_xor_b32 s1, exec_lo, s4
	s_cbranch_execz .LBB43_68
; %bb.67:
	v_div_scale_f32 v106, null, v105, v105, v104
	v_div_scale_f32 v109, vcc_lo, v104, v105, v104
	s_delay_alu instid0(VALU_DEP_2) | instskip(SKIP_1) | instid1(TRANS32_DEP_1)
	v_rcp_f32_e32 v107, v106
	v_nop
	v_fma_f32 v108, -v106, v107, 1.0
	s_delay_alu instid0(VALU_DEP_1) | instskip(NEXT) | instid1(VALU_DEP_1)
	v_fmac_f32_e32 v107, v108, v107
	v_mul_f32_e32 v108, v109, v107
	s_delay_alu instid0(VALU_DEP_1) | instskip(NEXT) | instid1(VALU_DEP_1)
	v_fma_f32 v110, -v106, v108, v109
	v_fmac_f32_e32 v108, v110, v107
	s_delay_alu instid0(VALU_DEP_1) | instskip(NEXT) | instid1(VALU_DEP_1)
	v_fma_f32 v106, -v106, v108, v109
	v_div_fmas_f32 v106, v106, v107, v108
	s_delay_alu instid0(VALU_DEP_1) | instskip(NEXT) | instid1(VALU_DEP_1)
	v_div_fixup_f32 v106, v106, v105, v104
	v_fmac_f32_e32 v105, v104, v106
	s_delay_alu instid0(VALU_DEP_1) | instskip(SKIP_1) | instid1(VALU_DEP_2)
	v_div_scale_f32 v104, null, v105, v105, 1.0
	v_div_scale_f32 v109, vcc_lo, 1.0, v105, 1.0
	v_rcp_f32_e32 v107, v104
	v_nop
	s_delay_alu instid0(TRANS32_DEP_1) | instskip(NEXT) | instid1(VALU_DEP_1)
	v_fma_f32 v108, -v104, v107, 1.0
	v_fmac_f32_e32 v107, v108, v107
	s_delay_alu instid0(VALU_DEP_1) | instskip(NEXT) | instid1(VALU_DEP_1)
	v_mul_f32_e32 v108, v109, v107
	v_fma_f32 v110, -v104, v108, v109
	s_delay_alu instid0(VALU_DEP_1) | instskip(NEXT) | instid1(VALU_DEP_1)
	v_fmac_f32_e32 v108, v110, v107
	v_fma_f32 v104, -v104, v108, v109
	s_delay_alu instid0(VALU_DEP_1) | instskip(NEXT) | instid1(VALU_DEP_1)
	v_div_fmas_f32 v104, v104, v107, v108
	v_div_fixup_f32 v104, v104, v105, 1.0
	s_delay_alu instid0(VALU_DEP_1)
	v_mul_f32_e32 v106, v106, v104
	v_xor_b32_e32 v107, 0x80000000, v104
                                        ; implicit-def: $vgpr104_vgpr105
.LBB43_68:
	s_and_not1_saveexec_b32 s1, s1
	s_cbranch_execz .LBB43_70
; %bb.69:
	v_div_scale_f32 v106, null, v104, v104, v105
	v_div_scale_f32 v109, vcc_lo, v105, v104, v105
	s_delay_alu instid0(VALU_DEP_2) | instskip(SKIP_1) | instid1(TRANS32_DEP_1)
	v_rcp_f32_e32 v107, v106
	v_nop
	v_fma_f32 v108, -v106, v107, 1.0
	s_delay_alu instid0(VALU_DEP_1) | instskip(NEXT) | instid1(VALU_DEP_1)
	v_fmac_f32_e32 v107, v108, v107
	v_mul_f32_e32 v108, v109, v107
	s_delay_alu instid0(VALU_DEP_1) | instskip(NEXT) | instid1(VALU_DEP_1)
	v_fma_f32 v110, -v106, v108, v109
	v_fmac_f32_e32 v108, v110, v107
	s_delay_alu instid0(VALU_DEP_1) | instskip(NEXT) | instid1(VALU_DEP_1)
	v_fma_f32 v106, -v106, v108, v109
	v_div_fmas_f32 v106, v106, v107, v108
	s_delay_alu instid0(VALU_DEP_1) | instskip(NEXT) | instid1(VALU_DEP_1)
	v_div_fixup_f32 v107, v106, v104, v105
	v_fmac_f32_e32 v104, v105, v107
	s_delay_alu instid0(VALU_DEP_1) | instskip(NEXT) | instid1(VALU_DEP_1)
	v_div_scale_f32 v105, null, v104, v104, 1.0
	v_rcp_f32_e32 v106, v105
	v_nop
	s_delay_alu instid0(TRANS32_DEP_1) | instskip(NEXT) | instid1(VALU_DEP_1)
	v_fma_f32 v108, -v105, v106, 1.0
	v_fmac_f32_e32 v106, v108, v106
	v_div_scale_f32 v108, vcc_lo, 1.0, v104, 1.0
	s_delay_alu instid0(VALU_DEP_1) | instskip(NEXT) | instid1(VALU_DEP_1)
	v_mul_f32_e32 v109, v108, v106
	v_fma_f32 v110, -v105, v109, v108
	s_delay_alu instid0(VALU_DEP_1) | instskip(NEXT) | instid1(VALU_DEP_1)
	v_fmac_f32_e32 v109, v110, v106
	v_fma_f32 v105, -v105, v109, v108
	s_delay_alu instid0(VALU_DEP_1) | instskip(NEXT) | instid1(VALU_DEP_1)
	v_div_fmas_f32 v105, v105, v106, v109
	v_div_fixup_f32 v106, v105, v104, 1.0
	s_delay_alu instid0(VALU_DEP_1)
	v_mul_f32_e64 v107, v107, -v106
.LBB43_70:
	s_or_b32 exec_lo, exec_lo, s1
	ds_store_b64 v135, v[106:107]
.LBB43_71:
	s_or_b32 exec_lo, exec_lo, s2
	s_wait_dscnt 0x0
	s_barrier_signal -1
	s_barrier_wait -1
	ds_load_b64 v[104:105], v135
	s_mov_b32 s1, exec_lo
	v_cmpx_lt_u32_e32 7, v134
	s_cbranch_execz .LBB43_73
; %bb.72:
	s_wait_dscnt 0x0
	v_pk_mul_f32 v[106:107], v[104:105], v[20:21] op_sel:[1,1] op_sel_hi:[0,1]
	s_delay_alu instid0(VALU_DEP_1)
	v_pk_fma_f32 v[110:111], v[104:105], v[20:21], v[106:107] op_sel_hi:[1,0,1] neg_lo:[0,0,1] neg_hi:[0,0,1]
	v_pk_fma_f32 v[112:113], v[104:105], v[20:21], v[106:107] op_sel_hi:[1,0,1]
	ds_load_2addr_b64 v[106:109], v136 offset0:8 offset1:9
	v_dual_mov_b32 v20, v110 :: v_dual_mov_b32 v21, v113
	s_wait_dscnt 0x0
	v_pk_mul_f32 v[114:115], v[106:107], v[112:113] op_sel:[0,1]
	s_delay_alu instid0(VALU_DEP_1) | instskip(SKIP_1) | instid1(VALU_DEP_1)
	v_pk_fma_f32 v[116:117], v[106:107], v[110:111], v[114:115] op_sel:[0,0,1] op_sel_hi:[1,1,0] neg_lo:[0,0,1] neg_hi:[0,0,1]
	v_pk_fma_f32 v[106:107], v[106:107], v[110:111], v[114:115] op_sel:[0,0,1] op_sel_hi:[1,0,0]
	v_mov_b32_e32 v117, v107
	v_pk_mul_f32 v[106:107], v[108:109], v[112:113] op_sel:[0,1]
	s_delay_alu instid0(VALU_DEP_1) | instskip(SKIP_1) | instid1(VALU_DEP_1)
	v_pk_fma_f32 v[114:115], v[108:109], v[110:111], v[106:107] op_sel:[0,0,1] op_sel_hi:[1,1,0] neg_lo:[0,0,1] neg_hi:[0,0,1]
	v_pk_fma_f32 v[106:107], v[108:109], v[110:111], v[106:107] op_sel:[0,0,1] op_sel_hi:[1,0,0]
	v_mov_b32_e32 v115, v107
	ds_load_2addr_b64 v[106:109], v136 offset0:10 offset1:11
	v_pk_add_f32 v[42:43], v[42:43], v[116:117] neg_lo:[0,1] neg_hi:[0,1]
	v_pk_add_f32 v[38:39], v[38:39], v[114:115] neg_lo:[0,1] neg_hi:[0,1]
	s_wait_dscnt 0x0
	v_pk_mul_f32 v[114:115], v[106:107], v[112:113] op_sel:[0,1]
	s_delay_alu instid0(VALU_DEP_1) | instskip(SKIP_2) | instid1(VALU_DEP_2)
	v_pk_fma_f32 v[116:117], v[106:107], v[110:111], v[114:115] op_sel:[0,0,1] op_sel_hi:[1,1,0] neg_lo:[0,0,1] neg_hi:[0,0,1]
	v_pk_fma_f32 v[106:107], v[106:107], v[110:111], v[114:115] op_sel:[0,0,1] op_sel_hi:[1,0,0]
	v_dual_mul_f32 v114, v109, v113 :: v_dual_mov_b32 v106, v109
	v_dual_mov_b32 v117, v107 :: v_dual_mov_b32 v107, v108
	s_delay_alu instid0(VALU_DEP_2) | instskip(SKIP_1) | instid1(VALU_DEP_3)
	v_pk_fma_f32 v[114:115], v[108:109], v[20:21], v[114:115] op_sel_hi:[1,1,0] neg_lo:[0,0,1] neg_hi:[0,0,1]
	v_mul_f32_e32 v108, v109, v110
	v_pk_add_f32 v[40:41], v[40:41], v[116:117] neg_lo:[0,1] neg_hi:[0,1]
	s_delay_alu instid0(VALU_DEP_2) | instskip(NEXT) | instid1(VALU_DEP_1)
	v_pk_fma_f32 v[106:107], v[106:107], v[20:21], v[108:109] op_sel_hi:[1,1,0]
	v_mov_b32_e32 v115, v107
	ds_load_2addr_b64 v[106:109], v136 offset0:12 offset1:13
	v_pk_add_f32 v[36:37], v[36:37], v[114:115] neg_lo:[0,1] neg_hi:[0,1]
	s_wait_dscnt 0x0
	v_pk_mul_f32 v[114:115], v[106:107], v[112:113] op_sel:[0,1]
	s_delay_alu instid0(VALU_DEP_1) | instskip(SKIP_1) | instid1(VALU_DEP_1)
	v_pk_fma_f32 v[116:117], v[106:107], v[110:111], v[114:115] op_sel:[0,0,1] op_sel_hi:[1,1,0] neg_lo:[0,0,1] neg_hi:[0,0,1]
	v_pk_fma_f32 v[106:107], v[106:107], v[110:111], v[114:115] op_sel:[0,0,1] op_sel_hi:[1,0,0]
	v_mov_b32_e32 v117, v107
	v_pk_mul_f32 v[106:107], v[108:109], v[112:113] op_sel:[0,1]
	s_delay_alu instid0(VALU_DEP_1) | instskip(SKIP_1) | instid1(VALU_DEP_1)
	v_pk_fma_f32 v[114:115], v[108:109], v[110:111], v[106:107] op_sel:[0,0,1] op_sel_hi:[1,1,0] neg_lo:[0,0,1] neg_hi:[0,0,1]
	v_pk_fma_f32 v[106:107], v[108:109], v[110:111], v[106:107] op_sel:[0,0,1] op_sel_hi:[1,0,0]
	v_mov_b32_e32 v115, v107
	ds_load_2addr_b64 v[106:109], v136 offset0:14 offset1:15
	v_pk_add_f32 v[68:69], v[68:69], v[116:117] neg_lo:[0,1] neg_hi:[0,1]
	v_pk_add_f32 v[64:65], v[64:65], v[114:115] neg_lo:[0,1] neg_hi:[0,1]
	s_wait_dscnt 0x0
	v_pk_mul_f32 v[114:115], v[106:107], v[112:113] op_sel:[0,1]
	s_delay_alu instid0(VALU_DEP_1) | instskip(SKIP_1) | instid1(VALU_DEP_1)
	v_pk_fma_f32 v[116:117], v[106:107], v[110:111], v[114:115] op_sel:[0,0,1] op_sel_hi:[1,1,0] neg_lo:[0,0,1] neg_hi:[0,0,1]
	v_pk_fma_f32 v[106:107], v[106:107], v[110:111], v[114:115] op_sel:[0,0,1] op_sel_hi:[1,0,0]
	v_mov_b32_e32 v117, v107
	v_pk_mul_f32 v[106:107], v[108:109], v[112:113] op_sel:[0,1]
	s_delay_alu instid0(VALU_DEP_1) | instskip(SKIP_1) | instid1(VALU_DEP_1)
	v_pk_fma_f32 v[114:115], v[108:109], v[110:111], v[106:107] op_sel:[0,0,1] op_sel_hi:[1,1,0] neg_lo:[0,0,1] neg_hi:[0,0,1]
	v_pk_fma_f32 v[106:107], v[108:109], v[110:111], v[106:107] op_sel:[0,0,1] op_sel_hi:[1,0,0]
	v_mov_b32_e32 v115, v107
	ds_load_2addr_b64 v[106:109], v136 offset0:16 offset1:17
	v_pk_add_f32 v[66:67], v[66:67], v[116:117] neg_lo:[0,1] neg_hi:[0,1]
	v_pk_add_f32 v[62:63], v[62:63], v[114:115] neg_lo:[0,1] neg_hi:[0,1]
	s_wait_dscnt 0x0
	v_dual_mul_f32 v114, v107, v113 :: v_dual_mul_f32 v116, v107, v110
	s_delay_alu instid0(VALU_DEP_1) | instskip(NEXT) | instid1(VALU_DEP_2)
	v_pk_fma_f32 v[114:115], v[106:107], v[20:21], v[114:115] op_sel_hi:[1,1,0] neg_lo:[0,0,1] neg_hi:[0,0,1]
	v_pk_fma_f32 v[106:107], v[106:107], v[20:21], v[116:117] op_sel:[1,0,0] op_sel_hi:[0,1,0]
	s_delay_alu instid0(VALU_DEP_1) | instskip(SKIP_1) | instid1(VALU_DEP_2)
	v_mov_b32_e32 v115, v107
	v_pk_mul_f32 v[106:107], v[108:109], v[112:113] op_sel:[0,1]
	v_pk_add_f32 v[82:83], v[82:83], v[114:115] neg_lo:[0,1] neg_hi:[0,1]
	s_delay_alu instid0(VALU_DEP_2) | instskip(SKIP_1) | instid1(VALU_DEP_1)
	v_pk_fma_f32 v[114:115], v[108:109], v[110:111], v[106:107] op_sel:[0,0,1] op_sel_hi:[1,1,0] neg_lo:[0,0,1] neg_hi:[0,0,1]
	v_pk_fma_f32 v[106:107], v[108:109], v[110:111], v[106:107] op_sel:[0,0,1] op_sel_hi:[1,0,0]
	v_mov_b32_e32 v115, v107
	ds_load_2addr_b64 v[106:109], v136 offset0:18 offset1:19
	v_pk_add_f32 v[78:79], v[78:79], v[114:115] neg_lo:[0,1] neg_hi:[0,1]
	s_wait_dscnt 0x0
	v_pk_mul_f32 v[114:115], v[106:107], v[112:113] op_sel:[0,1]
	s_delay_alu instid0(VALU_DEP_1) | instskip(SKIP_1) | instid1(VALU_DEP_1)
	v_pk_fma_f32 v[116:117], v[106:107], v[110:111], v[114:115] op_sel:[0,0,1] op_sel_hi:[1,1,0] neg_lo:[0,0,1] neg_hi:[0,0,1]
	v_pk_fma_f32 v[106:107], v[106:107], v[110:111], v[114:115] op_sel:[0,0,1] op_sel_hi:[1,0,0]
	v_mov_b32_e32 v117, v107
	v_pk_mul_f32 v[106:107], v[108:109], v[112:113] op_sel:[0,1]
	s_delay_alu instid0(VALU_DEP_2) | instskip(NEXT) | instid1(VALU_DEP_2)
	v_pk_add_f32 v[80:81], v[80:81], v[116:117] neg_lo:[0,1] neg_hi:[0,1]
	v_pk_fma_f32 v[114:115], v[108:109], v[110:111], v[106:107] op_sel:[0,0,1] op_sel_hi:[1,1,0] neg_lo:[0,0,1] neg_hi:[0,0,1]
	v_pk_fma_f32 v[106:107], v[108:109], v[110:111], v[106:107] op_sel:[0,0,1] op_sel_hi:[1,0,0]
	s_delay_alu instid0(VALU_DEP_1) | instskip(SKIP_4) | instid1(VALU_DEP_1)
	v_mov_b32_e32 v115, v107
	ds_load_2addr_b64 v[106:109], v136 offset0:20 offset1:21
	v_pk_add_f32 v[86:87], v[86:87], v[114:115] neg_lo:[0,1] neg_hi:[0,1]
	s_wait_dscnt 0x0
	v_pk_mul_f32 v[114:115], v[106:107], v[112:113] op_sel:[0,1]
	v_pk_fma_f32 v[116:117], v[106:107], v[110:111], v[114:115] op_sel:[0,0,1] op_sel_hi:[1,1,0] neg_lo:[0,0,1] neg_hi:[0,0,1]
	v_pk_fma_f32 v[106:107], v[106:107], v[110:111], v[114:115] op_sel:[0,0,1] op_sel_hi:[1,0,0]
	s_delay_alu instid0(VALU_DEP_1) | instskip(SKIP_1) | instid1(VALU_DEP_2)
	v_mov_b32_e32 v117, v107
	v_pk_mul_f32 v[106:107], v[108:109], v[112:113] op_sel:[0,1]
	v_pk_add_f32 v[84:85], v[84:85], v[116:117] neg_lo:[0,1] neg_hi:[0,1]
	s_delay_alu instid0(VALU_DEP_2) | instskip(SKIP_1) | instid1(VALU_DEP_1)
	v_pk_fma_f32 v[112:113], v[108:109], v[110:111], v[106:107] op_sel:[0,0,1] op_sel_hi:[1,1,0] neg_lo:[0,0,1] neg_hi:[0,0,1]
	v_pk_fma_f32 v[106:107], v[108:109], v[110:111], v[106:107] op_sel:[0,0,1] op_sel_hi:[1,0,0]
	v_mov_b32_e32 v113, v107
	s_delay_alu instid0(VALU_DEP_1)
	v_pk_add_f32 v[88:89], v[88:89], v[112:113] neg_lo:[0,1] neg_hi:[0,1]
.LBB43_73:
	s_or_b32 exec_lo, exec_lo, s1
	s_delay_alu instid0(SALU_CYCLE_1)
	s_mov_b32 s2, exec_lo
	s_wait_dscnt 0x0
	s_barrier_signal -1
	s_barrier_wait -1
	v_cmpx_eq_u32_e32 8, v134
	s_cbranch_execz .LBB43_80
; %bb.74:
	ds_store_b64 v135, v[42:43]
	ds_store_2addr_b64 v136, v[38:39], v[40:41] offset0:9 offset1:10
	ds_store_2addr_b64 v136, v[36:37], v[68:69] offset0:11 offset1:12
	;; [unrolled: 1-line block ×6, first 2 shown]
	ds_store_b64 v136, v[88:89] offset:168
	ds_load_b64 v[106:107], v135
	s_wait_dscnt 0x0
	v_cmp_neq_f32_e32 vcc_lo, 0, v106
	v_cmp_neq_f32_e64 s1, 0, v107
	s_or_b32 s1, vcc_lo, s1
	s_delay_alu instid0(SALU_CYCLE_1)
	s_and_b32 exec_lo, exec_lo, s1
	s_cbranch_execz .LBB43_80
; %bb.75:
	v_cmp_ngt_f32_e64 s1, |v106|, |v107|
                                        ; implicit-def: $vgpr108_vgpr109
	s_and_saveexec_b32 s4, s1
	s_delay_alu instid0(SALU_CYCLE_1)
	s_xor_b32 s1, exec_lo, s4
	s_cbranch_execz .LBB43_77
; %bb.76:
	v_div_scale_f32 v108, null, v107, v107, v106
	v_div_scale_f32 v111, vcc_lo, v106, v107, v106
	s_delay_alu instid0(VALU_DEP_2) | instskip(SKIP_1) | instid1(TRANS32_DEP_1)
	v_rcp_f32_e32 v109, v108
	v_nop
	v_fma_f32 v110, -v108, v109, 1.0
	s_delay_alu instid0(VALU_DEP_1) | instskip(NEXT) | instid1(VALU_DEP_1)
	v_fmac_f32_e32 v109, v110, v109
	v_mul_f32_e32 v110, v111, v109
	s_delay_alu instid0(VALU_DEP_1) | instskip(NEXT) | instid1(VALU_DEP_1)
	v_fma_f32 v112, -v108, v110, v111
	v_fmac_f32_e32 v110, v112, v109
	s_delay_alu instid0(VALU_DEP_1) | instskip(NEXT) | instid1(VALU_DEP_1)
	v_fma_f32 v108, -v108, v110, v111
	v_div_fmas_f32 v108, v108, v109, v110
	s_delay_alu instid0(VALU_DEP_1) | instskip(NEXT) | instid1(VALU_DEP_1)
	v_div_fixup_f32 v108, v108, v107, v106
	v_fmac_f32_e32 v107, v106, v108
	s_delay_alu instid0(VALU_DEP_1) | instskip(SKIP_1) | instid1(VALU_DEP_2)
	v_div_scale_f32 v106, null, v107, v107, 1.0
	v_div_scale_f32 v111, vcc_lo, 1.0, v107, 1.0
	v_rcp_f32_e32 v109, v106
	v_nop
	s_delay_alu instid0(TRANS32_DEP_1) | instskip(NEXT) | instid1(VALU_DEP_1)
	v_fma_f32 v110, -v106, v109, 1.0
	v_fmac_f32_e32 v109, v110, v109
	s_delay_alu instid0(VALU_DEP_1) | instskip(NEXT) | instid1(VALU_DEP_1)
	v_mul_f32_e32 v110, v111, v109
	v_fma_f32 v112, -v106, v110, v111
	s_delay_alu instid0(VALU_DEP_1) | instskip(NEXT) | instid1(VALU_DEP_1)
	v_fmac_f32_e32 v110, v112, v109
	v_fma_f32 v106, -v106, v110, v111
	s_delay_alu instid0(VALU_DEP_1) | instskip(NEXT) | instid1(VALU_DEP_1)
	v_div_fmas_f32 v106, v106, v109, v110
	v_div_fixup_f32 v106, v106, v107, 1.0
	s_delay_alu instid0(VALU_DEP_1)
	v_mul_f32_e32 v108, v108, v106
	v_xor_b32_e32 v109, 0x80000000, v106
                                        ; implicit-def: $vgpr106_vgpr107
.LBB43_77:
	s_and_not1_saveexec_b32 s1, s1
	s_cbranch_execz .LBB43_79
; %bb.78:
	v_div_scale_f32 v108, null, v106, v106, v107
	v_div_scale_f32 v111, vcc_lo, v107, v106, v107
	s_delay_alu instid0(VALU_DEP_2) | instskip(SKIP_1) | instid1(TRANS32_DEP_1)
	v_rcp_f32_e32 v109, v108
	v_nop
	v_fma_f32 v110, -v108, v109, 1.0
	s_delay_alu instid0(VALU_DEP_1) | instskip(NEXT) | instid1(VALU_DEP_1)
	v_fmac_f32_e32 v109, v110, v109
	v_mul_f32_e32 v110, v111, v109
	s_delay_alu instid0(VALU_DEP_1) | instskip(NEXT) | instid1(VALU_DEP_1)
	v_fma_f32 v112, -v108, v110, v111
	v_fmac_f32_e32 v110, v112, v109
	s_delay_alu instid0(VALU_DEP_1) | instskip(NEXT) | instid1(VALU_DEP_1)
	v_fma_f32 v108, -v108, v110, v111
	v_div_fmas_f32 v108, v108, v109, v110
	s_delay_alu instid0(VALU_DEP_1) | instskip(NEXT) | instid1(VALU_DEP_1)
	v_div_fixup_f32 v109, v108, v106, v107
	v_fmac_f32_e32 v106, v107, v109
	s_delay_alu instid0(VALU_DEP_1) | instskip(NEXT) | instid1(VALU_DEP_1)
	v_div_scale_f32 v107, null, v106, v106, 1.0
	v_rcp_f32_e32 v108, v107
	v_nop
	s_delay_alu instid0(TRANS32_DEP_1) | instskip(NEXT) | instid1(VALU_DEP_1)
	v_fma_f32 v110, -v107, v108, 1.0
	v_fmac_f32_e32 v108, v110, v108
	v_div_scale_f32 v110, vcc_lo, 1.0, v106, 1.0
	s_delay_alu instid0(VALU_DEP_1) | instskip(NEXT) | instid1(VALU_DEP_1)
	v_mul_f32_e32 v111, v110, v108
	v_fma_f32 v112, -v107, v111, v110
	s_delay_alu instid0(VALU_DEP_1) | instskip(NEXT) | instid1(VALU_DEP_1)
	v_fmac_f32_e32 v111, v112, v108
	v_fma_f32 v107, -v107, v111, v110
	s_delay_alu instid0(VALU_DEP_1) | instskip(NEXT) | instid1(VALU_DEP_1)
	v_div_fmas_f32 v107, v107, v108, v111
	v_div_fixup_f32 v108, v107, v106, 1.0
	s_delay_alu instid0(VALU_DEP_1)
	v_mul_f32_e64 v109, v109, -v108
.LBB43_79:
	s_or_b32 exec_lo, exec_lo, s1
	ds_store_b64 v135, v[108:109]
.LBB43_80:
	s_or_b32 exec_lo, exec_lo, s2
	s_wait_dscnt 0x0
	s_barrier_signal -1
	s_barrier_wait -1
	ds_load_b64 v[106:107], v135
	s_mov_b32 s1, exec_lo
	v_cmpx_lt_u32_e32 8, v134
	s_cbranch_execz .LBB43_82
; %bb.81:
	s_wait_dscnt 0x0
	v_pk_mul_f32 v[108:109], v[106:107], v[42:43] op_sel:[1,1] op_sel_hi:[0,1]
	s_delay_alu instid0(VALU_DEP_1)
	v_pk_fma_f32 v[112:113], v[106:107], v[42:43], v[108:109] op_sel_hi:[1,0,1] neg_lo:[0,0,1] neg_hi:[0,0,1]
	v_pk_fma_f32 v[114:115], v[106:107], v[42:43], v[108:109] op_sel_hi:[1,0,1]
	ds_load_2addr_b64 v[108:111], v136 offset0:9 offset1:10
	v_dual_mov_b32 v42, v112 :: v_dual_mov_b32 v43, v115
	s_wait_dscnt 0x0
	v_pk_mul_f32 v[116:117], v[108:109], v[114:115] op_sel:[0,1]
	s_delay_alu instid0(VALU_DEP_1) | instskip(SKIP_1) | instid1(VALU_DEP_1)
	v_pk_fma_f32 v[118:119], v[108:109], v[112:113], v[116:117] op_sel:[0,0,1] op_sel_hi:[1,1,0] neg_lo:[0,0,1] neg_hi:[0,0,1]
	v_pk_fma_f32 v[108:109], v[108:109], v[112:113], v[116:117] op_sel:[0,0,1] op_sel_hi:[1,0,0]
	v_mov_b32_e32 v119, v109
	v_pk_mul_f32 v[108:109], v[110:111], v[114:115] op_sel:[0,1]
	s_delay_alu instid0(VALU_DEP_1) | instskip(SKIP_1) | instid1(VALU_DEP_1)
	v_pk_fma_f32 v[116:117], v[110:111], v[112:113], v[108:109] op_sel:[0,0,1] op_sel_hi:[1,1,0] neg_lo:[0,0,1] neg_hi:[0,0,1]
	v_pk_fma_f32 v[108:109], v[110:111], v[112:113], v[108:109] op_sel:[0,0,1] op_sel_hi:[1,0,0]
	v_mov_b32_e32 v117, v109
	ds_load_2addr_b64 v[108:111], v136 offset0:11 offset1:12
	v_pk_add_f32 v[38:39], v[38:39], v[118:119] neg_lo:[0,1] neg_hi:[0,1]
	v_pk_add_f32 v[40:41], v[40:41], v[116:117] neg_lo:[0,1] neg_hi:[0,1]
	s_wait_dscnt 0x0
	v_pk_mul_f32 v[116:117], v[108:109], v[114:115] op_sel:[0,1]
	s_delay_alu instid0(VALU_DEP_1) | instskip(SKIP_2) | instid1(VALU_DEP_2)
	v_pk_fma_f32 v[118:119], v[108:109], v[112:113], v[116:117] op_sel:[0,0,1] op_sel_hi:[1,1,0] neg_lo:[0,0,1] neg_hi:[0,0,1]
	v_pk_fma_f32 v[108:109], v[108:109], v[112:113], v[116:117] op_sel:[0,0,1] op_sel_hi:[1,0,0]
	v_dual_mul_f32 v116, v111, v115 :: v_dual_mov_b32 v108, v111
	v_dual_mov_b32 v119, v109 :: v_dual_mov_b32 v109, v110
	s_delay_alu instid0(VALU_DEP_2) | instskip(SKIP_1) | instid1(VALU_DEP_3)
	v_pk_fma_f32 v[116:117], v[110:111], v[42:43], v[116:117] op_sel_hi:[1,1,0] neg_lo:[0,0,1] neg_hi:[0,0,1]
	v_mul_f32_e32 v110, v111, v112
	v_pk_add_f32 v[36:37], v[36:37], v[118:119] neg_lo:[0,1] neg_hi:[0,1]
	s_delay_alu instid0(VALU_DEP_2) | instskip(NEXT) | instid1(VALU_DEP_1)
	v_pk_fma_f32 v[108:109], v[108:109], v[42:43], v[110:111] op_sel_hi:[1,1,0]
	v_mov_b32_e32 v117, v109
	ds_load_2addr_b64 v[108:111], v136 offset0:13 offset1:14
	v_pk_add_f32 v[68:69], v[68:69], v[116:117] neg_lo:[0,1] neg_hi:[0,1]
	s_wait_dscnt 0x0
	v_pk_mul_f32 v[116:117], v[108:109], v[114:115] op_sel:[0,1]
	s_delay_alu instid0(VALU_DEP_1) | instskip(SKIP_1) | instid1(VALU_DEP_1)
	v_pk_fma_f32 v[118:119], v[108:109], v[112:113], v[116:117] op_sel:[0,0,1] op_sel_hi:[1,1,0] neg_lo:[0,0,1] neg_hi:[0,0,1]
	v_pk_fma_f32 v[108:109], v[108:109], v[112:113], v[116:117] op_sel:[0,0,1] op_sel_hi:[1,0,0]
	v_mov_b32_e32 v119, v109
	v_pk_mul_f32 v[108:109], v[110:111], v[114:115] op_sel:[0,1]
	s_delay_alu instid0(VALU_DEP_1) | instskip(SKIP_1) | instid1(VALU_DEP_1)
	v_pk_fma_f32 v[116:117], v[110:111], v[112:113], v[108:109] op_sel:[0,0,1] op_sel_hi:[1,1,0] neg_lo:[0,0,1] neg_hi:[0,0,1]
	v_pk_fma_f32 v[108:109], v[110:111], v[112:113], v[108:109] op_sel:[0,0,1] op_sel_hi:[1,0,0]
	v_mov_b32_e32 v117, v109
	ds_load_2addr_b64 v[108:111], v136 offset0:15 offset1:16
	v_pk_add_f32 v[64:65], v[64:65], v[118:119] neg_lo:[0,1] neg_hi:[0,1]
	v_pk_add_f32 v[66:67], v[66:67], v[116:117] neg_lo:[0,1] neg_hi:[0,1]
	s_wait_dscnt 0x0
	v_pk_mul_f32 v[116:117], v[108:109], v[114:115] op_sel:[0,1]
	s_delay_alu instid0(VALU_DEP_1) | instskip(SKIP_1) | instid1(VALU_DEP_1)
	v_pk_fma_f32 v[118:119], v[108:109], v[112:113], v[116:117] op_sel:[0,0,1] op_sel_hi:[1,1,0] neg_lo:[0,0,1] neg_hi:[0,0,1]
	v_pk_fma_f32 v[108:109], v[108:109], v[112:113], v[116:117] op_sel:[0,0,1] op_sel_hi:[1,0,0]
	v_mov_b32_e32 v119, v109
	v_pk_mul_f32 v[108:109], v[110:111], v[114:115] op_sel:[0,1]
	s_delay_alu instid0(VALU_DEP_1) | instskip(SKIP_1) | instid1(VALU_DEP_1)
	v_pk_fma_f32 v[116:117], v[110:111], v[112:113], v[108:109] op_sel:[0,0,1] op_sel_hi:[1,1,0] neg_lo:[0,0,1] neg_hi:[0,0,1]
	v_pk_fma_f32 v[108:109], v[110:111], v[112:113], v[108:109] op_sel:[0,0,1] op_sel_hi:[1,0,0]
	v_mov_b32_e32 v117, v109
	ds_load_2addr_b64 v[108:111], v136 offset0:17 offset1:18
	v_pk_add_f32 v[62:63], v[62:63], v[118:119] neg_lo:[0,1] neg_hi:[0,1]
	v_pk_add_f32 v[82:83], v[82:83], v[116:117] neg_lo:[0,1] neg_hi:[0,1]
	s_wait_dscnt 0x0
	v_dual_mul_f32 v116, v109, v115 :: v_dual_mul_f32 v118, v109, v112
	s_delay_alu instid0(VALU_DEP_1) | instskip(NEXT) | instid1(VALU_DEP_2)
	v_pk_fma_f32 v[116:117], v[108:109], v[42:43], v[116:117] op_sel_hi:[1,1,0] neg_lo:[0,0,1] neg_hi:[0,0,1]
	v_pk_fma_f32 v[108:109], v[108:109], v[42:43], v[118:119] op_sel:[1,0,0] op_sel_hi:[0,1,0]
	s_delay_alu instid0(VALU_DEP_1) | instskip(SKIP_1) | instid1(VALU_DEP_2)
	v_mov_b32_e32 v117, v109
	v_pk_mul_f32 v[108:109], v[110:111], v[114:115] op_sel:[0,1]
	v_pk_add_f32 v[78:79], v[78:79], v[116:117] neg_lo:[0,1] neg_hi:[0,1]
	s_delay_alu instid0(VALU_DEP_2) | instskip(SKIP_1) | instid1(VALU_DEP_1)
	v_pk_fma_f32 v[116:117], v[110:111], v[112:113], v[108:109] op_sel:[0,0,1] op_sel_hi:[1,1,0] neg_lo:[0,0,1] neg_hi:[0,0,1]
	v_pk_fma_f32 v[108:109], v[110:111], v[112:113], v[108:109] op_sel:[0,0,1] op_sel_hi:[1,0,0]
	v_mov_b32_e32 v117, v109
	ds_load_2addr_b64 v[108:111], v136 offset0:19 offset1:20
	v_pk_add_f32 v[80:81], v[80:81], v[116:117] neg_lo:[0,1] neg_hi:[0,1]
	s_wait_dscnt 0x0
	v_pk_mul_f32 v[116:117], v[108:109], v[114:115] op_sel:[0,1]
	s_delay_alu instid0(VALU_DEP_1) | instskip(SKIP_1) | instid1(VALU_DEP_1)
	v_pk_fma_f32 v[118:119], v[108:109], v[112:113], v[116:117] op_sel:[0,0,1] op_sel_hi:[1,1,0] neg_lo:[0,0,1] neg_hi:[0,0,1]
	v_pk_fma_f32 v[108:109], v[108:109], v[112:113], v[116:117] op_sel:[0,0,1] op_sel_hi:[1,0,0]
	v_mov_b32_e32 v119, v109
	v_pk_mul_f32 v[108:109], v[110:111], v[114:115] op_sel:[0,1]
	s_delay_alu instid0(VALU_DEP_2) | instskip(NEXT) | instid1(VALU_DEP_2)
	v_pk_add_f32 v[86:87], v[86:87], v[118:119] neg_lo:[0,1] neg_hi:[0,1]
	v_pk_fma_f32 v[116:117], v[110:111], v[112:113], v[108:109] op_sel:[0,0,1] op_sel_hi:[1,1,0] neg_lo:[0,0,1] neg_hi:[0,0,1]
	v_pk_fma_f32 v[108:109], v[110:111], v[112:113], v[108:109] op_sel:[0,0,1] op_sel_hi:[1,0,0]
	s_delay_alu instid0(VALU_DEP_1) | instskip(SKIP_4) | instid1(VALU_DEP_1)
	v_mov_b32_e32 v117, v109
	ds_load_b64 v[108:109], v136 offset:168
	v_pk_add_f32 v[84:85], v[84:85], v[116:117] neg_lo:[0,1] neg_hi:[0,1]
	s_wait_dscnt 0x0
	v_pk_mul_f32 v[110:111], v[108:109], v[114:115] op_sel:[0,1]
	v_pk_fma_f32 v[114:115], v[108:109], v[112:113], v[110:111] op_sel:[0,0,1] op_sel_hi:[1,1,0] neg_lo:[0,0,1] neg_hi:[0,0,1]
	v_pk_fma_f32 v[108:109], v[108:109], v[112:113], v[110:111] op_sel:[0,0,1] op_sel_hi:[1,0,0]
	s_delay_alu instid0(VALU_DEP_1) | instskip(NEXT) | instid1(VALU_DEP_1)
	v_mov_b32_e32 v115, v109
	v_pk_add_f32 v[88:89], v[88:89], v[114:115] neg_lo:[0,1] neg_hi:[0,1]
.LBB43_82:
	s_or_b32 exec_lo, exec_lo, s1
	s_delay_alu instid0(SALU_CYCLE_1)
	s_mov_b32 s2, exec_lo
	s_wait_dscnt 0x0
	s_barrier_signal -1
	s_barrier_wait -1
	v_cmpx_eq_u32_e32 9, v134
	s_cbranch_execz .LBB43_89
; %bb.83:
	v_dual_mov_b32 v108, v40 :: v_dual_mov_b32 v109, v41
	v_dual_mov_b32 v110, v36 :: v_dual_mov_b32 v111, v37
	ds_store_b64 v135, v[38:39]
	ds_store_2addr_b64 v136, v[108:109], v[110:111] offset0:10 offset1:11
	v_dual_mov_b32 v108, v68 :: v_dual_mov_b32 v109, v69
	v_dual_mov_b32 v110, v64 :: v_dual_mov_b32 v111, v65
	ds_store_2addr_b64 v136, v[108:109], v[110:111] offset0:12 offset1:13
	v_dual_mov_b32 v108, v66 :: v_dual_mov_b32 v109, v67
	v_dual_mov_b32 v110, v62 :: v_dual_mov_b32 v111, v63
	;; [unrolled: 3-line block ×4, first 2 shown]
	ds_store_2addr_b64 v136, v[108:109], v[110:111] offset0:18 offset1:19
	v_dual_mov_b32 v108, v84 :: v_dual_mov_b32 v109, v85
	ds_store_2addr_b64 v136, v[108:109], v[88:89] offset0:20 offset1:21
	ds_load_b64 v[108:109], v135
	s_wait_dscnt 0x0
	v_cmp_neq_f32_e32 vcc_lo, 0, v108
	v_cmp_neq_f32_e64 s1, 0, v109
	s_or_b32 s1, vcc_lo, s1
	s_delay_alu instid0(SALU_CYCLE_1)
	s_and_b32 exec_lo, exec_lo, s1
	s_cbranch_execz .LBB43_89
; %bb.84:
	v_cmp_ngt_f32_e64 s1, |v108|, |v109|
                                        ; implicit-def: $vgpr110_vgpr111
	s_and_saveexec_b32 s4, s1
	s_delay_alu instid0(SALU_CYCLE_1)
	s_xor_b32 s1, exec_lo, s4
	s_cbranch_execz .LBB43_86
; %bb.85:
	v_div_scale_f32 v110, null, v109, v109, v108
	v_div_scale_f32 v113, vcc_lo, v108, v109, v108
	s_delay_alu instid0(VALU_DEP_2) | instskip(SKIP_1) | instid1(TRANS32_DEP_1)
	v_rcp_f32_e32 v111, v110
	v_nop
	v_fma_f32 v112, -v110, v111, 1.0
	s_delay_alu instid0(VALU_DEP_1) | instskip(NEXT) | instid1(VALU_DEP_1)
	v_fmac_f32_e32 v111, v112, v111
	v_mul_f32_e32 v112, v113, v111
	s_delay_alu instid0(VALU_DEP_1) | instskip(NEXT) | instid1(VALU_DEP_1)
	v_fma_f32 v114, -v110, v112, v113
	v_fmac_f32_e32 v112, v114, v111
	s_delay_alu instid0(VALU_DEP_1) | instskip(NEXT) | instid1(VALU_DEP_1)
	v_fma_f32 v110, -v110, v112, v113
	v_div_fmas_f32 v110, v110, v111, v112
	s_delay_alu instid0(VALU_DEP_1) | instskip(NEXT) | instid1(VALU_DEP_1)
	v_div_fixup_f32 v110, v110, v109, v108
	v_fmac_f32_e32 v109, v108, v110
	s_delay_alu instid0(VALU_DEP_1) | instskip(SKIP_1) | instid1(VALU_DEP_2)
	v_div_scale_f32 v108, null, v109, v109, 1.0
	v_div_scale_f32 v113, vcc_lo, 1.0, v109, 1.0
	v_rcp_f32_e32 v111, v108
	v_nop
	s_delay_alu instid0(TRANS32_DEP_1) | instskip(NEXT) | instid1(VALU_DEP_1)
	v_fma_f32 v112, -v108, v111, 1.0
	v_fmac_f32_e32 v111, v112, v111
	s_delay_alu instid0(VALU_DEP_1) | instskip(NEXT) | instid1(VALU_DEP_1)
	v_mul_f32_e32 v112, v113, v111
	v_fma_f32 v114, -v108, v112, v113
	s_delay_alu instid0(VALU_DEP_1) | instskip(NEXT) | instid1(VALU_DEP_1)
	v_fmac_f32_e32 v112, v114, v111
	v_fma_f32 v108, -v108, v112, v113
	s_delay_alu instid0(VALU_DEP_1) | instskip(NEXT) | instid1(VALU_DEP_1)
	v_div_fmas_f32 v108, v108, v111, v112
	v_div_fixup_f32 v108, v108, v109, 1.0
	s_delay_alu instid0(VALU_DEP_1)
	v_mul_f32_e32 v110, v110, v108
	v_xor_b32_e32 v111, 0x80000000, v108
                                        ; implicit-def: $vgpr108_vgpr109
.LBB43_86:
	s_and_not1_saveexec_b32 s1, s1
	s_cbranch_execz .LBB43_88
; %bb.87:
	v_div_scale_f32 v110, null, v108, v108, v109
	v_div_scale_f32 v113, vcc_lo, v109, v108, v109
	s_delay_alu instid0(VALU_DEP_2) | instskip(SKIP_1) | instid1(TRANS32_DEP_1)
	v_rcp_f32_e32 v111, v110
	v_nop
	v_fma_f32 v112, -v110, v111, 1.0
	s_delay_alu instid0(VALU_DEP_1) | instskip(NEXT) | instid1(VALU_DEP_1)
	v_fmac_f32_e32 v111, v112, v111
	v_mul_f32_e32 v112, v113, v111
	s_delay_alu instid0(VALU_DEP_1) | instskip(NEXT) | instid1(VALU_DEP_1)
	v_fma_f32 v114, -v110, v112, v113
	v_fmac_f32_e32 v112, v114, v111
	s_delay_alu instid0(VALU_DEP_1) | instskip(NEXT) | instid1(VALU_DEP_1)
	v_fma_f32 v110, -v110, v112, v113
	v_div_fmas_f32 v110, v110, v111, v112
	s_delay_alu instid0(VALU_DEP_1) | instskip(NEXT) | instid1(VALU_DEP_1)
	v_div_fixup_f32 v111, v110, v108, v109
	v_fmac_f32_e32 v108, v109, v111
	s_delay_alu instid0(VALU_DEP_1) | instskip(NEXT) | instid1(VALU_DEP_1)
	v_div_scale_f32 v109, null, v108, v108, 1.0
	v_rcp_f32_e32 v110, v109
	v_nop
	s_delay_alu instid0(TRANS32_DEP_1) | instskip(NEXT) | instid1(VALU_DEP_1)
	v_fma_f32 v112, -v109, v110, 1.0
	v_fmac_f32_e32 v110, v112, v110
	v_div_scale_f32 v112, vcc_lo, 1.0, v108, 1.0
	s_delay_alu instid0(VALU_DEP_1) | instskip(NEXT) | instid1(VALU_DEP_1)
	v_mul_f32_e32 v113, v112, v110
	v_fma_f32 v114, -v109, v113, v112
	s_delay_alu instid0(VALU_DEP_1) | instskip(NEXT) | instid1(VALU_DEP_1)
	v_fmac_f32_e32 v113, v114, v110
	v_fma_f32 v109, -v109, v113, v112
	s_delay_alu instid0(VALU_DEP_1) | instskip(NEXT) | instid1(VALU_DEP_1)
	v_div_fmas_f32 v109, v109, v110, v113
	v_div_fixup_f32 v110, v109, v108, 1.0
	s_delay_alu instid0(VALU_DEP_1)
	v_mul_f32_e64 v111, v111, -v110
.LBB43_88:
	s_or_b32 exec_lo, exec_lo, s1
	ds_store_b64 v135, v[110:111]
.LBB43_89:
	s_or_b32 exec_lo, exec_lo, s2
	s_wait_dscnt 0x0
	s_barrier_signal -1
	s_barrier_wait -1
	ds_load_b64 v[108:109], v135
	s_mov_b32 s1, exec_lo
	v_cmpx_lt_u32_e32 9, v134
	s_cbranch_execz .LBB43_91
; %bb.90:
	s_wait_dscnt 0x0
	v_pk_mul_f32 v[110:111], v[108:109], v[38:39] op_sel:[1,1] op_sel_hi:[0,1]
	s_delay_alu instid0(VALU_DEP_1)
	v_pk_fma_f32 v[114:115], v[108:109], v[38:39], v[110:111] op_sel_hi:[1,0,1] neg_lo:[0,0,1] neg_hi:[0,0,1]
	v_pk_fma_f32 v[116:117], v[108:109], v[38:39], v[110:111] op_sel_hi:[1,0,1]
	ds_load_2addr_b64 v[110:113], v136 offset0:10 offset1:11
	v_dual_mov_b32 v38, v114 :: v_dual_mov_b32 v39, v117
	s_wait_dscnt 0x0
	v_pk_mul_f32 v[118:119], v[110:111], v[116:117] op_sel:[0,1]
	s_delay_alu instid0(VALU_DEP_1) | instskip(SKIP_1) | instid1(VALU_DEP_1)
	v_pk_fma_f32 v[120:121], v[110:111], v[114:115], v[118:119] op_sel:[0,0,1] op_sel_hi:[1,1,0] neg_lo:[0,0,1] neg_hi:[0,0,1]
	v_pk_fma_f32 v[110:111], v[110:111], v[114:115], v[118:119] op_sel:[0,0,1] op_sel_hi:[1,0,0]
	v_mov_b32_e32 v121, v111
	v_pk_mul_f32 v[110:111], v[112:113], v[116:117] op_sel:[0,1]
	s_delay_alu instid0(VALU_DEP_1) | instskip(SKIP_1) | instid1(VALU_DEP_1)
	v_pk_fma_f32 v[118:119], v[112:113], v[114:115], v[110:111] op_sel:[0,0,1] op_sel_hi:[1,1,0] neg_lo:[0,0,1] neg_hi:[0,0,1]
	v_pk_fma_f32 v[110:111], v[112:113], v[114:115], v[110:111] op_sel:[0,0,1] op_sel_hi:[1,0,0]
	v_mov_b32_e32 v119, v111
	ds_load_2addr_b64 v[110:113], v136 offset0:12 offset1:13
	v_pk_add_f32 v[40:41], v[40:41], v[120:121] neg_lo:[0,1] neg_hi:[0,1]
	v_pk_add_f32 v[36:37], v[36:37], v[118:119] neg_lo:[0,1] neg_hi:[0,1]
	s_wait_dscnt 0x0
	v_pk_mul_f32 v[118:119], v[110:111], v[116:117] op_sel:[0,1]
	s_delay_alu instid0(VALU_DEP_1) | instskip(SKIP_2) | instid1(VALU_DEP_2)
	v_pk_fma_f32 v[120:121], v[110:111], v[114:115], v[118:119] op_sel:[0,0,1] op_sel_hi:[1,1,0] neg_lo:[0,0,1] neg_hi:[0,0,1]
	v_pk_fma_f32 v[110:111], v[110:111], v[114:115], v[118:119] op_sel:[0,0,1] op_sel_hi:[1,0,0]
	v_dual_mul_f32 v118, v113, v117 :: v_dual_mov_b32 v110, v113
	v_dual_mov_b32 v121, v111 :: v_dual_mov_b32 v111, v112
	s_delay_alu instid0(VALU_DEP_2) | instskip(SKIP_1) | instid1(VALU_DEP_3)
	v_pk_fma_f32 v[118:119], v[112:113], v[38:39], v[118:119] op_sel_hi:[1,1,0] neg_lo:[0,0,1] neg_hi:[0,0,1]
	v_mul_f32_e32 v112, v113, v114
	v_pk_add_f32 v[68:69], v[68:69], v[120:121] neg_lo:[0,1] neg_hi:[0,1]
	s_delay_alu instid0(VALU_DEP_2) | instskip(NEXT) | instid1(VALU_DEP_1)
	v_pk_fma_f32 v[110:111], v[110:111], v[38:39], v[112:113] op_sel_hi:[1,1,0]
	v_mov_b32_e32 v119, v111
	ds_load_2addr_b64 v[110:113], v136 offset0:14 offset1:15
	v_pk_add_f32 v[64:65], v[64:65], v[118:119] neg_lo:[0,1] neg_hi:[0,1]
	s_wait_dscnt 0x0
	v_pk_mul_f32 v[118:119], v[110:111], v[116:117] op_sel:[0,1]
	s_delay_alu instid0(VALU_DEP_1) | instskip(SKIP_1) | instid1(VALU_DEP_1)
	v_pk_fma_f32 v[120:121], v[110:111], v[114:115], v[118:119] op_sel:[0,0,1] op_sel_hi:[1,1,0] neg_lo:[0,0,1] neg_hi:[0,0,1]
	v_pk_fma_f32 v[110:111], v[110:111], v[114:115], v[118:119] op_sel:[0,0,1] op_sel_hi:[1,0,0]
	v_mov_b32_e32 v121, v111
	v_pk_mul_f32 v[110:111], v[112:113], v[116:117] op_sel:[0,1]
	s_delay_alu instid0(VALU_DEP_1) | instskip(SKIP_1) | instid1(VALU_DEP_1)
	v_pk_fma_f32 v[118:119], v[112:113], v[114:115], v[110:111] op_sel:[0,0,1] op_sel_hi:[1,1,0] neg_lo:[0,0,1] neg_hi:[0,0,1]
	v_pk_fma_f32 v[110:111], v[112:113], v[114:115], v[110:111] op_sel:[0,0,1] op_sel_hi:[1,0,0]
	v_mov_b32_e32 v119, v111
	ds_load_2addr_b64 v[110:113], v136 offset0:16 offset1:17
	v_pk_add_f32 v[66:67], v[66:67], v[120:121] neg_lo:[0,1] neg_hi:[0,1]
	v_pk_add_f32 v[62:63], v[62:63], v[118:119] neg_lo:[0,1] neg_hi:[0,1]
	s_wait_dscnt 0x0
	v_pk_mul_f32 v[118:119], v[110:111], v[116:117] op_sel:[0,1]
	s_delay_alu instid0(VALU_DEP_1) | instskip(SKIP_1) | instid1(VALU_DEP_1)
	v_pk_fma_f32 v[120:121], v[110:111], v[114:115], v[118:119] op_sel:[0,0,1] op_sel_hi:[1,1,0] neg_lo:[0,0,1] neg_hi:[0,0,1]
	v_pk_fma_f32 v[110:111], v[110:111], v[114:115], v[118:119] op_sel:[0,0,1] op_sel_hi:[1,0,0]
	v_mov_b32_e32 v121, v111
	v_pk_mul_f32 v[110:111], v[112:113], v[116:117] op_sel:[0,1]
	s_delay_alu instid0(VALU_DEP_1) | instskip(SKIP_1) | instid1(VALU_DEP_1)
	v_pk_fma_f32 v[118:119], v[112:113], v[114:115], v[110:111] op_sel:[0,0,1] op_sel_hi:[1,1,0] neg_lo:[0,0,1] neg_hi:[0,0,1]
	v_pk_fma_f32 v[110:111], v[112:113], v[114:115], v[110:111] op_sel:[0,0,1] op_sel_hi:[1,0,0]
	v_mov_b32_e32 v119, v111
	ds_load_2addr_b64 v[110:113], v136 offset0:18 offset1:19
	v_pk_add_f32 v[82:83], v[82:83], v[120:121] neg_lo:[0,1] neg_hi:[0,1]
	v_pk_add_f32 v[78:79], v[78:79], v[118:119] neg_lo:[0,1] neg_hi:[0,1]
	s_wait_dscnt 0x0
	v_dual_mul_f32 v118, v111, v117 :: v_dual_mul_f32 v120, v111, v114
	s_delay_alu instid0(VALU_DEP_1) | instskip(NEXT) | instid1(VALU_DEP_2)
	v_pk_fma_f32 v[118:119], v[110:111], v[38:39], v[118:119] op_sel_hi:[1,1,0] neg_lo:[0,0,1] neg_hi:[0,0,1]
	v_pk_fma_f32 v[110:111], v[110:111], v[38:39], v[120:121] op_sel:[1,0,0] op_sel_hi:[0,1,0]
	s_delay_alu instid0(VALU_DEP_1) | instskip(SKIP_1) | instid1(VALU_DEP_2)
	v_mov_b32_e32 v119, v111
	v_pk_mul_f32 v[110:111], v[112:113], v[116:117] op_sel:[0,1]
	v_pk_add_f32 v[80:81], v[80:81], v[118:119] neg_lo:[0,1] neg_hi:[0,1]
	s_delay_alu instid0(VALU_DEP_2) | instskip(SKIP_1) | instid1(VALU_DEP_1)
	v_pk_fma_f32 v[118:119], v[112:113], v[114:115], v[110:111] op_sel:[0,0,1] op_sel_hi:[1,1,0] neg_lo:[0,0,1] neg_hi:[0,0,1]
	v_pk_fma_f32 v[110:111], v[112:113], v[114:115], v[110:111] op_sel:[0,0,1] op_sel_hi:[1,0,0]
	v_mov_b32_e32 v119, v111
	ds_load_2addr_b64 v[110:113], v136 offset0:20 offset1:21
	v_pk_add_f32 v[86:87], v[86:87], v[118:119] neg_lo:[0,1] neg_hi:[0,1]
	s_wait_dscnt 0x0
	v_pk_mul_f32 v[118:119], v[110:111], v[116:117] op_sel:[0,1]
	v_mul_f32_e32 v116, v113, v117
	s_delay_alu instid0(VALU_DEP_2) | instskip(SKIP_2) | instid1(VALU_DEP_4)
	v_pk_fma_f32 v[120:121], v[110:111], v[114:115], v[118:119] op_sel:[0,0,1] op_sel_hi:[1,1,0] neg_lo:[0,0,1] neg_hi:[0,0,1]
	v_pk_fma_f32 v[110:111], v[110:111], v[114:115], v[118:119] op_sel:[0,0,1] op_sel_hi:[1,0,0]
	v_mov_b32_e32 v110, v113
	v_pk_fma_f32 v[116:117], v[112:113], v[38:39], v[116:117] op_sel_hi:[1,1,0] neg_lo:[0,0,1] neg_hi:[0,0,1]
	s_delay_alu instid0(VALU_DEP_3) | instskip(SKIP_1) | instid1(VALU_DEP_2)
	v_dual_mov_b32 v121, v111 :: v_dual_mov_b32 v111, v112
	v_mul_f32_e32 v112, v113, v114
	v_pk_add_f32 v[84:85], v[84:85], v[120:121] neg_lo:[0,1] neg_hi:[0,1]
	s_delay_alu instid0(VALU_DEP_2) | instskip(NEXT) | instid1(VALU_DEP_1)
	v_pk_fma_f32 v[110:111], v[110:111], v[38:39], v[112:113] op_sel_hi:[1,1,0]
	v_mov_b32_e32 v117, v111
	s_delay_alu instid0(VALU_DEP_1)
	v_pk_add_f32 v[88:89], v[88:89], v[116:117] neg_lo:[0,1] neg_hi:[0,1]
.LBB43_91:
	s_or_b32 exec_lo, exec_lo, s1
	s_delay_alu instid0(SALU_CYCLE_1)
	s_mov_b32 s2, exec_lo
	s_wait_dscnt 0x0
	s_barrier_signal -1
	s_barrier_wait -1
	v_cmpx_eq_u32_e32 10, v134
	s_cbranch_execz .LBB43_98
; %bb.92:
	ds_store_b64 v135, v[40:41]
	ds_store_2addr_b64 v136, v[36:37], v[68:69] offset0:11 offset1:12
	ds_store_2addr_b64 v136, v[64:65], v[66:67] offset0:13 offset1:14
	;; [unrolled: 1-line block ×5, first 2 shown]
	ds_store_b64 v136, v[88:89] offset:168
	ds_load_b64 v[110:111], v135
	s_wait_dscnt 0x0
	v_cmp_neq_f32_e32 vcc_lo, 0, v110
	v_cmp_neq_f32_e64 s1, 0, v111
	s_or_b32 s1, vcc_lo, s1
	s_delay_alu instid0(SALU_CYCLE_1)
	s_and_b32 exec_lo, exec_lo, s1
	s_cbranch_execz .LBB43_98
; %bb.93:
	v_cmp_ngt_f32_e64 s1, |v110|, |v111|
                                        ; implicit-def: $vgpr112_vgpr113
	s_and_saveexec_b32 s4, s1
	s_delay_alu instid0(SALU_CYCLE_1)
	s_xor_b32 s1, exec_lo, s4
	s_cbranch_execz .LBB43_95
; %bb.94:
	v_div_scale_f32 v112, null, v111, v111, v110
	v_div_scale_f32 v115, vcc_lo, v110, v111, v110
	s_delay_alu instid0(VALU_DEP_2) | instskip(SKIP_1) | instid1(TRANS32_DEP_1)
	v_rcp_f32_e32 v113, v112
	v_nop
	v_fma_f32 v114, -v112, v113, 1.0
	s_delay_alu instid0(VALU_DEP_1) | instskip(NEXT) | instid1(VALU_DEP_1)
	v_fmac_f32_e32 v113, v114, v113
	v_mul_f32_e32 v114, v115, v113
	s_delay_alu instid0(VALU_DEP_1) | instskip(NEXT) | instid1(VALU_DEP_1)
	v_fma_f32 v116, -v112, v114, v115
	v_fmac_f32_e32 v114, v116, v113
	s_delay_alu instid0(VALU_DEP_1) | instskip(NEXT) | instid1(VALU_DEP_1)
	v_fma_f32 v112, -v112, v114, v115
	v_div_fmas_f32 v112, v112, v113, v114
	s_delay_alu instid0(VALU_DEP_1) | instskip(NEXT) | instid1(VALU_DEP_1)
	v_div_fixup_f32 v112, v112, v111, v110
	v_fmac_f32_e32 v111, v110, v112
	s_delay_alu instid0(VALU_DEP_1) | instskip(SKIP_1) | instid1(VALU_DEP_2)
	v_div_scale_f32 v110, null, v111, v111, 1.0
	v_div_scale_f32 v115, vcc_lo, 1.0, v111, 1.0
	v_rcp_f32_e32 v113, v110
	v_nop
	s_delay_alu instid0(TRANS32_DEP_1) | instskip(NEXT) | instid1(VALU_DEP_1)
	v_fma_f32 v114, -v110, v113, 1.0
	v_fmac_f32_e32 v113, v114, v113
	s_delay_alu instid0(VALU_DEP_1) | instskip(NEXT) | instid1(VALU_DEP_1)
	v_mul_f32_e32 v114, v115, v113
	v_fma_f32 v116, -v110, v114, v115
	s_delay_alu instid0(VALU_DEP_1) | instskip(NEXT) | instid1(VALU_DEP_1)
	v_fmac_f32_e32 v114, v116, v113
	v_fma_f32 v110, -v110, v114, v115
	s_delay_alu instid0(VALU_DEP_1) | instskip(NEXT) | instid1(VALU_DEP_1)
	v_div_fmas_f32 v110, v110, v113, v114
	v_div_fixup_f32 v110, v110, v111, 1.0
	s_delay_alu instid0(VALU_DEP_1)
	v_mul_f32_e32 v112, v112, v110
	v_xor_b32_e32 v113, 0x80000000, v110
                                        ; implicit-def: $vgpr110_vgpr111
.LBB43_95:
	s_and_not1_saveexec_b32 s1, s1
	s_cbranch_execz .LBB43_97
; %bb.96:
	v_div_scale_f32 v112, null, v110, v110, v111
	v_div_scale_f32 v115, vcc_lo, v111, v110, v111
	s_delay_alu instid0(VALU_DEP_2) | instskip(SKIP_1) | instid1(TRANS32_DEP_1)
	v_rcp_f32_e32 v113, v112
	v_nop
	v_fma_f32 v114, -v112, v113, 1.0
	s_delay_alu instid0(VALU_DEP_1) | instskip(NEXT) | instid1(VALU_DEP_1)
	v_fmac_f32_e32 v113, v114, v113
	v_mul_f32_e32 v114, v115, v113
	s_delay_alu instid0(VALU_DEP_1) | instskip(NEXT) | instid1(VALU_DEP_1)
	v_fma_f32 v116, -v112, v114, v115
	v_fmac_f32_e32 v114, v116, v113
	s_delay_alu instid0(VALU_DEP_1) | instskip(NEXT) | instid1(VALU_DEP_1)
	v_fma_f32 v112, -v112, v114, v115
	v_div_fmas_f32 v112, v112, v113, v114
	s_delay_alu instid0(VALU_DEP_1) | instskip(NEXT) | instid1(VALU_DEP_1)
	v_div_fixup_f32 v113, v112, v110, v111
	v_fmac_f32_e32 v110, v111, v113
	s_delay_alu instid0(VALU_DEP_1) | instskip(NEXT) | instid1(VALU_DEP_1)
	v_div_scale_f32 v111, null, v110, v110, 1.0
	v_rcp_f32_e32 v112, v111
	v_nop
	s_delay_alu instid0(TRANS32_DEP_1) | instskip(NEXT) | instid1(VALU_DEP_1)
	v_fma_f32 v114, -v111, v112, 1.0
	v_fmac_f32_e32 v112, v114, v112
	v_div_scale_f32 v114, vcc_lo, 1.0, v110, 1.0
	s_delay_alu instid0(VALU_DEP_1) | instskip(NEXT) | instid1(VALU_DEP_1)
	v_mul_f32_e32 v115, v114, v112
	v_fma_f32 v116, -v111, v115, v114
	s_delay_alu instid0(VALU_DEP_1) | instskip(NEXT) | instid1(VALU_DEP_1)
	v_fmac_f32_e32 v115, v116, v112
	v_fma_f32 v111, -v111, v115, v114
	s_delay_alu instid0(VALU_DEP_1) | instskip(NEXT) | instid1(VALU_DEP_1)
	v_div_fmas_f32 v111, v111, v112, v115
	v_div_fixup_f32 v112, v111, v110, 1.0
	s_delay_alu instid0(VALU_DEP_1)
	v_mul_f32_e64 v113, v113, -v112
.LBB43_97:
	s_or_b32 exec_lo, exec_lo, s1
	ds_store_b64 v135, v[112:113]
.LBB43_98:
	s_or_b32 exec_lo, exec_lo, s2
	s_wait_dscnt 0x0
	s_barrier_signal -1
	s_barrier_wait -1
	ds_load_b64 v[110:111], v135
	s_mov_b32 s1, exec_lo
	v_cmpx_lt_u32_e32 10, v134
	s_cbranch_execz .LBB43_100
; %bb.99:
	s_wait_dscnt 0x0
	v_pk_mul_f32 v[112:113], v[110:111], v[40:41] op_sel:[1,1] op_sel_hi:[0,1]
	s_delay_alu instid0(VALU_DEP_1)
	v_pk_fma_f32 v[116:117], v[110:111], v[40:41], v[112:113] op_sel_hi:[1,0,1] neg_lo:[0,0,1] neg_hi:[0,0,1]
	v_pk_fma_f32 v[118:119], v[110:111], v[40:41], v[112:113] op_sel_hi:[1,0,1]
	ds_load_2addr_b64 v[112:115], v136 offset0:11 offset1:12
	v_dual_mov_b32 v40, v116 :: v_dual_mov_b32 v41, v119
	s_wait_dscnt 0x0
	v_pk_mul_f32 v[120:121], v[112:113], v[118:119] op_sel:[0,1]
	s_delay_alu instid0(VALU_DEP_1) | instskip(SKIP_1) | instid1(VALU_DEP_1)
	v_pk_fma_f32 v[122:123], v[112:113], v[116:117], v[120:121] op_sel:[0,0,1] op_sel_hi:[1,1,0] neg_lo:[0,0,1] neg_hi:[0,0,1]
	v_pk_fma_f32 v[112:113], v[112:113], v[116:117], v[120:121] op_sel:[0,0,1] op_sel_hi:[1,0,0]
	v_mov_b32_e32 v123, v113
	v_pk_mul_f32 v[112:113], v[114:115], v[118:119] op_sel:[0,1]
	s_delay_alu instid0(VALU_DEP_1) | instskip(SKIP_1) | instid1(VALU_DEP_1)
	v_pk_fma_f32 v[120:121], v[114:115], v[116:117], v[112:113] op_sel:[0,0,1] op_sel_hi:[1,1,0] neg_lo:[0,0,1] neg_hi:[0,0,1]
	v_pk_fma_f32 v[112:113], v[114:115], v[116:117], v[112:113] op_sel:[0,0,1] op_sel_hi:[1,0,0]
	v_mov_b32_e32 v121, v113
	ds_load_2addr_b64 v[112:115], v136 offset0:13 offset1:14
	v_pk_add_f32 v[36:37], v[36:37], v[122:123] neg_lo:[0,1] neg_hi:[0,1]
	v_pk_add_f32 v[68:69], v[68:69], v[120:121] neg_lo:[0,1] neg_hi:[0,1]
	s_wait_dscnt 0x0
	v_pk_mul_f32 v[120:121], v[112:113], v[118:119] op_sel:[0,1]
	s_delay_alu instid0(VALU_DEP_1) | instskip(SKIP_2) | instid1(VALU_DEP_2)
	v_pk_fma_f32 v[122:123], v[112:113], v[116:117], v[120:121] op_sel:[0,0,1] op_sel_hi:[1,1,0] neg_lo:[0,0,1] neg_hi:[0,0,1]
	v_pk_fma_f32 v[112:113], v[112:113], v[116:117], v[120:121] op_sel:[0,0,1] op_sel_hi:[1,0,0]
	v_dual_mul_f32 v120, v115, v119 :: v_dual_mov_b32 v112, v115
	v_dual_mov_b32 v123, v113 :: v_dual_mov_b32 v113, v114
	s_delay_alu instid0(VALU_DEP_2) | instskip(SKIP_1) | instid1(VALU_DEP_3)
	v_pk_fma_f32 v[120:121], v[114:115], v[40:41], v[120:121] op_sel_hi:[1,1,0] neg_lo:[0,0,1] neg_hi:[0,0,1]
	v_mul_f32_e32 v114, v115, v116
	v_pk_add_f32 v[64:65], v[64:65], v[122:123] neg_lo:[0,1] neg_hi:[0,1]
	s_delay_alu instid0(VALU_DEP_2) | instskip(NEXT) | instid1(VALU_DEP_1)
	v_pk_fma_f32 v[112:113], v[112:113], v[40:41], v[114:115] op_sel_hi:[1,1,0]
	v_mov_b32_e32 v121, v113
	ds_load_2addr_b64 v[112:115], v136 offset0:15 offset1:16
	v_pk_add_f32 v[66:67], v[66:67], v[120:121] neg_lo:[0,1] neg_hi:[0,1]
	s_wait_dscnt 0x0
	v_pk_mul_f32 v[120:121], v[112:113], v[118:119] op_sel:[0,1]
	s_delay_alu instid0(VALU_DEP_1) | instskip(SKIP_1) | instid1(VALU_DEP_1)
	v_pk_fma_f32 v[122:123], v[112:113], v[116:117], v[120:121] op_sel:[0,0,1] op_sel_hi:[1,1,0] neg_lo:[0,0,1] neg_hi:[0,0,1]
	v_pk_fma_f32 v[112:113], v[112:113], v[116:117], v[120:121] op_sel:[0,0,1] op_sel_hi:[1,0,0]
	v_mov_b32_e32 v123, v113
	v_pk_mul_f32 v[112:113], v[114:115], v[118:119] op_sel:[0,1]
	s_delay_alu instid0(VALU_DEP_1) | instskip(SKIP_1) | instid1(VALU_DEP_1)
	v_pk_fma_f32 v[120:121], v[114:115], v[116:117], v[112:113] op_sel:[0,0,1] op_sel_hi:[1,1,0] neg_lo:[0,0,1] neg_hi:[0,0,1]
	v_pk_fma_f32 v[112:113], v[114:115], v[116:117], v[112:113] op_sel:[0,0,1] op_sel_hi:[1,0,0]
	v_mov_b32_e32 v121, v113
	ds_load_2addr_b64 v[112:115], v136 offset0:17 offset1:18
	v_pk_add_f32 v[62:63], v[62:63], v[122:123] neg_lo:[0,1] neg_hi:[0,1]
	v_pk_add_f32 v[82:83], v[82:83], v[120:121] neg_lo:[0,1] neg_hi:[0,1]
	s_wait_dscnt 0x0
	v_pk_mul_f32 v[120:121], v[112:113], v[118:119] op_sel:[0,1]
	s_delay_alu instid0(VALU_DEP_1) | instskip(SKIP_1) | instid1(VALU_DEP_1)
	v_pk_fma_f32 v[122:123], v[112:113], v[116:117], v[120:121] op_sel:[0,0,1] op_sel_hi:[1,1,0] neg_lo:[0,0,1] neg_hi:[0,0,1]
	v_pk_fma_f32 v[112:113], v[112:113], v[116:117], v[120:121] op_sel:[0,0,1] op_sel_hi:[1,0,0]
	v_mov_b32_e32 v123, v113
	v_pk_mul_f32 v[112:113], v[114:115], v[118:119] op_sel:[0,1]
	s_delay_alu instid0(VALU_DEP_1) | instskip(SKIP_1) | instid1(VALU_DEP_1)
	v_pk_fma_f32 v[120:121], v[114:115], v[116:117], v[112:113] op_sel:[0,0,1] op_sel_hi:[1,1,0] neg_lo:[0,0,1] neg_hi:[0,0,1]
	v_pk_fma_f32 v[112:113], v[114:115], v[116:117], v[112:113] op_sel:[0,0,1] op_sel_hi:[1,0,0]
	v_mov_b32_e32 v121, v113
	ds_load_2addr_b64 v[112:115], v136 offset0:19 offset1:20
	v_pk_add_f32 v[78:79], v[78:79], v[122:123] neg_lo:[0,1] neg_hi:[0,1]
	v_pk_add_f32 v[80:81], v[80:81], v[120:121] neg_lo:[0,1] neg_hi:[0,1]
	s_wait_dscnt 0x0
	v_dual_mul_f32 v120, v113, v119 :: v_dual_mul_f32 v122, v113, v116
	s_delay_alu instid0(VALU_DEP_1) | instskip(NEXT) | instid1(VALU_DEP_2)
	v_pk_fma_f32 v[120:121], v[112:113], v[40:41], v[120:121] op_sel_hi:[1,1,0] neg_lo:[0,0,1] neg_hi:[0,0,1]
	v_pk_fma_f32 v[112:113], v[112:113], v[40:41], v[122:123] op_sel:[1,0,0] op_sel_hi:[0,1,0]
	s_delay_alu instid0(VALU_DEP_1) | instskip(SKIP_1) | instid1(VALU_DEP_2)
	v_mov_b32_e32 v121, v113
	v_pk_mul_f32 v[112:113], v[114:115], v[118:119] op_sel:[0,1]
	v_pk_add_f32 v[86:87], v[86:87], v[120:121] neg_lo:[0,1] neg_hi:[0,1]
	s_delay_alu instid0(VALU_DEP_2) | instskip(SKIP_1) | instid1(VALU_DEP_1)
	v_pk_fma_f32 v[120:121], v[114:115], v[116:117], v[112:113] op_sel:[0,0,1] op_sel_hi:[1,1,0] neg_lo:[0,0,1] neg_hi:[0,0,1]
	v_pk_fma_f32 v[112:113], v[114:115], v[116:117], v[112:113] op_sel:[0,0,1] op_sel_hi:[1,0,0]
	v_mov_b32_e32 v121, v113
	ds_load_b64 v[112:113], v136 offset:168
	v_pk_add_f32 v[84:85], v[84:85], v[120:121] neg_lo:[0,1] neg_hi:[0,1]
	s_wait_dscnt 0x0
	v_pk_mul_f32 v[114:115], v[112:113], v[118:119] op_sel:[0,1]
	s_delay_alu instid0(VALU_DEP_1) | instskip(SKIP_1) | instid1(VALU_DEP_1)
	v_pk_fma_f32 v[118:119], v[112:113], v[116:117], v[114:115] op_sel:[0,0,1] op_sel_hi:[1,1,0] neg_lo:[0,0,1] neg_hi:[0,0,1]
	v_pk_fma_f32 v[112:113], v[112:113], v[116:117], v[114:115] op_sel:[0,0,1] op_sel_hi:[1,0,0]
	v_mov_b32_e32 v119, v113
	s_delay_alu instid0(VALU_DEP_1)
	v_pk_add_f32 v[88:89], v[88:89], v[118:119] neg_lo:[0,1] neg_hi:[0,1]
.LBB43_100:
	s_or_b32 exec_lo, exec_lo, s1
	s_delay_alu instid0(SALU_CYCLE_1)
	s_mov_b32 s2, exec_lo
	s_wait_dscnt 0x0
	s_barrier_signal -1
	s_barrier_wait -1
	v_cmpx_eq_u32_e32 11, v134
	s_cbranch_execz .LBB43_107
; %bb.101:
	v_dual_mov_b32 v112, v68 :: v_dual_mov_b32 v113, v69
	v_dual_mov_b32 v114, v64 :: v_dual_mov_b32 v115, v65
	ds_store_b64 v135, v[36:37]
	ds_store_2addr_b64 v136, v[112:113], v[114:115] offset0:12 offset1:13
	v_dual_mov_b32 v112, v66 :: v_dual_mov_b32 v113, v67
	v_dual_mov_b32 v114, v62 :: v_dual_mov_b32 v115, v63
	ds_store_2addr_b64 v136, v[112:113], v[114:115] offset0:14 offset1:15
	v_dual_mov_b32 v112, v82 :: v_dual_mov_b32 v113, v83
	v_dual_mov_b32 v114, v78 :: v_dual_mov_b32 v115, v79
	;; [unrolled: 3-line block ×3, first 2 shown]
	ds_store_2addr_b64 v136, v[112:113], v[114:115] offset0:18 offset1:19
	v_dual_mov_b32 v112, v84 :: v_dual_mov_b32 v113, v85
	ds_store_2addr_b64 v136, v[112:113], v[88:89] offset0:20 offset1:21
	ds_load_b64 v[112:113], v135
	s_wait_dscnt 0x0
	v_cmp_neq_f32_e32 vcc_lo, 0, v112
	v_cmp_neq_f32_e64 s1, 0, v113
	s_or_b32 s1, vcc_lo, s1
	s_delay_alu instid0(SALU_CYCLE_1)
	s_and_b32 exec_lo, exec_lo, s1
	s_cbranch_execz .LBB43_107
; %bb.102:
	v_cmp_ngt_f32_e64 s1, |v112|, |v113|
                                        ; implicit-def: $vgpr114_vgpr115
	s_and_saveexec_b32 s4, s1
	s_delay_alu instid0(SALU_CYCLE_1)
	s_xor_b32 s1, exec_lo, s4
	s_cbranch_execz .LBB43_104
; %bb.103:
	v_div_scale_f32 v114, null, v113, v113, v112
	v_div_scale_f32 v117, vcc_lo, v112, v113, v112
	s_delay_alu instid0(VALU_DEP_2) | instskip(SKIP_1) | instid1(TRANS32_DEP_1)
	v_rcp_f32_e32 v115, v114
	v_nop
	v_fma_f32 v116, -v114, v115, 1.0
	s_delay_alu instid0(VALU_DEP_1) | instskip(NEXT) | instid1(VALU_DEP_1)
	v_fmac_f32_e32 v115, v116, v115
	v_mul_f32_e32 v116, v117, v115
	s_delay_alu instid0(VALU_DEP_1) | instskip(NEXT) | instid1(VALU_DEP_1)
	v_fma_f32 v118, -v114, v116, v117
	v_fmac_f32_e32 v116, v118, v115
	s_delay_alu instid0(VALU_DEP_1) | instskip(NEXT) | instid1(VALU_DEP_1)
	v_fma_f32 v114, -v114, v116, v117
	v_div_fmas_f32 v114, v114, v115, v116
	s_delay_alu instid0(VALU_DEP_1) | instskip(NEXT) | instid1(VALU_DEP_1)
	v_div_fixup_f32 v114, v114, v113, v112
	v_fmac_f32_e32 v113, v112, v114
	s_delay_alu instid0(VALU_DEP_1) | instskip(SKIP_1) | instid1(VALU_DEP_2)
	v_div_scale_f32 v112, null, v113, v113, 1.0
	v_div_scale_f32 v117, vcc_lo, 1.0, v113, 1.0
	v_rcp_f32_e32 v115, v112
	v_nop
	s_delay_alu instid0(TRANS32_DEP_1) | instskip(NEXT) | instid1(VALU_DEP_1)
	v_fma_f32 v116, -v112, v115, 1.0
	v_fmac_f32_e32 v115, v116, v115
	s_delay_alu instid0(VALU_DEP_1) | instskip(NEXT) | instid1(VALU_DEP_1)
	v_mul_f32_e32 v116, v117, v115
	v_fma_f32 v118, -v112, v116, v117
	s_delay_alu instid0(VALU_DEP_1) | instskip(NEXT) | instid1(VALU_DEP_1)
	v_fmac_f32_e32 v116, v118, v115
	v_fma_f32 v112, -v112, v116, v117
	s_delay_alu instid0(VALU_DEP_1) | instskip(NEXT) | instid1(VALU_DEP_1)
	v_div_fmas_f32 v112, v112, v115, v116
	v_div_fixup_f32 v112, v112, v113, 1.0
	s_delay_alu instid0(VALU_DEP_1)
	v_mul_f32_e32 v114, v114, v112
	v_xor_b32_e32 v115, 0x80000000, v112
                                        ; implicit-def: $vgpr112_vgpr113
.LBB43_104:
	s_and_not1_saveexec_b32 s1, s1
	s_cbranch_execz .LBB43_106
; %bb.105:
	v_div_scale_f32 v114, null, v112, v112, v113
	v_div_scale_f32 v117, vcc_lo, v113, v112, v113
	s_delay_alu instid0(VALU_DEP_2) | instskip(SKIP_1) | instid1(TRANS32_DEP_1)
	v_rcp_f32_e32 v115, v114
	v_nop
	v_fma_f32 v116, -v114, v115, 1.0
	s_delay_alu instid0(VALU_DEP_1) | instskip(NEXT) | instid1(VALU_DEP_1)
	v_fmac_f32_e32 v115, v116, v115
	v_mul_f32_e32 v116, v117, v115
	s_delay_alu instid0(VALU_DEP_1) | instskip(NEXT) | instid1(VALU_DEP_1)
	v_fma_f32 v118, -v114, v116, v117
	v_fmac_f32_e32 v116, v118, v115
	s_delay_alu instid0(VALU_DEP_1) | instskip(NEXT) | instid1(VALU_DEP_1)
	v_fma_f32 v114, -v114, v116, v117
	v_div_fmas_f32 v114, v114, v115, v116
	s_delay_alu instid0(VALU_DEP_1) | instskip(NEXT) | instid1(VALU_DEP_1)
	v_div_fixup_f32 v115, v114, v112, v113
	v_fmac_f32_e32 v112, v113, v115
	s_delay_alu instid0(VALU_DEP_1) | instskip(NEXT) | instid1(VALU_DEP_1)
	v_div_scale_f32 v113, null, v112, v112, 1.0
	v_rcp_f32_e32 v114, v113
	v_nop
	s_delay_alu instid0(TRANS32_DEP_1) | instskip(NEXT) | instid1(VALU_DEP_1)
	v_fma_f32 v116, -v113, v114, 1.0
	v_fmac_f32_e32 v114, v116, v114
	v_div_scale_f32 v116, vcc_lo, 1.0, v112, 1.0
	s_delay_alu instid0(VALU_DEP_1) | instskip(NEXT) | instid1(VALU_DEP_1)
	v_mul_f32_e32 v117, v116, v114
	v_fma_f32 v118, -v113, v117, v116
	s_delay_alu instid0(VALU_DEP_1) | instskip(NEXT) | instid1(VALU_DEP_1)
	v_fmac_f32_e32 v117, v118, v114
	v_fma_f32 v113, -v113, v117, v116
	s_delay_alu instid0(VALU_DEP_1) | instskip(NEXT) | instid1(VALU_DEP_1)
	v_div_fmas_f32 v113, v113, v114, v117
	v_div_fixup_f32 v114, v113, v112, 1.0
	s_delay_alu instid0(VALU_DEP_1)
	v_mul_f32_e64 v115, v115, -v114
.LBB43_106:
	s_or_b32 exec_lo, exec_lo, s1
	ds_store_b64 v135, v[114:115]
.LBB43_107:
	s_or_b32 exec_lo, exec_lo, s2
	s_wait_dscnt 0x0
	s_barrier_signal -1
	s_barrier_wait -1
	ds_load_b64 v[112:113], v135
	s_mov_b32 s1, exec_lo
	v_cmpx_lt_u32_e32 11, v134
	s_cbranch_execz .LBB43_109
; %bb.108:
	s_wait_dscnt 0x0
	v_pk_mul_f32 v[114:115], v[112:113], v[36:37] op_sel:[1,1] op_sel_hi:[0,1]
	s_delay_alu instid0(VALU_DEP_1)
	v_pk_fma_f32 v[118:119], v[112:113], v[36:37], v[114:115] op_sel_hi:[1,0,1] neg_lo:[0,0,1] neg_hi:[0,0,1]
	v_pk_fma_f32 v[120:121], v[112:113], v[36:37], v[114:115] op_sel_hi:[1,0,1]
	ds_load_2addr_b64 v[114:117], v136 offset0:12 offset1:13
	v_dual_mov_b32 v36, v118 :: v_dual_mov_b32 v37, v121
	s_wait_dscnt 0x0
	v_pk_mul_f32 v[122:123], v[114:115], v[120:121] op_sel:[0,1]
	s_delay_alu instid0(VALU_DEP_1) | instskip(SKIP_1) | instid1(VALU_DEP_1)
	v_pk_fma_f32 v[124:125], v[114:115], v[118:119], v[122:123] op_sel:[0,0,1] op_sel_hi:[1,1,0] neg_lo:[0,0,1] neg_hi:[0,0,1]
	v_pk_fma_f32 v[114:115], v[114:115], v[118:119], v[122:123] op_sel:[0,0,1] op_sel_hi:[1,0,0]
	v_mov_b32_e32 v125, v115
	v_pk_mul_f32 v[114:115], v[116:117], v[120:121] op_sel:[0,1]
	s_delay_alu instid0(VALU_DEP_1) | instskip(SKIP_1) | instid1(VALU_DEP_1)
	v_pk_fma_f32 v[122:123], v[116:117], v[118:119], v[114:115] op_sel:[0,0,1] op_sel_hi:[1,1,0] neg_lo:[0,0,1] neg_hi:[0,0,1]
	v_pk_fma_f32 v[114:115], v[116:117], v[118:119], v[114:115] op_sel:[0,0,1] op_sel_hi:[1,0,0]
	v_mov_b32_e32 v123, v115
	ds_load_2addr_b64 v[114:117], v136 offset0:14 offset1:15
	v_pk_add_f32 v[68:69], v[68:69], v[124:125] neg_lo:[0,1] neg_hi:[0,1]
	v_pk_add_f32 v[64:65], v[64:65], v[122:123] neg_lo:[0,1] neg_hi:[0,1]
	s_wait_dscnt 0x0
	v_pk_mul_f32 v[122:123], v[114:115], v[120:121] op_sel:[0,1]
	s_delay_alu instid0(VALU_DEP_1) | instskip(SKIP_2) | instid1(VALU_DEP_2)
	v_pk_fma_f32 v[124:125], v[114:115], v[118:119], v[122:123] op_sel:[0,0,1] op_sel_hi:[1,1,0] neg_lo:[0,0,1] neg_hi:[0,0,1]
	v_pk_fma_f32 v[114:115], v[114:115], v[118:119], v[122:123] op_sel:[0,0,1] op_sel_hi:[1,0,0]
	v_dual_mul_f32 v122, v117, v121 :: v_dual_mov_b32 v114, v117
	v_dual_mov_b32 v125, v115 :: v_dual_mov_b32 v115, v116
	s_delay_alu instid0(VALU_DEP_2) | instskip(SKIP_1) | instid1(VALU_DEP_3)
	v_pk_fma_f32 v[122:123], v[116:117], v[36:37], v[122:123] op_sel_hi:[1,1,0] neg_lo:[0,0,1] neg_hi:[0,0,1]
	v_mul_f32_e32 v116, v117, v118
	v_pk_add_f32 v[66:67], v[66:67], v[124:125] neg_lo:[0,1] neg_hi:[0,1]
	s_delay_alu instid0(VALU_DEP_2) | instskip(NEXT) | instid1(VALU_DEP_1)
	v_pk_fma_f32 v[114:115], v[114:115], v[36:37], v[116:117] op_sel_hi:[1,1,0]
	v_mov_b32_e32 v123, v115
	ds_load_2addr_b64 v[114:117], v136 offset0:16 offset1:17
	v_pk_add_f32 v[62:63], v[62:63], v[122:123] neg_lo:[0,1] neg_hi:[0,1]
	s_wait_dscnt 0x0
	v_pk_mul_f32 v[122:123], v[114:115], v[120:121] op_sel:[0,1]
	s_delay_alu instid0(VALU_DEP_1) | instskip(SKIP_1) | instid1(VALU_DEP_1)
	v_pk_fma_f32 v[124:125], v[114:115], v[118:119], v[122:123] op_sel:[0,0,1] op_sel_hi:[1,1,0] neg_lo:[0,0,1] neg_hi:[0,0,1]
	v_pk_fma_f32 v[114:115], v[114:115], v[118:119], v[122:123] op_sel:[0,0,1] op_sel_hi:[1,0,0]
	v_mov_b32_e32 v125, v115
	v_pk_mul_f32 v[114:115], v[116:117], v[120:121] op_sel:[0,1]
	s_delay_alu instid0(VALU_DEP_1) | instskip(SKIP_1) | instid1(VALU_DEP_1)
	v_pk_fma_f32 v[122:123], v[116:117], v[118:119], v[114:115] op_sel:[0,0,1] op_sel_hi:[1,1,0] neg_lo:[0,0,1] neg_hi:[0,0,1]
	v_pk_fma_f32 v[114:115], v[116:117], v[118:119], v[114:115] op_sel:[0,0,1] op_sel_hi:[1,0,0]
	v_mov_b32_e32 v123, v115
	ds_load_2addr_b64 v[114:117], v136 offset0:18 offset1:19
	v_pk_add_f32 v[82:83], v[82:83], v[124:125] neg_lo:[0,1] neg_hi:[0,1]
	v_pk_add_f32 v[78:79], v[78:79], v[122:123] neg_lo:[0,1] neg_hi:[0,1]
	s_wait_dscnt 0x0
	v_pk_mul_f32 v[122:123], v[114:115], v[120:121] op_sel:[0,1]
	s_delay_alu instid0(VALU_DEP_1) | instskip(SKIP_1) | instid1(VALU_DEP_1)
	v_pk_fma_f32 v[124:125], v[114:115], v[118:119], v[122:123] op_sel:[0,0,1] op_sel_hi:[1,1,0] neg_lo:[0,0,1] neg_hi:[0,0,1]
	v_pk_fma_f32 v[114:115], v[114:115], v[118:119], v[122:123] op_sel:[0,0,1] op_sel_hi:[1,0,0]
	v_mov_b32_e32 v125, v115
	v_pk_mul_f32 v[114:115], v[116:117], v[120:121] op_sel:[0,1]
	s_delay_alu instid0(VALU_DEP_1) | instskip(SKIP_1) | instid1(VALU_DEP_1)
	v_pk_fma_f32 v[122:123], v[116:117], v[118:119], v[114:115] op_sel:[0,0,1] op_sel_hi:[1,1,0] neg_lo:[0,0,1] neg_hi:[0,0,1]
	v_pk_fma_f32 v[114:115], v[116:117], v[118:119], v[114:115] op_sel:[0,0,1] op_sel_hi:[1,0,0]
	v_mov_b32_e32 v123, v115
	ds_load_2addr_b64 v[114:117], v136 offset0:20 offset1:21
	v_pk_add_f32 v[80:81], v[80:81], v[124:125] neg_lo:[0,1] neg_hi:[0,1]
	v_pk_add_f32 v[86:87], v[86:87], v[122:123] neg_lo:[0,1] neg_hi:[0,1]
	s_wait_dscnt 0x0
	v_dual_mul_f32 v122, v115, v121 :: v_dual_mul_f32 v124, v115, v118
	s_delay_alu instid0(VALU_DEP_1) | instskip(NEXT) | instid1(VALU_DEP_2)
	v_pk_fma_f32 v[122:123], v[114:115], v[36:37], v[122:123] op_sel_hi:[1,1,0] neg_lo:[0,0,1] neg_hi:[0,0,1]
	v_pk_fma_f32 v[114:115], v[114:115], v[36:37], v[124:125] op_sel:[1,0,0] op_sel_hi:[0,1,0]
	s_delay_alu instid0(VALU_DEP_1) | instskip(SKIP_1) | instid1(VALU_DEP_1)
	v_mov_b32_e32 v123, v115
	v_pk_mul_f32 v[114:115], v[116:117], v[120:121] op_sel:[0,1]
	v_pk_fma_f32 v[120:121], v[116:117], v[118:119], v[114:115] op_sel:[0,0,1] op_sel_hi:[1,1,0] neg_lo:[0,0,1] neg_hi:[0,0,1]
	v_pk_fma_f32 v[114:115], v[116:117], v[118:119], v[114:115] op_sel:[0,0,1] op_sel_hi:[1,0,0]
	s_delay_alu instid0(VALU_DEP_1) | instskip(SKIP_1) | instid1(VALU_DEP_2)
	v_mov_b32_e32 v121, v115
	v_pk_add_f32 v[84:85], v[84:85], v[122:123] neg_lo:[0,1] neg_hi:[0,1]
	v_pk_add_f32 v[88:89], v[88:89], v[120:121] neg_lo:[0,1] neg_hi:[0,1]
.LBB43_109:
	s_or_b32 exec_lo, exec_lo, s1
	s_delay_alu instid0(SALU_CYCLE_1)
	s_mov_b32 s2, exec_lo
	s_wait_dscnt 0x0
	s_barrier_signal -1
	s_barrier_wait -1
	v_cmpx_eq_u32_e32 12, v134
	s_cbranch_execz .LBB43_116
; %bb.110:
	ds_store_b64 v135, v[68:69]
	ds_store_2addr_b64 v136, v[64:65], v[66:67] offset0:13 offset1:14
	ds_store_2addr_b64 v136, v[62:63], v[82:83] offset0:15 offset1:16
	;; [unrolled: 1-line block ×4, first 2 shown]
	ds_store_b64 v136, v[88:89] offset:168
	ds_load_b64 v[114:115], v135
	s_wait_dscnt 0x0
	v_cmp_neq_f32_e32 vcc_lo, 0, v114
	v_cmp_neq_f32_e64 s1, 0, v115
	s_or_b32 s1, vcc_lo, s1
	s_delay_alu instid0(SALU_CYCLE_1)
	s_and_b32 exec_lo, exec_lo, s1
	s_cbranch_execz .LBB43_116
; %bb.111:
	v_cmp_ngt_f32_e64 s1, |v114|, |v115|
                                        ; implicit-def: $vgpr116_vgpr117
	s_and_saveexec_b32 s4, s1
	s_delay_alu instid0(SALU_CYCLE_1)
	s_xor_b32 s1, exec_lo, s4
	s_cbranch_execz .LBB43_113
; %bb.112:
	v_div_scale_f32 v116, null, v115, v115, v114
	v_div_scale_f32 v119, vcc_lo, v114, v115, v114
	s_delay_alu instid0(VALU_DEP_2) | instskip(SKIP_1) | instid1(TRANS32_DEP_1)
	v_rcp_f32_e32 v117, v116
	v_nop
	v_fma_f32 v118, -v116, v117, 1.0
	s_delay_alu instid0(VALU_DEP_1) | instskip(NEXT) | instid1(VALU_DEP_1)
	v_fmac_f32_e32 v117, v118, v117
	v_mul_f32_e32 v118, v119, v117
	s_delay_alu instid0(VALU_DEP_1) | instskip(NEXT) | instid1(VALU_DEP_1)
	v_fma_f32 v120, -v116, v118, v119
	v_fmac_f32_e32 v118, v120, v117
	s_delay_alu instid0(VALU_DEP_1) | instskip(NEXT) | instid1(VALU_DEP_1)
	v_fma_f32 v116, -v116, v118, v119
	v_div_fmas_f32 v116, v116, v117, v118
	s_delay_alu instid0(VALU_DEP_1) | instskip(NEXT) | instid1(VALU_DEP_1)
	v_div_fixup_f32 v116, v116, v115, v114
	v_fmac_f32_e32 v115, v114, v116
	s_delay_alu instid0(VALU_DEP_1) | instskip(SKIP_1) | instid1(VALU_DEP_2)
	v_div_scale_f32 v114, null, v115, v115, 1.0
	v_div_scale_f32 v119, vcc_lo, 1.0, v115, 1.0
	v_rcp_f32_e32 v117, v114
	v_nop
	s_delay_alu instid0(TRANS32_DEP_1) | instskip(NEXT) | instid1(VALU_DEP_1)
	v_fma_f32 v118, -v114, v117, 1.0
	v_fmac_f32_e32 v117, v118, v117
	s_delay_alu instid0(VALU_DEP_1) | instskip(NEXT) | instid1(VALU_DEP_1)
	v_mul_f32_e32 v118, v119, v117
	v_fma_f32 v120, -v114, v118, v119
	s_delay_alu instid0(VALU_DEP_1) | instskip(NEXT) | instid1(VALU_DEP_1)
	v_fmac_f32_e32 v118, v120, v117
	v_fma_f32 v114, -v114, v118, v119
	s_delay_alu instid0(VALU_DEP_1) | instskip(NEXT) | instid1(VALU_DEP_1)
	v_div_fmas_f32 v114, v114, v117, v118
	v_div_fixup_f32 v114, v114, v115, 1.0
	s_delay_alu instid0(VALU_DEP_1)
	v_mul_f32_e32 v116, v116, v114
	v_xor_b32_e32 v117, 0x80000000, v114
                                        ; implicit-def: $vgpr114_vgpr115
.LBB43_113:
	s_and_not1_saveexec_b32 s1, s1
	s_cbranch_execz .LBB43_115
; %bb.114:
	v_div_scale_f32 v116, null, v114, v114, v115
	v_div_scale_f32 v119, vcc_lo, v115, v114, v115
	s_delay_alu instid0(VALU_DEP_2) | instskip(SKIP_1) | instid1(TRANS32_DEP_1)
	v_rcp_f32_e32 v117, v116
	v_nop
	v_fma_f32 v118, -v116, v117, 1.0
	s_delay_alu instid0(VALU_DEP_1) | instskip(NEXT) | instid1(VALU_DEP_1)
	v_fmac_f32_e32 v117, v118, v117
	v_mul_f32_e32 v118, v119, v117
	s_delay_alu instid0(VALU_DEP_1) | instskip(NEXT) | instid1(VALU_DEP_1)
	v_fma_f32 v120, -v116, v118, v119
	v_fmac_f32_e32 v118, v120, v117
	s_delay_alu instid0(VALU_DEP_1) | instskip(NEXT) | instid1(VALU_DEP_1)
	v_fma_f32 v116, -v116, v118, v119
	v_div_fmas_f32 v116, v116, v117, v118
	s_delay_alu instid0(VALU_DEP_1) | instskip(NEXT) | instid1(VALU_DEP_1)
	v_div_fixup_f32 v117, v116, v114, v115
	v_fmac_f32_e32 v114, v115, v117
	s_delay_alu instid0(VALU_DEP_1) | instskip(NEXT) | instid1(VALU_DEP_1)
	v_div_scale_f32 v115, null, v114, v114, 1.0
	v_rcp_f32_e32 v116, v115
	v_nop
	s_delay_alu instid0(TRANS32_DEP_1) | instskip(NEXT) | instid1(VALU_DEP_1)
	v_fma_f32 v118, -v115, v116, 1.0
	v_fmac_f32_e32 v116, v118, v116
	v_div_scale_f32 v118, vcc_lo, 1.0, v114, 1.0
	s_delay_alu instid0(VALU_DEP_1) | instskip(NEXT) | instid1(VALU_DEP_1)
	v_mul_f32_e32 v119, v118, v116
	v_fma_f32 v120, -v115, v119, v118
	s_delay_alu instid0(VALU_DEP_1) | instskip(NEXT) | instid1(VALU_DEP_1)
	v_fmac_f32_e32 v119, v120, v116
	v_fma_f32 v115, -v115, v119, v118
	s_delay_alu instid0(VALU_DEP_1) | instskip(NEXT) | instid1(VALU_DEP_1)
	v_div_fmas_f32 v115, v115, v116, v119
	v_div_fixup_f32 v116, v115, v114, 1.0
	s_delay_alu instid0(VALU_DEP_1)
	v_mul_f32_e64 v117, v117, -v116
.LBB43_115:
	s_or_b32 exec_lo, exec_lo, s1
	ds_store_b64 v135, v[116:117]
.LBB43_116:
	s_or_b32 exec_lo, exec_lo, s2
	s_wait_dscnt 0x0
	s_barrier_signal -1
	s_barrier_wait -1
	ds_load_b64 v[114:115], v135
	s_mov_b32 s1, exec_lo
	v_cmpx_lt_u32_e32 12, v134
	s_cbranch_execz .LBB43_118
; %bb.117:
	s_wait_dscnt 0x0
	v_pk_mul_f32 v[116:117], v[114:115], v[68:69] op_sel:[1,1] op_sel_hi:[0,1]
	s_delay_alu instid0(VALU_DEP_1)
	v_pk_fma_f32 v[120:121], v[114:115], v[68:69], v[116:117] op_sel_hi:[1,0,1] neg_lo:[0,0,1] neg_hi:[0,0,1]
	v_pk_fma_f32 v[122:123], v[114:115], v[68:69], v[116:117] op_sel_hi:[1,0,1]
	ds_load_2addr_b64 v[116:119], v136 offset0:13 offset1:14
	v_dual_mov_b32 v68, v120 :: v_dual_mov_b32 v69, v123
	s_wait_dscnt 0x0
	v_pk_mul_f32 v[124:125], v[116:117], v[122:123] op_sel:[0,1]
	s_delay_alu instid0(VALU_DEP_1) | instskip(SKIP_1) | instid1(VALU_DEP_1)
	v_pk_fma_f32 v[126:127], v[116:117], v[120:121], v[124:125] op_sel:[0,0,1] op_sel_hi:[1,1,0] neg_lo:[0,0,1] neg_hi:[0,0,1]
	v_pk_fma_f32 v[116:117], v[116:117], v[120:121], v[124:125] op_sel:[0,0,1] op_sel_hi:[1,0,0]
	v_mov_b32_e32 v127, v117
	v_pk_mul_f32 v[116:117], v[118:119], v[122:123] op_sel:[0,1]
	s_delay_alu instid0(VALU_DEP_1) | instskip(SKIP_1) | instid1(VALU_DEP_1)
	v_pk_fma_f32 v[124:125], v[118:119], v[120:121], v[116:117] op_sel:[0,0,1] op_sel_hi:[1,1,0] neg_lo:[0,0,1] neg_hi:[0,0,1]
	v_pk_fma_f32 v[116:117], v[118:119], v[120:121], v[116:117] op_sel:[0,0,1] op_sel_hi:[1,0,0]
	v_mov_b32_e32 v125, v117
	ds_load_2addr_b64 v[116:119], v136 offset0:15 offset1:16
	v_pk_add_f32 v[64:65], v[64:65], v[126:127] neg_lo:[0,1] neg_hi:[0,1]
	v_pk_add_f32 v[66:67], v[66:67], v[124:125] neg_lo:[0,1] neg_hi:[0,1]
	s_wait_dscnt 0x0
	v_pk_mul_f32 v[124:125], v[116:117], v[122:123] op_sel:[0,1]
	s_delay_alu instid0(VALU_DEP_1) | instskip(SKIP_2) | instid1(VALU_DEP_2)
	v_pk_fma_f32 v[126:127], v[116:117], v[120:121], v[124:125] op_sel:[0,0,1] op_sel_hi:[1,1,0] neg_lo:[0,0,1] neg_hi:[0,0,1]
	v_pk_fma_f32 v[116:117], v[116:117], v[120:121], v[124:125] op_sel:[0,0,1] op_sel_hi:[1,0,0]
	v_dual_mul_f32 v124, v119, v123 :: v_dual_mov_b32 v116, v119
	v_dual_mov_b32 v127, v117 :: v_dual_mov_b32 v117, v118
	s_delay_alu instid0(VALU_DEP_2) | instskip(SKIP_1) | instid1(VALU_DEP_3)
	v_pk_fma_f32 v[124:125], v[118:119], v[68:69], v[124:125] op_sel_hi:[1,1,0] neg_lo:[0,0,1] neg_hi:[0,0,1]
	v_mul_f32_e32 v118, v119, v120
	v_pk_add_f32 v[62:63], v[62:63], v[126:127] neg_lo:[0,1] neg_hi:[0,1]
	s_delay_alu instid0(VALU_DEP_2) | instskip(NEXT) | instid1(VALU_DEP_1)
	v_pk_fma_f32 v[116:117], v[116:117], v[68:69], v[118:119] op_sel_hi:[1,1,0]
	v_mov_b32_e32 v125, v117
	ds_load_2addr_b64 v[116:119], v136 offset0:17 offset1:18
	v_pk_add_f32 v[82:83], v[82:83], v[124:125] neg_lo:[0,1] neg_hi:[0,1]
	s_wait_dscnt 0x0
	v_pk_mul_f32 v[124:125], v[116:117], v[122:123] op_sel:[0,1]
	s_delay_alu instid0(VALU_DEP_1) | instskip(SKIP_1) | instid1(VALU_DEP_1)
	v_pk_fma_f32 v[126:127], v[116:117], v[120:121], v[124:125] op_sel:[0,0,1] op_sel_hi:[1,1,0] neg_lo:[0,0,1] neg_hi:[0,0,1]
	v_pk_fma_f32 v[116:117], v[116:117], v[120:121], v[124:125] op_sel:[0,0,1] op_sel_hi:[1,0,0]
	v_mov_b32_e32 v127, v117
	v_pk_mul_f32 v[116:117], v[118:119], v[122:123] op_sel:[0,1]
	s_delay_alu instid0(VALU_DEP_1) | instskip(SKIP_1) | instid1(VALU_DEP_1)
	v_pk_fma_f32 v[124:125], v[118:119], v[120:121], v[116:117] op_sel:[0,0,1] op_sel_hi:[1,1,0] neg_lo:[0,0,1] neg_hi:[0,0,1]
	v_pk_fma_f32 v[116:117], v[118:119], v[120:121], v[116:117] op_sel:[0,0,1] op_sel_hi:[1,0,0]
	v_mov_b32_e32 v125, v117
	ds_load_2addr_b64 v[116:119], v136 offset0:19 offset1:20
	v_pk_add_f32 v[78:79], v[78:79], v[126:127] neg_lo:[0,1] neg_hi:[0,1]
	v_pk_add_f32 v[80:81], v[80:81], v[124:125] neg_lo:[0,1] neg_hi:[0,1]
	s_wait_dscnt 0x0
	v_pk_mul_f32 v[124:125], v[116:117], v[122:123] op_sel:[0,1]
	s_delay_alu instid0(VALU_DEP_1) | instskip(SKIP_1) | instid1(VALU_DEP_1)
	v_pk_fma_f32 v[126:127], v[116:117], v[120:121], v[124:125] op_sel:[0,0,1] op_sel_hi:[1,1,0] neg_lo:[0,0,1] neg_hi:[0,0,1]
	v_pk_fma_f32 v[116:117], v[116:117], v[120:121], v[124:125] op_sel:[0,0,1] op_sel_hi:[1,0,0]
	v_mov_b32_e32 v127, v117
	v_pk_mul_f32 v[116:117], v[118:119], v[122:123] op_sel:[0,1]
	s_delay_alu instid0(VALU_DEP_1) | instskip(SKIP_1) | instid1(VALU_DEP_1)
	v_pk_fma_f32 v[124:125], v[118:119], v[120:121], v[116:117] op_sel:[0,0,1] op_sel_hi:[1,1,0] neg_lo:[0,0,1] neg_hi:[0,0,1]
	v_pk_fma_f32 v[116:117], v[118:119], v[120:121], v[116:117] op_sel:[0,0,1] op_sel_hi:[1,0,0]
	v_mov_b32_e32 v125, v117
	ds_load_b64 v[116:117], v136 offset:168
	v_pk_add_f32 v[86:87], v[86:87], v[126:127] neg_lo:[0,1] neg_hi:[0,1]
	v_pk_add_f32 v[84:85], v[84:85], v[124:125] neg_lo:[0,1] neg_hi:[0,1]
	s_wait_dscnt 0x0
	v_pk_mul_f32 v[118:119], v[116:117], v[122:123] op_sel:[0,1]
	s_delay_alu instid0(VALU_DEP_1) | instskip(SKIP_1) | instid1(VALU_DEP_1)
	v_pk_fma_f32 v[122:123], v[116:117], v[120:121], v[118:119] op_sel:[0,0,1] op_sel_hi:[1,1,0] neg_lo:[0,0,1] neg_hi:[0,0,1]
	v_pk_fma_f32 v[116:117], v[116:117], v[120:121], v[118:119] op_sel:[0,0,1] op_sel_hi:[1,0,0]
	v_mov_b32_e32 v123, v117
	s_delay_alu instid0(VALU_DEP_1)
	v_pk_add_f32 v[88:89], v[88:89], v[122:123] neg_lo:[0,1] neg_hi:[0,1]
.LBB43_118:
	s_or_b32 exec_lo, exec_lo, s1
	s_delay_alu instid0(SALU_CYCLE_1)
	s_mov_b32 s2, exec_lo
	s_wait_dscnt 0x0
	s_barrier_signal -1
	s_barrier_wait -1
	v_cmpx_eq_u32_e32 13, v134
	s_cbranch_execz .LBB43_125
; %bb.119:
	v_dual_mov_b32 v116, v66 :: v_dual_mov_b32 v117, v67
	v_dual_mov_b32 v118, v62 :: v_dual_mov_b32 v119, v63
	;; [unrolled: 1-line block ×7, first 2 shown]
	ds_store_b64 v135, v[64:65]
	ds_store_2addr_b64 v136, v[116:117], v[118:119] offset0:14 offset1:15
	ds_store_2addr_b64 v136, v[120:121], v[122:123] offset0:16 offset1:17
	;; [unrolled: 1-line block ×4, first 2 shown]
	ds_load_b64 v[116:117], v135
	s_wait_dscnt 0x0
	v_cmp_neq_f32_e32 vcc_lo, 0, v116
	v_cmp_neq_f32_e64 s1, 0, v117
	s_or_b32 s1, vcc_lo, s1
	s_delay_alu instid0(SALU_CYCLE_1)
	s_and_b32 exec_lo, exec_lo, s1
	s_cbranch_execz .LBB43_125
; %bb.120:
	v_cmp_ngt_f32_e64 s1, |v116|, |v117|
                                        ; implicit-def: $vgpr118_vgpr119
	s_and_saveexec_b32 s4, s1
	s_delay_alu instid0(SALU_CYCLE_1)
	s_xor_b32 s1, exec_lo, s4
	s_cbranch_execz .LBB43_122
; %bb.121:
	v_div_scale_f32 v118, null, v117, v117, v116
	v_div_scale_f32 v121, vcc_lo, v116, v117, v116
	s_delay_alu instid0(VALU_DEP_2) | instskip(SKIP_1) | instid1(TRANS32_DEP_1)
	v_rcp_f32_e32 v119, v118
	v_nop
	v_fma_f32 v120, -v118, v119, 1.0
	s_delay_alu instid0(VALU_DEP_1) | instskip(NEXT) | instid1(VALU_DEP_1)
	v_fmac_f32_e32 v119, v120, v119
	v_mul_f32_e32 v120, v121, v119
	s_delay_alu instid0(VALU_DEP_1) | instskip(NEXT) | instid1(VALU_DEP_1)
	v_fma_f32 v122, -v118, v120, v121
	v_fmac_f32_e32 v120, v122, v119
	s_delay_alu instid0(VALU_DEP_1) | instskip(NEXT) | instid1(VALU_DEP_1)
	v_fma_f32 v118, -v118, v120, v121
	v_div_fmas_f32 v118, v118, v119, v120
	s_delay_alu instid0(VALU_DEP_1) | instskip(NEXT) | instid1(VALU_DEP_1)
	v_div_fixup_f32 v118, v118, v117, v116
	v_fmac_f32_e32 v117, v116, v118
	s_delay_alu instid0(VALU_DEP_1) | instskip(SKIP_1) | instid1(VALU_DEP_2)
	v_div_scale_f32 v116, null, v117, v117, 1.0
	v_div_scale_f32 v121, vcc_lo, 1.0, v117, 1.0
	v_rcp_f32_e32 v119, v116
	v_nop
	s_delay_alu instid0(TRANS32_DEP_1) | instskip(NEXT) | instid1(VALU_DEP_1)
	v_fma_f32 v120, -v116, v119, 1.0
	v_fmac_f32_e32 v119, v120, v119
	s_delay_alu instid0(VALU_DEP_1) | instskip(NEXT) | instid1(VALU_DEP_1)
	v_mul_f32_e32 v120, v121, v119
	v_fma_f32 v122, -v116, v120, v121
	s_delay_alu instid0(VALU_DEP_1) | instskip(NEXT) | instid1(VALU_DEP_1)
	v_fmac_f32_e32 v120, v122, v119
	v_fma_f32 v116, -v116, v120, v121
	s_delay_alu instid0(VALU_DEP_1) | instskip(NEXT) | instid1(VALU_DEP_1)
	v_div_fmas_f32 v116, v116, v119, v120
	v_div_fixup_f32 v116, v116, v117, 1.0
	s_delay_alu instid0(VALU_DEP_1)
	v_mul_f32_e32 v118, v118, v116
	v_xor_b32_e32 v119, 0x80000000, v116
                                        ; implicit-def: $vgpr116_vgpr117
.LBB43_122:
	s_and_not1_saveexec_b32 s1, s1
	s_cbranch_execz .LBB43_124
; %bb.123:
	v_div_scale_f32 v118, null, v116, v116, v117
	v_div_scale_f32 v121, vcc_lo, v117, v116, v117
	s_delay_alu instid0(VALU_DEP_2) | instskip(SKIP_1) | instid1(TRANS32_DEP_1)
	v_rcp_f32_e32 v119, v118
	v_nop
	v_fma_f32 v120, -v118, v119, 1.0
	s_delay_alu instid0(VALU_DEP_1) | instskip(NEXT) | instid1(VALU_DEP_1)
	v_fmac_f32_e32 v119, v120, v119
	v_mul_f32_e32 v120, v121, v119
	s_delay_alu instid0(VALU_DEP_1) | instskip(NEXT) | instid1(VALU_DEP_1)
	v_fma_f32 v122, -v118, v120, v121
	v_fmac_f32_e32 v120, v122, v119
	s_delay_alu instid0(VALU_DEP_1) | instskip(NEXT) | instid1(VALU_DEP_1)
	v_fma_f32 v118, -v118, v120, v121
	v_div_fmas_f32 v118, v118, v119, v120
	s_delay_alu instid0(VALU_DEP_1) | instskip(NEXT) | instid1(VALU_DEP_1)
	v_div_fixup_f32 v119, v118, v116, v117
	v_fmac_f32_e32 v116, v117, v119
	s_delay_alu instid0(VALU_DEP_1) | instskip(NEXT) | instid1(VALU_DEP_1)
	v_div_scale_f32 v117, null, v116, v116, 1.0
	v_rcp_f32_e32 v118, v117
	v_nop
	s_delay_alu instid0(TRANS32_DEP_1) | instskip(NEXT) | instid1(VALU_DEP_1)
	v_fma_f32 v120, -v117, v118, 1.0
	v_fmac_f32_e32 v118, v120, v118
	v_div_scale_f32 v120, vcc_lo, 1.0, v116, 1.0
	s_delay_alu instid0(VALU_DEP_1) | instskip(NEXT) | instid1(VALU_DEP_1)
	v_mul_f32_e32 v121, v120, v118
	v_fma_f32 v122, -v117, v121, v120
	s_delay_alu instid0(VALU_DEP_1) | instskip(NEXT) | instid1(VALU_DEP_1)
	v_fmac_f32_e32 v121, v122, v118
	v_fma_f32 v117, -v117, v121, v120
	s_delay_alu instid0(VALU_DEP_1) | instskip(NEXT) | instid1(VALU_DEP_1)
	v_div_fmas_f32 v117, v117, v118, v121
	v_div_fixup_f32 v118, v117, v116, 1.0
	s_delay_alu instid0(VALU_DEP_1)
	v_mul_f32_e64 v119, v119, -v118
.LBB43_124:
	s_or_b32 exec_lo, exec_lo, s1
	ds_store_b64 v135, v[118:119]
.LBB43_125:
	s_or_b32 exec_lo, exec_lo, s2
	s_wait_dscnt 0x0
	s_barrier_signal -1
	s_barrier_wait -1
	ds_load_b64 v[116:117], v135
	s_mov_b32 s1, exec_lo
	v_cmpx_lt_u32_e32 13, v134
	s_cbranch_execz .LBB43_127
; %bb.126:
	s_wait_dscnt 0x0
	v_pk_mul_f32 v[118:119], v[116:117], v[64:65] op_sel:[1,1] op_sel_hi:[0,1]
	s_delay_alu instid0(VALU_DEP_1)
	v_pk_fma_f32 v[122:123], v[116:117], v[64:65], v[118:119] op_sel_hi:[1,0,1] neg_lo:[0,0,1] neg_hi:[0,0,1]
	v_pk_fma_f32 v[124:125], v[116:117], v[64:65], v[118:119] op_sel_hi:[1,0,1]
	ds_load_2addr_b64 v[118:121], v136 offset0:14 offset1:15
	v_dual_mov_b32 v64, v122 :: v_dual_mov_b32 v65, v125
	s_wait_dscnt 0x0
	v_pk_mul_f32 v[126:127], v[118:119], v[124:125] op_sel:[0,1]
	s_delay_alu instid0(VALU_DEP_1) | instskip(SKIP_1) | instid1(VALU_DEP_1)
	v_pk_fma_f32 v[128:129], v[118:119], v[122:123], v[126:127] op_sel:[0,0,1] op_sel_hi:[1,1,0] neg_lo:[0,0,1] neg_hi:[0,0,1]
	v_pk_fma_f32 v[118:119], v[118:119], v[122:123], v[126:127] op_sel:[0,0,1] op_sel_hi:[1,0,0]
	v_mov_b32_e32 v129, v119
	v_pk_mul_f32 v[118:119], v[120:121], v[124:125] op_sel:[0,1]
	s_delay_alu instid0(VALU_DEP_1) | instskip(SKIP_1) | instid1(VALU_DEP_1)
	v_pk_fma_f32 v[126:127], v[120:121], v[122:123], v[118:119] op_sel:[0,0,1] op_sel_hi:[1,1,0] neg_lo:[0,0,1] neg_hi:[0,0,1]
	v_pk_fma_f32 v[118:119], v[120:121], v[122:123], v[118:119] op_sel:[0,0,1] op_sel_hi:[1,0,0]
	v_mov_b32_e32 v127, v119
	ds_load_2addr_b64 v[118:121], v136 offset0:16 offset1:17
	v_pk_add_f32 v[66:67], v[66:67], v[128:129] neg_lo:[0,1] neg_hi:[0,1]
	v_pk_add_f32 v[62:63], v[62:63], v[126:127] neg_lo:[0,1] neg_hi:[0,1]
	s_wait_dscnt 0x0
	v_pk_mul_f32 v[126:127], v[118:119], v[124:125] op_sel:[0,1]
	s_delay_alu instid0(VALU_DEP_1) | instskip(SKIP_2) | instid1(VALU_DEP_2)
	v_pk_fma_f32 v[128:129], v[118:119], v[122:123], v[126:127] op_sel:[0,0,1] op_sel_hi:[1,1,0] neg_lo:[0,0,1] neg_hi:[0,0,1]
	v_pk_fma_f32 v[118:119], v[118:119], v[122:123], v[126:127] op_sel:[0,0,1] op_sel_hi:[1,0,0]
	v_dual_mul_f32 v126, v121, v125 :: v_dual_mov_b32 v118, v121
	v_dual_mov_b32 v129, v119 :: v_dual_mov_b32 v119, v120
	s_delay_alu instid0(VALU_DEP_2) | instskip(SKIP_1) | instid1(VALU_DEP_3)
	v_pk_fma_f32 v[126:127], v[120:121], v[64:65], v[126:127] op_sel_hi:[1,1,0] neg_lo:[0,0,1] neg_hi:[0,0,1]
	v_mul_f32_e32 v120, v121, v122
	v_pk_add_f32 v[82:83], v[82:83], v[128:129] neg_lo:[0,1] neg_hi:[0,1]
	s_delay_alu instid0(VALU_DEP_2) | instskip(NEXT) | instid1(VALU_DEP_1)
	v_pk_fma_f32 v[118:119], v[118:119], v[64:65], v[120:121] op_sel_hi:[1,1,0]
	v_mov_b32_e32 v127, v119
	ds_load_2addr_b64 v[118:121], v136 offset0:18 offset1:19
	v_pk_add_f32 v[78:79], v[78:79], v[126:127] neg_lo:[0,1] neg_hi:[0,1]
	s_wait_dscnt 0x0
	v_pk_mul_f32 v[126:127], v[118:119], v[124:125] op_sel:[0,1]
	s_delay_alu instid0(VALU_DEP_1) | instskip(SKIP_1) | instid1(VALU_DEP_1)
	v_pk_fma_f32 v[128:129], v[118:119], v[122:123], v[126:127] op_sel:[0,0,1] op_sel_hi:[1,1,0] neg_lo:[0,0,1] neg_hi:[0,0,1]
	v_pk_fma_f32 v[118:119], v[118:119], v[122:123], v[126:127] op_sel:[0,0,1] op_sel_hi:[1,0,0]
	v_mov_b32_e32 v129, v119
	v_pk_mul_f32 v[118:119], v[120:121], v[124:125] op_sel:[0,1]
	s_delay_alu instid0(VALU_DEP_1) | instskip(SKIP_1) | instid1(VALU_DEP_1)
	v_pk_fma_f32 v[126:127], v[120:121], v[122:123], v[118:119] op_sel:[0,0,1] op_sel_hi:[1,1,0] neg_lo:[0,0,1] neg_hi:[0,0,1]
	v_pk_fma_f32 v[118:119], v[120:121], v[122:123], v[118:119] op_sel:[0,0,1] op_sel_hi:[1,0,0]
	v_mov_b32_e32 v127, v119
	ds_load_2addr_b64 v[118:121], v136 offset0:20 offset1:21
	v_pk_add_f32 v[80:81], v[80:81], v[128:129] neg_lo:[0,1] neg_hi:[0,1]
	v_pk_add_f32 v[86:87], v[86:87], v[126:127] neg_lo:[0,1] neg_hi:[0,1]
	s_wait_dscnt 0x0
	v_pk_mul_f32 v[126:127], v[118:119], v[124:125] op_sel:[0,1]
	s_delay_alu instid0(VALU_DEP_1) | instskip(SKIP_1) | instid1(VALU_DEP_1)
	v_pk_fma_f32 v[128:129], v[118:119], v[122:123], v[126:127] op_sel:[0,0,1] op_sel_hi:[1,1,0] neg_lo:[0,0,1] neg_hi:[0,0,1]
	v_pk_fma_f32 v[118:119], v[118:119], v[122:123], v[126:127] op_sel:[0,0,1] op_sel_hi:[1,0,0]
	v_mov_b32_e32 v129, v119
	v_pk_mul_f32 v[118:119], v[120:121], v[124:125] op_sel:[0,1]
	s_delay_alu instid0(VALU_DEP_1) | instskip(SKIP_1) | instid1(VALU_DEP_1)
	v_pk_fma_f32 v[124:125], v[120:121], v[122:123], v[118:119] op_sel:[0,0,1] op_sel_hi:[1,1,0] neg_lo:[0,0,1] neg_hi:[0,0,1]
	v_pk_fma_f32 v[118:119], v[120:121], v[122:123], v[118:119] op_sel:[0,0,1] op_sel_hi:[1,0,0]
	v_mov_b32_e32 v125, v119
	v_pk_add_f32 v[84:85], v[84:85], v[128:129] neg_lo:[0,1] neg_hi:[0,1]
	s_delay_alu instid0(VALU_DEP_2)
	v_pk_add_f32 v[88:89], v[88:89], v[124:125] neg_lo:[0,1] neg_hi:[0,1]
.LBB43_127:
	s_or_b32 exec_lo, exec_lo, s1
	s_delay_alu instid0(SALU_CYCLE_1)
	s_mov_b32 s2, exec_lo
	s_wait_dscnt 0x0
	s_barrier_signal -1
	s_barrier_wait -1
	v_cmpx_eq_u32_e32 14, v134
	s_cbranch_execz .LBB43_134
; %bb.128:
	ds_store_b64 v135, v[66:67]
	ds_store_2addr_b64 v136, v[62:63], v[82:83] offset0:15 offset1:16
	ds_store_2addr_b64 v136, v[78:79], v[80:81] offset0:17 offset1:18
	;; [unrolled: 1-line block ×3, first 2 shown]
	ds_store_b64 v136, v[88:89] offset:168
	ds_load_b64 v[118:119], v135
	s_wait_dscnt 0x0
	v_cmp_neq_f32_e32 vcc_lo, 0, v118
	v_cmp_neq_f32_e64 s1, 0, v119
	s_or_b32 s1, vcc_lo, s1
	s_delay_alu instid0(SALU_CYCLE_1)
	s_and_b32 exec_lo, exec_lo, s1
	s_cbranch_execz .LBB43_134
; %bb.129:
	v_cmp_ngt_f32_e64 s1, |v118|, |v119|
                                        ; implicit-def: $vgpr120_vgpr121
	s_and_saveexec_b32 s4, s1
	s_delay_alu instid0(SALU_CYCLE_1)
	s_xor_b32 s1, exec_lo, s4
	s_cbranch_execz .LBB43_131
; %bb.130:
	v_div_scale_f32 v120, null, v119, v119, v118
	v_div_scale_f32 v123, vcc_lo, v118, v119, v118
	s_delay_alu instid0(VALU_DEP_2) | instskip(SKIP_1) | instid1(TRANS32_DEP_1)
	v_rcp_f32_e32 v121, v120
	v_nop
	v_fma_f32 v122, -v120, v121, 1.0
	s_delay_alu instid0(VALU_DEP_1) | instskip(NEXT) | instid1(VALU_DEP_1)
	v_fmac_f32_e32 v121, v122, v121
	v_mul_f32_e32 v122, v123, v121
	s_delay_alu instid0(VALU_DEP_1) | instskip(NEXT) | instid1(VALU_DEP_1)
	v_fma_f32 v124, -v120, v122, v123
	v_fmac_f32_e32 v122, v124, v121
	s_delay_alu instid0(VALU_DEP_1) | instskip(NEXT) | instid1(VALU_DEP_1)
	v_fma_f32 v120, -v120, v122, v123
	v_div_fmas_f32 v120, v120, v121, v122
	s_delay_alu instid0(VALU_DEP_1) | instskip(NEXT) | instid1(VALU_DEP_1)
	v_div_fixup_f32 v120, v120, v119, v118
	v_fmac_f32_e32 v119, v118, v120
	s_delay_alu instid0(VALU_DEP_1) | instskip(SKIP_1) | instid1(VALU_DEP_2)
	v_div_scale_f32 v118, null, v119, v119, 1.0
	v_div_scale_f32 v123, vcc_lo, 1.0, v119, 1.0
	v_rcp_f32_e32 v121, v118
	v_nop
	s_delay_alu instid0(TRANS32_DEP_1) | instskip(NEXT) | instid1(VALU_DEP_1)
	v_fma_f32 v122, -v118, v121, 1.0
	v_fmac_f32_e32 v121, v122, v121
	s_delay_alu instid0(VALU_DEP_1) | instskip(NEXT) | instid1(VALU_DEP_1)
	v_mul_f32_e32 v122, v123, v121
	v_fma_f32 v124, -v118, v122, v123
	s_delay_alu instid0(VALU_DEP_1) | instskip(NEXT) | instid1(VALU_DEP_1)
	v_fmac_f32_e32 v122, v124, v121
	v_fma_f32 v118, -v118, v122, v123
	s_delay_alu instid0(VALU_DEP_1) | instskip(NEXT) | instid1(VALU_DEP_1)
	v_div_fmas_f32 v118, v118, v121, v122
	v_div_fixup_f32 v118, v118, v119, 1.0
	s_delay_alu instid0(VALU_DEP_1)
	v_mul_f32_e32 v120, v120, v118
	v_xor_b32_e32 v121, 0x80000000, v118
                                        ; implicit-def: $vgpr118_vgpr119
.LBB43_131:
	s_and_not1_saveexec_b32 s1, s1
	s_cbranch_execz .LBB43_133
; %bb.132:
	v_div_scale_f32 v120, null, v118, v118, v119
	v_div_scale_f32 v123, vcc_lo, v119, v118, v119
	s_delay_alu instid0(VALU_DEP_2) | instskip(SKIP_1) | instid1(TRANS32_DEP_1)
	v_rcp_f32_e32 v121, v120
	v_nop
	v_fma_f32 v122, -v120, v121, 1.0
	s_delay_alu instid0(VALU_DEP_1) | instskip(NEXT) | instid1(VALU_DEP_1)
	v_fmac_f32_e32 v121, v122, v121
	v_mul_f32_e32 v122, v123, v121
	s_delay_alu instid0(VALU_DEP_1) | instskip(NEXT) | instid1(VALU_DEP_1)
	v_fma_f32 v124, -v120, v122, v123
	v_fmac_f32_e32 v122, v124, v121
	s_delay_alu instid0(VALU_DEP_1) | instskip(NEXT) | instid1(VALU_DEP_1)
	v_fma_f32 v120, -v120, v122, v123
	v_div_fmas_f32 v120, v120, v121, v122
	s_delay_alu instid0(VALU_DEP_1) | instskip(NEXT) | instid1(VALU_DEP_1)
	v_div_fixup_f32 v121, v120, v118, v119
	v_fmac_f32_e32 v118, v119, v121
	s_delay_alu instid0(VALU_DEP_1) | instskip(NEXT) | instid1(VALU_DEP_1)
	v_div_scale_f32 v119, null, v118, v118, 1.0
	v_rcp_f32_e32 v120, v119
	v_nop
	s_delay_alu instid0(TRANS32_DEP_1) | instskip(NEXT) | instid1(VALU_DEP_1)
	v_fma_f32 v122, -v119, v120, 1.0
	v_fmac_f32_e32 v120, v122, v120
	v_div_scale_f32 v122, vcc_lo, 1.0, v118, 1.0
	s_delay_alu instid0(VALU_DEP_1) | instskip(NEXT) | instid1(VALU_DEP_1)
	v_mul_f32_e32 v123, v122, v120
	v_fma_f32 v124, -v119, v123, v122
	s_delay_alu instid0(VALU_DEP_1) | instskip(NEXT) | instid1(VALU_DEP_1)
	v_fmac_f32_e32 v123, v124, v120
	v_fma_f32 v119, -v119, v123, v122
	s_delay_alu instid0(VALU_DEP_1) | instskip(NEXT) | instid1(VALU_DEP_1)
	v_div_fmas_f32 v119, v119, v120, v123
	v_div_fixup_f32 v120, v119, v118, 1.0
	s_delay_alu instid0(VALU_DEP_1)
	v_mul_f32_e64 v121, v121, -v120
.LBB43_133:
	s_or_b32 exec_lo, exec_lo, s1
	ds_store_b64 v135, v[120:121]
.LBB43_134:
	s_or_b32 exec_lo, exec_lo, s2
	s_wait_dscnt 0x0
	s_barrier_signal -1
	s_barrier_wait -1
	ds_load_b64 v[118:119], v135
	s_mov_b32 s1, exec_lo
	v_cmpx_lt_u32_e32 14, v134
	s_cbranch_execz .LBB43_136
; %bb.135:
	s_wait_dscnt 0x0
	v_pk_mul_f32 v[120:121], v[118:119], v[66:67] op_sel:[1,1] op_sel_hi:[0,1]
	s_delay_alu instid0(VALU_DEP_1)
	v_pk_fma_f32 v[124:125], v[118:119], v[66:67], v[120:121] op_sel_hi:[1,0,1] neg_lo:[0,0,1] neg_hi:[0,0,1]
	v_pk_fma_f32 v[126:127], v[118:119], v[66:67], v[120:121] op_sel_hi:[1,0,1]
	ds_load_2addr_b64 v[120:123], v136 offset0:15 offset1:16
	v_dual_mov_b32 v66, v124 :: v_dual_mov_b32 v67, v127
	s_wait_dscnt 0x0
	v_pk_mul_f32 v[128:129], v[120:121], v[126:127] op_sel:[0,1]
	s_delay_alu instid0(VALU_DEP_1) | instskip(SKIP_1) | instid1(VALU_DEP_1)
	v_pk_fma_f32 v[130:131], v[120:121], v[124:125], v[128:129] op_sel:[0,0,1] op_sel_hi:[1,1,0] neg_lo:[0,0,1] neg_hi:[0,0,1]
	v_pk_fma_f32 v[120:121], v[120:121], v[124:125], v[128:129] op_sel:[0,0,1] op_sel_hi:[1,0,0]
	v_mov_b32_e32 v131, v121
	v_pk_mul_f32 v[120:121], v[122:123], v[126:127] op_sel:[0,1]
	s_delay_alu instid0(VALU_DEP_1) | instskip(SKIP_1) | instid1(VALU_DEP_1)
	v_pk_fma_f32 v[128:129], v[122:123], v[124:125], v[120:121] op_sel:[0,0,1] op_sel_hi:[1,1,0] neg_lo:[0,0,1] neg_hi:[0,0,1]
	v_pk_fma_f32 v[120:121], v[122:123], v[124:125], v[120:121] op_sel:[0,0,1] op_sel_hi:[1,0,0]
	v_mov_b32_e32 v129, v121
	ds_load_2addr_b64 v[120:123], v136 offset0:17 offset1:18
	v_pk_add_f32 v[62:63], v[62:63], v[130:131] neg_lo:[0,1] neg_hi:[0,1]
	v_pk_add_f32 v[82:83], v[82:83], v[128:129] neg_lo:[0,1] neg_hi:[0,1]
	s_wait_dscnt 0x0
	v_pk_mul_f32 v[128:129], v[120:121], v[126:127] op_sel:[0,1]
	s_delay_alu instid0(VALU_DEP_1) | instskip(SKIP_2) | instid1(VALU_DEP_2)
	v_pk_fma_f32 v[130:131], v[120:121], v[124:125], v[128:129] op_sel:[0,0,1] op_sel_hi:[1,1,0] neg_lo:[0,0,1] neg_hi:[0,0,1]
	v_pk_fma_f32 v[120:121], v[120:121], v[124:125], v[128:129] op_sel:[0,0,1] op_sel_hi:[1,0,0]
	v_dual_mul_f32 v128, v123, v127 :: v_dual_mov_b32 v120, v123
	v_dual_mov_b32 v131, v121 :: v_dual_mov_b32 v121, v122
	s_delay_alu instid0(VALU_DEP_2) | instskip(SKIP_1) | instid1(VALU_DEP_3)
	v_pk_fma_f32 v[128:129], v[122:123], v[66:67], v[128:129] op_sel_hi:[1,1,0] neg_lo:[0,0,1] neg_hi:[0,0,1]
	v_mul_f32_e32 v122, v123, v124
	v_pk_add_f32 v[78:79], v[78:79], v[130:131] neg_lo:[0,1] neg_hi:[0,1]
	s_delay_alu instid0(VALU_DEP_2) | instskip(NEXT) | instid1(VALU_DEP_1)
	v_pk_fma_f32 v[120:121], v[120:121], v[66:67], v[122:123] op_sel_hi:[1,1,0]
	v_mov_b32_e32 v129, v121
	ds_load_2addr_b64 v[120:123], v136 offset0:19 offset1:20
	v_pk_add_f32 v[80:81], v[80:81], v[128:129] neg_lo:[0,1] neg_hi:[0,1]
	s_wait_dscnt 0x0
	v_pk_mul_f32 v[128:129], v[120:121], v[126:127] op_sel:[0,1]
	s_delay_alu instid0(VALU_DEP_1) | instskip(SKIP_1) | instid1(VALU_DEP_1)
	v_pk_fma_f32 v[130:131], v[120:121], v[124:125], v[128:129] op_sel:[0,0,1] op_sel_hi:[1,1,0] neg_lo:[0,0,1] neg_hi:[0,0,1]
	v_pk_fma_f32 v[120:121], v[120:121], v[124:125], v[128:129] op_sel:[0,0,1] op_sel_hi:[1,0,0]
	v_mov_b32_e32 v131, v121
	v_pk_mul_f32 v[120:121], v[122:123], v[126:127] op_sel:[0,1]
	s_delay_alu instid0(VALU_DEP_1) | instskip(SKIP_1) | instid1(VALU_DEP_1)
	v_pk_fma_f32 v[128:129], v[122:123], v[124:125], v[120:121] op_sel:[0,0,1] op_sel_hi:[1,1,0] neg_lo:[0,0,1] neg_hi:[0,0,1]
	v_pk_fma_f32 v[120:121], v[122:123], v[124:125], v[120:121] op_sel:[0,0,1] op_sel_hi:[1,0,0]
	v_mov_b32_e32 v129, v121
	ds_load_b64 v[120:121], v136 offset:168
	v_pk_add_f32 v[86:87], v[86:87], v[130:131] neg_lo:[0,1] neg_hi:[0,1]
	v_pk_add_f32 v[84:85], v[84:85], v[128:129] neg_lo:[0,1] neg_hi:[0,1]
	s_wait_dscnt 0x0
	v_pk_mul_f32 v[122:123], v[120:121], v[126:127] op_sel:[0,1]
	s_delay_alu instid0(VALU_DEP_1) | instskip(SKIP_1) | instid1(VALU_DEP_1)
	v_pk_fma_f32 v[126:127], v[120:121], v[124:125], v[122:123] op_sel:[0,0,1] op_sel_hi:[1,1,0] neg_lo:[0,0,1] neg_hi:[0,0,1]
	v_pk_fma_f32 v[120:121], v[120:121], v[124:125], v[122:123] op_sel:[0,0,1] op_sel_hi:[1,0,0]
	v_mov_b32_e32 v127, v121
	s_delay_alu instid0(VALU_DEP_1)
	v_pk_add_f32 v[88:89], v[88:89], v[126:127] neg_lo:[0,1] neg_hi:[0,1]
.LBB43_136:
	s_or_b32 exec_lo, exec_lo, s1
	s_delay_alu instid0(SALU_CYCLE_1)
	s_mov_b32 s2, exec_lo
	s_wait_dscnt 0x0
	s_barrier_signal -1
	s_barrier_wait -1
	v_cmpx_eq_u32_e32 15, v134
	s_cbranch_execz .LBB43_143
; %bb.137:
	v_dual_mov_b32 v120, v82 :: v_dual_mov_b32 v121, v83
	v_dual_mov_b32 v122, v78 :: v_dual_mov_b32 v123, v79
	v_dual_mov_b32 v124, v80 :: v_dual_mov_b32 v125, v81
	v_dual_mov_b32 v126, v86 :: v_dual_mov_b32 v127, v87
	v_dual_mov_b32 v128, v84 :: v_dual_mov_b32 v129, v85
	ds_store_b64 v135, v[62:63]
	ds_store_2addr_b64 v136, v[120:121], v[122:123] offset0:16 offset1:17
	ds_store_2addr_b64 v136, v[124:125], v[126:127] offset0:18 offset1:19
	;; [unrolled: 1-line block ×3, first 2 shown]
	ds_load_b64 v[120:121], v135
	s_wait_dscnt 0x0
	v_cmp_neq_f32_e32 vcc_lo, 0, v120
	v_cmp_neq_f32_e64 s1, 0, v121
	s_or_b32 s1, vcc_lo, s1
	s_delay_alu instid0(SALU_CYCLE_1)
	s_and_b32 exec_lo, exec_lo, s1
	s_cbranch_execz .LBB43_143
; %bb.138:
	v_cmp_ngt_f32_e64 s1, |v120|, |v121|
                                        ; implicit-def: $vgpr122_vgpr123
	s_and_saveexec_b32 s4, s1
	s_delay_alu instid0(SALU_CYCLE_1)
	s_xor_b32 s1, exec_lo, s4
	s_cbranch_execz .LBB43_140
; %bb.139:
	v_div_scale_f32 v122, null, v121, v121, v120
	v_div_scale_f32 v125, vcc_lo, v120, v121, v120
	s_delay_alu instid0(VALU_DEP_2) | instskip(SKIP_1) | instid1(TRANS32_DEP_1)
	v_rcp_f32_e32 v123, v122
	v_nop
	v_fma_f32 v124, -v122, v123, 1.0
	s_delay_alu instid0(VALU_DEP_1) | instskip(NEXT) | instid1(VALU_DEP_1)
	v_fmac_f32_e32 v123, v124, v123
	v_mul_f32_e32 v124, v125, v123
	s_delay_alu instid0(VALU_DEP_1) | instskip(NEXT) | instid1(VALU_DEP_1)
	v_fma_f32 v126, -v122, v124, v125
	v_fmac_f32_e32 v124, v126, v123
	s_delay_alu instid0(VALU_DEP_1) | instskip(NEXT) | instid1(VALU_DEP_1)
	v_fma_f32 v122, -v122, v124, v125
	v_div_fmas_f32 v122, v122, v123, v124
	s_delay_alu instid0(VALU_DEP_1) | instskip(NEXT) | instid1(VALU_DEP_1)
	v_div_fixup_f32 v122, v122, v121, v120
	v_fmac_f32_e32 v121, v120, v122
	s_delay_alu instid0(VALU_DEP_1) | instskip(SKIP_1) | instid1(VALU_DEP_2)
	v_div_scale_f32 v120, null, v121, v121, 1.0
	v_div_scale_f32 v125, vcc_lo, 1.0, v121, 1.0
	v_rcp_f32_e32 v123, v120
	v_nop
	s_delay_alu instid0(TRANS32_DEP_1) | instskip(NEXT) | instid1(VALU_DEP_1)
	v_fma_f32 v124, -v120, v123, 1.0
	v_fmac_f32_e32 v123, v124, v123
	s_delay_alu instid0(VALU_DEP_1) | instskip(NEXT) | instid1(VALU_DEP_1)
	v_mul_f32_e32 v124, v125, v123
	v_fma_f32 v126, -v120, v124, v125
	s_delay_alu instid0(VALU_DEP_1) | instskip(NEXT) | instid1(VALU_DEP_1)
	v_fmac_f32_e32 v124, v126, v123
	v_fma_f32 v120, -v120, v124, v125
	s_delay_alu instid0(VALU_DEP_1) | instskip(NEXT) | instid1(VALU_DEP_1)
	v_div_fmas_f32 v120, v120, v123, v124
	v_div_fixup_f32 v120, v120, v121, 1.0
	s_delay_alu instid0(VALU_DEP_1)
	v_mul_f32_e32 v122, v122, v120
	v_xor_b32_e32 v123, 0x80000000, v120
                                        ; implicit-def: $vgpr120_vgpr121
.LBB43_140:
	s_and_not1_saveexec_b32 s1, s1
	s_cbranch_execz .LBB43_142
; %bb.141:
	v_div_scale_f32 v122, null, v120, v120, v121
	v_div_scale_f32 v125, vcc_lo, v121, v120, v121
	s_delay_alu instid0(VALU_DEP_2) | instskip(SKIP_1) | instid1(TRANS32_DEP_1)
	v_rcp_f32_e32 v123, v122
	v_nop
	v_fma_f32 v124, -v122, v123, 1.0
	s_delay_alu instid0(VALU_DEP_1) | instskip(NEXT) | instid1(VALU_DEP_1)
	v_fmac_f32_e32 v123, v124, v123
	v_mul_f32_e32 v124, v125, v123
	s_delay_alu instid0(VALU_DEP_1) | instskip(NEXT) | instid1(VALU_DEP_1)
	v_fma_f32 v126, -v122, v124, v125
	v_fmac_f32_e32 v124, v126, v123
	s_delay_alu instid0(VALU_DEP_1) | instskip(NEXT) | instid1(VALU_DEP_1)
	v_fma_f32 v122, -v122, v124, v125
	v_div_fmas_f32 v122, v122, v123, v124
	s_delay_alu instid0(VALU_DEP_1) | instskip(NEXT) | instid1(VALU_DEP_1)
	v_div_fixup_f32 v123, v122, v120, v121
	v_fmac_f32_e32 v120, v121, v123
	s_delay_alu instid0(VALU_DEP_1) | instskip(NEXT) | instid1(VALU_DEP_1)
	v_div_scale_f32 v121, null, v120, v120, 1.0
	v_rcp_f32_e32 v122, v121
	v_nop
	s_delay_alu instid0(TRANS32_DEP_1) | instskip(NEXT) | instid1(VALU_DEP_1)
	v_fma_f32 v124, -v121, v122, 1.0
	v_fmac_f32_e32 v122, v124, v122
	v_div_scale_f32 v124, vcc_lo, 1.0, v120, 1.0
	s_delay_alu instid0(VALU_DEP_1) | instskip(NEXT) | instid1(VALU_DEP_1)
	v_mul_f32_e32 v125, v124, v122
	v_fma_f32 v126, -v121, v125, v124
	s_delay_alu instid0(VALU_DEP_1) | instskip(NEXT) | instid1(VALU_DEP_1)
	v_fmac_f32_e32 v125, v126, v122
	v_fma_f32 v121, -v121, v125, v124
	s_delay_alu instid0(VALU_DEP_1) | instskip(NEXT) | instid1(VALU_DEP_1)
	v_div_fmas_f32 v121, v121, v122, v125
	v_div_fixup_f32 v122, v121, v120, 1.0
	s_delay_alu instid0(VALU_DEP_1)
	v_mul_f32_e64 v123, v123, -v122
.LBB43_142:
	s_or_b32 exec_lo, exec_lo, s1
	ds_store_b64 v135, v[122:123]
.LBB43_143:
	s_or_b32 exec_lo, exec_lo, s2
	s_wait_dscnt 0x0
	s_barrier_signal -1
	s_barrier_wait -1
	ds_load_b64 v[120:121], v135
	s_mov_b32 s1, exec_lo
	v_cmpx_lt_u32_e32 15, v134
	s_cbranch_execz .LBB43_145
; %bb.144:
	s_wait_dscnt 0x0
	v_pk_mul_f32 v[122:123], v[120:121], v[62:63] op_sel:[1,1] op_sel_hi:[0,1]
	s_delay_alu instid0(VALU_DEP_1)
	v_pk_fma_f32 v[126:127], v[120:121], v[62:63], v[122:123] op_sel_hi:[1,0,1] neg_lo:[0,0,1] neg_hi:[0,0,1]
	v_pk_fma_f32 v[128:129], v[120:121], v[62:63], v[122:123] op_sel_hi:[1,0,1]
	ds_load_2addr_b64 v[122:125], v136 offset0:16 offset1:17
	v_dual_mov_b32 v62, v126 :: v_dual_mov_b32 v63, v129
	s_wait_dscnt 0x0
	v_pk_mul_f32 v[130:131], v[122:123], v[128:129] op_sel:[0,1]
	s_delay_alu instid0(VALU_DEP_1) | instskip(SKIP_1) | instid1(VALU_DEP_1)
	v_pk_fma_f32 v[132:133], v[122:123], v[126:127], v[130:131] op_sel:[0,0,1] op_sel_hi:[1,1,0] neg_lo:[0,0,1] neg_hi:[0,0,1]
	v_pk_fma_f32 v[122:123], v[122:123], v[126:127], v[130:131] op_sel:[0,0,1] op_sel_hi:[1,0,0]
	v_mov_b32_e32 v133, v123
	v_pk_mul_f32 v[122:123], v[124:125], v[128:129] op_sel:[0,1]
	s_delay_alu instid0(VALU_DEP_1) | instskip(SKIP_1) | instid1(VALU_DEP_1)
	v_pk_fma_f32 v[130:131], v[124:125], v[126:127], v[122:123] op_sel:[0,0,1] op_sel_hi:[1,1,0] neg_lo:[0,0,1] neg_hi:[0,0,1]
	v_pk_fma_f32 v[122:123], v[124:125], v[126:127], v[122:123] op_sel:[0,0,1] op_sel_hi:[1,0,0]
	v_mov_b32_e32 v131, v123
	ds_load_2addr_b64 v[122:125], v136 offset0:18 offset1:19
	v_pk_add_f32 v[82:83], v[82:83], v[132:133] neg_lo:[0,1] neg_hi:[0,1]
	v_pk_add_f32 v[78:79], v[78:79], v[130:131] neg_lo:[0,1] neg_hi:[0,1]
	s_wait_dscnt 0x0
	v_pk_mul_f32 v[130:131], v[122:123], v[128:129] op_sel:[0,1]
	s_delay_alu instid0(VALU_DEP_1) | instskip(SKIP_2) | instid1(VALU_DEP_2)
	v_pk_fma_f32 v[132:133], v[122:123], v[126:127], v[130:131] op_sel:[0,0,1] op_sel_hi:[1,1,0] neg_lo:[0,0,1] neg_hi:[0,0,1]
	v_pk_fma_f32 v[122:123], v[122:123], v[126:127], v[130:131] op_sel:[0,0,1] op_sel_hi:[1,0,0]
	v_dual_mul_f32 v130, v125, v129 :: v_dual_mov_b32 v122, v125
	v_dual_mov_b32 v133, v123 :: v_dual_mov_b32 v123, v124
	s_delay_alu instid0(VALU_DEP_2) | instskip(SKIP_1) | instid1(VALU_DEP_3)
	v_pk_fma_f32 v[130:131], v[124:125], v[62:63], v[130:131] op_sel_hi:[1,1,0] neg_lo:[0,0,1] neg_hi:[0,0,1]
	v_mul_f32_e32 v124, v125, v126
	v_pk_add_f32 v[80:81], v[80:81], v[132:133] neg_lo:[0,1] neg_hi:[0,1]
	s_delay_alu instid0(VALU_DEP_2) | instskip(NEXT) | instid1(VALU_DEP_1)
	v_pk_fma_f32 v[122:123], v[122:123], v[62:63], v[124:125] op_sel_hi:[1,1,0]
	v_mov_b32_e32 v131, v123
	ds_load_2addr_b64 v[122:125], v136 offset0:20 offset1:21
	v_pk_add_f32 v[86:87], v[86:87], v[130:131] neg_lo:[0,1] neg_hi:[0,1]
	s_wait_dscnt 0x0
	v_pk_mul_f32 v[130:131], v[122:123], v[128:129] op_sel:[0,1]
	v_mul_f32_e32 v128, v125, v129
	s_delay_alu instid0(VALU_DEP_2) | instskip(SKIP_2) | instid1(VALU_DEP_4)
	v_pk_fma_f32 v[132:133], v[122:123], v[126:127], v[130:131] op_sel:[0,0,1] op_sel_hi:[1,1,0] neg_lo:[0,0,1] neg_hi:[0,0,1]
	v_pk_fma_f32 v[122:123], v[122:123], v[126:127], v[130:131] op_sel:[0,0,1] op_sel_hi:[1,0,0]
	v_mov_b32_e32 v122, v125
	v_pk_fma_f32 v[128:129], v[124:125], v[62:63], v[128:129] op_sel_hi:[1,1,0] neg_lo:[0,0,1] neg_hi:[0,0,1]
	s_delay_alu instid0(VALU_DEP_3) | instskip(SKIP_1) | instid1(VALU_DEP_2)
	v_dual_mov_b32 v133, v123 :: v_dual_mov_b32 v123, v124
	v_mul_f32_e32 v124, v125, v126
	v_pk_add_f32 v[84:85], v[84:85], v[132:133] neg_lo:[0,1] neg_hi:[0,1]
	s_delay_alu instid0(VALU_DEP_2) | instskip(NEXT) | instid1(VALU_DEP_1)
	v_pk_fma_f32 v[122:123], v[122:123], v[62:63], v[124:125] op_sel_hi:[1,1,0]
	v_mov_b32_e32 v129, v123
	s_delay_alu instid0(VALU_DEP_1)
	v_pk_add_f32 v[88:89], v[88:89], v[128:129] neg_lo:[0,1] neg_hi:[0,1]
.LBB43_145:
	s_or_b32 exec_lo, exec_lo, s1
	s_delay_alu instid0(SALU_CYCLE_1)
	s_mov_b32 s2, exec_lo
	s_wait_dscnt 0x0
	s_barrier_signal -1
	s_barrier_wait -1
	v_cmpx_eq_u32_e32 16, v134
	s_cbranch_execz .LBB43_152
; %bb.146:
	ds_store_b64 v135, v[82:83]
	ds_store_2addr_b64 v136, v[78:79], v[80:81] offset0:17 offset1:18
	ds_store_2addr_b64 v136, v[86:87], v[84:85] offset0:19 offset1:20
	ds_store_b64 v136, v[88:89] offset:168
	ds_load_b64 v[122:123], v135
	s_wait_dscnt 0x0
	v_cmp_neq_f32_e32 vcc_lo, 0, v122
	v_cmp_neq_f32_e64 s1, 0, v123
	s_or_b32 s1, vcc_lo, s1
	s_delay_alu instid0(SALU_CYCLE_1)
	s_and_b32 exec_lo, exec_lo, s1
	s_cbranch_execz .LBB43_152
; %bb.147:
	v_cmp_ngt_f32_e64 s1, |v122|, |v123|
                                        ; implicit-def: $vgpr124_vgpr125
	s_and_saveexec_b32 s4, s1
	s_delay_alu instid0(SALU_CYCLE_1)
	s_xor_b32 s1, exec_lo, s4
	s_cbranch_execz .LBB43_149
; %bb.148:
	v_div_scale_f32 v124, null, v123, v123, v122
	v_div_scale_f32 v127, vcc_lo, v122, v123, v122
	s_delay_alu instid0(VALU_DEP_2) | instskip(SKIP_1) | instid1(TRANS32_DEP_1)
	v_rcp_f32_e32 v125, v124
	v_nop
	v_fma_f32 v126, -v124, v125, 1.0
	s_delay_alu instid0(VALU_DEP_1) | instskip(NEXT) | instid1(VALU_DEP_1)
	v_fmac_f32_e32 v125, v126, v125
	v_mul_f32_e32 v126, v127, v125
	s_delay_alu instid0(VALU_DEP_1) | instskip(NEXT) | instid1(VALU_DEP_1)
	v_fma_f32 v128, -v124, v126, v127
	v_fmac_f32_e32 v126, v128, v125
	s_delay_alu instid0(VALU_DEP_1) | instskip(NEXT) | instid1(VALU_DEP_1)
	v_fma_f32 v124, -v124, v126, v127
	v_div_fmas_f32 v124, v124, v125, v126
	s_delay_alu instid0(VALU_DEP_1) | instskip(NEXT) | instid1(VALU_DEP_1)
	v_div_fixup_f32 v124, v124, v123, v122
	v_fmac_f32_e32 v123, v122, v124
	s_delay_alu instid0(VALU_DEP_1) | instskip(SKIP_1) | instid1(VALU_DEP_2)
	v_div_scale_f32 v122, null, v123, v123, 1.0
	v_div_scale_f32 v127, vcc_lo, 1.0, v123, 1.0
	v_rcp_f32_e32 v125, v122
	v_nop
	s_delay_alu instid0(TRANS32_DEP_1) | instskip(NEXT) | instid1(VALU_DEP_1)
	v_fma_f32 v126, -v122, v125, 1.0
	v_fmac_f32_e32 v125, v126, v125
	s_delay_alu instid0(VALU_DEP_1) | instskip(NEXT) | instid1(VALU_DEP_1)
	v_mul_f32_e32 v126, v127, v125
	v_fma_f32 v128, -v122, v126, v127
	s_delay_alu instid0(VALU_DEP_1) | instskip(NEXT) | instid1(VALU_DEP_1)
	v_fmac_f32_e32 v126, v128, v125
	v_fma_f32 v122, -v122, v126, v127
	s_delay_alu instid0(VALU_DEP_1) | instskip(NEXT) | instid1(VALU_DEP_1)
	v_div_fmas_f32 v122, v122, v125, v126
	v_div_fixup_f32 v122, v122, v123, 1.0
	s_delay_alu instid0(VALU_DEP_1)
	v_mul_f32_e32 v124, v124, v122
	v_xor_b32_e32 v125, 0x80000000, v122
                                        ; implicit-def: $vgpr122_vgpr123
.LBB43_149:
	s_and_not1_saveexec_b32 s1, s1
	s_cbranch_execz .LBB43_151
; %bb.150:
	v_div_scale_f32 v124, null, v122, v122, v123
	v_div_scale_f32 v127, vcc_lo, v123, v122, v123
	s_delay_alu instid0(VALU_DEP_2) | instskip(SKIP_1) | instid1(TRANS32_DEP_1)
	v_rcp_f32_e32 v125, v124
	v_nop
	v_fma_f32 v126, -v124, v125, 1.0
	s_delay_alu instid0(VALU_DEP_1) | instskip(NEXT) | instid1(VALU_DEP_1)
	v_fmac_f32_e32 v125, v126, v125
	v_mul_f32_e32 v126, v127, v125
	s_delay_alu instid0(VALU_DEP_1) | instskip(NEXT) | instid1(VALU_DEP_1)
	v_fma_f32 v128, -v124, v126, v127
	v_fmac_f32_e32 v126, v128, v125
	s_delay_alu instid0(VALU_DEP_1) | instskip(NEXT) | instid1(VALU_DEP_1)
	v_fma_f32 v124, -v124, v126, v127
	v_div_fmas_f32 v124, v124, v125, v126
	s_delay_alu instid0(VALU_DEP_1) | instskip(NEXT) | instid1(VALU_DEP_1)
	v_div_fixup_f32 v125, v124, v122, v123
	v_fmac_f32_e32 v122, v123, v125
	s_delay_alu instid0(VALU_DEP_1) | instskip(NEXT) | instid1(VALU_DEP_1)
	v_div_scale_f32 v123, null, v122, v122, 1.0
	v_rcp_f32_e32 v124, v123
	v_nop
	s_delay_alu instid0(TRANS32_DEP_1) | instskip(NEXT) | instid1(VALU_DEP_1)
	v_fma_f32 v126, -v123, v124, 1.0
	v_fmac_f32_e32 v124, v126, v124
	v_div_scale_f32 v126, vcc_lo, 1.0, v122, 1.0
	s_delay_alu instid0(VALU_DEP_1) | instskip(NEXT) | instid1(VALU_DEP_1)
	v_mul_f32_e32 v127, v126, v124
	v_fma_f32 v128, -v123, v127, v126
	s_delay_alu instid0(VALU_DEP_1) | instskip(NEXT) | instid1(VALU_DEP_1)
	v_fmac_f32_e32 v127, v128, v124
	v_fma_f32 v123, -v123, v127, v126
	s_delay_alu instid0(VALU_DEP_1) | instskip(NEXT) | instid1(VALU_DEP_1)
	v_div_fmas_f32 v123, v123, v124, v127
	v_div_fixup_f32 v124, v123, v122, 1.0
	s_delay_alu instid0(VALU_DEP_1)
	v_mul_f32_e64 v125, v125, -v124
.LBB43_151:
	s_or_b32 exec_lo, exec_lo, s1
	ds_store_b64 v135, v[124:125]
.LBB43_152:
	s_or_b32 exec_lo, exec_lo, s2
	s_wait_dscnt 0x0
	s_barrier_signal -1
	s_barrier_wait -1
	ds_load_b64 v[122:123], v135
	s_mov_b32 s1, exec_lo
	v_cmpx_lt_u32_e32 16, v134
	s_cbranch_execz .LBB43_154
; %bb.153:
	s_wait_dscnt 0x0
	v_pk_mul_f32 v[124:125], v[122:123], v[82:83] op_sel:[1,1] op_sel_hi:[0,1]
	s_delay_alu instid0(VALU_DEP_1)
	v_pk_fma_f32 v[128:129], v[122:123], v[82:83], v[124:125] op_sel_hi:[1,0,1] neg_lo:[0,0,1] neg_hi:[0,0,1]
	v_pk_fma_f32 v[130:131], v[122:123], v[82:83], v[124:125] op_sel_hi:[1,0,1]
	ds_load_2addr_b64 v[124:127], v136 offset0:17 offset1:18
	v_dual_mov_b32 v82, v128 :: v_dual_mov_b32 v83, v131
	s_wait_dscnt 0x0
	v_pk_mul_f32 v[132:133], v[124:125], v[130:131] op_sel:[0,1]
	s_delay_alu instid0(VALU_DEP_1) | instskip(SKIP_1) | instid1(VALU_DEP_1)
	v_pk_fma_f32 v[138:139], v[124:125], v[128:129], v[132:133] op_sel:[0,0,1] op_sel_hi:[1,1,0] neg_lo:[0,0,1] neg_hi:[0,0,1]
	v_pk_fma_f32 v[124:125], v[124:125], v[128:129], v[132:133] op_sel:[0,0,1] op_sel_hi:[1,0,0]
	v_mov_b32_e32 v139, v125
	v_pk_mul_f32 v[124:125], v[126:127], v[130:131] op_sel:[0,1]
	s_delay_alu instid0(VALU_DEP_1) | instskip(SKIP_1) | instid1(VALU_DEP_1)
	v_pk_fma_f32 v[132:133], v[126:127], v[128:129], v[124:125] op_sel:[0,0,1] op_sel_hi:[1,1,0] neg_lo:[0,0,1] neg_hi:[0,0,1]
	v_pk_fma_f32 v[124:125], v[126:127], v[128:129], v[124:125] op_sel:[0,0,1] op_sel_hi:[1,0,0]
	v_mov_b32_e32 v133, v125
	ds_load_2addr_b64 v[124:127], v136 offset0:19 offset1:20
	v_pk_add_f32 v[78:79], v[78:79], v[138:139] neg_lo:[0,1] neg_hi:[0,1]
	v_pk_add_f32 v[80:81], v[80:81], v[132:133] neg_lo:[0,1] neg_hi:[0,1]
	s_wait_dscnt 0x0
	v_pk_mul_f32 v[132:133], v[124:125], v[130:131] op_sel:[0,1]
	s_delay_alu instid0(VALU_DEP_1) | instskip(SKIP_2) | instid1(VALU_DEP_2)
	v_pk_fma_f32 v[138:139], v[124:125], v[128:129], v[132:133] op_sel:[0,0,1] op_sel_hi:[1,1,0] neg_lo:[0,0,1] neg_hi:[0,0,1]
	v_pk_fma_f32 v[124:125], v[124:125], v[128:129], v[132:133] op_sel:[0,0,1] op_sel_hi:[1,0,0]
	v_dual_mul_f32 v132, v127, v131 :: v_dual_mov_b32 v124, v127
	v_dual_mov_b32 v139, v125 :: v_dual_mov_b32 v125, v126
	s_delay_alu instid0(VALU_DEP_2) | instskip(SKIP_1) | instid1(VALU_DEP_3)
	v_pk_fma_f32 v[132:133], v[126:127], v[82:83], v[132:133] op_sel_hi:[1,1,0] neg_lo:[0,0,1] neg_hi:[0,0,1]
	v_mul_f32_e32 v126, v127, v128
	v_pk_add_f32 v[86:87], v[86:87], v[138:139] neg_lo:[0,1] neg_hi:[0,1]
	s_delay_alu instid0(VALU_DEP_2) | instskip(NEXT) | instid1(VALU_DEP_1)
	v_pk_fma_f32 v[124:125], v[124:125], v[82:83], v[126:127] op_sel_hi:[1,1,0]
	v_mov_b32_e32 v133, v125
	ds_load_b64 v[124:125], v136 offset:168
	v_pk_add_f32 v[84:85], v[84:85], v[132:133] neg_lo:[0,1] neg_hi:[0,1]
	s_wait_dscnt 0x0
	v_pk_mul_f32 v[126:127], v[124:125], v[130:131] op_sel:[0,1]
	s_delay_alu instid0(VALU_DEP_1) | instskip(SKIP_1) | instid1(VALU_DEP_1)
	v_pk_fma_f32 v[130:131], v[124:125], v[128:129], v[126:127] op_sel:[0,0,1] op_sel_hi:[1,1,0] neg_lo:[0,0,1] neg_hi:[0,0,1]
	v_pk_fma_f32 v[124:125], v[124:125], v[128:129], v[126:127] op_sel:[0,0,1] op_sel_hi:[1,0,0]
	v_mov_b32_e32 v131, v125
	s_delay_alu instid0(VALU_DEP_1)
	v_pk_add_f32 v[88:89], v[88:89], v[130:131] neg_lo:[0,1] neg_hi:[0,1]
.LBB43_154:
	s_or_b32 exec_lo, exec_lo, s1
	s_delay_alu instid0(SALU_CYCLE_1)
	s_mov_b32 s2, exec_lo
	s_wait_dscnt 0x0
	s_barrier_signal -1
	s_barrier_wait -1
	v_cmpx_eq_u32_e32 17, v134
	s_cbranch_execz .LBB43_161
; %bb.155:
	v_dual_mov_b32 v124, v80 :: v_dual_mov_b32 v125, v81
	v_dual_mov_b32 v126, v86 :: v_dual_mov_b32 v127, v87
	;; [unrolled: 1-line block ×3, first 2 shown]
	ds_store_b64 v135, v[78:79]
	ds_store_2addr_b64 v136, v[124:125], v[126:127] offset0:18 offset1:19
	ds_store_2addr_b64 v136, v[128:129], v[88:89] offset0:20 offset1:21
	ds_load_b64 v[124:125], v135
	s_wait_dscnt 0x0
	v_cmp_neq_f32_e32 vcc_lo, 0, v124
	v_cmp_neq_f32_e64 s1, 0, v125
	s_or_b32 s1, vcc_lo, s1
	s_delay_alu instid0(SALU_CYCLE_1)
	s_and_b32 exec_lo, exec_lo, s1
	s_cbranch_execz .LBB43_161
; %bb.156:
	v_cmp_ngt_f32_e64 s1, |v124|, |v125|
                                        ; implicit-def: $vgpr126_vgpr127
	s_and_saveexec_b32 s4, s1
	s_delay_alu instid0(SALU_CYCLE_1)
	s_xor_b32 s1, exec_lo, s4
	s_cbranch_execz .LBB43_158
; %bb.157:
	v_div_scale_f32 v126, null, v125, v125, v124
	v_div_scale_f32 v129, vcc_lo, v124, v125, v124
	s_delay_alu instid0(VALU_DEP_2) | instskip(SKIP_1) | instid1(TRANS32_DEP_1)
	v_rcp_f32_e32 v127, v126
	v_nop
	v_fma_f32 v128, -v126, v127, 1.0
	s_delay_alu instid0(VALU_DEP_1) | instskip(NEXT) | instid1(VALU_DEP_1)
	v_fmac_f32_e32 v127, v128, v127
	v_mul_f32_e32 v128, v129, v127
	s_delay_alu instid0(VALU_DEP_1) | instskip(NEXT) | instid1(VALU_DEP_1)
	v_fma_f32 v130, -v126, v128, v129
	v_fmac_f32_e32 v128, v130, v127
	s_delay_alu instid0(VALU_DEP_1) | instskip(NEXT) | instid1(VALU_DEP_1)
	v_fma_f32 v126, -v126, v128, v129
	v_div_fmas_f32 v126, v126, v127, v128
	s_delay_alu instid0(VALU_DEP_1) | instskip(NEXT) | instid1(VALU_DEP_1)
	v_div_fixup_f32 v126, v126, v125, v124
	v_fmac_f32_e32 v125, v124, v126
	s_delay_alu instid0(VALU_DEP_1) | instskip(SKIP_1) | instid1(VALU_DEP_2)
	v_div_scale_f32 v124, null, v125, v125, 1.0
	v_div_scale_f32 v129, vcc_lo, 1.0, v125, 1.0
	v_rcp_f32_e32 v127, v124
	v_nop
	s_delay_alu instid0(TRANS32_DEP_1) | instskip(NEXT) | instid1(VALU_DEP_1)
	v_fma_f32 v128, -v124, v127, 1.0
	v_fmac_f32_e32 v127, v128, v127
	s_delay_alu instid0(VALU_DEP_1) | instskip(NEXT) | instid1(VALU_DEP_1)
	v_mul_f32_e32 v128, v129, v127
	v_fma_f32 v130, -v124, v128, v129
	s_delay_alu instid0(VALU_DEP_1) | instskip(NEXT) | instid1(VALU_DEP_1)
	v_fmac_f32_e32 v128, v130, v127
	v_fma_f32 v124, -v124, v128, v129
	s_delay_alu instid0(VALU_DEP_1) | instskip(NEXT) | instid1(VALU_DEP_1)
	v_div_fmas_f32 v124, v124, v127, v128
	v_div_fixup_f32 v124, v124, v125, 1.0
	s_delay_alu instid0(VALU_DEP_1)
	v_mul_f32_e32 v126, v126, v124
	v_xor_b32_e32 v127, 0x80000000, v124
                                        ; implicit-def: $vgpr124_vgpr125
.LBB43_158:
	s_and_not1_saveexec_b32 s1, s1
	s_cbranch_execz .LBB43_160
; %bb.159:
	v_div_scale_f32 v126, null, v124, v124, v125
	v_div_scale_f32 v129, vcc_lo, v125, v124, v125
	s_delay_alu instid0(VALU_DEP_2) | instskip(SKIP_1) | instid1(TRANS32_DEP_1)
	v_rcp_f32_e32 v127, v126
	v_nop
	v_fma_f32 v128, -v126, v127, 1.0
	s_delay_alu instid0(VALU_DEP_1) | instskip(NEXT) | instid1(VALU_DEP_1)
	v_fmac_f32_e32 v127, v128, v127
	v_mul_f32_e32 v128, v129, v127
	s_delay_alu instid0(VALU_DEP_1) | instskip(NEXT) | instid1(VALU_DEP_1)
	v_fma_f32 v130, -v126, v128, v129
	v_fmac_f32_e32 v128, v130, v127
	s_delay_alu instid0(VALU_DEP_1) | instskip(NEXT) | instid1(VALU_DEP_1)
	v_fma_f32 v126, -v126, v128, v129
	v_div_fmas_f32 v126, v126, v127, v128
	s_delay_alu instid0(VALU_DEP_1) | instskip(NEXT) | instid1(VALU_DEP_1)
	v_div_fixup_f32 v127, v126, v124, v125
	v_fmac_f32_e32 v124, v125, v127
	s_delay_alu instid0(VALU_DEP_1) | instskip(NEXT) | instid1(VALU_DEP_1)
	v_div_scale_f32 v125, null, v124, v124, 1.0
	v_rcp_f32_e32 v126, v125
	v_nop
	s_delay_alu instid0(TRANS32_DEP_1) | instskip(NEXT) | instid1(VALU_DEP_1)
	v_fma_f32 v128, -v125, v126, 1.0
	v_fmac_f32_e32 v126, v128, v126
	v_div_scale_f32 v128, vcc_lo, 1.0, v124, 1.0
	s_delay_alu instid0(VALU_DEP_1) | instskip(NEXT) | instid1(VALU_DEP_1)
	v_mul_f32_e32 v129, v128, v126
	v_fma_f32 v130, -v125, v129, v128
	s_delay_alu instid0(VALU_DEP_1) | instskip(NEXT) | instid1(VALU_DEP_1)
	v_fmac_f32_e32 v129, v130, v126
	v_fma_f32 v125, -v125, v129, v128
	s_delay_alu instid0(VALU_DEP_1) | instskip(NEXT) | instid1(VALU_DEP_1)
	v_div_fmas_f32 v125, v125, v126, v129
	v_div_fixup_f32 v126, v125, v124, 1.0
	s_delay_alu instid0(VALU_DEP_1)
	v_mul_f32_e64 v127, v127, -v126
.LBB43_160:
	s_or_b32 exec_lo, exec_lo, s1
	ds_store_b64 v135, v[126:127]
.LBB43_161:
	s_or_b32 exec_lo, exec_lo, s2
	s_wait_dscnt 0x0
	s_barrier_signal -1
	s_barrier_wait -1
	ds_load_b64 v[124:125], v135
	s_mov_b32 s1, exec_lo
	v_cmpx_lt_u32_e32 17, v134
	s_cbranch_execz .LBB43_163
; %bb.162:
	s_wait_dscnt 0x0
	v_pk_mul_f32 v[126:127], v[124:125], v[78:79] op_sel:[1,1] op_sel_hi:[0,1]
	s_delay_alu instid0(VALU_DEP_1)
	v_pk_fma_f32 v[130:131], v[124:125], v[78:79], v[126:127] op_sel_hi:[1,0,1] neg_lo:[0,0,1] neg_hi:[0,0,1]
	v_pk_fma_f32 v[132:133], v[124:125], v[78:79], v[126:127] op_sel_hi:[1,0,1]
	ds_load_2addr_b64 v[126:129], v136 offset0:18 offset1:19
	v_dual_mov_b32 v78, v130 :: v_dual_mov_b32 v79, v133
	s_wait_dscnt 0x0
	v_pk_mul_f32 v[138:139], v[126:127], v[132:133] op_sel:[0,1]
	s_delay_alu instid0(VALU_DEP_1) | instskip(SKIP_1) | instid1(VALU_DEP_1)
	v_pk_fma_f32 v[140:141], v[126:127], v[130:131], v[138:139] op_sel:[0,0,1] op_sel_hi:[1,1,0] neg_lo:[0,0,1] neg_hi:[0,0,1]
	v_pk_fma_f32 v[126:127], v[126:127], v[130:131], v[138:139] op_sel:[0,0,1] op_sel_hi:[1,0,0]
	v_mov_b32_e32 v141, v127
	v_pk_mul_f32 v[126:127], v[128:129], v[132:133] op_sel:[0,1]
	s_delay_alu instid0(VALU_DEP_1) | instskip(SKIP_1) | instid1(VALU_DEP_1)
	v_pk_fma_f32 v[138:139], v[128:129], v[130:131], v[126:127] op_sel:[0,0,1] op_sel_hi:[1,1,0] neg_lo:[0,0,1] neg_hi:[0,0,1]
	v_pk_fma_f32 v[126:127], v[128:129], v[130:131], v[126:127] op_sel:[0,0,1] op_sel_hi:[1,0,0]
	v_mov_b32_e32 v139, v127
	ds_load_2addr_b64 v[126:129], v136 offset0:20 offset1:21
	v_pk_add_f32 v[80:81], v[80:81], v[140:141] neg_lo:[0,1] neg_hi:[0,1]
	v_pk_add_f32 v[86:87], v[86:87], v[138:139] neg_lo:[0,1] neg_hi:[0,1]
	s_wait_dscnt 0x0
	v_pk_mul_f32 v[138:139], v[126:127], v[132:133] op_sel:[0,1]
	s_delay_alu instid0(VALU_DEP_1) | instskip(SKIP_1) | instid1(VALU_DEP_1)
	v_pk_fma_f32 v[140:141], v[126:127], v[130:131], v[138:139] op_sel:[0,0,1] op_sel_hi:[1,1,0] neg_lo:[0,0,1] neg_hi:[0,0,1]
	v_pk_fma_f32 v[126:127], v[126:127], v[130:131], v[138:139] op_sel:[0,0,1] op_sel_hi:[1,0,0]
	v_dual_mov_b32 v126, v129 :: v_dual_mov_b32 v141, v127
	v_mov_b32_e32 v127, v128
	s_delay_alu instid0(VALU_DEP_2) | instskip(NEXT) | instid1(VALU_DEP_2)
	v_pk_add_f32 v[84:85], v[84:85], v[140:141] neg_lo:[0,1] neg_hi:[0,1]
	v_pk_mul_f32 v[126:127], v[126:127], v[132:133] op_sel:[0,1]
	s_delay_alu instid0(VALU_DEP_1) | instskip(SKIP_1) | instid1(VALU_DEP_1)
	v_pk_fma_f32 v[132:133], v[128:129], v[130:131], v[126:127] neg_lo:[0,0,1] neg_hi:[0,0,1]
	v_pk_fma_f32 v[126:127], v[128:129], v[130:131], v[126:127] op_sel_hi:[1,0,1]
	v_mov_b32_e32 v133, v127
	s_delay_alu instid0(VALU_DEP_1)
	v_pk_add_f32 v[88:89], v[88:89], v[132:133] neg_lo:[0,1] neg_hi:[0,1]
.LBB43_163:
	s_or_b32 exec_lo, exec_lo, s1
	s_delay_alu instid0(SALU_CYCLE_1)
	s_mov_b32 s2, exec_lo
	s_wait_dscnt 0x0
	s_barrier_signal -1
	s_barrier_wait -1
	v_cmpx_eq_u32_e32 18, v134
	s_cbranch_execz .LBB43_170
; %bb.164:
	ds_store_b64 v135, v[80:81]
	ds_store_2addr_b64 v136, v[86:87], v[84:85] offset0:19 offset1:20
	ds_store_b64 v136, v[88:89] offset:168
	ds_load_b64 v[126:127], v135
	s_wait_dscnt 0x0
	v_cmp_neq_f32_e32 vcc_lo, 0, v126
	v_cmp_neq_f32_e64 s1, 0, v127
	s_or_b32 s1, vcc_lo, s1
	s_delay_alu instid0(SALU_CYCLE_1)
	s_and_b32 exec_lo, exec_lo, s1
	s_cbranch_execz .LBB43_170
; %bb.165:
	v_cmp_ngt_f32_e64 s1, |v126|, |v127|
                                        ; implicit-def: $vgpr128_vgpr129
	s_and_saveexec_b32 s4, s1
	s_delay_alu instid0(SALU_CYCLE_1)
	s_xor_b32 s1, exec_lo, s4
	s_cbranch_execz .LBB43_167
; %bb.166:
	v_div_scale_f32 v128, null, v127, v127, v126
	v_div_scale_f32 v131, vcc_lo, v126, v127, v126
	s_delay_alu instid0(VALU_DEP_2) | instskip(SKIP_1) | instid1(TRANS32_DEP_1)
	v_rcp_f32_e32 v129, v128
	v_nop
	v_fma_f32 v130, -v128, v129, 1.0
	s_delay_alu instid0(VALU_DEP_1) | instskip(NEXT) | instid1(VALU_DEP_1)
	v_fmac_f32_e32 v129, v130, v129
	v_mul_f32_e32 v130, v131, v129
	s_delay_alu instid0(VALU_DEP_1) | instskip(NEXT) | instid1(VALU_DEP_1)
	v_fma_f32 v132, -v128, v130, v131
	v_fmac_f32_e32 v130, v132, v129
	s_delay_alu instid0(VALU_DEP_1) | instskip(NEXT) | instid1(VALU_DEP_1)
	v_fma_f32 v128, -v128, v130, v131
	v_div_fmas_f32 v128, v128, v129, v130
	s_delay_alu instid0(VALU_DEP_1) | instskip(NEXT) | instid1(VALU_DEP_1)
	v_div_fixup_f32 v128, v128, v127, v126
	v_fmac_f32_e32 v127, v126, v128
	s_delay_alu instid0(VALU_DEP_1) | instskip(SKIP_1) | instid1(VALU_DEP_2)
	v_div_scale_f32 v126, null, v127, v127, 1.0
	v_div_scale_f32 v131, vcc_lo, 1.0, v127, 1.0
	v_rcp_f32_e32 v129, v126
	v_nop
	s_delay_alu instid0(TRANS32_DEP_1) | instskip(NEXT) | instid1(VALU_DEP_1)
	v_fma_f32 v130, -v126, v129, 1.0
	v_fmac_f32_e32 v129, v130, v129
	s_delay_alu instid0(VALU_DEP_1) | instskip(NEXT) | instid1(VALU_DEP_1)
	v_mul_f32_e32 v130, v131, v129
	v_fma_f32 v132, -v126, v130, v131
	s_delay_alu instid0(VALU_DEP_1) | instskip(NEXT) | instid1(VALU_DEP_1)
	v_fmac_f32_e32 v130, v132, v129
	v_fma_f32 v126, -v126, v130, v131
	s_delay_alu instid0(VALU_DEP_1) | instskip(NEXT) | instid1(VALU_DEP_1)
	v_div_fmas_f32 v126, v126, v129, v130
	v_div_fixup_f32 v126, v126, v127, 1.0
	s_delay_alu instid0(VALU_DEP_1)
	v_mul_f32_e32 v128, v128, v126
	v_xor_b32_e32 v129, 0x80000000, v126
                                        ; implicit-def: $vgpr126_vgpr127
.LBB43_167:
	s_and_not1_saveexec_b32 s1, s1
	s_cbranch_execz .LBB43_169
; %bb.168:
	v_div_scale_f32 v128, null, v126, v126, v127
	v_div_scale_f32 v131, vcc_lo, v127, v126, v127
	s_delay_alu instid0(VALU_DEP_2) | instskip(SKIP_1) | instid1(TRANS32_DEP_1)
	v_rcp_f32_e32 v129, v128
	v_nop
	v_fma_f32 v130, -v128, v129, 1.0
	s_delay_alu instid0(VALU_DEP_1) | instskip(NEXT) | instid1(VALU_DEP_1)
	v_fmac_f32_e32 v129, v130, v129
	v_mul_f32_e32 v130, v131, v129
	s_delay_alu instid0(VALU_DEP_1) | instskip(NEXT) | instid1(VALU_DEP_1)
	v_fma_f32 v132, -v128, v130, v131
	v_fmac_f32_e32 v130, v132, v129
	s_delay_alu instid0(VALU_DEP_1) | instskip(NEXT) | instid1(VALU_DEP_1)
	v_fma_f32 v128, -v128, v130, v131
	v_div_fmas_f32 v128, v128, v129, v130
	s_delay_alu instid0(VALU_DEP_1) | instskip(NEXT) | instid1(VALU_DEP_1)
	v_div_fixup_f32 v129, v128, v126, v127
	v_fmac_f32_e32 v126, v127, v129
	s_delay_alu instid0(VALU_DEP_1) | instskip(NEXT) | instid1(VALU_DEP_1)
	v_div_scale_f32 v127, null, v126, v126, 1.0
	v_rcp_f32_e32 v128, v127
	v_nop
	s_delay_alu instid0(TRANS32_DEP_1) | instskip(NEXT) | instid1(VALU_DEP_1)
	v_fma_f32 v130, -v127, v128, 1.0
	v_fmac_f32_e32 v128, v130, v128
	v_div_scale_f32 v130, vcc_lo, 1.0, v126, 1.0
	s_delay_alu instid0(VALU_DEP_1) | instskip(NEXT) | instid1(VALU_DEP_1)
	v_mul_f32_e32 v131, v130, v128
	v_fma_f32 v132, -v127, v131, v130
	s_delay_alu instid0(VALU_DEP_1) | instskip(NEXT) | instid1(VALU_DEP_1)
	v_fmac_f32_e32 v131, v132, v128
	v_fma_f32 v127, -v127, v131, v130
	s_delay_alu instid0(VALU_DEP_1) | instskip(NEXT) | instid1(VALU_DEP_1)
	v_div_fmas_f32 v127, v127, v128, v131
	v_div_fixup_f32 v128, v127, v126, 1.0
	s_delay_alu instid0(VALU_DEP_1)
	v_mul_f32_e64 v129, v129, -v128
.LBB43_169:
	s_or_b32 exec_lo, exec_lo, s1
	ds_store_b64 v135, v[128:129]
.LBB43_170:
	s_or_b32 exec_lo, exec_lo, s2
	s_wait_dscnt 0x0
	s_barrier_signal -1
	s_barrier_wait -1
	ds_load_b64 v[126:127], v135
	s_mov_b32 s1, exec_lo
	v_cmpx_lt_u32_e32 18, v134
	s_cbranch_execz .LBB43_172
; %bb.171:
	s_wait_dscnt 0x0
	v_pk_mul_f32 v[128:129], v[126:127], v[80:81] op_sel:[1,1] op_sel_hi:[0,1]
	s_delay_alu instid0(VALU_DEP_1)
	v_pk_fma_f32 v[132:133], v[126:127], v[80:81], v[128:129] op_sel_hi:[1,0,1] neg_lo:[0,0,1] neg_hi:[0,0,1]
	v_pk_fma_f32 v[138:139], v[126:127], v[80:81], v[128:129] op_sel_hi:[1,0,1]
	ds_load_2addr_b64 v[128:131], v136 offset0:19 offset1:20
	v_dual_mov_b32 v80, v132 :: v_dual_mov_b32 v81, v139
	s_wait_dscnt 0x0
	v_pk_mul_f32 v[140:141], v[128:129], v[138:139] op_sel:[0,1]
	s_delay_alu instid0(VALU_DEP_1) | instskip(SKIP_1) | instid1(VALU_DEP_1)
	v_pk_fma_f32 v[142:143], v[128:129], v[132:133], v[140:141] op_sel:[0,0,1] op_sel_hi:[1,1,0] neg_lo:[0,0,1] neg_hi:[0,0,1]
	v_pk_fma_f32 v[128:129], v[128:129], v[132:133], v[140:141] op_sel:[0,0,1] op_sel_hi:[1,0,0]
	v_mov_b32_e32 v143, v129
	v_pk_mul_f32 v[128:129], v[130:131], v[138:139] op_sel:[0,1]
	s_delay_alu instid0(VALU_DEP_1) | instskip(SKIP_1) | instid1(VALU_DEP_1)
	v_pk_fma_f32 v[140:141], v[130:131], v[132:133], v[128:129] op_sel:[0,0,1] op_sel_hi:[1,1,0] neg_lo:[0,0,1] neg_hi:[0,0,1]
	v_pk_fma_f32 v[128:129], v[130:131], v[132:133], v[128:129] op_sel:[0,0,1] op_sel_hi:[1,0,0]
	v_mov_b32_e32 v141, v129
	ds_load_b64 v[128:129], v136 offset:168
	v_pk_add_f32 v[86:87], v[86:87], v[142:143] neg_lo:[0,1] neg_hi:[0,1]
	v_pk_add_f32 v[84:85], v[84:85], v[140:141] neg_lo:[0,1] neg_hi:[0,1]
	s_wait_dscnt 0x0
	v_pk_mul_f32 v[130:131], v[128:129], v[138:139] op_sel:[1,1] op_sel_hi:[0,1]
	s_delay_alu instid0(VALU_DEP_1) | instskip(SKIP_1) | instid1(VALU_DEP_1)
	v_pk_fma_f32 v[138:139], v[128:129], v[132:133], v[130:131] neg_lo:[0,0,1] neg_hi:[0,0,1]
	v_pk_fma_f32 v[128:129], v[128:129], v[132:133], v[130:131] op_sel_hi:[1,0,1]
	v_mov_b32_e32 v139, v129
	s_delay_alu instid0(VALU_DEP_1)
	v_pk_add_f32 v[88:89], v[88:89], v[138:139] neg_lo:[0,1] neg_hi:[0,1]
.LBB43_172:
	s_or_b32 exec_lo, exec_lo, s1
	s_delay_alu instid0(SALU_CYCLE_1)
	s_mov_b32 s2, exec_lo
	s_wait_dscnt 0x0
	s_barrier_signal -1
	s_barrier_wait -1
	v_cmpx_eq_u32_e32 19, v134
	s_cbranch_execz .LBB43_179
; %bb.173:
	v_dual_mov_b32 v128, v84 :: v_dual_mov_b32 v129, v85
	ds_store_b64 v135, v[86:87]
	ds_store_2addr_b64 v136, v[128:129], v[88:89] offset0:20 offset1:21
	ds_load_b64 v[128:129], v135
	s_wait_dscnt 0x0
	v_cmp_neq_f32_e32 vcc_lo, 0, v128
	v_cmp_neq_f32_e64 s1, 0, v129
	s_or_b32 s1, vcc_lo, s1
	s_delay_alu instid0(SALU_CYCLE_1)
	s_and_b32 exec_lo, exec_lo, s1
	s_cbranch_execz .LBB43_179
; %bb.174:
	v_cmp_ngt_f32_e64 s1, |v128|, |v129|
                                        ; implicit-def: $vgpr130_vgpr131
	s_and_saveexec_b32 s4, s1
	s_delay_alu instid0(SALU_CYCLE_1)
	s_xor_b32 s1, exec_lo, s4
	s_cbranch_execz .LBB43_176
; %bb.175:
	v_div_scale_f32 v130, null, v129, v129, v128
	v_div_scale_f32 v133, vcc_lo, v128, v129, v128
	s_delay_alu instid0(VALU_DEP_2) | instskip(SKIP_1) | instid1(TRANS32_DEP_1)
	v_rcp_f32_e32 v131, v130
	v_nop
	v_fma_f32 v132, -v130, v131, 1.0
	s_delay_alu instid0(VALU_DEP_1) | instskip(NEXT) | instid1(VALU_DEP_1)
	v_fmac_f32_e32 v131, v132, v131
	v_mul_f32_e32 v132, v133, v131
	s_delay_alu instid0(VALU_DEP_1) | instskip(NEXT) | instid1(VALU_DEP_1)
	v_fma_f32 v137, -v130, v132, v133
	v_fmac_f32_e32 v132, v137, v131
	s_delay_alu instid0(VALU_DEP_1) | instskip(NEXT) | instid1(VALU_DEP_1)
	v_fma_f32 v130, -v130, v132, v133
	v_div_fmas_f32 v130, v130, v131, v132
	s_delay_alu instid0(VALU_DEP_1) | instskip(NEXT) | instid1(VALU_DEP_1)
	v_div_fixup_f32 v130, v130, v129, v128
	v_fmac_f32_e32 v129, v128, v130
	s_delay_alu instid0(VALU_DEP_1) | instskip(SKIP_1) | instid1(VALU_DEP_2)
	v_div_scale_f32 v128, null, v129, v129, 1.0
	v_div_scale_f32 v133, vcc_lo, 1.0, v129, 1.0
	v_rcp_f32_e32 v131, v128
	v_nop
	s_delay_alu instid0(TRANS32_DEP_1) | instskip(NEXT) | instid1(VALU_DEP_1)
	v_fma_f32 v132, -v128, v131, 1.0
	v_fmac_f32_e32 v131, v132, v131
	s_delay_alu instid0(VALU_DEP_1) | instskip(NEXT) | instid1(VALU_DEP_1)
	v_mul_f32_e32 v132, v133, v131
	v_fma_f32 v137, -v128, v132, v133
	s_delay_alu instid0(VALU_DEP_1) | instskip(NEXT) | instid1(VALU_DEP_1)
	v_fmac_f32_e32 v132, v137, v131
	v_fma_f32 v128, -v128, v132, v133
	s_delay_alu instid0(VALU_DEP_1) | instskip(NEXT) | instid1(VALU_DEP_1)
	v_div_fmas_f32 v128, v128, v131, v132
	v_div_fixup_f32 v128, v128, v129, 1.0
	s_delay_alu instid0(VALU_DEP_1)
	v_mul_f32_e32 v130, v130, v128
	v_xor_b32_e32 v131, 0x80000000, v128
                                        ; implicit-def: $vgpr128_vgpr129
.LBB43_176:
	s_and_not1_saveexec_b32 s1, s1
	s_cbranch_execz .LBB43_178
; %bb.177:
	v_div_scale_f32 v130, null, v128, v128, v129
	v_div_scale_f32 v133, vcc_lo, v129, v128, v129
	s_delay_alu instid0(VALU_DEP_2) | instskip(SKIP_1) | instid1(TRANS32_DEP_1)
	v_rcp_f32_e32 v131, v130
	v_nop
	v_fma_f32 v132, -v130, v131, 1.0
	s_delay_alu instid0(VALU_DEP_1) | instskip(NEXT) | instid1(VALU_DEP_1)
	v_fmac_f32_e32 v131, v132, v131
	v_mul_f32_e32 v132, v133, v131
	s_delay_alu instid0(VALU_DEP_1) | instskip(NEXT) | instid1(VALU_DEP_1)
	v_fma_f32 v137, -v130, v132, v133
	v_fmac_f32_e32 v132, v137, v131
	s_delay_alu instid0(VALU_DEP_1) | instskip(NEXT) | instid1(VALU_DEP_1)
	v_fma_f32 v130, -v130, v132, v133
	v_div_fmas_f32 v130, v130, v131, v132
	s_delay_alu instid0(VALU_DEP_1) | instskip(NEXT) | instid1(VALU_DEP_1)
	v_div_fixup_f32 v131, v130, v128, v129
	v_fmac_f32_e32 v128, v129, v131
	s_delay_alu instid0(VALU_DEP_1) | instskip(NEXT) | instid1(VALU_DEP_1)
	v_div_scale_f32 v129, null, v128, v128, 1.0
	v_rcp_f32_e32 v130, v129
	v_nop
	s_delay_alu instid0(TRANS32_DEP_1) | instskip(NEXT) | instid1(VALU_DEP_1)
	v_fma_f32 v132, -v129, v130, 1.0
	v_fmac_f32_e32 v130, v132, v130
	v_div_scale_f32 v132, vcc_lo, 1.0, v128, 1.0
	s_delay_alu instid0(VALU_DEP_1) | instskip(NEXT) | instid1(VALU_DEP_1)
	v_mul_f32_e32 v133, v132, v130
	v_fma_f32 v137, -v129, v133, v132
	s_delay_alu instid0(VALU_DEP_1) | instskip(NEXT) | instid1(VALU_DEP_1)
	v_fmac_f32_e32 v133, v137, v130
	v_fma_f32 v129, -v129, v133, v132
	s_delay_alu instid0(VALU_DEP_1) | instskip(NEXT) | instid1(VALU_DEP_1)
	v_div_fmas_f32 v129, v129, v130, v133
	v_div_fixup_f32 v130, v129, v128, 1.0
	s_delay_alu instid0(VALU_DEP_1)
	v_mul_f32_e64 v131, v131, -v130
.LBB43_178:
	s_or_b32 exec_lo, exec_lo, s1
	ds_store_b64 v135, v[130:131]
.LBB43_179:
	s_or_b32 exec_lo, exec_lo, s2
	s_wait_dscnt 0x0
	s_barrier_signal -1
	s_barrier_wait -1
	ds_load_b64 v[128:129], v135
	s_mov_b32 s1, exec_lo
	v_cmpx_lt_u32_e32 19, v134
	s_cbranch_execz .LBB43_181
; %bb.180:
	ds_load_2addr_b64 v[130:133], v136 offset0:20 offset1:21
	s_wait_dscnt 0x1
	v_pk_mul_f32 v[138:139], v[128:129], v[86:87] op_sel:[1,1] op_sel_hi:[0,1]
	s_delay_alu instid0(VALU_DEP_1) | instskip(SKIP_3) | instid1(VALU_DEP_3)
	v_pk_fma_f32 v[140:141], v[128:129], v[86:87], v[138:139] op_sel_hi:[1,0,1]
	v_pk_fma_f32 v[86:87], v[128:129], v[86:87], v[138:139] op_sel_hi:[1,0,1] neg_lo:[0,0,1] neg_hi:[0,0,1]
	s_wait_dscnt 0x0
	v_dual_mov_b32 v142, v133 :: v_dual_mov_b32 v143, v132
	v_pk_mul_f32 v[138:139], v[130:131], v[140:141] op_sel:[0,1]
	s_delay_alu instid0(VALU_DEP_2) | instskip(NEXT) | instid1(VALU_DEP_2)
	v_pk_mul_f32 v[142:143], v[142:143], v[140:141] op_sel:[0,1]
	v_pk_fma_f32 v[144:145], v[130:131], v[86:87], v[138:139] op_sel:[0,0,1] op_sel_hi:[1,0,0]
	v_pk_fma_f32 v[130:131], v[130:131], v[86:87], v[138:139] op_sel:[0,0,1] op_sel_hi:[1,1,0] neg_lo:[0,0,1] neg_hi:[0,0,1]
	s_delay_alu instid0(VALU_DEP_3) | instskip(SKIP_1) | instid1(VALU_DEP_4)
	v_pk_fma_f32 v[146:147], v[132:133], v[86:87], v[142:143] op_sel_hi:[1,0,1]
	v_pk_fma_f32 v[132:133], v[132:133], v[86:87], v[142:143] neg_lo:[0,0,1] neg_hi:[0,0,1]
	v_dual_mov_b32 v131, v145 :: v_dual_mov_b32 v87, v141
	s_delay_alu instid0(VALU_DEP_3) | instskip(NEXT) | instid1(VALU_DEP_2)
	v_mov_b32_e32 v133, v147
	v_pk_add_f32 v[84:85], v[84:85], v[130:131] neg_lo:[0,1] neg_hi:[0,1]
	s_delay_alu instid0(VALU_DEP_2)
	v_pk_add_f32 v[88:89], v[88:89], v[132:133] neg_lo:[0,1] neg_hi:[0,1]
.LBB43_181:
	s_or_b32 exec_lo, exec_lo, s1
	s_delay_alu instid0(SALU_CYCLE_1)
	s_mov_b32 s2, exec_lo
	s_wait_dscnt 0x0
	s_barrier_signal -1
	s_barrier_wait -1
	v_cmpx_eq_u32_e32 20, v134
	s_cbranch_execz .LBB43_188
; %bb.182:
	ds_store_b64 v135, v[84:85]
	ds_store_b64 v136, v[88:89] offset:168
	ds_load_b64 v[130:131], v135
	s_wait_dscnt 0x0
	v_cmp_neq_f32_e32 vcc_lo, 0, v130
	v_cmp_neq_f32_e64 s1, 0, v131
	s_or_b32 s1, vcc_lo, s1
	s_delay_alu instid0(SALU_CYCLE_1)
	s_and_b32 exec_lo, exec_lo, s1
	s_cbranch_execz .LBB43_188
; %bb.183:
	v_cmp_ngt_f32_e64 s1, |v130|, |v131|
                                        ; implicit-def: $vgpr132_vgpr133
	s_and_saveexec_b32 s4, s1
	s_delay_alu instid0(SALU_CYCLE_1)
	s_xor_b32 s1, exec_lo, s4
	s_cbranch_execz .LBB43_185
; %bb.184:
	v_div_scale_f32 v132, null, v131, v131, v130
	v_div_scale_f32 v138, vcc_lo, v130, v131, v130
	s_delay_alu instid0(VALU_DEP_2) | instskip(SKIP_1) | instid1(TRANS32_DEP_1)
	v_rcp_f32_e32 v133, v132
	v_nop
	v_fma_f32 v137, -v132, v133, 1.0
	s_delay_alu instid0(VALU_DEP_1) | instskip(NEXT) | instid1(VALU_DEP_1)
	v_fmac_f32_e32 v133, v137, v133
	v_mul_f32_e32 v137, v138, v133
	s_delay_alu instid0(VALU_DEP_1) | instskip(NEXT) | instid1(VALU_DEP_1)
	v_fma_f32 v139, -v132, v137, v138
	v_fmac_f32_e32 v137, v139, v133
	s_delay_alu instid0(VALU_DEP_1) | instskip(NEXT) | instid1(VALU_DEP_1)
	v_fma_f32 v132, -v132, v137, v138
	v_div_fmas_f32 v132, v132, v133, v137
	s_delay_alu instid0(VALU_DEP_1) | instskip(NEXT) | instid1(VALU_DEP_1)
	v_div_fixup_f32 v132, v132, v131, v130
	v_fmac_f32_e32 v131, v130, v132
	s_delay_alu instid0(VALU_DEP_1) | instskip(SKIP_1) | instid1(VALU_DEP_2)
	v_div_scale_f32 v130, null, v131, v131, 1.0
	v_div_scale_f32 v138, vcc_lo, 1.0, v131, 1.0
	v_rcp_f32_e32 v133, v130
	v_nop
	s_delay_alu instid0(TRANS32_DEP_1) | instskip(NEXT) | instid1(VALU_DEP_1)
	v_fma_f32 v137, -v130, v133, 1.0
	v_fmac_f32_e32 v133, v137, v133
	s_delay_alu instid0(VALU_DEP_1) | instskip(NEXT) | instid1(VALU_DEP_1)
	v_mul_f32_e32 v137, v138, v133
	v_fma_f32 v139, -v130, v137, v138
	s_delay_alu instid0(VALU_DEP_1) | instskip(NEXT) | instid1(VALU_DEP_1)
	v_fmac_f32_e32 v137, v139, v133
	v_fma_f32 v130, -v130, v137, v138
	s_delay_alu instid0(VALU_DEP_1) | instskip(NEXT) | instid1(VALU_DEP_1)
	v_div_fmas_f32 v130, v130, v133, v137
	v_div_fixup_f32 v130, v130, v131, 1.0
	s_delay_alu instid0(VALU_DEP_1)
	v_mul_f32_e32 v132, v132, v130
	v_xor_b32_e32 v133, 0x80000000, v130
                                        ; implicit-def: $vgpr130_vgpr131
.LBB43_185:
	s_and_not1_saveexec_b32 s1, s1
	s_cbranch_execz .LBB43_187
; %bb.186:
	v_div_scale_f32 v132, null, v130, v130, v131
	v_div_scale_f32 v138, vcc_lo, v131, v130, v131
	s_delay_alu instid0(VALU_DEP_2) | instskip(SKIP_1) | instid1(TRANS32_DEP_1)
	v_rcp_f32_e32 v133, v132
	v_nop
	v_fma_f32 v137, -v132, v133, 1.0
	s_delay_alu instid0(VALU_DEP_1) | instskip(NEXT) | instid1(VALU_DEP_1)
	v_fmac_f32_e32 v133, v137, v133
	v_mul_f32_e32 v137, v138, v133
	s_delay_alu instid0(VALU_DEP_1) | instskip(NEXT) | instid1(VALU_DEP_1)
	v_fma_f32 v139, -v132, v137, v138
	v_fmac_f32_e32 v137, v139, v133
	s_delay_alu instid0(VALU_DEP_1) | instskip(NEXT) | instid1(VALU_DEP_1)
	v_fma_f32 v132, -v132, v137, v138
	v_div_fmas_f32 v132, v132, v133, v137
	s_delay_alu instid0(VALU_DEP_1) | instskip(NEXT) | instid1(VALU_DEP_1)
	v_div_fixup_f32 v133, v132, v130, v131
	v_fmac_f32_e32 v130, v131, v133
	s_delay_alu instid0(VALU_DEP_1) | instskip(NEXT) | instid1(VALU_DEP_1)
	v_div_scale_f32 v131, null, v130, v130, 1.0
	v_rcp_f32_e32 v132, v131
	v_nop
	s_delay_alu instid0(TRANS32_DEP_1) | instskip(NEXT) | instid1(VALU_DEP_1)
	v_fma_f32 v137, -v131, v132, 1.0
	v_fmac_f32_e32 v132, v137, v132
	v_div_scale_f32 v137, vcc_lo, 1.0, v130, 1.0
	s_delay_alu instid0(VALU_DEP_1) | instskip(NEXT) | instid1(VALU_DEP_1)
	v_mul_f32_e32 v138, v137, v132
	v_fma_f32 v139, -v131, v138, v137
	s_delay_alu instid0(VALU_DEP_1) | instskip(NEXT) | instid1(VALU_DEP_1)
	v_fmac_f32_e32 v138, v139, v132
	v_fma_f32 v131, -v131, v138, v137
	s_delay_alu instid0(VALU_DEP_1) | instskip(NEXT) | instid1(VALU_DEP_1)
	v_div_fmas_f32 v131, v131, v132, v138
	v_div_fixup_f32 v132, v131, v130, 1.0
	s_delay_alu instid0(VALU_DEP_1)
	v_mul_f32_e64 v133, v133, -v132
.LBB43_187:
	s_or_b32 exec_lo, exec_lo, s1
	ds_store_b64 v135, v[132:133]
.LBB43_188:
	s_or_b32 exec_lo, exec_lo, s2
	s_wait_dscnt 0x0
	s_barrier_signal -1
	s_barrier_wait -1
	ds_load_b64 v[130:131], v135
	s_mov_b32 s1, exec_lo
	v_cmpx_lt_u32_e32 20, v134
	s_cbranch_execz .LBB43_190
; %bb.189:
	ds_load_b64 v[132:133], v136 offset:168
	s_wait_dscnt 0x1
	v_pk_mul_f32 v[136:137], v[130:131], v[84:85] op_sel:[1,1] op_sel_hi:[0,1]
	s_delay_alu instid0(VALU_DEP_1) | instskip(SKIP_2) | instid1(VALU_DEP_2)
	v_pk_fma_f32 v[138:139], v[130:131], v[84:85], v[136:137] op_sel_hi:[1,0,1]
	v_pk_fma_f32 v[84:85], v[130:131], v[84:85], v[136:137] op_sel_hi:[1,0,1] neg_lo:[0,0,1] neg_hi:[0,0,1]
	s_wait_dscnt 0x0
	v_pk_mul_f32 v[136:137], v[132:133], v[138:139] op_sel:[1,1] op_sel_hi:[0,1]
	s_delay_alu instid0(VALU_DEP_1) | instskip(SKIP_1) | instid1(VALU_DEP_2)
	v_pk_fma_f32 v[140:141], v[132:133], v[84:85], v[136:137] op_sel_hi:[1,0,1]
	v_pk_fma_f32 v[132:133], v[132:133], v[84:85], v[136:137] neg_lo:[0,0,1] neg_hi:[0,0,1]
	v_dual_mov_b32 v85, v139 :: v_dual_mov_b32 v133, v141
	s_delay_alu instid0(VALU_DEP_1)
	v_pk_add_f32 v[88:89], v[88:89], v[132:133] neg_lo:[0,1] neg_hi:[0,1]
.LBB43_190:
	s_or_b32 exec_lo, exec_lo, s1
	s_delay_alu instid0(SALU_CYCLE_1)
	s_mov_b32 s2, exec_lo
	s_wait_dscnt 0x0
	s_barrier_signal -1
	s_barrier_wait -1
	v_cmpx_eq_u32_e32 21, v134
	s_cbranch_execz .LBB43_197
; %bb.191:
	v_cmp_neq_f32_e32 vcc_lo, 0, v88
	v_cmp_neq_f32_e64 s1, 0, v89
	ds_store_b64 v135, v[88:89]
	s_or_b32 s1, vcc_lo, s1
	s_delay_alu instid0(SALU_CYCLE_1)
	s_and_b32 exec_lo, exec_lo, s1
	s_cbranch_execz .LBB43_197
; %bb.192:
	v_cmp_ngt_f32_e64 s1, |v88|, |v89|
                                        ; implicit-def: $vgpr132_vgpr133
	s_and_saveexec_b32 s4, s1
	s_delay_alu instid0(SALU_CYCLE_1)
	s_xor_b32 s1, exec_lo, s4
	s_cbranch_execz .LBB43_194
; %bb.193:
	v_div_scale_f32 v132, null, v89, v89, v88
	v_div_scale_f32 v137, vcc_lo, v88, v89, v88
	s_delay_alu instid0(VALU_DEP_2) | instskip(SKIP_1) | instid1(TRANS32_DEP_1)
	v_rcp_f32_e32 v133, v132
	v_nop
	v_fma_f32 v136, -v132, v133, 1.0
	s_delay_alu instid0(VALU_DEP_1) | instskip(NEXT) | instid1(VALU_DEP_1)
	v_fmac_f32_e32 v133, v136, v133
	v_mul_f32_e32 v136, v137, v133
	s_delay_alu instid0(VALU_DEP_1) | instskip(NEXT) | instid1(VALU_DEP_1)
	v_fma_f32 v138, -v132, v136, v137
	v_fmac_f32_e32 v136, v138, v133
	s_delay_alu instid0(VALU_DEP_1) | instskip(NEXT) | instid1(VALU_DEP_1)
	v_fma_f32 v132, -v132, v136, v137
	v_div_fmas_f32 v132, v132, v133, v136
	s_delay_alu instid0(VALU_DEP_1) | instskip(NEXT) | instid1(VALU_DEP_1)
	v_div_fixup_f32 v132, v132, v89, v88
	v_fma_f32 v133, v88, v132, v89
	s_delay_alu instid0(VALU_DEP_1) | instskip(SKIP_1) | instid1(VALU_DEP_2)
	v_div_scale_f32 v136, null, v133, v133, 1.0
	v_div_scale_f32 v139, vcc_lo, 1.0, v133, 1.0
	v_rcp_f32_e32 v137, v136
	v_nop
	s_delay_alu instid0(TRANS32_DEP_1) | instskip(NEXT) | instid1(VALU_DEP_1)
	v_fma_f32 v138, -v136, v137, 1.0
	v_fmac_f32_e32 v137, v138, v137
	s_delay_alu instid0(VALU_DEP_1) | instskip(NEXT) | instid1(VALU_DEP_1)
	v_mul_f32_e32 v138, v139, v137
	v_fma_f32 v140, -v136, v138, v139
	s_delay_alu instid0(VALU_DEP_1) | instskip(NEXT) | instid1(VALU_DEP_1)
	v_fmac_f32_e32 v138, v140, v137
	v_fma_f32 v136, -v136, v138, v139
	s_delay_alu instid0(VALU_DEP_1) | instskip(NEXT) | instid1(VALU_DEP_1)
	v_div_fmas_f32 v136, v136, v137, v138
	v_div_fixup_f32 v133, v136, v133, 1.0
	s_delay_alu instid0(VALU_DEP_1)
	v_mul_f32_e32 v132, v132, v133
	v_xor_b32_e32 v133, 0x80000000, v133
.LBB43_194:
	s_and_not1_saveexec_b32 s1, s1
	s_cbranch_execz .LBB43_196
; %bb.195:
	v_div_scale_f32 v132, null, v88, v88, v89
	v_div_scale_f32 v137, vcc_lo, v89, v88, v89
	s_delay_alu instid0(VALU_DEP_2) | instskip(SKIP_1) | instid1(TRANS32_DEP_1)
	v_rcp_f32_e32 v133, v132
	v_nop
	v_fma_f32 v136, -v132, v133, 1.0
	s_delay_alu instid0(VALU_DEP_1) | instskip(NEXT) | instid1(VALU_DEP_1)
	v_fmac_f32_e32 v133, v136, v133
	v_mul_f32_e32 v136, v137, v133
	s_delay_alu instid0(VALU_DEP_1) | instskip(NEXT) | instid1(VALU_DEP_1)
	v_fma_f32 v138, -v132, v136, v137
	v_fmac_f32_e32 v136, v138, v133
	s_delay_alu instid0(VALU_DEP_1) | instskip(NEXT) | instid1(VALU_DEP_1)
	v_fma_f32 v132, -v132, v136, v137
	v_div_fmas_f32 v132, v132, v133, v136
	s_delay_alu instid0(VALU_DEP_1) | instskip(NEXT) | instid1(VALU_DEP_1)
	v_div_fixup_f32 v133, v132, v88, v89
	v_fma_f32 v132, v89, v133, v88
	s_delay_alu instid0(VALU_DEP_1) | instskip(NEXT) | instid1(VALU_DEP_1)
	v_div_scale_f32 v136, null, v132, v132, 1.0
	v_rcp_f32_e32 v137, v136
	v_nop
	s_delay_alu instid0(TRANS32_DEP_1) | instskip(NEXT) | instid1(VALU_DEP_1)
	v_fma_f32 v138, -v136, v137, 1.0
	v_fmac_f32_e32 v137, v138, v137
	v_div_scale_f32 v138, vcc_lo, 1.0, v132, 1.0
	s_delay_alu instid0(VALU_DEP_1) | instskip(NEXT) | instid1(VALU_DEP_1)
	v_mul_f32_e32 v139, v138, v137
	v_fma_f32 v140, -v136, v139, v138
	s_delay_alu instid0(VALU_DEP_1) | instskip(NEXT) | instid1(VALU_DEP_1)
	v_fmac_f32_e32 v139, v140, v137
	v_fma_f32 v136, -v136, v139, v138
	s_delay_alu instid0(VALU_DEP_1) | instskip(NEXT) | instid1(VALU_DEP_1)
	v_div_fmas_f32 v136, v136, v137, v139
	v_div_fixup_f32 v132, v136, v132, 1.0
	s_delay_alu instid0(VALU_DEP_1)
	v_mul_f32_e64 v133, v133, -v132
.LBB43_196:
	s_or_b32 exec_lo, exec_lo, s1
	ds_store_b64 v135, v[132:133]
.LBB43_197:
	s_or_b32 exec_lo, exec_lo, s2
	s_wait_dscnt 0x0
	s_barrier_signal -1
	s_barrier_wait -1
	ds_load_b64 v[132:133], v135
	s_wait_dscnt 0x0
	s_barrier_signal -1
	s_barrier_wait -1
	s_and_saveexec_b32 s4, s0
	s_cbranch_execz .LBB43_200
; %bb.198:
	v_lshl_add_u64 v[2:3], v[2:3], 2, s[6:7]
	v_cmp_eq_f32_e32 vcc_lo, 0, v90
	v_cmp_eq_f32_e64 s0, 0, v91
	v_cmp_neq_f32_e64 s1, 0, v92
	v_cmp_neq_f32_e64 s2, 0, v93
	global_load_b32 v135, v[2:3], off
	s_and_b32 s0, vcc_lo, s0
	s_delay_alu instid0(SALU_CYCLE_1) | instskip(SKIP_1) | instid1(SALU_CYCLE_1)
	v_cndmask_b32_e64 v90, 0, 1, s0
	s_or_b32 s1, s1, s2
	s_or_b32 vcc_lo, s1, s0
	v_cmp_eq_f32_e64 s0, 0, v95
	s_delay_alu instid0(VALU_DEP_2) | instskip(SKIP_1) | instid1(VALU_DEP_2)
	v_cndmask_b32_e32 v90, 2, v90, vcc_lo
	v_cmp_eq_f32_e32 vcc_lo, 0, v94
	v_cmp_eq_u32_e64 s1, 0, v90
	s_and_b32 s0, vcc_lo, s0
	v_cmp_eq_f32_e32 vcc_lo, 0, v96
	s_and_b32 s0, s0, s1
	s_delay_alu instid0(SALU_CYCLE_1) | instskip(SKIP_1) | instid1(VALU_DEP_2)
	v_cndmask_b32_e64 v90, v90, 3, s0
	v_cmp_eq_f32_e64 s0, 0, v97
	v_cmp_eq_u32_e64 s1, 0, v90
	s_and_b32 s0, vcc_lo, s0
	v_cmp_eq_f32_e32 vcc_lo, 0, v98
	s_and_b32 s0, s0, s1
	s_delay_alu instid0(SALU_CYCLE_1) | instskip(SKIP_1) | instid1(VALU_DEP_2)
	v_cndmask_b32_e64 v90, v90, 4, s0
	v_cmp_eq_f32_e64 s0, 0, v99
	;; [unrolled: 7-line block ×19, first 2 shown]
	v_cmp_eq_u32_e64 s1, 0, v90
	s_and_b32 s0, vcc_lo, s0
	s_delay_alu instid0(SALU_CYCLE_1) | instskip(NEXT) | instid1(SALU_CYCLE_1)
	s_and_b32 s0, s0, s1
	v_cndmask_b32_e64 v90, v90, 22, s0
	s_delay_alu instid0(VALU_DEP_1) | instskip(SKIP_3) | instid1(SALU_CYCLE_1)
	v_cmp_ne_u32_e64 s0, 0, v90
	s_wait_loadcnt 0x0
	v_cmp_eq_u32_e32 vcc_lo, 0, v135
	s_and_b32 s0, vcc_lo, s0
	s_and_b32 exec_lo, exec_lo, s0
	s_cbranch_execz .LBB43_200
; %bb.199:
	v_add_nc_u32_e32 v90, s3, v90
	global_store_b32 v[2:3], v90, off
.LBB43_200:
	s_wait_xcnt 0x0
	s_or_b32 exec_lo, exec_lo, s4
	v_pk_mul_f32 v[2:3], v[132:133], v[88:89] op_sel:[1,1] op_sel_hi:[0,1]
	s_clause 0x1
	global_store_b64 v[18:19], v[56:57], off
	global_store_b64 v[30:31], v[58:59], off
	v_cmp_lt_u32_e32 vcc_lo, 21, v134
	s_clause 0x2
	global_store_b64 v[0:1], v[48:49], off
	global_store_b64 v[8:9], v[46:47], off
	;; [unrolled: 1-line block ×3, first 2 shown]
	s_wait_xcnt 0x4
	v_pk_fma_f32 v[18:19], v[132:133], v[88:89], v[2:3] op_sel_hi:[1,0,1]
	v_pk_fma_f32 v[2:3], v[132:133], v[88:89], v[2:3] neg_lo:[0,0,1] neg_hi:[0,0,1]
	s_wait_xcnt 0x2
	s_delay_alu instid0(VALU_DEP_1)
	v_dual_cndmask_b32 v1, v89, v19 :: v_dual_cndmask_b32 v0, v88, v2
	s_clause 0x10
	global_store_b64 v[4:5], v[22:23], off
	global_store_b64 v[6:7], v[24:25], off
	;; [unrolled: 1-line block ×17, first 2 shown]
.LBB43_201:
	s_sendmsg sendmsg(MSG_DEALLOC_VGPRS)
	s_endpgm
	.section	.rodata,"a",@progbits
	.p2align	6, 0x0
	.amdhsa_kernel _ZN9rocsolver6v33100L23getf2_npvt_small_kernelILi22E19rocblas_complex_numIfEiiPS3_EEvT1_T3_lS5_lPT2_S5_S5_
		.amdhsa_group_segment_fixed_size 0
		.amdhsa_private_segment_fixed_size 0
		.amdhsa_kernarg_size 312
		.amdhsa_user_sgpr_count 2
		.amdhsa_user_sgpr_dispatch_ptr 0
		.amdhsa_user_sgpr_queue_ptr 0
		.amdhsa_user_sgpr_kernarg_segment_ptr 1
		.amdhsa_user_sgpr_dispatch_id 0
		.amdhsa_user_sgpr_kernarg_preload_length 0
		.amdhsa_user_sgpr_kernarg_preload_offset 0
		.amdhsa_user_sgpr_private_segment_size 0
		.amdhsa_wavefront_size32 1
		.amdhsa_uses_dynamic_stack 0
		.amdhsa_enable_private_segment 0
		.amdhsa_system_sgpr_workgroup_id_x 1
		.amdhsa_system_sgpr_workgroup_id_y 1
		.amdhsa_system_sgpr_workgroup_id_z 0
		.amdhsa_system_sgpr_workgroup_info 0
		.amdhsa_system_vgpr_workitem_id 1
		.amdhsa_next_free_vgpr 148
		.amdhsa_next_free_sgpr 15
		.amdhsa_named_barrier_count 0
		.amdhsa_reserve_vcc 1
		.amdhsa_float_round_mode_32 0
		.amdhsa_float_round_mode_16_64 0
		.amdhsa_float_denorm_mode_32 3
		.amdhsa_float_denorm_mode_16_64 3
		.amdhsa_fp16_overflow 0
		.amdhsa_memory_ordered 1
		.amdhsa_forward_progress 1
		.amdhsa_inst_pref_size 228
		.amdhsa_round_robin_scheduling 0
		.amdhsa_exception_fp_ieee_invalid_op 0
		.amdhsa_exception_fp_denorm_src 0
		.amdhsa_exception_fp_ieee_div_zero 0
		.amdhsa_exception_fp_ieee_overflow 0
		.amdhsa_exception_fp_ieee_underflow 0
		.amdhsa_exception_fp_ieee_inexact 0
		.amdhsa_exception_int_div_zero 0
	.end_amdhsa_kernel
	.section	.text._ZN9rocsolver6v33100L23getf2_npvt_small_kernelILi22E19rocblas_complex_numIfEiiPS3_EEvT1_T3_lS5_lPT2_S5_S5_,"axG",@progbits,_ZN9rocsolver6v33100L23getf2_npvt_small_kernelILi22E19rocblas_complex_numIfEiiPS3_EEvT1_T3_lS5_lPT2_S5_S5_,comdat
.Lfunc_end43:
	.size	_ZN9rocsolver6v33100L23getf2_npvt_small_kernelILi22E19rocblas_complex_numIfEiiPS3_EEvT1_T3_lS5_lPT2_S5_S5_, .Lfunc_end43-_ZN9rocsolver6v33100L23getf2_npvt_small_kernelILi22E19rocblas_complex_numIfEiiPS3_EEvT1_T3_lS5_lPT2_S5_S5_
                                        ; -- End function
	.set _ZN9rocsolver6v33100L23getf2_npvt_small_kernelILi22E19rocblas_complex_numIfEiiPS3_EEvT1_T3_lS5_lPT2_S5_S5_.num_vgpr, 148
	.set _ZN9rocsolver6v33100L23getf2_npvt_small_kernelILi22E19rocblas_complex_numIfEiiPS3_EEvT1_T3_lS5_lPT2_S5_S5_.num_agpr, 0
	.set _ZN9rocsolver6v33100L23getf2_npvt_small_kernelILi22E19rocblas_complex_numIfEiiPS3_EEvT1_T3_lS5_lPT2_S5_S5_.numbered_sgpr, 15
	.set _ZN9rocsolver6v33100L23getf2_npvt_small_kernelILi22E19rocblas_complex_numIfEiiPS3_EEvT1_T3_lS5_lPT2_S5_S5_.num_named_barrier, 0
	.set _ZN9rocsolver6v33100L23getf2_npvt_small_kernelILi22E19rocblas_complex_numIfEiiPS3_EEvT1_T3_lS5_lPT2_S5_S5_.private_seg_size, 0
	.set _ZN9rocsolver6v33100L23getf2_npvt_small_kernelILi22E19rocblas_complex_numIfEiiPS3_EEvT1_T3_lS5_lPT2_S5_S5_.uses_vcc, 1
	.set _ZN9rocsolver6v33100L23getf2_npvt_small_kernelILi22E19rocblas_complex_numIfEiiPS3_EEvT1_T3_lS5_lPT2_S5_S5_.uses_flat_scratch, 0
	.set _ZN9rocsolver6v33100L23getf2_npvt_small_kernelILi22E19rocblas_complex_numIfEiiPS3_EEvT1_T3_lS5_lPT2_S5_S5_.has_dyn_sized_stack, 0
	.set _ZN9rocsolver6v33100L23getf2_npvt_small_kernelILi22E19rocblas_complex_numIfEiiPS3_EEvT1_T3_lS5_lPT2_S5_S5_.has_recursion, 0
	.set _ZN9rocsolver6v33100L23getf2_npvt_small_kernelILi22E19rocblas_complex_numIfEiiPS3_EEvT1_T3_lS5_lPT2_S5_S5_.has_indirect_call, 0
	.section	.AMDGPU.csdata,"",@progbits
; Kernel info:
; codeLenInByte = 29096
; TotalNumSgprs: 17
; NumVgprs: 148
; ScratchSize: 0
; MemoryBound: 0
; FloatMode: 240
; IeeeMode: 1
; LDSByteSize: 0 bytes/workgroup (compile time only)
; SGPRBlocks: 0
; VGPRBlocks: 9
; NumSGPRsForWavesPerEU: 17
; NumVGPRsForWavesPerEU: 148
; NamedBarCnt: 0
; Occupancy: 6
; WaveLimiterHint : 0
; COMPUTE_PGM_RSRC2:SCRATCH_EN: 0
; COMPUTE_PGM_RSRC2:USER_SGPR: 2
; COMPUTE_PGM_RSRC2:TRAP_HANDLER: 0
; COMPUTE_PGM_RSRC2:TGID_X_EN: 1
; COMPUTE_PGM_RSRC2:TGID_Y_EN: 1
; COMPUTE_PGM_RSRC2:TGID_Z_EN: 0
; COMPUTE_PGM_RSRC2:TIDIG_COMP_CNT: 1
	.section	.text._ZN9rocsolver6v33100L18getf2_small_kernelILi23E19rocblas_complex_numIfEiiPS3_EEvT1_T3_lS5_lPS5_llPT2_S5_S5_S7_l,"axG",@progbits,_ZN9rocsolver6v33100L18getf2_small_kernelILi23E19rocblas_complex_numIfEiiPS3_EEvT1_T3_lS5_lPS5_llPT2_S5_S5_S7_l,comdat
	.globl	_ZN9rocsolver6v33100L18getf2_small_kernelILi23E19rocblas_complex_numIfEiiPS3_EEvT1_T3_lS5_lPS5_llPT2_S5_S5_S7_l ; -- Begin function _ZN9rocsolver6v33100L18getf2_small_kernelILi23E19rocblas_complex_numIfEiiPS3_EEvT1_T3_lS5_lPS5_llPT2_S5_S5_S7_l
	.p2align	8
	.type	_ZN9rocsolver6v33100L18getf2_small_kernelILi23E19rocblas_complex_numIfEiiPS3_EEvT1_T3_lS5_lPS5_llPT2_S5_S5_S7_l,@function
_ZN9rocsolver6v33100L18getf2_small_kernelILi23E19rocblas_complex_numIfEiiPS3_EEvT1_T3_lS5_lPS5_llPT2_S5_S5_S7_l: ; @_ZN9rocsolver6v33100L18getf2_small_kernelILi23E19rocblas_complex_numIfEiiPS3_EEvT1_T3_lS5_lPS5_llPT2_S5_S5_S7_l
; %bb.0:
	s_clause 0x1
	s_load_u16 s2, s[0:1], 0x6e
	s_load_b64 s[12:13], s[0:1], 0x48
	s_bfe_u32 s3, ttmp6, 0x40010
	s_bfe_u32 s4, ttmp6, 0x40004
	s_add_co_i32 s3, s3, 1
	s_getreg_b32 s5, hwreg(HW_REG_IB_STS2, 6, 4)
	s_mul_i32 s3, ttmp7, s3
	v_bfe_u32 v54, v0, 10, 10
	s_add_co_i32 s4, s4, s3
	s_cmp_eq_u32 s5, 0
	s_cselect_b32 s3, ttmp7, s4
	s_wait_kmcnt 0x0
	v_mad_u32 v2, s3, s2, v54
	s_mov_b32 s2, exec_lo
	s_delay_alu instid0(VALU_DEP_1)
	v_cmpx_gt_i32_e64 s12, v2
	s_cbranch_execz .LBB44_484
; %bb.1:
	s_load_b128 s[4:7], s[0:1], 0x50
	v_mov_b64_e32 v[32:33], 0
	v_ashrrev_i32_e32 v3, 31, v2
	s_wait_kmcnt 0x0
	s_cmp_eq_u64 s[4:5], 0
	s_cselect_b32 s12, -1, 0
	s_delay_alu instid0(SALU_CYCLE_1)
	s_and_b32 vcc_lo, exec_lo, s12
	s_cbranch_vccnz .LBB44_3
; %bb.2:
	v_mul_u64_e32 v[4:5], s[6:7], v[2:3]
	s_delay_alu instid0(VALU_DEP_1)
	v_lshl_add_u64 v[32:33], v[4:5], 2, s[4:5]
.LBB44_3:
	s_clause 0x1
	s_load_b32 s2, s[0:1], 0x18
	s_load_b256 s[4:11], s[0:1], 0x20
	v_and_b32_e32 v59, 0x3ff, v0
	s_clause 0x1
	s_load_b128 s[16:19], s[0:1], 0x8
	s_load_b32 s14, s[0:1], 0x0
	s_delay_alu instid0(VALU_DEP_1)
	v_dual_mov_b32 v53, 0 :: v_dual_lshlrev_b32 v52, 3, v59
	s_wait_kmcnt 0x0
	v_add3_u32 v4, s2, s2, v59
	v_mul_u64_e32 v[0:1], s[4:5], v[2:3]
	s_ashr_i32 s3, s2, 31
	s_max_i32 s4, s14, 23
	s_delay_alu instid0(VALU_DEP_2) | instskip(SKIP_1) | instid1(VALU_DEP_1)
	v_add_nc_u32_e32 v6, s2, v4
	s_cmp_lt_i32 s14, 2
	v_add_nc_u32_e32 v8, s2, v6
	s_delay_alu instid0(VALU_DEP_1) | instskip(NEXT) | instid1(VALU_DEP_1)
	v_add_nc_u32_e32 v10, s2, v8
	v_dual_add_nc_u32 v12, s2, v10 :: v_dual_ashrrev_i32 v5, 31, v4
	s_delay_alu instid0(VALU_DEP_1) | instskip(NEXT) | instid1(VALU_DEP_1)
	v_dual_ashrrev_i32 v7, 31, v6 :: v_dual_add_nc_u32 v14, s2, v12
	v_dual_ashrrev_i32 v13, 31, v12 :: v_dual_ashrrev_i32 v15, 31, v14
	v_add_nc_u32_e32 v16, s2, v14
	v_ashrrev_i32_e32 v11, 31, v10
	v_lshl_add_u64 v[0:1], v[0:1], 3, s[16:17]
	s_delay_alu instid0(VALU_DEP_3) | instskip(NEXT) | instid1(VALU_DEP_2)
	v_add_nc_u32_e32 v18, s2, v16
	v_lshl_add_u64 v[0:1], s[18:19], 3, v[0:1]
	s_delay_alu instid0(VALU_DEP_2) | instskip(NEXT) | instid1(VALU_DEP_2)
	v_add_nc_u32_e32 v20, s2, v18
	v_add_nc_u64_e32 v[24:25], v[0:1], v[52:53]
	v_lshl_add_u64 v[12:13], v[12:13], 3, v[0:1]
	v_lshl_add_u64 v[34:35], v[14:15], 3, v[0:1]
	s_delay_alu instid0(VALU_DEP_4)
	v_add_nc_u32_e32 v22, s2, v20
	v_ashrrev_i32_e32 v9, 31, v8
	v_lshl_add_u64 v[30:31], v[4:5], 3, v[0:1]
	v_lshl_add_u64 v[38:39], v[6:7], 3, v[0:1]
	;; [unrolled: 1-line block ×3, first 2 shown]
	v_dual_add_nc_u32 v26, s2, v22 :: v_dual_ashrrev_i32 v17, 31, v16
	v_lshl_add_u64 v[8:9], v[8:9], 3, v[0:1]
	v_lshl_add_u64 v[42:43], s[2:3], 3, v[24:25]
	v_ashrrev_i32_e32 v23, 31, v22
	s_delay_alu instid0(VALU_DEP_4)
	v_add_nc_u32_e32 v28, s2, v26
	v_ashrrev_i32_e32 v19, 31, v18
	v_lshl_add_u64 v[56:57], v[16:17], 3, v[0:1]
	s_clause 0x7
	global_load_b64 v[16:17], v[8:9], off
	global_load_b64 v[14:15], v[10:11], off
	global_load_b64 v[6:7], v[12:13], off
	global_load_b64 v[4:5], v[34:35], off
	global_load_b64 v[46:47], v[42:43], off
	global_load_b64 v[36:37], v[30:31], off
	global_load_b64 v[34:35], v[38:39], off
	global_load_b64 v[48:49], v[24:25], off
	v_add_nc_u32_e32 v40, s2, v28
	v_lshl_add_u64 v[18:19], v[18:19], 3, v[0:1]
	v_lshl_add_u64 v[10:11], v[22:23], 3, v[0:1]
	s_delay_alu instid0(VALU_DEP_3) | instskip(NEXT) | instid1(VALU_DEP_1)
	v_dual_ashrrev_i32 v27, 31, v26 :: v_dual_add_nc_u32 v50, s2, v40
	v_dual_ashrrev_i32 v21, 31, v20 :: v_dual_add_nc_u32 v60, s2, v50
	s_delay_alu instid0(VALU_DEP_1)
	v_lshl_add_u64 v[8:9], v[20:21], 3, v[0:1]
	s_clause 0x3
	global_load_b64 v[44:45], v[56:57], off
	global_load_b64 v[42:43], v[18:19], off
	;; [unrolled: 1-line block ×4, first 2 shown]
	v_dual_add_nc_u32 v20, s2, v60 :: v_dual_ashrrev_i32 v51, 31, v50
	s_wait_xcnt 0x2
	v_lshl_add_u64 v[18:19], v[26:27], 3, v[0:1]
	s_delay_alu instid0(VALU_DEP_2) | instskip(SKIP_3) | instid1(VALU_DEP_3)
	v_add_nc_u32_e32 v30, s2, v20
	v_ashrrev_i32_e32 v29, 31, v28
	v_lshl_add_u64 v[50:51], v[50:51], 3, v[0:1]
	s_wait_xcnt 0x1
	v_add_nc_u32_e32 v8, s2, v30
	s_delay_alu instid0(VALU_DEP_3) | instskip(NEXT) | instid1(VALU_DEP_2)
	v_lshl_add_u64 v[26:27], v[28:29], 3, v[0:1]
	v_dual_ashrrev_i32 v31, 31, v30 :: v_dual_add_nc_u32 v28, s2, v8
	v_ashrrev_i32_e32 v9, 31, v8
	s_delay_alu instid0(VALU_DEP_2) | instskip(NEXT) | instid1(VALU_DEP_3)
	v_lshl_add_u64 v[64:65], v[30:31], 3, v[0:1]
	v_dual_add_nc_u32 v62, s2, v28 :: v_dual_ashrrev_i32 v29, 31, v28
	v_ashrrev_i32_e32 v41, 31, v40
	v_ashrrev_i32_e32 v61, 31, v60
	v_lshl_add_u64 v[66:67], v[8:9], 3, v[0:1]
	s_delay_alu instid0(VALU_DEP_4)
	v_ashrrev_i32_e32 v63, 31, v62
	v_lshl_add_u64 v[68:69], v[28:29], 3, v[0:1]
	v_lshl_add_u64 v[56:57], v[40:41], 3, v[0:1]
	s_clause 0x3
	global_load_b64 v[40:41], v[18:19], off
	global_load_b64 v[38:39], v[26:27], off
	;; [unrolled: 1-line block ×4, first 2 shown]
	s_wait_xcnt 0x3
	v_dual_add_nc_u32 v18, s2, v62 :: v_dual_ashrrev_i32 v21, 31, v20
	s_wait_xcnt 0x1
	v_lshl_add_u64 v[56:57], v[60:61], 3, v[0:1]
	v_lshl_add_u64 v[62:63], v[62:63], 3, v[0:1]
	s_delay_alu instid0(VALU_DEP_3) | instskip(SKIP_1) | instid1(VALU_DEP_2)
	v_ashrrev_i32_e32 v19, 31, v18
	v_lshl_add_u64 v[60:61], v[20:21], 3, v[0:1]
	v_lshl_add_u64 v[70:71], v[18:19], 3, v[0:1]
	s_clause 0x6
	global_load_b64 v[30:31], v[56:57], off
	global_load_b64 v[28:29], v[60:61], off
	;; [unrolled: 1-line block ×7, first 2 shown]
	s_wait_xcnt 0x6
	v_mul_lo_u32 v57, s4, v54
	s_load_b64 s[4:5], s[0:1], 0x40
	s_delay_alu instid0(VALU_DEP_1) | instskip(NEXT) | instid1(VALU_DEP_1)
	v_lshl_add_u32 v56, v57, 3, 0
	v_dual_lshlrev_b32 v57, 3, v57 :: v_dual_add_nc_u32 v52, v56, v52
	s_wait_loadcnt 0xf
	ds_store_b64 v52, v[48:49]
	s_wait_loadcnt_dscnt 0x0
	s_barrier_signal -1
	s_barrier_wait -1
	ds_load_b64 v[54:55], v56
	s_cbranch_scc1 .LBB44_6
; %bb.4:
	v_add3_u32 v52, v57, 0, 8
	v_mov_b32_e32 v53, 0
	s_wait_xcnt 0x0
	s_mov_b32 s1, 1
.LBB44_5:                               ; =>This Inner Loop Header: Depth=1
	ds_load_b64 v[60:61], v52
	s_wait_dscnt 0x1
	v_cmp_gt_f32_e32 vcc_lo, 0, v54
	v_cmp_gt_f32_e64 s0, 0, v55
	s_delay_alu instid0(VALU_DEP_1) | instskip(SKIP_3) | instid1(VALU_DEP_1)
	v_dual_cndmask_b32 v62, v54, -v54, vcc_lo :: v_dual_cndmask_b32 v64, v55, -v55, s0
	s_wait_dscnt 0x0
	v_cmp_gt_f32_e32 vcc_lo, 0, v60
	v_cmp_gt_f32_e64 s0, 0, v61
	v_dual_cndmask_b32 v63, v60, -v60, vcc_lo :: v_dual_cndmask_b32 v65, v61, -v61, s0
	s_delay_alu instid0(VALU_DEP_1) | instskip(NEXT) | instid1(VALU_DEP_1)
	v_pk_add_f32 v[62:63], v[62:63], v[64:65]
	v_cmp_lt_f32_e32 vcc_lo, v62, v63
	v_dual_cndmask_b32 v55, v55, v61 :: v_dual_add_nc_u32 v52, 8, v52
	v_cndmask_b32_e32 v54, v54, v60, vcc_lo
	v_cndmask_b32_e64 v53, v53, s1, vcc_lo
	s_add_co_i32 s1, s1, 1
	s_delay_alu instid0(SALU_CYCLE_1)
	s_cmp_eq_u32 s14, s1
	s_cbranch_scc0 .LBB44_5
.LBB44_6:
	s_wait_dscnt 0x0
	v_cmp_neq_f32_e32 vcc_lo, 0, v54
	s_wait_xcnt 0x0
	v_cmp_neq_f32_e64 s0, 0, v55
	v_dual_mov_b32 v58, 1 :: v_dual_mov_b32 v61, 1
	s_or_b32 s1, vcc_lo, s0
	s_delay_alu instid0(SALU_CYCLE_1)
	s_and_saveexec_b32 s0, s1
	s_cbranch_execz .LBB44_12
; %bb.7:
	v_cmp_ngt_f32_e64 s1, |v54|, |v55|
	s_and_saveexec_b32 s15, s1
	s_delay_alu instid0(SALU_CYCLE_1)
	s_xor_b32 s1, exec_lo, s15
	s_cbranch_execz .LBB44_9
; %bb.8:
	v_div_scale_f32 v52, null, v55, v55, v54
	v_div_scale_f32 v61, vcc_lo, v54, v55, v54
	s_delay_alu instid0(VALU_DEP_2) | instskip(SKIP_1) | instid1(TRANS32_DEP_1)
	v_rcp_f32_e32 v58, v52
	v_nop
	v_fma_f32 v60, -v52, v58, 1.0
	s_delay_alu instid0(VALU_DEP_1) | instskip(NEXT) | instid1(VALU_DEP_1)
	v_fmac_f32_e32 v58, v60, v58
	v_mul_f32_e32 v60, v61, v58
	s_delay_alu instid0(VALU_DEP_1) | instskip(NEXT) | instid1(VALU_DEP_1)
	v_fma_f32 v62, -v52, v60, v61
	v_fmac_f32_e32 v60, v62, v58
	s_delay_alu instid0(VALU_DEP_1) | instskip(NEXT) | instid1(VALU_DEP_1)
	v_fma_f32 v52, -v52, v60, v61
	v_div_fmas_f32 v52, v52, v58, v60
	s_delay_alu instid0(VALU_DEP_1) | instskip(NEXT) | instid1(VALU_DEP_1)
	v_div_fixup_f32 v52, v52, v55, v54
	v_fmac_f32_e32 v55, v54, v52
	s_delay_alu instid0(VALU_DEP_1) | instskip(SKIP_1) | instid1(VALU_DEP_2)
	v_div_scale_f32 v54, null, v55, v55, 1.0
	v_div_scale_f32 v61, vcc_lo, 1.0, v55, 1.0
	v_rcp_f32_e32 v58, v54
	v_nop
	s_delay_alu instid0(TRANS32_DEP_1) | instskip(NEXT) | instid1(VALU_DEP_1)
	v_fma_f32 v60, -v54, v58, 1.0
	v_fmac_f32_e32 v58, v60, v58
	s_delay_alu instid0(VALU_DEP_1) | instskip(NEXT) | instid1(VALU_DEP_1)
	v_mul_f32_e32 v60, v61, v58
	v_fma_f32 v62, -v54, v60, v61
	s_delay_alu instid0(VALU_DEP_1) | instskip(NEXT) | instid1(VALU_DEP_1)
	v_fmac_f32_e32 v60, v62, v58
	v_fma_f32 v54, -v54, v60, v61
	s_delay_alu instid0(VALU_DEP_1) | instskip(NEXT) | instid1(VALU_DEP_1)
	v_div_fmas_f32 v54, v54, v58, v60
	v_div_fixup_f32 v55, v54, v55, 1.0
	s_delay_alu instid0(VALU_DEP_1)
	v_mul_f32_e32 v54, v52, v55
	v_xor_b32_e32 v55, 0x80000000, v55
.LBB44_9:
	s_and_not1_saveexec_b32 s1, s1
	s_cbranch_execz .LBB44_11
; %bb.10:
	s_delay_alu instid0(VALU_DEP_1) | instskip(SKIP_1) | instid1(VALU_DEP_2)
	v_div_scale_f32 v52, null, v54, v54, v55
	v_div_scale_f32 v61, vcc_lo, v55, v54, v55
	v_rcp_f32_e32 v58, v52
	v_nop
	s_delay_alu instid0(TRANS32_DEP_1) | instskip(NEXT) | instid1(VALU_DEP_1)
	v_fma_f32 v60, -v52, v58, 1.0
	v_fmac_f32_e32 v58, v60, v58
	s_delay_alu instid0(VALU_DEP_1) | instskip(NEXT) | instid1(VALU_DEP_1)
	v_mul_f32_e32 v60, v61, v58
	v_fma_f32 v62, -v52, v60, v61
	s_delay_alu instid0(VALU_DEP_1) | instskip(NEXT) | instid1(VALU_DEP_1)
	v_fmac_f32_e32 v60, v62, v58
	v_fma_f32 v52, -v52, v60, v61
	s_delay_alu instid0(VALU_DEP_1) | instskip(NEXT) | instid1(VALU_DEP_1)
	v_div_fmas_f32 v52, v52, v58, v60
	v_div_fixup_f32 v52, v52, v54, v55
	s_delay_alu instid0(VALU_DEP_1) | instskip(NEXT) | instid1(VALU_DEP_1)
	v_fmac_f32_e32 v54, v55, v52
	v_div_scale_f32 v55, null, v54, v54, 1.0
	s_delay_alu instid0(VALU_DEP_1) | instskip(SKIP_1) | instid1(TRANS32_DEP_1)
	v_rcp_f32_e32 v58, v55
	v_nop
	v_fma_f32 v60, -v55, v58, 1.0
	s_delay_alu instid0(VALU_DEP_1) | instskip(SKIP_1) | instid1(VALU_DEP_1)
	v_fmac_f32_e32 v58, v60, v58
	v_div_scale_f32 v60, vcc_lo, 1.0, v54, 1.0
	v_mul_f32_e32 v61, v60, v58
	s_delay_alu instid0(VALU_DEP_1) | instskip(NEXT) | instid1(VALU_DEP_1)
	v_fma_f32 v62, -v55, v61, v60
	v_fmac_f32_e32 v61, v62, v58
	s_delay_alu instid0(VALU_DEP_1) | instskip(NEXT) | instid1(VALU_DEP_1)
	v_fma_f32 v55, -v55, v61, v60
	v_div_fmas_f32 v55, v55, v58, v61
	s_delay_alu instid0(VALU_DEP_1) | instskip(NEXT) | instid1(VALU_DEP_1)
	v_div_fixup_f32 v54, v55, v54, 1.0
	v_mul_f32_e64 v55, v52, -v54
.LBB44_11:
	s_or_b32 exec_lo, exec_lo, s1
	v_dual_mov_b32 v61, 0 :: v_dual_mov_b32 v58, 2
.LBB44_12:
	s_or_b32 exec_lo, exec_lo, s0
	s_delay_alu instid0(SALU_CYCLE_1)
	s_mov_b32 s0, exec_lo
	v_cmpx_ne_u32_e64 v59, v53
	s_xor_b32 s0, exec_lo, s0
	s_cbranch_execz .LBB44_18
; %bb.13:
	s_mov_b32 s1, exec_lo
	v_cmpx_eq_u32_e32 0, v59
	s_cbranch_execz .LBB44_17
; %bb.14:
	v_cmp_ne_u32_e32 vcc_lo, 0, v53
	s_xor_b32 s15, s12, -1
	s_delay_alu instid0(SALU_CYCLE_1) | instskip(NEXT) | instid1(SALU_CYCLE_1)
	s_and_b32 s16, s15, vcc_lo
	s_and_saveexec_b32 s15, s16
	s_cbranch_execz .LBB44_16
; %bb.15:
	v_dual_mov_b32 v62, v53 :: v_dual_ashrrev_i32 v63, 31, v53
	s_delay_alu instid0(VALU_DEP_1)
	v_lshl_add_u64 v[62:63], v[62:63], 2, v[32:33]
	s_clause 0x1
	global_load_b32 v52, v[62:63], off
	global_load_b32 v59, v[32:33], off
	s_wait_loadcnt 0x1
	global_store_b32 v[32:33], v52, off
	s_wait_loadcnt 0x0
	global_store_b32 v[62:63], v59, off
.LBB44_16:
	s_wait_xcnt 0x0
	s_or_b32 exec_lo, exec_lo, s15
	v_mov_b32_e32 v59, v53
.LBB44_17:
	s_or_b32 exec_lo, exec_lo, s1
.LBB44_18:
	s_or_saveexec_b32 s0, s0
	s_delay_alu instid0(VALU_DEP_1)
	v_mov_b32_e32 v60, v59
	s_xor_b32 exec_lo, exec_lo, s0
	s_cbranch_execz .LBB44_20
; %bb.19:
	v_mov_b32_e32 v60, 0
	ds_store_2addr_b64 v56, v[46:47], v[36:37] offset0:1 offset1:2
	ds_store_2addr_b64 v56, v[34:35], v[16:17] offset0:3 offset1:4
	;; [unrolled: 1-line block ×11, first 2 shown]
.LBB44_20:
	s_or_b32 exec_lo, exec_lo, s0
	s_delay_alu instid0(SALU_CYCLE_1)
	s_mov_b32 s0, exec_lo
	s_wait_storecnt_dscnt 0x0
	s_barrier_signal -1
	s_barrier_wait -1
	v_cmpx_lt_i32_e32 0, v60
	s_cbranch_execz .LBB44_22
; %bb.21:
	v_pk_mul_f32 v[62:63], v[54:55], v[48:49] op_sel:[1,1] op_sel_hi:[0,1]
	s_delay_alu instid0(VALU_DEP_1)
	v_pk_fma_f32 v[52:53], v[54:55], v[48:49], v[62:63] op_sel_hi:[1,0,1] neg_lo:[0,0,1] neg_hi:[0,0,1]
	v_pk_fma_f32 v[54:55], v[54:55], v[48:49], v[62:63] op_sel_hi:[1,0,1]
	ds_load_2addr_b64 v[62:65], v56 offset0:1 offset1:2
	v_dual_mov_b32 v48, v52 :: v_dual_mov_b32 v49, v55
	s_wait_dscnt 0x0
	v_pk_mul_f32 v[66:67], v[62:63], v[54:55] op_sel:[0,1]
	s_delay_alu instid0(VALU_DEP_1) | instskip(SKIP_1) | instid1(VALU_DEP_1)
	v_pk_fma_f32 v[68:69], v[62:63], v[52:53], v[66:67] op_sel:[0,0,1] op_sel_hi:[1,1,0] neg_lo:[0,0,1] neg_hi:[0,0,1]
	v_pk_fma_f32 v[62:63], v[62:63], v[52:53], v[66:67] op_sel:[0,0,1] op_sel_hi:[1,0,0]
	v_mov_b32_e32 v69, v63
	v_pk_mul_f32 v[62:63], v[64:65], v[54:55] op_sel:[0,1]
	s_delay_alu instid0(VALU_DEP_1) | instskip(SKIP_1) | instid1(VALU_DEP_1)
	v_pk_fma_f32 v[66:67], v[64:65], v[52:53], v[62:63] op_sel:[0,0,1] op_sel_hi:[1,1,0] neg_lo:[0,0,1] neg_hi:[0,0,1]
	v_pk_fma_f32 v[62:63], v[64:65], v[52:53], v[62:63] op_sel:[0,0,1] op_sel_hi:[1,0,0]
	v_mov_b32_e32 v67, v63
	ds_load_2addr_b64 v[62:65], v56 offset0:3 offset1:4
	v_pk_add_f32 v[46:47], v[46:47], v[68:69] neg_lo:[0,1] neg_hi:[0,1]
	v_pk_add_f32 v[36:37], v[36:37], v[66:67] neg_lo:[0,1] neg_hi:[0,1]
	s_wait_dscnt 0x0
	v_pk_mul_f32 v[66:67], v[62:63], v[54:55] op_sel:[0,1]
	s_delay_alu instid0(VALU_DEP_1) | instskip(SKIP_2) | instid1(VALU_DEP_2)
	v_pk_fma_f32 v[68:69], v[62:63], v[52:53], v[66:67] op_sel:[0,0,1] op_sel_hi:[1,1,0] neg_lo:[0,0,1] neg_hi:[0,0,1]
	v_pk_fma_f32 v[62:63], v[62:63], v[52:53], v[66:67] op_sel:[0,0,1] op_sel_hi:[1,0,0]
	v_dual_mul_f32 v66, v65, v55 :: v_dual_mov_b32 v62, v65
	v_dual_mov_b32 v69, v63 :: v_dual_mov_b32 v63, v64
	s_delay_alu instid0(VALU_DEP_2) | instskip(SKIP_1) | instid1(VALU_DEP_3)
	v_pk_fma_f32 v[66:67], v[64:65], v[48:49], v[66:67] op_sel_hi:[1,1,0] neg_lo:[0,0,1] neg_hi:[0,0,1]
	v_mul_f32_e32 v64, v65, v52
	v_pk_add_f32 v[34:35], v[34:35], v[68:69] neg_lo:[0,1] neg_hi:[0,1]
	s_delay_alu instid0(VALU_DEP_2) | instskip(NEXT) | instid1(VALU_DEP_1)
	v_pk_fma_f32 v[62:63], v[62:63], v[48:49], v[64:65] op_sel_hi:[1,1,0]
	v_mov_b32_e32 v67, v63
	ds_load_2addr_b64 v[62:65], v56 offset0:5 offset1:6
	v_pk_add_f32 v[16:17], v[16:17], v[66:67] neg_lo:[0,1] neg_hi:[0,1]
	s_wait_dscnt 0x0
	v_pk_mul_f32 v[66:67], v[62:63], v[54:55] op_sel:[0,1]
	s_delay_alu instid0(VALU_DEP_1) | instskip(SKIP_1) | instid1(VALU_DEP_1)
	v_pk_fma_f32 v[68:69], v[62:63], v[52:53], v[66:67] op_sel:[0,0,1] op_sel_hi:[1,1,0] neg_lo:[0,0,1] neg_hi:[0,0,1]
	v_pk_fma_f32 v[62:63], v[62:63], v[52:53], v[66:67] op_sel:[0,0,1] op_sel_hi:[1,0,0]
	v_mov_b32_e32 v69, v63
	v_pk_mul_f32 v[62:63], v[64:65], v[54:55] op_sel:[0,1]
	s_delay_alu instid0(VALU_DEP_1) | instskip(SKIP_1) | instid1(VALU_DEP_1)
	v_pk_fma_f32 v[66:67], v[64:65], v[52:53], v[62:63] op_sel:[0,0,1] op_sel_hi:[1,1,0] neg_lo:[0,0,1] neg_hi:[0,0,1]
	v_pk_fma_f32 v[62:63], v[64:65], v[52:53], v[62:63] op_sel:[0,0,1] op_sel_hi:[1,0,0]
	v_mov_b32_e32 v67, v63
	ds_load_2addr_b64 v[62:65], v56 offset0:7 offset1:8
	v_pk_add_f32 v[14:15], v[14:15], v[68:69] neg_lo:[0,1] neg_hi:[0,1]
	v_pk_add_f32 v[6:7], v[6:7], v[66:67] neg_lo:[0,1] neg_hi:[0,1]
	s_wait_dscnt 0x0
	v_pk_mul_f32 v[66:67], v[62:63], v[54:55] op_sel:[0,1]
	s_delay_alu instid0(VALU_DEP_1) | instskip(SKIP_1) | instid1(VALU_DEP_1)
	v_pk_fma_f32 v[68:69], v[62:63], v[52:53], v[66:67] op_sel:[0,0,1] op_sel_hi:[1,1,0] neg_lo:[0,0,1] neg_hi:[0,0,1]
	v_pk_fma_f32 v[62:63], v[62:63], v[52:53], v[66:67] op_sel:[0,0,1] op_sel_hi:[1,0,0]
	v_mov_b32_e32 v69, v63
	v_pk_mul_f32 v[62:63], v[64:65], v[54:55] op_sel:[0,1]
	s_delay_alu instid0(VALU_DEP_1) | instskip(SKIP_1) | instid1(VALU_DEP_1)
	v_pk_fma_f32 v[66:67], v[64:65], v[52:53], v[62:63] op_sel:[0,0,1] op_sel_hi:[1,1,0] neg_lo:[0,0,1] neg_hi:[0,0,1]
	v_pk_fma_f32 v[62:63], v[64:65], v[52:53], v[62:63] op_sel:[0,0,1] op_sel_hi:[1,0,0]
	v_mov_b32_e32 v67, v63
	ds_load_2addr_b64 v[62:65], v56 offset0:9 offset1:10
	v_pk_add_f32 v[4:5], v[4:5], v[68:69] neg_lo:[0,1] neg_hi:[0,1]
	v_pk_add_f32 v[44:45], v[44:45], v[66:67] neg_lo:[0,1] neg_hi:[0,1]
	s_wait_dscnt 0x0
	v_dual_mul_f32 v66, v63, v55 :: v_dual_mul_f32 v68, v63, v52
	s_delay_alu instid0(VALU_DEP_1) | instskip(NEXT) | instid1(VALU_DEP_2)
	v_pk_fma_f32 v[66:67], v[62:63], v[48:49], v[66:67] op_sel_hi:[1,1,0] neg_lo:[0,0,1] neg_hi:[0,0,1]
	v_pk_fma_f32 v[62:63], v[62:63], v[48:49], v[68:69] op_sel:[1,0,0] op_sel_hi:[0,1,0]
	s_delay_alu instid0(VALU_DEP_1) | instskip(SKIP_1) | instid1(VALU_DEP_2)
	v_mov_b32_e32 v67, v63
	v_pk_mul_f32 v[62:63], v[64:65], v[54:55] op_sel:[0,1]
	v_pk_add_f32 v[42:43], v[42:43], v[66:67] neg_lo:[0,1] neg_hi:[0,1]
	s_delay_alu instid0(VALU_DEP_2) | instskip(SKIP_1) | instid1(VALU_DEP_1)
	v_pk_fma_f32 v[66:67], v[64:65], v[52:53], v[62:63] op_sel:[0,0,1] op_sel_hi:[1,1,0] neg_lo:[0,0,1] neg_hi:[0,0,1]
	v_pk_fma_f32 v[62:63], v[64:65], v[52:53], v[62:63] op_sel:[0,0,1] op_sel_hi:[1,0,0]
	v_mov_b32_e32 v67, v63
	ds_load_2addr_b64 v[62:65], v56 offset0:11 offset1:12
	v_pk_add_f32 v[24:25], v[24:25], v[66:67] neg_lo:[0,1] neg_hi:[0,1]
	s_wait_dscnt 0x0
	v_pk_mul_f32 v[66:67], v[62:63], v[54:55] op_sel:[0,1]
	s_delay_alu instid0(VALU_DEP_1) | instskip(SKIP_1) | instid1(VALU_DEP_1)
	v_pk_fma_f32 v[68:69], v[62:63], v[52:53], v[66:67] op_sel:[0,0,1] op_sel_hi:[1,1,0] neg_lo:[0,0,1] neg_hi:[0,0,1]
	v_pk_fma_f32 v[62:63], v[62:63], v[52:53], v[66:67] op_sel:[0,0,1] op_sel_hi:[1,0,0]
	v_mov_b32_e32 v69, v63
	v_pk_mul_f32 v[62:63], v[64:65], v[54:55] op_sel:[0,1]
	s_delay_alu instid0(VALU_DEP_2) | instskip(NEXT) | instid1(VALU_DEP_2)
	v_pk_add_f32 v[22:23], v[22:23], v[68:69] neg_lo:[0,1] neg_hi:[0,1]
	v_pk_fma_f32 v[66:67], v[64:65], v[52:53], v[62:63] op_sel:[0,0,1] op_sel_hi:[1,1,0] neg_lo:[0,0,1] neg_hi:[0,0,1]
	v_pk_fma_f32 v[62:63], v[64:65], v[52:53], v[62:63] op_sel:[0,0,1] op_sel_hi:[1,0,0]
	s_delay_alu instid0(VALU_DEP_1) | instskip(SKIP_4) | instid1(VALU_DEP_1)
	v_mov_b32_e32 v67, v63
	ds_load_2addr_b64 v[62:65], v56 offset0:13 offset1:14
	v_pk_add_f32 v[40:41], v[40:41], v[66:67] neg_lo:[0,1] neg_hi:[0,1]
	s_wait_dscnt 0x0
	v_pk_mul_f32 v[66:67], v[62:63], v[54:55] op_sel:[0,1]
	v_pk_fma_f32 v[68:69], v[62:63], v[52:53], v[66:67] op_sel:[0,0,1] op_sel_hi:[1,1,0] neg_lo:[0,0,1] neg_hi:[0,0,1]
	v_pk_fma_f32 v[62:63], v[62:63], v[52:53], v[66:67] op_sel:[0,0,1] op_sel_hi:[1,0,0]
	v_dual_mul_f32 v66, v65, v55 :: v_dual_mov_b32 v62, v65
	s_delay_alu instid0(VALU_DEP_2) | instskip(NEXT) | instid1(VALU_DEP_2)
	v_dual_mov_b32 v69, v63 :: v_dual_mov_b32 v63, v64
	v_pk_fma_f32 v[66:67], v[64:65], v[48:49], v[66:67] op_sel_hi:[1,1,0] neg_lo:[0,0,1] neg_hi:[0,0,1]
	v_mul_f32_e32 v64, v65, v52
	s_delay_alu instid0(VALU_DEP_3) | instskip(NEXT) | instid1(VALU_DEP_2)
	v_pk_add_f32 v[38:39], v[38:39], v[68:69] neg_lo:[0,1] neg_hi:[0,1]
	v_pk_fma_f32 v[62:63], v[62:63], v[48:49], v[64:65] op_sel_hi:[1,1,0]
	s_delay_alu instid0(VALU_DEP_1) | instskip(SKIP_4) | instid1(VALU_DEP_1)
	v_mov_b32_e32 v67, v63
	ds_load_2addr_b64 v[62:65], v56 offset0:15 offset1:16
	v_pk_add_f32 v[12:13], v[12:13], v[66:67] neg_lo:[0,1] neg_hi:[0,1]
	s_wait_dscnt 0x0
	v_pk_mul_f32 v[66:67], v[62:63], v[54:55] op_sel:[0,1]
	v_pk_fma_f32 v[68:69], v[62:63], v[52:53], v[66:67] op_sel:[0,0,1] op_sel_hi:[1,1,0] neg_lo:[0,0,1] neg_hi:[0,0,1]
	v_pk_fma_f32 v[62:63], v[62:63], v[52:53], v[66:67] op_sel:[0,0,1] op_sel_hi:[1,0,0]
	s_delay_alu instid0(VALU_DEP_1) | instskip(SKIP_1) | instid1(VALU_DEP_1)
	v_mov_b32_e32 v69, v63
	v_pk_mul_f32 v[62:63], v[64:65], v[54:55] op_sel:[0,1]
	v_pk_fma_f32 v[66:67], v[64:65], v[52:53], v[62:63] op_sel:[0,0,1] op_sel_hi:[1,1,0] neg_lo:[0,0,1] neg_hi:[0,0,1]
	v_pk_fma_f32 v[62:63], v[64:65], v[52:53], v[62:63] op_sel:[0,0,1] op_sel_hi:[1,0,0]
	s_delay_alu instid0(VALU_DEP_1)
	v_mov_b32_e32 v67, v63
	ds_load_2addr_b64 v[62:65], v56 offset0:17 offset1:18
	v_pk_add_f32 v[10:11], v[10:11], v[68:69] neg_lo:[0,1] neg_hi:[0,1]
	v_pk_add_f32 v[30:31], v[30:31], v[66:67] neg_lo:[0,1] neg_hi:[0,1]
	s_wait_dscnt 0x0
	v_pk_mul_f32 v[66:67], v[62:63], v[54:55] op_sel:[0,1]
	s_delay_alu instid0(VALU_DEP_1) | instskip(SKIP_1) | instid1(VALU_DEP_1)
	v_pk_fma_f32 v[68:69], v[62:63], v[52:53], v[66:67] op_sel:[0,0,1] op_sel_hi:[1,1,0] neg_lo:[0,0,1] neg_hi:[0,0,1]
	v_pk_fma_f32 v[62:63], v[62:63], v[52:53], v[66:67] op_sel:[0,0,1] op_sel_hi:[1,0,0]
	v_mov_b32_e32 v69, v63
	v_pk_mul_f32 v[62:63], v[64:65], v[54:55] op_sel:[0,1]
	s_delay_alu instid0(VALU_DEP_1) | instskip(SKIP_1) | instid1(VALU_DEP_1)
	v_pk_fma_f32 v[66:67], v[64:65], v[52:53], v[62:63] op_sel:[0,0,1] op_sel_hi:[1,1,0] neg_lo:[0,0,1] neg_hi:[0,0,1]
	v_pk_fma_f32 v[62:63], v[64:65], v[52:53], v[62:63] op_sel:[0,0,1] op_sel_hi:[1,0,0]
	v_mov_b32_e32 v67, v63
	ds_load_2addr_b64 v[62:65], v56 offset0:19 offset1:20
	v_pk_add_f32 v[28:29], v[28:29], v[68:69] neg_lo:[0,1] neg_hi:[0,1]
	v_pk_add_f32 v[8:9], v[8:9], v[66:67] neg_lo:[0,1] neg_hi:[0,1]
	s_wait_dscnt 0x0
	v_dual_mul_f32 v66, v63, v55 :: v_dual_mul_f32 v68, v63, v52
	s_delay_alu instid0(VALU_DEP_1) | instskip(NEXT) | instid1(VALU_DEP_2)
	v_pk_fma_f32 v[66:67], v[62:63], v[48:49], v[66:67] op_sel_hi:[1,1,0] neg_lo:[0,0,1] neg_hi:[0,0,1]
	v_pk_fma_f32 v[62:63], v[62:63], v[48:49], v[68:69] op_sel:[1,0,0] op_sel_hi:[0,1,0]
	s_delay_alu instid0(VALU_DEP_1) | instskip(SKIP_1) | instid1(VALU_DEP_2)
	v_mov_b32_e32 v67, v63
	v_pk_mul_f32 v[62:63], v[64:65], v[54:55] op_sel:[0,1]
	v_pk_add_f32 v[26:27], v[26:27], v[66:67] neg_lo:[0,1] neg_hi:[0,1]
	s_delay_alu instid0(VALU_DEP_2) | instskip(SKIP_1) | instid1(VALU_DEP_1)
	v_pk_fma_f32 v[66:67], v[64:65], v[52:53], v[62:63] op_sel:[0,0,1] op_sel_hi:[1,1,0] neg_lo:[0,0,1] neg_hi:[0,0,1]
	v_pk_fma_f32 v[62:63], v[64:65], v[52:53], v[62:63] op_sel:[0,0,1] op_sel_hi:[1,0,0]
	v_mov_b32_e32 v67, v63
	ds_load_2addr_b64 v[62:65], v56 offset0:21 offset1:22
	v_pk_add_f32 v[20:21], v[20:21], v[66:67] neg_lo:[0,1] neg_hi:[0,1]
	s_wait_dscnt 0x0
	v_pk_mul_f32 v[66:67], v[62:63], v[54:55] op_sel:[0,1]
	v_pk_mul_f32 v[54:55], v[64:65], v[54:55] op_sel:[0,1]
	s_delay_alu instid0(VALU_DEP_2) | instskip(SKIP_1) | instid1(VALU_DEP_1)
	v_pk_fma_f32 v[68:69], v[62:63], v[52:53], v[66:67] op_sel:[0,0,1] op_sel_hi:[1,1,0] neg_lo:[0,0,1] neg_hi:[0,0,1]
	v_pk_fma_f32 v[62:63], v[62:63], v[52:53], v[66:67] op_sel:[0,0,1] op_sel_hi:[1,0,0]
	v_mov_b32_e32 v69, v63
	s_delay_alu instid0(VALU_DEP_4) | instskip(SKIP_1) | instid1(VALU_DEP_3)
	v_pk_fma_f32 v[62:63], v[64:65], v[52:53], v[54:55] op_sel:[0,0,1] op_sel_hi:[1,1,0] neg_lo:[0,0,1] neg_hi:[0,0,1]
	v_pk_fma_f32 v[52:53], v[64:65], v[52:53], v[54:55] op_sel:[0,0,1] op_sel_hi:[1,0,0]
	v_pk_add_f32 v[18:19], v[18:19], v[68:69] neg_lo:[0,1] neg_hi:[0,1]
	s_delay_alu instid0(VALU_DEP_2) | instskip(NEXT) | instid1(VALU_DEP_1)
	v_mov_b32_e32 v63, v53
	v_pk_add_f32 v[50:51], v[50:51], v[62:63] neg_lo:[0,1] neg_hi:[0,1]
.LBB44_22:
	s_or_b32 exec_lo, exec_lo, s0
	v_lshl_add_u32 v52, v60, 3, v56
	s_barrier_signal -1
	s_barrier_wait -1
	ds_store_b64 v52, v[46:47]
	s_wait_dscnt 0x0
	s_barrier_signal -1
	s_barrier_wait -1
	ds_load_b64 v[54:55], v56 offset:8
	v_mov_b32_e32 v52, 1
	s_cmp_lt_i32 s14, 3
	s_cbranch_scc1 .LBB44_25
; %bb.23:
	v_add3_u32 v53, v57, 0, 16
	v_mov_b32_e32 v52, 1
	s_mov_b32 s0, 2
.LBB44_24:                              ; =>This Inner Loop Header: Depth=1
	ds_load_b64 v[62:63], v53
	s_wait_dscnt 0x1
	v_cmp_gt_f32_e32 vcc_lo, 0, v54
	v_cndmask_b32_e64 v64, v54, -v54, vcc_lo
	v_cmp_gt_f32_e32 vcc_lo, 0, v55
	v_cndmask_b32_e64 v66, v55, -v55, vcc_lo
	s_wait_dscnt 0x0
	v_cmp_gt_f32_e32 vcc_lo, 0, v62
	v_cndmask_b32_e64 v65, v62, -v62, vcc_lo
	v_cmp_gt_f32_e32 vcc_lo, 0, v63
	v_cndmask_b32_e64 v67, v63, -v63, vcc_lo
	s_delay_alu instid0(VALU_DEP_1) | instskip(NEXT) | instid1(VALU_DEP_1)
	v_pk_add_f32 v[64:65], v[64:65], v[66:67]
	v_cmp_lt_f32_e32 vcc_lo, v64, v65
	v_dual_add_nc_u32 v53, 8, v53 :: v_dual_cndmask_b32 v55, v55, v63, vcc_lo
	v_cndmask_b32_e32 v54, v54, v62, vcc_lo
	v_cndmask_b32_e64 v52, v52, s0, vcc_lo
	s_add_co_i32 s0, s0, 1
	s_delay_alu instid0(SALU_CYCLE_1)
	s_cmp_lg_u32 s14, s0
	s_cbranch_scc1 .LBB44_24
.LBB44_25:
	s_wait_dscnt 0x0
	v_cmp_neq_f32_e32 vcc_lo, 0, v54
	v_cmp_neq_f32_e64 s0, 0, v55
	s_or_b32 s1, vcc_lo, s0
	s_delay_alu instid0(SALU_CYCLE_1)
	s_and_saveexec_b32 s0, s1
	s_cbranch_execz .LBB44_31
; %bb.26:
	v_cmp_ngt_f32_e64 s1, |v54|, |v55|
	s_and_saveexec_b32 s15, s1
	s_delay_alu instid0(SALU_CYCLE_1)
	s_xor_b32 s1, exec_lo, s15
	s_cbranch_execz .LBB44_28
; %bb.27:
	v_div_scale_f32 v53, null, v55, v55, v54
	v_div_scale_f32 v63, vcc_lo, v54, v55, v54
	s_delay_alu instid0(VALU_DEP_2) | instskip(SKIP_1) | instid1(TRANS32_DEP_1)
	v_rcp_f32_e32 v58, v53
	v_nop
	v_fma_f32 v62, -v53, v58, 1.0
	s_delay_alu instid0(VALU_DEP_1) | instskip(NEXT) | instid1(VALU_DEP_1)
	v_fmac_f32_e32 v58, v62, v58
	v_mul_f32_e32 v62, v63, v58
	s_delay_alu instid0(VALU_DEP_1) | instskip(NEXT) | instid1(VALU_DEP_1)
	v_fma_f32 v64, -v53, v62, v63
	v_fmac_f32_e32 v62, v64, v58
	s_delay_alu instid0(VALU_DEP_1) | instskip(NEXT) | instid1(VALU_DEP_1)
	v_fma_f32 v53, -v53, v62, v63
	v_div_fmas_f32 v53, v53, v58, v62
	s_delay_alu instid0(VALU_DEP_1) | instskip(NEXT) | instid1(VALU_DEP_1)
	v_div_fixup_f32 v53, v53, v55, v54
	v_fmac_f32_e32 v55, v54, v53
	s_delay_alu instid0(VALU_DEP_1) | instskip(SKIP_1) | instid1(VALU_DEP_2)
	v_div_scale_f32 v54, null, v55, v55, 1.0
	v_div_scale_f32 v63, vcc_lo, 1.0, v55, 1.0
	v_rcp_f32_e32 v58, v54
	v_nop
	s_delay_alu instid0(TRANS32_DEP_1) | instskip(NEXT) | instid1(VALU_DEP_1)
	v_fma_f32 v62, -v54, v58, 1.0
	v_fmac_f32_e32 v58, v62, v58
	s_delay_alu instid0(VALU_DEP_1) | instskip(NEXT) | instid1(VALU_DEP_1)
	v_mul_f32_e32 v62, v63, v58
	v_fma_f32 v64, -v54, v62, v63
	s_delay_alu instid0(VALU_DEP_1) | instskip(NEXT) | instid1(VALU_DEP_1)
	v_fmac_f32_e32 v62, v64, v58
	v_fma_f32 v54, -v54, v62, v63
	s_delay_alu instid0(VALU_DEP_1) | instskip(NEXT) | instid1(VALU_DEP_1)
	v_div_fmas_f32 v54, v54, v58, v62
	v_div_fixup_f32 v55, v54, v55, 1.0
	s_delay_alu instid0(VALU_DEP_1)
	v_mul_f32_e32 v54, v53, v55
	v_xor_b32_e32 v55, 0x80000000, v55
.LBB44_28:
	s_and_not1_saveexec_b32 s1, s1
	s_cbranch_execz .LBB44_30
; %bb.29:
	s_delay_alu instid0(VALU_DEP_1) | instskip(SKIP_1) | instid1(VALU_DEP_2)
	v_div_scale_f32 v53, null, v54, v54, v55
	v_div_scale_f32 v63, vcc_lo, v55, v54, v55
	v_rcp_f32_e32 v58, v53
	v_nop
	s_delay_alu instid0(TRANS32_DEP_1) | instskip(NEXT) | instid1(VALU_DEP_1)
	v_fma_f32 v62, -v53, v58, 1.0
	v_fmac_f32_e32 v58, v62, v58
	s_delay_alu instid0(VALU_DEP_1) | instskip(NEXT) | instid1(VALU_DEP_1)
	v_mul_f32_e32 v62, v63, v58
	v_fma_f32 v64, -v53, v62, v63
	s_delay_alu instid0(VALU_DEP_1) | instskip(NEXT) | instid1(VALU_DEP_1)
	v_fmac_f32_e32 v62, v64, v58
	v_fma_f32 v53, -v53, v62, v63
	s_delay_alu instid0(VALU_DEP_1) | instskip(NEXT) | instid1(VALU_DEP_1)
	v_div_fmas_f32 v53, v53, v58, v62
	v_div_fixup_f32 v53, v53, v54, v55
	s_delay_alu instid0(VALU_DEP_1) | instskip(NEXT) | instid1(VALU_DEP_1)
	v_fmac_f32_e32 v54, v55, v53
	v_div_scale_f32 v55, null, v54, v54, 1.0
	s_delay_alu instid0(VALU_DEP_1) | instskip(SKIP_1) | instid1(TRANS32_DEP_1)
	v_rcp_f32_e32 v58, v55
	v_nop
	v_fma_f32 v62, -v55, v58, 1.0
	s_delay_alu instid0(VALU_DEP_1) | instskip(SKIP_1) | instid1(VALU_DEP_1)
	v_fmac_f32_e32 v58, v62, v58
	v_div_scale_f32 v62, vcc_lo, 1.0, v54, 1.0
	v_mul_f32_e32 v63, v62, v58
	s_delay_alu instid0(VALU_DEP_1) | instskip(NEXT) | instid1(VALU_DEP_1)
	v_fma_f32 v64, -v55, v63, v62
	v_fmac_f32_e32 v63, v64, v58
	s_delay_alu instid0(VALU_DEP_1) | instskip(NEXT) | instid1(VALU_DEP_1)
	v_fma_f32 v55, -v55, v63, v62
	v_div_fmas_f32 v55, v55, v58, v63
	s_delay_alu instid0(VALU_DEP_1) | instskip(NEXT) | instid1(VALU_DEP_1)
	v_div_fixup_f32 v54, v55, v54, 1.0
	v_mul_f32_e64 v55, v53, -v54
.LBB44_30:
	s_or_b32 exec_lo, exec_lo, s1
	v_mov_b32_e32 v58, v61
.LBB44_31:
	s_or_b32 exec_lo, exec_lo, s0
	s_delay_alu instid0(SALU_CYCLE_1)
	s_mov_b32 s0, exec_lo
	v_cmpx_ne_u32_e64 v60, v52
	s_xor_b32 s0, exec_lo, s0
	s_cbranch_execz .LBB44_37
; %bb.32:
	s_mov_b32 s1, exec_lo
	v_cmpx_eq_u32_e32 1, v60
	s_cbranch_execz .LBB44_36
; %bb.33:
	v_cmp_ne_u32_e32 vcc_lo, 1, v52
	s_xor_b32 s15, s12, -1
	s_delay_alu instid0(SALU_CYCLE_1) | instskip(NEXT) | instid1(SALU_CYCLE_1)
	s_and_b32 s16, s15, vcc_lo
	s_and_saveexec_b32 s15, s16
	s_cbranch_execz .LBB44_35
; %bb.34:
	v_ashrrev_i32_e32 v53, 31, v52
	s_delay_alu instid0(VALU_DEP_1)
	v_lshl_add_u64 v[60:61], v[52:53], 2, v[32:33]
	s_clause 0x1
	global_load_b32 v53, v[60:61], off
	global_load_b32 v59, v[32:33], off offset:4
	s_wait_loadcnt 0x1
	global_store_b32 v[32:33], v53, off offset:4
	s_wait_loadcnt 0x0
	global_store_b32 v[60:61], v59, off
.LBB44_35:
	s_wait_xcnt 0x0
	s_or_b32 exec_lo, exec_lo, s15
	v_dual_mov_b32 v60, v52 :: v_dual_mov_b32 v59, v52
.LBB44_36:
	s_or_b32 exec_lo, exec_lo, s1
.LBB44_37:
	s_and_not1_saveexec_b32 s0, s0
	s_cbranch_execz .LBB44_39
; %bb.38:
	v_dual_mov_b32 v52, v36 :: v_dual_mov_b32 v53, v37
	v_dual_mov_b32 v60, v34 :: v_dual_mov_b32 v61, v35
	ds_store_2addr_b64 v56, v[52:53], v[60:61] offset0:2 offset1:3
	v_dual_mov_b32 v52, v16 :: v_dual_mov_b32 v53, v17
	v_dual_mov_b32 v60, v14 :: v_dual_mov_b32 v61, v15
	ds_store_2addr_b64 v56, v[52:53], v[60:61] offset0:4 offset1:5
	;; [unrolled: 3-line block ×10, first 2 shown]
	ds_store_b64 v56, v[50:51] offset:176
	v_mov_b32_e32 v60, 1
.LBB44_39:
	s_or_b32 exec_lo, exec_lo, s0
	s_delay_alu instid0(SALU_CYCLE_1)
	s_mov_b32 s0, exec_lo
	s_wait_storecnt_dscnt 0x0
	s_barrier_signal -1
	s_barrier_wait -1
	v_cmpx_lt_i32_e32 1, v60
	s_cbranch_execz .LBB44_41
; %bb.40:
	v_pk_mul_f32 v[62:63], v[54:55], v[46:47] op_sel:[1,1] op_sel_hi:[0,1]
	s_delay_alu instid0(VALU_DEP_1)
	v_pk_fma_f32 v[52:53], v[54:55], v[46:47], v[62:63] op_sel_hi:[1,0,1] neg_lo:[0,0,1] neg_hi:[0,0,1]
	v_pk_fma_f32 v[54:55], v[54:55], v[46:47], v[62:63] op_sel_hi:[1,0,1]
	ds_load_2addr_b64 v[62:65], v56 offset0:2 offset1:3
	v_dual_mov_b32 v46, v52 :: v_dual_mov_b32 v47, v55
	s_wait_dscnt 0x0
	v_pk_mul_f32 v[66:67], v[62:63], v[54:55] op_sel:[0,1]
	s_delay_alu instid0(VALU_DEP_1) | instskip(SKIP_1) | instid1(VALU_DEP_1)
	v_pk_fma_f32 v[68:69], v[62:63], v[52:53], v[66:67] op_sel:[0,0,1] op_sel_hi:[1,1,0] neg_lo:[0,0,1] neg_hi:[0,0,1]
	v_pk_fma_f32 v[62:63], v[62:63], v[52:53], v[66:67] op_sel:[0,0,1] op_sel_hi:[1,0,0]
	v_mov_b32_e32 v69, v63
	v_pk_mul_f32 v[62:63], v[64:65], v[54:55] op_sel:[0,1]
	s_delay_alu instid0(VALU_DEP_1) | instskip(SKIP_1) | instid1(VALU_DEP_1)
	v_pk_fma_f32 v[66:67], v[64:65], v[52:53], v[62:63] op_sel:[0,0,1] op_sel_hi:[1,1,0] neg_lo:[0,0,1] neg_hi:[0,0,1]
	v_pk_fma_f32 v[62:63], v[64:65], v[52:53], v[62:63] op_sel:[0,0,1] op_sel_hi:[1,0,0]
	v_mov_b32_e32 v67, v63
	ds_load_2addr_b64 v[62:65], v56 offset0:4 offset1:5
	v_pk_add_f32 v[36:37], v[36:37], v[68:69] neg_lo:[0,1] neg_hi:[0,1]
	v_pk_add_f32 v[34:35], v[34:35], v[66:67] neg_lo:[0,1] neg_hi:[0,1]
	s_wait_dscnt 0x0
	v_pk_mul_f32 v[66:67], v[62:63], v[54:55] op_sel:[0,1]
	s_delay_alu instid0(VALU_DEP_1) | instskip(SKIP_2) | instid1(VALU_DEP_2)
	v_pk_fma_f32 v[68:69], v[62:63], v[52:53], v[66:67] op_sel:[0,0,1] op_sel_hi:[1,1,0] neg_lo:[0,0,1] neg_hi:[0,0,1]
	v_pk_fma_f32 v[62:63], v[62:63], v[52:53], v[66:67] op_sel:[0,0,1] op_sel_hi:[1,0,0]
	v_dual_mul_f32 v66, v65, v55 :: v_dual_mov_b32 v62, v65
	v_dual_mov_b32 v69, v63 :: v_dual_mov_b32 v63, v64
	s_delay_alu instid0(VALU_DEP_2) | instskip(SKIP_1) | instid1(VALU_DEP_3)
	v_pk_fma_f32 v[66:67], v[64:65], v[46:47], v[66:67] op_sel_hi:[1,1,0] neg_lo:[0,0,1] neg_hi:[0,0,1]
	v_mul_f32_e32 v64, v65, v52
	v_pk_add_f32 v[16:17], v[16:17], v[68:69] neg_lo:[0,1] neg_hi:[0,1]
	s_delay_alu instid0(VALU_DEP_2) | instskip(NEXT) | instid1(VALU_DEP_1)
	v_pk_fma_f32 v[62:63], v[62:63], v[46:47], v[64:65] op_sel_hi:[1,1,0]
	v_mov_b32_e32 v67, v63
	ds_load_2addr_b64 v[62:65], v56 offset0:6 offset1:7
	v_pk_add_f32 v[14:15], v[14:15], v[66:67] neg_lo:[0,1] neg_hi:[0,1]
	s_wait_dscnt 0x0
	v_pk_mul_f32 v[66:67], v[62:63], v[54:55] op_sel:[0,1]
	s_delay_alu instid0(VALU_DEP_1) | instskip(SKIP_1) | instid1(VALU_DEP_1)
	v_pk_fma_f32 v[68:69], v[62:63], v[52:53], v[66:67] op_sel:[0,0,1] op_sel_hi:[1,1,0] neg_lo:[0,0,1] neg_hi:[0,0,1]
	v_pk_fma_f32 v[62:63], v[62:63], v[52:53], v[66:67] op_sel:[0,0,1] op_sel_hi:[1,0,0]
	v_mov_b32_e32 v69, v63
	v_pk_mul_f32 v[62:63], v[64:65], v[54:55] op_sel:[0,1]
	s_delay_alu instid0(VALU_DEP_1) | instskip(SKIP_1) | instid1(VALU_DEP_1)
	v_pk_fma_f32 v[66:67], v[64:65], v[52:53], v[62:63] op_sel:[0,0,1] op_sel_hi:[1,1,0] neg_lo:[0,0,1] neg_hi:[0,0,1]
	v_pk_fma_f32 v[62:63], v[64:65], v[52:53], v[62:63] op_sel:[0,0,1] op_sel_hi:[1,0,0]
	v_mov_b32_e32 v67, v63
	ds_load_2addr_b64 v[62:65], v56 offset0:8 offset1:9
	v_pk_add_f32 v[6:7], v[6:7], v[68:69] neg_lo:[0,1] neg_hi:[0,1]
	v_pk_add_f32 v[4:5], v[4:5], v[66:67] neg_lo:[0,1] neg_hi:[0,1]
	s_wait_dscnt 0x0
	v_pk_mul_f32 v[66:67], v[62:63], v[54:55] op_sel:[0,1]
	s_delay_alu instid0(VALU_DEP_1) | instskip(SKIP_1) | instid1(VALU_DEP_1)
	v_pk_fma_f32 v[68:69], v[62:63], v[52:53], v[66:67] op_sel:[0,0,1] op_sel_hi:[1,1,0] neg_lo:[0,0,1] neg_hi:[0,0,1]
	v_pk_fma_f32 v[62:63], v[62:63], v[52:53], v[66:67] op_sel:[0,0,1] op_sel_hi:[1,0,0]
	v_mov_b32_e32 v69, v63
	v_pk_mul_f32 v[62:63], v[64:65], v[54:55] op_sel:[0,1]
	s_delay_alu instid0(VALU_DEP_1) | instskip(SKIP_1) | instid1(VALU_DEP_1)
	v_pk_fma_f32 v[66:67], v[64:65], v[52:53], v[62:63] op_sel:[0,0,1] op_sel_hi:[1,1,0] neg_lo:[0,0,1] neg_hi:[0,0,1]
	v_pk_fma_f32 v[62:63], v[64:65], v[52:53], v[62:63] op_sel:[0,0,1] op_sel_hi:[1,0,0]
	v_mov_b32_e32 v67, v63
	ds_load_2addr_b64 v[62:65], v56 offset0:10 offset1:11
	v_pk_add_f32 v[44:45], v[44:45], v[68:69] neg_lo:[0,1] neg_hi:[0,1]
	v_pk_add_f32 v[42:43], v[42:43], v[66:67] neg_lo:[0,1] neg_hi:[0,1]
	s_wait_dscnt 0x0
	v_dual_mul_f32 v66, v63, v55 :: v_dual_mul_f32 v68, v63, v52
	s_delay_alu instid0(VALU_DEP_1) | instskip(NEXT) | instid1(VALU_DEP_2)
	v_pk_fma_f32 v[66:67], v[62:63], v[46:47], v[66:67] op_sel_hi:[1,1,0] neg_lo:[0,0,1] neg_hi:[0,0,1]
	v_pk_fma_f32 v[62:63], v[62:63], v[46:47], v[68:69] op_sel:[1,0,0] op_sel_hi:[0,1,0]
	s_delay_alu instid0(VALU_DEP_1) | instskip(SKIP_1) | instid1(VALU_DEP_2)
	v_mov_b32_e32 v67, v63
	v_pk_mul_f32 v[62:63], v[64:65], v[54:55] op_sel:[0,1]
	v_pk_add_f32 v[24:25], v[24:25], v[66:67] neg_lo:[0,1] neg_hi:[0,1]
	s_delay_alu instid0(VALU_DEP_2) | instskip(SKIP_1) | instid1(VALU_DEP_1)
	v_pk_fma_f32 v[66:67], v[64:65], v[52:53], v[62:63] op_sel:[0,0,1] op_sel_hi:[1,1,0] neg_lo:[0,0,1] neg_hi:[0,0,1]
	v_pk_fma_f32 v[62:63], v[64:65], v[52:53], v[62:63] op_sel:[0,0,1] op_sel_hi:[1,0,0]
	v_mov_b32_e32 v67, v63
	ds_load_2addr_b64 v[62:65], v56 offset0:12 offset1:13
	v_pk_add_f32 v[22:23], v[22:23], v[66:67] neg_lo:[0,1] neg_hi:[0,1]
	s_wait_dscnt 0x0
	v_pk_mul_f32 v[66:67], v[62:63], v[54:55] op_sel:[0,1]
	s_delay_alu instid0(VALU_DEP_1) | instskip(SKIP_1) | instid1(VALU_DEP_1)
	v_pk_fma_f32 v[68:69], v[62:63], v[52:53], v[66:67] op_sel:[0,0,1] op_sel_hi:[1,1,0] neg_lo:[0,0,1] neg_hi:[0,0,1]
	v_pk_fma_f32 v[62:63], v[62:63], v[52:53], v[66:67] op_sel:[0,0,1] op_sel_hi:[1,0,0]
	v_mov_b32_e32 v69, v63
	v_pk_mul_f32 v[62:63], v[64:65], v[54:55] op_sel:[0,1]
	s_delay_alu instid0(VALU_DEP_2) | instskip(NEXT) | instid1(VALU_DEP_2)
	v_pk_add_f32 v[40:41], v[40:41], v[68:69] neg_lo:[0,1] neg_hi:[0,1]
	v_pk_fma_f32 v[66:67], v[64:65], v[52:53], v[62:63] op_sel:[0,0,1] op_sel_hi:[1,1,0] neg_lo:[0,0,1] neg_hi:[0,0,1]
	v_pk_fma_f32 v[62:63], v[64:65], v[52:53], v[62:63] op_sel:[0,0,1] op_sel_hi:[1,0,0]
	s_delay_alu instid0(VALU_DEP_1) | instskip(SKIP_4) | instid1(VALU_DEP_1)
	v_mov_b32_e32 v67, v63
	ds_load_2addr_b64 v[62:65], v56 offset0:14 offset1:15
	v_pk_add_f32 v[38:39], v[38:39], v[66:67] neg_lo:[0,1] neg_hi:[0,1]
	s_wait_dscnt 0x0
	v_pk_mul_f32 v[66:67], v[62:63], v[54:55] op_sel:[0,1]
	v_pk_fma_f32 v[68:69], v[62:63], v[52:53], v[66:67] op_sel:[0,0,1] op_sel_hi:[1,1,0] neg_lo:[0,0,1] neg_hi:[0,0,1]
	v_pk_fma_f32 v[62:63], v[62:63], v[52:53], v[66:67] op_sel:[0,0,1] op_sel_hi:[1,0,0]
	v_dual_mul_f32 v66, v65, v55 :: v_dual_mov_b32 v62, v65
	s_delay_alu instid0(VALU_DEP_2) | instskip(NEXT) | instid1(VALU_DEP_2)
	v_dual_mov_b32 v69, v63 :: v_dual_mov_b32 v63, v64
	v_pk_fma_f32 v[66:67], v[64:65], v[46:47], v[66:67] op_sel_hi:[1,1,0] neg_lo:[0,0,1] neg_hi:[0,0,1]
	v_mul_f32_e32 v64, v65, v52
	s_delay_alu instid0(VALU_DEP_3) | instskip(NEXT) | instid1(VALU_DEP_2)
	v_pk_add_f32 v[12:13], v[12:13], v[68:69] neg_lo:[0,1] neg_hi:[0,1]
	v_pk_fma_f32 v[62:63], v[62:63], v[46:47], v[64:65] op_sel_hi:[1,1,0]
	s_delay_alu instid0(VALU_DEP_1) | instskip(SKIP_4) | instid1(VALU_DEP_1)
	v_mov_b32_e32 v67, v63
	ds_load_2addr_b64 v[62:65], v56 offset0:16 offset1:17
	v_pk_add_f32 v[10:11], v[10:11], v[66:67] neg_lo:[0,1] neg_hi:[0,1]
	s_wait_dscnt 0x0
	v_pk_mul_f32 v[66:67], v[62:63], v[54:55] op_sel:[0,1]
	v_pk_fma_f32 v[68:69], v[62:63], v[52:53], v[66:67] op_sel:[0,0,1] op_sel_hi:[1,1,0] neg_lo:[0,0,1] neg_hi:[0,0,1]
	v_pk_fma_f32 v[62:63], v[62:63], v[52:53], v[66:67] op_sel:[0,0,1] op_sel_hi:[1,0,0]
	s_delay_alu instid0(VALU_DEP_1) | instskip(SKIP_1) | instid1(VALU_DEP_1)
	v_mov_b32_e32 v69, v63
	v_pk_mul_f32 v[62:63], v[64:65], v[54:55] op_sel:[0,1]
	v_pk_fma_f32 v[66:67], v[64:65], v[52:53], v[62:63] op_sel:[0,0,1] op_sel_hi:[1,1,0] neg_lo:[0,0,1] neg_hi:[0,0,1]
	v_pk_fma_f32 v[62:63], v[64:65], v[52:53], v[62:63] op_sel:[0,0,1] op_sel_hi:[1,0,0]
	s_delay_alu instid0(VALU_DEP_1)
	v_mov_b32_e32 v67, v63
	ds_load_2addr_b64 v[62:65], v56 offset0:18 offset1:19
	v_pk_add_f32 v[30:31], v[30:31], v[68:69] neg_lo:[0,1] neg_hi:[0,1]
	v_pk_add_f32 v[28:29], v[28:29], v[66:67] neg_lo:[0,1] neg_hi:[0,1]
	s_wait_dscnt 0x0
	v_pk_mul_f32 v[66:67], v[62:63], v[54:55] op_sel:[0,1]
	s_delay_alu instid0(VALU_DEP_1) | instskip(SKIP_1) | instid1(VALU_DEP_1)
	v_pk_fma_f32 v[68:69], v[62:63], v[52:53], v[66:67] op_sel:[0,0,1] op_sel_hi:[1,1,0] neg_lo:[0,0,1] neg_hi:[0,0,1]
	v_pk_fma_f32 v[62:63], v[62:63], v[52:53], v[66:67] op_sel:[0,0,1] op_sel_hi:[1,0,0]
	v_mov_b32_e32 v69, v63
	v_pk_mul_f32 v[62:63], v[64:65], v[54:55] op_sel:[0,1]
	s_delay_alu instid0(VALU_DEP_1) | instskip(SKIP_1) | instid1(VALU_DEP_1)
	v_pk_fma_f32 v[66:67], v[64:65], v[52:53], v[62:63] op_sel:[0,0,1] op_sel_hi:[1,1,0] neg_lo:[0,0,1] neg_hi:[0,0,1]
	v_pk_fma_f32 v[62:63], v[64:65], v[52:53], v[62:63] op_sel:[0,0,1] op_sel_hi:[1,0,0]
	v_mov_b32_e32 v67, v63
	ds_load_2addr_b64 v[62:65], v56 offset0:20 offset1:21
	v_pk_add_f32 v[8:9], v[8:9], v[68:69] neg_lo:[0,1] neg_hi:[0,1]
	v_pk_add_f32 v[26:27], v[26:27], v[66:67] neg_lo:[0,1] neg_hi:[0,1]
	s_wait_dscnt 0x0
	v_dual_mul_f32 v66, v63, v55 :: v_dual_mul_f32 v68, v63, v52
	s_delay_alu instid0(VALU_DEP_1) | instskip(NEXT) | instid1(VALU_DEP_2)
	v_pk_fma_f32 v[66:67], v[62:63], v[46:47], v[66:67] op_sel_hi:[1,1,0] neg_lo:[0,0,1] neg_hi:[0,0,1]
	v_pk_fma_f32 v[62:63], v[62:63], v[46:47], v[68:69] op_sel:[1,0,0] op_sel_hi:[0,1,0]
	s_delay_alu instid0(VALU_DEP_1) | instskip(SKIP_1) | instid1(VALU_DEP_2)
	v_mov_b32_e32 v67, v63
	v_pk_mul_f32 v[62:63], v[64:65], v[54:55] op_sel:[0,1]
	v_pk_add_f32 v[20:21], v[20:21], v[66:67] neg_lo:[0,1] neg_hi:[0,1]
	s_delay_alu instid0(VALU_DEP_2) | instskip(SKIP_1) | instid1(VALU_DEP_1)
	v_pk_fma_f32 v[66:67], v[64:65], v[52:53], v[62:63] op_sel:[0,0,1] op_sel_hi:[1,1,0] neg_lo:[0,0,1] neg_hi:[0,0,1]
	v_pk_fma_f32 v[62:63], v[64:65], v[52:53], v[62:63] op_sel:[0,0,1] op_sel_hi:[1,0,0]
	v_mov_b32_e32 v67, v63
	ds_load_b64 v[62:63], v56 offset:176
	v_pk_add_f32 v[18:19], v[18:19], v[66:67] neg_lo:[0,1] neg_hi:[0,1]
	s_wait_dscnt 0x0
	v_pk_mul_f32 v[54:55], v[62:63], v[54:55] op_sel:[0,1]
	s_delay_alu instid0(VALU_DEP_1) | instskip(SKIP_1) | instid1(VALU_DEP_1)
	v_pk_fma_f32 v[64:65], v[62:63], v[52:53], v[54:55] op_sel:[0,0,1] op_sel_hi:[1,1,0] neg_lo:[0,0,1] neg_hi:[0,0,1]
	v_pk_fma_f32 v[52:53], v[62:63], v[52:53], v[54:55] op_sel:[0,0,1] op_sel_hi:[1,0,0]
	v_mov_b32_e32 v65, v53
	s_delay_alu instid0(VALU_DEP_1)
	v_pk_add_f32 v[50:51], v[50:51], v[64:65] neg_lo:[0,1] neg_hi:[0,1]
.LBB44_41:
	s_or_b32 exec_lo, exec_lo, s0
	v_lshl_add_u32 v52, v60, 3, v56
	s_barrier_signal -1
	s_barrier_wait -1
	ds_store_b64 v52, v[36:37]
	s_wait_dscnt 0x0
	s_barrier_signal -1
	s_barrier_wait -1
	ds_load_b64 v[54:55], v56 offset:16
	v_mov_b32_e32 v52, 2
	s_cmp_lt_i32 s14, 4
	s_mov_b32 s0, 3
	s_cbranch_scc1 .LBB44_44
; %bb.42:
	v_add3_u32 v53, v57, 0, 24
	v_mov_b32_e32 v52, 2
.LBB44_43:                              ; =>This Inner Loop Header: Depth=1
	ds_load_b64 v[62:63], v53
	s_wait_dscnt 0x1
	v_cmp_gt_f32_e32 vcc_lo, 0, v54
	v_cndmask_b32_e64 v64, v54, -v54, vcc_lo
	v_cmp_gt_f32_e32 vcc_lo, 0, v55
	v_cndmask_b32_e64 v66, v55, -v55, vcc_lo
	s_wait_dscnt 0x0
	v_cmp_gt_f32_e32 vcc_lo, 0, v62
	v_cndmask_b32_e64 v65, v62, -v62, vcc_lo
	v_cmp_gt_f32_e32 vcc_lo, 0, v63
	v_cndmask_b32_e64 v67, v63, -v63, vcc_lo
	s_delay_alu instid0(VALU_DEP_1) | instskip(NEXT) | instid1(VALU_DEP_1)
	v_pk_add_f32 v[64:65], v[64:65], v[66:67]
	v_cmp_lt_f32_e32 vcc_lo, v64, v65
	v_dual_add_nc_u32 v53, 8, v53 :: v_dual_cndmask_b32 v55, v55, v63, vcc_lo
	v_cndmask_b32_e32 v54, v54, v62, vcc_lo
	v_cndmask_b32_e64 v52, v52, s0, vcc_lo
	s_add_co_i32 s0, s0, 1
	s_delay_alu instid0(SALU_CYCLE_1)
	s_cmp_lg_u32 s14, s0
	s_cbranch_scc1 .LBB44_43
.LBB44_44:
	s_wait_dscnt 0x0
	v_cmp_eq_f32_e32 vcc_lo, 0, v54
	v_cmp_eq_f32_e64 s0, 0, v55
	s_and_b32 s0, vcc_lo, s0
	s_delay_alu instid0(SALU_CYCLE_1) | instskip(NEXT) | instid1(SALU_CYCLE_1)
	s_and_saveexec_b32 s1, s0
	s_xor_b32 s0, exec_lo, s1
; %bb.45:
	v_cmp_ne_u32_e32 vcc_lo, 0, v58
	v_cndmask_b32_e32 v58, 3, v58, vcc_lo
; %bb.46:
	s_and_not1_saveexec_b32 s0, s0
	s_cbranch_execz .LBB44_52
; %bb.47:
	v_cmp_ngt_f32_e64 s1, |v54|, |v55|
	s_and_saveexec_b32 s15, s1
	s_delay_alu instid0(SALU_CYCLE_1)
	s_xor_b32 s1, exec_lo, s15
	s_cbranch_execz .LBB44_49
; %bb.48:
	v_div_scale_f32 v53, null, v55, v55, v54
	v_div_scale_f32 v63, vcc_lo, v54, v55, v54
	s_delay_alu instid0(VALU_DEP_2) | instskip(SKIP_1) | instid1(TRANS32_DEP_1)
	v_rcp_f32_e32 v61, v53
	v_nop
	v_fma_f32 v62, -v53, v61, 1.0
	s_delay_alu instid0(VALU_DEP_1) | instskip(NEXT) | instid1(VALU_DEP_1)
	v_fmac_f32_e32 v61, v62, v61
	v_mul_f32_e32 v62, v63, v61
	s_delay_alu instid0(VALU_DEP_1) | instskip(NEXT) | instid1(VALU_DEP_1)
	v_fma_f32 v64, -v53, v62, v63
	v_fmac_f32_e32 v62, v64, v61
	s_delay_alu instid0(VALU_DEP_1) | instskip(NEXT) | instid1(VALU_DEP_1)
	v_fma_f32 v53, -v53, v62, v63
	v_div_fmas_f32 v53, v53, v61, v62
	s_delay_alu instid0(VALU_DEP_1) | instskip(NEXT) | instid1(VALU_DEP_1)
	v_div_fixup_f32 v53, v53, v55, v54
	v_fmac_f32_e32 v55, v54, v53
	s_delay_alu instid0(VALU_DEP_1) | instskip(SKIP_1) | instid1(VALU_DEP_2)
	v_div_scale_f32 v54, null, v55, v55, 1.0
	v_div_scale_f32 v63, vcc_lo, 1.0, v55, 1.0
	v_rcp_f32_e32 v61, v54
	v_nop
	s_delay_alu instid0(TRANS32_DEP_1) | instskip(NEXT) | instid1(VALU_DEP_1)
	v_fma_f32 v62, -v54, v61, 1.0
	v_fmac_f32_e32 v61, v62, v61
	s_delay_alu instid0(VALU_DEP_1) | instskip(NEXT) | instid1(VALU_DEP_1)
	v_mul_f32_e32 v62, v63, v61
	v_fma_f32 v64, -v54, v62, v63
	s_delay_alu instid0(VALU_DEP_1) | instskip(NEXT) | instid1(VALU_DEP_1)
	v_fmac_f32_e32 v62, v64, v61
	v_fma_f32 v54, -v54, v62, v63
	s_delay_alu instid0(VALU_DEP_1) | instskip(NEXT) | instid1(VALU_DEP_1)
	v_div_fmas_f32 v54, v54, v61, v62
	v_div_fixup_f32 v55, v54, v55, 1.0
	s_delay_alu instid0(VALU_DEP_1)
	v_mul_f32_e32 v54, v53, v55
	v_xor_b32_e32 v55, 0x80000000, v55
.LBB44_49:
	s_and_not1_saveexec_b32 s1, s1
	s_cbranch_execz .LBB44_51
; %bb.50:
	s_delay_alu instid0(VALU_DEP_1) | instskip(SKIP_1) | instid1(VALU_DEP_2)
	v_div_scale_f32 v53, null, v54, v54, v55
	v_div_scale_f32 v63, vcc_lo, v55, v54, v55
	v_rcp_f32_e32 v61, v53
	v_nop
	s_delay_alu instid0(TRANS32_DEP_1) | instskip(NEXT) | instid1(VALU_DEP_1)
	v_fma_f32 v62, -v53, v61, 1.0
	v_fmac_f32_e32 v61, v62, v61
	s_delay_alu instid0(VALU_DEP_1) | instskip(NEXT) | instid1(VALU_DEP_1)
	v_mul_f32_e32 v62, v63, v61
	v_fma_f32 v64, -v53, v62, v63
	s_delay_alu instid0(VALU_DEP_1) | instskip(NEXT) | instid1(VALU_DEP_1)
	v_fmac_f32_e32 v62, v64, v61
	v_fma_f32 v53, -v53, v62, v63
	s_delay_alu instid0(VALU_DEP_1) | instskip(NEXT) | instid1(VALU_DEP_1)
	v_div_fmas_f32 v53, v53, v61, v62
	v_div_fixup_f32 v53, v53, v54, v55
	s_delay_alu instid0(VALU_DEP_1) | instskip(NEXT) | instid1(VALU_DEP_1)
	v_fmac_f32_e32 v54, v55, v53
	v_div_scale_f32 v55, null, v54, v54, 1.0
	s_delay_alu instid0(VALU_DEP_1) | instskip(SKIP_1) | instid1(TRANS32_DEP_1)
	v_rcp_f32_e32 v61, v55
	v_nop
	v_fma_f32 v62, -v55, v61, 1.0
	s_delay_alu instid0(VALU_DEP_1) | instskip(SKIP_1) | instid1(VALU_DEP_1)
	v_fmac_f32_e32 v61, v62, v61
	v_div_scale_f32 v62, vcc_lo, 1.0, v54, 1.0
	v_mul_f32_e32 v63, v62, v61
	s_delay_alu instid0(VALU_DEP_1) | instskip(NEXT) | instid1(VALU_DEP_1)
	v_fma_f32 v64, -v55, v63, v62
	v_fmac_f32_e32 v63, v64, v61
	s_delay_alu instid0(VALU_DEP_1) | instskip(NEXT) | instid1(VALU_DEP_1)
	v_fma_f32 v55, -v55, v63, v62
	v_div_fmas_f32 v55, v55, v61, v63
	s_delay_alu instid0(VALU_DEP_1) | instskip(NEXT) | instid1(VALU_DEP_1)
	v_div_fixup_f32 v54, v55, v54, 1.0
	v_mul_f32_e64 v55, v53, -v54
.LBB44_51:
	s_or_b32 exec_lo, exec_lo, s1
.LBB44_52:
	s_delay_alu instid0(SALU_CYCLE_1) | instskip(NEXT) | instid1(SALU_CYCLE_1)
	s_or_b32 exec_lo, exec_lo, s0
	s_mov_b32 s0, exec_lo
	v_cmpx_ne_u32_e64 v60, v52
	s_xor_b32 s0, exec_lo, s0
	s_cbranch_execz .LBB44_58
; %bb.53:
	s_mov_b32 s1, exec_lo
	v_cmpx_eq_u32_e32 2, v60
	s_cbranch_execz .LBB44_57
; %bb.54:
	v_cmp_ne_u32_e32 vcc_lo, 2, v52
	s_xor_b32 s15, s12, -1
	s_delay_alu instid0(SALU_CYCLE_1) | instskip(NEXT) | instid1(SALU_CYCLE_1)
	s_and_b32 s16, s15, vcc_lo
	s_and_saveexec_b32 s15, s16
	s_cbranch_execz .LBB44_56
; %bb.55:
	v_ashrrev_i32_e32 v53, 31, v52
	s_delay_alu instid0(VALU_DEP_1)
	v_lshl_add_u64 v[60:61], v[52:53], 2, v[32:33]
	s_clause 0x1
	global_load_b32 v53, v[60:61], off
	global_load_b32 v59, v[32:33], off offset:8
	s_wait_loadcnt 0x1
	global_store_b32 v[32:33], v53, off offset:8
	s_wait_loadcnt 0x0
	global_store_b32 v[60:61], v59, off
.LBB44_56:
	s_wait_xcnt 0x0
	s_or_b32 exec_lo, exec_lo, s15
	v_dual_mov_b32 v60, v52 :: v_dual_mov_b32 v59, v52
.LBB44_57:
	s_or_b32 exec_lo, exec_lo, s1
.LBB44_58:
	s_and_not1_saveexec_b32 s0, s0
	s_cbranch_execz .LBB44_60
; %bb.59:
	v_mov_b32_e32 v60, 2
	ds_store_2addr_b64 v56, v[34:35], v[16:17] offset0:3 offset1:4
	ds_store_2addr_b64 v56, v[14:15], v[6:7] offset0:5 offset1:6
	;; [unrolled: 1-line block ×10, first 2 shown]
.LBB44_60:
	s_or_b32 exec_lo, exec_lo, s0
	s_delay_alu instid0(SALU_CYCLE_1)
	s_mov_b32 s0, exec_lo
	s_wait_storecnt_dscnt 0x0
	s_barrier_signal -1
	s_barrier_wait -1
	v_cmpx_lt_i32_e32 2, v60
	s_cbranch_execz .LBB44_62
; %bb.61:
	v_pk_mul_f32 v[62:63], v[54:55], v[36:37] op_sel:[1,1] op_sel_hi:[0,1]
	s_delay_alu instid0(VALU_DEP_1)
	v_pk_fma_f32 v[52:53], v[54:55], v[36:37], v[62:63] op_sel_hi:[1,0,1] neg_lo:[0,0,1] neg_hi:[0,0,1]
	v_pk_fma_f32 v[54:55], v[54:55], v[36:37], v[62:63] op_sel_hi:[1,0,1]
	ds_load_2addr_b64 v[62:65], v56 offset0:3 offset1:4
	v_dual_mov_b32 v36, v52 :: v_dual_mov_b32 v37, v55
	s_wait_dscnt 0x0
	v_pk_mul_f32 v[66:67], v[62:63], v[54:55] op_sel:[0,1]
	s_delay_alu instid0(VALU_DEP_1) | instskip(SKIP_1) | instid1(VALU_DEP_1)
	v_pk_fma_f32 v[68:69], v[62:63], v[52:53], v[66:67] op_sel:[0,0,1] op_sel_hi:[1,1,0] neg_lo:[0,0,1] neg_hi:[0,0,1]
	v_pk_fma_f32 v[62:63], v[62:63], v[52:53], v[66:67] op_sel:[0,0,1] op_sel_hi:[1,0,0]
	v_mov_b32_e32 v69, v63
	v_pk_mul_f32 v[62:63], v[64:65], v[54:55] op_sel:[0,1]
	s_delay_alu instid0(VALU_DEP_1) | instskip(SKIP_1) | instid1(VALU_DEP_1)
	v_pk_fma_f32 v[66:67], v[64:65], v[52:53], v[62:63] op_sel:[0,0,1] op_sel_hi:[1,1,0] neg_lo:[0,0,1] neg_hi:[0,0,1]
	v_pk_fma_f32 v[62:63], v[64:65], v[52:53], v[62:63] op_sel:[0,0,1] op_sel_hi:[1,0,0]
	v_mov_b32_e32 v67, v63
	ds_load_2addr_b64 v[62:65], v56 offset0:5 offset1:6
	v_pk_add_f32 v[34:35], v[34:35], v[68:69] neg_lo:[0,1] neg_hi:[0,1]
	v_pk_add_f32 v[16:17], v[16:17], v[66:67] neg_lo:[0,1] neg_hi:[0,1]
	s_wait_dscnt 0x0
	v_pk_mul_f32 v[66:67], v[62:63], v[54:55] op_sel:[0,1]
	s_delay_alu instid0(VALU_DEP_1) | instskip(SKIP_2) | instid1(VALU_DEP_2)
	v_pk_fma_f32 v[68:69], v[62:63], v[52:53], v[66:67] op_sel:[0,0,1] op_sel_hi:[1,1,0] neg_lo:[0,0,1] neg_hi:[0,0,1]
	v_pk_fma_f32 v[62:63], v[62:63], v[52:53], v[66:67] op_sel:[0,0,1] op_sel_hi:[1,0,0]
	v_dual_mul_f32 v66, v65, v55 :: v_dual_mov_b32 v62, v65
	v_dual_mov_b32 v69, v63 :: v_dual_mov_b32 v63, v64
	s_delay_alu instid0(VALU_DEP_2) | instskip(SKIP_1) | instid1(VALU_DEP_3)
	v_pk_fma_f32 v[66:67], v[64:65], v[36:37], v[66:67] op_sel_hi:[1,1,0] neg_lo:[0,0,1] neg_hi:[0,0,1]
	v_mul_f32_e32 v64, v65, v52
	v_pk_add_f32 v[14:15], v[14:15], v[68:69] neg_lo:[0,1] neg_hi:[0,1]
	s_delay_alu instid0(VALU_DEP_2) | instskip(NEXT) | instid1(VALU_DEP_1)
	v_pk_fma_f32 v[62:63], v[62:63], v[36:37], v[64:65] op_sel_hi:[1,1,0]
	v_mov_b32_e32 v67, v63
	ds_load_2addr_b64 v[62:65], v56 offset0:7 offset1:8
	v_pk_add_f32 v[6:7], v[6:7], v[66:67] neg_lo:[0,1] neg_hi:[0,1]
	s_wait_dscnt 0x0
	v_pk_mul_f32 v[66:67], v[62:63], v[54:55] op_sel:[0,1]
	s_delay_alu instid0(VALU_DEP_1) | instskip(SKIP_1) | instid1(VALU_DEP_1)
	v_pk_fma_f32 v[68:69], v[62:63], v[52:53], v[66:67] op_sel:[0,0,1] op_sel_hi:[1,1,0] neg_lo:[0,0,1] neg_hi:[0,0,1]
	v_pk_fma_f32 v[62:63], v[62:63], v[52:53], v[66:67] op_sel:[0,0,1] op_sel_hi:[1,0,0]
	v_mov_b32_e32 v69, v63
	v_pk_mul_f32 v[62:63], v[64:65], v[54:55] op_sel:[0,1]
	s_delay_alu instid0(VALU_DEP_1) | instskip(SKIP_1) | instid1(VALU_DEP_1)
	v_pk_fma_f32 v[66:67], v[64:65], v[52:53], v[62:63] op_sel:[0,0,1] op_sel_hi:[1,1,0] neg_lo:[0,0,1] neg_hi:[0,0,1]
	v_pk_fma_f32 v[62:63], v[64:65], v[52:53], v[62:63] op_sel:[0,0,1] op_sel_hi:[1,0,0]
	v_mov_b32_e32 v67, v63
	ds_load_2addr_b64 v[62:65], v56 offset0:9 offset1:10
	v_pk_add_f32 v[4:5], v[4:5], v[68:69] neg_lo:[0,1] neg_hi:[0,1]
	v_pk_add_f32 v[44:45], v[44:45], v[66:67] neg_lo:[0,1] neg_hi:[0,1]
	s_wait_dscnt 0x0
	v_pk_mul_f32 v[66:67], v[62:63], v[54:55] op_sel:[0,1]
	s_delay_alu instid0(VALU_DEP_1) | instskip(SKIP_1) | instid1(VALU_DEP_1)
	v_pk_fma_f32 v[68:69], v[62:63], v[52:53], v[66:67] op_sel:[0,0,1] op_sel_hi:[1,1,0] neg_lo:[0,0,1] neg_hi:[0,0,1]
	v_pk_fma_f32 v[62:63], v[62:63], v[52:53], v[66:67] op_sel:[0,0,1] op_sel_hi:[1,0,0]
	v_mov_b32_e32 v69, v63
	v_pk_mul_f32 v[62:63], v[64:65], v[54:55] op_sel:[0,1]
	s_delay_alu instid0(VALU_DEP_1) | instskip(SKIP_1) | instid1(VALU_DEP_1)
	v_pk_fma_f32 v[66:67], v[64:65], v[52:53], v[62:63] op_sel:[0,0,1] op_sel_hi:[1,1,0] neg_lo:[0,0,1] neg_hi:[0,0,1]
	v_pk_fma_f32 v[62:63], v[64:65], v[52:53], v[62:63] op_sel:[0,0,1] op_sel_hi:[1,0,0]
	v_mov_b32_e32 v67, v63
	ds_load_2addr_b64 v[62:65], v56 offset0:11 offset1:12
	v_pk_add_f32 v[42:43], v[42:43], v[68:69] neg_lo:[0,1] neg_hi:[0,1]
	v_pk_add_f32 v[24:25], v[24:25], v[66:67] neg_lo:[0,1] neg_hi:[0,1]
	s_wait_dscnt 0x0
	v_dual_mul_f32 v66, v63, v55 :: v_dual_mul_f32 v68, v63, v52
	s_delay_alu instid0(VALU_DEP_1) | instskip(NEXT) | instid1(VALU_DEP_2)
	v_pk_fma_f32 v[66:67], v[62:63], v[36:37], v[66:67] op_sel_hi:[1,1,0] neg_lo:[0,0,1] neg_hi:[0,0,1]
	v_pk_fma_f32 v[62:63], v[62:63], v[36:37], v[68:69] op_sel:[1,0,0] op_sel_hi:[0,1,0]
	s_delay_alu instid0(VALU_DEP_1) | instskip(SKIP_1) | instid1(VALU_DEP_2)
	v_mov_b32_e32 v67, v63
	v_pk_mul_f32 v[62:63], v[64:65], v[54:55] op_sel:[0,1]
	v_pk_add_f32 v[22:23], v[22:23], v[66:67] neg_lo:[0,1] neg_hi:[0,1]
	s_delay_alu instid0(VALU_DEP_2) | instskip(SKIP_1) | instid1(VALU_DEP_1)
	v_pk_fma_f32 v[66:67], v[64:65], v[52:53], v[62:63] op_sel:[0,0,1] op_sel_hi:[1,1,0] neg_lo:[0,0,1] neg_hi:[0,0,1]
	v_pk_fma_f32 v[62:63], v[64:65], v[52:53], v[62:63] op_sel:[0,0,1] op_sel_hi:[1,0,0]
	v_mov_b32_e32 v67, v63
	ds_load_2addr_b64 v[62:65], v56 offset0:13 offset1:14
	v_pk_add_f32 v[40:41], v[40:41], v[66:67] neg_lo:[0,1] neg_hi:[0,1]
	s_wait_dscnt 0x0
	v_pk_mul_f32 v[66:67], v[62:63], v[54:55] op_sel:[0,1]
	s_delay_alu instid0(VALU_DEP_1) | instskip(SKIP_1) | instid1(VALU_DEP_1)
	v_pk_fma_f32 v[68:69], v[62:63], v[52:53], v[66:67] op_sel:[0,0,1] op_sel_hi:[1,1,0] neg_lo:[0,0,1] neg_hi:[0,0,1]
	v_pk_fma_f32 v[62:63], v[62:63], v[52:53], v[66:67] op_sel:[0,0,1] op_sel_hi:[1,0,0]
	v_mov_b32_e32 v69, v63
	v_pk_mul_f32 v[62:63], v[64:65], v[54:55] op_sel:[0,1]
	s_delay_alu instid0(VALU_DEP_2) | instskip(NEXT) | instid1(VALU_DEP_2)
	v_pk_add_f32 v[38:39], v[38:39], v[68:69] neg_lo:[0,1] neg_hi:[0,1]
	v_pk_fma_f32 v[66:67], v[64:65], v[52:53], v[62:63] op_sel:[0,0,1] op_sel_hi:[1,1,0] neg_lo:[0,0,1] neg_hi:[0,0,1]
	v_pk_fma_f32 v[62:63], v[64:65], v[52:53], v[62:63] op_sel:[0,0,1] op_sel_hi:[1,0,0]
	s_delay_alu instid0(VALU_DEP_1) | instskip(SKIP_4) | instid1(VALU_DEP_1)
	v_mov_b32_e32 v67, v63
	ds_load_2addr_b64 v[62:65], v56 offset0:15 offset1:16
	v_pk_add_f32 v[12:13], v[12:13], v[66:67] neg_lo:[0,1] neg_hi:[0,1]
	s_wait_dscnt 0x0
	v_pk_mul_f32 v[66:67], v[62:63], v[54:55] op_sel:[0,1]
	v_pk_fma_f32 v[68:69], v[62:63], v[52:53], v[66:67] op_sel:[0,0,1] op_sel_hi:[1,1,0] neg_lo:[0,0,1] neg_hi:[0,0,1]
	v_pk_fma_f32 v[62:63], v[62:63], v[52:53], v[66:67] op_sel:[0,0,1] op_sel_hi:[1,0,0]
	v_dual_mul_f32 v66, v65, v55 :: v_dual_mov_b32 v62, v65
	s_delay_alu instid0(VALU_DEP_2) | instskip(NEXT) | instid1(VALU_DEP_2)
	v_dual_mov_b32 v69, v63 :: v_dual_mov_b32 v63, v64
	v_pk_fma_f32 v[66:67], v[64:65], v[36:37], v[66:67] op_sel_hi:[1,1,0] neg_lo:[0,0,1] neg_hi:[0,0,1]
	v_mul_f32_e32 v64, v65, v52
	s_delay_alu instid0(VALU_DEP_3) | instskip(NEXT) | instid1(VALU_DEP_2)
	v_pk_add_f32 v[10:11], v[10:11], v[68:69] neg_lo:[0,1] neg_hi:[0,1]
	v_pk_fma_f32 v[62:63], v[62:63], v[36:37], v[64:65] op_sel_hi:[1,1,0]
	s_delay_alu instid0(VALU_DEP_1) | instskip(SKIP_4) | instid1(VALU_DEP_1)
	v_mov_b32_e32 v67, v63
	ds_load_2addr_b64 v[62:65], v56 offset0:17 offset1:18
	v_pk_add_f32 v[30:31], v[30:31], v[66:67] neg_lo:[0,1] neg_hi:[0,1]
	s_wait_dscnt 0x0
	v_pk_mul_f32 v[66:67], v[62:63], v[54:55] op_sel:[0,1]
	v_pk_fma_f32 v[68:69], v[62:63], v[52:53], v[66:67] op_sel:[0,0,1] op_sel_hi:[1,1,0] neg_lo:[0,0,1] neg_hi:[0,0,1]
	v_pk_fma_f32 v[62:63], v[62:63], v[52:53], v[66:67] op_sel:[0,0,1] op_sel_hi:[1,0,0]
	s_delay_alu instid0(VALU_DEP_1) | instskip(SKIP_1) | instid1(VALU_DEP_1)
	v_mov_b32_e32 v69, v63
	v_pk_mul_f32 v[62:63], v[64:65], v[54:55] op_sel:[0,1]
	v_pk_fma_f32 v[66:67], v[64:65], v[52:53], v[62:63] op_sel:[0,0,1] op_sel_hi:[1,1,0] neg_lo:[0,0,1] neg_hi:[0,0,1]
	v_pk_fma_f32 v[62:63], v[64:65], v[52:53], v[62:63] op_sel:[0,0,1] op_sel_hi:[1,0,0]
	s_delay_alu instid0(VALU_DEP_1)
	v_mov_b32_e32 v67, v63
	ds_load_2addr_b64 v[62:65], v56 offset0:19 offset1:20
	v_pk_add_f32 v[28:29], v[28:29], v[68:69] neg_lo:[0,1] neg_hi:[0,1]
	v_pk_add_f32 v[8:9], v[8:9], v[66:67] neg_lo:[0,1] neg_hi:[0,1]
	s_wait_dscnt 0x0
	v_pk_mul_f32 v[66:67], v[62:63], v[54:55] op_sel:[0,1]
	s_delay_alu instid0(VALU_DEP_1) | instskip(SKIP_1) | instid1(VALU_DEP_1)
	v_pk_fma_f32 v[68:69], v[62:63], v[52:53], v[66:67] op_sel:[0,0,1] op_sel_hi:[1,1,0] neg_lo:[0,0,1] neg_hi:[0,0,1]
	v_pk_fma_f32 v[62:63], v[62:63], v[52:53], v[66:67] op_sel:[0,0,1] op_sel_hi:[1,0,0]
	v_mov_b32_e32 v69, v63
	v_pk_mul_f32 v[62:63], v[64:65], v[54:55] op_sel:[0,1]
	s_delay_alu instid0(VALU_DEP_1) | instskip(SKIP_1) | instid1(VALU_DEP_1)
	v_pk_fma_f32 v[66:67], v[64:65], v[52:53], v[62:63] op_sel:[0,0,1] op_sel_hi:[1,1,0] neg_lo:[0,0,1] neg_hi:[0,0,1]
	v_pk_fma_f32 v[62:63], v[64:65], v[52:53], v[62:63] op_sel:[0,0,1] op_sel_hi:[1,0,0]
	v_mov_b32_e32 v67, v63
	ds_load_2addr_b64 v[62:65], v56 offset0:21 offset1:22
	v_pk_add_f32 v[26:27], v[26:27], v[68:69] neg_lo:[0,1] neg_hi:[0,1]
	v_pk_add_f32 v[20:21], v[20:21], v[66:67] neg_lo:[0,1] neg_hi:[0,1]
	s_wait_dscnt 0x0
	v_dual_mul_f32 v66, v63, v55 :: v_dual_mul_f32 v68, v63, v52
	v_pk_mul_f32 v[54:55], v[64:65], v[54:55] op_sel:[0,1]
	s_delay_alu instid0(VALU_DEP_2) | instskip(NEXT) | instid1(VALU_DEP_3)
	v_pk_fma_f32 v[66:67], v[62:63], v[36:37], v[66:67] op_sel_hi:[1,1,0] neg_lo:[0,0,1] neg_hi:[0,0,1]
	v_pk_fma_f32 v[62:63], v[62:63], v[36:37], v[68:69] op_sel:[1,0,0] op_sel_hi:[0,1,0]
	s_delay_alu instid0(VALU_DEP_1) | instskip(NEXT) | instid1(VALU_DEP_4)
	v_mov_b32_e32 v67, v63
	v_pk_fma_f32 v[62:63], v[64:65], v[52:53], v[54:55] op_sel:[0,0,1] op_sel_hi:[1,1,0] neg_lo:[0,0,1] neg_hi:[0,0,1]
	v_pk_fma_f32 v[52:53], v[64:65], v[52:53], v[54:55] op_sel:[0,0,1] op_sel_hi:[1,0,0]
	s_delay_alu instid0(VALU_DEP_1) | instskip(NEXT) | instid1(VALU_DEP_4)
	v_mov_b32_e32 v63, v53
	v_pk_add_f32 v[18:19], v[18:19], v[66:67] neg_lo:[0,1] neg_hi:[0,1]
	s_delay_alu instid0(VALU_DEP_2)
	v_pk_add_f32 v[50:51], v[50:51], v[62:63] neg_lo:[0,1] neg_hi:[0,1]
.LBB44_62:
	s_or_b32 exec_lo, exec_lo, s0
	v_lshl_add_u32 v52, v60, 3, v56
	s_barrier_signal -1
	s_barrier_wait -1
	ds_store_b64 v52, v[34:35]
	s_wait_dscnt 0x0
	s_barrier_signal -1
	s_barrier_wait -1
	ds_load_b64 v[54:55], v56 offset:24
	v_mov_b32_e32 v52, 3
	s_cmp_lt_i32 s14, 5
	s_cbranch_scc1 .LBB44_65
; %bb.63:
	v_mov_b32_e32 v52, 3
	v_add3_u32 v53, v57, 0, 32
	s_mov_b32 s0, 4
.LBB44_64:                              ; =>This Inner Loop Header: Depth=1
	ds_load_b64 v[62:63], v53
	s_wait_dscnt 0x1
	v_cmp_gt_f32_e32 vcc_lo, 0, v54
	v_cndmask_b32_e64 v64, v54, -v54, vcc_lo
	v_cmp_gt_f32_e32 vcc_lo, 0, v55
	v_cndmask_b32_e64 v66, v55, -v55, vcc_lo
	s_wait_dscnt 0x0
	v_cmp_gt_f32_e32 vcc_lo, 0, v62
	v_cndmask_b32_e64 v65, v62, -v62, vcc_lo
	v_cmp_gt_f32_e32 vcc_lo, 0, v63
	v_cndmask_b32_e64 v67, v63, -v63, vcc_lo
	s_delay_alu instid0(VALU_DEP_1) | instskip(NEXT) | instid1(VALU_DEP_1)
	v_pk_add_f32 v[64:65], v[64:65], v[66:67]
	v_cmp_lt_f32_e32 vcc_lo, v64, v65
	v_dual_add_nc_u32 v53, 8, v53 :: v_dual_cndmask_b32 v55, v55, v63, vcc_lo
	v_cndmask_b32_e32 v54, v54, v62, vcc_lo
	v_cndmask_b32_e64 v52, v52, s0, vcc_lo
	s_add_co_i32 s0, s0, 1
	s_delay_alu instid0(SALU_CYCLE_1)
	s_cmp_lg_u32 s14, s0
	s_cbranch_scc1 .LBB44_64
.LBB44_65:
	s_wait_dscnt 0x0
	v_cmp_eq_f32_e32 vcc_lo, 0, v54
	v_cmp_eq_f32_e64 s0, 0, v55
	s_and_b32 s0, vcc_lo, s0
	s_delay_alu instid0(SALU_CYCLE_1) | instskip(NEXT) | instid1(SALU_CYCLE_1)
	s_and_saveexec_b32 s1, s0
	s_xor_b32 s0, exec_lo, s1
; %bb.66:
	v_cmp_ne_u32_e32 vcc_lo, 0, v58
	v_cndmask_b32_e32 v58, 4, v58, vcc_lo
; %bb.67:
	s_and_not1_saveexec_b32 s0, s0
	s_cbranch_execz .LBB44_73
; %bb.68:
	v_cmp_ngt_f32_e64 s1, |v54|, |v55|
	s_and_saveexec_b32 s15, s1
	s_delay_alu instid0(SALU_CYCLE_1)
	s_xor_b32 s1, exec_lo, s15
	s_cbranch_execz .LBB44_70
; %bb.69:
	v_div_scale_f32 v53, null, v55, v55, v54
	v_div_scale_f32 v63, vcc_lo, v54, v55, v54
	s_delay_alu instid0(VALU_DEP_2) | instskip(SKIP_1) | instid1(TRANS32_DEP_1)
	v_rcp_f32_e32 v61, v53
	v_nop
	v_fma_f32 v62, -v53, v61, 1.0
	s_delay_alu instid0(VALU_DEP_1) | instskip(NEXT) | instid1(VALU_DEP_1)
	v_fmac_f32_e32 v61, v62, v61
	v_mul_f32_e32 v62, v63, v61
	s_delay_alu instid0(VALU_DEP_1) | instskip(NEXT) | instid1(VALU_DEP_1)
	v_fma_f32 v64, -v53, v62, v63
	v_fmac_f32_e32 v62, v64, v61
	s_delay_alu instid0(VALU_DEP_1) | instskip(NEXT) | instid1(VALU_DEP_1)
	v_fma_f32 v53, -v53, v62, v63
	v_div_fmas_f32 v53, v53, v61, v62
	s_delay_alu instid0(VALU_DEP_1) | instskip(NEXT) | instid1(VALU_DEP_1)
	v_div_fixup_f32 v53, v53, v55, v54
	v_fmac_f32_e32 v55, v54, v53
	s_delay_alu instid0(VALU_DEP_1) | instskip(SKIP_1) | instid1(VALU_DEP_2)
	v_div_scale_f32 v54, null, v55, v55, 1.0
	v_div_scale_f32 v63, vcc_lo, 1.0, v55, 1.0
	v_rcp_f32_e32 v61, v54
	v_nop
	s_delay_alu instid0(TRANS32_DEP_1) | instskip(NEXT) | instid1(VALU_DEP_1)
	v_fma_f32 v62, -v54, v61, 1.0
	v_fmac_f32_e32 v61, v62, v61
	s_delay_alu instid0(VALU_DEP_1) | instskip(NEXT) | instid1(VALU_DEP_1)
	v_mul_f32_e32 v62, v63, v61
	v_fma_f32 v64, -v54, v62, v63
	s_delay_alu instid0(VALU_DEP_1) | instskip(NEXT) | instid1(VALU_DEP_1)
	v_fmac_f32_e32 v62, v64, v61
	v_fma_f32 v54, -v54, v62, v63
	s_delay_alu instid0(VALU_DEP_1) | instskip(NEXT) | instid1(VALU_DEP_1)
	v_div_fmas_f32 v54, v54, v61, v62
	v_div_fixup_f32 v55, v54, v55, 1.0
	s_delay_alu instid0(VALU_DEP_1)
	v_mul_f32_e32 v54, v53, v55
	v_xor_b32_e32 v55, 0x80000000, v55
.LBB44_70:
	s_and_not1_saveexec_b32 s1, s1
	s_cbranch_execz .LBB44_72
; %bb.71:
	s_delay_alu instid0(VALU_DEP_1) | instskip(SKIP_1) | instid1(VALU_DEP_2)
	v_div_scale_f32 v53, null, v54, v54, v55
	v_div_scale_f32 v63, vcc_lo, v55, v54, v55
	v_rcp_f32_e32 v61, v53
	v_nop
	s_delay_alu instid0(TRANS32_DEP_1) | instskip(NEXT) | instid1(VALU_DEP_1)
	v_fma_f32 v62, -v53, v61, 1.0
	v_fmac_f32_e32 v61, v62, v61
	s_delay_alu instid0(VALU_DEP_1) | instskip(NEXT) | instid1(VALU_DEP_1)
	v_mul_f32_e32 v62, v63, v61
	v_fma_f32 v64, -v53, v62, v63
	s_delay_alu instid0(VALU_DEP_1) | instskip(NEXT) | instid1(VALU_DEP_1)
	v_fmac_f32_e32 v62, v64, v61
	v_fma_f32 v53, -v53, v62, v63
	s_delay_alu instid0(VALU_DEP_1) | instskip(NEXT) | instid1(VALU_DEP_1)
	v_div_fmas_f32 v53, v53, v61, v62
	v_div_fixup_f32 v53, v53, v54, v55
	s_delay_alu instid0(VALU_DEP_1) | instskip(NEXT) | instid1(VALU_DEP_1)
	v_fmac_f32_e32 v54, v55, v53
	v_div_scale_f32 v55, null, v54, v54, 1.0
	s_delay_alu instid0(VALU_DEP_1) | instskip(SKIP_1) | instid1(TRANS32_DEP_1)
	v_rcp_f32_e32 v61, v55
	v_nop
	v_fma_f32 v62, -v55, v61, 1.0
	s_delay_alu instid0(VALU_DEP_1) | instskip(SKIP_1) | instid1(VALU_DEP_1)
	v_fmac_f32_e32 v61, v62, v61
	v_div_scale_f32 v62, vcc_lo, 1.0, v54, 1.0
	v_mul_f32_e32 v63, v62, v61
	s_delay_alu instid0(VALU_DEP_1) | instskip(NEXT) | instid1(VALU_DEP_1)
	v_fma_f32 v64, -v55, v63, v62
	v_fmac_f32_e32 v63, v64, v61
	s_delay_alu instid0(VALU_DEP_1) | instskip(NEXT) | instid1(VALU_DEP_1)
	v_fma_f32 v55, -v55, v63, v62
	v_div_fmas_f32 v55, v55, v61, v63
	s_delay_alu instid0(VALU_DEP_1) | instskip(NEXT) | instid1(VALU_DEP_1)
	v_div_fixup_f32 v54, v55, v54, 1.0
	v_mul_f32_e64 v55, v53, -v54
.LBB44_72:
	s_or_b32 exec_lo, exec_lo, s1
.LBB44_73:
	s_delay_alu instid0(SALU_CYCLE_1) | instskip(NEXT) | instid1(SALU_CYCLE_1)
	s_or_b32 exec_lo, exec_lo, s0
	s_mov_b32 s0, exec_lo
	v_cmpx_ne_u32_e64 v60, v52
	s_xor_b32 s0, exec_lo, s0
	s_cbranch_execz .LBB44_79
; %bb.74:
	s_mov_b32 s1, exec_lo
	v_cmpx_eq_u32_e32 3, v60
	s_cbranch_execz .LBB44_78
; %bb.75:
	v_cmp_ne_u32_e32 vcc_lo, 3, v52
	s_xor_b32 s15, s12, -1
	s_delay_alu instid0(SALU_CYCLE_1) | instskip(NEXT) | instid1(SALU_CYCLE_1)
	s_and_b32 s16, s15, vcc_lo
	s_and_saveexec_b32 s15, s16
	s_cbranch_execz .LBB44_77
; %bb.76:
	v_ashrrev_i32_e32 v53, 31, v52
	s_delay_alu instid0(VALU_DEP_1)
	v_lshl_add_u64 v[60:61], v[52:53], 2, v[32:33]
	s_clause 0x1
	global_load_b32 v53, v[60:61], off
	global_load_b32 v59, v[32:33], off offset:12
	s_wait_loadcnt 0x1
	global_store_b32 v[32:33], v53, off offset:12
	s_wait_loadcnt 0x0
	global_store_b32 v[60:61], v59, off
.LBB44_77:
	s_wait_xcnt 0x0
	s_or_b32 exec_lo, exec_lo, s15
	v_dual_mov_b32 v60, v52 :: v_dual_mov_b32 v59, v52
.LBB44_78:
	s_or_b32 exec_lo, exec_lo, s1
.LBB44_79:
	s_and_not1_saveexec_b32 s0, s0
	s_cbranch_execz .LBB44_81
; %bb.80:
	v_dual_mov_b32 v52, v16 :: v_dual_mov_b32 v53, v17
	v_dual_mov_b32 v60, v14 :: v_dual_mov_b32 v61, v15
	;; [unrolled: 1-line block ×8, first 2 shown]
	ds_store_2addr_b64 v56, v[52:53], v[60:61] offset0:4 offset1:5
	ds_store_2addr_b64 v56, v[62:63], v[64:65] offset0:6 offset1:7
	;; [unrolled: 1-line block ×4, first 2 shown]
	v_dual_mov_b32 v52, v40 :: v_dual_mov_b32 v53, v41
	v_dual_mov_b32 v60, v38 :: v_dual_mov_b32 v61, v39
	;; [unrolled: 1-line block ×6, first 2 shown]
	ds_store_2addr_b64 v56, v[52:53], v[60:61] offset0:12 offset1:13
	ds_store_2addr_b64 v56, v[62:63], v[64:65] offset0:14 offset1:15
	v_dual_mov_b32 v60, 3 :: v_dual_mov_b32 v70, v8
	v_dual_mov_b32 v71, v9 :: v_dual_mov_b32 v72, v26
	;; [unrolled: 1-line block ×4, first 2 shown]
	v_mov_b32_e32 v77, v19
	ds_store_2addr_b64 v56, v[66:67], v[68:69] offset0:16 offset1:17
	ds_store_2addr_b64 v56, v[70:71], v[72:73] offset0:18 offset1:19
	;; [unrolled: 1-line block ×3, first 2 shown]
	ds_store_b64 v56, v[50:51] offset:176
.LBB44_81:
	s_or_b32 exec_lo, exec_lo, s0
	s_delay_alu instid0(SALU_CYCLE_1)
	s_mov_b32 s0, exec_lo
	s_wait_storecnt_dscnt 0x0
	s_barrier_signal -1
	s_barrier_wait -1
	v_cmpx_lt_i32_e32 3, v60
	s_cbranch_execz .LBB44_83
; %bb.82:
	v_pk_mul_f32 v[62:63], v[54:55], v[34:35] op_sel:[1,1] op_sel_hi:[0,1]
	s_delay_alu instid0(VALU_DEP_1)
	v_pk_fma_f32 v[52:53], v[54:55], v[34:35], v[62:63] op_sel_hi:[1,0,1] neg_lo:[0,0,1] neg_hi:[0,0,1]
	v_pk_fma_f32 v[54:55], v[54:55], v[34:35], v[62:63] op_sel_hi:[1,0,1]
	ds_load_2addr_b64 v[62:65], v56 offset0:4 offset1:5
	v_dual_mov_b32 v34, v52 :: v_dual_mov_b32 v35, v55
	s_wait_dscnt 0x0
	v_pk_mul_f32 v[66:67], v[62:63], v[54:55] op_sel:[0,1]
	s_delay_alu instid0(VALU_DEP_1) | instskip(SKIP_1) | instid1(VALU_DEP_1)
	v_pk_fma_f32 v[68:69], v[62:63], v[52:53], v[66:67] op_sel:[0,0,1] op_sel_hi:[1,1,0] neg_lo:[0,0,1] neg_hi:[0,0,1]
	v_pk_fma_f32 v[62:63], v[62:63], v[52:53], v[66:67] op_sel:[0,0,1] op_sel_hi:[1,0,0]
	v_mov_b32_e32 v69, v63
	v_pk_mul_f32 v[62:63], v[64:65], v[54:55] op_sel:[0,1]
	s_delay_alu instid0(VALU_DEP_1) | instskip(SKIP_1) | instid1(VALU_DEP_1)
	v_pk_fma_f32 v[66:67], v[64:65], v[52:53], v[62:63] op_sel:[0,0,1] op_sel_hi:[1,1,0] neg_lo:[0,0,1] neg_hi:[0,0,1]
	v_pk_fma_f32 v[62:63], v[64:65], v[52:53], v[62:63] op_sel:[0,0,1] op_sel_hi:[1,0,0]
	v_mov_b32_e32 v67, v63
	ds_load_2addr_b64 v[62:65], v56 offset0:6 offset1:7
	v_pk_add_f32 v[16:17], v[16:17], v[68:69] neg_lo:[0,1] neg_hi:[0,1]
	v_pk_add_f32 v[14:15], v[14:15], v[66:67] neg_lo:[0,1] neg_hi:[0,1]
	s_wait_dscnt 0x0
	v_pk_mul_f32 v[66:67], v[62:63], v[54:55] op_sel:[0,1]
	s_delay_alu instid0(VALU_DEP_1) | instskip(SKIP_2) | instid1(VALU_DEP_2)
	v_pk_fma_f32 v[68:69], v[62:63], v[52:53], v[66:67] op_sel:[0,0,1] op_sel_hi:[1,1,0] neg_lo:[0,0,1] neg_hi:[0,0,1]
	v_pk_fma_f32 v[62:63], v[62:63], v[52:53], v[66:67] op_sel:[0,0,1] op_sel_hi:[1,0,0]
	v_dual_mul_f32 v66, v65, v55 :: v_dual_mov_b32 v62, v65
	v_dual_mov_b32 v69, v63 :: v_dual_mov_b32 v63, v64
	s_delay_alu instid0(VALU_DEP_2) | instskip(SKIP_1) | instid1(VALU_DEP_3)
	v_pk_fma_f32 v[66:67], v[64:65], v[34:35], v[66:67] op_sel_hi:[1,1,0] neg_lo:[0,0,1] neg_hi:[0,0,1]
	v_mul_f32_e32 v64, v65, v52
	v_pk_add_f32 v[6:7], v[6:7], v[68:69] neg_lo:[0,1] neg_hi:[0,1]
	s_delay_alu instid0(VALU_DEP_2) | instskip(NEXT) | instid1(VALU_DEP_1)
	v_pk_fma_f32 v[62:63], v[62:63], v[34:35], v[64:65] op_sel_hi:[1,1,0]
	v_mov_b32_e32 v67, v63
	ds_load_2addr_b64 v[62:65], v56 offset0:8 offset1:9
	v_pk_add_f32 v[4:5], v[4:5], v[66:67] neg_lo:[0,1] neg_hi:[0,1]
	s_wait_dscnt 0x0
	v_pk_mul_f32 v[66:67], v[62:63], v[54:55] op_sel:[0,1]
	s_delay_alu instid0(VALU_DEP_1) | instskip(SKIP_1) | instid1(VALU_DEP_1)
	v_pk_fma_f32 v[68:69], v[62:63], v[52:53], v[66:67] op_sel:[0,0,1] op_sel_hi:[1,1,0] neg_lo:[0,0,1] neg_hi:[0,0,1]
	v_pk_fma_f32 v[62:63], v[62:63], v[52:53], v[66:67] op_sel:[0,0,1] op_sel_hi:[1,0,0]
	v_mov_b32_e32 v69, v63
	v_pk_mul_f32 v[62:63], v[64:65], v[54:55] op_sel:[0,1]
	s_delay_alu instid0(VALU_DEP_1) | instskip(SKIP_1) | instid1(VALU_DEP_1)
	v_pk_fma_f32 v[66:67], v[64:65], v[52:53], v[62:63] op_sel:[0,0,1] op_sel_hi:[1,1,0] neg_lo:[0,0,1] neg_hi:[0,0,1]
	v_pk_fma_f32 v[62:63], v[64:65], v[52:53], v[62:63] op_sel:[0,0,1] op_sel_hi:[1,0,0]
	v_mov_b32_e32 v67, v63
	ds_load_2addr_b64 v[62:65], v56 offset0:10 offset1:11
	v_pk_add_f32 v[44:45], v[44:45], v[68:69] neg_lo:[0,1] neg_hi:[0,1]
	v_pk_add_f32 v[42:43], v[42:43], v[66:67] neg_lo:[0,1] neg_hi:[0,1]
	s_wait_dscnt 0x0
	v_pk_mul_f32 v[66:67], v[62:63], v[54:55] op_sel:[0,1]
	s_delay_alu instid0(VALU_DEP_1) | instskip(SKIP_1) | instid1(VALU_DEP_1)
	v_pk_fma_f32 v[68:69], v[62:63], v[52:53], v[66:67] op_sel:[0,0,1] op_sel_hi:[1,1,0] neg_lo:[0,0,1] neg_hi:[0,0,1]
	v_pk_fma_f32 v[62:63], v[62:63], v[52:53], v[66:67] op_sel:[0,0,1] op_sel_hi:[1,0,0]
	v_mov_b32_e32 v69, v63
	v_pk_mul_f32 v[62:63], v[64:65], v[54:55] op_sel:[0,1]
	s_delay_alu instid0(VALU_DEP_1) | instskip(SKIP_1) | instid1(VALU_DEP_1)
	v_pk_fma_f32 v[66:67], v[64:65], v[52:53], v[62:63] op_sel:[0,0,1] op_sel_hi:[1,1,0] neg_lo:[0,0,1] neg_hi:[0,0,1]
	v_pk_fma_f32 v[62:63], v[64:65], v[52:53], v[62:63] op_sel:[0,0,1] op_sel_hi:[1,0,0]
	v_mov_b32_e32 v67, v63
	ds_load_2addr_b64 v[62:65], v56 offset0:12 offset1:13
	v_pk_add_f32 v[24:25], v[24:25], v[68:69] neg_lo:[0,1] neg_hi:[0,1]
	v_pk_add_f32 v[22:23], v[22:23], v[66:67] neg_lo:[0,1] neg_hi:[0,1]
	s_wait_dscnt 0x0
	v_dual_mul_f32 v66, v63, v55 :: v_dual_mul_f32 v68, v63, v52
	s_delay_alu instid0(VALU_DEP_1) | instskip(NEXT) | instid1(VALU_DEP_2)
	v_pk_fma_f32 v[66:67], v[62:63], v[34:35], v[66:67] op_sel_hi:[1,1,0] neg_lo:[0,0,1] neg_hi:[0,0,1]
	v_pk_fma_f32 v[62:63], v[62:63], v[34:35], v[68:69] op_sel:[1,0,0] op_sel_hi:[0,1,0]
	s_delay_alu instid0(VALU_DEP_1) | instskip(SKIP_1) | instid1(VALU_DEP_2)
	v_mov_b32_e32 v67, v63
	v_pk_mul_f32 v[62:63], v[64:65], v[54:55] op_sel:[0,1]
	v_pk_add_f32 v[40:41], v[40:41], v[66:67] neg_lo:[0,1] neg_hi:[0,1]
	s_delay_alu instid0(VALU_DEP_2) | instskip(SKIP_1) | instid1(VALU_DEP_1)
	v_pk_fma_f32 v[66:67], v[64:65], v[52:53], v[62:63] op_sel:[0,0,1] op_sel_hi:[1,1,0] neg_lo:[0,0,1] neg_hi:[0,0,1]
	v_pk_fma_f32 v[62:63], v[64:65], v[52:53], v[62:63] op_sel:[0,0,1] op_sel_hi:[1,0,0]
	v_mov_b32_e32 v67, v63
	ds_load_2addr_b64 v[62:65], v56 offset0:14 offset1:15
	v_pk_add_f32 v[38:39], v[38:39], v[66:67] neg_lo:[0,1] neg_hi:[0,1]
	s_wait_dscnt 0x0
	v_pk_mul_f32 v[66:67], v[62:63], v[54:55] op_sel:[0,1]
	s_delay_alu instid0(VALU_DEP_1) | instskip(SKIP_1) | instid1(VALU_DEP_1)
	v_pk_fma_f32 v[68:69], v[62:63], v[52:53], v[66:67] op_sel:[0,0,1] op_sel_hi:[1,1,0] neg_lo:[0,0,1] neg_hi:[0,0,1]
	v_pk_fma_f32 v[62:63], v[62:63], v[52:53], v[66:67] op_sel:[0,0,1] op_sel_hi:[1,0,0]
	v_mov_b32_e32 v69, v63
	v_pk_mul_f32 v[62:63], v[64:65], v[54:55] op_sel:[0,1]
	s_delay_alu instid0(VALU_DEP_2) | instskip(NEXT) | instid1(VALU_DEP_2)
	v_pk_add_f32 v[12:13], v[12:13], v[68:69] neg_lo:[0,1] neg_hi:[0,1]
	v_pk_fma_f32 v[66:67], v[64:65], v[52:53], v[62:63] op_sel:[0,0,1] op_sel_hi:[1,1,0] neg_lo:[0,0,1] neg_hi:[0,0,1]
	v_pk_fma_f32 v[62:63], v[64:65], v[52:53], v[62:63] op_sel:[0,0,1] op_sel_hi:[1,0,0]
	s_delay_alu instid0(VALU_DEP_1) | instskip(SKIP_4) | instid1(VALU_DEP_1)
	v_mov_b32_e32 v67, v63
	ds_load_2addr_b64 v[62:65], v56 offset0:16 offset1:17
	v_pk_add_f32 v[10:11], v[10:11], v[66:67] neg_lo:[0,1] neg_hi:[0,1]
	s_wait_dscnt 0x0
	v_pk_mul_f32 v[66:67], v[62:63], v[54:55] op_sel:[0,1]
	v_pk_fma_f32 v[68:69], v[62:63], v[52:53], v[66:67] op_sel:[0,0,1] op_sel_hi:[1,1,0] neg_lo:[0,0,1] neg_hi:[0,0,1]
	v_pk_fma_f32 v[62:63], v[62:63], v[52:53], v[66:67] op_sel:[0,0,1] op_sel_hi:[1,0,0]
	v_dual_mul_f32 v66, v65, v55 :: v_dual_mov_b32 v62, v65
	s_delay_alu instid0(VALU_DEP_2) | instskip(NEXT) | instid1(VALU_DEP_2)
	v_dual_mov_b32 v69, v63 :: v_dual_mov_b32 v63, v64
	v_pk_fma_f32 v[66:67], v[64:65], v[34:35], v[66:67] op_sel_hi:[1,1,0] neg_lo:[0,0,1] neg_hi:[0,0,1]
	v_mul_f32_e32 v64, v65, v52
	s_delay_alu instid0(VALU_DEP_3) | instskip(NEXT) | instid1(VALU_DEP_2)
	v_pk_add_f32 v[30:31], v[30:31], v[68:69] neg_lo:[0,1] neg_hi:[0,1]
	v_pk_fma_f32 v[62:63], v[62:63], v[34:35], v[64:65] op_sel_hi:[1,1,0]
	s_delay_alu instid0(VALU_DEP_1) | instskip(SKIP_4) | instid1(VALU_DEP_1)
	v_mov_b32_e32 v67, v63
	ds_load_2addr_b64 v[62:65], v56 offset0:18 offset1:19
	v_pk_add_f32 v[28:29], v[28:29], v[66:67] neg_lo:[0,1] neg_hi:[0,1]
	s_wait_dscnt 0x0
	v_pk_mul_f32 v[66:67], v[62:63], v[54:55] op_sel:[0,1]
	v_pk_fma_f32 v[68:69], v[62:63], v[52:53], v[66:67] op_sel:[0,0,1] op_sel_hi:[1,1,0] neg_lo:[0,0,1] neg_hi:[0,0,1]
	v_pk_fma_f32 v[62:63], v[62:63], v[52:53], v[66:67] op_sel:[0,0,1] op_sel_hi:[1,0,0]
	s_delay_alu instid0(VALU_DEP_1) | instskip(SKIP_1) | instid1(VALU_DEP_1)
	v_mov_b32_e32 v69, v63
	v_pk_mul_f32 v[62:63], v[64:65], v[54:55] op_sel:[0,1]
	v_pk_fma_f32 v[66:67], v[64:65], v[52:53], v[62:63] op_sel:[0,0,1] op_sel_hi:[1,1,0] neg_lo:[0,0,1] neg_hi:[0,0,1]
	v_pk_fma_f32 v[62:63], v[64:65], v[52:53], v[62:63] op_sel:[0,0,1] op_sel_hi:[1,0,0]
	s_delay_alu instid0(VALU_DEP_1)
	v_mov_b32_e32 v67, v63
	ds_load_2addr_b64 v[62:65], v56 offset0:20 offset1:21
	v_pk_add_f32 v[8:9], v[8:9], v[68:69] neg_lo:[0,1] neg_hi:[0,1]
	v_pk_add_f32 v[26:27], v[26:27], v[66:67] neg_lo:[0,1] neg_hi:[0,1]
	s_wait_dscnt 0x0
	v_pk_mul_f32 v[66:67], v[62:63], v[54:55] op_sel:[0,1]
	s_delay_alu instid0(VALU_DEP_1) | instskip(SKIP_1) | instid1(VALU_DEP_1)
	v_pk_fma_f32 v[68:69], v[62:63], v[52:53], v[66:67] op_sel:[0,0,1] op_sel_hi:[1,1,0] neg_lo:[0,0,1] neg_hi:[0,0,1]
	v_pk_fma_f32 v[62:63], v[62:63], v[52:53], v[66:67] op_sel:[0,0,1] op_sel_hi:[1,0,0]
	v_mov_b32_e32 v69, v63
	v_pk_mul_f32 v[62:63], v[64:65], v[54:55] op_sel:[0,1]
	s_delay_alu instid0(VALU_DEP_1) | instskip(SKIP_1) | instid1(VALU_DEP_1)
	v_pk_fma_f32 v[66:67], v[64:65], v[52:53], v[62:63] op_sel:[0,0,1] op_sel_hi:[1,1,0] neg_lo:[0,0,1] neg_hi:[0,0,1]
	v_pk_fma_f32 v[62:63], v[64:65], v[52:53], v[62:63] op_sel:[0,0,1] op_sel_hi:[1,0,0]
	v_mov_b32_e32 v67, v63
	ds_load_b64 v[62:63], v56 offset:176
	v_pk_add_f32 v[20:21], v[20:21], v[68:69] neg_lo:[0,1] neg_hi:[0,1]
	v_pk_add_f32 v[18:19], v[18:19], v[66:67] neg_lo:[0,1] neg_hi:[0,1]
	s_wait_dscnt 0x0
	v_pk_mul_f32 v[54:55], v[62:63], v[54:55] op_sel:[0,1]
	s_delay_alu instid0(VALU_DEP_1) | instskip(SKIP_1) | instid1(VALU_DEP_1)
	v_pk_fma_f32 v[64:65], v[62:63], v[52:53], v[54:55] op_sel:[0,0,1] op_sel_hi:[1,1,0] neg_lo:[0,0,1] neg_hi:[0,0,1]
	v_pk_fma_f32 v[52:53], v[62:63], v[52:53], v[54:55] op_sel:[0,0,1] op_sel_hi:[1,0,0]
	v_mov_b32_e32 v65, v53
	s_delay_alu instid0(VALU_DEP_1)
	v_pk_add_f32 v[50:51], v[50:51], v[64:65] neg_lo:[0,1] neg_hi:[0,1]
.LBB44_83:
	s_or_b32 exec_lo, exec_lo, s0
	v_lshl_add_u32 v52, v60, 3, v56
	s_barrier_signal -1
	s_barrier_wait -1
	ds_store_b64 v52, v[16:17]
	s_wait_dscnt 0x0
	s_barrier_signal -1
	s_barrier_wait -1
	ds_load_b64 v[54:55], v56 offset:32
	v_mov_b32_e32 v52, 4
	s_cmp_lt_i32 s14, 6
	s_cbranch_scc1 .LBB44_86
; %bb.84:
	v_add3_u32 v53, v57, 0, 40
	v_mov_b32_e32 v52, 4
	s_mov_b32 s0, 5
.LBB44_85:                              ; =>This Inner Loop Header: Depth=1
	ds_load_b64 v[62:63], v53
	s_wait_dscnt 0x1
	v_cmp_gt_f32_e32 vcc_lo, 0, v54
	v_cndmask_b32_e64 v64, v54, -v54, vcc_lo
	v_cmp_gt_f32_e32 vcc_lo, 0, v55
	v_cndmask_b32_e64 v66, v55, -v55, vcc_lo
	s_wait_dscnt 0x0
	v_cmp_gt_f32_e32 vcc_lo, 0, v62
	v_cndmask_b32_e64 v65, v62, -v62, vcc_lo
	v_cmp_gt_f32_e32 vcc_lo, 0, v63
	v_cndmask_b32_e64 v67, v63, -v63, vcc_lo
	s_delay_alu instid0(VALU_DEP_1) | instskip(NEXT) | instid1(VALU_DEP_1)
	v_pk_add_f32 v[64:65], v[64:65], v[66:67]
	v_cmp_lt_f32_e32 vcc_lo, v64, v65
	v_dual_add_nc_u32 v53, 8, v53 :: v_dual_cndmask_b32 v55, v55, v63, vcc_lo
	v_cndmask_b32_e32 v54, v54, v62, vcc_lo
	v_cndmask_b32_e64 v52, v52, s0, vcc_lo
	s_add_co_i32 s0, s0, 1
	s_delay_alu instid0(SALU_CYCLE_1)
	s_cmp_lg_u32 s14, s0
	s_cbranch_scc1 .LBB44_85
.LBB44_86:
	s_wait_dscnt 0x0
	v_cmp_eq_f32_e32 vcc_lo, 0, v54
	v_cmp_eq_f32_e64 s0, 0, v55
	s_and_b32 s0, vcc_lo, s0
	s_delay_alu instid0(SALU_CYCLE_1) | instskip(NEXT) | instid1(SALU_CYCLE_1)
	s_and_saveexec_b32 s1, s0
	s_xor_b32 s0, exec_lo, s1
; %bb.87:
	v_cmp_ne_u32_e32 vcc_lo, 0, v58
	v_cndmask_b32_e32 v58, 5, v58, vcc_lo
; %bb.88:
	s_and_not1_saveexec_b32 s0, s0
	s_cbranch_execz .LBB44_94
; %bb.89:
	v_cmp_ngt_f32_e64 s1, |v54|, |v55|
	s_and_saveexec_b32 s15, s1
	s_delay_alu instid0(SALU_CYCLE_1)
	s_xor_b32 s1, exec_lo, s15
	s_cbranch_execz .LBB44_91
; %bb.90:
	v_div_scale_f32 v53, null, v55, v55, v54
	v_div_scale_f32 v63, vcc_lo, v54, v55, v54
	s_delay_alu instid0(VALU_DEP_2) | instskip(SKIP_1) | instid1(TRANS32_DEP_1)
	v_rcp_f32_e32 v61, v53
	v_nop
	v_fma_f32 v62, -v53, v61, 1.0
	s_delay_alu instid0(VALU_DEP_1) | instskip(NEXT) | instid1(VALU_DEP_1)
	v_fmac_f32_e32 v61, v62, v61
	v_mul_f32_e32 v62, v63, v61
	s_delay_alu instid0(VALU_DEP_1) | instskip(NEXT) | instid1(VALU_DEP_1)
	v_fma_f32 v64, -v53, v62, v63
	v_fmac_f32_e32 v62, v64, v61
	s_delay_alu instid0(VALU_DEP_1) | instskip(NEXT) | instid1(VALU_DEP_1)
	v_fma_f32 v53, -v53, v62, v63
	v_div_fmas_f32 v53, v53, v61, v62
	s_delay_alu instid0(VALU_DEP_1) | instskip(NEXT) | instid1(VALU_DEP_1)
	v_div_fixup_f32 v53, v53, v55, v54
	v_fmac_f32_e32 v55, v54, v53
	s_delay_alu instid0(VALU_DEP_1) | instskip(SKIP_1) | instid1(VALU_DEP_2)
	v_div_scale_f32 v54, null, v55, v55, 1.0
	v_div_scale_f32 v63, vcc_lo, 1.0, v55, 1.0
	v_rcp_f32_e32 v61, v54
	v_nop
	s_delay_alu instid0(TRANS32_DEP_1) | instskip(NEXT) | instid1(VALU_DEP_1)
	v_fma_f32 v62, -v54, v61, 1.0
	v_fmac_f32_e32 v61, v62, v61
	s_delay_alu instid0(VALU_DEP_1) | instskip(NEXT) | instid1(VALU_DEP_1)
	v_mul_f32_e32 v62, v63, v61
	v_fma_f32 v64, -v54, v62, v63
	s_delay_alu instid0(VALU_DEP_1) | instskip(NEXT) | instid1(VALU_DEP_1)
	v_fmac_f32_e32 v62, v64, v61
	v_fma_f32 v54, -v54, v62, v63
	s_delay_alu instid0(VALU_DEP_1) | instskip(NEXT) | instid1(VALU_DEP_1)
	v_div_fmas_f32 v54, v54, v61, v62
	v_div_fixup_f32 v55, v54, v55, 1.0
	s_delay_alu instid0(VALU_DEP_1)
	v_mul_f32_e32 v54, v53, v55
	v_xor_b32_e32 v55, 0x80000000, v55
.LBB44_91:
	s_and_not1_saveexec_b32 s1, s1
	s_cbranch_execz .LBB44_93
; %bb.92:
	s_delay_alu instid0(VALU_DEP_1) | instskip(SKIP_1) | instid1(VALU_DEP_2)
	v_div_scale_f32 v53, null, v54, v54, v55
	v_div_scale_f32 v63, vcc_lo, v55, v54, v55
	v_rcp_f32_e32 v61, v53
	v_nop
	s_delay_alu instid0(TRANS32_DEP_1) | instskip(NEXT) | instid1(VALU_DEP_1)
	v_fma_f32 v62, -v53, v61, 1.0
	v_fmac_f32_e32 v61, v62, v61
	s_delay_alu instid0(VALU_DEP_1) | instskip(NEXT) | instid1(VALU_DEP_1)
	v_mul_f32_e32 v62, v63, v61
	v_fma_f32 v64, -v53, v62, v63
	s_delay_alu instid0(VALU_DEP_1) | instskip(NEXT) | instid1(VALU_DEP_1)
	v_fmac_f32_e32 v62, v64, v61
	v_fma_f32 v53, -v53, v62, v63
	s_delay_alu instid0(VALU_DEP_1) | instskip(NEXT) | instid1(VALU_DEP_1)
	v_div_fmas_f32 v53, v53, v61, v62
	v_div_fixup_f32 v53, v53, v54, v55
	s_delay_alu instid0(VALU_DEP_1) | instskip(NEXT) | instid1(VALU_DEP_1)
	v_fmac_f32_e32 v54, v55, v53
	v_div_scale_f32 v55, null, v54, v54, 1.0
	s_delay_alu instid0(VALU_DEP_1) | instskip(SKIP_1) | instid1(TRANS32_DEP_1)
	v_rcp_f32_e32 v61, v55
	v_nop
	v_fma_f32 v62, -v55, v61, 1.0
	s_delay_alu instid0(VALU_DEP_1) | instskip(SKIP_1) | instid1(VALU_DEP_1)
	v_fmac_f32_e32 v61, v62, v61
	v_div_scale_f32 v62, vcc_lo, 1.0, v54, 1.0
	v_mul_f32_e32 v63, v62, v61
	s_delay_alu instid0(VALU_DEP_1) | instskip(NEXT) | instid1(VALU_DEP_1)
	v_fma_f32 v64, -v55, v63, v62
	v_fmac_f32_e32 v63, v64, v61
	s_delay_alu instid0(VALU_DEP_1) | instskip(NEXT) | instid1(VALU_DEP_1)
	v_fma_f32 v55, -v55, v63, v62
	v_div_fmas_f32 v55, v55, v61, v63
	s_delay_alu instid0(VALU_DEP_1) | instskip(NEXT) | instid1(VALU_DEP_1)
	v_div_fixup_f32 v54, v55, v54, 1.0
	v_mul_f32_e64 v55, v53, -v54
.LBB44_93:
	s_or_b32 exec_lo, exec_lo, s1
.LBB44_94:
	s_delay_alu instid0(SALU_CYCLE_1) | instskip(NEXT) | instid1(SALU_CYCLE_1)
	s_or_b32 exec_lo, exec_lo, s0
	s_mov_b32 s0, exec_lo
	v_cmpx_ne_u32_e64 v60, v52
	s_xor_b32 s0, exec_lo, s0
	s_cbranch_execz .LBB44_100
; %bb.95:
	s_mov_b32 s1, exec_lo
	v_cmpx_eq_u32_e32 4, v60
	s_cbranch_execz .LBB44_99
; %bb.96:
	v_cmp_ne_u32_e32 vcc_lo, 4, v52
	s_xor_b32 s15, s12, -1
	s_delay_alu instid0(SALU_CYCLE_1) | instskip(NEXT) | instid1(SALU_CYCLE_1)
	s_and_b32 s16, s15, vcc_lo
	s_and_saveexec_b32 s15, s16
	s_cbranch_execz .LBB44_98
; %bb.97:
	v_ashrrev_i32_e32 v53, 31, v52
	s_delay_alu instid0(VALU_DEP_1)
	v_lshl_add_u64 v[60:61], v[52:53], 2, v[32:33]
	s_clause 0x1
	global_load_b32 v53, v[60:61], off
	global_load_b32 v59, v[32:33], off offset:16
	s_wait_loadcnt 0x1
	global_store_b32 v[32:33], v53, off offset:16
	s_wait_loadcnt 0x0
	global_store_b32 v[60:61], v59, off
.LBB44_98:
	s_wait_xcnt 0x0
	s_or_b32 exec_lo, exec_lo, s15
	v_dual_mov_b32 v60, v52 :: v_dual_mov_b32 v59, v52
.LBB44_99:
	s_or_b32 exec_lo, exec_lo, s1
.LBB44_100:
	s_and_not1_saveexec_b32 s0, s0
	s_cbranch_execz .LBB44_102
; %bb.101:
	v_mov_b32_e32 v60, 4
	ds_store_2addr_b64 v56, v[14:15], v[6:7] offset0:5 offset1:6
	ds_store_2addr_b64 v56, v[4:5], v[44:45] offset0:7 offset1:8
	;; [unrolled: 1-line block ×9, first 2 shown]
.LBB44_102:
	s_or_b32 exec_lo, exec_lo, s0
	s_delay_alu instid0(SALU_CYCLE_1)
	s_mov_b32 s0, exec_lo
	s_wait_storecnt_dscnt 0x0
	s_barrier_signal -1
	s_barrier_wait -1
	v_cmpx_lt_i32_e32 4, v60
	s_cbranch_execz .LBB44_104
; %bb.103:
	v_pk_mul_f32 v[62:63], v[54:55], v[16:17] op_sel:[1,1] op_sel_hi:[0,1]
	s_delay_alu instid0(VALU_DEP_1)
	v_pk_fma_f32 v[52:53], v[54:55], v[16:17], v[62:63] op_sel_hi:[1,0,1] neg_lo:[0,0,1] neg_hi:[0,0,1]
	v_pk_fma_f32 v[54:55], v[54:55], v[16:17], v[62:63] op_sel_hi:[1,0,1]
	ds_load_2addr_b64 v[62:65], v56 offset0:5 offset1:6
	v_dual_mov_b32 v16, v52 :: v_dual_mov_b32 v17, v55
	s_wait_dscnt 0x0
	v_pk_mul_f32 v[66:67], v[62:63], v[54:55] op_sel:[0,1]
	s_delay_alu instid0(VALU_DEP_1) | instskip(SKIP_1) | instid1(VALU_DEP_1)
	v_pk_fma_f32 v[68:69], v[62:63], v[52:53], v[66:67] op_sel:[0,0,1] op_sel_hi:[1,1,0] neg_lo:[0,0,1] neg_hi:[0,0,1]
	v_pk_fma_f32 v[62:63], v[62:63], v[52:53], v[66:67] op_sel:[0,0,1] op_sel_hi:[1,0,0]
	v_mov_b32_e32 v69, v63
	v_pk_mul_f32 v[62:63], v[64:65], v[54:55] op_sel:[0,1]
	s_delay_alu instid0(VALU_DEP_1) | instskip(SKIP_1) | instid1(VALU_DEP_1)
	v_pk_fma_f32 v[66:67], v[64:65], v[52:53], v[62:63] op_sel:[0,0,1] op_sel_hi:[1,1,0] neg_lo:[0,0,1] neg_hi:[0,0,1]
	v_pk_fma_f32 v[62:63], v[64:65], v[52:53], v[62:63] op_sel:[0,0,1] op_sel_hi:[1,0,0]
	v_mov_b32_e32 v67, v63
	ds_load_2addr_b64 v[62:65], v56 offset0:7 offset1:8
	v_pk_add_f32 v[14:15], v[14:15], v[68:69] neg_lo:[0,1] neg_hi:[0,1]
	v_pk_add_f32 v[6:7], v[6:7], v[66:67] neg_lo:[0,1] neg_hi:[0,1]
	s_wait_dscnt 0x0
	v_pk_mul_f32 v[66:67], v[62:63], v[54:55] op_sel:[0,1]
	s_delay_alu instid0(VALU_DEP_1) | instskip(SKIP_2) | instid1(VALU_DEP_2)
	v_pk_fma_f32 v[68:69], v[62:63], v[52:53], v[66:67] op_sel:[0,0,1] op_sel_hi:[1,1,0] neg_lo:[0,0,1] neg_hi:[0,0,1]
	v_pk_fma_f32 v[62:63], v[62:63], v[52:53], v[66:67] op_sel:[0,0,1] op_sel_hi:[1,0,0]
	v_dual_mul_f32 v66, v65, v55 :: v_dual_mov_b32 v62, v65
	v_dual_mov_b32 v69, v63 :: v_dual_mov_b32 v63, v64
	s_delay_alu instid0(VALU_DEP_2) | instskip(SKIP_1) | instid1(VALU_DEP_3)
	v_pk_fma_f32 v[66:67], v[64:65], v[16:17], v[66:67] op_sel_hi:[1,1,0] neg_lo:[0,0,1] neg_hi:[0,0,1]
	v_mul_f32_e32 v64, v65, v52
	v_pk_add_f32 v[4:5], v[4:5], v[68:69] neg_lo:[0,1] neg_hi:[0,1]
	s_delay_alu instid0(VALU_DEP_2) | instskip(NEXT) | instid1(VALU_DEP_1)
	v_pk_fma_f32 v[62:63], v[62:63], v[16:17], v[64:65] op_sel_hi:[1,1,0]
	v_mov_b32_e32 v67, v63
	ds_load_2addr_b64 v[62:65], v56 offset0:9 offset1:10
	v_pk_add_f32 v[44:45], v[44:45], v[66:67] neg_lo:[0,1] neg_hi:[0,1]
	s_wait_dscnt 0x0
	v_pk_mul_f32 v[66:67], v[62:63], v[54:55] op_sel:[0,1]
	s_delay_alu instid0(VALU_DEP_1) | instskip(SKIP_1) | instid1(VALU_DEP_1)
	v_pk_fma_f32 v[68:69], v[62:63], v[52:53], v[66:67] op_sel:[0,0,1] op_sel_hi:[1,1,0] neg_lo:[0,0,1] neg_hi:[0,0,1]
	v_pk_fma_f32 v[62:63], v[62:63], v[52:53], v[66:67] op_sel:[0,0,1] op_sel_hi:[1,0,0]
	v_mov_b32_e32 v69, v63
	v_pk_mul_f32 v[62:63], v[64:65], v[54:55] op_sel:[0,1]
	s_delay_alu instid0(VALU_DEP_1) | instskip(SKIP_1) | instid1(VALU_DEP_1)
	v_pk_fma_f32 v[66:67], v[64:65], v[52:53], v[62:63] op_sel:[0,0,1] op_sel_hi:[1,1,0] neg_lo:[0,0,1] neg_hi:[0,0,1]
	v_pk_fma_f32 v[62:63], v[64:65], v[52:53], v[62:63] op_sel:[0,0,1] op_sel_hi:[1,0,0]
	v_mov_b32_e32 v67, v63
	ds_load_2addr_b64 v[62:65], v56 offset0:11 offset1:12
	v_pk_add_f32 v[42:43], v[42:43], v[68:69] neg_lo:[0,1] neg_hi:[0,1]
	v_pk_add_f32 v[24:25], v[24:25], v[66:67] neg_lo:[0,1] neg_hi:[0,1]
	s_wait_dscnt 0x0
	v_pk_mul_f32 v[66:67], v[62:63], v[54:55] op_sel:[0,1]
	s_delay_alu instid0(VALU_DEP_1) | instskip(SKIP_1) | instid1(VALU_DEP_1)
	v_pk_fma_f32 v[68:69], v[62:63], v[52:53], v[66:67] op_sel:[0,0,1] op_sel_hi:[1,1,0] neg_lo:[0,0,1] neg_hi:[0,0,1]
	v_pk_fma_f32 v[62:63], v[62:63], v[52:53], v[66:67] op_sel:[0,0,1] op_sel_hi:[1,0,0]
	v_mov_b32_e32 v69, v63
	v_pk_mul_f32 v[62:63], v[64:65], v[54:55] op_sel:[0,1]
	s_delay_alu instid0(VALU_DEP_1) | instskip(SKIP_1) | instid1(VALU_DEP_1)
	v_pk_fma_f32 v[66:67], v[64:65], v[52:53], v[62:63] op_sel:[0,0,1] op_sel_hi:[1,1,0] neg_lo:[0,0,1] neg_hi:[0,0,1]
	v_pk_fma_f32 v[62:63], v[64:65], v[52:53], v[62:63] op_sel:[0,0,1] op_sel_hi:[1,0,0]
	v_mov_b32_e32 v67, v63
	ds_load_2addr_b64 v[62:65], v56 offset0:13 offset1:14
	v_pk_add_f32 v[22:23], v[22:23], v[68:69] neg_lo:[0,1] neg_hi:[0,1]
	v_pk_add_f32 v[40:41], v[40:41], v[66:67] neg_lo:[0,1] neg_hi:[0,1]
	s_wait_dscnt 0x0
	v_dual_mul_f32 v66, v63, v55 :: v_dual_mul_f32 v68, v63, v52
	s_delay_alu instid0(VALU_DEP_1) | instskip(NEXT) | instid1(VALU_DEP_2)
	v_pk_fma_f32 v[66:67], v[62:63], v[16:17], v[66:67] op_sel_hi:[1,1,0] neg_lo:[0,0,1] neg_hi:[0,0,1]
	v_pk_fma_f32 v[62:63], v[62:63], v[16:17], v[68:69] op_sel:[1,0,0] op_sel_hi:[0,1,0]
	s_delay_alu instid0(VALU_DEP_1) | instskip(SKIP_1) | instid1(VALU_DEP_2)
	v_mov_b32_e32 v67, v63
	v_pk_mul_f32 v[62:63], v[64:65], v[54:55] op_sel:[0,1]
	v_pk_add_f32 v[38:39], v[38:39], v[66:67] neg_lo:[0,1] neg_hi:[0,1]
	s_delay_alu instid0(VALU_DEP_2) | instskip(SKIP_1) | instid1(VALU_DEP_1)
	v_pk_fma_f32 v[66:67], v[64:65], v[52:53], v[62:63] op_sel:[0,0,1] op_sel_hi:[1,1,0] neg_lo:[0,0,1] neg_hi:[0,0,1]
	v_pk_fma_f32 v[62:63], v[64:65], v[52:53], v[62:63] op_sel:[0,0,1] op_sel_hi:[1,0,0]
	v_mov_b32_e32 v67, v63
	ds_load_2addr_b64 v[62:65], v56 offset0:15 offset1:16
	v_pk_add_f32 v[12:13], v[12:13], v[66:67] neg_lo:[0,1] neg_hi:[0,1]
	s_wait_dscnt 0x0
	v_pk_mul_f32 v[66:67], v[62:63], v[54:55] op_sel:[0,1]
	s_delay_alu instid0(VALU_DEP_1) | instskip(SKIP_1) | instid1(VALU_DEP_1)
	v_pk_fma_f32 v[68:69], v[62:63], v[52:53], v[66:67] op_sel:[0,0,1] op_sel_hi:[1,1,0] neg_lo:[0,0,1] neg_hi:[0,0,1]
	v_pk_fma_f32 v[62:63], v[62:63], v[52:53], v[66:67] op_sel:[0,0,1] op_sel_hi:[1,0,0]
	v_mov_b32_e32 v69, v63
	v_pk_mul_f32 v[62:63], v[64:65], v[54:55] op_sel:[0,1]
	s_delay_alu instid0(VALU_DEP_2) | instskip(NEXT) | instid1(VALU_DEP_2)
	v_pk_add_f32 v[10:11], v[10:11], v[68:69] neg_lo:[0,1] neg_hi:[0,1]
	v_pk_fma_f32 v[66:67], v[64:65], v[52:53], v[62:63] op_sel:[0,0,1] op_sel_hi:[1,1,0] neg_lo:[0,0,1] neg_hi:[0,0,1]
	v_pk_fma_f32 v[62:63], v[64:65], v[52:53], v[62:63] op_sel:[0,0,1] op_sel_hi:[1,0,0]
	s_delay_alu instid0(VALU_DEP_1) | instskip(SKIP_4) | instid1(VALU_DEP_1)
	v_mov_b32_e32 v67, v63
	ds_load_2addr_b64 v[62:65], v56 offset0:17 offset1:18
	v_pk_add_f32 v[30:31], v[30:31], v[66:67] neg_lo:[0,1] neg_hi:[0,1]
	s_wait_dscnt 0x0
	v_pk_mul_f32 v[66:67], v[62:63], v[54:55] op_sel:[0,1]
	v_pk_fma_f32 v[68:69], v[62:63], v[52:53], v[66:67] op_sel:[0,0,1] op_sel_hi:[1,1,0] neg_lo:[0,0,1] neg_hi:[0,0,1]
	v_pk_fma_f32 v[62:63], v[62:63], v[52:53], v[66:67] op_sel:[0,0,1] op_sel_hi:[1,0,0]
	v_dual_mul_f32 v66, v65, v55 :: v_dual_mov_b32 v62, v65
	s_delay_alu instid0(VALU_DEP_2) | instskip(NEXT) | instid1(VALU_DEP_2)
	v_dual_mov_b32 v69, v63 :: v_dual_mov_b32 v63, v64
	v_pk_fma_f32 v[66:67], v[64:65], v[16:17], v[66:67] op_sel_hi:[1,1,0] neg_lo:[0,0,1] neg_hi:[0,0,1]
	v_mul_f32_e32 v64, v65, v52
	s_delay_alu instid0(VALU_DEP_3) | instskip(NEXT) | instid1(VALU_DEP_2)
	v_pk_add_f32 v[28:29], v[28:29], v[68:69] neg_lo:[0,1] neg_hi:[0,1]
	v_pk_fma_f32 v[62:63], v[62:63], v[16:17], v[64:65] op_sel_hi:[1,1,0]
	s_delay_alu instid0(VALU_DEP_1) | instskip(SKIP_4) | instid1(VALU_DEP_1)
	v_mov_b32_e32 v67, v63
	ds_load_2addr_b64 v[62:65], v56 offset0:19 offset1:20
	v_pk_add_f32 v[8:9], v[8:9], v[66:67] neg_lo:[0,1] neg_hi:[0,1]
	s_wait_dscnt 0x0
	v_pk_mul_f32 v[66:67], v[62:63], v[54:55] op_sel:[0,1]
	v_pk_fma_f32 v[68:69], v[62:63], v[52:53], v[66:67] op_sel:[0,0,1] op_sel_hi:[1,1,0] neg_lo:[0,0,1] neg_hi:[0,0,1]
	v_pk_fma_f32 v[62:63], v[62:63], v[52:53], v[66:67] op_sel:[0,0,1] op_sel_hi:[1,0,0]
	s_delay_alu instid0(VALU_DEP_1) | instskip(SKIP_1) | instid1(VALU_DEP_1)
	v_mov_b32_e32 v69, v63
	v_pk_mul_f32 v[62:63], v[64:65], v[54:55] op_sel:[0,1]
	v_pk_fma_f32 v[66:67], v[64:65], v[52:53], v[62:63] op_sel:[0,0,1] op_sel_hi:[1,1,0] neg_lo:[0,0,1] neg_hi:[0,0,1]
	v_pk_fma_f32 v[62:63], v[64:65], v[52:53], v[62:63] op_sel:[0,0,1] op_sel_hi:[1,0,0]
	s_delay_alu instid0(VALU_DEP_1)
	v_mov_b32_e32 v67, v63
	ds_load_2addr_b64 v[62:65], v56 offset0:21 offset1:22
	v_pk_add_f32 v[26:27], v[26:27], v[68:69] neg_lo:[0,1] neg_hi:[0,1]
	v_pk_add_f32 v[20:21], v[20:21], v[66:67] neg_lo:[0,1] neg_hi:[0,1]
	s_wait_dscnt 0x0
	v_pk_mul_f32 v[66:67], v[62:63], v[54:55] op_sel:[0,1]
	v_mul_f32_e32 v54, v65, v55
	s_delay_alu instid0(VALU_DEP_2) | instskip(SKIP_2) | instid1(VALU_DEP_4)
	v_pk_fma_f32 v[68:69], v[62:63], v[52:53], v[66:67] op_sel:[0,0,1] op_sel_hi:[1,1,0] neg_lo:[0,0,1] neg_hi:[0,0,1]
	v_pk_fma_f32 v[62:63], v[62:63], v[52:53], v[66:67] op_sel:[0,0,1] op_sel_hi:[1,0,0]
	v_dual_mov_b32 v62, v65 :: v_dual_mul_f32 v52, v65, v52
	v_pk_fma_f32 v[54:55], v[64:65], v[16:17], v[54:55] op_sel_hi:[1,1,0] neg_lo:[0,0,1] neg_hi:[0,0,1]
	s_delay_alu instid0(VALU_DEP_3) | instskip(NEXT) | instid1(VALU_DEP_1)
	v_dual_mov_b32 v69, v63 :: v_dual_mov_b32 v63, v64
	v_pk_add_f32 v[18:19], v[18:19], v[68:69] neg_lo:[0,1] neg_hi:[0,1]
	s_delay_alu instid0(VALU_DEP_2) | instskip(NEXT) | instid1(VALU_DEP_1)
	v_pk_fma_f32 v[52:53], v[62:63], v[16:17], v[52:53] op_sel_hi:[1,1,0]
	v_mov_b32_e32 v55, v53
	s_delay_alu instid0(VALU_DEP_1)
	v_pk_add_f32 v[50:51], v[50:51], v[54:55] neg_lo:[0,1] neg_hi:[0,1]
.LBB44_104:
	s_or_b32 exec_lo, exec_lo, s0
	v_lshl_add_u32 v52, v60, 3, v56
	s_barrier_signal -1
	s_barrier_wait -1
	ds_store_b64 v52, v[14:15]
	s_wait_dscnt 0x0
	s_barrier_signal -1
	s_barrier_wait -1
	ds_load_b64 v[54:55], v56 offset:40
	v_mov_b32_e32 v52, 5
	s_cmp_lt_i32 s14, 7
	s_cbranch_scc1 .LBB44_107
; %bb.105:
	v_add3_u32 v53, v57, 0, 48
	v_mov_b32_e32 v52, 5
	s_mov_b32 s0, 6
.LBB44_106:                             ; =>This Inner Loop Header: Depth=1
	ds_load_b64 v[62:63], v53
	s_wait_dscnt 0x1
	v_cmp_gt_f32_e32 vcc_lo, 0, v54
	v_cndmask_b32_e64 v64, v54, -v54, vcc_lo
	v_cmp_gt_f32_e32 vcc_lo, 0, v55
	v_cndmask_b32_e64 v66, v55, -v55, vcc_lo
	s_wait_dscnt 0x0
	v_cmp_gt_f32_e32 vcc_lo, 0, v62
	v_cndmask_b32_e64 v65, v62, -v62, vcc_lo
	v_cmp_gt_f32_e32 vcc_lo, 0, v63
	v_cndmask_b32_e64 v67, v63, -v63, vcc_lo
	s_delay_alu instid0(VALU_DEP_1) | instskip(NEXT) | instid1(VALU_DEP_1)
	v_pk_add_f32 v[64:65], v[64:65], v[66:67]
	v_cmp_lt_f32_e32 vcc_lo, v64, v65
	v_dual_add_nc_u32 v53, 8, v53 :: v_dual_cndmask_b32 v55, v55, v63, vcc_lo
	v_cndmask_b32_e32 v54, v54, v62, vcc_lo
	v_cndmask_b32_e64 v52, v52, s0, vcc_lo
	s_add_co_i32 s0, s0, 1
	s_delay_alu instid0(SALU_CYCLE_1)
	s_cmp_lg_u32 s14, s0
	s_cbranch_scc1 .LBB44_106
.LBB44_107:
	s_wait_dscnt 0x0
	v_cmp_eq_f32_e32 vcc_lo, 0, v54
	v_cmp_eq_f32_e64 s0, 0, v55
	s_and_b32 s0, vcc_lo, s0
	s_delay_alu instid0(SALU_CYCLE_1) | instskip(NEXT) | instid1(SALU_CYCLE_1)
	s_and_saveexec_b32 s1, s0
	s_xor_b32 s0, exec_lo, s1
; %bb.108:
	v_cmp_ne_u32_e32 vcc_lo, 0, v58
	v_cndmask_b32_e32 v58, 6, v58, vcc_lo
; %bb.109:
	s_and_not1_saveexec_b32 s0, s0
	s_cbranch_execz .LBB44_115
; %bb.110:
	v_cmp_ngt_f32_e64 s1, |v54|, |v55|
	s_and_saveexec_b32 s15, s1
	s_delay_alu instid0(SALU_CYCLE_1)
	s_xor_b32 s1, exec_lo, s15
	s_cbranch_execz .LBB44_112
; %bb.111:
	v_div_scale_f32 v53, null, v55, v55, v54
	v_div_scale_f32 v63, vcc_lo, v54, v55, v54
	s_delay_alu instid0(VALU_DEP_2) | instskip(SKIP_1) | instid1(TRANS32_DEP_1)
	v_rcp_f32_e32 v61, v53
	v_nop
	v_fma_f32 v62, -v53, v61, 1.0
	s_delay_alu instid0(VALU_DEP_1) | instskip(NEXT) | instid1(VALU_DEP_1)
	v_fmac_f32_e32 v61, v62, v61
	v_mul_f32_e32 v62, v63, v61
	s_delay_alu instid0(VALU_DEP_1) | instskip(NEXT) | instid1(VALU_DEP_1)
	v_fma_f32 v64, -v53, v62, v63
	v_fmac_f32_e32 v62, v64, v61
	s_delay_alu instid0(VALU_DEP_1) | instskip(NEXT) | instid1(VALU_DEP_1)
	v_fma_f32 v53, -v53, v62, v63
	v_div_fmas_f32 v53, v53, v61, v62
	s_delay_alu instid0(VALU_DEP_1) | instskip(NEXT) | instid1(VALU_DEP_1)
	v_div_fixup_f32 v53, v53, v55, v54
	v_fmac_f32_e32 v55, v54, v53
	s_delay_alu instid0(VALU_DEP_1) | instskip(SKIP_1) | instid1(VALU_DEP_2)
	v_div_scale_f32 v54, null, v55, v55, 1.0
	v_div_scale_f32 v63, vcc_lo, 1.0, v55, 1.0
	v_rcp_f32_e32 v61, v54
	v_nop
	s_delay_alu instid0(TRANS32_DEP_1) | instskip(NEXT) | instid1(VALU_DEP_1)
	v_fma_f32 v62, -v54, v61, 1.0
	v_fmac_f32_e32 v61, v62, v61
	s_delay_alu instid0(VALU_DEP_1) | instskip(NEXT) | instid1(VALU_DEP_1)
	v_mul_f32_e32 v62, v63, v61
	v_fma_f32 v64, -v54, v62, v63
	s_delay_alu instid0(VALU_DEP_1) | instskip(NEXT) | instid1(VALU_DEP_1)
	v_fmac_f32_e32 v62, v64, v61
	v_fma_f32 v54, -v54, v62, v63
	s_delay_alu instid0(VALU_DEP_1) | instskip(NEXT) | instid1(VALU_DEP_1)
	v_div_fmas_f32 v54, v54, v61, v62
	v_div_fixup_f32 v55, v54, v55, 1.0
	s_delay_alu instid0(VALU_DEP_1)
	v_mul_f32_e32 v54, v53, v55
	v_xor_b32_e32 v55, 0x80000000, v55
.LBB44_112:
	s_and_not1_saveexec_b32 s1, s1
	s_cbranch_execz .LBB44_114
; %bb.113:
	s_delay_alu instid0(VALU_DEP_1) | instskip(SKIP_1) | instid1(VALU_DEP_2)
	v_div_scale_f32 v53, null, v54, v54, v55
	v_div_scale_f32 v63, vcc_lo, v55, v54, v55
	v_rcp_f32_e32 v61, v53
	v_nop
	s_delay_alu instid0(TRANS32_DEP_1) | instskip(NEXT) | instid1(VALU_DEP_1)
	v_fma_f32 v62, -v53, v61, 1.0
	v_fmac_f32_e32 v61, v62, v61
	s_delay_alu instid0(VALU_DEP_1) | instskip(NEXT) | instid1(VALU_DEP_1)
	v_mul_f32_e32 v62, v63, v61
	v_fma_f32 v64, -v53, v62, v63
	s_delay_alu instid0(VALU_DEP_1) | instskip(NEXT) | instid1(VALU_DEP_1)
	v_fmac_f32_e32 v62, v64, v61
	v_fma_f32 v53, -v53, v62, v63
	s_delay_alu instid0(VALU_DEP_1) | instskip(NEXT) | instid1(VALU_DEP_1)
	v_div_fmas_f32 v53, v53, v61, v62
	v_div_fixup_f32 v53, v53, v54, v55
	s_delay_alu instid0(VALU_DEP_1) | instskip(NEXT) | instid1(VALU_DEP_1)
	v_fmac_f32_e32 v54, v55, v53
	v_div_scale_f32 v55, null, v54, v54, 1.0
	s_delay_alu instid0(VALU_DEP_1) | instskip(SKIP_1) | instid1(TRANS32_DEP_1)
	v_rcp_f32_e32 v61, v55
	v_nop
	v_fma_f32 v62, -v55, v61, 1.0
	s_delay_alu instid0(VALU_DEP_1) | instskip(SKIP_1) | instid1(VALU_DEP_1)
	v_fmac_f32_e32 v61, v62, v61
	v_div_scale_f32 v62, vcc_lo, 1.0, v54, 1.0
	v_mul_f32_e32 v63, v62, v61
	s_delay_alu instid0(VALU_DEP_1) | instskip(NEXT) | instid1(VALU_DEP_1)
	v_fma_f32 v64, -v55, v63, v62
	v_fmac_f32_e32 v63, v64, v61
	s_delay_alu instid0(VALU_DEP_1) | instskip(NEXT) | instid1(VALU_DEP_1)
	v_fma_f32 v55, -v55, v63, v62
	v_div_fmas_f32 v55, v55, v61, v63
	s_delay_alu instid0(VALU_DEP_1) | instskip(NEXT) | instid1(VALU_DEP_1)
	v_div_fixup_f32 v54, v55, v54, 1.0
	v_mul_f32_e64 v55, v53, -v54
.LBB44_114:
	s_or_b32 exec_lo, exec_lo, s1
.LBB44_115:
	s_delay_alu instid0(SALU_CYCLE_1) | instskip(NEXT) | instid1(SALU_CYCLE_1)
	s_or_b32 exec_lo, exec_lo, s0
	s_mov_b32 s0, exec_lo
	v_cmpx_ne_u32_e64 v60, v52
	s_xor_b32 s0, exec_lo, s0
	s_cbranch_execz .LBB44_121
; %bb.116:
	s_mov_b32 s1, exec_lo
	v_cmpx_eq_u32_e32 5, v60
	s_cbranch_execz .LBB44_120
; %bb.117:
	v_cmp_ne_u32_e32 vcc_lo, 5, v52
	s_xor_b32 s15, s12, -1
	s_delay_alu instid0(SALU_CYCLE_1) | instskip(NEXT) | instid1(SALU_CYCLE_1)
	s_and_b32 s16, s15, vcc_lo
	s_and_saveexec_b32 s15, s16
	s_cbranch_execz .LBB44_119
; %bb.118:
	v_ashrrev_i32_e32 v53, 31, v52
	s_delay_alu instid0(VALU_DEP_1)
	v_lshl_add_u64 v[60:61], v[52:53], 2, v[32:33]
	s_clause 0x1
	global_load_b32 v53, v[60:61], off
	global_load_b32 v59, v[32:33], off offset:20
	s_wait_loadcnt 0x1
	global_store_b32 v[32:33], v53, off offset:20
	s_wait_loadcnt 0x0
	global_store_b32 v[60:61], v59, off
.LBB44_119:
	s_wait_xcnt 0x0
	s_or_b32 exec_lo, exec_lo, s15
	v_dual_mov_b32 v60, v52 :: v_dual_mov_b32 v59, v52
.LBB44_120:
	s_or_b32 exec_lo, exec_lo, s1
.LBB44_121:
	s_and_not1_saveexec_b32 s0, s0
	s_cbranch_execz .LBB44_123
; %bb.122:
	v_dual_mov_b32 v52, v6 :: v_dual_mov_b32 v53, v7
	v_dual_mov_b32 v60, v4 :: v_dual_mov_b32 v61, v5
	;; [unrolled: 1-line block ×8, first 2 shown]
	ds_store_2addr_b64 v56, v[52:53], v[60:61] offset0:6 offset1:7
	ds_store_2addr_b64 v56, v[62:63], v[64:65] offset0:8 offset1:9
	;; [unrolled: 1-line block ×4, first 2 shown]
	v_dual_mov_b32 v52, v12 :: v_dual_mov_b32 v53, v13
	v_dual_mov_b32 v62, v10 :: v_dual_mov_b32 v63, v11
	;; [unrolled: 1-line block ×8, first 2 shown]
	v_mov_b32_e32 v75, v19
	ds_store_2addr_b64 v56, v[52:53], v[62:63] offset0:14 offset1:15
	ds_store_2addr_b64 v56, v[64:65], v[66:67] offset0:16 offset1:17
	;; [unrolled: 1-line block ×4, first 2 shown]
	ds_store_b64 v56, v[50:51] offset:176
.LBB44_123:
	s_or_b32 exec_lo, exec_lo, s0
	s_delay_alu instid0(SALU_CYCLE_1)
	s_mov_b32 s0, exec_lo
	s_wait_storecnt_dscnt 0x0
	s_barrier_signal -1
	s_barrier_wait -1
	v_cmpx_lt_i32_e32 5, v60
	s_cbranch_execz .LBB44_125
; %bb.124:
	v_pk_mul_f32 v[62:63], v[54:55], v[14:15] op_sel:[1,1] op_sel_hi:[0,1]
	s_delay_alu instid0(VALU_DEP_1)
	v_pk_fma_f32 v[52:53], v[54:55], v[14:15], v[62:63] op_sel_hi:[1,0,1] neg_lo:[0,0,1] neg_hi:[0,0,1]
	v_pk_fma_f32 v[54:55], v[54:55], v[14:15], v[62:63] op_sel_hi:[1,0,1]
	ds_load_2addr_b64 v[62:65], v56 offset0:6 offset1:7
	v_dual_mov_b32 v14, v52 :: v_dual_mov_b32 v15, v55
	s_wait_dscnt 0x0
	v_pk_mul_f32 v[66:67], v[62:63], v[54:55] op_sel:[0,1]
	s_delay_alu instid0(VALU_DEP_1) | instskip(SKIP_1) | instid1(VALU_DEP_1)
	v_pk_fma_f32 v[68:69], v[62:63], v[52:53], v[66:67] op_sel:[0,0,1] op_sel_hi:[1,1,0] neg_lo:[0,0,1] neg_hi:[0,0,1]
	v_pk_fma_f32 v[62:63], v[62:63], v[52:53], v[66:67] op_sel:[0,0,1] op_sel_hi:[1,0,0]
	v_mov_b32_e32 v69, v63
	v_pk_mul_f32 v[62:63], v[64:65], v[54:55] op_sel:[0,1]
	s_delay_alu instid0(VALU_DEP_1) | instskip(SKIP_1) | instid1(VALU_DEP_1)
	v_pk_fma_f32 v[66:67], v[64:65], v[52:53], v[62:63] op_sel:[0,0,1] op_sel_hi:[1,1,0] neg_lo:[0,0,1] neg_hi:[0,0,1]
	v_pk_fma_f32 v[62:63], v[64:65], v[52:53], v[62:63] op_sel:[0,0,1] op_sel_hi:[1,0,0]
	v_mov_b32_e32 v67, v63
	ds_load_2addr_b64 v[62:65], v56 offset0:8 offset1:9
	v_pk_add_f32 v[6:7], v[6:7], v[68:69] neg_lo:[0,1] neg_hi:[0,1]
	v_pk_add_f32 v[4:5], v[4:5], v[66:67] neg_lo:[0,1] neg_hi:[0,1]
	s_wait_dscnt 0x0
	v_pk_mul_f32 v[66:67], v[62:63], v[54:55] op_sel:[0,1]
	s_delay_alu instid0(VALU_DEP_1) | instskip(SKIP_2) | instid1(VALU_DEP_2)
	v_pk_fma_f32 v[68:69], v[62:63], v[52:53], v[66:67] op_sel:[0,0,1] op_sel_hi:[1,1,0] neg_lo:[0,0,1] neg_hi:[0,0,1]
	v_pk_fma_f32 v[62:63], v[62:63], v[52:53], v[66:67] op_sel:[0,0,1] op_sel_hi:[1,0,0]
	v_dual_mul_f32 v66, v65, v55 :: v_dual_mov_b32 v62, v65
	v_dual_mov_b32 v69, v63 :: v_dual_mov_b32 v63, v64
	s_delay_alu instid0(VALU_DEP_2) | instskip(SKIP_1) | instid1(VALU_DEP_3)
	v_pk_fma_f32 v[66:67], v[64:65], v[14:15], v[66:67] op_sel_hi:[1,1,0] neg_lo:[0,0,1] neg_hi:[0,0,1]
	v_mul_f32_e32 v64, v65, v52
	v_pk_add_f32 v[44:45], v[44:45], v[68:69] neg_lo:[0,1] neg_hi:[0,1]
	s_delay_alu instid0(VALU_DEP_2) | instskip(NEXT) | instid1(VALU_DEP_1)
	v_pk_fma_f32 v[62:63], v[62:63], v[14:15], v[64:65] op_sel_hi:[1,1,0]
	v_mov_b32_e32 v67, v63
	ds_load_2addr_b64 v[62:65], v56 offset0:10 offset1:11
	v_pk_add_f32 v[42:43], v[42:43], v[66:67] neg_lo:[0,1] neg_hi:[0,1]
	s_wait_dscnt 0x0
	v_pk_mul_f32 v[66:67], v[62:63], v[54:55] op_sel:[0,1]
	s_delay_alu instid0(VALU_DEP_1) | instskip(SKIP_1) | instid1(VALU_DEP_1)
	v_pk_fma_f32 v[68:69], v[62:63], v[52:53], v[66:67] op_sel:[0,0,1] op_sel_hi:[1,1,0] neg_lo:[0,0,1] neg_hi:[0,0,1]
	v_pk_fma_f32 v[62:63], v[62:63], v[52:53], v[66:67] op_sel:[0,0,1] op_sel_hi:[1,0,0]
	v_mov_b32_e32 v69, v63
	v_pk_mul_f32 v[62:63], v[64:65], v[54:55] op_sel:[0,1]
	s_delay_alu instid0(VALU_DEP_1) | instskip(SKIP_1) | instid1(VALU_DEP_1)
	v_pk_fma_f32 v[66:67], v[64:65], v[52:53], v[62:63] op_sel:[0,0,1] op_sel_hi:[1,1,0] neg_lo:[0,0,1] neg_hi:[0,0,1]
	v_pk_fma_f32 v[62:63], v[64:65], v[52:53], v[62:63] op_sel:[0,0,1] op_sel_hi:[1,0,0]
	v_mov_b32_e32 v67, v63
	ds_load_2addr_b64 v[62:65], v56 offset0:12 offset1:13
	v_pk_add_f32 v[24:25], v[24:25], v[68:69] neg_lo:[0,1] neg_hi:[0,1]
	v_pk_add_f32 v[22:23], v[22:23], v[66:67] neg_lo:[0,1] neg_hi:[0,1]
	s_wait_dscnt 0x0
	v_pk_mul_f32 v[66:67], v[62:63], v[54:55] op_sel:[0,1]
	s_delay_alu instid0(VALU_DEP_1) | instskip(SKIP_1) | instid1(VALU_DEP_1)
	v_pk_fma_f32 v[68:69], v[62:63], v[52:53], v[66:67] op_sel:[0,0,1] op_sel_hi:[1,1,0] neg_lo:[0,0,1] neg_hi:[0,0,1]
	v_pk_fma_f32 v[62:63], v[62:63], v[52:53], v[66:67] op_sel:[0,0,1] op_sel_hi:[1,0,0]
	v_mov_b32_e32 v69, v63
	v_pk_mul_f32 v[62:63], v[64:65], v[54:55] op_sel:[0,1]
	s_delay_alu instid0(VALU_DEP_1) | instskip(SKIP_1) | instid1(VALU_DEP_1)
	v_pk_fma_f32 v[66:67], v[64:65], v[52:53], v[62:63] op_sel:[0,0,1] op_sel_hi:[1,1,0] neg_lo:[0,0,1] neg_hi:[0,0,1]
	v_pk_fma_f32 v[62:63], v[64:65], v[52:53], v[62:63] op_sel:[0,0,1] op_sel_hi:[1,0,0]
	v_mov_b32_e32 v67, v63
	ds_load_2addr_b64 v[62:65], v56 offset0:14 offset1:15
	v_pk_add_f32 v[40:41], v[40:41], v[68:69] neg_lo:[0,1] neg_hi:[0,1]
	v_pk_add_f32 v[38:39], v[38:39], v[66:67] neg_lo:[0,1] neg_hi:[0,1]
	s_wait_dscnt 0x0
	v_dual_mul_f32 v66, v63, v55 :: v_dual_mul_f32 v68, v63, v52
	s_delay_alu instid0(VALU_DEP_1) | instskip(NEXT) | instid1(VALU_DEP_2)
	v_pk_fma_f32 v[66:67], v[62:63], v[14:15], v[66:67] op_sel_hi:[1,1,0] neg_lo:[0,0,1] neg_hi:[0,0,1]
	v_pk_fma_f32 v[62:63], v[62:63], v[14:15], v[68:69] op_sel:[1,0,0] op_sel_hi:[0,1,0]
	s_delay_alu instid0(VALU_DEP_1) | instskip(SKIP_1) | instid1(VALU_DEP_2)
	v_mov_b32_e32 v67, v63
	v_pk_mul_f32 v[62:63], v[64:65], v[54:55] op_sel:[0,1]
	v_pk_add_f32 v[12:13], v[12:13], v[66:67] neg_lo:[0,1] neg_hi:[0,1]
	s_delay_alu instid0(VALU_DEP_2) | instskip(SKIP_1) | instid1(VALU_DEP_1)
	v_pk_fma_f32 v[66:67], v[64:65], v[52:53], v[62:63] op_sel:[0,0,1] op_sel_hi:[1,1,0] neg_lo:[0,0,1] neg_hi:[0,0,1]
	v_pk_fma_f32 v[62:63], v[64:65], v[52:53], v[62:63] op_sel:[0,0,1] op_sel_hi:[1,0,0]
	v_mov_b32_e32 v67, v63
	ds_load_2addr_b64 v[62:65], v56 offset0:16 offset1:17
	v_pk_add_f32 v[10:11], v[10:11], v[66:67] neg_lo:[0,1] neg_hi:[0,1]
	s_wait_dscnt 0x0
	v_pk_mul_f32 v[66:67], v[62:63], v[54:55] op_sel:[0,1]
	s_delay_alu instid0(VALU_DEP_1) | instskip(SKIP_1) | instid1(VALU_DEP_1)
	v_pk_fma_f32 v[68:69], v[62:63], v[52:53], v[66:67] op_sel:[0,0,1] op_sel_hi:[1,1,0] neg_lo:[0,0,1] neg_hi:[0,0,1]
	v_pk_fma_f32 v[62:63], v[62:63], v[52:53], v[66:67] op_sel:[0,0,1] op_sel_hi:[1,0,0]
	v_mov_b32_e32 v69, v63
	v_pk_mul_f32 v[62:63], v[64:65], v[54:55] op_sel:[0,1]
	s_delay_alu instid0(VALU_DEP_2) | instskip(NEXT) | instid1(VALU_DEP_2)
	v_pk_add_f32 v[30:31], v[30:31], v[68:69] neg_lo:[0,1] neg_hi:[0,1]
	v_pk_fma_f32 v[66:67], v[64:65], v[52:53], v[62:63] op_sel:[0,0,1] op_sel_hi:[1,1,0] neg_lo:[0,0,1] neg_hi:[0,0,1]
	v_pk_fma_f32 v[62:63], v[64:65], v[52:53], v[62:63] op_sel:[0,0,1] op_sel_hi:[1,0,0]
	s_delay_alu instid0(VALU_DEP_1) | instskip(SKIP_4) | instid1(VALU_DEP_1)
	v_mov_b32_e32 v67, v63
	ds_load_2addr_b64 v[62:65], v56 offset0:18 offset1:19
	v_pk_add_f32 v[28:29], v[28:29], v[66:67] neg_lo:[0,1] neg_hi:[0,1]
	s_wait_dscnt 0x0
	v_pk_mul_f32 v[66:67], v[62:63], v[54:55] op_sel:[0,1]
	v_pk_fma_f32 v[68:69], v[62:63], v[52:53], v[66:67] op_sel:[0,0,1] op_sel_hi:[1,1,0] neg_lo:[0,0,1] neg_hi:[0,0,1]
	v_pk_fma_f32 v[62:63], v[62:63], v[52:53], v[66:67] op_sel:[0,0,1] op_sel_hi:[1,0,0]
	v_dual_mul_f32 v66, v65, v55 :: v_dual_mov_b32 v62, v65
	s_delay_alu instid0(VALU_DEP_2) | instskip(NEXT) | instid1(VALU_DEP_2)
	v_dual_mov_b32 v69, v63 :: v_dual_mov_b32 v63, v64
	v_pk_fma_f32 v[66:67], v[64:65], v[14:15], v[66:67] op_sel_hi:[1,1,0] neg_lo:[0,0,1] neg_hi:[0,0,1]
	v_mul_f32_e32 v64, v65, v52
	s_delay_alu instid0(VALU_DEP_3) | instskip(NEXT) | instid1(VALU_DEP_2)
	v_pk_add_f32 v[8:9], v[8:9], v[68:69] neg_lo:[0,1] neg_hi:[0,1]
	v_pk_fma_f32 v[62:63], v[62:63], v[14:15], v[64:65] op_sel_hi:[1,1,0]
	s_delay_alu instid0(VALU_DEP_1) | instskip(SKIP_4) | instid1(VALU_DEP_1)
	v_mov_b32_e32 v67, v63
	ds_load_2addr_b64 v[62:65], v56 offset0:20 offset1:21
	v_pk_add_f32 v[26:27], v[26:27], v[66:67] neg_lo:[0,1] neg_hi:[0,1]
	s_wait_dscnt 0x0
	v_pk_mul_f32 v[66:67], v[62:63], v[54:55] op_sel:[0,1]
	v_pk_fma_f32 v[68:69], v[62:63], v[52:53], v[66:67] op_sel:[0,0,1] op_sel_hi:[1,1,0] neg_lo:[0,0,1] neg_hi:[0,0,1]
	v_pk_fma_f32 v[62:63], v[62:63], v[52:53], v[66:67] op_sel:[0,0,1] op_sel_hi:[1,0,0]
	s_delay_alu instid0(VALU_DEP_1) | instskip(SKIP_1) | instid1(VALU_DEP_1)
	v_mov_b32_e32 v69, v63
	v_pk_mul_f32 v[62:63], v[64:65], v[54:55] op_sel:[0,1]
	v_pk_fma_f32 v[66:67], v[64:65], v[52:53], v[62:63] op_sel:[0,0,1] op_sel_hi:[1,1,0] neg_lo:[0,0,1] neg_hi:[0,0,1]
	v_pk_fma_f32 v[62:63], v[64:65], v[52:53], v[62:63] op_sel:[0,0,1] op_sel_hi:[1,0,0]
	s_delay_alu instid0(VALU_DEP_1)
	v_mov_b32_e32 v67, v63
	ds_load_b64 v[62:63], v56 offset:176
	v_pk_add_f32 v[20:21], v[20:21], v[68:69] neg_lo:[0,1] neg_hi:[0,1]
	v_pk_add_f32 v[18:19], v[18:19], v[66:67] neg_lo:[0,1] neg_hi:[0,1]
	s_wait_dscnt 0x0
	v_pk_mul_f32 v[54:55], v[62:63], v[54:55] op_sel:[0,1]
	s_delay_alu instid0(VALU_DEP_1) | instskip(SKIP_1) | instid1(VALU_DEP_1)
	v_pk_fma_f32 v[64:65], v[62:63], v[52:53], v[54:55] op_sel:[0,0,1] op_sel_hi:[1,1,0] neg_lo:[0,0,1] neg_hi:[0,0,1]
	v_pk_fma_f32 v[52:53], v[62:63], v[52:53], v[54:55] op_sel:[0,0,1] op_sel_hi:[1,0,0]
	v_mov_b32_e32 v65, v53
	s_delay_alu instid0(VALU_DEP_1)
	v_pk_add_f32 v[50:51], v[50:51], v[64:65] neg_lo:[0,1] neg_hi:[0,1]
.LBB44_125:
	s_or_b32 exec_lo, exec_lo, s0
	v_lshl_add_u32 v52, v60, 3, v56
	s_barrier_signal -1
	s_barrier_wait -1
	ds_store_b64 v52, v[6:7]
	s_wait_dscnt 0x0
	s_barrier_signal -1
	s_barrier_wait -1
	ds_load_b64 v[54:55], v56 offset:48
	v_mov_b32_e32 v52, 6
	s_cmp_lt_i32 s14, 8
	s_cbranch_scc1 .LBB44_128
; %bb.126:
	v_add3_u32 v53, v57, 0, 56
	v_mov_b32_e32 v52, 6
	s_mov_b32 s0, 7
.LBB44_127:                             ; =>This Inner Loop Header: Depth=1
	ds_load_b64 v[62:63], v53
	s_wait_dscnt 0x1
	v_cmp_gt_f32_e32 vcc_lo, 0, v54
	v_cndmask_b32_e64 v64, v54, -v54, vcc_lo
	v_cmp_gt_f32_e32 vcc_lo, 0, v55
	v_cndmask_b32_e64 v66, v55, -v55, vcc_lo
	s_wait_dscnt 0x0
	v_cmp_gt_f32_e32 vcc_lo, 0, v62
	v_cndmask_b32_e64 v65, v62, -v62, vcc_lo
	v_cmp_gt_f32_e32 vcc_lo, 0, v63
	v_cndmask_b32_e64 v67, v63, -v63, vcc_lo
	s_delay_alu instid0(VALU_DEP_1) | instskip(NEXT) | instid1(VALU_DEP_1)
	v_pk_add_f32 v[64:65], v[64:65], v[66:67]
	v_cmp_lt_f32_e32 vcc_lo, v64, v65
	v_dual_add_nc_u32 v53, 8, v53 :: v_dual_cndmask_b32 v55, v55, v63, vcc_lo
	v_cndmask_b32_e32 v54, v54, v62, vcc_lo
	v_cndmask_b32_e64 v52, v52, s0, vcc_lo
	s_add_co_i32 s0, s0, 1
	s_delay_alu instid0(SALU_CYCLE_1)
	s_cmp_lg_u32 s14, s0
	s_cbranch_scc1 .LBB44_127
.LBB44_128:
	s_wait_dscnt 0x0
	v_cmp_eq_f32_e32 vcc_lo, 0, v54
	v_cmp_eq_f32_e64 s0, 0, v55
	s_and_b32 s0, vcc_lo, s0
	s_delay_alu instid0(SALU_CYCLE_1) | instskip(NEXT) | instid1(SALU_CYCLE_1)
	s_and_saveexec_b32 s1, s0
	s_xor_b32 s0, exec_lo, s1
; %bb.129:
	v_cmp_ne_u32_e32 vcc_lo, 0, v58
	v_cndmask_b32_e32 v58, 7, v58, vcc_lo
; %bb.130:
	s_and_not1_saveexec_b32 s0, s0
	s_cbranch_execz .LBB44_136
; %bb.131:
	v_cmp_ngt_f32_e64 s1, |v54|, |v55|
	s_and_saveexec_b32 s15, s1
	s_delay_alu instid0(SALU_CYCLE_1)
	s_xor_b32 s1, exec_lo, s15
	s_cbranch_execz .LBB44_133
; %bb.132:
	v_div_scale_f32 v53, null, v55, v55, v54
	v_div_scale_f32 v63, vcc_lo, v54, v55, v54
	s_delay_alu instid0(VALU_DEP_2) | instskip(SKIP_1) | instid1(TRANS32_DEP_1)
	v_rcp_f32_e32 v61, v53
	v_nop
	v_fma_f32 v62, -v53, v61, 1.0
	s_delay_alu instid0(VALU_DEP_1) | instskip(NEXT) | instid1(VALU_DEP_1)
	v_fmac_f32_e32 v61, v62, v61
	v_mul_f32_e32 v62, v63, v61
	s_delay_alu instid0(VALU_DEP_1) | instskip(NEXT) | instid1(VALU_DEP_1)
	v_fma_f32 v64, -v53, v62, v63
	v_fmac_f32_e32 v62, v64, v61
	s_delay_alu instid0(VALU_DEP_1) | instskip(NEXT) | instid1(VALU_DEP_1)
	v_fma_f32 v53, -v53, v62, v63
	v_div_fmas_f32 v53, v53, v61, v62
	s_delay_alu instid0(VALU_DEP_1) | instskip(NEXT) | instid1(VALU_DEP_1)
	v_div_fixup_f32 v53, v53, v55, v54
	v_fmac_f32_e32 v55, v54, v53
	s_delay_alu instid0(VALU_DEP_1) | instskip(SKIP_1) | instid1(VALU_DEP_2)
	v_div_scale_f32 v54, null, v55, v55, 1.0
	v_div_scale_f32 v63, vcc_lo, 1.0, v55, 1.0
	v_rcp_f32_e32 v61, v54
	v_nop
	s_delay_alu instid0(TRANS32_DEP_1) | instskip(NEXT) | instid1(VALU_DEP_1)
	v_fma_f32 v62, -v54, v61, 1.0
	v_fmac_f32_e32 v61, v62, v61
	s_delay_alu instid0(VALU_DEP_1) | instskip(NEXT) | instid1(VALU_DEP_1)
	v_mul_f32_e32 v62, v63, v61
	v_fma_f32 v64, -v54, v62, v63
	s_delay_alu instid0(VALU_DEP_1) | instskip(NEXT) | instid1(VALU_DEP_1)
	v_fmac_f32_e32 v62, v64, v61
	v_fma_f32 v54, -v54, v62, v63
	s_delay_alu instid0(VALU_DEP_1) | instskip(NEXT) | instid1(VALU_DEP_1)
	v_div_fmas_f32 v54, v54, v61, v62
	v_div_fixup_f32 v55, v54, v55, 1.0
	s_delay_alu instid0(VALU_DEP_1)
	v_mul_f32_e32 v54, v53, v55
	v_xor_b32_e32 v55, 0x80000000, v55
.LBB44_133:
	s_and_not1_saveexec_b32 s1, s1
	s_cbranch_execz .LBB44_135
; %bb.134:
	s_delay_alu instid0(VALU_DEP_1) | instskip(SKIP_1) | instid1(VALU_DEP_2)
	v_div_scale_f32 v53, null, v54, v54, v55
	v_div_scale_f32 v63, vcc_lo, v55, v54, v55
	v_rcp_f32_e32 v61, v53
	v_nop
	s_delay_alu instid0(TRANS32_DEP_1) | instskip(NEXT) | instid1(VALU_DEP_1)
	v_fma_f32 v62, -v53, v61, 1.0
	v_fmac_f32_e32 v61, v62, v61
	s_delay_alu instid0(VALU_DEP_1) | instskip(NEXT) | instid1(VALU_DEP_1)
	v_mul_f32_e32 v62, v63, v61
	v_fma_f32 v64, -v53, v62, v63
	s_delay_alu instid0(VALU_DEP_1) | instskip(NEXT) | instid1(VALU_DEP_1)
	v_fmac_f32_e32 v62, v64, v61
	v_fma_f32 v53, -v53, v62, v63
	s_delay_alu instid0(VALU_DEP_1) | instskip(NEXT) | instid1(VALU_DEP_1)
	v_div_fmas_f32 v53, v53, v61, v62
	v_div_fixup_f32 v53, v53, v54, v55
	s_delay_alu instid0(VALU_DEP_1) | instskip(NEXT) | instid1(VALU_DEP_1)
	v_fmac_f32_e32 v54, v55, v53
	v_div_scale_f32 v55, null, v54, v54, 1.0
	s_delay_alu instid0(VALU_DEP_1) | instskip(SKIP_1) | instid1(TRANS32_DEP_1)
	v_rcp_f32_e32 v61, v55
	v_nop
	v_fma_f32 v62, -v55, v61, 1.0
	s_delay_alu instid0(VALU_DEP_1) | instskip(SKIP_1) | instid1(VALU_DEP_1)
	v_fmac_f32_e32 v61, v62, v61
	v_div_scale_f32 v62, vcc_lo, 1.0, v54, 1.0
	v_mul_f32_e32 v63, v62, v61
	s_delay_alu instid0(VALU_DEP_1) | instskip(NEXT) | instid1(VALU_DEP_1)
	v_fma_f32 v64, -v55, v63, v62
	v_fmac_f32_e32 v63, v64, v61
	s_delay_alu instid0(VALU_DEP_1) | instskip(NEXT) | instid1(VALU_DEP_1)
	v_fma_f32 v55, -v55, v63, v62
	v_div_fmas_f32 v55, v55, v61, v63
	s_delay_alu instid0(VALU_DEP_1) | instskip(NEXT) | instid1(VALU_DEP_1)
	v_div_fixup_f32 v54, v55, v54, 1.0
	v_mul_f32_e64 v55, v53, -v54
.LBB44_135:
	s_or_b32 exec_lo, exec_lo, s1
.LBB44_136:
	s_delay_alu instid0(SALU_CYCLE_1) | instskip(NEXT) | instid1(SALU_CYCLE_1)
	s_or_b32 exec_lo, exec_lo, s0
	s_mov_b32 s0, exec_lo
	v_cmpx_ne_u32_e64 v60, v52
	s_xor_b32 s0, exec_lo, s0
	s_cbranch_execz .LBB44_142
; %bb.137:
	s_mov_b32 s1, exec_lo
	v_cmpx_eq_u32_e32 6, v60
	s_cbranch_execz .LBB44_141
; %bb.138:
	v_cmp_ne_u32_e32 vcc_lo, 6, v52
	s_xor_b32 s15, s12, -1
	s_delay_alu instid0(SALU_CYCLE_1) | instskip(NEXT) | instid1(SALU_CYCLE_1)
	s_and_b32 s16, s15, vcc_lo
	s_and_saveexec_b32 s15, s16
	s_cbranch_execz .LBB44_140
; %bb.139:
	v_ashrrev_i32_e32 v53, 31, v52
	s_delay_alu instid0(VALU_DEP_1)
	v_lshl_add_u64 v[60:61], v[52:53], 2, v[32:33]
	s_clause 0x1
	global_load_b32 v53, v[60:61], off
	global_load_b32 v59, v[32:33], off offset:24
	s_wait_loadcnt 0x1
	global_store_b32 v[32:33], v53, off offset:24
	s_wait_loadcnt 0x0
	global_store_b32 v[60:61], v59, off
.LBB44_140:
	s_wait_xcnt 0x0
	s_or_b32 exec_lo, exec_lo, s15
	v_dual_mov_b32 v60, v52 :: v_dual_mov_b32 v59, v52
.LBB44_141:
	s_or_b32 exec_lo, exec_lo, s1
.LBB44_142:
	s_and_not1_saveexec_b32 s0, s0
	s_cbranch_execz .LBB44_144
; %bb.143:
	v_mov_b32_e32 v60, 6
	ds_store_2addr_b64 v56, v[4:5], v[44:45] offset0:7 offset1:8
	ds_store_2addr_b64 v56, v[42:43], v[24:25] offset0:9 offset1:10
	;; [unrolled: 1-line block ×8, first 2 shown]
.LBB44_144:
	s_or_b32 exec_lo, exec_lo, s0
	s_delay_alu instid0(SALU_CYCLE_1)
	s_mov_b32 s0, exec_lo
	s_wait_storecnt_dscnt 0x0
	s_barrier_signal -1
	s_barrier_wait -1
	v_cmpx_lt_i32_e32 6, v60
	s_cbranch_execz .LBB44_146
; %bb.145:
	v_pk_mul_f32 v[62:63], v[54:55], v[6:7] op_sel:[1,1] op_sel_hi:[0,1]
	s_delay_alu instid0(VALU_DEP_1)
	v_pk_fma_f32 v[52:53], v[54:55], v[6:7], v[62:63] op_sel_hi:[1,0,1] neg_lo:[0,0,1] neg_hi:[0,0,1]
	v_pk_fma_f32 v[54:55], v[54:55], v[6:7], v[62:63] op_sel_hi:[1,0,1]
	ds_load_2addr_b64 v[62:65], v56 offset0:7 offset1:8
	v_dual_mov_b32 v6, v52 :: v_dual_mov_b32 v7, v55
	s_wait_dscnt 0x0
	v_pk_mul_f32 v[66:67], v[62:63], v[54:55] op_sel:[0,1]
	s_delay_alu instid0(VALU_DEP_1) | instskip(SKIP_1) | instid1(VALU_DEP_1)
	v_pk_fma_f32 v[68:69], v[62:63], v[52:53], v[66:67] op_sel:[0,0,1] op_sel_hi:[1,1,0] neg_lo:[0,0,1] neg_hi:[0,0,1]
	v_pk_fma_f32 v[62:63], v[62:63], v[52:53], v[66:67] op_sel:[0,0,1] op_sel_hi:[1,0,0]
	v_mov_b32_e32 v69, v63
	v_pk_mul_f32 v[62:63], v[64:65], v[54:55] op_sel:[0,1]
	s_delay_alu instid0(VALU_DEP_1) | instskip(SKIP_1) | instid1(VALU_DEP_1)
	v_pk_fma_f32 v[66:67], v[64:65], v[52:53], v[62:63] op_sel:[0,0,1] op_sel_hi:[1,1,0] neg_lo:[0,0,1] neg_hi:[0,0,1]
	v_pk_fma_f32 v[62:63], v[64:65], v[52:53], v[62:63] op_sel:[0,0,1] op_sel_hi:[1,0,0]
	v_mov_b32_e32 v67, v63
	ds_load_2addr_b64 v[62:65], v56 offset0:9 offset1:10
	v_pk_add_f32 v[4:5], v[4:5], v[68:69] neg_lo:[0,1] neg_hi:[0,1]
	v_pk_add_f32 v[44:45], v[44:45], v[66:67] neg_lo:[0,1] neg_hi:[0,1]
	s_wait_dscnt 0x0
	v_pk_mul_f32 v[66:67], v[62:63], v[54:55] op_sel:[0,1]
	s_delay_alu instid0(VALU_DEP_1) | instskip(SKIP_2) | instid1(VALU_DEP_2)
	v_pk_fma_f32 v[68:69], v[62:63], v[52:53], v[66:67] op_sel:[0,0,1] op_sel_hi:[1,1,0] neg_lo:[0,0,1] neg_hi:[0,0,1]
	v_pk_fma_f32 v[62:63], v[62:63], v[52:53], v[66:67] op_sel:[0,0,1] op_sel_hi:[1,0,0]
	v_dual_mul_f32 v66, v65, v55 :: v_dual_mov_b32 v62, v65
	v_dual_mov_b32 v69, v63 :: v_dual_mov_b32 v63, v64
	s_delay_alu instid0(VALU_DEP_2) | instskip(SKIP_1) | instid1(VALU_DEP_3)
	v_pk_fma_f32 v[66:67], v[64:65], v[6:7], v[66:67] op_sel_hi:[1,1,0] neg_lo:[0,0,1] neg_hi:[0,0,1]
	v_mul_f32_e32 v64, v65, v52
	v_pk_add_f32 v[42:43], v[42:43], v[68:69] neg_lo:[0,1] neg_hi:[0,1]
	s_delay_alu instid0(VALU_DEP_2) | instskip(NEXT) | instid1(VALU_DEP_1)
	v_pk_fma_f32 v[62:63], v[62:63], v[6:7], v[64:65] op_sel_hi:[1,1,0]
	v_mov_b32_e32 v67, v63
	ds_load_2addr_b64 v[62:65], v56 offset0:11 offset1:12
	v_pk_add_f32 v[24:25], v[24:25], v[66:67] neg_lo:[0,1] neg_hi:[0,1]
	s_wait_dscnt 0x0
	v_pk_mul_f32 v[66:67], v[62:63], v[54:55] op_sel:[0,1]
	s_delay_alu instid0(VALU_DEP_1) | instskip(SKIP_1) | instid1(VALU_DEP_1)
	v_pk_fma_f32 v[68:69], v[62:63], v[52:53], v[66:67] op_sel:[0,0,1] op_sel_hi:[1,1,0] neg_lo:[0,0,1] neg_hi:[0,0,1]
	v_pk_fma_f32 v[62:63], v[62:63], v[52:53], v[66:67] op_sel:[0,0,1] op_sel_hi:[1,0,0]
	v_mov_b32_e32 v69, v63
	v_pk_mul_f32 v[62:63], v[64:65], v[54:55] op_sel:[0,1]
	s_delay_alu instid0(VALU_DEP_1) | instskip(SKIP_1) | instid1(VALU_DEP_1)
	v_pk_fma_f32 v[66:67], v[64:65], v[52:53], v[62:63] op_sel:[0,0,1] op_sel_hi:[1,1,0] neg_lo:[0,0,1] neg_hi:[0,0,1]
	v_pk_fma_f32 v[62:63], v[64:65], v[52:53], v[62:63] op_sel:[0,0,1] op_sel_hi:[1,0,0]
	v_mov_b32_e32 v67, v63
	ds_load_2addr_b64 v[62:65], v56 offset0:13 offset1:14
	v_pk_add_f32 v[22:23], v[22:23], v[68:69] neg_lo:[0,1] neg_hi:[0,1]
	v_pk_add_f32 v[40:41], v[40:41], v[66:67] neg_lo:[0,1] neg_hi:[0,1]
	s_wait_dscnt 0x0
	v_pk_mul_f32 v[66:67], v[62:63], v[54:55] op_sel:[0,1]
	s_delay_alu instid0(VALU_DEP_1) | instskip(SKIP_1) | instid1(VALU_DEP_1)
	v_pk_fma_f32 v[68:69], v[62:63], v[52:53], v[66:67] op_sel:[0,0,1] op_sel_hi:[1,1,0] neg_lo:[0,0,1] neg_hi:[0,0,1]
	v_pk_fma_f32 v[62:63], v[62:63], v[52:53], v[66:67] op_sel:[0,0,1] op_sel_hi:[1,0,0]
	v_mov_b32_e32 v69, v63
	v_pk_mul_f32 v[62:63], v[64:65], v[54:55] op_sel:[0,1]
	s_delay_alu instid0(VALU_DEP_1) | instskip(SKIP_1) | instid1(VALU_DEP_1)
	v_pk_fma_f32 v[66:67], v[64:65], v[52:53], v[62:63] op_sel:[0,0,1] op_sel_hi:[1,1,0] neg_lo:[0,0,1] neg_hi:[0,0,1]
	v_pk_fma_f32 v[62:63], v[64:65], v[52:53], v[62:63] op_sel:[0,0,1] op_sel_hi:[1,0,0]
	v_mov_b32_e32 v67, v63
	ds_load_2addr_b64 v[62:65], v56 offset0:15 offset1:16
	v_pk_add_f32 v[38:39], v[38:39], v[68:69] neg_lo:[0,1] neg_hi:[0,1]
	v_pk_add_f32 v[12:13], v[12:13], v[66:67] neg_lo:[0,1] neg_hi:[0,1]
	s_wait_dscnt 0x0
	v_dual_mul_f32 v66, v63, v55 :: v_dual_mul_f32 v68, v63, v52
	s_delay_alu instid0(VALU_DEP_1) | instskip(NEXT) | instid1(VALU_DEP_2)
	v_pk_fma_f32 v[66:67], v[62:63], v[6:7], v[66:67] op_sel_hi:[1,1,0] neg_lo:[0,0,1] neg_hi:[0,0,1]
	v_pk_fma_f32 v[62:63], v[62:63], v[6:7], v[68:69] op_sel:[1,0,0] op_sel_hi:[0,1,0]
	s_delay_alu instid0(VALU_DEP_1) | instskip(SKIP_1) | instid1(VALU_DEP_2)
	v_mov_b32_e32 v67, v63
	v_pk_mul_f32 v[62:63], v[64:65], v[54:55] op_sel:[0,1]
	v_pk_add_f32 v[10:11], v[10:11], v[66:67] neg_lo:[0,1] neg_hi:[0,1]
	s_delay_alu instid0(VALU_DEP_2) | instskip(SKIP_1) | instid1(VALU_DEP_1)
	v_pk_fma_f32 v[66:67], v[64:65], v[52:53], v[62:63] op_sel:[0,0,1] op_sel_hi:[1,1,0] neg_lo:[0,0,1] neg_hi:[0,0,1]
	v_pk_fma_f32 v[62:63], v[64:65], v[52:53], v[62:63] op_sel:[0,0,1] op_sel_hi:[1,0,0]
	v_mov_b32_e32 v67, v63
	ds_load_2addr_b64 v[62:65], v56 offset0:17 offset1:18
	v_pk_add_f32 v[30:31], v[30:31], v[66:67] neg_lo:[0,1] neg_hi:[0,1]
	s_wait_dscnt 0x0
	v_pk_mul_f32 v[66:67], v[62:63], v[54:55] op_sel:[0,1]
	s_delay_alu instid0(VALU_DEP_1) | instskip(SKIP_1) | instid1(VALU_DEP_1)
	v_pk_fma_f32 v[68:69], v[62:63], v[52:53], v[66:67] op_sel:[0,0,1] op_sel_hi:[1,1,0] neg_lo:[0,0,1] neg_hi:[0,0,1]
	v_pk_fma_f32 v[62:63], v[62:63], v[52:53], v[66:67] op_sel:[0,0,1] op_sel_hi:[1,0,0]
	v_mov_b32_e32 v69, v63
	v_pk_mul_f32 v[62:63], v[64:65], v[54:55] op_sel:[0,1]
	s_delay_alu instid0(VALU_DEP_2) | instskip(NEXT) | instid1(VALU_DEP_2)
	v_pk_add_f32 v[28:29], v[28:29], v[68:69] neg_lo:[0,1] neg_hi:[0,1]
	v_pk_fma_f32 v[66:67], v[64:65], v[52:53], v[62:63] op_sel:[0,0,1] op_sel_hi:[1,1,0] neg_lo:[0,0,1] neg_hi:[0,0,1]
	v_pk_fma_f32 v[62:63], v[64:65], v[52:53], v[62:63] op_sel:[0,0,1] op_sel_hi:[1,0,0]
	s_delay_alu instid0(VALU_DEP_1) | instskip(SKIP_4) | instid1(VALU_DEP_1)
	v_mov_b32_e32 v67, v63
	ds_load_2addr_b64 v[62:65], v56 offset0:19 offset1:20
	v_pk_add_f32 v[8:9], v[8:9], v[66:67] neg_lo:[0,1] neg_hi:[0,1]
	s_wait_dscnt 0x0
	v_pk_mul_f32 v[66:67], v[62:63], v[54:55] op_sel:[0,1]
	v_pk_fma_f32 v[68:69], v[62:63], v[52:53], v[66:67] op_sel:[0,0,1] op_sel_hi:[1,1,0] neg_lo:[0,0,1] neg_hi:[0,0,1]
	v_pk_fma_f32 v[62:63], v[62:63], v[52:53], v[66:67] op_sel:[0,0,1] op_sel_hi:[1,0,0]
	v_dual_mul_f32 v66, v65, v55 :: v_dual_mov_b32 v62, v65
	s_delay_alu instid0(VALU_DEP_2) | instskip(NEXT) | instid1(VALU_DEP_2)
	v_dual_mov_b32 v69, v63 :: v_dual_mov_b32 v63, v64
	v_pk_fma_f32 v[66:67], v[64:65], v[6:7], v[66:67] op_sel_hi:[1,1,0] neg_lo:[0,0,1] neg_hi:[0,0,1]
	v_mul_f32_e32 v64, v65, v52
	s_delay_alu instid0(VALU_DEP_3) | instskip(NEXT) | instid1(VALU_DEP_2)
	v_pk_add_f32 v[26:27], v[26:27], v[68:69] neg_lo:[0,1] neg_hi:[0,1]
	v_pk_fma_f32 v[62:63], v[62:63], v[6:7], v[64:65] op_sel_hi:[1,1,0]
	s_delay_alu instid0(VALU_DEP_1)
	v_mov_b32_e32 v67, v63
	ds_load_2addr_b64 v[62:65], v56 offset0:21 offset1:22
	v_pk_add_f32 v[20:21], v[20:21], v[66:67] neg_lo:[0,1] neg_hi:[0,1]
	s_wait_dscnt 0x0
	v_pk_mul_f32 v[66:67], v[62:63], v[54:55] op_sel:[0,1]
	v_pk_mul_f32 v[54:55], v[64:65], v[54:55] op_sel:[0,1]
	s_delay_alu instid0(VALU_DEP_2) | instskip(SKIP_1) | instid1(VALU_DEP_1)
	v_pk_fma_f32 v[68:69], v[62:63], v[52:53], v[66:67] op_sel:[0,0,1] op_sel_hi:[1,1,0] neg_lo:[0,0,1] neg_hi:[0,0,1]
	v_pk_fma_f32 v[62:63], v[62:63], v[52:53], v[66:67] op_sel:[0,0,1] op_sel_hi:[1,0,0]
	v_mov_b32_e32 v69, v63
	s_delay_alu instid0(VALU_DEP_4) | instskip(SKIP_1) | instid1(VALU_DEP_1)
	v_pk_fma_f32 v[62:63], v[64:65], v[52:53], v[54:55] op_sel:[0,0,1] op_sel_hi:[1,1,0] neg_lo:[0,0,1] neg_hi:[0,0,1]
	v_pk_fma_f32 v[52:53], v[64:65], v[52:53], v[54:55] op_sel:[0,0,1] op_sel_hi:[1,0,0]
	v_mov_b32_e32 v63, v53
	s_delay_alu instid0(VALU_DEP_4) | instskip(NEXT) | instid1(VALU_DEP_2)
	v_pk_add_f32 v[18:19], v[18:19], v[68:69] neg_lo:[0,1] neg_hi:[0,1]
	v_pk_add_f32 v[50:51], v[50:51], v[62:63] neg_lo:[0,1] neg_hi:[0,1]
.LBB44_146:
	s_or_b32 exec_lo, exec_lo, s0
	v_lshl_add_u32 v52, v60, 3, v56
	s_barrier_signal -1
	s_barrier_wait -1
	ds_store_b64 v52, v[4:5]
	s_wait_dscnt 0x0
	s_barrier_signal -1
	s_barrier_wait -1
	ds_load_b64 v[54:55], v56 offset:56
	v_mov_b32_e32 v52, 7
	s_cmp_lt_i32 s14, 9
	s_cbranch_scc1 .LBB44_149
; %bb.147:
	v_add3_u32 v53, v57, 0, 64
	v_mov_b32_e32 v52, 7
	s_mov_b32 s0, 8
.LBB44_148:                             ; =>This Inner Loop Header: Depth=1
	ds_load_b64 v[62:63], v53
	s_wait_dscnt 0x1
	v_cmp_gt_f32_e32 vcc_lo, 0, v54
	v_cndmask_b32_e64 v64, v54, -v54, vcc_lo
	v_cmp_gt_f32_e32 vcc_lo, 0, v55
	v_cndmask_b32_e64 v66, v55, -v55, vcc_lo
	s_wait_dscnt 0x0
	v_cmp_gt_f32_e32 vcc_lo, 0, v62
	v_cndmask_b32_e64 v65, v62, -v62, vcc_lo
	v_cmp_gt_f32_e32 vcc_lo, 0, v63
	v_cndmask_b32_e64 v67, v63, -v63, vcc_lo
	s_delay_alu instid0(VALU_DEP_1) | instskip(NEXT) | instid1(VALU_DEP_1)
	v_pk_add_f32 v[64:65], v[64:65], v[66:67]
	v_cmp_lt_f32_e32 vcc_lo, v64, v65
	v_dual_add_nc_u32 v53, 8, v53 :: v_dual_cndmask_b32 v55, v55, v63, vcc_lo
	v_cndmask_b32_e32 v54, v54, v62, vcc_lo
	v_cndmask_b32_e64 v52, v52, s0, vcc_lo
	s_add_co_i32 s0, s0, 1
	s_delay_alu instid0(SALU_CYCLE_1)
	s_cmp_lg_u32 s14, s0
	s_cbranch_scc1 .LBB44_148
.LBB44_149:
	s_wait_dscnt 0x0
	v_cmp_eq_f32_e32 vcc_lo, 0, v54
	v_cmp_eq_f32_e64 s0, 0, v55
	s_and_b32 s0, vcc_lo, s0
	s_delay_alu instid0(SALU_CYCLE_1) | instskip(NEXT) | instid1(SALU_CYCLE_1)
	s_and_saveexec_b32 s1, s0
	s_xor_b32 s0, exec_lo, s1
; %bb.150:
	v_cmp_ne_u32_e32 vcc_lo, 0, v58
	v_cndmask_b32_e32 v58, 8, v58, vcc_lo
; %bb.151:
	s_and_not1_saveexec_b32 s0, s0
	s_cbranch_execz .LBB44_157
; %bb.152:
	v_cmp_ngt_f32_e64 s1, |v54|, |v55|
	s_and_saveexec_b32 s15, s1
	s_delay_alu instid0(SALU_CYCLE_1)
	s_xor_b32 s1, exec_lo, s15
	s_cbranch_execz .LBB44_154
; %bb.153:
	v_div_scale_f32 v53, null, v55, v55, v54
	v_div_scale_f32 v63, vcc_lo, v54, v55, v54
	s_delay_alu instid0(VALU_DEP_2) | instskip(SKIP_1) | instid1(TRANS32_DEP_1)
	v_rcp_f32_e32 v61, v53
	v_nop
	v_fma_f32 v62, -v53, v61, 1.0
	s_delay_alu instid0(VALU_DEP_1) | instskip(NEXT) | instid1(VALU_DEP_1)
	v_fmac_f32_e32 v61, v62, v61
	v_mul_f32_e32 v62, v63, v61
	s_delay_alu instid0(VALU_DEP_1) | instskip(NEXT) | instid1(VALU_DEP_1)
	v_fma_f32 v64, -v53, v62, v63
	v_fmac_f32_e32 v62, v64, v61
	s_delay_alu instid0(VALU_DEP_1) | instskip(NEXT) | instid1(VALU_DEP_1)
	v_fma_f32 v53, -v53, v62, v63
	v_div_fmas_f32 v53, v53, v61, v62
	s_delay_alu instid0(VALU_DEP_1) | instskip(NEXT) | instid1(VALU_DEP_1)
	v_div_fixup_f32 v53, v53, v55, v54
	v_fmac_f32_e32 v55, v54, v53
	s_delay_alu instid0(VALU_DEP_1) | instskip(SKIP_1) | instid1(VALU_DEP_2)
	v_div_scale_f32 v54, null, v55, v55, 1.0
	v_div_scale_f32 v63, vcc_lo, 1.0, v55, 1.0
	v_rcp_f32_e32 v61, v54
	v_nop
	s_delay_alu instid0(TRANS32_DEP_1) | instskip(NEXT) | instid1(VALU_DEP_1)
	v_fma_f32 v62, -v54, v61, 1.0
	v_fmac_f32_e32 v61, v62, v61
	s_delay_alu instid0(VALU_DEP_1) | instskip(NEXT) | instid1(VALU_DEP_1)
	v_mul_f32_e32 v62, v63, v61
	v_fma_f32 v64, -v54, v62, v63
	s_delay_alu instid0(VALU_DEP_1) | instskip(NEXT) | instid1(VALU_DEP_1)
	v_fmac_f32_e32 v62, v64, v61
	v_fma_f32 v54, -v54, v62, v63
	s_delay_alu instid0(VALU_DEP_1) | instskip(NEXT) | instid1(VALU_DEP_1)
	v_div_fmas_f32 v54, v54, v61, v62
	v_div_fixup_f32 v55, v54, v55, 1.0
	s_delay_alu instid0(VALU_DEP_1)
	v_mul_f32_e32 v54, v53, v55
	v_xor_b32_e32 v55, 0x80000000, v55
.LBB44_154:
	s_and_not1_saveexec_b32 s1, s1
	s_cbranch_execz .LBB44_156
; %bb.155:
	s_delay_alu instid0(VALU_DEP_1) | instskip(SKIP_1) | instid1(VALU_DEP_2)
	v_div_scale_f32 v53, null, v54, v54, v55
	v_div_scale_f32 v63, vcc_lo, v55, v54, v55
	v_rcp_f32_e32 v61, v53
	v_nop
	s_delay_alu instid0(TRANS32_DEP_1) | instskip(NEXT) | instid1(VALU_DEP_1)
	v_fma_f32 v62, -v53, v61, 1.0
	v_fmac_f32_e32 v61, v62, v61
	s_delay_alu instid0(VALU_DEP_1) | instskip(NEXT) | instid1(VALU_DEP_1)
	v_mul_f32_e32 v62, v63, v61
	v_fma_f32 v64, -v53, v62, v63
	s_delay_alu instid0(VALU_DEP_1) | instskip(NEXT) | instid1(VALU_DEP_1)
	v_fmac_f32_e32 v62, v64, v61
	v_fma_f32 v53, -v53, v62, v63
	s_delay_alu instid0(VALU_DEP_1) | instskip(NEXT) | instid1(VALU_DEP_1)
	v_div_fmas_f32 v53, v53, v61, v62
	v_div_fixup_f32 v53, v53, v54, v55
	s_delay_alu instid0(VALU_DEP_1) | instskip(NEXT) | instid1(VALU_DEP_1)
	v_fmac_f32_e32 v54, v55, v53
	v_div_scale_f32 v55, null, v54, v54, 1.0
	s_delay_alu instid0(VALU_DEP_1) | instskip(SKIP_1) | instid1(TRANS32_DEP_1)
	v_rcp_f32_e32 v61, v55
	v_nop
	v_fma_f32 v62, -v55, v61, 1.0
	s_delay_alu instid0(VALU_DEP_1) | instskip(SKIP_1) | instid1(VALU_DEP_1)
	v_fmac_f32_e32 v61, v62, v61
	v_div_scale_f32 v62, vcc_lo, 1.0, v54, 1.0
	v_mul_f32_e32 v63, v62, v61
	s_delay_alu instid0(VALU_DEP_1) | instskip(NEXT) | instid1(VALU_DEP_1)
	v_fma_f32 v64, -v55, v63, v62
	v_fmac_f32_e32 v63, v64, v61
	s_delay_alu instid0(VALU_DEP_1) | instskip(NEXT) | instid1(VALU_DEP_1)
	v_fma_f32 v55, -v55, v63, v62
	v_div_fmas_f32 v55, v55, v61, v63
	s_delay_alu instid0(VALU_DEP_1) | instskip(NEXT) | instid1(VALU_DEP_1)
	v_div_fixup_f32 v54, v55, v54, 1.0
	v_mul_f32_e64 v55, v53, -v54
.LBB44_156:
	s_or_b32 exec_lo, exec_lo, s1
.LBB44_157:
	s_delay_alu instid0(SALU_CYCLE_1) | instskip(NEXT) | instid1(SALU_CYCLE_1)
	s_or_b32 exec_lo, exec_lo, s0
	s_mov_b32 s0, exec_lo
	v_cmpx_ne_u32_e64 v60, v52
	s_xor_b32 s0, exec_lo, s0
	s_cbranch_execz .LBB44_163
; %bb.158:
	s_mov_b32 s1, exec_lo
	v_cmpx_eq_u32_e32 7, v60
	s_cbranch_execz .LBB44_162
; %bb.159:
	v_cmp_ne_u32_e32 vcc_lo, 7, v52
	s_xor_b32 s15, s12, -1
	s_delay_alu instid0(SALU_CYCLE_1) | instskip(NEXT) | instid1(SALU_CYCLE_1)
	s_and_b32 s16, s15, vcc_lo
	s_and_saveexec_b32 s15, s16
	s_cbranch_execz .LBB44_161
; %bb.160:
	v_ashrrev_i32_e32 v53, 31, v52
	s_delay_alu instid0(VALU_DEP_1)
	v_lshl_add_u64 v[60:61], v[52:53], 2, v[32:33]
	s_clause 0x1
	global_load_b32 v53, v[60:61], off
	global_load_b32 v59, v[32:33], off offset:28
	s_wait_loadcnt 0x1
	global_store_b32 v[32:33], v53, off offset:28
	s_wait_loadcnt 0x0
	global_store_b32 v[60:61], v59, off
.LBB44_161:
	s_wait_xcnt 0x0
	s_or_b32 exec_lo, exec_lo, s15
	v_dual_mov_b32 v60, v52 :: v_dual_mov_b32 v59, v52
.LBB44_162:
	s_or_b32 exec_lo, exec_lo, s1
.LBB44_163:
	s_and_not1_saveexec_b32 s0, s0
	s_cbranch_execz .LBB44_165
; %bb.164:
	v_dual_mov_b32 v52, v44 :: v_dual_mov_b32 v53, v45
	v_dual_mov_b32 v60, v42 :: v_dual_mov_b32 v61, v43
	;; [unrolled: 1-line block ×4, first 2 shown]
	ds_store_2addr_b64 v56, v[52:53], v[60:61] offset0:8 offset1:9
	ds_store_2addr_b64 v56, v[62:63], v[64:65] offset0:10 offset1:11
	v_dual_mov_b32 v52, v40 :: v_dual_mov_b32 v53, v41
	v_dual_mov_b32 v60, v38 :: v_dual_mov_b32 v61, v39
	;; [unrolled: 1-line block ×6, first 2 shown]
	ds_store_2addr_b64 v56, v[52:53], v[60:61] offset0:12 offset1:13
	ds_store_2addr_b64 v56, v[62:63], v[64:65] offset0:14 offset1:15
	v_dual_mov_b32 v60, 7 :: v_dual_mov_b32 v70, v8
	v_dual_mov_b32 v71, v9 :: v_dual_mov_b32 v72, v26
	;; [unrolled: 1-line block ×4, first 2 shown]
	v_mov_b32_e32 v77, v19
	ds_store_2addr_b64 v56, v[66:67], v[68:69] offset0:16 offset1:17
	ds_store_2addr_b64 v56, v[70:71], v[72:73] offset0:18 offset1:19
	;; [unrolled: 1-line block ×3, first 2 shown]
	ds_store_b64 v56, v[50:51] offset:176
.LBB44_165:
	s_or_b32 exec_lo, exec_lo, s0
	s_delay_alu instid0(SALU_CYCLE_1)
	s_mov_b32 s0, exec_lo
	s_wait_storecnt_dscnt 0x0
	s_barrier_signal -1
	s_barrier_wait -1
	v_cmpx_lt_i32_e32 7, v60
	s_cbranch_execz .LBB44_167
; %bb.166:
	v_pk_mul_f32 v[62:63], v[54:55], v[4:5] op_sel:[1,1] op_sel_hi:[0,1]
	s_delay_alu instid0(VALU_DEP_1)
	v_pk_fma_f32 v[52:53], v[54:55], v[4:5], v[62:63] op_sel_hi:[1,0,1] neg_lo:[0,0,1] neg_hi:[0,0,1]
	v_pk_fma_f32 v[54:55], v[54:55], v[4:5], v[62:63] op_sel_hi:[1,0,1]
	ds_load_2addr_b64 v[62:65], v56 offset0:8 offset1:9
	v_dual_mov_b32 v4, v52 :: v_dual_mov_b32 v5, v55
	s_wait_dscnt 0x0
	v_pk_mul_f32 v[66:67], v[62:63], v[54:55] op_sel:[0,1]
	s_delay_alu instid0(VALU_DEP_1) | instskip(SKIP_1) | instid1(VALU_DEP_1)
	v_pk_fma_f32 v[68:69], v[62:63], v[52:53], v[66:67] op_sel:[0,0,1] op_sel_hi:[1,1,0] neg_lo:[0,0,1] neg_hi:[0,0,1]
	v_pk_fma_f32 v[62:63], v[62:63], v[52:53], v[66:67] op_sel:[0,0,1] op_sel_hi:[1,0,0]
	v_mov_b32_e32 v69, v63
	v_pk_mul_f32 v[62:63], v[64:65], v[54:55] op_sel:[0,1]
	s_delay_alu instid0(VALU_DEP_1) | instskip(SKIP_1) | instid1(VALU_DEP_1)
	v_pk_fma_f32 v[66:67], v[64:65], v[52:53], v[62:63] op_sel:[0,0,1] op_sel_hi:[1,1,0] neg_lo:[0,0,1] neg_hi:[0,0,1]
	v_pk_fma_f32 v[62:63], v[64:65], v[52:53], v[62:63] op_sel:[0,0,1] op_sel_hi:[1,0,0]
	v_mov_b32_e32 v67, v63
	ds_load_2addr_b64 v[62:65], v56 offset0:10 offset1:11
	v_pk_add_f32 v[44:45], v[44:45], v[68:69] neg_lo:[0,1] neg_hi:[0,1]
	v_pk_add_f32 v[42:43], v[42:43], v[66:67] neg_lo:[0,1] neg_hi:[0,1]
	s_wait_dscnt 0x0
	v_pk_mul_f32 v[66:67], v[62:63], v[54:55] op_sel:[0,1]
	s_delay_alu instid0(VALU_DEP_1) | instskip(SKIP_2) | instid1(VALU_DEP_2)
	v_pk_fma_f32 v[68:69], v[62:63], v[52:53], v[66:67] op_sel:[0,0,1] op_sel_hi:[1,1,0] neg_lo:[0,0,1] neg_hi:[0,0,1]
	v_pk_fma_f32 v[62:63], v[62:63], v[52:53], v[66:67] op_sel:[0,0,1] op_sel_hi:[1,0,0]
	v_dual_mul_f32 v66, v65, v55 :: v_dual_mov_b32 v62, v65
	v_dual_mov_b32 v69, v63 :: v_dual_mov_b32 v63, v64
	s_delay_alu instid0(VALU_DEP_2) | instskip(SKIP_1) | instid1(VALU_DEP_3)
	v_pk_fma_f32 v[66:67], v[64:65], v[4:5], v[66:67] op_sel_hi:[1,1,0] neg_lo:[0,0,1] neg_hi:[0,0,1]
	v_mul_f32_e32 v64, v65, v52
	v_pk_add_f32 v[24:25], v[24:25], v[68:69] neg_lo:[0,1] neg_hi:[0,1]
	s_delay_alu instid0(VALU_DEP_2) | instskip(NEXT) | instid1(VALU_DEP_1)
	v_pk_fma_f32 v[62:63], v[62:63], v[4:5], v[64:65] op_sel_hi:[1,1,0]
	v_mov_b32_e32 v67, v63
	ds_load_2addr_b64 v[62:65], v56 offset0:12 offset1:13
	v_pk_add_f32 v[22:23], v[22:23], v[66:67] neg_lo:[0,1] neg_hi:[0,1]
	s_wait_dscnt 0x0
	v_pk_mul_f32 v[66:67], v[62:63], v[54:55] op_sel:[0,1]
	s_delay_alu instid0(VALU_DEP_1) | instskip(SKIP_1) | instid1(VALU_DEP_1)
	v_pk_fma_f32 v[68:69], v[62:63], v[52:53], v[66:67] op_sel:[0,0,1] op_sel_hi:[1,1,0] neg_lo:[0,0,1] neg_hi:[0,0,1]
	v_pk_fma_f32 v[62:63], v[62:63], v[52:53], v[66:67] op_sel:[0,0,1] op_sel_hi:[1,0,0]
	v_mov_b32_e32 v69, v63
	v_pk_mul_f32 v[62:63], v[64:65], v[54:55] op_sel:[0,1]
	s_delay_alu instid0(VALU_DEP_1) | instskip(SKIP_1) | instid1(VALU_DEP_1)
	v_pk_fma_f32 v[66:67], v[64:65], v[52:53], v[62:63] op_sel:[0,0,1] op_sel_hi:[1,1,0] neg_lo:[0,0,1] neg_hi:[0,0,1]
	v_pk_fma_f32 v[62:63], v[64:65], v[52:53], v[62:63] op_sel:[0,0,1] op_sel_hi:[1,0,0]
	v_mov_b32_e32 v67, v63
	ds_load_2addr_b64 v[62:65], v56 offset0:14 offset1:15
	v_pk_add_f32 v[40:41], v[40:41], v[68:69] neg_lo:[0,1] neg_hi:[0,1]
	v_pk_add_f32 v[38:39], v[38:39], v[66:67] neg_lo:[0,1] neg_hi:[0,1]
	s_wait_dscnt 0x0
	v_pk_mul_f32 v[66:67], v[62:63], v[54:55] op_sel:[0,1]
	s_delay_alu instid0(VALU_DEP_1) | instskip(SKIP_1) | instid1(VALU_DEP_1)
	v_pk_fma_f32 v[68:69], v[62:63], v[52:53], v[66:67] op_sel:[0,0,1] op_sel_hi:[1,1,0] neg_lo:[0,0,1] neg_hi:[0,0,1]
	v_pk_fma_f32 v[62:63], v[62:63], v[52:53], v[66:67] op_sel:[0,0,1] op_sel_hi:[1,0,0]
	v_mov_b32_e32 v69, v63
	v_pk_mul_f32 v[62:63], v[64:65], v[54:55] op_sel:[0,1]
	s_delay_alu instid0(VALU_DEP_1) | instskip(SKIP_1) | instid1(VALU_DEP_1)
	v_pk_fma_f32 v[66:67], v[64:65], v[52:53], v[62:63] op_sel:[0,0,1] op_sel_hi:[1,1,0] neg_lo:[0,0,1] neg_hi:[0,0,1]
	v_pk_fma_f32 v[62:63], v[64:65], v[52:53], v[62:63] op_sel:[0,0,1] op_sel_hi:[1,0,0]
	v_mov_b32_e32 v67, v63
	ds_load_2addr_b64 v[62:65], v56 offset0:16 offset1:17
	v_pk_add_f32 v[12:13], v[12:13], v[68:69] neg_lo:[0,1] neg_hi:[0,1]
	v_pk_add_f32 v[10:11], v[10:11], v[66:67] neg_lo:[0,1] neg_hi:[0,1]
	s_wait_dscnt 0x0
	v_dual_mul_f32 v66, v63, v55 :: v_dual_mul_f32 v68, v63, v52
	s_delay_alu instid0(VALU_DEP_1) | instskip(NEXT) | instid1(VALU_DEP_2)
	v_pk_fma_f32 v[66:67], v[62:63], v[4:5], v[66:67] op_sel_hi:[1,1,0] neg_lo:[0,0,1] neg_hi:[0,0,1]
	v_pk_fma_f32 v[62:63], v[62:63], v[4:5], v[68:69] op_sel:[1,0,0] op_sel_hi:[0,1,0]
	s_delay_alu instid0(VALU_DEP_1) | instskip(SKIP_1) | instid1(VALU_DEP_2)
	v_mov_b32_e32 v67, v63
	v_pk_mul_f32 v[62:63], v[64:65], v[54:55] op_sel:[0,1]
	v_pk_add_f32 v[30:31], v[30:31], v[66:67] neg_lo:[0,1] neg_hi:[0,1]
	s_delay_alu instid0(VALU_DEP_2) | instskip(SKIP_1) | instid1(VALU_DEP_1)
	v_pk_fma_f32 v[66:67], v[64:65], v[52:53], v[62:63] op_sel:[0,0,1] op_sel_hi:[1,1,0] neg_lo:[0,0,1] neg_hi:[0,0,1]
	v_pk_fma_f32 v[62:63], v[64:65], v[52:53], v[62:63] op_sel:[0,0,1] op_sel_hi:[1,0,0]
	v_mov_b32_e32 v67, v63
	ds_load_2addr_b64 v[62:65], v56 offset0:18 offset1:19
	v_pk_add_f32 v[28:29], v[28:29], v[66:67] neg_lo:[0,1] neg_hi:[0,1]
	s_wait_dscnt 0x0
	v_pk_mul_f32 v[66:67], v[62:63], v[54:55] op_sel:[0,1]
	s_delay_alu instid0(VALU_DEP_1) | instskip(SKIP_1) | instid1(VALU_DEP_1)
	v_pk_fma_f32 v[68:69], v[62:63], v[52:53], v[66:67] op_sel:[0,0,1] op_sel_hi:[1,1,0] neg_lo:[0,0,1] neg_hi:[0,0,1]
	v_pk_fma_f32 v[62:63], v[62:63], v[52:53], v[66:67] op_sel:[0,0,1] op_sel_hi:[1,0,0]
	v_mov_b32_e32 v69, v63
	v_pk_mul_f32 v[62:63], v[64:65], v[54:55] op_sel:[0,1]
	s_delay_alu instid0(VALU_DEP_2) | instskip(NEXT) | instid1(VALU_DEP_2)
	v_pk_add_f32 v[8:9], v[8:9], v[68:69] neg_lo:[0,1] neg_hi:[0,1]
	v_pk_fma_f32 v[66:67], v[64:65], v[52:53], v[62:63] op_sel:[0,0,1] op_sel_hi:[1,1,0] neg_lo:[0,0,1] neg_hi:[0,0,1]
	v_pk_fma_f32 v[62:63], v[64:65], v[52:53], v[62:63] op_sel:[0,0,1] op_sel_hi:[1,0,0]
	s_delay_alu instid0(VALU_DEP_1) | instskip(SKIP_4) | instid1(VALU_DEP_1)
	v_mov_b32_e32 v67, v63
	ds_load_2addr_b64 v[62:65], v56 offset0:20 offset1:21
	v_pk_add_f32 v[26:27], v[26:27], v[66:67] neg_lo:[0,1] neg_hi:[0,1]
	s_wait_dscnt 0x0
	v_pk_mul_f32 v[66:67], v[62:63], v[54:55] op_sel:[0,1]
	v_pk_fma_f32 v[68:69], v[62:63], v[52:53], v[66:67] op_sel:[0,0,1] op_sel_hi:[1,1,0] neg_lo:[0,0,1] neg_hi:[0,0,1]
	v_pk_fma_f32 v[62:63], v[62:63], v[52:53], v[66:67] op_sel:[0,0,1] op_sel_hi:[1,0,0]
	v_dual_mul_f32 v66, v65, v55 :: v_dual_mov_b32 v62, v65
	s_delay_alu instid0(VALU_DEP_2) | instskip(NEXT) | instid1(VALU_DEP_2)
	v_dual_mov_b32 v69, v63 :: v_dual_mov_b32 v63, v64
	v_pk_fma_f32 v[66:67], v[64:65], v[4:5], v[66:67] op_sel_hi:[1,1,0] neg_lo:[0,0,1] neg_hi:[0,0,1]
	v_mul_f32_e32 v64, v65, v52
	s_delay_alu instid0(VALU_DEP_3) | instskip(NEXT) | instid1(VALU_DEP_2)
	v_pk_add_f32 v[20:21], v[20:21], v[68:69] neg_lo:[0,1] neg_hi:[0,1]
	v_pk_fma_f32 v[62:63], v[62:63], v[4:5], v[64:65] op_sel_hi:[1,1,0]
	s_delay_alu instid0(VALU_DEP_1) | instskip(SKIP_4) | instid1(VALU_DEP_1)
	v_mov_b32_e32 v67, v63
	ds_load_b64 v[62:63], v56 offset:176
	v_pk_add_f32 v[18:19], v[18:19], v[66:67] neg_lo:[0,1] neg_hi:[0,1]
	s_wait_dscnt 0x0
	v_pk_mul_f32 v[54:55], v[62:63], v[54:55] op_sel:[0,1]
	v_pk_fma_f32 v[64:65], v[62:63], v[52:53], v[54:55] op_sel:[0,0,1] op_sel_hi:[1,1,0] neg_lo:[0,0,1] neg_hi:[0,0,1]
	v_pk_fma_f32 v[52:53], v[62:63], v[52:53], v[54:55] op_sel:[0,0,1] op_sel_hi:[1,0,0]
	s_delay_alu instid0(VALU_DEP_1) | instskip(NEXT) | instid1(VALU_DEP_1)
	v_mov_b32_e32 v65, v53
	v_pk_add_f32 v[50:51], v[50:51], v[64:65] neg_lo:[0,1] neg_hi:[0,1]
.LBB44_167:
	s_or_b32 exec_lo, exec_lo, s0
	v_lshl_add_u32 v52, v60, 3, v56
	s_barrier_signal -1
	s_barrier_wait -1
	ds_store_b64 v52, v[44:45]
	s_wait_dscnt 0x0
	s_barrier_signal -1
	s_barrier_wait -1
	ds_load_b64 v[54:55], v56 offset:64
	v_mov_b32_e32 v52, 8
	s_cmp_lt_i32 s14, 10
	s_cbranch_scc1 .LBB44_170
; %bb.168:
	v_add3_u32 v53, v57, 0, 0x48
	v_mov_b32_e32 v52, 8
	s_mov_b32 s0, 9
.LBB44_169:                             ; =>This Inner Loop Header: Depth=1
	ds_load_b64 v[62:63], v53
	s_wait_dscnt 0x1
	v_cmp_gt_f32_e32 vcc_lo, 0, v54
	v_cndmask_b32_e64 v64, v54, -v54, vcc_lo
	v_cmp_gt_f32_e32 vcc_lo, 0, v55
	v_cndmask_b32_e64 v66, v55, -v55, vcc_lo
	s_wait_dscnt 0x0
	v_cmp_gt_f32_e32 vcc_lo, 0, v62
	v_cndmask_b32_e64 v65, v62, -v62, vcc_lo
	v_cmp_gt_f32_e32 vcc_lo, 0, v63
	v_cndmask_b32_e64 v67, v63, -v63, vcc_lo
	s_delay_alu instid0(VALU_DEP_1) | instskip(NEXT) | instid1(VALU_DEP_1)
	v_pk_add_f32 v[64:65], v[64:65], v[66:67]
	v_cmp_lt_f32_e32 vcc_lo, v64, v65
	v_dual_add_nc_u32 v53, 8, v53 :: v_dual_cndmask_b32 v55, v55, v63, vcc_lo
	v_cndmask_b32_e32 v54, v54, v62, vcc_lo
	v_cndmask_b32_e64 v52, v52, s0, vcc_lo
	s_add_co_i32 s0, s0, 1
	s_delay_alu instid0(SALU_CYCLE_1)
	s_cmp_lg_u32 s14, s0
	s_cbranch_scc1 .LBB44_169
.LBB44_170:
	s_wait_dscnt 0x0
	v_cmp_eq_f32_e32 vcc_lo, 0, v54
	v_cmp_eq_f32_e64 s0, 0, v55
	s_and_b32 s0, vcc_lo, s0
	s_delay_alu instid0(SALU_CYCLE_1) | instskip(NEXT) | instid1(SALU_CYCLE_1)
	s_and_saveexec_b32 s1, s0
	s_xor_b32 s0, exec_lo, s1
; %bb.171:
	v_cmp_ne_u32_e32 vcc_lo, 0, v58
	v_cndmask_b32_e32 v58, 9, v58, vcc_lo
; %bb.172:
	s_and_not1_saveexec_b32 s0, s0
	s_cbranch_execz .LBB44_178
; %bb.173:
	v_cmp_ngt_f32_e64 s1, |v54|, |v55|
	s_and_saveexec_b32 s15, s1
	s_delay_alu instid0(SALU_CYCLE_1)
	s_xor_b32 s1, exec_lo, s15
	s_cbranch_execz .LBB44_175
; %bb.174:
	v_div_scale_f32 v53, null, v55, v55, v54
	v_div_scale_f32 v63, vcc_lo, v54, v55, v54
	s_delay_alu instid0(VALU_DEP_2) | instskip(SKIP_1) | instid1(TRANS32_DEP_1)
	v_rcp_f32_e32 v61, v53
	v_nop
	v_fma_f32 v62, -v53, v61, 1.0
	s_delay_alu instid0(VALU_DEP_1) | instskip(NEXT) | instid1(VALU_DEP_1)
	v_fmac_f32_e32 v61, v62, v61
	v_mul_f32_e32 v62, v63, v61
	s_delay_alu instid0(VALU_DEP_1) | instskip(NEXT) | instid1(VALU_DEP_1)
	v_fma_f32 v64, -v53, v62, v63
	v_fmac_f32_e32 v62, v64, v61
	s_delay_alu instid0(VALU_DEP_1) | instskip(NEXT) | instid1(VALU_DEP_1)
	v_fma_f32 v53, -v53, v62, v63
	v_div_fmas_f32 v53, v53, v61, v62
	s_delay_alu instid0(VALU_DEP_1) | instskip(NEXT) | instid1(VALU_DEP_1)
	v_div_fixup_f32 v53, v53, v55, v54
	v_fmac_f32_e32 v55, v54, v53
	s_delay_alu instid0(VALU_DEP_1) | instskip(SKIP_1) | instid1(VALU_DEP_2)
	v_div_scale_f32 v54, null, v55, v55, 1.0
	v_div_scale_f32 v63, vcc_lo, 1.0, v55, 1.0
	v_rcp_f32_e32 v61, v54
	v_nop
	s_delay_alu instid0(TRANS32_DEP_1) | instskip(NEXT) | instid1(VALU_DEP_1)
	v_fma_f32 v62, -v54, v61, 1.0
	v_fmac_f32_e32 v61, v62, v61
	s_delay_alu instid0(VALU_DEP_1) | instskip(NEXT) | instid1(VALU_DEP_1)
	v_mul_f32_e32 v62, v63, v61
	v_fma_f32 v64, -v54, v62, v63
	s_delay_alu instid0(VALU_DEP_1) | instskip(NEXT) | instid1(VALU_DEP_1)
	v_fmac_f32_e32 v62, v64, v61
	v_fma_f32 v54, -v54, v62, v63
	s_delay_alu instid0(VALU_DEP_1) | instskip(NEXT) | instid1(VALU_DEP_1)
	v_div_fmas_f32 v54, v54, v61, v62
	v_div_fixup_f32 v55, v54, v55, 1.0
	s_delay_alu instid0(VALU_DEP_1)
	v_mul_f32_e32 v54, v53, v55
	v_xor_b32_e32 v55, 0x80000000, v55
.LBB44_175:
	s_and_not1_saveexec_b32 s1, s1
	s_cbranch_execz .LBB44_177
; %bb.176:
	s_delay_alu instid0(VALU_DEP_1) | instskip(SKIP_1) | instid1(VALU_DEP_2)
	v_div_scale_f32 v53, null, v54, v54, v55
	v_div_scale_f32 v63, vcc_lo, v55, v54, v55
	v_rcp_f32_e32 v61, v53
	v_nop
	s_delay_alu instid0(TRANS32_DEP_1) | instskip(NEXT) | instid1(VALU_DEP_1)
	v_fma_f32 v62, -v53, v61, 1.0
	v_fmac_f32_e32 v61, v62, v61
	s_delay_alu instid0(VALU_DEP_1) | instskip(NEXT) | instid1(VALU_DEP_1)
	v_mul_f32_e32 v62, v63, v61
	v_fma_f32 v64, -v53, v62, v63
	s_delay_alu instid0(VALU_DEP_1) | instskip(NEXT) | instid1(VALU_DEP_1)
	v_fmac_f32_e32 v62, v64, v61
	v_fma_f32 v53, -v53, v62, v63
	s_delay_alu instid0(VALU_DEP_1) | instskip(NEXT) | instid1(VALU_DEP_1)
	v_div_fmas_f32 v53, v53, v61, v62
	v_div_fixup_f32 v53, v53, v54, v55
	s_delay_alu instid0(VALU_DEP_1) | instskip(NEXT) | instid1(VALU_DEP_1)
	v_fmac_f32_e32 v54, v55, v53
	v_div_scale_f32 v55, null, v54, v54, 1.0
	s_delay_alu instid0(VALU_DEP_1) | instskip(SKIP_1) | instid1(TRANS32_DEP_1)
	v_rcp_f32_e32 v61, v55
	v_nop
	v_fma_f32 v62, -v55, v61, 1.0
	s_delay_alu instid0(VALU_DEP_1) | instskip(SKIP_1) | instid1(VALU_DEP_1)
	v_fmac_f32_e32 v61, v62, v61
	v_div_scale_f32 v62, vcc_lo, 1.0, v54, 1.0
	v_mul_f32_e32 v63, v62, v61
	s_delay_alu instid0(VALU_DEP_1) | instskip(NEXT) | instid1(VALU_DEP_1)
	v_fma_f32 v64, -v55, v63, v62
	v_fmac_f32_e32 v63, v64, v61
	s_delay_alu instid0(VALU_DEP_1) | instskip(NEXT) | instid1(VALU_DEP_1)
	v_fma_f32 v55, -v55, v63, v62
	v_div_fmas_f32 v55, v55, v61, v63
	s_delay_alu instid0(VALU_DEP_1) | instskip(NEXT) | instid1(VALU_DEP_1)
	v_div_fixup_f32 v54, v55, v54, 1.0
	v_mul_f32_e64 v55, v53, -v54
.LBB44_177:
	s_or_b32 exec_lo, exec_lo, s1
.LBB44_178:
	s_delay_alu instid0(SALU_CYCLE_1) | instskip(NEXT) | instid1(SALU_CYCLE_1)
	s_or_b32 exec_lo, exec_lo, s0
	s_mov_b32 s0, exec_lo
	v_cmpx_ne_u32_e64 v60, v52
	s_xor_b32 s0, exec_lo, s0
	s_cbranch_execz .LBB44_184
; %bb.179:
	s_mov_b32 s1, exec_lo
	v_cmpx_eq_u32_e32 8, v60
	s_cbranch_execz .LBB44_183
; %bb.180:
	v_cmp_ne_u32_e32 vcc_lo, 8, v52
	s_xor_b32 s15, s12, -1
	s_delay_alu instid0(SALU_CYCLE_1) | instskip(NEXT) | instid1(SALU_CYCLE_1)
	s_and_b32 s16, s15, vcc_lo
	s_and_saveexec_b32 s15, s16
	s_cbranch_execz .LBB44_182
; %bb.181:
	v_ashrrev_i32_e32 v53, 31, v52
	s_delay_alu instid0(VALU_DEP_1)
	v_lshl_add_u64 v[60:61], v[52:53], 2, v[32:33]
	s_clause 0x1
	global_load_b32 v53, v[60:61], off
	global_load_b32 v59, v[32:33], off offset:32
	s_wait_loadcnt 0x1
	global_store_b32 v[32:33], v53, off offset:32
	s_wait_loadcnt 0x0
	global_store_b32 v[60:61], v59, off
.LBB44_182:
	s_wait_xcnt 0x0
	s_or_b32 exec_lo, exec_lo, s15
	v_dual_mov_b32 v60, v52 :: v_dual_mov_b32 v59, v52
.LBB44_183:
	s_or_b32 exec_lo, exec_lo, s1
.LBB44_184:
	s_and_not1_saveexec_b32 s0, s0
	s_cbranch_execz .LBB44_186
; %bb.185:
	v_mov_b32_e32 v60, 8
	ds_store_2addr_b64 v56, v[42:43], v[24:25] offset0:9 offset1:10
	ds_store_2addr_b64 v56, v[22:23], v[40:41] offset0:11 offset1:12
	;; [unrolled: 1-line block ×7, first 2 shown]
.LBB44_186:
	s_or_b32 exec_lo, exec_lo, s0
	s_delay_alu instid0(SALU_CYCLE_1)
	s_mov_b32 s0, exec_lo
	s_wait_storecnt_dscnt 0x0
	s_barrier_signal -1
	s_barrier_wait -1
	v_cmpx_lt_i32_e32 8, v60
	s_cbranch_execz .LBB44_188
; %bb.187:
	v_pk_mul_f32 v[62:63], v[54:55], v[44:45] op_sel:[1,1] op_sel_hi:[0,1]
	s_delay_alu instid0(VALU_DEP_1)
	v_pk_fma_f32 v[52:53], v[54:55], v[44:45], v[62:63] op_sel_hi:[1,0,1] neg_lo:[0,0,1] neg_hi:[0,0,1]
	v_pk_fma_f32 v[54:55], v[54:55], v[44:45], v[62:63] op_sel_hi:[1,0,1]
	ds_load_2addr_b64 v[62:65], v56 offset0:9 offset1:10
	v_dual_mov_b32 v44, v52 :: v_dual_mov_b32 v45, v55
	s_wait_dscnt 0x0
	v_pk_mul_f32 v[66:67], v[62:63], v[54:55] op_sel:[0,1]
	s_delay_alu instid0(VALU_DEP_1) | instskip(SKIP_1) | instid1(VALU_DEP_1)
	v_pk_fma_f32 v[68:69], v[62:63], v[52:53], v[66:67] op_sel:[0,0,1] op_sel_hi:[1,1,0] neg_lo:[0,0,1] neg_hi:[0,0,1]
	v_pk_fma_f32 v[62:63], v[62:63], v[52:53], v[66:67] op_sel:[0,0,1] op_sel_hi:[1,0,0]
	v_mov_b32_e32 v69, v63
	v_pk_mul_f32 v[62:63], v[64:65], v[54:55] op_sel:[0,1]
	s_delay_alu instid0(VALU_DEP_1) | instskip(SKIP_1) | instid1(VALU_DEP_1)
	v_pk_fma_f32 v[66:67], v[64:65], v[52:53], v[62:63] op_sel:[0,0,1] op_sel_hi:[1,1,0] neg_lo:[0,0,1] neg_hi:[0,0,1]
	v_pk_fma_f32 v[62:63], v[64:65], v[52:53], v[62:63] op_sel:[0,0,1] op_sel_hi:[1,0,0]
	v_mov_b32_e32 v67, v63
	ds_load_2addr_b64 v[62:65], v56 offset0:11 offset1:12
	v_pk_add_f32 v[42:43], v[42:43], v[68:69] neg_lo:[0,1] neg_hi:[0,1]
	v_pk_add_f32 v[24:25], v[24:25], v[66:67] neg_lo:[0,1] neg_hi:[0,1]
	s_wait_dscnt 0x0
	v_pk_mul_f32 v[66:67], v[62:63], v[54:55] op_sel:[0,1]
	s_delay_alu instid0(VALU_DEP_1) | instskip(SKIP_2) | instid1(VALU_DEP_2)
	v_pk_fma_f32 v[68:69], v[62:63], v[52:53], v[66:67] op_sel:[0,0,1] op_sel_hi:[1,1,0] neg_lo:[0,0,1] neg_hi:[0,0,1]
	v_pk_fma_f32 v[62:63], v[62:63], v[52:53], v[66:67] op_sel:[0,0,1] op_sel_hi:[1,0,0]
	v_dual_mul_f32 v66, v65, v55 :: v_dual_mov_b32 v62, v65
	v_dual_mov_b32 v69, v63 :: v_dual_mov_b32 v63, v64
	s_delay_alu instid0(VALU_DEP_2) | instskip(SKIP_1) | instid1(VALU_DEP_3)
	v_pk_fma_f32 v[66:67], v[64:65], v[44:45], v[66:67] op_sel_hi:[1,1,0] neg_lo:[0,0,1] neg_hi:[0,0,1]
	v_mul_f32_e32 v64, v65, v52
	v_pk_add_f32 v[22:23], v[22:23], v[68:69] neg_lo:[0,1] neg_hi:[0,1]
	s_delay_alu instid0(VALU_DEP_2) | instskip(NEXT) | instid1(VALU_DEP_1)
	v_pk_fma_f32 v[62:63], v[62:63], v[44:45], v[64:65] op_sel_hi:[1,1,0]
	v_mov_b32_e32 v67, v63
	ds_load_2addr_b64 v[62:65], v56 offset0:13 offset1:14
	v_pk_add_f32 v[40:41], v[40:41], v[66:67] neg_lo:[0,1] neg_hi:[0,1]
	s_wait_dscnt 0x0
	v_pk_mul_f32 v[66:67], v[62:63], v[54:55] op_sel:[0,1]
	s_delay_alu instid0(VALU_DEP_1) | instskip(SKIP_1) | instid1(VALU_DEP_1)
	v_pk_fma_f32 v[68:69], v[62:63], v[52:53], v[66:67] op_sel:[0,0,1] op_sel_hi:[1,1,0] neg_lo:[0,0,1] neg_hi:[0,0,1]
	v_pk_fma_f32 v[62:63], v[62:63], v[52:53], v[66:67] op_sel:[0,0,1] op_sel_hi:[1,0,0]
	v_mov_b32_e32 v69, v63
	v_pk_mul_f32 v[62:63], v[64:65], v[54:55] op_sel:[0,1]
	s_delay_alu instid0(VALU_DEP_1) | instskip(SKIP_1) | instid1(VALU_DEP_1)
	v_pk_fma_f32 v[66:67], v[64:65], v[52:53], v[62:63] op_sel:[0,0,1] op_sel_hi:[1,1,0] neg_lo:[0,0,1] neg_hi:[0,0,1]
	v_pk_fma_f32 v[62:63], v[64:65], v[52:53], v[62:63] op_sel:[0,0,1] op_sel_hi:[1,0,0]
	v_mov_b32_e32 v67, v63
	ds_load_2addr_b64 v[62:65], v56 offset0:15 offset1:16
	v_pk_add_f32 v[38:39], v[38:39], v[68:69] neg_lo:[0,1] neg_hi:[0,1]
	v_pk_add_f32 v[12:13], v[12:13], v[66:67] neg_lo:[0,1] neg_hi:[0,1]
	s_wait_dscnt 0x0
	v_pk_mul_f32 v[66:67], v[62:63], v[54:55] op_sel:[0,1]
	s_delay_alu instid0(VALU_DEP_1) | instskip(SKIP_1) | instid1(VALU_DEP_1)
	v_pk_fma_f32 v[68:69], v[62:63], v[52:53], v[66:67] op_sel:[0,0,1] op_sel_hi:[1,1,0] neg_lo:[0,0,1] neg_hi:[0,0,1]
	v_pk_fma_f32 v[62:63], v[62:63], v[52:53], v[66:67] op_sel:[0,0,1] op_sel_hi:[1,0,0]
	v_mov_b32_e32 v69, v63
	v_pk_mul_f32 v[62:63], v[64:65], v[54:55] op_sel:[0,1]
	s_delay_alu instid0(VALU_DEP_1) | instskip(SKIP_1) | instid1(VALU_DEP_1)
	v_pk_fma_f32 v[66:67], v[64:65], v[52:53], v[62:63] op_sel:[0,0,1] op_sel_hi:[1,1,0] neg_lo:[0,0,1] neg_hi:[0,0,1]
	v_pk_fma_f32 v[62:63], v[64:65], v[52:53], v[62:63] op_sel:[0,0,1] op_sel_hi:[1,0,0]
	v_mov_b32_e32 v67, v63
	ds_load_2addr_b64 v[62:65], v56 offset0:17 offset1:18
	v_pk_add_f32 v[10:11], v[10:11], v[68:69] neg_lo:[0,1] neg_hi:[0,1]
	v_pk_add_f32 v[30:31], v[30:31], v[66:67] neg_lo:[0,1] neg_hi:[0,1]
	s_wait_dscnt 0x0
	v_dual_mul_f32 v66, v63, v55 :: v_dual_mul_f32 v68, v63, v52
	s_delay_alu instid0(VALU_DEP_1) | instskip(NEXT) | instid1(VALU_DEP_2)
	v_pk_fma_f32 v[66:67], v[62:63], v[44:45], v[66:67] op_sel_hi:[1,1,0] neg_lo:[0,0,1] neg_hi:[0,0,1]
	v_pk_fma_f32 v[62:63], v[62:63], v[44:45], v[68:69] op_sel:[1,0,0] op_sel_hi:[0,1,0]
	s_delay_alu instid0(VALU_DEP_1) | instskip(SKIP_1) | instid1(VALU_DEP_2)
	v_mov_b32_e32 v67, v63
	v_pk_mul_f32 v[62:63], v[64:65], v[54:55] op_sel:[0,1]
	v_pk_add_f32 v[28:29], v[28:29], v[66:67] neg_lo:[0,1] neg_hi:[0,1]
	s_delay_alu instid0(VALU_DEP_2) | instskip(SKIP_1) | instid1(VALU_DEP_1)
	v_pk_fma_f32 v[66:67], v[64:65], v[52:53], v[62:63] op_sel:[0,0,1] op_sel_hi:[1,1,0] neg_lo:[0,0,1] neg_hi:[0,0,1]
	v_pk_fma_f32 v[62:63], v[64:65], v[52:53], v[62:63] op_sel:[0,0,1] op_sel_hi:[1,0,0]
	v_mov_b32_e32 v67, v63
	ds_load_2addr_b64 v[62:65], v56 offset0:19 offset1:20
	v_pk_add_f32 v[8:9], v[8:9], v[66:67] neg_lo:[0,1] neg_hi:[0,1]
	s_wait_dscnt 0x0
	v_pk_mul_f32 v[66:67], v[62:63], v[54:55] op_sel:[0,1]
	s_delay_alu instid0(VALU_DEP_1) | instskip(SKIP_1) | instid1(VALU_DEP_1)
	v_pk_fma_f32 v[68:69], v[62:63], v[52:53], v[66:67] op_sel:[0,0,1] op_sel_hi:[1,1,0] neg_lo:[0,0,1] neg_hi:[0,0,1]
	v_pk_fma_f32 v[62:63], v[62:63], v[52:53], v[66:67] op_sel:[0,0,1] op_sel_hi:[1,0,0]
	v_mov_b32_e32 v69, v63
	v_pk_mul_f32 v[62:63], v[64:65], v[54:55] op_sel:[0,1]
	s_delay_alu instid0(VALU_DEP_2) | instskip(NEXT) | instid1(VALU_DEP_2)
	v_pk_add_f32 v[26:27], v[26:27], v[68:69] neg_lo:[0,1] neg_hi:[0,1]
	v_pk_fma_f32 v[66:67], v[64:65], v[52:53], v[62:63] op_sel:[0,0,1] op_sel_hi:[1,1,0] neg_lo:[0,0,1] neg_hi:[0,0,1]
	v_pk_fma_f32 v[62:63], v[64:65], v[52:53], v[62:63] op_sel:[0,0,1] op_sel_hi:[1,0,0]
	s_delay_alu instid0(VALU_DEP_1)
	v_mov_b32_e32 v67, v63
	ds_load_2addr_b64 v[62:65], v56 offset0:21 offset1:22
	v_pk_add_f32 v[20:21], v[20:21], v[66:67] neg_lo:[0,1] neg_hi:[0,1]
	s_wait_dscnt 0x0
	v_pk_mul_f32 v[66:67], v[62:63], v[54:55] op_sel:[0,1]
	v_pk_mul_f32 v[54:55], v[64:65], v[54:55] op_sel:[0,1]
	s_delay_alu instid0(VALU_DEP_2) | instskip(SKIP_1) | instid1(VALU_DEP_1)
	v_pk_fma_f32 v[68:69], v[62:63], v[52:53], v[66:67] op_sel:[0,0,1] op_sel_hi:[1,1,0] neg_lo:[0,0,1] neg_hi:[0,0,1]
	v_pk_fma_f32 v[62:63], v[62:63], v[52:53], v[66:67] op_sel:[0,0,1] op_sel_hi:[1,0,0]
	v_mov_b32_e32 v69, v63
	s_delay_alu instid0(VALU_DEP_4) | instskip(SKIP_1) | instid1(VALU_DEP_3)
	v_pk_fma_f32 v[62:63], v[64:65], v[52:53], v[54:55] op_sel:[0,0,1] op_sel_hi:[1,1,0] neg_lo:[0,0,1] neg_hi:[0,0,1]
	v_pk_fma_f32 v[52:53], v[64:65], v[52:53], v[54:55] op_sel:[0,0,1] op_sel_hi:[1,0,0]
	v_pk_add_f32 v[18:19], v[18:19], v[68:69] neg_lo:[0,1] neg_hi:[0,1]
	s_delay_alu instid0(VALU_DEP_2) | instskip(NEXT) | instid1(VALU_DEP_1)
	v_mov_b32_e32 v63, v53
	v_pk_add_f32 v[50:51], v[50:51], v[62:63] neg_lo:[0,1] neg_hi:[0,1]
.LBB44_188:
	s_or_b32 exec_lo, exec_lo, s0
	v_lshl_add_u32 v52, v60, 3, v56
	s_barrier_signal -1
	s_barrier_wait -1
	ds_store_b64 v52, v[42:43]
	s_wait_dscnt 0x0
	s_barrier_signal -1
	s_barrier_wait -1
	ds_load_b64 v[52:53], v56 offset:72
	v_mov_b32_e32 v54, 9
	s_cmp_lt_i32 s14, 11
	s_cbranch_scc1 .LBB44_191
; %bb.189:
	v_add3_u32 v55, v57, 0, 0x50
	v_mov_b32_e32 v54, 9
	s_mov_b32 s0, 10
.LBB44_190:                             ; =>This Inner Loop Header: Depth=1
	ds_load_b64 v[62:63], v55
	s_wait_dscnt 0x1
	v_cmp_gt_f32_e32 vcc_lo, 0, v52
	v_cndmask_b32_e64 v64, v52, -v52, vcc_lo
	v_cmp_gt_f32_e32 vcc_lo, 0, v53
	v_cndmask_b32_e64 v66, v53, -v53, vcc_lo
	s_wait_dscnt 0x0
	v_cmp_gt_f32_e32 vcc_lo, 0, v62
	v_cndmask_b32_e64 v65, v62, -v62, vcc_lo
	v_cmp_gt_f32_e32 vcc_lo, 0, v63
	v_cndmask_b32_e64 v67, v63, -v63, vcc_lo
	s_delay_alu instid0(VALU_DEP_1) | instskip(NEXT) | instid1(VALU_DEP_1)
	v_pk_add_f32 v[64:65], v[64:65], v[66:67]
	v_cmp_lt_f32_e32 vcc_lo, v64, v65
	v_dual_cndmask_b32 v52, v52, v62 :: v_dual_add_nc_u32 v55, 8, v55
	v_cndmask_b32_e32 v53, v53, v63, vcc_lo
	v_cndmask_b32_e64 v54, v54, s0, vcc_lo
	s_add_co_i32 s0, s0, 1
	s_delay_alu instid0(SALU_CYCLE_1)
	s_cmp_lg_u32 s14, s0
	s_cbranch_scc1 .LBB44_190
.LBB44_191:
	s_wait_dscnt 0x0
	v_cmp_eq_f32_e32 vcc_lo, 0, v52
	v_cmp_eq_f32_e64 s0, 0, v53
	s_and_b32 s0, vcc_lo, s0
	s_delay_alu instid0(SALU_CYCLE_1) | instskip(NEXT) | instid1(SALU_CYCLE_1)
	s_and_saveexec_b32 s1, s0
	s_xor_b32 s0, exec_lo, s1
; %bb.192:
	v_cmp_ne_u32_e32 vcc_lo, 0, v58
	v_cndmask_b32_e32 v58, 10, v58, vcc_lo
; %bb.193:
	s_and_not1_saveexec_b32 s0, s0
	s_cbranch_execz .LBB44_199
; %bb.194:
	v_cmp_ngt_f32_e64 s1, |v52|, |v53|
	s_and_saveexec_b32 s15, s1
	s_delay_alu instid0(SALU_CYCLE_1)
	s_xor_b32 s1, exec_lo, s15
	s_cbranch_execz .LBB44_196
; %bb.195:
	v_div_scale_f32 v55, null, v53, v53, v52
	v_div_scale_f32 v63, vcc_lo, v52, v53, v52
	s_delay_alu instid0(VALU_DEP_2) | instskip(SKIP_1) | instid1(TRANS32_DEP_1)
	v_rcp_f32_e32 v61, v55
	v_nop
	v_fma_f32 v62, -v55, v61, 1.0
	s_delay_alu instid0(VALU_DEP_1) | instskip(NEXT) | instid1(VALU_DEP_1)
	v_fmac_f32_e32 v61, v62, v61
	v_mul_f32_e32 v62, v63, v61
	s_delay_alu instid0(VALU_DEP_1) | instskip(NEXT) | instid1(VALU_DEP_1)
	v_fma_f32 v64, -v55, v62, v63
	v_fmac_f32_e32 v62, v64, v61
	s_delay_alu instid0(VALU_DEP_1) | instskip(NEXT) | instid1(VALU_DEP_1)
	v_fma_f32 v55, -v55, v62, v63
	v_div_fmas_f32 v55, v55, v61, v62
	s_delay_alu instid0(VALU_DEP_1) | instskip(NEXT) | instid1(VALU_DEP_1)
	v_div_fixup_f32 v55, v55, v53, v52
	v_fmac_f32_e32 v53, v52, v55
	s_delay_alu instid0(VALU_DEP_1) | instskip(SKIP_1) | instid1(VALU_DEP_2)
	v_div_scale_f32 v52, null, v53, v53, 1.0
	v_div_scale_f32 v63, vcc_lo, 1.0, v53, 1.0
	v_rcp_f32_e32 v61, v52
	v_nop
	s_delay_alu instid0(TRANS32_DEP_1) | instskip(NEXT) | instid1(VALU_DEP_1)
	v_fma_f32 v62, -v52, v61, 1.0
	v_fmac_f32_e32 v61, v62, v61
	s_delay_alu instid0(VALU_DEP_1) | instskip(NEXT) | instid1(VALU_DEP_1)
	v_mul_f32_e32 v62, v63, v61
	v_fma_f32 v64, -v52, v62, v63
	s_delay_alu instid0(VALU_DEP_1) | instskip(NEXT) | instid1(VALU_DEP_1)
	v_fmac_f32_e32 v62, v64, v61
	v_fma_f32 v52, -v52, v62, v63
	s_delay_alu instid0(VALU_DEP_1) | instskip(NEXT) | instid1(VALU_DEP_1)
	v_div_fmas_f32 v52, v52, v61, v62
	v_div_fixup_f32 v53, v52, v53, 1.0
	s_delay_alu instid0(VALU_DEP_1)
	v_mul_f32_e32 v52, v55, v53
	v_xor_b32_e32 v53, 0x80000000, v53
.LBB44_196:
	s_and_not1_saveexec_b32 s1, s1
	s_cbranch_execz .LBB44_198
; %bb.197:
	s_delay_alu instid0(VALU_DEP_1) | instskip(SKIP_1) | instid1(VALU_DEP_2)
	v_div_scale_f32 v55, null, v52, v52, v53
	v_div_scale_f32 v63, vcc_lo, v53, v52, v53
	v_rcp_f32_e32 v61, v55
	v_nop
	s_delay_alu instid0(TRANS32_DEP_1) | instskip(NEXT) | instid1(VALU_DEP_1)
	v_fma_f32 v62, -v55, v61, 1.0
	v_fmac_f32_e32 v61, v62, v61
	s_delay_alu instid0(VALU_DEP_1) | instskip(NEXT) | instid1(VALU_DEP_1)
	v_mul_f32_e32 v62, v63, v61
	v_fma_f32 v64, -v55, v62, v63
	s_delay_alu instid0(VALU_DEP_1) | instskip(NEXT) | instid1(VALU_DEP_1)
	v_fmac_f32_e32 v62, v64, v61
	v_fma_f32 v55, -v55, v62, v63
	s_delay_alu instid0(VALU_DEP_1) | instskip(NEXT) | instid1(VALU_DEP_1)
	v_div_fmas_f32 v55, v55, v61, v62
	v_div_fixup_f32 v55, v55, v52, v53
	s_delay_alu instid0(VALU_DEP_1) | instskip(NEXT) | instid1(VALU_DEP_1)
	v_fmac_f32_e32 v52, v53, v55
	v_div_scale_f32 v53, null, v52, v52, 1.0
	s_delay_alu instid0(VALU_DEP_1) | instskip(SKIP_1) | instid1(TRANS32_DEP_1)
	v_rcp_f32_e32 v61, v53
	v_nop
	v_fma_f32 v62, -v53, v61, 1.0
	s_delay_alu instid0(VALU_DEP_1) | instskip(SKIP_1) | instid1(VALU_DEP_1)
	v_fmac_f32_e32 v61, v62, v61
	v_div_scale_f32 v62, vcc_lo, 1.0, v52, 1.0
	v_mul_f32_e32 v63, v62, v61
	s_delay_alu instid0(VALU_DEP_1) | instskip(NEXT) | instid1(VALU_DEP_1)
	v_fma_f32 v64, -v53, v63, v62
	v_fmac_f32_e32 v63, v64, v61
	s_delay_alu instid0(VALU_DEP_1) | instskip(NEXT) | instid1(VALU_DEP_1)
	v_fma_f32 v53, -v53, v63, v62
	v_div_fmas_f32 v53, v53, v61, v63
	s_delay_alu instid0(VALU_DEP_1) | instskip(NEXT) | instid1(VALU_DEP_1)
	v_div_fixup_f32 v52, v53, v52, 1.0
	v_mul_f32_e64 v53, v55, -v52
.LBB44_198:
	s_or_b32 exec_lo, exec_lo, s1
.LBB44_199:
	s_delay_alu instid0(SALU_CYCLE_1) | instskip(NEXT) | instid1(SALU_CYCLE_1)
	s_or_b32 exec_lo, exec_lo, s0
	s_mov_b32 s0, exec_lo
	v_cmpx_ne_u32_e64 v60, v54
	s_xor_b32 s0, exec_lo, s0
	s_cbranch_execz .LBB44_205
; %bb.200:
	s_mov_b32 s1, exec_lo
	v_cmpx_eq_u32_e32 9, v60
	s_cbranch_execz .LBB44_204
; %bb.201:
	v_cmp_ne_u32_e32 vcc_lo, 9, v54
	s_xor_b32 s15, s12, -1
	s_delay_alu instid0(SALU_CYCLE_1) | instskip(NEXT) | instid1(SALU_CYCLE_1)
	s_and_b32 s16, s15, vcc_lo
	s_and_saveexec_b32 s15, s16
	s_cbranch_execz .LBB44_203
; %bb.202:
	v_ashrrev_i32_e32 v55, 31, v54
	s_delay_alu instid0(VALU_DEP_1)
	v_lshl_add_u64 v[60:61], v[54:55], 2, v[32:33]
	s_clause 0x1
	global_load_b32 v55, v[60:61], off
	global_load_b32 v59, v[32:33], off offset:36
	s_wait_loadcnt 0x1
	global_store_b32 v[32:33], v55, off offset:36
	s_wait_loadcnt 0x0
	global_store_b32 v[60:61], v59, off
.LBB44_203:
	s_wait_xcnt 0x0
	s_or_b32 exec_lo, exec_lo, s15
	v_dual_mov_b32 v60, v54 :: v_dual_mov_b32 v59, v54
.LBB44_204:
	s_or_b32 exec_lo, exec_lo, s1
.LBB44_205:
	s_and_not1_saveexec_b32 s0, s0
	s_cbranch_execz .LBB44_207
; %bb.206:
	v_dual_mov_b32 v54, v24 :: v_dual_mov_b32 v55, v25
	v_dual_mov_b32 v60, v22 :: v_dual_mov_b32 v61, v23
	;; [unrolled: 1-line block ×4, first 2 shown]
	ds_store_2addr_b64 v56, v[54:55], v[60:61] offset0:10 offset1:11
	ds_store_2addr_b64 v56, v[62:63], v[64:65] offset0:12 offset1:13
	v_dual_mov_b32 v54, v12 :: v_dual_mov_b32 v55, v13
	v_dual_mov_b32 v62, v10 :: v_dual_mov_b32 v63, v11
	;; [unrolled: 1-line block ×8, first 2 shown]
	v_mov_b32_e32 v75, v19
	ds_store_2addr_b64 v56, v[54:55], v[62:63] offset0:14 offset1:15
	ds_store_2addr_b64 v56, v[64:65], v[66:67] offset0:16 offset1:17
	;; [unrolled: 1-line block ×4, first 2 shown]
	ds_store_b64 v56, v[50:51] offset:176
.LBB44_207:
	s_or_b32 exec_lo, exec_lo, s0
	s_delay_alu instid0(SALU_CYCLE_1)
	s_mov_b32 s0, exec_lo
	s_wait_storecnt_dscnt 0x0
	s_barrier_signal -1
	s_barrier_wait -1
	v_cmpx_lt_i32_e32 9, v60
	s_cbranch_execz .LBB44_209
; %bb.208:
	v_pk_mul_f32 v[54:55], v[52:53], v[42:43] op_sel:[1,1] op_sel_hi:[0,1]
	s_delay_alu instid0(VALU_DEP_1)
	v_pk_fma_f32 v[62:63], v[52:53], v[42:43], v[54:55] op_sel_hi:[1,0,1] neg_lo:[0,0,1] neg_hi:[0,0,1]
	v_pk_fma_f32 v[64:65], v[52:53], v[42:43], v[54:55] op_sel_hi:[1,0,1]
	ds_load_2addr_b64 v[52:55], v56 offset0:10 offset1:11
	v_dual_mov_b32 v42, v62 :: v_dual_mov_b32 v43, v65
	s_wait_dscnt 0x0
	v_pk_mul_f32 v[66:67], v[52:53], v[64:65] op_sel:[0,1]
	s_delay_alu instid0(VALU_DEP_1) | instskip(SKIP_1) | instid1(VALU_DEP_1)
	v_pk_fma_f32 v[68:69], v[52:53], v[62:63], v[66:67] op_sel:[0,0,1] op_sel_hi:[1,1,0] neg_lo:[0,0,1] neg_hi:[0,0,1]
	v_pk_fma_f32 v[52:53], v[52:53], v[62:63], v[66:67] op_sel:[0,0,1] op_sel_hi:[1,0,0]
	v_mov_b32_e32 v69, v53
	v_pk_mul_f32 v[52:53], v[54:55], v[64:65] op_sel:[0,1]
	s_delay_alu instid0(VALU_DEP_1) | instskip(SKIP_1) | instid1(VALU_DEP_1)
	v_pk_fma_f32 v[66:67], v[54:55], v[62:63], v[52:53] op_sel:[0,0,1] op_sel_hi:[1,1,0] neg_lo:[0,0,1] neg_hi:[0,0,1]
	v_pk_fma_f32 v[52:53], v[54:55], v[62:63], v[52:53] op_sel:[0,0,1] op_sel_hi:[1,0,0]
	v_mov_b32_e32 v67, v53
	ds_load_2addr_b64 v[52:55], v56 offset0:12 offset1:13
	v_pk_add_f32 v[24:25], v[24:25], v[68:69] neg_lo:[0,1] neg_hi:[0,1]
	v_pk_add_f32 v[22:23], v[22:23], v[66:67] neg_lo:[0,1] neg_hi:[0,1]
	s_wait_dscnt 0x0
	v_pk_mul_f32 v[66:67], v[52:53], v[64:65] op_sel:[0,1]
	s_delay_alu instid0(VALU_DEP_1) | instskip(SKIP_2) | instid1(VALU_DEP_2)
	v_pk_fma_f32 v[68:69], v[52:53], v[62:63], v[66:67] op_sel:[0,0,1] op_sel_hi:[1,1,0] neg_lo:[0,0,1] neg_hi:[0,0,1]
	v_pk_fma_f32 v[52:53], v[52:53], v[62:63], v[66:67] op_sel:[0,0,1] op_sel_hi:[1,0,0]
	v_dual_mul_f32 v66, v55, v65 :: v_dual_mov_b32 v52, v55
	v_dual_mov_b32 v69, v53 :: v_dual_mov_b32 v53, v54
	s_delay_alu instid0(VALU_DEP_2) | instskip(SKIP_1) | instid1(VALU_DEP_3)
	v_pk_fma_f32 v[66:67], v[54:55], v[42:43], v[66:67] op_sel_hi:[1,1,0] neg_lo:[0,0,1] neg_hi:[0,0,1]
	v_mul_f32_e32 v54, v55, v62
	v_pk_add_f32 v[40:41], v[40:41], v[68:69] neg_lo:[0,1] neg_hi:[0,1]
	s_delay_alu instid0(VALU_DEP_2) | instskip(NEXT) | instid1(VALU_DEP_1)
	v_pk_fma_f32 v[52:53], v[52:53], v[42:43], v[54:55] op_sel_hi:[1,1,0]
	v_mov_b32_e32 v67, v53
	ds_load_2addr_b64 v[52:55], v56 offset0:14 offset1:15
	v_pk_add_f32 v[38:39], v[38:39], v[66:67] neg_lo:[0,1] neg_hi:[0,1]
	s_wait_dscnt 0x0
	v_pk_mul_f32 v[66:67], v[52:53], v[64:65] op_sel:[0,1]
	s_delay_alu instid0(VALU_DEP_1) | instskip(SKIP_1) | instid1(VALU_DEP_1)
	v_pk_fma_f32 v[68:69], v[52:53], v[62:63], v[66:67] op_sel:[0,0,1] op_sel_hi:[1,1,0] neg_lo:[0,0,1] neg_hi:[0,0,1]
	v_pk_fma_f32 v[52:53], v[52:53], v[62:63], v[66:67] op_sel:[0,0,1] op_sel_hi:[1,0,0]
	v_mov_b32_e32 v69, v53
	v_pk_mul_f32 v[52:53], v[54:55], v[64:65] op_sel:[0,1]
	s_delay_alu instid0(VALU_DEP_1) | instskip(SKIP_1) | instid1(VALU_DEP_1)
	v_pk_fma_f32 v[66:67], v[54:55], v[62:63], v[52:53] op_sel:[0,0,1] op_sel_hi:[1,1,0] neg_lo:[0,0,1] neg_hi:[0,0,1]
	v_pk_fma_f32 v[52:53], v[54:55], v[62:63], v[52:53] op_sel:[0,0,1] op_sel_hi:[1,0,0]
	v_mov_b32_e32 v67, v53
	ds_load_2addr_b64 v[52:55], v56 offset0:16 offset1:17
	v_pk_add_f32 v[12:13], v[12:13], v[68:69] neg_lo:[0,1] neg_hi:[0,1]
	v_pk_add_f32 v[10:11], v[10:11], v[66:67] neg_lo:[0,1] neg_hi:[0,1]
	s_wait_dscnt 0x0
	v_pk_mul_f32 v[66:67], v[52:53], v[64:65] op_sel:[0,1]
	s_delay_alu instid0(VALU_DEP_1) | instskip(SKIP_1) | instid1(VALU_DEP_1)
	v_pk_fma_f32 v[68:69], v[52:53], v[62:63], v[66:67] op_sel:[0,0,1] op_sel_hi:[1,1,0] neg_lo:[0,0,1] neg_hi:[0,0,1]
	v_pk_fma_f32 v[52:53], v[52:53], v[62:63], v[66:67] op_sel:[0,0,1] op_sel_hi:[1,0,0]
	v_mov_b32_e32 v69, v53
	v_pk_mul_f32 v[52:53], v[54:55], v[64:65] op_sel:[0,1]
	s_delay_alu instid0(VALU_DEP_1) | instskip(SKIP_1) | instid1(VALU_DEP_1)
	v_pk_fma_f32 v[66:67], v[54:55], v[62:63], v[52:53] op_sel:[0,0,1] op_sel_hi:[1,1,0] neg_lo:[0,0,1] neg_hi:[0,0,1]
	v_pk_fma_f32 v[52:53], v[54:55], v[62:63], v[52:53] op_sel:[0,0,1] op_sel_hi:[1,0,0]
	v_mov_b32_e32 v67, v53
	ds_load_2addr_b64 v[52:55], v56 offset0:18 offset1:19
	v_pk_add_f32 v[30:31], v[30:31], v[68:69] neg_lo:[0,1] neg_hi:[0,1]
	v_pk_add_f32 v[28:29], v[28:29], v[66:67] neg_lo:[0,1] neg_hi:[0,1]
	s_wait_dscnt 0x0
	v_dual_mul_f32 v66, v53, v65 :: v_dual_mul_f32 v68, v53, v62
	s_delay_alu instid0(VALU_DEP_1) | instskip(NEXT) | instid1(VALU_DEP_2)
	v_pk_fma_f32 v[66:67], v[52:53], v[42:43], v[66:67] op_sel_hi:[1,1,0] neg_lo:[0,0,1] neg_hi:[0,0,1]
	v_pk_fma_f32 v[52:53], v[52:53], v[42:43], v[68:69] op_sel:[1,0,0] op_sel_hi:[0,1,0]
	s_delay_alu instid0(VALU_DEP_1) | instskip(SKIP_1) | instid1(VALU_DEP_2)
	v_mov_b32_e32 v67, v53
	v_pk_mul_f32 v[52:53], v[54:55], v[64:65] op_sel:[0,1]
	v_pk_add_f32 v[8:9], v[8:9], v[66:67] neg_lo:[0,1] neg_hi:[0,1]
	s_delay_alu instid0(VALU_DEP_2) | instskip(SKIP_1) | instid1(VALU_DEP_1)
	v_pk_fma_f32 v[66:67], v[54:55], v[62:63], v[52:53] op_sel:[0,0,1] op_sel_hi:[1,1,0] neg_lo:[0,0,1] neg_hi:[0,0,1]
	v_pk_fma_f32 v[52:53], v[54:55], v[62:63], v[52:53] op_sel:[0,0,1] op_sel_hi:[1,0,0]
	v_mov_b32_e32 v67, v53
	ds_load_2addr_b64 v[52:55], v56 offset0:20 offset1:21
	v_pk_add_f32 v[26:27], v[26:27], v[66:67] neg_lo:[0,1] neg_hi:[0,1]
	s_wait_dscnt 0x0
	v_pk_mul_f32 v[66:67], v[52:53], v[64:65] op_sel:[0,1]
	s_delay_alu instid0(VALU_DEP_1) | instskip(SKIP_1) | instid1(VALU_DEP_1)
	v_pk_fma_f32 v[68:69], v[52:53], v[62:63], v[66:67] op_sel:[0,0,1] op_sel_hi:[1,1,0] neg_lo:[0,0,1] neg_hi:[0,0,1]
	v_pk_fma_f32 v[52:53], v[52:53], v[62:63], v[66:67] op_sel:[0,0,1] op_sel_hi:[1,0,0]
	v_mov_b32_e32 v69, v53
	v_pk_mul_f32 v[52:53], v[54:55], v[64:65] op_sel:[0,1]
	s_delay_alu instid0(VALU_DEP_2) | instskip(NEXT) | instid1(VALU_DEP_2)
	v_pk_add_f32 v[20:21], v[20:21], v[68:69] neg_lo:[0,1] neg_hi:[0,1]
	v_pk_fma_f32 v[66:67], v[54:55], v[62:63], v[52:53] op_sel:[0,0,1] op_sel_hi:[1,1,0] neg_lo:[0,0,1] neg_hi:[0,0,1]
	v_pk_fma_f32 v[52:53], v[54:55], v[62:63], v[52:53] op_sel:[0,0,1] op_sel_hi:[1,0,0]
	s_delay_alu instid0(VALU_DEP_1) | instskip(SKIP_4) | instid1(VALU_DEP_1)
	v_mov_b32_e32 v67, v53
	ds_load_b64 v[52:53], v56 offset:176
	v_pk_add_f32 v[18:19], v[18:19], v[66:67] neg_lo:[0,1] neg_hi:[0,1]
	s_wait_dscnt 0x0
	v_pk_mul_f32 v[54:55], v[52:53], v[64:65] op_sel:[0,1]
	v_pk_fma_f32 v[64:65], v[52:53], v[62:63], v[54:55] op_sel:[0,0,1] op_sel_hi:[1,1,0] neg_lo:[0,0,1] neg_hi:[0,0,1]
	v_pk_fma_f32 v[52:53], v[52:53], v[62:63], v[54:55] op_sel:[0,0,1] op_sel_hi:[1,0,0]
	s_delay_alu instid0(VALU_DEP_1) | instskip(NEXT) | instid1(VALU_DEP_1)
	v_mov_b32_e32 v65, v53
	v_pk_add_f32 v[50:51], v[50:51], v[64:65] neg_lo:[0,1] neg_hi:[0,1]
.LBB44_209:
	s_or_b32 exec_lo, exec_lo, s0
	v_lshl_add_u32 v52, v60, 3, v56
	s_barrier_signal -1
	s_barrier_wait -1
	ds_store_b64 v52, v[24:25]
	s_wait_dscnt 0x0
	s_barrier_signal -1
	s_barrier_wait -1
	ds_load_b64 v[52:53], v56 offset:80
	v_mov_b32_e32 v54, 10
	s_cmp_lt_i32 s14, 12
	s_cbranch_scc1 .LBB44_212
; %bb.210:
	v_add3_u32 v55, v57, 0, 0x58
	v_mov_b32_e32 v54, 10
	s_mov_b32 s0, 11
.LBB44_211:                             ; =>This Inner Loop Header: Depth=1
	ds_load_b64 v[62:63], v55
	s_wait_dscnt 0x1
	v_cmp_gt_f32_e32 vcc_lo, 0, v52
	v_cndmask_b32_e64 v64, v52, -v52, vcc_lo
	v_cmp_gt_f32_e32 vcc_lo, 0, v53
	v_cndmask_b32_e64 v66, v53, -v53, vcc_lo
	s_wait_dscnt 0x0
	v_cmp_gt_f32_e32 vcc_lo, 0, v62
	v_cndmask_b32_e64 v65, v62, -v62, vcc_lo
	v_cmp_gt_f32_e32 vcc_lo, 0, v63
	v_cndmask_b32_e64 v67, v63, -v63, vcc_lo
	s_delay_alu instid0(VALU_DEP_1) | instskip(NEXT) | instid1(VALU_DEP_1)
	v_pk_add_f32 v[64:65], v[64:65], v[66:67]
	v_cmp_lt_f32_e32 vcc_lo, v64, v65
	v_dual_cndmask_b32 v52, v52, v62 :: v_dual_add_nc_u32 v55, 8, v55
	v_cndmask_b32_e32 v53, v53, v63, vcc_lo
	v_cndmask_b32_e64 v54, v54, s0, vcc_lo
	s_add_co_i32 s0, s0, 1
	s_delay_alu instid0(SALU_CYCLE_1)
	s_cmp_lg_u32 s14, s0
	s_cbranch_scc1 .LBB44_211
.LBB44_212:
	s_wait_dscnt 0x0
	v_cmp_eq_f32_e32 vcc_lo, 0, v52
	v_cmp_eq_f32_e64 s0, 0, v53
	s_and_b32 s0, vcc_lo, s0
	s_delay_alu instid0(SALU_CYCLE_1) | instskip(NEXT) | instid1(SALU_CYCLE_1)
	s_and_saveexec_b32 s1, s0
	s_xor_b32 s0, exec_lo, s1
; %bb.213:
	v_cmp_ne_u32_e32 vcc_lo, 0, v58
	v_cndmask_b32_e32 v58, 11, v58, vcc_lo
; %bb.214:
	s_and_not1_saveexec_b32 s0, s0
	s_cbranch_execz .LBB44_220
; %bb.215:
	v_cmp_ngt_f32_e64 s1, |v52|, |v53|
	s_and_saveexec_b32 s15, s1
	s_delay_alu instid0(SALU_CYCLE_1)
	s_xor_b32 s1, exec_lo, s15
	s_cbranch_execz .LBB44_217
; %bb.216:
	v_div_scale_f32 v55, null, v53, v53, v52
	v_div_scale_f32 v63, vcc_lo, v52, v53, v52
	s_delay_alu instid0(VALU_DEP_2) | instskip(SKIP_1) | instid1(TRANS32_DEP_1)
	v_rcp_f32_e32 v61, v55
	v_nop
	v_fma_f32 v62, -v55, v61, 1.0
	s_delay_alu instid0(VALU_DEP_1) | instskip(NEXT) | instid1(VALU_DEP_1)
	v_fmac_f32_e32 v61, v62, v61
	v_mul_f32_e32 v62, v63, v61
	s_delay_alu instid0(VALU_DEP_1) | instskip(NEXT) | instid1(VALU_DEP_1)
	v_fma_f32 v64, -v55, v62, v63
	v_fmac_f32_e32 v62, v64, v61
	s_delay_alu instid0(VALU_DEP_1) | instskip(NEXT) | instid1(VALU_DEP_1)
	v_fma_f32 v55, -v55, v62, v63
	v_div_fmas_f32 v55, v55, v61, v62
	s_delay_alu instid0(VALU_DEP_1) | instskip(NEXT) | instid1(VALU_DEP_1)
	v_div_fixup_f32 v55, v55, v53, v52
	v_fmac_f32_e32 v53, v52, v55
	s_delay_alu instid0(VALU_DEP_1) | instskip(SKIP_1) | instid1(VALU_DEP_2)
	v_div_scale_f32 v52, null, v53, v53, 1.0
	v_div_scale_f32 v63, vcc_lo, 1.0, v53, 1.0
	v_rcp_f32_e32 v61, v52
	v_nop
	s_delay_alu instid0(TRANS32_DEP_1) | instskip(NEXT) | instid1(VALU_DEP_1)
	v_fma_f32 v62, -v52, v61, 1.0
	v_fmac_f32_e32 v61, v62, v61
	s_delay_alu instid0(VALU_DEP_1) | instskip(NEXT) | instid1(VALU_DEP_1)
	v_mul_f32_e32 v62, v63, v61
	v_fma_f32 v64, -v52, v62, v63
	s_delay_alu instid0(VALU_DEP_1) | instskip(NEXT) | instid1(VALU_DEP_1)
	v_fmac_f32_e32 v62, v64, v61
	v_fma_f32 v52, -v52, v62, v63
	s_delay_alu instid0(VALU_DEP_1) | instskip(NEXT) | instid1(VALU_DEP_1)
	v_div_fmas_f32 v52, v52, v61, v62
	v_div_fixup_f32 v53, v52, v53, 1.0
	s_delay_alu instid0(VALU_DEP_1)
	v_mul_f32_e32 v52, v55, v53
	v_xor_b32_e32 v53, 0x80000000, v53
.LBB44_217:
	s_and_not1_saveexec_b32 s1, s1
	s_cbranch_execz .LBB44_219
; %bb.218:
	s_delay_alu instid0(VALU_DEP_1) | instskip(SKIP_1) | instid1(VALU_DEP_2)
	v_div_scale_f32 v55, null, v52, v52, v53
	v_div_scale_f32 v63, vcc_lo, v53, v52, v53
	v_rcp_f32_e32 v61, v55
	v_nop
	s_delay_alu instid0(TRANS32_DEP_1) | instskip(NEXT) | instid1(VALU_DEP_1)
	v_fma_f32 v62, -v55, v61, 1.0
	v_fmac_f32_e32 v61, v62, v61
	s_delay_alu instid0(VALU_DEP_1) | instskip(NEXT) | instid1(VALU_DEP_1)
	v_mul_f32_e32 v62, v63, v61
	v_fma_f32 v64, -v55, v62, v63
	s_delay_alu instid0(VALU_DEP_1) | instskip(NEXT) | instid1(VALU_DEP_1)
	v_fmac_f32_e32 v62, v64, v61
	v_fma_f32 v55, -v55, v62, v63
	s_delay_alu instid0(VALU_DEP_1) | instskip(NEXT) | instid1(VALU_DEP_1)
	v_div_fmas_f32 v55, v55, v61, v62
	v_div_fixup_f32 v55, v55, v52, v53
	s_delay_alu instid0(VALU_DEP_1) | instskip(NEXT) | instid1(VALU_DEP_1)
	v_fmac_f32_e32 v52, v53, v55
	v_div_scale_f32 v53, null, v52, v52, 1.0
	s_delay_alu instid0(VALU_DEP_1) | instskip(SKIP_1) | instid1(TRANS32_DEP_1)
	v_rcp_f32_e32 v61, v53
	v_nop
	v_fma_f32 v62, -v53, v61, 1.0
	s_delay_alu instid0(VALU_DEP_1) | instskip(SKIP_1) | instid1(VALU_DEP_1)
	v_fmac_f32_e32 v61, v62, v61
	v_div_scale_f32 v62, vcc_lo, 1.0, v52, 1.0
	v_mul_f32_e32 v63, v62, v61
	s_delay_alu instid0(VALU_DEP_1) | instskip(NEXT) | instid1(VALU_DEP_1)
	v_fma_f32 v64, -v53, v63, v62
	v_fmac_f32_e32 v63, v64, v61
	s_delay_alu instid0(VALU_DEP_1) | instskip(NEXT) | instid1(VALU_DEP_1)
	v_fma_f32 v53, -v53, v63, v62
	v_div_fmas_f32 v53, v53, v61, v63
	s_delay_alu instid0(VALU_DEP_1) | instskip(NEXT) | instid1(VALU_DEP_1)
	v_div_fixup_f32 v52, v53, v52, 1.0
	v_mul_f32_e64 v53, v55, -v52
.LBB44_219:
	s_or_b32 exec_lo, exec_lo, s1
.LBB44_220:
	s_delay_alu instid0(SALU_CYCLE_1) | instskip(NEXT) | instid1(SALU_CYCLE_1)
	s_or_b32 exec_lo, exec_lo, s0
	s_mov_b32 s0, exec_lo
	v_cmpx_ne_u32_e64 v60, v54
	s_xor_b32 s0, exec_lo, s0
	s_cbranch_execz .LBB44_226
; %bb.221:
	s_mov_b32 s1, exec_lo
	v_cmpx_eq_u32_e32 10, v60
	s_cbranch_execz .LBB44_225
; %bb.222:
	v_cmp_ne_u32_e32 vcc_lo, 10, v54
	s_xor_b32 s15, s12, -1
	s_delay_alu instid0(SALU_CYCLE_1) | instskip(NEXT) | instid1(SALU_CYCLE_1)
	s_and_b32 s16, s15, vcc_lo
	s_and_saveexec_b32 s15, s16
	s_cbranch_execz .LBB44_224
; %bb.223:
	v_ashrrev_i32_e32 v55, 31, v54
	s_delay_alu instid0(VALU_DEP_1)
	v_lshl_add_u64 v[60:61], v[54:55], 2, v[32:33]
	s_clause 0x1
	global_load_b32 v55, v[60:61], off
	global_load_b32 v59, v[32:33], off offset:40
	s_wait_loadcnt 0x1
	global_store_b32 v[32:33], v55, off offset:40
	s_wait_loadcnt 0x0
	global_store_b32 v[60:61], v59, off
.LBB44_224:
	s_wait_xcnt 0x0
	s_or_b32 exec_lo, exec_lo, s15
	v_dual_mov_b32 v60, v54 :: v_dual_mov_b32 v59, v54
.LBB44_225:
	s_or_b32 exec_lo, exec_lo, s1
.LBB44_226:
	s_and_not1_saveexec_b32 s0, s0
	s_cbranch_execz .LBB44_228
; %bb.227:
	v_mov_b32_e32 v60, 10
	ds_store_2addr_b64 v56, v[22:23], v[40:41] offset0:11 offset1:12
	ds_store_2addr_b64 v56, v[38:39], v[12:13] offset0:13 offset1:14
	;; [unrolled: 1-line block ×6, first 2 shown]
.LBB44_228:
	s_or_b32 exec_lo, exec_lo, s0
	s_delay_alu instid0(SALU_CYCLE_1)
	s_mov_b32 s0, exec_lo
	s_wait_storecnt_dscnt 0x0
	s_barrier_signal -1
	s_barrier_wait -1
	v_cmpx_lt_i32_e32 10, v60
	s_cbranch_execz .LBB44_230
; %bb.229:
	v_pk_mul_f32 v[54:55], v[52:53], v[24:25] op_sel:[1,1] op_sel_hi:[0,1]
	s_delay_alu instid0(VALU_DEP_1)
	v_pk_fma_f32 v[62:63], v[52:53], v[24:25], v[54:55] op_sel_hi:[1,0,1] neg_lo:[0,0,1] neg_hi:[0,0,1]
	v_pk_fma_f32 v[64:65], v[52:53], v[24:25], v[54:55] op_sel_hi:[1,0,1]
	ds_load_2addr_b64 v[52:55], v56 offset0:11 offset1:12
	v_dual_mov_b32 v24, v62 :: v_dual_mov_b32 v25, v65
	s_wait_dscnt 0x0
	v_pk_mul_f32 v[66:67], v[52:53], v[64:65] op_sel:[0,1]
	s_delay_alu instid0(VALU_DEP_1) | instskip(SKIP_1) | instid1(VALU_DEP_1)
	v_pk_fma_f32 v[68:69], v[52:53], v[62:63], v[66:67] op_sel:[0,0,1] op_sel_hi:[1,1,0] neg_lo:[0,0,1] neg_hi:[0,0,1]
	v_pk_fma_f32 v[52:53], v[52:53], v[62:63], v[66:67] op_sel:[0,0,1] op_sel_hi:[1,0,0]
	v_mov_b32_e32 v69, v53
	v_pk_mul_f32 v[52:53], v[54:55], v[64:65] op_sel:[0,1]
	s_delay_alu instid0(VALU_DEP_1) | instskip(SKIP_1) | instid1(VALU_DEP_1)
	v_pk_fma_f32 v[66:67], v[54:55], v[62:63], v[52:53] op_sel:[0,0,1] op_sel_hi:[1,1,0] neg_lo:[0,0,1] neg_hi:[0,0,1]
	v_pk_fma_f32 v[52:53], v[54:55], v[62:63], v[52:53] op_sel:[0,0,1] op_sel_hi:[1,0,0]
	v_mov_b32_e32 v67, v53
	ds_load_2addr_b64 v[52:55], v56 offset0:13 offset1:14
	v_pk_add_f32 v[22:23], v[22:23], v[68:69] neg_lo:[0,1] neg_hi:[0,1]
	v_pk_add_f32 v[40:41], v[40:41], v[66:67] neg_lo:[0,1] neg_hi:[0,1]
	s_wait_dscnt 0x0
	v_pk_mul_f32 v[66:67], v[52:53], v[64:65] op_sel:[0,1]
	s_delay_alu instid0(VALU_DEP_1) | instskip(SKIP_2) | instid1(VALU_DEP_2)
	v_pk_fma_f32 v[68:69], v[52:53], v[62:63], v[66:67] op_sel:[0,0,1] op_sel_hi:[1,1,0] neg_lo:[0,0,1] neg_hi:[0,0,1]
	v_pk_fma_f32 v[52:53], v[52:53], v[62:63], v[66:67] op_sel:[0,0,1] op_sel_hi:[1,0,0]
	v_dual_mul_f32 v66, v55, v65 :: v_dual_mov_b32 v52, v55
	v_dual_mov_b32 v69, v53 :: v_dual_mov_b32 v53, v54
	s_delay_alu instid0(VALU_DEP_2) | instskip(SKIP_1) | instid1(VALU_DEP_3)
	v_pk_fma_f32 v[66:67], v[54:55], v[24:25], v[66:67] op_sel_hi:[1,1,0] neg_lo:[0,0,1] neg_hi:[0,0,1]
	v_mul_f32_e32 v54, v55, v62
	v_pk_add_f32 v[38:39], v[38:39], v[68:69] neg_lo:[0,1] neg_hi:[0,1]
	s_delay_alu instid0(VALU_DEP_2) | instskip(NEXT) | instid1(VALU_DEP_1)
	v_pk_fma_f32 v[52:53], v[52:53], v[24:25], v[54:55] op_sel_hi:[1,1,0]
	v_mov_b32_e32 v67, v53
	ds_load_2addr_b64 v[52:55], v56 offset0:15 offset1:16
	v_pk_add_f32 v[12:13], v[12:13], v[66:67] neg_lo:[0,1] neg_hi:[0,1]
	s_wait_dscnt 0x0
	v_pk_mul_f32 v[66:67], v[52:53], v[64:65] op_sel:[0,1]
	s_delay_alu instid0(VALU_DEP_1) | instskip(SKIP_1) | instid1(VALU_DEP_1)
	v_pk_fma_f32 v[68:69], v[52:53], v[62:63], v[66:67] op_sel:[0,0,1] op_sel_hi:[1,1,0] neg_lo:[0,0,1] neg_hi:[0,0,1]
	v_pk_fma_f32 v[52:53], v[52:53], v[62:63], v[66:67] op_sel:[0,0,1] op_sel_hi:[1,0,0]
	v_mov_b32_e32 v69, v53
	v_pk_mul_f32 v[52:53], v[54:55], v[64:65] op_sel:[0,1]
	s_delay_alu instid0(VALU_DEP_1) | instskip(SKIP_1) | instid1(VALU_DEP_1)
	v_pk_fma_f32 v[66:67], v[54:55], v[62:63], v[52:53] op_sel:[0,0,1] op_sel_hi:[1,1,0] neg_lo:[0,0,1] neg_hi:[0,0,1]
	v_pk_fma_f32 v[52:53], v[54:55], v[62:63], v[52:53] op_sel:[0,0,1] op_sel_hi:[1,0,0]
	v_mov_b32_e32 v67, v53
	ds_load_2addr_b64 v[52:55], v56 offset0:17 offset1:18
	v_pk_add_f32 v[10:11], v[10:11], v[68:69] neg_lo:[0,1] neg_hi:[0,1]
	v_pk_add_f32 v[30:31], v[30:31], v[66:67] neg_lo:[0,1] neg_hi:[0,1]
	s_wait_dscnt 0x0
	v_pk_mul_f32 v[66:67], v[52:53], v[64:65] op_sel:[0,1]
	s_delay_alu instid0(VALU_DEP_1) | instskip(SKIP_1) | instid1(VALU_DEP_1)
	v_pk_fma_f32 v[68:69], v[52:53], v[62:63], v[66:67] op_sel:[0,0,1] op_sel_hi:[1,1,0] neg_lo:[0,0,1] neg_hi:[0,0,1]
	v_pk_fma_f32 v[52:53], v[52:53], v[62:63], v[66:67] op_sel:[0,0,1] op_sel_hi:[1,0,0]
	v_mov_b32_e32 v69, v53
	v_pk_mul_f32 v[52:53], v[54:55], v[64:65] op_sel:[0,1]
	s_delay_alu instid0(VALU_DEP_1) | instskip(SKIP_1) | instid1(VALU_DEP_1)
	v_pk_fma_f32 v[66:67], v[54:55], v[62:63], v[52:53] op_sel:[0,0,1] op_sel_hi:[1,1,0] neg_lo:[0,0,1] neg_hi:[0,0,1]
	v_pk_fma_f32 v[52:53], v[54:55], v[62:63], v[52:53] op_sel:[0,0,1] op_sel_hi:[1,0,0]
	v_mov_b32_e32 v67, v53
	ds_load_2addr_b64 v[52:55], v56 offset0:19 offset1:20
	v_pk_add_f32 v[28:29], v[28:29], v[68:69] neg_lo:[0,1] neg_hi:[0,1]
	v_pk_add_f32 v[8:9], v[8:9], v[66:67] neg_lo:[0,1] neg_hi:[0,1]
	s_wait_dscnt 0x0
	v_dual_mul_f32 v66, v53, v65 :: v_dual_mul_f32 v68, v53, v62
	s_delay_alu instid0(VALU_DEP_1) | instskip(NEXT) | instid1(VALU_DEP_2)
	v_pk_fma_f32 v[66:67], v[52:53], v[24:25], v[66:67] op_sel_hi:[1,1,0] neg_lo:[0,0,1] neg_hi:[0,0,1]
	v_pk_fma_f32 v[52:53], v[52:53], v[24:25], v[68:69] op_sel:[1,0,0] op_sel_hi:[0,1,0]
	s_delay_alu instid0(VALU_DEP_1) | instskip(SKIP_1) | instid1(VALU_DEP_2)
	v_mov_b32_e32 v67, v53
	v_pk_mul_f32 v[52:53], v[54:55], v[64:65] op_sel:[0,1]
	v_pk_add_f32 v[26:27], v[26:27], v[66:67] neg_lo:[0,1] neg_hi:[0,1]
	s_delay_alu instid0(VALU_DEP_2) | instskip(SKIP_1) | instid1(VALU_DEP_1)
	v_pk_fma_f32 v[66:67], v[54:55], v[62:63], v[52:53] op_sel:[0,0,1] op_sel_hi:[1,1,0] neg_lo:[0,0,1] neg_hi:[0,0,1]
	v_pk_fma_f32 v[52:53], v[54:55], v[62:63], v[52:53] op_sel:[0,0,1] op_sel_hi:[1,0,0]
	v_mov_b32_e32 v67, v53
	ds_load_2addr_b64 v[52:55], v56 offset0:21 offset1:22
	v_pk_add_f32 v[20:21], v[20:21], v[66:67] neg_lo:[0,1] neg_hi:[0,1]
	s_wait_dscnt 0x0
	v_pk_mul_f32 v[66:67], v[52:53], v[64:65] op_sel:[0,1]
	v_mul_f32_e32 v64, v55, v65
	s_delay_alu instid0(VALU_DEP_2) | instskip(SKIP_2) | instid1(VALU_DEP_4)
	v_pk_fma_f32 v[68:69], v[52:53], v[62:63], v[66:67] op_sel:[0,0,1] op_sel_hi:[1,1,0] neg_lo:[0,0,1] neg_hi:[0,0,1]
	v_pk_fma_f32 v[52:53], v[52:53], v[62:63], v[66:67] op_sel:[0,0,1] op_sel_hi:[1,0,0]
	v_mov_b32_e32 v52, v55
	v_pk_fma_f32 v[64:65], v[54:55], v[24:25], v[64:65] op_sel_hi:[1,1,0] neg_lo:[0,0,1] neg_hi:[0,0,1]
	s_delay_alu instid0(VALU_DEP_3) | instskip(SKIP_1) | instid1(VALU_DEP_2)
	v_dual_mov_b32 v69, v53 :: v_dual_mov_b32 v53, v54
	v_mul_f32_e32 v54, v55, v62
	v_pk_add_f32 v[18:19], v[18:19], v[68:69] neg_lo:[0,1] neg_hi:[0,1]
	s_delay_alu instid0(VALU_DEP_2) | instskip(NEXT) | instid1(VALU_DEP_1)
	v_pk_fma_f32 v[52:53], v[52:53], v[24:25], v[54:55] op_sel_hi:[1,1,0]
	v_mov_b32_e32 v65, v53
	s_delay_alu instid0(VALU_DEP_1)
	v_pk_add_f32 v[50:51], v[50:51], v[64:65] neg_lo:[0,1] neg_hi:[0,1]
.LBB44_230:
	s_or_b32 exec_lo, exec_lo, s0
	v_lshl_add_u32 v52, v60, 3, v56
	s_barrier_signal -1
	s_barrier_wait -1
	ds_store_b64 v52, v[22:23]
	s_wait_dscnt 0x0
	s_barrier_signal -1
	s_barrier_wait -1
	ds_load_b64 v[52:53], v56 offset:88
	v_mov_b32_e32 v54, 11
	s_cmp_lt_i32 s14, 13
	s_cbranch_scc1 .LBB44_233
; %bb.231:
	v_add3_u32 v55, v57, 0, 0x60
	v_mov_b32_e32 v54, 11
	s_mov_b32 s0, 12
.LBB44_232:                             ; =>This Inner Loop Header: Depth=1
	ds_load_b64 v[62:63], v55
	s_wait_dscnt 0x1
	v_cmp_gt_f32_e32 vcc_lo, 0, v52
	v_cndmask_b32_e64 v64, v52, -v52, vcc_lo
	v_cmp_gt_f32_e32 vcc_lo, 0, v53
	v_cndmask_b32_e64 v66, v53, -v53, vcc_lo
	s_wait_dscnt 0x0
	v_cmp_gt_f32_e32 vcc_lo, 0, v62
	v_cndmask_b32_e64 v65, v62, -v62, vcc_lo
	v_cmp_gt_f32_e32 vcc_lo, 0, v63
	v_cndmask_b32_e64 v67, v63, -v63, vcc_lo
	s_delay_alu instid0(VALU_DEP_1) | instskip(NEXT) | instid1(VALU_DEP_1)
	v_pk_add_f32 v[64:65], v[64:65], v[66:67]
	v_cmp_lt_f32_e32 vcc_lo, v64, v65
	v_dual_cndmask_b32 v52, v52, v62 :: v_dual_add_nc_u32 v55, 8, v55
	v_cndmask_b32_e32 v53, v53, v63, vcc_lo
	v_cndmask_b32_e64 v54, v54, s0, vcc_lo
	s_add_co_i32 s0, s0, 1
	s_delay_alu instid0(SALU_CYCLE_1)
	s_cmp_lg_u32 s14, s0
	s_cbranch_scc1 .LBB44_232
.LBB44_233:
	s_wait_dscnt 0x0
	v_cmp_eq_f32_e32 vcc_lo, 0, v52
	v_cmp_eq_f32_e64 s0, 0, v53
	s_and_b32 s0, vcc_lo, s0
	s_delay_alu instid0(SALU_CYCLE_1) | instskip(NEXT) | instid1(SALU_CYCLE_1)
	s_and_saveexec_b32 s1, s0
	s_xor_b32 s0, exec_lo, s1
; %bb.234:
	v_cmp_ne_u32_e32 vcc_lo, 0, v58
	v_cndmask_b32_e32 v58, 12, v58, vcc_lo
; %bb.235:
	s_and_not1_saveexec_b32 s0, s0
	s_cbranch_execz .LBB44_241
; %bb.236:
	v_cmp_ngt_f32_e64 s1, |v52|, |v53|
	s_and_saveexec_b32 s15, s1
	s_delay_alu instid0(SALU_CYCLE_1)
	s_xor_b32 s1, exec_lo, s15
	s_cbranch_execz .LBB44_238
; %bb.237:
	v_div_scale_f32 v55, null, v53, v53, v52
	v_div_scale_f32 v63, vcc_lo, v52, v53, v52
	s_delay_alu instid0(VALU_DEP_2) | instskip(SKIP_1) | instid1(TRANS32_DEP_1)
	v_rcp_f32_e32 v61, v55
	v_nop
	v_fma_f32 v62, -v55, v61, 1.0
	s_delay_alu instid0(VALU_DEP_1) | instskip(NEXT) | instid1(VALU_DEP_1)
	v_fmac_f32_e32 v61, v62, v61
	v_mul_f32_e32 v62, v63, v61
	s_delay_alu instid0(VALU_DEP_1) | instskip(NEXT) | instid1(VALU_DEP_1)
	v_fma_f32 v64, -v55, v62, v63
	v_fmac_f32_e32 v62, v64, v61
	s_delay_alu instid0(VALU_DEP_1) | instskip(NEXT) | instid1(VALU_DEP_1)
	v_fma_f32 v55, -v55, v62, v63
	v_div_fmas_f32 v55, v55, v61, v62
	s_delay_alu instid0(VALU_DEP_1) | instskip(NEXT) | instid1(VALU_DEP_1)
	v_div_fixup_f32 v55, v55, v53, v52
	v_fmac_f32_e32 v53, v52, v55
	s_delay_alu instid0(VALU_DEP_1) | instskip(SKIP_1) | instid1(VALU_DEP_2)
	v_div_scale_f32 v52, null, v53, v53, 1.0
	v_div_scale_f32 v63, vcc_lo, 1.0, v53, 1.0
	v_rcp_f32_e32 v61, v52
	v_nop
	s_delay_alu instid0(TRANS32_DEP_1) | instskip(NEXT) | instid1(VALU_DEP_1)
	v_fma_f32 v62, -v52, v61, 1.0
	v_fmac_f32_e32 v61, v62, v61
	s_delay_alu instid0(VALU_DEP_1) | instskip(NEXT) | instid1(VALU_DEP_1)
	v_mul_f32_e32 v62, v63, v61
	v_fma_f32 v64, -v52, v62, v63
	s_delay_alu instid0(VALU_DEP_1) | instskip(NEXT) | instid1(VALU_DEP_1)
	v_fmac_f32_e32 v62, v64, v61
	v_fma_f32 v52, -v52, v62, v63
	s_delay_alu instid0(VALU_DEP_1) | instskip(NEXT) | instid1(VALU_DEP_1)
	v_div_fmas_f32 v52, v52, v61, v62
	v_div_fixup_f32 v53, v52, v53, 1.0
	s_delay_alu instid0(VALU_DEP_1)
	v_mul_f32_e32 v52, v55, v53
	v_xor_b32_e32 v53, 0x80000000, v53
.LBB44_238:
	s_and_not1_saveexec_b32 s1, s1
	s_cbranch_execz .LBB44_240
; %bb.239:
	s_delay_alu instid0(VALU_DEP_1) | instskip(SKIP_1) | instid1(VALU_DEP_2)
	v_div_scale_f32 v55, null, v52, v52, v53
	v_div_scale_f32 v63, vcc_lo, v53, v52, v53
	v_rcp_f32_e32 v61, v55
	v_nop
	s_delay_alu instid0(TRANS32_DEP_1) | instskip(NEXT) | instid1(VALU_DEP_1)
	v_fma_f32 v62, -v55, v61, 1.0
	v_fmac_f32_e32 v61, v62, v61
	s_delay_alu instid0(VALU_DEP_1) | instskip(NEXT) | instid1(VALU_DEP_1)
	v_mul_f32_e32 v62, v63, v61
	v_fma_f32 v64, -v55, v62, v63
	s_delay_alu instid0(VALU_DEP_1) | instskip(NEXT) | instid1(VALU_DEP_1)
	v_fmac_f32_e32 v62, v64, v61
	v_fma_f32 v55, -v55, v62, v63
	s_delay_alu instid0(VALU_DEP_1) | instskip(NEXT) | instid1(VALU_DEP_1)
	v_div_fmas_f32 v55, v55, v61, v62
	v_div_fixup_f32 v55, v55, v52, v53
	s_delay_alu instid0(VALU_DEP_1) | instskip(NEXT) | instid1(VALU_DEP_1)
	v_fmac_f32_e32 v52, v53, v55
	v_div_scale_f32 v53, null, v52, v52, 1.0
	s_delay_alu instid0(VALU_DEP_1) | instskip(SKIP_1) | instid1(TRANS32_DEP_1)
	v_rcp_f32_e32 v61, v53
	v_nop
	v_fma_f32 v62, -v53, v61, 1.0
	s_delay_alu instid0(VALU_DEP_1) | instskip(SKIP_1) | instid1(VALU_DEP_1)
	v_fmac_f32_e32 v61, v62, v61
	v_div_scale_f32 v62, vcc_lo, 1.0, v52, 1.0
	v_mul_f32_e32 v63, v62, v61
	s_delay_alu instid0(VALU_DEP_1) | instskip(NEXT) | instid1(VALU_DEP_1)
	v_fma_f32 v64, -v53, v63, v62
	v_fmac_f32_e32 v63, v64, v61
	s_delay_alu instid0(VALU_DEP_1) | instskip(NEXT) | instid1(VALU_DEP_1)
	v_fma_f32 v53, -v53, v63, v62
	v_div_fmas_f32 v53, v53, v61, v63
	s_delay_alu instid0(VALU_DEP_1) | instskip(NEXT) | instid1(VALU_DEP_1)
	v_div_fixup_f32 v52, v53, v52, 1.0
	v_mul_f32_e64 v53, v55, -v52
.LBB44_240:
	s_or_b32 exec_lo, exec_lo, s1
.LBB44_241:
	s_delay_alu instid0(SALU_CYCLE_1) | instskip(NEXT) | instid1(SALU_CYCLE_1)
	s_or_b32 exec_lo, exec_lo, s0
	s_mov_b32 s0, exec_lo
	v_cmpx_ne_u32_e64 v60, v54
	s_xor_b32 s0, exec_lo, s0
	s_cbranch_execz .LBB44_247
; %bb.242:
	s_mov_b32 s1, exec_lo
	v_cmpx_eq_u32_e32 11, v60
	s_cbranch_execz .LBB44_246
; %bb.243:
	v_cmp_ne_u32_e32 vcc_lo, 11, v54
	s_xor_b32 s15, s12, -1
	s_delay_alu instid0(SALU_CYCLE_1) | instskip(NEXT) | instid1(SALU_CYCLE_1)
	s_and_b32 s16, s15, vcc_lo
	s_and_saveexec_b32 s15, s16
	s_cbranch_execz .LBB44_245
; %bb.244:
	v_ashrrev_i32_e32 v55, 31, v54
	s_delay_alu instid0(VALU_DEP_1)
	v_lshl_add_u64 v[60:61], v[54:55], 2, v[32:33]
	s_clause 0x1
	global_load_b32 v55, v[60:61], off
	global_load_b32 v59, v[32:33], off offset:44
	s_wait_loadcnt 0x1
	global_store_b32 v[32:33], v55, off offset:44
	s_wait_loadcnt 0x0
	global_store_b32 v[60:61], v59, off
.LBB44_245:
	s_wait_xcnt 0x0
	s_or_b32 exec_lo, exec_lo, s15
	v_dual_mov_b32 v60, v54 :: v_dual_mov_b32 v59, v54
.LBB44_246:
	s_or_b32 exec_lo, exec_lo, s1
.LBB44_247:
	s_and_not1_saveexec_b32 s0, s0
	s_cbranch_execz .LBB44_249
; %bb.248:
	v_dual_mov_b32 v54, v40 :: v_dual_mov_b32 v55, v41
	v_dual_mov_b32 v60, v38 :: v_dual_mov_b32 v61, v39
	;; [unrolled: 1-line block ×6, first 2 shown]
	ds_store_2addr_b64 v56, v[54:55], v[60:61] offset0:12 offset1:13
	ds_store_2addr_b64 v56, v[62:63], v[64:65] offset0:14 offset1:15
	v_dual_mov_b32 v60, 11 :: v_dual_mov_b32 v70, v8
	v_dual_mov_b32 v71, v9 :: v_dual_mov_b32 v72, v26
	;; [unrolled: 1-line block ×4, first 2 shown]
	v_mov_b32_e32 v77, v19
	ds_store_2addr_b64 v56, v[66:67], v[68:69] offset0:16 offset1:17
	ds_store_2addr_b64 v56, v[70:71], v[72:73] offset0:18 offset1:19
	;; [unrolled: 1-line block ×3, first 2 shown]
	ds_store_b64 v56, v[50:51] offset:176
.LBB44_249:
	s_or_b32 exec_lo, exec_lo, s0
	s_delay_alu instid0(SALU_CYCLE_1)
	s_mov_b32 s0, exec_lo
	s_wait_storecnt_dscnt 0x0
	s_barrier_signal -1
	s_barrier_wait -1
	v_cmpx_lt_i32_e32 11, v60
	s_cbranch_execz .LBB44_251
; %bb.250:
	v_pk_mul_f32 v[54:55], v[52:53], v[22:23] op_sel:[1,1] op_sel_hi:[0,1]
	s_delay_alu instid0(VALU_DEP_1)
	v_pk_fma_f32 v[62:63], v[52:53], v[22:23], v[54:55] op_sel_hi:[1,0,1] neg_lo:[0,0,1] neg_hi:[0,0,1]
	v_pk_fma_f32 v[64:65], v[52:53], v[22:23], v[54:55] op_sel_hi:[1,0,1]
	ds_load_2addr_b64 v[52:55], v56 offset0:12 offset1:13
	v_dual_mov_b32 v22, v62 :: v_dual_mov_b32 v23, v65
	s_wait_dscnt 0x0
	v_pk_mul_f32 v[66:67], v[52:53], v[64:65] op_sel:[0,1]
	s_delay_alu instid0(VALU_DEP_1) | instskip(SKIP_1) | instid1(VALU_DEP_1)
	v_pk_fma_f32 v[68:69], v[52:53], v[62:63], v[66:67] op_sel:[0,0,1] op_sel_hi:[1,1,0] neg_lo:[0,0,1] neg_hi:[0,0,1]
	v_pk_fma_f32 v[52:53], v[52:53], v[62:63], v[66:67] op_sel:[0,0,1] op_sel_hi:[1,0,0]
	v_mov_b32_e32 v69, v53
	v_pk_mul_f32 v[52:53], v[54:55], v[64:65] op_sel:[0,1]
	s_delay_alu instid0(VALU_DEP_1) | instskip(SKIP_1) | instid1(VALU_DEP_1)
	v_pk_fma_f32 v[66:67], v[54:55], v[62:63], v[52:53] op_sel:[0,0,1] op_sel_hi:[1,1,0] neg_lo:[0,0,1] neg_hi:[0,0,1]
	v_pk_fma_f32 v[52:53], v[54:55], v[62:63], v[52:53] op_sel:[0,0,1] op_sel_hi:[1,0,0]
	v_mov_b32_e32 v67, v53
	ds_load_2addr_b64 v[52:55], v56 offset0:14 offset1:15
	v_pk_add_f32 v[40:41], v[40:41], v[68:69] neg_lo:[0,1] neg_hi:[0,1]
	v_pk_add_f32 v[38:39], v[38:39], v[66:67] neg_lo:[0,1] neg_hi:[0,1]
	s_wait_dscnt 0x0
	v_pk_mul_f32 v[66:67], v[52:53], v[64:65] op_sel:[0,1]
	s_delay_alu instid0(VALU_DEP_1) | instskip(SKIP_2) | instid1(VALU_DEP_2)
	v_pk_fma_f32 v[68:69], v[52:53], v[62:63], v[66:67] op_sel:[0,0,1] op_sel_hi:[1,1,0] neg_lo:[0,0,1] neg_hi:[0,0,1]
	v_pk_fma_f32 v[52:53], v[52:53], v[62:63], v[66:67] op_sel:[0,0,1] op_sel_hi:[1,0,0]
	v_dual_mul_f32 v66, v55, v65 :: v_dual_mov_b32 v52, v55
	v_dual_mov_b32 v69, v53 :: v_dual_mov_b32 v53, v54
	s_delay_alu instid0(VALU_DEP_2) | instskip(SKIP_1) | instid1(VALU_DEP_3)
	v_pk_fma_f32 v[66:67], v[54:55], v[22:23], v[66:67] op_sel_hi:[1,1,0] neg_lo:[0,0,1] neg_hi:[0,0,1]
	v_mul_f32_e32 v54, v55, v62
	v_pk_add_f32 v[12:13], v[12:13], v[68:69] neg_lo:[0,1] neg_hi:[0,1]
	s_delay_alu instid0(VALU_DEP_2) | instskip(NEXT) | instid1(VALU_DEP_1)
	v_pk_fma_f32 v[52:53], v[52:53], v[22:23], v[54:55] op_sel_hi:[1,1,0]
	v_mov_b32_e32 v67, v53
	ds_load_2addr_b64 v[52:55], v56 offset0:16 offset1:17
	v_pk_add_f32 v[10:11], v[10:11], v[66:67] neg_lo:[0,1] neg_hi:[0,1]
	s_wait_dscnt 0x0
	v_pk_mul_f32 v[66:67], v[52:53], v[64:65] op_sel:[0,1]
	s_delay_alu instid0(VALU_DEP_1) | instskip(SKIP_1) | instid1(VALU_DEP_1)
	v_pk_fma_f32 v[68:69], v[52:53], v[62:63], v[66:67] op_sel:[0,0,1] op_sel_hi:[1,1,0] neg_lo:[0,0,1] neg_hi:[0,0,1]
	v_pk_fma_f32 v[52:53], v[52:53], v[62:63], v[66:67] op_sel:[0,0,1] op_sel_hi:[1,0,0]
	v_mov_b32_e32 v69, v53
	v_pk_mul_f32 v[52:53], v[54:55], v[64:65] op_sel:[0,1]
	s_delay_alu instid0(VALU_DEP_1) | instskip(SKIP_1) | instid1(VALU_DEP_1)
	v_pk_fma_f32 v[66:67], v[54:55], v[62:63], v[52:53] op_sel:[0,0,1] op_sel_hi:[1,1,0] neg_lo:[0,0,1] neg_hi:[0,0,1]
	v_pk_fma_f32 v[52:53], v[54:55], v[62:63], v[52:53] op_sel:[0,0,1] op_sel_hi:[1,0,0]
	v_mov_b32_e32 v67, v53
	ds_load_2addr_b64 v[52:55], v56 offset0:18 offset1:19
	v_pk_add_f32 v[30:31], v[30:31], v[68:69] neg_lo:[0,1] neg_hi:[0,1]
	v_pk_add_f32 v[28:29], v[28:29], v[66:67] neg_lo:[0,1] neg_hi:[0,1]
	s_wait_dscnt 0x0
	v_pk_mul_f32 v[66:67], v[52:53], v[64:65] op_sel:[0,1]
	s_delay_alu instid0(VALU_DEP_1) | instskip(SKIP_1) | instid1(VALU_DEP_1)
	v_pk_fma_f32 v[68:69], v[52:53], v[62:63], v[66:67] op_sel:[0,0,1] op_sel_hi:[1,1,0] neg_lo:[0,0,1] neg_hi:[0,0,1]
	v_pk_fma_f32 v[52:53], v[52:53], v[62:63], v[66:67] op_sel:[0,0,1] op_sel_hi:[1,0,0]
	v_mov_b32_e32 v69, v53
	v_pk_mul_f32 v[52:53], v[54:55], v[64:65] op_sel:[0,1]
	s_delay_alu instid0(VALU_DEP_1) | instskip(SKIP_1) | instid1(VALU_DEP_1)
	v_pk_fma_f32 v[66:67], v[54:55], v[62:63], v[52:53] op_sel:[0,0,1] op_sel_hi:[1,1,0] neg_lo:[0,0,1] neg_hi:[0,0,1]
	v_pk_fma_f32 v[52:53], v[54:55], v[62:63], v[52:53] op_sel:[0,0,1] op_sel_hi:[1,0,0]
	v_mov_b32_e32 v67, v53
	ds_load_2addr_b64 v[52:55], v56 offset0:20 offset1:21
	v_pk_add_f32 v[8:9], v[8:9], v[68:69] neg_lo:[0,1] neg_hi:[0,1]
	v_pk_add_f32 v[26:27], v[26:27], v[66:67] neg_lo:[0,1] neg_hi:[0,1]
	s_wait_dscnt 0x0
	v_dual_mul_f32 v66, v53, v65 :: v_dual_mul_f32 v68, v53, v62
	s_delay_alu instid0(VALU_DEP_1) | instskip(NEXT) | instid1(VALU_DEP_2)
	v_pk_fma_f32 v[66:67], v[52:53], v[22:23], v[66:67] op_sel_hi:[1,1,0] neg_lo:[0,0,1] neg_hi:[0,0,1]
	v_pk_fma_f32 v[52:53], v[52:53], v[22:23], v[68:69] op_sel:[1,0,0] op_sel_hi:[0,1,0]
	s_delay_alu instid0(VALU_DEP_1) | instskip(SKIP_1) | instid1(VALU_DEP_2)
	v_mov_b32_e32 v67, v53
	v_pk_mul_f32 v[52:53], v[54:55], v[64:65] op_sel:[0,1]
	v_pk_add_f32 v[20:21], v[20:21], v[66:67] neg_lo:[0,1] neg_hi:[0,1]
	s_delay_alu instid0(VALU_DEP_2) | instskip(SKIP_1) | instid1(VALU_DEP_1)
	v_pk_fma_f32 v[66:67], v[54:55], v[62:63], v[52:53] op_sel:[0,0,1] op_sel_hi:[1,1,0] neg_lo:[0,0,1] neg_hi:[0,0,1]
	v_pk_fma_f32 v[52:53], v[54:55], v[62:63], v[52:53] op_sel:[0,0,1] op_sel_hi:[1,0,0]
	v_mov_b32_e32 v67, v53
	ds_load_b64 v[52:53], v56 offset:176
	v_pk_add_f32 v[18:19], v[18:19], v[66:67] neg_lo:[0,1] neg_hi:[0,1]
	s_wait_dscnt 0x0
	v_pk_mul_f32 v[54:55], v[52:53], v[64:65] op_sel:[0,1]
	s_delay_alu instid0(VALU_DEP_1) | instskip(SKIP_1) | instid1(VALU_DEP_1)
	v_pk_fma_f32 v[64:65], v[52:53], v[62:63], v[54:55] op_sel:[0,0,1] op_sel_hi:[1,1,0] neg_lo:[0,0,1] neg_hi:[0,0,1]
	v_pk_fma_f32 v[52:53], v[52:53], v[62:63], v[54:55] op_sel:[0,0,1] op_sel_hi:[1,0,0]
	v_mov_b32_e32 v65, v53
	s_delay_alu instid0(VALU_DEP_1)
	v_pk_add_f32 v[50:51], v[50:51], v[64:65] neg_lo:[0,1] neg_hi:[0,1]
.LBB44_251:
	s_or_b32 exec_lo, exec_lo, s0
	v_lshl_add_u32 v52, v60, 3, v56
	s_barrier_signal -1
	s_barrier_wait -1
	ds_store_b64 v52, v[40:41]
	s_wait_dscnt 0x0
	s_barrier_signal -1
	s_barrier_wait -1
	ds_load_b64 v[52:53], v56 offset:96
	v_mov_b32_e32 v54, 12
	s_cmp_lt_i32 s14, 14
	s_cbranch_scc1 .LBB44_254
; %bb.252:
	v_add3_u32 v55, v57, 0, 0x68
	v_mov_b32_e32 v54, 12
	s_mov_b32 s0, 13
.LBB44_253:                             ; =>This Inner Loop Header: Depth=1
	ds_load_b64 v[62:63], v55
	s_wait_dscnt 0x1
	v_cmp_gt_f32_e32 vcc_lo, 0, v52
	v_cndmask_b32_e64 v64, v52, -v52, vcc_lo
	v_cmp_gt_f32_e32 vcc_lo, 0, v53
	v_cndmask_b32_e64 v66, v53, -v53, vcc_lo
	s_wait_dscnt 0x0
	v_cmp_gt_f32_e32 vcc_lo, 0, v62
	v_cndmask_b32_e64 v65, v62, -v62, vcc_lo
	v_cmp_gt_f32_e32 vcc_lo, 0, v63
	v_cndmask_b32_e64 v67, v63, -v63, vcc_lo
	s_delay_alu instid0(VALU_DEP_1) | instskip(NEXT) | instid1(VALU_DEP_1)
	v_pk_add_f32 v[64:65], v[64:65], v[66:67]
	v_cmp_lt_f32_e32 vcc_lo, v64, v65
	v_dual_cndmask_b32 v52, v52, v62 :: v_dual_add_nc_u32 v55, 8, v55
	v_cndmask_b32_e32 v53, v53, v63, vcc_lo
	v_cndmask_b32_e64 v54, v54, s0, vcc_lo
	s_add_co_i32 s0, s0, 1
	s_delay_alu instid0(SALU_CYCLE_1)
	s_cmp_lg_u32 s14, s0
	s_cbranch_scc1 .LBB44_253
.LBB44_254:
	s_wait_dscnt 0x0
	v_cmp_eq_f32_e32 vcc_lo, 0, v52
	v_cmp_eq_f32_e64 s0, 0, v53
	s_and_b32 s0, vcc_lo, s0
	s_delay_alu instid0(SALU_CYCLE_1) | instskip(NEXT) | instid1(SALU_CYCLE_1)
	s_and_saveexec_b32 s1, s0
	s_xor_b32 s0, exec_lo, s1
; %bb.255:
	v_cmp_ne_u32_e32 vcc_lo, 0, v58
	v_cndmask_b32_e32 v58, 13, v58, vcc_lo
; %bb.256:
	s_and_not1_saveexec_b32 s0, s0
	s_cbranch_execz .LBB44_262
; %bb.257:
	v_cmp_ngt_f32_e64 s1, |v52|, |v53|
	s_and_saveexec_b32 s15, s1
	s_delay_alu instid0(SALU_CYCLE_1)
	s_xor_b32 s1, exec_lo, s15
	s_cbranch_execz .LBB44_259
; %bb.258:
	v_div_scale_f32 v55, null, v53, v53, v52
	v_div_scale_f32 v63, vcc_lo, v52, v53, v52
	s_delay_alu instid0(VALU_DEP_2) | instskip(SKIP_1) | instid1(TRANS32_DEP_1)
	v_rcp_f32_e32 v61, v55
	v_nop
	v_fma_f32 v62, -v55, v61, 1.0
	s_delay_alu instid0(VALU_DEP_1) | instskip(NEXT) | instid1(VALU_DEP_1)
	v_fmac_f32_e32 v61, v62, v61
	v_mul_f32_e32 v62, v63, v61
	s_delay_alu instid0(VALU_DEP_1) | instskip(NEXT) | instid1(VALU_DEP_1)
	v_fma_f32 v64, -v55, v62, v63
	v_fmac_f32_e32 v62, v64, v61
	s_delay_alu instid0(VALU_DEP_1) | instskip(NEXT) | instid1(VALU_DEP_1)
	v_fma_f32 v55, -v55, v62, v63
	v_div_fmas_f32 v55, v55, v61, v62
	s_delay_alu instid0(VALU_DEP_1) | instskip(NEXT) | instid1(VALU_DEP_1)
	v_div_fixup_f32 v55, v55, v53, v52
	v_fmac_f32_e32 v53, v52, v55
	s_delay_alu instid0(VALU_DEP_1) | instskip(SKIP_1) | instid1(VALU_DEP_2)
	v_div_scale_f32 v52, null, v53, v53, 1.0
	v_div_scale_f32 v63, vcc_lo, 1.0, v53, 1.0
	v_rcp_f32_e32 v61, v52
	v_nop
	s_delay_alu instid0(TRANS32_DEP_1) | instskip(NEXT) | instid1(VALU_DEP_1)
	v_fma_f32 v62, -v52, v61, 1.0
	v_fmac_f32_e32 v61, v62, v61
	s_delay_alu instid0(VALU_DEP_1) | instskip(NEXT) | instid1(VALU_DEP_1)
	v_mul_f32_e32 v62, v63, v61
	v_fma_f32 v64, -v52, v62, v63
	s_delay_alu instid0(VALU_DEP_1) | instskip(NEXT) | instid1(VALU_DEP_1)
	v_fmac_f32_e32 v62, v64, v61
	v_fma_f32 v52, -v52, v62, v63
	s_delay_alu instid0(VALU_DEP_1) | instskip(NEXT) | instid1(VALU_DEP_1)
	v_div_fmas_f32 v52, v52, v61, v62
	v_div_fixup_f32 v53, v52, v53, 1.0
	s_delay_alu instid0(VALU_DEP_1)
	v_mul_f32_e32 v52, v55, v53
	v_xor_b32_e32 v53, 0x80000000, v53
.LBB44_259:
	s_and_not1_saveexec_b32 s1, s1
	s_cbranch_execz .LBB44_261
; %bb.260:
	s_delay_alu instid0(VALU_DEP_1) | instskip(SKIP_1) | instid1(VALU_DEP_2)
	v_div_scale_f32 v55, null, v52, v52, v53
	v_div_scale_f32 v63, vcc_lo, v53, v52, v53
	v_rcp_f32_e32 v61, v55
	v_nop
	s_delay_alu instid0(TRANS32_DEP_1) | instskip(NEXT) | instid1(VALU_DEP_1)
	v_fma_f32 v62, -v55, v61, 1.0
	v_fmac_f32_e32 v61, v62, v61
	s_delay_alu instid0(VALU_DEP_1) | instskip(NEXT) | instid1(VALU_DEP_1)
	v_mul_f32_e32 v62, v63, v61
	v_fma_f32 v64, -v55, v62, v63
	s_delay_alu instid0(VALU_DEP_1) | instskip(NEXT) | instid1(VALU_DEP_1)
	v_fmac_f32_e32 v62, v64, v61
	v_fma_f32 v55, -v55, v62, v63
	s_delay_alu instid0(VALU_DEP_1) | instskip(NEXT) | instid1(VALU_DEP_1)
	v_div_fmas_f32 v55, v55, v61, v62
	v_div_fixup_f32 v55, v55, v52, v53
	s_delay_alu instid0(VALU_DEP_1) | instskip(NEXT) | instid1(VALU_DEP_1)
	v_fmac_f32_e32 v52, v53, v55
	v_div_scale_f32 v53, null, v52, v52, 1.0
	s_delay_alu instid0(VALU_DEP_1) | instskip(SKIP_1) | instid1(TRANS32_DEP_1)
	v_rcp_f32_e32 v61, v53
	v_nop
	v_fma_f32 v62, -v53, v61, 1.0
	s_delay_alu instid0(VALU_DEP_1) | instskip(SKIP_1) | instid1(VALU_DEP_1)
	v_fmac_f32_e32 v61, v62, v61
	v_div_scale_f32 v62, vcc_lo, 1.0, v52, 1.0
	v_mul_f32_e32 v63, v62, v61
	s_delay_alu instid0(VALU_DEP_1) | instskip(NEXT) | instid1(VALU_DEP_1)
	v_fma_f32 v64, -v53, v63, v62
	v_fmac_f32_e32 v63, v64, v61
	s_delay_alu instid0(VALU_DEP_1) | instskip(NEXT) | instid1(VALU_DEP_1)
	v_fma_f32 v53, -v53, v63, v62
	v_div_fmas_f32 v53, v53, v61, v63
	s_delay_alu instid0(VALU_DEP_1) | instskip(NEXT) | instid1(VALU_DEP_1)
	v_div_fixup_f32 v52, v53, v52, 1.0
	v_mul_f32_e64 v53, v55, -v52
.LBB44_261:
	s_or_b32 exec_lo, exec_lo, s1
.LBB44_262:
	s_delay_alu instid0(SALU_CYCLE_1) | instskip(NEXT) | instid1(SALU_CYCLE_1)
	s_or_b32 exec_lo, exec_lo, s0
	s_mov_b32 s0, exec_lo
	v_cmpx_ne_u32_e64 v60, v54
	s_xor_b32 s0, exec_lo, s0
	s_cbranch_execz .LBB44_268
; %bb.263:
	s_mov_b32 s1, exec_lo
	v_cmpx_eq_u32_e32 12, v60
	s_cbranch_execz .LBB44_267
; %bb.264:
	v_cmp_ne_u32_e32 vcc_lo, 12, v54
	s_xor_b32 s15, s12, -1
	s_delay_alu instid0(SALU_CYCLE_1) | instskip(NEXT) | instid1(SALU_CYCLE_1)
	s_and_b32 s16, s15, vcc_lo
	s_and_saveexec_b32 s15, s16
	s_cbranch_execz .LBB44_266
; %bb.265:
	v_ashrrev_i32_e32 v55, 31, v54
	s_delay_alu instid0(VALU_DEP_1)
	v_lshl_add_u64 v[60:61], v[54:55], 2, v[32:33]
	s_clause 0x1
	global_load_b32 v55, v[60:61], off
	global_load_b32 v59, v[32:33], off offset:48
	s_wait_loadcnt 0x1
	global_store_b32 v[32:33], v55, off offset:48
	s_wait_loadcnt 0x0
	global_store_b32 v[60:61], v59, off
.LBB44_266:
	s_wait_xcnt 0x0
	s_or_b32 exec_lo, exec_lo, s15
	v_dual_mov_b32 v60, v54 :: v_dual_mov_b32 v59, v54
.LBB44_267:
	s_or_b32 exec_lo, exec_lo, s1
.LBB44_268:
	s_and_not1_saveexec_b32 s0, s0
	s_cbranch_execz .LBB44_270
; %bb.269:
	v_mov_b32_e32 v60, 12
	ds_store_2addr_b64 v56, v[38:39], v[12:13] offset0:13 offset1:14
	ds_store_2addr_b64 v56, v[10:11], v[30:31] offset0:15 offset1:16
	;; [unrolled: 1-line block ×5, first 2 shown]
.LBB44_270:
	s_or_b32 exec_lo, exec_lo, s0
	s_delay_alu instid0(SALU_CYCLE_1)
	s_mov_b32 s0, exec_lo
	s_wait_storecnt_dscnt 0x0
	s_barrier_signal -1
	s_barrier_wait -1
	v_cmpx_lt_i32_e32 12, v60
	s_cbranch_execz .LBB44_272
; %bb.271:
	v_pk_mul_f32 v[54:55], v[52:53], v[40:41] op_sel:[1,1] op_sel_hi:[0,1]
	s_delay_alu instid0(VALU_DEP_1)
	v_pk_fma_f32 v[62:63], v[52:53], v[40:41], v[54:55] op_sel_hi:[1,0,1] neg_lo:[0,0,1] neg_hi:[0,0,1]
	v_pk_fma_f32 v[64:65], v[52:53], v[40:41], v[54:55] op_sel_hi:[1,0,1]
	ds_load_2addr_b64 v[52:55], v56 offset0:13 offset1:14
	v_dual_mov_b32 v40, v62 :: v_dual_mov_b32 v41, v65
	s_wait_dscnt 0x0
	v_pk_mul_f32 v[66:67], v[52:53], v[64:65] op_sel:[0,1]
	s_delay_alu instid0(VALU_DEP_1) | instskip(SKIP_1) | instid1(VALU_DEP_1)
	v_pk_fma_f32 v[68:69], v[52:53], v[62:63], v[66:67] op_sel:[0,0,1] op_sel_hi:[1,1,0] neg_lo:[0,0,1] neg_hi:[0,0,1]
	v_pk_fma_f32 v[52:53], v[52:53], v[62:63], v[66:67] op_sel:[0,0,1] op_sel_hi:[1,0,0]
	v_mov_b32_e32 v69, v53
	v_pk_mul_f32 v[52:53], v[54:55], v[64:65] op_sel:[0,1]
	s_delay_alu instid0(VALU_DEP_1) | instskip(SKIP_1) | instid1(VALU_DEP_1)
	v_pk_fma_f32 v[66:67], v[54:55], v[62:63], v[52:53] op_sel:[0,0,1] op_sel_hi:[1,1,0] neg_lo:[0,0,1] neg_hi:[0,0,1]
	v_pk_fma_f32 v[52:53], v[54:55], v[62:63], v[52:53] op_sel:[0,0,1] op_sel_hi:[1,0,0]
	v_mov_b32_e32 v67, v53
	ds_load_2addr_b64 v[52:55], v56 offset0:15 offset1:16
	v_pk_add_f32 v[38:39], v[38:39], v[68:69] neg_lo:[0,1] neg_hi:[0,1]
	v_pk_add_f32 v[12:13], v[12:13], v[66:67] neg_lo:[0,1] neg_hi:[0,1]
	s_wait_dscnt 0x0
	v_pk_mul_f32 v[66:67], v[52:53], v[64:65] op_sel:[0,1]
	s_delay_alu instid0(VALU_DEP_1) | instskip(SKIP_2) | instid1(VALU_DEP_2)
	v_pk_fma_f32 v[68:69], v[52:53], v[62:63], v[66:67] op_sel:[0,0,1] op_sel_hi:[1,1,0] neg_lo:[0,0,1] neg_hi:[0,0,1]
	v_pk_fma_f32 v[52:53], v[52:53], v[62:63], v[66:67] op_sel:[0,0,1] op_sel_hi:[1,0,0]
	v_dual_mul_f32 v66, v55, v65 :: v_dual_mov_b32 v52, v55
	v_dual_mov_b32 v69, v53 :: v_dual_mov_b32 v53, v54
	s_delay_alu instid0(VALU_DEP_2) | instskip(SKIP_1) | instid1(VALU_DEP_3)
	v_pk_fma_f32 v[66:67], v[54:55], v[40:41], v[66:67] op_sel_hi:[1,1,0] neg_lo:[0,0,1] neg_hi:[0,0,1]
	v_mul_f32_e32 v54, v55, v62
	v_pk_add_f32 v[10:11], v[10:11], v[68:69] neg_lo:[0,1] neg_hi:[0,1]
	s_delay_alu instid0(VALU_DEP_2) | instskip(NEXT) | instid1(VALU_DEP_1)
	v_pk_fma_f32 v[52:53], v[52:53], v[40:41], v[54:55] op_sel_hi:[1,1,0]
	v_mov_b32_e32 v67, v53
	ds_load_2addr_b64 v[52:55], v56 offset0:17 offset1:18
	v_pk_add_f32 v[30:31], v[30:31], v[66:67] neg_lo:[0,1] neg_hi:[0,1]
	s_wait_dscnt 0x0
	v_pk_mul_f32 v[66:67], v[52:53], v[64:65] op_sel:[0,1]
	s_delay_alu instid0(VALU_DEP_1) | instskip(SKIP_1) | instid1(VALU_DEP_1)
	v_pk_fma_f32 v[68:69], v[52:53], v[62:63], v[66:67] op_sel:[0,0,1] op_sel_hi:[1,1,0] neg_lo:[0,0,1] neg_hi:[0,0,1]
	v_pk_fma_f32 v[52:53], v[52:53], v[62:63], v[66:67] op_sel:[0,0,1] op_sel_hi:[1,0,0]
	v_mov_b32_e32 v69, v53
	v_pk_mul_f32 v[52:53], v[54:55], v[64:65] op_sel:[0,1]
	s_delay_alu instid0(VALU_DEP_1) | instskip(SKIP_1) | instid1(VALU_DEP_1)
	v_pk_fma_f32 v[66:67], v[54:55], v[62:63], v[52:53] op_sel:[0,0,1] op_sel_hi:[1,1,0] neg_lo:[0,0,1] neg_hi:[0,0,1]
	v_pk_fma_f32 v[52:53], v[54:55], v[62:63], v[52:53] op_sel:[0,0,1] op_sel_hi:[1,0,0]
	v_mov_b32_e32 v67, v53
	ds_load_2addr_b64 v[52:55], v56 offset0:19 offset1:20
	v_pk_add_f32 v[28:29], v[28:29], v[68:69] neg_lo:[0,1] neg_hi:[0,1]
	v_pk_add_f32 v[8:9], v[8:9], v[66:67] neg_lo:[0,1] neg_hi:[0,1]
	s_wait_dscnt 0x0
	v_pk_mul_f32 v[66:67], v[52:53], v[64:65] op_sel:[0,1]
	s_delay_alu instid0(VALU_DEP_1) | instskip(SKIP_1) | instid1(VALU_DEP_1)
	v_pk_fma_f32 v[68:69], v[52:53], v[62:63], v[66:67] op_sel:[0,0,1] op_sel_hi:[1,1,0] neg_lo:[0,0,1] neg_hi:[0,0,1]
	v_pk_fma_f32 v[52:53], v[52:53], v[62:63], v[66:67] op_sel:[0,0,1] op_sel_hi:[1,0,0]
	v_mov_b32_e32 v69, v53
	v_pk_mul_f32 v[52:53], v[54:55], v[64:65] op_sel:[0,1]
	s_delay_alu instid0(VALU_DEP_1) | instskip(SKIP_1) | instid1(VALU_DEP_1)
	v_pk_fma_f32 v[66:67], v[54:55], v[62:63], v[52:53] op_sel:[0,0,1] op_sel_hi:[1,1,0] neg_lo:[0,0,1] neg_hi:[0,0,1]
	v_pk_fma_f32 v[52:53], v[54:55], v[62:63], v[52:53] op_sel:[0,0,1] op_sel_hi:[1,0,0]
	v_mov_b32_e32 v67, v53
	ds_load_2addr_b64 v[52:55], v56 offset0:21 offset1:22
	v_pk_add_f32 v[26:27], v[26:27], v[68:69] neg_lo:[0,1] neg_hi:[0,1]
	v_pk_add_f32 v[20:21], v[20:21], v[66:67] neg_lo:[0,1] neg_hi:[0,1]
	s_wait_dscnt 0x0
	v_dual_mul_f32 v66, v53, v65 :: v_dual_mul_f32 v68, v53, v62
	s_delay_alu instid0(VALU_DEP_1) | instskip(NEXT) | instid1(VALU_DEP_2)
	v_pk_fma_f32 v[66:67], v[52:53], v[40:41], v[66:67] op_sel_hi:[1,1,0] neg_lo:[0,0,1] neg_hi:[0,0,1]
	v_pk_fma_f32 v[52:53], v[52:53], v[40:41], v[68:69] op_sel:[1,0,0] op_sel_hi:[0,1,0]
	s_delay_alu instid0(VALU_DEP_1) | instskip(SKIP_1) | instid1(VALU_DEP_1)
	v_mov_b32_e32 v67, v53
	v_pk_mul_f32 v[52:53], v[54:55], v[64:65] op_sel:[0,1]
	v_pk_fma_f32 v[64:65], v[54:55], v[62:63], v[52:53] op_sel:[0,0,1] op_sel_hi:[1,1,0] neg_lo:[0,0,1] neg_hi:[0,0,1]
	v_pk_fma_f32 v[52:53], v[54:55], v[62:63], v[52:53] op_sel:[0,0,1] op_sel_hi:[1,0,0]
	s_delay_alu instid0(VALU_DEP_1) | instskip(SKIP_1) | instid1(VALU_DEP_2)
	v_mov_b32_e32 v65, v53
	v_pk_add_f32 v[18:19], v[18:19], v[66:67] neg_lo:[0,1] neg_hi:[0,1]
	v_pk_add_f32 v[50:51], v[50:51], v[64:65] neg_lo:[0,1] neg_hi:[0,1]
.LBB44_272:
	s_or_b32 exec_lo, exec_lo, s0
	v_lshl_add_u32 v52, v60, 3, v56
	s_barrier_signal -1
	s_barrier_wait -1
	ds_store_b64 v52, v[38:39]
	s_wait_dscnt 0x0
	s_barrier_signal -1
	s_barrier_wait -1
	ds_load_b64 v[52:53], v56 offset:104
	v_mov_b32_e32 v54, 13
	s_cmp_lt_i32 s14, 15
	s_cbranch_scc1 .LBB44_275
; %bb.273:
	v_add3_u32 v55, v57, 0, 0x70
	v_mov_b32_e32 v54, 13
	s_mov_b32 s0, 14
.LBB44_274:                             ; =>This Inner Loop Header: Depth=1
	ds_load_b64 v[62:63], v55
	s_wait_dscnt 0x1
	v_cmp_gt_f32_e32 vcc_lo, 0, v52
	v_cndmask_b32_e64 v64, v52, -v52, vcc_lo
	v_cmp_gt_f32_e32 vcc_lo, 0, v53
	v_cndmask_b32_e64 v66, v53, -v53, vcc_lo
	s_wait_dscnt 0x0
	v_cmp_gt_f32_e32 vcc_lo, 0, v62
	v_cndmask_b32_e64 v65, v62, -v62, vcc_lo
	v_cmp_gt_f32_e32 vcc_lo, 0, v63
	v_cndmask_b32_e64 v67, v63, -v63, vcc_lo
	s_delay_alu instid0(VALU_DEP_1) | instskip(NEXT) | instid1(VALU_DEP_1)
	v_pk_add_f32 v[64:65], v[64:65], v[66:67]
	v_cmp_lt_f32_e32 vcc_lo, v64, v65
	v_dual_cndmask_b32 v52, v52, v62 :: v_dual_add_nc_u32 v55, 8, v55
	v_cndmask_b32_e32 v53, v53, v63, vcc_lo
	v_cndmask_b32_e64 v54, v54, s0, vcc_lo
	s_add_co_i32 s0, s0, 1
	s_delay_alu instid0(SALU_CYCLE_1)
	s_cmp_lg_u32 s14, s0
	s_cbranch_scc1 .LBB44_274
.LBB44_275:
	s_wait_dscnt 0x0
	v_cmp_eq_f32_e32 vcc_lo, 0, v52
	v_cmp_eq_f32_e64 s0, 0, v53
	s_and_b32 s0, vcc_lo, s0
	s_delay_alu instid0(SALU_CYCLE_1) | instskip(NEXT) | instid1(SALU_CYCLE_1)
	s_and_saveexec_b32 s1, s0
	s_xor_b32 s0, exec_lo, s1
; %bb.276:
	v_cmp_ne_u32_e32 vcc_lo, 0, v58
	v_cndmask_b32_e32 v58, 14, v58, vcc_lo
; %bb.277:
	s_and_not1_saveexec_b32 s0, s0
	s_cbranch_execz .LBB44_283
; %bb.278:
	v_cmp_ngt_f32_e64 s1, |v52|, |v53|
	s_and_saveexec_b32 s15, s1
	s_delay_alu instid0(SALU_CYCLE_1)
	s_xor_b32 s1, exec_lo, s15
	s_cbranch_execz .LBB44_280
; %bb.279:
	v_div_scale_f32 v55, null, v53, v53, v52
	v_div_scale_f32 v63, vcc_lo, v52, v53, v52
	s_delay_alu instid0(VALU_DEP_2) | instskip(SKIP_1) | instid1(TRANS32_DEP_1)
	v_rcp_f32_e32 v61, v55
	v_nop
	v_fma_f32 v62, -v55, v61, 1.0
	s_delay_alu instid0(VALU_DEP_1) | instskip(NEXT) | instid1(VALU_DEP_1)
	v_fmac_f32_e32 v61, v62, v61
	v_mul_f32_e32 v62, v63, v61
	s_delay_alu instid0(VALU_DEP_1) | instskip(NEXT) | instid1(VALU_DEP_1)
	v_fma_f32 v64, -v55, v62, v63
	v_fmac_f32_e32 v62, v64, v61
	s_delay_alu instid0(VALU_DEP_1) | instskip(NEXT) | instid1(VALU_DEP_1)
	v_fma_f32 v55, -v55, v62, v63
	v_div_fmas_f32 v55, v55, v61, v62
	s_delay_alu instid0(VALU_DEP_1) | instskip(NEXT) | instid1(VALU_DEP_1)
	v_div_fixup_f32 v55, v55, v53, v52
	v_fmac_f32_e32 v53, v52, v55
	s_delay_alu instid0(VALU_DEP_1) | instskip(SKIP_1) | instid1(VALU_DEP_2)
	v_div_scale_f32 v52, null, v53, v53, 1.0
	v_div_scale_f32 v63, vcc_lo, 1.0, v53, 1.0
	v_rcp_f32_e32 v61, v52
	v_nop
	s_delay_alu instid0(TRANS32_DEP_1) | instskip(NEXT) | instid1(VALU_DEP_1)
	v_fma_f32 v62, -v52, v61, 1.0
	v_fmac_f32_e32 v61, v62, v61
	s_delay_alu instid0(VALU_DEP_1) | instskip(NEXT) | instid1(VALU_DEP_1)
	v_mul_f32_e32 v62, v63, v61
	v_fma_f32 v64, -v52, v62, v63
	s_delay_alu instid0(VALU_DEP_1) | instskip(NEXT) | instid1(VALU_DEP_1)
	v_fmac_f32_e32 v62, v64, v61
	v_fma_f32 v52, -v52, v62, v63
	s_delay_alu instid0(VALU_DEP_1) | instskip(NEXT) | instid1(VALU_DEP_1)
	v_div_fmas_f32 v52, v52, v61, v62
	v_div_fixup_f32 v53, v52, v53, 1.0
	s_delay_alu instid0(VALU_DEP_1)
	v_mul_f32_e32 v52, v55, v53
	v_xor_b32_e32 v53, 0x80000000, v53
.LBB44_280:
	s_and_not1_saveexec_b32 s1, s1
	s_cbranch_execz .LBB44_282
; %bb.281:
	s_delay_alu instid0(VALU_DEP_1) | instskip(SKIP_1) | instid1(VALU_DEP_2)
	v_div_scale_f32 v55, null, v52, v52, v53
	v_div_scale_f32 v63, vcc_lo, v53, v52, v53
	v_rcp_f32_e32 v61, v55
	v_nop
	s_delay_alu instid0(TRANS32_DEP_1) | instskip(NEXT) | instid1(VALU_DEP_1)
	v_fma_f32 v62, -v55, v61, 1.0
	v_fmac_f32_e32 v61, v62, v61
	s_delay_alu instid0(VALU_DEP_1) | instskip(NEXT) | instid1(VALU_DEP_1)
	v_mul_f32_e32 v62, v63, v61
	v_fma_f32 v64, -v55, v62, v63
	s_delay_alu instid0(VALU_DEP_1) | instskip(NEXT) | instid1(VALU_DEP_1)
	v_fmac_f32_e32 v62, v64, v61
	v_fma_f32 v55, -v55, v62, v63
	s_delay_alu instid0(VALU_DEP_1) | instskip(NEXT) | instid1(VALU_DEP_1)
	v_div_fmas_f32 v55, v55, v61, v62
	v_div_fixup_f32 v55, v55, v52, v53
	s_delay_alu instid0(VALU_DEP_1) | instskip(NEXT) | instid1(VALU_DEP_1)
	v_fmac_f32_e32 v52, v53, v55
	v_div_scale_f32 v53, null, v52, v52, 1.0
	s_delay_alu instid0(VALU_DEP_1) | instskip(SKIP_1) | instid1(TRANS32_DEP_1)
	v_rcp_f32_e32 v61, v53
	v_nop
	v_fma_f32 v62, -v53, v61, 1.0
	s_delay_alu instid0(VALU_DEP_1) | instskip(SKIP_1) | instid1(VALU_DEP_1)
	v_fmac_f32_e32 v61, v62, v61
	v_div_scale_f32 v62, vcc_lo, 1.0, v52, 1.0
	v_mul_f32_e32 v63, v62, v61
	s_delay_alu instid0(VALU_DEP_1) | instskip(NEXT) | instid1(VALU_DEP_1)
	v_fma_f32 v64, -v53, v63, v62
	v_fmac_f32_e32 v63, v64, v61
	s_delay_alu instid0(VALU_DEP_1) | instskip(NEXT) | instid1(VALU_DEP_1)
	v_fma_f32 v53, -v53, v63, v62
	v_div_fmas_f32 v53, v53, v61, v63
	s_delay_alu instid0(VALU_DEP_1) | instskip(NEXT) | instid1(VALU_DEP_1)
	v_div_fixup_f32 v52, v53, v52, 1.0
	v_mul_f32_e64 v53, v55, -v52
.LBB44_282:
	s_or_b32 exec_lo, exec_lo, s1
.LBB44_283:
	s_delay_alu instid0(SALU_CYCLE_1) | instskip(NEXT) | instid1(SALU_CYCLE_1)
	s_or_b32 exec_lo, exec_lo, s0
	s_mov_b32 s0, exec_lo
	v_cmpx_ne_u32_e64 v60, v54
	s_xor_b32 s0, exec_lo, s0
	s_cbranch_execz .LBB44_289
; %bb.284:
	s_mov_b32 s1, exec_lo
	v_cmpx_eq_u32_e32 13, v60
	s_cbranch_execz .LBB44_288
; %bb.285:
	v_cmp_ne_u32_e32 vcc_lo, 13, v54
	s_xor_b32 s15, s12, -1
	s_delay_alu instid0(SALU_CYCLE_1) | instskip(NEXT) | instid1(SALU_CYCLE_1)
	s_and_b32 s16, s15, vcc_lo
	s_and_saveexec_b32 s15, s16
	s_cbranch_execz .LBB44_287
; %bb.286:
	v_ashrrev_i32_e32 v55, 31, v54
	s_delay_alu instid0(VALU_DEP_1)
	v_lshl_add_u64 v[60:61], v[54:55], 2, v[32:33]
	s_clause 0x1
	global_load_b32 v55, v[60:61], off
	global_load_b32 v59, v[32:33], off offset:52
	s_wait_loadcnt 0x1
	global_store_b32 v[32:33], v55, off offset:52
	s_wait_loadcnt 0x0
	global_store_b32 v[60:61], v59, off
.LBB44_287:
	s_wait_xcnt 0x0
	s_or_b32 exec_lo, exec_lo, s15
	v_dual_mov_b32 v60, v54 :: v_dual_mov_b32 v59, v54
.LBB44_288:
	s_or_b32 exec_lo, exec_lo, s1
.LBB44_289:
	s_and_not1_saveexec_b32 s0, s0
	s_cbranch_execz .LBB44_291
; %bb.290:
	v_dual_mov_b32 v54, v12 :: v_dual_mov_b32 v55, v13
	v_dual_mov_b32 v62, v10 :: v_dual_mov_b32 v63, v11
	;; [unrolled: 1-line block ×8, first 2 shown]
	v_mov_b32_e32 v75, v19
	ds_store_2addr_b64 v56, v[54:55], v[62:63] offset0:14 offset1:15
	ds_store_2addr_b64 v56, v[64:65], v[66:67] offset0:16 offset1:17
	;; [unrolled: 1-line block ×4, first 2 shown]
	ds_store_b64 v56, v[50:51] offset:176
.LBB44_291:
	s_or_b32 exec_lo, exec_lo, s0
	s_delay_alu instid0(SALU_CYCLE_1)
	s_mov_b32 s0, exec_lo
	s_wait_storecnt_dscnt 0x0
	s_barrier_signal -1
	s_barrier_wait -1
	v_cmpx_lt_i32_e32 13, v60
	s_cbranch_execz .LBB44_293
; %bb.292:
	v_pk_mul_f32 v[54:55], v[52:53], v[38:39] op_sel:[1,1] op_sel_hi:[0,1]
	s_delay_alu instid0(VALU_DEP_1)
	v_pk_fma_f32 v[62:63], v[52:53], v[38:39], v[54:55] op_sel_hi:[1,0,1] neg_lo:[0,0,1] neg_hi:[0,0,1]
	v_pk_fma_f32 v[64:65], v[52:53], v[38:39], v[54:55] op_sel_hi:[1,0,1]
	ds_load_2addr_b64 v[52:55], v56 offset0:14 offset1:15
	v_dual_mov_b32 v38, v62 :: v_dual_mov_b32 v39, v65
	s_wait_dscnt 0x0
	v_pk_mul_f32 v[66:67], v[52:53], v[64:65] op_sel:[0,1]
	s_delay_alu instid0(VALU_DEP_1) | instskip(SKIP_1) | instid1(VALU_DEP_1)
	v_pk_fma_f32 v[68:69], v[52:53], v[62:63], v[66:67] op_sel:[0,0,1] op_sel_hi:[1,1,0] neg_lo:[0,0,1] neg_hi:[0,0,1]
	v_pk_fma_f32 v[52:53], v[52:53], v[62:63], v[66:67] op_sel:[0,0,1] op_sel_hi:[1,0,0]
	v_mov_b32_e32 v69, v53
	v_pk_mul_f32 v[52:53], v[54:55], v[64:65] op_sel:[0,1]
	s_delay_alu instid0(VALU_DEP_1) | instskip(SKIP_1) | instid1(VALU_DEP_1)
	v_pk_fma_f32 v[66:67], v[54:55], v[62:63], v[52:53] op_sel:[0,0,1] op_sel_hi:[1,1,0] neg_lo:[0,0,1] neg_hi:[0,0,1]
	v_pk_fma_f32 v[52:53], v[54:55], v[62:63], v[52:53] op_sel:[0,0,1] op_sel_hi:[1,0,0]
	v_mov_b32_e32 v67, v53
	ds_load_2addr_b64 v[52:55], v56 offset0:16 offset1:17
	v_pk_add_f32 v[12:13], v[12:13], v[68:69] neg_lo:[0,1] neg_hi:[0,1]
	v_pk_add_f32 v[10:11], v[10:11], v[66:67] neg_lo:[0,1] neg_hi:[0,1]
	s_wait_dscnt 0x0
	v_pk_mul_f32 v[66:67], v[52:53], v[64:65] op_sel:[0,1]
	s_delay_alu instid0(VALU_DEP_1) | instskip(SKIP_2) | instid1(VALU_DEP_2)
	v_pk_fma_f32 v[68:69], v[52:53], v[62:63], v[66:67] op_sel:[0,0,1] op_sel_hi:[1,1,0] neg_lo:[0,0,1] neg_hi:[0,0,1]
	v_pk_fma_f32 v[52:53], v[52:53], v[62:63], v[66:67] op_sel:[0,0,1] op_sel_hi:[1,0,0]
	v_dual_mul_f32 v66, v55, v65 :: v_dual_mov_b32 v52, v55
	v_dual_mov_b32 v69, v53 :: v_dual_mov_b32 v53, v54
	s_delay_alu instid0(VALU_DEP_2) | instskip(SKIP_1) | instid1(VALU_DEP_3)
	v_pk_fma_f32 v[66:67], v[54:55], v[38:39], v[66:67] op_sel_hi:[1,1,0] neg_lo:[0,0,1] neg_hi:[0,0,1]
	v_mul_f32_e32 v54, v55, v62
	v_pk_add_f32 v[30:31], v[30:31], v[68:69] neg_lo:[0,1] neg_hi:[0,1]
	s_delay_alu instid0(VALU_DEP_2) | instskip(NEXT) | instid1(VALU_DEP_1)
	v_pk_fma_f32 v[52:53], v[52:53], v[38:39], v[54:55] op_sel_hi:[1,1,0]
	v_mov_b32_e32 v67, v53
	ds_load_2addr_b64 v[52:55], v56 offset0:18 offset1:19
	v_pk_add_f32 v[28:29], v[28:29], v[66:67] neg_lo:[0,1] neg_hi:[0,1]
	s_wait_dscnt 0x0
	v_pk_mul_f32 v[66:67], v[52:53], v[64:65] op_sel:[0,1]
	s_delay_alu instid0(VALU_DEP_1) | instskip(SKIP_1) | instid1(VALU_DEP_1)
	v_pk_fma_f32 v[68:69], v[52:53], v[62:63], v[66:67] op_sel:[0,0,1] op_sel_hi:[1,1,0] neg_lo:[0,0,1] neg_hi:[0,0,1]
	v_pk_fma_f32 v[52:53], v[52:53], v[62:63], v[66:67] op_sel:[0,0,1] op_sel_hi:[1,0,0]
	v_mov_b32_e32 v69, v53
	v_pk_mul_f32 v[52:53], v[54:55], v[64:65] op_sel:[0,1]
	s_delay_alu instid0(VALU_DEP_1) | instskip(SKIP_1) | instid1(VALU_DEP_1)
	v_pk_fma_f32 v[66:67], v[54:55], v[62:63], v[52:53] op_sel:[0,0,1] op_sel_hi:[1,1,0] neg_lo:[0,0,1] neg_hi:[0,0,1]
	v_pk_fma_f32 v[52:53], v[54:55], v[62:63], v[52:53] op_sel:[0,0,1] op_sel_hi:[1,0,0]
	v_mov_b32_e32 v67, v53
	ds_load_2addr_b64 v[52:55], v56 offset0:20 offset1:21
	v_pk_add_f32 v[8:9], v[8:9], v[68:69] neg_lo:[0,1] neg_hi:[0,1]
	v_pk_add_f32 v[26:27], v[26:27], v[66:67] neg_lo:[0,1] neg_hi:[0,1]
	s_wait_dscnt 0x0
	v_pk_mul_f32 v[66:67], v[52:53], v[64:65] op_sel:[0,1]
	s_delay_alu instid0(VALU_DEP_1) | instskip(SKIP_1) | instid1(VALU_DEP_1)
	v_pk_fma_f32 v[68:69], v[52:53], v[62:63], v[66:67] op_sel:[0,0,1] op_sel_hi:[1,1,0] neg_lo:[0,0,1] neg_hi:[0,0,1]
	v_pk_fma_f32 v[52:53], v[52:53], v[62:63], v[66:67] op_sel:[0,0,1] op_sel_hi:[1,0,0]
	v_mov_b32_e32 v69, v53
	v_pk_mul_f32 v[52:53], v[54:55], v[64:65] op_sel:[0,1]
	s_delay_alu instid0(VALU_DEP_1) | instskip(SKIP_1) | instid1(VALU_DEP_1)
	v_pk_fma_f32 v[66:67], v[54:55], v[62:63], v[52:53] op_sel:[0,0,1] op_sel_hi:[1,1,0] neg_lo:[0,0,1] neg_hi:[0,0,1]
	v_pk_fma_f32 v[52:53], v[54:55], v[62:63], v[52:53] op_sel:[0,0,1] op_sel_hi:[1,0,0]
	v_mov_b32_e32 v67, v53
	ds_load_b64 v[52:53], v56 offset:176
	v_pk_add_f32 v[20:21], v[20:21], v[68:69] neg_lo:[0,1] neg_hi:[0,1]
	v_pk_add_f32 v[18:19], v[18:19], v[66:67] neg_lo:[0,1] neg_hi:[0,1]
	s_wait_dscnt 0x0
	v_pk_mul_f32 v[54:55], v[52:53], v[64:65] op_sel:[0,1]
	s_delay_alu instid0(VALU_DEP_1) | instskip(SKIP_1) | instid1(VALU_DEP_1)
	v_pk_fma_f32 v[64:65], v[52:53], v[62:63], v[54:55] op_sel:[0,0,1] op_sel_hi:[1,1,0] neg_lo:[0,0,1] neg_hi:[0,0,1]
	v_pk_fma_f32 v[52:53], v[52:53], v[62:63], v[54:55] op_sel:[0,0,1] op_sel_hi:[1,0,0]
	v_mov_b32_e32 v65, v53
	s_delay_alu instid0(VALU_DEP_1)
	v_pk_add_f32 v[50:51], v[50:51], v[64:65] neg_lo:[0,1] neg_hi:[0,1]
.LBB44_293:
	s_or_b32 exec_lo, exec_lo, s0
	v_lshl_add_u32 v52, v60, 3, v56
	s_barrier_signal -1
	s_barrier_wait -1
	ds_store_b64 v52, v[12:13]
	s_wait_dscnt 0x0
	s_barrier_signal -1
	s_barrier_wait -1
	ds_load_b64 v[52:53], v56 offset:112
	v_mov_b32_e32 v54, 14
	s_cmp_lt_i32 s14, 16
	s_cbranch_scc1 .LBB44_296
; %bb.294:
	v_add3_u32 v55, v57, 0, 0x78
	v_mov_b32_e32 v54, 14
	s_mov_b32 s0, 15
.LBB44_295:                             ; =>This Inner Loop Header: Depth=1
	ds_load_b64 v[62:63], v55
	s_wait_dscnt 0x1
	v_cmp_gt_f32_e32 vcc_lo, 0, v52
	v_cndmask_b32_e64 v64, v52, -v52, vcc_lo
	v_cmp_gt_f32_e32 vcc_lo, 0, v53
	v_cndmask_b32_e64 v66, v53, -v53, vcc_lo
	s_wait_dscnt 0x0
	v_cmp_gt_f32_e32 vcc_lo, 0, v62
	v_cndmask_b32_e64 v65, v62, -v62, vcc_lo
	v_cmp_gt_f32_e32 vcc_lo, 0, v63
	v_cndmask_b32_e64 v67, v63, -v63, vcc_lo
	s_delay_alu instid0(VALU_DEP_1) | instskip(NEXT) | instid1(VALU_DEP_1)
	v_pk_add_f32 v[64:65], v[64:65], v[66:67]
	v_cmp_lt_f32_e32 vcc_lo, v64, v65
	v_dual_cndmask_b32 v52, v52, v62 :: v_dual_add_nc_u32 v55, 8, v55
	v_cndmask_b32_e32 v53, v53, v63, vcc_lo
	v_cndmask_b32_e64 v54, v54, s0, vcc_lo
	s_add_co_i32 s0, s0, 1
	s_delay_alu instid0(SALU_CYCLE_1)
	s_cmp_lg_u32 s14, s0
	s_cbranch_scc1 .LBB44_295
.LBB44_296:
	s_wait_dscnt 0x0
	v_cmp_eq_f32_e32 vcc_lo, 0, v52
	v_cmp_eq_f32_e64 s0, 0, v53
	s_and_b32 s0, vcc_lo, s0
	s_delay_alu instid0(SALU_CYCLE_1) | instskip(NEXT) | instid1(SALU_CYCLE_1)
	s_and_saveexec_b32 s1, s0
	s_xor_b32 s0, exec_lo, s1
; %bb.297:
	v_cmp_ne_u32_e32 vcc_lo, 0, v58
	v_cndmask_b32_e32 v58, 15, v58, vcc_lo
; %bb.298:
	s_and_not1_saveexec_b32 s0, s0
	s_cbranch_execz .LBB44_304
; %bb.299:
	v_cmp_ngt_f32_e64 s1, |v52|, |v53|
	s_and_saveexec_b32 s15, s1
	s_delay_alu instid0(SALU_CYCLE_1)
	s_xor_b32 s1, exec_lo, s15
	s_cbranch_execz .LBB44_301
; %bb.300:
	v_div_scale_f32 v55, null, v53, v53, v52
	v_div_scale_f32 v63, vcc_lo, v52, v53, v52
	s_delay_alu instid0(VALU_DEP_2) | instskip(SKIP_1) | instid1(TRANS32_DEP_1)
	v_rcp_f32_e32 v61, v55
	v_nop
	v_fma_f32 v62, -v55, v61, 1.0
	s_delay_alu instid0(VALU_DEP_1) | instskip(NEXT) | instid1(VALU_DEP_1)
	v_fmac_f32_e32 v61, v62, v61
	v_mul_f32_e32 v62, v63, v61
	s_delay_alu instid0(VALU_DEP_1) | instskip(NEXT) | instid1(VALU_DEP_1)
	v_fma_f32 v64, -v55, v62, v63
	v_fmac_f32_e32 v62, v64, v61
	s_delay_alu instid0(VALU_DEP_1) | instskip(NEXT) | instid1(VALU_DEP_1)
	v_fma_f32 v55, -v55, v62, v63
	v_div_fmas_f32 v55, v55, v61, v62
	s_delay_alu instid0(VALU_DEP_1) | instskip(NEXT) | instid1(VALU_DEP_1)
	v_div_fixup_f32 v55, v55, v53, v52
	v_fmac_f32_e32 v53, v52, v55
	s_delay_alu instid0(VALU_DEP_1) | instskip(SKIP_1) | instid1(VALU_DEP_2)
	v_div_scale_f32 v52, null, v53, v53, 1.0
	v_div_scale_f32 v63, vcc_lo, 1.0, v53, 1.0
	v_rcp_f32_e32 v61, v52
	v_nop
	s_delay_alu instid0(TRANS32_DEP_1) | instskip(NEXT) | instid1(VALU_DEP_1)
	v_fma_f32 v62, -v52, v61, 1.0
	v_fmac_f32_e32 v61, v62, v61
	s_delay_alu instid0(VALU_DEP_1) | instskip(NEXT) | instid1(VALU_DEP_1)
	v_mul_f32_e32 v62, v63, v61
	v_fma_f32 v64, -v52, v62, v63
	s_delay_alu instid0(VALU_DEP_1) | instskip(NEXT) | instid1(VALU_DEP_1)
	v_fmac_f32_e32 v62, v64, v61
	v_fma_f32 v52, -v52, v62, v63
	s_delay_alu instid0(VALU_DEP_1) | instskip(NEXT) | instid1(VALU_DEP_1)
	v_div_fmas_f32 v52, v52, v61, v62
	v_div_fixup_f32 v53, v52, v53, 1.0
	s_delay_alu instid0(VALU_DEP_1)
	v_mul_f32_e32 v52, v55, v53
	v_xor_b32_e32 v53, 0x80000000, v53
.LBB44_301:
	s_and_not1_saveexec_b32 s1, s1
	s_cbranch_execz .LBB44_303
; %bb.302:
	s_delay_alu instid0(VALU_DEP_1) | instskip(SKIP_1) | instid1(VALU_DEP_2)
	v_div_scale_f32 v55, null, v52, v52, v53
	v_div_scale_f32 v63, vcc_lo, v53, v52, v53
	v_rcp_f32_e32 v61, v55
	v_nop
	s_delay_alu instid0(TRANS32_DEP_1) | instskip(NEXT) | instid1(VALU_DEP_1)
	v_fma_f32 v62, -v55, v61, 1.0
	v_fmac_f32_e32 v61, v62, v61
	s_delay_alu instid0(VALU_DEP_1) | instskip(NEXT) | instid1(VALU_DEP_1)
	v_mul_f32_e32 v62, v63, v61
	v_fma_f32 v64, -v55, v62, v63
	s_delay_alu instid0(VALU_DEP_1) | instskip(NEXT) | instid1(VALU_DEP_1)
	v_fmac_f32_e32 v62, v64, v61
	v_fma_f32 v55, -v55, v62, v63
	s_delay_alu instid0(VALU_DEP_1) | instskip(NEXT) | instid1(VALU_DEP_1)
	v_div_fmas_f32 v55, v55, v61, v62
	v_div_fixup_f32 v55, v55, v52, v53
	s_delay_alu instid0(VALU_DEP_1) | instskip(NEXT) | instid1(VALU_DEP_1)
	v_fmac_f32_e32 v52, v53, v55
	v_div_scale_f32 v53, null, v52, v52, 1.0
	s_delay_alu instid0(VALU_DEP_1) | instskip(SKIP_1) | instid1(TRANS32_DEP_1)
	v_rcp_f32_e32 v61, v53
	v_nop
	v_fma_f32 v62, -v53, v61, 1.0
	s_delay_alu instid0(VALU_DEP_1) | instskip(SKIP_1) | instid1(VALU_DEP_1)
	v_fmac_f32_e32 v61, v62, v61
	v_div_scale_f32 v62, vcc_lo, 1.0, v52, 1.0
	v_mul_f32_e32 v63, v62, v61
	s_delay_alu instid0(VALU_DEP_1) | instskip(NEXT) | instid1(VALU_DEP_1)
	v_fma_f32 v64, -v53, v63, v62
	v_fmac_f32_e32 v63, v64, v61
	s_delay_alu instid0(VALU_DEP_1) | instskip(NEXT) | instid1(VALU_DEP_1)
	v_fma_f32 v53, -v53, v63, v62
	v_div_fmas_f32 v53, v53, v61, v63
	s_delay_alu instid0(VALU_DEP_1) | instskip(NEXT) | instid1(VALU_DEP_1)
	v_div_fixup_f32 v52, v53, v52, 1.0
	v_mul_f32_e64 v53, v55, -v52
.LBB44_303:
	s_or_b32 exec_lo, exec_lo, s1
.LBB44_304:
	s_delay_alu instid0(SALU_CYCLE_1) | instskip(NEXT) | instid1(SALU_CYCLE_1)
	s_or_b32 exec_lo, exec_lo, s0
	s_mov_b32 s0, exec_lo
	v_cmpx_ne_u32_e64 v60, v54
	s_xor_b32 s0, exec_lo, s0
	s_cbranch_execz .LBB44_310
; %bb.305:
	s_mov_b32 s1, exec_lo
	v_cmpx_eq_u32_e32 14, v60
	s_cbranch_execz .LBB44_309
; %bb.306:
	v_cmp_ne_u32_e32 vcc_lo, 14, v54
	s_xor_b32 s15, s12, -1
	s_delay_alu instid0(SALU_CYCLE_1) | instskip(NEXT) | instid1(SALU_CYCLE_1)
	s_and_b32 s16, s15, vcc_lo
	s_and_saveexec_b32 s15, s16
	s_cbranch_execz .LBB44_308
; %bb.307:
	v_ashrrev_i32_e32 v55, 31, v54
	s_delay_alu instid0(VALU_DEP_1)
	v_lshl_add_u64 v[60:61], v[54:55], 2, v[32:33]
	s_clause 0x1
	global_load_b32 v55, v[60:61], off
	global_load_b32 v59, v[32:33], off offset:56
	s_wait_loadcnt 0x1
	global_store_b32 v[32:33], v55, off offset:56
	s_wait_loadcnt 0x0
	global_store_b32 v[60:61], v59, off
.LBB44_308:
	s_wait_xcnt 0x0
	s_or_b32 exec_lo, exec_lo, s15
	v_dual_mov_b32 v60, v54 :: v_dual_mov_b32 v59, v54
.LBB44_309:
	s_or_b32 exec_lo, exec_lo, s1
.LBB44_310:
	s_and_not1_saveexec_b32 s0, s0
	s_cbranch_execz .LBB44_312
; %bb.311:
	v_mov_b32_e32 v60, 14
	ds_store_2addr_b64 v56, v[10:11], v[30:31] offset0:15 offset1:16
	ds_store_2addr_b64 v56, v[28:29], v[8:9] offset0:17 offset1:18
	;; [unrolled: 1-line block ×4, first 2 shown]
.LBB44_312:
	s_or_b32 exec_lo, exec_lo, s0
	s_delay_alu instid0(SALU_CYCLE_1)
	s_mov_b32 s0, exec_lo
	s_wait_storecnt_dscnt 0x0
	s_barrier_signal -1
	s_barrier_wait -1
	v_cmpx_lt_i32_e32 14, v60
	s_cbranch_execz .LBB44_314
; %bb.313:
	v_pk_mul_f32 v[54:55], v[52:53], v[12:13] op_sel:[1,1] op_sel_hi:[0,1]
	s_delay_alu instid0(VALU_DEP_1)
	v_pk_fma_f32 v[62:63], v[52:53], v[12:13], v[54:55] op_sel_hi:[1,0,1] neg_lo:[0,0,1] neg_hi:[0,0,1]
	v_pk_fma_f32 v[64:65], v[52:53], v[12:13], v[54:55] op_sel_hi:[1,0,1]
	ds_load_2addr_b64 v[52:55], v56 offset0:15 offset1:16
	v_dual_mov_b32 v12, v62 :: v_dual_mov_b32 v13, v65
	s_wait_dscnt 0x0
	v_pk_mul_f32 v[66:67], v[52:53], v[64:65] op_sel:[0,1]
	s_delay_alu instid0(VALU_DEP_1) | instskip(SKIP_1) | instid1(VALU_DEP_1)
	v_pk_fma_f32 v[68:69], v[52:53], v[62:63], v[66:67] op_sel:[0,0,1] op_sel_hi:[1,1,0] neg_lo:[0,0,1] neg_hi:[0,0,1]
	v_pk_fma_f32 v[52:53], v[52:53], v[62:63], v[66:67] op_sel:[0,0,1] op_sel_hi:[1,0,0]
	v_mov_b32_e32 v69, v53
	v_pk_mul_f32 v[52:53], v[54:55], v[64:65] op_sel:[0,1]
	s_delay_alu instid0(VALU_DEP_1) | instskip(SKIP_1) | instid1(VALU_DEP_1)
	v_pk_fma_f32 v[66:67], v[54:55], v[62:63], v[52:53] op_sel:[0,0,1] op_sel_hi:[1,1,0] neg_lo:[0,0,1] neg_hi:[0,0,1]
	v_pk_fma_f32 v[52:53], v[54:55], v[62:63], v[52:53] op_sel:[0,0,1] op_sel_hi:[1,0,0]
	v_mov_b32_e32 v67, v53
	ds_load_2addr_b64 v[52:55], v56 offset0:17 offset1:18
	v_pk_add_f32 v[10:11], v[10:11], v[68:69] neg_lo:[0,1] neg_hi:[0,1]
	v_pk_add_f32 v[30:31], v[30:31], v[66:67] neg_lo:[0,1] neg_hi:[0,1]
	s_wait_dscnt 0x0
	v_pk_mul_f32 v[66:67], v[52:53], v[64:65] op_sel:[0,1]
	s_delay_alu instid0(VALU_DEP_1) | instskip(SKIP_2) | instid1(VALU_DEP_2)
	v_pk_fma_f32 v[68:69], v[52:53], v[62:63], v[66:67] op_sel:[0,0,1] op_sel_hi:[1,1,0] neg_lo:[0,0,1] neg_hi:[0,0,1]
	v_pk_fma_f32 v[52:53], v[52:53], v[62:63], v[66:67] op_sel:[0,0,1] op_sel_hi:[1,0,0]
	v_dual_mul_f32 v66, v55, v65 :: v_dual_mov_b32 v52, v55
	v_dual_mov_b32 v69, v53 :: v_dual_mov_b32 v53, v54
	s_delay_alu instid0(VALU_DEP_2) | instskip(SKIP_1) | instid1(VALU_DEP_3)
	v_pk_fma_f32 v[66:67], v[54:55], v[12:13], v[66:67] op_sel_hi:[1,1,0] neg_lo:[0,0,1] neg_hi:[0,0,1]
	v_mul_f32_e32 v54, v55, v62
	v_pk_add_f32 v[28:29], v[28:29], v[68:69] neg_lo:[0,1] neg_hi:[0,1]
	s_delay_alu instid0(VALU_DEP_2) | instskip(NEXT) | instid1(VALU_DEP_1)
	v_pk_fma_f32 v[52:53], v[52:53], v[12:13], v[54:55] op_sel_hi:[1,1,0]
	v_mov_b32_e32 v67, v53
	ds_load_2addr_b64 v[52:55], v56 offset0:19 offset1:20
	v_pk_add_f32 v[8:9], v[8:9], v[66:67] neg_lo:[0,1] neg_hi:[0,1]
	s_wait_dscnt 0x0
	v_pk_mul_f32 v[66:67], v[52:53], v[64:65] op_sel:[0,1]
	s_delay_alu instid0(VALU_DEP_1) | instskip(SKIP_1) | instid1(VALU_DEP_1)
	v_pk_fma_f32 v[68:69], v[52:53], v[62:63], v[66:67] op_sel:[0,0,1] op_sel_hi:[1,1,0] neg_lo:[0,0,1] neg_hi:[0,0,1]
	v_pk_fma_f32 v[52:53], v[52:53], v[62:63], v[66:67] op_sel:[0,0,1] op_sel_hi:[1,0,0]
	v_mov_b32_e32 v69, v53
	v_pk_mul_f32 v[52:53], v[54:55], v[64:65] op_sel:[0,1]
	s_delay_alu instid0(VALU_DEP_1) | instskip(SKIP_1) | instid1(VALU_DEP_1)
	v_pk_fma_f32 v[66:67], v[54:55], v[62:63], v[52:53] op_sel:[0,0,1] op_sel_hi:[1,1,0] neg_lo:[0,0,1] neg_hi:[0,0,1]
	v_pk_fma_f32 v[52:53], v[54:55], v[62:63], v[52:53] op_sel:[0,0,1] op_sel_hi:[1,0,0]
	v_mov_b32_e32 v67, v53
	ds_load_2addr_b64 v[52:55], v56 offset0:21 offset1:22
	v_pk_add_f32 v[26:27], v[26:27], v[68:69] neg_lo:[0,1] neg_hi:[0,1]
	v_pk_add_f32 v[20:21], v[20:21], v[66:67] neg_lo:[0,1] neg_hi:[0,1]
	s_wait_dscnt 0x0
	v_pk_mul_f32 v[66:67], v[52:53], v[64:65] op_sel:[0,1]
	s_delay_alu instid0(VALU_DEP_1) | instskip(SKIP_1) | instid1(VALU_DEP_1)
	v_pk_fma_f32 v[68:69], v[52:53], v[62:63], v[66:67] op_sel:[0,0,1] op_sel_hi:[1,1,0] neg_lo:[0,0,1] neg_hi:[0,0,1]
	v_pk_fma_f32 v[52:53], v[52:53], v[62:63], v[66:67] op_sel:[0,0,1] op_sel_hi:[1,0,0]
	v_mov_b32_e32 v69, v53
	v_pk_mul_f32 v[52:53], v[54:55], v[64:65] op_sel:[0,1]
	s_delay_alu instid0(VALU_DEP_1) | instskip(SKIP_1) | instid1(VALU_DEP_1)
	v_pk_fma_f32 v[64:65], v[54:55], v[62:63], v[52:53] op_sel:[0,0,1] op_sel_hi:[1,1,0] neg_lo:[0,0,1] neg_hi:[0,0,1]
	v_pk_fma_f32 v[52:53], v[54:55], v[62:63], v[52:53] op_sel:[0,0,1] op_sel_hi:[1,0,0]
	v_mov_b32_e32 v65, v53
	v_pk_add_f32 v[18:19], v[18:19], v[68:69] neg_lo:[0,1] neg_hi:[0,1]
	s_delay_alu instid0(VALU_DEP_2)
	v_pk_add_f32 v[50:51], v[50:51], v[64:65] neg_lo:[0,1] neg_hi:[0,1]
.LBB44_314:
	s_or_b32 exec_lo, exec_lo, s0
	v_lshl_add_u32 v52, v60, 3, v56
	s_barrier_signal -1
	s_barrier_wait -1
	ds_store_b64 v52, v[10:11]
	s_wait_dscnt 0x0
	s_barrier_signal -1
	s_barrier_wait -1
	ds_load_b64 v[52:53], v56 offset:120
	v_mov_b32_e32 v54, 15
	s_cmp_lt_i32 s14, 17
	s_cbranch_scc1 .LBB44_317
; %bb.315:
	v_add3_u32 v55, v57, 0, 0x80
	v_mov_b32_e32 v54, 15
	s_mov_b32 s0, 16
.LBB44_316:                             ; =>This Inner Loop Header: Depth=1
	ds_load_b64 v[62:63], v55
	s_wait_dscnt 0x1
	v_cmp_gt_f32_e32 vcc_lo, 0, v52
	v_cndmask_b32_e64 v64, v52, -v52, vcc_lo
	v_cmp_gt_f32_e32 vcc_lo, 0, v53
	v_cndmask_b32_e64 v66, v53, -v53, vcc_lo
	s_wait_dscnt 0x0
	v_cmp_gt_f32_e32 vcc_lo, 0, v62
	v_cndmask_b32_e64 v65, v62, -v62, vcc_lo
	v_cmp_gt_f32_e32 vcc_lo, 0, v63
	v_cndmask_b32_e64 v67, v63, -v63, vcc_lo
	s_delay_alu instid0(VALU_DEP_1) | instskip(NEXT) | instid1(VALU_DEP_1)
	v_pk_add_f32 v[64:65], v[64:65], v[66:67]
	v_cmp_lt_f32_e32 vcc_lo, v64, v65
	v_dual_cndmask_b32 v52, v52, v62 :: v_dual_add_nc_u32 v55, 8, v55
	v_cndmask_b32_e32 v53, v53, v63, vcc_lo
	v_cndmask_b32_e64 v54, v54, s0, vcc_lo
	s_add_co_i32 s0, s0, 1
	s_delay_alu instid0(SALU_CYCLE_1)
	s_cmp_lg_u32 s14, s0
	s_cbranch_scc1 .LBB44_316
.LBB44_317:
	s_wait_dscnt 0x0
	v_cmp_eq_f32_e32 vcc_lo, 0, v52
	v_cmp_eq_f32_e64 s0, 0, v53
	s_and_b32 s0, vcc_lo, s0
	s_delay_alu instid0(SALU_CYCLE_1) | instskip(NEXT) | instid1(SALU_CYCLE_1)
	s_and_saveexec_b32 s1, s0
	s_xor_b32 s0, exec_lo, s1
; %bb.318:
	v_cmp_ne_u32_e32 vcc_lo, 0, v58
	v_cndmask_b32_e32 v58, 16, v58, vcc_lo
; %bb.319:
	s_and_not1_saveexec_b32 s0, s0
	s_cbranch_execz .LBB44_325
; %bb.320:
	v_cmp_ngt_f32_e64 s1, |v52|, |v53|
	s_and_saveexec_b32 s15, s1
	s_delay_alu instid0(SALU_CYCLE_1)
	s_xor_b32 s1, exec_lo, s15
	s_cbranch_execz .LBB44_322
; %bb.321:
	v_div_scale_f32 v55, null, v53, v53, v52
	v_div_scale_f32 v63, vcc_lo, v52, v53, v52
	s_delay_alu instid0(VALU_DEP_2) | instskip(SKIP_1) | instid1(TRANS32_DEP_1)
	v_rcp_f32_e32 v61, v55
	v_nop
	v_fma_f32 v62, -v55, v61, 1.0
	s_delay_alu instid0(VALU_DEP_1) | instskip(NEXT) | instid1(VALU_DEP_1)
	v_fmac_f32_e32 v61, v62, v61
	v_mul_f32_e32 v62, v63, v61
	s_delay_alu instid0(VALU_DEP_1) | instskip(NEXT) | instid1(VALU_DEP_1)
	v_fma_f32 v64, -v55, v62, v63
	v_fmac_f32_e32 v62, v64, v61
	s_delay_alu instid0(VALU_DEP_1) | instskip(NEXT) | instid1(VALU_DEP_1)
	v_fma_f32 v55, -v55, v62, v63
	v_div_fmas_f32 v55, v55, v61, v62
	s_delay_alu instid0(VALU_DEP_1) | instskip(NEXT) | instid1(VALU_DEP_1)
	v_div_fixup_f32 v55, v55, v53, v52
	v_fmac_f32_e32 v53, v52, v55
	s_delay_alu instid0(VALU_DEP_1) | instskip(SKIP_1) | instid1(VALU_DEP_2)
	v_div_scale_f32 v52, null, v53, v53, 1.0
	v_div_scale_f32 v63, vcc_lo, 1.0, v53, 1.0
	v_rcp_f32_e32 v61, v52
	v_nop
	s_delay_alu instid0(TRANS32_DEP_1) | instskip(NEXT) | instid1(VALU_DEP_1)
	v_fma_f32 v62, -v52, v61, 1.0
	v_fmac_f32_e32 v61, v62, v61
	s_delay_alu instid0(VALU_DEP_1) | instskip(NEXT) | instid1(VALU_DEP_1)
	v_mul_f32_e32 v62, v63, v61
	v_fma_f32 v64, -v52, v62, v63
	s_delay_alu instid0(VALU_DEP_1) | instskip(NEXT) | instid1(VALU_DEP_1)
	v_fmac_f32_e32 v62, v64, v61
	v_fma_f32 v52, -v52, v62, v63
	s_delay_alu instid0(VALU_DEP_1) | instskip(NEXT) | instid1(VALU_DEP_1)
	v_div_fmas_f32 v52, v52, v61, v62
	v_div_fixup_f32 v53, v52, v53, 1.0
	s_delay_alu instid0(VALU_DEP_1)
	v_mul_f32_e32 v52, v55, v53
	v_xor_b32_e32 v53, 0x80000000, v53
.LBB44_322:
	s_and_not1_saveexec_b32 s1, s1
	s_cbranch_execz .LBB44_324
; %bb.323:
	s_delay_alu instid0(VALU_DEP_1) | instskip(SKIP_1) | instid1(VALU_DEP_2)
	v_div_scale_f32 v55, null, v52, v52, v53
	v_div_scale_f32 v63, vcc_lo, v53, v52, v53
	v_rcp_f32_e32 v61, v55
	v_nop
	s_delay_alu instid0(TRANS32_DEP_1) | instskip(NEXT) | instid1(VALU_DEP_1)
	v_fma_f32 v62, -v55, v61, 1.0
	v_fmac_f32_e32 v61, v62, v61
	s_delay_alu instid0(VALU_DEP_1) | instskip(NEXT) | instid1(VALU_DEP_1)
	v_mul_f32_e32 v62, v63, v61
	v_fma_f32 v64, -v55, v62, v63
	s_delay_alu instid0(VALU_DEP_1) | instskip(NEXT) | instid1(VALU_DEP_1)
	v_fmac_f32_e32 v62, v64, v61
	v_fma_f32 v55, -v55, v62, v63
	s_delay_alu instid0(VALU_DEP_1) | instskip(NEXT) | instid1(VALU_DEP_1)
	v_div_fmas_f32 v55, v55, v61, v62
	v_div_fixup_f32 v55, v55, v52, v53
	s_delay_alu instid0(VALU_DEP_1) | instskip(NEXT) | instid1(VALU_DEP_1)
	v_fmac_f32_e32 v52, v53, v55
	v_div_scale_f32 v53, null, v52, v52, 1.0
	s_delay_alu instid0(VALU_DEP_1) | instskip(SKIP_1) | instid1(TRANS32_DEP_1)
	v_rcp_f32_e32 v61, v53
	v_nop
	v_fma_f32 v62, -v53, v61, 1.0
	s_delay_alu instid0(VALU_DEP_1) | instskip(SKIP_1) | instid1(VALU_DEP_1)
	v_fmac_f32_e32 v61, v62, v61
	v_div_scale_f32 v62, vcc_lo, 1.0, v52, 1.0
	v_mul_f32_e32 v63, v62, v61
	s_delay_alu instid0(VALU_DEP_1) | instskip(NEXT) | instid1(VALU_DEP_1)
	v_fma_f32 v64, -v53, v63, v62
	v_fmac_f32_e32 v63, v64, v61
	s_delay_alu instid0(VALU_DEP_1) | instskip(NEXT) | instid1(VALU_DEP_1)
	v_fma_f32 v53, -v53, v63, v62
	v_div_fmas_f32 v53, v53, v61, v63
	s_delay_alu instid0(VALU_DEP_1) | instskip(NEXT) | instid1(VALU_DEP_1)
	v_div_fixup_f32 v52, v53, v52, 1.0
	v_mul_f32_e64 v53, v55, -v52
.LBB44_324:
	s_or_b32 exec_lo, exec_lo, s1
.LBB44_325:
	s_delay_alu instid0(SALU_CYCLE_1) | instskip(NEXT) | instid1(SALU_CYCLE_1)
	s_or_b32 exec_lo, exec_lo, s0
	s_mov_b32 s0, exec_lo
	v_cmpx_ne_u32_e64 v60, v54
	s_xor_b32 s0, exec_lo, s0
	s_cbranch_execz .LBB44_331
; %bb.326:
	s_mov_b32 s1, exec_lo
	v_cmpx_eq_u32_e32 15, v60
	s_cbranch_execz .LBB44_330
; %bb.327:
	v_cmp_ne_u32_e32 vcc_lo, 15, v54
	s_xor_b32 s15, s12, -1
	s_delay_alu instid0(SALU_CYCLE_1) | instskip(NEXT) | instid1(SALU_CYCLE_1)
	s_and_b32 s16, s15, vcc_lo
	s_and_saveexec_b32 s15, s16
	s_cbranch_execz .LBB44_329
; %bb.328:
	v_ashrrev_i32_e32 v55, 31, v54
	s_delay_alu instid0(VALU_DEP_1)
	v_lshl_add_u64 v[60:61], v[54:55], 2, v[32:33]
	s_clause 0x1
	global_load_b32 v55, v[60:61], off
	global_load_b32 v59, v[32:33], off offset:60
	s_wait_loadcnt 0x1
	global_store_b32 v[32:33], v55, off offset:60
	s_wait_loadcnt 0x0
	global_store_b32 v[60:61], v59, off
.LBB44_329:
	s_wait_xcnt 0x0
	s_or_b32 exec_lo, exec_lo, s15
	v_dual_mov_b32 v60, v54 :: v_dual_mov_b32 v59, v54
.LBB44_330:
	s_or_b32 exec_lo, exec_lo, s1
.LBB44_331:
	s_and_not1_saveexec_b32 s0, s0
	s_cbranch_execz .LBB44_333
; %bb.332:
	v_dual_mov_b32 v54, v30 :: v_dual_mov_b32 v55, v31
	v_dual_mov_b32 v62, v28 :: v_dual_mov_b32 v63, v29
	;; [unrolled: 1-line block ×6, first 2 shown]
	v_mov_b32_e32 v71, v19
	ds_store_2addr_b64 v56, v[54:55], v[62:63] offset0:16 offset1:17
	ds_store_2addr_b64 v56, v[64:65], v[66:67] offset0:18 offset1:19
	;; [unrolled: 1-line block ×3, first 2 shown]
	ds_store_b64 v56, v[50:51] offset:176
.LBB44_333:
	s_or_b32 exec_lo, exec_lo, s0
	s_delay_alu instid0(SALU_CYCLE_1)
	s_mov_b32 s0, exec_lo
	s_wait_storecnt_dscnt 0x0
	s_barrier_signal -1
	s_barrier_wait -1
	v_cmpx_lt_i32_e32 15, v60
	s_cbranch_execz .LBB44_335
; %bb.334:
	v_pk_mul_f32 v[54:55], v[52:53], v[10:11] op_sel:[1,1] op_sel_hi:[0,1]
	s_delay_alu instid0(VALU_DEP_1)
	v_pk_fma_f32 v[62:63], v[52:53], v[10:11], v[54:55] op_sel_hi:[1,0,1] neg_lo:[0,0,1] neg_hi:[0,0,1]
	v_pk_fma_f32 v[64:65], v[52:53], v[10:11], v[54:55] op_sel_hi:[1,0,1]
	ds_load_2addr_b64 v[52:55], v56 offset0:16 offset1:17
	v_dual_mov_b32 v10, v62 :: v_dual_mov_b32 v11, v65
	s_wait_dscnt 0x0
	v_pk_mul_f32 v[66:67], v[52:53], v[64:65] op_sel:[0,1]
	s_delay_alu instid0(VALU_DEP_1) | instskip(SKIP_1) | instid1(VALU_DEP_1)
	v_pk_fma_f32 v[68:69], v[52:53], v[62:63], v[66:67] op_sel:[0,0,1] op_sel_hi:[1,1,0] neg_lo:[0,0,1] neg_hi:[0,0,1]
	v_pk_fma_f32 v[52:53], v[52:53], v[62:63], v[66:67] op_sel:[0,0,1] op_sel_hi:[1,0,0]
	v_mov_b32_e32 v69, v53
	v_pk_mul_f32 v[52:53], v[54:55], v[64:65] op_sel:[0,1]
	s_delay_alu instid0(VALU_DEP_1) | instskip(SKIP_1) | instid1(VALU_DEP_1)
	v_pk_fma_f32 v[66:67], v[54:55], v[62:63], v[52:53] op_sel:[0,0,1] op_sel_hi:[1,1,0] neg_lo:[0,0,1] neg_hi:[0,0,1]
	v_pk_fma_f32 v[52:53], v[54:55], v[62:63], v[52:53] op_sel:[0,0,1] op_sel_hi:[1,0,0]
	v_mov_b32_e32 v67, v53
	ds_load_2addr_b64 v[52:55], v56 offset0:18 offset1:19
	v_pk_add_f32 v[30:31], v[30:31], v[68:69] neg_lo:[0,1] neg_hi:[0,1]
	v_pk_add_f32 v[28:29], v[28:29], v[66:67] neg_lo:[0,1] neg_hi:[0,1]
	s_wait_dscnt 0x0
	v_pk_mul_f32 v[66:67], v[52:53], v[64:65] op_sel:[0,1]
	s_delay_alu instid0(VALU_DEP_1) | instskip(SKIP_2) | instid1(VALU_DEP_2)
	v_pk_fma_f32 v[68:69], v[52:53], v[62:63], v[66:67] op_sel:[0,0,1] op_sel_hi:[1,1,0] neg_lo:[0,0,1] neg_hi:[0,0,1]
	v_pk_fma_f32 v[52:53], v[52:53], v[62:63], v[66:67] op_sel:[0,0,1] op_sel_hi:[1,0,0]
	v_dual_mul_f32 v66, v55, v65 :: v_dual_mov_b32 v52, v55
	v_dual_mov_b32 v69, v53 :: v_dual_mov_b32 v53, v54
	s_delay_alu instid0(VALU_DEP_2) | instskip(SKIP_1) | instid1(VALU_DEP_3)
	v_pk_fma_f32 v[66:67], v[54:55], v[10:11], v[66:67] op_sel_hi:[1,1,0] neg_lo:[0,0,1] neg_hi:[0,0,1]
	v_mul_f32_e32 v54, v55, v62
	v_pk_add_f32 v[8:9], v[8:9], v[68:69] neg_lo:[0,1] neg_hi:[0,1]
	s_delay_alu instid0(VALU_DEP_2) | instskip(NEXT) | instid1(VALU_DEP_1)
	v_pk_fma_f32 v[52:53], v[52:53], v[10:11], v[54:55] op_sel_hi:[1,1,0]
	v_mov_b32_e32 v67, v53
	ds_load_2addr_b64 v[52:55], v56 offset0:20 offset1:21
	v_pk_add_f32 v[26:27], v[26:27], v[66:67] neg_lo:[0,1] neg_hi:[0,1]
	s_wait_dscnt 0x0
	v_pk_mul_f32 v[66:67], v[52:53], v[64:65] op_sel:[0,1]
	s_delay_alu instid0(VALU_DEP_1) | instskip(SKIP_1) | instid1(VALU_DEP_1)
	v_pk_fma_f32 v[68:69], v[52:53], v[62:63], v[66:67] op_sel:[0,0,1] op_sel_hi:[1,1,0] neg_lo:[0,0,1] neg_hi:[0,0,1]
	v_pk_fma_f32 v[52:53], v[52:53], v[62:63], v[66:67] op_sel:[0,0,1] op_sel_hi:[1,0,0]
	v_mov_b32_e32 v69, v53
	v_pk_mul_f32 v[52:53], v[54:55], v[64:65] op_sel:[0,1]
	s_delay_alu instid0(VALU_DEP_1) | instskip(SKIP_1) | instid1(VALU_DEP_1)
	v_pk_fma_f32 v[66:67], v[54:55], v[62:63], v[52:53] op_sel:[0,0,1] op_sel_hi:[1,1,0] neg_lo:[0,0,1] neg_hi:[0,0,1]
	v_pk_fma_f32 v[52:53], v[54:55], v[62:63], v[52:53] op_sel:[0,0,1] op_sel_hi:[1,0,0]
	v_mov_b32_e32 v67, v53
	ds_load_b64 v[52:53], v56 offset:176
	v_pk_add_f32 v[20:21], v[20:21], v[68:69] neg_lo:[0,1] neg_hi:[0,1]
	v_pk_add_f32 v[18:19], v[18:19], v[66:67] neg_lo:[0,1] neg_hi:[0,1]
	s_wait_dscnt 0x0
	v_pk_mul_f32 v[54:55], v[52:53], v[64:65] op_sel:[0,1]
	s_delay_alu instid0(VALU_DEP_1) | instskip(SKIP_1) | instid1(VALU_DEP_1)
	v_pk_fma_f32 v[64:65], v[52:53], v[62:63], v[54:55] op_sel:[0,0,1] op_sel_hi:[1,1,0] neg_lo:[0,0,1] neg_hi:[0,0,1]
	v_pk_fma_f32 v[52:53], v[52:53], v[62:63], v[54:55] op_sel:[0,0,1] op_sel_hi:[1,0,0]
	v_mov_b32_e32 v65, v53
	s_delay_alu instid0(VALU_DEP_1)
	v_pk_add_f32 v[50:51], v[50:51], v[64:65] neg_lo:[0,1] neg_hi:[0,1]
.LBB44_335:
	s_or_b32 exec_lo, exec_lo, s0
	v_lshl_add_u32 v52, v60, 3, v56
	s_barrier_signal -1
	s_barrier_wait -1
	ds_store_b64 v52, v[30:31]
	s_wait_dscnt 0x0
	s_barrier_signal -1
	s_barrier_wait -1
	ds_load_b64 v[52:53], v56 offset:128
	v_mov_b32_e32 v54, 16
	s_cmp_lt_i32 s14, 18
	s_cbranch_scc1 .LBB44_338
; %bb.336:
	v_add3_u32 v55, v57, 0, 0x88
	v_mov_b32_e32 v54, 16
	s_mov_b32 s0, 17
.LBB44_337:                             ; =>This Inner Loop Header: Depth=1
	ds_load_b64 v[62:63], v55
	s_wait_dscnt 0x1
	v_cmp_gt_f32_e32 vcc_lo, 0, v52
	v_cndmask_b32_e64 v64, v52, -v52, vcc_lo
	v_cmp_gt_f32_e32 vcc_lo, 0, v53
	v_cndmask_b32_e64 v66, v53, -v53, vcc_lo
	s_wait_dscnt 0x0
	v_cmp_gt_f32_e32 vcc_lo, 0, v62
	v_cndmask_b32_e64 v65, v62, -v62, vcc_lo
	v_cmp_gt_f32_e32 vcc_lo, 0, v63
	v_cndmask_b32_e64 v67, v63, -v63, vcc_lo
	s_delay_alu instid0(VALU_DEP_1) | instskip(NEXT) | instid1(VALU_DEP_1)
	v_pk_add_f32 v[64:65], v[64:65], v[66:67]
	v_cmp_lt_f32_e32 vcc_lo, v64, v65
	v_dual_cndmask_b32 v52, v52, v62 :: v_dual_add_nc_u32 v55, 8, v55
	v_cndmask_b32_e32 v53, v53, v63, vcc_lo
	v_cndmask_b32_e64 v54, v54, s0, vcc_lo
	s_add_co_i32 s0, s0, 1
	s_delay_alu instid0(SALU_CYCLE_1)
	s_cmp_lg_u32 s14, s0
	s_cbranch_scc1 .LBB44_337
.LBB44_338:
	s_wait_dscnt 0x0
	v_cmp_eq_f32_e32 vcc_lo, 0, v52
	v_cmp_eq_f32_e64 s0, 0, v53
	s_and_b32 s0, vcc_lo, s0
	s_delay_alu instid0(SALU_CYCLE_1) | instskip(NEXT) | instid1(SALU_CYCLE_1)
	s_and_saveexec_b32 s1, s0
	s_xor_b32 s0, exec_lo, s1
; %bb.339:
	v_cmp_ne_u32_e32 vcc_lo, 0, v58
	v_cndmask_b32_e32 v58, 17, v58, vcc_lo
; %bb.340:
	s_and_not1_saveexec_b32 s0, s0
	s_cbranch_execz .LBB44_346
; %bb.341:
	v_cmp_ngt_f32_e64 s1, |v52|, |v53|
	s_and_saveexec_b32 s15, s1
	s_delay_alu instid0(SALU_CYCLE_1)
	s_xor_b32 s1, exec_lo, s15
	s_cbranch_execz .LBB44_343
; %bb.342:
	v_div_scale_f32 v55, null, v53, v53, v52
	v_div_scale_f32 v63, vcc_lo, v52, v53, v52
	s_delay_alu instid0(VALU_DEP_2) | instskip(SKIP_1) | instid1(TRANS32_DEP_1)
	v_rcp_f32_e32 v61, v55
	v_nop
	v_fma_f32 v62, -v55, v61, 1.0
	s_delay_alu instid0(VALU_DEP_1) | instskip(NEXT) | instid1(VALU_DEP_1)
	v_fmac_f32_e32 v61, v62, v61
	v_mul_f32_e32 v62, v63, v61
	s_delay_alu instid0(VALU_DEP_1) | instskip(NEXT) | instid1(VALU_DEP_1)
	v_fma_f32 v64, -v55, v62, v63
	v_fmac_f32_e32 v62, v64, v61
	s_delay_alu instid0(VALU_DEP_1) | instskip(NEXT) | instid1(VALU_DEP_1)
	v_fma_f32 v55, -v55, v62, v63
	v_div_fmas_f32 v55, v55, v61, v62
	s_delay_alu instid0(VALU_DEP_1) | instskip(NEXT) | instid1(VALU_DEP_1)
	v_div_fixup_f32 v55, v55, v53, v52
	v_fmac_f32_e32 v53, v52, v55
	s_delay_alu instid0(VALU_DEP_1) | instskip(SKIP_1) | instid1(VALU_DEP_2)
	v_div_scale_f32 v52, null, v53, v53, 1.0
	v_div_scale_f32 v63, vcc_lo, 1.0, v53, 1.0
	v_rcp_f32_e32 v61, v52
	v_nop
	s_delay_alu instid0(TRANS32_DEP_1) | instskip(NEXT) | instid1(VALU_DEP_1)
	v_fma_f32 v62, -v52, v61, 1.0
	v_fmac_f32_e32 v61, v62, v61
	s_delay_alu instid0(VALU_DEP_1) | instskip(NEXT) | instid1(VALU_DEP_1)
	v_mul_f32_e32 v62, v63, v61
	v_fma_f32 v64, -v52, v62, v63
	s_delay_alu instid0(VALU_DEP_1) | instskip(NEXT) | instid1(VALU_DEP_1)
	v_fmac_f32_e32 v62, v64, v61
	v_fma_f32 v52, -v52, v62, v63
	s_delay_alu instid0(VALU_DEP_1) | instskip(NEXT) | instid1(VALU_DEP_1)
	v_div_fmas_f32 v52, v52, v61, v62
	v_div_fixup_f32 v53, v52, v53, 1.0
	s_delay_alu instid0(VALU_DEP_1)
	v_mul_f32_e32 v52, v55, v53
	v_xor_b32_e32 v53, 0x80000000, v53
.LBB44_343:
	s_and_not1_saveexec_b32 s1, s1
	s_cbranch_execz .LBB44_345
; %bb.344:
	s_delay_alu instid0(VALU_DEP_1) | instskip(SKIP_1) | instid1(VALU_DEP_2)
	v_div_scale_f32 v55, null, v52, v52, v53
	v_div_scale_f32 v63, vcc_lo, v53, v52, v53
	v_rcp_f32_e32 v61, v55
	v_nop
	s_delay_alu instid0(TRANS32_DEP_1) | instskip(NEXT) | instid1(VALU_DEP_1)
	v_fma_f32 v62, -v55, v61, 1.0
	v_fmac_f32_e32 v61, v62, v61
	s_delay_alu instid0(VALU_DEP_1) | instskip(NEXT) | instid1(VALU_DEP_1)
	v_mul_f32_e32 v62, v63, v61
	v_fma_f32 v64, -v55, v62, v63
	s_delay_alu instid0(VALU_DEP_1) | instskip(NEXT) | instid1(VALU_DEP_1)
	v_fmac_f32_e32 v62, v64, v61
	v_fma_f32 v55, -v55, v62, v63
	s_delay_alu instid0(VALU_DEP_1) | instskip(NEXT) | instid1(VALU_DEP_1)
	v_div_fmas_f32 v55, v55, v61, v62
	v_div_fixup_f32 v55, v55, v52, v53
	s_delay_alu instid0(VALU_DEP_1) | instskip(NEXT) | instid1(VALU_DEP_1)
	v_fmac_f32_e32 v52, v53, v55
	v_div_scale_f32 v53, null, v52, v52, 1.0
	s_delay_alu instid0(VALU_DEP_1) | instskip(SKIP_1) | instid1(TRANS32_DEP_1)
	v_rcp_f32_e32 v61, v53
	v_nop
	v_fma_f32 v62, -v53, v61, 1.0
	s_delay_alu instid0(VALU_DEP_1) | instskip(SKIP_1) | instid1(VALU_DEP_1)
	v_fmac_f32_e32 v61, v62, v61
	v_div_scale_f32 v62, vcc_lo, 1.0, v52, 1.0
	v_mul_f32_e32 v63, v62, v61
	s_delay_alu instid0(VALU_DEP_1) | instskip(NEXT) | instid1(VALU_DEP_1)
	v_fma_f32 v64, -v53, v63, v62
	v_fmac_f32_e32 v63, v64, v61
	s_delay_alu instid0(VALU_DEP_1) | instskip(NEXT) | instid1(VALU_DEP_1)
	v_fma_f32 v53, -v53, v63, v62
	v_div_fmas_f32 v53, v53, v61, v63
	s_delay_alu instid0(VALU_DEP_1) | instskip(NEXT) | instid1(VALU_DEP_1)
	v_div_fixup_f32 v52, v53, v52, 1.0
	v_mul_f32_e64 v53, v55, -v52
.LBB44_345:
	s_or_b32 exec_lo, exec_lo, s1
.LBB44_346:
	s_delay_alu instid0(SALU_CYCLE_1) | instskip(NEXT) | instid1(SALU_CYCLE_1)
	s_or_b32 exec_lo, exec_lo, s0
	s_mov_b32 s0, exec_lo
	v_cmpx_ne_u32_e64 v60, v54
	s_xor_b32 s0, exec_lo, s0
	s_cbranch_execz .LBB44_352
; %bb.347:
	s_mov_b32 s1, exec_lo
	v_cmpx_eq_u32_e32 16, v60
	s_cbranch_execz .LBB44_351
; %bb.348:
	v_cmp_ne_u32_e32 vcc_lo, 16, v54
	s_xor_b32 s15, s12, -1
	s_delay_alu instid0(SALU_CYCLE_1) | instskip(NEXT) | instid1(SALU_CYCLE_1)
	s_and_b32 s16, s15, vcc_lo
	s_and_saveexec_b32 s15, s16
	s_cbranch_execz .LBB44_350
; %bb.349:
	v_ashrrev_i32_e32 v55, 31, v54
	s_delay_alu instid0(VALU_DEP_1)
	v_lshl_add_u64 v[60:61], v[54:55], 2, v[32:33]
	s_clause 0x1
	global_load_b32 v55, v[60:61], off
	global_load_b32 v59, v[32:33], off offset:64
	s_wait_loadcnt 0x1
	global_store_b32 v[32:33], v55, off offset:64
	s_wait_loadcnt 0x0
	global_store_b32 v[60:61], v59, off
.LBB44_350:
	s_wait_xcnt 0x0
	s_or_b32 exec_lo, exec_lo, s15
	v_dual_mov_b32 v60, v54 :: v_dual_mov_b32 v59, v54
.LBB44_351:
	s_or_b32 exec_lo, exec_lo, s1
.LBB44_352:
	s_and_not1_saveexec_b32 s0, s0
	s_cbranch_execz .LBB44_354
; %bb.353:
	v_mov_b32_e32 v60, 16
	ds_store_2addr_b64 v56, v[28:29], v[8:9] offset0:17 offset1:18
	ds_store_2addr_b64 v56, v[26:27], v[20:21] offset0:19 offset1:20
	;; [unrolled: 1-line block ×3, first 2 shown]
.LBB44_354:
	s_or_b32 exec_lo, exec_lo, s0
	s_delay_alu instid0(SALU_CYCLE_1)
	s_mov_b32 s0, exec_lo
	s_wait_storecnt_dscnt 0x0
	s_barrier_signal -1
	s_barrier_wait -1
	v_cmpx_lt_i32_e32 16, v60
	s_cbranch_execz .LBB44_356
; %bb.355:
	v_pk_mul_f32 v[54:55], v[52:53], v[30:31] op_sel:[1,1] op_sel_hi:[0,1]
	s_delay_alu instid0(VALU_DEP_1)
	v_pk_fma_f32 v[62:63], v[52:53], v[30:31], v[54:55] op_sel_hi:[1,0,1] neg_lo:[0,0,1] neg_hi:[0,0,1]
	v_pk_fma_f32 v[64:65], v[52:53], v[30:31], v[54:55] op_sel_hi:[1,0,1]
	ds_load_2addr_b64 v[52:55], v56 offset0:17 offset1:18
	v_dual_mov_b32 v30, v62 :: v_dual_mov_b32 v31, v65
	s_wait_dscnt 0x0
	v_pk_mul_f32 v[66:67], v[52:53], v[64:65] op_sel:[0,1]
	s_delay_alu instid0(VALU_DEP_1) | instskip(SKIP_1) | instid1(VALU_DEP_1)
	v_pk_fma_f32 v[68:69], v[52:53], v[62:63], v[66:67] op_sel:[0,0,1] op_sel_hi:[1,1,0] neg_lo:[0,0,1] neg_hi:[0,0,1]
	v_pk_fma_f32 v[52:53], v[52:53], v[62:63], v[66:67] op_sel:[0,0,1] op_sel_hi:[1,0,0]
	v_mov_b32_e32 v69, v53
	v_pk_mul_f32 v[52:53], v[54:55], v[64:65] op_sel:[0,1]
	s_delay_alu instid0(VALU_DEP_1) | instskip(SKIP_1) | instid1(VALU_DEP_1)
	v_pk_fma_f32 v[66:67], v[54:55], v[62:63], v[52:53] op_sel:[0,0,1] op_sel_hi:[1,1,0] neg_lo:[0,0,1] neg_hi:[0,0,1]
	v_pk_fma_f32 v[52:53], v[54:55], v[62:63], v[52:53] op_sel:[0,0,1] op_sel_hi:[1,0,0]
	v_mov_b32_e32 v67, v53
	ds_load_2addr_b64 v[52:55], v56 offset0:19 offset1:20
	v_pk_add_f32 v[28:29], v[28:29], v[68:69] neg_lo:[0,1] neg_hi:[0,1]
	v_pk_add_f32 v[8:9], v[8:9], v[66:67] neg_lo:[0,1] neg_hi:[0,1]
	s_wait_dscnt 0x0
	v_pk_mul_f32 v[66:67], v[52:53], v[64:65] op_sel:[0,1]
	s_delay_alu instid0(VALU_DEP_1) | instskip(SKIP_2) | instid1(VALU_DEP_2)
	v_pk_fma_f32 v[68:69], v[52:53], v[62:63], v[66:67] op_sel:[0,0,1] op_sel_hi:[1,1,0] neg_lo:[0,0,1] neg_hi:[0,0,1]
	v_pk_fma_f32 v[52:53], v[52:53], v[62:63], v[66:67] op_sel:[0,0,1] op_sel_hi:[1,0,0]
	v_dual_mul_f32 v66, v55, v65 :: v_dual_mov_b32 v52, v55
	v_dual_mov_b32 v69, v53 :: v_dual_mov_b32 v53, v54
	s_delay_alu instid0(VALU_DEP_2) | instskip(SKIP_1) | instid1(VALU_DEP_3)
	v_pk_fma_f32 v[66:67], v[54:55], v[30:31], v[66:67] op_sel_hi:[1,1,0] neg_lo:[0,0,1] neg_hi:[0,0,1]
	v_mul_f32_e32 v54, v55, v62
	v_pk_add_f32 v[26:27], v[26:27], v[68:69] neg_lo:[0,1] neg_hi:[0,1]
	s_delay_alu instid0(VALU_DEP_2) | instskip(NEXT) | instid1(VALU_DEP_1)
	v_pk_fma_f32 v[52:53], v[52:53], v[30:31], v[54:55] op_sel_hi:[1,1,0]
	v_mov_b32_e32 v67, v53
	ds_load_2addr_b64 v[52:55], v56 offset0:21 offset1:22
	v_pk_add_f32 v[20:21], v[20:21], v[66:67] neg_lo:[0,1] neg_hi:[0,1]
	s_wait_dscnt 0x0
	v_pk_mul_f32 v[66:67], v[52:53], v[64:65] op_sel:[0,1]
	v_mul_f32_e32 v64, v55, v65
	s_delay_alu instid0(VALU_DEP_2) | instskip(SKIP_2) | instid1(VALU_DEP_4)
	v_pk_fma_f32 v[68:69], v[52:53], v[62:63], v[66:67] op_sel:[0,0,1] op_sel_hi:[1,1,0] neg_lo:[0,0,1] neg_hi:[0,0,1]
	v_pk_fma_f32 v[52:53], v[52:53], v[62:63], v[66:67] op_sel:[0,0,1] op_sel_hi:[1,0,0]
	v_mov_b32_e32 v52, v55
	v_pk_fma_f32 v[64:65], v[54:55], v[30:31], v[64:65] op_sel_hi:[1,1,0] neg_lo:[0,0,1] neg_hi:[0,0,1]
	s_delay_alu instid0(VALU_DEP_3) | instskip(SKIP_1) | instid1(VALU_DEP_2)
	v_dual_mov_b32 v69, v53 :: v_dual_mov_b32 v53, v54
	v_mul_f32_e32 v54, v55, v62
	v_pk_add_f32 v[18:19], v[18:19], v[68:69] neg_lo:[0,1] neg_hi:[0,1]
	s_delay_alu instid0(VALU_DEP_2) | instskip(NEXT) | instid1(VALU_DEP_1)
	v_pk_fma_f32 v[52:53], v[52:53], v[30:31], v[54:55] op_sel_hi:[1,1,0]
	v_mov_b32_e32 v65, v53
	s_delay_alu instid0(VALU_DEP_1)
	v_pk_add_f32 v[50:51], v[50:51], v[64:65] neg_lo:[0,1] neg_hi:[0,1]
.LBB44_356:
	s_or_b32 exec_lo, exec_lo, s0
	v_lshl_add_u32 v52, v60, 3, v56
	s_barrier_signal -1
	s_barrier_wait -1
	ds_store_b64 v52, v[28:29]
	s_wait_dscnt 0x0
	s_barrier_signal -1
	s_barrier_wait -1
	ds_load_b64 v[52:53], v56 offset:136
	v_mov_b32_e32 v54, 17
	s_cmp_lt_i32 s14, 19
	s_cbranch_scc1 .LBB44_359
; %bb.357:
	v_add3_u32 v55, v57, 0, 0x90
	v_mov_b32_e32 v54, 17
	s_mov_b32 s0, 18
.LBB44_358:                             ; =>This Inner Loop Header: Depth=1
	ds_load_b64 v[62:63], v55
	s_wait_dscnt 0x1
	v_cmp_gt_f32_e32 vcc_lo, 0, v52
	v_cndmask_b32_e64 v64, v52, -v52, vcc_lo
	v_cmp_gt_f32_e32 vcc_lo, 0, v53
	v_cndmask_b32_e64 v66, v53, -v53, vcc_lo
	s_wait_dscnt 0x0
	v_cmp_gt_f32_e32 vcc_lo, 0, v62
	v_cndmask_b32_e64 v65, v62, -v62, vcc_lo
	v_cmp_gt_f32_e32 vcc_lo, 0, v63
	v_cndmask_b32_e64 v67, v63, -v63, vcc_lo
	s_delay_alu instid0(VALU_DEP_1) | instskip(NEXT) | instid1(VALU_DEP_1)
	v_pk_add_f32 v[64:65], v[64:65], v[66:67]
	v_cmp_lt_f32_e32 vcc_lo, v64, v65
	v_dual_cndmask_b32 v52, v52, v62 :: v_dual_add_nc_u32 v55, 8, v55
	v_cndmask_b32_e32 v53, v53, v63, vcc_lo
	v_cndmask_b32_e64 v54, v54, s0, vcc_lo
	s_add_co_i32 s0, s0, 1
	s_delay_alu instid0(SALU_CYCLE_1)
	s_cmp_lg_u32 s14, s0
	s_cbranch_scc1 .LBB44_358
.LBB44_359:
	s_wait_dscnt 0x0
	v_cmp_eq_f32_e32 vcc_lo, 0, v52
	v_cmp_eq_f32_e64 s0, 0, v53
	s_and_b32 s0, vcc_lo, s0
	s_delay_alu instid0(SALU_CYCLE_1) | instskip(NEXT) | instid1(SALU_CYCLE_1)
	s_and_saveexec_b32 s1, s0
	s_xor_b32 s0, exec_lo, s1
; %bb.360:
	v_cmp_ne_u32_e32 vcc_lo, 0, v58
	v_cndmask_b32_e32 v58, 18, v58, vcc_lo
; %bb.361:
	s_and_not1_saveexec_b32 s0, s0
	s_cbranch_execz .LBB44_367
; %bb.362:
	v_cmp_ngt_f32_e64 s1, |v52|, |v53|
	s_and_saveexec_b32 s15, s1
	s_delay_alu instid0(SALU_CYCLE_1)
	s_xor_b32 s1, exec_lo, s15
	s_cbranch_execz .LBB44_364
; %bb.363:
	v_div_scale_f32 v55, null, v53, v53, v52
	v_div_scale_f32 v63, vcc_lo, v52, v53, v52
	s_delay_alu instid0(VALU_DEP_2) | instskip(SKIP_1) | instid1(TRANS32_DEP_1)
	v_rcp_f32_e32 v61, v55
	v_nop
	v_fma_f32 v62, -v55, v61, 1.0
	s_delay_alu instid0(VALU_DEP_1) | instskip(NEXT) | instid1(VALU_DEP_1)
	v_fmac_f32_e32 v61, v62, v61
	v_mul_f32_e32 v62, v63, v61
	s_delay_alu instid0(VALU_DEP_1) | instskip(NEXT) | instid1(VALU_DEP_1)
	v_fma_f32 v64, -v55, v62, v63
	v_fmac_f32_e32 v62, v64, v61
	s_delay_alu instid0(VALU_DEP_1) | instskip(NEXT) | instid1(VALU_DEP_1)
	v_fma_f32 v55, -v55, v62, v63
	v_div_fmas_f32 v55, v55, v61, v62
	s_delay_alu instid0(VALU_DEP_1) | instskip(NEXT) | instid1(VALU_DEP_1)
	v_div_fixup_f32 v55, v55, v53, v52
	v_fmac_f32_e32 v53, v52, v55
	s_delay_alu instid0(VALU_DEP_1) | instskip(SKIP_1) | instid1(VALU_DEP_2)
	v_div_scale_f32 v52, null, v53, v53, 1.0
	v_div_scale_f32 v63, vcc_lo, 1.0, v53, 1.0
	v_rcp_f32_e32 v61, v52
	v_nop
	s_delay_alu instid0(TRANS32_DEP_1) | instskip(NEXT) | instid1(VALU_DEP_1)
	v_fma_f32 v62, -v52, v61, 1.0
	v_fmac_f32_e32 v61, v62, v61
	s_delay_alu instid0(VALU_DEP_1) | instskip(NEXT) | instid1(VALU_DEP_1)
	v_mul_f32_e32 v62, v63, v61
	v_fma_f32 v64, -v52, v62, v63
	s_delay_alu instid0(VALU_DEP_1) | instskip(NEXT) | instid1(VALU_DEP_1)
	v_fmac_f32_e32 v62, v64, v61
	v_fma_f32 v52, -v52, v62, v63
	s_delay_alu instid0(VALU_DEP_1) | instskip(NEXT) | instid1(VALU_DEP_1)
	v_div_fmas_f32 v52, v52, v61, v62
	v_div_fixup_f32 v53, v52, v53, 1.0
	s_delay_alu instid0(VALU_DEP_1)
	v_mul_f32_e32 v52, v55, v53
	v_xor_b32_e32 v53, 0x80000000, v53
.LBB44_364:
	s_and_not1_saveexec_b32 s1, s1
	s_cbranch_execz .LBB44_366
; %bb.365:
	s_delay_alu instid0(VALU_DEP_1) | instskip(SKIP_1) | instid1(VALU_DEP_2)
	v_div_scale_f32 v55, null, v52, v52, v53
	v_div_scale_f32 v63, vcc_lo, v53, v52, v53
	v_rcp_f32_e32 v61, v55
	v_nop
	s_delay_alu instid0(TRANS32_DEP_1) | instskip(NEXT) | instid1(VALU_DEP_1)
	v_fma_f32 v62, -v55, v61, 1.0
	v_fmac_f32_e32 v61, v62, v61
	s_delay_alu instid0(VALU_DEP_1) | instskip(NEXT) | instid1(VALU_DEP_1)
	v_mul_f32_e32 v62, v63, v61
	v_fma_f32 v64, -v55, v62, v63
	s_delay_alu instid0(VALU_DEP_1) | instskip(NEXT) | instid1(VALU_DEP_1)
	v_fmac_f32_e32 v62, v64, v61
	v_fma_f32 v55, -v55, v62, v63
	s_delay_alu instid0(VALU_DEP_1) | instskip(NEXT) | instid1(VALU_DEP_1)
	v_div_fmas_f32 v55, v55, v61, v62
	v_div_fixup_f32 v55, v55, v52, v53
	s_delay_alu instid0(VALU_DEP_1) | instskip(NEXT) | instid1(VALU_DEP_1)
	v_fmac_f32_e32 v52, v53, v55
	v_div_scale_f32 v53, null, v52, v52, 1.0
	s_delay_alu instid0(VALU_DEP_1) | instskip(SKIP_1) | instid1(TRANS32_DEP_1)
	v_rcp_f32_e32 v61, v53
	v_nop
	v_fma_f32 v62, -v53, v61, 1.0
	s_delay_alu instid0(VALU_DEP_1) | instskip(SKIP_1) | instid1(VALU_DEP_1)
	v_fmac_f32_e32 v61, v62, v61
	v_div_scale_f32 v62, vcc_lo, 1.0, v52, 1.0
	v_mul_f32_e32 v63, v62, v61
	s_delay_alu instid0(VALU_DEP_1) | instskip(NEXT) | instid1(VALU_DEP_1)
	v_fma_f32 v64, -v53, v63, v62
	v_fmac_f32_e32 v63, v64, v61
	s_delay_alu instid0(VALU_DEP_1) | instskip(NEXT) | instid1(VALU_DEP_1)
	v_fma_f32 v53, -v53, v63, v62
	v_div_fmas_f32 v53, v53, v61, v63
	s_delay_alu instid0(VALU_DEP_1) | instskip(NEXT) | instid1(VALU_DEP_1)
	v_div_fixup_f32 v52, v53, v52, 1.0
	v_mul_f32_e64 v53, v55, -v52
.LBB44_366:
	s_or_b32 exec_lo, exec_lo, s1
.LBB44_367:
	s_delay_alu instid0(SALU_CYCLE_1) | instskip(NEXT) | instid1(SALU_CYCLE_1)
	s_or_b32 exec_lo, exec_lo, s0
	s_mov_b32 s0, exec_lo
	v_cmpx_ne_u32_e64 v60, v54
	s_xor_b32 s0, exec_lo, s0
	s_cbranch_execz .LBB44_373
; %bb.368:
	s_mov_b32 s1, exec_lo
	v_cmpx_eq_u32_e32 17, v60
	s_cbranch_execz .LBB44_372
; %bb.369:
	v_cmp_ne_u32_e32 vcc_lo, 17, v54
	s_xor_b32 s15, s12, -1
	s_delay_alu instid0(SALU_CYCLE_1) | instskip(NEXT) | instid1(SALU_CYCLE_1)
	s_and_b32 s16, s15, vcc_lo
	s_and_saveexec_b32 s15, s16
	s_cbranch_execz .LBB44_371
; %bb.370:
	v_ashrrev_i32_e32 v55, 31, v54
	s_delay_alu instid0(VALU_DEP_1)
	v_lshl_add_u64 v[60:61], v[54:55], 2, v[32:33]
	s_clause 0x1
	global_load_b32 v55, v[60:61], off
	global_load_b32 v59, v[32:33], off offset:68
	s_wait_loadcnt 0x1
	global_store_b32 v[32:33], v55, off offset:68
	s_wait_loadcnt 0x0
	global_store_b32 v[60:61], v59, off
.LBB44_371:
	s_wait_xcnt 0x0
	s_or_b32 exec_lo, exec_lo, s15
	v_dual_mov_b32 v60, v54 :: v_dual_mov_b32 v59, v54
.LBB44_372:
	s_or_b32 exec_lo, exec_lo, s1
.LBB44_373:
	s_and_not1_saveexec_b32 s0, s0
	s_cbranch_execz .LBB44_375
; %bb.374:
	v_dual_mov_b32 v54, v8 :: v_dual_mov_b32 v55, v9
	v_dual_mov_b32 v62, v26 :: v_dual_mov_b32 v63, v27
	v_dual_mov_b32 v60, 17 :: v_dual_mov_b32 v64, v20
	v_dual_mov_b32 v65, v21 :: v_dual_mov_b32 v66, v18
	v_mov_b32_e32 v67, v19
	ds_store_2addr_b64 v56, v[54:55], v[62:63] offset0:18 offset1:19
	ds_store_2addr_b64 v56, v[64:65], v[66:67] offset0:20 offset1:21
	ds_store_b64 v56, v[50:51] offset:176
.LBB44_375:
	s_or_b32 exec_lo, exec_lo, s0
	s_delay_alu instid0(SALU_CYCLE_1)
	s_mov_b32 s0, exec_lo
	s_wait_storecnt_dscnt 0x0
	s_barrier_signal -1
	s_barrier_wait -1
	v_cmpx_lt_i32_e32 17, v60
	s_cbranch_execz .LBB44_377
; %bb.376:
	v_pk_mul_f32 v[54:55], v[52:53], v[28:29] op_sel:[1,1] op_sel_hi:[0,1]
	s_delay_alu instid0(VALU_DEP_1)
	v_pk_fma_f32 v[62:63], v[52:53], v[28:29], v[54:55] op_sel_hi:[1,0,1] neg_lo:[0,0,1] neg_hi:[0,0,1]
	v_pk_fma_f32 v[64:65], v[52:53], v[28:29], v[54:55] op_sel_hi:[1,0,1]
	ds_load_2addr_b64 v[52:55], v56 offset0:18 offset1:19
	v_dual_mov_b32 v28, v62 :: v_dual_mov_b32 v29, v65
	s_wait_dscnt 0x0
	v_pk_mul_f32 v[66:67], v[52:53], v[64:65] op_sel:[0,1]
	s_delay_alu instid0(VALU_DEP_1) | instskip(SKIP_1) | instid1(VALU_DEP_1)
	v_pk_fma_f32 v[68:69], v[52:53], v[62:63], v[66:67] op_sel:[0,0,1] op_sel_hi:[1,1,0] neg_lo:[0,0,1] neg_hi:[0,0,1]
	v_pk_fma_f32 v[52:53], v[52:53], v[62:63], v[66:67] op_sel:[0,0,1] op_sel_hi:[1,0,0]
	v_mov_b32_e32 v69, v53
	v_pk_mul_f32 v[52:53], v[54:55], v[64:65] op_sel:[0,1]
	s_delay_alu instid0(VALU_DEP_1) | instskip(SKIP_1) | instid1(VALU_DEP_1)
	v_pk_fma_f32 v[66:67], v[54:55], v[62:63], v[52:53] op_sel:[0,0,1] op_sel_hi:[1,1,0] neg_lo:[0,0,1] neg_hi:[0,0,1]
	v_pk_fma_f32 v[52:53], v[54:55], v[62:63], v[52:53] op_sel:[0,0,1] op_sel_hi:[1,0,0]
	v_mov_b32_e32 v67, v53
	ds_load_2addr_b64 v[52:55], v56 offset0:20 offset1:21
	v_pk_add_f32 v[8:9], v[8:9], v[68:69] neg_lo:[0,1] neg_hi:[0,1]
	v_pk_add_f32 v[26:27], v[26:27], v[66:67] neg_lo:[0,1] neg_hi:[0,1]
	s_wait_dscnt 0x0
	v_pk_mul_f32 v[66:67], v[52:53], v[64:65] op_sel:[0,1]
	s_delay_alu instid0(VALU_DEP_1) | instskip(SKIP_2) | instid1(VALU_DEP_2)
	v_pk_fma_f32 v[68:69], v[52:53], v[62:63], v[66:67] op_sel:[0,0,1] op_sel_hi:[1,1,0] neg_lo:[0,0,1] neg_hi:[0,0,1]
	v_pk_fma_f32 v[52:53], v[52:53], v[62:63], v[66:67] op_sel:[0,0,1] op_sel_hi:[1,0,0]
	v_dual_mul_f32 v66, v55, v65 :: v_dual_mov_b32 v52, v55
	v_dual_mov_b32 v69, v53 :: v_dual_mov_b32 v53, v54
	s_delay_alu instid0(VALU_DEP_2) | instskip(SKIP_1) | instid1(VALU_DEP_3)
	v_pk_fma_f32 v[66:67], v[54:55], v[28:29], v[66:67] op_sel_hi:[1,1,0] neg_lo:[0,0,1] neg_hi:[0,0,1]
	v_mul_f32_e32 v54, v55, v62
	v_pk_add_f32 v[20:21], v[20:21], v[68:69] neg_lo:[0,1] neg_hi:[0,1]
	s_delay_alu instid0(VALU_DEP_2) | instskip(NEXT) | instid1(VALU_DEP_1)
	v_pk_fma_f32 v[52:53], v[52:53], v[28:29], v[54:55] op_sel_hi:[1,1,0]
	v_mov_b32_e32 v67, v53
	ds_load_b64 v[52:53], v56 offset:176
	v_pk_add_f32 v[18:19], v[18:19], v[66:67] neg_lo:[0,1] neg_hi:[0,1]
	s_wait_dscnt 0x0
	v_pk_mul_f32 v[54:55], v[52:53], v[64:65] op_sel:[0,1]
	s_delay_alu instid0(VALU_DEP_1) | instskip(SKIP_1) | instid1(VALU_DEP_1)
	v_pk_fma_f32 v[64:65], v[52:53], v[62:63], v[54:55] op_sel:[0,0,1] op_sel_hi:[1,1,0] neg_lo:[0,0,1] neg_hi:[0,0,1]
	v_pk_fma_f32 v[52:53], v[52:53], v[62:63], v[54:55] op_sel:[0,0,1] op_sel_hi:[1,0,0]
	v_mov_b32_e32 v65, v53
	s_delay_alu instid0(VALU_DEP_1)
	v_pk_add_f32 v[50:51], v[50:51], v[64:65] neg_lo:[0,1] neg_hi:[0,1]
.LBB44_377:
	s_or_b32 exec_lo, exec_lo, s0
	v_lshl_add_u32 v52, v60, 3, v56
	s_barrier_signal -1
	s_barrier_wait -1
	ds_store_b64 v52, v[8:9]
	s_wait_dscnt 0x0
	s_barrier_signal -1
	s_barrier_wait -1
	ds_load_b64 v[52:53], v56 offset:144
	v_mov_b32_e32 v54, 18
	s_cmp_lt_i32 s14, 20
	s_cbranch_scc1 .LBB44_380
; %bb.378:
	v_add3_u32 v55, v57, 0, 0x98
	v_mov_b32_e32 v54, 18
	s_mov_b32 s0, 19
.LBB44_379:                             ; =>This Inner Loop Header: Depth=1
	ds_load_b64 v[62:63], v55
	s_wait_dscnt 0x1
	v_cmp_gt_f32_e32 vcc_lo, 0, v52
	v_cndmask_b32_e64 v64, v52, -v52, vcc_lo
	v_cmp_gt_f32_e32 vcc_lo, 0, v53
	v_cndmask_b32_e64 v66, v53, -v53, vcc_lo
	s_wait_dscnt 0x0
	v_cmp_gt_f32_e32 vcc_lo, 0, v62
	v_cndmask_b32_e64 v65, v62, -v62, vcc_lo
	v_cmp_gt_f32_e32 vcc_lo, 0, v63
	v_cndmask_b32_e64 v67, v63, -v63, vcc_lo
	s_delay_alu instid0(VALU_DEP_1) | instskip(NEXT) | instid1(VALU_DEP_1)
	v_pk_add_f32 v[64:65], v[64:65], v[66:67]
	v_cmp_lt_f32_e32 vcc_lo, v64, v65
	v_dual_cndmask_b32 v52, v52, v62 :: v_dual_add_nc_u32 v55, 8, v55
	v_cndmask_b32_e32 v53, v53, v63, vcc_lo
	v_cndmask_b32_e64 v54, v54, s0, vcc_lo
	s_add_co_i32 s0, s0, 1
	s_delay_alu instid0(SALU_CYCLE_1)
	s_cmp_lg_u32 s14, s0
	s_cbranch_scc1 .LBB44_379
.LBB44_380:
	s_wait_dscnt 0x0
	v_cmp_eq_f32_e32 vcc_lo, 0, v52
	v_cmp_eq_f32_e64 s0, 0, v53
	s_and_b32 s0, vcc_lo, s0
	s_delay_alu instid0(SALU_CYCLE_1) | instskip(NEXT) | instid1(SALU_CYCLE_1)
	s_and_saveexec_b32 s1, s0
	s_xor_b32 s0, exec_lo, s1
; %bb.381:
	v_cmp_ne_u32_e32 vcc_lo, 0, v58
	v_cndmask_b32_e32 v58, 19, v58, vcc_lo
; %bb.382:
	s_and_not1_saveexec_b32 s0, s0
	s_cbranch_execz .LBB44_388
; %bb.383:
	v_cmp_ngt_f32_e64 s1, |v52|, |v53|
	s_and_saveexec_b32 s15, s1
	s_delay_alu instid0(SALU_CYCLE_1)
	s_xor_b32 s1, exec_lo, s15
	s_cbranch_execz .LBB44_385
; %bb.384:
	v_div_scale_f32 v55, null, v53, v53, v52
	v_div_scale_f32 v63, vcc_lo, v52, v53, v52
	s_delay_alu instid0(VALU_DEP_2) | instskip(SKIP_1) | instid1(TRANS32_DEP_1)
	v_rcp_f32_e32 v61, v55
	v_nop
	v_fma_f32 v62, -v55, v61, 1.0
	s_delay_alu instid0(VALU_DEP_1) | instskip(NEXT) | instid1(VALU_DEP_1)
	v_fmac_f32_e32 v61, v62, v61
	v_mul_f32_e32 v62, v63, v61
	s_delay_alu instid0(VALU_DEP_1) | instskip(NEXT) | instid1(VALU_DEP_1)
	v_fma_f32 v64, -v55, v62, v63
	v_fmac_f32_e32 v62, v64, v61
	s_delay_alu instid0(VALU_DEP_1) | instskip(NEXT) | instid1(VALU_DEP_1)
	v_fma_f32 v55, -v55, v62, v63
	v_div_fmas_f32 v55, v55, v61, v62
	s_delay_alu instid0(VALU_DEP_1) | instskip(NEXT) | instid1(VALU_DEP_1)
	v_div_fixup_f32 v55, v55, v53, v52
	v_fmac_f32_e32 v53, v52, v55
	s_delay_alu instid0(VALU_DEP_1) | instskip(SKIP_1) | instid1(VALU_DEP_2)
	v_div_scale_f32 v52, null, v53, v53, 1.0
	v_div_scale_f32 v63, vcc_lo, 1.0, v53, 1.0
	v_rcp_f32_e32 v61, v52
	v_nop
	s_delay_alu instid0(TRANS32_DEP_1) | instskip(NEXT) | instid1(VALU_DEP_1)
	v_fma_f32 v62, -v52, v61, 1.0
	v_fmac_f32_e32 v61, v62, v61
	s_delay_alu instid0(VALU_DEP_1) | instskip(NEXT) | instid1(VALU_DEP_1)
	v_mul_f32_e32 v62, v63, v61
	v_fma_f32 v64, -v52, v62, v63
	s_delay_alu instid0(VALU_DEP_1) | instskip(NEXT) | instid1(VALU_DEP_1)
	v_fmac_f32_e32 v62, v64, v61
	v_fma_f32 v52, -v52, v62, v63
	s_delay_alu instid0(VALU_DEP_1) | instskip(NEXT) | instid1(VALU_DEP_1)
	v_div_fmas_f32 v52, v52, v61, v62
	v_div_fixup_f32 v53, v52, v53, 1.0
	s_delay_alu instid0(VALU_DEP_1)
	v_mul_f32_e32 v52, v55, v53
	v_xor_b32_e32 v53, 0x80000000, v53
.LBB44_385:
	s_and_not1_saveexec_b32 s1, s1
	s_cbranch_execz .LBB44_387
; %bb.386:
	s_delay_alu instid0(VALU_DEP_1) | instskip(SKIP_1) | instid1(VALU_DEP_2)
	v_div_scale_f32 v55, null, v52, v52, v53
	v_div_scale_f32 v63, vcc_lo, v53, v52, v53
	v_rcp_f32_e32 v61, v55
	v_nop
	s_delay_alu instid0(TRANS32_DEP_1) | instskip(NEXT) | instid1(VALU_DEP_1)
	v_fma_f32 v62, -v55, v61, 1.0
	v_fmac_f32_e32 v61, v62, v61
	s_delay_alu instid0(VALU_DEP_1) | instskip(NEXT) | instid1(VALU_DEP_1)
	v_mul_f32_e32 v62, v63, v61
	v_fma_f32 v64, -v55, v62, v63
	s_delay_alu instid0(VALU_DEP_1) | instskip(NEXT) | instid1(VALU_DEP_1)
	v_fmac_f32_e32 v62, v64, v61
	v_fma_f32 v55, -v55, v62, v63
	s_delay_alu instid0(VALU_DEP_1) | instskip(NEXT) | instid1(VALU_DEP_1)
	v_div_fmas_f32 v55, v55, v61, v62
	v_div_fixup_f32 v55, v55, v52, v53
	s_delay_alu instid0(VALU_DEP_1) | instskip(NEXT) | instid1(VALU_DEP_1)
	v_fmac_f32_e32 v52, v53, v55
	v_div_scale_f32 v53, null, v52, v52, 1.0
	s_delay_alu instid0(VALU_DEP_1) | instskip(SKIP_1) | instid1(TRANS32_DEP_1)
	v_rcp_f32_e32 v61, v53
	v_nop
	v_fma_f32 v62, -v53, v61, 1.0
	s_delay_alu instid0(VALU_DEP_1) | instskip(SKIP_1) | instid1(VALU_DEP_1)
	v_fmac_f32_e32 v61, v62, v61
	v_div_scale_f32 v62, vcc_lo, 1.0, v52, 1.0
	v_mul_f32_e32 v63, v62, v61
	s_delay_alu instid0(VALU_DEP_1) | instskip(NEXT) | instid1(VALU_DEP_1)
	v_fma_f32 v64, -v53, v63, v62
	v_fmac_f32_e32 v63, v64, v61
	s_delay_alu instid0(VALU_DEP_1) | instskip(NEXT) | instid1(VALU_DEP_1)
	v_fma_f32 v53, -v53, v63, v62
	v_div_fmas_f32 v53, v53, v61, v63
	s_delay_alu instid0(VALU_DEP_1) | instskip(NEXT) | instid1(VALU_DEP_1)
	v_div_fixup_f32 v52, v53, v52, 1.0
	v_mul_f32_e64 v53, v55, -v52
.LBB44_387:
	s_or_b32 exec_lo, exec_lo, s1
.LBB44_388:
	s_delay_alu instid0(SALU_CYCLE_1) | instskip(NEXT) | instid1(SALU_CYCLE_1)
	s_or_b32 exec_lo, exec_lo, s0
	s_mov_b32 s0, exec_lo
	v_cmpx_ne_u32_e64 v60, v54
	s_xor_b32 s0, exec_lo, s0
	s_cbranch_execz .LBB44_394
; %bb.389:
	s_mov_b32 s1, exec_lo
	v_cmpx_eq_u32_e32 18, v60
	s_cbranch_execz .LBB44_393
; %bb.390:
	v_cmp_ne_u32_e32 vcc_lo, 18, v54
	s_xor_b32 s15, s12, -1
	s_delay_alu instid0(SALU_CYCLE_1) | instskip(NEXT) | instid1(SALU_CYCLE_1)
	s_and_b32 s16, s15, vcc_lo
	s_and_saveexec_b32 s15, s16
	s_cbranch_execz .LBB44_392
; %bb.391:
	v_ashrrev_i32_e32 v55, 31, v54
	s_delay_alu instid0(VALU_DEP_1)
	v_lshl_add_u64 v[60:61], v[54:55], 2, v[32:33]
	s_clause 0x1
	global_load_b32 v55, v[60:61], off
	global_load_b32 v59, v[32:33], off offset:72
	s_wait_loadcnt 0x1
	global_store_b32 v[32:33], v55, off offset:72
	s_wait_loadcnt 0x0
	global_store_b32 v[60:61], v59, off
.LBB44_392:
	s_wait_xcnt 0x0
	s_or_b32 exec_lo, exec_lo, s15
	v_dual_mov_b32 v60, v54 :: v_dual_mov_b32 v59, v54
.LBB44_393:
	s_or_b32 exec_lo, exec_lo, s1
.LBB44_394:
	s_and_not1_saveexec_b32 s0, s0
	s_cbranch_execz .LBB44_396
; %bb.395:
	v_mov_b32_e32 v60, 18
	ds_store_2addr_b64 v56, v[26:27], v[20:21] offset0:19 offset1:20
	ds_store_2addr_b64 v56, v[18:19], v[50:51] offset0:21 offset1:22
.LBB44_396:
	s_or_b32 exec_lo, exec_lo, s0
	s_delay_alu instid0(SALU_CYCLE_1)
	s_mov_b32 s0, exec_lo
	s_wait_storecnt_dscnt 0x0
	s_barrier_signal -1
	s_barrier_wait -1
	v_cmpx_lt_i32_e32 18, v60
	s_cbranch_execz .LBB44_398
; %bb.397:
	ds_load_2addr_b64 v[62:65], v56 offset0:19 offset1:20
	ds_load_2addr_b64 v[66:69], v56 offset0:21 offset1:22
	v_pk_mul_f32 v[54:55], v[52:53], v[8:9] op_sel:[1,1] op_sel_hi:[0,1]
	s_delay_alu instid0(VALU_DEP_1) | instskip(SKIP_1) | instid1(VALU_DEP_1)
	v_pk_fma_f32 v[70:71], v[52:53], v[8:9], v[54:55] op_sel_hi:[1,0,1] neg_lo:[0,0,1] neg_hi:[0,0,1]
	v_pk_fma_f32 v[52:53], v[52:53], v[8:9], v[54:55] op_sel_hi:[1,0,1]
	v_dual_mov_b32 v8, v70 :: v_dual_mov_b32 v9, v53
	s_wait_dscnt 0x1
	s_delay_alu instid0(VALU_DEP_2)
	v_pk_mul_f32 v[54:55], v[62:63], v[52:53] op_sel:[0,1]
	s_wait_dscnt 0x0
	v_mov_b32_e32 v72, v69
	v_pk_mul_f32 v[74:75], v[64:65], v[52:53] op_sel:[0,1]
	v_pk_mul_f32 v[76:77], v[66:67], v[52:53] op_sel:[0,1]
	v_pk_fma_f32 v[78:79], v[62:63], v[70:71], v[54:55] op_sel:[0,0,1] op_sel_hi:[1,1,0] neg_lo:[0,0,1] neg_hi:[0,0,1]
	v_pk_fma_f32 v[54:55], v[62:63], v[70:71], v[54:55] op_sel:[0,0,1] op_sel_hi:[1,0,0]
	s_delay_alu instid0(VALU_DEP_1) | instskip(NEXT) | instid1(VALU_DEP_1)
	v_dual_mov_b32 v73, v68 :: v_dual_mov_b32 v79, v55
	v_pk_mul_f32 v[62:63], v[72:73], v[52:53] op_sel:[0,1]
	v_pk_fma_f32 v[72:73], v[64:65], v[70:71], v[74:75] op_sel:[0,0,1] op_sel_hi:[1,0,0]
	v_pk_fma_f32 v[64:65], v[64:65], v[70:71], v[74:75] op_sel:[0,0,1] op_sel_hi:[1,1,0] neg_lo:[0,0,1] neg_hi:[0,0,1]
	v_pk_fma_f32 v[74:75], v[66:67], v[70:71], v[76:77] op_sel:[0,0,1] op_sel_hi:[1,0,0]
	v_pk_fma_f32 v[66:67], v[66:67], v[70:71], v[76:77] op_sel:[0,0,1] op_sel_hi:[1,1,0] neg_lo:[0,0,1] neg_hi:[0,0,1]
	v_pk_fma_f32 v[54:55], v[68:69], v[70:71], v[62:63] op_sel_hi:[1,0,1]
	v_pk_fma_f32 v[62:63], v[68:69], v[70:71], v[62:63] neg_lo:[0,0,1] neg_hi:[0,0,1]
	s_delay_alu instid0(VALU_DEP_4) | instskip(SKIP_1) | instid1(VALU_DEP_4)
	v_dual_mov_b32 v65, v73 :: v_dual_mov_b32 v67, v75
	v_pk_add_f32 v[26:27], v[26:27], v[78:79] neg_lo:[0,1] neg_hi:[0,1]
	v_mov_b32_e32 v63, v55
	s_delay_alu instid0(VALU_DEP_3) | instskip(NEXT) | instid1(VALU_DEP_4)
	v_pk_add_f32 v[20:21], v[20:21], v[64:65] neg_lo:[0,1] neg_hi:[0,1]
	v_pk_add_f32 v[18:19], v[18:19], v[66:67] neg_lo:[0,1] neg_hi:[0,1]
	s_delay_alu instid0(VALU_DEP_3)
	v_pk_add_f32 v[50:51], v[50:51], v[62:63] neg_lo:[0,1] neg_hi:[0,1]
.LBB44_398:
	s_or_b32 exec_lo, exec_lo, s0
	v_lshl_add_u32 v52, v60, 3, v56
	s_barrier_signal -1
	s_barrier_wait -1
	ds_store_b64 v52, v[26:27]
	s_wait_dscnt 0x0
	s_barrier_signal -1
	s_barrier_wait -1
	ds_load_b64 v[52:53], v56 offset:152
	v_mov_b32_e32 v54, 19
	s_cmp_lt_i32 s14, 21
	s_cbranch_scc1 .LBB44_401
; %bb.399:
	v_add3_u32 v55, v57, 0, 0xa0
	v_mov_b32_e32 v54, 19
	s_mov_b32 s0, 20
.LBB44_400:                             ; =>This Inner Loop Header: Depth=1
	ds_load_b64 v[62:63], v55
	s_wait_dscnt 0x1
	v_cmp_gt_f32_e32 vcc_lo, 0, v52
	v_cndmask_b32_e64 v64, v52, -v52, vcc_lo
	v_cmp_gt_f32_e32 vcc_lo, 0, v53
	v_cndmask_b32_e64 v66, v53, -v53, vcc_lo
	s_wait_dscnt 0x0
	v_cmp_gt_f32_e32 vcc_lo, 0, v62
	v_cndmask_b32_e64 v65, v62, -v62, vcc_lo
	v_cmp_gt_f32_e32 vcc_lo, 0, v63
	v_cndmask_b32_e64 v67, v63, -v63, vcc_lo
	s_delay_alu instid0(VALU_DEP_1) | instskip(NEXT) | instid1(VALU_DEP_1)
	v_pk_add_f32 v[64:65], v[64:65], v[66:67]
	v_cmp_lt_f32_e32 vcc_lo, v64, v65
	v_dual_cndmask_b32 v52, v52, v62 :: v_dual_add_nc_u32 v55, 8, v55
	v_cndmask_b32_e32 v53, v53, v63, vcc_lo
	v_cndmask_b32_e64 v54, v54, s0, vcc_lo
	s_add_co_i32 s0, s0, 1
	s_delay_alu instid0(SALU_CYCLE_1)
	s_cmp_lg_u32 s14, s0
	s_cbranch_scc1 .LBB44_400
.LBB44_401:
	s_wait_dscnt 0x0
	v_cmp_eq_f32_e32 vcc_lo, 0, v52
	v_cmp_eq_f32_e64 s0, 0, v53
	s_and_b32 s0, vcc_lo, s0
	s_delay_alu instid0(SALU_CYCLE_1) | instskip(NEXT) | instid1(SALU_CYCLE_1)
	s_and_saveexec_b32 s1, s0
	s_xor_b32 s0, exec_lo, s1
; %bb.402:
	v_cmp_ne_u32_e32 vcc_lo, 0, v58
	v_cndmask_b32_e32 v58, 20, v58, vcc_lo
; %bb.403:
	s_and_not1_saveexec_b32 s0, s0
	s_cbranch_execz .LBB44_409
; %bb.404:
	v_cmp_ngt_f32_e64 s1, |v52|, |v53|
	s_and_saveexec_b32 s15, s1
	s_delay_alu instid0(SALU_CYCLE_1)
	s_xor_b32 s1, exec_lo, s15
	s_cbranch_execz .LBB44_406
; %bb.405:
	v_div_scale_f32 v55, null, v53, v53, v52
	v_div_scale_f32 v63, vcc_lo, v52, v53, v52
	s_delay_alu instid0(VALU_DEP_2) | instskip(SKIP_1) | instid1(TRANS32_DEP_1)
	v_rcp_f32_e32 v61, v55
	v_nop
	v_fma_f32 v62, -v55, v61, 1.0
	s_delay_alu instid0(VALU_DEP_1) | instskip(NEXT) | instid1(VALU_DEP_1)
	v_fmac_f32_e32 v61, v62, v61
	v_mul_f32_e32 v62, v63, v61
	s_delay_alu instid0(VALU_DEP_1) | instskip(NEXT) | instid1(VALU_DEP_1)
	v_fma_f32 v64, -v55, v62, v63
	v_fmac_f32_e32 v62, v64, v61
	s_delay_alu instid0(VALU_DEP_1) | instskip(NEXT) | instid1(VALU_DEP_1)
	v_fma_f32 v55, -v55, v62, v63
	v_div_fmas_f32 v55, v55, v61, v62
	s_delay_alu instid0(VALU_DEP_1) | instskip(NEXT) | instid1(VALU_DEP_1)
	v_div_fixup_f32 v55, v55, v53, v52
	v_fmac_f32_e32 v53, v52, v55
	s_delay_alu instid0(VALU_DEP_1) | instskip(SKIP_1) | instid1(VALU_DEP_2)
	v_div_scale_f32 v52, null, v53, v53, 1.0
	v_div_scale_f32 v63, vcc_lo, 1.0, v53, 1.0
	v_rcp_f32_e32 v61, v52
	v_nop
	s_delay_alu instid0(TRANS32_DEP_1) | instskip(NEXT) | instid1(VALU_DEP_1)
	v_fma_f32 v62, -v52, v61, 1.0
	v_fmac_f32_e32 v61, v62, v61
	s_delay_alu instid0(VALU_DEP_1) | instskip(NEXT) | instid1(VALU_DEP_1)
	v_mul_f32_e32 v62, v63, v61
	v_fma_f32 v64, -v52, v62, v63
	s_delay_alu instid0(VALU_DEP_1) | instskip(NEXT) | instid1(VALU_DEP_1)
	v_fmac_f32_e32 v62, v64, v61
	v_fma_f32 v52, -v52, v62, v63
	s_delay_alu instid0(VALU_DEP_1) | instskip(NEXT) | instid1(VALU_DEP_1)
	v_div_fmas_f32 v52, v52, v61, v62
	v_div_fixup_f32 v53, v52, v53, 1.0
	s_delay_alu instid0(VALU_DEP_1)
	v_mul_f32_e32 v52, v55, v53
	v_xor_b32_e32 v53, 0x80000000, v53
.LBB44_406:
	s_and_not1_saveexec_b32 s1, s1
	s_cbranch_execz .LBB44_408
; %bb.407:
	s_delay_alu instid0(VALU_DEP_1) | instskip(SKIP_1) | instid1(VALU_DEP_2)
	v_div_scale_f32 v55, null, v52, v52, v53
	v_div_scale_f32 v63, vcc_lo, v53, v52, v53
	v_rcp_f32_e32 v61, v55
	v_nop
	s_delay_alu instid0(TRANS32_DEP_1) | instskip(NEXT) | instid1(VALU_DEP_1)
	v_fma_f32 v62, -v55, v61, 1.0
	v_fmac_f32_e32 v61, v62, v61
	s_delay_alu instid0(VALU_DEP_1) | instskip(NEXT) | instid1(VALU_DEP_1)
	v_mul_f32_e32 v62, v63, v61
	v_fma_f32 v64, -v55, v62, v63
	s_delay_alu instid0(VALU_DEP_1) | instskip(NEXT) | instid1(VALU_DEP_1)
	v_fmac_f32_e32 v62, v64, v61
	v_fma_f32 v55, -v55, v62, v63
	s_delay_alu instid0(VALU_DEP_1) | instskip(NEXT) | instid1(VALU_DEP_1)
	v_div_fmas_f32 v55, v55, v61, v62
	v_div_fixup_f32 v55, v55, v52, v53
	s_delay_alu instid0(VALU_DEP_1) | instskip(NEXT) | instid1(VALU_DEP_1)
	v_fmac_f32_e32 v52, v53, v55
	v_div_scale_f32 v53, null, v52, v52, 1.0
	s_delay_alu instid0(VALU_DEP_1) | instskip(SKIP_1) | instid1(TRANS32_DEP_1)
	v_rcp_f32_e32 v61, v53
	v_nop
	v_fma_f32 v62, -v53, v61, 1.0
	s_delay_alu instid0(VALU_DEP_1) | instskip(SKIP_1) | instid1(VALU_DEP_1)
	v_fmac_f32_e32 v61, v62, v61
	v_div_scale_f32 v62, vcc_lo, 1.0, v52, 1.0
	v_mul_f32_e32 v63, v62, v61
	s_delay_alu instid0(VALU_DEP_1) | instskip(NEXT) | instid1(VALU_DEP_1)
	v_fma_f32 v64, -v53, v63, v62
	v_fmac_f32_e32 v63, v64, v61
	s_delay_alu instid0(VALU_DEP_1) | instskip(NEXT) | instid1(VALU_DEP_1)
	v_fma_f32 v53, -v53, v63, v62
	v_div_fmas_f32 v53, v53, v61, v63
	s_delay_alu instid0(VALU_DEP_1) | instskip(NEXT) | instid1(VALU_DEP_1)
	v_div_fixup_f32 v52, v53, v52, 1.0
	v_mul_f32_e64 v53, v55, -v52
.LBB44_408:
	s_or_b32 exec_lo, exec_lo, s1
.LBB44_409:
	s_delay_alu instid0(SALU_CYCLE_1) | instskip(NEXT) | instid1(SALU_CYCLE_1)
	s_or_b32 exec_lo, exec_lo, s0
	s_mov_b32 s0, exec_lo
	v_cmpx_ne_u32_e64 v60, v54
	s_xor_b32 s0, exec_lo, s0
	s_cbranch_execz .LBB44_415
; %bb.410:
	s_mov_b32 s1, exec_lo
	v_cmpx_eq_u32_e32 19, v60
	s_cbranch_execz .LBB44_414
; %bb.411:
	v_cmp_ne_u32_e32 vcc_lo, 19, v54
	s_xor_b32 s15, s12, -1
	s_delay_alu instid0(SALU_CYCLE_1) | instskip(NEXT) | instid1(SALU_CYCLE_1)
	s_and_b32 s16, s15, vcc_lo
	s_and_saveexec_b32 s15, s16
	s_cbranch_execz .LBB44_413
; %bb.412:
	v_ashrrev_i32_e32 v55, 31, v54
	s_delay_alu instid0(VALU_DEP_1)
	v_lshl_add_u64 v[60:61], v[54:55], 2, v[32:33]
	s_clause 0x1
	global_load_b32 v55, v[60:61], off
	global_load_b32 v59, v[32:33], off offset:76
	s_wait_loadcnt 0x1
	global_store_b32 v[32:33], v55, off offset:76
	s_wait_loadcnt 0x0
	global_store_b32 v[60:61], v59, off
.LBB44_413:
	s_wait_xcnt 0x0
	s_or_b32 exec_lo, exec_lo, s15
	v_dual_mov_b32 v60, v54 :: v_dual_mov_b32 v59, v54
.LBB44_414:
	s_or_b32 exec_lo, exec_lo, s1
.LBB44_415:
	s_and_not1_saveexec_b32 s0, s0
	s_cbranch_execz .LBB44_417
; %bb.416:
	v_dual_mov_b32 v54, v20 :: v_dual_mov_b32 v55, v21
	v_dual_mov_b32 v62, v18 :: v_dual_mov_b32 v63, v19
	v_mov_b32_e32 v60, 19
	ds_store_2addr_b64 v56, v[54:55], v[62:63] offset0:20 offset1:21
	ds_store_b64 v56, v[50:51] offset:176
.LBB44_417:
	s_or_b32 exec_lo, exec_lo, s0
	s_delay_alu instid0(SALU_CYCLE_1)
	s_mov_b32 s0, exec_lo
	s_wait_storecnt_dscnt 0x0
	s_barrier_signal -1
	s_barrier_wait -1
	v_cmpx_lt_i32_e32 19, v60
	s_cbranch_execz .LBB44_419
; %bb.418:
	ds_load_2addr_b64 v[62:65], v56 offset0:20 offset1:21
	ds_load_b64 v[54:55], v56 offset:176
	v_pk_mul_f32 v[66:67], v[52:53], v[26:27] op_sel:[1,1] op_sel_hi:[0,1]
	s_delay_alu instid0(VALU_DEP_1) | instskip(SKIP_2) | instid1(VALU_DEP_2)
	v_pk_fma_f32 v[68:69], v[52:53], v[26:27], v[66:67] op_sel_hi:[1,0,1]
	v_pk_fma_f32 v[26:27], v[52:53], v[26:27], v[66:67] op_sel_hi:[1,0,1] neg_lo:[0,0,1] neg_hi:[0,0,1]
	s_wait_dscnt 0x1
	v_pk_mul_f32 v[52:53], v[62:63], v[68:69] op_sel:[0,1]
	v_pk_mul_f32 v[66:67], v[64:65], v[68:69] op_sel:[0,1]
	s_wait_dscnt 0x0
	v_pk_mul_f32 v[70:71], v[54:55], v[68:69] op_sel:[1,1] op_sel_hi:[0,1]
	s_delay_alu instid0(VALU_DEP_3) | instskip(SKIP_2) | instid1(VALU_DEP_4)
	v_pk_fma_f32 v[72:73], v[62:63], v[26:27], v[52:53] op_sel:[0,0,1] op_sel_hi:[1,1,0] neg_lo:[0,0,1] neg_hi:[0,0,1]
	v_pk_fma_f32 v[52:53], v[62:63], v[26:27], v[52:53] op_sel:[0,0,1] op_sel_hi:[1,0,0]
	v_pk_fma_f32 v[62:63], v[64:65], v[26:27], v[66:67] op_sel:[0,0,1] op_sel_hi:[1,0,0]
	v_pk_fma_f32 v[74:75], v[54:55], v[26:27], v[70:71] op_sel_hi:[1,0,1]
	v_pk_fma_f32 v[64:65], v[64:65], v[26:27], v[66:67] op_sel:[0,0,1] op_sel_hi:[1,1,0] neg_lo:[0,0,1] neg_hi:[0,0,1]
	v_pk_fma_f32 v[54:55], v[54:55], v[26:27], v[70:71] neg_lo:[0,0,1] neg_hi:[0,0,1]
	s_delay_alu instid0(VALU_DEP_4) | instskip(NEXT) | instid1(VALU_DEP_4)
	v_dual_mov_b32 v73, v53 :: v_dual_mov_b32 v65, v63
	v_dual_mov_b32 v55, v75 :: v_dual_mov_b32 v27, v69
	s_delay_alu instid0(VALU_DEP_2) | instskip(NEXT) | instid1(VALU_DEP_3)
	v_pk_add_f32 v[20:21], v[20:21], v[72:73] neg_lo:[0,1] neg_hi:[0,1]
	v_pk_add_f32 v[18:19], v[18:19], v[64:65] neg_lo:[0,1] neg_hi:[0,1]
	s_delay_alu instid0(VALU_DEP_3)
	v_pk_add_f32 v[50:51], v[50:51], v[54:55] neg_lo:[0,1] neg_hi:[0,1]
.LBB44_419:
	s_or_b32 exec_lo, exec_lo, s0
	v_lshl_add_u32 v52, v60, 3, v56
	s_barrier_signal -1
	s_barrier_wait -1
	ds_store_b64 v52, v[20:21]
	s_wait_dscnt 0x0
	s_barrier_signal -1
	s_barrier_wait -1
	ds_load_b64 v[52:53], v56 offset:160
	v_mov_b32_e32 v54, 20
	s_cmp_lt_i32 s14, 22
	s_cbranch_scc1 .LBB44_422
; %bb.420:
	v_add3_u32 v55, v57, 0, 0xa8
	v_mov_b32_e32 v54, 20
	s_mov_b32 s0, 21
.LBB44_421:                             ; =>This Inner Loop Header: Depth=1
	ds_load_b64 v[62:63], v55
	s_wait_dscnt 0x1
	v_cmp_gt_f32_e32 vcc_lo, 0, v52
	v_cndmask_b32_e64 v64, v52, -v52, vcc_lo
	v_cmp_gt_f32_e32 vcc_lo, 0, v53
	v_cndmask_b32_e64 v66, v53, -v53, vcc_lo
	s_wait_dscnt 0x0
	v_cmp_gt_f32_e32 vcc_lo, 0, v62
	v_cndmask_b32_e64 v65, v62, -v62, vcc_lo
	v_cmp_gt_f32_e32 vcc_lo, 0, v63
	v_cndmask_b32_e64 v67, v63, -v63, vcc_lo
	s_delay_alu instid0(VALU_DEP_1) | instskip(NEXT) | instid1(VALU_DEP_1)
	v_pk_add_f32 v[64:65], v[64:65], v[66:67]
	v_cmp_lt_f32_e32 vcc_lo, v64, v65
	v_dual_cndmask_b32 v52, v52, v62 :: v_dual_add_nc_u32 v55, 8, v55
	v_cndmask_b32_e32 v53, v53, v63, vcc_lo
	v_cndmask_b32_e64 v54, v54, s0, vcc_lo
	s_add_co_i32 s0, s0, 1
	s_delay_alu instid0(SALU_CYCLE_1)
	s_cmp_lg_u32 s14, s0
	s_cbranch_scc1 .LBB44_421
.LBB44_422:
	s_wait_dscnt 0x0
	v_cmp_eq_f32_e32 vcc_lo, 0, v52
	v_cmp_eq_f32_e64 s0, 0, v53
	s_and_b32 s0, vcc_lo, s0
	s_delay_alu instid0(SALU_CYCLE_1) | instskip(NEXT) | instid1(SALU_CYCLE_1)
	s_and_saveexec_b32 s1, s0
	s_xor_b32 s0, exec_lo, s1
; %bb.423:
	v_cmp_ne_u32_e32 vcc_lo, 0, v58
	v_cndmask_b32_e32 v58, 21, v58, vcc_lo
; %bb.424:
	s_and_not1_saveexec_b32 s0, s0
	s_cbranch_execz .LBB44_430
; %bb.425:
	v_cmp_ngt_f32_e64 s1, |v52|, |v53|
	s_and_saveexec_b32 s15, s1
	s_delay_alu instid0(SALU_CYCLE_1)
	s_xor_b32 s1, exec_lo, s15
	s_cbranch_execz .LBB44_427
; %bb.426:
	v_div_scale_f32 v55, null, v53, v53, v52
	v_div_scale_f32 v63, vcc_lo, v52, v53, v52
	s_delay_alu instid0(VALU_DEP_2) | instskip(SKIP_1) | instid1(TRANS32_DEP_1)
	v_rcp_f32_e32 v61, v55
	v_nop
	v_fma_f32 v62, -v55, v61, 1.0
	s_delay_alu instid0(VALU_DEP_1) | instskip(NEXT) | instid1(VALU_DEP_1)
	v_fmac_f32_e32 v61, v62, v61
	v_mul_f32_e32 v62, v63, v61
	s_delay_alu instid0(VALU_DEP_1) | instskip(NEXT) | instid1(VALU_DEP_1)
	v_fma_f32 v64, -v55, v62, v63
	v_fmac_f32_e32 v62, v64, v61
	s_delay_alu instid0(VALU_DEP_1) | instskip(NEXT) | instid1(VALU_DEP_1)
	v_fma_f32 v55, -v55, v62, v63
	v_div_fmas_f32 v55, v55, v61, v62
	s_delay_alu instid0(VALU_DEP_1) | instskip(NEXT) | instid1(VALU_DEP_1)
	v_div_fixup_f32 v55, v55, v53, v52
	v_fmac_f32_e32 v53, v52, v55
	s_delay_alu instid0(VALU_DEP_1) | instskip(SKIP_1) | instid1(VALU_DEP_2)
	v_div_scale_f32 v52, null, v53, v53, 1.0
	v_div_scale_f32 v63, vcc_lo, 1.0, v53, 1.0
	v_rcp_f32_e32 v61, v52
	v_nop
	s_delay_alu instid0(TRANS32_DEP_1) | instskip(NEXT) | instid1(VALU_DEP_1)
	v_fma_f32 v62, -v52, v61, 1.0
	v_fmac_f32_e32 v61, v62, v61
	s_delay_alu instid0(VALU_DEP_1) | instskip(NEXT) | instid1(VALU_DEP_1)
	v_mul_f32_e32 v62, v63, v61
	v_fma_f32 v64, -v52, v62, v63
	s_delay_alu instid0(VALU_DEP_1) | instskip(NEXT) | instid1(VALU_DEP_1)
	v_fmac_f32_e32 v62, v64, v61
	v_fma_f32 v52, -v52, v62, v63
	s_delay_alu instid0(VALU_DEP_1) | instskip(NEXT) | instid1(VALU_DEP_1)
	v_div_fmas_f32 v52, v52, v61, v62
	v_div_fixup_f32 v53, v52, v53, 1.0
	s_delay_alu instid0(VALU_DEP_1)
	v_mul_f32_e32 v52, v55, v53
	v_xor_b32_e32 v53, 0x80000000, v53
.LBB44_427:
	s_and_not1_saveexec_b32 s1, s1
	s_cbranch_execz .LBB44_429
; %bb.428:
	s_delay_alu instid0(VALU_DEP_1) | instskip(SKIP_1) | instid1(VALU_DEP_2)
	v_div_scale_f32 v55, null, v52, v52, v53
	v_div_scale_f32 v63, vcc_lo, v53, v52, v53
	v_rcp_f32_e32 v61, v55
	v_nop
	s_delay_alu instid0(TRANS32_DEP_1) | instskip(NEXT) | instid1(VALU_DEP_1)
	v_fma_f32 v62, -v55, v61, 1.0
	v_fmac_f32_e32 v61, v62, v61
	s_delay_alu instid0(VALU_DEP_1) | instskip(NEXT) | instid1(VALU_DEP_1)
	v_mul_f32_e32 v62, v63, v61
	v_fma_f32 v64, -v55, v62, v63
	s_delay_alu instid0(VALU_DEP_1) | instskip(NEXT) | instid1(VALU_DEP_1)
	v_fmac_f32_e32 v62, v64, v61
	v_fma_f32 v55, -v55, v62, v63
	s_delay_alu instid0(VALU_DEP_1) | instskip(NEXT) | instid1(VALU_DEP_1)
	v_div_fmas_f32 v55, v55, v61, v62
	v_div_fixup_f32 v55, v55, v52, v53
	s_delay_alu instid0(VALU_DEP_1) | instskip(NEXT) | instid1(VALU_DEP_1)
	v_fmac_f32_e32 v52, v53, v55
	v_div_scale_f32 v53, null, v52, v52, 1.0
	s_delay_alu instid0(VALU_DEP_1) | instskip(SKIP_1) | instid1(TRANS32_DEP_1)
	v_rcp_f32_e32 v61, v53
	v_nop
	v_fma_f32 v62, -v53, v61, 1.0
	s_delay_alu instid0(VALU_DEP_1) | instskip(SKIP_1) | instid1(VALU_DEP_1)
	v_fmac_f32_e32 v61, v62, v61
	v_div_scale_f32 v62, vcc_lo, 1.0, v52, 1.0
	v_mul_f32_e32 v63, v62, v61
	s_delay_alu instid0(VALU_DEP_1) | instskip(NEXT) | instid1(VALU_DEP_1)
	v_fma_f32 v64, -v53, v63, v62
	v_fmac_f32_e32 v63, v64, v61
	s_delay_alu instid0(VALU_DEP_1) | instskip(NEXT) | instid1(VALU_DEP_1)
	v_fma_f32 v53, -v53, v63, v62
	v_div_fmas_f32 v53, v53, v61, v63
	s_delay_alu instid0(VALU_DEP_1) | instskip(NEXT) | instid1(VALU_DEP_1)
	v_div_fixup_f32 v52, v53, v52, 1.0
	v_mul_f32_e64 v53, v55, -v52
.LBB44_429:
	s_or_b32 exec_lo, exec_lo, s1
.LBB44_430:
	s_delay_alu instid0(SALU_CYCLE_1) | instskip(NEXT) | instid1(SALU_CYCLE_1)
	s_or_b32 exec_lo, exec_lo, s0
	s_mov_b32 s0, exec_lo
	v_cmpx_ne_u32_e64 v60, v54
	s_xor_b32 s0, exec_lo, s0
	s_cbranch_execz .LBB44_436
; %bb.431:
	s_mov_b32 s1, exec_lo
	v_cmpx_eq_u32_e32 20, v60
	s_cbranch_execz .LBB44_435
; %bb.432:
	v_cmp_ne_u32_e32 vcc_lo, 20, v54
	s_xor_b32 s15, s12, -1
	s_delay_alu instid0(SALU_CYCLE_1) | instskip(NEXT) | instid1(SALU_CYCLE_1)
	s_and_b32 s16, s15, vcc_lo
	s_and_saveexec_b32 s15, s16
	s_cbranch_execz .LBB44_434
; %bb.433:
	v_ashrrev_i32_e32 v55, 31, v54
	s_delay_alu instid0(VALU_DEP_1)
	v_lshl_add_u64 v[60:61], v[54:55], 2, v[32:33]
	s_clause 0x1
	global_load_b32 v55, v[60:61], off
	global_load_b32 v59, v[32:33], off offset:80
	s_wait_loadcnt 0x1
	global_store_b32 v[32:33], v55, off offset:80
	s_wait_loadcnt 0x0
	global_store_b32 v[60:61], v59, off
.LBB44_434:
	s_wait_xcnt 0x0
	s_or_b32 exec_lo, exec_lo, s15
	v_dual_mov_b32 v60, v54 :: v_dual_mov_b32 v59, v54
.LBB44_435:
	s_or_b32 exec_lo, exec_lo, s1
.LBB44_436:
	s_and_not1_saveexec_b32 s0, s0
; %bb.437:
	v_mov_b32_e32 v60, 20
	ds_store_2addr_b64 v56, v[18:19], v[50:51] offset0:21 offset1:22
; %bb.438:
	s_or_b32 exec_lo, exec_lo, s0
	s_delay_alu instid0(SALU_CYCLE_1)
	s_mov_b32 s0, exec_lo
	s_wait_storecnt_dscnt 0x0
	s_barrier_signal -1
	s_barrier_wait -1
	v_cmpx_lt_i32_e32 20, v60
	s_cbranch_execz .LBB44_440
; %bb.439:
	ds_load_2addr_b64 v[62:65], v56 offset0:21 offset1:22
	v_pk_mul_f32 v[54:55], v[52:53], v[20:21] op_sel:[1,1] op_sel_hi:[0,1]
	s_delay_alu instid0(VALU_DEP_1) | instskip(SKIP_3) | instid1(VALU_DEP_3)
	v_pk_fma_f32 v[66:67], v[52:53], v[20:21], v[54:55] op_sel_hi:[1,0,1]
	v_pk_fma_f32 v[20:21], v[52:53], v[20:21], v[54:55] op_sel_hi:[1,0,1] neg_lo:[0,0,1] neg_hi:[0,0,1]
	s_wait_dscnt 0x0
	v_dual_mov_b32 v68, v65 :: v_dual_mov_b32 v69, v64
	v_pk_mul_f32 v[52:53], v[62:63], v[66:67] op_sel:[0,1]
	s_delay_alu instid0(VALU_DEP_2) | instskip(NEXT) | instid1(VALU_DEP_2)
	v_pk_mul_f32 v[54:55], v[68:69], v[66:67] op_sel:[0,1]
	v_pk_fma_f32 v[68:69], v[62:63], v[20:21], v[52:53] op_sel:[0,0,1] op_sel_hi:[1,0,0]
	v_pk_fma_f32 v[52:53], v[62:63], v[20:21], v[52:53] op_sel:[0,0,1] op_sel_hi:[1,1,0] neg_lo:[0,0,1] neg_hi:[0,0,1]
	s_delay_alu instid0(VALU_DEP_3) | instskip(SKIP_1) | instid1(VALU_DEP_4)
	v_pk_fma_f32 v[70:71], v[64:65], v[20:21], v[54:55] op_sel_hi:[1,0,1]
	v_pk_fma_f32 v[54:55], v[64:65], v[20:21], v[54:55] neg_lo:[0,0,1] neg_hi:[0,0,1]
	v_dual_mov_b32 v53, v69 :: v_dual_mov_b32 v21, v67
	s_delay_alu instid0(VALU_DEP_3) | instskip(NEXT) | instid1(VALU_DEP_2)
	v_mov_b32_e32 v55, v71
	v_pk_add_f32 v[18:19], v[18:19], v[52:53] neg_lo:[0,1] neg_hi:[0,1]
	s_delay_alu instid0(VALU_DEP_2)
	v_pk_add_f32 v[50:51], v[50:51], v[54:55] neg_lo:[0,1] neg_hi:[0,1]
.LBB44_440:
	s_or_b32 exec_lo, exec_lo, s0
	v_lshl_add_u32 v52, v60, 3, v56
	s_barrier_signal -1
	s_barrier_wait -1
	ds_store_b64 v52, v[18:19]
	s_wait_dscnt 0x0
	s_barrier_signal -1
	s_barrier_wait -1
	ds_load_b64 v[52:53], v56 offset:168
	v_mov_b32_e32 v54, 21
	s_cmp_lt_i32 s14, 23
	s_cbranch_scc1 .LBB44_443
; %bb.441:
	v_add3_u32 v55, v57, 0, 0xb0
	v_mov_b32_e32 v54, 21
	s_mov_b32 s0, 22
.LBB44_442:                             ; =>This Inner Loop Header: Depth=1
	ds_load_b64 v[62:63], v55
	s_wait_dscnt 0x1
	v_cmp_gt_f32_e32 vcc_lo, 0, v52
	v_cndmask_b32_e64 v64, v52, -v52, vcc_lo
	v_cmp_gt_f32_e32 vcc_lo, 0, v53
	v_cndmask_b32_e64 v66, v53, -v53, vcc_lo
	s_wait_dscnt 0x0
	v_cmp_gt_f32_e32 vcc_lo, 0, v62
	v_cndmask_b32_e64 v65, v62, -v62, vcc_lo
	v_cmp_gt_f32_e32 vcc_lo, 0, v63
	v_cndmask_b32_e64 v67, v63, -v63, vcc_lo
	s_delay_alu instid0(VALU_DEP_1) | instskip(NEXT) | instid1(VALU_DEP_1)
	v_pk_add_f32 v[64:65], v[64:65], v[66:67]
	v_cmp_lt_f32_e32 vcc_lo, v64, v65
	v_dual_cndmask_b32 v52, v52, v62 :: v_dual_add_nc_u32 v55, 8, v55
	v_cndmask_b32_e32 v53, v53, v63, vcc_lo
	v_cndmask_b32_e64 v54, v54, s0, vcc_lo
	s_add_co_i32 s0, s0, 1
	s_delay_alu instid0(SALU_CYCLE_1)
	s_cmp_lg_u32 s14, s0
	s_cbranch_scc1 .LBB44_442
.LBB44_443:
	s_wait_dscnt 0x0
	v_cmp_eq_f32_e32 vcc_lo, 0, v52
	v_cmp_eq_f32_e64 s0, 0, v53
	s_and_b32 s0, vcc_lo, s0
	s_delay_alu instid0(SALU_CYCLE_1) | instskip(NEXT) | instid1(SALU_CYCLE_1)
	s_and_saveexec_b32 s1, s0
	s_xor_b32 s0, exec_lo, s1
; %bb.444:
	v_cmp_ne_u32_e32 vcc_lo, 0, v58
	v_cndmask_b32_e32 v58, 22, v58, vcc_lo
; %bb.445:
	s_and_not1_saveexec_b32 s0, s0
	s_cbranch_execz .LBB44_451
; %bb.446:
	v_cmp_ngt_f32_e64 s1, |v52|, |v53|
	s_and_saveexec_b32 s15, s1
	s_delay_alu instid0(SALU_CYCLE_1)
	s_xor_b32 s1, exec_lo, s15
	s_cbranch_execz .LBB44_448
; %bb.447:
	v_div_scale_f32 v55, null, v53, v53, v52
	v_div_scale_f32 v63, vcc_lo, v52, v53, v52
	s_delay_alu instid0(VALU_DEP_2) | instskip(SKIP_1) | instid1(TRANS32_DEP_1)
	v_rcp_f32_e32 v61, v55
	v_nop
	v_fma_f32 v62, -v55, v61, 1.0
	s_delay_alu instid0(VALU_DEP_1) | instskip(NEXT) | instid1(VALU_DEP_1)
	v_fmac_f32_e32 v61, v62, v61
	v_mul_f32_e32 v62, v63, v61
	s_delay_alu instid0(VALU_DEP_1) | instskip(NEXT) | instid1(VALU_DEP_1)
	v_fma_f32 v64, -v55, v62, v63
	v_fmac_f32_e32 v62, v64, v61
	s_delay_alu instid0(VALU_DEP_1) | instskip(NEXT) | instid1(VALU_DEP_1)
	v_fma_f32 v55, -v55, v62, v63
	v_div_fmas_f32 v55, v55, v61, v62
	s_delay_alu instid0(VALU_DEP_1) | instskip(NEXT) | instid1(VALU_DEP_1)
	v_div_fixup_f32 v55, v55, v53, v52
	v_fmac_f32_e32 v53, v52, v55
	s_delay_alu instid0(VALU_DEP_1) | instskip(SKIP_1) | instid1(VALU_DEP_2)
	v_div_scale_f32 v52, null, v53, v53, 1.0
	v_div_scale_f32 v63, vcc_lo, 1.0, v53, 1.0
	v_rcp_f32_e32 v61, v52
	v_nop
	s_delay_alu instid0(TRANS32_DEP_1) | instskip(NEXT) | instid1(VALU_DEP_1)
	v_fma_f32 v62, -v52, v61, 1.0
	v_fmac_f32_e32 v61, v62, v61
	s_delay_alu instid0(VALU_DEP_1) | instskip(NEXT) | instid1(VALU_DEP_1)
	v_mul_f32_e32 v62, v63, v61
	v_fma_f32 v64, -v52, v62, v63
	s_delay_alu instid0(VALU_DEP_1) | instskip(NEXT) | instid1(VALU_DEP_1)
	v_fmac_f32_e32 v62, v64, v61
	v_fma_f32 v52, -v52, v62, v63
	s_delay_alu instid0(VALU_DEP_1) | instskip(NEXT) | instid1(VALU_DEP_1)
	v_div_fmas_f32 v52, v52, v61, v62
	v_div_fixup_f32 v53, v52, v53, 1.0
	s_delay_alu instid0(VALU_DEP_1)
	v_mul_f32_e32 v52, v55, v53
	v_xor_b32_e32 v53, 0x80000000, v53
.LBB44_448:
	s_and_not1_saveexec_b32 s1, s1
	s_cbranch_execz .LBB44_450
; %bb.449:
	s_delay_alu instid0(VALU_DEP_1) | instskip(SKIP_1) | instid1(VALU_DEP_2)
	v_div_scale_f32 v55, null, v52, v52, v53
	v_div_scale_f32 v63, vcc_lo, v53, v52, v53
	v_rcp_f32_e32 v61, v55
	v_nop
	s_delay_alu instid0(TRANS32_DEP_1) | instskip(NEXT) | instid1(VALU_DEP_1)
	v_fma_f32 v62, -v55, v61, 1.0
	v_fmac_f32_e32 v61, v62, v61
	s_delay_alu instid0(VALU_DEP_1) | instskip(NEXT) | instid1(VALU_DEP_1)
	v_mul_f32_e32 v62, v63, v61
	v_fma_f32 v64, -v55, v62, v63
	s_delay_alu instid0(VALU_DEP_1) | instskip(NEXT) | instid1(VALU_DEP_1)
	v_fmac_f32_e32 v62, v64, v61
	v_fma_f32 v55, -v55, v62, v63
	s_delay_alu instid0(VALU_DEP_1) | instskip(NEXT) | instid1(VALU_DEP_1)
	v_div_fmas_f32 v55, v55, v61, v62
	v_div_fixup_f32 v55, v55, v52, v53
	s_delay_alu instid0(VALU_DEP_1) | instskip(NEXT) | instid1(VALU_DEP_1)
	v_fmac_f32_e32 v52, v53, v55
	v_div_scale_f32 v53, null, v52, v52, 1.0
	s_delay_alu instid0(VALU_DEP_1) | instskip(SKIP_1) | instid1(TRANS32_DEP_1)
	v_rcp_f32_e32 v61, v53
	v_nop
	v_fma_f32 v62, -v53, v61, 1.0
	s_delay_alu instid0(VALU_DEP_1) | instskip(SKIP_1) | instid1(VALU_DEP_1)
	v_fmac_f32_e32 v61, v62, v61
	v_div_scale_f32 v62, vcc_lo, 1.0, v52, 1.0
	v_mul_f32_e32 v63, v62, v61
	s_delay_alu instid0(VALU_DEP_1) | instskip(NEXT) | instid1(VALU_DEP_1)
	v_fma_f32 v64, -v53, v63, v62
	v_fmac_f32_e32 v63, v64, v61
	s_delay_alu instid0(VALU_DEP_1) | instskip(NEXT) | instid1(VALU_DEP_1)
	v_fma_f32 v53, -v53, v63, v62
	v_div_fmas_f32 v53, v53, v61, v63
	s_delay_alu instid0(VALU_DEP_1) | instskip(NEXT) | instid1(VALU_DEP_1)
	v_div_fixup_f32 v52, v53, v52, 1.0
	v_mul_f32_e64 v53, v55, -v52
.LBB44_450:
	s_or_b32 exec_lo, exec_lo, s1
.LBB44_451:
	s_delay_alu instid0(SALU_CYCLE_1) | instskip(NEXT) | instid1(SALU_CYCLE_1)
	s_or_b32 exec_lo, exec_lo, s0
	s_mov_b32 s0, exec_lo
	v_cmpx_ne_u32_e64 v60, v54
	s_xor_b32 s0, exec_lo, s0
	s_cbranch_execz .LBB44_457
; %bb.452:
	s_mov_b32 s1, exec_lo
	v_cmpx_eq_u32_e32 21, v60
	s_cbranch_execz .LBB44_456
; %bb.453:
	v_cmp_ne_u32_e32 vcc_lo, 21, v54
	s_xor_b32 s15, s12, -1
	s_delay_alu instid0(SALU_CYCLE_1) | instskip(NEXT) | instid1(SALU_CYCLE_1)
	s_and_b32 s16, s15, vcc_lo
	s_and_saveexec_b32 s15, s16
	s_cbranch_execz .LBB44_455
; %bb.454:
	v_ashrrev_i32_e32 v55, 31, v54
	s_delay_alu instid0(VALU_DEP_1)
	v_lshl_add_u64 v[60:61], v[54:55], 2, v[32:33]
	s_clause 0x1
	global_load_b32 v55, v[60:61], off
	global_load_b32 v59, v[32:33], off offset:84
	s_wait_loadcnt 0x1
	global_store_b32 v[32:33], v55, off offset:84
	s_wait_loadcnt 0x0
	global_store_b32 v[60:61], v59, off
.LBB44_455:
	s_wait_xcnt 0x0
	s_or_b32 exec_lo, exec_lo, s15
	v_dual_mov_b32 v60, v54 :: v_dual_mov_b32 v59, v54
.LBB44_456:
	s_or_b32 exec_lo, exec_lo, s1
.LBB44_457:
	s_and_not1_saveexec_b32 s0, s0
; %bb.458:
	v_mov_b32_e32 v60, 21
	ds_store_b64 v56, v[50:51] offset:176
; %bb.459:
	s_or_b32 exec_lo, exec_lo, s0
	s_delay_alu instid0(SALU_CYCLE_1)
	s_mov_b32 s0, exec_lo
	s_wait_storecnt_dscnt 0x0
	s_barrier_signal -1
	s_barrier_wait -1
	v_cmpx_lt_i32_e32 21, v60
	s_cbranch_execz .LBB44_461
; %bb.460:
	ds_load_b64 v[54:55], v56 offset:176
	v_pk_mul_f32 v[62:63], v[52:53], v[18:19] op_sel:[1,1] op_sel_hi:[0,1]
	s_delay_alu instid0(VALU_DEP_1) | instskip(SKIP_2) | instid1(VALU_DEP_2)
	v_pk_fma_f32 v[64:65], v[52:53], v[18:19], v[62:63] op_sel_hi:[1,0,1]
	v_pk_fma_f32 v[18:19], v[52:53], v[18:19], v[62:63] op_sel_hi:[1,0,1] neg_lo:[0,0,1] neg_hi:[0,0,1]
	s_wait_dscnt 0x0
	v_pk_mul_f32 v[52:53], v[54:55], v[64:65] op_sel:[1,1] op_sel_hi:[0,1]
	s_delay_alu instid0(VALU_DEP_1) | instskip(SKIP_1) | instid1(VALU_DEP_2)
	v_pk_fma_f32 v[62:63], v[54:55], v[18:19], v[52:53] op_sel_hi:[1,0,1]
	v_pk_fma_f32 v[52:53], v[54:55], v[18:19], v[52:53] neg_lo:[0,0,1] neg_hi:[0,0,1]
	v_dual_mov_b32 v19, v65 :: v_dual_mov_b32 v53, v63
	s_delay_alu instid0(VALU_DEP_1)
	v_pk_add_f32 v[50:51], v[50:51], v[52:53] neg_lo:[0,1] neg_hi:[0,1]
.LBB44_461:
	s_or_b32 exec_lo, exec_lo, s0
	v_lshl_add_u32 v52, v60, 3, v56
	s_barrier_signal -1
	s_barrier_wait -1
	ds_store_b64 v52, v[50:51]
	s_wait_dscnt 0x0
	s_barrier_signal -1
	s_barrier_wait -1
	ds_load_b64 v[52:53], v56 offset:176
	v_mov_b32_e32 v54, 22
	s_cmp_lt_i32 s14, 24
	s_cbranch_scc1 .LBB44_464
; %bb.462:
	v_add3_u32 v55, v57, 0, 0xb8
	v_mov_b32_e32 v54, 22
	s_mov_b32 s0, 23
.LBB44_463:                             ; =>This Inner Loop Header: Depth=1
	ds_load_b64 v[56:57], v55
	s_wait_dscnt 0x1
	v_cmp_gt_f32_e32 vcc_lo, 0, v52
	v_cndmask_b32_e64 v62, v52, -v52, vcc_lo
	v_cmp_gt_f32_e32 vcc_lo, 0, v53
	v_cndmask_b32_e64 v64, v53, -v53, vcc_lo
	s_wait_dscnt 0x0
	v_cmp_gt_f32_e32 vcc_lo, 0, v56
	v_cndmask_b32_e64 v63, v56, -v56, vcc_lo
	v_cmp_gt_f32_e32 vcc_lo, 0, v57
	v_cndmask_b32_e64 v65, v57, -v57, vcc_lo
	s_delay_alu instid0(VALU_DEP_1) | instskip(NEXT) | instid1(VALU_DEP_1)
	v_pk_add_f32 v[62:63], v[62:63], v[64:65]
	v_cmp_lt_f32_e32 vcc_lo, v62, v63
	v_dual_add_nc_u32 v55, 8, v55 :: v_dual_cndmask_b32 v53, v53, v57, vcc_lo
	v_cndmask_b32_e32 v52, v52, v56, vcc_lo
	v_cndmask_b32_e64 v54, v54, s0, vcc_lo
	s_add_co_i32 s0, s0, 1
	s_delay_alu instid0(SALU_CYCLE_1)
	s_cmp_lg_u32 s14, s0
	s_cbranch_scc1 .LBB44_463
.LBB44_464:
	s_wait_dscnt 0x0
	v_cmp_eq_f32_e32 vcc_lo, 0, v52
	v_cmp_eq_f32_e64 s0, 0, v53
	s_and_b32 s0, vcc_lo, s0
	s_delay_alu instid0(SALU_CYCLE_1) | instskip(NEXT) | instid1(SALU_CYCLE_1)
	s_and_saveexec_b32 s1, s0
	s_xor_b32 s0, exec_lo, s1
; %bb.465:
	v_cmp_ne_u32_e32 vcc_lo, 0, v58
	v_cndmask_b32_e32 v58, 23, v58, vcc_lo
; %bb.466:
	s_and_not1_saveexec_b32 s0, s0
	s_cbranch_execz .LBB44_472
; %bb.467:
	v_cmp_ngt_f32_e64 s1, |v52|, |v53|
	s_and_saveexec_b32 s14, s1
	s_delay_alu instid0(SALU_CYCLE_1)
	s_xor_b32 s1, exec_lo, s14
	s_cbranch_execz .LBB44_469
; %bb.468:
	v_div_scale_f32 v55, null, v53, v53, v52
	v_div_scale_f32 v61, vcc_lo, v52, v53, v52
	s_delay_alu instid0(VALU_DEP_2) | instskip(SKIP_1) | instid1(TRANS32_DEP_1)
	v_rcp_f32_e32 v56, v55
	v_nop
	v_fma_f32 v57, -v55, v56, 1.0
	s_delay_alu instid0(VALU_DEP_1) | instskip(NEXT) | instid1(VALU_DEP_1)
	v_fmac_f32_e32 v56, v57, v56
	v_mul_f32_e32 v57, v61, v56
	s_delay_alu instid0(VALU_DEP_1) | instskip(NEXT) | instid1(VALU_DEP_1)
	v_fma_f32 v62, -v55, v57, v61
	v_fmac_f32_e32 v57, v62, v56
	s_delay_alu instid0(VALU_DEP_1) | instskip(NEXT) | instid1(VALU_DEP_1)
	v_fma_f32 v55, -v55, v57, v61
	v_div_fmas_f32 v55, v55, v56, v57
	s_delay_alu instid0(VALU_DEP_1) | instskip(NEXT) | instid1(VALU_DEP_1)
	v_div_fixup_f32 v55, v55, v53, v52
	v_fmac_f32_e32 v53, v52, v55
	s_delay_alu instid0(VALU_DEP_1) | instskip(SKIP_1) | instid1(VALU_DEP_2)
	v_div_scale_f32 v52, null, v53, v53, 1.0
	v_div_scale_f32 v61, vcc_lo, 1.0, v53, 1.0
	v_rcp_f32_e32 v56, v52
	v_nop
	s_delay_alu instid0(TRANS32_DEP_1) | instskip(NEXT) | instid1(VALU_DEP_1)
	v_fma_f32 v57, -v52, v56, 1.0
	v_fmac_f32_e32 v56, v57, v56
	s_delay_alu instid0(VALU_DEP_1) | instskip(NEXT) | instid1(VALU_DEP_1)
	v_mul_f32_e32 v57, v61, v56
	v_fma_f32 v62, -v52, v57, v61
	s_delay_alu instid0(VALU_DEP_1) | instskip(NEXT) | instid1(VALU_DEP_1)
	v_fmac_f32_e32 v57, v62, v56
	v_fma_f32 v52, -v52, v57, v61
	s_delay_alu instid0(VALU_DEP_1) | instskip(NEXT) | instid1(VALU_DEP_1)
	v_div_fmas_f32 v52, v52, v56, v57
	v_div_fixup_f32 v53, v52, v53, 1.0
	s_delay_alu instid0(VALU_DEP_1)
	v_mul_f32_e32 v52, v55, v53
	v_xor_b32_e32 v53, 0x80000000, v53
.LBB44_469:
	s_and_not1_saveexec_b32 s1, s1
	s_cbranch_execz .LBB44_471
; %bb.470:
	s_delay_alu instid0(VALU_DEP_1) | instskip(SKIP_1) | instid1(VALU_DEP_2)
	v_div_scale_f32 v55, null, v52, v52, v53
	v_div_scale_f32 v61, vcc_lo, v53, v52, v53
	v_rcp_f32_e32 v56, v55
	v_nop
	s_delay_alu instid0(TRANS32_DEP_1) | instskip(NEXT) | instid1(VALU_DEP_1)
	v_fma_f32 v57, -v55, v56, 1.0
	v_fmac_f32_e32 v56, v57, v56
	s_delay_alu instid0(VALU_DEP_1) | instskip(NEXT) | instid1(VALU_DEP_1)
	v_mul_f32_e32 v57, v61, v56
	v_fma_f32 v62, -v55, v57, v61
	s_delay_alu instid0(VALU_DEP_1) | instskip(NEXT) | instid1(VALU_DEP_1)
	v_fmac_f32_e32 v57, v62, v56
	v_fma_f32 v55, -v55, v57, v61
	s_delay_alu instid0(VALU_DEP_1) | instskip(NEXT) | instid1(VALU_DEP_1)
	v_div_fmas_f32 v55, v55, v56, v57
	v_div_fixup_f32 v55, v55, v52, v53
	s_delay_alu instid0(VALU_DEP_1) | instskip(NEXT) | instid1(VALU_DEP_1)
	v_fmac_f32_e32 v52, v53, v55
	v_div_scale_f32 v53, null, v52, v52, 1.0
	s_delay_alu instid0(VALU_DEP_1) | instskip(SKIP_1) | instid1(TRANS32_DEP_1)
	v_rcp_f32_e32 v56, v53
	v_nop
	v_fma_f32 v57, -v53, v56, 1.0
	s_delay_alu instid0(VALU_DEP_1) | instskip(SKIP_1) | instid1(VALU_DEP_1)
	v_fmac_f32_e32 v56, v57, v56
	v_div_scale_f32 v57, vcc_lo, 1.0, v52, 1.0
	v_mul_f32_e32 v61, v57, v56
	s_delay_alu instid0(VALU_DEP_1) | instskip(NEXT) | instid1(VALU_DEP_1)
	v_fma_f32 v62, -v53, v61, v57
	v_fmac_f32_e32 v61, v62, v56
	s_delay_alu instid0(VALU_DEP_1) | instskip(NEXT) | instid1(VALU_DEP_1)
	v_fma_f32 v53, -v53, v61, v57
	v_div_fmas_f32 v53, v53, v56, v61
	s_delay_alu instid0(VALU_DEP_1) | instskip(NEXT) | instid1(VALU_DEP_1)
	v_div_fixup_f32 v52, v53, v52, 1.0
	v_mul_f32_e64 v53, v55, -v52
.LBB44_471:
	s_or_b32 exec_lo, exec_lo, s1
.LBB44_472:
	s_delay_alu instid0(SALU_CYCLE_1)
	s_or_b32 exec_lo, exec_lo, s0
	v_mov_b32_e32 v56, 22
	s_mov_b32 s0, exec_lo
	v_cmpx_ne_u32_e64 v60, v54
	s_cbranch_execz .LBB44_478
; %bb.473:
	s_mov_b32 s1, exec_lo
	v_cmpx_eq_u32_e32 22, v60
	s_cbranch_execz .LBB44_477
; %bb.474:
	v_cmp_ne_u32_e32 vcc_lo, 22, v54
	s_xor_b32 s12, s12, -1
	s_delay_alu instid0(SALU_CYCLE_1) | instskip(NEXT) | instid1(SALU_CYCLE_1)
	s_and_b32 s14, s12, vcc_lo
	s_and_saveexec_b32 s12, s14
	s_cbranch_execz .LBB44_476
; %bb.475:
	v_ashrrev_i32_e32 v55, 31, v54
	s_delay_alu instid0(VALU_DEP_1)
	v_lshl_add_u64 v[56:57], v[54:55], 2, v[32:33]
	s_clause 0x1
	global_load_b32 v55, v[56:57], off
	global_load_b32 v59, v[32:33], off offset:88
	s_wait_loadcnt 0x1
	global_store_b32 v[32:33], v55, off offset:88
	s_wait_loadcnt 0x0
	global_store_b32 v[56:57], v59, off
.LBB44_476:
	s_wait_xcnt 0x0
	s_or_b32 exec_lo, exec_lo, s12
	v_dual_mov_b32 v60, v54 :: v_dual_mov_b32 v59, v54
.LBB44_477:
	s_or_b32 exec_lo, exec_lo, s1
	s_delay_alu instid0(VALU_DEP_1)
	v_mov_b32_e32 v56, v60
.LBB44_478:
	s_or_b32 exec_lo, exec_lo, s0
	s_delay_alu instid0(VALU_DEP_1)
	v_ashrrev_i32_e32 v57, 31, v56
	s_mov_b32 s0, exec_lo
	s_wait_storecnt 0x0
	s_barrier_signal -1
	s_barrier_wait -1
	s_barrier_signal -1
	s_barrier_wait -1
	v_cmpx_gt_i32_e32 23, v56
	s_cbranch_execz .LBB44_480
; %bb.479:
	v_mul_u64_e32 v[32:33], s[10:11], v[2:3]
	v_add3_u32 v54, v59, s13, 1
	s_delay_alu instid0(VALU_DEP_2) | instskip(NEXT) | instid1(VALU_DEP_1)
	v_lshl_add_u64 v[32:33], v[32:33], 2, s[6:7]
	v_lshl_add_u64 v[32:33], s[8:9], 2, v[32:33]
	s_delay_alu instid0(VALU_DEP_1)
	v_lshl_add_u64 v[32:33], v[56:57], 2, v[32:33]
	global_store_b32 v[32:33], v54, off
.LBB44_480:
	s_wait_xcnt 0x0
	s_or_b32 exec_lo, exec_lo, s0
	s_delay_alu instid0(SALU_CYCLE_1)
	s_mov_b32 s1, exec_lo
	v_cmpx_eq_u32_e32 0, v56
	s_cbranch_execz .LBB44_483
; %bb.481:
	s_wait_kmcnt 0x0
	v_lshl_add_u64 v[2:3], v[2:3], 2, s[4:5]
	v_cmp_ne_u32_e64 s0, 0, v58
	global_load_b32 v32, v[2:3], off
	s_wait_loadcnt 0x0
	v_cmp_eq_u32_e32 vcc_lo, 0, v32
	s_and_b32 s0, vcc_lo, s0
	s_wait_xcnt 0x0
	s_and_b32 exec_lo, exec_lo, s0
	s_cbranch_execz .LBB44_483
; %bb.482:
	v_add_nc_u32_e32 v32, s13, v58
	global_store_b32 v[2:3], v32, off
.LBB44_483:
	s_wait_xcnt 0x0
	s_or_b32 exec_lo, exec_lo, s1
	v_add3_u32 v2, s2, s2, v56
	v_pk_mul_f32 v[62:63], v[52:53], v[50:51] op_sel:[1,1] op_sel_hi:[0,1]
	v_lshl_add_u64 v[68:69], v[56:57], 3, v[0:1]
	v_cmp_lt_i32_e32 vcc_lo, 22, v56
	s_delay_alu instid0(VALU_DEP_4) | instskip(NEXT) | instid1(VALU_DEP_4)
	v_add_nc_u32_e32 v32, s2, v2
	v_pk_fma_f32 v[66:67], v[52:53], v[50:51], v[62:63] op_sel_hi:[1,0,1]
	v_pk_fma_f32 v[52:53], v[52:53], v[50:51], v[62:63] neg_lo:[0,0,1] neg_hi:[0,0,1]
	v_lshl_add_u64 v[56:57], s[2:3], 3, v[68:69]
	s_clause 0x1
	global_store_b64 v[68:69], v[48:49], off
	global_store_b64 v[56:57], v[46:47], off
	v_dual_cndmask_b32 v51, v51, v67 :: v_dual_add_nc_u32 v54, s2, v32
	s_delay_alu instid0(VALU_DEP_1) | instskip(NEXT) | instid1(VALU_DEP_1)
	v_add_nc_u32_e32 v58, s2, v54
	v_add_nc_u32_e32 v60, s2, v58
	s_delay_alu instid0(VALU_DEP_1) | instskip(SKIP_2) | instid1(VALU_DEP_3)
	v_dual_add_nc_u32 v64, s2, v60 :: v_dual_ashrrev_i32 v3, 31, v2
	v_ashrrev_i32_e32 v33, 31, v32
	v_ashrrev_i32_e32 v61, 31, v60
	v_add_nc_u32_e32 v66, s2, v64
	s_delay_alu instid0(VALU_DEP_4) | instskip(NEXT) | instid1(VALU_DEP_4)
	v_lshl_add_u64 v[2:3], v[2:3], 3, v[0:1]
	v_lshl_add_u64 v[32:33], v[32:33], 3, v[0:1]
	s_delay_alu instid0(VALU_DEP_3) | instskip(SKIP_2) | instid1(VALU_DEP_1)
	v_dual_ashrrev_i32 v65, 31, v64 :: v_dual_ashrrev_i32 v67, 31, v66
	v_dual_add_nc_u32 v62, s2, v66 :: v_dual_cndmask_b32 v50, v50, v52, vcc_lo
	s_wait_xcnt 0x0
	v_add_nc_u32_e32 v46, s2, v62
	s_delay_alu instid0(VALU_DEP_1) | instskip(NEXT) | instid1(VALU_DEP_1)
	v_add_nc_u32_e32 v48, s2, v46
	v_dual_ashrrev_i32 v55, 31, v54 :: v_dual_add_nc_u32 v56, s2, v48
	v_ashrrev_i32_e32 v59, 31, v58
	s_delay_alu instid0(VALU_DEP_2) | instskip(SKIP_1) | instid1(VALU_DEP_4)
	v_lshl_add_u64 v[52:53], v[54:55], 3, v[0:1]
	v_ashrrev_i32_e32 v49, 31, v48
	v_ashrrev_i32_e32 v57, 31, v56
	s_delay_alu instid0(VALU_DEP_4)
	v_lshl_add_u64 v[54:55], v[58:59], 3, v[0:1]
	s_clause 0x3
	global_store_b64 v[2:3], v[36:37], off
	global_store_b64 v[32:33], v[34:35], off
	;; [unrolled: 1-line block ×4, first 2 shown]
	s_wait_xcnt 0x3
	v_add_nc_u32_e32 v2, s2, v56
	s_wait_xcnt 0x1
	v_lshl_add_u64 v[16:17], v[60:61], 3, v[0:1]
	v_lshl_add_u64 v[32:33], v[64:65], 3, v[0:1]
	v_lshl_add_u64 v[34:35], v[66:67], 3, v[0:1]
	s_wait_xcnt 0x0
	v_add_nc_u32_e32 v14, s2, v2
	s_delay_alu instid0(VALU_DEP_1) | instskip(NEXT) | instid1(VALU_DEP_1)
	v_add_nc_u32_e32 v52, s2, v14
	v_dual_ashrrev_i32 v63, 31, v62 :: v_dual_ashrrev_i32 v53, 31, v52
	s_delay_alu instid0(VALU_DEP_1)
	v_lshl_add_u64 v[36:37], v[62:63], 3, v[0:1]
	s_clause 0x3
	global_store_b64 v[16:17], v[6:7], off
	global_store_b64 v[32:33], v[4:5], off
	;; [unrolled: 1-line block ×4, first 2 shown]
	s_wait_xcnt 0x2
	v_dual_add_nc_u32 v4, s2, v52 :: v_dual_ashrrev_i32 v47, 31, v46
	v_lshl_add_u64 v[32:33], v[48:49], 3, v[0:1]
	s_wait_xcnt 0x1
	v_lshl_add_u64 v[34:35], v[56:57], 3, v[0:1]
	s_delay_alu instid0(VALU_DEP_3) | instskip(SKIP_2) | instid1(VALU_DEP_3)
	v_dual_ashrrev_i32 v15, 31, v14 :: v_dual_ashrrev_i32 v5, 31, v4
	v_add_nc_u32_e32 v6, s2, v4
	v_lshl_add_u64 v[16:17], v[46:47], 3, v[0:1]
	v_lshl_add_u64 v[14:15], v[14:15], 3, v[0:1]
	s_delay_alu instid0(VALU_DEP_4) | instskip(SKIP_3) | instid1(VALU_DEP_1)
	v_lshl_add_u64 v[4:5], v[4:5], 3, v[0:1]
	s_wait_xcnt 0x0
	v_add_nc_u32_e32 v36, s2, v6
	v_ashrrev_i32_e32 v3, 31, v2
	v_lshl_add_u64 v[2:3], v[2:3], 3, v[0:1]
	s_clause 0x3
	global_store_b64 v[16:17], v[24:25], off
	global_store_b64 v[32:33], v[22:23], off
	;; [unrolled: 1-line block ×4, first 2 shown]
	s_wait_xcnt 0x0
	v_add_nc_u32_e32 v2, s2, v36
	v_lshl_add_u64 v[22:23], v[52:53], 3, v[0:1]
	s_delay_alu instid0(VALU_DEP_2) | instskip(SKIP_2) | instid1(VALU_DEP_3)
	v_dual_ashrrev_i32 v37, 31, v36 :: v_dual_ashrrev_i32 v3, 31, v2
	v_add_nc_u32_e32 v16, s2, v2
	v_ashrrev_i32_e32 v7, 31, v6
	v_lshl_add_u64 v[2:3], v[2:3], 3, v[0:1]
	s_delay_alu instid0(VALU_DEP_3) | instskip(NEXT) | instid1(VALU_DEP_3)
	v_add_nc_u32_e32 v24, s2, v16
	v_lshl_add_u64 v[6:7], v[6:7], 3, v[0:1]
	s_clause 0x3
	global_store_b64 v[14:15], v[12:13], off
	global_store_b64 v[22:23], v[10:11], off
	;; [unrolled: 1-line block ×4, first 2 shown]
	s_wait_xcnt 0x0
	v_lshl_add_u64 v[6:7], v[36:37], 3, v[0:1]
	v_add_nc_u32_e32 v4, s2, v24
	v_ashrrev_i32_e32 v17, 31, v16
	v_ashrrev_i32_e32 v25, 31, v24
	s_delay_alu instid0(VALU_DEP_3) | instskip(NEXT) | instid1(VALU_DEP_3)
	v_ashrrev_i32_e32 v5, 31, v4
	v_lshl_add_u64 v[10:11], v[16:17], 3, v[0:1]
	s_delay_alu instid0(VALU_DEP_3) | instskip(NEXT) | instid1(VALU_DEP_3)
	v_lshl_add_u64 v[12:13], v[24:25], 3, v[0:1]
	v_lshl_add_u64 v[0:1], v[4:5], 3, v[0:1]
	s_clause 0x4
	global_store_b64 v[6:7], v[8:9], off
	global_store_b64 v[2:3], v[26:27], off
	;; [unrolled: 1-line block ×5, first 2 shown]
.LBB44_484:
	s_sendmsg sendmsg(MSG_DEALLOC_VGPRS)
	s_endpgm
	.section	.rodata,"a",@progbits
	.p2align	6, 0x0
	.amdhsa_kernel _ZN9rocsolver6v33100L18getf2_small_kernelILi23E19rocblas_complex_numIfEiiPS3_EEvT1_T3_lS5_lPS5_llPT2_S5_S5_S7_l
		.amdhsa_group_segment_fixed_size 0
		.amdhsa_private_segment_fixed_size 0
		.amdhsa_kernarg_size 352
		.amdhsa_user_sgpr_count 2
		.amdhsa_user_sgpr_dispatch_ptr 0
		.amdhsa_user_sgpr_queue_ptr 0
		.amdhsa_user_sgpr_kernarg_segment_ptr 1
		.amdhsa_user_sgpr_dispatch_id 0
		.amdhsa_user_sgpr_kernarg_preload_length 0
		.amdhsa_user_sgpr_kernarg_preload_offset 0
		.amdhsa_user_sgpr_private_segment_size 0
		.amdhsa_wavefront_size32 1
		.amdhsa_uses_dynamic_stack 0
		.amdhsa_enable_private_segment 0
		.amdhsa_system_sgpr_workgroup_id_x 1
		.amdhsa_system_sgpr_workgroup_id_y 1
		.amdhsa_system_sgpr_workgroup_id_z 0
		.amdhsa_system_sgpr_workgroup_info 0
		.amdhsa_system_vgpr_workitem_id 1
		.amdhsa_next_free_vgpr 80
		.amdhsa_next_free_sgpr 20
		.amdhsa_named_barrier_count 0
		.amdhsa_reserve_vcc 1
		.amdhsa_float_round_mode_32 0
		.amdhsa_float_round_mode_16_64 0
		.amdhsa_float_denorm_mode_32 3
		.amdhsa_float_denorm_mode_16_64 3
		.amdhsa_fp16_overflow 0
		.amdhsa_memory_ordered 1
		.amdhsa_forward_progress 1
		.amdhsa_inst_pref_size 255
		.amdhsa_round_robin_scheduling 0
		.amdhsa_exception_fp_ieee_invalid_op 0
		.amdhsa_exception_fp_denorm_src 0
		.amdhsa_exception_fp_ieee_div_zero 0
		.amdhsa_exception_fp_ieee_overflow 0
		.amdhsa_exception_fp_ieee_underflow 0
		.amdhsa_exception_fp_ieee_inexact 0
		.amdhsa_exception_int_div_zero 0
	.end_amdhsa_kernel
	.section	.text._ZN9rocsolver6v33100L18getf2_small_kernelILi23E19rocblas_complex_numIfEiiPS3_EEvT1_T3_lS5_lPS5_llPT2_S5_S5_S7_l,"axG",@progbits,_ZN9rocsolver6v33100L18getf2_small_kernelILi23E19rocblas_complex_numIfEiiPS3_EEvT1_T3_lS5_lPS5_llPT2_S5_S5_S7_l,comdat
.Lfunc_end44:
	.size	_ZN9rocsolver6v33100L18getf2_small_kernelILi23E19rocblas_complex_numIfEiiPS3_EEvT1_T3_lS5_lPS5_llPT2_S5_S5_S7_l, .Lfunc_end44-_ZN9rocsolver6v33100L18getf2_small_kernelILi23E19rocblas_complex_numIfEiiPS3_EEvT1_T3_lS5_lPS5_llPT2_S5_S5_S7_l
                                        ; -- End function
	.set _ZN9rocsolver6v33100L18getf2_small_kernelILi23E19rocblas_complex_numIfEiiPS3_EEvT1_T3_lS5_lPS5_llPT2_S5_S5_S7_l.num_vgpr, 80
	.set _ZN9rocsolver6v33100L18getf2_small_kernelILi23E19rocblas_complex_numIfEiiPS3_EEvT1_T3_lS5_lPS5_llPT2_S5_S5_S7_l.num_agpr, 0
	.set _ZN9rocsolver6v33100L18getf2_small_kernelILi23E19rocblas_complex_numIfEiiPS3_EEvT1_T3_lS5_lPS5_llPT2_S5_S5_S7_l.numbered_sgpr, 20
	.set _ZN9rocsolver6v33100L18getf2_small_kernelILi23E19rocblas_complex_numIfEiiPS3_EEvT1_T3_lS5_lPS5_llPT2_S5_S5_S7_l.num_named_barrier, 0
	.set _ZN9rocsolver6v33100L18getf2_small_kernelILi23E19rocblas_complex_numIfEiiPS3_EEvT1_T3_lS5_lPS5_llPT2_S5_S5_S7_l.private_seg_size, 0
	.set _ZN9rocsolver6v33100L18getf2_small_kernelILi23E19rocblas_complex_numIfEiiPS3_EEvT1_T3_lS5_lPS5_llPT2_S5_S5_S7_l.uses_vcc, 1
	.set _ZN9rocsolver6v33100L18getf2_small_kernelILi23E19rocblas_complex_numIfEiiPS3_EEvT1_T3_lS5_lPS5_llPT2_S5_S5_S7_l.uses_flat_scratch, 0
	.set _ZN9rocsolver6v33100L18getf2_small_kernelILi23E19rocblas_complex_numIfEiiPS3_EEvT1_T3_lS5_lPS5_llPT2_S5_S5_S7_l.has_dyn_sized_stack, 0
	.set _ZN9rocsolver6v33100L18getf2_small_kernelILi23E19rocblas_complex_numIfEiiPS3_EEvT1_T3_lS5_lPS5_llPT2_S5_S5_S7_l.has_recursion, 0
	.set _ZN9rocsolver6v33100L18getf2_small_kernelILi23E19rocblas_complex_numIfEiiPS3_EEvT1_T3_lS5_lPS5_llPT2_S5_S5_S7_l.has_indirect_call, 0
	.section	.AMDGPU.csdata,"",@progbits
; Kernel info:
; codeLenInByte = 38140
; TotalNumSgprs: 22
; NumVgprs: 80
; ScratchSize: 0
; MemoryBound: 0
; FloatMode: 240
; IeeeMode: 1
; LDSByteSize: 0 bytes/workgroup (compile time only)
; SGPRBlocks: 0
; VGPRBlocks: 4
; NumSGPRsForWavesPerEU: 22
; NumVGPRsForWavesPerEU: 80
; NamedBarCnt: 0
; Occupancy: 12
; WaveLimiterHint : 0
; COMPUTE_PGM_RSRC2:SCRATCH_EN: 0
; COMPUTE_PGM_RSRC2:USER_SGPR: 2
; COMPUTE_PGM_RSRC2:TRAP_HANDLER: 0
; COMPUTE_PGM_RSRC2:TGID_X_EN: 1
; COMPUTE_PGM_RSRC2:TGID_Y_EN: 1
; COMPUTE_PGM_RSRC2:TGID_Z_EN: 0
; COMPUTE_PGM_RSRC2:TIDIG_COMP_CNT: 1
	.section	.text._ZN9rocsolver6v33100L23getf2_npvt_small_kernelILi23E19rocblas_complex_numIfEiiPS3_EEvT1_T3_lS5_lPT2_S5_S5_,"axG",@progbits,_ZN9rocsolver6v33100L23getf2_npvt_small_kernelILi23E19rocblas_complex_numIfEiiPS3_EEvT1_T3_lS5_lPT2_S5_S5_,comdat
	.globl	_ZN9rocsolver6v33100L23getf2_npvt_small_kernelILi23E19rocblas_complex_numIfEiiPS3_EEvT1_T3_lS5_lPT2_S5_S5_ ; -- Begin function _ZN9rocsolver6v33100L23getf2_npvt_small_kernelILi23E19rocblas_complex_numIfEiiPS3_EEvT1_T3_lS5_lPT2_S5_S5_
	.p2align	8
	.type	_ZN9rocsolver6v33100L23getf2_npvt_small_kernelILi23E19rocblas_complex_numIfEiiPS3_EEvT1_T3_lS5_lPT2_S5_S5_,@function
_ZN9rocsolver6v33100L23getf2_npvt_small_kernelILi23E19rocblas_complex_numIfEiiPS3_EEvT1_T3_lS5_lPT2_S5_S5_: ; @_ZN9rocsolver6v33100L23getf2_npvt_small_kernelILi23E19rocblas_complex_numIfEiiPS3_EEvT1_T3_lS5_lPT2_S5_S5_
; %bb.0:
	s_clause 0x1
	s_load_u16 s14, s[0:1], 0x46
	s_load_b64 s[2:3], s[0:1], 0x30
	s_bfe_u32 s4, ttmp6, 0x40010
	s_bfe_u32 s5, ttmp6, 0x40004
	s_add_co_i32 s4, s4, 1
	s_getreg_b32 s6, hwreg(HW_REG_IB_STS2, 6, 4)
	s_mul_i32 s4, ttmp7, s4
	v_bfe_u32 v94, v0, 10, 10
	s_add_co_i32 s5, s5, s4
	s_cmp_eq_u32 s6, 0
	s_cselect_b32 s4, ttmp7, s5
	s_wait_kmcnt 0x0
	v_mad_u32 v2, s4, s14, v94
	s_delay_alu instid0(VALU_DEP_1)
	v_cmp_gt_i32_e32 vcc_lo, s2, v2
	s_and_saveexec_b32 s2, vcc_lo
	s_cbranch_execz .LBB45_210
; %bb.1:
	s_clause 0x1
	s_load_b32 s12, s[0:1], 0x18
	s_load_b128 s[4:7], s[0:1], 0x20
	v_and_b32_e32 v140, 0x3ff, v0
	s_load_b128 s[8:11], s[0:1], 0x8
	s_mulk_i32 s14, 0xb8
	v_mad_u32_u24 v142, 0xb8, v94, 0
	v_ashrrev_i32_e32 v3, 31, v2
	s_wait_xcnt 0x0
	v_cmp_ne_u32_e64 s1, 0, v140
	v_cmp_eq_u32_e64 s0, 0, v140
	v_dual_mov_b32 v11, 0 :: v_dual_lshlrev_b32 v95, 3, v94
	s_delay_alu instid0(VALU_DEP_1) | instskip(SKIP_4) | instid1(VALU_DEP_2)
	v_add3_u32 v141, 0, s14, v95
	s_wait_kmcnt 0x0
	v_add3_u32 v0, s12, s12, v140
	v_mul_u64_e32 v[8:9], s[4:5], v[2:3]
	s_ashr_i32 s13, s12, 31
	v_add_nc_u32_e32 v4, s12, v0
	s_delay_alu instid0(VALU_DEP_1) | instskip(NEXT) | instid1(VALU_DEP_1)
	v_add_nc_u32_e32 v6, s12, v4
	v_add_nc_u32_e32 v12, s12, v6
	s_delay_alu instid0(VALU_DEP_1) | instskip(NEXT) | instid1(VALU_DEP_1)
	v_add_nc_u32_e32 v14, s12, v12
	v_dual_ashrrev_i32 v5, 31, v4 :: v_dual_ashrrev_i32 v15, 31, v14
	v_add_nc_u32_e32 v16, s12, v14
	s_delay_alu instid0(VALU_DEP_1) | instskip(SKIP_1) | instid1(VALU_DEP_2)
	v_dual_ashrrev_i32 v7, 31, v6 :: v_dual_add_nc_u32 v20, s12, v16
	v_lshl_add_u64 v[8:9], v[8:9], 3, s[8:9]
	v_add_nc_u32_e32 v22, s12, v20
	v_lshlrev_b32_e32 v10, 3, v140
	s_delay_alu instid0(VALU_DEP_3) | instskip(NEXT) | instid1(VALU_DEP_3)
	v_lshl_add_u64 v[70:71], s[10:11], 3, v[8:9]
	v_dual_ashrrev_i32 v13, 31, v12 :: v_dual_ashrrev_i32 v23, 31, v22
	v_dual_add_nc_u32 v30, s12, v22 :: v_dual_ashrrev_i32 v1, 31, v0
	s_delay_alu instid0(VALU_DEP_3) | instskip(SKIP_2) | instid1(VALU_DEP_4)
	v_add_nc_u64_e32 v[18:19], v[70:71], v[10:11]
	v_ashrrev_i32_e32 v17, 31, v16
	v_lshl_add_u64 v[10:11], v[6:7], 3, v[70:71]
	v_dual_add_nc_u32 v32, s12, v30 :: v_dual_ashrrev_i32 v31, 31, v30
	v_lshl_add_u64 v[6:7], v[14:15], 3, v[70:71]
	v_lshl_add_u64 v[8:9], v[4:5], 3, v[70:71]
	;; [unrolled: 1-line block ×3, first 2 shown]
	s_delay_alu instid0(VALU_DEP_4)
	v_add_nc_u32_e32 v36, s12, v32
	v_lshl_add_u64 v[12:13], v[16:17], 3, v[70:71]
	v_lshl_add_u64 v[16:17], v[22:23], 3, v[70:71]
	v_lshl_add_u64 v[34:35], s[12:13], 3, v[18:19]
	v_lshl_add_u64 v[0:1], v[0:1], 3, v[70:71]
	v_add_nc_u32_e32 v44, s12, v36
	s_clause 0x7
	global_load_b64 v[28:29], v[10:11], off
	global_load_b64 v[24:25], v[4:5], off
	;; [unrolled: 1-line block ×8, first 2 shown]
	v_add_nc_u32_e32 v50, s12, v44
	s_delay_alu instid0(VALU_DEP_1) | instskip(SKIP_1) | instid1(VALU_DEP_2)
	v_dual_add_nc_u32 v52, s12, v50 :: v_dual_ashrrev_i32 v37, 31, v36
	v_dual_ashrrev_i32 v45, 31, v44 :: v_dual_ashrrev_i32 v51, 31, v50
	v_add_nc_u32_e32 v54, s12, v52
	v_ashrrev_i32_e32 v21, 31, v20
	v_ashrrev_i32_e32 v33, 31, v32
	s_delay_alu instid0(VALU_DEP_4)
	v_lshl_add_u64 v[44:45], v[44:45], 3, v[70:71]
	v_lshl_add_u64 v[50:51], v[50:51], 3, v[70:71]
	v_dual_add_nc_u32 v60, s12, v54 :: v_dual_ashrrev_i32 v55, 31, v54
	v_lshl_add_u64 v[14:15], v[20:21], 3, v[70:71]
	v_lshl_add_u64 v[20:21], v[30:31], 3, v[70:71]
	;; [unrolled: 1-line block ×3, first 2 shown]
	s_delay_alu instid0(VALU_DEP_4)
	v_add_nc_u32_e32 v72, s12, v60
	v_lshl_add_u64 v[32:33], v[36:37], 3, v[70:71]
	v_lshl_add_u64 v[54:55], v[54:55], 3, v[70:71]
	s_clause 0x3
	global_load_b64 v[42:43], v[14:15], off
	global_load_b64 v[38:39], v[16:17], off
	;; [unrolled: 1-line block ×4, first 2 shown]
	v_add_nc_u32_e32 v74, s12, v72
	s_delay_alu instid0(VALU_DEP_1) | instskip(NEXT) | instid1(VALU_DEP_1)
	v_dual_add_nc_u32 v76, s12, v74 :: v_dual_ashrrev_i32 v73, 31, v72
	v_dual_add_nc_u32 v78, s12, v76 :: v_dual_ashrrev_i32 v77, 31, v76
	v_ashrrev_i32_e32 v61, 31, v60
	s_delay_alu instid0(VALU_DEP_3) | instskip(NEXT) | instid1(VALU_DEP_3)
	v_lshl_add_u64 v[72:73], v[72:73], 3, v[70:71]
	v_dual_add_nc_u32 v80, s12, v78 :: v_dual_ashrrev_i32 v53, 31, v52
	v_ashrrev_i32_e32 v75, 31, v74
	v_ashrrev_i32_e32 v79, 31, v78
	v_lshl_add_u64 v[60:61], v[60:61], 3, v[70:71]
	s_delay_alu instid0(VALU_DEP_4)
	v_ashrrev_i32_e32 v81, 31, v80
	v_lshl_add_u64 v[52:53], v[52:53], 3, v[70:71]
	v_lshl_add_u64 v[74:75], v[74:75], 3, v[70:71]
	;; [unrolled: 1-line block ×3, first 2 shown]
	s_clause 0x3
	global_load_b64 v[68:69], v[32:33], off
	global_load_b64 v[64:65], v[44:45], off
	global_load_b64 v[66:67], v[50:51], off
	global_load_b64 v[62:63], v[52:53], off
	v_lshl_add_u64 v[78:79], v[78:79], 3, v[70:71]
	v_lshl_add_u64 v[70:71], v[80:81], 3, v[70:71]
	s_clause 0x6
	global_load_b64 v[84:85], v[54:55], off
	global_load_b64 v[80:81], v[60:61], off
	;; [unrolled: 1-line block ×7, first 2 shown]
	s_wait_xcnt 0x0
	s_and_saveexec_b32 s4, s0
	s_cbranch_execz .LBB45_8
; %bb.2:
	s_wait_loadcnt 0x12
	ds_store_b64 v141, v[56:57]
	s_wait_loadcnt 0x10
	ds_store_2addr_b64 v142, v[58:59], v[48:49] offset0:1 offset1:2
	s_wait_loadcnt 0xf
	ds_store_2addr_b64 v142, v[46:47], v[28:29] offset0:3 offset1:4
	ds_store_2addr_b64 v142, v[24:25], v[26:27] offset0:5 offset1:6
	s_wait_loadcnt 0xe
	ds_store_2addr_b64 v142, v[22:23], v[42:43] offset0:7 offset1:8
	s_wait_loadcnt 0xc
	;; [unrolled: 2-line block ×8, first 2 shown]
	ds_store_2addr_b64 v142, v[86:87], v[92:93] offset0:21 offset1:22
	ds_load_b64 v[94:95], v141
	s_wait_dscnt 0x0
	v_cmp_neq_f32_e32 vcc_lo, 0, v94
	v_cmp_neq_f32_e64 s2, 0, v95
	s_or_b32 s2, vcc_lo, s2
	s_delay_alu instid0(SALU_CYCLE_1)
	s_and_b32 exec_lo, exec_lo, s2
	s_cbranch_execz .LBB45_8
; %bb.3:
	v_cmp_ngt_f32_e64 s2, |v94|, |v95|
                                        ; implicit-def: $vgpr96_vgpr97
	s_and_saveexec_b32 s5, s2
	s_delay_alu instid0(SALU_CYCLE_1)
	s_xor_b32 s2, exec_lo, s5
	s_cbranch_execz .LBB45_5
; %bb.4:
	v_div_scale_f32 v96, null, v95, v95, v94
	v_div_scale_f32 v99, vcc_lo, v94, v95, v94
	s_delay_alu instid0(VALU_DEP_2) | instskip(SKIP_1) | instid1(TRANS32_DEP_1)
	v_rcp_f32_e32 v97, v96
	v_nop
	v_fma_f32 v98, -v96, v97, 1.0
	s_delay_alu instid0(VALU_DEP_1) | instskip(NEXT) | instid1(VALU_DEP_1)
	v_fmac_f32_e32 v97, v98, v97
	v_mul_f32_e32 v98, v99, v97
	s_delay_alu instid0(VALU_DEP_1) | instskip(NEXT) | instid1(VALU_DEP_1)
	v_fma_f32 v100, -v96, v98, v99
	v_fmac_f32_e32 v98, v100, v97
	s_delay_alu instid0(VALU_DEP_1) | instskip(NEXT) | instid1(VALU_DEP_1)
	v_fma_f32 v96, -v96, v98, v99
	v_div_fmas_f32 v96, v96, v97, v98
	s_delay_alu instid0(VALU_DEP_1) | instskip(NEXT) | instid1(VALU_DEP_1)
	v_div_fixup_f32 v96, v96, v95, v94
	v_fmac_f32_e32 v95, v94, v96
	s_delay_alu instid0(VALU_DEP_1) | instskip(SKIP_1) | instid1(VALU_DEP_2)
	v_div_scale_f32 v94, null, v95, v95, 1.0
	v_div_scale_f32 v99, vcc_lo, 1.0, v95, 1.0
	v_rcp_f32_e32 v97, v94
	v_nop
	s_delay_alu instid0(TRANS32_DEP_1) | instskip(NEXT) | instid1(VALU_DEP_1)
	v_fma_f32 v98, -v94, v97, 1.0
	v_fmac_f32_e32 v97, v98, v97
	s_delay_alu instid0(VALU_DEP_1) | instskip(NEXT) | instid1(VALU_DEP_1)
	v_mul_f32_e32 v98, v99, v97
	v_fma_f32 v100, -v94, v98, v99
	s_delay_alu instid0(VALU_DEP_1) | instskip(NEXT) | instid1(VALU_DEP_1)
	v_fmac_f32_e32 v98, v100, v97
	v_fma_f32 v94, -v94, v98, v99
	s_delay_alu instid0(VALU_DEP_1) | instskip(NEXT) | instid1(VALU_DEP_1)
	v_div_fmas_f32 v94, v94, v97, v98
	v_div_fixup_f32 v94, v94, v95, 1.0
	s_delay_alu instid0(VALU_DEP_1)
	v_mul_f32_e32 v96, v96, v94
	v_xor_b32_e32 v97, 0x80000000, v94
                                        ; implicit-def: $vgpr94_vgpr95
.LBB45_5:
	s_and_not1_saveexec_b32 s2, s2
	s_cbranch_execz .LBB45_7
; %bb.6:
	v_div_scale_f32 v96, null, v94, v94, v95
	v_div_scale_f32 v99, vcc_lo, v95, v94, v95
	s_delay_alu instid0(VALU_DEP_2) | instskip(SKIP_1) | instid1(TRANS32_DEP_1)
	v_rcp_f32_e32 v97, v96
	v_nop
	v_fma_f32 v98, -v96, v97, 1.0
	s_delay_alu instid0(VALU_DEP_1) | instskip(NEXT) | instid1(VALU_DEP_1)
	v_fmac_f32_e32 v97, v98, v97
	v_mul_f32_e32 v98, v99, v97
	s_delay_alu instid0(VALU_DEP_1) | instskip(NEXT) | instid1(VALU_DEP_1)
	v_fma_f32 v100, -v96, v98, v99
	v_fmac_f32_e32 v98, v100, v97
	s_delay_alu instid0(VALU_DEP_1) | instskip(NEXT) | instid1(VALU_DEP_1)
	v_fma_f32 v96, -v96, v98, v99
	v_div_fmas_f32 v96, v96, v97, v98
	s_delay_alu instid0(VALU_DEP_1) | instskip(NEXT) | instid1(VALU_DEP_1)
	v_div_fixup_f32 v97, v96, v94, v95
	v_fmac_f32_e32 v94, v95, v97
	s_delay_alu instid0(VALU_DEP_1) | instskip(NEXT) | instid1(VALU_DEP_1)
	v_div_scale_f32 v95, null, v94, v94, 1.0
	v_rcp_f32_e32 v96, v95
	v_nop
	s_delay_alu instid0(TRANS32_DEP_1) | instskip(NEXT) | instid1(VALU_DEP_1)
	v_fma_f32 v98, -v95, v96, 1.0
	v_fmac_f32_e32 v96, v98, v96
	v_div_scale_f32 v98, vcc_lo, 1.0, v94, 1.0
	s_delay_alu instid0(VALU_DEP_1) | instskip(NEXT) | instid1(VALU_DEP_1)
	v_mul_f32_e32 v99, v98, v96
	v_fma_f32 v100, -v95, v99, v98
	s_delay_alu instid0(VALU_DEP_1) | instskip(NEXT) | instid1(VALU_DEP_1)
	v_fmac_f32_e32 v99, v100, v96
	v_fma_f32 v95, -v95, v99, v98
	s_delay_alu instid0(VALU_DEP_1) | instskip(NEXT) | instid1(VALU_DEP_1)
	v_div_fmas_f32 v95, v95, v96, v99
	v_div_fixup_f32 v96, v95, v94, 1.0
	s_delay_alu instid0(VALU_DEP_1)
	v_mul_f32_e64 v97, v97, -v96
.LBB45_7:
	s_or_b32 exec_lo, exec_lo, s2
	ds_store_b64 v141, v[96:97]
.LBB45_8:
	s_or_b32 exec_lo, exec_lo, s4
	s_wait_loadcnt_dscnt 0x0
	s_barrier_signal -1
	s_barrier_wait -1
	ds_load_b64 v[94:95], v141
	s_and_saveexec_b32 s2, s1
	s_cbranch_execz .LBB45_10
; %bb.9:
	ds_load_2addr_b64 v[100:103], v142 offset0:1 offset1:2
	s_wait_dscnt 0x1
	v_pk_mul_f32 v[98:99], v[94:95], v[56:57] op_sel:[1,1] op_sel_hi:[0,1]
	s_delay_alu instid0(VALU_DEP_1) | instskip(SKIP_1) | instid1(VALU_DEP_1)
	v_pk_fma_f32 v[96:97], v[94:95], v[56:57], v[98:99] op_sel_hi:[1,0,1] neg_lo:[0,0,1] neg_hi:[0,0,1]
	v_pk_fma_f32 v[98:99], v[94:95], v[56:57], v[98:99] op_sel_hi:[1,0,1]
	v_dual_mov_b32 v56, v96 :: v_dual_mov_b32 v57, v99
	s_wait_dscnt 0x0
	s_delay_alu instid0(VALU_DEP_2) | instskip(NEXT) | instid1(VALU_DEP_1)
	v_pk_mul_f32 v[104:105], v[100:101], v[98:99] op_sel:[0,1]
	v_pk_fma_f32 v[106:107], v[100:101], v[96:97], v[104:105] op_sel:[0,0,1] op_sel_hi:[1,1,0] neg_lo:[0,0,1] neg_hi:[0,0,1]
	v_pk_fma_f32 v[100:101], v[100:101], v[96:97], v[104:105] op_sel:[0,0,1] op_sel_hi:[1,0,0]
	s_delay_alu instid0(VALU_DEP_1) | instskip(SKIP_1) | instid1(VALU_DEP_1)
	v_mov_b32_e32 v107, v101
	v_pk_mul_f32 v[100:101], v[102:103], v[98:99] op_sel:[0,1]
	v_pk_fma_f32 v[104:105], v[102:103], v[96:97], v[100:101] op_sel:[0,0,1] op_sel_hi:[1,1,0] neg_lo:[0,0,1] neg_hi:[0,0,1]
	v_pk_fma_f32 v[100:101], v[102:103], v[96:97], v[100:101] op_sel:[0,0,1] op_sel_hi:[1,0,0]
	s_delay_alu instid0(VALU_DEP_1)
	v_mov_b32_e32 v105, v101
	ds_load_2addr_b64 v[100:103], v142 offset0:3 offset1:4
	v_pk_add_f32 v[58:59], v[58:59], v[106:107] neg_lo:[0,1] neg_hi:[0,1]
	v_pk_add_f32 v[48:49], v[48:49], v[104:105] neg_lo:[0,1] neg_hi:[0,1]
	s_wait_dscnt 0x0
	v_pk_mul_f32 v[104:105], v[100:101], v[98:99] op_sel:[0,1]
	s_delay_alu instid0(VALU_DEP_1) | instskip(SKIP_2) | instid1(VALU_DEP_2)
	v_pk_fma_f32 v[106:107], v[100:101], v[96:97], v[104:105] op_sel:[0,0,1] op_sel_hi:[1,1,0] neg_lo:[0,0,1] neg_hi:[0,0,1]
	v_pk_fma_f32 v[100:101], v[100:101], v[96:97], v[104:105] op_sel:[0,0,1] op_sel_hi:[1,0,0]
	v_dual_mul_f32 v104, v103, v99 :: v_dual_mov_b32 v100, v103
	v_dual_mov_b32 v107, v101 :: v_dual_mov_b32 v101, v102
	s_delay_alu instid0(VALU_DEP_2) | instskip(SKIP_1) | instid1(VALU_DEP_3)
	v_pk_fma_f32 v[104:105], v[102:103], v[56:57], v[104:105] op_sel_hi:[1,1,0] neg_lo:[0,0,1] neg_hi:[0,0,1]
	v_mul_f32_e32 v102, v103, v96
	v_pk_add_f32 v[46:47], v[46:47], v[106:107] neg_lo:[0,1] neg_hi:[0,1]
	s_delay_alu instid0(VALU_DEP_2) | instskip(NEXT) | instid1(VALU_DEP_1)
	v_pk_fma_f32 v[100:101], v[100:101], v[56:57], v[102:103] op_sel_hi:[1,1,0]
	v_mov_b32_e32 v105, v101
	ds_load_2addr_b64 v[100:103], v142 offset0:5 offset1:6
	v_pk_add_f32 v[28:29], v[28:29], v[104:105] neg_lo:[0,1] neg_hi:[0,1]
	s_wait_dscnt 0x0
	v_pk_mul_f32 v[104:105], v[100:101], v[98:99] op_sel:[0,1]
	s_delay_alu instid0(VALU_DEP_1) | instskip(SKIP_1) | instid1(VALU_DEP_1)
	v_pk_fma_f32 v[106:107], v[100:101], v[96:97], v[104:105] op_sel:[0,0,1] op_sel_hi:[1,1,0] neg_lo:[0,0,1] neg_hi:[0,0,1]
	v_pk_fma_f32 v[100:101], v[100:101], v[96:97], v[104:105] op_sel:[0,0,1] op_sel_hi:[1,0,0]
	v_mov_b32_e32 v107, v101
	v_pk_mul_f32 v[100:101], v[102:103], v[98:99] op_sel:[0,1]
	s_delay_alu instid0(VALU_DEP_1) | instskip(SKIP_1) | instid1(VALU_DEP_1)
	v_pk_fma_f32 v[104:105], v[102:103], v[96:97], v[100:101] op_sel:[0,0,1] op_sel_hi:[1,1,0] neg_lo:[0,0,1] neg_hi:[0,0,1]
	v_pk_fma_f32 v[100:101], v[102:103], v[96:97], v[100:101] op_sel:[0,0,1] op_sel_hi:[1,0,0]
	v_mov_b32_e32 v105, v101
	ds_load_2addr_b64 v[100:103], v142 offset0:7 offset1:8
	v_pk_add_f32 v[24:25], v[24:25], v[106:107] neg_lo:[0,1] neg_hi:[0,1]
	v_pk_add_f32 v[26:27], v[26:27], v[104:105] neg_lo:[0,1] neg_hi:[0,1]
	s_wait_dscnt 0x0
	v_pk_mul_f32 v[104:105], v[100:101], v[98:99] op_sel:[0,1]
	s_delay_alu instid0(VALU_DEP_1) | instskip(SKIP_1) | instid1(VALU_DEP_1)
	v_pk_fma_f32 v[106:107], v[100:101], v[96:97], v[104:105] op_sel:[0,0,1] op_sel_hi:[1,1,0] neg_lo:[0,0,1] neg_hi:[0,0,1]
	v_pk_fma_f32 v[100:101], v[100:101], v[96:97], v[104:105] op_sel:[0,0,1] op_sel_hi:[1,0,0]
	v_mov_b32_e32 v107, v101
	v_pk_mul_f32 v[100:101], v[102:103], v[98:99] op_sel:[0,1]
	s_delay_alu instid0(VALU_DEP_1) | instskip(SKIP_1) | instid1(VALU_DEP_1)
	v_pk_fma_f32 v[104:105], v[102:103], v[96:97], v[100:101] op_sel:[0,0,1] op_sel_hi:[1,1,0] neg_lo:[0,0,1] neg_hi:[0,0,1]
	v_pk_fma_f32 v[100:101], v[102:103], v[96:97], v[100:101] op_sel:[0,0,1] op_sel_hi:[1,0,0]
	v_mov_b32_e32 v105, v101
	ds_load_2addr_b64 v[100:103], v142 offset0:9 offset1:10
	v_pk_add_f32 v[22:23], v[22:23], v[106:107] neg_lo:[0,1] neg_hi:[0,1]
	v_pk_add_f32 v[42:43], v[42:43], v[104:105] neg_lo:[0,1] neg_hi:[0,1]
	s_wait_dscnt 0x0
	v_dual_mul_f32 v104, v101, v99 :: v_dual_mul_f32 v106, v101, v96
	s_delay_alu instid0(VALU_DEP_1) | instskip(NEXT) | instid1(VALU_DEP_2)
	v_pk_fma_f32 v[104:105], v[100:101], v[56:57], v[104:105] op_sel_hi:[1,1,0] neg_lo:[0,0,1] neg_hi:[0,0,1]
	v_pk_fma_f32 v[100:101], v[100:101], v[56:57], v[106:107] op_sel:[1,0,0] op_sel_hi:[0,1,0]
	s_delay_alu instid0(VALU_DEP_1) | instskip(SKIP_1) | instid1(VALU_DEP_2)
	v_mov_b32_e32 v105, v101
	v_pk_mul_f32 v[100:101], v[102:103], v[98:99] op_sel:[0,1]
	v_pk_add_f32 v[38:39], v[38:39], v[104:105] neg_lo:[0,1] neg_hi:[0,1]
	s_delay_alu instid0(VALU_DEP_2) | instskip(SKIP_1) | instid1(VALU_DEP_1)
	v_pk_fma_f32 v[104:105], v[102:103], v[96:97], v[100:101] op_sel:[0,0,1] op_sel_hi:[1,1,0] neg_lo:[0,0,1] neg_hi:[0,0,1]
	v_pk_fma_f32 v[100:101], v[102:103], v[96:97], v[100:101] op_sel:[0,0,1] op_sel_hi:[1,0,0]
	v_mov_b32_e32 v105, v101
	ds_load_2addr_b64 v[100:103], v142 offset0:11 offset1:12
	v_pk_add_f32 v[40:41], v[40:41], v[104:105] neg_lo:[0,1] neg_hi:[0,1]
	s_wait_dscnt 0x0
	v_pk_mul_f32 v[104:105], v[100:101], v[98:99] op_sel:[0,1]
	s_delay_alu instid0(VALU_DEP_1) | instskip(SKIP_1) | instid1(VALU_DEP_1)
	v_pk_fma_f32 v[106:107], v[100:101], v[96:97], v[104:105] op_sel:[0,0,1] op_sel_hi:[1,1,0] neg_lo:[0,0,1] neg_hi:[0,0,1]
	v_pk_fma_f32 v[100:101], v[100:101], v[96:97], v[104:105] op_sel:[0,0,1] op_sel_hi:[1,0,0]
	v_mov_b32_e32 v107, v101
	v_pk_mul_f32 v[100:101], v[102:103], v[98:99] op_sel:[0,1]
	s_delay_alu instid0(VALU_DEP_2) | instskip(NEXT) | instid1(VALU_DEP_2)
	v_pk_add_f32 v[36:37], v[36:37], v[106:107] neg_lo:[0,1] neg_hi:[0,1]
	v_pk_fma_f32 v[104:105], v[102:103], v[96:97], v[100:101] op_sel:[0,0,1] op_sel_hi:[1,1,0] neg_lo:[0,0,1] neg_hi:[0,0,1]
	v_pk_fma_f32 v[100:101], v[102:103], v[96:97], v[100:101] op_sel:[0,0,1] op_sel_hi:[1,0,0]
	s_delay_alu instid0(VALU_DEP_1) | instskip(SKIP_4) | instid1(VALU_DEP_1)
	v_mov_b32_e32 v105, v101
	ds_load_2addr_b64 v[100:103], v142 offset0:13 offset1:14
	v_pk_add_f32 v[68:69], v[68:69], v[104:105] neg_lo:[0,1] neg_hi:[0,1]
	s_wait_dscnt 0x0
	v_pk_mul_f32 v[104:105], v[100:101], v[98:99] op_sel:[0,1]
	v_pk_fma_f32 v[106:107], v[100:101], v[96:97], v[104:105] op_sel:[0,0,1] op_sel_hi:[1,1,0] neg_lo:[0,0,1] neg_hi:[0,0,1]
	v_pk_fma_f32 v[100:101], v[100:101], v[96:97], v[104:105] op_sel:[0,0,1] op_sel_hi:[1,0,0]
	v_dual_mul_f32 v104, v103, v99 :: v_dual_mov_b32 v100, v103
	s_delay_alu instid0(VALU_DEP_2) | instskip(NEXT) | instid1(VALU_DEP_2)
	v_dual_mov_b32 v107, v101 :: v_dual_mov_b32 v101, v102
	v_pk_fma_f32 v[104:105], v[102:103], v[56:57], v[104:105] op_sel_hi:[1,1,0] neg_lo:[0,0,1] neg_hi:[0,0,1]
	v_mul_f32_e32 v102, v103, v96
	s_delay_alu instid0(VALU_DEP_3) | instskip(NEXT) | instid1(VALU_DEP_2)
	v_pk_add_f32 v[64:65], v[64:65], v[106:107] neg_lo:[0,1] neg_hi:[0,1]
	v_pk_fma_f32 v[100:101], v[100:101], v[56:57], v[102:103] op_sel_hi:[1,1,0]
	s_delay_alu instid0(VALU_DEP_1) | instskip(SKIP_4) | instid1(VALU_DEP_1)
	v_mov_b32_e32 v105, v101
	ds_load_2addr_b64 v[100:103], v142 offset0:15 offset1:16
	v_pk_add_f32 v[66:67], v[66:67], v[104:105] neg_lo:[0,1] neg_hi:[0,1]
	s_wait_dscnt 0x0
	v_pk_mul_f32 v[104:105], v[100:101], v[98:99] op_sel:[0,1]
	v_pk_fma_f32 v[106:107], v[100:101], v[96:97], v[104:105] op_sel:[0,0,1] op_sel_hi:[1,1,0] neg_lo:[0,0,1] neg_hi:[0,0,1]
	v_pk_fma_f32 v[100:101], v[100:101], v[96:97], v[104:105] op_sel:[0,0,1] op_sel_hi:[1,0,0]
	s_delay_alu instid0(VALU_DEP_1) | instskip(SKIP_1) | instid1(VALU_DEP_1)
	v_mov_b32_e32 v107, v101
	v_pk_mul_f32 v[100:101], v[102:103], v[98:99] op_sel:[0,1]
	v_pk_fma_f32 v[104:105], v[102:103], v[96:97], v[100:101] op_sel:[0,0,1] op_sel_hi:[1,1,0] neg_lo:[0,0,1] neg_hi:[0,0,1]
	v_pk_fma_f32 v[100:101], v[102:103], v[96:97], v[100:101] op_sel:[0,0,1] op_sel_hi:[1,0,0]
	s_delay_alu instid0(VALU_DEP_1)
	v_mov_b32_e32 v105, v101
	ds_load_2addr_b64 v[100:103], v142 offset0:17 offset1:18
	v_pk_add_f32 v[62:63], v[62:63], v[106:107] neg_lo:[0,1] neg_hi:[0,1]
	v_pk_add_f32 v[84:85], v[84:85], v[104:105] neg_lo:[0,1] neg_hi:[0,1]
	s_wait_dscnt 0x0
	v_pk_mul_f32 v[104:105], v[100:101], v[98:99] op_sel:[0,1]
	s_delay_alu instid0(VALU_DEP_1) | instskip(SKIP_1) | instid1(VALU_DEP_1)
	v_pk_fma_f32 v[106:107], v[100:101], v[96:97], v[104:105] op_sel:[0,0,1] op_sel_hi:[1,1,0] neg_lo:[0,0,1] neg_hi:[0,0,1]
	v_pk_fma_f32 v[100:101], v[100:101], v[96:97], v[104:105] op_sel:[0,0,1] op_sel_hi:[1,0,0]
	v_mov_b32_e32 v107, v101
	v_pk_mul_f32 v[100:101], v[102:103], v[98:99] op_sel:[0,1]
	s_delay_alu instid0(VALU_DEP_1) | instskip(SKIP_1) | instid1(VALU_DEP_1)
	v_pk_fma_f32 v[104:105], v[102:103], v[96:97], v[100:101] op_sel:[0,0,1] op_sel_hi:[1,1,0] neg_lo:[0,0,1] neg_hi:[0,0,1]
	v_pk_fma_f32 v[100:101], v[102:103], v[96:97], v[100:101] op_sel:[0,0,1] op_sel_hi:[1,0,0]
	v_mov_b32_e32 v105, v101
	ds_load_2addr_b64 v[100:103], v142 offset0:19 offset1:20
	v_pk_add_f32 v[80:81], v[80:81], v[106:107] neg_lo:[0,1] neg_hi:[0,1]
	v_pk_add_f32 v[82:83], v[82:83], v[104:105] neg_lo:[0,1] neg_hi:[0,1]
	s_wait_dscnt 0x0
	v_dual_mul_f32 v104, v101, v99 :: v_dual_mul_f32 v106, v101, v96
	s_delay_alu instid0(VALU_DEP_1) | instskip(NEXT) | instid1(VALU_DEP_2)
	v_pk_fma_f32 v[104:105], v[100:101], v[56:57], v[104:105] op_sel_hi:[1,1,0] neg_lo:[0,0,1] neg_hi:[0,0,1]
	v_pk_fma_f32 v[100:101], v[100:101], v[56:57], v[106:107] op_sel:[1,0,0] op_sel_hi:[0,1,0]
	s_delay_alu instid0(VALU_DEP_1) | instskip(SKIP_1) | instid1(VALU_DEP_2)
	v_mov_b32_e32 v105, v101
	v_pk_mul_f32 v[100:101], v[102:103], v[98:99] op_sel:[0,1]
	v_pk_add_f32 v[90:91], v[90:91], v[104:105] neg_lo:[0,1] neg_hi:[0,1]
	s_delay_alu instid0(VALU_DEP_2) | instskip(SKIP_1) | instid1(VALU_DEP_1)
	v_pk_fma_f32 v[104:105], v[102:103], v[96:97], v[100:101] op_sel:[0,0,1] op_sel_hi:[1,1,0] neg_lo:[0,0,1] neg_hi:[0,0,1]
	v_pk_fma_f32 v[100:101], v[102:103], v[96:97], v[100:101] op_sel:[0,0,1] op_sel_hi:[1,0,0]
	v_mov_b32_e32 v105, v101
	ds_load_2addr_b64 v[100:103], v142 offset0:21 offset1:22
	v_pk_add_f32 v[88:89], v[88:89], v[104:105] neg_lo:[0,1] neg_hi:[0,1]
	s_wait_dscnt 0x0
	v_pk_mul_f32 v[104:105], v[100:101], v[98:99] op_sel:[0,1]
	v_pk_mul_f32 v[98:99], v[102:103], v[98:99] op_sel:[0,1]
	s_delay_alu instid0(VALU_DEP_2) | instskip(SKIP_1) | instid1(VALU_DEP_1)
	v_pk_fma_f32 v[106:107], v[100:101], v[96:97], v[104:105] op_sel:[0,0,1] op_sel_hi:[1,1,0] neg_lo:[0,0,1] neg_hi:[0,0,1]
	v_pk_fma_f32 v[100:101], v[100:101], v[96:97], v[104:105] op_sel:[0,0,1] op_sel_hi:[1,0,0]
	v_mov_b32_e32 v107, v101
	s_delay_alu instid0(VALU_DEP_4) | instskip(SKIP_1) | instid1(VALU_DEP_3)
	v_pk_fma_f32 v[100:101], v[102:103], v[96:97], v[98:99] op_sel:[0,0,1] op_sel_hi:[1,1,0] neg_lo:[0,0,1] neg_hi:[0,0,1]
	v_pk_fma_f32 v[96:97], v[102:103], v[96:97], v[98:99] op_sel:[0,0,1] op_sel_hi:[1,0,0]
	v_pk_add_f32 v[86:87], v[86:87], v[106:107] neg_lo:[0,1] neg_hi:[0,1]
	s_delay_alu instid0(VALU_DEP_2) | instskip(NEXT) | instid1(VALU_DEP_1)
	v_mov_b32_e32 v101, v97
	v_pk_add_f32 v[92:93], v[92:93], v[100:101] neg_lo:[0,1] neg_hi:[0,1]
.LBB45_10:
	s_or_b32 exec_lo, exec_lo, s2
	s_delay_alu instid0(SALU_CYCLE_1)
	s_mov_b32 s2, exec_lo
	s_wait_dscnt 0x0
	s_barrier_signal -1
	s_barrier_wait -1
	v_cmpx_eq_u32_e32 1, v140
	s_cbranch_execz .LBB45_17
; %bb.11:
	v_dual_mov_b32 v96, v48 :: v_dual_mov_b32 v97, v49
	v_dual_mov_b32 v98, v46 :: v_dual_mov_b32 v99, v47
	ds_store_b64 v141, v[58:59]
	ds_store_2addr_b64 v142, v[96:97], v[98:99] offset0:2 offset1:3
	v_dual_mov_b32 v96, v28 :: v_dual_mov_b32 v97, v29
	v_dual_mov_b32 v98, v24 :: v_dual_mov_b32 v99, v25
	ds_store_2addr_b64 v142, v[96:97], v[98:99] offset0:4 offset1:5
	v_dual_mov_b32 v96, v26 :: v_dual_mov_b32 v97, v27
	v_dual_mov_b32 v98, v22 :: v_dual_mov_b32 v99, v23
	;; [unrolled: 3-line block ×9, first 2 shown]
	ds_store_2addr_b64 v142, v[96:97], v[98:99] offset0:20 offset1:21
	ds_store_b64 v142, v[92:93] offset:176
	ds_load_b64 v[96:97], v141
	s_wait_dscnt 0x0
	v_cmp_neq_f32_e32 vcc_lo, 0, v96
	v_cmp_neq_f32_e64 s1, 0, v97
	s_or_b32 s1, vcc_lo, s1
	s_delay_alu instid0(SALU_CYCLE_1)
	s_and_b32 exec_lo, exec_lo, s1
	s_cbranch_execz .LBB45_17
; %bb.12:
	v_cmp_ngt_f32_e64 s1, |v96|, |v97|
                                        ; implicit-def: $vgpr98_vgpr99
	s_and_saveexec_b32 s4, s1
	s_delay_alu instid0(SALU_CYCLE_1)
	s_xor_b32 s1, exec_lo, s4
	s_cbranch_execz .LBB45_14
; %bb.13:
	v_div_scale_f32 v98, null, v97, v97, v96
	v_div_scale_f32 v101, vcc_lo, v96, v97, v96
	s_delay_alu instid0(VALU_DEP_2) | instskip(SKIP_1) | instid1(TRANS32_DEP_1)
	v_rcp_f32_e32 v99, v98
	v_nop
	v_fma_f32 v100, -v98, v99, 1.0
	s_delay_alu instid0(VALU_DEP_1) | instskip(NEXT) | instid1(VALU_DEP_1)
	v_fmac_f32_e32 v99, v100, v99
	v_mul_f32_e32 v100, v101, v99
	s_delay_alu instid0(VALU_DEP_1) | instskip(NEXT) | instid1(VALU_DEP_1)
	v_fma_f32 v102, -v98, v100, v101
	v_fmac_f32_e32 v100, v102, v99
	s_delay_alu instid0(VALU_DEP_1) | instskip(NEXT) | instid1(VALU_DEP_1)
	v_fma_f32 v98, -v98, v100, v101
	v_div_fmas_f32 v98, v98, v99, v100
	s_delay_alu instid0(VALU_DEP_1) | instskip(NEXT) | instid1(VALU_DEP_1)
	v_div_fixup_f32 v98, v98, v97, v96
	v_fmac_f32_e32 v97, v96, v98
	s_delay_alu instid0(VALU_DEP_1) | instskip(SKIP_1) | instid1(VALU_DEP_2)
	v_div_scale_f32 v96, null, v97, v97, 1.0
	v_div_scale_f32 v101, vcc_lo, 1.0, v97, 1.0
	v_rcp_f32_e32 v99, v96
	v_nop
	s_delay_alu instid0(TRANS32_DEP_1) | instskip(NEXT) | instid1(VALU_DEP_1)
	v_fma_f32 v100, -v96, v99, 1.0
	v_fmac_f32_e32 v99, v100, v99
	s_delay_alu instid0(VALU_DEP_1) | instskip(NEXT) | instid1(VALU_DEP_1)
	v_mul_f32_e32 v100, v101, v99
	v_fma_f32 v102, -v96, v100, v101
	s_delay_alu instid0(VALU_DEP_1) | instskip(NEXT) | instid1(VALU_DEP_1)
	v_fmac_f32_e32 v100, v102, v99
	v_fma_f32 v96, -v96, v100, v101
	s_delay_alu instid0(VALU_DEP_1) | instskip(NEXT) | instid1(VALU_DEP_1)
	v_div_fmas_f32 v96, v96, v99, v100
	v_div_fixup_f32 v96, v96, v97, 1.0
	s_delay_alu instid0(VALU_DEP_1)
	v_mul_f32_e32 v98, v98, v96
	v_xor_b32_e32 v99, 0x80000000, v96
                                        ; implicit-def: $vgpr96_vgpr97
.LBB45_14:
	s_and_not1_saveexec_b32 s1, s1
	s_cbranch_execz .LBB45_16
; %bb.15:
	v_div_scale_f32 v98, null, v96, v96, v97
	v_div_scale_f32 v101, vcc_lo, v97, v96, v97
	s_delay_alu instid0(VALU_DEP_2) | instskip(SKIP_1) | instid1(TRANS32_DEP_1)
	v_rcp_f32_e32 v99, v98
	v_nop
	v_fma_f32 v100, -v98, v99, 1.0
	s_delay_alu instid0(VALU_DEP_1) | instskip(NEXT) | instid1(VALU_DEP_1)
	v_fmac_f32_e32 v99, v100, v99
	v_mul_f32_e32 v100, v101, v99
	s_delay_alu instid0(VALU_DEP_1) | instskip(NEXT) | instid1(VALU_DEP_1)
	v_fma_f32 v102, -v98, v100, v101
	v_fmac_f32_e32 v100, v102, v99
	s_delay_alu instid0(VALU_DEP_1) | instskip(NEXT) | instid1(VALU_DEP_1)
	v_fma_f32 v98, -v98, v100, v101
	v_div_fmas_f32 v98, v98, v99, v100
	s_delay_alu instid0(VALU_DEP_1) | instskip(NEXT) | instid1(VALU_DEP_1)
	v_div_fixup_f32 v99, v98, v96, v97
	v_fmac_f32_e32 v96, v97, v99
	s_delay_alu instid0(VALU_DEP_1) | instskip(NEXT) | instid1(VALU_DEP_1)
	v_div_scale_f32 v97, null, v96, v96, 1.0
	v_rcp_f32_e32 v98, v97
	v_nop
	s_delay_alu instid0(TRANS32_DEP_1) | instskip(NEXT) | instid1(VALU_DEP_1)
	v_fma_f32 v100, -v97, v98, 1.0
	v_fmac_f32_e32 v98, v100, v98
	v_div_scale_f32 v100, vcc_lo, 1.0, v96, 1.0
	s_delay_alu instid0(VALU_DEP_1) | instskip(NEXT) | instid1(VALU_DEP_1)
	v_mul_f32_e32 v101, v100, v98
	v_fma_f32 v102, -v97, v101, v100
	s_delay_alu instid0(VALU_DEP_1) | instskip(NEXT) | instid1(VALU_DEP_1)
	v_fmac_f32_e32 v101, v102, v98
	v_fma_f32 v97, -v97, v101, v100
	s_delay_alu instid0(VALU_DEP_1) | instskip(NEXT) | instid1(VALU_DEP_1)
	v_div_fmas_f32 v97, v97, v98, v101
	v_div_fixup_f32 v98, v97, v96, 1.0
	s_delay_alu instid0(VALU_DEP_1)
	v_mul_f32_e64 v99, v99, -v98
.LBB45_16:
	s_or_b32 exec_lo, exec_lo, s1
	ds_store_b64 v141, v[98:99]
.LBB45_17:
	s_or_b32 exec_lo, exec_lo, s2
	s_wait_dscnt 0x0
	s_barrier_signal -1
	s_barrier_wait -1
	ds_load_b64 v[96:97], v141
	s_mov_b32 s1, exec_lo
	v_cmpx_lt_u32_e32 1, v140
	s_cbranch_execz .LBB45_19
; %bb.18:
	ds_load_2addr_b64 v[102:105], v142 offset0:2 offset1:3
	s_wait_dscnt 0x1
	v_pk_mul_f32 v[100:101], v[96:97], v[58:59] op_sel:[1,1] op_sel_hi:[0,1]
	s_delay_alu instid0(VALU_DEP_1) | instskip(SKIP_1) | instid1(VALU_DEP_1)
	v_pk_fma_f32 v[98:99], v[96:97], v[58:59], v[100:101] op_sel_hi:[1,0,1] neg_lo:[0,0,1] neg_hi:[0,0,1]
	v_pk_fma_f32 v[100:101], v[96:97], v[58:59], v[100:101] op_sel_hi:[1,0,1]
	v_dual_mov_b32 v58, v98 :: v_dual_mov_b32 v59, v101
	s_wait_dscnt 0x0
	s_delay_alu instid0(VALU_DEP_2) | instskip(NEXT) | instid1(VALU_DEP_1)
	v_pk_mul_f32 v[106:107], v[102:103], v[100:101] op_sel:[0,1]
	v_pk_fma_f32 v[108:109], v[102:103], v[98:99], v[106:107] op_sel:[0,0,1] op_sel_hi:[1,1,0] neg_lo:[0,0,1] neg_hi:[0,0,1]
	v_pk_fma_f32 v[102:103], v[102:103], v[98:99], v[106:107] op_sel:[0,0,1] op_sel_hi:[1,0,0]
	s_delay_alu instid0(VALU_DEP_1) | instskip(SKIP_1) | instid1(VALU_DEP_1)
	v_mov_b32_e32 v109, v103
	v_pk_mul_f32 v[102:103], v[104:105], v[100:101] op_sel:[0,1]
	v_pk_fma_f32 v[106:107], v[104:105], v[98:99], v[102:103] op_sel:[0,0,1] op_sel_hi:[1,1,0] neg_lo:[0,0,1] neg_hi:[0,0,1]
	v_pk_fma_f32 v[102:103], v[104:105], v[98:99], v[102:103] op_sel:[0,0,1] op_sel_hi:[1,0,0]
	s_delay_alu instid0(VALU_DEP_1)
	v_mov_b32_e32 v107, v103
	ds_load_2addr_b64 v[102:105], v142 offset0:4 offset1:5
	v_pk_add_f32 v[48:49], v[48:49], v[108:109] neg_lo:[0,1] neg_hi:[0,1]
	v_pk_add_f32 v[46:47], v[46:47], v[106:107] neg_lo:[0,1] neg_hi:[0,1]
	s_wait_dscnt 0x0
	v_pk_mul_f32 v[106:107], v[102:103], v[100:101] op_sel:[0,1]
	s_delay_alu instid0(VALU_DEP_1) | instskip(SKIP_2) | instid1(VALU_DEP_2)
	v_pk_fma_f32 v[108:109], v[102:103], v[98:99], v[106:107] op_sel:[0,0,1] op_sel_hi:[1,1,0] neg_lo:[0,0,1] neg_hi:[0,0,1]
	v_pk_fma_f32 v[102:103], v[102:103], v[98:99], v[106:107] op_sel:[0,0,1] op_sel_hi:[1,0,0]
	v_dual_mul_f32 v106, v105, v101 :: v_dual_mov_b32 v102, v105
	v_dual_mov_b32 v109, v103 :: v_dual_mov_b32 v103, v104
	s_delay_alu instid0(VALU_DEP_2) | instskip(SKIP_1) | instid1(VALU_DEP_3)
	v_pk_fma_f32 v[106:107], v[104:105], v[58:59], v[106:107] op_sel_hi:[1,1,0] neg_lo:[0,0,1] neg_hi:[0,0,1]
	v_mul_f32_e32 v104, v105, v98
	v_pk_add_f32 v[28:29], v[28:29], v[108:109] neg_lo:[0,1] neg_hi:[0,1]
	s_delay_alu instid0(VALU_DEP_2) | instskip(NEXT) | instid1(VALU_DEP_1)
	v_pk_fma_f32 v[102:103], v[102:103], v[58:59], v[104:105] op_sel_hi:[1,1,0]
	v_mov_b32_e32 v107, v103
	ds_load_2addr_b64 v[102:105], v142 offset0:6 offset1:7
	v_pk_add_f32 v[24:25], v[24:25], v[106:107] neg_lo:[0,1] neg_hi:[0,1]
	s_wait_dscnt 0x0
	v_pk_mul_f32 v[106:107], v[102:103], v[100:101] op_sel:[0,1]
	s_delay_alu instid0(VALU_DEP_1) | instskip(SKIP_1) | instid1(VALU_DEP_1)
	v_pk_fma_f32 v[108:109], v[102:103], v[98:99], v[106:107] op_sel:[0,0,1] op_sel_hi:[1,1,0] neg_lo:[0,0,1] neg_hi:[0,0,1]
	v_pk_fma_f32 v[102:103], v[102:103], v[98:99], v[106:107] op_sel:[0,0,1] op_sel_hi:[1,0,0]
	v_mov_b32_e32 v109, v103
	v_pk_mul_f32 v[102:103], v[104:105], v[100:101] op_sel:[0,1]
	s_delay_alu instid0(VALU_DEP_1) | instskip(SKIP_1) | instid1(VALU_DEP_1)
	v_pk_fma_f32 v[106:107], v[104:105], v[98:99], v[102:103] op_sel:[0,0,1] op_sel_hi:[1,1,0] neg_lo:[0,0,1] neg_hi:[0,0,1]
	v_pk_fma_f32 v[102:103], v[104:105], v[98:99], v[102:103] op_sel:[0,0,1] op_sel_hi:[1,0,0]
	v_mov_b32_e32 v107, v103
	ds_load_2addr_b64 v[102:105], v142 offset0:8 offset1:9
	v_pk_add_f32 v[26:27], v[26:27], v[108:109] neg_lo:[0,1] neg_hi:[0,1]
	v_pk_add_f32 v[22:23], v[22:23], v[106:107] neg_lo:[0,1] neg_hi:[0,1]
	s_wait_dscnt 0x0
	v_pk_mul_f32 v[106:107], v[102:103], v[100:101] op_sel:[0,1]
	s_delay_alu instid0(VALU_DEP_1) | instskip(SKIP_1) | instid1(VALU_DEP_1)
	v_pk_fma_f32 v[108:109], v[102:103], v[98:99], v[106:107] op_sel:[0,0,1] op_sel_hi:[1,1,0] neg_lo:[0,0,1] neg_hi:[0,0,1]
	v_pk_fma_f32 v[102:103], v[102:103], v[98:99], v[106:107] op_sel:[0,0,1] op_sel_hi:[1,0,0]
	v_mov_b32_e32 v109, v103
	v_pk_mul_f32 v[102:103], v[104:105], v[100:101] op_sel:[0,1]
	s_delay_alu instid0(VALU_DEP_1) | instskip(SKIP_1) | instid1(VALU_DEP_1)
	v_pk_fma_f32 v[106:107], v[104:105], v[98:99], v[102:103] op_sel:[0,0,1] op_sel_hi:[1,1,0] neg_lo:[0,0,1] neg_hi:[0,0,1]
	v_pk_fma_f32 v[102:103], v[104:105], v[98:99], v[102:103] op_sel:[0,0,1] op_sel_hi:[1,0,0]
	v_mov_b32_e32 v107, v103
	ds_load_2addr_b64 v[102:105], v142 offset0:10 offset1:11
	v_pk_add_f32 v[42:43], v[42:43], v[108:109] neg_lo:[0,1] neg_hi:[0,1]
	v_pk_add_f32 v[38:39], v[38:39], v[106:107] neg_lo:[0,1] neg_hi:[0,1]
	s_wait_dscnt 0x0
	v_dual_mul_f32 v106, v103, v101 :: v_dual_mul_f32 v108, v103, v98
	s_delay_alu instid0(VALU_DEP_1) | instskip(NEXT) | instid1(VALU_DEP_2)
	v_pk_fma_f32 v[106:107], v[102:103], v[58:59], v[106:107] op_sel_hi:[1,1,0] neg_lo:[0,0,1] neg_hi:[0,0,1]
	v_pk_fma_f32 v[102:103], v[102:103], v[58:59], v[108:109] op_sel:[1,0,0] op_sel_hi:[0,1,0]
	s_delay_alu instid0(VALU_DEP_1) | instskip(SKIP_1) | instid1(VALU_DEP_2)
	v_mov_b32_e32 v107, v103
	v_pk_mul_f32 v[102:103], v[104:105], v[100:101] op_sel:[0,1]
	v_pk_add_f32 v[40:41], v[40:41], v[106:107] neg_lo:[0,1] neg_hi:[0,1]
	s_delay_alu instid0(VALU_DEP_2) | instskip(SKIP_1) | instid1(VALU_DEP_1)
	v_pk_fma_f32 v[106:107], v[104:105], v[98:99], v[102:103] op_sel:[0,0,1] op_sel_hi:[1,1,0] neg_lo:[0,0,1] neg_hi:[0,0,1]
	v_pk_fma_f32 v[102:103], v[104:105], v[98:99], v[102:103] op_sel:[0,0,1] op_sel_hi:[1,0,0]
	v_mov_b32_e32 v107, v103
	ds_load_2addr_b64 v[102:105], v142 offset0:12 offset1:13
	v_pk_add_f32 v[36:37], v[36:37], v[106:107] neg_lo:[0,1] neg_hi:[0,1]
	s_wait_dscnt 0x0
	v_pk_mul_f32 v[106:107], v[102:103], v[100:101] op_sel:[0,1]
	s_delay_alu instid0(VALU_DEP_1) | instskip(SKIP_1) | instid1(VALU_DEP_1)
	v_pk_fma_f32 v[108:109], v[102:103], v[98:99], v[106:107] op_sel:[0,0,1] op_sel_hi:[1,1,0] neg_lo:[0,0,1] neg_hi:[0,0,1]
	v_pk_fma_f32 v[102:103], v[102:103], v[98:99], v[106:107] op_sel:[0,0,1] op_sel_hi:[1,0,0]
	v_mov_b32_e32 v109, v103
	v_pk_mul_f32 v[102:103], v[104:105], v[100:101] op_sel:[0,1]
	s_delay_alu instid0(VALU_DEP_2) | instskip(NEXT) | instid1(VALU_DEP_2)
	v_pk_add_f32 v[68:69], v[68:69], v[108:109] neg_lo:[0,1] neg_hi:[0,1]
	v_pk_fma_f32 v[106:107], v[104:105], v[98:99], v[102:103] op_sel:[0,0,1] op_sel_hi:[1,1,0] neg_lo:[0,0,1] neg_hi:[0,0,1]
	v_pk_fma_f32 v[102:103], v[104:105], v[98:99], v[102:103] op_sel:[0,0,1] op_sel_hi:[1,0,0]
	s_delay_alu instid0(VALU_DEP_1) | instskip(SKIP_4) | instid1(VALU_DEP_1)
	v_mov_b32_e32 v107, v103
	ds_load_2addr_b64 v[102:105], v142 offset0:14 offset1:15
	v_pk_add_f32 v[64:65], v[64:65], v[106:107] neg_lo:[0,1] neg_hi:[0,1]
	s_wait_dscnt 0x0
	v_pk_mul_f32 v[106:107], v[102:103], v[100:101] op_sel:[0,1]
	v_pk_fma_f32 v[108:109], v[102:103], v[98:99], v[106:107] op_sel:[0,0,1] op_sel_hi:[1,1,0] neg_lo:[0,0,1] neg_hi:[0,0,1]
	v_pk_fma_f32 v[102:103], v[102:103], v[98:99], v[106:107] op_sel:[0,0,1] op_sel_hi:[1,0,0]
	v_dual_mul_f32 v106, v105, v101 :: v_dual_mov_b32 v102, v105
	s_delay_alu instid0(VALU_DEP_2) | instskip(NEXT) | instid1(VALU_DEP_2)
	v_dual_mov_b32 v109, v103 :: v_dual_mov_b32 v103, v104
	v_pk_fma_f32 v[106:107], v[104:105], v[58:59], v[106:107] op_sel_hi:[1,1,0] neg_lo:[0,0,1] neg_hi:[0,0,1]
	v_mul_f32_e32 v104, v105, v98
	s_delay_alu instid0(VALU_DEP_3) | instskip(NEXT) | instid1(VALU_DEP_2)
	v_pk_add_f32 v[66:67], v[66:67], v[108:109] neg_lo:[0,1] neg_hi:[0,1]
	v_pk_fma_f32 v[102:103], v[102:103], v[58:59], v[104:105] op_sel_hi:[1,1,0]
	s_delay_alu instid0(VALU_DEP_1) | instskip(SKIP_4) | instid1(VALU_DEP_1)
	v_mov_b32_e32 v107, v103
	ds_load_2addr_b64 v[102:105], v142 offset0:16 offset1:17
	v_pk_add_f32 v[62:63], v[62:63], v[106:107] neg_lo:[0,1] neg_hi:[0,1]
	s_wait_dscnt 0x0
	v_pk_mul_f32 v[106:107], v[102:103], v[100:101] op_sel:[0,1]
	v_pk_fma_f32 v[108:109], v[102:103], v[98:99], v[106:107] op_sel:[0,0,1] op_sel_hi:[1,1,0] neg_lo:[0,0,1] neg_hi:[0,0,1]
	v_pk_fma_f32 v[102:103], v[102:103], v[98:99], v[106:107] op_sel:[0,0,1] op_sel_hi:[1,0,0]
	s_delay_alu instid0(VALU_DEP_1) | instskip(SKIP_1) | instid1(VALU_DEP_1)
	v_mov_b32_e32 v109, v103
	v_pk_mul_f32 v[102:103], v[104:105], v[100:101] op_sel:[0,1]
	v_pk_fma_f32 v[106:107], v[104:105], v[98:99], v[102:103] op_sel:[0,0,1] op_sel_hi:[1,1,0] neg_lo:[0,0,1] neg_hi:[0,0,1]
	v_pk_fma_f32 v[102:103], v[104:105], v[98:99], v[102:103] op_sel:[0,0,1] op_sel_hi:[1,0,0]
	s_delay_alu instid0(VALU_DEP_1)
	v_mov_b32_e32 v107, v103
	ds_load_2addr_b64 v[102:105], v142 offset0:18 offset1:19
	v_pk_add_f32 v[84:85], v[84:85], v[108:109] neg_lo:[0,1] neg_hi:[0,1]
	v_pk_add_f32 v[80:81], v[80:81], v[106:107] neg_lo:[0,1] neg_hi:[0,1]
	s_wait_dscnt 0x0
	v_pk_mul_f32 v[106:107], v[102:103], v[100:101] op_sel:[0,1]
	s_delay_alu instid0(VALU_DEP_1) | instskip(SKIP_1) | instid1(VALU_DEP_1)
	v_pk_fma_f32 v[108:109], v[102:103], v[98:99], v[106:107] op_sel:[0,0,1] op_sel_hi:[1,1,0] neg_lo:[0,0,1] neg_hi:[0,0,1]
	v_pk_fma_f32 v[102:103], v[102:103], v[98:99], v[106:107] op_sel:[0,0,1] op_sel_hi:[1,0,0]
	v_mov_b32_e32 v109, v103
	v_pk_mul_f32 v[102:103], v[104:105], v[100:101] op_sel:[0,1]
	s_delay_alu instid0(VALU_DEP_1) | instskip(SKIP_1) | instid1(VALU_DEP_1)
	v_pk_fma_f32 v[106:107], v[104:105], v[98:99], v[102:103] op_sel:[0,0,1] op_sel_hi:[1,1,0] neg_lo:[0,0,1] neg_hi:[0,0,1]
	v_pk_fma_f32 v[102:103], v[104:105], v[98:99], v[102:103] op_sel:[0,0,1] op_sel_hi:[1,0,0]
	v_mov_b32_e32 v107, v103
	ds_load_2addr_b64 v[102:105], v142 offset0:20 offset1:21
	v_pk_add_f32 v[82:83], v[82:83], v[108:109] neg_lo:[0,1] neg_hi:[0,1]
	v_pk_add_f32 v[90:91], v[90:91], v[106:107] neg_lo:[0,1] neg_hi:[0,1]
	s_wait_dscnt 0x0
	v_dual_mul_f32 v106, v103, v101 :: v_dual_mul_f32 v108, v103, v98
	s_delay_alu instid0(VALU_DEP_1) | instskip(NEXT) | instid1(VALU_DEP_2)
	v_pk_fma_f32 v[106:107], v[102:103], v[58:59], v[106:107] op_sel_hi:[1,1,0] neg_lo:[0,0,1] neg_hi:[0,0,1]
	v_pk_fma_f32 v[102:103], v[102:103], v[58:59], v[108:109] op_sel:[1,0,0] op_sel_hi:[0,1,0]
	s_delay_alu instid0(VALU_DEP_1) | instskip(SKIP_1) | instid1(VALU_DEP_2)
	v_mov_b32_e32 v107, v103
	v_pk_mul_f32 v[102:103], v[104:105], v[100:101] op_sel:[0,1]
	v_pk_add_f32 v[88:89], v[88:89], v[106:107] neg_lo:[0,1] neg_hi:[0,1]
	s_delay_alu instid0(VALU_DEP_2) | instskip(SKIP_1) | instid1(VALU_DEP_1)
	v_pk_fma_f32 v[106:107], v[104:105], v[98:99], v[102:103] op_sel:[0,0,1] op_sel_hi:[1,1,0] neg_lo:[0,0,1] neg_hi:[0,0,1]
	v_pk_fma_f32 v[102:103], v[104:105], v[98:99], v[102:103] op_sel:[0,0,1] op_sel_hi:[1,0,0]
	v_mov_b32_e32 v107, v103
	ds_load_b64 v[102:103], v142 offset:176
	v_pk_add_f32 v[86:87], v[86:87], v[106:107] neg_lo:[0,1] neg_hi:[0,1]
	s_wait_dscnt 0x0
	v_pk_mul_f32 v[100:101], v[102:103], v[100:101] op_sel:[0,1]
	s_delay_alu instid0(VALU_DEP_1) | instskip(SKIP_1) | instid1(VALU_DEP_1)
	v_pk_fma_f32 v[104:105], v[102:103], v[98:99], v[100:101] op_sel:[0,0,1] op_sel_hi:[1,1,0] neg_lo:[0,0,1] neg_hi:[0,0,1]
	v_pk_fma_f32 v[98:99], v[102:103], v[98:99], v[100:101] op_sel:[0,0,1] op_sel_hi:[1,0,0]
	v_mov_b32_e32 v105, v99
	s_delay_alu instid0(VALU_DEP_1)
	v_pk_add_f32 v[92:93], v[92:93], v[104:105] neg_lo:[0,1] neg_hi:[0,1]
.LBB45_19:
	s_or_b32 exec_lo, exec_lo, s1
	s_delay_alu instid0(SALU_CYCLE_1)
	s_mov_b32 s2, exec_lo
	s_wait_dscnt 0x0
	s_barrier_signal -1
	s_barrier_wait -1
	v_cmpx_eq_u32_e32 2, v140
	s_cbranch_execz .LBB45_26
; %bb.20:
	ds_store_b64 v141, v[48:49]
	ds_store_2addr_b64 v142, v[46:47], v[28:29] offset0:3 offset1:4
	ds_store_2addr_b64 v142, v[24:25], v[26:27] offset0:5 offset1:6
	;; [unrolled: 1-line block ×10, first 2 shown]
	ds_load_b64 v[98:99], v141
	s_wait_dscnt 0x0
	v_cmp_neq_f32_e32 vcc_lo, 0, v98
	v_cmp_neq_f32_e64 s1, 0, v99
	s_or_b32 s1, vcc_lo, s1
	s_delay_alu instid0(SALU_CYCLE_1)
	s_and_b32 exec_lo, exec_lo, s1
	s_cbranch_execz .LBB45_26
; %bb.21:
	v_cmp_ngt_f32_e64 s1, |v98|, |v99|
                                        ; implicit-def: $vgpr100_vgpr101
	s_and_saveexec_b32 s4, s1
	s_delay_alu instid0(SALU_CYCLE_1)
	s_xor_b32 s1, exec_lo, s4
	s_cbranch_execz .LBB45_23
; %bb.22:
	v_div_scale_f32 v100, null, v99, v99, v98
	v_div_scale_f32 v103, vcc_lo, v98, v99, v98
	s_delay_alu instid0(VALU_DEP_2) | instskip(SKIP_1) | instid1(TRANS32_DEP_1)
	v_rcp_f32_e32 v101, v100
	v_nop
	v_fma_f32 v102, -v100, v101, 1.0
	s_delay_alu instid0(VALU_DEP_1) | instskip(NEXT) | instid1(VALU_DEP_1)
	v_fmac_f32_e32 v101, v102, v101
	v_mul_f32_e32 v102, v103, v101
	s_delay_alu instid0(VALU_DEP_1) | instskip(NEXT) | instid1(VALU_DEP_1)
	v_fma_f32 v104, -v100, v102, v103
	v_fmac_f32_e32 v102, v104, v101
	s_delay_alu instid0(VALU_DEP_1) | instskip(NEXT) | instid1(VALU_DEP_1)
	v_fma_f32 v100, -v100, v102, v103
	v_div_fmas_f32 v100, v100, v101, v102
	s_delay_alu instid0(VALU_DEP_1) | instskip(NEXT) | instid1(VALU_DEP_1)
	v_div_fixup_f32 v100, v100, v99, v98
	v_fmac_f32_e32 v99, v98, v100
	s_delay_alu instid0(VALU_DEP_1) | instskip(SKIP_1) | instid1(VALU_DEP_2)
	v_div_scale_f32 v98, null, v99, v99, 1.0
	v_div_scale_f32 v103, vcc_lo, 1.0, v99, 1.0
	v_rcp_f32_e32 v101, v98
	v_nop
	s_delay_alu instid0(TRANS32_DEP_1) | instskip(NEXT) | instid1(VALU_DEP_1)
	v_fma_f32 v102, -v98, v101, 1.0
	v_fmac_f32_e32 v101, v102, v101
	s_delay_alu instid0(VALU_DEP_1) | instskip(NEXT) | instid1(VALU_DEP_1)
	v_mul_f32_e32 v102, v103, v101
	v_fma_f32 v104, -v98, v102, v103
	s_delay_alu instid0(VALU_DEP_1) | instskip(NEXT) | instid1(VALU_DEP_1)
	v_fmac_f32_e32 v102, v104, v101
	v_fma_f32 v98, -v98, v102, v103
	s_delay_alu instid0(VALU_DEP_1) | instskip(NEXT) | instid1(VALU_DEP_1)
	v_div_fmas_f32 v98, v98, v101, v102
	v_div_fixup_f32 v98, v98, v99, 1.0
	s_delay_alu instid0(VALU_DEP_1)
	v_mul_f32_e32 v100, v100, v98
	v_xor_b32_e32 v101, 0x80000000, v98
                                        ; implicit-def: $vgpr98_vgpr99
.LBB45_23:
	s_and_not1_saveexec_b32 s1, s1
	s_cbranch_execz .LBB45_25
; %bb.24:
	v_div_scale_f32 v100, null, v98, v98, v99
	v_div_scale_f32 v103, vcc_lo, v99, v98, v99
	s_delay_alu instid0(VALU_DEP_2) | instskip(SKIP_1) | instid1(TRANS32_DEP_1)
	v_rcp_f32_e32 v101, v100
	v_nop
	v_fma_f32 v102, -v100, v101, 1.0
	s_delay_alu instid0(VALU_DEP_1) | instskip(NEXT) | instid1(VALU_DEP_1)
	v_fmac_f32_e32 v101, v102, v101
	v_mul_f32_e32 v102, v103, v101
	s_delay_alu instid0(VALU_DEP_1) | instskip(NEXT) | instid1(VALU_DEP_1)
	v_fma_f32 v104, -v100, v102, v103
	v_fmac_f32_e32 v102, v104, v101
	s_delay_alu instid0(VALU_DEP_1) | instskip(NEXT) | instid1(VALU_DEP_1)
	v_fma_f32 v100, -v100, v102, v103
	v_div_fmas_f32 v100, v100, v101, v102
	s_delay_alu instid0(VALU_DEP_1) | instskip(NEXT) | instid1(VALU_DEP_1)
	v_div_fixup_f32 v101, v100, v98, v99
	v_fmac_f32_e32 v98, v99, v101
	s_delay_alu instid0(VALU_DEP_1) | instskip(NEXT) | instid1(VALU_DEP_1)
	v_div_scale_f32 v99, null, v98, v98, 1.0
	v_rcp_f32_e32 v100, v99
	v_nop
	s_delay_alu instid0(TRANS32_DEP_1) | instskip(NEXT) | instid1(VALU_DEP_1)
	v_fma_f32 v102, -v99, v100, 1.0
	v_fmac_f32_e32 v100, v102, v100
	v_div_scale_f32 v102, vcc_lo, 1.0, v98, 1.0
	s_delay_alu instid0(VALU_DEP_1) | instskip(NEXT) | instid1(VALU_DEP_1)
	v_mul_f32_e32 v103, v102, v100
	v_fma_f32 v104, -v99, v103, v102
	s_delay_alu instid0(VALU_DEP_1) | instskip(NEXT) | instid1(VALU_DEP_1)
	v_fmac_f32_e32 v103, v104, v100
	v_fma_f32 v99, -v99, v103, v102
	s_delay_alu instid0(VALU_DEP_1) | instskip(NEXT) | instid1(VALU_DEP_1)
	v_div_fmas_f32 v99, v99, v100, v103
	v_div_fixup_f32 v100, v99, v98, 1.0
	s_delay_alu instid0(VALU_DEP_1)
	v_mul_f32_e64 v101, v101, -v100
.LBB45_25:
	s_or_b32 exec_lo, exec_lo, s1
	ds_store_b64 v141, v[100:101]
.LBB45_26:
	s_or_b32 exec_lo, exec_lo, s2
	s_wait_dscnt 0x0
	s_barrier_signal -1
	s_barrier_wait -1
	ds_load_b64 v[98:99], v141
	s_mov_b32 s1, exec_lo
	v_cmpx_lt_u32_e32 2, v140
	s_cbranch_execz .LBB45_28
; %bb.27:
	ds_load_2addr_b64 v[104:107], v142 offset0:3 offset1:4
	s_wait_dscnt 0x1
	v_pk_mul_f32 v[102:103], v[98:99], v[48:49] op_sel:[1,1] op_sel_hi:[0,1]
	s_delay_alu instid0(VALU_DEP_1) | instskip(SKIP_1) | instid1(VALU_DEP_1)
	v_pk_fma_f32 v[100:101], v[98:99], v[48:49], v[102:103] op_sel_hi:[1,0,1] neg_lo:[0,0,1] neg_hi:[0,0,1]
	v_pk_fma_f32 v[102:103], v[98:99], v[48:49], v[102:103] op_sel_hi:[1,0,1]
	v_dual_mov_b32 v48, v100 :: v_dual_mov_b32 v49, v103
	s_wait_dscnt 0x0
	s_delay_alu instid0(VALU_DEP_2) | instskip(NEXT) | instid1(VALU_DEP_1)
	v_pk_mul_f32 v[108:109], v[104:105], v[102:103] op_sel:[0,1]
	v_pk_fma_f32 v[110:111], v[104:105], v[100:101], v[108:109] op_sel:[0,0,1] op_sel_hi:[1,1,0] neg_lo:[0,0,1] neg_hi:[0,0,1]
	v_pk_fma_f32 v[104:105], v[104:105], v[100:101], v[108:109] op_sel:[0,0,1] op_sel_hi:[1,0,0]
	s_delay_alu instid0(VALU_DEP_1) | instskip(SKIP_1) | instid1(VALU_DEP_1)
	v_mov_b32_e32 v111, v105
	v_pk_mul_f32 v[104:105], v[106:107], v[102:103] op_sel:[0,1]
	v_pk_fma_f32 v[108:109], v[106:107], v[100:101], v[104:105] op_sel:[0,0,1] op_sel_hi:[1,1,0] neg_lo:[0,0,1] neg_hi:[0,0,1]
	v_pk_fma_f32 v[104:105], v[106:107], v[100:101], v[104:105] op_sel:[0,0,1] op_sel_hi:[1,0,0]
	s_delay_alu instid0(VALU_DEP_1)
	v_mov_b32_e32 v109, v105
	ds_load_2addr_b64 v[104:107], v142 offset0:5 offset1:6
	v_pk_add_f32 v[46:47], v[46:47], v[110:111] neg_lo:[0,1] neg_hi:[0,1]
	v_pk_add_f32 v[28:29], v[28:29], v[108:109] neg_lo:[0,1] neg_hi:[0,1]
	s_wait_dscnt 0x0
	v_pk_mul_f32 v[108:109], v[104:105], v[102:103] op_sel:[0,1]
	s_delay_alu instid0(VALU_DEP_1) | instskip(SKIP_2) | instid1(VALU_DEP_2)
	v_pk_fma_f32 v[110:111], v[104:105], v[100:101], v[108:109] op_sel:[0,0,1] op_sel_hi:[1,1,0] neg_lo:[0,0,1] neg_hi:[0,0,1]
	v_pk_fma_f32 v[104:105], v[104:105], v[100:101], v[108:109] op_sel:[0,0,1] op_sel_hi:[1,0,0]
	v_dual_mul_f32 v108, v107, v103 :: v_dual_mov_b32 v104, v107
	v_dual_mov_b32 v111, v105 :: v_dual_mov_b32 v105, v106
	s_delay_alu instid0(VALU_DEP_2) | instskip(SKIP_1) | instid1(VALU_DEP_3)
	v_pk_fma_f32 v[108:109], v[106:107], v[48:49], v[108:109] op_sel_hi:[1,1,0] neg_lo:[0,0,1] neg_hi:[0,0,1]
	v_mul_f32_e32 v106, v107, v100
	v_pk_add_f32 v[24:25], v[24:25], v[110:111] neg_lo:[0,1] neg_hi:[0,1]
	s_delay_alu instid0(VALU_DEP_2) | instskip(NEXT) | instid1(VALU_DEP_1)
	v_pk_fma_f32 v[104:105], v[104:105], v[48:49], v[106:107] op_sel_hi:[1,1,0]
	v_mov_b32_e32 v109, v105
	ds_load_2addr_b64 v[104:107], v142 offset0:7 offset1:8
	v_pk_add_f32 v[26:27], v[26:27], v[108:109] neg_lo:[0,1] neg_hi:[0,1]
	s_wait_dscnt 0x0
	v_pk_mul_f32 v[108:109], v[104:105], v[102:103] op_sel:[0,1]
	s_delay_alu instid0(VALU_DEP_1) | instskip(SKIP_1) | instid1(VALU_DEP_1)
	v_pk_fma_f32 v[110:111], v[104:105], v[100:101], v[108:109] op_sel:[0,0,1] op_sel_hi:[1,1,0] neg_lo:[0,0,1] neg_hi:[0,0,1]
	v_pk_fma_f32 v[104:105], v[104:105], v[100:101], v[108:109] op_sel:[0,0,1] op_sel_hi:[1,0,0]
	v_mov_b32_e32 v111, v105
	v_pk_mul_f32 v[104:105], v[106:107], v[102:103] op_sel:[0,1]
	s_delay_alu instid0(VALU_DEP_1) | instskip(SKIP_1) | instid1(VALU_DEP_1)
	v_pk_fma_f32 v[108:109], v[106:107], v[100:101], v[104:105] op_sel:[0,0,1] op_sel_hi:[1,1,0] neg_lo:[0,0,1] neg_hi:[0,0,1]
	v_pk_fma_f32 v[104:105], v[106:107], v[100:101], v[104:105] op_sel:[0,0,1] op_sel_hi:[1,0,0]
	v_mov_b32_e32 v109, v105
	ds_load_2addr_b64 v[104:107], v142 offset0:9 offset1:10
	v_pk_add_f32 v[22:23], v[22:23], v[110:111] neg_lo:[0,1] neg_hi:[0,1]
	v_pk_add_f32 v[42:43], v[42:43], v[108:109] neg_lo:[0,1] neg_hi:[0,1]
	s_wait_dscnt 0x0
	v_pk_mul_f32 v[108:109], v[104:105], v[102:103] op_sel:[0,1]
	s_delay_alu instid0(VALU_DEP_1) | instskip(SKIP_1) | instid1(VALU_DEP_1)
	v_pk_fma_f32 v[110:111], v[104:105], v[100:101], v[108:109] op_sel:[0,0,1] op_sel_hi:[1,1,0] neg_lo:[0,0,1] neg_hi:[0,0,1]
	v_pk_fma_f32 v[104:105], v[104:105], v[100:101], v[108:109] op_sel:[0,0,1] op_sel_hi:[1,0,0]
	v_mov_b32_e32 v111, v105
	v_pk_mul_f32 v[104:105], v[106:107], v[102:103] op_sel:[0,1]
	s_delay_alu instid0(VALU_DEP_1) | instskip(SKIP_1) | instid1(VALU_DEP_1)
	v_pk_fma_f32 v[108:109], v[106:107], v[100:101], v[104:105] op_sel:[0,0,1] op_sel_hi:[1,1,0] neg_lo:[0,0,1] neg_hi:[0,0,1]
	v_pk_fma_f32 v[104:105], v[106:107], v[100:101], v[104:105] op_sel:[0,0,1] op_sel_hi:[1,0,0]
	v_mov_b32_e32 v109, v105
	ds_load_2addr_b64 v[104:107], v142 offset0:11 offset1:12
	v_pk_add_f32 v[38:39], v[38:39], v[110:111] neg_lo:[0,1] neg_hi:[0,1]
	v_pk_add_f32 v[40:41], v[40:41], v[108:109] neg_lo:[0,1] neg_hi:[0,1]
	s_wait_dscnt 0x0
	v_dual_mul_f32 v108, v105, v103 :: v_dual_mul_f32 v110, v105, v100
	s_delay_alu instid0(VALU_DEP_1) | instskip(NEXT) | instid1(VALU_DEP_2)
	v_pk_fma_f32 v[108:109], v[104:105], v[48:49], v[108:109] op_sel_hi:[1,1,0] neg_lo:[0,0,1] neg_hi:[0,0,1]
	v_pk_fma_f32 v[104:105], v[104:105], v[48:49], v[110:111] op_sel:[1,0,0] op_sel_hi:[0,1,0]
	s_delay_alu instid0(VALU_DEP_1) | instskip(SKIP_1) | instid1(VALU_DEP_2)
	v_mov_b32_e32 v109, v105
	v_pk_mul_f32 v[104:105], v[106:107], v[102:103] op_sel:[0,1]
	v_pk_add_f32 v[36:37], v[36:37], v[108:109] neg_lo:[0,1] neg_hi:[0,1]
	s_delay_alu instid0(VALU_DEP_2) | instskip(SKIP_1) | instid1(VALU_DEP_1)
	v_pk_fma_f32 v[108:109], v[106:107], v[100:101], v[104:105] op_sel:[0,0,1] op_sel_hi:[1,1,0] neg_lo:[0,0,1] neg_hi:[0,0,1]
	v_pk_fma_f32 v[104:105], v[106:107], v[100:101], v[104:105] op_sel:[0,0,1] op_sel_hi:[1,0,0]
	v_mov_b32_e32 v109, v105
	ds_load_2addr_b64 v[104:107], v142 offset0:13 offset1:14
	v_pk_add_f32 v[68:69], v[68:69], v[108:109] neg_lo:[0,1] neg_hi:[0,1]
	s_wait_dscnt 0x0
	v_pk_mul_f32 v[108:109], v[104:105], v[102:103] op_sel:[0,1]
	s_delay_alu instid0(VALU_DEP_1) | instskip(SKIP_1) | instid1(VALU_DEP_1)
	v_pk_fma_f32 v[110:111], v[104:105], v[100:101], v[108:109] op_sel:[0,0,1] op_sel_hi:[1,1,0] neg_lo:[0,0,1] neg_hi:[0,0,1]
	v_pk_fma_f32 v[104:105], v[104:105], v[100:101], v[108:109] op_sel:[0,0,1] op_sel_hi:[1,0,0]
	v_mov_b32_e32 v111, v105
	v_pk_mul_f32 v[104:105], v[106:107], v[102:103] op_sel:[0,1]
	s_delay_alu instid0(VALU_DEP_2) | instskip(NEXT) | instid1(VALU_DEP_2)
	v_pk_add_f32 v[64:65], v[64:65], v[110:111] neg_lo:[0,1] neg_hi:[0,1]
	v_pk_fma_f32 v[108:109], v[106:107], v[100:101], v[104:105] op_sel:[0,0,1] op_sel_hi:[1,1,0] neg_lo:[0,0,1] neg_hi:[0,0,1]
	v_pk_fma_f32 v[104:105], v[106:107], v[100:101], v[104:105] op_sel:[0,0,1] op_sel_hi:[1,0,0]
	s_delay_alu instid0(VALU_DEP_1) | instskip(SKIP_4) | instid1(VALU_DEP_1)
	v_mov_b32_e32 v109, v105
	ds_load_2addr_b64 v[104:107], v142 offset0:15 offset1:16
	v_pk_add_f32 v[66:67], v[66:67], v[108:109] neg_lo:[0,1] neg_hi:[0,1]
	s_wait_dscnt 0x0
	v_pk_mul_f32 v[108:109], v[104:105], v[102:103] op_sel:[0,1]
	v_pk_fma_f32 v[110:111], v[104:105], v[100:101], v[108:109] op_sel:[0,0,1] op_sel_hi:[1,1,0] neg_lo:[0,0,1] neg_hi:[0,0,1]
	v_pk_fma_f32 v[104:105], v[104:105], v[100:101], v[108:109] op_sel:[0,0,1] op_sel_hi:[1,0,0]
	v_dual_mul_f32 v108, v107, v103 :: v_dual_mov_b32 v104, v107
	s_delay_alu instid0(VALU_DEP_2) | instskip(NEXT) | instid1(VALU_DEP_2)
	v_dual_mov_b32 v111, v105 :: v_dual_mov_b32 v105, v106
	v_pk_fma_f32 v[108:109], v[106:107], v[48:49], v[108:109] op_sel_hi:[1,1,0] neg_lo:[0,0,1] neg_hi:[0,0,1]
	v_mul_f32_e32 v106, v107, v100
	s_delay_alu instid0(VALU_DEP_3) | instskip(NEXT) | instid1(VALU_DEP_2)
	v_pk_add_f32 v[62:63], v[62:63], v[110:111] neg_lo:[0,1] neg_hi:[0,1]
	v_pk_fma_f32 v[104:105], v[104:105], v[48:49], v[106:107] op_sel_hi:[1,1,0]
	s_delay_alu instid0(VALU_DEP_1) | instskip(SKIP_4) | instid1(VALU_DEP_1)
	v_mov_b32_e32 v109, v105
	ds_load_2addr_b64 v[104:107], v142 offset0:17 offset1:18
	v_pk_add_f32 v[84:85], v[84:85], v[108:109] neg_lo:[0,1] neg_hi:[0,1]
	s_wait_dscnt 0x0
	v_pk_mul_f32 v[108:109], v[104:105], v[102:103] op_sel:[0,1]
	v_pk_fma_f32 v[110:111], v[104:105], v[100:101], v[108:109] op_sel:[0,0,1] op_sel_hi:[1,1,0] neg_lo:[0,0,1] neg_hi:[0,0,1]
	v_pk_fma_f32 v[104:105], v[104:105], v[100:101], v[108:109] op_sel:[0,0,1] op_sel_hi:[1,0,0]
	s_delay_alu instid0(VALU_DEP_1) | instskip(SKIP_1) | instid1(VALU_DEP_1)
	v_mov_b32_e32 v111, v105
	v_pk_mul_f32 v[104:105], v[106:107], v[102:103] op_sel:[0,1]
	v_pk_fma_f32 v[108:109], v[106:107], v[100:101], v[104:105] op_sel:[0,0,1] op_sel_hi:[1,1,0] neg_lo:[0,0,1] neg_hi:[0,0,1]
	v_pk_fma_f32 v[104:105], v[106:107], v[100:101], v[104:105] op_sel:[0,0,1] op_sel_hi:[1,0,0]
	s_delay_alu instid0(VALU_DEP_1)
	v_mov_b32_e32 v109, v105
	ds_load_2addr_b64 v[104:107], v142 offset0:19 offset1:20
	v_pk_add_f32 v[80:81], v[80:81], v[110:111] neg_lo:[0,1] neg_hi:[0,1]
	v_pk_add_f32 v[82:83], v[82:83], v[108:109] neg_lo:[0,1] neg_hi:[0,1]
	s_wait_dscnt 0x0
	v_pk_mul_f32 v[108:109], v[104:105], v[102:103] op_sel:[0,1]
	s_delay_alu instid0(VALU_DEP_1) | instskip(SKIP_1) | instid1(VALU_DEP_1)
	v_pk_fma_f32 v[110:111], v[104:105], v[100:101], v[108:109] op_sel:[0,0,1] op_sel_hi:[1,1,0] neg_lo:[0,0,1] neg_hi:[0,0,1]
	v_pk_fma_f32 v[104:105], v[104:105], v[100:101], v[108:109] op_sel:[0,0,1] op_sel_hi:[1,0,0]
	v_mov_b32_e32 v111, v105
	v_pk_mul_f32 v[104:105], v[106:107], v[102:103] op_sel:[0,1]
	s_delay_alu instid0(VALU_DEP_1) | instskip(SKIP_1) | instid1(VALU_DEP_1)
	v_pk_fma_f32 v[108:109], v[106:107], v[100:101], v[104:105] op_sel:[0,0,1] op_sel_hi:[1,1,0] neg_lo:[0,0,1] neg_hi:[0,0,1]
	v_pk_fma_f32 v[104:105], v[106:107], v[100:101], v[104:105] op_sel:[0,0,1] op_sel_hi:[1,0,0]
	v_mov_b32_e32 v109, v105
	ds_load_2addr_b64 v[104:107], v142 offset0:21 offset1:22
	v_pk_add_f32 v[90:91], v[90:91], v[110:111] neg_lo:[0,1] neg_hi:[0,1]
	v_pk_add_f32 v[88:89], v[88:89], v[108:109] neg_lo:[0,1] neg_hi:[0,1]
	s_wait_dscnt 0x0
	v_dual_mul_f32 v108, v105, v103 :: v_dual_mul_f32 v110, v105, v100
	v_pk_mul_f32 v[102:103], v[106:107], v[102:103] op_sel:[0,1]
	s_delay_alu instid0(VALU_DEP_2) | instskip(NEXT) | instid1(VALU_DEP_3)
	v_pk_fma_f32 v[108:109], v[104:105], v[48:49], v[108:109] op_sel_hi:[1,1,0] neg_lo:[0,0,1] neg_hi:[0,0,1]
	v_pk_fma_f32 v[104:105], v[104:105], v[48:49], v[110:111] op_sel:[1,0,0] op_sel_hi:[0,1,0]
	s_delay_alu instid0(VALU_DEP_1) | instskip(NEXT) | instid1(VALU_DEP_4)
	v_mov_b32_e32 v109, v105
	v_pk_fma_f32 v[104:105], v[106:107], v[100:101], v[102:103] op_sel:[0,0,1] op_sel_hi:[1,1,0] neg_lo:[0,0,1] neg_hi:[0,0,1]
	v_pk_fma_f32 v[100:101], v[106:107], v[100:101], v[102:103] op_sel:[0,0,1] op_sel_hi:[1,0,0]
	s_delay_alu instid0(VALU_DEP_1) | instskip(NEXT) | instid1(VALU_DEP_4)
	v_mov_b32_e32 v105, v101
	v_pk_add_f32 v[86:87], v[86:87], v[108:109] neg_lo:[0,1] neg_hi:[0,1]
	s_delay_alu instid0(VALU_DEP_2)
	v_pk_add_f32 v[92:93], v[92:93], v[104:105] neg_lo:[0,1] neg_hi:[0,1]
.LBB45_28:
	s_or_b32 exec_lo, exec_lo, s1
	s_delay_alu instid0(SALU_CYCLE_1)
	s_mov_b32 s2, exec_lo
	s_wait_dscnt 0x0
	s_barrier_signal -1
	s_barrier_wait -1
	v_cmpx_eq_u32_e32 3, v140
	s_cbranch_execz .LBB45_35
; %bb.29:
	v_dual_mov_b32 v100, v28 :: v_dual_mov_b32 v101, v29
	v_dual_mov_b32 v102, v24 :: v_dual_mov_b32 v103, v25
	;; [unrolled: 1-line block ×8, first 2 shown]
	ds_store_b64 v141, v[46:47]
	ds_store_2addr_b64 v142, v[100:101], v[102:103] offset0:4 offset1:5
	ds_store_2addr_b64 v142, v[104:105], v[106:107] offset0:6 offset1:7
	;; [unrolled: 1-line block ×4, first 2 shown]
	v_dual_mov_b32 v100, v68 :: v_dual_mov_b32 v101, v69
	v_dual_mov_b32 v102, v64 :: v_dual_mov_b32 v103, v65
	;; [unrolled: 1-line block ×10, first 2 shown]
	ds_store_2addr_b64 v142, v[100:101], v[102:103] offset0:12 offset1:13
	ds_store_2addr_b64 v142, v[104:105], v[106:107] offset0:14 offset1:15
	;; [unrolled: 1-line block ×5, first 2 shown]
	ds_store_b64 v142, v[92:93] offset:176
	ds_load_b64 v[100:101], v141
	s_wait_dscnt 0x0
	v_cmp_neq_f32_e32 vcc_lo, 0, v100
	v_cmp_neq_f32_e64 s1, 0, v101
	s_or_b32 s1, vcc_lo, s1
	s_delay_alu instid0(SALU_CYCLE_1)
	s_and_b32 exec_lo, exec_lo, s1
	s_cbranch_execz .LBB45_35
; %bb.30:
	v_cmp_ngt_f32_e64 s1, |v100|, |v101|
                                        ; implicit-def: $vgpr102_vgpr103
	s_and_saveexec_b32 s4, s1
	s_delay_alu instid0(SALU_CYCLE_1)
	s_xor_b32 s1, exec_lo, s4
	s_cbranch_execz .LBB45_32
; %bb.31:
	v_div_scale_f32 v102, null, v101, v101, v100
	v_div_scale_f32 v105, vcc_lo, v100, v101, v100
	s_delay_alu instid0(VALU_DEP_2) | instskip(SKIP_1) | instid1(TRANS32_DEP_1)
	v_rcp_f32_e32 v103, v102
	v_nop
	v_fma_f32 v104, -v102, v103, 1.0
	s_delay_alu instid0(VALU_DEP_1) | instskip(NEXT) | instid1(VALU_DEP_1)
	v_fmac_f32_e32 v103, v104, v103
	v_mul_f32_e32 v104, v105, v103
	s_delay_alu instid0(VALU_DEP_1) | instskip(NEXT) | instid1(VALU_DEP_1)
	v_fma_f32 v106, -v102, v104, v105
	v_fmac_f32_e32 v104, v106, v103
	s_delay_alu instid0(VALU_DEP_1) | instskip(NEXT) | instid1(VALU_DEP_1)
	v_fma_f32 v102, -v102, v104, v105
	v_div_fmas_f32 v102, v102, v103, v104
	s_delay_alu instid0(VALU_DEP_1) | instskip(NEXT) | instid1(VALU_DEP_1)
	v_div_fixup_f32 v102, v102, v101, v100
	v_fmac_f32_e32 v101, v100, v102
	s_delay_alu instid0(VALU_DEP_1) | instskip(SKIP_1) | instid1(VALU_DEP_2)
	v_div_scale_f32 v100, null, v101, v101, 1.0
	v_div_scale_f32 v105, vcc_lo, 1.0, v101, 1.0
	v_rcp_f32_e32 v103, v100
	v_nop
	s_delay_alu instid0(TRANS32_DEP_1) | instskip(NEXT) | instid1(VALU_DEP_1)
	v_fma_f32 v104, -v100, v103, 1.0
	v_fmac_f32_e32 v103, v104, v103
	s_delay_alu instid0(VALU_DEP_1) | instskip(NEXT) | instid1(VALU_DEP_1)
	v_mul_f32_e32 v104, v105, v103
	v_fma_f32 v106, -v100, v104, v105
	s_delay_alu instid0(VALU_DEP_1) | instskip(NEXT) | instid1(VALU_DEP_1)
	v_fmac_f32_e32 v104, v106, v103
	v_fma_f32 v100, -v100, v104, v105
	s_delay_alu instid0(VALU_DEP_1) | instskip(NEXT) | instid1(VALU_DEP_1)
	v_div_fmas_f32 v100, v100, v103, v104
	v_div_fixup_f32 v100, v100, v101, 1.0
	s_delay_alu instid0(VALU_DEP_1)
	v_mul_f32_e32 v102, v102, v100
	v_xor_b32_e32 v103, 0x80000000, v100
                                        ; implicit-def: $vgpr100_vgpr101
.LBB45_32:
	s_and_not1_saveexec_b32 s1, s1
	s_cbranch_execz .LBB45_34
; %bb.33:
	v_div_scale_f32 v102, null, v100, v100, v101
	v_div_scale_f32 v105, vcc_lo, v101, v100, v101
	s_delay_alu instid0(VALU_DEP_2) | instskip(SKIP_1) | instid1(TRANS32_DEP_1)
	v_rcp_f32_e32 v103, v102
	v_nop
	v_fma_f32 v104, -v102, v103, 1.0
	s_delay_alu instid0(VALU_DEP_1) | instskip(NEXT) | instid1(VALU_DEP_1)
	v_fmac_f32_e32 v103, v104, v103
	v_mul_f32_e32 v104, v105, v103
	s_delay_alu instid0(VALU_DEP_1) | instskip(NEXT) | instid1(VALU_DEP_1)
	v_fma_f32 v106, -v102, v104, v105
	v_fmac_f32_e32 v104, v106, v103
	s_delay_alu instid0(VALU_DEP_1) | instskip(NEXT) | instid1(VALU_DEP_1)
	v_fma_f32 v102, -v102, v104, v105
	v_div_fmas_f32 v102, v102, v103, v104
	s_delay_alu instid0(VALU_DEP_1) | instskip(NEXT) | instid1(VALU_DEP_1)
	v_div_fixup_f32 v103, v102, v100, v101
	v_fmac_f32_e32 v100, v101, v103
	s_delay_alu instid0(VALU_DEP_1) | instskip(NEXT) | instid1(VALU_DEP_1)
	v_div_scale_f32 v101, null, v100, v100, 1.0
	v_rcp_f32_e32 v102, v101
	v_nop
	s_delay_alu instid0(TRANS32_DEP_1) | instskip(NEXT) | instid1(VALU_DEP_1)
	v_fma_f32 v104, -v101, v102, 1.0
	v_fmac_f32_e32 v102, v104, v102
	v_div_scale_f32 v104, vcc_lo, 1.0, v100, 1.0
	s_delay_alu instid0(VALU_DEP_1) | instskip(NEXT) | instid1(VALU_DEP_1)
	v_mul_f32_e32 v105, v104, v102
	v_fma_f32 v106, -v101, v105, v104
	s_delay_alu instid0(VALU_DEP_1) | instskip(NEXT) | instid1(VALU_DEP_1)
	v_fmac_f32_e32 v105, v106, v102
	v_fma_f32 v101, -v101, v105, v104
	s_delay_alu instid0(VALU_DEP_1) | instskip(NEXT) | instid1(VALU_DEP_1)
	v_div_fmas_f32 v101, v101, v102, v105
	v_div_fixup_f32 v102, v101, v100, 1.0
	s_delay_alu instid0(VALU_DEP_1)
	v_mul_f32_e64 v103, v103, -v102
.LBB45_34:
	s_or_b32 exec_lo, exec_lo, s1
	ds_store_b64 v141, v[102:103]
.LBB45_35:
	s_or_b32 exec_lo, exec_lo, s2
	s_wait_dscnt 0x0
	s_barrier_signal -1
	s_barrier_wait -1
	ds_load_b64 v[100:101], v141
	s_mov_b32 s1, exec_lo
	v_cmpx_lt_u32_e32 3, v140
	s_cbranch_execz .LBB45_37
; %bb.36:
	ds_load_2addr_b64 v[106:109], v142 offset0:4 offset1:5
	s_wait_dscnt 0x1
	v_pk_mul_f32 v[104:105], v[100:101], v[46:47] op_sel:[1,1] op_sel_hi:[0,1]
	s_delay_alu instid0(VALU_DEP_1) | instskip(SKIP_1) | instid1(VALU_DEP_1)
	v_pk_fma_f32 v[102:103], v[100:101], v[46:47], v[104:105] op_sel_hi:[1,0,1] neg_lo:[0,0,1] neg_hi:[0,0,1]
	v_pk_fma_f32 v[104:105], v[100:101], v[46:47], v[104:105] op_sel_hi:[1,0,1]
	v_dual_mov_b32 v46, v102 :: v_dual_mov_b32 v47, v105
	s_wait_dscnt 0x0
	s_delay_alu instid0(VALU_DEP_2) | instskip(NEXT) | instid1(VALU_DEP_1)
	v_pk_mul_f32 v[110:111], v[106:107], v[104:105] op_sel:[0,1]
	v_pk_fma_f32 v[112:113], v[106:107], v[102:103], v[110:111] op_sel:[0,0,1] op_sel_hi:[1,1,0] neg_lo:[0,0,1] neg_hi:[0,0,1]
	v_pk_fma_f32 v[106:107], v[106:107], v[102:103], v[110:111] op_sel:[0,0,1] op_sel_hi:[1,0,0]
	s_delay_alu instid0(VALU_DEP_1) | instskip(SKIP_1) | instid1(VALU_DEP_1)
	v_mov_b32_e32 v113, v107
	v_pk_mul_f32 v[106:107], v[108:109], v[104:105] op_sel:[0,1]
	v_pk_fma_f32 v[110:111], v[108:109], v[102:103], v[106:107] op_sel:[0,0,1] op_sel_hi:[1,1,0] neg_lo:[0,0,1] neg_hi:[0,0,1]
	v_pk_fma_f32 v[106:107], v[108:109], v[102:103], v[106:107] op_sel:[0,0,1] op_sel_hi:[1,0,0]
	s_delay_alu instid0(VALU_DEP_1)
	v_mov_b32_e32 v111, v107
	ds_load_2addr_b64 v[106:109], v142 offset0:6 offset1:7
	v_pk_add_f32 v[28:29], v[28:29], v[112:113] neg_lo:[0,1] neg_hi:[0,1]
	v_pk_add_f32 v[24:25], v[24:25], v[110:111] neg_lo:[0,1] neg_hi:[0,1]
	s_wait_dscnt 0x0
	v_pk_mul_f32 v[110:111], v[106:107], v[104:105] op_sel:[0,1]
	s_delay_alu instid0(VALU_DEP_1) | instskip(SKIP_2) | instid1(VALU_DEP_2)
	v_pk_fma_f32 v[112:113], v[106:107], v[102:103], v[110:111] op_sel:[0,0,1] op_sel_hi:[1,1,0] neg_lo:[0,0,1] neg_hi:[0,0,1]
	v_pk_fma_f32 v[106:107], v[106:107], v[102:103], v[110:111] op_sel:[0,0,1] op_sel_hi:[1,0,0]
	v_dual_mul_f32 v110, v109, v105 :: v_dual_mov_b32 v106, v109
	v_dual_mov_b32 v113, v107 :: v_dual_mov_b32 v107, v108
	s_delay_alu instid0(VALU_DEP_2) | instskip(SKIP_1) | instid1(VALU_DEP_3)
	v_pk_fma_f32 v[110:111], v[108:109], v[46:47], v[110:111] op_sel_hi:[1,1,0] neg_lo:[0,0,1] neg_hi:[0,0,1]
	v_mul_f32_e32 v108, v109, v102
	v_pk_add_f32 v[26:27], v[26:27], v[112:113] neg_lo:[0,1] neg_hi:[0,1]
	s_delay_alu instid0(VALU_DEP_2) | instskip(NEXT) | instid1(VALU_DEP_1)
	v_pk_fma_f32 v[106:107], v[106:107], v[46:47], v[108:109] op_sel_hi:[1,1,0]
	v_mov_b32_e32 v111, v107
	ds_load_2addr_b64 v[106:109], v142 offset0:8 offset1:9
	v_pk_add_f32 v[22:23], v[22:23], v[110:111] neg_lo:[0,1] neg_hi:[0,1]
	s_wait_dscnt 0x0
	v_pk_mul_f32 v[110:111], v[106:107], v[104:105] op_sel:[0,1]
	s_delay_alu instid0(VALU_DEP_1) | instskip(SKIP_1) | instid1(VALU_DEP_1)
	v_pk_fma_f32 v[112:113], v[106:107], v[102:103], v[110:111] op_sel:[0,0,1] op_sel_hi:[1,1,0] neg_lo:[0,0,1] neg_hi:[0,0,1]
	v_pk_fma_f32 v[106:107], v[106:107], v[102:103], v[110:111] op_sel:[0,0,1] op_sel_hi:[1,0,0]
	v_mov_b32_e32 v113, v107
	v_pk_mul_f32 v[106:107], v[108:109], v[104:105] op_sel:[0,1]
	s_delay_alu instid0(VALU_DEP_1) | instskip(SKIP_1) | instid1(VALU_DEP_1)
	v_pk_fma_f32 v[110:111], v[108:109], v[102:103], v[106:107] op_sel:[0,0,1] op_sel_hi:[1,1,0] neg_lo:[0,0,1] neg_hi:[0,0,1]
	v_pk_fma_f32 v[106:107], v[108:109], v[102:103], v[106:107] op_sel:[0,0,1] op_sel_hi:[1,0,0]
	v_mov_b32_e32 v111, v107
	ds_load_2addr_b64 v[106:109], v142 offset0:10 offset1:11
	v_pk_add_f32 v[42:43], v[42:43], v[112:113] neg_lo:[0,1] neg_hi:[0,1]
	v_pk_add_f32 v[38:39], v[38:39], v[110:111] neg_lo:[0,1] neg_hi:[0,1]
	s_wait_dscnt 0x0
	v_pk_mul_f32 v[110:111], v[106:107], v[104:105] op_sel:[0,1]
	s_delay_alu instid0(VALU_DEP_1) | instskip(SKIP_1) | instid1(VALU_DEP_1)
	v_pk_fma_f32 v[112:113], v[106:107], v[102:103], v[110:111] op_sel:[0,0,1] op_sel_hi:[1,1,0] neg_lo:[0,0,1] neg_hi:[0,0,1]
	v_pk_fma_f32 v[106:107], v[106:107], v[102:103], v[110:111] op_sel:[0,0,1] op_sel_hi:[1,0,0]
	v_mov_b32_e32 v113, v107
	v_pk_mul_f32 v[106:107], v[108:109], v[104:105] op_sel:[0,1]
	s_delay_alu instid0(VALU_DEP_1) | instskip(SKIP_1) | instid1(VALU_DEP_1)
	v_pk_fma_f32 v[110:111], v[108:109], v[102:103], v[106:107] op_sel:[0,0,1] op_sel_hi:[1,1,0] neg_lo:[0,0,1] neg_hi:[0,0,1]
	v_pk_fma_f32 v[106:107], v[108:109], v[102:103], v[106:107] op_sel:[0,0,1] op_sel_hi:[1,0,0]
	v_mov_b32_e32 v111, v107
	ds_load_2addr_b64 v[106:109], v142 offset0:12 offset1:13
	v_pk_add_f32 v[40:41], v[40:41], v[112:113] neg_lo:[0,1] neg_hi:[0,1]
	v_pk_add_f32 v[36:37], v[36:37], v[110:111] neg_lo:[0,1] neg_hi:[0,1]
	s_wait_dscnt 0x0
	v_dual_mul_f32 v110, v107, v105 :: v_dual_mul_f32 v112, v107, v102
	s_delay_alu instid0(VALU_DEP_1) | instskip(NEXT) | instid1(VALU_DEP_2)
	v_pk_fma_f32 v[110:111], v[106:107], v[46:47], v[110:111] op_sel_hi:[1,1,0] neg_lo:[0,0,1] neg_hi:[0,0,1]
	v_pk_fma_f32 v[106:107], v[106:107], v[46:47], v[112:113] op_sel:[1,0,0] op_sel_hi:[0,1,0]
	s_delay_alu instid0(VALU_DEP_1) | instskip(SKIP_1) | instid1(VALU_DEP_2)
	v_mov_b32_e32 v111, v107
	v_pk_mul_f32 v[106:107], v[108:109], v[104:105] op_sel:[0,1]
	v_pk_add_f32 v[68:69], v[68:69], v[110:111] neg_lo:[0,1] neg_hi:[0,1]
	s_delay_alu instid0(VALU_DEP_2) | instskip(SKIP_1) | instid1(VALU_DEP_1)
	v_pk_fma_f32 v[110:111], v[108:109], v[102:103], v[106:107] op_sel:[0,0,1] op_sel_hi:[1,1,0] neg_lo:[0,0,1] neg_hi:[0,0,1]
	v_pk_fma_f32 v[106:107], v[108:109], v[102:103], v[106:107] op_sel:[0,0,1] op_sel_hi:[1,0,0]
	v_mov_b32_e32 v111, v107
	ds_load_2addr_b64 v[106:109], v142 offset0:14 offset1:15
	v_pk_add_f32 v[64:65], v[64:65], v[110:111] neg_lo:[0,1] neg_hi:[0,1]
	s_wait_dscnt 0x0
	v_pk_mul_f32 v[110:111], v[106:107], v[104:105] op_sel:[0,1]
	s_delay_alu instid0(VALU_DEP_1) | instskip(SKIP_1) | instid1(VALU_DEP_1)
	v_pk_fma_f32 v[112:113], v[106:107], v[102:103], v[110:111] op_sel:[0,0,1] op_sel_hi:[1,1,0] neg_lo:[0,0,1] neg_hi:[0,0,1]
	v_pk_fma_f32 v[106:107], v[106:107], v[102:103], v[110:111] op_sel:[0,0,1] op_sel_hi:[1,0,0]
	v_mov_b32_e32 v113, v107
	v_pk_mul_f32 v[106:107], v[108:109], v[104:105] op_sel:[0,1]
	s_delay_alu instid0(VALU_DEP_2) | instskip(NEXT) | instid1(VALU_DEP_2)
	v_pk_add_f32 v[66:67], v[66:67], v[112:113] neg_lo:[0,1] neg_hi:[0,1]
	v_pk_fma_f32 v[110:111], v[108:109], v[102:103], v[106:107] op_sel:[0,0,1] op_sel_hi:[1,1,0] neg_lo:[0,0,1] neg_hi:[0,0,1]
	v_pk_fma_f32 v[106:107], v[108:109], v[102:103], v[106:107] op_sel:[0,0,1] op_sel_hi:[1,0,0]
	s_delay_alu instid0(VALU_DEP_1) | instskip(SKIP_4) | instid1(VALU_DEP_1)
	v_mov_b32_e32 v111, v107
	ds_load_2addr_b64 v[106:109], v142 offset0:16 offset1:17
	v_pk_add_f32 v[62:63], v[62:63], v[110:111] neg_lo:[0,1] neg_hi:[0,1]
	s_wait_dscnt 0x0
	v_pk_mul_f32 v[110:111], v[106:107], v[104:105] op_sel:[0,1]
	v_pk_fma_f32 v[112:113], v[106:107], v[102:103], v[110:111] op_sel:[0,0,1] op_sel_hi:[1,1,0] neg_lo:[0,0,1] neg_hi:[0,0,1]
	v_pk_fma_f32 v[106:107], v[106:107], v[102:103], v[110:111] op_sel:[0,0,1] op_sel_hi:[1,0,0]
	v_dual_mul_f32 v110, v109, v105 :: v_dual_mov_b32 v106, v109
	s_delay_alu instid0(VALU_DEP_2) | instskip(NEXT) | instid1(VALU_DEP_2)
	v_dual_mov_b32 v113, v107 :: v_dual_mov_b32 v107, v108
	v_pk_fma_f32 v[110:111], v[108:109], v[46:47], v[110:111] op_sel_hi:[1,1,0] neg_lo:[0,0,1] neg_hi:[0,0,1]
	v_mul_f32_e32 v108, v109, v102
	s_delay_alu instid0(VALU_DEP_3) | instskip(NEXT) | instid1(VALU_DEP_2)
	v_pk_add_f32 v[84:85], v[84:85], v[112:113] neg_lo:[0,1] neg_hi:[0,1]
	v_pk_fma_f32 v[106:107], v[106:107], v[46:47], v[108:109] op_sel_hi:[1,1,0]
	s_delay_alu instid0(VALU_DEP_1) | instskip(SKIP_4) | instid1(VALU_DEP_1)
	v_mov_b32_e32 v111, v107
	ds_load_2addr_b64 v[106:109], v142 offset0:18 offset1:19
	v_pk_add_f32 v[80:81], v[80:81], v[110:111] neg_lo:[0,1] neg_hi:[0,1]
	s_wait_dscnt 0x0
	v_pk_mul_f32 v[110:111], v[106:107], v[104:105] op_sel:[0,1]
	v_pk_fma_f32 v[112:113], v[106:107], v[102:103], v[110:111] op_sel:[0,0,1] op_sel_hi:[1,1,0] neg_lo:[0,0,1] neg_hi:[0,0,1]
	v_pk_fma_f32 v[106:107], v[106:107], v[102:103], v[110:111] op_sel:[0,0,1] op_sel_hi:[1,0,0]
	s_delay_alu instid0(VALU_DEP_1) | instskip(SKIP_1) | instid1(VALU_DEP_1)
	v_mov_b32_e32 v113, v107
	v_pk_mul_f32 v[106:107], v[108:109], v[104:105] op_sel:[0,1]
	v_pk_fma_f32 v[110:111], v[108:109], v[102:103], v[106:107] op_sel:[0,0,1] op_sel_hi:[1,1,0] neg_lo:[0,0,1] neg_hi:[0,0,1]
	v_pk_fma_f32 v[106:107], v[108:109], v[102:103], v[106:107] op_sel:[0,0,1] op_sel_hi:[1,0,0]
	s_delay_alu instid0(VALU_DEP_1)
	v_mov_b32_e32 v111, v107
	ds_load_2addr_b64 v[106:109], v142 offset0:20 offset1:21
	v_pk_add_f32 v[82:83], v[82:83], v[112:113] neg_lo:[0,1] neg_hi:[0,1]
	v_pk_add_f32 v[90:91], v[90:91], v[110:111] neg_lo:[0,1] neg_hi:[0,1]
	s_wait_dscnt 0x0
	v_pk_mul_f32 v[110:111], v[106:107], v[104:105] op_sel:[0,1]
	s_delay_alu instid0(VALU_DEP_1) | instskip(SKIP_1) | instid1(VALU_DEP_1)
	v_pk_fma_f32 v[112:113], v[106:107], v[102:103], v[110:111] op_sel:[0,0,1] op_sel_hi:[1,1,0] neg_lo:[0,0,1] neg_hi:[0,0,1]
	v_pk_fma_f32 v[106:107], v[106:107], v[102:103], v[110:111] op_sel:[0,0,1] op_sel_hi:[1,0,0]
	v_mov_b32_e32 v113, v107
	v_pk_mul_f32 v[106:107], v[108:109], v[104:105] op_sel:[0,1]
	s_delay_alu instid0(VALU_DEP_1) | instskip(SKIP_1) | instid1(VALU_DEP_1)
	v_pk_fma_f32 v[110:111], v[108:109], v[102:103], v[106:107] op_sel:[0,0,1] op_sel_hi:[1,1,0] neg_lo:[0,0,1] neg_hi:[0,0,1]
	v_pk_fma_f32 v[106:107], v[108:109], v[102:103], v[106:107] op_sel:[0,0,1] op_sel_hi:[1,0,0]
	v_mov_b32_e32 v111, v107
	ds_load_b64 v[106:107], v142 offset:176
	v_pk_add_f32 v[88:89], v[88:89], v[112:113] neg_lo:[0,1] neg_hi:[0,1]
	v_pk_add_f32 v[86:87], v[86:87], v[110:111] neg_lo:[0,1] neg_hi:[0,1]
	s_wait_dscnt 0x0
	v_pk_mul_f32 v[104:105], v[106:107], v[104:105] op_sel:[0,1]
	s_delay_alu instid0(VALU_DEP_1) | instskip(SKIP_1) | instid1(VALU_DEP_1)
	v_pk_fma_f32 v[108:109], v[106:107], v[102:103], v[104:105] op_sel:[0,0,1] op_sel_hi:[1,1,0] neg_lo:[0,0,1] neg_hi:[0,0,1]
	v_pk_fma_f32 v[102:103], v[106:107], v[102:103], v[104:105] op_sel:[0,0,1] op_sel_hi:[1,0,0]
	v_mov_b32_e32 v109, v103
	s_delay_alu instid0(VALU_DEP_1)
	v_pk_add_f32 v[92:93], v[92:93], v[108:109] neg_lo:[0,1] neg_hi:[0,1]
.LBB45_37:
	s_or_b32 exec_lo, exec_lo, s1
	s_delay_alu instid0(SALU_CYCLE_1)
	s_mov_b32 s2, exec_lo
	s_wait_dscnt 0x0
	s_barrier_signal -1
	s_barrier_wait -1
	v_cmpx_eq_u32_e32 4, v140
	s_cbranch_execz .LBB45_44
; %bb.38:
	ds_store_b64 v141, v[28:29]
	ds_store_2addr_b64 v142, v[24:25], v[26:27] offset0:5 offset1:6
	ds_store_2addr_b64 v142, v[22:23], v[42:43] offset0:7 offset1:8
	;; [unrolled: 1-line block ×9, first 2 shown]
	ds_load_b64 v[102:103], v141
	s_wait_dscnt 0x0
	v_cmp_neq_f32_e32 vcc_lo, 0, v102
	v_cmp_neq_f32_e64 s1, 0, v103
	s_or_b32 s1, vcc_lo, s1
	s_delay_alu instid0(SALU_CYCLE_1)
	s_and_b32 exec_lo, exec_lo, s1
	s_cbranch_execz .LBB45_44
; %bb.39:
	v_cmp_ngt_f32_e64 s1, |v102|, |v103|
                                        ; implicit-def: $vgpr104_vgpr105
	s_and_saveexec_b32 s4, s1
	s_delay_alu instid0(SALU_CYCLE_1)
	s_xor_b32 s1, exec_lo, s4
	s_cbranch_execz .LBB45_41
; %bb.40:
	v_div_scale_f32 v104, null, v103, v103, v102
	v_div_scale_f32 v107, vcc_lo, v102, v103, v102
	s_delay_alu instid0(VALU_DEP_2) | instskip(SKIP_1) | instid1(TRANS32_DEP_1)
	v_rcp_f32_e32 v105, v104
	v_nop
	v_fma_f32 v106, -v104, v105, 1.0
	s_delay_alu instid0(VALU_DEP_1) | instskip(NEXT) | instid1(VALU_DEP_1)
	v_fmac_f32_e32 v105, v106, v105
	v_mul_f32_e32 v106, v107, v105
	s_delay_alu instid0(VALU_DEP_1) | instskip(NEXT) | instid1(VALU_DEP_1)
	v_fma_f32 v108, -v104, v106, v107
	v_fmac_f32_e32 v106, v108, v105
	s_delay_alu instid0(VALU_DEP_1) | instskip(NEXT) | instid1(VALU_DEP_1)
	v_fma_f32 v104, -v104, v106, v107
	v_div_fmas_f32 v104, v104, v105, v106
	s_delay_alu instid0(VALU_DEP_1) | instskip(NEXT) | instid1(VALU_DEP_1)
	v_div_fixup_f32 v104, v104, v103, v102
	v_fmac_f32_e32 v103, v102, v104
	s_delay_alu instid0(VALU_DEP_1) | instskip(SKIP_1) | instid1(VALU_DEP_2)
	v_div_scale_f32 v102, null, v103, v103, 1.0
	v_div_scale_f32 v107, vcc_lo, 1.0, v103, 1.0
	v_rcp_f32_e32 v105, v102
	v_nop
	s_delay_alu instid0(TRANS32_DEP_1) | instskip(NEXT) | instid1(VALU_DEP_1)
	v_fma_f32 v106, -v102, v105, 1.0
	v_fmac_f32_e32 v105, v106, v105
	s_delay_alu instid0(VALU_DEP_1) | instskip(NEXT) | instid1(VALU_DEP_1)
	v_mul_f32_e32 v106, v107, v105
	v_fma_f32 v108, -v102, v106, v107
	s_delay_alu instid0(VALU_DEP_1) | instskip(NEXT) | instid1(VALU_DEP_1)
	v_fmac_f32_e32 v106, v108, v105
	v_fma_f32 v102, -v102, v106, v107
	s_delay_alu instid0(VALU_DEP_1) | instskip(NEXT) | instid1(VALU_DEP_1)
	v_div_fmas_f32 v102, v102, v105, v106
	v_div_fixup_f32 v102, v102, v103, 1.0
	s_delay_alu instid0(VALU_DEP_1)
	v_mul_f32_e32 v104, v104, v102
	v_xor_b32_e32 v105, 0x80000000, v102
                                        ; implicit-def: $vgpr102_vgpr103
.LBB45_41:
	s_and_not1_saveexec_b32 s1, s1
	s_cbranch_execz .LBB45_43
; %bb.42:
	v_div_scale_f32 v104, null, v102, v102, v103
	v_div_scale_f32 v107, vcc_lo, v103, v102, v103
	s_delay_alu instid0(VALU_DEP_2) | instskip(SKIP_1) | instid1(TRANS32_DEP_1)
	v_rcp_f32_e32 v105, v104
	v_nop
	v_fma_f32 v106, -v104, v105, 1.0
	s_delay_alu instid0(VALU_DEP_1) | instskip(NEXT) | instid1(VALU_DEP_1)
	v_fmac_f32_e32 v105, v106, v105
	v_mul_f32_e32 v106, v107, v105
	s_delay_alu instid0(VALU_DEP_1) | instskip(NEXT) | instid1(VALU_DEP_1)
	v_fma_f32 v108, -v104, v106, v107
	v_fmac_f32_e32 v106, v108, v105
	s_delay_alu instid0(VALU_DEP_1) | instskip(NEXT) | instid1(VALU_DEP_1)
	v_fma_f32 v104, -v104, v106, v107
	v_div_fmas_f32 v104, v104, v105, v106
	s_delay_alu instid0(VALU_DEP_1) | instskip(NEXT) | instid1(VALU_DEP_1)
	v_div_fixup_f32 v105, v104, v102, v103
	v_fmac_f32_e32 v102, v103, v105
	s_delay_alu instid0(VALU_DEP_1) | instskip(NEXT) | instid1(VALU_DEP_1)
	v_div_scale_f32 v103, null, v102, v102, 1.0
	v_rcp_f32_e32 v104, v103
	v_nop
	s_delay_alu instid0(TRANS32_DEP_1) | instskip(NEXT) | instid1(VALU_DEP_1)
	v_fma_f32 v106, -v103, v104, 1.0
	v_fmac_f32_e32 v104, v106, v104
	v_div_scale_f32 v106, vcc_lo, 1.0, v102, 1.0
	s_delay_alu instid0(VALU_DEP_1) | instskip(NEXT) | instid1(VALU_DEP_1)
	v_mul_f32_e32 v107, v106, v104
	v_fma_f32 v108, -v103, v107, v106
	s_delay_alu instid0(VALU_DEP_1) | instskip(NEXT) | instid1(VALU_DEP_1)
	v_fmac_f32_e32 v107, v108, v104
	v_fma_f32 v103, -v103, v107, v106
	s_delay_alu instid0(VALU_DEP_1) | instskip(NEXT) | instid1(VALU_DEP_1)
	v_div_fmas_f32 v103, v103, v104, v107
	v_div_fixup_f32 v104, v103, v102, 1.0
	s_delay_alu instid0(VALU_DEP_1)
	v_mul_f32_e64 v105, v105, -v104
.LBB45_43:
	s_or_b32 exec_lo, exec_lo, s1
	ds_store_b64 v141, v[104:105]
.LBB45_44:
	s_or_b32 exec_lo, exec_lo, s2
	s_wait_dscnt 0x0
	s_barrier_signal -1
	s_barrier_wait -1
	ds_load_b64 v[102:103], v141
	s_mov_b32 s1, exec_lo
	v_cmpx_lt_u32_e32 4, v140
	s_cbranch_execz .LBB45_46
; %bb.45:
	ds_load_2addr_b64 v[108:111], v142 offset0:5 offset1:6
	s_wait_dscnt 0x1
	v_pk_mul_f32 v[106:107], v[102:103], v[28:29] op_sel:[1,1] op_sel_hi:[0,1]
	s_delay_alu instid0(VALU_DEP_1) | instskip(SKIP_1) | instid1(VALU_DEP_1)
	v_pk_fma_f32 v[104:105], v[102:103], v[28:29], v[106:107] op_sel_hi:[1,0,1] neg_lo:[0,0,1] neg_hi:[0,0,1]
	v_pk_fma_f32 v[106:107], v[102:103], v[28:29], v[106:107] op_sel_hi:[1,0,1]
	v_dual_mov_b32 v28, v104 :: v_dual_mov_b32 v29, v107
	s_wait_dscnt 0x0
	s_delay_alu instid0(VALU_DEP_2) | instskip(NEXT) | instid1(VALU_DEP_1)
	v_pk_mul_f32 v[112:113], v[108:109], v[106:107] op_sel:[0,1]
	v_pk_fma_f32 v[114:115], v[108:109], v[104:105], v[112:113] op_sel:[0,0,1] op_sel_hi:[1,1,0] neg_lo:[0,0,1] neg_hi:[0,0,1]
	v_pk_fma_f32 v[108:109], v[108:109], v[104:105], v[112:113] op_sel:[0,0,1] op_sel_hi:[1,0,0]
	s_delay_alu instid0(VALU_DEP_1) | instskip(SKIP_1) | instid1(VALU_DEP_1)
	v_mov_b32_e32 v115, v109
	v_pk_mul_f32 v[108:109], v[110:111], v[106:107] op_sel:[0,1]
	v_pk_fma_f32 v[112:113], v[110:111], v[104:105], v[108:109] op_sel:[0,0,1] op_sel_hi:[1,1,0] neg_lo:[0,0,1] neg_hi:[0,0,1]
	v_pk_fma_f32 v[108:109], v[110:111], v[104:105], v[108:109] op_sel:[0,0,1] op_sel_hi:[1,0,0]
	s_delay_alu instid0(VALU_DEP_1)
	v_mov_b32_e32 v113, v109
	ds_load_2addr_b64 v[108:111], v142 offset0:7 offset1:8
	v_pk_add_f32 v[24:25], v[24:25], v[114:115] neg_lo:[0,1] neg_hi:[0,1]
	v_pk_add_f32 v[26:27], v[26:27], v[112:113] neg_lo:[0,1] neg_hi:[0,1]
	s_wait_dscnt 0x0
	v_pk_mul_f32 v[112:113], v[108:109], v[106:107] op_sel:[0,1]
	s_delay_alu instid0(VALU_DEP_1) | instskip(SKIP_2) | instid1(VALU_DEP_2)
	v_pk_fma_f32 v[114:115], v[108:109], v[104:105], v[112:113] op_sel:[0,0,1] op_sel_hi:[1,1,0] neg_lo:[0,0,1] neg_hi:[0,0,1]
	v_pk_fma_f32 v[108:109], v[108:109], v[104:105], v[112:113] op_sel:[0,0,1] op_sel_hi:[1,0,0]
	v_dual_mul_f32 v112, v111, v107 :: v_dual_mov_b32 v108, v111
	v_dual_mov_b32 v115, v109 :: v_dual_mov_b32 v109, v110
	s_delay_alu instid0(VALU_DEP_2) | instskip(SKIP_1) | instid1(VALU_DEP_3)
	v_pk_fma_f32 v[112:113], v[110:111], v[28:29], v[112:113] op_sel_hi:[1,1,0] neg_lo:[0,0,1] neg_hi:[0,0,1]
	v_mul_f32_e32 v110, v111, v104
	v_pk_add_f32 v[22:23], v[22:23], v[114:115] neg_lo:[0,1] neg_hi:[0,1]
	s_delay_alu instid0(VALU_DEP_2) | instskip(NEXT) | instid1(VALU_DEP_1)
	v_pk_fma_f32 v[108:109], v[108:109], v[28:29], v[110:111] op_sel_hi:[1,1,0]
	v_mov_b32_e32 v113, v109
	ds_load_2addr_b64 v[108:111], v142 offset0:9 offset1:10
	v_pk_add_f32 v[42:43], v[42:43], v[112:113] neg_lo:[0,1] neg_hi:[0,1]
	s_wait_dscnt 0x0
	v_pk_mul_f32 v[112:113], v[108:109], v[106:107] op_sel:[0,1]
	s_delay_alu instid0(VALU_DEP_1) | instskip(SKIP_1) | instid1(VALU_DEP_1)
	v_pk_fma_f32 v[114:115], v[108:109], v[104:105], v[112:113] op_sel:[0,0,1] op_sel_hi:[1,1,0] neg_lo:[0,0,1] neg_hi:[0,0,1]
	v_pk_fma_f32 v[108:109], v[108:109], v[104:105], v[112:113] op_sel:[0,0,1] op_sel_hi:[1,0,0]
	v_mov_b32_e32 v115, v109
	v_pk_mul_f32 v[108:109], v[110:111], v[106:107] op_sel:[0,1]
	s_delay_alu instid0(VALU_DEP_1) | instskip(SKIP_1) | instid1(VALU_DEP_1)
	v_pk_fma_f32 v[112:113], v[110:111], v[104:105], v[108:109] op_sel:[0,0,1] op_sel_hi:[1,1,0] neg_lo:[0,0,1] neg_hi:[0,0,1]
	v_pk_fma_f32 v[108:109], v[110:111], v[104:105], v[108:109] op_sel:[0,0,1] op_sel_hi:[1,0,0]
	v_mov_b32_e32 v113, v109
	ds_load_2addr_b64 v[108:111], v142 offset0:11 offset1:12
	v_pk_add_f32 v[38:39], v[38:39], v[114:115] neg_lo:[0,1] neg_hi:[0,1]
	v_pk_add_f32 v[40:41], v[40:41], v[112:113] neg_lo:[0,1] neg_hi:[0,1]
	s_wait_dscnt 0x0
	v_pk_mul_f32 v[112:113], v[108:109], v[106:107] op_sel:[0,1]
	s_delay_alu instid0(VALU_DEP_1) | instskip(SKIP_1) | instid1(VALU_DEP_1)
	v_pk_fma_f32 v[114:115], v[108:109], v[104:105], v[112:113] op_sel:[0,0,1] op_sel_hi:[1,1,0] neg_lo:[0,0,1] neg_hi:[0,0,1]
	v_pk_fma_f32 v[108:109], v[108:109], v[104:105], v[112:113] op_sel:[0,0,1] op_sel_hi:[1,0,0]
	v_mov_b32_e32 v115, v109
	v_pk_mul_f32 v[108:109], v[110:111], v[106:107] op_sel:[0,1]
	s_delay_alu instid0(VALU_DEP_1) | instskip(SKIP_1) | instid1(VALU_DEP_1)
	v_pk_fma_f32 v[112:113], v[110:111], v[104:105], v[108:109] op_sel:[0,0,1] op_sel_hi:[1,1,0] neg_lo:[0,0,1] neg_hi:[0,0,1]
	v_pk_fma_f32 v[108:109], v[110:111], v[104:105], v[108:109] op_sel:[0,0,1] op_sel_hi:[1,0,0]
	v_mov_b32_e32 v113, v109
	ds_load_2addr_b64 v[108:111], v142 offset0:13 offset1:14
	v_pk_add_f32 v[36:37], v[36:37], v[114:115] neg_lo:[0,1] neg_hi:[0,1]
	v_pk_add_f32 v[68:69], v[68:69], v[112:113] neg_lo:[0,1] neg_hi:[0,1]
	s_wait_dscnt 0x0
	v_dual_mul_f32 v112, v109, v107 :: v_dual_mul_f32 v114, v109, v104
	s_delay_alu instid0(VALU_DEP_1) | instskip(NEXT) | instid1(VALU_DEP_2)
	v_pk_fma_f32 v[112:113], v[108:109], v[28:29], v[112:113] op_sel_hi:[1,1,0] neg_lo:[0,0,1] neg_hi:[0,0,1]
	v_pk_fma_f32 v[108:109], v[108:109], v[28:29], v[114:115] op_sel:[1,0,0] op_sel_hi:[0,1,0]
	s_delay_alu instid0(VALU_DEP_1) | instskip(SKIP_1) | instid1(VALU_DEP_2)
	v_mov_b32_e32 v113, v109
	v_pk_mul_f32 v[108:109], v[110:111], v[106:107] op_sel:[0,1]
	v_pk_add_f32 v[64:65], v[64:65], v[112:113] neg_lo:[0,1] neg_hi:[0,1]
	s_delay_alu instid0(VALU_DEP_2) | instskip(SKIP_1) | instid1(VALU_DEP_1)
	v_pk_fma_f32 v[112:113], v[110:111], v[104:105], v[108:109] op_sel:[0,0,1] op_sel_hi:[1,1,0] neg_lo:[0,0,1] neg_hi:[0,0,1]
	v_pk_fma_f32 v[108:109], v[110:111], v[104:105], v[108:109] op_sel:[0,0,1] op_sel_hi:[1,0,0]
	v_mov_b32_e32 v113, v109
	ds_load_2addr_b64 v[108:111], v142 offset0:15 offset1:16
	v_pk_add_f32 v[66:67], v[66:67], v[112:113] neg_lo:[0,1] neg_hi:[0,1]
	s_wait_dscnt 0x0
	v_pk_mul_f32 v[112:113], v[108:109], v[106:107] op_sel:[0,1]
	s_delay_alu instid0(VALU_DEP_1) | instskip(SKIP_1) | instid1(VALU_DEP_1)
	v_pk_fma_f32 v[114:115], v[108:109], v[104:105], v[112:113] op_sel:[0,0,1] op_sel_hi:[1,1,0] neg_lo:[0,0,1] neg_hi:[0,0,1]
	v_pk_fma_f32 v[108:109], v[108:109], v[104:105], v[112:113] op_sel:[0,0,1] op_sel_hi:[1,0,0]
	v_mov_b32_e32 v115, v109
	v_pk_mul_f32 v[108:109], v[110:111], v[106:107] op_sel:[0,1]
	s_delay_alu instid0(VALU_DEP_2) | instskip(NEXT) | instid1(VALU_DEP_2)
	v_pk_add_f32 v[62:63], v[62:63], v[114:115] neg_lo:[0,1] neg_hi:[0,1]
	v_pk_fma_f32 v[112:113], v[110:111], v[104:105], v[108:109] op_sel:[0,0,1] op_sel_hi:[1,1,0] neg_lo:[0,0,1] neg_hi:[0,0,1]
	v_pk_fma_f32 v[108:109], v[110:111], v[104:105], v[108:109] op_sel:[0,0,1] op_sel_hi:[1,0,0]
	s_delay_alu instid0(VALU_DEP_1) | instskip(SKIP_4) | instid1(VALU_DEP_1)
	v_mov_b32_e32 v113, v109
	ds_load_2addr_b64 v[108:111], v142 offset0:17 offset1:18
	v_pk_add_f32 v[84:85], v[84:85], v[112:113] neg_lo:[0,1] neg_hi:[0,1]
	s_wait_dscnt 0x0
	v_pk_mul_f32 v[112:113], v[108:109], v[106:107] op_sel:[0,1]
	v_pk_fma_f32 v[114:115], v[108:109], v[104:105], v[112:113] op_sel:[0,0,1] op_sel_hi:[1,1,0] neg_lo:[0,0,1] neg_hi:[0,0,1]
	v_pk_fma_f32 v[108:109], v[108:109], v[104:105], v[112:113] op_sel:[0,0,1] op_sel_hi:[1,0,0]
	v_dual_mul_f32 v112, v111, v107 :: v_dual_mov_b32 v108, v111
	s_delay_alu instid0(VALU_DEP_2) | instskip(NEXT) | instid1(VALU_DEP_2)
	v_dual_mov_b32 v115, v109 :: v_dual_mov_b32 v109, v110
	v_pk_fma_f32 v[112:113], v[110:111], v[28:29], v[112:113] op_sel_hi:[1,1,0] neg_lo:[0,0,1] neg_hi:[0,0,1]
	v_mul_f32_e32 v110, v111, v104
	s_delay_alu instid0(VALU_DEP_3) | instskip(NEXT) | instid1(VALU_DEP_2)
	v_pk_add_f32 v[80:81], v[80:81], v[114:115] neg_lo:[0,1] neg_hi:[0,1]
	v_pk_fma_f32 v[108:109], v[108:109], v[28:29], v[110:111] op_sel_hi:[1,1,0]
	s_delay_alu instid0(VALU_DEP_1) | instskip(SKIP_4) | instid1(VALU_DEP_1)
	v_mov_b32_e32 v113, v109
	ds_load_2addr_b64 v[108:111], v142 offset0:19 offset1:20
	v_pk_add_f32 v[82:83], v[82:83], v[112:113] neg_lo:[0,1] neg_hi:[0,1]
	s_wait_dscnt 0x0
	v_pk_mul_f32 v[112:113], v[108:109], v[106:107] op_sel:[0,1]
	v_pk_fma_f32 v[114:115], v[108:109], v[104:105], v[112:113] op_sel:[0,0,1] op_sel_hi:[1,1,0] neg_lo:[0,0,1] neg_hi:[0,0,1]
	v_pk_fma_f32 v[108:109], v[108:109], v[104:105], v[112:113] op_sel:[0,0,1] op_sel_hi:[1,0,0]
	s_delay_alu instid0(VALU_DEP_1) | instskip(SKIP_1) | instid1(VALU_DEP_1)
	v_mov_b32_e32 v115, v109
	v_pk_mul_f32 v[108:109], v[110:111], v[106:107] op_sel:[0,1]
	v_pk_fma_f32 v[112:113], v[110:111], v[104:105], v[108:109] op_sel:[0,0,1] op_sel_hi:[1,1,0] neg_lo:[0,0,1] neg_hi:[0,0,1]
	v_pk_fma_f32 v[108:109], v[110:111], v[104:105], v[108:109] op_sel:[0,0,1] op_sel_hi:[1,0,0]
	s_delay_alu instid0(VALU_DEP_1)
	v_mov_b32_e32 v113, v109
	ds_load_2addr_b64 v[108:111], v142 offset0:21 offset1:22
	v_pk_add_f32 v[90:91], v[90:91], v[114:115] neg_lo:[0,1] neg_hi:[0,1]
	v_pk_add_f32 v[88:89], v[88:89], v[112:113] neg_lo:[0,1] neg_hi:[0,1]
	s_wait_dscnt 0x0
	v_pk_mul_f32 v[112:113], v[108:109], v[106:107] op_sel:[0,1]
	v_mul_f32_e32 v106, v111, v107
	s_delay_alu instid0(VALU_DEP_2) | instskip(SKIP_2) | instid1(VALU_DEP_4)
	v_pk_fma_f32 v[114:115], v[108:109], v[104:105], v[112:113] op_sel:[0,0,1] op_sel_hi:[1,1,0] neg_lo:[0,0,1] neg_hi:[0,0,1]
	v_pk_fma_f32 v[108:109], v[108:109], v[104:105], v[112:113] op_sel:[0,0,1] op_sel_hi:[1,0,0]
	v_dual_mov_b32 v108, v111 :: v_dual_mul_f32 v104, v111, v104
	v_pk_fma_f32 v[106:107], v[110:111], v[28:29], v[106:107] op_sel_hi:[1,1,0] neg_lo:[0,0,1] neg_hi:[0,0,1]
	s_delay_alu instid0(VALU_DEP_3) | instskip(NEXT) | instid1(VALU_DEP_1)
	v_dual_mov_b32 v115, v109 :: v_dual_mov_b32 v109, v110
	v_pk_add_f32 v[86:87], v[86:87], v[114:115] neg_lo:[0,1] neg_hi:[0,1]
	s_delay_alu instid0(VALU_DEP_2) | instskip(NEXT) | instid1(VALU_DEP_1)
	v_pk_fma_f32 v[104:105], v[108:109], v[28:29], v[104:105] op_sel_hi:[1,1,0]
	v_mov_b32_e32 v107, v105
	s_delay_alu instid0(VALU_DEP_1)
	v_pk_add_f32 v[92:93], v[92:93], v[106:107] neg_lo:[0,1] neg_hi:[0,1]
.LBB45_46:
	s_or_b32 exec_lo, exec_lo, s1
	s_delay_alu instid0(SALU_CYCLE_1)
	s_mov_b32 s2, exec_lo
	s_wait_dscnt 0x0
	s_barrier_signal -1
	s_barrier_wait -1
	v_cmpx_eq_u32_e32 5, v140
	s_cbranch_execz .LBB45_53
; %bb.47:
	v_dual_mov_b32 v104, v26 :: v_dual_mov_b32 v105, v27
	v_dual_mov_b32 v106, v22 :: v_dual_mov_b32 v107, v23
	ds_store_b64 v141, v[24:25]
	ds_store_2addr_b64 v142, v[104:105], v[106:107] offset0:6 offset1:7
	v_dual_mov_b32 v104, v42 :: v_dual_mov_b32 v105, v43
	v_dual_mov_b32 v106, v38 :: v_dual_mov_b32 v107, v39
	ds_store_2addr_b64 v142, v[104:105], v[106:107] offset0:8 offset1:9
	v_dual_mov_b32 v104, v40 :: v_dual_mov_b32 v105, v41
	v_dual_mov_b32 v106, v36 :: v_dual_mov_b32 v107, v37
	;; [unrolled: 3-line block ×7, first 2 shown]
	ds_store_2addr_b64 v142, v[104:105], v[106:107] offset0:20 offset1:21
	ds_store_b64 v142, v[92:93] offset:176
	ds_load_b64 v[104:105], v141
	s_wait_dscnt 0x0
	v_cmp_neq_f32_e32 vcc_lo, 0, v104
	v_cmp_neq_f32_e64 s1, 0, v105
	s_or_b32 s1, vcc_lo, s1
	s_delay_alu instid0(SALU_CYCLE_1)
	s_and_b32 exec_lo, exec_lo, s1
	s_cbranch_execz .LBB45_53
; %bb.48:
	v_cmp_ngt_f32_e64 s1, |v104|, |v105|
                                        ; implicit-def: $vgpr106_vgpr107
	s_and_saveexec_b32 s4, s1
	s_delay_alu instid0(SALU_CYCLE_1)
	s_xor_b32 s1, exec_lo, s4
	s_cbranch_execz .LBB45_50
; %bb.49:
	v_div_scale_f32 v106, null, v105, v105, v104
	v_div_scale_f32 v109, vcc_lo, v104, v105, v104
	s_delay_alu instid0(VALU_DEP_2) | instskip(SKIP_1) | instid1(TRANS32_DEP_1)
	v_rcp_f32_e32 v107, v106
	v_nop
	v_fma_f32 v108, -v106, v107, 1.0
	s_delay_alu instid0(VALU_DEP_1) | instskip(NEXT) | instid1(VALU_DEP_1)
	v_fmac_f32_e32 v107, v108, v107
	v_mul_f32_e32 v108, v109, v107
	s_delay_alu instid0(VALU_DEP_1) | instskip(NEXT) | instid1(VALU_DEP_1)
	v_fma_f32 v110, -v106, v108, v109
	v_fmac_f32_e32 v108, v110, v107
	s_delay_alu instid0(VALU_DEP_1) | instskip(NEXT) | instid1(VALU_DEP_1)
	v_fma_f32 v106, -v106, v108, v109
	v_div_fmas_f32 v106, v106, v107, v108
	s_delay_alu instid0(VALU_DEP_1) | instskip(NEXT) | instid1(VALU_DEP_1)
	v_div_fixup_f32 v106, v106, v105, v104
	v_fmac_f32_e32 v105, v104, v106
	s_delay_alu instid0(VALU_DEP_1) | instskip(SKIP_1) | instid1(VALU_DEP_2)
	v_div_scale_f32 v104, null, v105, v105, 1.0
	v_div_scale_f32 v109, vcc_lo, 1.0, v105, 1.0
	v_rcp_f32_e32 v107, v104
	v_nop
	s_delay_alu instid0(TRANS32_DEP_1) | instskip(NEXT) | instid1(VALU_DEP_1)
	v_fma_f32 v108, -v104, v107, 1.0
	v_fmac_f32_e32 v107, v108, v107
	s_delay_alu instid0(VALU_DEP_1) | instskip(NEXT) | instid1(VALU_DEP_1)
	v_mul_f32_e32 v108, v109, v107
	v_fma_f32 v110, -v104, v108, v109
	s_delay_alu instid0(VALU_DEP_1) | instskip(NEXT) | instid1(VALU_DEP_1)
	v_fmac_f32_e32 v108, v110, v107
	v_fma_f32 v104, -v104, v108, v109
	s_delay_alu instid0(VALU_DEP_1) | instskip(NEXT) | instid1(VALU_DEP_1)
	v_div_fmas_f32 v104, v104, v107, v108
	v_div_fixup_f32 v104, v104, v105, 1.0
	s_delay_alu instid0(VALU_DEP_1)
	v_mul_f32_e32 v106, v106, v104
	v_xor_b32_e32 v107, 0x80000000, v104
                                        ; implicit-def: $vgpr104_vgpr105
.LBB45_50:
	s_and_not1_saveexec_b32 s1, s1
	s_cbranch_execz .LBB45_52
; %bb.51:
	v_div_scale_f32 v106, null, v104, v104, v105
	v_div_scale_f32 v109, vcc_lo, v105, v104, v105
	s_delay_alu instid0(VALU_DEP_2) | instskip(SKIP_1) | instid1(TRANS32_DEP_1)
	v_rcp_f32_e32 v107, v106
	v_nop
	v_fma_f32 v108, -v106, v107, 1.0
	s_delay_alu instid0(VALU_DEP_1) | instskip(NEXT) | instid1(VALU_DEP_1)
	v_fmac_f32_e32 v107, v108, v107
	v_mul_f32_e32 v108, v109, v107
	s_delay_alu instid0(VALU_DEP_1) | instskip(NEXT) | instid1(VALU_DEP_1)
	v_fma_f32 v110, -v106, v108, v109
	v_fmac_f32_e32 v108, v110, v107
	s_delay_alu instid0(VALU_DEP_1) | instskip(NEXT) | instid1(VALU_DEP_1)
	v_fma_f32 v106, -v106, v108, v109
	v_div_fmas_f32 v106, v106, v107, v108
	s_delay_alu instid0(VALU_DEP_1) | instskip(NEXT) | instid1(VALU_DEP_1)
	v_div_fixup_f32 v107, v106, v104, v105
	v_fmac_f32_e32 v104, v105, v107
	s_delay_alu instid0(VALU_DEP_1) | instskip(NEXT) | instid1(VALU_DEP_1)
	v_div_scale_f32 v105, null, v104, v104, 1.0
	v_rcp_f32_e32 v106, v105
	v_nop
	s_delay_alu instid0(TRANS32_DEP_1) | instskip(NEXT) | instid1(VALU_DEP_1)
	v_fma_f32 v108, -v105, v106, 1.0
	v_fmac_f32_e32 v106, v108, v106
	v_div_scale_f32 v108, vcc_lo, 1.0, v104, 1.0
	s_delay_alu instid0(VALU_DEP_1) | instskip(NEXT) | instid1(VALU_DEP_1)
	v_mul_f32_e32 v109, v108, v106
	v_fma_f32 v110, -v105, v109, v108
	s_delay_alu instid0(VALU_DEP_1) | instskip(NEXT) | instid1(VALU_DEP_1)
	v_fmac_f32_e32 v109, v110, v106
	v_fma_f32 v105, -v105, v109, v108
	s_delay_alu instid0(VALU_DEP_1) | instskip(NEXT) | instid1(VALU_DEP_1)
	v_div_fmas_f32 v105, v105, v106, v109
	v_div_fixup_f32 v106, v105, v104, 1.0
	s_delay_alu instid0(VALU_DEP_1)
	v_mul_f32_e64 v107, v107, -v106
.LBB45_52:
	s_or_b32 exec_lo, exec_lo, s1
	ds_store_b64 v141, v[106:107]
.LBB45_53:
	s_or_b32 exec_lo, exec_lo, s2
	s_wait_dscnt 0x0
	s_barrier_signal -1
	s_barrier_wait -1
	ds_load_b64 v[104:105], v141
	s_mov_b32 s1, exec_lo
	v_cmpx_lt_u32_e32 5, v140
	s_cbranch_execz .LBB45_55
; %bb.54:
	ds_load_2addr_b64 v[110:113], v142 offset0:6 offset1:7
	s_wait_dscnt 0x1
	v_pk_mul_f32 v[108:109], v[104:105], v[24:25] op_sel:[1,1] op_sel_hi:[0,1]
	s_delay_alu instid0(VALU_DEP_1) | instskip(SKIP_1) | instid1(VALU_DEP_1)
	v_pk_fma_f32 v[106:107], v[104:105], v[24:25], v[108:109] op_sel_hi:[1,0,1] neg_lo:[0,0,1] neg_hi:[0,0,1]
	v_pk_fma_f32 v[108:109], v[104:105], v[24:25], v[108:109] op_sel_hi:[1,0,1]
	v_dual_mov_b32 v24, v106 :: v_dual_mov_b32 v25, v109
	s_wait_dscnt 0x0
	s_delay_alu instid0(VALU_DEP_2) | instskip(NEXT) | instid1(VALU_DEP_1)
	v_pk_mul_f32 v[114:115], v[110:111], v[108:109] op_sel:[0,1]
	v_pk_fma_f32 v[116:117], v[110:111], v[106:107], v[114:115] op_sel:[0,0,1] op_sel_hi:[1,1,0] neg_lo:[0,0,1] neg_hi:[0,0,1]
	v_pk_fma_f32 v[110:111], v[110:111], v[106:107], v[114:115] op_sel:[0,0,1] op_sel_hi:[1,0,0]
	s_delay_alu instid0(VALU_DEP_1) | instskip(SKIP_1) | instid1(VALU_DEP_1)
	v_mov_b32_e32 v117, v111
	v_pk_mul_f32 v[110:111], v[112:113], v[108:109] op_sel:[0,1]
	v_pk_fma_f32 v[114:115], v[112:113], v[106:107], v[110:111] op_sel:[0,0,1] op_sel_hi:[1,1,0] neg_lo:[0,0,1] neg_hi:[0,0,1]
	v_pk_fma_f32 v[110:111], v[112:113], v[106:107], v[110:111] op_sel:[0,0,1] op_sel_hi:[1,0,0]
	s_delay_alu instid0(VALU_DEP_1)
	v_mov_b32_e32 v115, v111
	ds_load_2addr_b64 v[110:113], v142 offset0:8 offset1:9
	v_pk_add_f32 v[26:27], v[26:27], v[116:117] neg_lo:[0,1] neg_hi:[0,1]
	v_pk_add_f32 v[22:23], v[22:23], v[114:115] neg_lo:[0,1] neg_hi:[0,1]
	s_wait_dscnt 0x0
	v_pk_mul_f32 v[114:115], v[110:111], v[108:109] op_sel:[0,1]
	s_delay_alu instid0(VALU_DEP_1) | instskip(SKIP_2) | instid1(VALU_DEP_2)
	v_pk_fma_f32 v[116:117], v[110:111], v[106:107], v[114:115] op_sel:[0,0,1] op_sel_hi:[1,1,0] neg_lo:[0,0,1] neg_hi:[0,0,1]
	v_pk_fma_f32 v[110:111], v[110:111], v[106:107], v[114:115] op_sel:[0,0,1] op_sel_hi:[1,0,0]
	v_dual_mul_f32 v114, v113, v109 :: v_dual_mov_b32 v110, v113
	v_dual_mov_b32 v117, v111 :: v_dual_mov_b32 v111, v112
	s_delay_alu instid0(VALU_DEP_2) | instskip(SKIP_1) | instid1(VALU_DEP_3)
	v_pk_fma_f32 v[114:115], v[112:113], v[24:25], v[114:115] op_sel_hi:[1,1,0] neg_lo:[0,0,1] neg_hi:[0,0,1]
	v_mul_f32_e32 v112, v113, v106
	v_pk_add_f32 v[42:43], v[42:43], v[116:117] neg_lo:[0,1] neg_hi:[0,1]
	s_delay_alu instid0(VALU_DEP_2) | instskip(NEXT) | instid1(VALU_DEP_1)
	v_pk_fma_f32 v[110:111], v[110:111], v[24:25], v[112:113] op_sel_hi:[1,1,0]
	v_mov_b32_e32 v115, v111
	ds_load_2addr_b64 v[110:113], v142 offset0:10 offset1:11
	v_pk_add_f32 v[38:39], v[38:39], v[114:115] neg_lo:[0,1] neg_hi:[0,1]
	s_wait_dscnt 0x0
	v_pk_mul_f32 v[114:115], v[110:111], v[108:109] op_sel:[0,1]
	s_delay_alu instid0(VALU_DEP_1) | instskip(SKIP_1) | instid1(VALU_DEP_1)
	v_pk_fma_f32 v[116:117], v[110:111], v[106:107], v[114:115] op_sel:[0,0,1] op_sel_hi:[1,1,0] neg_lo:[0,0,1] neg_hi:[0,0,1]
	v_pk_fma_f32 v[110:111], v[110:111], v[106:107], v[114:115] op_sel:[0,0,1] op_sel_hi:[1,0,0]
	v_mov_b32_e32 v117, v111
	v_pk_mul_f32 v[110:111], v[112:113], v[108:109] op_sel:[0,1]
	s_delay_alu instid0(VALU_DEP_1) | instskip(SKIP_1) | instid1(VALU_DEP_1)
	v_pk_fma_f32 v[114:115], v[112:113], v[106:107], v[110:111] op_sel:[0,0,1] op_sel_hi:[1,1,0] neg_lo:[0,0,1] neg_hi:[0,0,1]
	v_pk_fma_f32 v[110:111], v[112:113], v[106:107], v[110:111] op_sel:[0,0,1] op_sel_hi:[1,0,0]
	v_mov_b32_e32 v115, v111
	ds_load_2addr_b64 v[110:113], v142 offset0:12 offset1:13
	v_pk_add_f32 v[40:41], v[40:41], v[116:117] neg_lo:[0,1] neg_hi:[0,1]
	v_pk_add_f32 v[36:37], v[36:37], v[114:115] neg_lo:[0,1] neg_hi:[0,1]
	s_wait_dscnt 0x0
	v_pk_mul_f32 v[114:115], v[110:111], v[108:109] op_sel:[0,1]
	s_delay_alu instid0(VALU_DEP_1) | instskip(SKIP_1) | instid1(VALU_DEP_1)
	v_pk_fma_f32 v[116:117], v[110:111], v[106:107], v[114:115] op_sel:[0,0,1] op_sel_hi:[1,1,0] neg_lo:[0,0,1] neg_hi:[0,0,1]
	v_pk_fma_f32 v[110:111], v[110:111], v[106:107], v[114:115] op_sel:[0,0,1] op_sel_hi:[1,0,0]
	v_mov_b32_e32 v117, v111
	v_pk_mul_f32 v[110:111], v[112:113], v[108:109] op_sel:[0,1]
	s_delay_alu instid0(VALU_DEP_1) | instskip(SKIP_1) | instid1(VALU_DEP_1)
	v_pk_fma_f32 v[114:115], v[112:113], v[106:107], v[110:111] op_sel:[0,0,1] op_sel_hi:[1,1,0] neg_lo:[0,0,1] neg_hi:[0,0,1]
	v_pk_fma_f32 v[110:111], v[112:113], v[106:107], v[110:111] op_sel:[0,0,1] op_sel_hi:[1,0,0]
	v_mov_b32_e32 v115, v111
	ds_load_2addr_b64 v[110:113], v142 offset0:14 offset1:15
	v_pk_add_f32 v[68:69], v[68:69], v[116:117] neg_lo:[0,1] neg_hi:[0,1]
	v_pk_add_f32 v[64:65], v[64:65], v[114:115] neg_lo:[0,1] neg_hi:[0,1]
	s_wait_dscnt 0x0
	v_dual_mul_f32 v114, v111, v109 :: v_dual_mul_f32 v116, v111, v106
	s_delay_alu instid0(VALU_DEP_1) | instskip(NEXT) | instid1(VALU_DEP_2)
	v_pk_fma_f32 v[114:115], v[110:111], v[24:25], v[114:115] op_sel_hi:[1,1,0] neg_lo:[0,0,1] neg_hi:[0,0,1]
	v_pk_fma_f32 v[110:111], v[110:111], v[24:25], v[116:117] op_sel:[1,0,0] op_sel_hi:[0,1,0]
	s_delay_alu instid0(VALU_DEP_1) | instskip(SKIP_1) | instid1(VALU_DEP_2)
	v_mov_b32_e32 v115, v111
	v_pk_mul_f32 v[110:111], v[112:113], v[108:109] op_sel:[0,1]
	v_pk_add_f32 v[66:67], v[66:67], v[114:115] neg_lo:[0,1] neg_hi:[0,1]
	s_delay_alu instid0(VALU_DEP_2) | instskip(SKIP_1) | instid1(VALU_DEP_1)
	v_pk_fma_f32 v[114:115], v[112:113], v[106:107], v[110:111] op_sel:[0,0,1] op_sel_hi:[1,1,0] neg_lo:[0,0,1] neg_hi:[0,0,1]
	v_pk_fma_f32 v[110:111], v[112:113], v[106:107], v[110:111] op_sel:[0,0,1] op_sel_hi:[1,0,0]
	v_mov_b32_e32 v115, v111
	ds_load_2addr_b64 v[110:113], v142 offset0:16 offset1:17
	v_pk_add_f32 v[62:63], v[62:63], v[114:115] neg_lo:[0,1] neg_hi:[0,1]
	s_wait_dscnt 0x0
	v_pk_mul_f32 v[114:115], v[110:111], v[108:109] op_sel:[0,1]
	s_delay_alu instid0(VALU_DEP_1) | instskip(SKIP_1) | instid1(VALU_DEP_1)
	v_pk_fma_f32 v[116:117], v[110:111], v[106:107], v[114:115] op_sel:[0,0,1] op_sel_hi:[1,1,0] neg_lo:[0,0,1] neg_hi:[0,0,1]
	v_pk_fma_f32 v[110:111], v[110:111], v[106:107], v[114:115] op_sel:[0,0,1] op_sel_hi:[1,0,0]
	v_mov_b32_e32 v117, v111
	v_pk_mul_f32 v[110:111], v[112:113], v[108:109] op_sel:[0,1]
	s_delay_alu instid0(VALU_DEP_2) | instskip(NEXT) | instid1(VALU_DEP_2)
	v_pk_add_f32 v[84:85], v[84:85], v[116:117] neg_lo:[0,1] neg_hi:[0,1]
	v_pk_fma_f32 v[114:115], v[112:113], v[106:107], v[110:111] op_sel:[0,0,1] op_sel_hi:[1,1,0] neg_lo:[0,0,1] neg_hi:[0,0,1]
	v_pk_fma_f32 v[110:111], v[112:113], v[106:107], v[110:111] op_sel:[0,0,1] op_sel_hi:[1,0,0]
	s_delay_alu instid0(VALU_DEP_1) | instskip(SKIP_4) | instid1(VALU_DEP_1)
	v_mov_b32_e32 v115, v111
	ds_load_2addr_b64 v[110:113], v142 offset0:18 offset1:19
	v_pk_add_f32 v[80:81], v[80:81], v[114:115] neg_lo:[0,1] neg_hi:[0,1]
	s_wait_dscnt 0x0
	v_pk_mul_f32 v[114:115], v[110:111], v[108:109] op_sel:[0,1]
	v_pk_fma_f32 v[116:117], v[110:111], v[106:107], v[114:115] op_sel:[0,0,1] op_sel_hi:[1,1,0] neg_lo:[0,0,1] neg_hi:[0,0,1]
	v_pk_fma_f32 v[110:111], v[110:111], v[106:107], v[114:115] op_sel:[0,0,1] op_sel_hi:[1,0,0]
	v_dual_mul_f32 v114, v113, v109 :: v_dual_mov_b32 v110, v113
	s_delay_alu instid0(VALU_DEP_2) | instskip(NEXT) | instid1(VALU_DEP_2)
	v_dual_mov_b32 v117, v111 :: v_dual_mov_b32 v111, v112
	v_pk_fma_f32 v[114:115], v[112:113], v[24:25], v[114:115] op_sel_hi:[1,1,0] neg_lo:[0,0,1] neg_hi:[0,0,1]
	v_mul_f32_e32 v112, v113, v106
	s_delay_alu instid0(VALU_DEP_3) | instskip(NEXT) | instid1(VALU_DEP_2)
	v_pk_add_f32 v[82:83], v[82:83], v[116:117] neg_lo:[0,1] neg_hi:[0,1]
	v_pk_fma_f32 v[110:111], v[110:111], v[24:25], v[112:113] op_sel_hi:[1,1,0]
	s_delay_alu instid0(VALU_DEP_1) | instskip(SKIP_4) | instid1(VALU_DEP_1)
	v_mov_b32_e32 v115, v111
	ds_load_2addr_b64 v[110:113], v142 offset0:20 offset1:21
	v_pk_add_f32 v[90:91], v[90:91], v[114:115] neg_lo:[0,1] neg_hi:[0,1]
	s_wait_dscnt 0x0
	v_pk_mul_f32 v[114:115], v[110:111], v[108:109] op_sel:[0,1]
	v_pk_fma_f32 v[116:117], v[110:111], v[106:107], v[114:115] op_sel:[0,0,1] op_sel_hi:[1,1,0] neg_lo:[0,0,1] neg_hi:[0,0,1]
	v_pk_fma_f32 v[110:111], v[110:111], v[106:107], v[114:115] op_sel:[0,0,1] op_sel_hi:[1,0,0]
	s_delay_alu instid0(VALU_DEP_1) | instskip(SKIP_1) | instid1(VALU_DEP_1)
	v_mov_b32_e32 v117, v111
	v_pk_mul_f32 v[110:111], v[112:113], v[108:109] op_sel:[0,1]
	v_pk_fma_f32 v[114:115], v[112:113], v[106:107], v[110:111] op_sel:[0,0,1] op_sel_hi:[1,1,0] neg_lo:[0,0,1] neg_hi:[0,0,1]
	v_pk_fma_f32 v[110:111], v[112:113], v[106:107], v[110:111] op_sel:[0,0,1] op_sel_hi:[1,0,0]
	s_delay_alu instid0(VALU_DEP_1)
	v_mov_b32_e32 v115, v111
	ds_load_b64 v[110:111], v142 offset:176
	v_pk_add_f32 v[88:89], v[88:89], v[116:117] neg_lo:[0,1] neg_hi:[0,1]
	v_pk_add_f32 v[86:87], v[86:87], v[114:115] neg_lo:[0,1] neg_hi:[0,1]
	s_wait_dscnt 0x0
	v_pk_mul_f32 v[108:109], v[110:111], v[108:109] op_sel:[0,1]
	s_delay_alu instid0(VALU_DEP_1) | instskip(SKIP_1) | instid1(VALU_DEP_1)
	v_pk_fma_f32 v[112:113], v[110:111], v[106:107], v[108:109] op_sel:[0,0,1] op_sel_hi:[1,1,0] neg_lo:[0,0,1] neg_hi:[0,0,1]
	v_pk_fma_f32 v[106:107], v[110:111], v[106:107], v[108:109] op_sel:[0,0,1] op_sel_hi:[1,0,0]
	v_mov_b32_e32 v113, v107
	s_delay_alu instid0(VALU_DEP_1)
	v_pk_add_f32 v[92:93], v[92:93], v[112:113] neg_lo:[0,1] neg_hi:[0,1]
.LBB45_55:
	s_or_b32 exec_lo, exec_lo, s1
	s_delay_alu instid0(SALU_CYCLE_1)
	s_mov_b32 s2, exec_lo
	s_wait_dscnt 0x0
	s_barrier_signal -1
	s_barrier_wait -1
	v_cmpx_eq_u32_e32 6, v140
	s_cbranch_execz .LBB45_62
; %bb.56:
	ds_store_b64 v141, v[26:27]
	ds_store_2addr_b64 v142, v[22:23], v[42:43] offset0:7 offset1:8
	ds_store_2addr_b64 v142, v[38:39], v[40:41] offset0:9 offset1:10
	;; [unrolled: 1-line block ×8, first 2 shown]
	ds_load_b64 v[106:107], v141
	s_wait_dscnt 0x0
	v_cmp_neq_f32_e32 vcc_lo, 0, v106
	v_cmp_neq_f32_e64 s1, 0, v107
	s_or_b32 s1, vcc_lo, s1
	s_delay_alu instid0(SALU_CYCLE_1)
	s_and_b32 exec_lo, exec_lo, s1
	s_cbranch_execz .LBB45_62
; %bb.57:
	v_cmp_ngt_f32_e64 s1, |v106|, |v107|
                                        ; implicit-def: $vgpr108_vgpr109
	s_and_saveexec_b32 s4, s1
	s_delay_alu instid0(SALU_CYCLE_1)
	s_xor_b32 s1, exec_lo, s4
	s_cbranch_execz .LBB45_59
; %bb.58:
	v_div_scale_f32 v108, null, v107, v107, v106
	v_div_scale_f32 v111, vcc_lo, v106, v107, v106
	s_delay_alu instid0(VALU_DEP_2) | instskip(SKIP_1) | instid1(TRANS32_DEP_1)
	v_rcp_f32_e32 v109, v108
	v_nop
	v_fma_f32 v110, -v108, v109, 1.0
	s_delay_alu instid0(VALU_DEP_1) | instskip(NEXT) | instid1(VALU_DEP_1)
	v_fmac_f32_e32 v109, v110, v109
	v_mul_f32_e32 v110, v111, v109
	s_delay_alu instid0(VALU_DEP_1) | instskip(NEXT) | instid1(VALU_DEP_1)
	v_fma_f32 v112, -v108, v110, v111
	v_fmac_f32_e32 v110, v112, v109
	s_delay_alu instid0(VALU_DEP_1) | instskip(NEXT) | instid1(VALU_DEP_1)
	v_fma_f32 v108, -v108, v110, v111
	v_div_fmas_f32 v108, v108, v109, v110
	s_delay_alu instid0(VALU_DEP_1) | instskip(NEXT) | instid1(VALU_DEP_1)
	v_div_fixup_f32 v108, v108, v107, v106
	v_fmac_f32_e32 v107, v106, v108
	s_delay_alu instid0(VALU_DEP_1) | instskip(SKIP_1) | instid1(VALU_DEP_2)
	v_div_scale_f32 v106, null, v107, v107, 1.0
	v_div_scale_f32 v111, vcc_lo, 1.0, v107, 1.0
	v_rcp_f32_e32 v109, v106
	v_nop
	s_delay_alu instid0(TRANS32_DEP_1) | instskip(NEXT) | instid1(VALU_DEP_1)
	v_fma_f32 v110, -v106, v109, 1.0
	v_fmac_f32_e32 v109, v110, v109
	s_delay_alu instid0(VALU_DEP_1) | instskip(NEXT) | instid1(VALU_DEP_1)
	v_mul_f32_e32 v110, v111, v109
	v_fma_f32 v112, -v106, v110, v111
	s_delay_alu instid0(VALU_DEP_1) | instskip(NEXT) | instid1(VALU_DEP_1)
	v_fmac_f32_e32 v110, v112, v109
	v_fma_f32 v106, -v106, v110, v111
	s_delay_alu instid0(VALU_DEP_1) | instskip(NEXT) | instid1(VALU_DEP_1)
	v_div_fmas_f32 v106, v106, v109, v110
	v_div_fixup_f32 v106, v106, v107, 1.0
	s_delay_alu instid0(VALU_DEP_1)
	v_mul_f32_e32 v108, v108, v106
	v_xor_b32_e32 v109, 0x80000000, v106
                                        ; implicit-def: $vgpr106_vgpr107
.LBB45_59:
	s_and_not1_saveexec_b32 s1, s1
	s_cbranch_execz .LBB45_61
; %bb.60:
	v_div_scale_f32 v108, null, v106, v106, v107
	v_div_scale_f32 v111, vcc_lo, v107, v106, v107
	s_delay_alu instid0(VALU_DEP_2) | instskip(SKIP_1) | instid1(TRANS32_DEP_1)
	v_rcp_f32_e32 v109, v108
	v_nop
	v_fma_f32 v110, -v108, v109, 1.0
	s_delay_alu instid0(VALU_DEP_1) | instskip(NEXT) | instid1(VALU_DEP_1)
	v_fmac_f32_e32 v109, v110, v109
	v_mul_f32_e32 v110, v111, v109
	s_delay_alu instid0(VALU_DEP_1) | instskip(NEXT) | instid1(VALU_DEP_1)
	v_fma_f32 v112, -v108, v110, v111
	v_fmac_f32_e32 v110, v112, v109
	s_delay_alu instid0(VALU_DEP_1) | instskip(NEXT) | instid1(VALU_DEP_1)
	v_fma_f32 v108, -v108, v110, v111
	v_div_fmas_f32 v108, v108, v109, v110
	s_delay_alu instid0(VALU_DEP_1) | instskip(NEXT) | instid1(VALU_DEP_1)
	v_div_fixup_f32 v109, v108, v106, v107
	v_fmac_f32_e32 v106, v107, v109
	s_delay_alu instid0(VALU_DEP_1) | instskip(NEXT) | instid1(VALU_DEP_1)
	v_div_scale_f32 v107, null, v106, v106, 1.0
	v_rcp_f32_e32 v108, v107
	v_nop
	s_delay_alu instid0(TRANS32_DEP_1) | instskip(NEXT) | instid1(VALU_DEP_1)
	v_fma_f32 v110, -v107, v108, 1.0
	v_fmac_f32_e32 v108, v110, v108
	v_div_scale_f32 v110, vcc_lo, 1.0, v106, 1.0
	s_delay_alu instid0(VALU_DEP_1) | instskip(NEXT) | instid1(VALU_DEP_1)
	v_mul_f32_e32 v111, v110, v108
	v_fma_f32 v112, -v107, v111, v110
	s_delay_alu instid0(VALU_DEP_1) | instskip(NEXT) | instid1(VALU_DEP_1)
	v_fmac_f32_e32 v111, v112, v108
	v_fma_f32 v107, -v107, v111, v110
	s_delay_alu instid0(VALU_DEP_1) | instskip(NEXT) | instid1(VALU_DEP_1)
	v_div_fmas_f32 v107, v107, v108, v111
	v_div_fixup_f32 v108, v107, v106, 1.0
	s_delay_alu instid0(VALU_DEP_1)
	v_mul_f32_e64 v109, v109, -v108
.LBB45_61:
	s_or_b32 exec_lo, exec_lo, s1
	ds_store_b64 v141, v[108:109]
.LBB45_62:
	s_or_b32 exec_lo, exec_lo, s2
	s_wait_dscnt 0x0
	s_barrier_signal -1
	s_barrier_wait -1
	ds_load_b64 v[106:107], v141
	s_mov_b32 s1, exec_lo
	v_cmpx_lt_u32_e32 6, v140
	s_cbranch_execz .LBB45_64
; %bb.63:
	ds_load_2addr_b64 v[112:115], v142 offset0:7 offset1:8
	s_wait_dscnt 0x1
	v_pk_mul_f32 v[110:111], v[106:107], v[26:27] op_sel:[1,1] op_sel_hi:[0,1]
	s_delay_alu instid0(VALU_DEP_1) | instskip(SKIP_1) | instid1(VALU_DEP_1)
	v_pk_fma_f32 v[108:109], v[106:107], v[26:27], v[110:111] op_sel_hi:[1,0,1] neg_lo:[0,0,1] neg_hi:[0,0,1]
	v_pk_fma_f32 v[110:111], v[106:107], v[26:27], v[110:111] op_sel_hi:[1,0,1]
	v_dual_mov_b32 v26, v108 :: v_dual_mov_b32 v27, v111
	s_wait_dscnt 0x0
	s_delay_alu instid0(VALU_DEP_2) | instskip(NEXT) | instid1(VALU_DEP_1)
	v_pk_mul_f32 v[116:117], v[112:113], v[110:111] op_sel:[0,1]
	v_pk_fma_f32 v[118:119], v[112:113], v[108:109], v[116:117] op_sel:[0,0,1] op_sel_hi:[1,1,0] neg_lo:[0,0,1] neg_hi:[0,0,1]
	v_pk_fma_f32 v[112:113], v[112:113], v[108:109], v[116:117] op_sel:[0,0,1] op_sel_hi:[1,0,0]
	s_delay_alu instid0(VALU_DEP_1) | instskip(SKIP_1) | instid1(VALU_DEP_1)
	v_mov_b32_e32 v119, v113
	v_pk_mul_f32 v[112:113], v[114:115], v[110:111] op_sel:[0,1]
	v_pk_fma_f32 v[116:117], v[114:115], v[108:109], v[112:113] op_sel:[0,0,1] op_sel_hi:[1,1,0] neg_lo:[0,0,1] neg_hi:[0,0,1]
	v_pk_fma_f32 v[112:113], v[114:115], v[108:109], v[112:113] op_sel:[0,0,1] op_sel_hi:[1,0,0]
	s_delay_alu instid0(VALU_DEP_1)
	v_mov_b32_e32 v117, v113
	ds_load_2addr_b64 v[112:115], v142 offset0:9 offset1:10
	v_pk_add_f32 v[22:23], v[22:23], v[118:119] neg_lo:[0,1] neg_hi:[0,1]
	v_pk_add_f32 v[42:43], v[42:43], v[116:117] neg_lo:[0,1] neg_hi:[0,1]
	s_wait_dscnt 0x0
	v_pk_mul_f32 v[116:117], v[112:113], v[110:111] op_sel:[0,1]
	s_delay_alu instid0(VALU_DEP_1) | instskip(SKIP_2) | instid1(VALU_DEP_2)
	v_pk_fma_f32 v[118:119], v[112:113], v[108:109], v[116:117] op_sel:[0,0,1] op_sel_hi:[1,1,0] neg_lo:[0,0,1] neg_hi:[0,0,1]
	v_pk_fma_f32 v[112:113], v[112:113], v[108:109], v[116:117] op_sel:[0,0,1] op_sel_hi:[1,0,0]
	v_dual_mul_f32 v116, v115, v111 :: v_dual_mov_b32 v112, v115
	v_dual_mov_b32 v119, v113 :: v_dual_mov_b32 v113, v114
	s_delay_alu instid0(VALU_DEP_2) | instskip(SKIP_1) | instid1(VALU_DEP_3)
	v_pk_fma_f32 v[116:117], v[114:115], v[26:27], v[116:117] op_sel_hi:[1,1,0] neg_lo:[0,0,1] neg_hi:[0,0,1]
	v_mul_f32_e32 v114, v115, v108
	v_pk_add_f32 v[38:39], v[38:39], v[118:119] neg_lo:[0,1] neg_hi:[0,1]
	s_delay_alu instid0(VALU_DEP_2) | instskip(NEXT) | instid1(VALU_DEP_1)
	v_pk_fma_f32 v[112:113], v[112:113], v[26:27], v[114:115] op_sel_hi:[1,1,0]
	v_mov_b32_e32 v117, v113
	ds_load_2addr_b64 v[112:115], v142 offset0:11 offset1:12
	v_pk_add_f32 v[40:41], v[40:41], v[116:117] neg_lo:[0,1] neg_hi:[0,1]
	s_wait_dscnt 0x0
	v_pk_mul_f32 v[116:117], v[112:113], v[110:111] op_sel:[0,1]
	s_delay_alu instid0(VALU_DEP_1) | instskip(SKIP_1) | instid1(VALU_DEP_1)
	v_pk_fma_f32 v[118:119], v[112:113], v[108:109], v[116:117] op_sel:[0,0,1] op_sel_hi:[1,1,0] neg_lo:[0,0,1] neg_hi:[0,0,1]
	v_pk_fma_f32 v[112:113], v[112:113], v[108:109], v[116:117] op_sel:[0,0,1] op_sel_hi:[1,0,0]
	v_mov_b32_e32 v119, v113
	v_pk_mul_f32 v[112:113], v[114:115], v[110:111] op_sel:[0,1]
	s_delay_alu instid0(VALU_DEP_1) | instskip(SKIP_1) | instid1(VALU_DEP_1)
	v_pk_fma_f32 v[116:117], v[114:115], v[108:109], v[112:113] op_sel:[0,0,1] op_sel_hi:[1,1,0] neg_lo:[0,0,1] neg_hi:[0,0,1]
	v_pk_fma_f32 v[112:113], v[114:115], v[108:109], v[112:113] op_sel:[0,0,1] op_sel_hi:[1,0,0]
	v_mov_b32_e32 v117, v113
	ds_load_2addr_b64 v[112:115], v142 offset0:13 offset1:14
	v_pk_add_f32 v[36:37], v[36:37], v[118:119] neg_lo:[0,1] neg_hi:[0,1]
	v_pk_add_f32 v[68:69], v[68:69], v[116:117] neg_lo:[0,1] neg_hi:[0,1]
	s_wait_dscnt 0x0
	v_pk_mul_f32 v[116:117], v[112:113], v[110:111] op_sel:[0,1]
	s_delay_alu instid0(VALU_DEP_1) | instskip(SKIP_1) | instid1(VALU_DEP_1)
	v_pk_fma_f32 v[118:119], v[112:113], v[108:109], v[116:117] op_sel:[0,0,1] op_sel_hi:[1,1,0] neg_lo:[0,0,1] neg_hi:[0,0,1]
	v_pk_fma_f32 v[112:113], v[112:113], v[108:109], v[116:117] op_sel:[0,0,1] op_sel_hi:[1,0,0]
	v_mov_b32_e32 v119, v113
	v_pk_mul_f32 v[112:113], v[114:115], v[110:111] op_sel:[0,1]
	s_delay_alu instid0(VALU_DEP_1) | instskip(SKIP_1) | instid1(VALU_DEP_1)
	v_pk_fma_f32 v[116:117], v[114:115], v[108:109], v[112:113] op_sel:[0,0,1] op_sel_hi:[1,1,0] neg_lo:[0,0,1] neg_hi:[0,0,1]
	v_pk_fma_f32 v[112:113], v[114:115], v[108:109], v[112:113] op_sel:[0,0,1] op_sel_hi:[1,0,0]
	v_mov_b32_e32 v117, v113
	ds_load_2addr_b64 v[112:115], v142 offset0:15 offset1:16
	v_pk_add_f32 v[64:65], v[64:65], v[118:119] neg_lo:[0,1] neg_hi:[0,1]
	v_pk_add_f32 v[66:67], v[66:67], v[116:117] neg_lo:[0,1] neg_hi:[0,1]
	s_wait_dscnt 0x0
	v_dual_mul_f32 v116, v113, v111 :: v_dual_mul_f32 v118, v113, v108
	s_delay_alu instid0(VALU_DEP_1) | instskip(NEXT) | instid1(VALU_DEP_2)
	v_pk_fma_f32 v[116:117], v[112:113], v[26:27], v[116:117] op_sel_hi:[1,1,0] neg_lo:[0,0,1] neg_hi:[0,0,1]
	v_pk_fma_f32 v[112:113], v[112:113], v[26:27], v[118:119] op_sel:[1,0,0] op_sel_hi:[0,1,0]
	s_delay_alu instid0(VALU_DEP_1) | instskip(SKIP_1) | instid1(VALU_DEP_2)
	v_mov_b32_e32 v117, v113
	v_pk_mul_f32 v[112:113], v[114:115], v[110:111] op_sel:[0,1]
	v_pk_add_f32 v[62:63], v[62:63], v[116:117] neg_lo:[0,1] neg_hi:[0,1]
	s_delay_alu instid0(VALU_DEP_2) | instskip(SKIP_1) | instid1(VALU_DEP_1)
	v_pk_fma_f32 v[116:117], v[114:115], v[108:109], v[112:113] op_sel:[0,0,1] op_sel_hi:[1,1,0] neg_lo:[0,0,1] neg_hi:[0,0,1]
	v_pk_fma_f32 v[112:113], v[114:115], v[108:109], v[112:113] op_sel:[0,0,1] op_sel_hi:[1,0,0]
	v_mov_b32_e32 v117, v113
	ds_load_2addr_b64 v[112:115], v142 offset0:17 offset1:18
	v_pk_add_f32 v[84:85], v[84:85], v[116:117] neg_lo:[0,1] neg_hi:[0,1]
	s_wait_dscnt 0x0
	v_pk_mul_f32 v[116:117], v[112:113], v[110:111] op_sel:[0,1]
	s_delay_alu instid0(VALU_DEP_1) | instskip(SKIP_1) | instid1(VALU_DEP_1)
	v_pk_fma_f32 v[118:119], v[112:113], v[108:109], v[116:117] op_sel:[0,0,1] op_sel_hi:[1,1,0] neg_lo:[0,0,1] neg_hi:[0,0,1]
	v_pk_fma_f32 v[112:113], v[112:113], v[108:109], v[116:117] op_sel:[0,0,1] op_sel_hi:[1,0,0]
	v_mov_b32_e32 v119, v113
	v_pk_mul_f32 v[112:113], v[114:115], v[110:111] op_sel:[0,1]
	s_delay_alu instid0(VALU_DEP_2) | instskip(NEXT) | instid1(VALU_DEP_2)
	v_pk_add_f32 v[80:81], v[80:81], v[118:119] neg_lo:[0,1] neg_hi:[0,1]
	v_pk_fma_f32 v[116:117], v[114:115], v[108:109], v[112:113] op_sel:[0,0,1] op_sel_hi:[1,1,0] neg_lo:[0,0,1] neg_hi:[0,0,1]
	v_pk_fma_f32 v[112:113], v[114:115], v[108:109], v[112:113] op_sel:[0,0,1] op_sel_hi:[1,0,0]
	s_delay_alu instid0(VALU_DEP_1) | instskip(SKIP_4) | instid1(VALU_DEP_1)
	v_mov_b32_e32 v117, v113
	ds_load_2addr_b64 v[112:115], v142 offset0:19 offset1:20
	v_pk_add_f32 v[82:83], v[82:83], v[116:117] neg_lo:[0,1] neg_hi:[0,1]
	s_wait_dscnt 0x0
	v_pk_mul_f32 v[116:117], v[112:113], v[110:111] op_sel:[0,1]
	v_pk_fma_f32 v[118:119], v[112:113], v[108:109], v[116:117] op_sel:[0,0,1] op_sel_hi:[1,1,0] neg_lo:[0,0,1] neg_hi:[0,0,1]
	v_pk_fma_f32 v[112:113], v[112:113], v[108:109], v[116:117] op_sel:[0,0,1] op_sel_hi:[1,0,0]
	v_dual_mul_f32 v116, v115, v111 :: v_dual_mov_b32 v112, v115
	s_delay_alu instid0(VALU_DEP_2) | instskip(NEXT) | instid1(VALU_DEP_2)
	v_dual_mov_b32 v119, v113 :: v_dual_mov_b32 v113, v114
	v_pk_fma_f32 v[116:117], v[114:115], v[26:27], v[116:117] op_sel_hi:[1,1,0] neg_lo:[0,0,1] neg_hi:[0,0,1]
	v_mul_f32_e32 v114, v115, v108
	s_delay_alu instid0(VALU_DEP_3) | instskip(NEXT) | instid1(VALU_DEP_2)
	v_pk_add_f32 v[90:91], v[90:91], v[118:119] neg_lo:[0,1] neg_hi:[0,1]
	v_pk_fma_f32 v[112:113], v[112:113], v[26:27], v[114:115] op_sel_hi:[1,1,0]
	s_delay_alu instid0(VALU_DEP_1)
	v_mov_b32_e32 v117, v113
	ds_load_2addr_b64 v[112:115], v142 offset0:21 offset1:22
	v_pk_add_f32 v[88:89], v[88:89], v[116:117] neg_lo:[0,1] neg_hi:[0,1]
	s_wait_dscnt 0x0
	v_pk_mul_f32 v[116:117], v[112:113], v[110:111] op_sel:[0,1]
	v_pk_mul_f32 v[110:111], v[114:115], v[110:111] op_sel:[0,1]
	s_delay_alu instid0(VALU_DEP_2) | instskip(SKIP_1) | instid1(VALU_DEP_1)
	v_pk_fma_f32 v[118:119], v[112:113], v[108:109], v[116:117] op_sel:[0,0,1] op_sel_hi:[1,1,0] neg_lo:[0,0,1] neg_hi:[0,0,1]
	v_pk_fma_f32 v[112:113], v[112:113], v[108:109], v[116:117] op_sel:[0,0,1] op_sel_hi:[1,0,0]
	v_mov_b32_e32 v119, v113
	s_delay_alu instid0(VALU_DEP_4) | instskip(SKIP_1) | instid1(VALU_DEP_1)
	v_pk_fma_f32 v[112:113], v[114:115], v[108:109], v[110:111] op_sel:[0,0,1] op_sel_hi:[1,1,0] neg_lo:[0,0,1] neg_hi:[0,0,1]
	v_pk_fma_f32 v[108:109], v[114:115], v[108:109], v[110:111] op_sel:[0,0,1] op_sel_hi:[1,0,0]
	v_mov_b32_e32 v113, v109
	s_delay_alu instid0(VALU_DEP_4) | instskip(NEXT) | instid1(VALU_DEP_2)
	v_pk_add_f32 v[86:87], v[86:87], v[118:119] neg_lo:[0,1] neg_hi:[0,1]
	v_pk_add_f32 v[92:93], v[92:93], v[112:113] neg_lo:[0,1] neg_hi:[0,1]
.LBB45_64:
	s_or_b32 exec_lo, exec_lo, s1
	s_delay_alu instid0(SALU_CYCLE_1)
	s_mov_b32 s2, exec_lo
	s_wait_dscnt 0x0
	s_barrier_signal -1
	s_barrier_wait -1
	v_cmpx_eq_u32_e32 7, v140
	s_cbranch_execz .LBB45_71
; %bb.65:
	v_dual_mov_b32 v108, v42 :: v_dual_mov_b32 v109, v43
	v_dual_mov_b32 v110, v38 :: v_dual_mov_b32 v111, v39
	ds_store_b64 v141, v[22:23]
	ds_store_2addr_b64 v142, v[108:109], v[110:111] offset0:8 offset1:9
	v_dual_mov_b32 v108, v40 :: v_dual_mov_b32 v109, v41
	v_dual_mov_b32 v110, v36 :: v_dual_mov_b32 v111, v37
	ds_store_2addr_b64 v142, v[108:109], v[110:111] offset0:10 offset1:11
	v_dual_mov_b32 v108, v68 :: v_dual_mov_b32 v109, v69
	v_dual_mov_b32 v110, v64 :: v_dual_mov_b32 v111, v65
	;; [unrolled: 3-line block ×6, first 2 shown]
	ds_store_2addr_b64 v142, v[108:109], v[110:111] offset0:20 offset1:21
	ds_store_b64 v142, v[92:93] offset:176
	ds_load_b64 v[108:109], v141
	s_wait_dscnt 0x0
	v_cmp_neq_f32_e32 vcc_lo, 0, v108
	v_cmp_neq_f32_e64 s1, 0, v109
	s_or_b32 s1, vcc_lo, s1
	s_delay_alu instid0(SALU_CYCLE_1)
	s_and_b32 exec_lo, exec_lo, s1
	s_cbranch_execz .LBB45_71
; %bb.66:
	v_cmp_ngt_f32_e64 s1, |v108|, |v109|
                                        ; implicit-def: $vgpr110_vgpr111
	s_and_saveexec_b32 s4, s1
	s_delay_alu instid0(SALU_CYCLE_1)
	s_xor_b32 s1, exec_lo, s4
	s_cbranch_execz .LBB45_68
; %bb.67:
	v_div_scale_f32 v110, null, v109, v109, v108
	v_div_scale_f32 v113, vcc_lo, v108, v109, v108
	s_delay_alu instid0(VALU_DEP_2) | instskip(SKIP_1) | instid1(TRANS32_DEP_1)
	v_rcp_f32_e32 v111, v110
	v_nop
	v_fma_f32 v112, -v110, v111, 1.0
	s_delay_alu instid0(VALU_DEP_1) | instskip(NEXT) | instid1(VALU_DEP_1)
	v_fmac_f32_e32 v111, v112, v111
	v_mul_f32_e32 v112, v113, v111
	s_delay_alu instid0(VALU_DEP_1) | instskip(NEXT) | instid1(VALU_DEP_1)
	v_fma_f32 v114, -v110, v112, v113
	v_fmac_f32_e32 v112, v114, v111
	s_delay_alu instid0(VALU_DEP_1) | instskip(NEXT) | instid1(VALU_DEP_1)
	v_fma_f32 v110, -v110, v112, v113
	v_div_fmas_f32 v110, v110, v111, v112
	s_delay_alu instid0(VALU_DEP_1) | instskip(NEXT) | instid1(VALU_DEP_1)
	v_div_fixup_f32 v110, v110, v109, v108
	v_fmac_f32_e32 v109, v108, v110
	s_delay_alu instid0(VALU_DEP_1) | instskip(SKIP_1) | instid1(VALU_DEP_2)
	v_div_scale_f32 v108, null, v109, v109, 1.0
	v_div_scale_f32 v113, vcc_lo, 1.0, v109, 1.0
	v_rcp_f32_e32 v111, v108
	v_nop
	s_delay_alu instid0(TRANS32_DEP_1) | instskip(NEXT) | instid1(VALU_DEP_1)
	v_fma_f32 v112, -v108, v111, 1.0
	v_fmac_f32_e32 v111, v112, v111
	s_delay_alu instid0(VALU_DEP_1) | instskip(NEXT) | instid1(VALU_DEP_1)
	v_mul_f32_e32 v112, v113, v111
	v_fma_f32 v114, -v108, v112, v113
	s_delay_alu instid0(VALU_DEP_1) | instskip(NEXT) | instid1(VALU_DEP_1)
	v_fmac_f32_e32 v112, v114, v111
	v_fma_f32 v108, -v108, v112, v113
	s_delay_alu instid0(VALU_DEP_1) | instskip(NEXT) | instid1(VALU_DEP_1)
	v_div_fmas_f32 v108, v108, v111, v112
	v_div_fixup_f32 v108, v108, v109, 1.0
	s_delay_alu instid0(VALU_DEP_1)
	v_mul_f32_e32 v110, v110, v108
	v_xor_b32_e32 v111, 0x80000000, v108
                                        ; implicit-def: $vgpr108_vgpr109
.LBB45_68:
	s_and_not1_saveexec_b32 s1, s1
	s_cbranch_execz .LBB45_70
; %bb.69:
	v_div_scale_f32 v110, null, v108, v108, v109
	v_div_scale_f32 v113, vcc_lo, v109, v108, v109
	s_delay_alu instid0(VALU_DEP_2) | instskip(SKIP_1) | instid1(TRANS32_DEP_1)
	v_rcp_f32_e32 v111, v110
	v_nop
	v_fma_f32 v112, -v110, v111, 1.0
	s_delay_alu instid0(VALU_DEP_1) | instskip(NEXT) | instid1(VALU_DEP_1)
	v_fmac_f32_e32 v111, v112, v111
	v_mul_f32_e32 v112, v113, v111
	s_delay_alu instid0(VALU_DEP_1) | instskip(NEXT) | instid1(VALU_DEP_1)
	v_fma_f32 v114, -v110, v112, v113
	v_fmac_f32_e32 v112, v114, v111
	s_delay_alu instid0(VALU_DEP_1) | instskip(NEXT) | instid1(VALU_DEP_1)
	v_fma_f32 v110, -v110, v112, v113
	v_div_fmas_f32 v110, v110, v111, v112
	s_delay_alu instid0(VALU_DEP_1) | instskip(NEXT) | instid1(VALU_DEP_1)
	v_div_fixup_f32 v111, v110, v108, v109
	v_fmac_f32_e32 v108, v109, v111
	s_delay_alu instid0(VALU_DEP_1) | instskip(NEXT) | instid1(VALU_DEP_1)
	v_div_scale_f32 v109, null, v108, v108, 1.0
	v_rcp_f32_e32 v110, v109
	v_nop
	s_delay_alu instid0(TRANS32_DEP_1) | instskip(NEXT) | instid1(VALU_DEP_1)
	v_fma_f32 v112, -v109, v110, 1.0
	v_fmac_f32_e32 v110, v112, v110
	v_div_scale_f32 v112, vcc_lo, 1.0, v108, 1.0
	s_delay_alu instid0(VALU_DEP_1) | instskip(NEXT) | instid1(VALU_DEP_1)
	v_mul_f32_e32 v113, v112, v110
	v_fma_f32 v114, -v109, v113, v112
	s_delay_alu instid0(VALU_DEP_1) | instskip(NEXT) | instid1(VALU_DEP_1)
	v_fmac_f32_e32 v113, v114, v110
	v_fma_f32 v109, -v109, v113, v112
	s_delay_alu instid0(VALU_DEP_1) | instskip(NEXT) | instid1(VALU_DEP_1)
	v_div_fmas_f32 v109, v109, v110, v113
	v_div_fixup_f32 v110, v109, v108, 1.0
	s_delay_alu instid0(VALU_DEP_1)
	v_mul_f32_e64 v111, v111, -v110
.LBB45_70:
	s_or_b32 exec_lo, exec_lo, s1
	ds_store_b64 v141, v[110:111]
.LBB45_71:
	s_or_b32 exec_lo, exec_lo, s2
	s_wait_dscnt 0x0
	s_barrier_signal -1
	s_barrier_wait -1
	ds_load_b64 v[108:109], v141
	s_mov_b32 s1, exec_lo
	v_cmpx_lt_u32_e32 7, v140
	s_cbranch_execz .LBB45_73
; %bb.72:
	ds_load_2addr_b64 v[114:117], v142 offset0:8 offset1:9
	s_wait_dscnt 0x1
	v_pk_mul_f32 v[112:113], v[108:109], v[22:23] op_sel:[1,1] op_sel_hi:[0,1]
	s_delay_alu instid0(VALU_DEP_1) | instskip(SKIP_1) | instid1(VALU_DEP_1)
	v_pk_fma_f32 v[110:111], v[108:109], v[22:23], v[112:113] op_sel_hi:[1,0,1] neg_lo:[0,0,1] neg_hi:[0,0,1]
	v_pk_fma_f32 v[112:113], v[108:109], v[22:23], v[112:113] op_sel_hi:[1,0,1]
	v_dual_mov_b32 v22, v110 :: v_dual_mov_b32 v23, v113
	s_wait_dscnt 0x0
	s_delay_alu instid0(VALU_DEP_2) | instskip(NEXT) | instid1(VALU_DEP_1)
	v_pk_mul_f32 v[118:119], v[114:115], v[112:113] op_sel:[0,1]
	v_pk_fma_f32 v[120:121], v[114:115], v[110:111], v[118:119] op_sel:[0,0,1] op_sel_hi:[1,1,0] neg_lo:[0,0,1] neg_hi:[0,0,1]
	v_pk_fma_f32 v[114:115], v[114:115], v[110:111], v[118:119] op_sel:[0,0,1] op_sel_hi:[1,0,0]
	s_delay_alu instid0(VALU_DEP_1) | instskip(SKIP_1) | instid1(VALU_DEP_1)
	v_mov_b32_e32 v121, v115
	v_pk_mul_f32 v[114:115], v[116:117], v[112:113] op_sel:[0,1]
	v_pk_fma_f32 v[118:119], v[116:117], v[110:111], v[114:115] op_sel:[0,0,1] op_sel_hi:[1,1,0] neg_lo:[0,0,1] neg_hi:[0,0,1]
	v_pk_fma_f32 v[114:115], v[116:117], v[110:111], v[114:115] op_sel:[0,0,1] op_sel_hi:[1,0,0]
	s_delay_alu instid0(VALU_DEP_1)
	v_mov_b32_e32 v119, v115
	ds_load_2addr_b64 v[114:117], v142 offset0:10 offset1:11
	v_pk_add_f32 v[42:43], v[42:43], v[120:121] neg_lo:[0,1] neg_hi:[0,1]
	v_pk_add_f32 v[38:39], v[38:39], v[118:119] neg_lo:[0,1] neg_hi:[0,1]
	s_wait_dscnt 0x0
	v_pk_mul_f32 v[118:119], v[114:115], v[112:113] op_sel:[0,1]
	s_delay_alu instid0(VALU_DEP_1) | instskip(SKIP_2) | instid1(VALU_DEP_2)
	v_pk_fma_f32 v[120:121], v[114:115], v[110:111], v[118:119] op_sel:[0,0,1] op_sel_hi:[1,1,0] neg_lo:[0,0,1] neg_hi:[0,0,1]
	v_pk_fma_f32 v[114:115], v[114:115], v[110:111], v[118:119] op_sel:[0,0,1] op_sel_hi:[1,0,0]
	v_dual_mul_f32 v118, v117, v113 :: v_dual_mov_b32 v114, v117
	v_dual_mov_b32 v121, v115 :: v_dual_mov_b32 v115, v116
	s_delay_alu instid0(VALU_DEP_2) | instskip(SKIP_1) | instid1(VALU_DEP_3)
	v_pk_fma_f32 v[118:119], v[116:117], v[22:23], v[118:119] op_sel_hi:[1,1,0] neg_lo:[0,0,1] neg_hi:[0,0,1]
	v_mul_f32_e32 v116, v117, v110
	v_pk_add_f32 v[40:41], v[40:41], v[120:121] neg_lo:[0,1] neg_hi:[0,1]
	s_delay_alu instid0(VALU_DEP_2) | instskip(NEXT) | instid1(VALU_DEP_1)
	v_pk_fma_f32 v[114:115], v[114:115], v[22:23], v[116:117] op_sel_hi:[1,1,0]
	v_mov_b32_e32 v119, v115
	ds_load_2addr_b64 v[114:117], v142 offset0:12 offset1:13
	v_pk_add_f32 v[36:37], v[36:37], v[118:119] neg_lo:[0,1] neg_hi:[0,1]
	s_wait_dscnt 0x0
	v_pk_mul_f32 v[118:119], v[114:115], v[112:113] op_sel:[0,1]
	s_delay_alu instid0(VALU_DEP_1) | instskip(SKIP_1) | instid1(VALU_DEP_1)
	v_pk_fma_f32 v[120:121], v[114:115], v[110:111], v[118:119] op_sel:[0,0,1] op_sel_hi:[1,1,0] neg_lo:[0,0,1] neg_hi:[0,0,1]
	v_pk_fma_f32 v[114:115], v[114:115], v[110:111], v[118:119] op_sel:[0,0,1] op_sel_hi:[1,0,0]
	v_mov_b32_e32 v121, v115
	v_pk_mul_f32 v[114:115], v[116:117], v[112:113] op_sel:[0,1]
	s_delay_alu instid0(VALU_DEP_1) | instskip(SKIP_1) | instid1(VALU_DEP_1)
	v_pk_fma_f32 v[118:119], v[116:117], v[110:111], v[114:115] op_sel:[0,0,1] op_sel_hi:[1,1,0] neg_lo:[0,0,1] neg_hi:[0,0,1]
	v_pk_fma_f32 v[114:115], v[116:117], v[110:111], v[114:115] op_sel:[0,0,1] op_sel_hi:[1,0,0]
	v_mov_b32_e32 v119, v115
	ds_load_2addr_b64 v[114:117], v142 offset0:14 offset1:15
	v_pk_add_f32 v[68:69], v[68:69], v[120:121] neg_lo:[0,1] neg_hi:[0,1]
	v_pk_add_f32 v[64:65], v[64:65], v[118:119] neg_lo:[0,1] neg_hi:[0,1]
	s_wait_dscnt 0x0
	v_pk_mul_f32 v[118:119], v[114:115], v[112:113] op_sel:[0,1]
	s_delay_alu instid0(VALU_DEP_1) | instskip(SKIP_1) | instid1(VALU_DEP_1)
	v_pk_fma_f32 v[120:121], v[114:115], v[110:111], v[118:119] op_sel:[0,0,1] op_sel_hi:[1,1,0] neg_lo:[0,0,1] neg_hi:[0,0,1]
	v_pk_fma_f32 v[114:115], v[114:115], v[110:111], v[118:119] op_sel:[0,0,1] op_sel_hi:[1,0,0]
	v_mov_b32_e32 v121, v115
	v_pk_mul_f32 v[114:115], v[116:117], v[112:113] op_sel:[0,1]
	s_delay_alu instid0(VALU_DEP_1) | instskip(SKIP_1) | instid1(VALU_DEP_1)
	v_pk_fma_f32 v[118:119], v[116:117], v[110:111], v[114:115] op_sel:[0,0,1] op_sel_hi:[1,1,0] neg_lo:[0,0,1] neg_hi:[0,0,1]
	v_pk_fma_f32 v[114:115], v[116:117], v[110:111], v[114:115] op_sel:[0,0,1] op_sel_hi:[1,0,0]
	v_mov_b32_e32 v119, v115
	ds_load_2addr_b64 v[114:117], v142 offset0:16 offset1:17
	v_pk_add_f32 v[66:67], v[66:67], v[120:121] neg_lo:[0,1] neg_hi:[0,1]
	v_pk_add_f32 v[62:63], v[62:63], v[118:119] neg_lo:[0,1] neg_hi:[0,1]
	s_wait_dscnt 0x0
	v_dual_mul_f32 v118, v115, v113 :: v_dual_mul_f32 v120, v115, v110
	s_delay_alu instid0(VALU_DEP_1) | instskip(NEXT) | instid1(VALU_DEP_2)
	v_pk_fma_f32 v[118:119], v[114:115], v[22:23], v[118:119] op_sel_hi:[1,1,0] neg_lo:[0,0,1] neg_hi:[0,0,1]
	v_pk_fma_f32 v[114:115], v[114:115], v[22:23], v[120:121] op_sel:[1,0,0] op_sel_hi:[0,1,0]
	s_delay_alu instid0(VALU_DEP_1) | instskip(SKIP_1) | instid1(VALU_DEP_2)
	v_mov_b32_e32 v119, v115
	v_pk_mul_f32 v[114:115], v[116:117], v[112:113] op_sel:[0,1]
	v_pk_add_f32 v[84:85], v[84:85], v[118:119] neg_lo:[0,1] neg_hi:[0,1]
	s_delay_alu instid0(VALU_DEP_2) | instskip(SKIP_1) | instid1(VALU_DEP_1)
	v_pk_fma_f32 v[118:119], v[116:117], v[110:111], v[114:115] op_sel:[0,0,1] op_sel_hi:[1,1,0] neg_lo:[0,0,1] neg_hi:[0,0,1]
	v_pk_fma_f32 v[114:115], v[116:117], v[110:111], v[114:115] op_sel:[0,0,1] op_sel_hi:[1,0,0]
	v_mov_b32_e32 v119, v115
	ds_load_2addr_b64 v[114:117], v142 offset0:18 offset1:19
	v_pk_add_f32 v[80:81], v[80:81], v[118:119] neg_lo:[0,1] neg_hi:[0,1]
	s_wait_dscnt 0x0
	v_pk_mul_f32 v[118:119], v[114:115], v[112:113] op_sel:[0,1]
	s_delay_alu instid0(VALU_DEP_1) | instskip(SKIP_1) | instid1(VALU_DEP_1)
	v_pk_fma_f32 v[120:121], v[114:115], v[110:111], v[118:119] op_sel:[0,0,1] op_sel_hi:[1,1,0] neg_lo:[0,0,1] neg_hi:[0,0,1]
	v_pk_fma_f32 v[114:115], v[114:115], v[110:111], v[118:119] op_sel:[0,0,1] op_sel_hi:[1,0,0]
	v_mov_b32_e32 v121, v115
	v_pk_mul_f32 v[114:115], v[116:117], v[112:113] op_sel:[0,1]
	s_delay_alu instid0(VALU_DEP_2) | instskip(NEXT) | instid1(VALU_DEP_2)
	v_pk_add_f32 v[82:83], v[82:83], v[120:121] neg_lo:[0,1] neg_hi:[0,1]
	v_pk_fma_f32 v[118:119], v[116:117], v[110:111], v[114:115] op_sel:[0,0,1] op_sel_hi:[1,1,0] neg_lo:[0,0,1] neg_hi:[0,0,1]
	v_pk_fma_f32 v[114:115], v[116:117], v[110:111], v[114:115] op_sel:[0,0,1] op_sel_hi:[1,0,0]
	s_delay_alu instid0(VALU_DEP_1) | instskip(SKIP_4) | instid1(VALU_DEP_1)
	v_mov_b32_e32 v119, v115
	ds_load_2addr_b64 v[114:117], v142 offset0:20 offset1:21
	v_pk_add_f32 v[90:91], v[90:91], v[118:119] neg_lo:[0,1] neg_hi:[0,1]
	s_wait_dscnt 0x0
	v_pk_mul_f32 v[118:119], v[114:115], v[112:113] op_sel:[0,1]
	v_pk_fma_f32 v[120:121], v[114:115], v[110:111], v[118:119] op_sel:[0,0,1] op_sel_hi:[1,1,0] neg_lo:[0,0,1] neg_hi:[0,0,1]
	v_pk_fma_f32 v[114:115], v[114:115], v[110:111], v[118:119] op_sel:[0,0,1] op_sel_hi:[1,0,0]
	v_dual_mul_f32 v118, v117, v113 :: v_dual_mov_b32 v114, v117
	s_delay_alu instid0(VALU_DEP_2) | instskip(NEXT) | instid1(VALU_DEP_2)
	v_dual_mov_b32 v121, v115 :: v_dual_mov_b32 v115, v116
	v_pk_fma_f32 v[118:119], v[116:117], v[22:23], v[118:119] op_sel_hi:[1,1,0] neg_lo:[0,0,1] neg_hi:[0,0,1]
	v_mul_f32_e32 v116, v117, v110
	s_delay_alu instid0(VALU_DEP_3) | instskip(NEXT) | instid1(VALU_DEP_2)
	v_pk_add_f32 v[88:89], v[88:89], v[120:121] neg_lo:[0,1] neg_hi:[0,1]
	v_pk_fma_f32 v[114:115], v[114:115], v[22:23], v[116:117] op_sel_hi:[1,1,0]
	s_delay_alu instid0(VALU_DEP_1) | instskip(SKIP_4) | instid1(VALU_DEP_1)
	v_mov_b32_e32 v119, v115
	ds_load_b64 v[114:115], v142 offset:176
	v_pk_add_f32 v[86:87], v[86:87], v[118:119] neg_lo:[0,1] neg_hi:[0,1]
	s_wait_dscnt 0x0
	v_pk_mul_f32 v[112:113], v[114:115], v[112:113] op_sel:[0,1]
	v_pk_fma_f32 v[116:117], v[114:115], v[110:111], v[112:113] op_sel:[0,0,1] op_sel_hi:[1,1,0] neg_lo:[0,0,1] neg_hi:[0,0,1]
	v_pk_fma_f32 v[110:111], v[114:115], v[110:111], v[112:113] op_sel:[0,0,1] op_sel_hi:[1,0,0]
	s_delay_alu instid0(VALU_DEP_1) | instskip(NEXT) | instid1(VALU_DEP_1)
	v_mov_b32_e32 v117, v111
	v_pk_add_f32 v[92:93], v[92:93], v[116:117] neg_lo:[0,1] neg_hi:[0,1]
.LBB45_73:
	s_or_b32 exec_lo, exec_lo, s1
	s_delay_alu instid0(SALU_CYCLE_1)
	s_mov_b32 s2, exec_lo
	s_wait_dscnt 0x0
	s_barrier_signal -1
	s_barrier_wait -1
	v_cmpx_eq_u32_e32 8, v140
	s_cbranch_execz .LBB45_80
; %bb.74:
	ds_store_b64 v141, v[42:43]
	ds_store_2addr_b64 v142, v[38:39], v[40:41] offset0:9 offset1:10
	ds_store_2addr_b64 v142, v[36:37], v[68:69] offset0:11 offset1:12
	;; [unrolled: 1-line block ×7, first 2 shown]
	ds_load_b64 v[110:111], v141
	s_wait_dscnt 0x0
	v_cmp_neq_f32_e32 vcc_lo, 0, v110
	v_cmp_neq_f32_e64 s1, 0, v111
	s_or_b32 s1, vcc_lo, s1
	s_delay_alu instid0(SALU_CYCLE_1)
	s_and_b32 exec_lo, exec_lo, s1
	s_cbranch_execz .LBB45_80
; %bb.75:
	v_cmp_ngt_f32_e64 s1, |v110|, |v111|
                                        ; implicit-def: $vgpr112_vgpr113
	s_and_saveexec_b32 s4, s1
	s_delay_alu instid0(SALU_CYCLE_1)
	s_xor_b32 s1, exec_lo, s4
	s_cbranch_execz .LBB45_77
; %bb.76:
	v_div_scale_f32 v112, null, v111, v111, v110
	v_div_scale_f32 v115, vcc_lo, v110, v111, v110
	s_delay_alu instid0(VALU_DEP_2) | instskip(SKIP_1) | instid1(TRANS32_DEP_1)
	v_rcp_f32_e32 v113, v112
	v_nop
	v_fma_f32 v114, -v112, v113, 1.0
	s_delay_alu instid0(VALU_DEP_1) | instskip(NEXT) | instid1(VALU_DEP_1)
	v_fmac_f32_e32 v113, v114, v113
	v_mul_f32_e32 v114, v115, v113
	s_delay_alu instid0(VALU_DEP_1) | instskip(NEXT) | instid1(VALU_DEP_1)
	v_fma_f32 v116, -v112, v114, v115
	v_fmac_f32_e32 v114, v116, v113
	s_delay_alu instid0(VALU_DEP_1) | instskip(NEXT) | instid1(VALU_DEP_1)
	v_fma_f32 v112, -v112, v114, v115
	v_div_fmas_f32 v112, v112, v113, v114
	s_delay_alu instid0(VALU_DEP_1) | instskip(NEXT) | instid1(VALU_DEP_1)
	v_div_fixup_f32 v112, v112, v111, v110
	v_fmac_f32_e32 v111, v110, v112
	s_delay_alu instid0(VALU_DEP_1) | instskip(SKIP_1) | instid1(VALU_DEP_2)
	v_div_scale_f32 v110, null, v111, v111, 1.0
	v_div_scale_f32 v115, vcc_lo, 1.0, v111, 1.0
	v_rcp_f32_e32 v113, v110
	v_nop
	s_delay_alu instid0(TRANS32_DEP_1) | instskip(NEXT) | instid1(VALU_DEP_1)
	v_fma_f32 v114, -v110, v113, 1.0
	v_fmac_f32_e32 v113, v114, v113
	s_delay_alu instid0(VALU_DEP_1) | instskip(NEXT) | instid1(VALU_DEP_1)
	v_mul_f32_e32 v114, v115, v113
	v_fma_f32 v116, -v110, v114, v115
	s_delay_alu instid0(VALU_DEP_1) | instskip(NEXT) | instid1(VALU_DEP_1)
	v_fmac_f32_e32 v114, v116, v113
	v_fma_f32 v110, -v110, v114, v115
	s_delay_alu instid0(VALU_DEP_1) | instskip(NEXT) | instid1(VALU_DEP_1)
	v_div_fmas_f32 v110, v110, v113, v114
	v_div_fixup_f32 v110, v110, v111, 1.0
	s_delay_alu instid0(VALU_DEP_1)
	v_mul_f32_e32 v112, v112, v110
	v_xor_b32_e32 v113, 0x80000000, v110
                                        ; implicit-def: $vgpr110_vgpr111
.LBB45_77:
	s_and_not1_saveexec_b32 s1, s1
	s_cbranch_execz .LBB45_79
; %bb.78:
	v_div_scale_f32 v112, null, v110, v110, v111
	v_div_scale_f32 v115, vcc_lo, v111, v110, v111
	s_delay_alu instid0(VALU_DEP_2) | instskip(SKIP_1) | instid1(TRANS32_DEP_1)
	v_rcp_f32_e32 v113, v112
	v_nop
	v_fma_f32 v114, -v112, v113, 1.0
	s_delay_alu instid0(VALU_DEP_1) | instskip(NEXT) | instid1(VALU_DEP_1)
	v_fmac_f32_e32 v113, v114, v113
	v_mul_f32_e32 v114, v115, v113
	s_delay_alu instid0(VALU_DEP_1) | instskip(NEXT) | instid1(VALU_DEP_1)
	v_fma_f32 v116, -v112, v114, v115
	v_fmac_f32_e32 v114, v116, v113
	s_delay_alu instid0(VALU_DEP_1) | instskip(NEXT) | instid1(VALU_DEP_1)
	v_fma_f32 v112, -v112, v114, v115
	v_div_fmas_f32 v112, v112, v113, v114
	s_delay_alu instid0(VALU_DEP_1) | instskip(NEXT) | instid1(VALU_DEP_1)
	v_div_fixup_f32 v113, v112, v110, v111
	v_fmac_f32_e32 v110, v111, v113
	s_delay_alu instid0(VALU_DEP_1) | instskip(NEXT) | instid1(VALU_DEP_1)
	v_div_scale_f32 v111, null, v110, v110, 1.0
	v_rcp_f32_e32 v112, v111
	v_nop
	s_delay_alu instid0(TRANS32_DEP_1) | instskip(NEXT) | instid1(VALU_DEP_1)
	v_fma_f32 v114, -v111, v112, 1.0
	v_fmac_f32_e32 v112, v114, v112
	v_div_scale_f32 v114, vcc_lo, 1.0, v110, 1.0
	s_delay_alu instid0(VALU_DEP_1) | instskip(NEXT) | instid1(VALU_DEP_1)
	v_mul_f32_e32 v115, v114, v112
	v_fma_f32 v116, -v111, v115, v114
	s_delay_alu instid0(VALU_DEP_1) | instskip(NEXT) | instid1(VALU_DEP_1)
	v_fmac_f32_e32 v115, v116, v112
	v_fma_f32 v111, -v111, v115, v114
	s_delay_alu instid0(VALU_DEP_1) | instskip(NEXT) | instid1(VALU_DEP_1)
	v_div_fmas_f32 v111, v111, v112, v115
	v_div_fixup_f32 v112, v111, v110, 1.0
	s_delay_alu instid0(VALU_DEP_1)
	v_mul_f32_e64 v113, v113, -v112
.LBB45_79:
	s_or_b32 exec_lo, exec_lo, s1
	ds_store_b64 v141, v[112:113]
.LBB45_80:
	s_or_b32 exec_lo, exec_lo, s2
	s_wait_dscnt 0x0
	s_barrier_signal -1
	s_barrier_wait -1
	ds_load_b64 v[110:111], v141
	s_mov_b32 s1, exec_lo
	v_cmpx_lt_u32_e32 8, v140
	s_cbranch_execz .LBB45_82
; %bb.81:
	s_wait_dscnt 0x0
	v_pk_mul_f32 v[112:113], v[110:111], v[42:43] op_sel:[1,1] op_sel_hi:[0,1]
	s_delay_alu instid0(VALU_DEP_1)
	v_pk_fma_f32 v[116:117], v[110:111], v[42:43], v[112:113] op_sel_hi:[1,0,1] neg_lo:[0,0,1] neg_hi:[0,0,1]
	v_pk_fma_f32 v[118:119], v[110:111], v[42:43], v[112:113] op_sel_hi:[1,0,1]
	ds_load_2addr_b64 v[112:115], v142 offset0:9 offset1:10
	v_dual_mov_b32 v42, v116 :: v_dual_mov_b32 v43, v119
	s_wait_dscnt 0x0
	v_pk_mul_f32 v[120:121], v[112:113], v[118:119] op_sel:[0,1]
	s_delay_alu instid0(VALU_DEP_1) | instskip(SKIP_1) | instid1(VALU_DEP_1)
	v_pk_fma_f32 v[122:123], v[112:113], v[116:117], v[120:121] op_sel:[0,0,1] op_sel_hi:[1,1,0] neg_lo:[0,0,1] neg_hi:[0,0,1]
	v_pk_fma_f32 v[112:113], v[112:113], v[116:117], v[120:121] op_sel:[0,0,1] op_sel_hi:[1,0,0]
	v_mov_b32_e32 v123, v113
	v_pk_mul_f32 v[112:113], v[114:115], v[118:119] op_sel:[0,1]
	s_delay_alu instid0(VALU_DEP_1) | instskip(SKIP_1) | instid1(VALU_DEP_1)
	v_pk_fma_f32 v[120:121], v[114:115], v[116:117], v[112:113] op_sel:[0,0,1] op_sel_hi:[1,1,0] neg_lo:[0,0,1] neg_hi:[0,0,1]
	v_pk_fma_f32 v[112:113], v[114:115], v[116:117], v[112:113] op_sel:[0,0,1] op_sel_hi:[1,0,0]
	v_mov_b32_e32 v121, v113
	ds_load_2addr_b64 v[112:115], v142 offset0:11 offset1:12
	v_pk_add_f32 v[38:39], v[38:39], v[122:123] neg_lo:[0,1] neg_hi:[0,1]
	v_pk_add_f32 v[40:41], v[40:41], v[120:121] neg_lo:[0,1] neg_hi:[0,1]
	s_wait_dscnt 0x0
	v_pk_mul_f32 v[120:121], v[112:113], v[118:119] op_sel:[0,1]
	s_delay_alu instid0(VALU_DEP_1) | instskip(SKIP_2) | instid1(VALU_DEP_2)
	v_pk_fma_f32 v[122:123], v[112:113], v[116:117], v[120:121] op_sel:[0,0,1] op_sel_hi:[1,1,0] neg_lo:[0,0,1] neg_hi:[0,0,1]
	v_pk_fma_f32 v[112:113], v[112:113], v[116:117], v[120:121] op_sel:[0,0,1] op_sel_hi:[1,0,0]
	v_dual_mul_f32 v120, v115, v119 :: v_dual_mov_b32 v112, v115
	v_dual_mov_b32 v123, v113 :: v_dual_mov_b32 v113, v114
	s_delay_alu instid0(VALU_DEP_2) | instskip(SKIP_1) | instid1(VALU_DEP_3)
	v_pk_fma_f32 v[120:121], v[114:115], v[42:43], v[120:121] op_sel_hi:[1,1,0] neg_lo:[0,0,1] neg_hi:[0,0,1]
	v_mul_f32_e32 v114, v115, v116
	v_pk_add_f32 v[36:37], v[36:37], v[122:123] neg_lo:[0,1] neg_hi:[0,1]
	s_delay_alu instid0(VALU_DEP_2) | instskip(NEXT) | instid1(VALU_DEP_1)
	v_pk_fma_f32 v[112:113], v[112:113], v[42:43], v[114:115] op_sel_hi:[1,1,0]
	v_mov_b32_e32 v121, v113
	ds_load_2addr_b64 v[112:115], v142 offset0:13 offset1:14
	v_pk_add_f32 v[68:69], v[68:69], v[120:121] neg_lo:[0,1] neg_hi:[0,1]
	s_wait_dscnt 0x0
	v_pk_mul_f32 v[120:121], v[112:113], v[118:119] op_sel:[0,1]
	s_delay_alu instid0(VALU_DEP_1) | instskip(SKIP_1) | instid1(VALU_DEP_1)
	v_pk_fma_f32 v[122:123], v[112:113], v[116:117], v[120:121] op_sel:[0,0,1] op_sel_hi:[1,1,0] neg_lo:[0,0,1] neg_hi:[0,0,1]
	v_pk_fma_f32 v[112:113], v[112:113], v[116:117], v[120:121] op_sel:[0,0,1] op_sel_hi:[1,0,0]
	v_mov_b32_e32 v123, v113
	v_pk_mul_f32 v[112:113], v[114:115], v[118:119] op_sel:[0,1]
	s_delay_alu instid0(VALU_DEP_1) | instskip(SKIP_1) | instid1(VALU_DEP_1)
	v_pk_fma_f32 v[120:121], v[114:115], v[116:117], v[112:113] op_sel:[0,0,1] op_sel_hi:[1,1,0] neg_lo:[0,0,1] neg_hi:[0,0,1]
	v_pk_fma_f32 v[112:113], v[114:115], v[116:117], v[112:113] op_sel:[0,0,1] op_sel_hi:[1,0,0]
	v_mov_b32_e32 v121, v113
	ds_load_2addr_b64 v[112:115], v142 offset0:15 offset1:16
	v_pk_add_f32 v[64:65], v[64:65], v[122:123] neg_lo:[0,1] neg_hi:[0,1]
	v_pk_add_f32 v[66:67], v[66:67], v[120:121] neg_lo:[0,1] neg_hi:[0,1]
	s_wait_dscnt 0x0
	v_pk_mul_f32 v[120:121], v[112:113], v[118:119] op_sel:[0,1]
	s_delay_alu instid0(VALU_DEP_1) | instskip(SKIP_1) | instid1(VALU_DEP_1)
	v_pk_fma_f32 v[122:123], v[112:113], v[116:117], v[120:121] op_sel:[0,0,1] op_sel_hi:[1,1,0] neg_lo:[0,0,1] neg_hi:[0,0,1]
	v_pk_fma_f32 v[112:113], v[112:113], v[116:117], v[120:121] op_sel:[0,0,1] op_sel_hi:[1,0,0]
	v_mov_b32_e32 v123, v113
	v_pk_mul_f32 v[112:113], v[114:115], v[118:119] op_sel:[0,1]
	s_delay_alu instid0(VALU_DEP_1) | instskip(SKIP_1) | instid1(VALU_DEP_1)
	v_pk_fma_f32 v[120:121], v[114:115], v[116:117], v[112:113] op_sel:[0,0,1] op_sel_hi:[1,1,0] neg_lo:[0,0,1] neg_hi:[0,0,1]
	v_pk_fma_f32 v[112:113], v[114:115], v[116:117], v[112:113] op_sel:[0,0,1] op_sel_hi:[1,0,0]
	v_mov_b32_e32 v121, v113
	ds_load_2addr_b64 v[112:115], v142 offset0:17 offset1:18
	v_pk_add_f32 v[62:63], v[62:63], v[122:123] neg_lo:[0,1] neg_hi:[0,1]
	v_pk_add_f32 v[84:85], v[84:85], v[120:121] neg_lo:[0,1] neg_hi:[0,1]
	s_wait_dscnt 0x0
	v_dual_mul_f32 v120, v113, v119 :: v_dual_mul_f32 v122, v113, v116
	s_delay_alu instid0(VALU_DEP_1) | instskip(NEXT) | instid1(VALU_DEP_2)
	v_pk_fma_f32 v[120:121], v[112:113], v[42:43], v[120:121] op_sel_hi:[1,1,0] neg_lo:[0,0,1] neg_hi:[0,0,1]
	v_pk_fma_f32 v[112:113], v[112:113], v[42:43], v[122:123] op_sel:[1,0,0] op_sel_hi:[0,1,0]
	s_delay_alu instid0(VALU_DEP_1) | instskip(SKIP_1) | instid1(VALU_DEP_2)
	v_mov_b32_e32 v121, v113
	v_pk_mul_f32 v[112:113], v[114:115], v[118:119] op_sel:[0,1]
	v_pk_add_f32 v[80:81], v[80:81], v[120:121] neg_lo:[0,1] neg_hi:[0,1]
	s_delay_alu instid0(VALU_DEP_2) | instskip(SKIP_1) | instid1(VALU_DEP_1)
	v_pk_fma_f32 v[120:121], v[114:115], v[116:117], v[112:113] op_sel:[0,0,1] op_sel_hi:[1,1,0] neg_lo:[0,0,1] neg_hi:[0,0,1]
	v_pk_fma_f32 v[112:113], v[114:115], v[116:117], v[112:113] op_sel:[0,0,1] op_sel_hi:[1,0,0]
	v_mov_b32_e32 v121, v113
	ds_load_2addr_b64 v[112:115], v142 offset0:19 offset1:20
	v_pk_add_f32 v[82:83], v[82:83], v[120:121] neg_lo:[0,1] neg_hi:[0,1]
	s_wait_dscnt 0x0
	v_pk_mul_f32 v[120:121], v[112:113], v[118:119] op_sel:[0,1]
	s_delay_alu instid0(VALU_DEP_1) | instskip(SKIP_1) | instid1(VALU_DEP_1)
	v_pk_fma_f32 v[122:123], v[112:113], v[116:117], v[120:121] op_sel:[0,0,1] op_sel_hi:[1,1,0] neg_lo:[0,0,1] neg_hi:[0,0,1]
	v_pk_fma_f32 v[112:113], v[112:113], v[116:117], v[120:121] op_sel:[0,0,1] op_sel_hi:[1,0,0]
	v_mov_b32_e32 v123, v113
	v_pk_mul_f32 v[112:113], v[114:115], v[118:119] op_sel:[0,1]
	s_delay_alu instid0(VALU_DEP_2) | instskip(NEXT) | instid1(VALU_DEP_2)
	v_pk_add_f32 v[90:91], v[90:91], v[122:123] neg_lo:[0,1] neg_hi:[0,1]
	v_pk_fma_f32 v[120:121], v[114:115], v[116:117], v[112:113] op_sel:[0,0,1] op_sel_hi:[1,1,0] neg_lo:[0,0,1] neg_hi:[0,0,1]
	v_pk_fma_f32 v[112:113], v[114:115], v[116:117], v[112:113] op_sel:[0,0,1] op_sel_hi:[1,0,0]
	s_delay_alu instid0(VALU_DEP_1) | instskip(SKIP_4) | instid1(VALU_DEP_1)
	v_mov_b32_e32 v121, v113
	ds_load_2addr_b64 v[112:115], v142 offset0:21 offset1:22
	v_pk_add_f32 v[88:89], v[88:89], v[120:121] neg_lo:[0,1] neg_hi:[0,1]
	s_wait_dscnt 0x0
	v_pk_mul_f32 v[120:121], v[112:113], v[118:119] op_sel:[0,1]
	v_pk_fma_f32 v[122:123], v[112:113], v[116:117], v[120:121] op_sel:[0,0,1] op_sel_hi:[1,1,0] neg_lo:[0,0,1] neg_hi:[0,0,1]
	v_pk_fma_f32 v[112:113], v[112:113], v[116:117], v[120:121] op_sel:[0,0,1] op_sel_hi:[1,0,0]
	s_delay_alu instid0(VALU_DEP_1) | instskip(SKIP_1) | instid1(VALU_DEP_2)
	v_mov_b32_e32 v123, v113
	v_pk_mul_f32 v[112:113], v[114:115], v[118:119] op_sel:[0,1]
	v_pk_add_f32 v[86:87], v[86:87], v[122:123] neg_lo:[0,1] neg_hi:[0,1]
	s_delay_alu instid0(VALU_DEP_2) | instskip(SKIP_1) | instid1(VALU_DEP_1)
	v_pk_fma_f32 v[118:119], v[114:115], v[116:117], v[112:113] op_sel:[0,0,1] op_sel_hi:[1,1,0] neg_lo:[0,0,1] neg_hi:[0,0,1]
	v_pk_fma_f32 v[112:113], v[114:115], v[116:117], v[112:113] op_sel:[0,0,1] op_sel_hi:[1,0,0]
	v_mov_b32_e32 v119, v113
	s_delay_alu instid0(VALU_DEP_1)
	v_pk_add_f32 v[92:93], v[92:93], v[118:119] neg_lo:[0,1] neg_hi:[0,1]
.LBB45_82:
	s_or_b32 exec_lo, exec_lo, s1
	s_delay_alu instid0(SALU_CYCLE_1)
	s_mov_b32 s2, exec_lo
	s_wait_dscnt 0x0
	s_barrier_signal -1
	s_barrier_wait -1
	v_cmpx_eq_u32_e32 9, v140
	s_cbranch_execz .LBB45_89
; %bb.83:
	v_dual_mov_b32 v112, v40 :: v_dual_mov_b32 v113, v41
	v_dual_mov_b32 v114, v36 :: v_dual_mov_b32 v115, v37
	ds_store_b64 v141, v[38:39]
	ds_store_2addr_b64 v142, v[112:113], v[114:115] offset0:10 offset1:11
	v_dual_mov_b32 v112, v68 :: v_dual_mov_b32 v113, v69
	v_dual_mov_b32 v114, v64 :: v_dual_mov_b32 v115, v65
	ds_store_2addr_b64 v142, v[112:113], v[114:115] offset0:12 offset1:13
	v_dual_mov_b32 v112, v66 :: v_dual_mov_b32 v113, v67
	v_dual_mov_b32 v114, v62 :: v_dual_mov_b32 v115, v63
	ds_store_2addr_b64 v142, v[112:113], v[114:115] offset0:14 offset1:15
	v_dual_mov_b32 v112, v84 :: v_dual_mov_b32 v113, v85
	v_dual_mov_b32 v114, v80 :: v_dual_mov_b32 v115, v81
	ds_store_2addr_b64 v142, v[112:113], v[114:115] offset0:16 offset1:17
	v_dual_mov_b32 v112, v82 :: v_dual_mov_b32 v113, v83
	v_dual_mov_b32 v114, v90 :: v_dual_mov_b32 v115, v91
	ds_store_2addr_b64 v142, v[112:113], v[114:115] offset0:18 offset1:19
	v_dual_mov_b32 v112, v88 :: v_dual_mov_b32 v113, v89
	v_dual_mov_b32 v114, v86 :: v_dual_mov_b32 v115, v87
	ds_store_2addr_b64 v142, v[112:113], v[114:115] offset0:20 offset1:21
	ds_store_b64 v142, v[92:93] offset:176
	ds_load_b64 v[112:113], v141
	s_wait_dscnt 0x0
	v_cmp_neq_f32_e32 vcc_lo, 0, v112
	v_cmp_neq_f32_e64 s1, 0, v113
	s_or_b32 s1, vcc_lo, s1
	s_delay_alu instid0(SALU_CYCLE_1)
	s_and_b32 exec_lo, exec_lo, s1
	s_cbranch_execz .LBB45_89
; %bb.84:
	v_cmp_ngt_f32_e64 s1, |v112|, |v113|
                                        ; implicit-def: $vgpr114_vgpr115
	s_and_saveexec_b32 s4, s1
	s_delay_alu instid0(SALU_CYCLE_1)
	s_xor_b32 s1, exec_lo, s4
	s_cbranch_execz .LBB45_86
; %bb.85:
	v_div_scale_f32 v114, null, v113, v113, v112
	v_div_scale_f32 v117, vcc_lo, v112, v113, v112
	s_delay_alu instid0(VALU_DEP_2) | instskip(SKIP_1) | instid1(TRANS32_DEP_1)
	v_rcp_f32_e32 v115, v114
	v_nop
	v_fma_f32 v116, -v114, v115, 1.0
	s_delay_alu instid0(VALU_DEP_1) | instskip(NEXT) | instid1(VALU_DEP_1)
	v_fmac_f32_e32 v115, v116, v115
	v_mul_f32_e32 v116, v117, v115
	s_delay_alu instid0(VALU_DEP_1) | instskip(NEXT) | instid1(VALU_DEP_1)
	v_fma_f32 v118, -v114, v116, v117
	v_fmac_f32_e32 v116, v118, v115
	s_delay_alu instid0(VALU_DEP_1) | instskip(NEXT) | instid1(VALU_DEP_1)
	v_fma_f32 v114, -v114, v116, v117
	v_div_fmas_f32 v114, v114, v115, v116
	s_delay_alu instid0(VALU_DEP_1) | instskip(NEXT) | instid1(VALU_DEP_1)
	v_div_fixup_f32 v114, v114, v113, v112
	v_fmac_f32_e32 v113, v112, v114
	s_delay_alu instid0(VALU_DEP_1) | instskip(SKIP_1) | instid1(VALU_DEP_2)
	v_div_scale_f32 v112, null, v113, v113, 1.0
	v_div_scale_f32 v117, vcc_lo, 1.0, v113, 1.0
	v_rcp_f32_e32 v115, v112
	v_nop
	s_delay_alu instid0(TRANS32_DEP_1) | instskip(NEXT) | instid1(VALU_DEP_1)
	v_fma_f32 v116, -v112, v115, 1.0
	v_fmac_f32_e32 v115, v116, v115
	s_delay_alu instid0(VALU_DEP_1) | instskip(NEXT) | instid1(VALU_DEP_1)
	v_mul_f32_e32 v116, v117, v115
	v_fma_f32 v118, -v112, v116, v117
	s_delay_alu instid0(VALU_DEP_1) | instskip(NEXT) | instid1(VALU_DEP_1)
	v_fmac_f32_e32 v116, v118, v115
	v_fma_f32 v112, -v112, v116, v117
	s_delay_alu instid0(VALU_DEP_1) | instskip(NEXT) | instid1(VALU_DEP_1)
	v_div_fmas_f32 v112, v112, v115, v116
	v_div_fixup_f32 v112, v112, v113, 1.0
	s_delay_alu instid0(VALU_DEP_1)
	v_mul_f32_e32 v114, v114, v112
	v_xor_b32_e32 v115, 0x80000000, v112
                                        ; implicit-def: $vgpr112_vgpr113
.LBB45_86:
	s_and_not1_saveexec_b32 s1, s1
	s_cbranch_execz .LBB45_88
; %bb.87:
	v_div_scale_f32 v114, null, v112, v112, v113
	v_div_scale_f32 v117, vcc_lo, v113, v112, v113
	s_delay_alu instid0(VALU_DEP_2) | instskip(SKIP_1) | instid1(TRANS32_DEP_1)
	v_rcp_f32_e32 v115, v114
	v_nop
	v_fma_f32 v116, -v114, v115, 1.0
	s_delay_alu instid0(VALU_DEP_1) | instskip(NEXT) | instid1(VALU_DEP_1)
	v_fmac_f32_e32 v115, v116, v115
	v_mul_f32_e32 v116, v117, v115
	s_delay_alu instid0(VALU_DEP_1) | instskip(NEXT) | instid1(VALU_DEP_1)
	v_fma_f32 v118, -v114, v116, v117
	v_fmac_f32_e32 v116, v118, v115
	s_delay_alu instid0(VALU_DEP_1) | instskip(NEXT) | instid1(VALU_DEP_1)
	v_fma_f32 v114, -v114, v116, v117
	v_div_fmas_f32 v114, v114, v115, v116
	s_delay_alu instid0(VALU_DEP_1) | instskip(NEXT) | instid1(VALU_DEP_1)
	v_div_fixup_f32 v115, v114, v112, v113
	v_fmac_f32_e32 v112, v113, v115
	s_delay_alu instid0(VALU_DEP_1) | instskip(NEXT) | instid1(VALU_DEP_1)
	v_div_scale_f32 v113, null, v112, v112, 1.0
	v_rcp_f32_e32 v114, v113
	v_nop
	s_delay_alu instid0(TRANS32_DEP_1) | instskip(NEXT) | instid1(VALU_DEP_1)
	v_fma_f32 v116, -v113, v114, 1.0
	v_fmac_f32_e32 v114, v116, v114
	v_div_scale_f32 v116, vcc_lo, 1.0, v112, 1.0
	s_delay_alu instid0(VALU_DEP_1) | instskip(NEXT) | instid1(VALU_DEP_1)
	v_mul_f32_e32 v117, v116, v114
	v_fma_f32 v118, -v113, v117, v116
	s_delay_alu instid0(VALU_DEP_1) | instskip(NEXT) | instid1(VALU_DEP_1)
	v_fmac_f32_e32 v117, v118, v114
	v_fma_f32 v113, -v113, v117, v116
	s_delay_alu instid0(VALU_DEP_1) | instskip(NEXT) | instid1(VALU_DEP_1)
	v_div_fmas_f32 v113, v113, v114, v117
	v_div_fixup_f32 v114, v113, v112, 1.0
	s_delay_alu instid0(VALU_DEP_1)
	v_mul_f32_e64 v115, v115, -v114
.LBB45_88:
	s_or_b32 exec_lo, exec_lo, s1
	ds_store_b64 v141, v[114:115]
.LBB45_89:
	s_or_b32 exec_lo, exec_lo, s2
	s_wait_dscnt 0x0
	s_barrier_signal -1
	s_barrier_wait -1
	ds_load_b64 v[112:113], v141
	s_mov_b32 s1, exec_lo
	v_cmpx_lt_u32_e32 9, v140
	s_cbranch_execz .LBB45_91
; %bb.90:
	s_wait_dscnt 0x0
	v_pk_mul_f32 v[114:115], v[112:113], v[38:39] op_sel:[1,1] op_sel_hi:[0,1]
	s_delay_alu instid0(VALU_DEP_1)
	v_pk_fma_f32 v[118:119], v[112:113], v[38:39], v[114:115] op_sel_hi:[1,0,1] neg_lo:[0,0,1] neg_hi:[0,0,1]
	v_pk_fma_f32 v[120:121], v[112:113], v[38:39], v[114:115] op_sel_hi:[1,0,1]
	ds_load_2addr_b64 v[114:117], v142 offset0:10 offset1:11
	v_dual_mov_b32 v38, v118 :: v_dual_mov_b32 v39, v121
	s_wait_dscnt 0x0
	v_pk_mul_f32 v[122:123], v[114:115], v[120:121] op_sel:[0,1]
	s_delay_alu instid0(VALU_DEP_1) | instskip(SKIP_1) | instid1(VALU_DEP_1)
	v_pk_fma_f32 v[124:125], v[114:115], v[118:119], v[122:123] op_sel:[0,0,1] op_sel_hi:[1,1,0] neg_lo:[0,0,1] neg_hi:[0,0,1]
	v_pk_fma_f32 v[114:115], v[114:115], v[118:119], v[122:123] op_sel:[0,0,1] op_sel_hi:[1,0,0]
	v_mov_b32_e32 v125, v115
	v_pk_mul_f32 v[114:115], v[116:117], v[120:121] op_sel:[0,1]
	s_delay_alu instid0(VALU_DEP_1) | instskip(SKIP_1) | instid1(VALU_DEP_1)
	v_pk_fma_f32 v[122:123], v[116:117], v[118:119], v[114:115] op_sel:[0,0,1] op_sel_hi:[1,1,0] neg_lo:[0,0,1] neg_hi:[0,0,1]
	v_pk_fma_f32 v[114:115], v[116:117], v[118:119], v[114:115] op_sel:[0,0,1] op_sel_hi:[1,0,0]
	v_mov_b32_e32 v123, v115
	ds_load_2addr_b64 v[114:117], v142 offset0:12 offset1:13
	v_pk_add_f32 v[40:41], v[40:41], v[124:125] neg_lo:[0,1] neg_hi:[0,1]
	v_pk_add_f32 v[36:37], v[36:37], v[122:123] neg_lo:[0,1] neg_hi:[0,1]
	s_wait_dscnt 0x0
	v_pk_mul_f32 v[122:123], v[114:115], v[120:121] op_sel:[0,1]
	s_delay_alu instid0(VALU_DEP_1) | instskip(SKIP_2) | instid1(VALU_DEP_2)
	v_pk_fma_f32 v[124:125], v[114:115], v[118:119], v[122:123] op_sel:[0,0,1] op_sel_hi:[1,1,0] neg_lo:[0,0,1] neg_hi:[0,0,1]
	v_pk_fma_f32 v[114:115], v[114:115], v[118:119], v[122:123] op_sel:[0,0,1] op_sel_hi:[1,0,0]
	v_dual_mul_f32 v122, v117, v121 :: v_dual_mov_b32 v114, v117
	v_dual_mov_b32 v125, v115 :: v_dual_mov_b32 v115, v116
	s_delay_alu instid0(VALU_DEP_2) | instskip(SKIP_1) | instid1(VALU_DEP_3)
	v_pk_fma_f32 v[122:123], v[116:117], v[38:39], v[122:123] op_sel_hi:[1,1,0] neg_lo:[0,0,1] neg_hi:[0,0,1]
	v_mul_f32_e32 v116, v117, v118
	v_pk_add_f32 v[68:69], v[68:69], v[124:125] neg_lo:[0,1] neg_hi:[0,1]
	s_delay_alu instid0(VALU_DEP_2) | instskip(NEXT) | instid1(VALU_DEP_1)
	v_pk_fma_f32 v[114:115], v[114:115], v[38:39], v[116:117] op_sel_hi:[1,1,0]
	v_mov_b32_e32 v123, v115
	ds_load_2addr_b64 v[114:117], v142 offset0:14 offset1:15
	v_pk_add_f32 v[64:65], v[64:65], v[122:123] neg_lo:[0,1] neg_hi:[0,1]
	s_wait_dscnt 0x0
	v_pk_mul_f32 v[122:123], v[114:115], v[120:121] op_sel:[0,1]
	s_delay_alu instid0(VALU_DEP_1) | instskip(SKIP_1) | instid1(VALU_DEP_1)
	v_pk_fma_f32 v[124:125], v[114:115], v[118:119], v[122:123] op_sel:[0,0,1] op_sel_hi:[1,1,0] neg_lo:[0,0,1] neg_hi:[0,0,1]
	v_pk_fma_f32 v[114:115], v[114:115], v[118:119], v[122:123] op_sel:[0,0,1] op_sel_hi:[1,0,0]
	v_mov_b32_e32 v125, v115
	v_pk_mul_f32 v[114:115], v[116:117], v[120:121] op_sel:[0,1]
	s_delay_alu instid0(VALU_DEP_1) | instskip(SKIP_1) | instid1(VALU_DEP_1)
	v_pk_fma_f32 v[122:123], v[116:117], v[118:119], v[114:115] op_sel:[0,0,1] op_sel_hi:[1,1,0] neg_lo:[0,0,1] neg_hi:[0,0,1]
	v_pk_fma_f32 v[114:115], v[116:117], v[118:119], v[114:115] op_sel:[0,0,1] op_sel_hi:[1,0,0]
	v_mov_b32_e32 v123, v115
	ds_load_2addr_b64 v[114:117], v142 offset0:16 offset1:17
	v_pk_add_f32 v[66:67], v[66:67], v[124:125] neg_lo:[0,1] neg_hi:[0,1]
	v_pk_add_f32 v[62:63], v[62:63], v[122:123] neg_lo:[0,1] neg_hi:[0,1]
	s_wait_dscnt 0x0
	v_pk_mul_f32 v[122:123], v[114:115], v[120:121] op_sel:[0,1]
	s_delay_alu instid0(VALU_DEP_1) | instskip(SKIP_1) | instid1(VALU_DEP_1)
	v_pk_fma_f32 v[124:125], v[114:115], v[118:119], v[122:123] op_sel:[0,0,1] op_sel_hi:[1,1,0] neg_lo:[0,0,1] neg_hi:[0,0,1]
	v_pk_fma_f32 v[114:115], v[114:115], v[118:119], v[122:123] op_sel:[0,0,1] op_sel_hi:[1,0,0]
	v_mov_b32_e32 v125, v115
	v_pk_mul_f32 v[114:115], v[116:117], v[120:121] op_sel:[0,1]
	s_delay_alu instid0(VALU_DEP_1) | instskip(SKIP_1) | instid1(VALU_DEP_1)
	v_pk_fma_f32 v[122:123], v[116:117], v[118:119], v[114:115] op_sel:[0,0,1] op_sel_hi:[1,1,0] neg_lo:[0,0,1] neg_hi:[0,0,1]
	v_pk_fma_f32 v[114:115], v[116:117], v[118:119], v[114:115] op_sel:[0,0,1] op_sel_hi:[1,0,0]
	v_mov_b32_e32 v123, v115
	ds_load_2addr_b64 v[114:117], v142 offset0:18 offset1:19
	v_pk_add_f32 v[84:85], v[84:85], v[124:125] neg_lo:[0,1] neg_hi:[0,1]
	v_pk_add_f32 v[80:81], v[80:81], v[122:123] neg_lo:[0,1] neg_hi:[0,1]
	s_wait_dscnt 0x0
	v_dual_mul_f32 v122, v115, v121 :: v_dual_mul_f32 v124, v115, v118
	s_delay_alu instid0(VALU_DEP_1) | instskip(NEXT) | instid1(VALU_DEP_2)
	v_pk_fma_f32 v[122:123], v[114:115], v[38:39], v[122:123] op_sel_hi:[1,1,0] neg_lo:[0,0,1] neg_hi:[0,0,1]
	v_pk_fma_f32 v[114:115], v[114:115], v[38:39], v[124:125] op_sel:[1,0,0] op_sel_hi:[0,1,0]
	s_delay_alu instid0(VALU_DEP_1) | instskip(SKIP_1) | instid1(VALU_DEP_2)
	v_mov_b32_e32 v123, v115
	v_pk_mul_f32 v[114:115], v[116:117], v[120:121] op_sel:[0,1]
	v_pk_add_f32 v[82:83], v[82:83], v[122:123] neg_lo:[0,1] neg_hi:[0,1]
	s_delay_alu instid0(VALU_DEP_2) | instskip(SKIP_1) | instid1(VALU_DEP_1)
	v_pk_fma_f32 v[122:123], v[116:117], v[118:119], v[114:115] op_sel:[0,0,1] op_sel_hi:[1,1,0] neg_lo:[0,0,1] neg_hi:[0,0,1]
	v_pk_fma_f32 v[114:115], v[116:117], v[118:119], v[114:115] op_sel:[0,0,1] op_sel_hi:[1,0,0]
	v_mov_b32_e32 v123, v115
	ds_load_2addr_b64 v[114:117], v142 offset0:20 offset1:21
	v_pk_add_f32 v[90:91], v[90:91], v[122:123] neg_lo:[0,1] neg_hi:[0,1]
	s_wait_dscnt 0x0
	v_pk_mul_f32 v[122:123], v[114:115], v[120:121] op_sel:[0,1]
	s_delay_alu instid0(VALU_DEP_1) | instskip(SKIP_1) | instid1(VALU_DEP_1)
	v_pk_fma_f32 v[124:125], v[114:115], v[118:119], v[122:123] op_sel:[0,0,1] op_sel_hi:[1,1,0] neg_lo:[0,0,1] neg_hi:[0,0,1]
	v_pk_fma_f32 v[114:115], v[114:115], v[118:119], v[122:123] op_sel:[0,0,1] op_sel_hi:[1,0,0]
	v_mov_b32_e32 v125, v115
	v_pk_mul_f32 v[114:115], v[116:117], v[120:121] op_sel:[0,1]
	s_delay_alu instid0(VALU_DEP_2) | instskip(NEXT) | instid1(VALU_DEP_2)
	v_pk_add_f32 v[88:89], v[88:89], v[124:125] neg_lo:[0,1] neg_hi:[0,1]
	v_pk_fma_f32 v[122:123], v[116:117], v[118:119], v[114:115] op_sel:[0,0,1] op_sel_hi:[1,1,0] neg_lo:[0,0,1] neg_hi:[0,0,1]
	v_pk_fma_f32 v[114:115], v[116:117], v[118:119], v[114:115] op_sel:[0,0,1] op_sel_hi:[1,0,0]
	s_delay_alu instid0(VALU_DEP_1) | instskip(SKIP_4) | instid1(VALU_DEP_1)
	v_mov_b32_e32 v123, v115
	ds_load_b64 v[114:115], v142 offset:176
	v_pk_add_f32 v[86:87], v[86:87], v[122:123] neg_lo:[0,1] neg_hi:[0,1]
	s_wait_dscnt 0x0
	v_pk_mul_f32 v[116:117], v[114:115], v[120:121] op_sel:[0,1]
	v_pk_fma_f32 v[120:121], v[114:115], v[118:119], v[116:117] op_sel:[0,0,1] op_sel_hi:[1,1,0] neg_lo:[0,0,1] neg_hi:[0,0,1]
	v_pk_fma_f32 v[114:115], v[114:115], v[118:119], v[116:117] op_sel:[0,0,1] op_sel_hi:[1,0,0]
	s_delay_alu instid0(VALU_DEP_1) | instskip(NEXT) | instid1(VALU_DEP_1)
	v_mov_b32_e32 v121, v115
	v_pk_add_f32 v[92:93], v[92:93], v[120:121] neg_lo:[0,1] neg_hi:[0,1]
.LBB45_91:
	s_or_b32 exec_lo, exec_lo, s1
	s_delay_alu instid0(SALU_CYCLE_1)
	s_mov_b32 s2, exec_lo
	s_wait_dscnt 0x0
	s_barrier_signal -1
	s_barrier_wait -1
	v_cmpx_eq_u32_e32 10, v140
	s_cbranch_execz .LBB45_98
; %bb.92:
	ds_store_b64 v141, v[40:41]
	ds_store_2addr_b64 v142, v[36:37], v[68:69] offset0:11 offset1:12
	ds_store_2addr_b64 v142, v[64:65], v[66:67] offset0:13 offset1:14
	;; [unrolled: 1-line block ×6, first 2 shown]
	ds_load_b64 v[114:115], v141
	s_wait_dscnt 0x0
	v_cmp_neq_f32_e32 vcc_lo, 0, v114
	v_cmp_neq_f32_e64 s1, 0, v115
	s_or_b32 s1, vcc_lo, s1
	s_delay_alu instid0(SALU_CYCLE_1)
	s_and_b32 exec_lo, exec_lo, s1
	s_cbranch_execz .LBB45_98
; %bb.93:
	v_cmp_ngt_f32_e64 s1, |v114|, |v115|
                                        ; implicit-def: $vgpr116_vgpr117
	s_and_saveexec_b32 s4, s1
	s_delay_alu instid0(SALU_CYCLE_1)
	s_xor_b32 s1, exec_lo, s4
	s_cbranch_execz .LBB45_95
; %bb.94:
	v_div_scale_f32 v116, null, v115, v115, v114
	v_div_scale_f32 v119, vcc_lo, v114, v115, v114
	s_delay_alu instid0(VALU_DEP_2) | instskip(SKIP_1) | instid1(TRANS32_DEP_1)
	v_rcp_f32_e32 v117, v116
	v_nop
	v_fma_f32 v118, -v116, v117, 1.0
	s_delay_alu instid0(VALU_DEP_1) | instskip(NEXT) | instid1(VALU_DEP_1)
	v_fmac_f32_e32 v117, v118, v117
	v_mul_f32_e32 v118, v119, v117
	s_delay_alu instid0(VALU_DEP_1) | instskip(NEXT) | instid1(VALU_DEP_1)
	v_fma_f32 v120, -v116, v118, v119
	v_fmac_f32_e32 v118, v120, v117
	s_delay_alu instid0(VALU_DEP_1) | instskip(NEXT) | instid1(VALU_DEP_1)
	v_fma_f32 v116, -v116, v118, v119
	v_div_fmas_f32 v116, v116, v117, v118
	s_delay_alu instid0(VALU_DEP_1) | instskip(NEXT) | instid1(VALU_DEP_1)
	v_div_fixup_f32 v116, v116, v115, v114
	v_fmac_f32_e32 v115, v114, v116
	s_delay_alu instid0(VALU_DEP_1) | instskip(SKIP_1) | instid1(VALU_DEP_2)
	v_div_scale_f32 v114, null, v115, v115, 1.0
	v_div_scale_f32 v119, vcc_lo, 1.0, v115, 1.0
	v_rcp_f32_e32 v117, v114
	v_nop
	s_delay_alu instid0(TRANS32_DEP_1) | instskip(NEXT) | instid1(VALU_DEP_1)
	v_fma_f32 v118, -v114, v117, 1.0
	v_fmac_f32_e32 v117, v118, v117
	s_delay_alu instid0(VALU_DEP_1) | instskip(NEXT) | instid1(VALU_DEP_1)
	v_mul_f32_e32 v118, v119, v117
	v_fma_f32 v120, -v114, v118, v119
	s_delay_alu instid0(VALU_DEP_1) | instskip(NEXT) | instid1(VALU_DEP_1)
	v_fmac_f32_e32 v118, v120, v117
	v_fma_f32 v114, -v114, v118, v119
	s_delay_alu instid0(VALU_DEP_1) | instskip(NEXT) | instid1(VALU_DEP_1)
	v_div_fmas_f32 v114, v114, v117, v118
	v_div_fixup_f32 v114, v114, v115, 1.0
	s_delay_alu instid0(VALU_DEP_1)
	v_mul_f32_e32 v116, v116, v114
	v_xor_b32_e32 v117, 0x80000000, v114
                                        ; implicit-def: $vgpr114_vgpr115
.LBB45_95:
	s_and_not1_saveexec_b32 s1, s1
	s_cbranch_execz .LBB45_97
; %bb.96:
	v_div_scale_f32 v116, null, v114, v114, v115
	v_div_scale_f32 v119, vcc_lo, v115, v114, v115
	s_delay_alu instid0(VALU_DEP_2) | instskip(SKIP_1) | instid1(TRANS32_DEP_1)
	v_rcp_f32_e32 v117, v116
	v_nop
	v_fma_f32 v118, -v116, v117, 1.0
	s_delay_alu instid0(VALU_DEP_1) | instskip(NEXT) | instid1(VALU_DEP_1)
	v_fmac_f32_e32 v117, v118, v117
	v_mul_f32_e32 v118, v119, v117
	s_delay_alu instid0(VALU_DEP_1) | instskip(NEXT) | instid1(VALU_DEP_1)
	v_fma_f32 v120, -v116, v118, v119
	v_fmac_f32_e32 v118, v120, v117
	s_delay_alu instid0(VALU_DEP_1) | instskip(NEXT) | instid1(VALU_DEP_1)
	v_fma_f32 v116, -v116, v118, v119
	v_div_fmas_f32 v116, v116, v117, v118
	s_delay_alu instid0(VALU_DEP_1) | instskip(NEXT) | instid1(VALU_DEP_1)
	v_div_fixup_f32 v117, v116, v114, v115
	v_fmac_f32_e32 v114, v115, v117
	s_delay_alu instid0(VALU_DEP_1) | instskip(NEXT) | instid1(VALU_DEP_1)
	v_div_scale_f32 v115, null, v114, v114, 1.0
	v_rcp_f32_e32 v116, v115
	v_nop
	s_delay_alu instid0(TRANS32_DEP_1) | instskip(NEXT) | instid1(VALU_DEP_1)
	v_fma_f32 v118, -v115, v116, 1.0
	v_fmac_f32_e32 v116, v118, v116
	v_div_scale_f32 v118, vcc_lo, 1.0, v114, 1.0
	s_delay_alu instid0(VALU_DEP_1) | instskip(NEXT) | instid1(VALU_DEP_1)
	v_mul_f32_e32 v119, v118, v116
	v_fma_f32 v120, -v115, v119, v118
	s_delay_alu instid0(VALU_DEP_1) | instskip(NEXT) | instid1(VALU_DEP_1)
	v_fmac_f32_e32 v119, v120, v116
	v_fma_f32 v115, -v115, v119, v118
	s_delay_alu instid0(VALU_DEP_1) | instskip(NEXT) | instid1(VALU_DEP_1)
	v_div_fmas_f32 v115, v115, v116, v119
	v_div_fixup_f32 v116, v115, v114, 1.0
	s_delay_alu instid0(VALU_DEP_1)
	v_mul_f32_e64 v117, v117, -v116
.LBB45_97:
	s_or_b32 exec_lo, exec_lo, s1
	ds_store_b64 v141, v[116:117]
.LBB45_98:
	s_or_b32 exec_lo, exec_lo, s2
	s_wait_dscnt 0x0
	s_barrier_signal -1
	s_barrier_wait -1
	ds_load_b64 v[114:115], v141
	s_mov_b32 s1, exec_lo
	v_cmpx_lt_u32_e32 10, v140
	s_cbranch_execz .LBB45_100
; %bb.99:
	s_wait_dscnt 0x0
	v_pk_mul_f32 v[116:117], v[114:115], v[40:41] op_sel:[1,1] op_sel_hi:[0,1]
	s_delay_alu instid0(VALU_DEP_1)
	v_pk_fma_f32 v[120:121], v[114:115], v[40:41], v[116:117] op_sel_hi:[1,0,1] neg_lo:[0,0,1] neg_hi:[0,0,1]
	v_pk_fma_f32 v[122:123], v[114:115], v[40:41], v[116:117] op_sel_hi:[1,0,1]
	ds_load_2addr_b64 v[116:119], v142 offset0:11 offset1:12
	v_dual_mov_b32 v40, v120 :: v_dual_mov_b32 v41, v123
	s_wait_dscnt 0x0
	v_pk_mul_f32 v[124:125], v[116:117], v[122:123] op_sel:[0,1]
	s_delay_alu instid0(VALU_DEP_1) | instskip(SKIP_1) | instid1(VALU_DEP_1)
	v_pk_fma_f32 v[126:127], v[116:117], v[120:121], v[124:125] op_sel:[0,0,1] op_sel_hi:[1,1,0] neg_lo:[0,0,1] neg_hi:[0,0,1]
	v_pk_fma_f32 v[116:117], v[116:117], v[120:121], v[124:125] op_sel:[0,0,1] op_sel_hi:[1,0,0]
	v_mov_b32_e32 v127, v117
	v_pk_mul_f32 v[116:117], v[118:119], v[122:123] op_sel:[0,1]
	s_delay_alu instid0(VALU_DEP_1) | instskip(SKIP_1) | instid1(VALU_DEP_1)
	v_pk_fma_f32 v[124:125], v[118:119], v[120:121], v[116:117] op_sel:[0,0,1] op_sel_hi:[1,1,0] neg_lo:[0,0,1] neg_hi:[0,0,1]
	v_pk_fma_f32 v[116:117], v[118:119], v[120:121], v[116:117] op_sel:[0,0,1] op_sel_hi:[1,0,0]
	v_mov_b32_e32 v125, v117
	ds_load_2addr_b64 v[116:119], v142 offset0:13 offset1:14
	v_pk_add_f32 v[36:37], v[36:37], v[126:127] neg_lo:[0,1] neg_hi:[0,1]
	v_pk_add_f32 v[68:69], v[68:69], v[124:125] neg_lo:[0,1] neg_hi:[0,1]
	s_wait_dscnt 0x0
	v_pk_mul_f32 v[124:125], v[116:117], v[122:123] op_sel:[0,1]
	s_delay_alu instid0(VALU_DEP_1) | instskip(SKIP_2) | instid1(VALU_DEP_2)
	v_pk_fma_f32 v[126:127], v[116:117], v[120:121], v[124:125] op_sel:[0,0,1] op_sel_hi:[1,1,0] neg_lo:[0,0,1] neg_hi:[0,0,1]
	v_pk_fma_f32 v[116:117], v[116:117], v[120:121], v[124:125] op_sel:[0,0,1] op_sel_hi:[1,0,0]
	v_dual_mul_f32 v124, v119, v123 :: v_dual_mov_b32 v116, v119
	v_dual_mov_b32 v127, v117 :: v_dual_mov_b32 v117, v118
	s_delay_alu instid0(VALU_DEP_2) | instskip(SKIP_1) | instid1(VALU_DEP_3)
	v_pk_fma_f32 v[124:125], v[118:119], v[40:41], v[124:125] op_sel_hi:[1,1,0] neg_lo:[0,0,1] neg_hi:[0,0,1]
	v_mul_f32_e32 v118, v119, v120
	v_pk_add_f32 v[64:65], v[64:65], v[126:127] neg_lo:[0,1] neg_hi:[0,1]
	s_delay_alu instid0(VALU_DEP_2) | instskip(NEXT) | instid1(VALU_DEP_1)
	v_pk_fma_f32 v[116:117], v[116:117], v[40:41], v[118:119] op_sel_hi:[1,1,0]
	v_mov_b32_e32 v125, v117
	ds_load_2addr_b64 v[116:119], v142 offset0:15 offset1:16
	v_pk_add_f32 v[66:67], v[66:67], v[124:125] neg_lo:[0,1] neg_hi:[0,1]
	s_wait_dscnt 0x0
	v_pk_mul_f32 v[124:125], v[116:117], v[122:123] op_sel:[0,1]
	s_delay_alu instid0(VALU_DEP_1) | instskip(SKIP_1) | instid1(VALU_DEP_1)
	v_pk_fma_f32 v[126:127], v[116:117], v[120:121], v[124:125] op_sel:[0,0,1] op_sel_hi:[1,1,0] neg_lo:[0,0,1] neg_hi:[0,0,1]
	v_pk_fma_f32 v[116:117], v[116:117], v[120:121], v[124:125] op_sel:[0,0,1] op_sel_hi:[1,0,0]
	v_mov_b32_e32 v127, v117
	v_pk_mul_f32 v[116:117], v[118:119], v[122:123] op_sel:[0,1]
	s_delay_alu instid0(VALU_DEP_1) | instskip(SKIP_1) | instid1(VALU_DEP_1)
	v_pk_fma_f32 v[124:125], v[118:119], v[120:121], v[116:117] op_sel:[0,0,1] op_sel_hi:[1,1,0] neg_lo:[0,0,1] neg_hi:[0,0,1]
	v_pk_fma_f32 v[116:117], v[118:119], v[120:121], v[116:117] op_sel:[0,0,1] op_sel_hi:[1,0,0]
	v_mov_b32_e32 v125, v117
	ds_load_2addr_b64 v[116:119], v142 offset0:17 offset1:18
	v_pk_add_f32 v[62:63], v[62:63], v[126:127] neg_lo:[0,1] neg_hi:[0,1]
	v_pk_add_f32 v[84:85], v[84:85], v[124:125] neg_lo:[0,1] neg_hi:[0,1]
	s_wait_dscnt 0x0
	v_pk_mul_f32 v[124:125], v[116:117], v[122:123] op_sel:[0,1]
	s_delay_alu instid0(VALU_DEP_1) | instskip(SKIP_1) | instid1(VALU_DEP_1)
	v_pk_fma_f32 v[126:127], v[116:117], v[120:121], v[124:125] op_sel:[0,0,1] op_sel_hi:[1,1,0] neg_lo:[0,0,1] neg_hi:[0,0,1]
	v_pk_fma_f32 v[116:117], v[116:117], v[120:121], v[124:125] op_sel:[0,0,1] op_sel_hi:[1,0,0]
	v_mov_b32_e32 v127, v117
	v_pk_mul_f32 v[116:117], v[118:119], v[122:123] op_sel:[0,1]
	s_delay_alu instid0(VALU_DEP_1) | instskip(SKIP_1) | instid1(VALU_DEP_1)
	v_pk_fma_f32 v[124:125], v[118:119], v[120:121], v[116:117] op_sel:[0,0,1] op_sel_hi:[1,1,0] neg_lo:[0,0,1] neg_hi:[0,0,1]
	v_pk_fma_f32 v[116:117], v[118:119], v[120:121], v[116:117] op_sel:[0,0,1] op_sel_hi:[1,0,0]
	v_mov_b32_e32 v125, v117
	ds_load_2addr_b64 v[116:119], v142 offset0:19 offset1:20
	v_pk_add_f32 v[80:81], v[80:81], v[126:127] neg_lo:[0,1] neg_hi:[0,1]
	v_pk_add_f32 v[82:83], v[82:83], v[124:125] neg_lo:[0,1] neg_hi:[0,1]
	s_wait_dscnt 0x0
	v_dual_mul_f32 v124, v117, v123 :: v_dual_mul_f32 v126, v117, v120
	s_delay_alu instid0(VALU_DEP_1) | instskip(NEXT) | instid1(VALU_DEP_2)
	v_pk_fma_f32 v[124:125], v[116:117], v[40:41], v[124:125] op_sel_hi:[1,1,0] neg_lo:[0,0,1] neg_hi:[0,0,1]
	v_pk_fma_f32 v[116:117], v[116:117], v[40:41], v[126:127] op_sel:[1,0,0] op_sel_hi:[0,1,0]
	s_delay_alu instid0(VALU_DEP_1) | instskip(SKIP_1) | instid1(VALU_DEP_2)
	v_mov_b32_e32 v125, v117
	v_pk_mul_f32 v[116:117], v[118:119], v[122:123] op_sel:[0,1]
	v_pk_add_f32 v[90:91], v[90:91], v[124:125] neg_lo:[0,1] neg_hi:[0,1]
	s_delay_alu instid0(VALU_DEP_2) | instskip(SKIP_1) | instid1(VALU_DEP_1)
	v_pk_fma_f32 v[124:125], v[118:119], v[120:121], v[116:117] op_sel:[0,0,1] op_sel_hi:[1,1,0] neg_lo:[0,0,1] neg_hi:[0,0,1]
	v_pk_fma_f32 v[116:117], v[118:119], v[120:121], v[116:117] op_sel:[0,0,1] op_sel_hi:[1,0,0]
	v_mov_b32_e32 v125, v117
	ds_load_2addr_b64 v[116:119], v142 offset0:21 offset1:22
	v_pk_add_f32 v[88:89], v[88:89], v[124:125] neg_lo:[0,1] neg_hi:[0,1]
	s_wait_dscnt 0x0
	v_pk_mul_f32 v[124:125], v[116:117], v[122:123] op_sel:[0,1]
	v_mul_f32_e32 v122, v119, v123
	s_delay_alu instid0(VALU_DEP_2) | instskip(SKIP_2) | instid1(VALU_DEP_4)
	v_pk_fma_f32 v[126:127], v[116:117], v[120:121], v[124:125] op_sel:[0,0,1] op_sel_hi:[1,1,0] neg_lo:[0,0,1] neg_hi:[0,0,1]
	v_pk_fma_f32 v[116:117], v[116:117], v[120:121], v[124:125] op_sel:[0,0,1] op_sel_hi:[1,0,0]
	v_mov_b32_e32 v116, v119
	v_pk_fma_f32 v[122:123], v[118:119], v[40:41], v[122:123] op_sel_hi:[1,1,0] neg_lo:[0,0,1] neg_hi:[0,0,1]
	s_delay_alu instid0(VALU_DEP_3) | instskip(SKIP_1) | instid1(VALU_DEP_2)
	v_dual_mov_b32 v127, v117 :: v_dual_mov_b32 v117, v118
	v_mul_f32_e32 v118, v119, v120
	v_pk_add_f32 v[86:87], v[86:87], v[126:127] neg_lo:[0,1] neg_hi:[0,1]
	s_delay_alu instid0(VALU_DEP_2) | instskip(NEXT) | instid1(VALU_DEP_1)
	v_pk_fma_f32 v[116:117], v[116:117], v[40:41], v[118:119] op_sel_hi:[1,1,0]
	v_mov_b32_e32 v123, v117
	s_delay_alu instid0(VALU_DEP_1)
	v_pk_add_f32 v[92:93], v[92:93], v[122:123] neg_lo:[0,1] neg_hi:[0,1]
.LBB45_100:
	s_or_b32 exec_lo, exec_lo, s1
	s_delay_alu instid0(SALU_CYCLE_1)
	s_mov_b32 s2, exec_lo
	s_wait_dscnt 0x0
	s_barrier_signal -1
	s_barrier_wait -1
	v_cmpx_eq_u32_e32 11, v140
	s_cbranch_execz .LBB45_107
; %bb.101:
	v_dual_mov_b32 v116, v68 :: v_dual_mov_b32 v117, v69
	v_dual_mov_b32 v118, v64 :: v_dual_mov_b32 v119, v65
	;; [unrolled: 1-line block ×10, first 2 shown]
	ds_store_b64 v141, v[36:37]
	ds_store_2addr_b64 v142, v[116:117], v[118:119] offset0:12 offset1:13
	ds_store_2addr_b64 v142, v[120:121], v[122:123] offset0:14 offset1:15
	ds_store_2addr_b64 v142, v[124:125], v[126:127] offset0:16 offset1:17
	ds_store_2addr_b64 v142, v[128:129], v[130:131] offset0:18 offset1:19
	ds_store_2addr_b64 v142, v[132:133], v[134:135] offset0:20 offset1:21
	ds_store_b64 v142, v[92:93] offset:176
	ds_load_b64 v[116:117], v141
	s_wait_dscnt 0x0
	v_cmp_neq_f32_e32 vcc_lo, 0, v116
	v_cmp_neq_f32_e64 s1, 0, v117
	s_or_b32 s1, vcc_lo, s1
	s_delay_alu instid0(SALU_CYCLE_1)
	s_and_b32 exec_lo, exec_lo, s1
	s_cbranch_execz .LBB45_107
; %bb.102:
	v_cmp_ngt_f32_e64 s1, |v116|, |v117|
                                        ; implicit-def: $vgpr118_vgpr119
	s_and_saveexec_b32 s4, s1
	s_delay_alu instid0(SALU_CYCLE_1)
	s_xor_b32 s1, exec_lo, s4
	s_cbranch_execz .LBB45_104
; %bb.103:
	v_div_scale_f32 v118, null, v117, v117, v116
	v_div_scale_f32 v121, vcc_lo, v116, v117, v116
	s_delay_alu instid0(VALU_DEP_2) | instskip(SKIP_1) | instid1(TRANS32_DEP_1)
	v_rcp_f32_e32 v119, v118
	v_nop
	v_fma_f32 v120, -v118, v119, 1.0
	s_delay_alu instid0(VALU_DEP_1) | instskip(NEXT) | instid1(VALU_DEP_1)
	v_fmac_f32_e32 v119, v120, v119
	v_mul_f32_e32 v120, v121, v119
	s_delay_alu instid0(VALU_DEP_1) | instskip(NEXT) | instid1(VALU_DEP_1)
	v_fma_f32 v122, -v118, v120, v121
	v_fmac_f32_e32 v120, v122, v119
	s_delay_alu instid0(VALU_DEP_1) | instskip(NEXT) | instid1(VALU_DEP_1)
	v_fma_f32 v118, -v118, v120, v121
	v_div_fmas_f32 v118, v118, v119, v120
	s_delay_alu instid0(VALU_DEP_1) | instskip(NEXT) | instid1(VALU_DEP_1)
	v_div_fixup_f32 v118, v118, v117, v116
	v_fmac_f32_e32 v117, v116, v118
	s_delay_alu instid0(VALU_DEP_1) | instskip(SKIP_1) | instid1(VALU_DEP_2)
	v_div_scale_f32 v116, null, v117, v117, 1.0
	v_div_scale_f32 v121, vcc_lo, 1.0, v117, 1.0
	v_rcp_f32_e32 v119, v116
	v_nop
	s_delay_alu instid0(TRANS32_DEP_1) | instskip(NEXT) | instid1(VALU_DEP_1)
	v_fma_f32 v120, -v116, v119, 1.0
	v_fmac_f32_e32 v119, v120, v119
	s_delay_alu instid0(VALU_DEP_1) | instskip(NEXT) | instid1(VALU_DEP_1)
	v_mul_f32_e32 v120, v121, v119
	v_fma_f32 v122, -v116, v120, v121
	s_delay_alu instid0(VALU_DEP_1) | instskip(NEXT) | instid1(VALU_DEP_1)
	v_fmac_f32_e32 v120, v122, v119
	v_fma_f32 v116, -v116, v120, v121
	s_delay_alu instid0(VALU_DEP_1) | instskip(NEXT) | instid1(VALU_DEP_1)
	v_div_fmas_f32 v116, v116, v119, v120
	v_div_fixup_f32 v116, v116, v117, 1.0
	s_delay_alu instid0(VALU_DEP_1)
	v_mul_f32_e32 v118, v118, v116
	v_xor_b32_e32 v119, 0x80000000, v116
                                        ; implicit-def: $vgpr116_vgpr117
.LBB45_104:
	s_and_not1_saveexec_b32 s1, s1
	s_cbranch_execz .LBB45_106
; %bb.105:
	v_div_scale_f32 v118, null, v116, v116, v117
	v_div_scale_f32 v121, vcc_lo, v117, v116, v117
	s_delay_alu instid0(VALU_DEP_2) | instskip(SKIP_1) | instid1(TRANS32_DEP_1)
	v_rcp_f32_e32 v119, v118
	v_nop
	v_fma_f32 v120, -v118, v119, 1.0
	s_delay_alu instid0(VALU_DEP_1) | instskip(NEXT) | instid1(VALU_DEP_1)
	v_fmac_f32_e32 v119, v120, v119
	v_mul_f32_e32 v120, v121, v119
	s_delay_alu instid0(VALU_DEP_1) | instskip(NEXT) | instid1(VALU_DEP_1)
	v_fma_f32 v122, -v118, v120, v121
	v_fmac_f32_e32 v120, v122, v119
	s_delay_alu instid0(VALU_DEP_1) | instskip(NEXT) | instid1(VALU_DEP_1)
	v_fma_f32 v118, -v118, v120, v121
	v_div_fmas_f32 v118, v118, v119, v120
	s_delay_alu instid0(VALU_DEP_1) | instskip(NEXT) | instid1(VALU_DEP_1)
	v_div_fixup_f32 v119, v118, v116, v117
	v_fmac_f32_e32 v116, v117, v119
	s_delay_alu instid0(VALU_DEP_1) | instskip(NEXT) | instid1(VALU_DEP_1)
	v_div_scale_f32 v117, null, v116, v116, 1.0
	v_rcp_f32_e32 v118, v117
	v_nop
	s_delay_alu instid0(TRANS32_DEP_1) | instskip(NEXT) | instid1(VALU_DEP_1)
	v_fma_f32 v120, -v117, v118, 1.0
	v_fmac_f32_e32 v118, v120, v118
	v_div_scale_f32 v120, vcc_lo, 1.0, v116, 1.0
	s_delay_alu instid0(VALU_DEP_1) | instskip(NEXT) | instid1(VALU_DEP_1)
	v_mul_f32_e32 v121, v120, v118
	v_fma_f32 v122, -v117, v121, v120
	s_delay_alu instid0(VALU_DEP_1) | instskip(NEXT) | instid1(VALU_DEP_1)
	v_fmac_f32_e32 v121, v122, v118
	v_fma_f32 v117, -v117, v121, v120
	s_delay_alu instid0(VALU_DEP_1) | instskip(NEXT) | instid1(VALU_DEP_1)
	v_div_fmas_f32 v117, v117, v118, v121
	v_div_fixup_f32 v118, v117, v116, 1.0
	s_delay_alu instid0(VALU_DEP_1)
	v_mul_f32_e64 v119, v119, -v118
.LBB45_106:
	s_or_b32 exec_lo, exec_lo, s1
	ds_store_b64 v141, v[118:119]
.LBB45_107:
	s_or_b32 exec_lo, exec_lo, s2
	s_wait_dscnt 0x0
	s_barrier_signal -1
	s_barrier_wait -1
	ds_load_b64 v[116:117], v141
	s_mov_b32 s1, exec_lo
	v_cmpx_lt_u32_e32 11, v140
	s_cbranch_execz .LBB45_109
; %bb.108:
	s_wait_dscnt 0x0
	v_pk_mul_f32 v[118:119], v[116:117], v[36:37] op_sel:[1,1] op_sel_hi:[0,1]
	s_delay_alu instid0(VALU_DEP_1)
	v_pk_fma_f32 v[122:123], v[116:117], v[36:37], v[118:119] op_sel_hi:[1,0,1] neg_lo:[0,0,1] neg_hi:[0,0,1]
	v_pk_fma_f32 v[124:125], v[116:117], v[36:37], v[118:119] op_sel_hi:[1,0,1]
	ds_load_2addr_b64 v[118:121], v142 offset0:12 offset1:13
	v_dual_mov_b32 v36, v122 :: v_dual_mov_b32 v37, v125
	s_wait_dscnt 0x0
	v_pk_mul_f32 v[126:127], v[118:119], v[124:125] op_sel:[0,1]
	s_delay_alu instid0(VALU_DEP_1) | instskip(SKIP_1) | instid1(VALU_DEP_1)
	v_pk_fma_f32 v[128:129], v[118:119], v[122:123], v[126:127] op_sel:[0,0,1] op_sel_hi:[1,1,0] neg_lo:[0,0,1] neg_hi:[0,0,1]
	v_pk_fma_f32 v[118:119], v[118:119], v[122:123], v[126:127] op_sel:[0,0,1] op_sel_hi:[1,0,0]
	v_mov_b32_e32 v129, v119
	v_pk_mul_f32 v[118:119], v[120:121], v[124:125] op_sel:[0,1]
	s_delay_alu instid0(VALU_DEP_1) | instskip(SKIP_1) | instid1(VALU_DEP_1)
	v_pk_fma_f32 v[126:127], v[120:121], v[122:123], v[118:119] op_sel:[0,0,1] op_sel_hi:[1,1,0] neg_lo:[0,0,1] neg_hi:[0,0,1]
	v_pk_fma_f32 v[118:119], v[120:121], v[122:123], v[118:119] op_sel:[0,0,1] op_sel_hi:[1,0,0]
	v_mov_b32_e32 v127, v119
	ds_load_2addr_b64 v[118:121], v142 offset0:14 offset1:15
	v_pk_add_f32 v[68:69], v[68:69], v[128:129] neg_lo:[0,1] neg_hi:[0,1]
	v_pk_add_f32 v[64:65], v[64:65], v[126:127] neg_lo:[0,1] neg_hi:[0,1]
	s_wait_dscnt 0x0
	v_pk_mul_f32 v[126:127], v[118:119], v[124:125] op_sel:[0,1]
	s_delay_alu instid0(VALU_DEP_1) | instskip(SKIP_2) | instid1(VALU_DEP_2)
	v_pk_fma_f32 v[128:129], v[118:119], v[122:123], v[126:127] op_sel:[0,0,1] op_sel_hi:[1,1,0] neg_lo:[0,0,1] neg_hi:[0,0,1]
	v_pk_fma_f32 v[118:119], v[118:119], v[122:123], v[126:127] op_sel:[0,0,1] op_sel_hi:[1,0,0]
	v_dual_mul_f32 v126, v121, v125 :: v_dual_mov_b32 v118, v121
	v_dual_mov_b32 v129, v119 :: v_dual_mov_b32 v119, v120
	s_delay_alu instid0(VALU_DEP_2) | instskip(SKIP_1) | instid1(VALU_DEP_3)
	v_pk_fma_f32 v[126:127], v[120:121], v[36:37], v[126:127] op_sel_hi:[1,1,0] neg_lo:[0,0,1] neg_hi:[0,0,1]
	v_mul_f32_e32 v120, v121, v122
	v_pk_add_f32 v[66:67], v[66:67], v[128:129] neg_lo:[0,1] neg_hi:[0,1]
	s_delay_alu instid0(VALU_DEP_2) | instskip(NEXT) | instid1(VALU_DEP_1)
	v_pk_fma_f32 v[118:119], v[118:119], v[36:37], v[120:121] op_sel_hi:[1,1,0]
	v_mov_b32_e32 v127, v119
	ds_load_2addr_b64 v[118:121], v142 offset0:16 offset1:17
	v_pk_add_f32 v[62:63], v[62:63], v[126:127] neg_lo:[0,1] neg_hi:[0,1]
	s_wait_dscnt 0x0
	v_pk_mul_f32 v[126:127], v[118:119], v[124:125] op_sel:[0,1]
	s_delay_alu instid0(VALU_DEP_1) | instskip(SKIP_1) | instid1(VALU_DEP_1)
	v_pk_fma_f32 v[128:129], v[118:119], v[122:123], v[126:127] op_sel:[0,0,1] op_sel_hi:[1,1,0] neg_lo:[0,0,1] neg_hi:[0,0,1]
	v_pk_fma_f32 v[118:119], v[118:119], v[122:123], v[126:127] op_sel:[0,0,1] op_sel_hi:[1,0,0]
	v_mov_b32_e32 v129, v119
	v_pk_mul_f32 v[118:119], v[120:121], v[124:125] op_sel:[0,1]
	s_delay_alu instid0(VALU_DEP_1) | instskip(SKIP_1) | instid1(VALU_DEP_1)
	v_pk_fma_f32 v[126:127], v[120:121], v[122:123], v[118:119] op_sel:[0,0,1] op_sel_hi:[1,1,0] neg_lo:[0,0,1] neg_hi:[0,0,1]
	v_pk_fma_f32 v[118:119], v[120:121], v[122:123], v[118:119] op_sel:[0,0,1] op_sel_hi:[1,0,0]
	v_mov_b32_e32 v127, v119
	ds_load_2addr_b64 v[118:121], v142 offset0:18 offset1:19
	v_pk_add_f32 v[84:85], v[84:85], v[128:129] neg_lo:[0,1] neg_hi:[0,1]
	v_pk_add_f32 v[80:81], v[80:81], v[126:127] neg_lo:[0,1] neg_hi:[0,1]
	s_wait_dscnt 0x0
	v_pk_mul_f32 v[126:127], v[118:119], v[124:125] op_sel:[0,1]
	s_delay_alu instid0(VALU_DEP_1) | instskip(SKIP_1) | instid1(VALU_DEP_1)
	v_pk_fma_f32 v[128:129], v[118:119], v[122:123], v[126:127] op_sel:[0,0,1] op_sel_hi:[1,1,0] neg_lo:[0,0,1] neg_hi:[0,0,1]
	v_pk_fma_f32 v[118:119], v[118:119], v[122:123], v[126:127] op_sel:[0,0,1] op_sel_hi:[1,0,0]
	v_mov_b32_e32 v129, v119
	v_pk_mul_f32 v[118:119], v[120:121], v[124:125] op_sel:[0,1]
	s_delay_alu instid0(VALU_DEP_1) | instskip(SKIP_1) | instid1(VALU_DEP_1)
	v_pk_fma_f32 v[126:127], v[120:121], v[122:123], v[118:119] op_sel:[0,0,1] op_sel_hi:[1,1,0] neg_lo:[0,0,1] neg_hi:[0,0,1]
	v_pk_fma_f32 v[118:119], v[120:121], v[122:123], v[118:119] op_sel:[0,0,1] op_sel_hi:[1,0,0]
	v_mov_b32_e32 v127, v119
	ds_load_2addr_b64 v[118:121], v142 offset0:20 offset1:21
	v_pk_add_f32 v[82:83], v[82:83], v[128:129] neg_lo:[0,1] neg_hi:[0,1]
	v_pk_add_f32 v[90:91], v[90:91], v[126:127] neg_lo:[0,1] neg_hi:[0,1]
	s_wait_dscnt 0x0
	v_dual_mul_f32 v126, v119, v125 :: v_dual_mul_f32 v128, v119, v122
	s_delay_alu instid0(VALU_DEP_1) | instskip(NEXT) | instid1(VALU_DEP_2)
	v_pk_fma_f32 v[126:127], v[118:119], v[36:37], v[126:127] op_sel_hi:[1,1,0] neg_lo:[0,0,1] neg_hi:[0,0,1]
	v_pk_fma_f32 v[118:119], v[118:119], v[36:37], v[128:129] op_sel:[1,0,0] op_sel_hi:[0,1,0]
	s_delay_alu instid0(VALU_DEP_1) | instskip(SKIP_1) | instid1(VALU_DEP_2)
	v_mov_b32_e32 v127, v119
	v_pk_mul_f32 v[118:119], v[120:121], v[124:125] op_sel:[0,1]
	v_pk_add_f32 v[88:89], v[88:89], v[126:127] neg_lo:[0,1] neg_hi:[0,1]
	s_delay_alu instid0(VALU_DEP_2) | instskip(SKIP_1) | instid1(VALU_DEP_1)
	v_pk_fma_f32 v[126:127], v[120:121], v[122:123], v[118:119] op_sel:[0,0,1] op_sel_hi:[1,1,0] neg_lo:[0,0,1] neg_hi:[0,0,1]
	v_pk_fma_f32 v[118:119], v[120:121], v[122:123], v[118:119] op_sel:[0,0,1] op_sel_hi:[1,0,0]
	v_mov_b32_e32 v127, v119
	ds_load_b64 v[118:119], v142 offset:176
	v_pk_add_f32 v[86:87], v[86:87], v[126:127] neg_lo:[0,1] neg_hi:[0,1]
	s_wait_dscnt 0x0
	v_pk_mul_f32 v[120:121], v[118:119], v[124:125] op_sel:[0,1]
	s_delay_alu instid0(VALU_DEP_1) | instskip(SKIP_1) | instid1(VALU_DEP_1)
	v_pk_fma_f32 v[124:125], v[118:119], v[122:123], v[120:121] op_sel:[0,0,1] op_sel_hi:[1,1,0] neg_lo:[0,0,1] neg_hi:[0,0,1]
	v_pk_fma_f32 v[118:119], v[118:119], v[122:123], v[120:121] op_sel:[0,0,1] op_sel_hi:[1,0,0]
	v_mov_b32_e32 v125, v119
	s_delay_alu instid0(VALU_DEP_1)
	v_pk_add_f32 v[92:93], v[92:93], v[124:125] neg_lo:[0,1] neg_hi:[0,1]
.LBB45_109:
	s_or_b32 exec_lo, exec_lo, s1
	s_delay_alu instid0(SALU_CYCLE_1)
	s_mov_b32 s2, exec_lo
	s_wait_dscnt 0x0
	s_barrier_signal -1
	s_barrier_wait -1
	v_cmpx_eq_u32_e32 12, v140
	s_cbranch_execz .LBB45_116
; %bb.110:
	ds_store_b64 v141, v[68:69]
	ds_store_2addr_b64 v142, v[64:65], v[66:67] offset0:13 offset1:14
	ds_store_2addr_b64 v142, v[62:63], v[84:85] offset0:15 offset1:16
	;; [unrolled: 1-line block ×5, first 2 shown]
	ds_load_b64 v[118:119], v141
	s_wait_dscnt 0x0
	v_cmp_neq_f32_e32 vcc_lo, 0, v118
	v_cmp_neq_f32_e64 s1, 0, v119
	s_or_b32 s1, vcc_lo, s1
	s_delay_alu instid0(SALU_CYCLE_1)
	s_and_b32 exec_lo, exec_lo, s1
	s_cbranch_execz .LBB45_116
; %bb.111:
	v_cmp_ngt_f32_e64 s1, |v118|, |v119|
                                        ; implicit-def: $vgpr120_vgpr121
	s_and_saveexec_b32 s4, s1
	s_delay_alu instid0(SALU_CYCLE_1)
	s_xor_b32 s1, exec_lo, s4
	s_cbranch_execz .LBB45_113
; %bb.112:
	v_div_scale_f32 v120, null, v119, v119, v118
	v_div_scale_f32 v123, vcc_lo, v118, v119, v118
	s_delay_alu instid0(VALU_DEP_2) | instskip(SKIP_1) | instid1(TRANS32_DEP_1)
	v_rcp_f32_e32 v121, v120
	v_nop
	v_fma_f32 v122, -v120, v121, 1.0
	s_delay_alu instid0(VALU_DEP_1) | instskip(NEXT) | instid1(VALU_DEP_1)
	v_fmac_f32_e32 v121, v122, v121
	v_mul_f32_e32 v122, v123, v121
	s_delay_alu instid0(VALU_DEP_1) | instskip(NEXT) | instid1(VALU_DEP_1)
	v_fma_f32 v124, -v120, v122, v123
	v_fmac_f32_e32 v122, v124, v121
	s_delay_alu instid0(VALU_DEP_1) | instskip(NEXT) | instid1(VALU_DEP_1)
	v_fma_f32 v120, -v120, v122, v123
	v_div_fmas_f32 v120, v120, v121, v122
	s_delay_alu instid0(VALU_DEP_1) | instskip(NEXT) | instid1(VALU_DEP_1)
	v_div_fixup_f32 v120, v120, v119, v118
	v_fmac_f32_e32 v119, v118, v120
	s_delay_alu instid0(VALU_DEP_1) | instskip(SKIP_1) | instid1(VALU_DEP_2)
	v_div_scale_f32 v118, null, v119, v119, 1.0
	v_div_scale_f32 v123, vcc_lo, 1.0, v119, 1.0
	v_rcp_f32_e32 v121, v118
	v_nop
	s_delay_alu instid0(TRANS32_DEP_1) | instskip(NEXT) | instid1(VALU_DEP_1)
	v_fma_f32 v122, -v118, v121, 1.0
	v_fmac_f32_e32 v121, v122, v121
	s_delay_alu instid0(VALU_DEP_1) | instskip(NEXT) | instid1(VALU_DEP_1)
	v_mul_f32_e32 v122, v123, v121
	v_fma_f32 v124, -v118, v122, v123
	s_delay_alu instid0(VALU_DEP_1) | instskip(NEXT) | instid1(VALU_DEP_1)
	v_fmac_f32_e32 v122, v124, v121
	v_fma_f32 v118, -v118, v122, v123
	s_delay_alu instid0(VALU_DEP_1) | instskip(NEXT) | instid1(VALU_DEP_1)
	v_div_fmas_f32 v118, v118, v121, v122
	v_div_fixup_f32 v118, v118, v119, 1.0
	s_delay_alu instid0(VALU_DEP_1)
	v_mul_f32_e32 v120, v120, v118
	v_xor_b32_e32 v121, 0x80000000, v118
                                        ; implicit-def: $vgpr118_vgpr119
.LBB45_113:
	s_and_not1_saveexec_b32 s1, s1
	s_cbranch_execz .LBB45_115
; %bb.114:
	v_div_scale_f32 v120, null, v118, v118, v119
	v_div_scale_f32 v123, vcc_lo, v119, v118, v119
	s_delay_alu instid0(VALU_DEP_2) | instskip(SKIP_1) | instid1(TRANS32_DEP_1)
	v_rcp_f32_e32 v121, v120
	v_nop
	v_fma_f32 v122, -v120, v121, 1.0
	s_delay_alu instid0(VALU_DEP_1) | instskip(NEXT) | instid1(VALU_DEP_1)
	v_fmac_f32_e32 v121, v122, v121
	v_mul_f32_e32 v122, v123, v121
	s_delay_alu instid0(VALU_DEP_1) | instskip(NEXT) | instid1(VALU_DEP_1)
	v_fma_f32 v124, -v120, v122, v123
	v_fmac_f32_e32 v122, v124, v121
	s_delay_alu instid0(VALU_DEP_1) | instskip(NEXT) | instid1(VALU_DEP_1)
	v_fma_f32 v120, -v120, v122, v123
	v_div_fmas_f32 v120, v120, v121, v122
	s_delay_alu instid0(VALU_DEP_1) | instskip(NEXT) | instid1(VALU_DEP_1)
	v_div_fixup_f32 v121, v120, v118, v119
	v_fmac_f32_e32 v118, v119, v121
	s_delay_alu instid0(VALU_DEP_1) | instskip(NEXT) | instid1(VALU_DEP_1)
	v_div_scale_f32 v119, null, v118, v118, 1.0
	v_rcp_f32_e32 v120, v119
	v_nop
	s_delay_alu instid0(TRANS32_DEP_1) | instskip(NEXT) | instid1(VALU_DEP_1)
	v_fma_f32 v122, -v119, v120, 1.0
	v_fmac_f32_e32 v120, v122, v120
	v_div_scale_f32 v122, vcc_lo, 1.0, v118, 1.0
	s_delay_alu instid0(VALU_DEP_1) | instskip(NEXT) | instid1(VALU_DEP_1)
	v_mul_f32_e32 v123, v122, v120
	v_fma_f32 v124, -v119, v123, v122
	s_delay_alu instid0(VALU_DEP_1) | instskip(NEXT) | instid1(VALU_DEP_1)
	v_fmac_f32_e32 v123, v124, v120
	v_fma_f32 v119, -v119, v123, v122
	s_delay_alu instid0(VALU_DEP_1) | instskip(NEXT) | instid1(VALU_DEP_1)
	v_div_fmas_f32 v119, v119, v120, v123
	v_div_fixup_f32 v120, v119, v118, 1.0
	s_delay_alu instid0(VALU_DEP_1)
	v_mul_f32_e64 v121, v121, -v120
.LBB45_115:
	s_or_b32 exec_lo, exec_lo, s1
	ds_store_b64 v141, v[120:121]
.LBB45_116:
	s_or_b32 exec_lo, exec_lo, s2
	s_wait_dscnt 0x0
	s_barrier_signal -1
	s_barrier_wait -1
	ds_load_b64 v[118:119], v141
	s_mov_b32 s1, exec_lo
	v_cmpx_lt_u32_e32 12, v140
	s_cbranch_execz .LBB45_118
; %bb.117:
	s_wait_dscnt 0x0
	v_pk_mul_f32 v[120:121], v[118:119], v[68:69] op_sel:[1,1] op_sel_hi:[0,1]
	s_delay_alu instid0(VALU_DEP_1)
	v_pk_fma_f32 v[124:125], v[118:119], v[68:69], v[120:121] op_sel_hi:[1,0,1] neg_lo:[0,0,1] neg_hi:[0,0,1]
	v_pk_fma_f32 v[126:127], v[118:119], v[68:69], v[120:121] op_sel_hi:[1,0,1]
	ds_load_2addr_b64 v[120:123], v142 offset0:13 offset1:14
	v_dual_mov_b32 v68, v124 :: v_dual_mov_b32 v69, v127
	s_wait_dscnt 0x0
	v_pk_mul_f32 v[128:129], v[120:121], v[126:127] op_sel:[0,1]
	s_delay_alu instid0(VALU_DEP_1) | instskip(SKIP_1) | instid1(VALU_DEP_1)
	v_pk_fma_f32 v[130:131], v[120:121], v[124:125], v[128:129] op_sel:[0,0,1] op_sel_hi:[1,1,0] neg_lo:[0,0,1] neg_hi:[0,0,1]
	v_pk_fma_f32 v[120:121], v[120:121], v[124:125], v[128:129] op_sel:[0,0,1] op_sel_hi:[1,0,0]
	v_mov_b32_e32 v131, v121
	v_pk_mul_f32 v[120:121], v[122:123], v[126:127] op_sel:[0,1]
	s_delay_alu instid0(VALU_DEP_1) | instskip(SKIP_1) | instid1(VALU_DEP_1)
	v_pk_fma_f32 v[128:129], v[122:123], v[124:125], v[120:121] op_sel:[0,0,1] op_sel_hi:[1,1,0] neg_lo:[0,0,1] neg_hi:[0,0,1]
	v_pk_fma_f32 v[120:121], v[122:123], v[124:125], v[120:121] op_sel:[0,0,1] op_sel_hi:[1,0,0]
	v_mov_b32_e32 v129, v121
	ds_load_2addr_b64 v[120:123], v142 offset0:15 offset1:16
	v_pk_add_f32 v[64:65], v[64:65], v[130:131] neg_lo:[0,1] neg_hi:[0,1]
	v_pk_add_f32 v[66:67], v[66:67], v[128:129] neg_lo:[0,1] neg_hi:[0,1]
	s_wait_dscnt 0x0
	v_pk_mul_f32 v[128:129], v[120:121], v[126:127] op_sel:[0,1]
	s_delay_alu instid0(VALU_DEP_1) | instskip(SKIP_2) | instid1(VALU_DEP_2)
	v_pk_fma_f32 v[130:131], v[120:121], v[124:125], v[128:129] op_sel:[0,0,1] op_sel_hi:[1,1,0] neg_lo:[0,0,1] neg_hi:[0,0,1]
	v_pk_fma_f32 v[120:121], v[120:121], v[124:125], v[128:129] op_sel:[0,0,1] op_sel_hi:[1,0,0]
	v_dual_mul_f32 v128, v123, v127 :: v_dual_mov_b32 v120, v123
	v_dual_mov_b32 v131, v121 :: v_dual_mov_b32 v121, v122
	s_delay_alu instid0(VALU_DEP_2) | instskip(SKIP_1) | instid1(VALU_DEP_3)
	v_pk_fma_f32 v[128:129], v[122:123], v[68:69], v[128:129] op_sel_hi:[1,1,0] neg_lo:[0,0,1] neg_hi:[0,0,1]
	v_mul_f32_e32 v122, v123, v124
	v_pk_add_f32 v[62:63], v[62:63], v[130:131] neg_lo:[0,1] neg_hi:[0,1]
	s_delay_alu instid0(VALU_DEP_2) | instskip(NEXT) | instid1(VALU_DEP_1)
	v_pk_fma_f32 v[120:121], v[120:121], v[68:69], v[122:123] op_sel_hi:[1,1,0]
	v_mov_b32_e32 v129, v121
	ds_load_2addr_b64 v[120:123], v142 offset0:17 offset1:18
	v_pk_add_f32 v[84:85], v[84:85], v[128:129] neg_lo:[0,1] neg_hi:[0,1]
	s_wait_dscnt 0x0
	v_pk_mul_f32 v[128:129], v[120:121], v[126:127] op_sel:[0,1]
	s_delay_alu instid0(VALU_DEP_1) | instskip(SKIP_1) | instid1(VALU_DEP_1)
	v_pk_fma_f32 v[130:131], v[120:121], v[124:125], v[128:129] op_sel:[0,0,1] op_sel_hi:[1,1,0] neg_lo:[0,0,1] neg_hi:[0,0,1]
	v_pk_fma_f32 v[120:121], v[120:121], v[124:125], v[128:129] op_sel:[0,0,1] op_sel_hi:[1,0,0]
	v_mov_b32_e32 v131, v121
	v_pk_mul_f32 v[120:121], v[122:123], v[126:127] op_sel:[0,1]
	s_delay_alu instid0(VALU_DEP_1) | instskip(SKIP_1) | instid1(VALU_DEP_1)
	v_pk_fma_f32 v[128:129], v[122:123], v[124:125], v[120:121] op_sel:[0,0,1] op_sel_hi:[1,1,0] neg_lo:[0,0,1] neg_hi:[0,0,1]
	v_pk_fma_f32 v[120:121], v[122:123], v[124:125], v[120:121] op_sel:[0,0,1] op_sel_hi:[1,0,0]
	v_mov_b32_e32 v129, v121
	ds_load_2addr_b64 v[120:123], v142 offset0:19 offset1:20
	v_pk_add_f32 v[80:81], v[80:81], v[130:131] neg_lo:[0,1] neg_hi:[0,1]
	v_pk_add_f32 v[82:83], v[82:83], v[128:129] neg_lo:[0,1] neg_hi:[0,1]
	s_wait_dscnt 0x0
	v_pk_mul_f32 v[128:129], v[120:121], v[126:127] op_sel:[0,1]
	s_delay_alu instid0(VALU_DEP_1) | instskip(SKIP_1) | instid1(VALU_DEP_1)
	v_pk_fma_f32 v[130:131], v[120:121], v[124:125], v[128:129] op_sel:[0,0,1] op_sel_hi:[1,1,0] neg_lo:[0,0,1] neg_hi:[0,0,1]
	v_pk_fma_f32 v[120:121], v[120:121], v[124:125], v[128:129] op_sel:[0,0,1] op_sel_hi:[1,0,0]
	v_mov_b32_e32 v131, v121
	v_pk_mul_f32 v[120:121], v[122:123], v[126:127] op_sel:[0,1]
	s_delay_alu instid0(VALU_DEP_1) | instskip(SKIP_1) | instid1(VALU_DEP_1)
	v_pk_fma_f32 v[128:129], v[122:123], v[124:125], v[120:121] op_sel:[0,0,1] op_sel_hi:[1,1,0] neg_lo:[0,0,1] neg_hi:[0,0,1]
	v_pk_fma_f32 v[120:121], v[122:123], v[124:125], v[120:121] op_sel:[0,0,1] op_sel_hi:[1,0,0]
	v_mov_b32_e32 v129, v121
	ds_load_2addr_b64 v[120:123], v142 offset0:21 offset1:22
	v_pk_add_f32 v[90:91], v[90:91], v[130:131] neg_lo:[0,1] neg_hi:[0,1]
	v_pk_add_f32 v[88:89], v[88:89], v[128:129] neg_lo:[0,1] neg_hi:[0,1]
	s_wait_dscnt 0x0
	v_dual_mul_f32 v128, v121, v127 :: v_dual_mul_f32 v130, v121, v124
	s_delay_alu instid0(VALU_DEP_1) | instskip(NEXT) | instid1(VALU_DEP_2)
	v_pk_fma_f32 v[128:129], v[120:121], v[68:69], v[128:129] op_sel_hi:[1,1,0] neg_lo:[0,0,1] neg_hi:[0,0,1]
	v_pk_fma_f32 v[120:121], v[120:121], v[68:69], v[130:131] op_sel:[1,0,0] op_sel_hi:[0,1,0]
	s_delay_alu instid0(VALU_DEP_1) | instskip(SKIP_1) | instid1(VALU_DEP_1)
	v_mov_b32_e32 v129, v121
	v_pk_mul_f32 v[120:121], v[122:123], v[126:127] op_sel:[0,1]
	v_pk_fma_f32 v[126:127], v[122:123], v[124:125], v[120:121] op_sel:[0,0,1] op_sel_hi:[1,1,0] neg_lo:[0,0,1] neg_hi:[0,0,1]
	v_pk_fma_f32 v[120:121], v[122:123], v[124:125], v[120:121] op_sel:[0,0,1] op_sel_hi:[1,0,0]
	s_delay_alu instid0(VALU_DEP_1) | instskip(SKIP_1) | instid1(VALU_DEP_2)
	v_mov_b32_e32 v127, v121
	v_pk_add_f32 v[86:87], v[86:87], v[128:129] neg_lo:[0,1] neg_hi:[0,1]
	v_pk_add_f32 v[92:93], v[92:93], v[126:127] neg_lo:[0,1] neg_hi:[0,1]
.LBB45_118:
	s_or_b32 exec_lo, exec_lo, s1
	s_delay_alu instid0(SALU_CYCLE_1)
	s_mov_b32 s2, exec_lo
	s_wait_dscnt 0x0
	s_barrier_signal -1
	s_barrier_wait -1
	v_cmpx_eq_u32_e32 13, v140
	s_cbranch_execz .LBB45_125
; %bb.119:
	v_dual_mov_b32 v120, v66 :: v_dual_mov_b32 v121, v67
	v_dual_mov_b32 v122, v62 :: v_dual_mov_b32 v123, v63
	;; [unrolled: 1-line block ×8, first 2 shown]
	ds_store_b64 v141, v[64:65]
	ds_store_2addr_b64 v142, v[120:121], v[122:123] offset0:14 offset1:15
	ds_store_2addr_b64 v142, v[124:125], v[126:127] offset0:16 offset1:17
	;; [unrolled: 1-line block ×4, first 2 shown]
	ds_store_b64 v142, v[92:93] offset:176
	ds_load_b64 v[120:121], v141
	s_wait_dscnt 0x0
	v_cmp_neq_f32_e32 vcc_lo, 0, v120
	v_cmp_neq_f32_e64 s1, 0, v121
	s_or_b32 s1, vcc_lo, s1
	s_delay_alu instid0(SALU_CYCLE_1)
	s_and_b32 exec_lo, exec_lo, s1
	s_cbranch_execz .LBB45_125
; %bb.120:
	v_cmp_ngt_f32_e64 s1, |v120|, |v121|
                                        ; implicit-def: $vgpr122_vgpr123
	s_and_saveexec_b32 s4, s1
	s_delay_alu instid0(SALU_CYCLE_1)
	s_xor_b32 s1, exec_lo, s4
	s_cbranch_execz .LBB45_122
; %bb.121:
	v_div_scale_f32 v122, null, v121, v121, v120
	v_div_scale_f32 v125, vcc_lo, v120, v121, v120
	s_delay_alu instid0(VALU_DEP_2) | instskip(SKIP_1) | instid1(TRANS32_DEP_1)
	v_rcp_f32_e32 v123, v122
	v_nop
	v_fma_f32 v124, -v122, v123, 1.0
	s_delay_alu instid0(VALU_DEP_1) | instskip(NEXT) | instid1(VALU_DEP_1)
	v_fmac_f32_e32 v123, v124, v123
	v_mul_f32_e32 v124, v125, v123
	s_delay_alu instid0(VALU_DEP_1) | instskip(NEXT) | instid1(VALU_DEP_1)
	v_fma_f32 v126, -v122, v124, v125
	v_fmac_f32_e32 v124, v126, v123
	s_delay_alu instid0(VALU_DEP_1) | instskip(NEXT) | instid1(VALU_DEP_1)
	v_fma_f32 v122, -v122, v124, v125
	v_div_fmas_f32 v122, v122, v123, v124
	s_delay_alu instid0(VALU_DEP_1) | instskip(NEXT) | instid1(VALU_DEP_1)
	v_div_fixup_f32 v122, v122, v121, v120
	v_fmac_f32_e32 v121, v120, v122
	s_delay_alu instid0(VALU_DEP_1) | instskip(SKIP_1) | instid1(VALU_DEP_2)
	v_div_scale_f32 v120, null, v121, v121, 1.0
	v_div_scale_f32 v125, vcc_lo, 1.0, v121, 1.0
	v_rcp_f32_e32 v123, v120
	v_nop
	s_delay_alu instid0(TRANS32_DEP_1) | instskip(NEXT) | instid1(VALU_DEP_1)
	v_fma_f32 v124, -v120, v123, 1.0
	v_fmac_f32_e32 v123, v124, v123
	s_delay_alu instid0(VALU_DEP_1) | instskip(NEXT) | instid1(VALU_DEP_1)
	v_mul_f32_e32 v124, v125, v123
	v_fma_f32 v126, -v120, v124, v125
	s_delay_alu instid0(VALU_DEP_1) | instskip(NEXT) | instid1(VALU_DEP_1)
	v_fmac_f32_e32 v124, v126, v123
	v_fma_f32 v120, -v120, v124, v125
	s_delay_alu instid0(VALU_DEP_1) | instskip(NEXT) | instid1(VALU_DEP_1)
	v_div_fmas_f32 v120, v120, v123, v124
	v_div_fixup_f32 v120, v120, v121, 1.0
	s_delay_alu instid0(VALU_DEP_1)
	v_mul_f32_e32 v122, v122, v120
	v_xor_b32_e32 v123, 0x80000000, v120
                                        ; implicit-def: $vgpr120_vgpr121
.LBB45_122:
	s_and_not1_saveexec_b32 s1, s1
	s_cbranch_execz .LBB45_124
; %bb.123:
	v_div_scale_f32 v122, null, v120, v120, v121
	v_div_scale_f32 v125, vcc_lo, v121, v120, v121
	s_delay_alu instid0(VALU_DEP_2) | instskip(SKIP_1) | instid1(TRANS32_DEP_1)
	v_rcp_f32_e32 v123, v122
	v_nop
	v_fma_f32 v124, -v122, v123, 1.0
	s_delay_alu instid0(VALU_DEP_1) | instskip(NEXT) | instid1(VALU_DEP_1)
	v_fmac_f32_e32 v123, v124, v123
	v_mul_f32_e32 v124, v125, v123
	s_delay_alu instid0(VALU_DEP_1) | instskip(NEXT) | instid1(VALU_DEP_1)
	v_fma_f32 v126, -v122, v124, v125
	v_fmac_f32_e32 v124, v126, v123
	s_delay_alu instid0(VALU_DEP_1) | instskip(NEXT) | instid1(VALU_DEP_1)
	v_fma_f32 v122, -v122, v124, v125
	v_div_fmas_f32 v122, v122, v123, v124
	s_delay_alu instid0(VALU_DEP_1) | instskip(NEXT) | instid1(VALU_DEP_1)
	v_div_fixup_f32 v123, v122, v120, v121
	v_fmac_f32_e32 v120, v121, v123
	s_delay_alu instid0(VALU_DEP_1) | instskip(NEXT) | instid1(VALU_DEP_1)
	v_div_scale_f32 v121, null, v120, v120, 1.0
	v_rcp_f32_e32 v122, v121
	v_nop
	s_delay_alu instid0(TRANS32_DEP_1) | instskip(NEXT) | instid1(VALU_DEP_1)
	v_fma_f32 v124, -v121, v122, 1.0
	v_fmac_f32_e32 v122, v124, v122
	v_div_scale_f32 v124, vcc_lo, 1.0, v120, 1.0
	s_delay_alu instid0(VALU_DEP_1) | instskip(NEXT) | instid1(VALU_DEP_1)
	v_mul_f32_e32 v125, v124, v122
	v_fma_f32 v126, -v121, v125, v124
	s_delay_alu instid0(VALU_DEP_1) | instskip(NEXT) | instid1(VALU_DEP_1)
	v_fmac_f32_e32 v125, v126, v122
	v_fma_f32 v121, -v121, v125, v124
	s_delay_alu instid0(VALU_DEP_1) | instskip(NEXT) | instid1(VALU_DEP_1)
	v_div_fmas_f32 v121, v121, v122, v125
	v_div_fixup_f32 v122, v121, v120, 1.0
	s_delay_alu instid0(VALU_DEP_1)
	v_mul_f32_e64 v123, v123, -v122
.LBB45_124:
	s_or_b32 exec_lo, exec_lo, s1
	ds_store_b64 v141, v[122:123]
.LBB45_125:
	s_or_b32 exec_lo, exec_lo, s2
	s_wait_dscnt 0x0
	s_barrier_signal -1
	s_barrier_wait -1
	ds_load_b64 v[120:121], v141
	s_mov_b32 s1, exec_lo
	v_cmpx_lt_u32_e32 13, v140
	s_cbranch_execz .LBB45_127
; %bb.126:
	s_wait_dscnt 0x0
	v_pk_mul_f32 v[122:123], v[120:121], v[64:65] op_sel:[1,1] op_sel_hi:[0,1]
	s_delay_alu instid0(VALU_DEP_1)
	v_pk_fma_f32 v[126:127], v[120:121], v[64:65], v[122:123] op_sel_hi:[1,0,1] neg_lo:[0,0,1] neg_hi:[0,0,1]
	v_pk_fma_f32 v[128:129], v[120:121], v[64:65], v[122:123] op_sel_hi:[1,0,1]
	ds_load_2addr_b64 v[122:125], v142 offset0:14 offset1:15
	v_dual_mov_b32 v64, v126 :: v_dual_mov_b32 v65, v129
	s_wait_dscnt 0x0
	v_pk_mul_f32 v[130:131], v[122:123], v[128:129] op_sel:[0,1]
	s_delay_alu instid0(VALU_DEP_1) | instskip(SKIP_1) | instid1(VALU_DEP_1)
	v_pk_fma_f32 v[132:133], v[122:123], v[126:127], v[130:131] op_sel:[0,0,1] op_sel_hi:[1,1,0] neg_lo:[0,0,1] neg_hi:[0,0,1]
	v_pk_fma_f32 v[122:123], v[122:123], v[126:127], v[130:131] op_sel:[0,0,1] op_sel_hi:[1,0,0]
	v_mov_b32_e32 v133, v123
	v_pk_mul_f32 v[122:123], v[124:125], v[128:129] op_sel:[0,1]
	s_delay_alu instid0(VALU_DEP_1) | instskip(SKIP_1) | instid1(VALU_DEP_1)
	v_pk_fma_f32 v[130:131], v[124:125], v[126:127], v[122:123] op_sel:[0,0,1] op_sel_hi:[1,1,0] neg_lo:[0,0,1] neg_hi:[0,0,1]
	v_pk_fma_f32 v[122:123], v[124:125], v[126:127], v[122:123] op_sel:[0,0,1] op_sel_hi:[1,0,0]
	v_mov_b32_e32 v131, v123
	ds_load_2addr_b64 v[122:125], v142 offset0:16 offset1:17
	v_pk_add_f32 v[66:67], v[66:67], v[132:133] neg_lo:[0,1] neg_hi:[0,1]
	v_pk_add_f32 v[62:63], v[62:63], v[130:131] neg_lo:[0,1] neg_hi:[0,1]
	s_wait_dscnt 0x0
	v_pk_mul_f32 v[130:131], v[122:123], v[128:129] op_sel:[0,1]
	s_delay_alu instid0(VALU_DEP_1) | instskip(SKIP_2) | instid1(VALU_DEP_2)
	v_pk_fma_f32 v[132:133], v[122:123], v[126:127], v[130:131] op_sel:[0,0,1] op_sel_hi:[1,1,0] neg_lo:[0,0,1] neg_hi:[0,0,1]
	v_pk_fma_f32 v[122:123], v[122:123], v[126:127], v[130:131] op_sel:[0,0,1] op_sel_hi:[1,0,0]
	v_dual_mul_f32 v130, v125, v129 :: v_dual_mov_b32 v122, v125
	v_dual_mov_b32 v133, v123 :: v_dual_mov_b32 v123, v124
	s_delay_alu instid0(VALU_DEP_2) | instskip(SKIP_1) | instid1(VALU_DEP_3)
	v_pk_fma_f32 v[130:131], v[124:125], v[64:65], v[130:131] op_sel_hi:[1,1,0] neg_lo:[0,0,1] neg_hi:[0,0,1]
	v_mul_f32_e32 v124, v125, v126
	v_pk_add_f32 v[84:85], v[84:85], v[132:133] neg_lo:[0,1] neg_hi:[0,1]
	s_delay_alu instid0(VALU_DEP_2) | instskip(NEXT) | instid1(VALU_DEP_1)
	v_pk_fma_f32 v[122:123], v[122:123], v[64:65], v[124:125] op_sel_hi:[1,1,0]
	v_mov_b32_e32 v131, v123
	ds_load_2addr_b64 v[122:125], v142 offset0:18 offset1:19
	v_pk_add_f32 v[80:81], v[80:81], v[130:131] neg_lo:[0,1] neg_hi:[0,1]
	s_wait_dscnt 0x0
	v_pk_mul_f32 v[130:131], v[122:123], v[128:129] op_sel:[0,1]
	s_delay_alu instid0(VALU_DEP_1) | instskip(SKIP_1) | instid1(VALU_DEP_1)
	v_pk_fma_f32 v[132:133], v[122:123], v[126:127], v[130:131] op_sel:[0,0,1] op_sel_hi:[1,1,0] neg_lo:[0,0,1] neg_hi:[0,0,1]
	v_pk_fma_f32 v[122:123], v[122:123], v[126:127], v[130:131] op_sel:[0,0,1] op_sel_hi:[1,0,0]
	v_mov_b32_e32 v133, v123
	v_pk_mul_f32 v[122:123], v[124:125], v[128:129] op_sel:[0,1]
	s_delay_alu instid0(VALU_DEP_1) | instskip(SKIP_1) | instid1(VALU_DEP_1)
	v_pk_fma_f32 v[130:131], v[124:125], v[126:127], v[122:123] op_sel:[0,0,1] op_sel_hi:[1,1,0] neg_lo:[0,0,1] neg_hi:[0,0,1]
	v_pk_fma_f32 v[122:123], v[124:125], v[126:127], v[122:123] op_sel:[0,0,1] op_sel_hi:[1,0,0]
	v_mov_b32_e32 v131, v123
	ds_load_2addr_b64 v[122:125], v142 offset0:20 offset1:21
	v_pk_add_f32 v[82:83], v[82:83], v[132:133] neg_lo:[0,1] neg_hi:[0,1]
	v_pk_add_f32 v[90:91], v[90:91], v[130:131] neg_lo:[0,1] neg_hi:[0,1]
	s_wait_dscnt 0x0
	v_pk_mul_f32 v[130:131], v[122:123], v[128:129] op_sel:[0,1]
	s_delay_alu instid0(VALU_DEP_1) | instskip(SKIP_1) | instid1(VALU_DEP_1)
	v_pk_fma_f32 v[132:133], v[122:123], v[126:127], v[130:131] op_sel:[0,0,1] op_sel_hi:[1,1,0] neg_lo:[0,0,1] neg_hi:[0,0,1]
	v_pk_fma_f32 v[122:123], v[122:123], v[126:127], v[130:131] op_sel:[0,0,1] op_sel_hi:[1,0,0]
	v_mov_b32_e32 v133, v123
	v_pk_mul_f32 v[122:123], v[124:125], v[128:129] op_sel:[0,1]
	s_delay_alu instid0(VALU_DEP_1) | instskip(SKIP_1) | instid1(VALU_DEP_1)
	v_pk_fma_f32 v[130:131], v[124:125], v[126:127], v[122:123] op_sel:[0,0,1] op_sel_hi:[1,1,0] neg_lo:[0,0,1] neg_hi:[0,0,1]
	v_pk_fma_f32 v[122:123], v[124:125], v[126:127], v[122:123] op_sel:[0,0,1] op_sel_hi:[1,0,0]
	v_mov_b32_e32 v131, v123
	ds_load_b64 v[122:123], v142 offset:176
	v_pk_add_f32 v[88:89], v[88:89], v[132:133] neg_lo:[0,1] neg_hi:[0,1]
	v_pk_add_f32 v[86:87], v[86:87], v[130:131] neg_lo:[0,1] neg_hi:[0,1]
	s_wait_dscnt 0x0
	v_pk_mul_f32 v[124:125], v[122:123], v[128:129] op_sel:[0,1]
	s_delay_alu instid0(VALU_DEP_1) | instskip(SKIP_1) | instid1(VALU_DEP_1)
	v_pk_fma_f32 v[128:129], v[122:123], v[126:127], v[124:125] op_sel:[0,0,1] op_sel_hi:[1,1,0] neg_lo:[0,0,1] neg_hi:[0,0,1]
	v_pk_fma_f32 v[122:123], v[122:123], v[126:127], v[124:125] op_sel:[0,0,1] op_sel_hi:[1,0,0]
	v_mov_b32_e32 v129, v123
	s_delay_alu instid0(VALU_DEP_1)
	v_pk_add_f32 v[92:93], v[92:93], v[128:129] neg_lo:[0,1] neg_hi:[0,1]
.LBB45_127:
	s_or_b32 exec_lo, exec_lo, s1
	s_delay_alu instid0(SALU_CYCLE_1)
	s_mov_b32 s2, exec_lo
	s_wait_dscnt 0x0
	s_barrier_signal -1
	s_barrier_wait -1
	v_cmpx_eq_u32_e32 14, v140
	s_cbranch_execz .LBB45_134
; %bb.128:
	ds_store_b64 v141, v[66:67]
	ds_store_2addr_b64 v142, v[62:63], v[84:85] offset0:15 offset1:16
	ds_store_2addr_b64 v142, v[80:81], v[82:83] offset0:17 offset1:18
	;; [unrolled: 1-line block ×4, first 2 shown]
	ds_load_b64 v[122:123], v141
	s_wait_dscnt 0x0
	v_cmp_neq_f32_e32 vcc_lo, 0, v122
	v_cmp_neq_f32_e64 s1, 0, v123
	s_or_b32 s1, vcc_lo, s1
	s_delay_alu instid0(SALU_CYCLE_1)
	s_and_b32 exec_lo, exec_lo, s1
	s_cbranch_execz .LBB45_134
; %bb.129:
	v_cmp_ngt_f32_e64 s1, |v122|, |v123|
                                        ; implicit-def: $vgpr124_vgpr125
	s_and_saveexec_b32 s4, s1
	s_delay_alu instid0(SALU_CYCLE_1)
	s_xor_b32 s1, exec_lo, s4
	s_cbranch_execz .LBB45_131
; %bb.130:
	v_div_scale_f32 v124, null, v123, v123, v122
	v_div_scale_f32 v127, vcc_lo, v122, v123, v122
	s_delay_alu instid0(VALU_DEP_2) | instskip(SKIP_1) | instid1(TRANS32_DEP_1)
	v_rcp_f32_e32 v125, v124
	v_nop
	v_fma_f32 v126, -v124, v125, 1.0
	s_delay_alu instid0(VALU_DEP_1) | instskip(NEXT) | instid1(VALU_DEP_1)
	v_fmac_f32_e32 v125, v126, v125
	v_mul_f32_e32 v126, v127, v125
	s_delay_alu instid0(VALU_DEP_1) | instskip(NEXT) | instid1(VALU_DEP_1)
	v_fma_f32 v128, -v124, v126, v127
	v_fmac_f32_e32 v126, v128, v125
	s_delay_alu instid0(VALU_DEP_1) | instskip(NEXT) | instid1(VALU_DEP_1)
	v_fma_f32 v124, -v124, v126, v127
	v_div_fmas_f32 v124, v124, v125, v126
	s_delay_alu instid0(VALU_DEP_1) | instskip(NEXT) | instid1(VALU_DEP_1)
	v_div_fixup_f32 v124, v124, v123, v122
	v_fmac_f32_e32 v123, v122, v124
	s_delay_alu instid0(VALU_DEP_1) | instskip(SKIP_1) | instid1(VALU_DEP_2)
	v_div_scale_f32 v122, null, v123, v123, 1.0
	v_div_scale_f32 v127, vcc_lo, 1.0, v123, 1.0
	v_rcp_f32_e32 v125, v122
	v_nop
	s_delay_alu instid0(TRANS32_DEP_1) | instskip(NEXT) | instid1(VALU_DEP_1)
	v_fma_f32 v126, -v122, v125, 1.0
	v_fmac_f32_e32 v125, v126, v125
	s_delay_alu instid0(VALU_DEP_1) | instskip(NEXT) | instid1(VALU_DEP_1)
	v_mul_f32_e32 v126, v127, v125
	v_fma_f32 v128, -v122, v126, v127
	s_delay_alu instid0(VALU_DEP_1) | instskip(NEXT) | instid1(VALU_DEP_1)
	v_fmac_f32_e32 v126, v128, v125
	v_fma_f32 v122, -v122, v126, v127
	s_delay_alu instid0(VALU_DEP_1) | instskip(NEXT) | instid1(VALU_DEP_1)
	v_div_fmas_f32 v122, v122, v125, v126
	v_div_fixup_f32 v122, v122, v123, 1.0
	s_delay_alu instid0(VALU_DEP_1)
	v_mul_f32_e32 v124, v124, v122
	v_xor_b32_e32 v125, 0x80000000, v122
                                        ; implicit-def: $vgpr122_vgpr123
.LBB45_131:
	s_and_not1_saveexec_b32 s1, s1
	s_cbranch_execz .LBB45_133
; %bb.132:
	v_div_scale_f32 v124, null, v122, v122, v123
	v_div_scale_f32 v127, vcc_lo, v123, v122, v123
	s_delay_alu instid0(VALU_DEP_2) | instskip(SKIP_1) | instid1(TRANS32_DEP_1)
	v_rcp_f32_e32 v125, v124
	v_nop
	v_fma_f32 v126, -v124, v125, 1.0
	s_delay_alu instid0(VALU_DEP_1) | instskip(NEXT) | instid1(VALU_DEP_1)
	v_fmac_f32_e32 v125, v126, v125
	v_mul_f32_e32 v126, v127, v125
	s_delay_alu instid0(VALU_DEP_1) | instskip(NEXT) | instid1(VALU_DEP_1)
	v_fma_f32 v128, -v124, v126, v127
	v_fmac_f32_e32 v126, v128, v125
	s_delay_alu instid0(VALU_DEP_1) | instskip(NEXT) | instid1(VALU_DEP_1)
	v_fma_f32 v124, -v124, v126, v127
	v_div_fmas_f32 v124, v124, v125, v126
	s_delay_alu instid0(VALU_DEP_1) | instskip(NEXT) | instid1(VALU_DEP_1)
	v_div_fixup_f32 v125, v124, v122, v123
	v_fmac_f32_e32 v122, v123, v125
	s_delay_alu instid0(VALU_DEP_1) | instskip(NEXT) | instid1(VALU_DEP_1)
	v_div_scale_f32 v123, null, v122, v122, 1.0
	v_rcp_f32_e32 v124, v123
	v_nop
	s_delay_alu instid0(TRANS32_DEP_1) | instskip(NEXT) | instid1(VALU_DEP_1)
	v_fma_f32 v126, -v123, v124, 1.0
	v_fmac_f32_e32 v124, v126, v124
	v_div_scale_f32 v126, vcc_lo, 1.0, v122, 1.0
	s_delay_alu instid0(VALU_DEP_1) | instskip(NEXT) | instid1(VALU_DEP_1)
	v_mul_f32_e32 v127, v126, v124
	v_fma_f32 v128, -v123, v127, v126
	s_delay_alu instid0(VALU_DEP_1) | instskip(NEXT) | instid1(VALU_DEP_1)
	v_fmac_f32_e32 v127, v128, v124
	v_fma_f32 v123, -v123, v127, v126
	s_delay_alu instid0(VALU_DEP_1) | instskip(NEXT) | instid1(VALU_DEP_1)
	v_div_fmas_f32 v123, v123, v124, v127
	v_div_fixup_f32 v124, v123, v122, 1.0
	s_delay_alu instid0(VALU_DEP_1)
	v_mul_f32_e64 v125, v125, -v124
.LBB45_133:
	s_or_b32 exec_lo, exec_lo, s1
	ds_store_b64 v141, v[124:125]
.LBB45_134:
	s_or_b32 exec_lo, exec_lo, s2
	s_wait_dscnt 0x0
	s_barrier_signal -1
	s_barrier_wait -1
	ds_load_b64 v[122:123], v141
	s_mov_b32 s1, exec_lo
	v_cmpx_lt_u32_e32 14, v140
	s_cbranch_execz .LBB45_136
; %bb.135:
	s_wait_dscnt 0x0
	v_pk_mul_f32 v[124:125], v[122:123], v[66:67] op_sel:[1,1] op_sel_hi:[0,1]
	s_delay_alu instid0(VALU_DEP_1)
	v_pk_fma_f32 v[128:129], v[122:123], v[66:67], v[124:125] op_sel_hi:[1,0,1] neg_lo:[0,0,1] neg_hi:[0,0,1]
	v_pk_fma_f32 v[130:131], v[122:123], v[66:67], v[124:125] op_sel_hi:[1,0,1]
	ds_load_2addr_b64 v[124:127], v142 offset0:15 offset1:16
	v_dual_mov_b32 v66, v128 :: v_dual_mov_b32 v67, v131
	s_wait_dscnt 0x0
	v_pk_mul_f32 v[132:133], v[124:125], v[130:131] op_sel:[0,1]
	s_delay_alu instid0(VALU_DEP_1) | instskip(SKIP_1) | instid1(VALU_DEP_1)
	v_pk_fma_f32 v[134:135], v[124:125], v[128:129], v[132:133] op_sel:[0,0,1] op_sel_hi:[1,1,0] neg_lo:[0,0,1] neg_hi:[0,0,1]
	v_pk_fma_f32 v[124:125], v[124:125], v[128:129], v[132:133] op_sel:[0,0,1] op_sel_hi:[1,0,0]
	v_mov_b32_e32 v135, v125
	v_pk_mul_f32 v[124:125], v[126:127], v[130:131] op_sel:[0,1]
	s_delay_alu instid0(VALU_DEP_1) | instskip(SKIP_1) | instid1(VALU_DEP_1)
	v_pk_fma_f32 v[132:133], v[126:127], v[128:129], v[124:125] op_sel:[0,0,1] op_sel_hi:[1,1,0] neg_lo:[0,0,1] neg_hi:[0,0,1]
	v_pk_fma_f32 v[124:125], v[126:127], v[128:129], v[124:125] op_sel:[0,0,1] op_sel_hi:[1,0,0]
	v_mov_b32_e32 v133, v125
	ds_load_2addr_b64 v[124:127], v142 offset0:17 offset1:18
	v_pk_add_f32 v[62:63], v[62:63], v[134:135] neg_lo:[0,1] neg_hi:[0,1]
	v_pk_add_f32 v[84:85], v[84:85], v[132:133] neg_lo:[0,1] neg_hi:[0,1]
	s_wait_dscnt 0x0
	v_pk_mul_f32 v[132:133], v[124:125], v[130:131] op_sel:[0,1]
	s_delay_alu instid0(VALU_DEP_1) | instskip(SKIP_2) | instid1(VALU_DEP_2)
	v_pk_fma_f32 v[134:135], v[124:125], v[128:129], v[132:133] op_sel:[0,0,1] op_sel_hi:[1,1,0] neg_lo:[0,0,1] neg_hi:[0,0,1]
	v_pk_fma_f32 v[124:125], v[124:125], v[128:129], v[132:133] op_sel:[0,0,1] op_sel_hi:[1,0,0]
	v_dual_mul_f32 v132, v127, v131 :: v_dual_mov_b32 v124, v127
	v_dual_mov_b32 v135, v125 :: v_dual_mov_b32 v125, v126
	s_delay_alu instid0(VALU_DEP_2) | instskip(SKIP_1) | instid1(VALU_DEP_3)
	v_pk_fma_f32 v[132:133], v[126:127], v[66:67], v[132:133] op_sel_hi:[1,1,0] neg_lo:[0,0,1] neg_hi:[0,0,1]
	v_mul_f32_e32 v126, v127, v128
	v_pk_add_f32 v[80:81], v[80:81], v[134:135] neg_lo:[0,1] neg_hi:[0,1]
	s_delay_alu instid0(VALU_DEP_2) | instskip(NEXT) | instid1(VALU_DEP_1)
	v_pk_fma_f32 v[124:125], v[124:125], v[66:67], v[126:127] op_sel_hi:[1,1,0]
	v_mov_b32_e32 v133, v125
	ds_load_2addr_b64 v[124:127], v142 offset0:19 offset1:20
	v_pk_add_f32 v[82:83], v[82:83], v[132:133] neg_lo:[0,1] neg_hi:[0,1]
	s_wait_dscnt 0x0
	v_pk_mul_f32 v[132:133], v[124:125], v[130:131] op_sel:[0,1]
	s_delay_alu instid0(VALU_DEP_1) | instskip(SKIP_1) | instid1(VALU_DEP_1)
	v_pk_fma_f32 v[134:135], v[124:125], v[128:129], v[132:133] op_sel:[0,0,1] op_sel_hi:[1,1,0] neg_lo:[0,0,1] neg_hi:[0,0,1]
	v_pk_fma_f32 v[124:125], v[124:125], v[128:129], v[132:133] op_sel:[0,0,1] op_sel_hi:[1,0,0]
	v_mov_b32_e32 v135, v125
	v_pk_mul_f32 v[124:125], v[126:127], v[130:131] op_sel:[0,1]
	s_delay_alu instid0(VALU_DEP_1) | instskip(SKIP_1) | instid1(VALU_DEP_1)
	v_pk_fma_f32 v[132:133], v[126:127], v[128:129], v[124:125] op_sel:[0,0,1] op_sel_hi:[1,1,0] neg_lo:[0,0,1] neg_hi:[0,0,1]
	v_pk_fma_f32 v[124:125], v[126:127], v[128:129], v[124:125] op_sel:[0,0,1] op_sel_hi:[1,0,0]
	v_mov_b32_e32 v133, v125
	ds_load_2addr_b64 v[124:127], v142 offset0:21 offset1:22
	v_pk_add_f32 v[90:91], v[90:91], v[134:135] neg_lo:[0,1] neg_hi:[0,1]
	v_pk_add_f32 v[88:89], v[88:89], v[132:133] neg_lo:[0,1] neg_hi:[0,1]
	s_wait_dscnt 0x0
	v_pk_mul_f32 v[132:133], v[124:125], v[130:131] op_sel:[0,1]
	s_delay_alu instid0(VALU_DEP_1) | instskip(SKIP_1) | instid1(VALU_DEP_1)
	v_pk_fma_f32 v[134:135], v[124:125], v[128:129], v[132:133] op_sel:[0,0,1] op_sel_hi:[1,1,0] neg_lo:[0,0,1] neg_hi:[0,0,1]
	v_pk_fma_f32 v[124:125], v[124:125], v[128:129], v[132:133] op_sel:[0,0,1] op_sel_hi:[1,0,0]
	v_mov_b32_e32 v135, v125
	v_pk_mul_f32 v[124:125], v[126:127], v[130:131] op_sel:[0,1]
	s_delay_alu instid0(VALU_DEP_1) | instskip(SKIP_1) | instid1(VALU_DEP_1)
	v_pk_fma_f32 v[130:131], v[126:127], v[128:129], v[124:125] op_sel:[0,0,1] op_sel_hi:[1,1,0] neg_lo:[0,0,1] neg_hi:[0,0,1]
	v_pk_fma_f32 v[124:125], v[126:127], v[128:129], v[124:125] op_sel:[0,0,1] op_sel_hi:[1,0,0]
	v_mov_b32_e32 v131, v125
	v_pk_add_f32 v[86:87], v[86:87], v[134:135] neg_lo:[0,1] neg_hi:[0,1]
	s_delay_alu instid0(VALU_DEP_2)
	v_pk_add_f32 v[92:93], v[92:93], v[130:131] neg_lo:[0,1] neg_hi:[0,1]
.LBB45_136:
	s_or_b32 exec_lo, exec_lo, s1
	s_delay_alu instid0(SALU_CYCLE_1)
	s_mov_b32 s2, exec_lo
	s_wait_dscnt 0x0
	s_barrier_signal -1
	s_barrier_wait -1
	v_cmpx_eq_u32_e32 15, v140
	s_cbranch_execz .LBB45_143
; %bb.137:
	v_dual_mov_b32 v124, v84 :: v_dual_mov_b32 v125, v85
	v_dual_mov_b32 v126, v80 :: v_dual_mov_b32 v127, v81
	v_dual_mov_b32 v128, v82 :: v_dual_mov_b32 v129, v83
	v_dual_mov_b32 v130, v90 :: v_dual_mov_b32 v131, v91
	v_dual_mov_b32 v132, v88 :: v_dual_mov_b32 v133, v89
	v_dual_mov_b32 v134, v86 :: v_dual_mov_b32 v135, v87
	ds_store_b64 v141, v[62:63]
	ds_store_2addr_b64 v142, v[124:125], v[126:127] offset0:16 offset1:17
	ds_store_2addr_b64 v142, v[128:129], v[130:131] offset0:18 offset1:19
	ds_store_2addr_b64 v142, v[132:133], v[134:135] offset0:20 offset1:21
	ds_store_b64 v142, v[92:93] offset:176
	ds_load_b64 v[124:125], v141
	s_wait_dscnt 0x0
	v_cmp_neq_f32_e32 vcc_lo, 0, v124
	v_cmp_neq_f32_e64 s1, 0, v125
	s_or_b32 s1, vcc_lo, s1
	s_delay_alu instid0(SALU_CYCLE_1)
	s_and_b32 exec_lo, exec_lo, s1
	s_cbranch_execz .LBB45_143
; %bb.138:
	v_cmp_ngt_f32_e64 s1, |v124|, |v125|
                                        ; implicit-def: $vgpr126_vgpr127
	s_and_saveexec_b32 s4, s1
	s_delay_alu instid0(SALU_CYCLE_1)
	s_xor_b32 s1, exec_lo, s4
	s_cbranch_execz .LBB45_140
; %bb.139:
	v_div_scale_f32 v126, null, v125, v125, v124
	v_div_scale_f32 v129, vcc_lo, v124, v125, v124
	s_delay_alu instid0(VALU_DEP_2) | instskip(SKIP_1) | instid1(TRANS32_DEP_1)
	v_rcp_f32_e32 v127, v126
	v_nop
	v_fma_f32 v128, -v126, v127, 1.0
	s_delay_alu instid0(VALU_DEP_1) | instskip(NEXT) | instid1(VALU_DEP_1)
	v_fmac_f32_e32 v127, v128, v127
	v_mul_f32_e32 v128, v129, v127
	s_delay_alu instid0(VALU_DEP_1) | instskip(NEXT) | instid1(VALU_DEP_1)
	v_fma_f32 v130, -v126, v128, v129
	v_fmac_f32_e32 v128, v130, v127
	s_delay_alu instid0(VALU_DEP_1) | instskip(NEXT) | instid1(VALU_DEP_1)
	v_fma_f32 v126, -v126, v128, v129
	v_div_fmas_f32 v126, v126, v127, v128
	s_delay_alu instid0(VALU_DEP_1) | instskip(NEXT) | instid1(VALU_DEP_1)
	v_div_fixup_f32 v126, v126, v125, v124
	v_fmac_f32_e32 v125, v124, v126
	s_delay_alu instid0(VALU_DEP_1) | instskip(SKIP_1) | instid1(VALU_DEP_2)
	v_div_scale_f32 v124, null, v125, v125, 1.0
	v_div_scale_f32 v129, vcc_lo, 1.0, v125, 1.0
	v_rcp_f32_e32 v127, v124
	v_nop
	s_delay_alu instid0(TRANS32_DEP_1) | instskip(NEXT) | instid1(VALU_DEP_1)
	v_fma_f32 v128, -v124, v127, 1.0
	v_fmac_f32_e32 v127, v128, v127
	s_delay_alu instid0(VALU_DEP_1) | instskip(NEXT) | instid1(VALU_DEP_1)
	v_mul_f32_e32 v128, v129, v127
	v_fma_f32 v130, -v124, v128, v129
	s_delay_alu instid0(VALU_DEP_1) | instskip(NEXT) | instid1(VALU_DEP_1)
	v_fmac_f32_e32 v128, v130, v127
	v_fma_f32 v124, -v124, v128, v129
	s_delay_alu instid0(VALU_DEP_1) | instskip(NEXT) | instid1(VALU_DEP_1)
	v_div_fmas_f32 v124, v124, v127, v128
	v_div_fixup_f32 v124, v124, v125, 1.0
	s_delay_alu instid0(VALU_DEP_1)
	v_mul_f32_e32 v126, v126, v124
	v_xor_b32_e32 v127, 0x80000000, v124
                                        ; implicit-def: $vgpr124_vgpr125
.LBB45_140:
	s_and_not1_saveexec_b32 s1, s1
	s_cbranch_execz .LBB45_142
; %bb.141:
	v_div_scale_f32 v126, null, v124, v124, v125
	v_div_scale_f32 v129, vcc_lo, v125, v124, v125
	s_delay_alu instid0(VALU_DEP_2) | instskip(SKIP_1) | instid1(TRANS32_DEP_1)
	v_rcp_f32_e32 v127, v126
	v_nop
	v_fma_f32 v128, -v126, v127, 1.0
	s_delay_alu instid0(VALU_DEP_1) | instskip(NEXT) | instid1(VALU_DEP_1)
	v_fmac_f32_e32 v127, v128, v127
	v_mul_f32_e32 v128, v129, v127
	s_delay_alu instid0(VALU_DEP_1) | instskip(NEXT) | instid1(VALU_DEP_1)
	v_fma_f32 v130, -v126, v128, v129
	v_fmac_f32_e32 v128, v130, v127
	s_delay_alu instid0(VALU_DEP_1) | instskip(NEXT) | instid1(VALU_DEP_1)
	v_fma_f32 v126, -v126, v128, v129
	v_div_fmas_f32 v126, v126, v127, v128
	s_delay_alu instid0(VALU_DEP_1) | instskip(NEXT) | instid1(VALU_DEP_1)
	v_div_fixup_f32 v127, v126, v124, v125
	v_fmac_f32_e32 v124, v125, v127
	s_delay_alu instid0(VALU_DEP_1) | instskip(NEXT) | instid1(VALU_DEP_1)
	v_div_scale_f32 v125, null, v124, v124, 1.0
	v_rcp_f32_e32 v126, v125
	v_nop
	s_delay_alu instid0(TRANS32_DEP_1) | instskip(NEXT) | instid1(VALU_DEP_1)
	v_fma_f32 v128, -v125, v126, 1.0
	v_fmac_f32_e32 v126, v128, v126
	v_div_scale_f32 v128, vcc_lo, 1.0, v124, 1.0
	s_delay_alu instid0(VALU_DEP_1) | instskip(NEXT) | instid1(VALU_DEP_1)
	v_mul_f32_e32 v129, v128, v126
	v_fma_f32 v130, -v125, v129, v128
	s_delay_alu instid0(VALU_DEP_1) | instskip(NEXT) | instid1(VALU_DEP_1)
	v_fmac_f32_e32 v129, v130, v126
	v_fma_f32 v125, -v125, v129, v128
	s_delay_alu instid0(VALU_DEP_1) | instskip(NEXT) | instid1(VALU_DEP_1)
	v_div_fmas_f32 v125, v125, v126, v129
	v_div_fixup_f32 v126, v125, v124, 1.0
	s_delay_alu instid0(VALU_DEP_1)
	v_mul_f32_e64 v127, v127, -v126
.LBB45_142:
	s_or_b32 exec_lo, exec_lo, s1
	ds_store_b64 v141, v[126:127]
.LBB45_143:
	s_or_b32 exec_lo, exec_lo, s2
	s_wait_dscnt 0x0
	s_barrier_signal -1
	s_barrier_wait -1
	ds_load_b64 v[124:125], v141
	s_mov_b32 s1, exec_lo
	v_cmpx_lt_u32_e32 15, v140
	s_cbranch_execz .LBB45_145
; %bb.144:
	s_wait_dscnt 0x0
	v_pk_mul_f32 v[126:127], v[124:125], v[62:63] op_sel:[1,1] op_sel_hi:[0,1]
	s_delay_alu instid0(VALU_DEP_1)
	v_pk_fma_f32 v[130:131], v[124:125], v[62:63], v[126:127] op_sel_hi:[1,0,1] neg_lo:[0,0,1] neg_hi:[0,0,1]
	v_pk_fma_f32 v[132:133], v[124:125], v[62:63], v[126:127] op_sel_hi:[1,0,1]
	ds_load_2addr_b64 v[126:129], v142 offset0:16 offset1:17
	v_dual_mov_b32 v62, v130 :: v_dual_mov_b32 v63, v133
	s_wait_dscnt 0x0
	v_pk_mul_f32 v[134:135], v[126:127], v[132:133] op_sel:[0,1]
	s_delay_alu instid0(VALU_DEP_1) | instskip(SKIP_1) | instid1(VALU_DEP_1)
	v_pk_fma_f32 v[136:137], v[126:127], v[130:131], v[134:135] op_sel:[0,0,1] op_sel_hi:[1,1,0] neg_lo:[0,0,1] neg_hi:[0,0,1]
	v_pk_fma_f32 v[126:127], v[126:127], v[130:131], v[134:135] op_sel:[0,0,1] op_sel_hi:[1,0,0]
	v_mov_b32_e32 v137, v127
	v_pk_mul_f32 v[126:127], v[128:129], v[132:133] op_sel:[0,1]
	s_delay_alu instid0(VALU_DEP_1) | instskip(SKIP_1) | instid1(VALU_DEP_1)
	v_pk_fma_f32 v[134:135], v[128:129], v[130:131], v[126:127] op_sel:[0,0,1] op_sel_hi:[1,1,0] neg_lo:[0,0,1] neg_hi:[0,0,1]
	v_pk_fma_f32 v[126:127], v[128:129], v[130:131], v[126:127] op_sel:[0,0,1] op_sel_hi:[1,0,0]
	v_mov_b32_e32 v135, v127
	ds_load_2addr_b64 v[126:129], v142 offset0:18 offset1:19
	v_pk_add_f32 v[84:85], v[84:85], v[136:137] neg_lo:[0,1] neg_hi:[0,1]
	v_pk_add_f32 v[80:81], v[80:81], v[134:135] neg_lo:[0,1] neg_hi:[0,1]
	s_wait_dscnt 0x0
	v_pk_mul_f32 v[134:135], v[126:127], v[132:133] op_sel:[0,1]
	s_delay_alu instid0(VALU_DEP_1) | instskip(SKIP_2) | instid1(VALU_DEP_2)
	v_pk_fma_f32 v[136:137], v[126:127], v[130:131], v[134:135] op_sel:[0,0,1] op_sel_hi:[1,1,0] neg_lo:[0,0,1] neg_hi:[0,0,1]
	v_pk_fma_f32 v[126:127], v[126:127], v[130:131], v[134:135] op_sel:[0,0,1] op_sel_hi:[1,0,0]
	v_dual_mul_f32 v134, v129, v133 :: v_dual_mov_b32 v126, v129
	v_dual_mov_b32 v137, v127 :: v_dual_mov_b32 v127, v128
	s_delay_alu instid0(VALU_DEP_2) | instskip(SKIP_1) | instid1(VALU_DEP_3)
	v_pk_fma_f32 v[134:135], v[128:129], v[62:63], v[134:135] op_sel_hi:[1,1,0] neg_lo:[0,0,1] neg_hi:[0,0,1]
	v_mul_f32_e32 v128, v129, v130
	v_pk_add_f32 v[82:83], v[82:83], v[136:137] neg_lo:[0,1] neg_hi:[0,1]
	s_delay_alu instid0(VALU_DEP_2) | instskip(NEXT) | instid1(VALU_DEP_1)
	v_pk_fma_f32 v[126:127], v[126:127], v[62:63], v[128:129] op_sel_hi:[1,1,0]
	v_mov_b32_e32 v135, v127
	ds_load_2addr_b64 v[126:129], v142 offset0:20 offset1:21
	v_pk_add_f32 v[90:91], v[90:91], v[134:135] neg_lo:[0,1] neg_hi:[0,1]
	s_wait_dscnt 0x0
	v_pk_mul_f32 v[134:135], v[126:127], v[132:133] op_sel:[0,1]
	s_delay_alu instid0(VALU_DEP_1) | instskip(SKIP_1) | instid1(VALU_DEP_1)
	v_pk_fma_f32 v[136:137], v[126:127], v[130:131], v[134:135] op_sel:[0,0,1] op_sel_hi:[1,1,0] neg_lo:[0,0,1] neg_hi:[0,0,1]
	v_pk_fma_f32 v[126:127], v[126:127], v[130:131], v[134:135] op_sel:[0,0,1] op_sel_hi:[1,0,0]
	v_mov_b32_e32 v137, v127
	v_pk_mul_f32 v[126:127], v[128:129], v[132:133] op_sel:[0,1]
	s_delay_alu instid0(VALU_DEP_1) | instskip(SKIP_1) | instid1(VALU_DEP_1)
	v_pk_fma_f32 v[134:135], v[128:129], v[130:131], v[126:127] op_sel:[0,0,1] op_sel_hi:[1,1,0] neg_lo:[0,0,1] neg_hi:[0,0,1]
	v_pk_fma_f32 v[126:127], v[128:129], v[130:131], v[126:127] op_sel:[0,0,1] op_sel_hi:[1,0,0]
	v_mov_b32_e32 v135, v127
	ds_load_b64 v[126:127], v142 offset:176
	v_pk_add_f32 v[88:89], v[88:89], v[136:137] neg_lo:[0,1] neg_hi:[0,1]
	v_pk_add_f32 v[86:87], v[86:87], v[134:135] neg_lo:[0,1] neg_hi:[0,1]
	s_wait_dscnt 0x0
	v_pk_mul_f32 v[128:129], v[126:127], v[132:133] op_sel:[0,1]
	s_delay_alu instid0(VALU_DEP_1) | instskip(SKIP_1) | instid1(VALU_DEP_1)
	v_pk_fma_f32 v[132:133], v[126:127], v[130:131], v[128:129] op_sel:[0,0,1] op_sel_hi:[1,1,0] neg_lo:[0,0,1] neg_hi:[0,0,1]
	v_pk_fma_f32 v[126:127], v[126:127], v[130:131], v[128:129] op_sel:[0,0,1] op_sel_hi:[1,0,0]
	v_mov_b32_e32 v133, v127
	s_delay_alu instid0(VALU_DEP_1)
	v_pk_add_f32 v[92:93], v[92:93], v[132:133] neg_lo:[0,1] neg_hi:[0,1]
.LBB45_145:
	s_or_b32 exec_lo, exec_lo, s1
	s_delay_alu instid0(SALU_CYCLE_1)
	s_mov_b32 s2, exec_lo
	s_wait_dscnt 0x0
	s_barrier_signal -1
	s_barrier_wait -1
	v_cmpx_eq_u32_e32 16, v140
	s_cbranch_execz .LBB45_152
; %bb.146:
	ds_store_b64 v141, v[84:85]
	ds_store_2addr_b64 v142, v[80:81], v[82:83] offset0:17 offset1:18
	ds_store_2addr_b64 v142, v[90:91], v[88:89] offset0:19 offset1:20
	ds_store_2addr_b64 v142, v[86:87], v[92:93] offset0:21 offset1:22
	ds_load_b64 v[126:127], v141
	s_wait_dscnt 0x0
	v_cmp_neq_f32_e32 vcc_lo, 0, v126
	v_cmp_neq_f32_e64 s1, 0, v127
	s_or_b32 s1, vcc_lo, s1
	s_delay_alu instid0(SALU_CYCLE_1)
	s_and_b32 exec_lo, exec_lo, s1
	s_cbranch_execz .LBB45_152
; %bb.147:
	v_cmp_ngt_f32_e64 s1, |v126|, |v127|
                                        ; implicit-def: $vgpr128_vgpr129
	s_and_saveexec_b32 s4, s1
	s_delay_alu instid0(SALU_CYCLE_1)
	s_xor_b32 s1, exec_lo, s4
	s_cbranch_execz .LBB45_149
; %bb.148:
	v_div_scale_f32 v128, null, v127, v127, v126
	v_div_scale_f32 v131, vcc_lo, v126, v127, v126
	s_delay_alu instid0(VALU_DEP_2) | instskip(SKIP_1) | instid1(TRANS32_DEP_1)
	v_rcp_f32_e32 v129, v128
	v_nop
	v_fma_f32 v130, -v128, v129, 1.0
	s_delay_alu instid0(VALU_DEP_1) | instskip(NEXT) | instid1(VALU_DEP_1)
	v_fmac_f32_e32 v129, v130, v129
	v_mul_f32_e32 v130, v131, v129
	s_delay_alu instid0(VALU_DEP_1) | instskip(NEXT) | instid1(VALU_DEP_1)
	v_fma_f32 v132, -v128, v130, v131
	v_fmac_f32_e32 v130, v132, v129
	s_delay_alu instid0(VALU_DEP_1) | instskip(NEXT) | instid1(VALU_DEP_1)
	v_fma_f32 v128, -v128, v130, v131
	v_div_fmas_f32 v128, v128, v129, v130
	s_delay_alu instid0(VALU_DEP_1) | instskip(NEXT) | instid1(VALU_DEP_1)
	v_div_fixup_f32 v128, v128, v127, v126
	v_fmac_f32_e32 v127, v126, v128
	s_delay_alu instid0(VALU_DEP_1) | instskip(SKIP_1) | instid1(VALU_DEP_2)
	v_div_scale_f32 v126, null, v127, v127, 1.0
	v_div_scale_f32 v131, vcc_lo, 1.0, v127, 1.0
	v_rcp_f32_e32 v129, v126
	v_nop
	s_delay_alu instid0(TRANS32_DEP_1) | instskip(NEXT) | instid1(VALU_DEP_1)
	v_fma_f32 v130, -v126, v129, 1.0
	v_fmac_f32_e32 v129, v130, v129
	s_delay_alu instid0(VALU_DEP_1) | instskip(NEXT) | instid1(VALU_DEP_1)
	v_mul_f32_e32 v130, v131, v129
	v_fma_f32 v132, -v126, v130, v131
	s_delay_alu instid0(VALU_DEP_1) | instskip(NEXT) | instid1(VALU_DEP_1)
	v_fmac_f32_e32 v130, v132, v129
	v_fma_f32 v126, -v126, v130, v131
	s_delay_alu instid0(VALU_DEP_1) | instskip(NEXT) | instid1(VALU_DEP_1)
	v_div_fmas_f32 v126, v126, v129, v130
	v_div_fixup_f32 v126, v126, v127, 1.0
	s_delay_alu instid0(VALU_DEP_1)
	v_mul_f32_e32 v128, v128, v126
	v_xor_b32_e32 v129, 0x80000000, v126
                                        ; implicit-def: $vgpr126_vgpr127
.LBB45_149:
	s_and_not1_saveexec_b32 s1, s1
	s_cbranch_execz .LBB45_151
; %bb.150:
	v_div_scale_f32 v128, null, v126, v126, v127
	v_div_scale_f32 v131, vcc_lo, v127, v126, v127
	s_delay_alu instid0(VALU_DEP_2) | instskip(SKIP_1) | instid1(TRANS32_DEP_1)
	v_rcp_f32_e32 v129, v128
	v_nop
	v_fma_f32 v130, -v128, v129, 1.0
	s_delay_alu instid0(VALU_DEP_1) | instskip(NEXT) | instid1(VALU_DEP_1)
	v_fmac_f32_e32 v129, v130, v129
	v_mul_f32_e32 v130, v131, v129
	s_delay_alu instid0(VALU_DEP_1) | instskip(NEXT) | instid1(VALU_DEP_1)
	v_fma_f32 v132, -v128, v130, v131
	v_fmac_f32_e32 v130, v132, v129
	s_delay_alu instid0(VALU_DEP_1) | instskip(NEXT) | instid1(VALU_DEP_1)
	v_fma_f32 v128, -v128, v130, v131
	v_div_fmas_f32 v128, v128, v129, v130
	s_delay_alu instid0(VALU_DEP_1) | instskip(NEXT) | instid1(VALU_DEP_1)
	v_div_fixup_f32 v129, v128, v126, v127
	v_fmac_f32_e32 v126, v127, v129
	s_delay_alu instid0(VALU_DEP_1) | instskip(NEXT) | instid1(VALU_DEP_1)
	v_div_scale_f32 v127, null, v126, v126, 1.0
	v_rcp_f32_e32 v128, v127
	v_nop
	s_delay_alu instid0(TRANS32_DEP_1) | instskip(NEXT) | instid1(VALU_DEP_1)
	v_fma_f32 v130, -v127, v128, 1.0
	v_fmac_f32_e32 v128, v130, v128
	v_div_scale_f32 v130, vcc_lo, 1.0, v126, 1.0
	s_delay_alu instid0(VALU_DEP_1) | instskip(NEXT) | instid1(VALU_DEP_1)
	v_mul_f32_e32 v131, v130, v128
	v_fma_f32 v132, -v127, v131, v130
	s_delay_alu instid0(VALU_DEP_1) | instskip(NEXT) | instid1(VALU_DEP_1)
	v_fmac_f32_e32 v131, v132, v128
	v_fma_f32 v127, -v127, v131, v130
	s_delay_alu instid0(VALU_DEP_1) | instskip(NEXT) | instid1(VALU_DEP_1)
	v_div_fmas_f32 v127, v127, v128, v131
	v_div_fixup_f32 v128, v127, v126, 1.0
	s_delay_alu instid0(VALU_DEP_1)
	v_mul_f32_e64 v129, v129, -v128
.LBB45_151:
	s_or_b32 exec_lo, exec_lo, s1
	ds_store_b64 v141, v[128:129]
.LBB45_152:
	s_or_b32 exec_lo, exec_lo, s2
	s_wait_dscnt 0x0
	s_barrier_signal -1
	s_barrier_wait -1
	ds_load_b64 v[126:127], v141
	s_mov_b32 s1, exec_lo
	v_cmpx_lt_u32_e32 16, v140
	s_cbranch_execz .LBB45_154
; %bb.153:
	s_wait_dscnt 0x0
	v_pk_mul_f32 v[128:129], v[126:127], v[84:85] op_sel:[1,1] op_sel_hi:[0,1]
	s_delay_alu instid0(VALU_DEP_1)
	v_pk_fma_f32 v[132:133], v[126:127], v[84:85], v[128:129] op_sel_hi:[1,0,1] neg_lo:[0,0,1] neg_hi:[0,0,1]
	v_pk_fma_f32 v[134:135], v[126:127], v[84:85], v[128:129] op_sel_hi:[1,0,1]
	ds_load_2addr_b64 v[128:131], v142 offset0:17 offset1:18
	v_dual_mov_b32 v84, v132 :: v_dual_mov_b32 v85, v135
	s_wait_dscnt 0x0
	v_pk_mul_f32 v[136:137], v[128:129], v[134:135] op_sel:[0,1]
	s_delay_alu instid0(VALU_DEP_1) | instskip(SKIP_1) | instid1(VALU_DEP_1)
	v_pk_fma_f32 v[138:139], v[128:129], v[132:133], v[136:137] op_sel:[0,0,1] op_sel_hi:[1,1,0] neg_lo:[0,0,1] neg_hi:[0,0,1]
	v_pk_fma_f32 v[128:129], v[128:129], v[132:133], v[136:137] op_sel:[0,0,1] op_sel_hi:[1,0,0]
	v_mov_b32_e32 v139, v129
	v_pk_mul_f32 v[128:129], v[130:131], v[134:135] op_sel:[0,1]
	s_delay_alu instid0(VALU_DEP_1) | instskip(SKIP_1) | instid1(VALU_DEP_1)
	v_pk_fma_f32 v[136:137], v[130:131], v[132:133], v[128:129] op_sel:[0,0,1] op_sel_hi:[1,1,0] neg_lo:[0,0,1] neg_hi:[0,0,1]
	v_pk_fma_f32 v[128:129], v[130:131], v[132:133], v[128:129] op_sel:[0,0,1] op_sel_hi:[1,0,0]
	v_mov_b32_e32 v137, v129
	ds_load_2addr_b64 v[128:131], v142 offset0:19 offset1:20
	v_pk_add_f32 v[80:81], v[80:81], v[138:139] neg_lo:[0,1] neg_hi:[0,1]
	v_pk_add_f32 v[82:83], v[82:83], v[136:137] neg_lo:[0,1] neg_hi:[0,1]
	s_wait_dscnt 0x0
	v_pk_mul_f32 v[136:137], v[128:129], v[134:135] op_sel:[0,1]
	s_delay_alu instid0(VALU_DEP_1) | instskip(SKIP_2) | instid1(VALU_DEP_2)
	v_pk_fma_f32 v[138:139], v[128:129], v[132:133], v[136:137] op_sel:[0,0,1] op_sel_hi:[1,1,0] neg_lo:[0,0,1] neg_hi:[0,0,1]
	v_pk_fma_f32 v[128:129], v[128:129], v[132:133], v[136:137] op_sel:[0,0,1] op_sel_hi:[1,0,0]
	v_dual_mul_f32 v136, v131, v135 :: v_dual_mov_b32 v128, v131
	v_dual_mov_b32 v139, v129 :: v_dual_mov_b32 v129, v130
	s_delay_alu instid0(VALU_DEP_2) | instskip(SKIP_1) | instid1(VALU_DEP_3)
	v_pk_fma_f32 v[136:137], v[130:131], v[84:85], v[136:137] op_sel_hi:[1,1,0] neg_lo:[0,0,1] neg_hi:[0,0,1]
	v_mul_f32_e32 v130, v131, v132
	v_pk_add_f32 v[90:91], v[90:91], v[138:139] neg_lo:[0,1] neg_hi:[0,1]
	s_delay_alu instid0(VALU_DEP_2) | instskip(NEXT) | instid1(VALU_DEP_1)
	v_pk_fma_f32 v[128:129], v[128:129], v[84:85], v[130:131] op_sel_hi:[1,1,0]
	v_mov_b32_e32 v137, v129
	ds_load_2addr_b64 v[128:131], v142 offset0:21 offset1:22
	v_pk_add_f32 v[88:89], v[88:89], v[136:137] neg_lo:[0,1] neg_hi:[0,1]
	s_wait_dscnt 0x0
	v_pk_mul_f32 v[136:137], v[128:129], v[134:135] op_sel:[0,1]
	v_mul_f32_e32 v134, v131, v135
	s_delay_alu instid0(VALU_DEP_2) | instskip(SKIP_2) | instid1(VALU_DEP_4)
	v_pk_fma_f32 v[138:139], v[128:129], v[132:133], v[136:137] op_sel:[0,0,1] op_sel_hi:[1,1,0] neg_lo:[0,0,1] neg_hi:[0,0,1]
	v_pk_fma_f32 v[128:129], v[128:129], v[132:133], v[136:137] op_sel:[0,0,1] op_sel_hi:[1,0,0]
	v_mov_b32_e32 v128, v131
	v_pk_fma_f32 v[134:135], v[130:131], v[84:85], v[134:135] op_sel_hi:[1,1,0] neg_lo:[0,0,1] neg_hi:[0,0,1]
	s_delay_alu instid0(VALU_DEP_3) | instskip(SKIP_1) | instid1(VALU_DEP_2)
	v_dual_mov_b32 v139, v129 :: v_dual_mov_b32 v129, v130
	v_mul_f32_e32 v130, v131, v132
	v_pk_add_f32 v[86:87], v[86:87], v[138:139] neg_lo:[0,1] neg_hi:[0,1]
	s_delay_alu instid0(VALU_DEP_2) | instskip(NEXT) | instid1(VALU_DEP_1)
	v_pk_fma_f32 v[128:129], v[128:129], v[84:85], v[130:131] op_sel_hi:[1,1,0]
	v_mov_b32_e32 v135, v129
	s_delay_alu instid0(VALU_DEP_1)
	v_pk_add_f32 v[92:93], v[92:93], v[134:135] neg_lo:[0,1] neg_hi:[0,1]
.LBB45_154:
	s_or_b32 exec_lo, exec_lo, s1
	s_delay_alu instid0(SALU_CYCLE_1)
	s_mov_b32 s2, exec_lo
	s_wait_dscnt 0x0
	s_barrier_signal -1
	s_barrier_wait -1
	v_cmpx_eq_u32_e32 17, v140
	s_cbranch_execz .LBB45_161
; %bb.155:
	v_dual_mov_b32 v128, v82 :: v_dual_mov_b32 v129, v83
	v_dual_mov_b32 v130, v90 :: v_dual_mov_b32 v131, v91
	;; [unrolled: 1-line block ×4, first 2 shown]
	ds_store_b64 v141, v[80:81]
	ds_store_2addr_b64 v142, v[128:129], v[130:131] offset0:18 offset1:19
	ds_store_2addr_b64 v142, v[132:133], v[134:135] offset0:20 offset1:21
	ds_store_b64 v142, v[92:93] offset:176
	ds_load_b64 v[128:129], v141
	s_wait_dscnt 0x0
	v_cmp_neq_f32_e32 vcc_lo, 0, v128
	v_cmp_neq_f32_e64 s1, 0, v129
	s_or_b32 s1, vcc_lo, s1
	s_delay_alu instid0(SALU_CYCLE_1)
	s_and_b32 exec_lo, exec_lo, s1
	s_cbranch_execz .LBB45_161
; %bb.156:
	v_cmp_ngt_f32_e64 s1, |v128|, |v129|
                                        ; implicit-def: $vgpr130_vgpr131
	s_and_saveexec_b32 s4, s1
	s_delay_alu instid0(SALU_CYCLE_1)
	s_xor_b32 s1, exec_lo, s4
	s_cbranch_execz .LBB45_158
; %bb.157:
	v_div_scale_f32 v130, null, v129, v129, v128
	v_div_scale_f32 v133, vcc_lo, v128, v129, v128
	s_delay_alu instid0(VALU_DEP_2) | instskip(SKIP_1) | instid1(TRANS32_DEP_1)
	v_rcp_f32_e32 v131, v130
	v_nop
	v_fma_f32 v132, -v130, v131, 1.0
	s_delay_alu instid0(VALU_DEP_1) | instskip(NEXT) | instid1(VALU_DEP_1)
	v_fmac_f32_e32 v131, v132, v131
	v_mul_f32_e32 v132, v133, v131
	s_delay_alu instid0(VALU_DEP_1) | instskip(NEXT) | instid1(VALU_DEP_1)
	v_fma_f32 v134, -v130, v132, v133
	v_fmac_f32_e32 v132, v134, v131
	s_delay_alu instid0(VALU_DEP_1) | instskip(NEXT) | instid1(VALU_DEP_1)
	v_fma_f32 v130, -v130, v132, v133
	v_div_fmas_f32 v130, v130, v131, v132
	s_delay_alu instid0(VALU_DEP_1) | instskip(NEXT) | instid1(VALU_DEP_1)
	v_div_fixup_f32 v130, v130, v129, v128
	v_fmac_f32_e32 v129, v128, v130
	s_delay_alu instid0(VALU_DEP_1) | instskip(SKIP_1) | instid1(VALU_DEP_2)
	v_div_scale_f32 v128, null, v129, v129, 1.0
	v_div_scale_f32 v133, vcc_lo, 1.0, v129, 1.0
	v_rcp_f32_e32 v131, v128
	v_nop
	s_delay_alu instid0(TRANS32_DEP_1) | instskip(NEXT) | instid1(VALU_DEP_1)
	v_fma_f32 v132, -v128, v131, 1.0
	v_fmac_f32_e32 v131, v132, v131
	s_delay_alu instid0(VALU_DEP_1) | instskip(NEXT) | instid1(VALU_DEP_1)
	v_mul_f32_e32 v132, v133, v131
	v_fma_f32 v134, -v128, v132, v133
	s_delay_alu instid0(VALU_DEP_1) | instskip(NEXT) | instid1(VALU_DEP_1)
	v_fmac_f32_e32 v132, v134, v131
	v_fma_f32 v128, -v128, v132, v133
	s_delay_alu instid0(VALU_DEP_1) | instskip(NEXT) | instid1(VALU_DEP_1)
	v_div_fmas_f32 v128, v128, v131, v132
	v_div_fixup_f32 v128, v128, v129, 1.0
	s_delay_alu instid0(VALU_DEP_1)
	v_mul_f32_e32 v130, v130, v128
	v_xor_b32_e32 v131, 0x80000000, v128
                                        ; implicit-def: $vgpr128_vgpr129
.LBB45_158:
	s_and_not1_saveexec_b32 s1, s1
	s_cbranch_execz .LBB45_160
; %bb.159:
	v_div_scale_f32 v130, null, v128, v128, v129
	v_div_scale_f32 v133, vcc_lo, v129, v128, v129
	s_delay_alu instid0(VALU_DEP_2) | instskip(SKIP_1) | instid1(TRANS32_DEP_1)
	v_rcp_f32_e32 v131, v130
	v_nop
	v_fma_f32 v132, -v130, v131, 1.0
	s_delay_alu instid0(VALU_DEP_1) | instskip(NEXT) | instid1(VALU_DEP_1)
	v_fmac_f32_e32 v131, v132, v131
	v_mul_f32_e32 v132, v133, v131
	s_delay_alu instid0(VALU_DEP_1) | instskip(NEXT) | instid1(VALU_DEP_1)
	v_fma_f32 v134, -v130, v132, v133
	v_fmac_f32_e32 v132, v134, v131
	s_delay_alu instid0(VALU_DEP_1) | instskip(NEXT) | instid1(VALU_DEP_1)
	v_fma_f32 v130, -v130, v132, v133
	v_div_fmas_f32 v130, v130, v131, v132
	s_delay_alu instid0(VALU_DEP_1) | instskip(NEXT) | instid1(VALU_DEP_1)
	v_div_fixup_f32 v131, v130, v128, v129
	v_fmac_f32_e32 v128, v129, v131
	s_delay_alu instid0(VALU_DEP_1) | instskip(NEXT) | instid1(VALU_DEP_1)
	v_div_scale_f32 v129, null, v128, v128, 1.0
	v_rcp_f32_e32 v130, v129
	v_nop
	s_delay_alu instid0(TRANS32_DEP_1) | instskip(NEXT) | instid1(VALU_DEP_1)
	v_fma_f32 v132, -v129, v130, 1.0
	v_fmac_f32_e32 v130, v132, v130
	v_div_scale_f32 v132, vcc_lo, 1.0, v128, 1.0
	s_delay_alu instid0(VALU_DEP_1) | instskip(NEXT) | instid1(VALU_DEP_1)
	v_mul_f32_e32 v133, v132, v130
	v_fma_f32 v134, -v129, v133, v132
	s_delay_alu instid0(VALU_DEP_1) | instskip(NEXT) | instid1(VALU_DEP_1)
	v_fmac_f32_e32 v133, v134, v130
	v_fma_f32 v129, -v129, v133, v132
	s_delay_alu instid0(VALU_DEP_1) | instskip(NEXT) | instid1(VALU_DEP_1)
	v_div_fmas_f32 v129, v129, v130, v133
	v_div_fixup_f32 v130, v129, v128, 1.0
	s_delay_alu instid0(VALU_DEP_1)
	v_mul_f32_e64 v131, v131, -v130
.LBB45_160:
	s_or_b32 exec_lo, exec_lo, s1
	ds_store_b64 v141, v[130:131]
.LBB45_161:
	s_or_b32 exec_lo, exec_lo, s2
	s_wait_dscnt 0x0
	s_barrier_signal -1
	s_barrier_wait -1
	ds_load_b64 v[128:129], v141
	s_mov_b32 s1, exec_lo
	v_cmpx_lt_u32_e32 17, v140
	s_cbranch_execz .LBB45_163
; %bb.162:
	ds_load_2addr_b64 v[130:133], v142 offset0:18 offset1:19
	ds_load_2addr_b64 v[134:137], v142 offset0:20 offset1:21
	ds_load_b64 v[138:139], v142 offset:176
	s_wait_dscnt 0x3
	v_pk_mul_f32 v[144:145], v[128:129], v[80:81] op_sel:[1,1] op_sel_hi:[0,1]
	s_delay_alu instid0(VALU_DEP_1) | instskip(SKIP_1) | instid1(VALU_DEP_1)
	v_pk_fma_f32 v[146:147], v[128:129], v[80:81], v[144:145] op_sel_hi:[1,0,1] neg_lo:[0,0,1] neg_hi:[0,0,1]
	v_pk_fma_f32 v[144:145], v[128:129], v[80:81], v[144:145] op_sel_hi:[1,0,1]
	v_dual_mov_b32 v80, v146 :: v_dual_mov_b32 v81, v145
	s_wait_dscnt 0x2
	s_delay_alu instid0(VALU_DEP_2)
	v_pk_mul_f32 v[148:149], v[130:131], v[144:145] op_sel:[0,1]
	v_pk_mul_f32 v[150:151], v[132:133], v[144:145] op_sel:[0,1]
	s_wait_dscnt 0x1
	v_pk_mul_f32 v[152:153], v[134:135], v[144:145] op_sel:[0,1]
	v_dual_mov_b32 v154, v137 :: v_dual_mov_b32 v155, v136
	v_dual_mul_f32 v156, v137, v145 :: v_dual_mul_f32 v158, v137, v146
	s_wait_dscnt 0x0
	v_pk_mul_f32 v[144:145], v[138:139], v[144:145] op_sel:[0,1]
	v_pk_fma_f32 v[160:161], v[130:131], v[146:147], v[148:149] op_sel:[0,0,1] op_sel_hi:[1,1,0] neg_lo:[0,0,1] neg_hi:[0,0,1]
	v_pk_fma_f32 v[130:131], v[130:131], v[146:147], v[148:149] op_sel:[0,0,1] op_sel_hi:[1,0,0]
	v_pk_fma_f32 v[148:149], v[132:133], v[146:147], v[150:151] op_sel:[0,0,1] op_sel_hi:[1,1,0] neg_lo:[0,0,1] neg_hi:[0,0,1]
	v_pk_fma_f32 v[132:133], v[132:133], v[146:147], v[150:151] op_sel:[0,0,1] op_sel_hi:[1,0,0]
	;; [unrolled: 2-line block ×3, first 2 shown]
	v_pk_fma_f32 v[152:153], v[154:155], v[80:81], v[158:159] op_sel_hi:[1,1,0]
	v_pk_fma_f32 v[154:155], v[138:139], v[146:147], v[144:145] op_sel:[0,0,1] op_sel_hi:[1,1,0] neg_lo:[0,0,1] neg_hi:[0,0,1]
	v_pk_fma_f32 v[138:139], v[138:139], v[146:147], v[144:145] op_sel:[0,0,1] op_sel_hi:[1,0,0]
	v_pk_fma_f32 v[136:137], v[136:137], v[80:81], v[156:157] op_sel_hi:[1,1,0] neg_lo:[0,0,1] neg_hi:[0,0,1]
	v_dual_mov_b32 v161, v131 :: v_dual_mov_b32 v149, v133
	v_dual_mov_b32 v151, v135 :: v_dual_mov_b32 v137, v153
	s_delay_alu instid0(VALU_DEP_4) | instskip(NEXT) | instid1(VALU_DEP_3)
	v_mov_b32_e32 v155, v139
	v_pk_add_f32 v[82:83], v[82:83], v[160:161] neg_lo:[0,1] neg_hi:[0,1]
	s_delay_alu instid0(VALU_DEP_4) | instskip(NEXT) | instid1(VALU_DEP_4)
	v_pk_add_f32 v[90:91], v[90:91], v[148:149] neg_lo:[0,1] neg_hi:[0,1]
	v_pk_add_f32 v[88:89], v[88:89], v[150:151] neg_lo:[0,1] neg_hi:[0,1]
	v_pk_add_f32 v[86:87], v[86:87], v[136:137] neg_lo:[0,1] neg_hi:[0,1]
	v_pk_add_f32 v[92:93], v[92:93], v[154:155] neg_lo:[0,1] neg_hi:[0,1]
.LBB45_163:
	s_or_b32 exec_lo, exec_lo, s1
	s_delay_alu instid0(SALU_CYCLE_1)
	s_mov_b32 s2, exec_lo
	s_wait_dscnt 0x0
	s_barrier_signal -1
	s_barrier_wait -1
	v_cmpx_eq_u32_e32 18, v140
	s_cbranch_execz .LBB45_170
; %bb.164:
	ds_store_b64 v141, v[82:83]
	ds_store_2addr_b64 v142, v[90:91], v[88:89] offset0:19 offset1:20
	ds_store_2addr_b64 v142, v[86:87], v[92:93] offset0:21 offset1:22
	ds_load_b64 v[130:131], v141
	s_wait_dscnt 0x0
	v_cmp_neq_f32_e32 vcc_lo, 0, v130
	v_cmp_neq_f32_e64 s1, 0, v131
	s_or_b32 s1, vcc_lo, s1
	s_delay_alu instid0(SALU_CYCLE_1)
	s_and_b32 exec_lo, exec_lo, s1
	s_cbranch_execz .LBB45_170
; %bb.165:
	v_cmp_ngt_f32_e64 s1, |v130|, |v131|
                                        ; implicit-def: $vgpr132_vgpr133
	s_and_saveexec_b32 s4, s1
	s_delay_alu instid0(SALU_CYCLE_1)
	s_xor_b32 s1, exec_lo, s4
	s_cbranch_execz .LBB45_167
; %bb.166:
	v_div_scale_f32 v132, null, v131, v131, v130
	v_div_scale_f32 v135, vcc_lo, v130, v131, v130
	s_delay_alu instid0(VALU_DEP_2) | instskip(SKIP_1) | instid1(TRANS32_DEP_1)
	v_rcp_f32_e32 v133, v132
	v_nop
	v_fma_f32 v134, -v132, v133, 1.0
	s_delay_alu instid0(VALU_DEP_1) | instskip(NEXT) | instid1(VALU_DEP_1)
	v_fmac_f32_e32 v133, v134, v133
	v_mul_f32_e32 v134, v135, v133
	s_delay_alu instid0(VALU_DEP_1) | instskip(NEXT) | instid1(VALU_DEP_1)
	v_fma_f32 v136, -v132, v134, v135
	v_fmac_f32_e32 v134, v136, v133
	s_delay_alu instid0(VALU_DEP_1) | instskip(NEXT) | instid1(VALU_DEP_1)
	v_fma_f32 v132, -v132, v134, v135
	v_div_fmas_f32 v132, v132, v133, v134
	s_delay_alu instid0(VALU_DEP_1) | instskip(NEXT) | instid1(VALU_DEP_1)
	v_div_fixup_f32 v132, v132, v131, v130
	v_fmac_f32_e32 v131, v130, v132
	s_delay_alu instid0(VALU_DEP_1) | instskip(SKIP_1) | instid1(VALU_DEP_2)
	v_div_scale_f32 v130, null, v131, v131, 1.0
	v_div_scale_f32 v135, vcc_lo, 1.0, v131, 1.0
	v_rcp_f32_e32 v133, v130
	v_nop
	s_delay_alu instid0(TRANS32_DEP_1) | instskip(NEXT) | instid1(VALU_DEP_1)
	v_fma_f32 v134, -v130, v133, 1.0
	v_fmac_f32_e32 v133, v134, v133
	s_delay_alu instid0(VALU_DEP_1) | instskip(NEXT) | instid1(VALU_DEP_1)
	v_mul_f32_e32 v134, v135, v133
	v_fma_f32 v136, -v130, v134, v135
	s_delay_alu instid0(VALU_DEP_1) | instskip(NEXT) | instid1(VALU_DEP_1)
	v_fmac_f32_e32 v134, v136, v133
	v_fma_f32 v130, -v130, v134, v135
	s_delay_alu instid0(VALU_DEP_1) | instskip(NEXT) | instid1(VALU_DEP_1)
	v_div_fmas_f32 v130, v130, v133, v134
	v_div_fixup_f32 v130, v130, v131, 1.0
	s_delay_alu instid0(VALU_DEP_1)
	v_mul_f32_e32 v132, v132, v130
	v_xor_b32_e32 v133, 0x80000000, v130
                                        ; implicit-def: $vgpr130_vgpr131
.LBB45_167:
	s_and_not1_saveexec_b32 s1, s1
	s_cbranch_execz .LBB45_169
; %bb.168:
	v_div_scale_f32 v132, null, v130, v130, v131
	v_div_scale_f32 v135, vcc_lo, v131, v130, v131
	s_delay_alu instid0(VALU_DEP_2) | instskip(SKIP_1) | instid1(TRANS32_DEP_1)
	v_rcp_f32_e32 v133, v132
	v_nop
	v_fma_f32 v134, -v132, v133, 1.0
	s_delay_alu instid0(VALU_DEP_1) | instskip(NEXT) | instid1(VALU_DEP_1)
	v_fmac_f32_e32 v133, v134, v133
	v_mul_f32_e32 v134, v135, v133
	s_delay_alu instid0(VALU_DEP_1) | instskip(NEXT) | instid1(VALU_DEP_1)
	v_fma_f32 v136, -v132, v134, v135
	v_fmac_f32_e32 v134, v136, v133
	s_delay_alu instid0(VALU_DEP_1) | instskip(NEXT) | instid1(VALU_DEP_1)
	v_fma_f32 v132, -v132, v134, v135
	v_div_fmas_f32 v132, v132, v133, v134
	s_delay_alu instid0(VALU_DEP_1) | instskip(NEXT) | instid1(VALU_DEP_1)
	v_div_fixup_f32 v133, v132, v130, v131
	v_fmac_f32_e32 v130, v131, v133
	s_delay_alu instid0(VALU_DEP_1) | instskip(NEXT) | instid1(VALU_DEP_1)
	v_div_scale_f32 v131, null, v130, v130, 1.0
	v_rcp_f32_e32 v132, v131
	v_nop
	s_delay_alu instid0(TRANS32_DEP_1) | instskip(NEXT) | instid1(VALU_DEP_1)
	v_fma_f32 v134, -v131, v132, 1.0
	v_fmac_f32_e32 v132, v134, v132
	v_div_scale_f32 v134, vcc_lo, 1.0, v130, 1.0
	s_delay_alu instid0(VALU_DEP_1) | instskip(NEXT) | instid1(VALU_DEP_1)
	v_mul_f32_e32 v135, v134, v132
	v_fma_f32 v136, -v131, v135, v134
	s_delay_alu instid0(VALU_DEP_1) | instskip(NEXT) | instid1(VALU_DEP_1)
	v_fmac_f32_e32 v135, v136, v132
	v_fma_f32 v131, -v131, v135, v134
	s_delay_alu instid0(VALU_DEP_1) | instskip(NEXT) | instid1(VALU_DEP_1)
	v_div_fmas_f32 v131, v131, v132, v135
	v_div_fixup_f32 v132, v131, v130, 1.0
	s_delay_alu instid0(VALU_DEP_1)
	v_mul_f32_e64 v133, v133, -v132
.LBB45_169:
	s_or_b32 exec_lo, exec_lo, s1
	ds_store_b64 v141, v[132:133]
.LBB45_170:
	s_or_b32 exec_lo, exec_lo, s2
	s_wait_dscnt 0x0
	s_barrier_signal -1
	s_barrier_wait -1
	ds_load_b64 v[130:131], v141
	s_mov_b32 s1, exec_lo
	v_cmpx_lt_u32_e32 18, v140
	s_cbranch_execz .LBB45_172
; %bb.171:
	ds_load_2addr_b64 v[132:135], v142 offset0:19 offset1:20
	ds_load_2addr_b64 v[136:139], v142 offset0:21 offset1:22
	s_wait_dscnt 0x2
	v_pk_mul_f32 v[144:145], v[130:131], v[82:83] op_sel:[1,1] op_sel_hi:[0,1]
	s_delay_alu instid0(VALU_DEP_1) | instskip(SKIP_1) | instid1(VALU_DEP_1)
	v_pk_fma_f32 v[146:147], v[130:131], v[82:83], v[144:145] op_sel_hi:[1,0,1] neg_lo:[0,0,1] neg_hi:[0,0,1]
	v_pk_fma_f32 v[144:145], v[130:131], v[82:83], v[144:145] op_sel_hi:[1,0,1]
	v_dual_mov_b32 v82, v146 :: v_dual_mov_b32 v83, v145
	s_wait_dscnt 0x1
	s_delay_alu instid0(VALU_DEP_2)
	v_pk_mul_f32 v[148:149], v[132:133], v[144:145] op_sel:[0,1]
	s_wait_dscnt 0x0
	v_mov_b32_e32 v150, v139
	v_pk_mul_f32 v[152:153], v[134:135], v[144:145] op_sel:[0,1]
	v_pk_mul_f32 v[154:155], v[136:137], v[144:145] op_sel:[0,1]
	v_pk_fma_f32 v[156:157], v[132:133], v[146:147], v[148:149] op_sel:[0,0,1] op_sel_hi:[1,1,0] neg_lo:[0,0,1] neg_hi:[0,0,1]
	v_pk_fma_f32 v[132:133], v[132:133], v[146:147], v[148:149] op_sel:[0,0,1] op_sel_hi:[1,0,0]
	s_delay_alu instid0(VALU_DEP_1) | instskip(NEXT) | instid1(VALU_DEP_1)
	v_dual_mov_b32 v151, v138 :: v_dual_mov_b32 v157, v133
	v_pk_mul_f32 v[148:149], v[150:151], v[144:145] op_sel:[0,1]
	v_pk_fma_f32 v[150:151], v[134:135], v[146:147], v[152:153] op_sel:[0,0,1] op_sel_hi:[1,0,0]
	v_pk_fma_f32 v[134:135], v[134:135], v[146:147], v[152:153] op_sel:[0,0,1] op_sel_hi:[1,1,0] neg_lo:[0,0,1] neg_hi:[0,0,1]
	v_pk_fma_f32 v[152:153], v[136:137], v[146:147], v[154:155] op_sel:[0,0,1] op_sel_hi:[1,0,0]
	v_pk_fma_f32 v[136:137], v[136:137], v[146:147], v[154:155] op_sel:[0,0,1] op_sel_hi:[1,1,0] neg_lo:[0,0,1] neg_hi:[0,0,1]
	v_pk_fma_f32 v[132:133], v[138:139], v[146:147], v[148:149] op_sel_hi:[1,0,1]
	v_pk_fma_f32 v[138:139], v[138:139], v[146:147], v[148:149] neg_lo:[0,0,1] neg_hi:[0,0,1]
	s_delay_alu instid0(VALU_DEP_4) | instskip(SKIP_1) | instid1(VALU_DEP_4)
	v_dual_mov_b32 v135, v151 :: v_dual_mov_b32 v137, v153
	v_pk_add_f32 v[90:91], v[90:91], v[156:157] neg_lo:[0,1] neg_hi:[0,1]
	v_mov_b32_e32 v139, v133
	s_delay_alu instid0(VALU_DEP_3) | instskip(NEXT) | instid1(VALU_DEP_4)
	v_pk_add_f32 v[88:89], v[88:89], v[134:135] neg_lo:[0,1] neg_hi:[0,1]
	v_pk_add_f32 v[86:87], v[86:87], v[136:137] neg_lo:[0,1] neg_hi:[0,1]
	s_delay_alu instid0(VALU_DEP_3)
	v_pk_add_f32 v[92:93], v[92:93], v[138:139] neg_lo:[0,1] neg_hi:[0,1]
.LBB45_172:
	s_or_b32 exec_lo, exec_lo, s1
	s_delay_alu instid0(SALU_CYCLE_1)
	s_mov_b32 s2, exec_lo
	s_wait_dscnt 0x0
	s_barrier_signal -1
	s_barrier_wait -1
	v_cmpx_eq_u32_e32 19, v140
	s_cbranch_execz .LBB45_179
; %bb.173:
	v_dual_mov_b32 v132, v88 :: v_dual_mov_b32 v133, v89
	v_dual_mov_b32 v134, v86 :: v_dual_mov_b32 v135, v87
	ds_store_b64 v141, v[90:91]
	ds_store_2addr_b64 v142, v[132:133], v[134:135] offset0:20 offset1:21
	ds_store_b64 v142, v[92:93] offset:176
	ds_load_b64 v[132:133], v141
	s_wait_dscnt 0x0
	v_cmp_neq_f32_e32 vcc_lo, 0, v132
	v_cmp_neq_f32_e64 s1, 0, v133
	s_or_b32 s1, vcc_lo, s1
	s_delay_alu instid0(SALU_CYCLE_1)
	s_and_b32 exec_lo, exec_lo, s1
	s_cbranch_execz .LBB45_179
; %bb.174:
	v_cmp_ngt_f32_e64 s1, |v132|, |v133|
                                        ; implicit-def: $vgpr134_vgpr135
	s_and_saveexec_b32 s4, s1
	s_delay_alu instid0(SALU_CYCLE_1)
	s_xor_b32 s1, exec_lo, s4
	s_cbranch_execz .LBB45_176
; %bb.175:
	v_div_scale_f32 v134, null, v133, v133, v132
	v_div_scale_f32 v137, vcc_lo, v132, v133, v132
	s_delay_alu instid0(VALU_DEP_2) | instskip(SKIP_1) | instid1(TRANS32_DEP_1)
	v_rcp_f32_e32 v135, v134
	v_nop
	v_fma_f32 v136, -v134, v135, 1.0
	s_delay_alu instid0(VALU_DEP_1) | instskip(NEXT) | instid1(VALU_DEP_1)
	v_fmac_f32_e32 v135, v136, v135
	v_mul_f32_e32 v136, v137, v135
	s_delay_alu instid0(VALU_DEP_1) | instskip(NEXT) | instid1(VALU_DEP_1)
	v_fma_f32 v138, -v134, v136, v137
	v_fmac_f32_e32 v136, v138, v135
	s_delay_alu instid0(VALU_DEP_1) | instskip(NEXT) | instid1(VALU_DEP_1)
	v_fma_f32 v134, -v134, v136, v137
	v_div_fmas_f32 v134, v134, v135, v136
	s_delay_alu instid0(VALU_DEP_1) | instskip(NEXT) | instid1(VALU_DEP_1)
	v_div_fixup_f32 v134, v134, v133, v132
	v_fmac_f32_e32 v133, v132, v134
	s_delay_alu instid0(VALU_DEP_1) | instskip(SKIP_1) | instid1(VALU_DEP_2)
	v_div_scale_f32 v132, null, v133, v133, 1.0
	v_div_scale_f32 v137, vcc_lo, 1.0, v133, 1.0
	v_rcp_f32_e32 v135, v132
	v_nop
	s_delay_alu instid0(TRANS32_DEP_1) | instskip(NEXT) | instid1(VALU_DEP_1)
	v_fma_f32 v136, -v132, v135, 1.0
	v_fmac_f32_e32 v135, v136, v135
	s_delay_alu instid0(VALU_DEP_1) | instskip(NEXT) | instid1(VALU_DEP_1)
	v_mul_f32_e32 v136, v137, v135
	v_fma_f32 v138, -v132, v136, v137
	s_delay_alu instid0(VALU_DEP_1) | instskip(NEXT) | instid1(VALU_DEP_1)
	v_fmac_f32_e32 v136, v138, v135
	v_fma_f32 v132, -v132, v136, v137
	s_delay_alu instid0(VALU_DEP_1) | instskip(NEXT) | instid1(VALU_DEP_1)
	v_div_fmas_f32 v132, v132, v135, v136
	v_div_fixup_f32 v132, v132, v133, 1.0
	s_delay_alu instid0(VALU_DEP_1)
	v_mul_f32_e32 v134, v134, v132
	v_xor_b32_e32 v135, 0x80000000, v132
                                        ; implicit-def: $vgpr132_vgpr133
.LBB45_176:
	s_and_not1_saveexec_b32 s1, s1
	s_cbranch_execz .LBB45_178
; %bb.177:
	v_div_scale_f32 v134, null, v132, v132, v133
	v_div_scale_f32 v137, vcc_lo, v133, v132, v133
	s_delay_alu instid0(VALU_DEP_2) | instskip(SKIP_1) | instid1(TRANS32_DEP_1)
	v_rcp_f32_e32 v135, v134
	v_nop
	v_fma_f32 v136, -v134, v135, 1.0
	s_delay_alu instid0(VALU_DEP_1) | instskip(NEXT) | instid1(VALU_DEP_1)
	v_fmac_f32_e32 v135, v136, v135
	v_mul_f32_e32 v136, v137, v135
	s_delay_alu instid0(VALU_DEP_1) | instskip(NEXT) | instid1(VALU_DEP_1)
	v_fma_f32 v138, -v134, v136, v137
	v_fmac_f32_e32 v136, v138, v135
	s_delay_alu instid0(VALU_DEP_1) | instskip(NEXT) | instid1(VALU_DEP_1)
	v_fma_f32 v134, -v134, v136, v137
	v_div_fmas_f32 v134, v134, v135, v136
	s_delay_alu instid0(VALU_DEP_1) | instskip(NEXT) | instid1(VALU_DEP_1)
	v_div_fixup_f32 v135, v134, v132, v133
	v_fmac_f32_e32 v132, v133, v135
	s_delay_alu instid0(VALU_DEP_1) | instskip(NEXT) | instid1(VALU_DEP_1)
	v_div_scale_f32 v133, null, v132, v132, 1.0
	v_rcp_f32_e32 v134, v133
	v_nop
	s_delay_alu instid0(TRANS32_DEP_1) | instskip(NEXT) | instid1(VALU_DEP_1)
	v_fma_f32 v136, -v133, v134, 1.0
	v_fmac_f32_e32 v134, v136, v134
	v_div_scale_f32 v136, vcc_lo, 1.0, v132, 1.0
	s_delay_alu instid0(VALU_DEP_1) | instskip(NEXT) | instid1(VALU_DEP_1)
	v_mul_f32_e32 v137, v136, v134
	v_fma_f32 v138, -v133, v137, v136
	s_delay_alu instid0(VALU_DEP_1) | instskip(NEXT) | instid1(VALU_DEP_1)
	v_fmac_f32_e32 v137, v138, v134
	v_fma_f32 v133, -v133, v137, v136
	s_delay_alu instid0(VALU_DEP_1) | instskip(NEXT) | instid1(VALU_DEP_1)
	v_div_fmas_f32 v133, v133, v134, v137
	v_div_fixup_f32 v134, v133, v132, 1.0
	s_delay_alu instid0(VALU_DEP_1)
	v_mul_f32_e64 v135, v135, -v134
.LBB45_178:
	s_or_b32 exec_lo, exec_lo, s1
	ds_store_b64 v141, v[134:135]
.LBB45_179:
	s_or_b32 exec_lo, exec_lo, s2
	s_wait_dscnt 0x0
	s_barrier_signal -1
	s_barrier_wait -1
	ds_load_b64 v[132:133], v141
	s_mov_b32 s1, exec_lo
	v_cmpx_lt_u32_e32 19, v140
	s_cbranch_execz .LBB45_181
; %bb.180:
	ds_load_2addr_b64 v[134:137], v142 offset0:20 offset1:21
	ds_load_b64 v[138:139], v142 offset:176
	s_wait_dscnt 0x2
	v_pk_mul_f32 v[144:145], v[132:133], v[90:91] op_sel:[1,1] op_sel_hi:[0,1]
	s_delay_alu instid0(VALU_DEP_1) | instskip(SKIP_2) | instid1(VALU_DEP_2)
	v_pk_fma_f32 v[146:147], v[132:133], v[90:91], v[144:145] op_sel_hi:[1,0,1]
	v_pk_fma_f32 v[90:91], v[132:133], v[90:91], v[144:145] op_sel_hi:[1,0,1] neg_lo:[0,0,1] neg_hi:[0,0,1]
	s_wait_dscnt 0x1
	v_pk_mul_f32 v[144:145], v[134:135], v[146:147] op_sel:[0,1]
	v_pk_mul_f32 v[148:149], v[136:137], v[146:147] op_sel:[0,1]
	s_wait_dscnt 0x0
	v_pk_mul_f32 v[150:151], v[138:139], v[146:147] op_sel:[1,1] op_sel_hi:[0,1]
	s_delay_alu instid0(VALU_DEP_3) | instskip(SKIP_2) | instid1(VALU_DEP_4)
	v_pk_fma_f32 v[152:153], v[134:135], v[90:91], v[144:145] op_sel:[0,0,1] op_sel_hi:[1,1,0] neg_lo:[0,0,1] neg_hi:[0,0,1]
	v_pk_fma_f32 v[134:135], v[134:135], v[90:91], v[144:145] op_sel:[0,0,1] op_sel_hi:[1,0,0]
	v_pk_fma_f32 v[144:145], v[136:137], v[90:91], v[148:149] op_sel:[0,0,1] op_sel_hi:[1,0,0]
	v_pk_fma_f32 v[154:155], v[138:139], v[90:91], v[150:151] op_sel_hi:[1,0,1]
	v_pk_fma_f32 v[136:137], v[136:137], v[90:91], v[148:149] op_sel:[0,0,1] op_sel_hi:[1,1,0] neg_lo:[0,0,1] neg_hi:[0,0,1]
	v_pk_fma_f32 v[138:139], v[138:139], v[90:91], v[150:151] neg_lo:[0,0,1] neg_hi:[0,0,1]
	s_delay_alu instid0(VALU_DEP_4) | instskip(NEXT) | instid1(VALU_DEP_4)
	v_dual_mov_b32 v153, v135 :: v_dual_mov_b32 v137, v145
	v_dual_mov_b32 v139, v155 :: v_dual_mov_b32 v91, v147
	s_delay_alu instid0(VALU_DEP_2) | instskip(NEXT) | instid1(VALU_DEP_3)
	v_pk_add_f32 v[88:89], v[88:89], v[152:153] neg_lo:[0,1] neg_hi:[0,1]
	v_pk_add_f32 v[86:87], v[86:87], v[136:137] neg_lo:[0,1] neg_hi:[0,1]
	s_delay_alu instid0(VALU_DEP_3)
	v_pk_add_f32 v[92:93], v[92:93], v[138:139] neg_lo:[0,1] neg_hi:[0,1]
.LBB45_181:
	s_or_b32 exec_lo, exec_lo, s1
	s_delay_alu instid0(SALU_CYCLE_1)
	s_mov_b32 s2, exec_lo
	s_wait_dscnt 0x0
	s_barrier_signal -1
	s_barrier_wait -1
	v_cmpx_eq_u32_e32 20, v140
	s_cbranch_execz .LBB45_188
; %bb.182:
	ds_store_b64 v141, v[88:89]
	ds_store_2addr_b64 v142, v[86:87], v[92:93] offset0:21 offset1:22
	ds_load_b64 v[134:135], v141
	s_wait_dscnt 0x0
	v_cmp_neq_f32_e32 vcc_lo, 0, v134
	v_cmp_neq_f32_e64 s1, 0, v135
	s_or_b32 s1, vcc_lo, s1
	s_delay_alu instid0(SALU_CYCLE_1)
	s_and_b32 exec_lo, exec_lo, s1
	s_cbranch_execz .LBB45_188
; %bb.183:
	v_cmp_ngt_f32_e64 s1, |v134|, |v135|
                                        ; implicit-def: $vgpr136_vgpr137
	s_and_saveexec_b32 s4, s1
	s_delay_alu instid0(SALU_CYCLE_1)
	s_xor_b32 s1, exec_lo, s4
	s_cbranch_execz .LBB45_185
; %bb.184:
	v_div_scale_f32 v136, null, v135, v135, v134
	v_div_scale_f32 v139, vcc_lo, v134, v135, v134
	s_delay_alu instid0(VALU_DEP_2) | instskip(SKIP_1) | instid1(TRANS32_DEP_1)
	v_rcp_f32_e32 v137, v136
	v_nop
	v_fma_f32 v138, -v136, v137, 1.0
	s_delay_alu instid0(VALU_DEP_1) | instskip(NEXT) | instid1(VALU_DEP_1)
	v_fmac_f32_e32 v137, v138, v137
	v_mul_f32_e32 v138, v139, v137
	s_delay_alu instid0(VALU_DEP_1) | instskip(NEXT) | instid1(VALU_DEP_1)
	v_fma_f32 v143, -v136, v138, v139
	v_fmac_f32_e32 v138, v143, v137
	s_delay_alu instid0(VALU_DEP_1) | instskip(NEXT) | instid1(VALU_DEP_1)
	v_fma_f32 v136, -v136, v138, v139
	v_div_fmas_f32 v136, v136, v137, v138
	s_delay_alu instid0(VALU_DEP_1) | instskip(NEXT) | instid1(VALU_DEP_1)
	v_div_fixup_f32 v136, v136, v135, v134
	v_fmac_f32_e32 v135, v134, v136
	s_delay_alu instid0(VALU_DEP_1) | instskip(SKIP_1) | instid1(VALU_DEP_2)
	v_div_scale_f32 v134, null, v135, v135, 1.0
	v_div_scale_f32 v139, vcc_lo, 1.0, v135, 1.0
	v_rcp_f32_e32 v137, v134
	v_nop
	s_delay_alu instid0(TRANS32_DEP_1) | instskip(NEXT) | instid1(VALU_DEP_1)
	v_fma_f32 v138, -v134, v137, 1.0
	v_fmac_f32_e32 v137, v138, v137
	s_delay_alu instid0(VALU_DEP_1) | instskip(NEXT) | instid1(VALU_DEP_1)
	v_mul_f32_e32 v138, v139, v137
	v_fma_f32 v143, -v134, v138, v139
	s_delay_alu instid0(VALU_DEP_1) | instskip(NEXT) | instid1(VALU_DEP_1)
	v_fmac_f32_e32 v138, v143, v137
	v_fma_f32 v134, -v134, v138, v139
	s_delay_alu instid0(VALU_DEP_1) | instskip(NEXT) | instid1(VALU_DEP_1)
	v_div_fmas_f32 v134, v134, v137, v138
	v_div_fixup_f32 v134, v134, v135, 1.0
	s_delay_alu instid0(VALU_DEP_1)
	v_mul_f32_e32 v136, v136, v134
	v_xor_b32_e32 v137, 0x80000000, v134
                                        ; implicit-def: $vgpr134_vgpr135
.LBB45_185:
	s_and_not1_saveexec_b32 s1, s1
	s_cbranch_execz .LBB45_187
; %bb.186:
	v_div_scale_f32 v136, null, v134, v134, v135
	v_div_scale_f32 v139, vcc_lo, v135, v134, v135
	s_delay_alu instid0(VALU_DEP_2) | instskip(SKIP_1) | instid1(TRANS32_DEP_1)
	v_rcp_f32_e32 v137, v136
	v_nop
	v_fma_f32 v138, -v136, v137, 1.0
	s_delay_alu instid0(VALU_DEP_1) | instskip(NEXT) | instid1(VALU_DEP_1)
	v_fmac_f32_e32 v137, v138, v137
	v_mul_f32_e32 v138, v139, v137
	s_delay_alu instid0(VALU_DEP_1) | instskip(NEXT) | instid1(VALU_DEP_1)
	v_fma_f32 v143, -v136, v138, v139
	v_fmac_f32_e32 v138, v143, v137
	s_delay_alu instid0(VALU_DEP_1) | instskip(NEXT) | instid1(VALU_DEP_1)
	v_fma_f32 v136, -v136, v138, v139
	v_div_fmas_f32 v136, v136, v137, v138
	s_delay_alu instid0(VALU_DEP_1) | instskip(NEXT) | instid1(VALU_DEP_1)
	v_div_fixup_f32 v137, v136, v134, v135
	v_fmac_f32_e32 v134, v135, v137
	s_delay_alu instid0(VALU_DEP_1) | instskip(NEXT) | instid1(VALU_DEP_1)
	v_div_scale_f32 v135, null, v134, v134, 1.0
	v_rcp_f32_e32 v136, v135
	v_nop
	s_delay_alu instid0(TRANS32_DEP_1) | instskip(NEXT) | instid1(VALU_DEP_1)
	v_fma_f32 v138, -v135, v136, 1.0
	v_fmac_f32_e32 v136, v138, v136
	v_div_scale_f32 v138, vcc_lo, 1.0, v134, 1.0
	s_delay_alu instid0(VALU_DEP_1) | instskip(NEXT) | instid1(VALU_DEP_1)
	v_mul_f32_e32 v139, v138, v136
	v_fma_f32 v143, -v135, v139, v138
	s_delay_alu instid0(VALU_DEP_1) | instskip(NEXT) | instid1(VALU_DEP_1)
	v_fmac_f32_e32 v139, v143, v136
	v_fma_f32 v135, -v135, v139, v138
	s_delay_alu instid0(VALU_DEP_1) | instskip(NEXT) | instid1(VALU_DEP_1)
	v_div_fmas_f32 v135, v135, v136, v139
	v_div_fixup_f32 v136, v135, v134, 1.0
	s_delay_alu instid0(VALU_DEP_1)
	v_mul_f32_e64 v137, v137, -v136
.LBB45_187:
	s_or_b32 exec_lo, exec_lo, s1
	ds_store_b64 v141, v[136:137]
.LBB45_188:
	s_or_b32 exec_lo, exec_lo, s2
	s_wait_dscnt 0x0
	s_barrier_signal -1
	s_barrier_wait -1
	ds_load_b64 v[134:135], v141
	s_mov_b32 s1, exec_lo
	v_cmpx_lt_u32_e32 20, v140
	s_cbranch_execz .LBB45_190
; %bb.189:
	ds_load_2addr_b64 v[136:139], v142 offset0:21 offset1:22
	s_wait_dscnt 0x1
	v_pk_mul_f32 v[144:145], v[134:135], v[88:89] op_sel:[1,1] op_sel_hi:[0,1]
	s_delay_alu instid0(VALU_DEP_1) | instskip(SKIP_3) | instid1(VALU_DEP_3)
	v_pk_fma_f32 v[146:147], v[134:135], v[88:89], v[144:145] op_sel_hi:[1,0,1]
	v_pk_fma_f32 v[88:89], v[134:135], v[88:89], v[144:145] op_sel_hi:[1,0,1] neg_lo:[0,0,1] neg_hi:[0,0,1]
	s_wait_dscnt 0x0
	v_dual_mov_b32 v148, v139 :: v_dual_mov_b32 v149, v138
	v_pk_mul_f32 v[144:145], v[136:137], v[146:147] op_sel:[0,1]
	s_delay_alu instid0(VALU_DEP_2) | instskip(NEXT) | instid1(VALU_DEP_2)
	v_pk_mul_f32 v[148:149], v[148:149], v[146:147] op_sel:[0,1]
	v_pk_fma_f32 v[150:151], v[136:137], v[88:89], v[144:145] op_sel:[0,0,1] op_sel_hi:[1,0,0]
	v_pk_fma_f32 v[136:137], v[136:137], v[88:89], v[144:145] op_sel:[0,0,1] op_sel_hi:[1,1,0] neg_lo:[0,0,1] neg_hi:[0,0,1]
	s_delay_alu instid0(VALU_DEP_3) | instskip(SKIP_1) | instid1(VALU_DEP_4)
	v_pk_fma_f32 v[152:153], v[138:139], v[88:89], v[148:149] op_sel_hi:[1,0,1]
	v_pk_fma_f32 v[138:139], v[138:139], v[88:89], v[148:149] neg_lo:[0,0,1] neg_hi:[0,0,1]
	v_dual_mov_b32 v137, v151 :: v_dual_mov_b32 v89, v147
	s_delay_alu instid0(VALU_DEP_3) | instskip(NEXT) | instid1(VALU_DEP_2)
	v_mov_b32_e32 v139, v153
	v_pk_add_f32 v[86:87], v[86:87], v[136:137] neg_lo:[0,1] neg_hi:[0,1]
	s_delay_alu instid0(VALU_DEP_2)
	v_pk_add_f32 v[92:93], v[92:93], v[138:139] neg_lo:[0,1] neg_hi:[0,1]
.LBB45_190:
	s_or_b32 exec_lo, exec_lo, s1
	s_delay_alu instid0(SALU_CYCLE_1)
	s_mov_b32 s2, exec_lo
	s_wait_dscnt 0x0
	s_barrier_signal -1
	s_barrier_wait -1
	v_cmpx_eq_u32_e32 21, v140
	s_cbranch_execz .LBB45_197
; %bb.191:
	ds_store_b64 v141, v[86:87]
	ds_store_b64 v142, v[92:93] offset:176
	ds_load_b64 v[136:137], v141
	s_wait_dscnt 0x0
	v_cmp_neq_f32_e32 vcc_lo, 0, v136
	v_cmp_neq_f32_e64 s1, 0, v137
	s_or_b32 s1, vcc_lo, s1
	s_delay_alu instid0(SALU_CYCLE_1)
	s_and_b32 exec_lo, exec_lo, s1
	s_cbranch_execz .LBB45_197
; %bb.192:
	v_cmp_ngt_f32_e64 s1, |v136|, |v137|
                                        ; implicit-def: $vgpr138_vgpr139
	s_and_saveexec_b32 s4, s1
	s_delay_alu instid0(SALU_CYCLE_1)
	s_xor_b32 s1, exec_lo, s4
	s_cbranch_execz .LBB45_194
; %bb.193:
	v_div_scale_f32 v138, null, v137, v137, v136
	v_div_scale_f32 v144, vcc_lo, v136, v137, v136
	s_delay_alu instid0(VALU_DEP_2) | instskip(SKIP_1) | instid1(TRANS32_DEP_1)
	v_rcp_f32_e32 v139, v138
	v_nop
	v_fma_f32 v143, -v138, v139, 1.0
	s_delay_alu instid0(VALU_DEP_1) | instskip(NEXT) | instid1(VALU_DEP_1)
	v_fmac_f32_e32 v139, v143, v139
	v_mul_f32_e32 v143, v144, v139
	s_delay_alu instid0(VALU_DEP_1) | instskip(NEXT) | instid1(VALU_DEP_1)
	v_fma_f32 v145, -v138, v143, v144
	v_fmac_f32_e32 v143, v145, v139
	s_delay_alu instid0(VALU_DEP_1) | instskip(NEXT) | instid1(VALU_DEP_1)
	v_fma_f32 v138, -v138, v143, v144
	v_div_fmas_f32 v138, v138, v139, v143
	s_delay_alu instid0(VALU_DEP_1) | instskip(NEXT) | instid1(VALU_DEP_1)
	v_div_fixup_f32 v138, v138, v137, v136
	v_fmac_f32_e32 v137, v136, v138
	s_delay_alu instid0(VALU_DEP_1) | instskip(SKIP_1) | instid1(VALU_DEP_2)
	v_div_scale_f32 v136, null, v137, v137, 1.0
	v_div_scale_f32 v144, vcc_lo, 1.0, v137, 1.0
	v_rcp_f32_e32 v139, v136
	v_nop
	s_delay_alu instid0(TRANS32_DEP_1) | instskip(NEXT) | instid1(VALU_DEP_1)
	v_fma_f32 v143, -v136, v139, 1.0
	v_fmac_f32_e32 v139, v143, v139
	s_delay_alu instid0(VALU_DEP_1) | instskip(NEXT) | instid1(VALU_DEP_1)
	v_mul_f32_e32 v143, v144, v139
	v_fma_f32 v145, -v136, v143, v144
	s_delay_alu instid0(VALU_DEP_1) | instskip(NEXT) | instid1(VALU_DEP_1)
	v_fmac_f32_e32 v143, v145, v139
	v_fma_f32 v136, -v136, v143, v144
	s_delay_alu instid0(VALU_DEP_1) | instskip(NEXT) | instid1(VALU_DEP_1)
	v_div_fmas_f32 v136, v136, v139, v143
	v_div_fixup_f32 v136, v136, v137, 1.0
	s_delay_alu instid0(VALU_DEP_1)
	v_mul_f32_e32 v138, v138, v136
	v_xor_b32_e32 v139, 0x80000000, v136
                                        ; implicit-def: $vgpr136_vgpr137
.LBB45_194:
	s_and_not1_saveexec_b32 s1, s1
	s_cbranch_execz .LBB45_196
; %bb.195:
	v_div_scale_f32 v138, null, v136, v136, v137
	v_div_scale_f32 v144, vcc_lo, v137, v136, v137
	s_delay_alu instid0(VALU_DEP_2) | instskip(SKIP_1) | instid1(TRANS32_DEP_1)
	v_rcp_f32_e32 v139, v138
	v_nop
	v_fma_f32 v143, -v138, v139, 1.0
	s_delay_alu instid0(VALU_DEP_1) | instskip(NEXT) | instid1(VALU_DEP_1)
	v_fmac_f32_e32 v139, v143, v139
	v_mul_f32_e32 v143, v144, v139
	s_delay_alu instid0(VALU_DEP_1) | instskip(NEXT) | instid1(VALU_DEP_1)
	v_fma_f32 v145, -v138, v143, v144
	v_fmac_f32_e32 v143, v145, v139
	s_delay_alu instid0(VALU_DEP_1) | instskip(NEXT) | instid1(VALU_DEP_1)
	v_fma_f32 v138, -v138, v143, v144
	v_div_fmas_f32 v138, v138, v139, v143
	s_delay_alu instid0(VALU_DEP_1) | instskip(NEXT) | instid1(VALU_DEP_1)
	v_div_fixup_f32 v139, v138, v136, v137
	v_fmac_f32_e32 v136, v137, v139
	s_delay_alu instid0(VALU_DEP_1) | instskip(NEXT) | instid1(VALU_DEP_1)
	v_div_scale_f32 v137, null, v136, v136, 1.0
	v_rcp_f32_e32 v138, v137
	v_nop
	s_delay_alu instid0(TRANS32_DEP_1) | instskip(NEXT) | instid1(VALU_DEP_1)
	v_fma_f32 v143, -v137, v138, 1.0
	v_fmac_f32_e32 v138, v143, v138
	v_div_scale_f32 v143, vcc_lo, 1.0, v136, 1.0
	s_delay_alu instid0(VALU_DEP_1) | instskip(NEXT) | instid1(VALU_DEP_1)
	v_mul_f32_e32 v144, v143, v138
	v_fma_f32 v145, -v137, v144, v143
	s_delay_alu instid0(VALU_DEP_1) | instskip(NEXT) | instid1(VALU_DEP_1)
	v_fmac_f32_e32 v144, v145, v138
	v_fma_f32 v137, -v137, v144, v143
	s_delay_alu instid0(VALU_DEP_1) | instskip(NEXT) | instid1(VALU_DEP_1)
	v_div_fmas_f32 v137, v137, v138, v144
	v_div_fixup_f32 v138, v137, v136, 1.0
	s_delay_alu instid0(VALU_DEP_1)
	v_mul_f32_e64 v139, v139, -v138
.LBB45_196:
	s_or_b32 exec_lo, exec_lo, s1
	ds_store_b64 v141, v[138:139]
.LBB45_197:
	s_or_b32 exec_lo, exec_lo, s2
	s_wait_dscnt 0x0
	s_barrier_signal -1
	s_barrier_wait -1
	ds_load_b64 v[136:137], v141
	s_mov_b32 s1, exec_lo
	v_cmpx_lt_u32_e32 21, v140
	s_cbranch_execz .LBB45_199
; %bb.198:
	ds_load_b64 v[138:139], v142 offset:176
	s_wait_dscnt 0x1
	v_pk_mul_f32 v[142:143], v[136:137], v[86:87] op_sel:[1,1] op_sel_hi:[0,1]
	s_delay_alu instid0(VALU_DEP_1) | instskip(SKIP_2) | instid1(VALU_DEP_2)
	v_pk_fma_f32 v[144:145], v[136:137], v[86:87], v[142:143] op_sel_hi:[1,0,1]
	v_pk_fma_f32 v[86:87], v[136:137], v[86:87], v[142:143] op_sel_hi:[1,0,1] neg_lo:[0,0,1] neg_hi:[0,0,1]
	s_wait_dscnt 0x0
	v_pk_mul_f32 v[142:143], v[138:139], v[144:145] op_sel:[1,1] op_sel_hi:[0,1]
	s_delay_alu instid0(VALU_DEP_1) | instskip(SKIP_1) | instid1(VALU_DEP_2)
	v_pk_fma_f32 v[146:147], v[138:139], v[86:87], v[142:143] op_sel_hi:[1,0,1]
	v_pk_fma_f32 v[138:139], v[138:139], v[86:87], v[142:143] neg_lo:[0,0,1] neg_hi:[0,0,1]
	v_dual_mov_b32 v87, v145 :: v_dual_mov_b32 v139, v147
	s_delay_alu instid0(VALU_DEP_1)
	v_pk_add_f32 v[92:93], v[92:93], v[138:139] neg_lo:[0,1] neg_hi:[0,1]
.LBB45_199:
	s_or_b32 exec_lo, exec_lo, s1
	s_delay_alu instid0(SALU_CYCLE_1)
	s_mov_b32 s2, exec_lo
	s_wait_dscnt 0x0
	s_barrier_signal -1
	s_barrier_wait -1
	v_cmpx_eq_u32_e32 22, v140
	s_cbranch_execz .LBB45_206
; %bb.200:
	v_cmp_neq_f32_e32 vcc_lo, 0, v92
	v_cmp_neq_f32_e64 s1, 0, v93
	ds_store_b64 v141, v[92:93]
	s_or_b32 s1, vcc_lo, s1
	s_delay_alu instid0(SALU_CYCLE_1)
	s_and_b32 exec_lo, exec_lo, s1
	s_cbranch_execz .LBB45_206
; %bb.201:
	v_cmp_ngt_f32_e64 s1, |v92|, |v93|
                                        ; implicit-def: $vgpr138_vgpr139
	s_and_saveexec_b32 s4, s1
	s_delay_alu instid0(SALU_CYCLE_1)
	s_xor_b32 s1, exec_lo, s4
	s_cbranch_execz .LBB45_203
; %bb.202:
	v_div_scale_f32 v138, null, v93, v93, v92
	v_div_scale_f32 v143, vcc_lo, v92, v93, v92
	s_delay_alu instid0(VALU_DEP_2) | instskip(SKIP_1) | instid1(TRANS32_DEP_1)
	v_rcp_f32_e32 v139, v138
	v_nop
	v_fma_f32 v142, -v138, v139, 1.0
	s_delay_alu instid0(VALU_DEP_1) | instskip(NEXT) | instid1(VALU_DEP_1)
	v_fmac_f32_e32 v139, v142, v139
	v_mul_f32_e32 v142, v143, v139
	s_delay_alu instid0(VALU_DEP_1) | instskip(NEXT) | instid1(VALU_DEP_1)
	v_fma_f32 v144, -v138, v142, v143
	v_fmac_f32_e32 v142, v144, v139
	s_delay_alu instid0(VALU_DEP_1) | instskip(NEXT) | instid1(VALU_DEP_1)
	v_fma_f32 v138, -v138, v142, v143
	v_div_fmas_f32 v138, v138, v139, v142
	s_delay_alu instid0(VALU_DEP_1) | instskip(NEXT) | instid1(VALU_DEP_1)
	v_div_fixup_f32 v138, v138, v93, v92
	v_fma_f32 v139, v92, v138, v93
	s_delay_alu instid0(VALU_DEP_1) | instskip(SKIP_1) | instid1(VALU_DEP_2)
	v_div_scale_f32 v142, null, v139, v139, 1.0
	v_div_scale_f32 v145, vcc_lo, 1.0, v139, 1.0
	v_rcp_f32_e32 v143, v142
	v_nop
	s_delay_alu instid0(TRANS32_DEP_1) | instskip(NEXT) | instid1(VALU_DEP_1)
	v_fma_f32 v144, -v142, v143, 1.0
	v_fmac_f32_e32 v143, v144, v143
	s_delay_alu instid0(VALU_DEP_1) | instskip(NEXT) | instid1(VALU_DEP_1)
	v_mul_f32_e32 v144, v145, v143
	v_fma_f32 v146, -v142, v144, v145
	s_delay_alu instid0(VALU_DEP_1) | instskip(NEXT) | instid1(VALU_DEP_1)
	v_fmac_f32_e32 v144, v146, v143
	v_fma_f32 v142, -v142, v144, v145
	s_delay_alu instid0(VALU_DEP_1) | instskip(NEXT) | instid1(VALU_DEP_1)
	v_div_fmas_f32 v142, v142, v143, v144
	v_div_fixup_f32 v139, v142, v139, 1.0
	s_delay_alu instid0(VALU_DEP_1)
	v_mul_f32_e32 v138, v138, v139
	v_xor_b32_e32 v139, 0x80000000, v139
.LBB45_203:
	s_and_not1_saveexec_b32 s1, s1
	s_cbranch_execz .LBB45_205
; %bb.204:
	v_div_scale_f32 v138, null, v92, v92, v93
	v_div_scale_f32 v143, vcc_lo, v93, v92, v93
	s_delay_alu instid0(VALU_DEP_2) | instskip(SKIP_1) | instid1(TRANS32_DEP_1)
	v_rcp_f32_e32 v139, v138
	v_nop
	v_fma_f32 v142, -v138, v139, 1.0
	s_delay_alu instid0(VALU_DEP_1) | instskip(NEXT) | instid1(VALU_DEP_1)
	v_fmac_f32_e32 v139, v142, v139
	v_mul_f32_e32 v142, v143, v139
	s_delay_alu instid0(VALU_DEP_1) | instskip(NEXT) | instid1(VALU_DEP_1)
	v_fma_f32 v144, -v138, v142, v143
	v_fmac_f32_e32 v142, v144, v139
	s_delay_alu instid0(VALU_DEP_1) | instskip(NEXT) | instid1(VALU_DEP_1)
	v_fma_f32 v138, -v138, v142, v143
	v_div_fmas_f32 v138, v138, v139, v142
	s_delay_alu instid0(VALU_DEP_1) | instskip(NEXT) | instid1(VALU_DEP_1)
	v_div_fixup_f32 v139, v138, v92, v93
	v_fma_f32 v138, v93, v139, v92
	s_delay_alu instid0(VALU_DEP_1) | instskip(NEXT) | instid1(VALU_DEP_1)
	v_div_scale_f32 v142, null, v138, v138, 1.0
	v_rcp_f32_e32 v143, v142
	v_nop
	s_delay_alu instid0(TRANS32_DEP_1) | instskip(NEXT) | instid1(VALU_DEP_1)
	v_fma_f32 v144, -v142, v143, 1.0
	v_fmac_f32_e32 v143, v144, v143
	v_div_scale_f32 v144, vcc_lo, 1.0, v138, 1.0
	s_delay_alu instid0(VALU_DEP_1) | instskip(NEXT) | instid1(VALU_DEP_1)
	v_mul_f32_e32 v145, v144, v143
	v_fma_f32 v146, -v142, v145, v144
	s_delay_alu instid0(VALU_DEP_1) | instskip(NEXT) | instid1(VALU_DEP_1)
	v_fmac_f32_e32 v145, v146, v143
	v_fma_f32 v142, -v142, v145, v144
	s_delay_alu instid0(VALU_DEP_1) | instskip(NEXT) | instid1(VALU_DEP_1)
	v_div_fmas_f32 v142, v142, v143, v145
	v_div_fixup_f32 v138, v142, v138, 1.0
	s_delay_alu instid0(VALU_DEP_1)
	v_mul_f32_e64 v139, v139, -v138
.LBB45_205:
	s_or_b32 exec_lo, exec_lo, s1
	ds_store_b64 v141, v[138:139]
.LBB45_206:
	s_or_b32 exec_lo, exec_lo, s2
	s_wait_dscnt 0x0
	s_barrier_signal -1
	s_barrier_wait -1
	ds_load_b64 v[138:139], v141
	s_wait_dscnt 0x0
	s_barrier_signal -1
	s_barrier_wait -1
	s_and_saveexec_b32 s4, s0
	s_cbranch_execz .LBB45_209
; %bb.207:
	v_lshl_add_u64 v[2:3], v[2:3], 2, s[6:7]
	v_cmp_eq_f32_e32 vcc_lo, 0, v94
	v_cmp_eq_f32_e64 s0, 0, v95
	v_cmp_neq_f32_e64 s1, 0, v96
	v_cmp_neq_f32_e64 s2, 0, v97
	global_load_b32 v141, v[2:3], off
	s_and_b32 s0, vcc_lo, s0
	s_delay_alu instid0(SALU_CYCLE_1) | instskip(SKIP_1) | instid1(SALU_CYCLE_1)
	v_cndmask_b32_e64 v94, 0, 1, s0
	s_or_b32 s1, s1, s2
	s_or_b32 vcc_lo, s1, s0
	v_cmp_eq_f32_e64 s0, 0, v99
	s_delay_alu instid0(VALU_DEP_2) | instskip(SKIP_1) | instid1(VALU_DEP_2)
	v_cndmask_b32_e32 v94, 2, v94, vcc_lo
	v_cmp_eq_f32_e32 vcc_lo, 0, v98
	v_cmp_eq_u32_e64 s1, 0, v94
	s_and_b32 s0, vcc_lo, s0
	v_cmp_eq_f32_e32 vcc_lo, 0, v100
	s_and_b32 s0, s0, s1
	s_delay_alu instid0(SALU_CYCLE_1) | instskip(SKIP_1) | instid1(VALU_DEP_2)
	v_cndmask_b32_e64 v94, v94, 3, s0
	v_cmp_eq_f32_e64 s0, 0, v101
	v_cmp_eq_u32_e64 s1, 0, v94
	s_and_b32 s0, vcc_lo, s0
	v_cmp_eq_f32_e32 vcc_lo, 0, v102
	s_and_b32 s0, s0, s1
	s_delay_alu instid0(SALU_CYCLE_1) | instskip(SKIP_1) | instid1(VALU_DEP_2)
	v_cndmask_b32_e64 v94, v94, 4, s0
	v_cmp_eq_f32_e64 s0, 0, v103
	v_cmp_eq_u32_e64 s1, 0, v94
	s_and_b32 s0, vcc_lo, s0
	v_cmp_eq_f32_e32 vcc_lo, 0, v104
	s_and_b32 s0, s0, s1
	s_delay_alu instid0(SALU_CYCLE_1) | instskip(SKIP_1) | instid1(VALU_DEP_2)
	v_cndmask_b32_e64 v94, v94, 5, s0
	v_cmp_eq_f32_e64 s0, 0, v105
	v_cmp_eq_u32_e64 s1, 0, v94
	s_and_b32 s0, vcc_lo, s0
	v_cmp_eq_f32_e32 vcc_lo, 0, v106
	s_and_b32 s0, s0, s1
	s_delay_alu instid0(SALU_CYCLE_1) | instskip(SKIP_1) | instid1(VALU_DEP_2)
	v_cndmask_b32_e64 v94, v94, 6, s0
	v_cmp_eq_f32_e64 s0, 0, v107
	v_cmp_eq_u32_e64 s1, 0, v94
	s_and_b32 s0, vcc_lo, s0
	v_cmp_eq_f32_e32 vcc_lo, 0, v108
	s_and_b32 s0, s0, s1
	s_delay_alu instid0(SALU_CYCLE_1) | instskip(SKIP_1) | instid1(VALU_DEP_2)
	v_cndmask_b32_e64 v94, v94, 7, s0
	v_cmp_eq_f32_e64 s0, 0, v109
	v_cmp_eq_u32_e64 s1, 0, v94
	s_and_b32 s0, vcc_lo, s0
	v_cmp_eq_f32_e32 vcc_lo, 0, v110
	s_and_b32 s0, s0, s1
	s_delay_alu instid0(SALU_CYCLE_1) | instskip(SKIP_1) | instid1(VALU_DEP_2)
	v_cndmask_b32_e64 v94, v94, 8, s0
	v_cmp_eq_f32_e64 s0, 0, v111
	v_cmp_eq_u32_e64 s1, 0, v94
	s_and_b32 s0, vcc_lo, s0
	v_cmp_eq_f32_e32 vcc_lo, 0, v112
	s_and_b32 s0, s0, s1
	s_delay_alu instid0(SALU_CYCLE_1) | instskip(SKIP_1) | instid1(VALU_DEP_2)
	v_cndmask_b32_e64 v94, v94, 9, s0
	v_cmp_eq_f32_e64 s0, 0, v113
	v_cmp_eq_u32_e64 s1, 0, v94
	s_and_b32 s0, vcc_lo, s0
	v_cmp_eq_f32_e32 vcc_lo, 0, v114
	s_and_b32 s0, s0, s1
	s_delay_alu instid0(SALU_CYCLE_1) | instskip(SKIP_1) | instid1(VALU_DEP_2)
	v_cndmask_b32_e64 v94, v94, 10, s0
	v_cmp_eq_f32_e64 s0, 0, v115
	v_cmp_eq_u32_e64 s1, 0, v94
	s_and_b32 s0, vcc_lo, s0
	v_cmp_eq_f32_e32 vcc_lo, 0, v116
	s_and_b32 s0, s0, s1
	s_delay_alu instid0(SALU_CYCLE_1) | instskip(SKIP_1) | instid1(VALU_DEP_2)
	v_cndmask_b32_e64 v94, v94, 11, s0
	v_cmp_eq_f32_e64 s0, 0, v117
	v_cmp_eq_u32_e64 s1, 0, v94
	s_and_b32 s0, vcc_lo, s0
	v_cmp_eq_f32_e32 vcc_lo, 0, v118
	s_and_b32 s0, s0, s1
	s_delay_alu instid0(SALU_CYCLE_1) | instskip(SKIP_1) | instid1(VALU_DEP_2)
	v_cndmask_b32_e64 v94, v94, 12, s0
	v_cmp_eq_f32_e64 s0, 0, v119
	v_cmp_eq_u32_e64 s1, 0, v94
	s_and_b32 s0, vcc_lo, s0
	v_cmp_eq_f32_e32 vcc_lo, 0, v120
	s_and_b32 s0, s0, s1
	s_delay_alu instid0(SALU_CYCLE_1) | instskip(SKIP_1) | instid1(VALU_DEP_2)
	v_cndmask_b32_e64 v94, v94, 13, s0
	v_cmp_eq_f32_e64 s0, 0, v121
	v_cmp_eq_u32_e64 s1, 0, v94
	s_and_b32 s0, vcc_lo, s0
	v_cmp_eq_f32_e32 vcc_lo, 0, v122
	s_and_b32 s0, s0, s1
	s_delay_alu instid0(SALU_CYCLE_1) | instskip(SKIP_1) | instid1(VALU_DEP_2)
	v_cndmask_b32_e64 v94, v94, 14, s0
	v_cmp_eq_f32_e64 s0, 0, v123
	v_cmp_eq_u32_e64 s1, 0, v94
	s_and_b32 s0, vcc_lo, s0
	v_cmp_eq_f32_e32 vcc_lo, 0, v124
	s_and_b32 s0, s0, s1
	s_delay_alu instid0(SALU_CYCLE_1) | instskip(SKIP_1) | instid1(VALU_DEP_2)
	v_cndmask_b32_e64 v94, v94, 15, s0
	v_cmp_eq_f32_e64 s0, 0, v125
	v_cmp_eq_u32_e64 s1, 0, v94
	s_and_b32 s0, vcc_lo, s0
	v_cmp_eq_f32_e32 vcc_lo, 0, v126
	s_and_b32 s0, s0, s1
	s_delay_alu instid0(SALU_CYCLE_1) | instskip(SKIP_1) | instid1(VALU_DEP_2)
	v_cndmask_b32_e64 v94, v94, 16, s0
	v_cmp_eq_f32_e64 s0, 0, v127
	v_cmp_eq_u32_e64 s1, 0, v94
	s_and_b32 s0, vcc_lo, s0
	v_cmp_eq_f32_e32 vcc_lo, 0, v128
	s_and_b32 s0, s0, s1
	s_delay_alu instid0(SALU_CYCLE_1) | instskip(SKIP_1) | instid1(VALU_DEP_2)
	v_cndmask_b32_e64 v94, v94, 17, s0
	v_cmp_eq_f32_e64 s0, 0, v129
	v_cmp_eq_u32_e64 s1, 0, v94
	s_and_b32 s0, vcc_lo, s0
	v_cmp_eq_f32_e32 vcc_lo, 0, v130
	s_and_b32 s0, s0, s1
	s_delay_alu instid0(SALU_CYCLE_1) | instskip(SKIP_1) | instid1(VALU_DEP_2)
	v_cndmask_b32_e64 v94, v94, 18, s0
	v_cmp_eq_f32_e64 s0, 0, v131
	v_cmp_eq_u32_e64 s1, 0, v94
	s_and_b32 s0, vcc_lo, s0
	v_cmp_eq_f32_e32 vcc_lo, 0, v132
	s_and_b32 s0, s0, s1
	s_delay_alu instid0(SALU_CYCLE_1) | instskip(SKIP_1) | instid1(VALU_DEP_2)
	v_cndmask_b32_e64 v94, v94, 19, s0
	v_cmp_eq_f32_e64 s0, 0, v133
	v_cmp_eq_u32_e64 s1, 0, v94
	s_and_b32 s0, vcc_lo, s0
	v_cmp_eq_f32_e32 vcc_lo, 0, v134
	s_and_b32 s0, s0, s1
	s_delay_alu instid0(SALU_CYCLE_1) | instskip(SKIP_1) | instid1(VALU_DEP_2)
	v_cndmask_b32_e64 v94, v94, 20, s0
	v_cmp_eq_f32_e64 s0, 0, v135
	v_cmp_eq_u32_e64 s1, 0, v94
	s_and_b32 s0, vcc_lo, s0
	v_cmp_eq_f32_e32 vcc_lo, 0, v136
	s_and_b32 s0, s0, s1
	s_delay_alu instid0(SALU_CYCLE_1) | instskip(SKIP_1) | instid1(VALU_DEP_2)
	v_cndmask_b32_e64 v94, v94, 21, s0
	v_cmp_eq_f32_e64 s0, 0, v137
	v_cmp_eq_u32_e64 s1, 0, v94
	s_and_b32 s0, vcc_lo, s0
	v_cmp_eq_f32_e32 vcc_lo, 0, v138
	s_and_b32 s0, s0, s1
	s_delay_alu instid0(SALU_CYCLE_1) | instskip(SKIP_1) | instid1(VALU_DEP_2)
	v_cndmask_b32_e64 v94, v94, 22, s0
	v_cmp_eq_f32_e64 s0, 0, v139
	v_cmp_eq_u32_e64 s1, 0, v94
	s_and_b32 s0, vcc_lo, s0
	s_delay_alu instid0(SALU_CYCLE_1) | instskip(NEXT) | instid1(SALU_CYCLE_1)
	s_and_b32 s0, s0, s1
	v_cndmask_b32_e64 v94, v94, 23, s0
	s_delay_alu instid0(VALU_DEP_1) | instskip(SKIP_3) | instid1(SALU_CYCLE_1)
	v_cmp_ne_u32_e64 s0, 0, v94
	s_wait_loadcnt 0x0
	v_cmp_eq_u32_e32 vcc_lo, 0, v141
	s_and_b32 s0, vcc_lo, s0
	s_and_b32 exec_lo, exec_lo, s0
	s_cbranch_execz .LBB45_209
; %bb.208:
	v_add_nc_u32_e32 v94, s3, v94
	global_store_b32 v[2:3], v94, off
.LBB45_209:
	s_wait_xcnt 0x0
	s_or_b32 exec_lo, exec_lo, s4
	v_pk_mul_f32 v[2:3], v[138:139], v[92:93] op_sel:[1,1] op_sel_hi:[0,1]
	s_clause 0x1
	global_store_b64 v[18:19], v[56:57], off
	global_store_b64 v[34:35], v[58:59], off
	v_cmp_lt_u32_e32 vcc_lo, 22, v140
	s_clause 0x2
	global_store_b64 v[0:1], v[48:49], off
	global_store_b64 v[8:9], v[46:47], off
	;; [unrolled: 1-line block ×3, first 2 shown]
	s_wait_xcnt 0x4
	v_pk_fma_f32 v[18:19], v[138:139], v[92:93], v[2:3] op_sel_hi:[1,0,1]
	v_pk_fma_f32 v[2:3], v[138:139], v[92:93], v[2:3] neg_lo:[0,0,1] neg_hi:[0,0,1]
	s_wait_xcnt 0x2
	s_delay_alu instid0(VALU_DEP_1)
	v_dual_cndmask_b32 v1, v93, v19 :: v_dual_cndmask_b32 v0, v92, v2
	s_clause 0x11
	global_store_b64 v[4:5], v[24:25], off
	global_store_b64 v[6:7], v[26:27], off
	;; [unrolled: 1-line block ×18, first 2 shown]
.LBB45_210:
	s_sendmsg sendmsg(MSG_DEALLOC_VGPRS)
	s_endpgm
	.section	.rodata,"a",@progbits
	.p2align	6, 0x0
	.amdhsa_kernel _ZN9rocsolver6v33100L23getf2_npvt_small_kernelILi23E19rocblas_complex_numIfEiiPS3_EEvT1_T3_lS5_lPT2_S5_S5_
		.amdhsa_group_segment_fixed_size 0
		.amdhsa_private_segment_fixed_size 0
		.amdhsa_kernarg_size 312
		.amdhsa_user_sgpr_count 2
		.amdhsa_user_sgpr_dispatch_ptr 0
		.amdhsa_user_sgpr_queue_ptr 0
		.amdhsa_user_sgpr_kernarg_segment_ptr 1
		.amdhsa_user_sgpr_dispatch_id 0
		.amdhsa_user_sgpr_kernarg_preload_length 0
		.amdhsa_user_sgpr_kernarg_preload_offset 0
		.amdhsa_user_sgpr_private_segment_size 0
		.amdhsa_wavefront_size32 1
		.amdhsa_uses_dynamic_stack 0
		.amdhsa_enable_private_segment 0
		.amdhsa_system_sgpr_workgroup_id_x 1
		.amdhsa_system_sgpr_workgroup_id_y 1
		.amdhsa_system_sgpr_workgroup_id_z 0
		.amdhsa_system_sgpr_workgroup_info 0
		.amdhsa_system_vgpr_workitem_id 1
		.amdhsa_next_free_vgpr 162
		.amdhsa_next_free_sgpr 15
		.amdhsa_named_barrier_count 0
		.amdhsa_reserve_vcc 1
		.amdhsa_float_round_mode_32 0
		.amdhsa_float_round_mode_16_64 0
		.amdhsa_float_denorm_mode_32 3
		.amdhsa_float_denorm_mode_16_64 3
		.amdhsa_fp16_overflow 0
		.amdhsa_memory_ordered 1
		.amdhsa_forward_progress 1
		.amdhsa_inst_pref_size 243
		.amdhsa_round_robin_scheduling 0
		.amdhsa_exception_fp_ieee_invalid_op 0
		.amdhsa_exception_fp_denorm_src 0
		.amdhsa_exception_fp_ieee_div_zero 0
		.amdhsa_exception_fp_ieee_overflow 0
		.amdhsa_exception_fp_ieee_underflow 0
		.amdhsa_exception_fp_ieee_inexact 0
		.amdhsa_exception_int_div_zero 0
	.end_amdhsa_kernel
	.section	.text._ZN9rocsolver6v33100L23getf2_npvt_small_kernelILi23E19rocblas_complex_numIfEiiPS3_EEvT1_T3_lS5_lPT2_S5_S5_,"axG",@progbits,_ZN9rocsolver6v33100L23getf2_npvt_small_kernelILi23E19rocblas_complex_numIfEiiPS3_EEvT1_T3_lS5_lPT2_S5_S5_,comdat
.Lfunc_end45:
	.size	_ZN9rocsolver6v33100L23getf2_npvt_small_kernelILi23E19rocblas_complex_numIfEiiPS3_EEvT1_T3_lS5_lPT2_S5_S5_, .Lfunc_end45-_ZN9rocsolver6v33100L23getf2_npvt_small_kernelILi23E19rocblas_complex_numIfEiiPS3_EEvT1_T3_lS5_lPT2_S5_S5_
                                        ; -- End function
	.set _ZN9rocsolver6v33100L23getf2_npvt_small_kernelILi23E19rocblas_complex_numIfEiiPS3_EEvT1_T3_lS5_lPT2_S5_S5_.num_vgpr, 162
	.set _ZN9rocsolver6v33100L23getf2_npvt_small_kernelILi23E19rocblas_complex_numIfEiiPS3_EEvT1_T3_lS5_lPT2_S5_S5_.num_agpr, 0
	.set _ZN9rocsolver6v33100L23getf2_npvt_small_kernelILi23E19rocblas_complex_numIfEiiPS3_EEvT1_T3_lS5_lPT2_S5_S5_.numbered_sgpr, 15
	.set _ZN9rocsolver6v33100L23getf2_npvt_small_kernelILi23E19rocblas_complex_numIfEiiPS3_EEvT1_T3_lS5_lPT2_S5_S5_.num_named_barrier, 0
	.set _ZN9rocsolver6v33100L23getf2_npvt_small_kernelILi23E19rocblas_complex_numIfEiiPS3_EEvT1_T3_lS5_lPT2_S5_S5_.private_seg_size, 0
	.set _ZN9rocsolver6v33100L23getf2_npvt_small_kernelILi23E19rocblas_complex_numIfEiiPS3_EEvT1_T3_lS5_lPT2_S5_S5_.uses_vcc, 1
	.set _ZN9rocsolver6v33100L23getf2_npvt_small_kernelILi23E19rocblas_complex_numIfEiiPS3_EEvT1_T3_lS5_lPT2_S5_S5_.uses_flat_scratch, 0
	.set _ZN9rocsolver6v33100L23getf2_npvt_small_kernelILi23E19rocblas_complex_numIfEiiPS3_EEvT1_T3_lS5_lPT2_S5_S5_.has_dyn_sized_stack, 0
	.set _ZN9rocsolver6v33100L23getf2_npvt_small_kernelILi23E19rocblas_complex_numIfEiiPS3_EEvT1_T3_lS5_lPT2_S5_S5_.has_recursion, 0
	.set _ZN9rocsolver6v33100L23getf2_npvt_small_kernelILi23E19rocblas_complex_numIfEiiPS3_EEvT1_T3_lS5_lPT2_S5_S5_.has_indirect_call, 0
	.section	.AMDGPU.csdata,"",@progbits
; Kernel info:
; codeLenInByte = 31036
; TotalNumSgprs: 17
; NumVgprs: 162
; ScratchSize: 0
; MemoryBound: 0
; FloatMode: 240
; IeeeMode: 1
; LDSByteSize: 0 bytes/workgroup (compile time only)
; SGPRBlocks: 0
; VGPRBlocks: 10
; NumSGPRsForWavesPerEU: 17
; NumVGPRsForWavesPerEU: 162
; NamedBarCnt: 0
; Occupancy: 5
; WaveLimiterHint : 0
; COMPUTE_PGM_RSRC2:SCRATCH_EN: 0
; COMPUTE_PGM_RSRC2:USER_SGPR: 2
; COMPUTE_PGM_RSRC2:TRAP_HANDLER: 0
; COMPUTE_PGM_RSRC2:TGID_X_EN: 1
; COMPUTE_PGM_RSRC2:TGID_Y_EN: 1
; COMPUTE_PGM_RSRC2:TGID_Z_EN: 0
; COMPUTE_PGM_RSRC2:TIDIG_COMP_CNT: 1
	.section	.text._ZN9rocsolver6v33100L18getf2_small_kernelILi24E19rocblas_complex_numIfEiiPS3_EEvT1_T3_lS5_lPS5_llPT2_S5_S5_S7_l,"axG",@progbits,_ZN9rocsolver6v33100L18getf2_small_kernelILi24E19rocblas_complex_numIfEiiPS3_EEvT1_T3_lS5_lPS5_llPT2_S5_S5_S7_l,comdat
	.globl	_ZN9rocsolver6v33100L18getf2_small_kernelILi24E19rocblas_complex_numIfEiiPS3_EEvT1_T3_lS5_lPS5_llPT2_S5_S5_S7_l ; -- Begin function _ZN9rocsolver6v33100L18getf2_small_kernelILi24E19rocblas_complex_numIfEiiPS3_EEvT1_T3_lS5_lPS5_llPT2_S5_S5_S7_l
	.p2align	8
	.type	_ZN9rocsolver6v33100L18getf2_small_kernelILi24E19rocblas_complex_numIfEiiPS3_EEvT1_T3_lS5_lPS5_llPT2_S5_S5_S7_l,@function
_ZN9rocsolver6v33100L18getf2_small_kernelILi24E19rocblas_complex_numIfEiiPS3_EEvT1_T3_lS5_lPS5_llPT2_S5_S5_S7_l: ; @_ZN9rocsolver6v33100L18getf2_small_kernelILi24E19rocblas_complex_numIfEiiPS3_EEvT1_T3_lS5_lPS5_llPT2_S5_S5_S7_l
; %bb.0:
	s_clause 0x1
	s_load_u16 s2, s[0:1], 0x6e
	s_load_b64 s[12:13], s[0:1], 0x48
	s_bfe_u32 s3, ttmp6, 0x40010
	s_bfe_u32 s4, ttmp6, 0x40004
	s_add_co_i32 s3, s3, 1
	s_getreg_b32 s5, hwreg(HW_REG_IB_STS2, 6, 4)
	s_mul_i32 s3, ttmp7, s3
	v_bfe_u32 v56, v0, 10, 10
	s_add_co_i32 s4, s4, s3
	s_cmp_eq_u32 s5, 0
	s_cselect_b32 s3, ttmp7, s4
	s_wait_kmcnt 0x0
	v_mad_u32 v2, s3, s2, v56
	s_mov_b32 s2, exec_lo
	s_delay_alu instid0(VALU_DEP_1)
	v_cmpx_gt_i32_e64 s12, v2
	s_cbranch_execz .LBB46_505
; %bb.1:
	s_load_b128 s[4:7], s[0:1], 0x50
	v_mov_b64_e32 v[30:31], 0
	v_ashrrev_i32_e32 v3, 31, v2
	s_wait_kmcnt 0x0
	s_cmp_eq_u64 s[4:5], 0
	s_cselect_b32 s12, -1, 0
	s_delay_alu instid0(SALU_CYCLE_1)
	s_and_b32 vcc_lo, exec_lo, s12
	s_cbranch_vccnz .LBB46_3
; %bb.2:
	v_mul_u64_e32 v[4:5], s[6:7], v[2:3]
	s_delay_alu instid0(VALU_DEP_1)
	v_lshl_add_u64 v[30:31], v[4:5], 2, s[4:5]
.LBB46_3:
	s_clause 0x2
	s_load_b32 s2, s[0:1], 0x18
	s_load_b128 s[16:19], s[0:1], 0x8
	s_load_b32 s14, s[0:1], 0x0
	v_and_b32_e32 v61, 0x3ff, v0
	s_load_b256 s[4:11], s[0:1], 0x20
	s_delay_alu instid0(VALU_DEP_1) | instskip(SKIP_4) | instid1(VALU_DEP_2)
	v_dual_mov_b32 v55, 0 :: v_dual_lshlrev_b32 v54, 3, v61
	s_wait_kmcnt 0x0
	v_add3_u32 v4, s2, s2, v61
	s_ashr_i32 s3, s2, 31
	v_mul_u64_e32 v[0:1], s[4:5], v[2:3]
	v_add_nc_u32_e32 v6, s2, v4
	s_max_i32 s4, s14, 24
	s_cmp_lt_i32 s14, 2
	s_delay_alu instid0(VALU_DEP_1) | instskip(NEXT) | instid1(VALU_DEP_1)
	v_add_nc_u32_e32 v8, s2, v6
	v_add_nc_u32_e32 v10, s2, v8
	s_delay_alu instid0(VALU_DEP_1) | instskip(NEXT) | instid1(VALU_DEP_1)
	v_add_nc_u32_e32 v12, s2, v10
	v_dual_ashrrev_i32 v7, 31, v6 :: v_dual_add_nc_u32 v14, s2, v12
	s_delay_alu instid0(VALU_DEP_1) | instskip(SKIP_1) | instid1(VALU_DEP_2)
	v_dual_add_nc_u32 v16, s2, v14 :: v_dual_ashrrev_i32 v9, 31, v8
	v_ashrrev_i32_e32 v11, 31, v10
	v_dual_ashrrev_i32 v15, 31, v14 :: v_dual_add_nc_u32 v18, s2, v16
	v_lshl_add_u64 v[0:1], v[0:1], 3, s[16:17]
	s_delay_alu instid0(VALU_DEP_2) | instskip(SKIP_1) | instid1(VALU_DEP_3)
	v_dual_ashrrev_i32 v17, 31, v16 :: v_dual_ashrrev_i32 v19, 31, v18
	v_add_nc_u32_e32 v20, s2, v18
	v_lshl_add_u64 v[0:1], s[18:19], 3, v[0:1]
	s_delay_alu instid0(VALU_DEP_2) | instskip(SKIP_1) | instid1(VALU_DEP_3)
	v_add_nc_u32_e32 v22, s2, v20
	v_ashrrev_i32_e32 v5, 31, v4
	v_add_nc_u64_e32 v[34:35], v[0:1], v[54:55]
	v_lshl_add_u64 v[8:9], v[8:9], 3, v[0:1]
	v_lshl_add_u64 v[32:33], v[10:11], 3, v[0:1]
	v_add_nc_u32_e32 v24, s2, v22
	v_lshl_add_u64 v[36:37], v[4:5], 3, v[0:1]
	v_lshl_add_u64 v[58:59], v[18:19], 3, v[0:1]
	;; [unrolled: 1-line block ×4, first 2 shown]
	v_add_nc_u32_e32 v26, s2, v24
	v_ashrrev_i32_e32 v13, 31, v12
	v_lshl_add_u64 v[16:17], v[16:17], 3, v[0:1]
	v_lshl_add_u64 v[42:43], v[14:15], 3, v[0:1]
	v_ashrrev_i32_e32 v23, 31, v22
	v_add_nc_u32_e32 v28, s2, v26
	v_lshl_add_u64 v[40:41], v[12:13], 3, v[0:1]
	s_clause 0x3
	global_load_b64 v[14:15], v[8:9], off
	global_load_b64 v[10:11], v[32:33], off
	global_load_b64 v[12:13], v[40:41], off
	global_load_b64 v[4:5], v[42:43], off
	v_add_nc_u32_e32 v38, s2, v28
	s_clause 0x3
	global_load_b64 v[46:47], v[18:19], off
	global_load_b64 v[48:49], v[36:37], off
	;; [unrolled: 1-line block ×4, first 2 shown]
	v_ashrrev_i32_e32 v21, 31, v20
	s_wait_xcnt 0x1
	v_lshl_add_u64 v[6:7], v[22:23], 3, v[0:1]
	v_ashrrev_i32_e32 v27, 31, v26
	v_dual_add_nc_u32 v52, s2, v38 :: v_dual_ashrrev_i32 v25, 31, v24
	v_lshl_add_u64 v[8:9], v[20:21], 3, v[0:1]
	s_clause 0x3
	global_load_b64 v[44:45], v[16:17], off
	global_load_b64 v[40:41], v[58:59], off
	;; [unrolled: 1-line block ×4, first 2 shown]
	v_dual_add_nc_u32 v62, s2, v52 :: v_dual_ashrrev_i32 v39, 31, v38
	s_wait_xcnt 0x3
	v_lshl_add_u64 v[16:17], v[24:25], 3, v[0:1]
	v_lshl_add_u64 v[24:25], v[26:27], 3, v[0:1]
	s_delay_alu instid0(VALU_DEP_3) | instskip(SKIP_2) | instid1(VALU_DEP_2)
	v_dual_ashrrev_i32 v53, 31, v52 :: v_dual_add_nc_u32 v20, s2, v62
	s_wait_xcnt 0x2
	v_lshl_add_u64 v[58:59], v[38:39], 3, v[0:1]
	v_dual_ashrrev_i32 v63, 31, v62 :: v_dual_ashrrev_i32 v21, 31, v20
	v_add_nc_u32_e32 v22, s2, v20
	v_ashrrev_i32_e32 v29, 31, v28
	s_delay_alu instid0(VALU_DEP_3) | instskip(NEXT) | instid1(VALU_DEP_4)
	v_lshl_add_u64 v[62:63], v[62:63], 3, v[0:1]
	v_lshl_add_u64 v[66:67], v[20:21], 3, v[0:1]
	s_wait_xcnt 0x0
	v_add_nc_u32_e32 v6, s2, v22
	v_lshl_add_u64 v[26:27], v[28:29], 3, v[0:1]
	s_clause 0x3
	global_load_b64 v[38:39], v[16:17], off
	global_load_b64 v[34:35], v[24:25], off
	;; [unrolled: 1-line block ×4, first 2 shown]
	v_add_nc_u32_e32 v28, s2, v6
	v_ashrrev_i32_e32 v23, 31, v22
	s_wait_xcnt 0x0
	v_lshl_add_u64 v[58:59], v[52:53], 3, v[0:1]
	s_delay_alu instid0(VALU_DEP_3) | instskip(SKIP_2) | instid1(VALU_DEP_3)
	v_dual_ashrrev_i32 v7, 31, v6 :: v_dual_add_nc_u32 v64, s2, v28
	v_ashrrev_i32_e32 v29, 31, v28
	v_lshl_add_u64 v[68:69], v[22:23], 3, v[0:1]
	v_lshl_add_u64 v[70:71], v[6:7], 3, v[0:1]
	s_delay_alu instid0(VALU_DEP_4) | instskip(NEXT) | instid1(VALU_DEP_4)
	v_dual_add_nc_u32 v16, s2, v64 :: v_dual_ashrrev_i32 v65, 31, v64
	v_lshl_add_u64 v[72:73], v[28:29], 3, v[0:1]
	s_delay_alu instid0(VALU_DEP_2) | instskip(NEXT) | instid1(VALU_DEP_3)
	v_ashrrev_i32_e32 v17, 31, v16
	v_lshl_add_u64 v[64:65], v[64:65], 3, v[0:1]
	s_delay_alu instid0(VALU_DEP_2)
	v_lshl_add_u64 v[74:75], v[16:17], 3, v[0:1]
	s_clause 0x7
	global_load_b64 v[28:29], v[58:59], off
	global_load_b64 v[24:25], v[62:63], off
	;; [unrolled: 1-line block ×8, first 2 shown]
	s_wait_xcnt 0x7
	v_mul_lo_u32 v59, s4, v56
	s_load_b64 s[4:5], s[0:1], 0x40
	s_delay_alu instid0(VALU_DEP_1) | instskip(NEXT) | instid1(VALU_DEP_1)
	v_lshl_add_u32 v58, v59, 3, 0
	v_dual_lshlrev_b32 v59, 3, v59 :: v_dual_add_nc_u32 v54, v58, v54
	s_wait_loadcnt 0x10
	ds_store_b64 v54, v[50:51]
	s_wait_loadcnt_dscnt 0x0
	s_barrier_signal -1
	s_barrier_wait -1
	ds_load_b64 v[56:57], v58
	s_cbranch_scc1 .LBB46_6
; %bb.4:
	v_add3_u32 v54, v59, 0, 8
	v_mov_b32_e32 v55, 0
	s_wait_xcnt 0x0
	s_mov_b32 s1, 1
.LBB46_5:                               ; =>This Inner Loop Header: Depth=1
	ds_load_b64 v[62:63], v54
	s_wait_dscnt 0x1
	v_cmp_gt_f32_e32 vcc_lo, 0, v56
	v_cmp_gt_f32_e64 s0, 0, v57
	s_delay_alu instid0(VALU_DEP_1) | instskip(SKIP_3) | instid1(VALU_DEP_1)
	v_dual_cndmask_b32 v64, v56, -v56, vcc_lo :: v_dual_cndmask_b32 v66, v57, -v57, s0
	s_wait_dscnt 0x0
	v_cmp_gt_f32_e32 vcc_lo, 0, v62
	v_cmp_gt_f32_e64 s0, 0, v63
	v_dual_cndmask_b32 v65, v62, -v62, vcc_lo :: v_dual_cndmask_b32 v67, v63, -v63, s0
	s_delay_alu instid0(VALU_DEP_1) | instskip(NEXT) | instid1(VALU_DEP_1)
	v_pk_add_f32 v[64:65], v[64:65], v[66:67]
	v_cmp_lt_f32_e32 vcc_lo, v64, v65
	v_dual_cndmask_b32 v57, v57, v63 :: v_dual_add_nc_u32 v54, 8, v54
	v_cndmask_b32_e32 v56, v56, v62, vcc_lo
	v_cndmask_b32_e64 v55, v55, s1, vcc_lo
	s_add_co_i32 s1, s1, 1
	s_delay_alu instid0(SALU_CYCLE_1)
	s_cmp_eq_u32 s14, s1
	s_cbranch_scc0 .LBB46_5
.LBB46_6:
	s_wait_dscnt 0x0
	v_cmp_neq_f32_e32 vcc_lo, 0, v56
	s_wait_xcnt 0x0
	v_cmp_neq_f32_e64 s0, 0, v57
	v_dual_mov_b32 v60, 1 :: v_dual_mov_b32 v63, 1
	s_or_b32 s1, vcc_lo, s0
	s_delay_alu instid0(SALU_CYCLE_1)
	s_and_saveexec_b32 s0, s1
	s_cbranch_execz .LBB46_12
; %bb.7:
	v_cmp_ngt_f32_e64 s1, |v56|, |v57|
	s_and_saveexec_b32 s15, s1
	s_delay_alu instid0(SALU_CYCLE_1)
	s_xor_b32 s1, exec_lo, s15
	s_cbranch_execz .LBB46_9
; %bb.8:
	v_div_scale_f32 v54, null, v57, v57, v56
	v_div_scale_f32 v63, vcc_lo, v56, v57, v56
	s_delay_alu instid0(VALU_DEP_2) | instskip(SKIP_1) | instid1(TRANS32_DEP_1)
	v_rcp_f32_e32 v60, v54
	v_nop
	v_fma_f32 v62, -v54, v60, 1.0
	s_delay_alu instid0(VALU_DEP_1) | instskip(NEXT) | instid1(VALU_DEP_1)
	v_fmac_f32_e32 v60, v62, v60
	v_mul_f32_e32 v62, v63, v60
	s_delay_alu instid0(VALU_DEP_1) | instskip(NEXT) | instid1(VALU_DEP_1)
	v_fma_f32 v64, -v54, v62, v63
	v_fmac_f32_e32 v62, v64, v60
	s_delay_alu instid0(VALU_DEP_1) | instskip(NEXT) | instid1(VALU_DEP_1)
	v_fma_f32 v54, -v54, v62, v63
	v_div_fmas_f32 v54, v54, v60, v62
	s_delay_alu instid0(VALU_DEP_1) | instskip(NEXT) | instid1(VALU_DEP_1)
	v_div_fixup_f32 v54, v54, v57, v56
	v_fmac_f32_e32 v57, v56, v54
	s_delay_alu instid0(VALU_DEP_1) | instskip(SKIP_1) | instid1(VALU_DEP_2)
	v_div_scale_f32 v56, null, v57, v57, 1.0
	v_div_scale_f32 v63, vcc_lo, 1.0, v57, 1.0
	v_rcp_f32_e32 v60, v56
	v_nop
	s_delay_alu instid0(TRANS32_DEP_1) | instskip(NEXT) | instid1(VALU_DEP_1)
	v_fma_f32 v62, -v56, v60, 1.0
	v_fmac_f32_e32 v60, v62, v60
	s_delay_alu instid0(VALU_DEP_1) | instskip(NEXT) | instid1(VALU_DEP_1)
	v_mul_f32_e32 v62, v63, v60
	v_fma_f32 v64, -v56, v62, v63
	s_delay_alu instid0(VALU_DEP_1) | instskip(NEXT) | instid1(VALU_DEP_1)
	v_fmac_f32_e32 v62, v64, v60
	v_fma_f32 v56, -v56, v62, v63
	s_delay_alu instid0(VALU_DEP_1) | instskip(NEXT) | instid1(VALU_DEP_1)
	v_div_fmas_f32 v56, v56, v60, v62
	v_div_fixup_f32 v57, v56, v57, 1.0
	s_delay_alu instid0(VALU_DEP_1)
	v_mul_f32_e32 v56, v54, v57
	v_xor_b32_e32 v57, 0x80000000, v57
.LBB46_9:
	s_and_not1_saveexec_b32 s1, s1
	s_cbranch_execz .LBB46_11
; %bb.10:
	s_delay_alu instid0(VALU_DEP_1) | instskip(SKIP_1) | instid1(VALU_DEP_2)
	v_div_scale_f32 v54, null, v56, v56, v57
	v_div_scale_f32 v63, vcc_lo, v57, v56, v57
	v_rcp_f32_e32 v60, v54
	v_nop
	s_delay_alu instid0(TRANS32_DEP_1) | instskip(NEXT) | instid1(VALU_DEP_1)
	v_fma_f32 v62, -v54, v60, 1.0
	v_fmac_f32_e32 v60, v62, v60
	s_delay_alu instid0(VALU_DEP_1) | instskip(NEXT) | instid1(VALU_DEP_1)
	v_mul_f32_e32 v62, v63, v60
	v_fma_f32 v64, -v54, v62, v63
	s_delay_alu instid0(VALU_DEP_1) | instskip(NEXT) | instid1(VALU_DEP_1)
	v_fmac_f32_e32 v62, v64, v60
	v_fma_f32 v54, -v54, v62, v63
	s_delay_alu instid0(VALU_DEP_1) | instskip(NEXT) | instid1(VALU_DEP_1)
	v_div_fmas_f32 v54, v54, v60, v62
	v_div_fixup_f32 v54, v54, v56, v57
	s_delay_alu instid0(VALU_DEP_1) | instskip(NEXT) | instid1(VALU_DEP_1)
	v_fmac_f32_e32 v56, v57, v54
	v_div_scale_f32 v57, null, v56, v56, 1.0
	s_delay_alu instid0(VALU_DEP_1) | instskip(SKIP_1) | instid1(TRANS32_DEP_1)
	v_rcp_f32_e32 v60, v57
	v_nop
	v_fma_f32 v62, -v57, v60, 1.0
	s_delay_alu instid0(VALU_DEP_1) | instskip(SKIP_1) | instid1(VALU_DEP_1)
	v_fmac_f32_e32 v60, v62, v60
	v_div_scale_f32 v62, vcc_lo, 1.0, v56, 1.0
	v_mul_f32_e32 v63, v62, v60
	s_delay_alu instid0(VALU_DEP_1) | instskip(NEXT) | instid1(VALU_DEP_1)
	v_fma_f32 v64, -v57, v63, v62
	v_fmac_f32_e32 v63, v64, v60
	s_delay_alu instid0(VALU_DEP_1) | instskip(NEXT) | instid1(VALU_DEP_1)
	v_fma_f32 v57, -v57, v63, v62
	v_div_fmas_f32 v57, v57, v60, v63
	s_delay_alu instid0(VALU_DEP_1) | instskip(NEXT) | instid1(VALU_DEP_1)
	v_div_fixup_f32 v56, v57, v56, 1.0
	v_mul_f32_e64 v57, v54, -v56
.LBB46_11:
	s_or_b32 exec_lo, exec_lo, s1
	v_dual_mov_b32 v63, 0 :: v_dual_mov_b32 v60, 2
.LBB46_12:
	s_or_b32 exec_lo, exec_lo, s0
	s_delay_alu instid0(SALU_CYCLE_1)
	s_mov_b32 s0, exec_lo
	v_cmpx_ne_u32_e64 v61, v55
	s_xor_b32 s0, exec_lo, s0
	s_cbranch_execz .LBB46_18
; %bb.13:
	s_mov_b32 s1, exec_lo
	v_cmpx_eq_u32_e32 0, v61
	s_cbranch_execz .LBB46_17
; %bb.14:
	v_cmp_ne_u32_e32 vcc_lo, 0, v55
	s_xor_b32 s15, s12, -1
	s_delay_alu instid0(SALU_CYCLE_1) | instskip(NEXT) | instid1(SALU_CYCLE_1)
	s_and_b32 s16, s15, vcc_lo
	s_and_saveexec_b32 s15, s16
	s_cbranch_execz .LBB46_16
; %bb.15:
	v_dual_mov_b32 v64, v55 :: v_dual_ashrrev_i32 v65, 31, v55
	s_delay_alu instid0(VALU_DEP_1)
	v_lshl_add_u64 v[64:65], v[64:65], 2, v[30:31]
	s_clause 0x1
	global_load_b32 v54, v[64:65], off
	global_load_b32 v61, v[30:31], off
	s_wait_loadcnt 0x1
	global_store_b32 v[30:31], v54, off
	s_wait_loadcnt 0x0
	global_store_b32 v[64:65], v61, off
.LBB46_16:
	s_wait_xcnt 0x0
	s_or_b32 exec_lo, exec_lo, s15
	v_mov_b32_e32 v61, v55
.LBB46_17:
	s_or_b32 exec_lo, exec_lo, s1
.LBB46_18:
	s_or_saveexec_b32 s0, s0
	s_delay_alu instid0(VALU_DEP_1)
	v_mov_b32_e32 v62, v61
	s_xor_b32 exec_lo, exec_lo, s0
	s_cbranch_execz .LBB46_20
; %bb.19:
	v_mov_b32_e32 v62, 0
	ds_store_2addr_b64 v58, v[46:47], v[48:49] offset0:1 offset1:2
	ds_store_2addr_b64 v58, v[32:33], v[14:15] offset0:3 offset1:4
	;; [unrolled: 1-line block ×11, first 2 shown]
	ds_store_b64 v58, v[52:53] offset:184
.LBB46_20:
	s_or_b32 exec_lo, exec_lo, s0
	s_delay_alu instid0(SALU_CYCLE_1)
	s_mov_b32 s0, exec_lo
	s_wait_storecnt_dscnt 0x0
	s_barrier_signal -1
	s_barrier_wait -1
	v_cmpx_lt_i32_e32 0, v62
	s_cbranch_execz .LBB46_22
; %bb.21:
	v_pk_mul_f32 v[64:65], v[56:57], v[50:51] op_sel:[1,1] op_sel_hi:[0,1]
	s_delay_alu instid0(VALU_DEP_1)
	v_pk_fma_f32 v[54:55], v[56:57], v[50:51], v[64:65] op_sel_hi:[1,0,1] neg_lo:[0,0,1] neg_hi:[0,0,1]
	v_pk_fma_f32 v[56:57], v[56:57], v[50:51], v[64:65] op_sel_hi:[1,0,1]
	ds_load_2addr_b64 v[64:67], v58 offset0:1 offset1:2
	v_dual_mov_b32 v50, v54 :: v_dual_mov_b32 v51, v57
	s_wait_dscnt 0x0
	v_pk_mul_f32 v[68:69], v[64:65], v[56:57] op_sel:[0,1]
	s_delay_alu instid0(VALU_DEP_1) | instskip(SKIP_1) | instid1(VALU_DEP_1)
	v_pk_fma_f32 v[70:71], v[64:65], v[54:55], v[68:69] op_sel:[0,0,1] op_sel_hi:[1,1,0] neg_lo:[0,0,1] neg_hi:[0,0,1]
	v_pk_fma_f32 v[64:65], v[64:65], v[54:55], v[68:69] op_sel:[0,0,1] op_sel_hi:[1,0,0]
	v_mov_b32_e32 v71, v65
	v_pk_mul_f32 v[64:65], v[66:67], v[56:57] op_sel:[0,1]
	s_delay_alu instid0(VALU_DEP_1) | instskip(SKIP_1) | instid1(VALU_DEP_1)
	v_pk_fma_f32 v[68:69], v[66:67], v[54:55], v[64:65] op_sel:[0,0,1] op_sel_hi:[1,1,0] neg_lo:[0,0,1] neg_hi:[0,0,1]
	v_pk_fma_f32 v[64:65], v[66:67], v[54:55], v[64:65] op_sel:[0,0,1] op_sel_hi:[1,0,0]
	v_mov_b32_e32 v69, v65
	ds_load_2addr_b64 v[64:67], v58 offset0:3 offset1:4
	v_pk_add_f32 v[46:47], v[46:47], v[70:71] neg_lo:[0,1] neg_hi:[0,1]
	v_pk_add_f32 v[48:49], v[48:49], v[68:69] neg_lo:[0,1] neg_hi:[0,1]
	s_wait_dscnt 0x0
	v_pk_mul_f32 v[68:69], v[64:65], v[56:57] op_sel:[0,1]
	s_delay_alu instid0(VALU_DEP_1) | instskip(SKIP_2) | instid1(VALU_DEP_2)
	v_pk_fma_f32 v[70:71], v[64:65], v[54:55], v[68:69] op_sel:[0,0,1] op_sel_hi:[1,1,0] neg_lo:[0,0,1] neg_hi:[0,0,1]
	v_pk_fma_f32 v[64:65], v[64:65], v[54:55], v[68:69] op_sel:[0,0,1] op_sel_hi:[1,0,0]
	v_dual_mul_f32 v68, v67, v57 :: v_dual_mov_b32 v64, v67
	v_dual_mov_b32 v71, v65 :: v_dual_mov_b32 v65, v66
	s_delay_alu instid0(VALU_DEP_2) | instskip(SKIP_1) | instid1(VALU_DEP_3)
	v_pk_fma_f32 v[68:69], v[66:67], v[50:51], v[68:69] op_sel_hi:[1,1,0] neg_lo:[0,0,1] neg_hi:[0,0,1]
	v_mul_f32_e32 v66, v67, v54
	v_pk_add_f32 v[32:33], v[32:33], v[70:71] neg_lo:[0,1] neg_hi:[0,1]
	s_delay_alu instid0(VALU_DEP_2) | instskip(NEXT) | instid1(VALU_DEP_1)
	v_pk_fma_f32 v[64:65], v[64:65], v[50:51], v[66:67] op_sel_hi:[1,1,0]
	v_mov_b32_e32 v69, v65
	ds_load_2addr_b64 v[64:67], v58 offset0:5 offset1:6
	v_pk_add_f32 v[14:15], v[14:15], v[68:69] neg_lo:[0,1] neg_hi:[0,1]
	s_wait_dscnt 0x0
	v_pk_mul_f32 v[68:69], v[64:65], v[56:57] op_sel:[0,1]
	s_delay_alu instid0(VALU_DEP_1) | instskip(SKIP_1) | instid1(VALU_DEP_1)
	v_pk_fma_f32 v[70:71], v[64:65], v[54:55], v[68:69] op_sel:[0,0,1] op_sel_hi:[1,1,0] neg_lo:[0,0,1] neg_hi:[0,0,1]
	v_pk_fma_f32 v[64:65], v[64:65], v[54:55], v[68:69] op_sel:[0,0,1] op_sel_hi:[1,0,0]
	v_mov_b32_e32 v71, v65
	v_pk_mul_f32 v[64:65], v[66:67], v[56:57] op_sel:[0,1]
	s_delay_alu instid0(VALU_DEP_1) | instskip(SKIP_1) | instid1(VALU_DEP_1)
	v_pk_fma_f32 v[68:69], v[66:67], v[54:55], v[64:65] op_sel:[0,0,1] op_sel_hi:[1,1,0] neg_lo:[0,0,1] neg_hi:[0,0,1]
	v_pk_fma_f32 v[64:65], v[66:67], v[54:55], v[64:65] op_sel:[0,0,1] op_sel_hi:[1,0,0]
	v_mov_b32_e32 v69, v65
	ds_load_2addr_b64 v[64:67], v58 offset0:7 offset1:8
	v_pk_add_f32 v[10:11], v[10:11], v[70:71] neg_lo:[0,1] neg_hi:[0,1]
	v_pk_add_f32 v[12:13], v[12:13], v[68:69] neg_lo:[0,1] neg_hi:[0,1]
	s_wait_dscnt 0x0
	v_pk_mul_f32 v[68:69], v[64:65], v[56:57] op_sel:[0,1]
	s_delay_alu instid0(VALU_DEP_1) | instskip(SKIP_1) | instid1(VALU_DEP_1)
	v_pk_fma_f32 v[70:71], v[64:65], v[54:55], v[68:69] op_sel:[0,0,1] op_sel_hi:[1,1,0] neg_lo:[0,0,1] neg_hi:[0,0,1]
	v_pk_fma_f32 v[64:65], v[64:65], v[54:55], v[68:69] op_sel:[0,0,1] op_sel_hi:[1,0,0]
	v_mov_b32_e32 v71, v65
	v_pk_mul_f32 v[64:65], v[66:67], v[56:57] op_sel:[0,1]
	s_delay_alu instid0(VALU_DEP_1) | instskip(SKIP_1) | instid1(VALU_DEP_1)
	v_pk_fma_f32 v[68:69], v[66:67], v[54:55], v[64:65] op_sel:[0,0,1] op_sel_hi:[1,1,0] neg_lo:[0,0,1] neg_hi:[0,0,1]
	v_pk_fma_f32 v[64:65], v[66:67], v[54:55], v[64:65] op_sel:[0,0,1] op_sel_hi:[1,0,0]
	v_mov_b32_e32 v69, v65
	ds_load_2addr_b64 v[64:67], v58 offset0:9 offset1:10
	v_pk_add_f32 v[4:5], v[4:5], v[70:71] neg_lo:[0,1] neg_hi:[0,1]
	v_pk_add_f32 v[44:45], v[44:45], v[68:69] neg_lo:[0,1] neg_hi:[0,1]
	s_wait_dscnt 0x0
	v_dual_mul_f32 v68, v65, v57 :: v_dual_mul_f32 v70, v65, v54
	s_delay_alu instid0(VALU_DEP_1) | instskip(NEXT) | instid1(VALU_DEP_2)
	v_pk_fma_f32 v[68:69], v[64:65], v[50:51], v[68:69] op_sel_hi:[1,1,0] neg_lo:[0,0,1] neg_hi:[0,0,1]
	v_pk_fma_f32 v[64:65], v[64:65], v[50:51], v[70:71] op_sel:[1,0,0] op_sel_hi:[0,1,0]
	s_delay_alu instid0(VALU_DEP_1) | instskip(SKIP_1) | instid1(VALU_DEP_2)
	v_mov_b32_e32 v69, v65
	v_pk_mul_f32 v[64:65], v[66:67], v[56:57] op_sel:[0,1]
	v_pk_add_f32 v[40:41], v[40:41], v[68:69] neg_lo:[0,1] neg_hi:[0,1]
	s_delay_alu instid0(VALU_DEP_2) | instskip(SKIP_1) | instid1(VALU_DEP_1)
	v_pk_fma_f32 v[68:69], v[66:67], v[54:55], v[64:65] op_sel:[0,0,1] op_sel_hi:[1,1,0] neg_lo:[0,0,1] neg_hi:[0,0,1]
	v_pk_fma_f32 v[64:65], v[66:67], v[54:55], v[64:65] op_sel:[0,0,1] op_sel_hi:[1,0,0]
	v_mov_b32_e32 v69, v65
	ds_load_2addr_b64 v[64:67], v58 offset0:11 offset1:12
	v_pk_add_f32 v[42:43], v[42:43], v[68:69] neg_lo:[0,1] neg_hi:[0,1]
	s_wait_dscnt 0x0
	v_pk_mul_f32 v[68:69], v[64:65], v[56:57] op_sel:[0,1]
	s_delay_alu instid0(VALU_DEP_1) | instskip(SKIP_1) | instid1(VALU_DEP_1)
	v_pk_fma_f32 v[70:71], v[64:65], v[54:55], v[68:69] op_sel:[0,0,1] op_sel_hi:[1,1,0] neg_lo:[0,0,1] neg_hi:[0,0,1]
	v_pk_fma_f32 v[64:65], v[64:65], v[54:55], v[68:69] op_sel:[0,0,1] op_sel_hi:[1,0,0]
	v_mov_b32_e32 v71, v65
	v_pk_mul_f32 v[64:65], v[66:67], v[56:57] op_sel:[0,1]
	s_delay_alu instid0(VALU_DEP_2) | instskip(NEXT) | instid1(VALU_DEP_2)
	v_pk_add_f32 v[18:19], v[18:19], v[70:71] neg_lo:[0,1] neg_hi:[0,1]
	v_pk_fma_f32 v[68:69], v[66:67], v[54:55], v[64:65] op_sel:[0,0,1] op_sel_hi:[1,1,0] neg_lo:[0,0,1] neg_hi:[0,0,1]
	v_pk_fma_f32 v[64:65], v[66:67], v[54:55], v[64:65] op_sel:[0,0,1] op_sel_hi:[1,0,0]
	s_delay_alu instid0(VALU_DEP_1) | instskip(SKIP_4) | instid1(VALU_DEP_1)
	v_mov_b32_e32 v69, v65
	ds_load_2addr_b64 v[64:67], v58 offset0:13 offset1:14
	v_pk_add_f32 v[38:39], v[38:39], v[68:69] neg_lo:[0,1] neg_hi:[0,1]
	s_wait_dscnt 0x0
	v_pk_mul_f32 v[68:69], v[64:65], v[56:57] op_sel:[0,1]
	v_pk_fma_f32 v[70:71], v[64:65], v[54:55], v[68:69] op_sel:[0,0,1] op_sel_hi:[1,1,0] neg_lo:[0,0,1] neg_hi:[0,0,1]
	v_pk_fma_f32 v[64:65], v[64:65], v[54:55], v[68:69] op_sel:[0,0,1] op_sel_hi:[1,0,0]
	v_dual_mul_f32 v68, v67, v57 :: v_dual_mov_b32 v64, v67
	s_delay_alu instid0(VALU_DEP_2) | instskip(NEXT) | instid1(VALU_DEP_2)
	v_dual_mov_b32 v71, v65 :: v_dual_mov_b32 v65, v66
	v_pk_fma_f32 v[68:69], v[66:67], v[50:51], v[68:69] op_sel_hi:[1,1,0] neg_lo:[0,0,1] neg_hi:[0,0,1]
	v_mul_f32_e32 v66, v67, v54
	s_delay_alu instid0(VALU_DEP_3) | instskip(NEXT) | instid1(VALU_DEP_2)
	v_pk_add_f32 v[34:35], v[34:35], v[70:71] neg_lo:[0,1] neg_hi:[0,1]
	v_pk_fma_f32 v[64:65], v[64:65], v[50:51], v[66:67] op_sel_hi:[1,1,0]
	s_delay_alu instid0(VALU_DEP_1) | instskip(SKIP_4) | instid1(VALU_DEP_1)
	v_mov_b32_e32 v69, v65
	ds_load_2addr_b64 v[64:67], v58 offset0:15 offset1:16
	v_pk_add_f32 v[36:37], v[36:37], v[68:69] neg_lo:[0,1] neg_hi:[0,1]
	s_wait_dscnt 0x0
	v_pk_mul_f32 v[68:69], v[64:65], v[56:57] op_sel:[0,1]
	v_pk_fma_f32 v[70:71], v[64:65], v[54:55], v[68:69] op_sel:[0,0,1] op_sel_hi:[1,1,0] neg_lo:[0,0,1] neg_hi:[0,0,1]
	v_pk_fma_f32 v[64:65], v[64:65], v[54:55], v[68:69] op_sel:[0,0,1] op_sel_hi:[1,0,0]
	s_delay_alu instid0(VALU_DEP_1) | instskip(SKIP_1) | instid1(VALU_DEP_1)
	v_mov_b32_e32 v71, v65
	v_pk_mul_f32 v[64:65], v[66:67], v[56:57] op_sel:[0,1]
	v_pk_fma_f32 v[68:69], v[66:67], v[54:55], v[64:65] op_sel:[0,0,1] op_sel_hi:[1,1,0] neg_lo:[0,0,1] neg_hi:[0,0,1]
	v_pk_fma_f32 v[64:65], v[66:67], v[54:55], v[64:65] op_sel:[0,0,1] op_sel_hi:[1,0,0]
	s_delay_alu instid0(VALU_DEP_1)
	v_mov_b32_e32 v69, v65
	ds_load_2addr_b64 v[64:67], v58 offset0:17 offset1:18
	v_pk_add_f32 v[8:9], v[8:9], v[70:71] neg_lo:[0,1] neg_hi:[0,1]
	v_pk_add_f32 v[28:29], v[28:29], v[68:69] neg_lo:[0,1] neg_hi:[0,1]
	s_wait_dscnt 0x0
	v_pk_mul_f32 v[68:69], v[64:65], v[56:57] op_sel:[0,1]
	s_delay_alu instid0(VALU_DEP_1) | instskip(SKIP_1) | instid1(VALU_DEP_1)
	v_pk_fma_f32 v[70:71], v[64:65], v[54:55], v[68:69] op_sel:[0,0,1] op_sel_hi:[1,1,0] neg_lo:[0,0,1] neg_hi:[0,0,1]
	v_pk_fma_f32 v[64:65], v[64:65], v[54:55], v[68:69] op_sel:[0,0,1] op_sel_hi:[1,0,0]
	v_mov_b32_e32 v71, v65
	v_pk_mul_f32 v[64:65], v[66:67], v[56:57] op_sel:[0,1]
	s_delay_alu instid0(VALU_DEP_1) | instskip(SKIP_1) | instid1(VALU_DEP_1)
	v_pk_fma_f32 v[68:69], v[66:67], v[54:55], v[64:65] op_sel:[0,0,1] op_sel_hi:[1,1,0] neg_lo:[0,0,1] neg_hi:[0,0,1]
	v_pk_fma_f32 v[64:65], v[66:67], v[54:55], v[64:65] op_sel:[0,0,1] op_sel_hi:[1,0,0]
	v_mov_b32_e32 v69, v65
	ds_load_2addr_b64 v[64:67], v58 offset0:19 offset1:20
	v_pk_add_f32 v[24:25], v[24:25], v[70:71] neg_lo:[0,1] neg_hi:[0,1]
	v_pk_add_f32 v[26:27], v[26:27], v[68:69] neg_lo:[0,1] neg_hi:[0,1]
	s_wait_dscnt 0x0
	v_dual_mul_f32 v68, v65, v57 :: v_dual_mul_f32 v70, v65, v54
	s_delay_alu instid0(VALU_DEP_1) | instskip(NEXT) | instid1(VALU_DEP_2)
	v_pk_fma_f32 v[68:69], v[64:65], v[50:51], v[68:69] op_sel_hi:[1,1,0] neg_lo:[0,0,1] neg_hi:[0,0,1]
	v_pk_fma_f32 v[64:65], v[64:65], v[50:51], v[70:71] op_sel:[1,0,0] op_sel_hi:[0,1,0]
	s_delay_alu instid0(VALU_DEP_1) | instskip(SKIP_1) | instid1(VALU_DEP_2)
	v_mov_b32_e32 v69, v65
	v_pk_mul_f32 v[64:65], v[66:67], v[56:57] op_sel:[0,1]
	v_pk_add_f32 v[6:7], v[6:7], v[68:69] neg_lo:[0,1] neg_hi:[0,1]
	s_delay_alu instid0(VALU_DEP_2) | instskip(SKIP_1) | instid1(VALU_DEP_1)
	v_pk_fma_f32 v[68:69], v[66:67], v[54:55], v[64:65] op_sel:[0,0,1] op_sel_hi:[1,1,0] neg_lo:[0,0,1] neg_hi:[0,0,1]
	v_pk_fma_f32 v[64:65], v[66:67], v[54:55], v[64:65] op_sel:[0,0,1] op_sel_hi:[1,0,0]
	v_mov_b32_e32 v69, v65
	ds_load_2addr_b64 v[64:67], v58 offset0:21 offset1:22
	v_pk_add_f32 v[22:23], v[22:23], v[68:69] neg_lo:[0,1] neg_hi:[0,1]
	s_wait_dscnt 0x0
	v_pk_mul_f32 v[68:69], v[64:65], v[56:57] op_sel:[0,1]
	s_delay_alu instid0(VALU_DEP_1) | instskip(SKIP_1) | instid1(VALU_DEP_1)
	v_pk_fma_f32 v[70:71], v[64:65], v[54:55], v[68:69] op_sel:[0,0,1] op_sel_hi:[1,1,0] neg_lo:[0,0,1] neg_hi:[0,0,1]
	v_pk_fma_f32 v[64:65], v[64:65], v[54:55], v[68:69] op_sel:[0,0,1] op_sel_hi:[1,0,0]
	v_mov_b32_e32 v71, v65
	v_pk_mul_f32 v[64:65], v[66:67], v[56:57] op_sel:[0,1]
	s_delay_alu instid0(VALU_DEP_2) | instskip(NEXT) | instid1(VALU_DEP_2)
	v_pk_add_f32 v[20:21], v[20:21], v[70:71] neg_lo:[0,1] neg_hi:[0,1]
	v_pk_fma_f32 v[68:69], v[66:67], v[54:55], v[64:65] op_sel:[0,0,1] op_sel_hi:[1,1,0] neg_lo:[0,0,1] neg_hi:[0,0,1]
	v_pk_fma_f32 v[64:65], v[66:67], v[54:55], v[64:65] op_sel:[0,0,1] op_sel_hi:[1,0,0]
	s_delay_alu instid0(VALU_DEP_1) | instskip(SKIP_4) | instid1(VALU_DEP_1)
	v_mov_b32_e32 v69, v65
	ds_load_b64 v[64:65], v58 offset:184
	v_pk_add_f32 v[16:17], v[16:17], v[68:69] neg_lo:[0,1] neg_hi:[0,1]
	s_wait_dscnt 0x0
	v_pk_mul_f32 v[56:57], v[64:65], v[56:57] op_sel:[0,1]
	v_pk_fma_f32 v[66:67], v[64:65], v[54:55], v[56:57] op_sel:[0,0,1] op_sel_hi:[1,1,0] neg_lo:[0,0,1] neg_hi:[0,0,1]
	v_pk_fma_f32 v[54:55], v[64:65], v[54:55], v[56:57] op_sel:[0,0,1] op_sel_hi:[1,0,0]
	s_delay_alu instid0(VALU_DEP_1) | instskip(NEXT) | instid1(VALU_DEP_1)
	v_mov_b32_e32 v67, v55
	v_pk_add_f32 v[52:53], v[52:53], v[66:67] neg_lo:[0,1] neg_hi:[0,1]
.LBB46_22:
	s_or_b32 exec_lo, exec_lo, s0
	v_lshl_add_u32 v54, v62, 3, v58
	s_barrier_signal -1
	s_barrier_wait -1
	ds_store_b64 v54, v[46:47]
	s_wait_dscnt 0x0
	s_barrier_signal -1
	s_barrier_wait -1
	ds_load_b64 v[56:57], v58 offset:8
	v_mov_b32_e32 v54, 1
	s_cmp_lt_i32 s14, 3
	s_cbranch_scc1 .LBB46_25
; %bb.23:
	v_add3_u32 v55, v59, 0, 16
	v_mov_b32_e32 v54, 1
	s_mov_b32 s0, 2
.LBB46_24:                              ; =>This Inner Loop Header: Depth=1
	ds_load_b64 v[64:65], v55
	s_wait_dscnt 0x1
	v_cmp_gt_f32_e32 vcc_lo, 0, v56
	v_cndmask_b32_e64 v66, v56, -v56, vcc_lo
	v_cmp_gt_f32_e32 vcc_lo, 0, v57
	v_cndmask_b32_e64 v68, v57, -v57, vcc_lo
	s_wait_dscnt 0x0
	v_cmp_gt_f32_e32 vcc_lo, 0, v64
	v_cndmask_b32_e64 v67, v64, -v64, vcc_lo
	v_cmp_gt_f32_e32 vcc_lo, 0, v65
	v_cndmask_b32_e64 v69, v65, -v65, vcc_lo
	s_delay_alu instid0(VALU_DEP_1) | instskip(NEXT) | instid1(VALU_DEP_1)
	v_pk_add_f32 v[66:67], v[66:67], v[68:69]
	v_cmp_lt_f32_e32 vcc_lo, v66, v67
	v_dual_add_nc_u32 v55, 8, v55 :: v_dual_cndmask_b32 v57, v57, v65, vcc_lo
	v_cndmask_b32_e32 v56, v56, v64, vcc_lo
	v_cndmask_b32_e64 v54, v54, s0, vcc_lo
	s_add_co_i32 s0, s0, 1
	s_delay_alu instid0(SALU_CYCLE_1)
	s_cmp_lg_u32 s14, s0
	s_cbranch_scc1 .LBB46_24
.LBB46_25:
	s_wait_dscnt 0x0
	v_cmp_neq_f32_e32 vcc_lo, 0, v56
	v_cmp_neq_f32_e64 s0, 0, v57
	s_or_b32 s1, vcc_lo, s0
	s_delay_alu instid0(SALU_CYCLE_1)
	s_and_saveexec_b32 s0, s1
	s_cbranch_execz .LBB46_31
; %bb.26:
	v_cmp_ngt_f32_e64 s1, |v56|, |v57|
	s_and_saveexec_b32 s15, s1
	s_delay_alu instid0(SALU_CYCLE_1)
	s_xor_b32 s1, exec_lo, s15
	s_cbranch_execz .LBB46_28
; %bb.27:
	v_div_scale_f32 v55, null, v57, v57, v56
	v_div_scale_f32 v65, vcc_lo, v56, v57, v56
	s_delay_alu instid0(VALU_DEP_2) | instskip(SKIP_1) | instid1(TRANS32_DEP_1)
	v_rcp_f32_e32 v60, v55
	v_nop
	v_fma_f32 v64, -v55, v60, 1.0
	s_delay_alu instid0(VALU_DEP_1) | instskip(NEXT) | instid1(VALU_DEP_1)
	v_fmac_f32_e32 v60, v64, v60
	v_mul_f32_e32 v64, v65, v60
	s_delay_alu instid0(VALU_DEP_1) | instskip(NEXT) | instid1(VALU_DEP_1)
	v_fma_f32 v66, -v55, v64, v65
	v_fmac_f32_e32 v64, v66, v60
	s_delay_alu instid0(VALU_DEP_1) | instskip(NEXT) | instid1(VALU_DEP_1)
	v_fma_f32 v55, -v55, v64, v65
	v_div_fmas_f32 v55, v55, v60, v64
	s_delay_alu instid0(VALU_DEP_1) | instskip(NEXT) | instid1(VALU_DEP_1)
	v_div_fixup_f32 v55, v55, v57, v56
	v_fmac_f32_e32 v57, v56, v55
	s_delay_alu instid0(VALU_DEP_1) | instskip(SKIP_1) | instid1(VALU_DEP_2)
	v_div_scale_f32 v56, null, v57, v57, 1.0
	v_div_scale_f32 v65, vcc_lo, 1.0, v57, 1.0
	v_rcp_f32_e32 v60, v56
	v_nop
	s_delay_alu instid0(TRANS32_DEP_1) | instskip(NEXT) | instid1(VALU_DEP_1)
	v_fma_f32 v64, -v56, v60, 1.0
	v_fmac_f32_e32 v60, v64, v60
	s_delay_alu instid0(VALU_DEP_1) | instskip(NEXT) | instid1(VALU_DEP_1)
	v_mul_f32_e32 v64, v65, v60
	v_fma_f32 v66, -v56, v64, v65
	s_delay_alu instid0(VALU_DEP_1) | instskip(NEXT) | instid1(VALU_DEP_1)
	v_fmac_f32_e32 v64, v66, v60
	v_fma_f32 v56, -v56, v64, v65
	s_delay_alu instid0(VALU_DEP_1) | instskip(NEXT) | instid1(VALU_DEP_1)
	v_div_fmas_f32 v56, v56, v60, v64
	v_div_fixup_f32 v57, v56, v57, 1.0
	s_delay_alu instid0(VALU_DEP_1)
	v_mul_f32_e32 v56, v55, v57
	v_xor_b32_e32 v57, 0x80000000, v57
.LBB46_28:
	s_and_not1_saveexec_b32 s1, s1
	s_cbranch_execz .LBB46_30
; %bb.29:
	s_delay_alu instid0(VALU_DEP_1) | instskip(SKIP_1) | instid1(VALU_DEP_2)
	v_div_scale_f32 v55, null, v56, v56, v57
	v_div_scale_f32 v65, vcc_lo, v57, v56, v57
	v_rcp_f32_e32 v60, v55
	v_nop
	s_delay_alu instid0(TRANS32_DEP_1) | instskip(NEXT) | instid1(VALU_DEP_1)
	v_fma_f32 v64, -v55, v60, 1.0
	v_fmac_f32_e32 v60, v64, v60
	s_delay_alu instid0(VALU_DEP_1) | instskip(NEXT) | instid1(VALU_DEP_1)
	v_mul_f32_e32 v64, v65, v60
	v_fma_f32 v66, -v55, v64, v65
	s_delay_alu instid0(VALU_DEP_1) | instskip(NEXT) | instid1(VALU_DEP_1)
	v_fmac_f32_e32 v64, v66, v60
	v_fma_f32 v55, -v55, v64, v65
	s_delay_alu instid0(VALU_DEP_1) | instskip(NEXT) | instid1(VALU_DEP_1)
	v_div_fmas_f32 v55, v55, v60, v64
	v_div_fixup_f32 v55, v55, v56, v57
	s_delay_alu instid0(VALU_DEP_1) | instskip(NEXT) | instid1(VALU_DEP_1)
	v_fmac_f32_e32 v56, v57, v55
	v_div_scale_f32 v57, null, v56, v56, 1.0
	s_delay_alu instid0(VALU_DEP_1) | instskip(SKIP_1) | instid1(TRANS32_DEP_1)
	v_rcp_f32_e32 v60, v57
	v_nop
	v_fma_f32 v64, -v57, v60, 1.0
	s_delay_alu instid0(VALU_DEP_1) | instskip(SKIP_1) | instid1(VALU_DEP_1)
	v_fmac_f32_e32 v60, v64, v60
	v_div_scale_f32 v64, vcc_lo, 1.0, v56, 1.0
	v_mul_f32_e32 v65, v64, v60
	s_delay_alu instid0(VALU_DEP_1) | instskip(NEXT) | instid1(VALU_DEP_1)
	v_fma_f32 v66, -v57, v65, v64
	v_fmac_f32_e32 v65, v66, v60
	s_delay_alu instid0(VALU_DEP_1) | instskip(NEXT) | instid1(VALU_DEP_1)
	v_fma_f32 v57, -v57, v65, v64
	v_div_fmas_f32 v57, v57, v60, v65
	s_delay_alu instid0(VALU_DEP_1) | instskip(NEXT) | instid1(VALU_DEP_1)
	v_div_fixup_f32 v56, v57, v56, 1.0
	v_mul_f32_e64 v57, v55, -v56
.LBB46_30:
	s_or_b32 exec_lo, exec_lo, s1
	v_mov_b32_e32 v60, v63
.LBB46_31:
	s_or_b32 exec_lo, exec_lo, s0
	s_delay_alu instid0(SALU_CYCLE_1)
	s_mov_b32 s0, exec_lo
	v_cmpx_ne_u32_e64 v62, v54
	s_xor_b32 s0, exec_lo, s0
	s_cbranch_execz .LBB46_37
; %bb.32:
	s_mov_b32 s1, exec_lo
	v_cmpx_eq_u32_e32 1, v62
	s_cbranch_execz .LBB46_36
; %bb.33:
	v_cmp_ne_u32_e32 vcc_lo, 1, v54
	s_xor_b32 s15, s12, -1
	s_delay_alu instid0(SALU_CYCLE_1) | instskip(NEXT) | instid1(SALU_CYCLE_1)
	s_and_b32 s16, s15, vcc_lo
	s_and_saveexec_b32 s15, s16
	s_cbranch_execz .LBB46_35
; %bb.34:
	v_ashrrev_i32_e32 v55, 31, v54
	s_delay_alu instid0(VALU_DEP_1)
	v_lshl_add_u64 v[62:63], v[54:55], 2, v[30:31]
	s_clause 0x1
	global_load_b32 v55, v[62:63], off
	global_load_b32 v61, v[30:31], off offset:4
	s_wait_loadcnt 0x1
	global_store_b32 v[30:31], v55, off offset:4
	s_wait_loadcnt 0x0
	global_store_b32 v[62:63], v61, off
.LBB46_35:
	s_wait_xcnt 0x0
	s_or_b32 exec_lo, exec_lo, s15
	v_dual_mov_b32 v62, v54 :: v_dual_mov_b32 v61, v54
.LBB46_36:
	s_or_b32 exec_lo, exec_lo, s1
.LBB46_37:
	s_and_not1_saveexec_b32 s0, s0
	s_cbranch_execz .LBB46_39
; %bb.38:
	v_dual_mov_b32 v54, v48 :: v_dual_mov_b32 v55, v49
	v_dual_mov_b32 v62, v32 :: v_dual_mov_b32 v63, v33
	ds_store_2addr_b64 v58, v[54:55], v[62:63] offset0:2 offset1:3
	v_dual_mov_b32 v54, v14 :: v_dual_mov_b32 v55, v15
	v_dual_mov_b32 v62, v10 :: v_dual_mov_b32 v63, v11
	ds_store_2addr_b64 v58, v[54:55], v[62:63] offset0:4 offset1:5
	;; [unrolled: 3-line block ×10, first 2 shown]
	v_dual_mov_b32 v54, v16 :: v_dual_mov_b32 v55, v17
	v_mov_b32_e32 v62, 1
	ds_store_2addr_b64 v58, v[54:55], v[52:53] offset0:22 offset1:23
.LBB46_39:
	s_or_b32 exec_lo, exec_lo, s0
	s_delay_alu instid0(SALU_CYCLE_1)
	s_mov_b32 s0, exec_lo
	s_wait_storecnt_dscnt 0x0
	s_barrier_signal -1
	s_barrier_wait -1
	v_cmpx_lt_i32_e32 1, v62
	s_cbranch_execz .LBB46_41
; %bb.40:
	v_pk_mul_f32 v[64:65], v[56:57], v[46:47] op_sel:[1,1] op_sel_hi:[0,1]
	s_delay_alu instid0(VALU_DEP_1)
	v_pk_fma_f32 v[54:55], v[56:57], v[46:47], v[64:65] op_sel_hi:[1,0,1] neg_lo:[0,0,1] neg_hi:[0,0,1]
	v_pk_fma_f32 v[56:57], v[56:57], v[46:47], v[64:65] op_sel_hi:[1,0,1]
	ds_load_2addr_b64 v[64:67], v58 offset0:2 offset1:3
	v_dual_mov_b32 v46, v54 :: v_dual_mov_b32 v47, v57
	s_wait_dscnt 0x0
	v_pk_mul_f32 v[68:69], v[64:65], v[56:57] op_sel:[0,1]
	s_delay_alu instid0(VALU_DEP_1) | instskip(SKIP_1) | instid1(VALU_DEP_1)
	v_pk_fma_f32 v[70:71], v[64:65], v[54:55], v[68:69] op_sel:[0,0,1] op_sel_hi:[1,1,0] neg_lo:[0,0,1] neg_hi:[0,0,1]
	v_pk_fma_f32 v[64:65], v[64:65], v[54:55], v[68:69] op_sel:[0,0,1] op_sel_hi:[1,0,0]
	v_mov_b32_e32 v71, v65
	v_pk_mul_f32 v[64:65], v[66:67], v[56:57] op_sel:[0,1]
	s_delay_alu instid0(VALU_DEP_1) | instskip(SKIP_1) | instid1(VALU_DEP_1)
	v_pk_fma_f32 v[68:69], v[66:67], v[54:55], v[64:65] op_sel:[0,0,1] op_sel_hi:[1,1,0] neg_lo:[0,0,1] neg_hi:[0,0,1]
	v_pk_fma_f32 v[64:65], v[66:67], v[54:55], v[64:65] op_sel:[0,0,1] op_sel_hi:[1,0,0]
	v_mov_b32_e32 v69, v65
	ds_load_2addr_b64 v[64:67], v58 offset0:4 offset1:5
	v_pk_add_f32 v[48:49], v[48:49], v[70:71] neg_lo:[0,1] neg_hi:[0,1]
	v_pk_add_f32 v[32:33], v[32:33], v[68:69] neg_lo:[0,1] neg_hi:[0,1]
	s_wait_dscnt 0x0
	v_pk_mul_f32 v[68:69], v[64:65], v[56:57] op_sel:[0,1]
	s_delay_alu instid0(VALU_DEP_1) | instskip(SKIP_2) | instid1(VALU_DEP_2)
	v_pk_fma_f32 v[70:71], v[64:65], v[54:55], v[68:69] op_sel:[0,0,1] op_sel_hi:[1,1,0] neg_lo:[0,0,1] neg_hi:[0,0,1]
	v_pk_fma_f32 v[64:65], v[64:65], v[54:55], v[68:69] op_sel:[0,0,1] op_sel_hi:[1,0,0]
	v_dual_mul_f32 v68, v67, v57 :: v_dual_mov_b32 v64, v67
	v_dual_mov_b32 v71, v65 :: v_dual_mov_b32 v65, v66
	s_delay_alu instid0(VALU_DEP_2) | instskip(SKIP_1) | instid1(VALU_DEP_3)
	v_pk_fma_f32 v[68:69], v[66:67], v[46:47], v[68:69] op_sel_hi:[1,1,0] neg_lo:[0,0,1] neg_hi:[0,0,1]
	v_mul_f32_e32 v66, v67, v54
	v_pk_add_f32 v[14:15], v[14:15], v[70:71] neg_lo:[0,1] neg_hi:[0,1]
	s_delay_alu instid0(VALU_DEP_2) | instskip(NEXT) | instid1(VALU_DEP_1)
	v_pk_fma_f32 v[64:65], v[64:65], v[46:47], v[66:67] op_sel_hi:[1,1,0]
	v_mov_b32_e32 v69, v65
	ds_load_2addr_b64 v[64:67], v58 offset0:6 offset1:7
	v_pk_add_f32 v[10:11], v[10:11], v[68:69] neg_lo:[0,1] neg_hi:[0,1]
	s_wait_dscnt 0x0
	v_pk_mul_f32 v[68:69], v[64:65], v[56:57] op_sel:[0,1]
	s_delay_alu instid0(VALU_DEP_1) | instskip(SKIP_1) | instid1(VALU_DEP_1)
	v_pk_fma_f32 v[70:71], v[64:65], v[54:55], v[68:69] op_sel:[0,0,1] op_sel_hi:[1,1,0] neg_lo:[0,0,1] neg_hi:[0,0,1]
	v_pk_fma_f32 v[64:65], v[64:65], v[54:55], v[68:69] op_sel:[0,0,1] op_sel_hi:[1,0,0]
	v_mov_b32_e32 v71, v65
	v_pk_mul_f32 v[64:65], v[66:67], v[56:57] op_sel:[0,1]
	s_delay_alu instid0(VALU_DEP_1) | instskip(SKIP_1) | instid1(VALU_DEP_1)
	v_pk_fma_f32 v[68:69], v[66:67], v[54:55], v[64:65] op_sel:[0,0,1] op_sel_hi:[1,1,0] neg_lo:[0,0,1] neg_hi:[0,0,1]
	v_pk_fma_f32 v[64:65], v[66:67], v[54:55], v[64:65] op_sel:[0,0,1] op_sel_hi:[1,0,0]
	v_mov_b32_e32 v69, v65
	ds_load_2addr_b64 v[64:67], v58 offset0:8 offset1:9
	v_pk_add_f32 v[12:13], v[12:13], v[70:71] neg_lo:[0,1] neg_hi:[0,1]
	v_pk_add_f32 v[4:5], v[4:5], v[68:69] neg_lo:[0,1] neg_hi:[0,1]
	s_wait_dscnt 0x0
	v_pk_mul_f32 v[68:69], v[64:65], v[56:57] op_sel:[0,1]
	s_delay_alu instid0(VALU_DEP_1) | instskip(SKIP_1) | instid1(VALU_DEP_1)
	v_pk_fma_f32 v[70:71], v[64:65], v[54:55], v[68:69] op_sel:[0,0,1] op_sel_hi:[1,1,0] neg_lo:[0,0,1] neg_hi:[0,0,1]
	v_pk_fma_f32 v[64:65], v[64:65], v[54:55], v[68:69] op_sel:[0,0,1] op_sel_hi:[1,0,0]
	v_mov_b32_e32 v71, v65
	v_pk_mul_f32 v[64:65], v[66:67], v[56:57] op_sel:[0,1]
	s_delay_alu instid0(VALU_DEP_1) | instskip(SKIP_1) | instid1(VALU_DEP_1)
	v_pk_fma_f32 v[68:69], v[66:67], v[54:55], v[64:65] op_sel:[0,0,1] op_sel_hi:[1,1,0] neg_lo:[0,0,1] neg_hi:[0,0,1]
	v_pk_fma_f32 v[64:65], v[66:67], v[54:55], v[64:65] op_sel:[0,0,1] op_sel_hi:[1,0,0]
	v_mov_b32_e32 v69, v65
	ds_load_2addr_b64 v[64:67], v58 offset0:10 offset1:11
	v_pk_add_f32 v[44:45], v[44:45], v[70:71] neg_lo:[0,1] neg_hi:[0,1]
	v_pk_add_f32 v[40:41], v[40:41], v[68:69] neg_lo:[0,1] neg_hi:[0,1]
	s_wait_dscnt 0x0
	v_dual_mul_f32 v68, v65, v57 :: v_dual_mul_f32 v70, v65, v54
	s_delay_alu instid0(VALU_DEP_1) | instskip(NEXT) | instid1(VALU_DEP_2)
	v_pk_fma_f32 v[68:69], v[64:65], v[46:47], v[68:69] op_sel_hi:[1,1,0] neg_lo:[0,0,1] neg_hi:[0,0,1]
	v_pk_fma_f32 v[64:65], v[64:65], v[46:47], v[70:71] op_sel:[1,0,0] op_sel_hi:[0,1,0]
	s_delay_alu instid0(VALU_DEP_1) | instskip(SKIP_1) | instid1(VALU_DEP_2)
	v_mov_b32_e32 v69, v65
	v_pk_mul_f32 v[64:65], v[66:67], v[56:57] op_sel:[0,1]
	v_pk_add_f32 v[42:43], v[42:43], v[68:69] neg_lo:[0,1] neg_hi:[0,1]
	s_delay_alu instid0(VALU_DEP_2) | instskip(SKIP_1) | instid1(VALU_DEP_1)
	v_pk_fma_f32 v[68:69], v[66:67], v[54:55], v[64:65] op_sel:[0,0,1] op_sel_hi:[1,1,0] neg_lo:[0,0,1] neg_hi:[0,0,1]
	v_pk_fma_f32 v[64:65], v[66:67], v[54:55], v[64:65] op_sel:[0,0,1] op_sel_hi:[1,0,0]
	v_mov_b32_e32 v69, v65
	ds_load_2addr_b64 v[64:67], v58 offset0:12 offset1:13
	v_pk_add_f32 v[18:19], v[18:19], v[68:69] neg_lo:[0,1] neg_hi:[0,1]
	s_wait_dscnt 0x0
	v_pk_mul_f32 v[68:69], v[64:65], v[56:57] op_sel:[0,1]
	s_delay_alu instid0(VALU_DEP_1) | instskip(SKIP_1) | instid1(VALU_DEP_1)
	v_pk_fma_f32 v[70:71], v[64:65], v[54:55], v[68:69] op_sel:[0,0,1] op_sel_hi:[1,1,0] neg_lo:[0,0,1] neg_hi:[0,0,1]
	v_pk_fma_f32 v[64:65], v[64:65], v[54:55], v[68:69] op_sel:[0,0,1] op_sel_hi:[1,0,0]
	v_mov_b32_e32 v71, v65
	v_pk_mul_f32 v[64:65], v[66:67], v[56:57] op_sel:[0,1]
	s_delay_alu instid0(VALU_DEP_2) | instskip(NEXT) | instid1(VALU_DEP_2)
	v_pk_add_f32 v[38:39], v[38:39], v[70:71] neg_lo:[0,1] neg_hi:[0,1]
	v_pk_fma_f32 v[68:69], v[66:67], v[54:55], v[64:65] op_sel:[0,0,1] op_sel_hi:[1,1,0] neg_lo:[0,0,1] neg_hi:[0,0,1]
	v_pk_fma_f32 v[64:65], v[66:67], v[54:55], v[64:65] op_sel:[0,0,1] op_sel_hi:[1,0,0]
	s_delay_alu instid0(VALU_DEP_1) | instskip(SKIP_4) | instid1(VALU_DEP_1)
	v_mov_b32_e32 v69, v65
	ds_load_2addr_b64 v[64:67], v58 offset0:14 offset1:15
	v_pk_add_f32 v[34:35], v[34:35], v[68:69] neg_lo:[0,1] neg_hi:[0,1]
	s_wait_dscnt 0x0
	v_pk_mul_f32 v[68:69], v[64:65], v[56:57] op_sel:[0,1]
	v_pk_fma_f32 v[70:71], v[64:65], v[54:55], v[68:69] op_sel:[0,0,1] op_sel_hi:[1,1,0] neg_lo:[0,0,1] neg_hi:[0,0,1]
	v_pk_fma_f32 v[64:65], v[64:65], v[54:55], v[68:69] op_sel:[0,0,1] op_sel_hi:[1,0,0]
	v_dual_mul_f32 v68, v67, v57 :: v_dual_mov_b32 v64, v67
	s_delay_alu instid0(VALU_DEP_2) | instskip(NEXT) | instid1(VALU_DEP_2)
	v_dual_mov_b32 v71, v65 :: v_dual_mov_b32 v65, v66
	v_pk_fma_f32 v[68:69], v[66:67], v[46:47], v[68:69] op_sel_hi:[1,1,0] neg_lo:[0,0,1] neg_hi:[0,0,1]
	v_mul_f32_e32 v66, v67, v54
	s_delay_alu instid0(VALU_DEP_3) | instskip(NEXT) | instid1(VALU_DEP_2)
	v_pk_add_f32 v[36:37], v[36:37], v[70:71] neg_lo:[0,1] neg_hi:[0,1]
	v_pk_fma_f32 v[64:65], v[64:65], v[46:47], v[66:67] op_sel_hi:[1,1,0]
	s_delay_alu instid0(VALU_DEP_1) | instskip(SKIP_4) | instid1(VALU_DEP_1)
	v_mov_b32_e32 v69, v65
	ds_load_2addr_b64 v[64:67], v58 offset0:16 offset1:17
	v_pk_add_f32 v[8:9], v[8:9], v[68:69] neg_lo:[0,1] neg_hi:[0,1]
	s_wait_dscnt 0x0
	v_pk_mul_f32 v[68:69], v[64:65], v[56:57] op_sel:[0,1]
	v_pk_fma_f32 v[70:71], v[64:65], v[54:55], v[68:69] op_sel:[0,0,1] op_sel_hi:[1,1,0] neg_lo:[0,0,1] neg_hi:[0,0,1]
	v_pk_fma_f32 v[64:65], v[64:65], v[54:55], v[68:69] op_sel:[0,0,1] op_sel_hi:[1,0,0]
	s_delay_alu instid0(VALU_DEP_1) | instskip(SKIP_1) | instid1(VALU_DEP_1)
	v_mov_b32_e32 v71, v65
	v_pk_mul_f32 v[64:65], v[66:67], v[56:57] op_sel:[0,1]
	v_pk_fma_f32 v[68:69], v[66:67], v[54:55], v[64:65] op_sel:[0,0,1] op_sel_hi:[1,1,0] neg_lo:[0,0,1] neg_hi:[0,0,1]
	v_pk_fma_f32 v[64:65], v[66:67], v[54:55], v[64:65] op_sel:[0,0,1] op_sel_hi:[1,0,0]
	s_delay_alu instid0(VALU_DEP_1)
	v_mov_b32_e32 v69, v65
	ds_load_2addr_b64 v[64:67], v58 offset0:18 offset1:19
	v_pk_add_f32 v[28:29], v[28:29], v[70:71] neg_lo:[0,1] neg_hi:[0,1]
	v_pk_add_f32 v[24:25], v[24:25], v[68:69] neg_lo:[0,1] neg_hi:[0,1]
	s_wait_dscnt 0x0
	v_pk_mul_f32 v[68:69], v[64:65], v[56:57] op_sel:[0,1]
	s_delay_alu instid0(VALU_DEP_1) | instskip(SKIP_1) | instid1(VALU_DEP_1)
	v_pk_fma_f32 v[70:71], v[64:65], v[54:55], v[68:69] op_sel:[0,0,1] op_sel_hi:[1,1,0] neg_lo:[0,0,1] neg_hi:[0,0,1]
	v_pk_fma_f32 v[64:65], v[64:65], v[54:55], v[68:69] op_sel:[0,0,1] op_sel_hi:[1,0,0]
	v_mov_b32_e32 v71, v65
	v_pk_mul_f32 v[64:65], v[66:67], v[56:57] op_sel:[0,1]
	s_delay_alu instid0(VALU_DEP_1) | instskip(SKIP_1) | instid1(VALU_DEP_1)
	v_pk_fma_f32 v[68:69], v[66:67], v[54:55], v[64:65] op_sel:[0,0,1] op_sel_hi:[1,1,0] neg_lo:[0,0,1] neg_hi:[0,0,1]
	v_pk_fma_f32 v[64:65], v[66:67], v[54:55], v[64:65] op_sel:[0,0,1] op_sel_hi:[1,0,0]
	v_mov_b32_e32 v69, v65
	ds_load_2addr_b64 v[64:67], v58 offset0:20 offset1:21
	v_pk_add_f32 v[26:27], v[26:27], v[70:71] neg_lo:[0,1] neg_hi:[0,1]
	v_pk_add_f32 v[6:7], v[6:7], v[68:69] neg_lo:[0,1] neg_hi:[0,1]
	s_wait_dscnt 0x0
	v_dual_mul_f32 v68, v65, v57 :: v_dual_mul_f32 v70, v65, v54
	s_delay_alu instid0(VALU_DEP_1) | instskip(NEXT) | instid1(VALU_DEP_2)
	v_pk_fma_f32 v[68:69], v[64:65], v[46:47], v[68:69] op_sel_hi:[1,1,0] neg_lo:[0,0,1] neg_hi:[0,0,1]
	v_pk_fma_f32 v[64:65], v[64:65], v[46:47], v[70:71] op_sel:[1,0,0] op_sel_hi:[0,1,0]
	s_delay_alu instid0(VALU_DEP_1) | instskip(SKIP_1) | instid1(VALU_DEP_2)
	v_mov_b32_e32 v69, v65
	v_pk_mul_f32 v[64:65], v[66:67], v[56:57] op_sel:[0,1]
	v_pk_add_f32 v[22:23], v[22:23], v[68:69] neg_lo:[0,1] neg_hi:[0,1]
	s_delay_alu instid0(VALU_DEP_2) | instskip(SKIP_1) | instid1(VALU_DEP_1)
	v_pk_fma_f32 v[68:69], v[66:67], v[54:55], v[64:65] op_sel:[0,0,1] op_sel_hi:[1,1,0] neg_lo:[0,0,1] neg_hi:[0,0,1]
	v_pk_fma_f32 v[64:65], v[66:67], v[54:55], v[64:65] op_sel:[0,0,1] op_sel_hi:[1,0,0]
	v_mov_b32_e32 v69, v65
	ds_load_2addr_b64 v[64:67], v58 offset0:22 offset1:23
	v_pk_add_f32 v[20:21], v[20:21], v[68:69] neg_lo:[0,1] neg_hi:[0,1]
	s_wait_dscnt 0x0
	v_pk_mul_f32 v[68:69], v[64:65], v[56:57] op_sel:[0,1]
	v_pk_mul_f32 v[56:57], v[66:67], v[56:57] op_sel:[0,1]
	s_delay_alu instid0(VALU_DEP_2) | instskip(SKIP_1) | instid1(VALU_DEP_1)
	v_pk_fma_f32 v[70:71], v[64:65], v[54:55], v[68:69] op_sel:[0,0,1] op_sel_hi:[1,1,0] neg_lo:[0,0,1] neg_hi:[0,0,1]
	v_pk_fma_f32 v[64:65], v[64:65], v[54:55], v[68:69] op_sel:[0,0,1] op_sel_hi:[1,0,0]
	v_mov_b32_e32 v71, v65
	s_delay_alu instid0(VALU_DEP_4) | instskip(SKIP_1) | instid1(VALU_DEP_3)
	v_pk_fma_f32 v[64:65], v[66:67], v[54:55], v[56:57] op_sel:[0,0,1] op_sel_hi:[1,1,0] neg_lo:[0,0,1] neg_hi:[0,0,1]
	v_pk_fma_f32 v[54:55], v[66:67], v[54:55], v[56:57] op_sel:[0,0,1] op_sel_hi:[1,0,0]
	v_pk_add_f32 v[16:17], v[16:17], v[70:71] neg_lo:[0,1] neg_hi:[0,1]
	s_delay_alu instid0(VALU_DEP_2) | instskip(NEXT) | instid1(VALU_DEP_1)
	v_mov_b32_e32 v65, v55
	v_pk_add_f32 v[52:53], v[52:53], v[64:65] neg_lo:[0,1] neg_hi:[0,1]
.LBB46_41:
	s_or_b32 exec_lo, exec_lo, s0
	v_lshl_add_u32 v54, v62, 3, v58
	s_barrier_signal -1
	s_barrier_wait -1
	ds_store_b64 v54, v[48:49]
	s_wait_dscnt 0x0
	s_barrier_signal -1
	s_barrier_wait -1
	ds_load_b64 v[56:57], v58 offset:16
	v_mov_b32_e32 v54, 2
	s_cmp_lt_i32 s14, 4
	s_mov_b32 s0, 3
	s_cbranch_scc1 .LBB46_44
; %bb.42:
	v_add3_u32 v55, v59, 0, 24
	v_mov_b32_e32 v54, 2
.LBB46_43:                              ; =>This Inner Loop Header: Depth=1
	ds_load_b64 v[64:65], v55
	s_wait_dscnt 0x1
	v_cmp_gt_f32_e32 vcc_lo, 0, v56
	v_cndmask_b32_e64 v66, v56, -v56, vcc_lo
	v_cmp_gt_f32_e32 vcc_lo, 0, v57
	v_cndmask_b32_e64 v68, v57, -v57, vcc_lo
	s_wait_dscnt 0x0
	v_cmp_gt_f32_e32 vcc_lo, 0, v64
	v_cndmask_b32_e64 v67, v64, -v64, vcc_lo
	v_cmp_gt_f32_e32 vcc_lo, 0, v65
	v_cndmask_b32_e64 v69, v65, -v65, vcc_lo
	s_delay_alu instid0(VALU_DEP_1) | instskip(NEXT) | instid1(VALU_DEP_1)
	v_pk_add_f32 v[66:67], v[66:67], v[68:69]
	v_cmp_lt_f32_e32 vcc_lo, v66, v67
	v_dual_add_nc_u32 v55, 8, v55 :: v_dual_cndmask_b32 v57, v57, v65, vcc_lo
	v_cndmask_b32_e32 v56, v56, v64, vcc_lo
	v_cndmask_b32_e64 v54, v54, s0, vcc_lo
	s_add_co_i32 s0, s0, 1
	s_delay_alu instid0(SALU_CYCLE_1)
	s_cmp_lg_u32 s14, s0
	s_cbranch_scc1 .LBB46_43
.LBB46_44:
	s_wait_dscnt 0x0
	v_cmp_eq_f32_e32 vcc_lo, 0, v56
	v_cmp_eq_f32_e64 s0, 0, v57
	s_and_b32 s0, vcc_lo, s0
	s_delay_alu instid0(SALU_CYCLE_1) | instskip(NEXT) | instid1(SALU_CYCLE_1)
	s_and_saveexec_b32 s1, s0
	s_xor_b32 s0, exec_lo, s1
; %bb.45:
	v_cmp_ne_u32_e32 vcc_lo, 0, v60
	v_cndmask_b32_e32 v60, 3, v60, vcc_lo
; %bb.46:
	s_and_not1_saveexec_b32 s0, s0
	s_cbranch_execz .LBB46_52
; %bb.47:
	v_cmp_ngt_f32_e64 s1, |v56|, |v57|
	s_and_saveexec_b32 s15, s1
	s_delay_alu instid0(SALU_CYCLE_1)
	s_xor_b32 s1, exec_lo, s15
	s_cbranch_execz .LBB46_49
; %bb.48:
	v_div_scale_f32 v55, null, v57, v57, v56
	v_div_scale_f32 v65, vcc_lo, v56, v57, v56
	s_delay_alu instid0(VALU_DEP_2) | instskip(SKIP_1) | instid1(TRANS32_DEP_1)
	v_rcp_f32_e32 v63, v55
	v_nop
	v_fma_f32 v64, -v55, v63, 1.0
	s_delay_alu instid0(VALU_DEP_1) | instskip(NEXT) | instid1(VALU_DEP_1)
	v_fmac_f32_e32 v63, v64, v63
	v_mul_f32_e32 v64, v65, v63
	s_delay_alu instid0(VALU_DEP_1) | instskip(NEXT) | instid1(VALU_DEP_1)
	v_fma_f32 v66, -v55, v64, v65
	v_fmac_f32_e32 v64, v66, v63
	s_delay_alu instid0(VALU_DEP_1) | instskip(NEXT) | instid1(VALU_DEP_1)
	v_fma_f32 v55, -v55, v64, v65
	v_div_fmas_f32 v55, v55, v63, v64
	s_delay_alu instid0(VALU_DEP_1) | instskip(NEXT) | instid1(VALU_DEP_1)
	v_div_fixup_f32 v55, v55, v57, v56
	v_fmac_f32_e32 v57, v56, v55
	s_delay_alu instid0(VALU_DEP_1) | instskip(SKIP_1) | instid1(VALU_DEP_2)
	v_div_scale_f32 v56, null, v57, v57, 1.0
	v_div_scale_f32 v65, vcc_lo, 1.0, v57, 1.0
	v_rcp_f32_e32 v63, v56
	v_nop
	s_delay_alu instid0(TRANS32_DEP_1) | instskip(NEXT) | instid1(VALU_DEP_1)
	v_fma_f32 v64, -v56, v63, 1.0
	v_fmac_f32_e32 v63, v64, v63
	s_delay_alu instid0(VALU_DEP_1) | instskip(NEXT) | instid1(VALU_DEP_1)
	v_mul_f32_e32 v64, v65, v63
	v_fma_f32 v66, -v56, v64, v65
	s_delay_alu instid0(VALU_DEP_1) | instskip(NEXT) | instid1(VALU_DEP_1)
	v_fmac_f32_e32 v64, v66, v63
	v_fma_f32 v56, -v56, v64, v65
	s_delay_alu instid0(VALU_DEP_1) | instskip(NEXT) | instid1(VALU_DEP_1)
	v_div_fmas_f32 v56, v56, v63, v64
	v_div_fixup_f32 v57, v56, v57, 1.0
	s_delay_alu instid0(VALU_DEP_1)
	v_mul_f32_e32 v56, v55, v57
	v_xor_b32_e32 v57, 0x80000000, v57
.LBB46_49:
	s_and_not1_saveexec_b32 s1, s1
	s_cbranch_execz .LBB46_51
; %bb.50:
	s_delay_alu instid0(VALU_DEP_1) | instskip(SKIP_1) | instid1(VALU_DEP_2)
	v_div_scale_f32 v55, null, v56, v56, v57
	v_div_scale_f32 v65, vcc_lo, v57, v56, v57
	v_rcp_f32_e32 v63, v55
	v_nop
	s_delay_alu instid0(TRANS32_DEP_1) | instskip(NEXT) | instid1(VALU_DEP_1)
	v_fma_f32 v64, -v55, v63, 1.0
	v_fmac_f32_e32 v63, v64, v63
	s_delay_alu instid0(VALU_DEP_1) | instskip(NEXT) | instid1(VALU_DEP_1)
	v_mul_f32_e32 v64, v65, v63
	v_fma_f32 v66, -v55, v64, v65
	s_delay_alu instid0(VALU_DEP_1) | instskip(NEXT) | instid1(VALU_DEP_1)
	v_fmac_f32_e32 v64, v66, v63
	v_fma_f32 v55, -v55, v64, v65
	s_delay_alu instid0(VALU_DEP_1) | instskip(NEXT) | instid1(VALU_DEP_1)
	v_div_fmas_f32 v55, v55, v63, v64
	v_div_fixup_f32 v55, v55, v56, v57
	s_delay_alu instid0(VALU_DEP_1) | instskip(NEXT) | instid1(VALU_DEP_1)
	v_fmac_f32_e32 v56, v57, v55
	v_div_scale_f32 v57, null, v56, v56, 1.0
	s_delay_alu instid0(VALU_DEP_1) | instskip(SKIP_1) | instid1(TRANS32_DEP_1)
	v_rcp_f32_e32 v63, v57
	v_nop
	v_fma_f32 v64, -v57, v63, 1.0
	s_delay_alu instid0(VALU_DEP_1) | instskip(SKIP_1) | instid1(VALU_DEP_1)
	v_fmac_f32_e32 v63, v64, v63
	v_div_scale_f32 v64, vcc_lo, 1.0, v56, 1.0
	v_mul_f32_e32 v65, v64, v63
	s_delay_alu instid0(VALU_DEP_1) | instskip(NEXT) | instid1(VALU_DEP_1)
	v_fma_f32 v66, -v57, v65, v64
	v_fmac_f32_e32 v65, v66, v63
	s_delay_alu instid0(VALU_DEP_1) | instskip(NEXT) | instid1(VALU_DEP_1)
	v_fma_f32 v57, -v57, v65, v64
	v_div_fmas_f32 v57, v57, v63, v65
	s_delay_alu instid0(VALU_DEP_1) | instskip(NEXT) | instid1(VALU_DEP_1)
	v_div_fixup_f32 v56, v57, v56, 1.0
	v_mul_f32_e64 v57, v55, -v56
.LBB46_51:
	s_or_b32 exec_lo, exec_lo, s1
.LBB46_52:
	s_delay_alu instid0(SALU_CYCLE_1) | instskip(NEXT) | instid1(SALU_CYCLE_1)
	s_or_b32 exec_lo, exec_lo, s0
	s_mov_b32 s0, exec_lo
	v_cmpx_ne_u32_e64 v62, v54
	s_xor_b32 s0, exec_lo, s0
	s_cbranch_execz .LBB46_58
; %bb.53:
	s_mov_b32 s1, exec_lo
	v_cmpx_eq_u32_e32 2, v62
	s_cbranch_execz .LBB46_57
; %bb.54:
	v_cmp_ne_u32_e32 vcc_lo, 2, v54
	s_xor_b32 s15, s12, -1
	s_delay_alu instid0(SALU_CYCLE_1) | instskip(NEXT) | instid1(SALU_CYCLE_1)
	s_and_b32 s16, s15, vcc_lo
	s_and_saveexec_b32 s15, s16
	s_cbranch_execz .LBB46_56
; %bb.55:
	v_ashrrev_i32_e32 v55, 31, v54
	s_delay_alu instid0(VALU_DEP_1)
	v_lshl_add_u64 v[62:63], v[54:55], 2, v[30:31]
	s_clause 0x1
	global_load_b32 v55, v[62:63], off
	global_load_b32 v61, v[30:31], off offset:8
	s_wait_loadcnt 0x1
	global_store_b32 v[30:31], v55, off offset:8
	s_wait_loadcnt 0x0
	global_store_b32 v[62:63], v61, off
.LBB46_56:
	s_wait_xcnt 0x0
	s_or_b32 exec_lo, exec_lo, s15
	v_dual_mov_b32 v62, v54 :: v_dual_mov_b32 v61, v54
.LBB46_57:
	s_or_b32 exec_lo, exec_lo, s1
.LBB46_58:
	s_and_not1_saveexec_b32 s0, s0
	s_cbranch_execz .LBB46_60
; %bb.59:
	v_mov_b32_e32 v62, 2
	ds_store_2addr_b64 v58, v[32:33], v[14:15] offset0:3 offset1:4
	ds_store_2addr_b64 v58, v[10:11], v[12:13] offset0:5 offset1:6
	ds_store_2addr_b64 v58, v[4:5], v[44:45] offset0:7 offset1:8
	ds_store_2addr_b64 v58, v[40:41], v[42:43] offset0:9 offset1:10
	ds_store_2addr_b64 v58, v[18:19], v[38:39] offset0:11 offset1:12
	ds_store_2addr_b64 v58, v[34:35], v[36:37] offset0:13 offset1:14
	ds_store_2addr_b64 v58, v[8:9], v[28:29] offset0:15 offset1:16
	ds_store_2addr_b64 v58, v[24:25], v[26:27] offset0:17 offset1:18
	ds_store_2addr_b64 v58, v[6:7], v[22:23] offset0:19 offset1:20
	ds_store_2addr_b64 v58, v[20:21], v[16:17] offset0:21 offset1:22
	ds_store_b64 v58, v[52:53] offset:184
.LBB46_60:
	s_or_b32 exec_lo, exec_lo, s0
	s_delay_alu instid0(SALU_CYCLE_1)
	s_mov_b32 s0, exec_lo
	s_wait_storecnt_dscnt 0x0
	s_barrier_signal -1
	s_barrier_wait -1
	v_cmpx_lt_i32_e32 2, v62
	s_cbranch_execz .LBB46_62
; %bb.61:
	v_pk_mul_f32 v[64:65], v[56:57], v[48:49] op_sel:[1,1] op_sel_hi:[0,1]
	s_delay_alu instid0(VALU_DEP_1)
	v_pk_fma_f32 v[54:55], v[56:57], v[48:49], v[64:65] op_sel_hi:[1,0,1] neg_lo:[0,0,1] neg_hi:[0,0,1]
	v_pk_fma_f32 v[56:57], v[56:57], v[48:49], v[64:65] op_sel_hi:[1,0,1]
	ds_load_2addr_b64 v[64:67], v58 offset0:3 offset1:4
	v_dual_mov_b32 v48, v54 :: v_dual_mov_b32 v49, v57
	s_wait_dscnt 0x0
	v_pk_mul_f32 v[68:69], v[64:65], v[56:57] op_sel:[0,1]
	s_delay_alu instid0(VALU_DEP_1) | instskip(SKIP_1) | instid1(VALU_DEP_1)
	v_pk_fma_f32 v[70:71], v[64:65], v[54:55], v[68:69] op_sel:[0,0,1] op_sel_hi:[1,1,0] neg_lo:[0,0,1] neg_hi:[0,0,1]
	v_pk_fma_f32 v[64:65], v[64:65], v[54:55], v[68:69] op_sel:[0,0,1] op_sel_hi:[1,0,0]
	v_mov_b32_e32 v71, v65
	v_pk_mul_f32 v[64:65], v[66:67], v[56:57] op_sel:[0,1]
	s_delay_alu instid0(VALU_DEP_1) | instskip(SKIP_1) | instid1(VALU_DEP_1)
	v_pk_fma_f32 v[68:69], v[66:67], v[54:55], v[64:65] op_sel:[0,0,1] op_sel_hi:[1,1,0] neg_lo:[0,0,1] neg_hi:[0,0,1]
	v_pk_fma_f32 v[64:65], v[66:67], v[54:55], v[64:65] op_sel:[0,0,1] op_sel_hi:[1,0,0]
	v_mov_b32_e32 v69, v65
	ds_load_2addr_b64 v[64:67], v58 offset0:5 offset1:6
	v_pk_add_f32 v[32:33], v[32:33], v[70:71] neg_lo:[0,1] neg_hi:[0,1]
	v_pk_add_f32 v[14:15], v[14:15], v[68:69] neg_lo:[0,1] neg_hi:[0,1]
	s_wait_dscnt 0x0
	v_pk_mul_f32 v[68:69], v[64:65], v[56:57] op_sel:[0,1]
	s_delay_alu instid0(VALU_DEP_1) | instskip(SKIP_2) | instid1(VALU_DEP_2)
	v_pk_fma_f32 v[70:71], v[64:65], v[54:55], v[68:69] op_sel:[0,0,1] op_sel_hi:[1,1,0] neg_lo:[0,0,1] neg_hi:[0,0,1]
	v_pk_fma_f32 v[64:65], v[64:65], v[54:55], v[68:69] op_sel:[0,0,1] op_sel_hi:[1,0,0]
	v_dual_mul_f32 v68, v67, v57 :: v_dual_mov_b32 v64, v67
	v_dual_mov_b32 v71, v65 :: v_dual_mov_b32 v65, v66
	s_delay_alu instid0(VALU_DEP_2) | instskip(SKIP_1) | instid1(VALU_DEP_3)
	v_pk_fma_f32 v[68:69], v[66:67], v[48:49], v[68:69] op_sel_hi:[1,1,0] neg_lo:[0,0,1] neg_hi:[0,0,1]
	v_mul_f32_e32 v66, v67, v54
	v_pk_add_f32 v[10:11], v[10:11], v[70:71] neg_lo:[0,1] neg_hi:[0,1]
	s_delay_alu instid0(VALU_DEP_2) | instskip(NEXT) | instid1(VALU_DEP_1)
	v_pk_fma_f32 v[64:65], v[64:65], v[48:49], v[66:67] op_sel_hi:[1,1,0]
	v_mov_b32_e32 v69, v65
	ds_load_2addr_b64 v[64:67], v58 offset0:7 offset1:8
	v_pk_add_f32 v[12:13], v[12:13], v[68:69] neg_lo:[0,1] neg_hi:[0,1]
	s_wait_dscnt 0x0
	v_pk_mul_f32 v[68:69], v[64:65], v[56:57] op_sel:[0,1]
	s_delay_alu instid0(VALU_DEP_1) | instskip(SKIP_1) | instid1(VALU_DEP_1)
	v_pk_fma_f32 v[70:71], v[64:65], v[54:55], v[68:69] op_sel:[0,0,1] op_sel_hi:[1,1,0] neg_lo:[0,0,1] neg_hi:[0,0,1]
	v_pk_fma_f32 v[64:65], v[64:65], v[54:55], v[68:69] op_sel:[0,0,1] op_sel_hi:[1,0,0]
	v_mov_b32_e32 v71, v65
	v_pk_mul_f32 v[64:65], v[66:67], v[56:57] op_sel:[0,1]
	s_delay_alu instid0(VALU_DEP_1) | instskip(SKIP_1) | instid1(VALU_DEP_1)
	v_pk_fma_f32 v[68:69], v[66:67], v[54:55], v[64:65] op_sel:[0,0,1] op_sel_hi:[1,1,0] neg_lo:[0,0,1] neg_hi:[0,0,1]
	v_pk_fma_f32 v[64:65], v[66:67], v[54:55], v[64:65] op_sel:[0,0,1] op_sel_hi:[1,0,0]
	v_mov_b32_e32 v69, v65
	ds_load_2addr_b64 v[64:67], v58 offset0:9 offset1:10
	v_pk_add_f32 v[4:5], v[4:5], v[70:71] neg_lo:[0,1] neg_hi:[0,1]
	v_pk_add_f32 v[44:45], v[44:45], v[68:69] neg_lo:[0,1] neg_hi:[0,1]
	s_wait_dscnt 0x0
	v_pk_mul_f32 v[68:69], v[64:65], v[56:57] op_sel:[0,1]
	s_delay_alu instid0(VALU_DEP_1) | instskip(SKIP_1) | instid1(VALU_DEP_1)
	v_pk_fma_f32 v[70:71], v[64:65], v[54:55], v[68:69] op_sel:[0,0,1] op_sel_hi:[1,1,0] neg_lo:[0,0,1] neg_hi:[0,0,1]
	v_pk_fma_f32 v[64:65], v[64:65], v[54:55], v[68:69] op_sel:[0,0,1] op_sel_hi:[1,0,0]
	v_mov_b32_e32 v71, v65
	v_pk_mul_f32 v[64:65], v[66:67], v[56:57] op_sel:[0,1]
	s_delay_alu instid0(VALU_DEP_1) | instskip(SKIP_1) | instid1(VALU_DEP_1)
	v_pk_fma_f32 v[68:69], v[66:67], v[54:55], v[64:65] op_sel:[0,0,1] op_sel_hi:[1,1,0] neg_lo:[0,0,1] neg_hi:[0,0,1]
	v_pk_fma_f32 v[64:65], v[66:67], v[54:55], v[64:65] op_sel:[0,0,1] op_sel_hi:[1,0,0]
	v_mov_b32_e32 v69, v65
	ds_load_2addr_b64 v[64:67], v58 offset0:11 offset1:12
	v_pk_add_f32 v[40:41], v[40:41], v[70:71] neg_lo:[0,1] neg_hi:[0,1]
	v_pk_add_f32 v[42:43], v[42:43], v[68:69] neg_lo:[0,1] neg_hi:[0,1]
	s_wait_dscnt 0x0
	v_dual_mul_f32 v68, v65, v57 :: v_dual_mul_f32 v70, v65, v54
	s_delay_alu instid0(VALU_DEP_1) | instskip(NEXT) | instid1(VALU_DEP_2)
	v_pk_fma_f32 v[68:69], v[64:65], v[48:49], v[68:69] op_sel_hi:[1,1,0] neg_lo:[0,0,1] neg_hi:[0,0,1]
	v_pk_fma_f32 v[64:65], v[64:65], v[48:49], v[70:71] op_sel:[1,0,0] op_sel_hi:[0,1,0]
	s_delay_alu instid0(VALU_DEP_1) | instskip(SKIP_1) | instid1(VALU_DEP_2)
	v_mov_b32_e32 v69, v65
	v_pk_mul_f32 v[64:65], v[66:67], v[56:57] op_sel:[0,1]
	v_pk_add_f32 v[18:19], v[18:19], v[68:69] neg_lo:[0,1] neg_hi:[0,1]
	s_delay_alu instid0(VALU_DEP_2) | instskip(SKIP_1) | instid1(VALU_DEP_1)
	v_pk_fma_f32 v[68:69], v[66:67], v[54:55], v[64:65] op_sel:[0,0,1] op_sel_hi:[1,1,0] neg_lo:[0,0,1] neg_hi:[0,0,1]
	v_pk_fma_f32 v[64:65], v[66:67], v[54:55], v[64:65] op_sel:[0,0,1] op_sel_hi:[1,0,0]
	v_mov_b32_e32 v69, v65
	ds_load_2addr_b64 v[64:67], v58 offset0:13 offset1:14
	v_pk_add_f32 v[38:39], v[38:39], v[68:69] neg_lo:[0,1] neg_hi:[0,1]
	s_wait_dscnt 0x0
	v_pk_mul_f32 v[68:69], v[64:65], v[56:57] op_sel:[0,1]
	s_delay_alu instid0(VALU_DEP_1) | instskip(SKIP_1) | instid1(VALU_DEP_1)
	v_pk_fma_f32 v[70:71], v[64:65], v[54:55], v[68:69] op_sel:[0,0,1] op_sel_hi:[1,1,0] neg_lo:[0,0,1] neg_hi:[0,0,1]
	v_pk_fma_f32 v[64:65], v[64:65], v[54:55], v[68:69] op_sel:[0,0,1] op_sel_hi:[1,0,0]
	v_mov_b32_e32 v71, v65
	v_pk_mul_f32 v[64:65], v[66:67], v[56:57] op_sel:[0,1]
	s_delay_alu instid0(VALU_DEP_2) | instskip(NEXT) | instid1(VALU_DEP_2)
	v_pk_add_f32 v[34:35], v[34:35], v[70:71] neg_lo:[0,1] neg_hi:[0,1]
	v_pk_fma_f32 v[68:69], v[66:67], v[54:55], v[64:65] op_sel:[0,0,1] op_sel_hi:[1,1,0] neg_lo:[0,0,1] neg_hi:[0,0,1]
	v_pk_fma_f32 v[64:65], v[66:67], v[54:55], v[64:65] op_sel:[0,0,1] op_sel_hi:[1,0,0]
	s_delay_alu instid0(VALU_DEP_1) | instskip(SKIP_4) | instid1(VALU_DEP_1)
	v_mov_b32_e32 v69, v65
	ds_load_2addr_b64 v[64:67], v58 offset0:15 offset1:16
	v_pk_add_f32 v[36:37], v[36:37], v[68:69] neg_lo:[0,1] neg_hi:[0,1]
	s_wait_dscnt 0x0
	v_pk_mul_f32 v[68:69], v[64:65], v[56:57] op_sel:[0,1]
	v_pk_fma_f32 v[70:71], v[64:65], v[54:55], v[68:69] op_sel:[0,0,1] op_sel_hi:[1,1,0] neg_lo:[0,0,1] neg_hi:[0,0,1]
	v_pk_fma_f32 v[64:65], v[64:65], v[54:55], v[68:69] op_sel:[0,0,1] op_sel_hi:[1,0,0]
	v_dual_mul_f32 v68, v67, v57 :: v_dual_mov_b32 v64, v67
	s_delay_alu instid0(VALU_DEP_2) | instskip(NEXT) | instid1(VALU_DEP_2)
	v_dual_mov_b32 v71, v65 :: v_dual_mov_b32 v65, v66
	v_pk_fma_f32 v[68:69], v[66:67], v[48:49], v[68:69] op_sel_hi:[1,1,0] neg_lo:[0,0,1] neg_hi:[0,0,1]
	v_mul_f32_e32 v66, v67, v54
	s_delay_alu instid0(VALU_DEP_3) | instskip(NEXT) | instid1(VALU_DEP_2)
	v_pk_add_f32 v[8:9], v[8:9], v[70:71] neg_lo:[0,1] neg_hi:[0,1]
	v_pk_fma_f32 v[64:65], v[64:65], v[48:49], v[66:67] op_sel_hi:[1,1,0]
	s_delay_alu instid0(VALU_DEP_1) | instskip(SKIP_4) | instid1(VALU_DEP_1)
	v_mov_b32_e32 v69, v65
	ds_load_2addr_b64 v[64:67], v58 offset0:17 offset1:18
	v_pk_add_f32 v[28:29], v[28:29], v[68:69] neg_lo:[0,1] neg_hi:[0,1]
	s_wait_dscnt 0x0
	v_pk_mul_f32 v[68:69], v[64:65], v[56:57] op_sel:[0,1]
	v_pk_fma_f32 v[70:71], v[64:65], v[54:55], v[68:69] op_sel:[0,0,1] op_sel_hi:[1,1,0] neg_lo:[0,0,1] neg_hi:[0,0,1]
	v_pk_fma_f32 v[64:65], v[64:65], v[54:55], v[68:69] op_sel:[0,0,1] op_sel_hi:[1,0,0]
	s_delay_alu instid0(VALU_DEP_1) | instskip(SKIP_1) | instid1(VALU_DEP_1)
	v_mov_b32_e32 v71, v65
	v_pk_mul_f32 v[64:65], v[66:67], v[56:57] op_sel:[0,1]
	v_pk_fma_f32 v[68:69], v[66:67], v[54:55], v[64:65] op_sel:[0,0,1] op_sel_hi:[1,1,0] neg_lo:[0,0,1] neg_hi:[0,0,1]
	v_pk_fma_f32 v[64:65], v[66:67], v[54:55], v[64:65] op_sel:[0,0,1] op_sel_hi:[1,0,0]
	s_delay_alu instid0(VALU_DEP_1)
	v_mov_b32_e32 v69, v65
	ds_load_2addr_b64 v[64:67], v58 offset0:19 offset1:20
	v_pk_add_f32 v[24:25], v[24:25], v[70:71] neg_lo:[0,1] neg_hi:[0,1]
	v_pk_add_f32 v[26:27], v[26:27], v[68:69] neg_lo:[0,1] neg_hi:[0,1]
	s_wait_dscnt 0x0
	v_pk_mul_f32 v[68:69], v[64:65], v[56:57] op_sel:[0,1]
	s_delay_alu instid0(VALU_DEP_1) | instskip(SKIP_1) | instid1(VALU_DEP_1)
	v_pk_fma_f32 v[70:71], v[64:65], v[54:55], v[68:69] op_sel:[0,0,1] op_sel_hi:[1,1,0] neg_lo:[0,0,1] neg_hi:[0,0,1]
	v_pk_fma_f32 v[64:65], v[64:65], v[54:55], v[68:69] op_sel:[0,0,1] op_sel_hi:[1,0,0]
	v_mov_b32_e32 v71, v65
	v_pk_mul_f32 v[64:65], v[66:67], v[56:57] op_sel:[0,1]
	s_delay_alu instid0(VALU_DEP_1) | instskip(SKIP_1) | instid1(VALU_DEP_1)
	v_pk_fma_f32 v[68:69], v[66:67], v[54:55], v[64:65] op_sel:[0,0,1] op_sel_hi:[1,1,0] neg_lo:[0,0,1] neg_hi:[0,0,1]
	v_pk_fma_f32 v[64:65], v[66:67], v[54:55], v[64:65] op_sel:[0,0,1] op_sel_hi:[1,0,0]
	v_mov_b32_e32 v69, v65
	ds_load_2addr_b64 v[64:67], v58 offset0:21 offset1:22
	v_pk_add_f32 v[6:7], v[6:7], v[70:71] neg_lo:[0,1] neg_hi:[0,1]
	v_pk_add_f32 v[22:23], v[22:23], v[68:69] neg_lo:[0,1] neg_hi:[0,1]
	s_wait_dscnt 0x0
	v_dual_mul_f32 v68, v65, v57 :: v_dual_mul_f32 v70, v65, v54
	s_delay_alu instid0(VALU_DEP_1) | instskip(NEXT) | instid1(VALU_DEP_2)
	v_pk_fma_f32 v[68:69], v[64:65], v[48:49], v[68:69] op_sel_hi:[1,1,0] neg_lo:[0,0,1] neg_hi:[0,0,1]
	v_pk_fma_f32 v[64:65], v[64:65], v[48:49], v[70:71] op_sel:[1,0,0] op_sel_hi:[0,1,0]
	s_delay_alu instid0(VALU_DEP_1) | instskip(SKIP_1) | instid1(VALU_DEP_2)
	v_mov_b32_e32 v69, v65
	v_pk_mul_f32 v[64:65], v[66:67], v[56:57] op_sel:[0,1]
	v_pk_add_f32 v[20:21], v[20:21], v[68:69] neg_lo:[0,1] neg_hi:[0,1]
	s_delay_alu instid0(VALU_DEP_2) | instskip(SKIP_1) | instid1(VALU_DEP_1)
	v_pk_fma_f32 v[68:69], v[66:67], v[54:55], v[64:65] op_sel:[0,0,1] op_sel_hi:[1,1,0] neg_lo:[0,0,1] neg_hi:[0,0,1]
	v_pk_fma_f32 v[64:65], v[66:67], v[54:55], v[64:65] op_sel:[0,0,1] op_sel_hi:[1,0,0]
	v_mov_b32_e32 v69, v65
	ds_load_b64 v[64:65], v58 offset:184
	v_pk_add_f32 v[16:17], v[16:17], v[68:69] neg_lo:[0,1] neg_hi:[0,1]
	s_wait_dscnt 0x0
	v_pk_mul_f32 v[56:57], v[64:65], v[56:57] op_sel:[0,1]
	s_delay_alu instid0(VALU_DEP_1) | instskip(SKIP_1) | instid1(VALU_DEP_1)
	v_pk_fma_f32 v[66:67], v[64:65], v[54:55], v[56:57] op_sel:[0,0,1] op_sel_hi:[1,1,0] neg_lo:[0,0,1] neg_hi:[0,0,1]
	v_pk_fma_f32 v[54:55], v[64:65], v[54:55], v[56:57] op_sel:[0,0,1] op_sel_hi:[1,0,0]
	v_mov_b32_e32 v67, v55
	s_delay_alu instid0(VALU_DEP_1)
	v_pk_add_f32 v[52:53], v[52:53], v[66:67] neg_lo:[0,1] neg_hi:[0,1]
.LBB46_62:
	s_or_b32 exec_lo, exec_lo, s0
	v_lshl_add_u32 v54, v62, 3, v58
	s_barrier_signal -1
	s_barrier_wait -1
	ds_store_b64 v54, v[32:33]
	s_wait_dscnt 0x0
	s_barrier_signal -1
	s_barrier_wait -1
	ds_load_b64 v[56:57], v58 offset:24
	v_mov_b32_e32 v54, 3
	s_cmp_lt_i32 s14, 5
	s_cbranch_scc1 .LBB46_65
; %bb.63:
	v_mov_b32_e32 v54, 3
	v_add3_u32 v55, v59, 0, 32
	s_mov_b32 s0, 4
.LBB46_64:                              ; =>This Inner Loop Header: Depth=1
	ds_load_b64 v[64:65], v55
	s_wait_dscnt 0x1
	v_cmp_gt_f32_e32 vcc_lo, 0, v56
	v_cndmask_b32_e64 v66, v56, -v56, vcc_lo
	v_cmp_gt_f32_e32 vcc_lo, 0, v57
	v_cndmask_b32_e64 v68, v57, -v57, vcc_lo
	s_wait_dscnt 0x0
	v_cmp_gt_f32_e32 vcc_lo, 0, v64
	v_cndmask_b32_e64 v67, v64, -v64, vcc_lo
	v_cmp_gt_f32_e32 vcc_lo, 0, v65
	v_cndmask_b32_e64 v69, v65, -v65, vcc_lo
	s_delay_alu instid0(VALU_DEP_1) | instskip(NEXT) | instid1(VALU_DEP_1)
	v_pk_add_f32 v[66:67], v[66:67], v[68:69]
	v_cmp_lt_f32_e32 vcc_lo, v66, v67
	v_dual_add_nc_u32 v55, 8, v55 :: v_dual_cndmask_b32 v57, v57, v65, vcc_lo
	v_cndmask_b32_e32 v56, v56, v64, vcc_lo
	v_cndmask_b32_e64 v54, v54, s0, vcc_lo
	s_add_co_i32 s0, s0, 1
	s_delay_alu instid0(SALU_CYCLE_1)
	s_cmp_lg_u32 s14, s0
	s_cbranch_scc1 .LBB46_64
.LBB46_65:
	s_wait_dscnt 0x0
	v_cmp_eq_f32_e32 vcc_lo, 0, v56
	v_cmp_eq_f32_e64 s0, 0, v57
	s_and_b32 s0, vcc_lo, s0
	s_delay_alu instid0(SALU_CYCLE_1) | instskip(NEXT) | instid1(SALU_CYCLE_1)
	s_and_saveexec_b32 s1, s0
	s_xor_b32 s0, exec_lo, s1
; %bb.66:
	v_cmp_ne_u32_e32 vcc_lo, 0, v60
	v_cndmask_b32_e32 v60, 4, v60, vcc_lo
; %bb.67:
	s_and_not1_saveexec_b32 s0, s0
	s_cbranch_execz .LBB46_73
; %bb.68:
	v_cmp_ngt_f32_e64 s1, |v56|, |v57|
	s_and_saveexec_b32 s15, s1
	s_delay_alu instid0(SALU_CYCLE_1)
	s_xor_b32 s1, exec_lo, s15
	s_cbranch_execz .LBB46_70
; %bb.69:
	v_div_scale_f32 v55, null, v57, v57, v56
	v_div_scale_f32 v65, vcc_lo, v56, v57, v56
	s_delay_alu instid0(VALU_DEP_2) | instskip(SKIP_1) | instid1(TRANS32_DEP_1)
	v_rcp_f32_e32 v63, v55
	v_nop
	v_fma_f32 v64, -v55, v63, 1.0
	s_delay_alu instid0(VALU_DEP_1) | instskip(NEXT) | instid1(VALU_DEP_1)
	v_fmac_f32_e32 v63, v64, v63
	v_mul_f32_e32 v64, v65, v63
	s_delay_alu instid0(VALU_DEP_1) | instskip(NEXT) | instid1(VALU_DEP_1)
	v_fma_f32 v66, -v55, v64, v65
	v_fmac_f32_e32 v64, v66, v63
	s_delay_alu instid0(VALU_DEP_1) | instskip(NEXT) | instid1(VALU_DEP_1)
	v_fma_f32 v55, -v55, v64, v65
	v_div_fmas_f32 v55, v55, v63, v64
	s_delay_alu instid0(VALU_DEP_1) | instskip(NEXT) | instid1(VALU_DEP_1)
	v_div_fixup_f32 v55, v55, v57, v56
	v_fmac_f32_e32 v57, v56, v55
	s_delay_alu instid0(VALU_DEP_1) | instskip(SKIP_1) | instid1(VALU_DEP_2)
	v_div_scale_f32 v56, null, v57, v57, 1.0
	v_div_scale_f32 v65, vcc_lo, 1.0, v57, 1.0
	v_rcp_f32_e32 v63, v56
	v_nop
	s_delay_alu instid0(TRANS32_DEP_1) | instskip(NEXT) | instid1(VALU_DEP_1)
	v_fma_f32 v64, -v56, v63, 1.0
	v_fmac_f32_e32 v63, v64, v63
	s_delay_alu instid0(VALU_DEP_1) | instskip(NEXT) | instid1(VALU_DEP_1)
	v_mul_f32_e32 v64, v65, v63
	v_fma_f32 v66, -v56, v64, v65
	s_delay_alu instid0(VALU_DEP_1) | instskip(NEXT) | instid1(VALU_DEP_1)
	v_fmac_f32_e32 v64, v66, v63
	v_fma_f32 v56, -v56, v64, v65
	s_delay_alu instid0(VALU_DEP_1) | instskip(NEXT) | instid1(VALU_DEP_1)
	v_div_fmas_f32 v56, v56, v63, v64
	v_div_fixup_f32 v57, v56, v57, 1.0
	s_delay_alu instid0(VALU_DEP_1)
	v_mul_f32_e32 v56, v55, v57
	v_xor_b32_e32 v57, 0x80000000, v57
.LBB46_70:
	s_and_not1_saveexec_b32 s1, s1
	s_cbranch_execz .LBB46_72
; %bb.71:
	s_delay_alu instid0(VALU_DEP_1) | instskip(SKIP_1) | instid1(VALU_DEP_2)
	v_div_scale_f32 v55, null, v56, v56, v57
	v_div_scale_f32 v65, vcc_lo, v57, v56, v57
	v_rcp_f32_e32 v63, v55
	v_nop
	s_delay_alu instid0(TRANS32_DEP_1) | instskip(NEXT) | instid1(VALU_DEP_1)
	v_fma_f32 v64, -v55, v63, 1.0
	v_fmac_f32_e32 v63, v64, v63
	s_delay_alu instid0(VALU_DEP_1) | instskip(NEXT) | instid1(VALU_DEP_1)
	v_mul_f32_e32 v64, v65, v63
	v_fma_f32 v66, -v55, v64, v65
	s_delay_alu instid0(VALU_DEP_1) | instskip(NEXT) | instid1(VALU_DEP_1)
	v_fmac_f32_e32 v64, v66, v63
	v_fma_f32 v55, -v55, v64, v65
	s_delay_alu instid0(VALU_DEP_1) | instskip(NEXT) | instid1(VALU_DEP_1)
	v_div_fmas_f32 v55, v55, v63, v64
	v_div_fixup_f32 v55, v55, v56, v57
	s_delay_alu instid0(VALU_DEP_1) | instskip(NEXT) | instid1(VALU_DEP_1)
	v_fmac_f32_e32 v56, v57, v55
	v_div_scale_f32 v57, null, v56, v56, 1.0
	s_delay_alu instid0(VALU_DEP_1) | instskip(SKIP_1) | instid1(TRANS32_DEP_1)
	v_rcp_f32_e32 v63, v57
	v_nop
	v_fma_f32 v64, -v57, v63, 1.0
	s_delay_alu instid0(VALU_DEP_1) | instskip(SKIP_1) | instid1(VALU_DEP_1)
	v_fmac_f32_e32 v63, v64, v63
	v_div_scale_f32 v64, vcc_lo, 1.0, v56, 1.0
	v_mul_f32_e32 v65, v64, v63
	s_delay_alu instid0(VALU_DEP_1) | instskip(NEXT) | instid1(VALU_DEP_1)
	v_fma_f32 v66, -v57, v65, v64
	v_fmac_f32_e32 v65, v66, v63
	s_delay_alu instid0(VALU_DEP_1) | instskip(NEXT) | instid1(VALU_DEP_1)
	v_fma_f32 v57, -v57, v65, v64
	v_div_fmas_f32 v57, v57, v63, v65
	s_delay_alu instid0(VALU_DEP_1) | instskip(NEXT) | instid1(VALU_DEP_1)
	v_div_fixup_f32 v56, v57, v56, 1.0
	v_mul_f32_e64 v57, v55, -v56
.LBB46_72:
	s_or_b32 exec_lo, exec_lo, s1
.LBB46_73:
	s_delay_alu instid0(SALU_CYCLE_1) | instskip(NEXT) | instid1(SALU_CYCLE_1)
	s_or_b32 exec_lo, exec_lo, s0
	s_mov_b32 s0, exec_lo
	v_cmpx_ne_u32_e64 v62, v54
	s_xor_b32 s0, exec_lo, s0
	s_cbranch_execz .LBB46_79
; %bb.74:
	s_mov_b32 s1, exec_lo
	v_cmpx_eq_u32_e32 3, v62
	s_cbranch_execz .LBB46_78
; %bb.75:
	v_cmp_ne_u32_e32 vcc_lo, 3, v54
	s_xor_b32 s15, s12, -1
	s_delay_alu instid0(SALU_CYCLE_1) | instskip(NEXT) | instid1(SALU_CYCLE_1)
	s_and_b32 s16, s15, vcc_lo
	s_and_saveexec_b32 s15, s16
	s_cbranch_execz .LBB46_77
; %bb.76:
	v_ashrrev_i32_e32 v55, 31, v54
	s_delay_alu instid0(VALU_DEP_1)
	v_lshl_add_u64 v[62:63], v[54:55], 2, v[30:31]
	s_clause 0x1
	global_load_b32 v55, v[62:63], off
	global_load_b32 v61, v[30:31], off offset:12
	s_wait_loadcnt 0x1
	global_store_b32 v[30:31], v55, off offset:12
	s_wait_loadcnt 0x0
	global_store_b32 v[62:63], v61, off
.LBB46_77:
	s_wait_xcnt 0x0
	s_or_b32 exec_lo, exec_lo, s15
	v_dual_mov_b32 v62, v54 :: v_dual_mov_b32 v61, v54
.LBB46_78:
	s_or_b32 exec_lo, exec_lo, s1
.LBB46_79:
	s_and_not1_saveexec_b32 s0, s0
	s_cbranch_execz .LBB46_81
; %bb.80:
	v_dual_mov_b32 v54, v14 :: v_dual_mov_b32 v55, v15
	v_dual_mov_b32 v62, v10 :: v_dual_mov_b32 v63, v11
	ds_store_2addr_b64 v58, v[54:55], v[62:63] offset0:4 offset1:5
	v_dual_mov_b32 v54, v12 :: v_dual_mov_b32 v55, v13
	v_dual_mov_b32 v62, v4 :: v_dual_mov_b32 v63, v5
	ds_store_2addr_b64 v58, v[54:55], v[62:63] offset0:6 offset1:7
	;; [unrolled: 3-line block ×9, first 2 shown]
	v_dual_mov_b32 v54, v16 :: v_dual_mov_b32 v55, v17
	v_mov_b32_e32 v62, 3
	ds_store_2addr_b64 v58, v[54:55], v[52:53] offset0:22 offset1:23
.LBB46_81:
	s_or_b32 exec_lo, exec_lo, s0
	s_delay_alu instid0(SALU_CYCLE_1)
	s_mov_b32 s0, exec_lo
	s_wait_storecnt_dscnt 0x0
	s_barrier_signal -1
	s_barrier_wait -1
	v_cmpx_lt_i32_e32 3, v62
	s_cbranch_execz .LBB46_83
; %bb.82:
	v_pk_mul_f32 v[64:65], v[56:57], v[32:33] op_sel:[1,1] op_sel_hi:[0,1]
	s_delay_alu instid0(VALU_DEP_1)
	v_pk_fma_f32 v[54:55], v[56:57], v[32:33], v[64:65] op_sel_hi:[1,0,1] neg_lo:[0,0,1] neg_hi:[0,0,1]
	v_pk_fma_f32 v[56:57], v[56:57], v[32:33], v[64:65] op_sel_hi:[1,0,1]
	ds_load_2addr_b64 v[64:67], v58 offset0:4 offset1:5
	v_dual_mov_b32 v32, v54 :: v_dual_mov_b32 v33, v57
	s_wait_dscnt 0x0
	v_pk_mul_f32 v[68:69], v[64:65], v[56:57] op_sel:[0,1]
	s_delay_alu instid0(VALU_DEP_1) | instskip(SKIP_1) | instid1(VALU_DEP_1)
	v_pk_fma_f32 v[70:71], v[64:65], v[54:55], v[68:69] op_sel:[0,0,1] op_sel_hi:[1,1,0] neg_lo:[0,0,1] neg_hi:[0,0,1]
	v_pk_fma_f32 v[64:65], v[64:65], v[54:55], v[68:69] op_sel:[0,0,1] op_sel_hi:[1,0,0]
	v_mov_b32_e32 v71, v65
	v_pk_mul_f32 v[64:65], v[66:67], v[56:57] op_sel:[0,1]
	s_delay_alu instid0(VALU_DEP_1) | instskip(SKIP_1) | instid1(VALU_DEP_1)
	v_pk_fma_f32 v[68:69], v[66:67], v[54:55], v[64:65] op_sel:[0,0,1] op_sel_hi:[1,1,0] neg_lo:[0,0,1] neg_hi:[0,0,1]
	v_pk_fma_f32 v[64:65], v[66:67], v[54:55], v[64:65] op_sel:[0,0,1] op_sel_hi:[1,0,0]
	v_mov_b32_e32 v69, v65
	ds_load_2addr_b64 v[64:67], v58 offset0:6 offset1:7
	v_pk_add_f32 v[14:15], v[14:15], v[70:71] neg_lo:[0,1] neg_hi:[0,1]
	v_pk_add_f32 v[10:11], v[10:11], v[68:69] neg_lo:[0,1] neg_hi:[0,1]
	s_wait_dscnt 0x0
	v_pk_mul_f32 v[68:69], v[64:65], v[56:57] op_sel:[0,1]
	s_delay_alu instid0(VALU_DEP_1) | instskip(SKIP_2) | instid1(VALU_DEP_2)
	v_pk_fma_f32 v[70:71], v[64:65], v[54:55], v[68:69] op_sel:[0,0,1] op_sel_hi:[1,1,0] neg_lo:[0,0,1] neg_hi:[0,0,1]
	v_pk_fma_f32 v[64:65], v[64:65], v[54:55], v[68:69] op_sel:[0,0,1] op_sel_hi:[1,0,0]
	v_dual_mul_f32 v68, v67, v57 :: v_dual_mov_b32 v64, v67
	v_dual_mov_b32 v71, v65 :: v_dual_mov_b32 v65, v66
	s_delay_alu instid0(VALU_DEP_2) | instskip(SKIP_1) | instid1(VALU_DEP_3)
	v_pk_fma_f32 v[68:69], v[66:67], v[32:33], v[68:69] op_sel_hi:[1,1,0] neg_lo:[0,0,1] neg_hi:[0,0,1]
	v_mul_f32_e32 v66, v67, v54
	v_pk_add_f32 v[12:13], v[12:13], v[70:71] neg_lo:[0,1] neg_hi:[0,1]
	s_delay_alu instid0(VALU_DEP_2) | instskip(NEXT) | instid1(VALU_DEP_1)
	v_pk_fma_f32 v[64:65], v[64:65], v[32:33], v[66:67] op_sel_hi:[1,1,0]
	v_mov_b32_e32 v69, v65
	ds_load_2addr_b64 v[64:67], v58 offset0:8 offset1:9
	v_pk_add_f32 v[4:5], v[4:5], v[68:69] neg_lo:[0,1] neg_hi:[0,1]
	s_wait_dscnt 0x0
	v_pk_mul_f32 v[68:69], v[64:65], v[56:57] op_sel:[0,1]
	s_delay_alu instid0(VALU_DEP_1) | instskip(SKIP_1) | instid1(VALU_DEP_1)
	v_pk_fma_f32 v[70:71], v[64:65], v[54:55], v[68:69] op_sel:[0,0,1] op_sel_hi:[1,1,0] neg_lo:[0,0,1] neg_hi:[0,0,1]
	v_pk_fma_f32 v[64:65], v[64:65], v[54:55], v[68:69] op_sel:[0,0,1] op_sel_hi:[1,0,0]
	v_mov_b32_e32 v71, v65
	v_pk_mul_f32 v[64:65], v[66:67], v[56:57] op_sel:[0,1]
	s_delay_alu instid0(VALU_DEP_1) | instskip(SKIP_1) | instid1(VALU_DEP_1)
	v_pk_fma_f32 v[68:69], v[66:67], v[54:55], v[64:65] op_sel:[0,0,1] op_sel_hi:[1,1,0] neg_lo:[0,0,1] neg_hi:[0,0,1]
	v_pk_fma_f32 v[64:65], v[66:67], v[54:55], v[64:65] op_sel:[0,0,1] op_sel_hi:[1,0,0]
	v_mov_b32_e32 v69, v65
	ds_load_2addr_b64 v[64:67], v58 offset0:10 offset1:11
	v_pk_add_f32 v[44:45], v[44:45], v[70:71] neg_lo:[0,1] neg_hi:[0,1]
	v_pk_add_f32 v[40:41], v[40:41], v[68:69] neg_lo:[0,1] neg_hi:[0,1]
	s_wait_dscnt 0x0
	v_pk_mul_f32 v[68:69], v[64:65], v[56:57] op_sel:[0,1]
	s_delay_alu instid0(VALU_DEP_1) | instskip(SKIP_1) | instid1(VALU_DEP_1)
	v_pk_fma_f32 v[70:71], v[64:65], v[54:55], v[68:69] op_sel:[0,0,1] op_sel_hi:[1,1,0] neg_lo:[0,0,1] neg_hi:[0,0,1]
	v_pk_fma_f32 v[64:65], v[64:65], v[54:55], v[68:69] op_sel:[0,0,1] op_sel_hi:[1,0,0]
	v_mov_b32_e32 v71, v65
	v_pk_mul_f32 v[64:65], v[66:67], v[56:57] op_sel:[0,1]
	s_delay_alu instid0(VALU_DEP_1) | instskip(SKIP_1) | instid1(VALU_DEP_1)
	v_pk_fma_f32 v[68:69], v[66:67], v[54:55], v[64:65] op_sel:[0,0,1] op_sel_hi:[1,1,0] neg_lo:[0,0,1] neg_hi:[0,0,1]
	v_pk_fma_f32 v[64:65], v[66:67], v[54:55], v[64:65] op_sel:[0,0,1] op_sel_hi:[1,0,0]
	v_mov_b32_e32 v69, v65
	ds_load_2addr_b64 v[64:67], v58 offset0:12 offset1:13
	v_pk_add_f32 v[42:43], v[42:43], v[70:71] neg_lo:[0,1] neg_hi:[0,1]
	v_pk_add_f32 v[18:19], v[18:19], v[68:69] neg_lo:[0,1] neg_hi:[0,1]
	s_wait_dscnt 0x0
	v_dual_mul_f32 v68, v65, v57 :: v_dual_mul_f32 v70, v65, v54
	s_delay_alu instid0(VALU_DEP_1) | instskip(NEXT) | instid1(VALU_DEP_2)
	v_pk_fma_f32 v[68:69], v[64:65], v[32:33], v[68:69] op_sel_hi:[1,1,0] neg_lo:[0,0,1] neg_hi:[0,0,1]
	v_pk_fma_f32 v[64:65], v[64:65], v[32:33], v[70:71] op_sel:[1,0,0] op_sel_hi:[0,1,0]
	s_delay_alu instid0(VALU_DEP_1) | instskip(SKIP_1) | instid1(VALU_DEP_2)
	v_mov_b32_e32 v69, v65
	v_pk_mul_f32 v[64:65], v[66:67], v[56:57] op_sel:[0,1]
	v_pk_add_f32 v[38:39], v[38:39], v[68:69] neg_lo:[0,1] neg_hi:[0,1]
	s_delay_alu instid0(VALU_DEP_2) | instskip(SKIP_1) | instid1(VALU_DEP_1)
	v_pk_fma_f32 v[68:69], v[66:67], v[54:55], v[64:65] op_sel:[0,0,1] op_sel_hi:[1,1,0] neg_lo:[0,0,1] neg_hi:[0,0,1]
	v_pk_fma_f32 v[64:65], v[66:67], v[54:55], v[64:65] op_sel:[0,0,1] op_sel_hi:[1,0,0]
	v_mov_b32_e32 v69, v65
	ds_load_2addr_b64 v[64:67], v58 offset0:14 offset1:15
	v_pk_add_f32 v[34:35], v[34:35], v[68:69] neg_lo:[0,1] neg_hi:[0,1]
	s_wait_dscnt 0x0
	v_pk_mul_f32 v[68:69], v[64:65], v[56:57] op_sel:[0,1]
	s_delay_alu instid0(VALU_DEP_1) | instskip(SKIP_1) | instid1(VALU_DEP_1)
	v_pk_fma_f32 v[70:71], v[64:65], v[54:55], v[68:69] op_sel:[0,0,1] op_sel_hi:[1,1,0] neg_lo:[0,0,1] neg_hi:[0,0,1]
	v_pk_fma_f32 v[64:65], v[64:65], v[54:55], v[68:69] op_sel:[0,0,1] op_sel_hi:[1,0,0]
	v_mov_b32_e32 v71, v65
	v_pk_mul_f32 v[64:65], v[66:67], v[56:57] op_sel:[0,1]
	s_delay_alu instid0(VALU_DEP_2) | instskip(NEXT) | instid1(VALU_DEP_2)
	v_pk_add_f32 v[36:37], v[36:37], v[70:71] neg_lo:[0,1] neg_hi:[0,1]
	v_pk_fma_f32 v[68:69], v[66:67], v[54:55], v[64:65] op_sel:[0,0,1] op_sel_hi:[1,1,0] neg_lo:[0,0,1] neg_hi:[0,0,1]
	v_pk_fma_f32 v[64:65], v[66:67], v[54:55], v[64:65] op_sel:[0,0,1] op_sel_hi:[1,0,0]
	s_delay_alu instid0(VALU_DEP_1) | instskip(SKIP_4) | instid1(VALU_DEP_1)
	v_mov_b32_e32 v69, v65
	ds_load_2addr_b64 v[64:67], v58 offset0:16 offset1:17
	v_pk_add_f32 v[8:9], v[8:9], v[68:69] neg_lo:[0,1] neg_hi:[0,1]
	s_wait_dscnt 0x0
	v_pk_mul_f32 v[68:69], v[64:65], v[56:57] op_sel:[0,1]
	v_pk_fma_f32 v[70:71], v[64:65], v[54:55], v[68:69] op_sel:[0,0,1] op_sel_hi:[1,1,0] neg_lo:[0,0,1] neg_hi:[0,0,1]
	v_pk_fma_f32 v[64:65], v[64:65], v[54:55], v[68:69] op_sel:[0,0,1] op_sel_hi:[1,0,0]
	v_dual_mul_f32 v68, v67, v57 :: v_dual_mov_b32 v64, v67
	s_delay_alu instid0(VALU_DEP_2) | instskip(NEXT) | instid1(VALU_DEP_2)
	v_dual_mov_b32 v71, v65 :: v_dual_mov_b32 v65, v66
	v_pk_fma_f32 v[68:69], v[66:67], v[32:33], v[68:69] op_sel_hi:[1,1,0] neg_lo:[0,0,1] neg_hi:[0,0,1]
	v_mul_f32_e32 v66, v67, v54
	s_delay_alu instid0(VALU_DEP_3) | instskip(NEXT) | instid1(VALU_DEP_2)
	v_pk_add_f32 v[28:29], v[28:29], v[70:71] neg_lo:[0,1] neg_hi:[0,1]
	v_pk_fma_f32 v[64:65], v[64:65], v[32:33], v[66:67] op_sel_hi:[1,1,0]
	s_delay_alu instid0(VALU_DEP_1) | instskip(SKIP_4) | instid1(VALU_DEP_1)
	v_mov_b32_e32 v69, v65
	ds_load_2addr_b64 v[64:67], v58 offset0:18 offset1:19
	v_pk_add_f32 v[24:25], v[24:25], v[68:69] neg_lo:[0,1] neg_hi:[0,1]
	s_wait_dscnt 0x0
	v_pk_mul_f32 v[68:69], v[64:65], v[56:57] op_sel:[0,1]
	v_pk_fma_f32 v[70:71], v[64:65], v[54:55], v[68:69] op_sel:[0,0,1] op_sel_hi:[1,1,0] neg_lo:[0,0,1] neg_hi:[0,0,1]
	v_pk_fma_f32 v[64:65], v[64:65], v[54:55], v[68:69] op_sel:[0,0,1] op_sel_hi:[1,0,0]
	s_delay_alu instid0(VALU_DEP_1) | instskip(SKIP_1) | instid1(VALU_DEP_1)
	v_mov_b32_e32 v71, v65
	v_pk_mul_f32 v[64:65], v[66:67], v[56:57] op_sel:[0,1]
	v_pk_fma_f32 v[68:69], v[66:67], v[54:55], v[64:65] op_sel:[0,0,1] op_sel_hi:[1,1,0] neg_lo:[0,0,1] neg_hi:[0,0,1]
	v_pk_fma_f32 v[64:65], v[66:67], v[54:55], v[64:65] op_sel:[0,0,1] op_sel_hi:[1,0,0]
	s_delay_alu instid0(VALU_DEP_1)
	v_mov_b32_e32 v69, v65
	ds_load_2addr_b64 v[64:67], v58 offset0:20 offset1:21
	v_pk_add_f32 v[26:27], v[26:27], v[70:71] neg_lo:[0,1] neg_hi:[0,1]
	v_pk_add_f32 v[6:7], v[6:7], v[68:69] neg_lo:[0,1] neg_hi:[0,1]
	s_wait_dscnt 0x0
	v_pk_mul_f32 v[68:69], v[64:65], v[56:57] op_sel:[0,1]
	s_delay_alu instid0(VALU_DEP_1) | instskip(SKIP_1) | instid1(VALU_DEP_1)
	v_pk_fma_f32 v[70:71], v[64:65], v[54:55], v[68:69] op_sel:[0,0,1] op_sel_hi:[1,1,0] neg_lo:[0,0,1] neg_hi:[0,0,1]
	v_pk_fma_f32 v[64:65], v[64:65], v[54:55], v[68:69] op_sel:[0,0,1] op_sel_hi:[1,0,0]
	v_mov_b32_e32 v71, v65
	v_pk_mul_f32 v[64:65], v[66:67], v[56:57] op_sel:[0,1]
	s_delay_alu instid0(VALU_DEP_1) | instskip(SKIP_1) | instid1(VALU_DEP_1)
	v_pk_fma_f32 v[68:69], v[66:67], v[54:55], v[64:65] op_sel:[0,0,1] op_sel_hi:[1,1,0] neg_lo:[0,0,1] neg_hi:[0,0,1]
	v_pk_fma_f32 v[64:65], v[66:67], v[54:55], v[64:65] op_sel:[0,0,1] op_sel_hi:[1,0,0]
	v_mov_b32_e32 v69, v65
	ds_load_2addr_b64 v[64:67], v58 offset0:22 offset1:23
	v_pk_add_f32 v[22:23], v[22:23], v[70:71] neg_lo:[0,1] neg_hi:[0,1]
	v_pk_add_f32 v[20:21], v[20:21], v[68:69] neg_lo:[0,1] neg_hi:[0,1]
	s_wait_dscnt 0x0
	v_dual_mul_f32 v68, v65, v57 :: v_dual_mul_f32 v70, v65, v54
	v_pk_mul_f32 v[56:57], v[66:67], v[56:57] op_sel:[0,1]
	s_delay_alu instid0(VALU_DEP_2) | instskip(NEXT) | instid1(VALU_DEP_3)
	v_pk_fma_f32 v[68:69], v[64:65], v[32:33], v[68:69] op_sel_hi:[1,1,0] neg_lo:[0,0,1] neg_hi:[0,0,1]
	v_pk_fma_f32 v[64:65], v[64:65], v[32:33], v[70:71] op_sel:[1,0,0] op_sel_hi:[0,1,0]
	s_delay_alu instid0(VALU_DEP_1) | instskip(NEXT) | instid1(VALU_DEP_4)
	v_mov_b32_e32 v69, v65
	v_pk_fma_f32 v[64:65], v[66:67], v[54:55], v[56:57] op_sel:[0,0,1] op_sel_hi:[1,1,0] neg_lo:[0,0,1] neg_hi:[0,0,1]
	v_pk_fma_f32 v[54:55], v[66:67], v[54:55], v[56:57] op_sel:[0,0,1] op_sel_hi:[1,0,0]
	s_delay_alu instid0(VALU_DEP_1) | instskip(NEXT) | instid1(VALU_DEP_4)
	v_mov_b32_e32 v65, v55
	v_pk_add_f32 v[16:17], v[16:17], v[68:69] neg_lo:[0,1] neg_hi:[0,1]
	s_delay_alu instid0(VALU_DEP_2)
	v_pk_add_f32 v[52:53], v[52:53], v[64:65] neg_lo:[0,1] neg_hi:[0,1]
.LBB46_83:
	s_or_b32 exec_lo, exec_lo, s0
	v_lshl_add_u32 v54, v62, 3, v58
	s_barrier_signal -1
	s_barrier_wait -1
	ds_store_b64 v54, v[14:15]
	s_wait_dscnt 0x0
	s_barrier_signal -1
	s_barrier_wait -1
	ds_load_b64 v[56:57], v58 offset:32
	v_mov_b32_e32 v54, 4
	s_cmp_lt_i32 s14, 6
	s_cbranch_scc1 .LBB46_86
; %bb.84:
	v_add3_u32 v55, v59, 0, 40
	v_mov_b32_e32 v54, 4
	s_mov_b32 s0, 5
.LBB46_85:                              ; =>This Inner Loop Header: Depth=1
	ds_load_b64 v[64:65], v55
	s_wait_dscnt 0x1
	v_cmp_gt_f32_e32 vcc_lo, 0, v56
	v_cndmask_b32_e64 v66, v56, -v56, vcc_lo
	v_cmp_gt_f32_e32 vcc_lo, 0, v57
	v_cndmask_b32_e64 v68, v57, -v57, vcc_lo
	s_wait_dscnt 0x0
	v_cmp_gt_f32_e32 vcc_lo, 0, v64
	v_cndmask_b32_e64 v67, v64, -v64, vcc_lo
	v_cmp_gt_f32_e32 vcc_lo, 0, v65
	v_cndmask_b32_e64 v69, v65, -v65, vcc_lo
	s_delay_alu instid0(VALU_DEP_1) | instskip(NEXT) | instid1(VALU_DEP_1)
	v_pk_add_f32 v[66:67], v[66:67], v[68:69]
	v_cmp_lt_f32_e32 vcc_lo, v66, v67
	v_dual_add_nc_u32 v55, 8, v55 :: v_dual_cndmask_b32 v57, v57, v65, vcc_lo
	v_cndmask_b32_e32 v56, v56, v64, vcc_lo
	v_cndmask_b32_e64 v54, v54, s0, vcc_lo
	s_add_co_i32 s0, s0, 1
	s_delay_alu instid0(SALU_CYCLE_1)
	s_cmp_lg_u32 s14, s0
	s_cbranch_scc1 .LBB46_85
.LBB46_86:
	s_wait_dscnt 0x0
	v_cmp_eq_f32_e32 vcc_lo, 0, v56
	v_cmp_eq_f32_e64 s0, 0, v57
	s_and_b32 s0, vcc_lo, s0
	s_delay_alu instid0(SALU_CYCLE_1) | instskip(NEXT) | instid1(SALU_CYCLE_1)
	s_and_saveexec_b32 s1, s0
	s_xor_b32 s0, exec_lo, s1
; %bb.87:
	v_cmp_ne_u32_e32 vcc_lo, 0, v60
	v_cndmask_b32_e32 v60, 5, v60, vcc_lo
; %bb.88:
	s_and_not1_saveexec_b32 s0, s0
	s_cbranch_execz .LBB46_94
; %bb.89:
	v_cmp_ngt_f32_e64 s1, |v56|, |v57|
	s_and_saveexec_b32 s15, s1
	s_delay_alu instid0(SALU_CYCLE_1)
	s_xor_b32 s1, exec_lo, s15
	s_cbranch_execz .LBB46_91
; %bb.90:
	v_div_scale_f32 v55, null, v57, v57, v56
	v_div_scale_f32 v65, vcc_lo, v56, v57, v56
	s_delay_alu instid0(VALU_DEP_2) | instskip(SKIP_1) | instid1(TRANS32_DEP_1)
	v_rcp_f32_e32 v63, v55
	v_nop
	v_fma_f32 v64, -v55, v63, 1.0
	s_delay_alu instid0(VALU_DEP_1) | instskip(NEXT) | instid1(VALU_DEP_1)
	v_fmac_f32_e32 v63, v64, v63
	v_mul_f32_e32 v64, v65, v63
	s_delay_alu instid0(VALU_DEP_1) | instskip(NEXT) | instid1(VALU_DEP_1)
	v_fma_f32 v66, -v55, v64, v65
	v_fmac_f32_e32 v64, v66, v63
	s_delay_alu instid0(VALU_DEP_1) | instskip(NEXT) | instid1(VALU_DEP_1)
	v_fma_f32 v55, -v55, v64, v65
	v_div_fmas_f32 v55, v55, v63, v64
	s_delay_alu instid0(VALU_DEP_1) | instskip(NEXT) | instid1(VALU_DEP_1)
	v_div_fixup_f32 v55, v55, v57, v56
	v_fmac_f32_e32 v57, v56, v55
	s_delay_alu instid0(VALU_DEP_1) | instskip(SKIP_1) | instid1(VALU_DEP_2)
	v_div_scale_f32 v56, null, v57, v57, 1.0
	v_div_scale_f32 v65, vcc_lo, 1.0, v57, 1.0
	v_rcp_f32_e32 v63, v56
	v_nop
	s_delay_alu instid0(TRANS32_DEP_1) | instskip(NEXT) | instid1(VALU_DEP_1)
	v_fma_f32 v64, -v56, v63, 1.0
	v_fmac_f32_e32 v63, v64, v63
	s_delay_alu instid0(VALU_DEP_1) | instskip(NEXT) | instid1(VALU_DEP_1)
	v_mul_f32_e32 v64, v65, v63
	v_fma_f32 v66, -v56, v64, v65
	s_delay_alu instid0(VALU_DEP_1) | instskip(NEXT) | instid1(VALU_DEP_1)
	v_fmac_f32_e32 v64, v66, v63
	v_fma_f32 v56, -v56, v64, v65
	s_delay_alu instid0(VALU_DEP_1) | instskip(NEXT) | instid1(VALU_DEP_1)
	v_div_fmas_f32 v56, v56, v63, v64
	v_div_fixup_f32 v57, v56, v57, 1.0
	s_delay_alu instid0(VALU_DEP_1)
	v_mul_f32_e32 v56, v55, v57
	v_xor_b32_e32 v57, 0x80000000, v57
.LBB46_91:
	s_and_not1_saveexec_b32 s1, s1
	s_cbranch_execz .LBB46_93
; %bb.92:
	s_delay_alu instid0(VALU_DEP_1) | instskip(SKIP_1) | instid1(VALU_DEP_2)
	v_div_scale_f32 v55, null, v56, v56, v57
	v_div_scale_f32 v65, vcc_lo, v57, v56, v57
	v_rcp_f32_e32 v63, v55
	v_nop
	s_delay_alu instid0(TRANS32_DEP_1) | instskip(NEXT) | instid1(VALU_DEP_1)
	v_fma_f32 v64, -v55, v63, 1.0
	v_fmac_f32_e32 v63, v64, v63
	s_delay_alu instid0(VALU_DEP_1) | instskip(NEXT) | instid1(VALU_DEP_1)
	v_mul_f32_e32 v64, v65, v63
	v_fma_f32 v66, -v55, v64, v65
	s_delay_alu instid0(VALU_DEP_1) | instskip(NEXT) | instid1(VALU_DEP_1)
	v_fmac_f32_e32 v64, v66, v63
	v_fma_f32 v55, -v55, v64, v65
	s_delay_alu instid0(VALU_DEP_1) | instskip(NEXT) | instid1(VALU_DEP_1)
	v_div_fmas_f32 v55, v55, v63, v64
	v_div_fixup_f32 v55, v55, v56, v57
	s_delay_alu instid0(VALU_DEP_1) | instskip(NEXT) | instid1(VALU_DEP_1)
	v_fmac_f32_e32 v56, v57, v55
	v_div_scale_f32 v57, null, v56, v56, 1.0
	s_delay_alu instid0(VALU_DEP_1) | instskip(SKIP_1) | instid1(TRANS32_DEP_1)
	v_rcp_f32_e32 v63, v57
	v_nop
	v_fma_f32 v64, -v57, v63, 1.0
	s_delay_alu instid0(VALU_DEP_1) | instskip(SKIP_1) | instid1(VALU_DEP_1)
	v_fmac_f32_e32 v63, v64, v63
	v_div_scale_f32 v64, vcc_lo, 1.0, v56, 1.0
	v_mul_f32_e32 v65, v64, v63
	s_delay_alu instid0(VALU_DEP_1) | instskip(NEXT) | instid1(VALU_DEP_1)
	v_fma_f32 v66, -v57, v65, v64
	v_fmac_f32_e32 v65, v66, v63
	s_delay_alu instid0(VALU_DEP_1) | instskip(NEXT) | instid1(VALU_DEP_1)
	v_fma_f32 v57, -v57, v65, v64
	v_div_fmas_f32 v57, v57, v63, v65
	s_delay_alu instid0(VALU_DEP_1) | instskip(NEXT) | instid1(VALU_DEP_1)
	v_div_fixup_f32 v56, v57, v56, 1.0
	v_mul_f32_e64 v57, v55, -v56
.LBB46_93:
	s_or_b32 exec_lo, exec_lo, s1
.LBB46_94:
	s_delay_alu instid0(SALU_CYCLE_1) | instskip(NEXT) | instid1(SALU_CYCLE_1)
	s_or_b32 exec_lo, exec_lo, s0
	s_mov_b32 s0, exec_lo
	v_cmpx_ne_u32_e64 v62, v54
	s_xor_b32 s0, exec_lo, s0
	s_cbranch_execz .LBB46_100
; %bb.95:
	s_mov_b32 s1, exec_lo
	v_cmpx_eq_u32_e32 4, v62
	s_cbranch_execz .LBB46_99
; %bb.96:
	v_cmp_ne_u32_e32 vcc_lo, 4, v54
	s_xor_b32 s15, s12, -1
	s_delay_alu instid0(SALU_CYCLE_1) | instskip(NEXT) | instid1(SALU_CYCLE_1)
	s_and_b32 s16, s15, vcc_lo
	s_and_saveexec_b32 s15, s16
	s_cbranch_execz .LBB46_98
; %bb.97:
	v_ashrrev_i32_e32 v55, 31, v54
	s_delay_alu instid0(VALU_DEP_1)
	v_lshl_add_u64 v[62:63], v[54:55], 2, v[30:31]
	s_clause 0x1
	global_load_b32 v55, v[62:63], off
	global_load_b32 v61, v[30:31], off offset:16
	s_wait_loadcnt 0x1
	global_store_b32 v[30:31], v55, off offset:16
	s_wait_loadcnt 0x0
	global_store_b32 v[62:63], v61, off
.LBB46_98:
	s_wait_xcnt 0x0
	s_or_b32 exec_lo, exec_lo, s15
	v_dual_mov_b32 v62, v54 :: v_dual_mov_b32 v61, v54
.LBB46_99:
	s_or_b32 exec_lo, exec_lo, s1
.LBB46_100:
	s_and_not1_saveexec_b32 s0, s0
	s_cbranch_execz .LBB46_102
; %bb.101:
	v_mov_b32_e32 v62, 4
	ds_store_2addr_b64 v58, v[10:11], v[12:13] offset0:5 offset1:6
	ds_store_2addr_b64 v58, v[4:5], v[44:45] offset0:7 offset1:8
	;; [unrolled: 1-line block ×9, first 2 shown]
	ds_store_b64 v58, v[52:53] offset:184
.LBB46_102:
	s_or_b32 exec_lo, exec_lo, s0
	s_delay_alu instid0(SALU_CYCLE_1)
	s_mov_b32 s0, exec_lo
	s_wait_storecnt_dscnt 0x0
	s_barrier_signal -1
	s_barrier_wait -1
	v_cmpx_lt_i32_e32 4, v62
	s_cbranch_execz .LBB46_104
; %bb.103:
	v_pk_mul_f32 v[64:65], v[56:57], v[14:15] op_sel:[1,1] op_sel_hi:[0,1]
	s_delay_alu instid0(VALU_DEP_1)
	v_pk_fma_f32 v[54:55], v[56:57], v[14:15], v[64:65] op_sel_hi:[1,0,1] neg_lo:[0,0,1] neg_hi:[0,0,1]
	v_pk_fma_f32 v[56:57], v[56:57], v[14:15], v[64:65] op_sel_hi:[1,0,1]
	ds_load_2addr_b64 v[64:67], v58 offset0:5 offset1:6
	v_dual_mov_b32 v14, v54 :: v_dual_mov_b32 v15, v57
	s_wait_dscnt 0x0
	v_pk_mul_f32 v[68:69], v[64:65], v[56:57] op_sel:[0,1]
	s_delay_alu instid0(VALU_DEP_1) | instskip(SKIP_1) | instid1(VALU_DEP_1)
	v_pk_fma_f32 v[70:71], v[64:65], v[54:55], v[68:69] op_sel:[0,0,1] op_sel_hi:[1,1,0] neg_lo:[0,0,1] neg_hi:[0,0,1]
	v_pk_fma_f32 v[64:65], v[64:65], v[54:55], v[68:69] op_sel:[0,0,1] op_sel_hi:[1,0,0]
	v_mov_b32_e32 v71, v65
	v_pk_mul_f32 v[64:65], v[66:67], v[56:57] op_sel:[0,1]
	s_delay_alu instid0(VALU_DEP_1) | instskip(SKIP_1) | instid1(VALU_DEP_1)
	v_pk_fma_f32 v[68:69], v[66:67], v[54:55], v[64:65] op_sel:[0,0,1] op_sel_hi:[1,1,0] neg_lo:[0,0,1] neg_hi:[0,0,1]
	v_pk_fma_f32 v[64:65], v[66:67], v[54:55], v[64:65] op_sel:[0,0,1] op_sel_hi:[1,0,0]
	v_mov_b32_e32 v69, v65
	ds_load_2addr_b64 v[64:67], v58 offset0:7 offset1:8
	v_pk_add_f32 v[10:11], v[10:11], v[70:71] neg_lo:[0,1] neg_hi:[0,1]
	v_pk_add_f32 v[12:13], v[12:13], v[68:69] neg_lo:[0,1] neg_hi:[0,1]
	s_wait_dscnt 0x0
	v_pk_mul_f32 v[68:69], v[64:65], v[56:57] op_sel:[0,1]
	s_delay_alu instid0(VALU_DEP_1) | instskip(SKIP_2) | instid1(VALU_DEP_2)
	v_pk_fma_f32 v[70:71], v[64:65], v[54:55], v[68:69] op_sel:[0,0,1] op_sel_hi:[1,1,0] neg_lo:[0,0,1] neg_hi:[0,0,1]
	v_pk_fma_f32 v[64:65], v[64:65], v[54:55], v[68:69] op_sel:[0,0,1] op_sel_hi:[1,0,0]
	v_dual_mul_f32 v68, v67, v57 :: v_dual_mov_b32 v64, v67
	v_dual_mov_b32 v71, v65 :: v_dual_mov_b32 v65, v66
	s_delay_alu instid0(VALU_DEP_2) | instskip(SKIP_1) | instid1(VALU_DEP_3)
	v_pk_fma_f32 v[68:69], v[66:67], v[14:15], v[68:69] op_sel_hi:[1,1,0] neg_lo:[0,0,1] neg_hi:[0,0,1]
	v_mul_f32_e32 v66, v67, v54
	v_pk_add_f32 v[4:5], v[4:5], v[70:71] neg_lo:[0,1] neg_hi:[0,1]
	s_delay_alu instid0(VALU_DEP_2) | instskip(NEXT) | instid1(VALU_DEP_1)
	v_pk_fma_f32 v[64:65], v[64:65], v[14:15], v[66:67] op_sel_hi:[1,1,0]
	v_mov_b32_e32 v69, v65
	ds_load_2addr_b64 v[64:67], v58 offset0:9 offset1:10
	v_pk_add_f32 v[44:45], v[44:45], v[68:69] neg_lo:[0,1] neg_hi:[0,1]
	s_wait_dscnt 0x0
	v_pk_mul_f32 v[68:69], v[64:65], v[56:57] op_sel:[0,1]
	s_delay_alu instid0(VALU_DEP_1) | instskip(SKIP_1) | instid1(VALU_DEP_1)
	v_pk_fma_f32 v[70:71], v[64:65], v[54:55], v[68:69] op_sel:[0,0,1] op_sel_hi:[1,1,0] neg_lo:[0,0,1] neg_hi:[0,0,1]
	v_pk_fma_f32 v[64:65], v[64:65], v[54:55], v[68:69] op_sel:[0,0,1] op_sel_hi:[1,0,0]
	v_mov_b32_e32 v71, v65
	v_pk_mul_f32 v[64:65], v[66:67], v[56:57] op_sel:[0,1]
	s_delay_alu instid0(VALU_DEP_1) | instskip(SKIP_1) | instid1(VALU_DEP_1)
	v_pk_fma_f32 v[68:69], v[66:67], v[54:55], v[64:65] op_sel:[0,0,1] op_sel_hi:[1,1,0] neg_lo:[0,0,1] neg_hi:[0,0,1]
	v_pk_fma_f32 v[64:65], v[66:67], v[54:55], v[64:65] op_sel:[0,0,1] op_sel_hi:[1,0,0]
	v_mov_b32_e32 v69, v65
	ds_load_2addr_b64 v[64:67], v58 offset0:11 offset1:12
	v_pk_add_f32 v[40:41], v[40:41], v[70:71] neg_lo:[0,1] neg_hi:[0,1]
	v_pk_add_f32 v[42:43], v[42:43], v[68:69] neg_lo:[0,1] neg_hi:[0,1]
	s_wait_dscnt 0x0
	v_pk_mul_f32 v[68:69], v[64:65], v[56:57] op_sel:[0,1]
	s_delay_alu instid0(VALU_DEP_1) | instskip(SKIP_1) | instid1(VALU_DEP_1)
	v_pk_fma_f32 v[70:71], v[64:65], v[54:55], v[68:69] op_sel:[0,0,1] op_sel_hi:[1,1,0] neg_lo:[0,0,1] neg_hi:[0,0,1]
	v_pk_fma_f32 v[64:65], v[64:65], v[54:55], v[68:69] op_sel:[0,0,1] op_sel_hi:[1,0,0]
	v_mov_b32_e32 v71, v65
	v_pk_mul_f32 v[64:65], v[66:67], v[56:57] op_sel:[0,1]
	s_delay_alu instid0(VALU_DEP_1) | instskip(SKIP_1) | instid1(VALU_DEP_1)
	v_pk_fma_f32 v[68:69], v[66:67], v[54:55], v[64:65] op_sel:[0,0,1] op_sel_hi:[1,1,0] neg_lo:[0,0,1] neg_hi:[0,0,1]
	v_pk_fma_f32 v[64:65], v[66:67], v[54:55], v[64:65] op_sel:[0,0,1] op_sel_hi:[1,0,0]
	v_mov_b32_e32 v69, v65
	ds_load_2addr_b64 v[64:67], v58 offset0:13 offset1:14
	v_pk_add_f32 v[18:19], v[18:19], v[70:71] neg_lo:[0,1] neg_hi:[0,1]
	v_pk_add_f32 v[38:39], v[38:39], v[68:69] neg_lo:[0,1] neg_hi:[0,1]
	s_wait_dscnt 0x0
	v_dual_mul_f32 v68, v65, v57 :: v_dual_mul_f32 v70, v65, v54
	s_delay_alu instid0(VALU_DEP_1) | instskip(NEXT) | instid1(VALU_DEP_2)
	v_pk_fma_f32 v[68:69], v[64:65], v[14:15], v[68:69] op_sel_hi:[1,1,0] neg_lo:[0,0,1] neg_hi:[0,0,1]
	v_pk_fma_f32 v[64:65], v[64:65], v[14:15], v[70:71] op_sel:[1,0,0] op_sel_hi:[0,1,0]
	s_delay_alu instid0(VALU_DEP_1) | instskip(SKIP_1) | instid1(VALU_DEP_2)
	v_mov_b32_e32 v69, v65
	v_pk_mul_f32 v[64:65], v[66:67], v[56:57] op_sel:[0,1]
	v_pk_add_f32 v[34:35], v[34:35], v[68:69] neg_lo:[0,1] neg_hi:[0,1]
	s_delay_alu instid0(VALU_DEP_2) | instskip(SKIP_1) | instid1(VALU_DEP_1)
	v_pk_fma_f32 v[68:69], v[66:67], v[54:55], v[64:65] op_sel:[0,0,1] op_sel_hi:[1,1,0] neg_lo:[0,0,1] neg_hi:[0,0,1]
	v_pk_fma_f32 v[64:65], v[66:67], v[54:55], v[64:65] op_sel:[0,0,1] op_sel_hi:[1,0,0]
	v_mov_b32_e32 v69, v65
	ds_load_2addr_b64 v[64:67], v58 offset0:15 offset1:16
	v_pk_add_f32 v[36:37], v[36:37], v[68:69] neg_lo:[0,1] neg_hi:[0,1]
	s_wait_dscnt 0x0
	v_pk_mul_f32 v[68:69], v[64:65], v[56:57] op_sel:[0,1]
	s_delay_alu instid0(VALU_DEP_1) | instskip(SKIP_1) | instid1(VALU_DEP_1)
	v_pk_fma_f32 v[70:71], v[64:65], v[54:55], v[68:69] op_sel:[0,0,1] op_sel_hi:[1,1,0] neg_lo:[0,0,1] neg_hi:[0,0,1]
	v_pk_fma_f32 v[64:65], v[64:65], v[54:55], v[68:69] op_sel:[0,0,1] op_sel_hi:[1,0,0]
	v_mov_b32_e32 v71, v65
	v_pk_mul_f32 v[64:65], v[66:67], v[56:57] op_sel:[0,1]
	s_delay_alu instid0(VALU_DEP_2) | instskip(NEXT) | instid1(VALU_DEP_2)
	v_pk_add_f32 v[8:9], v[8:9], v[70:71] neg_lo:[0,1] neg_hi:[0,1]
	v_pk_fma_f32 v[68:69], v[66:67], v[54:55], v[64:65] op_sel:[0,0,1] op_sel_hi:[1,1,0] neg_lo:[0,0,1] neg_hi:[0,0,1]
	v_pk_fma_f32 v[64:65], v[66:67], v[54:55], v[64:65] op_sel:[0,0,1] op_sel_hi:[1,0,0]
	s_delay_alu instid0(VALU_DEP_1) | instskip(SKIP_4) | instid1(VALU_DEP_1)
	v_mov_b32_e32 v69, v65
	ds_load_2addr_b64 v[64:67], v58 offset0:17 offset1:18
	v_pk_add_f32 v[28:29], v[28:29], v[68:69] neg_lo:[0,1] neg_hi:[0,1]
	s_wait_dscnt 0x0
	v_pk_mul_f32 v[68:69], v[64:65], v[56:57] op_sel:[0,1]
	v_pk_fma_f32 v[70:71], v[64:65], v[54:55], v[68:69] op_sel:[0,0,1] op_sel_hi:[1,1,0] neg_lo:[0,0,1] neg_hi:[0,0,1]
	v_pk_fma_f32 v[64:65], v[64:65], v[54:55], v[68:69] op_sel:[0,0,1] op_sel_hi:[1,0,0]
	v_dual_mul_f32 v68, v67, v57 :: v_dual_mov_b32 v64, v67
	s_delay_alu instid0(VALU_DEP_2) | instskip(NEXT) | instid1(VALU_DEP_2)
	v_dual_mov_b32 v71, v65 :: v_dual_mov_b32 v65, v66
	v_pk_fma_f32 v[68:69], v[66:67], v[14:15], v[68:69] op_sel_hi:[1,1,0] neg_lo:[0,0,1] neg_hi:[0,0,1]
	v_mul_f32_e32 v66, v67, v54
	s_delay_alu instid0(VALU_DEP_3) | instskip(NEXT) | instid1(VALU_DEP_2)
	v_pk_add_f32 v[24:25], v[24:25], v[70:71] neg_lo:[0,1] neg_hi:[0,1]
	v_pk_fma_f32 v[64:65], v[64:65], v[14:15], v[66:67] op_sel_hi:[1,1,0]
	s_delay_alu instid0(VALU_DEP_1) | instskip(SKIP_4) | instid1(VALU_DEP_1)
	v_mov_b32_e32 v69, v65
	ds_load_2addr_b64 v[64:67], v58 offset0:19 offset1:20
	v_pk_add_f32 v[26:27], v[26:27], v[68:69] neg_lo:[0,1] neg_hi:[0,1]
	s_wait_dscnt 0x0
	v_pk_mul_f32 v[68:69], v[64:65], v[56:57] op_sel:[0,1]
	v_pk_fma_f32 v[70:71], v[64:65], v[54:55], v[68:69] op_sel:[0,0,1] op_sel_hi:[1,1,0] neg_lo:[0,0,1] neg_hi:[0,0,1]
	v_pk_fma_f32 v[64:65], v[64:65], v[54:55], v[68:69] op_sel:[0,0,1] op_sel_hi:[1,0,0]
	s_delay_alu instid0(VALU_DEP_1) | instskip(SKIP_1) | instid1(VALU_DEP_1)
	v_mov_b32_e32 v71, v65
	v_pk_mul_f32 v[64:65], v[66:67], v[56:57] op_sel:[0,1]
	v_pk_fma_f32 v[68:69], v[66:67], v[54:55], v[64:65] op_sel:[0,0,1] op_sel_hi:[1,1,0] neg_lo:[0,0,1] neg_hi:[0,0,1]
	v_pk_fma_f32 v[64:65], v[66:67], v[54:55], v[64:65] op_sel:[0,0,1] op_sel_hi:[1,0,0]
	s_delay_alu instid0(VALU_DEP_1)
	v_mov_b32_e32 v69, v65
	ds_load_2addr_b64 v[64:67], v58 offset0:21 offset1:22
	v_pk_add_f32 v[6:7], v[6:7], v[70:71] neg_lo:[0,1] neg_hi:[0,1]
	v_pk_add_f32 v[22:23], v[22:23], v[68:69] neg_lo:[0,1] neg_hi:[0,1]
	s_wait_dscnt 0x0
	v_pk_mul_f32 v[68:69], v[64:65], v[56:57] op_sel:[0,1]
	s_delay_alu instid0(VALU_DEP_1) | instskip(SKIP_1) | instid1(VALU_DEP_1)
	v_pk_fma_f32 v[70:71], v[64:65], v[54:55], v[68:69] op_sel:[0,0,1] op_sel_hi:[1,1,0] neg_lo:[0,0,1] neg_hi:[0,0,1]
	v_pk_fma_f32 v[64:65], v[64:65], v[54:55], v[68:69] op_sel:[0,0,1] op_sel_hi:[1,0,0]
	v_mov_b32_e32 v71, v65
	v_pk_mul_f32 v[64:65], v[66:67], v[56:57] op_sel:[0,1]
	s_delay_alu instid0(VALU_DEP_1) | instskip(SKIP_1) | instid1(VALU_DEP_1)
	v_pk_fma_f32 v[68:69], v[66:67], v[54:55], v[64:65] op_sel:[0,0,1] op_sel_hi:[1,1,0] neg_lo:[0,0,1] neg_hi:[0,0,1]
	v_pk_fma_f32 v[64:65], v[66:67], v[54:55], v[64:65] op_sel:[0,0,1] op_sel_hi:[1,0,0]
	v_mov_b32_e32 v69, v65
	ds_load_b64 v[64:65], v58 offset:184
	v_pk_add_f32 v[20:21], v[20:21], v[70:71] neg_lo:[0,1] neg_hi:[0,1]
	v_pk_add_f32 v[16:17], v[16:17], v[68:69] neg_lo:[0,1] neg_hi:[0,1]
	s_wait_dscnt 0x0
	v_pk_mul_f32 v[56:57], v[64:65], v[56:57] op_sel:[0,1]
	s_delay_alu instid0(VALU_DEP_1) | instskip(SKIP_1) | instid1(VALU_DEP_1)
	v_pk_fma_f32 v[66:67], v[64:65], v[54:55], v[56:57] op_sel:[0,0,1] op_sel_hi:[1,1,0] neg_lo:[0,0,1] neg_hi:[0,0,1]
	v_pk_fma_f32 v[54:55], v[64:65], v[54:55], v[56:57] op_sel:[0,0,1] op_sel_hi:[1,0,0]
	v_mov_b32_e32 v67, v55
	s_delay_alu instid0(VALU_DEP_1)
	v_pk_add_f32 v[52:53], v[52:53], v[66:67] neg_lo:[0,1] neg_hi:[0,1]
.LBB46_104:
	s_or_b32 exec_lo, exec_lo, s0
	v_lshl_add_u32 v54, v62, 3, v58
	s_barrier_signal -1
	s_barrier_wait -1
	ds_store_b64 v54, v[10:11]
	s_wait_dscnt 0x0
	s_barrier_signal -1
	s_barrier_wait -1
	ds_load_b64 v[56:57], v58 offset:40
	v_mov_b32_e32 v54, 5
	s_cmp_lt_i32 s14, 7
	s_cbranch_scc1 .LBB46_107
; %bb.105:
	v_add3_u32 v55, v59, 0, 48
	v_mov_b32_e32 v54, 5
	s_mov_b32 s0, 6
.LBB46_106:                             ; =>This Inner Loop Header: Depth=1
	ds_load_b64 v[64:65], v55
	s_wait_dscnt 0x1
	v_cmp_gt_f32_e32 vcc_lo, 0, v56
	v_cndmask_b32_e64 v66, v56, -v56, vcc_lo
	v_cmp_gt_f32_e32 vcc_lo, 0, v57
	v_cndmask_b32_e64 v68, v57, -v57, vcc_lo
	s_wait_dscnt 0x0
	v_cmp_gt_f32_e32 vcc_lo, 0, v64
	v_cndmask_b32_e64 v67, v64, -v64, vcc_lo
	v_cmp_gt_f32_e32 vcc_lo, 0, v65
	v_cndmask_b32_e64 v69, v65, -v65, vcc_lo
	s_delay_alu instid0(VALU_DEP_1) | instskip(NEXT) | instid1(VALU_DEP_1)
	v_pk_add_f32 v[66:67], v[66:67], v[68:69]
	v_cmp_lt_f32_e32 vcc_lo, v66, v67
	v_dual_add_nc_u32 v55, 8, v55 :: v_dual_cndmask_b32 v57, v57, v65, vcc_lo
	v_cndmask_b32_e32 v56, v56, v64, vcc_lo
	v_cndmask_b32_e64 v54, v54, s0, vcc_lo
	s_add_co_i32 s0, s0, 1
	s_delay_alu instid0(SALU_CYCLE_1)
	s_cmp_lg_u32 s14, s0
	s_cbranch_scc1 .LBB46_106
.LBB46_107:
	s_wait_dscnt 0x0
	v_cmp_eq_f32_e32 vcc_lo, 0, v56
	v_cmp_eq_f32_e64 s0, 0, v57
	s_and_b32 s0, vcc_lo, s0
	s_delay_alu instid0(SALU_CYCLE_1) | instskip(NEXT) | instid1(SALU_CYCLE_1)
	s_and_saveexec_b32 s1, s0
	s_xor_b32 s0, exec_lo, s1
; %bb.108:
	v_cmp_ne_u32_e32 vcc_lo, 0, v60
	v_cndmask_b32_e32 v60, 6, v60, vcc_lo
; %bb.109:
	s_and_not1_saveexec_b32 s0, s0
	s_cbranch_execz .LBB46_115
; %bb.110:
	v_cmp_ngt_f32_e64 s1, |v56|, |v57|
	s_and_saveexec_b32 s15, s1
	s_delay_alu instid0(SALU_CYCLE_1)
	s_xor_b32 s1, exec_lo, s15
	s_cbranch_execz .LBB46_112
; %bb.111:
	v_div_scale_f32 v55, null, v57, v57, v56
	v_div_scale_f32 v65, vcc_lo, v56, v57, v56
	s_delay_alu instid0(VALU_DEP_2) | instskip(SKIP_1) | instid1(TRANS32_DEP_1)
	v_rcp_f32_e32 v63, v55
	v_nop
	v_fma_f32 v64, -v55, v63, 1.0
	s_delay_alu instid0(VALU_DEP_1) | instskip(NEXT) | instid1(VALU_DEP_1)
	v_fmac_f32_e32 v63, v64, v63
	v_mul_f32_e32 v64, v65, v63
	s_delay_alu instid0(VALU_DEP_1) | instskip(NEXT) | instid1(VALU_DEP_1)
	v_fma_f32 v66, -v55, v64, v65
	v_fmac_f32_e32 v64, v66, v63
	s_delay_alu instid0(VALU_DEP_1) | instskip(NEXT) | instid1(VALU_DEP_1)
	v_fma_f32 v55, -v55, v64, v65
	v_div_fmas_f32 v55, v55, v63, v64
	s_delay_alu instid0(VALU_DEP_1) | instskip(NEXT) | instid1(VALU_DEP_1)
	v_div_fixup_f32 v55, v55, v57, v56
	v_fmac_f32_e32 v57, v56, v55
	s_delay_alu instid0(VALU_DEP_1) | instskip(SKIP_1) | instid1(VALU_DEP_2)
	v_div_scale_f32 v56, null, v57, v57, 1.0
	v_div_scale_f32 v65, vcc_lo, 1.0, v57, 1.0
	v_rcp_f32_e32 v63, v56
	v_nop
	s_delay_alu instid0(TRANS32_DEP_1) | instskip(NEXT) | instid1(VALU_DEP_1)
	v_fma_f32 v64, -v56, v63, 1.0
	v_fmac_f32_e32 v63, v64, v63
	s_delay_alu instid0(VALU_DEP_1) | instskip(NEXT) | instid1(VALU_DEP_1)
	v_mul_f32_e32 v64, v65, v63
	v_fma_f32 v66, -v56, v64, v65
	s_delay_alu instid0(VALU_DEP_1) | instskip(NEXT) | instid1(VALU_DEP_1)
	v_fmac_f32_e32 v64, v66, v63
	v_fma_f32 v56, -v56, v64, v65
	s_delay_alu instid0(VALU_DEP_1) | instskip(NEXT) | instid1(VALU_DEP_1)
	v_div_fmas_f32 v56, v56, v63, v64
	v_div_fixup_f32 v57, v56, v57, 1.0
	s_delay_alu instid0(VALU_DEP_1)
	v_mul_f32_e32 v56, v55, v57
	v_xor_b32_e32 v57, 0x80000000, v57
.LBB46_112:
	s_and_not1_saveexec_b32 s1, s1
	s_cbranch_execz .LBB46_114
; %bb.113:
	s_delay_alu instid0(VALU_DEP_1) | instskip(SKIP_1) | instid1(VALU_DEP_2)
	v_div_scale_f32 v55, null, v56, v56, v57
	v_div_scale_f32 v65, vcc_lo, v57, v56, v57
	v_rcp_f32_e32 v63, v55
	v_nop
	s_delay_alu instid0(TRANS32_DEP_1) | instskip(NEXT) | instid1(VALU_DEP_1)
	v_fma_f32 v64, -v55, v63, 1.0
	v_fmac_f32_e32 v63, v64, v63
	s_delay_alu instid0(VALU_DEP_1) | instskip(NEXT) | instid1(VALU_DEP_1)
	v_mul_f32_e32 v64, v65, v63
	v_fma_f32 v66, -v55, v64, v65
	s_delay_alu instid0(VALU_DEP_1) | instskip(NEXT) | instid1(VALU_DEP_1)
	v_fmac_f32_e32 v64, v66, v63
	v_fma_f32 v55, -v55, v64, v65
	s_delay_alu instid0(VALU_DEP_1) | instskip(NEXT) | instid1(VALU_DEP_1)
	v_div_fmas_f32 v55, v55, v63, v64
	v_div_fixup_f32 v55, v55, v56, v57
	s_delay_alu instid0(VALU_DEP_1) | instskip(NEXT) | instid1(VALU_DEP_1)
	v_fmac_f32_e32 v56, v57, v55
	v_div_scale_f32 v57, null, v56, v56, 1.0
	s_delay_alu instid0(VALU_DEP_1) | instskip(SKIP_1) | instid1(TRANS32_DEP_1)
	v_rcp_f32_e32 v63, v57
	v_nop
	v_fma_f32 v64, -v57, v63, 1.0
	s_delay_alu instid0(VALU_DEP_1) | instskip(SKIP_1) | instid1(VALU_DEP_1)
	v_fmac_f32_e32 v63, v64, v63
	v_div_scale_f32 v64, vcc_lo, 1.0, v56, 1.0
	v_mul_f32_e32 v65, v64, v63
	s_delay_alu instid0(VALU_DEP_1) | instskip(NEXT) | instid1(VALU_DEP_1)
	v_fma_f32 v66, -v57, v65, v64
	v_fmac_f32_e32 v65, v66, v63
	s_delay_alu instid0(VALU_DEP_1) | instskip(NEXT) | instid1(VALU_DEP_1)
	v_fma_f32 v57, -v57, v65, v64
	v_div_fmas_f32 v57, v57, v63, v65
	s_delay_alu instid0(VALU_DEP_1) | instskip(NEXT) | instid1(VALU_DEP_1)
	v_div_fixup_f32 v56, v57, v56, 1.0
	v_mul_f32_e64 v57, v55, -v56
.LBB46_114:
	s_or_b32 exec_lo, exec_lo, s1
.LBB46_115:
	s_delay_alu instid0(SALU_CYCLE_1) | instskip(NEXT) | instid1(SALU_CYCLE_1)
	s_or_b32 exec_lo, exec_lo, s0
	s_mov_b32 s0, exec_lo
	v_cmpx_ne_u32_e64 v62, v54
	s_xor_b32 s0, exec_lo, s0
	s_cbranch_execz .LBB46_121
; %bb.116:
	s_mov_b32 s1, exec_lo
	v_cmpx_eq_u32_e32 5, v62
	s_cbranch_execz .LBB46_120
; %bb.117:
	v_cmp_ne_u32_e32 vcc_lo, 5, v54
	s_xor_b32 s15, s12, -1
	s_delay_alu instid0(SALU_CYCLE_1) | instskip(NEXT) | instid1(SALU_CYCLE_1)
	s_and_b32 s16, s15, vcc_lo
	s_and_saveexec_b32 s15, s16
	s_cbranch_execz .LBB46_119
; %bb.118:
	v_ashrrev_i32_e32 v55, 31, v54
	s_delay_alu instid0(VALU_DEP_1)
	v_lshl_add_u64 v[62:63], v[54:55], 2, v[30:31]
	s_clause 0x1
	global_load_b32 v55, v[62:63], off
	global_load_b32 v61, v[30:31], off offset:20
	s_wait_loadcnt 0x1
	global_store_b32 v[30:31], v55, off offset:20
	s_wait_loadcnt 0x0
	global_store_b32 v[62:63], v61, off
.LBB46_119:
	s_wait_xcnt 0x0
	s_or_b32 exec_lo, exec_lo, s15
	v_dual_mov_b32 v62, v54 :: v_dual_mov_b32 v61, v54
.LBB46_120:
	s_or_b32 exec_lo, exec_lo, s1
.LBB46_121:
	s_and_not1_saveexec_b32 s0, s0
	s_cbranch_execz .LBB46_123
; %bb.122:
	v_dual_mov_b32 v54, v12 :: v_dual_mov_b32 v55, v13
	v_dual_mov_b32 v62, v4 :: v_dual_mov_b32 v63, v5
	v_dual_mov_b32 v64, v44 :: v_dual_mov_b32 v65, v45
	v_dual_mov_b32 v66, v40 :: v_dual_mov_b32 v67, v41
	v_dual_mov_b32 v68, v42 :: v_dual_mov_b32 v69, v43
	v_dual_mov_b32 v70, v18 :: v_dual_mov_b32 v71, v19
	v_dual_mov_b32 v72, v38 :: v_dual_mov_b32 v73, v39
	v_dual_mov_b32 v74, v34 :: v_dual_mov_b32 v75, v35
	ds_store_2addr_b64 v58, v[54:55], v[62:63] offset0:6 offset1:7
	ds_store_2addr_b64 v58, v[64:65], v[66:67] offset0:8 offset1:9
	;; [unrolled: 1-line block ×4, first 2 shown]
	v_dual_mov_b32 v54, v36 :: v_dual_mov_b32 v55, v37
	v_dual_mov_b32 v64, v8 :: v_dual_mov_b32 v65, v9
	v_dual_mov_b32 v62, 5 :: v_dual_mov_b32 v66, v28
	v_dual_mov_b32 v67, v29 :: v_dual_mov_b32 v68, v24
	v_dual_mov_b32 v69, v25 :: v_dual_mov_b32 v70, v26
	v_dual_mov_b32 v71, v27 :: v_dual_mov_b32 v72, v6
	v_dual_mov_b32 v73, v7 :: v_dual_mov_b32 v74, v22
	v_dual_mov_b32 v75, v23 :: v_dual_mov_b32 v76, v20
	v_dual_mov_b32 v77, v21 :: v_dual_mov_b32 v78, v16
	v_mov_b32_e32 v79, v17
	ds_store_2addr_b64 v58, v[54:55], v[64:65] offset0:14 offset1:15
	ds_store_2addr_b64 v58, v[66:67], v[68:69] offset0:16 offset1:17
	;; [unrolled: 1-line block ×5, first 2 shown]
.LBB46_123:
	s_or_b32 exec_lo, exec_lo, s0
	s_delay_alu instid0(SALU_CYCLE_1)
	s_mov_b32 s0, exec_lo
	s_wait_storecnt_dscnt 0x0
	s_barrier_signal -1
	s_barrier_wait -1
	v_cmpx_lt_i32_e32 5, v62
	s_cbranch_execz .LBB46_125
; %bb.124:
	v_pk_mul_f32 v[64:65], v[56:57], v[10:11] op_sel:[1,1] op_sel_hi:[0,1]
	s_delay_alu instid0(VALU_DEP_1)
	v_pk_fma_f32 v[54:55], v[56:57], v[10:11], v[64:65] op_sel_hi:[1,0,1] neg_lo:[0,0,1] neg_hi:[0,0,1]
	v_pk_fma_f32 v[56:57], v[56:57], v[10:11], v[64:65] op_sel_hi:[1,0,1]
	ds_load_2addr_b64 v[64:67], v58 offset0:6 offset1:7
	v_dual_mov_b32 v10, v54 :: v_dual_mov_b32 v11, v57
	s_wait_dscnt 0x0
	v_pk_mul_f32 v[68:69], v[64:65], v[56:57] op_sel:[0,1]
	s_delay_alu instid0(VALU_DEP_1) | instskip(SKIP_1) | instid1(VALU_DEP_1)
	v_pk_fma_f32 v[70:71], v[64:65], v[54:55], v[68:69] op_sel:[0,0,1] op_sel_hi:[1,1,0] neg_lo:[0,0,1] neg_hi:[0,0,1]
	v_pk_fma_f32 v[64:65], v[64:65], v[54:55], v[68:69] op_sel:[0,0,1] op_sel_hi:[1,0,0]
	v_mov_b32_e32 v71, v65
	v_pk_mul_f32 v[64:65], v[66:67], v[56:57] op_sel:[0,1]
	s_delay_alu instid0(VALU_DEP_1) | instskip(SKIP_1) | instid1(VALU_DEP_1)
	v_pk_fma_f32 v[68:69], v[66:67], v[54:55], v[64:65] op_sel:[0,0,1] op_sel_hi:[1,1,0] neg_lo:[0,0,1] neg_hi:[0,0,1]
	v_pk_fma_f32 v[64:65], v[66:67], v[54:55], v[64:65] op_sel:[0,0,1] op_sel_hi:[1,0,0]
	v_mov_b32_e32 v69, v65
	ds_load_2addr_b64 v[64:67], v58 offset0:8 offset1:9
	v_pk_add_f32 v[12:13], v[12:13], v[70:71] neg_lo:[0,1] neg_hi:[0,1]
	v_pk_add_f32 v[4:5], v[4:5], v[68:69] neg_lo:[0,1] neg_hi:[0,1]
	s_wait_dscnt 0x0
	v_pk_mul_f32 v[68:69], v[64:65], v[56:57] op_sel:[0,1]
	s_delay_alu instid0(VALU_DEP_1) | instskip(SKIP_2) | instid1(VALU_DEP_2)
	v_pk_fma_f32 v[70:71], v[64:65], v[54:55], v[68:69] op_sel:[0,0,1] op_sel_hi:[1,1,0] neg_lo:[0,0,1] neg_hi:[0,0,1]
	v_pk_fma_f32 v[64:65], v[64:65], v[54:55], v[68:69] op_sel:[0,0,1] op_sel_hi:[1,0,0]
	v_dual_mul_f32 v68, v67, v57 :: v_dual_mov_b32 v64, v67
	v_dual_mov_b32 v71, v65 :: v_dual_mov_b32 v65, v66
	s_delay_alu instid0(VALU_DEP_2) | instskip(SKIP_1) | instid1(VALU_DEP_3)
	v_pk_fma_f32 v[68:69], v[66:67], v[10:11], v[68:69] op_sel_hi:[1,1,0] neg_lo:[0,0,1] neg_hi:[0,0,1]
	v_mul_f32_e32 v66, v67, v54
	v_pk_add_f32 v[44:45], v[44:45], v[70:71] neg_lo:[0,1] neg_hi:[0,1]
	s_delay_alu instid0(VALU_DEP_2) | instskip(NEXT) | instid1(VALU_DEP_1)
	v_pk_fma_f32 v[64:65], v[64:65], v[10:11], v[66:67] op_sel_hi:[1,1,0]
	v_mov_b32_e32 v69, v65
	ds_load_2addr_b64 v[64:67], v58 offset0:10 offset1:11
	v_pk_add_f32 v[40:41], v[40:41], v[68:69] neg_lo:[0,1] neg_hi:[0,1]
	s_wait_dscnt 0x0
	v_pk_mul_f32 v[68:69], v[64:65], v[56:57] op_sel:[0,1]
	s_delay_alu instid0(VALU_DEP_1) | instskip(SKIP_1) | instid1(VALU_DEP_1)
	v_pk_fma_f32 v[70:71], v[64:65], v[54:55], v[68:69] op_sel:[0,0,1] op_sel_hi:[1,1,0] neg_lo:[0,0,1] neg_hi:[0,0,1]
	v_pk_fma_f32 v[64:65], v[64:65], v[54:55], v[68:69] op_sel:[0,0,1] op_sel_hi:[1,0,0]
	v_mov_b32_e32 v71, v65
	v_pk_mul_f32 v[64:65], v[66:67], v[56:57] op_sel:[0,1]
	s_delay_alu instid0(VALU_DEP_1) | instskip(SKIP_1) | instid1(VALU_DEP_1)
	v_pk_fma_f32 v[68:69], v[66:67], v[54:55], v[64:65] op_sel:[0,0,1] op_sel_hi:[1,1,0] neg_lo:[0,0,1] neg_hi:[0,0,1]
	v_pk_fma_f32 v[64:65], v[66:67], v[54:55], v[64:65] op_sel:[0,0,1] op_sel_hi:[1,0,0]
	v_mov_b32_e32 v69, v65
	ds_load_2addr_b64 v[64:67], v58 offset0:12 offset1:13
	v_pk_add_f32 v[42:43], v[42:43], v[70:71] neg_lo:[0,1] neg_hi:[0,1]
	v_pk_add_f32 v[18:19], v[18:19], v[68:69] neg_lo:[0,1] neg_hi:[0,1]
	s_wait_dscnt 0x0
	v_pk_mul_f32 v[68:69], v[64:65], v[56:57] op_sel:[0,1]
	s_delay_alu instid0(VALU_DEP_1) | instskip(SKIP_1) | instid1(VALU_DEP_1)
	v_pk_fma_f32 v[70:71], v[64:65], v[54:55], v[68:69] op_sel:[0,0,1] op_sel_hi:[1,1,0] neg_lo:[0,0,1] neg_hi:[0,0,1]
	v_pk_fma_f32 v[64:65], v[64:65], v[54:55], v[68:69] op_sel:[0,0,1] op_sel_hi:[1,0,0]
	v_mov_b32_e32 v71, v65
	v_pk_mul_f32 v[64:65], v[66:67], v[56:57] op_sel:[0,1]
	s_delay_alu instid0(VALU_DEP_1) | instskip(SKIP_1) | instid1(VALU_DEP_1)
	v_pk_fma_f32 v[68:69], v[66:67], v[54:55], v[64:65] op_sel:[0,0,1] op_sel_hi:[1,1,0] neg_lo:[0,0,1] neg_hi:[0,0,1]
	v_pk_fma_f32 v[64:65], v[66:67], v[54:55], v[64:65] op_sel:[0,0,1] op_sel_hi:[1,0,0]
	v_mov_b32_e32 v69, v65
	ds_load_2addr_b64 v[64:67], v58 offset0:14 offset1:15
	v_pk_add_f32 v[38:39], v[38:39], v[70:71] neg_lo:[0,1] neg_hi:[0,1]
	v_pk_add_f32 v[34:35], v[34:35], v[68:69] neg_lo:[0,1] neg_hi:[0,1]
	s_wait_dscnt 0x0
	v_dual_mul_f32 v68, v65, v57 :: v_dual_mul_f32 v70, v65, v54
	s_delay_alu instid0(VALU_DEP_1) | instskip(NEXT) | instid1(VALU_DEP_2)
	v_pk_fma_f32 v[68:69], v[64:65], v[10:11], v[68:69] op_sel_hi:[1,1,0] neg_lo:[0,0,1] neg_hi:[0,0,1]
	v_pk_fma_f32 v[64:65], v[64:65], v[10:11], v[70:71] op_sel:[1,0,0] op_sel_hi:[0,1,0]
	s_delay_alu instid0(VALU_DEP_1) | instskip(SKIP_1) | instid1(VALU_DEP_2)
	v_mov_b32_e32 v69, v65
	v_pk_mul_f32 v[64:65], v[66:67], v[56:57] op_sel:[0,1]
	v_pk_add_f32 v[36:37], v[36:37], v[68:69] neg_lo:[0,1] neg_hi:[0,1]
	s_delay_alu instid0(VALU_DEP_2) | instskip(SKIP_1) | instid1(VALU_DEP_1)
	v_pk_fma_f32 v[68:69], v[66:67], v[54:55], v[64:65] op_sel:[0,0,1] op_sel_hi:[1,1,0] neg_lo:[0,0,1] neg_hi:[0,0,1]
	v_pk_fma_f32 v[64:65], v[66:67], v[54:55], v[64:65] op_sel:[0,0,1] op_sel_hi:[1,0,0]
	v_mov_b32_e32 v69, v65
	ds_load_2addr_b64 v[64:67], v58 offset0:16 offset1:17
	v_pk_add_f32 v[8:9], v[8:9], v[68:69] neg_lo:[0,1] neg_hi:[0,1]
	s_wait_dscnt 0x0
	v_pk_mul_f32 v[68:69], v[64:65], v[56:57] op_sel:[0,1]
	s_delay_alu instid0(VALU_DEP_1) | instskip(SKIP_1) | instid1(VALU_DEP_1)
	v_pk_fma_f32 v[70:71], v[64:65], v[54:55], v[68:69] op_sel:[0,0,1] op_sel_hi:[1,1,0] neg_lo:[0,0,1] neg_hi:[0,0,1]
	v_pk_fma_f32 v[64:65], v[64:65], v[54:55], v[68:69] op_sel:[0,0,1] op_sel_hi:[1,0,0]
	v_mov_b32_e32 v71, v65
	v_pk_mul_f32 v[64:65], v[66:67], v[56:57] op_sel:[0,1]
	s_delay_alu instid0(VALU_DEP_2) | instskip(NEXT) | instid1(VALU_DEP_2)
	v_pk_add_f32 v[28:29], v[28:29], v[70:71] neg_lo:[0,1] neg_hi:[0,1]
	v_pk_fma_f32 v[68:69], v[66:67], v[54:55], v[64:65] op_sel:[0,0,1] op_sel_hi:[1,1,0] neg_lo:[0,0,1] neg_hi:[0,0,1]
	v_pk_fma_f32 v[64:65], v[66:67], v[54:55], v[64:65] op_sel:[0,0,1] op_sel_hi:[1,0,0]
	s_delay_alu instid0(VALU_DEP_1) | instskip(SKIP_4) | instid1(VALU_DEP_1)
	v_mov_b32_e32 v69, v65
	ds_load_2addr_b64 v[64:67], v58 offset0:18 offset1:19
	v_pk_add_f32 v[24:25], v[24:25], v[68:69] neg_lo:[0,1] neg_hi:[0,1]
	s_wait_dscnt 0x0
	v_pk_mul_f32 v[68:69], v[64:65], v[56:57] op_sel:[0,1]
	v_pk_fma_f32 v[70:71], v[64:65], v[54:55], v[68:69] op_sel:[0,0,1] op_sel_hi:[1,1,0] neg_lo:[0,0,1] neg_hi:[0,0,1]
	v_pk_fma_f32 v[64:65], v[64:65], v[54:55], v[68:69] op_sel:[0,0,1] op_sel_hi:[1,0,0]
	v_dual_mul_f32 v68, v67, v57 :: v_dual_mov_b32 v64, v67
	s_delay_alu instid0(VALU_DEP_2) | instskip(NEXT) | instid1(VALU_DEP_2)
	v_dual_mov_b32 v71, v65 :: v_dual_mov_b32 v65, v66
	v_pk_fma_f32 v[68:69], v[66:67], v[10:11], v[68:69] op_sel_hi:[1,1,0] neg_lo:[0,0,1] neg_hi:[0,0,1]
	v_mul_f32_e32 v66, v67, v54
	s_delay_alu instid0(VALU_DEP_3) | instskip(NEXT) | instid1(VALU_DEP_2)
	v_pk_add_f32 v[26:27], v[26:27], v[70:71] neg_lo:[0,1] neg_hi:[0,1]
	v_pk_fma_f32 v[64:65], v[64:65], v[10:11], v[66:67] op_sel_hi:[1,1,0]
	s_delay_alu instid0(VALU_DEP_1) | instskip(SKIP_4) | instid1(VALU_DEP_1)
	v_mov_b32_e32 v69, v65
	ds_load_2addr_b64 v[64:67], v58 offset0:20 offset1:21
	v_pk_add_f32 v[6:7], v[6:7], v[68:69] neg_lo:[0,1] neg_hi:[0,1]
	s_wait_dscnt 0x0
	v_pk_mul_f32 v[68:69], v[64:65], v[56:57] op_sel:[0,1]
	v_pk_fma_f32 v[70:71], v[64:65], v[54:55], v[68:69] op_sel:[0,0,1] op_sel_hi:[1,1,0] neg_lo:[0,0,1] neg_hi:[0,0,1]
	v_pk_fma_f32 v[64:65], v[64:65], v[54:55], v[68:69] op_sel:[0,0,1] op_sel_hi:[1,0,0]
	s_delay_alu instid0(VALU_DEP_1) | instskip(SKIP_1) | instid1(VALU_DEP_1)
	v_mov_b32_e32 v71, v65
	v_pk_mul_f32 v[64:65], v[66:67], v[56:57] op_sel:[0,1]
	v_pk_fma_f32 v[68:69], v[66:67], v[54:55], v[64:65] op_sel:[0,0,1] op_sel_hi:[1,1,0] neg_lo:[0,0,1] neg_hi:[0,0,1]
	v_pk_fma_f32 v[64:65], v[66:67], v[54:55], v[64:65] op_sel:[0,0,1] op_sel_hi:[1,0,0]
	s_delay_alu instid0(VALU_DEP_1)
	v_mov_b32_e32 v69, v65
	ds_load_2addr_b64 v[64:67], v58 offset0:22 offset1:23
	v_pk_add_f32 v[22:23], v[22:23], v[70:71] neg_lo:[0,1] neg_hi:[0,1]
	v_pk_add_f32 v[20:21], v[20:21], v[68:69] neg_lo:[0,1] neg_hi:[0,1]
	s_wait_dscnt 0x0
	v_pk_mul_f32 v[68:69], v[64:65], v[56:57] op_sel:[0,1]
	v_mul_f32_e32 v56, v67, v57
	s_delay_alu instid0(VALU_DEP_2) | instskip(SKIP_2) | instid1(VALU_DEP_4)
	v_pk_fma_f32 v[70:71], v[64:65], v[54:55], v[68:69] op_sel:[0,0,1] op_sel_hi:[1,1,0] neg_lo:[0,0,1] neg_hi:[0,0,1]
	v_pk_fma_f32 v[64:65], v[64:65], v[54:55], v[68:69] op_sel:[0,0,1] op_sel_hi:[1,0,0]
	v_dual_mov_b32 v64, v67 :: v_dual_mul_f32 v54, v67, v54
	v_pk_fma_f32 v[56:57], v[66:67], v[10:11], v[56:57] op_sel_hi:[1,1,0] neg_lo:[0,0,1] neg_hi:[0,0,1]
	s_delay_alu instid0(VALU_DEP_3) | instskip(NEXT) | instid1(VALU_DEP_1)
	v_dual_mov_b32 v71, v65 :: v_dual_mov_b32 v65, v66
	v_pk_add_f32 v[16:17], v[16:17], v[70:71] neg_lo:[0,1] neg_hi:[0,1]
	s_delay_alu instid0(VALU_DEP_2) | instskip(NEXT) | instid1(VALU_DEP_1)
	v_pk_fma_f32 v[54:55], v[64:65], v[10:11], v[54:55] op_sel_hi:[1,1,0]
	v_mov_b32_e32 v57, v55
	s_delay_alu instid0(VALU_DEP_1)
	v_pk_add_f32 v[52:53], v[52:53], v[56:57] neg_lo:[0,1] neg_hi:[0,1]
.LBB46_125:
	s_or_b32 exec_lo, exec_lo, s0
	v_lshl_add_u32 v54, v62, 3, v58
	s_barrier_signal -1
	s_barrier_wait -1
	ds_store_b64 v54, v[12:13]
	s_wait_dscnt 0x0
	s_barrier_signal -1
	s_barrier_wait -1
	ds_load_b64 v[56:57], v58 offset:48
	v_mov_b32_e32 v54, 6
	s_cmp_lt_i32 s14, 8
	s_cbranch_scc1 .LBB46_128
; %bb.126:
	v_add3_u32 v55, v59, 0, 56
	v_mov_b32_e32 v54, 6
	s_mov_b32 s0, 7
.LBB46_127:                             ; =>This Inner Loop Header: Depth=1
	ds_load_b64 v[64:65], v55
	s_wait_dscnt 0x1
	v_cmp_gt_f32_e32 vcc_lo, 0, v56
	v_cndmask_b32_e64 v66, v56, -v56, vcc_lo
	v_cmp_gt_f32_e32 vcc_lo, 0, v57
	v_cndmask_b32_e64 v68, v57, -v57, vcc_lo
	s_wait_dscnt 0x0
	v_cmp_gt_f32_e32 vcc_lo, 0, v64
	v_cndmask_b32_e64 v67, v64, -v64, vcc_lo
	v_cmp_gt_f32_e32 vcc_lo, 0, v65
	v_cndmask_b32_e64 v69, v65, -v65, vcc_lo
	s_delay_alu instid0(VALU_DEP_1) | instskip(NEXT) | instid1(VALU_DEP_1)
	v_pk_add_f32 v[66:67], v[66:67], v[68:69]
	v_cmp_lt_f32_e32 vcc_lo, v66, v67
	v_dual_add_nc_u32 v55, 8, v55 :: v_dual_cndmask_b32 v57, v57, v65, vcc_lo
	v_cndmask_b32_e32 v56, v56, v64, vcc_lo
	v_cndmask_b32_e64 v54, v54, s0, vcc_lo
	s_add_co_i32 s0, s0, 1
	s_delay_alu instid0(SALU_CYCLE_1)
	s_cmp_lg_u32 s14, s0
	s_cbranch_scc1 .LBB46_127
.LBB46_128:
	s_wait_dscnt 0x0
	v_cmp_eq_f32_e32 vcc_lo, 0, v56
	v_cmp_eq_f32_e64 s0, 0, v57
	s_and_b32 s0, vcc_lo, s0
	s_delay_alu instid0(SALU_CYCLE_1) | instskip(NEXT) | instid1(SALU_CYCLE_1)
	s_and_saveexec_b32 s1, s0
	s_xor_b32 s0, exec_lo, s1
; %bb.129:
	v_cmp_ne_u32_e32 vcc_lo, 0, v60
	v_cndmask_b32_e32 v60, 7, v60, vcc_lo
; %bb.130:
	s_and_not1_saveexec_b32 s0, s0
	s_cbranch_execz .LBB46_136
; %bb.131:
	v_cmp_ngt_f32_e64 s1, |v56|, |v57|
	s_and_saveexec_b32 s15, s1
	s_delay_alu instid0(SALU_CYCLE_1)
	s_xor_b32 s1, exec_lo, s15
	s_cbranch_execz .LBB46_133
; %bb.132:
	v_div_scale_f32 v55, null, v57, v57, v56
	v_div_scale_f32 v65, vcc_lo, v56, v57, v56
	s_delay_alu instid0(VALU_DEP_2) | instskip(SKIP_1) | instid1(TRANS32_DEP_1)
	v_rcp_f32_e32 v63, v55
	v_nop
	v_fma_f32 v64, -v55, v63, 1.0
	s_delay_alu instid0(VALU_DEP_1) | instskip(NEXT) | instid1(VALU_DEP_1)
	v_fmac_f32_e32 v63, v64, v63
	v_mul_f32_e32 v64, v65, v63
	s_delay_alu instid0(VALU_DEP_1) | instskip(NEXT) | instid1(VALU_DEP_1)
	v_fma_f32 v66, -v55, v64, v65
	v_fmac_f32_e32 v64, v66, v63
	s_delay_alu instid0(VALU_DEP_1) | instskip(NEXT) | instid1(VALU_DEP_1)
	v_fma_f32 v55, -v55, v64, v65
	v_div_fmas_f32 v55, v55, v63, v64
	s_delay_alu instid0(VALU_DEP_1) | instskip(NEXT) | instid1(VALU_DEP_1)
	v_div_fixup_f32 v55, v55, v57, v56
	v_fmac_f32_e32 v57, v56, v55
	s_delay_alu instid0(VALU_DEP_1) | instskip(SKIP_1) | instid1(VALU_DEP_2)
	v_div_scale_f32 v56, null, v57, v57, 1.0
	v_div_scale_f32 v65, vcc_lo, 1.0, v57, 1.0
	v_rcp_f32_e32 v63, v56
	v_nop
	s_delay_alu instid0(TRANS32_DEP_1) | instskip(NEXT) | instid1(VALU_DEP_1)
	v_fma_f32 v64, -v56, v63, 1.0
	v_fmac_f32_e32 v63, v64, v63
	s_delay_alu instid0(VALU_DEP_1) | instskip(NEXT) | instid1(VALU_DEP_1)
	v_mul_f32_e32 v64, v65, v63
	v_fma_f32 v66, -v56, v64, v65
	s_delay_alu instid0(VALU_DEP_1) | instskip(NEXT) | instid1(VALU_DEP_1)
	v_fmac_f32_e32 v64, v66, v63
	v_fma_f32 v56, -v56, v64, v65
	s_delay_alu instid0(VALU_DEP_1) | instskip(NEXT) | instid1(VALU_DEP_1)
	v_div_fmas_f32 v56, v56, v63, v64
	v_div_fixup_f32 v57, v56, v57, 1.0
	s_delay_alu instid0(VALU_DEP_1)
	v_mul_f32_e32 v56, v55, v57
	v_xor_b32_e32 v57, 0x80000000, v57
.LBB46_133:
	s_and_not1_saveexec_b32 s1, s1
	s_cbranch_execz .LBB46_135
; %bb.134:
	s_delay_alu instid0(VALU_DEP_1) | instskip(SKIP_1) | instid1(VALU_DEP_2)
	v_div_scale_f32 v55, null, v56, v56, v57
	v_div_scale_f32 v65, vcc_lo, v57, v56, v57
	v_rcp_f32_e32 v63, v55
	v_nop
	s_delay_alu instid0(TRANS32_DEP_1) | instskip(NEXT) | instid1(VALU_DEP_1)
	v_fma_f32 v64, -v55, v63, 1.0
	v_fmac_f32_e32 v63, v64, v63
	s_delay_alu instid0(VALU_DEP_1) | instskip(NEXT) | instid1(VALU_DEP_1)
	v_mul_f32_e32 v64, v65, v63
	v_fma_f32 v66, -v55, v64, v65
	s_delay_alu instid0(VALU_DEP_1) | instskip(NEXT) | instid1(VALU_DEP_1)
	v_fmac_f32_e32 v64, v66, v63
	v_fma_f32 v55, -v55, v64, v65
	s_delay_alu instid0(VALU_DEP_1) | instskip(NEXT) | instid1(VALU_DEP_1)
	v_div_fmas_f32 v55, v55, v63, v64
	v_div_fixup_f32 v55, v55, v56, v57
	s_delay_alu instid0(VALU_DEP_1) | instskip(NEXT) | instid1(VALU_DEP_1)
	v_fmac_f32_e32 v56, v57, v55
	v_div_scale_f32 v57, null, v56, v56, 1.0
	s_delay_alu instid0(VALU_DEP_1) | instskip(SKIP_1) | instid1(TRANS32_DEP_1)
	v_rcp_f32_e32 v63, v57
	v_nop
	v_fma_f32 v64, -v57, v63, 1.0
	s_delay_alu instid0(VALU_DEP_1) | instskip(SKIP_1) | instid1(VALU_DEP_1)
	v_fmac_f32_e32 v63, v64, v63
	v_div_scale_f32 v64, vcc_lo, 1.0, v56, 1.0
	v_mul_f32_e32 v65, v64, v63
	s_delay_alu instid0(VALU_DEP_1) | instskip(NEXT) | instid1(VALU_DEP_1)
	v_fma_f32 v66, -v57, v65, v64
	v_fmac_f32_e32 v65, v66, v63
	s_delay_alu instid0(VALU_DEP_1) | instskip(NEXT) | instid1(VALU_DEP_1)
	v_fma_f32 v57, -v57, v65, v64
	v_div_fmas_f32 v57, v57, v63, v65
	s_delay_alu instid0(VALU_DEP_1) | instskip(NEXT) | instid1(VALU_DEP_1)
	v_div_fixup_f32 v56, v57, v56, 1.0
	v_mul_f32_e64 v57, v55, -v56
.LBB46_135:
	s_or_b32 exec_lo, exec_lo, s1
.LBB46_136:
	s_delay_alu instid0(SALU_CYCLE_1) | instskip(NEXT) | instid1(SALU_CYCLE_1)
	s_or_b32 exec_lo, exec_lo, s0
	s_mov_b32 s0, exec_lo
	v_cmpx_ne_u32_e64 v62, v54
	s_xor_b32 s0, exec_lo, s0
	s_cbranch_execz .LBB46_142
; %bb.137:
	s_mov_b32 s1, exec_lo
	v_cmpx_eq_u32_e32 6, v62
	s_cbranch_execz .LBB46_141
; %bb.138:
	v_cmp_ne_u32_e32 vcc_lo, 6, v54
	s_xor_b32 s15, s12, -1
	s_delay_alu instid0(SALU_CYCLE_1) | instskip(NEXT) | instid1(SALU_CYCLE_1)
	s_and_b32 s16, s15, vcc_lo
	s_and_saveexec_b32 s15, s16
	s_cbranch_execz .LBB46_140
; %bb.139:
	v_ashrrev_i32_e32 v55, 31, v54
	s_delay_alu instid0(VALU_DEP_1)
	v_lshl_add_u64 v[62:63], v[54:55], 2, v[30:31]
	s_clause 0x1
	global_load_b32 v55, v[62:63], off
	global_load_b32 v61, v[30:31], off offset:24
	s_wait_loadcnt 0x1
	global_store_b32 v[30:31], v55, off offset:24
	s_wait_loadcnt 0x0
	global_store_b32 v[62:63], v61, off
.LBB46_140:
	s_wait_xcnt 0x0
	s_or_b32 exec_lo, exec_lo, s15
	v_dual_mov_b32 v62, v54 :: v_dual_mov_b32 v61, v54
.LBB46_141:
	s_or_b32 exec_lo, exec_lo, s1
.LBB46_142:
	s_and_not1_saveexec_b32 s0, s0
	s_cbranch_execz .LBB46_144
; %bb.143:
	v_mov_b32_e32 v62, 6
	ds_store_2addr_b64 v58, v[4:5], v[44:45] offset0:7 offset1:8
	ds_store_2addr_b64 v58, v[40:41], v[42:43] offset0:9 offset1:10
	;; [unrolled: 1-line block ×8, first 2 shown]
	ds_store_b64 v58, v[52:53] offset:184
.LBB46_144:
	s_or_b32 exec_lo, exec_lo, s0
	s_delay_alu instid0(SALU_CYCLE_1)
	s_mov_b32 s0, exec_lo
	s_wait_storecnt_dscnt 0x0
	s_barrier_signal -1
	s_barrier_wait -1
	v_cmpx_lt_i32_e32 6, v62
	s_cbranch_execz .LBB46_146
; %bb.145:
	v_pk_mul_f32 v[64:65], v[56:57], v[12:13] op_sel:[1,1] op_sel_hi:[0,1]
	s_delay_alu instid0(VALU_DEP_1)
	v_pk_fma_f32 v[54:55], v[56:57], v[12:13], v[64:65] op_sel_hi:[1,0,1] neg_lo:[0,0,1] neg_hi:[0,0,1]
	v_pk_fma_f32 v[56:57], v[56:57], v[12:13], v[64:65] op_sel_hi:[1,0,1]
	ds_load_2addr_b64 v[64:67], v58 offset0:7 offset1:8
	v_dual_mov_b32 v12, v54 :: v_dual_mov_b32 v13, v57
	s_wait_dscnt 0x0
	v_pk_mul_f32 v[68:69], v[64:65], v[56:57] op_sel:[0,1]
	s_delay_alu instid0(VALU_DEP_1) | instskip(SKIP_1) | instid1(VALU_DEP_1)
	v_pk_fma_f32 v[70:71], v[64:65], v[54:55], v[68:69] op_sel:[0,0,1] op_sel_hi:[1,1,0] neg_lo:[0,0,1] neg_hi:[0,0,1]
	v_pk_fma_f32 v[64:65], v[64:65], v[54:55], v[68:69] op_sel:[0,0,1] op_sel_hi:[1,0,0]
	v_mov_b32_e32 v71, v65
	v_pk_mul_f32 v[64:65], v[66:67], v[56:57] op_sel:[0,1]
	s_delay_alu instid0(VALU_DEP_1) | instskip(SKIP_1) | instid1(VALU_DEP_1)
	v_pk_fma_f32 v[68:69], v[66:67], v[54:55], v[64:65] op_sel:[0,0,1] op_sel_hi:[1,1,0] neg_lo:[0,0,1] neg_hi:[0,0,1]
	v_pk_fma_f32 v[64:65], v[66:67], v[54:55], v[64:65] op_sel:[0,0,1] op_sel_hi:[1,0,0]
	v_mov_b32_e32 v69, v65
	ds_load_2addr_b64 v[64:67], v58 offset0:9 offset1:10
	v_pk_add_f32 v[4:5], v[4:5], v[70:71] neg_lo:[0,1] neg_hi:[0,1]
	v_pk_add_f32 v[44:45], v[44:45], v[68:69] neg_lo:[0,1] neg_hi:[0,1]
	s_wait_dscnt 0x0
	v_pk_mul_f32 v[68:69], v[64:65], v[56:57] op_sel:[0,1]
	s_delay_alu instid0(VALU_DEP_1) | instskip(SKIP_2) | instid1(VALU_DEP_2)
	v_pk_fma_f32 v[70:71], v[64:65], v[54:55], v[68:69] op_sel:[0,0,1] op_sel_hi:[1,1,0] neg_lo:[0,0,1] neg_hi:[0,0,1]
	v_pk_fma_f32 v[64:65], v[64:65], v[54:55], v[68:69] op_sel:[0,0,1] op_sel_hi:[1,0,0]
	v_dual_mul_f32 v68, v67, v57 :: v_dual_mov_b32 v64, v67
	v_dual_mov_b32 v71, v65 :: v_dual_mov_b32 v65, v66
	s_delay_alu instid0(VALU_DEP_2) | instskip(SKIP_1) | instid1(VALU_DEP_3)
	v_pk_fma_f32 v[68:69], v[66:67], v[12:13], v[68:69] op_sel_hi:[1,1,0] neg_lo:[0,0,1] neg_hi:[0,0,1]
	v_mul_f32_e32 v66, v67, v54
	v_pk_add_f32 v[40:41], v[40:41], v[70:71] neg_lo:[0,1] neg_hi:[0,1]
	s_delay_alu instid0(VALU_DEP_2) | instskip(NEXT) | instid1(VALU_DEP_1)
	v_pk_fma_f32 v[64:65], v[64:65], v[12:13], v[66:67] op_sel_hi:[1,1,0]
	v_mov_b32_e32 v69, v65
	ds_load_2addr_b64 v[64:67], v58 offset0:11 offset1:12
	v_pk_add_f32 v[42:43], v[42:43], v[68:69] neg_lo:[0,1] neg_hi:[0,1]
	s_wait_dscnt 0x0
	v_pk_mul_f32 v[68:69], v[64:65], v[56:57] op_sel:[0,1]
	s_delay_alu instid0(VALU_DEP_1) | instskip(SKIP_1) | instid1(VALU_DEP_1)
	v_pk_fma_f32 v[70:71], v[64:65], v[54:55], v[68:69] op_sel:[0,0,1] op_sel_hi:[1,1,0] neg_lo:[0,0,1] neg_hi:[0,0,1]
	v_pk_fma_f32 v[64:65], v[64:65], v[54:55], v[68:69] op_sel:[0,0,1] op_sel_hi:[1,0,0]
	v_mov_b32_e32 v71, v65
	v_pk_mul_f32 v[64:65], v[66:67], v[56:57] op_sel:[0,1]
	s_delay_alu instid0(VALU_DEP_1) | instskip(SKIP_1) | instid1(VALU_DEP_1)
	v_pk_fma_f32 v[68:69], v[66:67], v[54:55], v[64:65] op_sel:[0,0,1] op_sel_hi:[1,1,0] neg_lo:[0,0,1] neg_hi:[0,0,1]
	v_pk_fma_f32 v[64:65], v[66:67], v[54:55], v[64:65] op_sel:[0,0,1] op_sel_hi:[1,0,0]
	v_mov_b32_e32 v69, v65
	ds_load_2addr_b64 v[64:67], v58 offset0:13 offset1:14
	v_pk_add_f32 v[18:19], v[18:19], v[70:71] neg_lo:[0,1] neg_hi:[0,1]
	v_pk_add_f32 v[38:39], v[38:39], v[68:69] neg_lo:[0,1] neg_hi:[0,1]
	s_wait_dscnt 0x0
	v_pk_mul_f32 v[68:69], v[64:65], v[56:57] op_sel:[0,1]
	s_delay_alu instid0(VALU_DEP_1) | instskip(SKIP_1) | instid1(VALU_DEP_1)
	v_pk_fma_f32 v[70:71], v[64:65], v[54:55], v[68:69] op_sel:[0,0,1] op_sel_hi:[1,1,0] neg_lo:[0,0,1] neg_hi:[0,0,1]
	v_pk_fma_f32 v[64:65], v[64:65], v[54:55], v[68:69] op_sel:[0,0,1] op_sel_hi:[1,0,0]
	v_mov_b32_e32 v71, v65
	v_pk_mul_f32 v[64:65], v[66:67], v[56:57] op_sel:[0,1]
	s_delay_alu instid0(VALU_DEP_1) | instskip(SKIP_1) | instid1(VALU_DEP_1)
	v_pk_fma_f32 v[68:69], v[66:67], v[54:55], v[64:65] op_sel:[0,0,1] op_sel_hi:[1,1,0] neg_lo:[0,0,1] neg_hi:[0,0,1]
	v_pk_fma_f32 v[64:65], v[66:67], v[54:55], v[64:65] op_sel:[0,0,1] op_sel_hi:[1,0,0]
	v_mov_b32_e32 v69, v65
	ds_load_2addr_b64 v[64:67], v58 offset0:15 offset1:16
	v_pk_add_f32 v[34:35], v[34:35], v[70:71] neg_lo:[0,1] neg_hi:[0,1]
	v_pk_add_f32 v[36:37], v[36:37], v[68:69] neg_lo:[0,1] neg_hi:[0,1]
	s_wait_dscnt 0x0
	v_dual_mul_f32 v68, v65, v57 :: v_dual_mul_f32 v70, v65, v54
	s_delay_alu instid0(VALU_DEP_1) | instskip(NEXT) | instid1(VALU_DEP_2)
	v_pk_fma_f32 v[68:69], v[64:65], v[12:13], v[68:69] op_sel_hi:[1,1,0] neg_lo:[0,0,1] neg_hi:[0,0,1]
	v_pk_fma_f32 v[64:65], v[64:65], v[12:13], v[70:71] op_sel:[1,0,0] op_sel_hi:[0,1,0]
	s_delay_alu instid0(VALU_DEP_1) | instskip(SKIP_1) | instid1(VALU_DEP_2)
	v_mov_b32_e32 v69, v65
	v_pk_mul_f32 v[64:65], v[66:67], v[56:57] op_sel:[0,1]
	v_pk_add_f32 v[8:9], v[8:9], v[68:69] neg_lo:[0,1] neg_hi:[0,1]
	s_delay_alu instid0(VALU_DEP_2) | instskip(SKIP_1) | instid1(VALU_DEP_1)
	v_pk_fma_f32 v[68:69], v[66:67], v[54:55], v[64:65] op_sel:[0,0,1] op_sel_hi:[1,1,0] neg_lo:[0,0,1] neg_hi:[0,0,1]
	v_pk_fma_f32 v[64:65], v[66:67], v[54:55], v[64:65] op_sel:[0,0,1] op_sel_hi:[1,0,0]
	v_mov_b32_e32 v69, v65
	ds_load_2addr_b64 v[64:67], v58 offset0:17 offset1:18
	v_pk_add_f32 v[28:29], v[28:29], v[68:69] neg_lo:[0,1] neg_hi:[0,1]
	s_wait_dscnt 0x0
	v_pk_mul_f32 v[68:69], v[64:65], v[56:57] op_sel:[0,1]
	s_delay_alu instid0(VALU_DEP_1) | instskip(SKIP_1) | instid1(VALU_DEP_1)
	v_pk_fma_f32 v[70:71], v[64:65], v[54:55], v[68:69] op_sel:[0,0,1] op_sel_hi:[1,1,0] neg_lo:[0,0,1] neg_hi:[0,0,1]
	v_pk_fma_f32 v[64:65], v[64:65], v[54:55], v[68:69] op_sel:[0,0,1] op_sel_hi:[1,0,0]
	v_mov_b32_e32 v71, v65
	v_pk_mul_f32 v[64:65], v[66:67], v[56:57] op_sel:[0,1]
	s_delay_alu instid0(VALU_DEP_2) | instskip(NEXT) | instid1(VALU_DEP_2)
	v_pk_add_f32 v[24:25], v[24:25], v[70:71] neg_lo:[0,1] neg_hi:[0,1]
	v_pk_fma_f32 v[68:69], v[66:67], v[54:55], v[64:65] op_sel:[0,0,1] op_sel_hi:[1,1,0] neg_lo:[0,0,1] neg_hi:[0,0,1]
	v_pk_fma_f32 v[64:65], v[66:67], v[54:55], v[64:65] op_sel:[0,0,1] op_sel_hi:[1,0,0]
	s_delay_alu instid0(VALU_DEP_1) | instskip(SKIP_4) | instid1(VALU_DEP_1)
	v_mov_b32_e32 v69, v65
	ds_load_2addr_b64 v[64:67], v58 offset0:19 offset1:20
	v_pk_add_f32 v[26:27], v[26:27], v[68:69] neg_lo:[0,1] neg_hi:[0,1]
	s_wait_dscnt 0x0
	v_pk_mul_f32 v[68:69], v[64:65], v[56:57] op_sel:[0,1]
	v_pk_fma_f32 v[70:71], v[64:65], v[54:55], v[68:69] op_sel:[0,0,1] op_sel_hi:[1,1,0] neg_lo:[0,0,1] neg_hi:[0,0,1]
	v_pk_fma_f32 v[64:65], v[64:65], v[54:55], v[68:69] op_sel:[0,0,1] op_sel_hi:[1,0,0]
	v_dual_mul_f32 v68, v67, v57 :: v_dual_mov_b32 v64, v67
	s_delay_alu instid0(VALU_DEP_2) | instskip(NEXT) | instid1(VALU_DEP_2)
	v_dual_mov_b32 v71, v65 :: v_dual_mov_b32 v65, v66
	v_pk_fma_f32 v[68:69], v[66:67], v[12:13], v[68:69] op_sel_hi:[1,1,0] neg_lo:[0,0,1] neg_hi:[0,0,1]
	v_mul_f32_e32 v66, v67, v54
	s_delay_alu instid0(VALU_DEP_3) | instskip(NEXT) | instid1(VALU_DEP_2)
	v_pk_add_f32 v[6:7], v[6:7], v[70:71] neg_lo:[0,1] neg_hi:[0,1]
	v_pk_fma_f32 v[64:65], v[64:65], v[12:13], v[66:67] op_sel_hi:[1,1,0]
	s_delay_alu instid0(VALU_DEP_1) | instskip(SKIP_4) | instid1(VALU_DEP_1)
	v_mov_b32_e32 v69, v65
	ds_load_2addr_b64 v[64:67], v58 offset0:21 offset1:22
	v_pk_add_f32 v[22:23], v[22:23], v[68:69] neg_lo:[0,1] neg_hi:[0,1]
	s_wait_dscnt 0x0
	v_pk_mul_f32 v[68:69], v[64:65], v[56:57] op_sel:[0,1]
	v_pk_fma_f32 v[70:71], v[64:65], v[54:55], v[68:69] op_sel:[0,0,1] op_sel_hi:[1,1,0] neg_lo:[0,0,1] neg_hi:[0,0,1]
	v_pk_fma_f32 v[64:65], v[64:65], v[54:55], v[68:69] op_sel:[0,0,1] op_sel_hi:[1,0,0]
	s_delay_alu instid0(VALU_DEP_1) | instskip(SKIP_1) | instid1(VALU_DEP_1)
	v_mov_b32_e32 v71, v65
	v_pk_mul_f32 v[64:65], v[66:67], v[56:57] op_sel:[0,1]
	v_pk_fma_f32 v[68:69], v[66:67], v[54:55], v[64:65] op_sel:[0,0,1] op_sel_hi:[1,1,0] neg_lo:[0,0,1] neg_hi:[0,0,1]
	v_pk_fma_f32 v[64:65], v[66:67], v[54:55], v[64:65] op_sel:[0,0,1] op_sel_hi:[1,0,0]
	s_delay_alu instid0(VALU_DEP_1)
	v_mov_b32_e32 v69, v65
	ds_load_b64 v[64:65], v58 offset:184
	v_pk_add_f32 v[20:21], v[20:21], v[70:71] neg_lo:[0,1] neg_hi:[0,1]
	v_pk_add_f32 v[16:17], v[16:17], v[68:69] neg_lo:[0,1] neg_hi:[0,1]
	s_wait_dscnt 0x0
	v_pk_mul_f32 v[56:57], v[64:65], v[56:57] op_sel:[0,1]
	s_delay_alu instid0(VALU_DEP_1) | instskip(SKIP_1) | instid1(VALU_DEP_1)
	v_pk_fma_f32 v[66:67], v[64:65], v[54:55], v[56:57] op_sel:[0,0,1] op_sel_hi:[1,1,0] neg_lo:[0,0,1] neg_hi:[0,0,1]
	v_pk_fma_f32 v[54:55], v[64:65], v[54:55], v[56:57] op_sel:[0,0,1] op_sel_hi:[1,0,0]
	v_mov_b32_e32 v67, v55
	s_delay_alu instid0(VALU_DEP_1)
	v_pk_add_f32 v[52:53], v[52:53], v[66:67] neg_lo:[0,1] neg_hi:[0,1]
.LBB46_146:
	s_or_b32 exec_lo, exec_lo, s0
	v_lshl_add_u32 v54, v62, 3, v58
	s_barrier_signal -1
	s_barrier_wait -1
	ds_store_b64 v54, v[4:5]
	s_wait_dscnt 0x0
	s_barrier_signal -1
	s_barrier_wait -1
	ds_load_b64 v[56:57], v58 offset:56
	v_mov_b32_e32 v54, 7
	s_cmp_lt_i32 s14, 9
	s_cbranch_scc1 .LBB46_149
; %bb.147:
	v_add3_u32 v55, v59, 0, 64
	v_mov_b32_e32 v54, 7
	s_mov_b32 s0, 8
.LBB46_148:                             ; =>This Inner Loop Header: Depth=1
	ds_load_b64 v[64:65], v55
	s_wait_dscnt 0x1
	v_cmp_gt_f32_e32 vcc_lo, 0, v56
	v_cndmask_b32_e64 v66, v56, -v56, vcc_lo
	v_cmp_gt_f32_e32 vcc_lo, 0, v57
	v_cndmask_b32_e64 v68, v57, -v57, vcc_lo
	s_wait_dscnt 0x0
	v_cmp_gt_f32_e32 vcc_lo, 0, v64
	v_cndmask_b32_e64 v67, v64, -v64, vcc_lo
	v_cmp_gt_f32_e32 vcc_lo, 0, v65
	v_cndmask_b32_e64 v69, v65, -v65, vcc_lo
	s_delay_alu instid0(VALU_DEP_1) | instskip(NEXT) | instid1(VALU_DEP_1)
	v_pk_add_f32 v[66:67], v[66:67], v[68:69]
	v_cmp_lt_f32_e32 vcc_lo, v66, v67
	v_dual_add_nc_u32 v55, 8, v55 :: v_dual_cndmask_b32 v57, v57, v65, vcc_lo
	v_cndmask_b32_e32 v56, v56, v64, vcc_lo
	v_cndmask_b32_e64 v54, v54, s0, vcc_lo
	s_add_co_i32 s0, s0, 1
	s_delay_alu instid0(SALU_CYCLE_1)
	s_cmp_lg_u32 s14, s0
	s_cbranch_scc1 .LBB46_148
.LBB46_149:
	s_wait_dscnt 0x0
	v_cmp_eq_f32_e32 vcc_lo, 0, v56
	v_cmp_eq_f32_e64 s0, 0, v57
	s_and_b32 s0, vcc_lo, s0
	s_delay_alu instid0(SALU_CYCLE_1) | instskip(NEXT) | instid1(SALU_CYCLE_1)
	s_and_saveexec_b32 s1, s0
	s_xor_b32 s0, exec_lo, s1
; %bb.150:
	v_cmp_ne_u32_e32 vcc_lo, 0, v60
	v_cndmask_b32_e32 v60, 8, v60, vcc_lo
; %bb.151:
	s_and_not1_saveexec_b32 s0, s0
	s_cbranch_execz .LBB46_157
; %bb.152:
	v_cmp_ngt_f32_e64 s1, |v56|, |v57|
	s_and_saveexec_b32 s15, s1
	s_delay_alu instid0(SALU_CYCLE_1)
	s_xor_b32 s1, exec_lo, s15
	s_cbranch_execz .LBB46_154
; %bb.153:
	v_div_scale_f32 v55, null, v57, v57, v56
	v_div_scale_f32 v65, vcc_lo, v56, v57, v56
	s_delay_alu instid0(VALU_DEP_2) | instskip(SKIP_1) | instid1(TRANS32_DEP_1)
	v_rcp_f32_e32 v63, v55
	v_nop
	v_fma_f32 v64, -v55, v63, 1.0
	s_delay_alu instid0(VALU_DEP_1) | instskip(NEXT) | instid1(VALU_DEP_1)
	v_fmac_f32_e32 v63, v64, v63
	v_mul_f32_e32 v64, v65, v63
	s_delay_alu instid0(VALU_DEP_1) | instskip(NEXT) | instid1(VALU_DEP_1)
	v_fma_f32 v66, -v55, v64, v65
	v_fmac_f32_e32 v64, v66, v63
	s_delay_alu instid0(VALU_DEP_1) | instskip(NEXT) | instid1(VALU_DEP_1)
	v_fma_f32 v55, -v55, v64, v65
	v_div_fmas_f32 v55, v55, v63, v64
	s_delay_alu instid0(VALU_DEP_1) | instskip(NEXT) | instid1(VALU_DEP_1)
	v_div_fixup_f32 v55, v55, v57, v56
	v_fmac_f32_e32 v57, v56, v55
	s_delay_alu instid0(VALU_DEP_1) | instskip(SKIP_1) | instid1(VALU_DEP_2)
	v_div_scale_f32 v56, null, v57, v57, 1.0
	v_div_scale_f32 v65, vcc_lo, 1.0, v57, 1.0
	v_rcp_f32_e32 v63, v56
	v_nop
	s_delay_alu instid0(TRANS32_DEP_1) | instskip(NEXT) | instid1(VALU_DEP_1)
	v_fma_f32 v64, -v56, v63, 1.0
	v_fmac_f32_e32 v63, v64, v63
	s_delay_alu instid0(VALU_DEP_1) | instskip(NEXT) | instid1(VALU_DEP_1)
	v_mul_f32_e32 v64, v65, v63
	v_fma_f32 v66, -v56, v64, v65
	s_delay_alu instid0(VALU_DEP_1) | instskip(NEXT) | instid1(VALU_DEP_1)
	v_fmac_f32_e32 v64, v66, v63
	v_fma_f32 v56, -v56, v64, v65
	s_delay_alu instid0(VALU_DEP_1) | instskip(NEXT) | instid1(VALU_DEP_1)
	v_div_fmas_f32 v56, v56, v63, v64
	v_div_fixup_f32 v57, v56, v57, 1.0
	s_delay_alu instid0(VALU_DEP_1)
	v_mul_f32_e32 v56, v55, v57
	v_xor_b32_e32 v57, 0x80000000, v57
.LBB46_154:
	s_and_not1_saveexec_b32 s1, s1
	s_cbranch_execz .LBB46_156
; %bb.155:
	s_delay_alu instid0(VALU_DEP_1) | instskip(SKIP_1) | instid1(VALU_DEP_2)
	v_div_scale_f32 v55, null, v56, v56, v57
	v_div_scale_f32 v65, vcc_lo, v57, v56, v57
	v_rcp_f32_e32 v63, v55
	v_nop
	s_delay_alu instid0(TRANS32_DEP_1) | instskip(NEXT) | instid1(VALU_DEP_1)
	v_fma_f32 v64, -v55, v63, 1.0
	v_fmac_f32_e32 v63, v64, v63
	s_delay_alu instid0(VALU_DEP_1) | instskip(NEXT) | instid1(VALU_DEP_1)
	v_mul_f32_e32 v64, v65, v63
	v_fma_f32 v66, -v55, v64, v65
	s_delay_alu instid0(VALU_DEP_1) | instskip(NEXT) | instid1(VALU_DEP_1)
	v_fmac_f32_e32 v64, v66, v63
	v_fma_f32 v55, -v55, v64, v65
	s_delay_alu instid0(VALU_DEP_1) | instskip(NEXT) | instid1(VALU_DEP_1)
	v_div_fmas_f32 v55, v55, v63, v64
	v_div_fixup_f32 v55, v55, v56, v57
	s_delay_alu instid0(VALU_DEP_1) | instskip(NEXT) | instid1(VALU_DEP_1)
	v_fmac_f32_e32 v56, v57, v55
	v_div_scale_f32 v57, null, v56, v56, 1.0
	s_delay_alu instid0(VALU_DEP_1) | instskip(SKIP_1) | instid1(TRANS32_DEP_1)
	v_rcp_f32_e32 v63, v57
	v_nop
	v_fma_f32 v64, -v57, v63, 1.0
	s_delay_alu instid0(VALU_DEP_1) | instskip(SKIP_1) | instid1(VALU_DEP_1)
	v_fmac_f32_e32 v63, v64, v63
	v_div_scale_f32 v64, vcc_lo, 1.0, v56, 1.0
	v_mul_f32_e32 v65, v64, v63
	s_delay_alu instid0(VALU_DEP_1) | instskip(NEXT) | instid1(VALU_DEP_1)
	v_fma_f32 v66, -v57, v65, v64
	v_fmac_f32_e32 v65, v66, v63
	s_delay_alu instid0(VALU_DEP_1) | instskip(NEXT) | instid1(VALU_DEP_1)
	v_fma_f32 v57, -v57, v65, v64
	v_div_fmas_f32 v57, v57, v63, v65
	s_delay_alu instid0(VALU_DEP_1) | instskip(NEXT) | instid1(VALU_DEP_1)
	v_div_fixup_f32 v56, v57, v56, 1.0
	v_mul_f32_e64 v57, v55, -v56
.LBB46_156:
	s_or_b32 exec_lo, exec_lo, s1
.LBB46_157:
	s_delay_alu instid0(SALU_CYCLE_1) | instskip(NEXT) | instid1(SALU_CYCLE_1)
	s_or_b32 exec_lo, exec_lo, s0
	s_mov_b32 s0, exec_lo
	v_cmpx_ne_u32_e64 v62, v54
	s_xor_b32 s0, exec_lo, s0
	s_cbranch_execz .LBB46_163
; %bb.158:
	s_mov_b32 s1, exec_lo
	v_cmpx_eq_u32_e32 7, v62
	s_cbranch_execz .LBB46_162
; %bb.159:
	v_cmp_ne_u32_e32 vcc_lo, 7, v54
	s_xor_b32 s15, s12, -1
	s_delay_alu instid0(SALU_CYCLE_1) | instskip(NEXT) | instid1(SALU_CYCLE_1)
	s_and_b32 s16, s15, vcc_lo
	s_and_saveexec_b32 s15, s16
	s_cbranch_execz .LBB46_161
; %bb.160:
	v_ashrrev_i32_e32 v55, 31, v54
	s_delay_alu instid0(VALU_DEP_1)
	v_lshl_add_u64 v[62:63], v[54:55], 2, v[30:31]
	s_clause 0x1
	global_load_b32 v55, v[62:63], off
	global_load_b32 v61, v[30:31], off offset:28
	s_wait_loadcnt 0x1
	global_store_b32 v[30:31], v55, off offset:28
	s_wait_loadcnt 0x0
	global_store_b32 v[62:63], v61, off
.LBB46_161:
	s_wait_xcnt 0x0
	s_or_b32 exec_lo, exec_lo, s15
	v_dual_mov_b32 v62, v54 :: v_dual_mov_b32 v61, v54
.LBB46_162:
	s_or_b32 exec_lo, exec_lo, s1
.LBB46_163:
	s_and_not1_saveexec_b32 s0, s0
	s_cbranch_execz .LBB46_165
; %bb.164:
	v_dual_mov_b32 v54, v44 :: v_dual_mov_b32 v55, v45
	v_dual_mov_b32 v62, v40 :: v_dual_mov_b32 v63, v41
	;; [unrolled: 1-line block ×8, first 2 shown]
	ds_store_2addr_b64 v58, v[54:55], v[62:63] offset0:8 offset1:9
	ds_store_2addr_b64 v58, v[64:65], v[66:67] offset0:10 offset1:11
	;; [unrolled: 1-line block ×4, first 2 shown]
	v_dual_mov_b32 v54, v28 :: v_dual_mov_b32 v55, v29
	v_dual_mov_b32 v64, v24 :: v_dual_mov_b32 v65, v25
	;; [unrolled: 1-line block ×7, first 2 shown]
	v_mov_b32_e32 v75, v17
	ds_store_2addr_b64 v58, v[54:55], v[64:65] offset0:16 offset1:17
	ds_store_2addr_b64 v58, v[66:67], v[68:69] offset0:18 offset1:19
	;; [unrolled: 1-line block ×4, first 2 shown]
.LBB46_165:
	s_or_b32 exec_lo, exec_lo, s0
	s_delay_alu instid0(SALU_CYCLE_1)
	s_mov_b32 s0, exec_lo
	s_wait_storecnt_dscnt 0x0
	s_barrier_signal -1
	s_barrier_wait -1
	v_cmpx_lt_i32_e32 7, v62
	s_cbranch_execz .LBB46_167
; %bb.166:
	v_pk_mul_f32 v[64:65], v[56:57], v[4:5] op_sel:[1,1] op_sel_hi:[0,1]
	s_delay_alu instid0(VALU_DEP_1)
	v_pk_fma_f32 v[54:55], v[56:57], v[4:5], v[64:65] op_sel_hi:[1,0,1] neg_lo:[0,0,1] neg_hi:[0,0,1]
	v_pk_fma_f32 v[56:57], v[56:57], v[4:5], v[64:65] op_sel_hi:[1,0,1]
	ds_load_2addr_b64 v[64:67], v58 offset0:8 offset1:9
	v_dual_mov_b32 v4, v54 :: v_dual_mov_b32 v5, v57
	s_wait_dscnt 0x0
	v_pk_mul_f32 v[68:69], v[64:65], v[56:57] op_sel:[0,1]
	s_delay_alu instid0(VALU_DEP_1) | instskip(SKIP_1) | instid1(VALU_DEP_1)
	v_pk_fma_f32 v[70:71], v[64:65], v[54:55], v[68:69] op_sel:[0,0,1] op_sel_hi:[1,1,0] neg_lo:[0,0,1] neg_hi:[0,0,1]
	v_pk_fma_f32 v[64:65], v[64:65], v[54:55], v[68:69] op_sel:[0,0,1] op_sel_hi:[1,0,0]
	v_mov_b32_e32 v71, v65
	v_pk_mul_f32 v[64:65], v[66:67], v[56:57] op_sel:[0,1]
	s_delay_alu instid0(VALU_DEP_1) | instskip(SKIP_1) | instid1(VALU_DEP_1)
	v_pk_fma_f32 v[68:69], v[66:67], v[54:55], v[64:65] op_sel:[0,0,1] op_sel_hi:[1,1,0] neg_lo:[0,0,1] neg_hi:[0,0,1]
	v_pk_fma_f32 v[64:65], v[66:67], v[54:55], v[64:65] op_sel:[0,0,1] op_sel_hi:[1,0,0]
	v_mov_b32_e32 v69, v65
	ds_load_2addr_b64 v[64:67], v58 offset0:10 offset1:11
	v_pk_add_f32 v[44:45], v[44:45], v[70:71] neg_lo:[0,1] neg_hi:[0,1]
	v_pk_add_f32 v[40:41], v[40:41], v[68:69] neg_lo:[0,1] neg_hi:[0,1]
	s_wait_dscnt 0x0
	v_pk_mul_f32 v[68:69], v[64:65], v[56:57] op_sel:[0,1]
	s_delay_alu instid0(VALU_DEP_1) | instskip(SKIP_2) | instid1(VALU_DEP_2)
	v_pk_fma_f32 v[70:71], v[64:65], v[54:55], v[68:69] op_sel:[0,0,1] op_sel_hi:[1,1,0] neg_lo:[0,0,1] neg_hi:[0,0,1]
	v_pk_fma_f32 v[64:65], v[64:65], v[54:55], v[68:69] op_sel:[0,0,1] op_sel_hi:[1,0,0]
	v_dual_mul_f32 v68, v67, v57 :: v_dual_mov_b32 v64, v67
	v_dual_mov_b32 v71, v65 :: v_dual_mov_b32 v65, v66
	s_delay_alu instid0(VALU_DEP_2) | instskip(SKIP_1) | instid1(VALU_DEP_3)
	v_pk_fma_f32 v[68:69], v[66:67], v[4:5], v[68:69] op_sel_hi:[1,1,0] neg_lo:[0,0,1] neg_hi:[0,0,1]
	v_mul_f32_e32 v66, v67, v54
	v_pk_add_f32 v[42:43], v[42:43], v[70:71] neg_lo:[0,1] neg_hi:[0,1]
	s_delay_alu instid0(VALU_DEP_2) | instskip(NEXT) | instid1(VALU_DEP_1)
	v_pk_fma_f32 v[64:65], v[64:65], v[4:5], v[66:67] op_sel_hi:[1,1,0]
	v_mov_b32_e32 v69, v65
	ds_load_2addr_b64 v[64:67], v58 offset0:12 offset1:13
	v_pk_add_f32 v[18:19], v[18:19], v[68:69] neg_lo:[0,1] neg_hi:[0,1]
	s_wait_dscnt 0x0
	v_pk_mul_f32 v[68:69], v[64:65], v[56:57] op_sel:[0,1]
	s_delay_alu instid0(VALU_DEP_1) | instskip(SKIP_1) | instid1(VALU_DEP_1)
	v_pk_fma_f32 v[70:71], v[64:65], v[54:55], v[68:69] op_sel:[0,0,1] op_sel_hi:[1,1,0] neg_lo:[0,0,1] neg_hi:[0,0,1]
	v_pk_fma_f32 v[64:65], v[64:65], v[54:55], v[68:69] op_sel:[0,0,1] op_sel_hi:[1,0,0]
	v_mov_b32_e32 v71, v65
	v_pk_mul_f32 v[64:65], v[66:67], v[56:57] op_sel:[0,1]
	s_delay_alu instid0(VALU_DEP_1) | instskip(SKIP_1) | instid1(VALU_DEP_1)
	v_pk_fma_f32 v[68:69], v[66:67], v[54:55], v[64:65] op_sel:[0,0,1] op_sel_hi:[1,1,0] neg_lo:[0,0,1] neg_hi:[0,0,1]
	v_pk_fma_f32 v[64:65], v[66:67], v[54:55], v[64:65] op_sel:[0,0,1] op_sel_hi:[1,0,0]
	v_mov_b32_e32 v69, v65
	ds_load_2addr_b64 v[64:67], v58 offset0:14 offset1:15
	v_pk_add_f32 v[38:39], v[38:39], v[70:71] neg_lo:[0,1] neg_hi:[0,1]
	v_pk_add_f32 v[34:35], v[34:35], v[68:69] neg_lo:[0,1] neg_hi:[0,1]
	s_wait_dscnt 0x0
	v_pk_mul_f32 v[68:69], v[64:65], v[56:57] op_sel:[0,1]
	s_delay_alu instid0(VALU_DEP_1) | instskip(SKIP_1) | instid1(VALU_DEP_1)
	v_pk_fma_f32 v[70:71], v[64:65], v[54:55], v[68:69] op_sel:[0,0,1] op_sel_hi:[1,1,0] neg_lo:[0,0,1] neg_hi:[0,0,1]
	v_pk_fma_f32 v[64:65], v[64:65], v[54:55], v[68:69] op_sel:[0,0,1] op_sel_hi:[1,0,0]
	v_mov_b32_e32 v71, v65
	v_pk_mul_f32 v[64:65], v[66:67], v[56:57] op_sel:[0,1]
	s_delay_alu instid0(VALU_DEP_1) | instskip(SKIP_1) | instid1(VALU_DEP_1)
	v_pk_fma_f32 v[68:69], v[66:67], v[54:55], v[64:65] op_sel:[0,0,1] op_sel_hi:[1,1,0] neg_lo:[0,0,1] neg_hi:[0,0,1]
	v_pk_fma_f32 v[64:65], v[66:67], v[54:55], v[64:65] op_sel:[0,0,1] op_sel_hi:[1,0,0]
	v_mov_b32_e32 v69, v65
	ds_load_2addr_b64 v[64:67], v58 offset0:16 offset1:17
	v_pk_add_f32 v[36:37], v[36:37], v[70:71] neg_lo:[0,1] neg_hi:[0,1]
	v_pk_add_f32 v[8:9], v[8:9], v[68:69] neg_lo:[0,1] neg_hi:[0,1]
	s_wait_dscnt 0x0
	v_dual_mul_f32 v68, v65, v57 :: v_dual_mul_f32 v70, v65, v54
	s_delay_alu instid0(VALU_DEP_1) | instskip(NEXT) | instid1(VALU_DEP_2)
	v_pk_fma_f32 v[68:69], v[64:65], v[4:5], v[68:69] op_sel_hi:[1,1,0] neg_lo:[0,0,1] neg_hi:[0,0,1]
	v_pk_fma_f32 v[64:65], v[64:65], v[4:5], v[70:71] op_sel:[1,0,0] op_sel_hi:[0,1,0]
	s_delay_alu instid0(VALU_DEP_1) | instskip(SKIP_1) | instid1(VALU_DEP_2)
	v_mov_b32_e32 v69, v65
	v_pk_mul_f32 v[64:65], v[66:67], v[56:57] op_sel:[0,1]
	v_pk_add_f32 v[28:29], v[28:29], v[68:69] neg_lo:[0,1] neg_hi:[0,1]
	s_delay_alu instid0(VALU_DEP_2) | instskip(SKIP_1) | instid1(VALU_DEP_1)
	v_pk_fma_f32 v[68:69], v[66:67], v[54:55], v[64:65] op_sel:[0,0,1] op_sel_hi:[1,1,0] neg_lo:[0,0,1] neg_hi:[0,0,1]
	v_pk_fma_f32 v[64:65], v[66:67], v[54:55], v[64:65] op_sel:[0,0,1] op_sel_hi:[1,0,0]
	v_mov_b32_e32 v69, v65
	ds_load_2addr_b64 v[64:67], v58 offset0:18 offset1:19
	v_pk_add_f32 v[24:25], v[24:25], v[68:69] neg_lo:[0,1] neg_hi:[0,1]
	s_wait_dscnt 0x0
	v_pk_mul_f32 v[68:69], v[64:65], v[56:57] op_sel:[0,1]
	s_delay_alu instid0(VALU_DEP_1) | instskip(SKIP_1) | instid1(VALU_DEP_1)
	v_pk_fma_f32 v[70:71], v[64:65], v[54:55], v[68:69] op_sel:[0,0,1] op_sel_hi:[1,1,0] neg_lo:[0,0,1] neg_hi:[0,0,1]
	v_pk_fma_f32 v[64:65], v[64:65], v[54:55], v[68:69] op_sel:[0,0,1] op_sel_hi:[1,0,0]
	v_mov_b32_e32 v71, v65
	v_pk_mul_f32 v[64:65], v[66:67], v[56:57] op_sel:[0,1]
	s_delay_alu instid0(VALU_DEP_2) | instskip(NEXT) | instid1(VALU_DEP_2)
	v_pk_add_f32 v[26:27], v[26:27], v[70:71] neg_lo:[0,1] neg_hi:[0,1]
	v_pk_fma_f32 v[68:69], v[66:67], v[54:55], v[64:65] op_sel:[0,0,1] op_sel_hi:[1,1,0] neg_lo:[0,0,1] neg_hi:[0,0,1]
	v_pk_fma_f32 v[64:65], v[66:67], v[54:55], v[64:65] op_sel:[0,0,1] op_sel_hi:[1,0,0]
	s_delay_alu instid0(VALU_DEP_1) | instskip(SKIP_4) | instid1(VALU_DEP_1)
	v_mov_b32_e32 v69, v65
	ds_load_2addr_b64 v[64:67], v58 offset0:20 offset1:21
	v_pk_add_f32 v[6:7], v[6:7], v[68:69] neg_lo:[0,1] neg_hi:[0,1]
	s_wait_dscnt 0x0
	v_pk_mul_f32 v[68:69], v[64:65], v[56:57] op_sel:[0,1]
	v_pk_fma_f32 v[70:71], v[64:65], v[54:55], v[68:69] op_sel:[0,0,1] op_sel_hi:[1,1,0] neg_lo:[0,0,1] neg_hi:[0,0,1]
	v_pk_fma_f32 v[64:65], v[64:65], v[54:55], v[68:69] op_sel:[0,0,1] op_sel_hi:[1,0,0]
	v_dual_mul_f32 v68, v67, v57 :: v_dual_mov_b32 v64, v67
	s_delay_alu instid0(VALU_DEP_2) | instskip(NEXT) | instid1(VALU_DEP_2)
	v_dual_mov_b32 v71, v65 :: v_dual_mov_b32 v65, v66
	v_pk_fma_f32 v[68:69], v[66:67], v[4:5], v[68:69] op_sel_hi:[1,1,0] neg_lo:[0,0,1] neg_hi:[0,0,1]
	v_mul_f32_e32 v66, v67, v54
	s_delay_alu instid0(VALU_DEP_3) | instskip(NEXT) | instid1(VALU_DEP_2)
	v_pk_add_f32 v[22:23], v[22:23], v[70:71] neg_lo:[0,1] neg_hi:[0,1]
	v_pk_fma_f32 v[64:65], v[64:65], v[4:5], v[66:67] op_sel_hi:[1,1,0]
	s_delay_alu instid0(VALU_DEP_1)
	v_mov_b32_e32 v69, v65
	ds_load_2addr_b64 v[64:67], v58 offset0:22 offset1:23
	v_pk_add_f32 v[20:21], v[20:21], v[68:69] neg_lo:[0,1] neg_hi:[0,1]
	s_wait_dscnt 0x0
	v_pk_mul_f32 v[68:69], v[64:65], v[56:57] op_sel:[0,1]
	v_pk_mul_f32 v[56:57], v[66:67], v[56:57] op_sel:[0,1]
	s_delay_alu instid0(VALU_DEP_2) | instskip(SKIP_1) | instid1(VALU_DEP_1)
	v_pk_fma_f32 v[70:71], v[64:65], v[54:55], v[68:69] op_sel:[0,0,1] op_sel_hi:[1,1,0] neg_lo:[0,0,1] neg_hi:[0,0,1]
	v_pk_fma_f32 v[64:65], v[64:65], v[54:55], v[68:69] op_sel:[0,0,1] op_sel_hi:[1,0,0]
	v_mov_b32_e32 v71, v65
	s_delay_alu instid0(VALU_DEP_4) | instskip(SKIP_1) | instid1(VALU_DEP_1)
	v_pk_fma_f32 v[64:65], v[66:67], v[54:55], v[56:57] op_sel:[0,0,1] op_sel_hi:[1,1,0] neg_lo:[0,0,1] neg_hi:[0,0,1]
	v_pk_fma_f32 v[54:55], v[66:67], v[54:55], v[56:57] op_sel:[0,0,1] op_sel_hi:[1,0,0]
	v_mov_b32_e32 v65, v55
	s_delay_alu instid0(VALU_DEP_4) | instskip(NEXT) | instid1(VALU_DEP_2)
	v_pk_add_f32 v[16:17], v[16:17], v[70:71] neg_lo:[0,1] neg_hi:[0,1]
	v_pk_add_f32 v[52:53], v[52:53], v[64:65] neg_lo:[0,1] neg_hi:[0,1]
.LBB46_167:
	s_or_b32 exec_lo, exec_lo, s0
	v_lshl_add_u32 v54, v62, 3, v58
	s_barrier_signal -1
	s_barrier_wait -1
	ds_store_b64 v54, v[44:45]
	s_wait_dscnt 0x0
	s_barrier_signal -1
	s_barrier_wait -1
	ds_load_b64 v[56:57], v58 offset:64
	v_mov_b32_e32 v54, 8
	s_cmp_lt_i32 s14, 10
	s_cbranch_scc1 .LBB46_170
; %bb.168:
	v_add3_u32 v55, v59, 0, 0x48
	v_mov_b32_e32 v54, 8
	s_mov_b32 s0, 9
.LBB46_169:                             ; =>This Inner Loop Header: Depth=1
	ds_load_b64 v[64:65], v55
	s_wait_dscnt 0x1
	v_cmp_gt_f32_e32 vcc_lo, 0, v56
	v_cndmask_b32_e64 v66, v56, -v56, vcc_lo
	v_cmp_gt_f32_e32 vcc_lo, 0, v57
	v_cndmask_b32_e64 v68, v57, -v57, vcc_lo
	s_wait_dscnt 0x0
	v_cmp_gt_f32_e32 vcc_lo, 0, v64
	v_cndmask_b32_e64 v67, v64, -v64, vcc_lo
	v_cmp_gt_f32_e32 vcc_lo, 0, v65
	v_cndmask_b32_e64 v69, v65, -v65, vcc_lo
	s_delay_alu instid0(VALU_DEP_1) | instskip(NEXT) | instid1(VALU_DEP_1)
	v_pk_add_f32 v[66:67], v[66:67], v[68:69]
	v_cmp_lt_f32_e32 vcc_lo, v66, v67
	v_dual_add_nc_u32 v55, 8, v55 :: v_dual_cndmask_b32 v57, v57, v65, vcc_lo
	v_cndmask_b32_e32 v56, v56, v64, vcc_lo
	v_cndmask_b32_e64 v54, v54, s0, vcc_lo
	s_add_co_i32 s0, s0, 1
	s_delay_alu instid0(SALU_CYCLE_1)
	s_cmp_lg_u32 s14, s0
	s_cbranch_scc1 .LBB46_169
.LBB46_170:
	s_wait_dscnt 0x0
	v_cmp_eq_f32_e32 vcc_lo, 0, v56
	v_cmp_eq_f32_e64 s0, 0, v57
	s_and_b32 s0, vcc_lo, s0
	s_delay_alu instid0(SALU_CYCLE_1) | instskip(NEXT) | instid1(SALU_CYCLE_1)
	s_and_saveexec_b32 s1, s0
	s_xor_b32 s0, exec_lo, s1
; %bb.171:
	v_cmp_ne_u32_e32 vcc_lo, 0, v60
	v_cndmask_b32_e32 v60, 9, v60, vcc_lo
; %bb.172:
	s_and_not1_saveexec_b32 s0, s0
	s_cbranch_execz .LBB46_178
; %bb.173:
	v_cmp_ngt_f32_e64 s1, |v56|, |v57|
	s_and_saveexec_b32 s15, s1
	s_delay_alu instid0(SALU_CYCLE_1)
	s_xor_b32 s1, exec_lo, s15
	s_cbranch_execz .LBB46_175
; %bb.174:
	v_div_scale_f32 v55, null, v57, v57, v56
	v_div_scale_f32 v65, vcc_lo, v56, v57, v56
	s_delay_alu instid0(VALU_DEP_2) | instskip(SKIP_1) | instid1(TRANS32_DEP_1)
	v_rcp_f32_e32 v63, v55
	v_nop
	v_fma_f32 v64, -v55, v63, 1.0
	s_delay_alu instid0(VALU_DEP_1) | instskip(NEXT) | instid1(VALU_DEP_1)
	v_fmac_f32_e32 v63, v64, v63
	v_mul_f32_e32 v64, v65, v63
	s_delay_alu instid0(VALU_DEP_1) | instskip(NEXT) | instid1(VALU_DEP_1)
	v_fma_f32 v66, -v55, v64, v65
	v_fmac_f32_e32 v64, v66, v63
	s_delay_alu instid0(VALU_DEP_1) | instskip(NEXT) | instid1(VALU_DEP_1)
	v_fma_f32 v55, -v55, v64, v65
	v_div_fmas_f32 v55, v55, v63, v64
	s_delay_alu instid0(VALU_DEP_1) | instskip(NEXT) | instid1(VALU_DEP_1)
	v_div_fixup_f32 v55, v55, v57, v56
	v_fmac_f32_e32 v57, v56, v55
	s_delay_alu instid0(VALU_DEP_1) | instskip(SKIP_1) | instid1(VALU_DEP_2)
	v_div_scale_f32 v56, null, v57, v57, 1.0
	v_div_scale_f32 v65, vcc_lo, 1.0, v57, 1.0
	v_rcp_f32_e32 v63, v56
	v_nop
	s_delay_alu instid0(TRANS32_DEP_1) | instskip(NEXT) | instid1(VALU_DEP_1)
	v_fma_f32 v64, -v56, v63, 1.0
	v_fmac_f32_e32 v63, v64, v63
	s_delay_alu instid0(VALU_DEP_1) | instskip(NEXT) | instid1(VALU_DEP_1)
	v_mul_f32_e32 v64, v65, v63
	v_fma_f32 v66, -v56, v64, v65
	s_delay_alu instid0(VALU_DEP_1) | instskip(NEXT) | instid1(VALU_DEP_1)
	v_fmac_f32_e32 v64, v66, v63
	v_fma_f32 v56, -v56, v64, v65
	s_delay_alu instid0(VALU_DEP_1) | instskip(NEXT) | instid1(VALU_DEP_1)
	v_div_fmas_f32 v56, v56, v63, v64
	v_div_fixup_f32 v57, v56, v57, 1.0
	s_delay_alu instid0(VALU_DEP_1)
	v_mul_f32_e32 v56, v55, v57
	v_xor_b32_e32 v57, 0x80000000, v57
.LBB46_175:
	s_and_not1_saveexec_b32 s1, s1
	s_cbranch_execz .LBB46_177
; %bb.176:
	s_delay_alu instid0(VALU_DEP_1) | instskip(SKIP_1) | instid1(VALU_DEP_2)
	v_div_scale_f32 v55, null, v56, v56, v57
	v_div_scale_f32 v65, vcc_lo, v57, v56, v57
	v_rcp_f32_e32 v63, v55
	v_nop
	s_delay_alu instid0(TRANS32_DEP_1) | instskip(NEXT) | instid1(VALU_DEP_1)
	v_fma_f32 v64, -v55, v63, 1.0
	v_fmac_f32_e32 v63, v64, v63
	s_delay_alu instid0(VALU_DEP_1) | instskip(NEXT) | instid1(VALU_DEP_1)
	v_mul_f32_e32 v64, v65, v63
	v_fma_f32 v66, -v55, v64, v65
	s_delay_alu instid0(VALU_DEP_1) | instskip(NEXT) | instid1(VALU_DEP_1)
	v_fmac_f32_e32 v64, v66, v63
	v_fma_f32 v55, -v55, v64, v65
	s_delay_alu instid0(VALU_DEP_1) | instskip(NEXT) | instid1(VALU_DEP_1)
	v_div_fmas_f32 v55, v55, v63, v64
	v_div_fixup_f32 v55, v55, v56, v57
	s_delay_alu instid0(VALU_DEP_1) | instskip(NEXT) | instid1(VALU_DEP_1)
	v_fmac_f32_e32 v56, v57, v55
	v_div_scale_f32 v57, null, v56, v56, 1.0
	s_delay_alu instid0(VALU_DEP_1) | instskip(SKIP_1) | instid1(TRANS32_DEP_1)
	v_rcp_f32_e32 v63, v57
	v_nop
	v_fma_f32 v64, -v57, v63, 1.0
	s_delay_alu instid0(VALU_DEP_1) | instskip(SKIP_1) | instid1(VALU_DEP_1)
	v_fmac_f32_e32 v63, v64, v63
	v_div_scale_f32 v64, vcc_lo, 1.0, v56, 1.0
	v_mul_f32_e32 v65, v64, v63
	s_delay_alu instid0(VALU_DEP_1) | instskip(NEXT) | instid1(VALU_DEP_1)
	v_fma_f32 v66, -v57, v65, v64
	v_fmac_f32_e32 v65, v66, v63
	s_delay_alu instid0(VALU_DEP_1) | instskip(NEXT) | instid1(VALU_DEP_1)
	v_fma_f32 v57, -v57, v65, v64
	v_div_fmas_f32 v57, v57, v63, v65
	s_delay_alu instid0(VALU_DEP_1) | instskip(NEXT) | instid1(VALU_DEP_1)
	v_div_fixup_f32 v56, v57, v56, 1.0
	v_mul_f32_e64 v57, v55, -v56
.LBB46_177:
	s_or_b32 exec_lo, exec_lo, s1
.LBB46_178:
	s_delay_alu instid0(SALU_CYCLE_1) | instskip(NEXT) | instid1(SALU_CYCLE_1)
	s_or_b32 exec_lo, exec_lo, s0
	s_mov_b32 s0, exec_lo
	v_cmpx_ne_u32_e64 v62, v54
	s_xor_b32 s0, exec_lo, s0
	s_cbranch_execz .LBB46_184
; %bb.179:
	s_mov_b32 s1, exec_lo
	v_cmpx_eq_u32_e32 8, v62
	s_cbranch_execz .LBB46_183
; %bb.180:
	v_cmp_ne_u32_e32 vcc_lo, 8, v54
	s_xor_b32 s15, s12, -1
	s_delay_alu instid0(SALU_CYCLE_1) | instskip(NEXT) | instid1(SALU_CYCLE_1)
	s_and_b32 s16, s15, vcc_lo
	s_and_saveexec_b32 s15, s16
	s_cbranch_execz .LBB46_182
; %bb.181:
	v_ashrrev_i32_e32 v55, 31, v54
	s_delay_alu instid0(VALU_DEP_1)
	v_lshl_add_u64 v[62:63], v[54:55], 2, v[30:31]
	s_clause 0x1
	global_load_b32 v55, v[62:63], off
	global_load_b32 v61, v[30:31], off offset:32
	s_wait_loadcnt 0x1
	global_store_b32 v[30:31], v55, off offset:32
	s_wait_loadcnt 0x0
	global_store_b32 v[62:63], v61, off
.LBB46_182:
	s_wait_xcnt 0x0
	s_or_b32 exec_lo, exec_lo, s15
	v_dual_mov_b32 v62, v54 :: v_dual_mov_b32 v61, v54
.LBB46_183:
	s_or_b32 exec_lo, exec_lo, s1
.LBB46_184:
	s_and_not1_saveexec_b32 s0, s0
	s_cbranch_execz .LBB46_186
; %bb.185:
	v_mov_b32_e32 v62, 8
	ds_store_2addr_b64 v58, v[40:41], v[42:43] offset0:9 offset1:10
	ds_store_2addr_b64 v58, v[18:19], v[38:39] offset0:11 offset1:12
	;; [unrolled: 1-line block ×7, first 2 shown]
	ds_store_b64 v58, v[52:53] offset:184
.LBB46_186:
	s_or_b32 exec_lo, exec_lo, s0
	s_delay_alu instid0(SALU_CYCLE_1)
	s_mov_b32 s0, exec_lo
	s_wait_storecnt_dscnt 0x0
	s_barrier_signal -1
	s_barrier_wait -1
	v_cmpx_lt_i32_e32 8, v62
	s_cbranch_execz .LBB46_188
; %bb.187:
	v_pk_mul_f32 v[64:65], v[56:57], v[44:45] op_sel:[1,1] op_sel_hi:[0,1]
	s_delay_alu instid0(VALU_DEP_1)
	v_pk_fma_f32 v[54:55], v[56:57], v[44:45], v[64:65] op_sel_hi:[1,0,1] neg_lo:[0,0,1] neg_hi:[0,0,1]
	v_pk_fma_f32 v[56:57], v[56:57], v[44:45], v[64:65] op_sel_hi:[1,0,1]
	ds_load_2addr_b64 v[64:67], v58 offset0:9 offset1:10
	v_dual_mov_b32 v44, v54 :: v_dual_mov_b32 v45, v57
	s_wait_dscnt 0x0
	v_pk_mul_f32 v[68:69], v[64:65], v[56:57] op_sel:[0,1]
	s_delay_alu instid0(VALU_DEP_1) | instskip(SKIP_1) | instid1(VALU_DEP_1)
	v_pk_fma_f32 v[70:71], v[64:65], v[54:55], v[68:69] op_sel:[0,0,1] op_sel_hi:[1,1,0] neg_lo:[0,0,1] neg_hi:[0,0,1]
	v_pk_fma_f32 v[64:65], v[64:65], v[54:55], v[68:69] op_sel:[0,0,1] op_sel_hi:[1,0,0]
	v_mov_b32_e32 v71, v65
	v_pk_mul_f32 v[64:65], v[66:67], v[56:57] op_sel:[0,1]
	s_delay_alu instid0(VALU_DEP_1) | instskip(SKIP_1) | instid1(VALU_DEP_1)
	v_pk_fma_f32 v[68:69], v[66:67], v[54:55], v[64:65] op_sel:[0,0,1] op_sel_hi:[1,1,0] neg_lo:[0,0,1] neg_hi:[0,0,1]
	v_pk_fma_f32 v[64:65], v[66:67], v[54:55], v[64:65] op_sel:[0,0,1] op_sel_hi:[1,0,0]
	v_mov_b32_e32 v69, v65
	ds_load_2addr_b64 v[64:67], v58 offset0:11 offset1:12
	v_pk_add_f32 v[40:41], v[40:41], v[70:71] neg_lo:[0,1] neg_hi:[0,1]
	v_pk_add_f32 v[42:43], v[42:43], v[68:69] neg_lo:[0,1] neg_hi:[0,1]
	s_wait_dscnt 0x0
	v_pk_mul_f32 v[68:69], v[64:65], v[56:57] op_sel:[0,1]
	s_delay_alu instid0(VALU_DEP_1) | instskip(SKIP_2) | instid1(VALU_DEP_2)
	v_pk_fma_f32 v[70:71], v[64:65], v[54:55], v[68:69] op_sel:[0,0,1] op_sel_hi:[1,1,0] neg_lo:[0,0,1] neg_hi:[0,0,1]
	v_pk_fma_f32 v[64:65], v[64:65], v[54:55], v[68:69] op_sel:[0,0,1] op_sel_hi:[1,0,0]
	v_dual_mul_f32 v68, v67, v57 :: v_dual_mov_b32 v64, v67
	v_dual_mov_b32 v71, v65 :: v_dual_mov_b32 v65, v66
	s_delay_alu instid0(VALU_DEP_2) | instskip(SKIP_1) | instid1(VALU_DEP_3)
	v_pk_fma_f32 v[68:69], v[66:67], v[44:45], v[68:69] op_sel_hi:[1,1,0] neg_lo:[0,0,1] neg_hi:[0,0,1]
	v_mul_f32_e32 v66, v67, v54
	v_pk_add_f32 v[18:19], v[18:19], v[70:71] neg_lo:[0,1] neg_hi:[0,1]
	s_delay_alu instid0(VALU_DEP_2) | instskip(NEXT) | instid1(VALU_DEP_1)
	v_pk_fma_f32 v[64:65], v[64:65], v[44:45], v[66:67] op_sel_hi:[1,1,0]
	v_mov_b32_e32 v69, v65
	ds_load_2addr_b64 v[64:67], v58 offset0:13 offset1:14
	v_pk_add_f32 v[38:39], v[38:39], v[68:69] neg_lo:[0,1] neg_hi:[0,1]
	s_wait_dscnt 0x0
	v_pk_mul_f32 v[68:69], v[64:65], v[56:57] op_sel:[0,1]
	s_delay_alu instid0(VALU_DEP_1) | instskip(SKIP_1) | instid1(VALU_DEP_1)
	v_pk_fma_f32 v[70:71], v[64:65], v[54:55], v[68:69] op_sel:[0,0,1] op_sel_hi:[1,1,0] neg_lo:[0,0,1] neg_hi:[0,0,1]
	v_pk_fma_f32 v[64:65], v[64:65], v[54:55], v[68:69] op_sel:[0,0,1] op_sel_hi:[1,0,0]
	v_mov_b32_e32 v71, v65
	v_pk_mul_f32 v[64:65], v[66:67], v[56:57] op_sel:[0,1]
	s_delay_alu instid0(VALU_DEP_1) | instskip(SKIP_1) | instid1(VALU_DEP_1)
	v_pk_fma_f32 v[68:69], v[66:67], v[54:55], v[64:65] op_sel:[0,0,1] op_sel_hi:[1,1,0] neg_lo:[0,0,1] neg_hi:[0,0,1]
	v_pk_fma_f32 v[64:65], v[66:67], v[54:55], v[64:65] op_sel:[0,0,1] op_sel_hi:[1,0,0]
	v_mov_b32_e32 v69, v65
	ds_load_2addr_b64 v[64:67], v58 offset0:15 offset1:16
	v_pk_add_f32 v[34:35], v[34:35], v[70:71] neg_lo:[0,1] neg_hi:[0,1]
	v_pk_add_f32 v[36:37], v[36:37], v[68:69] neg_lo:[0,1] neg_hi:[0,1]
	s_wait_dscnt 0x0
	v_pk_mul_f32 v[68:69], v[64:65], v[56:57] op_sel:[0,1]
	s_delay_alu instid0(VALU_DEP_1) | instskip(SKIP_1) | instid1(VALU_DEP_1)
	v_pk_fma_f32 v[70:71], v[64:65], v[54:55], v[68:69] op_sel:[0,0,1] op_sel_hi:[1,1,0] neg_lo:[0,0,1] neg_hi:[0,0,1]
	v_pk_fma_f32 v[64:65], v[64:65], v[54:55], v[68:69] op_sel:[0,0,1] op_sel_hi:[1,0,0]
	v_mov_b32_e32 v71, v65
	v_pk_mul_f32 v[64:65], v[66:67], v[56:57] op_sel:[0,1]
	s_delay_alu instid0(VALU_DEP_1) | instskip(SKIP_1) | instid1(VALU_DEP_1)
	v_pk_fma_f32 v[68:69], v[66:67], v[54:55], v[64:65] op_sel:[0,0,1] op_sel_hi:[1,1,0] neg_lo:[0,0,1] neg_hi:[0,0,1]
	v_pk_fma_f32 v[64:65], v[66:67], v[54:55], v[64:65] op_sel:[0,0,1] op_sel_hi:[1,0,0]
	v_mov_b32_e32 v69, v65
	ds_load_2addr_b64 v[64:67], v58 offset0:17 offset1:18
	v_pk_add_f32 v[8:9], v[8:9], v[70:71] neg_lo:[0,1] neg_hi:[0,1]
	v_pk_add_f32 v[28:29], v[28:29], v[68:69] neg_lo:[0,1] neg_hi:[0,1]
	s_wait_dscnt 0x0
	v_dual_mul_f32 v68, v65, v57 :: v_dual_mul_f32 v70, v65, v54
	s_delay_alu instid0(VALU_DEP_1) | instskip(NEXT) | instid1(VALU_DEP_2)
	v_pk_fma_f32 v[68:69], v[64:65], v[44:45], v[68:69] op_sel_hi:[1,1,0] neg_lo:[0,0,1] neg_hi:[0,0,1]
	v_pk_fma_f32 v[64:65], v[64:65], v[44:45], v[70:71] op_sel:[1,0,0] op_sel_hi:[0,1,0]
	s_delay_alu instid0(VALU_DEP_1) | instskip(SKIP_1) | instid1(VALU_DEP_2)
	v_mov_b32_e32 v69, v65
	v_pk_mul_f32 v[64:65], v[66:67], v[56:57] op_sel:[0,1]
	v_pk_add_f32 v[24:25], v[24:25], v[68:69] neg_lo:[0,1] neg_hi:[0,1]
	s_delay_alu instid0(VALU_DEP_2) | instskip(SKIP_1) | instid1(VALU_DEP_1)
	v_pk_fma_f32 v[68:69], v[66:67], v[54:55], v[64:65] op_sel:[0,0,1] op_sel_hi:[1,1,0] neg_lo:[0,0,1] neg_hi:[0,0,1]
	v_pk_fma_f32 v[64:65], v[66:67], v[54:55], v[64:65] op_sel:[0,0,1] op_sel_hi:[1,0,0]
	v_mov_b32_e32 v69, v65
	ds_load_2addr_b64 v[64:67], v58 offset0:19 offset1:20
	v_pk_add_f32 v[26:27], v[26:27], v[68:69] neg_lo:[0,1] neg_hi:[0,1]
	s_wait_dscnt 0x0
	v_pk_mul_f32 v[68:69], v[64:65], v[56:57] op_sel:[0,1]
	s_delay_alu instid0(VALU_DEP_1) | instskip(SKIP_1) | instid1(VALU_DEP_1)
	v_pk_fma_f32 v[70:71], v[64:65], v[54:55], v[68:69] op_sel:[0,0,1] op_sel_hi:[1,1,0] neg_lo:[0,0,1] neg_hi:[0,0,1]
	v_pk_fma_f32 v[64:65], v[64:65], v[54:55], v[68:69] op_sel:[0,0,1] op_sel_hi:[1,0,0]
	v_mov_b32_e32 v71, v65
	v_pk_mul_f32 v[64:65], v[66:67], v[56:57] op_sel:[0,1]
	s_delay_alu instid0(VALU_DEP_2) | instskip(NEXT) | instid1(VALU_DEP_2)
	v_pk_add_f32 v[6:7], v[6:7], v[70:71] neg_lo:[0,1] neg_hi:[0,1]
	v_pk_fma_f32 v[68:69], v[66:67], v[54:55], v[64:65] op_sel:[0,0,1] op_sel_hi:[1,1,0] neg_lo:[0,0,1] neg_hi:[0,0,1]
	v_pk_fma_f32 v[64:65], v[66:67], v[54:55], v[64:65] op_sel:[0,0,1] op_sel_hi:[1,0,0]
	s_delay_alu instid0(VALU_DEP_1) | instskip(SKIP_4) | instid1(VALU_DEP_1)
	v_mov_b32_e32 v69, v65
	ds_load_2addr_b64 v[64:67], v58 offset0:21 offset1:22
	v_pk_add_f32 v[22:23], v[22:23], v[68:69] neg_lo:[0,1] neg_hi:[0,1]
	s_wait_dscnt 0x0
	v_pk_mul_f32 v[68:69], v[64:65], v[56:57] op_sel:[0,1]
	v_pk_fma_f32 v[70:71], v[64:65], v[54:55], v[68:69] op_sel:[0,0,1] op_sel_hi:[1,1,0] neg_lo:[0,0,1] neg_hi:[0,0,1]
	v_pk_fma_f32 v[64:65], v[64:65], v[54:55], v[68:69] op_sel:[0,0,1] op_sel_hi:[1,0,0]
	v_dual_mul_f32 v68, v67, v57 :: v_dual_mov_b32 v64, v67
	s_delay_alu instid0(VALU_DEP_2) | instskip(NEXT) | instid1(VALU_DEP_2)
	v_dual_mov_b32 v71, v65 :: v_dual_mov_b32 v65, v66
	v_pk_fma_f32 v[68:69], v[66:67], v[44:45], v[68:69] op_sel_hi:[1,1,0] neg_lo:[0,0,1] neg_hi:[0,0,1]
	v_mul_f32_e32 v66, v67, v54
	s_delay_alu instid0(VALU_DEP_3) | instskip(NEXT) | instid1(VALU_DEP_2)
	v_pk_add_f32 v[20:21], v[20:21], v[70:71] neg_lo:[0,1] neg_hi:[0,1]
	v_pk_fma_f32 v[64:65], v[64:65], v[44:45], v[66:67] op_sel_hi:[1,1,0]
	s_delay_alu instid0(VALU_DEP_1) | instskip(SKIP_4) | instid1(VALU_DEP_1)
	v_mov_b32_e32 v69, v65
	ds_load_b64 v[64:65], v58 offset:184
	v_pk_add_f32 v[16:17], v[16:17], v[68:69] neg_lo:[0,1] neg_hi:[0,1]
	s_wait_dscnt 0x0
	v_pk_mul_f32 v[56:57], v[64:65], v[56:57] op_sel:[0,1]
	v_pk_fma_f32 v[66:67], v[64:65], v[54:55], v[56:57] op_sel:[0,0,1] op_sel_hi:[1,1,0] neg_lo:[0,0,1] neg_hi:[0,0,1]
	v_pk_fma_f32 v[54:55], v[64:65], v[54:55], v[56:57] op_sel:[0,0,1] op_sel_hi:[1,0,0]
	s_delay_alu instid0(VALU_DEP_1) | instskip(NEXT) | instid1(VALU_DEP_1)
	v_mov_b32_e32 v67, v55
	v_pk_add_f32 v[52:53], v[52:53], v[66:67] neg_lo:[0,1] neg_hi:[0,1]
.LBB46_188:
	s_or_b32 exec_lo, exec_lo, s0
	v_lshl_add_u32 v54, v62, 3, v58
	s_barrier_signal -1
	s_barrier_wait -1
	ds_store_b64 v54, v[40:41]
	s_wait_dscnt 0x0
	s_barrier_signal -1
	s_barrier_wait -1
	ds_load_b64 v[56:57], v58 offset:72
	v_mov_b32_e32 v54, 9
	s_cmp_lt_i32 s14, 11
	s_cbranch_scc1 .LBB46_191
; %bb.189:
	v_add3_u32 v55, v59, 0, 0x50
	v_mov_b32_e32 v54, 9
	s_mov_b32 s0, 10
.LBB46_190:                             ; =>This Inner Loop Header: Depth=1
	ds_load_b64 v[64:65], v55
	s_wait_dscnt 0x1
	v_cmp_gt_f32_e32 vcc_lo, 0, v56
	v_cndmask_b32_e64 v66, v56, -v56, vcc_lo
	v_cmp_gt_f32_e32 vcc_lo, 0, v57
	v_cndmask_b32_e64 v68, v57, -v57, vcc_lo
	s_wait_dscnt 0x0
	v_cmp_gt_f32_e32 vcc_lo, 0, v64
	v_cndmask_b32_e64 v67, v64, -v64, vcc_lo
	v_cmp_gt_f32_e32 vcc_lo, 0, v65
	v_cndmask_b32_e64 v69, v65, -v65, vcc_lo
	s_delay_alu instid0(VALU_DEP_1) | instskip(NEXT) | instid1(VALU_DEP_1)
	v_pk_add_f32 v[66:67], v[66:67], v[68:69]
	v_cmp_lt_f32_e32 vcc_lo, v66, v67
	v_dual_add_nc_u32 v55, 8, v55 :: v_dual_cndmask_b32 v57, v57, v65, vcc_lo
	v_cndmask_b32_e32 v56, v56, v64, vcc_lo
	v_cndmask_b32_e64 v54, v54, s0, vcc_lo
	s_add_co_i32 s0, s0, 1
	s_delay_alu instid0(SALU_CYCLE_1)
	s_cmp_lg_u32 s14, s0
	s_cbranch_scc1 .LBB46_190
.LBB46_191:
	s_wait_dscnt 0x0
	v_cmp_eq_f32_e32 vcc_lo, 0, v56
	v_cmp_eq_f32_e64 s0, 0, v57
	s_and_b32 s0, vcc_lo, s0
	s_delay_alu instid0(SALU_CYCLE_1) | instskip(NEXT) | instid1(SALU_CYCLE_1)
	s_and_saveexec_b32 s1, s0
	s_xor_b32 s0, exec_lo, s1
; %bb.192:
	v_cmp_ne_u32_e32 vcc_lo, 0, v60
	v_cndmask_b32_e32 v60, 10, v60, vcc_lo
; %bb.193:
	s_and_not1_saveexec_b32 s0, s0
	s_cbranch_execz .LBB46_199
; %bb.194:
	v_cmp_ngt_f32_e64 s1, |v56|, |v57|
	s_and_saveexec_b32 s15, s1
	s_delay_alu instid0(SALU_CYCLE_1)
	s_xor_b32 s1, exec_lo, s15
	s_cbranch_execz .LBB46_196
; %bb.195:
	v_div_scale_f32 v55, null, v57, v57, v56
	v_div_scale_f32 v65, vcc_lo, v56, v57, v56
	s_delay_alu instid0(VALU_DEP_2) | instskip(SKIP_1) | instid1(TRANS32_DEP_1)
	v_rcp_f32_e32 v63, v55
	v_nop
	v_fma_f32 v64, -v55, v63, 1.0
	s_delay_alu instid0(VALU_DEP_1) | instskip(NEXT) | instid1(VALU_DEP_1)
	v_fmac_f32_e32 v63, v64, v63
	v_mul_f32_e32 v64, v65, v63
	s_delay_alu instid0(VALU_DEP_1) | instskip(NEXT) | instid1(VALU_DEP_1)
	v_fma_f32 v66, -v55, v64, v65
	v_fmac_f32_e32 v64, v66, v63
	s_delay_alu instid0(VALU_DEP_1) | instskip(NEXT) | instid1(VALU_DEP_1)
	v_fma_f32 v55, -v55, v64, v65
	v_div_fmas_f32 v55, v55, v63, v64
	s_delay_alu instid0(VALU_DEP_1) | instskip(NEXT) | instid1(VALU_DEP_1)
	v_div_fixup_f32 v55, v55, v57, v56
	v_fmac_f32_e32 v57, v56, v55
	s_delay_alu instid0(VALU_DEP_1) | instskip(SKIP_1) | instid1(VALU_DEP_2)
	v_div_scale_f32 v56, null, v57, v57, 1.0
	v_div_scale_f32 v65, vcc_lo, 1.0, v57, 1.0
	v_rcp_f32_e32 v63, v56
	v_nop
	s_delay_alu instid0(TRANS32_DEP_1) | instskip(NEXT) | instid1(VALU_DEP_1)
	v_fma_f32 v64, -v56, v63, 1.0
	v_fmac_f32_e32 v63, v64, v63
	s_delay_alu instid0(VALU_DEP_1) | instskip(NEXT) | instid1(VALU_DEP_1)
	v_mul_f32_e32 v64, v65, v63
	v_fma_f32 v66, -v56, v64, v65
	s_delay_alu instid0(VALU_DEP_1) | instskip(NEXT) | instid1(VALU_DEP_1)
	v_fmac_f32_e32 v64, v66, v63
	v_fma_f32 v56, -v56, v64, v65
	s_delay_alu instid0(VALU_DEP_1) | instskip(NEXT) | instid1(VALU_DEP_1)
	v_div_fmas_f32 v56, v56, v63, v64
	v_div_fixup_f32 v57, v56, v57, 1.0
	s_delay_alu instid0(VALU_DEP_1)
	v_mul_f32_e32 v56, v55, v57
	v_xor_b32_e32 v57, 0x80000000, v57
.LBB46_196:
	s_and_not1_saveexec_b32 s1, s1
	s_cbranch_execz .LBB46_198
; %bb.197:
	s_delay_alu instid0(VALU_DEP_1) | instskip(SKIP_1) | instid1(VALU_DEP_2)
	v_div_scale_f32 v55, null, v56, v56, v57
	v_div_scale_f32 v65, vcc_lo, v57, v56, v57
	v_rcp_f32_e32 v63, v55
	v_nop
	s_delay_alu instid0(TRANS32_DEP_1) | instskip(NEXT) | instid1(VALU_DEP_1)
	v_fma_f32 v64, -v55, v63, 1.0
	v_fmac_f32_e32 v63, v64, v63
	s_delay_alu instid0(VALU_DEP_1) | instskip(NEXT) | instid1(VALU_DEP_1)
	v_mul_f32_e32 v64, v65, v63
	v_fma_f32 v66, -v55, v64, v65
	s_delay_alu instid0(VALU_DEP_1) | instskip(NEXT) | instid1(VALU_DEP_1)
	v_fmac_f32_e32 v64, v66, v63
	v_fma_f32 v55, -v55, v64, v65
	s_delay_alu instid0(VALU_DEP_1) | instskip(NEXT) | instid1(VALU_DEP_1)
	v_div_fmas_f32 v55, v55, v63, v64
	v_div_fixup_f32 v55, v55, v56, v57
	s_delay_alu instid0(VALU_DEP_1) | instskip(NEXT) | instid1(VALU_DEP_1)
	v_fmac_f32_e32 v56, v57, v55
	v_div_scale_f32 v57, null, v56, v56, 1.0
	s_delay_alu instid0(VALU_DEP_1) | instskip(SKIP_1) | instid1(TRANS32_DEP_1)
	v_rcp_f32_e32 v63, v57
	v_nop
	v_fma_f32 v64, -v57, v63, 1.0
	s_delay_alu instid0(VALU_DEP_1) | instskip(SKIP_1) | instid1(VALU_DEP_1)
	v_fmac_f32_e32 v63, v64, v63
	v_div_scale_f32 v64, vcc_lo, 1.0, v56, 1.0
	v_mul_f32_e32 v65, v64, v63
	s_delay_alu instid0(VALU_DEP_1) | instskip(NEXT) | instid1(VALU_DEP_1)
	v_fma_f32 v66, -v57, v65, v64
	v_fmac_f32_e32 v65, v66, v63
	s_delay_alu instid0(VALU_DEP_1) | instskip(NEXT) | instid1(VALU_DEP_1)
	v_fma_f32 v57, -v57, v65, v64
	v_div_fmas_f32 v57, v57, v63, v65
	s_delay_alu instid0(VALU_DEP_1) | instskip(NEXT) | instid1(VALU_DEP_1)
	v_div_fixup_f32 v56, v57, v56, 1.0
	v_mul_f32_e64 v57, v55, -v56
.LBB46_198:
	s_or_b32 exec_lo, exec_lo, s1
.LBB46_199:
	s_delay_alu instid0(SALU_CYCLE_1) | instskip(NEXT) | instid1(SALU_CYCLE_1)
	s_or_b32 exec_lo, exec_lo, s0
	s_mov_b32 s0, exec_lo
	v_cmpx_ne_u32_e64 v62, v54
	s_xor_b32 s0, exec_lo, s0
	s_cbranch_execz .LBB46_205
; %bb.200:
	s_mov_b32 s1, exec_lo
	v_cmpx_eq_u32_e32 9, v62
	s_cbranch_execz .LBB46_204
; %bb.201:
	v_cmp_ne_u32_e32 vcc_lo, 9, v54
	s_xor_b32 s15, s12, -1
	s_delay_alu instid0(SALU_CYCLE_1) | instskip(NEXT) | instid1(SALU_CYCLE_1)
	s_and_b32 s16, s15, vcc_lo
	s_and_saveexec_b32 s15, s16
	s_cbranch_execz .LBB46_203
; %bb.202:
	v_ashrrev_i32_e32 v55, 31, v54
	s_delay_alu instid0(VALU_DEP_1)
	v_lshl_add_u64 v[62:63], v[54:55], 2, v[30:31]
	s_clause 0x1
	global_load_b32 v55, v[62:63], off
	global_load_b32 v61, v[30:31], off offset:36
	s_wait_loadcnt 0x1
	global_store_b32 v[30:31], v55, off offset:36
	s_wait_loadcnt 0x0
	global_store_b32 v[62:63], v61, off
.LBB46_203:
	s_wait_xcnt 0x0
	s_or_b32 exec_lo, exec_lo, s15
	v_dual_mov_b32 v62, v54 :: v_dual_mov_b32 v61, v54
.LBB46_204:
	s_or_b32 exec_lo, exec_lo, s1
.LBB46_205:
	s_and_not1_saveexec_b32 s0, s0
	s_cbranch_execz .LBB46_207
; %bb.206:
	v_dual_mov_b32 v54, v42 :: v_dual_mov_b32 v55, v43
	v_dual_mov_b32 v62, v18 :: v_dual_mov_b32 v63, v19
	;; [unrolled: 1-line block ×4, first 2 shown]
	ds_store_2addr_b64 v58, v[54:55], v[62:63] offset0:10 offset1:11
	ds_store_2addr_b64 v58, v[64:65], v[66:67] offset0:12 offset1:13
	v_dual_mov_b32 v54, v36 :: v_dual_mov_b32 v55, v37
	v_dual_mov_b32 v64, v8 :: v_dual_mov_b32 v65, v9
	;; [unrolled: 1-line block ×9, first 2 shown]
	v_mov_b32_e32 v79, v17
	ds_store_2addr_b64 v58, v[54:55], v[64:65] offset0:14 offset1:15
	ds_store_2addr_b64 v58, v[66:67], v[68:69] offset0:16 offset1:17
	;; [unrolled: 1-line block ×5, first 2 shown]
.LBB46_207:
	s_or_b32 exec_lo, exec_lo, s0
	s_delay_alu instid0(SALU_CYCLE_1)
	s_mov_b32 s0, exec_lo
	s_wait_storecnt_dscnt 0x0
	s_barrier_signal -1
	s_barrier_wait -1
	v_cmpx_lt_i32_e32 9, v62
	s_cbranch_execz .LBB46_209
; %bb.208:
	v_pk_mul_f32 v[64:65], v[56:57], v[40:41] op_sel:[1,1] op_sel_hi:[0,1]
	s_delay_alu instid0(VALU_DEP_1)
	v_pk_fma_f32 v[54:55], v[56:57], v[40:41], v[64:65] op_sel_hi:[1,0,1] neg_lo:[0,0,1] neg_hi:[0,0,1]
	v_pk_fma_f32 v[56:57], v[56:57], v[40:41], v[64:65] op_sel_hi:[1,0,1]
	ds_load_2addr_b64 v[64:67], v58 offset0:10 offset1:11
	v_dual_mov_b32 v40, v54 :: v_dual_mov_b32 v41, v57
	s_wait_dscnt 0x0
	v_pk_mul_f32 v[68:69], v[64:65], v[56:57] op_sel:[0,1]
	s_delay_alu instid0(VALU_DEP_1) | instskip(SKIP_1) | instid1(VALU_DEP_1)
	v_pk_fma_f32 v[70:71], v[64:65], v[54:55], v[68:69] op_sel:[0,0,1] op_sel_hi:[1,1,0] neg_lo:[0,0,1] neg_hi:[0,0,1]
	v_pk_fma_f32 v[64:65], v[64:65], v[54:55], v[68:69] op_sel:[0,0,1] op_sel_hi:[1,0,0]
	v_mov_b32_e32 v71, v65
	v_pk_mul_f32 v[64:65], v[66:67], v[56:57] op_sel:[0,1]
	s_delay_alu instid0(VALU_DEP_1) | instskip(SKIP_1) | instid1(VALU_DEP_1)
	v_pk_fma_f32 v[68:69], v[66:67], v[54:55], v[64:65] op_sel:[0,0,1] op_sel_hi:[1,1,0] neg_lo:[0,0,1] neg_hi:[0,0,1]
	v_pk_fma_f32 v[64:65], v[66:67], v[54:55], v[64:65] op_sel:[0,0,1] op_sel_hi:[1,0,0]
	v_mov_b32_e32 v69, v65
	ds_load_2addr_b64 v[64:67], v58 offset0:12 offset1:13
	v_pk_add_f32 v[42:43], v[42:43], v[70:71] neg_lo:[0,1] neg_hi:[0,1]
	v_pk_add_f32 v[18:19], v[18:19], v[68:69] neg_lo:[0,1] neg_hi:[0,1]
	s_wait_dscnt 0x0
	v_pk_mul_f32 v[68:69], v[64:65], v[56:57] op_sel:[0,1]
	s_delay_alu instid0(VALU_DEP_1) | instskip(SKIP_2) | instid1(VALU_DEP_2)
	v_pk_fma_f32 v[70:71], v[64:65], v[54:55], v[68:69] op_sel:[0,0,1] op_sel_hi:[1,1,0] neg_lo:[0,0,1] neg_hi:[0,0,1]
	v_pk_fma_f32 v[64:65], v[64:65], v[54:55], v[68:69] op_sel:[0,0,1] op_sel_hi:[1,0,0]
	v_dual_mul_f32 v68, v67, v57 :: v_dual_mov_b32 v64, v67
	v_dual_mov_b32 v71, v65 :: v_dual_mov_b32 v65, v66
	s_delay_alu instid0(VALU_DEP_2) | instskip(SKIP_1) | instid1(VALU_DEP_3)
	v_pk_fma_f32 v[68:69], v[66:67], v[40:41], v[68:69] op_sel_hi:[1,1,0] neg_lo:[0,0,1] neg_hi:[0,0,1]
	v_mul_f32_e32 v66, v67, v54
	v_pk_add_f32 v[38:39], v[38:39], v[70:71] neg_lo:[0,1] neg_hi:[0,1]
	s_delay_alu instid0(VALU_DEP_2) | instskip(NEXT) | instid1(VALU_DEP_1)
	v_pk_fma_f32 v[64:65], v[64:65], v[40:41], v[66:67] op_sel_hi:[1,1,0]
	v_mov_b32_e32 v69, v65
	ds_load_2addr_b64 v[64:67], v58 offset0:14 offset1:15
	v_pk_add_f32 v[34:35], v[34:35], v[68:69] neg_lo:[0,1] neg_hi:[0,1]
	s_wait_dscnt 0x0
	v_pk_mul_f32 v[68:69], v[64:65], v[56:57] op_sel:[0,1]
	s_delay_alu instid0(VALU_DEP_1) | instskip(SKIP_1) | instid1(VALU_DEP_1)
	v_pk_fma_f32 v[70:71], v[64:65], v[54:55], v[68:69] op_sel:[0,0,1] op_sel_hi:[1,1,0] neg_lo:[0,0,1] neg_hi:[0,0,1]
	v_pk_fma_f32 v[64:65], v[64:65], v[54:55], v[68:69] op_sel:[0,0,1] op_sel_hi:[1,0,0]
	v_mov_b32_e32 v71, v65
	v_pk_mul_f32 v[64:65], v[66:67], v[56:57] op_sel:[0,1]
	s_delay_alu instid0(VALU_DEP_1) | instskip(SKIP_1) | instid1(VALU_DEP_1)
	v_pk_fma_f32 v[68:69], v[66:67], v[54:55], v[64:65] op_sel:[0,0,1] op_sel_hi:[1,1,0] neg_lo:[0,0,1] neg_hi:[0,0,1]
	v_pk_fma_f32 v[64:65], v[66:67], v[54:55], v[64:65] op_sel:[0,0,1] op_sel_hi:[1,0,0]
	v_mov_b32_e32 v69, v65
	ds_load_2addr_b64 v[64:67], v58 offset0:16 offset1:17
	v_pk_add_f32 v[36:37], v[36:37], v[70:71] neg_lo:[0,1] neg_hi:[0,1]
	v_pk_add_f32 v[8:9], v[8:9], v[68:69] neg_lo:[0,1] neg_hi:[0,1]
	s_wait_dscnt 0x0
	v_pk_mul_f32 v[68:69], v[64:65], v[56:57] op_sel:[0,1]
	s_delay_alu instid0(VALU_DEP_1) | instskip(SKIP_1) | instid1(VALU_DEP_1)
	v_pk_fma_f32 v[70:71], v[64:65], v[54:55], v[68:69] op_sel:[0,0,1] op_sel_hi:[1,1,0] neg_lo:[0,0,1] neg_hi:[0,0,1]
	v_pk_fma_f32 v[64:65], v[64:65], v[54:55], v[68:69] op_sel:[0,0,1] op_sel_hi:[1,0,0]
	v_mov_b32_e32 v71, v65
	v_pk_mul_f32 v[64:65], v[66:67], v[56:57] op_sel:[0,1]
	s_delay_alu instid0(VALU_DEP_1) | instskip(SKIP_1) | instid1(VALU_DEP_1)
	v_pk_fma_f32 v[68:69], v[66:67], v[54:55], v[64:65] op_sel:[0,0,1] op_sel_hi:[1,1,0] neg_lo:[0,0,1] neg_hi:[0,0,1]
	v_pk_fma_f32 v[64:65], v[66:67], v[54:55], v[64:65] op_sel:[0,0,1] op_sel_hi:[1,0,0]
	v_mov_b32_e32 v69, v65
	ds_load_2addr_b64 v[64:67], v58 offset0:18 offset1:19
	v_pk_add_f32 v[28:29], v[28:29], v[70:71] neg_lo:[0,1] neg_hi:[0,1]
	v_pk_add_f32 v[24:25], v[24:25], v[68:69] neg_lo:[0,1] neg_hi:[0,1]
	s_wait_dscnt 0x0
	v_dual_mul_f32 v68, v65, v57 :: v_dual_mul_f32 v70, v65, v54
	s_delay_alu instid0(VALU_DEP_1) | instskip(NEXT) | instid1(VALU_DEP_2)
	v_pk_fma_f32 v[68:69], v[64:65], v[40:41], v[68:69] op_sel_hi:[1,1,0] neg_lo:[0,0,1] neg_hi:[0,0,1]
	v_pk_fma_f32 v[64:65], v[64:65], v[40:41], v[70:71] op_sel:[1,0,0] op_sel_hi:[0,1,0]
	s_delay_alu instid0(VALU_DEP_1) | instskip(SKIP_1) | instid1(VALU_DEP_2)
	v_mov_b32_e32 v69, v65
	v_pk_mul_f32 v[64:65], v[66:67], v[56:57] op_sel:[0,1]
	v_pk_add_f32 v[26:27], v[26:27], v[68:69] neg_lo:[0,1] neg_hi:[0,1]
	s_delay_alu instid0(VALU_DEP_2) | instskip(SKIP_1) | instid1(VALU_DEP_1)
	v_pk_fma_f32 v[68:69], v[66:67], v[54:55], v[64:65] op_sel:[0,0,1] op_sel_hi:[1,1,0] neg_lo:[0,0,1] neg_hi:[0,0,1]
	v_pk_fma_f32 v[64:65], v[66:67], v[54:55], v[64:65] op_sel:[0,0,1] op_sel_hi:[1,0,0]
	v_mov_b32_e32 v69, v65
	ds_load_2addr_b64 v[64:67], v58 offset0:20 offset1:21
	v_pk_add_f32 v[6:7], v[6:7], v[68:69] neg_lo:[0,1] neg_hi:[0,1]
	s_wait_dscnt 0x0
	v_pk_mul_f32 v[68:69], v[64:65], v[56:57] op_sel:[0,1]
	s_delay_alu instid0(VALU_DEP_1) | instskip(SKIP_1) | instid1(VALU_DEP_1)
	v_pk_fma_f32 v[70:71], v[64:65], v[54:55], v[68:69] op_sel:[0,0,1] op_sel_hi:[1,1,0] neg_lo:[0,0,1] neg_hi:[0,0,1]
	v_pk_fma_f32 v[64:65], v[64:65], v[54:55], v[68:69] op_sel:[0,0,1] op_sel_hi:[1,0,0]
	v_mov_b32_e32 v71, v65
	v_pk_mul_f32 v[64:65], v[66:67], v[56:57] op_sel:[0,1]
	s_delay_alu instid0(VALU_DEP_2) | instskip(NEXT) | instid1(VALU_DEP_2)
	v_pk_add_f32 v[22:23], v[22:23], v[70:71] neg_lo:[0,1] neg_hi:[0,1]
	v_pk_fma_f32 v[68:69], v[66:67], v[54:55], v[64:65] op_sel:[0,0,1] op_sel_hi:[1,1,0] neg_lo:[0,0,1] neg_hi:[0,0,1]
	v_pk_fma_f32 v[64:65], v[66:67], v[54:55], v[64:65] op_sel:[0,0,1] op_sel_hi:[1,0,0]
	s_delay_alu instid0(VALU_DEP_1)
	v_mov_b32_e32 v69, v65
	ds_load_2addr_b64 v[64:67], v58 offset0:22 offset1:23
	v_pk_add_f32 v[20:21], v[20:21], v[68:69] neg_lo:[0,1] neg_hi:[0,1]
	s_wait_dscnt 0x0
	v_pk_mul_f32 v[68:69], v[64:65], v[56:57] op_sel:[0,1]
	v_pk_mul_f32 v[56:57], v[66:67], v[56:57] op_sel:[0,1]
	s_delay_alu instid0(VALU_DEP_2) | instskip(SKIP_1) | instid1(VALU_DEP_1)
	v_pk_fma_f32 v[70:71], v[64:65], v[54:55], v[68:69] op_sel:[0,0,1] op_sel_hi:[1,1,0] neg_lo:[0,0,1] neg_hi:[0,0,1]
	v_pk_fma_f32 v[64:65], v[64:65], v[54:55], v[68:69] op_sel:[0,0,1] op_sel_hi:[1,0,0]
	v_mov_b32_e32 v71, v65
	s_delay_alu instid0(VALU_DEP_4) | instskip(SKIP_1) | instid1(VALU_DEP_3)
	v_pk_fma_f32 v[64:65], v[66:67], v[54:55], v[56:57] op_sel:[0,0,1] op_sel_hi:[1,1,0] neg_lo:[0,0,1] neg_hi:[0,0,1]
	v_pk_fma_f32 v[54:55], v[66:67], v[54:55], v[56:57] op_sel:[0,0,1] op_sel_hi:[1,0,0]
	v_pk_add_f32 v[16:17], v[16:17], v[70:71] neg_lo:[0,1] neg_hi:[0,1]
	s_delay_alu instid0(VALU_DEP_2) | instskip(NEXT) | instid1(VALU_DEP_1)
	v_mov_b32_e32 v65, v55
	v_pk_add_f32 v[52:53], v[52:53], v[64:65] neg_lo:[0,1] neg_hi:[0,1]
.LBB46_209:
	s_or_b32 exec_lo, exec_lo, s0
	v_lshl_add_u32 v54, v62, 3, v58
	s_barrier_signal -1
	s_barrier_wait -1
	ds_store_b64 v54, v[42:43]
	s_wait_dscnt 0x0
	s_barrier_signal -1
	s_barrier_wait -1
	ds_load_b64 v[54:55], v58 offset:80
	v_mov_b32_e32 v56, 10
	s_cmp_lt_i32 s14, 12
	s_cbranch_scc1 .LBB46_212
; %bb.210:
	v_add3_u32 v57, v59, 0, 0x58
	v_mov_b32_e32 v56, 10
	s_mov_b32 s0, 11
.LBB46_211:                             ; =>This Inner Loop Header: Depth=1
	ds_load_b64 v[64:65], v57
	s_wait_dscnt 0x1
	v_cmp_gt_f32_e32 vcc_lo, 0, v54
	v_cndmask_b32_e64 v66, v54, -v54, vcc_lo
	v_cmp_gt_f32_e32 vcc_lo, 0, v55
	v_cndmask_b32_e64 v68, v55, -v55, vcc_lo
	s_wait_dscnt 0x0
	v_cmp_gt_f32_e32 vcc_lo, 0, v64
	v_cndmask_b32_e64 v67, v64, -v64, vcc_lo
	v_cmp_gt_f32_e32 vcc_lo, 0, v65
	v_cndmask_b32_e64 v69, v65, -v65, vcc_lo
	s_delay_alu instid0(VALU_DEP_1) | instskip(NEXT) | instid1(VALU_DEP_1)
	v_pk_add_f32 v[66:67], v[66:67], v[68:69]
	v_cmp_lt_f32_e32 vcc_lo, v66, v67
	v_dual_cndmask_b32 v54, v54, v64 :: v_dual_add_nc_u32 v57, 8, v57
	v_cndmask_b32_e32 v55, v55, v65, vcc_lo
	v_cndmask_b32_e64 v56, v56, s0, vcc_lo
	s_add_co_i32 s0, s0, 1
	s_delay_alu instid0(SALU_CYCLE_1)
	s_cmp_lg_u32 s14, s0
	s_cbranch_scc1 .LBB46_211
.LBB46_212:
	s_wait_dscnt 0x0
	v_cmp_eq_f32_e32 vcc_lo, 0, v54
	v_cmp_eq_f32_e64 s0, 0, v55
	s_and_b32 s0, vcc_lo, s0
	s_delay_alu instid0(SALU_CYCLE_1) | instskip(NEXT) | instid1(SALU_CYCLE_1)
	s_and_saveexec_b32 s1, s0
	s_xor_b32 s0, exec_lo, s1
; %bb.213:
	v_cmp_ne_u32_e32 vcc_lo, 0, v60
	v_cndmask_b32_e32 v60, 11, v60, vcc_lo
; %bb.214:
	s_and_not1_saveexec_b32 s0, s0
	s_cbranch_execz .LBB46_220
; %bb.215:
	v_cmp_ngt_f32_e64 s1, |v54|, |v55|
	s_and_saveexec_b32 s15, s1
	s_delay_alu instid0(SALU_CYCLE_1)
	s_xor_b32 s1, exec_lo, s15
	s_cbranch_execz .LBB46_217
; %bb.216:
	v_div_scale_f32 v57, null, v55, v55, v54
	v_div_scale_f32 v65, vcc_lo, v54, v55, v54
	s_delay_alu instid0(VALU_DEP_2) | instskip(SKIP_1) | instid1(TRANS32_DEP_1)
	v_rcp_f32_e32 v63, v57
	v_nop
	v_fma_f32 v64, -v57, v63, 1.0
	s_delay_alu instid0(VALU_DEP_1) | instskip(NEXT) | instid1(VALU_DEP_1)
	v_fmac_f32_e32 v63, v64, v63
	v_mul_f32_e32 v64, v65, v63
	s_delay_alu instid0(VALU_DEP_1) | instskip(NEXT) | instid1(VALU_DEP_1)
	v_fma_f32 v66, -v57, v64, v65
	v_fmac_f32_e32 v64, v66, v63
	s_delay_alu instid0(VALU_DEP_1) | instskip(NEXT) | instid1(VALU_DEP_1)
	v_fma_f32 v57, -v57, v64, v65
	v_div_fmas_f32 v57, v57, v63, v64
	s_delay_alu instid0(VALU_DEP_1) | instskip(NEXT) | instid1(VALU_DEP_1)
	v_div_fixup_f32 v57, v57, v55, v54
	v_fmac_f32_e32 v55, v54, v57
	s_delay_alu instid0(VALU_DEP_1) | instskip(SKIP_1) | instid1(VALU_DEP_2)
	v_div_scale_f32 v54, null, v55, v55, 1.0
	v_div_scale_f32 v65, vcc_lo, 1.0, v55, 1.0
	v_rcp_f32_e32 v63, v54
	v_nop
	s_delay_alu instid0(TRANS32_DEP_1) | instskip(NEXT) | instid1(VALU_DEP_1)
	v_fma_f32 v64, -v54, v63, 1.0
	v_fmac_f32_e32 v63, v64, v63
	s_delay_alu instid0(VALU_DEP_1) | instskip(NEXT) | instid1(VALU_DEP_1)
	v_mul_f32_e32 v64, v65, v63
	v_fma_f32 v66, -v54, v64, v65
	s_delay_alu instid0(VALU_DEP_1) | instskip(NEXT) | instid1(VALU_DEP_1)
	v_fmac_f32_e32 v64, v66, v63
	v_fma_f32 v54, -v54, v64, v65
	s_delay_alu instid0(VALU_DEP_1) | instskip(NEXT) | instid1(VALU_DEP_1)
	v_div_fmas_f32 v54, v54, v63, v64
	v_div_fixup_f32 v55, v54, v55, 1.0
	s_delay_alu instid0(VALU_DEP_1)
	v_mul_f32_e32 v54, v57, v55
	v_xor_b32_e32 v55, 0x80000000, v55
.LBB46_217:
	s_and_not1_saveexec_b32 s1, s1
	s_cbranch_execz .LBB46_219
; %bb.218:
	s_delay_alu instid0(VALU_DEP_1) | instskip(SKIP_1) | instid1(VALU_DEP_2)
	v_div_scale_f32 v57, null, v54, v54, v55
	v_div_scale_f32 v65, vcc_lo, v55, v54, v55
	v_rcp_f32_e32 v63, v57
	v_nop
	s_delay_alu instid0(TRANS32_DEP_1) | instskip(NEXT) | instid1(VALU_DEP_1)
	v_fma_f32 v64, -v57, v63, 1.0
	v_fmac_f32_e32 v63, v64, v63
	s_delay_alu instid0(VALU_DEP_1) | instskip(NEXT) | instid1(VALU_DEP_1)
	v_mul_f32_e32 v64, v65, v63
	v_fma_f32 v66, -v57, v64, v65
	s_delay_alu instid0(VALU_DEP_1) | instskip(NEXT) | instid1(VALU_DEP_1)
	v_fmac_f32_e32 v64, v66, v63
	v_fma_f32 v57, -v57, v64, v65
	s_delay_alu instid0(VALU_DEP_1) | instskip(NEXT) | instid1(VALU_DEP_1)
	v_div_fmas_f32 v57, v57, v63, v64
	v_div_fixup_f32 v57, v57, v54, v55
	s_delay_alu instid0(VALU_DEP_1) | instskip(NEXT) | instid1(VALU_DEP_1)
	v_fmac_f32_e32 v54, v55, v57
	v_div_scale_f32 v55, null, v54, v54, 1.0
	s_delay_alu instid0(VALU_DEP_1) | instskip(SKIP_1) | instid1(TRANS32_DEP_1)
	v_rcp_f32_e32 v63, v55
	v_nop
	v_fma_f32 v64, -v55, v63, 1.0
	s_delay_alu instid0(VALU_DEP_1) | instskip(SKIP_1) | instid1(VALU_DEP_1)
	v_fmac_f32_e32 v63, v64, v63
	v_div_scale_f32 v64, vcc_lo, 1.0, v54, 1.0
	v_mul_f32_e32 v65, v64, v63
	s_delay_alu instid0(VALU_DEP_1) | instskip(NEXT) | instid1(VALU_DEP_1)
	v_fma_f32 v66, -v55, v65, v64
	v_fmac_f32_e32 v65, v66, v63
	s_delay_alu instid0(VALU_DEP_1) | instskip(NEXT) | instid1(VALU_DEP_1)
	v_fma_f32 v55, -v55, v65, v64
	v_div_fmas_f32 v55, v55, v63, v65
	s_delay_alu instid0(VALU_DEP_1) | instskip(NEXT) | instid1(VALU_DEP_1)
	v_div_fixup_f32 v54, v55, v54, 1.0
	v_mul_f32_e64 v55, v57, -v54
.LBB46_219:
	s_or_b32 exec_lo, exec_lo, s1
.LBB46_220:
	s_delay_alu instid0(SALU_CYCLE_1) | instskip(NEXT) | instid1(SALU_CYCLE_1)
	s_or_b32 exec_lo, exec_lo, s0
	s_mov_b32 s0, exec_lo
	v_cmpx_ne_u32_e64 v62, v56
	s_xor_b32 s0, exec_lo, s0
	s_cbranch_execz .LBB46_226
; %bb.221:
	s_mov_b32 s1, exec_lo
	v_cmpx_eq_u32_e32 10, v62
	s_cbranch_execz .LBB46_225
; %bb.222:
	v_cmp_ne_u32_e32 vcc_lo, 10, v56
	s_xor_b32 s15, s12, -1
	s_delay_alu instid0(SALU_CYCLE_1) | instskip(NEXT) | instid1(SALU_CYCLE_1)
	s_and_b32 s16, s15, vcc_lo
	s_and_saveexec_b32 s15, s16
	s_cbranch_execz .LBB46_224
; %bb.223:
	v_ashrrev_i32_e32 v57, 31, v56
	s_delay_alu instid0(VALU_DEP_1)
	v_lshl_add_u64 v[62:63], v[56:57], 2, v[30:31]
	s_clause 0x1
	global_load_b32 v57, v[62:63], off
	global_load_b32 v61, v[30:31], off offset:40
	s_wait_loadcnt 0x1
	global_store_b32 v[30:31], v57, off offset:40
	s_wait_loadcnt 0x0
	global_store_b32 v[62:63], v61, off
.LBB46_224:
	s_wait_xcnt 0x0
	s_or_b32 exec_lo, exec_lo, s15
	v_dual_mov_b32 v62, v56 :: v_dual_mov_b32 v61, v56
.LBB46_225:
	s_or_b32 exec_lo, exec_lo, s1
.LBB46_226:
	s_and_not1_saveexec_b32 s0, s0
	s_cbranch_execz .LBB46_228
; %bb.227:
	v_mov_b32_e32 v62, 10
	ds_store_2addr_b64 v58, v[18:19], v[38:39] offset0:11 offset1:12
	ds_store_2addr_b64 v58, v[34:35], v[36:37] offset0:13 offset1:14
	;; [unrolled: 1-line block ×6, first 2 shown]
	ds_store_b64 v58, v[52:53] offset:184
.LBB46_228:
	s_or_b32 exec_lo, exec_lo, s0
	s_delay_alu instid0(SALU_CYCLE_1)
	s_mov_b32 s0, exec_lo
	s_wait_storecnt_dscnt 0x0
	s_barrier_signal -1
	s_barrier_wait -1
	v_cmpx_lt_i32_e32 10, v62
	s_cbranch_execz .LBB46_230
; %bb.229:
	v_pk_mul_f32 v[56:57], v[54:55], v[42:43] op_sel:[1,1] op_sel_hi:[0,1]
	s_delay_alu instid0(VALU_DEP_1)
	v_pk_fma_f32 v[64:65], v[54:55], v[42:43], v[56:57] op_sel_hi:[1,0,1] neg_lo:[0,0,1] neg_hi:[0,0,1]
	v_pk_fma_f32 v[66:67], v[54:55], v[42:43], v[56:57] op_sel_hi:[1,0,1]
	ds_load_2addr_b64 v[54:57], v58 offset0:11 offset1:12
	v_dual_mov_b32 v42, v64 :: v_dual_mov_b32 v43, v67
	s_wait_dscnt 0x0
	v_pk_mul_f32 v[68:69], v[54:55], v[66:67] op_sel:[0,1]
	s_delay_alu instid0(VALU_DEP_1) | instskip(SKIP_1) | instid1(VALU_DEP_1)
	v_pk_fma_f32 v[70:71], v[54:55], v[64:65], v[68:69] op_sel:[0,0,1] op_sel_hi:[1,1,0] neg_lo:[0,0,1] neg_hi:[0,0,1]
	v_pk_fma_f32 v[54:55], v[54:55], v[64:65], v[68:69] op_sel:[0,0,1] op_sel_hi:[1,0,0]
	v_mov_b32_e32 v71, v55
	v_pk_mul_f32 v[54:55], v[56:57], v[66:67] op_sel:[0,1]
	s_delay_alu instid0(VALU_DEP_1) | instskip(SKIP_1) | instid1(VALU_DEP_1)
	v_pk_fma_f32 v[68:69], v[56:57], v[64:65], v[54:55] op_sel:[0,0,1] op_sel_hi:[1,1,0] neg_lo:[0,0,1] neg_hi:[0,0,1]
	v_pk_fma_f32 v[54:55], v[56:57], v[64:65], v[54:55] op_sel:[0,0,1] op_sel_hi:[1,0,0]
	v_mov_b32_e32 v69, v55
	ds_load_2addr_b64 v[54:57], v58 offset0:13 offset1:14
	v_pk_add_f32 v[18:19], v[18:19], v[70:71] neg_lo:[0,1] neg_hi:[0,1]
	v_pk_add_f32 v[38:39], v[38:39], v[68:69] neg_lo:[0,1] neg_hi:[0,1]
	s_wait_dscnt 0x0
	v_pk_mul_f32 v[68:69], v[54:55], v[66:67] op_sel:[0,1]
	s_delay_alu instid0(VALU_DEP_1) | instskip(SKIP_2) | instid1(VALU_DEP_2)
	v_pk_fma_f32 v[70:71], v[54:55], v[64:65], v[68:69] op_sel:[0,0,1] op_sel_hi:[1,1,0] neg_lo:[0,0,1] neg_hi:[0,0,1]
	v_pk_fma_f32 v[54:55], v[54:55], v[64:65], v[68:69] op_sel:[0,0,1] op_sel_hi:[1,0,0]
	v_dual_mul_f32 v68, v57, v67 :: v_dual_mov_b32 v54, v57
	v_dual_mov_b32 v71, v55 :: v_dual_mov_b32 v55, v56
	s_delay_alu instid0(VALU_DEP_2) | instskip(SKIP_1) | instid1(VALU_DEP_3)
	v_pk_fma_f32 v[68:69], v[56:57], v[42:43], v[68:69] op_sel_hi:[1,1,0] neg_lo:[0,0,1] neg_hi:[0,0,1]
	v_mul_f32_e32 v56, v57, v64
	v_pk_add_f32 v[34:35], v[34:35], v[70:71] neg_lo:[0,1] neg_hi:[0,1]
	s_delay_alu instid0(VALU_DEP_2) | instskip(NEXT) | instid1(VALU_DEP_1)
	v_pk_fma_f32 v[54:55], v[54:55], v[42:43], v[56:57] op_sel_hi:[1,1,0]
	v_mov_b32_e32 v69, v55
	ds_load_2addr_b64 v[54:57], v58 offset0:15 offset1:16
	v_pk_add_f32 v[36:37], v[36:37], v[68:69] neg_lo:[0,1] neg_hi:[0,1]
	s_wait_dscnt 0x0
	v_pk_mul_f32 v[68:69], v[54:55], v[66:67] op_sel:[0,1]
	s_delay_alu instid0(VALU_DEP_1) | instskip(SKIP_1) | instid1(VALU_DEP_1)
	v_pk_fma_f32 v[70:71], v[54:55], v[64:65], v[68:69] op_sel:[0,0,1] op_sel_hi:[1,1,0] neg_lo:[0,0,1] neg_hi:[0,0,1]
	v_pk_fma_f32 v[54:55], v[54:55], v[64:65], v[68:69] op_sel:[0,0,1] op_sel_hi:[1,0,0]
	v_mov_b32_e32 v71, v55
	v_pk_mul_f32 v[54:55], v[56:57], v[66:67] op_sel:[0,1]
	s_delay_alu instid0(VALU_DEP_1) | instskip(SKIP_1) | instid1(VALU_DEP_1)
	v_pk_fma_f32 v[68:69], v[56:57], v[64:65], v[54:55] op_sel:[0,0,1] op_sel_hi:[1,1,0] neg_lo:[0,0,1] neg_hi:[0,0,1]
	v_pk_fma_f32 v[54:55], v[56:57], v[64:65], v[54:55] op_sel:[0,0,1] op_sel_hi:[1,0,0]
	v_mov_b32_e32 v69, v55
	ds_load_2addr_b64 v[54:57], v58 offset0:17 offset1:18
	v_pk_add_f32 v[8:9], v[8:9], v[70:71] neg_lo:[0,1] neg_hi:[0,1]
	v_pk_add_f32 v[28:29], v[28:29], v[68:69] neg_lo:[0,1] neg_hi:[0,1]
	s_wait_dscnt 0x0
	v_pk_mul_f32 v[68:69], v[54:55], v[66:67] op_sel:[0,1]
	s_delay_alu instid0(VALU_DEP_1) | instskip(SKIP_1) | instid1(VALU_DEP_1)
	v_pk_fma_f32 v[70:71], v[54:55], v[64:65], v[68:69] op_sel:[0,0,1] op_sel_hi:[1,1,0] neg_lo:[0,0,1] neg_hi:[0,0,1]
	v_pk_fma_f32 v[54:55], v[54:55], v[64:65], v[68:69] op_sel:[0,0,1] op_sel_hi:[1,0,0]
	v_mov_b32_e32 v71, v55
	v_pk_mul_f32 v[54:55], v[56:57], v[66:67] op_sel:[0,1]
	s_delay_alu instid0(VALU_DEP_1) | instskip(SKIP_1) | instid1(VALU_DEP_1)
	v_pk_fma_f32 v[68:69], v[56:57], v[64:65], v[54:55] op_sel:[0,0,1] op_sel_hi:[1,1,0] neg_lo:[0,0,1] neg_hi:[0,0,1]
	v_pk_fma_f32 v[54:55], v[56:57], v[64:65], v[54:55] op_sel:[0,0,1] op_sel_hi:[1,0,0]
	v_mov_b32_e32 v69, v55
	ds_load_2addr_b64 v[54:57], v58 offset0:19 offset1:20
	v_pk_add_f32 v[24:25], v[24:25], v[70:71] neg_lo:[0,1] neg_hi:[0,1]
	v_pk_add_f32 v[26:27], v[26:27], v[68:69] neg_lo:[0,1] neg_hi:[0,1]
	s_wait_dscnt 0x0
	v_dual_mul_f32 v68, v55, v67 :: v_dual_mul_f32 v70, v55, v64
	s_delay_alu instid0(VALU_DEP_1) | instskip(NEXT) | instid1(VALU_DEP_2)
	v_pk_fma_f32 v[68:69], v[54:55], v[42:43], v[68:69] op_sel_hi:[1,1,0] neg_lo:[0,0,1] neg_hi:[0,0,1]
	v_pk_fma_f32 v[54:55], v[54:55], v[42:43], v[70:71] op_sel:[1,0,0] op_sel_hi:[0,1,0]
	s_delay_alu instid0(VALU_DEP_1) | instskip(SKIP_1) | instid1(VALU_DEP_2)
	v_mov_b32_e32 v69, v55
	v_pk_mul_f32 v[54:55], v[56:57], v[66:67] op_sel:[0,1]
	v_pk_add_f32 v[6:7], v[6:7], v[68:69] neg_lo:[0,1] neg_hi:[0,1]
	s_delay_alu instid0(VALU_DEP_2) | instskip(SKIP_1) | instid1(VALU_DEP_1)
	v_pk_fma_f32 v[68:69], v[56:57], v[64:65], v[54:55] op_sel:[0,0,1] op_sel_hi:[1,1,0] neg_lo:[0,0,1] neg_hi:[0,0,1]
	v_pk_fma_f32 v[54:55], v[56:57], v[64:65], v[54:55] op_sel:[0,0,1] op_sel_hi:[1,0,0]
	v_mov_b32_e32 v69, v55
	ds_load_2addr_b64 v[54:57], v58 offset0:21 offset1:22
	v_pk_add_f32 v[22:23], v[22:23], v[68:69] neg_lo:[0,1] neg_hi:[0,1]
	s_wait_dscnt 0x0
	v_pk_mul_f32 v[68:69], v[54:55], v[66:67] op_sel:[0,1]
	s_delay_alu instid0(VALU_DEP_1) | instskip(SKIP_1) | instid1(VALU_DEP_1)
	v_pk_fma_f32 v[70:71], v[54:55], v[64:65], v[68:69] op_sel:[0,0,1] op_sel_hi:[1,1,0] neg_lo:[0,0,1] neg_hi:[0,0,1]
	v_pk_fma_f32 v[54:55], v[54:55], v[64:65], v[68:69] op_sel:[0,0,1] op_sel_hi:[1,0,0]
	v_mov_b32_e32 v71, v55
	v_pk_mul_f32 v[54:55], v[56:57], v[66:67] op_sel:[0,1]
	s_delay_alu instid0(VALU_DEP_2) | instskip(NEXT) | instid1(VALU_DEP_2)
	v_pk_add_f32 v[20:21], v[20:21], v[70:71] neg_lo:[0,1] neg_hi:[0,1]
	v_pk_fma_f32 v[68:69], v[56:57], v[64:65], v[54:55] op_sel:[0,0,1] op_sel_hi:[1,1,0] neg_lo:[0,0,1] neg_hi:[0,0,1]
	v_pk_fma_f32 v[54:55], v[56:57], v[64:65], v[54:55] op_sel:[0,0,1] op_sel_hi:[1,0,0]
	s_delay_alu instid0(VALU_DEP_1) | instskip(SKIP_4) | instid1(VALU_DEP_1)
	v_mov_b32_e32 v69, v55
	ds_load_b64 v[54:55], v58 offset:184
	v_pk_add_f32 v[16:17], v[16:17], v[68:69] neg_lo:[0,1] neg_hi:[0,1]
	s_wait_dscnt 0x0
	v_pk_mul_f32 v[56:57], v[54:55], v[66:67] op_sel:[0,1]
	v_pk_fma_f32 v[66:67], v[54:55], v[64:65], v[56:57] op_sel:[0,0,1] op_sel_hi:[1,1,0] neg_lo:[0,0,1] neg_hi:[0,0,1]
	v_pk_fma_f32 v[54:55], v[54:55], v[64:65], v[56:57] op_sel:[0,0,1] op_sel_hi:[1,0,0]
	s_delay_alu instid0(VALU_DEP_1) | instskip(NEXT) | instid1(VALU_DEP_1)
	v_mov_b32_e32 v67, v55
	v_pk_add_f32 v[52:53], v[52:53], v[66:67] neg_lo:[0,1] neg_hi:[0,1]
.LBB46_230:
	s_or_b32 exec_lo, exec_lo, s0
	v_lshl_add_u32 v54, v62, 3, v58
	s_barrier_signal -1
	s_barrier_wait -1
	ds_store_b64 v54, v[18:19]
	s_wait_dscnt 0x0
	s_barrier_signal -1
	s_barrier_wait -1
	ds_load_b64 v[54:55], v58 offset:88
	v_mov_b32_e32 v56, 11
	s_cmp_lt_i32 s14, 13
	s_cbranch_scc1 .LBB46_233
; %bb.231:
	v_add3_u32 v57, v59, 0, 0x60
	v_mov_b32_e32 v56, 11
	s_mov_b32 s0, 12
.LBB46_232:                             ; =>This Inner Loop Header: Depth=1
	ds_load_b64 v[64:65], v57
	s_wait_dscnt 0x1
	v_cmp_gt_f32_e32 vcc_lo, 0, v54
	v_cndmask_b32_e64 v66, v54, -v54, vcc_lo
	v_cmp_gt_f32_e32 vcc_lo, 0, v55
	v_cndmask_b32_e64 v68, v55, -v55, vcc_lo
	s_wait_dscnt 0x0
	v_cmp_gt_f32_e32 vcc_lo, 0, v64
	v_cndmask_b32_e64 v67, v64, -v64, vcc_lo
	v_cmp_gt_f32_e32 vcc_lo, 0, v65
	v_cndmask_b32_e64 v69, v65, -v65, vcc_lo
	s_delay_alu instid0(VALU_DEP_1) | instskip(NEXT) | instid1(VALU_DEP_1)
	v_pk_add_f32 v[66:67], v[66:67], v[68:69]
	v_cmp_lt_f32_e32 vcc_lo, v66, v67
	v_dual_cndmask_b32 v54, v54, v64 :: v_dual_add_nc_u32 v57, 8, v57
	v_cndmask_b32_e32 v55, v55, v65, vcc_lo
	v_cndmask_b32_e64 v56, v56, s0, vcc_lo
	s_add_co_i32 s0, s0, 1
	s_delay_alu instid0(SALU_CYCLE_1)
	s_cmp_lg_u32 s14, s0
	s_cbranch_scc1 .LBB46_232
.LBB46_233:
	s_wait_dscnt 0x0
	v_cmp_eq_f32_e32 vcc_lo, 0, v54
	v_cmp_eq_f32_e64 s0, 0, v55
	s_and_b32 s0, vcc_lo, s0
	s_delay_alu instid0(SALU_CYCLE_1) | instskip(NEXT) | instid1(SALU_CYCLE_1)
	s_and_saveexec_b32 s1, s0
	s_xor_b32 s0, exec_lo, s1
; %bb.234:
	v_cmp_ne_u32_e32 vcc_lo, 0, v60
	v_cndmask_b32_e32 v60, 12, v60, vcc_lo
; %bb.235:
	s_and_not1_saveexec_b32 s0, s0
	s_cbranch_execz .LBB46_241
; %bb.236:
	v_cmp_ngt_f32_e64 s1, |v54|, |v55|
	s_and_saveexec_b32 s15, s1
	s_delay_alu instid0(SALU_CYCLE_1)
	s_xor_b32 s1, exec_lo, s15
	s_cbranch_execz .LBB46_238
; %bb.237:
	v_div_scale_f32 v57, null, v55, v55, v54
	v_div_scale_f32 v65, vcc_lo, v54, v55, v54
	s_delay_alu instid0(VALU_DEP_2) | instskip(SKIP_1) | instid1(TRANS32_DEP_1)
	v_rcp_f32_e32 v63, v57
	v_nop
	v_fma_f32 v64, -v57, v63, 1.0
	s_delay_alu instid0(VALU_DEP_1) | instskip(NEXT) | instid1(VALU_DEP_1)
	v_fmac_f32_e32 v63, v64, v63
	v_mul_f32_e32 v64, v65, v63
	s_delay_alu instid0(VALU_DEP_1) | instskip(NEXT) | instid1(VALU_DEP_1)
	v_fma_f32 v66, -v57, v64, v65
	v_fmac_f32_e32 v64, v66, v63
	s_delay_alu instid0(VALU_DEP_1) | instskip(NEXT) | instid1(VALU_DEP_1)
	v_fma_f32 v57, -v57, v64, v65
	v_div_fmas_f32 v57, v57, v63, v64
	s_delay_alu instid0(VALU_DEP_1) | instskip(NEXT) | instid1(VALU_DEP_1)
	v_div_fixup_f32 v57, v57, v55, v54
	v_fmac_f32_e32 v55, v54, v57
	s_delay_alu instid0(VALU_DEP_1) | instskip(SKIP_1) | instid1(VALU_DEP_2)
	v_div_scale_f32 v54, null, v55, v55, 1.0
	v_div_scale_f32 v65, vcc_lo, 1.0, v55, 1.0
	v_rcp_f32_e32 v63, v54
	v_nop
	s_delay_alu instid0(TRANS32_DEP_1) | instskip(NEXT) | instid1(VALU_DEP_1)
	v_fma_f32 v64, -v54, v63, 1.0
	v_fmac_f32_e32 v63, v64, v63
	s_delay_alu instid0(VALU_DEP_1) | instskip(NEXT) | instid1(VALU_DEP_1)
	v_mul_f32_e32 v64, v65, v63
	v_fma_f32 v66, -v54, v64, v65
	s_delay_alu instid0(VALU_DEP_1) | instskip(NEXT) | instid1(VALU_DEP_1)
	v_fmac_f32_e32 v64, v66, v63
	v_fma_f32 v54, -v54, v64, v65
	s_delay_alu instid0(VALU_DEP_1) | instskip(NEXT) | instid1(VALU_DEP_1)
	v_div_fmas_f32 v54, v54, v63, v64
	v_div_fixup_f32 v55, v54, v55, 1.0
	s_delay_alu instid0(VALU_DEP_1)
	v_mul_f32_e32 v54, v57, v55
	v_xor_b32_e32 v55, 0x80000000, v55
.LBB46_238:
	s_and_not1_saveexec_b32 s1, s1
	s_cbranch_execz .LBB46_240
; %bb.239:
	s_delay_alu instid0(VALU_DEP_1) | instskip(SKIP_1) | instid1(VALU_DEP_2)
	v_div_scale_f32 v57, null, v54, v54, v55
	v_div_scale_f32 v65, vcc_lo, v55, v54, v55
	v_rcp_f32_e32 v63, v57
	v_nop
	s_delay_alu instid0(TRANS32_DEP_1) | instskip(NEXT) | instid1(VALU_DEP_1)
	v_fma_f32 v64, -v57, v63, 1.0
	v_fmac_f32_e32 v63, v64, v63
	s_delay_alu instid0(VALU_DEP_1) | instskip(NEXT) | instid1(VALU_DEP_1)
	v_mul_f32_e32 v64, v65, v63
	v_fma_f32 v66, -v57, v64, v65
	s_delay_alu instid0(VALU_DEP_1) | instskip(NEXT) | instid1(VALU_DEP_1)
	v_fmac_f32_e32 v64, v66, v63
	v_fma_f32 v57, -v57, v64, v65
	s_delay_alu instid0(VALU_DEP_1) | instskip(NEXT) | instid1(VALU_DEP_1)
	v_div_fmas_f32 v57, v57, v63, v64
	v_div_fixup_f32 v57, v57, v54, v55
	s_delay_alu instid0(VALU_DEP_1) | instskip(NEXT) | instid1(VALU_DEP_1)
	v_fmac_f32_e32 v54, v55, v57
	v_div_scale_f32 v55, null, v54, v54, 1.0
	s_delay_alu instid0(VALU_DEP_1) | instskip(SKIP_1) | instid1(TRANS32_DEP_1)
	v_rcp_f32_e32 v63, v55
	v_nop
	v_fma_f32 v64, -v55, v63, 1.0
	s_delay_alu instid0(VALU_DEP_1) | instskip(SKIP_1) | instid1(VALU_DEP_1)
	v_fmac_f32_e32 v63, v64, v63
	v_div_scale_f32 v64, vcc_lo, 1.0, v54, 1.0
	v_mul_f32_e32 v65, v64, v63
	s_delay_alu instid0(VALU_DEP_1) | instskip(NEXT) | instid1(VALU_DEP_1)
	v_fma_f32 v66, -v55, v65, v64
	v_fmac_f32_e32 v65, v66, v63
	s_delay_alu instid0(VALU_DEP_1) | instskip(NEXT) | instid1(VALU_DEP_1)
	v_fma_f32 v55, -v55, v65, v64
	v_div_fmas_f32 v55, v55, v63, v65
	s_delay_alu instid0(VALU_DEP_1) | instskip(NEXT) | instid1(VALU_DEP_1)
	v_div_fixup_f32 v54, v55, v54, 1.0
	v_mul_f32_e64 v55, v57, -v54
.LBB46_240:
	s_or_b32 exec_lo, exec_lo, s1
.LBB46_241:
	s_delay_alu instid0(SALU_CYCLE_1) | instskip(NEXT) | instid1(SALU_CYCLE_1)
	s_or_b32 exec_lo, exec_lo, s0
	s_mov_b32 s0, exec_lo
	v_cmpx_ne_u32_e64 v62, v56
	s_xor_b32 s0, exec_lo, s0
	s_cbranch_execz .LBB46_247
; %bb.242:
	s_mov_b32 s1, exec_lo
	v_cmpx_eq_u32_e32 11, v62
	s_cbranch_execz .LBB46_246
; %bb.243:
	v_cmp_ne_u32_e32 vcc_lo, 11, v56
	s_xor_b32 s15, s12, -1
	s_delay_alu instid0(SALU_CYCLE_1) | instskip(NEXT) | instid1(SALU_CYCLE_1)
	s_and_b32 s16, s15, vcc_lo
	s_and_saveexec_b32 s15, s16
	s_cbranch_execz .LBB46_245
; %bb.244:
	v_ashrrev_i32_e32 v57, 31, v56
	s_delay_alu instid0(VALU_DEP_1)
	v_lshl_add_u64 v[62:63], v[56:57], 2, v[30:31]
	s_clause 0x1
	global_load_b32 v57, v[62:63], off
	global_load_b32 v61, v[30:31], off offset:44
	s_wait_loadcnt 0x1
	global_store_b32 v[30:31], v57, off offset:44
	s_wait_loadcnt 0x0
	global_store_b32 v[62:63], v61, off
.LBB46_245:
	s_wait_xcnt 0x0
	s_or_b32 exec_lo, exec_lo, s15
	v_dual_mov_b32 v62, v56 :: v_dual_mov_b32 v61, v56
.LBB46_246:
	s_or_b32 exec_lo, exec_lo, s1
.LBB46_247:
	s_and_not1_saveexec_b32 s0, s0
	s_cbranch_execz .LBB46_249
; %bb.248:
	v_dual_mov_b32 v56, v38 :: v_dual_mov_b32 v57, v39
	v_dual_mov_b32 v62, v34 :: v_dual_mov_b32 v63, v35
	;; [unrolled: 1-line block ×4, first 2 shown]
	ds_store_2addr_b64 v58, v[56:57], v[62:63] offset0:12 offset1:13
	ds_store_2addr_b64 v58, v[64:65], v[66:67] offset0:14 offset1:15
	v_dual_mov_b32 v56, v28 :: v_dual_mov_b32 v57, v29
	v_dual_mov_b32 v64, v24 :: v_dual_mov_b32 v65, v25
	;; [unrolled: 1-line block ×7, first 2 shown]
	v_mov_b32_e32 v75, v17
	ds_store_2addr_b64 v58, v[56:57], v[64:65] offset0:16 offset1:17
	ds_store_2addr_b64 v58, v[66:67], v[68:69] offset0:18 offset1:19
	;; [unrolled: 1-line block ×4, first 2 shown]
.LBB46_249:
	s_or_b32 exec_lo, exec_lo, s0
	s_delay_alu instid0(SALU_CYCLE_1)
	s_mov_b32 s0, exec_lo
	s_wait_storecnt_dscnt 0x0
	s_barrier_signal -1
	s_barrier_wait -1
	v_cmpx_lt_i32_e32 11, v62
	s_cbranch_execz .LBB46_251
; %bb.250:
	v_pk_mul_f32 v[56:57], v[54:55], v[18:19] op_sel:[1,1] op_sel_hi:[0,1]
	s_delay_alu instid0(VALU_DEP_1)
	v_pk_fma_f32 v[64:65], v[54:55], v[18:19], v[56:57] op_sel_hi:[1,0,1] neg_lo:[0,0,1] neg_hi:[0,0,1]
	v_pk_fma_f32 v[66:67], v[54:55], v[18:19], v[56:57] op_sel_hi:[1,0,1]
	ds_load_2addr_b64 v[54:57], v58 offset0:12 offset1:13
	v_dual_mov_b32 v18, v64 :: v_dual_mov_b32 v19, v67
	s_wait_dscnt 0x0
	v_pk_mul_f32 v[68:69], v[54:55], v[66:67] op_sel:[0,1]
	s_delay_alu instid0(VALU_DEP_1) | instskip(SKIP_1) | instid1(VALU_DEP_1)
	v_pk_fma_f32 v[70:71], v[54:55], v[64:65], v[68:69] op_sel:[0,0,1] op_sel_hi:[1,1,0] neg_lo:[0,0,1] neg_hi:[0,0,1]
	v_pk_fma_f32 v[54:55], v[54:55], v[64:65], v[68:69] op_sel:[0,0,1] op_sel_hi:[1,0,0]
	v_mov_b32_e32 v71, v55
	v_pk_mul_f32 v[54:55], v[56:57], v[66:67] op_sel:[0,1]
	s_delay_alu instid0(VALU_DEP_1) | instskip(SKIP_1) | instid1(VALU_DEP_1)
	v_pk_fma_f32 v[68:69], v[56:57], v[64:65], v[54:55] op_sel:[0,0,1] op_sel_hi:[1,1,0] neg_lo:[0,0,1] neg_hi:[0,0,1]
	v_pk_fma_f32 v[54:55], v[56:57], v[64:65], v[54:55] op_sel:[0,0,1] op_sel_hi:[1,0,0]
	v_mov_b32_e32 v69, v55
	ds_load_2addr_b64 v[54:57], v58 offset0:14 offset1:15
	v_pk_add_f32 v[38:39], v[38:39], v[70:71] neg_lo:[0,1] neg_hi:[0,1]
	v_pk_add_f32 v[34:35], v[34:35], v[68:69] neg_lo:[0,1] neg_hi:[0,1]
	s_wait_dscnt 0x0
	v_pk_mul_f32 v[68:69], v[54:55], v[66:67] op_sel:[0,1]
	s_delay_alu instid0(VALU_DEP_1) | instskip(SKIP_2) | instid1(VALU_DEP_2)
	v_pk_fma_f32 v[70:71], v[54:55], v[64:65], v[68:69] op_sel:[0,0,1] op_sel_hi:[1,1,0] neg_lo:[0,0,1] neg_hi:[0,0,1]
	v_pk_fma_f32 v[54:55], v[54:55], v[64:65], v[68:69] op_sel:[0,0,1] op_sel_hi:[1,0,0]
	v_dual_mul_f32 v68, v57, v67 :: v_dual_mov_b32 v54, v57
	v_dual_mov_b32 v71, v55 :: v_dual_mov_b32 v55, v56
	s_delay_alu instid0(VALU_DEP_2) | instskip(SKIP_1) | instid1(VALU_DEP_3)
	v_pk_fma_f32 v[68:69], v[56:57], v[18:19], v[68:69] op_sel_hi:[1,1,0] neg_lo:[0,0,1] neg_hi:[0,0,1]
	v_mul_f32_e32 v56, v57, v64
	v_pk_add_f32 v[36:37], v[36:37], v[70:71] neg_lo:[0,1] neg_hi:[0,1]
	s_delay_alu instid0(VALU_DEP_2) | instskip(NEXT) | instid1(VALU_DEP_1)
	v_pk_fma_f32 v[54:55], v[54:55], v[18:19], v[56:57] op_sel_hi:[1,1,0]
	v_mov_b32_e32 v69, v55
	ds_load_2addr_b64 v[54:57], v58 offset0:16 offset1:17
	v_pk_add_f32 v[8:9], v[8:9], v[68:69] neg_lo:[0,1] neg_hi:[0,1]
	s_wait_dscnt 0x0
	v_pk_mul_f32 v[68:69], v[54:55], v[66:67] op_sel:[0,1]
	s_delay_alu instid0(VALU_DEP_1) | instskip(SKIP_1) | instid1(VALU_DEP_1)
	v_pk_fma_f32 v[70:71], v[54:55], v[64:65], v[68:69] op_sel:[0,0,1] op_sel_hi:[1,1,0] neg_lo:[0,0,1] neg_hi:[0,0,1]
	v_pk_fma_f32 v[54:55], v[54:55], v[64:65], v[68:69] op_sel:[0,0,1] op_sel_hi:[1,0,0]
	v_mov_b32_e32 v71, v55
	v_pk_mul_f32 v[54:55], v[56:57], v[66:67] op_sel:[0,1]
	s_delay_alu instid0(VALU_DEP_1) | instskip(SKIP_1) | instid1(VALU_DEP_1)
	v_pk_fma_f32 v[68:69], v[56:57], v[64:65], v[54:55] op_sel:[0,0,1] op_sel_hi:[1,1,0] neg_lo:[0,0,1] neg_hi:[0,0,1]
	v_pk_fma_f32 v[54:55], v[56:57], v[64:65], v[54:55] op_sel:[0,0,1] op_sel_hi:[1,0,0]
	v_mov_b32_e32 v69, v55
	ds_load_2addr_b64 v[54:57], v58 offset0:18 offset1:19
	v_pk_add_f32 v[28:29], v[28:29], v[70:71] neg_lo:[0,1] neg_hi:[0,1]
	v_pk_add_f32 v[24:25], v[24:25], v[68:69] neg_lo:[0,1] neg_hi:[0,1]
	s_wait_dscnt 0x0
	v_pk_mul_f32 v[68:69], v[54:55], v[66:67] op_sel:[0,1]
	s_delay_alu instid0(VALU_DEP_1) | instskip(SKIP_1) | instid1(VALU_DEP_1)
	v_pk_fma_f32 v[70:71], v[54:55], v[64:65], v[68:69] op_sel:[0,0,1] op_sel_hi:[1,1,0] neg_lo:[0,0,1] neg_hi:[0,0,1]
	v_pk_fma_f32 v[54:55], v[54:55], v[64:65], v[68:69] op_sel:[0,0,1] op_sel_hi:[1,0,0]
	v_mov_b32_e32 v71, v55
	v_pk_mul_f32 v[54:55], v[56:57], v[66:67] op_sel:[0,1]
	s_delay_alu instid0(VALU_DEP_1) | instskip(SKIP_1) | instid1(VALU_DEP_1)
	v_pk_fma_f32 v[68:69], v[56:57], v[64:65], v[54:55] op_sel:[0,0,1] op_sel_hi:[1,1,0] neg_lo:[0,0,1] neg_hi:[0,0,1]
	v_pk_fma_f32 v[54:55], v[56:57], v[64:65], v[54:55] op_sel:[0,0,1] op_sel_hi:[1,0,0]
	v_mov_b32_e32 v69, v55
	ds_load_2addr_b64 v[54:57], v58 offset0:20 offset1:21
	v_pk_add_f32 v[26:27], v[26:27], v[70:71] neg_lo:[0,1] neg_hi:[0,1]
	v_pk_add_f32 v[6:7], v[6:7], v[68:69] neg_lo:[0,1] neg_hi:[0,1]
	s_wait_dscnt 0x0
	v_dual_mul_f32 v68, v55, v67 :: v_dual_mul_f32 v70, v55, v64
	s_delay_alu instid0(VALU_DEP_1) | instskip(NEXT) | instid1(VALU_DEP_2)
	v_pk_fma_f32 v[68:69], v[54:55], v[18:19], v[68:69] op_sel_hi:[1,1,0] neg_lo:[0,0,1] neg_hi:[0,0,1]
	v_pk_fma_f32 v[54:55], v[54:55], v[18:19], v[70:71] op_sel:[1,0,0] op_sel_hi:[0,1,0]
	s_delay_alu instid0(VALU_DEP_1) | instskip(SKIP_1) | instid1(VALU_DEP_2)
	v_mov_b32_e32 v69, v55
	v_pk_mul_f32 v[54:55], v[56:57], v[66:67] op_sel:[0,1]
	v_pk_add_f32 v[22:23], v[22:23], v[68:69] neg_lo:[0,1] neg_hi:[0,1]
	s_delay_alu instid0(VALU_DEP_2) | instskip(SKIP_1) | instid1(VALU_DEP_1)
	v_pk_fma_f32 v[68:69], v[56:57], v[64:65], v[54:55] op_sel:[0,0,1] op_sel_hi:[1,1,0] neg_lo:[0,0,1] neg_hi:[0,0,1]
	v_pk_fma_f32 v[54:55], v[56:57], v[64:65], v[54:55] op_sel:[0,0,1] op_sel_hi:[1,0,0]
	v_mov_b32_e32 v69, v55
	ds_load_2addr_b64 v[54:57], v58 offset0:22 offset1:23
	v_pk_add_f32 v[20:21], v[20:21], v[68:69] neg_lo:[0,1] neg_hi:[0,1]
	s_wait_dscnt 0x0
	v_pk_mul_f32 v[68:69], v[54:55], v[66:67] op_sel:[0,1]
	v_mul_f32_e32 v66, v57, v67
	s_delay_alu instid0(VALU_DEP_2) | instskip(SKIP_2) | instid1(VALU_DEP_4)
	v_pk_fma_f32 v[70:71], v[54:55], v[64:65], v[68:69] op_sel:[0,0,1] op_sel_hi:[1,1,0] neg_lo:[0,0,1] neg_hi:[0,0,1]
	v_pk_fma_f32 v[54:55], v[54:55], v[64:65], v[68:69] op_sel:[0,0,1] op_sel_hi:[1,0,0]
	v_mov_b32_e32 v54, v57
	v_pk_fma_f32 v[66:67], v[56:57], v[18:19], v[66:67] op_sel_hi:[1,1,0] neg_lo:[0,0,1] neg_hi:[0,0,1]
	s_delay_alu instid0(VALU_DEP_3) | instskip(SKIP_1) | instid1(VALU_DEP_2)
	v_dual_mov_b32 v71, v55 :: v_dual_mov_b32 v55, v56
	v_mul_f32_e32 v56, v57, v64
	v_pk_add_f32 v[16:17], v[16:17], v[70:71] neg_lo:[0,1] neg_hi:[0,1]
	s_delay_alu instid0(VALU_DEP_2) | instskip(NEXT) | instid1(VALU_DEP_1)
	v_pk_fma_f32 v[54:55], v[54:55], v[18:19], v[56:57] op_sel_hi:[1,1,0]
	v_mov_b32_e32 v67, v55
	s_delay_alu instid0(VALU_DEP_1)
	v_pk_add_f32 v[52:53], v[52:53], v[66:67] neg_lo:[0,1] neg_hi:[0,1]
.LBB46_251:
	s_or_b32 exec_lo, exec_lo, s0
	v_lshl_add_u32 v54, v62, 3, v58
	s_barrier_signal -1
	s_barrier_wait -1
	ds_store_b64 v54, v[38:39]
	s_wait_dscnt 0x0
	s_barrier_signal -1
	s_barrier_wait -1
	ds_load_b64 v[54:55], v58 offset:96
	v_mov_b32_e32 v56, 12
	s_cmp_lt_i32 s14, 14
	s_cbranch_scc1 .LBB46_254
; %bb.252:
	v_add3_u32 v57, v59, 0, 0x68
	v_mov_b32_e32 v56, 12
	s_mov_b32 s0, 13
.LBB46_253:                             ; =>This Inner Loop Header: Depth=1
	ds_load_b64 v[64:65], v57
	s_wait_dscnt 0x1
	v_cmp_gt_f32_e32 vcc_lo, 0, v54
	v_cndmask_b32_e64 v66, v54, -v54, vcc_lo
	v_cmp_gt_f32_e32 vcc_lo, 0, v55
	v_cndmask_b32_e64 v68, v55, -v55, vcc_lo
	s_wait_dscnt 0x0
	v_cmp_gt_f32_e32 vcc_lo, 0, v64
	v_cndmask_b32_e64 v67, v64, -v64, vcc_lo
	v_cmp_gt_f32_e32 vcc_lo, 0, v65
	v_cndmask_b32_e64 v69, v65, -v65, vcc_lo
	s_delay_alu instid0(VALU_DEP_1) | instskip(NEXT) | instid1(VALU_DEP_1)
	v_pk_add_f32 v[66:67], v[66:67], v[68:69]
	v_cmp_lt_f32_e32 vcc_lo, v66, v67
	v_dual_cndmask_b32 v54, v54, v64 :: v_dual_add_nc_u32 v57, 8, v57
	v_cndmask_b32_e32 v55, v55, v65, vcc_lo
	v_cndmask_b32_e64 v56, v56, s0, vcc_lo
	s_add_co_i32 s0, s0, 1
	s_delay_alu instid0(SALU_CYCLE_1)
	s_cmp_lg_u32 s14, s0
	s_cbranch_scc1 .LBB46_253
.LBB46_254:
	s_wait_dscnt 0x0
	v_cmp_eq_f32_e32 vcc_lo, 0, v54
	v_cmp_eq_f32_e64 s0, 0, v55
	s_and_b32 s0, vcc_lo, s0
	s_delay_alu instid0(SALU_CYCLE_1) | instskip(NEXT) | instid1(SALU_CYCLE_1)
	s_and_saveexec_b32 s1, s0
	s_xor_b32 s0, exec_lo, s1
; %bb.255:
	v_cmp_ne_u32_e32 vcc_lo, 0, v60
	v_cndmask_b32_e32 v60, 13, v60, vcc_lo
; %bb.256:
	s_and_not1_saveexec_b32 s0, s0
	s_cbranch_execz .LBB46_262
; %bb.257:
	v_cmp_ngt_f32_e64 s1, |v54|, |v55|
	s_and_saveexec_b32 s15, s1
	s_delay_alu instid0(SALU_CYCLE_1)
	s_xor_b32 s1, exec_lo, s15
	s_cbranch_execz .LBB46_259
; %bb.258:
	v_div_scale_f32 v57, null, v55, v55, v54
	v_div_scale_f32 v65, vcc_lo, v54, v55, v54
	s_delay_alu instid0(VALU_DEP_2) | instskip(SKIP_1) | instid1(TRANS32_DEP_1)
	v_rcp_f32_e32 v63, v57
	v_nop
	v_fma_f32 v64, -v57, v63, 1.0
	s_delay_alu instid0(VALU_DEP_1) | instskip(NEXT) | instid1(VALU_DEP_1)
	v_fmac_f32_e32 v63, v64, v63
	v_mul_f32_e32 v64, v65, v63
	s_delay_alu instid0(VALU_DEP_1) | instskip(NEXT) | instid1(VALU_DEP_1)
	v_fma_f32 v66, -v57, v64, v65
	v_fmac_f32_e32 v64, v66, v63
	s_delay_alu instid0(VALU_DEP_1) | instskip(NEXT) | instid1(VALU_DEP_1)
	v_fma_f32 v57, -v57, v64, v65
	v_div_fmas_f32 v57, v57, v63, v64
	s_delay_alu instid0(VALU_DEP_1) | instskip(NEXT) | instid1(VALU_DEP_1)
	v_div_fixup_f32 v57, v57, v55, v54
	v_fmac_f32_e32 v55, v54, v57
	s_delay_alu instid0(VALU_DEP_1) | instskip(SKIP_1) | instid1(VALU_DEP_2)
	v_div_scale_f32 v54, null, v55, v55, 1.0
	v_div_scale_f32 v65, vcc_lo, 1.0, v55, 1.0
	v_rcp_f32_e32 v63, v54
	v_nop
	s_delay_alu instid0(TRANS32_DEP_1) | instskip(NEXT) | instid1(VALU_DEP_1)
	v_fma_f32 v64, -v54, v63, 1.0
	v_fmac_f32_e32 v63, v64, v63
	s_delay_alu instid0(VALU_DEP_1) | instskip(NEXT) | instid1(VALU_DEP_1)
	v_mul_f32_e32 v64, v65, v63
	v_fma_f32 v66, -v54, v64, v65
	s_delay_alu instid0(VALU_DEP_1) | instskip(NEXT) | instid1(VALU_DEP_1)
	v_fmac_f32_e32 v64, v66, v63
	v_fma_f32 v54, -v54, v64, v65
	s_delay_alu instid0(VALU_DEP_1) | instskip(NEXT) | instid1(VALU_DEP_1)
	v_div_fmas_f32 v54, v54, v63, v64
	v_div_fixup_f32 v55, v54, v55, 1.0
	s_delay_alu instid0(VALU_DEP_1)
	v_mul_f32_e32 v54, v57, v55
	v_xor_b32_e32 v55, 0x80000000, v55
.LBB46_259:
	s_and_not1_saveexec_b32 s1, s1
	s_cbranch_execz .LBB46_261
; %bb.260:
	s_delay_alu instid0(VALU_DEP_1) | instskip(SKIP_1) | instid1(VALU_DEP_2)
	v_div_scale_f32 v57, null, v54, v54, v55
	v_div_scale_f32 v65, vcc_lo, v55, v54, v55
	v_rcp_f32_e32 v63, v57
	v_nop
	s_delay_alu instid0(TRANS32_DEP_1) | instskip(NEXT) | instid1(VALU_DEP_1)
	v_fma_f32 v64, -v57, v63, 1.0
	v_fmac_f32_e32 v63, v64, v63
	s_delay_alu instid0(VALU_DEP_1) | instskip(NEXT) | instid1(VALU_DEP_1)
	v_mul_f32_e32 v64, v65, v63
	v_fma_f32 v66, -v57, v64, v65
	s_delay_alu instid0(VALU_DEP_1) | instskip(NEXT) | instid1(VALU_DEP_1)
	v_fmac_f32_e32 v64, v66, v63
	v_fma_f32 v57, -v57, v64, v65
	s_delay_alu instid0(VALU_DEP_1) | instskip(NEXT) | instid1(VALU_DEP_1)
	v_div_fmas_f32 v57, v57, v63, v64
	v_div_fixup_f32 v57, v57, v54, v55
	s_delay_alu instid0(VALU_DEP_1) | instskip(NEXT) | instid1(VALU_DEP_1)
	v_fmac_f32_e32 v54, v55, v57
	v_div_scale_f32 v55, null, v54, v54, 1.0
	s_delay_alu instid0(VALU_DEP_1) | instskip(SKIP_1) | instid1(TRANS32_DEP_1)
	v_rcp_f32_e32 v63, v55
	v_nop
	v_fma_f32 v64, -v55, v63, 1.0
	s_delay_alu instid0(VALU_DEP_1) | instskip(SKIP_1) | instid1(VALU_DEP_1)
	v_fmac_f32_e32 v63, v64, v63
	v_div_scale_f32 v64, vcc_lo, 1.0, v54, 1.0
	v_mul_f32_e32 v65, v64, v63
	s_delay_alu instid0(VALU_DEP_1) | instskip(NEXT) | instid1(VALU_DEP_1)
	v_fma_f32 v66, -v55, v65, v64
	v_fmac_f32_e32 v65, v66, v63
	s_delay_alu instid0(VALU_DEP_1) | instskip(NEXT) | instid1(VALU_DEP_1)
	v_fma_f32 v55, -v55, v65, v64
	v_div_fmas_f32 v55, v55, v63, v65
	s_delay_alu instid0(VALU_DEP_1) | instskip(NEXT) | instid1(VALU_DEP_1)
	v_div_fixup_f32 v54, v55, v54, 1.0
	v_mul_f32_e64 v55, v57, -v54
.LBB46_261:
	s_or_b32 exec_lo, exec_lo, s1
.LBB46_262:
	s_delay_alu instid0(SALU_CYCLE_1) | instskip(NEXT) | instid1(SALU_CYCLE_1)
	s_or_b32 exec_lo, exec_lo, s0
	s_mov_b32 s0, exec_lo
	v_cmpx_ne_u32_e64 v62, v56
	s_xor_b32 s0, exec_lo, s0
	s_cbranch_execz .LBB46_268
; %bb.263:
	s_mov_b32 s1, exec_lo
	v_cmpx_eq_u32_e32 12, v62
	s_cbranch_execz .LBB46_267
; %bb.264:
	v_cmp_ne_u32_e32 vcc_lo, 12, v56
	s_xor_b32 s15, s12, -1
	s_delay_alu instid0(SALU_CYCLE_1) | instskip(NEXT) | instid1(SALU_CYCLE_1)
	s_and_b32 s16, s15, vcc_lo
	s_and_saveexec_b32 s15, s16
	s_cbranch_execz .LBB46_266
; %bb.265:
	v_ashrrev_i32_e32 v57, 31, v56
	s_delay_alu instid0(VALU_DEP_1)
	v_lshl_add_u64 v[62:63], v[56:57], 2, v[30:31]
	s_clause 0x1
	global_load_b32 v57, v[62:63], off
	global_load_b32 v61, v[30:31], off offset:48
	s_wait_loadcnt 0x1
	global_store_b32 v[30:31], v57, off offset:48
	s_wait_loadcnt 0x0
	global_store_b32 v[62:63], v61, off
.LBB46_266:
	s_wait_xcnt 0x0
	s_or_b32 exec_lo, exec_lo, s15
	v_dual_mov_b32 v62, v56 :: v_dual_mov_b32 v61, v56
.LBB46_267:
	s_or_b32 exec_lo, exec_lo, s1
.LBB46_268:
	s_and_not1_saveexec_b32 s0, s0
	s_cbranch_execz .LBB46_270
; %bb.269:
	v_mov_b32_e32 v62, 12
	ds_store_2addr_b64 v58, v[34:35], v[36:37] offset0:13 offset1:14
	ds_store_2addr_b64 v58, v[8:9], v[28:29] offset0:15 offset1:16
	;; [unrolled: 1-line block ×5, first 2 shown]
	ds_store_b64 v58, v[52:53] offset:184
.LBB46_270:
	s_or_b32 exec_lo, exec_lo, s0
	s_delay_alu instid0(SALU_CYCLE_1)
	s_mov_b32 s0, exec_lo
	s_wait_storecnt_dscnt 0x0
	s_barrier_signal -1
	s_barrier_wait -1
	v_cmpx_lt_i32_e32 12, v62
	s_cbranch_execz .LBB46_272
; %bb.271:
	v_pk_mul_f32 v[56:57], v[54:55], v[38:39] op_sel:[1,1] op_sel_hi:[0,1]
	s_delay_alu instid0(VALU_DEP_1)
	v_pk_fma_f32 v[64:65], v[54:55], v[38:39], v[56:57] op_sel_hi:[1,0,1] neg_lo:[0,0,1] neg_hi:[0,0,1]
	v_pk_fma_f32 v[66:67], v[54:55], v[38:39], v[56:57] op_sel_hi:[1,0,1]
	ds_load_2addr_b64 v[54:57], v58 offset0:13 offset1:14
	v_dual_mov_b32 v38, v64 :: v_dual_mov_b32 v39, v67
	s_wait_dscnt 0x0
	v_pk_mul_f32 v[68:69], v[54:55], v[66:67] op_sel:[0,1]
	s_delay_alu instid0(VALU_DEP_1) | instskip(SKIP_1) | instid1(VALU_DEP_1)
	v_pk_fma_f32 v[70:71], v[54:55], v[64:65], v[68:69] op_sel:[0,0,1] op_sel_hi:[1,1,0] neg_lo:[0,0,1] neg_hi:[0,0,1]
	v_pk_fma_f32 v[54:55], v[54:55], v[64:65], v[68:69] op_sel:[0,0,1] op_sel_hi:[1,0,0]
	v_mov_b32_e32 v71, v55
	v_pk_mul_f32 v[54:55], v[56:57], v[66:67] op_sel:[0,1]
	s_delay_alu instid0(VALU_DEP_1) | instskip(SKIP_1) | instid1(VALU_DEP_1)
	v_pk_fma_f32 v[68:69], v[56:57], v[64:65], v[54:55] op_sel:[0,0,1] op_sel_hi:[1,1,0] neg_lo:[0,0,1] neg_hi:[0,0,1]
	v_pk_fma_f32 v[54:55], v[56:57], v[64:65], v[54:55] op_sel:[0,0,1] op_sel_hi:[1,0,0]
	v_mov_b32_e32 v69, v55
	ds_load_2addr_b64 v[54:57], v58 offset0:15 offset1:16
	v_pk_add_f32 v[34:35], v[34:35], v[70:71] neg_lo:[0,1] neg_hi:[0,1]
	v_pk_add_f32 v[36:37], v[36:37], v[68:69] neg_lo:[0,1] neg_hi:[0,1]
	s_wait_dscnt 0x0
	v_pk_mul_f32 v[68:69], v[54:55], v[66:67] op_sel:[0,1]
	s_delay_alu instid0(VALU_DEP_1) | instskip(SKIP_2) | instid1(VALU_DEP_2)
	v_pk_fma_f32 v[70:71], v[54:55], v[64:65], v[68:69] op_sel:[0,0,1] op_sel_hi:[1,1,0] neg_lo:[0,0,1] neg_hi:[0,0,1]
	v_pk_fma_f32 v[54:55], v[54:55], v[64:65], v[68:69] op_sel:[0,0,1] op_sel_hi:[1,0,0]
	v_dual_mul_f32 v68, v57, v67 :: v_dual_mov_b32 v54, v57
	v_dual_mov_b32 v71, v55 :: v_dual_mov_b32 v55, v56
	s_delay_alu instid0(VALU_DEP_2) | instskip(SKIP_1) | instid1(VALU_DEP_3)
	v_pk_fma_f32 v[68:69], v[56:57], v[38:39], v[68:69] op_sel_hi:[1,1,0] neg_lo:[0,0,1] neg_hi:[0,0,1]
	v_mul_f32_e32 v56, v57, v64
	v_pk_add_f32 v[8:9], v[8:9], v[70:71] neg_lo:[0,1] neg_hi:[0,1]
	s_delay_alu instid0(VALU_DEP_2) | instskip(NEXT) | instid1(VALU_DEP_1)
	v_pk_fma_f32 v[54:55], v[54:55], v[38:39], v[56:57] op_sel_hi:[1,1,0]
	v_mov_b32_e32 v69, v55
	ds_load_2addr_b64 v[54:57], v58 offset0:17 offset1:18
	v_pk_add_f32 v[28:29], v[28:29], v[68:69] neg_lo:[0,1] neg_hi:[0,1]
	s_wait_dscnt 0x0
	v_pk_mul_f32 v[68:69], v[54:55], v[66:67] op_sel:[0,1]
	s_delay_alu instid0(VALU_DEP_1) | instskip(SKIP_1) | instid1(VALU_DEP_1)
	v_pk_fma_f32 v[70:71], v[54:55], v[64:65], v[68:69] op_sel:[0,0,1] op_sel_hi:[1,1,0] neg_lo:[0,0,1] neg_hi:[0,0,1]
	v_pk_fma_f32 v[54:55], v[54:55], v[64:65], v[68:69] op_sel:[0,0,1] op_sel_hi:[1,0,0]
	v_mov_b32_e32 v71, v55
	v_pk_mul_f32 v[54:55], v[56:57], v[66:67] op_sel:[0,1]
	s_delay_alu instid0(VALU_DEP_1) | instskip(SKIP_1) | instid1(VALU_DEP_1)
	v_pk_fma_f32 v[68:69], v[56:57], v[64:65], v[54:55] op_sel:[0,0,1] op_sel_hi:[1,1,0] neg_lo:[0,0,1] neg_hi:[0,0,1]
	v_pk_fma_f32 v[54:55], v[56:57], v[64:65], v[54:55] op_sel:[0,0,1] op_sel_hi:[1,0,0]
	v_mov_b32_e32 v69, v55
	ds_load_2addr_b64 v[54:57], v58 offset0:19 offset1:20
	v_pk_add_f32 v[24:25], v[24:25], v[70:71] neg_lo:[0,1] neg_hi:[0,1]
	v_pk_add_f32 v[26:27], v[26:27], v[68:69] neg_lo:[0,1] neg_hi:[0,1]
	s_wait_dscnt 0x0
	v_pk_mul_f32 v[68:69], v[54:55], v[66:67] op_sel:[0,1]
	s_delay_alu instid0(VALU_DEP_1) | instskip(SKIP_1) | instid1(VALU_DEP_1)
	v_pk_fma_f32 v[70:71], v[54:55], v[64:65], v[68:69] op_sel:[0,0,1] op_sel_hi:[1,1,0] neg_lo:[0,0,1] neg_hi:[0,0,1]
	v_pk_fma_f32 v[54:55], v[54:55], v[64:65], v[68:69] op_sel:[0,0,1] op_sel_hi:[1,0,0]
	v_mov_b32_e32 v71, v55
	v_pk_mul_f32 v[54:55], v[56:57], v[66:67] op_sel:[0,1]
	s_delay_alu instid0(VALU_DEP_1) | instskip(SKIP_1) | instid1(VALU_DEP_1)
	v_pk_fma_f32 v[68:69], v[56:57], v[64:65], v[54:55] op_sel:[0,0,1] op_sel_hi:[1,1,0] neg_lo:[0,0,1] neg_hi:[0,0,1]
	v_pk_fma_f32 v[54:55], v[56:57], v[64:65], v[54:55] op_sel:[0,0,1] op_sel_hi:[1,0,0]
	v_mov_b32_e32 v69, v55
	ds_load_2addr_b64 v[54:57], v58 offset0:21 offset1:22
	v_pk_add_f32 v[6:7], v[6:7], v[70:71] neg_lo:[0,1] neg_hi:[0,1]
	v_pk_add_f32 v[22:23], v[22:23], v[68:69] neg_lo:[0,1] neg_hi:[0,1]
	s_wait_dscnt 0x0
	v_dual_mul_f32 v68, v55, v67 :: v_dual_mul_f32 v70, v55, v64
	s_delay_alu instid0(VALU_DEP_1) | instskip(NEXT) | instid1(VALU_DEP_2)
	v_pk_fma_f32 v[68:69], v[54:55], v[38:39], v[68:69] op_sel_hi:[1,1,0] neg_lo:[0,0,1] neg_hi:[0,0,1]
	v_pk_fma_f32 v[54:55], v[54:55], v[38:39], v[70:71] op_sel:[1,0,0] op_sel_hi:[0,1,0]
	s_delay_alu instid0(VALU_DEP_1) | instskip(SKIP_1) | instid1(VALU_DEP_2)
	v_mov_b32_e32 v69, v55
	v_pk_mul_f32 v[54:55], v[56:57], v[66:67] op_sel:[0,1]
	v_pk_add_f32 v[20:21], v[20:21], v[68:69] neg_lo:[0,1] neg_hi:[0,1]
	s_delay_alu instid0(VALU_DEP_2) | instskip(SKIP_1) | instid1(VALU_DEP_1)
	v_pk_fma_f32 v[68:69], v[56:57], v[64:65], v[54:55] op_sel:[0,0,1] op_sel_hi:[1,1,0] neg_lo:[0,0,1] neg_hi:[0,0,1]
	v_pk_fma_f32 v[54:55], v[56:57], v[64:65], v[54:55] op_sel:[0,0,1] op_sel_hi:[1,0,0]
	v_mov_b32_e32 v69, v55
	ds_load_b64 v[54:55], v58 offset:184
	v_pk_add_f32 v[16:17], v[16:17], v[68:69] neg_lo:[0,1] neg_hi:[0,1]
	s_wait_dscnt 0x0
	v_pk_mul_f32 v[56:57], v[54:55], v[66:67] op_sel:[0,1]
	s_delay_alu instid0(VALU_DEP_1) | instskip(SKIP_1) | instid1(VALU_DEP_1)
	v_pk_fma_f32 v[66:67], v[54:55], v[64:65], v[56:57] op_sel:[0,0,1] op_sel_hi:[1,1,0] neg_lo:[0,0,1] neg_hi:[0,0,1]
	v_pk_fma_f32 v[54:55], v[54:55], v[64:65], v[56:57] op_sel:[0,0,1] op_sel_hi:[1,0,0]
	v_mov_b32_e32 v67, v55
	s_delay_alu instid0(VALU_DEP_1)
	v_pk_add_f32 v[52:53], v[52:53], v[66:67] neg_lo:[0,1] neg_hi:[0,1]
.LBB46_272:
	s_or_b32 exec_lo, exec_lo, s0
	v_lshl_add_u32 v54, v62, 3, v58
	s_barrier_signal -1
	s_barrier_wait -1
	ds_store_b64 v54, v[34:35]
	s_wait_dscnt 0x0
	s_barrier_signal -1
	s_barrier_wait -1
	ds_load_b64 v[54:55], v58 offset:104
	v_mov_b32_e32 v56, 13
	s_cmp_lt_i32 s14, 15
	s_cbranch_scc1 .LBB46_275
; %bb.273:
	v_add3_u32 v57, v59, 0, 0x70
	v_mov_b32_e32 v56, 13
	s_mov_b32 s0, 14
.LBB46_274:                             ; =>This Inner Loop Header: Depth=1
	ds_load_b64 v[64:65], v57
	s_wait_dscnt 0x1
	v_cmp_gt_f32_e32 vcc_lo, 0, v54
	v_cndmask_b32_e64 v66, v54, -v54, vcc_lo
	v_cmp_gt_f32_e32 vcc_lo, 0, v55
	v_cndmask_b32_e64 v68, v55, -v55, vcc_lo
	s_wait_dscnt 0x0
	v_cmp_gt_f32_e32 vcc_lo, 0, v64
	v_cndmask_b32_e64 v67, v64, -v64, vcc_lo
	v_cmp_gt_f32_e32 vcc_lo, 0, v65
	v_cndmask_b32_e64 v69, v65, -v65, vcc_lo
	s_delay_alu instid0(VALU_DEP_1) | instskip(NEXT) | instid1(VALU_DEP_1)
	v_pk_add_f32 v[66:67], v[66:67], v[68:69]
	v_cmp_lt_f32_e32 vcc_lo, v66, v67
	v_dual_cndmask_b32 v54, v54, v64 :: v_dual_add_nc_u32 v57, 8, v57
	v_cndmask_b32_e32 v55, v55, v65, vcc_lo
	v_cndmask_b32_e64 v56, v56, s0, vcc_lo
	s_add_co_i32 s0, s0, 1
	s_delay_alu instid0(SALU_CYCLE_1)
	s_cmp_lg_u32 s14, s0
	s_cbranch_scc1 .LBB46_274
.LBB46_275:
	s_wait_dscnt 0x0
	v_cmp_eq_f32_e32 vcc_lo, 0, v54
	v_cmp_eq_f32_e64 s0, 0, v55
	s_and_b32 s0, vcc_lo, s0
	s_delay_alu instid0(SALU_CYCLE_1) | instskip(NEXT) | instid1(SALU_CYCLE_1)
	s_and_saveexec_b32 s1, s0
	s_xor_b32 s0, exec_lo, s1
; %bb.276:
	v_cmp_ne_u32_e32 vcc_lo, 0, v60
	v_cndmask_b32_e32 v60, 14, v60, vcc_lo
; %bb.277:
	s_and_not1_saveexec_b32 s0, s0
	s_cbranch_execz .LBB46_283
; %bb.278:
	v_cmp_ngt_f32_e64 s1, |v54|, |v55|
	s_and_saveexec_b32 s15, s1
	s_delay_alu instid0(SALU_CYCLE_1)
	s_xor_b32 s1, exec_lo, s15
	s_cbranch_execz .LBB46_280
; %bb.279:
	v_div_scale_f32 v57, null, v55, v55, v54
	v_div_scale_f32 v65, vcc_lo, v54, v55, v54
	s_delay_alu instid0(VALU_DEP_2) | instskip(SKIP_1) | instid1(TRANS32_DEP_1)
	v_rcp_f32_e32 v63, v57
	v_nop
	v_fma_f32 v64, -v57, v63, 1.0
	s_delay_alu instid0(VALU_DEP_1) | instskip(NEXT) | instid1(VALU_DEP_1)
	v_fmac_f32_e32 v63, v64, v63
	v_mul_f32_e32 v64, v65, v63
	s_delay_alu instid0(VALU_DEP_1) | instskip(NEXT) | instid1(VALU_DEP_1)
	v_fma_f32 v66, -v57, v64, v65
	v_fmac_f32_e32 v64, v66, v63
	s_delay_alu instid0(VALU_DEP_1) | instskip(NEXT) | instid1(VALU_DEP_1)
	v_fma_f32 v57, -v57, v64, v65
	v_div_fmas_f32 v57, v57, v63, v64
	s_delay_alu instid0(VALU_DEP_1) | instskip(NEXT) | instid1(VALU_DEP_1)
	v_div_fixup_f32 v57, v57, v55, v54
	v_fmac_f32_e32 v55, v54, v57
	s_delay_alu instid0(VALU_DEP_1) | instskip(SKIP_1) | instid1(VALU_DEP_2)
	v_div_scale_f32 v54, null, v55, v55, 1.0
	v_div_scale_f32 v65, vcc_lo, 1.0, v55, 1.0
	v_rcp_f32_e32 v63, v54
	v_nop
	s_delay_alu instid0(TRANS32_DEP_1) | instskip(NEXT) | instid1(VALU_DEP_1)
	v_fma_f32 v64, -v54, v63, 1.0
	v_fmac_f32_e32 v63, v64, v63
	s_delay_alu instid0(VALU_DEP_1) | instskip(NEXT) | instid1(VALU_DEP_1)
	v_mul_f32_e32 v64, v65, v63
	v_fma_f32 v66, -v54, v64, v65
	s_delay_alu instid0(VALU_DEP_1) | instskip(NEXT) | instid1(VALU_DEP_1)
	v_fmac_f32_e32 v64, v66, v63
	v_fma_f32 v54, -v54, v64, v65
	s_delay_alu instid0(VALU_DEP_1) | instskip(NEXT) | instid1(VALU_DEP_1)
	v_div_fmas_f32 v54, v54, v63, v64
	v_div_fixup_f32 v55, v54, v55, 1.0
	s_delay_alu instid0(VALU_DEP_1)
	v_mul_f32_e32 v54, v57, v55
	v_xor_b32_e32 v55, 0x80000000, v55
.LBB46_280:
	s_and_not1_saveexec_b32 s1, s1
	s_cbranch_execz .LBB46_282
; %bb.281:
	s_delay_alu instid0(VALU_DEP_1) | instskip(SKIP_1) | instid1(VALU_DEP_2)
	v_div_scale_f32 v57, null, v54, v54, v55
	v_div_scale_f32 v65, vcc_lo, v55, v54, v55
	v_rcp_f32_e32 v63, v57
	v_nop
	s_delay_alu instid0(TRANS32_DEP_1) | instskip(NEXT) | instid1(VALU_DEP_1)
	v_fma_f32 v64, -v57, v63, 1.0
	v_fmac_f32_e32 v63, v64, v63
	s_delay_alu instid0(VALU_DEP_1) | instskip(NEXT) | instid1(VALU_DEP_1)
	v_mul_f32_e32 v64, v65, v63
	v_fma_f32 v66, -v57, v64, v65
	s_delay_alu instid0(VALU_DEP_1) | instskip(NEXT) | instid1(VALU_DEP_1)
	v_fmac_f32_e32 v64, v66, v63
	v_fma_f32 v57, -v57, v64, v65
	s_delay_alu instid0(VALU_DEP_1) | instskip(NEXT) | instid1(VALU_DEP_1)
	v_div_fmas_f32 v57, v57, v63, v64
	v_div_fixup_f32 v57, v57, v54, v55
	s_delay_alu instid0(VALU_DEP_1) | instskip(NEXT) | instid1(VALU_DEP_1)
	v_fmac_f32_e32 v54, v55, v57
	v_div_scale_f32 v55, null, v54, v54, 1.0
	s_delay_alu instid0(VALU_DEP_1) | instskip(SKIP_1) | instid1(TRANS32_DEP_1)
	v_rcp_f32_e32 v63, v55
	v_nop
	v_fma_f32 v64, -v55, v63, 1.0
	s_delay_alu instid0(VALU_DEP_1) | instskip(SKIP_1) | instid1(VALU_DEP_1)
	v_fmac_f32_e32 v63, v64, v63
	v_div_scale_f32 v64, vcc_lo, 1.0, v54, 1.0
	v_mul_f32_e32 v65, v64, v63
	s_delay_alu instid0(VALU_DEP_1) | instskip(NEXT) | instid1(VALU_DEP_1)
	v_fma_f32 v66, -v55, v65, v64
	v_fmac_f32_e32 v65, v66, v63
	s_delay_alu instid0(VALU_DEP_1) | instskip(NEXT) | instid1(VALU_DEP_1)
	v_fma_f32 v55, -v55, v65, v64
	v_div_fmas_f32 v55, v55, v63, v65
	s_delay_alu instid0(VALU_DEP_1) | instskip(NEXT) | instid1(VALU_DEP_1)
	v_div_fixup_f32 v54, v55, v54, 1.0
	v_mul_f32_e64 v55, v57, -v54
.LBB46_282:
	s_or_b32 exec_lo, exec_lo, s1
.LBB46_283:
	s_delay_alu instid0(SALU_CYCLE_1) | instskip(NEXT) | instid1(SALU_CYCLE_1)
	s_or_b32 exec_lo, exec_lo, s0
	s_mov_b32 s0, exec_lo
	v_cmpx_ne_u32_e64 v62, v56
	s_xor_b32 s0, exec_lo, s0
	s_cbranch_execz .LBB46_289
; %bb.284:
	s_mov_b32 s1, exec_lo
	v_cmpx_eq_u32_e32 13, v62
	s_cbranch_execz .LBB46_288
; %bb.285:
	v_cmp_ne_u32_e32 vcc_lo, 13, v56
	s_xor_b32 s15, s12, -1
	s_delay_alu instid0(SALU_CYCLE_1) | instskip(NEXT) | instid1(SALU_CYCLE_1)
	s_and_b32 s16, s15, vcc_lo
	s_and_saveexec_b32 s15, s16
	s_cbranch_execz .LBB46_287
; %bb.286:
	v_ashrrev_i32_e32 v57, 31, v56
	s_delay_alu instid0(VALU_DEP_1)
	v_lshl_add_u64 v[62:63], v[56:57], 2, v[30:31]
	s_clause 0x1
	global_load_b32 v57, v[62:63], off
	global_load_b32 v61, v[30:31], off offset:52
	s_wait_loadcnt 0x1
	global_store_b32 v[30:31], v57, off offset:52
	s_wait_loadcnt 0x0
	global_store_b32 v[62:63], v61, off
.LBB46_287:
	s_wait_xcnt 0x0
	s_or_b32 exec_lo, exec_lo, s15
	v_dual_mov_b32 v62, v56 :: v_dual_mov_b32 v61, v56
.LBB46_288:
	s_or_b32 exec_lo, exec_lo, s1
.LBB46_289:
	s_and_not1_saveexec_b32 s0, s0
	s_cbranch_execz .LBB46_291
; %bb.290:
	v_dual_mov_b32 v56, v36 :: v_dual_mov_b32 v57, v37
	v_dual_mov_b32 v64, v8 :: v_dual_mov_b32 v65, v9
	;; [unrolled: 1-line block ×9, first 2 shown]
	v_mov_b32_e32 v79, v17
	ds_store_2addr_b64 v58, v[56:57], v[64:65] offset0:14 offset1:15
	ds_store_2addr_b64 v58, v[66:67], v[68:69] offset0:16 offset1:17
	;; [unrolled: 1-line block ×5, first 2 shown]
.LBB46_291:
	s_or_b32 exec_lo, exec_lo, s0
	s_delay_alu instid0(SALU_CYCLE_1)
	s_mov_b32 s0, exec_lo
	s_wait_storecnt_dscnt 0x0
	s_barrier_signal -1
	s_barrier_wait -1
	v_cmpx_lt_i32_e32 13, v62
	s_cbranch_execz .LBB46_293
; %bb.292:
	v_pk_mul_f32 v[56:57], v[54:55], v[34:35] op_sel:[1,1] op_sel_hi:[0,1]
	s_delay_alu instid0(VALU_DEP_1)
	v_pk_fma_f32 v[64:65], v[54:55], v[34:35], v[56:57] op_sel_hi:[1,0,1] neg_lo:[0,0,1] neg_hi:[0,0,1]
	v_pk_fma_f32 v[66:67], v[54:55], v[34:35], v[56:57] op_sel_hi:[1,0,1]
	ds_load_2addr_b64 v[54:57], v58 offset0:14 offset1:15
	v_dual_mov_b32 v34, v64 :: v_dual_mov_b32 v35, v67
	s_wait_dscnt 0x0
	v_pk_mul_f32 v[68:69], v[54:55], v[66:67] op_sel:[0,1]
	s_delay_alu instid0(VALU_DEP_1) | instskip(SKIP_1) | instid1(VALU_DEP_1)
	v_pk_fma_f32 v[70:71], v[54:55], v[64:65], v[68:69] op_sel:[0,0,1] op_sel_hi:[1,1,0] neg_lo:[0,0,1] neg_hi:[0,0,1]
	v_pk_fma_f32 v[54:55], v[54:55], v[64:65], v[68:69] op_sel:[0,0,1] op_sel_hi:[1,0,0]
	v_mov_b32_e32 v71, v55
	v_pk_mul_f32 v[54:55], v[56:57], v[66:67] op_sel:[0,1]
	s_delay_alu instid0(VALU_DEP_1) | instskip(SKIP_1) | instid1(VALU_DEP_1)
	v_pk_fma_f32 v[68:69], v[56:57], v[64:65], v[54:55] op_sel:[0,0,1] op_sel_hi:[1,1,0] neg_lo:[0,0,1] neg_hi:[0,0,1]
	v_pk_fma_f32 v[54:55], v[56:57], v[64:65], v[54:55] op_sel:[0,0,1] op_sel_hi:[1,0,0]
	v_mov_b32_e32 v69, v55
	ds_load_2addr_b64 v[54:57], v58 offset0:16 offset1:17
	v_pk_add_f32 v[36:37], v[36:37], v[70:71] neg_lo:[0,1] neg_hi:[0,1]
	v_pk_add_f32 v[8:9], v[8:9], v[68:69] neg_lo:[0,1] neg_hi:[0,1]
	s_wait_dscnt 0x0
	v_pk_mul_f32 v[68:69], v[54:55], v[66:67] op_sel:[0,1]
	s_delay_alu instid0(VALU_DEP_1) | instskip(SKIP_2) | instid1(VALU_DEP_2)
	v_pk_fma_f32 v[70:71], v[54:55], v[64:65], v[68:69] op_sel:[0,0,1] op_sel_hi:[1,1,0] neg_lo:[0,0,1] neg_hi:[0,0,1]
	v_pk_fma_f32 v[54:55], v[54:55], v[64:65], v[68:69] op_sel:[0,0,1] op_sel_hi:[1,0,0]
	v_dual_mul_f32 v68, v57, v67 :: v_dual_mov_b32 v54, v57
	v_dual_mov_b32 v71, v55 :: v_dual_mov_b32 v55, v56
	s_delay_alu instid0(VALU_DEP_2) | instskip(SKIP_1) | instid1(VALU_DEP_3)
	v_pk_fma_f32 v[68:69], v[56:57], v[34:35], v[68:69] op_sel_hi:[1,1,0] neg_lo:[0,0,1] neg_hi:[0,0,1]
	v_mul_f32_e32 v56, v57, v64
	v_pk_add_f32 v[28:29], v[28:29], v[70:71] neg_lo:[0,1] neg_hi:[0,1]
	s_delay_alu instid0(VALU_DEP_2) | instskip(NEXT) | instid1(VALU_DEP_1)
	v_pk_fma_f32 v[54:55], v[54:55], v[34:35], v[56:57] op_sel_hi:[1,1,0]
	v_mov_b32_e32 v69, v55
	ds_load_2addr_b64 v[54:57], v58 offset0:18 offset1:19
	v_pk_add_f32 v[24:25], v[24:25], v[68:69] neg_lo:[0,1] neg_hi:[0,1]
	s_wait_dscnt 0x0
	v_pk_mul_f32 v[68:69], v[54:55], v[66:67] op_sel:[0,1]
	s_delay_alu instid0(VALU_DEP_1) | instskip(SKIP_1) | instid1(VALU_DEP_1)
	v_pk_fma_f32 v[70:71], v[54:55], v[64:65], v[68:69] op_sel:[0,0,1] op_sel_hi:[1,1,0] neg_lo:[0,0,1] neg_hi:[0,0,1]
	v_pk_fma_f32 v[54:55], v[54:55], v[64:65], v[68:69] op_sel:[0,0,1] op_sel_hi:[1,0,0]
	v_mov_b32_e32 v71, v55
	v_pk_mul_f32 v[54:55], v[56:57], v[66:67] op_sel:[0,1]
	s_delay_alu instid0(VALU_DEP_1) | instskip(SKIP_1) | instid1(VALU_DEP_1)
	v_pk_fma_f32 v[68:69], v[56:57], v[64:65], v[54:55] op_sel:[0,0,1] op_sel_hi:[1,1,0] neg_lo:[0,0,1] neg_hi:[0,0,1]
	v_pk_fma_f32 v[54:55], v[56:57], v[64:65], v[54:55] op_sel:[0,0,1] op_sel_hi:[1,0,0]
	v_mov_b32_e32 v69, v55
	ds_load_2addr_b64 v[54:57], v58 offset0:20 offset1:21
	v_pk_add_f32 v[26:27], v[26:27], v[70:71] neg_lo:[0,1] neg_hi:[0,1]
	v_pk_add_f32 v[6:7], v[6:7], v[68:69] neg_lo:[0,1] neg_hi:[0,1]
	s_wait_dscnt 0x0
	v_pk_mul_f32 v[68:69], v[54:55], v[66:67] op_sel:[0,1]
	s_delay_alu instid0(VALU_DEP_1) | instskip(SKIP_1) | instid1(VALU_DEP_1)
	v_pk_fma_f32 v[70:71], v[54:55], v[64:65], v[68:69] op_sel:[0,0,1] op_sel_hi:[1,1,0] neg_lo:[0,0,1] neg_hi:[0,0,1]
	v_pk_fma_f32 v[54:55], v[54:55], v[64:65], v[68:69] op_sel:[0,0,1] op_sel_hi:[1,0,0]
	v_mov_b32_e32 v71, v55
	v_pk_mul_f32 v[54:55], v[56:57], v[66:67] op_sel:[0,1]
	s_delay_alu instid0(VALU_DEP_1) | instskip(SKIP_1) | instid1(VALU_DEP_1)
	v_pk_fma_f32 v[68:69], v[56:57], v[64:65], v[54:55] op_sel:[0,0,1] op_sel_hi:[1,1,0] neg_lo:[0,0,1] neg_hi:[0,0,1]
	v_pk_fma_f32 v[54:55], v[56:57], v[64:65], v[54:55] op_sel:[0,0,1] op_sel_hi:[1,0,0]
	v_mov_b32_e32 v69, v55
	ds_load_2addr_b64 v[54:57], v58 offset0:22 offset1:23
	v_pk_add_f32 v[22:23], v[22:23], v[70:71] neg_lo:[0,1] neg_hi:[0,1]
	v_pk_add_f32 v[20:21], v[20:21], v[68:69] neg_lo:[0,1] neg_hi:[0,1]
	s_wait_dscnt 0x0
	v_dual_mul_f32 v68, v55, v67 :: v_dual_mul_f32 v70, v55, v64
	s_delay_alu instid0(VALU_DEP_1) | instskip(NEXT) | instid1(VALU_DEP_2)
	v_pk_fma_f32 v[68:69], v[54:55], v[34:35], v[68:69] op_sel_hi:[1,1,0] neg_lo:[0,0,1] neg_hi:[0,0,1]
	v_pk_fma_f32 v[54:55], v[54:55], v[34:35], v[70:71] op_sel:[1,0,0] op_sel_hi:[0,1,0]
	s_delay_alu instid0(VALU_DEP_1) | instskip(SKIP_1) | instid1(VALU_DEP_1)
	v_mov_b32_e32 v69, v55
	v_pk_mul_f32 v[54:55], v[56:57], v[66:67] op_sel:[0,1]
	v_pk_fma_f32 v[66:67], v[56:57], v[64:65], v[54:55] op_sel:[0,0,1] op_sel_hi:[1,1,0] neg_lo:[0,0,1] neg_hi:[0,0,1]
	v_pk_fma_f32 v[54:55], v[56:57], v[64:65], v[54:55] op_sel:[0,0,1] op_sel_hi:[1,0,0]
	s_delay_alu instid0(VALU_DEP_1) | instskip(SKIP_1) | instid1(VALU_DEP_2)
	v_mov_b32_e32 v67, v55
	v_pk_add_f32 v[16:17], v[16:17], v[68:69] neg_lo:[0,1] neg_hi:[0,1]
	v_pk_add_f32 v[52:53], v[52:53], v[66:67] neg_lo:[0,1] neg_hi:[0,1]
.LBB46_293:
	s_or_b32 exec_lo, exec_lo, s0
	v_lshl_add_u32 v54, v62, 3, v58
	s_barrier_signal -1
	s_barrier_wait -1
	ds_store_b64 v54, v[36:37]
	s_wait_dscnt 0x0
	s_barrier_signal -1
	s_barrier_wait -1
	ds_load_b64 v[54:55], v58 offset:112
	v_mov_b32_e32 v56, 14
	s_cmp_lt_i32 s14, 16
	s_cbranch_scc1 .LBB46_296
; %bb.294:
	v_add3_u32 v57, v59, 0, 0x78
	v_mov_b32_e32 v56, 14
	s_mov_b32 s0, 15
.LBB46_295:                             ; =>This Inner Loop Header: Depth=1
	ds_load_b64 v[64:65], v57
	s_wait_dscnt 0x1
	v_cmp_gt_f32_e32 vcc_lo, 0, v54
	v_cndmask_b32_e64 v66, v54, -v54, vcc_lo
	v_cmp_gt_f32_e32 vcc_lo, 0, v55
	v_cndmask_b32_e64 v68, v55, -v55, vcc_lo
	s_wait_dscnt 0x0
	v_cmp_gt_f32_e32 vcc_lo, 0, v64
	v_cndmask_b32_e64 v67, v64, -v64, vcc_lo
	v_cmp_gt_f32_e32 vcc_lo, 0, v65
	v_cndmask_b32_e64 v69, v65, -v65, vcc_lo
	s_delay_alu instid0(VALU_DEP_1) | instskip(NEXT) | instid1(VALU_DEP_1)
	v_pk_add_f32 v[66:67], v[66:67], v[68:69]
	v_cmp_lt_f32_e32 vcc_lo, v66, v67
	v_dual_cndmask_b32 v54, v54, v64 :: v_dual_add_nc_u32 v57, 8, v57
	v_cndmask_b32_e32 v55, v55, v65, vcc_lo
	v_cndmask_b32_e64 v56, v56, s0, vcc_lo
	s_add_co_i32 s0, s0, 1
	s_delay_alu instid0(SALU_CYCLE_1)
	s_cmp_lg_u32 s14, s0
	s_cbranch_scc1 .LBB46_295
.LBB46_296:
	s_wait_dscnt 0x0
	v_cmp_eq_f32_e32 vcc_lo, 0, v54
	v_cmp_eq_f32_e64 s0, 0, v55
	s_and_b32 s0, vcc_lo, s0
	s_delay_alu instid0(SALU_CYCLE_1) | instskip(NEXT) | instid1(SALU_CYCLE_1)
	s_and_saveexec_b32 s1, s0
	s_xor_b32 s0, exec_lo, s1
; %bb.297:
	v_cmp_ne_u32_e32 vcc_lo, 0, v60
	v_cndmask_b32_e32 v60, 15, v60, vcc_lo
; %bb.298:
	s_and_not1_saveexec_b32 s0, s0
	s_cbranch_execz .LBB46_304
; %bb.299:
	v_cmp_ngt_f32_e64 s1, |v54|, |v55|
	s_and_saveexec_b32 s15, s1
	s_delay_alu instid0(SALU_CYCLE_1)
	s_xor_b32 s1, exec_lo, s15
	s_cbranch_execz .LBB46_301
; %bb.300:
	v_div_scale_f32 v57, null, v55, v55, v54
	v_div_scale_f32 v65, vcc_lo, v54, v55, v54
	s_delay_alu instid0(VALU_DEP_2) | instskip(SKIP_1) | instid1(TRANS32_DEP_1)
	v_rcp_f32_e32 v63, v57
	v_nop
	v_fma_f32 v64, -v57, v63, 1.0
	s_delay_alu instid0(VALU_DEP_1) | instskip(NEXT) | instid1(VALU_DEP_1)
	v_fmac_f32_e32 v63, v64, v63
	v_mul_f32_e32 v64, v65, v63
	s_delay_alu instid0(VALU_DEP_1) | instskip(NEXT) | instid1(VALU_DEP_1)
	v_fma_f32 v66, -v57, v64, v65
	v_fmac_f32_e32 v64, v66, v63
	s_delay_alu instid0(VALU_DEP_1) | instskip(NEXT) | instid1(VALU_DEP_1)
	v_fma_f32 v57, -v57, v64, v65
	v_div_fmas_f32 v57, v57, v63, v64
	s_delay_alu instid0(VALU_DEP_1) | instskip(NEXT) | instid1(VALU_DEP_1)
	v_div_fixup_f32 v57, v57, v55, v54
	v_fmac_f32_e32 v55, v54, v57
	s_delay_alu instid0(VALU_DEP_1) | instskip(SKIP_1) | instid1(VALU_DEP_2)
	v_div_scale_f32 v54, null, v55, v55, 1.0
	v_div_scale_f32 v65, vcc_lo, 1.0, v55, 1.0
	v_rcp_f32_e32 v63, v54
	v_nop
	s_delay_alu instid0(TRANS32_DEP_1) | instskip(NEXT) | instid1(VALU_DEP_1)
	v_fma_f32 v64, -v54, v63, 1.0
	v_fmac_f32_e32 v63, v64, v63
	s_delay_alu instid0(VALU_DEP_1) | instskip(NEXT) | instid1(VALU_DEP_1)
	v_mul_f32_e32 v64, v65, v63
	v_fma_f32 v66, -v54, v64, v65
	s_delay_alu instid0(VALU_DEP_1) | instskip(NEXT) | instid1(VALU_DEP_1)
	v_fmac_f32_e32 v64, v66, v63
	v_fma_f32 v54, -v54, v64, v65
	s_delay_alu instid0(VALU_DEP_1) | instskip(NEXT) | instid1(VALU_DEP_1)
	v_div_fmas_f32 v54, v54, v63, v64
	v_div_fixup_f32 v55, v54, v55, 1.0
	s_delay_alu instid0(VALU_DEP_1)
	v_mul_f32_e32 v54, v57, v55
	v_xor_b32_e32 v55, 0x80000000, v55
.LBB46_301:
	s_and_not1_saveexec_b32 s1, s1
	s_cbranch_execz .LBB46_303
; %bb.302:
	s_delay_alu instid0(VALU_DEP_1) | instskip(SKIP_1) | instid1(VALU_DEP_2)
	v_div_scale_f32 v57, null, v54, v54, v55
	v_div_scale_f32 v65, vcc_lo, v55, v54, v55
	v_rcp_f32_e32 v63, v57
	v_nop
	s_delay_alu instid0(TRANS32_DEP_1) | instskip(NEXT) | instid1(VALU_DEP_1)
	v_fma_f32 v64, -v57, v63, 1.0
	v_fmac_f32_e32 v63, v64, v63
	s_delay_alu instid0(VALU_DEP_1) | instskip(NEXT) | instid1(VALU_DEP_1)
	v_mul_f32_e32 v64, v65, v63
	v_fma_f32 v66, -v57, v64, v65
	s_delay_alu instid0(VALU_DEP_1) | instskip(NEXT) | instid1(VALU_DEP_1)
	v_fmac_f32_e32 v64, v66, v63
	v_fma_f32 v57, -v57, v64, v65
	s_delay_alu instid0(VALU_DEP_1) | instskip(NEXT) | instid1(VALU_DEP_1)
	v_div_fmas_f32 v57, v57, v63, v64
	v_div_fixup_f32 v57, v57, v54, v55
	s_delay_alu instid0(VALU_DEP_1) | instskip(NEXT) | instid1(VALU_DEP_1)
	v_fmac_f32_e32 v54, v55, v57
	v_div_scale_f32 v55, null, v54, v54, 1.0
	s_delay_alu instid0(VALU_DEP_1) | instskip(SKIP_1) | instid1(TRANS32_DEP_1)
	v_rcp_f32_e32 v63, v55
	v_nop
	v_fma_f32 v64, -v55, v63, 1.0
	s_delay_alu instid0(VALU_DEP_1) | instskip(SKIP_1) | instid1(VALU_DEP_1)
	v_fmac_f32_e32 v63, v64, v63
	v_div_scale_f32 v64, vcc_lo, 1.0, v54, 1.0
	v_mul_f32_e32 v65, v64, v63
	s_delay_alu instid0(VALU_DEP_1) | instskip(NEXT) | instid1(VALU_DEP_1)
	v_fma_f32 v66, -v55, v65, v64
	v_fmac_f32_e32 v65, v66, v63
	s_delay_alu instid0(VALU_DEP_1) | instskip(NEXT) | instid1(VALU_DEP_1)
	v_fma_f32 v55, -v55, v65, v64
	v_div_fmas_f32 v55, v55, v63, v65
	s_delay_alu instid0(VALU_DEP_1) | instskip(NEXT) | instid1(VALU_DEP_1)
	v_div_fixup_f32 v54, v55, v54, 1.0
	v_mul_f32_e64 v55, v57, -v54
.LBB46_303:
	s_or_b32 exec_lo, exec_lo, s1
.LBB46_304:
	s_delay_alu instid0(SALU_CYCLE_1) | instskip(NEXT) | instid1(SALU_CYCLE_1)
	s_or_b32 exec_lo, exec_lo, s0
	s_mov_b32 s0, exec_lo
	v_cmpx_ne_u32_e64 v62, v56
	s_xor_b32 s0, exec_lo, s0
	s_cbranch_execz .LBB46_310
; %bb.305:
	s_mov_b32 s1, exec_lo
	v_cmpx_eq_u32_e32 14, v62
	s_cbranch_execz .LBB46_309
; %bb.306:
	v_cmp_ne_u32_e32 vcc_lo, 14, v56
	s_xor_b32 s15, s12, -1
	s_delay_alu instid0(SALU_CYCLE_1) | instskip(NEXT) | instid1(SALU_CYCLE_1)
	s_and_b32 s16, s15, vcc_lo
	s_and_saveexec_b32 s15, s16
	s_cbranch_execz .LBB46_308
; %bb.307:
	v_ashrrev_i32_e32 v57, 31, v56
	s_delay_alu instid0(VALU_DEP_1)
	v_lshl_add_u64 v[62:63], v[56:57], 2, v[30:31]
	s_clause 0x1
	global_load_b32 v57, v[62:63], off
	global_load_b32 v61, v[30:31], off offset:56
	s_wait_loadcnt 0x1
	global_store_b32 v[30:31], v57, off offset:56
	s_wait_loadcnt 0x0
	global_store_b32 v[62:63], v61, off
.LBB46_308:
	s_wait_xcnt 0x0
	s_or_b32 exec_lo, exec_lo, s15
	v_dual_mov_b32 v62, v56 :: v_dual_mov_b32 v61, v56
.LBB46_309:
	s_or_b32 exec_lo, exec_lo, s1
.LBB46_310:
	s_and_not1_saveexec_b32 s0, s0
	s_cbranch_execz .LBB46_312
; %bb.311:
	v_mov_b32_e32 v62, 14
	ds_store_2addr_b64 v58, v[8:9], v[28:29] offset0:15 offset1:16
	ds_store_2addr_b64 v58, v[24:25], v[26:27] offset0:17 offset1:18
	;; [unrolled: 1-line block ×4, first 2 shown]
	ds_store_b64 v58, v[52:53] offset:184
.LBB46_312:
	s_or_b32 exec_lo, exec_lo, s0
	s_delay_alu instid0(SALU_CYCLE_1)
	s_mov_b32 s0, exec_lo
	s_wait_storecnt_dscnt 0x0
	s_barrier_signal -1
	s_barrier_wait -1
	v_cmpx_lt_i32_e32 14, v62
	s_cbranch_execz .LBB46_314
; %bb.313:
	v_pk_mul_f32 v[56:57], v[54:55], v[36:37] op_sel:[1,1] op_sel_hi:[0,1]
	s_delay_alu instid0(VALU_DEP_1)
	v_pk_fma_f32 v[64:65], v[54:55], v[36:37], v[56:57] op_sel_hi:[1,0,1] neg_lo:[0,0,1] neg_hi:[0,0,1]
	v_pk_fma_f32 v[66:67], v[54:55], v[36:37], v[56:57] op_sel_hi:[1,0,1]
	ds_load_2addr_b64 v[54:57], v58 offset0:15 offset1:16
	v_dual_mov_b32 v36, v64 :: v_dual_mov_b32 v37, v67
	s_wait_dscnt 0x0
	v_pk_mul_f32 v[68:69], v[54:55], v[66:67] op_sel:[0,1]
	s_delay_alu instid0(VALU_DEP_1) | instskip(SKIP_1) | instid1(VALU_DEP_1)
	v_pk_fma_f32 v[70:71], v[54:55], v[64:65], v[68:69] op_sel:[0,0,1] op_sel_hi:[1,1,0] neg_lo:[0,0,1] neg_hi:[0,0,1]
	v_pk_fma_f32 v[54:55], v[54:55], v[64:65], v[68:69] op_sel:[0,0,1] op_sel_hi:[1,0,0]
	v_mov_b32_e32 v71, v55
	v_pk_mul_f32 v[54:55], v[56:57], v[66:67] op_sel:[0,1]
	s_delay_alu instid0(VALU_DEP_1) | instskip(SKIP_1) | instid1(VALU_DEP_1)
	v_pk_fma_f32 v[68:69], v[56:57], v[64:65], v[54:55] op_sel:[0,0,1] op_sel_hi:[1,1,0] neg_lo:[0,0,1] neg_hi:[0,0,1]
	v_pk_fma_f32 v[54:55], v[56:57], v[64:65], v[54:55] op_sel:[0,0,1] op_sel_hi:[1,0,0]
	v_mov_b32_e32 v69, v55
	ds_load_2addr_b64 v[54:57], v58 offset0:17 offset1:18
	v_pk_add_f32 v[8:9], v[8:9], v[70:71] neg_lo:[0,1] neg_hi:[0,1]
	v_pk_add_f32 v[28:29], v[28:29], v[68:69] neg_lo:[0,1] neg_hi:[0,1]
	s_wait_dscnt 0x0
	v_pk_mul_f32 v[68:69], v[54:55], v[66:67] op_sel:[0,1]
	s_delay_alu instid0(VALU_DEP_1) | instskip(SKIP_2) | instid1(VALU_DEP_2)
	v_pk_fma_f32 v[70:71], v[54:55], v[64:65], v[68:69] op_sel:[0,0,1] op_sel_hi:[1,1,0] neg_lo:[0,0,1] neg_hi:[0,0,1]
	v_pk_fma_f32 v[54:55], v[54:55], v[64:65], v[68:69] op_sel:[0,0,1] op_sel_hi:[1,0,0]
	v_dual_mul_f32 v68, v57, v67 :: v_dual_mov_b32 v54, v57
	v_dual_mov_b32 v71, v55 :: v_dual_mov_b32 v55, v56
	s_delay_alu instid0(VALU_DEP_2) | instskip(SKIP_1) | instid1(VALU_DEP_3)
	v_pk_fma_f32 v[68:69], v[56:57], v[36:37], v[68:69] op_sel_hi:[1,1,0] neg_lo:[0,0,1] neg_hi:[0,0,1]
	v_mul_f32_e32 v56, v57, v64
	v_pk_add_f32 v[24:25], v[24:25], v[70:71] neg_lo:[0,1] neg_hi:[0,1]
	s_delay_alu instid0(VALU_DEP_2) | instskip(NEXT) | instid1(VALU_DEP_1)
	v_pk_fma_f32 v[54:55], v[54:55], v[36:37], v[56:57] op_sel_hi:[1,1,0]
	v_mov_b32_e32 v69, v55
	ds_load_2addr_b64 v[54:57], v58 offset0:19 offset1:20
	v_pk_add_f32 v[26:27], v[26:27], v[68:69] neg_lo:[0,1] neg_hi:[0,1]
	s_wait_dscnt 0x0
	v_pk_mul_f32 v[68:69], v[54:55], v[66:67] op_sel:[0,1]
	s_delay_alu instid0(VALU_DEP_1) | instskip(SKIP_1) | instid1(VALU_DEP_1)
	v_pk_fma_f32 v[70:71], v[54:55], v[64:65], v[68:69] op_sel:[0,0,1] op_sel_hi:[1,1,0] neg_lo:[0,0,1] neg_hi:[0,0,1]
	v_pk_fma_f32 v[54:55], v[54:55], v[64:65], v[68:69] op_sel:[0,0,1] op_sel_hi:[1,0,0]
	v_mov_b32_e32 v71, v55
	v_pk_mul_f32 v[54:55], v[56:57], v[66:67] op_sel:[0,1]
	s_delay_alu instid0(VALU_DEP_1) | instskip(SKIP_1) | instid1(VALU_DEP_1)
	v_pk_fma_f32 v[68:69], v[56:57], v[64:65], v[54:55] op_sel:[0,0,1] op_sel_hi:[1,1,0] neg_lo:[0,0,1] neg_hi:[0,0,1]
	v_pk_fma_f32 v[54:55], v[56:57], v[64:65], v[54:55] op_sel:[0,0,1] op_sel_hi:[1,0,0]
	v_mov_b32_e32 v69, v55
	ds_load_2addr_b64 v[54:57], v58 offset0:21 offset1:22
	v_pk_add_f32 v[6:7], v[6:7], v[70:71] neg_lo:[0,1] neg_hi:[0,1]
	v_pk_add_f32 v[22:23], v[22:23], v[68:69] neg_lo:[0,1] neg_hi:[0,1]
	s_wait_dscnt 0x0
	v_pk_mul_f32 v[68:69], v[54:55], v[66:67] op_sel:[0,1]
	s_delay_alu instid0(VALU_DEP_1) | instskip(SKIP_1) | instid1(VALU_DEP_1)
	v_pk_fma_f32 v[70:71], v[54:55], v[64:65], v[68:69] op_sel:[0,0,1] op_sel_hi:[1,1,0] neg_lo:[0,0,1] neg_hi:[0,0,1]
	v_pk_fma_f32 v[54:55], v[54:55], v[64:65], v[68:69] op_sel:[0,0,1] op_sel_hi:[1,0,0]
	v_mov_b32_e32 v71, v55
	v_pk_mul_f32 v[54:55], v[56:57], v[66:67] op_sel:[0,1]
	s_delay_alu instid0(VALU_DEP_1) | instskip(SKIP_1) | instid1(VALU_DEP_1)
	v_pk_fma_f32 v[68:69], v[56:57], v[64:65], v[54:55] op_sel:[0,0,1] op_sel_hi:[1,1,0] neg_lo:[0,0,1] neg_hi:[0,0,1]
	v_pk_fma_f32 v[54:55], v[56:57], v[64:65], v[54:55] op_sel:[0,0,1] op_sel_hi:[1,0,0]
	v_mov_b32_e32 v69, v55
	ds_load_b64 v[54:55], v58 offset:184
	v_pk_add_f32 v[20:21], v[20:21], v[70:71] neg_lo:[0,1] neg_hi:[0,1]
	v_pk_add_f32 v[16:17], v[16:17], v[68:69] neg_lo:[0,1] neg_hi:[0,1]
	s_wait_dscnt 0x0
	v_pk_mul_f32 v[56:57], v[54:55], v[66:67] op_sel:[0,1]
	s_delay_alu instid0(VALU_DEP_1) | instskip(SKIP_1) | instid1(VALU_DEP_1)
	v_pk_fma_f32 v[66:67], v[54:55], v[64:65], v[56:57] op_sel:[0,0,1] op_sel_hi:[1,1,0] neg_lo:[0,0,1] neg_hi:[0,0,1]
	v_pk_fma_f32 v[54:55], v[54:55], v[64:65], v[56:57] op_sel:[0,0,1] op_sel_hi:[1,0,0]
	v_mov_b32_e32 v67, v55
	s_delay_alu instid0(VALU_DEP_1)
	v_pk_add_f32 v[52:53], v[52:53], v[66:67] neg_lo:[0,1] neg_hi:[0,1]
.LBB46_314:
	s_or_b32 exec_lo, exec_lo, s0
	v_lshl_add_u32 v54, v62, 3, v58
	s_barrier_signal -1
	s_barrier_wait -1
	ds_store_b64 v54, v[8:9]
	s_wait_dscnt 0x0
	s_barrier_signal -1
	s_barrier_wait -1
	ds_load_b64 v[54:55], v58 offset:120
	v_mov_b32_e32 v56, 15
	s_cmp_lt_i32 s14, 17
	s_cbranch_scc1 .LBB46_317
; %bb.315:
	v_add3_u32 v57, v59, 0, 0x80
	v_mov_b32_e32 v56, 15
	s_mov_b32 s0, 16
.LBB46_316:                             ; =>This Inner Loop Header: Depth=1
	ds_load_b64 v[64:65], v57
	s_wait_dscnt 0x1
	v_cmp_gt_f32_e32 vcc_lo, 0, v54
	v_cndmask_b32_e64 v66, v54, -v54, vcc_lo
	v_cmp_gt_f32_e32 vcc_lo, 0, v55
	v_cndmask_b32_e64 v68, v55, -v55, vcc_lo
	s_wait_dscnt 0x0
	v_cmp_gt_f32_e32 vcc_lo, 0, v64
	v_cndmask_b32_e64 v67, v64, -v64, vcc_lo
	v_cmp_gt_f32_e32 vcc_lo, 0, v65
	v_cndmask_b32_e64 v69, v65, -v65, vcc_lo
	s_delay_alu instid0(VALU_DEP_1) | instskip(NEXT) | instid1(VALU_DEP_1)
	v_pk_add_f32 v[66:67], v[66:67], v[68:69]
	v_cmp_lt_f32_e32 vcc_lo, v66, v67
	v_dual_cndmask_b32 v54, v54, v64 :: v_dual_add_nc_u32 v57, 8, v57
	v_cndmask_b32_e32 v55, v55, v65, vcc_lo
	v_cndmask_b32_e64 v56, v56, s0, vcc_lo
	s_add_co_i32 s0, s0, 1
	s_delay_alu instid0(SALU_CYCLE_1)
	s_cmp_lg_u32 s14, s0
	s_cbranch_scc1 .LBB46_316
.LBB46_317:
	s_wait_dscnt 0x0
	v_cmp_eq_f32_e32 vcc_lo, 0, v54
	v_cmp_eq_f32_e64 s0, 0, v55
	s_and_b32 s0, vcc_lo, s0
	s_delay_alu instid0(SALU_CYCLE_1) | instskip(NEXT) | instid1(SALU_CYCLE_1)
	s_and_saveexec_b32 s1, s0
	s_xor_b32 s0, exec_lo, s1
; %bb.318:
	v_cmp_ne_u32_e32 vcc_lo, 0, v60
	v_cndmask_b32_e32 v60, 16, v60, vcc_lo
; %bb.319:
	s_and_not1_saveexec_b32 s0, s0
	s_cbranch_execz .LBB46_325
; %bb.320:
	v_cmp_ngt_f32_e64 s1, |v54|, |v55|
	s_and_saveexec_b32 s15, s1
	s_delay_alu instid0(SALU_CYCLE_1)
	s_xor_b32 s1, exec_lo, s15
	s_cbranch_execz .LBB46_322
; %bb.321:
	v_div_scale_f32 v57, null, v55, v55, v54
	v_div_scale_f32 v65, vcc_lo, v54, v55, v54
	s_delay_alu instid0(VALU_DEP_2) | instskip(SKIP_1) | instid1(TRANS32_DEP_1)
	v_rcp_f32_e32 v63, v57
	v_nop
	v_fma_f32 v64, -v57, v63, 1.0
	s_delay_alu instid0(VALU_DEP_1) | instskip(NEXT) | instid1(VALU_DEP_1)
	v_fmac_f32_e32 v63, v64, v63
	v_mul_f32_e32 v64, v65, v63
	s_delay_alu instid0(VALU_DEP_1) | instskip(NEXT) | instid1(VALU_DEP_1)
	v_fma_f32 v66, -v57, v64, v65
	v_fmac_f32_e32 v64, v66, v63
	s_delay_alu instid0(VALU_DEP_1) | instskip(NEXT) | instid1(VALU_DEP_1)
	v_fma_f32 v57, -v57, v64, v65
	v_div_fmas_f32 v57, v57, v63, v64
	s_delay_alu instid0(VALU_DEP_1) | instskip(NEXT) | instid1(VALU_DEP_1)
	v_div_fixup_f32 v57, v57, v55, v54
	v_fmac_f32_e32 v55, v54, v57
	s_delay_alu instid0(VALU_DEP_1) | instskip(SKIP_1) | instid1(VALU_DEP_2)
	v_div_scale_f32 v54, null, v55, v55, 1.0
	v_div_scale_f32 v65, vcc_lo, 1.0, v55, 1.0
	v_rcp_f32_e32 v63, v54
	v_nop
	s_delay_alu instid0(TRANS32_DEP_1) | instskip(NEXT) | instid1(VALU_DEP_1)
	v_fma_f32 v64, -v54, v63, 1.0
	v_fmac_f32_e32 v63, v64, v63
	s_delay_alu instid0(VALU_DEP_1) | instskip(NEXT) | instid1(VALU_DEP_1)
	v_mul_f32_e32 v64, v65, v63
	v_fma_f32 v66, -v54, v64, v65
	s_delay_alu instid0(VALU_DEP_1) | instskip(NEXT) | instid1(VALU_DEP_1)
	v_fmac_f32_e32 v64, v66, v63
	v_fma_f32 v54, -v54, v64, v65
	s_delay_alu instid0(VALU_DEP_1) | instskip(NEXT) | instid1(VALU_DEP_1)
	v_div_fmas_f32 v54, v54, v63, v64
	v_div_fixup_f32 v55, v54, v55, 1.0
	s_delay_alu instid0(VALU_DEP_1)
	v_mul_f32_e32 v54, v57, v55
	v_xor_b32_e32 v55, 0x80000000, v55
.LBB46_322:
	s_and_not1_saveexec_b32 s1, s1
	s_cbranch_execz .LBB46_324
; %bb.323:
	s_delay_alu instid0(VALU_DEP_1) | instskip(SKIP_1) | instid1(VALU_DEP_2)
	v_div_scale_f32 v57, null, v54, v54, v55
	v_div_scale_f32 v65, vcc_lo, v55, v54, v55
	v_rcp_f32_e32 v63, v57
	v_nop
	s_delay_alu instid0(TRANS32_DEP_1) | instskip(NEXT) | instid1(VALU_DEP_1)
	v_fma_f32 v64, -v57, v63, 1.0
	v_fmac_f32_e32 v63, v64, v63
	s_delay_alu instid0(VALU_DEP_1) | instskip(NEXT) | instid1(VALU_DEP_1)
	v_mul_f32_e32 v64, v65, v63
	v_fma_f32 v66, -v57, v64, v65
	s_delay_alu instid0(VALU_DEP_1) | instskip(NEXT) | instid1(VALU_DEP_1)
	v_fmac_f32_e32 v64, v66, v63
	v_fma_f32 v57, -v57, v64, v65
	s_delay_alu instid0(VALU_DEP_1) | instskip(NEXT) | instid1(VALU_DEP_1)
	v_div_fmas_f32 v57, v57, v63, v64
	v_div_fixup_f32 v57, v57, v54, v55
	s_delay_alu instid0(VALU_DEP_1) | instskip(NEXT) | instid1(VALU_DEP_1)
	v_fmac_f32_e32 v54, v55, v57
	v_div_scale_f32 v55, null, v54, v54, 1.0
	s_delay_alu instid0(VALU_DEP_1) | instskip(SKIP_1) | instid1(TRANS32_DEP_1)
	v_rcp_f32_e32 v63, v55
	v_nop
	v_fma_f32 v64, -v55, v63, 1.0
	s_delay_alu instid0(VALU_DEP_1) | instskip(SKIP_1) | instid1(VALU_DEP_1)
	v_fmac_f32_e32 v63, v64, v63
	v_div_scale_f32 v64, vcc_lo, 1.0, v54, 1.0
	v_mul_f32_e32 v65, v64, v63
	s_delay_alu instid0(VALU_DEP_1) | instskip(NEXT) | instid1(VALU_DEP_1)
	v_fma_f32 v66, -v55, v65, v64
	v_fmac_f32_e32 v65, v66, v63
	s_delay_alu instid0(VALU_DEP_1) | instskip(NEXT) | instid1(VALU_DEP_1)
	v_fma_f32 v55, -v55, v65, v64
	v_div_fmas_f32 v55, v55, v63, v65
	s_delay_alu instid0(VALU_DEP_1) | instskip(NEXT) | instid1(VALU_DEP_1)
	v_div_fixup_f32 v54, v55, v54, 1.0
	v_mul_f32_e64 v55, v57, -v54
.LBB46_324:
	s_or_b32 exec_lo, exec_lo, s1
.LBB46_325:
	s_delay_alu instid0(SALU_CYCLE_1) | instskip(NEXT) | instid1(SALU_CYCLE_1)
	s_or_b32 exec_lo, exec_lo, s0
	s_mov_b32 s0, exec_lo
	v_cmpx_ne_u32_e64 v62, v56
	s_xor_b32 s0, exec_lo, s0
	s_cbranch_execz .LBB46_331
; %bb.326:
	s_mov_b32 s1, exec_lo
	v_cmpx_eq_u32_e32 15, v62
	s_cbranch_execz .LBB46_330
; %bb.327:
	v_cmp_ne_u32_e32 vcc_lo, 15, v56
	s_xor_b32 s15, s12, -1
	s_delay_alu instid0(SALU_CYCLE_1) | instskip(NEXT) | instid1(SALU_CYCLE_1)
	s_and_b32 s16, s15, vcc_lo
	s_and_saveexec_b32 s15, s16
	s_cbranch_execz .LBB46_329
; %bb.328:
	v_ashrrev_i32_e32 v57, 31, v56
	s_delay_alu instid0(VALU_DEP_1)
	v_lshl_add_u64 v[62:63], v[56:57], 2, v[30:31]
	s_clause 0x1
	global_load_b32 v57, v[62:63], off
	global_load_b32 v61, v[30:31], off offset:60
	s_wait_loadcnt 0x1
	global_store_b32 v[30:31], v57, off offset:60
	s_wait_loadcnt 0x0
	global_store_b32 v[62:63], v61, off
.LBB46_329:
	s_wait_xcnt 0x0
	s_or_b32 exec_lo, exec_lo, s15
	v_dual_mov_b32 v62, v56 :: v_dual_mov_b32 v61, v56
.LBB46_330:
	s_or_b32 exec_lo, exec_lo, s1
.LBB46_331:
	s_and_not1_saveexec_b32 s0, s0
	s_cbranch_execz .LBB46_333
; %bb.332:
	v_dual_mov_b32 v56, v28 :: v_dual_mov_b32 v57, v29
	v_dual_mov_b32 v64, v24 :: v_dual_mov_b32 v65, v25
	;; [unrolled: 1-line block ×7, first 2 shown]
	v_mov_b32_e32 v75, v17
	ds_store_2addr_b64 v58, v[56:57], v[64:65] offset0:16 offset1:17
	ds_store_2addr_b64 v58, v[66:67], v[68:69] offset0:18 offset1:19
	;; [unrolled: 1-line block ×4, first 2 shown]
.LBB46_333:
	s_or_b32 exec_lo, exec_lo, s0
	s_delay_alu instid0(SALU_CYCLE_1)
	s_mov_b32 s0, exec_lo
	s_wait_storecnt_dscnt 0x0
	s_barrier_signal -1
	s_barrier_wait -1
	v_cmpx_lt_i32_e32 15, v62
	s_cbranch_execz .LBB46_335
; %bb.334:
	v_pk_mul_f32 v[56:57], v[54:55], v[8:9] op_sel:[1,1] op_sel_hi:[0,1]
	s_delay_alu instid0(VALU_DEP_1)
	v_pk_fma_f32 v[64:65], v[54:55], v[8:9], v[56:57] op_sel_hi:[1,0,1] neg_lo:[0,0,1] neg_hi:[0,0,1]
	v_pk_fma_f32 v[66:67], v[54:55], v[8:9], v[56:57] op_sel_hi:[1,0,1]
	ds_load_2addr_b64 v[54:57], v58 offset0:16 offset1:17
	v_dual_mov_b32 v8, v64 :: v_dual_mov_b32 v9, v67
	s_wait_dscnt 0x0
	v_pk_mul_f32 v[68:69], v[54:55], v[66:67] op_sel:[0,1]
	s_delay_alu instid0(VALU_DEP_1) | instskip(SKIP_1) | instid1(VALU_DEP_1)
	v_pk_fma_f32 v[70:71], v[54:55], v[64:65], v[68:69] op_sel:[0,0,1] op_sel_hi:[1,1,0] neg_lo:[0,0,1] neg_hi:[0,0,1]
	v_pk_fma_f32 v[54:55], v[54:55], v[64:65], v[68:69] op_sel:[0,0,1] op_sel_hi:[1,0,0]
	v_mov_b32_e32 v71, v55
	v_pk_mul_f32 v[54:55], v[56:57], v[66:67] op_sel:[0,1]
	s_delay_alu instid0(VALU_DEP_1) | instskip(SKIP_1) | instid1(VALU_DEP_1)
	v_pk_fma_f32 v[68:69], v[56:57], v[64:65], v[54:55] op_sel:[0,0,1] op_sel_hi:[1,1,0] neg_lo:[0,0,1] neg_hi:[0,0,1]
	v_pk_fma_f32 v[54:55], v[56:57], v[64:65], v[54:55] op_sel:[0,0,1] op_sel_hi:[1,0,0]
	v_mov_b32_e32 v69, v55
	ds_load_2addr_b64 v[54:57], v58 offset0:18 offset1:19
	v_pk_add_f32 v[28:29], v[28:29], v[70:71] neg_lo:[0,1] neg_hi:[0,1]
	v_pk_add_f32 v[24:25], v[24:25], v[68:69] neg_lo:[0,1] neg_hi:[0,1]
	s_wait_dscnt 0x0
	v_pk_mul_f32 v[68:69], v[54:55], v[66:67] op_sel:[0,1]
	s_delay_alu instid0(VALU_DEP_1) | instskip(SKIP_2) | instid1(VALU_DEP_2)
	v_pk_fma_f32 v[70:71], v[54:55], v[64:65], v[68:69] op_sel:[0,0,1] op_sel_hi:[1,1,0] neg_lo:[0,0,1] neg_hi:[0,0,1]
	v_pk_fma_f32 v[54:55], v[54:55], v[64:65], v[68:69] op_sel:[0,0,1] op_sel_hi:[1,0,0]
	v_dual_mul_f32 v68, v57, v67 :: v_dual_mov_b32 v54, v57
	v_dual_mov_b32 v71, v55 :: v_dual_mov_b32 v55, v56
	s_delay_alu instid0(VALU_DEP_2) | instskip(SKIP_1) | instid1(VALU_DEP_3)
	v_pk_fma_f32 v[68:69], v[56:57], v[8:9], v[68:69] op_sel_hi:[1,1,0] neg_lo:[0,0,1] neg_hi:[0,0,1]
	v_mul_f32_e32 v56, v57, v64
	v_pk_add_f32 v[26:27], v[26:27], v[70:71] neg_lo:[0,1] neg_hi:[0,1]
	s_delay_alu instid0(VALU_DEP_2) | instskip(NEXT) | instid1(VALU_DEP_1)
	v_pk_fma_f32 v[54:55], v[54:55], v[8:9], v[56:57] op_sel_hi:[1,1,0]
	v_mov_b32_e32 v69, v55
	ds_load_2addr_b64 v[54:57], v58 offset0:20 offset1:21
	v_pk_add_f32 v[6:7], v[6:7], v[68:69] neg_lo:[0,1] neg_hi:[0,1]
	s_wait_dscnt 0x0
	v_pk_mul_f32 v[68:69], v[54:55], v[66:67] op_sel:[0,1]
	s_delay_alu instid0(VALU_DEP_1) | instskip(SKIP_1) | instid1(VALU_DEP_1)
	v_pk_fma_f32 v[70:71], v[54:55], v[64:65], v[68:69] op_sel:[0,0,1] op_sel_hi:[1,1,0] neg_lo:[0,0,1] neg_hi:[0,0,1]
	v_pk_fma_f32 v[54:55], v[54:55], v[64:65], v[68:69] op_sel:[0,0,1] op_sel_hi:[1,0,0]
	v_mov_b32_e32 v71, v55
	v_pk_mul_f32 v[54:55], v[56:57], v[66:67] op_sel:[0,1]
	s_delay_alu instid0(VALU_DEP_1) | instskip(SKIP_1) | instid1(VALU_DEP_1)
	v_pk_fma_f32 v[68:69], v[56:57], v[64:65], v[54:55] op_sel:[0,0,1] op_sel_hi:[1,1,0] neg_lo:[0,0,1] neg_hi:[0,0,1]
	v_pk_fma_f32 v[54:55], v[56:57], v[64:65], v[54:55] op_sel:[0,0,1] op_sel_hi:[1,0,0]
	v_mov_b32_e32 v69, v55
	ds_load_2addr_b64 v[54:57], v58 offset0:22 offset1:23
	v_pk_add_f32 v[22:23], v[22:23], v[70:71] neg_lo:[0,1] neg_hi:[0,1]
	v_pk_add_f32 v[20:21], v[20:21], v[68:69] neg_lo:[0,1] neg_hi:[0,1]
	s_wait_dscnt 0x0
	v_pk_mul_f32 v[68:69], v[54:55], v[66:67] op_sel:[0,1]
	s_delay_alu instid0(VALU_DEP_1) | instskip(SKIP_1) | instid1(VALU_DEP_1)
	v_pk_fma_f32 v[70:71], v[54:55], v[64:65], v[68:69] op_sel:[0,0,1] op_sel_hi:[1,1,0] neg_lo:[0,0,1] neg_hi:[0,0,1]
	v_pk_fma_f32 v[54:55], v[54:55], v[64:65], v[68:69] op_sel:[0,0,1] op_sel_hi:[1,0,0]
	v_mov_b32_e32 v71, v55
	v_pk_mul_f32 v[54:55], v[56:57], v[66:67] op_sel:[0,1]
	s_delay_alu instid0(VALU_DEP_1) | instskip(SKIP_1) | instid1(VALU_DEP_1)
	v_pk_fma_f32 v[66:67], v[56:57], v[64:65], v[54:55] op_sel:[0,0,1] op_sel_hi:[1,1,0] neg_lo:[0,0,1] neg_hi:[0,0,1]
	v_pk_fma_f32 v[54:55], v[56:57], v[64:65], v[54:55] op_sel:[0,0,1] op_sel_hi:[1,0,0]
	v_mov_b32_e32 v67, v55
	v_pk_add_f32 v[16:17], v[16:17], v[70:71] neg_lo:[0,1] neg_hi:[0,1]
	s_delay_alu instid0(VALU_DEP_2)
	v_pk_add_f32 v[52:53], v[52:53], v[66:67] neg_lo:[0,1] neg_hi:[0,1]
.LBB46_335:
	s_or_b32 exec_lo, exec_lo, s0
	v_lshl_add_u32 v54, v62, 3, v58
	s_barrier_signal -1
	s_barrier_wait -1
	ds_store_b64 v54, v[28:29]
	s_wait_dscnt 0x0
	s_barrier_signal -1
	s_barrier_wait -1
	ds_load_b64 v[54:55], v58 offset:128
	v_mov_b32_e32 v56, 16
	s_cmp_lt_i32 s14, 18
	s_cbranch_scc1 .LBB46_338
; %bb.336:
	v_add3_u32 v57, v59, 0, 0x88
	v_mov_b32_e32 v56, 16
	s_mov_b32 s0, 17
.LBB46_337:                             ; =>This Inner Loop Header: Depth=1
	ds_load_b64 v[64:65], v57
	s_wait_dscnt 0x1
	v_cmp_gt_f32_e32 vcc_lo, 0, v54
	v_cndmask_b32_e64 v66, v54, -v54, vcc_lo
	v_cmp_gt_f32_e32 vcc_lo, 0, v55
	v_cndmask_b32_e64 v68, v55, -v55, vcc_lo
	s_wait_dscnt 0x0
	v_cmp_gt_f32_e32 vcc_lo, 0, v64
	v_cndmask_b32_e64 v67, v64, -v64, vcc_lo
	v_cmp_gt_f32_e32 vcc_lo, 0, v65
	v_cndmask_b32_e64 v69, v65, -v65, vcc_lo
	s_delay_alu instid0(VALU_DEP_1) | instskip(NEXT) | instid1(VALU_DEP_1)
	v_pk_add_f32 v[66:67], v[66:67], v[68:69]
	v_cmp_lt_f32_e32 vcc_lo, v66, v67
	v_dual_cndmask_b32 v54, v54, v64 :: v_dual_add_nc_u32 v57, 8, v57
	v_cndmask_b32_e32 v55, v55, v65, vcc_lo
	v_cndmask_b32_e64 v56, v56, s0, vcc_lo
	s_add_co_i32 s0, s0, 1
	s_delay_alu instid0(SALU_CYCLE_1)
	s_cmp_lg_u32 s14, s0
	s_cbranch_scc1 .LBB46_337
.LBB46_338:
	s_wait_dscnt 0x0
	v_cmp_eq_f32_e32 vcc_lo, 0, v54
	v_cmp_eq_f32_e64 s0, 0, v55
	s_and_b32 s0, vcc_lo, s0
	s_delay_alu instid0(SALU_CYCLE_1) | instskip(NEXT) | instid1(SALU_CYCLE_1)
	s_and_saveexec_b32 s1, s0
	s_xor_b32 s0, exec_lo, s1
; %bb.339:
	v_cmp_ne_u32_e32 vcc_lo, 0, v60
	v_cndmask_b32_e32 v60, 17, v60, vcc_lo
; %bb.340:
	s_and_not1_saveexec_b32 s0, s0
	s_cbranch_execz .LBB46_346
; %bb.341:
	v_cmp_ngt_f32_e64 s1, |v54|, |v55|
	s_and_saveexec_b32 s15, s1
	s_delay_alu instid0(SALU_CYCLE_1)
	s_xor_b32 s1, exec_lo, s15
	s_cbranch_execz .LBB46_343
; %bb.342:
	v_div_scale_f32 v57, null, v55, v55, v54
	v_div_scale_f32 v65, vcc_lo, v54, v55, v54
	s_delay_alu instid0(VALU_DEP_2) | instskip(SKIP_1) | instid1(TRANS32_DEP_1)
	v_rcp_f32_e32 v63, v57
	v_nop
	v_fma_f32 v64, -v57, v63, 1.0
	s_delay_alu instid0(VALU_DEP_1) | instskip(NEXT) | instid1(VALU_DEP_1)
	v_fmac_f32_e32 v63, v64, v63
	v_mul_f32_e32 v64, v65, v63
	s_delay_alu instid0(VALU_DEP_1) | instskip(NEXT) | instid1(VALU_DEP_1)
	v_fma_f32 v66, -v57, v64, v65
	v_fmac_f32_e32 v64, v66, v63
	s_delay_alu instid0(VALU_DEP_1) | instskip(NEXT) | instid1(VALU_DEP_1)
	v_fma_f32 v57, -v57, v64, v65
	v_div_fmas_f32 v57, v57, v63, v64
	s_delay_alu instid0(VALU_DEP_1) | instskip(NEXT) | instid1(VALU_DEP_1)
	v_div_fixup_f32 v57, v57, v55, v54
	v_fmac_f32_e32 v55, v54, v57
	s_delay_alu instid0(VALU_DEP_1) | instskip(SKIP_1) | instid1(VALU_DEP_2)
	v_div_scale_f32 v54, null, v55, v55, 1.0
	v_div_scale_f32 v65, vcc_lo, 1.0, v55, 1.0
	v_rcp_f32_e32 v63, v54
	v_nop
	s_delay_alu instid0(TRANS32_DEP_1) | instskip(NEXT) | instid1(VALU_DEP_1)
	v_fma_f32 v64, -v54, v63, 1.0
	v_fmac_f32_e32 v63, v64, v63
	s_delay_alu instid0(VALU_DEP_1) | instskip(NEXT) | instid1(VALU_DEP_1)
	v_mul_f32_e32 v64, v65, v63
	v_fma_f32 v66, -v54, v64, v65
	s_delay_alu instid0(VALU_DEP_1) | instskip(NEXT) | instid1(VALU_DEP_1)
	v_fmac_f32_e32 v64, v66, v63
	v_fma_f32 v54, -v54, v64, v65
	s_delay_alu instid0(VALU_DEP_1) | instskip(NEXT) | instid1(VALU_DEP_1)
	v_div_fmas_f32 v54, v54, v63, v64
	v_div_fixup_f32 v55, v54, v55, 1.0
	s_delay_alu instid0(VALU_DEP_1)
	v_mul_f32_e32 v54, v57, v55
	v_xor_b32_e32 v55, 0x80000000, v55
.LBB46_343:
	s_and_not1_saveexec_b32 s1, s1
	s_cbranch_execz .LBB46_345
; %bb.344:
	s_delay_alu instid0(VALU_DEP_1) | instskip(SKIP_1) | instid1(VALU_DEP_2)
	v_div_scale_f32 v57, null, v54, v54, v55
	v_div_scale_f32 v65, vcc_lo, v55, v54, v55
	v_rcp_f32_e32 v63, v57
	v_nop
	s_delay_alu instid0(TRANS32_DEP_1) | instskip(NEXT) | instid1(VALU_DEP_1)
	v_fma_f32 v64, -v57, v63, 1.0
	v_fmac_f32_e32 v63, v64, v63
	s_delay_alu instid0(VALU_DEP_1) | instskip(NEXT) | instid1(VALU_DEP_1)
	v_mul_f32_e32 v64, v65, v63
	v_fma_f32 v66, -v57, v64, v65
	s_delay_alu instid0(VALU_DEP_1) | instskip(NEXT) | instid1(VALU_DEP_1)
	v_fmac_f32_e32 v64, v66, v63
	v_fma_f32 v57, -v57, v64, v65
	s_delay_alu instid0(VALU_DEP_1) | instskip(NEXT) | instid1(VALU_DEP_1)
	v_div_fmas_f32 v57, v57, v63, v64
	v_div_fixup_f32 v57, v57, v54, v55
	s_delay_alu instid0(VALU_DEP_1) | instskip(NEXT) | instid1(VALU_DEP_1)
	v_fmac_f32_e32 v54, v55, v57
	v_div_scale_f32 v55, null, v54, v54, 1.0
	s_delay_alu instid0(VALU_DEP_1) | instskip(SKIP_1) | instid1(TRANS32_DEP_1)
	v_rcp_f32_e32 v63, v55
	v_nop
	v_fma_f32 v64, -v55, v63, 1.0
	s_delay_alu instid0(VALU_DEP_1) | instskip(SKIP_1) | instid1(VALU_DEP_1)
	v_fmac_f32_e32 v63, v64, v63
	v_div_scale_f32 v64, vcc_lo, 1.0, v54, 1.0
	v_mul_f32_e32 v65, v64, v63
	s_delay_alu instid0(VALU_DEP_1) | instskip(NEXT) | instid1(VALU_DEP_1)
	v_fma_f32 v66, -v55, v65, v64
	v_fmac_f32_e32 v65, v66, v63
	s_delay_alu instid0(VALU_DEP_1) | instskip(NEXT) | instid1(VALU_DEP_1)
	v_fma_f32 v55, -v55, v65, v64
	v_div_fmas_f32 v55, v55, v63, v65
	s_delay_alu instid0(VALU_DEP_1) | instskip(NEXT) | instid1(VALU_DEP_1)
	v_div_fixup_f32 v54, v55, v54, 1.0
	v_mul_f32_e64 v55, v57, -v54
.LBB46_345:
	s_or_b32 exec_lo, exec_lo, s1
.LBB46_346:
	s_delay_alu instid0(SALU_CYCLE_1) | instskip(NEXT) | instid1(SALU_CYCLE_1)
	s_or_b32 exec_lo, exec_lo, s0
	s_mov_b32 s0, exec_lo
	v_cmpx_ne_u32_e64 v62, v56
	s_xor_b32 s0, exec_lo, s0
	s_cbranch_execz .LBB46_352
; %bb.347:
	s_mov_b32 s1, exec_lo
	v_cmpx_eq_u32_e32 16, v62
	s_cbranch_execz .LBB46_351
; %bb.348:
	v_cmp_ne_u32_e32 vcc_lo, 16, v56
	s_xor_b32 s15, s12, -1
	s_delay_alu instid0(SALU_CYCLE_1) | instskip(NEXT) | instid1(SALU_CYCLE_1)
	s_and_b32 s16, s15, vcc_lo
	s_and_saveexec_b32 s15, s16
	s_cbranch_execz .LBB46_350
; %bb.349:
	v_ashrrev_i32_e32 v57, 31, v56
	s_delay_alu instid0(VALU_DEP_1)
	v_lshl_add_u64 v[62:63], v[56:57], 2, v[30:31]
	s_clause 0x1
	global_load_b32 v57, v[62:63], off
	global_load_b32 v61, v[30:31], off offset:64
	s_wait_loadcnt 0x1
	global_store_b32 v[30:31], v57, off offset:64
	s_wait_loadcnt 0x0
	global_store_b32 v[62:63], v61, off
.LBB46_350:
	s_wait_xcnt 0x0
	s_or_b32 exec_lo, exec_lo, s15
	v_dual_mov_b32 v62, v56 :: v_dual_mov_b32 v61, v56
.LBB46_351:
	s_or_b32 exec_lo, exec_lo, s1
.LBB46_352:
	s_and_not1_saveexec_b32 s0, s0
	s_cbranch_execz .LBB46_354
; %bb.353:
	v_mov_b32_e32 v62, 16
	ds_store_2addr_b64 v58, v[24:25], v[26:27] offset0:17 offset1:18
	ds_store_2addr_b64 v58, v[6:7], v[22:23] offset0:19 offset1:20
	;; [unrolled: 1-line block ×3, first 2 shown]
	ds_store_b64 v58, v[52:53] offset:184
.LBB46_354:
	s_or_b32 exec_lo, exec_lo, s0
	s_delay_alu instid0(SALU_CYCLE_1)
	s_mov_b32 s0, exec_lo
	s_wait_storecnt_dscnt 0x0
	s_barrier_signal -1
	s_barrier_wait -1
	v_cmpx_lt_i32_e32 16, v62
	s_cbranch_execz .LBB46_356
; %bb.355:
	v_pk_mul_f32 v[56:57], v[54:55], v[28:29] op_sel:[1,1] op_sel_hi:[0,1]
	s_delay_alu instid0(VALU_DEP_1)
	v_pk_fma_f32 v[64:65], v[54:55], v[28:29], v[56:57] op_sel_hi:[1,0,1] neg_lo:[0,0,1] neg_hi:[0,0,1]
	v_pk_fma_f32 v[66:67], v[54:55], v[28:29], v[56:57] op_sel_hi:[1,0,1]
	ds_load_2addr_b64 v[54:57], v58 offset0:17 offset1:18
	v_dual_mov_b32 v28, v64 :: v_dual_mov_b32 v29, v67
	s_wait_dscnt 0x0
	v_pk_mul_f32 v[68:69], v[54:55], v[66:67] op_sel:[0,1]
	s_delay_alu instid0(VALU_DEP_1) | instskip(SKIP_1) | instid1(VALU_DEP_1)
	v_pk_fma_f32 v[70:71], v[54:55], v[64:65], v[68:69] op_sel:[0,0,1] op_sel_hi:[1,1,0] neg_lo:[0,0,1] neg_hi:[0,0,1]
	v_pk_fma_f32 v[54:55], v[54:55], v[64:65], v[68:69] op_sel:[0,0,1] op_sel_hi:[1,0,0]
	v_mov_b32_e32 v71, v55
	v_pk_mul_f32 v[54:55], v[56:57], v[66:67] op_sel:[0,1]
	s_delay_alu instid0(VALU_DEP_1) | instskip(SKIP_1) | instid1(VALU_DEP_1)
	v_pk_fma_f32 v[68:69], v[56:57], v[64:65], v[54:55] op_sel:[0,0,1] op_sel_hi:[1,1,0] neg_lo:[0,0,1] neg_hi:[0,0,1]
	v_pk_fma_f32 v[54:55], v[56:57], v[64:65], v[54:55] op_sel:[0,0,1] op_sel_hi:[1,0,0]
	v_mov_b32_e32 v69, v55
	ds_load_2addr_b64 v[54:57], v58 offset0:19 offset1:20
	v_pk_add_f32 v[24:25], v[24:25], v[70:71] neg_lo:[0,1] neg_hi:[0,1]
	v_pk_add_f32 v[26:27], v[26:27], v[68:69] neg_lo:[0,1] neg_hi:[0,1]
	s_wait_dscnt 0x0
	v_pk_mul_f32 v[68:69], v[54:55], v[66:67] op_sel:[0,1]
	s_delay_alu instid0(VALU_DEP_1) | instskip(SKIP_2) | instid1(VALU_DEP_2)
	v_pk_fma_f32 v[70:71], v[54:55], v[64:65], v[68:69] op_sel:[0,0,1] op_sel_hi:[1,1,0] neg_lo:[0,0,1] neg_hi:[0,0,1]
	v_pk_fma_f32 v[54:55], v[54:55], v[64:65], v[68:69] op_sel:[0,0,1] op_sel_hi:[1,0,0]
	v_dual_mul_f32 v68, v57, v67 :: v_dual_mov_b32 v54, v57
	v_dual_mov_b32 v71, v55 :: v_dual_mov_b32 v55, v56
	s_delay_alu instid0(VALU_DEP_2) | instskip(SKIP_1) | instid1(VALU_DEP_3)
	v_pk_fma_f32 v[68:69], v[56:57], v[28:29], v[68:69] op_sel_hi:[1,1,0] neg_lo:[0,0,1] neg_hi:[0,0,1]
	v_mul_f32_e32 v56, v57, v64
	v_pk_add_f32 v[6:7], v[6:7], v[70:71] neg_lo:[0,1] neg_hi:[0,1]
	s_delay_alu instid0(VALU_DEP_2) | instskip(NEXT) | instid1(VALU_DEP_1)
	v_pk_fma_f32 v[54:55], v[54:55], v[28:29], v[56:57] op_sel_hi:[1,1,0]
	v_mov_b32_e32 v69, v55
	ds_load_2addr_b64 v[54:57], v58 offset0:21 offset1:22
	v_pk_add_f32 v[22:23], v[22:23], v[68:69] neg_lo:[0,1] neg_hi:[0,1]
	s_wait_dscnt 0x0
	v_pk_mul_f32 v[68:69], v[54:55], v[66:67] op_sel:[0,1]
	s_delay_alu instid0(VALU_DEP_1) | instskip(SKIP_1) | instid1(VALU_DEP_1)
	v_pk_fma_f32 v[70:71], v[54:55], v[64:65], v[68:69] op_sel:[0,0,1] op_sel_hi:[1,1,0] neg_lo:[0,0,1] neg_hi:[0,0,1]
	v_pk_fma_f32 v[54:55], v[54:55], v[64:65], v[68:69] op_sel:[0,0,1] op_sel_hi:[1,0,0]
	v_mov_b32_e32 v71, v55
	v_pk_mul_f32 v[54:55], v[56:57], v[66:67] op_sel:[0,1]
	s_delay_alu instid0(VALU_DEP_1) | instskip(SKIP_1) | instid1(VALU_DEP_1)
	v_pk_fma_f32 v[68:69], v[56:57], v[64:65], v[54:55] op_sel:[0,0,1] op_sel_hi:[1,1,0] neg_lo:[0,0,1] neg_hi:[0,0,1]
	v_pk_fma_f32 v[54:55], v[56:57], v[64:65], v[54:55] op_sel:[0,0,1] op_sel_hi:[1,0,0]
	v_mov_b32_e32 v69, v55
	ds_load_b64 v[54:55], v58 offset:184
	v_pk_add_f32 v[20:21], v[20:21], v[70:71] neg_lo:[0,1] neg_hi:[0,1]
	v_pk_add_f32 v[16:17], v[16:17], v[68:69] neg_lo:[0,1] neg_hi:[0,1]
	s_wait_dscnt 0x0
	v_pk_mul_f32 v[56:57], v[54:55], v[66:67] op_sel:[0,1]
	s_delay_alu instid0(VALU_DEP_1) | instskip(SKIP_1) | instid1(VALU_DEP_1)
	v_pk_fma_f32 v[66:67], v[54:55], v[64:65], v[56:57] op_sel:[0,0,1] op_sel_hi:[1,1,0] neg_lo:[0,0,1] neg_hi:[0,0,1]
	v_pk_fma_f32 v[54:55], v[54:55], v[64:65], v[56:57] op_sel:[0,0,1] op_sel_hi:[1,0,0]
	v_mov_b32_e32 v67, v55
	s_delay_alu instid0(VALU_DEP_1)
	v_pk_add_f32 v[52:53], v[52:53], v[66:67] neg_lo:[0,1] neg_hi:[0,1]
.LBB46_356:
	s_or_b32 exec_lo, exec_lo, s0
	v_lshl_add_u32 v54, v62, 3, v58
	s_barrier_signal -1
	s_barrier_wait -1
	ds_store_b64 v54, v[24:25]
	s_wait_dscnt 0x0
	s_barrier_signal -1
	s_barrier_wait -1
	ds_load_b64 v[54:55], v58 offset:136
	v_mov_b32_e32 v56, 17
	s_cmp_lt_i32 s14, 19
	s_cbranch_scc1 .LBB46_359
; %bb.357:
	v_add3_u32 v57, v59, 0, 0x90
	v_mov_b32_e32 v56, 17
	s_mov_b32 s0, 18
.LBB46_358:                             ; =>This Inner Loop Header: Depth=1
	ds_load_b64 v[64:65], v57
	s_wait_dscnt 0x1
	v_cmp_gt_f32_e32 vcc_lo, 0, v54
	v_cndmask_b32_e64 v66, v54, -v54, vcc_lo
	v_cmp_gt_f32_e32 vcc_lo, 0, v55
	v_cndmask_b32_e64 v68, v55, -v55, vcc_lo
	s_wait_dscnt 0x0
	v_cmp_gt_f32_e32 vcc_lo, 0, v64
	v_cndmask_b32_e64 v67, v64, -v64, vcc_lo
	v_cmp_gt_f32_e32 vcc_lo, 0, v65
	v_cndmask_b32_e64 v69, v65, -v65, vcc_lo
	s_delay_alu instid0(VALU_DEP_1) | instskip(NEXT) | instid1(VALU_DEP_1)
	v_pk_add_f32 v[66:67], v[66:67], v[68:69]
	v_cmp_lt_f32_e32 vcc_lo, v66, v67
	v_dual_cndmask_b32 v54, v54, v64 :: v_dual_add_nc_u32 v57, 8, v57
	v_cndmask_b32_e32 v55, v55, v65, vcc_lo
	v_cndmask_b32_e64 v56, v56, s0, vcc_lo
	s_add_co_i32 s0, s0, 1
	s_delay_alu instid0(SALU_CYCLE_1)
	s_cmp_lg_u32 s14, s0
	s_cbranch_scc1 .LBB46_358
.LBB46_359:
	s_wait_dscnt 0x0
	v_cmp_eq_f32_e32 vcc_lo, 0, v54
	v_cmp_eq_f32_e64 s0, 0, v55
	s_and_b32 s0, vcc_lo, s0
	s_delay_alu instid0(SALU_CYCLE_1) | instskip(NEXT) | instid1(SALU_CYCLE_1)
	s_and_saveexec_b32 s1, s0
	s_xor_b32 s0, exec_lo, s1
; %bb.360:
	v_cmp_ne_u32_e32 vcc_lo, 0, v60
	v_cndmask_b32_e32 v60, 18, v60, vcc_lo
; %bb.361:
	s_and_not1_saveexec_b32 s0, s0
	s_cbranch_execz .LBB46_367
; %bb.362:
	v_cmp_ngt_f32_e64 s1, |v54|, |v55|
	s_and_saveexec_b32 s15, s1
	s_delay_alu instid0(SALU_CYCLE_1)
	s_xor_b32 s1, exec_lo, s15
	s_cbranch_execz .LBB46_364
; %bb.363:
	v_div_scale_f32 v57, null, v55, v55, v54
	v_div_scale_f32 v65, vcc_lo, v54, v55, v54
	s_delay_alu instid0(VALU_DEP_2) | instskip(SKIP_1) | instid1(TRANS32_DEP_1)
	v_rcp_f32_e32 v63, v57
	v_nop
	v_fma_f32 v64, -v57, v63, 1.0
	s_delay_alu instid0(VALU_DEP_1) | instskip(NEXT) | instid1(VALU_DEP_1)
	v_fmac_f32_e32 v63, v64, v63
	v_mul_f32_e32 v64, v65, v63
	s_delay_alu instid0(VALU_DEP_1) | instskip(NEXT) | instid1(VALU_DEP_1)
	v_fma_f32 v66, -v57, v64, v65
	v_fmac_f32_e32 v64, v66, v63
	s_delay_alu instid0(VALU_DEP_1) | instskip(NEXT) | instid1(VALU_DEP_1)
	v_fma_f32 v57, -v57, v64, v65
	v_div_fmas_f32 v57, v57, v63, v64
	s_delay_alu instid0(VALU_DEP_1) | instskip(NEXT) | instid1(VALU_DEP_1)
	v_div_fixup_f32 v57, v57, v55, v54
	v_fmac_f32_e32 v55, v54, v57
	s_delay_alu instid0(VALU_DEP_1) | instskip(SKIP_1) | instid1(VALU_DEP_2)
	v_div_scale_f32 v54, null, v55, v55, 1.0
	v_div_scale_f32 v65, vcc_lo, 1.0, v55, 1.0
	v_rcp_f32_e32 v63, v54
	v_nop
	s_delay_alu instid0(TRANS32_DEP_1) | instskip(NEXT) | instid1(VALU_DEP_1)
	v_fma_f32 v64, -v54, v63, 1.0
	v_fmac_f32_e32 v63, v64, v63
	s_delay_alu instid0(VALU_DEP_1) | instskip(NEXT) | instid1(VALU_DEP_1)
	v_mul_f32_e32 v64, v65, v63
	v_fma_f32 v66, -v54, v64, v65
	s_delay_alu instid0(VALU_DEP_1) | instskip(NEXT) | instid1(VALU_DEP_1)
	v_fmac_f32_e32 v64, v66, v63
	v_fma_f32 v54, -v54, v64, v65
	s_delay_alu instid0(VALU_DEP_1) | instskip(NEXT) | instid1(VALU_DEP_1)
	v_div_fmas_f32 v54, v54, v63, v64
	v_div_fixup_f32 v55, v54, v55, 1.0
	s_delay_alu instid0(VALU_DEP_1)
	v_mul_f32_e32 v54, v57, v55
	v_xor_b32_e32 v55, 0x80000000, v55
.LBB46_364:
	s_and_not1_saveexec_b32 s1, s1
	s_cbranch_execz .LBB46_366
; %bb.365:
	s_delay_alu instid0(VALU_DEP_1) | instskip(SKIP_1) | instid1(VALU_DEP_2)
	v_div_scale_f32 v57, null, v54, v54, v55
	v_div_scale_f32 v65, vcc_lo, v55, v54, v55
	v_rcp_f32_e32 v63, v57
	v_nop
	s_delay_alu instid0(TRANS32_DEP_1) | instskip(NEXT) | instid1(VALU_DEP_1)
	v_fma_f32 v64, -v57, v63, 1.0
	v_fmac_f32_e32 v63, v64, v63
	s_delay_alu instid0(VALU_DEP_1) | instskip(NEXT) | instid1(VALU_DEP_1)
	v_mul_f32_e32 v64, v65, v63
	v_fma_f32 v66, -v57, v64, v65
	s_delay_alu instid0(VALU_DEP_1) | instskip(NEXT) | instid1(VALU_DEP_1)
	v_fmac_f32_e32 v64, v66, v63
	v_fma_f32 v57, -v57, v64, v65
	s_delay_alu instid0(VALU_DEP_1) | instskip(NEXT) | instid1(VALU_DEP_1)
	v_div_fmas_f32 v57, v57, v63, v64
	v_div_fixup_f32 v57, v57, v54, v55
	s_delay_alu instid0(VALU_DEP_1) | instskip(NEXT) | instid1(VALU_DEP_1)
	v_fmac_f32_e32 v54, v55, v57
	v_div_scale_f32 v55, null, v54, v54, 1.0
	s_delay_alu instid0(VALU_DEP_1) | instskip(SKIP_1) | instid1(TRANS32_DEP_1)
	v_rcp_f32_e32 v63, v55
	v_nop
	v_fma_f32 v64, -v55, v63, 1.0
	s_delay_alu instid0(VALU_DEP_1) | instskip(SKIP_1) | instid1(VALU_DEP_1)
	v_fmac_f32_e32 v63, v64, v63
	v_div_scale_f32 v64, vcc_lo, 1.0, v54, 1.0
	v_mul_f32_e32 v65, v64, v63
	s_delay_alu instid0(VALU_DEP_1) | instskip(NEXT) | instid1(VALU_DEP_1)
	v_fma_f32 v66, -v55, v65, v64
	v_fmac_f32_e32 v65, v66, v63
	s_delay_alu instid0(VALU_DEP_1) | instskip(NEXT) | instid1(VALU_DEP_1)
	v_fma_f32 v55, -v55, v65, v64
	v_div_fmas_f32 v55, v55, v63, v65
	s_delay_alu instid0(VALU_DEP_1) | instskip(NEXT) | instid1(VALU_DEP_1)
	v_div_fixup_f32 v54, v55, v54, 1.0
	v_mul_f32_e64 v55, v57, -v54
.LBB46_366:
	s_or_b32 exec_lo, exec_lo, s1
.LBB46_367:
	s_delay_alu instid0(SALU_CYCLE_1) | instskip(NEXT) | instid1(SALU_CYCLE_1)
	s_or_b32 exec_lo, exec_lo, s0
	s_mov_b32 s0, exec_lo
	v_cmpx_ne_u32_e64 v62, v56
	s_xor_b32 s0, exec_lo, s0
	s_cbranch_execz .LBB46_373
; %bb.368:
	s_mov_b32 s1, exec_lo
	v_cmpx_eq_u32_e32 17, v62
	s_cbranch_execz .LBB46_372
; %bb.369:
	v_cmp_ne_u32_e32 vcc_lo, 17, v56
	s_xor_b32 s15, s12, -1
	s_delay_alu instid0(SALU_CYCLE_1) | instskip(NEXT) | instid1(SALU_CYCLE_1)
	s_and_b32 s16, s15, vcc_lo
	s_and_saveexec_b32 s15, s16
	s_cbranch_execz .LBB46_371
; %bb.370:
	v_ashrrev_i32_e32 v57, 31, v56
	s_delay_alu instid0(VALU_DEP_1)
	v_lshl_add_u64 v[62:63], v[56:57], 2, v[30:31]
	s_clause 0x1
	global_load_b32 v57, v[62:63], off
	global_load_b32 v61, v[30:31], off offset:68
	s_wait_loadcnt 0x1
	global_store_b32 v[30:31], v57, off offset:68
	s_wait_loadcnt 0x0
	global_store_b32 v[62:63], v61, off
.LBB46_371:
	s_wait_xcnt 0x0
	s_or_b32 exec_lo, exec_lo, s15
	v_dual_mov_b32 v62, v56 :: v_dual_mov_b32 v61, v56
.LBB46_372:
	s_or_b32 exec_lo, exec_lo, s1
.LBB46_373:
	s_and_not1_saveexec_b32 s0, s0
	s_cbranch_execz .LBB46_375
; %bb.374:
	v_dual_mov_b32 v56, v26 :: v_dual_mov_b32 v57, v27
	v_dual_mov_b32 v64, v6 :: v_dual_mov_b32 v65, v7
	;; [unrolled: 1-line block ×5, first 2 shown]
	v_mov_b32_e32 v71, v17
	ds_store_2addr_b64 v58, v[56:57], v[64:65] offset0:18 offset1:19
	ds_store_2addr_b64 v58, v[66:67], v[68:69] offset0:20 offset1:21
	;; [unrolled: 1-line block ×3, first 2 shown]
.LBB46_375:
	s_or_b32 exec_lo, exec_lo, s0
	s_delay_alu instid0(SALU_CYCLE_1)
	s_mov_b32 s0, exec_lo
	s_wait_storecnt_dscnt 0x0
	s_barrier_signal -1
	s_barrier_wait -1
	v_cmpx_lt_i32_e32 17, v62
	s_cbranch_execz .LBB46_377
; %bb.376:
	v_pk_mul_f32 v[56:57], v[54:55], v[24:25] op_sel:[1,1] op_sel_hi:[0,1]
	s_delay_alu instid0(VALU_DEP_1)
	v_pk_fma_f32 v[64:65], v[54:55], v[24:25], v[56:57] op_sel_hi:[1,0,1] neg_lo:[0,0,1] neg_hi:[0,0,1]
	v_pk_fma_f32 v[66:67], v[54:55], v[24:25], v[56:57] op_sel_hi:[1,0,1]
	ds_load_2addr_b64 v[54:57], v58 offset0:18 offset1:19
	v_dual_mov_b32 v24, v64 :: v_dual_mov_b32 v25, v67
	s_wait_dscnt 0x0
	v_pk_mul_f32 v[68:69], v[54:55], v[66:67] op_sel:[0,1]
	s_delay_alu instid0(VALU_DEP_1) | instskip(SKIP_1) | instid1(VALU_DEP_1)
	v_pk_fma_f32 v[70:71], v[54:55], v[64:65], v[68:69] op_sel:[0,0,1] op_sel_hi:[1,1,0] neg_lo:[0,0,1] neg_hi:[0,0,1]
	v_pk_fma_f32 v[54:55], v[54:55], v[64:65], v[68:69] op_sel:[0,0,1] op_sel_hi:[1,0,0]
	v_mov_b32_e32 v71, v55
	v_pk_mul_f32 v[54:55], v[56:57], v[66:67] op_sel:[0,1]
	s_delay_alu instid0(VALU_DEP_1) | instskip(SKIP_1) | instid1(VALU_DEP_1)
	v_pk_fma_f32 v[68:69], v[56:57], v[64:65], v[54:55] op_sel:[0,0,1] op_sel_hi:[1,1,0] neg_lo:[0,0,1] neg_hi:[0,0,1]
	v_pk_fma_f32 v[54:55], v[56:57], v[64:65], v[54:55] op_sel:[0,0,1] op_sel_hi:[1,0,0]
	v_mov_b32_e32 v69, v55
	ds_load_2addr_b64 v[54:57], v58 offset0:20 offset1:21
	v_pk_add_f32 v[26:27], v[26:27], v[70:71] neg_lo:[0,1] neg_hi:[0,1]
	v_pk_add_f32 v[6:7], v[6:7], v[68:69] neg_lo:[0,1] neg_hi:[0,1]
	s_wait_dscnt 0x0
	v_pk_mul_f32 v[68:69], v[54:55], v[66:67] op_sel:[0,1]
	s_delay_alu instid0(VALU_DEP_1) | instskip(SKIP_2) | instid1(VALU_DEP_2)
	v_pk_fma_f32 v[70:71], v[54:55], v[64:65], v[68:69] op_sel:[0,0,1] op_sel_hi:[1,1,0] neg_lo:[0,0,1] neg_hi:[0,0,1]
	v_pk_fma_f32 v[54:55], v[54:55], v[64:65], v[68:69] op_sel:[0,0,1] op_sel_hi:[1,0,0]
	v_dual_mul_f32 v68, v57, v67 :: v_dual_mov_b32 v54, v57
	v_dual_mov_b32 v71, v55 :: v_dual_mov_b32 v55, v56
	s_delay_alu instid0(VALU_DEP_2) | instskip(SKIP_1) | instid1(VALU_DEP_3)
	v_pk_fma_f32 v[68:69], v[56:57], v[24:25], v[68:69] op_sel_hi:[1,1,0] neg_lo:[0,0,1] neg_hi:[0,0,1]
	v_mul_f32_e32 v56, v57, v64
	v_pk_add_f32 v[22:23], v[22:23], v[70:71] neg_lo:[0,1] neg_hi:[0,1]
	s_delay_alu instid0(VALU_DEP_2) | instskip(NEXT) | instid1(VALU_DEP_1)
	v_pk_fma_f32 v[54:55], v[54:55], v[24:25], v[56:57] op_sel_hi:[1,1,0]
	v_mov_b32_e32 v69, v55
	ds_load_2addr_b64 v[54:57], v58 offset0:22 offset1:23
	v_pk_add_f32 v[20:21], v[20:21], v[68:69] neg_lo:[0,1] neg_hi:[0,1]
	s_wait_dscnt 0x0
	v_pk_mul_f32 v[68:69], v[54:55], v[66:67] op_sel:[0,1]
	v_mul_f32_e32 v66, v57, v67
	s_delay_alu instid0(VALU_DEP_2) | instskip(SKIP_2) | instid1(VALU_DEP_4)
	v_pk_fma_f32 v[70:71], v[54:55], v[64:65], v[68:69] op_sel:[0,0,1] op_sel_hi:[1,1,0] neg_lo:[0,0,1] neg_hi:[0,0,1]
	v_pk_fma_f32 v[54:55], v[54:55], v[64:65], v[68:69] op_sel:[0,0,1] op_sel_hi:[1,0,0]
	v_mov_b32_e32 v54, v57
	v_pk_fma_f32 v[66:67], v[56:57], v[24:25], v[66:67] op_sel_hi:[1,1,0] neg_lo:[0,0,1] neg_hi:[0,0,1]
	s_delay_alu instid0(VALU_DEP_3) | instskip(SKIP_1) | instid1(VALU_DEP_2)
	v_dual_mov_b32 v71, v55 :: v_dual_mov_b32 v55, v56
	v_mul_f32_e32 v56, v57, v64
	v_pk_add_f32 v[16:17], v[16:17], v[70:71] neg_lo:[0,1] neg_hi:[0,1]
	s_delay_alu instid0(VALU_DEP_2) | instskip(NEXT) | instid1(VALU_DEP_1)
	v_pk_fma_f32 v[54:55], v[54:55], v[24:25], v[56:57] op_sel_hi:[1,1,0]
	v_mov_b32_e32 v67, v55
	s_delay_alu instid0(VALU_DEP_1)
	v_pk_add_f32 v[52:53], v[52:53], v[66:67] neg_lo:[0,1] neg_hi:[0,1]
.LBB46_377:
	s_or_b32 exec_lo, exec_lo, s0
	v_lshl_add_u32 v54, v62, 3, v58
	s_barrier_signal -1
	s_barrier_wait -1
	ds_store_b64 v54, v[26:27]
	s_wait_dscnt 0x0
	s_barrier_signal -1
	s_barrier_wait -1
	ds_load_b64 v[54:55], v58 offset:144
	v_mov_b32_e32 v56, 18
	s_cmp_lt_i32 s14, 20
	s_cbranch_scc1 .LBB46_380
; %bb.378:
	v_add3_u32 v57, v59, 0, 0x98
	v_mov_b32_e32 v56, 18
	s_mov_b32 s0, 19
.LBB46_379:                             ; =>This Inner Loop Header: Depth=1
	ds_load_b64 v[64:65], v57
	s_wait_dscnt 0x1
	v_cmp_gt_f32_e32 vcc_lo, 0, v54
	v_cndmask_b32_e64 v66, v54, -v54, vcc_lo
	v_cmp_gt_f32_e32 vcc_lo, 0, v55
	v_cndmask_b32_e64 v68, v55, -v55, vcc_lo
	s_wait_dscnt 0x0
	v_cmp_gt_f32_e32 vcc_lo, 0, v64
	v_cndmask_b32_e64 v67, v64, -v64, vcc_lo
	v_cmp_gt_f32_e32 vcc_lo, 0, v65
	v_cndmask_b32_e64 v69, v65, -v65, vcc_lo
	s_delay_alu instid0(VALU_DEP_1) | instskip(NEXT) | instid1(VALU_DEP_1)
	v_pk_add_f32 v[66:67], v[66:67], v[68:69]
	v_cmp_lt_f32_e32 vcc_lo, v66, v67
	v_dual_cndmask_b32 v54, v54, v64 :: v_dual_add_nc_u32 v57, 8, v57
	v_cndmask_b32_e32 v55, v55, v65, vcc_lo
	v_cndmask_b32_e64 v56, v56, s0, vcc_lo
	s_add_co_i32 s0, s0, 1
	s_delay_alu instid0(SALU_CYCLE_1)
	s_cmp_lg_u32 s14, s0
	s_cbranch_scc1 .LBB46_379
.LBB46_380:
	s_wait_dscnt 0x0
	v_cmp_eq_f32_e32 vcc_lo, 0, v54
	v_cmp_eq_f32_e64 s0, 0, v55
	s_and_b32 s0, vcc_lo, s0
	s_delay_alu instid0(SALU_CYCLE_1) | instskip(NEXT) | instid1(SALU_CYCLE_1)
	s_and_saveexec_b32 s1, s0
	s_xor_b32 s0, exec_lo, s1
; %bb.381:
	v_cmp_ne_u32_e32 vcc_lo, 0, v60
	v_cndmask_b32_e32 v60, 19, v60, vcc_lo
; %bb.382:
	s_and_not1_saveexec_b32 s0, s0
	s_cbranch_execz .LBB46_388
; %bb.383:
	v_cmp_ngt_f32_e64 s1, |v54|, |v55|
	s_and_saveexec_b32 s15, s1
	s_delay_alu instid0(SALU_CYCLE_1)
	s_xor_b32 s1, exec_lo, s15
	s_cbranch_execz .LBB46_385
; %bb.384:
	v_div_scale_f32 v57, null, v55, v55, v54
	v_div_scale_f32 v65, vcc_lo, v54, v55, v54
	s_delay_alu instid0(VALU_DEP_2) | instskip(SKIP_1) | instid1(TRANS32_DEP_1)
	v_rcp_f32_e32 v63, v57
	v_nop
	v_fma_f32 v64, -v57, v63, 1.0
	s_delay_alu instid0(VALU_DEP_1) | instskip(NEXT) | instid1(VALU_DEP_1)
	v_fmac_f32_e32 v63, v64, v63
	v_mul_f32_e32 v64, v65, v63
	s_delay_alu instid0(VALU_DEP_1) | instskip(NEXT) | instid1(VALU_DEP_1)
	v_fma_f32 v66, -v57, v64, v65
	v_fmac_f32_e32 v64, v66, v63
	s_delay_alu instid0(VALU_DEP_1) | instskip(NEXT) | instid1(VALU_DEP_1)
	v_fma_f32 v57, -v57, v64, v65
	v_div_fmas_f32 v57, v57, v63, v64
	s_delay_alu instid0(VALU_DEP_1) | instskip(NEXT) | instid1(VALU_DEP_1)
	v_div_fixup_f32 v57, v57, v55, v54
	v_fmac_f32_e32 v55, v54, v57
	s_delay_alu instid0(VALU_DEP_1) | instskip(SKIP_1) | instid1(VALU_DEP_2)
	v_div_scale_f32 v54, null, v55, v55, 1.0
	v_div_scale_f32 v65, vcc_lo, 1.0, v55, 1.0
	v_rcp_f32_e32 v63, v54
	v_nop
	s_delay_alu instid0(TRANS32_DEP_1) | instskip(NEXT) | instid1(VALU_DEP_1)
	v_fma_f32 v64, -v54, v63, 1.0
	v_fmac_f32_e32 v63, v64, v63
	s_delay_alu instid0(VALU_DEP_1) | instskip(NEXT) | instid1(VALU_DEP_1)
	v_mul_f32_e32 v64, v65, v63
	v_fma_f32 v66, -v54, v64, v65
	s_delay_alu instid0(VALU_DEP_1) | instskip(NEXT) | instid1(VALU_DEP_1)
	v_fmac_f32_e32 v64, v66, v63
	v_fma_f32 v54, -v54, v64, v65
	s_delay_alu instid0(VALU_DEP_1) | instskip(NEXT) | instid1(VALU_DEP_1)
	v_div_fmas_f32 v54, v54, v63, v64
	v_div_fixup_f32 v55, v54, v55, 1.0
	s_delay_alu instid0(VALU_DEP_1)
	v_mul_f32_e32 v54, v57, v55
	v_xor_b32_e32 v55, 0x80000000, v55
.LBB46_385:
	s_and_not1_saveexec_b32 s1, s1
	s_cbranch_execz .LBB46_387
; %bb.386:
	s_delay_alu instid0(VALU_DEP_1) | instskip(SKIP_1) | instid1(VALU_DEP_2)
	v_div_scale_f32 v57, null, v54, v54, v55
	v_div_scale_f32 v65, vcc_lo, v55, v54, v55
	v_rcp_f32_e32 v63, v57
	v_nop
	s_delay_alu instid0(TRANS32_DEP_1) | instskip(NEXT) | instid1(VALU_DEP_1)
	v_fma_f32 v64, -v57, v63, 1.0
	v_fmac_f32_e32 v63, v64, v63
	s_delay_alu instid0(VALU_DEP_1) | instskip(NEXT) | instid1(VALU_DEP_1)
	v_mul_f32_e32 v64, v65, v63
	v_fma_f32 v66, -v57, v64, v65
	s_delay_alu instid0(VALU_DEP_1) | instskip(NEXT) | instid1(VALU_DEP_1)
	v_fmac_f32_e32 v64, v66, v63
	v_fma_f32 v57, -v57, v64, v65
	s_delay_alu instid0(VALU_DEP_1) | instskip(NEXT) | instid1(VALU_DEP_1)
	v_div_fmas_f32 v57, v57, v63, v64
	v_div_fixup_f32 v57, v57, v54, v55
	s_delay_alu instid0(VALU_DEP_1) | instskip(NEXT) | instid1(VALU_DEP_1)
	v_fmac_f32_e32 v54, v55, v57
	v_div_scale_f32 v55, null, v54, v54, 1.0
	s_delay_alu instid0(VALU_DEP_1) | instskip(SKIP_1) | instid1(TRANS32_DEP_1)
	v_rcp_f32_e32 v63, v55
	v_nop
	v_fma_f32 v64, -v55, v63, 1.0
	s_delay_alu instid0(VALU_DEP_1) | instskip(SKIP_1) | instid1(VALU_DEP_1)
	v_fmac_f32_e32 v63, v64, v63
	v_div_scale_f32 v64, vcc_lo, 1.0, v54, 1.0
	v_mul_f32_e32 v65, v64, v63
	s_delay_alu instid0(VALU_DEP_1) | instskip(NEXT) | instid1(VALU_DEP_1)
	v_fma_f32 v66, -v55, v65, v64
	v_fmac_f32_e32 v65, v66, v63
	s_delay_alu instid0(VALU_DEP_1) | instskip(NEXT) | instid1(VALU_DEP_1)
	v_fma_f32 v55, -v55, v65, v64
	v_div_fmas_f32 v55, v55, v63, v65
	s_delay_alu instid0(VALU_DEP_1) | instskip(NEXT) | instid1(VALU_DEP_1)
	v_div_fixup_f32 v54, v55, v54, 1.0
	v_mul_f32_e64 v55, v57, -v54
.LBB46_387:
	s_or_b32 exec_lo, exec_lo, s1
.LBB46_388:
	s_delay_alu instid0(SALU_CYCLE_1) | instskip(NEXT) | instid1(SALU_CYCLE_1)
	s_or_b32 exec_lo, exec_lo, s0
	s_mov_b32 s0, exec_lo
	v_cmpx_ne_u32_e64 v62, v56
	s_xor_b32 s0, exec_lo, s0
	s_cbranch_execz .LBB46_394
; %bb.389:
	s_mov_b32 s1, exec_lo
	v_cmpx_eq_u32_e32 18, v62
	s_cbranch_execz .LBB46_393
; %bb.390:
	v_cmp_ne_u32_e32 vcc_lo, 18, v56
	s_xor_b32 s15, s12, -1
	s_delay_alu instid0(SALU_CYCLE_1) | instskip(NEXT) | instid1(SALU_CYCLE_1)
	s_and_b32 s16, s15, vcc_lo
	s_and_saveexec_b32 s15, s16
	s_cbranch_execz .LBB46_392
; %bb.391:
	v_ashrrev_i32_e32 v57, 31, v56
	s_delay_alu instid0(VALU_DEP_1)
	v_lshl_add_u64 v[62:63], v[56:57], 2, v[30:31]
	s_clause 0x1
	global_load_b32 v57, v[62:63], off
	global_load_b32 v61, v[30:31], off offset:72
	s_wait_loadcnt 0x1
	global_store_b32 v[30:31], v57, off offset:72
	s_wait_loadcnt 0x0
	global_store_b32 v[62:63], v61, off
.LBB46_392:
	s_wait_xcnt 0x0
	s_or_b32 exec_lo, exec_lo, s15
	v_dual_mov_b32 v62, v56 :: v_dual_mov_b32 v61, v56
.LBB46_393:
	s_or_b32 exec_lo, exec_lo, s1
.LBB46_394:
	s_and_not1_saveexec_b32 s0, s0
	s_cbranch_execz .LBB46_396
; %bb.395:
	v_mov_b32_e32 v62, 18
	ds_store_2addr_b64 v58, v[6:7], v[22:23] offset0:19 offset1:20
	ds_store_2addr_b64 v58, v[20:21], v[16:17] offset0:21 offset1:22
	ds_store_b64 v58, v[52:53] offset:184
.LBB46_396:
	s_or_b32 exec_lo, exec_lo, s0
	s_delay_alu instid0(SALU_CYCLE_1)
	s_mov_b32 s0, exec_lo
	s_wait_storecnt_dscnt 0x0
	s_barrier_signal -1
	s_barrier_wait -1
	v_cmpx_lt_i32_e32 18, v62
	s_cbranch_execz .LBB46_398
; %bb.397:
	v_pk_mul_f32 v[56:57], v[54:55], v[26:27] op_sel:[1,1] op_sel_hi:[0,1]
	s_delay_alu instid0(VALU_DEP_1)
	v_pk_fma_f32 v[64:65], v[54:55], v[26:27], v[56:57] op_sel_hi:[1,0,1] neg_lo:[0,0,1] neg_hi:[0,0,1]
	v_pk_fma_f32 v[66:67], v[54:55], v[26:27], v[56:57] op_sel_hi:[1,0,1]
	ds_load_2addr_b64 v[54:57], v58 offset0:19 offset1:20
	v_dual_mov_b32 v26, v64 :: v_dual_mov_b32 v27, v67
	s_wait_dscnt 0x0
	v_pk_mul_f32 v[68:69], v[54:55], v[66:67] op_sel:[0,1]
	s_delay_alu instid0(VALU_DEP_1) | instskip(SKIP_1) | instid1(VALU_DEP_1)
	v_pk_fma_f32 v[70:71], v[54:55], v[64:65], v[68:69] op_sel:[0,0,1] op_sel_hi:[1,1,0] neg_lo:[0,0,1] neg_hi:[0,0,1]
	v_pk_fma_f32 v[54:55], v[54:55], v[64:65], v[68:69] op_sel:[0,0,1] op_sel_hi:[1,0,0]
	v_mov_b32_e32 v71, v55
	v_pk_mul_f32 v[54:55], v[56:57], v[66:67] op_sel:[0,1]
	s_delay_alu instid0(VALU_DEP_1) | instskip(SKIP_1) | instid1(VALU_DEP_1)
	v_pk_fma_f32 v[68:69], v[56:57], v[64:65], v[54:55] op_sel:[0,0,1] op_sel_hi:[1,1,0] neg_lo:[0,0,1] neg_hi:[0,0,1]
	v_pk_fma_f32 v[54:55], v[56:57], v[64:65], v[54:55] op_sel:[0,0,1] op_sel_hi:[1,0,0]
	v_mov_b32_e32 v69, v55
	ds_load_2addr_b64 v[54:57], v58 offset0:21 offset1:22
	v_pk_add_f32 v[6:7], v[6:7], v[70:71] neg_lo:[0,1] neg_hi:[0,1]
	v_pk_add_f32 v[22:23], v[22:23], v[68:69] neg_lo:[0,1] neg_hi:[0,1]
	s_wait_dscnt 0x0
	v_pk_mul_f32 v[68:69], v[54:55], v[66:67] op_sel:[0,1]
	s_delay_alu instid0(VALU_DEP_1) | instskip(SKIP_2) | instid1(VALU_DEP_2)
	v_pk_fma_f32 v[70:71], v[54:55], v[64:65], v[68:69] op_sel:[0,0,1] op_sel_hi:[1,1,0] neg_lo:[0,0,1] neg_hi:[0,0,1]
	v_pk_fma_f32 v[54:55], v[54:55], v[64:65], v[68:69] op_sel:[0,0,1] op_sel_hi:[1,0,0]
	v_dual_mul_f32 v68, v57, v67 :: v_dual_mov_b32 v54, v57
	v_dual_mov_b32 v71, v55 :: v_dual_mov_b32 v55, v56
	s_delay_alu instid0(VALU_DEP_2) | instskip(SKIP_1) | instid1(VALU_DEP_3)
	v_pk_fma_f32 v[68:69], v[56:57], v[26:27], v[68:69] op_sel_hi:[1,1,0] neg_lo:[0,0,1] neg_hi:[0,0,1]
	v_mul_f32_e32 v56, v57, v64
	v_pk_add_f32 v[20:21], v[20:21], v[70:71] neg_lo:[0,1] neg_hi:[0,1]
	s_delay_alu instid0(VALU_DEP_2) | instskip(NEXT) | instid1(VALU_DEP_1)
	v_pk_fma_f32 v[54:55], v[54:55], v[26:27], v[56:57] op_sel_hi:[1,1,0]
	v_mov_b32_e32 v69, v55
	ds_load_b64 v[54:55], v58 offset:184
	v_pk_add_f32 v[16:17], v[16:17], v[68:69] neg_lo:[0,1] neg_hi:[0,1]
	s_wait_dscnt 0x0
	v_pk_mul_f32 v[56:57], v[54:55], v[66:67] op_sel:[0,1]
	s_delay_alu instid0(VALU_DEP_1) | instskip(SKIP_1) | instid1(VALU_DEP_1)
	v_pk_fma_f32 v[66:67], v[54:55], v[64:65], v[56:57] op_sel:[0,0,1] op_sel_hi:[1,1,0] neg_lo:[0,0,1] neg_hi:[0,0,1]
	v_pk_fma_f32 v[54:55], v[54:55], v[64:65], v[56:57] op_sel:[0,0,1] op_sel_hi:[1,0,0]
	v_mov_b32_e32 v67, v55
	s_delay_alu instid0(VALU_DEP_1)
	v_pk_add_f32 v[52:53], v[52:53], v[66:67] neg_lo:[0,1] neg_hi:[0,1]
.LBB46_398:
	s_or_b32 exec_lo, exec_lo, s0
	v_lshl_add_u32 v54, v62, 3, v58
	s_barrier_signal -1
	s_barrier_wait -1
	ds_store_b64 v54, v[6:7]
	s_wait_dscnt 0x0
	s_barrier_signal -1
	s_barrier_wait -1
	ds_load_b64 v[54:55], v58 offset:152
	v_mov_b32_e32 v56, 19
	s_cmp_lt_i32 s14, 21
	s_cbranch_scc1 .LBB46_401
; %bb.399:
	v_add3_u32 v57, v59, 0, 0xa0
	v_mov_b32_e32 v56, 19
	s_mov_b32 s0, 20
.LBB46_400:                             ; =>This Inner Loop Header: Depth=1
	ds_load_b64 v[64:65], v57
	s_wait_dscnt 0x1
	v_cmp_gt_f32_e32 vcc_lo, 0, v54
	v_cndmask_b32_e64 v66, v54, -v54, vcc_lo
	v_cmp_gt_f32_e32 vcc_lo, 0, v55
	v_cndmask_b32_e64 v68, v55, -v55, vcc_lo
	s_wait_dscnt 0x0
	v_cmp_gt_f32_e32 vcc_lo, 0, v64
	v_cndmask_b32_e64 v67, v64, -v64, vcc_lo
	v_cmp_gt_f32_e32 vcc_lo, 0, v65
	v_cndmask_b32_e64 v69, v65, -v65, vcc_lo
	s_delay_alu instid0(VALU_DEP_1) | instskip(NEXT) | instid1(VALU_DEP_1)
	v_pk_add_f32 v[66:67], v[66:67], v[68:69]
	v_cmp_lt_f32_e32 vcc_lo, v66, v67
	v_dual_cndmask_b32 v54, v54, v64 :: v_dual_add_nc_u32 v57, 8, v57
	v_cndmask_b32_e32 v55, v55, v65, vcc_lo
	v_cndmask_b32_e64 v56, v56, s0, vcc_lo
	s_add_co_i32 s0, s0, 1
	s_delay_alu instid0(SALU_CYCLE_1)
	s_cmp_lg_u32 s14, s0
	s_cbranch_scc1 .LBB46_400
.LBB46_401:
	s_wait_dscnt 0x0
	v_cmp_eq_f32_e32 vcc_lo, 0, v54
	v_cmp_eq_f32_e64 s0, 0, v55
	s_and_b32 s0, vcc_lo, s0
	s_delay_alu instid0(SALU_CYCLE_1) | instskip(NEXT) | instid1(SALU_CYCLE_1)
	s_and_saveexec_b32 s1, s0
	s_xor_b32 s0, exec_lo, s1
; %bb.402:
	v_cmp_ne_u32_e32 vcc_lo, 0, v60
	v_cndmask_b32_e32 v60, 20, v60, vcc_lo
; %bb.403:
	s_and_not1_saveexec_b32 s0, s0
	s_cbranch_execz .LBB46_409
; %bb.404:
	v_cmp_ngt_f32_e64 s1, |v54|, |v55|
	s_and_saveexec_b32 s15, s1
	s_delay_alu instid0(SALU_CYCLE_1)
	s_xor_b32 s1, exec_lo, s15
	s_cbranch_execz .LBB46_406
; %bb.405:
	v_div_scale_f32 v57, null, v55, v55, v54
	v_div_scale_f32 v65, vcc_lo, v54, v55, v54
	s_delay_alu instid0(VALU_DEP_2) | instskip(SKIP_1) | instid1(TRANS32_DEP_1)
	v_rcp_f32_e32 v63, v57
	v_nop
	v_fma_f32 v64, -v57, v63, 1.0
	s_delay_alu instid0(VALU_DEP_1) | instskip(NEXT) | instid1(VALU_DEP_1)
	v_fmac_f32_e32 v63, v64, v63
	v_mul_f32_e32 v64, v65, v63
	s_delay_alu instid0(VALU_DEP_1) | instskip(NEXT) | instid1(VALU_DEP_1)
	v_fma_f32 v66, -v57, v64, v65
	v_fmac_f32_e32 v64, v66, v63
	s_delay_alu instid0(VALU_DEP_1) | instskip(NEXT) | instid1(VALU_DEP_1)
	v_fma_f32 v57, -v57, v64, v65
	v_div_fmas_f32 v57, v57, v63, v64
	s_delay_alu instid0(VALU_DEP_1) | instskip(NEXT) | instid1(VALU_DEP_1)
	v_div_fixup_f32 v57, v57, v55, v54
	v_fmac_f32_e32 v55, v54, v57
	s_delay_alu instid0(VALU_DEP_1) | instskip(SKIP_1) | instid1(VALU_DEP_2)
	v_div_scale_f32 v54, null, v55, v55, 1.0
	v_div_scale_f32 v65, vcc_lo, 1.0, v55, 1.0
	v_rcp_f32_e32 v63, v54
	v_nop
	s_delay_alu instid0(TRANS32_DEP_1) | instskip(NEXT) | instid1(VALU_DEP_1)
	v_fma_f32 v64, -v54, v63, 1.0
	v_fmac_f32_e32 v63, v64, v63
	s_delay_alu instid0(VALU_DEP_1) | instskip(NEXT) | instid1(VALU_DEP_1)
	v_mul_f32_e32 v64, v65, v63
	v_fma_f32 v66, -v54, v64, v65
	s_delay_alu instid0(VALU_DEP_1) | instskip(NEXT) | instid1(VALU_DEP_1)
	v_fmac_f32_e32 v64, v66, v63
	v_fma_f32 v54, -v54, v64, v65
	s_delay_alu instid0(VALU_DEP_1) | instskip(NEXT) | instid1(VALU_DEP_1)
	v_div_fmas_f32 v54, v54, v63, v64
	v_div_fixup_f32 v55, v54, v55, 1.0
	s_delay_alu instid0(VALU_DEP_1)
	v_mul_f32_e32 v54, v57, v55
	v_xor_b32_e32 v55, 0x80000000, v55
.LBB46_406:
	s_and_not1_saveexec_b32 s1, s1
	s_cbranch_execz .LBB46_408
; %bb.407:
	s_delay_alu instid0(VALU_DEP_1) | instskip(SKIP_1) | instid1(VALU_DEP_2)
	v_div_scale_f32 v57, null, v54, v54, v55
	v_div_scale_f32 v65, vcc_lo, v55, v54, v55
	v_rcp_f32_e32 v63, v57
	v_nop
	s_delay_alu instid0(TRANS32_DEP_1) | instskip(NEXT) | instid1(VALU_DEP_1)
	v_fma_f32 v64, -v57, v63, 1.0
	v_fmac_f32_e32 v63, v64, v63
	s_delay_alu instid0(VALU_DEP_1) | instskip(NEXT) | instid1(VALU_DEP_1)
	v_mul_f32_e32 v64, v65, v63
	v_fma_f32 v66, -v57, v64, v65
	s_delay_alu instid0(VALU_DEP_1) | instskip(NEXT) | instid1(VALU_DEP_1)
	v_fmac_f32_e32 v64, v66, v63
	v_fma_f32 v57, -v57, v64, v65
	s_delay_alu instid0(VALU_DEP_1) | instskip(NEXT) | instid1(VALU_DEP_1)
	v_div_fmas_f32 v57, v57, v63, v64
	v_div_fixup_f32 v57, v57, v54, v55
	s_delay_alu instid0(VALU_DEP_1) | instskip(NEXT) | instid1(VALU_DEP_1)
	v_fmac_f32_e32 v54, v55, v57
	v_div_scale_f32 v55, null, v54, v54, 1.0
	s_delay_alu instid0(VALU_DEP_1) | instskip(SKIP_1) | instid1(TRANS32_DEP_1)
	v_rcp_f32_e32 v63, v55
	v_nop
	v_fma_f32 v64, -v55, v63, 1.0
	s_delay_alu instid0(VALU_DEP_1) | instskip(SKIP_1) | instid1(VALU_DEP_1)
	v_fmac_f32_e32 v63, v64, v63
	v_div_scale_f32 v64, vcc_lo, 1.0, v54, 1.0
	v_mul_f32_e32 v65, v64, v63
	s_delay_alu instid0(VALU_DEP_1) | instskip(NEXT) | instid1(VALU_DEP_1)
	v_fma_f32 v66, -v55, v65, v64
	v_fmac_f32_e32 v65, v66, v63
	s_delay_alu instid0(VALU_DEP_1) | instskip(NEXT) | instid1(VALU_DEP_1)
	v_fma_f32 v55, -v55, v65, v64
	v_div_fmas_f32 v55, v55, v63, v65
	s_delay_alu instid0(VALU_DEP_1) | instskip(NEXT) | instid1(VALU_DEP_1)
	v_div_fixup_f32 v54, v55, v54, 1.0
	v_mul_f32_e64 v55, v57, -v54
.LBB46_408:
	s_or_b32 exec_lo, exec_lo, s1
.LBB46_409:
	s_delay_alu instid0(SALU_CYCLE_1) | instskip(NEXT) | instid1(SALU_CYCLE_1)
	s_or_b32 exec_lo, exec_lo, s0
	s_mov_b32 s0, exec_lo
	v_cmpx_ne_u32_e64 v62, v56
	s_xor_b32 s0, exec_lo, s0
	s_cbranch_execz .LBB46_415
; %bb.410:
	s_mov_b32 s1, exec_lo
	v_cmpx_eq_u32_e32 19, v62
	s_cbranch_execz .LBB46_414
; %bb.411:
	v_cmp_ne_u32_e32 vcc_lo, 19, v56
	s_xor_b32 s15, s12, -1
	s_delay_alu instid0(SALU_CYCLE_1) | instskip(NEXT) | instid1(SALU_CYCLE_1)
	s_and_b32 s16, s15, vcc_lo
	s_and_saveexec_b32 s15, s16
	s_cbranch_execz .LBB46_413
; %bb.412:
	v_ashrrev_i32_e32 v57, 31, v56
	s_delay_alu instid0(VALU_DEP_1)
	v_lshl_add_u64 v[62:63], v[56:57], 2, v[30:31]
	s_clause 0x1
	global_load_b32 v57, v[62:63], off
	global_load_b32 v61, v[30:31], off offset:76
	s_wait_loadcnt 0x1
	global_store_b32 v[30:31], v57, off offset:76
	s_wait_loadcnt 0x0
	global_store_b32 v[62:63], v61, off
.LBB46_413:
	s_wait_xcnt 0x0
	s_or_b32 exec_lo, exec_lo, s15
	v_dual_mov_b32 v62, v56 :: v_dual_mov_b32 v61, v56
.LBB46_414:
	s_or_b32 exec_lo, exec_lo, s1
.LBB46_415:
	s_and_not1_saveexec_b32 s0, s0
	s_cbranch_execz .LBB46_417
; %bb.416:
	v_dual_mov_b32 v56, v22 :: v_dual_mov_b32 v57, v23
	v_dual_mov_b32 v64, v20 :: v_dual_mov_b32 v65, v21
	v_dual_mov_b32 v62, 19 :: v_dual_mov_b32 v66, v16
	v_mov_b32_e32 v67, v17
	ds_store_2addr_b64 v58, v[56:57], v[64:65] offset0:20 offset1:21
	ds_store_2addr_b64 v58, v[66:67], v[52:53] offset0:22 offset1:23
.LBB46_417:
	s_or_b32 exec_lo, exec_lo, s0
	s_delay_alu instid0(SALU_CYCLE_1)
	s_mov_b32 s0, exec_lo
	s_wait_storecnt_dscnt 0x0
	s_barrier_signal -1
	s_barrier_wait -1
	v_cmpx_lt_i32_e32 19, v62
	s_cbranch_execz .LBB46_419
; %bb.418:
	v_pk_mul_f32 v[56:57], v[54:55], v[6:7] op_sel:[1,1] op_sel_hi:[0,1]
	s_delay_alu instid0(VALU_DEP_1)
	v_pk_fma_f32 v[64:65], v[54:55], v[6:7], v[56:57] op_sel_hi:[1,0,1] neg_lo:[0,0,1] neg_hi:[0,0,1]
	v_pk_fma_f32 v[66:67], v[54:55], v[6:7], v[56:57] op_sel_hi:[1,0,1]
	ds_load_2addr_b64 v[54:57], v58 offset0:20 offset1:21
	v_dual_mov_b32 v6, v64 :: v_dual_mov_b32 v7, v67
	s_wait_dscnt 0x0
	v_pk_mul_f32 v[68:69], v[54:55], v[66:67] op_sel:[0,1]
	s_delay_alu instid0(VALU_DEP_1) | instskip(SKIP_1) | instid1(VALU_DEP_1)
	v_pk_fma_f32 v[70:71], v[54:55], v[64:65], v[68:69] op_sel:[0,0,1] op_sel_hi:[1,1,0] neg_lo:[0,0,1] neg_hi:[0,0,1]
	v_pk_fma_f32 v[54:55], v[54:55], v[64:65], v[68:69] op_sel:[0,0,1] op_sel_hi:[1,0,0]
	v_mov_b32_e32 v71, v55
	v_pk_mul_f32 v[54:55], v[56:57], v[66:67] op_sel:[0,1]
	s_delay_alu instid0(VALU_DEP_1) | instskip(SKIP_1) | instid1(VALU_DEP_1)
	v_pk_fma_f32 v[68:69], v[56:57], v[64:65], v[54:55] op_sel:[0,0,1] op_sel_hi:[1,1,0] neg_lo:[0,0,1] neg_hi:[0,0,1]
	v_pk_fma_f32 v[54:55], v[56:57], v[64:65], v[54:55] op_sel:[0,0,1] op_sel_hi:[1,0,0]
	v_mov_b32_e32 v69, v55
	ds_load_2addr_b64 v[54:57], v58 offset0:22 offset1:23
	v_pk_add_f32 v[22:23], v[22:23], v[70:71] neg_lo:[0,1] neg_hi:[0,1]
	v_pk_add_f32 v[20:21], v[20:21], v[68:69] neg_lo:[0,1] neg_hi:[0,1]
	s_wait_dscnt 0x0
	v_pk_mul_f32 v[68:69], v[54:55], v[66:67] op_sel:[0,1]
	s_delay_alu instid0(VALU_DEP_1) | instskip(SKIP_1) | instid1(VALU_DEP_1)
	v_pk_fma_f32 v[70:71], v[54:55], v[64:65], v[68:69] op_sel:[0,0,1] op_sel_hi:[1,1,0] neg_lo:[0,0,1] neg_hi:[0,0,1]
	v_pk_fma_f32 v[54:55], v[54:55], v[64:65], v[68:69] op_sel:[0,0,1] op_sel_hi:[1,0,0]
	v_dual_mov_b32 v54, v57 :: v_dual_mov_b32 v71, v55
	v_mov_b32_e32 v55, v56
	s_delay_alu instid0(VALU_DEP_2) | instskip(NEXT) | instid1(VALU_DEP_2)
	v_pk_add_f32 v[16:17], v[16:17], v[70:71] neg_lo:[0,1] neg_hi:[0,1]
	v_pk_mul_f32 v[54:55], v[54:55], v[66:67] op_sel:[0,1]
	s_delay_alu instid0(VALU_DEP_1) | instskip(SKIP_1) | instid1(VALU_DEP_1)
	v_pk_fma_f32 v[66:67], v[56:57], v[64:65], v[54:55] neg_lo:[0,0,1] neg_hi:[0,0,1]
	v_pk_fma_f32 v[54:55], v[56:57], v[64:65], v[54:55] op_sel_hi:[1,0,1]
	v_mov_b32_e32 v67, v55
	s_delay_alu instid0(VALU_DEP_1)
	v_pk_add_f32 v[52:53], v[52:53], v[66:67] neg_lo:[0,1] neg_hi:[0,1]
.LBB46_419:
	s_or_b32 exec_lo, exec_lo, s0
	v_lshl_add_u32 v54, v62, 3, v58
	s_barrier_signal -1
	s_barrier_wait -1
	ds_store_b64 v54, v[22:23]
	s_wait_dscnt 0x0
	s_barrier_signal -1
	s_barrier_wait -1
	ds_load_b64 v[54:55], v58 offset:160
	v_mov_b32_e32 v56, 20
	s_cmp_lt_i32 s14, 22
	s_cbranch_scc1 .LBB46_422
; %bb.420:
	v_add3_u32 v57, v59, 0, 0xa8
	v_mov_b32_e32 v56, 20
	s_mov_b32 s0, 21
.LBB46_421:                             ; =>This Inner Loop Header: Depth=1
	ds_load_b64 v[64:65], v57
	s_wait_dscnt 0x1
	v_cmp_gt_f32_e32 vcc_lo, 0, v54
	v_cndmask_b32_e64 v66, v54, -v54, vcc_lo
	v_cmp_gt_f32_e32 vcc_lo, 0, v55
	v_cndmask_b32_e64 v68, v55, -v55, vcc_lo
	s_wait_dscnt 0x0
	v_cmp_gt_f32_e32 vcc_lo, 0, v64
	v_cndmask_b32_e64 v67, v64, -v64, vcc_lo
	v_cmp_gt_f32_e32 vcc_lo, 0, v65
	v_cndmask_b32_e64 v69, v65, -v65, vcc_lo
	s_delay_alu instid0(VALU_DEP_1) | instskip(NEXT) | instid1(VALU_DEP_1)
	v_pk_add_f32 v[66:67], v[66:67], v[68:69]
	v_cmp_lt_f32_e32 vcc_lo, v66, v67
	v_dual_cndmask_b32 v54, v54, v64 :: v_dual_add_nc_u32 v57, 8, v57
	v_cndmask_b32_e32 v55, v55, v65, vcc_lo
	v_cndmask_b32_e64 v56, v56, s0, vcc_lo
	s_add_co_i32 s0, s0, 1
	s_delay_alu instid0(SALU_CYCLE_1)
	s_cmp_lg_u32 s14, s0
	s_cbranch_scc1 .LBB46_421
.LBB46_422:
	s_wait_dscnt 0x0
	v_cmp_eq_f32_e32 vcc_lo, 0, v54
	v_cmp_eq_f32_e64 s0, 0, v55
	s_and_b32 s0, vcc_lo, s0
	s_delay_alu instid0(SALU_CYCLE_1) | instskip(NEXT) | instid1(SALU_CYCLE_1)
	s_and_saveexec_b32 s1, s0
	s_xor_b32 s0, exec_lo, s1
; %bb.423:
	v_cmp_ne_u32_e32 vcc_lo, 0, v60
	v_cndmask_b32_e32 v60, 21, v60, vcc_lo
; %bb.424:
	s_and_not1_saveexec_b32 s0, s0
	s_cbranch_execz .LBB46_430
; %bb.425:
	v_cmp_ngt_f32_e64 s1, |v54|, |v55|
	s_and_saveexec_b32 s15, s1
	s_delay_alu instid0(SALU_CYCLE_1)
	s_xor_b32 s1, exec_lo, s15
	s_cbranch_execz .LBB46_427
; %bb.426:
	v_div_scale_f32 v57, null, v55, v55, v54
	v_div_scale_f32 v65, vcc_lo, v54, v55, v54
	s_delay_alu instid0(VALU_DEP_2) | instskip(SKIP_1) | instid1(TRANS32_DEP_1)
	v_rcp_f32_e32 v63, v57
	v_nop
	v_fma_f32 v64, -v57, v63, 1.0
	s_delay_alu instid0(VALU_DEP_1) | instskip(NEXT) | instid1(VALU_DEP_1)
	v_fmac_f32_e32 v63, v64, v63
	v_mul_f32_e32 v64, v65, v63
	s_delay_alu instid0(VALU_DEP_1) | instskip(NEXT) | instid1(VALU_DEP_1)
	v_fma_f32 v66, -v57, v64, v65
	v_fmac_f32_e32 v64, v66, v63
	s_delay_alu instid0(VALU_DEP_1) | instskip(NEXT) | instid1(VALU_DEP_1)
	v_fma_f32 v57, -v57, v64, v65
	v_div_fmas_f32 v57, v57, v63, v64
	s_delay_alu instid0(VALU_DEP_1) | instskip(NEXT) | instid1(VALU_DEP_1)
	v_div_fixup_f32 v57, v57, v55, v54
	v_fmac_f32_e32 v55, v54, v57
	s_delay_alu instid0(VALU_DEP_1) | instskip(SKIP_1) | instid1(VALU_DEP_2)
	v_div_scale_f32 v54, null, v55, v55, 1.0
	v_div_scale_f32 v65, vcc_lo, 1.0, v55, 1.0
	v_rcp_f32_e32 v63, v54
	v_nop
	s_delay_alu instid0(TRANS32_DEP_1) | instskip(NEXT) | instid1(VALU_DEP_1)
	v_fma_f32 v64, -v54, v63, 1.0
	v_fmac_f32_e32 v63, v64, v63
	s_delay_alu instid0(VALU_DEP_1) | instskip(NEXT) | instid1(VALU_DEP_1)
	v_mul_f32_e32 v64, v65, v63
	v_fma_f32 v66, -v54, v64, v65
	s_delay_alu instid0(VALU_DEP_1) | instskip(NEXT) | instid1(VALU_DEP_1)
	v_fmac_f32_e32 v64, v66, v63
	v_fma_f32 v54, -v54, v64, v65
	s_delay_alu instid0(VALU_DEP_1) | instskip(NEXT) | instid1(VALU_DEP_1)
	v_div_fmas_f32 v54, v54, v63, v64
	v_div_fixup_f32 v55, v54, v55, 1.0
	s_delay_alu instid0(VALU_DEP_1)
	v_mul_f32_e32 v54, v57, v55
	v_xor_b32_e32 v55, 0x80000000, v55
.LBB46_427:
	s_and_not1_saveexec_b32 s1, s1
	s_cbranch_execz .LBB46_429
; %bb.428:
	s_delay_alu instid0(VALU_DEP_1) | instskip(SKIP_1) | instid1(VALU_DEP_2)
	v_div_scale_f32 v57, null, v54, v54, v55
	v_div_scale_f32 v65, vcc_lo, v55, v54, v55
	v_rcp_f32_e32 v63, v57
	v_nop
	s_delay_alu instid0(TRANS32_DEP_1) | instskip(NEXT) | instid1(VALU_DEP_1)
	v_fma_f32 v64, -v57, v63, 1.0
	v_fmac_f32_e32 v63, v64, v63
	s_delay_alu instid0(VALU_DEP_1) | instskip(NEXT) | instid1(VALU_DEP_1)
	v_mul_f32_e32 v64, v65, v63
	v_fma_f32 v66, -v57, v64, v65
	s_delay_alu instid0(VALU_DEP_1) | instskip(NEXT) | instid1(VALU_DEP_1)
	v_fmac_f32_e32 v64, v66, v63
	v_fma_f32 v57, -v57, v64, v65
	s_delay_alu instid0(VALU_DEP_1) | instskip(NEXT) | instid1(VALU_DEP_1)
	v_div_fmas_f32 v57, v57, v63, v64
	v_div_fixup_f32 v57, v57, v54, v55
	s_delay_alu instid0(VALU_DEP_1) | instskip(NEXT) | instid1(VALU_DEP_1)
	v_fmac_f32_e32 v54, v55, v57
	v_div_scale_f32 v55, null, v54, v54, 1.0
	s_delay_alu instid0(VALU_DEP_1) | instskip(SKIP_1) | instid1(TRANS32_DEP_1)
	v_rcp_f32_e32 v63, v55
	v_nop
	v_fma_f32 v64, -v55, v63, 1.0
	s_delay_alu instid0(VALU_DEP_1) | instskip(SKIP_1) | instid1(VALU_DEP_1)
	v_fmac_f32_e32 v63, v64, v63
	v_div_scale_f32 v64, vcc_lo, 1.0, v54, 1.0
	v_mul_f32_e32 v65, v64, v63
	s_delay_alu instid0(VALU_DEP_1) | instskip(NEXT) | instid1(VALU_DEP_1)
	v_fma_f32 v66, -v55, v65, v64
	v_fmac_f32_e32 v65, v66, v63
	s_delay_alu instid0(VALU_DEP_1) | instskip(NEXT) | instid1(VALU_DEP_1)
	v_fma_f32 v55, -v55, v65, v64
	v_div_fmas_f32 v55, v55, v63, v65
	s_delay_alu instid0(VALU_DEP_1) | instskip(NEXT) | instid1(VALU_DEP_1)
	v_div_fixup_f32 v54, v55, v54, 1.0
	v_mul_f32_e64 v55, v57, -v54
.LBB46_429:
	s_or_b32 exec_lo, exec_lo, s1
.LBB46_430:
	s_delay_alu instid0(SALU_CYCLE_1) | instskip(NEXT) | instid1(SALU_CYCLE_1)
	s_or_b32 exec_lo, exec_lo, s0
	s_mov_b32 s0, exec_lo
	v_cmpx_ne_u32_e64 v62, v56
	s_xor_b32 s0, exec_lo, s0
	s_cbranch_execz .LBB46_436
; %bb.431:
	s_mov_b32 s1, exec_lo
	v_cmpx_eq_u32_e32 20, v62
	s_cbranch_execz .LBB46_435
; %bb.432:
	v_cmp_ne_u32_e32 vcc_lo, 20, v56
	s_xor_b32 s15, s12, -1
	s_delay_alu instid0(SALU_CYCLE_1) | instskip(NEXT) | instid1(SALU_CYCLE_1)
	s_and_b32 s16, s15, vcc_lo
	s_and_saveexec_b32 s15, s16
	s_cbranch_execz .LBB46_434
; %bb.433:
	v_ashrrev_i32_e32 v57, 31, v56
	s_delay_alu instid0(VALU_DEP_1)
	v_lshl_add_u64 v[62:63], v[56:57], 2, v[30:31]
	s_clause 0x1
	global_load_b32 v57, v[62:63], off
	global_load_b32 v61, v[30:31], off offset:80
	s_wait_loadcnt 0x1
	global_store_b32 v[30:31], v57, off offset:80
	s_wait_loadcnt 0x0
	global_store_b32 v[62:63], v61, off
.LBB46_434:
	s_wait_xcnt 0x0
	s_or_b32 exec_lo, exec_lo, s15
	v_dual_mov_b32 v62, v56 :: v_dual_mov_b32 v61, v56
.LBB46_435:
	s_or_b32 exec_lo, exec_lo, s1
.LBB46_436:
	s_and_not1_saveexec_b32 s0, s0
	s_cbranch_execz .LBB46_438
; %bb.437:
	v_mov_b32_e32 v62, 20
	ds_store_2addr_b64 v58, v[20:21], v[16:17] offset0:21 offset1:22
	ds_store_b64 v58, v[52:53] offset:184
.LBB46_438:
	s_or_b32 exec_lo, exec_lo, s0
	s_delay_alu instid0(SALU_CYCLE_1)
	s_mov_b32 s0, exec_lo
	s_wait_storecnt_dscnt 0x0
	s_barrier_signal -1
	s_barrier_wait -1
	v_cmpx_lt_i32_e32 20, v62
	s_cbranch_execz .LBB46_440
; %bb.439:
	ds_load_2addr_b64 v[64:67], v58 offset0:21 offset1:22
	ds_load_b64 v[56:57], v58 offset:184
	v_pk_mul_f32 v[68:69], v[54:55], v[22:23] op_sel:[1,1] op_sel_hi:[0,1]
	s_delay_alu instid0(VALU_DEP_1) | instskip(SKIP_2) | instid1(VALU_DEP_2)
	v_pk_fma_f32 v[70:71], v[54:55], v[22:23], v[68:69] op_sel_hi:[1,0,1]
	v_pk_fma_f32 v[22:23], v[54:55], v[22:23], v[68:69] op_sel_hi:[1,0,1] neg_lo:[0,0,1] neg_hi:[0,0,1]
	s_wait_dscnt 0x1
	v_pk_mul_f32 v[54:55], v[64:65], v[70:71] op_sel:[0,1]
	v_pk_mul_f32 v[68:69], v[66:67], v[70:71] op_sel:[0,1]
	s_wait_dscnt 0x0
	v_pk_mul_f32 v[72:73], v[56:57], v[70:71] op_sel:[1,1] op_sel_hi:[0,1]
	s_delay_alu instid0(VALU_DEP_3) | instskip(SKIP_2) | instid1(VALU_DEP_4)
	v_pk_fma_f32 v[74:75], v[64:65], v[22:23], v[54:55] op_sel:[0,0,1] op_sel_hi:[1,1,0] neg_lo:[0,0,1] neg_hi:[0,0,1]
	v_pk_fma_f32 v[54:55], v[64:65], v[22:23], v[54:55] op_sel:[0,0,1] op_sel_hi:[1,0,0]
	v_pk_fma_f32 v[64:65], v[66:67], v[22:23], v[68:69] op_sel:[0,0,1] op_sel_hi:[1,0,0]
	v_pk_fma_f32 v[76:77], v[56:57], v[22:23], v[72:73] op_sel_hi:[1,0,1]
	v_pk_fma_f32 v[66:67], v[66:67], v[22:23], v[68:69] op_sel:[0,0,1] op_sel_hi:[1,1,0] neg_lo:[0,0,1] neg_hi:[0,0,1]
	v_pk_fma_f32 v[56:57], v[56:57], v[22:23], v[72:73] neg_lo:[0,0,1] neg_hi:[0,0,1]
	s_delay_alu instid0(VALU_DEP_4) | instskip(NEXT) | instid1(VALU_DEP_4)
	v_dual_mov_b32 v75, v55 :: v_dual_mov_b32 v67, v65
	v_dual_mov_b32 v57, v77 :: v_dual_mov_b32 v23, v71
	s_delay_alu instid0(VALU_DEP_2) | instskip(NEXT) | instid1(VALU_DEP_3)
	v_pk_add_f32 v[20:21], v[20:21], v[74:75] neg_lo:[0,1] neg_hi:[0,1]
	v_pk_add_f32 v[16:17], v[16:17], v[66:67] neg_lo:[0,1] neg_hi:[0,1]
	s_delay_alu instid0(VALU_DEP_3)
	v_pk_add_f32 v[52:53], v[52:53], v[56:57] neg_lo:[0,1] neg_hi:[0,1]
.LBB46_440:
	s_or_b32 exec_lo, exec_lo, s0
	v_lshl_add_u32 v54, v62, 3, v58
	s_barrier_signal -1
	s_barrier_wait -1
	ds_store_b64 v54, v[20:21]
	s_wait_dscnt 0x0
	s_barrier_signal -1
	s_barrier_wait -1
	ds_load_b64 v[54:55], v58 offset:168
	v_mov_b32_e32 v56, 21
	s_cmp_lt_i32 s14, 23
	s_cbranch_scc1 .LBB46_443
; %bb.441:
	v_add3_u32 v57, v59, 0, 0xb0
	v_mov_b32_e32 v56, 21
	s_mov_b32 s0, 22
.LBB46_442:                             ; =>This Inner Loop Header: Depth=1
	ds_load_b64 v[64:65], v57
	s_wait_dscnt 0x1
	v_cmp_gt_f32_e32 vcc_lo, 0, v54
	v_cndmask_b32_e64 v66, v54, -v54, vcc_lo
	v_cmp_gt_f32_e32 vcc_lo, 0, v55
	v_cndmask_b32_e64 v68, v55, -v55, vcc_lo
	s_wait_dscnt 0x0
	v_cmp_gt_f32_e32 vcc_lo, 0, v64
	v_cndmask_b32_e64 v67, v64, -v64, vcc_lo
	v_cmp_gt_f32_e32 vcc_lo, 0, v65
	v_cndmask_b32_e64 v69, v65, -v65, vcc_lo
	s_delay_alu instid0(VALU_DEP_1) | instskip(NEXT) | instid1(VALU_DEP_1)
	v_pk_add_f32 v[66:67], v[66:67], v[68:69]
	v_cmp_lt_f32_e32 vcc_lo, v66, v67
	v_dual_cndmask_b32 v54, v54, v64 :: v_dual_add_nc_u32 v57, 8, v57
	v_cndmask_b32_e32 v55, v55, v65, vcc_lo
	v_cndmask_b32_e64 v56, v56, s0, vcc_lo
	s_add_co_i32 s0, s0, 1
	s_delay_alu instid0(SALU_CYCLE_1)
	s_cmp_lg_u32 s14, s0
	s_cbranch_scc1 .LBB46_442
.LBB46_443:
	s_wait_dscnt 0x0
	v_cmp_eq_f32_e32 vcc_lo, 0, v54
	v_cmp_eq_f32_e64 s0, 0, v55
	s_and_b32 s0, vcc_lo, s0
	s_delay_alu instid0(SALU_CYCLE_1) | instskip(NEXT) | instid1(SALU_CYCLE_1)
	s_and_saveexec_b32 s1, s0
	s_xor_b32 s0, exec_lo, s1
; %bb.444:
	v_cmp_ne_u32_e32 vcc_lo, 0, v60
	v_cndmask_b32_e32 v60, 22, v60, vcc_lo
; %bb.445:
	s_and_not1_saveexec_b32 s0, s0
	s_cbranch_execz .LBB46_451
; %bb.446:
	v_cmp_ngt_f32_e64 s1, |v54|, |v55|
	s_and_saveexec_b32 s15, s1
	s_delay_alu instid0(SALU_CYCLE_1)
	s_xor_b32 s1, exec_lo, s15
	s_cbranch_execz .LBB46_448
; %bb.447:
	v_div_scale_f32 v57, null, v55, v55, v54
	v_div_scale_f32 v65, vcc_lo, v54, v55, v54
	s_delay_alu instid0(VALU_DEP_2) | instskip(SKIP_1) | instid1(TRANS32_DEP_1)
	v_rcp_f32_e32 v63, v57
	v_nop
	v_fma_f32 v64, -v57, v63, 1.0
	s_delay_alu instid0(VALU_DEP_1) | instskip(NEXT) | instid1(VALU_DEP_1)
	v_fmac_f32_e32 v63, v64, v63
	v_mul_f32_e32 v64, v65, v63
	s_delay_alu instid0(VALU_DEP_1) | instskip(NEXT) | instid1(VALU_DEP_1)
	v_fma_f32 v66, -v57, v64, v65
	v_fmac_f32_e32 v64, v66, v63
	s_delay_alu instid0(VALU_DEP_1) | instskip(NEXT) | instid1(VALU_DEP_1)
	v_fma_f32 v57, -v57, v64, v65
	v_div_fmas_f32 v57, v57, v63, v64
	s_delay_alu instid0(VALU_DEP_1) | instskip(NEXT) | instid1(VALU_DEP_1)
	v_div_fixup_f32 v57, v57, v55, v54
	v_fmac_f32_e32 v55, v54, v57
	s_delay_alu instid0(VALU_DEP_1) | instskip(SKIP_1) | instid1(VALU_DEP_2)
	v_div_scale_f32 v54, null, v55, v55, 1.0
	v_div_scale_f32 v65, vcc_lo, 1.0, v55, 1.0
	v_rcp_f32_e32 v63, v54
	v_nop
	s_delay_alu instid0(TRANS32_DEP_1) | instskip(NEXT) | instid1(VALU_DEP_1)
	v_fma_f32 v64, -v54, v63, 1.0
	v_fmac_f32_e32 v63, v64, v63
	s_delay_alu instid0(VALU_DEP_1) | instskip(NEXT) | instid1(VALU_DEP_1)
	v_mul_f32_e32 v64, v65, v63
	v_fma_f32 v66, -v54, v64, v65
	s_delay_alu instid0(VALU_DEP_1) | instskip(NEXT) | instid1(VALU_DEP_1)
	v_fmac_f32_e32 v64, v66, v63
	v_fma_f32 v54, -v54, v64, v65
	s_delay_alu instid0(VALU_DEP_1) | instskip(NEXT) | instid1(VALU_DEP_1)
	v_div_fmas_f32 v54, v54, v63, v64
	v_div_fixup_f32 v55, v54, v55, 1.0
	s_delay_alu instid0(VALU_DEP_1)
	v_mul_f32_e32 v54, v57, v55
	v_xor_b32_e32 v55, 0x80000000, v55
.LBB46_448:
	s_and_not1_saveexec_b32 s1, s1
	s_cbranch_execz .LBB46_450
; %bb.449:
	s_delay_alu instid0(VALU_DEP_1) | instskip(SKIP_1) | instid1(VALU_DEP_2)
	v_div_scale_f32 v57, null, v54, v54, v55
	v_div_scale_f32 v65, vcc_lo, v55, v54, v55
	v_rcp_f32_e32 v63, v57
	v_nop
	s_delay_alu instid0(TRANS32_DEP_1) | instskip(NEXT) | instid1(VALU_DEP_1)
	v_fma_f32 v64, -v57, v63, 1.0
	v_fmac_f32_e32 v63, v64, v63
	s_delay_alu instid0(VALU_DEP_1) | instskip(NEXT) | instid1(VALU_DEP_1)
	v_mul_f32_e32 v64, v65, v63
	v_fma_f32 v66, -v57, v64, v65
	s_delay_alu instid0(VALU_DEP_1) | instskip(NEXT) | instid1(VALU_DEP_1)
	v_fmac_f32_e32 v64, v66, v63
	v_fma_f32 v57, -v57, v64, v65
	s_delay_alu instid0(VALU_DEP_1) | instskip(NEXT) | instid1(VALU_DEP_1)
	v_div_fmas_f32 v57, v57, v63, v64
	v_div_fixup_f32 v57, v57, v54, v55
	s_delay_alu instid0(VALU_DEP_1) | instskip(NEXT) | instid1(VALU_DEP_1)
	v_fmac_f32_e32 v54, v55, v57
	v_div_scale_f32 v55, null, v54, v54, 1.0
	s_delay_alu instid0(VALU_DEP_1) | instskip(SKIP_1) | instid1(TRANS32_DEP_1)
	v_rcp_f32_e32 v63, v55
	v_nop
	v_fma_f32 v64, -v55, v63, 1.0
	s_delay_alu instid0(VALU_DEP_1) | instskip(SKIP_1) | instid1(VALU_DEP_1)
	v_fmac_f32_e32 v63, v64, v63
	v_div_scale_f32 v64, vcc_lo, 1.0, v54, 1.0
	v_mul_f32_e32 v65, v64, v63
	s_delay_alu instid0(VALU_DEP_1) | instskip(NEXT) | instid1(VALU_DEP_1)
	v_fma_f32 v66, -v55, v65, v64
	v_fmac_f32_e32 v65, v66, v63
	s_delay_alu instid0(VALU_DEP_1) | instskip(NEXT) | instid1(VALU_DEP_1)
	v_fma_f32 v55, -v55, v65, v64
	v_div_fmas_f32 v55, v55, v63, v65
	s_delay_alu instid0(VALU_DEP_1) | instskip(NEXT) | instid1(VALU_DEP_1)
	v_div_fixup_f32 v54, v55, v54, 1.0
	v_mul_f32_e64 v55, v57, -v54
.LBB46_450:
	s_or_b32 exec_lo, exec_lo, s1
.LBB46_451:
	s_delay_alu instid0(SALU_CYCLE_1) | instskip(NEXT) | instid1(SALU_CYCLE_1)
	s_or_b32 exec_lo, exec_lo, s0
	s_mov_b32 s0, exec_lo
	v_cmpx_ne_u32_e64 v62, v56
	s_xor_b32 s0, exec_lo, s0
	s_cbranch_execz .LBB46_457
; %bb.452:
	s_mov_b32 s1, exec_lo
	v_cmpx_eq_u32_e32 21, v62
	s_cbranch_execz .LBB46_456
; %bb.453:
	v_cmp_ne_u32_e32 vcc_lo, 21, v56
	s_xor_b32 s15, s12, -1
	s_delay_alu instid0(SALU_CYCLE_1) | instskip(NEXT) | instid1(SALU_CYCLE_1)
	s_and_b32 s16, s15, vcc_lo
	s_and_saveexec_b32 s15, s16
	s_cbranch_execz .LBB46_455
; %bb.454:
	v_ashrrev_i32_e32 v57, 31, v56
	s_delay_alu instid0(VALU_DEP_1)
	v_lshl_add_u64 v[62:63], v[56:57], 2, v[30:31]
	s_clause 0x1
	global_load_b32 v57, v[62:63], off
	global_load_b32 v61, v[30:31], off offset:84
	s_wait_loadcnt 0x1
	global_store_b32 v[30:31], v57, off offset:84
	s_wait_loadcnt 0x0
	global_store_b32 v[62:63], v61, off
.LBB46_455:
	s_wait_xcnt 0x0
	s_or_b32 exec_lo, exec_lo, s15
	v_dual_mov_b32 v62, v56 :: v_dual_mov_b32 v61, v56
.LBB46_456:
	s_or_b32 exec_lo, exec_lo, s1
.LBB46_457:
	s_and_not1_saveexec_b32 s0, s0
; %bb.458:
	v_dual_mov_b32 v56, v16 :: v_dual_mov_b32 v57, v17
	v_mov_b32_e32 v62, 21
	ds_store_2addr_b64 v58, v[56:57], v[52:53] offset0:22 offset1:23
; %bb.459:
	s_or_b32 exec_lo, exec_lo, s0
	s_delay_alu instid0(SALU_CYCLE_1)
	s_mov_b32 s0, exec_lo
	s_wait_storecnt_dscnt 0x0
	s_barrier_signal -1
	s_barrier_wait -1
	v_cmpx_lt_i32_e32 21, v62
	s_cbranch_execz .LBB46_461
; %bb.460:
	ds_load_2addr_b64 v[64:67], v58 offset0:22 offset1:23
	v_pk_mul_f32 v[56:57], v[54:55], v[20:21] op_sel:[1,1] op_sel_hi:[0,1]
	s_delay_alu instid0(VALU_DEP_1) | instskip(SKIP_3) | instid1(VALU_DEP_3)
	v_pk_fma_f32 v[68:69], v[54:55], v[20:21], v[56:57] op_sel_hi:[1,0,1]
	v_pk_fma_f32 v[20:21], v[54:55], v[20:21], v[56:57] op_sel_hi:[1,0,1] neg_lo:[0,0,1] neg_hi:[0,0,1]
	s_wait_dscnt 0x0
	v_dual_mov_b32 v70, v67 :: v_dual_mov_b32 v71, v66
	v_pk_mul_f32 v[54:55], v[64:65], v[68:69] op_sel:[0,1]
	s_delay_alu instid0(VALU_DEP_2) | instskip(NEXT) | instid1(VALU_DEP_2)
	v_pk_mul_f32 v[56:57], v[70:71], v[68:69] op_sel:[0,1]
	v_pk_fma_f32 v[70:71], v[64:65], v[20:21], v[54:55] op_sel:[0,0,1] op_sel_hi:[1,0,0]
	v_pk_fma_f32 v[54:55], v[64:65], v[20:21], v[54:55] op_sel:[0,0,1] op_sel_hi:[1,1,0] neg_lo:[0,0,1] neg_hi:[0,0,1]
	s_delay_alu instid0(VALU_DEP_3) | instskip(SKIP_1) | instid1(VALU_DEP_4)
	v_pk_fma_f32 v[72:73], v[66:67], v[20:21], v[56:57] op_sel_hi:[1,0,1]
	v_pk_fma_f32 v[56:57], v[66:67], v[20:21], v[56:57] neg_lo:[0,0,1] neg_hi:[0,0,1]
	v_dual_mov_b32 v55, v71 :: v_dual_mov_b32 v21, v69
	s_delay_alu instid0(VALU_DEP_3) | instskip(NEXT) | instid1(VALU_DEP_2)
	v_mov_b32_e32 v57, v73
	v_pk_add_f32 v[16:17], v[16:17], v[54:55] neg_lo:[0,1] neg_hi:[0,1]
	s_delay_alu instid0(VALU_DEP_2)
	v_pk_add_f32 v[52:53], v[52:53], v[56:57] neg_lo:[0,1] neg_hi:[0,1]
.LBB46_461:
	s_or_b32 exec_lo, exec_lo, s0
	v_lshl_add_u32 v54, v62, 3, v58
	s_barrier_signal -1
	s_barrier_wait -1
	ds_store_b64 v54, v[16:17]
	s_wait_dscnt 0x0
	s_barrier_signal -1
	s_barrier_wait -1
	ds_load_b64 v[54:55], v58 offset:176
	v_mov_b32_e32 v56, 22
	s_cmp_lt_i32 s14, 24
	s_cbranch_scc1 .LBB46_464
; %bb.462:
	v_add3_u32 v57, v59, 0, 0xb8
	v_mov_b32_e32 v56, 22
	s_mov_b32 s0, 23
.LBB46_463:                             ; =>This Inner Loop Header: Depth=1
	ds_load_b64 v[64:65], v57
	s_wait_dscnt 0x1
	v_cmp_gt_f32_e32 vcc_lo, 0, v54
	v_cndmask_b32_e64 v66, v54, -v54, vcc_lo
	v_cmp_gt_f32_e32 vcc_lo, 0, v55
	v_cndmask_b32_e64 v68, v55, -v55, vcc_lo
	s_wait_dscnt 0x0
	v_cmp_gt_f32_e32 vcc_lo, 0, v64
	v_cndmask_b32_e64 v67, v64, -v64, vcc_lo
	v_cmp_gt_f32_e32 vcc_lo, 0, v65
	v_cndmask_b32_e64 v69, v65, -v65, vcc_lo
	s_delay_alu instid0(VALU_DEP_1) | instskip(NEXT) | instid1(VALU_DEP_1)
	v_pk_add_f32 v[66:67], v[66:67], v[68:69]
	v_cmp_lt_f32_e32 vcc_lo, v66, v67
	v_dual_cndmask_b32 v54, v54, v64 :: v_dual_add_nc_u32 v57, 8, v57
	v_cndmask_b32_e32 v55, v55, v65, vcc_lo
	v_cndmask_b32_e64 v56, v56, s0, vcc_lo
	s_add_co_i32 s0, s0, 1
	s_delay_alu instid0(SALU_CYCLE_1)
	s_cmp_lg_u32 s14, s0
	s_cbranch_scc1 .LBB46_463
.LBB46_464:
	s_wait_dscnt 0x0
	v_cmp_eq_f32_e32 vcc_lo, 0, v54
	v_cmp_eq_f32_e64 s0, 0, v55
	s_and_b32 s0, vcc_lo, s0
	s_delay_alu instid0(SALU_CYCLE_1) | instskip(NEXT) | instid1(SALU_CYCLE_1)
	s_and_saveexec_b32 s1, s0
	s_xor_b32 s0, exec_lo, s1
; %bb.465:
	v_cmp_ne_u32_e32 vcc_lo, 0, v60
	v_cndmask_b32_e32 v60, 23, v60, vcc_lo
; %bb.466:
	s_and_not1_saveexec_b32 s0, s0
	s_cbranch_execz .LBB46_472
; %bb.467:
	v_cmp_ngt_f32_e64 s1, |v54|, |v55|
	s_and_saveexec_b32 s15, s1
	s_delay_alu instid0(SALU_CYCLE_1)
	s_xor_b32 s1, exec_lo, s15
	s_cbranch_execz .LBB46_469
; %bb.468:
	v_div_scale_f32 v57, null, v55, v55, v54
	v_div_scale_f32 v65, vcc_lo, v54, v55, v54
	s_delay_alu instid0(VALU_DEP_2) | instskip(SKIP_1) | instid1(TRANS32_DEP_1)
	v_rcp_f32_e32 v63, v57
	v_nop
	v_fma_f32 v64, -v57, v63, 1.0
	s_delay_alu instid0(VALU_DEP_1) | instskip(NEXT) | instid1(VALU_DEP_1)
	v_fmac_f32_e32 v63, v64, v63
	v_mul_f32_e32 v64, v65, v63
	s_delay_alu instid0(VALU_DEP_1) | instskip(NEXT) | instid1(VALU_DEP_1)
	v_fma_f32 v66, -v57, v64, v65
	v_fmac_f32_e32 v64, v66, v63
	s_delay_alu instid0(VALU_DEP_1) | instskip(NEXT) | instid1(VALU_DEP_1)
	v_fma_f32 v57, -v57, v64, v65
	v_div_fmas_f32 v57, v57, v63, v64
	s_delay_alu instid0(VALU_DEP_1) | instskip(NEXT) | instid1(VALU_DEP_1)
	v_div_fixup_f32 v57, v57, v55, v54
	v_fmac_f32_e32 v55, v54, v57
	s_delay_alu instid0(VALU_DEP_1) | instskip(SKIP_1) | instid1(VALU_DEP_2)
	v_div_scale_f32 v54, null, v55, v55, 1.0
	v_div_scale_f32 v65, vcc_lo, 1.0, v55, 1.0
	v_rcp_f32_e32 v63, v54
	v_nop
	s_delay_alu instid0(TRANS32_DEP_1) | instskip(NEXT) | instid1(VALU_DEP_1)
	v_fma_f32 v64, -v54, v63, 1.0
	v_fmac_f32_e32 v63, v64, v63
	s_delay_alu instid0(VALU_DEP_1) | instskip(NEXT) | instid1(VALU_DEP_1)
	v_mul_f32_e32 v64, v65, v63
	v_fma_f32 v66, -v54, v64, v65
	s_delay_alu instid0(VALU_DEP_1) | instskip(NEXT) | instid1(VALU_DEP_1)
	v_fmac_f32_e32 v64, v66, v63
	v_fma_f32 v54, -v54, v64, v65
	s_delay_alu instid0(VALU_DEP_1) | instskip(NEXT) | instid1(VALU_DEP_1)
	v_div_fmas_f32 v54, v54, v63, v64
	v_div_fixup_f32 v55, v54, v55, 1.0
	s_delay_alu instid0(VALU_DEP_1)
	v_mul_f32_e32 v54, v57, v55
	v_xor_b32_e32 v55, 0x80000000, v55
.LBB46_469:
	s_and_not1_saveexec_b32 s1, s1
	s_cbranch_execz .LBB46_471
; %bb.470:
	s_delay_alu instid0(VALU_DEP_1) | instskip(SKIP_1) | instid1(VALU_DEP_2)
	v_div_scale_f32 v57, null, v54, v54, v55
	v_div_scale_f32 v65, vcc_lo, v55, v54, v55
	v_rcp_f32_e32 v63, v57
	v_nop
	s_delay_alu instid0(TRANS32_DEP_1) | instskip(NEXT) | instid1(VALU_DEP_1)
	v_fma_f32 v64, -v57, v63, 1.0
	v_fmac_f32_e32 v63, v64, v63
	s_delay_alu instid0(VALU_DEP_1) | instskip(NEXT) | instid1(VALU_DEP_1)
	v_mul_f32_e32 v64, v65, v63
	v_fma_f32 v66, -v57, v64, v65
	s_delay_alu instid0(VALU_DEP_1) | instskip(NEXT) | instid1(VALU_DEP_1)
	v_fmac_f32_e32 v64, v66, v63
	v_fma_f32 v57, -v57, v64, v65
	s_delay_alu instid0(VALU_DEP_1) | instskip(NEXT) | instid1(VALU_DEP_1)
	v_div_fmas_f32 v57, v57, v63, v64
	v_div_fixup_f32 v57, v57, v54, v55
	s_delay_alu instid0(VALU_DEP_1) | instskip(NEXT) | instid1(VALU_DEP_1)
	v_fmac_f32_e32 v54, v55, v57
	v_div_scale_f32 v55, null, v54, v54, 1.0
	s_delay_alu instid0(VALU_DEP_1) | instskip(SKIP_1) | instid1(TRANS32_DEP_1)
	v_rcp_f32_e32 v63, v55
	v_nop
	v_fma_f32 v64, -v55, v63, 1.0
	s_delay_alu instid0(VALU_DEP_1) | instskip(SKIP_1) | instid1(VALU_DEP_1)
	v_fmac_f32_e32 v63, v64, v63
	v_div_scale_f32 v64, vcc_lo, 1.0, v54, 1.0
	v_mul_f32_e32 v65, v64, v63
	s_delay_alu instid0(VALU_DEP_1) | instskip(NEXT) | instid1(VALU_DEP_1)
	v_fma_f32 v66, -v55, v65, v64
	v_fmac_f32_e32 v65, v66, v63
	s_delay_alu instid0(VALU_DEP_1) | instskip(NEXT) | instid1(VALU_DEP_1)
	v_fma_f32 v55, -v55, v65, v64
	v_div_fmas_f32 v55, v55, v63, v65
	s_delay_alu instid0(VALU_DEP_1) | instskip(NEXT) | instid1(VALU_DEP_1)
	v_div_fixup_f32 v54, v55, v54, 1.0
	v_mul_f32_e64 v55, v57, -v54
.LBB46_471:
	s_or_b32 exec_lo, exec_lo, s1
.LBB46_472:
	s_delay_alu instid0(SALU_CYCLE_1) | instskip(NEXT) | instid1(SALU_CYCLE_1)
	s_or_b32 exec_lo, exec_lo, s0
	s_mov_b32 s0, exec_lo
	v_cmpx_ne_u32_e64 v62, v56
	s_xor_b32 s0, exec_lo, s0
	s_cbranch_execz .LBB46_478
; %bb.473:
	s_mov_b32 s1, exec_lo
	v_cmpx_eq_u32_e32 22, v62
	s_cbranch_execz .LBB46_477
; %bb.474:
	v_cmp_ne_u32_e32 vcc_lo, 22, v56
	s_xor_b32 s15, s12, -1
	s_delay_alu instid0(SALU_CYCLE_1) | instskip(NEXT) | instid1(SALU_CYCLE_1)
	s_and_b32 s16, s15, vcc_lo
	s_and_saveexec_b32 s15, s16
	s_cbranch_execz .LBB46_476
; %bb.475:
	v_ashrrev_i32_e32 v57, 31, v56
	s_delay_alu instid0(VALU_DEP_1)
	v_lshl_add_u64 v[62:63], v[56:57], 2, v[30:31]
	s_clause 0x1
	global_load_b32 v57, v[62:63], off
	global_load_b32 v61, v[30:31], off offset:88
	s_wait_loadcnt 0x1
	global_store_b32 v[30:31], v57, off offset:88
	s_wait_loadcnt 0x0
	global_store_b32 v[62:63], v61, off
.LBB46_476:
	s_wait_xcnt 0x0
	s_or_b32 exec_lo, exec_lo, s15
	v_dual_mov_b32 v62, v56 :: v_dual_mov_b32 v61, v56
.LBB46_477:
	s_or_b32 exec_lo, exec_lo, s1
.LBB46_478:
	s_and_not1_saveexec_b32 s0, s0
; %bb.479:
	v_mov_b32_e32 v62, 22
	ds_store_b64 v58, v[52:53] offset:184
; %bb.480:
	s_or_b32 exec_lo, exec_lo, s0
	s_delay_alu instid0(SALU_CYCLE_1)
	s_mov_b32 s0, exec_lo
	s_wait_storecnt_dscnt 0x0
	s_barrier_signal -1
	s_barrier_wait -1
	v_cmpx_lt_i32_e32 22, v62
	s_cbranch_execz .LBB46_482
; %bb.481:
	ds_load_b64 v[56:57], v58 offset:184
	v_pk_mul_f32 v[64:65], v[54:55], v[16:17] op_sel:[1,1] op_sel_hi:[0,1]
	s_delay_alu instid0(VALU_DEP_1) | instskip(SKIP_2) | instid1(VALU_DEP_2)
	v_pk_fma_f32 v[66:67], v[54:55], v[16:17], v[64:65] op_sel_hi:[1,0,1]
	v_pk_fma_f32 v[16:17], v[54:55], v[16:17], v[64:65] op_sel_hi:[1,0,1] neg_lo:[0,0,1] neg_hi:[0,0,1]
	s_wait_dscnt 0x0
	v_pk_mul_f32 v[54:55], v[56:57], v[66:67] op_sel:[1,1] op_sel_hi:[0,1]
	s_delay_alu instid0(VALU_DEP_1) | instskip(SKIP_1) | instid1(VALU_DEP_2)
	v_pk_fma_f32 v[64:65], v[56:57], v[16:17], v[54:55] op_sel_hi:[1,0,1]
	v_pk_fma_f32 v[54:55], v[56:57], v[16:17], v[54:55] neg_lo:[0,0,1] neg_hi:[0,0,1]
	v_dual_mov_b32 v17, v67 :: v_dual_mov_b32 v55, v65
	s_delay_alu instid0(VALU_DEP_1)
	v_pk_add_f32 v[52:53], v[52:53], v[54:55] neg_lo:[0,1] neg_hi:[0,1]
.LBB46_482:
	s_or_b32 exec_lo, exec_lo, s0
	v_lshl_add_u32 v54, v62, 3, v58
	s_barrier_signal -1
	s_barrier_wait -1
	ds_store_b64 v54, v[52:53]
	s_wait_dscnt 0x0
	s_barrier_signal -1
	s_barrier_wait -1
	ds_load_b64 v[54:55], v58 offset:184
	v_mov_b32_e32 v56, 23
	s_cmp_lt_i32 s14, 25
	s_cbranch_scc1 .LBB46_485
; %bb.483:
	v_add3_u32 v57, v59, 0, 0xc0
	v_mov_b32_e32 v56, 23
	s_mov_b32 s0, 24
.LBB46_484:                             ; =>This Inner Loop Header: Depth=1
	ds_load_b64 v[58:59], v57
	s_wait_dscnt 0x1
	v_cmp_gt_f32_e32 vcc_lo, 0, v54
	v_cndmask_b32_e64 v64, v54, -v54, vcc_lo
	v_cmp_gt_f32_e32 vcc_lo, 0, v55
	v_cndmask_b32_e64 v66, v55, -v55, vcc_lo
	s_wait_dscnt 0x0
	v_cmp_gt_f32_e32 vcc_lo, 0, v58
	v_cndmask_b32_e64 v65, v58, -v58, vcc_lo
	v_cmp_gt_f32_e32 vcc_lo, 0, v59
	v_cndmask_b32_e64 v67, v59, -v59, vcc_lo
	s_delay_alu instid0(VALU_DEP_1) | instskip(NEXT) | instid1(VALU_DEP_1)
	v_pk_add_f32 v[64:65], v[64:65], v[66:67]
	v_cmp_lt_f32_e32 vcc_lo, v64, v65
	v_dual_add_nc_u32 v57, 8, v57 :: v_dual_cndmask_b32 v55, v55, v59, vcc_lo
	v_cndmask_b32_e32 v54, v54, v58, vcc_lo
	v_cndmask_b32_e64 v56, v56, s0, vcc_lo
	s_add_co_i32 s0, s0, 1
	s_delay_alu instid0(SALU_CYCLE_1)
	s_cmp_lg_u32 s14, s0
	s_cbranch_scc1 .LBB46_484
.LBB46_485:
	s_wait_dscnt 0x0
	v_cmp_eq_f32_e32 vcc_lo, 0, v54
	v_cmp_eq_f32_e64 s0, 0, v55
	s_and_b32 s0, vcc_lo, s0
	s_delay_alu instid0(SALU_CYCLE_1) | instskip(NEXT) | instid1(SALU_CYCLE_1)
	s_and_saveexec_b32 s1, s0
	s_xor_b32 s0, exec_lo, s1
; %bb.486:
	v_cmp_ne_u32_e32 vcc_lo, 0, v60
	v_cndmask_b32_e32 v60, 24, v60, vcc_lo
; %bb.487:
	s_and_not1_saveexec_b32 s0, s0
	s_cbranch_execz .LBB46_493
; %bb.488:
	v_cmp_ngt_f32_e64 s1, |v54|, |v55|
	s_and_saveexec_b32 s14, s1
	s_delay_alu instid0(SALU_CYCLE_1)
	s_xor_b32 s1, exec_lo, s14
	s_cbranch_execz .LBB46_490
; %bb.489:
	v_div_scale_f32 v57, null, v55, v55, v54
	v_div_scale_f32 v63, vcc_lo, v54, v55, v54
	s_delay_alu instid0(VALU_DEP_2) | instskip(SKIP_1) | instid1(TRANS32_DEP_1)
	v_rcp_f32_e32 v58, v57
	v_nop
	v_fma_f32 v59, -v57, v58, 1.0
	s_delay_alu instid0(VALU_DEP_1) | instskip(NEXT) | instid1(VALU_DEP_1)
	v_fmac_f32_e32 v58, v59, v58
	v_mul_f32_e32 v59, v63, v58
	s_delay_alu instid0(VALU_DEP_1) | instskip(NEXT) | instid1(VALU_DEP_1)
	v_fma_f32 v64, -v57, v59, v63
	v_fmac_f32_e32 v59, v64, v58
	s_delay_alu instid0(VALU_DEP_1) | instskip(NEXT) | instid1(VALU_DEP_1)
	v_fma_f32 v57, -v57, v59, v63
	v_div_fmas_f32 v57, v57, v58, v59
	s_delay_alu instid0(VALU_DEP_1) | instskip(NEXT) | instid1(VALU_DEP_1)
	v_div_fixup_f32 v57, v57, v55, v54
	v_fmac_f32_e32 v55, v54, v57
	s_delay_alu instid0(VALU_DEP_1) | instskip(SKIP_1) | instid1(VALU_DEP_2)
	v_div_scale_f32 v54, null, v55, v55, 1.0
	v_div_scale_f32 v63, vcc_lo, 1.0, v55, 1.0
	v_rcp_f32_e32 v58, v54
	v_nop
	s_delay_alu instid0(TRANS32_DEP_1) | instskip(NEXT) | instid1(VALU_DEP_1)
	v_fma_f32 v59, -v54, v58, 1.0
	v_fmac_f32_e32 v58, v59, v58
	s_delay_alu instid0(VALU_DEP_1) | instskip(NEXT) | instid1(VALU_DEP_1)
	v_mul_f32_e32 v59, v63, v58
	v_fma_f32 v64, -v54, v59, v63
	s_delay_alu instid0(VALU_DEP_1) | instskip(NEXT) | instid1(VALU_DEP_1)
	v_fmac_f32_e32 v59, v64, v58
	v_fma_f32 v54, -v54, v59, v63
	s_delay_alu instid0(VALU_DEP_1) | instskip(NEXT) | instid1(VALU_DEP_1)
	v_div_fmas_f32 v54, v54, v58, v59
	v_div_fixup_f32 v55, v54, v55, 1.0
	s_delay_alu instid0(VALU_DEP_1)
	v_mul_f32_e32 v54, v57, v55
	v_xor_b32_e32 v55, 0x80000000, v55
.LBB46_490:
	s_and_not1_saveexec_b32 s1, s1
	s_cbranch_execz .LBB46_492
; %bb.491:
	s_delay_alu instid0(VALU_DEP_1) | instskip(SKIP_1) | instid1(VALU_DEP_2)
	v_div_scale_f32 v57, null, v54, v54, v55
	v_div_scale_f32 v63, vcc_lo, v55, v54, v55
	v_rcp_f32_e32 v58, v57
	v_nop
	s_delay_alu instid0(TRANS32_DEP_1) | instskip(NEXT) | instid1(VALU_DEP_1)
	v_fma_f32 v59, -v57, v58, 1.0
	v_fmac_f32_e32 v58, v59, v58
	s_delay_alu instid0(VALU_DEP_1) | instskip(NEXT) | instid1(VALU_DEP_1)
	v_mul_f32_e32 v59, v63, v58
	v_fma_f32 v64, -v57, v59, v63
	s_delay_alu instid0(VALU_DEP_1) | instskip(NEXT) | instid1(VALU_DEP_1)
	v_fmac_f32_e32 v59, v64, v58
	v_fma_f32 v57, -v57, v59, v63
	s_delay_alu instid0(VALU_DEP_1) | instskip(NEXT) | instid1(VALU_DEP_1)
	v_div_fmas_f32 v57, v57, v58, v59
	v_div_fixup_f32 v57, v57, v54, v55
	s_delay_alu instid0(VALU_DEP_1) | instskip(NEXT) | instid1(VALU_DEP_1)
	v_fmac_f32_e32 v54, v55, v57
	v_div_scale_f32 v55, null, v54, v54, 1.0
	s_delay_alu instid0(VALU_DEP_1) | instskip(SKIP_1) | instid1(TRANS32_DEP_1)
	v_rcp_f32_e32 v58, v55
	v_nop
	v_fma_f32 v59, -v55, v58, 1.0
	s_delay_alu instid0(VALU_DEP_1) | instskip(SKIP_1) | instid1(VALU_DEP_1)
	v_fmac_f32_e32 v58, v59, v58
	v_div_scale_f32 v59, vcc_lo, 1.0, v54, 1.0
	v_mul_f32_e32 v63, v59, v58
	s_delay_alu instid0(VALU_DEP_1) | instskip(NEXT) | instid1(VALU_DEP_1)
	v_fma_f32 v64, -v55, v63, v59
	v_fmac_f32_e32 v63, v64, v58
	s_delay_alu instid0(VALU_DEP_1) | instskip(NEXT) | instid1(VALU_DEP_1)
	v_fma_f32 v55, -v55, v63, v59
	v_div_fmas_f32 v55, v55, v58, v63
	s_delay_alu instid0(VALU_DEP_1) | instskip(NEXT) | instid1(VALU_DEP_1)
	v_div_fixup_f32 v54, v55, v54, 1.0
	v_mul_f32_e64 v55, v57, -v54
.LBB46_492:
	s_or_b32 exec_lo, exec_lo, s1
.LBB46_493:
	s_delay_alu instid0(SALU_CYCLE_1)
	s_or_b32 exec_lo, exec_lo, s0
	v_mov_b32_e32 v58, 23
	s_mov_b32 s0, exec_lo
	v_cmpx_ne_u32_e64 v62, v56
	s_cbranch_execz .LBB46_499
; %bb.494:
	s_mov_b32 s1, exec_lo
	v_cmpx_eq_u32_e32 23, v62
	s_cbranch_execz .LBB46_498
; %bb.495:
	v_cmp_ne_u32_e32 vcc_lo, 23, v56
	s_xor_b32 s12, s12, -1
	s_delay_alu instid0(SALU_CYCLE_1) | instskip(NEXT) | instid1(SALU_CYCLE_1)
	s_and_b32 s14, s12, vcc_lo
	s_and_saveexec_b32 s12, s14
	s_cbranch_execz .LBB46_497
; %bb.496:
	v_ashrrev_i32_e32 v57, 31, v56
	s_delay_alu instid0(VALU_DEP_1)
	v_lshl_add_u64 v[58:59], v[56:57], 2, v[30:31]
	s_clause 0x1
	global_load_b32 v57, v[58:59], off
	global_load_b32 v61, v[30:31], off offset:92
	s_wait_loadcnt 0x1
	global_store_b32 v[30:31], v57, off offset:92
	s_wait_loadcnt 0x0
	global_store_b32 v[58:59], v61, off
.LBB46_497:
	s_wait_xcnt 0x0
	s_or_b32 exec_lo, exec_lo, s12
	v_dual_mov_b32 v62, v56 :: v_dual_mov_b32 v61, v56
.LBB46_498:
	s_or_b32 exec_lo, exec_lo, s1
	s_delay_alu instid0(VALU_DEP_1)
	v_mov_b32_e32 v58, v62
.LBB46_499:
	s_or_b32 exec_lo, exec_lo, s0
	s_delay_alu instid0(VALU_DEP_1)
	v_ashrrev_i32_e32 v59, 31, v58
	s_mov_b32 s0, exec_lo
	s_wait_storecnt 0x0
	s_barrier_signal -1
	s_barrier_wait -1
	s_barrier_signal -1
	s_barrier_wait -1
	v_cmpx_gt_i32_e32 24, v58
	s_cbranch_execz .LBB46_501
; %bb.500:
	v_mul_u64_e32 v[30:31], s[10:11], v[2:3]
	v_add3_u32 v56, v61, s13, 1
	s_delay_alu instid0(VALU_DEP_2) | instskip(NEXT) | instid1(VALU_DEP_1)
	v_lshl_add_u64 v[30:31], v[30:31], 2, s[6:7]
	v_lshl_add_u64 v[30:31], s[8:9], 2, v[30:31]
	s_delay_alu instid0(VALU_DEP_1)
	v_lshl_add_u64 v[30:31], v[58:59], 2, v[30:31]
	global_store_b32 v[30:31], v56, off
.LBB46_501:
	s_wait_xcnt 0x0
	s_or_b32 exec_lo, exec_lo, s0
	s_delay_alu instid0(SALU_CYCLE_1)
	s_mov_b32 s1, exec_lo
	v_cmpx_eq_u32_e32 0, v58
	s_cbranch_execz .LBB46_504
; %bb.502:
	s_wait_kmcnt 0x0
	v_lshl_add_u64 v[2:3], v[2:3], 2, s[4:5]
	v_cmp_ne_u32_e64 s0, 0, v60
	global_load_b32 v30, v[2:3], off
	s_wait_loadcnt 0x0
	v_cmp_eq_u32_e32 vcc_lo, 0, v30
	s_and_b32 s0, vcc_lo, s0
	s_wait_xcnt 0x0
	s_and_b32 exec_lo, exec_lo, s0
	s_cbranch_execz .LBB46_504
; %bb.503:
	v_add_nc_u32_e32 v30, s13, v60
	global_store_b32 v[2:3], v30, off
.LBB46_504:
	s_wait_xcnt 0x0
	s_or_b32 exec_lo, exec_lo, s1
	v_add3_u32 v2, s2, s2, v58
	v_pk_mul_f32 v[66:67], v[54:55], v[52:53] op_sel:[1,1] op_sel_hi:[0,1]
	v_cmp_lt_i32_e32 vcc_lo, 23, v58
	s_delay_alu instid0(VALU_DEP_3) | instskip(NEXT) | instid1(VALU_DEP_3)
	v_add_nc_u32_e32 v30, s2, v2
	v_pk_fma_f32 v[70:71], v[54:55], v[52:53], v[66:67] neg_lo:[0,0,1] neg_hi:[0,0,1]
	v_pk_fma_f32 v[54:55], v[54:55], v[52:53], v[66:67] op_sel_hi:[1,0,1]
	v_lshl_add_u64 v[66:67], v[58:59], 3, v[0:1]
	v_ashrrev_i32_e32 v3, 31, v2
	v_add_nc_u32_e32 v56, s2, v30
	s_delay_alu instid0(VALU_DEP_3) | instskip(NEXT) | instid1(VALU_DEP_3)
	v_lshl_add_u64 v[58:59], s[2:3], 3, v[66:67]
	v_lshl_add_u64 v[2:3], v[2:3], 3, v[0:1]
	s_delay_alu instid0(VALU_DEP_3)
	v_add_nc_u32_e32 v60, s2, v56
	s_clause 0x2
	global_store_b64 v[66:67], v[50:51], off
	global_store_b64 v[58:59], v[46:47], off
	;; [unrolled: 1-line block ×3, first 2 shown]
	v_dual_add_nc_u32 v62, s2, v60 :: v_dual_ashrrev_i32 v31, 31, v30
	v_ashrrev_i32_e32 v57, 31, v56
	s_delay_alu instid0(VALU_DEP_2) | instskip(SKIP_1) | instid1(VALU_DEP_4)
	v_dual_ashrrev_i32 v61, 31, v60 :: v_dual_ashrrev_i32 v63, 31, v62
	v_add_nc_u32_e32 v64, s2, v62
	v_lshl_add_u64 v[30:31], v[30:31], 3, v[0:1]
	s_wait_xcnt 0x0
	v_lshl_add_u64 v[48:49], v[56:57], 3, v[0:1]
	v_lshl_add_u64 v[50:51], v[60:61], 3, v[0:1]
	;; [unrolled: 1-line block ×3, first 2 shown]
	v_add_nc_u32_e32 v68, s2, v64
	s_clause 0x3
	global_store_b64 v[30:31], v[32:33], off
	global_store_b64 v[48:49], v[14:15], off
	;; [unrolled: 1-line block ×4, first 2 shown]
	v_dual_cndmask_b32 v53, v53, v55 :: v_dual_add_nc_u32 v54, s2, v68
	v_ashrrev_i32_e32 v65, 31, v64
	s_delay_alu instid0(VALU_DEP_2) | instskip(SKIP_2) | instid1(VALU_DEP_3)
	v_dual_ashrrev_i32 v69, 31, v68 :: v_dual_add_nc_u32 v72, s2, v54
	v_cndmask_b32_e32 v52, v52, v70, vcc_lo
	s_wait_xcnt 0x2
	v_lshl_add_u64 v[14:15], v[64:65], 3, v[0:1]
	s_delay_alu instid0(VALU_DEP_3) | instskip(SKIP_1) | instid1(VALU_DEP_1)
	v_lshl_add_u64 v[30:31], v[68:69], 3, v[0:1]
	v_dual_add_nc_u32 v2, s2, v72 :: v_dual_ashrrev_i32 v73, 31, v72
	v_add_nc_u32_e32 v46, s2, v2
	s_delay_alu instid0(VALU_DEP_2) | instskip(NEXT) | instid1(VALU_DEP_2)
	v_lshl_add_u64 v[48:49], v[72:73], 3, v[0:1]
	v_add_nc_u32_e32 v58, s2, v46
	s_wait_xcnt 0x1
	s_delay_alu instid0(VALU_DEP_1) | instskip(SKIP_1) | instid1(VALU_DEP_1)
	v_add_nc_u32_e32 v10, s2, v58
	s_wait_xcnt 0x0
	v_dual_add_nc_u32 v12, s2, v10 :: v_dual_ashrrev_i32 v11, 31, v10
	v_ashrrev_i32_e32 v55, 31, v54
	s_delay_alu instid0(VALU_DEP_2) | instskip(SKIP_1) | instid1(VALU_DEP_3)
	v_dual_ashrrev_i32 v47, 31, v46 :: v_dual_ashrrev_i32 v13, 31, v12
	v_add_nc_u32_e32 v50, s2, v12
	v_lshl_add_u64 v[32:33], v[54:55], 3, v[0:1]
	s_clause 0x3
	global_store_b64 v[14:15], v[4:5], off
	global_store_b64 v[30:31], v[44:45], off
	;; [unrolled: 1-line block ×4, first 2 shown]
	s_wait_xcnt 0x3
	v_add_nc_u32_e32 v4, s2, v50
	v_ashrrev_i32_e32 v3, 31, v2
	v_ashrrev_i32_e32 v59, 31, v58
	s_wait_xcnt 0x2
	v_lshl_add_u64 v[30:31], v[46:47], 3, v[0:1]
	v_lshl_add_u64 v[10:11], v[10:11], 3, v[0:1]
	v_add_nc_u32_e32 v14, s2, v4
	v_lshl_add_u64 v[2:3], v[2:3], 3, v[0:1]
	s_wait_xcnt 0x1
	v_lshl_add_u64 v[32:33], v[58:59], 3, v[0:1]
	s_clause 0x3
	global_store_b64 v[2:3], v[18:19], off
	global_store_b64 v[30:31], v[38:39], off
	;; [unrolled: 1-line block ×4, first 2 shown]
	v_dual_add_nc_u32 v40, s2, v14 :: v_dual_ashrrev_i32 v15, 31, v14
	v_ashrrev_i32_e32 v51, 31, v50
	v_lshl_add_u64 v[12:13], v[12:13], 3, v[0:1]
	s_wait_xcnt 0x3
	s_delay_alu instid0(VALU_DEP_3)
	v_add_nc_u32_e32 v2, s2, v40
	v_ashrrev_i32_e32 v5, 31, v4
	v_ashrrev_i32_e32 v41, 31, v40
	v_lshl_add_u64 v[18:19], v[50:51], 3, v[0:1]
	v_lshl_add_u64 v[14:15], v[14:15], 3, v[0:1]
	s_wait_xcnt 0x0
	v_dual_add_nc_u32 v10, s2, v2 :: v_dual_ashrrev_i32 v3, 31, v2
	v_lshl_add_u64 v[4:5], v[4:5], 3, v[0:1]
	s_clause 0x3
	global_store_b64 v[12:13], v[8:9], off
	global_store_b64 v[18:19], v[28:29], off
	global_store_b64 v[4:5], v[24:25], off
	global_store_b64 v[14:15], v[26:27], off
	v_dual_add_nc_u32 v30, s2, v10 :: v_dual_ashrrev_i32 v11, 31, v10
	s_wait_xcnt 0x3
	v_lshl_add_u64 v[8:9], v[40:41], 3, v[0:1]
	v_lshl_add_u64 v[2:3], v[2:3], 3, v[0:1]
	s_wait_xcnt 0x1
	v_dual_add_nc_u32 v4, s2, v30 :: v_dual_ashrrev_i32 v31, 31, v30
	v_lshl_add_u64 v[10:11], v[10:11], 3, v[0:1]
	s_delay_alu instid0(VALU_DEP_2) | instskip(NEXT) | instid1(VALU_DEP_3)
	v_ashrrev_i32_e32 v5, 31, v4
	v_lshl_add_u64 v[12:13], v[30:31], 3, v[0:1]
	s_delay_alu instid0(VALU_DEP_2)
	v_lshl_add_u64 v[0:1], v[4:5], 3, v[0:1]
	s_clause 0x4
	global_store_b64 v[8:9], v[6:7], off
	global_store_b64 v[2:3], v[22:23], off
	;; [unrolled: 1-line block ×5, first 2 shown]
.LBB46_505:
	s_sendmsg sendmsg(MSG_DEALLOC_VGPRS)
	s_endpgm
	.section	.rodata,"a",@progbits
	.p2align	6, 0x0
	.amdhsa_kernel _ZN9rocsolver6v33100L18getf2_small_kernelILi24E19rocblas_complex_numIfEiiPS3_EEvT1_T3_lS5_lPS5_llPT2_S5_S5_S7_l
		.amdhsa_group_segment_fixed_size 0
		.amdhsa_private_segment_fixed_size 0
		.amdhsa_kernarg_size 352
		.amdhsa_user_sgpr_count 2
		.amdhsa_user_sgpr_dispatch_ptr 0
		.amdhsa_user_sgpr_queue_ptr 0
		.amdhsa_user_sgpr_kernarg_segment_ptr 1
		.amdhsa_user_sgpr_dispatch_id 0
		.amdhsa_user_sgpr_kernarg_preload_length 0
		.amdhsa_user_sgpr_kernarg_preload_offset 0
		.amdhsa_user_sgpr_private_segment_size 0
		.amdhsa_wavefront_size32 1
		.amdhsa_uses_dynamic_stack 0
		.amdhsa_enable_private_segment 0
		.amdhsa_system_sgpr_workgroup_id_x 1
		.amdhsa_system_sgpr_workgroup_id_y 1
		.amdhsa_system_sgpr_workgroup_id_z 0
		.amdhsa_system_sgpr_workgroup_info 0
		.amdhsa_system_vgpr_workitem_id 1
		.amdhsa_next_free_vgpr 80
		.amdhsa_next_free_sgpr 20
		.amdhsa_named_barrier_count 0
		.amdhsa_reserve_vcc 1
		.amdhsa_float_round_mode_32 0
		.amdhsa_float_round_mode_16_64 0
		.amdhsa_float_denorm_mode_32 3
		.amdhsa_float_denorm_mode_16_64 3
		.amdhsa_fp16_overflow 0
		.amdhsa_memory_ordered 1
		.amdhsa_forward_progress 1
		.amdhsa_inst_pref_size 255
		.amdhsa_round_robin_scheduling 0
		.amdhsa_exception_fp_ieee_invalid_op 0
		.amdhsa_exception_fp_denorm_src 0
		.amdhsa_exception_fp_ieee_div_zero 0
		.amdhsa_exception_fp_ieee_overflow 0
		.amdhsa_exception_fp_ieee_underflow 0
		.amdhsa_exception_fp_ieee_inexact 0
		.amdhsa_exception_int_div_zero 0
	.end_amdhsa_kernel
	.section	.text._ZN9rocsolver6v33100L18getf2_small_kernelILi24E19rocblas_complex_numIfEiiPS3_EEvT1_T3_lS5_lPS5_llPT2_S5_S5_S7_l,"axG",@progbits,_ZN9rocsolver6v33100L18getf2_small_kernelILi24E19rocblas_complex_numIfEiiPS3_EEvT1_T3_lS5_lPS5_llPT2_S5_S5_S7_l,comdat
.Lfunc_end46:
	.size	_ZN9rocsolver6v33100L18getf2_small_kernelILi24E19rocblas_complex_numIfEiiPS3_EEvT1_T3_lS5_lPS5_llPT2_S5_S5_S7_l, .Lfunc_end46-_ZN9rocsolver6v33100L18getf2_small_kernelILi24E19rocblas_complex_numIfEiiPS3_EEvT1_T3_lS5_lPS5_llPT2_S5_S5_S7_l
                                        ; -- End function
	.set _ZN9rocsolver6v33100L18getf2_small_kernelILi24E19rocblas_complex_numIfEiiPS3_EEvT1_T3_lS5_lPS5_llPT2_S5_S5_S7_l.num_vgpr, 80
	.set _ZN9rocsolver6v33100L18getf2_small_kernelILi24E19rocblas_complex_numIfEiiPS3_EEvT1_T3_lS5_lPS5_llPT2_S5_S5_S7_l.num_agpr, 0
	.set _ZN9rocsolver6v33100L18getf2_small_kernelILi24E19rocblas_complex_numIfEiiPS3_EEvT1_T3_lS5_lPS5_llPT2_S5_S5_S7_l.numbered_sgpr, 20
	.set _ZN9rocsolver6v33100L18getf2_small_kernelILi24E19rocblas_complex_numIfEiiPS3_EEvT1_T3_lS5_lPS5_llPT2_S5_S5_S7_l.num_named_barrier, 0
	.set _ZN9rocsolver6v33100L18getf2_small_kernelILi24E19rocblas_complex_numIfEiiPS3_EEvT1_T3_lS5_lPS5_llPT2_S5_S5_S7_l.private_seg_size, 0
	.set _ZN9rocsolver6v33100L18getf2_small_kernelILi24E19rocblas_complex_numIfEiiPS3_EEvT1_T3_lS5_lPS5_llPT2_S5_S5_S7_l.uses_vcc, 1
	.set _ZN9rocsolver6v33100L18getf2_small_kernelILi24E19rocblas_complex_numIfEiiPS3_EEvT1_T3_lS5_lPS5_llPT2_S5_S5_S7_l.uses_flat_scratch, 0
	.set _ZN9rocsolver6v33100L18getf2_small_kernelILi24E19rocblas_complex_numIfEiiPS3_EEvT1_T3_lS5_lPS5_llPT2_S5_S5_S7_l.has_dyn_sized_stack, 0
	.set _ZN9rocsolver6v33100L18getf2_small_kernelILi24E19rocblas_complex_numIfEiiPS3_EEvT1_T3_lS5_lPS5_llPT2_S5_S5_S7_l.has_recursion, 0
	.set _ZN9rocsolver6v33100L18getf2_small_kernelILi24E19rocblas_complex_numIfEiiPS3_EEvT1_T3_lS5_lPS5_llPT2_S5_S5_S7_l.has_indirect_call, 0
	.section	.AMDGPU.csdata,"",@progbits
; Kernel info:
; codeLenInByte = 40440
; TotalNumSgprs: 22
; NumVgprs: 80
; ScratchSize: 0
; MemoryBound: 0
; FloatMode: 240
; IeeeMode: 1
; LDSByteSize: 0 bytes/workgroup (compile time only)
; SGPRBlocks: 0
; VGPRBlocks: 4
; NumSGPRsForWavesPerEU: 22
; NumVGPRsForWavesPerEU: 80
; NamedBarCnt: 0
; Occupancy: 12
; WaveLimiterHint : 0
; COMPUTE_PGM_RSRC2:SCRATCH_EN: 0
; COMPUTE_PGM_RSRC2:USER_SGPR: 2
; COMPUTE_PGM_RSRC2:TRAP_HANDLER: 0
; COMPUTE_PGM_RSRC2:TGID_X_EN: 1
; COMPUTE_PGM_RSRC2:TGID_Y_EN: 1
; COMPUTE_PGM_RSRC2:TGID_Z_EN: 0
; COMPUTE_PGM_RSRC2:TIDIG_COMP_CNT: 1
	.section	.text._ZN9rocsolver6v33100L23getf2_npvt_small_kernelILi24E19rocblas_complex_numIfEiiPS3_EEvT1_T3_lS5_lPT2_S5_S5_,"axG",@progbits,_ZN9rocsolver6v33100L23getf2_npvt_small_kernelILi24E19rocblas_complex_numIfEiiPS3_EEvT1_T3_lS5_lPT2_S5_S5_,comdat
	.globl	_ZN9rocsolver6v33100L23getf2_npvt_small_kernelILi24E19rocblas_complex_numIfEiiPS3_EEvT1_T3_lS5_lPT2_S5_S5_ ; -- Begin function _ZN9rocsolver6v33100L23getf2_npvt_small_kernelILi24E19rocblas_complex_numIfEiiPS3_EEvT1_T3_lS5_lPT2_S5_S5_
	.p2align	8
	.type	_ZN9rocsolver6v33100L23getf2_npvt_small_kernelILi24E19rocblas_complex_numIfEiiPS3_EEvT1_T3_lS5_lPT2_S5_S5_,@function
_ZN9rocsolver6v33100L23getf2_npvt_small_kernelILi24E19rocblas_complex_numIfEiiPS3_EEvT1_T3_lS5_lPT2_S5_S5_: ; @_ZN9rocsolver6v33100L23getf2_npvt_small_kernelILi24E19rocblas_complex_numIfEiiPS3_EEvT1_T3_lS5_lPT2_S5_S5_
; %bb.0:
	s_clause 0x1
	s_load_u16 s14, s[0:1], 0x46
	s_load_b64 s[2:3], s[0:1], 0x30
	s_bfe_u32 s4, ttmp6, 0x40010
	s_bfe_u32 s5, ttmp6, 0x40004
	s_add_co_i32 s4, s4, 1
	s_getreg_b32 s6, hwreg(HW_REG_IB_STS2, 6, 4)
	s_mul_i32 s4, ttmp7, s4
	v_bfe_u32 v98, v0, 10, 10
	s_add_co_i32 s5, s5, s4
	s_cmp_eq_u32 s6, 0
	s_cselect_b32 s4, ttmp7, s5
	s_wait_kmcnt 0x0
	v_mad_u32 v2, s4, s14, v98
	s_delay_alu instid0(VALU_DEP_1)
	v_cmp_gt_i32_e32 vcc_lo, s2, v2
	s_and_saveexec_b32 s2, vcc_lo
	s_cbranch_execz .LBB47_219
; %bb.1:
	s_load_b32 s12, s[0:1], 0x18
	v_and_b32_e32 v146, 0x3ff, v0
	s_clause 0x1
	s_load_b128 s[4:7], s[0:1], 0x20
	s_load_b128 s[8:11], s[0:1], 0x8
	v_lshlrev_b32_e32 v99, 3, v98
	s_mulk_i32 s14, 0xc0
	v_mad_u32_u24 v148, 0xc0, v98, 0
	s_wait_xcnt 0x0
	v_cmp_ne_u32_e64 s1, 0, v146
	v_cmp_eq_u32_e64 s0, 0, v146
	v_add3_u32 v147, 0, s14, v99
	v_dual_ashrrev_i32 v3, 31, v2 :: v_dual_mov_b32 v11, 0
	s_wait_kmcnt 0x0
	v_add3_u32 v0, s12, s12, v146
	s_delay_alu instid0(VALU_DEP_2) | instskip(SKIP_2) | instid1(VALU_DEP_3)
	v_mul_u64_e32 v[8:9], s[4:5], v[2:3]
	v_lshlrev_b32_e32 v10, 3, v146
	s_ashr_i32 s13, s12, 31
	v_dual_add_nc_u32 v4, s12, v0 :: v_dual_ashrrev_i32 v1, 31, v0
	s_delay_alu instid0(VALU_DEP_1) | instskip(NEXT) | instid1(VALU_DEP_1)
	v_dual_add_nc_u32 v6, s12, v4 :: v_dual_ashrrev_i32 v5, 31, v4
	v_add_nc_u32_e32 v12, s12, v6
	s_delay_alu instid0(VALU_DEP_1) | instskip(NEXT) | instid1(VALU_DEP_1)
	v_add_nc_u32_e32 v14, s12, v12
	v_add_nc_u32_e32 v18, s12, v14
	s_delay_alu instid0(VALU_DEP_1) | instskip(SKIP_2) | instid1(VALU_DEP_3)
	v_add_nc_u32_e32 v20, s12, v18
	v_ashrrev_i32_e32 v15, 31, v14
	v_lshl_add_u64 v[8:9], v[8:9], 3, s[8:9]
	v_add_nc_u32_e32 v22, s12, v20
	v_ashrrev_i32_e32 v13, 31, v12
	v_ashrrev_i32_e32 v21, 31, v20
	s_delay_alu instid0(VALU_DEP_4) | instskip(NEXT) | instid1(VALU_DEP_4)
	v_lshl_add_u64 v[72:73], s[10:11], 3, v[8:9]
	v_dual_add_nc_u32 v30, s12, v22 :: v_dual_ashrrev_i32 v23, 31, v22
	s_delay_alu instid0(VALU_DEP_2) | instskip(SKIP_1) | instid1(VALU_DEP_3)
	v_add_nc_u64_e32 v[16:17], v[72:73], v[10:11]
	v_lshl_add_u64 v[8:9], v[4:5], 3, v[72:73]
	v_add_nc_u32_e32 v32, s12, v30
	v_ashrrev_i32_e32 v7, 31, v6
	v_lshl_add_u64 v[4:5], v[12:13], 3, v[72:73]
	v_lshl_add_u64 v[0:1], v[0:1], 3, v[72:73]
	s_delay_alu instid0(VALU_DEP_4)
	v_dual_ashrrev_i32 v31, 31, v30 :: v_dual_add_nc_u32 v36, s12, v32
	v_ashrrev_i32_e32 v19, 31, v18
	v_lshl_add_u64 v[10:11], v[6:7], 3, v[72:73]
	v_lshl_add_u64 v[6:7], v[14:15], 3, v[72:73]
	;; [unrolled: 1-line block ×3, first 2 shown]
	v_add_nc_u32_e32 v44, s12, v36
	v_lshl_add_u64 v[12:13], v[18:19], 3, v[72:73]
	v_lshl_add_u64 v[18:19], v[22:23], 3, v[72:73]
	;; [unrolled: 1-line block ×3, first 2 shown]
	s_clause 0x3
	global_load_b64 v[28:29], v[10:11], off
	global_load_b64 v[24:25], v[4:5], off
	;; [unrolled: 1-line block ×4, first 2 shown]
	v_add_nc_u32_e32 v46, s12, v44
	s_clause 0x3
	global_load_b64 v[56:57], v[16:17], off
	global_load_b64 v[58:59], v[34:35], off
	;; [unrolled: 1-line block ×4, first 2 shown]
	v_ashrrev_i32_e32 v33, 31, v32
	v_lshl_add_u64 v[20:21], v[30:31], 3, v[72:73]
	v_dual_add_nc_u32 v52, s12, v46 :: v_dual_ashrrev_i32 v37, 31, v36
	v_ashrrev_i32_e32 v47, 31, v46
	s_delay_alu instid0(VALU_DEP_4) | instskip(NEXT) | instid1(VALU_DEP_3)
	v_lshl_add_u64 v[30:31], v[32:33], 3, v[72:73]
	v_add_nc_u32_e32 v54, s12, v52
	s_delay_alu instid0(VALU_DEP_4)
	v_lshl_add_u64 v[32:33], v[36:37], 3, v[72:73]
	s_clause 0x3
	global_load_b64 v[42:43], v[14:15], off
	global_load_b64 v[38:39], v[18:19], off
	;; [unrolled: 1-line block ×4, first 2 shown]
	v_lshl_add_u64 v[46:47], v[46:47], 3, v[72:73]
	v_add_nc_u32_e32 v60, s12, v54
	s_delay_alu instid0(VALU_DEP_1) | instskip(NEXT) | instid1(VALU_DEP_1)
	v_add_nc_u32_e32 v62, s12, v60
	v_dual_add_nc_u32 v74, s12, v62 :: v_dual_ashrrev_i32 v45, 31, v44
	v_dual_ashrrev_i32 v53, 31, v52 :: v_dual_ashrrev_i32 v55, 31, v54
	v_ashrrev_i32_e32 v63, 31, v62
	s_delay_alu instid0(VALU_DEP_3) | instskip(NEXT) | instid1(VALU_DEP_4)
	v_add_nc_u32_e32 v76, s12, v74
	v_lshl_add_u64 v[44:45], v[44:45], 3, v[72:73]
	s_delay_alu instid0(VALU_DEP_4)
	v_lshl_add_u64 v[52:53], v[52:53], 3, v[72:73]
	v_lshl_add_u64 v[54:55], v[54:55], 3, v[72:73]
	s_clause 0x3
	global_load_b64 v[70:71], v[32:33], off
	global_load_b64 v[66:67], v[44:45], off
	;; [unrolled: 1-line block ×4, first 2 shown]
	v_add_nc_u32_e32 v78, s12, v76
	v_ashrrev_i32_e32 v61, 31, v60
	v_ashrrev_i32_e32 v77, 31, v76
	v_lshl_add_u64 v[62:63], v[62:63], 3, v[72:73]
	v_ashrrev_i32_e32 v75, 31, v74
	v_dual_add_nc_u32 v80, s12, v78 :: v_dual_ashrrev_i32 v79, 31, v78
	v_lshl_add_u64 v[60:61], v[60:61], 3, v[72:73]
	v_lshl_add_u64 v[76:77], v[76:77], 3, v[72:73]
	s_delay_alu instid0(VALU_DEP_4) | instskip(NEXT) | instid1(VALU_DEP_4)
	v_lshl_add_u64 v[74:75], v[74:75], 3, v[72:73]
	v_dual_add_nc_u32 v82, s12, v80 :: v_dual_ashrrev_i32 v81, 31, v80
	v_lshl_add_u64 v[78:79], v[78:79], 3, v[72:73]
	s_delay_alu instid0(VALU_DEP_2) | instskip(NEXT) | instid1(VALU_DEP_3)
	v_ashrrev_i32_e32 v83, 31, v82
	v_lshl_add_u64 v[80:81], v[80:81], 3, v[72:73]
	s_delay_alu instid0(VALU_DEP_2)
	v_lshl_add_u64 v[72:73], v[82:83], 3, v[72:73]
	s_clause 0x7
	global_load_b64 v[88:89], v[54:55], off
	global_load_b64 v[84:85], v[60:61], off
	;; [unrolled: 1-line block ×8, first 2 shown]
	s_wait_xcnt 0x0
	s_and_saveexec_b32 s4, s0
	s_cbranch_execz .LBB47_8
; %bb.2:
	s_wait_loadcnt 0x13
	ds_store_b64 v147, v[56:57]
	s_wait_loadcnt 0x11
	ds_store_2addr_b64 v148, v[58:59], v[50:51] offset0:1 offset1:2
	s_wait_loadcnt 0x10
	ds_store_2addr_b64 v148, v[48:49], v[28:29] offset0:3 offset1:4
	ds_store_2addr_b64 v148, v[24:25], v[26:27] offset0:5 offset1:6
	s_wait_loadcnt 0xf
	ds_store_2addr_b64 v148, v[22:23], v[42:43] offset0:7 offset1:8
	s_wait_loadcnt 0xd
	;; [unrolled: 2-line block ×9, first 2 shown]
	ds_store_b64 v148, v[96:97] offset:184
	ds_load_b64 v[98:99], v147
	s_wait_dscnt 0x0
	v_cmp_neq_f32_e32 vcc_lo, 0, v98
	v_cmp_neq_f32_e64 s2, 0, v99
	s_or_b32 s2, vcc_lo, s2
	s_delay_alu instid0(SALU_CYCLE_1)
	s_and_b32 exec_lo, exec_lo, s2
	s_cbranch_execz .LBB47_8
; %bb.3:
	v_cmp_ngt_f32_e64 s2, |v98|, |v99|
                                        ; implicit-def: $vgpr100_vgpr101
	s_and_saveexec_b32 s5, s2
	s_delay_alu instid0(SALU_CYCLE_1)
	s_xor_b32 s2, exec_lo, s5
	s_cbranch_execz .LBB47_5
; %bb.4:
	v_div_scale_f32 v100, null, v99, v99, v98
	v_div_scale_f32 v103, vcc_lo, v98, v99, v98
	s_delay_alu instid0(VALU_DEP_2) | instskip(SKIP_1) | instid1(TRANS32_DEP_1)
	v_rcp_f32_e32 v101, v100
	v_nop
	v_fma_f32 v102, -v100, v101, 1.0
	s_delay_alu instid0(VALU_DEP_1) | instskip(NEXT) | instid1(VALU_DEP_1)
	v_fmac_f32_e32 v101, v102, v101
	v_mul_f32_e32 v102, v103, v101
	s_delay_alu instid0(VALU_DEP_1) | instskip(NEXT) | instid1(VALU_DEP_1)
	v_fma_f32 v104, -v100, v102, v103
	v_fmac_f32_e32 v102, v104, v101
	s_delay_alu instid0(VALU_DEP_1) | instskip(NEXT) | instid1(VALU_DEP_1)
	v_fma_f32 v100, -v100, v102, v103
	v_div_fmas_f32 v100, v100, v101, v102
	s_delay_alu instid0(VALU_DEP_1) | instskip(NEXT) | instid1(VALU_DEP_1)
	v_div_fixup_f32 v100, v100, v99, v98
	v_fmac_f32_e32 v99, v98, v100
	s_delay_alu instid0(VALU_DEP_1) | instskip(SKIP_1) | instid1(VALU_DEP_2)
	v_div_scale_f32 v98, null, v99, v99, 1.0
	v_div_scale_f32 v103, vcc_lo, 1.0, v99, 1.0
	v_rcp_f32_e32 v101, v98
	v_nop
	s_delay_alu instid0(TRANS32_DEP_1) | instskip(NEXT) | instid1(VALU_DEP_1)
	v_fma_f32 v102, -v98, v101, 1.0
	v_fmac_f32_e32 v101, v102, v101
	s_delay_alu instid0(VALU_DEP_1) | instskip(NEXT) | instid1(VALU_DEP_1)
	v_mul_f32_e32 v102, v103, v101
	v_fma_f32 v104, -v98, v102, v103
	s_delay_alu instid0(VALU_DEP_1) | instskip(NEXT) | instid1(VALU_DEP_1)
	v_fmac_f32_e32 v102, v104, v101
	v_fma_f32 v98, -v98, v102, v103
	s_delay_alu instid0(VALU_DEP_1) | instskip(NEXT) | instid1(VALU_DEP_1)
	v_div_fmas_f32 v98, v98, v101, v102
	v_div_fixup_f32 v98, v98, v99, 1.0
	s_delay_alu instid0(VALU_DEP_1)
	v_mul_f32_e32 v100, v100, v98
	v_xor_b32_e32 v101, 0x80000000, v98
                                        ; implicit-def: $vgpr98_vgpr99
.LBB47_5:
	s_and_not1_saveexec_b32 s2, s2
	s_cbranch_execz .LBB47_7
; %bb.6:
	v_div_scale_f32 v100, null, v98, v98, v99
	v_div_scale_f32 v103, vcc_lo, v99, v98, v99
	s_delay_alu instid0(VALU_DEP_2) | instskip(SKIP_1) | instid1(TRANS32_DEP_1)
	v_rcp_f32_e32 v101, v100
	v_nop
	v_fma_f32 v102, -v100, v101, 1.0
	s_delay_alu instid0(VALU_DEP_1) | instskip(NEXT) | instid1(VALU_DEP_1)
	v_fmac_f32_e32 v101, v102, v101
	v_mul_f32_e32 v102, v103, v101
	s_delay_alu instid0(VALU_DEP_1) | instskip(NEXT) | instid1(VALU_DEP_1)
	v_fma_f32 v104, -v100, v102, v103
	v_fmac_f32_e32 v102, v104, v101
	s_delay_alu instid0(VALU_DEP_1) | instskip(NEXT) | instid1(VALU_DEP_1)
	v_fma_f32 v100, -v100, v102, v103
	v_div_fmas_f32 v100, v100, v101, v102
	s_delay_alu instid0(VALU_DEP_1) | instskip(NEXT) | instid1(VALU_DEP_1)
	v_div_fixup_f32 v101, v100, v98, v99
	v_fmac_f32_e32 v98, v99, v101
	s_delay_alu instid0(VALU_DEP_1) | instskip(NEXT) | instid1(VALU_DEP_1)
	v_div_scale_f32 v99, null, v98, v98, 1.0
	v_rcp_f32_e32 v100, v99
	v_nop
	s_delay_alu instid0(TRANS32_DEP_1) | instskip(NEXT) | instid1(VALU_DEP_1)
	v_fma_f32 v102, -v99, v100, 1.0
	v_fmac_f32_e32 v100, v102, v100
	v_div_scale_f32 v102, vcc_lo, 1.0, v98, 1.0
	s_delay_alu instid0(VALU_DEP_1) | instskip(NEXT) | instid1(VALU_DEP_1)
	v_mul_f32_e32 v103, v102, v100
	v_fma_f32 v104, -v99, v103, v102
	s_delay_alu instid0(VALU_DEP_1) | instskip(NEXT) | instid1(VALU_DEP_1)
	v_fmac_f32_e32 v103, v104, v100
	v_fma_f32 v99, -v99, v103, v102
	s_delay_alu instid0(VALU_DEP_1) | instskip(NEXT) | instid1(VALU_DEP_1)
	v_div_fmas_f32 v99, v99, v100, v103
	v_div_fixup_f32 v100, v99, v98, 1.0
	s_delay_alu instid0(VALU_DEP_1)
	v_mul_f32_e64 v101, v101, -v100
.LBB47_7:
	s_or_b32 exec_lo, exec_lo, s2
	ds_store_b64 v147, v[100:101]
.LBB47_8:
	s_or_b32 exec_lo, exec_lo, s4
	s_wait_loadcnt_dscnt 0x0
	s_barrier_signal -1
	s_barrier_wait -1
	ds_load_b64 v[98:99], v147
	s_and_saveexec_b32 s2, s1
	s_cbranch_execz .LBB47_10
; %bb.9:
	ds_load_2addr_b64 v[104:107], v148 offset0:1 offset1:2
	s_wait_dscnt 0x1
	v_pk_mul_f32 v[102:103], v[98:99], v[56:57] op_sel:[1,1] op_sel_hi:[0,1]
	s_delay_alu instid0(VALU_DEP_1) | instskip(SKIP_1) | instid1(VALU_DEP_1)
	v_pk_fma_f32 v[100:101], v[98:99], v[56:57], v[102:103] op_sel_hi:[1,0,1] neg_lo:[0,0,1] neg_hi:[0,0,1]
	v_pk_fma_f32 v[102:103], v[98:99], v[56:57], v[102:103] op_sel_hi:[1,0,1]
	v_dual_mov_b32 v56, v100 :: v_dual_mov_b32 v57, v103
	s_wait_dscnt 0x0
	s_delay_alu instid0(VALU_DEP_2) | instskip(NEXT) | instid1(VALU_DEP_1)
	v_pk_mul_f32 v[108:109], v[104:105], v[102:103] op_sel:[0,1]
	v_pk_fma_f32 v[110:111], v[104:105], v[100:101], v[108:109] op_sel:[0,0,1] op_sel_hi:[1,1,0] neg_lo:[0,0,1] neg_hi:[0,0,1]
	v_pk_fma_f32 v[104:105], v[104:105], v[100:101], v[108:109] op_sel:[0,0,1] op_sel_hi:[1,0,0]
	s_delay_alu instid0(VALU_DEP_1) | instskip(SKIP_1) | instid1(VALU_DEP_1)
	v_mov_b32_e32 v111, v105
	v_pk_mul_f32 v[104:105], v[106:107], v[102:103] op_sel:[0,1]
	v_pk_fma_f32 v[108:109], v[106:107], v[100:101], v[104:105] op_sel:[0,0,1] op_sel_hi:[1,1,0] neg_lo:[0,0,1] neg_hi:[0,0,1]
	v_pk_fma_f32 v[104:105], v[106:107], v[100:101], v[104:105] op_sel:[0,0,1] op_sel_hi:[1,0,0]
	s_delay_alu instid0(VALU_DEP_1)
	v_mov_b32_e32 v109, v105
	ds_load_2addr_b64 v[104:107], v148 offset0:3 offset1:4
	v_pk_add_f32 v[58:59], v[58:59], v[110:111] neg_lo:[0,1] neg_hi:[0,1]
	v_pk_add_f32 v[50:51], v[50:51], v[108:109] neg_lo:[0,1] neg_hi:[0,1]
	s_wait_dscnt 0x0
	v_pk_mul_f32 v[108:109], v[104:105], v[102:103] op_sel:[0,1]
	s_delay_alu instid0(VALU_DEP_1) | instskip(SKIP_2) | instid1(VALU_DEP_2)
	v_pk_fma_f32 v[110:111], v[104:105], v[100:101], v[108:109] op_sel:[0,0,1] op_sel_hi:[1,1,0] neg_lo:[0,0,1] neg_hi:[0,0,1]
	v_pk_fma_f32 v[104:105], v[104:105], v[100:101], v[108:109] op_sel:[0,0,1] op_sel_hi:[1,0,0]
	v_dual_mul_f32 v108, v107, v103 :: v_dual_mov_b32 v104, v107
	v_dual_mov_b32 v111, v105 :: v_dual_mov_b32 v105, v106
	s_delay_alu instid0(VALU_DEP_2) | instskip(SKIP_1) | instid1(VALU_DEP_3)
	v_pk_fma_f32 v[108:109], v[106:107], v[56:57], v[108:109] op_sel_hi:[1,1,0] neg_lo:[0,0,1] neg_hi:[0,0,1]
	v_mul_f32_e32 v106, v107, v100
	v_pk_add_f32 v[48:49], v[48:49], v[110:111] neg_lo:[0,1] neg_hi:[0,1]
	s_delay_alu instid0(VALU_DEP_2) | instskip(NEXT) | instid1(VALU_DEP_1)
	v_pk_fma_f32 v[104:105], v[104:105], v[56:57], v[106:107] op_sel_hi:[1,1,0]
	v_mov_b32_e32 v109, v105
	ds_load_2addr_b64 v[104:107], v148 offset0:5 offset1:6
	v_pk_add_f32 v[28:29], v[28:29], v[108:109] neg_lo:[0,1] neg_hi:[0,1]
	s_wait_dscnt 0x0
	v_pk_mul_f32 v[108:109], v[104:105], v[102:103] op_sel:[0,1]
	s_delay_alu instid0(VALU_DEP_1) | instskip(SKIP_1) | instid1(VALU_DEP_1)
	v_pk_fma_f32 v[110:111], v[104:105], v[100:101], v[108:109] op_sel:[0,0,1] op_sel_hi:[1,1,0] neg_lo:[0,0,1] neg_hi:[0,0,1]
	v_pk_fma_f32 v[104:105], v[104:105], v[100:101], v[108:109] op_sel:[0,0,1] op_sel_hi:[1,0,0]
	v_mov_b32_e32 v111, v105
	v_pk_mul_f32 v[104:105], v[106:107], v[102:103] op_sel:[0,1]
	s_delay_alu instid0(VALU_DEP_1) | instskip(SKIP_1) | instid1(VALU_DEP_1)
	v_pk_fma_f32 v[108:109], v[106:107], v[100:101], v[104:105] op_sel:[0,0,1] op_sel_hi:[1,1,0] neg_lo:[0,0,1] neg_hi:[0,0,1]
	v_pk_fma_f32 v[104:105], v[106:107], v[100:101], v[104:105] op_sel:[0,0,1] op_sel_hi:[1,0,0]
	v_mov_b32_e32 v109, v105
	ds_load_2addr_b64 v[104:107], v148 offset0:7 offset1:8
	v_pk_add_f32 v[24:25], v[24:25], v[110:111] neg_lo:[0,1] neg_hi:[0,1]
	v_pk_add_f32 v[26:27], v[26:27], v[108:109] neg_lo:[0,1] neg_hi:[0,1]
	s_wait_dscnt 0x0
	v_pk_mul_f32 v[108:109], v[104:105], v[102:103] op_sel:[0,1]
	s_delay_alu instid0(VALU_DEP_1) | instskip(SKIP_1) | instid1(VALU_DEP_1)
	v_pk_fma_f32 v[110:111], v[104:105], v[100:101], v[108:109] op_sel:[0,0,1] op_sel_hi:[1,1,0] neg_lo:[0,0,1] neg_hi:[0,0,1]
	v_pk_fma_f32 v[104:105], v[104:105], v[100:101], v[108:109] op_sel:[0,0,1] op_sel_hi:[1,0,0]
	v_mov_b32_e32 v111, v105
	v_pk_mul_f32 v[104:105], v[106:107], v[102:103] op_sel:[0,1]
	s_delay_alu instid0(VALU_DEP_1) | instskip(SKIP_1) | instid1(VALU_DEP_1)
	v_pk_fma_f32 v[108:109], v[106:107], v[100:101], v[104:105] op_sel:[0,0,1] op_sel_hi:[1,1,0] neg_lo:[0,0,1] neg_hi:[0,0,1]
	v_pk_fma_f32 v[104:105], v[106:107], v[100:101], v[104:105] op_sel:[0,0,1] op_sel_hi:[1,0,0]
	v_mov_b32_e32 v109, v105
	ds_load_2addr_b64 v[104:107], v148 offset0:9 offset1:10
	v_pk_add_f32 v[22:23], v[22:23], v[110:111] neg_lo:[0,1] neg_hi:[0,1]
	v_pk_add_f32 v[42:43], v[42:43], v[108:109] neg_lo:[0,1] neg_hi:[0,1]
	s_wait_dscnt 0x0
	v_dual_mul_f32 v108, v105, v103 :: v_dual_mul_f32 v110, v105, v100
	s_delay_alu instid0(VALU_DEP_1) | instskip(NEXT) | instid1(VALU_DEP_2)
	v_pk_fma_f32 v[108:109], v[104:105], v[56:57], v[108:109] op_sel_hi:[1,1,0] neg_lo:[0,0,1] neg_hi:[0,0,1]
	v_pk_fma_f32 v[104:105], v[104:105], v[56:57], v[110:111] op_sel:[1,0,0] op_sel_hi:[0,1,0]
	s_delay_alu instid0(VALU_DEP_1) | instskip(SKIP_1) | instid1(VALU_DEP_2)
	v_mov_b32_e32 v109, v105
	v_pk_mul_f32 v[104:105], v[106:107], v[102:103] op_sel:[0,1]
	v_pk_add_f32 v[38:39], v[38:39], v[108:109] neg_lo:[0,1] neg_hi:[0,1]
	s_delay_alu instid0(VALU_DEP_2) | instskip(SKIP_1) | instid1(VALU_DEP_1)
	v_pk_fma_f32 v[108:109], v[106:107], v[100:101], v[104:105] op_sel:[0,0,1] op_sel_hi:[1,1,0] neg_lo:[0,0,1] neg_hi:[0,0,1]
	v_pk_fma_f32 v[104:105], v[106:107], v[100:101], v[104:105] op_sel:[0,0,1] op_sel_hi:[1,0,0]
	v_mov_b32_e32 v109, v105
	ds_load_2addr_b64 v[104:107], v148 offset0:11 offset1:12
	v_pk_add_f32 v[40:41], v[40:41], v[108:109] neg_lo:[0,1] neg_hi:[0,1]
	s_wait_dscnt 0x0
	v_pk_mul_f32 v[108:109], v[104:105], v[102:103] op_sel:[0,1]
	s_delay_alu instid0(VALU_DEP_1) | instskip(SKIP_1) | instid1(VALU_DEP_1)
	v_pk_fma_f32 v[110:111], v[104:105], v[100:101], v[108:109] op_sel:[0,0,1] op_sel_hi:[1,1,0] neg_lo:[0,0,1] neg_hi:[0,0,1]
	v_pk_fma_f32 v[104:105], v[104:105], v[100:101], v[108:109] op_sel:[0,0,1] op_sel_hi:[1,0,0]
	v_mov_b32_e32 v111, v105
	v_pk_mul_f32 v[104:105], v[106:107], v[102:103] op_sel:[0,1]
	s_delay_alu instid0(VALU_DEP_2) | instskip(NEXT) | instid1(VALU_DEP_2)
	v_pk_add_f32 v[36:37], v[36:37], v[110:111] neg_lo:[0,1] neg_hi:[0,1]
	v_pk_fma_f32 v[108:109], v[106:107], v[100:101], v[104:105] op_sel:[0,0,1] op_sel_hi:[1,1,0] neg_lo:[0,0,1] neg_hi:[0,0,1]
	v_pk_fma_f32 v[104:105], v[106:107], v[100:101], v[104:105] op_sel:[0,0,1] op_sel_hi:[1,0,0]
	s_delay_alu instid0(VALU_DEP_1) | instskip(SKIP_4) | instid1(VALU_DEP_1)
	v_mov_b32_e32 v109, v105
	ds_load_2addr_b64 v[104:107], v148 offset0:13 offset1:14
	v_pk_add_f32 v[70:71], v[70:71], v[108:109] neg_lo:[0,1] neg_hi:[0,1]
	s_wait_dscnt 0x0
	v_pk_mul_f32 v[108:109], v[104:105], v[102:103] op_sel:[0,1]
	v_pk_fma_f32 v[110:111], v[104:105], v[100:101], v[108:109] op_sel:[0,0,1] op_sel_hi:[1,1,0] neg_lo:[0,0,1] neg_hi:[0,0,1]
	v_pk_fma_f32 v[104:105], v[104:105], v[100:101], v[108:109] op_sel:[0,0,1] op_sel_hi:[1,0,0]
	v_dual_mul_f32 v108, v107, v103 :: v_dual_mov_b32 v104, v107
	s_delay_alu instid0(VALU_DEP_2) | instskip(NEXT) | instid1(VALU_DEP_2)
	v_dual_mov_b32 v111, v105 :: v_dual_mov_b32 v105, v106
	v_pk_fma_f32 v[108:109], v[106:107], v[56:57], v[108:109] op_sel_hi:[1,1,0] neg_lo:[0,0,1] neg_hi:[0,0,1]
	v_mul_f32_e32 v106, v107, v100
	s_delay_alu instid0(VALU_DEP_3) | instskip(NEXT) | instid1(VALU_DEP_2)
	v_pk_add_f32 v[66:67], v[66:67], v[110:111] neg_lo:[0,1] neg_hi:[0,1]
	v_pk_fma_f32 v[104:105], v[104:105], v[56:57], v[106:107] op_sel_hi:[1,1,0]
	s_delay_alu instid0(VALU_DEP_1) | instskip(SKIP_4) | instid1(VALU_DEP_1)
	v_mov_b32_e32 v109, v105
	ds_load_2addr_b64 v[104:107], v148 offset0:15 offset1:16
	v_pk_add_f32 v[68:69], v[68:69], v[108:109] neg_lo:[0,1] neg_hi:[0,1]
	s_wait_dscnt 0x0
	v_pk_mul_f32 v[108:109], v[104:105], v[102:103] op_sel:[0,1]
	v_pk_fma_f32 v[110:111], v[104:105], v[100:101], v[108:109] op_sel:[0,0,1] op_sel_hi:[1,1,0] neg_lo:[0,0,1] neg_hi:[0,0,1]
	v_pk_fma_f32 v[104:105], v[104:105], v[100:101], v[108:109] op_sel:[0,0,1] op_sel_hi:[1,0,0]
	s_delay_alu instid0(VALU_DEP_1) | instskip(SKIP_1) | instid1(VALU_DEP_1)
	v_mov_b32_e32 v111, v105
	v_pk_mul_f32 v[104:105], v[106:107], v[102:103] op_sel:[0,1]
	v_pk_fma_f32 v[108:109], v[106:107], v[100:101], v[104:105] op_sel:[0,0,1] op_sel_hi:[1,1,0] neg_lo:[0,0,1] neg_hi:[0,0,1]
	v_pk_fma_f32 v[104:105], v[106:107], v[100:101], v[104:105] op_sel:[0,0,1] op_sel_hi:[1,0,0]
	s_delay_alu instid0(VALU_DEP_1)
	v_mov_b32_e32 v109, v105
	ds_load_2addr_b64 v[104:107], v148 offset0:17 offset1:18
	v_pk_add_f32 v[64:65], v[64:65], v[110:111] neg_lo:[0,1] neg_hi:[0,1]
	v_pk_add_f32 v[88:89], v[88:89], v[108:109] neg_lo:[0,1] neg_hi:[0,1]
	s_wait_dscnt 0x0
	v_pk_mul_f32 v[108:109], v[104:105], v[102:103] op_sel:[0,1]
	s_delay_alu instid0(VALU_DEP_1) | instskip(SKIP_1) | instid1(VALU_DEP_1)
	v_pk_fma_f32 v[110:111], v[104:105], v[100:101], v[108:109] op_sel:[0,0,1] op_sel_hi:[1,1,0] neg_lo:[0,0,1] neg_hi:[0,0,1]
	v_pk_fma_f32 v[104:105], v[104:105], v[100:101], v[108:109] op_sel:[0,0,1] op_sel_hi:[1,0,0]
	v_mov_b32_e32 v111, v105
	v_pk_mul_f32 v[104:105], v[106:107], v[102:103] op_sel:[0,1]
	s_delay_alu instid0(VALU_DEP_1) | instskip(SKIP_1) | instid1(VALU_DEP_1)
	v_pk_fma_f32 v[108:109], v[106:107], v[100:101], v[104:105] op_sel:[0,0,1] op_sel_hi:[1,1,0] neg_lo:[0,0,1] neg_hi:[0,0,1]
	v_pk_fma_f32 v[104:105], v[106:107], v[100:101], v[104:105] op_sel:[0,0,1] op_sel_hi:[1,0,0]
	v_mov_b32_e32 v109, v105
	ds_load_2addr_b64 v[104:107], v148 offset0:19 offset1:20
	v_pk_add_f32 v[84:85], v[84:85], v[110:111] neg_lo:[0,1] neg_hi:[0,1]
	v_pk_add_f32 v[86:87], v[86:87], v[108:109] neg_lo:[0,1] neg_hi:[0,1]
	s_wait_dscnt 0x0
	v_dual_mul_f32 v108, v105, v103 :: v_dual_mul_f32 v110, v105, v100
	s_delay_alu instid0(VALU_DEP_1) | instskip(NEXT) | instid1(VALU_DEP_2)
	v_pk_fma_f32 v[108:109], v[104:105], v[56:57], v[108:109] op_sel_hi:[1,1,0] neg_lo:[0,0,1] neg_hi:[0,0,1]
	v_pk_fma_f32 v[104:105], v[104:105], v[56:57], v[110:111] op_sel:[1,0,0] op_sel_hi:[0,1,0]
	s_delay_alu instid0(VALU_DEP_1) | instskip(SKIP_1) | instid1(VALU_DEP_2)
	v_mov_b32_e32 v109, v105
	v_pk_mul_f32 v[104:105], v[106:107], v[102:103] op_sel:[0,1]
	v_pk_add_f32 v[82:83], v[82:83], v[108:109] neg_lo:[0,1] neg_hi:[0,1]
	s_delay_alu instid0(VALU_DEP_2) | instskip(SKIP_1) | instid1(VALU_DEP_1)
	v_pk_fma_f32 v[108:109], v[106:107], v[100:101], v[104:105] op_sel:[0,0,1] op_sel_hi:[1,1,0] neg_lo:[0,0,1] neg_hi:[0,0,1]
	v_pk_fma_f32 v[104:105], v[106:107], v[100:101], v[104:105] op_sel:[0,0,1] op_sel_hi:[1,0,0]
	v_mov_b32_e32 v109, v105
	ds_load_2addr_b64 v[104:107], v148 offset0:21 offset1:22
	v_pk_add_f32 v[94:95], v[94:95], v[108:109] neg_lo:[0,1] neg_hi:[0,1]
	s_wait_dscnt 0x0
	v_pk_mul_f32 v[108:109], v[104:105], v[102:103] op_sel:[0,1]
	s_delay_alu instid0(VALU_DEP_1) | instskip(SKIP_1) | instid1(VALU_DEP_1)
	v_pk_fma_f32 v[110:111], v[104:105], v[100:101], v[108:109] op_sel:[0,0,1] op_sel_hi:[1,1,0] neg_lo:[0,0,1] neg_hi:[0,0,1]
	v_pk_fma_f32 v[104:105], v[104:105], v[100:101], v[108:109] op_sel:[0,0,1] op_sel_hi:[1,0,0]
	v_mov_b32_e32 v111, v105
	v_pk_mul_f32 v[104:105], v[106:107], v[102:103] op_sel:[0,1]
	s_delay_alu instid0(VALU_DEP_2) | instskip(NEXT) | instid1(VALU_DEP_2)
	v_pk_add_f32 v[92:93], v[92:93], v[110:111] neg_lo:[0,1] neg_hi:[0,1]
	v_pk_fma_f32 v[108:109], v[106:107], v[100:101], v[104:105] op_sel:[0,0,1] op_sel_hi:[1,1,0] neg_lo:[0,0,1] neg_hi:[0,0,1]
	v_pk_fma_f32 v[104:105], v[106:107], v[100:101], v[104:105] op_sel:[0,0,1] op_sel_hi:[1,0,0]
	s_delay_alu instid0(VALU_DEP_1) | instskip(SKIP_4) | instid1(VALU_DEP_1)
	v_mov_b32_e32 v109, v105
	ds_load_b64 v[104:105], v148 offset:184
	v_pk_add_f32 v[90:91], v[90:91], v[108:109] neg_lo:[0,1] neg_hi:[0,1]
	s_wait_dscnt 0x0
	v_pk_mul_f32 v[102:103], v[104:105], v[102:103] op_sel:[0,1]
	v_pk_fma_f32 v[106:107], v[104:105], v[100:101], v[102:103] op_sel:[0,0,1] op_sel_hi:[1,1,0] neg_lo:[0,0,1] neg_hi:[0,0,1]
	v_pk_fma_f32 v[100:101], v[104:105], v[100:101], v[102:103] op_sel:[0,0,1] op_sel_hi:[1,0,0]
	s_delay_alu instid0(VALU_DEP_1) | instskip(NEXT) | instid1(VALU_DEP_1)
	v_mov_b32_e32 v107, v101
	v_pk_add_f32 v[96:97], v[96:97], v[106:107] neg_lo:[0,1] neg_hi:[0,1]
.LBB47_10:
	s_or_b32 exec_lo, exec_lo, s2
	s_delay_alu instid0(SALU_CYCLE_1)
	s_mov_b32 s2, exec_lo
	s_wait_dscnt 0x0
	s_barrier_signal -1
	s_barrier_wait -1
	v_cmpx_eq_u32_e32 1, v146
	s_cbranch_execz .LBB47_17
; %bb.11:
	v_dual_mov_b32 v100, v50 :: v_dual_mov_b32 v101, v51
	v_dual_mov_b32 v102, v48 :: v_dual_mov_b32 v103, v49
	v_dual_mov_b32 v104, v28 :: v_dual_mov_b32 v105, v29
	v_dual_mov_b32 v106, v24 :: v_dual_mov_b32 v107, v25
	v_dual_mov_b32 v108, v26 :: v_dual_mov_b32 v109, v27
	v_dual_mov_b32 v110, v22 :: v_dual_mov_b32 v111, v23
	v_dual_mov_b32 v112, v42 :: v_dual_mov_b32 v113, v43
	v_dual_mov_b32 v114, v38 :: v_dual_mov_b32 v115, v39
	v_dual_mov_b32 v116, v40 :: v_dual_mov_b32 v117, v41
	v_dual_mov_b32 v118, v36 :: v_dual_mov_b32 v119, v37
	ds_store_b64 v147, v[58:59]
	v_dual_mov_b32 v120, v70 :: v_dual_mov_b32 v121, v71
	v_dual_mov_b32 v122, v66 :: v_dual_mov_b32 v123, v67
	ds_store_2addr_b64 v148, v[100:101], v[102:103] offset0:2 offset1:3
	ds_store_2addr_b64 v148, v[104:105], v[106:107] offset0:4 offset1:5
	;; [unrolled: 1-line block ×6, first 2 shown]
	v_dual_mov_b32 v100, v68 :: v_dual_mov_b32 v101, v69
	v_dual_mov_b32 v102, v64 :: v_dual_mov_b32 v103, v65
	;; [unrolled: 1-line block ×9, first 2 shown]
	ds_store_2addr_b64 v148, v[100:101], v[102:103] offset0:14 offset1:15
	ds_store_2addr_b64 v148, v[104:105], v[106:107] offset0:16 offset1:17
	;; [unrolled: 1-line block ×5, first 2 shown]
	ds_load_b64 v[100:101], v147
	s_wait_dscnt 0x0
	v_cmp_neq_f32_e32 vcc_lo, 0, v100
	v_cmp_neq_f32_e64 s1, 0, v101
	s_or_b32 s1, vcc_lo, s1
	s_delay_alu instid0(SALU_CYCLE_1)
	s_and_b32 exec_lo, exec_lo, s1
	s_cbranch_execz .LBB47_17
; %bb.12:
	v_cmp_ngt_f32_e64 s1, |v100|, |v101|
                                        ; implicit-def: $vgpr102_vgpr103
	s_and_saveexec_b32 s4, s1
	s_delay_alu instid0(SALU_CYCLE_1)
	s_xor_b32 s1, exec_lo, s4
	s_cbranch_execz .LBB47_14
; %bb.13:
	v_div_scale_f32 v102, null, v101, v101, v100
	v_div_scale_f32 v105, vcc_lo, v100, v101, v100
	s_delay_alu instid0(VALU_DEP_2) | instskip(SKIP_1) | instid1(TRANS32_DEP_1)
	v_rcp_f32_e32 v103, v102
	v_nop
	v_fma_f32 v104, -v102, v103, 1.0
	s_delay_alu instid0(VALU_DEP_1) | instskip(NEXT) | instid1(VALU_DEP_1)
	v_fmac_f32_e32 v103, v104, v103
	v_mul_f32_e32 v104, v105, v103
	s_delay_alu instid0(VALU_DEP_1) | instskip(NEXT) | instid1(VALU_DEP_1)
	v_fma_f32 v106, -v102, v104, v105
	v_fmac_f32_e32 v104, v106, v103
	s_delay_alu instid0(VALU_DEP_1) | instskip(NEXT) | instid1(VALU_DEP_1)
	v_fma_f32 v102, -v102, v104, v105
	v_div_fmas_f32 v102, v102, v103, v104
	s_delay_alu instid0(VALU_DEP_1) | instskip(NEXT) | instid1(VALU_DEP_1)
	v_div_fixup_f32 v102, v102, v101, v100
	v_fmac_f32_e32 v101, v100, v102
	s_delay_alu instid0(VALU_DEP_1) | instskip(SKIP_1) | instid1(VALU_DEP_2)
	v_div_scale_f32 v100, null, v101, v101, 1.0
	v_div_scale_f32 v105, vcc_lo, 1.0, v101, 1.0
	v_rcp_f32_e32 v103, v100
	v_nop
	s_delay_alu instid0(TRANS32_DEP_1) | instskip(NEXT) | instid1(VALU_DEP_1)
	v_fma_f32 v104, -v100, v103, 1.0
	v_fmac_f32_e32 v103, v104, v103
	s_delay_alu instid0(VALU_DEP_1) | instskip(NEXT) | instid1(VALU_DEP_1)
	v_mul_f32_e32 v104, v105, v103
	v_fma_f32 v106, -v100, v104, v105
	s_delay_alu instid0(VALU_DEP_1) | instskip(NEXT) | instid1(VALU_DEP_1)
	v_fmac_f32_e32 v104, v106, v103
	v_fma_f32 v100, -v100, v104, v105
	s_delay_alu instid0(VALU_DEP_1) | instskip(NEXT) | instid1(VALU_DEP_1)
	v_div_fmas_f32 v100, v100, v103, v104
	v_div_fixup_f32 v100, v100, v101, 1.0
	s_delay_alu instid0(VALU_DEP_1)
	v_mul_f32_e32 v102, v102, v100
	v_xor_b32_e32 v103, 0x80000000, v100
                                        ; implicit-def: $vgpr100_vgpr101
.LBB47_14:
	s_and_not1_saveexec_b32 s1, s1
	s_cbranch_execz .LBB47_16
; %bb.15:
	v_div_scale_f32 v102, null, v100, v100, v101
	v_div_scale_f32 v105, vcc_lo, v101, v100, v101
	s_delay_alu instid0(VALU_DEP_2) | instskip(SKIP_1) | instid1(TRANS32_DEP_1)
	v_rcp_f32_e32 v103, v102
	v_nop
	v_fma_f32 v104, -v102, v103, 1.0
	s_delay_alu instid0(VALU_DEP_1) | instskip(NEXT) | instid1(VALU_DEP_1)
	v_fmac_f32_e32 v103, v104, v103
	v_mul_f32_e32 v104, v105, v103
	s_delay_alu instid0(VALU_DEP_1) | instskip(NEXT) | instid1(VALU_DEP_1)
	v_fma_f32 v106, -v102, v104, v105
	v_fmac_f32_e32 v104, v106, v103
	s_delay_alu instid0(VALU_DEP_1) | instskip(NEXT) | instid1(VALU_DEP_1)
	v_fma_f32 v102, -v102, v104, v105
	v_div_fmas_f32 v102, v102, v103, v104
	s_delay_alu instid0(VALU_DEP_1) | instskip(NEXT) | instid1(VALU_DEP_1)
	v_div_fixup_f32 v103, v102, v100, v101
	v_fmac_f32_e32 v100, v101, v103
	s_delay_alu instid0(VALU_DEP_1) | instskip(NEXT) | instid1(VALU_DEP_1)
	v_div_scale_f32 v101, null, v100, v100, 1.0
	v_rcp_f32_e32 v102, v101
	v_nop
	s_delay_alu instid0(TRANS32_DEP_1) | instskip(NEXT) | instid1(VALU_DEP_1)
	v_fma_f32 v104, -v101, v102, 1.0
	v_fmac_f32_e32 v102, v104, v102
	v_div_scale_f32 v104, vcc_lo, 1.0, v100, 1.0
	s_delay_alu instid0(VALU_DEP_1) | instskip(NEXT) | instid1(VALU_DEP_1)
	v_mul_f32_e32 v105, v104, v102
	v_fma_f32 v106, -v101, v105, v104
	s_delay_alu instid0(VALU_DEP_1) | instskip(NEXT) | instid1(VALU_DEP_1)
	v_fmac_f32_e32 v105, v106, v102
	v_fma_f32 v101, -v101, v105, v104
	s_delay_alu instid0(VALU_DEP_1) | instskip(NEXT) | instid1(VALU_DEP_1)
	v_div_fmas_f32 v101, v101, v102, v105
	v_div_fixup_f32 v102, v101, v100, 1.0
	s_delay_alu instid0(VALU_DEP_1)
	v_mul_f32_e64 v103, v103, -v102
.LBB47_16:
	s_or_b32 exec_lo, exec_lo, s1
	ds_store_b64 v147, v[102:103]
.LBB47_17:
	s_or_b32 exec_lo, exec_lo, s2
	s_wait_dscnt 0x0
	s_barrier_signal -1
	s_barrier_wait -1
	ds_load_b64 v[100:101], v147
	s_mov_b32 s1, exec_lo
	v_cmpx_lt_u32_e32 1, v146
	s_cbranch_execz .LBB47_19
; %bb.18:
	ds_load_2addr_b64 v[106:109], v148 offset0:2 offset1:3
	s_wait_dscnt 0x1
	v_pk_mul_f32 v[104:105], v[100:101], v[58:59] op_sel:[1,1] op_sel_hi:[0,1]
	s_delay_alu instid0(VALU_DEP_1) | instskip(SKIP_1) | instid1(VALU_DEP_1)
	v_pk_fma_f32 v[102:103], v[100:101], v[58:59], v[104:105] op_sel_hi:[1,0,1] neg_lo:[0,0,1] neg_hi:[0,0,1]
	v_pk_fma_f32 v[104:105], v[100:101], v[58:59], v[104:105] op_sel_hi:[1,0,1]
	v_dual_mov_b32 v58, v102 :: v_dual_mov_b32 v59, v105
	s_wait_dscnt 0x0
	s_delay_alu instid0(VALU_DEP_2) | instskip(NEXT) | instid1(VALU_DEP_1)
	v_pk_mul_f32 v[110:111], v[106:107], v[104:105] op_sel:[0,1]
	v_pk_fma_f32 v[112:113], v[106:107], v[102:103], v[110:111] op_sel:[0,0,1] op_sel_hi:[1,1,0] neg_lo:[0,0,1] neg_hi:[0,0,1]
	v_pk_fma_f32 v[106:107], v[106:107], v[102:103], v[110:111] op_sel:[0,0,1] op_sel_hi:[1,0,0]
	s_delay_alu instid0(VALU_DEP_1) | instskip(SKIP_1) | instid1(VALU_DEP_1)
	v_mov_b32_e32 v113, v107
	v_pk_mul_f32 v[106:107], v[108:109], v[104:105] op_sel:[0,1]
	v_pk_fma_f32 v[110:111], v[108:109], v[102:103], v[106:107] op_sel:[0,0,1] op_sel_hi:[1,1,0] neg_lo:[0,0,1] neg_hi:[0,0,1]
	v_pk_fma_f32 v[106:107], v[108:109], v[102:103], v[106:107] op_sel:[0,0,1] op_sel_hi:[1,0,0]
	s_delay_alu instid0(VALU_DEP_1)
	v_mov_b32_e32 v111, v107
	ds_load_2addr_b64 v[106:109], v148 offset0:4 offset1:5
	v_pk_add_f32 v[50:51], v[50:51], v[112:113] neg_lo:[0,1] neg_hi:[0,1]
	v_pk_add_f32 v[48:49], v[48:49], v[110:111] neg_lo:[0,1] neg_hi:[0,1]
	s_wait_dscnt 0x0
	v_pk_mul_f32 v[110:111], v[106:107], v[104:105] op_sel:[0,1]
	s_delay_alu instid0(VALU_DEP_1) | instskip(SKIP_2) | instid1(VALU_DEP_2)
	v_pk_fma_f32 v[112:113], v[106:107], v[102:103], v[110:111] op_sel:[0,0,1] op_sel_hi:[1,1,0] neg_lo:[0,0,1] neg_hi:[0,0,1]
	v_pk_fma_f32 v[106:107], v[106:107], v[102:103], v[110:111] op_sel:[0,0,1] op_sel_hi:[1,0,0]
	v_dual_mul_f32 v110, v109, v105 :: v_dual_mov_b32 v106, v109
	v_dual_mov_b32 v113, v107 :: v_dual_mov_b32 v107, v108
	s_delay_alu instid0(VALU_DEP_2) | instskip(SKIP_1) | instid1(VALU_DEP_3)
	v_pk_fma_f32 v[110:111], v[108:109], v[58:59], v[110:111] op_sel_hi:[1,1,0] neg_lo:[0,0,1] neg_hi:[0,0,1]
	v_mul_f32_e32 v108, v109, v102
	v_pk_add_f32 v[28:29], v[28:29], v[112:113] neg_lo:[0,1] neg_hi:[0,1]
	s_delay_alu instid0(VALU_DEP_2) | instskip(NEXT) | instid1(VALU_DEP_1)
	v_pk_fma_f32 v[106:107], v[106:107], v[58:59], v[108:109] op_sel_hi:[1,1,0]
	v_mov_b32_e32 v111, v107
	ds_load_2addr_b64 v[106:109], v148 offset0:6 offset1:7
	v_pk_add_f32 v[24:25], v[24:25], v[110:111] neg_lo:[0,1] neg_hi:[0,1]
	s_wait_dscnt 0x0
	v_pk_mul_f32 v[110:111], v[106:107], v[104:105] op_sel:[0,1]
	s_delay_alu instid0(VALU_DEP_1) | instskip(SKIP_1) | instid1(VALU_DEP_1)
	v_pk_fma_f32 v[112:113], v[106:107], v[102:103], v[110:111] op_sel:[0,0,1] op_sel_hi:[1,1,0] neg_lo:[0,0,1] neg_hi:[0,0,1]
	v_pk_fma_f32 v[106:107], v[106:107], v[102:103], v[110:111] op_sel:[0,0,1] op_sel_hi:[1,0,0]
	v_mov_b32_e32 v113, v107
	v_pk_mul_f32 v[106:107], v[108:109], v[104:105] op_sel:[0,1]
	s_delay_alu instid0(VALU_DEP_1) | instskip(SKIP_1) | instid1(VALU_DEP_1)
	v_pk_fma_f32 v[110:111], v[108:109], v[102:103], v[106:107] op_sel:[0,0,1] op_sel_hi:[1,1,0] neg_lo:[0,0,1] neg_hi:[0,0,1]
	v_pk_fma_f32 v[106:107], v[108:109], v[102:103], v[106:107] op_sel:[0,0,1] op_sel_hi:[1,0,0]
	v_mov_b32_e32 v111, v107
	ds_load_2addr_b64 v[106:109], v148 offset0:8 offset1:9
	v_pk_add_f32 v[26:27], v[26:27], v[112:113] neg_lo:[0,1] neg_hi:[0,1]
	v_pk_add_f32 v[22:23], v[22:23], v[110:111] neg_lo:[0,1] neg_hi:[0,1]
	s_wait_dscnt 0x0
	v_pk_mul_f32 v[110:111], v[106:107], v[104:105] op_sel:[0,1]
	s_delay_alu instid0(VALU_DEP_1) | instskip(SKIP_1) | instid1(VALU_DEP_1)
	v_pk_fma_f32 v[112:113], v[106:107], v[102:103], v[110:111] op_sel:[0,0,1] op_sel_hi:[1,1,0] neg_lo:[0,0,1] neg_hi:[0,0,1]
	v_pk_fma_f32 v[106:107], v[106:107], v[102:103], v[110:111] op_sel:[0,0,1] op_sel_hi:[1,0,0]
	v_mov_b32_e32 v113, v107
	v_pk_mul_f32 v[106:107], v[108:109], v[104:105] op_sel:[0,1]
	s_delay_alu instid0(VALU_DEP_1) | instskip(SKIP_1) | instid1(VALU_DEP_1)
	v_pk_fma_f32 v[110:111], v[108:109], v[102:103], v[106:107] op_sel:[0,0,1] op_sel_hi:[1,1,0] neg_lo:[0,0,1] neg_hi:[0,0,1]
	v_pk_fma_f32 v[106:107], v[108:109], v[102:103], v[106:107] op_sel:[0,0,1] op_sel_hi:[1,0,0]
	v_mov_b32_e32 v111, v107
	ds_load_2addr_b64 v[106:109], v148 offset0:10 offset1:11
	v_pk_add_f32 v[42:43], v[42:43], v[112:113] neg_lo:[0,1] neg_hi:[0,1]
	v_pk_add_f32 v[38:39], v[38:39], v[110:111] neg_lo:[0,1] neg_hi:[0,1]
	s_wait_dscnt 0x0
	v_dual_mul_f32 v110, v107, v105 :: v_dual_mul_f32 v112, v107, v102
	s_delay_alu instid0(VALU_DEP_1) | instskip(NEXT) | instid1(VALU_DEP_2)
	v_pk_fma_f32 v[110:111], v[106:107], v[58:59], v[110:111] op_sel_hi:[1,1,0] neg_lo:[0,0,1] neg_hi:[0,0,1]
	v_pk_fma_f32 v[106:107], v[106:107], v[58:59], v[112:113] op_sel:[1,0,0] op_sel_hi:[0,1,0]
	s_delay_alu instid0(VALU_DEP_1) | instskip(SKIP_1) | instid1(VALU_DEP_2)
	v_mov_b32_e32 v111, v107
	v_pk_mul_f32 v[106:107], v[108:109], v[104:105] op_sel:[0,1]
	v_pk_add_f32 v[40:41], v[40:41], v[110:111] neg_lo:[0,1] neg_hi:[0,1]
	s_delay_alu instid0(VALU_DEP_2) | instskip(SKIP_1) | instid1(VALU_DEP_1)
	v_pk_fma_f32 v[110:111], v[108:109], v[102:103], v[106:107] op_sel:[0,0,1] op_sel_hi:[1,1,0] neg_lo:[0,0,1] neg_hi:[0,0,1]
	v_pk_fma_f32 v[106:107], v[108:109], v[102:103], v[106:107] op_sel:[0,0,1] op_sel_hi:[1,0,0]
	v_mov_b32_e32 v111, v107
	ds_load_2addr_b64 v[106:109], v148 offset0:12 offset1:13
	v_pk_add_f32 v[36:37], v[36:37], v[110:111] neg_lo:[0,1] neg_hi:[0,1]
	s_wait_dscnt 0x0
	v_pk_mul_f32 v[110:111], v[106:107], v[104:105] op_sel:[0,1]
	s_delay_alu instid0(VALU_DEP_1) | instskip(SKIP_1) | instid1(VALU_DEP_1)
	v_pk_fma_f32 v[112:113], v[106:107], v[102:103], v[110:111] op_sel:[0,0,1] op_sel_hi:[1,1,0] neg_lo:[0,0,1] neg_hi:[0,0,1]
	v_pk_fma_f32 v[106:107], v[106:107], v[102:103], v[110:111] op_sel:[0,0,1] op_sel_hi:[1,0,0]
	v_mov_b32_e32 v113, v107
	v_pk_mul_f32 v[106:107], v[108:109], v[104:105] op_sel:[0,1]
	s_delay_alu instid0(VALU_DEP_2) | instskip(NEXT) | instid1(VALU_DEP_2)
	v_pk_add_f32 v[70:71], v[70:71], v[112:113] neg_lo:[0,1] neg_hi:[0,1]
	v_pk_fma_f32 v[110:111], v[108:109], v[102:103], v[106:107] op_sel:[0,0,1] op_sel_hi:[1,1,0] neg_lo:[0,0,1] neg_hi:[0,0,1]
	v_pk_fma_f32 v[106:107], v[108:109], v[102:103], v[106:107] op_sel:[0,0,1] op_sel_hi:[1,0,0]
	s_delay_alu instid0(VALU_DEP_1) | instskip(SKIP_4) | instid1(VALU_DEP_1)
	v_mov_b32_e32 v111, v107
	ds_load_2addr_b64 v[106:109], v148 offset0:14 offset1:15
	v_pk_add_f32 v[66:67], v[66:67], v[110:111] neg_lo:[0,1] neg_hi:[0,1]
	s_wait_dscnt 0x0
	v_pk_mul_f32 v[110:111], v[106:107], v[104:105] op_sel:[0,1]
	v_pk_fma_f32 v[112:113], v[106:107], v[102:103], v[110:111] op_sel:[0,0,1] op_sel_hi:[1,1,0] neg_lo:[0,0,1] neg_hi:[0,0,1]
	v_pk_fma_f32 v[106:107], v[106:107], v[102:103], v[110:111] op_sel:[0,0,1] op_sel_hi:[1,0,0]
	v_dual_mul_f32 v110, v109, v105 :: v_dual_mov_b32 v106, v109
	s_delay_alu instid0(VALU_DEP_2) | instskip(NEXT) | instid1(VALU_DEP_2)
	v_dual_mov_b32 v113, v107 :: v_dual_mov_b32 v107, v108
	v_pk_fma_f32 v[110:111], v[108:109], v[58:59], v[110:111] op_sel_hi:[1,1,0] neg_lo:[0,0,1] neg_hi:[0,0,1]
	v_mul_f32_e32 v108, v109, v102
	s_delay_alu instid0(VALU_DEP_3) | instskip(NEXT) | instid1(VALU_DEP_2)
	v_pk_add_f32 v[68:69], v[68:69], v[112:113] neg_lo:[0,1] neg_hi:[0,1]
	v_pk_fma_f32 v[106:107], v[106:107], v[58:59], v[108:109] op_sel_hi:[1,1,0]
	s_delay_alu instid0(VALU_DEP_1) | instskip(SKIP_4) | instid1(VALU_DEP_1)
	v_mov_b32_e32 v111, v107
	ds_load_2addr_b64 v[106:109], v148 offset0:16 offset1:17
	v_pk_add_f32 v[64:65], v[64:65], v[110:111] neg_lo:[0,1] neg_hi:[0,1]
	s_wait_dscnt 0x0
	v_pk_mul_f32 v[110:111], v[106:107], v[104:105] op_sel:[0,1]
	v_pk_fma_f32 v[112:113], v[106:107], v[102:103], v[110:111] op_sel:[0,0,1] op_sel_hi:[1,1,0] neg_lo:[0,0,1] neg_hi:[0,0,1]
	v_pk_fma_f32 v[106:107], v[106:107], v[102:103], v[110:111] op_sel:[0,0,1] op_sel_hi:[1,0,0]
	s_delay_alu instid0(VALU_DEP_1) | instskip(SKIP_1) | instid1(VALU_DEP_1)
	v_mov_b32_e32 v113, v107
	v_pk_mul_f32 v[106:107], v[108:109], v[104:105] op_sel:[0,1]
	v_pk_fma_f32 v[110:111], v[108:109], v[102:103], v[106:107] op_sel:[0,0,1] op_sel_hi:[1,1,0] neg_lo:[0,0,1] neg_hi:[0,0,1]
	v_pk_fma_f32 v[106:107], v[108:109], v[102:103], v[106:107] op_sel:[0,0,1] op_sel_hi:[1,0,0]
	s_delay_alu instid0(VALU_DEP_1)
	v_mov_b32_e32 v111, v107
	ds_load_2addr_b64 v[106:109], v148 offset0:18 offset1:19
	v_pk_add_f32 v[88:89], v[88:89], v[112:113] neg_lo:[0,1] neg_hi:[0,1]
	v_pk_add_f32 v[84:85], v[84:85], v[110:111] neg_lo:[0,1] neg_hi:[0,1]
	s_wait_dscnt 0x0
	v_pk_mul_f32 v[110:111], v[106:107], v[104:105] op_sel:[0,1]
	s_delay_alu instid0(VALU_DEP_1) | instskip(SKIP_1) | instid1(VALU_DEP_1)
	v_pk_fma_f32 v[112:113], v[106:107], v[102:103], v[110:111] op_sel:[0,0,1] op_sel_hi:[1,1,0] neg_lo:[0,0,1] neg_hi:[0,0,1]
	v_pk_fma_f32 v[106:107], v[106:107], v[102:103], v[110:111] op_sel:[0,0,1] op_sel_hi:[1,0,0]
	v_mov_b32_e32 v113, v107
	v_pk_mul_f32 v[106:107], v[108:109], v[104:105] op_sel:[0,1]
	s_delay_alu instid0(VALU_DEP_1) | instskip(SKIP_1) | instid1(VALU_DEP_1)
	v_pk_fma_f32 v[110:111], v[108:109], v[102:103], v[106:107] op_sel:[0,0,1] op_sel_hi:[1,1,0] neg_lo:[0,0,1] neg_hi:[0,0,1]
	v_pk_fma_f32 v[106:107], v[108:109], v[102:103], v[106:107] op_sel:[0,0,1] op_sel_hi:[1,0,0]
	v_mov_b32_e32 v111, v107
	ds_load_2addr_b64 v[106:109], v148 offset0:20 offset1:21
	v_pk_add_f32 v[86:87], v[86:87], v[112:113] neg_lo:[0,1] neg_hi:[0,1]
	v_pk_add_f32 v[82:83], v[82:83], v[110:111] neg_lo:[0,1] neg_hi:[0,1]
	s_wait_dscnt 0x0
	v_dual_mul_f32 v110, v107, v105 :: v_dual_mul_f32 v112, v107, v102
	s_delay_alu instid0(VALU_DEP_1) | instskip(NEXT) | instid1(VALU_DEP_2)
	v_pk_fma_f32 v[110:111], v[106:107], v[58:59], v[110:111] op_sel_hi:[1,1,0] neg_lo:[0,0,1] neg_hi:[0,0,1]
	v_pk_fma_f32 v[106:107], v[106:107], v[58:59], v[112:113] op_sel:[1,0,0] op_sel_hi:[0,1,0]
	s_delay_alu instid0(VALU_DEP_1) | instskip(SKIP_1) | instid1(VALU_DEP_2)
	v_mov_b32_e32 v111, v107
	v_pk_mul_f32 v[106:107], v[108:109], v[104:105] op_sel:[0,1]
	v_pk_add_f32 v[94:95], v[94:95], v[110:111] neg_lo:[0,1] neg_hi:[0,1]
	s_delay_alu instid0(VALU_DEP_2) | instskip(SKIP_1) | instid1(VALU_DEP_1)
	v_pk_fma_f32 v[110:111], v[108:109], v[102:103], v[106:107] op_sel:[0,0,1] op_sel_hi:[1,1,0] neg_lo:[0,0,1] neg_hi:[0,0,1]
	v_pk_fma_f32 v[106:107], v[108:109], v[102:103], v[106:107] op_sel:[0,0,1] op_sel_hi:[1,0,0]
	v_mov_b32_e32 v111, v107
	ds_load_2addr_b64 v[106:109], v148 offset0:22 offset1:23
	v_pk_add_f32 v[92:93], v[92:93], v[110:111] neg_lo:[0,1] neg_hi:[0,1]
	s_wait_dscnt 0x0
	v_pk_mul_f32 v[110:111], v[106:107], v[104:105] op_sel:[0,1]
	v_pk_mul_f32 v[104:105], v[108:109], v[104:105] op_sel:[0,1]
	s_delay_alu instid0(VALU_DEP_2) | instskip(SKIP_1) | instid1(VALU_DEP_1)
	v_pk_fma_f32 v[112:113], v[106:107], v[102:103], v[110:111] op_sel:[0,0,1] op_sel_hi:[1,1,0] neg_lo:[0,0,1] neg_hi:[0,0,1]
	v_pk_fma_f32 v[106:107], v[106:107], v[102:103], v[110:111] op_sel:[0,0,1] op_sel_hi:[1,0,0]
	v_mov_b32_e32 v113, v107
	s_delay_alu instid0(VALU_DEP_4) | instskip(SKIP_1) | instid1(VALU_DEP_3)
	v_pk_fma_f32 v[106:107], v[108:109], v[102:103], v[104:105] op_sel:[0,0,1] op_sel_hi:[1,1,0] neg_lo:[0,0,1] neg_hi:[0,0,1]
	v_pk_fma_f32 v[102:103], v[108:109], v[102:103], v[104:105] op_sel:[0,0,1] op_sel_hi:[1,0,0]
	v_pk_add_f32 v[90:91], v[90:91], v[112:113] neg_lo:[0,1] neg_hi:[0,1]
	s_delay_alu instid0(VALU_DEP_2) | instskip(NEXT) | instid1(VALU_DEP_1)
	v_mov_b32_e32 v107, v103
	v_pk_add_f32 v[96:97], v[96:97], v[106:107] neg_lo:[0,1] neg_hi:[0,1]
.LBB47_19:
	s_or_b32 exec_lo, exec_lo, s1
	s_delay_alu instid0(SALU_CYCLE_1)
	s_mov_b32 s2, exec_lo
	s_wait_dscnt 0x0
	s_barrier_signal -1
	s_barrier_wait -1
	v_cmpx_eq_u32_e32 2, v146
	s_cbranch_execz .LBB47_26
; %bb.20:
	ds_store_b64 v147, v[50:51]
	ds_store_2addr_b64 v148, v[48:49], v[28:29] offset0:3 offset1:4
	ds_store_2addr_b64 v148, v[24:25], v[26:27] offset0:5 offset1:6
	;; [unrolled: 1-line block ×10, first 2 shown]
	ds_store_b64 v148, v[96:97] offset:184
	ds_load_b64 v[102:103], v147
	s_wait_dscnt 0x0
	v_cmp_neq_f32_e32 vcc_lo, 0, v102
	v_cmp_neq_f32_e64 s1, 0, v103
	s_or_b32 s1, vcc_lo, s1
	s_delay_alu instid0(SALU_CYCLE_1)
	s_and_b32 exec_lo, exec_lo, s1
	s_cbranch_execz .LBB47_26
; %bb.21:
	v_cmp_ngt_f32_e64 s1, |v102|, |v103|
                                        ; implicit-def: $vgpr104_vgpr105
	s_and_saveexec_b32 s4, s1
	s_delay_alu instid0(SALU_CYCLE_1)
	s_xor_b32 s1, exec_lo, s4
	s_cbranch_execz .LBB47_23
; %bb.22:
	v_div_scale_f32 v104, null, v103, v103, v102
	v_div_scale_f32 v107, vcc_lo, v102, v103, v102
	s_delay_alu instid0(VALU_DEP_2) | instskip(SKIP_1) | instid1(TRANS32_DEP_1)
	v_rcp_f32_e32 v105, v104
	v_nop
	v_fma_f32 v106, -v104, v105, 1.0
	s_delay_alu instid0(VALU_DEP_1) | instskip(NEXT) | instid1(VALU_DEP_1)
	v_fmac_f32_e32 v105, v106, v105
	v_mul_f32_e32 v106, v107, v105
	s_delay_alu instid0(VALU_DEP_1) | instskip(NEXT) | instid1(VALU_DEP_1)
	v_fma_f32 v108, -v104, v106, v107
	v_fmac_f32_e32 v106, v108, v105
	s_delay_alu instid0(VALU_DEP_1) | instskip(NEXT) | instid1(VALU_DEP_1)
	v_fma_f32 v104, -v104, v106, v107
	v_div_fmas_f32 v104, v104, v105, v106
	s_delay_alu instid0(VALU_DEP_1) | instskip(NEXT) | instid1(VALU_DEP_1)
	v_div_fixup_f32 v104, v104, v103, v102
	v_fmac_f32_e32 v103, v102, v104
	s_delay_alu instid0(VALU_DEP_1) | instskip(SKIP_1) | instid1(VALU_DEP_2)
	v_div_scale_f32 v102, null, v103, v103, 1.0
	v_div_scale_f32 v107, vcc_lo, 1.0, v103, 1.0
	v_rcp_f32_e32 v105, v102
	v_nop
	s_delay_alu instid0(TRANS32_DEP_1) | instskip(NEXT) | instid1(VALU_DEP_1)
	v_fma_f32 v106, -v102, v105, 1.0
	v_fmac_f32_e32 v105, v106, v105
	s_delay_alu instid0(VALU_DEP_1) | instskip(NEXT) | instid1(VALU_DEP_1)
	v_mul_f32_e32 v106, v107, v105
	v_fma_f32 v108, -v102, v106, v107
	s_delay_alu instid0(VALU_DEP_1) | instskip(NEXT) | instid1(VALU_DEP_1)
	v_fmac_f32_e32 v106, v108, v105
	v_fma_f32 v102, -v102, v106, v107
	s_delay_alu instid0(VALU_DEP_1) | instskip(NEXT) | instid1(VALU_DEP_1)
	v_div_fmas_f32 v102, v102, v105, v106
	v_div_fixup_f32 v102, v102, v103, 1.0
	s_delay_alu instid0(VALU_DEP_1)
	v_mul_f32_e32 v104, v104, v102
	v_xor_b32_e32 v105, 0x80000000, v102
                                        ; implicit-def: $vgpr102_vgpr103
.LBB47_23:
	s_and_not1_saveexec_b32 s1, s1
	s_cbranch_execz .LBB47_25
; %bb.24:
	v_div_scale_f32 v104, null, v102, v102, v103
	v_div_scale_f32 v107, vcc_lo, v103, v102, v103
	s_delay_alu instid0(VALU_DEP_2) | instskip(SKIP_1) | instid1(TRANS32_DEP_1)
	v_rcp_f32_e32 v105, v104
	v_nop
	v_fma_f32 v106, -v104, v105, 1.0
	s_delay_alu instid0(VALU_DEP_1) | instskip(NEXT) | instid1(VALU_DEP_1)
	v_fmac_f32_e32 v105, v106, v105
	v_mul_f32_e32 v106, v107, v105
	s_delay_alu instid0(VALU_DEP_1) | instskip(NEXT) | instid1(VALU_DEP_1)
	v_fma_f32 v108, -v104, v106, v107
	v_fmac_f32_e32 v106, v108, v105
	s_delay_alu instid0(VALU_DEP_1) | instskip(NEXT) | instid1(VALU_DEP_1)
	v_fma_f32 v104, -v104, v106, v107
	v_div_fmas_f32 v104, v104, v105, v106
	s_delay_alu instid0(VALU_DEP_1) | instskip(NEXT) | instid1(VALU_DEP_1)
	v_div_fixup_f32 v105, v104, v102, v103
	v_fmac_f32_e32 v102, v103, v105
	s_delay_alu instid0(VALU_DEP_1) | instskip(NEXT) | instid1(VALU_DEP_1)
	v_div_scale_f32 v103, null, v102, v102, 1.0
	v_rcp_f32_e32 v104, v103
	v_nop
	s_delay_alu instid0(TRANS32_DEP_1) | instskip(NEXT) | instid1(VALU_DEP_1)
	v_fma_f32 v106, -v103, v104, 1.0
	v_fmac_f32_e32 v104, v106, v104
	v_div_scale_f32 v106, vcc_lo, 1.0, v102, 1.0
	s_delay_alu instid0(VALU_DEP_1) | instskip(NEXT) | instid1(VALU_DEP_1)
	v_mul_f32_e32 v107, v106, v104
	v_fma_f32 v108, -v103, v107, v106
	s_delay_alu instid0(VALU_DEP_1) | instskip(NEXT) | instid1(VALU_DEP_1)
	v_fmac_f32_e32 v107, v108, v104
	v_fma_f32 v103, -v103, v107, v106
	s_delay_alu instid0(VALU_DEP_1) | instskip(NEXT) | instid1(VALU_DEP_1)
	v_div_fmas_f32 v103, v103, v104, v107
	v_div_fixup_f32 v104, v103, v102, 1.0
	s_delay_alu instid0(VALU_DEP_1)
	v_mul_f32_e64 v105, v105, -v104
.LBB47_25:
	s_or_b32 exec_lo, exec_lo, s1
	ds_store_b64 v147, v[104:105]
.LBB47_26:
	s_or_b32 exec_lo, exec_lo, s2
	s_wait_dscnt 0x0
	s_barrier_signal -1
	s_barrier_wait -1
	ds_load_b64 v[102:103], v147
	s_mov_b32 s1, exec_lo
	v_cmpx_lt_u32_e32 2, v146
	s_cbranch_execz .LBB47_28
; %bb.27:
	ds_load_2addr_b64 v[108:111], v148 offset0:3 offset1:4
	s_wait_dscnt 0x1
	v_pk_mul_f32 v[106:107], v[102:103], v[50:51] op_sel:[1,1] op_sel_hi:[0,1]
	s_delay_alu instid0(VALU_DEP_1) | instskip(SKIP_1) | instid1(VALU_DEP_1)
	v_pk_fma_f32 v[104:105], v[102:103], v[50:51], v[106:107] op_sel_hi:[1,0,1] neg_lo:[0,0,1] neg_hi:[0,0,1]
	v_pk_fma_f32 v[106:107], v[102:103], v[50:51], v[106:107] op_sel_hi:[1,0,1]
	v_dual_mov_b32 v50, v104 :: v_dual_mov_b32 v51, v107
	s_wait_dscnt 0x0
	s_delay_alu instid0(VALU_DEP_2) | instskip(NEXT) | instid1(VALU_DEP_1)
	v_pk_mul_f32 v[112:113], v[108:109], v[106:107] op_sel:[0,1]
	v_pk_fma_f32 v[114:115], v[108:109], v[104:105], v[112:113] op_sel:[0,0,1] op_sel_hi:[1,1,0] neg_lo:[0,0,1] neg_hi:[0,0,1]
	v_pk_fma_f32 v[108:109], v[108:109], v[104:105], v[112:113] op_sel:[0,0,1] op_sel_hi:[1,0,0]
	s_delay_alu instid0(VALU_DEP_1) | instskip(SKIP_1) | instid1(VALU_DEP_1)
	v_mov_b32_e32 v115, v109
	v_pk_mul_f32 v[108:109], v[110:111], v[106:107] op_sel:[0,1]
	v_pk_fma_f32 v[112:113], v[110:111], v[104:105], v[108:109] op_sel:[0,0,1] op_sel_hi:[1,1,0] neg_lo:[0,0,1] neg_hi:[0,0,1]
	v_pk_fma_f32 v[108:109], v[110:111], v[104:105], v[108:109] op_sel:[0,0,1] op_sel_hi:[1,0,0]
	s_delay_alu instid0(VALU_DEP_1)
	v_mov_b32_e32 v113, v109
	ds_load_2addr_b64 v[108:111], v148 offset0:5 offset1:6
	v_pk_add_f32 v[48:49], v[48:49], v[114:115] neg_lo:[0,1] neg_hi:[0,1]
	v_pk_add_f32 v[28:29], v[28:29], v[112:113] neg_lo:[0,1] neg_hi:[0,1]
	s_wait_dscnt 0x0
	v_pk_mul_f32 v[112:113], v[108:109], v[106:107] op_sel:[0,1]
	s_delay_alu instid0(VALU_DEP_1) | instskip(SKIP_2) | instid1(VALU_DEP_2)
	v_pk_fma_f32 v[114:115], v[108:109], v[104:105], v[112:113] op_sel:[0,0,1] op_sel_hi:[1,1,0] neg_lo:[0,0,1] neg_hi:[0,0,1]
	v_pk_fma_f32 v[108:109], v[108:109], v[104:105], v[112:113] op_sel:[0,0,1] op_sel_hi:[1,0,0]
	v_dual_mul_f32 v112, v111, v107 :: v_dual_mov_b32 v108, v111
	v_dual_mov_b32 v115, v109 :: v_dual_mov_b32 v109, v110
	s_delay_alu instid0(VALU_DEP_2) | instskip(SKIP_1) | instid1(VALU_DEP_3)
	v_pk_fma_f32 v[112:113], v[110:111], v[50:51], v[112:113] op_sel_hi:[1,1,0] neg_lo:[0,0,1] neg_hi:[0,0,1]
	v_mul_f32_e32 v110, v111, v104
	v_pk_add_f32 v[24:25], v[24:25], v[114:115] neg_lo:[0,1] neg_hi:[0,1]
	s_delay_alu instid0(VALU_DEP_2) | instskip(NEXT) | instid1(VALU_DEP_1)
	v_pk_fma_f32 v[108:109], v[108:109], v[50:51], v[110:111] op_sel_hi:[1,1,0]
	v_mov_b32_e32 v113, v109
	ds_load_2addr_b64 v[108:111], v148 offset0:7 offset1:8
	v_pk_add_f32 v[26:27], v[26:27], v[112:113] neg_lo:[0,1] neg_hi:[0,1]
	s_wait_dscnt 0x0
	v_pk_mul_f32 v[112:113], v[108:109], v[106:107] op_sel:[0,1]
	s_delay_alu instid0(VALU_DEP_1) | instskip(SKIP_1) | instid1(VALU_DEP_1)
	v_pk_fma_f32 v[114:115], v[108:109], v[104:105], v[112:113] op_sel:[0,0,1] op_sel_hi:[1,1,0] neg_lo:[0,0,1] neg_hi:[0,0,1]
	v_pk_fma_f32 v[108:109], v[108:109], v[104:105], v[112:113] op_sel:[0,0,1] op_sel_hi:[1,0,0]
	v_mov_b32_e32 v115, v109
	v_pk_mul_f32 v[108:109], v[110:111], v[106:107] op_sel:[0,1]
	s_delay_alu instid0(VALU_DEP_1) | instskip(SKIP_1) | instid1(VALU_DEP_1)
	v_pk_fma_f32 v[112:113], v[110:111], v[104:105], v[108:109] op_sel:[0,0,1] op_sel_hi:[1,1,0] neg_lo:[0,0,1] neg_hi:[0,0,1]
	v_pk_fma_f32 v[108:109], v[110:111], v[104:105], v[108:109] op_sel:[0,0,1] op_sel_hi:[1,0,0]
	v_mov_b32_e32 v113, v109
	ds_load_2addr_b64 v[108:111], v148 offset0:9 offset1:10
	v_pk_add_f32 v[22:23], v[22:23], v[114:115] neg_lo:[0,1] neg_hi:[0,1]
	v_pk_add_f32 v[42:43], v[42:43], v[112:113] neg_lo:[0,1] neg_hi:[0,1]
	s_wait_dscnt 0x0
	v_pk_mul_f32 v[112:113], v[108:109], v[106:107] op_sel:[0,1]
	s_delay_alu instid0(VALU_DEP_1) | instskip(SKIP_1) | instid1(VALU_DEP_1)
	v_pk_fma_f32 v[114:115], v[108:109], v[104:105], v[112:113] op_sel:[0,0,1] op_sel_hi:[1,1,0] neg_lo:[0,0,1] neg_hi:[0,0,1]
	v_pk_fma_f32 v[108:109], v[108:109], v[104:105], v[112:113] op_sel:[0,0,1] op_sel_hi:[1,0,0]
	v_mov_b32_e32 v115, v109
	v_pk_mul_f32 v[108:109], v[110:111], v[106:107] op_sel:[0,1]
	s_delay_alu instid0(VALU_DEP_1) | instskip(SKIP_1) | instid1(VALU_DEP_1)
	v_pk_fma_f32 v[112:113], v[110:111], v[104:105], v[108:109] op_sel:[0,0,1] op_sel_hi:[1,1,0] neg_lo:[0,0,1] neg_hi:[0,0,1]
	v_pk_fma_f32 v[108:109], v[110:111], v[104:105], v[108:109] op_sel:[0,0,1] op_sel_hi:[1,0,0]
	v_mov_b32_e32 v113, v109
	ds_load_2addr_b64 v[108:111], v148 offset0:11 offset1:12
	v_pk_add_f32 v[38:39], v[38:39], v[114:115] neg_lo:[0,1] neg_hi:[0,1]
	v_pk_add_f32 v[40:41], v[40:41], v[112:113] neg_lo:[0,1] neg_hi:[0,1]
	s_wait_dscnt 0x0
	v_dual_mul_f32 v112, v109, v107 :: v_dual_mul_f32 v114, v109, v104
	s_delay_alu instid0(VALU_DEP_1) | instskip(NEXT) | instid1(VALU_DEP_2)
	v_pk_fma_f32 v[112:113], v[108:109], v[50:51], v[112:113] op_sel_hi:[1,1,0] neg_lo:[0,0,1] neg_hi:[0,0,1]
	v_pk_fma_f32 v[108:109], v[108:109], v[50:51], v[114:115] op_sel:[1,0,0] op_sel_hi:[0,1,0]
	s_delay_alu instid0(VALU_DEP_1) | instskip(SKIP_1) | instid1(VALU_DEP_2)
	v_mov_b32_e32 v113, v109
	v_pk_mul_f32 v[108:109], v[110:111], v[106:107] op_sel:[0,1]
	v_pk_add_f32 v[36:37], v[36:37], v[112:113] neg_lo:[0,1] neg_hi:[0,1]
	s_delay_alu instid0(VALU_DEP_2) | instskip(SKIP_1) | instid1(VALU_DEP_1)
	v_pk_fma_f32 v[112:113], v[110:111], v[104:105], v[108:109] op_sel:[0,0,1] op_sel_hi:[1,1,0] neg_lo:[0,0,1] neg_hi:[0,0,1]
	v_pk_fma_f32 v[108:109], v[110:111], v[104:105], v[108:109] op_sel:[0,0,1] op_sel_hi:[1,0,0]
	v_mov_b32_e32 v113, v109
	ds_load_2addr_b64 v[108:111], v148 offset0:13 offset1:14
	v_pk_add_f32 v[70:71], v[70:71], v[112:113] neg_lo:[0,1] neg_hi:[0,1]
	s_wait_dscnt 0x0
	v_pk_mul_f32 v[112:113], v[108:109], v[106:107] op_sel:[0,1]
	s_delay_alu instid0(VALU_DEP_1) | instskip(SKIP_1) | instid1(VALU_DEP_1)
	v_pk_fma_f32 v[114:115], v[108:109], v[104:105], v[112:113] op_sel:[0,0,1] op_sel_hi:[1,1,0] neg_lo:[0,0,1] neg_hi:[0,0,1]
	v_pk_fma_f32 v[108:109], v[108:109], v[104:105], v[112:113] op_sel:[0,0,1] op_sel_hi:[1,0,0]
	v_mov_b32_e32 v115, v109
	v_pk_mul_f32 v[108:109], v[110:111], v[106:107] op_sel:[0,1]
	s_delay_alu instid0(VALU_DEP_2) | instskip(NEXT) | instid1(VALU_DEP_2)
	v_pk_add_f32 v[66:67], v[66:67], v[114:115] neg_lo:[0,1] neg_hi:[0,1]
	v_pk_fma_f32 v[112:113], v[110:111], v[104:105], v[108:109] op_sel:[0,0,1] op_sel_hi:[1,1,0] neg_lo:[0,0,1] neg_hi:[0,0,1]
	v_pk_fma_f32 v[108:109], v[110:111], v[104:105], v[108:109] op_sel:[0,0,1] op_sel_hi:[1,0,0]
	s_delay_alu instid0(VALU_DEP_1) | instskip(SKIP_4) | instid1(VALU_DEP_1)
	v_mov_b32_e32 v113, v109
	ds_load_2addr_b64 v[108:111], v148 offset0:15 offset1:16
	v_pk_add_f32 v[68:69], v[68:69], v[112:113] neg_lo:[0,1] neg_hi:[0,1]
	s_wait_dscnt 0x0
	v_pk_mul_f32 v[112:113], v[108:109], v[106:107] op_sel:[0,1]
	v_pk_fma_f32 v[114:115], v[108:109], v[104:105], v[112:113] op_sel:[0,0,1] op_sel_hi:[1,1,0] neg_lo:[0,0,1] neg_hi:[0,0,1]
	v_pk_fma_f32 v[108:109], v[108:109], v[104:105], v[112:113] op_sel:[0,0,1] op_sel_hi:[1,0,0]
	v_dual_mul_f32 v112, v111, v107 :: v_dual_mov_b32 v108, v111
	s_delay_alu instid0(VALU_DEP_2) | instskip(NEXT) | instid1(VALU_DEP_2)
	v_dual_mov_b32 v115, v109 :: v_dual_mov_b32 v109, v110
	v_pk_fma_f32 v[112:113], v[110:111], v[50:51], v[112:113] op_sel_hi:[1,1,0] neg_lo:[0,0,1] neg_hi:[0,0,1]
	v_mul_f32_e32 v110, v111, v104
	s_delay_alu instid0(VALU_DEP_3) | instskip(NEXT) | instid1(VALU_DEP_2)
	v_pk_add_f32 v[64:65], v[64:65], v[114:115] neg_lo:[0,1] neg_hi:[0,1]
	v_pk_fma_f32 v[108:109], v[108:109], v[50:51], v[110:111] op_sel_hi:[1,1,0]
	s_delay_alu instid0(VALU_DEP_1) | instskip(SKIP_4) | instid1(VALU_DEP_1)
	v_mov_b32_e32 v113, v109
	ds_load_2addr_b64 v[108:111], v148 offset0:17 offset1:18
	v_pk_add_f32 v[88:89], v[88:89], v[112:113] neg_lo:[0,1] neg_hi:[0,1]
	s_wait_dscnt 0x0
	v_pk_mul_f32 v[112:113], v[108:109], v[106:107] op_sel:[0,1]
	v_pk_fma_f32 v[114:115], v[108:109], v[104:105], v[112:113] op_sel:[0,0,1] op_sel_hi:[1,1,0] neg_lo:[0,0,1] neg_hi:[0,0,1]
	v_pk_fma_f32 v[108:109], v[108:109], v[104:105], v[112:113] op_sel:[0,0,1] op_sel_hi:[1,0,0]
	s_delay_alu instid0(VALU_DEP_1) | instskip(SKIP_1) | instid1(VALU_DEP_1)
	v_mov_b32_e32 v115, v109
	v_pk_mul_f32 v[108:109], v[110:111], v[106:107] op_sel:[0,1]
	v_pk_fma_f32 v[112:113], v[110:111], v[104:105], v[108:109] op_sel:[0,0,1] op_sel_hi:[1,1,0] neg_lo:[0,0,1] neg_hi:[0,0,1]
	v_pk_fma_f32 v[108:109], v[110:111], v[104:105], v[108:109] op_sel:[0,0,1] op_sel_hi:[1,0,0]
	s_delay_alu instid0(VALU_DEP_1)
	v_mov_b32_e32 v113, v109
	ds_load_2addr_b64 v[108:111], v148 offset0:19 offset1:20
	v_pk_add_f32 v[84:85], v[84:85], v[114:115] neg_lo:[0,1] neg_hi:[0,1]
	v_pk_add_f32 v[86:87], v[86:87], v[112:113] neg_lo:[0,1] neg_hi:[0,1]
	s_wait_dscnt 0x0
	v_pk_mul_f32 v[112:113], v[108:109], v[106:107] op_sel:[0,1]
	s_delay_alu instid0(VALU_DEP_1) | instskip(SKIP_1) | instid1(VALU_DEP_1)
	v_pk_fma_f32 v[114:115], v[108:109], v[104:105], v[112:113] op_sel:[0,0,1] op_sel_hi:[1,1,0] neg_lo:[0,0,1] neg_hi:[0,0,1]
	v_pk_fma_f32 v[108:109], v[108:109], v[104:105], v[112:113] op_sel:[0,0,1] op_sel_hi:[1,0,0]
	v_mov_b32_e32 v115, v109
	v_pk_mul_f32 v[108:109], v[110:111], v[106:107] op_sel:[0,1]
	s_delay_alu instid0(VALU_DEP_1) | instskip(SKIP_1) | instid1(VALU_DEP_1)
	v_pk_fma_f32 v[112:113], v[110:111], v[104:105], v[108:109] op_sel:[0,0,1] op_sel_hi:[1,1,0] neg_lo:[0,0,1] neg_hi:[0,0,1]
	v_pk_fma_f32 v[108:109], v[110:111], v[104:105], v[108:109] op_sel:[0,0,1] op_sel_hi:[1,0,0]
	v_mov_b32_e32 v113, v109
	ds_load_2addr_b64 v[108:111], v148 offset0:21 offset1:22
	v_pk_add_f32 v[82:83], v[82:83], v[114:115] neg_lo:[0,1] neg_hi:[0,1]
	v_pk_add_f32 v[94:95], v[94:95], v[112:113] neg_lo:[0,1] neg_hi:[0,1]
	s_wait_dscnt 0x0
	v_dual_mul_f32 v112, v109, v107 :: v_dual_mul_f32 v114, v109, v104
	s_delay_alu instid0(VALU_DEP_1) | instskip(NEXT) | instid1(VALU_DEP_2)
	v_pk_fma_f32 v[112:113], v[108:109], v[50:51], v[112:113] op_sel_hi:[1,1,0] neg_lo:[0,0,1] neg_hi:[0,0,1]
	v_pk_fma_f32 v[108:109], v[108:109], v[50:51], v[114:115] op_sel:[1,0,0] op_sel_hi:[0,1,0]
	s_delay_alu instid0(VALU_DEP_1) | instskip(SKIP_1) | instid1(VALU_DEP_2)
	v_mov_b32_e32 v113, v109
	v_pk_mul_f32 v[108:109], v[110:111], v[106:107] op_sel:[0,1]
	v_pk_add_f32 v[92:93], v[92:93], v[112:113] neg_lo:[0,1] neg_hi:[0,1]
	s_delay_alu instid0(VALU_DEP_2) | instskip(SKIP_1) | instid1(VALU_DEP_1)
	v_pk_fma_f32 v[112:113], v[110:111], v[104:105], v[108:109] op_sel:[0,0,1] op_sel_hi:[1,1,0] neg_lo:[0,0,1] neg_hi:[0,0,1]
	v_pk_fma_f32 v[108:109], v[110:111], v[104:105], v[108:109] op_sel:[0,0,1] op_sel_hi:[1,0,0]
	v_mov_b32_e32 v113, v109
	ds_load_b64 v[108:109], v148 offset:184
	v_pk_add_f32 v[90:91], v[90:91], v[112:113] neg_lo:[0,1] neg_hi:[0,1]
	s_wait_dscnt 0x0
	v_pk_mul_f32 v[106:107], v[108:109], v[106:107] op_sel:[0,1]
	s_delay_alu instid0(VALU_DEP_1) | instskip(SKIP_1) | instid1(VALU_DEP_1)
	v_pk_fma_f32 v[110:111], v[108:109], v[104:105], v[106:107] op_sel:[0,0,1] op_sel_hi:[1,1,0] neg_lo:[0,0,1] neg_hi:[0,0,1]
	v_pk_fma_f32 v[104:105], v[108:109], v[104:105], v[106:107] op_sel:[0,0,1] op_sel_hi:[1,0,0]
	v_mov_b32_e32 v111, v105
	s_delay_alu instid0(VALU_DEP_1)
	v_pk_add_f32 v[96:97], v[96:97], v[110:111] neg_lo:[0,1] neg_hi:[0,1]
.LBB47_28:
	s_or_b32 exec_lo, exec_lo, s1
	s_delay_alu instid0(SALU_CYCLE_1)
	s_mov_b32 s2, exec_lo
	s_wait_dscnt 0x0
	s_barrier_signal -1
	s_barrier_wait -1
	v_cmpx_eq_u32_e32 3, v146
	s_cbranch_execz .LBB47_35
; %bb.29:
	v_dual_mov_b32 v104, v28 :: v_dual_mov_b32 v105, v29
	v_dual_mov_b32 v106, v24 :: v_dual_mov_b32 v107, v25
	ds_store_b64 v147, v[48:49]
	ds_store_2addr_b64 v148, v[104:105], v[106:107] offset0:4 offset1:5
	v_dual_mov_b32 v104, v26 :: v_dual_mov_b32 v105, v27
	v_dual_mov_b32 v106, v22 :: v_dual_mov_b32 v107, v23
	ds_store_2addr_b64 v148, v[104:105], v[106:107] offset0:6 offset1:7
	v_dual_mov_b32 v104, v42 :: v_dual_mov_b32 v105, v43
	v_dual_mov_b32 v106, v38 :: v_dual_mov_b32 v107, v39
	ds_store_2addr_b64 v148, v[104:105], v[106:107] offset0:8 offset1:9
	v_dual_mov_b32 v104, v40 :: v_dual_mov_b32 v105, v41
	v_dual_mov_b32 v106, v36 :: v_dual_mov_b32 v107, v37
	ds_store_2addr_b64 v148, v[104:105], v[106:107] offset0:10 offset1:11
	v_dual_mov_b32 v104, v70 :: v_dual_mov_b32 v105, v71
	v_dual_mov_b32 v106, v66 :: v_dual_mov_b32 v107, v67
	ds_store_2addr_b64 v148, v[104:105], v[106:107] offset0:12 offset1:13
	v_dual_mov_b32 v104, v68 :: v_dual_mov_b32 v105, v69
	v_dual_mov_b32 v106, v64 :: v_dual_mov_b32 v107, v65
	ds_store_2addr_b64 v148, v[104:105], v[106:107] offset0:14 offset1:15
	v_dual_mov_b32 v104, v88 :: v_dual_mov_b32 v105, v89
	v_dual_mov_b32 v106, v84 :: v_dual_mov_b32 v107, v85
	ds_store_2addr_b64 v148, v[104:105], v[106:107] offset0:16 offset1:17
	v_dual_mov_b32 v104, v86 :: v_dual_mov_b32 v105, v87
	v_dual_mov_b32 v106, v82 :: v_dual_mov_b32 v107, v83
	ds_store_2addr_b64 v148, v[104:105], v[106:107] offset0:18 offset1:19
	v_dual_mov_b32 v104, v94 :: v_dual_mov_b32 v105, v95
	v_dual_mov_b32 v106, v92 :: v_dual_mov_b32 v107, v93
	ds_store_2addr_b64 v148, v[104:105], v[106:107] offset0:20 offset1:21
	v_dual_mov_b32 v104, v90 :: v_dual_mov_b32 v105, v91
	ds_store_2addr_b64 v148, v[104:105], v[96:97] offset0:22 offset1:23
	ds_load_b64 v[104:105], v147
	s_wait_dscnt 0x0
	v_cmp_neq_f32_e32 vcc_lo, 0, v104
	v_cmp_neq_f32_e64 s1, 0, v105
	s_or_b32 s1, vcc_lo, s1
	s_delay_alu instid0(SALU_CYCLE_1)
	s_and_b32 exec_lo, exec_lo, s1
	s_cbranch_execz .LBB47_35
; %bb.30:
	v_cmp_ngt_f32_e64 s1, |v104|, |v105|
                                        ; implicit-def: $vgpr106_vgpr107
	s_and_saveexec_b32 s4, s1
	s_delay_alu instid0(SALU_CYCLE_1)
	s_xor_b32 s1, exec_lo, s4
	s_cbranch_execz .LBB47_32
; %bb.31:
	v_div_scale_f32 v106, null, v105, v105, v104
	v_div_scale_f32 v109, vcc_lo, v104, v105, v104
	s_delay_alu instid0(VALU_DEP_2) | instskip(SKIP_1) | instid1(TRANS32_DEP_1)
	v_rcp_f32_e32 v107, v106
	v_nop
	v_fma_f32 v108, -v106, v107, 1.0
	s_delay_alu instid0(VALU_DEP_1) | instskip(NEXT) | instid1(VALU_DEP_1)
	v_fmac_f32_e32 v107, v108, v107
	v_mul_f32_e32 v108, v109, v107
	s_delay_alu instid0(VALU_DEP_1) | instskip(NEXT) | instid1(VALU_DEP_1)
	v_fma_f32 v110, -v106, v108, v109
	v_fmac_f32_e32 v108, v110, v107
	s_delay_alu instid0(VALU_DEP_1) | instskip(NEXT) | instid1(VALU_DEP_1)
	v_fma_f32 v106, -v106, v108, v109
	v_div_fmas_f32 v106, v106, v107, v108
	s_delay_alu instid0(VALU_DEP_1) | instskip(NEXT) | instid1(VALU_DEP_1)
	v_div_fixup_f32 v106, v106, v105, v104
	v_fmac_f32_e32 v105, v104, v106
	s_delay_alu instid0(VALU_DEP_1) | instskip(SKIP_1) | instid1(VALU_DEP_2)
	v_div_scale_f32 v104, null, v105, v105, 1.0
	v_div_scale_f32 v109, vcc_lo, 1.0, v105, 1.0
	v_rcp_f32_e32 v107, v104
	v_nop
	s_delay_alu instid0(TRANS32_DEP_1) | instskip(NEXT) | instid1(VALU_DEP_1)
	v_fma_f32 v108, -v104, v107, 1.0
	v_fmac_f32_e32 v107, v108, v107
	s_delay_alu instid0(VALU_DEP_1) | instskip(NEXT) | instid1(VALU_DEP_1)
	v_mul_f32_e32 v108, v109, v107
	v_fma_f32 v110, -v104, v108, v109
	s_delay_alu instid0(VALU_DEP_1) | instskip(NEXT) | instid1(VALU_DEP_1)
	v_fmac_f32_e32 v108, v110, v107
	v_fma_f32 v104, -v104, v108, v109
	s_delay_alu instid0(VALU_DEP_1) | instskip(NEXT) | instid1(VALU_DEP_1)
	v_div_fmas_f32 v104, v104, v107, v108
	v_div_fixup_f32 v104, v104, v105, 1.0
	s_delay_alu instid0(VALU_DEP_1)
	v_mul_f32_e32 v106, v106, v104
	v_xor_b32_e32 v107, 0x80000000, v104
                                        ; implicit-def: $vgpr104_vgpr105
.LBB47_32:
	s_and_not1_saveexec_b32 s1, s1
	s_cbranch_execz .LBB47_34
; %bb.33:
	v_div_scale_f32 v106, null, v104, v104, v105
	v_div_scale_f32 v109, vcc_lo, v105, v104, v105
	s_delay_alu instid0(VALU_DEP_2) | instskip(SKIP_1) | instid1(TRANS32_DEP_1)
	v_rcp_f32_e32 v107, v106
	v_nop
	v_fma_f32 v108, -v106, v107, 1.0
	s_delay_alu instid0(VALU_DEP_1) | instskip(NEXT) | instid1(VALU_DEP_1)
	v_fmac_f32_e32 v107, v108, v107
	v_mul_f32_e32 v108, v109, v107
	s_delay_alu instid0(VALU_DEP_1) | instskip(NEXT) | instid1(VALU_DEP_1)
	v_fma_f32 v110, -v106, v108, v109
	v_fmac_f32_e32 v108, v110, v107
	s_delay_alu instid0(VALU_DEP_1) | instskip(NEXT) | instid1(VALU_DEP_1)
	v_fma_f32 v106, -v106, v108, v109
	v_div_fmas_f32 v106, v106, v107, v108
	s_delay_alu instid0(VALU_DEP_1) | instskip(NEXT) | instid1(VALU_DEP_1)
	v_div_fixup_f32 v107, v106, v104, v105
	v_fmac_f32_e32 v104, v105, v107
	s_delay_alu instid0(VALU_DEP_1) | instskip(NEXT) | instid1(VALU_DEP_1)
	v_div_scale_f32 v105, null, v104, v104, 1.0
	v_rcp_f32_e32 v106, v105
	v_nop
	s_delay_alu instid0(TRANS32_DEP_1) | instskip(NEXT) | instid1(VALU_DEP_1)
	v_fma_f32 v108, -v105, v106, 1.0
	v_fmac_f32_e32 v106, v108, v106
	v_div_scale_f32 v108, vcc_lo, 1.0, v104, 1.0
	s_delay_alu instid0(VALU_DEP_1) | instskip(NEXT) | instid1(VALU_DEP_1)
	v_mul_f32_e32 v109, v108, v106
	v_fma_f32 v110, -v105, v109, v108
	s_delay_alu instid0(VALU_DEP_1) | instskip(NEXT) | instid1(VALU_DEP_1)
	v_fmac_f32_e32 v109, v110, v106
	v_fma_f32 v105, -v105, v109, v108
	s_delay_alu instid0(VALU_DEP_1) | instskip(NEXT) | instid1(VALU_DEP_1)
	v_div_fmas_f32 v105, v105, v106, v109
	v_div_fixup_f32 v106, v105, v104, 1.0
	s_delay_alu instid0(VALU_DEP_1)
	v_mul_f32_e64 v107, v107, -v106
.LBB47_34:
	s_or_b32 exec_lo, exec_lo, s1
	ds_store_b64 v147, v[106:107]
.LBB47_35:
	s_or_b32 exec_lo, exec_lo, s2
	s_wait_dscnt 0x0
	s_barrier_signal -1
	s_barrier_wait -1
	ds_load_b64 v[104:105], v147
	s_mov_b32 s1, exec_lo
	v_cmpx_lt_u32_e32 3, v146
	s_cbranch_execz .LBB47_37
; %bb.36:
	ds_load_2addr_b64 v[110:113], v148 offset0:4 offset1:5
	s_wait_dscnt 0x1
	v_pk_mul_f32 v[108:109], v[104:105], v[48:49] op_sel:[1,1] op_sel_hi:[0,1]
	s_delay_alu instid0(VALU_DEP_1) | instskip(SKIP_1) | instid1(VALU_DEP_1)
	v_pk_fma_f32 v[106:107], v[104:105], v[48:49], v[108:109] op_sel_hi:[1,0,1] neg_lo:[0,0,1] neg_hi:[0,0,1]
	v_pk_fma_f32 v[108:109], v[104:105], v[48:49], v[108:109] op_sel_hi:[1,0,1]
	v_dual_mov_b32 v48, v106 :: v_dual_mov_b32 v49, v109
	s_wait_dscnt 0x0
	s_delay_alu instid0(VALU_DEP_2) | instskip(NEXT) | instid1(VALU_DEP_1)
	v_pk_mul_f32 v[114:115], v[110:111], v[108:109] op_sel:[0,1]
	v_pk_fma_f32 v[116:117], v[110:111], v[106:107], v[114:115] op_sel:[0,0,1] op_sel_hi:[1,1,0] neg_lo:[0,0,1] neg_hi:[0,0,1]
	v_pk_fma_f32 v[110:111], v[110:111], v[106:107], v[114:115] op_sel:[0,0,1] op_sel_hi:[1,0,0]
	s_delay_alu instid0(VALU_DEP_1) | instskip(SKIP_1) | instid1(VALU_DEP_1)
	v_mov_b32_e32 v117, v111
	v_pk_mul_f32 v[110:111], v[112:113], v[108:109] op_sel:[0,1]
	v_pk_fma_f32 v[114:115], v[112:113], v[106:107], v[110:111] op_sel:[0,0,1] op_sel_hi:[1,1,0] neg_lo:[0,0,1] neg_hi:[0,0,1]
	v_pk_fma_f32 v[110:111], v[112:113], v[106:107], v[110:111] op_sel:[0,0,1] op_sel_hi:[1,0,0]
	s_delay_alu instid0(VALU_DEP_1)
	v_mov_b32_e32 v115, v111
	ds_load_2addr_b64 v[110:113], v148 offset0:6 offset1:7
	v_pk_add_f32 v[28:29], v[28:29], v[116:117] neg_lo:[0,1] neg_hi:[0,1]
	v_pk_add_f32 v[24:25], v[24:25], v[114:115] neg_lo:[0,1] neg_hi:[0,1]
	s_wait_dscnt 0x0
	v_pk_mul_f32 v[114:115], v[110:111], v[108:109] op_sel:[0,1]
	s_delay_alu instid0(VALU_DEP_1) | instskip(SKIP_2) | instid1(VALU_DEP_2)
	v_pk_fma_f32 v[116:117], v[110:111], v[106:107], v[114:115] op_sel:[0,0,1] op_sel_hi:[1,1,0] neg_lo:[0,0,1] neg_hi:[0,0,1]
	v_pk_fma_f32 v[110:111], v[110:111], v[106:107], v[114:115] op_sel:[0,0,1] op_sel_hi:[1,0,0]
	v_dual_mul_f32 v114, v113, v109 :: v_dual_mov_b32 v110, v113
	v_dual_mov_b32 v117, v111 :: v_dual_mov_b32 v111, v112
	s_delay_alu instid0(VALU_DEP_2) | instskip(SKIP_1) | instid1(VALU_DEP_3)
	v_pk_fma_f32 v[114:115], v[112:113], v[48:49], v[114:115] op_sel_hi:[1,1,0] neg_lo:[0,0,1] neg_hi:[0,0,1]
	v_mul_f32_e32 v112, v113, v106
	v_pk_add_f32 v[26:27], v[26:27], v[116:117] neg_lo:[0,1] neg_hi:[0,1]
	s_delay_alu instid0(VALU_DEP_2) | instskip(NEXT) | instid1(VALU_DEP_1)
	v_pk_fma_f32 v[110:111], v[110:111], v[48:49], v[112:113] op_sel_hi:[1,1,0]
	v_mov_b32_e32 v115, v111
	ds_load_2addr_b64 v[110:113], v148 offset0:8 offset1:9
	v_pk_add_f32 v[22:23], v[22:23], v[114:115] neg_lo:[0,1] neg_hi:[0,1]
	s_wait_dscnt 0x0
	v_pk_mul_f32 v[114:115], v[110:111], v[108:109] op_sel:[0,1]
	s_delay_alu instid0(VALU_DEP_1) | instskip(SKIP_1) | instid1(VALU_DEP_1)
	v_pk_fma_f32 v[116:117], v[110:111], v[106:107], v[114:115] op_sel:[0,0,1] op_sel_hi:[1,1,0] neg_lo:[0,0,1] neg_hi:[0,0,1]
	v_pk_fma_f32 v[110:111], v[110:111], v[106:107], v[114:115] op_sel:[0,0,1] op_sel_hi:[1,0,0]
	v_mov_b32_e32 v117, v111
	v_pk_mul_f32 v[110:111], v[112:113], v[108:109] op_sel:[0,1]
	s_delay_alu instid0(VALU_DEP_1) | instskip(SKIP_1) | instid1(VALU_DEP_1)
	v_pk_fma_f32 v[114:115], v[112:113], v[106:107], v[110:111] op_sel:[0,0,1] op_sel_hi:[1,1,0] neg_lo:[0,0,1] neg_hi:[0,0,1]
	v_pk_fma_f32 v[110:111], v[112:113], v[106:107], v[110:111] op_sel:[0,0,1] op_sel_hi:[1,0,0]
	v_mov_b32_e32 v115, v111
	ds_load_2addr_b64 v[110:113], v148 offset0:10 offset1:11
	v_pk_add_f32 v[42:43], v[42:43], v[116:117] neg_lo:[0,1] neg_hi:[0,1]
	v_pk_add_f32 v[38:39], v[38:39], v[114:115] neg_lo:[0,1] neg_hi:[0,1]
	s_wait_dscnt 0x0
	v_pk_mul_f32 v[114:115], v[110:111], v[108:109] op_sel:[0,1]
	s_delay_alu instid0(VALU_DEP_1) | instskip(SKIP_1) | instid1(VALU_DEP_1)
	v_pk_fma_f32 v[116:117], v[110:111], v[106:107], v[114:115] op_sel:[0,0,1] op_sel_hi:[1,1,0] neg_lo:[0,0,1] neg_hi:[0,0,1]
	v_pk_fma_f32 v[110:111], v[110:111], v[106:107], v[114:115] op_sel:[0,0,1] op_sel_hi:[1,0,0]
	v_mov_b32_e32 v117, v111
	v_pk_mul_f32 v[110:111], v[112:113], v[108:109] op_sel:[0,1]
	s_delay_alu instid0(VALU_DEP_1) | instskip(SKIP_1) | instid1(VALU_DEP_1)
	v_pk_fma_f32 v[114:115], v[112:113], v[106:107], v[110:111] op_sel:[0,0,1] op_sel_hi:[1,1,0] neg_lo:[0,0,1] neg_hi:[0,0,1]
	v_pk_fma_f32 v[110:111], v[112:113], v[106:107], v[110:111] op_sel:[0,0,1] op_sel_hi:[1,0,0]
	v_mov_b32_e32 v115, v111
	ds_load_2addr_b64 v[110:113], v148 offset0:12 offset1:13
	v_pk_add_f32 v[40:41], v[40:41], v[116:117] neg_lo:[0,1] neg_hi:[0,1]
	v_pk_add_f32 v[36:37], v[36:37], v[114:115] neg_lo:[0,1] neg_hi:[0,1]
	s_wait_dscnt 0x0
	v_dual_mul_f32 v114, v111, v109 :: v_dual_mul_f32 v116, v111, v106
	s_delay_alu instid0(VALU_DEP_1) | instskip(NEXT) | instid1(VALU_DEP_2)
	v_pk_fma_f32 v[114:115], v[110:111], v[48:49], v[114:115] op_sel_hi:[1,1,0] neg_lo:[0,0,1] neg_hi:[0,0,1]
	v_pk_fma_f32 v[110:111], v[110:111], v[48:49], v[116:117] op_sel:[1,0,0] op_sel_hi:[0,1,0]
	s_delay_alu instid0(VALU_DEP_1) | instskip(SKIP_1) | instid1(VALU_DEP_2)
	v_mov_b32_e32 v115, v111
	v_pk_mul_f32 v[110:111], v[112:113], v[108:109] op_sel:[0,1]
	v_pk_add_f32 v[70:71], v[70:71], v[114:115] neg_lo:[0,1] neg_hi:[0,1]
	s_delay_alu instid0(VALU_DEP_2) | instskip(SKIP_1) | instid1(VALU_DEP_1)
	v_pk_fma_f32 v[114:115], v[112:113], v[106:107], v[110:111] op_sel:[0,0,1] op_sel_hi:[1,1,0] neg_lo:[0,0,1] neg_hi:[0,0,1]
	v_pk_fma_f32 v[110:111], v[112:113], v[106:107], v[110:111] op_sel:[0,0,1] op_sel_hi:[1,0,0]
	v_mov_b32_e32 v115, v111
	ds_load_2addr_b64 v[110:113], v148 offset0:14 offset1:15
	v_pk_add_f32 v[66:67], v[66:67], v[114:115] neg_lo:[0,1] neg_hi:[0,1]
	s_wait_dscnt 0x0
	v_pk_mul_f32 v[114:115], v[110:111], v[108:109] op_sel:[0,1]
	s_delay_alu instid0(VALU_DEP_1) | instskip(SKIP_1) | instid1(VALU_DEP_1)
	v_pk_fma_f32 v[116:117], v[110:111], v[106:107], v[114:115] op_sel:[0,0,1] op_sel_hi:[1,1,0] neg_lo:[0,0,1] neg_hi:[0,0,1]
	v_pk_fma_f32 v[110:111], v[110:111], v[106:107], v[114:115] op_sel:[0,0,1] op_sel_hi:[1,0,0]
	v_mov_b32_e32 v117, v111
	v_pk_mul_f32 v[110:111], v[112:113], v[108:109] op_sel:[0,1]
	s_delay_alu instid0(VALU_DEP_2) | instskip(NEXT) | instid1(VALU_DEP_2)
	v_pk_add_f32 v[68:69], v[68:69], v[116:117] neg_lo:[0,1] neg_hi:[0,1]
	v_pk_fma_f32 v[114:115], v[112:113], v[106:107], v[110:111] op_sel:[0,0,1] op_sel_hi:[1,1,0] neg_lo:[0,0,1] neg_hi:[0,0,1]
	v_pk_fma_f32 v[110:111], v[112:113], v[106:107], v[110:111] op_sel:[0,0,1] op_sel_hi:[1,0,0]
	s_delay_alu instid0(VALU_DEP_1) | instskip(SKIP_4) | instid1(VALU_DEP_1)
	v_mov_b32_e32 v115, v111
	ds_load_2addr_b64 v[110:113], v148 offset0:16 offset1:17
	v_pk_add_f32 v[64:65], v[64:65], v[114:115] neg_lo:[0,1] neg_hi:[0,1]
	s_wait_dscnt 0x0
	v_pk_mul_f32 v[114:115], v[110:111], v[108:109] op_sel:[0,1]
	v_pk_fma_f32 v[116:117], v[110:111], v[106:107], v[114:115] op_sel:[0,0,1] op_sel_hi:[1,1,0] neg_lo:[0,0,1] neg_hi:[0,0,1]
	v_pk_fma_f32 v[110:111], v[110:111], v[106:107], v[114:115] op_sel:[0,0,1] op_sel_hi:[1,0,0]
	v_dual_mul_f32 v114, v113, v109 :: v_dual_mov_b32 v110, v113
	s_delay_alu instid0(VALU_DEP_2) | instskip(NEXT) | instid1(VALU_DEP_2)
	v_dual_mov_b32 v117, v111 :: v_dual_mov_b32 v111, v112
	v_pk_fma_f32 v[114:115], v[112:113], v[48:49], v[114:115] op_sel_hi:[1,1,0] neg_lo:[0,0,1] neg_hi:[0,0,1]
	v_mul_f32_e32 v112, v113, v106
	s_delay_alu instid0(VALU_DEP_3) | instskip(NEXT) | instid1(VALU_DEP_2)
	v_pk_add_f32 v[88:89], v[88:89], v[116:117] neg_lo:[0,1] neg_hi:[0,1]
	v_pk_fma_f32 v[110:111], v[110:111], v[48:49], v[112:113] op_sel_hi:[1,1,0]
	s_delay_alu instid0(VALU_DEP_1) | instskip(SKIP_4) | instid1(VALU_DEP_1)
	v_mov_b32_e32 v115, v111
	ds_load_2addr_b64 v[110:113], v148 offset0:18 offset1:19
	v_pk_add_f32 v[84:85], v[84:85], v[114:115] neg_lo:[0,1] neg_hi:[0,1]
	s_wait_dscnt 0x0
	v_pk_mul_f32 v[114:115], v[110:111], v[108:109] op_sel:[0,1]
	v_pk_fma_f32 v[116:117], v[110:111], v[106:107], v[114:115] op_sel:[0,0,1] op_sel_hi:[1,1,0] neg_lo:[0,0,1] neg_hi:[0,0,1]
	v_pk_fma_f32 v[110:111], v[110:111], v[106:107], v[114:115] op_sel:[0,0,1] op_sel_hi:[1,0,0]
	s_delay_alu instid0(VALU_DEP_1) | instskip(SKIP_1) | instid1(VALU_DEP_1)
	v_mov_b32_e32 v117, v111
	v_pk_mul_f32 v[110:111], v[112:113], v[108:109] op_sel:[0,1]
	v_pk_fma_f32 v[114:115], v[112:113], v[106:107], v[110:111] op_sel:[0,0,1] op_sel_hi:[1,1,0] neg_lo:[0,0,1] neg_hi:[0,0,1]
	v_pk_fma_f32 v[110:111], v[112:113], v[106:107], v[110:111] op_sel:[0,0,1] op_sel_hi:[1,0,0]
	s_delay_alu instid0(VALU_DEP_1)
	v_mov_b32_e32 v115, v111
	ds_load_2addr_b64 v[110:113], v148 offset0:20 offset1:21
	v_pk_add_f32 v[86:87], v[86:87], v[116:117] neg_lo:[0,1] neg_hi:[0,1]
	v_pk_add_f32 v[82:83], v[82:83], v[114:115] neg_lo:[0,1] neg_hi:[0,1]
	s_wait_dscnt 0x0
	v_pk_mul_f32 v[114:115], v[110:111], v[108:109] op_sel:[0,1]
	s_delay_alu instid0(VALU_DEP_1) | instskip(SKIP_1) | instid1(VALU_DEP_1)
	v_pk_fma_f32 v[116:117], v[110:111], v[106:107], v[114:115] op_sel:[0,0,1] op_sel_hi:[1,1,0] neg_lo:[0,0,1] neg_hi:[0,0,1]
	v_pk_fma_f32 v[110:111], v[110:111], v[106:107], v[114:115] op_sel:[0,0,1] op_sel_hi:[1,0,0]
	v_mov_b32_e32 v117, v111
	v_pk_mul_f32 v[110:111], v[112:113], v[108:109] op_sel:[0,1]
	s_delay_alu instid0(VALU_DEP_1) | instskip(SKIP_1) | instid1(VALU_DEP_1)
	v_pk_fma_f32 v[114:115], v[112:113], v[106:107], v[110:111] op_sel:[0,0,1] op_sel_hi:[1,1,0] neg_lo:[0,0,1] neg_hi:[0,0,1]
	v_pk_fma_f32 v[110:111], v[112:113], v[106:107], v[110:111] op_sel:[0,0,1] op_sel_hi:[1,0,0]
	v_mov_b32_e32 v115, v111
	ds_load_2addr_b64 v[110:113], v148 offset0:22 offset1:23
	v_pk_add_f32 v[94:95], v[94:95], v[116:117] neg_lo:[0,1] neg_hi:[0,1]
	v_pk_add_f32 v[92:93], v[92:93], v[114:115] neg_lo:[0,1] neg_hi:[0,1]
	s_wait_dscnt 0x0
	v_dual_mul_f32 v114, v111, v109 :: v_dual_mul_f32 v116, v111, v106
	v_pk_mul_f32 v[108:109], v[112:113], v[108:109] op_sel:[0,1]
	s_delay_alu instid0(VALU_DEP_2) | instskip(NEXT) | instid1(VALU_DEP_3)
	v_pk_fma_f32 v[114:115], v[110:111], v[48:49], v[114:115] op_sel_hi:[1,1,0] neg_lo:[0,0,1] neg_hi:[0,0,1]
	v_pk_fma_f32 v[110:111], v[110:111], v[48:49], v[116:117] op_sel:[1,0,0] op_sel_hi:[0,1,0]
	s_delay_alu instid0(VALU_DEP_1) | instskip(NEXT) | instid1(VALU_DEP_4)
	v_mov_b32_e32 v115, v111
	v_pk_fma_f32 v[110:111], v[112:113], v[106:107], v[108:109] op_sel:[0,0,1] op_sel_hi:[1,1,0] neg_lo:[0,0,1] neg_hi:[0,0,1]
	v_pk_fma_f32 v[106:107], v[112:113], v[106:107], v[108:109] op_sel:[0,0,1] op_sel_hi:[1,0,0]
	s_delay_alu instid0(VALU_DEP_1) | instskip(NEXT) | instid1(VALU_DEP_4)
	v_mov_b32_e32 v111, v107
	v_pk_add_f32 v[90:91], v[90:91], v[114:115] neg_lo:[0,1] neg_hi:[0,1]
	s_delay_alu instid0(VALU_DEP_2)
	v_pk_add_f32 v[96:97], v[96:97], v[110:111] neg_lo:[0,1] neg_hi:[0,1]
.LBB47_37:
	s_or_b32 exec_lo, exec_lo, s1
	s_delay_alu instid0(SALU_CYCLE_1)
	s_mov_b32 s2, exec_lo
	s_wait_dscnt 0x0
	s_barrier_signal -1
	s_barrier_wait -1
	v_cmpx_eq_u32_e32 4, v146
	s_cbranch_execz .LBB47_44
; %bb.38:
	ds_store_b64 v147, v[28:29]
	ds_store_2addr_b64 v148, v[24:25], v[26:27] offset0:5 offset1:6
	ds_store_2addr_b64 v148, v[22:23], v[42:43] offset0:7 offset1:8
	;; [unrolled: 1-line block ×9, first 2 shown]
	ds_store_b64 v148, v[96:97] offset:184
	ds_load_b64 v[106:107], v147
	s_wait_dscnt 0x0
	v_cmp_neq_f32_e32 vcc_lo, 0, v106
	v_cmp_neq_f32_e64 s1, 0, v107
	s_or_b32 s1, vcc_lo, s1
	s_delay_alu instid0(SALU_CYCLE_1)
	s_and_b32 exec_lo, exec_lo, s1
	s_cbranch_execz .LBB47_44
; %bb.39:
	v_cmp_ngt_f32_e64 s1, |v106|, |v107|
                                        ; implicit-def: $vgpr108_vgpr109
	s_and_saveexec_b32 s4, s1
	s_delay_alu instid0(SALU_CYCLE_1)
	s_xor_b32 s1, exec_lo, s4
	s_cbranch_execz .LBB47_41
; %bb.40:
	v_div_scale_f32 v108, null, v107, v107, v106
	v_div_scale_f32 v111, vcc_lo, v106, v107, v106
	s_delay_alu instid0(VALU_DEP_2) | instskip(SKIP_1) | instid1(TRANS32_DEP_1)
	v_rcp_f32_e32 v109, v108
	v_nop
	v_fma_f32 v110, -v108, v109, 1.0
	s_delay_alu instid0(VALU_DEP_1) | instskip(NEXT) | instid1(VALU_DEP_1)
	v_fmac_f32_e32 v109, v110, v109
	v_mul_f32_e32 v110, v111, v109
	s_delay_alu instid0(VALU_DEP_1) | instskip(NEXT) | instid1(VALU_DEP_1)
	v_fma_f32 v112, -v108, v110, v111
	v_fmac_f32_e32 v110, v112, v109
	s_delay_alu instid0(VALU_DEP_1) | instskip(NEXT) | instid1(VALU_DEP_1)
	v_fma_f32 v108, -v108, v110, v111
	v_div_fmas_f32 v108, v108, v109, v110
	s_delay_alu instid0(VALU_DEP_1) | instskip(NEXT) | instid1(VALU_DEP_1)
	v_div_fixup_f32 v108, v108, v107, v106
	v_fmac_f32_e32 v107, v106, v108
	s_delay_alu instid0(VALU_DEP_1) | instskip(SKIP_1) | instid1(VALU_DEP_2)
	v_div_scale_f32 v106, null, v107, v107, 1.0
	v_div_scale_f32 v111, vcc_lo, 1.0, v107, 1.0
	v_rcp_f32_e32 v109, v106
	v_nop
	s_delay_alu instid0(TRANS32_DEP_1) | instskip(NEXT) | instid1(VALU_DEP_1)
	v_fma_f32 v110, -v106, v109, 1.0
	v_fmac_f32_e32 v109, v110, v109
	s_delay_alu instid0(VALU_DEP_1) | instskip(NEXT) | instid1(VALU_DEP_1)
	v_mul_f32_e32 v110, v111, v109
	v_fma_f32 v112, -v106, v110, v111
	s_delay_alu instid0(VALU_DEP_1) | instskip(NEXT) | instid1(VALU_DEP_1)
	v_fmac_f32_e32 v110, v112, v109
	v_fma_f32 v106, -v106, v110, v111
	s_delay_alu instid0(VALU_DEP_1) | instskip(NEXT) | instid1(VALU_DEP_1)
	v_div_fmas_f32 v106, v106, v109, v110
	v_div_fixup_f32 v106, v106, v107, 1.0
	s_delay_alu instid0(VALU_DEP_1)
	v_mul_f32_e32 v108, v108, v106
	v_xor_b32_e32 v109, 0x80000000, v106
                                        ; implicit-def: $vgpr106_vgpr107
.LBB47_41:
	s_and_not1_saveexec_b32 s1, s1
	s_cbranch_execz .LBB47_43
; %bb.42:
	v_div_scale_f32 v108, null, v106, v106, v107
	v_div_scale_f32 v111, vcc_lo, v107, v106, v107
	s_delay_alu instid0(VALU_DEP_2) | instskip(SKIP_1) | instid1(TRANS32_DEP_1)
	v_rcp_f32_e32 v109, v108
	v_nop
	v_fma_f32 v110, -v108, v109, 1.0
	s_delay_alu instid0(VALU_DEP_1) | instskip(NEXT) | instid1(VALU_DEP_1)
	v_fmac_f32_e32 v109, v110, v109
	v_mul_f32_e32 v110, v111, v109
	s_delay_alu instid0(VALU_DEP_1) | instskip(NEXT) | instid1(VALU_DEP_1)
	v_fma_f32 v112, -v108, v110, v111
	v_fmac_f32_e32 v110, v112, v109
	s_delay_alu instid0(VALU_DEP_1) | instskip(NEXT) | instid1(VALU_DEP_1)
	v_fma_f32 v108, -v108, v110, v111
	v_div_fmas_f32 v108, v108, v109, v110
	s_delay_alu instid0(VALU_DEP_1) | instskip(NEXT) | instid1(VALU_DEP_1)
	v_div_fixup_f32 v109, v108, v106, v107
	v_fmac_f32_e32 v106, v107, v109
	s_delay_alu instid0(VALU_DEP_1) | instskip(NEXT) | instid1(VALU_DEP_1)
	v_div_scale_f32 v107, null, v106, v106, 1.0
	v_rcp_f32_e32 v108, v107
	v_nop
	s_delay_alu instid0(TRANS32_DEP_1) | instskip(NEXT) | instid1(VALU_DEP_1)
	v_fma_f32 v110, -v107, v108, 1.0
	v_fmac_f32_e32 v108, v110, v108
	v_div_scale_f32 v110, vcc_lo, 1.0, v106, 1.0
	s_delay_alu instid0(VALU_DEP_1) | instskip(NEXT) | instid1(VALU_DEP_1)
	v_mul_f32_e32 v111, v110, v108
	v_fma_f32 v112, -v107, v111, v110
	s_delay_alu instid0(VALU_DEP_1) | instskip(NEXT) | instid1(VALU_DEP_1)
	v_fmac_f32_e32 v111, v112, v108
	v_fma_f32 v107, -v107, v111, v110
	s_delay_alu instid0(VALU_DEP_1) | instskip(NEXT) | instid1(VALU_DEP_1)
	v_div_fmas_f32 v107, v107, v108, v111
	v_div_fixup_f32 v108, v107, v106, 1.0
	s_delay_alu instid0(VALU_DEP_1)
	v_mul_f32_e64 v109, v109, -v108
.LBB47_43:
	s_or_b32 exec_lo, exec_lo, s1
	ds_store_b64 v147, v[108:109]
.LBB47_44:
	s_or_b32 exec_lo, exec_lo, s2
	s_wait_dscnt 0x0
	s_barrier_signal -1
	s_barrier_wait -1
	ds_load_b64 v[106:107], v147
	s_mov_b32 s1, exec_lo
	v_cmpx_lt_u32_e32 4, v146
	s_cbranch_execz .LBB47_46
; %bb.45:
	ds_load_2addr_b64 v[112:115], v148 offset0:5 offset1:6
	s_wait_dscnt 0x1
	v_pk_mul_f32 v[110:111], v[106:107], v[28:29] op_sel:[1,1] op_sel_hi:[0,1]
	s_delay_alu instid0(VALU_DEP_1) | instskip(SKIP_1) | instid1(VALU_DEP_1)
	v_pk_fma_f32 v[108:109], v[106:107], v[28:29], v[110:111] op_sel_hi:[1,0,1] neg_lo:[0,0,1] neg_hi:[0,0,1]
	v_pk_fma_f32 v[110:111], v[106:107], v[28:29], v[110:111] op_sel_hi:[1,0,1]
	v_dual_mov_b32 v28, v108 :: v_dual_mov_b32 v29, v111
	s_wait_dscnt 0x0
	s_delay_alu instid0(VALU_DEP_2) | instskip(NEXT) | instid1(VALU_DEP_1)
	v_pk_mul_f32 v[116:117], v[112:113], v[110:111] op_sel:[0,1]
	v_pk_fma_f32 v[118:119], v[112:113], v[108:109], v[116:117] op_sel:[0,0,1] op_sel_hi:[1,1,0] neg_lo:[0,0,1] neg_hi:[0,0,1]
	v_pk_fma_f32 v[112:113], v[112:113], v[108:109], v[116:117] op_sel:[0,0,1] op_sel_hi:[1,0,0]
	s_delay_alu instid0(VALU_DEP_1) | instskip(SKIP_1) | instid1(VALU_DEP_1)
	v_mov_b32_e32 v119, v113
	v_pk_mul_f32 v[112:113], v[114:115], v[110:111] op_sel:[0,1]
	v_pk_fma_f32 v[116:117], v[114:115], v[108:109], v[112:113] op_sel:[0,0,1] op_sel_hi:[1,1,0] neg_lo:[0,0,1] neg_hi:[0,0,1]
	v_pk_fma_f32 v[112:113], v[114:115], v[108:109], v[112:113] op_sel:[0,0,1] op_sel_hi:[1,0,0]
	s_delay_alu instid0(VALU_DEP_1)
	v_mov_b32_e32 v117, v113
	ds_load_2addr_b64 v[112:115], v148 offset0:7 offset1:8
	v_pk_add_f32 v[24:25], v[24:25], v[118:119] neg_lo:[0,1] neg_hi:[0,1]
	v_pk_add_f32 v[26:27], v[26:27], v[116:117] neg_lo:[0,1] neg_hi:[0,1]
	s_wait_dscnt 0x0
	v_pk_mul_f32 v[116:117], v[112:113], v[110:111] op_sel:[0,1]
	s_delay_alu instid0(VALU_DEP_1) | instskip(SKIP_2) | instid1(VALU_DEP_2)
	v_pk_fma_f32 v[118:119], v[112:113], v[108:109], v[116:117] op_sel:[0,0,1] op_sel_hi:[1,1,0] neg_lo:[0,0,1] neg_hi:[0,0,1]
	v_pk_fma_f32 v[112:113], v[112:113], v[108:109], v[116:117] op_sel:[0,0,1] op_sel_hi:[1,0,0]
	v_dual_mul_f32 v116, v115, v111 :: v_dual_mov_b32 v112, v115
	v_dual_mov_b32 v119, v113 :: v_dual_mov_b32 v113, v114
	s_delay_alu instid0(VALU_DEP_2) | instskip(SKIP_1) | instid1(VALU_DEP_3)
	v_pk_fma_f32 v[116:117], v[114:115], v[28:29], v[116:117] op_sel_hi:[1,1,0] neg_lo:[0,0,1] neg_hi:[0,0,1]
	v_mul_f32_e32 v114, v115, v108
	v_pk_add_f32 v[22:23], v[22:23], v[118:119] neg_lo:[0,1] neg_hi:[0,1]
	s_delay_alu instid0(VALU_DEP_2) | instskip(NEXT) | instid1(VALU_DEP_1)
	v_pk_fma_f32 v[112:113], v[112:113], v[28:29], v[114:115] op_sel_hi:[1,1,0]
	v_mov_b32_e32 v117, v113
	ds_load_2addr_b64 v[112:115], v148 offset0:9 offset1:10
	v_pk_add_f32 v[42:43], v[42:43], v[116:117] neg_lo:[0,1] neg_hi:[0,1]
	s_wait_dscnt 0x0
	v_pk_mul_f32 v[116:117], v[112:113], v[110:111] op_sel:[0,1]
	s_delay_alu instid0(VALU_DEP_1) | instskip(SKIP_1) | instid1(VALU_DEP_1)
	v_pk_fma_f32 v[118:119], v[112:113], v[108:109], v[116:117] op_sel:[0,0,1] op_sel_hi:[1,1,0] neg_lo:[0,0,1] neg_hi:[0,0,1]
	v_pk_fma_f32 v[112:113], v[112:113], v[108:109], v[116:117] op_sel:[0,0,1] op_sel_hi:[1,0,0]
	v_mov_b32_e32 v119, v113
	v_pk_mul_f32 v[112:113], v[114:115], v[110:111] op_sel:[0,1]
	s_delay_alu instid0(VALU_DEP_1) | instskip(SKIP_1) | instid1(VALU_DEP_1)
	v_pk_fma_f32 v[116:117], v[114:115], v[108:109], v[112:113] op_sel:[0,0,1] op_sel_hi:[1,1,0] neg_lo:[0,0,1] neg_hi:[0,0,1]
	v_pk_fma_f32 v[112:113], v[114:115], v[108:109], v[112:113] op_sel:[0,0,1] op_sel_hi:[1,0,0]
	v_mov_b32_e32 v117, v113
	ds_load_2addr_b64 v[112:115], v148 offset0:11 offset1:12
	v_pk_add_f32 v[38:39], v[38:39], v[118:119] neg_lo:[0,1] neg_hi:[0,1]
	v_pk_add_f32 v[40:41], v[40:41], v[116:117] neg_lo:[0,1] neg_hi:[0,1]
	s_wait_dscnt 0x0
	v_pk_mul_f32 v[116:117], v[112:113], v[110:111] op_sel:[0,1]
	s_delay_alu instid0(VALU_DEP_1) | instskip(SKIP_1) | instid1(VALU_DEP_1)
	v_pk_fma_f32 v[118:119], v[112:113], v[108:109], v[116:117] op_sel:[0,0,1] op_sel_hi:[1,1,0] neg_lo:[0,0,1] neg_hi:[0,0,1]
	v_pk_fma_f32 v[112:113], v[112:113], v[108:109], v[116:117] op_sel:[0,0,1] op_sel_hi:[1,0,0]
	v_mov_b32_e32 v119, v113
	v_pk_mul_f32 v[112:113], v[114:115], v[110:111] op_sel:[0,1]
	s_delay_alu instid0(VALU_DEP_1) | instskip(SKIP_1) | instid1(VALU_DEP_1)
	v_pk_fma_f32 v[116:117], v[114:115], v[108:109], v[112:113] op_sel:[0,0,1] op_sel_hi:[1,1,0] neg_lo:[0,0,1] neg_hi:[0,0,1]
	v_pk_fma_f32 v[112:113], v[114:115], v[108:109], v[112:113] op_sel:[0,0,1] op_sel_hi:[1,0,0]
	v_mov_b32_e32 v117, v113
	ds_load_2addr_b64 v[112:115], v148 offset0:13 offset1:14
	v_pk_add_f32 v[36:37], v[36:37], v[118:119] neg_lo:[0,1] neg_hi:[0,1]
	v_pk_add_f32 v[70:71], v[70:71], v[116:117] neg_lo:[0,1] neg_hi:[0,1]
	s_wait_dscnt 0x0
	v_dual_mul_f32 v116, v113, v111 :: v_dual_mul_f32 v118, v113, v108
	s_delay_alu instid0(VALU_DEP_1) | instskip(NEXT) | instid1(VALU_DEP_2)
	v_pk_fma_f32 v[116:117], v[112:113], v[28:29], v[116:117] op_sel_hi:[1,1,0] neg_lo:[0,0,1] neg_hi:[0,0,1]
	v_pk_fma_f32 v[112:113], v[112:113], v[28:29], v[118:119] op_sel:[1,0,0] op_sel_hi:[0,1,0]
	s_delay_alu instid0(VALU_DEP_1) | instskip(SKIP_1) | instid1(VALU_DEP_2)
	v_mov_b32_e32 v117, v113
	v_pk_mul_f32 v[112:113], v[114:115], v[110:111] op_sel:[0,1]
	v_pk_add_f32 v[66:67], v[66:67], v[116:117] neg_lo:[0,1] neg_hi:[0,1]
	s_delay_alu instid0(VALU_DEP_2) | instskip(SKIP_1) | instid1(VALU_DEP_1)
	v_pk_fma_f32 v[116:117], v[114:115], v[108:109], v[112:113] op_sel:[0,0,1] op_sel_hi:[1,1,0] neg_lo:[0,0,1] neg_hi:[0,0,1]
	v_pk_fma_f32 v[112:113], v[114:115], v[108:109], v[112:113] op_sel:[0,0,1] op_sel_hi:[1,0,0]
	v_mov_b32_e32 v117, v113
	ds_load_2addr_b64 v[112:115], v148 offset0:15 offset1:16
	v_pk_add_f32 v[68:69], v[68:69], v[116:117] neg_lo:[0,1] neg_hi:[0,1]
	s_wait_dscnt 0x0
	v_pk_mul_f32 v[116:117], v[112:113], v[110:111] op_sel:[0,1]
	s_delay_alu instid0(VALU_DEP_1) | instskip(SKIP_1) | instid1(VALU_DEP_1)
	v_pk_fma_f32 v[118:119], v[112:113], v[108:109], v[116:117] op_sel:[0,0,1] op_sel_hi:[1,1,0] neg_lo:[0,0,1] neg_hi:[0,0,1]
	v_pk_fma_f32 v[112:113], v[112:113], v[108:109], v[116:117] op_sel:[0,0,1] op_sel_hi:[1,0,0]
	v_mov_b32_e32 v119, v113
	v_pk_mul_f32 v[112:113], v[114:115], v[110:111] op_sel:[0,1]
	s_delay_alu instid0(VALU_DEP_2) | instskip(NEXT) | instid1(VALU_DEP_2)
	v_pk_add_f32 v[64:65], v[64:65], v[118:119] neg_lo:[0,1] neg_hi:[0,1]
	v_pk_fma_f32 v[116:117], v[114:115], v[108:109], v[112:113] op_sel:[0,0,1] op_sel_hi:[1,1,0] neg_lo:[0,0,1] neg_hi:[0,0,1]
	v_pk_fma_f32 v[112:113], v[114:115], v[108:109], v[112:113] op_sel:[0,0,1] op_sel_hi:[1,0,0]
	s_delay_alu instid0(VALU_DEP_1) | instskip(SKIP_4) | instid1(VALU_DEP_1)
	v_mov_b32_e32 v117, v113
	ds_load_2addr_b64 v[112:115], v148 offset0:17 offset1:18
	v_pk_add_f32 v[88:89], v[88:89], v[116:117] neg_lo:[0,1] neg_hi:[0,1]
	s_wait_dscnt 0x0
	v_pk_mul_f32 v[116:117], v[112:113], v[110:111] op_sel:[0,1]
	v_pk_fma_f32 v[118:119], v[112:113], v[108:109], v[116:117] op_sel:[0,0,1] op_sel_hi:[1,1,0] neg_lo:[0,0,1] neg_hi:[0,0,1]
	v_pk_fma_f32 v[112:113], v[112:113], v[108:109], v[116:117] op_sel:[0,0,1] op_sel_hi:[1,0,0]
	v_dual_mul_f32 v116, v115, v111 :: v_dual_mov_b32 v112, v115
	s_delay_alu instid0(VALU_DEP_2) | instskip(NEXT) | instid1(VALU_DEP_2)
	v_dual_mov_b32 v119, v113 :: v_dual_mov_b32 v113, v114
	v_pk_fma_f32 v[116:117], v[114:115], v[28:29], v[116:117] op_sel_hi:[1,1,0] neg_lo:[0,0,1] neg_hi:[0,0,1]
	v_mul_f32_e32 v114, v115, v108
	s_delay_alu instid0(VALU_DEP_3) | instskip(NEXT) | instid1(VALU_DEP_2)
	v_pk_add_f32 v[84:85], v[84:85], v[118:119] neg_lo:[0,1] neg_hi:[0,1]
	v_pk_fma_f32 v[112:113], v[112:113], v[28:29], v[114:115] op_sel_hi:[1,1,0]
	s_delay_alu instid0(VALU_DEP_1) | instskip(SKIP_4) | instid1(VALU_DEP_1)
	v_mov_b32_e32 v117, v113
	ds_load_2addr_b64 v[112:115], v148 offset0:19 offset1:20
	v_pk_add_f32 v[86:87], v[86:87], v[116:117] neg_lo:[0,1] neg_hi:[0,1]
	s_wait_dscnt 0x0
	v_pk_mul_f32 v[116:117], v[112:113], v[110:111] op_sel:[0,1]
	v_pk_fma_f32 v[118:119], v[112:113], v[108:109], v[116:117] op_sel:[0,0,1] op_sel_hi:[1,1,0] neg_lo:[0,0,1] neg_hi:[0,0,1]
	v_pk_fma_f32 v[112:113], v[112:113], v[108:109], v[116:117] op_sel:[0,0,1] op_sel_hi:[1,0,0]
	s_delay_alu instid0(VALU_DEP_1) | instskip(SKIP_1) | instid1(VALU_DEP_1)
	v_mov_b32_e32 v119, v113
	v_pk_mul_f32 v[112:113], v[114:115], v[110:111] op_sel:[0,1]
	v_pk_fma_f32 v[116:117], v[114:115], v[108:109], v[112:113] op_sel:[0,0,1] op_sel_hi:[1,1,0] neg_lo:[0,0,1] neg_hi:[0,0,1]
	v_pk_fma_f32 v[112:113], v[114:115], v[108:109], v[112:113] op_sel:[0,0,1] op_sel_hi:[1,0,0]
	s_delay_alu instid0(VALU_DEP_1)
	v_mov_b32_e32 v117, v113
	ds_load_2addr_b64 v[112:115], v148 offset0:21 offset1:22
	v_pk_add_f32 v[82:83], v[82:83], v[118:119] neg_lo:[0,1] neg_hi:[0,1]
	v_pk_add_f32 v[94:95], v[94:95], v[116:117] neg_lo:[0,1] neg_hi:[0,1]
	s_wait_dscnt 0x0
	v_pk_mul_f32 v[116:117], v[112:113], v[110:111] op_sel:[0,1]
	s_delay_alu instid0(VALU_DEP_1) | instskip(SKIP_1) | instid1(VALU_DEP_1)
	v_pk_fma_f32 v[118:119], v[112:113], v[108:109], v[116:117] op_sel:[0,0,1] op_sel_hi:[1,1,0] neg_lo:[0,0,1] neg_hi:[0,0,1]
	v_pk_fma_f32 v[112:113], v[112:113], v[108:109], v[116:117] op_sel:[0,0,1] op_sel_hi:[1,0,0]
	v_mov_b32_e32 v119, v113
	v_pk_mul_f32 v[112:113], v[114:115], v[110:111] op_sel:[0,1]
	s_delay_alu instid0(VALU_DEP_1) | instskip(SKIP_1) | instid1(VALU_DEP_1)
	v_pk_fma_f32 v[116:117], v[114:115], v[108:109], v[112:113] op_sel:[0,0,1] op_sel_hi:[1,1,0] neg_lo:[0,0,1] neg_hi:[0,0,1]
	v_pk_fma_f32 v[112:113], v[114:115], v[108:109], v[112:113] op_sel:[0,0,1] op_sel_hi:[1,0,0]
	v_mov_b32_e32 v117, v113
	ds_load_b64 v[112:113], v148 offset:184
	v_pk_add_f32 v[92:93], v[92:93], v[118:119] neg_lo:[0,1] neg_hi:[0,1]
	v_pk_add_f32 v[90:91], v[90:91], v[116:117] neg_lo:[0,1] neg_hi:[0,1]
	s_wait_dscnt 0x0
	v_pk_mul_f32 v[110:111], v[112:113], v[110:111] op_sel:[0,1]
	s_delay_alu instid0(VALU_DEP_1) | instskip(SKIP_1) | instid1(VALU_DEP_1)
	v_pk_fma_f32 v[114:115], v[112:113], v[108:109], v[110:111] op_sel:[0,0,1] op_sel_hi:[1,1,0] neg_lo:[0,0,1] neg_hi:[0,0,1]
	v_pk_fma_f32 v[108:109], v[112:113], v[108:109], v[110:111] op_sel:[0,0,1] op_sel_hi:[1,0,0]
	v_mov_b32_e32 v115, v109
	s_delay_alu instid0(VALU_DEP_1)
	v_pk_add_f32 v[96:97], v[96:97], v[114:115] neg_lo:[0,1] neg_hi:[0,1]
.LBB47_46:
	s_or_b32 exec_lo, exec_lo, s1
	s_delay_alu instid0(SALU_CYCLE_1)
	s_mov_b32 s2, exec_lo
	s_wait_dscnt 0x0
	s_barrier_signal -1
	s_barrier_wait -1
	v_cmpx_eq_u32_e32 5, v146
	s_cbranch_execz .LBB47_53
; %bb.47:
	v_dual_mov_b32 v108, v26 :: v_dual_mov_b32 v109, v27
	v_dual_mov_b32 v110, v22 :: v_dual_mov_b32 v111, v23
	ds_store_b64 v147, v[24:25]
	ds_store_2addr_b64 v148, v[108:109], v[110:111] offset0:6 offset1:7
	v_dual_mov_b32 v108, v42 :: v_dual_mov_b32 v109, v43
	v_dual_mov_b32 v110, v38 :: v_dual_mov_b32 v111, v39
	ds_store_2addr_b64 v148, v[108:109], v[110:111] offset0:8 offset1:9
	v_dual_mov_b32 v108, v40 :: v_dual_mov_b32 v109, v41
	v_dual_mov_b32 v110, v36 :: v_dual_mov_b32 v111, v37
	;; [unrolled: 3-line block ×7, first 2 shown]
	ds_store_2addr_b64 v148, v[108:109], v[110:111] offset0:20 offset1:21
	v_dual_mov_b32 v108, v90 :: v_dual_mov_b32 v109, v91
	ds_store_2addr_b64 v148, v[108:109], v[96:97] offset0:22 offset1:23
	ds_load_b64 v[108:109], v147
	s_wait_dscnt 0x0
	v_cmp_neq_f32_e32 vcc_lo, 0, v108
	v_cmp_neq_f32_e64 s1, 0, v109
	s_or_b32 s1, vcc_lo, s1
	s_delay_alu instid0(SALU_CYCLE_1)
	s_and_b32 exec_lo, exec_lo, s1
	s_cbranch_execz .LBB47_53
; %bb.48:
	v_cmp_ngt_f32_e64 s1, |v108|, |v109|
                                        ; implicit-def: $vgpr110_vgpr111
	s_and_saveexec_b32 s4, s1
	s_delay_alu instid0(SALU_CYCLE_1)
	s_xor_b32 s1, exec_lo, s4
	s_cbranch_execz .LBB47_50
; %bb.49:
	v_div_scale_f32 v110, null, v109, v109, v108
	v_div_scale_f32 v113, vcc_lo, v108, v109, v108
	s_delay_alu instid0(VALU_DEP_2) | instskip(SKIP_1) | instid1(TRANS32_DEP_1)
	v_rcp_f32_e32 v111, v110
	v_nop
	v_fma_f32 v112, -v110, v111, 1.0
	s_delay_alu instid0(VALU_DEP_1) | instskip(NEXT) | instid1(VALU_DEP_1)
	v_fmac_f32_e32 v111, v112, v111
	v_mul_f32_e32 v112, v113, v111
	s_delay_alu instid0(VALU_DEP_1) | instskip(NEXT) | instid1(VALU_DEP_1)
	v_fma_f32 v114, -v110, v112, v113
	v_fmac_f32_e32 v112, v114, v111
	s_delay_alu instid0(VALU_DEP_1) | instskip(NEXT) | instid1(VALU_DEP_1)
	v_fma_f32 v110, -v110, v112, v113
	v_div_fmas_f32 v110, v110, v111, v112
	s_delay_alu instid0(VALU_DEP_1) | instskip(NEXT) | instid1(VALU_DEP_1)
	v_div_fixup_f32 v110, v110, v109, v108
	v_fmac_f32_e32 v109, v108, v110
	s_delay_alu instid0(VALU_DEP_1) | instskip(SKIP_1) | instid1(VALU_DEP_2)
	v_div_scale_f32 v108, null, v109, v109, 1.0
	v_div_scale_f32 v113, vcc_lo, 1.0, v109, 1.0
	v_rcp_f32_e32 v111, v108
	v_nop
	s_delay_alu instid0(TRANS32_DEP_1) | instskip(NEXT) | instid1(VALU_DEP_1)
	v_fma_f32 v112, -v108, v111, 1.0
	v_fmac_f32_e32 v111, v112, v111
	s_delay_alu instid0(VALU_DEP_1) | instskip(NEXT) | instid1(VALU_DEP_1)
	v_mul_f32_e32 v112, v113, v111
	v_fma_f32 v114, -v108, v112, v113
	s_delay_alu instid0(VALU_DEP_1) | instskip(NEXT) | instid1(VALU_DEP_1)
	v_fmac_f32_e32 v112, v114, v111
	v_fma_f32 v108, -v108, v112, v113
	s_delay_alu instid0(VALU_DEP_1) | instskip(NEXT) | instid1(VALU_DEP_1)
	v_div_fmas_f32 v108, v108, v111, v112
	v_div_fixup_f32 v108, v108, v109, 1.0
	s_delay_alu instid0(VALU_DEP_1)
	v_mul_f32_e32 v110, v110, v108
	v_xor_b32_e32 v111, 0x80000000, v108
                                        ; implicit-def: $vgpr108_vgpr109
.LBB47_50:
	s_and_not1_saveexec_b32 s1, s1
	s_cbranch_execz .LBB47_52
; %bb.51:
	v_div_scale_f32 v110, null, v108, v108, v109
	v_div_scale_f32 v113, vcc_lo, v109, v108, v109
	s_delay_alu instid0(VALU_DEP_2) | instskip(SKIP_1) | instid1(TRANS32_DEP_1)
	v_rcp_f32_e32 v111, v110
	v_nop
	v_fma_f32 v112, -v110, v111, 1.0
	s_delay_alu instid0(VALU_DEP_1) | instskip(NEXT) | instid1(VALU_DEP_1)
	v_fmac_f32_e32 v111, v112, v111
	v_mul_f32_e32 v112, v113, v111
	s_delay_alu instid0(VALU_DEP_1) | instskip(NEXT) | instid1(VALU_DEP_1)
	v_fma_f32 v114, -v110, v112, v113
	v_fmac_f32_e32 v112, v114, v111
	s_delay_alu instid0(VALU_DEP_1) | instskip(NEXT) | instid1(VALU_DEP_1)
	v_fma_f32 v110, -v110, v112, v113
	v_div_fmas_f32 v110, v110, v111, v112
	s_delay_alu instid0(VALU_DEP_1) | instskip(NEXT) | instid1(VALU_DEP_1)
	v_div_fixup_f32 v111, v110, v108, v109
	v_fmac_f32_e32 v108, v109, v111
	s_delay_alu instid0(VALU_DEP_1) | instskip(NEXT) | instid1(VALU_DEP_1)
	v_div_scale_f32 v109, null, v108, v108, 1.0
	v_rcp_f32_e32 v110, v109
	v_nop
	s_delay_alu instid0(TRANS32_DEP_1) | instskip(NEXT) | instid1(VALU_DEP_1)
	v_fma_f32 v112, -v109, v110, 1.0
	v_fmac_f32_e32 v110, v112, v110
	v_div_scale_f32 v112, vcc_lo, 1.0, v108, 1.0
	s_delay_alu instid0(VALU_DEP_1) | instskip(NEXT) | instid1(VALU_DEP_1)
	v_mul_f32_e32 v113, v112, v110
	v_fma_f32 v114, -v109, v113, v112
	s_delay_alu instid0(VALU_DEP_1) | instskip(NEXT) | instid1(VALU_DEP_1)
	v_fmac_f32_e32 v113, v114, v110
	v_fma_f32 v109, -v109, v113, v112
	s_delay_alu instid0(VALU_DEP_1) | instskip(NEXT) | instid1(VALU_DEP_1)
	v_div_fmas_f32 v109, v109, v110, v113
	v_div_fixup_f32 v110, v109, v108, 1.0
	s_delay_alu instid0(VALU_DEP_1)
	v_mul_f32_e64 v111, v111, -v110
.LBB47_52:
	s_or_b32 exec_lo, exec_lo, s1
	ds_store_b64 v147, v[110:111]
.LBB47_53:
	s_or_b32 exec_lo, exec_lo, s2
	s_wait_dscnt 0x0
	s_barrier_signal -1
	s_barrier_wait -1
	ds_load_b64 v[108:109], v147
	s_mov_b32 s1, exec_lo
	v_cmpx_lt_u32_e32 5, v146
	s_cbranch_execz .LBB47_55
; %bb.54:
	ds_load_2addr_b64 v[114:117], v148 offset0:6 offset1:7
	s_wait_dscnt 0x1
	v_pk_mul_f32 v[112:113], v[108:109], v[24:25] op_sel:[1,1] op_sel_hi:[0,1]
	s_delay_alu instid0(VALU_DEP_1) | instskip(SKIP_1) | instid1(VALU_DEP_1)
	v_pk_fma_f32 v[110:111], v[108:109], v[24:25], v[112:113] op_sel_hi:[1,0,1] neg_lo:[0,0,1] neg_hi:[0,0,1]
	v_pk_fma_f32 v[112:113], v[108:109], v[24:25], v[112:113] op_sel_hi:[1,0,1]
	v_dual_mov_b32 v24, v110 :: v_dual_mov_b32 v25, v113
	s_wait_dscnt 0x0
	s_delay_alu instid0(VALU_DEP_2) | instskip(NEXT) | instid1(VALU_DEP_1)
	v_pk_mul_f32 v[118:119], v[114:115], v[112:113] op_sel:[0,1]
	v_pk_fma_f32 v[120:121], v[114:115], v[110:111], v[118:119] op_sel:[0,0,1] op_sel_hi:[1,1,0] neg_lo:[0,0,1] neg_hi:[0,0,1]
	v_pk_fma_f32 v[114:115], v[114:115], v[110:111], v[118:119] op_sel:[0,0,1] op_sel_hi:[1,0,0]
	s_delay_alu instid0(VALU_DEP_1) | instskip(SKIP_1) | instid1(VALU_DEP_1)
	v_mov_b32_e32 v121, v115
	v_pk_mul_f32 v[114:115], v[116:117], v[112:113] op_sel:[0,1]
	v_pk_fma_f32 v[118:119], v[116:117], v[110:111], v[114:115] op_sel:[0,0,1] op_sel_hi:[1,1,0] neg_lo:[0,0,1] neg_hi:[0,0,1]
	v_pk_fma_f32 v[114:115], v[116:117], v[110:111], v[114:115] op_sel:[0,0,1] op_sel_hi:[1,0,0]
	s_delay_alu instid0(VALU_DEP_1)
	v_mov_b32_e32 v119, v115
	ds_load_2addr_b64 v[114:117], v148 offset0:8 offset1:9
	v_pk_add_f32 v[26:27], v[26:27], v[120:121] neg_lo:[0,1] neg_hi:[0,1]
	v_pk_add_f32 v[22:23], v[22:23], v[118:119] neg_lo:[0,1] neg_hi:[0,1]
	s_wait_dscnt 0x0
	v_pk_mul_f32 v[118:119], v[114:115], v[112:113] op_sel:[0,1]
	s_delay_alu instid0(VALU_DEP_1) | instskip(SKIP_2) | instid1(VALU_DEP_2)
	v_pk_fma_f32 v[120:121], v[114:115], v[110:111], v[118:119] op_sel:[0,0,1] op_sel_hi:[1,1,0] neg_lo:[0,0,1] neg_hi:[0,0,1]
	v_pk_fma_f32 v[114:115], v[114:115], v[110:111], v[118:119] op_sel:[0,0,1] op_sel_hi:[1,0,0]
	v_dual_mul_f32 v118, v117, v113 :: v_dual_mov_b32 v114, v117
	v_dual_mov_b32 v121, v115 :: v_dual_mov_b32 v115, v116
	s_delay_alu instid0(VALU_DEP_2) | instskip(SKIP_1) | instid1(VALU_DEP_3)
	v_pk_fma_f32 v[118:119], v[116:117], v[24:25], v[118:119] op_sel_hi:[1,1,0] neg_lo:[0,0,1] neg_hi:[0,0,1]
	v_mul_f32_e32 v116, v117, v110
	v_pk_add_f32 v[42:43], v[42:43], v[120:121] neg_lo:[0,1] neg_hi:[0,1]
	s_delay_alu instid0(VALU_DEP_2) | instskip(NEXT) | instid1(VALU_DEP_1)
	v_pk_fma_f32 v[114:115], v[114:115], v[24:25], v[116:117] op_sel_hi:[1,1,0]
	v_mov_b32_e32 v119, v115
	ds_load_2addr_b64 v[114:117], v148 offset0:10 offset1:11
	v_pk_add_f32 v[38:39], v[38:39], v[118:119] neg_lo:[0,1] neg_hi:[0,1]
	s_wait_dscnt 0x0
	v_pk_mul_f32 v[118:119], v[114:115], v[112:113] op_sel:[0,1]
	s_delay_alu instid0(VALU_DEP_1) | instskip(SKIP_1) | instid1(VALU_DEP_1)
	v_pk_fma_f32 v[120:121], v[114:115], v[110:111], v[118:119] op_sel:[0,0,1] op_sel_hi:[1,1,0] neg_lo:[0,0,1] neg_hi:[0,0,1]
	v_pk_fma_f32 v[114:115], v[114:115], v[110:111], v[118:119] op_sel:[0,0,1] op_sel_hi:[1,0,0]
	v_mov_b32_e32 v121, v115
	v_pk_mul_f32 v[114:115], v[116:117], v[112:113] op_sel:[0,1]
	s_delay_alu instid0(VALU_DEP_1) | instskip(SKIP_1) | instid1(VALU_DEP_1)
	v_pk_fma_f32 v[118:119], v[116:117], v[110:111], v[114:115] op_sel:[0,0,1] op_sel_hi:[1,1,0] neg_lo:[0,0,1] neg_hi:[0,0,1]
	v_pk_fma_f32 v[114:115], v[116:117], v[110:111], v[114:115] op_sel:[0,0,1] op_sel_hi:[1,0,0]
	v_mov_b32_e32 v119, v115
	ds_load_2addr_b64 v[114:117], v148 offset0:12 offset1:13
	v_pk_add_f32 v[40:41], v[40:41], v[120:121] neg_lo:[0,1] neg_hi:[0,1]
	v_pk_add_f32 v[36:37], v[36:37], v[118:119] neg_lo:[0,1] neg_hi:[0,1]
	s_wait_dscnt 0x0
	v_pk_mul_f32 v[118:119], v[114:115], v[112:113] op_sel:[0,1]
	s_delay_alu instid0(VALU_DEP_1) | instskip(SKIP_1) | instid1(VALU_DEP_1)
	v_pk_fma_f32 v[120:121], v[114:115], v[110:111], v[118:119] op_sel:[0,0,1] op_sel_hi:[1,1,0] neg_lo:[0,0,1] neg_hi:[0,0,1]
	v_pk_fma_f32 v[114:115], v[114:115], v[110:111], v[118:119] op_sel:[0,0,1] op_sel_hi:[1,0,0]
	v_mov_b32_e32 v121, v115
	v_pk_mul_f32 v[114:115], v[116:117], v[112:113] op_sel:[0,1]
	s_delay_alu instid0(VALU_DEP_1) | instskip(SKIP_1) | instid1(VALU_DEP_1)
	v_pk_fma_f32 v[118:119], v[116:117], v[110:111], v[114:115] op_sel:[0,0,1] op_sel_hi:[1,1,0] neg_lo:[0,0,1] neg_hi:[0,0,1]
	v_pk_fma_f32 v[114:115], v[116:117], v[110:111], v[114:115] op_sel:[0,0,1] op_sel_hi:[1,0,0]
	v_mov_b32_e32 v119, v115
	ds_load_2addr_b64 v[114:117], v148 offset0:14 offset1:15
	v_pk_add_f32 v[70:71], v[70:71], v[120:121] neg_lo:[0,1] neg_hi:[0,1]
	v_pk_add_f32 v[66:67], v[66:67], v[118:119] neg_lo:[0,1] neg_hi:[0,1]
	s_wait_dscnt 0x0
	v_dual_mul_f32 v118, v115, v113 :: v_dual_mul_f32 v120, v115, v110
	s_delay_alu instid0(VALU_DEP_1) | instskip(NEXT) | instid1(VALU_DEP_2)
	v_pk_fma_f32 v[118:119], v[114:115], v[24:25], v[118:119] op_sel_hi:[1,1,0] neg_lo:[0,0,1] neg_hi:[0,0,1]
	v_pk_fma_f32 v[114:115], v[114:115], v[24:25], v[120:121] op_sel:[1,0,0] op_sel_hi:[0,1,0]
	s_delay_alu instid0(VALU_DEP_1) | instskip(SKIP_1) | instid1(VALU_DEP_2)
	v_mov_b32_e32 v119, v115
	v_pk_mul_f32 v[114:115], v[116:117], v[112:113] op_sel:[0,1]
	v_pk_add_f32 v[68:69], v[68:69], v[118:119] neg_lo:[0,1] neg_hi:[0,1]
	s_delay_alu instid0(VALU_DEP_2) | instskip(SKIP_1) | instid1(VALU_DEP_1)
	v_pk_fma_f32 v[118:119], v[116:117], v[110:111], v[114:115] op_sel:[0,0,1] op_sel_hi:[1,1,0] neg_lo:[0,0,1] neg_hi:[0,0,1]
	v_pk_fma_f32 v[114:115], v[116:117], v[110:111], v[114:115] op_sel:[0,0,1] op_sel_hi:[1,0,0]
	v_mov_b32_e32 v119, v115
	ds_load_2addr_b64 v[114:117], v148 offset0:16 offset1:17
	v_pk_add_f32 v[64:65], v[64:65], v[118:119] neg_lo:[0,1] neg_hi:[0,1]
	s_wait_dscnt 0x0
	v_pk_mul_f32 v[118:119], v[114:115], v[112:113] op_sel:[0,1]
	s_delay_alu instid0(VALU_DEP_1) | instskip(SKIP_1) | instid1(VALU_DEP_1)
	v_pk_fma_f32 v[120:121], v[114:115], v[110:111], v[118:119] op_sel:[0,0,1] op_sel_hi:[1,1,0] neg_lo:[0,0,1] neg_hi:[0,0,1]
	v_pk_fma_f32 v[114:115], v[114:115], v[110:111], v[118:119] op_sel:[0,0,1] op_sel_hi:[1,0,0]
	v_mov_b32_e32 v121, v115
	v_pk_mul_f32 v[114:115], v[116:117], v[112:113] op_sel:[0,1]
	s_delay_alu instid0(VALU_DEP_2) | instskip(NEXT) | instid1(VALU_DEP_2)
	v_pk_add_f32 v[88:89], v[88:89], v[120:121] neg_lo:[0,1] neg_hi:[0,1]
	v_pk_fma_f32 v[118:119], v[116:117], v[110:111], v[114:115] op_sel:[0,0,1] op_sel_hi:[1,1,0] neg_lo:[0,0,1] neg_hi:[0,0,1]
	v_pk_fma_f32 v[114:115], v[116:117], v[110:111], v[114:115] op_sel:[0,0,1] op_sel_hi:[1,0,0]
	s_delay_alu instid0(VALU_DEP_1) | instskip(SKIP_4) | instid1(VALU_DEP_1)
	v_mov_b32_e32 v119, v115
	ds_load_2addr_b64 v[114:117], v148 offset0:18 offset1:19
	v_pk_add_f32 v[84:85], v[84:85], v[118:119] neg_lo:[0,1] neg_hi:[0,1]
	s_wait_dscnt 0x0
	v_pk_mul_f32 v[118:119], v[114:115], v[112:113] op_sel:[0,1]
	v_pk_fma_f32 v[120:121], v[114:115], v[110:111], v[118:119] op_sel:[0,0,1] op_sel_hi:[1,1,0] neg_lo:[0,0,1] neg_hi:[0,0,1]
	v_pk_fma_f32 v[114:115], v[114:115], v[110:111], v[118:119] op_sel:[0,0,1] op_sel_hi:[1,0,0]
	v_dual_mul_f32 v118, v117, v113 :: v_dual_mov_b32 v114, v117
	s_delay_alu instid0(VALU_DEP_2) | instskip(NEXT) | instid1(VALU_DEP_2)
	v_dual_mov_b32 v121, v115 :: v_dual_mov_b32 v115, v116
	v_pk_fma_f32 v[118:119], v[116:117], v[24:25], v[118:119] op_sel_hi:[1,1,0] neg_lo:[0,0,1] neg_hi:[0,0,1]
	v_mul_f32_e32 v116, v117, v110
	s_delay_alu instid0(VALU_DEP_3) | instskip(NEXT) | instid1(VALU_DEP_2)
	v_pk_add_f32 v[86:87], v[86:87], v[120:121] neg_lo:[0,1] neg_hi:[0,1]
	v_pk_fma_f32 v[114:115], v[114:115], v[24:25], v[116:117] op_sel_hi:[1,1,0]
	s_delay_alu instid0(VALU_DEP_1) | instskip(SKIP_4) | instid1(VALU_DEP_1)
	v_mov_b32_e32 v119, v115
	ds_load_2addr_b64 v[114:117], v148 offset0:20 offset1:21
	v_pk_add_f32 v[82:83], v[82:83], v[118:119] neg_lo:[0,1] neg_hi:[0,1]
	s_wait_dscnt 0x0
	v_pk_mul_f32 v[118:119], v[114:115], v[112:113] op_sel:[0,1]
	v_pk_fma_f32 v[120:121], v[114:115], v[110:111], v[118:119] op_sel:[0,0,1] op_sel_hi:[1,1,0] neg_lo:[0,0,1] neg_hi:[0,0,1]
	v_pk_fma_f32 v[114:115], v[114:115], v[110:111], v[118:119] op_sel:[0,0,1] op_sel_hi:[1,0,0]
	s_delay_alu instid0(VALU_DEP_1) | instskip(SKIP_1) | instid1(VALU_DEP_1)
	v_mov_b32_e32 v121, v115
	v_pk_mul_f32 v[114:115], v[116:117], v[112:113] op_sel:[0,1]
	v_pk_fma_f32 v[118:119], v[116:117], v[110:111], v[114:115] op_sel:[0,0,1] op_sel_hi:[1,1,0] neg_lo:[0,0,1] neg_hi:[0,0,1]
	v_pk_fma_f32 v[114:115], v[116:117], v[110:111], v[114:115] op_sel:[0,0,1] op_sel_hi:[1,0,0]
	s_delay_alu instid0(VALU_DEP_1)
	v_mov_b32_e32 v119, v115
	ds_load_2addr_b64 v[114:117], v148 offset0:22 offset1:23
	v_pk_add_f32 v[94:95], v[94:95], v[120:121] neg_lo:[0,1] neg_hi:[0,1]
	v_pk_add_f32 v[92:93], v[92:93], v[118:119] neg_lo:[0,1] neg_hi:[0,1]
	s_wait_dscnt 0x0
	v_pk_mul_f32 v[118:119], v[114:115], v[112:113] op_sel:[0,1]
	v_mul_f32_e32 v112, v117, v113
	s_delay_alu instid0(VALU_DEP_2) | instskip(SKIP_2) | instid1(VALU_DEP_4)
	v_pk_fma_f32 v[120:121], v[114:115], v[110:111], v[118:119] op_sel:[0,0,1] op_sel_hi:[1,1,0] neg_lo:[0,0,1] neg_hi:[0,0,1]
	v_pk_fma_f32 v[114:115], v[114:115], v[110:111], v[118:119] op_sel:[0,0,1] op_sel_hi:[1,0,0]
	v_dual_mov_b32 v114, v117 :: v_dual_mul_f32 v110, v117, v110
	v_pk_fma_f32 v[112:113], v[116:117], v[24:25], v[112:113] op_sel_hi:[1,1,0] neg_lo:[0,0,1] neg_hi:[0,0,1]
	s_delay_alu instid0(VALU_DEP_3) | instskip(NEXT) | instid1(VALU_DEP_1)
	v_dual_mov_b32 v121, v115 :: v_dual_mov_b32 v115, v116
	v_pk_add_f32 v[90:91], v[90:91], v[120:121] neg_lo:[0,1] neg_hi:[0,1]
	s_delay_alu instid0(VALU_DEP_2) | instskip(NEXT) | instid1(VALU_DEP_1)
	v_pk_fma_f32 v[110:111], v[114:115], v[24:25], v[110:111] op_sel_hi:[1,1,0]
	v_mov_b32_e32 v113, v111
	s_delay_alu instid0(VALU_DEP_1)
	v_pk_add_f32 v[96:97], v[96:97], v[112:113] neg_lo:[0,1] neg_hi:[0,1]
.LBB47_55:
	s_or_b32 exec_lo, exec_lo, s1
	s_delay_alu instid0(SALU_CYCLE_1)
	s_mov_b32 s2, exec_lo
	s_wait_dscnt 0x0
	s_barrier_signal -1
	s_barrier_wait -1
	v_cmpx_eq_u32_e32 6, v146
	s_cbranch_execz .LBB47_62
; %bb.56:
	ds_store_b64 v147, v[26:27]
	ds_store_2addr_b64 v148, v[22:23], v[42:43] offset0:7 offset1:8
	ds_store_2addr_b64 v148, v[38:39], v[40:41] offset0:9 offset1:10
	;; [unrolled: 1-line block ×8, first 2 shown]
	ds_store_b64 v148, v[96:97] offset:184
	ds_load_b64 v[110:111], v147
	s_wait_dscnt 0x0
	v_cmp_neq_f32_e32 vcc_lo, 0, v110
	v_cmp_neq_f32_e64 s1, 0, v111
	s_or_b32 s1, vcc_lo, s1
	s_delay_alu instid0(SALU_CYCLE_1)
	s_and_b32 exec_lo, exec_lo, s1
	s_cbranch_execz .LBB47_62
; %bb.57:
	v_cmp_ngt_f32_e64 s1, |v110|, |v111|
                                        ; implicit-def: $vgpr112_vgpr113
	s_and_saveexec_b32 s4, s1
	s_delay_alu instid0(SALU_CYCLE_1)
	s_xor_b32 s1, exec_lo, s4
	s_cbranch_execz .LBB47_59
; %bb.58:
	v_div_scale_f32 v112, null, v111, v111, v110
	v_div_scale_f32 v115, vcc_lo, v110, v111, v110
	s_delay_alu instid0(VALU_DEP_2) | instskip(SKIP_1) | instid1(TRANS32_DEP_1)
	v_rcp_f32_e32 v113, v112
	v_nop
	v_fma_f32 v114, -v112, v113, 1.0
	s_delay_alu instid0(VALU_DEP_1) | instskip(NEXT) | instid1(VALU_DEP_1)
	v_fmac_f32_e32 v113, v114, v113
	v_mul_f32_e32 v114, v115, v113
	s_delay_alu instid0(VALU_DEP_1) | instskip(NEXT) | instid1(VALU_DEP_1)
	v_fma_f32 v116, -v112, v114, v115
	v_fmac_f32_e32 v114, v116, v113
	s_delay_alu instid0(VALU_DEP_1) | instskip(NEXT) | instid1(VALU_DEP_1)
	v_fma_f32 v112, -v112, v114, v115
	v_div_fmas_f32 v112, v112, v113, v114
	s_delay_alu instid0(VALU_DEP_1) | instskip(NEXT) | instid1(VALU_DEP_1)
	v_div_fixup_f32 v112, v112, v111, v110
	v_fmac_f32_e32 v111, v110, v112
	s_delay_alu instid0(VALU_DEP_1) | instskip(SKIP_1) | instid1(VALU_DEP_2)
	v_div_scale_f32 v110, null, v111, v111, 1.0
	v_div_scale_f32 v115, vcc_lo, 1.0, v111, 1.0
	v_rcp_f32_e32 v113, v110
	v_nop
	s_delay_alu instid0(TRANS32_DEP_1) | instskip(NEXT) | instid1(VALU_DEP_1)
	v_fma_f32 v114, -v110, v113, 1.0
	v_fmac_f32_e32 v113, v114, v113
	s_delay_alu instid0(VALU_DEP_1) | instskip(NEXT) | instid1(VALU_DEP_1)
	v_mul_f32_e32 v114, v115, v113
	v_fma_f32 v116, -v110, v114, v115
	s_delay_alu instid0(VALU_DEP_1) | instskip(NEXT) | instid1(VALU_DEP_1)
	v_fmac_f32_e32 v114, v116, v113
	v_fma_f32 v110, -v110, v114, v115
	s_delay_alu instid0(VALU_DEP_1) | instskip(NEXT) | instid1(VALU_DEP_1)
	v_div_fmas_f32 v110, v110, v113, v114
	v_div_fixup_f32 v110, v110, v111, 1.0
	s_delay_alu instid0(VALU_DEP_1)
	v_mul_f32_e32 v112, v112, v110
	v_xor_b32_e32 v113, 0x80000000, v110
                                        ; implicit-def: $vgpr110_vgpr111
.LBB47_59:
	s_and_not1_saveexec_b32 s1, s1
	s_cbranch_execz .LBB47_61
; %bb.60:
	v_div_scale_f32 v112, null, v110, v110, v111
	v_div_scale_f32 v115, vcc_lo, v111, v110, v111
	s_delay_alu instid0(VALU_DEP_2) | instskip(SKIP_1) | instid1(TRANS32_DEP_1)
	v_rcp_f32_e32 v113, v112
	v_nop
	v_fma_f32 v114, -v112, v113, 1.0
	s_delay_alu instid0(VALU_DEP_1) | instskip(NEXT) | instid1(VALU_DEP_1)
	v_fmac_f32_e32 v113, v114, v113
	v_mul_f32_e32 v114, v115, v113
	s_delay_alu instid0(VALU_DEP_1) | instskip(NEXT) | instid1(VALU_DEP_1)
	v_fma_f32 v116, -v112, v114, v115
	v_fmac_f32_e32 v114, v116, v113
	s_delay_alu instid0(VALU_DEP_1) | instskip(NEXT) | instid1(VALU_DEP_1)
	v_fma_f32 v112, -v112, v114, v115
	v_div_fmas_f32 v112, v112, v113, v114
	s_delay_alu instid0(VALU_DEP_1) | instskip(NEXT) | instid1(VALU_DEP_1)
	v_div_fixup_f32 v113, v112, v110, v111
	v_fmac_f32_e32 v110, v111, v113
	s_delay_alu instid0(VALU_DEP_1) | instskip(NEXT) | instid1(VALU_DEP_1)
	v_div_scale_f32 v111, null, v110, v110, 1.0
	v_rcp_f32_e32 v112, v111
	v_nop
	s_delay_alu instid0(TRANS32_DEP_1) | instskip(NEXT) | instid1(VALU_DEP_1)
	v_fma_f32 v114, -v111, v112, 1.0
	v_fmac_f32_e32 v112, v114, v112
	v_div_scale_f32 v114, vcc_lo, 1.0, v110, 1.0
	s_delay_alu instid0(VALU_DEP_1) | instskip(NEXT) | instid1(VALU_DEP_1)
	v_mul_f32_e32 v115, v114, v112
	v_fma_f32 v116, -v111, v115, v114
	s_delay_alu instid0(VALU_DEP_1) | instskip(NEXT) | instid1(VALU_DEP_1)
	v_fmac_f32_e32 v115, v116, v112
	v_fma_f32 v111, -v111, v115, v114
	s_delay_alu instid0(VALU_DEP_1) | instskip(NEXT) | instid1(VALU_DEP_1)
	v_div_fmas_f32 v111, v111, v112, v115
	v_div_fixup_f32 v112, v111, v110, 1.0
	s_delay_alu instid0(VALU_DEP_1)
	v_mul_f32_e64 v113, v113, -v112
.LBB47_61:
	s_or_b32 exec_lo, exec_lo, s1
	ds_store_b64 v147, v[112:113]
.LBB47_62:
	s_or_b32 exec_lo, exec_lo, s2
	s_wait_dscnt 0x0
	s_barrier_signal -1
	s_barrier_wait -1
	ds_load_b64 v[110:111], v147
	s_mov_b32 s1, exec_lo
	v_cmpx_lt_u32_e32 6, v146
	s_cbranch_execz .LBB47_64
; %bb.63:
	ds_load_2addr_b64 v[116:119], v148 offset0:7 offset1:8
	s_wait_dscnt 0x1
	v_pk_mul_f32 v[114:115], v[110:111], v[26:27] op_sel:[1,1] op_sel_hi:[0,1]
	s_delay_alu instid0(VALU_DEP_1) | instskip(SKIP_1) | instid1(VALU_DEP_1)
	v_pk_fma_f32 v[112:113], v[110:111], v[26:27], v[114:115] op_sel_hi:[1,0,1] neg_lo:[0,0,1] neg_hi:[0,0,1]
	v_pk_fma_f32 v[114:115], v[110:111], v[26:27], v[114:115] op_sel_hi:[1,0,1]
	v_dual_mov_b32 v26, v112 :: v_dual_mov_b32 v27, v115
	s_wait_dscnt 0x0
	s_delay_alu instid0(VALU_DEP_2) | instskip(NEXT) | instid1(VALU_DEP_1)
	v_pk_mul_f32 v[120:121], v[116:117], v[114:115] op_sel:[0,1]
	v_pk_fma_f32 v[122:123], v[116:117], v[112:113], v[120:121] op_sel:[0,0,1] op_sel_hi:[1,1,0] neg_lo:[0,0,1] neg_hi:[0,0,1]
	v_pk_fma_f32 v[116:117], v[116:117], v[112:113], v[120:121] op_sel:[0,0,1] op_sel_hi:[1,0,0]
	s_delay_alu instid0(VALU_DEP_1) | instskip(SKIP_1) | instid1(VALU_DEP_1)
	v_mov_b32_e32 v123, v117
	v_pk_mul_f32 v[116:117], v[118:119], v[114:115] op_sel:[0,1]
	v_pk_fma_f32 v[120:121], v[118:119], v[112:113], v[116:117] op_sel:[0,0,1] op_sel_hi:[1,1,0] neg_lo:[0,0,1] neg_hi:[0,0,1]
	v_pk_fma_f32 v[116:117], v[118:119], v[112:113], v[116:117] op_sel:[0,0,1] op_sel_hi:[1,0,0]
	s_delay_alu instid0(VALU_DEP_1)
	v_mov_b32_e32 v121, v117
	ds_load_2addr_b64 v[116:119], v148 offset0:9 offset1:10
	v_pk_add_f32 v[22:23], v[22:23], v[122:123] neg_lo:[0,1] neg_hi:[0,1]
	v_pk_add_f32 v[42:43], v[42:43], v[120:121] neg_lo:[0,1] neg_hi:[0,1]
	s_wait_dscnt 0x0
	v_pk_mul_f32 v[120:121], v[116:117], v[114:115] op_sel:[0,1]
	s_delay_alu instid0(VALU_DEP_1) | instskip(SKIP_2) | instid1(VALU_DEP_2)
	v_pk_fma_f32 v[122:123], v[116:117], v[112:113], v[120:121] op_sel:[0,0,1] op_sel_hi:[1,1,0] neg_lo:[0,0,1] neg_hi:[0,0,1]
	v_pk_fma_f32 v[116:117], v[116:117], v[112:113], v[120:121] op_sel:[0,0,1] op_sel_hi:[1,0,0]
	v_dual_mul_f32 v120, v119, v115 :: v_dual_mov_b32 v116, v119
	v_dual_mov_b32 v123, v117 :: v_dual_mov_b32 v117, v118
	s_delay_alu instid0(VALU_DEP_2) | instskip(SKIP_1) | instid1(VALU_DEP_3)
	v_pk_fma_f32 v[120:121], v[118:119], v[26:27], v[120:121] op_sel_hi:[1,1,0] neg_lo:[0,0,1] neg_hi:[0,0,1]
	v_mul_f32_e32 v118, v119, v112
	v_pk_add_f32 v[38:39], v[38:39], v[122:123] neg_lo:[0,1] neg_hi:[0,1]
	s_delay_alu instid0(VALU_DEP_2) | instskip(NEXT) | instid1(VALU_DEP_1)
	v_pk_fma_f32 v[116:117], v[116:117], v[26:27], v[118:119] op_sel_hi:[1,1,0]
	v_mov_b32_e32 v121, v117
	ds_load_2addr_b64 v[116:119], v148 offset0:11 offset1:12
	v_pk_add_f32 v[40:41], v[40:41], v[120:121] neg_lo:[0,1] neg_hi:[0,1]
	s_wait_dscnt 0x0
	v_pk_mul_f32 v[120:121], v[116:117], v[114:115] op_sel:[0,1]
	s_delay_alu instid0(VALU_DEP_1) | instskip(SKIP_1) | instid1(VALU_DEP_1)
	v_pk_fma_f32 v[122:123], v[116:117], v[112:113], v[120:121] op_sel:[0,0,1] op_sel_hi:[1,1,0] neg_lo:[0,0,1] neg_hi:[0,0,1]
	v_pk_fma_f32 v[116:117], v[116:117], v[112:113], v[120:121] op_sel:[0,0,1] op_sel_hi:[1,0,0]
	v_mov_b32_e32 v123, v117
	v_pk_mul_f32 v[116:117], v[118:119], v[114:115] op_sel:[0,1]
	s_delay_alu instid0(VALU_DEP_1) | instskip(SKIP_1) | instid1(VALU_DEP_1)
	v_pk_fma_f32 v[120:121], v[118:119], v[112:113], v[116:117] op_sel:[0,0,1] op_sel_hi:[1,1,0] neg_lo:[0,0,1] neg_hi:[0,0,1]
	v_pk_fma_f32 v[116:117], v[118:119], v[112:113], v[116:117] op_sel:[0,0,1] op_sel_hi:[1,0,0]
	v_mov_b32_e32 v121, v117
	ds_load_2addr_b64 v[116:119], v148 offset0:13 offset1:14
	v_pk_add_f32 v[36:37], v[36:37], v[122:123] neg_lo:[0,1] neg_hi:[0,1]
	v_pk_add_f32 v[70:71], v[70:71], v[120:121] neg_lo:[0,1] neg_hi:[0,1]
	s_wait_dscnt 0x0
	v_pk_mul_f32 v[120:121], v[116:117], v[114:115] op_sel:[0,1]
	s_delay_alu instid0(VALU_DEP_1) | instskip(SKIP_1) | instid1(VALU_DEP_1)
	v_pk_fma_f32 v[122:123], v[116:117], v[112:113], v[120:121] op_sel:[0,0,1] op_sel_hi:[1,1,0] neg_lo:[0,0,1] neg_hi:[0,0,1]
	v_pk_fma_f32 v[116:117], v[116:117], v[112:113], v[120:121] op_sel:[0,0,1] op_sel_hi:[1,0,0]
	v_mov_b32_e32 v123, v117
	v_pk_mul_f32 v[116:117], v[118:119], v[114:115] op_sel:[0,1]
	s_delay_alu instid0(VALU_DEP_1) | instskip(SKIP_1) | instid1(VALU_DEP_1)
	v_pk_fma_f32 v[120:121], v[118:119], v[112:113], v[116:117] op_sel:[0,0,1] op_sel_hi:[1,1,0] neg_lo:[0,0,1] neg_hi:[0,0,1]
	v_pk_fma_f32 v[116:117], v[118:119], v[112:113], v[116:117] op_sel:[0,0,1] op_sel_hi:[1,0,0]
	v_mov_b32_e32 v121, v117
	ds_load_2addr_b64 v[116:119], v148 offset0:15 offset1:16
	v_pk_add_f32 v[66:67], v[66:67], v[122:123] neg_lo:[0,1] neg_hi:[0,1]
	v_pk_add_f32 v[68:69], v[68:69], v[120:121] neg_lo:[0,1] neg_hi:[0,1]
	s_wait_dscnt 0x0
	v_dual_mul_f32 v120, v117, v115 :: v_dual_mul_f32 v122, v117, v112
	s_delay_alu instid0(VALU_DEP_1) | instskip(NEXT) | instid1(VALU_DEP_2)
	v_pk_fma_f32 v[120:121], v[116:117], v[26:27], v[120:121] op_sel_hi:[1,1,0] neg_lo:[0,0,1] neg_hi:[0,0,1]
	v_pk_fma_f32 v[116:117], v[116:117], v[26:27], v[122:123] op_sel:[1,0,0] op_sel_hi:[0,1,0]
	s_delay_alu instid0(VALU_DEP_1) | instskip(SKIP_1) | instid1(VALU_DEP_2)
	v_mov_b32_e32 v121, v117
	v_pk_mul_f32 v[116:117], v[118:119], v[114:115] op_sel:[0,1]
	v_pk_add_f32 v[64:65], v[64:65], v[120:121] neg_lo:[0,1] neg_hi:[0,1]
	s_delay_alu instid0(VALU_DEP_2) | instskip(SKIP_1) | instid1(VALU_DEP_1)
	v_pk_fma_f32 v[120:121], v[118:119], v[112:113], v[116:117] op_sel:[0,0,1] op_sel_hi:[1,1,0] neg_lo:[0,0,1] neg_hi:[0,0,1]
	v_pk_fma_f32 v[116:117], v[118:119], v[112:113], v[116:117] op_sel:[0,0,1] op_sel_hi:[1,0,0]
	v_mov_b32_e32 v121, v117
	ds_load_2addr_b64 v[116:119], v148 offset0:17 offset1:18
	v_pk_add_f32 v[88:89], v[88:89], v[120:121] neg_lo:[0,1] neg_hi:[0,1]
	s_wait_dscnt 0x0
	v_pk_mul_f32 v[120:121], v[116:117], v[114:115] op_sel:[0,1]
	s_delay_alu instid0(VALU_DEP_1) | instskip(SKIP_1) | instid1(VALU_DEP_1)
	v_pk_fma_f32 v[122:123], v[116:117], v[112:113], v[120:121] op_sel:[0,0,1] op_sel_hi:[1,1,0] neg_lo:[0,0,1] neg_hi:[0,0,1]
	v_pk_fma_f32 v[116:117], v[116:117], v[112:113], v[120:121] op_sel:[0,0,1] op_sel_hi:[1,0,0]
	v_mov_b32_e32 v123, v117
	v_pk_mul_f32 v[116:117], v[118:119], v[114:115] op_sel:[0,1]
	s_delay_alu instid0(VALU_DEP_2) | instskip(NEXT) | instid1(VALU_DEP_2)
	v_pk_add_f32 v[84:85], v[84:85], v[122:123] neg_lo:[0,1] neg_hi:[0,1]
	v_pk_fma_f32 v[120:121], v[118:119], v[112:113], v[116:117] op_sel:[0,0,1] op_sel_hi:[1,1,0] neg_lo:[0,0,1] neg_hi:[0,0,1]
	v_pk_fma_f32 v[116:117], v[118:119], v[112:113], v[116:117] op_sel:[0,0,1] op_sel_hi:[1,0,0]
	s_delay_alu instid0(VALU_DEP_1) | instskip(SKIP_4) | instid1(VALU_DEP_1)
	v_mov_b32_e32 v121, v117
	ds_load_2addr_b64 v[116:119], v148 offset0:19 offset1:20
	v_pk_add_f32 v[86:87], v[86:87], v[120:121] neg_lo:[0,1] neg_hi:[0,1]
	s_wait_dscnt 0x0
	v_pk_mul_f32 v[120:121], v[116:117], v[114:115] op_sel:[0,1]
	v_pk_fma_f32 v[122:123], v[116:117], v[112:113], v[120:121] op_sel:[0,0,1] op_sel_hi:[1,1,0] neg_lo:[0,0,1] neg_hi:[0,0,1]
	v_pk_fma_f32 v[116:117], v[116:117], v[112:113], v[120:121] op_sel:[0,0,1] op_sel_hi:[1,0,0]
	v_dual_mul_f32 v120, v119, v115 :: v_dual_mov_b32 v116, v119
	s_delay_alu instid0(VALU_DEP_2) | instskip(NEXT) | instid1(VALU_DEP_2)
	v_dual_mov_b32 v123, v117 :: v_dual_mov_b32 v117, v118
	v_pk_fma_f32 v[120:121], v[118:119], v[26:27], v[120:121] op_sel_hi:[1,1,0] neg_lo:[0,0,1] neg_hi:[0,0,1]
	v_mul_f32_e32 v118, v119, v112
	s_delay_alu instid0(VALU_DEP_3) | instskip(NEXT) | instid1(VALU_DEP_2)
	v_pk_add_f32 v[82:83], v[82:83], v[122:123] neg_lo:[0,1] neg_hi:[0,1]
	v_pk_fma_f32 v[116:117], v[116:117], v[26:27], v[118:119] op_sel_hi:[1,1,0]
	s_delay_alu instid0(VALU_DEP_1) | instskip(SKIP_4) | instid1(VALU_DEP_1)
	v_mov_b32_e32 v121, v117
	ds_load_2addr_b64 v[116:119], v148 offset0:21 offset1:22
	v_pk_add_f32 v[94:95], v[94:95], v[120:121] neg_lo:[0,1] neg_hi:[0,1]
	s_wait_dscnt 0x0
	v_pk_mul_f32 v[120:121], v[116:117], v[114:115] op_sel:[0,1]
	v_pk_fma_f32 v[122:123], v[116:117], v[112:113], v[120:121] op_sel:[0,0,1] op_sel_hi:[1,1,0] neg_lo:[0,0,1] neg_hi:[0,0,1]
	v_pk_fma_f32 v[116:117], v[116:117], v[112:113], v[120:121] op_sel:[0,0,1] op_sel_hi:[1,0,0]
	s_delay_alu instid0(VALU_DEP_1) | instskip(SKIP_1) | instid1(VALU_DEP_1)
	v_mov_b32_e32 v123, v117
	v_pk_mul_f32 v[116:117], v[118:119], v[114:115] op_sel:[0,1]
	v_pk_fma_f32 v[120:121], v[118:119], v[112:113], v[116:117] op_sel:[0,0,1] op_sel_hi:[1,1,0] neg_lo:[0,0,1] neg_hi:[0,0,1]
	v_pk_fma_f32 v[116:117], v[118:119], v[112:113], v[116:117] op_sel:[0,0,1] op_sel_hi:[1,0,0]
	s_delay_alu instid0(VALU_DEP_1)
	v_mov_b32_e32 v121, v117
	ds_load_b64 v[116:117], v148 offset:184
	v_pk_add_f32 v[92:93], v[92:93], v[122:123] neg_lo:[0,1] neg_hi:[0,1]
	v_pk_add_f32 v[90:91], v[90:91], v[120:121] neg_lo:[0,1] neg_hi:[0,1]
	s_wait_dscnt 0x0
	v_pk_mul_f32 v[114:115], v[116:117], v[114:115] op_sel:[0,1]
	s_delay_alu instid0(VALU_DEP_1) | instskip(SKIP_1) | instid1(VALU_DEP_1)
	v_pk_fma_f32 v[118:119], v[116:117], v[112:113], v[114:115] op_sel:[0,0,1] op_sel_hi:[1,1,0] neg_lo:[0,0,1] neg_hi:[0,0,1]
	v_pk_fma_f32 v[112:113], v[116:117], v[112:113], v[114:115] op_sel:[0,0,1] op_sel_hi:[1,0,0]
	v_mov_b32_e32 v119, v113
	s_delay_alu instid0(VALU_DEP_1)
	v_pk_add_f32 v[96:97], v[96:97], v[118:119] neg_lo:[0,1] neg_hi:[0,1]
.LBB47_64:
	s_or_b32 exec_lo, exec_lo, s1
	s_delay_alu instid0(SALU_CYCLE_1)
	s_mov_b32 s2, exec_lo
	s_wait_dscnt 0x0
	s_barrier_signal -1
	s_barrier_wait -1
	v_cmpx_eq_u32_e32 7, v146
	s_cbranch_execz .LBB47_71
; %bb.65:
	v_dual_mov_b32 v112, v42 :: v_dual_mov_b32 v113, v43
	v_dual_mov_b32 v114, v38 :: v_dual_mov_b32 v115, v39
	ds_store_b64 v147, v[22:23]
	ds_store_2addr_b64 v148, v[112:113], v[114:115] offset0:8 offset1:9
	v_dual_mov_b32 v112, v40 :: v_dual_mov_b32 v113, v41
	v_dual_mov_b32 v114, v36 :: v_dual_mov_b32 v115, v37
	ds_store_2addr_b64 v148, v[112:113], v[114:115] offset0:10 offset1:11
	v_dual_mov_b32 v112, v70 :: v_dual_mov_b32 v113, v71
	v_dual_mov_b32 v114, v66 :: v_dual_mov_b32 v115, v67
	;; [unrolled: 3-line block ×6, first 2 shown]
	ds_store_2addr_b64 v148, v[112:113], v[114:115] offset0:20 offset1:21
	v_dual_mov_b32 v112, v90 :: v_dual_mov_b32 v113, v91
	ds_store_2addr_b64 v148, v[112:113], v[96:97] offset0:22 offset1:23
	ds_load_b64 v[112:113], v147
	s_wait_dscnt 0x0
	v_cmp_neq_f32_e32 vcc_lo, 0, v112
	v_cmp_neq_f32_e64 s1, 0, v113
	s_or_b32 s1, vcc_lo, s1
	s_delay_alu instid0(SALU_CYCLE_1)
	s_and_b32 exec_lo, exec_lo, s1
	s_cbranch_execz .LBB47_71
; %bb.66:
	v_cmp_ngt_f32_e64 s1, |v112|, |v113|
                                        ; implicit-def: $vgpr114_vgpr115
	s_and_saveexec_b32 s4, s1
	s_delay_alu instid0(SALU_CYCLE_1)
	s_xor_b32 s1, exec_lo, s4
	s_cbranch_execz .LBB47_68
; %bb.67:
	v_div_scale_f32 v114, null, v113, v113, v112
	v_div_scale_f32 v117, vcc_lo, v112, v113, v112
	s_delay_alu instid0(VALU_DEP_2) | instskip(SKIP_1) | instid1(TRANS32_DEP_1)
	v_rcp_f32_e32 v115, v114
	v_nop
	v_fma_f32 v116, -v114, v115, 1.0
	s_delay_alu instid0(VALU_DEP_1) | instskip(NEXT) | instid1(VALU_DEP_1)
	v_fmac_f32_e32 v115, v116, v115
	v_mul_f32_e32 v116, v117, v115
	s_delay_alu instid0(VALU_DEP_1) | instskip(NEXT) | instid1(VALU_DEP_1)
	v_fma_f32 v118, -v114, v116, v117
	v_fmac_f32_e32 v116, v118, v115
	s_delay_alu instid0(VALU_DEP_1) | instskip(NEXT) | instid1(VALU_DEP_1)
	v_fma_f32 v114, -v114, v116, v117
	v_div_fmas_f32 v114, v114, v115, v116
	s_delay_alu instid0(VALU_DEP_1) | instskip(NEXT) | instid1(VALU_DEP_1)
	v_div_fixup_f32 v114, v114, v113, v112
	v_fmac_f32_e32 v113, v112, v114
	s_delay_alu instid0(VALU_DEP_1) | instskip(SKIP_1) | instid1(VALU_DEP_2)
	v_div_scale_f32 v112, null, v113, v113, 1.0
	v_div_scale_f32 v117, vcc_lo, 1.0, v113, 1.0
	v_rcp_f32_e32 v115, v112
	v_nop
	s_delay_alu instid0(TRANS32_DEP_1) | instskip(NEXT) | instid1(VALU_DEP_1)
	v_fma_f32 v116, -v112, v115, 1.0
	v_fmac_f32_e32 v115, v116, v115
	s_delay_alu instid0(VALU_DEP_1) | instskip(NEXT) | instid1(VALU_DEP_1)
	v_mul_f32_e32 v116, v117, v115
	v_fma_f32 v118, -v112, v116, v117
	s_delay_alu instid0(VALU_DEP_1) | instskip(NEXT) | instid1(VALU_DEP_1)
	v_fmac_f32_e32 v116, v118, v115
	v_fma_f32 v112, -v112, v116, v117
	s_delay_alu instid0(VALU_DEP_1) | instskip(NEXT) | instid1(VALU_DEP_1)
	v_div_fmas_f32 v112, v112, v115, v116
	v_div_fixup_f32 v112, v112, v113, 1.0
	s_delay_alu instid0(VALU_DEP_1)
	v_mul_f32_e32 v114, v114, v112
	v_xor_b32_e32 v115, 0x80000000, v112
                                        ; implicit-def: $vgpr112_vgpr113
.LBB47_68:
	s_and_not1_saveexec_b32 s1, s1
	s_cbranch_execz .LBB47_70
; %bb.69:
	v_div_scale_f32 v114, null, v112, v112, v113
	v_div_scale_f32 v117, vcc_lo, v113, v112, v113
	s_delay_alu instid0(VALU_DEP_2) | instskip(SKIP_1) | instid1(TRANS32_DEP_1)
	v_rcp_f32_e32 v115, v114
	v_nop
	v_fma_f32 v116, -v114, v115, 1.0
	s_delay_alu instid0(VALU_DEP_1) | instskip(NEXT) | instid1(VALU_DEP_1)
	v_fmac_f32_e32 v115, v116, v115
	v_mul_f32_e32 v116, v117, v115
	s_delay_alu instid0(VALU_DEP_1) | instskip(NEXT) | instid1(VALU_DEP_1)
	v_fma_f32 v118, -v114, v116, v117
	v_fmac_f32_e32 v116, v118, v115
	s_delay_alu instid0(VALU_DEP_1) | instskip(NEXT) | instid1(VALU_DEP_1)
	v_fma_f32 v114, -v114, v116, v117
	v_div_fmas_f32 v114, v114, v115, v116
	s_delay_alu instid0(VALU_DEP_1) | instskip(NEXT) | instid1(VALU_DEP_1)
	v_div_fixup_f32 v115, v114, v112, v113
	v_fmac_f32_e32 v112, v113, v115
	s_delay_alu instid0(VALU_DEP_1) | instskip(NEXT) | instid1(VALU_DEP_1)
	v_div_scale_f32 v113, null, v112, v112, 1.0
	v_rcp_f32_e32 v114, v113
	v_nop
	s_delay_alu instid0(TRANS32_DEP_1) | instskip(NEXT) | instid1(VALU_DEP_1)
	v_fma_f32 v116, -v113, v114, 1.0
	v_fmac_f32_e32 v114, v116, v114
	v_div_scale_f32 v116, vcc_lo, 1.0, v112, 1.0
	s_delay_alu instid0(VALU_DEP_1) | instskip(NEXT) | instid1(VALU_DEP_1)
	v_mul_f32_e32 v117, v116, v114
	v_fma_f32 v118, -v113, v117, v116
	s_delay_alu instid0(VALU_DEP_1) | instskip(NEXT) | instid1(VALU_DEP_1)
	v_fmac_f32_e32 v117, v118, v114
	v_fma_f32 v113, -v113, v117, v116
	s_delay_alu instid0(VALU_DEP_1) | instskip(NEXT) | instid1(VALU_DEP_1)
	v_div_fmas_f32 v113, v113, v114, v117
	v_div_fixup_f32 v114, v113, v112, 1.0
	s_delay_alu instid0(VALU_DEP_1)
	v_mul_f32_e64 v115, v115, -v114
.LBB47_70:
	s_or_b32 exec_lo, exec_lo, s1
	ds_store_b64 v147, v[114:115]
.LBB47_71:
	s_or_b32 exec_lo, exec_lo, s2
	s_wait_dscnt 0x0
	s_barrier_signal -1
	s_barrier_wait -1
	ds_load_b64 v[112:113], v147
	s_mov_b32 s1, exec_lo
	v_cmpx_lt_u32_e32 7, v146
	s_cbranch_execz .LBB47_73
; %bb.72:
	ds_load_2addr_b64 v[118:121], v148 offset0:8 offset1:9
	s_wait_dscnt 0x1
	v_pk_mul_f32 v[116:117], v[112:113], v[22:23] op_sel:[1,1] op_sel_hi:[0,1]
	s_delay_alu instid0(VALU_DEP_1) | instskip(SKIP_1) | instid1(VALU_DEP_1)
	v_pk_fma_f32 v[114:115], v[112:113], v[22:23], v[116:117] op_sel_hi:[1,0,1] neg_lo:[0,0,1] neg_hi:[0,0,1]
	v_pk_fma_f32 v[116:117], v[112:113], v[22:23], v[116:117] op_sel_hi:[1,0,1]
	v_dual_mov_b32 v22, v114 :: v_dual_mov_b32 v23, v117
	s_wait_dscnt 0x0
	s_delay_alu instid0(VALU_DEP_2) | instskip(NEXT) | instid1(VALU_DEP_1)
	v_pk_mul_f32 v[122:123], v[118:119], v[116:117] op_sel:[0,1]
	v_pk_fma_f32 v[124:125], v[118:119], v[114:115], v[122:123] op_sel:[0,0,1] op_sel_hi:[1,1,0] neg_lo:[0,0,1] neg_hi:[0,0,1]
	v_pk_fma_f32 v[118:119], v[118:119], v[114:115], v[122:123] op_sel:[0,0,1] op_sel_hi:[1,0,0]
	s_delay_alu instid0(VALU_DEP_1) | instskip(SKIP_1) | instid1(VALU_DEP_1)
	v_mov_b32_e32 v125, v119
	v_pk_mul_f32 v[118:119], v[120:121], v[116:117] op_sel:[0,1]
	v_pk_fma_f32 v[122:123], v[120:121], v[114:115], v[118:119] op_sel:[0,0,1] op_sel_hi:[1,1,0] neg_lo:[0,0,1] neg_hi:[0,0,1]
	v_pk_fma_f32 v[118:119], v[120:121], v[114:115], v[118:119] op_sel:[0,0,1] op_sel_hi:[1,0,0]
	s_delay_alu instid0(VALU_DEP_1)
	v_mov_b32_e32 v123, v119
	ds_load_2addr_b64 v[118:121], v148 offset0:10 offset1:11
	v_pk_add_f32 v[42:43], v[42:43], v[124:125] neg_lo:[0,1] neg_hi:[0,1]
	v_pk_add_f32 v[38:39], v[38:39], v[122:123] neg_lo:[0,1] neg_hi:[0,1]
	s_wait_dscnt 0x0
	v_pk_mul_f32 v[122:123], v[118:119], v[116:117] op_sel:[0,1]
	s_delay_alu instid0(VALU_DEP_1) | instskip(SKIP_2) | instid1(VALU_DEP_2)
	v_pk_fma_f32 v[124:125], v[118:119], v[114:115], v[122:123] op_sel:[0,0,1] op_sel_hi:[1,1,0] neg_lo:[0,0,1] neg_hi:[0,0,1]
	v_pk_fma_f32 v[118:119], v[118:119], v[114:115], v[122:123] op_sel:[0,0,1] op_sel_hi:[1,0,0]
	v_dual_mul_f32 v122, v121, v117 :: v_dual_mov_b32 v118, v121
	v_dual_mov_b32 v125, v119 :: v_dual_mov_b32 v119, v120
	s_delay_alu instid0(VALU_DEP_2) | instskip(SKIP_1) | instid1(VALU_DEP_3)
	v_pk_fma_f32 v[122:123], v[120:121], v[22:23], v[122:123] op_sel_hi:[1,1,0] neg_lo:[0,0,1] neg_hi:[0,0,1]
	v_mul_f32_e32 v120, v121, v114
	v_pk_add_f32 v[40:41], v[40:41], v[124:125] neg_lo:[0,1] neg_hi:[0,1]
	s_delay_alu instid0(VALU_DEP_2) | instskip(NEXT) | instid1(VALU_DEP_1)
	v_pk_fma_f32 v[118:119], v[118:119], v[22:23], v[120:121] op_sel_hi:[1,1,0]
	v_mov_b32_e32 v123, v119
	ds_load_2addr_b64 v[118:121], v148 offset0:12 offset1:13
	v_pk_add_f32 v[36:37], v[36:37], v[122:123] neg_lo:[0,1] neg_hi:[0,1]
	s_wait_dscnt 0x0
	v_pk_mul_f32 v[122:123], v[118:119], v[116:117] op_sel:[0,1]
	s_delay_alu instid0(VALU_DEP_1) | instskip(SKIP_1) | instid1(VALU_DEP_1)
	v_pk_fma_f32 v[124:125], v[118:119], v[114:115], v[122:123] op_sel:[0,0,1] op_sel_hi:[1,1,0] neg_lo:[0,0,1] neg_hi:[0,0,1]
	v_pk_fma_f32 v[118:119], v[118:119], v[114:115], v[122:123] op_sel:[0,0,1] op_sel_hi:[1,0,0]
	v_mov_b32_e32 v125, v119
	v_pk_mul_f32 v[118:119], v[120:121], v[116:117] op_sel:[0,1]
	s_delay_alu instid0(VALU_DEP_1) | instskip(SKIP_1) | instid1(VALU_DEP_1)
	v_pk_fma_f32 v[122:123], v[120:121], v[114:115], v[118:119] op_sel:[0,0,1] op_sel_hi:[1,1,0] neg_lo:[0,0,1] neg_hi:[0,0,1]
	v_pk_fma_f32 v[118:119], v[120:121], v[114:115], v[118:119] op_sel:[0,0,1] op_sel_hi:[1,0,0]
	v_mov_b32_e32 v123, v119
	ds_load_2addr_b64 v[118:121], v148 offset0:14 offset1:15
	v_pk_add_f32 v[70:71], v[70:71], v[124:125] neg_lo:[0,1] neg_hi:[0,1]
	v_pk_add_f32 v[66:67], v[66:67], v[122:123] neg_lo:[0,1] neg_hi:[0,1]
	s_wait_dscnt 0x0
	v_pk_mul_f32 v[122:123], v[118:119], v[116:117] op_sel:[0,1]
	s_delay_alu instid0(VALU_DEP_1) | instskip(SKIP_1) | instid1(VALU_DEP_1)
	v_pk_fma_f32 v[124:125], v[118:119], v[114:115], v[122:123] op_sel:[0,0,1] op_sel_hi:[1,1,0] neg_lo:[0,0,1] neg_hi:[0,0,1]
	v_pk_fma_f32 v[118:119], v[118:119], v[114:115], v[122:123] op_sel:[0,0,1] op_sel_hi:[1,0,0]
	v_mov_b32_e32 v125, v119
	v_pk_mul_f32 v[118:119], v[120:121], v[116:117] op_sel:[0,1]
	s_delay_alu instid0(VALU_DEP_1) | instskip(SKIP_1) | instid1(VALU_DEP_1)
	v_pk_fma_f32 v[122:123], v[120:121], v[114:115], v[118:119] op_sel:[0,0,1] op_sel_hi:[1,1,0] neg_lo:[0,0,1] neg_hi:[0,0,1]
	v_pk_fma_f32 v[118:119], v[120:121], v[114:115], v[118:119] op_sel:[0,0,1] op_sel_hi:[1,0,0]
	v_mov_b32_e32 v123, v119
	ds_load_2addr_b64 v[118:121], v148 offset0:16 offset1:17
	v_pk_add_f32 v[68:69], v[68:69], v[124:125] neg_lo:[0,1] neg_hi:[0,1]
	v_pk_add_f32 v[64:65], v[64:65], v[122:123] neg_lo:[0,1] neg_hi:[0,1]
	s_wait_dscnt 0x0
	v_dual_mul_f32 v122, v119, v117 :: v_dual_mul_f32 v124, v119, v114
	s_delay_alu instid0(VALU_DEP_1) | instskip(NEXT) | instid1(VALU_DEP_2)
	v_pk_fma_f32 v[122:123], v[118:119], v[22:23], v[122:123] op_sel_hi:[1,1,0] neg_lo:[0,0,1] neg_hi:[0,0,1]
	v_pk_fma_f32 v[118:119], v[118:119], v[22:23], v[124:125] op_sel:[1,0,0] op_sel_hi:[0,1,0]
	s_delay_alu instid0(VALU_DEP_1) | instskip(SKIP_1) | instid1(VALU_DEP_2)
	v_mov_b32_e32 v123, v119
	v_pk_mul_f32 v[118:119], v[120:121], v[116:117] op_sel:[0,1]
	v_pk_add_f32 v[88:89], v[88:89], v[122:123] neg_lo:[0,1] neg_hi:[0,1]
	s_delay_alu instid0(VALU_DEP_2) | instskip(SKIP_1) | instid1(VALU_DEP_1)
	v_pk_fma_f32 v[122:123], v[120:121], v[114:115], v[118:119] op_sel:[0,0,1] op_sel_hi:[1,1,0] neg_lo:[0,0,1] neg_hi:[0,0,1]
	v_pk_fma_f32 v[118:119], v[120:121], v[114:115], v[118:119] op_sel:[0,0,1] op_sel_hi:[1,0,0]
	v_mov_b32_e32 v123, v119
	ds_load_2addr_b64 v[118:121], v148 offset0:18 offset1:19
	v_pk_add_f32 v[84:85], v[84:85], v[122:123] neg_lo:[0,1] neg_hi:[0,1]
	s_wait_dscnt 0x0
	v_pk_mul_f32 v[122:123], v[118:119], v[116:117] op_sel:[0,1]
	s_delay_alu instid0(VALU_DEP_1) | instskip(SKIP_1) | instid1(VALU_DEP_1)
	v_pk_fma_f32 v[124:125], v[118:119], v[114:115], v[122:123] op_sel:[0,0,1] op_sel_hi:[1,1,0] neg_lo:[0,0,1] neg_hi:[0,0,1]
	v_pk_fma_f32 v[118:119], v[118:119], v[114:115], v[122:123] op_sel:[0,0,1] op_sel_hi:[1,0,0]
	v_mov_b32_e32 v125, v119
	v_pk_mul_f32 v[118:119], v[120:121], v[116:117] op_sel:[0,1]
	s_delay_alu instid0(VALU_DEP_2) | instskip(NEXT) | instid1(VALU_DEP_2)
	v_pk_add_f32 v[86:87], v[86:87], v[124:125] neg_lo:[0,1] neg_hi:[0,1]
	v_pk_fma_f32 v[122:123], v[120:121], v[114:115], v[118:119] op_sel:[0,0,1] op_sel_hi:[1,1,0] neg_lo:[0,0,1] neg_hi:[0,0,1]
	v_pk_fma_f32 v[118:119], v[120:121], v[114:115], v[118:119] op_sel:[0,0,1] op_sel_hi:[1,0,0]
	s_delay_alu instid0(VALU_DEP_1) | instskip(SKIP_4) | instid1(VALU_DEP_1)
	v_mov_b32_e32 v123, v119
	ds_load_2addr_b64 v[118:121], v148 offset0:20 offset1:21
	v_pk_add_f32 v[82:83], v[82:83], v[122:123] neg_lo:[0,1] neg_hi:[0,1]
	s_wait_dscnt 0x0
	v_pk_mul_f32 v[122:123], v[118:119], v[116:117] op_sel:[0,1]
	v_pk_fma_f32 v[124:125], v[118:119], v[114:115], v[122:123] op_sel:[0,0,1] op_sel_hi:[1,1,0] neg_lo:[0,0,1] neg_hi:[0,0,1]
	v_pk_fma_f32 v[118:119], v[118:119], v[114:115], v[122:123] op_sel:[0,0,1] op_sel_hi:[1,0,0]
	v_dual_mul_f32 v122, v121, v117 :: v_dual_mov_b32 v118, v121
	s_delay_alu instid0(VALU_DEP_2) | instskip(NEXT) | instid1(VALU_DEP_2)
	v_dual_mov_b32 v125, v119 :: v_dual_mov_b32 v119, v120
	v_pk_fma_f32 v[122:123], v[120:121], v[22:23], v[122:123] op_sel_hi:[1,1,0] neg_lo:[0,0,1] neg_hi:[0,0,1]
	v_mul_f32_e32 v120, v121, v114
	s_delay_alu instid0(VALU_DEP_3) | instskip(NEXT) | instid1(VALU_DEP_2)
	v_pk_add_f32 v[94:95], v[94:95], v[124:125] neg_lo:[0,1] neg_hi:[0,1]
	v_pk_fma_f32 v[118:119], v[118:119], v[22:23], v[120:121] op_sel_hi:[1,1,0]
	s_delay_alu instid0(VALU_DEP_1)
	v_mov_b32_e32 v123, v119
	ds_load_2addr_b64 v[118:121], v148 offset0:22 offset1:23
	v_pk_add_f32 v[92:93], v[92:93], v[122:123] neg_lo:[0,1] neg_hi:[0,1]
	s_wait_dscnt 0x0
	v_pk_mul_f32 v[122:123], v[118:119], v[116:117] op_sel:[0,1]
	v_pk_mul_f32 v[116:117], v[120:121], v[116:117] op_sel:[0,1]
	s_delay_alu instid0(VALU_DEP_2) | instskip(SKIP_1) | instid1(VALU_DEP_1)
	v_pk_fma_f32 v[124:125], v[118:119], v[114:115], v[122:123] op_sel:[0,0,1] op_sel_hi:[1,1,0] neg_lo:[0,0,1] neg_hi:[0,0,1]
	v_pk_fma_f32 v[118:119], v[118:119], v[114:115], v[122:123] op_sel:[0,0,1] op_sel_hi:[1,0,0]
	v_mov_b32_e32 v125, v119
	s_delay_alu instid0(VALU_DEP_4) | instskip(SKIP_1) | instid1(VALU_DEP_1)
	v_pk_fma_f32 v[118:119], v[120:121], v[114:115], v[116:117] op_sel:[0,0,1] op_sel_hi:[1,1,0] neg_lo:[0,0,1] neg_hi:[0,0,1]
	v_pk_fma_f32 v[114:115], v[120:121], v[114:115], v[116:117] op_sel:[0,0,1] op_sel_hi:[1,0,0]
	v_mov_b32_e32 v119, v115
	s_delay_alu instid0(VALU_DEP_4) | instskip(NEXT) | instid1(VALU_DEP_2)
	v_pk_add_f32 v[90:91], v[90:91], v[124:125] neg_lo:[0,1] neg_hi:[0,1]
	v_pk_add_f32 v[96:97], v[96:97], v[118:119] neg_lo:[0,1] neg_hi:[0,1]
.LBB47_73:
	s_or_b32 exec_lo, exec_lo, s1
	s_delay_alu instid0(SALU_CYCLE_1)
	s_mov_b32 s2, exec_lo
	s_wait_dscnt 0x0
	s_barrier_signal -1
	s_barrier_wait -1
	v_cmpx_eq_u32_e32 8, v146
	s_cbranch_execz .LBB47_80
; %bb.74:
	ds_store_b64 v147, v[42:43]
	ds_store_2addr_b64 v148, v[38:39], v[40:41] offset0:9 offset1:10
	ds_store_2addr_b64 v148, v[36:37], v[70:71] offset0:11 offset1:12
	;; [unrolled: 1-line block ×7, first 2 shown]
	ds_store_b64 v148, v[96:97] offset:184
	ds_load_b64 v[114:115], v147
	s_wait_dscnt 0x0
	v_cmp_neq_f32_e32 vcc_lo, 0, v114
	v_cmp_neq_f32_e64 s1, 0, v115
	s_or_b32 s1, vcc_lo, s1
	s_delay_alu instid0(SALU_CYCLE_1)
	s_and_b32 exec_lo, exec_lo, s1
	s_cbranch_execz .LBB47_80
; %bb.75:
	v_cmp_ngt_f32_e64 s1, |v114|, |v115|
                                        ; implicit-def: $vgpr116_vgpr117
	s_and_saveexec_b32 s4, s1
	s_delay_alu instid0(SALU_CYCLE_1)
	s_xor_b32 s1, exec_lo, s4
	s_cbranch_execz .LBB47_77
; %bb.76:
	v_div_scale_f32 v116, null, v115, v115, v114
	v_div_scale_f32 v119, vcc_lo, v114, v115, v114
	s_delay_alu instid0(VALU_DEP_2) | instskip(SKIP_1) | instid1(TRANS32_DEP_1)
	v_rcp_f32_e32 v117, v116
	v_nop
	v_fma_f32 v118, -v116, v117, 1.0
	s_delay_alu instid0(VALU_DEP_1) | instskip(NEXT) | instid1(VALU_DEP_1)
	v_fmac_f32_e32 v117, v118, v117
	v_mul_f32_e32 v118, v119, v117
	s_delay_alu instid0(VALU_DEP_1) | instskip(NEXT) | instid1(VALU_DEP_1)
	v_fma_f32 v120, -v116, v118, v119
	v_fmac_f32_e32 v118, v120, v117
	s_delay_alu instid0(VALU_DEP_1) | instskip(NEXT) | instid1(VALU_DEP_1)
	v_fma_f32 v116, -v116, v118, v119
	v_div_fmas_f32 v116, v116, v117, v118
	s_delay_alu instid0(VALU_DEP_1) | instskip(NEXT) | instid1(VALU_DEP_1)
	v_div_fixup_f32 v116, v116, v115, v114
	v_fmac_f32_e32 v115, v114, v116
	s_delay_alu instid0(VALU_DEP_1) | instskip(SKIP_1) | instid1(VALU_DEP_2)
	v_div_scale_f32 v114, null, v115, v115, 1.0
	v_div_scale_f32 v119, vcc_lo, 1.0, v115, 1.0
	v_rcp_f32_e32 v117, v114
	v_nop
	s_delay_alu instid0(TRANS32_DEP_1) | instskip(NEXT) | instid1(VALU_DEP_1)
	v_fma_f32 v118, -v114, v117, 1.0
	v_fmac_f32_e32 v117, v118, v117
	s_delay_alu instid0(VALU_DEP_1) | instskip(NEXT) | instid1(VALU_DEP_1)
	v_mul_f32_e32 v118, v119, v117
	v_fma_f32 v120, -v114, v118, v119
	s_delay_alu instid0(VALU_DEP_1) | instskip(NEXT) | instid1(VALU_DEP_1)
	v_fmac_f32_e32 v118, v120, v117
	v_fma_f32 v114, -v114, v118, v119
	s_delay_alu instid0(VALU_DEP_1) | instskip(NEXT) | instid1(VALU_DEP_1)
	v_div_fmas_f32 v114, v114, v117, v118
	v_div_fixup_f32 v114, v114, v115, 1.0
	s_delay_alu instid0(VALU_DEP_1)
	v_mul_f32_e32 v116, v116, v114
	v_xor_b32_e32 v117, 0x80000000, v114
                                        ; implicit-def: $vgpr114_vgpr115
.LBB47_77:
	s_and_not1_saveexec_b32 s1, s1
	s_cbranch_execz .LBB47_79
; %bb.78:
	v_div_scale_f32 v116, null, v114, v114, v115
	v_div_scale_f32 v119, vcc_lo, v115, v114, v115
	s_delay_alu instid0(VALU_DEP_2) | instskip(SKIP_1) | instid1(TRANS32_DEP_1)
	v_rcp_f32_e32 v117, v116
	v_nop
	v_fma_f32 v118, -v116, v117, 1.0
	s_delay_alu instid0(VALU_DEP_1) | instskip(NEXT) | instid1(VALU_DEP_1)
	v_fmac_f32_e32 v117, v118, v117
	v_mul_f32_e32 v118, v119, v117
	s_delay_alu instid0(VALU_DEP_1) | instskip(NEXT) | instid1(VALU_DEP_1)
	v_fma_f32 v120, -v116, v118, v119
	v_fmac_f32_e32 v118, v120, v117
	s_delay_alu instid0(VALU_DEP_1) | instskip(NEXT) | instid1(VALU_DEP_1)
	v_fma_f32 v116, -v116, v118, v119
	v_div_fmas_f32 v116, v116, v117, v118
	s_delay_alu instid0(VALU_DEP_1) | instskip(NEXT) | instid1(VALU_DEP_1)
	v_div_fixup_f32 v117, v116, v114, v115
	v_fmac_f32_e32 v114, v115, v117
	s_delay_alu instid0(VALU_DEP_1) | instskip(NEXT) | instid1(VALU_DEP_1)
	v_div_scale_f32 v115, null, v114, v114, 1.0
	v_rcp_f32_e32 v116, v115
	v_nop
	s_delay_alu instid0(TRANS32_DEP_1) | instskip(NEXT) | instid1(VALU_DEP_1)
	v_fma_f32 v118, -v115, v116, 1.0
	v_fmac_f32_e32 v116, v118, v116
	v_div_scale_f32 v118, vcc_lo, 1.0, v114, 1.0
	s_delay_alu instid0(VALU_DEP_1) | instskip(NEXT) | instid1(VALU_DEP_1)
	v_mul_f32_e32 v119, v118, v116
	v_fma_f32 v120, -v115, v119, v118
	s_delay_alu instid0(VALU_DEP_1) | instskip(NEXT) | instid1(VALU_DEP_1)
	v_fmac_f32_e32 v119, v120, v116
	v_fma_f32 v115, -v115, v119, v118
	s_delay_alu instid0(VALU_DEP_1) | instskip(NEXT) | instid1(VALU_DEP_1)
	v_div_fmas_f32 v115, v115, v116, v119
	v_div_fixup_f32 v116, v115, v114, 1.0
	s_delay_alu instid0(VALU_DEP_1)
	v_mul_f32_e64 v117, v117, -v116
.LBB47_79:
	s_or_b32 exec_lo, exec_lo, s1
	ds_store_b64 v147, v[116:117]
.LBB47_80:
	s_or_b32 exec_lo, exec_lo, s2
	s_wait_dscnt 0x0
	s_barrier_signal -1
	s_barrier_wait -1
	ds_load_b64 v[114:115], v147
	s_mov_b32 s1, exec_lo
	v_cmpx_lt_u32_e32 8, v146
	s_cbranch_execz .LBB47_82
; %bb.81:
	ds_load_2addr_b64 v[120:123], v148 offset0:9 offset1:10
	s_wait_dscnt 0x1
	v_pk_mul_f32 v[118:119], v[114:115], v[42:43] op_sel:[1,1] op_sel_hi:[0,1]
	s_delay_alu instid0(VALU_DEP_1) | instskip(SKIP_1) | instid1(VALU_DEP_1)
	v_pk_fma_f32 v[116:117], v[114:115], v[42:43], v[118:119] op_sel_hi:[1,0,1] neg_lo:[0,0,1] neg_hi:[0,0,1]
	v_pk_fma_f32 v[118:119], v[114:115], v[42:43], v[118:119] op_sel_hi:[1,0,1]
	v_dual_mov_b32 v42, v116 :: v_dual_mov_b32 v43, v119
	s_wait_dscnt 0x0
	s_delay_alu instid0(VALU_DEP_2) | instskip(NEXT) | instid1(VALU_DEP_1)
	v_pk_mul_f32 v[124:125], v[120:121], v[118:119] op_sel:[0,1]
	v_pk_fma_f32 v[126:127], v[120:121], v[116:117], v[124:125] op_sel:[0,0,1] op_sel_hi:[1,1,0] neg_lo:[0,0,1] neg_hi:[0,0,1]
	v_pk_fma_f32 v[120:121], v[120:121], v[116:117], v[124:125] op_sel:[0,0,1] op_sel_hi:[1,0,0]
	s_delay_alu instid0(VALU_DEP_1) | instskip(SKIP_1) | instid1(VALU_DEP_1)
	v_mov_b32_e32 v127, v121
	v_pk_mul_f32 v[120:121], v[122:123], v[118:119] op_sel:[0,1]
	v_pk_fma_f32 v[124:125], v[122:123], v[116:117], v[120:121] op_sel:[0,0,1] op_sel_hi:[1,1,0] neg_lo:[0,0,1] neg_hi:[0,0,1]
	v_pk_fma_f32 v[120:121], v[122:123], v[116:117], v[120:121] op_sel:[0,0,1] op_sel_hi:[1,0,0]
	s_delay_alu instid0(VALU_DEP_1)
	v_mov_b32_e32 v125, v121
	ds_load_2addr_b64 v[120:123], v148 offset0:11 offset1:12
	v_pk_add_f32 v[38:39], v[38:39], v[126:127] neg_lo:[0,1] neg_hi:[0,1]
	v_pk_add_f32 v[40:41], v[40:41], v[124:125] neg_lo:[0,1] neg_hi:[0,1]
	s_wait_dscnt 0x0
	v_pk_mul_f32 v[124:125], v[120:121], v[118:119] op_sel:[0,1]
	s_delay_alu instid0(VALU_DEP_1) | instskip(SKIP_2) | instid1(VALU_DEP_2)
	v_pk_fma_f32 v[126:127], v[120:121], v[116:117], v[124:125] op_sel:[0,0,1] op_sel_hi:[1,1,0] neg_lo:[0,0,1] neg_hi:[0,0,1]
	v_pk_fma_f32 v[120:121], v[120:121], v[116:117], v[124:125] op_sel:[0,0,1] op_sel_hi:[1,0,0]
	v_dual_mul_f32 v124, v123, v119 :: v_dual_mov_b32 v120, v123
	v_dual_mov_b32 v127, v121 :: v_dual_mov_b32 v121, v122
	s_delay_alu instid0(VALU_DEP_2) | instskip(SKIP_1) | instid1(VALU_DEP_3)
	v_pk_fma_f32 v[124:125], v[122:123], v[42:43], v[124:125] op_sel_hi:[1,1,0] neg_lo:[0,0,1] neg_hi:[0,0,1]
	v_mul_f32_e32 v122, v123, v116
	v_pk_add_f32 v[36:37], v[36:37], v[126:127] neg_lo:[0,1] neg_hi:[0,1]
	s_delay_alu instid0(VALU_DEP_2) | instskip(NEXT) | instid1(VALU_DEP_1)
	v_pk_fma_f32 v[120:121], v[120:121], v[42:43], v[122:123] op_sel_hi:[1,1,0]
	v_mov_b32_e32 v125, v121
	ds_load_2addr_b64 v[120:123], v148 offset0:13 offset1:14
	v_pk_add_f32 v[70:71], v[70:71], v[124:125] neg_lo:[0,1] neg_hi:[0,1]
	s_wait_dscnt 0x0
	v_pk_mul_f32 v[124:125], v[120:121], v[118:119] op_sel:[0,1]
	s_delay_alu instid0(VALU_DEP_1) | instskip(SKIP_1) | instid1(VALU_DEP_1)
	v_pk_fma_f32 v[126:127], v[120:121], v[116:117], v[124:125] op_sel:[0,0,1] op_sel_hi:[1,1,0] neg_lo:[0,0,1] neg_hi:[0,0,1]
	v_pk_fma_f32 v[120:121], v[120:121], v[116:117], v[124:125] op_sel:[0,0,1] op_sel_hi:[1,0,0]
	v_mov_b32_e32 v127, v121
	v_pk_mul_f32 v[120:121], v[122:123], v[118:119] op_sel:[0,1]
	s_delay_alu instid0(VALU_DEP_1) | instskip(SKIP_1) | instid1(VALU_DEP_1)
	v_pk_fma_f32 v[124:125], v[122:123], v[116:117], v[120:121] op_sel:[0,0,1] op_sel_hi:[1,1,0] neg_lo:[0,0,1] neg_hi:[0,0,1]
	v_pk_fma_f32 v[120:121], v[122:123], v[116:117], v[120:121] op_sel:[0,0,1] op_sel_hi:[1,0,0]
	v_mov_b32_e32 v125, v121
	ds_load_2addr_b64 v[120:123], v148 offset0:15 offset1:16
	v_pk_add_f32 v[66:67], v[66:67], v[126:127] neg_lo:[0,1] neg_hi:[0,1]
	v_pk_add_f32 v[68:69], v[68:69], v[124:125] neg_lo:[0,1] neg_hi:[0,1]
	s_wait_dscnt 0x0
	v_pk_mul_f32 v[124:125], v[120:121], v[118:119] op_sel:[0,1]
	s_delay_alu instid0(VALU_DEP_1) | instskip(SKIP_1) | instid1(VALU_DEP_1)
	v_pk_fma_f32 v[126:127], v[120:121], v[116:117], v[124:125] op_sel:[0,0,1] op_sel_hi:[1,1,0] neg_lo:[0,0,1] neg_hi:[0,0,1]
	v_pk_fma_f32 v[120:121], v[120:121], v[116:117], v[124:125] op_sel:[0,0,1] op_sel_hi:[1,0,0]
	v_mov_b32_e32 v127, v121
	v_pk_mul_f32 v[120:121], v[122:123], v[118:119] op_sel:[0,1]
	s_delay_alu instid0(VALU_DEP_1) | instskip(SKIP_1) | instid1(VALU_DEP_1)
	v_pk_fma_f32 v[124:125], v[122:123], v[116:117], v[120:121] op_sel:[0,0,1] op_sel_hi:[1,1,0] neg_lo:[0,0,1] neg_hi:[0,0,1]
	v_pk_fma_f32 v[120:121], v[122:123], v[116:117], v[120:121] op_sel:[0,0,1] op_sel_hi:[1,0,0]
	v_mov_b32_e32 v125, v121
	ds_load_2addr_b64 v[120:123], v148 offset0:17 offset1:18
	v_pk_add_f32 v[64:65], v[64:65], v[126:127] neg_lo:[0,1] neg_hi:[0,1]
	v_pk_add_f32 v[88:89], v[88:89], v[124:125] neg_lo:[0,1] neg_hi:[0,1]
	s_wait_dscnt 0x0
	v_dual_mul_f32 v124, v121, v119 :: v_dual_mul_f32 v126, v121, v116
	s_delay_alu instid0(VALU_DEP_1) | instskip(NEXT) | instid1(VALU_DEP_2)
	v_pk_fma_f32 v[124:125], v[120:121], v[42:43], v[124:125] op_sel_hi:[1,1,0] neg_lo:[0,0,1] neg_hi:[0,0,1]
	v_pk_fma_f32 v[120:121], v[120:121], v[42:43], v[126:127] op_sel:[1,0,0] op_sel_hi:[0,1,0]
	s_delay_alu instid0(VALU_DEP_1) | instskip(SKIP_1) | instid1(VALU_DEP_2)
	v_mov_b32_e32 v125, v121
	v_pk_mul_f32 v[120:121], v[122:123], v[118:119] op_sel:[0,1]
	v_pk_add_f32 v[84:85], v[84:85], v[124:125] neg_lo:[0,1] neg_hi:[0,1]
	s_delay_alu instid0(VALU_DEP_2) | instskip(SKIP_1) | instid1(VALU_DEP_1)
	v_pk_fma_f32 v[124:125], v[122:123], v[116:117], v[120:121] op_sel:[0,0,1] op_sel_hi:[1,1,0] neg_lo:[0,0,1] neg_hi:[0,0,1]
	v_pk_fma_f32 v[120:121], v[122:123], v[116:117], v[120:121] op_sel:[0,0,1] op_sel_hi:[1,0,0]
	v_mov_b32_e32 v125, v121
	ds_load_2addr_b64 v[120:123], v148 offset0:19 offset1:20
	v_pk_add_f32 v[86:87], v[86:87], v[124:125] neg_lo:[0,1] neg_hi:[0,1]
	s_wait_dscnt 0x0
	v_pk_mul_f32 v[124:125], v[120:121], v[118:119] op_sel:[0,1]
	s_delay_alu instid0(VALU_DEP_1) | instskip(SKIP_1) | instid1(VALU_DEP_1)
	v_pk_fma_f32 v[126:127], v[120:121], v[116:117], v[124:125] op_sel:[0,0,1] op_sel_hi:[1,1,0] neg_lo:[0,0,1] neg_hi:[0,0,1]
	v_pk_fma_f32 v[120:121], v[120:121], v[116:117], v[124:125] op_sel:[0,0,1] op_sel_hi:[1,0,0]
	v_mov_b32_e32 v127, v121
	v_pk_mul_f32 v[120:121], v[122:123], v[118:119] op_sel:[0,1]
	s_delay_alu instid0(VALU_DEP_2) | instskip(NEXT) | instid1(VALU_DEP_2)
	v_pk_add_f32 v[82:83], v[82:83], v[126:127] neg_lo:[0,1] neg_hi:[0,1]
	v_pk_fma_f32 v[124:125], v[122:123], v[116:117], v[120:121] op_sel:[0,0,1] op_sel_hi:[1,1,0] neg_lo:[0,0,1] neg_hi:[0,0,1]
	v_pk_fma_f32 v[120:121], v[122:123], v[116:117], v[120:121] op_sel:[0,0,1] op_sel_hi:[1,0,0]
	s_delay_alu instid0(VALU_DEP_1) | instskip(SKIP_4) | instid1(VALU_DEP_1)
	v_mov_b32_e32 v125, v121
	ds_load_2addr_b64 v[120:123], v148 offset0:21 offset1:22
	v_pk_add_f32 v[94:95], v[94:95], v[124:125] neg_lo:[0,1] neg_hi:[0,1]
	s_wait_dscnt 0x0
	v_pk_mul_f32 v[124:125], v[120:121], v[118:119] op_sel:[0,1]
	v_pk_fma_f32 v[126:127], v[120:121], v[116:117], v[124:125] op_sel:[0,0,1] op_sel_hi:[1,1,0] neg_lo:[0,0,1] neg_hi:[0,0,1]
	v_pk_fma_f32 v[120:121], v[120:121], v[116:117], v[124:125] op_sel:[0,0,1] op_sel_hi:[1,0,0]
	v_dual_mul_f32 v124, v123, v119 :: v_dual_mov_b32 v120, v123
	s_delay_alu instid0(VALU_DEP_2) | instskip(NEXT) | instid1(VALU_DEP_2)
	v_dual_mov_b32 v127, v121 :: v_dual_mov_b32 v121, v122
	v_pk_fma_f32 v[124:125], v[122:123], v[42:43], v[124:125] op_sel_hi:[1,1,0] neg_lo:[0,0,1] neg_hi:[0,0,1]
	v_mul_f32_e32 v122, v123, v116
	s_delay_alu instid0(VALU_DEP_3) | instskip(NEXT) | instid1(VALU_DEP_2)
	v_pk_add_f32 v[92:93], v[92:93], v[126:127] neg_lo:[0,1] neg_hi:[0,1]
	v_pk_fma_f32 v[120:121], v[120:121], v[42:43], v[122:123] op_sel_hi:[1,1,0]
	s_delay_alu instid0(VALU_DEP_1) | instskip(SKIP_4) | instid1(VALU_DEP_1)
	v_mov_b32_e32 v125, v121
	ds_load_b64 v[120:121], v148 offset:184
	v_pk_add_f32 v[90:91], v[90:91], v[124:125] neg_lo:[0,1] neg_hi:[0,1]
	s_wait_dscnt 0x0
	v_pk_mul_f32 v[118:119], v[120:121], v[118:119] op_sel:[0,1]
	v_pk_fma_f32 v[122:123], v[120:121], v[116:117], v[118:119] op_sel:[0,0,1] op_sel_hi:[1,1,0] neg_lo:[0,0,1] neg_hi:[0,0,1]
	v_pk_fma_f32 v[116:117], v[120:121], v[116:117], v[118:119] op_sel:[0,0,1] op_sel_hi:[1,0,0]
	s_delay_alu instid0(VALU_DEP_1) | instskip(NEXT) | instid1(VALU_DEP_1)
	v_mov_b32_e32 v123, v117
	v_pk_add_f32 v[96:97], v[96:97], v[122:123] neg_lo:[0,1] neg_hi:[0,1]
.LBB47_82:
	s_or_b32 exec_lo, exec_lo, s1
	s_delay_alu instid0(SALU_CYCLE_1)
	s_mov_b32 s2, exec_lo
	s_wait_dscnt 0x0
	s_barrier_signal -1
	s_barrier_wait -1
	v_cmpx_eq_u32_e32 9, v146
	s_cbranch_execz .LBB47_89
; %bb.83:
	v_dual_mov_b32 v116, v40 :: v_dual_mov_b32 v117, v41
	v_dual_mov_b32 v118, v36 :: v_dual_mov_b32 v119, v37
	;; [unrolled: 1-line block ×4, first 2 shown]
	ds_store_b64 v147, v[38:39]
	ds_store_2addr_b64 v148, v[116:117], v[118:119] offset0:10 offset1:11
	ds_store_2addr_b64 v148, v[120:121], v[122:123] offset0:12 offset1:13
	v_dual_mov_b32 v116, v68 :: v_dual_mov_b32 v117, v69
	v_dual_mov_b32 v118, v64 :: v_dual_mov_b32 v119, v65
	;; [unrolled: 1-line block ×9, first 2 shown]
	ds_store_2addr_b64 v148, v[116:117], v[118:119] offset0:14 offset1:15
	ds_store_2addr_b64 v148, v[120:121], v[122:123] offset0:16 offset1:17
	;; [unrolled: 1-line block ×5, first 2 shown]
	ds_load_b64 v[116:117], v147
	s_wait_dscnt 0x0
	v_cmp_neq_f32_e32 vcc_lo, 0, v116
	v_cmp_neq_f32_e64 s1, 0, v117
	s_or_b32 s1, vcc_lo, s1
	s_delay_alu instid0(SALU_CYCLE_1)
	s_and_b32 exec_lo, exec_lo, s1
	s_cbranch_execz .LBB47_89
; %bb.84:
	v_cmp_ngt_f32_e64 s1, |v116|, |v117|
                                        ; implicit-def: $vgpr118_vgpr119
	s_and_saveexec_b32 s4, s1
	s_delay_alu instid0(SALU_CYCLE_1)
	s_xor_b32 s1, exec_lo, s4
	s_cbranch_execz .LBB47_86
; %bb.85:
	v_div_scale_f32 v118, null, v117, v117, v116
	v_div_scale_f32 v121, vcc_lo, v116, v117, v116
	s_delay_alu instid0(VALU_DEP_2) | instskip(SKIP_1) | instid1(TRANS32_DEP_1)
	v_rcp_f32_e32 v119, v118
	v_nop
	v_fma_f32 v120, -v118, v119, 1.0
	s_delay_alu instid0(VALU_DEP_1) | instskip(NEXT) | instid1(VALU_DEP_1)
	v_fmac_f32_e32 v119, v120, v119
	v_mul_f32_e32 v120, v121, v119
	s_delay_alu instid0(VALU_DEP_1) | instskip(NEXT) | instid1(VALU_DEP_1)
	v_fma_f32 v122, -v118, v120, v121
	v_fmac_f32_e32 v120, v122, v119
	s_delay_alu instid0(VALU_DEP_1) | instskip(NEXT) | instid1(VALU_DEP_1)
	v_fma_f32 v118, -v118, v120, v121
	v_div_fmas_f32 v118, v118, v119, v120
	s_delay_alu instid0(VALU_DEP_1) | instskip(NEXT) | instid1(VALU_DEP_1)
	v_div_fixup_f32 v118, v118, v117, v116
	v_fmac_f32_e32 v117, v116, v118
	s_delay_alu instid0(VALU_DEP_1) | instskip(SKIP_1) | instid1(VALU_DEP_2)
	v_div_scale_f32 v116, null, v117, v117, 1.0
	v_div_scale_f32 v121, vcc_lo, 1.0, v117, 1.0
	v_rcp_f32_e32 v119, v116
	v_nop
	s_delay_alu instid0(TRANS32_DEP_1) | instskip(NEXT) | instid1(VALU_DEP_1)
	v_fma_f32 v120, -v116, v119, 1.0
	v_fmac_f32_e32 v119, v120, v119
	s_delay_alu instid0(VALU_DEP_1) | instskip(NEXT) | instid1(VALU_DEP_1)
	v_mul_f32_e32 v120, v121, v119
	v_fma_f32 v122, -v116, v120, v121
	s_delay_alu instid0(VALU_DEP_1) | instskip(NEXT) | instid1(VALU_DEP_1)
	v_fmac_f32_e32 v120, v122, v119
	v_fma_f32 v116, -v116, v120, v121
	s_delay_alu instid0(VALU_DEP_1) | instskip(NEXT) | instid1(VALU_DEP_1)
	v_div_fmas_f32 v116, v116, v119, v120
	v_div_fixup_f32 v116, v116, v117, 1.0
	s_delay_alu instid0(VALU_DEP_1)
	v_mul_f32_e32 v118, v118, v116
	v_xor_b32_e32 v119, 0x80000000, v116
                                        ; implicit-def: $vgpr116_vgpr117
.LBB47_86:
	s_and_not1_saveexec_b32 s1, s1
	s_cbranch_execz .LBB47_88
; %bb.87:
	v_div_scale_f32 v118, null, v116, v116, v117
	v_div_scale_f32 v121, vcc_lo, v117, v116, v117
	s_delay_alu instid0(VALU_DEP_2) | instskip(SKIP_1) | instid1(TRANS32_DEP_1)
	v_rcp_f32_e32 v119, v118
	v_nop
	v_fma_f32 v120, -v118, v119, 1.0
	s_delay_alu instid0(VALU_DEP_1) | instskip(NEXT) | instid1(VALU_DEP_1)
	v_fmac_f32_e32 v119, v120, v119
	v_mul_f32_e32 v120, v121, v119
	s_delay_alu instid0(VALU_DEP_1) | instskip(NEXT) | instid1(VALU_DEP_1)
	v_fma_f32 v122, -v118, v120, v121
	v_fmac_f32_e32 v120, v122, v119
	s_delay_alu instid0(VALU_DEP_1) | instskip(NEXT) | instid1(VALU_DEP_1)
	v_fma_f32 v118, -v118, v120, v121
	v_div_fmas_f32 v118, v118, v119, v120
	s_delay_alu instid0(VALU_DEP_1) | instskip(NEXT) | instid1(VALU_DEP_1)
	v_div_fixup_f32 v119, v118, v116, v117
	v_fmac_f32_e32 v116, v117, v119
	s_delay_alu instid0(VALU_DEP_1) | instskip(NEXT) | instid1(VALU_DEP_1)
	v_div_scale_f32 v117, null, v116, v116, 1.0
	v_rcp_f32_e32 v118, v117
	v_nop
	s_delay_alu instid0(TRANS32_DEP_1) | instskip(NEXT) | instid1(VALU_DEP_1)
	v_fma_f32 v120, -v117, v118, 1.0
	v_fmac_f32_e32 v118, v120, v118
	v_div_scale_f32 v120, vcc_lo, 1.0, v116, 1.0
	s_delay_alu instid0(VALU_DEP_1) | instskip(NEXT) | instid1(VALU_DEP_1)
	v_mul_f32_e32 v121, v120, v118
	v_fma_f32 v122, -v117, v121, v120
	s_delay_alu instid0(VALU_DEP_1) | instskip(NEXT) | instid1(VALU_DEP_1)
	v_fmac_f32_e32 v121, v122, v118
	v_fma_f32 v117, -v117, v121, v120
	s_delay_alu instid0(VALU_DEP_1) | instskip(NEXT) | instid1(VALU_DEP_1)
	v_div_fmas_f32 v117, v117, v118, v121
	v_div_fixup_f32 v118, v117, v116, 1.0
	s_delay_alu instid0(VALU_DEP_1)
	v_mul_f32_e64 v119, v119, -v118
.LBB47_88:
	s_or_b32 exec_lo, exec_lo, s1
	ds_store_b64 v147, v[118:119]
.LBB47_89:
	s_or_b32 exec_lo, exec_lo, s2
	s_wait_dscnt 0x0
	s_barrier_signal -1
	s_barrier_wait -1
	ds_load_b64 v[116:117], v147
	s_mov_b32 s1, exec_lo
	v_cmpx_lt_u32_e32 9, v146
	s_cbranch_execz .LBB47_91
; %bb.90:
	s_wait_dscnt 0x0
	v_pk_mul_f32 v[118:119], v[116:117], v[38:39] op_sel:[1,1] op_sel_hi:[0,1]
	s_delay_alu instid0(VALU_DEP_1)
	v_pk_fma_f32 v[122:123], v[116:117], v[38:39], v[118:119] op_sel_hi:[1,0,1] neg_lo:[0,0,1] neg_hi:[0,0,1]
	v_pk_fma_f32 v[124:125], v[116:117], v[38:39], v[118:119] op_sel_hi:[1,0,1]
	ds_load_2addr_b64 v[118:121], v148 offset0:10 offset1:11
	v_dual_mov_b32 v38, v122 :: v_dual_mov_b32 v39, v125
	s_wait_dscnt 0x0
	v_pk_mul_f32 v[126:127], v[118:119], v[124:125] op_sel:[0,1]
	s_delay_alu instid0(VALU_DEP_1) | instskip(SKIP_1) | instid1(VALU_DEP_1)
	v_pk_fma_f32 v[128:129], v[118:119], v[122:123], v[126:127] op_sel:[0,0,1] op_sel_hi:[1,1,0] neg_lo:[0,0,1] neg_hi:[0,0,1]
	v_pk_fma_f32 v[118:119], v[118:119], v[122:123], v[126:127] op_sel:[0,0,1] op_sel_hi:[1,0,0]
	v_mov_b32_e32 v129, v119
	v_pk_mul_f32 v[118:119], v[120:121], v[124:125] op_sel:[0,1]
	s_delay_alu instid0(VALU_DEP_1) | instskip(SKIP_1) | instid1(VALU_DEP_1)
	v_pk_fma_f32 v[126:127], v[120:121], v[122:123], v[118:119] op_sel:[0,0,1] op_sel_hi:[1,1,0] neg_lo:[0,0,1] neg_hi:[0,0,1]
	v_pk_fma_f32 v[118:119], v[120:121], v[122:123], v[118:119] op_sel:[0,0,1] op_sel_hi:[1,0,0]
	v_mov_b32_e32 v127, v119
	ds_load_2addr_b64 v[118:121], v148 offset0:12 offset1:13
	v_pk_add_f32 v[40:41], v[40:41], v[128:129] neg_lo:[0,1] neg_hi:[0,1]
	v_pk_add_f32 v[36:37], v[36:37], v[126:127] neg_lo:[0,1] neg_hi:[0,1]
	s_wait_dscnt 0x0
	v_pk_mul_f32 v[126:127], v[118:119], v[124:125] op_sel:[0,1]
	s_delay_alu instid0(VALU_DEP_1) | instskip(SKIP_2) | instid1(VALU_DEP_2)
	v_pk_fma_f32 v[128:129], v[118:119], v[122:123], v[126:127] op_sel:[0,0,1] op_sel_hi:[1,1,0] neg_lo:[0,0,1] neg_hi:[0,0,1]
	v_pk_fma_f32 v[118:119], v[118:119], v[122:123], v[126:127] op_sel:[0,0,1] op_sel_hi:[1,0,0]
	v_dual_mul_f32 v126, v121, v125 :: v_dual_mov_b32 v118, v121
	v_dual_mov_b32 v129, v119 :: v_dual_mov_b32 v119, v120
	s_delay_alu instid0(VALU_DEP_2) | instskip(SKIP_1) | instid1(VALU_DEP_3)
	v_pk_fma_f32 v[126:127], v[120:121], v[38:39], v[126:127] op_sel_hi:[1,1,0] neg_lo:[0,0,1] neg_hi:[0,0,1]
	v_mul_f32_e32 v120, v121, v122
	v_pk_add_f32 v[70:71], v[70:71], v[128:129] neg_lo:[0,1] neg_hi:[0,1]
	s_delay_alu instid0(VALU_DEP_2) | instskip(NEXT) | instid1(VALU_DEP_1)
	v_pk_fma_f32 v[118:119], v[118:119], v[38:39], v[120:121] op_sel_hi:[1,1,0]
	v_mov_b32_e32 v127, v119
	ds_load_2addr_b64 v[118:121], v148 offset0:14 offset1:15
	v_pk_add_f32 v[66:67], v[66:67], v[126:127] neg_lo:[0,1] neg_hi:[0,1]
	s_wait_dscnt 0x0
	v_pk_mul_f32 v[126:127], v[118:119], v[124:125] op_sel:[0,1]
	s_delay_alu instid0(VALU_DEP_1) | instskip(SKIP_1) | instid1(VALU_DEP_1)
	v_pk_fma_f32 v[128:129], v[118:119], v[122:123], v[126:127] op_sel:[0,0,1] op_sel_hi:[1,1,0] neg_lo:[0,0,1] neg_hi:[0,0,1]
	v_pk_fma_f32 v[118:119], v[118:119], v[122:123], v[126:127] op_sel:[0,0,1] op_sel_hi:[1,0,0]
	v_mov_b32_e32 v129, v119
	v_pk_mul_f32 v[118:119], v[120:121], v[124:125] op_sel:[0,1]
	s_delay_alu instid0(VALU_DEP_1) | instskip(SKIP_1) | instid1(VALU_DEP_1)
	v_pk_fma_f32 v[126:127], v[120:121], v[122:123], v[118:119] op_sel:[0,0,1] op_sel_hi:[1,1,0] neg_lo:[0,0,1] neg_hi:[0,0,1]
	v_pk_fma_f32 v[118:119], v[120:121], v[122:123], v[118:119] op_sel:[0,0,1] op_sel_hi:[1,0,0]
	v_mov_b32_e32 v127, v119
	ds_load_2addr_b64 v[118:121], v148 offset0:16 offset1:17
	v_pk_add_f32 v[68:69], v[68:69], v[128:129] neg_lo:[0,1] neg_hi:[0,1]
	v_pk_add_f32 v[64:65], v[64:65], v[126:127] neg_lo:[0,1] neg_hi:[0,1]
	s_wait_dscnt 0x0
	v_pk_mul_f32 v[126:127], v[118:119], v[124:125] op_sel:[0,1]
	s_delay_alu instid0(VALU_DEP_1) | instskip(SKIP_1) | instid1(VALU_DEP_1)
	v_pk_fma_f32 v[128:129], v[118:119], v[122:123], v[126:127] op_sel:[0,0,1] op_sel_hi:[1,1,0] neg_lo:[0,0,1] neg_hi:[0,0,1]
	v_pk_fma_f32 v[118:119], v[118:119], v[122:123], v[126:127] op_sel:[0,0,1] op_sel_hi:[1,0,0]
	v_mov_b32_e32 v129, v119
	v_pk_mul_f32 v[118:119], v[120:121], v[124:125] op_sel:[0,1]
	s_delay_alu instid0(VALU_DEP_1) | instskip(SKIP_1) | instid1(VALU_DEP_1)
	v_pk_fma_f32 v[126:127], v[120:121], v[122:123], v[118:119] op_sel:[0,0,1] op_sel_hi:[1,1,0] neg_lo:[0,0,1] neg_hi:[0,0,1]
	v_pk_fma_f32 v[118:119], v[120:121], v[122:123], v[118:119] op_sel:[0,0,1] op_sel_hi:[1,0,0]
	v_mov_b32_e32 v127, v119
	ds_load_2addr_b64 v[118:121], v148 offset0:18 offset1:19
	v_pk_add_f32 v[88:89], v[88:89], v[128:129] neg_lo:[0,1] neg_hi:[0,1]
	v_pk_add_f32 v[84:85], v[84:85], v[126:127] neg_lo:[0,1] neg_hi:[0,1]
	s_wait_dscnt 0x0
	v_dual_mul_f32 v126, v119, v125 :: v_dual_mul_f32 v128, v119, v122
	s_delay_alu instid0(VALU_DEP_1) | instskip(NEXT) | instid1(VALU_DEP_2)
	v_pk_fma_f32 v[126:127], v[118:119], v[38:39], v[126:127] op_sel_hi:[1,1,0] neg_lo:[0,0,1] neg_hi:[0,0,1]
	v_pk_fma_f32 v[118:119], v[118:119], v[38:39], v[128:129] op_sel:[1,0,0] op_sel_hi:[0,1,0]
	s_delay_alu instid0(VALU_DEP_1) | instskip(SKIP_1) | instid1(VALU_DEP_2)
	v_mov_b32_e32 v127, v119
	v_pk_mul_f32 v[118:119], v[120:121], v[124:125] op_sel:[0,1]
	v_pk_add_f32 v[86:87], v[86:87], v[126:127] neg_lo:[0,1] neg_hi:[0,1]
	s_delay_alu instid0(VALU_DEP_2) | instskip(SKIP_1) | instid1(VALU_DEP_1)
	v_pk_fma_f32 v[126:127], v[120:121], v[122:123], v[118:119] op_sel:[0,0,1] op_sel_hi:[1,1,0] neg_lo:[0,0,1] neg_hi:[0,0,1]
	v_pk_fma_f32 v[118:119], v[120:121], v[122:123], v[118:119] op_sel:[0,0,1] op_sel_hi:[1,0,0]
	v_mov_b32_e32 v127, v119
	ds_load_2addr_b64 v[118:121], v148 offset0:20 offset1:21
	v_pk_add_f32 v[82:83], v[82:83], v[126:127] neg_lo:[0,1] neg_hi:[0,1]
	s_wait_dscnt 0x0
	v_pk_mul_f32 v[126:127], v[118:119], v[124:125] op_sel:[0,1]
	s_delay_alu instid0(VALU_DEP_1) | instskip(SKIP_1) | instid1(VALU_DEP_1)
	v_pk_fma_f32 v[128:129], v[118:119], v[122:123], v[126:127] op_sel:[0,0,1] op_sel_hi:[1,1,0] neg_lo:[0,0,1] neg_hi:[0,0,1]
	v_pk_fma_f32 v[118:119], v[118:119], v[122:123], v[126:127] op_sel:[0,0,1] op_sel_hi:[1,0,0]
	v_mov_b32_e32 v129, v119
	v_pk_mul_f32 v[118:119], v[120:121], v[124:125] op_sel:[0,1]
	s_delay_alu instid0(VALU_DEP_2) | instskip(NEXT) | instid1(VALU_DEP_2)
	v_pk_add_f32 v[94:95], v[94:95], v[128:129] neg_lo:[0,1] neg_hi:[0,1]
	v_pk_fma_f32 v[126:127], v[120:121], v[122:123], v[118:119] op_sel:[0,0,1] op_sel_hi:[1,1,0] neg_lo:[0,0,1] neg_hi:[0,0,1]
	v_pk_fma_f32 v[118:119], v[120:121], v[122:123], v[118:119] op_sel:[0,0,1] op_sel_hi:[1,0,0]
	s_delay_alu instid0(VALU_DEP_1) | instskip(SKIP_4) | instid1(VALU_DEP_1)
	v_mov_b32_e32 v127, v119
	ds_load_2addr_b64 v[118:121], v148 offset0:22 offset1:23
	v_pk_add_f32 v[92:93], v[92:93], v[126:127] neg_lo:[0,1] neg_hi:[0,1]
	s_wait_dscnt 0x0
	v_pk_mul_f32 v[126:127], v[118:119], v[124:125] op_sel:[0,1]
	v_pk_fma_f32 v[128:129], v[118:119], v[122:123], v[126:127] op_sel:[0,0,1] op_sel_hi:[1,1,0] neg_lo:[0,0,1] neg_hi:[0,0,1]
	v_pk_fma_f32 v[118:119], v[118:119], v[122:123], v[126:127] op_sel:[0,0,1] op_sel_hi:[1,0,0]
	s_delay_alu instid0(VALU_DEP_1) | instskip(SKIP_1) | instid1(VALU_DEP_2)
	v_mov_b32_e32 v129, v119
	v_pk_mul_f32 v[118:119], v[120:121], v[124:125] op_sel:[0,1]
	v_pk_add_f32 v[90:91], v[90:91], v[128:129] neg_lo:[0,1] neg_hi:[0,1]
	s_delay_alu instid0(VALU_DEP_2) | instskip(SKIP_1) | instid1(VALU_DEP_1)
	v_pk_fma_f32 v[124:125], v[120:121], v[122:123], v[118:119] op_sel:[0,0,1] op_sel_hi:[1,1,0] neg_lo:[0,0,1] neg_hi:[0,0,1]
	v_pk_fma_f32 v[118:119], v[120:121], v[122:123], v[118:119] op_sel:[0,0,1] op_sel_hi:[1,0,0]
	v_mov_b32_e32 v125, v119
	s_delay_alu instid0(VALU_DEP_1)
	v_pk_add_f32 v[96:97], v[96:97], v[124:125] neg_lo:[0,1] neg_hi:[0,1]
.LBB47_91:
	s_or_b32 exec_lo, exec_lo, s1
	s_delay_alu instid0(SALU_CYCLE_1)
	s_mov_b32 s2, exec_lo
	s_wait_dscnt 0x0
	s_barrier_signal -1
	s_barrier_wait -1
	v_cmpx_eq_u32_e32 10, v146
	s_cbranch_execz .LBB47_98
; %bb.92:
	ds_store_b64 v147, v[40:41]
	ds_store_2addr_b64 v148, v[36:37], v[70:71] offset0:11 offset1:12
	ds_store_2addr_b64 v148, v[66:67], v[68:69] offset0:13 offset1:14
	;; [unrolled: 1-line block ×6, first 2 shown]
	ds_store_b64 v148, v[96:97] offset:184
	ds_load_b64 v[118:119], v147
	s_wait_dscnt 0x0
	v_cmp_neq_f32_e32 vcc_lo, 0, v118
	v_cmp_neq_f32_e64 s1, 0, v119
	s_or_b32 s1, vcc_lo, s1
	s_delay_alu instid0(SALU_CYCLE_1)
	s_and_b32 exec_lo, exec_lo, s1
	s_cbranch_execz .LBB47_98
; %bb.93:
	v_cmp_ngt_f32_e64 s1, |v118|, |v119|
                                        ; implicit-def: $vgpr120_vgpr121
	s_and_saveexec_b32 s4, s1
	s_delay_alu instid0(SALU_CYCLE_1)
	s_xor_b32 s1, exec_lo, s4
	s_cbranch_execz .LBB47_95
; %bb.94:
	v_div_scale_f32 v120, null, v119, v119, v118
	v_div_scale_f32 v123, vcc_lo, v118, v119, v118
	s_delay_alu instid0(VALU_DEP_2) | instskip(SKIP_1) | instid1(TRANS32_DEP_1)
	v_rcp_f32_e32 v121, v120
	v_nop
	v_fma_f32 v122, -v120, v121, 1.0
	s_delay_alu instid0(VALU_DEP_1) | instskip(NEXT) | instid1(VALU_DEP_1)
	v_fmac_f32_e32 v121, v122, v121
	v_mul_f32_e32 v122, v123, v121
	s_delay_alu instid0(VALU_DEP_1) | instskip(NEXT) | instid1(VALU_DEP_1)
	v_fma_f32 v124, -v120, v122, v123
	v_fmac_f32_e32 v122, v124, v121
	s_delay_alu instid0(VALU_DEP_1) | instskip(NEXT) | instid1(VALU_DEP_1)
	v_fma_f32 v120, -v120, v122, v123
	v_div_fmas_f32 v120, v120, v121, v122
	s_delay_alu instid0(VALU_DEP_1) | instskip(NEXT) | instid1(VALU_DEP_1)
	v_div_fixup_f32 v120, v120, v119, v118
	v_fmac_f32_e32 v119, v118, v120
	s_delay_alu instid0(VALU_DEP_1) | instskip(SKIP_1) | instid1(VALU_DEP_2)
	v_div_scale_f32 v118, null, v119, v119, 1.0
	v_div_scale_f32 v123, vcc_lo, 1.0, v119, 1.0
	v_rcp_f32_e32 v121, v118
	v_nop
	s_delay_alu instid0(TRANS32_DEP_1) | instskip(NEXT) | instid1(VALU_DEP_1)
	v_fma_f32 v122, -v118, v121, 1.0
	v_fmac_f32_e32 v121, v122, v121
	s_delay_alu instid0(VALU_DEP_1) | instskip(NEXT) | instid1(VALU_DEP_1)
	v_mul_f32_e32 v122, v123, v121
	v_fma_f32 v124, -v118, v122, v123
	s_delay_alu instid0(VALU_DEP_1) | instskip(NEXT) | instid1(VALU_DEP_1)
	v_fmac_f32_e32 v122, v124, v121
	v_fma_f32 v118, -v118, v122, v123
	s_delay_alu instid0(VALU_DEP_1) | instskip(NEXT) | instid1(VALU_DEP_1)
	v_div_fmas_f32 v118, v118, v121, v122
	v_div_fixup_f32 v118, v118, v119, 1.0
	s_delay_alu instid0(VALU_DEP_1)
	v_mul_f32_e32 v120, v120, v118
	v_xor_b32_e32 v121, 0x80000000, v118
                                        ; implicit-def: $vgpr118_vgpr119
.LBB47_95:
	s_and_not1_saveexec_b32 s1, s1
	s_cbranch_execz .LBB47_97
; %bb.96:
	v_div_scale_f32 v120, null, v118, v118, v119
	v_div_scale_f32 v123, vcc_lo, v119, v118, v119
	s_delay_alu instid0(VALU_DEP_2) | instskip(SKIP_1) | instid1(TRANS32_DEP_1)
	v_rcp_f32_e32 v121, v120
	v_nop
	v_fma_f32 v122, -v120, v121, 1.0
	s_delay_alu instid0(VALU_DEP_1) | instskip(NEXT) | instid1(VALU_DEP_1)
	v_fmac_f32_e32 v121, v122, v121
	v_mul_f32_e32 v122, v123, v121
	s_delay_alu instid0(VALU_DEP_1) | instskip(NEXT) | instid1(VALU_DEP_1)
	v_fma_f32 v124, -v120, v122, v123
	v_fmac_f32_e32 v122, v124, v121
	s_delay_alu instid0(VALU_DEP_1) | instskip(NEXT) | instid1(VALU_DEP_1)
	v_fma_f32 v120, -v120, v122, v123
	v_div_fmas_f32 v120, v120, v121, v122
	s_delay_alu instid0(VALU_DEP_1) | instskip(NEXT) | instid1(VALU_DEP_1)
	v_div_fixup_f32 v121, v120, v118, v119
	v_fmac_f32_e32 v118, v119, v121
	s_delay_alu instid0(VALU_DEP_1) | instskip(NEXT) | instid1(VALU_DEP_1)
	v_div_scale_f32 v119, null, v118, v118, 1.0
	v_rcp_f32_e32 v120, v119
	v_nop
	s_delay_alu instid0(TRANS32_DEP_1) | instskip(NEXT) | instid1(VALU_DEP_1)
	v_fma_f32 v122, -v119, v120, 1.0
	v_fmac_f32_e32 v120, v122, v120
	v_div_scale_f32 v122, vcc_lo, 1.0, v118, 1.0
	s_delay_alu instid0(VALU_DEP_1) | instskip(NEXT) | instid1(VALU_DEP_1)
	v_mul_f32_e32 v123, v122, v120
	v_fma_f32 v124, -v119, v123, v122
	s_delay_alu instid0(VALU_DEP_1) | instskip(NEXT) | instid1(VALU_DEP_1)
	v_fmac_f32_e32 v123, v124, v120
	v_fma_f32 v119, -v119, v123, v122
	s_delay_alu instid0(VALU_DEP_1) | instskip(NEXT) | instid1(VALU_DEP_1)
	v_div_fmas_f32 v119, v119, v120, v123
	v_div_fixup_f32 v120, v119, v118, 1.0
	s_delay_alu instid0(VALU_DEP_1)
	v_mul_f32_e64 v121, v121, -v120
.LBB47_97:
	s_or_b32 exec_lo, exec_lo, s1
	ds_store_b64 v147, v[120:121]
.LBB47_98:
	s_or_b32 exec_lo, exec_lo, s2
	s_wait_dscnt 0x0
	s_barrier_signal -1
	s_barrier_wait -1
	ds_load_b64 v[118:119], v147
	s_mov_b32 s1, exec_lo
	v_cmpx_lt_u32_e32 10, v146
	s_cbranch_execz .LBB47_100
; %bb.99:
	s_wait_dscnt 0x0
	v_pk_mul_f32 v[120:121], v[118:119], v[40:41] op_sel:[1,1] op_sel_hi:[0,1]
	s_delay_alu instid0(VALU_DEP_1)
	v_pk_fma_f32 v[124:125], v[118:119], v[40:41], v[120:121] op_sel_hi:[1,0,1] neg_lo:[0,0,1] neg_hi:[0,0,1]
	v_pk_fma_f32 v[126:127], v[118:119], v[40:41], v[120:121] op_sel_hi:[1,0,1]
	ds_load_2addr_b64 v[120:123], v148 offset0:11 offset1:12
	v_dual_mov_b32 v40, v124 :: v_dual_mov_b32 v41, v127
	s_wait_dscnt 0x0
	v_pk_mul_f32 v[128:129], v[120:121], v[126:127] op_sel:[0,1]
	s_delay_alu instid0(VALU_DEP_1) | instskip(SKIP_1) | instid1(VALU_DEP_1)
	v_pk_fma_f32 v[130:131], v[120:121], v[124:125], v[128:129] op_sel:[0,0,1] op_sel_hi:[1,1,0] neg_lo:[0,0,1] neg_hi:[0,0,1]
	v_pk_fma_f32 v[120:121], v[120:121], v[124:125], v[128:129] op_sel:[0,0,1] op_sel_hi:[1,0,0]
	v_mov_b32_e32 v131, v121
	v_pk_mul_f32 v[120:121], v[122:123], v[126:127] op_sel:[0,1]
	s_delay_alu instid0(VALU_DEP_1) | instskip(SKIP_1) | instid1(VALU_DEP_1)
	v_pk_fma_f32 v[128:129], v[122:123], v[124:125], v[120:121] op_sel:[0,0,1] op_sel_hi:[1,1,0] neg_lo:[0,0,1] neg_hi:[0,0,1]
	v_pk_fma_f32 v[120:121], v[122:123], v[124:125], v[120:121] op_sel:[0,0,1] op_sel_hi:[1,0,0]
	v_mov_b32_e32 v129, v121
	ds_load_2addr_b64 v[120:123], v148 offset0:13 offset1:14
	v_pk_add_f32 v[36:37], v[36:37], v[130:131] neg_lo:[0,1] neg_hi:[0,1]
	v_pk_add_f32 v[70:71], v[70:71], v[128:129] neg_lo:[0,1] neg_hi:[0,1]
	s_wait_dscnt 0x0
	v_pk_mul_f32 v[128:129], v[120:121], v[126:127] op_sel:[0,1]
	s_delay_alu instid0(VALU_DEP_1) | instskip(SKIP_2) | instid1(VALU_DEP_2)
	v_pk_fma_f32 v[130:131], v[120:121], v[124:125], v[128:129] op_sel:[0,0,1] op_sel_hi:[1,1,0] neg_lo:[0,0,1] neg_hi:[0,0,1]
	v_pk_fma_f32 v[120:121], v[120:121], v[124:125], v[128:129] op_sel:[0,0,1] op_sel_hi:[1,0,0]
	v_dual_mul_f32 v128, v123, v127 :: v_dual_mov_b32 v120, v123
	v_dual_mov_b32 v131, v121 :: v_dual_mov_b32 v121, v122
	s_delay_alu instid0(VALU_DEP_2) | instskip(SKIP_1) | instid1(VALU_DEP_3)
	v_pk_fma_f32 v[128:129], v[122:123], v[40:41], v[128:129] op_sel_hi:[1,1,0] neg_lo:[0,0,1] neg_hi:[0,0,1]
	v_mul_f32_e32 v122, v123, v124
	v_pk_add_f32 v[66:67], v[66:67], v[130:131] neg_lo:[0,1] neg_hi:[0,1]
	s_delay_alu instid0(VALU_DEP_2) | instskip(NEXT) | instid1(VALU_DEP_1)
	v_pk_fma_f32 v[120:121], v[120:121], v[40:41], v[122:123] op_sel_hi:[1,1,0]
	v_mov_b32_e32 v129, v121
	ds_load_2addr_b64 v[120:123], v148 offset0:15 offset1:16
	v_pk_add_f32 v[68:69], v[68:69], v[128:129] neg_lo:[0,1] neg_hi:[0,1]
	s_wait_dscnt 0x0
	v_pk_mul_f32 v[128:129], v[120:121], v[126:127] op_sel:[0,1]
	s_delay_alu instid0(VALU_DEP_1) | instskip(SKIP_1) | instid1(VALU_DEP_1)
	v_pk_fma_f32 v[130:131], v[120:121], v[124:125], v[128:129] op_sel:[0,0,1] op_sel_hi:[1,1,0] neg_lo:[0,0,1] neg_hi:[0,0,1]
	v_pk_fma_f32 v[120:121], v[120:121], v[124:125], v[128:129] op_sel:[0,0,1] op_sel_hi:[1,0,0]
	v_mov_b32_e32 v131, v121
	v_pk_mul_f32 v[120:121], v[122:123], v[126:127] op_sel:[0,1]
	s_delay_alu instid0(VALU_DEP_1) | instskip(SKIP_1) | instid1(VALU_DEP_1)
	v_pk_fma_f32 v[128:129], v[122:123], v[124:125], v[120:121] op_sel:[0,0,1] op_sel_hi:[1,1,0] neg_lo:[0,0,1] neg_hi:[0,0,1]
	v_pk_fma_f32 v[120:121], v[122:123], v[124:125], v[120:121] op_sel:[0,0,1] op_sel_hi:[1,0,0]
	v_mov_b32_e32 v129, v121
	ds_load_2addr_b64 v[120:123], v148 offset0:17 offset1:18
	v_pk_add_f32 v[64:65], v[64:65], v[130:131] neg_lo:[0,1] neg_hi:[0,1]
	v_pk_add_f32 v[88:89], v[88:89], v[128:129] neg_lo:[0,1] neg_hi:[0,1]
	s_wait_dscnt 0x0
	v_pk_mul_f32 v[128:129], v[120:121], v[126:127] op_sel:[0,1]
	s_delay_alu instid0(VALU_DEP_1) | instskip(SKIP_1) | instid1(VALU_DEP_1)
	v_pk_fma_f32 v[130:131], v[120:121], v[124:125], v[128:129] op_sel:[0,0,1] op_sel_hi:[1,1,0] neg_lo:[0,0,1] neg_hi:[0,0,1]
	v_pk_fma_f32 v[120:121], v[120:121], v[124:125], v[128:129] op_sel:[0,0,1] op_sel_hi:[1,0,0]
	v_mov_b32_e32 v131, v121
	v_pk_mul_f32 v[120:121], v[122:123], v[126:127] op_sel:[0,1]
	s_delay_alu instid0(VALU_DEP_1) | instskip(SKIP_1) | instid1(VALU_DEP_1)
	v_pk_fma_f32 v[128:129], v[122:123], v[124:125], v[120:121] op_sel:[0,0,1] op_sel_hi:[1,1,0] neg_lo:[0,0,1] neg_hi:[0,0,1]
	v_pk_fma_f32 v[120:121], v[122:123], v[124:125], v[120:121] op_sel:[0,0,1] op_sel_hi:[1,0,0]
	v_mov_b32_e32 v129, v121
	ds_load_2addr_b64 v[120:123], v148 offset0:19 offset1:20
	v_pk_add_f32 v[84:85], v[84:85], v[130:131] neg_lo:[0,1] neg_hi:[0,1]
	v_pk_add_f32 v[86:87], v[86:87], v[128:129] neg_lo:[0,1] neg_hi:[0,1]
	s_wait_dscnt 0x0
	v_dual_mul_f32 v128, v121, v127 :: v_dual_mul_f32 v130, v121, v124
	s_delay_alu instid0(VALU_DEP_1) | instskip(NEXT) | instid1(VALU_DEP_2)
	v_pk_fma_f32 v[128:129], v[120:121], v[40:41], v[128:129] op_sel_hi:[1,1,0] neg_lo:[0,0,1] neg_hi:[0,0,1]
	v_pk_fma_f32 v[120:121], v[120:121], v[40:41], v[130:131] op_sel:[1,0,0] op_sel_hi:[0,1,0]
	s_delay_alu instid0(VALU_DEP_1) | instskip(SKIP_1) | instid1(VALU_DEP_2)
	v_mov_b32_e32 v129, v121
	v_pk_mul_f32 v[120:121], v[122:123], v[126:127] op_sel:[0,1]
	v_pk_add_f32 v[82:83], v[82:83], v[128:129] neg_lo:[0,1] neg_hi:[0,1]
	s_delay_alu instid0(VALU_DEP_2) | instskip(SKIP_1) | instid1(VALU_DEP_1)
	v_pk_fma_f32 v[128:129], v[122:123], v[124:125], v[120:121] op_sel:[0,0,1] op_sel_hi:[1,1,0] neg_lo:[0,0,1] neg_hi:[0,0,1]
	v_pk_fma_f32 v[120:121], v[122:123], v[124:125], v[120:121] op_sel:[0,0,1] op_sel_hi:[1,0,0]
	v_mov_b32_e32 v129, v121
	ds_load_2addr_b64 v[120:123], v148 offset0:21 offset1:22
	v_pk_add_f32 v[94:95], v[94:95], v[128:129] neg_lo:[0,1] neg_hi:[0,1]
	s_wait_dscnt 0x0
	v_pk_mul_f32 v[128:129], v[120:121], v[126:127] op_sel:[0,1]
	s_delay_alu instid0(VALU_DEP_1) | instskip(SKIP_1) | instid1(VALU_DEP_1)
	v_pk_fma_f32 v[130:131], v[120:121], v[124:125], v[128:129] op_sel:[0,0,1] op_sel_hi:[1,1,0] neg_lo:[0,0,1] neg_hi:[0,0,1]
	v_pk_fma_f32 v[120:121], v[120:121], v[124:125], v[128:129] op_sel:[0,0,1] op_sel_hi:[1,0,0]
	v_mov_b32_e32 v131, v121
	v_pk_mul_f32 v[120:121], v[122:123], v[126:127] op_sel:[0,1]
	s_delay_alu instid0(VALU_DEP_2) | instskip(NEXT) | instid1(VALU_DEP_2)
	v_pk_add_f32 v[92:93], v[92:93], v[130:131] neg_lo:[0,1] neg_hi:[0,1]
	v_pk_fma_f32 v[128:129], v[122:123], v[124:125], v[120:121] op_sel:[0,0,1] op_sel_hi:[1,1,0] neg_lo:[0,0,1] neg_hi:[0,0,1]
	v_pk_fma_f32 v[120:121], v[122:123], v[124:125], v[120:121] op_sel:[0,0,1] op_sel_hi:[1,0,0]
	s_delay_alu instid0(VALU_DEP_1) | instskip(SKIP_4) | instid1(VALU_DEP_1)
	v_mov_b32_e32 v129, v121
	ds_load_b64 v[120:121], v148 offset:184
	v_pk_add_f32 v[90:91], v[90:91], v[128:129] neg_lo:[0,1] neg_hi:[0,1]
	s_wait_dscnt 0x0
	v_pk_mul_f32 v[122:123], v[120:121], v[126:127] op_sel:[0,1]
	v_pk_fma_f32 v[126:127], v[120:121], v[124:125], v[122:123] op_sel:[0,0,1] op_sel_hi:[1,1,0] neg_lo:[0,0,1] neg_hi:[0,0,1]
	v_pk_fma_f32 v[120:121], v[120:121], v[124:125], v[122:123] op_sel:[0,0,1] op_sel_hi:[1,0,0]
	s_delay_alu instid0(VALU_DEP_1) | instskip(NEXT) | instid1(VALU_DEP_1)
	v_mov_b32_e32 v127, v121
	v_pk_add_f32 v[96:97], v[96:97], v[126:127] neg_lo:[0,1] neg_hi:[0,1]
.LBB47_100:
	s_or_b32 exec_lo, exec_lo, s1
	s_delay_alu instid0(SALU_CYCLE_1)
	s_mov_b32 s2, exec_lo
	s_wait_dscnt 0x0
	s_barrier_signal -1
	s_barrier_wait -1
	v_cmpx_eq_u32_e32 11, v146
	s_cbranch_execz .LBB47_107
; %bb.101:
	v_dual_mov_b32 v120, v70 :: v_dual_mov_b32 v121, v71
	v_dual_mov_b32 v122, v66 :: v_dual_mov_b32 v123, v67
	ds_store_b64 v147, v[36:37]
	ds_store_2addr_b64 v148, v[120:121], v[122:123] offset0:12 offset1:13
	v_dual_mov_b32 v120, v68 :: v_dual_mov_b32 v121, v69
	v_dual_mov_b32 v122, v64 :: v_dual_mov_b32 v123, v65
	ds_store_2addr_b64 v148, v[120:121], v[122:123] offset0:14 offset1:15
	v_dual_mov_b32 v120, v88 :: v_dual_mov_b32 v121, v89
	v_dual_mov_b32 v122, v84 :: v_dual_mov_b32 v123, v85
	;; [unrolled: 3-line block ×4, first 2 shown]
	ds_store_2addr_b64 v148, v[120:121], v[122:123] offset0:20 offset1:21
	v_dual_mov_b32 v120, v90 :: v_dual_mov_b32 v121, v91
	ds_store_2addr_b64 v148, v[120:121], v[96:97] offset0:22 offset1:23
	ds_load_b64 v[120:121], v147
	s_wait_dscnt 0x0
	v_cmp_neq_f32_e32 vcc_lo, 0, v120
	v_cmp_neq_f32_e64 s1, 0, v121
	s_or_b32 s1, vcc_lo, s1
	s_delay_alu instid0(SALU_CYCLE_1)
	s_and_b32 exec_lo, exec_lo, s1
	s_cbranch_execz .LBB47_107
; %bb.102:
	v_cmp_ngt_f32_e64 s1, |v120|, |v121|
                                        ; implicit-def: $vgpr122_vgpr123
	s_and_saveexec_b32 s4, s1
	s_delay_alu instid0(SALU_CYCLE_1)
	s_xor_b32 s1, exec_lo, s4
	s_cbranch_execz .LBB47_104
; %bb.103:
	v_div_scale_f32 v122, null, v121, v121, v120
	v_div_scale_f32 v125, vcc_lo, v120, v121, v120
	s_delay_alu instid0(VALU_DEP_2) | instskip(SKIP_1) | instid1(TRANS32_DEP_1)
	v_rcp_f32_e32 v123, v122
	v_nop
	v_fma_f32 v124, -v122, v123, 1.0
	s_delay_alu instid0(VALU_DEP_1) | instskip(NEXT) | instid1(VALU_DEP_1)
	v_fmac_f32_e32 v123, v124, v123
	v_mul_f32_e32 v124, v125, v123
	s_delay_alu instid0(VALU_DEP_1) | instskip(NEXT) | instid1(VALU_DEP_1)
	v_fma_f32 v126, -v122, v124, v125
	v_fmac_f32_e32 v124, v126, v123
	s_delay_alu instid0(VALU_DEP_1) | instskip(NEXT) | instid1(VALU_DEP_1)
	v_fma_f32 v122, -v122, v124, v125
	v_div_fmas_f32 v122, v122, v123, v124
	s_delay_alu instid0(VALU_DEP_1) | instskip(NEXT) | instid1(VALU_DEP_1)
	v_div_fixup_f32 v122, v122, v121, v120
	v_fmac_f32_e32 v121, v120, v122
	s_delay_alu instid0(VALU_DEP_1) | instskip(SKIP_1) | instid1(VALU_DEP_2)
	v_div_scale_f32 v120, null, v121, v121, 1.0
	v_div_scale_f32 v125, vcc_lo, 1.0, v121, 1.0
	v_rcp_f32_e32 v123, v120
	v_nop
	s_delay_alu instid0(TRANS32_DEP_1) | instskip(NEXT) | instid1(VALU_DEP_1)
	v_fma_f32 v124, -v120, v123, 1.0
	v_fmac_f32_e32 v123, v124, v123
	s_delay_alu instid0(VALU_DEP_1) | instskip(NEXT) | instid1(VALU_DEP_1)
	v_mul_f32_e32 v124, v125, v123
	v_fma_f32 v126, -v120, v124, v125
	s_delay_alu instid0(VALU_DEP_1) | instskip(NEXT) | instid1(VALU_DEP_1)
	v_fmac_f32_e32 v124, v126, v123
	v_fma_f32 v120, -v120, v124, v125
	s_delay_alu instid0(VALU_DEP_1) | instskip(NEXT) | instid1(VALU_DEP_1)
	v_div_fmas_f32 v120, v120, v123, v124
	v_div_fixup_f32 v120, v120, v121, 1.0
	s_delay_alu instid0(VALU_DEP_1)
	v_mul_f32_e32 v122, v122, v120
	v_xor_b32_e32 v123, 0x80000000, v120
                                        ; implicit-def: $vgpr120_vgpr121
.LBB47_104:
	s_and_not1_saveexec_b32 s1, s1
	s_cbranch_execz .LBB47_106
; %bb.105:
	v_div_scale_f32 v122, null, v120, v120, v121
	v_div_scale_f32 v125, vcc_lo, v121, v120, v121
	s_delay_alu instid0(VALU_DEP_2) | instskip(SKIP_1) | instid1(TRANS32_DEP_1)
	v_rcp_f32_e32 v123, v122
	v_nop
	v_fma_f32 v124, -v122, v123, 1.0
	s_delay_alu instid0(VALU_DEP_1) | instskip(NEXT) | instid1(VALU_DEP_1)
	v_fmac_f32_e32 v123, v124, v123
	v_mul_f32_e32 v124, v125, v123
	s_delay_alu instid0(VALU_DEP_1) | instskip(NEXT) | instid1(VALU_DEP_1)
	v_fma_f32 v126, -v122, v124, v125
	v_fmac_f32_e32 v124, v126, v123
	s_delay_alu instid0(VALU_DEP_1) | instskip(NEXT) | instid1(VALU_DEP_1)
	v_fma_f32 v122, -v122, v124, v125
	v_div_fmas_f32 v122, v122, v123, v124
	s_delay_alu instid0(VALU_DEP_1) | instskip(NEXT) | instid1(VALU_DEP_1)
	v_div_fixup_f32 v123, v122, v120, v121
	v_fmac_f32_e32 v120, v121, v123
	s_delay_alu instid0(VALU_DEP_1) | instskip(NEXT) | instid1(VALU_DEP_1)
	v_div_scale_f32 v121, null, v120, v120, 1.0
	v_rcp_f32_e32 v122, v121
	v_nop
	s_delay_alu instid0(TRANS32_DEP_1) | instskip(NEXT) | instid1(VALU_DEP_1)
	v_fma_f32 v124, -v121, v122, 1.0
	v_fmac_f32_e32 v122, v124, v122
	v_div_scale_f32 v124, vcc_lo, 1.0, v120, 1.0
	s_delay_alu instid0(VALU_DEP_1) | instskip(NEXT) | instid1(VALU_DEP_1)
	v_mul_f32_e32 v125, v124, v122
	v_fma_f32 v126, -v121, v125, v124
	s_delay_alu instid0(VALU_DEP_1) | instskip(NEXT) | instid1(VALU_DEP_1)
	v_fmac_f32_e32 v125, v126, v122
	v_fma_f32 v121, -v121, v125, v124
	s_delay_alu instid0(VALU_DEP_1) | instskip(NEXT) | instid1(VALU_DEP_1)
	v_div_fmas_f32 v121, v121, v122, v125
	v_div_fixup_f32 v122, v121, v120, 1.0
	s_delay_alu instid0(VALU_DEP_1)
	v_mul_f32_e64 v123, v123, -v122
.LBB47_106:
	s_or_b32 exec_lo, exec_lo, s1
	ds_store_b64 v147, v[122:123]
.LBB47_107:
	s_or_b32 exec_lo, exec_lo, s2
	s_wait_dscnt 0x0
	s_barrier_signal -1
	s_barrier_wait -1
	ds_load_b64 v[120:121], v147
	s_mov_b32 s1, exec_lo
	v_cmpx_lt_u32_e32 11, v146
	s_cbranch_execz .LBB47_109
; %bb.108:
	s_wait_dscnt 0x0
	v_pk_mul_f32 v[122:123], v[120:121], v[36:37] op_sel:[1,1] op_sel_hi:[0,1]
	s_delay_alu instid0(VALU_DEP_1)
	v_pk_fma_f32 v[126:127], v[120:121], v[36:37], v[122:123] op_sel_hi:[1,0,1] neg_lo:[0,0,1] neg_hi:[0,0,1]
	v_pk_fma_f32 v[128:129], v[120:121], v[36:37], v[122:123] op_sel_hi:[1,0,1]
	ds_load_2addr_b64 v[122:125], v148 offset0:12 offset1:13
	v_dual_mov_b32 v36, v126 :: v_dual_mov_b32 v37, v129
	s_wait_dscnt 0x0
	v_pk_mul_f32 v[130:131], v[122:123], v[128:129] op_sel:[0,1]
	s_delay_alu instid0(VALU_DEP_1) | instskip(SKIP_1) | instid1(VALU_DEP_1)
	v_pk_fma_f32 v[132:133], v[122:123], v[126:127], v[130:131] op_sel:[0,0,1] op_sel_hi:[1,1,0] neg_lo:[0,0,1] neg_hi:[0,0,1]
	v_pk_fma_f32 v[122:123], v[122:123], v[126:127], v[130:131] op_sel:[0,0,1] op_sel_hi:[1,0,0]
	v_mov_b32_e32 v133, v123
	v_pk_mul_f32 v[122:123], v[124:125], v[128:129] op_sel:[0,1]
	s_delay_alu instid0(VALU_DEP_1) | instskip(SKIP_1) | instid1(VALU_DEP_1)
	v_pk_fma_f32 v[130:131], v[124:125], v[126:127], v[122:123] op_sel:[0,0,1] op_sel_hi:[1,1,0] neg_lo:[0,0,1] neg_hi:[0,0,1]
	v_pk_fma_f32 v[122:123], v[124:125], v[126:127], v[122:123] op_sel:[0,0,1] op_sel_hi:[1,0,0]
	v_mov_b32_e32 v131, v123
	ds_load_2addr_b64 v[122:125], v148 offset0:14 offset1:15
	v_pk_add_f32 v[70:71], v[70:71], v[132:133] neg_lo:[0,1] neg_hi:[0,1]
	v_pk_add_f32 v[66:67], v[66:67], v[130:131] neg_lo:[0,1] neg_hi:[0,1]
	s_wait_dscnt 0x0
	v_pk_mul_f32 v[130:131], v[122:123], v[128:129] op_sel:[0,1]
	s_delay_alu instid0(VALU_DEP_1) | instskip(SKIP_2) | instid1(VALU_DEP_2)
	v_pk_fma_f32 v[132:133], v[122:123], v[126:127], v[130:131] op_sel:[0,0,1] op_sel_hi:[1,1,0] neg_lo:[0,0,1] neg_hi:[0,0,1]
	v_pk_fma_f32 v[122:123], v[122:123], v[126:127], v[130:131] op_sel:[0,0,1] op_sel_hi:[1,0,0]
	v_dual_mul_f32 v130, v125, v129 :: v_dual_mov_b32 v122, v125
	v_dual_mov_b32 v133, v123 :: v_dual_mov_b32 v123, v124
	s_delay_alu instid0(VALU_DEP_2) | instskip(SKIP_1) | instid1(VALU_DEP_3)
	v_pk_fma_f32 v[130:131], v[124:125], v[36:37], v[130:131] op_sel_hi:[1,1,0] neg_lo:[0,0,1] neg_hi:[0,0,1]
	v_mul_f32_e32 v124, v125, v126
	v_pk_add_f32 v[68:69], v[68:69], v[132:133] neg_lo:[0,1] neg_hi:[0,1]
	s_delay_alu instid0(VALU_DEP_2) | instskip(NEXT) | instid1(VALU_DEP_1)
	v_pk_fma_f32 v[122:123], v[122:123], v[36:37], v[124:125] op_sel_hi:[1,1,0]
	v_mov_b32_e32 v131, v123
	ds_load_2addr_b64 v[122:125], v148 offset0:16 offset1:17
	v_pk_add_f32 v[64:65], v[64:65], v[130:131] neg_lo:[0,1] neg_hi:[0,1]
	s_wait_dscnt 0x0
	v_pk_mul_f32 v[130:131], v[122:123], v[128:129] op_sel:[0,1]
	s_delay_alu instid0(VALU_DEP_1) | instskip(SKIP_1) | instid1(VALU_DEP_1)
	v_pk_fma_f32 v[132:133], v[122:123], v[126:127], v[130:131] op_sel:[0,0,1] op_sel_hi:[1,1,0] neg_lo:[0,0,1] neg_hi:[0,0,1]
	v_pk_fma_f32 v[122:123], v[122:123], v[126:127], v[130:131] op_sel:[0,0,1] op_sel_hi:[1,0,0]
	v_mov_b32_e32 v133, v123
	v_pk_mul_f32 v[122:123], v[124:125], v[128:129] op_sel:[0,1]
	s_delay_alu instid0(VALU_DEP_1) | instskip(SKIP_1) | instid1(VALU_DEP_1)
	v_pk_fma_f32 v[130:131], v[124:125], v[126:127], v[122:123] op_sel:[0,0,1] op_sel_hi:[1,1,0] neg_lo:[0,0,1] neg_hi:[0,0,1]
	v_pk_fma_f32 v[122:123], v[124:125], v[126:127], v[122:123] op_sel:[0,0,1] op_sel_hi:[1,0,0]
	v_mov_b32_e32 v131, v123
	ds_load_2addr_b64 v[122:125], v148 offset0:18 offset1:19
	v_pk_add_f32 v[88:89], v[88:89], v[132:133] neg_lo:[0,1] neg_hi:[0,1]
	v_pk_add_f32 v[84:85], v[84:85], v[130:131] neg_lo:[0,1] neg_hi:[0,1]
	s_wait_dscnt 0x0
	v_pk_mul_f32 v[130:131], v[122:123], v[128:129] op_sel:[0,1]
	s_delay_alu instid0(VALU_DEP_1) | instskip(SKIP_1) | instid1(VALU_DEP_1)
	v_pk_fma_f32 v[132:133], v[122:123], v[126:127], v[130:131] op_sel:[0,0,1] op_sel_hi:[1,1,0] neg_lo:[0,0,1] neg_hi:[0,0,1]
	v_pk_fma_f32 v[122:123], v[122:123], v[126:127], v[130:131] op_sel:[0,0,1] op_sel_hi:[1,0,0]
	v_mov_b32_e32 v133, v123
	v_pk_mul_f32 v[122:123], v[124:125], v[128:129] op_sel:[0,1]
	s_delay_alu instid0(VALU_DEP_1) | instskip(SKIP_1) | instid1(VALU_DEP_1)
	v_pk_fma_f32 v[130:131], v[124:125], v[126:127], v[122:123] op_sel:[0,0,1] op_sel_hi:[1,1,0] neg_lo:[0,0,1] neg_hi:[0,0,1]
	v_pk_fma_f32 v[122:123], v[124:125], v[126:127], v[122:123] op_sel:[0,0,1] op_sel_hi:[1,0,0]
	v_mov_b32_e32 v131, v123
	ds_load_2addr_b64 v[122:125], v148 offset0:20 offset1:21
	v_pk_add_f32 v[86:87], v[86:87], v[132:133] neg_lo:[0,1] neg_hi:[0,1]
	v_pk_add_f32 v[82:83], v[82:83], v[130:131] neg_lo:[0,1] neg_hi:[0,1]
	s_wait_dscnt 0x0
	v_dual_mul_f32 v130, v123, v129 :: v_dual_mul_f32 v132, v123, v126
	s_delay_alu instid0(VALU_DEP_1) | instskip(NEXT) | instid1(VALU_DEP_2)
	v_pk_fma_f32 v[130:131], v[122:123], v[36:37], v[130:131] op_sel_hi:[1,1,0] neg_lo:[0,0,1] neg_hi:[0,0,1]
	v_pk_fma_f32 v[122:123], v[122:123], v[36:37], v[132:133] op_sel:[1,0,0] op_sel_hi:[0,1,0]
	s_delay_alu instid0(VALU_DEP_1) | instskip(SKIP_1) | instid1(VALU_DEP_2)
	v_mov_b32_e32 v131, v123
	v_pk_mul_f32 v[122:123], v[124:125], v[128:129] op_sel:[0,1]
	v_pk_add_f32 v[94:95], v[94:95], v[130:131] neg_lo:[0,1] neg_hi:[0,1]
	s_delay_alu instid0(VALU_DEP_2) | instskip(SKIP_1) | instid1(VALU_DEP_1)
	v_pk_fma_f32 v[130:131], v[124:125], v[126:127], v[122:123] op_sel:[0,0,1] op_sel_hi:[1,1,0] neg_lo:[0,0,1] neg_hi:[0,0,1]
	v_pk_fma_f32 v[122:123], v[124:125], v[126:127], v[122:123] op_sel:[0,0,1] op_sel_hi:[1,0,0]
	v_mov_b32_e32 v131, v123
	ds_load_2addr_b64 v[122:125], v148 offset0:22 offset1:23
	v_pk_add_f32 v[92:93], v[92:93], v[130:131] neg_lo:[0,1] neg_hi:[0,1]
	s_wait_dscnt 0x0
	v_pk_mul_f32 v[130:131], v[122:123], v[128:129] op_sel:[0,1]
	v_mul_f32_e32 v128, v125, v129
	s_delay_alu instid0(VALU_DEP_2) | instskip(SKIP_2) | instid1(VALU_DEP_4)
	v_pk_fma_f32 v[132:133], v[122:123], v[126:127], v[130:131] op_sel:[0,0,1] op_sel_hi:[1,1,0] neg_lo:[0,0,1] neg_hi:[0,0,1]
	v_pk_fma_f32 v[122:123], v[122:123], v[126:127], v[130:131] op_sel:[0,0,1] op_sel_hi:[1,0,0]
	v_mov_b32_e32 v122, v125
	v_pk_fma_f32 v[128:129], v[124:125], v[36:37], v[128:129] op_sel_hi:[1,1,0] neg_lo:[0,0,1] neg_hi:[0,0,1]
	s_delay_alu instid0(VALU_DEP_3) | instskip(SKIP_1) | instid1(VALU_DEP_2)
	v_dual_mov_b32 v133, v123 :: v_dual_mov_b32 v123, v124
	v_mul_f32_e32 v124, v125, v126
	v_pk_add_f32 v[90:91], v[90:91], v[132:133] neg_lo:[0,1] neg_hi:[0,1]
	s_delay_alu instid0(VALU_DEP_2) | instskip(NEXT) | instid1(VALU_DEP_1)
	v_pk_fma_f32 v[122:123], v[122:123], v[36:37], v[124:125] op_sel_hi:[1,1,0]
	v_mov_b32_e32 v129, v123
	s_delay_alu instid0(VALU_DEP_1)
	v_pk_add_f32 v[96:97], v[96:97], v[128:129] neg_lo:[0,1] neg_hi:[0,1]
.LBB47_109:
	s_or_b32 exec_lo, exec_lo, s1
	s_delay_alu instid0(SALU_CYCLE_1)
	s_mov_b32 s2, exec_lo
	s_wait_dscnt 0x0
	s_barrier_signal -1
	s_barrier_wait -1
	v_cmpx_eq_u32_e32 12, v146
	s_cbranch_execz .LBB47_116
; %bb.110:
	ds_store_b64 v147, v[70:71]
	ds_store_2addr_b64 v148, v[66:67], v[68:69] offset0:13 offset1:14
	ds_store_2addr_b64 v148, v[64:65], v[88:89] offset0:15 offset1:16
	;; [unrolled: 1-line block ×5, first 2 shown]
	ds_store_b64 v148, v[96:97] offset:184
	ds_load_b64 v[122:123], v147
	s_wait_dscnt 0x0
	v_cmp_neq_f32_e32 vcc_lo, 0, v122
	v_cmp_neq_f32_e64 s1, 0, v123
	s_or_b32 s1, vcc_lo, s1
	s_delay_alu instid0(SALU_CYCLE_1)
	s_and_b32 exec_lo, exec_lo, s1
	s_cbranch_execz .LBB47_116
; %bb.111:
	v_cmp_ngt_f32_e64 s1, |v122|, |v123|
                                        ; implicit-def: $vgpr124_vgpr125
	s_and_saveexec_b32 s4, s1
	s_delay_alu instid0(SALU_CYCLE_1)
	s_xor_b32 s1, exec_lo, s4
	s_cbranch_execz .LBB47_113
; %bb.112:
	v_div_scale_f32 v124, null, v123, v123, v122
	v_div_scale_f32 v127, vcc_lo, v122, v123, v122
	s_delay_alu instid0(VALU_DEP_2) | instskip(SKIP_1) | instid1(TRANS32_DEP_1)
	v_rcp_f32_e32 v125, v124
	v_nop
	v_fma_f32 v126, -v124, v125, 1.0
	s_delay_alu instid0(VALU_DEP_1) | instskip(NEXT) | instid1(VALU_DEP_1)
	v_fmac_f32_e32 v125, v126, v125
	v_mul_f32_e32 v126, v127, v125
	s_delay_alu instid0(VALU_DEP_1) | instskip(NEXT) | instid1(VALU_DEP_1)
	v_fma_f32 v128, -v124, v126, v127
	v_fmac_f32_e32 v126, v128, v125
	s_delay_alu instid0(VALU_DEP_1) | instskip(NEXT) | instid1(VALU_DEP_1)
	v_fma_f32 v124, -v124, v126, v127
	v_div_fmas_f32 v124, v124, v125, v126
	s_delay_alu instid0(VALU_DEP_1) | instskip(NEXT) | instid1(VALU_DEP_1)
	v_div_fixup_f32 v124, v124, v123, v122
	v_fmac_f32_e32 v123, v122, v124
	s_delay_alu instid0(VALU_DEP_1) | instskip(SKIP_1) | instid1(VALU_DEP_2)
	v_div_scale_f32 v122, null, v123, v123, 1.0
	v_div_scale_f32 v127, vcc_lo, 1.0, v123, 1.0
	v_rcp_f32_e32 v125, v122
	v_nop
	s_delay_alu instid0(TRANS32_DEP_1) | instskip(NEXT) | instid1(VALU_DEP_1)
	v_fma_f32 v126, -v122, v125, 1.0
	v_fmac_f32_e32 v125, v126, v125
	s_delay_alu instid0(VALU_DEP_1) | instskip(NEXT) | instid1(VALU_DEP_1)
	v_mul_f32_e32 v126, v127, v125
	v_fma_f32 v128, -v122, v126, v127
	s_delay_alu instid0(VALU_DEP_1) | instskip(NEXT) | instid1(VALU_DEP_1)
	v_fmac_f32_e32 v126, v128, v125
	v_fma_f32 v122, -v122, v126, v127
	s_delay_alu instid0(VALU_DEP_1) | instskip(NEXT) | instid1(VALU_DEP_1)
	v_div_fmas_f32 v122, v122, v125, v126
	v_div_fixup_f32 v122, v122, v123, 1.0
	s_delay_alu instid0(VALU_DEP_1)
	v_mul_f32_e32 v124, v124, v122
	v_xor_b32_e32 v125, 0x80000000, v122
                                        ; implicit-def: $vgpr122_vgpr123
.LBB47_113:
	s_and_not1_saveexec_b32 s1, s1
	s_cbranch_execz .LBB47_115
; %bb.114:
	v_div_scale_f32 v124, null, v122, v122, v123
	v_div_scale_f32 v127, vcc_lo, v123, v122, v123
	s_delay_alu instid0(VALU_DEP_2) | instskip(SKIP_1) | instid1(TRANS32_DEP_1)
	v_rcp_f32_e32 v125, v124
	v_nop
	v_fma_f32 v126, -v124, v125, 1.0
	s_delay_alu instid0(VALU_DEP_1) | instskip(NEXT) | instid1(VALU_DEP_1)
	v_fmac_f32_e32 v125, v126, v125
	v_mul_f32_e32 v126, v127, v125
	s_delay_alu instid0(VALU_DEP_1) | instskip(NEXT) | instid1(VALU_DEP_1)
	v_fma_f32 v128, -v124, v126, v127
	v_fmac_f32_e32 v126, v128, v125
	s_delay_alu instid0(VALU_DEP_1) | instskip(NEXT) | instid1(VALU_DEP_1)
	v_fma_f32 v124, -v124, v126, v127
	v_div_fmas_f32 v124, v124, v125, v126
	s_delay_alu instid0(VALU_DEP_1) | instskip(NEXT) | instid1(VALU_DEP_1)
	v_div_fixup_f32 v125, v124, v122, v123
	v_fmac_f32_e32 v122, v123, v125
	s_delay_alu instid0(VALU_DEP_1) | instskip(NEXT) | instid1(VALU_DEP_1)
	v_div_scale_f32 v123, null, v122, v122, 1.0
	v_rcp_f32_e32 v124, v123
	v_nop
	s_delay_alu instid0(TRANS32_DEP_1) | instskip(NEXT) | instid1(VALU_DEP_1)
	v_fma_f32 v126, -v123, v124, 1.0
	v_fmac_f32_e32 v124, v126, v124
	v_div_scale_f32 v126, vcc_lo, 1.0, v122, 1.0
	s_delay_alu instid0(VALU_DEP_1) | instskip(NEXT) | instid1(VALU_DEP_1)
	v_mul_f32_e32 v127, v126, v124
	v_fma_f32 v128, -v123, v127, v126
	s_delay_alu instid0(VALU_DEP_1) | instskip(NEXT) | instid1(VALU_DEP_1)
	v_fmac_f32_e32 v127, v128, v124
	v_fma_f32 v123, -v123, v127, v126
	s_delay_alu instid0(VALU_DEP_1) | instskip(NEXT) | instid1(VALU_DEP_1)
	v_div_fmas_f32 v123, v123, v124, v127
	v_div_fixup_f32 v124, v123, v122, 1.0
	s_delay_alu instid0(VALU_DEP_1)
	v_mul_f32_e64 v125, v125, -v124
.LBB47_115:
	s_or_b32 exec_lo, exec_lo, s1
	ds_store_b64 v147, v[124:125]
.LBB47_116:
	s_or_b32 exec_lo, exec_lo, s2
	s_wait_dscnt 0x0
	s_barrier_signal -1
	s_barrier_wait -1
	ds_load_b64 v[122:123], v147
	s_mov_b32 s1, exec_lo
	v_cmpx_lt_u32_e32 12, v146
	s_cbranch_execz .LBB47_118
; %bb.117:
	s_wait_dscnt 0x0
	v_pk_mul_f32 v[124:125], v[122:123], v[70:71] op_sel:[1,1] op_sel_hi:[0,1]
	s_delay_alu instid0(VALU_DEP_1)
	v_pk_fma_f32 v[128:129], v[122:123], v[70:71], v[124:125] op_sel_hi:[1,0,1] neg_lo:[0,0,1] neg_hi:[0,0,1]
	v_pk_fma_f32 v[130:131], v[122:123], v[70:71], v[124:125] op_sel_hi:[1,0,1]
	ds_load_2addr_b64 v[124:127], v148 offset0:13 offset1:14
	v_dual_mov_b32 v70, v128 :: v_dual_mov_b32 v71, v131
	s_wait_dscnt 0x0
	v_pk_mul_f32 v[132:133], v[124:125], v[130:131] op_sel:[0,1]
	s_delay_alu instid0(VALU_DEP_1) | instskip(SKIP_1) | instid1(VALU_DEP_1)
	v_pk_fma_f32 v[134:135], v[124:125], v[128:129], v[132:133] op_sel:[0,0,1] op_sel_hi:[1,1,0] neg_lo:[0,0,1] neg_hi:[0,0,1]
	v_pk_fma_f32 v[124:125], v[124:125], v[128:129], v[132:133] op_sel:[0,0,1] op_sel_hi:[1,0,0]
	v_mov_b32_e32 v135, v125
	v_pk_mul_f32 v[124:125], v[126:127], v[130:131] op_sel:[0,1]
	s_delay_alu instid0(VALU_DEP_1) | instskip(SKIP_1) | instid1(VALU_DEP_1)
	v_pk_fma_f32 v[132:133], v[126:127], v[128:129], v[124:125] op_sel:[0,0,1] op_sel_hi:[1,1,0] neg_lo:[0,0,1] neg_hi:[0,0,1]
	v_pk_fma_f32 v[124:125], v[126:127], v[128:129], v[124:125] op_sel:[0,0,1] op_sel_hi:[1,0,0]
	v_mov_b32_e32 v133, v125
	ds_load_2addr_b64 v[124:127], v148 offset0:15 offset1:16
	v_pk_add_f32 v[66:67], v[66:67], v[134:135] neg_lo:[0,1] neg_hi:[0,1]
	v_pk_add_f32 v[68:69], v[68:69], v[132:133] neg_lo:[0,1] neg_hi:[0,1]
	s_wait_dscnt 0x0
	v_pk_mul_f32 v[132:133], v[124:125], v[130:131] op_sel:[0,1]
	s_delay_alu instid0(VALU_DEP_1) | instskip(SKIP_2) | instid1(VALU_DEP_2)
	v_pk_fma_f32 v[134:135], v[124:125], v[128:129], v[132:133] op_sel:[0,0,1] op_sel_hi:[1,1,0] neg_lo:[0,0,1] neg_hi:[0,0,1]
	v_pk_fma_f32 v[124:125], v[124:125], v[128:129], v[132:133] op_sel:[0,0,1] op_sel_hi:[1,0,0]
	v_dual_mul_f32 v132, v127, v131 :: v_dual_mov_b32 v124, v127
	v_dual_mov_b32 v135, v125 :: v_dual_mov_b32 v125, v126
	s_delay_alu instid0(VALU_DEP_2) | instskip(SKIP_1) | instid1(VALU_DEP_3)
	v_pk_fma_f32 v[132:133], v[126:127], v[70:71], v[132:133] op_sel_hi:[1,1,0] neg_lo:[0,0,1] neg_hi:[0,0,1]
	v_mul_f32_e32 v126, v127, v128
	v_pk_add_f32 v[64:65], v[64:65], v[134:135] neg_lo:[0,1] neg_hi:[0,1]
	s_delay_alu instid0(VALU_DEP_2) | instskip(NEXT) | instid1(VALU_DEP_1)
	v_pk_fma_f32 v[124:125], v[124:125], v[70:71], v[126:127] op_sel_hi:[1,1,0]
	v_mov_b32_e32 v133, v125
	ds_load_2addr_b64 v[124:127], v148 offset0:17 offset1:18
	v_pk_add_f32 v[88:89], v[88:89], v[132:133] neg_lo:[0,1] neg_hi:[0,1]
	s_wait_dscnt 0x0
	v_pk_mul_f32 v[132:133], v[124:125], v[130:131] op_sel:[0,1]
	s_delay_alu instid0(VALU_DEP_1) | instskip(SKIP_1) | instid1(VALU_DEP_1)
	v_pk_fma_f32 v[134:135], v[124:125], v[128:129], v[132:133] op_sel:[0,0,1] op_sel_hi:[1,1,0] neg_lo:[0,0,1] neg_hi:[0,0,1]
	v_pk_fma_f32 v[124:125], v[124:125], v[128:129], v[132:133] op_sel:[0,0,1] op_sel_hi:[1,0,0]
	v_mov_b32_e32 v135, v125
	v_pk_mul_f32 v[124:125], v[126:127], v[130:131] op_sel:[0,1]
	s_delay_alu instid0(VALU_DEP_1) | instskip(SKIP_1) | instid1(VALU_DEP_1)
	v_pk_fma_f32 v[132:133], v[126:127], v[128:129], v[124:125] op_sel:[0,0,1] op_sel_hi:[1,1,0] neg_lo:[0,0,1] neg_hi:[0,0,1]
	v_pk_fma_f32 v[124:125], v[126:127], v[128:129], v[124:125] op_sel:[0,0,1] op_sel_hi:[1,0,0]
	v_mov_b32_e32 v133, v125
	ds_load_2addr_b64 v[124:127], v148 offset0:19 offset1:20
	v_pk_add_f32 v[84:85], v[84:85], v[134:135] neg_lo:[0,1] neg_hi:[0,1]
	v_pk_add_f32 v[86:87], v[86:87], v[132:133] neg_lo:[0,1] neg_hi:[0,1]
	s_wait_dscnt 0x0
	v_pk_mul_f32 v[132:133], v[124:125], v[130:131] op_sel:[0,1]
	s_delay_alu instid0(VALU_DEP_1) | instskip(SKIP_1) | instid1(VALU_DEP_1)
	v_pk_fma_f32 v[134:135], v[124:125], v[128:129], v[132:133] op_sel:[0,0,1] op_sel_hi:[1,1,0] neg_lo:[0,0,1] neg_hi:[0,0,1]
	v_pk_fma_f32 v[124:125], v[124:125], v[128:129], v[132:133] op_sel:[0,0,1] op_sel_hi:[1,0,0]
	v_mov_b32_e32 v135, v125
	v_pk_mul_f32 v[124:125], v[126:127], v[130:131] op_sel:[0,1]
	s_delay_alu instid0(VALU_DEP_1) | instskip(SKIP_1) | instid1(VALU_DEP_1)
	v_pk_fma_f32 v[132:133], v[126:127], v[128:129], v[124:125] op_sel:[0,0,1] op_sel_hi:[1,1,0] neg_lo:[0,0,1] neg_hi:[0,0,1]
	v_pk_fma_f32 v[124:125], v[126:127], v[128:129], v[124:125] op_sel:[0,0,1] op_sel_hi:[1,0,0]
	v_mov_b32_e32 v133, v125
	ds_load_2addr_b64 v[124:127], v148 offset0:21 offset1:22
	v_pk_add_f32 v[82:83], v[82:83], v[134:135] neg_lo:[0,1] neg_hi:[0,1]
	v_pk_add_f32 v[94:95], v[94:95], v[132:133] neg_lo:[0,1] neg_hi:[0,1]
	s_wait_dscnt 0x0
	v_dual_mul_f32 v132, v125, v131 :: v_dual_mul_f32 v134, v125, v128
	s_delay_alu instid0(VALU_DEP_1) | instskip(NEXT) | instid1(VALU_DEP_2)
	v_pk_fma_f32 v[132:133], v[124:125], v[70:71], v[132:133] op_sel_hi:[1,1,0] neg_lo:[0,0,1] neg_hi:[0,0,1]
	v_pk_fma_f32 v[124:125], v[124:125], v[70:71], v[134:135] op_sel:[1,0,0] op_sel_hi:[0,1,0]
	s_delay_alu instid0(VALU_DEP_1) | instskip(SKIP_1) | instid1(VALU_DEP_2)
	v_mov_b32_e32 v133, v125
	v_pk_mul_f32 v[124:125], v[126:127], v[130:131] op_sel:[0,1]
	v_pk_add_f32 v[92:93], v[92:93], v[132:133] neg_lo:[0,1] neg_hi:[0,1]
	s_delay_alu instid0(VALU_DEP_2) | instskip(SKIP_1) | instid1(VALU_DEP_1)
	v_pk_fma_f32 v[132:133], v[126:127], v[128:129], v[124:125] op_sel:[0,0,1] op_sel_hi:[1,1,0] neg_lo:[0,0,1] neg_hi:[0,0,1]
	v_pk_fma_f32 v[124:125], v[126:127], v[128:129], v[124:125] op_sel:[0,0,1] op_sel_hi:[1,0,0]
	v_mov_b32_e32 v133, v125
	ds_load_b64 v[124:125], v148 offset:184
	v_pk_add_f32 v[90:91], v[90:91], v[132:133] neg_lo:[0,1] neg_hi:[0,1]
	s_wait_dscnt 0x0
	v_pk_mul_f32 v[126:127], v[124:125], v[130:131] op_sel:[0,1]
	s_delay_alu instid0(VALU_DEP_1) | instskip(SKIP_1) | instid1(VALU_DEP_1)
	v_pk_fma_f32 v[130:131], v[124:125], v[128:129], v[126:127] op_sel:[0,0,1] op_sel_hi:[1,1,0] neg_lo:[0,0,1] neg_hi:[0,0,1]
	v_pk_fma_f32 v[124:125], v[124:125], v[128:129], v[126:127] op_sel:[0,0,1] op_sel_hi:[1,0,0]
	v_mov_b32_e32 v131, v125
	s_delay_alu instid0(VALU_DEP_1)
	v_pk_add_f32 v[96:97], v[96:97], v[130:131] neg_lo:[0,1] neg_hi:[0,1]
.LBB47_118:
	s_or_b32 exec_lo, exec_lo, s1
	s_delay_alu instid0(SALU_CYCLE_1)
	s_mov_b32 s2, exec_lo
	s_wait_dscnt 0x0
	s_barrier_signal -1
	s_barrier_wait -1
	v_cmpx_eq_u32_e32 13, v146
	s_cbranch_execz .LBB47_125
; %bb.119:
	v_dual_mov_b32 v124, v68 :: v_dual_mov_b32 v125, v69
	v_dual_mov_b32 v126, v64 :: v_dual_mov_b32 v127, v65
	ds_store_b64 v147, v[66:67]
	ds_store_2addr_b64 v148, v[124:125], v[126:127] offset0:14 offset1:15
	v_dual_mov_b32 v124, v88 :: v_dual_mov_b32 v125, v89
	v_dual_mov_b32 v126, v84 :: v_dual_mov_b32 v127, v85
	ds_store_2addr_b64 v148, v[124:125], v[126:127] offset0:16 offset1:17
	v_dual_mov_b32 v124, v86 :: v_dual_mov_b32 v125, v87
	v_dual_mov_b32 v126, v82 :: v_dual_mov_b32 v127, v83
	;; [unrolled: 3-line block ×3, first 2 shown]
	ds_store_2addr_b64 v148, v[124:125], v[126:127] offset0:20 offset1:21
	v_dual_mov_b32 v124, v90 :: v_dual_mov_b32 v125, v91
	ds_store_2addr_b64 v148, v[124:125], v[96:97] offset0:22 offset1:23
	ds_load_b64 v[124:125], v147
	s_wait_dscnt 0x0
	v_cmp_neq_f32_e32 vcc_lo, 0, v124
	v_cmp_neq_f32_e64 s1, 0, v125
	s_or_b32 s1, vcc_lo, s1
	s_delay_alu instid0(SALU_CYCLE_1)
	s_and_b32 exec_lo, exec_lo, s1
	s_cbranch_execz .LBB47_125
; %bb.120:
	v_cmp_ngt_f32_e64 s1, |v124|, |v125|
                                        ; implicit-def: $vgpr126_vgpr127
	s_and_saveexec_b32 s4, s1
	s_delay_alu instid0(SALU_CYCLE_1)
	s_xor_b32 s1, exec_lo, s4
	s_cbranch_execz .LBB47_122
; %bb.121:
	v_div_scale_f32 v126, null, v125, v125, v124
	v_div_scale_f32 v129, vcc_lo, v124, v125, v124
	s_delay_alu instid0(VALU_DEP_2) | instskip(SKIP_1) | instid1(TRANS32_DEP_1)
	v_rcp_f32_e32 v127, v126
	v_nop
	v_fma_f32 v128, -v126, v127, 1.0
	s_delay_alu instid0(VALU_DEP_1) | instskip(NEXT) | instid1(VALU_DEP_1)
	v_fmac_f32_e32 v127, v128, v127
	v_mul_f32_e32 v128, v129, v127
	s_delay_alu instid0(VALU_DEP_1) | instskip(NEXT) | instid1(VALU_DEP_1)
	v_fma_f32 v130, -v126, v128, v129
	v_fmac_f32_e32 v128, v130, v127
	s_delay_alu instid0(VALU_DEP_1) | instskip(NEXT) | instid1(VALU_DEP_1)
	v_fma_f32 v126, -v126, v128, v129
	v_div_fmas_f32 v126, v126, v127, v128
	s_delay_alu instid0(VALU_DEP_1) | instskip(NEXT) | instid1(VALU_DEP_1)
	v_div_fixup_f32 v126, v126, v125, v124
	v_fmac_f32_e32 v125, v124, v126
	s_delay_alu instid0(VALU_DEP_1) | instskip(SKIP_1) | instid1(VALU_DEP_2)
	v_div_scale_f32 v124, null, v125, v125, 1.0
	v_div_scale_f32 v129, vcc_lo, 1.0, v125, 1.0
	v_rcp_f32_e32 v127, v124
	v_nop
	s_delay_alu instid0(TRANS32_DEP_1) | instskip(NEXT) | instid1(VALU_DEP_1)
	v_fma_f32 v128, -v124, v127, 1.0
	v_fmac_f32_e32 v127, v128, v127
	s_delay_alu instid0(VALU_DEP_1) | instskip(NEXT) | instid1(VALU_DEP_1)
	v_mul_f32_e32 v128, v129, v127
	v_fma_f32 v130, -v124, v128, v129
	s_delay_alu instid0(VALU_DEP_1) | instskip(NEXT) | instid1(VALU_DEP_1)
	v_fmac_f32_e32 v128, v130, v127
	v_fma_f32 v124, -v124, v128, v129
	s_delay_alu instid0(VALU_DEP_1) | instskip(NEXT) | instid1(VALU_DEP_1)
	v_div_fmas_f32 v124, v124, v127, v128
	v_div_fixup_f32 v124, v124, v125, 1.0
	s_delay_alu instid0(VALU_DEP_1)
	v_mul_f32_e32 v126, v126, v124
	v_xor_b32_e32 v127, 0x80000000, v124
                                        ; implicit-def: $vgpr124_vgpr125
.LBB47_122:
	s_and_not1_saveexec_b32 s1, s1
	s_cbranch_execz .LBB47_124
; %bb.123:
	v_div_scale_f32 v126, null, v124, v124, v125
	v_div_scale_f32 v129, vcc_lo, v125, v124, v125
	s_delay_alu instid0(VALU_DEP_2) | instskip(SKIP_1) | instid1(TRANS32_DEP_1)
	v_rcp_f32_e32 v127, v126
	v_nop
	v_fma_f32 v128, -v126, v127, 1.0
	s_delay_alu instid0(VALU_DEP_1) | instskip(NEXT) | instid1(VALU_DEP_1)
	v_fmac_f32_e32 v127, v128, v127
	v_mul_f32_e32 v128, v129, v127
	s_delay_alu instid0(VALU_DEP_1) | instskip(NEXT) | instid1(VALU_DEP_1)
	v_fma_f32 v130, -v126, v128, v129
	v_fmac_f32_e32 v128, v130, v127
	s_delay_alu instid0(VALU_DEP_1) | instskip(NEXT) | instid1(VALU_DEP_1)
	v_fma_f32 v126, -v126, v128, v129
	v_div_fmas_f32 v126, v126, v127, v128
	s_delay_alu instid0(VALU_DEP_1) | instskip(NEXT) | instid1(VALU_DEP_1)
	v_div_fixup_f32 v127, v126, v124, v125
	v_fmac_f32_e32 v124, v125, v127
	s_delay_alu instid0(VALU_DEP_1) | instskip(NEXT) | instid1(VALU_DEP_1)
	v_div_scale_f32 v125, null, v124, v124, 1.0
	v_rcp_f32_e32 v126, v125
	v_nop
	s_delay_alu instid0(TRANS32_DEP_1) | instskip(NEXT) | instid1(VALU_DEP_1)
	v_fma_f32 v128, -v125, v126, 1.0
	v_fmac_f32_e32 v126, v128, v126
	v_div_scale_f32 v128, vcc_lo, 1.0, v124, 1.0
	s_delay_alu instid0(VALU_DEP_1) | instskip(NEXT) | instid1(VALU_DEP_1)
	v_mul_f32_e32 v129, v128, v126
	v_fma_f32 v130, -v125, v129, v128
	s_delay_alu instid0(VALU_DEP_1) | instskip(NEXT) | instid1(VALU_DEP_1)
	v_fmac_f32_e32 v129, v130, v126
	v_fma_f32 v125, -v125, v129, v128
	s_delay_alu instid0(VALU_DEP_1) | instskip(NEXT) | instid1(VALU_DEP_1)
	v_div_fmas_f32 v125, v125, v126, v129
	v_div_fixup_f32 v126, v125, v124, 1.0
	s_delay_alu instid0(VALU_DEP_1)
	v_mul_f32_e64 v127, v127, -v126
.LBB47_124:
	s_or_b32 exec_lo, exec_lo, s1
	ds_store_b64 v147, v[126:127]
.LBB47_125:
	s_or_b32 exec_lo, exec_lo, s2
	s_wait_dscnt 0x0
	s_barrier_signal -1
	s_barrier_wait -1
	ds_load_b64 v[124:125], v147
	s_mov_b32 s1, exec_lo
	v_cmpx_lt_u32_e32 13, v146
	s_cbranch_execz .LBB47_127
; %bb.126:
	s_wait_dscnt 0x0
	v_pk_mul_f32 v[126:127], v[124:125], v[66:67] op_sel:[1,1] op_sel_hi:[0,1]
	s_delay_alu instid0(VALU_DEP_1)
	v_pk_fma_f32 v[130:131], v[124:125], v[66:67], v[126:127] op_sel_hi:[1,0,1] neg_lo:[0,0,1] neg_hi:[0,0,1]
	v_pk_fma_f32 v[132:133], v[124:125], v[66:67], v[126:127] op_sel_hi:[1,0,1]
	ds_load_2addr_b64 v[126:129], v148 offset0:14 offset1:15
	v_dual_mov_b32 v66, v130 :: v_dual_mov_b32 v67, v133
	s_wait_dscnt 0x0
	v_pk_mul_f32 v[134:135], v[126:127], v[132:133] op_sel:[0,1]
	s_delay_alu instid0(VALU_DEP_1) | instskip(SKIP_1) | instid1(VALU_DEP_1)
	v_pk_fma_f32 v[136:137], v[126:127], v[130:131], v[134:135] op_sel:[0,0,1] op_sel_hi:[1,1,0] neg_lo:[0,0,1] neg_hi:[0,0,1]
	v_pk_fma_f32 v[126:127], v[126:127], v[130:131], v[134:135] op_sel:[0,0,1] op_sel_hi:[1,0,0]
	v_mov_b32_e32 v137, v127
	v_pk_mul_f32 v[126:127], v[128:129], v[132:133] op_sel:[0,1]
	s_delay_alu instid0(VALU_DEP_1) | instskip(SKIP_1) | instid1(VALU_DEP_1)
	v_pk_fma_f32 v[134:135], v[128:129], v[130:131], v[126:127] op_sel:[0,0,1] op_sel_hi:[1,1,0] neg_lo:[0,0,1] neg_hi:[0,0,1]
	v_pk_fma_f32 v[126:127], v[128:129], v[130:131], v[126:127] op_sel:[0,0,1] op_sel_hi:[1,0,0]
	v_mov_b32_e32 v135, v127
	ds_load_2addr_b64 v[126:129], v148 offset0:16 offset1:17
	v_pk_add_f32 v[68:69], v[68:69], v[136:137] neg_lo:[0,1] neg_hi:[0,1]
	v_pk_add_f32 v[64:65], v[64:65], v[134:135] neg_lo:[0,1] neg_hi:[0,1]
	s_wait_dscnt 0x0
	v_pk_mul_f32 v[134:135], v[126:127], v[132:133] op_sel:[0,1]
	s_delay_alu instid0(VALU_DEP_1) | instskip(SKIP_2) | instid1(VALU_DEP_2)
	v_pk_fma_f32 v[136:137], v[126:127], v[130:131], v[134:135] op_sel:[0,0,1] op_sel_hi:[1,1,0] neg_lo:[0,0,1] neg_hi:[0,0,1]
	v_pk_fma_f32 v[126:127], v[126:127], v[130:131], v[134:135] op_sel:[0,0,1] op_sel_hi:[1,0,0]
	v_dual_mul_f32 v134, v129, v133 :: v_dual_mov_b32 v126, v129
	v_dual_mov_b32 v137, v127 :: v_dual_mov_b32 v127, v128
	s_delay_alu instid0(VALU_DEP_2) | instskip(SKIP_1) | instid1(VALU_DEP_3)
	v_pk_fma_f32 v[134:135], v[128:129], v[66:67], v[134:135] op_sel_hi:[1,1,0] neg_lo:[0,0,1] neg_hi:[0,0,1]
	v_mul_f32_e32 v128, v129, v130
	v_pk_add_f32 v[88:89], v[88:89], v[136:137] neg_lo:[0,1] neg_hi:[0,1]
	s_delay_alu instid0(VALU_DEP_2) | instskip(NEXT) | instid1(VALU_DEP_1)
	v_pk_fma_f32 v[126:127], v[126:127], v[66:67], v[128:129] op_sel_hi:[1,1,0]
	v_mov_b32_e32 v135, v127
	ds_load_2addr_b64 v[126:129], v148 offset0:18 offset1:19
	v_pk_add_f32 v[84:85], v[84:85], v[134:135] neg_lo:[0,1] neg_hi:[0,1]
	s_wait_dscnt 0x0
	v_pk_mul_f32 v[134:135], v[126:127], v[132:133] op_sel:[0,1]
	s_delay_alu instid0(VALU_DEP_1) | instskip(SKIP_1) | instid1(VALU_DEP_1)
	v_pk_fma_f32 v[136:137], v[126:127], v[130:131], v[134:135] op_sel:[0,0,1] op_sel_hi:[1,1,0] neg_lo:[0,0,1] neg_hi:[0,0,1]
	v_pk_fma_f32 v[126:127], v[126:127], v[130:131], v[134:135] op_sel:[0,0,1] op_sel_hi:[1,0,0]
	v_mov_b32_e32 v137, v127
	v_pk_mul_f32 v[126:127], v[128:129], v[132:133] op_sel:[0,1]
	s_delay_alu instid0(VALU_DEP_1) | instskip(SKIP_1) | instid1(VALU_DEP_1)
	v_pk_fma_f32 v[134:135], v[128:129], v[130:131], v[126:127] op_sel:[0,0,1] op_sel_hi:[1,1,0] neg_lo:[0,0,1] neg_hi:[0,0,1]
	v_pk_fma_f32 v[126:127], v[128:129], v[130:131], v[126:127] op_sel:[0,0,1] op_sel_hi:[1,0,0]
	v_mov_b32_e32 v135, v127
	ds_load_2addr_b64 v[126:129], v148 offset0:20 offset1:21
	v_pk_add_f32 v[86:87], v[86:87], v[136:137] neg_lo:[0,1] neg_hi:[0,1]
	v_pk_add_f32 v[82:83], v[82:83], v[134:135] neg_lo:[0,1] neg_hi:[0,1]
	s_wait_dscnt 0x0
	v_pk_mul_f32 v[134:135], v[126:127], v[132:133] op_sel:[0,1]
	s_delay_alu instid0(VALU_DEP_1) | instskip(SKIP_1) | instid1(VALU_DEP_1)
	v_pk_fma_f32 v[136:137], v[126:127], v[130:131], v[134:135] op_sel:[0,0,1] op_sel_hi:[1,1,0] neg_lo:[0,0,1] neg_hi:[0,0,1]
	v_pk_fma_f32 v[126:127], v[126:127], v[130:131], v[134:135] op_sel:[0,0,1] op_sel_hi:[1,0,0]
	v_mov_b32_e32 v137, v127
	v_pk_mul_f32 v[126:127], v[128:129], v[132:133] op_sel:[0,1]
	s_delay_alu instid0(VALU_DEP_1) | instskip(SKIP_1) | instid1(VALU_DEP_1)
	v_pk_fma_f32 v[134:135], v[128:129], v[130:131], v[126:127] op_sel:[0,0,1] op_sel_hi:[1,1,0] neg_lo:[0,0,1] neg_hi:[0,0,1]
	v_pk_fma_f32 v[126:127], v[128:129], v[130:131], v[126:127] op_sel:[0,0,1] op_sel_hi:[1,0,0]
	v_mov_b32_e32 v135, v127
	ds_load_2addr_b64 v[126:129], v148 offset0:22 offset1:23
	v_pk_add_f32 v[94:95], v[94:95], v[136:137] neg_lo:[0,1] neg_hi:[0,1]
	v_pk_add_f32 v[92:93], v[92:93], v[134:135] neg_lo:[0,1] neg_hi:[0,1]
	s_wait_dscnt 0x0
	v_dual_mul_f32 v134, v127, v133 :: v_dual_mul_f32 v136, v127, v130
	s_delay_alu instid0(VALU_DEP_1) | instskip(NEXT) | instid1(VALU_DEP_2)
	v_pk_fma_f32 v[134:135], v[126:127], v[66:67], v[134:135] op_sel_hi:[1,1,0] neg_lo:[0,0,1] neg_hi:[0,0,1]
	v_pk_fma_f32 v[126:127], v[126:127], v[66:67], v[136:137] op_sel:[1,0,0] op_sel_hi:[0,1,0]
	s_delay_alu instid0(VALU_DEP_1) | instskip(SKIP_1) | instid1(VALU_DEP_1)
	v_mov_b32_e32 v135, v127
	v_pk_mul_f32 v[126:127], v[128:129], v[132:133] op_sel:[0,1]
	v_pk_fma_f32 v[132:133], v[128:129], v[130:131], v[126:127] op_sel:[0,0,1] op_sel_hi:[1,1,0] neg_lo:[0,0,1] neg_hi:[0,0,1]
	v_pk_fma_f32 v[126:127], v[128:129], v[130:131], v[126:127] op_sel:[0,0,1] op_sel_hi:[1,0,0]
	s_delay_alu instid0(VALU_DEP_1) | instskip(SKIP_1) | instid1(VALU_DEP_2)
	v_mov_b32_e32 v133, v127
	v_pk_add_f32 v[90:91], v[90:91], v[134:135] neg_lo:[0,1] neg_hi:[0,1]
	v_pk_add_f32 v[96:97], v[96:97], v[132:133] neg_lo:[0,1] neg_hi:[0,1]
.LBB47_127:
	s_or_b32 exec_lo, exec_lo, s1
	s_delay_alu instid0(SALU_CYCLE_1)
	s_mov_b32 s2, exec_lo
	s_wait_dscnt 0x0
	s_barrier_signal -1
	s_barrier_wait -1
	v_cmpx_eq_u32_e32 14, v146
	s_cbranch_execz .LBB47_134
; %bb.128:
	ds_store_b64 v147, v[68:69]
	ds_store_2addr_b64 v148, v[64:65], v[88:89] offset0:15 offset1:16
	ds_store_2addr_b64 v148, v[84:85], v[86:87] offset0:17 offset1:18
	;; [unrolled: 1-line block ×4, first 2 shown]
	ds_store_b64 v148, v[96:97] offset:184
	ds_load_b64 v[126:127], v147
	s_wait_dscnt 0x0
	v_cmp_neq_f32_e32 vcc_lo, 0, v126
	v_cmp_neq_f32_e64 s1, 0, v127
	s_or_b32 s1, vcc_lo, s1
	s_delay_alu instid0(SALU_CYCLE_1)
	s_and_b32 exec_lo, exec_lo, s1
	s_cbranch_execz .LBB47_134
; %bb.129:
	v_cmp_ngt_f32_e64 s1, |v126|, |v127|
                                        ; implicit-def: $vgpr128_vgpr129
	s_and_saveexec_b32 s4, s1
	s_delay_alu instid0(SALU_CYCLE_1)
	s_xor_b32 s1, exec_lo, s4
	s_cbranch_execz .LBB47_131
; %bb.130:
	v_div_scale_f32 v128, null, v127, v127, v126
	v_div_scale_f32 v131, vcc_lo, v126, v127, v126
	s_delay_alu instid0(VALU_DEP_2) | instskip(SKIP_1) | instid1(TRANS32_DEP_1)
	v_rcp_f32_e32 v129, v128
	v_nop
	v_fma_f32 v130, -v128, v129, 1.0
	s_delay_alu instid0(VALU_DEP_1) | instskip(NEXT) | instid1(VALU_DEP_1)
	v_fmac_f32_e32 v129, v130, v129
	v_mul_f32_e32 v130, v131, v129
	s_delay_alu instid0(VALU_DEP_1) | instskip(NEXT) | instid1(VALU_DEP_1)
	v_fma_f32 v132, -v128, v130, v131
	v_fmac_f32_e32 v130, v132, v129
	s_delay_alu instid0(VALU_DEP_1) | instskip(NEXT) | instid1(VALU_DEP_1)
	v_fma_f32 v128, -v128, v130, v131
	v_div_fmas_f32 v128, v128, v129, v130
	s_delay_alu instid0(VALU_DEP_1) | instskip(NEXT) | instid1(VALU_DEP_1)
	v_div_fixup_f32 v128, v128, v127, v126
	v_fmac_f32_e32 v127, v126, v128
	s_delay_alu instid0(VALU_DEP_1) | instskip(SKIP_1) | instid1(VALU_DEP_2)
	v_div_scale_f32 v126, null, v127, v127, 1.0
	v_div_scale_f32 v131, vcc_lo, 1.0, v127, 1.0
	v_rcp_f32_e32 v129, v126
	v_nop
	s_delay_alu instid0(TRANS32_DEP_1) | instskip(NEXT) | instid1(VALU_DEP_1)
	v_fma_f32 v130, -v126, v129, 1.0
	v_fmac_f32_e32 v129, v130, v129
	s_delay_alu instid0(VALU_DEP_1) | instskip(NEXT) | instid1(VALU_DEP_1)
	v_mul_f32_e32 v130, v131, v129
	v_fma_f32 v132, -v126, v130, v131
	s_delay_alu instid0(VALU_DEP_1) | instskip(NEXT) | instid1(VALU_DEP_1)
	v_fmac_f32_e32 v130, v132, v129
	v_fma_f32 v126, -v126, v130, v131
	s_delay_alu instid0(VALU_DEP_1) | instskip(NEXT) | instid1(VALU_DEP_1)
	v_div_fmas_f32 v126, v126, v129, v130
	v_div_fixup_f32 v126, v126, v127, 1.0
	s_delay_alu instid0(VALU_DEP_1)
	v_mul_f32_e32 v128, v128, v126
	v_xor_b32_e32 v129, 0x80000000, v126
                                        ; implicit-def: $vgpr126_vgpr127
.LBB47_131:
	s_and_not1_saveexec_b32 s1, s1
	s_cbranch_execz .LBB47_133
; %bb.132:
	v_div_scale_f32 v128, null, v126, v126, v127
	v_div_scale_f32 v131, vcc_lo, v127, v126, v127
	s_delay_alu instid0(VALU_DEP_2) | instskip(SKIP_1) | instid1(TRANS32_DEP_1)
	v_rcp_f32_e32 v129, v128
	v_nop
	v_fma_f32 v130, -v128, v129, 1.0
	s_delay_alu instid0(VALU_DEP_1) | instskip(NEXT) | instid1(VALU_DEP_1)
	v_fmac_f32_e32 v129, v130, v129
	v_mul_f32_e32 v130, v131, v129
	s_delay_alu instid0(VALU_DEP_1) | instskip(NEXT) | instid1(VALU_DEP_1)
	v_fma_f32 v132, -v128, v130, v131
	v_fmac_f32_e32 v130, v132, v129
	s_delay_alu instid0(VALU_DEP_1) | instskip(NEXT) | instid1(VALU_DEP_1)
	v_fma_f32 v128, -v128, v130, v131
	v_div_fmas_f32 v128, v128, v129, v130
	s_delay_alu instid0(VALU_DEP_1) | instskip(NEXT) | instid1(VALU_DEP_1)
	v_div_fixup_f32 v129, v128, v126, v127
	v_fmac_f32_e32 v126, v127, v129
	s_delay_alu instid0(VALU_DEP_1) | instskip(NEXT) | instid1(VALU_DEP_1)
	v_div_scale_f32 v127, null, v126, v126, 1.0
	v_rcp_f32_e32 v128, v127
	v_nop
	s_delay_alu instid0(TRANS32_DEP_1) | instskip(NEXT) | instid1(VALU_DEP_1)
	v_fma_f32 v130, -v127, v128, 1.0
	v_fmac_f32_e32 v128, v130, v128
	v_div_scale_f32 v130, vcc_lo, 1.0, v126, 1.0
	s_delay_alu instid0(VALU_DEP_1) | instskip(NEXT) | instid1(VALU_DEP_1)
	v_mul_f32_e32 v131, v130, v128
	v_fma_f32 v132, -v127, v131, v130
	s_delay_alu instid0(VALU_DEP_1) | instskip(NEXT) | instid1(VALU_DEP_1)
	v_fmac_f32_e32 v131, v132, v128
	v_fma_f32 v127, -v127, v131, v130
	s_delay_alu instid0(VALU_DEP_1) | instskip(NEXT) | instid1(VALU_DEP_1)
	v_div_fmas_f32 v127, v127, v128, v131
	v_div_fixup_f32 v128, v127, v126, 1.0
	s_delay_alu instid0(VALU_DEP_1)
	v_mul_f32_e64 v129, v129, -v128
.LBB47_133:
	s_or_b32 exec_lo, exec_lo, s1
	ds_store_b64 v147, v[128:129]
.LBB47_134:
	s_or_b32 exec_lo, exec_lo, s2
	s_wait_dscnt 0x0
	s_barrier_signal -1
	s_barrier_wait -1
	ds_load_b64 v[126:127], v147
	s_mov_b32 s1, exec_lo
	v_cmpx_lt_u32_e32 14, v146
	s_cbranch_execz .LBB47_136
; %bb.135:
	s_wait_dscnt 0x0
	v_pk_mul_f32 v[128:129], v[126:127], v[68:69] op_sel:[1,1] op_sel_hi:[0,1]
	s_delay_alu instid0(VALU_DEP_1)
	v_pk_fma_f32 v[132:133], v[126:127], v[68:69], v[128:129] op_sel_hi:[1,0,1] neg_lo:[0,0,1] neg_hi:[0,0,1]
	v_pk_fma_f32 v[134:135], v[126:127], v[68:69], v[128:129] op_sel_hi:[1,0,1]
	ds_load_2addr_b64 v[128:131], v148 offset0:15 offset1:16
	v_dual_mov_b32 v68, v132 :: v_dual_mov_b32 v69, v135
	s_wait_dscnt 0x0
	v_pk_mul_f32 v[136:137], v[128:129], v[134:135] op_sel:[0,1]
	s_delay_alu instid0(VALU_DEP_1) | instskip(SKIP_1) | instid1(VALU_DEP_1)
	v_pk_fma_f32 v[138:139], v[128:129], v[132:133], v[136:137] op_sel:[0,0,1] op_sel_hi:[1,1,0] neg_lo:[0,0,1] neg_hi:[0,0,1]
	v_pk_fma_f32 v[128:129], v[128:129], v[132:133], v[136:137] op_sel:[0,0,1] op_sel_hi:[1,0,0]
	v_mov_b32_e32 v139, v129
	v_pk_mul_f32 v[128:129], v[130:131], v[134:135] op_sel:[0,1]
	s_delay_alu instid0(VALU_DEP_1) | instskip(SKIP_1) | instid1(VALU_DEP_1)
	v_pk_fma_f32 v[136:137], v[130:131], v[132:133], v[128:129] op_sel:[0,0,1] op_sel_hi:[1,1,0] neg_lo:[0,0,1] neg_hi:[0,0,1]
	v_pk_fma_f32 v[128:129], v[130:131], v[132:133], v[128:129] op_sel:[0,0,1] op_sel_hi:[1,0,0]
	v_mov_b32_e32 v137, v129
	ds_load_2addr_b64 v[128:131], v148 offset0:17 offset1:18
	v_pk_add_f32 v[64:65], v[64:65], v[138:139] neg_lo:[0,1] neg_hi:[0,1]
	v_pk_add_f32 v[88:89], v[88:89], v[136:137] neg_lo:[0,1] neg_hi:[0,1]
	s_wait_dscnt 0x0
	v_pk_mul_f32 v[136:137], v[128:129], v[134:135] op_sel:[0,1]
	s_delay_alu instid0(VALU_DEP_1) | instskip(SKIP_2) | instid1(VALU_DEP_2)
	v_pk_fma_f32 v[138:139], v[128:129], v[132:133], v[136:137] op_sel:[0,0,1] op_sel_hi:[1,1,0] neg_lo:[0,0,1] neg_hi:[0,0,1]
	v_pk_fma_f32 v[128:129], v[128:129], v[132:133], v[136:137] op_sel:[0,0,1] op_sel_hi:[1,0,0]
	v_dual_mul_f32 v136, v131, v135 :: v_dual_mov_b32 v128, v131
	v_dual_mov_b32 v139, v129 :: v_dual_mov_b32 v129, v130
	s_delay_alu instid0(VALU_DEP_2) | instskip(SKIP_1) | instid1(VALU_DEP_3)
	v_pk_fma_f32 v[136:137], v[130:131], v[68:69], v[136:137] op_sel_hi:[1,1,0] neg_lo:[0,0,1] neg_hi:[0,0,1]
	v_mul_f32_e32 v130, v131, v132
	v_pk_add_f32 v[84:85], v[84:85], v[138:139] neg_lo:[0,1] neg_hi:[0,1]
	s_delay_alu instid0(VALU_DEP_2) | instskip(NEXT) | instid1(VALU_DEP_1)
	v_pk_fma_f32 v[128:129], v[128:129], v[68:69], v[130:131] op_sel_hi:[1,1,0]
	v_mov_b32_e32 v137, v129
	ds_load_2addr_b64 v[128:131], v148 offset0:19 offset1:20
	v_pk_add_f32 v[86:87], v[86:87], v[136:137] neg_lo:[0,1] neg_hi:[0,1]
	s_wait_dscnt 0x0
	v_pk_mul_f32 v[136:137], v[128:129], v[134:135] op_sel:[0,1]
	s_delay_alu instid0(VALU_DEP_1) | instskip(SKIP_1) | instid1(VALU_DEP_1)
	v_pk_fma_f32 v[138:139], v[128:129], v[132:133], v[136:137] op_sel:[0,0,1] op_sel_hi:[1,1,0] neg_lo:[0,0,1] neg_hi:[0,0,1]
	v_pk_fma_f32 v[128:129], v[128:129], v[132:133], v[136:137] op_sel:[0,0,1] op_sel_hi:[1,0,0]
	v_mov_b32_e32 v139, v129
	v_pk_mul_f32 v[128:129], v[130:131], v[134:135] op_sel:[0,1]
	s_delay_alu instid0(VALU_DEP_1) | instskip(SKIP_1) | instid1(VALU_DEP_1)
	v_pk_fma_f32 v[136:137], v[130:131], v[132:133], v[128:129] op_sel:[0,0,1] op_sel_hi:[1,1,0] neg_lo:[0,0,1] neg_hi:[0,0,1]
	v_pk_fma_f32 v[128:129], v[130:131], v[132:133], v[128:129] op_sel:[0,0,1] op_sel_hi:[1,0,0]
	v_mov_b32_e32 v137, v129
	ds_load_2addr_b64 v[128:131], v148 offset0:21 offset1:22
	v_pk_add_f32 v[82:83], v[82:83], v[138:139] neg_lo:[0,1] neg_hi:[0,1]
	v_pk_add_f32 v[94:95], v[94:95], v[136:137] neg_lo:[0,1] neg_hi:[0,1]
	s_wait_dscnt 0x0
	v_pk_mul_f32 v[136:137], v[128:129], v[134:135] op_sel:[0,1]
	s_delay_alu instid0(VALU_DEP_1) | instskip(SKIP_1) | instid1(VALU_DEP_1)
	v_pk_fma_f32 v[138:139], v[128:129], v[132:133], v[136:137] op_sel:[0,0,1] op_sel_hi:[1,1,0] neg_lo:[0,0,1] neg_hi:[0,0,1]
	v_pk_fma_f32 v[128:129], v[128:129], v[132:133], v[136:137] op_sel:[0,0,1] op_sel_hi:[1,0,0]
	v_mov_b32_e32 v139, v129
	v_pk_mul_f32 v[128:129], v[130:131], v[134:135] op_sel:[0,1]
	s_delay_alu instid0(VALU_DEP_1) | instskip(SKIP_1) | instid1(VALU_DEP_1)
	v_pk_fma_f32 v[136:137], v[130:131], v[132:133], v[128:129] op_sel:[0,0,1] op_sel_hi:[1,1,0] neg_lo:[0,0,1] neg_hi:[0,0,1]
	v_pk_fma_f32 v[128:129], v[130:131], v[132:133], v[128:129] op_sel:[0,0,1] op_sel_hi:[1,0,0]
	v_mov_b32_e32 v137, v129
	ds_load_b64 v[128:129], v148 offset:184
	v_pk_add_f32 v[92:93], v[92:93], v[138:139] neg_lo:[0,1] neg_hi:[0,1]
	v_pk_add_f32 v[90:91], v[90:91], v[136:137] neg_lo:[0,1] neg_hi:[0,1]
	s_wait_dscnt 0x0
	v_pk_mul_f32 v[130:131], v[128:129], v[134:135] op_sel:[0,1]
	s_delay_alu instid0(VALU_DEP_1) | instskip(SKIP_1) | instid1(VALU_DEP_1)
	v_pk_fma_f32 v[134:135], v[128:129], v[132:133], v[130:131] op_sel:[0,0,1] op_sel_hi:[1,1,0] neg_lo:[0,0,1] neg_hi:[0,0,1]
	v_pk_fma_f32 v[128:129], v[128:129], v[132:133], v[130:131] op_sel:[0,0,1] op_sel_hi:[1,0,0]
	v_mov_b32_e32 v135, v129
	s_delay_alu instid0(VALU_DEP_1)
	v_pk_add_f32 v[96:97], v[96:97], v[134:135] neg_lo:[0,1] neg_hi:[0,1]
.LBB47_136:
	s_or_b32 exec_lo, exec_lo, s1
	s_delay_alu instid0(SALU_CYCLE_1)
	s_mov_b32 s2, exec_lo
	s_wait_dscnt 0x0
	s_barrier_signal -1
	s_barrier_wait -1
	v_cmpx_eq_u32_e32 15, v146
	s_cbranch_execz .LBB47_143
; %bb.137:
	v_dual_mov_b32 v128, v88 :: v_dual_mov_b32 v129, v89
	v_dual_mov_b32 v130, v84 :: v_dual_mov_b32 v131, v85
	ds_store_b64 v147, v[64:65]
	ds_store_2addr_b64 v148, v[128:129], v[130:131] offset0:16 offset1:17
	v_dual_mov_b32 v128, v86 :: v_dual_mov_b32 v129, v87
	v_dual_mov_b32 v130, v82 :: v_dual_mov_b32 v131, v83
	ds_store_2addr_b64 v148, v[128:129], v[130:131] offset0:18 offset1:19
	v_dual_mov_b32 v128, v94 :: v_dual_mov_b32 v129, v95
	v_dual_mov_b32 v130, v92 :: v_dual_mov_b32 v131, v93
	ds_store_2addr_b64 v148, v[128:129], v[130:131] offset0:20 offset1:21
	v_dual_mov_b32 v128, v90 :: v_dual_mov_b32 v129, v91
	ds_store_2addr_b64 v148, v[128:129], v[96:97] offset0:22 offset1:23
	ds_load_b64 v[128:129], v147
	s_wait_dscnt 0x0
	v_cmp_neq_f32_e32 vcc_lo, 0, v128
	v_cmp_neq_f32_e64 s1, 0, v129
	s_or_b32 s1, vcc_lo, s1
	s_delay_alu instid0(SALU_CYCLE_1)
	s_and_b32 exec_lo, exec_lo, s1
	s_cbranch_execz .LBB47_143
; %bb.138:
	v_cmp_ngt_f32_e64 s1, |v128|, |v129|
                                        ; implicit-def: $vgpr130_vgpr131
	s_and_saveexec_b32 s4, s1
	s_delay_alu instid0(SALU_CYCLE_1)
	s_xor_b32 s1, exec_lo, s4
	s_cbranch_execz .LBB47_140
; %bb.139:
	v_div_scale_f32 v130, null, v129, v129, v128
	v_div_scale_f32 v133, vcc_lo, v128, v129, v128
	s_delay_alu instid0(VALU_DEP_2) | instskip(SKIP_1) | instid1(TRANS32_DEP_1)
	v_rcp_f32_e32 v131, v130
	v_nop
	v_fma_f32 v132, -v130, v131, 1.0
	s_delay_alu instid0(VALU_DEP_1) | instskip(NEXT) | instid1(VALU_DEP_1)
	v_fmac_f32_e32 v131, v132, v131
	v_mul_f32_e32 v132, v133, v131
	s_delay_alu instid0(VALU_DEP_1) | instskip(NEXT) | instid1(VALU_DEP_1)
	v_fma_f32 v134, -v130, v132, v133
	v_fmac_f32_e32 v132, v134, v131
	s_delay_alu instid0(VALU_DEP_1) | instskip(NEXT) | instid1(VALU_DEP_1)
	v_fma_f32 v130, -v130, v132, v133
	v_div_fmas_f32 v130, v130, v131, v132
	s_delay_alu instid0(VALU_DEP_1) | instskip(NEXT) | instid1(VALU_DEP_1)
	v_div_fixup_f32 v130, v130, v129, v128
	v_fmac_f32_e32 v129, v128, v130
	s_delay_alu instid0(VALU_DEP_1) | instskip(SKIP_1) | instid1(VALU_DEP_2)
	v_div_scale_f32 v128, null, v129, v129, 1.0
	v_div_scale_f32 v133, vcc_lo, 1.0, v129, 1.0
	v_rcp_f32_e32 v131, v128
	v_nop
	s_delay_alu instid0(TRANS32_DEP_1) | instskip(NEXT) | instid1(VALU_DEP_1)
	v_fma_f32 v132, -v128, v131, 1.0
	v_fmac_f32_e32 v131, v132, v131
	s_delay_alu instid0(VALU_DEP_1) | instskip(NEXT) | instid1(VALU_DEP_1)
	v_mul_f32_e32 v132, v133, v131
	v_fma_f32 v134, -v128, v132, v133
	s_delay_alu instid0(VALU_DEP_1) | instskip(NEXT) | instid1(VALU_DEP_1)
	v_fmac_f32_e32 v132, v134, v131
	v_fma_f32 v128, -v128, v132, v133
	s_delay_alu instid0(VALU_DEP_1) | instskip(NEXT) | instid1(VALU_DEP_1)
	v_div_fmas_f32 v128, v128, v131, v132
	v_div_fixup_f32 v128, v128, v129, 1.0
	s_delay_alu instid0(VALU_DEP_1)
	v_mul_f32_e32 v130, v130, v128
	v_xor_b32_e32 v131, 0x80000000, v128
                                        ; implicit-def: $vgpr128_vgpr129
.LBB47_140:
	s_and_not1_saveexec_b32 s1, s1
	s_cbranch_execz .LBB47_142
; %bb.141:
	v_div_scale_f32 v130, null, v128, v128, v129
	v_div_scale_f32 v133, vcc_lo, v129, v128, v129
	s_delay_alu instid0(VALU_DEP_2) | instskip(SKIP_1) | instid1(TRANS32_DEP_1)
	v_rcp_f32_e32 v131, v130
	v_nop
	v_fma_f32 v132, -v130, v131, 1.0
	s_delay_alu instid0(VALU_DEP_1) | instskip(NEXT) | instid1(VALU_DEP_1)
	v_fmac_f32_e32 v131, v132, v131
	v_mul_f32_e32 v132, v133, v131
	s_delay_alu instid0(VALU_DEP_1) | instskip(NEXT) | instid1(VALU_DEP_1)
	v_fma_f32 v134, -v130, v132, v133
	v_fmac_f32_e32 v132, v134, v131
	s_delay_alu instid0(VALU_DEP_1) | instskip(NEXT) | instid1(VALU_DEP_1)
	v_fma_f32 v130, -v130, v132, v133
	v_div_fmas_f32 v130, v130, v131, v132
	s_delay_alu instid0(VALU_DEP_1) | instskip(NEXT) | instid1(VALU_DEP_1)
	v_div_fixup_f32 v131, v130, v128, v129
	v_fmac_f32_e32 v128, v129, v131
	s_delay_alu instid0(VALU_DEP_1) | instskip(NEXT) | instid1(VALU_DEP_1)
	v_div_scale_f32 v129, null, v128, v128, 1.0
	v_rcp_f32_e32 v130, v129
	v_nop
	s_delay_alu instid0(TRANS32_DEP_1) | instskip(NEXT) | instid1(VALU_DEP_1)
	v_fma_f32 v132, -v129, v130, 1.0
	v_fmac_f32_e32 v130, v132, v130
	v_div_scale_f32 v132, vcc_lo, 1.0, v128, 1.0
	s_delay_alu instid0(VALU_DEP_1) | instskip(NEXT) | instid1(VALU_DEP_1)
	v_mul_f32_e32 v133, v132, v130
	v_fma_f32 v134, -v129, v133, v132
	s_delay_alu instid0(VALU_DEP_1) | instskip(NEXT) | instid1(VALU_DEP_1)
	v_fmac_f32_e32 v133, v134, v130
	v_fma_f32 v129, -v129, v133, v132
	s_delay_alu instid0(VALU_DEP_1) | instskip(NEXT) | instid1(VALU_DEP_1)
	v_div_fmas_f32 v129, v129, v130, v133
	v_div_fixup_f32 v130, v129, v128, 1.0
	s_delay_alu instid0(VALU_DEP_1)
	v_mul_f32_e64 v131, v131, -v130
.LBB47_142:
	s_or_b32 exec_lo, exec_lo, s1
	ds_store_b64 v147, v[130:131]
.LBB47_143:
	s_or_b32 exec_lo, exec_lo, s2
	s_wait_dscnt 0x0
	s_barrier_signal -1
	s_barrier_wait -1
	ds_load_b64 v[128:129], v147
	s_mov_b32 s1, exec_lo
	v_cmpx_lt_u32_e32 15, v146
	s_cbranch_execz .LBB47_145
; %bb.144:
	s_wait_dscnt 0x0
	v_pk_mul_f32 v[130:131], v[128:129], v[64:65] op_sel:[1,1] op_sel_hi:[0,1]
	s_delay_alu instid0(VALU_DEP_1)
	v_pk_fma_f32 v[134:135], v[128:129], v[64:65], v[130:131] op_sel_hi:[1,0,1] neg_lo:[0,0,1] neg_hi:[0,0,1]
	v_pk_fma_f32 v[136:137], v[128:129], v[64:65], v[130:131] op_sel_hi:[1,0,1]
	ds_load_2addr_b64 v[130:133], v148 offset0:16 offset1:17
	v_dual_mov_b32 v64, v134 :: v_dual_mov_b32 v65, v137
	s_wait_dscnt 0x0
	v_pk_mul_f32 v[138:139], v[130:131], v[136:137] op_sel:[0,1]
	s_delay_alu instid0(VALU_DEP_1) | instskip(SKIP_1) | instid1(VALU_DEP_1)
	v_pk_fma_f32 v[140:141], v[130:131], v[134:135], v[138:139] op_sel:[0,0,1] op_sel_hi:[1,1,0] neg_lo:[0,0,1] neg_hi:[0,0,1]
	v_pk_fma_f32 v[130:131], v[130:131], v[134:135], v[138:139] op_sel:[0,0,1] op_sel_hi:[1,0,0]
	v_mov_b32_e32 v141, v131
	v_pk_mul_f32 v[130:131], v[132:133], v[136:137] op_sel:[0,1]
	s_delay_alu instid0(VALU_DEP_1) | instskip(SKIP_1) | instid1(VALU_DEP_1)
	v_pk_fma_f32 v[138:139], v[132:133], v[134:135], v[130:131] op_sel:[0,0,1] op_sel_hi:[1,1,0] neg_lo:[0,0,1] neg_hi:[0,0,1]
	v_pk_fma_f32 v[130:131], v[132:133], v[134:135], v[130:131] op_sel:[0,0,1] op_sel_hi:[1,0,0]
	v_mov_b32_e32 v139, v131
	ds_load_2addr_b64 v[130:133], v148 offset0:18 offset1:19
	v_pk_add_f32 v[88:89], v[88:89], v[140:141] neg_lo:[0,1] neg_hi:[0,1]
	v_pk_add_f32 v[84:85], v[84:85], v[138:139] neg_lo:[0,1] neg_hi:[0,1]
	s_wait_dscnt 0x0
	v_pk_mul_f32 v[138:139], v[130:131], v[136:137] op_sel:[0,1]
	s_delay_alu instid0(VALU_DEP_1) | instskip(SKIP_2) | instid1(VALU_DEP_2)
	v_pk_fma_f32 v[140:141], v[130:131], v[134:135], v[138:139] op_sel:[0,0,1] op_sel_hi:[1,1,0] neg_lo:[0,0,1] neg_hi:[0,0,1]
	v_pk_fma_f32 v[130:131], v[130:131], v[134:135], v[138:139] op_sel:[0,0,1] op_sel_hi:[1,0,0]
	v_dual_mul_f32 v138, v133, v137 :: v_dual_mov_b32 v130, v133
	v_dual_mov_b32 v141, v131 :: v_dual_mov_b32 v131, v132
	s_delay_alu instid0(VALU_DEP_2) | instskip(SKIP_1) | instid1(VALU_DEP_3)
	v_pk_fma_f32 v[138:139], v[132:133], v[64:65], v[138:139] op_sel_hi:[1,1,0] neg_lo:[0,0,1] neg_hi:[0,0,1]
	v_mul_f32_e32 v132, v133, v134
	v_pk_add_f32 v[86:87], v[86:87], v[140:141] neg_lo:[0,1] neg_hi:[0,1]
	s_delay_alu instid0(VALU_DEP_2) | instskip(NEXT) | instid1(VALU_DEP_1)
	v_pk_fma_f32 v[130:131], v[130:131], v[64:65], v[132:133] op_sel_hi:[1,1,0]
	v_mov_b32_e32 v139, v131
	ds_load_2addr_b64 v[130:133], v148 offset0:20 offset1:21
	v_pk_add_f32 v[82:83], v[82:83], v[138:139] neg_lo:[0,1] neg_hi:[0,1]
	s_wait_dscnt 0x0
	v_pk_mul_f32 v[138:139], v[130:131], v[136:137] op_sel:[0,1]
	s_delay_alu instid0(VALU_DEP_1) | instskip(SKIP_1) | instid1(VALU_DEP_1)
	v_pk_fma_f32 v[140:141], v[130:131], v[134:135], v[138:139] op_sel:[0,0,1] op_sel_hi:[1,1,0] neg_lo:[0,0,1] neg_hi:[0,0,1]
	v_pk_fma_f32 v[130:131], v[130:131], v[134:135], v[138:139] op_sel:[0,0,1] op_sel_hi:[1,0,0]
	v_mov_b32_e32 v141, v131
	v_pk_mul_f32 v[130:131], v[132:133], v[136:137] op_sel:[0,1]
	s_delay_alu instid0(VALU_DEP_1) | instskip(SKIP_1) | instid1(VALU_DEP_1)
	v_pk_fma_f32 v[138:139], v[132:133], v[134:135], v[130:131] op_sel:[0,0,1] op_sel_hi:[1,1,0] neg_lo:[0,0,1] neg_hi:[0,0,1]
	v_pk_fma_f32 v[130:131], v[132:133], v[134:135], v[130:131] op_sel:[0,0,1] op_sel_hi:[1,0,0]
	v_mov_b32_e32 v139, v131
	ds_load_2addr_b64 v[130:133], v148 offset0:22 offset1:23
	v_pk_add_f32 v[94:95], v[94:95], v[140:141] neg_lo:[0,1] neg_hi:[0,1]
	v_pk_add_f32 v[92:93], v[92:93], v[138:139] neg_lo:[0,1] neg_hi:[0,1]
	s_wait_dscnt 0x0
	v_pk_mul_f32 v[138:139], v[130:131], v[136:137] op_sel:[0,1]
	s_delay_alu instid0(VALU_DEP_1) | instskip(SKIP_1) | instid1(VALU_DEP_1)
	v_pk_fma_f32 v[140:141], v[130:131], v[134:135], v[138:139] op_sel:[0,0,1] op_sel_hi:[1,1,0] neg_lo:[0,0,1] neg_hi:[0,0,1]
	v_pk_fma_f32 v[130:131], v[130:131], v[134:135], v[138:139] op_sel:[0,0,1] op_sel_hi:[1,0,0]
	v_mov_b32_e32 v141, v131
	v_pk_mul_f32 v[130:131], v[132:133], v[136:137] op_sel:[0,1]
	s_delay_alu instid0(VALU_DEP_1) | instskip(SKIP_1) | instid1(VALU_DEP_1)
	v_pk_fma_f32 v[136:137], v[132:133], v[134:135], v[130:131] op_sel:[0,0,1] op_sel_hi:[1,1,0] neg_lo:[0,0,1] neg_hi:[0,0,1]
	v_pk_fma_f32 v[130:131], v[132:133], v[134:135], v[130:131] op_sel:[0,0,1] op_sel_hi:[1,0,0]
	v_mov_b32_e32 v137, v131
	v_pk_add_f32 v[90:91], v[90:91], v[140:141] neg_lo:[0,1] neg_hi:[0,1]
	s_delay_alu instid0(VALU_DEP_2)
	v_pk_add_f32 v[96:97], v[96:97], v[136:137] neg_lo:[0,1] neg_hi:[0,1]
.LBB47_145:
	s_or_b32 exec_lo, exec_lo, s1
	s_delay_alu instid0(SALU_CYCLE_1)
	s_mov_b32 s2, exec_lo
	s_wait_dscnt 0x0
	s_barrier_signal -1
	s_barrier_wait -1
	v_cmpx_eq_u32_e32 16, v146
	s_cbranch_execz .LBB47_152
; %bb.146:
	ds_store_b64 v147, v[88:89]
	ds_store_2addr_b64 v148, v[84:85], v[86:87] offset0:17 offset1:18
	ds_store_2addr_b64 v148, v[82:83], v[94:95] offset0:19 offset1:20
	;; [unrolled: 1-line block ×3, first 2 shown]
	ds_store_b64 v148, v[96:97] offset:184
	ds_load_b64 v[130:131], v147
	s_wait_dscnt 0x0
	v_cmp_neq_f32_e32 vcc_lo, 0, v130
	v_cmp_neq_f32_e64 s1, 0, v131
	s_or_b32 s1, vcc_lo, s1
	s_delay_alu instid0(SALU_CYCLE_1)
	s_and_b32 exec_lo, exec_lo, s1
	s_cbranch_execz .LBB47_152
; %bb.147:
	v_cmp_ngt_f32_e64 s1, |v130|, |v131|
                                        ; implicit-def: $vgpr132_vgpr133
	s_and_saveexec_b32 s4, s1
	s_delay_alu instid0(SALU_CYCLE_1)
	s_xor_b32 s1, exec_lo, s4
	s_cbranch_execz .LBB47_149
; %bb.148:
	v_div_scale_f32 v132, null, v131, v131, v130
	v_div_scale_f32 v135, vcc_lo, v130, v131, v130
	s_delay_alu instid0(VALU_DEP_2) | instskip(SKIP_1) | instid1(TRANS32_DEP_1)
	v_rcp_f32_e32 v133, v132
	v_nop
	v_fma_f32 v134, -v132, v133, 1.0
	s_delay_alu instid0(VALU_DEP_1) | instskip(NEXT) | instid1(VALU_DEP_1)
	v_fmac_f32_e32 v133, v134, v133
	v_mul_f32_e32 v134, v135, v133
	s_delay_alu instid0(VALU_DEP_1) | instskip(NEXT) | instid1(VALU_DEP_1)
	v_fma_f32 v136, -v132, v134, v135
	v_fmac_f32_e32 v134, v136, v133
	s_delay_alu instid0(VALU_DEP_1) | instskip(NEXT) | instid1(VALU_DEP_1)
	v_fma_f32 v132, -v132, v134, v135
	v_div_fmas_f32 v132, v132, v133, v134
	s_delay_alu instid0(VALU_DEP_1) | instskip(NEXT) | instid1(VALU_DEP_1)
	v_div_fixup_f32 v132, v132, v131, v130
	v_fmac_f32_e32 v131, v130, v132
	s_delay_alu instid0(VALU_DEP_1) | instskip(SKIP_1) | instid1(VALU_DEP_2)
	v_div_scale_f32 v130, null, v131, v131, 1.0
	v_div_scale_f32 v135, vcc_lo, 1.0, v131, 1.0
	v_rcp_f32_e32 v133, v130
	v_nop
	s_delay_alu instid0(TRANS32_DEP_1) | instskip(NEXT) | instid1(VALU_DEP_1)
	v_fma_f32 v134, -v130, v133, 1.0
	v_fmac_f32_e32 v133, v134, v133
	s_delay_alu instid0(VALU_DEP_1) | instskip(NEXT) | instid1(VALU_DEP_1)
	v_mul_f32_e32 v134, v135, v133
	v_fma_f32 v136, -v130, v134, v135
	s_delay_alu instid0(VALU_DEP_1) | instskip(NEXT) | instid1(VALU_DEP_1)
	v_fmac_f32_e32 v134, v136, v133
	v_fma_f32 v130, -v130, v134, v135
	s_delay_alu instid0(VALU_DEP_1) | instskip(NEXT) | instid1(VALU_DEP_1)
	v_div_fmas_f32 v130, v130, v133, v134
	v_div_fixup_f32 v130, v130, v131, 1.0
	s_delay_alu instid0(VALU_DEP_1)
	v_mul_f32_e32 v132, v132, v130
	v_xor_b32_e32 v133, 0x80000000, v130
                                        ; implicit-def: $vgpr130_vgpr131
.LBB47_149:
	s_and_not1_saveexec_b32 s1, s1
	s_cbranch_execz .LBB47_151
; %bb.150:
	v_div_scale_f32 v132, null, v130, v130, v131
	v_div_scale_f32 v135, vcc_lo, v131, v130, v131
	s_delay_alu instid0(VALU_DEP_2) | instskip(SKIP_1) | instid1(TRANS32_DEP_1)
	v_rcp_f32_e32 v133, v132
	v_nop
	v_fma_f32 v134, -v132, v133, 1.0
	s_delay_alu instid0(VALU_DEP_1) | instskip(NEXT) | instid1(VALU_DEP_1)
	v_fmac_f32_e32 v133, v134, v133
	v_mul_f32_e32 v134, v135, v133
	s_delay_alu instid0(VALU_DEP_1) | instskip(NEXT) | instid1(VALU_DEP_1)
	v_fma_f32 v136, -v132, v134, v135
	v_fmac_f32_e32 v134, v136, v133
	s_delay_alu instid0(VALU_DEP_1) | instskip(NEXT) | instid1(VALU_DEP_1)
	v_fma_f32 v132, -v132, v134, v135
	v_div_fmas_f32 v132, v132, v133, v134
	s_delay_alu instid0(VALU_DEP_1) | instskip(NEXT) | instid1(VALU_DEP_1)
	v_div_fixup_f32 v133, v132, v130, v131
	v_fmac_f32_e32 v130, v131, v133
	s_delay_alu instid0(VALU_DEP_1) | instskip(NEXT) | instid1(VALU_DEP_1)
	v_div_scale_f32 v131, null, v130, v130, 1.0
	v_rcp_f32_e32 v132, v131
	v_nop
	s_delay_alu instid0(TRANS32_DEP_1) | instskip(NEXT) | instid1(VALU_DEP_1)
	v_fma_f32 v134, -v131, v132, 1.0
	v_fmac_f32_e32 v132, v134, v132
	v_div_scale_f32 v134, vcc_lo, 1.0, v130, 1.0
	s_delay_alu instid0(VALU_DEP_1) | instskip(NEXT) | instid1(VALU_DEP_1)
	v_mul_f32_e32 v135, v134, v132
	v_fma_f32 v136, -v131, v135, v134
	s_delay_alu instid0(VALU_DEP_1) | instskip(NEXT) | instid1(VALU_DEP_1)
	v_fmac_f32_e32 v135, v136, v132
	v_fma_f32 v131, -v131, v135, v134
	s_delay_alu instid0(VALU_DEP_1) | instskip(NEXT) | instid1(VALU_DEP_1)
	v_div_fmas_f32 v131, v131, v132, v135
	v_div_fixup_f32 v132, v131, v130, 1.0
	s_delay_alu instid0(VALU_DEP_1)
	v_mul_f32_e64 v133, v133, -v132
.LBB47_151:
	s_or_b32 exec_lo, exec_lo, s1
	ds_store_b64 v147, v[132:133]
.LBB47_152:
	s_or_b32 exec_lo, exec_lo, s2
	s_wait_dscnt 0x0
	s_barrier_signal -1
	s_barrier_wait -1
	ds_load_b64 v[130:131], v147
	s_mov_b32 s1, exec_lo
	v_cmpx_lt_u32_e32 16, v146
	s_cbranch_execz .LBB47_154
; %bb.153:
	s_wait_dscnt 0x0
	v_pk_mul_f32 v[132:133], v[130:131], v[88:89] op_sel:[1,1] op_sel_hi:[0,1]
	s_delay_alu instid0(VALU_DEP_1)
	v_pk_fma_f32 v[136:137], v[130:131], v[88:89], v[132:133] op_sel_hi:[1,0,1] neg_lo:[0,0,1] neg_hi:[0,0,1]
	v_pk_fma_f32 v[138:139], v[130:131], v[88:89], v[132:133] op_sel_hi:[1,0,1]
	ds_load_2addr_b64 v[132:135], v148 offset0:17 offset1:18
	v_dual_mov_b32 v88, v136 :: v_dual_mov_b32 v89, v139
	s_wait_dscnt 0x0
	v_pk_mul_f32 v[140:141], v[132:133], v[138:139] op_sel:[0,1]
	s_delay_alu instid0(VALU_DEP_1) | instskip(SKIP_1) | instid1(VALU_DEP_1)
	v_pk_fma_f32 v[142:143], v[132:133], v[136:137], v[140:141] op_sel:[0,0,1] op_sel_hi:[1,1,0] neg_lo:[0,0,1] neg_hi:[0,0,1]
	v_pk_fma_f32 v[132:133], v[132:133], v[136:137], v[140:141] op_sel:[0,0,1] op_sel_hi:[1,0,0]
	v_mov_b32_e32 v143, v133
	v_pk_mul_f32 v[132:133], v[134:135], v[138:139] op_sel:[0,1]
	s_delay_alu instid0(VALU_DEP_1) | instskip(SKIP_1) | instid1(VALU_DEP_1)
	v_pk_fma_f32 v[140:141], v[134:135], v[136:137], v[132:133] op_sel:[0,0,1] op_sel_hi:[1,1,0] neg_lo:[0,0,1] neg_hi:[0,0,1]
	v_pk_fma_f32 v[132:133], v[134:135], v[136:137], v[132:133] op_sel:[0,0,1] op_sel_hi:[1,0,0]
	v_mov_b32_e32 v141, v133
	ds_load_2addr_b64 v[132:135], v148 offset0:19 offset1:20
	v_pk_add_f32 v[84:85], v[84:85], v[142:143] neg_lo:[0,1] neg_hi:[0,1]
	v_pk_add_f32 v[86:87], v[86:87], v[140:141] neg_lo:[0,1] neg_hi:[0,1]
	s_wait_dscnt 0x0
	v_pk_mul_f32 v[140:141], v[132:133], v[138:139] op_sel:[0,1]
	s_delay_alu instid0(VALU_DEP_1) | instskip(SKIP_2) | instid1(VALU_DEP_2)
	v_pk_fma_f32 v[142:143], v[132:133], v[136:137], v[140:141] op_sel:[0,0,1] op_sel_hi:[1,1,0] neg_lo:[0,0,1] neg_hi:[0,0,1]
	v_pk_fma_f32 v[132:133], v[132:133], v[136:137], v[140:141] op_sel:[0,0,1] op_sel_hi:[1,0,0]
	v_dual_mul_f32 v140, v135, v139 :: v_dual_mov_b32 v132, v135
	v_dual_mov_b32 v143, v133 :: v_dual_mov_b32 v133, v134
	s_delay_alu instid0(VALU_DEP_2) | instskip(SKIP_1) | instid1(VALU_DEP_3)
	v_pk_fma_f32 v[140:141], v[134:135], v[88:89], v[140:141] op_sel_hi:[1,1,0] neg_lo:[0,0,1] neg_hi:[0,0,1]
	v_mul_f32_e32 v134, v135, v136
	v_pk_add_f32 v[82:83], v[82:83], v[142:143] neg_lo:[0,1] neg_hi:[0,1]
	s_delay_alu instid0(VALU_DEP_2) | instskip(NEXT) | instid1(VALU_DEP_1)
	v_pk_fma_f32 v[132:133], v[132:133], v[88:89], v[134:135] op_sel_hi:[1,1,0]
	v_mov_b32_e32 v141, v133
	ds_load_2addr_b64 v[132:135], v148 offset0:21 offset1:22
	v_pk_add_f32 v[94:95], v[94:95], v[140:141] neg_lo:[0,1] neg_hi:[0,1]
	s_wait_dscnt 0x0
	v_pk_mul_f32 v[140:141], v[132:133], v[138:139] op_sel:[0,1]
	s_delay_alu instid0(VALU_DEP_1) | instskip(SKIP_1) | instid1(VALU_DEP_1)
	v_pk_fma_f32 v[142:143], v[132:133], v[136:137], v[140:141] op_sel:[0,0,1] op_sel_hi:[1,1,0] neg_lo:[0,0,1] neg_hi:[0,0,1]
	v_pk_fma_f32 v[132:133], v[132:133], v[136:137], v[140:141] op_sel:[0,0,1] op_sel_hi:[1,0,0]
	v_mov_b32_e32 v143, v133
	v_pk_mul_f32 v[132:133], v[134:135], v[138:139] op_sel:[0,1]
	s_delay_alu instid0(VALU_DEP_1) | instskip(SKIP_1) | instid1(VALU_DEP_1)
	v_pk_fma_f32 v[140:141], v[134:135], v[136:137], v[132:133] op_sel:[0,0,1] op_sel_hi:[1,1,0] neg_lo:[0,0,1] neg_hi:[0,0,1]
	v_pk_fma_f32 v[132:133], v[134:135], v[136:137], v[132:133] op_sel:[0,0,1] op_sel_hi:[1,0,0]
	v_mov_b32_e32 v141, v133
	ds_load_b64 v[132:133], v148 offset:184
	v_pk_add_f32 v[92:93], v[92:93], v[142:143] neg_lo:[0,1] neg_hi:[0,1]
	v_pk_add_f32 v[90:91], v[90:91], v[140:141] neg_lo:[0,1] neg_hi:[0,1]
	s_wait_dscnt 0x0
	v_pk_mul_f32 v[134:135], v[132:133], v[138:139] op_sel:[0,1]
	s_delay_alu instid0(VALU_DEP_1) | instskip(SKIP_1) | instid1(VALU_DEP_1)
	v_pk_fma_f32 v[138:139], v[132:133], v[136:137], v[134:135] op_sel:[0,0,1] op_sel_hi:[1,1,0] neg_lo:[0,0,1] neg_hi:[0,0,1]
	v_pk_fma_f32 v[132:133], v[132:133], v[136:137], v[134:135] op_sel:[0,0,1] op_sel_hi:[1,0,0]
	v_mov_b32_e32 v139, v133
	s_delay_alu instid0(VALU_DEP_1)
	v_pk_add_f32 v[96:97], v[96:97], v[138:139] neg_lo:[0,1] neg_hi:[0,1]
.LBB47_154:
	s_or_b32 exec_lo, exec_lo, s1
	s_delay_alu instid0(SALU_CYCLE_1)
	s_mov_b32 s2, exec_lo
	s_wait_dscnt 0x0
	s_barrier_signal -1
	s_barrier_wait -1
	v_cmpx_eq_u32_e32 17, v146
	s_cbranch_execz .LBB47_161
; %bb.155:
	v_dual_mov_b32 v132, v86 :: v_dual_mov_b32 v133, v87
	v_dual_mov_b32 v134, v82 :: v_dual_mov_b32 v135, v83
	v_dual_mov_b32 v136, v94 :: v_dual_mov_b32 v137, v95
	v_dual_mov_b32 v138, v92 :: v_dual_mov_b32 v139, v93
	v_dual_mov_b32 v140, v90 :: v_dual_mov_b32 v141, v91
	ds_store_b64 v147, v[84:85]
	ds_store_2addr_b64 v148, v[132:133], v[134:135] offset0:18 offset1:19
	ds_store_2addr_b64 v148, v[136:137], v[138:139] offset0:20 offset1:21
	;; [unrolled: 1-line block ×3, first 2 shown]
	ds_load_b64 v[132:133], v147
	s_wait_dscnt 0x0
	v_cmp_neq_f32_e32 vcc_lo, 0, v132
	v_cmp_neq_f32_e64 s1, 0, v133
	s_or_b32 s1, vcc_lo, s1
	s_delay_alu instid0(SALU_CYCLE_1)
	s_and_b32 exec_lo, exec_lo, s1
	s_cbranch_execz .LBB47_161
; %bb.156:
	v_cmp_ngt_f32_e64 s1, |v132|, |v133|
                                        ; implicit-def: $vgpr134_vgpr135
	s_and_saveexec_b32 s4, s1
	s_delay_alu instid0(SALU_CYCLE_1)
	s_xor_b32 s1, exec_lo, s4
	s_cbranch_execz .LBB47_158
; %bb.157:
	v_div_scale_f32 v134, null, v133, v133, v132
	v_div_scale_f32 v137, vcc_lo, v132, v133, v132
	s_delay_alu instid0(VALU_DEP_2) | instskip(SKIP_1) | instid1(TRANS32_DEP_1)
	v_rcp_f32_e32 v135, v134
	v_nop
	v_fma_f32 v136, -v134, v135, 1.0
	s_delay_alu instid0(VALU_DEP_1) | instskip(NEXT) | instid1(VALU_DEP_1)
	v_fmac_f32_e32 v135, v136, v135
	v_mul_f32_e32 v136, v137, v135
	s_delay_alu instid0(VALU_DEP_1) | instskip(NEXT) | instid1(VALU_DEP_1)
	v_fma_f32 v138, -v134, v136, v137
	v_fmac_f32_e32 v136, v138, v135
	s_delay_alu instid0(VALU_DEP_1) | instskip(NEXT) | instid1(VALU_DEP_1)
	v_fma_f32 v134, -v134, v136, v137
	v_div_fmas_f32 v134, v134, v135, v136
	s_delay_alu instid0(VALU_DEP_1) | instskip(NEXT) | instid1(VALU_DEP_1)
	v_div_fixup_f32 v134, v134, v133, v132
	v_fmac_f32_e32 v133, v132, v134
	s_delay_alu instid0(VALU_DEP_1) | instskip(SKIP_1) | instid1(VALU_DEP_2)
	v_div_scale_f32 v132, null, v133, v133, 1.0
	v_div_scale_f32 v137, vcc_lo, 1.0, v133, 1.0
	v_rcp_f32_e32 v135, v132
	v_nop
	s_delay_alu instid0(TRANS32_DEP_1) | instskip(NEXT) | instid1(VALU_DEP_1)
	v_fma_f32 v136, -v132, v135, 1.0
	v_fmac_f32_e32 v135, v136, v135
	s_delay_alu instid0(VALU_DEP_1) | instskip(NEXT) | instid1(VALU_DEP_1)
	v_mul_f32_e32 v136, v137, v135
	v_fma_f32 v138, -v132, v136, v137
	s_delay_alu instid0(VALU_DEP_1) | instskip(NEXT) | instid1(VALU_DEP_1)
	v_fmac_f32_e32 v136, v138, v135
	v_fma_f32 v132, -v132, v136, v137
	s_delay_alu instid0(VALU_DEP_1) | instskip(NEXT) | instid1(VALU_DEP_1)
	v_div_fmas_f32 v132, v132, v135, v136
	v_div_fixup_f32 v132, v132, v133, 1.0
	s_delay_alu instid0(VALU_DEP_1)
	v_mul_f32_e32 v134, v134, v132
	v_xor_b32_e32 v135, 0x80000000, v132
                                        ; implicit-def: $vgpr132_vgpr133
.LBB47_158:
	s_and_not1_saveexec_b32 s1, s1
	s_cbranch_execz .LBB47_160
; %bb.159:
	v_div_scale_f32 v134, null, v132, v132, v133
	v_div_scale_f32 v137, vcc_lo, v133, v132, v133
	s_delay_alu instid0(VALU_DEP_2) | instskip(SKIP_1) | instid1(TRANS32_DEP_1)
	v_rcp_f32_e32 v135, v134
	v_nop
	v_fma_f32 v136, -v134, v135, 1.0
	s_delay_alu instid0(VALU_DEP_1) | instskip(NEXT) | instid1(VALU_DEP_1)
	v_fmac_f32_e32 v135, v136, v135
	v_mul_f32_e32 v136, v137, v135
	s_delay_alu instid0(VALU_DEP_1) | instskip(NEXT) | instid1(VALU_DEP_1)
	v_fma_f32 v138, -v134, v136, v137
	v_fmac_f32_e32 v136, v138, v135
	s_delay_alu instid0(VALU_DEP_1) | instskip(NEXT) | instid1(VALU_DEP_1)
	v_fma_f32 v134, -v134, v136, v137
	v_div_fmas_f32 v134, v134, v135, v136
	s_delay_alu instid0(VALU_DEP_1) | instskip(NEXT) | instid1(VALU_DEP_1)
	v_div_fixup_f32 v135, v134, v132, v133
	v_fmac_f32_e32 v132, v133, v135
	s_delay_alu instid0(VALU_DEP_1) | instskip(NEXT) | instid1(VALU_DEP_1)
	v_div_scale_f32 v133, null, v132, v132, 1.0
	v_rcp_f32_e32 v134, v133
	v_nop
	s_delay_alu instid0(TRANS32_DEP_1) | instskip(NEXT) | instid1(VALU_DEP_1)
	v_fma_f32 v136, -v133, v134, 1.0
	v_fmac_f32_e32 v134, v136, v134
	v_div_scale_f32 v136, vcc_lo, 1.0, v132, 1.0
	s_delay_alu instid0(VALU_DEP_1) | instskip(NEXT) | instid1(VALU_DEP_1)
	v_mul_f32_e32 v137, v136, v134
	v_fma_f32 v138, -v133, v137, v136
	s_delay_alu instid0(VALU_DEP_1) | instskip(NEXT) | instid1(VALU_DEP_1)
	v_fmac_f32_e32 v137, v138, v134
	v_fma_f32 v133, -v133, v137, v136
	s_delay_alu instid0(VALU_DEP_1) | instskip(NEXT) | instid1(VALU_DEP_1)
	v_div_fmas_f32 v133, v133, v134, v137
	v_div_fixup_f32 v134, v133, v132, 1.0
	s_delay_alu instid0(VALU_DEP_1)
	v_mul_f32_e64 v135, v135, -v134
.LBB47_160:
	s_or_b32 exec_lo, exec_lo, s1
	ds_store_b64 v147, v[134:135]
.LBB47_161:
	s_or_b32 exec_lo, exec_lo, s2
	s_wait_dscnt 0x0
	s_barrier_signal -1
	s_barrier_wait -1
	ds_load_b64 v[132:133], v147
	s_mov_b32 s1, exec_lo
	v_cmpx_lt_u32_e32 17, v146
	s_cbranch_execz .LBB47_163
; %bb.162:
	s_wait_dscnt 0x0
	v_pk_mul_f32 v[134:135], v[132:133], v[84:85] op_sel:[1,1] op_sel_hi:[0,1]
	s_delay_alu instid0(VALU_DEP_1)
	v_pk_fma_f32 v[138:139], v[132:133], v[84:85], v[134:135] op_sel_hi:[1,0,1] neg_lo:[0,0,1] neg_hi:[0,0,1]
	v_pk_fma_f32 v[140:141], v[132:133], v[84:85], v[134:135] op_sel_hi:[1,0,1]
	ds_load_2addr_b64 v[134:137], v148 offset0:18 offset1:19
	v_dual_mov_b32 v84, v138 :: v_dual_mov_b32 v85, v141
	s_wait_dscnt 0x0
	v_pk_mul_f32 v[142:143], v[134:135], v[140:141] op_sel:[0,1]
	s_delay_alu instid0(VALU_DEP_1) | instskip(SKIP_1) | instid1(VALU_DEP_1)
	v_pk_fma_f32 v[144:145], v[134:135], v[138:139], v[142:143] op_sel:[0,0,1] op_sel_hi:[1,1,0] neg_lo:[0,0,1] neg_hi:[0,0,1]
	v_pk_fma_f32 v[134:135], v[134:135], v[138:139], v[142:143] op_sel:[0,0,1] op_sel_hi:[1,0,0]
	v_mov_b32_e32 v145, v135
	v_pk_mul_f32 v[134:135], v[136:137], v[140:141] op_sel:[0,1]
	s_delay_alu instid0(VALU_DEP_1) | instskip(SKIP_1) | instid1(VALU_DEP_1)
	v_pk_fma_f32 v[142:143], v[136:137], v[138:139], v[134:135] op_sel:[0,0,1] op_sel_hi:[1,1,0] neg_lo:[0,0,1] neg_hi:[0,0,1]
	v_pk_fma_f32 v[134:135], v[136:137], v[138:139], v[134:135] op_sel:[0,0,1] op_sel_hi:[1,0,0]
	v_mov_b32_e32 v143, v135
	ds_load_2addr_b64 v[134:137], v148 offset0:20 offset1:21
	v_pk_add_f32 v[86:87], v[86:87], v[144:145] neg_lo:[0,1] neg_hi:[0,1]
	v_pk_add_f32 v[82:83], v[82:83], v[142:143] neg_lo:[0,1] neg_hi:[0,1]
	s_wait_dscnt 0x0
	v_pk_mul_f32 v[142:143], v[134:135], v[140:141] op_sel:[0,1]
	s_delay_alu instid0(VALU_DEP_1) | instskip(SKIP_2) | instid1(VALU_DEP_2)
	v_pk_fma_f32 v[144:145], v[134:135], v[138:139], v[142:143] op_sel:[0,0,1] op_sel_hi:[1,1,0] neg_lo:[0,0,1] neg_hi:[0,0,1]
	v_pk_fma_f32 v[134:135], v[134:135], v[138:139], v[142:143] op_sel:[0,0,1] op_sel_hi:[1,0,0]
	v_dual_mul_f32 v142, v137, v141 :: v_dual_mov_b32 v134, v137
	v_dual_mov_b32 v145, v135 :: v_dual_mov_b32 v135, v136
	s_delay_alu instid0(VALU_DEP_2) | instskip(SKIP_1) | instid1(VALU_DEP_3)
	v_pk_fma_f32 v[142:143], v[136:137], v[84:85], v[142:143] op_sel_hi:[1,1,0] neg_lo:[0,0,1] neg_hi:[0,0,1]
	v_mul_f32_e32 v136, v137, v138
	v_pk_add_f32 v[94:95], v[94:95], v[144:145] neg_lo:[0,1] neg_hi:[0,1]
	s_delay_alu instid0(VALU_DEP_2) | instskip(NEXT) | instid1(VALU_DEP_1)
	v_pk_fma_f32 v[134:135], v[134:135], v[84:85], v[136:137] op_sel_hi:[1,1,0]
	v_mov_b32_e32 v143, v135
	ds_load_2addr_b64 v[134:137], v148 offset0:22 offset1:23
	v_pk_add_f32 v[92:93], v[92:93], v[142:143] neg_lo:[0,1] neg_hi:[0,1]
	s_wait_dscnt 0x0
	v_pk_mul_f32 v[142:143], v[134:135], v[140:141] op_sel:[0,1]
	v_mul_f32_e32 v140, v137, v141
	s_delay_alu instid0(VALU_DEP_2) | instskip(SKIP_2) | instid1(VALU_DEP_4)
	v_pk_fma_f32 v[144:145], v[134:135], v[138:139], v[142:143] op_sel:[0,0,1] op_sel_hi:[1,1,0] neg_lo:[0,0,1] neg_hi:[0,0,1]
	v_pk_fma_f32 v[134:135], v[134:135], v[138:139], v[142:143] op_sel:[0,0,1] op_sel_hi:[1,0,0]
	v_mov_b32_e32 v134, v137
	v_pk_fma_f32 v[140:141], v[136:137], v[84:85], v[140:141] op_sel_hi:[1,1,0] neg_lo:[0,0,1] neg_hi:[0,0,1]
	s_delay_alu instid0(VALU_DEP_3) | instskip(SKIP_1) | instid1(VALU_DEP_2)
	v_dual_mov_b32 v145, v135 :: v_dual_mov_b32 v135, v136
	v_mul_f32_e32 v136, v137, v138
	v_pk_add_f32 v[90:91], v[90:91], v[144:145] neg_lo:[0,1] neg_hi:[0,1]
	s_delay_alu instid0(VALU_DEP_2) | instskip(NEXT) | instid1(VALU_DEP_1)
	v_pk_fma_f32 v[134:135], v[134:135], v[84:85], v[136:137] op_sel_hi:[1,1,0]
	v_mov_b32_e32 v141, v135
	s_delay_alu instid0(VALU_DEP_1)
	v_pk_add_f32 v[96:97], v[96:97], v[140:141] neg_lo:[0,1] neg_hi:[0,1]
.LBB47_163:
	s_or_b32 exec_lo, exec_lo, s1
	s_delay_alu instid0(SALU_CYCLE_1)
	s_mov_b32 s2, exec_lo
	s_wait_dscnt 0x0
	s_barrier_signal -1
	s_barrier_wait -1
	v_cmpx_eq_u32_e32 18, v146
	s_cbranch_execz .LBB47_170
; %bb.164:
	ds_store_b64 v147, v[86:87]
	ds_store_2addr_b64 v148, v[82:83], v[94:95] offset0:19 offset1:20
	ds_store_2addr_b64 v148, v[92:93], v[90:91] offset0:21 offset1:22
	ds_store_b64 v148, v[96:97] offset:184
	ds_load_b64 v[134:135], v147
	s_wait_dscnt 0x0
	v_cmp_neq_f32_e32 vcc_lo, 0, v134
	v_cmp_neq_f32_e64 s1, 0, v135
	s_or_b32 s1, vcc_lo, s1
	s_delay_alu instid0(SALU_CYCLE_1)
	s_and_b32 exec_lo, exec_lo, s1
	s_cbranch_execz .LBB47_170
; %bb.165:
	v_cmp_ngt_f32_e64 s1, |v134|, |v135|
                                        ; implicit-def: $vgpr136_vgpr137
	s_and_saveexec_b32 s4, s1
	s_delay_alu instid0(SALU_CYCLE_1)
	s_xor_b32 s1, exec_lo, s4
	s_cbranch_execz .LBB47_167
; %bb.166:
	v_div_scale_f32 v136, null, v135, v135, v134
	v_div_scale_f32 v139, vcc_lo, v134, v135, v134
	s_delay_alu instid0(VALU_DEP_2) | instskip(SKIP_1) | instid1(TRANS32_DEP_1)
	v_rcp_f32_e32 v137, v136
	v_nop
	v_fma_f32 v138, -v136, v137, 1.0
	s_delay_alu instid0(VALU_DEP_1) | instskip(NEXT) | instid1(VALU_DEP_1)
	v_fmac_f32_e32 v137, v138, v137
	v_mul_f32_e32 v138, v139, v137
	s_delay_alu instid0(VALU_DEP_1) | instskip(NEXT) | instid1(VALU_DEP_1)
	v_fma_f32 v140, -v136, v138, v139
	v_fmac_f32_e32 v138, v140, v137
	s_delay_alu instid0(VALU_DEP_1) | instskip(NEXT) | instid1(VALU_DEP_1)
	v_fma_f32 v136, -v136, v138, v139
	v_div_fmas_f32 v136, v136, v137, v138
	s_delay_alu instid0(VALU_DEP_1) | instskip(NEXT) | instid1(VALU_DEP_1)
	v_div_fixup_f32 v136, v136, v135, v134
	v_fmac_f32_e32 v135, v134, v136
	s_delay_alu instid0(VALU_DEP_1) | instskip(SKIP_1) | instid1(VALU_DEP_2)
	v_div_scale_f32 v134, null, v135, v135, 1.0
	v_div_scale_f32 v139, vcc_lo, 1.0, v135, 1.0
	v_rcp_f32_e32 v137, v134
	v_nop
	s_delay_alu instid0(TRANS32_DEP_1) | instskip(NEXT) | instid1(VALU_DEP_1)
	v_fma_f32 v138, -v134, v137, 1.0
	v_fmac_f32_e32 v137, v138, v137
	s_delay_alu instid0(VALU_DEP_1) | instskip(NEXT) | instid1(VALU_DEP_1)
	v_mul_f32_e32 v138, v139, v137
	v_fma_f32 v140, -v134, v138, v139
	s_delay_alu instid0(VALU_DEP_1) | instskip(NEXT) | instid1(VALU_DEP_1)
	v_fmac_f32_e32 v138, v140, v137
	v_fma_f32 v134, -v134, v138, v139
	s_delay_alu instid0(VALU_DEP_1) | instskip(NEXT) | instid1(VALU_DEP_1)
	v_div_fmas_f32 v134, v134, v137, v138
	v_div_fixup_f32 v134, v134, v135, 1.0
	s_delay_alu instid0(VALU_DEP_1)
	v_mul_f32_e32 v136, v136, v134
	v_xor_b32_e32 v137, 0x80000000, v134
                                        ; implicit-def: $vgpr134_vgpr135
.LBB47_167:
	s_and_not1_saveexec_b32 s1, s1
	s_cbranch_execz .LBB47_169
; %bb.168:
	v_div_scale_f32 v136, null, v134, v134, v135
	v_div_scale_f32 v139, vcc_lo, v135, v134, v135
	s_delay_alu instid0(VALU_DEP_2) | instskip(SKIP_1) | instid1(TRANS32_DEP_1)
	v_rcp_f32_e32 v137, v136
	v_nop
	v_fma_f32 v138, -v136, v137, 1.0
	s_delay_alu instid0(VALU_DEP_1) | instskip(NEXT) | instid1(VALU_DEP_1)
	v_fmac_f32_e32 v137, v138, v137
	v_mul_f32_e32 v138, v139, v137
	s_delay_alu instid0(VALU_DEP_1) | instskip(NEXT) | instid1(VALU_DEP_1)
	v_fma_f32 v140, -v136, v138, v139
	v_fmac_f32_e32 v138, v140, v137
	s_delay_alu instid0(VALU_DEP_1) | instskip(NEXT) | instid1(VALU_DEP_1)
	v_fma_f32 v136, -v136, v138, v139
	v_div_fmas_f32 v136, v136, v137, v138
	s_delay_alu instid0(VALU_DEP_1) | instskip(NEXT) | instid1(VALU_DEP_1)
	v_div_fixup_f32 v137, v136, v134, v135
	v_fmac_f32_e32 v134, v135, v137
	s_delay_alu instid0(VALU_DEP_1) | instskip(NEXT) | instid1(VALU_DEP_1)
	v_div_scale_f32 v135, null, v134, v134, 1.0
	v_rcp_f32_e32 v136, v135
	v_nop
	s_delay_alu instid0(TRANS32_DEP_1) | instskip(NEXT) | instid1(VALU_DEP_1)
	v_fma_f32 v138, -v135, v136, 1.0
	v_fmac_f32_e32 v136, v138, v136
	v_div_scale_f32 v138, vcc_lo, 1.0, v134, 1.0
	s_delay_alu instid0(VALU_DEP_1) | instskip(NEXT) | instid1(VALU_DEP_1)
	v_mul_f32_e32 v139, v138, v136
	v_fma_f32 v140, -v135, v139, v138
	s_delay_alu instid0(VALU_DEP_1) | instskip(NEXT) | instid1(VALU_DEP_1)
	v_fmac_f32_e32 v139, v140, v136
	v_fma_f32 v135, -v135, v139, v138
	s_delay_alu instid0(VALU_DEP_1) | instskip(NEXT) | instid1(VALU_DEP_1)
	v_div_fmas_f32 v135, v135, v136, v139
	v_div_fixup_f32 v136, v135, v134, 1.0
	s_delay_alu instid0(VALU_DEP_1)
	v_mul_f32_e64 v137, v137, -v136
.LBB47_169:
	s_or_b32 exec_lo, exec_lo, s1
	ds_store_b64 v147, v[136:137]
.LBB47_170:
	s_or_b32 exec_lo, exec_lo, s2
	s_wait_dscnt 0x0
	s_barrier_signal -1
	s_barrier_wait -1
	ds_load_b64 v[134:135], v147
	s_mov_b32 s1, exec_lo
	v_cmpx_lt_u32_e32 18, v146
	s_cbranch_execz .LBB47_172
; %bb.171:
	s_wait_dscnt 0x0
	v_pk_mul_f32 v[136:137], v[134:135], v[86:87] op_sel:[1,1] op_sel_hi:[0,1]
	s_delay_alu instid0(VALU_DEP_1)
	v_pk_fma_f32 v[140:141], v[134:135], v[86:87], v[136:137] op_sel_hi:[1,0,1] neg_lo:[0,0,1] neg_hi:[0,0,1]
	v_pk_fma_f32 v[142:143], v[134:135], v[86:87], v[136:137] op_sel_hi:[1,0,1]
	ds_load_2addr_b64 v[136:139], v148 offset0:19 offset1:20
	v_dual_mov_b32 v86, v140 :: v_dual_mov_b32 v87, v143
	s_wait_dscnt 0x0
	v_pk_mul_f32 v[144:145], v[136:137], v[142:143] op_sel:[0,1]
	s_delay_alu instid0(VALU_DEP_1) | instskip(SKIP_1) | instid1(VALU_DEP_1)
	v_pk_fma_f32 v[150:151], v[136:137], v[140:141], v[144:145] op_sel:[0,0,1] op_sel_hi:[1,1,0] neg_lo:[0,0,1] neg_hi:[0,0,1]
	v_pk_fma_f32 v[136:137], v[136:137], v[140:141], v[144:145] op_sel:[0,0,1] op_sel_hi:[1,0,0]
	v_mov_b32_e32 v151, v137
	v_pk_mul_f32 v[136:137], v[138:139], v[142:143] op_sel:[0,1]
	s_delay_alu instid0(VALU_DEP_1) | instskip(SKIP_1) | instid1(VALU_DEP_1)
	v_pk_fma_f32 v[144:145], v[138:139], v[140:141], v[136:137] op_sel:[0,0,1] op_sel_hi:[1,1,0] neg_lo:[0,0,1] neg_hi:[0,0,1]
	v_pk_fma_f32 v[136:137], v[138:139], v[140:141], v[136:137] op_sel:[0,0,1] op_sel_hi:[1,0,0]
	v_mov_b32_e32 v145, v137
	ds_load_2addr_b64 v[136:139], v148 offset0:21 offset1:22
	v_pk_add_f32 v[82:83], v[82:83], v[150:151] neg_lo:[0,1] neg_hi:[0,1]
	v_pk_add_f32 v[94:95], v[94:95], v[144:145] neg_lo:[0,1] neg_hi:[0,1]
	s_wait_dscnt 0x0
	v_pk_mul_f32 v[144:145], v[136:137], v[142:143] op_sel:[0,1]
	s_delay_alu instid0(VALU_DEP_1) | instskip(SKIP_2) | instid1(VALU_DEP_2)
	v_pk_fma_f32 v[150:151], v[136:137], v[140:141], v[144:145] op_sel:[0,0,1] op_sel_hi:[1,1,0] neg_lo:[0,0,1] neg_hi:[0,0,1]
	v_pk_fma_f32 v[136:137], v[136:137], v[140:141], v[144:145] op_sel:[0,0,1] op_sel_hi:[1,0,0]
	v_dual_mul_f32 v144, v139, v143 :: v_dual_mov_b32 v136, v139
	v_dual_mov_b32 v151, v137 :: v_dual_mov_b32 v137, v138
	s_delay_alu instid0(VALU_DEP_2) | instskip(SKIP_1) | instid1(VALU_DEP_3)
	v_pk_fma_f32 v[144:145], v[138:139], v[86:87], v[144:145] op_sel_hi:[1,1,0] neg_lo:[0,0,1] neg_hi:[0,0,1]
	v_mul_f32_e32 v138, v139, v140
	v_pk_add_f32 v[92:93], v[92:93], v[150:151] neg_lo:[0,1] neg_hi:[0,1]
	s_delay_alu instid0(VALU_DEP_2) | instskip(NEXT) | instid1(VALU_DEP_1)
	v_pk_fma_f32 v[136:137], v[136:137], v[86:87], v[138:139] op_sel_hi:[1,1,0]
	v_mov_b32_e32 v145, v137
	ds_load_b64 v[136:137], v148 offset:184
	v_pk_add_f32 v[90:91], v[90:91], v[144:145] neg_lo:[0,1] neg_hi:[0,1]
	s_wait_dscnt 0x0
	v_pk_mul_f32 v[138:139], v[136:137], v[142:143] op_sel:[0,1]
	s_delay_alu instid0(VALU_DEP_1) | instskip(SKIP_1) | instid1(VALU_DEP_1)
	v_pk_fma_f32 v[142:143], v[136:137], v[140:141], v[138:139] op_sel:[0,0,1] op_sel_hi:[1,1,0] neg_lo:[0,0,1] neg_hi:[0,0,1]
	v_pk_fma_f32 v[136:137], v[136:137], v[140:141], v[138:139] op_sel:[0,0,1] op_sel_hi:[1,0,0]
	v_mov_b32_e32 v143, v137
	s_delay_alu instid0(VALU_DEP_1)
	v_pk_add_f32 v[96:97], v[96:97], v[142:143] neg_lo:[0,1] neg_hi:[0,1]
.LBB47_172:
	s_or_b32 exec_lo, exec_lo, s1
	s_delay_alu instid0(SALU_CYCLE_1)
	s_mov_b32 s2, exec_lo
	s_wait_dscnt 0x0
	s_barrier_signal -1
	s_barrier_wait -1
	v_cmpx_eq_u32_e32 19, v146
	s_cbranch_execz .LBB47_179
; %bb.173:
	v_dual_mov_b32 v136, v94 :: v_dual_mov_b32 v137, v95
	v_dual_mov_b32 v138, v92 :: v_dual_mov_b32 v139, v93
	;; [unrolled: 1-line block ×3, first 2 shown]
	ds_store_b64 v147, v[82:83]
	ds_store_2addr_b64 v148, v[136:137], v[138:139] offset0:20 offset1:21
	ds_store_2addr_b64 v148, v[140:141], v[96:97] offset0:22 offset1:23
	ds_load_b64 v[136:137], v147
	s_wait_dscnt 0x0
	v_cmp_neq_f32_e32 vcc_lo, 0, v136
	v_cmp_neq_f32_e64 s1, 0, v137
	s_or_b32 s1, vcc_lo, s1
	s_delay_alu instid0(SALU_CYCLE_1)
	s_and_b32 exec_lo, exec_lo, s1
	s_cbranch_execz .LBB47_179
; %bb.174:
	v_cmp_ngt_f32_e64 s1, |v136|, |v137|
                                        ; implicit-def: $vgpr138_vgpr139
	s_and_saveexec_b32 s4, s1
	s_delay_alu instid0(SALU_CYCLE_1)
	s_xor_b32 s1, exec_lo, s4
	s_cbranch_execz .LBB47_176
; %bb.175:
	v_div_scale_f32 v138, null, v137, v137, v136
	v_div_scale_f32 v141, vcc_lo, v136, v137, v136
	s_delay_alu instid0(VALU_DEP_2) | instskip(SKIP_1) | instid1(TRANS32_DEP_1)
	v_rcp_f32_e32 v139, v138
	v_nop
	v_fma_f32 v140, -v138, v139, 1.0
	s_delay_alu instid0(VALU_DEP_1) | instskip(NEXT) | instid1(VALU_DEP_1)
	v_fmac_f32_e32 v139, v140, v139
	v_mul_f32_e32 v140, v141, v139
	s_delay_alu instid0(VALU_DEP_1) | instskip(NEXT) | instid1(VALU_DEP_1)
	v_fma_f32 v142, -v138, v140, v141
	v_fmac_f32_e32 v140, v142, v139
	s_delay_alu instid0(VALU_DEP_1) | instskip(NEXT) | instid1(VALU_DEP_1)
	v_fma_f32 v138, -v138, v140, v141
	v_div_fmas_f32 v138, v138, v139, v140
	s_delay_alu instid0(VALU_DEP_1) | instskip(NEXT) | instid1(VALU_DEP_1)
	v_div_fixup_f32 v138, v138, v137, v136
	v_fmac_f32_e32 v137, v136, v138
	s_delay_alu instid0(VALU_DEP_1) | instskip(SKIP_1) | instid1(VALU_DEP_2)
	v_div_scale_f32 v136, null, v137, v137, 1.0
	v_div_scale_f32 v141, vcc_lo, 1.0, v137, 1.0
	v_rcp_f32_e32 v139, v136
	v_nop
	s_delay_alu instid0(TRANS32_DEP_1) | instskip(NEXT) | instid1(VALU_DEP_1)
	v_fma_f32 v140, -v136, v139, 1.0
	v_fmac_f32_e32 v139, v140, v139
	s_delay_alu instid0(VALU_DEP_1) | instskip(NEXT) | instid1(VALU_DEP_1)
	v_mul_f32_e32 v140, v141, v139
	v_fma_f32 v142, -v136, v140, v141
	s_delay_alu instid0(VALU_DEP_1) | instskip(NEXT) | instid1(VALU_DEP_1)
	v_fmac_f32_e32 v140, v142, v139
	v_fma_f32 v136, -v136, v140, v141
	s_delay_alu instid0(VALU_DEP_1) | instskip(NEXT) | instid1(VALU_DEP_1)
	v_div_fmas_f32 v136, v136, v139, v140
	v_div_fixup_f32 v136, v136, v137, 1.0
	s_delay_alu instid0(VALU_DEP_1)
	v_mul_f32_e32 v138, v138, v136
	v_xor_b32_e32 v139, 0x80000000, v136
                                        ; implicit-def: $vgpr136_vgpr137
.LBB47_176:
	s_and_not1_saveexec_b32 s1, s1
	s_cbranch_execz .LBB47_178
; %bb.177:
	v_div_scale_f32 v138, null, v136, v136, v137
	v_div_scale_f32 v141, vcc_lo, v137, v136, v137
	s_delay_alu instid0(VALU_DEP_2) | instskip(SKIP_1) | instid1(TRANS32_DEP_1)
	v_rcp_f32_e32 v139, v138
	v_nop
	v_fma_f32 v140, -v138, v139, 1.0
	s_delay_alu instid0(VALU_DEP_1) | instskip(NEXT) | instid1(VALU_DEP_1)
	v_fmac_f32_e32 v139, v140, v139
	v_mul_f32_e32 v140, v141, v139
	s_delay_alu instid0(VALU_DEP_1) | instskip(NEXT) | instid1(VALU_DEP_1)
	v_fma_f32 v142, -v138, v140, v141
	v_fmac_f32_e32 v140, v142, v139
	s_delay_alu instid0(VALU_DEP_1) | instskip(NEXT) | instid1(VALU_DEP_1)
	v_fma_f32 v138, -v138, v140, v141
	v_div_fmas_f32 v138, v138, v139, v140
	s_delay_alu instid0(VALU_DEP_1) | instskip(NEXT) | instid1(VALU_DEP_1)
	v_div_fixup_f32 v139, v138, v136, v137
	v_fmac_f32_e32 v136, v137, v139
	s_delay_alu instid0(VALU_DEP_1) | instskip(NEXT) | instid1(VALU_DEP_1)
	v_div_scale_f32 v137, null, v136, v136, 1.0
	v_rcp_f32_e32 v138, v137
	v_nop
	s_delay_alu instid0(TRANS32_DEP_1) | instskip(NEXT) | instid1(VALU_DEP_1)
	v_fma_f32 v140, -v137, v138, 1.0
	v_fmac_f32_e32 v138, v140, v138
	v_div_scale_f32 v140, vcc_lo, 1.0, v136, 1.0
	s_delay_alu instid0(VALU_DEP_1) | instskip(NEXT) | instid1(VALU_DEP_1)
	v_mul_f32_e32 v141, v140, v138
	v_fma_f32 v142, -v137, v141, v140
	s_delay_alu instid0(VALU_DEP_1) | instskip(NEXT) | instid1(VALU_DEP_1)
	v_fmac_f32_e32 v141, v142, v138
	v_fma_f32 v137, -v137, v141, v140
	s_delay_alu instid0(VALU_DEP_1) | instskip(NEXT) | instid1(VALU_DEP_1)
	v_div_fmas_f32 v137, v137, v138, v141
	v_div_fixup_f32 v138, v137, v136, 1.0
	s_delay_alu instid0(VALU_DEP_1)
	v_mul_f32_e64 v139, v139, -v138
.LBB47_178:
	s_or_b32 exec_lo, exec_lo, s1
	ds_store_b64 v147, v[138:139]
.LBB47_179:
	s_or_b32 exec_lo, exec_lo, s2
	s_wait_dscnt 0x0
	s_barrier_signal -1
	s_barrier_wait -1
	ds_load_b64 v[136:137], v147
	s_mov_b32 s1, exec_lo
	v_cmpx_lt_u32_e32 19, v146
	s_cbranch_execz .LBB47_181
; %bb.180:
	s_wait_dscnt 0x0
	v_pk_mul_f32 v[138:139], v[136:137], v[82:83] op_sel:[1,1] op_sel_hi:[0,1]
	s_delay_alu instid0(VALU_DEP_1)
	v_pk_fma_f32 v[142:143], v[136:137], v[82:83], v[138:139] op_sel_hi:[1,0,1] neg_lo:[0,0,1] neg_hi:[0,0,1]
	v_pk_fma_f32 v[144:145], v[136:137], v[82:83], v[138:139] op_sel_hi:[1,0,1]
	ds_load_2addr_b64 v[138:141], v148 offset0:20 offset1:21
	v_dual_mov_b32 v82, v142 :: v_dual_mov_b32 v83, v145
	s_wait_dscnt 0x0
	v_pk_mul_f32 v[150:151], v[138:139], v[144:145] op_sel:[0,1]
	s_delay_alu instid0(VALU_DEP_1) | instskip(SKIP_1) | instid1(VALU_DEP_1)
	v_pk_fma_f32 v[152:153], v[138:139], v[142:143], v[150:151] op_sel:[0,0,1] op_sel_hi:[1,1,0] neg_lo:[0,0,1] neg_hi:[0,0,1]
	v_pk_fma_f32 v[138:139], v[138:139], v[142:143], v[150:151] op_sel:[0,0,1] op_sel_hi:[1,0,0]
	v_mov_b32_e32 v153, v139
	v_pk_mul_f32 v[138:139], v[140:141], v[144:145] op_sel:[0,1]
	s_delay_alu instid0(VALU_DEP_1) | instskip(SKIP_1) | instid1(VALU_DEP_1)
	v_pk_fma_f32 v[150:151], v[140:141], v[142:143], v[138:139] op_sel:[0,0,1] op_sel_hi:[1,1,0] neg_lo:[0,0,1] neg_hi:[0,0,1]
	v_pk_fma_f32 v[138:139], v[140:141], v[142:143], v[138:139] op_sel:[0,0,1] op_sel_hi:[1,0,0]
	v_mov_b32_e32 v151, v139
	ds_load_2addr_b64 v[138:141], v148 offset0:22 offset1:23
	v_pk_add_f32 v[94:95], v[94:95], v[152:153] neg_lo:[0,1] neg_hi:[0,1]
	v_pk_add_f32 v[92:93], v[92:93], v[150:151] neg_lo:[0,1] neg_hi:[0,1]
	s_wait_dscnt 0x0
	v_pk_mul_f32 v[150:151], v[138:139], v[144:145] op_sel:[0,1]
	s_delay_alu instid0(VALU_DEP_1) | instskip(SKIP_1) | instid1(VALU_DEP_1)
	v_pk_fma_f32 v[152:153], v[138:139], v[142:143], v[150:151] op_sel:[0,0,1] op_sel_hi:[1,1,0] neg_lo:[0,0,1] neg_hi:[0,0,1]
	v_pk_fma_f32 v[138:139], v[138:139], v[142:143], v[150:151] op_sel:[0,0,1] op_sel_hi:[1,0,0]
	v_dual_mov_b32 v138, v141 :: v_dual_mov_b32 v153, v139
	v_mov_b32_e32 v139, v140
	s_delay_alu instid0(VALU_DEP_2) | instskip(NEXT) | instid1(VALU_DEP_2)
	v_pk_add_f32 v[90:91], v[90:91], v[152:153] neg_lo:[0,1] neg_hi:[0,1]
	v_pk_mul_f32 v[138:139], v[138:139], v[144:145] op_sel:[0,1]
	s_delay_alu instid0(VALU_DEP_1) | instskip(SKIP_1) | instid1(VALU_DEP_1)
	v_pk_fma_f32 v[144:145], v[140:141], v[142:143], v[138:139] neg_lo:[0,0,1] neg_hi:[0,0,1]
	v_pk_fma_f32 v[138:139], v[140:141], v[142:143], v[138:139] op_sel_hi:[1,0,1]
	v_mov_b32_e32 v145, v139
	s_delay_alu instid0(VALU_DEP_1)
	v_pk_add_f32 v[96:97], v[96:97], v[144:145] neg_lo:[0,1] neg_hi:[0,1]
.LBB47_181:
	s_or_b32 exec_lo, exec_lo, s1
	s_delay_alu instid0(SALU_CYCLE_1)
	s_mov_b32 s2, exec_lo
	s_wait_dscnt 0x0
	s_barrier_signal -1
	s_barrier_wait -1
	v_cmpx_eq_u32_e32 20, v146
	s_cbranch_execz .LBB47_188
; %bb.182:
	ds_store_b64 v147, v[94:95]
	ds_store_2addr_b64 v148, v[92:93], v[90:91] offset0:21 offset1:22
	ds_store_b64 v148, v[96:97] offset:184
	ds_load_b64 v[138:139], v147
	s_wait_dscnt 0x0
	v_cmp_neq_f32_e32 vcc_lo, 0, v138
	v_cmp_neq_f32_e64 s1, 0, v139
	s_or_b32 s1, vcc_lo, s1
	s_delay_alu instid0(SALU_CYCLE_1)
	s_and_b32 exec_lo, exec_lo, s1
	s_cbranch_execz .LBB47_188
; %bb.183:
	v_cmp_ngt_f32_e64 s1, |v138|, |v139|
                                        ; implicit-def: $vgpr140_vgpr141
	s_and_saveexec_b32 s4, s1
	s_delay_alu instid0(SALU_CYCLE_1)
	s_xor_b32 s1, exec_lo, s4
	s_cbranch_execz .LBB47_185
; %bb.184:
	v_div_scale_f32 v140, null, v139, v139, v138
	v_div_scale_f32 v143, vcc_lo, v138, v139, v138
	s_delay_alu instid0(VALU_DEP_2) | instskip(SKIP_1) | instid1(TRANS32_DEP_1)
	v_rcp_f32_e32 v141, v140
	v_nop
	v_fma_f32 v142, -v140, v141, 1.0
	s_delay_alu instid0(VALU_DEP_1) | instskip(NEXT) | instid1(VALU_DEP_1)
	v_fmac_f32_e32 v141, v142, v141
	v_mul_f32_e32 v142, v143, v141
	s_delay_alu instid0(VALU_DEP_1) | instskip(NEXT) | instid1(VALU_DEP_1)
	v_fma_f32 v144, -v140, v142, v143
	v_fmac_f32_e32 v142, v144, v141
	s_delay_alu instid0(VALU_DEP_1) | instskip(NEXT) | instid1(VALU_DEP_1)
	v_fma_f32 v140, -v140, v142, v143
	v_div_fmas_f32 v140, v140, v141, v142
	s_delay_alu instid0(VALU_DEP_1) | instskip(NEXT) | instid1(VALU_DEP_1)
	v_div_fixup_f32 v140, v140, v139, v138
	v_fmac_f32_e32 v139, v138, v140
	s_delay_alu instid0(VALU_DEP_1) | instskip(SKIP_1) | instid1(VALU_DEP_2)
	v_div_scale_f32 v138, null, v139, v139, 1.0
	v_div_scale_f32 v143, vcc_lo, 1.0, v139, 1.0
	v_rcp_f32_e32 v141, v138
	v_nop
	s_delay_alu instid0(TRANS32_DEP_1) | instskip(NEXT) | instid1(VALU_DEP_1)
	v_fma_f32 v142, -v138, v141, 1.0
	v_fmac_f32_e32 v141, v142, v141
	s_delay_alu instid0(VALU_DEP_1) | instskip(NEXT) | instid1(VALU_DEP_1)
	v_mul_f32_e32 v142, v143, v141
	v_fma_f32 v144, -v138, v142, v143
	s_delay_alu instid0(VALU_DEP_1) | instskip(NEXT) | instid1(VALU_DEP_1)
	v_fmac_f32_e32 v142, v144, v141
	v_fma_f32 v138, -v138, v142, v143
	s_delay_alu instid0(VALU_DEP_1) | instskip(NEXT) | instid1(VALU_DEP_1)
	v_div_fmas_f32 v138, v138, v141, v142
	v_div_fixup_f32 v138, v138, v139, 1.0
	s_delay_alu instid0(VALU_DEP_1)
	v_mul_f32_e32 v140, v140, v138
	v_xor_b32_e32 v141, 0x80000000, v138
                                        ; implicit-def: $vgpr138_vgpr139
.LBB47_185:
	s_and_not1_saveexec_b32 s1, s1
	s_cbranch_execz .LBB47_187
; %bb.186:
	v_div_scale_f32 v140, null, v138, v138, v139
	v_div_scale_f32 v143, vcc_lo, v139, v138, v139
	s_delay_alu instid0(VALU_DEP_2) | instskip(SKIP_1) | instid1(TRANS32_DEP_1)
	v_rcp_f32_e32 v141, v140
	v_nop
	v_fma_f32 v142, -v140, v141, 1.0
	s_delay_alu instid0(VALU_DEP_1) | instskip(NEXT) | instid1(VALU_DEP_1)
	v_fmac_f32_e32 v141, v142, v141
	v_mul_f32_e32 v142, v143, v141
	s_delay_alu instid0(VALU_DEP_1) | instskip(NEXT) | instid1(VALU_DEP_1)
	v_fma_f32 v144, -v140, v142, v143
	v_fmac_f32_e32 v142, v144, v141
	s_delay_alu instid0(VALU_DEP_1) | instskip(NEXT) | instid1(VALU_DEP_1)
	v_fma_f32 v140, -v140, v142, v143
	v_div_fmas_f32 v140, v140, v141, v142
	s_delay_alu instid0(VALU_DEP_1) | instskip(NEXT) | instid1(VALU_DEP_1)
	v_div_fixup_f32 v141, v140, v138, v139
	v_fmac_f32_e32 v138, v139, v141
	s_delay_alu instid0(VALU_DEP_1) | instskip(NEXT) | instid1(VALU_DEP_1)
	v_div_scale_f32 v139, null, v138, v138, 1.0
	v_rcp_f32_e32 v140, v139
	v_nop
	s_delay_alu instid0(TRANS32_DEP_1) | instskip(NEXT) | instid1(VALU_DEP_1)
	v_fma_f32 v142, -v139, v140, 1.0
	v_fmac_f32_e32 v140, v142, v140
	v_div_scale_f32 v142, vcc_lo, 1.0, v138, 1.0
	s_delay_alu instid0(VALU_DEP_1) | instskip(NEXT) | instid1(VALU_DEP_1)
	v_mul_f32_e32 v143, v142, v140
	v_fma_f32 v144, -v139, v143, v142
	s_delay_alu instid0(VALU_DEP_1) | instskip(NEXT) | instid1(VALU_DEP_1)
	v_fmac_f32_e32 v143, v144, v140
	v_fma_f32 v139, -v139, v143, v142
	s_delay_alu instid0(VALU_DEP_1) | instskip(NEXT) | instid1(VALU_DEP_1)
	v_div_fmas_f32 v139, v139, v140, v143
	v_div_fixup_f32 v140, v139, v138, 1.0
	s_delay_alu instid0(VALU_DEP_1)
	v_mul_f32_e64 v141, v141, -v140
.LBB47_187:
	s_or_b32 exec_lo, exec_lo, s1
	ds_store_b64 v147, v[140:141]
.LBB47_188:
	s_or_b32 exec_lo, exec_lo, s2
	s_wait_dscnt 0x0
	s_barrier_signal -1
	s_barrier_wait -1
	ds_load_b64 v[138:139], v147
	s_mov_b32 s1, exec_lo
	v_cmpx_lt_u32_e32 20, v146
	s_cbranch_execz .LBB47_190
; %bb.189:
	ds_load_2addr_b64 v[140:143], v148 offset0:21 offset1:22
	ds_load_b64 v[144:145], v148 offset:184
	s_wait_dscnt 0x2
	v_pk_mul_f32 v[150:151], v[138:139], v[94:95] op_sel:[1,1] op_sel_hi:[0,1]
	s_delay_alu instid0(VALU_DEP_1) | instskip(SKIP_2) | instid1(VALU_DEP_2)
	v_pk_fma_f32 v[152:153], v[138:139], v[94:95], v[150:151] op_sel_hi:[1,0,1]
	v_pk_fma_f32 v[94:95], v[138:139], v[94:95], v[150:151] op_sel_hi:[1,0,1] neg_lo:[0,0,1] neg_hi:[0,0,1]
	s_wait_dscnt 0x1
	v_pk_mul_f32 v[150:151], v[140:141], v[152:153] op_sel:[0,1]
	v_pk_mul_f32 v[154:155], v[142:143], v[152:153] op_sel:[0,1]
	s_wait_dscnt 0x0
	v_pk_mul_f32 v[156:157], v[144:145], v[152:153] op_sel:[1,1] op_sel_hi:[0,1]
	s_delay_alu instid0(VALU_DEP_3) | instskip(SKIP_2) | instid1(VALU_DEP_4)
	v_pk_fma_f32 v[158:159], v[140:141], v[94:95], v[150:151] op_sel:[0,0,1] op_sel_hi:[1,1,0] neg_lo:[0,0,1] neg_hi:[0,0,1]
	v_pk_fma_f32 v[140:141], v[140:141], v[94:95], v[150:151] op_sel:[0,0,1] op_sel_hi:[1,0,0]
	v_pk_fma_f32 v[150:151], v[142:143], v[94:95], v[154:155] op_sel:[0,0,1] op_sel_hi:[1,0,0]
	v_pk_fma_f32 v[160:161], v[144:145], v[94:95], v[156:157] op_sel_hi:[1,0,1]
	v_pk_fma_f32 v[142:143], v[142:143], v[94:95], v[154:155] op_sel:[0,0,1] op_sel_hi:[1,1,0] neg_lo:[0,0,1] neg_hi:[0,0,1]
	v_pk_fma_f32 v[144:145], v[144:145], v[94:95], v[156:157] neg_lo:[0,0,1] neg_hi:[0,0,1]
	s_delay_alu instid0(VALU_DEP_4) | instskip(NEXT) | instid1(VALU_DEP_4)
	v_dual_mov_b32 v159, v141 :: v_dual_mov_b32 v143, v151
	v_dual_mov_b32 v145, v161 :: v_dual_mov_b32 v95, v153
	s_delay_alu instid0(VALU_DEP_2) | instskip(NEXT) | instid1(VALU_DEP_3)
	v_pk_add_f32 v[92:93], v[92:93], v[158:159] neg_lo:[0,1] neg_hi:[0,1]
	v_pk_add_f32 v[90:91], v[90:91], v[142:143] neg_lo:[0,1] neg_hi:[0,1]
	s_delay_alu instid0(VALU_DEP_3)
	v_pk_add_f32 v[96:97], v[96:97], v[144:145] neg_lo:[0,1] neg_hi:[0,1]
.LBB47_190:
	s_or_b32 exec_lo, exec_lo, s1
	s_delay_alu instid0(SALU_CYCLE_1)
	s_mov_b32 s2, exec_lo
	s_wait_dscnt 0x0
	s_barrier_signal -1
	s_barrier_wait -1
	v_cmpx_eq_u32_e32 21, v146
	s_cbranch_execz .LBB47_197
; %bb.191:
	v_dual_mov_b32 v140, v90 :: v_dual_mov_b32 v141, v91
	ds_store_b64 v147, v[92:93]
	ds_store_2addr_b64 v148, v[140:141], v[96:97] offset0:22 offset1:23
	ds_load_b64 v[140:141], v147
	s_wait_dscnt 0x0
	v_cmp_neq_f32_e32 vcc_lo, 0, v140
	v_cmp_neq_f32_e64 s1, 0, v141
	s_or_b32 s1, vcc_lo, s1
	s_delay_alu instid0(SALU_CYCLE_1)
	s_and_b32 exec_lo, exec_lo, s1
	s_cbranch_execz .LBB47_197
; %bb.192:
	v_cmp_ngt_f32_e64 s1, |v140|, |v141|
                                        ; implicit-def: $vgpr142_vgpr143
	s_and_saveexec_b32 s4, s1
	s_delay_alu instid0(SALU_CYCLE_1)
	s_xor_b32 s1, exec_lo, s4
	s_cbranch_execz .LBB47_194
; %bb.193:
	v_div_scale_f32 v142, null, v141, v141, v140
	v_div_scale_f32 v145, vcc_lo, v140, v141, v140
	s_delay_alu instid0(VALU_DEP_2) | instskip(SKIP_1) | instid1(TRANS32_DEP_1)
	v_rcp_f32_e32 v143, v142
	v_nop
	v_fma_f32 v144, -v142, v143, 1.0
	s_delay_alu instid0(VALU_DEP_1) | instskip(NEXT) | instid1(VALU_DEP_1)
	v_fmac_f32_e32 v143, v144, v143
	v_mul_f32_e32 v144, v145, v143
	s_delay_alu instid0(VALU_DEP_1) | instskip(NEXT) | instid1(VALU_DEP_1)
	v_fma_f32 v149, -v142, v144, v145
	v_fmac_f32_e32 v144, v149, v143
	s_delay_alu instid0(VALU_DEP_1) | instskip(NEXT) | instid1(VALU_DEP_1)
	v_fma_f32 v142, -v142, v144, v145
	v_div_fmas_f32 v142, v142, v143, v144
	s_delay_alu instid0(VALU_DEP_1) | instskip(NEXT) | instid1(VALU_DEP_1)
	v_div_fixup_f32 v142, v142, v141, v140
	v_fmac_f32_e32 v141, v140, v142
	s_delay_alu instid0(VALU_DEP_1) | instskip(SKIP_1) | instid1(VALU_DEP_2)
	v_div_scale_f32 v140, null, v141, v141, 1.0
	v_div_scale_f32 v145, vcc_lo, 1.0, v141, 1.0
	v_rcp_f32_e32 v143, v140
	v_nop
	s_delay_alu instid0(TRANS32_DEP_1) | instskip(NEXT) | instid1(VALU_DEP_1)
	v_fma_f32 v144, -v140, v143, 1.0
	v_fmac_f32_e32 v143, v144, v143
	s_delay_alu instid0(VALU_DEP_1) | instskip(NEXT) | instid1(VALU_DEP_1)
	v_mul_f32_e32 v144, v145, v143
	v_fma_f32 v149, -v140, v144, v145
	s_delay_alu instid0(VALU_DEP_1) | instskip(NEXT) | instid1(VALU_DEP_1)
	v_fmac_f32_e32 v144, v149, v143
	v_fma_f32 v140, -v140, v144, v145
	s_delay_alu instid0(VALU_DEP_1) | instskip(NEXT) | instid1(VALU_DEP_1)
	v_div_fmas_f32 v140, v140, v143, v144
	v_div_fixup_f32 v140, v140, v141, 1.0
	s_delay_alu instid0(VALU_DEP_1)
	v_mul_f32_e32 v142, v142, v140
	v_xor_b32_e32 v143, 0x80000000, v140
                                        ; implicit-def: $vgpr140_vgpr141
.LBB47_194:
	s_and_not1_saveexec_b32 s1, s1
	s_cbranch_execz .LBB47_196
; %bb.195:
	v_div_scale_f32 v142, null, v140, v140, v141
	v_div_scale_f32 v145, vcc_lo, v141, v140, v141
	s_delay_alu instid0(VALU_DEP_2) | instskip(SKIP_1) | instid1(TRANS32_DEP_1)
	v_rcp_f32_e32 v143, v142
	v_nop
	v_fma_f32 v144, -v142, v143, 1.0
	s_delay_alu instid0(VALU_DEP_1) | instskip(NEXT) | instid1(VALU_DEP_1)
	v_fmac_f32_e32 v143, v144, v143
	v_mul_f32_e32 v144, v145, v143
	s_delay_alu instid0(VALU_DEP_1) | instskip(NEXT) | instid1(VALU_DEP_1)
	v_fma_f32 v149, -v142, v144, v145
	v_fmac_f32_e32 v144, v149, v143
	s_delay_alu instid0(VALU_DEP_1) | instskip(NEXT) | instid1(VALU_DEP_1)
	v_fma_f32 v142, -v142, v144, v145
	v_div_fmas_f32 v142, v142, v143, v144
	s_delay_alu instid0(VALU_DEP_1) | instskip(NEXT) | instid1(VALU_DEP_1)
	v_div_fixup_f32 v143, v142, v140, v141
	v_fmac_f32_e32 v140, v141, v143
	s_delay_alu instid0(VALU_DEP_1) | instskip(NEXT) | instid1(VALU_DEP_1)
	v_div_scale_f32 v141, null, v140, v140, 1.0
	v_rcp_f32_e32 v142, v141
	v_nop
	s_delay_alu instid0(TRANS32_DEP_1) | instskip(NEXT) | instid1(VALU_DEP_1)
	v_fma_f32 v144, -v141, v142, 1.0
	v_fmac_f32_e32 v142, v144, v142
	v_div_scale_f32 v144, vcc_lo, 1.0, v140, 1.0
	s_delay_alu instid0(VALU_DEP_1) | instskip(NEXT) | instid1(VALU_DEP_1)
	v_mul_f32_e32 v145, v144, v142
	v_fma_f32 v149, -v141, v145, v144
	s_delay_alu instid0(VALU_DEP_1) | instskip(NEXT) | instid1(VALU_DEP_1)
	v_fmac_f32_e32 v145, v149, v142
	v_fma_f32 v141, -v141, v145, v144
	s_delay_alu instid0(VALU_DEP_1) | instskip(NEXT) | instid1(VALU_DEP_1)
	v_div_fmas_f32 v141, v141, v142, v145
	v_div_fixup_f32 v142, v141, v140, 1.0
	s_delay_alu instid0(VALU_DEP_1)
	v_mul_f32_e64 v143, v143, -v142
.LBB47_196:
	s_or_b32 exec_lo, exec_lo, s1
	ds_store_b64 v147, v[142:143]
.LBB47_197:
	s_or_b32 exec_lo, exec_lo, s2
	s_wait_dscnt 0x0
	s_barrier_signal -1
	s_barrier_wait -1
	ds_load_b64 v[140:141], v147
	s_mov_b32 s1, exec_lo
	v_cmpx_lt_u32_e32 21, v146
	s_cbranch_execz .LBB47_199
; %bb.198:
	ds_load_2addr_b64 v[142:145], v148 offset0:22 offset1:23
	s_wait_dscnt 0x1
	v_pk_mul_f32 v[150:151], v[140:141], v[92:93] op_sel:[1,1] op_sel_hi:[0,1]
	s_delay_alu instid0(VALU_DEP_1) | instskip(SKIP_3) | instid1(VALU_DEP_3)
	v_pk_fma_f32 v[152:153], v[140:141], v[92:93], v[150:151] op_sel_hi:[1,0,1]
	v_pk_fma_f32 v[92:93], v[140:141], v[92:93], v[150:151] op_sel_hi:[1,0,1] neg_lo:[0,0,1] neg_hi:[0,0,1]
	s_wait_dscnt 0x0
	v_dual_mov_b32 v154, v145 :: v_dual_mov_b32 v155, v144
	v_pk_mul_f32 v[150:151], v[142:143], v[152:153] op_sel:[0,1]
	s_delay_alu instid0(VALU_DEP_2) | instskip(NEXT) | instid1(VALU_DEP_2)
	v_pk_mul_f32 v[154:155], v[154:155], v[152:153] op_sel:[0,1]
	v_pk_fma_f32 v[156:157], v[142:143], v[92:93], v[150:151] op_sel:[0,0,1] op_sel_hi:[1,0,0]
	v_pk_fma_f32 v[142:143], v[142:143], v[92:93], v[150:151] op_sel:[0,0,1] op_sel_hi:[1,1,0] neg_lo:[0,0,1] neg_hi:[0,0,1]
	s_delay_alu instid0(VALU_DEP_3) | instskip(SKIP_1) | instid1(VALU_DEP_4)
	v_pk_fma_f32 v[158:159], v[144:145], v[92:93], v[154:155] op_sel_hi:[1,0,1]
	v_pk_fma_f32 v[144:145], v[144:145], v[92:93], v[154:155] neg_lo:[0,0,1] neg_hi:[0,0,1]
	v_dual_mov_b32 v143, v157 :: v_dual_mov_b32 v93, v153
	s_delay_alu instid0(VALU_DEP_3) | instskip(NEXT) | instid1(VALU_DEP_2)
	v_mov_b32_e32 v145, v159
	v_pk_add_f32 v[90:91], v[90:91], v[142:143] neg_lo:[0,1] neg_hi:[0,1]
	s_delay_alu instid0(VALU_DEP_2)
	v_pk_add_f32 v[96:97], v[96:97], v[144:145] neg_lo:[0,1] neg_hi:[0,1]
.LBB47_199:
	s_or_b32 exec_lo, exec_lo, s1
	s_delay_alu instid0(SALU_CYCLE_1)
	s_mov_b32 s2, exec_lo
	s_wait_dscnt 0x0
	s_barrier_signal -1
	s_barrier_wait -1
	v_cmpx_eq_u32_e32 22, v146
	s_cbranch_execz .LBB47_206
; %bb.200:
	ds_store_b64 v147, v[90:91]
	ds_store_b64 v148, v[96:97] offset:184
	ds_load_b64 v[142:143], v147
	s_wait_dscnt 0x0
	v_cmp_neq_f32_e32 vcc_lo, 0, v142
	v_cmp_neq_f32_e64 s1, 0, v143
	s_or_b32 s1, vcc_lo, s1
	s_delay_alu instid0(SALU_CYCLE_1)
	s_and_b32 exec_lo, exec_lo, s1
	s_cbranch_execz .LBB47_206
; %bb.201:
	v_cmp_ngt_f32_e64 s1, |v142|, |v143|
                                        ; implicit-def: $vgpr144_vgpr145
	s_and_saveexec_b32 s4, s1
	s_delay_alu instid0(SALU_CYCLE_1)
	s_xor_b32 s1, exec_lo, s4
	s_cbranch_execz .LBB47_203
; %bb.202:
	v_div_scale_f32 v144, null, v143, v143, v142
	v_div_scale_f32 v150, vcc_lo, v142, v143, v142
	s_delay_alu instid0(VALU_DEP_2) | instskip(SKIP_1) | instid1(TRANS32_DEP_1)
	v_rcp_f32_e32 v145, v144
	v_nop
	v_fma_f32 v149, -v144, v145, 1.0
	s_delay_alu instid0(VALU_DEP_1) | instskip(NEXT) | instid1(VALU_DEP_1)
	v_fmac_f32_e32 v145, v149, v145
	v_mul_f32_e32 v149, v150, v145
	s_delay_alu instid0(VALU_DEP_1) | instskip(NEXT) | instid1(VALU_DEP_1)
	v_fma_f32 v151, -v144, v149, v150
	v_fmac_f32_e32 v149, v151, v145
	s_delay_alu instid0(VALU_DEP_1) | instskip(NEXT) | instid1(VALU_DEP_1)
	v_fma_f32 v144, -v144, v149, v150
	v_div_fmas_f32 v144, v144, v145, v149
	s_delay_alu instid0(VALU_DEP_1) | instskip(NEXT) | instid1(VALU_DEP_1)
	v_div_fixup_f32 v144, v144, v143, v142
	v_fmac_f32_e32 v143, v142, v144
	s_delay_alu instid0(VALU_DEP_1) | instskip(SKIP_1) | instid1(VALU_DEP_2)
	v_div_scale_f32 v142, null, v143, v143, 1.0
	v_div_scale_f32 v150, vcc_lo, 1.0, v143, 1.0
	v_rcp_f32_e32 v145, v142
	v_nop
	s_delay_alu instid0(TRANS32_DEP_1) | instskip(NEXT) | instid1(VALU_DEP_1)
	v_fma_f32 v149, -v142, v145, 1.0
	v_fmac_f32_e32 v145, v149, v145
	s_delay_alu instid0(VALU_DEP_1) | instskip(NEXT) | instid1(VALU_DEP_1)
	v_mul_f32_e32 v149, v150, v145
	v_fma_f32 v151, -v142, v149, v150
	s_delay_alu instid0(VALU_DEP_1) | instskip(NEXT) | instid1(VALU_DEP_1)
	v_fmac_f32_e32 v149, v151, v145
	v_fma_f32 v142, -v142, v149, v150
	s_delay_alu instid0(VALU_DEP_1) | instskip(NEXT) | instid1(VALU_DEP_1)
	v_div_fmas_f32 v142, v142, v145, v149
	v_div_fixup_f32 v142, v142, v143, 1.0
	s_delay_alu instid0(VALU_DEP_1)
	v_mul_f32_e32 v144, v144, v142
	v_xor_b32_e32 v145, 0x80000000, v142
                                        ; implicit-def: $vgpr142_vgpr143
.LBB47_203:
	s_and_not1_saveexec_b32 s1, s1
	s_cbranch_execz .LBB47_205
; %bb.204:
	v_div_scale_f32 v144, null, v142, v142, v143
	v_div_scale_f32 v150, vcc_lo, v143, v142, v143
	s_delay_alu instid0(VALU_DEP_2) | instskip(SKIP_1) | instid1(TRANS32_DEP_1)
	v_rcp_f32_e32 v145, v144
	v_nop
	v_fma_f32 v149, -v144, v145, 1.0
	s_delay_alu instid0(VALU_DEP_1) | instskip(NEXT) | instid1(VALU_DEP_1)
	v_fmac_f32_e32 v145, v149, v145
	v_mul_f32_e32 v149, v150, v145
	s_delay_alu instid0(VALU_DEP_1) | instskip(NEXT) | instid1(VALU_DEP_1)
	v_fma_f32 v151, -v144, v149, v150
	v_fmac_f32_e32 v149, v151, v145
	s_delay_alu instid0(VALU_DEP_1) | instskip(NEXT) | instid1(VALU_DEP_1)
	v_fma_f32 v144, -v144, v149, v150
	v_div_fmas_f32 v144, v144, v145, v149
	s_delay_alu instid0(VALU_DEP_1) | instskip(NEXT) | instid1(VALU_DEP_1)
	v_div_fixup_f32 v145, v144, v142, v143
	v_fmac_f32_e32 v142, v143, v145
	s_delay_alu instid0(VALU_DEP_1) | instskip(NEXT) | instid1(VALU_DEP_1)
	v_div_scale_f32 v143, null, v142, v142, 1.0
	v_rcp_f32_e32 v144, v143
	v_nop
	s_delay_alu instid0(TRANS32_DEP_1) | instskip(NEXT) | instid1(VALU_DEP_1)
	v_fma_f32 v149, -v143, v144, 1.0
	v_fmac_f32_e32 v144, v149, v144
	v_div_scale_f32 v149, vcc_lo, 1.0, v142, 1.0
	s_delay_alu instid0(VALU_DEP_1) | instskip(NEXT) | instid1(VALU_DEP_1)
	v_mul_f32_e32 v150, v149, v144
	v_fma_f32 v151, -v143, v150, v149
	s_delay_alu instid0(VALU_DEP_1) | instskip(NEXT) | instid1(VALU_DEP_1)
	v_fmac_f32_e32 v150, v151, v144
	v_fma_f32 v143, -v143, v150, v149
	s_delay_alu instid0(VALU_DEP_1) | instskip(NEXT) | instid1(VALU_DEP_1)
	v_div_fmas_f32 v143, v143, v144, v150
	v_div_fixup_f32 v144, v143, v142, 1.0
	s_delay_alu instid0(VALU_DEP_1)
	v_mul_f32_e64 v145, v145, -v144
.LBB47_205:
	s_or_b32 exec_lo, exec_lo, s1
	ds_store_b64 v147, v[144:145]
.LBB47_206:
	s_or_b32 exec_lo, exec_lo, s2
	s_wait_dscnt 0x0
	s_barrier_signal -1
	s_barrier_wait -1
	ds_load_b64 v[142:143], v147
	s_mov_b32 s1, exec_lo
	v_cmpx_lt_u32_e32 22, v146
	s_cbranch_execz .LBB47_208
; %bb.207:
	ds_load_b64 v[144:145], v148 offset:184
	s_wait_dscnt 0x1
	v_pk_mul_f32 v[148:149], v[142:143], v[90:91] op_sel:[1,1] op_sel_hi:[0,1]
	s_delay_alu instid0(VALU_DEP_1) | instskip(SKIP_2) | instid1(VALU_DEP_2)
	v_pk_fma_f32 v[150:151], v[142:143], v[90:91], v[148:149] op_sel_hi:[1,0,1]
	v_pk_fma_f32 v[90:91], v[142:143], v[90:91], v[148:149] op_sel_hi:[1,0,1] neg_lo:[0,0,1] neg_hi:[0,0,1]
	s_wait_dscnt 0x0
	v_pk_mul_f32 v[148:149], v[144:145], v[150:151] op_sel:[1,1] op_sel_hi:[0,1]
	s_delay_alu instid0(VALU_DEP_1) | instskip(SKIP_1) | instid1(VALU_DEP_2)
	v_pk_fma_f32 v[152:153], v[144:145], v[90:91], v[148:149] op_sel_hi:[1,0,1]
	v_pk_fma_f32 v[144:145], v[144:145], v[90:91], v[148:149] neg_lo:[0,0,1] neg_hi:[0,0,1]
	v_dual_mov_b32 v91, v151 :: v_dual_mov_b32 v145, v153
	s_delay_alu instid0(VALU_DEP_1)
	v_pk_add_f32 v[96:97], v[96:97], v[144:145] neg_lo:[0,1] neg_hi:[0,1]
.LBB47_208:
	s_or_b32 exec_lo, exec_lo, s1
	s_delay_alu instid0(SALU_CYCLE_1)
	s_mov_b32 s2, exec_lo
	s_wait_dscnt 0x0
	s_barrier_signal -1
	s_barrier_wait -1
	v_cmpx_eq_u32_e32 23, v146
	s_cbranch_execz .LBB47_215
; %bb.209:
	v_cmp_neq_f32_e32 vcc_lo, 0, v96
	v_cmp_neq_f32_e64 s1, 0, v97
	ds_store_b64 v147, v[96:97]
	s_or_b32 s1, vcc_lo, s1
	s_delay_alu instid0(SALU_CYCLE_1)
	s_and_b32 exec_lo, exec_lo, s1
	s_cbranch_execz .LBB47_215
; %bb.210:
	v_cmp_ngt_f32_e64 s1, |v96|, |v97|
                                        ; implicit-def: $vgpr144_vgpr145
	s_and_saveexec_b32 s4, s1
	s_delay_alu instid0(SALU_CYCLE_1)
	s_xor_b32 s1, exec_lo, s4
	s_cbranch_execz .LBB47_212
; %bb.211:
	v_div_scale_f32 v144, null, v97, v97, v96
	v_div_scale_f32 v149, vcc_lo, v96, v97, v96
	s_delay_alu instid0(VALU_DEP_2) | instskip(SKIP_1) | instid1(TRANS32_DEP_1)
	v_rcp_f32_e32 v145, v144
	v_nop
	v_fma_f32 v148, -v144, v145, 1.0
	s_delay_alu instid0(VALU_DEP_1) | instskip(NEXT) | instid1(VALU_DEP_1)
	v_fmac_f32_e32 v145, v148, v145
	v_mul_f32_e32 v148, v149, v145
	s_delay_alu instid0(VALU_DEP_1) | instskip(NEXT) | instid1(VALU_DEP_1)
	v_fma_f32 v150, -v144, v148, v149
	v_fmac_f32_e32 v148, v150, v145
	s_delay_alu instid0(VALU_DEP_1) | instskip(NEXT) | instid1(VALU_DEP_1)
	v_fma_f32 v144, -v144, v148, v149
	v_div_fmas_f32 v144, v144, v145, v148
	s_delay_alu instid0(VALU_DEP_1) | instskip(NEXT) | instid1(VALU_DEP_1)
	v_div_fixup_f32 v144, v144, v97, v96
	v_fma_f32 v145, v96, v144, v97
	s_delay_alu instid0(VALU_DEP_1) | instskip(SKIP_1) | instid1(VALU_DEP_2)
	v_div_scale_f32 v148, null, v145, v145, 1.0
	v_div_scale_f32 v151, vcc_lo, 1.0, v145, 1.0
	v_rcp_f32_e32 v149, v148
	v_nop
	s_delay_alu instid0(TRANS32_DEP_1) | instskip(NEXT) | instid1(VALU_DEP_1)
	v_fma_f32 v150, -v148, v149, 1.0
	v_fmac_f32_e32 v149, v150, v149
	s_delay_alu instid0(VALU_DEP_1) | instskip(NEXT) | instid1(VALU_DEP_1)
	v_mul_f32_e32 v150, v151, v149
	v_fma_f32 v152, -v148, v150, v151
	s_delay_alu instid0(VALU_DEP_1) | instskip(NEXT) | instid1(VALU_DEP_1)
	v_fmac_f32_e32 v150, v152, v149
	v_fma_f32 v148, -v148, v150, v151
	s_delay_alu instid0(VALU_DEP_1) | instskip(NEXT) | instid1(VALU_DEP_1)
	v_div_fmas_f32 v148, v148, v149, v150
	v_div_fixup_f32 v145, v148, v145, 1.0
	s_delay_alu instid0(VALU_DEP_1)
	v_mul_f32_e32 v144, v144, v145
	v_xor_b32_e32 v145, 0x80000000, v145
.LBB47_212:
	s_and_not1_saveexec_b32 s1, s1
	s_cbranch_execz .LBB47_214
; %bb.213:
	v_div_scale_f32 v144, null, v96, v96, v97
	v_div_scale_f32 v149, vcc_lo, v97, v96, v97
	s_delay_alu instid0(VALU_DEP_2) | instskip(SKIP_1) | instid1(TRANS32_DEP_1)
	v_rcp_f32_e32 v145, v144
	v_nop
	v_fma_f32 v148, -v144, v145, 1.0
	s_delay_alu instid0(VALU_DEP_1) | instskip(NEXT) | instid1(VALU_DEP_1)
	v_fmac_f32_e32 v145, v148, v145
	v_mul_f32_e32 v148, v149, v145
	s_delay_alu instid0(VALU_DEP_1) | instskip(NEXT) | instid1(VALU_DEP_1)
	v_fma_f32 v150, -v144, v148, v149
	v_fmac_f32_e32 v148, v150, v145
	s_delay_alu instid0(VALU_DEP_1) | instskip(NEXT) | instid1(VALU_DEP_1)
	v_fma_f32 v144, -v144, v148, v149
	v_div_fmas_f32 v144, v144, v145, v148
	s_delay_alu instid0(VALU_DEP_1) | instskip(NEXT) | instid1(VALU_DEP_1)
	v_div_fixup_f32 v145, v144, v96, v97
	v_fma_f32 v144, v97, v145, v96
	s_delay_alu instid0(VALU_DEP_1) | instskip(NEXT) | instid1(VALU_DEP_1)
	v_div_scale_f32 v148, null, v144, v144, 1.0
	v_rcp_f32_e32 v149, v148
	v_nop
	s_delay_alu instid0(TRANS32_DEP_1) | instskip(NEXT) | instid1(VALU_DEP_1)
	v_fma_f32 v150, -v148, v149, 1.0
	v_fmac_f32_e32 v149, v150, v149
	v_div_scale_f32 v150, vcc_lo, 1.0, v144, 1.0
	s_delay_alu instid0(VALU_DEP_1) | instskip(NEXT) | instid1(VALU_DEP_1)
	v_mul_f32_e32 v151, v150, v149
	v_fma_f32 v152, -v148, v151, v150
	s_delay_alu instid0(VALU_DEP_1) | instskip(NEXT) | instid1(VALU_DEP_1)
	v_fmac_f32_e32 v151, v152, v149
	v_fma_f32 v148, -v148, v151, v150
	s_delay_alu instid0(VALU_DEP_1) | instskip(NEXT) | instid1(VALU_DEP_1)
	v_div_fmas_f32 v148, v148, v149, v151
	v_div_fixup_f32 v144, v148, v144, 1.0
	s_delay_alu instid0(VALU_DEP_1)
	v_mul_f32_e64 v145, v145, -v144
.LBB47_214:
	s_or_b32 exec_lo, exec_lo, s1
	ds_store_b64 v147, v[144:145]
.LBB47_215:
	s_or_b32 exec_lo, exec_lo, s2
	s_wait_dscnt 0x0
	s_barrier_signal -1
	s_barrier_wait -1
	ds_load_b64 v[144:145], v147
	s_wait_dscnt 0x0
	s_barrier_signal -1
	s_barrier_wait -1
	s_and_saveexec_b32 s4, s0
	s_cbranch_execz .LBB47_218
; %bb.216:
	v_lshl_add_u64 v[2:3], v[2:3], 2, s[6:7]
	v_cmp_eq_f32_e32 vcc_lo, 0, v98
	v_cmp_eq_f32_e64 s0, 0, v99
	v_cmp_neq_f32_e64 s1, 0, v100
	v_cmp_neq_f32_e64 s2, 0, v101
	global_load_b32 v147, v[2:3], off
	s_and_b32 s0, vcc_lo, s0
	s_delay_alu instid0(SALU_CYCLE_1) | instskip(SKIP_1) | instid1(SALU_CYCLE_1)
	v_cndmask_b32_e64 v98, 0, 1, s0
	s_or_b32 s1, s1, s2
	s_or_b32 vcc_lo, s1, s0
	v_cmp_eq_f32_e64 s0, 0, v103
	s_delay_alu instid0(VALU_DEP_2) | instskip(SKIP_1) | instid1(VALU_DEP_2)
	v_cndmask_b32_e32 v98, 2, v98, vcc_lo
	v_cmp_eq_f32_e32 vcc_lo, 0, v102
	v_cmp_eq_u32_e64 s1, 0, v98
	s_and_b32 s0, vcc_lo, s0
	v_cmp_eq_f32_e32 vcc_lo, 0, v104
	s_and_b32 s0, s0, s1
	s_delay_alu instid0(SALU_CYCLE_1) | instskip(SKIP_1) | instid1(VALU_DEP_2)
	v_cndmask_b32_e64 v98, v98, 3, s0
	v_cmp_eq_f32_e64 s0, 0, v105
	v_cmp_eq_u32_e64 s1, 0, v98
	s_and_b32 s0, vcc_lo, s0
	v_cmp_eq_f32_e32 vcc_lo, 0, v106
	s_and_b32 s0, s0, s1
	s_delay_alu instid0(SALU_CYCLE_1) | instskip(SKIP_1) | instid1(VALU_DEP_2)
	v_cndmask_b32_e64 v98, v98, 4, s0
	v_cmp_eq_f32_e64 s0, 0, v107
	;; [unrolled: 7-line block ×21, first 2 shown]
	v_cmp_eq_u32_e64 s1, 0, v98
	s_and_b32 s0, vcc_lo, s0
	s_delay_alu instid0(SALU_CYCLE_1) | instskip(NEXT) | instid1(SALU_CYCLE_1)
	s_and_b32 s0, s0, s1
	v_cndmask_b32_e64 v98, v98, 24, s0
	s_delay_alu instid0(VALU_DEP_1) | instskip(SKIP_3) | instid1(SALU_CYCLE_1)
	v_cmp_ne_u32_e64 s0, 0, v98
	s_wait_loadcnt 0x0
	v_cmp_eq_u32_e32 vcc_lo, 0, v147
	s_and_b32 s0, vcc_lo, s0
	s_and_b32 exec_lo, exec_lo, s0
	s_cbranch_execz .LBB47_218
; %bb.217:
	v_add_nc_u32_e32 v98, s3, v98
	global_store_b32 v[2:3], v98, off
.LBB47_218:
	s_wait_xcnt 0x0
	s_or_b32 exec_lo, exec_lo, s4
	v_pk_mul_f32 v[2:3], v[144:145], v[96:97] op_sel:[1,1] op_sel_hi:[0,1]
	s_clause 0x1
	global_store_b64 v[16:17], v[56:57], off
	global_store_b64 v[34:35], v[58:59], off
	v_cmp_lt_u32_e32 vcc_lo, 23, v146
	s_clause 0x2
	global_store_b64 v[0:1], v[50:51], off
	global_store_b64 v[8:9], v[48:49], off
	;; [unrolled: 1-line block ×3, first 2 shown]
	s_wait_xcnt 0x4
	v_pk_fma_f32 v[16:17], v[144:145], v[96:97], v[2:3] op_sel_hi:[1,0,1]
	v_pk_fma_f32 v[2:3], v[144:145], v[96:97], v[2:3] neg_lo:[0,0,1] neg_hi:[0,0,1]
	s_wait_xcnt 0x2
	s_delay_alu instid0(VALU_DEP_1)
	v_dual_cndmask_b32 v1, v97, v17 :: v_dual_cndmask_b32 v0, v96, v2
	s_clause 0x12
	global_store_b64 v[4:5], v[24:25], off
	global_store_b64 v[6:7], v[26:27], off
	;; [unrolled: 1-line block ×19, first 2 shown]
.LBB47_219:
	s_sendmsg sendmsg(MSG_DEALLOC_VGPRS)
	s_endpgm
	.section	.rodata,"a",@progbits
	.p2align	6, 0x0
	.amdhsa_kernel _ZN9rocsolver6v33100L23getf2_npvt_small_kernelILi24E19rocblas_complex_numIfEiiPS3_EEvT1_T3_lS5_lPT2_S5_S5_
		.amdhsa_group_segment_fixed_size 0
		.amdhsa_private_segment_fixed_size 0
		.amdhsa_kernarg_size 312
		.amdhsa_user_sgpr_count 2
		.amdhsa_user_sgpr_dispatch_ptr 0
		.amdhsa_user_sgpr_queue_ptr 0
		.amdhsa_user_sgpr_kernarg_segment_ptr 1
		.amdhsa_user_sgpr_dispatch_id 0
		.amdhsa_user_sgpr_kernarg_preload_length 0
		.amdhsa_user_sgpr_kernarg_preload_offset 0
		.amdhsa_user_sgpr_private_segment_size 0
		.amdhsa_wavefront_size32 1
		.amdhsa_uses_dynamic_stack 0
		.amdhsa_enable_private_segment 0
		.amdhsa_system_sgpr_workgroup_id_x 1
		.amdhsa_system_sgpr_workgroup_id_y 1
		.amdhsa_system_sgpr_workgroup_id_z 0
		.amdhsa_system_sgpr_workgroup_info 0
		.amdhsa_system_vgpr_workitem_id 1
		.amdhsa_next_free_vgpr 162
		.amdhsa_next_free_sgpr 15
		.amdhsa_named_barrier_count 0
		.amdhsa_reserve_vcc 1
		.amdhsa_float_round_mode_32 0
		.amdhsa_float_round_mode_16_64 0
		.amdhsa_float_denorm_mode_32 3
		.amdhsa_float_denorm_mode_16_64 3
		.amdhsa_fp16_overflow 0
		.amdhsa_memory_ordered 1
		.amdhsa_forward_progress 1
		.amdhsa_inst_pref_size 255
		.amdhsa_round_robin_scheduling 0
		.amdhsa_exception_fp_ieee_invalid_op 0
		.amdhsa_exception_fp_denorm_src 0
		.amdhsa_exception_fp_ieee_div_zero 0
		.amdhsa_exception_fp_ieee_overflow 0
		.amdhsa_exception_fp_ieee_underflow 0
		.amdhsa_exception_fp_ieee_inexact 0
		.amdhsa_exception_int_div_zero 0
	.end_amdhsa_kernel
	.section	.text._ZN9rocsolver6v33100L23getf2_npvt_small_kernelILi24E19rocblas_complex_numIfEiiPS3_EEvT1_T3_lS5_lPT2_S5_S5_,"axG",@progbits,_ZN9rocsolver6v33100L23getf2_npvt_small_kernelILi24E19rocblas_complex_numIfEiiPS3_EEvT1_T3_lS5_lPT2_S5_S5_,comdat
.Lfunc_end47:
	.size	_ZN9rocsolver6v33100L23getf2_npvt_small_kernelILi24E19rocblas_complex_numIfEiiPS3_EEvT1_T3_lS5_lPT2_S5_S5_, .Lfunc_end47-_ZN9rocsolver6v33100L23getf2_npvt_small_kernelILi24E19rocblas_complex_numIfEiiPS3_EEvT1_T3_lS5_lPT2_S5_S5_
                                        ; -- End function
	.set _ZN9rocsolver6v33100L23getf2_npvt_small_kernelILi24E19rocblas_complex_numIfEiiPS3_EEvT1_T3_lS5_lPT2_S5_S5_.num_vgpr, 162
	.set _ZN9rocsolver6v33100L23getf2_npvt_small_kernelILi24E19rocblas_complex_numIfEiiPS3_EEvT1_T3_lS5_lPT2_S5_S5_.num_agpr, 0
	.set _ZN9rocsolver6v33100L23getf2_npvt_small_kernelILi24E19rocblas_complex_numIfEiiPS3_EEvT1_T3_lS5_lPT2_S5_S5_.numbered_sgpr, 15
	.set _ZN9rocsolver6v33100L23getf2_npvt_small_kernelILi24E19rocblas_complex_numIfEiiPS3_EEvT1_T3_lS5_lPT2_S5_S5_.num_named_barrier, 0
	.set _ZN9rocsolver6v33100L23getf2_npvt_small_kernelILi24E19rocblas_complex_numIfEiiPS3_EEvT1_T3_lS5_lPT2_S5_S5_.private_seg_size, 0
	.set _ZN9rocsolver6v33100L23getf2_npvt_small_kernelILi24E19rocblas_complex_numIfEiiPS3_EEvT1_T3_lS5_lPT2_S5_S5_.uses_vcc, 1
	.set _ZN9rocsolver6v33100L23getf2_npvt_small_kernelILi24E19rocblas_complex_numIfEiiPS3_EEvT1_T3_lS5_lPT2_S5_S5_.uses_flat_scratch, 0
	.set _ZN9rocsolver6v33100L23getf2_npvt_small_kernelILi24E19rocblas_complex_numIfEiiPS3_EEvT1_T3_lS5_lPT2_S5_S5_.has_dyn_sized_stack, 0
	.set _ZN9rocsolver6v33100L23getf2_npvt_small_kernelILi24E19rocblas_complex_numIfEiiPS3_EEvT1_T3_lS5_lPT2_S5_S5_.has_recursion, 0
	.set _ZN9rocsolver6v33100L23getf2_npvt_small_kernelILi24E19rocblas_complex_numIfEiiPS3_EEvT1_T3_lS5_lPT2_S5_S5_.has_indirect_call, 0
	.section	.AMDGPU.csdata,"",@progbits
; Kernel info:
; codeLenInByte = 33068
; TotalNumSgprs: 17
; NumVgprs: 162
; ScratchSize: 0
; MemoryBound: 0
; FloatMode: 240
; IeeeMode: 1
; LDSByteSize: 0 bytes/workgroup (compile time only)
; SGPRBlocks: 0
; VGPRBlocks: 10
; NumSGPRsForWavesPerEU: 17
; NumVGPRsForWavesPerEU: 162
; NamedBarCnt: 0
; Occupancy: 5
; WaveLimiterHint : 0
; COMPUTE_PGM_RSRC2:SCRATCH_EN: 0
; COMPUTE_PGM_RSRC2:USER_SGPR: 2
; COMPUTE_PGM_RSRC2:TRAP_HANDLER: 0
; COMPUTE_PGM_RSRC2:TGID_X_EN: 1
; COMPUTE_PGM_RSRC2:TGID_Y_EN: 1
; COMPUTE_PGM_RSRC2:TGID_Z_EN: 0
; COMPUTE_PGM_RSRC2:TIDIG_COMP_CNT: 1
	.section	.text._ZN9rocsolver6v33100L18getf2_small_kernelILi25E19rocblas_complex_numIfEiiPS3_EEvT1_T3_lS5_lPS5_llPT2_S5_S5_S7_l,"axG",@progbits,_ZN9rocsolver6v33100L18getf2_small_kernelILi25E19rocblas_complex_numIfEiiPS3_EEvT1_T3_lS5_lPS5_llPT2_S5_S5_S7_l,comdat
	.globl	_ZN9rocsolver6v33100L18getf2_small_kernelILi25E19rocblas_complex_numIfEiiPS3_EEvT1_T3_lS5_lPS5_llPT2_S5_S5_S7_l ; -- Begin function _ZN9rocsolver6v33100L18getf2_small_kernelILi25E19rocblas_complex_numIfEiiPS3_EEvT1_T3_lS5_lPS5_llPT2_S5_S5_S7_l
	.p2align	8
	.type	_ZN9rocsolver6v33100L18getf2_small_kernelILi25E19rocblas_complex_numIfEiiPS3_EEvT1_T3_lS5_lPS5_llPT2_S5_S5_S7_l,@function
_ZN9rocsolver6v33100L18getf2_small_kernelILi25E19rocblas_complex_numIfEiiPS3_EEvT1_T3_lS5_lPS5_llPT2_S5_S5_S7_l: ; @_ZN9rocsolver6v33100L18getf2_small_kernelILi25E19rocblas_complex_numIfEiiPS3_EEvT1_T3_lS5_lPS5_llPT2_S5_S5_S7_l
; %bb.0:
	s_clause 0x1
	s_load_u16 s2, s[0:1], 0x6e
	s_load_b64 s[16:17], s[0:1], 0x48
	s_bfe_u32 s3, ttmp6, 0x40010
	s_bfe_u32 s4, ttmp6, 0x40004
	s_add_co_i32 s3, s3, 1
	s_getreg_b32 s5, hwreg(HW_REG_IB_STS2, 6, 4)
	s_mul_i32 s3, ttmp7, s3
	v_bfe_u32 v58, v0, 10, 10
	s_add_co_i32 s4, s4, s3
	s_cmp_eq_u32 s5, 0
	s_cselect_b32 s3, ttmp7, s4
	s_wait_kmcnt 0x0
	v_mad_u32 v2, s3, s2, v58
	s_mov_b32 s2, exec_lo
	s_delay_alu instid0(VALU_DEP_1)
	v_cmpx_gt_i32_e64 s16, v2
	s_cbranch_execz .LBB48_526
; %bb.1:
	s_load_b128 s[4:7], s[0:1], 0x50
	v_mov_b64_e32 v[4:5], 0
	v_ashrrev_i32_e32 v3, 31, v2
	s_wait_kmcnt 0x0
	s_cmp_eq_u64 s[4:5], 0
	s_cselect_b32 s16, -1, 0
	s_delay_alu instid0(SALU_CYCLE_1)
	s_and_b32 vcc_lo, exec_lo, s16
	s_cbranch_vccnz .LBB48_3
; %bb.2:
	v_mul_u64_e32 v[4:5], s[6:7], v[2:3]
	s_delay_alu instid0(VALU_DEP_1)
	v_lshl_add_u64 v[4:5], v[4:5], 2, s[4:5]
.LBB48_3:
	s_clause 0x1
	s_load_b32 s2, s[0:1], 0x18
	s_load_b256 s[4:11], s[0:1], 0x20
	v_and_b32_e32 v62, 0x3ff, v0
	s_clause 0x1
	s_load_b128 s[12:15], s[0:1], 0x8
	s_load_b32 s18, s[0:1], 0x0
	s_wait_kmcnt 0x0
	v_add3_u32 v6, s2, s2, v62
	v_mul_u64_e32 v[0:1], s[4:5], v[2:3]
	s_ashr_i32 s3, s2, 31
	s_max_i32 s4, s18, 25
	s_delay_alu instid0(VALU_DEP_2) | instskip(SKIP_1) | instid1(VALU_DEP_1)
	v_add_nc_u32_e32 v8, s2, v6
	s_cmp_lt_i32 s18, 2
	v_add_nc_u32_e32 v10, s2, v8
	s_delay_alu instid0(VALU_DEP_1) | instskip(NEXT) | instid1(VALU_DEP_1)
	v_add_nc_u32_e32 v12, s2, v10
	v_dual_add_nc_u32 v14, s2, v12 :: v_dual_ashrrev_i32 v7, 31, v6
	s_delay_alu instid0(VALU_DEP_1) | instskip(NEXT) | instid1(VALU_DEP_1)
	v_dual_ashrrev_i32 v9, 31, v8 :: v_dual_add_nc_u32 v16, s2, v14
	v_dual_mov_b32 v57, 0 :: v_dual_add_nc_u32 v18, s2, v16
	v_dual_ashrrev_i32 v11, 31, v10 :: v_dual_ashrrev_i32 v13, 31, v12
	v_lshl_add_u64 v[0:1], v[0:1], 3, s[12:13]
	s_delay_alu instid0(VALU_DEP_3) | instskip(SKIP_2) | instid1(VALU_DEP_4)
	v_add_nc_u32_e32 v20, s2, v18
	v_lshlrev_b32_e32 v56, 3, v62
	v_dual_ashrrev_i32 v19, 31, v18 :: v_dual_ashrrev_i32 v17, 31, v16
	v_lshl_add_u64 v[0:1], s[14:15], 3, v[0:1]
	s_delay_alu instid0(VALU_DEP_4) | instskip(NEXT) | instid1(VALU_DEP_2)
	v_dual_add_nc_u32 v22, s2, v20 :: v_dual_ashrrev_i32 v21, 31, v20
	v_lshl_add_u64 v[10:11], v[10:11], 3, v[0:1]
	s_delay_alu instid0(VALU_DEP_2)
	v_add_nc_u32_e32 v24, s2, v22
	v_ashrrev_i32_e32 v15, 31, v14
	v_lshl_add_u64 v[12:13], v[12:13], 3, v[0:1]
	v_lshl_add_u64 v[18:19], v[18:19], 3, v[0:1]
	;; [unrolled: 1-line block ×3, first 2 shown]
	v_add_nc_u32_e32 v26, s2, v24
	v_lshl_add_u64 v[14:15], v[14:15], 3, v[0:1]
	v_lshl_add_u64 v[16:17], v[16:17], 3, v[0:1]
	s_clause 0x3
	global_load_b64 v[44:45], v[10:11], off
	global_load_b64 v[40:41], v[12:13], off
	;; [unrolled: 1-line block ×4, first 2 shown]
	v_dual_add_nc_u32 v46, s2, v26 :: v_dual_ashrrev_i32 v25, 31, v24
	v_ashrrev_i32_e32 v27, 31, v26
	v_add_nc_u64_e32 v[28:29], v[0:1], v[56:57]
	v_lshl_add_u64 v[6:7], v[6:7], 3, v[0:1]
	s_delay_alu instid0(VALU_DEP_4)
	v_dual_add_nc_u32 v48, s2, v46 :: v_dual_ashrrev_i32 v47, 31, v46
	v_ashrrev_i32_e32 v23, 31, v22
	s_wait_xcnt 0x0
	v_lshl_add_u64 v[16:17], v[24:25], 3, v[0:1]
	v_lshl_add_u64 v[8:9], v[8:9], 3, v[0:1]
	v_add_nc_u32_e32 v50, s2, v48
	v_lshl_add_u64 v[46:47], v[46:47], 3, v[0:1]
	v_lshl_add_u64 v[14:15], v[22:23], 3, v[0:1]
	s_clause 0x3
	global_load_b64 v[36:37], v[18:19], off
	global_load_b64 v[32:33], v[20:21], off
	;; [unrolled: 1-line block ×4, first 2 shown]
	v_dual_add_nc_u32 v10, s2, v50 :: v_dual_ashrrev_i32 v49, 31, v48
	s_wait_xcnt 0x0
	v_lshl_add_u64 v[16:17], v[26:27], 3, v[0:1]
	v_lshl_add_u64 v[12:13], s[2:3], 3, v[28:29]
	s_delay_alu instid0(VALU_DEP_3) | instskip(SKIP_1) | instid1(VALU_DEP_2)
	v_dual_add_nc_u32 v54, s2, v10 :: v_dual_ashrrev_i32 v11, 31, v10
	v_lshl_add_u64 v[48:49], v[48:49], 3, v[0:1]
	v_dual_add_nc_u32 v14, s2, v54 :: v_dual_ashrrev_i32 v55, 31, v54
	s_delay_alu instid0(VALU_DEP_1) | instskip(NEXT) | instid1(VALU_DEP_2)
	v_dual_add_nc_u32 v26, s2, v14 :: v_dual_ashrrev_i32 v15, 31, v14
	v_lshl_add_u64 v[54:55], v[54:55], 3, v[0:1]
	s_delay_alu instid0(VALU_DEP_2) | instskip(SKIP_1) | instid1(VALU_DEP_4)
	v_add_nc_u32_e32 v60, s2, v26
	v_ashrrev_i32_e32 v51, 31, v50
	v_lshl_add_u64 v[64:65], v[14:15], 3, v[0:1]
	s_delay_alu instid0(VALU_DEP_3) | instskip(NEXT) | instid1(VALU_DEP_3)
	v_ashrrev_i32_e32 v61, 31, v60
	v_lshl_add_u64 v[50:51], v[50:51], 3, v[0:1]
	s_clause 0x3
	global_load_b64 v[24:25], v[16:17], off
	global_load_b64 v[20:21], v[46:47], off
	;; [unrolled: 1-line block ×4, first 2 shown]
	s_wait_xcnt 0x3
	v_add_nc_u32_e32 v16, s2, v60
	s_clause 0x3
	global_load_b64 v[48:49], v[12:13], off
	global_load_b64 v[50:51], v[6:7], off
	;; [unrolled: 1-line block ×4, first 2 shown]
	v_ashrrev_i32_e32 v27, 31, v26
	s_wait_xcnt 0x0
	v_lshl_add_u64 v[28:29], v[10:11], 3, v[0:1]
	v_lshl_add_u64 v[60:61], v[60:61], 3, v[0:1]
	v_dual_add_nc_u32 v6, s2, v16 :: v_dual_ashrrev_i32 v17, 31, v16
	v_lshl_add_u64 v[26:27], v[26:27], 3, v[0:1]
	s_clause 0x3
	global_load_b64 v[14:15], v[28:29], off
	global_load_b64 v[10:11], v[54:55], off
	;; [unrolled: 1-line block ×4, first 2 shown]
	v_dual_add_nc_u32 v66, s2, v6 :: v_dual_ashrrev_i32 v7, 31, v6
	s_wait_xcnt 0x1
	v_lshl_add_u64 v[64:65], v[16:17], 3, v[0:1]
	s_wait_xcnt 0x0
	s_delay_alu instid0(VALU_DEP_2) | instskip(SKIP_1) | instid1(VALU_DEP_2)
	v_dual_add_nc_u32 v26, s2, v66 :: v_dual_ashrrev_i32 v67, 31, v66
	v_lshl_add_u64 v[68:69], v[6:7], 3, v[0:1]
	v_ashrrev_i32_e32 v27, 31, v26
	s_delay_alu instid0(VALU_DEP_3) | instskip(NEXT) | instid1(VALU_DEP_2)
	v_lshl_add_u64 v[66:67], v[66:67], 3, v[0:1]
	v_lshl_add_u64 v[70:71], v[26:27], 3, v[0:1]
	s_clause 0x4
	global_load_b64 v[6:7], v[60:61], off
	global_load_b64 v[28:29], v[64:65], off
	global_load_b64 v[26:27], v[68:69], off
	global_load_b64 v[16:17], v[66:67], off
	global_load_b64 v[54:55], v[70:71], off
	s_wait_xcnt 0x4
	v_mul_lo_u32 v61, s4, v58
	s_load_b64 s[4:5], s[0:1], 0x40
	s_delay_alu instid0(VALU_DEP_1) | instskip(NEXT) | instid1(VALU_DEP_1)
	v_lshl_add_u32 v60, v61, 3, 0
	v_dual_lshlrev_b32 v61, 3, v61 :: v_dual_add_nc_u32 v56, v60, v56
	s_wait_loadcnt 0x9
	ds_store_b64 v56, v[52:53]
	s_wait_loadcnt_dscnt 0x0
	s_barrier_signal -1
	s_barrier_wait -1
	ds_load_b64 v[58:59], v60
	s_cbranch_scc1 .LBB48_6
; %bb.4:
	v_add3_u32 v56, v61, 0, 8
	v_mov_b32_e32 v57, 0
	s_wait_xcnt 0x0
	s_mov_b32 s1, 1
.LBB48_5:                               ; =>This Inner Loop Header: Depth=1
	ds_load_b64 v[64:65], v56
	s_wait_dscnt 0x1
	v_cmp_gt_f32_e32 vcc_lo, 0, v58
	v_cmp_gt_f32_e64 s0, 0, v59
	s_delay_alu instid0(VALU_DEP_1) | instskip(SKIP_3) | instid1(VALU_DEP_1)
	v_dual_cndmask_b32 v66, v58, -v58, vcc_lo :: v_dual_cndmask_b32 v68, v59, -v59, s0
	s_wait_dscnt 0x0
	v_cmp_gt_f32_e32 vcc_lo, 0, v64
	v_cmp_gt_f32_e64 s0, 0, v65
	v_dual_cndmask_b32 v67, v64, -v64, vcc_lo :: v_dual_cndmask_b32 v69, v65, -v65, s0
	s_delay_alu instid0(VALU_DEP_1) | instskip(NEXT) | instid1(VALU_DEP_1)
	v_pk_add_f32 v[66:67], v[66:67], v[68:69]
	v_cmp_lt_f32_e32 vcc_lo, v66, v67
	v_dual_cndmask_b32 v59, v59, v65 :: v_dual_add_nc_u32 v56, 8, v56
	v_cndmask_b32_e32 v58, v58, v64, vcc_lo
	v_cndmask_b32_e64 v57, v57, s1, vcc_lo
	s_add_co_i32 s1, s1, 1
	s_delay_alu instid0(SALU_CYCLE_1)
	s_cmp_eq_u32 s18, s1
	s_cbranch_scc0 .LBB48_5
.LBB48_6:
	s_wait_dscnt 0x0
	v_cmp_neq_f32_e32 vcc_lo, 0, v58
	s_wait_xcnt 0x0
	v_cmp_neq_f32_e64 s0, 0, v59
	v_dual_mov_b32 v63, 1 :: v_dual_mov_b32 v65, 1
	s_or_b32 s1, vcc_lo, s0
	s_delay_alu instid0(SALU_CYCLE_1)
	s_and_saveexec_b32 s0, s1
	s_cbranch_execz .LBB48_12
; %bb.7:
	v_cmp_ngt_f32_e64 s1, |v58|, |v59|
	s_and_saveexec_b32 s12, s1
	s_delay_alu instid0(SALU_CYCLE_1)
	s_xor_b32 s1, exec_lo, s12
	s_cbranch_execz .LBB48_9
; %bb.8:
	v_div_scale_f32 v56, null, v59, v59, v58
	v_div_scale_f32 v65, vcc_lo, v58, v59, v58
	s_delay_alu instid0(VALU_DEP_2) | instskip(SKIP_1) | instid1(TRANS32_DEP_1)
	v_rcp_f32_e32 v63, v56
	v_nop
	v_fma_f32 v64, -v56, v63, 1.0
	s_delay_alu instid0(VALU_DEP_1) | instskip(NEXT) | instid1(VALU_DEP_1)
	v_fmac_f32_e32 v63, v64, v63
	v_mul_f32_e32 v64, v65, v63
	s_delay_alu instid0(VALU_DEP_1) | instskip(NEXT) | instid1(VALU_DEP_1)
	v_fma_f32 v66, -v56, v64, v65
	v_fmac_f32_e32 v64, v66, v63
	s_delay_alu instid0(VALU_DEP_1) | instskip(NEXT) | instid1(VALU_DEP_1)
	v_fma_f32 v56, -v56, v64, v65
	v_div_fmas_f32 v56, v56, v63, v64
	s_delay_alu instid0(VALU_DEP_1) | instskip(NEXT) | instid1(VALU_DEP_1)
	v_div_fixup_f32 v56, v56, v59, v58
	v_fmac_f32_e32 v59, v58, v56
	s_delay_alu instid0(VALU_DEP_1) | instskip(SKIP_1) | instid1(VALU_DEP_2)
	v_div_scale_f32 v58, null, v59, v59, 1.0
	v_div_scale_f32 v65, vcc_lo, 1.0, v59, 1.0
	v_rcp_f32_e32 v63, v58
	v_nop
	s_delay_alu instid0(TRANS32_DEP_1) | instskip(NEXT) | instid1(VALU_DEP_1)
	v_fma_f32 v64, -v58, v63, 1.0
	v_fmac_f32_e32 v63, v64, v63
	s_delay_alu instid0(VALU_DEP_1) | instskip(NEXT) | instid1(VALU_DEP_1)
	v_mul_f32_e32 v64, v65, v63
	v_fma_f32 v66, -v58, v64, v65
	s_delay_alu instid0(VALU_DEP_1) | instskip(NEXT) | instid1(VALU_DEP_1)
	v_fmac_f32_e32 v64, v66, v63
	v_fma_f32 v58, -v58, v64, v65
	s_delay_alu instid0(VALU_DEP_1) | instskip(NEXT) | instid1(VALU_DEP_1)
	v_div_fmas_f32 v58, v58, v63, v64
	v_div_fixup_f32 v59, v58, v59, 1.0
	s_delay_alu instid0(VALU_DEP_1)
	v_mul_f32_e32 v58, v56, v59
	v_xor_b32_e32 v59, 0x80000000, v59
.LBB48_9:
	s_and_not1_saveexec_b32 s1, s1
	s_cbranch_execz .LBB48_11
; %bb.10:
	s_delay_alu instid0(VALU_DEP_1) | instskip(SKIP_1) | instid1(VALU_DEP_2)
	v_div_scale_f32 v56, null, v58, v58, v59
	v_div_scale_f32 v65, vcc_lo, v59, v58, v59
	v_rcp_f32_e32 v63, v56
	v_nop
	s_delay_alu instid0(TRANS32_DEP_1) | instskip(NEXT) | instid1(VALU_DEP_1)
	v_fma_f32 v64, -v56, v63, 1.0
	v_fmac_f32_e32 v63, v64, v63
	s_delay_alu instid0(VALU_DEP_1) | instskip(NEXT) | instid1(VALU_DEP_1)
	v_mul_f32_e32 v64, v65, v63
	v_fma_f32 v66, -v56, v64, v65
	s_delay_alu instid0(VALU_DEP_1) | instskip(NEXT) | instid1(VALU_DEP_1)
	v_fmac_f32_e32 v64, v66, v63
	v_fma_f32 v56, -v56, v64, v65
	s_delay_alu instid0(VALU_DEP_1) | instskip(NEXT) | instid1(VALU_DEP_1)
	v_div_fmas_f32 v56, v56, v63, v64
	v_div_fixup_f32 v56, v56, v58, v59
	s_delay_alu instid0(VALU_DEP_1) | instskip(NEXT) | instid1(VALU_DEP_1)
	v_fmac_f32_e32 v58, v59, v56
	v_div_scale_f32 v59, null, v58, v58, 1.0
	s_delay_alu instid0(VALU_DEP_1) | instskip(SKIP_1) | instid1(TRANS32_DEP_1)
	v_rcp_f32_e32 v63, v59
	v_nop
	v_fma_f32 v64, -v59, v63, 1.0
	s_delay_alu instid0(VALU_DEP_1) | instskip(SKIP_1) | instid1(VALU_DEP_1)
	v_fmac_f32_e32 v63, v64, v63
	v_div_scale_f32 v64, vcc_lo, 1.0, v58, 1.0
	v_mul_f32_e32 v65, v64, v63
	s_delay_alu instid0(VALU_DEP_1) | instskip(NEXT) | instid1(VALU_DEP_1)
	v_fma_f32 v66, -v59, v65, v64
	v_fmac_f32_e32 v65, v66, v63
	s_delay_alu instid0(VALU_DEP_1) | instskip(NEXT) | instid1(VALU_DEP_1)
	v_fma_f32 v59, -v59, v65, v64
	v_div_fmas_f32 v59, v59, v63, v65
	s_delay_alu instid0(VALU_DEP_1) | instskip(NEXT) | instid1(VALU_DEP_1)
	v_div_fixup_f32 v58, v59, v58, 1.0
	v_mul_f32_e64 v59, v56, -v58
.LBB48_11:
	s_or_b32 exec_lo, exec_lo, s1
	v_dual_mov_b32 v65, 0 :: v_dual_mov_b32 v63, 2
.LBB48_12:
	s_or_b32 exec_lo, exec_lo, s0
	s_delay_alu instid0(SALU_CYCLE_1)
	s_mov_b32 s0, exec_lo
	v_cmpx_ne_u32_e64 v62, v57
	s_xor_b32 s0, exec_lo, s0
	s_cbranch_execz .LBB48_18
; %bb.13:
	s_mov_b32 s1, exec_lo
	v_cmpx_eq_u32_e32 0, v62
	s_cbranch_execz .LBB48_17
; %bb.14:
	v_cmp_ne_u32_e32 vcc_lo, 0, v57
	s_xor_b32 s12, s16, -1
	s_delay_alu instid0(SALU_CYCLE_1) | instskip(NEXT) | instid1(SALU_CYCLE_1)
	s_and_b32 s13, s12, vcc_lo
	s_and_saveexec_b32 s12, s13
	s_cbranch_execz .LBB48_16
; %bb.15:
	v_dual_mov_b32 v66, v57 :: v_dual_ashrrev_i32 v67, 31, v57
	s_delay_alu instid0(VALU_DEP_1)
	v_lshl_add_u64 v[66:67], v[66:67], 2, v[4:5]
	s_clause 0x1
	global_load_b32 v56, v[66:67], off
	global_load_b32 v62, v[4:5], off
	s_wait_loadcnt 0x1
	global_store_b32 v[4:5], v56, off
	s_wait_loadcnt 0x0
	global_store_b32 v[66:67], v62, off
.LBB48_16:
	s_wait_xcnt 0x0
	s_or_b32 exec_lo, exec_lo, s12
	v_mov_b32_e32 v62, v57
.LBB48_17:
	s_or_b32 exec_lo, exec_lo, s1
.LBB48_18:
	s_or_saveexec_b32 s0, s0
	s_delay_alu instid0(VALU_DEP_1)
	v_mov_b32_e32 v64, v62
	s_xor_b32 exec_lo, exec_lo, s0
	s_cbranch_execz .LBB48_20
; %bb.19:
	v_mov_b32_e32 v64, 0
	ds_store_2addr_b64 v60, v[48:49], v[50:51] offset0:1 offset1:2
	ds_store_2addr_b64 v60, v[46:47], v[44:45] offset0:3 offset1:4
	;; [unrolled: 1-line block ×12, first 2 shown]
.LBB48_20:
	s_or_b32 exec_lo, exec_lo, s0
	s_delay_alu instid0(SALU_CYCLE_1)
	s_mov_b32 s0, exec_lo
	s_wait_storecnt_dscnt 0x0
	s_barrier_signal -1
	s_barrier_wait -1
	v_cmpx_lt_i32_e32 0, v64
	s_cbranch_execz .LBB48_22
; %bb.21:
	v_pk_mul_f32 v[66:67], v[58:59], v[52:53] op_sel:[1,1] op_sel_hi:[0,1]
	s_delay_alu instid0(VALU_DEP_1)
	v_pk_fma_f32 v[56:57], v[58:59], v[52:53], v[66:67] op_sel_hi:[1,0,1] neg_lo:[0,0,1] neg_hi:[0,0,1]
	v_pk_fma_f32 v[58:59], v[58:59], v[52:53], v[66:67] op_sel_hi:[1,0,1]
	ds_load_2addr_b64 v[66:69], v60 offset0:1 offset1:2
	v_dual_mov_b32 v52, v56 :: v_dual_mov_b32 v53, v59
	s_wait_dscnt 0x0
	v_pk_mul_f32 v[70:71], v[66:67], v[58:59] op_sel:[0,1]
	s_delay_alu instid0(VALU_DEP_1) | instskip(SKIP_1) | instid1(VALU_DEP_1)
	v_pk_fma_f32 v[72:73], v[66:67], v[56:57], v[70:71] op_sel:[0,0,1] op_sel_hi:[1,1,0] neg_lo:[0,0,1] neg_hi:[0,0,1]
	v_pk_fma_f32 v[66:67], v[66:67], v[56:57], v[70:71] op_sel:[0,0,1] op_sel_hi:[1,0,0]
	v_mov_b32_e32 v73, v67
	v_pk_mul_f32 v[66:67], v[68:69], v[58:59] op_sel:[0,1]
	s_delay_alu instid0(VALU_DEP_1) | instskip(SKIP_1) | instid1(VALU_DEP_1)
	v_pk_fma_f32 v[70:71], v[68:69], v[56:57], v[66:67] op_sel:[0,0,1] op_sel_hi:[1,1,0] neg_lo:[0,0,1] neg_hi:[0,0,1]
	v_pk_fma_f32 v[66:67], v[68:69], v[56:57], v[66:67] op_sel:[0,0,1] op_sel_hi:[1,0,0]
	v_mov_b32_e32 v71, v67
	ds_load_2addr_b64 v[66:69], v60 offset0:3 offset1:4
	v_pk_add_f32 v[48:49], v[48:49], v[72:73] neg_lo:[0,1] neg_hi:[0,1]
	v_pk_add_f32 v[50:51], v[50:51], v[70:71] neg_lo:[0,1] neg_hi:[0,1]
	s_wait_dscnt 0x0
	v_pk_mul_f32 v[70:71], v[66:67], v[58:59] op_sel:[0,1]
	s_delay_alu instid0(VALU_DEP_1) | instskip(SKIP_2) | instid1(VALU_DEP_2)
	v_pk_fma_f32 v[72:73], v[66:67], v[56:57], v[70:71] op_sel:[0,0,1] op_sel_hi:[1,1,0] neg_lo:[0,0,1] neg_hi:[0,0,1]
	v_pk_fma_f32 v[66:67], v[66:67], v[56:57], v[70:71] op_sel:[0,0,1] op_sel_hi:[1,0,0]
	v_dual_mul_f32 v70, v69, v59 :: v_dual_mov_b32 v66, v69
	v_dual_mov_b32 v73, v67 :: v_dual_mov_b32 v67, v68
	s_delay_alu instid0(VALU_DEP_2) | instskip(SKIP_1) | instid1(VALU_DEP_3)
	v_pk_fma_f32 v[70:71], v[68:69], v[52:53], v[70:71] op_sel_hi:[1,1,0] neg_lo:[0,0,1] neg_hi:[0,0,1]
	v_mul_f32_e32 v68, v69, v56
	v_pk_add_f32 v[46:47], v[46:47], v[72:73] neg_lo:[0,1] neg_hi:[0,1]
	s_delay_alu instid0(VALU_DEP_2) | instskip(NEXT) | instid1(VALU_DEP_1)
	v_pk_fma_f32 v[66:67], v[66:67], v[52:53], v[68:69] op_sel_hi:[1,1,0]
	v_mov_b32_e32 v71, v67
	ds_load_2addr_b64 v[66:69], v60 offset0:5 offset1:6
	v_pk_add_f32 v[44:45], v[44:45], v[70:71] neg_lo:[0,1] neg_hi:[0,1]
	s_wait_dscnt 0x0
	v_pk_mul_f32 v[70:71], v[66:67], v[58:59] op_sel:[0,1]
	s_delay_alu instid0(VALU_DEP_1) | instskip(SKIP_1) | instid1(VALU_DEP_1)
	v_pk_fma_f32 v[72:73], v[66:67], v[56:57], v[70:71] op_sel:[0,0,1] op_sel_hi:[1,1,0] neg_lo:[0,0,1] neg_hi:[0,0,1]
	v_pk_fma_f32 v[66:67], v[66:67], v[56:57], v[70:71] op_sel:[0,0,1] op_sel_hi:[1,0,0]
	v_mov_b32_e32 v73, v67
	v_pk_mul_f32 v[66:67], v[68:69], v[58:59] op_sel:[0,1]
	s_delay_alu instid0(VALU_DEP_1) | instskip(SKIP_1) | instid1(VALU_DEP_1)
	v_pk_fma_f32 v[70:71], v[68:69], v[56:57], v[66:67] op_sel:[0,0,1] op_sel_hi:[1,1,0] neg_lo:[0,0,1] neg_hi:[0,0,1]
	v_pk_fma_f32 v[66:67], v[68:69], v[56:57], v[66:67] op_sel:[0,0,1] op_sel_hi:[1,0,0]
	v_mov_b32_e32 v71, v67
	ds_load_2addr_b64 v[66:69], v60 offset0:7 offset1:8
	v_pk_add_f32 v[40:41], v[40:41], v[72:73] neg_lo:[0,1] neg_hi:[0,1]
	v_pk_add_f32 v[42:43], v[42:43], v[70:71] neg_lo:[0,1] neg_hi:[0,1]
	s_wait_dscnt 0x0
	v_pk_mul_f32 v[70:71], v[66:67], v[58:59] op_sel:[0,1]
	s_delay_alu instid0(VALU_DEP_1) | instskip(SKIP_1) | instid1(VALU_DEP_1)
	v_pk_fma_f32 v[72:73], v[66:67], v[56:57], v[70:71] op_sel:[0,0,1] op_sel_hi:[1,1,0] neg_lo:[0,0,1] neg_hi:[0,0,1]
	v_pk_fma_f32 v[66:67], v[66:67], v[56:57], v[70:71] op_sel:[0,0,1] op_sel_hi:[1,0,0]
	v_mov_b32_e32 v73, v67
	v_pk_mul_f32 v[66:67], v[68:69], v[58:59] op_sel:[0,1]
	s_delay_alu instid0(VALU_DEP_1) | instskip(SKIP_1) | instid1(VALU_DEP_1)
	v_pk_fma_f32 v[70:71], v[68:69], v[56:57], v[66:67] op_sel:[0,0,1] op_sel_hi:[1,1,0] neg_lo:[0,0,1] neg_hi:[0,0,1]
	v_pk_fma_f32 v[66:67], v[68:69], v[56:57], v[66:67] op_sel:[0,0,1] op_sel_hi:[1,0,0]
	v_mov_b32_e32 v71, v67
	ds_load_2addr_b64 v[66:69], v60 offset0:9 offset1:10
	v_pk_add_f32 v[38:39], v[38:39], v[72:73] neg_lo:[0,1] neg_hi:[0,1]
	v_pk_add_f32 v[36:37], v[36:37], v[70:71] neg_lo:[0,1] neg_hi:[0,1]
	s_wait_dscnt 0x0
	v_dual_mul_f32 v70, v67, v59 :: v_dual_mul_f32 v72, v67, v56
	s_delay_alu instid0(VALU_DEP_1) | instskip(NEXT) | instid1(VALU_DEP_2)
	v_pk_fma_f32 v[70:71], v[66:67], v[52:53], v[70:71] op_sel_hi:[1,1,0] neg_lo:[0,0,1] neg_hi:[0,0,1]
	v_pk_fma_f32 v[66:67], v[66:67], v[52:53], v[72:73] op_sel:[1,0,0] op_sel_hi:[0,1,0]
	s_delay_alu instid0(VALU_DEP_1) | instskip(SKIP_1) | instid1(VALU_DEP_2)
	v_mov_b32_e32 v71, v67
	v_pk_mul_f32 v[66:67], v[68:69], v[58:59] op_sel:[0,1]
	v_pk_add_f32 v[32:33], v[32:33], v[70:71] neg_lo:[0,1] neg_hi:[0,1]
	s_delay_alu instid0(VALU_DEP_2) | instskip(SKIP_1) | instid1(VALU_DEP_1)
	v_pk_fma_f32 v[70:71], v[68:69], v[56:57], v[66:67] op_sel:[0,0,1] op_sel_hi:[1,1,0] neg_lo:[0,0,1] neg_hi:[0,0,1]
	v_pk_fma_f32 v[66:67], v[68:69], v[56:57], v[66:67] op_sel:[0,0,1] op_sel_hi:[1,0,0]
	v_mov_b32_e32 v71, v67
	ds_load_2addr_b64 v[66:69], v60 offset0:11 offset1:12
	v_pk_add_f32 v[34:35], v[34:35], v[70:71] neg_lo:[0,1] neg_hi:[0,1]
	s_wait_dscnt 0x0
	v_pk_mul_f32 v[70:71], v[66:67], v[58:59] op_sel:[0,1]
	s_delay_alu instid0(VALU_DEP_1) | instskip(SKIP_1) | instid1(VALU_DEP_1)
	v_pk_fma_f32 v[72:73], v[66:67], v[56:57], v[70:71] op_sel:[0,0,1] op_sel_hi:[1,1,0] neg_lo:[0,0,1] neg_hi:[0,0,1]
	v_pk_fma_f32 v[66:67], v[66:67], v[56:57], v[70:71] op_sel:[0,0,1] op_sel_hi:[1,0,0]
	v_mov_b32_e32 v73, v67
	v_pk_mul_f32 v[66:67], v[68:69], v[58:59] op_sel:[0,1]
	s_delay_alu instid0(VALU_DEP_2) | instskip(NEXT) | instid1(VALU_DEP_2)
	v_pk_add_f32 v[30:31], v[30:31], v[72:73] neg_lo:[0,1] neg_hi:[0,1]
	v_pk_fma_f32 v[70:71], v[68:69], v[56:57], v[66:67] op_sel:[0,0,1] op_sel_hi:[1,1,0] neg_lo:[0,0,1] neg_hi:[0,0,1]
	v_pk_fma_f32 v[66:67], v[68:69], v[56:57], v[66:67] op_sel:[0,0,1] op_sel_hi:[1,0,0]
	s_delay_alu instid0(VALU_DEP_1) | instskip(SKIP_4) | instid1(VALU_DEP_1)
	v_mov_b32_e32 v71, v67
	ds_load_2addr_b64 v[66:69], v60 offset0:13 offset1:14
	v_pk_add_f32 v[24:25], v[24:25], v[70:71] neg_lo:[0,1] neg_hi:[0,1]
	s_wait_dscnt 0x0
	v_pk_mul_f32 v[70:71], v[66:67], v[58:59] op_sel:[0,1]
	v_pk_fma_f32 v[72:73], v[66:67], v[56:57], v[70:71] op_sel:[0,0,1] op_sel_hi:[1,1,0] neg_lo:[0,0,1] neg_hi:[0,0,1]
	v_pk_fma_f32 v[66:67], v[66:67], v[56:57], v[70:71] op_sel:[0,0,1] op_sel_hi:[1,0,0]
	v_dual_mul_f32 v70, v69, v59 :: v_dual_mov_b32 v66, v69
	s_delay_alu instid0(VALU_DEP_2) | instskip(NEXT) | instid1(VALU_DEP_2)
	v_dual_mov_b32 v73, v67 :: v_dual_mov_b32 v67, v68
	v_pk_fma_f32 v[70:71], v[68:69], v[52:53], v[70:71] op_sel_hi:[1,1,0] neg_lo:[0,0,1] neg_hi:[0,0,1]
	v_mul_f32_e32 v68, v69, v56
	s_delay_alu instid0(VALU_DEP_3) | instskip(NEXT) | instid1(VALU_DEP_2)
	v_pk_add_f32 v[20:21], v[20:21], v[72:73] neg_lo:[0,1] neg_hi:[0,1]
	v_pk_fma_f32 v[66:67], v[66:67], v[52:53], v[68:69] op_sel_hi:[1,1,0]
	s_delay_alu instid0(VALU_DEP_1) | instskip(SKIP_4) | instid1(VALU_DEP_1)
	v_mov_b32_e32 v71, v67
	ds_load_2addr_b64 v[66:69], v60 offset0:15 offset1:16
	v_pk_add_f32 v[22:23], v[22:23], v[70:71] neg_lo:[0,1] neg_hi:[0,1]
	s_wait_dscnt 0x0
	v_pk_mul_f32 v[70:71], v[66:67], v[58:59] op_sel:[0,1]
	v_pk_fma_f32 v[72:73], v[66:67], v[56:57], v[70:71] op_sel:[0,0,1] op_sel_hi:[1,1,0] neg_lo:[0,0,1] neg_hi:[0,0,1]
	v_pk_fma_f32 v[66:67], v[66:67], v[56:57], v[70:71] op_sel:[0,0,1] op_sel_hi:[1,0,0]
	s_delay_alu instid0(VALU_DEP_1) | instskip(SKIP_1) | instid1(VALU_DEP_1)
	v_mov_b32_e32 v73, v67
	v_pk_mul_f32 v[66:67], v[68:69], v[58:59] op_sel:[0,1]
	v_pk_fma_f32 v[70:71], v[68:69], v[56:57], v[66:67] op_sel:[0,0,1] op_sel_hi:[1,1,0] neg_lo:[0,0,1] neg_hi:[0,0,1]
	v_pk_fma_f32 v[66:67], v[68:69], v[56:57], v[66:67] op_sel:[0,0,1] op_sel_hi:[1,0,0]
	s_delay_alu instid0(VALU_DEP_1)
	v_mov_b32_e32 v71, v67
	ds_load_2addr_b64 v[66:69], v60 offset0:17 offset1:18
	v_pk_add_f32 v[18:19], v[18:19], v[72:73] neg_lo:[0,1] neg_hi:[0,1]
	v_pk_add_f32 v[14:15], v[14:15], v[70:71] neg_lo:[0,1] neg_hi:[0,1]
	s_wait_dscnt 0x0
	v_pk_mul_f32 v[70:71], v[66:67], v[58:59] op_sel:[0,1]
	s_delay_alu instid0(VALU_DEP_1) | instskip(SKIP_1) | instid1(VALU_DEP_1)
	v_pk_fma_f32 v[72:73], v[66:67], v[56:57], v[70:71] op_sel:[0,0,1] op_sel_hi:[1,1,0] neg_lo:[0,0,1] neg_hi:[0,0,1]
	v_pk_fma_f32 v[66:67], v[66:67], v[56:57], v[70:71] op_sel:[0,0,1] op_sel_hi:[1,0,0]
	v_mov_b32_e32 v73, v67
	v_pk_mul_f32 v[66:67], v[68:69], v[58:59] op_sel:[0,1]
	s_delay_alu instid0(VALU_DEP_1) | instskip(SKIP_1) | instid1(VALU_DEP_1)
	v_pk_fma_f32 v[70:71], v[68:69], v[56:57], v[66:67] op_sel:[0,0,1] op_sel_hi:[1,1,0] neg_lo:[0,0,1] neg_hi:[0,0,1]
	v_pk_fma_f32 v[66:67], v[68:69], v[56:57], v[66:67] op_sel:[0,0,1] op_sel_hi:[1,0,0]
	v_mov_b32_e32 v71, v67
	ds_load_2addr_b64 v[66:69], v60 offset0:19 offset1:20
	v_pk_add_f32 v[10:11], v[10:11], v[72:73] neg_lo:[0,1] neg_hi:[0,1]
	v_pk_add_f32 v[12:13], v[12:13], v[70:71] neg_lo:[0,1] neg_hi:[0,1]
	s_wait_dscnt 0x0
	v_dual_mul_f32 v70, v67, v59 :: v_dual_mul_f32 v72, v67, v56
	s_delay_alu instid0(VALU_DEP_1) | instskip(NEXT) | instid1(VALU_DEP_2)
	v_pk_fma_f32 v[70:71], v[66:67], v[52:53], v[70:71] op_sel_hi:[1,1,0] neg_lo:[0,0,1] neg_hi:[0,0,1]
	v_pk_fma_f32 v[66:67], v[66:67], v[52:53], v[72:73] op_sel:[1,0,0] op_sel_hi:[0,1,0]
	s_delay_alu instid0(VALU_DEP_1) | instskip(SKIP_1) | instid1(VALU_DEP_2)
	v_mov_b32_e32 v71, v67
	v_pk_mul_f32 v[66:67], v[68:69], v[58:59] op_sel:[0,1]
	v_pk_add_f32 v[8:9], v[8:9], v[70:71] neg_lo:[0,1] neg_hi:[0,1]
	s_delay_alu instid0(VALU_DEP_2) | instskip(SKIP_1) | instid1(VALU_DEP_1)
	v_pk_fma_f32 v[70:71], v[68:69], v[56:57], v[66:67] op_sel:[0,0,1] op_sel_hi:[1,1,0] neg_lo:[0,0,1] neg_hi:[0,0,1]
	v_pk_fma_f32 v[66:67], v[68:69], v[56:57], v[66:67] op_sel:[0,0,1] op_sel_hi:[1,0,0]
	v_mov_b32_e32 v71, v67
	ds_load_2addr_b64 v[66:69], v60 offset0:21 offset1:22
	v_pk_add_f32 v[6:7], v[6:7], v[70:71] neg_lo:[0,1] neg_hi:[0,1]
	s_wait_dscnt 0x0
	v_pk_mul_f32 v[70:71], v[66:67], v[58:59] op_sel:[0,1]
	s_delay_alu instid0(VALU_DEP_1) | instskip(SKIP_1) | instid1(VALU_DEP_1)
	v_pk_fma_f32 v[72:73], v[66:67], v[56:57], v[70:71] op_sel:[0,0,1] op_sel_hi:[1,1,0] neg_lo:[0,0,1] neg_hi:[0,0,1]
	v_pk_fma_f32 v[66:67], v[66:67], v[56:57], v[70:71] op_sel:[0,0,1] op_sel_hi:[1,0,0]
	v_mov_b32_e32 v73, v67
	v_pk_mul_f32 v[66:67], v[68:69], v[58:59] op_sel:[0,1]
	s_delay_alu instid0(VALU_DEP_2) | instskip(NEXT) | instid1(VALU_DEP_2)
	v_pk_add_f32 v[28:29], v[28:29], v[72:73] neg_lo:[0,1] neg_hi:[0,1]
	v_pk_fma_f32 v[70:71], v[68:69], v[56:57], v[66:67] op_sel:[0,0,1] op_sel_hi:[1,1,0] neg_lo:[0,0,1] neg_hi:[0,0,1]
	v_pk_fma_f32 v[66:67], v[68:69], v[56:57], v[66:67] op_sel:[0,0,1] op_sel_hi:[1,0,0]
	s_delay_alu instid0(VALU_DEP_1)
	v_mov_b32_e32 v71, v67
	ds_load_2addr_b64 v[66:69], v60 offset0:23 offset1:24
	v_pk_add_f32 v[26:27], v[26:27], v[70:71] neg_lo:[0,1] neg_hi:[0,1]
	s_wait_dscnt 0x0
	v_pk_mul_f32 v[70:71], v[66:67], v[58:59] op_sel:[0,1]
	v_mul_f32_e32 v58, v69, v59
	s_delay_alu instid0(VALU_DEP_2) | instskip(SKIP_2) | instid1(VALU_DEP_4)
	v_pk_fma_f32 v[72:73], v[66:67], v[56:57], v[70:71] op_sel:[0,0,1] op_sel_hi:[1,1,0] neg_lo:[0,0,1] neg_hi:[0,0,1]
	v_pk_fma_f32 v[66:67], v[66:67], v[56:57], v[70:71] op_sel:[0,0,1] op_sel_hi:[1,0,0]
	v_dual_mov_b32 v66, v69 :: v_dual_mul_f32 v56, v69, v56
	v_pk_fma_f32 v[58:59], v[68:69], v[52:53], v[58:59] op_sel_hi:[1,1,0] neg_lo:[0,0,1] neg_hi:[0,0,1]
	s_delay_alu instid0(VALU_DEP_3) | instskip(NEXT) | instid1(VALU_DEP_1)
	v_dual_mov_b32 v73, v67 :: v_dual_mov_b32 v67, v68
	v_pk_add_f32 v[16:17], v[16:17], v[72:73] neg_lo:[0,1] neg_hi:[0,1]
	s_delay_alu instid0(VALU_DEP_2) | instskip(NEXT) | instid1(VALU_DEP_1)
	v_pk_fma_f32 v[56:57], v[66:67], v[52:53], v[56:57] op_sel_hi:[1,1,0]
	v_mov_b32_e32 v59, v57
	s_delay_alu instid0(VALU_DEP_1)
	v_pk_add_f32 v[54:55], v[54:55], v[58:59] neg_lo:[0,1] neg_hi:[0,1]
.LBB48_22:
	s_or_b32 exec_lo, exec_lo, s0
	v_lshl_add_u32 v56, v64, 3, v60
	s_barrier_signal -1
	s_barrier_wait -1
	ds_store_b64 v56, v[48:49]
	s_wait_dscnt 0x0
	s_barrier_signal -1
	s_barrier_wait -1
	ds_load_b64 v[58:59], v60 offset:8
	v_mov_b32_e32 v56, 1
	s_cmp_lt_i32 s18, 3
	s_cbranch_scc1 .LBB48_25
; %bb.23:
	v_add3_u32 v57, v61, 0, 16
	v_mov_b32_e32 v56, 1
	s_mov_b32 s0, 2
.LBB48_24:                              ; =>This Inner Loop Header: Depth=1
	ds_load_b64 v[66:67], v57
	s_wait_dscnt 0x1
	v_cmp_gt_f32_e32 vcc_lo, 0, v58
	v_cndmask_b32_e64 v68, v58, -v58, vcc_lo
	v_cmp_gt_f32_e32 vcc_lo, 0, v59
	v_cndmask_b32_e64 v70, v59, -v59, vcc_lo
	s_wait_dscnt 0x0
	v_cmp_gt_f32_e32 vcc_lo, 0, v66
	v_cndmask_b32_e64 v69, v66, -v66, vcc_lo
	v_cmp_gt_f32_e32 vcc_lo, 0, v67
	v_cndmask_b32_e64 v71, v67, -v67, vcc_lo
	s_delay_alu instid0(VALU_DEP_1) | instskip(NEXT) | instid1(VALU_DEP_1)
	v_pk_add_f32 v[68:69], v[68:69], v[70:71]
	v_cmp_lt_f32_e32 vcc_lo, v68, v69
	v_dual_add_nc_u32 v57, 8, v57 :: v_dual_cndmask_b32 v59, v59, v67, vcc_lo
	v_cndmask_b32_e32 v58, v58, v66, vcc_lo
	v_cndmask_b32_e64 v56, v56, s0, vcc_lo
	s_add_co_i32 s0, s0, 1
	s_delay_alu instid0(SALU_CYCLE_1)
	s_cmp_lg_u32 s18, s0
	s_cbranch_scc1 .LBB48_24
.LBB48_25:
	s_wait_dscnt 0x0
	v_cmp_neq_f32_e32 vcc_lo, 0, v58
	v_cmp_neq_f32_e64 s0, 0, v59
	s_or_b32 s1, vcc_lo, s0
	s_delay_alu instid0(SALU_CYCLE_1)
	s_and_saveexec_b32 s0, s1
	s_cbranch_execz .LBB48_31
; %bb.26:
	v_cmp_ngt_f32_e64 s1, |v58|, |v59|
	s_and_saveexec_b32 s12, s1
	s_delay_alu instid0(SALU_CYCLE_1)
	s_xor_b32 s1, exec_lo, s12
	s_cbranch_execz .LBB48_28
; %bb.27:
	v_div_scale_f32 v57, null, v59, v59, v58
	v_div_scale_f32 v67, vcc_lo, v58, v59, v58
	s_delay_alu instid0(VALU_DEP_2) | instskip(SKIP_1) | instid1(TRANS32_DEP_1)
	v_rcp_f32_e32 v63, v57
	v_nop
	v_fma_f32 v66, -v57, v63, 1.0
	s_delay_alu instid0(VALU_DEP_1) | instskip(NEXT) | instid1(VALU_DEP_1)
	v_fmac_f32_e32 v63, v66, v63
	v_mul_f32_e32 v66, v67, v63
	s_delay_alu instid0(VALU_DEP_1) | instskip(NEXT) | instid1(VALU_DEP_1)
	v_fma_f32 v68, -v57, v66, v67
	v_fmac_f32_e32 v66, v68, v63
	s_delay_alu instid0(VALU_DEP_1) | instskip(NEXT) | instid1(VALU_DEP_1)
	v_fma_f32 v57, -v57, v66, v67
	v_div_fmas_f32 v57, v57, v63, v66
	s_delay_alu instid0(VALU_DEP_1) | instskip(NEXT) | instid1(VALU_DEP_1)
	v_div_fixup_f32 v57, v57, v59, v58
	v_fmac_f32_e32 v59, v58, v57
	s_delay_alu instid0(VALU_DEP_1) | instskip(SKIP_1) | instid1(VALU_DEP_2)
	v_div_scale_f32 v58, null, v59, v59, 1.0
	v_div_scale_f32 v67, vcc_lo, 1.0, v59, 1.0
	v_rcp_f32_e32 v63, v58
	v_nop
	s_delay_alu instid0(TRANS32_DEP_1) | instskip(NEXT) | instid1(VALU_DEP_1)
	v_fma_f32 v66, -v58, v63, 1.0
	v_fmac_f32_e32 v63, v66, v63
	s_delay_alu instid0(VALU_DEP_1) | instskip(NEXT) | instid1(VALU_DEP_1)
	v_mul_f32_e32 v66, v67, v63
	v_fma_f32 v68, -v58, v66, v67
	s_delay_alu instid0(VALU_DEP_1) | instskip(NEXT) | instid1(VALU_DEP_1)
	v_fmac_f32_e32 v66, v68, v63
	v_fma_f32 v58, -v58, v66, v67
	s_delay_alu instid0(VALU_DEP_1) | instskip(NEXT) | instid1(VALU_DEP_1)
	v_div_fmas_f32 v58, v58, v63, v66
	v_div_fixup_f32 v59, v58, v59, 1.0
	s_delay_alu instid0(VALU_DEP_1)
	v_mul_f32_e32 v58, v57, v59
	v_xor_b32_e32 v59, 0x80000000, v59
.LBB48_28:
	s_and_not1_saveexec_b32 s1, s1
	s_cbranch_execz .LBB48_30
; %bb.29:
	s_delay_alu instid0(VALU_DEP_1) | instskip(SKIP_1) | instid1(VALU_DEP_2)
	v_div_scale_f32 v57, null, v58, v58, v59
	v_div_scale_f32 v67, vcc_lo, v59, v58, v59
	v_rcp_f32_e32 v63, v57
	v_nop
	s_delay_alu instid0(TRANS32_DEP_1) | instskip(NEXT) | instid1(VALU_DEP_1)
	v_fma_f32 v66, -v57, v63, 1.0
	v_fmac_f32_e32 v63, v66, v63
	s_delay_alu instid0(VALU_DEP_1) | instskip(NEXT) | instid1(VALU_DEP_1)
	v_mul_f32_e32 v66, v67, v63
	v_fma_f32 v68, -v57, v66, v67
	s_delay_alu instid0(VALU_DEP_1) | instskip(NEXT) | instid1(VALU_DEP_1)
	v_fmac_f32_e32 v66, v68, v63
	v_fma_f32 v57, -v57, v66, v67
	s_delay_alu instid0(VALU_DEP_1) | instskip(NEXT) | instid1(VALU_DEP_1)
	v_div_fmas_f32 v57, v57, v63, v66
	v_div_fixup_f32 v57, v57, v58, v59
	s_delay_alu instid0(VALU_DEP_1) | instskip(NEXT) | instid1(VALU_DEP_1)
	v_fmac_f32_e32 v58, v59, v57
	v_div_scale_f32 v59, null, v58, v58, 1.0
	s_delay_alu instid0(VALU_DEP_1) | instskip(SKIP_1) | instid1(TRANS32_DEP_1)
	v_rcp_f32_e32 v63, v59
	v_nop
	v_fma_f32 v66, -v59, v63, 1.0
	s_delay_alu instid0(VALU_DEP_1) | instskip(SKIP_1) | instid1(VALU_DEP_1)
	v_fmac_f32_e32 v63, v66, v63
	v_div_scale_f32 v66, vcc_lo, 1.0, v58, 1.0
	v_mul_f32_e32 v67, v66, v63
	s_delay_alu instid0(VALU_DEP_1) | instskip(NEXT) | instid1(VALU_DEP_1)
	v_fma_f32 v68, -v59, v67, v66
	v_fmac_f32_e32 v67, v68, v63
	s_delay_alu instid0(VALU_DEP_1) | instskip(NEXT) | instid1(VALU_DEP_1)
	v_fma_f32 v59, -v59, v67, v66
	v_div_fmas_f32 v59, v59, v63, v67
	s_delay_alu instid0(VALU_DEP_1) | instskip(NEXT) | instid1(VALU_DEP_1)
	v_div_fixup_f32 v58, v59, v58, 1.0
	v_mul_f32_e64 v59, v57, -v58
.LBB48_30:
	s_or_b32 exec_lo, exec_lo, s1
	v_mov_b32_e32 v63, v65
.LBB48_31:
	s_or_b32 exec_lo, exec_lo, s0
	s_delay_alu instid0(SALU_CYCLE_1)
	s_mov_b32 s0, exec_lo
	v_cmpx_ne_u32_e64 v64, v56
	s_xor_b32 s0, exec_lo, s0
	s_cbranch_execz .LBB48_37
; %bb.32:
	s_mov_b32 s1, exec_lo
	v_cmpx_eq_u32_e32 1, v64
	s_cbranch_execz .LBB48_36
; %bb.33:
	v_cmp_ne_u32_e32 vcc_lo, 1, v56
	s_xor_b32 s12, s16, -1
	s_delay_alu instid0(SALU_CYCLE_1) | instskip(NEXT) | instid1(SALU_CYCLE_1)
	s_and_b32 s13, s12, vcc_lo
	s_and_saveexec_b32 s12, s13
	s_cbranch_execz .LBB48_35
; %bb.34:
	v_ashrrev_i32_e32 v57, 31, v56
	s_delay_alu instid0(VALU_DEP_1)
	v_lshl_add_u64 v[64:65], v[56:57], 2, v[4:5]
	s_clause 0x1
	global_load_b32 v57, v[64:65], off
	global_load_b32 v62, v[4:5], off offset:4
	s_wait_loadcnt 0x1
	global_store_b32 v[4:5], v57, off offset:4
	s_wait_loadcnt 0x0
	global_store_b32 v[64:65], v62, off
.LBB48_35:
	s_wait_xcnt 0x0
	s_or_b32 exec_lo, exec_lo, s12
	v_dual_mov_b32 v64, v56 :: v_dual_mov_b32 v62, v56
.LBB48_36:
	s_or_b32 exec_lo, exec_lo, s1
.LBB48_37:
	s_and_not1_saveexec_b32 s0, s0
	s_cbranch_execz .LBB48_39
; %bb.38:
	v_dual_mov_b32 v56, v50 :: v_dual_mov_b32 v57, v51
	v_dual_mov_b32 v64, v46 :: v_dual_mov_b32 v65, v47
	ds_store_2addr_b64 v60, v[56:57], v[64:65] offset0:2 offset1:3
	v_dual_mov_b32 v56, v44 :: v_dual_mov_b32 v57, v45
	v_dual_mov_b32 v64, v40 :: v_dual_mov_b32 v65, v41
	ds_store_2addr_b64 v60, v[56:57], v[64:65] offset0:4 offset1:5
	;; [unrolled: 3-line block ×11, first 2 shown]
	ds_store_b64 v60, v[54:55] offset:192
	v_mov_b32_e32 v64, 1
.LBB48_39:
	s_or_b32 exec_lo, exec_lo, s0
	s_delay_alu instid0(SALU_CYCLE_1)
	s_mov_b32 s0, exec_lo
	s_wait_storecnt_dscnt 0x0
	s_barrier_signal -1
	s_barrier_wait -1
	v_cmpx_lt_i32_e32 1, v64
	s_cbranch_execz .LBB48_41
; %bb.40:
	v_pk_mul_f32 v[66:67], v[58:59], v[48:49] op_sel:[1,1] op_sel_hi:[0,1]
	s_delay_alu instid0(VALU_DEP_1)
	v_pk_fma_f32 v[56:57], v[58:59], v[48:49], v[66:67] op_sel_hi:[1,0,1] neg_lo:[0,0,1] neg_hi:[0,0,1]
	v_pk_fma_f32 v[58:59], v[58:59], v[48:49], v[66:67] op_sel_hi:[1,0,1]
	ds_load_2addr_b64 v[66:69], v60 offset0:2 offset1:3
	v_dual_mov_b32 v48, v56 :: v_dual_mov_b32 v49, v59
	s_wait_dscnt 0x0
	v_pk_mul_f32 v[70:71], v[66:67], v[58:59] op_sel:[0,1]
	s_delay_alu instid0(VALU_DEP_1) | instskip(SKIP_1) | instid1(VALU_DEP_1)
	v_pk_fma_f32 v[72:73], v[66:67], v[56:57], v[70:71] op_sel:[0,0,1] op_sel_hi:[1,1,0] neg_lo:[0,0,1] neg_hi:[0,0,1]
	v_pk_fma_f32 v[66:67], v[66:67], v[56:57], v[70:71] op_sel:[0,0,1] op_sel_hi:[1,0,0]
	v_mov_b32_e32 v73, v67
	v_pk_mul_f32 v[66:67], v[68:69], v[58:59] op_sel:[0,1]
	s_delay_alu instid0(VALU_DEP_1) | instskip(SKIP_1) | instid1(VALU_DEP_1)
	v_pk_fma_f32 v[70:71], v[68:69], v[56:57], v[66:67] op_sel:[0,0,1] op_sel_hi:[1,1,0] neg_lo:[0,0,1] neg_hi:[0,0,1]
	v_pk_fma_f32 v[66:67], v[68:69], v[56:57], v[66:67] op_sel:[0,0,1] op_sel_hi:[1,0,0]
	v_mov_b32_e32 v71, v67
	ds_load_2addr_b64 v[66:69], v60 offset0:4 offset1:5
	v_pk_add_f32 v[50:51], v[50:51], v[72:73] neg_lo:[0,1] neg_hi:[0,1]
	v_pk_add_f32 v[46:47], v[46:47], v[70:71] neg_lo:[0,1] neg_hi:[0,1]
	s_wait_dscnt 0x0
	v_pk_mul_f32 v[70:71], v[66:67], v[58:59] op_sel:[0,1]
	s_delay_alu instid0(VALU_DEP_1) | instskip(SKIP_2) | instid1(VALU_DEP_2)
	v_pk_fma_f32 v[72:73], v[66:67], v[56:57], v[70:71] op_sel:[0,0,1] op_sel_hi:[1,1,0] neg_lo:[0,0,1] neg_hi:[0,0,1]
	v_pk_fma_f32 v[66:67], v[66:67], v[56:57], v[70:71] op_sel:[0,0,1] op_sel_hi:[1,0,0]
	v_dual_mul_f32 v70, v69, v59 :: v_dual_mov_b32 v66, v69
	v_dual_mov_b32 v73, v67 :: v_dual_mov_b32 v67, v68
	s_delay_alu instid0(VALU_DEP_2) | instskip(SKIP_1) | instid1(VALU_DEP_3)
	v_pk_fma_f32 v[70:71], v[68:69], v[48:49], v[70:71] op_sel_hi:[1,1,0] neg_lo:[0,0,1] neg_hi:[0,0,1]
	v_mul_f32_e32 v68, v69, v56
	v_pk_add_f32 v[44:45], v[44:45], v[72:73] neg_lo:[0,1] neg_hi:[0,1]
	s_delay_alu instid0(VALU_DEP_2) | instskip(NEXT) | instid1(VALU_DEP_1)
	v_pk_fma_f32 v[66:67], v[66:67], v[48:49], v[68:69] op_sel_hi:[1,1,0]
	v_mov_b32_e32 v71, v67
	ds_load_2addr_b64 v[66:69], v60 offset0:6 offset1:7
	v_pk_add_f32 v[40:41], v[40:41], v[70:71] neg_lo:[0,1] neg_hi:[0,1]
	s_wait_dscnt 0x0
	v_pk_mul_f32 v[70:71], v[66:67], v[58:59] op_sel:[0,1]
	s_delay_alu instid0(VALU_DEP_1) | instskip(SKIP_1) | instid1(VALU_DEP_1)
	v_pk_fma_f32 v[72:73], v[66:67], v[56:57], v[70:71] op_sel:[0,0,1] op_sel_hi:[1,1,0] neg_lo:[0,0,1] neg_hi:[0,0,1]
	v_pk_fma_f32 v[66:67], v[66:67], v[56:57], v[70:71] op_sel:[0,0,1] op_sel_hi:[1,0,0]
	v_mov_b32_e32 v73, v67
	v_pk_mul_f32 v[66:67], v[68:69], v[58:59] op_sel:[0,1]
	s_delay_alu instid0(VALU_DEP_1) | instskip(SKIP_1) | instid1(VALU_DEP_1)
	v_pk_fma_f32 v[70:71], v[68:69], v[56:57], v[66:67] op_sel:[0,0,1] op_sel_hi:[1,1,0] neg_lo:[0,0,1] neg_hi:[0,0,1]
	v_pk_fma_f32 v[66:67], v[68:69], v[56:57], v[66:67] op_sel:[0,0,1] op_sel_hi:[1,0,0]
	v_mov_b32_e32 v71, v67
	ds_load_2addr_b64 v[66:69], v60 offset0:8 offset1:9
	v_pk_add_f32 v[42:43], v[42:43], v[72:73] neg_lo:[0,1] neg_hi:[0,1]
	v_pk_add_f32 v[38:39], v[38:39], v[70:71] neg_lo:[0,1] neg_hi:[0,1]
	s_wait_dscnt 0x0
	v_pk_mul_f32 v[70:71], v[66:67], v[58:59] op_sel:[0,1]
	s_delay_alu instid0(VALU_DEP_1) | instskip(SKIP_1) | instid1(VALU_DEP_1)
	v_pk_fma_f32 v[72:73], v[66:67], v[56:57], v[70:71] op_sel:[0,0,1] op_sel_hi:[1,1,0] neg_lo:[0,0,1] neg_hi:[0,0,1]
	v_pk_fma_f32 v[66:67], v[66:67], v[56:57], v[70:71] op_sel:[0,0,1] op_sel_hi:[1,0,0]
	v_mov_b32_e32 v73, v67
	v_pk_mul_f32 v[66:67], v[68:69], v[58:59] op_sel:[0,1]
	s_delay_alu instid0(VALU_DEP_1) | instskip(SKIP_1) | instid1(VALU_DEP_1)
	v_pk_fma_f32 v[70:71], v[68:69], v[56:57], v[66:67] op_sel:[0,0,1] op_sel_hi:[1,1,0] neg_lo:[0,0,1] neg_hi:[0,0,1]
	v_pk_fma_f32 v[66:67], v[68:69], v[56:57], v[66:67] op_sel:[0,0,1] op_sel_hi:[1,0,0]
	v_mov_b32_e32 v71, v67
	ds_load_2addr_b64 v[66:69], v60 offset0:10 offset1:11
	v_pk_add_f32 v[36:37], v[36:37], v[72:73] neg_lo:[0,1] neg_hi:[0,1]
	v_pk_add_f32 v[32:33], v[32:33], v[70:71] neg_lo:[0,1] neg_hi:[0,1]
	s_wait_dscnt 0x0
	v_dual_mul_f32 v70, v67, v59 :: v_dual_mul_f32 v72, v67, v56
	s_delay_alu instid0(VALU_DEP_1) | instskip(NEXT) | instid1(VALU_DEP_2)
	v_pk_fma_f32 v[70:71], v[66:67], v[48:49], v[70:71] op_sel_hi:[1,1,0] neg_lo:[0,0,1] neg_hi:[0,0,1]
	v_pk_fma_f32 v[66:67], v[66:67], v[48:49], v[72:73] op_sel:[1,0,0] op_sel_hi:[0,1,0]
	s_delay_alu instid0(VALU_DEP_1) | instskip(SKIP_1) | instid1(VALU_DEP_2)
	v_mov_b32_e32 v71, v67
	v_pk_mul_f32 v[66:67], v[68:69], v[58:59] op_sel:[0,1]
	v_pk_add_f32 v[34:35], v[34:35], v[70:71] neg_lo:[0,1] neg_hi:[0,1]
	s_delay_alu instid0(VALU_DEP_2) | instskip(SKIP_1) | instid1(VALU_DEP_1)
	v_pk_fma_f32 v[70:71], v[68:69], v[56:57], v[66:67] op_sel:[0,0,1] op_sel_hi:[1,1,0] neg_lo:[0,0,1] neg_hi:[0,0,1]
	v_pk_fma_f32 v[66:67], v[68:69], v[56:57], v[66:67] op_sel:[0,0,1] op_sel_hi:[1,0,0]
	v_mov_b32_e32 v71, v67
	ds_load_2addr_b64 v[66:69], v60 offset0:12 offset1:13
	v_pk_add_f32 v[30:31], v[30:31], v[70:71] neg_lo:[0,1] neg_hi:[0,1]
	s_wait_dscnt 0x0
	v_pk_mul_f32 v[70:71], v[66:67], v[58:59] op_sel:[0,1]
	s_delay_alu instid0(VALU_DEP_1) | instskip(SKIP_1) | instid1(VALU_DEP_1)
	v_pk_fma_f32 v[72:73], v[66:67], v[56:57], v[70:71] op_sel:[0,0,1] op_sel_hi:[1,1,0] neg_lo:[0,0,1] neg_hi:[0,0,1]
	v_pk_fma_f32 v[66:67], v[66:67], v[56:57], v[70:71] op_sel:[0,0,1] op_sel_hi:[1,0,0]
	v_mov_b32_e32 v73, v67
	v_pk_mul_f32 v[66:67], v[68:69], v[58:59] op_sel:[0,1]
	s_delay_alu instid0(VALU_DEP_2) | instskip(NEXT) | instid1(VALU_DEP_2)
	v_pk_add_f32 v[24:25], v[24:25], v[72:73] neg_lo:[0,1] neg_hi:[0,1]
	v_pk_fma_f32 v[70:71], v[68:69], v[56:57], v[66:67] op_sel:[0,0,1] op_sel_hi:[1,1,0] neg_lo:[0,0,1] neg_hi:[0,0,1]
	v_pk_fma_f32 v[66:67], v[68:69], v[56:57], v[66:67] op_sel:[0,0,1] op_sel_hi:[1,0,0]
	s_delay_alu instid0(VALU_DEP_1) | instskip(SKIP_4) | instid1(VALU_DEP_1)
	v_mov_b32_e32 v71, v67
	ds_load_2addr_b64 v[66:69], v60 offset0:14 offset1:15
	v_pk_add_f32 v[20:21], v[20:21], v[70:71] neg_lo:[0,1] neg_hi:[0,1]
	s_wait_dscnt 0x0
	v_pk_mul_f32 v[70:71], v[66:67], v[58:59] op_sel:[0,1]
	v_pk_fma_f32 v[72:73], v[66:67], v[56:57], v[70:71] op_sel:[0,0,1] op_sel_hi:[1,1,0] neg_lo:[0,0,1] neg_hi:[0,0,1]
	v_pk_fma_f32 v[66:67], v[66:67], v[56:57], v[70:71] op_sel:[0,0,1] op_sel_hi:[1,0,0]
	v_dual_mul_f32 v70, v69, v59 :: v_dual_mov_b32 v66, v69
	s_delay_alu instid0(VALU_DEP_2) | instskip(NEXT) | instid1(VALU_DEP_2)
	v_dual_mov_b32 v73, v67 :: v_dual_mov_b32 v67, v68
	v_pk_fma_f32 v[70:71], v[68:69], v[48:49], v[70:71] op_sel_hi:[1,1,0] neg_lo:[0,0,1] neg_hi:[0,0,1]
	v_mul_f32_e32 v68, v69, v56
	s_delay_alu instid0(VALU_DEP_3) | instskip(NEXT) | instid1(VALU_DEP_2)
	v_pk_add_f32 v[22:23], v[22:23], v[72:73] neg_lo:[0,1] neg_hi:[0,1]
	v_pk_fma_f32 v[66:67], v[66:67], v[48:49], v[68:69] op_sel_hi:[1,1,0]
	s_delay_alu instid0(VALU_DEP_1) | instskip(SKIP_4) | instid1(VALU_DEP_1)
	v_mov_b32_e32 v71, v67
	ds_load_2addr_b64 v[66:69], v60 offset0:16 offset1:17
	v_pk_add_f32 v[18:19], v[18:19], v[70:71] neg_lo:[0,1] neg_hi:[0,1]
	s_wait_dscnt 0x0
	v_pk_mul_f32 v[70:71], v[66:67], v[58:59] op_sel:[0,1]
	v_pk_fma_f32 v[72:73], v[66:67], v[56:57], v[70:71] op_sel:[0,0,1] op_sel_hi:[1,1,0] neg_lo:[0,0,1] neg_hi:[0,0,1]
	v_pk_fma_f32 v[66:67], v[66:67], v[56:57], v[70:71] op_sel:[0,0,1] op_sel_hi:[1,0,0]
	s_delay_alu instid0(VALU_DEP_1) | instskip(SKIP_1) | instid1(VALU_DEP_1)
	v_mov_b32_e32 v73, v67
	v_pk_mul_f32 v[66:67], v[68:69], v[58:59] op_sel:[0,1]
	v_pk_fma_f32 v[70:71], v[68:69], v[56:57], v[66:67] op_sel:[0,0,1] op_sel_hi:[1,1,0] neg_lo:[0,0,1] neg_hi:[0,0,1]
	v_pk_fma_f32 v[66:67], v[68:69], v[56:57], v[66:67] op_sel:[0,0,1] op_sel_hi:[1,0,0]
	s_delay_alu instid0(VALU_DEP_1)
	v_mov_b32_e32 v71, v67
	ds_load_2addr_b64 v[66:69], v60 offset0:18 offset1:19
	v_pk_add_f32 v[14:15], v[14:15], v[72:73] neg_lo:[0,1] neg_hi:[0,1]
	v_pk_add_f32 v[10:11], v[10:11], v[70:71] neg_lo:[0,1] neg_hi:[0,1]
	s_wait_dscnt 0x0
	v_pk_mul_f32 v[70:71], v[66:67], v[58:59] op_sel:[0,1]
	s_delay_alu instid0(VALU_DEP_1) | instskip(SKIP_1) | instid1(VALU_DEP_1)
	v_pk_fma_f32 v[72:73], v[66:67], v[56:57], v[70:71] op_sel:[0,0,1] op_sel_hi:[1,1,0] neg_lo:[0,0,1] neg_hi:[0,0,1]
	v_pk_fma_f32 v[66:67], v[66:67], v[56:57], v[70:71] op_sel:[0,0,1] op_sel_hi:[1,0,0]
	v_mov_b32_e32 v73, v67
	v_pk_mul_f32 v[66:67], v[68:69], v[58:59] op_sel:[0,1]
	s_delay_alu instid0(VALU_DEP_1) | instskip(SKIP_1) | instid1(VALU_DEP_1)
	v_pk_fma_f32 v[70:71], v[68:69], v[56:57], v[66:67] op_sel:[0,0,1] op_sel_hi:[1,1,0] neg_lo:[0,0,1] neg_hi:[0,0,1]
	v_pk_fma_f32 v[66:67], v[68:69], v[56:57], v[66:67] op_sel:[0,0,1] op_sel_hi:[1,0,0]
	v_mov_b32_e32 v71, v67
	ds_load_2addr_b64 v[66:69], v60 offset0:20 offset1:21
	v_pk_add_f32 v[12:13], v[12:13], v[72:73] neg_lo:[0,1] neg_hi:[0,1]
	v_pk_add_f32 v[8:9], v[8:9], v[70:71] neg_lo:[0,1] neg_hi:[0,1]
	s_wait_dscnt 0x0
	v_dual_mul_f32 v70, v67, v59 :: v_dual_mul_f32 v72, v67, v56
	s_delay_alu instid0(VALU_DEP_1) | instskip(NEXT) | instid1(VALU_DEP_2)
	v_pk_fma_f32 v[70:71], v[66:67], v[48:49], v[70:71] op_sel_hi:[1,1,0] neg_lo:[0,0,1] neg_hi:[0,0,1]
	v_pk_fma_f32 v[66:67], v[66:67], v[48:49], v[72:73] op_sel:[1,0,0] op_sel_hi:[0,1,0]
	s_delay_alu instid0(VALU_DEP_1) | instskip(SKIP_1) | instid1(VALU_DEP_2)
	v_mov_b32_e32 v71, v67
	v_pk_mul_f32 v[66:67], v[68:69], v[58:59] op_sel:[0,1]
	v_pk_add_f32 v[6:7], v[6:7], v[70:71] neg_lo:[0,1] neg_hi:[0,1]
	s_delay_alu instid0(VALU_DEP_2) | instskip(SKIP_1) | instid1(VALU_DEP_1)
	v_pk_fma_f32 v[70:71], v[68:69], v[56:57], v[66:67] op_sel:[0,0,1] op_sel_hi:[1,1,0] neg_lo:[0,0,1] neg_hi:[0,0,1]
	v_pk_fma_f32 v[66:67], v[68:69], v[56:57], v[66:67] op_sel:[0,0,1] op_sel_hi:[1,0,0]
	v_mov_b32_e32 v71, v67
	ds_load_2addr_b64 v[66:69], v60 offset0:22 offset1:23
	v_pk_add_f32 v[28:29], v[28:29], v[70:71] neg_lo:[0,1] neg_hi:[0,1]
	s_wait_dscnt 0x0
	v_pk_mul_f32 v[70:71], v[66:67], v[58:59] op_sel:[0,1]
	s_delay_alu instid0(VALU_DEP_1) | instskip(SKIP_1) | instid1(VALU_DEP_1)
	v_pk_fma_f32 v[72:73], v[66:67], v[56:57], v[70:71] op_sel:[0,0,1] op_sel_hi:[1,1,0] neg_lo:[0,0,1] neg_hi:[0,0,1]
	v_pk_fma_f32 v[66:67], v[66:67], v[56:57], v[70:71] op_sel:[0,0,1] op_sel_hi:[1,0,0]
	v_mov_b32_e32 v73, v67
	v_pk_mul_f32 v[66:67], v[68:69], v[58:59] op_sel:[0,1]
	s_delay_alu instid0(VALU_DEP_2) | instskip(NEXT) | instid1(VALU_DEP_2)
	v_pk_add_f32 v[26:27], v[26:27], v[72:73] neg_lo:[0,1] neg_hi:[0,1]
	v_pk_fma_f32 v[70:71], v[68:69], v[56:57], v[66:67] op_sel:[0,0,1] op_sel_hi:[1,1,0] neg_lo:[0,0,1] neg_hi:[0,0,1]
	v_pk_fma_f32 v[66:67], v[68:69], v[56:57], v[66:67] op_sel:[0,0,1] op_sel_hi:[1,0,0]
	s_delay_alu instid0(VALU_DEP_1) | instskip(SKIP_4) | instid1(VALU_DEP_1)
	v_mov_b32_e32 v71, v67
	ds_load_b64 v[66:67], v60 offset:192
	v_pk_add_f32 v[16:17], v[16:17], v[70:71] neg_lo:[0,1] neg_hi:[0,1]
	s_wait_dscnt 0x0
	v_pk_mul_f32 v[58:59], v[66:67], v[58:59] op_sel:[0,1]
	v_pk_fma_f32 v[68:69], v[66:67], v[56:57], v[58:59] op_sel:[0,0,1] op_sel_hi:[1,1,0] neg_lo:[0,0,1] neg_hi:[0,0,1]
	v_pk_fma_f32 v[56:57], v[66:67], v[56:57], v[58:59] op_sel:[0,0,1] op_sel_hi:[1,0,0]
	s_delay_alu instid0(VALU_DEP_1) | instskip(NEXT) | instid1(VALU_DEP_1)
	v_mov_b32_e32 v69, v57
	v_pk_add_f32 v[54:55], v[54:55], v[68:69] neg_lo:[0,1] neg_hi:[0,1]
.LBB48_41:
	s_or_b32 exec_lo, exec_lo, s0
	v_lshl_add_u32 v56, v64, 3, v60
	s_barrier_signal -1
	s_barrier_wait -1
	ds_store_b64 v56, v[50:51]
	s_wait_dscnt 0x0
	s_barrier_signal -1
	s_barrier_wait -1
	ds_load_b64 v[58:59], v60 offset:16
	v_mov_b32_e32 v56, 2
	s_cmp_lt_i32 s18, 4
	s_mov_b32 s0, 3
	s_cbranch_scc1 .LBB48_44
; %bb.42:
	v_add3_u32 v57, v61, 0, 24
	v_mov_b32_e32 v56, 2
.LBB48_43:                              ; =>This Inner Loop Header: Depth=1
	ds_load_b64 v[66:67], v57
	s_wait_dscnt 0x1
	v_cmp_gt_f32_e32 vcc_lo, 0, v58
	v_cndmask_b32_e64 v68, v58, -v58, vcc_lo
	v_cmp_gt_f32_e32 vcc_lo, 0, v59
	v_cndmask_b32_e64 v70, v59, -v59, vcc_lo
	s_wait_dscnt 0x0
	v_cmp_gt_f32_e32 vcc_lo, 0, v66
	v_cndmask_b32_e64 v69, v66, -v66, vcc_lo
	v_cmp_gt_f32_e32 vcc_lo, 0, v67
	v_cndmask_b32_e64 v71, v67, -v67, vcc_lo
	s_delay_alu instid0(VALU_DEP_1) | instskip(NEXT) | instid1(VALU_DEP_1)
	v_pk_add_f32 v[68:69], v[68:69], v[70:71]
	v_cmp_lt_f32_e32 vcc_lo, v68, v69
	v_dual_add_nc_u32 v57, 8, v57 :: v_dual_cndmask_b32 v59, v59, v67, vcc_lo
	v_cndmask_b32_e32 v58, v58, v66, vcc_lo
	v_cndmask_b32_e64 v56, v56, s0, vcc_lo
	s_add_co_i32 s0, s0, 1
	s_delay_alu instid0(SALU_CYCLE_1)
	s_cmp_lg_u32 s18, s0
	s_cbranch_scc1 .LBB48_43
.LBB48_44:
	s_wait_dscnt 0x0
	v_cmp_eq_f32_e32 vcc_lo, 0, v58
	v_cmp_eq_f32_e64 s0, 0, v59
	s_and_b32 s0, vcc_lo, s0
	s_delay_alu instid0(SALU_CYCLE_1) | instskip(NEXT) | instid1(SALU_CYCLE_1)
	s_and_saveexec_b32 s1, s0
	s_xor_b32 s0, exec_lo, s1
; %bb.45:
	v_cmp_ne_u32_e32 vcc_lo, 0, v63
	v_cndmask_b32_e32 v63, 3, v63, vcc_lo
; %bb.46:
	s_and_not1_saveexec_b32 s0, s0
	s_cbranch_execz .LBB48_52
; %bb.47:
	v_cmp_ngt_f32_e64 s1, |v58|, |v59|
	s_and_saveexec_b32 s12, s1
	s_delay_alu instid0(SALU_CYCLE_1)
	s_xor_b32 s1, exec_lo, s12
	s_cbranch_execz .LBB48_49
; %bb.48:
	v_div_scale_f32 v57, null, v59, v59, v58
	v_div_scale_f32 v67, vcc_lo, v58, v59, v58
	s_delay_alu instid0(VALU_DEP_2) | instskip(SKIP_1) | instid1(TRANS32_DEP_1)
	v_rcp_f32_e32 v65, v57
	v_nop
	v_fma_f32 v66, -v57, v65, 1.0
	s_delay_alu instid0(VALU_DEP_1) | instskip(NEXT) | instid1(VALU_DEP_1)
	v_fmac_f32_e32 v65, v66, v65
	v_mul_f32_e32 v66, v67, v65
	s_delay_alu instid0(VALU_DEP_1) | instskip(NEXT) | instid1(VALU_DEP_1)
	v_fma_f32 v68, -v57, v66, v67
	v_fmac_f32_e32 v66, v68, v65
	s_delay_alu instid0(VALU_DEP_1) | instskip(NEXT) | instid1(VALU_DEP_1)
	v_fma_f32 v57, -v57, v66, v67
	v_div_fmas_f32 v57, v57, v65, v66
	s_delay_alu instid0(VALU_DEP_1) | instskip(NEXT) | instid1(VALU_DEP_1)
	v_div_fixup_f32 v57, v57, v59, v58
	v_fmac_f32_e32 v59, v58, v57
	s_delay_alu instid0(VALU_DEP_1) | instskip(SKIP_1) | instid1(VALU_DEP_2)
	v_div_scale_f32 v58, null, v59, v59, 1.0
	v_div_scale_f32 v67, vcc_lo, 1.0, v59, 1.0
	v_rcp_f32_e32 v65, v58
	v_nop
	s_delay_alu instid0(TRANS32_DEP_1) | instskip(NEXT) | instid1(VALU_DEP_1)
	v_fma_f32 v66, -v58, v65, 1.0
	v_fmac_f32_e32 v65, v66, v65
	s_delay_alu instid0(VALU_DEP_1) | instskip(NEXT) | instid1(VALU_DEP_1)
	v_mul_f32_e32 v66, v67, v65
	v_fma_f32 v68, -v58, v66, v67
	s_delay_alu instid0(VALU_DEP_1) | instskip(NEXT) | instid1(VALU_DEP_1)
	v_fmac_f32_e32 v66, v68, v65
	v_fma_f32 v58, -v58, v66, v67
	s_delay_alu instid0(VALU_DEP_1) | instskip(NEXT) | instid1(VALU_DEP_1)
	v_div_fmas_f32 v58, v58, v65, v66
	v_div_fixup_f32 v59, v58, v59, 1.0
	s_delay_alu instid0(VALU_DEP_1)
	v_mul_f32_e32 v58, v57, v59
	v_xor_b32_e32 v59, 0x80000000, v59
.LBB48_49:
	s_and_not1_saveexec_b32 s1, s1
	s_cbranch_execz .LBB48_51
; %bb.50:
	s_delay_alu instid0(VALU_DEP_1) | instskip(SKIP_1) | instid1(VALU_DEP_2)
	v_div_scale_f32 v57, null, v58, v58, v59
	v_div_scale_f32 v67, vcc_lo, v59, v58, v59
	v_rcp_f32_e32 v65, v57
	v_nop
	s_delay_alu instid0(TRANS32_DEP_1) | instskip(NEXT) | instid1(VALU_DEP_1)
	v_fma_f32 v66, -v57, v65, 1.0
	v_fmac_f32_e32 v65, v66, v65
	s_delay_alu instid0(VALU_DEP_1) | instskip(NEXT) | instid1(VALU_DEP_1)
	v_mul_f32_e32 v66, v67, v65
	v_fma_f32 v68, -v57, v66, v67
	s_delay_alu instid0(VALU_DEP_1) | instskip(NEXT) | instid1(VALU_DEP_1)
	v_fmac_f32_e32 v66, v68, v65
	v_fma_f32 v57, -v57, v66, v67
	s_delay_alu instid0(VALU_DEP_1) | instskip(NEXT) | instid1(VALU_DEP_1)
	v_div_fmas_f32 v57, v57, v65, v66
	v_div_fixup_f32 v57, v57, v58, v59
	s_delay_alu instid0(VALU_DEP_1) | instskip(NEXT) | instid1(VALU_DEP_1)
	v_fmac_f32_e32 v58, v59, v57
	v_div_scale_f32 v59, null, v58, v58, 1.0
	s_delay_alu instid0(VALU_DEP_1) | instskip(SKIP_1) | instid1(TRANS32_DEP_1)
	v_rcp_f32_e32 v65, v59
	v_nop
	v_fma_f32 v66, -v59, v65, 1.0
	s_delay_alu instid0(VALU_DEP_1) | instskip(SKIP_1) | instid1(VALU_DEP_1)
	v_fmac_f32_e32 v65, v66, v65
	v_div_scale_f32 v66, vcc_lo, 1.0, v58, 1.0
	v_mul_f32_e32 v67, v66, v65
	s_delay_alu instid0(VALU_DEP_1) | instskip(NEXT) | instid1(VALU_DEP_1)
	v_fma_f32 v68, -v59, v67, v66
	v_fmac_f32_e32 v67, v68, v65
	s_delay_alu instid0(VALU_DEP_1) | instskip(NEXT) | instid1(VALU_DEP_1)
	v_fma_f32 v59, -v59, v67, v66
	v_div_fmas_f32 v59, v59, v65, v67
	s_delay_alu instid0(VALU_DEP_1) | instskip(NEXT) | instid1(VALU_DEP_1)
	v_div_fixup_f32 v58, v59, v58, 1.0
	v_mul_f32_e64 v59, v57, -v58
.LBB48_51:
	s_or_b32 exec_lo, exec_lo, s1
.LBB48_52:
	s_delay_alu instid0(SALU_CYCLE_1) | instskip(NEXT) | instid1(SALU_CYCLE_1)
	s_or_b32 exec_lo, exec_lo, s0
	s_mov_b32 s0, exec_lo
	v_cmpx_ne_u32_e64 v64, v56
	s_xor_b32 s0, exec_lo, s0
	s_cbranch_execz .LBB48_58
; %bb.53:
	s_mov_b32 s1, exec_lo
	v_cmpx_eq_u32_e32 2, v64
	s_cbranch_execz .LBB48_57
; %bb.54:
	v_cmp_ne_u32_e32 vcc_lo, 2, v56
	s_xor_b32 s12, s16, -1
	s_delay_alu instid0(SALU_CYCLE_1) | instskip(NEXT) | instid1(SALU_CYCLE_1)
	s_and_b32 s13, s12, vcc_lo
	s_and_saveexec_b32 s12, s13
	s_cbranch_execz .LBB48_56
; %bb.55:
	v_ashrrev_i32_e32 v57, 31, v56
	s_delay_alu instid0(VALU_DEP_1)
	v_lshl_add_u64 v[64:65], v[56:57], 2, v[4:5]
	s_clause 0x1
	global_load_b32 v57, v[64:65], off
	global_load_b32 v62, v[4:5], off offset:8
	s_wait_loadcnt 0x1
	global_store_b32 v[4:5], v57, off offset:8
	s_wait_loadcnt 0x0
	global_store_b32 v[64:65], v62, off
.LBB48_56:
	s_wait_xcnt 0x0
	s_or_b32 exec_lo, exec_lo, s12
	v_dual_mov_b32 v64, v56 :: v_dual_mov_b32 v62, v56
.LBB48_57:
	s_or_b32 exec_lo, exec_lo, s1
.LBB48_58:
	s_and_not1_saveexec_b32 s0, s0
	s_cbranch_execz .LBB48_60
; %bb.59:
	v_mov_b32_e32 v64, 2
	ds_store_2addr_b64 v60, v[46:47], v[44:45] offset0:3 offset1:4
	ds_store_2addr_b64 v60, v[40:41], v[42:43] offset0:5 offset1:6
	;; [unrolled: 1-line block ×11, first 2 shown]
.LBB48_60:
	s_or_b32 exec_lo, exec_lo, s0
	s_delay_alu instid0(SALU_CYCLE_1)
	s_mov_b32 s0, exec_lo
	s_wait_storecnt_dscnt 0x0
	s_barrier_signal -1
	s_barrier_wait -1
	v_cmpx_lt_i32_e32 2, v64
	s_cbranch_execz .LBB48_62
; %bb.61:
	v_pk_mul_f32 v[66:67], v[58:59], v[50:51] op_sel:[1,1] op_sel_hi:[0,1]
	s_delay_alu instid0(VALU_DEP_1)
	v_pk_fma_f32 v[56:57], v[58:59], v[50:51], v[66:67] op_sel_hi:[1,0,1] neg_lo:[0,0,1] neg_hi:[0,0,1]
	v_pk_fma_f32 v[58:59], v[58:59], v[50:51], v[66:67] op_sel_hi:[1,0,1]
	ds_load_2addr_b64 v[66:69], v60 offset0:3 offset1:4
	v_dual_mov_b32 v50, v56 :: v_dual_mov_b32 v51, v59
	s_wait_dscnt 0x0
	v_pk_mul_f32 v[70:71], v[66:67], v[58:59] op_sel:[0,1]
	s_delay_alu instid0(VALU_DEP_1) | instskip(SKIP_1) | instid1(VALU_DEP_1)
	v_pk_fma_f32 v[72:73], v[66:67], v[56:57], v[70:71] op_sel:[0,0,1] op_sel_hi:[1,1,0] neg_lo:[0,0,1] neg_hi:[0,0,1]
	v_pk_fma_f32 v[66:67], v[66:67], v[56:57], v[70:71] op_sel:[0,0,1] op_sel_hi:[1,0,0]
	v_mov_b32_e32 v73, v67
	v_pk_mul_f32 v[66:67], v[68:69], v[58:59] op_sel:[0,1]
	s_delay_alu instid0(VALU_DEP_1) | instskip(SKIP_1) | instid1(VALU_DEP_1)
	v_pk_fma_f32 v[70:71], v[68:69], v[56:57], v[66:67] op_sel:[0,0,1] op_sel_hi:[1,1,0] neg_lo:[0,0,1] neg_hi:[0,0,1]
	v_pk_fma_f32 v[66:67], v[68:69], v[56:57], v[66:67] op_sel:[0,0,1] op_sel_hi:[1,0,0]
	v_mov_b32_e32 v71, v67
	ds_load_2addr_b64 v[66:69], v60 offset0:5 offset1:6
	v_pk_add_f32 v[46:47], v[46:47], v[72:73] neg_lo:[0,1] neg_hi:[0,1]
	v_pk_add_f32 v[44:45], v[44:45], v[70:71] neg_lo:[0,1] neg_hi:[0,1]
	s_wait_dscnt 0x0
	v_pk_mul_f32 v[70:71], v[66:67], v[58:59] op_sel:[0,1]
	s_delay_alu instid0(VALU_DEP_1) | instskip(SKIP_2) | instid1(VALU_DEP_2)
	v_pk_fma_f32 v[72:73], v[66:67], v[56:57], v[70:71] op_sel:[0,0,1] op_sel_hi:[1,1,0] neg_lo:[0,0,1] neg_hi:[0,0,1]
	v_pk_fma_f32 v[66:67], v[66:67], v[56:57], v[70:71] op_sel:[0,0,1] op_sel_hi:[1,0,0]
	v_dual_mul_f32 v70, v69, v59 :: v_dual_mov_b32 v66, v69
	v_dual_mov_b32 v73, v67 :: v_dual_mov_b32 v67, v68
	s_delay_alu instid0(VALU_DEP_2) | instskip(SKIP_1) | instid1(VALU_DEP_3)
	v_pk_fma_f32 v[70:71], v[68:69], v[50:51], v[70:71] op_sel_hi:[1,1,0] neg_lo:[0,0,1] neg_hi:[0,0,1]
	v_mul_f32_e32 v68, v69, v56
	v_pk_add_f32 v[40:41], v[40:41], v[72:73] neg_lo:[0,1] neg_hi:[0,1]
	s_delay_alu instid0(VALU_DEP_2) | instskip(NEXT) | instid1(VALU_DEP_1)
	v_pk_fma_f32 v[66:67], v[66:67], v[50:51], v[68:69] op_sel_hi:[1,1,0]
	v_mov_b32_e32 v71, v67
	ds_load_2addr_b64 v[66:69], v60 offset0:7 offset1:8
	v_pk_add_f32 v[42:43], v[42:43], v[70:71] neg_lo:[0,1] neg_hi:[0,1]
	s_wait_dscnt 0x0
	v_pk_mul_f32 v[70:71], v[66:67], v[58:59] op_sel:[0,1]
	s_delay_alu instid0(VALU_DEP_1) | instskip(SKIP_1) | instid1(VALU_DEP_1)
	v_pk_fma_f32 v[72:73], v[66:67], v[56:57], v[70:71] op_sel:[0,0,1] op_sel_hi:[1,1,0] neg_lo:[0,0,1] neg_hi:[0,0,1]
	v_pk_fma_f32 v[66:67], v[66:67], v[56:57], v[70:71] op_sel:[0,0,1] op_sel_hi:[1,0,0]
	v_mov_b32_e32 v73, v67
	v_pk_mul_f32 v[66:67], v[68:69], v[58:59] op_sel:[0,1]
	s_delay_alu instid0(VALU_DEP_1) | instskip(SKIP_1) | instid1(VALU_DEP_1)
	v_pk_fma_f32 v[70:71], v[68:69], v[56:57], v[66:67] op_sel:[0,0,1] op_sel_hi:[1,1,0] neg_lo:[0,0,1] neg_hi:[0,0,1]
	v_pk_fma_f32 v[66:67], v[68:69], v[56:57], v[66:67] op_sel:[0,0,1] op_sel_hi:[1,0,0]
	v_mov_b32_e32 v71, v67
	ds_load_2addr_b64 v[66:69], v60 offset0:9 offset1:10
	v_pk_add_f32 v[38:39], v[38:39], v[72:73] neg_lo:[0,1] neg_hi:[0,1]
	v_pk_add_f32 v[36:37], v[36:37], v[70:71] neg_lo:[0,1] neg_hi:[0,1]
	s_wait_dscnt 0x0
	v_pk_mul_f32 v[70:71], v[66:67], v[58:59] op_sel:[0,1]
	s_delay_alu instid0(VALU_DEP_1) | instskip(SKIP_1) | instid1(VALU_DEP_1)
	v_pk_fma_f32 v[72:73], v[66:67], v[56:57], v[70:71] op_sel:[0,0,1] op_sel_hi:[1,1,0] neg_lo:[0,0,1] neg_hi:[0,0,1]
	v_pk_fma_f32 v[66:67], v[66:67], v[56:57], v[70:71] op_sel:[0,0,1] op_sel_hi:[1,0,0]
	v_mov_b32_e32 v73, v67
	v_pk_mul_f32 v[66:67], v[68:69], v[58:59] op_sel:[0,1]
	s_delay_alu instid0(VALU_DEP_1) | instskip(SKIP_1) | instid1(VALU_DEP_1)
	v_pk_fma_f32 v[70:71], v[68:69], v[56:57], v[66:67] op_sel:[0,0,1] op_sel_hi:[1,1,0] neg_lo:[0,0,1] neg_hi:[0,0,1]
	v_pk_fma_f32 v[66:67], v[68:69], v[56:57], v[66:67] op_sel:[0,0,1] op_sel_hi:[1,0,0]
	v_mov_b32_e32 v71, v67
	ds_load_2addr_b64 v[66:69], v60 offset0:11 offset1:12
	v_pk_add_f32 v[32:33], v[32:33], v[72:73] neg_lo:[0,1] neg_hi:[0,1]
	v_pk_add_f32 v[34:35], v[34:35], v[70:71] neg_lo:[0,1] neg_hi:[0,1]
	s_wait_dscnt 0x0
	v_dual_mul_f32 v70, v67, v59 :: v_dual_mul_f32 v72, v67, v56
	s_delay_alu instid0(VALU_DEP_1) | instskip(NEXT) | instid1(VALU_DEP_2)
	v_pk_fma_f32 v[70:71], v[66:67], v[50:51], v[70:71] op_sel_hi:[1,1,0] neg_lo:[0,0,1] neg_hi:[0,0,1]
	v_pk_fma_f32 v[66:67], v[66:67], v[50:51], v[72:73] op_sel:[1,0,0] op_sel_hi:[0,1,0]
	s_delay_alu instid0(VALU_DEP_1) | instskip(SKIP_1) | instid1(VALU_DEP_2)
	v_mov_b32_e32 v71, v67
	v_pk_mul_f32 v[66:67], v[68:69], v[58:59] op_sel:[0,1]
	v_pk_add_f32 v[30:31], v[30:31], v[70:71] neg_lo:[0,1] neg_hi:[0,1]
	s_delay_alu instid0(VALU_DEP_2) | instskip(SKIP_1) | instid1(VALU_DEP_1)
	v_pk_fma_f32 v[70:71], v[68:69], v[56:57], v[66:67] op_sel:[0,0,1] op_sel_hi:[1,1,0] neg_lo:[0,0,1] neg_hi:[0,0,1]
	v_pk_fma_f32 v[66:67], v[68:69], v[56:57], v[66:67] op_sel:[0,0,1] op_sel_hi:[1,0,0]
	v_mov_b32_e32 v71, v67
	ds_load_2addr_b64 v[66:69], v60 offset0:13 offset1:14
	v_pk_add_f32 v[24:25], v[24:25], v[70:71] neg_lo:[0,1] neg_hi:[0,1]
	s_wait_dscnt 0x0
	v_pk_mul_f32 v[70:71], v[66:67], v[58:59] op_sel:[0,1]
	s_delay_alu instid0(VALU_DEP_1) | instskip(SKIP_1) | instid1(VALU_DEP_1)
	v_pk_fma_f32 v[72:73], v[66:67], v[56:57], v[70:71] op_sel:[0,0,1] op_sel_hi:[1,1,0] neg_lo:[0,0,1] neg_hi:[0,0,1]
	v_pk_fma_f32 v[66:67], v[66:67], v[56:57], v[70:71] op_sel:[0,0,1] op_sel_hi:[1,0,0]
	v_mov_b32_e32 v73, v67
	v_pk_mul_f32 v[66:67], v[68:69], v[58:59] op_sel:[0,1]
	s_delay_alu instid0(VALU_DEP_2) | instskip(NEXT) | instid1(VALU_DEP_2)
	v_pk_add_f32 v[20:21], v[20:21], v[72:73] neg_lo:[0,1] neg_hi:[0,1]
	v_pk_fma_f32 v[70:71], v[68:69], v[56:57], v[66:67] op_sel:[0,0,1] op_sel_hi:[1,1,0] neg_lo:[0,0,1] neg_hi:[0,0,1]
	v_pk_fma_f32 v[66:67], v[68:69], v[56:57], v[66:67] op_sel:[0,0,1] op_sel_hi:[1,0,0]
	s_delay_alu instid0(VALU_DEP_1) | instskip(SKIP_4) | instid1(VALU_DEP_1)
	v_mov_b32_e32 v71, v67
	ds_load_2addr_b64 v[66:69], v60 offset0:15 offset1:16
	v_pk_add_f32 v[22:23], v[22:23], v[70:71] neg_lo:[0,1] neg_hi:[0,1]
	s_wait_dscnt 0x0
	v_pk_mul_f32 v[70:71], v[66:67], v[58:59] op_sel:[0,1]
	v_pk_fma_f32 v[72:73], v[66:67], v[56:57], v[70:71] op_sel:[0,0,1] op_sel_hi:[1,1,0] neg_lo:[0,0,1] neg_hi:[0,0,1]
	v_pk_fma_f32 v[66:67], v[66:67], v[56:57], v[70:71] op_sel:[0,0,1] op_sel_hi:[1,0,0]
	v_dual_mul_f32 v70, v69, v59 :: v_dual_mov_b32 v66, v69
	s_delay_alu instid0(VALU_DEP_2) | instskip(NEXT) | instid1(VALU_DEP_2)
	v_dual_mov_b32 v73, v67 :: v_dual_mov_b32 v67, v68
	v_pk_fma_f32 v[70:71], v[68:69], v[50:51], v[70:71] op_sel_hi:[1,1,0] neg_lo:[0,0,1] neg_hi:[0,0,1]
	v_mul_f32_e32 v68, v69, v56
	s_delay_alu instid0(VALU_DEP_3) | instskip(NEXT) | instid1(VALU_DEP_2)
	v_pk_add_f32 v[18:19], v[18:19], v[72:73] neg_lo:[0,1] neg_hi:[0,1]
	v_pk_fma_f32 v[66:67], v[66:67], v[50:51], v[68:69] op_sel_hi:[1,1,0]
	s_delay_alu instid0(VALU_DEP_1) | instskip(SKIP_4) | instid1(VALU_DEP_1)
	v_mov_b32_e32 v71, v67
	ds_load_2addr_b64 v[66:69], v60 offset0:17 offset1:18
	v_pk_add_f32 v[14:15], v[14:15], v[70:71] neg_lo:[0,1] neg_hi:[0,1]
	s_wait_dscnt 0x0
	v_pk_mul_f32 v[70:71], v[66:67], v[58:59] op_sel:[0,1]
	v_pk_fma_f32 v[72:73], v[66:67], v[56:57], v[70:71] op_sel:[0,0,1] op_sel_hi:[1,1,0] neg_lo:[0,0,1] neg_hi:[0,0,1]
	v_pk_fma_f32 v[66:67], v[66:67], v[56:57], v[70:71] op_sel:[0,0,1] op_sel_hi:[1,0,0]
	s_delay_alu instid0(VALU_DEP_1) | instskip(SKIP_1) | instid1(VALU_DEP_1)
	v_mov_b32_e32 v73, v67
	v_pk_mul_f32 v[66:67], v[68:69], v[58:59] op_sel:[0,1]
	v_pk_fma_f32 v[70:71], v[68:69], v[56:57], v[66:67] op_sel:[0,0,1] op_sel_hi:[1,1,0] neg_lo:[0,0,1] neg_hi:[0,0,1]
	v_pk_fma_f32 v[66:67], v[68:69], v[56:57], v[66:67] op_sel:[0,0,1] op_sel_hi:[1,0,0]
	s_delay_alu instid0(VALU_DEP_1)
	v_mov_b32_e32 v71, v67
	ds_load_2addr_b64 v[66:69], v60 offset0:19 offset1:20
	v_pk_add_f32 v[10:11], v[10:11], v[72:73] neg_lo:[0,1] neg_hi:[0,1]
	v_pk_add_f32 v[12:13], v[12:13], v[70:71] neg_lo:[0,1] neg_hi:[0,1]
	s_wait_dscnt 0x0
	v_pk_mul_f32 v[70:71], v[66:67], v[58:59] op_sel:[0,1]
	s_delay_alu instid0(VALU_DEP_1) | instskip(SKIP_1) | instid1(VALU_DEP_1)
	v_pk_fma_f32 v[72:73], v[66:67], v[56:57], v[70:71] op_sel:[0,0,1] op_sel_hi:[1,1,0] neg_lo:[0,0,1] neg_hi:[0,0,1]
	v_pk_fma_f32 v[66:67], v[66:67], v[56:57], v[70:71] op_sel:[0,0,1] op_sel_hi:[1,0,0]
	v_mov_b32_e32 v73, v67
	v_pk_mul_f32 v[66:67], v[68:69], v[58:59] op_sel:[0,1]
	s_delay_alu instid0(VALU_DEP_1) | instskip(SKIP_1) | instid1(VALU_DEP_1)
	v_pk_fma_f32 v[70:71], v[68:69], v[56:57], v[66:67] op_sel:[0,0,1] op_sel_hi:[1,1,0] neg_lo:[0,0,1] neg_hi:[0,0,1]
	v_pk_fma_f32 v[66:67], v[68:69], v[56:57], v[66:67] op_sel:[0,0,1] op_sel_hi:[1,0,0]
	v_mov_b32_e32 v71, v67
	ds_load_2addr_b64 v[66:69], v60 offset0:21 offset1:22
	v_pk_add_f32 v[8:9], v[8:9], v[72:73] neg_lo:[0,1] neg_hi:[0,1]
	v_pk_add_f32 v[6:7], v[6:7], v[70:71] neg_lo:[0,1] neg_hi:[0,1]
	s_wait_dscnt 0x0
	v_dual_mul_f32 v70, v67, v59 :: v_dual_mul_f32 v72, v67, v56
	s_delay_alu instid0(VALU_DEP_1) | instskip(NEXT) | instid1(VALU_DEP_2)
	v_pk_fma_f32 v[70:71], v[66:67], v[50:51], v[70:71] op_sel_hi:[1,1,0] neg_lo:[0,0,1] neg_hi:[0,0,1]
	v_pk_fma_f32 v[66:67], v[66:67], v[50:51], v[72:73] op_sel:[1,0,0] op_sel_hi:[0,1,0]
	s_delay_alu instid0(VALU_DEP_1) | instskip(SKIP_1) | instid1(VALU_DEP_2)
	v_mov_b32_e32 v71, v67
	v_pk_mul_f32 v[66:67], v[68:69], v[58:59] op_sel:[0,1]
	v_pk_add_f32 v[28:29], v[28:29], v[70:71] neg_lo:[0,1] neg_hi:[0,1]
	s_delay_alu instid0(VALU_DEP_2) | instskip(SKIP_1) | instid1(VALU_DEP_1)
	v_pk_fma_f32 v[70:71], v[68:69], v[56:57], v[66:67] op_sel:[0,0,1] op_sel_hi:[1,1,0] neg_lo:[0,0,1] neg_hi:[0,0,1]
	v_pk_fma_f32 v[66:67], v[68:69], v[56:57], v[66:67] op_sel:[0,0,1] op_sel_hi:[1,0,0]
	v_mov_b32_e32 v71, v67
	ds_load_2addr_b64 v[66:69], v60 offset0:23 offset1:24
	v_pk_add_f32 v[26:27], v[26:27], v[70:71] neg_lo:[0,1] neg_hi:[0,1]
	s_wait_dscnt 0x0
	v_pk_mul_f32 v[70:71], v[66:67], v[58:59] op_sel:[0,1]
	v_pk_mul_f32 v[58:59], v[68:69], v[58:59] op_sel:[0,1]
	s_delay_alu instid0(VALU_DEP_2) | instskip(SKIP_1) | instid1(VALU_DEP_1)
	v_pk_fma_f32 v[72:73], v[66:67], v[56:57], v[70:71] op_sel:[0,0,1] op_sel_hi:[1,1,0] neg_lo:[0,0,1] neg_hi:[0,0,1]
	v_pk_fma_f32 v[66:67], v[66:67], v[56:57], v[70:71] op_sel:[0,0,1] op_sel_hi:[1,0,0]
	v_mov_b32_e32 v73, v67
	s_delay_alu instid0(VALU_DEP_4) | instskip(SKIP_1) | instid1(VALU_DEP_3)
	v_pk_fma_f32 v[66:67], v[68:69], v[56:57], v[58:59] op_sel:[0,0,1] op_sel_hi:[1,1,0] neg_lo:[0,0,1] neg_hi:[0,0,1]
	v_pk_fma_f32 v[56:57], v[68:69], v[56:57], v[58:59] op_sel:[0,0,1] op_sel_hi:[1,0,0]
	v_pk_add_f32 v[16:17], v[16:17], v[72:73] neg_lo:[0,1] neg_hi:[0,1]
	s_delay_alu instid0(VALU_DEP_2) | instskip(NEXT) | instid1(VALU_DEP_1)
	v_mov_b32_e32 v67, v57
	v_pk_add_f32 v[54:55], v[54:55], v[66:67] neg_lo:[0,1] neg_hi:[0,1]
.LBB48_62:
	s_or_b32 exec_lo, exec_lo, s0
	v_lshl_add_u32 v56, v64, 3, v60
	s_barrier_signal -1
	s_barrier_wait -1
	ds_store_b64 v56, v[46:47]
	s_wait_dscnt 0x0
	s_barrier_signal -1
	s_barrier_wait -1
	ds_load_b64 v[58:59], v60 offset:24
	v_mov_b32_e32 v56, 3
	s_cmp_lt_i32 s18, 5
	s_cbranch_scc1 .LBB48_65
; %bb.63:
	v_mov_b32_e32 v56, 3
	v_add3_u32 v57, v61, 0, 32
	s_mov_b32 s0, 4
.LBB48_64:                              ; =>This Inner Loop Header: Depth=1
	ds_load_b64 v[66:67], v57
	s_wait_dscnt 0x1
	v_cmp_gt_f32_e32 vcc_lo, 0, v58
	v_cndmask_b32_e64 v68, v58, -v58, vcc_lo
	v_cmp_gt_f32_e32 vcc_lo, 0, v59
	v_cndmask_b32_e64 v70, v59, -v59, vcc_lo
	s_wait_dscnt 0x0
	v_cmp_gt_f32_e32 vcc_lo, 0, v66
	v_cndmask_b32_e64 v69, v66, -v66, vcc_lo
	v_cmp_gt_f32_e32 vcc_lo, 0, v67
	v_cndmask_b32_e64 v71, v67, -v67, vcc_lo
	s_delay_alu instid0(VALU_DEP_1) | instskip(NEXT) | instid1(VALU_DEP_1)
	v_pk_add_f32 v[68:69], v[68:69], v[70:71]
	v_cmp_lt_f32_e32 vcc_lo, v68, v69
	v_dual_add_nc_u32 v57, 8, v57 :: v_dual_cndmask_b32 v59, v59, v67, vcc_lo
	v_cndmask_b32_e32 v58, v58, v66, vcc_lo
	v_cndmask_b32_e64 v56, v56, s0, vcc_lo
	s_add_co_i32 s0, s0, 1
	s_delay_alu instid0(SALU_CYCLE_1)
	s_cmp_lg_u32 s18, s0
	s_cbranch_scc1 .LBB48_64
.LBB48_65:
	s_wait_dscnt 0x0
	v_cmp_eq_f32_e32 vcc_lo, 0, v58
	v_cmp_eq_f32_e64 s0, 0, v59
	s_and_b32 s0, vcc_lo, s0
	s_delay_alu instid0(SALU_CYCLE_1) | instskip(NEXT) | instid1(SALU_CYCLE_1)
	s_and_saveexec_b32 s1, s0
	s_xor_b32 s0, exec_lo, s1
; %bb.66:
	v_cmp_ne_u32_e32 vcc_lo, 0, v63
	v_cndmask_b32_e32 v63, 4, v63, vcc_lo
; %bb.67:
	s_and_not1_saveexec_b32 s0, s0
	s_cbranch_execz .LBB48_73
; %bb.68:
	v_cmp_ngt_f32_e64 s1, |v58|, |v59|
	s_and_saveexec_b32 s12, s1
	s_delay_alu instid0(SALU_CYCLE_1)
	s_xor_b32 s1, exec_lo, s12
	s_cbranch_execz .LBB48_70
; %bb.69:
	v_div_scale_f32 v57, null, v59, v59, v58
	v_div_scale_f32 v67, vcc_lo, v58, v59, v58
	s_delay_alu instid0(VALU_DEP_2) | instskip(SKIP_1) | instid1(TRANS32_DEP_1)
	v_rcp_f32_e32 v65, v57
	v_nop
	v_fma_f32 v66, -v57, v65, 1.0
	s_delay_alu instid0(VALU_DEP_1) | instskip(NEXT) | instid1(VALU_DEP_1)
	v_fmac_f32_e32 v65, v66, v65
	v_mul_f32_e32 v66, v67, v65
	s_delay_alu instid0(VALU_DEP_1) | instskip(NEXT) | instid1(VALU_DEP_1)
	v_fma_f32 v68, -v57, v66, v67
	v_fmac_f32_e32 v66, v68, v65
	s_delay_alu instid0(VALU_DEP_1) | instskip(NEXT) | instid1(VALU_DEP_1)
	v_fma_f32 v57, -v57, v66, v67
	v_div_fmas_f32 v57, v57, v65, v66
	s_delay_alu instid0(VALU_DEP_1) | instskip(NEXT) | instid1(VALU_DEP_1)
	v_div_fixup_f32 v57, v57, v59, v58
	v_fmac_f32_e32 v59, v58, v57
	s_delay_alu instid0(VALU_DEP_1) | instskip(SKIP_1) | instid1(VALU_DEP_2)
	v_div_scale_f32 v58, null, v59, v59, 1.0
	v_div_scale_f32 v67, vcc_lo, 1.0, v59, 1.0
	v_rcp_f32_e32 v65, v58
	v_nop
	s_delay_alu instid0(TRANS32_DEP_1) | instskip(NEXT) | instid1(VALU_DEP_1)
	v_fma_f32 v66, -v58, v65, 1.0
	v_fmac_f32_e32 v65, v66, v65
	s_delay_alu instid0(VALU_DEP_1) | instskip(NEXT) | instid1(VALU_DEP_1)
	v_mul_f32_e32 v66, v67, v65
	v_fma_f32 v68, -v58, v66, v67
	s_delay_alu instid0(VALU_DEP_1) | instskip(NEXT) | instid1(VALU_DEP_1)
	v_fmac_f32_e32 v66, v68, v65
	v_fma_f32 v58, -v58, v66, v67
	s_delay_alu instid0(VALU_DEP_1) | instskip(NEXT) | instid1(VALU_DEP_1)
	v_div_fmas_f32 v58, v58, v65, v66
	v_div_fixup_f32 v59, v58, v59, 1.0
	s_delay_alu instid0(VALU_DEP_1)
	v_mul_f32_e32 v58, v57, v59
	v_xor_b32_e32 v59, 0x80000000, v59
.LBB48_70:
	s_and_not1_saveexec_b32 s1, s1
	s_cbranch_execz .LBB48_72
; %bb.71:
	s_delay_alu instid0(VALU_DEP_1) | instskip(SKIP_1) | instid1(VALU_DEP_2)
	v_div_scale_f32 v57, null, v58, v58, v59
	v_div_scale_f32 v67, vcc_lo, v59, v58, v59
	v_rcp_f32_e32 v65, v57
	v_nop
	s_delay_alu instid0(TRANS32_DEP_1) | instskip(NEXT) | instid1(VALU_DEP_1)
	v_fma_f32 v66, -v57, v65, 1.0
	v_fmac_f32_e32 v65, v66, v65
	s_delay_alu instid0(VALU_DEP_1) | instskip(NEXT) | instid1(VALU_DEP_1)
	v_mul_f32_e32 v66, v67, v65
	v_fma_f32 v68, -v57, v66, v67
	s_delay_alu instid0(VALU_DEP_1) | instskip(NEXT) | instid1(VALU_DEP_1)
	v_fmac_f32_e32 v66, v68, v65
	v_fma_f32 v57, -v57, v66, v67
	s_delay_alu instid0(VALU_DEP_1) | instskip(NEXT) | instid1(VALU_DEP_1)
	v_div_fmas_f32 v57, v57, v65, v66
	v_div_fixup_f32 v57, v57, v58, v59
	s_delay_alu instid0(VALU_DEP_1) | instskip(NEXT) | instid1(VALU_DEP_1)
	v_fmac_f32_e32 v58, v59, v57
	v_div_scale_f32 v59, null, v58, v58, 1.0
	s_delay_alu instid0(VALU_DEP_1) | instskip(SKIP_1) | instid1(TRANS32_DEP_1)
	v_rcp_f32_e32 v65, v59
	v_nop
	v_fma_f32 v66, -v59, v65, 1.0
	s_delay_alu instid0(VALU_DEP_1) | instskip(SKIP_1) | instid1(VALU_DEP_1)
	v_fmac_f32_e32 v65, v66, v65
	v_div_scale_f32 v66, vcc_lo, 1.0, v58, 1.0
	v_mul_f32_e32 v67, v66, v65
	s_delay_alu instid0(VALU_DEP_1) | instskip(NEXT) | instid1(VALU_DEP_1)
	v_fma_f32 v68, -v59, v67, v66
	v_fmac_f32_e32 v67, v68, v65
	s_delay_alu instid0(VALU_DEP_1) | instskip(NEXT) | instid1(VALU_DEP_1)
	v_fma_f32 v59, -v59, v67, v66
	v_div_fmas_f32 v59, v59, v65, v67
	s_delay_alu instid0(VALU_DEP_1) | instskip(NEXT) | instid1(VALU_DEP_1)
	v_div_fixup_f32 v58, v59, v58, 1.0
	v_mul_f32_e64 v59, v57, -v58
.LBB48_72:
	s_or_b32 exec_lo, exec_lo, s1
.LBB48_73:
	s_delay_alu instid0(SALU_CYCLE_1) | instskip(NEXT) | instid1(SALU_CYCLE_1)
	s_or_b32 exec_lo, exec_lo, s0
	s_mov_b32 s0, exec_lo
	v_cmpx_ne_u32_e64 v64, v56
	s_xor_b32 s0, exec_lo, s0
	s_cbranch_execz .LBB48_79
; %bb.74:
	s_mov_b32 s1, exec_lo
	v_cmpx_eq_u32_e32 3, v64
	s_cbranch_execz .LBB48_78
; %bb.75:
	v_cmp_ne_u32_e32 vcc_lo, 3, v56
	s_xor_b32 s12, s16, -1
	s_delay_alu instid0(SALU_CYCLE_1) | instskip(NEXT) | instid1(SALU_CYCLE_1)
	s_and_b32 s13, s12, vcc_lo
	s_and_saveexec_b32 s12, s13
	s_cbranch_execz .LBB48_77
; %bb.76:
	v_ashrrev_i32_e32 v57, 31, v56
	s_delay_alu instid0(VALU_DEP_1)
	v_lshl_add_u64 v[64:65], v[56:57], 2, v[4:5]
	s_clause 0x1
	global_load_b32 v57, v[64:65], off
	global_load_b32 v62, v[4:5], off offset:12
	s_wait_loadcnt 0x1
	global_store_b32 v[4:5], v57, off offset:12
	s_wait_loadcnt 0x0
	global_store_b32 v[64:65], v62, off
.LBB48_77:
	s_wait_xcnt 0x0
	s_or_b32 exec_lo, exec_lo, s12
	v_dual_mov_b32 v64, v56 :: v_dual_mov_b32 v62, v56
.LBB48_78:
	s_or_b32 exec_lo, exec_lo, s1
.LBB48_79:
	s_and_not1_saveexec_b32 s0, s0
	s_cbranch_execz .LBB48_81
; %bb.80:
	v_dual_mov_b32 v56, v44 :: v_dual_mov_b32 v57, v45
	v_dual_mov_b32 v64, v40 :: v_dual_mov_b32 v65, v41
	ds_store_2addr_b64 v60, v[56:57], v[64:65] offset0:4 offset1:5
	v_dual_mov_b32 v56, v42 :: v_dual_mov_b32 v57, v43
	v_dual_mov_b32 v64, v38 :: v_dual_mov_b32 v65, v39
	ds_store_2addr_b64 v60, v[56:57], v[64:65] offset0:6 offset1:7
	;; [unrolled: 3-line block ×10, first 2 shown]
	ds_store_b64 v60, v[54:55] offset:192
	v_mov_b32_e32 v64, 3
.LBB48_81:
	s_or_b32 exec_lo, exec_lo, s0
	s_delay_alu instid0(SALU_CYCLE_1)
	s_mov_b32 s0, exec_lo
	s_wait_storecnt_dscnt 0x0
	s_barrier_signal -1
	s_barrier_wait -1
	v_cmpx_lt_i32_e32 3, v64
	s_cbranch_execz .LBB48_83
; %bb.82:
	v_pk_mul_f32 v[66:67], v[58:59], v[46:47] op_sel:[1,1] op_sel_hi:[0,1]
	s_delay_alu instid0(VALU_DEP_1)
	v_pk_fma_f32 v[56:57], v[58:59], v[46:47], v[66:67] op_sel_hi:[1,0,1] neg_lo:[0,0,1] neg_hi:[0,0,1]
	v_pk_fma_f32 v[58:59], v[58:59], v[46:47], v[66:67] op_sel_hi:[1,0,1]
	ds_load_2addr_b64 v[66:69], v60 offset0:4 offset1:5
	v_dual_mov_b32 v46, v56 :: v_dual_mov_b32 v47, v59
	s_wait_dscnt 0x0
	v_pk_mul_f32 v[70:71], v[66:67], v[58:59] op_sel:[0,1]
	s_delay_alu instid0(VALU_DEP_1) | instskip(SKIP_1) | instid1(VALU_DEP_1)
	v_pk_fma_f32 v[72:73], v[66:67], v[56:57], v[70:71] op_sel:[0,0,1] op_sel_hi:[1,1,0] neg_lo:[0,0,1] neg_hi:[0,0,1]
	v_pk_fma_f32 v[66:67], v[66:67], v[56:57], v[70:71] op_sel:[0,0,1] op_sel_hi:[1,0,0]
	v_mov_b32_e32 v73, v67
	v_pk_mul_f32 v[66:67], v[68:69], v[58:59] op_sel:[0,1]
	s_delay_alu instid0(VALU_DEP_1) | instskip(SKIP_1) | instid1(VALU_DEP_1)
	v_pk_fma_f32 v[70:71], v[68:69], v[56:57], v[66:67] op_sel:[0,0,1] op_sel_hi:[1,1,0] neg_lo:[0,0,1] neg_hi:[0,0,1]
	v_pk_fma_f32 v[66:67], v[68:69], v[56:57], v[66:67] op_sel:[0,0,1] op_sel_hi:[1,0,0]
	v_mov_b32_e32 v71, v67
	ds_load_2addr_b64 v[66:69], v60 offset0:6 offset1:7
	v_pk_add_f32 v[44:45], v[44:45], v[72:73] neg_lo:[0,1] neg_hi:[0,1]
	v_pk_add_f32 v[40:41], v[40:41], v[70:71] neg_lo:[0,1] neg_hi:[0,1]
	s_wait_dscnt 0x0
	v_pk_mul_f32 v[70:71], v[66:67], v[58:59] op_sel:[0,1]
	s_delay_alu instid0(VALU_DEP_1) | instskip(SKIP_2) | instid1(VALU_DEP_2)
	v_pk_fma_f32 v[72:73], v[66:67], v[56:57], v[70:71] op_sel:[0,0,1] op_sel_hi:[1,1,0] neg_lo:[0,0,1] neg_hi:[0,0,1]
	v_pk_fma_f32 v[66:67], v[66:67], v[56:57], v[70:71] op_sel:[0,0,1] op_sel_hi:[1,0,0]
	v_dual_mul_f32 v70, v69, v59 :: v_dual_mov_b32 v66, v69
	v_dual_mov_b32 v73, v67 :: v_dual_mov_b32 v67, v68
	s_delay_alu instid0(VALU_DEP_2) | instskip(SKIP_1) | instid1(VALU_DEP_3)
	v_pk_fma_f32 v[70:71], v[68:69], v[46:47], v[70:71] op_sel_hi:[1,1,0] neg_lo:[0,0,1] neg_hi:[0,0,1]
	v_mul_f32_e32 v68, v69, v56
	v_pk_add_f32 v[42:43], v[42:43], v[72:73] neg_lo:[0,1] neg_hi:[0,1]
	s_delay_alu instid0(VALU_DEP_2) | instskip(NEXT) | instid1(VALU_DEP_1)
	v_pk_fma_f32 v[66:67], v[66:67], v[46:47], v[68:69] op_sel_hi:[1,1,0]
	v_mov_b32_e32 v71, v67
	ds_load_2addr_b64 v[66:69], v60 offset0:8 offset1:9
	v_pk_add_f32 v[38:39], v[38:39], v[70:71] neg_lo:[0,1] neg_hi:[0,1]
	s_wait_dscnt 0x0
	v_pk_mul_f32 v[70:71], v[66:67], v[58:59] op_sel:[0,1]
	s_delay_alu instid0(VALU_DEP_1) | instskip(SKIP_1) | instid1(VALU_DEP_1)
	v_pk_fma_f32 v[72:73], v[66:67], v[56:57], v[70:71] op_sel:[0,0,1] op_sel_hi:[1,1,0] neg_lo:[0,0,1] neg_hi:[0,0,1]
	v_pk_fma_f32 v[66:67], v[66:67], v[56:57], v[70:71] op_sel:[0,0,1] op_sel_hi:[1,0,0]
	v_mov_b32_e32 v73, v67
	v_pk_mul_f32 v[66:67], v[68:69], v[58:59] op_sel:[0,1]
	s_delay_alu instid0(VALU_DEP_1) | instskip(SKIP_1) | instid1(VALU_DEP_1)
	v_pk_fma_f32 v[70:71], v[68:69], v[56:57], v[66:67] op_sel:[0,0,1] op_sel_hi:[1,1,0] neg_lo:[0,0,1] neg_hi:[0,0,1]
	v_pk_fma_f32 v[66:67], v[68:69], v[56:57], v[66:67] op_sel:[0,0,1] op_sel_hi:[1,0,0]
	v_mov_b32_e32 v71, v67
	ds_load_2addr_b64 v[66:69], v60 offset0:10 offset1:11
	v_pk_add_f32 v[36:37], v[36:37], v[72:73] neg_lo:[0,1] neg_hi:[0,1]
	v_pk_add_f32 v[32:33], v[32:33], v[70:71] neg_lo:[0,1] neg_hi:[0,1]
	s_wait_dscnt 0x0
	v_pk_mul_f32 v[70:71], v[66:67], v[58:59] op_sel:[0,1]
	s_delay_alu instid0(VALU_DEP_1) | instskip(SKIP_1) | instid1(VALU_DEP_1)
	v_pk_fma_f32 v[72:73], v[66:67], v[56:57], v[70:71] op_sel:[0,0,1] op_sel_hi:[1,1,0] neg_lo:[0,0,1] neg_hi:[0,0,1]
	v_pk_fma_f32 v[66:67], v[66:67], v[56:57], v[70:71] op_sel:[0,0,1] op_sel_hi:[1,0,0]
	v_mov_b32_e32 v73, v67
	v_pk_mul_f32 v[66:67], v[68:69], v[58:59] op_sel:[0,1]
	s_delay_alu instid0(VALU_DEP_1) | instskip(SKIP_1) | instid1(VALU_DEP_1)
	v_pk_fma_f32 v[70:71], v[68:69], v[56:57], v[66:67] op_sel:[0,0,1] op_sel_hi:[1,1,0] neg_lo:[0,0,1] neg_hi:[0,0,1]
	v_pk_fma_f32 v[66:67], v[68:69], v[56:57], v[66:67] op_sel:[0,0,1] op_sel_hi:[1,0,0]
	v_mov_b32_e32 v71, v67
	ds_load_2addr_b64 v[66:69], v60 offset0:12 offset1:13
	v_pk_add_f32 v[34:35], v[34:35], v[72:73] neg_lo:[0,1] neg_hi:[0,1]
	v_pk_add_f32 v[30:31], v[30:31], v[70:71] neg_lo:[0,1] neg_hi:[0,1]
	s_wait_dscnt 0x0
	v_dual_mul_f32 v70, v67, v59 :: v_dual_mul_f32 v72, v67, v56
	s_delay_alu instid0(VALU_DEP_1) | instskip(NEXT) | instid1(VALU_DEP_2)
	v_pk_fma_f32 v[70:71], v[66:67], v[46:47], v[70:71] op_sel_hi:[1,1,0] neg_lo:[0,0,1] neg_hi:[0,0,1]
	v_pk_fma_f32 v[66:67], v[66:67], v[46:47], v[72:73] op_sel:[1,0,0] op_sel_hi:[0,1,0]
	s_delay_alu instid0(VALU_DEP_1) | instskip(SKIP_1) | instid1(VALU_DEP_2)
	v_mov_b32_e32 v71, v67
	v_pk_mul_f32 v[66:67], v[68:69], v[58:59] op_sel:[0,1]
	v_pk_add_f32 v[24:25], v[24:25], v[70:71] neg_lo:[0,1] neg_hi:[0,1]
	s_delay_alu instid0(VALU_DEP_2) | instskip(SKIP_1) | instid1(VALU_DEP_1)
	v_pk_fma_f32 v[70:71], v[68:69], v[56:57], v[66:67] op_sel:[0,0,1] op_sel_hi:[1,1,0] neg_lo:[0,0,1] neg_hi:[0,0,1]
	v_pk_fma_f32 v[66:67], v[68:69], v[56:57], v[66:67] op_sel:[0,0,1] op_sel_hi:[1,0,0]
	v_mov_b32_e32 v71, v67
	ds_load_2addr_b64 v[66:69], v60 offset0:14 offset1:15
	v_pk_add_f32 v[20:21], v[20:21], v[70:71] neg_lo:[0,1] neg_hi:[0,1]
	s_wait_dscnt 0x0
	v_pk_mul_f32 v[70:71], v[66:67], v[58:59] op_sel:[0,1]
	s_delay_alu instid0(VALU_DEP_1) | instskip(SKIP_1) | instid1(VALU_DEP_1)
	v_pk_fma_f32 v[72:73], v[66:67], v[56:57], v[70:71] op_sel:[0,0,1] op_sel_hi:[1,1,0] neg_lo:[0,0,1] neg_hi:[0,0,1]
	v_pk_fma_f32 v[66:67], v[66:67], v[56:57], v[70:71] op_sel:[0,0,1] op_sel_hi:[1,0,0]
	v_mov_b32_e32 v73, v67
	v_pk_mul_f32 v[66:67], v[68:69], v[58:59] op_sel:[0,1]
	s_delay_alu instid0(VALU_DEP_2) | instskip(NEXT) | instid1(VALU_DEP_2)
	v_pk_add_f32 v[22:23], v[22:23], v[72:73] neg_lo:[0,1] neg_hi:[0,1]
	v_pk_fma_f32 v[70:71], v[68:69], v[56:57], v[66:67] op_sel:[0,0,1] op_sel_hi:[1,1,0] neg_lo:[0,0,1] neg_hi:[0,0,1]
	v_pk_fma_f32 v[66:67], v[68:69], v[56:57], v[66:67] op_sel:[0,0,1] op_sel_hi:[1,0,0]
	s_delay_alu instid0(VALU_DEP_1) | instskip(SKIP_4) | instid1(VALU_DEP_1)
	v_mov_b32_e32 v71, v67
	ds_load_2addr_b64 v[66:69], v60 offset0:16 offset1:17
	v_pk_add_f32 v[18:19], v[18:19], v[70:71] neg_lo:[0,1] neg_hi:[0,1]
	s_wait_dscnt 0x0
	v_pk_mul_f32 v[70:71], v[66:67], v[58:59] op_sel:[0,1]
	v_pk_fma_f32 v[72:73], v[66:67], v[56:57], v[70:71] op_sel:[0,0,1] op_sel_hi:[1,1,0] neg_lo:[0,0,1] neg_hi:[0,0,1]
	v_pk_fma_f32 v[66:67], v[66:67], v[56:57], v[70:71] op_sel:[0,0,1] op_sel_hi:[1,0,0]
	v_dual_mul_f32 v70, v69, v59 :: v_dual_mov_b32 v66, v69
	s_delay_alu instid0(VALU_DEP_2) | instskip(NEXT) | instid1(VALU_DEP_2)
	v_dual_mov_b32 v73, v67 :: v_dual_mov_b32 v67, v68
	v_pk_fma_f32 v[70:71], v[68:69], v[46:47], v[70:71] op_sel_hi:[1,1,0] neg_lo:[0,0,1] neg_hi:[0,0,1]
	v_mul_f32_e32 v68, v69, v56
	s_delay_alu instid0(VALU_DEP_3) | instskip(NEXT) | instid1(VALU_DEP_2)
	v_pk_add_f32 v[14:15], v[14:15], v[72:73] neg_lo:[0,1] neg_hi:[0,1]
	v_pk_fma_f32 v[66:67], v[66:67], v[46:47], v[68:69] op_sel_hi:[1,1,0]
	s_delay_alu instid0(VALU_DEP_1) | instskip(SKIP_4) | instid1(VALU_DEP_1)
	v_mov_b32_e32 v71, v67
	ds_load_2addr_b64 v[66:69], v60 offset0:18 offset1:19
	v_pk_add_f32 v[10:11], v[10:11], v[70:71] neg_lo:[0,1] neg_hi:[0,1]
	s_wait_dscnt 0x0
	v_pk_mul_f32 v[70:71], v[66:67], v[58:59] op_sel:[0,1]
	v_pk_fma_f32 v[72:73], v[66:67], v[56:57], v[70:71] op_sel:[0,0,1] op_sel_hi:[1,1,0] neg_lo:[0,0,1] neg_hi:[0,0,1]
	v_pk_fma_f32 v[66:67], v[66:67], v[56:57], v[70:71] op_sel:[0,0,1] op_sel_hi:[1,0,0]
	s_delay_alu instid0(VALU_DEP_1) | instskip(SKIP_1) | instid1(VALU_DEP_1)
	v_mov_b32_e32 v73, v67
	v_pk_mul_f32 v[66:67], v[68:69], v[58:59] op_sel:[0,1]
	v_pk_fma_f32 v[70:71], v[68:69], v[56:57], v[66:67] op_sel:[0,0,1] op_sel_hi:[1,1,0] neg_lo:[0,0,1] neg_hi:[0,0,1]
	v_pk_fma_f32 v[66:67], v[68:69], v[56:57], v[66:67] op_sel:[0,0,1] op_sel_hi:[1,0,0]
	s_delay_alu instid0(VALU_DEP_1)
	v_mov_b32_e32 v71, v67
	ds_load_2addr_b64 v[66:69], v60 offset0:20 offset1:21
	v_pk_add_f32 v[12:13], v[12:13], v[72:73] neg_lo:[0,1] neg_hi:[0,1]
	v_pk_add_f32 v[8:9], v[8:9], v[70:71] neg_lo:[0,1] neg_hi:[0,1]
	s_wait_dscnt 0x0
	v_pk_mul_f32 v[70:71], v[66:67], v[58:59] op_sel:[0,1]
	s_delay_alu instid0(VALU_DEP_1) | instskip(SKIP_1) | instid1(VALU_DEP_1)
	v_pk_fma_f32 v[72:73], v[66:67], v[56:57], v[70:71] op_sel:[0,0,1] op_sel_hi:[1,1,0] neg_lo:[0,0,1] neg_hi:[0,0,1]
	v_pk_fma_f32 v[66:67], v[66:67], v[56:57], v[70:71] op_sel:[0,0,1] op_sel_hi:[1,0,0]
	v_mov_b32_e32 v73, v67
	v_pk_mul_f32 v[66:67], v[68:69], v[58:59] op_sel:[0,1]
	s_delay_alu instid0(VALU_DEP_1) | instskip(SKIP_1) | instid1(VALU_DEP_1)
	v_pk_fma_f32 v[70:71], v[68:69], v[56:57], v[66:67] op_sel:[0,0,1] op_sel_hi:[1,1,0] neg_lo:[0,0,1] neg_hi:[0,0,1]
	v_pk_fma_f32 v[66:67], v[68:69], v[56:57], v[66:67] op_sel:[0,0,1] op_sel_hi:[1,0,0]
	v_mov_b32_e32 v71, v67
	ds_load_2addr_b64 v[66:69], v60 offset0:22 offset1:23
	v_pk_add_f32 v[6:7], v[6:7], v[72:73] neg_lo:[0,1] neg_hi:[0,1]
	v_pk_add_f32 v[28:29], v[28:29], v[70:71] neg_lo:[0,1] neg_hi:[0,1]
	s_wait_dscnt 0x0
	v_dual_mul_f32 v70, v67, v59 :: v_dual_mul_f32 v72, v67, v56
	s_delay_alu instid0(VALU_DEP_1) | instskip(NEXT) | instid1(VALU_DEP_2)
	v_pk_fma_f32 v[70:71], v[66:67], v[46:47], v[70:71] op_sel_hi:[1,1,0] neg_lo:[0,0,1] neg_hi:[0,0,1]
	v_pk_fma_f32 v[66:67], v[66:67], v[46:47], v[72:73] op_sel:[1,0,0] op_sel_hi:[0,1,0]
	s_delay_alu instid0(VALU_DEP_1) | instskip(SKIP_1) | instid1(VALU_DEP_2)
	v_mov_b32_e32 v71, v67
	v_pk_mul_f32 v[66:67], v[68:69], v[58:59] op_sel:[0,1]
	v_pk_add_f32 v[26:27], v[26:27], v[70:71] neg_lo:[0,1] neg_hi:[0,1]
	s_delay_alu instid0(VALU_DEP_2) | instskip(SKIP_1) | instid1(VALU_DEP_1)
	v_pk_fma_f32 v[70:71], v[68:69], v[56:57], v[66:67] op_sel:[0,0,1] op_sel_hi:[1,1,0] neg_lo:[0,0,1] neg_hi:[0,0,1]
	v_pk_fma_f32 v[66:67], v[68:69], v[56:57], v[66:67] op_sel:[0,0,1] op_sel_hi:[1,0,0]
	v_mov_b32_e32 v71, v67
	ds_load_b64 v[66:67], v60 offset:192
	v_pk_add_f32 v[16:17], v[16:17], v[70:71] neg_lo:[0,1] neg_hi:[0,1]
	s_wait_dscnt 0x0
	v_pk_mul_f32 v[58:59], v[66:67], v[58:59] op_sel:[0,1]
	s_delay_alu instid0(VALU_DEP_1) | instskip(SKIP_1) | instid1(VALU_DEP_1)
	v_pk_fma_f32 v[68:69], v[66:67], v[56:57], v[58:59] op_sel:[0,0,1] op_sel_hi:[1,1,0] neg_lo:[0,0,1] neg_hi:[0,0,1]
	v_pk_fma_f32 v[56:57], v[66:67], v[56:57], v[58:59] op_sel:[0,0,1] op_sel_hi:[1,0,0]
	v_mov_b32_e32 v69, v57
	s_delay_alu instid0(VALU_DEP_1)
	v_pk_add_f32 v[54:55], v[54:55], v[68:69] neg_lo:[0,1] neg_hi:[0,1]
.LBB48_83:
	s_or_b32 exec_lo, exec_lo, s0
	v_lshl_add_u32 v56, v64, 3, v60
	s_barrier_signal -1
	s_barrier_wait -1
	ds_store_b64 v56, v[44:45]
	s_wait_dscnt 0x0
	s_barrier_signal -1
	s_barrier_wait -1
	ds_load_b64 v[58:59], v60 offset:32
	v_mov_b32_e32 v56, 4
	s_cmp_lt_i32 s18, 6
	s_cbranch_scc1 .LBB48_86
; %bb.84:
	v_add3_u32 v57, v61, 0, 40
	v_mov_b32_e32 v56, 4
	s_mov_b32 s0, 5
.LBB48_85:                              ; =>This Inner Loop Header: Depth=1
	ds_load_b64 v[66:67], v57
	s_wait_dscnt 0x1
	v_cmp_gt_f32_e32 vcc_lo, 0, v58
	v_cndmask_b32_e64 v68, v58, -v58, vcc_lo
	v_cmp_gt_f32_e32 vcc_lo, 0, v59
	v_cndmask_b32_e64 v70, v59, -v59, vcc_lo
	s_wait_dscnt 0x0
	v_cmp_gt_f32_e32 vcc_lo, 0, v66
	v_cndmask_b32_e64 v69, v66, -v66, vcc_lo
	v_cmp_gt_f32_e32 vcc_lo, 0, v67
	v_cndmask_b32_e64 v71, v67, -v67, vcc_lo
	s_delay_alu instid0(VALU_DEP_1) | instskip(NEXT) | instid1(VALU_DEP_1)
	v_pk_add_f32 v[68:69], v[68:69], v[70:71]
	v_cmp_lt_f32_e32 vcc_lo, v68, v69
	v_dual_add_nc_u32 v57, 8, v57 :: v_dual_cndmask_b32 v59, v59, v67, vcc_lo
	v_cndmask_b32_e32 v58, v58, v66, vcc_lo
	v_cndmask_b32_e64 v56, v56, s0, vcc_lo
	s_add_co_i32 s0, s0, 1
	s_delay_alu instid0(SALU_CYCLE_1)
	s_cmp_lg_u32 s18, s0
	s_cbranch_scc1 .LBB48_85
.LBB48_86:
	s_wait_dscnt 0x0
	v_cmp_eq_f32_e32 vcc_lo, 0, v58
	v_cmp_eq_f32_e64 s0, 0, v59
	s_and_b32 s0, vcc_lo, s0
	s_delay_alu instid0(SALU_CYCLE_1) | instskip(NEXT) | instid1(SALU_CYCLE_1)
	s_and_saveexec_b32 s1, s0
	s_xor_b32 s0, exec_lo, s1
; %bb.87:
	v_cmp_ne_u32_e32 vcc_lo, 0, v63
	v_cndmask_b32_e32 v63, 5, v63, vcc_lo
; %bb.88:
	s_and_not1_saveexec_b32 s0, s0
	s_cbranch_execz .LBB48_94
; %bb.89:
	v_cmp_ngt_f32_e64 s1, |v58|, |v59|
	s_and_saveexec_b32 s12, s1
	s_delay_alu instid0(SALU_CYCLE_1)
	s_xor_b32 s1, exec_lo, s12
	s_cbranch_execz .LBB48_91
; %bb.90:
	v_div_scale_f32 v57, null, v59, v59, v58
	v_div_scale_f32 v67, vcc_lo, v58, v59, v58
	s_delay_alu instid0(VALU_DEP_2) | instskip(SKIP_1) | instid1(TRANS32_DEP_1)
	v_rcp_f32_e32 v65, v57
	v_nop
	v_fma_f32 v66, -v57, v65, 1.0
	s_delay_alu instid0(VALU_DEP_1) | instskip(NEXT) | instid1(VALU_DEP_1)
	v_fmac_f32_e32 v65, v66, v65
	v_mul_f32_e32 v66, v67, v65
	s_delay_alu instid0(VALU_DEP_1) | instskip(NEXT) | instid1(VALU_DEP_1)
	v_fma_f32 v68, -v57, v66, v67
	v_fmac_f32_e32 v66, v68, v65
	s_delay_alu instid0(VALU_DEP_1) | instskip(NEXT) | instid1(VALU_DEP_1)
	v_fma_f32 v57, -v57, v66, v67
	v_div_fmas_f32 v57, v57, v65, v66
	s_delay_alu instid0(VALU_DEP_1) | instskip(NEXT) | instid1(VALU_DEP_1)
	v_div_fixup_f32 v57, v57, v59, v58
	v_fmac_f32_e32 v59, v58, v57
	s_delay_alu instid0(VALU_DEP_1) | instskip(SKIP_1) | instid1(VALU_DEP_2)
	v_div_scale_f32 v58, null, v59, v59, 1.0
	v_div_scale_f32 v67, vcc_lo, 1.0, v59, 1.0
	v_rcp_f32_e32 v65, v58
	v_nop
	s_delay_alu instid0(TRANS32_DEP_1) | instskip(NEXT) | instid1(VALU_DEP_1)
	v_fma_f32 v66, -v58, v65, 1.0
	v_fmac_f32_e32 v65, v66, v65
	s_delay_alu instid0(VALU_DEP_1) | instskip(NEXT) | instid1(VALU_DEP_1)
	v_mul_f32_e32 v66, v67, v65
	v_fma_f32 v68, -v58, v66, v67
	s_delay_alu instid0(VALU_DEP_1) | instskip(NEXT) | instid1(VALU_DEP_1)
	v_fmac_f32_e32 v66, v68, v65
	v_fma_f32 v58, -v58, v66, v67
	s_delay_alu instid0(VALU_DEP_1) | instskip(NEXT) | instid1(VALU_DEP_1)
	v_div_fmas_f32 v58, v58, v65, v66
	v_div_fixup_f32 v59, v58, v59, 1.0
	s_delay_alu instid0(VALU_DEP_1)
	v_mul_f32_e32 v58, v57, v59
	v_xor_b32_e32 v59, 0x80000000, v59
.LBB48_91:
	s_and_not1_saveexec_b32 s1, s1
	s_cbranch_execz .LBB48_93
; %bb.92:
	s_delay_alu instid0(VALU_DEP_1) | instskip(SKIP_1) | instid1(VALU_DEP_2)
	v_div_scale_f32 v57, null, v58, v58, v59
	v_div_scale_f32 v67, vcc_lo, v59, v58, v59
	v_rcp_f32_e32 v65, v57
	v_nop
	s_delay_alu instid0(TRANS32_DEP_1) | instskip(NEXT) | instid1(VALU_DEP_1)
	v_fma_f32 v66, -v57, v65, 1.0
	v_fmac_f32_e32 v65, v66, v65
	s_delay_alu instid0(VALU_DEP_1) | instskip(NEXT) | instid1(VALU_DEP_1)
	v_mul_f32_e32 v66, v67, v65
	v_fma_f32 v68, -v57, v66, v67
	s_delay_alu instid0(VALU_DEP_1) | instskip(NEXT) | instid1(VALU_DEP_1)
	v_fmac_f32_e32 v66, v68, v65
	v_fma_f32 v57, -v57, v66, v67
	s_delay_alu instid0(VALU_DEP_1) | instskip(NEXT) | instid1(VALU_DEP_1)
	v_div_fmas_f32 v57, v57, v65, v66
	v_div_fixup_f32 v57, v57, v58, v59
	s_delay_alu instid0(VALU_DEP_1) | instskip(NEXT) | instid1(VALU_DEP_1)
	v_fmac_f32_e32 v58, v59, v57
	v_div_scale_f32 v59, null, v58, v58, 1.0
	s_delay_alu instid0(VALU_DEP_1) | instskip(SKIP_1) | instid1(TRANS32_DEP_1)
	v_rcp_f32_e32 v65, v59
	v_nop
	v_fma_f32 v66, -v59, v65, 1.0
	s_delay_alu instid0(VALU_DEP_1) | instskip(SKIP_1) | instid1(VALU_DEP_1)
	v_fmac_f32_e32 v65, v66, v65
	v_div_scale_f32 v66, vcc_lo, 1.0, v58, 1.0
	v_mul_f32_e32 v67, v66, v65
	s_delay_alu instid0(VALU_DEP_1) | instskip(NEXT) | instid1(VALU_DEP_1)
	v_fma_f32 v68, -v59, v67, v66
	v_fmac_f32_e32 v67, v68, v65
	s_delay_alu instid0(VALU_DEP_1) | instskip(NEXT) | instid1(VALU_DEP_1)
	v_fma_f32 v59, -v59, v67, v66
	v_div_fmas_f32 v59, v59, v65, v67
	s_delay_alu instid0(VALU_DEP_1) | instskip(NEXT) | instid1(VALU_DEP_1)
	v_div_fixup_f32 v58, v59, v58, 1.0
	v_mul_f32_e64 v59, v57, -v58
.LBB48_93:
	s_or_b32 exec_lo, exec_lo, s1
.LBB48_94:
	s_delay_alu instid0(SALU_CYCLE_1) | instskip(NEXT) | instid1(SALU_CYCLE_1)
	s_or_b32 exec_lo, exec_lo, s0
	s_mov_b32 s0, exec_lo
	v_cmpx_ne_u32_e64 v64, v56
	s_xor_b32 s0, exec_lo, s0
	s_cbranch_execz .LBB48_100
; %bb.95:
	s_mov_b32 s1, exec_lo
	v_cmpx_eq_u32_e32 4, v64
	s_cbranch_execz .LBB48_99
; %bb.96:
	v_cmp_ne_u32_e32 vcc_lo, 4, v56
	s_xor_b32 s12, s16, -1
	s_delay_alu instid0(SALU_CYCLE_1) | instskip(NEXT) | instid1(SALU_CYCLE_1)
	s_and_b32 s13, s12, vcc_lo
	s_and_saveexec_b32 s12, s13
	s_cbranch_execz .LBB48_98
; %bb.97:
	v_ashrrev_i32_e32 v57, 31, v56
	s_delay_alu instid0(VALU_DEP_1)
	v_lshl_add_u64 v[64:65], v[56:57], 2, v[4:5]
	s_clause 0x1
	global_load_b32 v57, v[64:65], off
	global_load_b32 v62, v[4:5], off offset:16
	s_wait_loadcnt 0x1
	global_store_b32 v[4:5], v57, off offset:16
	s_wait_loadcnt 0x0
	global_store_b32 v[64:65], v62, off
.LBB48_98:
	s_wait_xcnt 0x0
	s_or_b32 exec_lo, exec_lo, s12
	v_dual_mov_b32 v64, v56 :: v_dual_mov_b32 v62, v56
.LBB48_99:
	s_or_b32 exec_lo, exec_lo, s1
.LBB48_100:
	s_and_not1_saveexec_b32 s0, s0
	s_cbranch_execz .LBB48_102
; %bb.101:
	v_mov_b32_e32 v64, 4
	ds_store_2addr_b64 v60, v[40:41], v[42:43] offset0:5 offset1:6
	ds_store_2addr_b64 v60, v[38:39], v[36:37] offset0:7 offset1:8
	;; [unrolled: 1-line block ×10, first 2 shown]
.LBB48_102:
	s_or_b32 exec_lo, exec_lo, s0
	s_delay_alu instid0(SALU_CYCLE_1)
	s_mov_b32 s0, exec_lo
	s_wait_storecnt_dscnt 0x0
	s_barrier_signal -1
	s_barrier_wait -1
	v_cmpx_lt_i32_e32 4, v64
	s_cbranch_execz .LBB48_104
; %bb.103:
	v_pk_mul_f32 v[66:67], v[58:59], v[44:45] op_sel:[1,1] op_sel_hi:[0,1]
	s_delay_alu instid0(VALU_DEP_1)
	v_pk_fma_f32 v[56:57], v[58:59], v[44:45], v[66:67] op_sel_hi:[1,0,1] neg_lo:[0,0,1] neg_hi:[0,0,1]
	v_pk_fma_f32 v[58:59], v[58:59], v[44:45], v[66:67] op_sel_hi:[1,0,1]
	ds_load_2addr_b64 v[66:69], v60 offset0:5 offset1:6
	v_dual_mov_b32 v44, v56 :: v_dual_mov_b32 v45, v59
	s_wait_dscnt 0x0
	v_pk_mul_f32 v[70:71], v[66:67], v[58:59] op_sel:[0,1]
	s_delay_alu instid0(VALU_DEP_1) | instskip(SKIP_1) | instid1(VALU_DEP_1)
	v_pk_fma_f32 v[72:73], v[66:67], v[56:57], v[70:71] op_sel:[0,0,1] op_sel_hi:[1,1,0] neg_lo:[0,0,1] neg_hi:[0,0,1]
	v_pk_fma_f32 v[66:67], v[66:67], v[56:57], v[70:71] op_sel:[0,0,1] op_sel_hi:[1,0,0]
	v_mov_b32_e32 v73, v67
	v_pk_mul_f32 v[66:67], v[68:69], v[58:59] op_sel:[0,1]
	s_delay_alu instid0(VALU_DEP_1) | instskip(SKIP_1) | instid1(VALU_DEP_1)
	v_pk_fma_f32 v[70:71], v[68:69], v[56:57], v[66:67] op_sel:[0,0,1] op_sel_hi:[1,1,0] neg_lo:[0,0,1] neg_hi:[0,0,1]
	v_pk_fma_f32 v[66:67], v[68:69], v[56:57], v[66:67] op_sel:[0,0,1] op_sel_hi:[1,0,0]
	v_mov_b32_e32 v71, v67
	ds_load_2addr_b64 v[66:69], v60 offset0:7 offset1:8
	v_pk_add_f32 v[40:41], v[40:41], v[72:73] neg_lo:[0,1] neg_hi:[0,1]
	v_pk_add_f32 v[42:43], v[42:43], v[70:71] neg_lo:[0,1] neg_hi:[0,1]
	s_wait_dscnt 0x0
	v_pk_mul_f32 v[70:71], v[66:67], v[58:59] op_sel:[0,1]
	s_delay_alu instid0(VALU_DEP_1) | instskip(SKIP_2) | instid1(VALU_DEP_2)
	v_pk_fma_f32 v[72:73], v[66:67], v[56:57], v[70:71] op_sel:[0,0,1] op_sel_hi:[1,1,0] neg_lo:[0,0,1] neg_hi:[0,0,1]
	v_pk_fma_f32 v[66:67], v[66:67], v[56:57], v[70:71] op_sel:[0,0,1] op_sel_hi:[1,0,0]
	v_dual_mul_f32 v70, v69, v59 :: v_dual_mov_b32 v66, v69
	v_dual_mov_b32 v73, v67 :: v_dual_mov_b32 v67, v68
	s_delay_alu instid0(VALU_DEP_2) | instskip(SKIP_1) | instid1(VALU_DEP_3)
	v_pk_fma_f32 v[70:71], v[68:69], v[44:45], v[70:71] op_sel_hi:[1,1,0] neg_lo:[0,0,1] neg_hi:[0,0,1]
	v_mul_f32_e32 v68, v69, v56
	v_pk_add_f32 v[38:39], v[38:39], v[72:73] neg_lo:[0,1] neg_hi:[0,1]
	s_delay_alu instid0(VALU_DEP_2) | instskip(NEXT) | instid1(VALU_DEP_1)
	v_pk_fma_f32 v[66:67], v[66:67], v[44:45], v[68:69] op_sel_hi:[1,1,0]
	v_mov_b32_e32 v71, v67
	ds_load_2addr_b64 v[66:69], v60 offset0:9 offset1:10
	v_pk_add_f32 v[36:37], v[36:37], v[70:71] neg_lo:[0,1] neg_hi:[0,1]
	s_wait_dscnt 0x0
	v_pk_mul_f32 v[70:71], v[66:67], v[58:59] op_sel:[0,1]
	s_delay_alu instid0(VALU_DEP_1) | instskip(SKIP_1) | instid1(VALU_DEP_1)
	v_pk_fma_f32 v[72:73], v[66:67], v[56:57], v[70:71] op_sel:[0,0,1] op_sel_hi:[1,1,0] neg_lo:[0,0,1] neg_hi:[0,0,1]
	v_pk_fma_f32 v[66:67], v[66:67], v[56:57], v[70:71] op_sel:[0,0,1] op_sel_hi:[1,0,0]
	v_mov_b32_e32 v73, v67
	v_pk_mul_f32 v[66:67], v[68:69], v[58:59] op_sel:[0,1]
	s_delay_alu instid0(VALU_DEP_1) | instskip(SKIP_1) | instid1(VALU_DEP_1)
	v_pk_fma_f32 v[70:71], v[68:69], v[56:57], v[66:67] op_sel:[0,0,1] op_sel_hi:[1,1,0] neg_lo:[0,0,1] neg_hi:[0,0,1]
	v_pk_fma_f32 v[66:67], v[68:69], v[56:57], v[66:67] op_sel:[0,0,1] op_sel_hi:[1,0,0]
	v_mov_b32_e32 v71, v67
	ds_load_2addr_b64 v[66:69], v60 offset0:11 offset1:12
	v_pk_add_f32 v[32:33], v[32:33], v[72:73] neg_lo:[0,1] neg_hi:[0,1]
	v_pk_add_f32 v[34:35], v[34:35], v[70:71] neg_lo:[0,1] neg_hi:[0,1]
	s_wait_dscnt 0x0
	v_pk_mul_f32 v[70:71], v[66:67], v[58:59] op_sel:[0,1]
	s_delay_alu instid0(VALU_DEP_1) | instskip(SKIP_1) | instid1(VALU_DEP_1)
	v_pk_fma_f32 v[72:73], v[66:67], v[56:57], v[70:71] op_sel:[0,0,1] op_sel_hi:[1,1,0] neg_lo:[0,0,1] neg_hi:[0,0,1]
	v_pk_fma_f32 v[66:67], v[66:67], v[56:57], v[70:71] op_sel:[0,0,1] op_sel_hi:[1,0,0]
	v_mov_b32_e32 v73, v67
	v_pk_mul_f32 v[66:67], v[68:69], v[58:59] op_sel:[0,1]
	s_delay_alu instid0(VALU_DEP_1) | instskip(SKIP_1) | instid1(VALU_DEP_1)
	v_pk_fma_f32 v[70:71], v[68:69], v[56:57], v[66:67] op_sel:[0,0,1] op_sel_hi:[1,1,0] neg_lo:[0,0,1] neg_hi:[0,0,1]
	v_pk_fma_f32 v[66:67], v[68:69], v[56:57], v[66:67] op_sel:[0,0,1] op_sel_hi:[1,0,0]
	v_mov_b32_e32 v71, v67
	ds_load_2addr_b64 v[66:69], v60 offset0:13 offset1:14
	v_pk_add_f32 v[30:31], v[30:31], v[72:73] neg_lo:[0,1] neg_hi:[0,1]
	v_pk_add_f32 v[24:25], v[24:25], v[70:71] neg_lo:[0,1] neg_hi:[0,1]
	s_wait_dscnt 0x0
	v_dual_mul_f32 v70, v67, v59 :: v_dual_mul_f32 v72, v67, v56
	s_delay_alu instid0(VALU_DEP_1) | instskip(NEXT) | instid1(VALU_DEP_2)
	v_pk_fma_f32 v[70:71], v[66:67], v[44:45], v[70:71] op_sel_hi:[1,1,0] neg_lo:[0,0,1] neg_hi:[0,0,1]
	v_pk_fma_f32 v[66:67], v[66:67], v[44:45], v[72:73] op_sel:[1,0,0] op_sel_hi:[0,1,0]
	s_delay_alu instid0(VALU_DEP_1) | instskip(SKIP_1) | instid1(VALU_DEP_2)
	v_mov_b32_e32 v71, v67
	v_pk_mul_f32 v[66:67], v[68:69], v[58:59] op_sel:[0,1]
	v_pk_add_f32 v[20:21], v[20:21], v[70:71] neg_lo:[0,1] neg_hi:[0,1]
	s_delay_alu instid0(VALU_DEP_2) | instskip(SKIP_1) | instid1(VALU_DEP_1)
	v_pk_fma_f32 v[70:71], v[68:69], v[56:57], v[66:67] op_sel:[0,0,1] op_sel_hi:[1,1,0] neg_lo:[0,0,1] neg_hi:[0,0,1]
	v_pk_fma_f32 v[66:67], v[68:69], v[56:57], v[66:67] op_sel:[0,0,1] op_sel_hi:[1,0,0]
	v_mov_b32_e32 v71, v67
	ds_load_2addr_b64 v[66:69], v60 offset0:15 offset1:16
	v_pk_add_f32 v[22:23], v[22:23], v[70:71] neg_lo:[0,1] neg_hi:[0,1]
	s_wait_dscnt 0x0
	v_pk_mul_f32 v[70:71], v[66:67], v[58:59] op_sel:[0,1]
	s_delay_alu instid0(VALU_DEP_1) | instskip(SKIP_1) | instid1(VALU_DEP_1)
	v_pk_fma_f32 v[72:73], v[66:67], v[56:57], v[70:71] op_sel:[0,0,1] op_sel_hi:[1,1,0] neg_lo:[0,0,1] neg_hi:[0,0,1]
	v_pk_fma_f32 v[66:67], v[66:67], v[56:57], v[70:71] op_sel:[0,0,1] op_sel_hi:[1,0,0]
	v_mov_b32_e32 v73, v67
	v_pk_mul_f32 v[66:67], v[68:69], v[58:59] op_sel:[0,1]
	s_delay_alu instid0(VALU_DEP_2) | instskip(NEXT) | instid1(VALU_DEP_2)
	v_pk_add_f32 v[18:19], v[18:19], v[72:73] neg_lo:[0,1] neg_hi:[0,1]
	v_pk_fma_f32 v[70:71], v[68:69], v[56:57], v[66:67] op_sel:[0,0,1] op_sel_hi:[1,1,0] neg_lo:[0,0,1] neg_hi:[0,0,1]
	v_pk_fma_f32 v[66:67], v[68:69], v[56:57], v[66:67] op_sel:[0,0,1] op_sel_hi:[1,0,0]
	s_delay_alu instid0(VALU_DEP_1) | instskip(SKIP_4) | instid1(VALU_DEP_1)
	v_mov_b32_e32 v71, v67
	ds_load_2addr_b64 v[66:69], v60 offset0:17 offset1:18
	v_pk_add_f32 v[14:15], v[14:15], v[70:71] neg_lo:[0,1] neg_hi:[0,1]
	s_wait_dscnt 0x0
	v_pk_mul_f32 v[70:71], v[66:67], v[58:59] op_sel:[0,1]
	v_pk_fma_f32 v[72:73], v[66:67], v[56:57], v[70:71] op_sel:[0,0,1] op_sel_hi:[1,1,0] neg_lo:[0,0,1] neg_hi:[0,0,1]
	v_pk_fma_f32 v[66:67], v[66:67], v[56:57], v[70:71] op_sel:[0,0,1] op_sel_hi:[1,0,0]
	v_dual_mul_f32 v70, v69, v59 :: v_dual_mov_b32 v66, v69
	s_delay_alu instid0(VALU_DEP_2) | instskip(NEXT) | instid1(VALU_DEP_2)
	v_dual_mov_b32 v73, v67 :: v_dual_mov_b32 v67, v68
	v_pk_fma_f32 v[70:71], v[68:69], v[44:45], v[70:71] op_sel_hi:[1,1,0] neg_lo:[0,0,1] neg_hi:[0,0,1]
	v_mul_f32_e32 v68, v69, v56
	s_delay_alu instid0(VALU_DEP_3) | instskip(NEXT) | instid1(VALU_DEP_2)
	v_pk_add_f32 v[10:11], v[10:11], v[72:73] neg_lo:[0,1] neg_hi:[0,1]
	v_pk_fma_f32 v[66:67], v[66:67], v[44:45], v[68:69] op_sel_hi:[1,1,0]
	s_delay_alu instid0(VALU_DEP_1) | instskip(SKIP_4) | instid1(VALU_DEP_1)
	v_mov_b32_e32 v71, v67
	ds_load_2addr_b64 v[66:69], v60 offset0:19 offset1:20
	v_pk_add_f32 v[12:13], v[12:13], v[70:71] neg_lo:[0,1] neg_hi:[0,1]
	s_wait_dscnt 0x0
	v_pk_mul_f32 v[70:71], v[66:67], v[58:59] op_sel:[0,1]
	v_pk_fma_f32 v[72:73], v[66:67], v[56:57], v[70:71] op_sel:[0,0,1] op_sel_hi:[1,1,0] neg_lo:[0,0,1] neg_hi:[0,0,1]
	v_pk_fma_f32 v[66:67], v[66:67], v[56:57], v[70:71] op_sel:[0,0,1] op_sel_hi:[1,0,0]
	s_delay_alu instid0(VALU_DEP_1) | instskip(SKIP_1) | instid1(VALU_DEP_1)
	v_mov_b32_e32 v73, v67
	v_pk_mul_f32 v[66:67], v[68:69], v[58:59] op_sel:[0,1]
	v_pk_fma_f32 v[70:71], v[68:69], v[56:57], v[66:67] op_sel:[0,0,1] op_sel_hi:[1,1,0] neg_lo:[0,0,1] neg_hi:[0,0,1]
	v_pk_fma_f32 v[66:67], v[68:69], v[56:57], v[66:67] op_sel:[0,0,1] op_sel_hi:[1,0,0]
	s_delay_alu instid0(VALU_DEP_1)
	v_mov_b32_e32 v71, v67
	ds_load_2addr_b64 v[66:69], v60 offset0:21 offset1:22
	v_pk_add_f32 v[8:9], v[8:9], v[72:73] neg_lo:[0,1] neg_hi:[0,1]
	v_pk_add_f32 v[6:7], v[6:7], v[70:71] neg_lo:[0,1] neg_hi:[0,1]
	s_wait_dscnt 0x0
	v_pk_mul_f32 v[70:71], v[66:67], v[58:59] op_sel:[0,1]
	s_delay_alu instid0(VALU_DEP_1) | instskip(SKIP_1) | instid1(VALU_DEP_1)
	v_pk_fma_f32 v[72:73], v[66:67], v[56:57], v[70:71] op_sel:[0,0,1] op_sel_hi:[1,1,0] neg_lo:[0,0,1] neg_hi:[0,0,1]
	v_pk_fma_f32 v[66:67], v[66:67], v[56:57], v[70:71] op_sel:[0,0,1] op_sel_hi:[1,0,0]
	v_mov_b32_e32 v73, v67
	v_pk_mul_f32 v[66:67], v[68:69], v[58:59] op_sel:[0,1]
	s_delay_alu instid0(VALU_DEP_1) | instskip(SKIP_1) | instid1(VALU_DEP_1)
	v_pk_fma_f32 v[70:71], v[68:69], v[56:57], v[66:67] op_sel:[0,0,1] op_sel_hi:[1,1,0] neg_lo:[0,0,1] neg_hi:[0,0,1]
	v_pk_fma_f32 v[66:67], v[68:69], v[56:57], v[66:67] op_sel:[0,0,1] op_sel_hi:[1,0,0]
	v_mov_b32_e32 v71, v67
	ds_load_2addr_b64 v[66:69], v60 offset0:23 offset1:24
	v_pk_add_f32 v[28:29], v[28:29], v[72:73] neg_lo:[0,1] neg_hi:[0,1]
	v_pk_add_f32 v[26:27], v[26:27], v[70:71] neg_lo:[0,1] neg_hi:[0,1]
	s_wait_dscnt 0x0
	v_dual_mul_f32 v70, v67, v59 :: v_dual_mul_f32 v72, v67, v56
	v_pk_mul_f32 v[58:59], v[68:69], v[58:59] op_sel:[0,1]
	s_delay_alu instid0(VALU_DEP_2) | instskip(NEXT) | instid1(VALU_DEP_3)
	v_pk_fma_f32 v[70:71], v[66:67], v[44:45], v[70:71] op_sel_hi:[1,1,0] neg_lo:[0,0,1] neg_hi:[0,0,1]
	v_pk_fma_f32 v[66:67], v[66:67], v[44:45], v[72:73] op_sel:[1,0,0] op_sel_hi:[0,1,0]
	s_delay_alu instid0(VALU_DEP_1) | instskip(NEXT) | instid1(VALU_DEP_4)
	v_mov_b32_e32 v71, v67
	v_pk_fma_f32 v[66:67], v[68:69], v[56:57], v[58:59] op_sel:[0,0,1] op_sel_hi:[1,1,0] neg_lo:[0,0,1] neg_hi:[0,0,1]
	v_pk_fma_f32 v[56:57], v[68:69], v[56:57], v[58:59] op_sel:[0,0,1] op_sel_hi:[1,0,0]
	s_delay_alu instid0(VALU_DEP_1) | instskip(NEXT) | instid1(VALU_DEP_4)
	v_mov_b32_e32 v67, v57
	v_pk_add_f32 v[16:17], v[16:17], v[70:71] neg_lo:[0,1] neg_hi:[0,1]
	s_delay_alu instid0(VALU_DEP_2)
	v_pk_add_f32 v[54:55], v[54:55], v[66:67] neg_lo:[0,1] neg_hi:[0,1]
.LBB48_104:
	s_or_b32 exec_lo, exec_lo, s0
	v_lshl_add_u32 v56, v64, 3, v60
	s_barrier_signal -1
	s_barrier_wait -1
	ds_store_b64 v56, v[40:41]
	s_wait_dscnt 0x0
	s_barrier_signal -1
	s_barrier_wait -1
	ds_load_b64 v[58:59], v60 offset:40
	v_mov_b32_e32 v56, 5
	s_cmp_lt_i32 s18, 7
	s_cbranch_scc1 .LBB48_107
; %bb.105:
	v_add3_u32 v57, v61, 0, 48
	v_mov_b32_e32 v56, 5
	s_mov_b32 s0, 6
.LBB48_106:                             ; =>This Inner Loop Header: Depth=1
	ds_load_b64 v[66:67], v57
	s_wait_dscnt 0x1
	v_cmp_gt_f32_e32 vcc_lo, 0, v58
	v_cndmask_b32_e64 v68, v58, -v58, vcc_lo
	v_cmp_gt_f32_e32 vcc_lo, 0, v59
	v_cndmask_b32_e64 v70, v59, -v59, vcc_lo
	s_wait_dscnt 0x0
	v_cmp_gt_f32_e32 vcc_lo, 0, v66
	v_cndmask_b32_e64 v69, v66, -v66, vcc_lo
	v_cmp_gt_f32_e32 vcc_lo, 0, v67
	v_cndmask_b32_e64 v71, v67, -v67, vcc_lo
	s_delay_alu instid0(VALU_DEP_1) | instskip(NEXT) | instid1(VALU_DEP_1)
	v_pk_add_f32 v[68:69], v[68:69], v[70:71]
	v_cmp_lt_f32_e32 vcc_lo, v68, v69
	v_dual_add_nc_u32 v57, 8, v57 :: v_dual_cndmask_b32 v59, v59, v67, vcc_lo
	v_cndmask_b32_e32 v58, v58, v66, vcc_lo
	v_cndmask_b32_e64 v56, v56, s0, vcc_lo
	s_add_co_i32 s0, s0, 1
	s_delay_alu instid0(SALU_CYCLE_1)
	s_cmp_lg_u32 s18, s0
	s_cbranch_scc1 .LBB48_106
.LBB48_107:
	s_wait_dscnt 0x0
	v_cmp_eq_f32_e32 vcc_lo, 0, v58
	v_cmp_eq_f32_e64 s0, 0, v59
	s_and_b32 s0, vcc_lo, s0
	s_delay_alu instid0(SALU_CYCLE_1) | instskip(NEXT) | instid1(SALU_CYCLE_1)
	s_and_saveexec_b32 s1, s0
	s_xor_b32 s0, exec_lo, s1
; %bb.108:
	v_cmp_ne_u32_e32 vcc_lo, 0, v63
	v_cndmask_b32_e32 v63, 6, v63, vcc_lo
; %bb.109:
	s_and_not1_saveexec_b32 s0, s0
	s_cbranch_execz .LBB48_115
; %bb.110:
	v_cmp_ngt_f32_e64 s1, |v58|, |v59|
	s_and_saveexec_b32 s12, s1
	s_delay_alu instid0(SALU_CYCLE_1)
	s_xor_b32 s1, exec_lo, s12
	s_cbranch_execz .LBB48_112
; %bb.111:
	v_div_scale_f32 v57, null, v59, v59, v58
	v_div_scale_f32 v67, vcc_lo, v58, v59, v58
	s_delay_alu instid0(VALU_DEP_2) | instskip(SKIP_1) | instid1(TRANS32_DEP_1)
	v_rcp_f32_e32 v65, v57
	v_nop
	v_fma_f32 v66, -v57, v65, 1.0
	s_delay_alu instid0(VALU_DEP_1) | instskip(NEXT) | instid1(VALU_DEP_1)
	v_fmac_f32_e32 v65, v66, v65
	v_mul_f32_e32 v66, v67, v65
	s_delay_alu instid0(VALU_DEP_1) | instskip(NEXT) | instid1(VALU_DEP_1)
	v_fma_f32 v68, -v57, v66, v67
	v_fmac_f32_e32 v66, v68, v65
	s_delay_alu instid0(VALU_DEP_1) | instskip(NEXT) | instid1(VALU_DEP_1)
	v_fma_f32 v57, -v57, v66, v67
	v_div_fmas_f32 v57, v57, v65, v66
	s_delay_alu instid0(VALU_DEP_1) | instskip(NEXT) | instid1(VALU_DEP_1)
	v_div_fixup_f32 v57, v57, v59, v58
	v_fmac_f32_e32 v59, v58, v57
	s_delay_alu instid0(VALU_DEP_1) | instskip(SKIP_1) | instid1(VALU_DEP_2)
	v_div_scale_f32 v58, null, v59, v59, 1.0
	v_div_scale_f32 v67, vcc_lo, 1.0, v59, 1.0
	v_rcp_f32_e32 v65, v58
	v_nop
	s_delay_alu instid0(TRANS32_DEP_1) | instskip(NEXT) | instid1(VALU_DEP_1)
	v_fma_f32 v66, -v58, v65, 1.0
	v_fmac_f32_e32 v65, v66, v65
	s_delay_alu instid0(VALU_DEP_1) | instskip(NEXT) | instid1(VALU_DEP_1)
	v_mul_f32_e32 v66, v67, v65
	v_fma_f32 v68, -v58, v66, v67
	s_delay_alu instid0(VALU_DEP_1) | instskip(NEXT) | instid1(VALU_DEP_1)
	v_fmac_f32_e32 v66, v68, v65
	v_fma_f32 v58, -v58, v66, v67
	s_delay_alu instid0(VALU_DEP_1) | instskip(NEXT) | instid1(VALU_DEP_1)
	v_div_fmas_f32 v58, v58, v65, v66
	v_div_fixup_f32 v59, v58, v59, 1.0
	s_delay_alu instid0(VALU_DEP_1)
	v_mul_f32_e32 v58, v57, v59
	v_xor_b32_e32 v59, 0x80000000, v59
.LBB48_112:
	s_and_not1_saveexec_b32 s1, s1
	s_cbranch_execz .LBB48_114
; %bb.113:
	s_delay_alu instid0(VALU_DEP_1) | instskip(SKIP_1) | instid1(VALU_DEP_2)
	v_div_scale_f32 v57, null, v58, v58, v59
	v_div_scale_f32 v67, vcc_lo, v59, v58, v59
	v_rcp_f32_e32 v65, v57
	v_nop
	s_delay_alu instid0(TRANS32_DEP_1) | instskip(NEXT) | instid1(VALU_DEP_1)
	v_fma_f32 v66, -v57, v65, 1.0
	v_fmac_f32_e32 v65, v66, v65
	s_delay_alu instid0(VALU_DEP_1) | instskip(NEXT) | instid1(VALU_DEP_1)
	v_mul_f32_e32 v66, v67, v65
	v_fma_f32 v68, -v57, v66, v67
	s_delay_alu instid0(VALU_DEP_1) | instskip(NEXT) | instid1(VALU_DEP_1)
	v_fmac_f32_e32 v66, v68, v65
	v_fma_f32 v57, -v57, v66, v67
	s_delay_alu instid0(VALU_DEP_1) | instskip(NEXT) | instid1(VALU_DEP_1)
	v_div_fmas_f32 v57, v57, v65, v66
	v_div_fixup_f32 v57, v57, v58, v59
	s_delay_alu instid0(VALU_DEP_1) | instskip(NEXT) | instid1(VALU_DEP_1)
	v_fmac_f32_e32 v58, v59, v57
	v_div_scale_f32 v59, null, v58, v58, 1.0
	s_delay_alu instid0(VALU_DEP_1) | instskip(SKIP_1) | instid1(TRANS32_DEP_1)
	v_rcp_f32_e32 v65, v59
	v_nop
	v_fma_f32 v66, -v59, v65, 1.0
	s_delay_alu instid0(VALU_DEP_1) | instskip(SKIP_1) | instid1(VALU_DEP_1)
	v_fmac_f32_e32 v65, v66, v65
	v_div_scale_f32 v66, vcc_lo, 1.0, v58, 1.0
	v_mul_f32_e32 v67, v66, v65
	s_delay_alu instid0(VALU_DEP_1) | instskip(NEXT) | instid1(VALU_DEP_1)
	v_fma_f32 v68, -v59, v67, v66
	v_fmac_f32_e32 v67, v68, v65
	s_delay_alu instid0(VALU_DEP_1) | instskip(NEXT) | instid1(VALU_DEP_1)
	v_fma_f32 v59, -v59, v67, v66
	v_div_fmas_f32 v59, v59, v65, v67
	s_delay_alu instid0(VALU_DEP_1) | instskip(NEXT) | instid1(VALU_DEP_1)
	v_div_fixup_f32 v58, v59, v58, 1.0
	v_mul_f32_e64 v59, v57, -v58
.LBB48_114:
	s_or_b32 exec_lo, exec_lo, s1
.LBB48_115:
	s_delay_alu instid0(SALU_CYCLE_1) | instskip(NEXT) | instid1(SALU_CYCLE_1)
	s_or_b32 exec_lo, exec_lo, s0
	s_mov_b32 s0, exec_lo
	v_cmpx_ne_u32_e64 v64, v56
	s_xor_b32 s0, exec_lo, s0
	s_cbranch_execz .LBB48_121
; %bb.116:
	s_mov_b32 s1, exec_lo
	v_cmpx_eq_u32_e32 5, v64
	s_cbranch_execz .LBB48_120
; %bb.117:
	v_cmp_ne_u32_e32 vcc_lo, 5, v56
	s_xor_b32 s12, s16, -1
	s_delay_alu instid0(SALU_CYCLE_1) | instskip(NEXT) | instid1(SALU_CYCLE_1)
	s_and_b32 s13, s12, vcc_lo
	s_and_saveexec_b32 s12, s13
	s_cbranch_execz .LBB48_119
; %bb.118:
	v_ashrrev_i32_e32 v57, 31, v56
	s_delay_alu instid0(VALU_DEP_1)
	v_lshl_add_u64 v[64:65], v[56:57], 2, v[4:5]
	s_clause 0x1
	global_load_b32 v57, v[64:65], off
	global_load_b32 v62, v[4:5], off offset:20
	s_wait_loadcnt 0x1
	global_store_b32 v[4:5], v57, off offset:20
	s_wait_loadcnt 0x0
	global_store_b32 v[64:65], v62, off
.LBB48_119:
	s_wait_xcnt 0x0
	s_or_b32 exec_lo, exec_lo, s12
	v_dual_mov_b32 v64, v56 :: v_dual_mov_b32 v62, v56
.LBB48_120:
	s_or_b32 exec_lo, exec_lo, s1
.LBB48_121:
	s_and_not1_saveexec_b32 s0, s0
	s_cbranch_execz .LBB48_123
; %bb.122:
	v_dual_mov_b32 v56, v42 :: v_dual_mov_b32 v57, v43
	v_dual_mov_b32 v64, v38 :: v_dual_mov_b32 v65, v39
	ds_store_2addr_b64 v60, v[56:57], v[64:65] offset0:6 offset1:7
	v_dual_mov_b32 v56, v36 :: v_dual_mov_b32 v57, v37
	v_dual_mov_b32 v64, v32 :: v_dual_mov_b32 v65, v33
	ds_store_2addr_b64 v60, v[56:57], v[64:65] offset0:8 offset1:9
	;; [unrolled: 3-line block ×9, first 2 shown]
	ds_store_b64 v60, v[54:55] offset:192
	v_mov_b32_e32 v64, 5
.LBB48_123:
	s_or_b32 exec_lo, exec_lo, s0
	s_delay_alu instid0(SALU_CYCLE_1)
	s_mov_b32 s0, exec_lo
	s_wait_storecnt_dscnt 0x0
	s_barrier_signal -1
	s_barrier_wait -1
	v_cmpx_lt_i32_e32 5, v64
	s_cbranch_execz .LBB48_125
; %bb.124:
	v_pk_mul_f32 v[66:67], v[58:59], v[40:41] op_sel:[1,1] op_sel_hi:[0,1]
	s_delay_alu instid0(VALU_DEP_1)
	v_pk_fma_f32 v[56:57], v[58:59], v[40:41], v[66:67] op_sel_hi:[1,0,1] neg_lo:[0,0,1] neg_hi:[0,0,1]
	v_pk_fma_f32 v[58:59], v[58:59], v[40:41], v[66:67] op_sel_hi:[1,0,1]
	ds_load_2addr_b64 v[66:69], v60 offset0:6 offset1:7
	v_dual_mov_b32 v40, v56 :: v_dual_mov_b32 v41, v59
	s_wait_dscnt 0x0
	v_pk_mul_f32 v[70:71], v[66:67], v[58:59] op_sel:[0,1]
	s_delay_alu instid0(VALU_DEP_1) | instskip(SKIP_1) | instid1(VALU_DEP_1)
	v_pk_fma_f32 v[72:73], v[66:67], v[56:57], v[70:71] op_sel:[0,0,1] op_sel_hi:[1,1,0] neg_lo:[0,0,1] neg_hi:[0,0,1]
	v_pk_fma_f32 v[66:67], v[66:67], v[56:57], v[70:71] op_sel:[0,0,1] op_sel_hi:[1,0,0]
	v_mov_b32_e32 v73, v67
	v_pk_mul_f32 v[66:67], v[68:69], v[58:59] op_sel:[0,1]
	s_delay_alu instid0(VALU_DEP_1) | instskip(SKIP_1) | instid1(VALU_DEP_1)
	v_pk_fma_f32 v[70:71], v[68:69], v[56:57], v[66:67] op_sel:[0,0,1] op_sel_hi:[1,1,0] neg_lo:[0,0,1] neg_hi:[0,0,1]
	v_pk_fma_f32 v[66:67], v[68:69], v[56:57], v[66:67] op_sel:[0,0,1] op_sel_hi:[1,0,0]
	v_mov_b32_e32 v71, v67
	ds_load_2addr_b64 v[66:69], v60 offset0:8 offset1:9
	v_pk_add_f32 v[42:43], v[42:43], v[72:73] neg_lo:[0,1] neg_hi:[0,1]
	v_pk_add_f32 v[38:39], v[38:39], v[70:71] neg_lo:[0,1] neg_hi:[0,1]
	s_wait_dscnt 0x0
	v_pk_mul_f32 v[70:71], v[66:67], v[58:59] op_sel:[0,1]
	s_delay_alu instid0(VALU_DEP_1) | instskip(SKIP_2) | instid1(VALU_DEP_2)
	v_pk_fma_f32 v[72:73], v[66:67], v[56:57], v[70:71] op_sel:[0,0,1] op_sel_hi:[1,1,0] neg_lo:[0,0,1] neg_hi:[0,0,1]
	v_pk_fma_f32 v[66:67], v[66:67], v[56:57], v[70:71] op_sel:[0,0,1] op_sel_hi:[1,0,0]
	v_dual_mul_f32 v70, v69, v59 :: v_dual_mov_b32 v66, v69
	v_dual_mov_b32 v73, v67 :: v_dual_mov_b32 v67, v68
	s_delay_alu instid0(VALU_DEP_2) | instskip(SKIP_1) | instid1(VALU_DEP_3)
	v_pk_fma_f32 v[70:71], v[68:69], v[40:41], v[70:71] op_sel_hi:[1,1,0] neg_lo:[0,0,1] neg_hi:[0,0,1]
	v_mul_f32_e32 v68, v69, v56
	v_pk_add_f32 v[36:37], v[36:37], v[72:73] neg_lo:[0,1] neg_hi:[0,1]
	s_delay_alu instid0(VALU_DEP_2) | instskip(NEXT) | instid1(VALU_DEP_1)
	v_pk_fma_f32 v[66:67], v[66:67], v[40:41], v[68:69] op_sel_hi:[1,1,0]
	v_mov_b32_e32 v71, v67
	ds_load_2addr_b64 v[66:69], v60 offset0:10 offset1:11
	v_pk_add_f32 v[32:33], v[32:33], v[70:71] neg_lo:[0,1] neg_hi:[0,1]
	s_wait_dscnt 0x0
	v_pk_mul_f32 v[70:71], v[66:67], v[58:59] op_sel:[0,1]
	s_delay_alu instid0(VALU_DEP_1) | instskip(SKIP_1) | instid1(VALU_DEP_1)
	v_pk_fma_f32 v[72:73], v[66:67], v[56:57], v[70:71] op_sel:[0,0,1] op_sel_hi:[1,1,0] neg_lo:[0,0,1] neg_hi:[0,0,1]
	v_pk_fma_f32 v[66:67], v[66:67], v[56:57], v[70:71] op_sel:[0,0,1] op_sel_hi:[1,0,0]
	v_mov_b32_e32 v73, v67
	v_pk_mul_f32 v[66:67], v[68:69], v[58:59] op_sel:[0,1]
	s_delay_alu instid0(VALU_DEP_1) | instskip(SKIP_1) | instid1(VALU_DEP_1)
	v_pk_fma_f32 v[70:71], v[68:69], v[56:57], v[66:67] op_sel:[0,0,1] op_sel_hi:[1,1,0] neg_lo:[0,0,1] neg_hi:[0,0,1]
	v_pk_fma_f32 v[66:67], v[68:69], v[56:57], v[66:67] op_sel:[0,0,1] op_sel_hi:[1,0,0]
	v_mov_b32_e32 v71, v67
	ds_load_2addr_b64 v[66:69], v60 offset0:12 offset1:13
	v_pk_add_f32 v[34:35], v[34:35], v[72:73] neg_lo:[0,1] neg_hi:[0,1]
	v_pk_add_f32 v[30:31], v[30:31], v[70:71] neg_lo:[0,1] neg_hi:[0,1]
	s_wait_dscnt 0x0
	v_pk_mul_f32 v[70:71], v[66:67], v[58:59] op_sel:[0,1]
	s_delay_alu instid0(VALU_DEP_1) | instskip(SKIP_1) | instid1(VALU_DEP_1)
	v_pk_fma_f32 v[72:73], v[66:67], v[56:57], v[70:71] op_sel:[0,0,1] op_sel_hi:[1,1,0] neg_lo:[0,0,1] neg_hi:[0,0,1]
	v_pk_fma_f32 v[66:67], v[66:67], v[56:57], v[70:71] op_sel:[0,0,1] op_sel_hi:[1,0,0]
	v_mov_b32_e32 v73, v67
	v_pk_mul_f32 v[66:67], v[68:69], v[58:59] op_sel:[0,1]
	s_delay_alu instid0(VALU_DEP_1) | instskip(SKIP_1) | instid1(VALU_DEP_1)
	v_pk_fma_f32 v[70:71], v[68:69], v[56:57], v[66:67] op_sel:[0,0,1] op_sel_hi:[1,1,0] neg_lo:[0,0,1] neg_hi:[0,0,1]
	v_pk_fma_f32 v[66:67], v[68:69], v[56:57], v[66:67] op_sel:[0,0,1] op_sel_hi:[1,0,0]
	v_mov_b32_e32 v71, v67
	ds_load_2addr_b64 v[66:69], v60 offset0:14 offset1:15
	v_pk_add_f32 v[24:25], v[24:25], v[72:73] neg_lo:[0,1] neg_hi:[0,1]
	v_pk_add_f32 v[20:21], v[20:21], v[70:71] neg_lo:[0,1] neg_hi:[0,1]
	s_wait_dscnt 0x0
	v_dual_mul_f32 v70, v67, v59 :: v_dual_mul_f32 v72, v67, v56
	s_delay_alu instid0(VALU_DEP_1) | instskip(NEXT) | instid1(VALU_DEP_2)
	v_pk_fma_f32 v[70:71], v[66:67], v[40:41], v[70:71] op_sel_hi:[1,1,0] neg_lo:[0,0,1] neg_hi:[0,0,1]
	v_pk_fma_f32 v[66:67], v[66:67], v[40:41], v[72:73] op_sel:[1,0,0] op_sel_hi:[0,1,0]
	s_delay_alu instid0(VALU_DEP_1) | instskip(SKIP_1) | instid1(VALU_DEP_2)
	v_mov_b32_e32 v71, v67
	v_pk_mul_f32 v[66:67], v[68:69], v[58:59] op_sel:[0,1]
	v_pk_add_f32 v[22:23], v[22:23], v[70:71] neg_lo:[0,1] neg_hi:[0,1]
	s_delay_alu instid0(VALU_DEP_2) | instskip(SKIP_1) | instid1(VALU_DEP_1)
	v_pk_fma_f32 v[70:71], v[68:69], v[56:57], v[66:67] op_sel:[0,0,1] op_sel_hi:[1,1,0] neg_lo:[0,0,1] neg_hi:[0,0,1]
	v_pk_fma_f32 v[66:67], v[68:69], v[56:57], v[66:67] op_sel:[0,0,1] op_sel_hi:[1,0,0]
	v_mov_b32_e32 v71, v67
	ds_load_2addr_b64 v[66:69], v60 offset0:16 offset1:17
	v_pk_add_f32 v[18:19], v[18:19], v[70:71] neg_lo:[0,1] neg_hi:[0,1]
	s_wait_dscnt 0x0
	v_pk_mul_f32 v[70:71], v[66:67], v[58:59] op_sel:[0,1]
	s_delay_alu instid0(VALU_DEP_1) | instskip(SKIP_1) | instid1(VALU_DEP_1)
	v_pk_fma_f32 v[72:73], v[66:67], v[56:57], v[70:71] op_sel:[0,0,1] op_sel_hi:[1,1,0] neg_lo:[0,0,1] neg_hi:[0,0,1]
	v_pk_fma_f32 v[66:67], v[66:67], v[56:57], v[70:71] op_sel:[0,0,1] op_sel_hi:[1,0,0]
	v_mov_b32_e32 v73, v67
	v_pk_mul_f32 v[66:67], v[68:69], v[58:59] op_sel:[0,1]
	s_delay_alu instid0(VALU_DEP_2) | instskip(NEXT) | instid1(VALU_DEP_2)
	v_pk_add_f32 v[14:15], v[14:15], v[72:73] neg_lo:[0,1] neg_hi:[0,1]
	v_pk_fma_f32 v[70:71], v[68:69], v[56:57], v[66:67] op_sel:[0,0,1] op_sel_hi:[1,1,0] neg_lo:[0,0,1] neg_hi:[0,0,1]
	v_pk_fma_f32 v[66:67], v[68:69], v[56:57], v[66:67] op_sel:[0,0,1] op_sel_hi:[1,0,0]
	s_delay_alu instid0(VALU_DEP_1) | instskip(SKIP_4) | instid1(VALU_DEP_1)
	v_mov_b32_e32 v71, v67
	ds_load_2addr_b64 v[66:69], v60 offset0:18 offset1:19
	v_pk_add_f32 v[10:11], v[10:11], v[70:71] neg_lo:[0,1] neg_hi:[0,1]
	s_wait_dscnt 0x0
	v_pk_mul_f32 v[70:71], v[66:67], v[58:59] op_sel:[0,1]
	v_pk_fma_f32 v[72:73], v[66:67], v[56:57], v[70:71] op_sel:[0,0,1] op_sel_hi:[1,1,0] neg_lo:[0,0,1] neg_hi:[0,0,1]
	v_pk_fma_f32 v[66:67], v[66:67], v[56:57], v[70:71] op_sel:[0,0,1] op_sel_hi:[1,0,0]
	v_dual_mul_f32 v70, v69, v59 :: v_dual_mov_b32 v66, v69
	s_delay_alu instid0(VALU_DEP_2) | instskip(NEXT) | instid1(VALU_DEP_2)
	v_dual_mov_b32 v73, v67 :: v_dual_mov_b32 v67, v68
	v_pk_fma_f32 v[70:71], v[68:69], v[40:41], v[70:71] op_sel_hi:[1,1,0] neg_lo:[0,0,1] neg_hi:[0,0,1]
	v_mul_f32_e32 v68, v69, v56
	s_delay_alu instid0(VALU_DEP_3) | instskip(NEXT) | instid1(VALU_DEP_2)
	v_pk_add_f32 v[12:13], v[12:13], v[72:73] neg_lo:[0,1] neg_hi:[0,1]
	v_pk_fma_f32 v[66:67], v[66:67], v[40:41], v[68:69] op_sel_hi:[1,1,0]
	s_delay_alu instid0(VALU_DEP_1) | instskip(SKIP_4) | instid1(VALU_DEP_1)
	v_mov_b32_e32 v71, v67
	ds_load_2addr_b64 v[66:69], v60 offset0:20 offset1:21
	v_pk_add_f32 v[8:9], v[8:9], v[70:71] neg_lo:[0,1] neg_hi:[0,1]
	s_wait_dscnt 0x0
	v_pk_mul_f32 v[70:71], v[66:67], v[58:59] op_sel:[0,1]
	v_pk_fma_f32 v[72:73], v[66:67], v[56:57], v[70:71] op_sel:[0,0,1] op_sel_hi:[1,1,0] neg_lo:[0,0,1] neg_hi:[0,0,1]
	v_pk_fma_f32 v[66:67], v[66:67], v[56:57], v[70:71] op_sel:[0,0,1] op_sel_hi:[1,0,0]
	s_delay_alu instid0(VALU_DEP_1) | instskip(SKIP_1) | instid1(VALU_DEP_1)
	v_mov_b32_e32 v73, v67
	v_pk_mul_f32 v[66:67], v[68:69], v[58:59] op_sel:[0,1]
	v_pk_fma_f32 v[70:71], v[68:69], v[56:57], v[66:67] op_sel:[0,0,1] op_sel_hi:[1,1,0] neg_lo:[0,0,1] neg_hi:[0,0,1]
	v_pk_fma_f32 v[66:67], v[68:69], v[56:57], v[66:67] op_sel:[0,0,1] op_sel_hi:[1,0,0]
	s_delay_alu instid0(VALU_DEP_1)
	v_mov_b32_e32 v71, v67
	ds_load_2addr_b64 v[66:69], v60 offset0:22 offset1:23
	v_pk_add_f32 v[6:7], v[6:7], v[72:73] neg_lo:[0,1] neg_hi:[0,1]
	v_pk_add_f32 v[28:29], v[28:29], v[70:71] neg_lo:[0,1] neg_hi:[0,1]
	s_wait_dscnt 0x0
	v_pk_mul_f32 v[70:71], v[66:67], v[58:59] op_sel:[0,1]
	s_delay_alu instid0(VALU_DEP_1) | instskip(SKIP_1) | instid1(VALU_DEP_1)
	v_pk_fma_f32 v[72:73], v[66:67], v[56:57], v[70:71] op_sel:[0,0,1] op_sel_hi:[1,1,0] neg_lo:[0,0,1] neg_hi:[0,0,1]
	v_pk_fma_f32 v[66:67], v[66:67], v[56:57], v[70:71] op_sel:[0,0,1] op_sel_hi:[1,0,0]
	v_mov_b32_e32 v73, v67
	v_pk_mul_f32 v[66:67], v[68:69], v[58:59] op_sel:[0,1]
	s_delay_alu instid0(VALU_DEP_1) | instskip(SKIP_1) | instid1(VALU_DEP_1)
	v_pk_fma_f32 v[70:71], v[68:69], v[56:57], v[66:67] op_sel:[0,0,1] op_sel_hi:[1,1,0] neg_lo:[0,0,1] neg_hi:[0,0,1]
	v_pk_fma_f32 v[66:67], v[68:69], v[56:57], v[66:67] op_sel:[0,0,1] op_sel_hi:[1,0,0]
	v_mov_b32_e32 v71, v67
	ds_load_b64 v[66:67], v60 offset:192
	v_pk_add_f32 v[26:27], v[26:27], v[72:73] neg_lo:[0,1] neg_hi:[0,1]
	v_pk_add_f32 v[16:17], v[16:17], v[70:71] neg_lo:[0,1] neg_hi:[0,1]
	s_wait_dscnt 0x0
	v_pk_mul_f32 v[58:59], v[66:67], v[58:59] op_sel:[0,1]
	s_delay_alu instid0(VALU_DEP_1) | instskip(SKIP_1) | instid1(VALU_DEP_1)
	v_pk_fma_f32 v[68:69], v[66:67], v[56:57], v[58:59] op_sel:[0,0,1] op_sel_hi:[1,1,0] neg_lo:[0,0,1] neg_hi:[0,0,1]
	v_pk_fma_f32 v[56:57], v[66:67], v[56:57], v[58:59] op_sel:[0,0,1] op_sel_hi:[1,0,0]
	v_mov_b32_e32 v69, v57
	s_delay_alu instid0(VALU_DEP_1)
	v_pk_add_f32 v[54:55], v[54:55], v[68:69] neg_lo:[0,1] neg_hi:[0,1]
.LBB48_125:
	s_or_b32 exec_lo, exec_lo, s0
	v_lshl_add_u32 v56, v64, 3, v60
	s_barrier_signal -1
	s_barrier_wait -1
	ds_store_b64 v56, v[42:43]
	s_wait_dscnt 0x0
	s_barrier_signal -1
	s_barrier_wait -1
	ds_load_b64 v[58:59], v60 offset:48
	v_mov_b32_e32 v56, 6
	s_cmp_lt_i32 s18, 8
	s_cbranch_scc1 .LBB48_128
; %bb.126:
	v_add3_u32 v57, v61, 0, 56
	v_mov_b32_e32 v56, 6
	s_mov_b32 s0, 7
.LBB48_127:                             ; =>This Inner Loop Header: Depth=1
	ds_load_b64 v[66:67], v57
	s_wait_dscnt 0x1
	v_cmp_gt_f32_e32 vcc_lo, 0, v58
	v_cndmask_b32_e64 v68, v58, -v58, vcc_lo
	v_cmp_gt_f32_e32 vcc_lo, 0, v59
	v_cndmask_b32_e64 v70, v59, -v59, vcc_lo
	s_wait_dscnt 0x0
	v_cmp_gt_f32_e32 vcc_lo, 0, v66
	v_cndmask_b32_e64 v69, v66, -v66, vcc_lo
	v_cmp_gt_f32_e32 vcc_lo, 0, v67
	v_cndmask_b32_e64 v71, v67, -v67, vcc_lo
	s_delay_alu instid0(VALU_DEP_1) | instskip(NEXT) | instid1(VALU_DEP_1)
	v_pk_add_f32 v[68:69], v[68:69], v[70:71]
	v_cmp_lt_f32_e32 vcc_lo, v68, v69
	v_dual_add_nc_u32 v57, 8, v57 :: v_dual_cndmask_b32 v59, v59, v67, vcc_lo
	v_cndmask_b32_e32 v58, v58, v66, vcc_lo
	v_cndmask_b32_e64 v56, v56, s0, vcc_lo
	s_add_co_i32 s0, s0, 1
	s_delay_alu instid0(SALU_CYCLE_1)
	s_cmp_lg_u32 s18, s0
	s_cbranch_scc1 .LBB48_127
.LBB48_128:
	s_wait_dscnt 0x0
	v_cmp_eq_f32_e32 vcc_lo, 0, v58
	v_cmp_eq_f32_e64 s0, 0, v59
	s_and_b32 s0, vcc_lo, s0
	s_delay_alu instid0(SALU_CYCLE_1) | instskip(NEXT) | instid1(SALU_CYCLE_1)
	s_and_saveexec_b32 s1, s0
	s_xor_b32 s0, exec_lo, s1
; %bb.129:
	v_cmp_ne_u32_e32 vcc_lo, 0, v63
	v_cndmask_b32_e32 v63, 7, v63, vcc_lo
; %bb.130:
	s_and_not1_saveexec_b32 s0, s0
	s_cbranch_execz .LBB48_136
; %bb.131:
	v_cmp_ngt_f32_e64 s1, |v58|, |v59|
	s_and_saveexec_b32 s12, s1
	s_delay_alu instid0(SALU_CYCLE_1)
	s_xor_b32 s1, exec_lo, s12
	s_cbranch_execz .LBB48_133
; %bb.132:
	v_div_scale_f32 v57, null, v59, v59, v58
	v_div_scale_f32 v67, vcc_lo, v58, v59, v58
	s_delay_alu instid0(VALU_DEP_2) | instskip(SKIP_1) | instid1(TRANS32_DEP_1)
	v_rcp_f32_e32 v65, v57
	v_nop
	v_fma_f32 v66, -v57, v65, 1.0
	s_delay_alu instid0(VALU_DEP_1) | instskip(NEXT) | instid1(VALU_DEP_1)
	v_fmac_f32_e32 v65, v66, v65
	v_mul_f32_e32 v66, v67, v65
	s_delay_alu instid0(VALU_DEP_1) | instskip(NEXT) | instid1(VALU_DEP_1)
	v_fma_f32 v68, -v57, v66, v67
	v_fmac_f32_e32 v66, v68, v65
	s_delay_alu instid0(VALU_DEP_1) | instskip(NEXT) | instid1(VALU_DEP_1)
	v_fma_f32 v57, -v57, v66, v67
	v_div_fmas_f32 v57, v57, v65, v66
	s_delay_alu instid0(VALU_DEP_1) | instskip(NEXT) | instid1(VALU_DEP_1)
	v_div_fixup_f32 v57, v57, v59, v58
	v_fmac_f32_e32 v59, v58, v57
	s_delay_alu instid0(VALU_DEP_1) | instskip(SKIP_1) | instid1(VALU_DEP_2)
	v_div_scale_f32 v58, null, v59, v59, 1.0
	v_div_scale_f32 v67, vcc_lo, 1.0, v59, 1.0
	v_rcp_f32_e32 v65, v58
	v_nop
	s_delay_alu instid0(TRANS32_DEP_1) | instskip(NEXT) | instid1(VALU_DEP_1)
	v_fma_f32 v66, -v58, v65, 1.0
	v_fmac_f32_e32 v65, v66, v65
	s_delay_alu instid0(VALU_DEP_1) | instskip(NEXT) | instid1(VALU_DEP_1)
	v_mul_f32_e32 v66, v67, v65
	v_fma_f32 v68, -v58, v66, v67
	s_delay_alu instid0(VALU_DEP_1) | instskip(NEXT) | instid1(VALU_DEP_1)
	v_fmac_f32_e32 v66, v68, v65
	v_fma_f32 v58, -v58, v66, v67
	s_delay_alu instid0(VALU_DEP_1) | instskip(NEXT) | instid1(VALU_DEP_1)
	v_div_fmas_f32 v58, v58, v65, v66
	v_div_fixup_f32 v59, v58, v59, 1.0
	s_delay_alu instid0(VALU_DEP_1)
	v_mul_f32_e32 v58, v57, v59
	v_xor_b32_e32 v59, 0x80000000, v59
.LBB48_133:
	s_and_not1_saveexec_b32 s1, s1
	s_cbranch_execz .LBB48_135
; %bb.134:
	s_delay_alu instid0(VALU_DEP_1) | instskip(SKIP_1) | instid1(VALU_DEP_2)
	v_div_scale_f32 v57, null, v58, v58, v59
	v_div_scale_f32 v67, vcc_lo, v59, v58, v59
	v_rcp_f32_e32 v65, v57
	v_nop
	s_delay_alu instid0(TRANS32_DEP_1) | instskip(NEXT) | instid1(VALU_DEP_1)
	v_fma_f32 v66, -v57, v65, 1.0
	v_fmac_f32_e32 v65, v66, v65
	s_delay_alu instid0(VALU_DEP_1) | instskip(NEXT) | instid1(VALU_DEP_1)
	v_mul_f32_e32 v66, v67, v65
	v_fma_f32 v68, -v57, v66, v67
	s_delay_alu instid0(VALU_DEP_1) | instskip(NEXT) | instid1(VALU_DEP_1)
	v_fmac_f32_e32 v66, v68, v65
	v_fma_f32 v57, -v57, v66, v67
	s_delay_alu instid0(VALU_DEP_1) | instskip(NEXT) | instid1(VALU_DEP_1)
	v_div_fmas_f32 v57, v57, v65, v66
	v_div_fixup_f32 v57, v57, v58, v59
	s_delay_alu instid0(VALU_DEP_1) | instskip(NEXT) | instid1(VALU_DEP_1)
	v_fmac_f32_e32 v58, v59, v57
	v_div_scale_f32 v59, null, v58, v58, 1.0
	s_delay_alu instid0(VALU_DEP_1) | instskip(SKIP_1) | instid1(TRANS32_DEP_1)
	v_rcp_f32_e32 v65, v59
	v_nop
	v_fma_f32 v66, -v59, v65, 1.0
	s_delay_alu instid0(VALU_DEP_1) | instskip(SKIP_1) | instid1(VALU_DEP_1)
	v_fmac_f32_e32 v65, v66, v65
	v_div_scale_f32 v66, vcc_lo, 1.0, v58, 1.0
	v_mul_f32_e32 v67, v66, v65
	s_delay_alu instid0(VALU_DEP_1) | instskip(NEXT) | instid1(VALU_DEP_1)
	v_fma_f32 v68, -v59, v67, v66
	v_fmac_f32_e32 v67, v68, v65
	s_delay_alu instid0(VALU_DEP_1) | instskip(NEXT) | instid1(VALU_DEP_1)
	v_fma_f32 v59, -v59, v67, v66
	v_div_fmas_f32 v59, v59, v65, v67
	s_delay_alu instid0(VALU_DEP_1) | instskip(NEXT) | instid1(VALU_DEP_1)
	v_div_fixup_f32 v58, v59, v58, 1.0
	v_mul_f32_e64 v59, v57, -v58
.LBB48_135:
	s_or_b32 exec_lo, exec_lo, s1
.LBB48_136:
	s_delay_alu instid0(SALU_CYCLE_1) | instskip(NEXT) | instid1(SALU_CYCLE_1)
	s_or_b32 exec_lo, exec_lo, s0
	s_mov_b32 s0, exec_lo
	v_cmpx_ne_u32_e64 v64, v56
	s_xor_b32 s0, exec_lo, s0
	s_cbranch_execz .LBB48_142
; %bb.137:
	s_mov_b32 s1, exec_lo
	v_cmpx_eq_u32_e32 6, v64
	s_cbranch_execz .LBB48_141
; %bb.138:
	v_cmp_ne_u32_e32 vcc_lo, 6, v56
	s_xor_b32 s12, s16, -1
	s_delay_alu instid0(SALU_CYCLE_1) | instskip(NEXT) | instid1(SALU_CYCLE_1)
	s_and_b32 s13, s12, vcc_lo
	s_and_saveexec_b32 s12, s13
	s_cbranch_execz .LBB48_140
; %bb.139:
	v_ashrrev_i32_e32 v57, 31, v56
	s_delay_alu instid0(VALU_DEP_1)
	v_lshl_add_u64 v[64:65], v[56:57], 2, v[4:5]
	s_clause 0x1
	global_load_b32 v57, v[64:65], off
	global_load_b32 v62, v[4:5], off offset:24
	s_wait_loadcnt 0x1
	global_store_b32 v[4:5], v57, off offset:24
	s_wait_loadcnt 0x0
	global_store_b32 v[64:65], v62, off
.LBB48_140:
	s_wait_xcnt 0x0
	s_or_b32 exec_lo, exec_lo, s12
	v_dual_mov_b32 v64, v56 :: v_dual_mov_b32 v62, v56
.LBB48_141:
	s_or_b32 exec_lo, exec_lo, s1
.LBB48_142:
	s_and_not1_saveexec_b32 s0, s0
	s_cbranch_execz .LBB48_144
; %bb.143:
	v_mov_b32_e32 v64, 6
	ds_store_2addr_b64 v60, v[38:39], v[36:37] offset0:7 offset1:8
	ds_store_2addr_b64 v60, v[32:33], v[34:35] offset0:9 offset1:10
	;; [unrolled: 1-line block ×9, first 2 shown]
.LBB48_144:
	s_or_b32 exec_lo, exec_lo, s0
	s_delay_alu instid0(SALU_CYCLE_1)
	s_mov_b32 s0, exec_lo
	s_wait_storecnt_dscnt 0x0
	s_barrier_signal -1
	s_barrier_wait -1
	v_cmpx_lt_i32_e32 6, v64
	s_cbranch_execz .LBB48_146
; %bb.145:
	v_pk_mul_f32 v[66:67], v[58:59], v[42:43] op_sel:[1,1] op_sel_hi:[0,1]
	s_delay_alu instid0(VALU_DEP_1)
	v_pk_fma_f32 v[56:57], v[58:59], v[42:43], v[66:67] op_sel_hi:[1,0,1] neg_lo:[0,0,1] neg_hi:[0,0,1]
	v_pk_fma_f32 v[58:59], v[58:59], v[42:43], v[66:67] op_sel_hi:[1,0,1]
	ds_load_2addr_b64 v[66:69], v60 offset0:7 offset1:8
	v_dual_mov_b32 v42, v56 :: v_dual_mov_b32 v43, v59
	s_wait_dscnt 0x0
	v_pk_mul_f32 v[70:71], v[66:67], v[58:59] op_sel:[0,1]
	s_delay_alu instid0(VALU_DEP_1) | instskip(SKIP_1) | instid1(VALU_DEP_1)
	v_pk_fma_f32 v[72:73], v[66:67], v[56:57], v[70:71] op_sel:[0,0,1] op_sel_hi:[1,1,0] neg_lo:[0,0,1] neg_hi:[0,0,1]
	v_pk_fma_f32 v[66:67], v[66:67], v[56:57], v[70:71] op_sel:[0,0,1] op_sel_hi:[1,0,0]
	v_mov_b32_e32 v73, v67
	v_pk_mul_f32 v[66:67], v[68:69], v[58:59] op_sel:[0,1]
	s_delay_alu instid0(VALU_DEP_1) | instskip(SKIP_1) | instid1(VALU_DEP_1)
	v_pk_fma_f32 v[70:71], v[68:69], v[56:57], v[66:67] op_sel:[0,0,1] op_sel_hi:[1,1,0] neg_lo:[0,0,1] neg_hi:[0,0,1]
	v_pk_fma_f32 v[66:67], v[68:69], v[56:57], v[66:67] op_sel:[0,0,1] op_sel_hi:[1,0,0]
	v_mov_b32_e32 v71, v67
	ds_load_2addr_b64 v[66:69], v60 offset0:9 offset1:10
	v_pk_add_f32 v[38:39], v[38:39], v[72:73] neg_lo:[0,1] neg_hi:[0,1]
	v_pk_add_f32 v[36:37], v[36:37], v[70:71] neg_lo:[0,1] neg_hi:[0,1]
	s_wait_dscnt 0x0
	v_pk_mul_f32 v[70:71], v[66:67], v[58:59] op_sel:[0,1]
	s_delay_alu instid0(VALU_DEP_1) | instskip(SKIP_2) | instid1(VALU_DEP_2)
	v_pk_fma_f32 v[72:73], v[66:67], v[56:57], v[70:71] op_sel:[0,0,1] op_sel_hi:[1,1,0] neg_lo:[0,0,1] neg_hi:[0,0,1]
	v_pk_fma_f32 v[66:67], v[66:67], v[56:57], v[70:71] op_sel:[0,0,1] op_sel_hi:[1,0,0]
	v_dual_mul_f32 v70, v69, v59 :: v_dual_mov_b32 v66, v69
	v_dual_mov_b32 v73, v67 :: v_dual_mov_b32 v67, v68
	s_delay_alu instid0(VALU_DEP_2) | instskip(SKIP_1) | instid1(VALU_DEP_3)
	v_pk_fma_f32 v[70:71], v[68:69], v[42:43], v[70:71] op_sel_hi:[1,1,0] neg_lo:[0,0,1] neg_hi:[0,0,1]
	v_mul_f32_e32 v68, v69, v56
	v_pk_add_f32 v[32:33], v[32:33], v[72:73] neg_lo:[0,1] neg_hi:[0,1]
	s_delay_alu instid0(VALU_DEP_2) | instskip(NEXT) | instid1(VALU_DEP_1)
	v_pk_fma_f32 v[66:67], v[66:67], v[42:43], v[68:69] op_sel_hi:[1,1,0]
	v_mov_b32_e32 v71, v67
	ds_load_2addr_b64 v[66:69], v60 offset0:11 offset1:12
	v_pk_add_f32 v[34:35], v[34:35], v[70:71] neg_lo:[0,1] neg_hi:[0,1]
	s_wait_dscnt 0x0
	v_pk_mul_f32 v[70:71], v[66:67], v[58:59] op_sel:[0,1]
	s_delay_alu instid0(VALU_DEP_1) | instskip(SKIP_1) | instid1(VALU_DEP_1)
	v_pk_fma_f32 v[72:73], v[66:67], v[56:57], v[70:71] op_sel:[0,0,1] op_sel_hi:[1,1,0] neg_lo:[0,0,1] neg_hi:[0,0,1]
	v_pk_fma_f32 v[66:67], v[66:67], v[56:57], v[70:71] op_sel:[0,0,1] op_sel_hi:[1,0,0]
	v_mov_b32_e32 v73, v67
	v_pk_mul_f32 v[66:67], v[68:69], v[58:59] op_sel:[0,1]
	s_delay_alu instid0(VALU_DEP_1) | instskip(SKIP_1) | instid1(VALU_DEP_1)
	v_pk_fma_f32 v[70:71], v[68:69], v[56:57], v[66:67] op_sel:[0,0,1] op_sel_hi:[1,1,0] neg_lo:[0,0,1] neg_hi:[0,0,1]
	v_pk_fma_f32 v[66:67], v[68:69], v[56:57], v[66:67] op_sel:[0,0,1] op_sel_hi:[1,0,0]
	v_mov_b32_e32 v71, v67
	ds_load_2addr_b64 v[66:69], v60 offset0:13 offset1:14
	v_pk_add_f32 v[30:31], v[30:31], v[72:73] neg_lo:[0,1] neg_hi:[0,1]
	v_pk_add_f32 v[24:25], v[24:25], v[70:71] neg_lo:[0,1] neg_hi:[0,1]
	s_wait_dscnt 0x0
	v_pk_mul_f32 v[70:71], v[66:67], v[58:59] op_sel:[0,1]
	s_delay_alu instid0(VALU_DEP_1) | instskip(SKIP_1) | instid1(VALU_DEP_1)
	v_pk_fma_f32 v[72:73], v[66:67], v[56:57], v[70:71] op_sel:[0,0,1] op_sel_hi:[1,1,0] neg_lo:[0,0,1] neg_hi:[0,0,1]
	v_pk_fma_f32 v[66:67], v[66:67], v[56:57], v[70:71] op_sel:[0,0,1] op_sel_hi:[1,0,0]
	v_mov_b32_e32 v73, v67
	v_pk_mul_f32 v[66:67], v[68:69], v[58:59] op_sel:[0,1]
	s_delay_alu instid0(VALU_DEP_1) | instskip(SKIP_1) | instid1(VALU_DEP_1)
	v_pk_fma_f32 v[70:71], v[68:69], v[56:57], v[66:67] op_sel:[0,0,1] op_sel_hi:[1,1,0] neg_lo:[0,0,1] neg_hi:[0,0,1]
	v_pk_fma_f32 v[66:67], v[68:69], v[56:57], v[66:67] op_sel:[0,0,1] op_sel_hi:[1,0,0]
	v_mov_b32_e32 v71, v67
	ds_load_2addr_b64 v[66:69], v60 offset0:15 offset1:16
	v_pk_add_f32 v[20:21], v[20:21], v[72:73] neg_lo:[0,1] neg_hi:[0,1]
	v_pk_add_f32 v[22:23], v[22:23], v[70:71] neg_lo:[0,1] neg_hi:[0,1]
	s_wait_dscnt 0x0
	v_dual_mul_f32 v70, v67, v59 :: v_dual_mul_f32 v72, v67, v56
	s_delay_alu instid0(VALU_DEP_1) | instskip(NEXT) | instid1(VALU_DEP_2)
	v_pk_fma_f32 v[70:71], v[66:67], v[42:43], v[70:71] op_sel_hi:[1,1,0] neg_lo:[0,0,1] neg_hi:[0,0,1]
	v_pk_fma_f32 v[66:67], v[66:67], v[42:43], v[72:73] op_sel:[1,0,0] op_sel_hi:[0,1,0]
	s_delay_alu instid0(VALU_DEP_1) | instskip(SKIP_1) | instid1(VALU_DEP_2)
	v_mov_b32_e32 v71, v67
	v_pk_mul_f32 v[66:67], v[68:69], v[58:59] op_sel:[0,1]
	v_pk_add_f32 v[18:19], v[18:19], v[70:71] neg_lo:[0,1] neg_hi:[0,1]
	s_delay_alu instid0(VALU_DEP_2) | instskip(SKIP_1) | instid1(VALU_DEP_1)
	v_pk_fma_f32 v[70:71], v[68:69], v[56:57], v[66:67] op_sel:[0,0,1] op_sel_hi:[1,1,0] neg_lo:[0,0,1] neg_hi:[0,0,1]
	v_pk_fma_f32 v[66:67], v[68:69], v[56:57], v[66:67] op_sel:[0,0,1] op_sel_hi:[1,0,0]
	v_mov_b32_e32 v71, v67
	ds_load_2addr_b64 v[66:69], v60 offset0:17 offset1:18
	v_pk_add_f32 v[14:15], v[14:15], v[70:71] neg_lo:[0,1] neg_hi:[0,1]
	s_wait_dscnt 0x0
	v_pk_mul_f32 v[70:71], v[66:67], v[58:59] op_sel:[0,1]
	s_delay_alu instid0(VALU_DEP_1) | instskip(SKIP_1) | instid1(VALU_DEP_1)
	v_pk_fma_f32 v[72:73], v[66:67], v[56:57], v[70:71] op_sel:[0,0,1] op_sel_hi:[1,1,0] neg_lo:[0,0,1] neg_hi:[0,0,1]
	v_pk_fma_f32 v[66:67], v[66:67], v[56:57], v[70:71] op_sel:[0,0,1] op_sel_hi:[1,0,0]
	v_mov_b32_e32 v73, v67
	v_pk_mul_f32 v[66:67], v[68:69], v[58:59] op_sel:[0,1]
	s_delay_alu instid0(VALU_DEP_2) | instskip(NEXT) | instid1(VALU_DEP_2)
	v_pk_add_f32 v[10:11], v[10:11], v[72:73] neg_lo:[0,1] neg_hi:[0,1]
	v_pk_fma_f32 v[70:71], v[68:69], v[56:57], v[66:67] op_sel:[0,0,1] op_sel_hi:[1,1,0] neg_lo:[0,0,1] neg_hi:[0,0,1]
	v_pk_fma_f32 v[66:67], v[68:69], v[56:57], v[66:67] op_sel:[0,0,1] op_sel_hi:[1,0,0]
	s_delay_alu instid0(VALU_DEP_1) | instskip(SKIP_4) | instid1(VALU_DEP_1)
	v_mov_b32_e32 v71, v67
	ds_load_2addr_b64 v[66:69], v60 offset0:19 offset1:20
	v_pk_add_f32 v[12:13], v[12:13], v[70:71] neg_lo:[0,1] neg_hi:[0,1]
	s_wait_dscnt 0x0
	v_pk_mul_f32 v[70:71], v[66:67], v[58:59] op_sel:[0,1]
	v_pk_fma_f32 v[72:73], v[66:67], v[56:57], v[70:71] op_sel:[0,0,1] op_sel_hi:[1,1,0] neg_lo:[0,0,1] neg_hi:[0,0,1]
	v_pk_fma_f32 v[66:67], v[66:67], v[56:57], v[70:71] op_sel:[0,0,1] op_sel_hi:[1,0,0]
	v_dual_mul_f32 v70, v69, v59 :: v_dual_mov_b32 v66, v69
	s_delay_alu instid0(VALU_DEP_2) | instskip(NEXT) | instid1(VALU_DEP_2)
	v_dual_mov_b32 v73, v67 :: v_dual_mov_b32 v67, v68
	v_pk_fma_f32 v[70:71], v[68:69], v[42:43], v[70:71] op_sel_hi:[1,1,0] neg_lo:[0,0,1] neg_hi:[0,0,1]
	v_mul_f32_e32 v68, v69, v56
	s_delay_alu instid0(VALU_DEP_3) | instskip(NEXT) | instid1(VALU_DEP_2)
	v_pk_add_f32 v[8:9], v[8:9], v[72:73] neg_lo:[0,1] neg_hi:[0,1]
	v_pk_fma_f32 v[66:67], v[66:67], v[42:43], v[68:69] op_sel_hi:[1,1,0]
	s_delay_alu instid0(VALU_DEP_1) | instskip(SKIP_4) | instid1(VALU_DEP_1)
	v_mov_b32_e32 v71, v67
	ds_load_2addr_b64 v[66:69], v60 offset0:21 offset1:22
	v_pk_add_f32 v[6:7], v[6:7], v[70:71] neg_lo:[0,1] neg_hi:[0,1]
	s_wait_dscnt 0x0
	v_pk_mul_f32 v[70:71], v[66:67], v[58:59] op_sel:[0,1]
	v_pk_fma_f32 v[72:73], v[66:67], v[56:57], v[70:71] op_sel:[0,0,1] op_sel_hi:[1,1,0] neg_lo:[0,0,1] neg_hi:[0,0,1]
	v_pk_fma_f32 v[66:67], v[66:67], v[56:57], v[70:71] op_sel:[0,0,1] op_sel_hi:[1,0,0]
	s_delay_alu instid0(VALU_DEP_1) | instskip(SKIP_1) | instid1(VALU_DEP_1)
	v_mov_b32_e32 v73, v67
	v_pk_mul_f32 v[66:67], v[68:69], v[58:59] op_sel:[0,1]
	v_pk_fma_f32 v[70:71], v[68:69], v[56:57], v[66:67] op_sel:[0,0,1] op_sel_hi:[1,1,0] neg_lo:[0,0,1] neg_hi:[0,0,1]
	v_pk_fma_f32 v[66:67], v[68:69], v[56:57], v[66:67] op_sel:[0,0,1] op_sel_hi:[1,0,0]
	s_delay_alu instid0(VALU_DEP_1)
	v_mov_b32_e32 v71, v67
	ds_load_2addr_b64 v[66:69], v60 offset0:23 offset1:24
	v_pk_add_f32 v[28:29], v[28:29], v[72:73] neg_lo:[0,1] neg_hi:[0,1]
	v_pk_add_f32 v[26:27], v[26:27], v[70:71] neg_lo:[0,1] neg_hi:[0,1]
	s_wait_dscnt 0x0
	v_pk_mul_f32 v[70:71], v[66:67], v[58:59] op_sel:[0,1]
	v_mul_f32_e32 v58, v69, v59
	s_delay_alu instid0(VALU_DEP_2) | instskip(SKIP_2) | instid1(VALU_DEP_4)
	v_pk_fma_f32 v[72:73], v[66:67], v[56:57], v[70:71] op_sel:[0,0,1] op_sel_hi:[1,1,0] neg_lo:[0,0,1] neg_hi:[0,0,1]
	v_pk_fma_f32 v[66:67], v[66:67], v[56:57], v[70:71] op_sel:[0,0,1] op_sel_hi:[1,0,0]
	v_dual_mov_b32 v66, v69 :: v_dual_mul_f32 v56, v69, v56
	v_pk_fma_f32 v[58:59], v[68:69], v[42:43], v[58:59] op_sel_hi:[1,1,0] neg_lo:[0,0,1] neg_hi:[0,0,1]
	s_delay_alu instid0(VALU_DEP_3) | instskip(NEXT) | instid1(VALU_DEP_1)
	v_dual_mov_b32 v73, v67 :: v_dual_mov_b32 v67, v68
	v_pk_add_f32 v[16:17], v[16:17], v[72:73] neg_lo:[0,1] neg_hi:[0,1]
	s_delay_alu instid0(VALU_DEP_2) | instskip(NEXT) | instid1(VALU_DEP_1)
	v_pk_fma_f32 v[56:57], v[66:67], v[42:43], v[56:57] op_sel_hi:[1,1,0]
	v_mov_b32_e32 v59, v57
	s_delay_alu instid0(VALU_DEP_1)
	v_pk_add_f32 v[54:55], v[54:55], v[58:59] neg_lo:[0,1] neg_hi:[0,1]
.LBB48_146:
	s_or_b32 exec_lo, exec_lo, s0
	v_lshl_add_u32 v56, v64, 3, v60
	s_barrier_signal -1
	s_barrier_wait -1
	ds_store_b64 v56, v[38:39]
	s_wait_dscnt 0x0
	s_barrier_signal -1
	s_barrier_wait -1
	ds_load_b64 v[58:59], v60 offset:56
	v_mov_b32_e32 v56, 7
	s_cmp_lt_i32 s18, 9
	s_cbranch_scc1 .LBB48_149
; %bb.147:
	v_add3_u32 v57, v61, 0, 64
	v_mov_b32_e32 v56, 7
	s_mov_b32 s0, 8
.LBB48_148:                             ; =>This Inner Loop Header: Depth=1
	ds_load_b64 v[66:67], v57
	s_wait_dscnt 0x1
	v_cmp_gt_f32_e32 vcc_lo, 0, v58
	v_cndmask_b32_e64 v68, v58, -v58, vcc_lo
	v_cmp_gt_f32_e32 vcc_lo, 0, v59
	v_cndmask_b32_e64 v70, v59, -v59, vcc_lo
	s_wait_dscnt 0x0
	v_cmp_gt_f32_e32 vcc_lo, 0, v66
	v_cndmask_b32_e64 v69, v66, -v66, vcc_lo
	v_cmp_gt_f32_e32 vcc_lo, 0, v67
	v_cndmask_b32_e64 v71, v67, -v67, vcc_lo
	s_delay_alu instid0(VALU_DEP_1) | instskip(NEXT) | instid1(VALU_DEP_1)
	v_pk_add_f32 v[68:69], v[68:69], v[70:71]
	v_cmp_lt_f32_e32 vcc_lo, v68, v69
	v_dual_add_nc_u32 v57, 8, v57 :: v_dual_cndmask_b32 v59, v59, v67, vcc_lo
	v_cndmask_b32_e32 v58, v58, v66, vcc_lo
	v_cndmask_b32_e64 v56, v56, s0, vcc_lo
	s_add_co_i32 s0, s0, 1
	s_delay_alu instid0(SALU_CYCLE_1)
	s_cmp_lg_u32 s18, s0
	s_cbranch_scc1 .LBB48_148
.LBB48_149:
	s_wait_dscnt 0x0
	v_cmp_eq_f32_e32 vcc_lo, 0, v58
	v_cmp_eq_f32_e64 s0, 0, v59
	s_and_b32 s0, vcc_lo, s0
	s_delay_alu instid0(SALU_CYCLE_1) | instskip(NEXT) | instid1(SALU_CYCLE_1)
	s_and_saveexec_b32 s1, s0
	s_xor_b32 s0, exec_lo, s1
; %bb.150:
	v_cmp_ne_u32_e32 vcc_lo, 0, v63
	v_cndmask_b32_e32 v63, 8, v63, vcc_lo
; %bb.151:
	s_and_not1_saveexec_b32 s0, s0
	s_cbranch_execz .LBB48_157
; %bb.152:
	v_cmp_ngt_f32_e64 s1, |v58|, |v59|
	s_and_saveexec_b32 s12, s1
	s_delay_alu instid0(SALU_CYCLE_1)
	s_xor_b32 s1, exec_lo, s12
	s_cbranch_execz .LBB48_154
; %bb.153:
	v_div_scale_f32 v57, null, v59, v59, v58
	v_div_scale_f32 v67, vcc_lo, v58, v59, v58
	s_delay_alu instid0(VALU_DEP_2) | instskip(SKIP_1) | instid1(TRANS32_DEP_1)
	v_rcp_f32_e32 v65, v57
	v_nop
	v_fma_f32 v66, -v57, v65, 1.0
	s_delay_alu instid0(VALU_DEP_1) | instskip(NEXT) | instid1(VALU_DEP_1)
	v_fmac_f32_e32 v65, v66, v65
	v_mul_f32_e32 v66, v67, v65
	s_delay_alu instid0(VALU_DEP_1) | instskip(NEXT) | instid1(VALU_DEP_1)
	v_fma_f32 v68, -v57, v66, v67
	v_fmac_f32_e32 v66, v68, v65
	s_delay_alu instid0(VALU_DEP_1) | instskip(NEXT) | instid1(VALU_DEP_1)
	v_fma_f32 v57, -v57, v66, v67
	v_div_fmas_f32 v57, v57, v65, v66
	s_delay_alu instid0(VALU_DEP_1) | instskip(NEXT) | instid1(VALU_DEP_1)
	v_div_fixup_f32 v57, v57, v59, v58
	v_fmac_f32_e32 v59, v58, v57
	s_delay_alu instid0(VALU_DEP_1) | instskip(SKIP_1) | instid1(VALU_DEP_2)
	v_div_scale_f32 v58, null, v59, v59, 1.0
	v_div_scale_f32 v67, vcc_lo, 1.0, v59, 1.0
	v_rcp_f32_e32 v65, v58
	v_nop
	s_delay_alu instid0(TRANS32_DEP_1) | instskip(NEXT) | instid1(VALU_DEP_1)
	v_fma_f32 v66, -v58, v65, 1.0
	v_fmac_f32_e32 v65, v66, v65
	s_delay_alu instid0(VALU_DEP_1) | instskip(NEXT) | instid1(VALU_DEP_1)
	v_mul_f32_e32 v66, v67, v65
	v_fma_f32 v68, -v58, v66, v67
	s_delay_alu instid0(VALU_DEP_1) | instskip(NEXT) | instid1(VALU_DEP_1)
	v_fmac_f32_e32 v66, v68, v65
	v_fma_f32 v58, -v58, v66, v67
	s_delay_alu instid0(VALU_DEP_1) | instskip(NEXT) | instid1(VALU_DEP_1)
	v_div_fmas_f32 v58, v58, v65, v66
	v_div_fixup_f32 v59, v58, v59, 1.0
	s_delay_alu instid0(VALU_DEP_1)
	v_mul_f32_e32 v58, v57, v59
	v_xor_b32_e32 v59, 0x80000000, v59
.LBB48_154:
	s_and_not1_saveexec_b32 s1, s1
	s_cbranch_execz .LBB48_156
; %bb.155:
	s_delay_alu instid0(VALU_DEP_1) | instskip(SKIP_1) | instid1(VALU_DEP_2)
	v_div_scale_f32 v57, null, v58, v58, v59
	v_div_scale_f32 v67, vcc_lo, v59, v58, v59
	v_rcp_f32_e32 v65, v57
	v_nop
	s_delay_alu instid0(TRANS32_DEP_1) | instskip(NEXT) | instid1(VALU_DEP_1)
	v_fma_f32 v66, -v57, v65, 1.0
	v_fmac_f32_e32 v65, v66, v65
	s_delay_alu instid0(VALU_DEP_1) | instskip(NEXT) | instid1(VALU_DEP_1)
	v_mul_f32_e32 v66, v67, v65
	v_fma_f32 v68, -v57, v66, v67
	s_delay_alu instid0(VALU_DEP_1) | instskip(NEXT) | instid1(VALU_DEP_1)
	v_fmac_f32_e32 v66, v68, v65
	v_fma_f32 v57, -v57, v66, v67
	s_delay_alu instid0(VALU_DEP_1) | instskip(NEXT) | instid1(VALU_DEP_1)
	v_div_fmas_f32 v57, v57, v65, v66
	v_div_fixup_f32 v57, v57, v58, v59
	s_delay_alu instid0(VALU_DEP_1) | instskip(NEXT) | instid1(VALU_DEP_1)
	v_fmac_f32_e32 v58, v59, v57
	v_div_scale_f32 v59, null, v58, v58, 1.0
	s_delay_alu instid0(VALU_DEP_1) | instskip(SKIP_1) | instid1(TRANS32_DEP_1)
	v_rcp_f32_e32 v65, v59
	v_nop
	v_fma_f32 v66, -v59, v65, 1.0
	s_delay_alu instid0(VALU_DEP_1) | instskip(SKIP_1) | instid1(VALU_DEP_1)
	v_fmac_f32_e32 v65, v66, v65
	v_div_scale_f32 v66, vcc_lo, 1.0, v58, 1.0
	v_mul_f32_e32 v67, v66, v65
	s_delay_alu instid0(VALU_DEP_1) | instskip(NEXT) | instid1(VALU_DEP_1)
	v_fma_f32 v68, -v59, v67, v66
	v_fmac_f32_e32 v67, v68, v65
	s_delay_alu instid0(VALU_DEP_1) | instskip(NEXT) | instid1(VALU_DEP_1)
	v_fma_f32 v59, -v59, v67, v66
	v_div_fmas_f32 v59, v59, v65, v67
	s_delay_alu instid0(VALU_DEP_1) | instskip(NEXT) | instid1(VALU_DEP_1)
	v_div_fixup_f32 v58, v59, v58, 1.0
	v_mul_f32_e64 v59, v57, -v58
.LBB48_156:
	s_or_b32 exec_lo, exec_lo, s1
.LBB48_157:
	s_delay_alu instid0(SALU_CYCLE_1) | instskip(NEXT) | instid1(SALU_CYCLE_1)
	s_or_b32 exec_lo, exec_lo, s0
	s_mov_b32 s0, exec_lo
	v_cmpx_ne_u32_e64 v64, v56
	s_xor_b32 s0, exec_lo, s0
	s_cbranch_execz .LBB48_163
; %bb.158:
	s_mov_b32 s1, exec_lo
	v_cmpx_eq_u32_e32 7, v64
	s_cbranch_execz .LBB48_162
; %bb.159:
	v_cmp_ne_u32_e32 vcc_lo, 7, v56
	s_xor_b32 s12, s16, -1
	s_delay_alu instid0(SALU_CYCLE_1) | instskip(NEXT) | instid1(SALU_CYCLE_1)
	s_and_b32 s13, s12, vcc_lo
	s_and_saveexec_b32 s12, s13
	s_cbranch_execz .LBB48_161
; %bb.160:
	v_ashrrev_i32_e32 v57, 31, v56
	s_delay_alu instid0(VALU_DEP_1)
	v_lshl_add_u64 v[64:65], v[56:57], 2, v[4:5]
	s_clause 0x1
	global_load_b32 v57, v[64:65], off
	global_load_b32 v62, v[4:5], off offset:28
	s_wait_loadcnt 0x1
	global_store_b32 v[4:5], v57, off offset:28
	s_wait_loadcnt 0x0
	global_store_b32 v[64:65], v62, off
.LBB48_161:
	s_wait_xcnt 0x0
	s_or_b32 exec_lo, exec_lo, s12
	v_dual_mov_b32 v64, v56 :: v_dual_mov_b32 v62, v56
.LBB48_162:
	s_or_b32 exec_lo, exec_lo, s1
.LBB48_163:
	s_and_not1_saveexec_b32 s0, s0
	s_cbranch_execz .LBB48_165
; %bb.164:
	v_dual_mov_b32 v56, v36 :: v_dual_mov_b32 v57, v37
	v_dual_mov_b32 v64, v32 :: v_dual_mov_b32 v65, v33
	;; [unrolled: 1-line block ×8, first 2 shown]
	ds_store_2addr_b64 v60, v[56:57], v[64:65] offset0:8 offset1:9
	ds_store_2addr_b64 v60, v[66:67], v[68:69] offset0:10 offset1:11
	;; [unrolled: 1-line block ×4, first 2 shown]
	v_dual_mov_b32 v56, v14 :: v_dual_mov_b32 v57, v15
	v_dual_mov_b32 v66, v10 :: v_dual_mov_b32 v67, v11
	;; [unrolled: 1-line block ×8, first 2 shown]
	v_mov_b32_e32 v79, v17
	ds_store_2addr_b64 v60, v[56:57], v[66:67] offset0:16 offset1:17
	ds_store_2addr_b64 v60, v[68:69], v[70:71] offset0:18 offset1:19
	;; [unrolled: 1-line block ×4, first 2 shown]
	ds_store_b64 v60, v[54:55] offset:192
.LBB48_165:
	s_or_b32 exec_lo, exec_lo, s0
	s_delay_alu instid0(SALU_CYCLE_1)
	s_mov_b32 s0, exec_lo
	s_wait_storecnt_dscnt 0x0
	s_barrier_signal -1
	s_barrier_wait -1
	v_cmpx_lt_i32_e32 7, v64
	s_cbranch_execz .LBB48_167
; %bb.166:
	v_pk_mul_f32 v[66:67], v[58:59], v[38:39] op_sel:[1,1] op_sel_hi:[0,1]
	s_delay_alu instid0(VALU_DEP_1)
	v_pk_fma_f32 v[56:57], v[58:59], v[38:39], v[66:67] op_sel_hi:[1,0,1] neg_lo:[0,0,1] neg_hi:[0,0,1]
	v_pk_fma_f32 v[58:59], v[58:59], v[38:39], v[66:67] op_sel_hi:[1,0,1]
	ds_load_2addr_b64 v[66:69], v60 offset0:8 offset1:9
	v_dual_mov_b32 v38, v56 :: v_dual_mov_b32 v39, v59
	s_wait_dscnt 0x0
	v_pk_mul_f32 v[70:71], v[66:67], v[58:59] op_sel:[0,1]
	s_delay_alu instid0(VALU_DEP_1) | instskip(SKIP_1) | instid1(VALU_DEP_1)
	v_pk_fma_f32 v[72:73], v[66:67], v[56:57], v[70:71] op_sel:[0,0,1] op_sel_hi:[1,1,0] neg_lo:[0,0,1] neg_hi:[0,0,1]
	v_pk_fma_f32 v[66:67], v[66:67], v[56:57], v[70:71] op_sel:[0,0,1] op_sel_hi:[1,0,0]
	v_mov_b32_e32 v73, v67
	v_pk_mul_f32 v[66:67], v[68:69], v[58:59] op_sel:[0,1]
	s_delay_alu instid0(VALU_DEP_1) | instskip(SKIP_1) | instid1(VALU_DEP_1)
	v_pk_fma_f32 v[70:71], v[68:69], v[56:57], v[66:67] op_sel:[0,0,1] op_sel_hi:[1,1,0] neg_lo:[0,0,1] neg_hi:[0,0,1]
	v_pk_fma_f32 v[66:67], v[68:69], v[56:57], v[66:67] op_sel:[0,0,1] op_sel_hi:[1,0,0]
	v_mov_b32_e32 v71, v67
	ds_load_2addr_b64 v[66:69], v60 offset0:10 offset1:11
	v_pk_add_f32 v[36:37], v[36:37], v[72:73] neg_lo:[0,1] neg_hi:[0,1]
	v_pk_add_f32 v[32:33], v[32:33], v[70:71] neg_lo:[0,1] neg_hi:[0,1]
	s_wait_dscnt 0x0
	v_pk_mul_f32 v[70:71], v[66:67], v[58:59] op_sel:[0,1]
	s_delay_alu instid0(VALU_DEP_1) | instskip(SKIP_2) | instid1(VALU_DEP_2)
	v_pk_fma_f32 v[72:73], v[66:67], v[56:57], v[70:71] op_sel:[0,0,1] op_sel_hi:[1,1,0] neg_lo:[0,0,1] neg_hi:[0,0,1]
	v_pk_fma_f32 v[66:67], v[66:67], v[56:57], v[70:71] op_sel:[0,0,1] op_sel_hi:[1,0,0]
	v_dual_mul_f32 v70, v69, v59 :: v_dual_mov_b32 v66, v69
	v_dual_mov_b32 v73, v67 :: v_dual_mov_b32 v67, v68
	s_delay_alu instid0(VALU_DEP_2) | instskip(SKIP_1) | instid1(VALU_DEP_3)
	v_pk_fma_f32 v[70:71], v[68:69], v[38:39], v[70:71] op_sel_hi:[1,1,0] neg_lo:[0,0,1] neg_hi:[0,0,1]
	v_mul_f32_e32 v68, v69, v56
	v_pk_add_f32 v[34:35], v[34:35], v[72:73] neg_lo:[0,1] neg_hi:[0,1]
	s_delay_alu instid0(VALU_DEP_2) | instskip(NEXT) | instid1(VALU_DEP_1)
	v_pk_fma_f32 v[66:67], v[66:67], v[38:39], v[68:69] op_sel_hi:[1,1,0]
	v_mov_b32_e32 v71, v67
	ds_load_2addr_b64 v[66:69], v60 offset0:12 offset1:13
	v_pk_add_f32 v[30:31], v[30:31], v[70:71] neg_lo:[0,1] neg_hi:[0,1]
	s_wait_dscnt 0x0
	v_pk_mul_f32 v[70:71], v[66:67], v[58:59] op_sel:[0,1]
	s_delay_alu instid0(VALU_DEP_1) | instskip(SKIP_1) | instid1(VALU_DEP_1)
	v_pk_fma_f32 v[72:73], v[66:67], v[56:57], v[70:71] op_sel:[0,0,1] op_sel_hi:[1,1,0] neg_lo:[0,0,1] neg_hi:[0,0,1]
	v_pk_fma_f32 v[66:67], v[66:67], v[56:57], v[70:71] op_sel:[0,0,1] op_sel_hi:[1,0,0]
	v_mov_b32_e32 v73, v67
	v_pk_mul_f32 v[66:67], v[68:69], v[58:59] op_sel:[0,1]
	s_delay_alu instid0(VALU_DEP_1) | instskip(SKIP_1) | instid1(VALU_DEP_1)
	v_pk_fma_f32 v[70:71], v[68:69], v[56:57], v[66:67] op_sel:[0,0,1] op_sel_hi:[1,1,0] neg_lo:[0,0,1] neg_hi:[0,0,1]
	v_pk_fma_f32 v[66:67], v[68:69], v[56:57], v[66:67] op_sel:[0,0,1] op_sel_hi:[1,0,0]
	v_mov_b32_e32 v71, v67
	ds_load_2addr_b64 v[66:69], v60 offset0:14 offset1:15
	v_pk_add_f32 v[24:25], v[24:25], v[72:73] neg_lo:[0,1] neg_hi:[0,1]
	v_pk_add_f32 v[20:21], v[20:21], v[70:71] neg_lo:[0,1] neg_hi:[0,1]
	s_wait_dscnt 0x0
	v_pk_mul_f32 v[70:71], v[66:67], v[58:59] op_sel:[0,1]
	s_delay_alu instid0(VALU_DEP_1) | instskip(SKIP_1) | instid1(VALU_DEP_1)
	v_pk_fma_f32 v[72:73], v[66:67], v[56:57], v[70:71] op_sel:[0,0,1] op_sel_hi:[1,1,0] neg_lo:[0,0,1] neg_hi:[0,0,1]
	v_pk_fma_f32 v[66:67], v[66:67], v[56:57], v[70:71] op_sel:[0,0,1] op_sel_hi:[1,0,0]
	v_mov_b32_e32 v73, v67
	v_pk_mul_f32 v[66:67], v[68:69], v[58:59] op_sel:[0,1]
	s_delay_alu instid0(VALU_DEP_1) | instskip(SKIP_1) | instid1(VALU_DEP_1)
	v_pk_fma_f32 v[70:71], v[68:69], v[56:57], v[66:67] op_sel:[0,0,1] op_sel_hi:[1,1,0] neg_lo:[0,0,1] neg_hi:[0,0,1]
	v_pk_fma_f32 v[66:67], v[68:69], v[56:57], v[66:67] op_sel:[0,0,1] op_sel_hi:[1,0,0]
	v_mov_b32_e32 v71, v67
	ds_load_2addr_b64 v[66:69], v60 offset0:16 offset1:17
	v_pk_add_f32 v[22:23], v[22:23], v[72:73] neg_lo:[0,1] neg_hi:[0,1]
	v_pk_add_f32 v[18:19], v[18:19], v[70:71] neg_lo:[0,1] neg_hi:[0,1]
	s_wait_dscnt 0x0
	v_dual_mul_f32 v70, v67, v59 :: v_dual_mul_f32 v72, v67, v56
	s_delay_alu instid0(VALU_DEP_1) | instskip(NEXT) | instid1(VALU_DEP_2)
	v_pk_fma_f32 v[70:71], v[66:67], v[38:39], v[70:71] op_sel_hi:[1,1,0] neg_lo:[0,0,1] neg_hi:[0,0,1]
	v_pk_fma_f32 v[66:67], v[66:67], v[38:39], v[72:73] op_sel:[1,0,0] op_sel_hi:[0,1,0]
	s_delay_alu instid0(VALU_DEP_1) | instskip(SKIP_1) | instid1(VALU_DEP_2)
	v_mov_b32_e32 v71, v67
	v_pk_mul_f32 v[66:67], v[68:69], v[58:59] op_sel:[0,1]
	v_pk_add_f32 v[14:15], v[14:15], v[70:71] neg_lo:[0,1] neg_hi:[0,1]
	s_delay_alu instid0(VALU_DEP_2) | instskip(SKIP_1) | instid1(VALU_DEP_1)
	v_pk_fma_f32 v[70:71], v[68:69], v[56:57], v[66:67] op_sel:[0,0,1] op_sel_hi:[1,1,0] neg_lo:[0,0,1] neg_hi:[0,0,1]
	v_pk_fma_f32 v[66:67], v[68:69], v[56:57], v[66:67] op_sel:[0,0,1] op_sel_hi:[1,0,0]
	v_mov_b32_e32 v71, v67
	ds_load_2addr_b64 v[66:69], v60 offset0:18 offset1:19
	v_pk_add_f32 v[10:11], v[10:11], v[70:71] neg_lo:[0,1] neg_hi:[0,1]
	s_wait_dscnt 0x0
	v_pk_mul_f32 v[70:71], v[66:67], v[58:59] op_sel:[0,1]
	s_delay_alu instid0(VALU_DEP_1) | instskip(SKIP_1) | instid1(VALU_DEP_1)
	v_pk_fma_f32 v[72:73], v[66:67], v[56:57], v[70:71] op_sel:[0,0,1] op_sel_hi:[1,1,0] neg_lo:[0,0,1] neg_hi:[0,0,1]
	v_pk_fma_f32 v[66:67], v[66:67], v[56:57], v[70:71] op_sel:[0,0,1] op_sel_hi:[1,0,0]
	v_mov_b32_e32 v73, v67
	v_pk_mul_f32 v[66:67], v[68:69], v[58:59] op_sel:[0,1]
	s_delay_alu instid0(VALU_DEP_2) | instskip(NEXT) | instid1(VALU_DEP_2)
	v_pk_add_f32 v[12:13], v[12:13], v[72:73] neg_lo:[0,1] neg_hi:[0,1]
	v_pk_fma_f32 v[70:71], v[68:69], v[56:57], v[66:67] op_sel:[0,0,1] op_sel_hi:[1,1,0] neg_lo:[0,0,1] neg_hi:[0,0,1]
	v_pk_fma_f32 v[66:67], v[68:69], v[56:57], v[66:67] op_sel:[0,0,1] op_sel_hi:[1,0,0]
	s_delay_alu instid0(VALU_DEP_1) | instskip(SKIP_4) | instid1(VALU_DEP_1)
	v_mov_b32_e32 v71, v67
	ds_load_2addr_b64 v[66:69], v60 offset0:20 offset1:21
	v_pk_add_f32 v[8:9], v[8:9], v[70:71] neg_lo:[0,1] neg_hi:[0,1]
	s_wait_dscnt 0x0
	v_pk_mul_f32 v[70:71], v[66:67], v[58:59] op_sel:[0,1]
	v_pk_fma_f32 v[72:73], v[66:67], v[56:57], v[70:71] op_sel:[0,0,1] op_sel_hi:[1,1,0] neg_lo:[0,0,1] neg_hi:[0,0,1]
	v_pk_fma_f32 v[66:67], v[66:67], v[56:57], v[70:71] op_sel:[0,0,1] op_sel_hi:[1,0,0]
	v_dual_mul_f32 v70, v69, v59 :: v_dual_mov_b32 v66, v69
	s_delay_alu instid0(VALU_DEP_2) | instskip(NEXT) | instid1(VALU_DEP_2)
	v_dual_mov_b32 v73, v67 :: v_dual_mov_b32 v67, v68
	v_pk_fma_f32 v[70:71], v[68:69], v[38:39], v[70:71] op_sel_hi:[1,1,0] neg_lo:[0,0,1] neg_hi:[0,0,1]
	v_mul_f32_e32 v68, v69, v56
	s_delay_alu instid0(VALU_DEP_3) | instskip(NEXT) | instid1(VALU_DEP_2)
	v_pk_add_f32 v[6:7], v[6:7], v[72:73] neg_lo:[0,1] neg_hi:[0,1]
	v_pk_fma_f32 v[66:67], v[66:67], v[38:39], v[68:69] op_sel_hi:[1,1,0]
	s_delay_alu instid0(VALU_DEP_1) | instskip(SKIP_4) | instid1(VALU_DEP_1)
	v_mov_b32_e32 v71, v67
	ds_load_2addr_b64 v[66:69], v60 offset0:22 offset1:23
	v_pk_add_f32 v[28:29], v[28:29], v[70:71] neg_lo:[0,1] neg_hi:[0,1]
	s_wait_dscnt 0x0
	v_pk_mul_f32 v[70:71], v[66:67], v[58:59] op_sel:[0,1]
	v_pk_fma_f32 v[72:73], v[66:67], v[56:57], v[70:71] op_sel:[0,0,1] op_sel_hi:[1,1,0] neg_lo:[0,0,1] neg_hi:[0,0,1]
	v_pk_fma_f32 v[66:67], v[66:67], v[56:57], v[70:71] op_sel:[0,0,1] op_sel_hi:[1,0,0]
	s_delay_alu instid0(VALU_DEP_1) | instskip(SKIP_1) | instid1(VALU_DEP_1)
	v_mov_b32_e32 v73, v67
	v_pk_mul_f32 v[66:67], v[68:69], v[58:59] op_sel:[0,1]
	v_pk_fma_f32 v[70:71], v[68:69], v[56:57], v[66:67] op_sel:[0,0,1] op_sel_hi:[1,1,0] neg_lo:[0,0,1] neg_hi:[0,0,1]
	v_pk_fma_f32 v[66:67], v[68:69], v[56:57], v[66:67] op_sel:[0,0,1] op_sel_hi:[1,0,0]
	s_delay_alu instid0(VALU_DEP_1)
	v_mov_b32_e32 v71, v67
	ds_load_b64 v[66:67], v60 offset:192
	v_pk_add_f32 v[26:27], v[26:27], v[72:73] neg_lo:[0,1] neg_hi:[0,1]
	v_pk_add_f32 v[16:17], v[16:17], v[70:71] neg_lo:[0,1] neg_hi:[0,1]
	s_wait_dscnt 0x0
	v_pk_mul_f32 v[58:59], v[66:67], v[58:59] op_sel:[0,1]
	s_delay_alu instid0(VALU_DEP_1) | instskip(SKIP_1) | instid1(VALU_DEP_1)
	v_pk_fma_f32 v[68:69], v[66:67], v[56:57], v[58:59] op_sel:[0,0,1] op_sel_hi:[1,1,0] neg_lo:[0,0,1] neg_hi:[0,0,1]
	v_pk_fma_f32 v[56:57], v[66:67], v[56:57], v[58:59] op_sel:[0,0,1] op_sel_hi:[1,0,0]
	v_mov_b32_e32 v69, v57
	s_delay_alu instid0(VALU_DEP_1)
	v_pk_add_f32 v[54:55], v[54:55], v[68:69] neg_lo:[0,1] neg_hi:[0,1]
.LBB48_167:
	s_or_b32 exec_lo, exec_lo, s0
	v_lshl_add_u32 v56, v64, 3, v60
	s_barrier_signal -1
	s_barrier_wait -1
	ds_store_b64 v56, v[36:37]
	s_wait_dscnt 0x0
	s_barrier_signal -1
	s_barrier_wait -1
	ds_load_b64 v[58:59], v60 offset:64
	v_mov_b32_e32 v56, 8
	s_cmp_lt_i32 s18, 10
	s_cbranch_scc1 .LBB48_170
; %bb.168:
	v_add3_u32 v57, v61, 0, 0x48
	v_mov_b32_e32 v56, 8
	s_mov_b32 s0, 9
.LBB48_169:                             ; =>This Inner Loop Header: Depth=1
	ds_load_b64 v[66:67], v57
	s_wait_dscnt 0x1
	v_cmp_gt_f32_e32 vcc_lo, 0, v58
	v_cndmask_b32_e64 v68, v58, -v58, vcc_lo
	v_cmp_gt_f32_e32 vcc_lo, 0, v59
	v_cndmask_b32_e64 v70, v59, -v59, vcc_lo
	s_wait_dscnt 0x0
	v_cmp_gt_f32_e32 vcc_lo, 0, v66
	v_cndmask_b32_e64 v69, v66, -v66, vcc_lo
	v_cmp_gt_f32_e32 vcc_lo, 0, v67
	v_cndmask_b32_e64 v71, v67, -v67, vcc_lo
	s_delay_alu instid0(VALU_DEP_1) | instskip(NEXT) | instid1(VALU_DEP_1)
	v_pk_add_f32 v[68:69], v[68:69], v[70:71]
	v_cmp_lt_f32_e32 vcc_lo, v68, v69
	v_dual_add_nc_u32 v57, 8, v57 :: v_dual_cndmask_b32 v59, v59, v67, vcc_lo
	v_cndmask_b32_e32 v58, v58, v66, vcc_lo
	v_cndmask_b32_e64 v56, v56, s0, vcc_lo
	s_add_co_i32 s0, s0, 1
	s_delay_alu instid0(SALU_CYCLE_1)
	s_cmp_lg_u32 s18, s0
	s_cbranch_scc1 .LBB48_169
.LBB48_170:
	s_wait_dscnt 0x0
	v_cmp_eq_f32_e32 vcc_lo, 0, v58
	v_cmp_eq_f32_e64 s0, 0, v59
	s_and_b32 s0, vcc_lo, s0
	s_delay_alu instid0(SALU_CYCLE_1) | instskip(NEXT) | instid1(SALU_CYCLE_1)
	s_and_saveexec_b32 s1, s0
	s_xor_b32 s0, exec_lo, s1
; %bb.171:
	v_cmp_ne_u32_e32 vcc_lo, 0, v63
	v_cndmask_b32_e32 v63, 9, v63, vcc_lo
; %bb.172:
	s_and_not1_saveexec_b32 s0, s0
	s_cbranch_execz .LBB48_178
; %bb.173:
	v_cmp_ngt_f32_e64 s1, |v58|, |v59|
	s_and_saveexec_b32 s12, s1
	s_delay_alu instid0(SALU_CYCLE_1)
	s_xor_b32 s1, exec_lo, s12
	s_cbranch_execz .LBB48_175
; %bb.174:
	v_div_scale_f32 v57, null, v59, v59, v58
	v_div_scale_f32 v67, vcc_lo, v58, v59, v58
	s_delay_alu instid0(VALU_DEP_2) | instskip(SKIP_1) | instid1(TRANS32_DEP_1)
	v_rcp_f32_e32 v65, v57
	v_nop
	v_fma_f32 v66, -v57, v65, 1.0
	s_delay_alu instid0(VALU_DEP_1) | instskip(NEXT) | instid1(VALU_DEP_1)
	v_fmac_f32_e32 v65, v66, v65
	v_mul_f32_e32 v66, v67, v65
	s_delay_alu instid0(VALU_DEP_1) | instskip(NEXT) | instid1(VALU_DEP_1)
	v_fma_f32 v68, -v57, v66, v67
	v_fmac_f32_e32 v66, v68, v65
	s_delay_alu instid0(VALU_DEP_1) | instskip(NEXT) | instid1(VALU_DEP_1)
	v_fma_f32 v57, -v57, v66, v67
	v_div_fmas_f32 v57, v57, v65, v66
	s_delay_alu instid0(VALU_DEP_1) | instskip(NEXT) | instid1(VALU_DEP_1)
	v_div_fixup_f32 v57, v57, v59, v58
	v_fmac_f32_e32 v59, v58, v57
	s_delay_alu instid0(VALU_DEP_1) | instskip(SKIP_1) | instid1(VALU_DEP_2)
	v_div_scale_f32 v58, null, v59, v59, 1.0
	v_div_scale_f32 v67, vcc_lo, 1.0, v59, 1.0
	v_rcp_f32_e32 v65, v58
	v_nop
	s_delay_alu instid0(TRANS32_DEP_1) | instskip(NEXT) | instid1(VALU_DEP_1)
	v_fma_f32 v66, -v58, v65, 1.0
	v_fmac_f32_e32 v65, v66, v65
	s_delay_alu instid0(VALU_DEP_1) | instskip(NEXT) | instid1(VALU_DEP_1)
	v_mul_f32_e32 v66, v67, v65
	v_fma_f32 v68, -v58, v66, v67
	s_delay_alu instid0(VALU_DEP_1) | instskip(NEXT) | instid1(VALU_DEP_1)
	v_fmac_f32_e32 v66, v68, v65
	v_fma_f32 v58, -v58, v66, v67
	s_delay_alu instid0(VALU_DEP_1) | instskip(NEXT) | instid1(VALU_DEP_1)
	v_div_fmas_f32 v58, v58, v65, v66
	v_div_fixup_f32 v59, v58, v59, 1.0
	s_delay_alu instid0(VALU_DEP_1)
	v_mul_f32_e32 v58, v57, v59
	v_xor_b32_e32 v59, 0x80000000, v59
.LBB48_175:
	s_and_not1_saveexec_b32 s1, s1
	s_cbranch_execz .LBB48_177
; %bb.176:
	s_delay_alu instid0(VALU_DEP_1) | instskip(SKIP_1) | instid1(VALU_DEP_2)
	v_div_scale_f32 v57, null, v58, v58, v59
	v_div_scale_f32 v67, vcc_lo, v59, v58, v59
	v_rcp_f32_e32 v65, v57
	v_nop
	s_delay_alu instid0(TRANS32_DEP_1) | instskip(NEXT) | instid1(VALU_DEP_1)
	v_fma_f32 v66, -v57, v65, 1.0
	v_fmac_f32_e32 v65, v66, v65
	s_delay_alu instid0(VALU_DEP_1) | instskip(NEXT) | instid1(VALU_DEP_1)
	v_mul_f32_e32 v66, v67, v65
	v_fma_f32 v68, -v57, v66, v67
	s_delay_alu instid0(VALU_DEP_1) | instskip(NEXT) | instid1(VALU_DEP_1)
	v_fmac_f32_e32 v66, v68, v65
	v_fma_f32 v57, -v57, v66, v67
	s_delay_alu instid0(VALU_DEP_1) | instskip(NEXT) | instid1(VALU_DEP_1)
	v_div_fmas_f32 v57, v57, v65, v66
	v_div_fixup_f32 v57, v57, v58, v59
	s_delay_alu instid0(VALU_DEP_1) | instskip(NEXT) | instid1(VALU_DEP_1)
	v_fmac_f32_e32 v58, v59, v57
	v_div_scale_f32 v59, null, v58, v58, 1.0
	s_delay_alu instid0(VALU_DEP_1) | instskip(SKIP_1) | instid1(TRANS32_DEP_1)
	v_rcp_f32_e32 v65, v59
	v_nop
	v_fma_f32 v66, -v59, v65, 1.0
	s_delay_alu instid0(VALU_DEP_1) | instskip(SKIP_1) | instid1(VALU_DEP_1)
	v_fmac_f32_e32 v65, v66, v65
	v_div_scale_f32 v66, vcc_lo, 1.0, v58, 1.0
	v_mul_f32_e32 v67, v66, v65
	s_delay_alu instid0(VALU_DEP_1) | instskip(NEXT) | instid1(VALU_DEP_1)
	v_fma_f32 v68, -v59, v67, v66
	v_fmac_f32_e32 v67, v68, v65
	s_delay_alu instid0(VALU_DEP_1) | instskip(NEXT) | instid1(VALU_DEP_1)
	v_fma_f32 v59, -v59, v67, v66
	v_div_fmas_f32 v59, v59, v65, v67
	s_delay_alu instid0(VALU_DEP_1) | instskip(NEXT) | instid1(VALU_DEP_1)
	v_div_fixup_f32 v58, v59, v58, 1.0
	v_mul_f32_e64 v59, v57, -v58
.LBB48_177:
	s_or_b32 exec_lo, exec_lo, s1
.LBB48_178:
	s_delay_alu instid0(SALU_CYCLE_1) | instskip(NEXT) | instid1(SALU_CYCLE_1)
	s_or_b32 exec_lo, exec_lo, s0
	s_mov_b32 s0, exec_lo
	v_cmpx_ne_u32_e64 v64, v56
	s_xor_b32 s0, exec_lo, s0
	s_cbranch_execz .LBB48_184
; %bb.179:
	s_mov_b32 s1, exec_lo
	v_cmpx_eq_u32_e32 8, v64
	s_cbranch_execz .LBB48_183
; %bb.180:
	v_cmp_ne_u32_e32 vcc_lo, 8, v56
	s_xor_b32 s12, s16, -1
	s_delay_alu instid0(SALU_CYCLE_1) | instskip(NEXT) | instid1(SALU_CYCLE_1)
	s_and_b32 s13, s12, vcc_lo
	s_and_saveexec_b32 s12, s13
	s_cbranch_execz .LBB48_182
; %bb.181:
	v_ashrrev_i32_e32 v57, 31, v56
	s_delay_alu instid0(VALU_DEP_1)
	v_lshl_add_u64 v[64:65], v[56:57], 2, v[4:5]
	s_clause 0x1
	global_load_b32 v57, v[64:65], off
	global_load_b32 v62, v[4:5], off offset:32
	s_wait_loadcnt 0x1
	global_store_b32 v[4:5], v57, off offset:32
	s_wait_loadcnt 0x0
	global_store_b32 v[64:65], v62, off
.LBB48_182:
	s_wait_xcnt 0x0
	s_or_b32 exec_lo, exec_lo, s12
	v_dual_mov_b32 v64, v56 :: v_dual_mov_b32 v62, v56
.LBB48_183:
	s_or_b32 exec_lo, exec_lo, s1
.LBB48_184:
	s_and_not1_saveexec_b32 s0, s0
	s_cbranch_execz .LBB48_186
; %bb.185:
	v_mov_b32_e32 v64, 8
	ds_store_2addr_b64 v60, v[32:33], v[34:35] offset0:9 offset1:10
	ds_store_2addr_b64 v60, v[30:31], v[24:25] offset0:11 offset1:12
	;; [unrolled: 1-line block ×8, first 2 shown]
.LBB48_186:
	s_or_b32 exec_lo, exec_lo, s0
	s_delay_alu instid0(SALU_CYCLE_1)
	s_mov_b32 s0, exec_lo
	s_wait_storecnt_dscnt 0x0
	s_barrier_signal -1
	s_barrier_wait -1
	v_cmpx_lt_i32_e32 8, v64
	s_cbranch_execz .LBB48_188
; %bb.187:
	v_pk_mul_f32 v[66:67], v[58:59], v[36:37] op_sel:[1,1] op_sel_hi:[0,1]
	s_delay_alu instid0(VALU_DEP_1)
	v_pk_fma_f32 v[56:57], v[58:59], v[36:37], v[66:67] op_sel_hi:[1,0,1] neg_lo:[0,0,1] neg_hi:[0,0,1]
	v_pk_fma_f32 v[58:59], v[58:59], v[36:37], v[66:67] op_sel_hi:[1,0,1]
	ds_load_2addr_b64 v[66:69], v60 offset0:9 offset1:10
	v_dual_mov_b32 v36, v56 :: v_dual_mov_b32 v37, v59
	s_wait_dscnt 0x0
	v_pk_mul_f32 v[70:71], v[66:67], v[58:59] op_sel:[0,1]
	s_delay_alu instid0(VALU_DEP_1) | instskip(SKIP_1) | instid1(VALU_DEP_1)
	v_pk_fma_f32 v[72:73], v[66:67], v[56:57], v[70:71] op_sel:[0,0,1] op_sel_hi:[1,1,0] neg_lo:[0,0,1] neg_hi:[0,0,1]
	v_pk_fma_f32 v[66:67], v[66:67], v[56:57], v[70:71] op_sel:[0,0,1] op_sel_hi:[1,0,0]
	v_mov_b32_e32 v73, v67
	v_pk_mul_f32 v[66:67], v[68:69], v[58:59] op_sel:[0,1]
	s_delay_alu instid0(VALU_DEP_1) | instskip(SKIP_1) | instid1(VALU_DEP_1)
	v_pk_fma_f32 v[70:71], v[68:69], v[56:57], v[66:67] op_sel:[0,0,1] op_sel_hi:[1,1,0] neg_lo:[0,0,1] neg_hi:[0,0,1]
	v_pk_fma_f32 v[66:67], v[68:69], v[56:57], v[66:67] op_sel:[0,0,1] op_sel_hi:[1,0,0]
	v_mov_b32_e32 v71, v67
	ds_load_2addr_b64 v[66:69], v60 offset0:11 offset1:12
	v_pk_add_f32 v[32:33], v[32:33], v[72:73] neg_lo:[0,1] neg_hi:[0,1]
	v_pk_add_f32 v[34:35], v[34:35], v[70:71] neg_lo:[0,1] neg_hi:[0,1]
	s_wait_dscnt 0x0
	v_pk_mul_f32 v[70:71], v[66:67], v[58:59] op_sel:[0,1]
	s_delay_alu instid0(VALU_DEP_1) | instskip(SKIP_2) | instid1(VALU_DEP_2)
	v_pk_fma_f32 v[72:73], v[66:67], v[56:57], v[70:71] op_sel:[0,0,1] op_sel_hi:[1,1,0] neg_lo:[0,0,1] neg_hi:[0,0,1]
	v_pk_fma_f32 v[66:67], v[66:67], v[56:57], v[70:71] op_sel:[0,0,1] op_sel_hi:[1,0,0]
	v_dual_mul_f32 v70, v69, v59 :: v_dual_mov_b32 v66, v69
	v_dual_mov_b32 v73, v67 :: v_dual_mov_b32 v67, v68
	s_delay_alu instid0(VALU_DEP_2) | instskip(SKIP_1) | instid1(VALU_DEP_3)
	v_pk_fma_f32 v[70:71], v[68:69], v[36:37], v[70:71] op_sel_hi:[1,1,0] neg_lo:[0,0,1] neg_hi:[0,0,1]
	v_mul_f32_e32 v68, v69, v56
	v_pk_add_f32 v[30:31], v[30:31], v[72:73] neg_lo:[0,1] neg_hi:[0,1]
	s_delay_alu instid0(VALU_DEP_2) | instskip(NEXT) | instid1(VALU_DEP_1)
	v_pk_fma_f32 v[66:67], v[66:67], v[36:37], v[68:69] op_sel_hi:[1,1,0]
	v_mov_b32_e32 v71, v67
	ds_load_2addr_b64 v[66:69], v60 offset0:13 offset1:14
	v_pk_add_f32 v[24:25], v[24:25], v[70:71] neg_lo:[0,1] neg_hi:[0,1]
	s_wait_dscnt 0x0
	v_pk_mul_f32 v[70:71], v[66:67], v[58:59] op_sel:[0,1]
	s_delay_alu instid0(VALU_DEP_1) | instskip(SKIP_1) | instid1(VALU_DEP_1)
	v_pk_fma_f32 v[72:73], v[66:67], v[56:57], v[70:71] op_sel:[0,0,1] op_sel_hi:[1,1,0] neg_lo:[0,0,1] neg_hi:[0,0,1]
	v_pk_fma_f32 v[66:67], v[66:67], v[56:57], v[70:71] op_sel:[0,0,1] op_sel_hi:[1,0,0]
	v_mov_b32_e32 v73, v67
	v_pk_mul_f32 v[66:67], v[68:69], v[58:59] op_sel:[0,1]
	s_delay_alu instid0(VALU_DEP_1) | instskip(SKIP_1) | instid1(VALU_DEP_1)
	v_pk_fma_f32 v[70:71], v[68:69], v[56:57], v[66:67] op_sel:[0,0,1] op_sel_hi:[1,1,0] neg_lo:[0,0,1] neg_hi:[0,0,1]
	v_pk_fma_f32 v[66:67], v[68:69], v[56:57], v[66:67] op_sel:[0,0,1] op_sel_hi:[1,0,0]
	v_mov_b32_e32 v71, v67
	ds_load_2addr_b64 v[66:69], v60 offset0:15 offset1:16
	v_pk_add_f32 v[20:21], v[20:21], v[72:73] neg_lo:[0,1] neg_hi:[0,1]
	v_pk_add_f32 v[22:23], v[22:23], v[70:71] neg_lo:[0,1] neg_hi:[0,1]
	s_wait_dscnt 0x0
	v_pk_mul_f32 v[70:71], v[66:67], v[58:59] op_sel:[0,1]
	s_delay_alu instid0(VALU_DEP_1) | instskip(SKIP_1) | instid1(VALU_DEP_1)
	v_pk_fma_f32 v[72:73], v[66:67], v[56:57], v[70:71] op_sel:[0,0,1] op_sel_hi:[1,1,0] neg_lo:[0,0,1] neg_hi:[0,0,1]
	v_pk_fma_f32 v[66:67], v[66:67], v[56:57], v[70:71] op_sel:[0,0,1] op_sel_hi:[1,0,0]
	v_mov_b32_e32 v73, v67
	v_pk_mul_f32 v[66:67], v[68:69], v[58:59] op_sel:[0,1]
	s_delay_alu instid0(VALU_DEP_1) | instskip(SKIP_1) | instid1(VALU_DEP_1)
	v_pk_fma_f32 v[70:71], v[68:69], v[56:57], v[66:67] op_sel:[0,0,1] op_sel_hi:[1,1,0] neg_lo:[0,0,1] neg_hi:[0,0,1]
	v_pk_fma_f32 v[66:67], v[68:69], v[56:57], v[66:67] op_sel:[0,0,1] op_sel_hi:[1,0,0]
	v_mov_b32_e32 v71, v67
	ds_load_2addr_b64 v[66:69], v60 offset0:17 offset1:18
	v_pk_add_f32 v[18:19], v[18:19], v[72:73] neg_lo:[0,1] neg_hi:[0,1]
	v_pk_add_f32 v[14:15], v[14:15], v[70:71] neg_lo:[0,1] neg_hi:[0,1]
	s_wait_dscnt 0x0
	v_dual_mul_f32 v70, v67, v59 :: v_dual_mul_f32 v72, v67, v56
	s_delay_alu instid0(VALU_DEP_1) | instskip(NEXT) | instid1(VALU_DEP_2)
	v_pk_fma_f32 v[70:71], v[66:67], v[36:37], v[70:71] op_sel_hi:[1,1,0] neg_lo:[0,0,1] neg_hi:[0,0,1]
	v_pk_fma_f32 v[66:67], v[66:67], v[36:37], v[72:73] op_sel:[1,0,0] op_sel_hi:[0,1,0]
	s_delay_alu instid0(VALU_DEP_1) | instskip(SKIP_1) | instid1(VALU_DEP_2)
	v_mov_b32_e32 v71, v67
	v_pk_mul_f32 v[66:67], v[68:69], v[58:59] op_sel:[0,1]
	v_pk_add_f32 v[10:11], v[10:11], v[70:71] neg_lo:[0,1] neg_hi:[0,1]
	s_delay_alu instid0(VALU_DEP_2) | instskip(SKIP_1) | instid1(VALU_DEP_1)
	v_pk_fma_f32 v[70:71], v[68:69], v[56:57], v[66:67] op_sel:[0,0,1] op_sel_hi:[1,1,0] neg_lo:[0,0,1] neg_hi:[0,0,1]
	v_pk_fma_f32 v[66:67], v[68:69], v[56:57], v[66:67] op_sel:[0,0,1] op_sel_hi:[1,0,0]
	v_mov_b32_e32 v71, v67
	ds_load_2addr_b64 v[66:69], v60 offset0:19 offset1:20
	v_pk_add_f32 v[12:13], v[12:13], v[70:71] neg_lo:[0,1] neg_hi:[0,1]
	s_wait_dscnt 0x0
	v_pk_mul_f32 v[70:71], v[66:67], v[58:59] op_sel:[0,1]
	s_delay_alu instid0(VALU_DEP_1) | instskip(SKIP_1) | instid1(VALU_DEP_1)
	v_pk_fma_f32 v[72:73], v[66:67], v[56:57], v[70:71] op_sel:[0,0,1] op_sel_hi:[1,1,0] neg_lo:[0,0,1] neg_hi:[0,0,1]
	v_pk_fma_f32 v[66:67], v[66:67], v[56:57], v[70:71] op_sel:[0,0,1] op_sel_hi:[1,0,0]
	v_mov_b32_e32 v73, v67
	v_pk_mul_f32 v[66:67], v[68:69], v[58:59] op_sel:[0,1]
	s_delay_alu instid0(VALU_DEP_2) | instskip(NEXT) | instid1(VALU_DEP_2)
	v_pk_add_f32 v[8:9], v[8:9], v[72:73] neg_lo:[0,1] neg_hi:[0,1]
	v_pk_fma_f32 v[70:71], v[68:69], v[56:57], v[66:67] op_sel:[0,0,1] op_sel_hi:[1,1,0] neg_lo:[0,0,1] neg_hi:[0,0,1]
	v_pk_fma_f32 v[66:67], v[68:69], v[56:57], v[66:67] op_sel:[0,0,1] op_sel_hi:[1,0,0]
	s_delay_alu instid0(VALU_DEP_1) | instskip(SKIP_4) | instid1(VALU_DEP_1)
	v_mov_b32_e32 v71, v67
	ds_load_2addr_b64 v[66:69], v60 offset0:21 offset1:22
	v_pk_add_f32 v[6:7], v[6:7], v[70:71] neg_lo:[0,1] neg_hi:[0,1]
	s_wait_dscnt 0x0
	v_pk_mul_f32 v[70:71], v[66:67], v[58:59] op_sel:[0,1]
	v_pk_fma_f32 v[72:73], v[66:67], v[56:57], v[70:71] op_sel:[0,0,1] op_sel_hi:[1,1,0] neg_lo:[0,0,1] neg_hi:[0,0,1]
	v_pk_fma_f32 v[66:67], v[66:67], v[56:57], v[70:71] op_sel:[0,0,1] op_sel_hi:[1,0,0]
	v_dual_mul_f32 v70, v69, v59 :: v_dual_mov_b32 v66, v69
	s_delay_alu instid0(VALU_DEP_2) | instskip(NEXT) | instid1(VALU_DEP_2)
	v_dual_mov_b32 v73, v67 :: v_dual_mov_b32 v67, v68
	v_pk_fma_f32 v[70:71], v[68:69], v[36:37], v[70:71] op_sel_hi:[1,1,0] neg_lo:[0,0,1] neg_hi:[0,0,1]
	v_mul_f32_e32 v68, v69, v56
	s_delay_alu instid0(VALU_DEP_3) | instskip(NEXT) | instid1(VALU_DEP_2)
	v_pk_add_f32 v[28:29], v[28:29], v[72:73] neg_lo:[0,1] neg_hi:[0,1]
	v_pk_fma_f32 v[66:67], v[66:67], v[36:37], v[68:69] op_sel_hi:[1,1,0]
	s_delay_alu instid0(VALU_DEP_1)
	v_mov_b32_e32 v71, v67
	ds_load_2addr_b64 v[66:69], v60 offset0:23 offset1:24
	v_pk_add_f32 v[26:27], v[26:27], v[70:71] neg_lo:[0,1] neg_hi:[0,1]
	s_wait_dscnt 0x0
	v_pk_mul_f32 v[70:71], v[66:67], v[58:59] op_sel:[0,1]
	v_pk_mul_f32 v[58:59], v[68:69], v[58:59] op_sel:[0,1]
	s_delay_alu instid0(VALU_DEP_2) | instskip(SKIP_1) | instid1(VALU_DEP_1)
	v_pk_fma_f32 v[72:73], v[66:67], v[56:57], v[70:71] op_sel:[0,0,1] op_sel_hi:[1,1,0] neg_lo:[0,0,1] neg_hi:[0,0,1]
	v_pk_fma_f32 v[66:67], v[66:67], v[56:57], v[70:71] op_sel:[0,0,1] op_sel_hi:[1,0,0]
	v_mov_b32_e32 v73, v67
	s_delay_alu instid0(VALU_DEP_4) | instskip(SKIP_1) | instid1(VALU_DEP_1)
	v_pk_fma_f32 v[66:67], v[68:69], v[56:57], v[58:59] op_sel:[0,0,1] op_sel_hi:[1,1,0] neg_lo:[0,0,1] neg_hi:[0,0,1]
	v_pk_fma_f32 v[56:57], v[68:69], v[56:57], v[58:59] op_sel:[0,0,1] op_sel_hi:[1,0,0]
	v_mov_b32_e32 v67, v57
	s_delay_alu instid0(VALU_DEP_4) | instskip(NEXT) | instid1(VALU_DEP_2)
	v_pk_add_f32 v[16:17], v[16:17], v[72:73] neg_lo:[0,1] neg_hi:[0,1]
	v_pk_add_f32 v[54:55], v[54:55], v[66:67] neg_lo:[0,1] neg_hi:[0,1]
.LBB48_188:
	s_or_b32 exec_lo, exec_lo, s0
	v_lshl_add_u32 v56, v64, 3, v60
	s_barrier_signal -1
	s_barrier_wait -1
	ds_store_b64 v56, v[32:33]
	s_wait_dscnt 0x0
	s_barrier_signal -1
	s_barrier_wait -1
	ds_load_b64 v[58:59], v60 offset:72
	v_mov_b32_e32 v56, 9
	s_cmp_lt_i32 s18, 11
	s_cbranch_scc1 .LBB48_191
; %bb.189:
	v_add3_u32 v57, v61, 0, 0x50
	v_mov_b32_e32 v56, 9
	s_mov_b32 s0, 10
.LBB48_190:                             ; =>This Inner Loop Header: Depth=1
	ds_load_b64 v[66:67], v57
	s_wait_dscnt 0x1
	v_cmp_gt_f32_e32 vcc_lo, 0, v58
	v_cndmask_b32_e64 v68, v58, -v58, vcc_lo
	v_cmp_gt_f32_e32 vcc_lo, 0, v59
	v_cndmask_b32_e64 v70, v59, -v59, vcc_lo
	s_wait_dscnt 0x0
	v_cmp_gt_f32_e32 vcc_lo, 0, v66
	v_cndmask_b32_e64 v69, v66, -v66, vcc_lo
	v_cmp_gt_f32_e32 vcc_lo, 0, v67
	v_cndmask_b32_e64 v71, v67, -v67, vcc_lo
	s_delay_alu instid0(VALU_DEP_1) | instskip(NEXT) | instid1(VALU_DEP_1)
	v_pk_add_f32 v[68:69], v[68:69], v[70:71]
	v_cmp_lt_f32_e32 vcc_lo, v68, v69
	v_dual_add_nc_u32 v57, 8, v57 :: v_dual_cndmask_b32 v59, v59, v67, vcc_lo
	v_cndmask_b32_e32 v58, v58, v66, vcc_lo
	v_cndmask_b32_e64 v56, v56, s0, vcc_lo
	s_add_co_i32 s0, s0, 1
	s_delay_alu instid0(SALU_CYCLE_1)
	s_cmp_lg_u32 s18, s0
	s_cbranch_scc1 .LBB48_190
.LBB48_191:
	s_wait_dscnt 0x0
	v_cmp_eq_f32_e32 vcc_lo, 0, v58
	v_cmp_eq_f32_e64 s0, 0, v59
	s_and_b32 s0, vcc_lo, s0
	s_delay_alu instid0(SALU_CYCLE_1) | instskip(NEXT) | instid1(SALU_CYCLE_1)
	s_and_saveexec_b32 s1, s0
	s_xor_b32 s0, exec_lo, s1
; %bb.192:
	v_cmp_ne_u32_e32 vcc_lo, 0, v63
	v_cndmask_b32_e32 v63, 10, v63, vcc_lo
; %bb.193:
	s_and_not1_saveexec_b32 s0, s0
	s_cbranch_execz .LBB48_199
; %bb.194:
	v_cmp_ngt_f32_e64 s1, |v58|, |v59|
	s_and_saveexec_b32 s12, s1
	s_delay_alu instid0(SALU_CYCLE_1)
	s_xor_b32 s1, exec_lo, s12
	s_cbranch_execz .LBB48_196
; %bb.195:
	v_div_scale_f32 v57, null, v59, v59, v58
	v_div_scale_f32 v67, vcc_lo, v58, v59, v58
	s_delay_alu instid0(VALU_DEP_2) | instskip(SKIP_1) | instid1(TRANS32_DEP_1)
	v_rcp_f32_e32 v65, v57
	v_nop
	v_fma_f32 v66, -v57, v65, 1.0
	s_delay_alu instid0(VALU_DEP_1) | instskip(NEXT) | instid1(VALU_DEP_1)
	v_fmac_f32_e32 v65, v66, v65
	v_mul_f32_e32 v66, v67, v65
	s_delay_alu instid0(VALU_DEP_1) | instskip(NEXT) | instid1(VALU_DEP_1)
	v_fma_f32 v68, -v57, v66, v67
	v_fmac_f32_e32 v66, v68, v65
	s_delay_alu instid0(VALU_DEP_1) | instskip(NEXT) | instid1(VALU_DEP_1)
	v_fma_f32 v57, -v57, v66, v67
	v_div_fmas_f32 v57, v57, v65, v66
	s_delay_alu instid0(VALU_DEP_1) | instskip(NEXT) | instid1(VALU_DEP_1)
	v_div_fixup_f32 v57, v57, v59, v58
	v_fmac_f32_e32 v59, v58, v57
	s_delay_alu instid0(VALU_DEP_1) | instskip(SKIP_1) | instid1(VALU_DEP_2)
	v_div_scale_f32 v58, null, v59, v59, 1.0
	v_div_scale_f32 v67, vcc_lo, 1.0, v59, 1.0
	v_rcp_f32_e32 v65, v58
	v_nop
	s_delay_alu instid0(TRANS32_DEP_1) | instskip(NEXT) | instid1(VALU_DEP_1)
	v_fma_f32 v66, -v58, v65, 1.0
	v_fmac_f32_e32 v65, v66, v65
	s_delay_alu instid0(VALU_DEP_1) | instskip(NEXT) | instid1(VALU_DEP_1)
	v_mul_f32_e32 v66, v67, v65
	v_fma_f32 v68, -v58, v66, v67
	s_delay_alu instid0(VALU_DEP_1) | instskip(NEXT) | instid1(VALU_DEP_1)
	v_fmac_f32_e32 v66, v68, v65
	v_fma_f32 v58, -v58, v66, v67
	s_delay_alu instid0(VALU_DEP_1) | instskip(NEXT) | instid1(VALU_DEP_1)
	v_div_fmas_f32 v58, v58, v65, v66
	v_div_fixup_f32 v59, v58, v59, 1.0
	s_delay_alu instid0(VALU_DEP_1)
	v_mul_f32_e32 v58, v57, v59
	v_xor_b32_e32 v59, 0x80000000, v59
.LBB48_196:
	s_and_not1_saveexec_b32 s1, s1
	s_cbranch_execz .LBB48_198
; %bb.197:
	s_delay_alu instid0(VALU_DEP_1) | instskip(SKIP_1) | instid1(VALU_DEP_2)
	v_div_scale_f32 v57, null, v58, v58, v59
	v_div_scale_f32 v67, vcc_lo, v59, v58, v59
	v_rcp_f32_e32 v65, v57
	v_nop
	s_delay_alu instid0(TRANS32_DEP_1) | instskip(NEXT) | instid1(VALU_DEP_1)
	v_fma_f32 v66, -v57, v65, 1.0
	v_fmac_f32_e32 v65, v66, v65
	s_delay_alu instid0(VALU_DEP_1) | instskip(NEXT) | instid1(VALU_DEP_1)
	v_mul_f32_e32 v66, v67, v65
	v_fma_f32 v68, -v57, v66, v67
	s_delay_alu instid0(VALU_DEP_1) | instskip(NEXT) | instid1(VALU_DEP_1)
	v_fmac_f32_e32 v66, v68, v65
	v_fma_f32 v57, -v57, v66, v67
	s_delay_alu instid0(VALU_DEP_1) | instskip(NEXT) | instid1(VALU_DEP_1)
	v_div_fmas_f32 v57, v57, v65, v66
	v_div_fixup_f32 v57, v57, v58, v59
	s_delay_alu instid0(VALU_DEP_1) | instskip(NEXT) | instid1(VALU_DEP_1)
	v_fmac_f32_e32 v58, v59, v57
	v_div_scale_f32 v59, null, v58, v58, 1.0
	s_delay_alu instid0(VALU_DEP_1) | instskip(SKIP_1) | instid1(TRANS32_DEP_1)
	v_rcp_f32_e32 v65, v59
	v_nop
	v_fma_f32 v66, -v59, v65, 1.0
	s_delay_alu instid0(VALU_DEP_1) | instskip(SKIP_1) | instid1(VALU_DEP_1)
	v_fmac_f32_e32 v65, v66, v65
	v_div_scale_f32 v66, vcc_lo, 1.0, v58, 1.0
	v_mul_f32_e32 v67, v66, v65
	s_delay_alu instid0(VALU_DEP_1) | instskip(NEXT) | instid1(VALU_DEP_1)
	v_fma_f32 v68, -v59, v67, v66
	v_fmac_f32_e32 v67, v68, v65
	s_delay_alu instid0(VALU_DEP_1) | instskip(NEXT) | instid1(VALU_DEP_1)
	v_fma_f32 v59, -v59, v67, v66
	v_div_fmas_f32 v59, v59, v65, v67
	s_delay_alu instid0(VALU_DEP_1) | instskip(NEXT) | instid1(VALU_DEP_1)
	v_div_fixup_f32 v58, v59, v58, 1.0
	v_mul_f32_e64 v59, v57, -v58
.LBB48_198:
	s_or_b32 exec_lo, exec_lo, s1
.LBB48_199:
	s_delay_alu instid0(SALU_CYCLE_1) | instskip(NEXT) | instid1(SALU_CYCLE_1)
	s_or_b32 exec_lo, exec_lo, s0
	s_mov_b32 s0, exec_lo
	v_cmpx_ne_u32_e64 v64, v56
	s_xor_b32 s0, exec_lo, s0
	s_cbranch_execz .LBB48_205
; %bb.200:
	s_mov_b32 s1, exec_lo
	v_cmpx_eq_u32_e32 9, v64
	s_cbranch_execz .LBB48_204
; %bb.201:
	v_cmp_ne_u32_e32 vcc_lo, 9, v56
	s_xor_b32 s12, s16, -1
	s_delay_alu instid0(SALU_CYCLE_1) | instskip(NEXT) | instid1(SALU_CYCLE_1)
	s_and_b32 s13, s12, vcc_lo
	s_and_saveexec_b32 s12, s13
	s_cbranch_execz .LBB48_203
; %bb.202:
	v_ashrrev_i32_e32 v57, 31, v56
	s_delay_alu instid0(VALU_DEP_1)
	v_lshl_add_u64 v[64:65], v[56:57], 2, v[4:5]
	s_clause 0x1
	global_load_b32 v57, v[64:65], off
	global_load_b32 v62, v[4:5], off offset:36
	s_wait_loadcnt 0x1
	global_store_b32 v[4:5], v57, off offset:36
	s_wait_loadcnt 0x0
	global_store_b32 v[64:65], v62, off
.LBB48_203:
	s_wait_xcnt 0x0
	s_or_b32 exec_lo, exec_lo, s12
	v_dual_mov_b32 v64, v56 :: v_dual_mov_b32 v62, v56
.LBB48_204:
	s_or_b32 exec_lo, exec_lo, s1
.LBB48_205:
	s_and_not1_saveexec_b32 s0, s0
	s_cbranch_execz .LBB48_207
; %bb.206:
	v_dual_mov_b32 v56, v34 :: v_dual_mov_b32 v57, v35
	v_dual_mov_b32 v64, v30 :: v_dual_mov_b32 v65, v31
	ds_store_2addr_b64 v60, v[56:57], v[64:65] offset0:10 offset1:11
	v_dual_mov_b32 v56, v24 :: v_dual_mov_b32 v57, v25
	v_dual_mov_b32 v64, v20 :: v_dual_mov_b32 v65, v21
	ds_store_2addr_b64 v60, v[56:57], v[64:65] offset0:12 offset1:13
	;; [unrolled: 3-line block ×7, first 2 shown]
	ds_store_b64 v60, v[54:55] offset:192
	v_mov_b32_e32 v64, 9
.LBB48_207:
	s_or_b32 exec_lo, exec_lo, s0
	s_delay_alu instid0(SALU_CYCLE_1)
	s_mov_b32 s0, exec_lo
	s_wait_storecnt_dscnt 0x0
	s_barrier_signal -1
	s_barrier_wait -1
	v_cmpx_lt_i32_e32 9, v64
	s_cbranch_execz .LBB48_209
; %bb.208:
	v_pk_mul_f32 v[66:67], v[58:59], v[32:33] op_sel:[1,1] op_sel_hi:[0,1]
	s_delay_alu instid0(VALU_DEP_1)
	v_pk_fma_f32 v[56:57], v[58:59], v[32:33], v[66:67] op_sel_hi:[1,0,1] neg_lo:[0,0,1] neg_hi:[0,0,1]
	v_pk_fma_f32 v[58:59], v[58:59], v[32:33], v[66:67] op_sel_hi:[1,0,1]
	ds_load_2addr_b64 v[66:69], v60 offset0:10 offset1:11
	v_dual_mov_b32 v32, v56 :: v_dual_mov_b32 v33, v59
	s_wait_dscnt 0x0
	v_pk_mul_f32 v[70:71], v[66:67], v[58:59] op_sel:[0,1]
	s_delay_alu instid0(VALU_DEP_1) | instskip(SKIP_1) | instid1(VALU_DEP_1)
	v_pk_fma_f32 v[72:73], v[66:67], v[56:57], v[70:71] op_sel:[0,0,1] op_sel_hi:[1,1,0] neg_lo:[0,0,1] neg_hi:[0,0,1]
	v_pk_fma_f32 v[66:67], v[66:67], v[56:57], v[70:71] op_sel:[0,0,1] op_sel_hi:[1,0,0]
	v_mov_b32_e32 v73, v67
	v_pk_mul_f32 v[66:67], v[68:69], v[58:59] op_sel:[0,1]
	s_delay_alu instid0(VALU_DEP_1) | instskip(SKIP_1) | instid1(VALU_DEP_1)
	v_pk_fma_f32 v[70:71], v[68:69], v[56:57], v[66:67] op_sel:[0,0,1] op_sel_hi:[1,1,0] neg_lo:[0,0,1] neg_hi:[0,0,1]
	v_pk_fma_f32 v[66:67], v[68:69], v[56:57], v[66:67] op_sel:[0,0,1] op_sel_hi:[1,0,0]
	v_mov_b32_e32 v71, v67
	ds_load_2addr_b64 v[66:69], v60 offset0:12 offset1:13
	v_pk_add_f32 v[34:35], v[34:35], v[72:73] neg_lo:[0,1] neg_hi:[0,1]
	v_pk_add_f32 v[30:31], v[30:31], v[70:71] neg_lo:[0,1] neg_hi:[0,1]
	s_wait_dscnt 0x0
	v_pk_mul_f32 v[70:71], v[66:67], v[58:59] op_sel:[0,1]
	s_delay_alu instid0(VALU_DEP_1) | instskip(SKIP_2) | instid1(VALU_DEP_2)
	v_pk_fma_f32 v[72:73], v[66:67], v[56:57], v[70:71] op_sel:[0,0,1] op_sel_hi:[1,1,0] neg_lo:[0,0,1] neg_hi:[0,0,1]
	v_pk_fma_f32 v[66:67], v[66:67], v[56:57], v[70:71] op_sel:[0,0,1] op_sel_hi:[1,0,0]
	v_dual_mul_f32 v70, v69, v59 :: v_dual_mov_b32 v66, v69
	v_dual_mov_b32 v73, v67 :: v_dual_mov_b32 v67, v68
	s_delay_alu instid0(VALU_DEP_2) | instskip(SKIP_1) | instid1(VALU_DEP_3)
	v_pk_fma_f32 v[70:71], v[68:69], v[32:33], v[70:71] op_sel_hi:[1,1,0] neg_lo:[0,0,1] neg_hi:[0,0,1]
	v_mul_f32_e32 v68, v69, v56
	v_pk_add_f32 v[24:25], v[24:25], v[72:73] neg_lo:[0,1] neg_hi:[0,1]
	s_delay_alu instid0(VALU_DEP_2) | instskip(NEXT) | instid1(VALU_DEP_1)
	v_pk_fma_f32 v[66:67], v[66:67], v[32:33], v[68:69] op_sel_hi:[1,1,0]
	v_mov_b32_e32 v71, v67
	ds_load_2addr_b64 v[66:69], v60 offset0:14 offset1:15
	v_pk_add_f32 v[20:21], v[20:21], v[70:71] neg_lo:[0,1] neg_hi:[0,1]
	s_wait_dscnt 0x0
	v_pk_mul_f32 v[70:71], v[66:67], v[58:59] op_sel:[0,1]
	s_delay_alu instid0(VALU_DEP_1) | instskip(SKIP_1) | instid1(VALU_DEP_1)
	v_pk_fma_f32 v[72:73], v[66:67], v[56:57], v[70:71] op_sel:[0,0,1] op_sel_hi:[1,1,0] neg_lo:[0,0,1] neg_hi:[0,0,1]
	v_pk_fma_f32 v[66:67], v[66:67], v[56:57], v[70:71] op_sel:[0,0,1] op_sel_hi:[1,0,0]
	v_mov_b32_e32 v73, v67
	v_pk_mul_f32 v[66:67], v[68:69], v[58:59] op_sel:[0,1]
	s_delay_alu instid0(VALU_DEP_1) | instskip(SKIP_1) | instid1(VALU_DEP_1)
	v_pk_fma_f32 v[70:71], v[68:69], v[56:57], v[66:67] op_sel:[0,0,1] op_sel_hi:[1,1,0] neg_lo:[0,0,1] neg_hi:[0,0,1]
	v_pk_fma_f32 v[66:67], v[68:69], v[56:57], v[66:67] op_sel:[0,0,1] op_sel_hi:[1,0,0]
	v_mov_b32_e32 v71, v67
	ds_load_2addr_b64 v[66:69], v60 offset0:16 offset1:17
	v_pk_add_f32 v[22:23], v[22:23], v[72:73] neg_lo:[0,1] neg_hi:[0,1]
	v_pk_add_f32 v[18:19], v[18:19], v[70:71] neg_lo:[0,1] neg_hi:[0,1]
	s_wait_dscnt 0x0
	v_pk_mul_f32 v[70:71], v[66:67], v[58:59] op_sel:[0,1]
	s_delay_alu instid0(VALU_DEP_1) | instskip(SKIP_1) | instid1(VALU_DEP_1)
	v_pk_fma_f32 v[72:73], v[66:67], v[56:57], v[70:71] op_sel:[0,0,1] op_sel_hi:[1,1,0] neg_lo:[0,0,1] neg_hi:[0,0,1]
	v_pk_fma_f32 v[66:67], v[66:67], v[56:57], v[70:71] op_sel:[0,0,1] op_sel_hi:[1,0,0]
	v_mov_b32_e32 v73, v67
	v_pk_mul_f32 v[66:67], v[68:69], v[58:59] op_sel:[0,1]
	s_delay_alu instid0(VALU_DEP_1) | instskip(SKIP_1) | instid1(VALU_DEP_1)
	v_pk_fma_f32 v[70:71], v[68:69], v[56:57], v[66:67] op_sel:[0,0,1] op_sel_hi:[1,1,0] neg_lo:[0,0,1] neg_hi:[0,0,1]
	v_pk_fma_f32 v[66:67], v[68:69], v[56:57], v[66:67] op_sel:[0,0,1] op_sel_hi:[1,0,0]
	v_mov_b32_e32 v71, v67
	ds_load_2addr_b64 v[66:69], v60 offset0:18 offset1:19
	v_pk_add_f32 v[14:15], v[14:15], v[72:73] neg_lo:[0,1] neg_hi:[0,1]
	v_pk_add_f32 v[10:11], v[10:11], v[70:71] neg_lo:[0,1] neg_hi:[0,1]
	s_wait_dscnt 0x0
	v_dual_mul_f32 v70, v67, v59 :: v_dual_mul_f32 v72, v67, v56
	s_delay_alu instid0(VALU_DEP_1) | instskip(NEXT) | instid1(VALU_DEP_2)
	v_pk_fma_f32 v[70:71], v[66:67], v[32:33], v[70:71] op_sel_hi:[1,1,0] neg_lo:[0,0,1] neg_hi:[0,0,1]
	v_pk_fma_f32 v[66:67], v[66:67], v[32:33], v[72:73] op_sel:[1,0,0] op_sel_hi:[0,1,0]
	s_delay_alu instid0(VALU_DEP_1) | instskip(SKIP_1) | instid1(VALU_DEP_2)
	v_mov_b32_e32 v71, v67
	v_pk_mul_f32 v[66:67], v[68:69], v[58:59] op_sel:[0,1]
	v_pk_add_f32 v[12:13], v[12:13], v[70:71] neg_lo:[0,1] neg_hi:[0,1]
	s_delay_alu instid0(VALU_DEP_2) | instskip(SKIP_1) | instid1(VALU_DEP_1)
	v_pk_fma_f32 v[70:71], v[68:69], v[56:57], v[66:67] op_sel:[0,0,1] op_sel_hi:[1,1,0] neg_lo:[0,0,1] neg_hi:[0,0,1]
	v_pk_fma_f32 v[66:67], v[68:69], v[56:57], v[66:67] op_sel:[0,0,1] op_sel_hi:[1,0,0]
	v_mov_b32_e32 v71, v67
	ds_load_2addr_b64 v[66:69], v60 offset0:20 offset1:21
	v_pk_add_f32 v[8:9], v[8:9], v[70:71] neg_lo:[0,1] neg_hi:[0,1]
	s_wait_dscnt 0x0
	v_pk_mul_f32 v[70:71], v[66:67], v[58:59] op_sel:[0,1]
	s_delay_alu instid0(VALU_DEP_1) | instskip(SKIP_1) | instid1(VALU_DEP_1)
	v_pk_fma_f32 v[72:73], v[66:67], v[56:57], v[70:71] op_sel:[0,0,1] op_sel_hi:[1,1,0] neg_lo:[0,0,1] neg_hi:[0,0,1]
	v_pk_fma_f32 v[66:67], v[66:67], v[56:57], v[70:71] op_sel:[0,0,1] op_sel_hi:[1,0,0]
	v_mov_b32_e32 v73, v67
	v_pk_mul_f32 v[66:67], v[68:69], v[58:59] op_sel:[0,1]
	s_delay_alu instid0(VALU_DEP_2) | instskip(NEXT) | instid1(VALU_DEP_2)
	v_pk_add_f32 v[6:7], v[6:7], v[72:73] neg_lo:[0,1] neg_hi:[0,1]
	v_pk_fma_f32 v[70:71], v[68:69], v[56:57], v[66:67] op_sel:[0,0,1] op_sel_hi:[1,1,0] neg_lo:[0,0,1] neg_hi:[0,0,1]
	v_pk_fma_f32 v[66:67], v[68:69], v[56:57], v[66:67] op_sel:[0,0,1] op_sel_hi:[1,0,0]
	s_delay_alu instid0(VALU_DEP_1) | instskip(SKIP_4) | instid1(VALU_DEP_1)
	v_mov_b32_e32 v71, v67
	ds_load_2addr_b64 v[66:69], v60 offset0:22 offset1:23
	v_pk_add_f32 v[28:29], v[28:29], v[70:71] neg_lo:[0,1] neg_hi:[0,1]
	s_wait_dscnt 0x0
	v_pk_mul_f32 v[70:71], v[66:67], v[58:59] op_sel:[0,1]
	v_pk_fma_f32 v[72:73], v[66:67], v[56:57], v[70:71] op_sel:[0,0,1] op_sel_hi:[1,1,0] neg_lo:[0,0,1] neg_hi:[0,0,1]
	v_pk_fma_f32 v[66:67], v[66:67], v[56:57], v[70:71] op_sel:[0,0,1] op_sel_hi:[1,0,0]
	v_dual_mul_f32 v70, v69, v59 :: v_dual_mov_b32 v66, v69
	s_delay_alu instid0(VALU_DEP_2) | instskip(NEXT) | instid1(VALU_DEP_2)
	v_dual_mov_b32 v73, v67 :: v_dual_mov_b32 v67, v68
	v_pk_fma_f32 v[70:71], v[68:69], v[32:33], v[70:71] op_sel_hi:[1,1,0] neg_lo:[0,0,1] neg_hi:[0,0,1]
	v_mul_f32_e32 v68, v69, v56
	s_delay_alu instid0(VALU_DEP_3) | instskip(NEXT) | instid1(VALU_DEP_2)
	v_pk_add_f32 v[26:27], v[26:27], v[72:73] neg_lo:[0,1] neg_hi:[0,1]
	v_pk_fma_f32 v[66:67], v[66:67], v[32:33], v[68:69] op_sel_hi:[1,1,0]
	s_delay_alu instid0(VALU_DEP_1) | instskip(SKIP_4) | instid1(VALU_DEP_1)
	v_mov_b32_e32 v71, v67
	ds_load_b64 v[66:67], v60 offset:192
	v_pk_add_f32 v[16:17], v[16:17], v[70:71] neg_lo:[0,1] neg_hi:[0,1]
	s_wait_dscnt 0x0
	v_pk_mul_f32 v[58:59], v[66:67], v[58:59] op_sel:[0,1]
	v_pk_fma_f32 v[68:69], v[66:67], v[56:57], v[58:59] op_sel:[0,0,1] op_sel_hi:[1,1,0] neg_lo:[0,0,1] neg_hi:[0,0,1]
	v_pk_fma_f32 v[56:57], v[66:67], v[56:57], v[58:59] op_sel:[0,0,1] op_sel_hi:[1,0,0]
	s_delay_alu instid0(VALU_DEP_1) | instskip(NEXT) | instid1(VALU_DEP_1)
	v_mov_b32_e32 v69, v57
	v_pk_add_f32 v[54:55], v[54:55], v[68:69] neg_lo:[0,1] neg_hi:[0,1]
.LBB48_209:
	s_or_b32 exec_lo, exec_lo, s0
	v_lshl_add_u32 v56, v64, 3, v60
	s_barrier_signal -1
	s_barrier_wait -1
	ds_store_b64 v56, v[34:35]
	s_wait_dscnt 0x0
	s_barrier_signal -1
	s_barrier_wait -1
	ds_load_b64 v[58:59], v60 offset:80
	v_mov_b32_e32 v56, 10
	s_cmp_lt_i32 s18, 12
	s_cbranch_scc1 .LBB48_212
; %bb.210:
	v_add3_u32 v57, v61, 0, 0x58
	v_mov_b32_e32 v56, 10
	s_mov_b32 s0, 11
.LBB48_211:                             ; =>This Inner Loop Header: Depth=1
	ds_load_b64 v[66:67], v57
	s_wait_dscnt 0x1
	v_cmp_gt_f32_e32 vcc_lo, 0, v58
	v_cndmask_b32_e64 v68, v58, -v58, vcc_lo
	v_cmp_gt_f32_e32 vcc_lo, 0, v59
	v_cndmask_b32_e64 v70, v59, -v59, vcc_lo
	s_wait_dscnt 0x0
	v_cmp_gt_f32_e32 vcc_lo, 0, v66
	v_cndmask_b32_e64 v69, v66, -v66, vcc_lo
	v_cmp_gt_f32_e32 vcc_lo, 0, v67
	v_cndmask_b32_e64 v71, v67, -v67, vcc_lo
	s_delay_alu instid0(VALU_DEP_1) | instskip(NEXT) | instid1(VALU_DEP_1)
	v_pk_add_f32 v[68:69], v[68:69], v[70:71]
	v_cmp_lt_f32_e32 vcc_lo, v68, v69
	v_dual_add_nc_u32 v57, 8, v57 :: v_dual_cndmask_b32 v59, v59, v67, vcc_lo
	v_cndmask_b32_e32 v58, v58, v66, vcc_lo
	v_cndmask_b32_e64 v56, v56, s0, vcc_lo
	s_add_co_i32 s0, s0, 1
	s_delay_alu instid0(SALU_CYCLE_1)
	s_cmp_lg_u32 s18, s0
	s_cbranch_scc1 .LBB48_211
.LBB48_212:
	s_wait_dscnt 0x0
	v_cmp_eq_f32_e32 vcc_lo, 0, v58
	v_cmp_eq_f32_e64 s0, 0, v59
	s_and_b32 s0, vcc_lo, s0
	s_delay_alu instid0(SALU_CYCLE_1) | instskip(NEXT) | instid1(SALU_CYCLE_1)
	s_and_saveexec_b32 s1, s0
	s_xor_b32 s0, exec_lo, s1
; %bb.213:
	v_cmp_ne_u32_e32 vcc_lo, 0, v63
	v_cndmask_b32_e32 v63, 11, v63, vcc_lo
; %bb.214:
	s_and_not1_saveexec_b32 s0, s0
	s_cbranch_execz .LBB48_220
; %bb.215:
	v_cmp_ngt_f32_e64 s1, |v58|, |v59|
	s_and_saveexec_b32 s12, s1
	s_delay_alu instid0(SALU_CYCLE_1)
	s_xor_b32 s1, exec_lo, s12
	s_cbranch_execz .LBB48_217
; %bb.216:
	v_div_scale_f32 v57, null, v59, v59, v58
	v_div_scale_f32 v67, vcc_lo, v58, v59, v58
	s_delay_alu instid0(VALU_DEP_2) | instskip(SKIP_1) | instid1(TRANS32_DEP_1)
	v_rcp_f32_e32 v65, v57
	v_nop
	v_fma_f32 v66, -v57, v65, 1.0
	s_delay_alu instid0(VALU_DEP_1) | instskip(NEXT) | instid1(VALU_DEP_1)
	v_fmac_f32_e32 v65, v66, v65
	v_mul_f32_e32 v66, v67, v65
	s_delay_alu instid0(VALU_DEP_1) | instskip(NEXT) | instid1(VALU_DEP_1)
	v_fma_f32 v68, -v57, v66, v67
	v_fmac_f32_e32 v66, v68, v65
	s_delay_alu instid0(VALU_DEP_1) | instskip(NEXT) | instid1(VALU_DEP_1)
	v_fma_f32 v57, -v57, v66, v67
	v_div_fmas_f32 v57, v57, v65, v66
	s_delay_alu instid0(VALU_DEP_1) | instskip(NEXT) | instid1(VALU_DEP_1)
	v_div_fixup_f32 v57, v57, v59, v58
	v_fmac_f32_e32 v59, v58, v57
	s_delay_alu instid0(VALU_DEP_1) | instskip(SKIP_1) | instid1(VALU_DEP_2)
	v_div_scale_f32 v58, null, v59, v59, 1.0
	v_div_scale_f32 v67, vcc_lo, 1.0, v59, 1.0
	v_rcp_f32_e32 v65, v58
	v_nop
	s_delay_alu instid0(TRANS32_DEP_1) | instskip(NEXT) | instid1(VALU_DEP_1)
	v_fma_f32 v66, -v58, v65, 1.0
	v_fmac_f32_e32 v65, v66, v65
	s_delay_alu instid0(VALU_DEP_1) | instskip(NEXT) | instid1(VALU_DEP_1)
	v_mul_f32_e32 v66, v67, v65
	v_fma_f32 v68, -v58, v66, v67
	s_delay_alu instid0(VALU_DEP_1) | instskip(NEXT) | instid1(VALU_DEP_1)
	v_fmac_f32_e32 v66, v68, v65
	v_fma_f32 v58, -v58, v66, v67
	s_delay_alu instid0(VALU_DEP_1) | instskip(NEXT) | instid1(VALU_DEP_1)
	v_div_fmas_f32 v58, v58, v65, v66
	v_div_fixup_f32 v59, v58, v59, 1.0
	s_delay_alu instid0(VALU_DEP_1)
	v_mul_f32_e32 v58, v57, v59
	v_xor_b32_e32 v59, 0x80000000, v59
.LBB48_217:
	s_and_not1_saveexec_b32 s1, s1
	s_cbranch_execz .LBB48_219
; %bb.218:
	s_delay_alu instid0(VALU_DEP_1) | instskip(SKIP_1) | instid1(VALU_DEP_2)
	v_div_scale_f32 v57, null, v58, v58, v59
	v_div_scale_f32 v67, vcc_lo, v59, v58, v59
	v_rcp_f32_e32 v65, v57
	v_nop
	s_delay_alu instid0(TRANS32_DEP_1) | instskip(NEXT) | instid1(VALU_DEP_1)
	v_fma_f32 v66, -v57, v65, 1.0
	v_fmac_f32_e32 v65, v66, v65
	s_delay_alu instid0(VALU_DEP_1) | instskip(NEXT) | instid1(VALU_DEP_1)
	v_mul_f32_e32 v66, v67, v65
	v_fma_f32 v68, -v57, v66, v67
	s_delay_alu instid0(VALU_DEP_1) | instskip(NEXT) | instid1(VALU_DEP_1)
	v_fmac_f32_e32 v66, v68, v65
	v_fma_f32 v57, -v57, v66, v67
	s_delay_alu instid0(VALU_DEP_1) | instskip(NEXT) | instid1(VALU_DEP_1)
	v_div_fmas_f32 v57, v57, v65, v66
	v_div_fixup_f32 v57, v57, v58, v59
	s_delay_alu instid0(VALU_DEP_1) | instskip(NEXT) | instid1(VALU_DEP_1)
	v_fmac_f32_e32 v58, v59, v57
	v_div_scale_f32 v59, null, v58, v58, 1.0
	s_delay_alu instid0(VALU_DEP_1) | instskip(SKIP_1) | instid1(TRANS32_DEP_1)
	v_rcp_f32_e32 v65, v59
	v_nop
	v_fma_f32 v66, -v59, v65, 1.0
	s_delay_alu instid0(VALU_DEP_1) | instskip(SKIP_1) | instid1(VALU_DEP_1)
	v_fmac_f32_e32 v65, v66, v65
	v_div_scale_f32 v66, vcc_lo, 1.0, v58, 1.0
	v_mul_f32_e32 v67, v66, v65
	s_delay_alu instid0(VALU_DEP_1) | instskip(NEXT) | instid1(VALU_DEP_1)
	v_fma_f32 v68, -v59, v67, v66
	v_fmac_f32_e32 v67, v68, v65
	s_delay_alu instid0(VALU_DEP_1) | instskip(NEXT) | instid1(VALU_DEP_1)
	v_fma_f32 v59, -v59, v67, v66
	v_div_fmas_f32 v59, v59, v65, v67
	s_delay_alu instid0(VALU_DEP_1) | instskip(NEXT) | instid1(VALU_DEP_1)
	v_div_fixup_f32 v58, v59, v58, 1.0
	v_mul_f32_e64 v59, v57, -v58
.LBB48_219:
	s_or_b32 exec_lo, exec_lo, s1
.LBB48_220:
	s_delay_alu instid0(SALU_CYCLE_1) | instskip(NEXT) | instid1(SALU_CYCLE_1)
	s_or_b32 exec_lo, exec_lo, s0
	s_mov_b32 s0, exec_lo
	v_cmpx_ne_u32_e64 v64, v56
	s_xor_b32 s0, exec_lo, s0
	s_cbranch_execz .LBB48_226
; %bb.221:
	s_mov_b32 s1, exec_lo
	v_cmpx_eq_u32_e32 10, v64
	s_cbranch_execz .LBB48_225
; %bb.222:
	v_cmp_ne_u32_e32 vcc_lo, 10, v56
	s_xor_b32 s12, s16, -1
	s_delay_alu instid0(SALU_CYCLE_1) | instskip(NEXT) | instid1(SALU_CYCLE_1)
	s_and_b32 s13, s12, vcc_lo
	s_and_saveexec_b32 s12, s13
	s_cbranch_execz .LBB48_224
; %bb.223:
	v_ashrrev_i32_e32 v57, 31, v56
	s_delay_alu instid0(VALU_DEP_1)
	v_lshl_add_u64 v[64:65], v[56:57], 2, v[4:5]
	s_clause 0x1
	global_load_b32 v57, v[64:65], off
	global_load_b32 v62, v[4:5], off offset:40
	s_wait_loadcnt 0x1
	global_store_b32 v[4:5], v57, off offset:40
	s_wait_loadcnt 0x0
	global_store_b32 v[64:65], v62, off
.LBB48_224:
	s_wait_xcnt 0x0
	s_or_b32 exec_lo, exec_lo, s12
	v_dual_mov_b32 v64, v56 :: v_dual_mov_b32 v62, v56
.LBB48_225:
	s_or_b32 exec_lo, exec_lo, s1
.LBB48_226:
	s_and_not1_saveexec_b32 s0, s0
	s_cbranch_execz .LBB48_228
; %bb.227:
	v_mov_b32_e32 v64, 10
	ds_store_2addr_b64 v60, v[30:31], v[24:25] offset0:11 offset1:12
	ds_store_2addr_b64 v60, v[20:21], v[22:23] offset0:13 offset1:14
	;; [unrolled: 1-line block ×7, first 2 shown]
.LBB48_228:
	s_or_b32 exec_lo, exec_lo, s0
	s_delay_alu instid0(SALU_CYCLE_1)
	s_mov_b32 s0, exec_lo
	s_wait_storecnt_dscnt 0x0
	s_barrier_signal -1
	s_barrier_wait -1
	v_cmpx_lt_i32_e32 10, v64
	s_cbranch_execz .LBB48_230
; %bb.229:
	v_pk_mul_f32 v[66:67], v[58:59], v[34:35] op_sel:[1,1] op_sel_hi:[0,1]
	s_delay_alu instid0(VALU_DEP_1)
	v_pk_fma_f32 v[56:57], v[58:59], v[34:35], v[66:67] op_sel_hi:[1,0,1] neg_lo:[0,0,1] neg_hi:[0,0,1]
	v_pk_fma_f32 v[58:59], v[58:59], v[34:35], v[66:67] op_sel_hi:[1,0,1]
	ds_load_2addr_b64 v[66:69], v60 offset0:11 offset1:12
	v_dual_mov_b32 v34, v56 :: v_dual_mov_b32 v35, v59
	s_wait_dscnt 0x0
	v_pk_mul_f32 v[70:71], v[66:67], v[58:59] op_sel:[0,1]
	s_delay_alu instid0(VALU_DEP_1) | instskip(SKIP_1) | instid1(VALU_DEP_1)
	v_pk_fma_f32 v[72:73], v[66:67], v[56:57], v[70:71] op_sel:[0,0,1] op_sel_hi:[1,1,0] neg_lo:[0,0,1] neg_hi:[0,0,1]
	v_pk_fma_f32 v[66:67], v[66:67], v[56:57], v[70:71] op_sel:[0,0,1] op_sel_hi:[1,0,0]
	v_mov_b32_e32 v73, v67
	v_pk_mul_f32 v[66:67], v[68:69], v[58:59] op_sel:[0,1]
	s_delay_alu instid0(VALU_DEP_1) | instskip(SKIP_1) | instid1(VALU_DEP_1)
	v_pk_fma_f32 v[70:71], v[68:69], v[56:57], v[66:67] op_sel:[0,0,1] op_sel_hi:[1,1,0] neg_lo:[0,0,1] neg_hi:[0,0,1]
	v_pk_fma_f32 v[66:67], v[68:69], v[56:57], v[66:67] op_sel:[0,0,1] op_sel_hi:[1,0,0]
	v_mov_b32_e32 v71, v67
	ds_load_2addr_b64 v[66:69], v60 offset0:13 offset1:14
	v_pk_add_f32 v[30:31], v[30:31], v[72:73] neg_lo:[0,1] neg_hi:[0,1]
	v_pk_add_f32 v[24:25], v[24:25], v[70:71] neg_lo:[0,1] neg_hi:[0,1]
	s_wait_dscnt 0x0
	v_pk_mul_f32 v[70:71], v[66:67], v[58:59] op_sel:[0,1]
	s_delay_alu instid0(VALU_DEP_1) | instskip(SKIP_2) | instid1(VALU_DEP_2)
	v_pk_fma_f32 v[72:73], v[66:67], v[56:57], v[70:71] op_sel:[0,0,1] op_sel_hi:[1,1,0] neg_lo:[0,0,1] neg_hi:[0,0,1]
	v_pk_fma_f32 v[66:67], v[66:67], v[56:57], v[70:71] op_sel:[0,0,1] op_sel_hi:[1,0,0]
	v_dual_mul_f32 v70, v69, v59 :: v_dual_mov_b32 v66, v69
	v_dual_mov_b32 v73, v67 :: v_dual_mov_b32 v67, v68
	s_delay_alu instid0(VALU_DEP_2) | instskip(SKIP_1) | instid1(VALU_DEP_3)
	v_pk_fma_f32 v[70:71], v[68:69], v[34:35], v[70:71] op_sel_hi:[1,1,0] neg_lo:[0,0,1] neg_hi:[0,0,1]
	v_mul_f32_e32 v68, v69, v56
	v_pk_add_f32 v[20:21], v[20:21], v[72:73] neg_lo:[0,1] neg_hi:[0,1]
	s_delay_alu instid0(VALU_DEP_2) | instskip(NEXT) | instid1(VALU_DEP_1)
	v_pk_fma_f32 v[66:67], v[66:67], v[34:35], v[68:69] op_sel_hi:[1,1,0]
	v_mov_b32_e32 v71, v67
	ds_load_2addr_b64 v[66:69], v60 offset0:15 offset1:16
	v_pk_add_f32 v[22:23], v[22:23], v[70:71] neg_lo:[0,1] neg_hi:[0,1]
	s_wait_dscnt 0x0
	v_pk_mul_f32 v[70:71], v[66:67], v[58:59] op_sel:[0,1]
	s_delay_alu instid0(VALU_DEP_1) | instskip(SKIP_1) | instid1(VALU_DEP_1)
	v_pk_fma_f32 v[72:73], v[66:67], v[56:57], v[70:71] op_sel:[0,0,1] op_sel_hi:[1,1,0] neg_lo:[0,0,1] neg_hi:[0,0,1]
	v_pk_fma_f32 v[66:67], v[66:67], v[56:57], v[70:71] op_sel:[0,0,1] op_sel_hi:[1,0,0]
	v_mov_b32_e32 v73, v67
	v_pk_mul_f32 v[66:67], v[68:69], v[58:59] op_sel:[0,1]
	s_delay_alu instid0(VALU_DEP_1) | instskip(SKIP_1) | instid1(VALU_DEP_1)
	v_pk_fma_f32 v[70:71], v[68:69], v[56:57], v[66:67] op_sel:[0,0,1] op_sel_hi:[1,1,0] neg_lo:[0,0,1] neg_hi:[0,0,1]
	v_pk_fma_f32 v[66:67], v[68:69], v[56:57], v[66:67] op_sel:[0,0,1] op_sel_hi:[1,0,0]
	v_mov_b32_e32 v71, v67
	ds_load_2addr_b64 v[66:69], v60 offset0:17 offset1:18
	v_pk_add_f32 v[18:19], v[18:19], v[72:73] neg_lo:[0,1] neg_hi:[0,1]
	v_pk_add_f32 v[14:15], v[14:15], v[70:71] neg_lo:[0,1] neg_hi:[0,1]
	s_wait_dscnt 0x0
	v_pk_mul_f32 v[70:71], v[66:67], v[58:59] op_sel:[0,1]
	s_delay_alu instid0(VALU_DEP_1) | instskip(SKIP_1) | instid1(VALU_DEP_1)
	v_pk_fma_f32 v[72:73], v[66:67], v[56:57], v[70:71] op_sel:[0,0,1] op_sel_hi:[1,1,0] neg_lo:[0,0,1] neg_hi:[0,0,1]
	v_pk_fma_f32 v[66:67], v[66:67], v[56:57], v[70:71] op_sel:[0,0,1] op_sel_hi:[1,0,0]
	v_mov_b32_e32 v73, v67
	v_pk_mul_f32 v[66:67], v[68:69], v[58:59] op_sel:[0,1]
	s_delay_alu instid0(VALU_DEP_1) | instskip(SKIP_1) | instid1(VALU_DEP_1)
	v_pk_fma_f32 v[70:71], v[68:69], v[56:57], v[66:67] op_sel:[0,0,1] op_sel_hi:[1,1,0] neg_lo:[0,0,1] neg_hi:[0,0,1]
	v_pk_fma_f32 v[66:67], v[68:69], v[56:57], v[66:67] op_sel:[0,0,1] op_sel_hi:[1,0,0]
	v_mov_b32_e32 v71, v67
	ds_load_2addr_b64 v[66:69], v60 offset0:19 offset1:20
	v_pk_add_f32 v[10:11], v[10:11], v[72:73] neg_lo:[0,1] neg_hi:[0,1]
	v_pk_add_f32 v[12:13], v[12:13], v[70:71] neg_lo:[0,1] neg_hi:[0,1]
	s_wait_dscnt 0x0
	v_dual_mul_f32 v70, v67, v59 :: v_dual_mul_f32 v72, v67, v56
	s_delay_alu instid0(VALU_DEP_1) | instskip(NEXT) | instid1(VALU_DEP_2)
	v_pk_fma_f32 v[70:71], v[66:67], v[34:35], v[70:71] op_sel_hi:[1,1,0] neg_lo:[0,0,1] neg_hi:[0,0,1]
	v_pk_fma_f32 v[66:67], v[66:67], v[34:35], v[72:73] op_sel:[1,0,0] op_sel_hi:[0,1,0]
	s_delay_alu instid0(VALU_DEP_1) | instskip(SKIP_1) | instid1(VALU_DEP_2)
	v_mov_b32_e32 v71, v67
	v_pk_mul_f32 v[66:67], v[68:69], v[58:59] op_sel:[0,1]
	v_pk_add_f32 v[8:9], v[8:9], v[70:71] neg_lo:[0,1] neg_hi:[0,1]
	s_delay_alu instid0(VALU_DEP_2) | instskip(SKIP_1) | instid1(VALU_DEP_1)
	v_pk_fma_f32 v[70:71], v[68:69], v[56:57], v[66:67] op_sel:[0,0,1] op_sel_hi:[1,1,0] neg_lo:[0,0,1] neg_hi:[0,0,1]
	v_pk_fma_f32 v[66:67], v[68:69], v[56:57], v[66:67] op_sel:[0,0,1] op_sel_hi:[1,0,0]
	v_mov_b32_e32 v71, v67
	ds_load_2addr_b64 v[66:69], v60 offset0:21 offset1:22
	v_pk_add_f32 v[6:7], v[6:7], v[70:71] neg_lo:[0,1] neg_hi:[0,1]
	s_wait_dscnt 0x0
	v_pk_mul_f32 v[70:71], v[66:67], v[58:59] op_sel:[0,1]
	s_delay_alu instid0(VALU_DEP_1) | instskip(SKIP_1) | instid1(VALU_DEP_1)
	v_pk_fma_f32 v[72:73], v[66:67], v[56:57], v[70:71] op_sel:[0,0,1] op_sel_hi:[1,1,0] neg_lo:[0,0,1] neg_hi:[0,0,1]
	v_pk_fma_f32 v[66:67], v[66:67], v[56:57], v[70:71] op_sel:[0,0,1] op_sel_hi:[1,0,0]
	v_mov_b32_e32 v73, v67
	v_pk_mul_f32 v[66:67], v[68:69], v[58:59] op_sel:[0,1]
	s_delay_alu instid0(VALU_DEP_2) | instskip(NEXT) | instid1(VALU_DEP_2)
	v_pk_add_f32 v[28:29], v[28:29], v[72:73] neg_lo:[0,1] neg_hi:[0,1]
	v_pk_fma_f32 v[70:71], v[68:69], v[56:57], v[66:67] op_sel:[0,0,1] op_sel_hi:[1,1,0] neg_lo:[0,0,1] neg_hi:[0,0,1]
	v_pk_fma_f32 v[66:67], v[68:69], v[56:57], v[66:67] op_sel:[0,0,1] op_sel_hi:[1,0,0]
	s_delay_alu instid0(VALU_DEP_1)
	v_mov_b32_e32 v71, v67
	ds_load_2addr_b64 v[66:69], v60 offset0:23 offset1:24
	v_pk_add_f32 v[26:27], v[26:27], v[70:71] neg_lo:[0,1] neg_hi:[0,1]
	s_wait_dscnt 0x0
	v_pk_mul_f32 v[70:71], v[66:67], v[58:59] op_sel:[0,1]
	v_pk_mul_f32 v[58:59], v[68:69], v[58:59] op_sel:[0,1]
	s_delay_alu instid0(VALU_DEP_2) | instskip(SKIP_1) | instid1(VALU_DEP_1)
	v_pk_fma_f32 v[72:73], v[66:67], v[56:57], v[70:71] op_sel:[0,0,1] op_sel_hi:[1,1,0] neg_lo:[0,0,1] neg_hi:[0,0,1]
	v_pk_fma_f32 v[66:67], v[66:67], v[56:57], v[70:71] op_sel:[0,0,1] op_sel_hi:[1,0,0]
	v_mov_b32_e32 v73, v67
	s_delay_alu instid0(VALU_DEP_4) | instskip(SKIP_1) | instid1(VALU_DEP_3)
	v_pk_fma_f32 v[66:67], v[68:69], v[56:57], v[58:59] op_sel:[0,0,1] op_sel_hi:[1,1,0] neg_lo:[0,0,1] neg_hi:[0,0,1]
	v_pk_fma_f32 v[56:57], v[68:69], v[56:57], v[58:59] op_sel:[0,0,1] op_sel_hi:[1,0,0]
	v_pk_add_f32 v[16:17], v[16:17], v[72:73] neg_lo:[0,1] neg_hi:[0,1]
	s_delay_alu instid0(VALU_DEP_2) | instskip(NEXT) | instid1(VALU_DEP_1)
	v_mov_b32_e32 v67, v57
	v_pk_add_f32 v[54:55], v[54:55], v[66:67] neg_lo:[0,1] neg_hi:[0,1]
.LBB48_230:
	s_or_b32 exec_lo, exec_lo, s0
	v_lshl_add_u32 v56, v64, 3, v60
	s_barrier_signal -1
	s_barrier_wait -1
	ds_store_b64 v56, v[30:31]
	s_wait_dscnt 0x0
	s_barrier_signal -1
	s_barrier_wait -1
	ds_load_b64 v[56:57], v60 offset:88
	v_mov_b32_e32 v58, 11
	s_cmp_lt_i32 s18, 13
	s_cbranch_scc1 .LBB48_233
; %bb.231:
	v_add3_u32 v59, v61, 0, 0x60
	v_mov_b32_e32 v58, 11
	s_mov_b32 s0, 12
.LBB48_232:                             ; =>This Inner Loop Header: Depth=1
	ds_load_b64 v[66:67], v59
	s_wait_dscnt 0x1
	v_cmp_gt_f32_e32 vcc_lo, 0, v56
	v_cndmask_b32_e64 v68, v56, -v56, vcc_lo
	v_cmp_gt_f32_e32 vcc_lo, 0, v57
	v_cndmask_b32_e64 v70, v57, -v57, vcc_lo
	s_wait_dscnt 0x0
	v_cmp_gt_f32_e32 vcc_lo, 0, v66
	v_cndmask_b32_e64 v69, v66, -v66, vcc_lo
	v_cmp_gt_f32_e32 vcc_lo, 0, v67
	v_cndmask_b32_e64 v71, v67, -v67, vcc_lo
	s_delay_alu instid0(VALU_DEP_1) | instskip(NEXT) | instid1(VALU_DEP_1)
	v_pk_add_f32 v[68:69], v[68:69], v[70:71]
	v_cmp_lt_f32_e32 vcc_lo, v68, v69
	v_dual_cndmask_b32 v56, v56, v66 :: v_dual_add_nc_u32 v59, 8, v59
	v_cndmask_b32_e32 v57, v57, v67, vcc_lo
	v_cndmask_b32_e64 v58, v58, s0, vcc_lo
	s_add_co_i32 s0, s0, 1
	s_delay_alu instid0(SALU_CYCLE_1)
	s_cmp_lg_u32 s18, s0
	s_cbranch_scc1 .LBB48_232
.LBB48_233:
	s_wait_dscnt 0x0
	v_cmp_eq_f32_e32 vcc_lo, 0, v56
	v_cmp_eq_f32_e64 s0, 0, v57
	s_and_b32 s0, vcc_lo, s0
	s_delay_alu instid0(SALU_CYCLE_1) | instskip(NEXT) | instid1(SALU_CYCLE_1)
	s_and_saveexec_b32 s1, s0
	s_xor_b32 s0, exec_lo, s1
; %bb.234:
	v_cmp_ne_u32_e32 vcc_lo, 0, v63
	v_cndmask_b32_e32 v63, 12, v63, vcc_lo
; %bb.235:
	s_and_not1_saveexec_b32 s0, s0
	s_cbranch_execz .LBB48_241
; %bb.236:
	v_cmp_ngt_f32_e64 s1, |v56|, |v57|
	s_and_saveexec_b32 s12, s1
	s_delay_alu instid0(SALU_CYCLE_1)
	s_xor_b32 s1, exec_lo, s12
	s_cbranch_execz .LBB48_238
; %bb.237:
	v_div_scale_f32 v59, null, v57, v57, v56
	v_div_scale_f32 v67, vcc_lo, v56, v57, v56
	s_delay_alu instid0(VALU_DEP_2) | instskip(SKIP_1) | instid1(TRANS32_DEP_1)
	v_rcp_f32_e32 v65, v59
	v_nop
	v_fma_f32 v66, -v59, v65, 1.0
	s_delay_alu instid0(VALU_DEP_1) | instskip(NEXT) | instid1(VALU_DEP_1)
	v_fmac_f32_e32 v65, v66, v65
	v_mul_f32_e32 v66, v67, v65
	s_delay_alu instid0(VALU_DEP_1) | instskip(NEXT) | instid1(VALU_DEP_1)
	v_fma_f32 v68, -v59, v66, v67
	v_fmac_f32_e32 v66, v68, v65
	s_delay_alu instid0(VALU_DEP_1) | instskip(NEXT) | instid1(VALU_DEP_1)
	v_fma_f32 v59, -v59, v66, v67
	v_div_fmas_f32 v59, v59, v65, v66
	s_delay_alu instid0(VALU_DEP_1) | instskip(NEXT) | instid1(VALU_DEP_1)
	v_div_fixup_f32 v59, v59, v57, v56
	v_fmac_f32_e32 v57, v56, v59
	s_delay_alu instid0(VALU_DEP_1) | instskip(SKIP_1) | instid1(VALU_DEP_2)
	v_div_scale_f32 v56, null, v57, v57, 1.0
	v_div_scale_f32 v67, vcc_lo, 1.0, v57, 1.0
	v_rcp_f32_e32 v65, v56
	v_nop
	s_delay_alu instid0(TRANS32_DEP_1) | instskip(NEXT) | instid1(VALU_DEP_1)
	v_fma_f32 v66, -v56, v65, 1.0
	v_fmac_f32_e32 v65, v66, v65
	s_delay_alu instid0(VALU_DEP_1) | instskip(NEXT) | instid1(VALU_DEP_1)
	v_mul_f32_e32 v66, v67, v65
	v_fma_f32 v68, -v56, v66, v67
	s_delay_alu instid0(VALU_DEP_1) | instskip(NEXT) | instid1(VALU_DEP_1)
	v_fmac_f32_e32 v66, v68, v65
	v_fma_f32 v56, -v56, v66, v67
	s_delay_alu instid0(VALU_DEP_1) | instskip(NEXT) | instid1(VALU_DEP_1)
	v_div_fmas_f32 v56, v56, v65, v66
	v_div_fixup_f32 v57, v56, v57, 1.0
	s_delay_alu instid0(VALU_DEP_1)
	v_mul_f32_e32 v56, v59, v57
	v_xor_b32_e32 v57, 0x80000000, v57
.LBB48_238:
	s_and_not1_saveexec_b32 s1, s1
	s_cbranch_execz .LBB48_240
; %bb.239:
	s_delay_alu instid0(VALU_DEP_1) | instskip(SKIP_1) | instid1(VALU_DEP_2)
	v_div_scale_f32 v59, null, v56, v56, v57
	v_div_scale_f32 v67, vcc_lo, v57, v56, v57
	v_rcp_f32_e32 v65, v59
	v_nop
	s_delay_alu instid0(TRANS32_DEP_1) | instskip(NEXT) | instid1(VALU_DEP_1)
	v_fma_f32 v66, -v59, v65, 1.0
	v_fmac_f32_e32 v65, v66, v65
	s_delay_alu instid0(VALU_DEP_1) | instskip(NEXT) | instid1(VALU_DEP_1)
	v_mul_f32_e32 v66, v67, v65
	v_fma_f32 v68, -v59, v66, v67
	s_delay_alu instid0(VALU_DEP_1) | instskip(NEXT) | instid1(VALU_DEP_1)
	v_fmac_f32_e32 v66, v68, v65
	v_fma_f32 v59, -v59, v66, v67
	s_delay_alu instid0(VALU_DEP_1) | instskip(NEXT) | instid1(VALU_DEP_1)
	v_div_fmas_f32 v59, v59, v65, v66
	v_div_fixup_f32 v59, v59, v56, v57
	s_delay_alu instid0(VALU_DEP_1) | instskip(NEXT) | instid1(VALU_DEP_1)
	v_fmac_f32_e32 v56, v57, v59
	v_div_scale_f32 v57, null, v56, v56, 1.0
	s_delay_alu instid0(VALU_DEP_1) | instskip(SKIP_1) | instid1(TRANS32_DEP_1)
	v_rcp_f32_e32 v65, v57
	v_nop
	v_fma_f32 v66, -v57, v65, 1.0
	s_delay_alu instid0(VALU_DEP_1) | instskip(SKIP_1) | instid1(VALU_DEP_1)
	v_fmac_f32_e32 v65, v66, v65
	v_div_scale_f32 v66, vcc_lo, 1.0, v56, 1.0
	v_mul_f32_e32 v67, v66, v65
	s_delay_alu instid0(VALU_DEP_1) | instskip(NEXT) | instid1(VALU_DEP_1)
	v_fma_f32 v68, -v57, v67, v66
	v_fmac_f32_e32 v67, v68, v65
	s_delay_alu instid0(VALU_DEP_1) | instskip(NEXT) | instid1(VALU_DEP_1)
	v_fma_f32 v57, -v57, v67, v66
	v_div_fmas_f32 v57, v57, v65, v67
	s_delay_alu instid0(VALU_DEP_1) | instskip(NEXT) | instid1(VALU_DEP_1)
	v_div_fixup_f32 v56, v57, v56, 1.0
	v_mul_f32_e64 v57, v59, -v56
.LBB48_240:
	s_or_b32 exec_lo, exec_lo, s1
.LBB48_241:
	s_delay_alu instid0(SALU_CYCLE_1) | instskip(NEXT) | instid1(SALU_CYCLE_1)
	s_or_b32 exec_lo, exec_lo, s0
	s_mov_b32 s0, exec_lo
	v_cmpx_ne_u32_e64 v64, v58
	s_xor_b32 s0, exec_lo, s0
	s_cbranch_execz .LBB48_247
; %bb.242:
	s_mov_b32 s1, exec_lo
	v_cmpx_eq_u32_e32 11, v64
	s_cbranch_execz .LBB48_246
; %bb.243:
	v_cmp_ne_u32_e32 vcc_lo, 11, v58
	s_xor_b32 s12, s16, -1
	s_delay_alu instid0(SALU_CYCLE_1) | instskip(NEXT) | instid1(SALU_CYCLE_1)
	s_and_b32 s13, s12, vcc_lo
	s_and_saveexec_b32 s12, s13
	s_cbranch_execz .LBB48_245
; %bb.244:
	v_ashrrev_i32_e32 v59, 31, v58
	s_delay_alu instid0(VALU_DEP_1)
	v_lshl_add_u64 v[64:65], v[58:59], 2, v[4:5]
	s_clause 0x1
	global_load_b32 v59, v[64:65], off
	global_load_b32 v62, v[4:5], off offset:44
	s_wait_loadcnt 0x1
	global_store_b32 v[4:5], v59, off offset:44
	s_wait_loadcnt 0x0
	global_store_b32 v[64:65], v62, off
.LBB48_245:
	s_wait_xcnt 0x0
	s_or_b32 exec_lo, exec_lo, s12
	v_dual_mov_b32 v64, v58 :: v_dual_mov_b32 v62, v58
.LBB48_246:
	s_or_b32 exec_lo, exec_lo, s1
.LBB48_247:
	s_and_not1_saveexec_b32 s0, s0
	s_cbranch_execz .LBB48_249
; %bb.248:
	v_dual_mov_b32 v58, v24 :: v_dual_mov_b32 v59, v25
	v_dual_mov_b32 v64, v20 :: v_dual_mov_b32 v65, v21
	;; [unrolled: 1-line block ×4, first 2 shown]
	ds_store_2addr_b64 v60, v[58:59], v[64:65] offset0:12 offset1:13
	ds_store_2addr_b64 v60, v[66:67], v[68:69] offset0:14 offset1:15
	v_dual_mov_b32 v58, v14 :: v_dual_mov_b32 v59, v15
	v_dual_mov_b32 v66, v10 :: v_dual_mov_b32 v67, v11
	v_dual_mov_b32 v64, 11 :: v_dual_mov_b32 v68, v12
	v_dual_mov_b32 v69, v13 :: v_dual_mov_b32 v70, v8
	v_dual_mov_b32 v71, v9 :: v_dual_mov_b32 v72, v6
	v_dual_mov_b32 v73, v7 :: v_dual_mov_b32 v74, v28
	v_dual_mov_b32 v75, v29 :: v_dual_mov_b32 v76, v26
	v_dual_mov_b32 v77, v27 :: v_dual_mov_b32 v78, v16
	v_mov_b32_e32 v79, v17
	ds_store_2addr_b64 v60, v[58:59], v[66:67] offset0:16 offset1:17
	ds_store_2addr_b64 v60, v[68:69], v[70:71] offset0:18 offset1:19
	;; [unrolled: 1-line block ×4, first 2 shown]
	ds_store_b64 v60, v[54:55] offset:192
.LBB48_249:
	s_or_b32 exec_lo, exec_lo, s0
	s_delay_alu instid0(SALU_CYCLE_1)
	s_mov_b32 s0, exec_lo
	s_wait_storecnt_dscnt 0x0
	s_barrier_signal -1
	s_barrier_wait -1
	v_cmpx_lt_i32_e32 11, v64
	s_cbranch_execz .LBB48_251
; %bb.250:
	v_pk_mul_f32 v[58:59], v[56:57], v[30:31] op_sel:[1,1] op_sel_hi:[0,1]
	s_delay_alu instid0(VALU_DEP_1)
	v_pk_fma_f32 v[66:67], v[56:57], v[30:31], v[58:59] op_sel_hi:[1,0,1] neg_lo:[0,0,1] neg_hi:[0,0,1]
	v_pk_fma_f32 v[68:69], v[56:57], v[30:31], v[58:59] op_sel_hi:[1,0,1]
	ds_load_2addr_b64 v[56:59], v60 offset0:12 offset1:13
	v_dual_mov_b32 v30, v66 :: v_dual_mov_b32 v31, v69
	s_wait_dscnt 0x0
	v_pk_mul_f32 v[70:71], v[56:57], v[68:69] op_sel:[0,1]
	s_delay_alu instid0(VALU_DEP_1) | instskip(SKIP_1) | instid1(VALU_DEP_1)
	v_pk_fma_f32 v[72:73], v[56:57], v[66:67], v[70:71] op_sel:[0,0,1] op_sel_hi:[1,1,0] neg_lo:[0,0,1] neg_hi:[0,0,1]
	v_pk_fma_f32 v[56:57], v[56:57], v[66:67], v[70:71] op_sel:[0,0,1] op_sel_hi:[1,0,0]
	v_mov_b32_e32 v73, v57
	v_pk_mul_f32 v[56:57], v[58:59], v[68:69] op_sel:[0,1]
	s_delay_alu instid0(VALU_DEP_1) | instskip(SKIP_1) | instid1(VALU_DEP_1)
	v_pk_fma_f32 v[70:71], v[58:59], v[66:67], v[56:57] op_sel:[0,0,1] op_sel_hi:[1,1,0] neg_lo:[0,0,1] neg_hi:[0,0,1]
	v_pk_fma_f32 v[56:57], v[58:59], v[66:67], v[56:57] op_sel:[0,0,1] op_sel_hi:[1,0,0]
	v_mov_b32_e32 v71, v57
	ds_load_2addr_b64 v[56:59], v60 offset0:14 offset1:15
	v_pk_add_f32 v[24:25], v[24:25], v[72:73] neg_lo:[0,1] neg_hi:[0,1]
	v_pk_add_f32 v[20:21], v[20:21], v[70:71] neg_lo:[0,1] neg_hi:[0,1]
	s_wait_dscnt 0x0
	v_pk_mul_f32 v[70:71], v[56:57], v[68:69] op_sel:[0,1]
	s_delay_alu instid0(VALU_DEP_1) | instskip(SKIP_2) | instid1(VALU_DEP_2)
	v_pk_fma_f32 v[72:73], v[56:57], v[66:67], v[70:71] op_sel:[0,0,1] op_sel_hi:[1,1,0] neg_lo:[0,0,1] neg_hi:[0,0,1]
	v_pk_fma_f32 v[56:57], v[56:57], v[66:67], v[70:71] op_sel:[0,0,1] op_sel_hi:[1,0,0]
	v_dual_mul_f32 v70, v59, v69 :: v_dual_mov_b32 v56, v59
	v_dual_mov_b32 v73, v57 :: v_dual_mov_b32 v57, v58
	s_delay_alu instid0(VALU_DEP_2) | instskip(SKIP_1) | instid1(VALU_DEP_3)
	v_pk_fma_f32 v[70:71], v[58:59], v[30:31], v[70:71] op_sel_hi:[1,1,0] neg_lo:[0,0,1] neg_hi:[0,0,1]
	v_mul_f32_e32 v58, v59, v66
	v_pk_add_f32 v[22:23], v[22:23], v[72:73] neg_lo:[0,1] neg_hi:[0,1]
	s_delay_alu instid0(VALU_DEP_2) | instskip(NEXT) | instid1(VALU_DEP_1)
	v_pk_fma_f32 v[56:57], v[56:57], v[30:31], v[58:59] op_sel_hi:[1,1,0]
	v_mov_b32_e32 v71, v57
	ds_load_2addr_b64 v[56:59], v60 offset0:16 offset1:17
	v_pk_add_f32 v[18:19], v[18:19], v[70:71] neg_lo:[0,1] neg_hi:[0,1]
	s_wait_dscnt 0x0
	v_pk_mul_f32 v[70:71], v[56:57], v[68:69] op_sel:[0,1]
	s_delay_alu instid0(VALU_DEP_1) | instskip(SKIP_1) | instid1(VALU_DEP_1)
	v_pk_fma_f32 v[72:73], v[56:57], v[66:67], v[70:71] op_sel:[0,0,1] op_sel_hi:[1,1,0] neg_lo:[0,0,1] neg_hi:[0,0,1]
	v_pk_fma_f32 v[56:57], v[56:57], v[66:67], v[70:71] op_sel:[0,0,1] op_sel_hi:[1,0,0]
	v_mov_b32_e32 v73, v57
	v_pk_mul_f32 v[56:57], v[58:59], v[68:69] op_sel:[0,1]
	s_delay_alu instid0(VALU_DEP_1) | instskip(SKIP_1) | instid1(VALU_DEP_1)
	v_pk_fma_f32 v[70:71], v[58:59], v[66:67], v[56:57] op_sel:[0,0,1] op_sel_hi:[1,1,0] neg_lo:[0,0,1] neg_hi:[0,0,1]
	v_pk_fma_f32 v[56:57], v[58:59], v[66:67], v[56:57] op_sel:[0,0,1] op_sel_hi:[1,0,0]
	v_mov_b32_e32 v71, v57
	ds_load_2addr_b64 v[56:59], v60 offset0:18 offset1:19
	v_pk_add_f32 v[14:15], v[14:15], v[72:73] neg_lo:[0,1] neg_hi:[0,1]
	v_pk_add_f32 v[10:11], v[10:11], v[70:71] neg_lo:[0,1] neg_hi:[0,1]
	s_wait_dscnt 0x0
	v_pk_mul_f32 v[70:71], v[56:57], v[68:69] op_sel:[0,1]
	s_delay_alu instid0(VALU_DEP_1) | instskip(SKIP_1) | instid1(VALU_DEP_1)
	v_pk_fma_f32 v[72:73], v[56:57], v[66:67], v[70:71] op_sel:[0,0,1] op_sel_hi:[1,1,0] neg_lo:[0,0,1] neg_hi:[0,0,1]
	v_pk_fma_f32 v[56:57], v[56:57], v[66:67], v[70:71] op_sel:[0,0,1] op_sel_hi:[1,0,0]
	v_mov_b32_e32 v73, v57
	v_pk_mul_f32 v[56:57], v[58:59], v[68:69] op_sel:[0,1]
	s_delay_alu instid0(VALU_DEP_1) | instskip(SKIP_1) | instid1(VALU_DEP_1)
	v_pk_fma_f32 v[70:71], v[58:59], v[66:67], v[56:57] op_sel:[0,0,1] op_sel_hi:[1,1,0] neg_lo:[0,0,1] neg_hi:[0,0,1]
	v_pk_fma_f32 v[56:57], v[58:59], v[66:67], v[56:57] op_sel:[0,0,1] op_sel_hi:[1,0,0]
	v_mov_b32_e32 v71, v57
	ds_load_2addr_b64 v[56:59], v60 offset0:20 offset1:21
	v_pk_add_f32 v[12:13], v[12:13], v[72:73] neg_lo:[0,1] neg_hi:[0,1]
	v_pk_add_f32 v[8:9], v[8:9], v[70:71] neg_lo:[0,1] neg_hi:[0,1]
	s_wait_dscnt 0x0
	v_dual_mul_f32 v70, v57, v69 :: v_dual_mul_f32 v72, v57, v66
	s_delay_alu instid0(VALU_DEP_1) | instskip(NEXT) | instid1(VALU_DEP_2)
	v_pk_fma_f32 v[70:71], v[56:57], v[30:31], v[70:71] op_sel_hi:[1,1,0] neg_lo:[0,0,1] neg_hi:[0,0,1]
	v_pk_fma_f32 v[56:57], v[56:57], v[30:31], v[72:73] op_sel:[1,0,0] op_sel_hi:[0,1,0]
	s_delay_alu instid0(VALU_DEP_1) | instskip(SKIP_1) | instid1(VALU_DEP_2)
	v_mov_b32_e32 v71, v57
	v_pk_mul_f32 v[56:57], v[58:59], v[68:69] op_sel:[0,1]
	v_pk_add_f32 v[6:7], v[6:7], v[70:71] neg_lo:[0,1] neg_hi:[0,1]
	s_delay_alu instid0(VALU_DEP_2) | instskip(SKIP_1) | instid1(VALU_DEP_1)
	v_pk_fma_f32 v[70:71], v[58:59], v[66:67], v[56:57] op_sel:[0,0,1] op_sel_hi:[1,1,0] neg_lo:[0,0,1] neg_hi:[0,0,1]
	v_pk_fma_f32 v[56:57], v[58:59], v[66:67], v[56:57] op_sel:[0,0,1] op_sel_hi:[1,0,0]
	v_mov_b32_e32 v71, v57
	ds_load_2addr_b64 v[56:59], v60 offset0:22 offset1:23
	v_pk_add_f32 v[28:29], v[28:29], v[70:71] neg_lo:[0,1] neg_hi:[0,1]
	s_wait_dscnt 0x0
	v_pk_mul_f32 v[70:71], v[56:57], v[68:69] op_sel:[0,1]
	s_delay_alu instid0(VALU_DEP_1) | instskip(SKIP_1) | instid1(VALU_DEP_1)
	v_pk_fma_f32 v[72:73], v[56:57], v[66:67], v[70:71] op_sel:[0,0,1] op_sel_hi:[1,1,0] neg_lo:[0,0,1] neg_hi:[0,0,1]
	v_pk_fma_f32 v[56:57], v[56:57], v[66:67], v[70:71] op_sel:[0,0,1] op_sel_hi:[1,0,0]
	v_mov_b32_e32 v73, v57
	v_pk_mul_f32 v[56:57], v[58:59], v[68:69] op_sel:[0,1]
	s_delay_alu instid0(VALU_DEP_2) | instskip(NEXT) | instid1(VALU_DEP_2)
	v_pk_add_f32 v[26:27], v[26:27], v[72:73] neg_lo:[0,1] neg_hi:[0,1]
	v_pk_fma_f32 v[70:71], v[58:59], v[66:67], v[56:57] op_sel:[0,0,1] op_sel_hi:[1,1,0] neg_lo:[0,0,1] neg_hi:[0,0,1]
	v_pk_fma_f32 v[56:57], v[58:59], v[66:67], v[56:57] op_sel:[0,0,1] op_sel_hi:[1,0,0]
	s_delay_alu instid0(VALU_DEP_1) | instskip(SKIP_4) | instid1(VALU_DEP_1)
	v_mov_b32_e32 v71, v57
	ds_load_b64 v[56:57], v60 offset:192
	v_pk_add_f32 v[16:17], v[16:17], v[70:71] neg_lo:[0,1] neg_hi:[0,1]
	s_wait_dscnt 0x0
	v_pk_mul_f32 v[58:59], v[56:57], v[68:69] op_sel:[0,1]
	v_pk_fma_f32 v[68:69], v[56:57], v[66:67], v[58:59] op_sel:[0,0,1] op_sel_hi:[1,1,0] neg_lo:[0,0,1] neg_hi:[0,0,1]
	v_pk_fma_f32 v[56:57], v[56:57], v[66:67], v[58:59] op_sel:[0,0,1] op_sel_hi:[1,0,0]
	s_delay_alu instid0(VALU_DEP_1) | instskip(NEXT) | instid1(VALU_DEP_1)
	v_mov_b32_e32 v69, v57
	v_pk_add_f32 v[54:55], v[54:55], v[68:69] neg_lo:[0,1] neg_hi:[0,1]
.LBB48_251:
	s_or_b32 exec_lo, exec_lo, s0
	v_lshl_add_u32 v56, v64, 3, v60
	s_barrier_signal -1
	s_barrier_wait -1
	ds_store_b64 v56, v[24:25]
	s_wait_dscnt 0x0
	s_barrier_signal -1
	s_barrier_wait -1
	ds_load_b64 v[56:57], v60 offset:96
	v_mov_b32_e32 v58, 12
	s_cmp_lt_i32 s18, 14
	s_cbranch_scc1 .LBB48_254
; %bb.252:
	v_add3_u32 v59, v61, 0, 0x68
	v_mov_b32_e32 v58, 12
	s_mov_b32 s0, 13
.LBB48_253:                             ; =>This Inner Loop Header: Depth=1
	ds_load_b64 v[66:67], v59
	s_wait_dscnt 0x1
	v_cmp_gt_f32_e32 vcc_lo, 0, v56
	v_cndmask_b32_e64 v68, v56, -v56, vcc_lo
	v_cmp_gt_f32_e32 vcc_lo, 0, v57
	v_cndmask_b32_e64 v70, v57, -v57, vcc_lo
	s_wait_dscnt 0x0
	v_cmp_gt_f32_e32 vcc_lo, 0, v66
	v_cndmask_b32_e64 v69, v66, -v66, vcc_lo
	v_cmp_gt_f32_e32 vcc_lo, 0, v67
	v_cndmask_b32_e64 v71, v67, -v67, vcc_lo
	s_delay_alu instid0(VALU_DEP_1) | instskip(NEXT) | instid1(VALU_DEP_1)
	v_pk_add_f32 v[68:69], v[68:69], v[70:71]
	v_cmp_lt_f32_e32 vcc_lo, v68, v69
	v_dual_cndmask_b32 v56, v56, v66 :: v_dual_add_nc_u32 v59, 8, v59
	v_cndmask_b32_e32 v57, v57, v67, vcc_lo
	v_cndmask_b32_e64 v58, v58, s0, vcc_lo
	s_add_co_i32 s0, s0, 1
	s_delay_alu instid0(SALU_CYCLE_1)
	s_cmp_lg_u32 s18, s0
	s_cbranch_scc1 .LBB48_253
.LBB48_254:
	s_wait_dscnt 0x0
	v_cmp_eq_f32_e32 vcc_lo, 0, v56
	v_cmp_eq_f32_e64 s0, 0, v57
	s_and_b32 s0, vcc_lo, s0
	s_delay_alu instid0(SALU_CYCLE_1) | instskip(NEXT) | instid1(SALU_CYCLE_1)
	s_and_saveexec_b32 s1, s0
	s_xor_b32 s0, exec_lo, s1
; %bb.255:
	v_cmp_ne_u32_e32 vcc_lo, 0, v63
	v_cndmask_b32_e32 v63, 13, v63, vcc_lo
; %bb.256:
	s_and_not1_saveexec_b32 s0, s0
	s_cbranch_execz .LBB48_262
; %bb.257:
	v_cmp_ngt_f32_e64 s1, |v56|, |v57|
	s_and_saveexec_b32 s12, s1
	s_delay_alu instid0(SALU_CYCLE_1)
	s_xor_b32 s1, exec_lo, s12
	s_cbranch_execz .LBB48_259
; %bb.258:
	v_div_scale_f32 v59, null, v57, v57, v56
	v_div_scale_f32 v67, vcc_lo, v56, v57, v56
	s_delay_alu instid0(VALU_DEP_2) | instskip(SKIP_1) | instid1(TRANS32_DEP_1)
	v_rcp_f32_e32 v65, v59
	v_nop
	v_fma_f32 v66, -v59, v65, 1.0
	s_delay_alu instid0(VALU_DEP_1) | instskip(NEXT) | instid1(VALU_DEP_1)
	v_fmac_f32_e32 v65, v66, v65
	v_mul_f32_e32 v66, v67, v65
	s_delay_alu instid0(VALU_DEP_1) | instskip(NEXT) | instid1(VALU_DEP_1)
	v_fma_f32 v68, -v59, v66, v67
	v_fmac_f32_e32 v66, v68, v65
	s_delay_alu instid0(VALU_DEP_1) | instskip(NEXT) | instid1(VALU_DEP_1)
	v_fma_f32 v59, -v59, v66, v67
	v_div_fmas_f32 v59, v59, v65, v66
	s_delay_alu instid0(VALU_DEP_1) | instskip(NEXT) | instid1(VALU_DEP_1)
	v_div_fixup_f32 v59, v59, v57, v56
	v_fmac_f32_e32 v57, v56, v59
	s_delay_alu instid0(VALU_DEP_1) | instskip(SKIP_1) | instid1(VALU_DEP_2)
	v_div_scale_f32 v56, null, v57, v57, 1.0
	v_div_scale_f32 v67, vcc_lo, 1.0, v57, 1.0
	v_rcp_f32_e32 v65, v56
	v_nop
	s_delay_alu instid0(TRANS32_DEP_1) | instskip(NEXT) | instid1(VALU_DEP_1)
	v_fma_f32 v66, -v56, v65, 1.0
	v_fmac_f32_e32 v65, v66, v65
	s_delay_alu instid0(VALU_DEP_1) | instskip(NEXT) | instid1(VALU_DEP_1)
	v_mul_f32_e32 v66, v67, v65
	v_fma_f32 v68, -v56, v66, v67
	s_delay_alu instid0(VALU_DEP_1) | instskip(NEXT) | instid1(VALU_DEP_1)
	v_fmac_f32_e32 v66, v68, v65
	v_fma_f32 v56, -v56, v66, v67
	s_delay_alu instid0(VALU_DEP_1) | instskip(NEXT) | instid1(VALU_DEP_1)
	v_div_fmas_f32 v56, v56, v65, v66
	v_div_fixup_f32 v57, v56, v57, 1.0
	s_delay_alu instid0(VALU_DEP_1)
	v_mul_f32_e32 v56, v59, v57
	v_xor_b32_e32 v57, 0x80000000, v57
.LBB48_259:
	s_and_not1_saveexec_b32 s1, s1
	s_cbranch_execz .LBB48_261
; %bb.260:
	s_delay_alu instid0(VALU_DEP_1) | instskip(SKIP_1) | instid1(VALU_DEP_2)
	v_div_scale_f32 v59, null, v56, v56, v57
	v_div_scale_f32 v67, vcc_lo, v57, v56, v57
	v_rcp_f32_e32 v65, v59
	v_nop
	s_delay_alu instid0(TRANS32_DEP_1) | instskip(NEXT) | instid1(VALU_DEP_1)
	v_fma_f32 v66, -v59, v65, 1.0
	v_fmac_f32_e32 v65, v66, v65
	s_delay_alu instid0(VALU_DEP_1) | instskip(NEXT) | instid1(VALU_DEP_1)
	v_mul_f32_e32 v66, v67, v65
	v_fma_f32 v68, -v59, v66, v67
	s_delay_alu instid0(VALU_DEP_1) | instskip(NEXT) | instid1(VALU_DEP_1)
	v_fmac_f32_e32 v66, v68, v65
	v_fma_f32 v59, -v59, v66, v67
	s_delay_alu instid0(VALU_DEP_1) | instskip(NEXT) | instid1(VALU_DEP_1)
	v_div_fmas_f32 v59, v59, v65, v66
	v_div_fixup_f32 v59, v59, v56, v57
	s_delay_alu instid0(VALU_DEP_1) | instskip(NEXT) | instid1(VALU_DEP_1)
	v_fmac_f32_e32 v56, v57, v59
	v_div_scale_f32 v57, null, v56, v56, 1.0
	s_delay_alu instid0(VALU_DEP_1) | instskip(SKIP_1) | instid1(TRANS32_DEP_1)
	v_rcp_f32_e32 v65, v57
	v_nop
	v_fma_f32 v66, -v57, v65, 1.0
	s_delay_alu instid0(VALU_DEP_1) | instskip(SKIP_1) | instid1(VALU_DEP_1)
	v_fmac_f32_e32 v65, v66, v65
	v_div_scale_f32 v66, vcc_lo, 1.0, v56, 1.0
	v_mul_f32_e32 v67, v66, v65
	s_delay_alu instid0(VALU_DEP_1) | instskip(NEXT) | instid1(VALU_DEP_1)
	v_fma_f32 v68, -v57, v67, v66
	v_fmac_f32_e32 v67, v68, v65
	s_delay_alu instid0(VALU_DEP_1) | instskip(NEXT) | instid1(VALU_DEP_1)
	v_fma_f32 v57, -v57, v67, v66
	v_div_fmas_f32 v57, v57, v65, v67
	s_delay_alu instid0(VALU_DEP_1) | instskip(NEXT) | instid1(VALU_DEP_1)
	v_div_fixup_f32 v56, v57, v56, 1.0
	v_mul_f32_e64 v57, v59, -v56
.LBB48_261:
	s_or_b32 exec_lo, exec_lo, s1
.LBB48_262:
	s_delay_alu instid0(SALU_CYCLE_1) | instskip(NEXT) | instid1(SALU_CYCLE_1)
	s_or_b32 exec_lo, exec_lo, s0
	s_mov_b32 s0, exec_lo
	v_cmpx_ne_u32_e64 v64, v58
	s_xor_b32 s0, exec_lo, s0
	s_cbranch_execz .LBB48_268
; %bb.263:
	s_mov_b32 s1, exec_lo
	v_cmpx_eq_u32_e32 12, v64
	s_cbranch_execz .LBB48_267
; %bb.264:
	v_cmp_ne_u32_e32 vcc_lo, 12, v58
	s_xor_b32 s12, s16, -1
	s_delay_alu instid0(SALU_CYCLE_1) | instskip(NEXT) | instid1(SALU_CYCLE_1)
	s_and_b32 s13, s12, vcc_lo
	s_and_saveexec_b32 s12, s13
	s_cbranch_execz .LBB48_266
; %bb.265:
	v_ashrrev_i32_e32 v59, 31, v58
	s_delay_alu instid0(VALU_DEP_1)
	v_lshl_add_u64 v[64:65], v[58:59], 2, v[4:5]
	s_clause 0x1
	global_load_b32 v59, v[64:65], off
	global_load_b32 v62, v[4:5], off offset:48
	s_wait_loadcnt 0x1
	global_store_b32 v[4:5], v59, off offset:48
	s_wait_loadcnt 0x0
	global_store_b32 v[64:65], v62, off
.LBB48_266:
	s_wait_xcnt 0x0
	s_or_b32 exec_lo, exec_lo, s12
	v_dual_mov_b32 v64, v58 :: v_dual_mov_b32 v62, v58
.LBB48_267:
	s_or_b32 exec_lo, exec_lo, s1
.LBB48_268:
	s_and_not1_saveexec_b32 s0, s0
	s_cbranch_execz .LBB48_270
; %bb.269:
	v_mov_b32_e32 v64, 12
	ds_store_2addr_b64 v60, v[20:21], v[22:23] offset0:13 offset1:14
	ds_store_2addr_b64 v60, v[18:19], v[14:15] offset0:15 offset1:16
	;; [unrolled: 1-line block ×6, first 2 shown]
.LBB48_270:
	s_or_b32 exec_lo, exec_lo, s0
	s_delay_alu instid0(SALU_CYCLE_1)
	s_mov_b32 s0, exec_lo
	s_wait_storecnt_dscnt 0x0
	s_barrier_signal -1
	s_barrier_wait -1
	v_cmpx_lt_i32_e32 12, v64
	s_cbranch_execz .LBB48_272
; %bb.271:
	v_pk_mul_f32 v[58:59], v[56:57], v[24:25] op_sel:[1,1] op_sel_hi:[0,1]
	s_delay_alu instid0(VALU_DEP_1)
	v_pk_fma_f32 v[66:67], v[56:57], v[24:25], v[58:59] op_sel_hi:[1,0,1] neg_lo:[0,0,1] neg_hi:[0,0,1]
	v_pk_fma_f32 v[68:69], v[56:57], v[24:25], v[58:59] op_sel_hi:[1,0,1]
	ds_load_2addr_b64 v[56:59], v60 offset0:13 offset1:14
	v_dual_mov_b32 v24, v66 :: v_dual_mov_b32 v25, v69
	s_wait_dscnt 0x0
	v_pk_mul_f32 v[70:71], v[56:57], v[68:69] op_sel:[0,1]
	s_delay_alu instid0(VALU_DEP_1) | instskip(SKIP_1) | instid1(VALU_DEP_1)
	v_pk_fma_f32 v[72:73], v[56:57], v[66:67], v[70:71] op_sel:[0,0,1] op_sel_hi:[1,1,0] neg_lo:[0,0,1] neg_hi:[0,0,1]
	v_pk_fma_f32 v[56:57], v[56:57], v[66:67], v[70:71] op_sel:[0,0,1] op_sel_hi:[1,0,0]
	v_mov_b32_e32 v73, v57
	v_pk_mul_f32 v[56:57], v[58:59], v[68:69] op_sel:[0,1]
	s_delay_alu instid0(VALU_DEP_1) | instskip(SKIP_1) | instid1(VALU_DEP_1)
	v_pk_fma_f32 v[70:71], v[58:59], v[66:67], v[56:57] op_sel:[0,0,1] op_sel_hi:[1,1,0] neg_lo:[0,0,1] neg_hi:[0,0,1]
	v_pk_fma_f32 v[56:57], v[58:59], v[66:67], v[56:57] op_sel:[0,0,1] op_sel_hi:[1,0,0]
	v_mov_b32_e32 v71, v57
	ds_load_2addr_b64 v[56:59], v60 offset0:15 offset1:16
	v_pk_add_f32 v[20:21], v[20:21], v[72:73] neg_lo:[0,1] neg_hi:[0,1]
	v_pk_add_f32 v[22:23], v[22:23], v[70:71] neg_lo:[0,1] neg_hi:[0,1]
	s_wait_dscnt 0x0
	v_pk_mul_f32 v[70:71], v[56:57], v[68:69] op_sel:[0,1]
	s_delay_alu instid0(VALU_DEP_1) | instskip(SKIP_2) | instid1(VALU_DEP_2)
	v_pk_fma_f32 v[72:73], v[56:57], v[66:67], v[70:71] op_sel:[0,0,1] op_sel_hi:[1,1,0] neg_lo:[0,0,1] neg_hi:[0,0,1]
	v_pk_fma_f32 v[56:57], v[56:57], v[66:67], v[70:71] op_sel:[0,0,1] op_sel_hi:[1,0,0]
	v_dual_mul_f32 v70, v59, v69 :: v_dual_mov_b32 v56, v59
	v_dual_mov_b32 v73, v57 :: v_dual_mov_b32 v57, v58
	s_delay_alu instid0(VALU_DEP_2) | instskip(SKIP_1) | instid1(VALU_DEP_3)
	v_pk_fma_f32 v[70:71], v[58:59], v[24:25], v[70:71] op_sel_hi:[1,1,0] neg_lo:[0,0,1] neg_hi:[0,0,1]
	v_mul_f32_e32 v58, v59, v66
	v_pk_add_f32 v[18:19], v[18:19], v[72:73] neg_lo:[0,1] neg_hi:[0,1]
	s_delay_alu instid0(VALU_DEP_2) | instskip(NEXT) | instid1(VALU_DEP_1)
	v_pk_fma_f32 v[56:57], v[56:57], v[24:25], v[58:59] op_sel_hi:[1,1,0]
	v_mov_b32_e32 v71, v57
	ds_load_2addr_b64 v[56:59], v60 offset0:17 offset1:18
	v_pk_add_f32 v[14:15], v[14:15], v[70:71] neg_lo:[0,1] neg_hi:[0,1]
	s_wait_dscnt 0x0
	v_pk_mul_f32 v[70:71], v[56:57], v[68:69] op_sel:[0,1]
	s_delay_alu instid0(VALU_DEP_1) | instskip(SKIP_1) | instid1(VALU_DEP_1)
	v_pk_fma_f32 v[72:73], v[56:57], v[66:67], v[70:71] op_sel:[0,0,1] op_sel_hi:[1,1,0] neg_lo:[0,0,1] neg_hi:[0,0,1]
	v_pk_fma_f32 v[56:57], v[56:57], v[66:67], v[70:71] op_sel:[0,0,1] op_sel_hi:[1,0,0]
	v_mov_b32_e32 v73, v57
	v_pk_mul_f32 v[56:57], v[58:59], v[68:69] op_sel:[0,1]
	s_delay_alu instid0(VALU_DEP_1) | instskip(SKIP_1) | instid1(VALU_DEP_1)
	v_pk_fma_f32 v[70:71], v[58:59], v[66:67], v[56:57] op_sel:[0,0,1] op_sel_hi:[1,1,0] neg_lo:[0,0,1] neg_hi:[0,0,1]
	v_pk_fma_f32 v[56:57], v[58:59], v[66:67], v[56:57] op_sel:[0,0,1] op_sel_hi:[1,0,0]
	v_mov_b32_e32 v71, v57
	ds_load_2addr_b64 v[56:59], v60 offset0:19 offset1:20
	v_pk_add_f32 v[10:11], v[10:11], v[72:73] neg_lo:[0,1] neg_hi:[0,1]
	v_pk_add_f32 v[12:13], v[12:13], v[70:71] neg_lo:[0,1] neg_hi:[0,1]
	s_wait_dscnt 0x0
	v_pk_mul_f32 v[70:71], v[56:57], v[68:69] op_sel:[0,1]
	s_delay_alu instid0(VALU_DEP_1) | instskip(SKIP_1) | instid1(VALU_DEP_1)
	v_pk_fma_f32 v[72:73], v[56:57], v[66:67], v[70:71] op_sel:[0,0,1] op_sel_hi:[1,1,0] neg_lo:[0,0,1] neg_hi:[0,0,1]
	v_pk_fma_f32 v[56:57], v[56:57], v[66:67], v[70:71] op_sel:[0,0,1] op_sel_hi:[1,0,0]
	v_mov_b32_e32 v73, v57
	v_pk_mul_f32 v[56:57], v[58:59], v[68:69] op_sel:[0,1]
	s_delay_alu instid0(VALU_DEP_1) | instskip(SKIP_1) | instid1(VALU_DEP_1)
	v_pk_fma_f32 v[70:71], v[58:59], v[66:67], v[56:57] op_sel:[0,0,1] op_sel_hi:[1,1,0] neg_lo:[0,0,1] neg_hi:[0,0,1]
	v_pk_fma_f32 v[56:57], v[58:59], v[66:67], v[56:57] op_sel:[0,0,1] op_sel_hi:[1,0,0]
	v_mov_b32_e32 v71, v57
	ds_load_2addr_b64 v[56:59], v60 offset0:21 offset1:22
	v_pk_add_f32 v[8:9], v[8:9], v[72:73] neg_lo:[0,1] neg_hi:[0,1]
	v_pk_add_f32 v[6:7], v[6:7], v[70:71] neg_lo:[0,1] neg_hi:[0,1]
	s_wait_dscnt 0x0
	v_dual_mul_f32 v70, v57, v69 :: v_dual_mul_f32 v72, v57, v66
	s_delay_alu instid0(VALU_DEP_1) | instskip(NEXT) | instid1(VALU_DEP_2)
	v_pk_fma_f32 v[70:71], v[56:57], v[24:25], v[70:71] op_sel_hi:[1,1,0] neg_lo:[0,0,1] neg_hi:[0,0,1]
	v_pk_fma_f32 v[56:57], v[56:57], v[24:25], v[72:73] op_sel:[1,0,0] op_sel_hi:[0,1,0]
	s_delay_alu instid0(VALU_DEP_1) | instskip(SKIP_1) | instid1(VALU_DEP_2)
	v_mov_b32_e32 v71, v57
	v_pk_mul_f32 v[56:57], v[58:59], v[68:69] op_sel:[0,1]
	v_pk_add_f32 v[28:29], v[28:29], v[70:71] neg_lo:[0,1] neg_hi:[0,1]
	s_delay_alu instid0(VALU_DEP_2) | instskip(SKIP_1) | instid1(VALU_DEP_1)
	v_pk_fma_f32 v[70:71], v[58:59], v[66:67], v[56:57] op_sel:[0,0,1] op_sel_hi:[1,1,0] neg_lo:[0,0,1] neg_hi:[0,0,1]
	v_pk_fma_f32 v[56:57], v[58:59], v[66:67], v[56:57] op_sel:[0,0,1] op_sel_hi:[1,0,0]
	v_mov_b32_e32 v71, v57
	ds_load_2addr_b64 v[56:59], v60 offset0:23 offset1:24
	v_pk_add_f32 v[26:27], v[26:27], v[70:71] neg_lo:[0,1] neg_hi:[0,1]
	s_wait_dscnt 0x0
	v_pk_mul_f32 v[70:71], v[56:57], v[68:69] op_sel:[0,1]
	v_mul_f32_e32 v68, v59, v69
	s_delay_alu instid0(VALU_DEP_2) | instskip(SKIP_2) | instid1(VALU_DEP_4)
	v_pk_fma_f32 v[72:73], v[56:57], v[66:67], v[70:71] op_sel:[0,0,1] op_sel_hi:[1,1,0] neg_lo:[0,0,1] neg_hi:[0,0,1]
	v_pk_fma_f32 v[56:57], v[56:57], v[66:67], v[70:71] op_sel:[0,0,1] op_sel_hi:[1,0,0]
	v_mov_b32_e32 v56, v59
	v_pk_fma_f32 v[68:69], v[58:59], v[24:25], v[68:69] op_sel_hi:[1,1,0] neg_lo:[0,0,1] neg_hi:[0,0,1]
	s_delay_alu instid0(VALU_DEP_3) | instskip(SKIP_1) | instid1(VALU_DEP_2)
	v_dual_mov_b32 v73, v57 :: v_dual_mov_b32 v57, v58
	v_mul_f32_e32 v58, v59, v66
	v_pk_add_f32 v[16:17], v[16:17], v[72:73] neg_lo:[0,1] neg_hi:[0,1]
	s_delay_alu instid0(VALU_DEP_2) | instskip(NEXT) | instid1(VALU_DEP_1)
	v_pk_fma_f32 v[56:57], v[56:57], v[24:25], v[58:59] op_sel_hi:[1,1,0]
	v_mov_b32_e32 v69, v57
	s_delay_alu instid0(VALU_DEP_1)
	v_pk_add_f32 v[54:55], v[54:55], v[68:69] neg_lo:[0,1] neg_hi:[0,1]
.LBB48_272:
	s_or_b32 exec_lo, exec_lo, s0
	v_lshl_add_u32 v56, v64, 3, v60
	s_barrier_signal -1
	s_barrier_wait -1
	ds_store_b64 v56, v[20:21]
	s_wait_dscnt 0x0
	s_barrier_signal -1
	s_barrier_wait -1
	ds_load_b64 v[56:57], v60 offset:104
	v_mov_b32_e32 v58, 13
	s_cmp_lt_i32 s18, 15
	s_cbranch_scc1 .LBB48_275
; %bb.273:
	v_add3_u32 v59, v61, 0, 0x70
	v_mov_b32_e32 v58, 13
	s_mov_b32 s0, 14
.LBB48_274:                             ; =>This Inner Loop Header: Depth=1
	ds_load_b64 v[66:67], v59
	s_wait_dscnt 0x1
	v_cmp_gt_f32_e32 vcc_lo, 0, v56
	v_cndmask_b32_e64 v68, v56, -v56, vcc_lo
	v_cmp_gt_f32_e32 vcc_lo, 0, v57
	v_cndmask_b32_e64 v70, v57, -v57, vcc_lo
	s_wait_dscnt 0x0
	v_cmp_gt_f32_e32 vcc_lo, 0, v66
	v_cndmask_b32_e64 v69, v66, -v66, vcc_lo
	v_cmp_gt_f32_e32 vcc_lo, 0, v67
	v_cndmask_b32_e64 v71, v67, -v67, vcc_lo
	s_delay_alu instid0(VALU_DEP_1) | instskip(NEXT) | instid1(VALU_DEP_1)
	v_pk_add_f32 v[68:69], v[68:69], v[70:71]
	v_cmp_lt_f32_e32 vcc_lo, v68, v69
	v_dual_cndmask_b32 v56, v56, v66 :: v_dual_add_nc_u32 v59, 8, v59
	v_cndmask_b32_e32 v57, v57, v67, vcc_lo
	v_cndmask_b32_e64 v58, v58, s0, vcc_lo
	s_add_co_i32 s0, s0, 1
	s_delay_alu instid0(SALU_CYCLE_1)
	s_cmp_lg_u32 s18, s0
	s_cbranch_scc1 .LBB48_274
.LBB48_275:
	s_wait_dscnt 0x0
	v_cmp_eq_f32_e32 vcc_lo, 0, v56
	v_cmp_eq_f32_e64 s0, 0, v57
	s_and_b32 s0, vcc_lo, s0
	s_delay_alu instid0(SALU_CYCLE_1) | instskip(NEXT) | instid1(SALU_CYCLE_1)
	s_and_saveexec_b32 s1, s0
	s_xor_b32 s0, exec_lo, s1
; %bb.276:
	v_cmp_ne_u32_e32 vcc_lo, 0, v63
	v_cndmask_b32_e32 v63, 14, v63, vcc_lo
; %bb.277:
	s_and_not1_saveexec_b32 s0, s0
	s_cbranch_execz .LBB48_283
; %bb.278:
	v_cmp_ngt_f32_e64 s1, |v56|, |v57|
	s_and_saveexec_b32 s12, s1
	s_delay_alu instid0(SALU_CYCLE_1)
	s_xor_b32 s1, exec_lo, s12
	s_cbranch_execz .LBB48_280
; %bb.279:
	v_div_scale_f32 v59, null, v57, v57, v56
	v_div_scale_f32 v67, vcc_lo, v56, v57, v56
	s_delay_alu instid0(VALU_DEP_2) | instskip(SKIP_1) | instid1(TRANS32_DEP_1)
	v_rcp_f32_e32 v65, v59
	v_nop
	v_fma_f32 v66, -v59, v65, 1.0
	s_delay_alu instid0(VALU_DEP_1) | instskip(NEXT) | instid1(VALU_DEP_1)
	v_fmac_f32_e32 v65, v66, v65
	v_mul_f32_e32 v66, v67, v65
	s_delay_alu instid0(VALU_DEP_1) | instskip(NEXT) | instid1(VALU_DEP_1)
	v_fma_f32 v68, -v59, v66, v67
	v_fmac_f32_e32 v66, v68, v65
	s_delay_alu instid0(VALU_DEP_1) | instskip(NEXT) | instid1(VALU_DEP_1)
	v_fma_f32 v59, -v59, v66, v67
	v_div_fmas_f32 v59, v59, v65, v66
	s_delay_alu instid0(VALU_DEP_1) | instskip(NEXT) | instid1(VALU_DEP_1)
	v_div_fixup_f32 v59, v59, v57, v56
	v_fmac_f32_e32 v57, v56, v59
	s_delay_alu instid0(VALU_DEP_1) | instskip(SKIP_1) | instid1(VALU_DEP_2)
	v_div_scale_f32 v56, null, v57, v57, 1.0
	v_div_scale_f32 v67, vcc_lo, 1.0, v57, 1.0
	v_rcp_f32_e32 v65, v56
	v_nop
	s_delay_alu instid0(TRANS32_DEP_1) | instskip(NEXT) | instid1(VALU_DEP_1)
	v_fma_f32 v66, -v56, v65, 1.0
	v_fmac_f32_e32 v65, v66, v65
	s_delay_alu instid0(VALU_DEP_1) | instskip(NEXT) | instid1(VALU_DEP_1)
	v_mul_f32_e32 v66, v67, v65
	v_fma_f32 v68, -v56, v66, v67
	s_delay_alu instid0(VALU_DEP_1) | instskip(NEXT) | instid1(VALU_DEP_1)
	v_fmac_f32_e32 v66, v68, v65
	v_fma_f32 v56, -v56, v66, v67
	s_delay_alu instid0(VALU_DEP_1) | instskip(NEXT) | instid1(VALU_DEP_1)
	v_div_fmas_f32 v56, v56, v65, v66
	v_div_fixup_f32 v57, v56, v57, 1.0
	s_delay_alu instid0(VALU_DEP_1)
	v_mul_f32_e32 v56, v59, v57
	v_xor_b32_e32 v57, 0x80000000, v57
.LBB48_280:
	s_and_not1_saveexec_b32 s1, s1
	s_cbranch_execz .LBB48_282
; %bb.281:
	s_delay_alu instid0(VALU_DEP_1) | instskip(SKIP_1) | instid1(VALU_DEP_2)
	v_div_scale_f32 v59, null, v56, v56, v57
	v_div_scale_f32 v67, vcc_lo, v57, v56, v57
	v_rcp_f32_e32 v65, v59
	v_nop
	s_delay_alu instid0(TRANS32_DEP_1) | instskip(NEXT) | instid1(VALU_DEP_1)
	v_fma_f32 v66, -v59, v65, 1.0
	v_fmac_f32_e32 v65, v66, v65
	s_delay_alu instid0(VALU_DEP_1) | instskip(NEXT) | instid1(VALU_DEP_1)
	v_mul_f32_e32 v66, v67, v65
	v_fma_f32 v68, -v59, v66, v67
	s_delay_alu instid0(VALU_DEP_1) | instskip(NEXT) | instid1(VALU_DEP_1)
	v_fmac_f32_e32 v66, v68, v65
	v_fma_f32 v59, -v59, v66, v67
	s_delay_alu instid0(VALU_DEP_1) | instskip(NEXT) | instid1(VALU_DEP_1)
	v_div_fmas_f32 v59, v59, v65, v66
	v_div_fixup_f32 v59, v59, v56, v57
	s_delay_alu instid0(VALU_DEP_1) | instskip(NEXT) | instid1(VALU_DEP_1)
	v_fmac_f32_e32 v56, v57, v59
	v_div_scale_f32 v57, null, v56, v56, 1.0
	s_delay_alu instid0(VALU_DEP_1) | instskip(SKIP_1) | instid1(TRANS32_DEP_1)
	v_rcp_f32_e32 v65, v57
	v_nop
	v_fma_f32 v66, -v57, v65, 1.0
	s_delay_alu instid0(VALU_DEP_1) | instskip(SKIP_1) | instid1(VALU_DEP_1)
	v_fmac_f32_e32 v65, v66, v65
	v_div_scale_f32 v66, vcc_lo, 1.0, v56, 1.0
	v_mul_f32_e32 v67, v66, v65
	s_delay_alu instid0(VALU_DEP_1) | instskip(NEXT) | instid1(VALU_DEP_1)
	v_fma_f32 v68, -v57, v67, v66
	v_fmac_f32_e32 v67, v68, v65
	s_delay_alu instid0(VALU_DEP_1) | instskip(NEXT) | instid1(VALU_DEP_1)
	v_fma_f32 v57, -v57, v67, v66
	v_div_fmas_f32 v57, v57, v65, v67
	s_delay_alu instid0(VALU_DEP_1) | instskip(NEXT) | instid1(VALU_DEP_1)
	v_div_fixup_f32 v56, v57, v56, 1.0
	v_mul_f32_e64 v57, v59, -v56
.LBB48_282:
	s_or_b32 exec_lo, exec_lo, s1
.LBB48_283:
	s_delay_alu instid0(SALU_CYCLE_1) | instskip(NEXT) | instid1(SALU_CYCLE_1)
	s_or_b32 exec_lo, exec_lo, s0
	s_mov_b32 s0, exec_lo
	v_cmpx_ne_u32_e64 v64, v58
	s_xor_b32 s0, exec_lo, s0
	s_cbranch_execz .LBB48_289
; %bb.284:
	s_mov_b32 s1, exec_lo
	v_cmpx_eq_u32_e32 13, v64
	s_cbranch_execz .LBB48_288
; %bb.285:
	v_cmp_ne_u32_e32 vcc_lo, 13, v58
	s_xor_b32 s12, s16, -1
	s_delay_alu instid0(SALU_CYCLE_1) | instskip(NEXT) | instid1(SALU_CYCLE_1)
	s_and_b32 s13, s12, vcc_lo
	s_and_saveexec_b32 s12, s13
	s_cbranch_execz .LBB48_287
; %bb.286:
	v_ashrrev_i32_e32 v59, 31, v58
	s_delay_alu instid0(VALU_DEP_1)
	v_lshl_add_u64 v[64:65], v[58:59], 2, v[4:5]
	s_clause 0x1
	global_load_b32 v59, v[64:65], off
	global_load_b32 v62, v[4:5], off offset:52
	s_wait_loadcnt 0x1
	global_store_b32 v[4:5], v59, off offset:52
	s_wait_loadcnt 0x0
	global_store_b32 v[64:65], v62, off
.LBB48_287:
	s_wait_xcnt 0x0
	s_or_b32 exec_lo, exec_lo, s12
	v_dual_mov_b32 v64, v58 :: v_dual_mov_b32 v62, v58
.LBB48_288:
	s_or_b32 exec_lo, exec_lo, s1
.LBB48_289:
	s_and_not1_saveexec_b32 s0, s0
	s_cbranch_execz .LBB48_291
; %bb.290:
	v_dual_mov_b32 v58, v22 :: v_dual_mov_b32 v59, v23
	v_dual_mov_b32 v64, v18 :: v_dual_mov_b32 v65, v19
	ds_store_2addr_b64 v60, v[58:59], v[64:65] offset0:14 offset1:15
	v_dual_mov_b32 v58, v14 :: v_dual_mov_b32 v59, v15
	v_dual_mov_b32 v64, v10 :: v_dual_mov_b32 v65, v11
	ds_store_2addr_b64 v60, v[58:59], v[64:65] offset0:16 offset1:17
	;; [unrolled: 3-line block ×5, first 2 shown]
	ds_store_b64 v60, v[54:55] offset:192
	v_mov_b32_e32 v64, 13
.LBB48_291:
	s_or_b32 exec_lo, exec_lo, s0
	s_delay_alu instid0(SALU_CYCLE_1)
	s_mov_b32 s0, exec_lo
	s_wait_storecnt_dscnt 0x0
	s_barrier_signal -1
	s_barrier_wait -1
	v_cmpx_lt_i32_e32 13, v64
	s_cbranch_execz .LBB48_293
; %bb.292:
	v_pk_mul_f32 v[58:59], v[56:57], v[20:21] op_sel:[1,1] op_sel_hi:[0,1]
	s_delay_alu instid0(VALU_DEP_1)
	v_pk_fma_f32 v[66:67], v[56:57], v[20:21], v[58:59] op_sel_hi:[1,0,1] neg_lo:[0,0,1] neg_hi:[0,0,1]
	v_pk_fma_f32 v[68:69], v[56:57], v[20:21], v[58:59] op_sel_hi:[1,0,1]
	ds_load_2addr_b64 v[56:59], v60 offset0:14 offset1:15
	v_dual_mov_b32 v20, v66 :: v_dual_mov_b32 v21, v69
	s_wait_dscnt 0x0
	v_pk_mul_f32 v[70:71], v[56:57], v[68:69] op_sel:[0,1]
	s_delay_alu instid0(VALU_DEP_1) | instskip(SKIP_1) | instid1(VALU_DEP_1)
	v_pk_fma_f32 v[72:73], v[56:57], v[66:67], v[70:71] op_sel:[0,0,1] op_sel_hi:[1,1,0] neg_lo:[0,0,1] neg_hi:[0,0,1]
	v_pk_fma_f32 v[56:57], v[56:57], v[66:67], v[70:71] op_sel:[0,0,1] op_sel_hi:[1,0,0]
	v_mov_b32_e32 v73, v57
	v_pk_mul_f32 v[56:57], v[58:59], v[68:69] op_sel:[0,1]
	s_delay_alu instid0(VALU_DEP_1) | instskip(SKIP_1) | instid1(VALU_DEP_1)
	v_pk_fma_f32 v[70:71], v[58:59], v[66:67], v[56:57] op_sel:[0,0,1] op_sel_hi:[1,1,0] neg_lo:[0,0,1] neg_hi:[0,0,1]
	v_pk_fma_f32 v[56:57], v[58:59], v[66:67], v[56:57] op_sel:[0,0,1] op_sel_hi:[1,0,0]
	v_mov_b32_e32 v71, v57
	ds_load_2addr_b64 v[56:59], v60 offset0:16 offset1:17
	v_pk_add_f32 v[22:23], v[22:23], v[72:73] neg_lo:[0,1] neg_hi:[0,1]
	v_pk_add_f32 v[18:19], v[18:19], v[70:71] neg_lo:[0,1] neg_hi:[0,1]
	s_wait_dscnt 0x0
	v_pk_mul_f32 v[70:71], v[56:57], v[68:69] op_sel:[0,1]
	s_delay_alu instid0(VALU_DEP_1) | instskip(SKIP_2) | instid1(VALU_DEP_2)
	v_pk_fma_f32 v[72:73], v[56:57], v[66:67], v[70:71] op_sel:[0,0,1] op_sel_hi:[1,1,0] neg_lo:[0,0,1] neg_hi:[0,0,1]
	v_pk_fma_f32 v[56:57], v[56:57], v[66:67], v[70:71] op_sel:[0,0,1] op_sel_hi:[1,0,0]
	v_dual_mul_f32 v70, v59, v69 :: v_dual_mov_b32 v56, v59
	v_dual_mov_b32 v73, v57 :: v_dual_mov_b32 v57, v58
	s_delay_alu instid0(VALU_DEP_2) | instskip(SKIP_1) | instid1(VALU_DEP_3)
	v_pk_fma_f32 v[70:71], v[58:59], v[20:21], v[70:71] op_sel_hi:[1,1,0] neg_lo:[0,0,1] neg_hi:[0,0,1]
	v_mul_f32_e32 v58, v59, v66
	v_pk_add_f32 v[14:15], v[14:15], v[72:73] neg_lo:[0,1] neg_hi:[0,1]
	s_delay_alu instid0(VALU_DEP_2) | instskip(NEXT) | instid1(VALU_DEP_1)
	v_pk_fma_f32 v[56:57], v[56:57], v[20:21], v[58:59] op_sel_hi:[1,1,0]
	v_mov_b32_e32 v71, v57
	ds_load_2addr_b64 v[56:59], v60 offset0:18 offset1:19
	v_pk_add_f32 v[10:11], v[10:11], v[70:71] neg_lo:[0,1] neg_hi:[0,1]
	s_wait_dscnt 0x0
	v_pk_mul_f32 v[70:71], v[56:57], v[68:69] op_sel:[0,1]
	s_delay_alu instid0(VALU_DEP_1) | instskip(SKIP_1) | instid1(VALU_DEP_1)
	v_pk_fma_f32 v[72:73], v[56:57], v[66:67], v[70:71] op_sel:[0,0,1] op_sel_hi:[1,1,0] neg_lo:[0,0,1] neg_hi:[0,0,1]
	v_pk_fma_f32 v[56:57], v[56:57], v[66:67], v[70:71] op_sel:[0,0,1] op_sel_hi:[1,0,0]
	v_mov_b32_e32 v73, v57
	v_pk_mul_f32 v[56:57], v[58:59], v[68:69] op_sel:[0,1]
	s_delay_alu instid0(VALU_DEP_1) | instskip(SKIP_1) | instid1(VALU_DEP_1)
	v_pk_fma_f32 v[70:71], v[58:59], v[66:67], v[56:57] op_sel:[0,0,1] op_sel_hi:[1,1,0] neg_lo:[0,0,1] neg_hi:[0,0,1]
	v_pk_fma_f32 v[56:57], v[58:59], v[66:67], v[56:57] op_sel:[0,0,1] op_sel_hi:[1,0,0]
	v_mov_b32_e32 v71, v57
	ds_load_2addr_b64 v[56:59], v60 offset0:20 offset1:21
	v_pk_add_f32 v[12:13], v[12:13], v[72:73] neg_lo:[0,1] neg_hi:[0,1]
	v_pk_add_f32 v[8:9], v[8:9], v[70:71] neg_lo:[0,1] neg_hi:[0,1]
	s_wait_dscnt 0x0
	v_pk_mul_f32 v[70:71], v[56:57], v[68:69] op_sel:[0,1]
	s_delay_alu instid0(VALU_DEP_1) | instskip(SKIP_1) | instid1(VALU_DEP_1)
	v_pk_fma_f32 v[72:73], v[56:57], v[66:67], v[70:71] op_sel:[0,0,1] op_sel_hi:[1,1,0] neg_lo:[0,0,1] neg_hi:[0,0,1]
	v_pk_fma_f32 v[56:57], v[56:57], v[66:67], v[70:71] op_sel:[0,0,1] op_sel_hi:[1,0,0]
	v_mov_b32_e32 v73, v57
	v_pk_mul_f32 v[56:57], v[58:59], v[68:69] op_sel:[0,1]
	s_delay_alu instid0(VALU_DEP_1) | instskip(SKIP_1) | instid1(VALU_DEP_1)
	v_pk_fma_f32 v[70:71], v[58:59], v[66:67], v[56:57] op_sel:[0,0,1] op_sel_hi:[1,1,0] neg_lo:[0,0,1] neg_hi:[0,0,1]
	v_pk_fma_f32 v[56:57], v[58:59], v[66:67], v[56:57] op_sel:[0,0,1] op_sel_hi:[1,0,0]
	v_mov_b32_e32 v71, v57
	ds_load_2addr_b64 v[56:59], v60 offset0:22 offset1:23
	v_pk_add_f32 v[6:7], v[6:7], v[72:73] neg_lo:[0,1] neg_hi:[0,1]
	v_pk_add_f32 v[28:29], v[28:29], v[70:71] neg_lo:[0,1] neg_hi:[0,1]
	s_wait_dscnt 0x0
	v_dual_mul_f32 v70, v57, v69 :: v_dual_mul_f32 v72, v57, v66
	s_delay_alu instid0(VALU_DEP_1) | instskip(NEXT) | instid1(VALU_DEP_2)
	v_pk_fma_f32 v[70:71], v[56:57], v[20:21], v[70:71] op_sel_hi:[1,1,0] neg_lo:[0,0,1] neg_hi:[0,0,1]
	v_pk_fma_f32 v[56:57], v[56:57], v[20:21], v[72:73] op_sel:[1,0,0] op_sel_hi:[0,1,0]
	s_delay_alu instid0(VALU_DEP_1) | instskip(SKIP_1) | instid1(VALU_DEP_2)
	v_mov_b32_e32 v71, v57
	v_pk_mul_f32 v[56:57], v[58:59], v[68:69] op_sel:[0,1]
	v_pk_add_f32 v[26:27], v[26:27], v[70:71] neg_lo:[0,1] neg_hi:[0,1]
	s_delay_alu instid0(VALU_DEP_2) | instskip(SKIP_1) | instid1(VALU_DEP_1)
	v_pk_fma_f32 v[70:71], v[58:59], v[66:67], v[56:57] op_sel:[0,0,1] op_sel_hi:[1,1,0] neg_lo:[0,0,1] neg_hi:[0,0,1]
	v_pk_fma_f32 v[56:57], v[58:59], v[66:67], v[56:57] op_sel:[0,0,1] op_sel_hi:[1,0,0]
	v_mov_b32_e32 v71, v57
	ds_load_b64 v[56:57], v60 offset:192
	v_pk_add_f32 v[16:17], v[16:17], v[70:71] neg_lo:[0,1] neg_hi:[0,1]
	s_wait_dscnt 0x0
	v_pk_mul_f32 v[58:59], v[56:57], v[68:69] op_sel:[0,1]
	s_delay_alu instid0(VALU_DEP_1) | instskip(SKIP_1) | instid1(VALU_DEP_1)
	v_pk_fma_f32 v[68:69], v[56:57], v[66:67], v[58:59] op_sel:[0,0,1] op_sel_hi:[1,1,0] neg_lo:[0,0,1] neg_hi:[0,0,1]
	v_pk_fma_f32 v[56:57], v[56:57], v[66:67], v[58:59] op_sel:[0,0,1] op_sel_hi:[1,0,0]
	v_mov_b32_e32 v69, v57
	s_delay_alu instid0(VALU_DEP_1)
	v_pk_add_f32 v[54:55], v[54:55], v[68:69] neg_lo:[0,1] neg_hi:[0,1]
.LBB48_293:
	s_or_b32 exec_lo, exec_lo, s0
	v_lshl_add_u32 v56, v64, 3, v60
	s_barrier_signal -1
	s_barrier_wait -1
	ds_store_b64 v56, v[22:23]
	s_wait_dscnt 0x0
	s_barrier_signal -1
	s_barrier_wait -1
	ds_load_b64 v[56:57], v60 offset:112
	v_mov_b32_e32 v58, 14
	s_cmp_lt_i32 s18, 16
	s_cbranch_scc1 .LBB48_296
; %bb.294:
	v_add3_u32 v59, v61, 0, 0x78
	v_mov_b32_e32 v58, 14
	s_mov_b32 s0, 15
.LBB48_295:                             ; =>This Inner Loop Header: Depth=1
	ds_load_b64 v[66:67], v59
	s_wait_dscnt 0x1
	v_cmp_gt_f32_e32 vcc_lo, 0, v56
	v_cndmask_b32_e64 v68, v56, -v56, vcc_lo
	v_cmp_gt_f32_e32 vcc_lo, 0, v57
	v_cndmask_b32_e64 v70, v57, -v57, vcc_lo
	s_wait_dscnt 0x0
	v_cmp_gt_f32_e32 vcc_lo, 0, v66
	v_cndmask_b32_e64 v69, v66, -v66, vcc_lo
	v_cmp_gt_f32_e32 vcc_lo, 0, v67
	v_cndmask_b32_e64 v71, v67, -v67, vcc_lo
	s_delay_alu instid0(VALU_DEP_1) | instskip(NEXT) | instid1(VALU_DEP_1)
	v_pk_add_f32 v[68:69], v[68:69], v[70:71]
	v_cmp_lt_f32_e32 vcc_lo, v68, v69
	v_dual_cndmask_b32 v56, v56, v66 :: v_dual_add_nc_u32 v59, 8, v59
	v_cndmask_b32_e32 v57, v57, v67, vcc_lo
	v_cndmask_b32_e64 v58, v58, s0, vcc_lo
	s_add_co_i32 s0, s0, 1
	s_delay_alu instid0(SALU_CYCLE_1)
	s_cmp_lg_u32 s18, s0
	s_cbranch_scc1 .LBB48_295
.LBB48_296:
	s_wait_dscnt 0x0
	v_cmp_eq_f32_e32 vcc_lo, 0, v56
	v_cmp_eq_f32_e64 s0, 0, v57
	s_and_b32 s0, vcc_lo, s0
	s_delay_alu instid0(SALU_CYCLE_1) | instskip(NEXT) | instid1(SALU_CYCLE_1)
	s_and_saveexec_b32 s1, s0
	s_xor_b32 s0, exec_lo, s1
; %bb.297:
	v_cmp_ne_u32_e32 vcc_lo, 0, v63
	v_cndmask_b32_e32 v63, 15, v63, vcc_lo
; %bb.298:
	s_and_not1_saveexec_b32 s0, s0
	s_cbranch_execz .LBB48_304
; %bb.299:
	v_cmp_ngt_f32_e64 s1, |v56|, |v57|
	s_and_saveexec_b32 s12, s1
	s_delay_alu instid0(SALU_CYCLE_1)
	s_xor_b32 s1, exec_lo, s12
	s_cbranch_execz .LBB48_301
; %bb.300:
	v_div_scale_f32 v59, null, v57, v57, v56
	v_div_scale_f32 v67, vcc_lo, v56, v57, v56
	s_delay_alu instid0(VALU_DEP_2) | instskip(SKIP_1) | instid1(TRANS32_DEP_1)
	v_rcp_f32_e32 v65, v59
	v_nop
	v_fma_f32 v66, -v59, v65, 1.0
	s_delay_alu instid0(VALU_DEP_1) | instskip(NEXT) | instid1(VALU_DEP_1)
	v_fmac_f32_e32 v65, v66, v65
	v_mul_f32_e32 v66, v67, v65
	s_delay_alu instid0(VALU_DEP_1) | instskip(NEXT) | instid1(VALU_DEP_1)
	v_fma_f32 v68, -v59, v66, v67
	v_fmac_f32_e32 v66, v68, v65
	s_delay_alu instid0(VALU_DEP_1) | instskip(NEXT) | instid1(VALU_DEP_1)
	v_fma_f32 v59, -v59, v66, v67
	v_div_fmas_f32 v59, v59, v65, v66
	s_delay_alu instid0(VALU_DEP_1) | instskip(NEXT) | instid1(VALU_DEP_1)
	v_div_fixup_f32 v59, v59, v57, v56
	v_fmac_f32_e32 v57, v56, v59
	s_delay_alu instid0(VALU_DEP_1) | instskip(SKIP_1) | instid1(VALU_DEP_2)
	v_div_scale_f32 v56, null, v57, v57, 1.0
	v_div_scale_f32 v67, vcc_lo, 1.0, v57, 1.0
	v_rcp_f32_e32 v65, v56
	v_nop
	s_delay_alu instid0(TRANS32_DEP_1) | instskip(NEXT) | instid1(VALU_DEP_1)
	v_fma_f32 v66, -v56, v65, 1.0
	v_fmac_f32_e32 v65, v66, v65
	s_delay_alu instid0(VALU_DEP_1) | instskip(NEXT) | instid1(VALU_DEP_1)
	v_mul_f32_e32 v66, v67, v65
	v_fma_f32 v68, -v56, v66, v67
	s_delay_alu instid0(VALU_DEP_1) | instskip(NEXT) | instid1(VALU_DEP_1)
	v_fmac_f32_e32 v66, v68, v65
	v_fma_f32 v56, -v56, v66, v67
	s_delay_alu instid0(VALU_DEP_1) | instskip(NEXT) | instid1(VALU_DEP_1)
	v_div_fmas_f32 v56, v56, v65, v66
	v_div_fixup_f32 v57, v56, v57, 1.0
	s_delay_alu instid0(VALU_DEP_1)
	v_mul_f32_e32 v56, v59, v57
	v_xor_b32_e32 v57, 0x80000000, v57
.LBB48_301:
	s_and_not1_saveexec_b32 s1, s1
	s_cbranch_execz .LBB48_303
; %bb.302:
	s_delay_alu instid0(VALU_DEP_1) | instskip(SKIP_1) | instid1(VALU_DEP_2)
	v_div_scale_f32 v59, null, v56, v56, v57
	v_div_scale_f32 v67, vcc_lo, v57, v56, v57
	v_rcp_f32_e32 v65, v59
	v_nop
	s_delay_alu instid0(TRANS32_DEP_1) | instskip(NEXT) | instid1(VALU_DEP_1)
	v_fma_f32 v66, -v59, v65, 1.0
	v_fmac_f32_e32 v65, v66, v65
	s_delay_alu instid0(VALU_DEP_1) | instskip(NEXT) | instid1(VALU_DEP_1)
	v_mul_f32_e32 v66, v67, v65
	v_fma_f32 v68, -v59, v66, v67
	s_delay_alu instid0(VALU_DEP_1) | instskip(NEXT) | instid1(VALU_DEP_1)
	v_fmac_f32_e32 v66, v68, v65
	v_fma_f32 v59, -v59, v66, v67
	s_delay_alu instid0(VALU_DEP_1) | instskip(NEXT) | instid1(VALU_DEP_1)
	v_div_fmas_f32 v59, v59, v65, v66
	v_div_fixup_f32 v59, v59, v56, v57
	s_delay_alu instid0(VALU_DEP_1) | instskip(NEXT) | instid1(VALU_DEP_1)
	v_fmac_f32_e32 v56, v57, v59
	v_div_scale_f32 v57, null, v56, v56, 1.0
	s_delay_alu instid0(VALU_DEP_1) | instskip(SKIP_1) | instid1(TRANS32_DEP_1)
	v_rcp_f32_e32 v65, v57
	v_nop
	v_fma_f32 v66, -v57, v65, 1.0
	s_delay_alu instid0(VALU_DEP_1) | instskip(SKIP_1) | instid1(VALU_DEP_1)
	v_fmac_f32_e32 v65, v66, v65
	v_div_scale_f32 v66, vcc_lo, 1.0, v56, 1.0
	v_mul_f32_e32 v67, v66, v65
	s_delay_alu instid0(VALU_DEP_1) | instskip(NEXT) | instid1(VALU_DEP_1)
	v_fma_f32 v68, -v57, v67, v66
	v_fmac_f32_e32 v67, v68, v65
	s_delay_alu instid0(VALU_DEP_1) | instskip(NEXT) | instid1(VALU_DEP_1)
	v_fma_f32 v57, -v57, v67, v66
	v_div_fmas_f32 v57, v57, v65, v67
	s_delay_alu instid0(VALU_DEP_1) | instskip(NEXT) | instid1(VALU_DEP_1)
	v_div_fixup_f32 v56, v57, v56, 1.0
	v_mul_f32_e64 v57, v59, -v56
.LBB48_303:
	s_or_b32 exec_lo, exec_lo, s1
.LBB48_304:
	s_delay_alu instid0(SALU_CYCLE_1) | instskip(NEXT) | instid1(SALU_CYCLE_1)
	s_or_b32 exec_lo, exec_lo, s0
	s_mov_b32 s0, exec_lo
	v_cmpx_ne_u32_e64 v64, v58
	s_xor_b32 s0, exec_lo, s0
	s_cbranch_execz .LBB48_310
; %bb.305:
	s_mov_b32 s1, exec_lo
	v_cmpx_eq_u32_e32 14, v64
	s_cbranch_execz .LBB48_309
; %bb.306:
	v_cmp_ne_u32_e32 vcc_lo, 14, v58
	s_xor_b32 s12, s16, -1
	s_delay_alu instid0(SALU_CYCLE_1) | instskip(NEXT) | instid1(SALU_CYCLE_1)
	s_and_b32 s13, s12, vcc_lo
	s_and_saveexec_b32 s12, s13
	s_cbranch_execz .LBB48_308
; %bb.307:
	v_ashrrev_i32_e32 v59, 31, v58
	s_delay_alu instid0(VALU_DEP_1)
	v_lshl_add_u64 v[64:65], v[58:59], 2, v[4:5]
	s_clause 0x1
	global_load_b32 v59, v[64:65], off
	global_load_b32 v62, v[4:5], off offset:56
	s_wait_loadcnt 0x1
	global_store_b32 v[4:5], v59, off offset:56
	s_wait_loadcnt 0x0
	global_store_b32 v[64:65], v62, off
.LBB48_308:
	s_wait_xcnt 0x0
	s_or_b32 exec_lo, exec_lo, s12
	v_dual_mov_b32 v64, v58 :: v_dual_mov_b32 v62, v58
.LBB48_309:
	s_or_b32 exec_lo, exec_lo, s1
.LBB48_310:
	s_and_not1_saveexec_b32 s0, s0
	s_cbranch_execz .LBB48_312
; %bb.311:
	v_mov_b32_e32 v64, 14
	ds_store_2addr_b64 v60, v[18:19], v[14:15] offset0:15 offset1:16
	ds_store_2addr_b64 v60, v[10:11], v[12:13] offset0:17 offset1:18
	;; [unrolled: 1-line block ×5, first 2 shown]
.LBB48_312:
	s_or_b32 exec_lo, exec_lo, s0
	s_delay_alu instid0(SALU_CYCLE_1)
	s_mov_b32 s0, exec_lo
	s_wait_storecnt_dscnt 0x0
	s_barrier_signal -1
	s_barrier_wait -1
	v_cmpx_lt_i32_e32 14, v64
	s_cbranch_execz .LBB48_314
; %bb.313:
	v_pk_mul_f32 v[58:59], v[56:57], v[22:23] op_sel:[1,1] op_sel_hi:[0,1]
	s_delay_alu instid0(VALU_DEP_1)
	v_pk_fma_f32 v[66:67], v[56:57], v[22:23], v[58:59] op_sel_hi:[1,0,1] neg_lo:[0,0,1] neg_hi:[0,0,1]
	v_pk_fma_f32 v[68:69], v[56:57], v[22:23], v[58:59] op_sel_hi:[1,0,1]
	ds_load_2addr_b64 v[56:59], v60 offset0:15 offset1:16
	v_dual_mov_b32 v22, v66 :: v_dual_mov_b32 v23, v69
	s_wait_dscnt 0x0
	v_pk_mul_f32 v[70:71], v[56:57], v[68:69] op_sel:[0,1]
	s_delay_alu instid0(VALU_DEP_1) | instskip(SKIP_1) | instid1(VALU_DEP_1)
	v_pk_fma_f32 v[72:73], v[56:57], v[66:67], v[70:71] op_sel:[0,0,1] op_sel_hi:[1,1,0] neg_lo:[0,0,1] neg_hi:[0,0,1]
	v_pk_fma_f32 v[56:57], v[56:57], v[66:67], v[70:71] op_sel:[0,0,1] op_sel_hi:[1,0,0]
	v_mov_b32_e32 v73, v57
	v_pk_mul_f32 v[56:57], v[58:59], v[68:69] op_sel:[0,1]
	s_delay_alu instid0(VALU_DEP_1) | instskip(SKIP_1) | instid1(VALU_DEP_1)
	v_pk_fma_f32 v[70:71], v[58:59], v[66:67], v[56:57] op_sel:[0,0,1] op_sel_hi:[1,1,0] neg_lo:[0,0,1] neg_hi:[0,0,1]
	v_pk_fma_f32 v[56:57], v[58:59], v[66:67], v[56:57] op_sel:[0,0,1] op_sel_hi:[1,0,0]
	v_mov_b32_e32 v71, v57
	ds_load_2addr_b64 v[56:59], v60 offset0:17 offset1:18
	v_pk_add_f32 v[18:19], v[18:19], v[72:73] neg_lo:[0,1] neg_hi:[0,1]
	v_pk_add_f32 v[14:15], v[14:15], v[70:71] neg_lo:[0,1] neg_hi:[0,1]
	s_wait_dscnt 0x0
	v_pk_mul_f32 v[70:71], v[56:57], v[68:69] op_sel:[0,1]
	s_delay_alu instid0(VALU_DEP_1) | instskip(SKIP_2) | instid1(VALU_DEP_2)
	v_pk_fma_f32 v[72:73], v[56:57], v[66:67], v[70:71] op_sel:[0,0,1] op_sel_hi:[1,1,0] neg_lo:[0,0,1] neg_hi:[0,0,1]
	v_pk_fma_f32 v[56:57], v[56:57], v[66:67], v[70:71] op_sel:[0,0,1] op_sel_hi:[1,0,0]
	v_dual_mul_f32 v70, v59, v69 :: v_dual_mov_b32 v56, v59
	v_dual_mov_b32 v73, v57 :: v_dual_mov_b32 v57, v58
	s_delay_alu instid0(VALU_DEP_2) | instskip(SKIP_1) | instid1(VALU_DEP_3)
	v_pk_fma_f32 v[70:71], v[58:59], v[22:23], v[70:71] op_sel_hi:[1,1,0] neg_lo:[0,0,1] neg_hi:[0,0,1]
	v_mul_f32_e32 v58, v59, v66
	v_pk_add_f32 v[10:11], v[10:11], v[72:73] neg_lo:[0,1] neg_hi:[0,1]
	s_delay_alu instid0(VALU_DEP_2) | instskip(NEXT) | instid1(VALU_DEP_1)
	v_pk_fma_f32 v[56:57], v[56:57], v[22:23], v[58:59] op_sel_hi:[1,1,0]
	v_mov_b32_e32 v71, v57
	ds_load_2addr_b64 v[56:59], v60 offset0:19 offset1:20
	v_pk_add_f32 v[12:13], v[12:13], v[70:71] neg_lo:[0,1] neg_hi:[0,1]
	s_wait_dscnt 0x0
	v_pk_mul_f32 v[70:71], v[56:57], v[68:69] op_sel:[0,1]
	s_delay_alu instid0(VALU_DEP_1) | instskip(SKIP_1) | instid1(VALU_DEP_1)
	v_pk_fma_f32 v[72:73], v[56:57], v[66:67], v[70:71] op_sel:[0,0,1] op_sel_hi:[1,1,0] neg_lo:[0,0,1] neg_hi:[0,0,1]
	v_pk_fma_f32 v[56:57], v[56:57], v[66:67], v[70:71] op_sel:[0,0,1] op_sel_hi:[1,0,0]
	v_mov_b32_e32 v73, v57
	v_pk_mul_f32 v[56:57], v[58:59], v[68:69] op_sel:[0,1]
	s_delay_alu instid0(VALU_DEP_1) | instskip(SKIP_1) | instid1(VALU_DEP_1)
	v_pk_fma_f32 v[70:71], v[58:59], v[66:67], v[56:57] op_sel:[0,0,1] op_sel_hi:[1,1,0] neg_lo:[0,0,1] neg_hi:[0,0,1]
	v_pk_fma_f32 v[56:57], v[58:59], v[66:67], v[56:57] op_sel:[0,0,1] op_sel_hi:[1,0,0]
	v_mov_b32_e32 v71, v57
	ds_load_2addr_b64 v[56:59], v60 offset0:21 offset1:22
	v_pk_add_f32 v[8:9], v[8:9], v[72:73] neg_lo:[0,1] neg_hi:[0,1]
	v_pk_add_f32 v[6:7], v[6:7], v[70:71] neg_lo:[0,1] neg_hi:[0,1]
	s_wait_dscnt 0x0
	v_pk_mul_f32 v[70:71], v[56:57], v[68:69] op_sel:[0,1]
	s_delay_alu instid0(VALU_DEP_1) | instskip(SKIP_1) | instid1(VALU_DEP_1)
	v_pk_fma_f32 v[72:73], v[56:57], v[66:67], v[70:71] op_sel:[0,0,1] op_sel_hi:[1,1,0] neg_lo:[0,0,1] neg_hi:[0,0,1]
	v_pk_fma_f32 v[56:57], v[56:57], v[66:67], v[70:71] op_sel:[0,0,1] op_sel_hi:[1,0,0]
	v_mov_b32_e32 v73, v57
	v_pk_mul_f32 v[56:57], v[58:59], v[68:69] op_sel:[0,1]
	s_delay_alu instid0(VALU_DEP_1) | instskip(SKIP_1) | instid1(VALU_DEP_1)
	v_pk_fma_f32 v[70:71], v[58:59], v[66:67], v[56:57] op_sel:[0,0,1] op_sel_hi:[1,1,0] neg_lo:[0,0,1] neg_hi:[0,0,1]
	v_pk_fma_f32 v[56:57], v[58:59], v[66:67], v[56:57] op_sel:[0,0,1] op_sel_hi:[1,0,0]
	v_mov_b32_e32 v71, v57
	ds_load_2addr_b64 v[56:59], v60 offset0:23 offset1:24
	v_pk_add_f32 v[28:29], v[28:29], v[72:73] neg_lo:[0,1] neg_hi:[0,1]
	v_pk_add_f32 v[26:27], v[26:27], v[70:71] neg_lo:[0,1] neg_hi:[0,1]
	s_wait_dscnt 0x0
	v_dual_mul_f32 v70, v57, v69 :: v_dual_mul_f32 v72, v57, v66
	s_delay_alu instid0(VALU_DEP_1) | instskip(NEXT) | instid1(VALU_DEP_2)
	v_pk_fma_f32 v[70:71], v[56:57], v[22:23], v[70:71] op_sel_hi:[1,1,0] neg_lo:[0,0,1] neg_hi:[0,0,1]
	v_pk_fma_f32 v[56:57], v[56:57], v[22:23], v[72:73] op_sel:[1,0,0] op_sel_hi:[0,1,0]
	s_delay_alu instid0(VALU_DEP_1) | instskip(SKIP_1) | instid1(VALU_DEP_1)
	v_mov_b32_e32 v71, v57
	v_pk_mul_f32 v[56:57], v[58:59], v[68:69] op_sel:[0,1]
	v_pk_fma_f32 v[68:69], v[58:59], v[66:67], v[56:57] op_sel:[0,0,1] op_sel_hi:[1,1,0] neg_lo:[0,0,1] neg_hi:[0,0,1]
	v_pk_fma_f32 v[56:57], v[58:59], v[66:67], v[56:57] op_sel:[0,0,1] op_sel_hi:[1,0,0]
	s_delay_alu instid0(VALU_DEP_1) | instskip(SKIP_1) | instid1(VALU_DEP_2)
	v_mov_b32_e32 v69, v57
	v_pk_add_f32 v[16:17], v[16:17], v[70:71] neg_lo:[0,1] neg_hi:[0,1]
	v_pk_add_f32 v[54:55], v[54:55], v[68:69] neg_lo:[0,1] neg_hi:[0,1]
.LBB48_314:
	s_or_b32 exec_lo, exec_lo, s0
	v_lshl_add_u32 v56, v64, 3, v60
	s_barrier_signal -1
	s_barrier_wait -1
	ds_store_b64 v56, v[18:19]
	s_wait_dscnt 0x0
	s_barrier_signal -1
	s_barrier_wait -1
	ds_load_b64 v[56:57], v60 offset:120
	v_mov_b32_e32 v58, 15
	s_cmp_lt_i32 s18, 17
	s_cbranch_scc1 .LBB48_317
; %bb.315:
	v_add3_u32 v59, v61, 0, 0x80
	v_mov_b32_e32 v58, 15
	s_mov_b32 s0, 16
.LBB48_316:                             ; =>This Inner Loop Header: Depth=1
	ds_load_b64 v[66:67], v59
	s_wait_dscnt 0x1
	v_cmp_gt_f32_e32 vcc_lo, 0, v56
	v_cndmask_b32_e64 v68, v56, -v56, vcc_lo
	v_cmp_gt_f32_e32 vcc_lo, 0, v57
	v_cndmask_b32_e64 v70, v57, -v57, vcc_lo
	s_wait_dscnt 0x0
	v_cmp_gt_f32_e32 vcc_lo, 0, v66
	v_cndmask_b32_e64 v69, v66, -v66, vcc_lo
	v_cmp_gt_f32_e32 vcc_lo, 0, v67
	v_cndmask_b32_e64 v71, v67, -v67, vcc_lo
	s_delay_alu instid0(VALU_DEP_1) | instskip(NEXT) | instid1(VALU_DEP_1)
	v_pk_add_f32 v[68:69], v[68:69], v[70:71]
	v_cmp_lt_f32_e32 vcc_lo, v68, v69
	v_dual_cndmask_b32 v56, v56, v66 :: v_dual_add_nc_u32 v59, 8, v59
	v_cndmask_b32_e32 v57, v57, v67, vcc_lo
	v_cndmask_b32_e64 v58, v58, s0, vcc_lo
	s_add_co_i32 s0, s0, 1
	s_delay_alu instid0(SALU_CYCLE_1)
	s_cmp_lg_u32 s18, s0
	s_cbranch_scc1 .LBB48_316
.LBB48_317:
	s_wait_dscnt 0x0
	v_cmp_eq_f32_e32 vcc_lo, 0, v56
	v_cmp_eq_f32_e64 s0, 0, v57
	s_and_b32 s0, vcc_lo, s0
	s_delay_alu instid0(SALU_CYCLE_1) | instskip(NEXT) | instid1(SALU_CYCLE_1)
	s_and_saveexec_b32 s1, s0
	s_xor_b32 s0, exec_lo, s1
; %bb.318:
	v_cmp_ne_u32_e32 vcc_lo, 0, v63
	v_cndmask_b32_e32 v63, 16, v63, vcc_lo
; %bb.319:
	s_and_not1_saveexec_b32 s0, s0
	s_cbranch_execz .LBB48_325
; %bb.320:
	v_cmp_ngt_f32_e64 s1, |v56|, |v57|
	s_and_saveexec_b32 s12, s1
	s_delay_alu instid0(SALU_CYCLE_1)
	s_xor_b32 s1, exec_lo, s12
	s_cbranch_execz .LBB48_322
; %bb.321:
	v_div_scale_f32 v59, null, v57, v57, v56
	v_div_scale_f32 v67, vcc_lo, v56, v57, v56
	s_delay_alu instid0(VALU_DEP_2) | instskip(SKIP_1) | instid1(TRANS32_DEP_1)
	v_rcp_f32_e32 v65, v59
	v_nop
	v_fma_f32 v66, -v59, v65, 1.0
	s_delay_alu instid0(VALU_DEP_1) | instskip(NEXT) | instid1(VALU_DEP_1)
	v_fmac_f32_e32 v65, v66, v65
	v_mul_f32_e32 v66, v67, v65
	s_delay_alu instid0(VALU_DEP_1) | instskip(NEXT) | instid1(VALU_DEP_1)
	v_fma_f32 v68, -v59, v66, v67
	v_fmac_f32_e32 v66, v68, v65
	s_delay_alu instid0(VALU_DEP_1) | instskip(NEXT) | instid1(VALU_DEP_1)
	v_fma_f32 v59, -v59, v66, v67
	v_div_fmas_f32 v59, v59, v65, v66
	s_delay_alu instid0(VALU_DEP_1) | instskip(NEXT) | instid1(VALU_DEP_1)
	v_div_fixup_f32 v59, v59, v57, v56
	v_fmac_f32_e32 v57, v56, v59
	s_delay_alu instid0(VALU_DEP_1) | instskip(SKIP_1) | instid1(VALU_DEP_2)
	v_div_scale_f32 v56, null, v57, v57, 1.0
	v_div_scale_f32 v67, vcc_lo, 1.0, v57, 1.0
	v_rcp_f32_e32 v65, v56
	v_nop
	s_delay_alu instid0(TRANS32_DEP_1) | instskip(NEXT) | instid1(VALU_DEP_1)
	v_fma_f32 v66, -v56, v65, 1.0
	v_fmac_f32_e32 v65, v66, v65
	s_delay_alu instid0(VALU_DEP_1) | instskip(NEXT) | instid1(VALU_DEP_1)
	v_mul_f32_e32 v66, v67, v65
	v_fma_f32 v68, -v56, v66, v67
	s_delay_alu instid0(VALU_DEP_1) | instskip(NEXT) | instid1(VALU_DEP_1)
	v_fmac_f32_e32 v66, v68, v65
	v_fma_f32 v56, -v56, v66, v67
	s_delay_alu instid0(VALU_DEP_1) | instskip(NEXT) | instid1(VALU_DEP_1)
	v_div_fmas_f32 v56, v56, v65, v66
	v_div_fixup_f32 v57, v56, v57, 1.0
	s_delay_alu instid0(VALU_DEP_1)
	v_mul_f32_e32 v56, v59, v57
	v_xor_b32_e32 v57, 0x80000000, v57
.LBB48_322:
	s_and_not1_saveexec_b32 s1, s1
	s_cbranch_execz .LBB48_324
; %bb.323:
	s_delay_alu instid0(VALU_DEP_1) | instskip(SKIP_1) | instid1(VALU_DEP_2)
	v_div_scale_f32 v59, null, v56, v56, v57
	v_div_scale_f32 v67, vcc_lo, v57, v56, v57
	v_rcp_f32_e32 v65, v59
	v_nop
	s_delay_alu instid0(TRANS32_DEP_1) | instskip(NEXT) | instid1(VALU_DEP_1)
	v_fma_f32 v66, -v59, v65, 1.0
	v_fmac_f32_e32 v65, v66, v65
	s_delay_alu instid0(VALU_DEP_1) | instskip(NEXT) | instid1(VALU_DEP_1)
	v_mul_f32_e32 v66, v67, v65
	v_fma_f32 v68, -v59, v66, v67
	s_delay_alu instid0(VALU_DEP_1) | instskip(NEXT) | instid1(VALU_DEP_1)
	v_fmac_f32_e32 v66, v68, v65
	v_fma_f32 v59, -v59, v66, v67
	s_delay_alu instid0(VALU_DEP_1) | instskip(NEXT) | instid1(VALU_DEP_1)
	v_div_fmas_f32 v59, v59, v65, v66
	v_div_fixup_f32 v59, v59, v56, v57
	s_delay_alu instid0(VALU_DEP_1) | instskip(NEXT) | instid1(VALU_DEP_1)
	v_fmac_f32_e32 v56, v57, v59
	v_div_scale_f32 v57, null, v56, v56, 1.0
	s_delay_alu instid0(VALU_DEP_1) | instskip(SKIP_1) | instid1(TRANS32_DEP_1)
	v_rcp_f32_e32 v65, v57
	v_nop
	v_fma_f32 v66, -v57, v65, 1.0
	s_delay_alu instid0(VALU_DEP_1) | instskip(SKIP_1) | instid1(VALU_DEP_1)
	v_fmac_f32_e32 v65, v66, v65
	v_div_scale_f32 v66, vcc_lo, 1.0, v56, 1.0
	v_mul_f32_e32 v67, v66, v65
	s_delay_alu instid0(VALU_DEP_1) | instskip(NEXT) | instid1(VALU_DEP_1)
	v_fma_f32 v68, -v57, v67, v66
	v_fmac_f32_e32 v67, v68, v65
	s_delay_alu instid0(VALU_DEP_1) | instskip(NEXT) | instid1(VALU_DEP_1)
	v_fma_f32 v57, -v57, v67, v66
	v_div_fmas_f32 v57, v57, v65, v67
	s_delay_alu instid0(VALU_DEP_1) | instskip(NEXT) | instid1(VALU_DEP_1)
	v_div_fixup_f32 v56, v57, v56, 1.0
	v_mul_f32_e64 v57, v59, -v56
.LBB48_324:
	s_or_b32 exec_lo, exec_lo, s1
.LBB48_325:
	s_delay_alu instid0(SALU_CYCLE_1) | instskip(NEXT) | instid1(SALU_CYCLE_1)
	s_or_b32 exec_lo, exec_lo, s0
	s_mov_b32 s0, exec_lo
	v_cmpx_ne_u32_e64 v64, v58
	s_xor_b32 s0, exec_lo, s0
	s_cbranch_execz .LBB48_331
; %bb.326:
	s_mov_b32 s1, exec_lo
	v_cmpx_eq_u32_e32 15, v64
	s_cbranch_execz .LBB48_330
; %bb.327:
	v_cmp_ne_u32_e32 vcc_lo, 15, v58
	s_xor_b32 s12, s16, -1
	s_delay_alu instid0(SALU_CYCLE_1) | instskip(NEXT) | instid1(SALU_CYCLE_1)
	s_and_b32 s13, s12, vcc_lo
	s_and_saveexec_b32 s12, s13
	s_cbranch_execz .LBB48_329
; %bb.328:
	v_ashrrev_i32_e32 v59, 31, v58
	s_delay_alu instid0(VALU_DEP_1)
	v_lshl_add_u64 v[64:65], v[58:59], 2, v[4:5]
	s_clause 0x1
	global_load_b32 v59, v[64:65], off
	global_load_b32 v62, v[4:5], off offset:60
	s_wait_loadcnt 0x1
	global_store_b32 v[4:5], v59, off offset:60
	s_wait_loadcnt 0x0
	global_store_b32 v[64:65], v62, off
.LBB48_329:
	s_wait_xcnt 0x0
	s_or_b32 exec_lo, exec_lo, s12
	v_dual_mov_b32 v64, v58 :: v_dual_mov_b32 v62, v58
.LBB48_330:
	s_or_b32 exec_lo, exec_lo, s1
.LBB48_331:
	s_and_not1_saveexec_b32 s0, s0
	s_cbranch_execz .LBB48_333
; %bb.332:
	v_dual_mov_b32 v58, v14 :: v_dual_mov_b32 v59, v15
	v_dual_mov_b32 v66, v10 :: v_dual_mov_b32 v67, v11
	;; [unrolled: 1-line block ×8, first 2 shown]
	v_mov_b32_e32 v79, v17
	ds_store_2addr_b64 v60, v[58:59], v[66:67] offset0:16 offset1:17
	ds_store_2addr_b64 v60, v[68:69], v[70:71] offset0:18 offset1:19
	;; [unrolled: 1-line block ×4, first 2 shown]
	ds_store_b64 v60, v[54:55] offset:192
.LBB48_333:
	s_or_b32 exec_lo, exec_lo, s0
	s_delay_alu instid0(SALU_CYCLE_1)
	s_mov_b32 s0, exec_lo
	s_wait_storecnt_dscnt 0x0
	s_barrier_signal -1
	s_barrier_wait -1
	v_cmpx_lt_i32_e32 15, v64
	s_cbranch_execz .LBB48_335
; %bb.334:
	v_pk_mul_f32 v[58:59], v[56:57], v[18:19] op_sel:[1,1] op_sel_hi:[0,1]
	s_delay_alu instid0(VALU_DEP_1)
	v_pk_fma_f32 v[66:67], v[56:57], v[18:19], v[58:59] op_sel_hi:[1,0,1] neg_lo:[0,0,1] neg_hi:[0,0,1]
	v_pk_fma_f32 v[68:69], v[56:57], v[18:19], v[58:59] op_sel_hi:[1,0,1]
	ds_load_2addr_b64 v[56:59], v60 offset0:16 offset1:17
	v_dual_mov_b32 v18, v66 :: v_dual_mov_b32 v19, v69
	s_wait_dscnt 0x0
	v_pk_mul_f32 v[70:71], v[56:57], v[68:69] op_sel:[0,1]
	s_delay_alu instid0(VALU_DEP_1) | instskip(SKIP_1) | instid1(VALU_DEP_1)
	v_pk_fma_f32 v[72:73], v[56:57], v[66:67], v[70:71] op_sel:[0,0,1] op_sel_hi:[1,1,0] neg_lo:[0,0,1] neg_hi:[0,0,1]
	v_pk_fma_f32 v[56:57], v[56:57], v[66:67], v[70:71] op_sel:[0,0,1] op_sel_hi:[1,0,0]
	v_mov_b32_e32 v73, v57
	v_pk_mul_f32 v[56:57], v[58:59], v[68:69] op_sel:[0,1]
	s_delay_alu instid0(VALU_DEP_1) | instskip(SKIP_1) | instid1(VALU_DEP_1)
	v_pk_fma_f32 v[70:71], v[58:59], v[66:67], v[56:57] op_sel:[0,0,1] op_sel_hi:[1,1,0] neg_lo:[0,0,1] neg_hi:[0,0,1]
	v_pk_fma_f32 v[56:57], v[58:59], v[66:67], v[56:57] op_sel:[0,0,1] op_sel_hi:[1,0,0]
	v_mov_b32_e32 v71, v57
	ds_load_2addr_b64 v[56:59], v60 offset0:18 offset1:19
	v_pk_add_f32 v[14:15], v[14:15], v[72:73] neg_lo:[0,1] neg_hi:[0,1]
	v_pk_add_f32 v[10:11], v[10:11], v[70:71] neg_lo:[0,1] neg_hi:[0,1]
	s_wait_dscnt 0x0
	v_pk_mul_f32 v[70:71], v[56:57], v[68:69] op_sel:[0,1]
	s_delay_alu instid0(VALU_DEP_1) | instskip(SKIP_2) | instid1(VALU_DEP_2)
	v_pk_fma_f32 v[72:73], v[56:57], v[66:67], v[70:71] op_sel:[0,0,1] op_sel_hi:[1,1,0] neg_lo:[0,0,1] neg_hi:[0,0,1]
	v_pk_fma_f32 v[56:57], v[56:57], v[66:67], v[70:71] op_sel:[0,0,1] op_sel_hi:[1,0,0]
	v_dual_mul_f32 v70, v59, v69 :: v_dual_mov_b32 v56, v59
	v_dual_mov_b32 v73, v57 :: v_dual_mov_b32 v57, v58
	s_delay_alu instid0(VALU_DEP_2) | instskip(SKIP_1) | instid1(VALU_DEP_3)
	v_pk_fma_f32 v[70:71], v[58:59], v[18:19], v[70:71] op_sel_hi:[1,1,0] neg_lo:[0,0,1] neg_hi:[0,0,1]
	v_mul_f32_e32 v58, v59, v66
	v_pk_add_f32 v[12:13], v[12:13], v[72:73] neg_lo:[0,1] neg_hi:[0,1]
	s_delay_alu instid0(VALU_DEP_2) | instskip(NEXT) | instid1(VALU_DEP_1)
	v_pk_fma_f32 v[56:57], v[56:57], v[18:19], v[58:59] op_sel_hi:[1,1,0]
	v_mov_b32_e32 v71, v57
	ds_load_2addr_b64 v[56:59], v60 offset0:20 offset1:21
	v_pk_add_f32 v[8:9], v[8:9], v[70:71] neg_lo:[0,1] neg_hi:[0,1]
	s_wait_dscnt 0x0
	v_pk_mul_f32 v[70:71], v[56:57], v[68:69] op_sel:[0,1]
	s_delay_alu instid0(VALU_DEP_1) | instskip(SKIP_1) | instid1(VALU_DEP_1)
	v_pk_fma_f32 v[72:73], v[56:57], v[66:67], v[70:71] op_sel:[0,0,1] op_sel_hi:[1,1,0] neg_lo:[0,0,1] neg_hi:[0,0,1]
	v_pk_fma_f32 v[56:57], v[56:57], v[66:67], v[70:71] op_sel:[0,0,1] op_sel_hi:[1,0,0]
	v_mov_b32_e32 v73, v57
	v_pk_mul_f32 v[56:57], v[58:59], v[68:69] op_sel:[0,1]
	s_delay_alu instid0(VALU_DEP_1) | instskip(SKIP_1) | instid1(VALU_DEP_1)
	v_pk_fma_f32 v[70:71], v[58:59], v[66:67], v[56:57] op_sel:[0,0,1] op_sel_hi:[1,1,0] neg_lo:[0,0,1] neg_hi:[0,0,1]
	v_pk_fma_f32 v[56:57], v[58:59], v[66:67], v[56:57] op_sel:[0,0,1] op_sel_hi:[1,0,0]
	v_mov_b32_e32 v71, v57
	ds_load_2addr_b64 v[56:59], v60 offset0:22 offset1:23
	v_pk_add_f32 v[6:7], v[6:7], v[72:73] neg_lo:[0,1] neg_hi:[0,1]
	v_pk_add_f32 v[28:29], v[28:29], v[70:71] neg_lo:[0,1] neg_hi:[0,1]
	s_wait_dscnt 0x0
	v_pk_mul_f32 v[70:71], v[56:57], v[68:69] op_sel:[0,1]
	s_delay_alu instid0(VALU_DEP_1) | instskip(SKIP_1) | instid1(VALU_DEP_1)
	v_pk_fma_f32 v[72:73], v[56:57], v[66:67], v[70:71] op_sel:[0,0,1] op_sel_hi:[1,1,0] neg_lo:[0,0,1] neg_hi:[0,0,1]
	v_pk_fma_f32 v[56:57], v[56:57], v[66:67], v[70:71] op_sel:[0,0,1] op_sel_hi:[1,0,0]
	v_mov_b32_e32 v73, v57
	v_pk_mul_f32 v[56:57], v[58:59], v[68:69] op_sel:[0,1]
	s_delay_alu instid0(VALU_DEP_1) | instskip(SKIP_1) | instid1(VALU_DEP_1)
	v_pk_fma_f32 v[70:71], v[58:59], v[66:67], v[56:57] op_sel:[0,0,1] op_sel_hi:[1,1,0] neg_lo:[0,0,1] neg_hi:[0,0,1]
	v_pk_fma_f32 v[56:57], v[58:59], v[66:67], v[56:57] op_sel:[0,0,1] op_sel_hi:[1,0,0]
	v_mov_b32_e32 v71, v57
	ds_load_b64 v[56:57], v60 offset:192
	v_pk_add_f32 v[26:27], v[26:27], v[72:73] neg_lo:[0,1] neg_hi:[0,1]
	v_pk_add_f32 v[16:17], v[16:17], v[70:71] neg_lo:[0,1] neg_hi:[0,1]
	s_wait_dscnt 0x0
	v_pk_mul_f32 v[58:59], v[56:57], v[68:69] op_sel:[0,1]
	s_delay_alu instid0(VALU_DEP_1) | instskip(SKIP_1) | instid1(VALU_DEP_1)
	v_pk_fma_f32 v[68:69], v[56:57], v[66:67], v[58:59] op_sel:[0,0,1] op_sel_hi:[1,1,0] neg_lo:[0,0,1] neg_hi:[0,0,1]
	v_pk_fma_f32 v[56:57], v[56:57], v[66:67], v[58:59] op_sel:[0,0,1] op_sel_hi:[1,0,0]
	v_mov_b32_e32 v69, v57
	s_delay_alu instid0(VALU_DEP_1)
	v_pk_add_f32 v[54:55], v[54:55], v[68:69] neg_lo:[0,1] neg_hi:[0,1]
.LBB48_335:
	s_or_b32 exec_lo, exec_lo, s0
	v_lshl_add_u32 v56, v64, 3, v60
	s_barrier_signal -1
	s_barrier_wait -1
	ds_store_b64 v56, v[14:15]
	s_wait_dscnt 0x0
	s_barrier_signal -1
	s_barrier_wait -1
	ds_load_b64 v[56:57], v60 offset:128
	v_mov_b32_e32 v58, 16
	s_cmp_lt_i32 s18, 18
	s_cbranch_scc1 .LBB48_338
; %bb.336:
	v_add3_u32 v59, v61, 0, 0x88
	v_mov_b32_e32 v58, 16
	s_mov_b32 s0, 17
.LBB48_337:                             ; =>This Inner Loop Header: Depth=1
	ds_load_b64 v[66:67], v59
	s_wait_dscnt 0x1
	v_cmp_gt_f32_e32 vcc_lo, 0, v56
	v_cndmask_b32_e64 v68, v56, -v56, vcc_lo
	v_cmp_gt_f32_e32 vcc_lo, 0, v57
	v_cndmask_b32_e64 v70, v57, -v57, vcc_lo
	s_wait_dscnt 0x0
	v_cmp_gt_f32_e32 vcc_lo, 0, v66
	v_cndmask_b32_e64 v69, v66, -v66, vcc_lo
	v_cmp_gt_f32_e32 vcc_lo, 0, v67
	v_cndmask_b32_e64 v71, v67, -v67, vcc_lo
	s_delay_alu instid0(VALU_DEP_1) | instskip(NEXT) | instid1(VALU_DEP_1)
	v_pk_add_f32 v[68:69], v[68:69], v[70:71]
	v_cmp_lt_f32_e32 vcc_lo, v68, v69
	v_dual_cndmask_b32 v56, v56, v66 :: v_dual_add_nc_u32 v59, 8, v59
	v_cndmask_b32_e32 v57, v57, v67, vcc_lo
	v_cndmask_b32_e64 v58, v58, s0, vcc_lo
	s_add_co_i32 s0, s0, 1
	s_delay_alu instid0(SALU_CYCLE_1)
	s_cmp_lg_u32 s18, s0
	s_cbranch_scc1 .LBB48_337
.LBB48_338:
	s_wait_dscnt 0x0
	v_cmp_eq_f32_e32 vcc_lo, 0, v56
	v_cmp_eq_f32_e64 s0, 0, v57
	s_and_b32 s0, vcc_lo, s0
	s_delay_alu instid0(SALU_CYCLE_1) | instskip(NEXT) | instid1(SALU_CYCLE_1)
	s_and_saveexec_b32 s1, s0
	s_xor_b32 s0, exec_lo, s1
; %bb.339:
	v_cmp_ne_u32_e32 vcc_lo, 0, v63
	v_cndmask_b32_e32 v63, 17, v63, vcc_lo
; %bb.340:
	s_and_not1_saveexec_b32 s0, s0
	s_cbranch_execz .LBB48_346
; %bb.341:
	v_cmp_ngt_f32_e64 s1, |v56|, |v57|
	s_and_saveexec_b32 s12, s1
	s_delay_alu instid0(SALU_CYCLE_1)
	s_xor_b32 s1, exec_lo, s12
	s_cbranch_execz .LBB48_343
; %bb.342:
	v_div_scale_f32 v59, null, v57, v57, v56
	v_div_scale_f32 v67, vcc_lo, v56, v57, v56
	s_delay_alu instid0(VALU_DEP_2) | instskip(SKIP_1) | instid1(TRANS32_DEP_1)
	v_rcp_f32_e32 v65, v59
	v_nop
	v_fma_f32 v66, -v59, v65, 1.0
	s_delay_alu instid0(VALU_DEP_1) | instskip(NEXT) | instid1(VALU_DEP_1)
	v_fmac_f32_e32 v65, v66, v65
	v_mul_f32_e32 v66, v67, v65
	s_delay_alu instid0(VALU_DEP_1) | instskip(NEXT) | instid1(VALU_DEP_1)
	v_fma_f32 v68, -v59, v66, v67
	v_fmac_f32_e32 v66, v68, v65
	s_delay_alu instid0(VALU_DEP_1) | instskip(NEXT) | instid1(VALU_DEP_1)
	v_fma_f32 v59, -v59, v66, v67
	v_div_fmas_f32 v59, v59, v65, v66
	s_delay_alu instid0(VALU_DEP_1) | instskip(NEXT) | instid1(VALU_DEP_1)
	v_div_fixup_f32 v59, v59, v57, v56
	v_fmac_f32_e32 v57, v56, v59
	s_delay_alu instid0(VALU_DEP_1) | instskip(SKIP_1) | instid1(VALU_DEP_2)
	v_div_scale_f32 v56, null, v57, v57, 1.0
	v_div_scale_f32 v67, vcc_lo, 1.0, v57, 1.0
	v_rcp_f32_e32 v65, v56
	v_nop
	s_delay_alu instid0(TRANS32_DEP_1) | instskip(NEXT) | instid1(VALU_DEP_1)
	v_fma_f32 v66, -v56, v65, 1.0
	v_fmac_f32_e32 v65, v66, v65
	s_delay_alu instid0(VALU_DEP_1) | instskip(NEXT) | instid1(VALU_DEP_1)
	v_mul_f32_e32 v66, v67, v65
	v_fma_f32 v68, -v56, v66, v67
	s_delay_alu instid0(VALU_DEP_1) | instskip(NEXT) | instid1(VALU_DEP_1)
	v_fmac_f32_e32 v66, v68, v65
	v_fma_f32 v56, -v56, v66, v67
	s_delay_alu instid0(VALU_DEP_1) | instskip(NEXT) | instid1(VALU_DEP_1)
	v_div_fmas_f32 v56, v56, v65, v66
	v_div_fixup_f32 v57, v56, v57, 1.0
	s_delay_alu instid0(VALU_DEP_1)
	v_mul_f32_e32 v56, v59, v57
	v_xor_b32_e32 v57, 0x80000000, v57
.LBB48_343:
	s_and_not1_saveexec_b32 s1, s1
	s_cbranch_execz .LBB48_345
; %bb.344:
	s_delay_alu instid0(VALU_DEP_1) | instskip(SKIP_1) | instid1(VALU_DEP_2)
	v_div_scale_f32 v59, null, v56, v56, v57
	v_div_scale_f32 v67, vcc_lo, v57, v56, v57
	v_rcp_f32_e32 v65, v59
	v_nop
	s_delay_alu instid0(TRANS32_DEP_1) | instskip(NEXT) | instid1(VALU_DEP_1)
	v_fma_f32 v66, -v59, v65, 1.0
	v_fmac_f32_e32 v65, v66, v65
	s_delay_alu instid0(VALU_DEP_1) | instskip(NEXT) | instid1(VALU_DEP_1)
	v_mul_f32_e32 v66, v67, v65
	v_fma_f32 v68, -v59, v66, v67
	s_delay_alu instid0(VALU_DEP_1) | instskip(NEXT) | instid1(VALU_DEP_1)
	v_fmac_f32_e32 v66, v68, v65
	v_fma_f32 v59, -v59, v66, v67
	s_delay_alu instid0(VALU_DEP_1) | instskip(NEXT) | instid1(VALU_DEP_1)
	v_div_fmas_f32 v59, v59, v65, v66
	v_div_fixup_f32 v59, v59, v56, v57
	s_delay_alu instid0(VALU_DEP_1) | instskip(NEXT) | instid1(VALU_DEP_1)
	v_fmac_f32_e32 v56, v57, v59
	v_div_scale_f32 v57, null, v56, v56, 1.0
	s_delay_alu instid0(VALU_DEP_1) | instskip(SKIP_1) | instid1(TRANS32_DEP_1)
	v_rcp_f32_e32 v65, v57
	v_nop
	v_fma_f32 v66, -v57, v65, 1.0
	s_delay_alu instid0(VALU_DEP_1) | instskip(SKIP_1) | instid1(VALU_DEP_1)
	v_fmac_f32_e32 v65, v66, v65
	v_div_scale_f32 v66, vcc_lo, 1.0, v56, 1.0
	v_mul_f32_e32 v67, v66, v65
	s_delay_alu instid0(VALU_DEP_1) | instskip(NEXT) | instid1(VALU_DEP_1)
	v_fma_f32 v68, -v57, v67, v66
	v_fmac_f32_e32 v67, v68, v65
	s_delay_alu instid0(VALU_DEP_1) | instskip(NEXT) | instid1(VALU_DEP_1)
	v_fma_f32 v57, -v57, v67, v66
	v_div_fmas_f32 v57, v57, v65, v67
	s_delay_alu instid0(VALU_DEP_1) | instskip(NEXT) | instid1(VALU_DEP_1)
	v_div_fixup_f32 v56, v57, v56, 1.0
	v_mul_f32_e64 v57, v59, -v56
.LBB48_345:
	s_or_b32 exec_lo, exec_lo, s1
.LBB48_346:
	s_delay_alu instid0(SALU_CYCLE_1) | instskip(NEXT) | instid1(SALU_CYCLE_1)
	s_or_b32 exec_lo, exec_lo, s0
	s_mov_b32 s0, exec_lo
	v_cmpx_ne_u32_e64 v64, v58
	s_xor_b32 s0, exec_lo, s0
	s_cbranch_execz .LBB48_352
; %bb.347:
	s_mov_b32 s1, exec_lo
	v_cmpx_eq_u32_e32 16, v64
	s_cbranch_execz .LBB48_351
; %bb.348:
	v_cmp_ne_u32_e32 vcc_lo, 16, v58
	s_xor_b32 s12, s16, -1
	s_delay_alu instid0(SALU_CYCLE_1) | instskip(NEXT) | instid1(SALU_CYCLE_1)
	s_and_b32 s13, s12, vcc_lo
	s_and_saveexec_b32 s12, s13
	s_cbranch_execz .LBB48_350
; %bb.349:
	v_ashrrev_i32_e32 v59, 31, v58
	s_delay_alu instid0(VALU_DEP_1)
	v_lshl_add_u64 v[64:65], v[58:59], 2, v[4:5]
	s_clause 0x1
	global_load_b32 v59, v[64:65], off
	global_load_b32 v62, v[4:5], off offset:64
	s_wait_loadcnt 0x1
	global_store_b32 v[4:5], v59, off offset:64
	s_wait_loadcnt 0x0
	global_store_b32 v[64:65], v62, off
.LBB48_350:
	s_wait_xcnt 0x0
	s_or_b32 exec_lo, exec_lo, s12
	v_dual_mov_b32 v64, v58 :: v_dual_mov_b32 v62, v58
.LBB48_351:
	s_or_b32 exec_lo, exec_lo, s1
.LBB48_352:
	s_and_not1_saveexec_b32 s0, s0
	s_cbranch_execz .LBB48_354
; %bb.353:
	v_mov_b32_e32 v64, 16
	ds_store_2addr_b64 v60, v[10:11], v[12:13] offset0:17 offset1:18
	ds_store_2addr_b64 v60, v[8:9], v[6:7] offset0:19 offset1:20
	;; [unrolled: 1-line block ×4, first 2 shown]
.LBB48_354:
	s_or_b32 exec_lo, exec_lo, s0
	s_delay_alu instid0(SALU_CYCLE_1)
	s_mov_b32 s0, exec_lo
	s_wait_storecnt_dscnt 0x0
	s_barrier_signal -1
	s_barrier_wait -1
	v_cmpx_lt_i32_e32 16, v64
	s_cbranch_execz .LBB48_356
; %bb.355:
	v_pk_mul_f32 v[58:59], v[56:57], v[14:15] op_sel:[1,1] op_sel_hi:[0,1]
	s_delay_alu instid0(VALU_DEP_1)
	v_pk_fma_f32 v[66:67], v[56:57], v[14:15], v[58:59] op_sel_hi:[1,0,1] neg_lo:[0,0,1] neg_hi:[0,0,1]
	v_pk_fma_f32 v[68:69], v[56:57], v[14:15], v[58:59] op_sel_hi:[1,0,1]
	ds_load_2addr_b64 v[56:59], v60 offset0:17 offset1:18
	v_dual_mov_b32 v14, v66 :: v_dual_mov_b32 v15, v69
	s_wait_dscnt 0x0
	v_pk_mul_f32 v[70:71], v[56:57], v[68:69] op_sel:[0,1]
	s_delay_alu instid0(VALU_DEP_1) | instskip(SKIP_1) | instid1(VALU_DEP_1)
	v_pk_fma_f32 v[72:73], v[56:57], v[66:67], v[70:71] op_sel:[0,0,1] op_sel_hi:[1,1,0] neg_lo:[0,0,1] neg_hi:[0,0,1]
	v_pk_fma_f32 v[56:57], v[56:57], v[66:67], v[70:71] op_sel:[0,0,1] op_sel_hi:[1,0,0]
	v_mov_b32_e32 v73, v57
	v_pk_mul_f32 v[56:57], v[58:59], v[68:69] op_sel:[0,1]
	s_delay_alu instid0(VALU_DEP_1) | instskip(SKIP_1) | instid1(VALU_DEP_1)
	v_pk_fma_f32 v[70:71], v[58:59], v[66:67], v[56:57] op_sel:[0,0,1] op_sel_hi:[1,1,0] neg_lo:[0,0,1] neg_hi:[0,0,1]
	v_pk_fma_f32 v[56:57], v[58:59], v[66:67], v[56:57] op_sel:[0,0,1] op_sel_hi:[1,0,0]
	v_mov_b32_e32 v71, v57
	ds_load_2addr_b64 v[56:59], v60 offset0:19 offset1:20
	v_pk_add_f32 v[10:11], v[10:11], v[72:73] neg_lo:[0,1] neg_hi:[0,1]
	v_pk_add_f32 v[12:13], v[12:13], v[70:71] neg_lo:[0,1] neg_hi:[0,1]
	s_wait_dscnt 0x0
	v_pk_mul_f32 v[70:71], v[56:57], v[68:69] op_sel:[0,1]
	s_delay_alu instid0(VALU_DEP_1) | instskip(SKIP_2) | instid1(VALU_DEP_2)
	v_pk_fma_f32 v[72:73], v[56:57], v[66:67], v[70:71] op_sel:[0,0,1] op_sel_hi:[1,1,0] neg_lo:[0,0,1] neg_hi:[0,0,1]
	v_pk_fma_f32 v[56:57], v[56:57], v[66:67], v[70:71] op_sel:[0,0,1] op_sel_hi:[1,0,0]
	v_dual_mul_f32 v70, v59, v69 :: v_dual_mov_b32 v56, v59
	v_dual_mov_b32 v73, v57 :: v_dual_mov_b32 v57, v58
	s_delay_alu instid0(VALU_DEP_2) | instskip(SKIP_1) | instid1(VALU_DEP_3)
	v_pk_fma_f32 v[70:71], v[58:59], v[14:15], v[70:71] op_sel_hi:[1,1,0] neg_lo:[0,0,1] neg_hi:[0,0,1]
	v_mul_f32_e32 v58, v59, v66
	v_pk_add_f32 v[8:9], v[8:9], v[72:73] neg_lo:[0,1] neg_hi:[0,1]
	s_delay_alu instid0(VALU_DEP_2) | instskip(NEXT) | instid1(VALU_DEP_1)
	v_pk_fma_f32 v[56:57], v[56:57], v[14:15], v[58:59] op_sel_hi:[1,1,0]
	v_mov_b32_e32 v71, v57
	ds_load_2addr_b64 v[56:59], v60 offset0:21 offset1:22
	v_pk_add_f32 v[6:7], v[6:7], v[70:71] neg_lo:[0,1] neg_hi:[0,1]
	s_wait_dscnt 0x0
	v_pk_mul_f32 v[70:71], v[56:57], v[68:69] op_sel:[0,1]
	s_delay_alu instid0(VALU_DEP_1) | instskip(SKIP_1) | instid1(VALU_DEP_1)
	v_pk_fma_f32 v[72:73], v[56:57], v[66:67], v[70:71] op_sel:[0,0,1] op_sel_hi:[1,1,0] neg_lo:[0,0,1] neg_hi:[0,0,1]
	v_pk_fma_f32 v[56:57], v[56:57], v[66:67], v[70:71] op_sel:[0,0,1] op_sel_hi:[1,0,0]
	v_mov_b32_e32 v73, v57
	v_pk_mul_f32 v[56:57], v[58:59], v[68:69] op_sel:[0,1]
	s_delay_alu instid0(VALU_DEP_1) | instskip(SKIP_1) | instid1(VALU_DEP_1)
	v_pk_fma_f32 v[70:71], v[58:59], v[66:67], v[56:57] op_sel:[0,0,1] op_sel_hi:[1,1,0] neg_lo:[0,0,1] neg_hi:[0,0,1]
	v_pk_fma_f32 v[56:57], v[58:59], v[66:67], v[56:57] op_sel:[0,0,1] op_sel_hi:[1,0,0]
	v_mov_b32_e32 v71, v57
	ds_load_2addr_b64 v[56:59], v60 offset0:23 offset1:24
	v_pk_add_f32 v[28:29], v[28:29], v[72:73] neg_lo:[0,1] neg_hi:[0,1]
	v_pk_add_f32 v[26:27], v[26:27], v[70:71] neg_lo:[0,1] neg_hi:[0,1]
	s_wait_dscnt 0x0
	v_pk_mul_f32 v[70:71], v[56:57], v[68:69] op_sel:[0,1]
	s_delay_alu instid0(VALU_DEP_1) | instskip(SKIP_1) | instid1(VALU_DEP_1)
	v_pk_fma_f32 v[72:73], v[56:57], v[66:67], v[70:71] op_sel:[0,0,1] op_sel_hi:[1,1,0] neg_lo:[0,0,1] neg_hi:[0,0,1]
	v_pk_fma_f32 v[56:57], v[56:57], v[66:67], v[70:71] op_sel:[0,0,1] op_sel_hi:[1,0,0]
	v_mov_b32_e32 v73, v57
	v_pk_mul_f32 v[56:57], v[58:59], v[68:69] op_sel:[0,1]
	s_delay_alu instid0(VALU_DEP_1) | instskip(SKIP_1) | instid1(VALU_DEP_1)
	v_pk_fma_f32 v[68:69], v[58:59], v[66:67], v[56:57] op_sel:[0,0,1] op_sel_hi:[1,1,0] neg_lo:[0,0,1] neg_hi:[0,0,1]
	v_pk_fma_f32 v[56:57], v[58:59], v[66:67], v[56:57] op_sel:[0,0,1] op_sel_hi:[1,0,0]
	v_mov_b32_e32 v69, v57
	v_pk_add_f32 v[16:17], v[16:17], v[72:73] neg_lo:[0,1] neg_hi:[0,1]
	s_delay_alu instid0(VALU_DEP_2)
	v_pk_add_f32 v[54:55], v[54:55], v[68:69] neg_lo:[0,1] neg_hi:[0,1]
.LBB48_356:
	s_or_b32 exec_lo, exec_lo, s0
	v_lshl_add_u32 v56, v64, 3, v60
	s_barrier_signal -1
	s_barrier_wait -1
	ds_store_b64 v56, v[10:11]
	s_wait_dscnt 0x0
	s_barrier_signal -1
	s_barrier_wait -1
	ds_load_b64 v[56:57], v60 offset:136
	v_mov_b32_e32 v58, 17
	s_cmp_lt_i32 s18, 19
	s_cbranch_scc1 .LBB48_359
; %bb.357:
	v_add3_u32 v59, v61, 0, 0x90
	v_mov_b32_e32 v58, 17
	s_mov_b32 s0, 18
.LBB48_358:                             ; =>This Inner Loop Header: Depth=1
	ds_load_b64 v[66:67], v59
	s_wait_dscnt 0x1
	v_cmp_gt_f32_e32 vcc_lo, 0, v56
	v_cndmask_b32_e64 v68, v56, -v56, vcc_lo
	v_cmp_gt_f32_e32 vcc_lo, 0, v57
	v_cndmask_b32_e64 v70, v57, -v57, vcc_lo
	s_wait_dscnt 0x0
	v_cmp_gt_f32_e32 vcc_lo, 0, v66
	v_cndmask_b32_e64 v69, v66, -v66, vcc_lo
	v_cmp_gt_f32_e32 vcc_lo, 0, v67
	v_cndmask_b32_e64 v71, v67, -v67, vcc_lo
	s_delay_alu instid0(VALU_DEP_1) | instskip(NEXT) | instid1(VALU_DEP_1)
	v_pk_add_f32 v[68:69], v[68:69], v[70:71]
	v_cmp_lt_f32_e32 vcc_lo, v68, v69
	v_dual_cndmask_b32 v56, v56, v66 :: v_dual_add_nc_u32 v59, 8, v59
	v_cndmask_b32_e32 v57, v57, v67, vcc_lo
	v_cndmask_b32_e64 v58, v58, s0, vcc_lo
	s_add_co_i32 s0, s0, 1
	s_delay_alu instid0(SALU_CYCLE_1)
	s_cmp_lg_u32 s18, s0
	s_cbranch_scc1 .LBB48_358
.LBB48_359:
	s_wait_dscnt 0x0
	v_cmp_eq_f32_e32 vcc_lo, 0, v56
	v_cmp_eq_f32_e64 s0, 0, v57
	s_and_b32 s0, vcc_lo, s0
	s_delay_alu instid0(SALU_CYCLE_1) | instskip(NEXT) | instid1(SALU_CYCLE_1)
	s_and_saveexec_b32 s1, s0
	s_xor_b32 s0, exec_lo, s1
; %bb.360:
	v_cmp_ne_u32_e32 vcc_lo, 0, v63
	v_cndmask_b32_e32 v63, 18, v63, vcc_lo
; %bb.361:
	s_and_not1_saveexec_b32 s0, s0
	s_cbranch_execz .LBB48_367
; %bb.362:
	v_cmp_ngt_f32_e64 s1, |v56|, |v57|
	s_and_saveexec_b32 s12, s1
	s_delay_alu instid0(SALU_CYCLE_1)
	s_xor_b32 s1, exec_lo, s12
	s_cbranch_execz .LBB48_364
; %bb.363:
	v_div_scale_f32 v59, null, v57, v57, v56
	v_div_scale_f32 v67, vcc_lo, v56, v57, v56
	s_delay_alu instid0(VALU_DEP_2) | instskip(SKIP_1) | instid1(TRANS32_DEP_1)
	v_rcp_f32_e32 v65, v59
	v_nop
	v_fma_f32 v66, -v59, v65, 1.0
	s_delay_alu instid0(VALU_DEP_1) | instskip(NEXT) | instid1(VALU_DEP_1)
	v_fmac_f32_e32 v65, v66, v65
	v_mul_f32_e32 v66, v67, v65
	s_delay_alu instid0(VALU_DEP_1) | instskip(NEXT) | instid1(VALU_DEP_1)
	v_fma_f32 v68, -v59, v66, v67
	v_fmac_f32_e32 v66, v68, v65
	s_delay_alu instid0(VALU_DEP_1) | instskip(NEXT) | instid1(VALU_DEP_1)
	v_fma_f32 v59, -v59, v66, v67
	v_div_fmas_f32 v59, v59, v65, v66
	s_delay_alu instid0(VALU_DEP_1) | instskip(NEXT) | instid1(VALU_DEP_1)
	v_div_fixup_f32 v59, v59, v57, v56
	v_fmac_f32_e32 v57, v56, v59
	s_delay_alu instid0(VALU_DEP_1) | instskip(SKIP_1) | instid1(VALU_DEP_2)
	v_div_scale_f32 v56, null, v57, v57, 1.0
	v_div_scale_f32 v67, vcc_lo, 1.0, v57, 1.0
	v_rcp_f32_e32 v65, v56
	v_nop
	s_delay_alu instid0(TRANS32_DEP_1) | instskip(NEXT) | instid1(VALU_DEP_1)
	v_fma_f32 v66, -v56, v65, 1.0
	v_fmac_f32_e32 v65, v66, v65
	s_delay_alu instid0(VALU_DEP_1) | instskip(NEXT) | instid1(VALU_DEP_1)
	v_mul_f32_e32 v66, v67, v65
	v_fma_f32 v68, -v56, v66, v67
	s_delay_alu instid0(VALU_DEP_1) | instskip(NEXT) | instid1(VALU_DEP_1)
	v_fmac_f32_e32 v66, v68, v65
	v_fma_f32 v56, -v56, v66, v67
	s_delay_alu instid0(VALU_DEP_1) | instskip(NEXT) | instid1(VALU_DEP_1)
	v_div_fmas_f32 v56, v56, v65, v66
	v_div_fixup_f32 v57, v56, v57, 1.0
	s_delay_alu instid0(VALU_DEP_1)
	v_mul_f32_e32 v56, v59, v57
	v_xor_b32_e32 v57, 0x80000000, v57
.LBB48_364:
	s_and_not1_saveexec_b32 s1, s1
	s_cbranch_execz .LBB48_366
; %bb.365:
	s_delay_alu instid0(VALU_DEP_1) | instskip(SKIP_1) | instid1(VALU_DEP_2)
	v_div_scale_f32 v59, null, v56, v56, v57
	v_div_scale_f32 v67, vcc_lo, v57, v56, v57
	v_rcp_f32_e32 v65, v59
	v_nop
	s_delay_alu instid0(TRANS32_DEP_1) | instskip(NEXT) | instid1(VALU_DEP_1)
	v_fma_f32 v66, -v59, v65, 1.0
	v_fmac_f32_e32 v65, v66, v65
	s_delay_alu instid0(VALU_DEP_1) | instskip(NEXT) | instid1(VALU_DEP_1)
	v_mul_f32_e32 v66, v67, v65
	v_fma_f32 v68, -v59, v66, v67
	s_delay_alu instid0(VALU_DEP_1) | instskip(NEXT) | instid1(VALU_DEP_1)
	v_fmac_f32_e32 v66, v68, v65
	v_fma_f32 v59, -v59, v66, v67
	s_delay_alu instid0(VALU_DEP_1) | instskip(NEXT) | instid1(VALU_DEP_1)
	v_div_fmas_f32 v59, v59, v65, v66
	v_div_fixup_f32 v59, v59, v56, v57
	s_delay_alu instid0(VALU_DEP_1) | instskip(NEXT) | instid1(VALU_DEP_1)
	v_fmac_f32_e32 v56, v57, v59
	v_div_scale_f32 v57, null, v56, v56, 1.0
	s_delay_alu instid0(VALU_DEP_1) | instskip(SKIP_1) | instid1(TRANS32_DEP_1)
	v_rcp_f32_e32 v65, v57
	v_nop
	v_fma_f32 v66, -v57, v65, 1.0
	s_delay_alu instid0(VALU_DEP_1) | instskip(SKIP_1) | instid1(VALU_DEP_1)
	v_fmac_f32_e32 v65, v66, v65
	v_div_scale_f32 v66, vcc_lo, 1.0, v56, 1.0
	v_mul_f32_e32 v67, v66, v65
	s_delay_alu instid0(VALU_DEP_1) | instskip(NEXT) | instid1(VALU_DEP_1)
	v_fma_f32 v68, -v57, v67, v66
	v_fmac_f32_e32 v67, v68, v65
	s_delay_alu instid0(VALU_DEP_1) | instskip(NEXT) | instid1(VALU_DEP_1)
	v_fma_f32 v57, -v57, v67, v66
	v_div_fmas_f32 v57, v57, v65, v67
	s_delay_alu instid0(VALU_DEP_1) | instskip(NEXT) | instid1(VALU_DEP_1)
	v_div_fixup_f32 v56, v57, v56, 1.0
	v_mul_f32_e64 v57, v59, -v56
.LBB48_366:
	s_or_b32 exec_lo, exec_lo, s1
.LBB48_367:
	s_delay_alu instid0(SALU_CYCLE_1) | instskip(NEXT) | instid1(SALU_CYCLE_1)
	s_or_b32 exec_lo, exec_lo, s0
	s_mov_b32 s0, exec_lo
	v_cmpx_ne_u32_e64 v64, v58
	s_xor_b32 s0, exec_lo, s0
	s_cbranch_execz .LBB48_373
; %bb.368:
	s_mov_b32 s1, exec_lo
	v_cmpx_eq_u32_e32 17, v64
	s_cbranch_execz .LBB48_372
; %bb.369:
	v_cmp_ne_u32_e32 vcc_lo, 17, v58
	s_xor_b32 s12, s16, -1
	s_delay_alu instid0(SALU_CYCLE_1) | instskip(NEXT) | instid1(SALU_CYCLE_1)
	s_and_b32 s13, s12, vcc_lo
	s_and_saveexec_b32 s12, s13
	s_cbranch_execz .LBB48_371
; %bb.370:
	v_ashrrev_i32_e32 v59, 31, v58
	s_delay_alu instid0(VALU_DEP_1)
	v_lshl_add_u64 v[64:65], v[58:59], 2, v[4:5]
	s_clause 0x1
	global_load_b32 v59, v[64:65], off
	global_load_b32 v62, v[4:5], off offset:68
	s_wait_loadcnt 0x1
	global_store_b32 v[4:5], v59, off offset:68
	s_wait_loadcnt 0x0
	global_store_b32 v[64:65], v62, off
.LBB48_371:
	s_wait_xcnt 0x0
	s_or_b32 exec_lo, exec_lo, s12
	v_dual_mov_b32 v64, v58 :: v_dual_mov_b32 v62, v58
.LBB48_372:
	s_or_b32 exec_lo, exec_lo, s1
.LBB48_373:
	s_and_not1_saveexec_b32 s0, s0
	s_cbranch_execz .LBB48_375
; %bb.374:
	v_dual_mov_b32 v58, v12 :: v_dual_mov_b32 v59, v13
	v_dual_mov_b32 v66, v8 :: v_dual_mov_b32 v67, v9
	;; [unrolled: 1-line block ×6, first 2 shown]
	v_mov_b32_e32 v75, v17
	ds_store_2addr_b64 v60, v[58:59], v[66:67] offset0:18 offset1:19
	ds_store_2addr_b64 v60, v[68:69], v[70:71] offset0:20 offset1:21
	ds_store_2addr_b64 v60, v[72:73], v[74:75] offset0:22 offset1:23
	ds_store_b64 v60, v[54:55] offset:192
.LBB48_375:
	s_or_b32 exec_lo, exec_lo, s0
	s_delay_alu instid0(SALU_CYCLE_1)
	s_mov_b32 s0, exec_lo
	s_wait_storecnt_dscnt 0x0
	s_barrier_signal -1
	s_barrier_wait -1
	v_cmpx_lt_i32_e32 17, v64
	s_cbranch_execz .LBB48_377
; %bb.376:
	v_pk_mul_f32 v[58:59], v[56:57], v[10:11] op_sel:[1,1] op_sel_hi:[0,1]
	s_delay_alu instid0(VALU_DEP_1)
	v_pk_fma_f32 v[66:67], v[56:57], v[10:11], v[58:59] op_sel_hi:[1,0,1] neg_lo:[0,0,1] neg_hi:[0,0,1]
	v_pk_fma_f32 v[68:69], v[56:57], v[10:11], v[58:59] op_sel_hi:[1,0,1]
	ds_load_2addr_b64 v[56:59], v60 offset0:18 offset1:19
	v_dual_mov_b32 v10, v66 :: v_dual_mov_b32 v11, v69
	s_wait_dscnt 0x0
	v_pk_mul_f32 v[70:71], v[56:57], v[68:69] op_sel:[0,1]
	s_delay_alu instid0(VALU_DEP_1) | instskip(SKIP_1) | instid1(VALU_DEP_1)
	v_pk_fma_f32 v[72:73], v[56:57], v[66:67], v[70:71] op_sel:[0,0,1] op_sel_hi:[1,1,0] neg_lo:[0,0,1] neg_hi:[0,0,1]
	v_pk_fma_f32 v[56:57], v[56:57], v[66:67], v[70:71] op_sel:[0,0,1] op_sel_hi:[1,0,0]
	v_mov_b32_e32 v73, v57
	v_pk_mul_f32 v[56:57], v[58:59], v[68:69] op_sel:[0,1]
	s_delay_alu instid0(VALU_DEP_1) | instskip(SKIP_1) | instid1(VALU_DEP_1)
	v_pk_fma_f32 v[70:71], v[58:59], v[66:67], v[56:57] op_sel:[0,0,1] op_sel_hi:[1,1,0] neg_lo:[0,0,1] neg_hi:[0,0,1]
	v_pk_fma_f32 v[56:57], v[58:59], v[66:67], v[56:57] op_sel:[0,0,1] op_sel_hi:[1,0,0]
	v_mov_b32_e32 v71, v57
	ds_load_2addr_b64 v[56:59], v60 offset0:20 offset1:21
	v_pk_add_f32 v[12:13], v[12:13], v[72:73] neg_lo:[0,1] neg_hi:[0,1]
	v_pk_add_f32 v[8:9], v[8:9], v[70:71] neg_lo:[0,1] neg_hi:[0,1]
	s_wait_dscnt 0x0
	v_pk_mul_f32 v[70:71], v[56:57], v[68:69] op_sel:[0,1]
	s_delay_alu instid0(VALU_DEP_1) | instskip(SKIP_2) | instid1(VALU_DEP_2)
	v_pk_fma_f32 v[72:73], v[56:57], v[66:67], v[70:71] op_sel:[0,0,1] op_sel_hi:[1,1,0] neg_lo:[0,0,1] neg_hi:[0,0,1]
	v_pk_fma_f32 v[56:57], v[56:57], v[66:67], v[70:71] op_sel:[0,0,1] op_sel_hi:[1,0,0]
	v_dual_mul_f32 v70, v59, v69 :: v_dual_mov_b32 v56, v59
	v_dual_mov_b32 v73, v57 :: v_dual_mov_b32 v57, v58
	s_delay_alu instid0(VALU_DEP_2) | instskip(SKIP_1) | instid1(VALU_DEP_3)
	v_pk_fma_f32 v[70:71], v[58:59], v[10:11], v[70:71] op_sel_hi:[1,1,0] neg_lo:[0,0,1] neg_hi:[0,0,1]
	v_mul_f32_e32 v58, v59, v66
	v_pk_add_f32 v[6:7], v[6:7], v[72:73] neg_lo:[0,1] neg_hi:[0,1]
	s_delay_alu instid0(VALU_DEP_2) | instskip(NEXT) | instid1(VALU_DEP_1)
	v_pk_fma_f32 v[56:57], v[56:57], v[10:11], v[58:59] op_sel_hi:[1,1,0]
	v_mov_b32_e32 v71, v57
	ds_load_2addr_b64 v[56:59], v60 offset0:22 offset1:23
	v_pk_add_f32 v[28:29], v[28:29], v[70:71] neg_lo:[0,1] neg_hi:[0,1]
	s_wait_dscnt 0x0
	v_pk_mul_f32 v[70:71], v[56:57], v[68:69] op_sel:[0,1]
	s_delay_alu instid0(VALU_DEP_1) | instskip(SKIP_1) | instid1(VALU_DEP_1)
	v_pk_fma_f32 v[72:73], v[56:57], v[66:67], v[70:71] op_sel:[0,0,1] op_sel_hi:[1,1,0] neg_lo:[0,0,1] neg_hi:[0,0,1]
	v_pk_fma_f32 v[56:57], v[56:57], v[66:67], v[70:71] op_sel:[0,0,1] op_sel_hi:[1,0,0]
	v_mov_b32_e32 v73, v57
	v_pk_mul_f32 v[56:57], v[58:59], v[68:69] op_sel:[0,1]
	s_delay_alu instid0(VALU_DEP_1) | instskip(SKIP_1) | instid1(VALU_DEP_1)
	v_pk_fma_f32 v[70:71], v[58:59], v[66:67], v[56:57] op_sel:[0,0,1] op_sel_hi:[1,1,0] neg_lo:[0,0,1] neg_hi:[0,0,1]
	v_pk_fma_f32 v[56:57], v[58:59], v[66:67], v[56:57] op_sel:[0,0,1] op_sel_hi:[1,0,0]
	v_mov_b32_e32 v71, v57
	ds_load_b64 v[56:57], v60 offset:192
	v_pk_add_f32 v[26:27], v[26:27], v[72:73] neg_lo:[0,1] neg_hi:[0,1]
	v_pk_add_f32 v[16:17], v[16:17], v[70:71] neg_lo:[0,1] neg_hi:[0,1]
	s_wait_dscnt 0x0
	v_pk_mul_f32 v[58:59], v[56:57], v[68:69] op_sel:[0,1]
	s_delay_alu instid0(VALU_DEP_1) | instskip(SKIP_1) | instid1(VALU_DEP_1)
	v_pk_fma_f32 v[68:69], v[56:57], v[66:67], v[58:59] op_sel:[0,0,1] op_sel_hi:[1,1,0] neg_lo:[0,0,1] neg_hi:[0,0,1]
	v_pk_fma_f32 v[56:57], v[56:57], v[66:67], v[58:59] op_sel:[0,0,1] op_sel_hi:[1,0,0]
	v_mov_b32_e32 v69, v57
	s_delay_alu instid0(VALU_DEP_1)
	v_pk_add_f32 v[54:55], v[54:55], v[68:69] neg_lo:[0,1] neg_hi:[0,1]
.LBB48_377:
	s_or_b32 exec_lo, exec_lo, s0
	v_lshl_add_u32 v56, v64, 3, v60
	s_barrier_signal -1
	s_barrier_wait -1
	ds_store_b64 v56, v[12:13]
	s_wait_dscnt 0x0
	s_barrier_signal -1
	s_barrier_wait -1
	ds_load_b64 v[56:57], v60 offset:144
	v_mov_b32_e32 v58, 18
	s_cmp_lt_i32 s18, 20
	s_cbranch_scc1 .LBB48_380
; %bb.378:
	v_add3_u32 v59, v61, 0, 0x98
	v_mov_b32_e32 v58, 18
	s_mov_b32 s0, 19
.LBB48_379:                             ; =>This Inner Loop Header: Depth=1
	ds_load_b64 v[66:67], v59
	s_wait_dscnt 0x1
	v_cmp_gt_f32_e32 vcc_lo, 0, v56
	v_cndmask_b32_e64 v68, v56, -v56, vcc_lo
	v_cmp_gt_f32_e32 vcc_lo, 0, v57
	v_cndmask_b32_e64 v70, v57, -v57, vcc_lo
	s_wait_dscnt 0x0
	v_cmp_gt_f32_e32 vcc_lo, 0, v66
	v_cndmask_b32_e64 v69, v66, -v66, vcc_lo
	v_cmp_gt_f32_e32 vcc_lo, 0, v67
	v_cndmask_b32_e64 v71, v67, -v67, vcc_lo
	s_delay_alu instid0(VALU_DEP_1) | instskip(NEXT) | instid1(VALU_DEP_1)
	v_pk_add_f32 v[68:69], v[68:69], v[70:71]
	v_cmp_lt_f32_e32 vcc_lo, v68, v69
	v_dual_cndmask_b32 v56, v56, v66 :: v_dual_add_nc_u32 v59, 8, v59
	v_cndmask_b32_e32 v57, v57, v67, vcc_lo
	v_cndmask_b32_e64 v58, v58, s0, vcc_lo
	s_add_co_i32 s0, s0, 1
	s_delay_alu instid0(SALU_CYCLE_1)
	s_cmp_lg_u32 s18, s0
	s_cbranch_scc1 .LBB48_379
.LBB48_380:
	s_wait_dscnt 0x0
	v_cmp_eq_f32_e32 vcc_lo, 0, v56
	v_cmp_eq_f32_e64 s0, 0, v57
	s_and_b32 s0, vcc_lo, s0
	s_delay_alu instid0(SALU_CYCLE_1) | instskip(NEXT) | instid1(SALU_CYCLE_1)
	s_and_saveexec_b32 s1, s0
	s_xor_b32 s0, exec_lo, s1
; %bb.381:
	v_cmp_ne_u32_e32 vcc_lo, 0, v63
	v_cndmask_b32_e32 v63, 19, v63, vcc_lo
; %bb.382:
	s_and_not1_saveexec_b32 s0, s0
	s_cbranch_execz .LBB48_388
; %bb.383:
	v_cmp_ngt_f32_e64 s1, |v56|, |v57|
	s_and_saveexec_b32 s12, s1
	s_delay_alu instid0(SALU_CYCLE_1)
	s_xor_b32 s1, exec_lo, s12
	s_cbranch_execz .LBB48_385
; %bb.384:
	v_div_scale_f32 v59, null, v57, v57, v56
	v_div_scale_f32 v67, vcc_lo, v56, v57, v56
	s_delay_alu instid0(VALU_DEP_2) | instskip(SKIP_1) | instid1(TRANS32_DEP_1)
	v_rcp_f32_e32 v65, v59
	v_nop
	v_fma_f32 v66, -v59, v65, 1.0
	s_delay_alu instid0(VALU_DEP_1) | instskip(NEXT) | instid1(VALU_DEP_1)
	v_fmac_f32_e32 v65, v66, v65
	v_mul_f32_e32 v66, v67, v65
	s_delay_alu instid0(VALU_DEP_1) | instskip(NEXT) | instid1(VALU_DEP_1)
	v_fma_f32 v68, -v59, v66, v67
	v_fmac_f32_e32 v66, v68, v65
	s_delay_alu instid0(VALU_DEP_1) | instskip(NEXT) | instid1(VALU_DEP_1)
	v_fma_f32 v59, -v59, v66, v67
	v_div_fmas_f32 v59, v59, v65, v66
	s_delay_alu instid0(VALU_DEP_1) | instskip(NEXT) | instid1(VALU_DEP_1)
	v_div_fixup_f32 v59, v59, v57, v56
	v_fmac_f32_e32 v57, v56, v59
	s_delay_alu instid0(VALU_DEP_1) | instskip(SKIP_1) | instid1(VALU_DEP_2)
	v_div_scale_f32 v56, null, v57, v57, 1.0
	v_div_scale_f32 v67, vcc_lo, 1.0, v57, 1.0
	v_rcp_f32_e32 v65, v56
	v_nop
	s_delay_alu instid0(TRANS32_DEP_1) | instskip(NEXT) | instid1(VALU_DEP_1)
	v_fma_f32 v66, -v56, v65, 1.0
	v_fmac_f32_e32 v65, v66, v65
	s_delay_alu instid0(VALU_DEP_1) | instskip(NEXT) | instid1(VALU_DEP_1)
	v_mul_f32_e32 v66, v67, v65
	v_fma_f32 v68, -v56, v66, v67
	s_delay_alu instid0(VALU_DEP_1) | instskip(NEXT) | instid1(VALU_DEP_1)
	v_fmac_f32_e32 v66, v68, v65
	v_fma_f32 v56, -v56, v66, v67
	s_delay_alu instid0(VALU_DEP_1) | instskip(NEXT) | instid1(VALU_DEP_1)
	v_div_fmas_f32 v56, v56, v65, v66
	v_div_fixup_f32 v57, v56, v57, 1.0
	s_delay_alu instid0(VALU_DEP_1)
	v_mul_f32_e32 v56, v59, v57
	v_xor_b32_e32 v57, 0x80000000, v57
.LBB48_385:
	s_and_not1_saveexec_b32 s1, s1
	s_cbranch_execz .LBB48_387
; %bb.386:
	s_delay_alu instid0(VALU_DEP_1) | instskip(SKIP_1) | instid1(VALU_DEP_2)
	v_div_scale_f32 v59, null, v56, v56, v57
	v_div_scale_f32 v67, vcc_lo, v57, v56, v57
	v_rcp_f32_e32 v65, v59
	v_nop
	s_delay_alu instid0(TRANS32_DEP_1) | instskip(NEXT) | instid1(VALU_DEP_1)
	v_fma_f32 v66, -v59, v65, 1.0
	v_fmac_f32_e32 v65, v66, v65
	s_delay_alu instid0(VALU_DEP_1) | instskip(NEXT) | instid1(VALU_DEP_1)
	v_mul_f32_e32 v66, v67, v65
	v_fma_f32 v68, -v59, v66, v67
	s_delay_alu instid0(VALU_DEP_1) | instskip(NEXT) | instid1(VALU_DEP_1)
	v_fmac_f32_e32 v66, v68, v65
	v_fma_f32 v59, -v59, v66, v67
	s_delay_alu instid0(VALU_DEP_1) | instskip(NEXT) | instid1(VALU_DEP_1)
	v_div_fmas_f32 v59, v59, v65, v66
	v_div_fixup_f32 v59, v59, v56, v57
	s_delay_alu instid0(VALU_DEP_1) | instskip(NEXT) | instid1(VALU_DEP_1)
	v_fmac_f32_e32 v56, v57, v59
	v_div_scale_f32 v57, null, v56, v56, 1.0
	s_delay_alu instid0(VALU_DEP_1) | instskip(SKIP_1) | instid1(TRANS32_DEP_1)
	v_rcp_f32_e32 v65, v57
	v_nop
	v_fma_f32 v66, -v57, v65, 1.0
	s_delay_alu instid0(VALU_DEP_1) | instskip(SKIP_1) | instid1(VALU_DEP_1)
	v_fmac_f32_e32 v65, v66, v65
	v_div_scale_f32 v66, vcc_lo, 1.0, v56, 1.0
	v_mul_f32_e32 v67, v66, v65
	s_delay_alu instid0(VALU_DEP_1) | instskip(NEXT) | instid1(VALU_DEP_1)
	v_fma_f32 v68, -v57, v67, v66
	v_fmac_f32_e32 v67, v68, v65
	s_delay_alu instid0(VALU_DEP_1) | instskip(NEXT) | instid1(VALU_DEP_1)
	v_fma_f32 v57, -v57, v67, v66
	v_div_fmas_f32 v57, v57, v65, v67
	s_delay_alu instid0(VALU_DEP_1) | instskip(NEXT) | instid1(VALU_DEP_1)
	v_div_fixup_f32 v56, v57, v56, 1.0
	v_mul_f32_e64 v57, v59, -v56
.LBB48_387:
	s_or_b32 exec_lo, exec_lo, s1
.LBB48_388:
	s_delay_alu instid0(SALU_CYCLE_1) | instskip(NEXT) | instid1(SALU_CYCLE_1)
	s_or_b32 exec_lo, exec_lo, s0
	s_mov_b32 s0, exec_lo
	v_cmpx_ne_u32_e64 v64, v58
	s_xor_b32 s0, exec_lo, s0
	s_cbranch_execz .LBB48_394
; %bb.389:
	s_mov_b32 s1, exec_lo
	v_cmpx_eq_u32_e32 18, v64
	s_cbranch_execz .LBB48_393
; %bb.390:
	v_cmp_ne_u32_e32 vcc_lo, 18, v58
	s_xor_b32 s12, s16, -1
	s_delay_alu instid0(SALU_CYCLE_1) | instskip(NEXT) | instid1(SALU_CYCLE_1)
	s_and_b32 s13, s12, vcc_lo
	s_and_saveexec_b32 s12, s13
	s_cbranch_execz .LBB48_392
; %bb.391:
	v_ashrrev_i32_e32 v59, 31, v58
	s_delay_alu instid0(VALU_DEP_1)
	v_lshl_add_u64 v[64:65], v[58:59], 2, v[4:5]
	s_clause 0x1
	global_load_b32 v59, v[64:65], off
	global_load_b32 v62, v[4:5], off offset:72
	s_wait_loadcnt 0x1
	global_store_b32 v[4:5], v59, off offset:72
	s_wait_loadcnt 0x0
	global_store_b32 v[64:65], v62, off
.LBB48_392:
	s_wait_xcnt 0x0
	s_or_b32 exec_lo, exec_lo, s12
	v_dual_mov_b32 v64, v58 :: v_dual_mov_b32 v62, v58
.LBB48_393:
	s_or_b32 exec_lo, exec_lo, s1
.LBB48_394:
	s_and_not1_saveexec_b32 s0, s0
	s_cbranch_execz .LBB48_396
; %bb.395:
	v_mov_b32_e32 v64, 18
	ds_store_2addr_b64 v60, v[8:9], v[6:7] offset0:19 offset1:20
	ds_store_2addr_b64 v60, v[28:29], v[26:27] offset0:21 offset1:22
	;; [unrolled: 1-line block ×3, first 2 shown]
.LBB48_396:
	s_or_b32 exec_lo, exec_lo, s0
	s_delay_alu instid0(SALU_CYCLE_1)
	s_mov_b32 s0, exec_lo
	s_wait_storecnt_dscnt 0x0
	s_barrier_signal -1
	s_barrier_wait -1
	v_cmpx_lt_i32_e32 18, v64
	s_cbranch_execz .LBB48_398
; %bb.397:
	v_pk_mul_f32 v[58:59], v[56:57], v[12:13] op_sel:[1,1] op_sel_hi:[0,1]
	s_delay_alu instid0(VALU_DEP_1)
	v_pk_fma_f32 v[66:67], v[56:57], v[12:13], v[58:59] op_sel_hi:[1,0,1] neg_lo:[0,0,1] neg_hi:[0,0,1]
	v_pk_fma_f32 v[68:69], v[56:57], v[12:13], v[58:59] op_sel_hi:[1,0,1]
	ds_load_2addr_b64 v[56:59], v60 offset0:19 offset1:20
	v_dual_mov_b32 v12, v66 :: v_dual_mov_b32 v13, v69
	s_wait_dscnt 0x0
	v_pk_mul_f32 v[70:71], v[56:57], v[68:69] op_sel:[0,1]
	s_delay_alu instid0(VALU_DEP_1) | instskip(SKIP_1) | instid1(VALU_DEP_1)
	v_pk_fma_f32 v[72:73], v[56:57], v[66:67], v[70:71] op_sel:[0,0,1] op_sel_hi:[1,1,0] neg_lo:[0,0,1] neg_hi:[0,0,1]
	v_pk_fma_f32 v[56:57], v[56:57], v[66:67], v[70:71] op_sel:[0,0,1] op_sel_hi:[1,0,0]
	v_mov_b32_e32 v73, v57
	v_pk_mul_f32 v[56:57], v[58:59], v[68:69] op_sel:[0,1]
	s_delay_alu instid0(VALU_DEP_1) | instskip(SKIP_1) | instid1(VALU_DEP_1)
	v_pk_fma_f32 v[70:71], v[58:59], v[66:67], v[56:57] op_sel:[0,0,1] op_sel_hi:[1,1,0] neg_lo:[0,0,1] neg_hi:[0,0,1]
	v_pk_fma_f32 v[56:57], v[58:59], v[66:67], v[56:57] op_sel:[0,0,1] op_sel_hi:[1,0,0]
	v_mov_b32_e32 v71, v57
	ds_load_2addr_b64 v[56:59], v60 offset0:21 offset1:22
	v_pk_add_f32 v[8:9], v[8:9], v[72:73] neg_lo:[0,1] neg_hi:[0,1]
	v_pk_add_f32 v[6:7], v[6:7], v[70:71] neg_lo:[0,1] neg_hi:[0,1]
	s_wait_dscnt 0x0
	v_pk_mul_f32 v[70:71], v[56:57], v[68:69] op_sel:[0,1]
	s_delay_alu instid0(VALU_DEP_1) | instskip(SKIP_2) | instid1(VALU_DEP_2)
	v_pk_fma_f32 v[72:73], v[56:57], v[66:67], v[70:71] op_sel:[0,0,1] op_sel_hi:[1,1,0] neg_lo:[0,0,1] neg_hi:[0,0,1]
	v_pk_fma_f32 v[56:57], v[56:57], v[66:67], v[70:71] op_sel:[0,0,1] op_sel_hi:[1,0,0]
	v_dual_mul_f32 v70, v59, v69 :: v_dual_mov_b32 v56, v59
	v_dual_mov_b32 v73, v57 :: v_dual_mov_b32 v57, v58
	s_delay_alu instid0(VALU_DEP_2) | instskip(SKIP_1) | instid1(VALU_DEP_3)
	v_pk_fma_f32 v[70:71], v[58:59], v[12:13], v[70:71] op_sel_hi:[1,1,0] neg_lo:[0,0,1] neg_hi:[0,0,1]
	v_mul_f32_e32 v58, v59, v66
	v_pk_add_f32 v[28:29], v[28:29], v[72:73] neg_lo:[0,1] neg_hi:[0,1]
	s_delay_alu instid0(VALU_DEP_2) | instskip(NEXT) | instid1(VALU_DEP_1)
	v_pk_fma_f32 v[56:57], v[56:57], v[12:13], v[58:59] op_sel_hi:[1,1,0]
	v_mov_b32_e32 v71, v57
	ds_load_2addr_b64 v[56:59], v60 offset0:23 offset1:24
	v_pk_add_f32 v[26:27], v[26:27], v[70:71] neg_lo:[0,1] neg_hi:[0,1]
	s_wait_dscnt 0x0
	v_pk_mul_f32 v[70:71], v[56:57], v[68:69] op_sel:[0,1]
	v_mul_f32_e32 v68, v59, v69
	s_delay_alu instid0(VALU_DEP_2) | instskip(SKIP_2) | instid1(VALU_DEP_4)
	v_pk_fma_f32 v[72:73], v[56:57], v[66:67], v[70:71] op_sel:[0,0,1] op_sel_hi:[1,1,0] neg_lo:[0,0,1] neg_hi:[0,0,1]
	v_pk_fma_f32 v[56:57], v[56:57], v[66:67], v[70:71] op_sel:[0,0,1] op_sel_hi:[1,0,0]
	v_mov_b32_e32 v56, v59
	v_pk_fma_f32 v[68:69], v[58:59], v[12:13], v[68:69] op_sel_hi:[1,1,0] neg_lo:[0,0,1] neg_hi:[0,0,1]
	s_delay_alu instid0(VALU_DEP_3) | instskip(SKIP_1) | instid1(VALU_DEP_2)
	v_dual_mov_b32 v73, v57 :: v_dual_mov_b32 v57, v58
	v_mul_f32_e32 v58, v59, v66
	v_pk_add_f32 v[16:17], v[16:17], v[72:73] neg_lo:[0,1] neg_hi:[0,1]
	s_delay_alu instid0(VALU_DEP_2) | instskip(NEXT) | instid1(VALU_DEP_1)
	v_pk_fma_f32 v[56:57], v[56:57], v[12:13], v[58:59] op_sel_hi:[1,1,0]
	v_mov_b32_e32 v69, v57
	s_delay_alu instid0(VALU_DEP_1)
	v_pk_add_f32 v[54:55], v[54:55], v[68:69] neg_lo:[0,1] neg_hi:[0,1]
.LBB48_398:
	s_or_b32 exec_lo, exec_lo, s0
	v_lshl_add_u32 v56, v64, 3, v60
	s_barrier_signal -1
	s_barrier_wait -1
	ds_store_b64 v56, v[8:9]
	s_wait_dscnt 0x0
	s_barrier_signal -1
	s_barrier_wait -1
	ds_load_b64 v[56:57], v60 offset:152
	v_mov_b32_e32 v58, 19
	s_cmp_lt_i32 s18, 21
	s_cbranch_scc1 .LBB48_401
; %bb.399:
	v_add3_u32 v59, v61, 0, 0xa0
	v_mov_b32_e32 v58, 19
	s_mov_b32 s0, 20
.LBB48_400:                             ; =>This Inner Loop Header: Depth=1
	ds_load_b64 v[66:67], v59
	s_wait_dscnt 0x1
	v_cmp_gt_f32_e32 vcc_lo, 0, v56
	v_cndmask_b32_e64 v68, v56, -v56, vcc_lo
	v_cmp_gt_f32_e32 vcc_lo, 0, v57
	v_cndmask_b32_e64 v70, v57, -v57, vcc_lo
	s_wait_dscnt 0x0
	v_cmp_gt_f32_e32 vcc_lo, 0, v66
	v_cndmask_b32_e64 v69, v66, -v66, vcc_lo
	v_cmp_gt_f32_e32 vcc_lo, 0, v67
	v_cndmask_b32_e64 v71, v67, -v67, vcc_lo
	s_delay_alu instid0(VALU_DEP_1) | instskip(NEXT) | instid1(VALU_DEP_1)
	v_pk_add_f32 v[68:69], v[68:69], v[70:71]
	v_cmp_lt_f32_e32 vcc_lo, v68, v69
	v_dual_cndmask_b32 v56, v56, v66 :: v_dual_add_nc_u32 v59, 8, v59
	v_cndmask_b32_e32 v57, v57, v67, vcc_lo
	v_cndmask_b32_e64 v58, v58, s0, vcc_lo
	s_add_co_i32 s0, s0, 1
	s_delay_alu instid0(SALU_CYCLE_1)
	s_cmp_lg_u32 s18, s0
	s_cbranch_scc1 .LBB48_400
.LBB48_401:
	s_wait_dscnt 0x0
	v_cmp_eq_f32_e32 vcc_lo, 0, v56
	v_cmp_eq_f32_e64 s0, 0, v57
	s_and_b32 s0, vcc_lo, s0
	s_delay_alu instid0(SALU_CYCLE_1) | instskip(NEXT) | instid1(SALU_CYCLE_1)
	s_and_saveexec_b32 s1, s0
	s_xor_b32 s0, exec_lo, s1
; %bb.402:
	v_cmp_ne_u32_e32 vcc_lo, 0, v63
	v_cndmask_b32_e32 v63, 20, v63, vcc_lo
; %bb.403:
	s_and_not1_saveexec_b32 s0, s0
	s_cbranch_execz .LBB48_409
; %bb.404:
	v_cmp_ngt_f32_e64 s1, |v56|, |v57|
	s_and_saveexec_b32 s12, s1
	s_delay_alu instid0(SALU_CYCLE_1)
	s_xor_b32 s1, exec_lo, s12
	s_cbranch_execz .LBB48_406
; %bb.405:
	v_div_scale_f32 v59, null, v57, v57, v56
	v_div_scale_f32 v67, vcc_lo, v56, v57, v56
	s_delay_alu instid0(VALU_DEP_2) | instskip(SKIP_1) | instid1(TRANS32_DEP_1)
	v_rcp_f32_e32 v65, v59
	v_nop
	v_fma_f32 v66, -v59, v65, 1.0
	s_delay_alu instid0(VALU_DEP_1) | instskip(NEXT) | instid1(VALU_DEP_1)
	v_fmac_f32_e32 v65, v66, v65
	v_mul_f32_e32 v66, v67, v65
	s_delay_alu instid0(VALU_DEP_1) | instskip(NEXT) | instid1(VALU_DEP_1)
	v_fma_f32 v68, -v59, v66, v67
	v_fmac_f32_e32 v66, v68, v65
	s_delay_alu instid0(VALU_DEP_1) | instskip(NEXT) | instid1(VALU_DEP_1)
	v_fma_f32 v59, -v59, v66, v67
	v_div_fmas_f32 v59, v59, v65, v66
	s_delay_alu instid0(VALU_DEP_1) | instskip(NEXT) | instid1(VALU_DEP_1)
	v_div_fixup_f32 v59, v59, v57, v56
	v_fmac_f32_e32 v57, v56, v59
	s_delay_alu instid0(VALU_DEP_1) | instskip(SKIP_1) | instid1(VALU_DEP_2)
	v_div_scale_f32 v56, null, v57, v57, 1.0
	v_div_scale_f32 v67, vcc_lo, 1.0, v57, 1.0
	v_rcp_f32_e32 v65, v56
	v_nop
	s_delay_alu instid0(TRANS32_DEP_1) | instskip(NEXT) | instid1(VALU_DEP_1)
	v_fma_f32 v66, -v56, v65, 1.0
	v_fmac_f32_e32 v65, v66, v65
	s_delay_alu instid0(VALU_DEP_1) | instskip(NEXT) | instid1(VALU_DEP_1)
	v_mul_f32_e32 v66, v67, v65
	v_fma_f32 v68, -v56, v66, v67
	s_delay_alu instid0(VALU_DEP_1) | instskip(NEXT) | instid1(VALU_DEP_1)
	v_fmac_f32_e32 v66, v68, v65
	v_fma_f32 v56, -v56, v66, v67
	s_delay_alu instid0(VALU_DEP_1) | instskip(NEXT) | instid1(VALU_DEP_1)
	v_div_fmas_f32 v56, v56, v65, v66
	v_div_fixup_f32 v57, v56, v57, 1.0
	s_delay_alu instid0(VALU_DEP_1)
	v_mul_f32_e32 v56, v59, v57
	v_xor_b32_e32 v57, 0x80000000, v57
.LBB48_406:
	s_and_not1_saveexec_b32 s1, s1
	s_cbranch_execz .LBB48_408
; %bb.407:
	s_delay_alu instid0(VALU_DEP_1) | instskip(SKIP_1) | instid1(VALU_DEP_2)
	v_div_scale_f32 v59, null, v56, v56, v57
	v_div_scale_f32 v67, vcc_lo, v57, v56, v57
	v_rcp_f32_e32 v65, v59
	v_nop
	s_delay_alu instid0(TRANS32_DEP_1) | instskip(NEXT) | instid1(VALU_DEP_1)
	v_fma_f32 v66, -v59, v65, 1.0
	v_fmac_f32_e32 v65, v66, v65
	s_delay_alu instid0(VALU_DEP_1) | instskip(NEXT) | instid1(VALU_DEP_1)
	v_mul_f32_e32 v66, v67, v65
	v_fma_f32 v68, -v59, v66, v67
	s_delay_alu instid0(VALU_DEP_1) | instskip(NEXT) | instid1(VALU_DEP_1)
	v_fmac_f32_e32 v66, v68, v65
	v_fma_f32 v59, -v59, v66, v67
	s_delay_alu instid0(VALU_DEP_1) | instskip(NEXT) | instid1(VALU_DEP_1)
	v_div_fmas_f32 v59, v59, v65, v66
	v_div_fixup_f32 v59, v59, v56, v57
	s_delay_alu instid0(VALU_DEP_1) | instskip(NEXT) | instid1(VALU_DEP_1)
	v_fmac_f32_e32 v56, v57, v59
	v_div_scale_f32 v57, null, v56, v56, 1.0
	s_delay_alu instid0(VALU_DEP_1) | instskip(SKIP_1) | instid1(TRANS32_DEP_1)
	v_rcp_f32_e32 v65, v57
	v_nop
	v_fma_f32 v66, -v57, v65, 1.0
	s_delay_alu instid0(VALU_DEP_1) | instskip(SKIP_1) | instid1(VALU_DEP_1)
	v_fmac_f32_e32 v65, v66, v65
	v_div_scale_f32 v66, vcc_lo, 1.0, v56, 1.0
	v_mul_f32_e32 v67, v66, v65
	s_delay_alu instid0(VALU_DEP_1) | instskip(NEXT) | instid1(VALU_DEP_1)
	v_fma_f32 v68, -v57, v67, v66
	v_fmac_f32_e32 v67, v68, v65
	s_delay_alu instid0(VALU_DEP_1) | instskip(NEXT) | instid1(VALU_DEP_1)
	v_fma_f32 v57, -v57, v67, v66
	v_div_fmas_f32 v57, v57, v65, v67
	s_delay_alu instid0(VALU_DEP_1) | instskip(NEXT) | instid1(VALU_DEP_1)
	v_div_fixup_f32 v56, v57, v56, 1.0
	v_mul_f32_e64 v57, v59, -v56
.LBB48_408:
	s_or_b32 exec_lo, exec_lo, s1
.LBB48_409:
	s_delay_alu instid0(SALU_CYCLE_1) | instskip(NEXT) | instid1(SALU_CYCLE_1)
	s_or_b32 exec_lo, exec_lo, s0
	s_mov_b32 s0, exec_lo
	v_cmpx_ne_u32_e64 v64, v58
	s_xor_b32 s0, exec_lo, s0
	s_cbranch_execz .LBB48_415
; %bb.410:
	s_mov_b32 s1, exec_lo
	v_cmpx_eq_u32_e32 19, v64
	s_cbranch_execz .LBB48_414
; %bb.411:
	v_cmp_ne_u32_e32 vcc_lo, 19, v58
	s_xor_b32 s12, s16, -1
	s_delay_alu instid0(SALU_CYCLE_1) | instskip(NEXT) | instid1(SALU_CYCLE_1)
	s_and_b32 s13, s12, vcc_lo
	s_and_saveexec_b32 s12, s13
	s_cbranch_execz .LBB48_413
; %bb.412:
	v_ashrrev_i32_e32 v59, 31, v58
	s_delay_alu instid0(VALU_DEP_1)
	v_lshl_add_u64 v[64:65], v[58:59], 2, v[4:5]
	s_clause 0x1
	global_load_b32 v59, v[64:65], off
	global_load_b32 v62, v[4:5], off offset:76
	s_wait_loadcnt 0x1
	global_store_b32 v[4:5], v59, off offset:76
	s_wait_loadcnt 0x0
	global_store_b32 v[64:65], v62, off
.LBB48_413:
	s_wait_xcnt 0x0
	s_or_b32 exec_lo, exec_lo, s12
	v_dual_mov_b32 v64, v58 :: v_dual_mov_b32 v62, v58
.LBB48_414:
	s_or_b32 exec_lo, exec_lo, s1
.LBB48_415:
	s_and_not1_saveexec_b32 s0, s0
	s_cbranch_execz .LBB48_417
; %bb.416:
	v_dual_mov_b32 v58, v6 :: v_dual_mov_b32 v59, v7
	v_dual_mov_b32 v66, v28 :: v_dual_mov_b32 v67, v29
	;; [unrolled: 1-line block ×4, first 2 shown]
	v_mov_b32_e32 v71, v17
	ds_store_2addr_b64 v60, v[58:59], v[66:67] offset0:20 offset1:21
	ds_store_2addr_b64 v60, v[68:69], v[70:71] offset0:22 offset1:23
	ds_store_b64 v60, v[54:55] offset:192
.LBB48_417:
	s_or_b32 exec_lo, exec_lo, s0
	s_delay_alu instid0(SALU_CYCLE_1)
	s_mov_b32 s0, exec_lo
	s_wait_storecnt_dscnt 0x0
	s_barrier_signal -1
	s_barrier_wait -1
	v_cmpx_lt_i32_e32 19, v64
	s_cbranch_execz .LBB48_419
; %bb.418:
	v_pk_mul_f32 v[58:59], v[56:57], v[8:9] op_sel:[1,1] op_sel_hi:[0,1]
	s_delay_alu instid0(VALU_DEP_1)
	v_pk_fma_f32 v[66:67], v[56:57], v[8:9], v[58:59] op_sel_hi:[1,0,1] neg_lo:[0,0,1] neg_hi:[0,0,1]
	v_pk_fma_f32 v[68:69], v[56:57], v[8:9], v[58:59] op_sel_hi:[1,0,1]
	ds_load_2addr_b64 v[56:59], v60 offset0:20 offset1:21
	v_dual_mov_b32 v8, v66 :: v_dual_mov_b32 v9, v69
	s_wait_dscnt 0x0
	v_pk_mul_f32 v[70:71], v[56:57], v[68:69] op_sel:[0,1]
	s_delay_alu instid0(VALU_DEP_1) | instskip(SKIP_1) | instid1(VALU_DEP_1)
	v_pk_fma_f32 v[72:73], v[56:57], v[66:67], v[70:71] op_sel:[0,0,1] op_sel_hi:[1,1,0] neg_lo:[0,0,1] neg_hi:[0,0,1]
	v_pk_fma_f32 v[56:57], v[56:57], v[66:67], v[70:71] op_sel:[0,0,1] op_sel_hi:[1,0,0]
	v_mov_b32_e32 v73, v57
	v_pk_mul_f32 v[56:57], v[58:59], v[68:69] op_sel:[0,1]
	s_delay_alu instid0(VALU_DEP_1) | instskip(SKIP_1) | instid1(VALU_DEP_1)
	v_pk_fma_f32 v[70:71], v[58:59], v[66:67], v[56:57] op_sel:[0,0,1] op_sel_hi:[1,1,0] neg_lo:[0,0,1] neg_hi:[0,0,1]
	v_pk_fma_f32 v[56:57], v[58:59], v[66:67], v[56:57] op_sel:[0,0,1] op_sel_hi:[1,0,0]
	v_mov_b32_e32 v71, v57
	ds_load_2addr_b64 v[56:59], v60 offset0:22 offset1:23
	v_pk_add_f32 v[6:7], v[6:7], v[72:73] neg_lo:[0,1] neg_hi:[0,1]
	v_pk_add_f32 v[28:29], v[28:29], v[70:71] neg_lo:[0,1] neg_hi:[0,1]
	s_wait_dscnt 0x0
	v_pk_mul_f32 v[70:71], v[56:57], v[68:69] op_sel:[0,1]
	s_delay_alu instid0(VALU_DEP_1) | instskip(SKIP_2) | instid1(VALU_DEP_2)
	v_pk_fma_f32 v[72:73], v[56:57], v[66:67], v[70:71] op_sel:[0,0,1] op_sel_hi:[1,1,0] neg_lo:[0,0,1] neg_hi:[0,0,1]
	v_pk_fma_f32 v[56:57], v[56:57], v[66:67], v[70:71] op_sel:[0,0,1] op_sel_hi:[1,0,0]
	v_dual_mul_f32 v70, v59, v69 :: v_dual_mov_b32 v56, v59
	v_dual_mov_b32 v73, v57 :: v_dual_mov_b32 v57, v58
	s_delay_alu instid0(VALU_DEP_2) | instskip(SKIP_1) | instid1(VALU_DEP_3)
	v_pk_fma_f32 v[70:71], v[58:59], v[8:9], v[70:71] op_sel_hi:[1,1,0] neg_lo:[0,0,1] neg_hi:[0,0,1]
	v_mul_f32_e32 v58, v59, v66
	v_pk_add_f32 v[26:27], v[26:27], v[72:73] neg_lo:[0,1] neg_hi:[0,1]
	s_delay_alu instid0(VALU_DEP_2) | instskip(NEXT) | instid1(VALU_DEP_1)
	v_pk_fma_f32 v[56:57], v[56:57], v[8:9], v[58:59] op_sel_hi:[1,1,0]
	v_mov_b32_e32 v71, v57
	ds_load_b64 v[56:57], v60 offset:192
	v_pk_add_f32 v[16:17], v[16:17], v[70:71] neg_lo:[0,1] neg_hi:[0,1]
	s_wait_dscnt 0x0
	v_pk_mul_f32 v[58:59], v[56:57], v[68:69] op_sel:[0,1]
	s_delay_alu instid0(VALU_DEP_1) | instskip(SKIP_1) | instid1(VALU_DEP_1)
	v_pk_fma_f32 v[68:69], v[56:57], v[66:67], v[58:59] op_sel:[0,0,1] op_sel_hi:[1,1,0] neg_lo:[0,0,1] neg_hi:[0,0,1]
	v_pk_fma_f32 v[56:57], v[56:57], v[66:67], v[58:59] op_sel:[0,0,1] op_sel_hi:[1,0,0]
	v_mov_b32_e32 v69, v57
	s_delay_alu instid0(VALU_DEP_1)
	v_pk_add_f32 v[54:55], v[54:55], v[68:69] neg_lo:[0,1] neg_hi:[0,1]
.LBB48_419:
	s_or_b32 exec_lo, exec_lo, s0
	v_lshl_add_u32 v56, v64, 3, v60
	s_barrier_signal -1
	s_barrier_wait -1
	ds_store_b64 v56, v[6:7]
	s_wait_dscnt 0x0
	s_barrier_signal -1
	s_barrier_wait -1
	ds_load_b64 v[56:57], v60 offset:160
	v_mov_b32_e32 v58, 20
	s_cmp_lt_i32 s18, 22
	s_cbranch_scc1 .LBB48_422
; %bb.420:
	v_add3_u32 v59, v61, 0, 0xa8
	v_mov_b32_e32 v58, 20
	s_mov_b32 s0, 21
.LBB48_421:                             ; =>This Inner Loop Header: Depth=1
	ds_load_b64 v[66:67], v59
	s_wait_dscnt 0x1
	v_cmp_gt_f32_e32 vcc_lo, 0, v56
	v_cndmask_b32_e64 v68, v56, -v56, vcc_lo
	v_cmp_gt_f32_e32 vcc_lo, 0, v57
	v_cndmask_b32_e64 v70, v57, -v57, vcc_lo
	s_wait_dscnt 0x0
	v_cmp_gt_f32_e32 vcc_lo, 0, v66
	v_cndmask_b32_e64 v69, v66, -v66, vcc_lo
	v_cmp_gt_f32_e32 vcc_lo, 0, v67
	v_cndmask_b32_e64 v71, v67, -v67, vcc_lo
	s_delay_alu instid0(VALU_DEP_1) | instskip(NEXT) | instid1(VALU_DEP_1)
	v_pk_add_f32 v[68:69], v[68:69], v[70:71]
	v_cmp_lt_f32_e32 vcc_lo, v68, v69
	v_dual_cndmask_b32 v56, v56, v66 :: v_dual_add_nc_u32 v59, 8, v59
	v_cndmask_b32_e32 v57, v57, v67, vcc_lo
	v_cndmask_b32_e64 v58, v58, s0, vcc_lo
	s_add_co_i32 s0, s0, 1
	s_delay_alu instid0(SALU_CYCLE_1)
	s_cmp_lg_u32 s18, s0
	s_cbranch_scc1 .LBB48_421
.LBB48_422:
	s_wait_dscnt 0x0
	v_cmp_eq_f32_e32 vcc_lo, 0, v56
	v_cmp_eq_f32_e64 s0, 0, v57
	s_and_b32 s0, vcc_lo, s0
	s_delay_alu instid0(SALU_CYCLE_1) | instskip(NEXT) | instid1(SALU_CYCLE_1)
	s_and_saveexec_b32 s1, s0
	s_xor_b32 s0, exec_lo, s1
; %bb.423:
	v_cmp_ne_u32_e32 vcc_lo, 0, v63
	v_cndmask_b32_e32 v63, 21, v63, vcc_lo
; %bb.424:
	s_and_not1_saveexec_b32 s0, s0
	s_cbranch_execz .LBB48_430
; %bb.425:
	v_cmp_ngt_f32_e64 s1, |v56|, |v57|
	s_and_saveexec_b32 s12, s1
	s_delay_alu instid0(SALU_CYCLE_1)
	s_xor_b32 s1, exec_lo, s12
	s_cbranch_execz .LBB48_427
; %bb.426:
	v_div_scale_f32 v59, null, v57, v57, v56
	v_div_scale_f32 v67, vcc_lo, v56, v57, v56
	s_delay_alu instid0(VALU_DEP_2) | instskip(SKIP_1) | instid1(TRANS32_DEP_1)
	v_rcp_f32_e32 v65, v59
	v_nop
	v_fma_f32 v66, -v59, v65, 1.0
	s_delay_alu instid0(VALU_DEP_1) | instskip(NEXT) | instid1(VALU_DEP_1)
	v_fmac_f32_e32 v65, v66, v65
	v_mul_f32_e32 v66, v67, v65
	s_delay_alu instid0(VALU_DEP_1) | instskip(NEXT) | instid1(VALU_DEP_1)
	v_fma_f32 v68, -v59, v66, v67
	v_fmac_f32_e32 v66, v68, v65
	s_delay_alu instid0(VALU_DEP_1) | instskip(NEXT) | instid1(VALU_DEP_1)
	v_fma_f32 v59, -v59, v66, v67
	v_div_fmas_f32 v59, v59, v65, v66
	s_delay_alu instid0(VALU_DEP_1) | instskip(NEXT) | instid1(VALU_DEP_1)
	v_div_fixup_f32 v59, v59, v57, v56
	v_fmac_f32_e32 v57, v56, v59
	s_delay_alu instid0(VALU_DEP_1) | instskip(SKIP_1) | instid1(VALU_DEP_2)
	v_div_scale_f32 v56, null, v57, v57, 1.0
	v_div_scale_f32 v67, vcc_lo, 1.0, v57, 1.0
	v_rcp_f32_e32 v65, v56
	v_nop
	s_delay_alu instid0(TRANS32_DEP_1) | instskip(NEXT) | instid1(VALU_DEP_1)
	v_fma_f32 v66, -v56, v65, 1.0
	v_fmac_f32_e32 v65, v66, v65
	s_delay_alu instid0(VALU_DEP_1) | instskip(NEXT) | instid1(VALU_DEP_1)
	v_mul_f32_e32 v66, v67, v65
	v_fma_f32 v68, -v56, v66, v67
	s_delay_alu instid0(VALU_DEP_1) | instskip(NEXT) | instid1(VALU_DEP_1)
	v_fmac_f32_e32 v66, v68, v65
	v_fma_f32 v56, -v56, v66, v67
	s_delay_alu instid0(VALU_DEP_1) | instskip(NEXT) | instid1(VALU_DEP_1)
	v_div_fmas_f32 v56, v56, v65, v66
	v_div_fixup_f32 v57, v56, v57, 1.0
	s_delay_alu instid0(VALU_DEP_1)
	v_mul_f32_e32 v56, v59, v57
	v_xor_b32_e32 v57, 0x80000000, v57
.LBB48_427:
	s_and_not1_saveexec_b32 s1, s1
	s_cbranch_execz .LBB48_429
; %bb.428:
	s_delay_alu instid0(VALU_DEP_1) | instskip(SKIP_1) | instid1(VALU_DEP_2)
	v_div_scale_f32 v59, null, v56, v56, v57
	v_div_scale_f32 v67, vcc_lo, v57, v56, v57
	v_rcp_f32_e32 v65, v59
	v_nop
	s_delay_alu instid0(TRANS32_DEP_1) | instskip(NEXT) | instid1(VALU_DEP_1)
	v_fma_f32 v66, -v59, v65, 1.0
	v_fmac_f32_e32 v65, v66, v65
	s_delay_alu instid0(VALU_DEP_1) | instskip(NEXT) | instid1(VALU_DEP_1)
	v_mul_f32_e32 v66, v67, v65
	v_fma_f32 v68, -v59, v66, v67
	s_delay_alu instid0(VALU_DEP_1) | instskip(NEXT) | instid1(VALU_DEP_1)
	v_fmac_f32_e32 v66, v68, v65
	v_fma_f32 v59, -v59, v66, v67
	s_delay_alu instid0(VALU_DEP_1) | instskip(NEXT) | instid1(VALU_DEP_1)
	v_div_fmas_f32 v59, v59, v65, v66
	v_div_fixup_f32 v59, v59, v56, v57
	s_delay_alu instid0(VALU_DEP_1) | instskip(NEXT) | instid1(VALU_DEP_1)
	v_fmac_f32_e32 v56, v57, v59
	v_div_scale_f32 v57, null, v56, v56, 1.0
	s_delay_alu instid0(VALU_DEP_1) | instskip(SKIP_1) | instid1(TRANS32_DEP_1)
	v_rcp_f32_e32 v65, v57
	v_nop
	v_fma_f32 v66, -v57, v65, 1.0
	s_delay_alu instid0(VALU_DEP_1) | instskip(SKIP_1) | instid1(VALU_DEP_1)
	v_fmac_f32_e32 v65, v66, v65
	v_div_scale_f32 v66, vcc_lo, 1.0, v56, 1.0
	v_mul_f32_e32 v67, v66, v65
	s_delay_alu instid0(VALU_DEP_1) | instskip(NEXT) | instid1(VALU_DEP_1)
	v_fma_f32 v68, -v57, v67, v66
	v_fmac_f32_e32 v67, v68, v65
	s_delay_alu instid0(VALU_DEP_1) | instskip(NEXT) | instid1(VALU_DEP_1)
	v_fma_f32 v57, -v57, v67, v66
	v_div_fmas_f32 v57, v57, v65, v67
	s_delay_alu instid0(VALU_DEP_1) | instskip(NEXT) | instid1(VALU_DEP_1)
	v_div_fixup_f32 v56, v57, v56, 1.0
	v_mul_f32_e64 v57, v59, -v56
.LBB48_429:
	s_or_b32 exec_lo, exec_lo, s1
.LBB48_430:
	s_delay_alu instid0(SALU_CYCLE_1) | instskip(NEXT) | instid1(SALU_CYCLE_1)
	s_or_b32 exec_lo, exec_lo, s0
	s_mov_b32 s0, exec_lo
	v_cmpx_ne_u32_e64 v64, v58
	s_xor_b32 s0, exec_lo, s0
	s_cbranch_execz .LBB48_436
; %bb.431:
	s_mov_b32 s1, exec_lo
	v_cmpx_eq_u32_e32 20, v64
	s_cbranch_execz .LBB48_435
; %bb.432:
	v_cmp_ne_u32_e32 vcc_lo, 20, v58
	s_xor_b32 s12, s16, -1
	s_delay_alu instid0(SALU_CYCLE_1) | instskip(NEXT) | instid1(SALU_CYCLE_1)
	s_and_b32 s13, s12, vcc_lo
	s_and_saveexec_b32 s12, s13
	s_cbranch_execz .LBB48_434
; %bb.433:
	v_ashrrev_i32_e32 v59, 31, v58
	s_delay_alu instid0(VALU_DEP_1)
	v_lshl_add_u64 v[64:65], v[58:59], 2, v[4:5]
	s_clause 0x1
	global_load_b32 v59, v[64:65], off
	global_load_b32 v62, v[4:5], off offset:80
	s_wait_loadcnt 0x1
	global_store_b32 v[4:5], v59, off offset:80
	s_wait_loadcnt 0x0
	global_store_b32 v[64:65], v62, off
.LBB48_434:
	s_wait_xcnt 0x0
	s_or_b32 exec_lo, exec_lo, s12
	v_dual_mov_b32 v64, v58 :: v_dual_mov_b32 v62, v58
.LBB48_435:
	s_or_b32 exec_lo, exec_lo, s1
.LBB48_436:
	s_and_not1_saveexec_b32 s0, s0
	s_cbranch_execz .LBB48_438
; %bb.437:
	v_mov_b32_e32 v64, 20
	ds_store_2addr_b64 v60, v[28:29], v[26:27] offset0:21 offset1:22
	ds_store_2addr_b64 v60, v[16:17], v[54:55] offset0:23 offset1:24
.LBB48_438:
	s_or_b32 exec_lo, exec_lo, s0
	s_delay_alu instid0(SALU_CYCLE_1)
	s_mov_b32 s0, exec_lo
	s_wait_storecnt_dscnt 0x0
	s_barrier_signal -1
	s_barrier_wait -1
	v_cmpx_lt_i32_e32 20, v64
	s_cbranch_execz .LBB48_440
; %bb.439:
	v_pk_mul_f32 v[58:59], v[56:57], v[6:7] op_sel:[1,1] op_sel_hi:[0,1]
	s_delay_alu instid0(VALU_DEP_1)
	v_pk_fma_f32 v[66:67], v[56:57], v[6:7], v[58:59] op_sel_hi:[1,0,1] neg_lo:[0,0,1] neg_hi:[0,0,1]
	v_pk_fma_f32 v[68:69], v[56:57], v[6:7], v[58:59] op_sel_hi:[1,0,1]
	ds_load_2addr_b64 v[56:59], v60 offset0:21 offset1:22
	v_dual_mov_b32 v6, v66 :: v_dual_mov_b32 v7, v69
	s_wait_dscnt 0x0
	v_pk_mul_f32 v[70:71], v[56:57], v[68:69] op_sel:[0,1]
	s_delay_alu instid0(VALU_DEP_1) | instskip(SKIP_1) | instid1(VALU_DEP_1)
	v_pk_fma_f32 v[72:73], v[56:57], v[66:67], v[70:71] op_sel:[0,0,1] op_sel_hi:[1,1,0] neg_lo:[0,0,1] neg_hi:[0,0,1]
	v_pk_fma_f32 v[56:57], v[56:57], v[66:67], v[70:71] op_sel:[0,0,1] op_sel_hi:[1,0,0]
	v_mov_b32_e32 v73, v57
	v_pk_mul_f32 v[56:57], v[58:59], v[68:69] op_sel:[0,1]
	s_delay_alu instid0(VALU_DEP_1) | instskip(SKIP_1) | instid1(VALU_DEP_1)
	v_pk_fma_f32 v[70:71], v[58:59], v[66:67], v[56:57] op_sel:[0,0,1] op_sel_hi:[1,1,0] neg_lo:[0,0,1] neg_hi:[0,0,1]
	v_pk_fma_f32 v[56:57], v[58:59], v[66:67], v[56:57] op_sel:[0,0,1] op_sel_hi:[1,0,0]
	v_mov_b32_e32 v71, v57
	ds_load_2addr_b64 v[56:59], v60 offset0:23 offset1:24
	v_pk_add_f32 v[28:29], v[28:29], v[72:73] neg_lo:[0,1] neg_hi:[0,1]
	v_pk_add_f32 v[26:27], v[26:27], v[70:71] neg_lo:[0,1] neg_hi:[0,1]
	s_wait_dscnt 0x0
	v_pk_mul_f32 v[70:71], v[56:57], v[68:69] op_sel:[0,1]
	s_delay_alu instid0(VALU_DEP_1) | instskip(SKIP_1) | instid1(VALU_DEP_1)
	v_pk_fma_f32 v[72:73], v[56:57], v[66:67], v[70:71] op_sel:[0,0,1] op_sel_hi:[1,1,0] neg_lo:[0,0,1] neg_hi:[0,0,1]
	v_pk_fma_f32 v[56:57], v[56:57], v[66:67], v[70:71] op_sel:[0,0,1] op_sel_hi:[1,0,0]
	v_dual_mov_b32 v56, v59 :: v_dual_mov_b32 v73, v57
	v_mov_b32_e32 v57, v58
	s_delay_alu instid0(VALU_DEP_2) | instskip(NEXT) | instid1(VALU_DEP_2)
	v_pk_add_f32 v[16:17], v[16:17], v[72:73] neg_lo:[0,1] neg_hi:[0,1]
	v_pk_mul_f32 v[56:57], v[56:57], v[68:69] op_sel:[0,1]
	s_delay_alu instid0(VALU_DEP_1) | instskip(SKIP_1) | instid1(VALU_DEP_1)
	v_pk_fma_f32 v[68:69], v[58:59], v[66:67], v[56:57] neg_lo:[0,0,1] neg_hi:[0,0,1]
	v_pk_fma_f32 v[56:57], v[58:59], v[66:67], v[56:57] op_sel_hi:[1,0,1]
	v_mov_b32_e32 v69, v57
	s_delay_alu instid0(VALU_DEP_1)
	v_pk_add_f32 v[54:55], v[54:55], v[68:69] neg_lo:[0,1] neg_hi:[0,1]
.LBB48_440:
	s_or_b32 exec_lo, exec_lo, s0
	v_lshl_add_u32 v56, v64, 3, v60
	s_barrier_signal -1
	s_barrier_wait -1
	ds_store_b64 v56, v[28:29]
	s_wait_dscnt 0x0
	s_barrier_signal -1
	s_barrier_wait -1
	ds_load_b64 v[56:57], v60 offset:168
	v_mov_b32_e32 v58, 21
	s_cmp_lt_i32 s18, 23
	s_cbranch_scc1 .LBB48_443
; %bb.441:
	v_add3_u32 v59, v61, 0, 0xb0
	v_mov_b32_e32 v58, 21
	s_mov_b32 s0, 22
.LBB48_442:                             ; =>This Inner Loop Header: Depth=1
	ds_load_b64 v[66:67], v59
	s_wait_dscnt 0x1
	v_cmp_gt_f32_e32 vcc_lo, 0, v56
	v_cndmask_b32_e64 v68, v56, -v56, vcc_lo
	v_cmp_gt_f32_e32 vcc_lo, 0, v57
	v_cndmask_b32_e64 v70, v57, -v57, vcc_lo
	s_wait_dscnt 0x0
	v_cmp_gt_f32_e32 vcc_lo, 0, v66
	v_cndmask_b32_e64 v69, v66, -v66, vcc_lo
	v_cmp_gt_f32_e32 vcc_lo, 0, v67
	v_cndmask_b32_e64 v71, v67, -v67, vcc_lo
	s_delay_alu instid0(VALU_DEP_1) | instskip(NEXT) | instid1(VALU_DEP_1)
	v_pk_add_f32 v[68:69], v[68:69], v[70:71]
	v_cmp_lt_f32_e32 vcc_lo, v68, v69
	v_dual_cndmask_b32 v56, v56, v66 :: v_dual_add_nc_u32 v59, 8, v59
	v_cndmask_b32_e32 v57, v57, v67, vcc_lo
	v_cndmask_b32_e64 v58, v58, s0, vcc_lo
	s_add_co_i32 s0, s0, 1
	s_delay_alu instid0(SALU_CYCLE_1)
	s_cmp_lg_u32 s18, s0
	s_cbranch_scc1 .LBB48_442
.LBB48_443:
	s_wait_dscnt 0x0
	v_cmp_eq_f32_e32 vcc_lo, 0, v56
	v_cmp_eq_f32_e64 s0, 0, v57
	s_and_b32 s0, vcc_lo, s0
	s_delay_alu instid0(SALU_CYCLE_1) | instskip(NEXT) | instid1(SALU_CYCLE_1)
	s_and_saveexec_b32 s1, s0
	s_xor_b32 s0, exec_lo, s1
; %bb.444:
	v_cmp_ne_u32_e32 vcc_lo, 0, v63
	v_cndmask_b32_e32 v63, 22, v63, vcc_lo
; %bb.445:
	s_and_not1_saveexec_b32 s0, s0
	s_cbranch_execz .LBB48_451
; %bb.446:
	v_cmp_ngt_f32_e64 s1, |v56|, |v57|
	s_and_saveexec_b32 s12, s1
	s_delay_alu instid0(SALU_CYCLE_1)
	s_xor_b32 s1, exec_lo, s12
	s_cbranch_execz .LBB48_448
; %bb.447:
	v_div_scale_f32 v59, null, v57, v57, v56
	v_div_scale_f32 v67, vcc_lo, v56, v57, v56
	s_delay_alu instid0(VALU_DEP_2) | instskip(SKIP_1) | instid1(TRANS32_DEP_1)
	v_rcp_f32_e32 v65, v59
	v_nop
	v_fma_f32 v66, -v59, v65, 1.0
	s_delay_alu instid0(VALU_DEP_1) | instskip(NEXT) | instid1(VALU_DEP_1)
	v_fmac_f32_e32 v65, v66, v65
	v_mul_f32_e32 v66, v67, v65
	s_delay_alu instid0(VALU_DEP_1) | instskip(NEXT) | instid1(VALU_DEP_1)
	v_fma_f32 v68, -v59, v66, v67
	v_fmac_f32_e32 v66, v68, v65
	s_delay_alu instid0(VALU_DEP_1) | instskip(NEXT) | instid1(VALU_DEP_1)
	v_fma_f32 v59, -v59, v66, v67
	v_div_fmas_f32 v59, v59, v65, v66
	s_delay_alu instid0(VALU_DEP_1) | instskip(NEXT) | instid1(VALU_DEP_1)
	v_div_fixup_f32 v59, v59, v57, v56
	v_fmac_f32_e32 v57, v56, v59
	s_delay_alu instid0(VALU_DEP_1) | instskip(SKIP_1) | instid1(VALU_DEP_2)
	v_div_scale_f32 v56, null, v57, v57, 1.0
	v_div_scale_f32 v67, vcc_lo, 1.0, v57, 1.0
	v_rcp_f32_e32 v65, v56
	v_nop
	s_delay_alu instid0(TRANS32_DEP_1) | instskip(NEXT) | instid1(VALU_DEP_1)
	v_fma_f32 v66, -v56, v65, 1.0
	v_fmac_f32_e32 v65, v66, v65
	s_delay_alu instid0(VALU_DEP_1) | instskip(NEXT) | instid1(VALU_DEP_1)
	v_mul_f32_e32 v66, v67, v65
	v_fma_f32 v68, -v56, v66, v67
	s_delay_alu instid0(VALU_DEP_1) | instskip(NEXT) | instid1(VALU_DEP_1)
	v_fmac_f32_e32 v66, v68, v65
	v_fma_f32 v56, -v56, v66, v67
	s_delay_alu instid0(VALU_DEP_1) | instskip(NEXT) | instid1(VALU_DEP_1)
	v_div_fmas_f32 v56, v56, v65, v66
	v_div_fixup_f32 v57, v56, v57, 1.0
	s_delay_alu instid0(VALU_DEP_1)
	v_mul_f32_e32 v56, v59, v57
	v_xor_b32_e32 v57, 0x80000000, v57
.LBB48_448:
	s_and_not1_saveexec_b32 s1, s1
	s_cbranch_execz .LBB48_450
; %bb.449:
	s_delay_alu instid0(VALU_DEP_1) | instskip(SKIP_1) | instid1(VALU_DEP_2)
	v_div_scale_f32 v59, null, v56, v56, v57
	v_div_scale_f32 v67, vcc_lo, v57, v56, v57
	v_rcp_f32_e32 v65, v59
	v_nop
	s_delay_alu instid0(TRANS32_DEP_1) | instskip(NEXT) | instid1(VALU_DEP_1)
	v_fma_f32 v66, -v59, v65, 1.0
	v_fmac_f32_e32 v65, v66, v65
	s_delay_alu instid0(VALU_DEP_1) | instskip(NEXT) | instid1(VALU_DEP_1)
	v_mul_f32_e32 v66, v67, v65
	v_fma_f32 v68, -v59, v66, v67
	s_delay_alu instid0(VALU_DEP_1) | instskip(NEXT) | instid1(VALU_DEP_1)
	v_fmac_f32_e32 v66, v68, v65
	v_fma_f32 v59, -v59, v66, v67
	s_delay_alu instid0(VALU_DEP_1) | instskip(NEXT) | instid1(VALU_DEP_1)
	v_div_fmas_f32 v59, v59, v65, v66
	v_div_fixup_f32 v59, v59, v56, v57
	s_delay_alu instid0(VALU_DEP_1) | instskip(NEXT) | instid1(VALU_DEP_1)
	v_fmac_f32_e32 v56, v57, v59
	v_div_scale_f32 v57, null, v56, v56, 1.0
	s_delay_alu instid0(VALU_DEP_1) | instskip(SKIP_1) | instid1(TRANS32_DEP_1)
	v_rcp_f32_e32 v65, v57
	v_nop
	v_fma_f32 v66, -v57, v65, 1.0
	s_delay_alu instid0(VALU_DEP_1) | instskip(SKIP_1) | instid1(VALU_DEP_1)
	v_fmac_f32_e32 v65, v66, v65
	v_div_scale_f32 v66, vcc_lo, 1.0, v56, 1.0
	v_mul_f32_e32 v67, v66, v65
	s_delay_alu instid0(VALU_DEP_1) | instskip(NEXT) | instid1(VALU_DEP_1)
	v_fma_f32 v68, -v57, v67, v66
	v_fmac_f32_e32 v67, v68, v65
	s_delay_alu instid0(VALU_DEP_1) | instskip(NEXT) | instid1(VALU_DEP_1)
	v_fma_f32 v57, -v57, v67, v66
	v_div_fmas_f32 v57, v57, v65, v67
	s_delay_alu instid0(VALU_DEP_1) | instskip(NEXT) | instid1(VALU_DEP_1)
	v_div_fixup_f32 v56, v57, v56, 1.0
	v_mul_f32_e64 v57, v59, -v56
.LBB48_450:
	s_or_b32 exec_lo, exec_lo, s1
.LBB48_451:
	s_delay_alu instid0(SALU_CYCLE_1) | instskip(NEXT) | instid1(SALU_CYCLE_1)
	s_or_b32 exec_lo, exec_lo, s0
	s_mov_b32 s0, exec_lo
	v_cmpx_ne_u32_e64 v64, v58
	s_xor_b32 s0, exec_lo, s0
	s_cbranch_execz .LBB48_457
; %bb.452:
	s_mov_b32 s1, exec_lo
	v_cmpx_eq_u32_e32 21, v64
	s_cbranch_execz .LBB48_456
; %bb.453:
	v_cmp_ne_u32_e32 vcc_lo, 21, v58
	s_xor_b32 s12, s16, -1
	s_delay_alu instid0(SALU_CYCLE_1) | instskip(NEXT) | instid1(SALU_CYCLE_1)
	s_and_b32 s13, s12, vcc_lo
	s_and_saveexec_b32 s12, s13
	s_cbranch_execz .LBB48_455
; %bb.454:
	v_ashrrev_i32_e32 v59, 31, v58
	s_delay_alu instid0(VALU_DEP_1)
	v_lshl_add_u64 v[64:65], v[58:59], 2, v[4:5]
	s_clause 0x1
	global_load_b32 v59, v[64:65], off
	global_load_b32 v62, v[4:5], off offset:84
	s_wait_loadcnt 0x1
	global_store_b32 v[4:5], v59, off offset:84
	s_wait_loadcnt 0x0
	global_store_b32 v[64:65], v62, off
.LBB48_455:
	s_wait_xcnt 0x0
	s_or_b32 exec_lo, exec_lo, s12
	v_dual_mov_b32 v64, v58 :: v_dual_mov_b32 v62, v58
.LBB48_456:
	s_or_b32 exec_lo, exec_lo, s1
.LBB48_457:
	s_and_not1_saveexec_b32 s0, s0
	s_cbranch_execz .LBB48_459
; %bb.458:
	v_dual_mov_b32 v58, v26 :: v_dual_mov_b32 v59, v27
	v_dual_mov_b32 v66, v16 :: v_dual_mov_b32 v67, v17
	v_mov_b32_e32 v64, 21
	ds_store_2addr_b64 v60, v[58:59], v[66:67] offset0:22 offset1:23
	ds_store_b64 v60, v[54:55] offset:192
.LBB48_459:
	s_or_b32 exec_lo, exec_lo, s0
	s_delay_alu instid0(SALU_CYCLE_1)
	s_mov_b32 s0, exec_lo
	s_wait_storecnt_dscnt 0x0
	s_barrier_signal -1
	s_barrier_wait -1
	v_cmpx_lt_i32_e32 21, v64
	s_cbranch_execz .LBB48_461
; %bb.460:
	ds_load_2addr_b64 v[66:69], v60 offset0:22 offset1:23
	ds_load_b64 v[58:59], v60 offset:192
	v_pk_mul_f32 v[70:71], v[56:57], v[28:29] op_sel:[1,1] op_sel_hi:[0,1]
	s_delay_alu instid0(VALU_DEP_1) | instskip(SKIP_2) | instid1(VALU_DEP_2)
	v_pk_fma_f32 v[72:73], v[56:57], v[28:29], v[70:71] op_sel_hi:[1,0,1]
	v_pk_fma_f32 v[28:29], v[56:57], v[28:29], v[70:71] op_sel_hi:[1,0,1] neg_lo:[0,0,1] neg_hi:[0,0,1]
	s_wait_dscnt 0x1
	v_pk_mul_f32 v[56:57], v[66:67], v[72:73] op_sel:[0,1]
	v_pk_mul_f32 v[70:71], v[68:69], v[72:73] op_sel:[0,1]
	s_wait_dscnt 0x0
	v_pk_mul_f32 v[74:75], v[58:59], v[72:73] op_sel:[1,1] op_sel_hi:[0,1]
	s_delay_alu instid0(VALU_DEP_3) | instskip(SKIP_2) | instid1(VALU_DEP_4)
	v_pk_fma_f32 v[76:77], v[66:67], v[28:29], v[56:57] op_sel:[0,0,1] op_sel_hi:[1,1,0] neg_lo:[0,0,1] neg_hi:[0,0,1]
	v_pk_fma_f32 v[56:57], v[66:67], v[28:29], v[56:57] op_sel:[0,0,1] op_sel_hi:[1,0,0]
	v_pk_fma_f32 v[66:67], v[68:69], v[28:29], v[70:71] op_sel:[0,0,1] op_sel_hi:[1,0,0]
	v_pk_fma_f32 v[78:79], v[58:59], v[28:29], v[74:75] op_sel_hi:[1,0,1]
	v_pk_fma_f32 v[68:69], v[68:69], v[28:29], v[70:71] op_sel:[0,0,1] op_sel_hi:[1,1,0] neg_lo:[0,0,1] neg_hi:[0,0,1]
	v_pk_fma_f32 v[58:59], v[58:59], v[28:29], v[74:75] neg_lo:[0,0,1] neg_hi:[0,0,1]
	s_delay_alu instid0(VALU_DEP_4) | instskip(NEXT) | instid1(VALU_DEP_4)
	v_dual_mov_b32 v77, v57 :: v_dual_mov_b32 v69, v67
	v_dual_mov_b32 v59, v79 :: v_dual_mov_b32 v29, v73
	s_delay_alu instid0(VALU_DEP_2) | instskip(NEXT) | instid1(VALU_DEP_3)
	v_pk_add_f32 v[26:27], v[26:27], v[76:77] neg_lo:[0,1] neg_hi:[0,1]
	v_pk_add_f32 v[16:17], v[16:17], v[68:69] neg_lo:[0,1] neg_hi:[0,1]
	s_delay_alu instid0(VALU_DEP_3)
	v_pk_add_f32 v[54:55], v[54:55], v[58:59] neg_lo:[0,1] neg_hi:[0,1]
.LBB48_461:
	s_or_b32 exec_lo, exec_lo, s0
	v_lshl_add_u32 v56, v64, 3, v60
	s_barrier_signal -1
	s_barrier_wait -1
	ds_store_b64 v56, v[26:27]
	s_wait_dscnt 0x0
	s_barrier_signal -1
	s_barrier_wait -1
	ds_load_b64 v[56:57], v60 offset:176
	v_mov_b32_e32 v58, 22
	s_cmp_lt_i32 s18, 24
	s_cbranch_scc1 .LBB48_464
; %bb.462:
	v_add3_u32 v59, v61, 0, 0xb8
	v_mov_b32_e32 v58, 22
	s_mov_b32 s0, 23
.LBB48_463:                             ; =>This Inner Loop Header: Depth=1
	ds_load_b64 v[66:67], v59
	s_wait_dscnt 0x1
	v_cmp_gt_f32_e32 vcc_lo, 0, v56
	v_cndmask_b32_e64 v68, v56, -v56, vcc_lo
	v_cmp_gt_f32_e32 vcc_lo, 0, v57
	v_cndmask_b32_e64 v70, v57, -v57, vcc_lo
	s_wait_dscnt 0x0
	v_cmp_gt_f32_e32 vcc_lo, 0, v66
	v_cndmask_b32_e64 v69, v66, -v66, vcc_lo
	v_cmp_gt_f32_e32 vcc_lo, 0, v67
	v_cndmask_b32_e64 v71, v67, -v67, vcc_lo
	s_delay_alu instid0(VALU_DEP_1) | instskip(NEXT) | instid1(VALU_DEP_1)
	v_pk_add_f32 v[68:69], v[68:69], v[70:71]
	v_cmp_lt_f32_e32 vcc_lo, v68, v69
	v_dual_cndmask_b32 v56, v56, v66 :: v_dual_add_nc_u32 v59, 8, v59
	v_cndmask_b32_e32 v57, v57, v67, vcc_lo
	v_cndmask_b32_e64 v58, v58, s0, vcc_lo
	s_add_co_i32 s0, s0, 1
	s_delay_alu instid0(SALU_CYCLE_1)
	s_cmp_lg_u32 s18, s0
	s_cbranch_scc1 .LBB48_463
.LBB48_464:
	s_wait_dscnt 0x0
	v_cmp_eq_f32_e32 vcc_lo, 0, v56
	v_cmp_eq_f32_e64 s0, 0, v57
	s_and_b32 s0, vcc_lo, s0
	s_delay_alu instid0(SALU_CYCLE_1) | instskip(NEXT) | instid1(SALU_CYCLE_1)
	s_and_saveexec_b32 s1, s0
	s_xor_b32 s0, exec_lo, s1
; %bb.465:
	v_cmp_ne_u32_e32 vcc_lo, 0, v63
	v_cndmask_b32_e32 v63, 23, v63, vcc_lo
; %bb.466:
	s_and_not1_saveexec_b32 s0, s0
	s_cbranch_execz .LBB48_472
; %bb.467:
	v_cmp_ngt_f32_e64 s1, |v56|, |v57|
	s_and_saveexec_b32 s12, s1
	s_delay_alu instid0(SALU_CYCLE_1)
	s_xor_b32 s1, exec_lo, s12
	s_cbranch_execz .LBB48_469
; %bb.468:
	v_div_scale_f32 v59, null, v57, v57, v56
	v_div_scale_f32 v67, vcc_lo, v56, v57, v56
	s_delay_alu instid0(VALU_DEP_2) | instskip(SKIP_1) | instid1(TRANS32_DEP_1)
	v_rcp_f32_e32 v65, v59
	v_nop
	v_fma_f32 v66, -v59, v65, 1.0
	s_delay_alu instid0(VALU_DEP_1) | instskip(NEXT) | instid1(VALU_DEP_1)
	v_fmac_f32_e32 v65, v66, v65
	v_mul_f32_e32 v66, v67, v65
	s_delay_alu instid0(VALU_DEP_1) | instskip(NEXT) | instid1(VALU_DEP_1)
	v_fma_f32 v68, -v59, v66, v67
	v_fmac_f32_e32 v66, v68, v65
	s_delay_alu instid0(VALU_DEP_1) | instskip(NEXT) | instid1(VALU_DEP_1)
	v_fma_f32 v59, -v59, v66, v67
	v_div_fmas_f32 v59, v59, v65, v66
	s_delay_alu instid0(VALU_DEP_1) | instskip(NEXT) | instid1(VALU_DEP_1)
	v_div_fixup_f32 v59, v59, v57, v56
	v_fmac_f32_e32 v57, v56, v59
	s_delay_alu instid0(VALU_DEP_1) | instskip(SKIP_1) | instid1(VALU_DEP_2)
	v_div_scale_f32 v56, null, v57, v57, 1.0
	v_div_scale_f32 v67, vcc_lo, 1.0, v57, 1.0
	v_rcp_f32_e32 v65, v56
	v_nop
	s_delay_alu instid0(TRANS32_DEP_1) | instskip(NEXT) | instid1(VALU_DEP_1)
	v_fma_f32 v66, -v56, v65, 1.0
	v_fmac_f32_e32 v65, v66, v65
	s_delay_alu instid0(VALU_DEP_1) | instskip(NEXT) | instid1(VALU_DEP_1)
	v_mul_f32_e32 v66, v67, v65
	v_fma_f32 v68, -v56, v66, v67
	s_delay_alu instid0(VALU_DEP_1) | instskip(NEXT) | instid1(VALU_DEP_1)
	v_fmac_f32_e32 v66, v68, v65
	v_fma_f32 v56, -v56, v66, v67
	s_delay_alu instid0(VALU_DEP_1) | instskip(NEXT) | instid1(VALU_DEP_1)
	v_div_fmas_f32 v56, v56, v65, v66
	v_div_fixup_f32 v57, v56, v57, 1.0
	s_delay_alu instid0(VALU_DEP_1)
	v_mul_f32_e32 v56, v59, v57
	v_xor_b32_e32 v57, 0x80000000, v57
.LBB48_469:
	s_and_not1_saveexec_b32 s1, s1
	s_cbranch_execz .LBB48_471
; %bb.470:
	s_delay_alu instid0(VALU_DEP_1) | instskip(SKIP_1) | instid1(VALU_DEP_2)
	v_div_scale_f32 v59, null, v56, v56, v57
	v_div_scale_f32 v67, vcc_lo, v57, v56, v57
	v_rcp_f32_e32 v65, v59
	v_nop
	s_delay_alu instid0(TRANS32_DEP_1) | instskip(NEXT) | instid1(VALU_DEP_1)
	v_fma_f32 v66, -v59, v65, 1.0
	v_fmac_f32_e32 v65, v66, v65
	s_delay_alu instid0(VALU_DEP_1) | instskip(NEXT) | instid1(VALU_DEP_1)
	v_mul_f32_e32 v66, v67, v65
	v_fma_f32 v68, -v59, v66, v67
	s_delay_alu instid0(VALU_DEP_1) | instskip(NEXT) | instid1(VALU_DEP_1)
	v_fmac_f32_e32 v66, v68, v65
	v_fma_f32 v59, -v59, v66, v67
	s_delay_alu instid0(VALU_DEP_1) | instskip(NEXT) | instid1(VALU_DEP_1)
	v_div_fmas_f32 v59, v59, v65, v66
	v_div_fixup_f32 v59, v59, v56, v57
	s_delay_alu instid0(VALU_DEP_1) | instskip(NEXT) | instid1(VALU_DEP_1)
	v_fmac_f32_e32 v56, v57, v59
	v_div_scale_f32 v57, null, v56, v56, 1.0
	s_delay_alu instid0(VALU_DEP_1) | instskip(SKIP_1) | instid1(TRANS32_DEP_1)
	v_rcp_f32_e32 v65, v57
	v_nop
	v_fma_f32 v66, -v57, v65, 1.0
	s_delay_alu instid0(VALU_DEP_1) | instskip(SKIP_1) | instid1(VALU_DEP_1)
	v_fmac_f32_e32 v65, v66, v65
	v_div_scale_f32 v66, vcc_lo, 1.0, v56, 1.0
	v_mul_f32_e32 v67, v66, v65
	s_delay_alu instid0(VALU_DEP_1) | instskip(NEXT) | instid1(VALU_DEP_1)
	v_fma_f32 v68, -v57, v67, v66
	v_fmac_f32_e32 v67, v68, v65
	s_delay_alu instid0(VALU_DEP_1) | instskip(NEXT) | instid1(VALU_DEP_1)
	v_fma_f32 v57, -v57, v67, v66
	v_div_fmas_f32 v57, v57, v65, v67
	s_delay_alu instid0(VALU_DEP_1) | instskip(NEXT) | instid1(VALU_DEP_1)
	v_div_fixup_f32 v56, v57, v56, 1.0
	v_mul_f32_e64 v57, v59, -v56
.LBB48_471:
	s_or_b32 exec_lo, exec_lo, s1
.LBB48_472:
	s_delay_alu instid0(SALU_CYCLE_1) | instskip(NEXT) | instid1(SALU_CYCLE_1)
	s_or_b32 exec_lo, exec_lo, s0
	s_mov_b32 s0, exec_lo
	v_cmpx_ne_u32_e64 v64, v58
	s_xor_b32 s0, exec_lo, s0
	s_cbranch_execz .LBB48_478
; %bb.473:
	s_mov_b32 s1, exec_lo
	v_cmpx_eq_u32_e32 22, v64
	s_cbranch_execz .LBB48_477
; %bb.474:
	v_cmp_ne_u32_e32 vcc_lo, 22, v58
	s_xor_b32 s12, s16, -1
	s_delay_alu instid0(SALU_CYCLE_1) | instskip(NEXT) | instid1(SALU_CYCLE_1)
	s_and_b32 s13, s12, vcc_lo
	s_and_saveexec_b32 s12, s13
	s_cbranch_execz .LBB48_476
; %bb.475:
	v_ashrrev_i32_e32 v59, 31, v58
	s_delay_alu instid0(VALU_DEP_1)
	v_lshl_add_u64 v[64:65], v[58:59], 2, v[4:5]
	s_clause 0x1
	global_load_b32 v59, v[64:65], off
	global_load_b32 v62, v[4:5], off offset:88
	s_wait_loadcnt 0x1
	global_store_b32 v[4:5], v59, off offset:88
	s_wait_loadcnt 0x0
	global_store_b32 v[64:65], v62, off
.LBB48_476:
	s_wait_xcnt 0x0
	s_or_b32 exec_lo, exec_lo, s12
	v_dual_mov_b32 v64, v58 :: v_dual_mov_b32 v62, v58
.LBB48_477:
	s_or_b32 exec_lo, exec_lo, s1
.LBB48_478:
	s_and_not1_saveexec_b32 s0, s0
; %bb.479:
	v_mov_b32_e32 v64, 22
	ds_store_2addr_b64 v60, v[16:17], v[54:55] offset0:23 offset1:24
; %bb.480:
	s_or_b32 exec_lo, exec_lo, s0
	s_delay_alu instid0(SALU_CYCLE_1)
	s_mov_b32 s0, exec_lo
	s_wait_storecnt_dscnt 0x0
	s_barrier_signal -1
	s_barrier_wait -1
	v_cmpx_lt_i32_e32 22, v64
	s_cbranch_execz .LBB48_482
; %bb.481:
	ds_load_2addr_b64 v[66:69], v60 offset0:23 offset1:24
	v_pk_mul_f32 v[58:59], v[56:57], v[26:27] op_sel:[1,1] op_sel_hi:[0,1]
	s_delay_alu instid0(VALU_DEP_1) | instskip(SKIP_3) | instid1(VALU_DEP_3)
	v_pk_fma_f32 v[70:71], v[56:57], v[26:27], v[58:59] op_sel_hi:[1,0,1]
	v_pk_fma_f32 v[26:27], v[56:57], v[26:27], v[58:59] op_sel_hi:[1,0,1] neg_lo:[0,0,1] neg_hi:[0,0,1]
	s_wait_dscnt 0x0
	v_dual_mov_b32 v72, v69 :: v_dual_mov_b32 v73, v68
	v_pk_mul_f32 v[56:57], v[66:67], v[70:71] op_sel:[0,1]
	s_delay_alu instid0(VALU_DEP_2) | instskip(NEXT) | instid1(VALU_DEP_2)
	v_pk_mul_f32 v[58:59], v[72:73], v[70:71] op_sel:[0,1]
	v_pk_fma_f32 v[72:73], v[66:67], v[26:27], v[56:57] op_sel:[0,0,1] op_sel_hi:[1,0,0]
	v_pk_fma_f32 v[56:57], v[66:67], v[26:27], v[56:57] op_sel:[0,0,1] op_sel_hi:[1,1,0] neg_lo:[0,0,1] neg_hi:[0,0,1]
	s_delay_alu instid0(VALU_DEP_3) | instskip(SKIP_1) | instid1(VALU_DEP_4)
	v_pk_fma_f32 v[74:75], v[68:69], v[26:27], v[58:59] op_sel_hi:[1,0,1]
	v_pk_fma_f32 v[58:59], v[68:69], v[26:27], v[58:59] neg_lo:[0,0,1] neg_hi:[0,0,1]
	v_dual_mov_b32 v57, v73 :: v_dual_mov_b32 v27, v71
	s_delay_alu instid0(VALU_DEP_3) | instskip(NEXT) | instid1(VALU_DEP_2)
	v_mov_b32_e32 v59, v75
	v_pk_add_f32 v[16:17], v[16:17], v[56:57] neg_lo:[0,1] neg_hi:[0,1]
	s_delay_alu instid0(VALU_DEP_2)
	v_pk_add_f32 v[54:55], v[54:55], v[58:59] neg_lo:[0,1] neg_hi:[0,1]
.LBB48_482:
	s_or_b32 exec_lo, exec_lo, s0
	v_lshl_add_u32 v56, v64, 3, v60
	s_barrier_signal -1
	s_barrier_wait -1
	ds_store_b64 v56, v[16:17]
	s_wait_dscnt 0x0
	s_barrier_signal -1
	s_barrier_wait -1
	ds_load_b64 v[56:57], v60 offset:184
	v_mov_b32_e32 v58, 23
	s_cmp_lt_i32 s18, 25
	s_cbranch_scc1 .LBB48_485
; %bb.483:
	v_add3_u32 v59, v61, 0, 0xc0
	v_mov_b32_e32 v58, 23
	s_mov_b32 s0, 24
.LBB48_484:                             ; =>This Inner Loop Header: Depth=1
	ds_load_b64 v[66:67], v59
	s_wait_dscnt 0x1
	v_cmp_gt_f32_e32 vcc_lo, 0, v56
	v_cndmask_b32_e64 v68, v56, -v56, vcc_lo
	v_cmp_gt_f32_e32 vcc_lo, 0, v57
	v_cndmask_b32_e64 v70, v57, -v57, vcc_lo
	s_wait_dscnt 0x0
	v_cmp_gt_f32_e32 vcc_lo, 0, v66
	v_cndmask_b32_e64 v69, v66, -v66, vcc_lo
	v_cmp_gt_f32_e32 vcc_lo, 0, v67
	v_cndmask_b32_e64 v71, v67, -v67, vcc_lo
	s_delay_alu instid0(VALU_DEP_1) | instskip(NEXT) | instid1(VALU_DEP_1)
	v_pk_add_f32 v[68:69], v[68:69], v[70:71]
	v_cmp_lt_f32_e32 vcc_lo, v68, v69
	v_dual_cndmask_b32 v56, v56, v66 :: v_dual_add_nc_u32 v59, 8, v59
	v_cndmask_b32_e32 v57, v57, v67, vcc_lo
	v_cndmask_b32_e64 v58, v58, s0, vcc_lo
	s_add_co_i32 s0, s0, 1
	s_delay_alu instid0(SALU_CYCLE_1)
	s_cmp_lg_u32 s18, s0
	s_cbranch_scc1 .LBB48_484
.LBB48_485:
	s_wait_dscnt 0x0
	v_cmp_eq_f32_e32 vcc_lo, 0, v56
	v_cmp_eq_f32_e64 s0, 0, v57
	s_and_b32 s0, vcc_lo, s0
	s_delay_alu instid0(SALU_CYCLE_1) | instskip(NEXT) | instid1(SALU_CYCLE_1)
	s_and_saveexec_b32 s1, s0
	s_xor_b32 s0, exec_lo, s1
; %bb.486:
	v_cmp_ne_u32_e32 vcc_lo, 0, v63
	v_cndmask_b32_e32 v63, 24, v63, vcc_lo
; %bb.487:
	s_and_not1_saveexec_b32 s0, s0
	s_cbranch_execz .LBB48_493
; %bb.488:
	v_cmp_ngt_f32_e64 s1, |v56|, |v57|
	s_and_saveexec_b32 s12, s1
	s_delay_alu instid0(SALU_CYCLE_1)
	s_xor_b32 s1, exec_lo, s12
	s_cbranch_execz .LBB48_490
; %bb.489:
	v_div_scale_f32 v59, null, v57, v57, v56
	v_div_scale_f32 v67, vcc_lo, v56, v57, v56
	s_delay_alu instid0(VALU_DEP_2) | instskip(SKIP_1) | instid1(TRANS32_DEP_1)
	v_rcp_f32_e32 v65, v59
	v_nop
	v_fma_f32 v66, -v59, v65, 1.0
	s_delay_alu instid0(VALU_DEP_1) | instskip(NEXT) | instid1(VALU_DEP_1)
	v_fmac_f32_e32 v65, v66, v65
	v_mul_f32_e32 v66, v67, v65
	s_delay_alu instid0(VALU_DEP_1) | instskip(NEXT) | instid1(VALU_DEP_1)
	v_fma_f32 v68, -v59, v66, v67
	v_fmac_f32_e32 v66, v68, v65
	s_delay_alu instid0(VALU_DEP_1) | instskip(NEXT) | instid1(VALU_DEP_1)
	v_fma_f32 v59, -v59, v66, v67
	v_div_fmas_f32 v59, v59, v65, v66
	s_delay_alu instid0(VALU_DEP_1) | instskip(NEXT) | instid1(VALU_DEP_1)
	v_div_fixup_f32 v59, v59, v57, v56
	v_fmac_f32_e32 v57, v56, v59
	s_delay_alu instid0(VALU_DEP_1) | instskip(SKIP_1) | instid1(VALU_DEP_2)
	v_div_scale_f32 v56, null, v57, v57, 1.0
	v_div_scale_f32 v67, vcc_lo, 1.0, v57, 1.0
	v_rcp_f32_e32 v65, v56
	v_nop
	s_delay_alu instid0(TRANS32_DEP_1) | instskip(NEXT) | instid1(VALU_DEP_1)
	v_fma_f32 v66, -v56, v65, 1.0
	v_fmac_f32_e32 v65, v66, v65
	s_delay_alu instid0(VALU_DEP_1) | instskip(NEXT) | instid1(VALU_DEP_1)
	v_mul_f32_e32 v66, v67, v65
	v_fma_f32 v68, -v56, v66, v67
	s_delay_alu instid0(VALU_DEP_1) | instskip(NEXT) | instid1(VALU_DEP_1)
	v_fmac_f32_e32 v66, v68, v65
	v_fma_f32 v56, -v56, v66, v67
	s_delay_alu instid0(VALU_DEP_1) | instskip(NEXT) | instid1(VALU_DEP_1)
	v_div_fmas_f32 v56, v56, v65, v66
	v_div_fixup_f32 v57, v56, v57, 1.0
	s_delay_alu instid0(VALU_DEP_1)
	v_mul_f32_e32 v56, v59, v57
	v_xor_b32_e32 v57, 0x80000000, v57
.LBB48_490:
	s_and_not1_saveexec_b32 s1, s1
	s_cbranch_execz .LBB48_492
; %bb.491:
	s_delay_alu instid0(VALU_DEP_1) | instskip(SKIP_1) | instid1(VALU_DEP_2)
	v_div_scale_f32 v59, null, v56, v56, v57
	v_div_scale_f32 v67, vcc_lo, v57, v56, v57
	v_rcp_f32_e32 v65, v59
	v_nop
	s_delay_alu instid0(TRANS32_DEP_1) | instskip(NEXT) | instid1(VALU_DEP_1)
	v_fma_f32 v66, -v59, v65, 1.0
	v_fmac_f32_e32 v65, v66, v65
	s_delay_alu instid0(VALU_DEP_1) | instskip(NEXT) | instid1(VALU_DEP_1)
	v_mul_f32_e32 v66, v67, v65
	v_fma_f32 v68, -v59, v66, v67
	s_delay_alu instid0(VALU_DEP_1) | instskip(NEXT) | instid1(VALU_DEP_1)
	v_fmac_f32_e32 v66, v68, v65
	v_fma_f32 v59, -v59, v66, v67
	s_delay_alu instid0(VALU_DEP_1) | instskip(NEXT) | instid1(VALU_DEP_1)
	v_div_fmas_f32 v59, v59, v65, v66
	v_div_fixup_f32 v59, v59, v56, v57
	s_delay_alu instid0(VALU_DEP_1) | instskip(NEXT) | instid1(VALU_DEP_1)
	v_fmac_f32_e32 v56, v57, v59
	v_div_scale_f32 v57, null, v56, v56, 1.0
	s_delay_alu instid0(VALU_DEP_1) | instskip(SKIP_1) | instid1(TRANS32_DEP_1)
	v_rcp_f32_e32 v65, v57
	v_nop
	v_fma_f32 v66, -v57, v65, 1.0
	s_delay_alu instid0(VALU_DEP_1) | instskip(SKIP_1) | instid1(VALU_DEP_1)
	v_fmac_f32_e32 v65, v66, v65
	v_div_scale_f32 v66, vcc_lo, 1.0, v56, 1.0
	v_mul_f32_e32 v67, v66, v65
	s_delay_alu instid0(VALU_DEP_1) | instskip(NEXT) | instid1(VALU_DEP_1)
	v_fma_f32 v68, -v57, v67, v66
	v_fmac_f32_e32 v67, v68, v65
	s_delay_alu instid0(VALU_DEP_1) | instskip(NEXT) | instid1(VALU_DEP_1)
	v_fma_f32 v57, -v57, v67, v66
	v_div_fmas_f32 v57, v57, v65, v67
	s_delay_alu instid0(VALU_DEP_1) | instskip(NEXT) | instid1(VALU_DEP_1)
	v_div_fixup_f32 v56, v57, v56, 1.0
	v_mul_f32_e64 v57, v59, -v56
.LBB48_492:
	s_or_b32 exec_lo, exec_lo, s1
.LBB48_493:
	s_delay_alu instid0(SALU_CYCLE_1) | instskip(NEXT) | instid1(SALU_CYCLE_1)
	s_or_b32 exec_lo, exec_lo, s0
	s_mov_b32 s0, exec_lo
	v_cmpx_ne_u32_e64 v64, v58
	s_xor_b32 s0, exec_lo, s0
	s_cbranch_execz .LBB48_499
; %bb.494:
	s_mov_b32 s1, exec_lo
	v_cmpx_eq_u32_e32 23, v64
	s_cbranch_execz .LBB48_498
; %bb.495:
	v_cmp_ne_u32_e32 vcc_lo, 23, v58
	s_xor_b32 s12, s16, -1
	s_delay_alu instid0(SALU_CYCLE_1) | instskip(NEXT) | instid1(SALU_CYCLE_1)
	s_and_b32 s13, s12, vcc_lo
	s_and_saveexec_b32 s12, s13
	s_cbranch_execz .LBB48_497
; %bb.496:
	v_ashrrev_i32_e32 v59, 31, v58
	s_delay_alu instid0(VALU_DEP_1)
	v_lshl_add_u64 v[64:65], v[58:59], 2, v[4:5]
	s_clause 0x1
	global_load_b32 v59, v[64:65], off
	global_load_b32 v62, v[4:5], off offset:92
	s_wait_loadcnt 0x1
	global_store_b32 v[4:5], v59, off offset:92
	s_wait_loadcnt 0x0
	global_store_b32 v[64:65], v62, off
.LBB48_497:
	s_wait_xcnt 0x0
	s_or_b32 exec_lo, exec_lo, s12
	v_dual_mov_b32 v64, v58 :: v_dual_mov_b32 v62, v58
.LBB48_498:
	s_or_b32 exec_lo, exec_lo, s1
.LBB48_499:
	s_and_not1_saveexec_b32 s0, s0
; %bb.500:
	v_mov_b32_e32 v64, 23
	ds_store_b64 v60, v[54:55] offset:192
; %bb.501:
	s_or_b32 exec_lo, exec_lo, s0
	s_delay_alu instid0(SALU_CYCLE_1)
	s_mov_b32 s0, exec_lo
	s_wait_storecnt_dscnt 0x0
	s_barrier_signal -1
	s_barrier_wait -1
	v_cmpx_lt_i32_e32 23, v64
	s_cbranch_execz .LBB48_503
; %bb.502:
	ds_load_b64 v[58:59], v60 offset:192
	v_pk_mul_f32 v[66:67], v[56:57], v[16:17] op_sel:[1,1] op_sel_hi:[0,1]
	s_delay_alu instid0(VALU_DEP_1) | instskip(SKIP_2) | instid1(VALU_DEP_2)
	v_pk_fma_f32 v[68:69], v[56:57], v[16:17], v[66:67] op_sel_hi:[1,0,1]
	v_pk_fma_f32 v[16:17], v[56:57], v[16:17], v[66:67] op_sel_hi:[1,0,1] neg_lo:[0,0,1] neg_hi:[0,0,1]
	s_wait_dscnt 0x0
	v_pk_mul_f32 v[56:57], v[58:59], v[68:69] op_sel:[1,1] op_sel_hi:[0,1]
	s_delay_alu instid0(VALU_DEP_1) | instskip(SKIP_1) | instid1(VALU_DEP_2)
	v_pk_fma_f32 v[66:67], v[58:59], v[16:17], v[56:57] op_sel_hi:[1,0,1]
	v_pk_fma_f32 v[56:57], v[58:59], v[16:17], v[56:57] neg_lo:[0,0,1] neg_hi:[0,0,1]
	v_dual_mov_b32 v17, v69 :: v_dual_mov_b32 v57, v67
	s_delay_alu instid0(VALU_DEP_1)
	v_pk_add_f32 v[54:55], v[54:55], v[56:57] neg_lo:[0,1] neg_hi:[0,1]
.LBB48_503:
	s_or_b32 exec_lo, exec_lo, s0
	v_lshl_add_u32 v56, v64, 3, v60
	s_barrier_signal -1
	s_barrier_wait -1
	ds_store_b64 v56, v[54:55]
	s_wait_dscnt 0x0
	s_barrier_signal -1
	s_barrier_wait -1
	ds_load_b64 v[56:57], v60 offset:192
	v_mov_b32_e32 v58, 24
	s_cmp_lt_i32 s18, 26
	s_cbranch_scc1 .LBB48_506
; %bb.504:
	v_add3_u32 v59, v61, 0, 0xc8
	v_mov_b32_e32 v58, 24
	s_mov_b32 s0, 25
.LBB48_505:                             ; =>This Inner Loop Header: Depth=1
	ds_load_b64 v[60:61], v59
	s_wait_dscnt 0x1
	v_cmp_gt_f32_e32 vcc_lo, 0, v56
	v_cndmask_b32_e64 v66, v56, -v56, vcc_lo
	v_cmp_gt_f32_e32 vcc_lo, 0, v57
	v_cndmask_b32_e64 v68, v57, -v57, vcc_lo
	s_wait_dscnt 0x0
	v_cmp_gt_f32_e32 vcc_lo, 0, v60
	v_cndmask_b32_e64 v67, v60, -v60, vcc_lo
	v_cmp_gt_f32_e32 vcc_lo, 0, v61
	v_cndmask_b32_e64 v69, v61, -v61, vcc_lo
	s_delay_alu instid0(VALU_DEP_1) | instskip(NEXT) | instid1(VALU_DEP_1)
	v_pk_add_f32 v[66:67], v[66:67], v[68:69]
	v_cmp_lt_f32_e32 vcc_lo, v66, v67
	v_dual_add_nc_u32 v59, 8, v59 :: v_dual_cndmask_b32 v57, v57, v61, vcc_lo
	v_cndmask_b32_e32 v56, v56, v60, vcc_lo
	v_cndmask_b32_e64 v58, v58, s0, vcc_lo
	s_add_co_i32 s0, s0, 1
	s_delay_alu instid0(SALU_CYCLE_1)
	s_cmp_lg_u32 s18, s0
	s_cbranch_scc1 .LBB48_505
.LBB48_506:
	s_wait_dscnt 0x0
	v_cmp_eq_f32_e32 vcc_lo, 0, v56
	v_cmp_eq_f32_e64 s0, 0, v57
	s_and_b32 s0, vcc_lo, s0
	s_delay_alu instid0(SALU_CYCLE_1) | instskip(NEXT) | instid1(SALU_CYCLE_1)
	s_and_saveexec_b32 s1, s0
	s_xor_b32 s0, exec_lo, s1
; %bb.507:
	v_cmp_ne_u32_e32 vcc_lo, 0, v63
	v_cndmask_b32_e32 v63, 25, v63, vcc_lo
; %bb.508:
	s_and_not1_saveexec_b32 s0, s0
	s_cbranch_execz .LBB48_514
; %bb.509:
	v_cmp_ngt_f32_e64 s1, |v56|, |v57|
	s_and_saveexec_b32 s12, s1
	s_delay_alu instid0(SALU_CYCLE_1)
	s_xor_b32 s1, exec_lo, s12
	s_cbranch_execz .LBB48_511
; %bb.510:
	v_div_scale_f32 v59, null, v57, v57, v56
	v_div_scale_f32 v65, vcc_lo, v56, v57, v56
	s_delay_alu instid0(VALU_DEP_2) | instskip(SKIP_1) | instid1(TRANS32_DEP_1)
	v_rcp_f32_e32 v60, v59
	v_nop
	v_fma_f32 v61, -v59, v60, 1.0
	s_delay_alu instid0(VALU_DEP_1) | instskip(NEXT) | instid1(VALU_DEP_1)
	v_fmac_f32_e32 v60, v61, v60
	v_mul_f32_e32 v61, v65, v60
	s_delay_alu instid0(VALU_DEP_1) | instskip(NEXT) | instid1(VALU_DEP_1)
	v_fma_f32 v66, -v59, v61, v65
	v_fmac_f32_e32 v61, v66, v60
	s_delay_alu instid0(VALU_DEP_1) | instskip(NEXT) | instid1(VALU_DEP_1)
	v_fma_f32 v59, -v59, v61, v65
	v_div_fmas_f32 v59, v59, v60, v61
	s_delay_alu instid0(VALU_DEP_1) | instskip(NEXT) | instid1(VALU_DEP_1)
	v_div_fixup_f32 v59, v59, v57, v56
	v_fmac_f32_e32 v57, v56, v59
	s_delay_alu instid0(VALU_DEP_1) | instskip(SKIP_1) | instid1(VALU_DEP_2)
	v_div_scale_f32 v56, null, v57, v57, 1.0
	v_div_scale_f32 v65, vcc_lo, 1.0, v57, 1.0
	v_rcp_f32_e32 v60, v56
	v_nop
	s_delay_alu instid0(TRANS32_DEP_1) | instskip(NEXT) | instid1(VALU_DEP_1)
	v_fma_f32 v61, -v56, v60, 1.0
	v_fmac_f32_e32 v60, v61, v60
	s_delay_alu instid0(VALU_DEP_1) | instskip(NEXT) | instid1(VALU_DEP_1)
	v_mul_f32_e32 v61, v65, v60
	v_fma_f32 v66, -v56, v61, v65
	s_delay_alu instid0(VALU_DEP_1) | instskip(NEXT) | instid1(VALU_DEP_1)
	v_fmac_f32_e32 v61, v66, v60
	v_fma_f32 v56, -v56, v61, v65
	s_delay_alu instid0(VALU_DEP_1) | instskip(NEXT) | instid1(VALU_DEP_1)
	v_div_fmas_f32 v56, v56, v60, v61
	v_div_fixup_f32 v57, v56, v57, 1.0
	s_delay_alu instid0(VALU_DEP_1)
	v_mul_f32_e32 v56, v59, v57
	v_xor_b32_e32 v57, 0x80000000, v57
.LBB48_511:
	s_and_not1_saveexec_b32 s1, s1
	s_cbranch_execz .LBB48_513
; %bb.512:
	s_delay_alu instid0(VALU_DEP_1) | instskip(SKIP_1) | instid1(VALU_DEP_2)
	v_div_scale_f32 v59, null, v56, v56, v57
	v_div_scale_f32 v65, vcc_lo, v57, v56, v57
	v_rcp_f32_e32 v60, v59
	v_nop
	s_delay_alu instid0(TRANS32_DEP_1) | instskip(NEXT) | instid1(VALU_DEP_1)
	v_fma_f32 v61, -v59, v60, 1.0
	v_fmac_f32_e32 v60, v61, v60
	s_delay_alu instid0(VALU_DEP_1) | instskip(NEXT) | instid1(VALU_DEP_1)
	v_mul_f32_e32 v61, v65, v60
	v_fma_f32 v66, -v59, v61, v65
	s_delay_alu instid0(VALU_DEP_1) | instskip(NEXT) | instid1(VALU_DEP_1)
	v_fmac_f32_e32 v61, v66, v60
	v_fma_f32 v59, -v59, v61, v65
	s_delay_alu instid0(VALU_DEP_1) | instskip(NEXT) | instid1(VALU_DEP_1)
	v_div_fmas_f32 v59, v59, v60, v61
	v_div_fixup_f32 v59, v59, v56, v57
	s_delay_alu instid0(VALU_DEP_1) | instskip(NEXT) | instid1(VALU_DEP_1)
	v_fmac_f32_e32 v56, v57, v59
	v_div_scale_f32 v57, null, v56, v56, 1.0
	s_delay_alu instid0(VALU_DEP_1) | instskip(SKIP_1) | instid1(TRANS32_DEP_1)
	v_rcp_f32_e32 v60, v57
	v_nop
	v_fma_f32 v61, -v57, v60, 1.0
	s_delay_alu instid0(VALU_DEP_1) | instskip(SKIP_1) | instid1(VALU_DEP_1)
	v_fmac_f32_e32 v60, v61, v60
	v_div_scale_f32 v61, vcc_lo, 1.0, v56, 1.0
	v_mul_f32_e32 v65, v61, v60
	s_delay_alu instid0(VALU_DEP_1) | instskip(NEXT) | instid1(VALU_DEP_1)
	v_fma_f32 v66, -v57, v65, v61
	v_fmac_f32_e32 v65, v66, v60
	s_delay_alu instid0(VALU_DEP_1) | instskip(NEXT) | instid1(VALU_DEP_1)
	v_fma_f32 v57, -v57, v65, v61
	v_div_fmas_f32 v57, v57, v60, v65
	s_delay_alu instid0(VALU_DEP_1) | instskip(NEXT) | instid1(VALU_DEP_1)
	v_div_fixup_f32 v56, v57, v56, 1.0
	v_mul_f32_e64 v57, v59, -v56
.LBB48_513:
	s_or_b32 exec_lo, exec_lo, s1
.LBB48_514:
	s_delay_alu instid0(SALU_CYCLE_1)
	s_or_b32 exec_lo, exec_lo, s0
	v_mov_b32_e32 v60, 24
	s_mov_b32 s0, exec_lo
	v_cmpx_ne_u32_e64 v64, v58
	s_cbranch_execz .LBB48_520
; %bb.515:
	s_mov_b32 s1, exec_lo
	v_cmpx_eq_u32_e32 24, v64
	s_cbranch_execz .LBB48_519
; %bb.516:
	v_cmp_ne_u32_e32 vcc_lo, 24, v58
	s_xor_b32 s12, s16, -1
	s_delay_alu instid0(SALU_CYCLE_1) | instskip(NEXT) | instid1(SALU_CYCLE_1)
	s_and_b32 s13, s12, vcc_lo
	s_and_saveexec_b32 s12, s13
	s_cbranch_execz .LBB48_518
; %bb.517:
	v_ashrrev_i32_e32 v59, 31, v58
	s_delay_alu instid0(VALU_DEP_1)
	v_lshl_add_u64 v[60:61], v[58:59], 2, v[4:5]
	s_clause 0x1
	global_load_b32 v59, v[60:61], off
	global_load_b32 v62, v[4:5], off offset:96
	s_wait_loadcnt 0x1
	global_store_b32 v[4:5], v59, off offset:96
	s_wait_loadcnt 0x0
	global_store_b32 v[60:61], v62, off
.LBB48_518:
	s_wait_xcnt 0x0
	s_or_b32 exec_lo, exec_lo, s12
	v_dual_mov_b32 v64, v58 :: v_dual_mov_b32 v62, v58
.LBB48_519:
	s_or_b32 exec_lo, exec_lo, s1
	s_delay_alu instid0(VALU_DEP_1)
	v_mov_b32_e32 v60, v64
.LBB48_520:
	s_or_b32 exec_lo, exec_lo, s0
	s_delay_alu instid0(VALU_DEP_1)
	v_ashrrev_i32_e32 v61, 31, v60
	s_mov_b32 s0, exec_lo
	s_wait_storecnt 0x0
	s_barrier_signal -1
	s_barrier_wait -1
	s_barrier_signal -1
	s_barrier_wait -1
	v_cmpx_gt_i32_e32 25, v60
	s_cbranch_execz .LBB48_522
; %bb.521:
	v_mul_u64_e32 v[4:5], s[10:11], v[2:3]
	v_add3_u32 v58, v62, s17, 1
	s_delay_alu instid0(VALU_DEP_2) | instskip(NEXT) | instid1(VALU_DEP_1)
	v_lshl_add_u64 v[4:5], v[4:5], 2, s[6:7]
	v_lshl_add_u64 v[4:5], s[8:9], 2, v[4:5]
	s_delay_alu instid0(VALU_DEP_1)
	v_lshl_add_u64 v[4:5], v[60:61], 2, v[4:5]
	global_store_b32 v[4:5], v58, off
.LBB48_522:
	s_wait_xcnt 0x0
	s_or_b32 exec_lo, exec_lo, s0
	s_delay_alu instid0(SALU_CYCLE_1)
	s_mov_b32 s1, exec_lo
	v_cmpx_eq_u32_e32 0, v60
	s_cbranch_execz .LBB48_525
; %bb.523:
	s_wait_kmcnt 0x0
	v_lshl_add_u64 v[2:3], v[2:3], 2, s[4:5]
	v_cmp_ne_u32_e64 s0, 0, v63
	global_load_b32 v4, v[2:3], off
	s_wait_loadcnt 0x0
	v_cmp_eq_u32_e32 vcc_lo, 0, v4
	s_and_b32 s0, vcc_lo, s0
	s_wait_xcnt 0x0
	s_and_b32 exec_lo, exec_lo, s0
	s_cbranch_execz .LBB48_525
; %bb.524:
	v_add_nc_u32_e32 v4, s17, v63
	global_store_b32 v[2:3], v4, off
.LBB48_525:
	s_wait_xcnt 0x0
	s_or_b32 exec_lo, exec_lo, s1
	v_add3_u32 v2, s2, s2, v60
	v_pk_mul_f32 v[68:69], v[56:57], v[54:55] op_sel:[1,1] op_sel_hi:[0,1]
	v_cmp_lt_i32_e32 vcc_lo, 24, v60
	v_lshl_add_u64 v[60:61], v[60:61], 3, v[0:1]
	s_delay_alu instid0(VALU_DEP_4) | instskip(NEXT) | instid1(VALU_DEP_4)
	v_add_nc_u32_e32 v4, s2, v2
	v_pk_fma_f32 v[72:73], v[56:57], v[54:55], v[68:69] op_sel_hi:[1,0,1]
	v_pk_fma_f32 v[56:57], v[56:57], v[54:55], v[68:69] neg_lo:[0,0,1] neg_hi:[0,0,1]
	s_delay_alu instid0(VALU_DEP_2) | instskip(NEXT) | instid1(VALU_DEP_2)
	v_dual_cndmask_b32 v55, v55, v73 :: v_dual_add_nc_u32 v58, s2, v4
	v_cndmask_b32_e32 v54, v54, v56, vcc_lo
	v_lshl_add_u64 v[56:57], s[2:3], 3, v[60:61]
	s_delay_alu instid0(VALU_DEP_3) | instskip(NEXT) | instid1(VALU_DEP_1)
	v_add_nc_u32_e32 v62, s2, v58
	v_add_nc_u32_e32 v64, s2, v62
	s_delay_alu instid0(VALU_DEP_1) | instskip(SKIP_1) | instid1(VALU_DEP_2)
	v_dual_ashrrev_i32 v59, 31, v58 :: v_dual_add_nc_u32 v66, s2, v64
	v_ashrrev_i32_e32 v5, 31, v4
	v_dual_ashrrev_i32 v65, 31, v64 :: v_dual_add_nc_u32 v70, s2, v66
	s_delay_alu instid0(VALU_DEP_2) | instskip(NEXT) | instid1(VALU_DEP_2)
	v_lshl_add_u64 v[4:5], v[4:5], 3, v[0:1]
	v_add_nc_u32_e32 v68, s2, v70
	s_delay_alu instid0(VALU_DEP_1) | instskip(NEXT) | instid1(VALU_DEP_1)
	v_dual_ashrrev_i32 v3, 31, v2 :: v_dual_add_nc_u32 v72, s2, v68
	v_lshl_add_u64 v[2:3], v[2:3], 3, v[0:1]
	s_clause 0x3
	global_store_b64 v[60:61], v[52:53], off
	global_store_b64 v[56:57], v[48:49], off
	;; [unrolled: 1-line block ×4, first 2 shown]
	v_add_nc_u32_e32 v74, s2, v72
	s_wait_xcnt 0x0
	v_lshl_add_u64 v[46:47], v[58:59], 3, v[0:1]
	v_dual_ashrrev_i32 v71, 31, v70 :: v_dual_ashrrev_i32 v73, 31, v72
	s_delay_alu instid0(VALU_DEP_3) | instskip(SKIP_1) | instid1(VALU_DEP_2)
	v_dual_ashrrev_i32 v69, 31, v68 :: v_dual_add_nc_u32 v2, s2, v74
	v_lshl_add_u64 v[50:51], v[64:65], 3, v[0:1]
	v_add_nc_u32_e32 v4, s2, v2
	s_delay_alu instid0(VALU_DEP_1) | instskip(SKIP_1) | instid1(VALU_DEP_2)
	v_dual_ashrrev_i32 v63, 31, v62 :: v_dual_add_nc_u32 v56, s2, v4
	v_ashrrev_i32_e32 v67, 31, v66
	v_lshl_add_u64 v[48:49], v[62:63], 3, v[0:1]
	v_ashrrev_i32_e32 v5, 31, v4
	s_delay_alu instid0(VALU_DEP_4) | instskip(NEXT) | instid1(VALU_DEP_4)
	v_ashrrev_i32_e32 v57, 31, v56
	v_lshl_add_u64 v[52:53], v[66:67], 3, v[0:1]
	s_clause 0x3
	global_store_b64 v[46:47], v[44:45], off
	global_store_b64 v[48:49], v[40:41], off
	;; [unrolled: 1-line block ×4, first 2 shown]
	s_wait_xcnt 0x0
	v_add_nc_u32_e32 v38, s2, v56
	v_lshl_add_u64 v[42:43], v[70:71], 3, v[0:1]
	v_lshl_add_u64 v[44:45], v[68:69], 3, v[0:1]
	;; [unrolled: 1-line block ×4, first 2 shown]
	v_add_nc_u32_e32 v40, s2, v38
	v_ashrrev_i32_e32 v75, 31, v74
	s_delay_alu instid0(VALU_DEP_2) | instskip(NEXT) | instid1(VALU_DEP_2)
	v_dual_ashrrev_i32 v39, 31, v38 :: v_dual_add_nc_u32 v50, s2, v40
	v_lshl_add_u64 v[48:49], v[74:75], 3, v[0:1]
	s_clause 0x3
	global_store_b64 v[42:43], v[36:37], off
	global_store_b64 v[44:45], v[32:33], off
	;; [unrolled: 1-line block ×4, first 2 shown]
	s_wait_xcnt 0x3
	v_lshl_add_u64 v[36:37], v[38:39], 3, v[0:1]
	s_wait_xcnt 0x0
	v_dual_add_nc_u32 v30, s2, v50 :: v_dual_ashrrev_i32 v41, 31, v40
	v_lshl_add_u64 v[34:35], v[56:57], 3, v[0:1]
	s_delay_alu instid0(VALU_DEP_2) | instskip(SKIP_1) | instid1(VALU_DEP_2)
	v_add_nc_u32_e32 v32, s2, v30
	v_ashrrev_i32_e32 v3, 31, v2
	v_dual_ashrrev_i32 v51, 31, v50 :: v_dual_ashrrev_i32 v33, 31, v32
	v_add_nc_u32_e32 v38, s2, v32
	s_delay_alu instid0(VALU_DEP_3)
	v_lshl_add_u64 v[2:3], v[2:3], 3, v[0:1]
	s_clause 0x3
	global_store_b64 v[2:3], v[24:25], off
	global_store_b64 v[4:5], v[20:21], off
	;; [unrolled: 1-line block ×4, first 2 shown]
	s_wait_xcnt 0x3
	v_add_nc_u32_e32 v2, s2, v38
	s_wait_xcnt 0x0
	v_lshl_add_u64 v[18:19], v[40:41], 3, v[0:1]
	v_lshl_add_u64 v[20:21], v[50:51], 3, v[0:1]
	;; [unrolled: 1-line block ×3, first 2 shown]
	v_dual_add_nc_u32 v4, s2, v2 :: v_dual_ashrrev_i32 v3, 31, v2
	s_delay_alu instid0(VALU_DEP_1) | instskip(NEXT) | instid1(VALU_DEP_2)
	v_dual_ashrrev_i32 v31, 31, v30 :: v_dual_ashrrev_i32 v5, 31, v4
	v_lshl_add_u64 v[2:3], v[2:3], 3, v[0:1]
	s_delay_alu instid0(VALU_DEP_2)
	v_lshl_add_u64 v[22:23], v[30:31], 3, v[0:1]
	v_add_nc_u32_e32 v30, s2, v4
	s_clause 0x3
	global_store_b64 v[18:19], v[14:15], off
	global_store_b64 v[20:21], v[10:11], off
	;; [unrolled: 1-line block ×4, first 2 shown]
	v_lshl_add_u64 v[4:5], v[4:5], 3, v[0:1]
	s_wait_xcnt 0x0
	v_add_nc_u32_e32 v8, s2, v30
	v_ashrrev_i32_e32 v39, 31, v38
	s_delay_alu instid0(VALU_DEP_2) | instskip(NEXT) | instid1(VALU_DEP_2)
	v_dual_ashrrev_i32 v31, 31, v30 :: v_dual_ashrrev_i32 v9, 31, v8
	v_lshl_add_u64 v[10:11], v[38:39], 3, v[0:1]
	s_delay_alu instid0(VALU_DEP_2) | instskip(NEXT) | instid1(VALU_DEP_3)
	v_lshl_add_u64 v[12:13], v[30:31], 3, v[0:1]
	v_lshl_add_u64 v[0:1], v[8:9], 3, v[0:1]
	s_clause 0x4
	global_store_b64 v[10:11], v[6:7], off
	global_store_b64 v[2:3], v[28:29], off
	;; [unrolled: 1-line block ×5, first 2 shown]
.LBB48_526:
	s_sendmsg sendmsg(MSG_DEALLOC_VGPRS)
	s_endpgm
	.section	.rodata,"a",@progbits
	.p2align	6, 0x0
	.amdhsa_kernel _ZN9rocsolver6v33100L18getf2_small_kernelILi25E19rocblas_complex_numIfEiiPS3_EEvT1_T3_lS5_lPS5_llPT2_S5_S5_S7_l
		.amdhsa_group_segment_fixed_size 0
		.amdhsa_private_segment_fixed_size 0
		.amdhsa_kernarg_size 352
		.amdhsa_user_sgpr_count 2
		.amdhsa_user_sgpr_dispatch_ptr 0
		.amdhsa_user_sgpr_queue_ptr 0
		.amdhsa_user_sgpr_kernarg_segment_ptr 1
		.amdhsa_user_sgpr_dispatch_id 0
		.amdhsa_user_sgpr_kernarg_preload_length 0
		.amdhsa_user_sgpr_kernarg_preload_offset 0
		.amdhsa_user_sgpr_private_segment_size 0
		.amdhsa_wavefront_size32 1
		.amdhsa_uses_dynamic_stack 0
		.amdhsa_enable_private_segment 0
		.amdhsa_system_sgpr_workgroup_id_x 1
		.amdhsa_system_sgpr_workgroup_id_y 1
		.amdhsa_system_sgpr_workgroup_id_z 0
		.amdhsa_system_sgpr_workgroup_info 0
		.amdhsa_system_vgpr_workitem_id 1
		.amdhsa_next_free_vgpr 80
		.amdhsa_next_free_sgpr 19
		.amdhsa_named_barrier_count 0
		.amdhsa_reserve_vcc 1
		.amdhsa_float_round_mode_32 0
		.amdhsa_float_round_mode_16_64 0
		.amdhsa_float_denorm_mode_32 3
		.amdhsa_float_denorm_mode_16_64 3
		.amdhsa_fp16_overflow 0
		.amdhsa_memory_ordered 1
		.amdhsa_forward_progress 1
		.amdhsa_inst_pref_size 255
		.amdhsa_round_robin_scheduling 0
		.amdhsa_exception_fp_ieee_invalid_op 0
		.amdhsa_exception_fp_denorm_src 0
		.amdhsa_exception_fp_ieee_div_zero 0
		.amdhsa_exception_fp_ieee_overflow 0
		.amdhsa_exception_fp_ieee_underflow 0
		.amdhsa_exception_fp_ieee_inexact 0
		.amdhsa_exception_int_div_zero 0
	.end_amdhsa_kernel
	.section	.text._ZN9rocsolver6v33100L18getf2_small_kernelILi25E19rocblas_complex_numIfEiiPS3_EEvT1_T3_lS5_lPS5_llPT2_S5_S5_S7_l,"axG",@progbits,_ZN9rocsolver6v33100L18getf2_small_kernelILi25E19rocblas_complex_numIfEiiPS3_EEvT1_T3_lS5_lPS5_llPT2_S5_S5_S7_l,comdat
.Lfunc_end48:
	.size	_ZN9rocsolver6v33100L18getf2_small_kernelILi25E19rocblas_complex_numIfEiiPS3_EEvT1_T3_lS5_lPS5_llPT2_S5_S5_S7_l, .Lfunc_end48-_ZN9rocsolver6v33100L18getf2_small_kernelILi25E19rocblas_complex_numIfEiiPS3_EEvT1_T3_lS5_lPS5_llPT2_S5_S5_S7_l
                                        ; -- End function
	.set _ZN9rocsolver6v33100L18getf2_small_kernelILi25E19rocblas_complex_numIfEiiPS3_EEvT1_T3_lS5_lPS5_llPT2_S5_S5_S7_l.num_vgpr, 80
	.set _ZN9rocsolver6v33100L18getf2_small_kernelILi25E19rocblas_complex_numIfEiiPS3_EEvT1_T3_lS5_lPS5_llPT2_S5_S5_S7_l.num_agpr, 0
	.set _ZN9rocsolver6v33100L18getf2_small_kernelILi25E19rocblas_complex_numIfEiiPS3_EEvT1_T3_lS5_lPS5_llPT2_S5_S5_S7_l.numbered_sgpr, 19
	.set _ZN9rocsolver6v33100L18getf2_small_kernelILi25E19rocblas_complex_numIfEiiPS3_EEvT1_T3_lS5_lPS5_llPT2_S5_S5_S7_l.num_named_barrier, 0
	.set _ZN9rocsolver6v33100L18getf2_small_kernelILi25E19rocblas_complex_numIfEiiPS3_EEvT1_T3_lS5_lPS5_llPT2_S5_S5_S7_l.private_seg_size, 0
	.set _ZN9rocsolver6v33100L18getf2_small_kernelILi25E19rocblas_complex_numIfEiiPS3_EEvT1_T3_lS5_lPS5_llPT2_S5_S5_S7_l.uses_vcc, 1
	.set _ZN9rocsolver6v33100L18getf2_small_kernelILi25E19rocblas_complex_numIfEiiPS3_EEvT1_T3_lS5_lPS5_llPT2_S5_S5_S7_l.uses_flat_scratch, 0
	.set _ZN9rocsolver6v33100L18getf2_small_kernelILi25E19rocblas_complex_numIfEiiPS3_EEvT1_T3_lS5_lPS5_llPT2_S5_S5_S7_l.has_dyn_sized_stack, 0
	.set _ZN9rocsolver6v33100L18getf2_small_kernelILi25E19rocblas_complex_numIfEiiPS3_EEvT1_T3_lS5_lPS5_llPT2_S5_S5_S7_l.has_recursion, 0
	.set _ZN9rocsolver6v33100L18getf2_small_kernelILi25E19rocblas_complex_numIfEiiPS3_EEvT1_T3_lS5_lPS5_llPT2_S5_S5_S7_l.has_indirect_call, 0
	.section	.AMDGPU.csdata,"",@progbits
; Kernel info:
; codeLenInByte = 42948
; TotalNumSgprs: 21
; NumVgprs: 80
; ScratchSize: 0
; MemoryBound: 0
; FloatMode: 240
; IeeeMode: 1
; LDSByteSize: 0 bytes/workgroup (compile time only)
; SGPRBlocks: 0
; VGPRBlocks: 4
; NumSGPRsForWavesPerEU: 21
; NumVGPRsForWavesPerEU: 80
; NamedBarCnt: 0
; Occupancy: 12
; WaveLimiterHint : 0
; COMPUTE_PGM_RSRC2:SCRATCH_EN: 0
; COMPUTE_PGM_RSRC2:USER_SGPR: 2
; COMPUTE_PGM_RSRC2:TRAP_HANDLER: 0
; COMPUTE_PGM_RSRC2:TGID_X_EN: 1
; COMPUTE_PGM_RSRC2:TGID_Y_EN: 1
; COMPUTE_PGM_RSRC2:TGID_Z_EN: 0
; COMPUTE_PGM_RSRC2:TIDIG_COMP_CNT: 1
	.section	.text._ZN9rocsolver6v33100L23getf2_npvt_small_kernelILi25E19rocblas_complex_numIfEiiPS3_EEvT1_T3_lS5_lPT2_S5_S5_,"axG",@progbits,_ZN9rocsolver6v33100L23getf2_npvt_small_kernelILi25E19rocblas_complex_numIfEiiPS3_EEvT1_T3_lS5_lPT2_S5_S5_,comdat
	.globl	_ZN9rocsolver6v33100L23getf2_npvt_small_kernelILi25E19rocblas_complex_numIfEiiPS3_EEvT1_T3_lS5_lPT2_S5_S5_ ; -- Begin function _ZN9rocsolver6v33100L23getf2_npvt_small_kernelILi25E19rocblas_complex_numIfEiiPS3_EEvT1_T3_lS5_lPT2_S5_S5_
	.p2align	8
	.type	_ZN9rocsolver6v33100L23getf2_npvt_small_kernelILi25E19rocblas_complex_numIfEiiPS3_EEvT1_T3_lS5_lPT2_S5_S5_,@function
_ZN9rocsolver6v33100L23getf2_npvt_small_kernelILi25E19rocblas_complex_numIfEiiPS3_EEvT1_T3_lS5_lPT2_S5_S5_: ; @_ZN9rocsolver6v33100L23getf2_npvt_small_kernelILi25E19rocblas_complex_numIfEiiPS3_EEvT1_T3_lS5_lPT2_S5_S5_
; %bb.0:
	s_clause 0x1
	s_load_u16 s14, s[0:1], 0x46
	s_load_b64 s[2:3], s[0:1], 0x30
	s_bfe_u32 s4, ttmp6, 0x40010
	s_bfe_u32 s5, ttmp6, 0x40004
	s_add_co_i32 s4, s4, 1
	s_getreg_b32 s6, hwreg(HW_REG_IB_STS2, 6, 4)
	s_mul_i32 s4, ttmp7, s4
	v_bfe_u32 v102, v0, 10, 10
	s_add_co_i32 s5, s5, s4
	s_cmp_eq_u32 s6, 0
	s_cselect_b32 s4, ttmp7, s5
	s_wait_kmcnt 0x0
	v_mad_u32 v2, s4, s14, v102
	s_delay_alu instid0(VALU_DEP_1)
	v_cmp_gt_i32_e32 vcc_lo, s2, v2
	s_and_saveexec_b32 s2, vcc_lo
	s_cbranch_execz .LBB49_228
; %bb.1:
	s_clause 0x1
	s_load_b32 s12, s[0:1], 0x18
	s_load_b128 s[8:11], s[0:1], 0x8
	v_and_b32_e32 v152, 0x3ff, v0
	s_load_b128 s[4:7], s[0:1], 0x20
	v_lshlrev_b32_e32 v103, 3, v102
	s_mulk_i32 s14, 0xc8
	v_mad_u32_u24 v154, 0xc8, v102, 0
	s_wait_xcnt 0x0
	v_cmp_ne_u32_e64 s1, 0, v152
	v_cmp_eq_u32_e64 s0, 0, v152
	v_add3_u32 v153, 0, s14, v103
	v_dual_ashrrev_i32 v3, 31, v2 :: v_dual_mov_b32 v11, 0
	v_lshlrev_b32_e32 v10, 3, v152
	s_wait_kmcnt 0x0
	v_add3_u32 v0, s12, s12, v152
	s_ashr_i32 s13, s12, 31
	v_mul_u64_e32 v[8:9], s[4:5], v[2:3]
	s_delay_alu instid0(VALU_DEP_2) | instskip(NEXT) | instid1(VALU_DEP_1)
	v_add_nc_u32_e32 v4, s12, v0
	v_add_nc_u32_e32 v6, s12, v4
	s_delay_alu instid0(VALU_DEP_1) | instskip(NEXT) | instid1(VALU_DEP_1)
	v_dual_add_nc_u32 v12, s12, v6 :: v_dual_ashrrev_i32 v7, 31, v6
	v_add_nc_u32_e32 v14, s12, v12
	s_delay_alu instid0(VALU_DEP_1) | instskip(NEXT) | instid1(VALU_DEP_1)
	v_add_nc_u32_e32 v18, s12, v14
	v_dual_add_nc_u32 v20, s12, v18 :: v_dual_ashrrev_i32 v1, 31, v0
	s_delay_alu instid0(VALU_DEP_1) | instskip(SKIP_2) | instid1(VALU_DEP_3)
	v_dual_ashrrev_i32 v15, 31, v14 :: v_dual_add_nc_u32 v22, s12, v20
	v_lshl_add_u64 v[8:9], v[8:9], 3, s[8:9]
	v_dual_ashrrev_i32 v5, 31, v4 :: v_dual_ashrrev_i32 v19, 31, v18
	v_add_nc_u32_e32 v30, s12, v22
	s_delay_alu instid0(VALU_DEP_3) | instskip(SKIP_1) | instid1(VALU_DEP_3)
	v_lshl_add_u64 v[74:75], s[10:11], 3, v[8:9]
	v_ashrrev_i32_e32 v23, 31, v22
	v_add_nc_u32_e32 v32, s12, v30
	s_delay_alu instid0(VALU_DEP_3)
	v_add_nc_u64_e32 v[16:17], v[74:75], v[10:11]
	v_lshl_add_u64 v[10:11], v[6:7], 3, v[74:75]
	v_lshl_add_u64 v[6:7], v[14:15], 3, v[74:75]
	;; [unrolled: 1-line block ×3, first 2 shown]
	v_add_nc_u32_e32 v36, s12, v32
	v_lshl_add_u64 v[0:1], v[0:1], 3, v[74:75]
	v_ashrrev_i32_e32 v31, 31, v30
	v_lshl_add_u64 v[34:35], s[12:13], 3, v[16:17]
	s_delay_alu instid0(VALU_DEP_4) | instskip(NEXT) | instid1(VALU_DEP_1)
	v_add_nc_u32_e32 v44, s12, v36
	v_add_nc_u32_e32 v46, s12, v44
	s_delay_alu instid0(VALU_DEP_1) | instskip(NEXT) | instid1(VALU_DEP_1)
	v_dual_ashrrev_i32 v13, 31, v12 :: v_dual_add_nc_u32 v48, s12, v46
	v_lshl_add_u64 v[4:5], v[12:13], 3, v[74:75]
	v_lshl_add_u64 v[12:13], v[18:19], 3, v[74:75]
	;; [unrolled: 1-line block ×3, first 2 shown]
	s_clause 0x3
	global_load_b64 v[28:29], v[10:11], off
	global_load_b64 v[24:25], v[4:5], off
	;; [unrolled: 1-line block ×4, first 2 shown]
	v_add_nc_u32_e32 v54, s12, v48
	v_ashrrev_i32_e32 v21, 31, v20
	s_clause 0x3
	global_load_b64 v[56:57], v[16:17], off
	global_load_b64 v[58:59], v[34:35], off
	;; [unrolled: 1-line block ×4, first 2 shown]
	v_ashrrev_i32_e32 v47, 31, v46
	v_add_nc_u32_e32 v60, s12, v54
	v_lshl_add_u64 v[14:15], v[20:21], 3, v[74:75]
	v_lshl_add_u64 v[20:21], v[30:31], 3, v[74:75]
	s_delay_alu instid0(VALU_DEP_4) | instskip(NEXT) | instid1(VALU_DEP_4)
	v_lshl_add_u64 v[46:47], v[46:47], 3, v[74:75]
	v_add_nc_u32_e32 v62, s12, v60
	s_delay_alu instid0(VALU_DEP_1) | instskip(SKIP_2) | instid1(VALU_DEP_3)
	v_dual_ashrrev_i32 v45, 31, v44 :: v_dual_ashrrev_i32 v63, 31, v62
	v_dual_add_nc_u32 v64, s12, v62 :: v_dual_ashrrev_i32 v33, 31, v32
	v_ashrrev_i32_e32 v55, 31, v54
	v_lshl_add_u64 v[44:45], v[44:45], 3, v[74:75]
	s_delay_alu instid0(VALU_DEP_4) | instskip(NEXT) | instid1(VALU_DEP_4)
	v_lshl_add_u64 v[62:63], v[62:63], 3, v[74:75]
	v_dual_add_nc_u32 v76, s12, v64 :: v_dual_ashrrev_i32 v65, 31, v64
	v_lshl_add_u64 v[30:31], v[32:33], 3, v[74:75]
	v_lshl_add_u64 v[54:55], v[54:55], 3, v[74:75]
	s_delay_alu instid0(VALU_DEP_3) | instskip(SKIP_3) | instid1(VALU_DEP_4)
	v_dual_add_nc_u32 v78, s12, v76 :: v_dual_ashrrev_i32 v77, 31, v76
	v_ashrrev_i32_e32 v37, 31, v36
	v_ashrrev_i32_e32 v61, 31, v60
	v_lshl_add_u64 v[64:65], v[64:65], 3, v[74:75]
	v_dual_add_nc_u32 v80, s12, v78 :: v_dual_ashrrev_i32 v79, 31, v78
	s_delay_alu instid0(VALU_DEP_4) | instskip(NEXT) | instid1(VALU_DEP_4)
	v_lshl_add_u64 v[32:33], v[36:37], 3, v[74:75]
	v_lshl_add_u64 v[60:61], v[60:61], 3, v[74:75]
	v_lshl_add_u64 v[76:77], v[76:77], 3, v[74:75]
	s_delay_alu instid0(VALU_DEP_4)
	v_dual_add_nc_u32 v82, s12, v80 :: v_dual_ashrrev_i32 v81, 31, v80
	v_ashrrev_i32_e32 v49, 31, v48
	s_clause 0x3
	global_load_b64 v[42:43], v[14:15], off
	global_load_b64 v[38:39], v[18:19], off
	;; [unrolled: 1-line block ×4, first 2 shown]
	v_lshl_add_u64 v[78:79], v[78:79], 3, v[74:75]
	v_dual_add_nc_u32 v84, s12, v82 :: v_dual_ashrrev_i32 v83, 31, v82
	v_lshl_add_u64 v[48:49], v[48:49], 3, v[74:75]
	s_clause 0x3
	global_load_b64 v[72:73], v[32:33], off
	global_load_b64 v[68:69], v[44:45], off
	;; [unrolled: 1-line block ×4, first 2 shown]
	v_ashrrev_i32_e32 v85, 31, v84
	v_lshl_add_u64 v[80:81], v[80:81], 3, v[74:75]
	v_lshl_add_u64 v[82:83], v[82:83], 3, v[74:75]
	s_delay_alu instid0(VALU_DEP_3)
	v_lshl_add_u64 v[74:75], v[84:85], 3, v[74:75]
	s_clause 0x8
	global_load_b64 v[92:93], v[54:55], off
	global_load_b64 v[86:87], v[60:61], off
	;; [unrolled: 1-line block ×9, first 2 shown]
	s_wait_xcnt 0x0
	s_and_saveexec_b32 s4, s0
	s_cbranch_execz .LBB49_8
; %bb.2:
	s_wait_loadcnt 0x14
	ds_store_b64 v153, v[56:57]
	s_wait_loadcnt 0x12
	ds_store_2addr_b64 v154, v[58:59], v[52:53] offset0:1 offset1:2
	s_wait_loadcnt 0x11
	ds_store_2addr_b64 v154, v[50:51], v[28:29] offset0:3 offset1:4
	ds_store_2addr_b64 v154, v[24:25], v[26:27] offset0:5 offset1:6
	s_wait_loadcnt 0x10
	ds_store_2addr_b64 v154, v[22:23], v[42:43] offset0:7 offset1:8
	s_wait_loadcnt 0xe
	;; [unrolled: 2-line block ×9, first 2 shown]
	ds_store_2addr_b64 v154, v[94:95], v[100:101] offset0:23 offset1:24
	ds_load_b64 v[102:103], v153
	s_wait_dscnt 0x0
	v_cmp_neq_f32_e32 vcc_lo, 0, v102
	v_cmp_neq_f32_e64 s2, 0, v103
	s_or_b32 s2, vcc_lo, s2
	s_delay_alu instid0(SALU_CYCLE_1)
	s_and_b32 exec_lo, exec_lo, s2
	s_cbranch_execz .LBB49_8
; %bb.3:
	v_cmp_ngt_f32_e64 s2, |v102|, |v103|
                                        ; implicit-def: $vgpr104_vgpr105
	s_and_saveexec_b32 s5, s2
	s_delay_alu instid0(SALU_CYCLE_1)
	s_xor_b32 s2, exec_lo, s5
	s_cbranch_execz .LBB49_5
; %bb.4:
	v_div_scale_f32 v104, null, v103, v103, v102
	v_div_scale_f32 v107, vcc_lo, v102, v103, v102
	s_delay_alu instid0(VALU_DEP_2) | instskip(SKIP_1) | instid1(TRANS32_DEP_1)
	v_rcp_f32_e32 v105, v104
	v_nop
	v_fma_f32 v106, -v104, v105, 1.0
	s_delay_alu instid0(VALU_DEP_1) | instskip(NEXT) | instid1(VALU_DEP_1)
	v_fmac_f32_e32 v105, v106, v105
	v_mul_f32_e32 v106, v107, v105
	s_delay_alu instid0(VALU_DEP_1) | instskip(NEXT) | instid1(VALU_DEP_1)
	v_fma_f32 v108, -v104, v106, v107
	v_fmac_f32_e32 v106, v108, v105
	s_delay_alu instid0(VALU_DEP_1) | instskip(NEXT) | instid1(VALU_DEP_1)
	v_fma_f32 v104, -v104, v106, v107
	v_div_fmas_f32 v104, v104, v105, v106
	s_delay_alu instid0(VALU_DEP_1) | instskip(NEXT) | instid1(VALU_DEP_1)
	v_div_fixup_f32 v104, v104, v103, v102
	v_fmac_f32_e32 v103, v102, v104
	s_delay_alu instid0(VALU_DEP_1) | instskip(SKIP_1) | instid1(VALU_DEP_2)
	v_div_scale_f32 v102, null, v103, v103, 1.0
	v_div_scale_f32 v107, vcc_lo, 1.0, v103, 1.0
	v_rcp_f32_e32 v105, v102
	v_nop
	s_delay_alu instid0(TRANS32_DEP_1) | instskip(NEXT) | instid1(VALU_DEP_1)
	v_fma_f32 v106, -v102, v105, 1.0
	v_fmac_f32_e32 v105, v106, v105
	s_delay_alu instid0(VALU_DEP_1) | instskip(NEXT) | instid1(VALU_DEP_1)
	v_mul_f32_e32 v106, v107, v105
	v_fma_f32 v108, -v102, v106, v107
	s_delay_alu instid0(VALU_DEP_1) | instskip(NEXT) | instid1(VALU_DEP_1)
	v_fmac_f32_e32 v106, v108, v105
	v_fma_f32 v102, -v102, v106, v107
	s_delay_alu instid0(VALU_DEP_1) | instskip(NEXT) | instid1(VALU_DEP_1)
	v_div_fmas_f32 v102, v102, v105, v106
	v_div_fixup_f32 v102, v102, v103, 1.0
	s_delay_alu instid0(VALU_DEP_1)
	v_mul_f32_e32 v104, v104, v102
	v_xor_b32_e32 v105, 0x80000000, v102
                                        ; implicit-def: $vgpr102_vgpr103
.LBB49_5:
	s_and_not1_saveexec_b32 s2, s2
	s_cbranch_execz .LBB49_7
; %bb.6:
	v_div_scale_f32 v104, null, v102, v102, v103
	v_div_scale_f32 v107, vcc_lo, v103, v102, v103
	s_delay_alu instid0(VALU_DEP_2) | instskip(SKIP_1) | instid1(TRANS32_DEP_1)
	v_rcp_f32_e32 v105, v104
	v_nop
	v_fma_f32 v106, -v104, v105, 1.0
	s_delay_alu instid0(VALU_DEP_1) | instskip(NEXT) | instid1(VALU_DEP_1)
	v_fmac_f32_e32 v105, v106, v105
	v_mul_f32_e32 v106, v107, v105
	s_delay_alu instid0(VALU_DEP_1) | instskip(NEXT) | instid1(VALU_DEP_1)
	v_fma_f32 v108, -v104, v106, v107
	v_fmac_f32_e32 v106, v108, v105
	s_delay_alu instid0(VALU_DEP_1) | instskip(NEXT) | instid1(VALU_DEP_1)
	v_fma_f32 v104, -v104, v106, v107
	v_div_fmas_f32 v104, v104, v105, v106
	s_delay_alu instid0(VALU_DEP_1) | instskip(NEXT) | instid1(VALU_DEP_1)
	v_div_fixup_f32 v105, v104, v102, v103
	v_fmac_f32_e32 v102, v103, v105
	s_delay_alu instid0(VALU_DEP_1) | instskip(NEXT) | instid1(VALU_DEP_1)
	v_div_scale_f32 v103, null, v102, v102, 1.0
	v_rcp_f32_e32 v104, v103
	v_nop
	s_delay_alu instid0(TRANS32_DEP_1) | instskip(NEXT) | instid1(VALU_DEP_1)
	v_fma_f32 v106, -v103, v104, 1.0
	v_fmac_f32_e32 v104, v106, v104
	v_div_scale_f32 v106, vcc_lo, 1.0, v102, 1.0
	s_delay_alu instid0(VALU_DEP_1) | instskip(NEXT) | instid1(VALU_DEP_1)
	v_mul_f32_e32 v107, v106, v104
	v_fma_f32 v108, -v103, v107, v106
	s_delay_alu instid0(VALU_DEP_1) | instskip(NEXT) | instid1(VALU_DEP_1)
	v_fmac_f32_e32 v107, v108, v104
	v_fma_f32 v103, -v103, v107, v106
	s_delay_alu instid0(VALU_DEP_1) | instskip(NEXT) | instid1(VALU_DEP_1)
	v_div_fmas_f32 v103, v103, v104, v107
	v_div_fixup_f32 v104, v103, v102, 1.0
	s_delay_alu instid0(VALU_DEP_1)
	v_mul_f32_e64 v105, v105, -v104
.LBB49_7:
	s_or_b32 exec_lo, exec_lo, s2
	ds_store_b64 v153, v[104:105]
.LBB49_8:
	s_or_b32 exec_lo, exec_lo, s4
	s_wait_loadcnt_dscnt 0x0
	s_barrier_signal -1
	s_barrier_wait -1
	ds_load_b64 v[102:103], v153
	s_and_saveexec_b32 s2, s1
	s_cbranch_execz .LBB49_10
; %bb.9:
	ds_load_2addr_b64 v[108:111], v154 offset0:1 offset1:2
	s_wait_dscnt 0x1
	v_pk_mul_f32 v[106:107], v[102:103], v[56:57] op_sel:[1,1] op_sel_hi:[0,1]
	s_delay_alu instid0(VALU_DEP_1) | instskip(SKIP_1) | instid1(VALU_DEP_1)
	v_pk_fma_f32 v[104:105], v[102:103], v[56:57], v[106:107] op_sel_hi:[1,0,1] neg_lo:[0,0,1] neg_hi:[0,0,1]
	v_pk_fma_f32 v[106:107], v[102:103], v[56:57], v[106:107] op_sel_hi:[1,0,1]
	v_dual_mov_b32 v56, v104 :: v_dual_mov_b32 v57, v107
	s_wait_dscnt 0x0
	s_delay_alu instid0(VALU_DEP_2) | instskip(NEXT) | instid1(VALU_DEP_1)
	v_pk_mul_f32 v[112:113], v[108:109], v[106:107] op_sel:[0,1]
	v_pk_fma_f32 v[114:115], v[108:109], v[104:105], v[112:113] op_sel:[0,0,1] op_sel_hi:[1,1,0] neg_lo:[0,0,1] neg_hi:[0,0,1]
	v_pk_fma_f32 v[108:109], v[108:109], v[104:105], v[112:113] op_sel:[0,0,1] op_sel_hi:[1,0,0]
	s_delay_alu instid0(VALU_DEP_1) | instskip(SKIP_1) | instid1(VALU_DEP_1)
	v_mov_b32_e32 v115, v109
	v_pk_mul_f32 v[108:109], v[110:111], v[106:107] op_sel:[0,1]
	v_pk_fma_f32 v[112:113], v[110:111], v[104:105], v[108:109] op_sel:[0,0,1] op_sel_hi:[1,1,0] neg_lo:[0,0,1] neg_hi:[0,0,1]
	v_pk_fma_f32 v[108:109], v[110:111], v[104:105], v[108:109] op_sel:[0,0,1] op_sel_hi:[1,0,0]
	s_delay_alu instid0(VALU_DEP_1)
	v_mov_b32_e32 v113, v109
	ds_load_2addr_b64 v[108:111], v154 offset0:3 offset1:4
	v_pk_add_f32 v[58:59], v[58:59], v[114:115] neg_lo:[0,1] neg_hi:[0,1]
	v_pk_add_f32 v[52:53], v[52:53], v[112:113] neg_lo:[0,1] neg_hi:[0,1]
	s_wait_dscnt 0x0
	v_pk_mul_f32 v[112:113], v[108:109], v[106:107] op_sel:[0,1]
	s_delay_alu instid0(VALU_DEP_1) | instskip(SKIP_2) | instid1(VALU_DEP_2)
	v_pk_fma_f32 v[114:115], v[108:109], v[104:105], v[112:113] op_sel:[0,0,1] op_sel_hi:[1,1,0] neg_lo:[0,0,1] neg_hi:[0,0,1]
	v_pk_fma_f32 v[108:109], v[108:109], v[104:105], v[112:113] op_sel:[0,0,1] op_sel_hi:[1,0,0]
	v_dual_mul_f32 v112, v111, v107 :: v_dual_mov_b32 v108, v111
	v_dual_mov_b32 v115, v109 :: v_dual_mov_b32 v109, v110
	s_delay_alu instid0(VALU_DEP_2) | instskip(SKIP_1) | instid1(VALU_DEP_3)
	v_pk_fma_f32 v[112:113], v[110:111], v[56:57], v[112:113] op_sel_hi:[1,1,0] neg_lo:[0,0,1] neg_hi:[0,0,1]
	v_mul_f32_e32 v110, v111, v104
	v_pk_add_f32 v[50:51], v[50:51], v[114:115] neg_lo:[0,1] neg_hi:[0,1]
	s_delay_alu instid0(VALU_DEP_2) | instskip(NEXT) | instid1(VALU_DEP_1)
	v_pk_fma_f32 v[108:109], v[108:109], v[56:57], v[110:111] op_sel_hi:[1,1,0]
	v_mov_b32_e32 v113, v109
	ds_load_2addr_b64 v[108:111], v154 offset0:5 offset1:6
	v_pk_add_f32 v[28:29], v[28:29], v[112:113] neg_lo:[0,1] neg_hi:[0,1]
	s_wait_dscnt 0x0
	v_pk_mul_f32 v[112:113], v[108:109], v[106:107] op_sel:[0,1]
	s_delay_alu instid0(VALU_DEP_1) | instskip(SKIP_1) | instid1(VALU_DEP_1)
	v_pk_fma_f32 v[114:115], v[108:109], v[104:105], v[112:113] op_sel:[0,0,1] op_sel_hi:[1,1,0] neg_lo:[0,0,1] neg_hi:[0,0,1]
	v_pk_fma_f32 v[108:109], v[108:109], v[104:105], v[112:113] op_sel:[0,0,1] op_sel_hi:[1,0,0]
	v_mov_b32_e32 v115, v109
	v_pk_mul_f32 v[108:109], v[110:111], v[106:107] op_sel:[0,1]
	s_delay_alu instid0(VALU_DEP_1) | instskip(SKIP_1) | instid1(VALU_DEP_1)
	v_pk_fma_f32 v[112:113], v[110:111], v[104:105], v[108:109] op_sel:[0,0,1] op_sel_hi:[1,1,0] neg_lo:[0,0,1] neg_hi:[0,0,1]
	v_pk_fma_f32 v[108:109], v[110:111], v[104:105], v[108:109] op_sel:[0,0,1] op_sel_hi:[1,0,0]
	v_mov_b32_e32 v113, v109
	ds_load_2addr_b64 v[108:111], v154 offset0:7 offset1:8
	v_pk_add_f32 v[24:25], v[24:25], v[114:115] neg_lo:[0,1] neg_hi:[0,1]
	v_pk_add_f32 v[26:27], v[26:27], v[112:113] neg_lo:[0,1] neg_hi:[0,1]
	s_wait_dscnt 0x0
	v_pk_mul_f32 v[112:113], v[108:109], v[106:107] op_sel:[0,1]
	s_delay_alu instid0(VALU_DEP_1) | instskip(SKIP_1) | instid1(VALU_DEP_1)
	v_pk_fma_f32 v[114:115], v[108:109], v[104:105], v[112:113] op_sel:[0,0,1] op_sel_hi:[1,1,0] neg_lo:[0,0,1] neg_hi:[0,0,1]
	v_pk_fma_f32 v[108:109], v[108:109], v[104:105], v[112:113] op_sel:[0,0,1] op_sel_hi:[1,0,0]
	v_mov_b32_e32 v115, v109
	v_pk_mul_f32 v[108:109], v[110:111], v[106:107] op_sel:[0,1]
	s_delay_alu instid0(VALU_DEP_1) | instskip(SKIP_1) | instid1(VALU_DEP_1)
	v_pk_fma_f32 v[112:113], v[110:111], v[104:105], v[108:109] op_sel:[0,0,1] op_sel_hi:[1,1,0] neg_lo:[0,0,1] neg_hi:[0,0,1]
	v_pk_fma_f32 v[108:109], v[110:111], v[104:105], v[108:109] op_sel:[0,0,1] op_sel_hi:[1,0,0]
	v_mov_b32_e32 v113, v109
	ds_load_2addr_b64 v[108:111], v154 offset0:9 offset1:10
	v_pk_add_f32 v[22:23], v[22:23], v[114:115] neg_lo:[0,1] neg_hi:[0,1]
	v_pk_add_f32 v[42:43], v[42:43], v[112:113] neg_lo:[0,1] neg_hi:[0,1]
	s_wait_dscnt 0x0
	v_dual_mul_f32 v112, v109, v107 :: v_dual_mul_f32 v114, v109, v104
	s_delay_alu instid0(VALU_DEP_1) | instskip(NEXT) | instid1(VALU_DEP_2)
	v_pk_fma_f32 v[112:113], v[108:109], v[56:57], v[112:113] op_sel_hi:[1,1,0] neg_lo:[0,0,1] neg_hi:[0,0,1]
	v_pk_fma_f32 v[108:109], v[108:109], v[56:57], v[114:115] op_sel:[1,0,0] op_sel_hi:[0,1,0]
	s_delay_alu instid0(VALU_DEP_1) | instskip(SKIP_1) | instid1(VALU_DEP_2)
	v_mov_b32_e32 v113, v109
	v_pk_mul_f32 v[108:109], v[110:111], v[106:107] op_sel:[0,1]
	v_pk_add_f32 v[38:39], v[38:39], v[112:113] neg_lo:[0,1] neg_hi:[0,1]
	s_delay_alu instid0(VALU_DEP_2) | instskip(SKIP_1) | instid1(VALU_DEP_1)
	v_pk_fma_f32 v[112:113], v[110:111], v[104:105], v[108:109] op_sel:[0,0,1] op_sel_hi:[1,1,0] neg_lo:[0,0,1] neg_hi:[0,0,1]
	v_pk_fma_f32 v[108:109], v[110:111], v[104:105], v[108:109] op_sel:[0,0,1] op_sel_hi:[1,0,0]
	v_mov_b32_e32 v113, v109
	ds_load_2addr_b64 v[108:111], v154 offset0:11 offset1:12
	v_pk_add_f32 v[40:41], v[40:41], v[112:113] neg_lo:[0,1] neg_hi:[0,1]
	s_wait_dscnt 0x0
	v_pk_mul_f32 v[112:113], v[108:109], v[106:107] op_sel:[0,1]
	s_delay_alu instid0(VALU_DEP_1) | instskip(SKIP_1) | instid1(VALU_DEP_1)
	v_pk_fma_f32 v[114:115], v[108:109], v[104:105], v[112:113] op_sel:[0,0,1] op_sel_hi:[1,1,0] neg_lo:[0,0,1] neg_hi:[0,0,1]
	v_pk_fma_f32 v[108:109], v[108:109], v[104:105], v[112:113] op_sel:[0,0,1] op_sel_hi:[1,0,0]
	v_mov_b32_e32 v115, v109
	v_pk_mul_f32 v[108:109], v[110:111], v[106:107] op_sel:[0,1]
	s_delay_alu instid0(VALU_DEP_2) | instskip(NEXT) | instid1(VALU_DEP_2)
	v_pk_add_f32 v[36:37], v[36:37], v[114:115] neg_lo:[0,1] neg_hi:[0,1]
	v_pk_fma_f32 v[112:113], v[110:111], v[104:105], v[108:109] op_sel:[0,0,1] op_sel_hi:[1,1,0] neg_lo:[0,0,1] neg_hi:[0,0,1]
	v_pk_fma_f32 v[108:109], v[110:111], v[104:105], v[108:109] op_sel:[0,0,1] op_sel_hi:[1,0,0]
	s_delay_alu instid0(VALU_DEP_1) | instskip(SKIP_4) | instid1(VALU_DEP_1)
	v_mov_b32_e32 v113, v109
	ds_load_2addr_b64 v[108:111], v154 offset0:13 offset1:14
	v_pk_add_f32 v[72:73], v[72:73], v[112:113] neg_lo:[0,1] neg_hi:[0,1]
	s_wait_dscnt 0x0
	v_pk_mul_f32 v[112:113], v[108:109], v[106:107] op_sel:[0,1]
	v_pk_fma_f32 v[114:115], v[108:109], v[104:105], v[112:113] op_sel:[0,0,1] op_sel_hi:[1,1,0] neg_lo:[0,0,1] neg_hi:[0,0,1]
	v_pk_fma_f32 v[108:109], v[108:109], v[104:105], v[112:113] op_sel:[0,0,1] op_sel_hi:[1,0,0]
	v_dual_mul_f32 v112, v111, v107 :: v_dual_mov_b32 v108, v111
	s_delay_alu instid0(VALU_DEP_2) | instskip(NEXT) | instid1(VALU_DEP_2)
	v_dual_mov_b32 v115, v109 :: v_dual_mov_b32 v109, v110
	v_pk_fma_f32 v[112:113], v[110:111], v[56:57], v[112:113] op_sel_hi:[1,1,0] neg_lo:[0,0,1] neg_hi:[0,0,1]
	v_mul_f32_e32 v110, v111, v104
	s_delay_alu instid0(VALU_DEP_3) | instskip(NEXT) | instid1(VALU_DEP_2)
	v_pk_add_f32 v[68:69], v[68:69], v[114:115] neg_lo:[0,1] neg_hi:[0,1]
	v_pk_fma_f32 v[108:109], v[108:109], v[56:57], v[110:111] op_sel_hi:[1,1,0]
	s_delay_alu instid0(VALU_DEP_1) | instskip(SKIP_4) | instid1(VALU_DEP_1)
	v_mov_b32_e32 v113, v109
	ds_load_2addr_b64 v[108:111], v154 offset0:15 offset1:16
	v_pk_add_f32 v[70:71], v[70:71], v[112:113] neg_lo:[0,1] neg_hi:[0,1]
	s_wait_dscnt 0x0
	v_pk_mul_f32 v[112:113], v[108:109], v[106:107] op_sel:[0,1]
	v_pk_fma_f32 v[114:115], v[108:109], v[104:105], v[112:113] op_sel:[0,0,1] op_sel_hi:[1,1,0] neg_lo:[0,0,1] neg_hi:[0,0,1]
	v_pk_fma_f32 v[108:109], v[108:109], v[104:105], v[112:113] op_sel:[0,0,1] op_sel_hi:[1,0,0]
	s_delay_alu instid0(VALU_DEP_1) | instskip(SKIP_1) | instid1(VALU_DEP_1)
	v_mov_b32_e32 v115, v109
	v_pk_mul_f32 v[108:109], v[110:111], v[106:107] op_sel:[0,1]
	v_pk_fma_f32 v[112:113], v[110:111], v[104:105], v[108:109] op_sel:[0,0,1] op_sel_hi:[1,1,0] neg_lo:[0,0,1] neg_hi:[0,0,1]
	v_pk_fma_f32 v[108:109], v[110:111], v[104:105], v[108:109] op_sel:[0,0,1] op_sel_hi:[1,0,0]
	s_delay_alu instid0(VALU_DEP_1)
	v_mov_b32_e32 v113, v109
	ds_load_2addr_b64 v[108:111], v154 offset0:17 offset1:18
	v_pk_add_f32 v[66:67], v[66:67], v[114:115] neg_lo:[0,1] neg_hi:[0,1]
	v_pk_add_f32 v[92:93], v[92:93], v[112:113] neg_lo:[0,1] neg_hi:[0,1]
	s_wait_dscnt 0x0
	v_pk_mul_f32 v[112:113], v[108:109], v[106:107] op_sel:[0,1]
	s_delay_alu instid0(VALU_DEP_1) | instskip(SKIP_1) | instid1(VALU_DEP_1)
	v_pk_fma_f32 v[114:115], v[108:109], v[104:105], v[112:113] op_sel:[0,0,1] op_sel_hi:[1,1,0] neg_lo:[0,0,1] neg_hi:[0,0,1]
	v_pk_fma_f32 v[108:109], v[108:109], v[104:105], v[112:113] op_sel:[0,0,1] op_sel_hi:[1,0,0]
	v_mov_b32_e32 v115, v109
	v_pk_mul_f32 v[108:109], v[110:111], v[106:107] op_sel:[0,1]
	s_delay_alu instid0(VALU_DEP_1) | instskip(SKIP_1) | instid1(VALU_DEP_1)
	v_pk_fma_f32 v[112:113], v[110:111], v[104:105], v[108:109] op_sel:[0,0,1] op_sel_hi:[1,1,0] neg_lo:[0,0,1] neg_hi:[0,0,1]
	v_pk_fma_f32 v[108:109], v[110:111], v[104:105], v[108:109] op_sel:[0,0,1] op_sel_hi:[1,0,0]
	v_mov_b32_e32 v113, v109
	ds_load_2addr_b64 v[108:111], v154 offset0:19 offset1:20
	v_pk_add_f32 v[86:87], v[86:87], v[114:115] neg_lo:[0,1] neg_hi:[0,1]
	v_pk_add_f32 v[90:91], v[90:91], v[112:113] neg_lo:[0,1] neg_hi:[0,1]
	s_wait_dscnt 0x0
	v_dual_mul_f32 v112, v109, v107 :: v_dual_mul_f32 v114, v109, v104
	s_delay_alu instid0(VALU_DEP_1) | instskip(NEXT) | instid1(VALU_DEP_2)
	v_pk_fma_f32 v[112:113], v[108:109], v[56:57], v[112:113] op_sel_hi:[1,1,0] neg_lo:[0,0,1] neg_hi:[0,0,1]
	v_pk_fma_f32 v[108:109], v[108:109], v[56:57], v[114:115] op_sel:[1,0,0] op_sel_hi:[0,1,0]
	s_delay_alu instid0(VALU_DEP_1) | instskip(SKIP_1) | instid1(VALU_DEP_2)
	v_mov_b32_e32 v113, v109
	v_pk_mul_f32 v[108:109], v[110:111], v[106:107] op_sel:[0,1]
	v_pk_add_f32 v[84:85], v[84:85], v[112:113] neg_lo:[0,1] neg_hi:[0,1]
	s_delay_alu instid0(VALU_DEP_2) | instskip(SKIP_1) | instid1(VALU_DEP_1)
	v_pk_fma_f32 v[112:113], v[110:111], v[104:105], v[108:109] op_sel:[0,0,1] op_sel_hi:[1,1,0] neg_lo:[0,0,1] neg_hi:[0,0,1]
	v_pk_fma_f32 v[108:109], v[110:111], v[104:105], v[108:109] op_sel:[0,0,1] op_sel_hi:[1,0,0]
	v_mov_b32_e32 v113, v109
	ds_load_2addr_b64 v[108:111], v154 offset0:21 offset1:22
	v_pk_add_f32 v[88:89], v[88:89], v[112:113] neg_lo:[0,1] neg_hi:[0,1]
	s_wait_dscnt 0x0
	v_pk_mul_f32 v[112:113], v[108:109], v[106:107] op_sel:[0,1]
	s_delay_alu instid0(VALU_DEP_1) | instskip(SKIP_1) | instid1(VALU_DEP_1)
	v_pk_fma_f32 v[114:115], v[108:109], v[104:105], v[112:113] op_sel:[0,0,1] op_sel_hi:[1,1,0] neg_lo:[0,0,1] neg_hi:[0,0,1]
	v_pk_fma_f32 v[108:109], v[108:109], v[104:105], v[112:113] op_sel:[0,0,1] op_sel_hi:[1,0,0]
	v_mov_b32_e32 v115, v109
	v_pk_mul_f32 v[108:109], v[110:111], v[106:107] op_sel:[0,1]
	s_delay_alu instid0(VALU_DEP_2) | instskip(NEXT) | instid1(VALU_DEP_2)
	v_pk_add_f32 v[98:99], v[98:99], v[114:115] neg_lo:[0,1] neg_hi:[0,1]
	v_pk_fma_f32 v[112:113], v[110:111], v[104:105], v[108:109] op_sel:[0,0,1] op_sel_hi:[1,1,0] neg_lo:[0,0,1] neg_hi:[0,0,1]
	v_pk_fma_f32 v[108:109], v[110:111], v[104:105], v[108:109] op_sel:[0,0,1] op_sel_hi:[1,0,0]
	s_delay_alu instid0(VALU_DEP_1)
	v_mov_b32_e32 v113, v109
	ds_load_2addr_b64 v[108:111], v154 offset0:23 offset1:24
	v_pk_add_f32 v[96:97], v[96:97], v[112:113] neg_lo:[0,1] neg_hi:[0,1]
	s_wait_dscnt 0x0
	v_pk_mul_f32 v[112:113], v[108:109], v[106:107] op_sel:[0,1]
	v_mul_f32_e32 v106, v111, v107
	s_delay_alu instid0(VALU_DEP_2) | instskip(SKIP_2) | instid1(VALU_DEP_4)
	v_pk_fma_f32 v[114:115], v[108:109], v[104:105], v[112:113] op_sel:[0,0,1] op_sel_hi:[1,1,0] neg_lo:[0,0,1] neg_hi:[0,0,1]
	v_pk_fma_f32 v[108:109], v[108:109], v[104:105], v[112:113] op_sel:[0,0,1] op_sel_hi:[1,0,0]
	v_dual_mov_b32 v108, v111 :: v_dual_mul_f32 v104, v111, v104
	v_pk_fma_f32 v[106:107], v[110:111], v[56:57], v[106:107] op_sel_hi:[1,1,0] neg_lo:[0,0,1] neg_hi:[0,0,1]
	s_delay_alu instid0(VALU_DEP_3) | instskip(NEXT) | instid1(VALU_DEP_1)
	v_dual_mov_b32 v115, v109 :: v_dual_mov_b32 v109, v110
	v_pk_add_f32 v[94:95], v[94:95], v[114:115] neg_lo:[0,1] neg_hi:[0,1]
	s_delay_alu instid0(VALU_DEP_2) | instskip(NEXT) | instid1(VALU_DEP_1)
	v_pk_fma_f32 v[104:105], v[108:109], v[56:57], v[104:105] op_sel_hi:[1,1,0]
	v_mov_b32_e32 v107, v105
	s_delay_alu instid0(VALU_DEP_1)
	v_pk_add_f32 v[100:101], v[100:101], v[106:107] neg_lo:[0,1] neg_hi:[0,1]
.LBB49_10:
	s_or_b32 exec_lo, exec_lo, s2
	s_delay_alu instid0(SALU_CYCLE_1)
	s_mov_b32 s2, exec_lo
	s_wait_dscnt 0x0
	s_barrier_signal -1
	s_barrier_wait -1
	v_cmpx_eq_u32_e32 1, v152
	s_cbranch_execz .LBB49_17
; %bb.11:
	v_dual_mov_b32 v104, v52 :: v_dual_mov_b32 v105, v53
	v_dual_mov_b32 v106, v50 :: v_dual_mov_b32 v107, v51
	ds_store_b64 v153, v[58:59]
	ds_store_2addr_b64 v154, v[104:105], v[106:107] offset0:2 offset1:3
	v_dual_mov_b32 v104, v28 :: v_dual_mov_b32 v105, v29
	v_dual_mov_b32 v106, v24 :: v_dual_mov_b32 v107, v25
	ds_store_2addr_b64 v154, v[104:105], v[106:107] offset0:4 offset1:5
	v_dual_mov_b32 v104, v26 :: v_dual_mov_b32 v105, v27
	v_dual_mov_b32 v106, v22 :: v_dual_mov_b32 v107, v23
	;; [unrolled: 3-line block ×10, first 2 shown]
	ds_store_2addr_b64 v154, v[104:105], v[106:107] offset0:22 offset1:23
	ds_store_b64 v154, v[100:101] offset:192
	ds_load_b64 v[104:105], v153
	s_wait_dscnt 0x0
	v_cmp_neq_f32_e32 vcc_lo, 0, v104
	v_cmp_neq_f32_e64 s1, 0, v105
	s_or_b32 s1, vcc_lo, s1
	s_delay_alu instid0(SALU_CYCLE_1)
	s_and_b32 exec_lo, exec_lo, s1
	s_cbranch_execz .LBB49_17
; %bb.12:
	v_cmp_ngt_f32_e64 s1, |v104|, |v105|
                                        ; implicit-def: $vgpr106_vgpr107
	s_and_saveexec_b32 s4, s1
	s_delay_alu instid0(SALU_CYCLE_1)
	s_xor_b32 s1, exec_lo, s4
	s_cbranch_execz .LBB49_14
; %bb.13:
	v_div_scale_f32 v106, null, v105, v105, v104
	v_div_scale_f32 v109, vcc_lo, v104, v105, v104
	s_delay_alu instid0(VALU_DEP_2) | instskip(SKIP_1) | instid1(TRANS32_DEP_1)
	v_rcp_f32_e32 v107, v106
	v_nop
	v_fma_f32 v108, -v106, v107, 1.0
	s_delay_alu instid0(VALU_DEP_1) | instskip(NEXT) | instid1(VALU_DEP_1)
	v_fmac_f32_e32 v107, v108, v107
	v_mul_f32_e32 v108, v109, v107
	s_delay_alu instid0(VALU_DEP_1) | instskip(NEXT) | instid1(VALU_DEP_1)
	v_fma_f32 v110, -v106, v108, v109
	v_fmac_f32_e32 v108, v110, v107
	s_delay_alu instid0(VALU_DEP_1) | instskip(NEXT) | instid1(VALU_DEP_1)
	v_fma_f32 v106, -v106, v108, v109
	v_div_fmas_f32 v106, v106, v107, v108
	s_delay_alu instid0(VALU_DEP_1) | instskip(NEXT) | instid1(VALU_DEP_1)
	v_div_fixup_f32 v106, v106, v105, v104
	v_fmac_f32_e32 v105, v104, v106
	s_delay_alu instid0(VALU_DEP_1) | instskip(SKIP_1) | instid1(VALU_DEP_2)
	v_div_scale_f32 v104, null, v105, v105, 1.0
	v_div_scale_f32 v109, vcc_lo, 1.0, v105, 1.0
	v_rcp_f32_e32 v107, v104
	v_nop
	s_delay_alu instid0(TRANS32_DEP_1) | instskip(NEXT) | instid1(VALU_DEP_1)
	v_fma_f32 v108, -v104, v107, 1.0
	v_fmac_f32_e32 v107, v108, v107
	s_delay_alu instid0(VALU_DEP_1) | instskip(NEXT) | instid1(VALU_DEP_1)
	v_mul_f32_e32 v108, v109, v107
	v_fma_f32 v110, -v104, v108, v109
	s_delay_alu instid0(VALU_DEP_1) | instskip(NEXT) | instid1(VALU_DEP_1)
	v_fmac_f32_e32 v108, v110, v107
	v_fma_f32 v104, -v104, v108, v109
	s_delay_alu instid0(VALU_DEP_1) | instskip(NEXT) | instid1(VALU_DEP_1)
	v_div_fmas_f32 v104, v104, v107, v108
	v_div_fixup_f32 v104, v104, v105, 1.0
	s_delay_alu instid0(VALU_DEP_1)
	v_mul_f32_e32 v106, v106, v104
	v_xor_b32_e32 v107, 0x80000000, v104
                                        ; implicit-def: $vgpr104_vgpr105
.LBB49_14:
	s_and_not1_saveexec_b32 s1, s1
	s_cbranch_execz .LBB49_16
; %bb.15:
	v_div_scale_f32 v106, null, v104, v104, v105
	v_div_scale_f32 v109, vcc_lo, v105, v104, v105
	s_delay_alu instid0(VALU_DEP_2) | instskip(SKIP_1) | instid1(TRANS32_DEP_1)
	v_rcp_f32_e32 v107, v106
	v_nop
	v_fma_f32 v108, -v106, v107, 1.0
	s_delay_alu instid0(VALU_DEP_1) | instskip(NEXT) | instid1(VALU_DEP_1)
	v_fmac_f32_e32 v107, v108, v107
	v_mul_f32_e32 v108, v109, v107
	s_delay_alu instid0(VALU_DEP_1) | instskip(NEXT) | instid1(VALU_DEP_1)
	v_fma_f32 v110, -v106, v108, v109
	v_fmac_f32_e32 v108, v110, v107
	s_delay_alu instid0(VALU_DEP_1) | instskip(NEXT) | instid1(VALU_DEP_1)
	v_fma_f32 v106, -v106, v108, v109
	v_div_fmas_f32 v106, v106, v107, v108
	s_delay_alu instid0(VALU_DEP_1) | instskip(NEXT) | instid1(VALU_DEP_1)
	v_div_fixup_f32 v107, v106, v104, v105
	v_fmac_f32_e32 v104, v105, v107
	s_delay_alu instid0(VALU_DEP_1) | instskip(NEXT) | instid1(VALU_DEP_1)
	v_div_scale_f32 v105, null, v104, v104, 1.0
	v_rcp_f32_e32 v106, v105
	v_nop
	s_delay_alu instid0(TRANS32_DEP_1) | instskip(NEXT) | instid1(VALU_DEP_1)
	v_fma_f32 v108, -v105, v106, 1.0
	v_fmac_f32_e32 v106, v108, v106
	v_div_scale_f32 v108, vcc_lo, 1.0, v104, 1.0
	s_delay_alu instid0(VALU_DEP_1) | instskip(NEXT) | instid1(VALU_DEP_1)
	v_mul_f32_e32 v109, v108, v106
	v_fma_f32 v110, -v105, v109, v108
	s_delay_alu instid0(VALU_DEP_1) | instskip(NEXT) | instid1(VALU_DEP_1)
	v_fmac_f32_e32 v109, v110, v106
	v_fma_f32 v105, -v105, v109, v108
	s_delay_alu instid0(VALU_DEP_1) | instskip(NEXT) | instid1(VALU_DEP_1)
	v_div_fmas_f32 v105, v105, v106, v109
	v_div_fixup_f32 v106, v105, v104, 1.0
	s_delay_alu instid0(VALU_DEP_1)
	v_mul_f32_e64 v107, v107, -v106
.LBB49_16:
	s_or_b32 exec_lo, exec_lo, s1
	ds_store_b64 v153, v[106:107]
.LBB49_17:
	s_or_b32 exec_lo, exec_lo, s2
	s_wait_dscnt 0x0
	s_barrier_signal -1
	s_barrier_wait -1
	ds_load_b64 v[104:105], v153
	s_mov_b32 s1, exec_lo
	v_cmpx_lt_u32_e32 1, v152
	s_cbranch_execz .LBB49_19
; %bb.18:
	ds_load_2addr_b64 v[110:113], v154 offset0:2 offset1:3
	s_wait_dscnt 0x1
	v_pk_mul_f32 v[108:109], v[104:105], v[58:59] op_sel:[1,1] op_sel_hi:[0,1]
	s_delay_alu instid0(VALU_DEP_1) | instskip(SKIP_1) | instid1(VALU_DEP_1)
	v_pk_fma_f32 v[106:107], v[104:105], v[58:59], v[108:109] op_sel_hi:[1,0,1] neg_lo:[0,0,1] neg_hi:[0,0,1]
	v_pk_fma_f32 v[108:109], v[104:105], v[58:59], v[108:109] op_sel_hi:[1,0,1]
	v_dual_mov_b32 v58, v106 :: v_dual_mov_b32 v59, v109
	s_wait_dscnt 0x0
	s_delay_alu instid0(VALU_DEP_2) | instskip(NEXT) | instid1(VALU_DEP_1)
	v_pk_mul_f32 v[114:115], v[110:111], v[108:109] op_sel:[0,1]
	v_pk_fma_f32 v[116:117], v[110:111], v[106:107], v[114:115] op_sel:[0,0,1] op_sel_hi:[1,1,0] neg_lo:[0,0,1] neg_hi:[0,0,1]
	v_pk_fma_f32 v[110:111], v[110:111], v[106:107], v[114:115] op_sel:[0,0,1] op_sel_hi:[1,0,0]
	s_delay_alu instid0(VALU_DEP_1) | instskip(SKIP_1) | instid1(VALU_DEP_1)
	v_mov_b32_e32 v117, v111
	v_pk_mul_f32 v[110:111], v[112:113], v[108:109] op_sel:[0,1]
	v_pk_fma_f32 v[114:115], v[112:113], v[106:107], v[110:111] op_sel:[0,0,1] op_sel_hi:[1,1,0] neg_lo:[0,0,1] neg_hi:[0,0,1]
	v_pk_fma_f32 v[110:111], v[112:113], v[106:107], v[110:111] op_sel:[0,0,1] op_sel_hi:[1,0,0]
	s_delay_alu instid0(VALU_DEP_1)
	v_mov_b32_e32 v115, v111
	ds_load_2addr_b64 v[110:113], v154 offset0:4 offset1:5
	v_pk_add_f32 v[52:53], v[52:53], v[116:117] neg_lo:[0,1] neg_hi:[0,1]
	v_pk_add_f32 v[50:51], v[50:51], v[114:115] neg_lo:[0,1] neg_hi:[0,1]
	s_wait_dscnt 0x0
	v_pk_mul_f32 v[114:115], v[110:111], v[108:109] op_sel:[0,1]
	s_delay_alu instid0(VALU_DEP_1) | instskip(SKIP_2) | instid1(VALU_DEP_2)
	v_pk_fma_f32 v[116:117], v[110:111], v[106:107], v[114:115] op_sel:[0,0,1] op_sel_hi:[1,1,0] neg_lo:[0,0,1] neg_hi:[0,0,1]
	v_pk_fma_f32 v[110:111], v[110:111], v[106:107], v[114:115] op_sel:[0,0,1] op_sel_hi:[1,0,0]
	v_dual_mul_f32 v114, v113, v109 :: v_dual_mov_b32 v110, v113
	v_dual_mov_b32 v117, v111 :: v_dual_mov_b32 v111, v112
	s_delay_alu instid0(VALU_DEP_2) | instskip(SKIP_1) | instid1(VALU_DEP_3)
	v_pk_fma_f32 v[114:115], v[112:113], v[58:59], v[114:115] op_sel_hi:[1,1,0] neg_lo:[0,0,1] neg_hi:[0,0,1]
	v_mul_f32_e32 v112, v113, v106
	v_pk_add_f32 v[28:29], v[28:29], v[116:117] neg_lo:[0,1] neg_hi:[0,1]
	s_delay_alu instid0(VALU_DEP_2) | instskip(NEXT) | instid1(VALU_DEP_1)
	v_pk_fma_f32 v[110:111], v[110:111], v[58:59], v[112:113] op_sel_hi:[1,1,0]
	v_mov_b32_e32 v115, v111
	ds_load_2addr_b64 v[110:113], v154 offset0:6 offset1:7
	v_pk_add_f32 v[24:25], v[24:25], v[114:115] neg_lo:[0,1] neg_hi:[0,1]
	s_wait_dscnt 0x0
	v_pk_mul_f32 v[114:115], v[110:111], v[108:109] op_sel:[0,1]
	s_delay_alu instid0(VALU_DEP_1) | instskip(SKIP_1) | instid1(VALU_DEP_1)
	v_pk_fma_f32 v[116:117], v[110:111], v[106:107], v[114:115] op_sel:[0,0,1] op_sel_hi:[1,1,0] neg_lo:[0,0,1] neg_hi:[0,0,1]
	v_pk_fma_f32 v[110:111], v[110:111], v[106:107], v[114:115] op_sel:[0,0,1] op_sel_hi:[1,0,0]
	v_mov_b32_e32 v117, v111
	v_pk_mul_f32 v[110:111], v[112:113], v[108:109] op_sel:[0,1]
	s_delay_alu instid0(VALU_DEP_1) | instskip(SKIP_1) | instid1(VALU_DEP_1)
	v_pk_fma_f32 v[114:115], v[112:113], v[106:107], v[110:111] op_sel:[0,0,1] op_sel_hi:[1,1,0] neg_lo:[0,0,1] neg_hi:[0,0,1]
	v_pk_fma_f32 v[110:111], v[112:113], v[106:107], v[110:111] op_sel:[0,0,1] op_sel_hi:[1,0,0]
	v_mov_b32_e32 v115, v111
	ds_load_2addr_b64 v[110:113], v154 offset0:8 offset1:9
	v_pk_add_f32 v[26:27], v[26:27], v[116:117] neg_lo:[0,1] neg_hi:[0,1]
	v_pk_add_f32 v[22:23], v[22:23], v[114:115] neg_lo:[0,1] neg_hi:[0,1]
	s_wait_dscnt 0x0
	v_pk_mul_f32 v[114:115], v[110:111], v[108:109] op_sel:[0,1]
	s_delay_alu instid0(VALU_DEP_1) | instskip(SKIP_1) | instid1(VALU_DEP_1)
	v_pk_fma_f32 v[116:117], v[110:111], v[106:107], v[114:115] op_sel:[0,0,1] op_sel_hi:[1,1,0] neg_lo:[0,0,1] neg_hi:[0,0,1]
	v_pk_fma_f32 v[110:111], v[110:111], v[106:107], v[114:115] op_sel:[0,0,1] op_sel_hi:[1,0,0]
	v_mov_b32_e32 v117, v111
	v_pk_mul_f32 v[110:111], v[112:113], v[108:109] op_sel:[0,1]
	s_delay_alu instid0(VALU_DEP_1) | instskip(SKIP_1) | instid1(VALU_DEP_1)
	v_pk_fma_f32 v[114:115], v[112:113], v[106:107], v[110:111] op_sel:[0,0,1] op_sel_hi:[1,1,0] neg_lo:[0,0,1] neg_hi:[0,0,1]
	v_pk_fma_f32 v[110:111], v[112:113], v[106:107], v[110:111] op_sel:[0,0,1] op_sel_hi:[1,0,0]
	v_mov_b32_e32 v115, v111
	ds_load_2addr_b64 v[110:113], v154 offset0:10 offset1:11
	v_pk_add_f32 v[42:43], v[42:43], v[116:117] neg_lo:[0,1] neg_hi:[0,1]
	v_pk_add_f32 v[38:39], v[38:39], v[114:115] neg_lo:[0,1] neg_hi:[0,1]
	s_wait_dscnt 0x0
	v_dual_mul_f32 v114, v111, v109 :: v_dual_mul_f32 v116, v111, v106
	s_delay_alu instid0(VALU_DEP_1) | instskip(NEXT) | instid1(VALU_DEP_2)
	v_pk_fma_f32 v[114:115], v[110:111], v[58:59], v[114:115] op_sel_hi:[1,1,0] neg_lo:[0,0,1] neg_hi:[0,0,1]
	v_pk_fma_f32 v[110:111], v[110:111], v[58:59], v[116:117] op_sel:[1,0,0] op_sel_hi:[0,1,0]
	s_delay_alu instid0(VALU_DEP_1) | instskip(SKIP_1) | instid1(VALU_DEP_2)
	v_mov_b32_e32 v115, v111
	v_pk_mul_f32 v[110:111], v[112:113], v[108:109] op_sel:[0,1]
	v_pk_add_f32 v[40:41], v[40:41], v[114:115] neg_lo:[0,1] neg_hi:[0,1]
	s_delay_alu instid0(VALU_DEP_2) | instskip(SKIP_1) | instid1(VALU_DEP_1)
	v_pk_fma_f32 v[114:115], v[112:113], v[106:107], v[110:111] op_sel:[0,0,1] op_sel_hi:[1,1,0] neg_lo:[0,0,1] neg_hi:[0,0,1]
	v_pk_fma_f32 v[110:111], v[112:113], v[106:107], v[110:111] op_sel:[0,0,1] op_sel_hi:[1,0,0]
	v_mov_b32_e32 v115, v111
	ds_load_2addr_b64 v[110:113], v154 offset0:12 offset1:13
	v_pk_add_f32 v[36:37], v[36:37], v[114:115] neg_lo:[0,1] neg_hi:[0,1]
	s_wait_dscnt 0x0
	v_pk_mul_f32 v[114:115], v[110:111], v[108:109] op_sel:[0,1]
	s_delay_alu instid0(VALU_DEP_1) | instskip(SKIP_1) | instid1(VALU_DEP_1)
	v_pk_fma_f32 v[116:117], v[110:111], v[106:107], v[114:115] op_sel:[0,0,1] op_sel_hi:[1,1,0] neg_lo:[0,0,1] neg_hi:[0,0,1]
	v_pk_fma_f32 v[110:111], v[110:111], v[106:107], v[114:115] op_sel:[0,0,1] op_sel_hi:[1,0,0]
	v_mov_b32_e32 v117, v111
	v_pk_mul_f32 v[110:111], v[112:113], v[108:109] op_sel:[0,1]
	s_delay_alu instid0(VALU_DEP_2) | instskip(NEXT) | instid1(VALU_DEP_2)
	v_pk_add_f32 v[72:73], v[72:73], v[116:117] neg_lo:[0,1] neg_hi:[0,1]
	v_pk_fma_f32 v[114:115], v[112:113], v[106:107], v[110:111] op_sel:[0,0,1] op_sel_hi:[1,1,0] neg_lo:[0,0,1] neg_hi:[0,0,1]
	v_pk_fma_f32 v[110:111], v[112:113], v[106:107], v[110:111] op_sel:[0,0,1] op_sel_hi:[1,0,0]
	s_delay_alu instid0(VALU_DEP_1) | instskip(SKIP_4) | instid1(VALU_DEP_1)
	v_mov_b32_e32 v115, v111
	ds_load_2addr_b64 v[110:113], v154 offset0:14 offset1:15
	v_pk_add_f32 v[68:69], v[68:69], v[114:115] neg_lo:[0,1] neg_hi:[0,1]
	s_wait_dscnt 0x0
	v_pk_mul_f32 v[114:115], v[110:111], v[108:109] op_sel:[0,1]
	v_pk_fma_f32 v[116:117], v[110:111], v[106:107], v[114:115] op_sel:[0,0,1] op_sel_hi:[1,1,0] neg_lo:[0,0,1] neg_hi:[0,0,1]
	v_pk_fma_f32 v[110:111], v[110:111], v[106:107], v[114:115] op_sel:[0,0,1] op_sel_hi:[1,0,0]
	v_dual_mul_f32 v114, v113, v109 :: v_dual_mov_b32 v110, v113
	s_delay_alu instid0(VALU_DEP_2) | instskip(NEXT) | instid1(VALU_DEP_2)
	v_dual_mov_b32 v117, v111 :: v_dual_mov_b32 v111, v112
	v_pk_fma_f32 v[114:115], v[112:113], v[58:59], v[114:115] op_sel_hi:[1,1,0] neg_lo:[0,0,1] neg_hi:[0,0,1]
	v_mul_f32_e32 v112, v113, v106
	s_delay_alu instid0(VALU_DEP_3) | instskip(NEXT) | instid1(VALU_DEP_2)
	v_pk_add_f32 v[70:71], v[70:71], v[116:117] neg_lo:[0,1] neg_hi:[0,1]
	v_pk_fma_f32 v[110:111], v[110:111], v[58:59], v[112:113] op_sel_hi:[1,1,0]
	s_delay_alu instid0(VALU_DEP_1) | instskip(SKIP_4) | instid1(VALU_DEP_1)
	v_mov_b32_e32 v115, v111
	ds_load_2addr_b64 v[110:113], v154 offset0:16 offset1:17
	v_pk_add_f32 v[66:67], v[66:67], v[114:115] neg_lo:[0,1] neg_hi:[0,1]
	s_wait_dscnt 0x0
	v_pk_mul_f32 v[114:115], v[110:111], v[108:109] op_sel:[0,1]
	v_pk_fma_f32 v[116:117], v[110:111], v[106:107], v[114:115] op_sel:[0,0,1] op_sel_hi:[1,1,0] neg_lo:[0,0,1] neg_hi:[0,0,1]
	v_pk_fma_f32 v[110:111], v[110:111], v[106:107], v[114:115] op_sel:[0,0,1] op_sel_hi:[1,0,0]
	s_delay_alu instid0(VALU_DEP_1) | instskip(SKIP_1) | instid1(VALU_DEP_1)
	v_mov_b32_e32 v117, v111
	v_pk_mul_f32 v[110:111], v[112:113], v[108:109] op_sel:[0,1]
	v_pk_fma_f32 v[114:115], v[112:113], v[106:107], v[110:111] op_sel:[0,0,1] op_sel_hi:[1,1,0] neg_lo:[0,0,1] neg_hi:[0,0,1]
	v_pk_fma_f32 v[110:111], v[112:113], v[106:107], v[110:111] op_sel:[0,0,1] op_sel_hi:[1,0,0]
	s_delay_alu instid0(VALU_DEP_1)
	v_mov_b32_e32 v115, v111
	ds_load_2addr_b64 v[110:113], v154 offset0:18 offset1:19
	v_pk_add_f32 v[92:93], v[92:93], v[116:117] neg_lo:[0,1] neg_hi:[0,1]
	v_pk_add_f32 v[86:87], v[86:87], v[114:115] neg_lo:[0,1] neg_hi:[0,1]
	s_wait_dscnt 0x0
	v_pk_mul_f32 v[114:115], v[110:111], v[108:109] op_sel:[0,1]
	s_delay_alu instid0(VALU_DEP_1) | instskip(SKIP_1) | instid1(VALU_DEP_1)
	v_pk_fma_f32 v[116:117], v[110:111], v[106:107], v[114:115] op_sel:[0,0,1] op_sel_hi:[1,1,0] neg_lo:[0,0,1] neg_hi:[0,0,1]
	v_pk_fma_f32 v[110:111], v[110:111], v[106:107], v[114:115] op_sel:[0,0,1] op_sel_hi:[1,0,0]
	v_mov_b32_e32 v117, v111
	v_pk_mul_f32 v[110:111], v[112:113], v[108:109] op_sel:[0,1]
	s_delay_alu instid0(VALU_DEP_1) | instskip(SKIP_1) | instid1(VALU_DEP_1)
	v_pk_fma_f32 v[114:115], v[112:113], v[106:107], v[110:111] op_sel:[0,0,1] op_sel_hi:[1,1,0] neg_lo:[0,0,1] neg_hi:[0,0,1]
	v_pk_fma_f32 v[110:111], v[112:113], v[106:107], v[110:111] op_sel:[0,0,1] op_sel_hi:[1,0,0]
	v_mov_b32_e32 v115, v111
	ds_load_2addr_b64 v[110:113], v154 offset0:20 offset1:21
	v_pk_add_f32 v[90:91], v[90:91], v[116:117] neg_lo:[0,1] neg_hi:[0,1]
	v_pk_add_f32 v[84:85], v[84:85], v[114:115] neg_lo:[0,1] neg_hi:[0,1]
	s_wait_dscnt 0x0
	v_dual_mul_f32 v114, v111, v109 :: v_dual_mul_f32 v116, v111, v106
	s_delay_alu instid0(VALU_DEP_1) | instskip(NEXT) | instid1(VALU_DEP_2)
	v_pk_fma_f32 v[114:115], v[110:111], v[58:59], v[114:115] op_sel_hi:[1,1,0] neg_lo:[0,0,1] neg_hi:[0,0,1]
	v_pk_fma_f32 v[110:111], v[110:111], v[58:59], v[116:117] op_sel:[1,0,0] op_sel_hi:[0,1,0]
	s_delay_alu instid0(VALU_DEP_1) | instskip(SKIP_1) | instid1(VALU_DEP_2)
	v_mov_b32_e32 v115, v111
	v_pk_mul_f32 v[110:111], v[112:113], v[108:109] op_sel:[0,1]
	v_pk_add_f32 v[88:89], v[88:89], v[114:115] neg_lo:[0,1] neg_hi:[0,1]
	s_delay_alu instid0(VALU_DEP_2) | instskip(SKIP_1) | instid1(VALU_DEP_1)
	v_pk_fma_f32 v[114:115], v[112:113], v[106:107], v[110:111] op_sel:[0,0,1] op_sel_hi:[1,1,0] neg_lo:[0,0,1] neg_hi:[0,0,1]
	v_pk_fma_f32 v[110:111], v[112:113], v[106:107], v[110:111] op_sel:[0,0,1] op_sel_hi:[1,0,0]
	v_mov_b32_e32 v115, v111
	ds_load_2addr_b64 v[110:113], v154 offset0:22 offset1:23
	v_pk_add_f32 v[98:99], v[98:99], v[114:115] neg_lo:[0,1] neg_hi:[0,1]
	s_wait_dscnt 0x0
	v_pk_mul_f32 v[114:115], v[110:111], v[108:109] op_sel:[0,1]
	s_delay_alu instid0(VALU_DEP_1) | instskip(SKIP_1) | instid1(VALU_DEP_1)
	v_pk_fma_f32 v[116:117], v[110:111], v[106:107], v[114:115] op_sel:[0,0,1] op_sel_hi:[1,1,0] neg_lo:[0,0,1] neg_hi:[0,0,1]
	v_pk_fma_f32 v[110:111], v[110:111], v[106:107], v[114:115] op_sel:[0,0,1] op_sel_hi:[1,0,0]
	v_mov_b32_e32 v117, v111
	v_pk_mul_f32 v[110:111], v[112:113], v[108:109] op_sel:[0,1]
	s_delay_alu instid0(VALU_DEP_2) | instskip(NEXT) | instid1(VALU_DEP_2)
	v_pk_add_f32 v[96:97], v[96:97], v[116:117] neg_lo:[0,1] neg_hi:[0,1]
	v_pk_fma_f32 v[114:115], v[112:113], v[106:107], v[110:111] op_sel:[0,0,1] op_sel_hi:[1,1,0] neg_lo:[0,0,1] neg_hi:[0,0,1]
	v_pk_fma_f32 v[110:111], v[112:113], v[106:107], v[110:111] op_sel:[0,0,1] op_sel_hi:[1,0,0]
	s_delay_alu instid0(VALU_DEP_1) | instskip(SKIP_4) | instid1(VALU_DEP_1)
	v_mov_b32_e32 v115, v111
	ds_load_b64 v[110:111], v154 offset:192
	v_pk_add_f32 v[94:95], v[94:95], v[114:115] neg_lo:[0,1] neg_hi:[0,1]
	s_wait_dscnt 0x0
	v_pk_mul_f32 v[108:109], v[110:111], v[108:109] op_sel:[0,1]
	v_pk_fma_f32 v[112:113], v[110:111], v[106:107], v[108:109] op_sel:[0,0,1] op_sel_hi:[1,1,0] neg_lo:[0,0,1] neg_hi:[0,0,1]
	v_pk_fma_f32 v[106:107], v[110:111], v[106:107], v[108:109] op_sel:[0,0,1] op_sel_hi:[1,0,0]
	s_delay_alu instid0(VALU_DEP_1) | instskip(NEXT) | instid1(VALU_DEP_1)
	v_mov_b32_e32 v113, v107
	v_pk_add_f32 v[100:101], v[100:101], v[112:113] neg_lo:[0,1] neg_hi:[0,1]
.LBB49_19:
	s_or_b32 exec_lo, exec_lo, s1
	s_delay_alu instid0(SALU_CYCLE_1)
	s_mov_b32 s2, exec_lo
	s_wait_dscnt 0x0
	s_barrier_signal -1
	s_barrier_wait -1
	v_cmpx_eq_u32_e32 2, v152
	s_cbranch_execz .LBB49_26
; %bb.20:
	ds_store_b64 v153, v[52:53]
	ds_store_2addr_b64 v154, v[50:51], v[28:29] offset0:3 offset1:4
	ds_store_2addr_b64 v154, v[24:25], v[26:27] offset0:5 offset1:6
	;; [unrolled: 1-line block ×11, first 2 shown]
	ds_load_b64 v[106:107], v153
	s_wait_dscnt 0x0
	v_cmp_neq_f32_e32 vcc_lo, 0, v106
	v_cmp_neq_f32_e64 s1, 0, v107
	s_or_b32 s1, vcc_lo, s1
	s_delay_alu instid0(SALU_CYCLE_1)
	s_and_b32 exec_lo, exec_lo, s1
	s_cbranch_execz .LBB49_26
; %bb.21:
	v_cmp_ngt_f32_e64 s1, |v106|, |v107|
                                        ; implicit-def: $vgpr108_vgpr109
	s_and_saveexec_b32 s4, s1
	s_delay_alu instid0(SALU_CYCLE_1)
	s_xor_b32 s1, exec_lo, s4
	s_cbranch_execz .LBB49_23
; %bb.22:
	v_div_scale_f32 v108, null, v107, v107, v106
	v_div_scale_f32 v111, vcc_lo, v106, v107, v106
	s_delay_alu instid0(VALU_DEP_2) | instskip(SKIP_1) | instid1(TRANS32_DEP_1)
	v_rcp_f32_e32 v109, v108
	v_nop
	v_fma_f32 v110, -v108, v109, 1.0
	s_delay_alu instid0(VALU_DEP_1) | instskip(NEXT) | instid1(VALU_DEP_1)
	v_fmac_f32_e32 v109, v110, v109
	v_mul_f32_e32 v110, v111, v109
	s_delay_alu instid0(VALU_DEP_1) | instskip(NEXT) | instid1(VALU_DEP_1)
	v_fma_f32 v112, -v108, v110, v111
	v_fmac_f32_e32 v110, v112, v109
	s_delay_alu instid0(VALU_DEP_1) | instskip(NEXT) | instid1(VALU_DEP_1)
	v_fma_f32 v108, -v108, v110, v111
	v_div_fmas_f32 v108, v108, v109, v110
	s_delay_alu instid0(VALU_DEP_1) | instskip(NEXT) | instid1(VALU_DEP_1)
	v_div_fixup_f32 v108, v108, v107, v106
	v_fmac_f32_e32 v107, v106, v108
	s_delay_alu instid0(VALU_DEP_1) | instskip(SKIP_1) | instid1(VALU_DEP_2)
	v_div_scale_f32 v106, null, v107, v107, 1.0
	v_div_scale_f32 v111, vcc_lo, 1.0, v107, 1.0
	v_rcp_f32_e32 v109, v106
	v_nop
	s_delay_alu instid0(TRANS32_DEP_1) | instskip(NEXT) | instid1(VALU_DEP_1)
	v_fma_f32 v110, -v106, v109, 1.0
	v_fmac_f32_e32 v109, v110, v109
	s_delay_alu instid0(VALU_DEP_1) | instskip(NEXT) | instid1(VALU_DEP_1)
	v_mul_f32_e32 v110, v111, v109
	v_fma_f32 v112, -v106, v110, v111
	s_delay_alu instid0(VALU_DEP_1) | instskip(NEXT) | instid1(VALU_DEP_1)
	v_fmac_f32_e32 v110, v112, v109
	v_fma_f32 v106, -v106, v110, v111
	s_delay_alu instid0(VALU_DEP_1) | instskip(NEXT) | instid1(VALU_DEP_1)
	v_div_fmas_f32 v106, v106, v109, v110
	v_div_fixup_f32 v106, v106, v107, 1.0
	s_delay_alu instid0(VALU_DEP_1)
	v_mul_f32_e32 v108, v108, v106
	v_xor_b32_e32 v109, 0x80000000, v106
                                        ; implicit-def: $vgpr106_vgpr107
.LBB49_23:
	s_and_not1_saveexec_b32 s1, s1
	s_cbranch_execz .LBB49_25
; %bb.24:
	v_div_scale_f32 v108, null, v106, v106, v107
	v_div_scale_f32 v111, vcc_lo, v107, v106, v107
	s_delay_alu instid0(VALU_DEP_2) | instskip(SKIP_1) | instid1(TRANS32_DEP_1)
	v_rcp_f32_e32 v109, v108
	v_nop
	v_fma_f32 v110, -v108, v109, 1.0
	s_delay_alu instid0(VALU_DEP_1) | instskip(NEXT) | instid1(VALU_DEP_1)
	v_fmac_f32_e32 v109, v110, v109
	v_mul_f32_e32 v110, v111, v109
	s_delay_alu instid0(VALU_DEP_1) | instskip(NEXT) | instid1(VALU_DEP_1)
	v_fma_f32 v112, -v108, v110, v111
	v_fmac_f32_e32 v110, v112, v109
	s_delay_alu instid0(VALU_DEP_1) | instskip(NEXT) | instid1(VALU_DEP_1)
	v_fma_f32 v108, -v108, v110, v111
	v_div_fmas_f32 v108, v108, v109, v110
	s_delay_alu instid0(VALU_DEP_1) | instskip(NEXT) | instid1(VALU_DEP_1)
	v_div_fixup_f32 v109, v108, v106, v107
	v_fmac_f32_e32 v106, v107, v109
	s_delay_alu instid0(VALU_DEP_1) | instskip(NEXT) | instid1(VALU_DEP_1)
	v_div_scale_f32 v107, null, v106, v106, 1.0
	v_rcp_f32_e32 v108, v107
	v_nop
	s_delay_alu instid0(TRANS32_DEP_1) | instskip(NEXT) | instid1(VALU_DEP_1)
	v_fma_f32 v110, -v107, v108, 1.0
	v_fmac_f32_e32 v108, v110, v108
	v_div_scale_f32 v110, vcc_lo, 1.0, v106, 1.0
	s_delay_alu instid0(VALU_DEP_1) | instskip(NEXT) | instid1(VALU_DEP_1)
	v_mul_f32_e32 v111, v110, v108
	v_fma_f32 v112, -v107, v111, v110
	s_delay_alu instid0(VALU_DEP_1) | instskip(NEXT) | instid1(VALU_DEP_1)
	v_fmac_f32_e32 v111, v112, v108
	v_fma_f32 v107, -v107, v111, v110
	s_delay_alu instid0(VALU_DEP_1) | instskip(NEXT) | instid1(VALU_DEP_1)
	v_div_fmas_f32 v107, v107, v108, v111
	v_div_fixup_f32 v108, v107, v106, 1.0
	s_delay_alu instid0(VALU_DEP_1)
	v_mul_f32_e64 v109, v109, -v108
.LBB49_25:
	s_or_b32 exec_lo, exec_lo, s1
	ds_store_b64 v153, v[108:109]
.LBB49_26:
	s_or_b32 exec_lo, exec_lo, s2
	s_wait_dscnt 0x0
	s_barrier_signal -1
	s_barrier_wait -1
	ds_load_b64 v[106:107], v153
	s_mov_b32 s1, exec_lo
	v_cmpx_lt_u32_e32 2, v152
	s_cbranch_execz .LBB49_28
; %bb.27:
	ds_load_2addr_b64 v[112:115], v154 offset0:3 offset1:4
	s_wait_dscnt 0x1
	v_pk_mul_f32 v[110:111], v[106:107], v[52:53] op_sel:[1,1] op_sel_hi:[0,1]
	s_delay_alu instid0(VALU_DEP_1) | instskip(SKIP_1) | instid1(VALU_DEP_1)
	v_pk_fma_f32 v[108:109], v[106:107], v[52:53], v[110:111] op_sel_hi:[1,0,1] neg_lo:[0,0,1] neg_hi:[0,0,1]
	v_pk_fma_f32 v[110:111], v[106:107], v[52:53], v[110:111] op_sel_hi:[1,0,1]
	v_dual_mov_b32 v52, v108 :: v_dual_mov_b32 v53, v111
	s_wait_dscnt 0x0
	s_delay_alu instid0(VALU_DEP_2) | instskip(NEXT) | instid1(VALU_DEP_1)
	v_pk_mul_f32 v[116:117], v[112:113], v[110:111] op_sel:[0,1]
	v_pk_fma_f32 v[118:119], v[112:113], v[108:109], v[116:117] op_sel:[0,0,1] op_sel_hi:[1,1,0] neg_lo:[0,0,1] neg_hi:[0,0,1]
	v_pk_fma_f32 v[112:113], v[112:113], v[108:109], v[116:117] op_sel:[0,0,1] op_sel_hi:[1,0,0]
	s_delay_alu instid0(VALU_DEP_1) | instskip(SKIP_1) | instid1(VALU_DEP_1)
	v_mov_b32_e32 v119, v113
	v_pk_mul_f32 v[112:113], v[114:115], v[110:111] op_sel:[0,1]
	v_pk_fma_f32 v[116:117], v[114:115], v[108:109], v[112:113] op_sel:[0,0,1] op_sel_hi:[1,1,0] neg_lo:[0,0,1] neg_hi:[0,0,1]
	v_pk_fma_f32 v[112:113], v[114:115], v[108:109], v[112:113] op_sel:[0,0,1] op_sel_hi:[1,0,0]
	s_delay_alu instid0(VALU_DEP_1)
	v_mov_b32_e32 v117, v113
	ds_load_2addr_b64 v[112:115], v154 offset0:5 offset1:6
	v_pk_add_f32 v[50:51], v[50:51], v[118:119] neg_lo:[0,1] neg_hi:[0,1]
	v_pk_add_f32 v[28:29], v[28:29], v[116:117] neg_lo:[0,1] neg_hi:[0,1]
	s_wait_dscnt 0x0
	v_pk_mul_f32 v[116:117], v[112:113], v[110:111] op_sel:[0,1]
	s_delay_alu instid0(VALU_DEP_1) | instskip(SKIP_2) | instid1(VALU_DEP_2)
	v_pk_fma_f32 v[118:119], v[112:113], v[108:109], v[116:117] op_sel:[0,0,1] op_sel_hi:[1,1,0] neg_lo:[0,0,1] neg_hi:[0,0,1]
	v_pk_fma_f32 v[112:113], v[112:113], v[108:109], v[116:117] op_sel:[0,0,1] op_sel_hi:[1,0,0]
	v_dual_mul_f32 v116, v115, v111 :: v_dual_mov_b32 v112, v115
	v_dual_mov_b32 v119, v113 :: v_dual_mov_b32 v113, v114
	s_delay_alu instid0(VALU_DEP_2) | instskip(SKIP_1) | instid1(VALU_DEP_3)
	v_pk_fma_f32 v[116:117], v[114:115], v[52:53], v[116:117] op_sel_hi:[1,1,0] neg_lo:[0,0,1] neg_hi:[0,0,1]
	v_mul_f32_e32 v114, v115, v108
	v_pk_add_f32 v[24:25], v[24:25], v[118:119] neg_lo:[0,1] neg_hi:[0,1]
	s_delay_alu instid0(VALU_DEP_2) | instskip(NEXT) | instid1(VALU_DEP_1)
	v_pk_fma_f32 v[112:113], v[112:113], v[52:53], v[114:115] op_sel_hi:[1,1,0]
	v_mov_b32_e32 v117, v113
	ds_load_2addr_b64 v[112:115], v154 offset0:7 offset1:8
	v_pk_add_f32 v[26:27], v[26:27], v[116:117] neg_lo:[0,1] neg_hi:[0,1]
	s_wait_dscnt 0x0
	v_pk_mul_f32 v[116:117], v[112:113], v[110:111] op_sel:[0,1]
	s_delay_alu instid0(VALU_DEP_1) | instskip(SKIP_1) | instid1(VALU_DEP_1)
	v_pk_fma_f32 v[118:119], v[112:113], v[108:109], v[116:117] op_sel:[0,0,1] op_sel_hi:[1,1,0] neg_lo:[0,0,1] neg_hi:[0,0,1]
	v_pk_fma_f32 v[112:113], v[112:113], v[108:109], v[116:117] op_sel:[0,0,1] op_sel_hi:[1,0,0]
	v_mov_b32_e32 v119, v113
	v_pk_mul_f32 v[112:113], v[114:115], v[110:111] op_sel:[0,1]
	s_delay_alu instid0(VALU_DEP_1) | instskip(SKIP_1) | instid1(VALU_DEP_1)
	v_pk_fma_f32 v[116:117], v[114:115], v[108:109], v[112:113] op_sel:[0,0,1] op_sel_hi:[1,1,0] neg_lo:[0,0,1] neg_hi:[0,0,1]
	v_pk_fma_f32 v[112:113], v[114:115], v[108:109], v[112:113] op_sel:[0,0,1] op_sel_hi:[1,0,0]
	v_mov_b32_e32 v117, v113
	ds_load_2addr_b64 v[112:115], v154 offset0:9 offset1:10
	v_pk_add_f32 v[22:23], v[22:23], v[118:119] neg_lo:[0,1] neg_hi:[0,1]
	v_pk_add_f32 v[42:43], v[42:43], v[116:117] neg_lo:[0,1] neg_hi:[0,1]
	s_wait_dscnt 0x0
	v_pk_mul_f32 v[116:117], v[112:113], v[110:111] op_sel:[0,1]
	s_delay_alu instid0(VALU_DEP_1) | instskip(SKIP_1) | instid1(VALU_DEP_1)
	v_pk_fma_f32 v[118:119], v[112:113], v[108:109], v[116:117] op_sel:[0,0,1] op_sel_hi:[1,1,0] neg_lo:[0,0,1] neg_hi:[0,0,1]
	v_pk_fma_f32 v[112:113], v[112:113], v[108:109], v[116:117] op_sel:[0,0,1] op_sel_hi:[1,0,0]
	v_mov_b32_e32 v119, v113
	v_pk_mul_f32 v[112:113], v[114:115], v[110:111] op_sel:[0,1]
	s_delay_alu instid0(VALU_DEP_1) | instskip(SKIP_1) | instid1(VALU_DEP_1)
	v_pk_fma_f32 v[116:117], v[114:115], v[108:109], v[112:113] op_sel:[0,0,1] op_sel_hi:[1,1,0] neg_lo:[0,0,1] neg_hi:[0,0,1]
	v_pk_fma_f32 v[112:113], v[114:115], v[108:109], v[112:113] op_sel:[0,0,1] op_sel_hi:[1,0,0]
	v_mov_b32_e32 v117, v113
	ds_load_2addr_b64 v[112:115], v154 offset0:11 offset1:12
	v_pk_add_f32 v[38:39], v[38:39], v[118:119] neg_lo:[0,1] neg_hi:[0,1]
	v_pk_add_f32 v[40:41], v[40:41], v[116:117] neg_lo:[0,1] neg_hi:[0,1]
	s_wait_dscnt 0x0
	v_dual_mul_f32 v116, v113, v111 :: v_dual_mul_f32 v118, v113, v108
	s_delay_alu instid0(VALU_DEP_1) | instskip(NEXT) | instid1(VALU_DEP_2)
	v_pk_fma_f32 v[116:117], v[112:113], v[52:53], v[116:117] op_sel_hi:[1,1,0] neg_lo:[0,0,1] neg_hi:[0,0,1]
	v_pk_fma_f32 v[112:113], v[112:113], v[52:53], v[118:119] op_sel:[1,0,0] op_sel_hi:[0,1,0]
	s_delay_alu instid0(VALU_DEP_1) | instskip(SKIP_1) | instid1(VALU_DEP_2)
	v_mov_b32_e32 v117, v113
	v_pk_mul_f32 v[112:113], v[114:115], v[110:111] op_sel:[0,1]
	v_pk_add_f32 v[36:37], v[36:37], v[116:117] neg_lo:[0,1] neg_hi:[0,1]
	s_delay_alu instid0(VALU_DEP_2) | instskip(SKIP_1) | instid1(VALU_DEP_1)
	v_pk_fma_f32 v[116:117], v[114:115], v[108:109], v[112:113] op_sel:[0,0,1] op_sel_hi:[1,1,0] neg_lo:[0,0,1] neg_hi:[0,0,1]
	v_pk_fma_f32 v[112:113], v[114:115], v[108:109], v[112:113] op_sel:[0,0,1] op_sel_hi:[1,0,0]
	v_mov_b32_e32 v117, v113
	ds_load_2addr_b64 v[112:115], v154 offset0:13 offset1:14
	v_pk_add_f32 v[72:73], v[72:73], v[116:117] neg_lo:[0,1] neg_hi:[0,1]
	s_wait_dscnt 0x0
	v_pk_mul_f32 v[116:117], v[112:113], v[110:111] op_sel:[0,1]
	s_delay_alu instid0(VALU_DEP_1) | instskip(SKIP_1) | instid1(VALU_DEP_1)
	v_pk_fma_f32 v[118:119], v[112:113], v[108:109], v[116:117] op_sel:[0,0,1] op_sel_hi:[1,1,0] neg_lo:[0,0,1] neg_hi:[0,0,1]
	v_pk_fma_f32 v[112:113], v[112:113], v[108:109], v[116:117] op_sel:[0,0,1] op_sel_hi:[1,0,0]
	v_mov_b32_e32 v119, v113
	v_pk_mul_f32 v[112:113], v[114:115], v[110:111] op_sel:[0,1]
	s_delay_alu instid0(VALU_DEP_2) | instskip(NEXT) | instid1(VALU_DEP_2)
	v_pk_add_f32 v[68:69], v[68:69], v[118:119] neg_lo:[0,1] neg_hi:[0,1]
	v_pk_fma_f32 v[116:117], v[114:115], v[108:109], v[112:113] op_sel:[0,0,1] op_sel_hi:[1,1,0] neg_lo:[0,0,1] neg_hi:[0,0,1]
	v_pk_fma_f32 v[112:113], v[114:115], v[108:109], v[112:113] op_sel:[0,0,1] op_sel_hi:[1,0,0]
	s_delay_alu instid0(VALU_DEP_1) | instskip(SKIP_4) | instid1(VALU_DEP_1)
	v_mov_b32_e32 v117, v113
	ds_load_2addr_b64 v[112:115], v154 offset0:15 offset1:16
	v_pk_add_f32 v[70:71], v[70:71], v[116:117] neg_lo:[0,1] neg_hi:[0,1]
	s_wait_dscnt 0x0
	v_pk_mul_f32 v[116:117], v[112:113], v[110:111] op_sel:[0,1]
	v_pk_fma_f32 v[118:119], v[112:113], v[108:109], v[116:117] op_sel:[0,0,1] op_sel_hi:[1,1,0] neg_lo:[0,0,1] neg_hi:[0,0,1]
	v_pk_fma_f32 v[112:113], v[112:113], v[108:109], v[116:117] op_sel:[0,0,1] op_sel_hi:[1,0,0]
	v_dual_mul_f32 v116, v115, v111 :: v_dual_mov_b32 v112, v115
	s_delay_alu instid0(VALU_DEP_2) | instskip(NEXT) | instid1(VALU_DEP_2)
	v_dual_mov_b32 v119, v113 :: v_dual_mov_b32 v113, v114
	v_pk_fma_f32 v[116:117], v[114:115], v[52:53], v[116:117] op_sel_hi:[1,1,0] neg_lo:[0,0,1] neg_hi:[0,0,1]
	v_mul_f32_e32 v114, v115, v108
	s_delay_alu instid0(VALU_DEP_3) | instskip(NEXT) | instid1(VALU_DEP_2)
	v_pk_add_f32 v[66:67], v[66:67], v[118:119] neg_lo:[0,1] neg_hi:[0,1]
	v_pk_fma_f32 v[112:113], v[112:113], v[52:53], v[114:115] op_sel_hi:[1,1,0]
	s_delay_alu instid0(VALU_DEP_1) | instskip(SKIP_4) | instid1(VALU_DEP_1)
	v_mov_b32_e32 v117, v113
	ds_load_2addr_b64 v[112:115], v154 offset0:17 offset1:18
	v_pk_add_f32 v[92:93], v[92:93], v[116:117] neg_lo:[0,1] neg_hi:[0,1]
	s_wait_dscnt 0x0
	v_pk_mul_f32 v[116:117], v[112:113], v[110:111] op_sel:[0,1]
	v_pk_fma_f32 v[118:119], v[112:113], v[108:109], v[116:117] op_sel:[0,0,1] op_sel_hi:[1,1,0] neg_lo:[0,0,1] neg_hi:[0,0,1]
	v_pk_fma_f32 v[112:113], v[112:113], v[108:109], v[116:117] op_sel:[0,0,1] op_sel_hi:[1,0,0]
	s_delay_alu instid0(VALU_DEP_1) | instskip(SKIP_1) | instid1(VALU_DEP_1)
	v_mov_b32_e32 v119, v113
	v_pk_mul_f32 v[112:113], v[114:115], v[110:111] op_sel:[0,1]
	v_pk_fma_f32 v[116:117], v[114:115], v[108:109], v[112:113] op_sel:[0,0,1] op_sel_hi:[1,1,0] neg_lo:[0,0,1] neg_hi:[0,0,1]
	v_pk_fma_f32 v[112:113], v[114:115], v[108:109], v[112:113] op_sel:[0,0,1] op_sel_hi:[1,0,0]
	s_delay_alu instid0(VALU_DEP_1)
	v_mov_b32_e32 v117, v113
	ds_load_2addr_b64 v[112:115], v154 offset0:19 offset1:20
	v_pk_add_f32 v[86:87], v[86:87], v[118:119] neg_lo:[0,1] neg_hi:[0,1]
	v_pk_add_f32 v[90:91], v[90:91], v[116:117] neg_lo:[0,1] neg_hi:[0,1]
	s_wait_dscnt 0x0
	v_pk_mul_f32 v[116:117], v[112:113], v[110:111] op_sel:[0,1]
	s_delay_alu instid0(VALU_DEP_1) | instskip(SKIP_1) | instid1(VALU_DEP_1)
	v_pk_fma_f32 v[118:119], v[112:113], v[108:109], v[116:117] op_sel:[0,0,1] op_sel_hi:[1,1,0] neg_lo:[0,0,1] neg_hi:[0,0,1]
	v_pk_fma_f32 v[112:113], v[112:113], v[108:109], v[116:117] op_sel:[0,0,1] op_sel_hi:[1,0,0]
	v_mov_b32_e32 v119, v113
	v_pk_mul_f32 v[112:113], v[114:115], v[110:111] op_sel:[0,1]
	s_delay_alu instid0(VALU_DEP_1) | instskip(SKIP_1) | instid1(VALU_DEP_1)
	v_pk_fma_f32 v[116:117], v[114:115], v[108:109], v[112:113] op_sel:[0,0,1] op_sel_hi:[1,1,0] neg_lo:[0,0,1] neg_hi:[0,0,1]
	v_pk_fma_f32 v[112:113], v[114:115], v[108:109], v[112:113] op_sel:[0,0,1] op_sel_hi:[1,0,0]
	v_mov_b32_e32 v117, v113
	ds_load_2addr_b64 v[112:115], v154 offset0:21 offset1:22
	v_pk_add_f32 v[84:85], v[84:85], v[118:119] neg_lo:[0,1] neg_hi:[0,1]
	v_pk_add_f32 v[88:89], v[88:89], v[116:117] neg_lo:[0,1] neg_hi:[0,1]
	s_wait_dscnt 0x0
	v_dual_mul_f32 v116, v113, v111 :: v_dual_mul_f32 v118, v113, v108
	s_delay_alu instid0(VALU_DEP_1) | instskip(NEXT) | instid1(VALU_DEP_2)
	v_pk_fma_f32 v[116:117], v[112:113], v[52:53], v[116:117] op_sel_hi:[1,1,0] neg_lo:[0,0,1] neg_hi:[0,0,1]
	v_pk_fma_f32 v[112:113], v[112:113], v[52:53], v[118:119] op_sel:[1,0,0] op_sel_hi:[0,1,0]
	s_delay_alu instid0(VALU_DEP_1) | instskip(SKIP_1) | instid1(VALU_DEP_2)
	v_mov_b32_e32 v117, v113
	v_pk_mul_f32 v[112:113], v[114:115], v[110:111] op_sel:[0,1]
	v_pk_add_f32 v[98:99], v[98:99], v[116:117] neg_lo:[0,1] neg_hi:[0,1]
	s_delay_alu instid0(VALU_DEP_2) | instskip(SKIP_1) | instid1(VALU_DEP_1)
	v_pk_fma_f32 v[116:117], v[114:115], v[108:109], v[112:113] op_sel:[0,0,1] op_sel_hi:[1,1,0] neg_lo:[0,0,1] neg_hi:[0,0,1]
	v_pk_fma_f32 v[112:113], v[114:115], v[108:109], v[112:113] op_sel:[0,0,1] op_sel_hi:[1,0,0]
	v_mov_b32_e32 v117, v113
	ds_load_2addr_b64 v[112:115], v154 offset0:23 offset1:24
	v_pk_add_f32 v[96:97], v[96:97], v[116:117] neg_lo:[0,1] neg_hi:[0,1]
	s_wait_dscnt 0x0
	v_pk_mul_f32 v[116:117], v[112:113], v[110:111] op_sel:[0,1]
	v_pk_mul_f32 v[110:111], v[114:115], v[110:111] op_sel:[0,1]
	s_delay_alu instid0(VALU_DEP_2) | instskip(SKIP_1) | instid1(VALU_DEP_1)
	v_pk_fma_f32 v[118:119], v[112:113], v[108:109], v[116:117] op_sel:[0,0,1] op_sel_hi:[1,1,0] neg_lo:[0,0,1] neg_hi:[0,0,1]
	v_pk_fma_f32 v[112:113], v[112:113], v[108:109], v[116:117] op_sel:[0,0,1] op_sel_hi:[1,0,0]
	v_mov_b32_e32 v119, v113
	s_delay_alu instid0(VALU_DEP_4) | instskip(SKIP_1) | instid1(VALU_DEP_3)
	v_pk_fma_f32 v[112:113], v[114:115], v[108:109], v[110:111] op_sel:[0,0,1] op_sel_hi:[1,1,0] neg_lo:[0,0,1] neg_hi:[0,0,1]
	v_pk_fma_f32 v[108:109], v[114:115], v[108:109], v[110:111] op_sel:[0,0,1] op_sel_hi:[1,0,0]
	v_pk_add_f32 v[94:95], v[94:95], v[118:119] neg_lo:[0,1] neg_hi:[0,1]
	s_delay_alu instid0(VALU_DEP_2) | instskip(NEXT) | instid1(VALU_DEP_1)
	v_mov_b32_e32 v113, v109
	v_pk_add_f32 v[100:101], v[100:101], v[112:113] neg_lo:[0,1] neg_hi:[0,1]
.LBB49_28:
	s_or_b32 exec_lo, exec_lo, s1
	s_delay_alu instid0(SALU_CYCLE_1)
	s_mov_b32 s2, exec_lo
	s_wait_dscnt 0x0
	s_barrier_signal -1
	s_barrier_wait -1
	v_cmpx_eq_u32_e32 3, v152
	s_cbranch_execz .LBB49_35
; %bb.29:
	v_dual_mov_b32 v108, v28 :: v_dual_mov_b32 v109, v29
	v_dual_mov_b32 v110, v24 :: v_dual_mov_b32 v111, v25
	ds_store_b64 v153, v[50:51]
	ds_store_2addr_b64 v154, v[108:109], v[110:111] offset0:4 offset1:5
	v_dual_mov_b32 v108, v26 :: v_dual_mov_b32 v109, v27
	v_dual_mov_b32 v110, v22 :: v_dual_mov_b32 v111, v23
	ds_store_2addr_b64 v154, v[108:109], v[110:111] offset0:6 offset1:7
	v_dual_mov_b32 v108, v42 :: v_dual_mov_b32 v109, v43
	v_dual_mov_b32 v110, v38 :: v_dual_mov_b32 v111, v39
	;; [unrolled: 3-line block ×9, first 2 shown]
	ds_store_2addr_b64 v154, v[108:109], v[110:111] offset0:22 offset1:23
	ds_store_b64 v154, v[100:101] offset:192
	ds_load_b64 v[108:109], v153
	s_wait_dscnt 0x0
	v_cmp_neq_f32_e32 vcc_lo, 0, v108
	v_cmp_neq_f32_e64 s1, 0, v109
	s_or_b32 s1, vcc_lo, s1
	s_delay_alu instid0(SALU_CYCLE_1)
	s_and_b32 exec_lo, exec_lo, s1
	s_cbranch_execz .LBB49_35
; %bb.30:
	v_cmp_ngt_f32_e64 s1, |v108|, |v109|
                                        ; implicit-def: $vgpr110_vgpr111
	s_and_saveexec_b32 s4, s1
	s_delay_alu instid0(SALU_CYCLE_1)
	s_xor_b32 s1, exec_lo, s4
	s_cbranch_execz .LBB49_32
; %bb.31:
	v_div_scale_f32 v110, null, v109, v109, v108
	v_div_scale_f32 v113, vcc_lo, v108, v109, v108
	s_delay_alu instid0(VALU_DEP_2) | instskip(SKIP_1) | instid1(TRANS32_DEP_1)
	v_rcp_f32_e32 v111, v110
	v_nop
	v_fma_f32 v112, -v110, v111, 1.0
	s_delay_alu instid0(VALU_DEP_1) | instskip(NEXT) | instid1(VALU_DEP_1)
	v_fmac_f32_e32 v111, v112, v111
	v_mul_f32_e32 v112, v113, v111
	s_delay_alu instid0(VALU_DEP_1) | instskip(NEXT) | instid1(VALU_DEP_1)
	v_fma_f32 v114, -v110, v112, v113
	v_fmac_f32_e32 v112, v114, v111
	s_delay_alu instid0(VALU_DEP_1) | instskip(NEXT) | instid1(VALU_DEP_1)
	v_fma_f32 v110, -v110, v112, v113
	v_div_fmas_f32 v110, v110, v111, v112
	s_delay_alu instid0(VALU_DEP_1) | instskip(NEXT) | instid1(VALU_DEP_1)
	v_div_fixup_f32 v110, v110, v109, v108
	v_fmac_f32_e32 v109, v108, v110
	s_delay_alu instid0(VALU_DEP_1) | instskip(SKIP_1) | instid1(VALU_DEP_2)
	v_div_scale_f32 v108, null, v109, v109, 1.0
	v_div_scale_f32 v113, vcc_lo, 1.0, v109, 1.0
	v_rcp_f32_e32 v111, v108
	v_nop
	s_delay_alu instid0(TRANS32_DEP_1) | instskip(NEXT) | instid1(VALU_DEP_1)
	v_fma_f32 v112, -v108, v111, 1.0
	v_fmac_f32_e32 v111, v112, v111
	s_delay_alu instid0(VALU_DEP_1) | instskip(NEXT) | instid1(VALU_DEP_1)
	v_mul_f32_e32 v112, v113, v111
	v_fma_f32 v114, -v108, v112, v113
	s_delay_alu instid0(VALU_DEP_1) | instskip(NEXT) | instid1(VALU_DEP_1)
	v_fmac_f32_e32 v112, v114, v111
	v_fma_f32 v108, -v108, v112, v113
	s_delay_alu instid0(VALU_DEP_1) | instskip(NEXT) | instid1(VALU_DEP_1)
	v_div_fmas_f32 v108, v108, v111, v112
	v_div_fixup_f32 v108, v108, v109, 1.0
	s_delay_alu instid0(VALU_DEP_1)
	v_mul_f32_e32 v110, v110, v108
	v_xor_b32_e32 v111, 0x80000000, v108
                                        ; implicit-def: $vgpr108_vgpr109
.LBB49_32:
	s_and_not1_saveexec_b32 s1, s1
	s_cbranch_execz .LBB49_34
; %bb.33:
	v_div_scale_f32 v110, null, v108, v108, v109
	v_div_scale_f32 v113, vcc_lo, v109, v108, v109
	s_delay_alu instid0(VALU_DEP_2) | instskip(SKIP_1) | instid1(TRANS32_DEP_1)
	v_rcp_f32_e32 v111, v110
	v_nop
	v_fma_f32 v112, -v110, v111, 1.0
	s_delay_alu instid0(VALU_DEP_1) | instskip(NEXT) | instid1(VALU_DEP_1)
	v_fmac_f32_e32 v111, v112, v111
	v_mul_f32_e32 v112, v113, v111
	s_delay_alu instid0(VALU_DEP_1) | instskip(NEXT) | instid1(VALU_DEP_1)
	v_fma_f32 v114, -v110, v112, v113
	v_fmac_f32_e32 v112, v114, v111
	s_delay_alu instid0(VALU_DEP_1) | instskip(NEXT) | instid1(VALU_DEP_1)
	v_fma_f32 v110, -v110, v112, v113
	v_div_fmas_f32 v110, v110, v111, v112
	s_delay_alu instid0(VALU_DEP_1) | instskip(NEXT) | instid1(VALU_DEP_1)
	v_div_fixup_f32 v111, v110, v108, v109
	v_fmac_f32_e32 v108, v109, v111
	s_delay_alu instid0(VALU_DEP_1) | instskip(NEXT) | instid1(VALU_DEP_1)
	v_div_scale_f32 v109, null, v108, v108, 1.0
	v_rcp_f32_e32 v110, v109
	v_nop
	s_delay_alu instid0(TRANS32_DEP_1) | instskip(NEXT) | instid1(VALU_DEP_1)
	v_fma_f32 v112, -v109, v110, 1.0
	v_fmac_f32_e32 v110, v112, v110
	v_div_scale_f32 v112, vcc_lo, 1.0, v108, 1.0
	s_delay_alu instid0(VALU_DEP_1) | instskip(NEXT) | instid1(VALU_DEP_1)
	v_mul_f32_e32 v113, v112, v110
	v_fma_f32 v114, -v109, v113, v112
	s_delay_alu instid0(VALU_DEP_1) | instskip(NEXT) | instid1(VALU_DEP_1)
	v_fmac_f32_e32 v113, v114, v110
	v_fma_f32 v109, -v109, v113, v112
	s_delay_alu instid0(VALU_DEP_1) | instskip(NEXT) | instid1(VALU_DEP_1)
	v_div_fmas_f32 v109, v109, v110, v113
	v_div_fixup_f32 v110, v109, v108, 1.0
	s_delay_alu instid0(VALU_DEP_1)
	v_mul_f32_e64 v111, v111, -v110
.LBB49_34:
	s_or_b32 exec_lo, exec_lo, s1
	ds_store_b64 v153, v[110:111]
.LBB49_35:
	s_or_b32 exec_lo, exec_lo, s2
	s_wait_dscnt 0x0
	s_barrier_signal -1
	s_barrier_wait -1
	ds_load_b64 v[108:109], v153
	s_mov_b32 s1, exec_lo
	v_cmpx_lt_u32_e32 3, v152
	s_cbranch_execz .LBB49_37
; %bb.36:
	ds_load_2addr_b64 v[114:117], v154 offset0:4 offset1:5
	s_wait_dscnt 0x1
	v_pk_mul_f32 v[112:113], v[108:109], v[50:51] op_sel:[1,1] op_sel_hi:[0,1]
	s_delay_alu instid0(VALU_DEP_1) | instskip(SKIP_1) | instid1(VALU_DEP_1)
	v_pk_fma_f32 v[110:111], v[108:109], v[50:51], v[112:113] op_sel_hi:[1,0,1] neg_lo:[0,0,1] neg_hi:[0,0,1]
	v_pk_fma_f32 v[112:113], v[108:109], v[50:51], v[112:113] op_sel_hi:[1,0,1]
	v_dual_mov_b32 v50, v110 :: v_dual_mov_b32 v51, v113
	s_wait_dscnt 0x0
	s_delay_alu instid0(VALU_DEP_2) | instskip(NEXT) | instid1(VALU_DEP_1)
	v_pk_mul_f32 v[118:119], v[114:115], v[112:113] op_sel:[0,1]
	v_pk_fma_f32 v[120:121], v[114:115], v[110:111], v[118:119] op_sel:[0,0,1] op_sel_hi:[1,1,0] neg_lo:[0,0,1] neg_hi:[0,0,1]
	v_pk_fma_f32 v[114:115], v[114:115], v[110:111], v[118:119] op_sel:[0,0,1] op_sel_hi:[1,0,0]
	s_delay_alu instid0(VALU_DEP_1) | instskip(SKIP_1) | instid1(VALU_DEP_1)
	v_mov_b32_e32 v121, v115
	v_pk_mul_f32 v[114:115], v[116:117], v[112:113] op_sel:[0,1]
	v_pk_fma_f32 v[118:119], v[116:117], v[110:111], v[114:115] op_sel:[0,0,1] op_sel_hi:[1,1,0] neg_lo:[0,0,1] neg_hi:[0,0,1]
	v_pk_fma_f32 v[114:115], v[116:117], v[110:111], v[114:115] op_sel:[0,0,1] op_sel_hi:[1,0,0]
	s_delay_alu instid0(VALU_DEP_1)
	v_mov_b32_e32 v119, v115
	ds_load_2addr_b64 v[114:117], v154 offset0:6 offset1:7
	v_pk_add_f32 v[28:29], v[28:29], v[120:121] neg_lo:[0,1] neg_hi:[0,1]
	v_pk_add_f32 v[24:25], v[24:25], v[118:119] neg_lo:[0,1] neg_hi:[0,1]
	s_wait_dscnt 0x0
	v_pk_mul_f32 v[118:119], v[114:115], v[112:113] op_sel:[0,1]
	s_delay_alu instid0(VALU_DEP_1) | instskip(SKIP_2) | instid1(VALU_DEP_2)
	v_pk_fma_f32 v[120:121], v[114:115], v[110:111], v[118:119] op_sel:[0,0,1] op_sel_hi:[1,1,0] neg_lo:[0,0,1] neg_hi:[0,0,1]
	v_pk_fma_f32 v[114:115], v[114:115], v[110:111], v[118:119] op_sel:[0,0,1] op_sel_hi:[1,0,0]
	v_dual_mul_f32 v118, v117, v113 :: v_dual_mov_b32 v114, v117
	v_dual_mov_b32 v121, v115 :: v_dual_mov_b32 v115, v116
	s_delay_alu instid0(VALU_DEP_2) | instskip(SKIP_1) | instid1(VALU_DEP_3)
	v_pk_fma_f32 v[118:119], v[116:117], v[50:51], v[118:119] op_sel_hi:[1,1,0] neg_lo:[0,0,1] neg_hi:[0,0,1]
	v_mul_f32_e32 v116, v117, v110
	v_pk_add_f32 v[26:27], v[26:27], v[120:121] neg_lo:[0,1] neg_hi:[0,1]
	s_delay_alu instid0(VALU_DEP_2) | instskip(NEXT) | instid1(VALU_DEP_1)
	v_pk_fma_f32 v[114:115], v[114:115], v[50:51], v[116:117] op_sel_hi:[1,1,0]
	v_mov_b32_e32 v119, v115
	ds_load_2addr_b64 v[114:117], v154 offset0:8 offset1:9
	v_pk_add_f32 v[22:23], v[22:23], v[118:119] neg_lo:[0,1] neg_hi:[0,1]
	s_wait_dscnt 0x0
	v_pk_mul_f32 v[118:119], v[114:115], v[112:113] op_sel:[0,1]
	s_delay_alu instid0(VALU_DEP_1) | instskip(SKIP_1) | instid1(VALU_DEP_1)
	v_pk_fma_f32 v[120:121], v[114:115], v[110:111], v[118:119] op_sel:[0,0,1] op_sel_hi:[1,1,0] neg_lo:[0,0,1] neg_hi:[0,0,1]
	v_pk_fma_f32 v[114:115], v[114:115], v[110:111], v[118:119] op_sel:[0,0,1] op_sel_hi:[1,0,0]
	v_mov_b32_e32 v121, v115
	v_pk_mul_f32 v[114:115], v[116:117], v[112:113] op_sel:[0,1]
	s_delay_alu instid0(VALU_DEP_1) | instskip(SKIP_1) | instid1(VALU_DEP_1)
	v_pk_fma_f32 v[118:119], v[116:117], v[110:111], v[114:115] op_sel:[0,0,1] op_sel_hi:[1,1,0] neg_lo:[0,0,1] neg_hi:[0,0,1]
	v_pk_fma_f32 v[114:115], v[116:117], v[110:111], v[114:115] op_sel:[0,0,1] op_sel_hi:[1,0,0]
	v_mov_b32_e32 v119, v115
	ds_load_2addr_b64 v[114:117], v154 offset0:10 offset1:11
	v_pk_add_f32 v[42:43], v[42:43], v[120:121] neg_lo:[0,1] neg_hi:[0,1]
	v_pk_add_f32 v[38:39], v[38:39], v[118:119] neg_lo:[0,1] neg_hi:[0,1]
	s_wait_dscnt 0x0
	v_pk_mul_f32 v[118:119], v[114:115], v[112:113] op_sel:[0,1]
	s_delay_alu instid0(VALU_DEP_1) | instskip(SKIP_1) | instid1(VALU_DEP_1)
	v_pk_fma_f32 v[120:121], v[114:115], v[110:111], v[118:119] op_sel:[0,0,1] op_sel_hi:[1,1,0] neg_lo:[0,0,1] neg_hi:[0,0,1]
	v_pk_fma_f32 v[114:115], v[114:115], v[110:111], v[118:119] op_sel:[0,0,1] op_sel_hi:[1,0,0]
	v_mov_b32_e32 v121, v115
	v_pk_mul_f32 v[114:115], v[116:117], v[112:113] op_sel:[0,1]
	s_delay_alu instid0(VALU_DEP_1) | instskip(SKIP_1) | instid1(VALU_DEP_1)
	v_pk_fma_f32 v[118:119], v[116:117], v[110:111], v[114:115] op_sel:[0,0,1] op_sel_hi:[1,1,0] neg_lo:[0,0,1] neg_hi:[0,0,1]
	v_pk_fma_f32 v[114:115], v[116:117], v[110:111], v[114:115] op_sel:[0,0,1] op_sel_hi:[1,0,0]
	v_mov_b32_e32 v119, v115
	ds_load_2addr_b64 v[114:117], v154 offset0:12 offset1:13
	v_pk_add_f32 v[40:41], v[40:41], v[120:121] neg_lo:[0,1] neg_hi:[0,1]
	v_pk_add_f32 v[36:37], v[36:37], v[118:119] neg_lo:[0,1] neg_hi:[0,1]
	s_wait_dscnt 0x0
	v_dual_mul_f32 v118, v115, v113 :: v_dual_mul_f32 v120, v115, v110
	s_delay_alu instid0(VALU_DEP_1) | instskip(NEXT) | instid1(VALU_DEP_2)
	v_pk_fma_f32 v[118:119], v[114:115], v[50:51], v[118:119] op_sel_hi:[1,1,0] neg_lo:[0,0,1] neg_hi:[0,0,1]
	v_pk_fma_f32 v[114:115], v[114:115], v[50:51], v[120:121] op_sel:[1,0,0] op_sel_hi:[0,1,0]
	s_delay_alu instid0(VALU_DEP_1) | instskip(SKIP_1) | instid1(VALU_DEP_2)
	v_mov_b32_e32 v119, v115
	v_pk_mul_f32 v[114:115], v[116:117], v[112:113] op_sel:[0,1]
	v_pk_add_f32 v[72:73], v[72:73], v[118:119] neg_lo:[0,1] neg_hi:[0,1]
	s_delay_alu instid0(VALU_DEP_2) | instskip(SKIP_1) | instid1(VALU_DEP_1)
	v_pk_fma_f32 v[118:119], v[116:117], v[110:111], v[114:115] op_sel:[0,0,1] op_sel_hi:[1,1,0] neg_lo:[0,0,1] neg_hi:[0,0,1]
	v_pk_fma_f32 v[114:115], v[116:117], v[110:111], v[114:115] op_sel:[0,0,1] op_sel_hi:[1,0,0]
	v_mov_b32_e32 v119, v115
	ds_load_2addr_b64 v[114:117], v154 offset0:14 offset1:15
	v_pk_add_f32 v[68:69], v[68:69], v[118:119] neg_lo:[0,1] neg_hi:[0,1]
	s_wait_dscnt 0x0
	v_pk_mul_f32 v[118:119], v[114:115], v[112:113] op_sel:[0,1]
	s_delay_alu instid0(VALU_DEP_1) | instskip(SKIP_1) | instid1(VALU_DEP_1)
	v_pk_fma_f32 v[120:121], v[114:115], v[110:111], v[118:119] op_sel:[0,0,1] op_sel_hi:[1,1,0] neg_lo:[0,0,1] neg_hi:[0,0,1]
	v_pk_fma_f32 v[114:115], v[114:115], v[110:111], v[118:119] op_sel:[0,0,1] op_sel_hi:[1,0,0]
	v_mov_b32_e32 v121, v115
	v_pk_mul_f32 v[114:115], v[116:117], v[112:113] op_sel:[0,1]
	s_delay_alu instid0(VALU_DEP_2) | instskip(NEXT) | instid1(VALU_DEP_2)
	v_pk_add_f32 v[70:71], v[70:71], v[120:121] neg_lo:[0,1] neg_hi:[0,1]
	v_pk_fma_f32 v[118:119], v[116:117], v[110:111], v[114:115] op_sel:[0,0,1] op_sel_hi:[1,1,0] neg_lo:[0,0,1] neg_hi:[0,0,1]
	v_pk_fma_f32 v[114:115], v[116:117], v[110:111], v[114:115] op_sel:[0,0,1] op_sel_hi:[1,0,0]
	s_delay_alu instid0(VALU_DEP_1) | instskip(SKIP_4) | instid1(VALU_DEP_1)
	v_mov_b32_e32 v119, v115
	ds_load_2addr_b64 v[114:117], v154 offset0:16 offset1:17
	v_pk_add_f32 v[66:67], v[66:67], v[118:119] neg_lo:[0,1] neg_hi:[0,1]
	s_wait_dscnt 0x0
	v_pk_mul_f32 v[118:119], v[114:115], v[112:113] op_sel:[0,1]
	v_pk_fma_f32 v[120:121], v[114:115], v[110:111], v[118:119] op_sel:[0,0,1] op_sel_hi:[1,1,0] neg_lo:[0,0,1] neg_hi:[0,0,1]
	v_pk_fma_f32 v[114:115], v[114:115], v[110:111], v[118:119] op_sel:[0,0,1] op_sel_hi:[1,0,0]
	v_dual_mul_f32 v118, v117, v113 :: v_dual_mov_b32 v114, v117
	s_delay_alu instid0(VALU_DEP_2) | instskip(NEXT) | instid1(VALU_DEP_2)
	v_dual_mov_b32 v121, v115 :: v_dual_mov_b32 v115, v116
	v_pk_fma_f32 v[118:119], v[116:117], v[50:51], v[118:119] op_sel_hi:[1,1,0] neg_lo:[0,0,1] neg_hi:[0,0,1]
	v_mul_f32_e32 v116, v117, v110
	s_delay_alu instid0(VALU_DEP_3) | instskip(NEXT) | instid1(VALU_DEP_2)
	v_pk_add_f32 v[92:93], v[92:93], v[120:121] neg_lo:[0,1] neg_hi:[0,1]
	v_pk_fma_f32 v[114:115], v[114:115], v[50:51], v[116:117] op_sel_hi:[1,1,0]
	s_delay_alu instid0(VALU_DEP_1) | instskip(SKIP_4) | instid1(VALU_DEP_1)
	v_mov_b32_e32 v119, v115
	ds_load_2addr_b64 v[114:117], v154 offset0:18 offset1:19
	v_pk_add_f32 v[86:87], v[86:87], v[118:119] neg_lo:[0,1] neg_hi:[0,1]
	s_wait_dscnt 0x0
	v_pk_mul_f32 v[118:119], v[114:115], v[112:113] op_sel:[0,1]
	v_pk_fma_f32 v[120:121], v[114:115], v[110:111], v[118:119] op_sel:[0,0,1] op_sel_hi:[1,1,0] neg_lo:[0,0,1] neg_hi:[0,0,1]
	v_pk_fma_f32 v[114:115], v[114:115], v[110:111], v[118:119] op_sel:[0,0,1] op_sel_hi:[1,0,0]
	s_delay_alu instid0(VALU_DEP_1) | instskip(SKIP_1) | instid1(VALU_DEP_1)
	v_mov_b32_e32 v121, v115
	v_pk_mul_f32 v[114:115], v[116:117], v[112:113] op_sel:[0,1]
	v_pk_fma_f32 v[118:119], v[116:117], v[110:111], v[114:115] op_sel:[0,0,1] op_sel_hi:[1,1,0] neg_lo:[0,0,1] neg_hi:[0,0,1]
	v_pk_fma_f32 v[114:115], v[116:117], v[110:111], v[114:115] op_sel:[0,0,1] op_sel_hi:[1,0,0]
	s_delay_alu instid0(VALU_DEP_1)
	v_mov_b32_e32 v119, v115
	ds_load_2addr_b64 v[114:117], v154 offset0:20 offset1:21
	v_pk_add_f32 v[90:91], v[90:91], v[120:121] neg_lo:[0,1] neg_hi:[0,1]
	v_pk_add_f32 v[84:85], v[84:85], v[118:119] neg_lo:[0,1] neg_hi:[0,1]
	s_wait_dscnt 0x0
	v_pk_mul_f32 v[118:119], v[114:115], v[112:113] op_sel:[0,1]
	s_delay_alu instid0(VALU_DEP_1) | instskip(SKIP_1) | instid1(VALU_DEP_1)
	v_pk_fma_f32 v[120:121], v[114:115], v[110:111], v[118:119] op_sel:[0,0,1] op_sel_hi:[1,1,0] neg_lo:[0,0,1] neg_hi:[0,0,1]
	v_pk_fma_f32 v[114:115], v[114:115], v[110:111], v[118:119] op_sel:[0,0,1] op_sel_hi:[1,0,0]
	v_mov_b32_e32 v121, v115
	v_pk_mul_f32 v[114:115], v[116:117], v[112:113] op_sel:[0,1]
	s_delay_alu instid0(VALU_DEP_1) | instskip(SKIP_1) | instid1(VALU_DEP_1)
	v_pk_fma_f32 v[118:119], v[116:117], v[110:111], v[114:115] op_sel:[0,0,1] op_sel_hi:[1,1,0] neg_lo:[0,0,1] neg_hi:[0,0,1]
	v_pk_fma_f32 v[114:115], v[116:117], v[110:111], v[114:115] op_sel:[0,0,1] op_sel_hi:[1,0,0]
	v_mov_b32_e32 v119, v115
	ds_load_2addr_b64 v[114:117], v154 offset0:22 offset1:23
	v_pk_add_f32 v[88:89], v[88:89], v[120:121] neg_lo:[0,1] neg_hi:[0,1]
	v_pk_add_f32 v[98:99], v[98:99], v[118:119] neg_lo:[0,1] neg_hi:[0,1]
	s_wait_dscnt 0x0
	v_dual_mul_f32 v118, v115, v113 :: v_dual_mul_f32 v120, v115, v110
	s_delay_alu instid0(VALU_DEP_1) | instskip(NEXT) | instid1(VALU_DEP_2)
	v_pk_fma_f32 v[118:119], v[114:115], v[50:51], v[118:119] op_sel_hi:[1,1,0] neg_lo:[0,0,1] neg_hi:[0,0,1]
	v_pk_fma_f32 v[114:115], v[114:115], v[50:51], v[120:121] op_sel:[1,0,0] op_sel_hi:[0,1,0]
	s_delay_alu instid0(VALU_DEP_1) | instskip(SKIP_1) | instid1(VALU_DEP_2)
	v_mov_b32_e32 v119, v115
	v_pk_mul_f32 v[114:115], v[116:117], v[112:113] op_sel:[0,1]
	v_pk_add_f32 v[96:97], v[96:97], v[118:119] neg_lo:[0,1] neg_hi:[0,1]
	s_delay_alu instid0(VALU_DEP_2) | instskip(SKIP_1) | instid1(VALU_DEP_1)
	v_pk_fma_f32 v[118:119], v[116:117], v[110:111], v[114:115] op_sel:[0,0,1] op_sel_hi:[1,1,0] neg_lo:[0,0,1] neg_hi:[0,0,1]
	v_pk_fma_f32 v[114:115], v[116:117], v[110:111], v[114:115] op_sel:[0,0,1] op_sel_hi:[1,0,0]
	v_mov_b32_e32 v119, v115
	ds_load_b64 v[114:115], v154 offset:192
	v_pk_add_f32 v[94:95], v[94:95], v[118:119] neg_lo:[0,1] neg_hi:[0,1]
	s_wait_dscnt 0x0
	v_pk_mul_f32 v[112:113], v[114:115], v[112:113] op_sel:[0,1]
	s_delay_alu instid0(VALU_DEP_1) | instskip(SKIP_1) | instid1(VALU_DEP_1)
	v_pk_fma_f32 v[116:117], v[114:115], v[110:111], v[112:113] op_sel:[0,0,1] op_sel_hi:[1,1,0] neg_lo:[0,0,1] neg_hi:[0,0,1]
	v_pk_fma_f32 v[110:111], v[114:115], v[110:111], v[112:113] op_sel:[0,0,1] op_sel_hi:[1,0,0]
	v_mov_b32_e32 v117, v111
	s_delay_alu instid0(VALU_DEP_1)
	v_pk_add_f32 v[100:101], v[100:101], v[116:117] neg_lo:[0,1] neg_hi:[0,1]
.LBB49_37:
	s_or_b32 exec_lo, exec_lo, s1
	s_delay_alu instid0(SALU_CYCLE_1)
	s_mov_b32 s2, exec_lo
	s_wait_dscnt 0x0
	s_barrier_signal -1
	s_barrier_wait -1
	v_cmpx_eq_u32_e32 4, v152
	s_cbranch_execz .LBB49_44
; %bb.38:
	ds_store_b64 v153, v[28:29]
	ds_store_2addr_b64 v154, v[24:25], v[26:27] offset0:5 offset1:6
	ds_store_2addr_b64 v154, v[22:23], v[42:43] offset0:7 offset1:8
	ds_store_2addr_b64 v154, v[38:39], v[40:41] offset0:9 offset1:10
	ds_store_2addr_b64 v154, v[36:37], v[72:73] offset0:11 offset1:12
	ds_store_2addr_b64 v154, v[68:69], v[70:71] offset0:13 offset1:14
	ds_store_2addr_b64 v154, v[66:67], v[92:93] offset0:15 offset1:16
	ds_store_2addr_b64 v154, v[86:87], v[90:91] offset0:17 offset1:18
	ds_store_2addr_b64 v154, v[84:85], v[88:89] offset0:19 offset1:20
	ds_store_2addr_b64 v154, v[98:99], v[96:97] offset0:21 offset1:22
	ds_store_2addr_b64 v154, v[94:95], v[100:101] offset0:23 offset1:24
	ds_load_b64 v[110:111], v153
	s_wait_dscnt 0x0
	v_cmp_neq_f32_e32 vcc_lo, 0, v110
	v_cmp_neq_f32_e64 s1, 0, v111
	s_or_b32 s1, vcc_lo, s1
	s_delay_alu instid0(SALU_CYCLE_1)
	s_and_b32 exec_lo, exec_lo, s1
	s_cbranch_execz .LBB49_44
; %bb.39:
	v_cmp_ngt_f32_e64 s1, |v110|, |v111|
                                        ; implicit-def: $vgpr112_vgpr113
	s_and_saveexec_b32 s4, s1
	s_delay_alu instid0(SALU_CYCLE_1)
	s_xor_b32 s1, exec_lo, s4
	s_cbranch_execz .LBB49_41
; %bb.40:
	v_div_scale_f32 v112, null, v111, v111, v110
	v_div_scale_f32 v115, vcc_lo, v110, v111, v110
	s_delay_alu instid0(VALU_DEP_2) | instskip(SKIP_1) | instid1(TRANS32_DEP_1)
	v_rcp_f32_e32 v113, v112
	v_nop
	v_fma_f32 v114, -v112, v113, 1.0
	s_delay_alu instid0(VALU_DEP_1) | instskip(NEXT) | instid1(VALU_DEP_1)
	v_fmac_f32_e32 v113, v114, v113
	v_mul_f32_e32 v114, v115, v113
	s_delay_alu instid0(VALU_DEP_1) | instskip(NEXT) | instid1(VALU_DEP_1)
	v_fma_f32 v116, -v112, v114, v115
	v_fmac_f32_e32 v114, v116, v113
	s_delay_alu instid0(VALU_DEP_1) | instskip(NEXT) | instid1(VALU_DEP_1)
	v_fma_f32 v112, -v112, v114, v115
	v_div_fmas_f32 v112, v112, v113, v114
	s_delay_alu instid0(VALU_DEP_1) | instskip(NEXT) | instid1(VALU_DEP_1)
	v_div_fixup_f32 v112, v112, v111, v110
	v_fmac_f32_e32 v111, v110, v112
	s_delay_alu instid0(VALU_DEP_1) | instskip(SKIP_1) | instid1(VALU_DEP_2)
	v_div_scale_f32 v110, null, v111, v111, 1.0
	v_div_scale_f32 v115, vcc_lo, 1.0, v111, 1.0
	v_rcp_f32_e32 v113, v110
	v_nop
	s_delay_alu instid0(TRANS32_DEP_1) | instskip(NEXT) | instid1(VALU_DEP_1)
	v_fma_f32 v114, -v110, v113, 1.0
	v_fmac_f32_e32 v113, v114, v113
	s_delay_alu instid0(VALU_DEP_1) | instskip(NEXT) | instid1(VALU_DEP_1)
	v_mul_f32_e32 v114, v115, v113
	v_fma_f32 v116, -v110, v114, v115
	s_delay_alu instid0(VALU_DEP_1) | instskip(NEXT) | instid1(VALU_DEP_1)
	v_fmac_f32_e32 v114, v116, v113
	v_fma_f32 v110, -v110, v114, v115
	s_delay_alu instid0(VALU_DEP_1) | instskip(NEXT) | instid1(VALU_DEP_1)
	v_div_fmas_f32 v110, v110, v113, v114
	v_div_fixup_f32 v110, v110, v111, 1.0
	s_delay_alu instid0(VALU_DEP_1)
	v_mul_f32_e32 v112, v112, v110
	v_xor_b32_e32 v113, 0x80000000, v110
                                        ; implicit-def: $vgpr110_vgpr111
.LBB49_41:
	s_and_not1_saveexec_b32 s1, s1
	s_cbranch_execz .LBB49_43
; %bb.42:
	v_div_scale_f32 v112, null, v110, v110, v111
	v_div_scale_f32 v115, vcc_lo, v111, v110, v111
	s_delay_alu instid0(VALU_DEP_2) | instskip(SKIP_1) | instid1(TRANS32_DEP_1)
	v_rcp_f32_e32 v113, v112
	v_nop
	v_fma_f32 v114, -v112, v113, 1.0
	s_delay_alu instid0(VALU_DEP_1) | instskip(NEXT) | instid1(VALU_DEP_1)
	v_fmac_f32_e32 v113, v114, v113
	v_mul_f32_e32 v114, v115, v113
	s_delay_alu instid0(VALU_DEP_1) | instskip(NEXT) | instid1(VALU_DEP_1)
	v_fma_f32 v116, -v112, v114, v115
	v_fmac_f32_e32 v114, v116, v113
	s_delay_alu instid0(VALU_DEP_1) | instskip(NEXT) | instid1(VALU_DEP_1)
	v_fma_f32 v112, -v112, v114, v115
	v_div_fmas_f32 v112, v112, v113, v114
	s_delay_alu instid0(VALU_DEP_1) | instskip(NEXT) | instid1(VALU_DEP_1)
	v_div_fixup_f32 v113, v112, v110, v111
	v_fmac_f32_e32 v110, v111, v113
	s_delay_alu instid0(VALU_DEP_1) | instskip(NEXT) | instid1(VALU_DEP_1)
	v_div_scale_f32 v111, null, v110, v110, 1.0
	v_rcp_f32_e32 v112, v111
	v_nop
	s_delay_alu instid0(TRANS32_DEP_1) | instskip(NEXT) | instid1(VALU_DEP_1)
	v_fma_f32 v114, -v111, v112, 1.0
	v_fmac_f32_e32 v112, v114, v112
	v_div_scale_f32 v114, vcc_lo, 1.0, v110, 1.0
	s_delay_alu instid0(VALU_DEP_1) | instskip(NEXT) | instid1(VALU_DEP_1)
	v_mul_f32_e32 v115, v114, v112
	v_fma_f32 v116, -v111, v115, v114
	s_delay_alu instid0(VALU_DEP_1) | instskip(NEXT) | instid1(VALU_DEP_1)
	v_fmac_f32_e32 v115, v116, v112
	v_fma_f32 v111, -v111, v115, v114
	s_delay_alu instid0(VALU_DEP_1) | instskip(NEXT) | instid1(VALU_DEP_1)
	v_div_fmas_f32 v111, v111, v112, v115
	v_div_fixup_f32 v112, v111, v110, 1.0
	s_delay_alu instid0(VALU_DEP_1)
	v_mul_f32_e64 v113, v113, -v112
.LBB49_43:
	s_or_b32 exec_lo, exec_lo, s1
	ds_store_b64 v153, v[112:113]
.LBB49_44:
	s_or_b32 exec_lo, exec_lo, s2
	s_wait_dscnt 0x0
	s_barrier_signal -1
	s_barrier_wait -1
	ds_load_b64 v[110:111], v153
	s_mov_b32 s1, exec_lo
	v_cmpx_lt_u32_e32 4, v152
	s_cbranch_execz .LBB49_46
; %bb.45:
	ds_load_2addr_b64 v[116:119], v154 offset0:5 offset1:6
	s_wait_dscnt 0x1
	v_pk_mul_f32 v[114:115], v[110:111], v[28:29] op_sel:[1,1] op_sel_hi:[0,1]
	s_delay_alu instid0(VALU_DEP_1) | instskip(SKIP_1) | instid1(VALU_DEP_1)
	v_pk_fma_f32 v[112:113], v[110:111], v[28:29], v[114:115] op_sel_hi:[1,0,1] neg_lo:[0,0,1] neg_hi:[0,0,1]
	v_pk_fma_f32 v[114:115], v[110:111], v[28:29], v[114:115] op_sel_hi:[1,0,1]
	v_dual_mov_b32 v28, v112 :: v_dual_mov_b32 v29, v115
	s_wait_dscnt 0x0
	s_delay_alu instid0(VALU_DEP_2) | instskip(NEXT) | instid1(VALU_DEP_1)
	v_pk_mul_f32 v[120:121], v[116:117], v[114:115] op_sel:[0,1]
	v_pk_fma_f32 v[122:123], v[116:117], v[112:113], v[120:121] op_sel:[0,0,1] op_sel_hi:[1,1,0] neg_lo:[0,0,1] neg_hi:[0,0,1]
	v_pk_fma_f32 v[116:117], v[116:117], v[112:113], v[120:121] op_sel:[0,0,1] op_sel_hi:[1,0,0]
	s_delay_alu instid0(VALU_DEP_1) | instskip(SKIP_1) | instid1(VALU_DEP_1)
	v_mov_b32_e32 v123, v117
	v_pk_mul_f32 v[116:117], v[118:119], v[114:115] op_sel:[0,1]
	v_pk_fma_f32 v[120:121], v[118:119], v[112:113], v[116:117] op_sel:[0,0,1] op_sel_hi:[1,1,0] neg_lo:[0,0,1] neg_hi:[0,0,1]
	v_pk_fma_f32 v[116:117], v[118:119], v[112:113], v[116:117] op_sel:[0,0,1] op_sel_hi:[1,0,0]
	s_delay_alu instid0(VALU_DEP_1)
	v_mov_b32_e32 v121, v117
	ds_load_2addr_b64 v[116:119], v154 offset0:7 offset1:8
	v_pk_add_f32 v[24:25], v[24:25], v[122:123] neg_lo:[0,1] neg_hi:[0,1]
	v_pk_add_f32 v[26:27], v[26:27], v[120:121] neg_lo:[0,1] neg_hi:[0,1]
	s_wait_dscnt 0x0
	v_pk_mul_f32 v[120:121], v[116:117], v[114:115] op_sel:[0,1]
	s_delay_alu instid0(VALU_DEP_1) | instskip(SKIP_2) | instid1(VALU_DEP_2)
	v_pk_fma_f32 v[122:123], v[116:117], v[112:113], v[120:121] op_sel:[0,0,1] op_sel_hi:[1,1,0] neg_lo:[0,0,1] neg_hi:[0,0,1]
	v_pk_fma_f32 v[116:117], v[116:117], v[112:113], v[120:121] op_sel:[0,0,1] op_sel_hi:[1,0,0]
	v_dual_mul_f32 v120, v119, v115 :: v_dual_mov_b32 v116, v119
	v_dual_mov_b32 v123, v117 :: v_dual_mov_b32 v117, v118
	s_delay_alu instid0(VALU_DEP_2) | instskip(SKIP_1) | instid1(VALU_DEP_3)
	v_pk_fma_f32 v[120:121], v[118:119], v[28:29], v[120:121] op_sel_hi:[1,1,0] neg_lo:[0,0,1] neg_hi:[0,0,1]
	v_mul_f32_e32 v118, v119, v112
	v_pk_add_f32 v[22:23], v[22:23], v[122:123] neg_lo:[0,1] neg_hi:[0,1]
	s_delay_alu instid0(VALU_DEP_2) | instskip(NEXT) | instid1(VALU_DEP_1)
	v_pk_fma_f32 v[116:117], v[116:117], v[28:29], v[118:119] op_sel_hi:[1,1,0]
	v_mov_b32_e32 v121, v117
	ds_load_2addr_b64 v[116:119], v154 offset0:9 offset1:10
	v_pk_add_f32 v[42:43], v[42:43], v[120:121] neg_lo:[0,1] neg_hi:[0,1]
	s_wait_dscnt 0x0
	v_pk_mul_f32 v[120:121], v[116:117], v[114:115] op_sel:[0,1]
	s_delay_alu instid0(VALU_DEP_1) | instskip(SKIP_1) | instid1(VALU_DEP_1)
	v_pk_fma_f32 v[122:123], v[116:117], v[112:113], v[120:121] op_sel:[0,0,1] op_sel_hi:[1,1,0] neg_lo:[0,0,1] neg_hi:[0,0,1]
	v_pk_fma_f32 v[116:117], v[116:117], v[112:113], v[120:121] op_sel:[0,0,1] op_sel_hi:[1,0,0]
	v_mov_b32_e32 v123, v117
	v_pk_mul_f32 v[116:117], v[118:119], v[114:115] op_sel:[0,1]
	s_delay_alu instid0(VALU_DEP_1) | instskip(SKIP_1) | instid1(VALU_DEP_1)
	v_pk_fma_f32 v[120:121], v[118:119], v[112:113], v[116:117] op_sel:[0,0,1] op_sel_hi:[1,1,0] neg_lo:[0,0,1] neg_hi:[0,0,1]
	v_pk_fma_f32 v[116:117], v[118:119], v[112:113], v[116:117] op_sel:[0,0,1] op_sel_hi:[1,0,0]
	v_mov_b32_e32 v121, v117
	ds_load_2addr_b64 v[116:119], v154 offset0:11 offset1:12
	v_pk_add_f32 v[38:39], v[38:39], v[122:123] neg_lo:[0,1] neg_hi:[0,1]
	v_pk_add_f32 v[40:41], v[40:41], v[120:121] neg_lo:[0,1] neg_hi:[0,1]
	s_wait_dscnt 0x0
	v_pk_mul_f32 v[120:121], v[116:117], v[114:115] op_sel:[0,1]
	s_delay_alu instid0(VALU_DEP_1) | instskip(SKIP_1) | instid1(VALU_DEP_1)
	v_pk_fma_f32 v[122:123], v[116:117], v[112:113], v[120:121] op_sel:[0,0,1] op_sel_hi:[1,1,0] neg_lo:[0,0,1] neg_hi:[0,0,1]
	v_pk_fma_f32 v[116:117], v[116:117], v[112:113], v[120:121] op_sel:[0,0,1] op_sel_hi:[1,0,0]
	v_mov_b32_e32 v123, v117
	v_pk_mul_f32 v[116:117], v[118:119], v[114:115] op_sel:[0,1]
	s_delay_alu instid0(VALU_DEP_1) | instskip(SKIP_1) | instid1(VALU_DEP_1)
	v_pk_fma_f32 v[120:121], v[118:119], v[112:113], v[116:117] op_sel:[0,0,1] op_sel_hi:[1,1,0] neg_lo:[0,0,1] neg_hi:[0,0,1]
	v_pk_fma_f32 v[116:117], v[118:119], v[112:113], v[116:117] op_sel:[0,0,1] op_sel_hi:[1,0,0]
	v_mov_b32_e32 v121, v117
	ds_load_2addr_b64 v[116:119], v154 offset0:13 offset1:14
	v_pk_add_f32 v[36:37], v[36:37], v[122:123] neg_lo:[0,1] neg_hi:[0,1]
	v_pk_add_f32 v[72:73], v[72:73], v[120:121] neg_lo:[0,1] neg_hi:[0,1]
	s_wait_dscnt 0x0
	v_dual_mul_f32 v120, v117, v115 :: v_dual_mul_f32 v122, v117, v112
	s_delay_alu instid0(VALU_DEP_1) | instskip(NEXT) | instid1(VALU_DEP_2)
	v_pk_fma_f32 v[120:121], v[116:117], v[28:29], v[120:121] op_sel_hi:[1,1,0] neg_lo:[0,0,1] neg_hi:[0,0,1]
	v_pk_fma_f32 v[116:117], v[116:117], v[28:29], v[122:123] op_sel:[1,0,0] op_sel_hi:[0,1,0]
	s_delay_alu instid0(VALU_DEP_1) | instskip(SKIP_1) | instid1(VALU_DEP_2)
	v_mov_b32_e32 v121, v117
	v_pk_mul_f32 v[116:117], v[118:119], v[114:115] op_sel:[0,1]
	v_pk_add_f32 v[68:69], v[68:69], v[120:121] neg_lo:[0,1] neg_hi:[0,1]
	s_delay_alu instid0(VALU_DEP_2) | instskip(SKIP_1) | instid1(VALU_DEP_1)
	v_pk_fma_f32 v[120:121], v[118:119], v[112:113], v[116:117] op_sel:[0,0,1] op_sel_hi:[1,1,0] neg_lo:[0,0,1] neg_hi:[0,0,1]
	v_pk_fma_f32 v[116:117], v[118:119], v[112:113], v[116:117] op_sel:[0,0,1] op_sel_hi:[1,0,0]
	v_mov_b32_e32 v121, v117
	ds_load_2addr_b64 v[116:119], v154 offset0:15 offset1:16
	v_pk_add_f32 v[70:71], v[70:71], v[120:121] neg_lo:[0,1] neg_hi:[0,1]
	s_wait_dscnt 0x0
	v_pk_mul_f32 v[120:121], v[116:117], v[114:115] op_sel:[0,1]
	s_delay_alu instid0(VALU_DEP_1) | instskip(SKIP_1) | instid1(VALU_DEP_1)
	v_pk_fma_f32 v[122:123], v[116:117], v[112:113], v[120:121] op_sel:[0,0,1] op_sel_hi:[1,1,0] neg_lo:[0,0,1] neg_hi:[0,0,1]
	v_pk_fma_f32 v[116:117], v[116:117], v[112:113], v[120:121] op_sel:[0,0,1] op_sel_hi:[1,0,0]
	v_mov_b32_e32 v123, v117
	v_pk_mul_f32 v[116:117], v[118:119], v[114:115] op_sel:[0,1]
	s_delay_alu instid0(VALU_DEP_2) | instskip(NEXT) | instid1(VALU_DEP_2)
	v_pk_add_f32 v[66:67], v[66:67], v[122:123] neg_lo:[0,1] neg_hi:[0,1]
	v_pk_fma_f32 v[120:121], v[118:119], v[112:113], v[116:117] op_sel:[0,0,1] op_sel_hi:[1,1,0] neg_lo:[0,0,1] neg_hi:[0,0,1]
	v_pk_fma_f32 v[116:117], v[118:119], v[112:113], v[116:117] op_sel:[0,0,1] op_sel_hi:[1,0,0]
	s_delay_alu instid0(VALU_DEP_1) | instskip(SKIP_4) | instid1(VALU_DEP_1)
	v_mov_b32_e32 v121, v117
	ds_load_2addr_b64 v[116:119], v154 offset0:17 offset1:18
	v_pk_add_f32 v[92:93], v[92:93], v[120:121] neg_lo:[0,1] neg_hi:[0,1]
	s_wait_dscnt 0x0
	v_pk_mul_f32 v[120:121], v[116:117], v[114:115] op_sel:[0,1]
	v_pk_fma_f32 v[122:123], v[116:117], v[112:113], v[120:121] op_sel:[0,0,1] op_sel_hi:[1,1,0] neg_lo:[0,0,1] neg_hi:[0,0,1]
	v_pk_fma_f32 v[116:117], v[116:117], v[112:113], v[120:121] op_sel:[0,0,1] op_sel_hi:[1,0,0]
	v_dual_mul_f32 v120, v119, v115 :: v_dual_mov_b32 v116, v119
	s_delay_alu instid0(VALU_DEP_2) | instskip(NEXT) | instid1(VALU_DEP_2)
	v_dual_mov_b32 v123, v117 :: v_dual_mov_b32 v117, v118
	v_pk_fma_f32 v[120:121], v[118:119], v[28:29], v[120:121] op_sel_hi:[1,1,0] neg_lo:[0,0,1] neg_hi:[0,0,1]
	v_mul_f32_e32 v118, v119, v112
	s_delay_alu instid0(VALU_DEP_3) | instskip(NEXT) | instid1(VALU_DEP_2)
	v_pk_add_f32 v[86:87], v[86:87], v[122:123] neg_lo:[0,1] neg_hi:[0,1]
	v_pk_fma_f32 v[116:117], v[116:117], v[28:29], v[118:119] op_sel_hi:[1,1,0]
	s_delay_alu instid0(VALU_DEP_1) | instskip(SKIP_4) | instid1(VALU_DEP_1)
	v_mov_b32_e32 v121, v117
	ds_load_2addr_b64 v[116:119], v154 offset0:19 offset1:20
	v_pk_add_f32 v[90:91], v[90:91], v[120:121] neg_lo:[0,1] neg_hi:[0,1]
	s_wait_dscnt 0x0
	v_pk_mul_f32 v[120:121], v[116:117], v[114:115] op_sel:[0,1]
	v_pk_fma_f32 v[122:123], v[116:117], v[112:113], v[120:121] op_sel:[0,0,1] op_sel_hi:[1,1,0] neg_lo:[0,0,1] neg_hi:[0,0,1]
	v_pk_fma_f32 v[116:117], v[116:117], v[112:113], v[120:121] op_sel:[0,0,1] op_sel_hi:[1,0,0]
	s_delay_alu instid0(VALU_DEP_1) | instskip(SKIP_1) | instid1(VALU_DEP_1)
	v_mov_b32_e32 v123, v117
	v_pk_mul_f32 v[116:117], v[118:119], v[114:115] op_sel:[0,1]
	v_pk_fma_f32 v[120:121], v[118:119], v[112:113], v[116:117] op_sel:[0,0,1] op_sel_hi:[1,1,0] neg_lo:[0,0,1] neg_hi:[0,0,1]
	v_pk_fma_f32 v[116:117], v[118:119], v[112:113], v[116:117] op_sel:[0,0,1] op_sel_hi:[1,0,0]
	s_delay_alu instid0(VALU_DEP_1)
	v_mov_b32_e32 v121, v117
	ds_load_2addr_b64 v[116:119], v154 offset0:21 offset1:22
	v_pk_add_f32 v[84:85], v[84:85], v[122:123] neg_lo:[0,1] neg_hi:[0,1]
	v_pk_add_f32 v[88:89], v[88:89], v[120:121] neg_lo:[0,1] neg_hi:[0,1]
	s_wait_dscnt 0x0
	v_pk_mul_f32 v[120:121], v[116:117], v[114:115] op_sel:[0,1]
	s_delay_alu instid0(VALU_DEP_1) | instskip(SKIP_1) | instid1(VALU_DEP_1)
	v_pk_fma_f32 v[122:123], v[116:117], v[112:113], v[120:121] op_sel:[0,0,1] op_sel_hi:[1,1,0] neg_lo:[0,0,1] neg_hi:[0,0,1]
	v_pk_fma_f32 v[116:117], v[116:117], v[112:113], v[120:121] op_sel:[0,0,1] op_sel_hi:[1,0,0]
	v_mov_b32_e32 v123, v117
	v_pk_mul_f32 v[116:117], v[118:119], v[114:115] op_sel:[0,1]
	s_delay_alu instid0(VALU_DEP_1) | instskip(SKIP_1) | instid1(VALU_DEP_1)
	v_pk_fma_f32 v[120:121], v[118:119], v[112:113], v[116:117] op_sel:[0,0,1] op_sel_hi:[1,1,0] neg_lo:[0,0,1] neg_hi:[0,0,1]
	v_pk_fma_f32 v[116:117], v[118:119], v[112:113], v[116:117] op_sel:[0,0,1] op_sel_hi:[1,0,0]
	v_mov_b32_e32 v121, v117
	ds_load_2addr_b64 v[116:119], v154 offset0:23 offset1:24
	v_pk_add_f32 v[98:99], v[98:99], v[122:123] neg_lo:[0,1] neg_hi:[0,1]
	v_pk_add_f32 v[96:97], v[96:97], v[120:121] neg_lo:[0,1] neg_hi:[0,1]
	s_wait_dscnt 0x0
	v_dual_mul_f32 v120, v117, v115 :: v_dual_mul_f32 v122, v117, v112
	v_pk_mul_f32 v[114:115], v[118:119], v[114:115] op_sel:[0,1]
	s_delay_alu instid0(VALU_DEP_2) | instskip(NEXT) | instid1(VALU_DEP_3)
	v_pk_fma_f32 v[120:121], v[116:117], v[28:29], v[120:121] op_sel_hi:[1,1,0] neg_lo:[0,0,1] neg_hi:[0,0,1]
	v_pk_fma_f32 v[116:117], v[116:117], v[28:29], v[122:123] op_sel:[1,0,0] op_sel_hi:[0,1,0]
	s_delay_alu instid0(VALU_DEP_1) | instskip(NEXT) | instid1(VALU_DEP_4)
	v_mov_b32_e32 v121, v117
	v_pk_fma_f32 v[116:117], v[118:119], v[112:113], v[114:115] op_sel:[0,0,1] op_sel_hi:[1,1,0] neg_lo:[0,0,1] neg_hi:[0,0,1]
	v_pk_fma_f32 v[112:113], v[118:119], v[112:113], v[114:115] op_sel:[0,0,1] op_sel_hi:[1,0,0]
	s_delay_alu instid0(VALU_DEP_1) | instskip(NEXT) | instid1(VALU_DEP_4)
	v_mov_b32_e32 v117, v113
	v_pk_add_f32 v[94:95], v[94:95], v[120:121] neg_lo:[0,1] neg_hi:[0,1]
	s_delay_alu instid0(VALU_DEP_2)
	v_pk_add_f32 v[100:101], v[100:101], v[116:117] neg_lo:[0,1] neg_hi:[0,1]
.LBB49_46:
	s_or_b32 exec_lo, exec_lo, s1
	s_delay_alu instid0(SALU_CYCLE_1)
	s_mov_b32 s2, exec_lo
	s_wait_dscnt 0x0
	s_barrier_signal -1
	s_barrier_wait -1
	v_cmpx_eq_u32_e32 5, v152
	s_cbranch_execz .LBB49_53
; %bb.47:
	v_dual_mov_b32 v112, v26 :: v_dual_mov_b32 v113, v27
	v_dual_mov_b32 v114, v22 :: v_dual_mov_b32 v115, v23
	ds_store_b64 v153, v[24:25]
	ds_store_2addr_b64 v154, v[112:113], v[114:115] offset0:6 offset1:7
	v_dual_mov_b32 v112, v42 :: v_dual_mov_b32 v113, v43
	v_dual_mov_b32 v114, v38 :: v_dual_mov_b32 v115, v39
	ds_store_2addr_b64 v154, v[112:113], v[114:115] offset0:8 offset1:9
	v_dual_mov_b32 v112, v40 :: v_dual_mov_b32 v113, v41
	v_dual_mov_b32 v114, v36 :: v_dual_mov_b32 v115, v37
	;; [unrolled: 3-line block ×8, first 2 shown]
	ds_store_2addr_b64 v154, v[112:113], v[114:115] offset0:22 offset1:23
	ds_store_b64 v154, v[100:101] offset:192
	ds_load_b64 v[112:113], v153
	s_wait_dscnt 0x0
	v_cmp_neq_f32_e32 vcc_lo, 0, v112
	v_cmp_neq_f32_e64 s1, 0, v113
	s_or_b32 s1, vcc_lo, s1
	s_delay_alu instid0(SALU_CYCLE_1)
	s_and_b32 exec_lo, exec_lo, s1
	s_cbranch_execz .LBB49_53
; %bb.48:
	v_cmp_ngt_f32_e64 s1, |v112|, |v113|
                                        ; implicit-def: $vgpr114_vgpr115
	s_and_saveexec_b32 s4, s1
	s_delay_alu instid0(SALU_CYCLE_1)
	s_xor_b32 s1, exec_lo, s4
	s_cbranch_execz .LBB49_50
; %bb.49:
	v_div_scale_f32 v114, null, v113, v113, v112
	v_div_scale_f32 v117, vcc_lo, v112, v113, v112
	s_delay_alu instid0(VALU_DEP_2) | instskip(SKIP_1) | instid1(TRANS32_DEP_1)
	v_rcp_f32_e32 v115, v114
	v_nop
	v_fma_f32 v116, -v114, v115, 1.0
	s_delay_alu instid0(VALU_DEP_1) | instskip(NEXT) | instid1(VALU_DEP_1)
	v_fmac_f32_e32 v115, v116, v115
	v_mul_f32_e32 v116, v117, v115
	s_delay_alu instid0(VALU_DEP_1) | instskip(NEXT) | instid1(VALU_DEP_1)
	v_fma_f32 v118, -v114, v116, v117
	v_fmac_f32_e32 v116, v118, v115
	s_delay_alu instid0(VALU_DEP_1) | instskip(NEXT) | instid1(VALU_DEP_1)
	v_fma_f32 v114, -v114, v116, v117
	v_div_fmas_f32 v114, v114, v115, v116
	s_delay_alu instid0(VALU_DEP_1) | instskip(NEXT) | instid1(VALU_DEP_1)
	v_div_fixup_f32 v114, v114, v113, v112
	v_fmac_f32_e32 v113, v112, v114
	s_delay_alu instid0(VALU_DEP_1) | instskip(SKIP_1) | instid1(VALU_DEP_2)
	v_div_scale_f32 v112, null, v113, v113, 1.0
	v_div_scale_f32 v117, vcc_lo, 1.0, v113, 1.0
	v_rcp_f32_e32 v115, v112
	v_nop
	s_delay_alu instid0(TRANS32_DEP_1) | instskip(NEXT) | instid1(VALU_DEP_1)
	v_fma_f32 v116, -v112, v115, 1.0
	v_fmac_f32_e32 v115, v116, v115
	s_delay_alu instid0(VALU_DEP_1) | instskip(NEXT) | instid1(VALU_DEP_1)
	v_mul_f32_e32 v116, v117, v115
	v_fma_f32 v118, -v112, v116, v117
	s_delay_alu instid0(VALU_DEP_1) | instskip(NEXT) | instid1(VALU_DEP_1)
	v_fmac_f32_e32 v116, v118, v115
	v_fma_f32 v112, -v112, v116, v117
	s_delay_alu instid0(VALU_DEP_1) | instskip(NEXT) | instid1(VALU_DEP_1)
	v_div_fmas_f32 v112, v112, v115, v116
	v_div_fixup_f32 v112, v112, v113, 1.0
	s_delay_alu instid0(VALU_DEP_1)
	v_mul_f32_e32 v114, v114, v112
	v_xor_b32_e32 v115, 0x80000000, v112
                                        ; implicit-def: $vgpr112_vgpr113
.LBB49_50:
	s_and_not1_saveexec_b32 s1, s1
	s_cbranch_execz .LBB49_52
; %bb.51:
	v_div_scale_f32 v114, null, v112, v112, v113
	v_div_scale_f32 v117, vcc_lo, v113, v112, v113
	s_delay_alu instid0(VALU_DEP_2) | instskip(SKIP_1) | instid1(TRANS32_DEP_1)
	v_rcp_f32_e32 v115, v114
	v_nop
	v_fma_f32 v116, -v114, v115, 1.0
	s_delay_alu instid0(VALU_DEP_1) | instskip(NEXT) | instid1(VALU_DEP_1)
	v_fmac_f32_e32 v115, v116, v115
	v_mul_f32_e32 v116, v117, v115
	s_delay_alu instid0(VALU_DEP_1) | instskip(NEXT) | instid1(VALU_DEP_1)
	v_fma_f32 v118, -v114, v116, v117
	v_fmac_f32_e32 v116, v118, v115
	s_delay_alu instid0(VALU_DEP_1) | instskip(NEXT) | instid1(VALU_DEP_1)
	v_fma_f32 v114, -v114, v116, v117
	v_div_fmas_f32 v114, v114, v115, v116
	s_delay_alu instid0(VALU_DEP_1) | instskip(NEXT) | instid1(VALU_DEP_1)
	v_div_fixup_f32 v115, v114, v112, v113
	v_fmac_f32_e32 v112, v113, v115
	s_delay_alu instid0(VALU_DEP_1) | instskip(NEXT) | instid1(VALU_DEP_1)
	v_div_scale_f32 v113, null, v112, v112, 1.0
	v_rcp_f32_e32 v114, v113
	v_nop
	s_delay_alu instid0(TRANS32_DEP_1) | instskip(NEXT) | instid1(VALU_DEP_1)
	v_fma_f32 v116, -v113, v114, 1.0
	v_fmac_f32_e32 v114, v116, v114
	v_div_scale_f32 v116, vcc_lo, 1.0, v112, 1.0
	s_delay_alu instid0(VALU_DEP_1) | instskip(NEXT) | instid1(VALU_DEP_1)
	v_mul_f32_e32 v117, v116, v114
	v_fma_f32 v118, -v113, v117, v116
	s_delay_alu instid0(VALU_DEP_1) | instskip(NEXT) | instid1(VALU_DEP_1)
	v_fmac_f32_e32 v117, v118, v114
	v_fma_f32 v113, -v113, v117, v116
	s_delay_alu instid0(VALU_DEP_1) | instskip(NEXT) | instid1(VALU_DEP_1)
	v_div_fmas_f32 v113, v113, v114, v117
	v_div_fixup_f32 v114, v113, v112, 1.0
	s_delay_alu instid0(VALU_DEP_1)
	v_mul_f32_e64 v115, v115, -v114
.LBB49_52:
	s_or_b32 exec_lo, exec_lo, s1
	ds_store_b64 v153, v[114:115]
.LBB49_53:
	s_or_b32 exec_lo, exec_lo, s2
	s_wait_dscnt 0x0
	s_barrier_signal -1
	s_barrier_wait -1
	ds_load_b64 v[112:113], v153
	s_mov_b32 s1, exec_lo
	v_cmpx_lt_u32_e32 5, v152
	s_cbranch_execz .LBB49_55
; %bb.54:
	ds_load_2addr_b64 v[118:121], v154 offset0:6 offset1:7
	s_wait_dscnt 0x1
	v_pk_mul_f32 v[116:117], v[112:113], v[24:25] op_sel:[1,1] op_sel_hi:[0,1]
	s_delay_alu instid0(VALU_DEP_1) | instskip(SKIP_1) | instid1(VALU_DEP_1)
	v_pk_fma_f32 v[114:115], v[112:113], v[24:25], v[116:117] op_sel_hi:[1,0,1] neg_lo:[0,0,1] neg_hi:[0,0,1]
	v_pk_fma_f32 v[116:117], v[112:113], v[24:25], v[116:117] op_sel_hi:[1,0,1]
	v_dual_mov_b32 v24, v114 :: v_dual_mov_b32 v25, v117
	s_wait_dscnt 0x0
	s_delay_alu instid0(VALU_DEP_2) | instskip(NEXT) | instid1(VALU_DEP_1)
	v_pk_mul_f32 v[122:123], v[118:119], v[116:117] op_sel:[0,1]
	v_pk_fma_f32 v[124:125], v[118:119], v[114:115], v[122:123] op_sel:[0,0,1] op_sel_hi:[1,1,0] neg_lo:[0,0,1] neg_hi:[0,0,1]
	v_pk_fma_f32 v[118:119], v[118:119], v[114:115], v[122:123] op_sel:[0,0,1] op_sel_hi:[1,0,0]
	s_delay_alu instid0(VALU_DEP_1) | instskip(SKIP_1) | instid1(VALU_DEP_1)
	v_mov_b32_e32 v125, v119
	v_pk_mul_f32 v[118:119], v[120:121], v[116:117] op_sel:[0,1]
	v_pk_fma_f32 v[122:123], v[120:121], v[114:115], v[118:119] op_sel:[0,0,1] op_sel_hi:[1,1,0] neg_lo:[0,0,1] neg_hi:[0,0,1]
	v_pk_fma_f32 v[118:119], v[120:121], v[114:115], v[118:119] op_sel:[0,0,1] op_sel_hi:[1,0,0]
	s_delay_alu instid0(VALU_DEP_1)
	v_mov_b32_e32 v123, v119
	ds_load_2addr_b64 v[118:121], v154 offset0:8 offset1:9
	v_pk_add_f32 v[26:27], v[26:27], v[124:125] neg_lo:[0,1] neg_hi:[0,1]
	v_pk_add_f32 v[22:23], v[22:23], v[122:123] neg_lo:[0,1] neg_hi:[0,1]
	s_wait_dscnt 0x0
	v_pk_mul_f32 v[122:123], v[118:119], v[116:117] op_sel:[0,1]
	s_delay_alu instid0(VALU_DEP_1) | instskip(SKIP_2) | instid1(VALU_DEP_2)
	v_pk_fma_f32 v[124:125], v[118:119], v[114:115], v[122:123] op_sel:[0,0,1] op_sel_hi:[1,1,0] neg_lo:[0,0,1] neg_hi:[0,0,1]
	v_pk_fma_f32 v[118:119], v[118:119], v[114:115], v[122:123] op_sel:[0,0,1] op_sel_hi:[1,0,0]
	v_dual_mul_f32 v122, v121, v117 :: v_dual_mov_b32 v118, v121
	v_dual_mov_b32 v125, v119 :: v_dual_mov_b32 v119, v120
	s_delay_alu instid0(VALU_DEP_2) | instskip(SKIP_1) | instid1(VALU_DEP_3)
	v_pk_fma_f32 v[122:123], v[120:121], v[24:25], v[122:123] op_sel_hi:[1,1,0] neg_lo:[0,0,1] neg_hi:[0,0,1]
	v_mul_f32_e32 v120, v121, v114
	v_pk_add_f32 v[42:43], v[42:43], v[124:125] neg_lo:[0,1] neg_hi:[0,1]
	s_delay_alu instid0(VALU_DEP_2) | instskip(NEXT) | instid1(VALU_DEP_1)
	v_pk_fma_f32 v[118:119], v[118:119], v[24:25], v[120:121] op_sel_hi:[1,1,0]
	v_mov_b32_e32 v123, v119
	ds_load_2addr_b64 v[118:121], v154 offset0:10 offset1:11
	v_pk_add_f32 v[38:39], v[38:39], v[122:123] neg_lo:[0,1] neg_hi:[0,1]
	s_wait_dscnt 0x0
	v_pk_mul_f32 v[122:123], v[118:119], v[116:117] op_sel:[0,1]
	s_delay_alu instid0(VALU_DEP_1) | instskip(SKIP_1) | instid1(VALU_DEP_1)
	v_pk_fma_f32 v[124:125], v[118:119], v[114:115], v[122:123] op_sel:[0,0,1] op_sel_hi:[1,1,0] neg_lo:[0,0,1] neg_hi:[0,0,1]
	v_pk_fma_f32 v[118:119], v[118:119], v[114:115], v[122:123] op_sel:[0,0,1] op_sel_hi:[1,0,0]
	v_mov_b32_e32 v125, v119
	v_pk_mul_f32 v[118:119], v[120:121], v[116:117] op_sel:[0,1]
	s_delay_alu instid0(VALU_DEP_1) | instskip(SKIP_1) | instid1(VALU_DEP_1)
	v_pk_fma_f32 v[122:123], v[120:121], v[114:115], v[118:119] op_sel:[0,0,1] op_sel_hi:[1,1,0] neg_lo:[0,0,1] neg_hi:[0,0,1]
	v_pk_fma_f32 v[118:119], v[120:121], v[114:115], v[118:119] op_sel:[0,0,1] op_sel_hi:[1,0,0]
	v_mov_b32_e32 v123, v119
	ds_load_2addr_b64 v[118:121], v154 offset0:12 offset1:13
	v_pk_add_f32 v[40:41], v[40:41], v[124:125] neg_lo:[0,1] neg_hi:[0,1]
	v_pk_add_f32 v[36:37], v[36:37], v[122:123] neg_lo:[0,1] neg_hi:[0,1]
	s_wait_dscnt 0x0
	v_pk_mul_f32 v[122:123], v[118:119], v[116:117] op_sel:[0,1]
	s_delay_alu instid0(VALU_DEP_1) | instskip(SKIP_1) | instid1(VALU_DEP_1)
	v_pk_fma_f32 v[124:125], v[118:119], v[114:115], v[122:123] op_sel:[0,0,1] op_sel_hi:[1,1,0] neg_lo:[0,0,1] neg_hi:[0,0,1]
	v_pk_fma_f32 v[118:119], v[118:119], v[114:115], v[122:123] op_sel:[0,0,1] op_sel_hi:[1,0,0]
	v_mov_b32_e32 v125, v119
	v_pk_mul_f32 v[118:119], v[120:121], v[116:117] op_sel:[0,1]
	s_delay_alu instid0(VALU_DEP_1) | instskip(SKIP_1) | instid1(VALU_DEP_1)
	v_pk_fma_f32 v[122:123], v[120:121], v[114:115], v[118:119] op_sel:[0,0,1] op_sel_hi:[1,1,0] neg_lo:[0,0,1] neg_hi:[0,0,1]
	v_pk_fma_f32 v[118:119], v[120:121], v[114:115], v[118:119] op_sel:[0,0,1] op_sel_hi:[1,0,0]
	v_mov_b32_e32 v123, v119
	ds_load_2addr_b64 v[118:121], v154 offset0:14 offset1:15
	v_pk_add_f32 v[72:73], v[72:73], v[124:125] neg_lo:[0,1] neg_hi:[0,1]
	v_pk_add_f32 v[68:69], v[68:69], v[122:123] neg_lo:[0,1] neg_hi:[0,1]
	s_wait_dscnt 0x0
	v_dual_mul_f32 v122, v119, v117 :: v_dual_mul_f32 v124, v119, v114
	s_delay_alu instid0(VALU_DEP_1) | instskip(NEXT) | instid1(VALU_DEP_2)
	v_pk_fma_f32 v[122:123], v[118:119], v[24:25], v[122:123] op_sel_hi:[1,1,0] neg_lo:[0,0,1] neg_hi:[0,0,1]
	v_pk_fma_f32 v[118:119], v[118:119], v[24:25], v[124:125] op_sel:[1,0,0] op_sel_hi:[0,1,0]
	s_delay_alu instid0(VALU_DEP_1) | instskip(SKIP_1) | instid1(VALU_DEP_2)
	v_mov_b32_e32 v123, v119
	v_pk_mul_f32 v[118:119], v[120:121], v[116:117] op_sel:[0,1]
	v_pk_add_f32 v[70:71], v[70:71], v[122:123] neg_lo:[0,1] neg_hi:[0,1]
	s_delay_alu instid0(VALU_DEP_2) | instskip(SKIP_1) | instid1(VALU_DEP_1)
	v_pk_fma_f32 v[122:123], v[120:121], v[114:115], v[118:119] op_sel:[0,0,1] op_sel_hi:[1,1,0] neg_lo:[0,0,1] neg_hi:[0,0,1]
	v_pk_fma_f32 v[118:119], v[120:121], v[114:115], v[118:119] op_sel:[0,0,1] op_sel_hi:[1,0,0]
	v_mov_b32_e32 v123, v119
	ds_load_2addr_b64 v[118:121], v154 offset0:16 offset1:17
	v_pk_add_f32 v[66:67], v[66:67], v[122:123] neg_lo:[0,1] neg_hi:[0,1]
	s_wait_dscnt 0x0
	v_pk_mul_f32 v[122:123], v[118:119], v[116:117] op_sel:[0,1]
	s_delay_alu instid0(VALU_DEP_1) | instskip(SKIP_1) | instid1(VALU_DEP_1)
	v_pk_fma_f32 v[124:125], v[118:119], v[114:115], v[122:123] op_sel:[0,0,1] op_sel_hi:[1,1,0] neg_lo:[0,0,1] neg_hi:[0,0,1]
	v_pk_fma_f32 v[118:119], v[118:119], v[114:115], v[122:123] op_sel:[0,0,1] op_sel_hi:[1,0,0]
	v_mov_b32_e32 v125, v119
	v_pk_mul_f32 v[118:119], v[120:121], v[116:117] op_sel:[0,1]
	s_delay_alu instid0(VALU_DEP_2) | instskip(NEXT) | instid1(VALU_DEP_2)
	v_pk_add_f32 v[92:93], v[92:93], v[124:125] neg_lo:[0,1] neg_hi:[0,1]
	v_pk_fma_f32 v[122:123], v[120:121], v[114:115], v[118:119] op_sel:[0,0,1] op_sel_hi:[1,1,0] neg_lo:[0,0,1] neg_hi:[0,0,1]
	v_pk_fma_f32 v[118:119], v[120:121], v[114:115], v[118:119] op_sel:[0,0,1] op_sel_hi:[1,0,0]
	s_delay_alu instid0(VALU_DEP_1) | instskip(SKIP_4) | instid1(VALU_DEP_1)
	v_mov_b32_e32 v123, v119
	ds_load_2addr_b64 v[118:121], v154 offset0:18 offset1:19
	v_pk_add_f32 v[86:87], v[86:87], v[122:123] neg_lo:[0,1] neg_hi:[0,1]
	s_wait_dscnt 0x0
	v_pk_mul_f32 v[122:123], v[118:119], v[116:117] op_sel:[0,1]
	v_pk_fma_f32 v[124:125], v[118:119], v[114:115], v[122:123] op_sel:[0,0,1] op_sel_hi:[1,1,0] neg_lo:[0,0,1] neg_hi:[0,0,1]
	v_pk_fma_f32 v[118:119], v[118:119], v[114:115], v[122:123] op_sel:[0,0,1] op_sel_hi:[1,0,0]
	v_dual_mul_f32 v122, v121, v117 :: v_dual_mov_b32 v118, v121
	s_delay_alu instid0(VALU_DEP_2) | instskip(NEXT) | instid1(VALU_DEP_2)
	v_dual_mov_b32 v125, v119 :: v_dual_mov_b32 v119, v120
	v_pk_fma_f32 v[122:123], v[120:121], v[24:25], v[122:123] op_sel_hi:[1,1,0] neg_lo:[0,0,1] neg_hi:[0,0,1]
	v_mul_f32_e32 v120, v121, v114
	s_delay_alu instid0(VALU_DEP_3) | instskip(NEXT) | instid1(VALU_DEP_2)
	v_pk_add_f32 v[90:91], v[90:91], v[124:125] neg_lo:[0,1] neg_hi:[0,1]
	v_pk_fma_f32 v[118:119], v[118:119], v[24:25], v[120:121] op_sel_hi:[1,1,0]
	s_delay_alu instid0(VALU_DEP_1) | instskip(SKIP_4) | instid1(VALU_DEP_1)
	v_mov_b32_e32 v123, v119
	ds_load_2addr_b64 v[118:121], v154 offset0:20 offset1:21
	v_pk_add_f32 v[84:85], v[84:85], v[122:123] neg_lo:[0,1] neg_hi:[0,1]
	s_wait_dscnt 0x0
	v_pk_mul_f32 v[122:123], v[118:119], v[116:117] op_sel:[0,1]
	v_pk_fma_f32 v[124:125], v[118:119], v[114:115], v[122:123] op_sel:[0,0,1] op_sel_hi:[1,1,0] neg_lo:[0,0,1] neg_hi:[0,0,1]
	v_pk_fma_f32 v[118:119], v[118:119], v[114:115], v[122:123] op_sel:[0,0,1] op_sel_hi:[1,0,0]
	s_delay_alu instid0(VALU_DEP_1) | instskip(SKIP_1) | instid1(VALU_DEP_1)
	v_mov_b32_e32 v125, v119
	v_pk_mul_f32 v[118:119], v[120:121], v[116:117] op_sel:[0,1]
	v_pk_fma_f32 v[122:123], v[120:121], v[114:115], v[118:119] op_sel:[0,0,1] op_sel_hi:[1,1,0] neg_lo:[0,0,1] neg_hi:[0,0,1]
	v_pk_fma_f32 v[118:119], v[120:121], v[114:115], v[118:119] op_sel:[0,0,1] op_sel_hi:[1,0,0]
	s_delay_alu instid0(VALU_DEP_1)
	v_mov_b32_e32 v123, v119
	ds_load_2addr_b64 v[118:121], v154 offset0:22 offset1:23
	v_pk_add_f32 v[88:89], v[88:89], v[124:125] neg_lo:[0,1] neg_hi:[0,1]
	v_pk_add_f32 v[98:99], v[98:99], v[122:123] neg_lo:[0,1] neg_hi:[0,1]
	s_wait_dscnt 0x0
	v_pk_mul_f32 v[122:123], v[118:119], v[116:117] op_sel:[0,1]
	s_delay_alu instid0(VALU_DEP_1) | instskip(SKIP_1) | instid1(VALU_DEP_1)
	v_pk_fma_f32 v[124:125], v[118:119], v[114:115], v[122:123] op_sel:[0,0,1] op_sel_hi:[1,1,0] neg_lo:[0,0,1] neg_hi:[0,0,1]
	v_pk_fma_f32 v[118:119], v[118:119], v[114:115], v[122:123] op_sel:[0,0,1] op_sel_hi:[1,0,0]
	v_mov_b32_e32 v125, v119
	v_pk_mul_f32 v[118:119], v[120:121], v[116:117] op_sel:[0,1]
	s_delay_alu instid0(VALU_DEP_1) | instskip(SKIP_1) | instid1(VALU_DEP_1)
	v_pk_fma_f32 v[122:123], v[120:121], v[114:115], v[118:119] op_sel:[0,0,1] op_sel_hi:[1,1,0] neg_lo:[0,0,1] neg_hi:[0,0,1]
	v_pk_fma_f32 v[118:119], v[120:121], v[114:115], v[118:119] op_sel:[0,0,1] op_sel_hi:[1,0,0]
	v_mov_b32_e32 v123, v119
	ds_load_b64 v[118:119], v154 offset:192
	v_pk_add_f32 v[96:97], v[96:97], v[124:125] neg_lo:[0,1] neg_hi:[0,1]
	v_pk_add_f32 v[94:95], v[94:95], v[122:123] neg_lo:[0,1] neg_hi:[0,1]
	s_wait_dscnt 0x0
	v_pk_mul_f32 v[116:117], v[118:119], v[116:117] op_sel:[0,1]
	s_delay_alu instid0(VALU_DEP_1) | instskip(SKIP_1) | instid1(VALU_DEP_1)
	v_pk_fma_f32 v[120:121], v[118:119], v[114:115], v[116:117] op_sel:[0,0,1] op_sel_hi:[1,1,0] neg_lo:[0,0,1] neg_hi:[0,0,1]
	v_pk_fma_f32 v[114:115], v[118:119], v[114:115], v[116:117] op_sel:[0,0,1] op_sel_hi:[1,0,0]
	v_mov_b32_e32 v121, v115
	s_delay_alu instid0(VALU_DEP_1)
	v_pk_add_f32 v[100:101], v[100:101], v[120:121] neg_lo:[0,1] neg_hi:[0,1]
.LBB49_55:
	s_or_b32 exec_lo, exec_lo, s1
	s_delay_alu instid0(SALU_CYCLE_1)
	s_mov_b32 s2, exec_lo
	s_wait_dscnt 0x0
	s_barrier_signal -1
	s_barrier_wait -1
	v_cmpx_eq_u32_e32 6, v152
	s_cbranch_execz .LBB49_62
; %bb.56:
	ds_store_b64 v153, v[26:27]
	ds_store_2addr_b64 v154, v[22:23], v[42:43] offset0:7 offset1:8
	ds_store_2addr_b64 v154, v[38:39], v[40:41] offset0:9 offset1:10
	ds_store_2addr_b64 v154, v[36:37], v[72:73] offset0:11 offset1:12
	ds_store_2addr_b64 v154, v[68:69], v[70:71] offset0:13 offset1:14
	ds_store_2addr_b64 v154, v[66:67], v[92:93] offset0:15 offset1:16
	ds_store_2addr_b64 v154, v[86:87], v[90:91] offset0:17 offset1:18
	ds_store_2addr_b64 v154, v[84:85], v[88:89] offset0:19 offset1:20
	ds_store_2addr_b64 v154, v[98:99], v[96:97] offset0:21 offset1:22
	ds_store_2addr_b64 v154, v[94:95], v[100:101] offset0:23 offset1:24
	ds_load_b64 v[114:115], v153
	s_wait_dscnt 0x0
	v_cmp_neq_f32_e32 vcc_lo, 0, v114
	v_cmp_neq_f32_e64 s1, 0, v115
	s_or_b32 s1, vcc_lo, s1
	s_delay_alu instid0(SALU_CYCLE_1)
	s_and_b32 exec_lo, exec_lo, s1
	s_cbranch_execz .LBB49_62
; %bb.57:
	v_cmp_ngt_f32_e64 s1, |v114|, |v115|
                                        ; implicit-def: $vgpr116_vgpr117
	s_and_saveexec_b32 s4, s1
	s_delay_alu instid0(SALU_CYCLE_1)
	s_xor_b32 s1, exec_lo, s4
	s_cbranch_execz .LBB49_59
; %bb.58:
	v_div_scale_f32 v116, null, v115, v115, v114
	v_div_scale_f32 v119, vcc_lo, v114, v115, v114
	s_delay_alu instid0(VALU_DEP_2) | instskip(SKIP_1) | instid1(TRANS32_DEP_1)
	v_rcp_f32_e32 v117, v116
	v_nop
	v_fma_f32 v118, -v116, v117, 1.0
	s_delay_alu instid0(VALU_DEP_1) | instskip(NEXT) | instid1(VALU_DEP_1)
	v_fmac_f32_e32 v117, v118, v117
	v_mul_f32_e32 v118, v119, v117
	s_delay_alu instid0(VALU_DEP_1) | instskip(NEXT) | instid1(VALU_DEP_1)
	v_fma_f32 v120, -v116, v118, v119
	v_fmac_f32_e32 v118, v120, v117
	s_delay_alu instid0(VALU_DEP_1) | instskip(NEXT) | instid1(VALU_DEP_1)
	v_fma_f32 v116, -v116, v118, v119
	v_div_fmas_f32 v116, v116, v117, v118
	s_delay_alu instid0(VALU_DEP_1) | instskip(NEXT) | instid1(VALU_DEP_1)
	v_div_fixup_f32 v116, v116, v115, v114
	v_fmac_f32_e32 v115, v114, v116
	s_delay_alu instid0(VALU_DEP_1) | instskip(SKIP_1) | instid1(VALU_DEP_2)
	v_div_scale_f32 v114, null, v115, v115, 1.0
	v_div_scale_f32 v119, vcc_lo, 1.0, v115, 1.0
	v_rcp_f32_e32 v117, v114
	v_nop
	s_delay_alu instid0(TRANS32_DEP_1) | instskip(NEXT) | instid1(VALU_DEP_1)
	v_fma_f32 v118, -v114, v117, 1.0
	v_fmac_f32_e32 v117, v118, v117
	s_delay_alu instid0(VALU_DEP_1) | instskip(NEXT) | instid1(VALU_DEP_1)
	v_mul_f32_e32 v118, v119, v117
	v_fma_f32 v120, -v114, v118, v119
	s_delay_alu instid0(VALU_DEP_1) | instskip(NEXT) | instid1(VALU_DEP_1)
	v_fmac_f32_e32 v118, v120, v117
	v_fma_f32 v114, -v114, v118, v119
	s_delay_alu instid0(VALU_DEP_1) | instskip(NEXT) | instid1(VALU_DEP_1)
	v_div_fmas_f32 v114, v114, v117, v118
	v_div_fixup_f32 v114, v114, v115, 1.0
	s_delay_alu instid0(VALU_DEP_1)
	v_mul_f32_e32 v116, v116, v114
	v_xor_b32_e32 v117, 0x80000000, v114
                                        ; implicit-def: $vgpr114_vgpr115
.LBB49_59:
	s_and_not1_saveexec_b32 s1, s1
	s_cbranch_execz .LBB49_61
; %bb.60:
	v_div_scale_f32 v116, null, v114, v114, v115
	v_div_scale_f32 v119, vcc_lo, v115, v114, v115
	s_delay_alu instid0(VALU_DEP_2) | instskip(SKIP_1) | instid1(TRANS32_DEP_1)
	v_rcp_f32_e32 v117, v116
	v_nop
	v_fma_f32 v118, -v116, v117, 1.0
	s_delay_alu instid0(VALU_DEP_1) | instskip(NEXT) | instid1(VALU_DEP_1)
	v_fmac_f32_e32 v117, v118, v117
	v_mul_f32_e32 v118, v119, v117
	s_delay_alu instid0(VALU_DEP_1) | instskip(NEXT) | instid1(VALU_DEP_1)
	v_fma_f32 v120, -v116, v118, v119
	v_fmac_f32_e32 v118, v120, v117
	s_delay_alu instid0(VALU_DEP_1) | instskip(NEXT) | instid1(VALU_DEP_1)
	v_fma_f32 v116, -v116, v118, v119
	v_div_fmas_f32 v116, v116, v117, v118
	s_delay_alu instid0(VALU_DEP_1) | instskip(NEXT) | instid1(VALU_DEP_1)
	v_div_fixup_f32 v117, v116, v114, v115
	v_fmac_f32_e32 v114, v115, v117
	s_delay_alu instid0(VALU_DEP_1) | instskip(NEXT) | instid1(VALU_DEP_1)
	v_div_scale_f32 v115, null, v114, v114, 1.0
	v_rcp_f32_e32 v116, v115
	v_nop
	s_delay_alu instid0(TRANS32_DEP_1) | instskip(NEXT) | instid1(VALU_DEP_1)
	v_fma_f32 v118, -v115, v116, 1.0
	v_fmac_f32_e32 v116, v118, v116
	v_div_scale_f32 v118, vcc_lo, 1.0, v114, 1.0
	s_delay_alu instid0(VALU_DEP_1) | instskip(NEXT) | instid1(VALU_DEP_1)
	v_mul_f32_e32 v119, v118, v116
	v_fma_f32 v120, -v115, v119, v118
	s_delay_alu instid0(VALU_DEP_1) | instskip(NEXT) | instid1(VALU_DEP_1)
	v_fmac_f32_e32 v119, v120, v116
	v_fma_f32 v115, -v115, v119, v118
	s_delay_alu instid0(VALU_DEP_1) | instskip(NEXT) | instid1(VALU_DEP_1)
	v_div_fmas_f32 v115, v115, v116, v119
	v_div_fixup_f32 v116, v115, v114, 1.0
	s_delay_alu instid0(VALU_DEP_1)
	v_mul_f32_e64 v117, v117, -v116
.LBB49_61:
	s_or_b32 exec_lo, exec_lo, s1
	ds_store_b64 v153, v[116:117]
.LBB49_62:
	s_or_b32 exec_lo, exec_lo, s2
	s_wait_dscnt 0x0
	s_barrier_signal -1
	s_barrier_wait -1
	ds_load_b64 v[114:115], v153
	s_mov_b32 s1, exec_lo
	v_cmpx_lt_u32_e32 6, v152
	s_cbranch_execz .LBB49_64
; %bb.63:
	ds_load_2addr_b64 v[120:123], v154 offset0:7 offset1:8
	s_wait_dscnt 0x1
	v_pk_mul_f32 v[118:119], v[114:115], v[26:27] op_sel:[1,1] op_sel_hi:[0,1]
	s_delay_alu instid0(VALU_DEP_1) | instskip(SKIP_1) | instid1(VALU_DEP_1)
	v_pk_fma_f32 v[116:117], v[114:115], v[26:27], v[118:119] op_sel_hi:[1,0,1] neg_lo:[0,0,1] neg_hi:[0,0,1]
	v_pk_fma_f32 v[118:119], v[114:115], v[26:27], v[118:119] op_sel_hi:[1,0,1]
	v_dual_mov_b32 v26, v116 :: v_dual_mov_b32 v27, v119
	s_wait_dscnt 0x0
	s_delay_alu instid0(VALU_DEP_2) | instskip(NEXT) | instid1(VALU_DEP_1)
	v_pk_mul_f32 v[124:125], v[120:121], v[118:119] op_sel:[0,1]
	v_pk_fma_f32 v[126:127], v[120:121], v[116:117], v[124:125] op_sel:[0,0,1] op_sel_hi:[1,1,0] neg_lo:[0,0,1] neg_hi:[0,0,1]
	v_pk_fma_f32 v[120:121], v[120:121], v[116:117], v[124:125] op_sel:[0,0,1] op_sel_hi:[1,0,0]
	s_delay_alu instid0(VALU_DEP_1) | instskip(SKIP_1) | instid1(VALU_DEP_1)
	v_mov_b32_e32 v127, v121
	v_pk_mul_f32 v[120:121], v[122:123], v[118:119] op_sel:[0,1]
	v_pk_fma_f32 v[124:125], v[122:123], v[116:117], v[120:121] op_sel:[0,0,1] op_sel_hi:[1,1,0] neg_lo:[0,0,1] neg_hi:[0,0,1]
	v_pk_fma_f32 v[120:121], v[122:123], v[116:117], v[120:121] op_sel:[0,0,1] op_sel_hi:[1,0,0]
	s_delay_alu instid0(VALU_DEP_1)
	v_mov_b32_e32 v125, v121
	ds_load_2addr_b64 v[120:123], v154 offset0:9 offset1:10
	v_pk_add_f32 v[22:23], v[22:23], v[126:127] neg_lo:[0,1] neg_hi:[0,1]
	v_pk_add_f32 v[42:43], v[42:43], v[124:125] neg_lo:[0,1] neg_hi:[0,1]
	s_wait_dscnt 0x0
	v_pk_mul_f32 v[124:125], v[120:121], v[118:119] op_sel:[0,1]
	s_delay_alu instid0(VALU_DEP_1) | instskip(SKIP_2) | instid1(VALU_DEP_2)
	v_pk_fma_f32 v[126:127], v[120:121], v[116:117], v[124:125] op_sel:[0,0,1] op_sel_hi:[1,1,0] neg_lo:[0,0,1] neg_hi:[0,0,1]
	v_pk_fma_f32 v[120:121], v[120:121], v[116:117], v[124:125] op_sel:[0,0,1] op_sel_hi:[1,0,0]
	v_dual_mul_f32 v124, v123, v119 :: v_dual_mov_b32 v120, v123
	v_dual_mov_b32 v127, v121 :: v_dual_mov_b32 v121, v122
	s_delay_alu instid0(VALU_DEP_2) | instskip(SKIP_1) | instid1(VALU_DEP_3)
	v_pk_fma_f32 v[124:125], v[122:123], v[26:27], v[124:125] op_sel_hi:[1,1,0] neg_lo:[0,0,1] neg_hi:[0,0,1]
	v_mul_f32_e32 v122, v123, v116
	v_pk_add_f32 v[38:39], v[38:39], v[126:127] neg_lo:[0,1] neg_hi:[0,1]
	s_delay_alu instid0(VALU_DEP_2) | instskip(NEXT) | instid1(VALU_DEP_1)
	v_pk_fma_f32 v[120:121], v[120:121], v[26:27], v[122:123] op_sel_hi:[1,1,0]
	v_mov_b32_e32 v125, v121
	ds_load_2addr_b64 v[120:123], v154 offset0:11 offset1:12
	v_pk_add_f32 v[40:41], v[40:41], v[124:125] neg_lo:[0,1] neg_hi:[0,1]
	s_wait_dscnt 0x0
	v_pk_mul_f32 v[124:125], v[120:121], v[118:119] op_sel:[0,1]
	s_delay_alu instid0(VALU_DEP_1) | instskip(SKIP_1) | instid1(VALU_DEP_1)
	v_pk_fma_f32 v[126:127], v[120:121], v[116:117], v[124:125] op_sel:[0,0,1] op_sel_hi:[1,1,0] neg_lo:[0,0,1] neg_hi:[0,0,1]
	v_pk_fma_f32 v[120:121], v[120:121], v[116:117], v[124:125] op_sel:[0,0,1] op_sel_hi:[1,0,0]
	v_mov_b32_e32 v127, v121
	v_pk_mul_f32 v[120:121], v[122:123], v[118:119] op_sel:[0,1]
	s_delay_alu instid0(VALU_DEP_1) | instskip(SKIP_1) | instid1(VALU_DEP_1)
	v_pk_fma_f32 v[124:125], v[122:123], v[116:117], v[120:121] op_sel:[0,0,1] op_sel_hi:[1,1,0] neg_lo:[0,0,1] neg_hi:[0,0,1]
	v_pk_fma_f32 v[120:121], v[122:123], v[116:117], v[120:121] op_sel:[0,0,1] op_sel_hi:[1,0,0]
	v_mov_b32_e32 v125, v121
	ds_load_2addr_b64 v[120:123], v154 offset0:13 offset1:14
	v_pk_add_f32 v[36:37], v[36:37], v[126:127] neg_lo:[0,1] neg_hi:[0,1]
	v_pk_add_f32 v[72:73], v[72:73], v[124:125] neg_lo:[0,1] neg_hi:[0,1]
	s_wait_dscnt 0x0
	v_pk_mul_f32 v[124:125], v[120:121], v[118:119] op_sel:[0,1]
	s_delay_alu instid0(VALU_DEP_1) | instskip(SKIP_1) | instid1(VALU_DEP_1)
	v_pk_fma_f32 v[126:127], v[120:121], v[116:117], v[124:125] op_sel:[0,0,1] op_sel_hi:[1,1,0] neg_lo:[0,0,1] neg_hi:[0,0,1]
	v_pk_fma_f32 v[120:121], v[120:121], v[116:117], v[124:125] op_sel:[0,0,1] op_sel_hi:[1,0,0]
	v_mov_b32_e32 v127, v121
	v_pk_mul_f32 v[120:121], v[122:123], v[118:119] op_sel:[0,1]
	s_delay_alu instid0(VALU_DEP_1) | instskip(SKIP_1) | instid1(VALU_DEP_1)
	v_pk_fma_f32 v[124:125], v[122:123], v[116:117], v[120:121] op_sel:[0,0,1] op_sel_hi:[1,1,0] neg_lo:[0,0,1] neg_hi:[0,0,1]
	v_pk_fma_f32 v[120:121], v[122:123], v[116:117], v[120:121] op_sel:[0,0,1] op_sel_hi:[1,0,0]
	v_mov_b32_e32 v125, v121
	ds_load_2addr_b64 v[120:123], v154 offset0:15 offset1:16
	v_pk_add_f32 v[68:69], v[68:69], v[126:127] neg_lo:[0,1] neg_hi:[0,1]
	v_pk_add_f32 v[70:71], v[70:71], v[124:125] neg_lo:[0,1] neg_hi:[0,1]
	s_wait_dscnt 0x0
	v_dual_mul_f32 v124, v121, v119 :: v_dual_mul_f32 v126, v121, v116
	s_delay_alu instid0(VALU_DEP_1) | instskip(NEXT) | instid1(VALU_DEP_2)
	v_pk_fma_f32 v[124:125], v[120:121], v[26:27], v[124:125] op_sel_hi:[1,1,0] neg_lo:[0,0,1] neg_hi:[0,0,1]
	v_pk_fma_f32 v[120:121], v[120:121], v[26:27], v[126:127] op_sel:[1,0,0] op_sel_hi:[0,1,0]
	s_delay_alu instid0(VALU_DEP_1) | instskip(SKIP_1) | instid1(VALU_DEP_2)
	v_mov_b32_e32 v125, v121
	v_pk_mul_f32 v[120:121], v[122:123], v[118:119] op_sel:[0,1]
	v_pk_add_f32 v[66:67], v[66:67], v[124:125] neg_lo:[0,1] neg_hi:[0,1]
	s_delay_alu instid0(VALU_DEP_2) | instskip(SKIP_1) | instid1(VALU_DEP_1)
	v_pk_fma_f32 v[124:125], v[122:123], v[116:117], v[120:121] op_sel:[0,0,1] op_sel_hi:[1,1,0] neg_lo:[0,0,1] neg_hi:[0,0,1]
	v_pk_fma_f32 v[120:121], v[122:123], v[116:117], v[120:121] op_sel:[0,0,1] op_sel_hi:[1,0,0]
	v_mov_b32_e32 v125, v121
	ds_load_2addr_b64 v[120:123], v154 offset0:17 offset1:18
	v_pk_add_f32 v[92:93], v[92:93], v[124:125] neg_lo:[0,1] neg_hi:[0,1]
	s_wait_dscnt 0x0
	v_pk_mul_f32 v[124:125], v[120:121], v[118:119] op_sel:[0,1]
	s_delay_alu instid0(VALU_DEP_1) | instskip(SKIP_1) | instid1(VALU_DEP_1)
	v_pk_fma_f32 v[126:127], v[120:121], v[116:117], v[124:125] op_sel:[0,0,1] op_sel_hi:[1,1,0] neg_lo:[0,0,1] neg_hi:[0,0,1]
	v_pk_fma_f32 v[120:121], v[120:121], v[116:117], v[124:125] op_sel:[0,0,1] op_sel_hi:[1,0,0]
	v_mov_b32_e32 v127, v121
	v_pk_mul_f32 v[120:121], v[122:123], v[118:119] op_sel:[0,1]
	s_delay_alu instid0(VALU_DEP_2) | instskip(NEXT) | instid1(VALU_DEP_2)
	v_pk_add_f32 v[86:87], v[86:87], v[126:127] neg_lo:[0,1] neg_hi:[0,1]
	v_pk_fma_f32 v[124:125], v[122:123], v[116:117], v[120:121] op_sel:[0,0,1] op_sel_hi:[1,1,0] neg_lo:[0,0,1] neg_hi:[0,0,1]
	v_pk_fma_f32 v[120:121], v[122:123], v[116:117], v[120:121] op_sel:[0,0,1] op_sel_hi:[1,0,0]
	s_delay_alu instid0(VALU_DEP_1) | instskip(SKIP_4) | instid1(VALU_DEP_1)
	v_mov_b32_e32 v125, v121
	ds_load_2addr_b64 v[120:123], v154 offset0:19 offset1:20
	v_pk_add_f32 v[90:91], v[90:91], v[124:125] neg_lo:[0,1] neg_hi:[0,1]
	s_wait_dscnt 0x0
	v_pk_mul_f32 v[124:125], v[120:121], v[118:119] op_sel:[0,1]
	v_pk_fma_f32 v[126:127], v[120:121], v[116:117], v[124:125] op_sel:[0,0,1] op_sel_hi:[1,1,0] neg_lo:[0,0,1] neg_hi:[0,0,1]
	v_pk_fma_f32 v[120:121], v[120:121], v[116:117], v[124:125] op_sel:[0,0,1] op_sel_hi:[1,0,0]
	v_dual_mul_f32 v124, v123, v119 :: v_dual_mov_b32 v120, v123
	s_delay_alu instid0(VALU_DEP_2) | instskip(NEXT) | instid1(VALU_DEP_2)
	v_dual_mov_b32 v127, v121 :: v_dual_mov_b32 v121, v122
	v_pk_fma_f32 v[124:125], v[122:123], v[26:27], v[124:125] op_sel_hi:[1,1,0] neg_lo:[0,0,1] neg_hi:[0,0,1]
	v_mul_f32_e32 v122, v123, v116
	s_delay_alu instid0(VALU_DEP_3) | instskip(NEXT) | instid1(VALU_DEP_2)
	v_pk_add_f32 v[84:85], v[84:85], v[126:127] neg_lo:[0,1] neg_hi:[0,1]
	v_pk_fma_f32 v[120:121], v[120:121], v[26:27], v[122:123] op_sel_hi:[1,1,0]
	s_delay_alu instid0(VALU_DEP_1) | instskip(SKIP_4) | instid1(VALU_DEP_1)
	v_mov_b32_e32 v125, v121
	ds_load_2addr_b64 v[120:123], v154 offset0:21 offset1:22
	v_pk_add_f32 v[88:89], v[88:89], v[124:125] neg_lo:[0,1] neg_hi:[0,1]
	s_wait_dscnt 0x0
	v_pk_mul_f32 v[124:125], v[120:121], v[118:119] op_sel:[0,1]
	v_pk_fma_f32 v[126:127], v[120:121], v[116:117], v[124:125] op_sel:[0,0,1] op_sel_hi:[1,1,0] neg_lo:[0,0,1] neg_hi:[0,0,1]
	v_pk_fma_f32 v[120:121], v[120:121], v[116:117], v[124:125] op_sel:[0,0,1] op_sel_hi:[1,0,0]
	s_delay_alu instid0(VALU_DEP_1) | instskip(SKIP_1) | instid1(VALU_DEP_1)
	v_mov_b32_e32 v127, v121
	v_pk_mul_f32 v[120:121], v[122:123], v[118:119] op_sel:[0,1]
	v_pk_fma_f32 v[124:125], v[122:123], v[116:117], v[120:121] op_sel:[0,0,1] op_sel_hi:[1,1,0] neg_lo:[0,0,1] neg_hi:[0,0,1]
	v_pk_fma_f32 v[120:121], v[122:123], v[116:117], v[120:121] op_sel:[0,0,1] op_sel_hi:[1,0,0]
	s_delay_alu instid0(VALU_DEP_1)
	v_mov_b32_e32 v125, v121
	ds_load_2addr_b64 v[120:123], v154 offset0:23 offset1:24
	v_pk_add_f32 v[98:99], v[98:99], v[126:127] neg_lo:[0,1] neg_hi:[0,1]
	v_pk_add_f32 v[96:97], v[96:97], v[124:125] neg_lo:[0,1] neg_hi:[0,1]
	s_wait_dscnt 0x0
	v_pk_mul_f32 v[124:125], v[120:121], v[118:119] op_sel:[0,1]
	v_mul_f32_e32 v118, v123, v119
	s_delay_alu instid0(VALU_DEP_2) | instskip(SKIP_2) | instid1(VALU_DEP_4)
	v_pk_fma_f32 v[126:127], v[120:121], v[116:117], v[124:125] op_sel:[0,0,1] op_sel_hi:[1,1,0] neg_lo:[0,0,1] neg_hi:[0,0,1]
	v_pk_fma_f32 v[120:121], v[120:121], v[116:117], v[124:125] op_sel:[0,0,1] op_sel_hi:[1,0,0]
	v_dual_mov_b32 v120, v123 :: v_dual_mul_f32 v116, v123, v116
	v_pk_fma_f32 v[118:119], v[122:123], v[26:27], v[118:119] op_sel_hi:[1,1,0] neg_lo:[0,0,1] neg_hi:[0,0,1]
	s_delay_alu instid0(VALU_DEP_3) | instskip(NEXT) | instid1(VALU_DEP_1)
	v_dual_mov_b32 v127, v121 :: v_dual_mov_b32 v121, v122
	v_pk_add_f32 v[94:95], v[94:95], v[126:127] neg_lo:[0,1] neg_hi:[0,1]
	s_delay_alu instid0(VALU_DEP_2) | instskip(NEXT) | instid1(VALU_DEP_1)
	v_pk_fma_f32 v[116:117], v[120:121], v[26:27], v[116:117] op_sel_hi:[1,1,0]
	v_mov_b32_e32 v119, v117
	s_delay_alu instid0(VALU_DEP_1)
	v_pk_add_f32 v[100:101], v[100:101], v[118:119] neg_lo:[0,1] neg_hi:[0,1]
.LBB49_64:
	s_or_b32 exec_lo, exec_lo, s1
	s_delay_alu instid0(SALU_CYCLE_1)
	s_mov_b32 s2, exec_lo
	s_wait_dscnt 0x0
	s_barrier_signal -1
	s_barrier_wait -1
	v_cmpx_eq_u32_e32 7, v152
	s_cbranch_execz .LBB49_71
; %bb.65:
	v_dual_mov_b32 v116, v42 :: v_dual_mov_b32 v117, v43
	v_dual_mov_b32 v118, v38 :: v_dual_mov_b32 v119, v39
	;; [unrolled: 1-line block ×4, first 2 shown]
	ds_store_b64 v153, v[22:23]
	ds_store_2addr_b64 v154, v[116:117], v[118:119] offset0:8 offset1:9
	ds_store_2addr_b64 v154, v[120:121], v[122:123] offset0:10 offset1:11
	v_dual_mov_b32 v116, v72 :: v_dual_mov_b32 v117, v73
	v_dual_mov_b32 v118, v68 :: v_dual_mov_b32 v119, v69
	;; [unrolled: 1-line block ×12, first 2 shown]
	ds_store_2addr_b64 v154, v[116:117], v[118:119] offset0:12 offset1:13
	ds_store_2addr_b64 v154, v[120:121], v[122:123] offset0:14 offset1:15
	;; [unrolled: 1-line block ×6, first 2 shown]
	ds_store_b64 v154, v[100:101] offset:192
	ds_load_b64 v[116:117], v153
	s_wait_dscnt 0x0
	v_cmp_neq_f32_e32 vcc_lo, 0, v116
	v_cmp_neq_f32_e64 s1, 0, v117
	s_or_b32 s1, vcc_lo, s1
	s_delay_alu instid0(SALU_CYCLE_1)
	s_and_b32 exec_lo, exec_lo, s1
	s_cbranch_execz .LBB49_71
; %bb.66:
	v_cmp_ngt_f32_e64 s1, |v116|, |v117|
                                        ; implicit-def: $vgpr118_vgpr119
	s_and_saveexec_b32 s4, s1
	s_delay_alu instid0(SALU_CYCLE_1)
	s_xor_b32 s1, exec_lo, s4
	s_cbranch_execz .LBB49_68
; %bb.67:
	v_div_scale_f32 v118, null, v117, v117, v116
	v_div_scale_f32 v121, vcc_lo, v116, v117, v116
	s_delay_alu instid0(VALU_DEP_2) | instskip(SKIP_1) | instid1(TRANS32_DEP_1)
	v_rcp_f32_e32 v119, v118
	v_nop
	v_fma_f32 v120, -v118, v119, 1.0
	s_delay_alu instid0(VALU_DEP_1) | instskip(NEXT) | instid1(VALU_DEP_1)
	v_fmac_f32_e32 v119, v120, v119
	v_mul_f32_e32 v120, v121, v119
	s_delay_alu instid0(VALU_DEP_1) | instskip(NEXT) | instid1(VALU_DEP_1)
	v_fma_f32 v122, -v118, v120, v121
	v_fmac_f32_e32 v120, v122, v119
	s_delay_alu instid0(VALU_DEP_1) | instskip(NEXT) | instid1(VALU_DEP_1)
	v_fma_f32 v118, -v118, v120, v121
	v_div_fmas_f32 v118, v118, v119, v120
	s_delay_alu instid0(VALU_DEP_1) | instskip(NEXT) | instid1(VALU_DEP_1)
	v_div_fixup_f32 v118, v118, v117, v116
	v_fmac_f32_e32 v117, v116, v118
	s_delay_alu instid0(VALU_DEP_1) | instskip(SKIP_1) | instid1(VALU_DEP_2)
	v_div_scale_f32 v116, null, v117, v117, 1.0
	v_div_scale_f32 v121, vcc_lo, 1.0, v117, 1.0
	v_rcp_f32_e32 v119, v116
	v_nop
	s_delay_alu instid0(TRANS32_DEP_1) | instskip(NEXT) | instid1(VALU_DEP_1)
	v_fma_f32 v120, -v116, v119, 1.0
	v_fmac_f32_e32 v119, v120, v119
	s_delay_alu instid0(VALU_DEP_1) | instskip(NEXT) | instid1(VALU_DEP_1)
	v_mul_f32_e32 v120, v121, v119
	v_fma_f32 v122, -v116, v120, v121
	s_delay_alu instid0(VALU_DEP_1) | instskip(NEXT) | instid1(VALU_DEP_1)
	v_fmac_f32_e32 v120, v122, v119
	v_fma_f32 v116, -v116, v120, v121
	s_delay_alu instid0(VALU_DEP_1) | instskip(NEXT) | instid1(VALU_DEP_1)
	v_div_fmas_f32 v116, v116, v119, v120
	v_div_fixup_f32 v116, v116, v117, 1.0
	s_delay_alu instid0(VALU_DEP_1)
	v_mul_f32_e32 v118, v118, v116
	v_xor_b32_e32 v119, 0x80000000, v116
                                        ; implicit-def: $vgpr116_vgpr117
.LBB49_68:
	s_and_not1_saveexec_b32 s1, s1
	s_cbranch_execz .LBB49_70
; %bb.69:
	v_div_scale_f32 v118, null, v116, v116, v117
	v_div_scale_f32 v121, vcc_lo, v117, v116, v117
	s_delay_alu instid0(VALU_DEP_2) | instskip(SKIP_1) | instid1(TRANS32_DEP_1)
	v_rcp_f32_e32 v119, v118
	v_nop
	v_fma_f32 v120, -v118, v119, 1.0
	s_delay_alu instid0(VALU_DEP_1) | instskip(NEXT) | instid1(VALU_DEP_1)
	v_fmac_f32_e32 v119, v120, v119
	v_mul_f32_e32 v120, v121, v119
	s_delay_alu instid0(VALU_DEP_1) | instskip(NEXT) | instid1(VALU_DEP_1)
	v_fma_f32 v122, -v118, v120, v121
	v_fmac_f32_e32 v120, v122, v119
	s_delay_alu instid0(VALU_DEP_1) | instskip(NEXT) | instid1(VALU_DEP_1)
	v_fma_f32 v118, -v118, v120, v121
	v_div_fmas_f32 v118, v118, v119, v120
	s_delay_alu instid0(VALU_DEP_1) | instskip(NEXT) | instid1(VALU_DEP_1)
	v_div_fixup_f32 v119, v118, v116, v117
	v_fmac_f32_e32 v116, v117, v119
	s_delay_alu instid0(VALU_DEP_1) | instskip(NEXT) | instid1(VALU_DEP_1)
	v_div_scale_f32 v117, null, v116, v116, 1.0
	v_rcp_f32_e32 v118, v117
	v_nop
	s_delay_alu instid0(TRANS32_DEP_1) | instskip(NEXT) | instid1(VALU_DEP_1)
	v_fma_f32 v120, -v117, v118, 1.0
	v_fmac_f32_e32 v118, v120, v118
	v_div_scale_f32 v120, vcc_lo, 1.0, v116, 1.0
	s_delay_alu instid0(VALU_DEP_1) | instskip(NEXT) | instid1(VALU_DEP_1)
	v_mul_f32_e32 v121, v120, v118
	v_fma_f32 v122, -v117, v121, v120
	s_delay_alu instid0(VALU_DEP_1) | instskip(NEXT) | instid1(VALU_DEP_1)
	v_fmac_f32_e32 v121, v122, v118
	v_fma_f32 v117, -v117, v121, v120
	s_delay_alu instid0(VALU_DEP_1) | instskip(NEXT) | instid1(VALU_DEP_1)
	v_div_fmas_f32 v117, v117, v118, v121
	v_div_fixup_f32 v118, v117, v116, 1.0
	s_delay_alu instid0(VALU_DEP_1)
	v_mul_f32_e64 v119, v119, -v118
.LBB49_70:
	s_or_b32 exec_lo, exec_lo, s1
	ds_store_b64 v153, v[118:119]
.LBB49_71:
	s_or_b32 exec_lo, exec_lo, s2
	s_wait_dscnt 0x0
	s_barrier_signal -1
	s_barrier_wait -1
	ds_load_b64 v[116:117], v153
	s_mov_b32 s1, exec_lo
	v_cmpx_lt_u32_e32 7, v152
	s_cbranch_execz .LBB49_73
; %bb.72:
	ds_load_2addr_b64 v[122:125], v154 offset0:8 offset1:9
	s_wait_dscnt 0x1
	v_pk_mul_f32 v[120:121], v[116:117], v[22:23] op_sel:[1,1] op_sel_hi:[0,1]
	s_delay_alu instid0(VALU_DEP_1) | instskip(SKIP_1) | instid1(VALU_DEP_1)
	v_pk_fma_f32 v[118:119], v[116:117], v[22:23], v[120:121] op_sel_hi:[1,0,1] neg_lo:[0,0,1] neg_hi:[0,0,1]
	v_pk_fma_f32 v[120:121], v[116:117], v[22:23], v[120:121] op_sel_hi:[1,0,1]
	v_dual_mov_b32 v22, v118 :: v_dual_mov_b32 v23, v121
	s_wait_dscnt 0x0
	s_delay_alu instid0(VALU_DEP_2) | instskip(NEXT) | instid1(VALU_DEP_1)
	v_pk_mul_f32 v[126:127], v[122:123], v[120:121] op_sel:[0,1]
	v_pk_fma_f32 v[128:129], v[122:123], v[118:119], v[126:127] op_sel:[0,0,1] op_sel_hi:[1,1,0] neg_lo:[0,0,1] neg_hi:[0,0,1]
	v_pk_fma_f32 v[122:123], v[122:123], v[118:119], v[126:127] op_sel:[0,0,1] op_sel_hi:[1,0,0]
	s_delay_alu instid0(VALU_DEP_1) | instskip(SKIP_1) | instid1(VALU_DEP_1)
	v_mov_b32_e32 v129, v123
	v_pk_mul_f32 v[122:123], v[124:125], v[120:121] op_sel:[0,1]
	v_pk_fma_f32 v[126:127], v[124:125], v[118:119], v[122:123] op_sel:[0,0,1] op_sel_hi:[1,1,0] neg_lo:[0,0,1] neg_hi:[0,0,1]
	v_pk_fma_f32 v[122:123], v[124:125], v[118:119], v[122:123] op_sel:[0,0,1] op_sel_hi:[1,0,0]
	s_delay_alu instid0(VALU_DEP_1)
	v_mov_b32_e32 v127, v123
	ds_load_2addr_b64 v[122:125], v154 offset0:10 offset1:11
	v_pk_add_f32 v[42:43], v[42:43], v[128:129] neg_lo:[0,1] neg_hi:[0,1]
	v_pk_add_f32 v[38:39], v[38:39], v[126:127] neg_lo:[0,1] neg_hi:[0,1]
	s_wait_dscnt 0x0
	v_pk_mul_f32 v[126:127], v[122:123], v[120:121] op_sel:[0,1]
	s_delay_alu instid0(VALU_DEP_1) | instskip(SKIP_2) | instid1(VALU_DEP_2)
	v_pk_fma_f32 v[128:129], v[122:123], v[118:119], v[126:127] op_sel:[0,0,1] op_sel_hi:[1,1,0] neg_lo:[0,0,1] neg_hi:[0,0,1]
	v_pk_fma_f32 v[122:123], v[122:123], v[118:119], v[126:127] op_sel:[0,0,1] op_sel_hi:[1,0,0]
	v_dual_mul_f32 v126, v125, v121 :: v_dual_mov_b32 v122, v125
	v_dual_mov_b32 v129, v123 :: v_dual_mov_b32 v123, v124
	s_delay_alu instid0(VALU_DEP_2) | instskip(SKIP_1) | instid1(VALU_DEP_3)
	v_pk_fma_f32 v[126:127], v[124:125], v[22:23], v[126:127] op_sel_hi:[1,1,0] neg_lo:[0,0,1] neg_hi:[0,0,1]
	v_mul_f32_e32 v124, v125, v118
	v_pk_add_f32 v[40:41], v[40:41], v[128:129] neg_lo:[0,1] neg_hi:[0,1]
	s_delay_alu instid0(VALU_DEP_2) | instskip(NEXT) | instid1(VALU_DEP_1)
	v_pk_fma_f32 v[122:123], v[122:123], v[22:23], v[124:125] op_sel_hi:[1,1,0]
	v_mov_b32_e32 v127, v123
	ds_load_2addr_b64 v[122:125], v154 offset0:12 offset1:13
	v_pk_add_f32 v[36:37], v[36:37], v[126:127] neg_lo:[0,1] neg_hi:[0,1]
	s_wait_dscnt 0x0
	v_pk_mul_f32 v[126:127], v[122:123], v[120:121] op_sel:[0,1]
	s_delay_alu instid0(VALU_DEP_1) | instskip(SKIP_1) | instid1(VALU_DEP_1)
	v_pk_fma_f32 v[128:129], v[122:123], v[118:119], v[126:127] op_sel:[0,0,1] op_sel_hi:[1,1,0] neg_lo:[0,0,1] neg_hi:[0,0,1]
	v_pk_fma_f32 v[122:123], v[122:123], v[118:119], v[126:127] op_sel:[0,0,1] op_sel_hi:[1,0,0]
	v_mov_b32_e32 v129, v123
	v_pk_mul_f32 v[122:123], v[124:125], v[120:121] op_sel:[0,1]
	s_delay_alu instid0(VALU_DEP_1) | instskip(SKIP_1) | instid1(VALU_DEP_1)
	v_pk_fma_f32 v[126:127], v[124:125], v[118:119], v[122:123] op_sel:[0,0,1] op_sel_hi:[1,1,0] neg_lo:[0,0,1] neg_hi:[0,0,1]
	v_pk_fma_f32 v[122:123], v[124:125], v[118:119], v[122:123] op_sel:[0,0,1] op_sel_hi:[1,0,0]
	v_mov_b32_e32 v127, v123
	ds_load_2addr_b64 v[122:125], v154 offset0:14 offset1:15
	v_pk_add_f32 v[72:73], v[72:73], v[128:129] neg_lo:[0,1] neg_hi:[0,1]
	v_pk_add_f32 v[68:69], v[68:69], v[126:127] neg_lo:[0,1] neg_hi:[0,1]
	s_wait_dscnt 0x0
	v_pk_mul_f32 v[126:127], v[122:123], v[120:121] op_sel:[0,1]
	s_delay_alu instid0(VALU_DEP_1) | instskip(SKIP_1) | instid1(VALU_DEP_1)
	v_pk_fma_f32 v[128:129], v[122:123], v[118:119], v[126:127] op_sel:[0,0,1] op_sel_hi:[1,1,0] neg_lo:[0,0,1] neg_hi:[0,0,1]
	v_pk_fma_f32 v[122:123], v[122:123], v[118:119], v[126:127] op_sel:[0,0,1] op_sel_hi:[1,0,0]
	v_mov_b32_e32 v129, v123
	v_pk_mul_f32 v[122:123], v[124:125], v[120:121] op_sel:[0,1]
	s_delay_alu instid0(VALU_DEP_1) | instskip(SKIP_1) | instid1(VALU_DEP_1)
	v_pk_fma_f32 v[126:127], v[124:125], v[118:119], v[122:123] op_sel:[0,0,1] op_sel_hi:[1,1,0] neg_lo:[0,0,1] neg_hi:[0,0,1]
	v_pk_fma_f32 v[122:123], v[124:125], v[118:119], v[122:123] op_sel:[0,0,1] op_sel_hi:[1,0,0]
	v_mov_b32_e32 v127, v123
	ds_load_2addr_b64 v[122:125], v154 offset0:16 offset1:17
	v_pk_add_f32 v[70:71], v[70:71], v[128:129] neg_lo:[0,1] neg_hi:[0,1]
	v_pk_add_f32 v[66:67], v[66:67], v[126:127] neg_lo:[0,1] neg_hi:[0,1]
	s_wait_dscnt 0x0
	v_dual_mul_f32 v126, v123, v121 :: v_dual_mul_f32 v128, v123, v118
	s_delay_alu instid0(VALU_DEP_1) | instskip(NEXT) | instid1(VALU_DEP_2)
	v_pk_fma_f32 v[126:127], v[122:123], v[22:23], v[126:127] op_sel_hi:[1,1,0] neg_lo:[0,0,1] neg_hi:[0,0,1]
	v_pk_fma_f32 v[122:123], v[122:123], v[22:23], v[128:129] op_sel:[1,0,0] op_sel_hi:[0,1,0]
	s_delay_alu instid0(VALU_DEP_1) | instskip(SKIP_1) | instid1(VALU_DEP_2)
	v_mov_b32_e32 v127, v123
	v_pk_mul_f32 v[122:123], v[124:125], v[120:121] op_sel:[0,1]
	v_pk_add_f32 v[92:93], v[92:93], v[126:127] neg_lo:[0,1] neg_hi:[0,1]
	s_delay_alu instid0(VALU_DEP_2) | instskip(SKIP_1) | instid1(VALU_DEP_1)
	v_pk_fma_f32 v[126:127], v[124:125], v[118:119], v[122:123] op_sel:[0,0,1] op_sel_hi:[1,1,0] neg_lo:[0,0,1] neg_hi:[0,0,1]
	v_pk_fma_f32 v[122:123], v[124:125], v[118:119], v[122:123] op_sel:[0,0,1] op_sel_hi:[1,0,0]
	v_mov_b32_e32 v127, v123
	ds_load_2addr_b64 v[122:125], v154 offset0:18 offset1:19
	v_pk_add_f32 v[86:87], v[86:87], v[126:127] neg_lo:[0,1] neg_hi:[0,1]
	s_wait_dscnt 0x0
	v_pk_mul_f32 v[126:127], v[122:123], v[120:121] op_sel:[0,1]
	s_delay_alu instid0(VALU_DEP_1) | instskip(SKIP_1) | instid1(VALU_DEP_1)
	v_pk_fma_f32 v[128:129], v[122:123], v[118:119], v[126:127] op_sel:[0,0,1] op_sel_hi:[1,1,0] neg_lo:[0,0,1] neg_hi:[0,0,1]
	v_pk_fma_f32 v[122:123], v[122:123], v[118:119], v[126:127] op_sel:[0,0,1] op_sel_hi:[1,0,0]
	v_mov_b32_e32 v129, v123
	v_pk_mul_f32 v[122:123], v[124:125], v[120:121] op_sel:[0,1]
	s_delay_alu instid0(VALU_DEP_2) | instskip(NEXT) | instid1(VALU_DEP_2)
	v_pk_add_f32 v[90:91], v[90:91], v[128:129] neg_lo:[0,1] neg_hi:[0,1]
	v_pk_fma_f32 v[126:127], v[124:125], v[118:119], v[122:123] op_sel:[0,0,1] op_sel_hi:[1,1,0] neg_lo:[0,0,1] neg_hi:[0,0,1]
	v_pk_fma_f32 v[122:123], v[124:125], v[118:119], v[122:123] op_sel:[0,0,1] op_sel_hi:[1,0,0]
	s_delay_alu instid0(VALU_DEP_1) | instskip(SKIP_4) | instid1(VALU_DEP_1)
	v_mov_b32_e32 v127, v123
	ds_load_2addr_b64 v[122:125], v154 offset0:20 offset1:21
	v_pk_add_f32 v[84:85], v[84:85], v[126:127] neg_lo:[0,1] neg_hi:[0,1]
	s_wait_dscnt 0x0
	v_pk_mul_f32 v[126:127], v[122:123], v[120:121] op_sel:[0,1]
	v_pk_fma_f32 v[128:129], v[122:123], v[118:119], v[126:127] op_sel:[0,0,1] op_sel_hi:[1,1,0] neg_lo:[0,0,1] neg_hi:[0,0,1]
	v_pk_fma_f32 v[122:123], v[122:123], v[118:119], v[126:127] op_sel:[0,0,1] op_sel_hi:[1,0,0]
	v_dual_mul_f32 v126, v125, v121 :: v_dual_mov_b32 v122, v125
	s_delay_alu instid0(VALU_DEP_2) | instskip(NEXT) | instid1(VALU_DEP_2)
	v_dual_mov_b32 v129, v123 :: v_dual_mov_b32 v123, v124
	v_pk_fma_f32 v[126:127], v[124:125], v[22:23], v[126:127] op_sel_hi:[1,1,0] neg_lo:[0,0,1] neg_hi:[0,0,1]
	v_mul_f32_e32 v124, v125, v118
	s_delay_alu instid0(VALU_DEP_3) | instskip(NEXT) | instid1(VALU_DEP_2)
	v_pk_add_f32 v[88:89], v[88:89], v[128:129] neg_lo:[0,1] neg_hi:[0,1]
	v_pk_fma_f32 v[122:123], v[122:123], v[22:23], v[124:125] op_sel_hi:[1,1,0]
	s_delay_alu instid0(VALU_DEP_1) | instskip(SKIP_4) | instid1(VALU_DEP_1)
	v_mov_b32_e32 v127, v123
	ds_load_2addr_b64 v[122:125], v154 offset0:22 offset1:23
	v_pk_add_f32 v[98:99], v[98:99], v[126:127] neg_lo:[0,1] neg_hi:[0,1]
	s_wait_dscnt 0x0
	v_pk_mul_f32 v[126:127], v[122:123], v[120:121] op_sel:[0,1]
	v_pk_fma_f32 v[128:129], v[122:123], v[118:119], v[126:127] op_sel:[0,0,1] op_sel_hi:[1,1,0] neg_lo:[0,0,1] neg_hi:[0,0,1]
	v_pk_fma_f32 v[122:123], v[122:123], v[118:119], v[126:127] op_sel:[0,0,1] op_sel_hi:[1,0,0]
	s_delay_alu instid0(VALU_DEP_1) | instskip(SKIP_1) | instid1(VALU_DEP_1)
	v_mov_b32_e32 v129, v123
	v_pk_mul_f32 v[122:123], v[124:125], v[120:121] op_sel:[0,1]
	v_pk_fma_f32 v[126:127], v[124:125], v[118:119], v[122:123] op_sel:[0,0,1] op_sel_hi:[1,1,0] neg_lo:[0,0,1] neg_hi:[0,0,1]
	v_pk_fma_f32 v[122:123], v[124:125], v[118:119], v[122:123] op_sel:[0,0,1] op_sel_hi:[1,0,0]
	s_delay_alu instid0(VALU_DEP_1)
	v_mov_b32_e32 v127, v123
	ds_load_b64 v[122:123], v154 offset:192
	v_pk_add_f32 v[96:97], v[96:97], v[128:129] neg_lo:[0,1] neg_hi:[0,1]
	v_pk_add_f32 v[94:95], v[94:95], v[126:127] neg_lo:[0,1] neg_hi:[0,1]
	s_wait_dscnt 0x0
	v_pk_mul_f32 v[120:121], v[122:123], v[120:121] op_sel:[0,1]
	s_delay_alu instid0(VALU_DEP_1) | instskip(SKIP_1) | instid1(VALU_DEP_1)
	v_pk_fma_f32 v[124:125], v[122:123], v[118:119], v[120:121] op_sel:[0,0,1] op_sel_hi:[1,1,0] neg_lo:[0,0,1] neg_hi:[0,0,1]
	v_pk_fma_f32 v[118:119], v[122:123], v[118:119], v[120:121] op_sel:[0,0,1] op_sel_hi:[1,0,0]
	v_mov_b32_e32 v125, v119
	s_delay_alu instid0(VALU_DEP_1)
	v_pk_add_f32 v[100:101], v[100:101], v[124:125] neg_lo:[0,1] neg_hi:[0,1]
.LBB49_73:
	s_or_b32 exec_lo, exec_lo, s1
	s_delay_alu instid0(SALU_CYCLE_1)
	s_mov_b32 s2, exec_lo
	s_wait_dscnt 0x0
	s_barrier_signal -1
	s_barrier_wait -1
	v_cmpx_eq_u32_e32 8, v152
	s_cbranch_execz .LBB49_80
; %bb.74:
	ds_store_b64 v153, v[42:43]
	ds_store_2addr_b64 v154, v[38:39], v[40:41] offset0:9 offset1:10
	ds_store_2addr_b64 v154, v[36:37], v[72:73] offset0:11 offset1:12
	;; [unrolled: 1-line block ×8, first 2 shown]
	ds_load_b64 v[118:119], v153
	s_wait_dscnt 0x0
	v_cmp_neq_f32_e32 vcc_lo, 0, v118
	v_cmp_neq_f32_e64 s1, 0, v119
	s_or_b32 s1, vcc_lo, s1
	s_delay_alu instid0(SALU_CYCLE_1)
	s_and_b32 exec_lo, exec_lo, s1
	s_cbranch_execz .LBB49_80
; %bb.75:
	v_cmp_ngt_f32_e64 s1, |v118|, |v119|
                                        ; implicit-def: $vgpr120_vgpr121
	s_and_saveexec_b32 s4, s1
	s_delay_alu instid0(SALU_CYCLE_1)
	s_xor_b32 s1, exec_lo, s4
	s_cbranch_execz .LBB49_77
; %bb.76:
	v_div_scale_f32 v120, null, v119, v119, v118
	v_div_scale_f32 v123, vcc_lo, v118, v119, v118
	s_delay_alu instid0(VALU_DEP_2) | instskip(SKIP_1) | instid1(TRANS32_DEP_1)
	v_rcp_f32_e32 v121, v120
	v_nop
	v_fma_f32 v122, -v120, v121, 1.0
	s_delay_alu instid0(VALU_DEP_1) | instskip(NEXT) | instid1(VALU_DEP_1)
	v_fmac_f32_e32 v121, v122, v121
	v_mul_f32_e32 v122, v123, v121
	s_delay_alu instid0(VALU_DEP_1) | instskip(NEXT) | instid1(VALU_DEP_1)
	v_fma_f32 v124, -v120, v122, v123
	v_fmac_f32_e32 v122, v124, v121
	s_delay_alu instid0(VALU_DEP_1) | instskip(NEXT) | instid1(VALU_DEP_1)
	v_fma_f32 v120, -v120, v122, v123
	v_div_fmas_f32 v120, v120, v121, v122
	s_delay_alu instid0(VALU_DEP_1) | instskip(NEXT) | instid1(VALU_DEP_1)
	v_div_fixup_f32 v120, v120, v119, v118
	v_fmac_f32_e32 v119, v118, v120
	s_delay_alu instid0(VALU_DEP_1) | instskip(SKIP_1) | instid1(VALU_DEP_2)
	v_div_scale_f32 v118, null, v119, v119, 1.0
	v_div_scale_f32 v123, vcc_lo, 1.0, v119, 1.0
	v_rcp_f32_e32 v121, v118
	v_nop
	s_delay_alu instid0(TRANS32_DEP_1) | instskip(NEXT) | instid1(VALU_DEP_1)
	v_fma_f32 v122, -v118, v121, 1.0
	v_fmac_f32_e32 v121, v122, v121
	s_delay_alu instid0(VALU_DEP_1) | instskip(NEXT) | instid1(VALU_DEP_1)
	v_mul_f32_e32 v122, v123, v121
	v_fma_f32 v124, -v118, v122, v123
	s_delay_alu instid0(VALU_DEP_1) | instskip(NEXT) | instid1(VALU_DEP_1)
	v_fmac_f32_e32 v122, v124, v121
	v_fma_f32 v118, -v118, v122, v123
	s_delay_alu instid0(VALU_DEP_1) | instskip(NEXT) | instid1(VALU_DEP_1)
	v_div_fmas_f32 v118, v118, v121, v122
	v_div_fixup_f32 v118, v118, v119, 1.0
	s_delay_alu instid0(VALU_DEP_1)
	v_mul_f32_e32 v120, v120, v118
	v_xor_b32_e32 v121, 0x80000000, v118
                                        ; implicit-def: $vgpr118_vgpr119
.LBB49_77:
	s_and_not1_saveexec_b32 s1, s1
	s_cbranch_execz .LBB49_79
; %bb.78:
	v_div_scale_f32 v120, null, v118, v118, v119
	v_div_scale_f32 v123, vcc_lo, v119, v118, v119
	s_delay_alu instid0(VALU_DEP_2) | instskip(SKIP_1) | instid1(TRANS32_DEP_1)
	v_rcp_f32_e32 v121, v120
	v_nop
	v_fma_f32 v122, -v120, v121, 1.0
	s_delay_alu instid0(VALU_DEP_1) | instskip(NEXT) | instid1(VALU_DEP_1)
	v_fmac_f32_e32 v121, v122, v121
	v_mul_f32_e32 v122, v123, v121
	s_delay_alu instid0(VALU_DEP_1) | instskip(NEXT) | instid1(VALU_DEP_1)
	v_fma_f32 v124, -v120, v122, v123
	v_fmac_f32_e32 v122, v124, v121
	s_delay_alu instid0(VALU_DEP_1) | instskip(NEXT) | instid1(VALU_DEP_1)
	v_fma_f32 v120, -v120, v122, v123
	v_div_fmas_f32 v120, v120, v121, v122
	s_delay_alu instid0(VALU_DEP_1) | instskip(NEXT) | instid1(VALU_DEP_1)
	v_div_fixup_f32 v121, v120, v118, v119
	v_fmac_f32_e32 v118, v119, v121
	s_delay_alu instid0(VALU_DEP_1) | instskip(NEXT) | instid1(VALU_DEP_1)
	v_div_scale_f32 v119, null, v118, v118, 1.0
	v_rcp_f32_e32 v120, v119
	v_nop
	s_delay_alu instid0(TRANS32_DEP_1) | instskip(NEXT) | instid1(VALU_DEP_1)
	v_fma_f32 v122, -v119, v120, 1.0
	v_fmac_f32_e32 v120, v122, v120
	v_div_scale_f32 v122, vcc_lo, 1.0, v118, 1.0
	s_delay_alu instid0(VALU_DEP_1) | instskip(NEXT) | instid1(VALU_DEP_1)
	v_mul_f32_e32 v123, v122, v120
	v_fma_f32 v124, -v119, v123, v122
	s_delay_alu instid0(VALU_DEP_1) | instskip(NEXT) | instid1(VALU_DEP_1)
	v_fmac_f32_e32 v123, v124, v120
	v_fma_f32 v119, -v119, v123, v122
	s_delay_alu instid0(VALU_DEP_1) | instskip(NEXT) | instid1(VALU_DEP_1)
	v_div_fmas_f32 v119, v119, v120, v123
	v_div_fixup_f32 v120, v119, v118, 1.0
	s_delay_alu instid0(VALU_DEP_1)
	v_mul_f32_e64 v121, v121, -v120
.LBB49_79:
	s_or_b32 exec_lo, exec_lo, s1
	ds_store_b64 v153, v[120:121]
.LBB49_80:
	s_or_b32 exec_lo, exec_lo, s2
	s_wait_dscnt 0x0
	s_barrier_signal -1
	s_barrier_wait -1
	ds_load_b64 v[118:119], v153
	s_mov_b32 s1, exec_lo
	v_cmpx_lt_u32_e32 8, v152
	s_cbranch_execz .LBB49_82
; %bb.81:
	ds_load_2addr_b64 v[124:127], v154 offset0:9 offset1:10
	s_wait_dscnt 0x1
	v_pk_mul_f32 v[122:123], v[118:119], v[42:43] op_sel:[1,1] op_sel_hi:[0,1]
	s_delay_alu instid0(VALU_DEP_1) | instskip(SKIP_1) | instid1(VALU_DEP_1)
	v_pk_fma_f32 v[120:121], v[118:119], v[42:43], v[122:123] op_sel_hi:[1,0,1] neg_lo:[0,0,1] neg_hi:[0,0,1]
	v_pk_fma_f32 v[122:123], v[118:119], v[42:43], v[122:123] op_sel_hi:[1,0,1]
	v_dual_mov_b32 v42, v120 :: v_dual_mov_b32 v43, v123
	s_wait_dscnt 0x0
	s_delay_alu instid0(VALU_DEP_2) | instskip(NEXT) | instid1(VALU_DEP_1)
	v_pk_mul_f32 v[128:129], v[124:125], v[122:123] op_sel:[0,1]
	v_pk_fma_f32 v[130:131], v[124:125], v[120:121], v[128:129] op_sel:[0,0,1] op_sel_hi:[1,1,0] neg_lo:[0,0,1] neg_hi:[0,0,1]
	v_pk_fma_f32 v[124:125], v[124:125], v[120:121], v[128:129] op_sel:[0,0,1] op_sel_hi:[1,0,0]
	s_delay_alu instid0(VALU_DEP_1) | instskip(SKIP_1) | instid1(VALU_DEP_1)
	v_mov_b32_e32 v131, v125
	v_pk_mul_f32 v[124:125], v[126:127], v[122:123] op_sel:[0,1]
	v_pk_fma_f32 v[128:129], v[126:127], v[120:121], v[124:125] op_sel:[0,0,1] op_sel_hi:[1,1,0] neg_lo:[0,0,1] neg_hi:[0,0,1]
	v_pk_fma_f32 v[124:125], v[126:127], v[120:121], v[124:125] op_sel:[0,0,1] op_sel_hi:[1,0,0]
	s_delay_alu instid0(VALU_DEP_1)
	v_mov_b32_e32 v129, v125
	ds_load_2addr_b64 v[124:127], v154 offset0:11 offset1:12
	v_pk_add_f32 v[38:39], v[38:39], v[130:131] neg_lo:[0,1] neg_hi:[0,1]
	v_pk_add_f32 v[40:41], v[40:41], v[128:129] neg_lo:[0,1] neg_hi:[0,1]
	s_wait_dscnt 0x0
	v_pk_mul_f32 v[128:129], v[124:125], v[122:123] op_sel:[0,1]
	s_delay_alu instid0(VALU_DEP_1) | instskip(SKIP_2) | instid1(VALU_DEP_2)
	v_pk_fma_f32 v[130:131], v[124:125], v[120:121], v[128:129] op_sel:[0,0,1] op_sel_hi:[1,1,0] neg_lo:[0,0,1] neg_hi:[0,0,1]
	v_pk_fma_f32 v[124:125], v[124:125], v[120:121], v[128:129] op_sel:[0,0,1] op_sel_hi:[1,0,0]
	v_dual_mul_f32 v128, v127, v123 :: v_dual_mov_b32 v124, v127
	v_dual_mov_b32 v131, v125 :: v_dual_mov_b32 v125, v126
	s_delay_alu instid0(VALU_DEP_2) | instskip(SKIP_1) | instid1(VALU_DEP_3)
	v_pk_fma_f32 v[128:129], v[126:127], v[42:43], v[128:129] op_sel_hi:[1,1,0] neg_lo:[0,0,1] neg_hi:[0,0,1]
	v_mul_f32_e32 v126, v127, v120
	v_pk_add_f32 v[36:37], v[36:37], v[130:131] neg_lo:[0,1] neg_hi:[0,1]
	s_delay_alu instid0(VALU_DEP_2) | instskip(NEXT) | instid1(VALU_DEP_1)
	v_pk_fma_f32 v[124:125], v[124:125], v[42:43], v[126:127] op_sel_hi:[1,1,0]
	v_mov_b32_e32 v129, v125
	ds_load_2addr_b64 v[124:127], v154 offset0:13 offset1:14
	v_pk_add_f32 v[72:73], v[72:73], v[128:129] neg_lo:[0,1] neg_hi:[0,1]
	s_wait_dscnt 0x0
	v_pk_mul_f32 v[128:129], v[124:125], v[122:123] op_sel:[0,1]
	s_delay_alu instid0(VALU_DEP_1) | instskip(SKIP_1) | instid1(VALU_DEP_1)
	v_pk_fma_f32 v[130:131], v[124:125], v[120:121], v[128:129] op_sel:[0,0,1] op_sel_hi:[1,1,0] neg_lo:[0,0,1] neg_hi:[0,0,1]
	v_pk_fma_f32 v[124:125], v[124:125], v[120:121], v[128:129] op_sel:[0,0,1] op_sel_hi:[1,0,0]
	v_mov_b32_e32 v131, v125
	v_pk_mul_f32 v[124:125], v[126:127], v[122:123] op_sel:[0,1]
	s_delay_alu instid0(VALU_DEP_1) | instskip(SKIP_1) | instid1(VALU_DEP_1)
	v_pk_fma_f32 v[128:129], v[126:127], v[120:121], v[124:125] op_sel:[0,0,1] op_sel_hi:[1,1,0] neg_lo:[0,0,1] neg_hi:[0,0,1]
	v_pk_fma_f32 v[124:125], v[126:127], v[120:121], v[124:125] op_sel:[0,0,1] op_sel_hi:[1,0,0]
	v_mov_b32_e32 v129, v125
	ds_load_2addr_b64 v[124:127], v154 offset0:15 offset1:16
	v_pk_add_f32 v[68:69], v[68:69], v[130:131] neg_lo:[0,1] neg_hi:[0,1]
	v_pk_add_f32 v[70:71], v[70:71], v[128:129] neg_lo:[0,1] neg_hi:[0,1]
	s_wait_dscnt 0x0
	v_pk_mul_f32 v[128:129], v[124:125], v[122:123] op_sel:[0,1]
	s_delay_alu instid0(VALU_DEP_1) | instskip(SKIP_1) | instid1(VALU_DEP_1)
	v_pk_fma_f32 v[130:131], v[124:125], v[120:121], v[128:129] op_sel:[0,0,1] op_sel_hi:[1,1,0] neg_lo:[0,0,1] neg_hi:[0,0,1]
	v_pk_fma_f32 v[124:125], v[124:125], v[120:121], v[128:129] op_sel:[0,0,1] op_sel_hi:[1,0,0]
	v_mov_b32_e32 v131, v125
	v_pk_mul_f32 v[124:125], v[126:127], v[122:123] op_sel:[0,1]
	s_delay_alu instid0(VALU_DEP_1) | instskip(SKIP_1) | instid1(VALU_DEP_1)
	v_pk_fma_f32 v[128:129], v[126:127], v[120:121], v[124:125] op_sel:[0,0,1] op_sel_hi:[1,1,0] neg_lo:[0,0,1] neg_hi:[0,0,1]
	v_pk_fma_f32 v[124:125], v[126:127], v[120:121], v[124:125] op_sel:[0,0,1] op_sel_hi:[1,0,0]
	v_mov_b32_e32 v129, v125
	ds_load_2addr_b64 v[124:127], v154 offset0:17 offset1:18
	v_pk_add_f32 v[66:67], v[66:67], v[130:131] neg_lo:[0,1] neg_hi:[0,1]
	v_pk_add_f32 v[92:93], v[92:93], v[128:129] neg_lo:[0,1] neg_hi:[0,1]
	s_wait_dscnt 0x0
	v_dual_mul_f32 v128, v125, v123 :: v_dual_mul_f32 v130, v125, v120
	s_delay_alu instid0(VALU_DEP_1) | instskip(NEXT) | instid1(VALU_DEP_2)
	v_pk_fma_f32 v[128:129], v[124:125], v[42:43], v[128:129] op_sel_hi:[1,1,0] neg_lo:[0,0,1] neg_hi:[0,0,1]
	v_pk_fma_f32 v[124:125], v[124:125], v[42:43], v[130:131] op_sel:[1,0,0] op_sel_hi:[0,1,0]
	s_delay_alu instid0(VALU_DEP_1) | instskip(SKIP_1) | instid1(VALU_DEP_2)
	v_mov_b32_e32 v129, v125
	v_pk_mul_f32 v[124:125], v[126:127], v[122:123] op_sel:[0,1]
	v_pk_add_f32 v[86:87], v[86:87], v[128:129] neg_lo:[0,1] neg_hi:[0,1]
	s_delay_alu instid0(VALU_DEP_2) | instskip(SKIP_1) | instid1(VALU_DEP_1)
	v_pk_fma_f32 v[128:129], v[126:127], v[120:121], v[124:125] op_sel:[0,0,1] op_sel_hi:[1,1,0] neg_lo:[0,0,1] neg_hi:[0,0,1]
	v_pk_fma_f32 v[124:125], v[126:127], v[120:121], v[124:125] op_sel:[0,0,1] op_sel_hi:[1,0,0]
	v_mov_b32_e32 v129, v125
	ds_load_2addr_b64 v[124:127], v154 offset0:19 offset1:20
	v_pk_add_f32 v[90:91], v[90:91], v[128:129] neg_lo:[0,1] neg_hi:[0,1]
	s_wait_dscnt 0x0
	v_pk_mul_f32 v[128:129], v[124:125], v[122:123] op_sel:[0,1]
	s_delay_alu instid0(VALU_DEP_1) | instskip(SKIP_1) | instid1(VALU_DEP_1)
	v_pk_fma_f32 v[130:131], v[124:125], v[120:121], v[128:129] op_sel:[0,0,1] op_sel_hi:[1,1,0] neg_lo:[0,0,1] neg_hi:[0,0,1]
	v_pk_fma_f32 v[124:125], v[124:125], v[120:121], v[128:129] op_sel:[0,0,1] op_sel_hi:[1,0,0]
	v_mov_b32_e32 v131, v125
	v_pk_mul_f32 v[124:125], v[126:127], v[122:123] op_sel:[0,1]
	s_delay_alu instid0(VALU_DEP_2) | instskip(NEXT) | instid1(VALU_DEP_2)
	v_pk_add_f32 v[84:85], v[84:85], v[130:131] neg_lo:[0,1] neg_hi:[0,1]
	v_pk_fma_f32 v[128:129], v[126:127], v[120:121], v[124:125] op_sel:[0,0,1] op_sel_hi:[1,1,0] neg_lo:[0,0,1] neg_hi:[0,0,1]
	v_pk_fma_f32 v[124:125], v[126:127], v[120:121], v[124:125] op_sel:[0,0,1] op_sel_hi:[1,0,0]
	s_delay_alu instid0(VALU_DEP_1) | instskip(SKIP_4) | instid1(VALU_DEP_1)
	v_mov_b32_e32 v129, v125
	ds_load_2addr_b64 v[124:127], v154 offset0:21 offset1:22
	v_pk_add_f32 v[88:89], v[88:89], v[128:129] neg_lo:[0,1] neg_hi:[0,1]
	s_wait_dscnt 0x0
	v_pk_mul_f32 v[128:129], v[124:125], v[122:123] op_sel:[0,1]
	v_pk_fma_f32 v[130:131], v[124:125], v[120:121], v[128:129] op_sel:[0,0,1] op_sel_hi:[1,1,0] neg_lo:[0,0,1] neg_hi:[0,0,1]
	v_pk_fma_f32 v[124:125], v[124:125], v[120:121], v[128:129] op_sel:[0,0,1] op_sel_hi:[1,0,0]
	v_dual_mul_f32 v128, v127, v123 :: v_dual_mov_b32 v124, v127
	s_delay_alu instid0(VALU_DEP_2) | instskip(NEXT) | instid1(VALU_DEP_2)
	v_dual_mov_b32 v131, v125 :: v_dual_mov_b32 v125, v126
	v_pk_fma_f32 v[128:129], v[126:127], v[42:43], v[128:129] op_sel_hi:[1,1,0] neg_lo:[0,0,1] neg_hi:[0,0,1]
	v_mul_f32_e32 v126, v127, v120
	s_delay_alu instid0(VALU_DEP_3) | instskip(NEXT) | instid1(VALU_DEP_2)
	v_pk_add_f32 v[98:99], v[98:99], v[130:131] neg_lo:[0,1] neg_hi:[0,1]
	v_pk_fma_f32 v[124:125], v[124:125], v[42:43], v[126:127] op_sel_hi:[1,1,0]
	s_delay_alu instid0(VALU_DEP_1)
	v_mov_b32_e32 v129, v125
	ds_load_2addr_b64 v[124:127], v154 offset0:23 offset1:24
	v_pk_add_f32 v[96:97], v[96:97], v[128:129] neg_lo:[0,1] neg_hi:[0,1]
	s_wait_dscnt 0x0
	v_pk_mul_f32 v[128:129], v[124:125], v[122:123] op_sel:[0,1]
	v_pk_mul_f32 v[122:123], v[126:127], v[122:123] op_sel:[0,1]
	s_delay_alu instid0(VALU_DEP_2) | instskip(SKIP_1) | instid1(VALU_DEP_1)
	v_pk_fma_f32 v[130:131], v[124:125], v[120:121], v[128:129] op_sel:[0,0,1] op_sel_hi:[1,1,0] neg_lo:[0,0,1] neg_hi:[0,0,1]
	v_pk_fma_f32 v[124:125], v[124:125], v[120:121], v[128:129] op_sel:[0,0,1] op_sel_hi:[1,0,0]
	v_mov_b32_e32 v131, v125
	s_delay_alu instid0(VALU_DEP_4) | instskip(SKIP_1) | instid1(VALU_DEP_1)
	v_pk_fma_f32 v[124:125], v[126:127], v[120:121], v[122:123] op_sel:[0,0,1] op_sel_hi:[1,1,0] neg_lo:[0,0,1] neg_hi:[0,0,1]
	v_pk_fma_f32 v[120:121], v[126:127], v[120:121], v[122:123] op_sel:[0,0,1] op_sel_hi:[1,0,0]
	v_mov_b32_e32 v125, v121
	s_delay_alu instid0(VALU_DEP_4) | instskip(NEXT) | instid1(VALU_DEP_2)
	v_pk_add_f32 v[94:95], v[94:95], v[130:131] neg_lo:[0,1] neg_hi:[0,1]
	v_pk_add_f32 v[100:101], v[100:101], v[124:125] neg_lo:[0,1] neg_hi:[0,1]
.LBB49_82:
	s_or_b32 exec_lo, exec_lo, s1
	s_delay_alu instid0(SALU_CYCLE_1)
	s_mov_b32 s2, exec_lo
	s_wait_dscnt 0x0
	s_barrier_signal -1
	s_barrier_wait -1
	v_cmpx_eq_u32_e32 9, v152
	s_cbranch_execz .LBB49_89
; %bb.83:
	v_dual_mov_b32 v120, v40 :: v_dual_mov_b32 v121, v41
	v_dual_mov_b32 v122, v36 :: v_dual_mov_b32 v123, v37
	v_dual_mov_b32 v124, v72 :: v_dual_mov_b32 v125, v73
	v_dual_mov_b32 v126, v68 :: v_dual_mov_b32 v127, v69
	ds_store_b64 v153, v[38:39]
	ds_store_2addr_b64 v154, v[120:121], v[122:123] offset0:10 offset1:11
	ds_store_2addr_b64 v154, v[124:125], v[126:127] offset0:12 offset1:13
	v_dual_mov_b32 v120, v70 :: v_dual_mov_b32 v121, v71
	v_dual_mov_b32 v122, v66 :: v_dual_mov_b32 v123, v67
	;; [unrolled: 1-line block ×10, first 2 shown]
	ds_store_2addr_b64 v154, v[120:121], v[122:123] offset0:14 offset1:15
	ds_store_2addr_b64 v154, v[124:125], v[126:127] offset0:16 offset1:17
	;; [unrolled: 1-line block ×5, first 2 shown]
	ds_store_b64 v154, v[100:101] offset:192
	ds_load_b64 v[120:121], v153
	s_wait_dscnt 0x0
	v_cmp_neq_f32_e32 vcc_lo, 0, v120
	v_cmp_neq_f32_e64 s1, 0, v121
	s_or_b32 s1, vcc_lo, s1
	s_delay_alu instid0(SALU_CYCLE_1)
	s_and_b32 exec_lo, exec_lo, s1
	s_cbranch_execz .LBB49_89
; %bb.84:
	v_cmp_ngt_f32_e64 s1, |v120|, |v121|
                                        ; implicit-def: $vgpr122_vgpr123
	s_and_saveexec_b32 s4, s1
	s_delay_alu instid0(SALU_CYCLE_1)
	s_xor_b32 s1, exec_lo, s4
	s_cbranch_execz .LBB49_86
; %bb.85:
	v_div_scale_f32 v122, null, v121, v121, v120
	v_div_scale_f32 v125, vcc_lo, v120, v121, v120
	s_delay_alu instid0(VALU_DEP_2) | instskip(SKIP_1) | instid1(TRANS32_DEP_1)
	v_rcp_f32_e32 v123, v122
	v_nop
	v_fma_f32 v124, -v122, v123, 1.0
	s_delay_alu instid0(VALU_DEP_1) | instskip(NEXT) | instid1(VALU_DEP_1)
	v_fmac_f32_e32 v123, v124, v123
	v_mul_f32_e32 v124, v125, v123
	s_delay_alu instid0(VALU_DEP_1) | instskip(NEXT) | instid1(VALU_DEP_1)
	v_fma_f32 v126, -v122, v124, v125
	v_fmac_f32_e32 v124, v126, v123
	s_delay_alu instid0(VALU_DEP_1) | instskip(NEXT) | instid1(VALU_DEP_1)
	v_fma_f32 v122, -v122, v124, v125
	v_div_fmas_f32 v122, v122, v123, v124
	s_delay_alu instid0(VALU_DEP_1) | instskip(NEXT) | instid1(VALU_DEP_1)
	v_div_fixup_f32 v122, v122, v121, v120
	v_fmac_f32_e32 v121, v120, v122
	s_delay_alu instid0(VALU_DEP_1) | instskip(SKIP_1) | instid1(VALU_DEP_2)
	v_div_scale_f32 v120, null, v121, v121, 1.0
	v_div_scale_f32 v125, vcc_lo, 1.0, v121, 1.0
	v_rcp_f32_e32 v123, v120
	v_nop
	s_delay_alu instid0(TRANS32_DEP_1) | instskip(NEXT) | instid1(VALU_DEP_1)
	v_fma_f32 v124, -v120, v123, 1.0
	v_fmac_f32_e32 v123, v124, v123
	s_delay_alu instid0(VALU_DEP_1) | instskip(NEXT) | instid1(VALU_DEP_1)
	v_mul_f32_e32 v124, v125, v123
	v_fma_f32 v126, -v120, v124, v125
	s_delay_alu instid0(VALU_DEP_1) | instskip(NEXT) | instid1(VALU_DEP_1)
	v_fmac_f32_e32 v124, v126, v123
	v_fma_f32 v120, -v120, v124, v125
	s_delay_alu instid0(VALU_DEP_1) | instskip(NEXT) | instid1(VALU_DEP_1)
	v_div_fmas_f32 v120, v120, v123, v124
	v_div_fixup_f32 v120, v120, v121, 1.0
	s_delay_alu instid0(VALU_DEP_1)
	v_mul_f32_e32 v122, v122, v120
	v_xor_b32_e32 v123, 0x80000000, v120
                                        ; implicit-def: $vgpr120_vgpr121
.LBB49_86:
	s_and_not1_saveexec_b32 s1, s1
	s_cbranch_execz .LBB49_88
; %bb.87:
	v_div_scale_f32 v122, null, v120, v120, v121
	v_div_scale_f32 v125, vcc_lo, v121, v120, v121
	s_delay_alu instid0(VALU_DEP_2) | instskip(SKIP_1) | instid1(TRANS32_DEP_1)
	v_rcp_f32_e32 v123, v122
	v_nop
	v_fma_f32 v124, -v122, v123, 1.0
	s_delay_alu instid0(VALU_DEP_1) | instskip(NEXT) | instid1(VALU_DEP_1)
	v_fmac_f32_e32 v123, v124, v123
	v_mul_f32_e32 v124, v125, v123
	s_delay_alu instid0(VALU_DEP_1) | instskip(NEXT) | instid1(VALU_DEP_1)
	v_fma_f32 v126, -v122, v124, v125
	v_fmac_f32_e32 v124, v126, v123
	s_delay_alu instid0(VALU_DEP_1) | instskip(NEXT) | instid1(VALU_DEP_1)
	v_fma_f32 v122, -v122, v124, v125
	v_div_fmas_f32 v122, v122, v123, v124
	s_delay_alu instid0(VALU_DEP_1) | instskip(NEXT) | instid1(VALU_DEP_1)
	v_div_fixup_f32 v123, v122, v120, v121
	v_fmac_f32_e32 v120, v121, v123
	s_delay_alu instid0(VALU_DEP_1) | instskip(NEXT) | instid1(VALU_DEP_1)
	v_div_scale_f32 v121, null, v120, v120, 1.0
	v_rcp_f32_e32 v122, v121
	v_nop
	s_delay_alu instid0(TRANS32_DEP_1) | instskip(NEXT) | instid1(VALU_DEP_1)
	v_fma_f32 v124, -v121, v122, 1.0
	v_fmac_f32_e32 v122, v124, v122
	v_div_scale_f32 v124, vcc_lo, 1.0, v120, 1.0
	s_delay_alu instid0(VALU_DEP_1) | instskip(NEXT) | instid1(VALU_DEP_1)
	v_mul_f32_e32 v125, v124, v122
	v_fma_f32 v126, -v121, v125, v124
	s_delay_alu instid0(VALU_DEP_1) | instskip(NEXT) | instid1(VALU_DEP_1)
	v_fmac_f32_e32 v125, v126, v122
	v_fma_f32 v121, -v121, v125, v124
	s_delay_alu instid0(VALU_DEP_1) | instskip(NEXT) | instid1(VALU_DEP_1)
	v_div_fmas_f32 v121, v121, v122, v125
	v_div_fixup_f32 v122, v121, v120, 1.0
	s_delay_alu instid0(VALU_DEP_1)
	v_mul_f32_e64 v123, v123, -v122
.LBB49_88:
	s_or_b32 exec_lo, exec_lo, s1
	ds_store_b64 v153, v[122:123]
.LBB49_89:
	s_or_b32 exec_lo, exec_lo, s2
	s_wait_dscnt 0x0
	s_barrier_signal -1
	s_barrier_wait -1
	ds_load_b64 v[120:121], v153
	s_mov_b32 s1, exec_lo
	v_cmpx_lt_u32_e32 9, v152
	s_cbranch_execz .LBB49_91
; %bb.90:
	ds_load_2addr_b64 v[126:129], v154 offset0:10 offset1:11
	s_wait_dscnt 0x1
	v_pk_mul_f32 v[124:125], v[120:121], v[38:39] op_sel:[1,1] op_sel_hi:[0,1]
	s_delay_alu instid0(VALU_DEP_1) | instskip(SKIP_1) | instid1(VALU_DEP_1)
	v_pk_fma_f32 v[122:123], v[120:121], v[38:39], v[124:125] op_sel_hi:[1,0,1] neg_lo:[0,0,1] neg_hi:[0,0,1]
	v_pk_fma_f32 v[124:125], v[120:121], v[38:39], v[124:125] op_sel_hi:[1,0,1]
	v_dual_mov_b32 v38, v122 :: v_dual_mov_b32 v39, v125
	s_wait_dscnt 0x0
	s_delay_alu instid0(VALU_DEP_2) | instskip(NEXT) | instid1(VALU_DEP_1)
	v_pk_mul_f32 v[130:131], v[126:127], v[124:125] op_sel:[0,1]
	v_pk_fma_f32 v[132:133], v[126:127], v[122:123], v[130:131] op_sel:[0,0,1] op_sel_hi:[1,1,0] neg_lo:[0,0,1] neg_hi:[0,0,1]
	v_pk_fma_f32 v[126:127], v[126:127], v[122:123], v[130:131] op_sel:[0,0,1] op_sel_hi:[1,0,0]
	s_delay_alu instid0(VALU_DEP_1) | instskip(SKIP_1) | instid1(VALU_DEP_1)
	v_mov_b32_e32 v133, v127
	v_pk_mul_f32 v[126:127], v[128:129], v[124:125] op_sel:[0,1]
	v_pk_fma_f32 v[130:131], v[128:129], v[122:123], v[126:127] op_sel:[0,0,1] op_sel_hi:[1,1,0] neg_lo:[0,0,1] neg_hi:[0,0,1]
	v_pk_fma_f32 v[126:127], v[128:129], v[122:123], v[126:127] op_sel:[0,0,1] op_sel_hi:[1,0,0]
	s_delay_alu instid0(VALU_DEP_1)
	v_mov_b32_e32 v131, v127
	ds_load_2addr_b64 v[126:129], v154 offset0:12 offset1:13
	v_pk_add_f32 v[40:41], v[40:41], v[132:133] neg_lo:[0,1] neg_hi:[0,1]
	v_pk_add_f32 v[36:37], v[36:37], v[130:131] neg_lo:[0,1] neg_hi:[0,1]
	s_wait_dscnt 0x0
	v_pk_mul_f32 v[130:131], v[126:127], v[124:125] op_sel:[0,1]
	s_delay_alu instid0(VALU_DEP_1) | instskip(SKIP_2) | instid1(VALU_DEP_2)
	v_pk_fma_f32 v[132:133], v[126:127], v[122:123], v[130:131] op_sel:[0,0,1] op_sel_hi:[1,1,0] neg_lo:[0,0,1] neg_hi:[0,0,1]
	v_pk_fma_f32 v[126:127], v[126:127], v[122:123], v[130:131] op_sel:[0,0,1] op_sel_hi:[1,0,0]
	v_dual_mul_f32 v130, v129, v125 :: v_dual_mov_b32 v126, v129
	v_dual_mov_b32 v133, v127 :: v_dual_mov_b32 v127, v128
	s_delay_alu instid0(VALU_DEP_2) | instskip(SKIP_1) | instid1(VALU_DEP_3)
	v_pk_fma_f32 v[130:131], v[128:129], v[38:39], v[130:131] op_sel_hi:[1,1,0] neg_lo:[0,0,1] neg_hi:[0,0,1]
	v_mul_f32_e32 v128, v129, v122
	v_pk_add_f32 v[72:73], v[72:73], v[132:133] neg_lo:[0,1] neg_hi:[0,1]
	s_delay_alu instid0(VALU_DEP_2) | instskip(NEXT) | instid1(VALU_DEP_1)
	v_pk_fma_f32 v[126:127], v[126:127], v[38:39], v[128:129] op_sel_hi:[1,1,0]
	v_mov_b32_e32 v131, v127
	ds_load_2addr_b64 v[126:129], v154 offset0:14 offset1:15
	v_pk_add_f32 v[68:69], v[68:69], v[130:131] neg_lo:[0,1] neg_hi:[0,1]
	s_wait_dscnt 0x0
	v_pk_mul_f32 v[130:131], v[126:127], v[124:125] op_sel:[0,1]
	s_delay_alu instid0(VALU_DEP_1) | instskip(SKIP_1) | instid1(VALU_DEP_1)
	v_pk_fma_f32 v[132:133], v[126:127], v[122:123], v[130:131] op_sel:[0,0,1] op_sel_hi:[1,1,0] neg_lo:[0,0,1] neg_hi:[0,0,1]
	v_pk_fma_f32 v[126:127], v[126:127], v[122:123], v[130:131] op_sel:[0,0,1] op_sel_hi:[1,0,0]
	v_mov_b32_e32 v133, v127
	v_pk_mul_f32 v[126:127], v[128:129], v[124:125] op_sel:[0,1]
	s_delay_alu instid0(VALU_DEP_1) | instskip(SKIP_1) | instid1(VALU_DEP_1)
	v_pk_fma_f32 v[130:131], v[128:129], v[122:123], v[126:127] op_sel:[0,0,1] op_sel_hi:[1,1,0] neg_lo:[0,0,1] neg_hi:[0,0,1]
	v_pk_fma_f32 v[126:127], v[128:129], v[122:123], v[126:127] op_sel:[0,0,1] op_sel_hi:[1,0,0]
	v_mov_b32_e32 v131, v127
	ds_load_2addr_b64 v[126:129], v154 offset0:16 offset1:17
	v_pk_add_f32 v[70:71], v[70:71], v[132:133] neg_lo:[0,1] neg_hi:[0,1]
	v_pk_add_f32 v[66:67], v[66:67], v[130:131] neg_lo:[0,1] neg_hi:[0,1]
	s_wait_dscnt 0x0
	v_pk_mul_f32 v[130:131], v[126:127], v[124:125] op_sel:[0,1]
	s_delay_alu instid0(VALU_DEP_1) | instskip(SKIP_1) | instid1(VALU_DEP_1)
	v_pk_fma_f32 v[132:133], v[126:127], v[122:123], v[130:131] op_sel:[0,0,1] op_sel_hi:[1,1,0] neg_lo:[0,0,1] neg_hi:[0,0,1]
	v_pk_fma_f32 v[126:127], v[126:127], v[122:123], v[130:131] op_sel:[0,0,1] op_sel_hi:[1,0,0]
	v_mov_b32_e32 v133, v127
	v_pk_mul_f32 v[126:127], v[128:129], v[124:125] op_sel:[0,1]
	s_delay_alu instid0(VALU_DEP_1) | instskip(SKIP_1) | instid1(VALU_DEP_1)
	v_pk_fma_f32 v[130:131], v[128:129], v[122:123], v[126:127] op_sel:[0,0,1] op_sel_hi:[1,1,0] neg_lo:[0,0,1] neg_hi:[0,0,1]
	v_pk_fma_f32 v[126:127], v[128:129], v[122:123], v[126:127] op_sel:[0,0,1] op_sel_hi:[1,0,0]
	v_mov_b32_e32 v131, v127
	ds_load_2addr_b64 v[126:129], v154 offset0:18 offset1:19
	v_pk_add_f32 v[92:93], v[92:93], v[132:133] neg_lo:[0,1] neg_hi:[0,1]
	v_pk_add_f32 v[86:87], v[86:87], v[130:131] neg_lo:[0,1] neg_hi:[0,1]
	s_wait_dscnt 0x0
	v_dual_mul_f32 v130, v127, v125 :: v_dual_mul_f32 v132, v127, v122
	s_delay_alu instid0(VALU_DEP_1) | instskip(NEXT) | instid1(VALU_DEP_2)
	v_pk_fma_f32 v[130:131], v[126:127], v[38:39], v[130:131] op_sel_hi:[1,1,0] neg_lo:[0,0,1] neg_hi:[0,0,1]
	v_pk_fma_f32 v[126:127], v[126:127], v[38:39], v[132:133] op_sel:[1,0,0] op_sel_hi:[0,1,0]
	s_delay_alu instid0(VALU_DEP_1) | instskip(SKIP_1) | instid1(VALU_DEP_2)
	v_mov_b32_e32 v131, v127
	v_pk_mul_f32 v[126:127], v[128:129], v[124:125] op_sel:[0,1]
	v_pk_add_f32 v[90:91], v[90:91], v[130:131] neg_lo:[0,1] neg_hi:[0,1]
	s_delay_alu instid0(VALU_DEP_2) | instskip(SKIP_1) | instid1(VALU_DEP_1)
	v_pk_fma_f32 v[130:131], v[128:129], v[122:123], v[126:127] op_sel:[0,0,1] op_sel_hi:[1,1,0] neg_lo:[0,0,1] neg_hi:[0,0,1]
	v_pk_fma_f32 v[126:127], v[128:129], v[122:123], v[126:127] op_sel:[0,0,1] op_sel_hi:[1,0,0]
	v_mov_b32_e32 v131, v127
	ds_load_2addr_b64 v[126:129], v154 offset0:20 offset1:21
	v_pk_add_f32 v[84:85], v[84:85], v[130:131] neg_lo:[0,1] neg_hi:[0,1]
	s_wait_dscnt 0x0
	v_pk_mul_f32 v[130:131], v[126:127], v[124:125] op_sel:[0,1]
	s_delay_alu instid0(VALU_DEP_1) | instskip(SKIP_1) | instid1(VALU_DEP_1)
	v_pk_fma_f32 v[132:133], v[126:127], v[122:123], v[130:131] op_sel:[0,0,1] op_sel_hi:[1,1,0] neg_lo:[0,0,1] neg_hi:[0,0,1]
	v_pk_fma_f32 v[126:127], v[126:127], v[122:123], v[130:131] op_sel:[0,0,1] op_sel_hi:[1,0,0]
	v_mov_b32_e32 v133, v127
	v_pk_mul_f32 v[126:127], v[128:129], v[124:125] op_sel:[0,1]
	s_delay_alu instid0(VALU_DEP_2) | instskip(NEXT) | instid1(VALU_DEP_2)
	v_pk_add_f32 v[88:89], v[88:89], v[132:133] neg_lo:[0,1] neg_hi:[0,1]
	v_pk_fma_f32 v[130:131], v[128:129], v[122:123], v[126:127] op_sel:[0,0,1] op_sel_hi:[1,1,0] neg_lo:[0,0,1] neg_hi:[0,0,1]
	v_pk_fma_f32 v[126:127], v[128:129], v[122:123], v[126:127] op_sel:[0,0,1] op_sel_hi:[1,0,0]
	s_delay_alu instid0(VALU_DEP_1) | instskip(SKIP_4) | instid1(VALU_DEP_1)
	v_mov_b32_e32 v131, v127
	ds_load_2addr_b64 v[126:129], v154 offset0:22 offset1:23
	v_pk_add_f32 v[98:99], v[98:99], v[130:131] neg_lo:[0,1] neg_hi:[0,1]
	s_wait_dscnt 0x0
	v_pk_mul_f32 v[130:131], v[126:127], v[124:125] op_sel:[0,1]
	v_pk_fma_f32 v[132:133], v[126:127], v[122:123], v[130:131] op_sel:[0,0,1] op_sel_hi:[1,1,0] neg_lo:[0,0,1] neg_hi:[0,0,1]
	v_pk_fma_f32 v[126:127], v[126:127], v[122:123], v[130:131] op_sel:[0,0,1] op_sel_hi:[1,0,0]
	v_dual_mul_f32 v130, v129, v125 :: v_dual_mov_b32 v126, v129
	s_delay_alu instid0(VALU_DEP_2) | instskip(NEXT) | instid1(VALU_DEP_2)
	v_dual_mov_b32 v133, v127 :: v_dual_mov_b32 v127, v128
	v_pk_fma_f32 v[130:131], v[128:129], v[38:39], v[130:131] op_sel_hi:[1,1,0] neg_lo:[0,0,1] neg_hi:[0,0,1]
	v_mul_f32_e32 v128, v129, v122
	s_delay_alu instid0(VALU_DEP_3) | instskip(NEXT) | instid1(VALU_DEP_2)
	v_pk_add_f32 v[96:97], v[96:97], v[132:133] neg_lo:[0,1] neg_hi:[0,1]
	v_pk_fma_f32 v[126:127], v[126:127], v[38:39], v[128:129] op_sel_hi:[1,1,0]
	s_delay_alu instid0(VALU_DEP_1) | instskip(SKIP_4) | instid1(VALU_DEP_1)
	v_mov_b32_e32 v131, v127
	ds_load_b64 v[126:127], v154 offset:192
	v_pk_add_f32 v[94:95], v[94:95], v[130:131] neg_lo:[0,1] neg_hi:[0,1]
	s_wait_dscnt 0x0
	v_pk_mul_f32 v[124:125], v[126:127], v[124:125] op_sel:[0,1]
	v_pk_fma_f32 v[128:129], v[126:127], v[122:123], v[124:125] op_sel:[0,0,1] op_sel_hi:[1,1,0] neg_lo:[0,0,1] neg_hi:[0,0,1]
	v_pk_fma_f32 v[122:123], v[126:127], v[122:123], v[124:125] op_sel:[0,0,1] op_sel_hi:[1,0,0]
	s_delay_alu instid0(VALU_DEP_1) | instskip(NEXT) | instid1(VALU_DEP_1)
	v_mov_b32_e32 v129, v123
	v_pk_add_f32 v[100:101], v[100:101], v[128:129] neg_lo:[0,1] neg_hi:[0,1]
.LBB49_91:
	s_or_b32 exec_lo, exec_lo, s1
	s_delay_alu instid0(SALU_CYCLE_1)
	s_mov_b32 s2, exec_lo
	s_wait_dscnt 0x0
	s_barrier_signal -1
	s_barrier_wait -1
	v_cmpx_eq_u32_e32 10, v152
	s_cbranch_execz .LBB49_98
; %bb.92:
	ds_store_b64 v153, v[40:41]
	ds_store_2addr_b64 v154, v[36:37], v[72:73] offset0:11 offset1:12
	ds_store_2addr_b64 v154, v[68:69], v[70:71] offset0:13 offset1:14
	;; [unrolled: 1-line block ×7, first 2 shown]
	ds_load_b64 v[122:123], v153
	s_wait_dscnt 0x0
	v_cmp_neq_f32_e32 vcc_lo, 0, v122
	v_cmp_neq_f32_e64 s1, 0, v123
	s_or_b32 s1, vcc_lo, s1
	s_delay_alu instid0(SALU_CYCLE_1)
	s_and_b32 exec_lo, exec_lo, s1
	s_cbranch_execz .LBB49_98
; %bb.93:
	v_cmp_ngt_f32_e64 s1, |v122|, |v123|
                                        ; implicit-def: $vgpr124_vgpr125
	s_and_saveexec_b32 s4, s1
	s_delay_alu instid0(SALU_CYCLE_1)
	s_xor_b32 s1, exec_lo, s4
	s_cbranch_execz .LBB49_95
; %bb.94:
	v_div_scale_f32 v124, null, v123, v123, v122
	v_div_scale_f32 v127, vcc_lo, v122, v123, v122
	s_delay_alu instid0(VALU_DEP_2) | instskip(SKIP_1) | instid1(TRANS32_DEP_1)
	v_rcp_f32_e32 v125, v124
	v_nop
	v_fma_f32 v126, -v124, v125, 1.0
	s_delay_alu instid0(VALU_DEP_1) | instskip(NEXT) | instid1(VALU_DEP_1)
	v_fmac_f32_e32 v125, v126, v125
	v_mul_f32_e32 v126, v127, v125
	s_delay_alu instid0(VALU_DEP_1) | instskip(NEXT) | instid1(VALU_DEP_1)
	v_fma_f32 v128, -v124, v126, v127
	v_fmac_f32_e32 v126, v128, v125
	s_delay_alu instid0(VALU_DEP_1) | instskip(NEXT) | instid1(VALU_DEP_1)
	v_fma_f32 v124, -v124, v126, v127
	v_div_fmas_f32 v124, v124, v125, v126
	s_delay_alu instid0(VALU_DEP_1) | instskip(NEXT) | instid1(VALU_DEP_1)
	v_div_fixup_f32 v124, v124, v123, v122
	v_fmac_f32_e32 v123, v122, v124
	s_delay_alu instid0(VALU_DEP_1) | instskip(SKIP_1) | instid1(VALU_DEP_2)
	v_div_scale_f32 v122, null, v123, v123, 1.0
	v_div_scale_f32 v127, vcc_lo, 1.0, v123, 1.0
	v_rcp_f32_e32 v125, v122
	v_nop
	s_delay_alu instid0(TRANS32_DEP_1) | instskip(NEXT) | instid1(VALU_DEP_1)
	v_fma_f32 v126, -v122, v125, 1.0
	v_fmac_f32_e32 v125, v126, v125
	s_delay_alu instid0(VALU_DEP_1) | instskip(NEXT) | instid1(VALU_DEP_1)
	v_mul_f32_e32 v126, v127, v125
	v_fma_f32 v128, -v122, v126, v127
	s_delay_alu instid0(VALU_DEP_1) | instskip(NEXT) | instid1(VALU_DEP_1)
	v_fmac_f32_e32 v126, v128, v125
	v_fma_f32 v122, -v122, v126, v127
	s_delay_alu instid0(VALU_DEP_1) | instskip(NEXT) | instid1(VALU_DEP_1)
	v_div_fmas_f32 v122, v122, v125, v126
	v_div_fixup_f32 v122, v122, v123, 1.0
	s_delay_alu instid0(VALU_DEP_1)
	v_mul_f32_e32 v124, v124, v122
	v_xor_b32_e32 v125, 0x80000000, v122
                                        ; implicit-def: $vgpr122_vgpr123
.LBB49_95:
	s_and_not1_saveexec_b32 s1, s1
	s_cbranch_execz .LBB49_97
; %bb.96:
	v_div_scale_f32 v124, null, v122, v122, v123
	v_div_scale_f32 v127, vcc_lo, v123, v122, v123
	s_delay_alu instid0(VALU_DEP_2) | instskip(SKIP_1) | instid1(TRANS32_DEP_1)
	v_rcp_f32_e32 v125, v124
	v_nop
	v_fma_f32 v126, -v124, v125, 1.0
	s_delay_alu instid0(VALU_DEP_1) | instskip(NEXT) | instid1(VALU_DEP_1)
	v_fmac_f32_e32 v125, v126, v125
	v_mul_f32_e32 v126, v127, v125
	s_delay_alu instid0(VALU_DEP_1) | instskip(NEXT) | instid1(VALU_DEP_1)
	v_fma_f32 v128, -v124, v126, v127
	v_fmac_f32_e32 v126, v128, v125
	s_delay_alu instid0(VALU_DEP_1) | instskip(NEXT) | instid1(VALU_DEP_1)
	v_fma_f32 v124, -v124, v126, v127
	v_div_fmas_f32 v124, v124, v125, v126
	s_delay_alu instid0(VALU_DEP_1) | instskip(NEXT) | instid1(VALU_DEP_1)
	v_div_fixup_f32 v125, v124, v122, v123
	v_fmac_f32_e32 v122, v123, v125
	s_delay_alu instid0(VALU_DEP_1) | instskip(NEXT) | instid1(VALU_DEP_1)
	v_div_scale_f32 v123, null, v122, v122, 1.0
	v_rcp_f32_e32 v124, v123
	v_nop
	s_delay_alu instid0(TRANS32_DEP_1) | instskip(NEXT) | instid1(VALU_DEP_1)
	v_fma_f32 v126, -v123, v124, 1.0
	v_fmac_f32_e32 v124, v126, v124
	v_div_scale_f32 v126, vcc_lo, 1.0, v122, 1.0
	s_delay_alu instid0(VALU_DEP_1) | instskip(NEXT) | instid1(VALU_DEP_1)
	v_mul_f32_e32 v127, v126, v124
	v_fma_f32 v128, -v123, v127, v126
	s_delay_alu instid0(VALU_DEP_1) | instskip(NEXT) | instid1(VALU_DEP_1)
	v_fmac_f32_e32 v127, v128, v124
	v_fma_f32 v123, -v123, v127, v126
	s_delay_alu instid0(VALU_DEP_1) | instskip(NEXT) | instid1(VALU_DEP_1)
	v_div_fmas_f32 v123, v123, v124, v127
	v_div_fixup_f32 v124, v123, v122, 1.0
	s_delay_alu instid0(VALU_DEP_1)
	v_mul_f32_e64 v125, v125, -v124
.LBB49_97:
	s_or_b32 exec_lo, exec_lo, s1
	ds_store_b64 v153, v[124:125]
.LBB49_98:
	s_or_b32 exec_lo, exec_lo, s2
	s_wait_dscnt 0x0
	s_barrier_signal -1
	s_barrier_wait -1
	ds_load_b64 v[122:123], v153
	s_mov_b32 s1, exec_lo
	v_cmpx_lt_u32_e32 10, v152
	s_cbranch_execz .LBB49_100
; %bb.99:
	s_wait_dscnt 0x0
	v_pk_mul_f32 v[124:125], v[122:123], v[40:41] op_sel:[1,1] op_sel_hi:[0,1]
	s_delay_alu instid0(VALU_DEP_1)
	v_pk_fma_f32 v[128:129], v[122:123], v[40:41], v[124:125] op_sel_hi:[1,0,1] neg_lo:[0,0,1] neg_hi:[0,0,1]
	v_pk_fma_f32 v[130:131], v[122:123], v[40:41], v[124:125] op_sel_hi:[1,0,1]
	ds_load_2addr_b64 v[124:127], v154 offset0:11 offset1:12
	v_dual_mov_b32 v40, v128 :: v_dual_mov_b32 v41, v131
	s_wait_dscnt 0x0
	v_pk_mul_f32 v[132:133], v[124:125], v[130:131] op_sel:[0,1]
	s_delay_alu instid0(VALU_DEP_1) | instskip(SKIP_1) | instid1(VALU_DEP_1)
	v_pk_fma_f32 v[134:135], v[124:125], v[128:129], v[132:133] op_sel:[0,0,1] op_sel_hi:[1,1,0] neg_lo:[0,0,1] neg_hi:[0,0,1]
	v_pk_fma_f32 v[124:125], v[124:125], v[128:129], v[132:133] op_sel:[0,0,1] op_sel_hi:[1,0,0]
	v_mov_b32_e32 v135, v125
	v_pk_mul_f32 v[124:125], v[126:127], v[130:131] op_sel:[0,1]
	s_delay_alu instid0(VALU_DEP_1) | instskip(SKIP_1) | instid1(VALU_DEP_1)
	v_pk_fma_f32 v[132:133], v[126:127], v[128:129], v[124:125] op_sel:[0,0,1] op_sel_hi:[1,1,0] neg_lo:[0,0,1] neg_hi:[0,0,1]
	v_pk_fma_f32 v[124:125], v[126:127], v[128:129], v[124:125] op_sel:[0,0,1] op_sel_hi:[1,0,0]
	v_mov_b32_e32 v133, v125
	ds_load_2addr_b64 v[124:127], v154 offset0:13 offset1:14
	v_pk_add_f32 v[36:37], v[36:37], v[134:135] neg_lo:[0,1] neg_hi:[0,1]
	v_pk_add_f32 v[72:73], v[72:73], v[132:133] neg_lo:[0,1] neg_hi:[0,1]
	s_wait_dscnt 0x0
	v_pk_mul_f32 v[132:133], v[124:125], v[130:131] op_sel:[0,1]
	s_delay_alu instid0(VALU_DEP_1) | instskip(SKIP_2) | instid1(VALU_DEP_2)
	v_pk_fma_f32 v[134:135], v[124:125], v[128:129], v[132:133] op_sel:[0,0,1] op_sel_hi:[1,1,0] neg_lo:[0,0,1] neg_hi:[0,0,1]
	v_pk_fma_f32 v[124:125], v[124:125], v[128:129], v[132:133] op_sel:[0,0,1] op_sel_hi:[1,0,0]
	v_dual_mul_f32 v132, v127, v131 :: v_dual_mov_b32 v124, v127
	v_dual_mov_b32 v135, v125 :: v_dual_mov_b32 v125, v126
	s_delay_alu instid0(VALU_DEP_2) | instskip(SKIP_1) | instid1(VALU_DEP_3)
	v_pk_fma_f32 v[132:133], v[126:127], v[40:41], v[132:133] op_sel_hi:[1,1,0] neg_lo:[0,0,1] neg_hi:[0,0,1]
	v_mul_f32_e32 v126, v127, v128
	v_pk_add_f32 v[68:69], v[68:69], v[134:135] neg_lo:[0,1] neg_hi:[0,1]
	s_delay_alu instid0(VALU_DEP_2) | instskip(NEXT) | instid1(VALU_DEP_1)
	v_pk_fma_f32 v[124:125], v[124:125], v[40:41], v[126:127] op_sel_hi:[1,1,0]
	v_mov_b32_e32 v133, v125
	ds_load_2addr_b64 v[124:127], v154 offset0:15 offset1:16
	v_pk_add_f32 v[70:71], v[70:71], v[132:133] neg_lo:[0,1] neg_hi:[0,1]
	s_wait_dscnt 0x0
	v_pk_mul_f32 v[132:133], v[124:125], v[130:131] op_sel:[0,1]
	s_delay_alu instid0(VALU_DEP_1) | instskip(SKIP_1) | instid1(VALU_DEP_1)
	v_pk_fma_f32 v[134:135], v[124:125], v[128:129], v[132:133] op_sel:[0,0,1] op_sel_hi:[1,1,0] neg_lo:[0,0,1] neg_hi:[0,0,1]
	v_pk_fma_f32 v[124:125], v[124:125], v[128:129], v[132:133] op_sel:[0,0,1] op_sel_hi:[1,0,0]
	v_mov_b32_e32 v135, v125
	v_pk_mul_f32 v[124:125], v[126:127], v[130:131] op_sel:[0,1]
	s_delay_alu instid0(VALU_DEP_1) | instskip(SKIP_1) | instid1(VALU_DEP_1)
	v_pk_fma_f32 v[132:133], v[126:127], v[128:129], v[124:125] op_sel:[0,0,1] op_sel_hi:[1,1,0] neg_lo:[0,0,1] neg_hi:[0,0,1]
	v_pk_fma_f32 v[124:125], v[126:127], v[128:129], v[124:125] op_sel:[0,0,1] op_sel_hi:[1,0,0]
	v_mov_b32_e32 v133, v125
	ds_load_2addr_b64 v[124:127], v154 offset0:17 offset1:18
	v_pk_add_f32 v[66:67], v[66:67], v[134:135] neg_lo:[0,1] neg_hi:[0,1]
	v_pk_add_f32 v[92:93], v[92:93], v[132:133] neg_lo:[0,1] neg_hi:[0,1]
	s_wait_dscnt 0x0
	v_pk_mul_f32 v[132:133], v[124:125], v[130:131] op_sel:[0,1]
	s_delay_alu instid0(VALU_DEP_1) | instskip(SKIP_1) | instid1(VALU_DEP_1)
	v_pk_fma_f32 v[134:135], v[124:125], v[128:129], v[132:133] op_sel:[0,0,1] op_sel_hi:[1,1,0] neg_lo:[0,0,1] neg_hi:[0,0,1]
	v_pk_fma_f32 v[124:125], v[124:125], v[128:129], v[132:133] op_sel:[0,0,1] op_sel_hi:[1,0,0]
	v_mov_b32_e32 v135, v125
	v_pk_mul_f32 v[124:125], v[126:127], v[130:131] op_sel:[0,1]
	s_delay_alu instid0(VALU_DEP_1) | instskip(SKIP_1) | instid1(VALU_DEP_1)
	v_pk_fma_f32 v[132:133], v[126:127], v[128:129], v[124:125] op_sel:[0,0,1] op_sel_hi:[1,1,0] neg_lo:[0,0,1] neg_hi:[0,0,1]
	v_pk_fma_f32 v[124:125], v[126:127], v[128:129], v[124:125] op_sel:[0,0,1] op_sel_hi:[1,0,0]
	v_mov_b32_e32 v133, v125
	ds_load_2addr_b64 v[124:127], v154 offset0:19 offset1:20
	v_pk_add_f32 v[86:87], v[86:87], v[134:135] neg_lo:[0,1] neg_hi:[0,1]
	v_pk_add_f32 v[90:91], v[90:91], v[132:133] neg_lo:[0,1] neg_hi:[0,1]
	s_wait_dscnt 0x0
	v_dual_mul_f32 v132, v125, v131 :: v_dual_mul_f32 v134, v125, v128
	s_delay_alu instid0(VALU_DEP_1) | instskip(NEXT) | instid1(VALU_DEP_2)
	v_pk_fma_f32 v[132:133], v[124:125], v[40:41], v[132:133] op_sel_hi:[1,1,0] neg_lo:[0,0,1] neg_hi:[0,0,1]
	v_pk_fma_f32 v[124:125], v[124:125], v[40:41], v[134:135] op_sel:[1,0,0] op_sel_hi:[0,1,0]
	s_delay_alu instid0(VALU_DEP_1) | instskip(SKIP_1) | instid1(VALU_DEP_2)
	v_mov_b32_e32 v133, v125
	v_pk_mul_f32 v[124:125], v[126:127], v[130:131] op_sel:[0,1]
	v_pk_add_f32 v[84:85], v[84:85], v[132:133] neg_lo:[0,1] neg_hi:[0,1]
	s_delay_alu instid0(VALU_DEP_2) | instskip(SKIP_1) | instid1(VALU_DEP_1)
	v_pk_fma_f32 v[132:133], v[126:127], v[128:129], v[124:125] op_sel:[0,0,1] op_sel_hi:[1,1,0] neg_lo:[0,0,1] neg_hi:[0,0,1]
	v_pk_fma_f32 v[124:125], v[126:127], v[128:129], v[124:125] op_sel:[0,0,1] op_sel_hi:[1,0,0]
	v_mov_b32_e32 v133, v125
	ds_load_2addr_b64 v[124:127], v154 offset0:21 offset1:22
	v_pk_add_f32 v[88:89], v[88:89], v[132:133] neg_lo:[0,1] neg_hi:[0,1]
	s_wait_dscnt 0x0
	v_pk_mul_f32 v[132:133], v[124:125], v[130:131] op_sel:[0,1]
	s_delay_alu instid0(VALU_DEP_1) | instskip(SKIP_1) | instid1(VALU_DEP_1)
	v_pk_fma_f32 v[134:135], v[124:125], v[128:129], v[132:133] op_sel:[0,0,1] op_sel_hi:[1,1,0] neg_lo:[0,0,1] neg_hi:[0,0,1]
	v_pk_fma_f32 v[124:125], v[124:125], v[128:129], v[132:133] op_sel:[0,0,1] op_sel_hi:[1,0,0]
	v_mov_b32_e32 v135, v125
	v_pk_mul_f32 v[124:125], v[126:127], v[130:131] op_sel:[0,1]
	s_delay_alu instid0(VALU_DEP_2) | instskip(NEXT) | instid1(VALU_DEP_2)
	v_pk_add_f32 v[98:99], v[98:99], v[134:135] neg_lo:[0,1] neg_hi:[0,1]
	v_pk_fma_f32 v[132:133], v[126:127], v[128:129], v[124:125] op_sel:[0,0,1] op_sel_hi:[1,1,0] neg_lo:[0,0,1] neg_hi:[0,0,1]
	v_pk_fma_f32 v[124:125], v[126:127], v[128:129], v[124:125] op_sel:[0,0,1] op_sel_hi:[1,0,0]
	s_delay_alu instid0(VALU_DEP_1) | instskip(SKIP_4) | instid1(VALU_DEP_1)
	v_mov_b32_e32 v133, v125
	ds_load_2addr_b64 v[124:127], v154 offset0:23 offset1:24
	v_pk_add_f32 v[96:97], v[96:97], v[132:133] neg_lo:[0,1] neg_hi:[0,1]
	s_wait_dscnt 0x0
	v_pk_mul_f32 v[132:133], v[124:125], v[130:131] op_sel:[0,1]
	v_pk_fma_f32 v[134:135], v[124:125], v[128:129], v[132:133] op_sel:[0,0,1] op_sel_hi:[1,1,0] neg_lo:[0,0,1] neg_hi:[0,0,1]
	v_pk_fma_f32 v[124:125], v[124:125], v[128:129], v[132:133] op_sel:[0,0,1] op_sel_hi:[1,0,0]
	s_delay_alu instid0(VALU_DEP_1) | instskip(SKIP_1) | instid1(VALU_DEP_2)
	v_mov_b32_e32 v135, v125
	v_pk_mul_f32 v[124:125], v[126:127], v[130:131] op_sel:[0,1]
	v_pk_add_f32 v[94:95], v[94:95], v[134:135] neg_lo:[0,1] neg_hi:[0,1]
	s_delay_alu instid0(VALU_DEP_2) | instskip(SKIP_1) | instid1(VALU_DEP_1)
	v_pk_fma_f32 v[130:131], v[126:127], v[128:129], v[124:125] op_sel:[0,0,1] op_sel_hi:[1,1,0] neg_lo:[0,0,1] neg_hi:[0,0,1]
	v_pk_fma_f32 v[124:125], v[126:127], v[128:129], v[124:125] op_sel:[0,0,1] op_sel_hi:[1,0,0]
	v_mov_b32_e32 v131, v125
	s_delay_alu instid0(VALU_DEP_1)
	v_pk_add_f32 v[100:101], v[100:101], v[130:131] neg_lo:[0,1] neg_hi:[0,1]
.LBB49_100:
	s_or_b32 exec_lo, exec_lo, s1
	s_delay_alu instid0(SALU_CYCLE_1)
	s_mov_b32 s2, exec_lo
	s_wait_dscnt 0x0
	s_barrier_signal -1
	s_barrier_wait -1
	v_cmpx_eq_u32_e32 11, v152
	s_cbranch_execz .LBB49_107
; %bb.101:
	v_dual_mov_b32 v124, v72 :: v_dual_mov_b32 v125, v73
	v_dual_mov_b32 v126, v68 :: v_dual_mov_b32 v127, v69
	ds_store_b64 v153, v[36:37]
	ds_store_2addr_b64 v154, v[124:125], v[126:127] offset0:12 offset1:13
	v_dual_mov_b32 v124, v70 :: v_dual_mov_b32 v125, v71
	v_dual_mov_b32 v126, v66 :: v_dual_mov_b32 v127, v67
	ds_store_2addr_b64 v154, v[124:125], v[126:127] offset0:14 offset1:15
	v_dual_mov_b32 v124, v92 :: v_dual_mov_b32 v125, v93
	v_dual_mov_b32 v126, v86 :: v_dual_mov_b32 v127, v87
	;; [unrolled: 3-line block ×5, first 2 shown]
	ds_store_2addr_b64 v154, v[124:125], v[126:127] offset0:22 offset1:23
	ds_store_b64 v154, v[100:101] offset:192
	ds_load_b64 v[124:125], v153
	s_wait_dscnt 0x0
	v_cmp_neq_f32_e32 vcc_lo, 0, v124
	v_cmp_neq_f32_e64 s1, 0, v125
	s_or_b32 s1, vcc_lo, s1
	s_delay_alu instid0(SALU_CYCLE_1)
	s_and_b32 exec_lo, exec_lo, s1
	s_cbranch_execz .LBB49_107
; %bb.102:
	v_cmp_ngt_f32_e64 s1, |v124|, |v125|
                                        ; implicit-def: $vgpr126_vgpr127
	s_and_saveexec_b32 s4, s1
	s_delay_alu instid0(SALU_CYCLE_1)
	s_xor_b32 s1, exec_lo, s4
	s_cbranch_execz .LBB49_104
; %bb.103:
	v_div_scale_f32 v126, null, v125, v125, v124
	v_div_scale_f32 v129, vcc_lo, v124, v125, v124
	s_delay_alu instid0(VALU_DEP_2) | instskip(SKIP_1) | instid1(TRANS32_DEP_1)
	v_rcp_f32_e32 v127, v126
	v_nop
	v_fma_f32 v128, -v126, v127, 1.0
	s_delay_alu instid0(VALU_DEP_1) | instskip(NEXT) | instid1(VALU_DEP_1)
	v_fmac_f32_e32 v127, v128, v127
	v_mul_f32_e32 v128, v129, v127
	s_delay_alu instid0(VALU_DEP_1) | instskip(NEXT) | instid1(VALU_DEP_1)
	v_fma_f32 v130, -v126, v128, v129
	v_fmac_f32_e32 v128, v130, v127
	s_delay_alu instid0(VALU_DEP_1) | instskip(NEXT) | instid1(VALU_DEP_1)
	v_fma_f32 v126, -v126, v128, v129
	v_div_fmas_f32 v126, v126, v127, v128
	s_delay_alu instid0(VALU_DEP_1) | instskip(NEXT) | instid1(VALU_DEP_1)
	v_div_fixup_f32 v126, v126, v125, v124
	v_fmac_f32_e32 v125, v124, v126
	s_delay_alu instid0(VALU_DEP_1) | instskip(SKIP_1) | instid1(VALU_DEP_2)
	v_div_scale_f32 v124, null, v125, v125, 1.0
	v_div_scale_f32 v129, vcc_lo, 1.0, v125, 1.0
	v_rcp_f32_e32 v127, v124
	v_nop
	s_delay_alu instid0(TRANS32_DEP_1) | instskip(NEXT) | instid1(VALU_DEP_1)
	v_fma_f32 v128, -v124, v127, 1.0
	v_fmac_f32_e32 v127, v128, v127
	s_delay_alu instid0(VALU_DEP_1) | instskip(NEXT) | instid1(VALU_DEP_1)
	v_mul_f32_e32 v128, v129, v127
	v_fma_f32 v130, -v124, v128, v129
	s_delay_alu instid0(VALU_DEP_1) | instskip(NEXT) | instid1(VALU_DEP_1)
	v_fmac_f32_e32 v128, v130, v127
	v_fma_f32 v124, -v124, v128, v129
	s_delay_alu instid0(VALU_DEP_1) | instskip(NEXT) | instid1(VALU_DEP_1)
	v_div_fmas_f32 v124, v124, v127, v128
	v_div_fixup_f32 v124, v124, v125, 1.0
	s_delay_alu instid0(VALU_DEP_1)
	v_mul_f32_e32 v126, v126, v124
	v_xor_b32_e32 v127, 0x80000000, v124
                                        ; implicit-def: $vgpr124_vgpr125
.LBB49_104:
	s_and_not1_saveexec_b32 s1, s1
	s_cbranch_execz .LBB49_106
; %bb.105:
	v_div_scale_f32 v126, null, v124, v124, v125
	v_div_scale_f32 v129, vcc_lo, v125, v124, v125
	s_delay_alu instid0(VALU_DEP_2) | instskip(SKIP_1) | instid1(TRANS32_DEP_1)
	v_rcp_f32_e32 v127, v126
	v_nop
	v_fma_f32 v128, -v126, v127, 1.0
	s_delay_alu instid0(VALU_DEP_1) | instskip(NEXT) | instid1(VALU_DEP_1)
	v_fmac_f32_e32 v127, v128, v127
	v_mul_f32_e32 v128, v129, v127
	s_delay_alu instid0(VALU_DEP_1) | instskip(NEXT) | instid1(VALU_DEP_1)
	v_fma_f32 v130, -v126, v128, v129
	v_fmac_f32_e32 v128, v130, v127
	s_delay_alu instid0(VALU_DEP_1) | instskip(NEXT) | instid1(VALU_DEP_1)
	v_fma_f32 v126, -v126, v128, v129
	v_div_fmas_f32 v126, v126, v127, v128
	s_delay_alu instid0(VALU_DEP_1) | instskip(NEXT) | instid1(VALU_DEP_1)
	v_div_fixup_f32 v127, v126, v124, v125
	v_fmac_f32_e32 v124, v125, v127
	s_delay_alu instid0(VALU_DEP_1) | instskip(NEXT) | instid1(VALU_DEP_1)
	v_div_scale_f32 v125, null, v124, v124, 1.0
	v_rcp_f32_e32 v126, v125
	v_nop
	s_delay_alu instid0(TRANS32_DEP_1) | instskip(NEXT) | instid1(VALU_DEP_1)
	v_fma_f32 v128, -v125, v126, 1.0
	v_fmac_f32_e32 v126, v128, v126
	v_div_scale_f32 v128, vcc_lo, 1.0, v124, 1.0
	s_delay_alu instid0(VALU_DEP_1) | instskip(NEXT) | instid1(VALU_DEP_1)
	v_mul_f32_e32 v129, v128, v126
	v_fma_f32 v130, -v125, v129, v128
	s_delay_alu instid0(VALU_DEP_1) | instskip(NEXT) | instid1(VALU_DEP_1)
	v_fmac_f32_e32 v129, v130, v126
	v_fma_f32 v125, -v125, v129, v128
	s_delay_alu instid0(VALU_DEP_1) | instskip(NEXT) | instid1(VALU_DEP_1)
	v_div_fmas_f32 v125, v125, v126, v129
	v_div_fixup_f32 v126, v125, v124, 1.0
	s_delay_alu instid0(VALU_DEP_1)
	v_mul_f32_e64 v127, v127, -v126
.LBB49_106:
	s_or_b32 exec_lo, exec_lo, s1
	ds_store_b64 v153, v[126:127]
.LBB49_107:
	s_or_b32 exec_lo, exec_lo, s2
	s_wait_dscnt 0x0
	s_barrier_signal -1
	s_barrier_wait -1
	ds_load_b64 v[124:125], v153
	s_mov_b32 s1, exec_lo
	v_cmpx_lt_u32_e32 11, v152
	s_cbranch_execz .LBB49_109
; %bb.108:
	s_wait_dscnt 0x0
	v_pk_mul_f32 v[126:127], v[124:125], v[36:37] op_sel:[1,1] op_sel_hi:[0,1]
	s_delay_alu instid0(VALU_DEP_1)
	v_pk_fma_f32 v[130:131], v[124:125], v[36:37], v[126:127] op_sel_hi:[1,0,1] neg_lo:[0,0,1] neg_hi:[0,0,1]
	v_pk_fma_f32 v[132:133], v[124:125], v[36:37], v[126:127] op_sel_hi:[1,0,1]
	ds_load_2addr_b64 v[126:129], v154 offset0:12 offset1:13
	v_dual_mov_b32 v36, v130 :: v_dual_mov_b32 v37, v133
	s_wait_dscnt 0x0
	v_pk_mul_f32 v[134:135], v[126:127], v[132:133] op_sel:[0,1]
	s_delay_alu instid0(VALU_DEP_1) | instskip(SKIP_1) | instid1(VALU_DEP_1)
	v_pk_fma_f32 v[136:137], v[126:127], v[130:131], v[134:135] op_sel:[0,0,1] op_sel_hi:[1,1,0] neg_lo:[0,0,1] neg_hi:[0,0,1]
	v_pk_fma_f32 v[126:127], v[126:127], v[130:131], v[134:135] op_sel:[0,0,1] op_sel_hi:[1,0,0]
	v_mov_b32_e32 v137, v127
	v_pk_mul_f32 v[126:127], v[128:129], v[132:133] op_sel:[0,1]
	s_delay_alu instid0(VALU_DEP_1) | instskip(SKIP_1) | instid1(VALU_DEP_1)
	v_pk_fma_f32 v[134:135], v[128:129], v[130:131], v[126:127] op_sel:[0,0,1] op_sel_hi:[1,1,0] neg_lo:[0,0,1] neg_hi:[0,0,1]
	v_pk_fma_f32 v[126:127], v[128:129], v[130:131], v[126:127] op_sel:[0,0,1] op_sel_hi:[1,0,0]
	v_mov_b32_e32 v135, v127
	ds_load_2addr_b64 v[126:129], v154 offset0:14 offset1:15
	v_pk_add_f32 v[72:73], v[72:73], v[136:137] neg_lo:[0,1] neg_hi:[0,1]
	v_pk_add_f32 v[68:69], v[68:69], v[134:135] neg_lo:[0,1] neg_hi:[0,1]
	s_wait_dscnt 0x0
	v_pk_mul_f32 v[134:135], v[126:127], v[132:133] op_sel:[0,1]
	s_delay_alu instid0(VALU_DEP_1) | instskip(SKIP_2) | instid1(VALU_DEP_2)
	v_pk_fma_f32 v[136:137], v[126:127], v[130:131], v[134:135] op_sel:[0,0,1] op_sel_hi:[1,1,0] neg_lo:[0,0,1] neg_hi:[0,0,1]
	v_pk_fma_f32 v[126:127], v[126:127], v[130:131], v[134:135] op_sel:[0,0,1] op_sel_hi:[1,0,0]
	v_dual_mul_f32 v134, v129, v133 :: v_dual_mov_b32 v126, v129
	v_dual_mov_b32 v137, v127 :: v_dual_mov_b32 v127, v128
	s_delay_alu instid0(VALU_DEP_2) | instskip(SKIP_1) | instid1(VALU_DEP_3)
	v_pk_fma_f32 v[134:135], v[128:129], v[36:37], v[134:135] op_sel_hi:[1,1,0] neg_lo:[0,0,1] neg_hi:[0,0,1]
	v_mul_f32_e32 v128, v129, v130
	v_pk_add_f32 v[70:71], v[70:71], v[136:137] neg_lo:[0,1] neg_hi:[0,1]
	s_delay_alu instid0(VALU_DEP_2) | instskip(NEXT) | instid1(VALU_DEP_1)
	v_pk_fma_f32 v[126:127], v[126:127], v[36:37], v[128:129] op_sel_hi:[1,1,0]
	v_mov_b32_e32 v135, v127
	ds_load_2addr_b64 v[126:129], v154 offset0:16 offset1:17
	v_pk_add_f32 v[66:67], v[66:67], v[134:135] neg_lo:[0,1] neg_hi:[0,1]
	s_wait_dscnt 0x0
	v_pk_mul_f32 v[134:135], v[126:127], v[132:133] op_sel:[0,1]
	s_delay_alu instid0(VALU_DEP_1) | instskip(SKIP_1) | instid1(VALU_DEP_1)
	v_pk_fma_f32 v[136:137], v[126:127], v[130:131], v[134:135] op_sel:[0,0,1] op_sel_hi:[1,1,0] neg_lo:[0,0,1] neg_hi:[0,0,1]
	v_pk_fma_f32 v[126:127], v[126:127], v[130:131], v[134:135] op_sel:[0,0,1] op_sel_hi:[1,0,0]
	v_mov_b32_e32 v137, v127
	v_pk_mul_f32 v[126:127], v[128:129], v[132:133] op_sel:[0,1]
	s_delay_alu instid0(VALU_DEP_1) | instskip(SKIP_1) | instid1(VALU_DEP_1)
	v_pk_fma_f32 v[134:135], v[128:129], v[130:131], v[126:127] op_sel:[0,0,1] op_sel_hi:[1,1,0] neg_lo:[0,0,1] neg_hi:[0,0,1]
	v_pk_fma_f32 v[126:127], v[128:129], v[130:131], v[126:127] op_sel:[0,0,1] op_sel_hi:[1,0,0]
	v_mov_b32_e32 v135, v127
	ds_load_2addr_b64 v[126:129], v154 offset0:18 offset1:19
	v_pk_add_f32 v[92:93], v[92:93], v[136:137] neg_lo:[0,1] neg_hi:[0,1]
	v_pk_add_f32 v[86:87], v[86:87], v[134:135] neg_lo:[0,1] neg_hi:[0,1]
	s_wait_dscnt 0x0
	v_pk_mul_f32 v[134:135], v[126:127], v[132:133] op_sel:[0,1]
	s_delay_alu instid0(VALU_DEP_1) | instskip(SKIP_1) | instid1(VALU_DEP_1)
	v_pk_fma_f32 v[136:137], v[126:127], v[130:131], v[134:135] op_sel:[0,0,1] op_sel_hi:[1,1,0] neg_lo:[0,0,1] neg_hi:[0,0,1]
	v_pk_fma_f32 v[126:127], v[126:127], v[130:131], v[134:135] op_sel:[0,0,1] op_sel_hi:[1,0,0]
	v_mov_b32_e32 v137, v127
	v_pk_mul_f32 v[126:127], v[128:129], v[132:133] op_sel:[0,1]
	s_delay_alu instid0(VALU_DEP_1) | instskip(SKIP_1) | instid1(VALU_DEP_1)
	v_pk_fma_f32 v[134:135], v[128:129], v[130:131], v[126:127] op_sel:[0,0,1] op_sel_hi:[1,1,0] neg_lo:[0,0,1] neg_hi:[0,0,1]
	v_pk_fma_f32 v[126:127], v[128:129], v[130:131], v[126:127] op_sel:[0,0,1] op_sel_hi:[1,0,0]
	v_mov_b32_e32 v135, v127
	ds_load_2addr_b64 v[126:129], v154 offset0:20 offset1:21
	v_pk_add_f32 v[90:91], v[90:91], v[136:137] neg_lo:[0,1] neg_hi:[0,1]
	v_pk_add_f32 v[84:85], v[84:85], v[134:135] neg_lo:[0,1] neg_hi:[0,1]
	s_wait_dscnt 0x0
	v_dual_mul_f32 v134, v127, v133 :: v_dual_mul_f32 v136, v127, v130
	s_delay_alu instid0(VALU_DEP_1) | instskip(NEXT) | instid1(VALU_DEP_2)
	v_pk_fma_f32 v[134:135], v[126:127], v[36:37], v[134:135] op_sel_hi:[1,1,0] neg_lo:[0,0,1] neg_hi:[0,0,1]
	v_pk_fma_f32 v[126:127], v[126:127], v[36:37], v[136:137] op_sel:[1,0,0] op_sel_hi:[0,1,0]
	s_delay_alu instid0(VALU_DEP_1) | instskip(SKIP_1) | instid1(VALU_DEP_2)
	v_mov_b32_e32 v135, v127
	v_pk_mul_f32 v[126:127], v[128:129], v[132:133] op_sel:[0,1]
	v_pk_add_f32 v[88:89], v[88:89], v[134:135] neg_lo:[0,1] neg_hi:[0,1]
	s_delay_alu instid0(VALU_DEP_2) | instskip(SKIP_1) | instid1(VALU_DEP_1)
	v_pk_fma_f32 v[134:135], v[128:129], v[130:131], v[126:127] op_sel:[0,0,1] op_sel_hi:[1,1,0] neg_lo:[0,0,1] neg_hi:[0,0,1]
	v_pk_fma_f32 v[126:127], v[128:129], v[130:131], v[126:127] op_sel:[0,0,1] op_sel_hi:[1,0,0]
	v_mov_b32_e32 v135, v127
	ds_load_2addr_b64 v[126:129], v154 offset0:22 offset1:23
	v_pk_add_f32 v[98:99], v[98:99], v[134:135] neg_lo:[0,1] neg_hi:[0,1]
	s_wait_dscnt 0x0
	v_pk_mul_f32 v[134:135], v[126:127], v[132:133] op_sel:[0,1]
	s_delay_alu instid0(VALU_DEP_1) | instskip(SKIP_1) | instid1(VALU_DEP_1)
	v_pk_fma_f32 v[136:137], v[126:127], v[130:131], v[134:135] op_sel:[0,0,1] op_sel_hi:[1,1,0] neg_lo:[0,0,1] neg_hi:[0,0,1]
	v_pk_fma_f32 v[126:127], v[126:127], v[130:131], v[134:135] op_sel:[0,0,1] op_sel_hi:[1,0,0]
	v_mov_b32_e32 v137, v127
	v_pk_mul_f32 v[126:127], v[128:129], v[132:133] op_sel:[0,1]
	s_delay_alu instid0(VALU_DEP_2) | instskip(NEXT) | instid1(VALU_DEP_2)
	v_pk_add_f32 v[96:97], v[96:97], v[136:137] neg_lo:[0,1] neg_hi:[0,1]
	v_pk_fma_f32 v[134:135], v[128:129], v[130:131], v[126:127] op_sel:[0,0,1] op_sel_hi:[1,1,0] neg_lo:[0,0,1] neg_hi:[0,0,1]
	v_pk_fma_f32 v[126:127], v[128:129], v[130:131], v[126:127] op_sel:[0,0,1] op_sel_hi:[1,0,0]
	s_delay_alu instid0(VALU_DEP_1) | instskip(SKIP_4) | instid1(VALU_DEP_1)
	v_mov_b32_e32 v135, v127
	ds_load_b64 v[126:127], v154 offset:192
	v_pk_add_f32 v[94:95], v[94:95], v[134:135] neg_lo:[0,1] neg_hi:[0,1]
	s_wait_dscnt 0x0
	v_pk_mul_f32 v[128:129], v[126:127], v[132:133] op_sel:[0,1]
	v_pk_fma_f32 v[132:133], v[126:127], v[130:131], v[128:129] op_sel:[0,0,1] op_sel_hi:[1,1,0] neg_lo:[0,0,1] neg_hi:[0,0,1]
	v_pk_fma_f32 v[126:127], v[126:127], v[130:131], v[128:129] op_sel:[0,0,1] op_sel_hi:[1,0,0]
	s_delay_alu instid0(VALU_DEP_1) | instskip(NEXT) | instid1(VALU_DEP_1)
	v_mov_b32_e32 v133, v127
	v_pk_add_f32 v[100:101], v[100:101], v[132:133] neg_lo:[0,1] neg_hi:[0,1]
.LBB49_109:
	s_or_b32 exec_lo, exec_lo, s1
	s_delay_alu instid0(SALU_CYCLE_1)
	s_mov_b32 s2, exec_lo
	s_wait_dscnt 0x0
	s_barrier_signal -1
	s_barrier_wait -1
	v_cmpx_eq_u32_e32 12, v152
	s_cbranch_execz .LBB49_116
; %bb.110:
	ds_store_b64 v153, v[72:73]
	ds_store_2addr_b64 v154, v[68:69], v[70:71] offset0:13 offset1:14
	ds_store_2addr_b64 v154, v[66:67], v[92:93] offset0:15 offset1:16
	;; [unrolled: 1-line block ×6, first 2 shown]
	ds_load_b64 v[126:127], v153
	s_wait_dscnt 0x0
	v_cmp_neq_f32_e32 vcc_lo, 0, v126
	v_cmp_neq_f32_e64 s1, 0, v127
	s_or_b32 s1, vcc_lo, s1
	s_delay_alu instid0(SALU_CYCLE_1)
	s_and_b32 exec_lo, exec_lo, s1
	s_cbranch_execz .LBB49_116
; %bb.111:
	v_cmp_ngt_f32_e64 s1, |v126|, |v127|
                                        ; implicit-def: $vgpr128_vgpr129
	s_and_saveexec_b32 s4, s1
	s_delay_alu instid0(SALU_CYCLE_1)
	s_xor_b32 s1, exec_lo, s4
	s_cbranch_execz .LBB49_113
; %bb.112:
	v_div_scale_f32 v128, null, v127, v127, v126
	v_div_scale_f32 v131, vcc_lo, v126, v127, v126
	s_delay_alu instid0(VALU_DEP_2) | instskip(SKIP_1) | instid1(TRANS32_DEP_1)
	v_rcp_f32_e32 v129, v128
	v_nop
	v_fma_f32 v130, -v128, v129, 1.0
	s_delay_alu instid0(VALU_DEP_1) | instskip(NEXT) | instid1(VALU_DEP_1)
	v_fmac_f32_e32 v129, v130, v129
	v_mul_f32_e32 v130, v131, v129
	s_delay_alu instid0(VALU_DEP_1) | instskip(NEXT) | instid1(VALU_DEP_1)
	v_fma_f32 v132, -v128, v130, v131
	v_fmac_f32_e32 v130, v132, v129
	s_delay_alu instid0(VALU_DEP_1) | instskip(NEXT) | instid1(VALU_DEP_1)
	v_fma_f32 v128, -v128, v130, v131
	v_div_fmas_f32 v128, v128, v129, v130
	s_delay_alu instid0(VALU_DEP_1) | instskip(NEXT) | instid1(VALU_DEP_1)
	v_div_fixup_f32 v128, v128, v127, v126
	v_fmac_f32_e32 v127, v126, v128
	s_delay_alu instid0(VALU_DEP_1) | instskip(SKIP_1) | instid1(VALU_DEP_2)
	v_div_scale_f32 v126, null, v127, v127, 1.0
	v_div_scale_f32 v131, vcc_lo, 1.0, v127, 1.0
	v_rcp_f32_e32 v129, v126
	v_nop
	s_delay_alu instid0(TRANS32_DEP_1) | instskip(NEXT) | instid1(VALU_DEP_1)
	v_fma_f32 v130, -v126, v129, 1.0
	v_fmac_f32_e32 v129, v130, v129
	s_delay_alu instid0(VALU_DEP_1) | instskip(NEXT) | instid1(VALU_DEP_1)
	v_mul_f32_e32 v130, v131, v129
	v_fma_f32 v132, -v126, v130, v131
	s_delay_alu instid0(VALU_DEP_1) | instskip(NEXT) | instid1(VALU_DEP_1)
	v_fmac_f32_e32 v130, v132, v129
	v_fma_f32 v126, -v126, v130, v131
	s_delay_alu instid0(VALU_DEP_1) | instskip(NEXT) | instid1(VALU_DEP_1)
	v_div_fmas_f32 v126, v126, v129, v130
	v_div_fixup_f32 v126, v126, v127, 1.0
	s_delay_alu instid0(VALU_DEP_1)
	v_mul_f32_e32 v128, v128, v126
	v_xor_b32_e32 v129, 0x80000000, v126
                                        ; implicit-def: $vgpr126_vgpr127
.LBB49_113:
	s_and_not1_saveexec_b32 s1, s1
	s_cbranch_execz .LBB49_115
; %bb.114:
	v_div_scale_f32 v128, null, v126, v126, v127
	v_div_scale_f32 v131, vcc_lo, v127, v126, v127
	s_delay_alu instid0(VALU_DEP_2) | instskip(SKIP_1) | instid1(TRANS32_DEP_1)
	v_rcp_f32_e32 v129, v128
	v_nop
	v_fma_f32 v130, -v128, v129, 1.0
	s_delay_alu instid0(VALU_DEP_1) | instskip(NEXT) | instid1(VALU_DEP_1)
	v_fmac_f32_e32 v129, v130, v129
	v_mul_f32_e32 v130, v131, v129
	s_delay_alu instid0(VALU_DEP_1) | instskip(NEXT) | instid1(VALU_DEP_1)
	v_fma_f32 v132, -v128, v130, v131
	v_fmac_f32_e32 v130, v132, v129
	s_delay_alu instid0(VALU_DEP_1) | instskip(NEXT) | instid1(VALU_DEP_1)
	v_fma_f32 v128, -v128, v130, v131
	v_div_fmas_f32 v128, v128, v129, v130
	s_delay_alu instid0(VALU_DEP_1) | instskip(NEXT) | instid1(VALU_DEP_1)
	v_div_fixup_f32 v129, v128, v126, v127
	v_fmac_f32_e32 v126, v127, v129
	s_delay_alu instid0(VALU_DEP_1) | instskip(NEXT) | instid1(VALU_DEP_1)
	v_div_scale_f32 v127, null, v126, v126, 1.0
	v_rcp_f32_e32 v128, v127
	v_nop
	s_delay_alu instid0(TRANS32_DEP_1) | instskip(NEXT) | instid1(VALU_DEP_1)
	v_fma_f32 v130, -v127, v128, 1.0
	v_fmac_f32_e32 v128, v130, v128
	v_div_scale_f32 v130, vcc_lo, 1.0, v126, 1.0
	s_delay_alu instid0(VALU_DEP_1) | instskip(NEXT) | instid1(VALU_DEP_1)
	v_mul_f32_e32 v131, v130, v128
	v_fma_f32 v132, -v127, v131, v130
	s_delay_alu instid0(VALU_DEP_1) | instskip(NEXT) | instid1(VALU_DEP_1)
	v_fmac_f32_e32 v131, v132, v128
	v_fma_f32 v127, -v127, v131, v130
	s_delay_alu instid0(VALU_DEP_1) | instskip(NEXT) | instid1(VALU_DEP_1)
	v_div_fmas_f32 v127, v127, v128, v131
	v_div_fixup_f32 v128, v127, v126, 1.0
	s_delay_alu instid0(VALU_DEP_1)
	v_mul_f32_e64 v129, v129, -v128
.LBB49_115:
	s_or_b32 exec_lo, exec_lo, s1
	ds_store_b64 v153, v[128:129]
.LBB49_116:
	s_or_b32 exec_lo, exec_lo, s2
	s_wait_dscnt 0x0
	s_barrier_signal -1
	s_barrier_wait -1
	ds_load_b64 v[126:127], v153
	s_mov_b32 s1, exec_lo
	v_cmpx_lt_u32_e32 12, v152
	s_cbranch_execz .LBB49_118
; %bb.117:
	s_wait_dscnt 0x0
	v_pk_mul_f32 v[128:129], v[126:127], v[72:73] op_sel:[1,1] op_sel_hi:[0,1]
	s_delay_alu instid0(VALU_DEP_1)
	v_pk_fma_f32 v[132:133], v[126:127], v[72:73], v[128:129] op_sel_hi:[1,0,1] neg_lo:[0,0,1] neg_hi:[0,0,1]
	v_pk_fma_f32 v[134:135], v[126:127], v[72:73], v[128:129] op_sel_hi:[1,0,1]
	ds_load_2addr_b64 v[128:131], v154 offset0:13 offset1:14
	v_dual_mov_b32 v72, v132 :: v_dual_mov_b32 v73, v135
	s_wait_dscnt 0x0
	v_pk_mul_f32 v[136:137], v[128:129], v[134:135] op_sel:[0,1]
	s_delay_alu instid0(VALU_DEP_1) | instskip(SKIP_1) | instid1(VALU_DEP_1)
	v_pk_fma_f32 v[138:139], v[128:129], v[132:133], v[136:137] op_sel:[0,0,1] op_sel_hi:[1,1,0] neg_lo:[0,0,1] neg_hi:[0,0,1]
	v_pk_fma_f32 v[128:129], v[128:129], v[132:133], v[136:137] op_sel:[0,0,1] op_sel_hi:[1,0,0]
	v_mov_b32_e32 v139, v129
	v_pk_mul_f32 v[128:129], v[130:131], v[134:135] op_sel:[0,1]
	s_delay_alu instid0(VALU_DEP_1) | instskip(SKIP_1) | instid1(VALU_DEP_1)
	v_pk_fma_f32 v[136:137], v[130:131], v[132:133], v[128:129] op_sel:[0,0,1] op_sel_hi:[1,1,0] neg_lo:[0,0,1] neg_hi:[0,0,1]
	v_pk_fma_f32 v[128:129], v[130:131], v[132:133], v[128:129] op_sel:[0,0,1] op_sel_hi:[1,0,0]
	v_mov_b32_e32 v137, v129
	ds_load_2addr_b64 v[128:131], v154 offset0:15 offset1:16
	v_pk_add_f32 v[68:69], v[68:69], v[138:139] neg_lo:[0,1] neg_hi:[0,1]
	v_pk_add_f32 v[70:71], v[70:71], v[136:137] neg_lo:[0,1] neg_hi:[0,1]
	s_wait_dscnt 0x0
	v_pk_mul_f32 v[136:137], v[128:129], v[134:135] op_sel:[0,1]
	s_delay_alu instid0(VALU_DEP_1) | instskip(SKIP_2) | instid1(VALU_DEP_2)
	v_pk_fma_f32 v[138:139], v[128:129], v[132:133], v[136:137] op_sel:[0,0,1] op_sel_hi:[1,1,0] neg_lo:[0,0,1] neg_hi:[0,0,1]
	v_pk_fma_f32 v[128:129], v[128:129], v[132:133], v[136:137] op_sel:[0,0,1] op_sel_hi:[1,0,0]
	v_dual_mul_f32 v136, v131, v135 :: v_dual_mov_b32 v128, v131
	v_dual_mov_b32 v139, v129 :: v_dual_mov_b32 v129, v130
	s_delay_alu instid0(VALU_DEP_2) | instskip(SKIP_1) | instid1(VALU_DEP_3)
	v_pk_fma_f32 v[136:137], v[130:131], v[72:73], v[136:137] op_sel_hi:[1,1,0] neg_lo:[0,0,1] neg_hi:[0,0,1]
	v_mul_f32_e32 v130, v131, v132
	v_pk_add_f32 v[66:67], v[66:67], v[138:139] neg_lo:[0,1] neg_hi:[0,1]
	s_delay_alu instid0(VALU_DEP_2) | instskip(NEXT) | instid1(VALU_DEP_1)
	v_pk_fma_f32 v[128:129], v[128:129], v[72:73], v[130:131] op_sel_hi:[1,1,0]
	v_mov_b32_e32 v137, v129
	ds_load_2addr_b64 v[128:131], v154 offset0:17 offset1:18
	v_pk_add_f32 v[92:93], v[92:93], v[136:137] neg_lo:[0,1] neg_hi:[0,1]
	s_wait_dscnt 0x0
	v_pk_mul_f32 v[136:137], v[128:129], v[134:135] op_sel:[0,1]
	s_delay_alu instid0(VALU_DEP_1) | instskip(SKIP_1) | instid1(VALU_DEP_1)
	v_pk_fma_f32 v[138:139], v[128:129], v[132:133], v[136:137] op_sel:[0,0,1] op_sel_hi:[1,1,0] neg_lo:[0,0,1] neg_hi:[0,0,1]
	v_pk_fma_f32 v[128:129], v[128:129], v[132:133], v[136:137] op_sel:[0,0,1] op_sel_hi:[1,0,0]
	v_mov_b32_e32 v139, v129
	v_pk_mul_f32 v[128:129], v[130:131], v[134:135] op_sel:[0,1]
	s_delay_alu instid0(VALU_DEP_1) | instskip(SKIP_1) | instid1(VALU_DEP_1)
	v_pk_fma_f32 v[136:137], v[130:131], v[132:133], v[128:129] op_sel:[0,0,1] op_sel_hi:[1,1,0] neg_lo:[0,0,1] neg_hi:[0,0,1]
	v_pk_fma_f32 v[128:129], v[130:131], v[132:133], v[128:129] op_sel:[0,0,1] op_sel_hi:[1,0,0]
	v_mov_b32_e32 v137, v129
	ds_load_2addr_b64 v[128:131], v154 offset0:19 offset1:20
	v_pk_add_f32 v[86:87], v[86:87], v[138:139] neg_lo:[0,1] neg_hi:[0,1]
	v_pk_add_f32 v[90:91], v[90:91], v[136:137] neg_lo:[0,1] neg_hi:[0,1]
	s_wait_dscnt 0x0
	v_pk_mul_f32 v[136:137], v[128:129], v[134:135] op_sel:[0,1]
	s_delay_alu instid0(VALU_DEP_1) | instskip(SKIP_1) | instid1(VALU_DEP_1)
	v_pk_fma_f32 v[138:139], v[128:129], v[132:133], v[136:137] op_sel:[0,0,1] op_sel_hi:[1,1,0] neg_lo:[0,0,1] neg_hi:[0,0,1]
	v_pk_fma_f32 v[128:129], v[128:129], v[132:133], v[136:137] op_sel:[0,0,1] op_sel_hi:[1,0,0]
	v_mov_b32_e32 v139, v129
	v_pk_mul_f32 v[128:129], v[130:131], v[134:135] op_sel:[0,1]
	s_delay_alu instid0(VALU_DEP_1) | instskip(SKIP_1) | instid1(VALU_DEP_1)
	v_pk_fma_f32 v[136:137], v[130:131], v[132:133], v[128:129] op_sel:[0,0,1] op_sel_hi:[1,1,0] neg_lo:[0,0,1] neg_hi:[0,0,1]
	v_pk_fma_f32 v[128:129], v[130:131], v[132:133], v[128:129] op_sel:[0,0,1] op_sel_hi:[1,0,0]
	v_mov_b32_e32 v137, v129
	ds_load_2addr_b64 v[128:131], v154 offset0:21 offset1:22
	v_pk_add_f32 v[84:85], v[84:85], v[138:139] neg_lo:[0,1] neg_hi:[0,1]
	v_pk_add_f32 v[88:89], v[88:89], v[136:137] neg_lo:[0,1] neg_hi:[0,1]
	s_wait_dscnt 0x0
	v_dual_mul_f32 v136, v129, v135 :: v_dual_mul_f32 v138, v129, v132
	s_delay_alu instid0(VALU_DEP_1) | instskip(NEXT) | instid1(VALU_DEP_2)
	v_pk_fma_f32 v[136:137], v[128:129], v[72:73], v[136:137] op_sel_hi:[1,1,0] neg_lo:[0,0,1] neg_hi:[0,0,1]
	v_pk_fma_f32 v[128:129], v[128:129], v[72:73], v[138:139] op_sel:[1,0,0] op_sel_hi:[0,1,0]
	s_delay_alu instid0(VALU_DEP_1) | instskip(SKIP_1) | instid1(VALU_DEP_2)
	v_mov_b32_e32 v137, v129
	v_pk_mul_f32 v[128:129], v[130:131], v[134:135] op_sel:[0,1]
	v_pk_add_f32 v[98:99], v[98:99], v[136:137] neg_lo:[0,1] neg_hi:[0,1]
	s_delay_alu instid0(VALU_DEP_2) | instskip(SKIP_1) | instid1(VALU_DEP_1)
	v_pk_fma_f32 v[136:137], v[130:131], v[132:133], v[128:129] op_sel:[0,0,1] op_sel_hi:[1,1,0] neg_lo:[0,0,1] neg_hi:[0,0,1]
	v_pk_fma_f32 v[128:129], v[130:131], v[132:133], v[128:129] op_sel:[0,0,1] op_sel_hi:[1,0,0]
	v_mov_b32_e32 v137, v129
	ds_load_2addr_b64 v[128:131], v154 offset0:23 offset1:24
	v_pk_add_f32 v[96:97], v[96:97], v[136:137] neg_lo:[0,1] neg_hi:[0,1]
	s_wait_dscnt 0x0
	v_pk_mul_f32 v[136:137], v[128:129], v[134:135] op_sel:[0,1]
	v_mul_f32_e32 v134, v131, v135
	s_delay_alu instid0(VALU_DEP_2) | instskip(SKIP_2) | instid1(VALU_DEP_4)
	v_pk_fma_f32 v[138:139], v[128:129], v[132:133], v[136:137] op_sel:[0,0,1] op_sel_hi:[1,1,0] neg_lo:[0,0,1] neg_hi:[0,0,1]
	v_pk_fma_f32 v[128:129], v[128:129], v[132:133], v[136:137] op_sel:[0,0,1] op_sel_hi:[1,0,0]
	v_mov_b32_e32 v128, v131
	v_pk_fma_f32 v[134:135], v[130:131], v[72:73], v[134:135] op_sel_hi:[1,1,0] neg_lo:[0,0,1] neg_hi:[0,0,1]
	s_delay_alu instid0(VALU_DEP_3) | instskip(SKIP_1) | instid1(VALU_DEP_2)
	v_dual_mov_b32 v139, v129 :: v_dual_mov_b32 v129, v130
	v_mul_f32_e32 v130, v131, v132
	v_pk_add_f32 v[94:95], v[94:95], v[138:139] neg_lo:[0,1] neg_hi:[0,1]
	s_delay_alu instid0(VALU_DEP_2) | instskip(NEXT) | instid1(VALU_DEP_1)
	v_pk_fma_f32 v[128:129], v[128:129], v[72:73], v[130:131] op_sel_hi:[1,1,0]
	v_mov_b32_e32 v135, v129
	s_delay_alu instid0(VALU_DEP_1)
	v_pk_add_f32 v[100:101], v[100:101], v[134:135] neg_lo:[0,1] neg_hi:[0,1]
.LBB49_118:
	s_or_b32 exec_lo, exec_lo, s1
	s_delay_alu instid0(SALU_CYCLE_1)
	s_mov_b32 s2, exec_lo
	s_wait_dscnt 0x0
	s_barrier_signal -1
	s_barrier_wait -1
	v_cmpx_eq_u32_e32 13, v152
	s_cbranch_execz .LBB49_125
; %bb.119:
	v_dual_mov_b32 v128, v70 :: v_dual_mov_b32 v129, v71
	v_dual_mov_b32 v130, v66 :: v_dual_mov_b32 v131, v67
	ds_store_b64 v153, v[68:69]
	ds_store_2addr_b64 v154, v[128:129], v[130:131] offset0:14 offset1:15
	v_dual_mov_b32 v128, v92 :: v_dual_mov_b32 v129, v93
	v_dual_mov_b32 v130, v86 :: v_dual_mov_b32 v131, v87
	ds_store_2addr_b64 v154, v[128:129], v[130:131] offset0:16 offset1:17
	v_dual_mov_b32 v128, v90 :: v_dual_mov_b32 v129, v91
	v_dual_mov_b32 v130, v84 :: v_dual_mov_b32 v131, v85
	;; [unrolled: 3-line block ×4, first 2 shown]
	ds_store_2addr_b64 v154, v[128:129], v[130:131] offset0:22 offset1:23
	ds_store_b64 v154, v[100:101] offset:192
	ds_load_b64 v[128:129], v153
	s_wait_dscnt 0x0
	v_cmp_neq_f32_e32 vcc_lo, 0, v128
	v_cmp_neq_f32_e64 s1, 0, v129
	s_or_b32 s1, vcc_lo, s1
	s_delay_alu instid0(SALU_CYCLE_1)
	s_and_b32 exec_lo, exec_lo, s1
	s_cbranch_execz .LBB49_125
; %bb.120:
	v_cmp_ngt_f32_e64 s1, |v128|, |v129|
                                        ; implicit-def: $vgpr130_vgpr131
	s_and_saveexec_b32 s4, s1
	s_delay_alu instid0(SALU_CYCLE_1)
	s_xor_b32 s1, exec_lo, s4
	s_cbranch_execz .LBB49_122
; %bb.121:
	v_div_scale_f32 v130, null, v129, v129, v128
	v_div_scale_f32 v133, vcc_lo, v128, v129, v128
	s_delay_alu instid0(VALU_DEP_2) | instskip(SKIP_1) | instid1(TRANS32_DEP_1)
	v_rcp_f32_e32 v131, v130
	v_nop
	v_fma_f32 v132, -v130, v131, 1.0
	s_delay_alu instid0(VALU_DEP_1) | instskip(NEXT) | instid1(VALU_DEP_1)
	v_fmac_f32_e32 v131, v132, v131
	v_mul_f32_e32 v132, v133, v131
	s_delay_alu instid0(VALU_DEP_1) | instskip(NEXT) | instid1(VALU_DEP_1)
	v_fma_f32 v134, -v130, v132, v133
	v_fmac_f32_e32 v132, v134, v131
	s_delay_alu instid0(VALU_DEP_1) | instskip(NEXT) | instid1(VALU_DEP_1)
	v_fma_f32 v130, -v130, v132, v133
	v_div_fmas_f32 v130, v130, v131, v132
	s_delay_alu instid0(VALU_DEP_1) | instskip(NEXT) | instid1(VALU_DEP_1)
	v_div_fixup_f32 v130, v130, v129, v128
	v_fmac_f32_e32 v129, v128, v130
	s_delay_alu instid0(VALU_DEP_1) | instskip(SKIP_1) | instid1(VALU_DEP_2)
	v_div_scale_f32 v128, null, v129, v129, 1.0
	v_div_scale_f32 v133, vcc_lo, 1.0, v129, 1.0
	v_rcp_f32_e32 v131, v128
	v_nop
	s_delay_alu instid0(TRANS32_DEP_1) | instskip(NEXT) | instid1(VALU_DEP_1)
	v_fma_f32 v132, -v128, v131, 1.0
	v_fmac_f32_e32 v131, v132, v131
	s_delay_alu instid0(VALU_DEP_1) | instskip(NEXT) | instid1(VALU_DEP_1)
	v_mul_f32_e32 v132, v133, v131
	v_fma_f32 v134, -v128, v132, v133
	s_delay_alu instid0(VALU_DEP_1) | instskip(NEXT) | instid1(VALU_DEP_1)
	v_fmac_f32_e32 v132, v134, v131
	v_fma_f32 v128, -v128, v132, v133
	s_delay_alu instid0(VALU_DEP_1) | instskip(NEXT) | instid1(VALU_DEP_1)
	v_div_fmas_f32 v128, v128, v131, v132
	v_div_fixup_f32 v128, v128, v129, 1.0
	s_delay_alu instid0(VALU_DEP_1)
	v_mul_f32_e32 v130, v130, v128
	v_xor_b32_e32 v131, 0x80000000, v128
                                        ; implicit-def: $vgpr128_vgpr129
.LBB49_122:
	s_and_not1_saveexec_b32 s1, s1
	s_cbranch_execz .LBB49_124
; %bb.123:
	v_div_scale_f32 v130, null, v128, v128, v129
	v_div_scale_f32 v133, vcc_lo, v129, v128, v129
	s_delay_alu instid0(VALU_DEP_2) | instskip(SKIP_1) | instid1(TRANS32_DEP_1)
	v_rcp_f32_e32 v131, v130
	v_nop
	v_fma_f32 v132, -v130, v131, 1.0
	s_delay_alu instid0(VALU_DEP_1) | instskip(NEXT) | instid1(VALU_DEP_1)
	v_fmac_f32_e32 v131, v132, v131
	v_mul_f32_e32 v132, v133, v131
	s_delay_alu instid0(VALU_DEP_1) | instskip(NEXT) | instid1(VALU_DEP_1)
	v_fma_f32 v134, -v130, v132, v133
	v_fmac_f32_e32 v132, v134, v131
	s_delay_alu instid0(VALU_DEP_1) | instskip(NEXT) | instid1(VALU_DEP_1)
	v_fma_f32 v130, -v130, v132, v133
	v_div_fmas_f32 v130, v130, v131, v132
	s_delay_alu instid0(VALU_DEP_1) | instskip(NEXT) | instid1(VALU_DEP_1)
	v_div_fixup_f32 v131, v130, v128, v129
	v_fmac_f32_e32 v128, v129, v131
	s_delay_alu instid0(VALU_DEP_1) | instskip(NEXT) | instid1(VALU_DEP_1)
	v_div_scale_f32 v129, null, v128, v128, 1.0
	v_rcp_f32_e32 v130, v129
	v_nop
	s_delay_alu instid0(TRANS32_DEP_1) | instskip(NEXT) | instid1(VALU_DEP_1)
	v_fma_f32 v132, -v129, v130, 1.0
	v_fmac_f32_e32 v130, v132, v130
	v_div_scale_f32 v132, vcc_lo, 1.0, v128, 1.0
	s_delay_alu instid0(VALU_DEP_1) | instskip(NEXT) | instid1(VALU_DEP_1)
	v_mul_f32_e32 v133, v132, v130
	v_fma_f32 v134, -v129, v133, v132
	s_delay_alu instid0(VALU_DEP_1) | instskip(NEXT) | instid1(VALU_DEP_1)
	v_fmac_f32_e32 v133, v134, v130
	v_fma_f32 v129, -v129, v133, v132
	s_delay_alu instid0(VALU_DEP_1) | instskip(NEXT) | instid1(VALU_DEP_1)
	v_div_fmas_f32 v129, v129, v130, v133
	v_div_fixup_f32 v130, v129, v128, 1.0
	s_delay_alu instid0(VALU_DEP_1)
	v_mul_f32_e64 v131, v131, -v130
.LBB49_124:
	s_or_b32 exec_lo, exec_lo, s1
	ds_store_b64 v153, v[130:131]
.LBB49_125:
	s_or_b32 exec_lo, exec_lo, s2
	s_wait_dscnt 0x0
	s_barrier_signal -1
	s_barrier_wait -1
	ds_load_b64 v[128:129], v153
	s_mov_b32 s1, exec_lo
	v_cmpx_lt_u32_e32 13, v152
	s_cbranch_execz .LBB49_127
; %bb.126:
	s_wait_dscnt 0x0
	v_pk_mul_f32 v[130:131], v[128:129], v[68:69] op_sel:[1,1] op_sel_hi:[0,1]
	s_delay_alu instid0(VALU_DEP_1)
	v_pk_fma_f32 v[134:135], v[128:129], v[68:69], v[130:131] op_sel_hi:[1,0,1] neg_lo:[0,0,1] neg_hi:[0,0,1]
	v_pk_fma_f32 v[136:137], v[128:129], v[68:69], v[130:131] op_sel_hi:[1,0,1]
	ds_load_2addr_b64 v[130:133], v154 offset0:14 offset1:15
	v_dual_mov_b32 v68, v134 :: v_dual_mov_b32 v69, v137
	s_wait_dscnt 0x0
	v_pk_mul_f32 v[138:139], v[130:131], v[136:137] op_sel:[0,1]
	s_delay_alu instid0(VALU_DEP_1) | instskip(SKIP_1) | instid1(VALU_DEP_1)
	v_pk_fma_f32 v[140:141], v[130:131], v[134:135], v[138:139] op_sel:[0,0,1] op_sel_hi:[1,1,0] neg_lo:[0,0,1] neg_hi:[0,0,1]
	v_pk_fma_f32 v[130:131], v[130:131], v[134:135], v[138:139] op_sel:[0,0,1] op_sel_hi:[1,0,0]
	v_mov_b32_e32 v141, v131
	v_pk_mul_f32 v[130:131], v[132:133], v[136:137] op_sel:[0,1]
	s_delay_alu instid0(VALU_DEP_1) | instskip(SKIP_1) | instid1(VALU_DEP_1)
	v_pk_fma_f32 v[138:139], v[132:133], v[134:135], v[130:131] op_sel:[0,0,1] op_sel_hi:[1,1,0] neg_lo:[0,0,1] neg_hi:[0,0,1]
	v_pk_fma_f32 v[130:131], v[132:133], v[134:135], v[130:131] op_sel:[0,0,1] op_sel_hi:[1,0,0]
	v_mov_b32_e32 v139, v131
	ds_load_2addr_b64 v[130:133], v154 offset0:16 offset1:17
	v_pk_add_f32 v[70:71], v[70:71], v[140:141] neg_lo:[0,1] neg_hi:[0,1]
	v_pk_add_f32 v[66:67], v[66:67], v[138:139] neg_lo:[0,1] neg_hi:[0,1]
	s_wait_dscnt 0x0
	v_pk_mul_f32 v[138:139], v[130:131], v[136:137] op_sel:[0,1]
	s_delay_alu instid0(VALU_DEP_1) | instskip(SKIP_2) | instid1(VALU_DEP_2)
	v_pk_fma_f32 v[140:141], v[130:131], v[134:135], v[138:139] op_sel:[0,0,1] op_sel_hi:[1,1,0] neg_lo:[0,0,1] neg_hi:[0,0,1]
	v_pk_fma_f32 v[130:131], v[130:131], v[134:135], v[138:139] op_sel:[0,0,1] op_sel_hi:[1,0,0]
	v_dual_mul_f32 v138, v133, v137 :: v_dual_mov_b32 v130, v133
	v_dual_mov_b32 v141, v131 :: v_dual_mov_b32 v131, v132
	s_delay_alu instid0(VALU_DEP_2) | instskip(SKIP_1) | instid1(VALU_DEP_3)
	v_pk_fma_f32 v[138:139], v[132:133], v[68:69], v[138:139] op_sel_hi:[1,1,0] neg_lo:[0,0,1] neg_hi:[0,0,1]
	v_mul_f32_e32 v132, v133, v134
	v_pk_add_f32 v[92:93], v[92:93], v[140:141] neg_lo:[0,1] neg_hi:[0,1]
	s_delay_alu instid0(VALU_DEP_2) | instskip(NEXT) | instid1(VALU_DEP_1)
	v_pk_fma_f32 v[130:131], v[130:131], v[68:69], v[132:133] op_sel_hi:[1,1,0]
	v_mov_b32_e32 v139, v131
	ds_load_2addr_b64 v[130:133], v154 offset0:18 offset1:19
	v_pk_add_f32 v[86:87], v[86:87], v[138:139] neg_lo:[0,1] neg_hi:[0,1]
	s_wait_dscnt 0x0
	v_pk_mul_f32 v[138:139], v[130:131], v[136:137] op_sel:[0,1]
	s_delay_alu instid0(VALU_DEP_1) | instskip(SKIP_1) | instid1(VALU_DEP_1)
	v_pk_fma_f32 v[140:141], v[130:131], v[134:135], v[138:139] op_sel:[0,0,1] op_sel_hi:[1,1,0] neg_lo:[0,0,1] neg_hi:[0,0,1]
	v_pk_fma_f32 v[130:131], v[130:131], v[134:135], v[138:139] op_sel:[0,0,1] op_sel_hi:[1,0,0]
	v_mov_b32_e32 v141, v131
	v_pk_mul_f32 v[130:131], v[132:133], v[136:137] op_sel:[0,1]
	s_delay_alu instid0(VALU_DEP_1) | instskip(SKIP_1) | instid1(VALU_DEP_1)
	v_pk_fma_f32 v[138:139], v[132:133], v[134:135], v[130:131] op_sel:[0,0,1] op_sel_hi:[1,1,0] neg_lo:[0,0,1] neg_hi:[0,0,1]
	v_pk_fma_f32 v[130:131], v[132:133], v[134:135], v[130:131] op_sel:[0,0,1] op_sel_hi:[1,0,0]
	v_mov_b32_e32 v139, v131
	ds_load_2addr_b64 v[130:133], v154 offset0:20 offset1:21
	v_pk_add_f32 v[90:91], v[90:91], v[140:141] neg_lo:[0,1] neg_hi:[0,1]
	v_pk_add_f32 v[84:85], v[84:85], v[138:139] neg_lo:[0,1] neg_hi:[0,1]
	s_wait_dscnt 0x0
	v_pk_mul_f32 v[138:139], v[130:131], v[136:137] op_sel:[0,1]
	s_delay_alu instid0(VALU_DEP_1) | instskip(SKIP_1) | instid1(VALU_DEP_1)
	v_pk_fma_f32 v[140:141], v[130:131], v[134:135], v[138:139] op_sel:[0,0,1] op_sel_hi:[1,1,0] neg_lo:[0,0,1] neg_hi:[0,0,1]
	v_pk_fma_f32 v[130:131], v[130:131], v[134:135], v[138:139] op_sel:[0,0,1] op_sel_hi:[1,0,0]
	v_mov_b32_e32 v141, v131
	v_pk_mul_f32 v[130:131], v[132:133], v[136:137] op_sel:[0,1]
	s_delay_alu instid0(VALU_DEP_1) | instskip(SKIP_1) | instid1(VALU_DEP_1)
	v_pk_fma_f32 v[138:139], v[132:133], v[134:135], v[130:131] op_sel:[0,0,1] op_sel_hi:[1,1,0] neg_lo:[0,0,1] neg_hi:[0,0,1]
	v_pk_fma_f32 v[130:131], v[132:133], v[134:135], v[130:131] op_sel:[0,0,1] op_sel_hi:[1,0,0]
	v_mov_b32_e32 v139, v131
	ds_load_2addr_b64 v[130:133], v154 offset0:22 offset1:23
	v_pk_add_f32 v[88:89], v[88:89], v[140:141] neg_lo:[0,1] neg_hi:[0,1]
	v_pk_add_f32 v[98:99], v[98:99], v[138:139] neg_lo:[0,1] neg_hi:[0,1]
	s_wait_dscnt 0x0
	v_dual_mul_f32 v138, v131, v137 :: v_dual_mul_f32 v140, v131, v134
	s_delay_alu instid0(VALU_DEP_1) | instskip(NEXT) | instid1(VALU_DEP_2)
	v_pk_fma_f32 v[138:139], v[130:131], v[68:69], v[138:139] op_sel_hi:[1,1,0] neg_lo:[0,0,1] neg_hi:[0,0,1]
	v_pk_fma_f32 v[130:131], v[130:131], v[68:69], v[140:141] op_sel:[1,0,0] op_sel_hi:[0,1,0]
	s_delay_alu instid0(VALU_DEP_1) | instskip(SKIP_1) | instid1(VALU_DEP_2)
	v_mov_b32_e32 v139, v131
	v_pk_mul_f32 v[130:131], v[132:133], v[136:137] op_sel:[0,1]
	v_pk_add_f32 v[96:97], v[96:97], v[138:139] neg_lo:[0,1] neg_hi:[0,1]
	s_delay_alu instid0(VALU_DEP_2) | instskip(SKIP_1) | instid1(VALU_DEP_1)
	v_pk_fma_f32 v[138:139], v[132:133], v[134:135], v[130:131] op_sel:[0,0,1] op_sel_hi:[1,1,0] neg_lo:[0,0,1] neg_hi:[0,0,1]
	v_pk_fma_f32 v[130:131], v[132:133], v[134:135], v[130:131] op_sel:[0,0,1] op_sel_hi:[1,0,0]
	v_mov_b32_e32 v139, v131
	ds_load_b64 v[130:131], v154 offset:192
	v_pk_add_f32 v[94:95], v[94:95], v[138:139] neg_lo:[0,1] neg_hi:[0,1]
	s_wait_dscnt 0x0
	v_pk_mul_f32 v[132:133], v[130:131], v[136:137] op_sel:[0,1]
	s_delay_alu instid0(VALU_DEP_1) | instskip(SKIP_1) | instid1(VALU_DEP_1)
	v_pk_fma_f32 v[136:137], v[130:131], v[134:135], v[132:133] op_sel:[0,0,1] op_sel_hi:[1,1,0] neg_lo:[0,0,1] neg_hi:[0,0,1]
	v_pk_fma_f32 v[130:131], v[130:131], v[134:135], v[132:133] op_sel:[0,0,1] op_sel_hi:[1,0,0]
	v_mov_b32_e32 v137, v131
	s_delay_alu instid0(VALU_DEP_1)
	v_pk_add_f32 v[100:101], v[100:101], v[136:137] neg_lo:[0,1] neg_hi:[0,1]
.LBB49_127:
	s_or_b32 exec_lo, exec_lo, s1
	s_delay_alu instid0(SALU_CYCLE_1)
	s_mov_b32 s2, exec_lo
	s_wait_dscnt 0x0
	s_barrier_signal -1
	s_barrier_wait -1
	v_cmpx_eq_u32_e32 14, v152
	s_cbranch_execz .LBB49_134
; %bb.128:
	ds_store_b64 v153, v[70:71]
	ds_store_2addr_b64 v154, v[66:67], v[92:93] offset0:15 offset1:16
	ds_store_2addr_b64 v154, v[86:87], v[90:91] offset0:17 offset1:18
	;; [unrolled: 1-line block ×5, first 2 shown]
	ds_load_b64 v[130:131], v153
	s_wait_dscnt 0x0
	v_cmp_neq_f32_e32 vcc_lo, 0, v130
	v_cmp_neq_f32_e64 s1, 0, v131
	s_or_b32 s1, vcc_lo, s1
	s_delay_alu instid0(SALU_CYCLE_1)
	s_and_b32 exec_lo, exec_lo, s1
	s_cbranch_execz .LBB49_134
; %bb.129:
	v_cmp_ngt_f32_e64 s1, |v130|, |v131|
                                        ; implicit-def: $vgpr132_vgpr133
	s_and_saveexec_b32 s4, s1
	s_delay_alu instid0(SALU_CYCLE_1)
	s_xor_b32 s1, exec_lo, s4
	s_cbranch_execz .LBB49_131
; %bb.130:
	v_div_scale_f32 v132, null, v131, v131, v130
	v_div_scale_f32 v135, vcc_lo, v130, v131, v130
	s_delay_alu instid0(VALU_DEP_2) | instskip(SKIP_1) | instid1(TRANS32_DEP_1)
	v_rcp_f32_e32 v133, v132
	v_nop
	v_fma_f32 v134, -v132, v133, 1.0
	s_delay_alu instid0(VALU_DEP_1) | instskip(NEXT) | instid1(VALU_DEP_1)
	v_fmac_f32_e32 v133, v134, v133
	v_mul_f32_e32 v134, v135, v133
	s_delay_alu instid0(VALU_DEP_1) | instskip(NEXT) | instid1(VALU_DEP_1)
	v_fma_f32 v136, -v132, v134, v135
	v_fmac_f32_e32 v134, v136, v133
	s_delay_alu instid0(VALU_DEP_1) | instskip(NEXT) | instid1(VALU_DEP_1)
	v_fma_f32 v132, -v132, v134, v135
	v_div_fmas_f32 v132, v132, v133, v134
	s_delay_alu instid0(VALU_DEP_1) | instskip(NEXT) | instid1(VALU_DEP_1)
	v_div_fixup_f32 v132, v132, v131, v130
	v_fmac_f32_e32 v131, v130, v132
	s_delay_alu instid0(VALU_DEP_1) | instskip(SKIP_1) | instid1(VALU_DEP_2)
	v_div_scale_f32 v130, null, v131, v131, 1.0
	v_div_scale_f32 v135, vcc_lo, 1.0, v131, 1.0
	v_rcp_f32_e32 v133, v130
	v_nop
	s_delay_alu instid0(TRANS32_DEP_1) | instskip(NEXT) | instid1(VALU_DEP_1)
	v_fma_f32 v134, -v130, v133, 1.0
	v_fmac_f32_e32 v133, v134, v133
	s_delay_alu instid0(VALU_DEP_1) | instskip(NEXT) | instid1(VALU_DEP_1)
	v_mul_f32_e32 v134, v135, v133
	v_fma_f32 v136, -v130, v134, v135
	s_delay_alu instid0(VALU_DEP_1) | instskip(NEXT) | instid1(VALU_DEP_1)
	v_fmac_f32_e32 v134, v136, v133
	v_fma_f32 v130, -v130, v134, v135
	s_delay_alu instid0(VALU_DEP_1) | instskip(NEXT) | instid1(VALU_DEP_1)
	v_div_fmas_f32 v130, v130, v133, v134
	v_div_fixup_f32 v130, v130, v131, 1.0
	s_delay_alu instid0(VALU_DEP_1)
	v_mul_f32_e32 v132, v132, v130
	v_xor_b32_e32 v133, 0x80000000, v130
                                        ; implicit-def: $vgpr130_vgpr131
.LBB49_131:
	s_and_not1_saveexec_b32 s1, s1
	s_cbranch_execz .LBB49_133
; %bb.132:
	v_div_scale_f32 v132, null, v130, v130, v131
	v_div_scale_f32 v135, vcc_lo, v131, v130, v131
	s_delay_alu instid0(VALU_DEP_2) | instskip(SKIP_1) | instid1(TRANS32_DEP_1)
	v_rcp_f32_e32 v133, v132
	v_nop
	v_fma_f32 v134, -v132, v133, 1.0
	s_delay_alu instid0(VALU_DEP_1) | instskip(NEXT) | instid1(VALU_DEP_1)
	v_fmac_f32_e32 v133, v134, v133
	v_mul_f32_e32 v134, v135, v133
	s_delay_alu instid0(VALU_DEP_1) | instskip(NEXT) | instid1(VALU_DEP_1)
	v_fma_f32 v136, -v132, v134, v135
	v_fmac_f32_e32 v134, v136, v133
	s_delay_alu instid0(VALU_DEP_1) | instskip(NEXT) | instid1(VALU_DEP_1)
	v_fma_f32 v132, -v132, v134, v135
	v_div_fmas_f32 v132, v132, v133, v134
	s_delay_alu instid0(VALU_DEP_1) | instskip(NEXT) | instid1(VALU_DEP_1)
	v_div_fixup_f32 v133, v132, v130, v131
	v_fmac_f32_e32 v130, v131, v133
	s_delay_alu instid0(VALU_DEP_1) | instskip(NEXT) | instid1(VALU_DEP_1)
	v_div_scale_f32 v131, null, v130, v130, 1.0
	v_rcp_f32_e32 v132, v131
	v_nop
	s_delay_alu instid0(TRANS32_DEP_1) | instskip(NEXT) | instid1(VALU_DEP_1)
	v_fma_f32 v134, -v131, v132, 1.0
	v_fmac_f32_e32 v132, v134, v132
	v_div_scale_f32 v134, vcc_lo, 1.0, v130, 1.0
	s_delay_alu instid0(VALU_DEP_1) | instskip(NEXT) | instid1(VALU_DEP_1)
	v_mul_f32_e32 v135, v134, v132
	v_fma_f32 v136, -v131, v135, v134
	s_delay_alu instid0(VALU_DEP_1) | instskip(NEXT) | instid1(VALU_DEP_1)
	v_fmac_f32_e32 v135, v136, v132
	v_fma_f32 v131, -v131, v135, v134
	s_delay_alu instid0(VALU_DEP_1) | instskip(NEXT) | instid1(VALU_DEP_1)
	v_div_fmas_f32 v131, v131, v132, v135
	v_div_fixup_f32 v132, v131, v130, 1.0
	s_delay_alu instid0(VALU_DEP_1)
	v_mul_f32_e64 v133, v133, -v132
.LBB49_133:
	s_or_b32 exec_lo, exec_lo, s1
	ds_store_b64 v153, v[132:133]
.LBB49_134:
	s_or_b32 exec_lo, exec_lo, s2
	s_wait_dscnt 0x0
	s_barrier_signal -1
	s_barrier_wait -1
	ds_load_b64 v[130:131], v153
	s_mov_b32 s1, exec_lo
	v_cmpx_lt_u32_e32 14, v152
	s_cbranch_execz .LBB49_136
; %bb.135:
	s_wait_dscnt 0x0
	v_pk_mul_f32 v[132:133], v[130:131], v[70:71] op_sel:[1,1] op_sel_hi:[0,1]
	s_delay_alu instid0(VALU_DEP_1)
	v_pk_fma_f32 v[136:137], v[130:131], v[70:71], v[132:133] op_sel_hi:[1,0,1] neg_lo:[0,0,1] neg_hi:[0,0,1]
	v_pk_fma_f32 v[138:139], v[130:131], v[70:71], v[132:133] op_sel_hi:[1,0,1]
	ds_load_2addr_b64 v[132:135], v154 offset0:15 offset1:16
	v_dual_mov_b32 v70, v136 :: v_dual_mov_b32 v71, v139
	s_wait_dscnt 0x0
	v_pk_mul_f32 v[140:141], v[132:133], v[138:139] op_sel:[0,1]
	s_delay_alu instid0(VALU_DEP_1) | instskip(SKIP_1) | instid1(VALU_DEP_1)
	v_pk_fma_f32 v[142:143], v[132:133], v[136:137], v[140:141] op_sel:[0,0,1] op_sel_hi:[1,1,0] neg_lo:[0,0,1] neg_hi:[0,0,1]
	v_pk_fma_f32 v[132:133], v[132:133], v[136:137], v[140:141] op_sel:[0,0,1] op_sel_hi:[1,0,0]
	v_mov_b32_e32 v143, v133
	v_pk_mul_f32 v[132:133], v[134:135], v[138:139] op_sel:[0,1]
	s_delay_alu instid0(VALU_DEP_1) | instskip(SKIP_1) | instid1(VALU_DEP_1)
	v_pk_fma_f32 v[140:141], v[134:135], v[136:137], v[132:133] op_sel:[0,0,1] op_sel_hi:[1,1,0] neg_lo:[0,0,1] neg_hi:[0,0,1]
	v_pk_fma_f32 v[132:133], v[134:135], v[136:137], v[132:133] op_sel:[0,0,1] op_sel_hi:[1,0,0]
	v_mov_b32_e32 v141, v133
	ds_load_2addr_b64 v[132:135], v154 offset0:17 offset1:18
	v_pk_add_f32 v[66:67], v[66:67], v[142:143] neg_lo:[0,1] neg_hi:[0,1]
	v_pk_add_f32 v[92:93], v[92:93], v[140:141] neg_lo:[0,1] neg_hi:[0,1]
	s_wait_dscnt 0x0
	v_pk_mul_f32 v[140:141], v[132:133], v[138:139] op_sel:[0,1]
	s_delay_alu instid0(VALU_DEP_1) | instskip(SKIP_2) | instid1(VALU_DEP_2)
	v_pk_fma_f32 v[142:143], v[132:133], v[136:137], v[140:141] op_sel:[0,0,1] op_sel_hi:[1,1,0] neg_lo:[0,0,1] neg_hi:[0,0,1]
	v_pk_fma_f32 v[132:133], v[132:133], v[136:137], v[140:141] op_sel:[0,0,1] op_sel_hi:[1,0,0]
	v_dual_mul_f32 v140, v135, v139 :: v_dual_mov_b32 v132, v135
	v_dual_mov_b32 v143, v133 :: v_dual_mov_b32 v133, v134
	s_delay_alu instid0(VALU_DEP_2) | instskip(SKIP_1) | instid1(VALU_DEP_3)
	v_pk_fma_f32 v[140:141], v[134:135], v[70:71], v[140:141] op_sel_hi:[1,1,0] neg_lo:[0,0,1] neg_hi:[0,0,1]
	v_mul_f32_e32 v134, v135, v136
	v_pk_add_f32 v[86:87], v[86:87], v[142:143] neg_lo:[0,1] neg_hi:[0,1]
	s_delay_alu instid0(VALU_DEP_2) | instskip(NEXT) | instid1(VALU_DEP_1)
	v_pk_fma_f32 v[132:133], v[132:133], v[70:71], v[134:135] op_sel_hi:[1,1,0]
	v_mov_b32_e32 v141, v133
	ds_load_2addr_b64 v[132:135], v154 offset0:19 offset1:20
	v_pk_add_f32 v[90:91], v[90:91], v[140:141] neg_lo:[0,1] neg_hi:[0,1]
	s_wait_dscnt 0x0
	v_pk_mul_f32 v[140:141], v[132:133], v[138:139] op_sel:[0,1]
	s_delay_alu instid0(VALU_DEP_1) | instskip(SKIP_1) | instid1(VALU_DEP_1)
	v_pk_fma_f32 v[142:143], v[132:133], v[136:137], v[140:141] op_sel:[0,0,1] op_sel_hi:[1,1,0] neg_lo:[0,0,1] neg_hi:[0,0,1]
	v_pk_fma_f32 v[132:133], v[132:133], v[136:137], v[140:141] op_sel:[0,0,1] op_sel_hi:[1,0,0]
	v_mov_b32_e32 v143, v133
	v_pk_mul_f32 v[132:133], v[134:135], v[138:139] op_sel:[0,1]
	s_delay_alu instid0(VALU_DEP_1) | instskip(SKIP_1) | instid1(VALU_DEP_1)
	v_pk_fma_f32 v[140:141], v[134:135], v[136:137], v[132:133] op_sel:[0,0,1] op_sel_hi:[1,1,0] neg_lo:[0,0,1] neg_hi:[0,0,1]
	v_pk_fma_f32 v[132:133], v[134:135], v[136:137], v[132:133] op_sel:[0,0,1] op_sel_hi:[1,0,0]
	v_mov_b32_e32 v141, v133
	ds_load_2addr_b64 v[132:135], v154 offset0:21 offset1:22
	v_pk_add_f32 v[84:85], v[84:85], v[142:143] neg_lo:[0,1] neg_hi:[0,1]
	v_pk_add_f32 v[88:89], v[88:89], v[140:141] neg_lo:[0,1] neg_hi:[0,1]
	s_wait_dscnt 0x0
	v_pk_mul_f32 v[140:141], v[132:133], v[138:139] op_sel:[0,1]
	s_delay_alu instid0(VALU_DEP_1) | instskip(SKIP_1) | instid1(VALU_DEP_1)
	v_pk_fma_f32 v[142:143], v[132:133], v[136:137], v[140:141] op_sel:[0,0,1] op_sel_hi:[1,1,0] neg_lo:[0,0,1] neg_hi:[0,0,1]
	v_pk_fma_f32 v[132:133], v[132:133], v[136:137], v[140:141] op_sel:[0,0,1] op_sel_hi:[1,0,0]
	v_mov_b32_e32 v143, v133
	v_pk_mul_f32 v[132:133], v[134:135], v[138:139] op_sel:[0,1]
	s_delay_alu instid0(VALU_DEP_1) | instskip(SKIP_1) | instid1(VALU_DEP_1)
	v_pk_fma_f32 v[140:141], v[134:135], v[136:137], v[132:133] op_sel:[0,0,1] op_sel_hi:[1,1,0] neg_lo:[0,0,1] neg_hi:[0,0,1]
	v_pk_fma_f32 v[132:133], v[134:135], v[136:137], v[132:133] op_sel:[0,0,1] op_sel_hi:[1,0,0]
	v_mov_b32_e32 v141, v133
	ds_load_2addr_b64 v[132:135], v154 offset0:23 offset1:24
	v_pk_add_f32 v[98:99], v[98:99], v[142:143] neg_lo:[0,1] neg_hi:[0,1]
	v_pk_add_f32 v[96:97], v[96:97], v[140:141] neg_lo:[0,1] neg_hi:[0,1]
	s_wait_dscnt 0x0
	v_dual_mul_f32 v140, v133, v139 :: v_dual_mul_f32 v142, v133, v136
	s_delay_alu instid0(VALU_DEP_1) | instskip(NEXT) | instid1(VALU_DEP_2)
	v_pk_fma_f32 v[140:141], v[132:133], v[70:71], v[140:141] op_sel_hi:[1,1,0] neg_lo:[0,0,1] neg_hi:[0,0,1]
	v_pk_fma_f32 v[132:133], v[132:133], v[70:71], v[142:143] op_sel:[1,0,0] op_sel_hi:[0,1,0]
	s_delay_alu instid0(VALU_DEP_1) | instskip(SKIP_1) | instid1(VALU_DEP_1)
	v_mov_b32_e32 v141, v133
	v_pk_mul_f32 v[132:133], v[134:135], v[138:139] op_sel:[0,1]
	v_pk_fma_f32 v[138:139], v[134:135], v[136:137], v[132:133] op_sel:[0,0,1] op_sel_hi:[1,1,0] neg_lo:[0,0,1] neg_hi:[0,0,1]
	v_pk_fma_f32 v[132:133], v[134:135], v[136:137], v[132:133] op_sel:[0,0,1] op_sel_hi:[1,0,0]
	s_delay_alu instid0(VALU_DEP_1) | instskip(SKIP_1) | instid1(VALU_DEP_2)
	v_mov_b32_e32 v139, v133
	v_pk_add_f32 v[94:95], v[94:95], v[140:141] neg_lo:[0,1] neg_hi:[0,1]
	v_pk_add_f32 v[100:101], v[100:101], v[138:139] neg_lo:[0,1] neg_hi:[0,1]
.LBB49_136:
	s_or_b32 exec_lo, exec_lo, s1
	s_delay_alu instid0(SALU_CYCLE_1)
	s_mov_b32 s2, exec_lo
	s_wait_dscnt 0x0
	s_barrier_signal -1
	s_barrier_wait -1
	v_cmpx_eq_u32_e32 15, v152
	s_cbranch_execz .LBB49_143
; %bb.137:
	v_dual_mov_b32 v132, v92 :: v_dual_mov_b32 v133, v93
	v_dual_mov_b32 v134, v86 :: v_dual_mov_b32 v135, v87
	;; [unrolled: 1-line block ×8, first 2 shown]
	ds_store_b64 v153, v[66:67]
	ds_store_2addr_b64 v154, v[132:133], v[134:135] offset0:16 offset1:17
	ds_store_2addr_b64 v154, v[136:137], v[138:139] offset0:18 offset1:19
	;; [unrolled: 1-line block ×4, first 2 shown]
	ds_store_b64 v154, v[100:101] offset:192
	ds_load_b64 v[132:133], v153
	s_wait_dscnt 0x0
	v_cmp_neq_f32_e32 vcc_lo, 0, v132
	v_cmp_neq_f32_e64 s1, 0, v133
	s_or_b32 s1, vcc_lo, s1
	s_delay_alu instid0(SALU_CYCLE_1)
	s_and_b32 exec_lo, exec_lo, s1
	s_cbranch_execz .LBB49_143
; %bb.138:
	v_cmp_ngt_f32_e64 s1, |v132|, |v133|
                                        ; implicit-def: $vgpr134_vgpr135
	s_and_saveexec_b32 s4, s1
	s_delay_alu instid0(SALU_CYCLE_1)
	s_xor_b32 s1, exec_lo, s4
	s_cbranch_execz .LBB49_140
; %bb.139:
	v_div_scale_f32 v134, null, v133, v133, v132
	v_div_scale_f32 v137, vcc_lo, v132, v133, v132
	s_delay_alu instid0(VALU_DEP_2) | instskip(SKIP_1) | instid1(TRANS32_DEP_1)
	v_rcp_f32_e32 v135, v134
	v_nop
	v_fma_f32 v136, -v134, v135, 1.0
	s_delay_alu instid0(VALU_DEP_1) | instskip(NEXT) | instid1(VALU_DEP_1)
	v_fmac_f32_e32 v135, v136, v135
	v_mul_f32_e32 v136, v137, v135
	s_delay_alu instid0(VALU_DEP_1) | instskip(NEXT) | instid1(VALU_DEP_1)
	v_fma_f32 v138, -v134, v136, v137
	v_fmac_f32_e32 v136, v138, v135
	s_delay_alu instid0(VALU_DEP_1) | instskip(NEXT) | instid1(VALU_DEP_1)
	v_fma_f32 v134, -v134, v136, v137
	v_div_fmas_f32 v134, v134, v135, v136
	s_delay_alu instid0(VALU_DEP_1) | instskip(NEXT) | instid1(VALU_DEP_1)
	v_div_fixup_f32 v134, v134, v133, v132
	v_fmac_f32_e32 v133, v132, v134
	s_delay_alu instid0(VALU_DEP_1) | instskip(SKIP_1) | instid1(VALU_DEP_2)
	v_div_scale_f32 v132, null, v133, v133, 1.0
	v_div_scale_f32 v137, vcc_lo, 1.0, v133, 1.0
	v_rcp_f32_e32 v135, v132
	v_nop
	s_delay_alu instid0(TRANS32_DEP_1) | instskip(NEXT) | instid1(VALU_DEP_1)
	v_fma_f32 v136, -v132, v135, 1.0
	v_fmac_f32_e32 v135, v136, v135
	s_delay_alu instid0(VALU_DEP_1) | instskip(NEXT) | instid1(VALU_DEP_1)
	v_mul_f32_e32 v136, v137, v135
	v_fma_f32 v138, -v132, v136, v137
	s_delay_alu instid0(VALU_DEP_1) | instskip(NEXT) | instid1(VALU_DEP_1)
	v_fmac_f32_e32 v136, v138, v135
	v_fma_f32 v132, -v132, v136, v137
	s_delay_alu instid0(VALU_DEP_1) | instskip(NEXT) | instid1(VALU_DEP_1)
	v_div_fmas_f32 v132, v132, v135, v136
	v_div_fixup_f32 v132, v132, v133, 1.0
	s_delay_alu instid0(VALU_DEP_1)
	v_mul_f32_e32 v134, v134, v132
	v_xor_b32_e32 v135, 0x80000000, v132
                                        ; implicit-def: $vgpr132_vgpr133
.LBB49_140:
	s_and_not1_saveexec_b32 s1, s1
	s_cbranch_execz .LBB49_142
; %bb.141:
	v_div_scale_f32 v134, null, v132, v132, v133
	v_div_scale_f32 v137, vcc_lo, v133, v132, v133
	s_delay_alu instid0(VALU_DEP_2) | instskip(SKIP_1) | instid1(TRANS32_DEP_1)
	v_rcp_f32_e32 v135, v134
	v_nop
	v_fma_f32 v136, -v134, v135, 1.0
	s_delay_alu instid0(VALU_DEP_1) | instskip(NEXT) | instid1(VALU_DEP_1)
	v_fmac_f32_e32 v135, v136, v135
	v_mul_f32_e32 v136, v137, v135
	s_delay_alu instid0(VALU_DEP_1) | instskip(NEXT) | instid1(VALU_DEP_1)
	v_fma_f32 v138, -v134, v136, v137
	v_fmac_f32_e32 v136, v138, v135
	s_delay_alu instid0(VALU_DEP_1) | instskip(NEXT) | instid1(VALU_DEP_1)
	v_fma_f32 v134, -v134, v136, v137
	v_div_fmas_f32 v134, v134, v135, v136
	s_delay_alu instid0(VALU_DEP_1) | instskip(NEXT) | instid1(VALU_DEP_1)
	v_div_fixup_f32 v135, v134, v132, v133
	v_fmac_f32_e32 v132, v133, v135
	s_delay_alu instid0(VALU_DEP_1) | instskip(NEXT) | instid1(VALU_DEP_1)
	v_div_scale_f32 v133, null, v132, v132, 1.0
	v_rcp_f32_e32 v134, v133
	v_nop
	s_delay_alu instid0(TRANS32_DEP_1) | instskip(NEXT) | instid1(VALU_DEP_1)
	v_fma_f32 v136, -v133, v134, 1.0
	v_fmac_f32_e32 v134, v136, v134
	v_div_scale_f32 v136, vcc_lo, 1.0, v132, 1.0
	s_delay_alu instid0(VALU_DEP_1) | instskip(NEXT) | instid1(VALU_DEP_1)
	v_mul_f32_e32 v137, v136, v134
	v_fma_f32 v138, -v133, v137, v136
	s_delay_alu instid0(VALU_DEP_1) | instskip(NEXT) | instid1(VALU_DEP_1)
	v_fmac_f32_e32 v137, v138, v134
	v_fma_f32 v133, -v133, v137, v136
	s_delay_alu instid0(VALU_DEP_1) | instskip(NEXT) | instid1(VALU_DEP_1)
	v_div_fmas_f32 v133, v133, v134, v137
	v_div_fixup_f32 v134, v133, v132, 1.0
	s_delay_alu instid0(VALU_DEP_1)
	v_mul_f32_e64 v135, v135, -v134
.LBB49_142:
	s_or_b32 exec_lo, exec_lo, s1
	ds_store_b64 v153, v[134:135]
.LBB49_143:
	s_or_b32 exec_lo, exec_lo, s2
	s_wait_dscnt 0x0
	s_barrier_signal -1
	s_barrier_wait -1
	ds_load_b64 v[132:133], v153
	s_mov_b32 s1, exec_lo
	v_cmpx_lt_u32_e32 15, v152
	s_cbranch_execz .LBB49_145
; %bb.144:
	s_wait_dscnt 0x0
	v_pk_mul_f32 v[134:135], v[132:133], v[66:67] op_sel:[1,1] op_sel_hi:[0,1]
	s_delay_alu instid0(VALU_DEP_1)
	v_pk_fma_f32 v[138:139], v[132:133], v[66:67], v[134:135] op_sel_hi:[1,0,1] neg_lo:[0,0,1] neg_hi:[0,0,1]
	v_pk_fma_f32 v[140:141], v[132:133], v[66:67], v[134:135] op_sel_hi:[1,0,1]
	ds_load_2addr_b64 v[134:137], v154 offset0:16 offset1:17
	v_dual_mov_b32 v66, v138 :: v_dual_mov_b32 v67, v141
	s_wait_dscnt 0x0
	v_pk_mul_f32 v[142:143], v[134:135], v[140:141] op_sel:[0,1]
	s_delay_alu instid0(VALU_DEP_1) | instskip(SKIP_1) | instid1(VALU_DEP_1)
	v_pk_fma_f32 v[144:145], v[134:135], v[138:139], v[142:143] op_sel:[0,0,1] op_sel_hi:[1,1,0] neg_lo:[0,0,1] neg_hi:[0,0,1]
	v_pk_fma_f32 v[134:135], v[134:135], v[138:139], v[142:143] op_sel:[0,0,1] op_sel_hi:[1,0,0]
	v_mov_b32_e32 v145, v135
	v_pk_mul_f32 v[134:135], v[136:137], v[140:141] op_sel:[0,1]
	s_delay_alu instid0(VALU_DEP_1) | instskip(SKIP_1) | instid1(VALU_DEP_1)
	v_pk_fma_f32 v[142:143], v[136:137], v[138:139], v[134:135] op_sel:[0,0,1] op_sel_hi:[1,1,0] neg_lo:[0,0,1] neg_hi:[0,0,1]
	v_pk_fma_f32 v[134:135], v[136:137], v[138:139], v[134:135] op_sel:[0,0,1] op_sel_hi:[1,0,0]
	v_mov_b32_e32 v143, v135
	ds_load_2addr_b64 v[134:137], v154 offset0:18 offset1:19
	v_pk_add_f32 v[92:93], v[92:93], v[144:145] neg_lo:[0,1] neg_hi:[0,1]
	v_pk_add_f32 v[86:87], v[86:87], v[142:143] neg_lo:[0,1] neg_hi:[0,1]
	s_wait_dscnt 0x0
	v_pk_mul_f32 v[142:143], v[134:135], v[140:141] op_sel:[0,1]
	s_delay_alu instid0(VALU_DEP_1) | instskip(SKIP_2) | instid1(VALU_DEP_2)
	v_pk_fma_f32 v[144:145], v[134:135], v[138:139], v[142:143] op_sel:[0,0,1] op_sel_hi:[1,1,0] neg_lo:[0,0,1] neg_hi:[0,0,1]
	v_pk_fma_f32 v[134:135], v[134:135], v[138:139], v[142:143] op_sel:[0,0,1] op_sel_hi:[1,0,0]
	v_dual_mul_f32 v142, v137, v141 :: v_dual_mov_b32 v134, v137
	v_dual_mov_b32 v145, v135 :: v_dual_mov_b32 v135, v136
	s_delay_alu instid0(VALU_DEP_2) | instskip(SKIP_1) | instid1(VALU_DEP_3)
	v_pk_fma_f32 v[142:143], v[136:137], v[66:67], v[142:143] op_sel_hi:[1,1,0] neg_lo:[0,0,1] neg_hi:[0,0,1]
	v_mul_f32_e32 v136, v137, v138
	v_pk_add_f32 v[90:91], v[90:91], v[144:145] neg_lo:[0,1] neg_hi:[0,1]
	s_delay_alu instid0(VALU_DEP_2) | instskip(NEXT) | instid1(VALU_DEP_1)
	v_pk_fma_f32 v[134:135], v[134:135], v[66:67], v[136:137] op_sel_hi:[1,1,0]
	v_mov_b32_e32 v143, v135
	ds_load_2addr_b64 v[134:137], v154 offset0:20 offset1:21
	v_pk_add_f32 v[84:85], v[84:85], v[142:143] neg_lo:[0,1] neg_hi:[0,1]
	s_wait_dscnt 0x0
	v_pk_mul_f32 v[142:143], v[134:135], v[140:141] op_sel:[0,1]
	s_delay_alu instid0(VALU_DEP_1) | instskip(SKIP_1) | instid1(VALU_DEP_1)
	v_pk_fma_f32 v[144:145], v[134:135], v[138:139], v[142:143] op_sel:[0,0,1] op_sel_hi:[1,1,0] neg_lo:[0,0,1] neg_hi:[0,0,1]
	v_pk_fma_f32 v[134:135], v[134:135], v[138:139], v[142:143] op_sel:[0,0,1] op_sel_hi:[1,0,0]
	v_mov_b32_e32 v145, v135
	v_pk_mul_f32 v[134:135], v[136:137], v[140:141] op_sel:[0,1]
	s_delay_alu instid0(VALU_DEP_1) | instskip(SKIP_1) | instid1(VALU_DEP_1)
	v_pk_fma_f32 v[142:143], v[136:137], v[138:139], v[134:135] op_sel:[0,0,1] op_sel_hi:[1,1,0] neg_lo:[0,0,1] neg_hi:[0,0,1]
	v_pk_fma_f32 v[134:135], v[136:137], v[138:139], v[134:135] op_sel:[0,0,1] op_sel_hi:[1,0,0]
	v_mov_b32_e32 v143, v135
	ds_load_2addr_b64 v[134:137], v154 offset0:22 offset1:23
	v_pk_add_f32 v[88:89], v[88:89], v[144:145] neg_lo:[0,1] neg_hi:[0,1]
	v_pk_add_f32 v[98:99], v[98:99], v[142:143] neg_lo:[0,1] neg_hi:[0,1]
	s_wait_dscnt 0x0
	v_pk_mul_f32 v[142:143], v[134:135], v[140:141] op_sel:[0,1]
	s_delay_alu instid0(VALU_DEP_1) | instskip(SKIP_1) | instid1(VALU_DEP_1)
	v_pk_fma_f32 v[144:145], v[134:135], v[138:139], v[142:143] op_sel:[0,0,1] op_sel_hi:[1,1,0] neg_lo:[0,0,1] neg_hi:[0,0,1]
	v_pk_fma_f32 v[134:135], v[134:135], v[138:139], v[142:143] op_sel:[0,0,1] op_sel_hi:[1,0,0]
	v_mov_b32_e32 v145, v135
	v_pk_mul_f32 v[134:135], v[136:137], v[140:141] op_sel:[0,1]
	s_delay_alu instid0(VALU_DEP_1) | instskip(SKIP_1) | instid1(VALU_DEP_1)
	v_pk_fma_f32 v[142:143], v[136:137], v[138:139], v[134:135] op_sel:[0,0,1] op_sel_hi:[1,1,0] neg_lo:[0,0,1] neg_hi:[0,0,1]
	v_pk_fma_f32 v[134:135], v[136:137], v[138:139], v[134:135] op_sel:[0,0,1] op_sel_hi:[1,0,0]
	v_mov_b32_e32 v143, v135
	ds_load_b64 v[134:135], v154 offset:192
	v_pk_add_f32 v[96:97], v[96:97], v[144:145] neg_lo:[0,1] neg_hi:[0,1]
	v_pk_add_f32 v[94:95], v[94:95], v[142:143] neg_lo:[0,1] neg_hi:[0,1]
	s_wait_dscnt 0x0
	v_pk_mul_f32 v[136:137], v[134:135], v[140:141] op_sel:[0,1]
	s_delay_alu instid0(VALU_DEP_1) | instskip(SKIP_1) | instid1(VALU_DEP_1)
	v_pk_fma_f32 v[140:141], v[134:135], v[138:139], v[136:137] op_sel:[0,0,1] op_sel_hi:[1,1,0] neg_lo:[0,0,1] neg_hi:[0,0,1]
	v_pk_fma_f32 v[134:135], v[134:135], v[138:139], v[136:137] op_sel:[0,0,1] op_sel_hi:[1,0,0]
	v_mov_b32_e32 v141, v135
	s_delay_alu instid0(VALU_DEP_1)
	v_pk_add_f32 v[100:101], v[100:101], v[140:141] neg_lo:[0,1] neg_hi:[0,1]
.LBB49_145:
	s_or_b32 exec_lo, exec_lo, s1
	s_delay_alu instid0(SALU_CYCLE_1)
	s_mov_b32 s2, exec_lo
	s_wait_dscnt 0x0
	s_barrier_signal -1
	s_barrier_wait -1
	v_cmpx_eq_u32_e32 16, v152
	s_cbranch_execz .LBB49_152
; %bb.146:
	ds_store_b64 v153, v[92:93]
	ds_store_2addr_b64 v154, v[86:87], v[90:91] offset0:17 offset1:18
	ds_store_2addr_b64 v154, v[84:85], v[88:89] offset0:19 offset1:20
	;; [unrolled: 1-line block ×4, first 2 shown]
	ds_load_b64 v[134:135], v153
	s_wait_dscnt 0x0
	v_cmp_neq_f32_e32 vcc_lo, 0, v134
	v_cmp_neq_f32_e64 s1, 0, v135
	s_or_b32 s1, vcc_lo, s1
	s_delay_alu instid0(SALU_CYCLE_1)
	s_and_b32 exec_lo, exec_lo, s1
	s_cbranch_execz .LBB49_152
; %bb.147:
	v_cmp_ngt_f32_e64 s1, |v134|, |v135|
                                        ; implicit-def: $vgpr136_vgpr137
	s_and_saveexec_b32 s4, s1
	s_delay_alu instid0(SALU_CYCLE_1)
	s_xor_b32 s1, exec_lo, s4
	s_cbranch_execz .LBB49_149
; %bb.148:
	v_div_scale_f32 v136, null, v135, v135, v134
	v_div_scale_f32 v139, vcc_lo, v134, v135, v134
	s_delay_alu instid0(VALU_DEP_2) | instskip(SKIP_1) | instid1(TRANS32_DEP_1)
	v_rcp_f32_e32 v137, v136
	v_nop
	v_fma_f32 v138, -v136, v137, 1.0
	s_delay_alu instid0(VALU_DEP_1) | instskip(NEXT) | instid1(VALU_DEP_1)
	v_fmac_f32_e32 v137, v138, v137
	v_mul_f32_e32 v138, v139, v137
	s_delay_alu instid0(VALU_DEP_1) | instskip(NEXT) | instid1(VALU_DEP_1)
	v_fma_f32 v140, -v136, v138, v139
	v_fmac_f32_e32 v138, v140, v137
	s_delay_alu instid0(VALU_DEP_1) | instskip(NEXT) | instid1(VALU_DEP_1)
	v_fma_f32 v136, -v136, v138, v139
	v_div_fmas_f32 v136, v136, v137, v138
	s_delay_alu instid0(VALU_DEP_1) | instskip(NEXT) | instid1(VALU_DEP_1)
	v_div_fixup_f32 v136, v136, v135, v134
	v_fmac_f32_e32 v135, v134, v136
	s_delay_alu instid0(VALU_DEP_1) | instskip(SKIP_1) | instid1(VALU_DEP_2)
	v_div_scale_f32 v134, null, v135, v135, 1.0
	v_div_scale_f32 v139, vcc_lo, 1.0, v135, 1.0
	v_rcp_f32_e32 v137, v134
	v_nop
	s_delay_alu instid0(TRANS32_DEP_1) | instskip(NEXT) | instid1(VALU_DEP_1)
	v_fma_f32 v138, -v134, v137, 1.0
	v_fmac_f32_e32 v137, v138, v137
	s_delay_alu instid0(VALU_DEP_1) | instskip(NEXT) | instid1(VALU_DEP_1)
	v_mul_f32_e32 v138, v139, v137
	v_fma_f32 v140, -v134, v138, v139
	s_delay_alu instid0(VALU_DEP_1) | instskip(NEXT) | instid1(VALU_DEP_1)
	v_fmac_f32_e32 v138, v140, v137
	v_fma_f32 v134, -v134, v138, v139
	s_delay_alu instid0(VALU_DEP_1) | instskip(NEXT) | instid1(VALU_DEP_1)
	v_div_fmas_f32 v134, v134, v137, v138
	v_div_fixup_f32 v134, v134, v135, 1.0
	s_delay_alu instid0(VALU_DEP_1)
	v_mul_f32_e32 v136, v136, v134
	v_xor_b32_e32 v137, 0x80000000, v134
                                        ; implicit-def: $vgpr134_vgpr135
.LBB49_149:
	s_and_not1_saveexec_b32 s1, s1
	s_cbranch_execz .LBB49_151
; %bb.150:
	v_div_scale_f32 v136, null, v134, v134, v135
	v_div_scale_f32 v139, vcc_lo, v135, v134, v135
	s_delay_alu instid0(VALU_DEP_2) | instskip(SKIP_1) | instid1(TRANS32_DEP_1)
	v_rcp_f32_e32 v137, v136
	v_nop
	v_fma_f32 v138, -v136, v137, 1.0
	s_delay_alu instid0(VALU_DEP_1) | instskip(NEXT) | instid1(VALU_DEP_1)
	v_fmac_f32_e32 v137, v138, v137
	v_mul_f32_e32 v138, v139, v137
	s_delay_alu instid0(VALU_DEP_1) | instskip(NEXT) | instid1(VALU_DEP_1)
	v_fma_f32 v140, -v136, v138, v139
	v_fmac_f32_e32 v138, v140, v137
	s_delay_alu instid0(VALU_DEP_1) | instskip(NEXT) | instid1(VALU_DEP_1)
	v_fma_f32 v136, -v136, v138, v139
	v_div_fmas_f32 v136, v136, v137, v138
	s_delay_alu instid0(VALU_DEP_1) | instskip(NEXT) | instid1(VALU_DEP_1)
	v_div_fixup_f32 v137, v136, v134, v135
	v_fmac_f32_e32 v134, v135, v137
	s_delay_alu instid0(VALU_DEP_1) | instskip(NEXT) | instid1(VALU_DEP_1)
	v_div_scale_f32 v135, null, v134, v134, 1.0
	v_rcp_f32_e32 v136, v135
	v_nop
	s_delay_alu instid0(TRANS32_DEP_1) | instskip(NEXT) | instid1(VALU_DEP_1)
	v_fma_f32 v138, -v135, v136, 1.0
	v_fmac_f32_e32 v136, v138, v136
	v_div_scale_f32 v138, vcc_lo, 1.0, v134, 1.0
	s_delay_alu instid0(VALU_DEP_1) | instskip(NEXT) | instid1(VALU_DEP_1)
	v_mul_f32_e32 v139, v138, v136
	v_fma_f32 v140, -v135, v139, v138
	s_delay_alu instid0(VALU_DEP_1) | instskip(NEXT) | instid1(VALU_DEP_1)
	v_fmac_f32_e32 v139, v140, v136
	v_fma_f32 v135, -v135, v139, v138
	s_delay_alu instid0(VALU_DEP_1) | instskip(NEXT) | instid1(VALU_DEP_1)
	v_div_fmas_f32 v135, v135, v136, v139
	v_div_fixup_f32 v136, v135, v134, 1.0
	s_delay_alu instid0(VALU_DEP_1)
	v_mul_f32_e64 v137, v137, -v136
.LBB49_151:
	s_or_b32 exec_lo, exec_lo, s1
	ds_store_b64 v153, v[136:137]
.LBB49_152:
	s_or_b32 exec_lo, exec_lo, s2
	s_wait_dscnt 0x0
	s_barrier_signal -1
	s_barrier_wait -1
	ds_load_b64 v[134:135], v153
	s_mov_b32 s1, exec_lo
	v_cmpx_lt_u32_e32 16, v152
	s_cbranch_execz .LBB49_154
; %bb.153:
	s_wait_dscnt 0x0
	v_pk_mul_f32 v[136:137], v[134:135], v[92:93] op_sel:[1,1] op_sel_hi:[0,1]
	s_delay_alu instid0(VALU_DEP_1)
	v_pk_fma_f32 v[140:141], v[134:135], v[92:93], v[136:137] op_sel_hi:[1,0,1] neg_lo:[0,0,1] neg_hi:[0,0,1]
	v_pk_fma_f32 v[142:143], v[134:135], v[92:93], v[136:137] op_sel_hi:[1,0,1]
	ds_load_2addr_b64 v[136:139], v154 offset0:17 offset1:18
	v_dual_mov_b32 v92, v140 :: v_dual_mov_b32 v93, v143
	s_wait_dscnt 0x0
	v_pk_mul_f32 v[144:145], v[136:137], v[142:143] op_sel:[0,1]
	s_delay_alu instid0(VALU_DEP_1) | instskip(SKIP_1) | instid1(VALU_DEP_1)
	v_pk_fma_f32 v[146:147], v[136:137], v[140:141], v[144:145] op_sel:[0,0,1] op_sel_hi:[1,1,0] neg_lo:[0,0,1] neg_hi:[0,0,1]
	v_pk_fma_f32 v[136:137], v[136:137], v[140:141], v[144:145] op_sel:[0,0,1] op_sel_hi:[1,0,0]
	v_mov_b32_e32 v147, v137
	v_pk_mul_f32 v[136:137], v[138:139], v[142:143] op_sel:[0,1]
	s_delay_alu instid0(VALU_DEP_1) | instskip(SKIP_1) | instid1(VALU_DEP_1)
	v_pk_fma_f32 v[144:145], v[138:139], v[140:141], v[136:137] op_sel:[0,0,1] op_sel_hi:[1,1,0] neg_lo:[0,0,1] neg_hi:[0,0,1]
	v_pk_fma_f32 v[136:137], v[138:139], v[140:141], v[136:137] op_sel:[0,0,1] op_sel_hi:[1,0,0]
	v_mov_b32_e32 v145, v137
	ds_load_2addr_b64 v[136:139], v154 offset0:19 offset1:20
	v_pk_add_f32 v[86:87], v[86:87], v[146:147] neg_lo:[0,1] neg_hi:[0,1]
	v_pk_add_f32 v[90:91], v[90:91], v[144:145] neg_lo:[0,1] neg_hi:[0,1]
	s_wait_dscnt 0x0
	v_pk_mul_f32 v[144:145], v[136:137], v[142:143] op_sel:[0,1]
	s_delay_alu instid0(VALU_DEP_1) | instskip(SKIP_2) | instid1(VALU_DEP_2)
	v_pk_fma_f32 v[146:147], v[136:137], v[140:141], v[144:145] op_sel:[0,0,1] op_sel_hi:[1,1,0] neg_lo:[0,0,1] neg_hi:[0,0,1]
	v_pk_fma_f32 v[136:137], v[136:137], v[140:141], v[144:145] op_sel:[0,0,1] op_sel_hi:[1,0,0]
	v_dual_mul_f32 v144, v139, v143 :: v_dual_mov_b32 v136, v139
	v_dual_mov_b32 v147, v137 :: v_dual_mov_b32 v137, v138
	s_delay_alu instid0(VALU_DEP_2) | instskip(SKIP_1) | instid1(VALU_DEP_3)
	v_pk_fma_f32 v[144:145], v[138:139], v[92:93], v[144:145] op_sel_hi:[1,1,0] neg_lo:[0,0,1] neg_hi:[0,0,1]
	v_mul_f32_e32 v138, v139, v140
	v_pk_add_f32 v[84:85], v[84:85], v[146:147] neg_lo:[0,1] neg_hi:[0,1]
	s_delay_alu instid0(VALU_DEP_2) | instskip(NEXT) | instid1(VALU_DEP_1)
	v_pk_fma_f32 v[136:137], v[136:137], v[92:93], v[138:139] op_sel_hi:[1,1,0]
	v_mov_b32_e32 v145, v137
	ds_load_2addr_b64 v[136:139], v154 offset0:21 offset1:22
	v_pk_add_f32 v[88:89], v[88:89], v[144:145] neg_lo:[0,1] neg_hi:[0,1]
	s_wait_dscnt 0x0
	v_pk_mul_f32 v[144:145], v[136:137], v[142:143] op_sel:[0,1]
	s_delay_alu instid0(VALU_DEP_1) | instskip(SKIP_1) | instid1(VALU_DEP_1)
	v_pk_fma_f32 v[146:147], v[136:137], v[140:141], v[144:145] op_sel:[0,0,1] op_sel_hi:[1,1,0] neg_lo:[0,0,1] neg_hi:[0,0,1]
	v_pk_fma_f32 v[136:137], v[136:137], v[140:141], v[144:145] op_sel:[0,0,1] op_sel_hi:[1,0,0]
	v_mov_b32_e32 v147, v137
	v_pk_mul_f32 v[136:137], v[138:139], v[142:143] op_sel:[0,1]
	s_delay_alu instid0(VALU_DEP_1) | instskip(SKIP_1) | instid1(VALU_DEP_1)
	v_pk_fma_f32 v[144:145], v[138:139], v[140:141], v[136:137] op_sel:[0,0,1] op_sel_hi:[1,1,0] neg_lo:[0,0,1] neg_hi:[0,0,1]
	v_pk_fma_f32 v[136:137], v[138:139], v[140:141], v[136:137] op_sel:[0,0,1] op_sel_hi:[1,0,0]
	v_mov_b32_e32 v145, v137
	ds_load_2addr_b64 v[136:139], v154 offset0:23 offset1:24
	v_pk_add_f32 v[98:99], v[98:99], v[146:147] neg_lo:[0,1] neg_hi:[0,1]
	v_pk_add_f32 v[96:97], v[96:97], v[144:145] neg_lo:[0,1] neg_hi:[0,1]
	s_wait_dscnt 0x0
	v_pk_mul_f32 v[144:145], v[136:137], v[142:143] op_sel:[0,1]
	s_delay_alu instid0(VALU_DEP_1) | instskip(SKIP_1) | instid1(VALU_DEP_1)
	v_pk_fma_f32 v[146:147], v[136:137], v[140:141], v[144:145] op_sel:[0,0,1] op_sel_hi:[1,1,0] neg_lo:[0,0,1] neg_hi:[0,0,1]
	v_pk_fma_f32 v[136:137], v[136:137], v[140:141], v[144:145] op_sel:[0,0,1] op_sel_hi:[1,0,0]
	v_mov_b32_e32 v147, v137
	v_pk_mul_f32 v[136:137], v[138:139], v[142:143] op_sel:[0,1]
	s_delay_alu instid0(VALU_DEP_1) | instskip(SKIP_1) | instid1(VALU_DEP_1)
	v_pk_fma_f32 v[142:143], v[138:139], v[140:141], v[136:137] op_sel:[0,0,1] op_sel_hi:[1,1,0] neg_lo:[0,0,1] neg_hi:[0,0,1]
	v_pk_fma_f32 v[136:137], v[138:139], v[140:141], v[136:137] op_sel:[0,0,1] op_sel_hi:[1,0,0]
	v_mov_b32_e32 v143, v137
	v_pk_add_f32 v[94:95], v[94:95], v[146:147] neg_lo:[0,1] neg_hi:[0,1]
	s_delay_alu instid0(VALU_DEP_2)
	v_pk_add_f32 v[100:101], v[100:101], v[142:143] neg_lo:[0,1] neg_hi:[0,1]
.LBB49_154:
	s_or_b32 exec_lo, exec_lo, s1
	s_delay_alu instid0(SALU_CYCLE_1)
	s_mov_b32 s2, exec_lo
	s_wait_dscnt 0x0
	s_barrier_signal -1
	s_barrier_wait -1
	v_cmpx_eq_u32_e32 17, v152
	s_cbranch_execz .LBB49_161
; %bb.155:
	v_dual_mov_b32 v136, v90 :: v_dual_mov_b32 v137, v91
	v_dual_mov_b32 v138, v84 :: v_dual_mov_b32 v139, v85
	;; [unrolled: 1-line block ×6, first 2 shown]
	ds_store_b64 v153, v[86:87]
	ds_store_2addr_b64 v154, v[136:137], v[138:139] offset0:18 offset1:19
	ds_store_2addr_b64 v154, v[140:141], v[142:143] offset0:20 offset1:21
	;; [unrolled: 1-line block ×3, first 2 shown]
	ds_store_b64 v154, v[100:101] offset:192
	ds_load_b64 v[136:137], v153
	s_wait_dscnt 0x0
	v_cmp_neq_f32_e32 vcc_lo, 0, v136
	v_cmp_neq_f32_e64 s1, 0, v137
	s_or_b32 s1, vcc_lo, s1
	s_delay_alu instid0(SALU_CYCLE_1)
	s_and_b32 exec_lo, exec_lo, s1
	s_cbranch_execz .LBB49_161
; %bb.156:
	v_cmp_ngt_f32_e64 s1, |v136|, |v137|
                                        ; implicit-def: $vgpr138_vgpr139
	s_and_saveexec_b32 s4, s1
	s_delay_alu instid0(SALU_CYCLE_1)
	s_xor_b32 s1, exec_lo, s4
	s_cbranch_execz .LBB49_158
; %bb.157:
	v_div_scale_f32 v138, null, v137, v137, v136
	v_div_scale_f32 v141, vcc_lo, v136, v137, v136
	s_delay_alu instid0(VALU_DEP_2) | instskip(SKIP_1) | instid1(TRANS32_DEP_1)
	v_rcp_f32_e32 v139, v138
	v_nop
	v_fma_f32 v140, -v138, v139, 1.0
	s_delay_alu instid0(VALU_DEP_1) | instskip(NEXT) | instid1(VALU_DEP_1)
	v_fmac_f32_e32 v139, v140, v139
	v_mul_f32_e32 v140, v141, v139
	s_delay_alu instid0(VALU_DEP_1) | instskip(NEXT) | instid1(VALU_DEP_1)
	v_fma_f32 v142, -v138, v140, v141
	v_fmac_f32_e32 v140, v142, v139
	s_delay_alu instid0(VALU_DEP_1) | instskip(NEXT) | instid1(VALU_DEP_1)
	v_fma_f32 v138, -v138, v140, v141
	v_div_fmas_f32 v138, v138, v139, v140
	s_delay_alu instid0(VALU_DEP_1) | instskip(NEXT) | instid1(VALU_DEP_1)
	v_div_fixup_f32 v138, v138, v137, v136
	v_fmac_f32_e32 v137, v136, v138
	s_delay_alu instid0(VALU_DEP_1) | instskip(SKIP_1) | instid1(VALU_DEP_2)
	v_div_scale_f32 v136, null, v137, v137, 1.0
	v_div_scale_f32 v141, vcc_lo, 1.0, v137, 1.0
	v_rcp_f32_e32 v139, v136
	v_nop
	s_delay_alu instid0(TRANS32_DEP_1) | instskip(NEXT) | instid1(VALU_DEP_1)
	v_fma_f32 v140, -v136, v139, 1.0
	v_fmac_f32_e32 v139, v140, v139
	s_delay_alu instid0(VALU_DEP_1) | instskip(NEXT) | instid1(VALU_DEP_1)
	v_mul_f32_e32 v140, v141, v139
	v_fma_f32 v142, -v136, v140, v141
	s_delay_alu instid0(VALU_DEP_1) | instskip(NEXT) | instid1(VALU_DEP_1)
	v_fmac_f32_e32 v140, v142, v139
	v_fma_f32 v136, -v136, v140, v141
	s_delay_alu instid0(VALU_DEP_1) | instskip(NEXT) | instid1(VALU_DEP_1)
	v_div_fmas_f32 v136, v136, v139, v140
	v_div_fixup_f32 v136, v136, v137, 1.0
	s_delay_alu instid0(VALU_DEP_1)
	v_mul_f32_e32 v138, v138, v136
	v_xor_b32_e32 v139, 0x80000000, v136
                                        ; implicit-def: $vgpr136_vgpr137
.LBB49_158:
	s_and_not1_saveexec_b32 s1, s1
	s_cbranch_execz .LBB49_160
; %bb.159:
	v_div_scale_f32 v138, null, v136, v136, v137
	v_div_scale_f32 v141, vcc_lo, v137, v136, v137
	s_delay_alu instid0(VALU_DEP_2) | instskip(SKIP_1) | instid1(TRANS32_DEP_1)
	v_rcp_f32_e32 v139, v138
	v_nop
	v_fma_f32 v140, -v138, v139, 1.0
	s_delay_alu instid0(VALU_DEP_1) | instskip(NEXT) | instid1(VALU_DEP_1)
	v_fmac_f32_e32 v139, v140, v139
	v_mul_f32_e32 v140, v141, v139
	s_delay_alu instid0(VALU_DEP_1) | instskip(NEXT) | instid1(VALU_DEP_1)
	v_fma_f32 v142, -v138, v140, v141
	v_fmac_f32_e32 v140, v142, v139
	s_delay_alu instid0(VALU_DEP_1) | instskip(NEXT) | instid1(VALU_DEP_1)
	v_fma_f32 v138, -v138, v140, v141
	v_div_fmas_f32 v138, v138, v139, v140
	s_delay_alu instid0(VALU_DEP_1) | instskip(NEXT) | instid1(VALU_DEP_1)
	v_div_fixup_f32 v139, v138, v136, v137
	v_fmac_f32_e32 v136, v137, v139
	s_delay_alu instid0(VALU_DEP_1) | instskip(NEXT) | instid1(VALU_DEP_1)
	v_div_scale_f32 v137, null, v136, v136, 1.0
	v_rcp_f32_e32 v138, v137
	v_nop
	s_delay_alu instid0(TRANS32_DEP_1) | instskip(NEXT) | instid1(VALU_DEP_1)
	v_fma_f32 v140, -v137, v138, 1.0
	v_fmac_f32_e32 v138, v140, v138
	v_div_scale_f32 v140, vcc_lo, 1.0, v136, 1.0
	s_delay_alu instid0(VALU_DEP_1) | instskip(NEXT) | instid1(VALU_DEP_1)
	v_mul_f32_e32 v141, v140, v138
	v_fma_f32 v142, -v137, v141, v140
	s_delay_alu instid0(VALU_DEP_1) | instskip(NEXT) | instid1(VALU_DEP_1)
	v_fmac_f32_e32 v141, v142, v138
	v_fma_f32 v137, -v137, v141, v140
	s_delay_alu instid0(VALU_DEP_1) | instskip(NEXT) | instid1(VALU_DEP_1)
	v_div_fmas_f32 v137, v137, v138, v141
	v_div_fixup_f32 v138, v137, v136, 1.0
	s_delay_alu instid0(VALU_DEP_1)
	v_mul_f32_e64 v139, v139, -v138
.LBB49_160:
	s_or_b32 exec_lo, exec_lo, s1
	ds_store_b64 v153, v[138:139]
.LBB49_161:
	s_or_b32 exec_lo, exec_lo, s2
	s_wait_dscnt 0x0
	s_barrier_signal -1
	s_barrier_wait -1
	ds_load_b64 v[136:137], v153
	s_mov_b32 s1, exec_lo
	v_cmpx_lt_u32_e32 17, v152
	s_cbranch_execz .LBB49_163
; %bb.162:
	s_wait_dscnt 0x0
	v_pk_mul_f32 v[138:139], v[136:137], v[86:87] op_sel:[1,1] op_sel_hi:[0,1]
	s_delay_alu instid0(VALU_DEP_1)
	v_pk_fma_f32 v[142:143], v[136:137], v[86:87], v[138:139] op_sel_hi:[1,0,1] neg_lo:[0,0,1] neg_hi:[0,0,1]
	v_pk_fma_f32 v[144:145], v[136:137], v[86:87], v[138:139] op_sel_hi:[1,0,1]
	ds_load_2addr_b64 v[138:141], v154 offset0:18 offset1:19
	v_dual_mov_b32 v86, v142 :: v_dual_mov_b32 v87, v145
	s_wait_dscnt 0x0
	v_pk_mul_f32 v[146:147], v[138:139], v[144:145] op_sel:[0,1]
	s_delay_alu instid0(VALU_DEP_1) | instskip(SKIP_1) | instid1(VALU_DEP_1)
	v_pk_fma_f32 v[148:149], v[138:139], v[142:143], v[146:147] op_sel:[0,0,1] op_sel_hi:[1,1,0] neg_lo:[0,0,1] neg_hi:[0,0,1]
	v_pk_fma_f32 v[138:139], v[138:139], v[142:143], v[146:147] op_sel:[0,0,1] op_sel_hi:[1,0,0]
	v_mov_b32_e32 v149, v139
	v_pk_mul_f32 v[138:139], v[140:141], v[144:145] op_sel:[0,1]
	s_delay_alu instid0(VALU_DEP_1) | instskip(SKIP_1) | instid1(VALU_DEP_1)
	v_pk_fma_f32 v[146:147], v[140:141], v[142:143], v[138:139] op_sel:[0,0,1] op_sel_hi:[1,1,0] neg_lo:[0,0,1] neg_hi:[0,0,1]
	v_pk_fma_f32 v[138:139], v[140:141], v[142:143], v[138:139] op_sel:[0,0,1] op_sel_hi:[1,0,0]
	v_mov_b32_e32 v147, v139
	ds_load_2addr_b64 v[138:141], v154 offset0:20 offset1:21
	v_pk_add_f32 v[90:91], v[90:91], v[148:149] neg_lo:[0,1] neg_hi:[0,1]
	v_pk_add_f32 v[84:85], v[84:85], v[146:147] neg_lo:[0,1] neg_hi:[0,1]
	s_wait_dscnt 0x0
	v_pk_mul_f32 v[146:147], v[138:139], v[144:145] op_sel:[0,1]
	s_delay_alu instid0(VALU_DEP_1) | instskip(SKIP_2) | instid1(VALU_DEP_2)
	v_pk_fma_f32 v[148:149], v[138:139], v[142:143], v[146:147] op_sel:[0,0,1] op_sel_hi:[1,1,0] neg_lo:[0,0,1] neg_hi:[0,0,1]
	v_pk_fma_f32 v[138:139], v[138:139], v[142:143], v[146:147] op_sel:[0,0,1] op_sel_hi:[1,0,0]
	v_dual_mul_f32 v146, v141, v145 :: v_dual_mov_b32 v138, v141
	v_dual_mov_b32 v149, v139 :: v_dual_mov_b32 v139, v140
	s_delay_alu instid0(VALU_DEP_2) | instskip(SKIP_1) | instid1(VALU_DEP_3)
	v_pk_fma_f32 v[146:147], v[140:141], v[86:87], v[146:147] op_sel_hi:[1,1,0] neg_lo:[0,0,1] neg_hi:[0,0,1]
	v_mul_f32_e32 v140, v141, v142
	v_pk_add_f32 v[88:89], v[88:89], v[148:149] neg_lo:[0,1] neg_hi:[0,1]
	s_delay_alu instid0(VALU_DEP_2) | instskip(NEXT) | instid1(VALU_DEP_1)
	v_pk_fma_f32 v[138:139], v[138:139], v[86:87], v[140:141] op_sel_hi:[1,1,0]
	v_mov_b32_e32 v147, v139
	ds_load_2addr_b64 v[138:141], v154 offset0:22 offset1:23
	v_pk_add_f32 v[98:99], v[98:99], v[146:147] neg_lo:[0,1] neg_hi:[0,1]
	s_wait_dscnt 0x0
	v_pk_mul_f32 v[146:147], v[138:139], v[144:145] op_sel:[0,1]
	s_delay_alu instid0(VALU_DEP_1) | instskip(SKIP_1) | instid1(VALU_DEP_1)
	v_pk_fma_f32 v[148:149], v[138:139], v[142:143], v[146:147] op_sel:[0,0,1] op_sel_hi:[1,1,0] neg_lo:[0,0,1] neg_hi:[0,0,1]
	v_pk_fma_f32 v[138:139], v[138:139], v[142:143], v[146:147] op_sel:[0,0,1] op_sel_hi:[1,0,0]
	v_mov_b32_e32 v149, v139
	v_pk_mul_f32 v[138:139], v[140:141], v[144:145] op_sel:[0,1]
	s_delay_alu instid0(VALU_DEP_1) | instskip(SKIP_1) | instid1(VALU_DEP_1)
	v_pk_fma_f32 v[146:147], v[140:141], v[142:143], v[138:139] op_sel:[0,0,1] op_sel_hi:[1,1,0] neg_lo:[0,0,1] neg_hi:[0,0,1]
	v_pk_fma_f32 v[138:139], v[140:141], v[142:143], v[138:139] op_sel:[0,0,1] op_sel_hi:[1,0,0]
	v_mov_b32_e32 v147, v139
	ds_load_b64 v[138:139], v154 offset:192
	v_pk_add_f32 v[96:97], v[96:97], v[148:149] neg_lo:[0,1] neg_hi:[0,1]
	v_pk_add_f32 v[94:95], v[94:95], v[146:147] neg_lo:[0,1] neg_hi:[0,1]
	s_wait_dscnt 0x0
	v_pk_mul_f32 v[140:141], v[138:139], v[144:145] op_sel:[0,1]
	s_delay_alu instid0(VALU_DEP_1) | instskip(SKIP_1) | instid1(VALU_DEP_1)
	v_pk_fma_f32 v[144:145], v[138:139], v[142:143], v[140:141] op_sel:[0,0,1] op_sel_hi:[1,1,0] neg_lo:[0,0,1] neg_hi:[0,0,1]
	v_pk_fma_f32 v[138:139], v[138:139], v[142:143], v[140:141] op_sel:[0,0,1] op_sel_hi:[1,0,0]
	v_mov_b32_e32 v145, v139
	s_delay_alu instid0(VALU_DEP_1)
	v_pk_add_f32 v[100:101], v[100:101], v[144:145] neg_lo:[0,1] neg_hi:[0,1]
.LBB49_163:
	s_or_b32 exec_lo, exec_lo, s1
	s_delay_alu instid0(SALU_CYCLE_1)
	s_mov_b32 s2, exec_lo
	s_wait_dscnt 0x0
	s_barrier_signal -1
	s_barrier_wait -1
	v_cmpx_eq_u32_e32 18, v152
	s_cbranch_execz .LBB49_170
; %bb.164:
	ds_store_b64 v153, v[90:91]
	ds_store_2addr_b64 v154, v[84:85], v[88:89] offset0:19 offset1:20
	ds_store_2addr_b64 v154, v[98:99], v[96:97] offset0:21 offset1:22
	;; [unrolled: 1-line block ×3, first 2 shown]
	ds_load_b64 v[138:139], v153
	s_wait_dscnt 0x0
	v_cmp_neq_f32_e32 vcc_lo, 0, v138
	v_cmp_neq_f32_e64 s1, 0, v139
	s_or_b32 s1, vcc_lo, s1
	s_delay_alu instid0(SALU_CYCLE_1)
	s_and_b32 exec_lo, exec_lo, s1
	s_cbranch_execz .LBB49_170
; %bb.165:
	v_cmp_ngt_f32_e64 s1, |v138|, |v139|
                                        ; implicit-def: $vgpr140_vgpr141
	s_and_saveexec_b32 s4, s1
	s_delay_alu instid0(SALU_CYCLE_1)
	s_xor_b32 s1, exec_lo, s4
	s_cbranch_execz .LBB49_167
; %bb.166:
	v_div_scale_f32 v140, null, v139, v139, v138
	v_div_scale_f32 v143, vcc_lo, v138, v139, v138
	s_delay_alu instid0(VALU_DEP_2) | instskip(SKIP_1) | instid1(TRANS32_DEP_1)
	v_rcp_f32_e32 v141, v140
	v_nop
	v_fma_f32 v142, -v140, v141, 1.0
	s_delay_alu instid0(VALU_DEP_1) | instskip(NEXT) | instid1(VALU_DEP_1)
	v_fmac_f32_e32 v141, v142, v141
	v_mul_f32_e32 v142, v143, v141
	s_delay_alu instid0(VALU_DEP_1) | instskip(NEXT) | instid1(VALU_DEP_1)
	v_fma_f32 v144, -v140, v142, v143
	v_fmac_f32_e32 v142, v144, v141
	s_delay_alu instid0(VALU_DEP_1) | instskip(NEXT) | instid1(VALU_DEP_1)
	v_fma_f32 v140, -v140, v142, v143
	v_div_fmas_f32 v140, v140, v141, v142
	s_delay_alu instid0(VALU_DEP_1) | instskip(NEXT) | instid1(VALU_DEP_1)
	v_div_fixup_f32 v140, v140, v139, v138
	v_fmac_f32_e32 v139, v138, v140
	s_delay_alu instid0(VALU_DEP_1) | instskip(SKIP_1) | instid1(VALU_DEP_2)
	v_div_scale_f32 v138, null, v139, v139, 1.0
	v_div_scale_f32 v143, vcc_lo, 1.0, v139, 1.0
	v_rcp_f32_e32 v141, v138
	v_nop
	s_delay_alu instid0(TRANS32_DEP_1) | instskip(NEXT) | instid1(VALU_DEP_1)
	v_fma_f32 v142, -v138, v141, 1.0
	v_fmac_f32_e32 v141, v142, v141
	s_delay_alu instid0(VALU_DEP_1) | instskip(NEXT) | instid1(VALU_DEP_1)
	v_mul_f32_e32 v142, v143, v141
	v_fma_f32 v144, -v138, v142, v143
	s_delay_alu instid0(VALU_DEP_1) | instskip(NEXT) | instid1(VALU_DEP_1)
	v_fmac_f32_e32 v142, v144, v141
	v_fma_f32 v138, -v138, v142, v143
	s_delay_alu instid0(VALU_DEP_1) | instskip(NEXT) | instid1(VALU_DEP_1)
	v_div_fmas_f32 v138, v138, v141, v142
	v_div_fixup_f32 v138, v138, v139, 1.0
	s_delay_alu instid0(VALU_DEP_1)
	v_mul_f32_e32 v140, v140, v138
	v_xor_b32_e32 v141, 0x80000000, v138
                                        ; implicit-def: $vgpr138_vgpr139
.LBB49_167:
	s_and_not1_saveexec_b32 s1, s1
	s_cbranch_execz .LBB49_169
; %bb.168:
	v_div_scale_f32 v140, null, v138, v138, v139
	v_div_scale_f32 v143, vcc_lo, v139, v138, v139
	s_delay_alu instid0(VALU_DEP_2) | instskip(SKIP_1) | instid1(TRANS32_DEP_1)
	v_rcp_f32_e32 v141, v140
	v_nop
	v_fma_f32 v142, -v140, v141, 1.0
	s_delay_alu instid0(VALU_DEP_1) | instskip(NEXT) | instid1(VALU_DEP_1)
	v_fmac_f32_e32 v141, v142, v141
	v_mul_f32_e32 v142, v143, v141
	s_delay_alu instid0(VALU_DEP_1) | instskip(NEXT) | instid1(VALU_DEP_1)
	v_fma_f32 v144, -v140, v142, v143
	v_fmac_f32_e32 v142, v144, v141
	s_delay_alu instid0(VALU_DEP_1) | instskip(NEXT) | instid1(VALU_DEP_1)
	v_fma_f32 v140, -v140, v142, v143
	v_div_fmas_f32 v140, v140, v141, v142
	s_delay_alu instid0(VALU_DEP_1) | instskip(NEXT) | instid1(VALU_DEP_1)
	v_div_fixup_f32 v141, v140, v138, v139
	v_fmac_f32_e32 v138, v139, v141
	s_delay_alu instid0(VALU_DEP_1) | instskip(NEXT) | instid1(VALU_DEP_1)
	v_div_scale_f32 v139, null, v138, v138, 1.0
	v_rcp_f32_e32 v140, v139
	v_nop
	s_delay_alu instid0(TRANS32_DEP_1) | instskip(NEXT) | instid1(VALU_DEP_1)
	v_fma_f32 v142, -v139, v140, 1.0
	v_fmac_f32_e32 v140, v142, v140
	v_div_scale_f32 v142, vcc_lo, 1.0, v138, 1.0
	s_delay_alu instid0(VALU_DEP_1) | instskip(NEXT) | instid1(VALU_DEP_1)
	v_mul_f32_e32 v143, v142, v140
	v_fma_f32 v144, -v139, v143, v142
	s_delay_alu instid0(VALU_DEP_1) | instskip(NEXT) | instid1(VALU_DEP_1)
	v_fmac_f32_e32 v143, v144, v140
	v_fma_f32 v139, -v139, v143, v142
	s_delay_alu instid0(VALU_DEP_1) | instskip(NEXT) | instid1(VALU_DEP_1)
	v_div_fmas_f32 v139, v139, v140, v143
	v_div_fixup_f32 v140, v139, v138, 1.0
	s_delay_alu instid0(VALU_DEP_1)
	v_mul_f32_e64 v141, v141, -v140
.LBB49_169:
	s_or_b32 exec_lo, exec_lo, s1
	ds_store_b64 v153, v[140:141]
.LBB49_170:
	s_or_b32 exec_lo, exec_lo, s2
	s_wait_dscnt 0x0
	s_barrier_signal -1
	s_barrier_wait -1
	ds_load_b64 v[138:139], v153
	s_mov_b32 s1, exec_lo
	v_cmpx_lt_u32_e32 18, v152
	s_cbranch_execz .LBB49_172
; %bb.171:
	s_wait_dscnt 0x0
	v_pk_mul_f32 v[140:141], v[138:139], v[90:91] op_sel:[1,1] op_sel_hi:[0,1]
	s_delay_alu instid0(VALU_DEP_1)
	v_pk_fma_f32 v[144:145], v[138:139], v[90:91], v[140:141] op_sel_hi:[1,0,1] neg_lo:[0,0,1] neg_hi:[0,0,1]
	v_pk_fma_f32 v[146:147], v[138:139], v[90:91], v[140:141] op_sel_hi:[1,0,1]
	ds_load_2addr_b64 v[140:143], v154 offset0:19 offset1:20
	v_dual_mov_b32 v90, v144 :: v_dual_mov_b32 v91, v147
	s_wait_dscnt 0x0
	v_pk_mul_f32 v[148:149], v[140:141], v[146:147] op_sel:[0,1]
	s_delay_alu instid0(VALU_DEP_1) | instskip(SKIP_1) | instid1(VALU_DEP_1)
	v_pk_fma_f32 v[150:151], v[140:141], v[144:145], v[148:149] op_sel:[0,0,1] op_sel_hi:[1,1,0] neg_lo:[0,0,1] neg_hi:[0,0,1]
	v_pk_fma_f32 v[140:141], v[140:141], v[144:145], v[148:149] op_sel:[0,0,1] op_sel_hi:[1,0,0]
	v_mov_b32_e32 v151, v141
	v_pk_mul_f32 v[140:141], v[142:143], v[146:147] op_sel:[0,1]
	s_delay_alu instid0(VALU_DEP_1) | instskip(SKIP_1) | instid1(VALU_DEP_1)
	v_pk_fma_f32 v[148:149], v[142:143], v[144:145], v[140:141] op_sel:[0,0,1] op_sel_hi:[1,1,0] neg_lo:[0,0,1] neg_hi:[0,0,1]
	v_pk_fma_f32 v[140:141], v[142:143], v[144:145], v[140:141] op_sel:[0,0,1] op_sel_hi:[1,0,0]
	v_mov_b32_e32 v149, v141
	ds_load_2addr_b64 v[140:143], v154 offset0:21 offset1:22
	v_pk_add_f32 v[84:85], v[84:85], v[150:151] neg_lo:[0,1] neg_hi:[0,1]
	v_pk_add_f32 v[88:89], v[88:89], v[148:149] neg_lo:[0,1] neg_hi:[0,1]
	s_wait_dscnt 0x0
	v_pk_mul_f32 v[148:149], v[140:141], v[146:147] op_sel:[0,1]
	s_delay_alu instid0(VALU_DEP_1) | instskip(SKIP_2) | instid1(VALU_DEP_2)
	v_pk_fma_f32 v[150:151], v[140:141], v[144:145], v[148:149] op_sel:[0,0,1] op_sel_hi:[1,1,0] neg_lo:[0,0,1] neg_hi:[0,0,1]
	v_pk_fma_f32 v[140:141], v[140:141], v[144:145], v[148:149] op_sel:[0,0,1] op_sel_hi:[1,0,0]
	v_dual_mul_f32 v148, v143, v147 :: v_dual_mov_b32 v140, v143
	v_dual_mov_b32 v151, v141 :: v_dual_mov_b32 v141, v142
	s_delay_alu instid0(VALU_DEP_2) | instskip(SKIP_1) | instid1(VALU_DEP_3)
	v_pk_fma_f32 v[148:149], v[142:143], v[90:91], v[148:149] op_sel_hi:[1,1,0] neg_lo:[0,0,1] neg_hi:[0,0,1]
	v_mul_f32_e32 v142, v143, v144
	v_pk_add_f32 v[98:99], v[98:99], v[150:151] neg_lo:[0,1] neg_hi:[0,1]
	s_delay_alu instid0(VALU_DEP_2) | instskip(NEXT) | instid1(VALU_DEP_1)
	v_pk_fma_f32 v[140:141], v[140:141], v[90:91], v[142:143] op_sel_hi:[1,1,0]
	v_mov_b32_e32 v149, v141
	ds_load_2addr_b64 v[140:143], v154 offset0:23 offset1:24
	v_pk_add_f32 v[96:97], v[96:97], v[148:149] neg_lo:[0,1] neg_hi:[0,1]
	s_wait_dscnt 0x0
	v_pk_mul_f32 v[148:149], v[140:141], v[146:147] op_sel:[0,1]
	v_mul_f32_e32 v146, v143, v147
	s_delay_alu instid0(VALU_DEP_2) | instskip(SKIP_2) | instid1(VALU_DEP_4)
	v_pk_fma_f32 v[150:151], v[140:141], v[144:145], v[148:149] op_sel:[0,0,1] op_sel_hi:[1,1,0] neg_lo:[0,0,1] neg_hi:[0,0,1]
	v_pk_fma_f32 v[140:141], v[140:141], v[144:145], v[148:149] op_sel:[0,0,1] op_sel_hi:[1,0,0]
	v_mov_b32_e32 v140, v143
	v_pk_fma_f32 v[146:147], v[142:143], v[90:91], v[146:147] op_sel_hi:[1,1,0] neg_lo:[0,0,1] neg_hi:[0,0,1]
	s_delay_alu instid0(VALU_DEP_3) | instskip(SKIP_1) | instid1(VALU_DEP_2)
	v_dual_mov_b32 v151, v141 :: v_dual_mov_b32 v141, v142
	v_mul_f32_e32 v142, v143, v144
	v_pk_add_f32 v[94:95], v[94:95], v[150:151] neg_lo:[0,1] neg_hi:[0,1]
	s_delay_alu instid0(VALU_DEP_2) | instskip(NEXT) | instid1(VALU_DEP_1)
	v_pk_fma_f32 v[140:141], v[140:141], v[90:91], v[142:143] op_sel_hi:[1,1,0]
	v_mov_b32_e32 v147, v141
	s_delay_alu instid0(VALU_DEP_1)
	v_pk_add_f32 v[100:101], v[100:101], v[146:147] neg_lo:[0,1] neg_hi:[0,1]
.LBB49_172:
	s_or_b32 exec_lo, exec_lo, s1
	s_delay_alu instid0(SALU_CYCLE_1)
	s_mov_b32 s2, exec_lo
	s_wait_dscnt 0x0
	s_barrier_signal -1
	s_barrier_wait -1
	v_cmpx_eq_u32_e32 19, v152
	s_cbranch_execz .LBB49_179
; %bb.173:
	v_dual_mov_b32 v140, v88 :: v_dual_mov_b32 v141, v89
	v_dual_mov_b32 v142, v98 :: v_dual_mov_b32 v143, v99
	;; [unrolled: 1-line block ×4, first 2 shown]
	ds_store_b64 v153, v[84:85]
	ds_store_2addr_b64 v154, v[140:141], v[142:143] offset0:20 offset1:21
	ds_store_2addr_b64 v154, v[144:145], v[146:147] offset0:22 offset1:23
	ds_store_b64 v154, v[100:101] offset:192
	ds_load_b64 v[140:141], v153
	s_wait_dscnt 0x0
	v_cmp_neq_f32_e32 vcc_lo, 0, v140
	v_cmp_neq_f32_e64 s1, 0, v141
	s_or_b32 s1, vcc_lo, s1
	s_delay_alu instid0(SALU_CYCLE_1)
	s_and_b32 exec_lo, exec_lo, s1
	s_cbranch_execz .LBB49_179
; %bb.174:
	v_cmp_ngt_f32_e64 s1, |v140|, |v141|
                                        ; implicit-def: $vgpr142_vgpr143
	s_and_saveexec_b32 s4, s1
	s_delay_alu instid0(SALU_CYCLE_1)
	s_xor_b32 s1, exec_lo, s4
	s_cbranch_execz .LBB49_176
; %bb.175:
	v_div_scale_f32 v142, null, v141, v141, v140
	v_div_scale_f32 v145, vcc_lo, v140, v141, v140
	s_delay_alu instid0(VALU_DEP_2) | instskip(SKIP_1) | instid1(TRANS32_DEP_1)
	v_rcp_f32_e32 v143, v142
	v_nop
	v_fma_f32 v144, -v142, v143, 1.0
	s_delay_alu instid0(VALU_DEP_1) | instskip(NEXT) | instid1(VALU_DEP_1)
	v_fmac_f32_e32 v143, v144, v143
	v_mul_f32_e32 v144, v145, v143
	s_delay_alu instid0(VALU_DEP_1) | instskip(NEXT) | instid1(VALU_DEP_1)
	v_fma_f32 v146, -v142, v144, v145
	v_fmac_f32_e32 v144, v146, v143
	s_delay_alu instid0(VALU_DEP_1) | instskip(NEXT) | instid1(VALU_DEP_1)
	v_fma_f32 v142, -v142, v144, v145
	v_div_fmas_f32 v142, v142, v143, v144
	s_delay_alu instid0(VALU_DEP_1) | instskip(NEXT) | instid1(VALU_DEP_1)
	v_div_fixup_f32 v142, v142, v141, v140
	v_fmac_f32_e32 v141, v140, v142
	s_delay_alu instid0(VALU_DEP_1) | instskip(SKIP_1) | instid1(VALU_DEP_2)
	v_div_scale_f32 v140, null, v141, v141, 1.0
	v_div_scale_f32 v145, vcc_lo, 1.0, v141, 1.0
	v_rcp_f32_e32 v143, v140
	v_nop
	s_delay_alu instid0(TRANS32_DEP_1) | instskip(NEXT) | instid1(VALU_DEP_1)
	v_fma_f32 v144, -v140, v143, 1.0
	v_fmac_f32_e32 v143, v144, v143
	s_delay_alu instid0(VALU_DEP_1) | instskip(NEXT) | instid1(VALU_DEP_1)
	v_mul_f32_e32 v144, v145, v143
	v_fma_f32 v146, -v140, v144, v145
	s_delay_alu instid0(VALU_DEP_1) | instskip(NEXT) | instid1(VALU_DEP_1)
	v_fmac_f32_e32 v144, v146, v143
	v_fma_f32 v140, -v140, v144, v145
	s_delay_alu instid0(VALU_DEP_1) | instskip(NEXT) | instid1(VALU_DEP_1)
	v_div_fmas_f32 v140, v140, v143, v144
	v_div_fixup_f32 v140, v140, v141, 1.0
	s_delay_alu instid0(VALU_DEP_1)
	v_mul_f32_e32 v142, v142, v140
	v_xor_b32_e32 v143, 0x80000000, v140
                                        ; implicit-def: $vgpr140_vgpr141
.LBB49_176:
	s_and_not1_saveexec_b32 s1, s1
	s_cbranch_execz .LBB49_178
; %bb.177:
	v_div_scale_f32 v142, null, v140, v140, v141
	v_div_scale_f32 v145, vcc_lo, v141, v140, v141
	s_delay_alu instid0(VALU_DEP_2) | instskip(SKIP_1) | instid1(TRANS32_DEP_1)
	v_rcp_f32_e32 v143, v142
	v_nop
	v_fma_f32 v144, -v142, v143, 1.0
	s_delay_alu instid0(VALU_DEP_1) | instskip(NEXT) | instid1(VALU_DEP_1)
	v_fmac_f32_e32 v143, v144, v143
	v_mul_f32_e32 v144, v145, v143
	s_delay_alu instid0(VALU_DEP_1) | instskip(NEXT) | instid1(VALU_DEP_1)
	v_fma_f32 v146, -v142, v144, v145
	v_fmac_f32_e32 v144, v146, v143
	s_delay_alu instid0(VALU_DEP_1) | instskip(NEXT) | instid1(VALU_DEP_1)
	v_fma_f32 v142, -v142, v144, v145
	v_div_fmas_f32 v142, v142, v143, v144
	s_delay_alu instid0(VALU_DEP_1) | instskip(NEXT) | instid1(VALU_DEP_1)
	v_div_fixup_f32 v143, v142, v140, v141
	v_fmac_f32_e32 v140, v141, v143
	s_delay_alu instid0(VALU_DEP_1) | instskip(NEXT) | instid1(VALU_DEP_1)
	v_div_scale_f32 v141, null, v140, v140, 1.0
	v_rcp_f32_e32 v142, v141
	v_nop
	s_delay_alu instid0(TRANS32_DEP_1) | instskip(NEXT) | instid1(VALU_DEP_1)
	v_fma_f32 v144, -v141, v142, 1.0
	v_fmac_f32_e32 v142, v144, v142
	v_div_scale_f32 v144, vcc_lo, 1.0, v140, 1.0
	s_delay_alu instid0(VALU_DEP_1) | instskip(NEXT) | instid1(VALU_DEP_1)
	v_mul_f32_e32 v145, v144, v142
	v_fma_f32 v146, -v141, v145, v144
	s_delay_alu instid0(VALU_DEP_1) | instskip(NEXT) | instid1(VALU_DEP_1)
	v_fmac_f32_e32 v145, v146, v142
	v_fma_f32 v141, -v141, v145, v144
	s_delay_alu instid0(VALU_DEP_1) | instskip(NEXT) | instid1(VALU_DEP_1)
	v_div_fmas_f32 v141, v141, v142, v145
	v_div_fixup_f32 v142, v141, v140, 1.0
	s_delay_alu instid0(VALU_DEP_1)
	v_mul_f32_e64 v143, v143, -v142
.LBB49_178:
	s_or_b32 exec_lo, exec_lo, s1
	ds_store_b64 v153, v[142:143]
.LBB49_179:
	s_or_b32 exec_lo, exec_lo, s2
	s_wait_dscnt 0x0
	s_barrier_signal -1
	s_barrier_wait -1
	ds_load_b64 v[140:141], v153
	s_mov_b32 s1, exec_lo
	v_cmpx_lt_u32_e32 19, v152
	s_cbranch_execz .LBB49_181
; %bb.180:
	s_wait_dscnt 0x0
	v_pk_mul_f32 v[142:143], v[140:141], v[84:85] op_sel:[1,1] op_sel_hi:[0,1]
	s_delay_alu instid0(VALU_DEP_1)
	v_pk_fma_f32 v[146:147], v[140:141], v[84:85], v[142:143] op_sel_hi:[1,0,1] neg_lo:[0,0,1] neg_hi:[0,0,1]
	v_pk_fma_f32 v[148:149], v[140:141], v[84:85], v[142:143] op_sel_hi:[1,0,1]
	ds_load_2addr_b64 v[142:145], v154 offset0:20 offset1:21
	v_dual_mov_b32 v84, v146 :: v_dual_mov_b32 v85, v149
	s_wait_dscnt 0x0
	v_pk_mul_f32 v[150:151], v[142:143], v[148:149] op_sel:[0,1]
	s_delay_alu instid0(VALU_DEP_1) | instskip(SKIP_1) | instid1(VALU_DEP_1)
	v_pk_fma_f32 v[156:157], v[142:143], v[146:147], v[150:151] op_sel:[0,0,1] op_sel_hi:[1,1,0] neg_lo:[0,0,1] neg_hi:[0,0,1]
	v_pk_fma_f32 v[142:143], v[142:143], v[146:147], v[150:151] op_sel:[0,0,1] op_sel_hi:[1,0,0]
	v_mov_b32_e32 v157, v143
	v_pk_mul_f32 v[142:143], v[144:145], v[148:149] op_sel:[0,1]
	s_delay_alu instid0(VALU_DEP_1) | instskip(SKIP_1) | instid1(VALU_DEP_1)
	v_pk_fma_f32 v[150:151], v[144:145], v[146:147], v[142:143] op_sel:[0,0,1] op_sel_hi:[1,1,0] neg_lo:[0,0,1] neg_hi:[0,0,1]
	v_pk_fma_f32 v[142:143], v[144:145], v[146:147], v[142:143] op_sel:[0,0,1] op_sel_hi:[1,0,0]
	v_mov_b32_e32 v151, v143
	ds_load_2addr_b64 v[142:145], v154 offset0:22 offset1:23
	v_pk_add_f32 v[88:89], v[88:89], v[156:157] neg_lo:[0,1] neg_hi:[0,1]
	v_pk_add_f32 v[98:99], v[98:99], v[150:151] neg_lo:[0,1] neg_hi:[0,1]
	s_wait_dscnt 0x0
	v_pk_mul_f32 v[150:151], v[142:143], v[148:149] op_sel:[0,1]
	s_delay_alu instid0(VALU_DEP_1) | instskip(SKIP_2) | instid1(VALU_DEP_2)
	v_pk_fma_f32 v[156:157], v[142:143], v[146:147], v[150:151] op_sel:[0,0,1] op_sel_hi:[1,1,0] neg_lo:[0,0,1] neg_hi:[0,0,1]
	v_pk_fma_f32 v[142:143], v[142:143], v[146:147], v[150:151] op_sel:[0,0,1] op_sel_hi:[1,0,0]
	v_dual_mul_f32 v150, v145, v149 :: v_dual_mov_b32 v142, v145
	v_dual_mov_b32 v157, v143 :: v_dual_mov_b32 v143, v144
	s_delay_alu instid0(VALU_DEP_2) | instskip(SKIP_1) | instid1(VALU_DEP_3)
	v_pk_fma_f32 v[150:151], v[144:145], v[84:85], v[150:151] op_sel_hi:[1,1,0] neg_lo:[0,0,1] neg_hi:[0,0,1]
	v_mul_f32_e32 v144, v145, v146
	v_pk_add_f32 v[96:97], v[96:97], v[156:157] neg_lo:[0,1] neg_hi:[0,1]
	s_delay_alu instid0(VALU_DEP_2) | instskip(NEXT) | instid1(VALU_DEP_1)
	v_pk_fma_f32 v[142:143], v[142:143], v[84:85], v[144:145] op_sel_hi:[1,1,0]
	v_mov_b32_e32 v151, v143
	ds_load_b64 v[142:143], v154 offset:192
	v_pk_add_f32 v[94:95], v[94:95], v[150:151] neg_lo:[0,1] neg_hi:[0,1]
	s_wait_dscnt 0x0
	v_pk_mul_f32 v[144:145], v[142:143], v[148:149] op_sel:[0,1]
	s_delay_alu instid0(VALU_DEP_1) | instskip(SKIP_1) | instid1(VALU_DEP_1)
	v_pk_fma_f32 v[148:149], v[142:143], v[146:147], v[144:145] op_sel:[0,0,1] op_sel_hi:[1,1,0] neg_lo:[0,0,1] neg_hi:[0,0,1]
	v_pk_fma_f32 v[142:143], v[142:143], v[146:147], v[144:145] op_sel:[0,0,1] op_sel_hi:[1,0,0]
	v_mov_b32_e32 v149, v143
	s_delay_alu instid0(VALU_DEP_1)
	v_pk_add_f32 v[100:101], v[100:101], v[148:149] neg_lo:[0,1] neg_hi:[0,1]
.LBB49_181:
	s_or_b32 exec_lo, exec_lo, s1
	s_delay_alu instid0(SALU_CYCLE_1)
	s_mov_b32 s2, exec_lo
	s_wait_dscnt 0x0
	s_barrier_signal -1
	s_barrier_wait -1
	v_cmpx_eq_u32_e32 20, v152
	s_cbranch_execz .LBB49_188
; %bb.182:
	ds_store_b64 v153, v[88:89]
	ds_store_2addr_b64 v154, v[98:99], v[96:97] offset0:21 offset1:22
	ds_store_2addr_b64 v154, v[94:95], v[100:101] offset0:23 offset1:24
	ds_load_b64 v[142:143], v153
	s_wait_dscnt 0x0
	v_cmp_neq_f32_e32 vcc_lo, 0, v142
	v_cmp_neq_f32_e64 s1, 0, v143
	s_or_b32 s1, vcc_lo, s1
	s_delay_alu instid0(SALU_CYCLE_1)
	s_and_b32 exec_lo, exec_lo, s1
	s_cbranch_execz .LBB49_188
; %bb.183:
	v_cmp_ngt_f32_e64 s1, |v142|, |v143|
                                        ; implicit-def: $vgpr144_vgpr145
	s_and_saveexec_b32 s4, s1
	s_delay_alu instid0(SALU_CYCLE_1)
	s_xor_b32 s1, exec_lo, s4
	s_cbranch_execz .LBB49_185
; %bb.184:
	v_div_scale_f32 v144, null, v143, v143, v142
	v_div_scale_f32 v147, vcc_lo, v142, v143, v142
	s_delay_alu instid0(VALU_DEP_2) | instskip(SKIP_1) | instid1(TRANS32_DEP_1)
	v_rcp_f32_e32 v145, v144
	v_nop
	v_fma_f32 v146, -v144, v145, 1.0
	s_delay_alu instid0(VALU_DEP_1) | instskip(NEXT) | instid1(VALU_DEP_1)
	v_fmac_f32_e32 v145, v146, v145
	v_mul_f32_e32 v146, v147, v145
	s_delay_alu instid0(VALU_DEP_1) | instskip(NEXT) | instid1(VALU_DEP_1)
	v_fma_f32 v148, -v144, v146, v147
	v_fmac_f32_e32 v146, v148, v145
	s_delay_alu instid0(VALU_DEP_1) | instskip(NEXT) | instid1(VALU_DEP_1)
	v_fma_f32 v144, -v144, v146, v147
	v_div_fmas_f32 v144, v144, v145, v146
	s_delay_alu instid0(VALU_DEP_1) | instskip(NEXT) | instid1(VALU_DEP_1)
	v_div_fixup_f32 v144, v144, v143, v142
	v_fmac_f32_e32 v143, v142, v144
	s_delay_alu instid0(VALU_DEP_1) | instskip(SKIP_1) | instid1(VALU_DEP_2)
	v_div_scale_f32 v142, null, v143, v143, 1.0
	v_div_scale_f32 v147, vcc_lo, 1.0, v143, 1.0
	v_rcp_f32_e32 v145, v142
	v_nop
	s_delay_alu instid0(TRANS32_DEP_1) | instskip(NEXT) | instid1(VALU_DEP_1)
	v_fma_f32 v146, -v142, v145, 1.0
	v_fmac_f32_e32 v145, v146, v145
	s_delay_alu instid0(VALU_DEP_1) | instskip(NEXT) | instid1(VALU_DEP_1)
	v_mul_f32_e32 v146, v147, v145
	v_fma_f32 v148, -v142, v146, v147
	s_delay_alu instid0(VALU_DEP_1) | instskip(NEXT) | instid1(VALU_DEP_1)
	v_fmac_f32_e32 v146, v148, v145
	v_fma_f32 v142, -v142, v146, v147
	s_delay_alu instid0(VALU_DEP_1) | instskip(NEXT) | instid1(VALU_DEP_1)
	v_div_fmas_f32 v142, v142, v145, v146
	v_div_fixup_f32 v142, v142, v143, 1.0
	s_delay_alu instid0(VALU_DEP_1)
	v_mul_f32_e32 v144, v144, v142
	v_xor_b32_e32 v145, 0x80000000, v142
                                        ; implicit-def: $vgpr142_vgpr143
.LBB49_185:
	s_and_not1_saveexec_b32 s1, s1
	s_cbranch_execz .LBB49_187
; %bb.186:
	v_div_scale_f32 v144, null, v142, v142, v143
	v_div_scale_f32 v147, vcc_lo, v143, v142, v143
	s_delay_alu instid0(VALU_DEP_2) | instskip(SKIP_1) | instid1(TRANS32_DEP_1)
	v_rcp_f32_e32 v145, v144
	v_nop
	v_fma_f32 v146, -v144, v145, 1.0
	s_delay_alu instid0(VALU_DEP_1) | instskip(NEXT) | instid1(VALU_DEP_1)
	v_fmac_f32_e32 v145, v146, v145
	v_mul_f32_e32 v146, v147, v145
	s_delay_alu instid0(VALU_DEP_1) | instskip(NEXT) | instid1(VALU_DEP_1)
	v_fma_f32 v148, -v144, v146, v147
	v_fmac_f32_e32 v146, v148, v145
	s_delay_alu instid0(VALU_DEP_1) | instskip(NEXT) | instid1(VALU_DEP_1)
	v_fma_f32 v144, -v144, v146, v147
	v_div_fmas_f32 v144, v144, v145, v146
	s_delay_alu instid0(VALU_DEP_1) | instskip(NEXT) | instid1(VALU_DEP_1)
	v_div_fixup_f32 v145, v144, v142, v143
	v_fmac_f32_e32 v142, v143, v145
	s_delay_alu instid0(VALU_DEP_1) | instskip(NEXT) | instid1(VALU_DEP_1)
	v_div_scale_f32 v143, null, v142, v142, 1.0
	v_rcp_f32_e32 v144, v143
	v_nop
	s_delay_alu instid0(TRANS32_DEP_1) | instskip(NEXT) | instid1(VALU_DEP_1)
	v_fma_f32 v146, -v143, v144, 1.0
	v_fmac_f32_e32 v144, v146, v144
	v_div_scale_f32 v146, vcc_lo, 1.0, v142, 1.0
	s_delay_alu instid0(VALU_DEP_1) | instskip(NEXT) | instid1(VALU_DEP_1)
	v_mul_f32_e32 v147, v146, v144
	v_fma_f32 v148, -v143, v147, v146
	s_delay_alu instid0(VALU_DEP_1) | instskip(NEXT) | instid1(VALU_DEP_1)
	v_fmac_f32_e32 v147, v148, v144
	v_fma_f32 v143, -v143, v147, v146
	s_delay_alu instid0(VALU_DEP_1) | instskip(NEXT) | instid1(VALU_DEP_1)
	v_div_fmas_f32 v143, v143, v144, v147
	v_div_fixup_f32 v144, v143, v142, 1.0
	s_delay_alu instid0(VALU_DEP_1)
	v_mul_f32_e64 v145, v145, -v144
.LBB49_187:
	s_or_b32 exec_lo, exec_lo, s1
	ds_store_b64 v153, v[144:145]
.LBB49_188:
	s_or_b32 exec_lo, exec_lo, s2
	s_wait_dscnt 0x0
	s_barrier_signal -1
	s_barrier_wait -1
	ds_load_b64 v[142:143], v153
	s_mov_b32 s1, exec_lo
	v_cmpx_lt_u32_e32 20, v152
	s_cbranch_execz .LBB49_190
; %bb.189:
	s_wait_dscnt 0x0
	v_pk_mul_f32 v[144:145], v[142:143], v[88:89] op_sel:[1,1] op_sel_hi:[0,1]
	s_delay_alu instid0(VALU_DEP_1)
	v_pk_fma_f32 v[148:149], v[142:143], v[88:89], v[144:145] op_sel_hi:[1,0,1] neg_lo:[0,0,1] neg_hi:[0,0,1]
	v_pk_fma_f32 v[150:151], v[142:143], v[88:89], v[144:145] op_sel_hi:[1,0,1]
	ds_load_2addr_b64 v[144:147], v154 offset0:21 offset1:22
	v_dual_mov_b32 v88, v148 :: v_dual_mov_b32 v89, v151
	s_wait_dscnt 0x0
	v_pk_mul_f32 v[156:157], v[144:145], v[150:151] op_sel:[0,1]
	s_delay_alu instid0(VALU_DEP_1) | instskip(SKIP_1) | instid1(VALU_DEP_1)
	v_pk_fma_f32 v[158:159], v[144:145], v[148:149], v[156:157] op_sel:[0,0,1] op_sel_hi:[1,1,0] neg_lo:[0,0,1] neg_hi:[0,0,1]
	v_pk_fma_f32 v[144:145], v[144:145], v[148:149], v[156:157] op_sel:[0,0,1] op_sel_hi:[1,0,0]
	v_mov_b32_e32 v159, v145
	v_pk_mul_f32 v[144:145], v[146:147], v[150:151] op_sel:[0,1]
	s_delay_alu instid0(VALU_DEP_1) | instskip(SKIP_1) | instid1(VALU_DEP_1)
	v_pk_fma_f32 v[156:157], v[146:147], v[148:149], v[144:145] op_sel:[0,0,1] op_sel_hi:[1,1,0] neg_lo:[0,0,1] neg_hi:[0,0,1]
	v_pk_fma_f32 v[144:145], v[146:147], v[148:149], v[144:145] op_sel:[0,0,1] op_sel_hi:[1,0,0]
	v_mov_b32_e32 v157, v145
	ds_load_2addr_b64 v[144:147], v154 offset0:23 offset1:24
	v_pk_add_f32 v[98:99], v[98:99], v[158:159] neg_lo:[0,1] neg_hi:[0,1]
	v_pk_add_f32 v[96:97], v[96:97], v[156:157] neg_lo:[0,1] neg_hi:[0,1]
	s_wait_dscnt 0x0
	v_pk_mul_f32 v[156:157], v[144:145], v[150:151] op_sel:[0,1]
	s_delay_alu instid0(VALU_DEP_1) | instskip(SKIP_1) | instid1(VALU_DEP_1)
	v_pk_fma_f32 v[158:159], v[144:145], v[148:149], v[156:157] op_sel:[0,0,1] op_sel_hi:[1,1,0] neg_lo:[0,0,1] neg_hi:[0,0,1]
	v_pk_fma_f32 v[144:145], v[144:145], v[148:149], v[156:157] op_sel:[0,0,1] op_sel_hi:[1,0,0]
	v_dual_mov_b32 v144, v147 :: v_dual_mov_b32 v159, v145
	v_mov_b32_e32 v145, v146
	s_delay_alu instid0(VALU_DEP_2) | instskip(NEXT) | instid1(VALU_DEP_2)
	v_pk_add_f32 v[94:95], v[94:95], v[158:159] neg_lo:[0,1] neg_hi:[0,1]
	v_pk_mul_f32 v[144:145], v[144:145], v[150:151] op_sel:[0,1]
	s_delay_alu instid0(VALU_DEP_1) | instskip(SKIP_1) | instid1(VALU_DEP_1)
	v_pk_fma_f32 v[150:151], v[146:147], v[148:149], v[144:145] neg_lo:[0,0,1] neg_hi:[0,0,1]
	v_pk_fma_f32 v[144:145], v[146:147], v[148:149], v[144:145] op_sel_hi:[1,0,1]
	v_mov_b32_e32 v151, v145
	s_delay_alu instid0(VALU_DEP_1)
	v_pk_add_f32 v[100:101], v[100:101], v[150:151] neg_lo:[0,1] neg_hi:[0,1]
.LBB49_190:
	s_or_b32 exec_lo, exec_lo, s1
	s_delay_alu instid0(SALU_CYCLE_1)
	s_mov_b32 s2, exec_lo
	s_wait_dscnt 0x0
	s_barrier_signal -1
	s_barrier_wait -1
	v_cmpx_eq_u32_e32 21, v152
	s_cbranch_execz .LBB49_197
; %bb.191:
	v_dual_mov_b32 v144, v96 :: v_dual_mov_b32 v145, v97
	v_dual_mov_b32 v146, v94 :: v_dual_mov_b32 v147, v95
	ds_store_b64 v153, v[98:99]
	ds_store_2addr_b64 v154, v[144:145], v[146:147] offset0:22 offset1:23
	ds_store_b64 v154, v[100:101] offset:192
	ds_load_b64 v[144:145], v153
	s_wait_dscnt 0x0
	v_cmp_neq_f32_e32 vcc_lo, 0, v144
	v_cmp_neq_f32_e64 s1, 0, v145
	s_or_b32 s1, vcc_lo, s1
	s_delay_alu instid0(SALU_CYCLE_1)
	s_and_b32 exec_lo, exec_lo, s1
	s_cbranch_execz .LBB49_197
; %bb.192:
	v_cmp_ngt_f32_e64 s1, |v144|, |v145|
                                        ; implicit-def: $vgpr146_vgpr147
	s_and_saveexec_b32 s4, s1
	s_delay_alu instid0(SALU_CYCLE_1)
	s_xor_b32 s1, exec_lo, s4
	s_cbranch_execz .LBB49_194
; %bb.193:
	v_div_scale_f32 v146, null, v145, v145, v144
	v_div_scale_f32 v149, vcc_lo, v144, v145, v144
	s_delay_alu instid0(VALU_DEP_2) | instskip(SKIP_1) | instid1(TRANS32_DEP_1)
	v_rcp_f32_e32 v147, v146
	v_nop
	v_fma_f32 v148, -v146, v147, 1.0
	s_delay_alu instid0(VALU_DEP_1) | instskip(NEXT) | instid1(VALU_DEP_1)
	v_fmac_f32_e32 v147, v148, v147
	v_mul_f32_e32 v148, v149, v147
	s_delay_alu instid0(VALU_DEP_1) | instskip(NEXT) | instid1(VALU_DEP_1)
	v_fma_f32 v150, -v146, v148, v149
	v_fmac_f32_e32 v148, v150, v147
	s_delay_alu instid0(VALU_DEP_1) | instskip(NEXT) | instid1(VALU_DEP_1)
	v_fma_f32 v146, -v146, v148, v149
	v_div_fmas_f32 v146, v146, v147, v148
	s_delay_alu instid0(VALU_DEP_1) | instskip(NEXT) | instid1(VALU_DEP_1)
	v_div_fixup_f32 v146, v146, v145, v144
	v_fmac_f32_e32 v145, v144, v146
	s_delay_alu instid0(VALU_DEP_1) | instskip(SKIP_1) | instid1(VALU_DEP_2)
	v_div_scale_f32 v144, null, v145, v145, 1.0
	v_div_scale_f32 v149, vcc_lo, 1.0, v145, 1.0
	v_rcp_f32_e32 v147, v144
	v_nop
	s_delay_alu instid0(TRANS32_DEP_1) | instskip(NEXT) | instid1(VALU_DEP_1)
	v_fma_f32 v148, -v144, v147, 1.0
	v_fmac_f32_e32 v147, v148, v147
	s_delay_alu instid0(VALU_DEP_1) | instskip(NEXT) | instid1(VALU_DEP_1)
	v_mul_f32_e32 v148, v149, v147
	v_fma_f32 v150, -v144, v148, v149
	s_delay_alu instid0(VALU_DEP_1) | instskip(NEXT) | instid1(VALU_DEP_1)
	v_fmac_f32_e32 v148, v150, v147
	v_fma_f32 v144, -v144, v148, v149
	s_delay_alu instid0(VALU_DEP_1) | instskip(NEXT) | instid1(VALU_DEP_1)
	v_div_fmas_f32 v144, v144, v147, v148
	v_div_fixup_f32 v144, v144, v145, 1.0
	s_delay_alu instid0(VALU_DEP_1)
	v_mul_f32_e32 v146, v146, v144
	v_xor_b32_e32 v147, 0x80000000, v144
                                        ; implicit-def: $vgpr144_vgpr145
.LBB49_194:
	s_and_not1_saveexec_b32 s1, s1
	s_cbranch_execz .LBB49_196
; %bb.195:
	v_div_scale_f32 v146, null, v144, v144, v145
	v_div_scale_f32 v149, vcc_lo, v145, v144, v145
	s_delay_alu instid0(VALU_DEP_2) | instskip(SKIP_1) | instid1(TRANS32_DEP_1)
	v_rcp_f32_e32 v147, v146
	v_nop
	v_fma_f32 v148, -v146, v147, 1.0
	s_delay_alu instid0(VALU_DEP_1) | instskip(NEXT) | instid1(VALU_DEP_1)
	v_fmac_f32_e32 v147, v148, v147
	v_mul_f32_e32 v148, v149, v147
	s_delay_alu instid0(VALU_DEP_1) | instskip(NEXT) | instid1(VALU_DEP_1)
	v_fma_f32 v150, -v146, v148, v149
	v_fmac_f32_e32 v148, v150, v147
	s_delay_alu instid0(VALU_DEP_1) | instskip(NEXT) | instid1(VALU_DEP_1)
	v_fma_f32 v146, -v146, v148, v149
	v_div_fmas_f32 v146, v146, v147, v148
	s_delay_alu instid0(VALU_DEP_1) | instskip(NEXT) | instid1(VALU_DEP_1)
	v_div_fixup_f32 v147, v146, v144, v145
	v_fmac_f32_e32 v144, v145, v147
	s_delay_alu instid0(VALU_DEP_1) | instskip(NEXT) | instid1(VALU_DEP_1)
	v_div_scale_f32 v145, null, v144, v144, 1.0
	v_rcp_f32_e32 v146, v145
	v_nop
	s_delay_alu instid0(TRANS32_DEP_1) | instskip(NEXT) | instid1(VALU_DEP_1)
	v_fma_f32 v148, -v145, v146, 1.0
	v_fmac_f32_e32 v146, v148, v146
	v_div_scale_f32 v148, vcc_lo, 1.0, v144, 1.0
	s_delay_alu instid0(VALU_DEP_1) | instskip(NEXT) | instid1(VALU_DEP_1)
	v_mul_f32_e32 v149, v148, v146
	v_fma_f32 v150, -v145, v149, v148
	s_delay_alu instid0(VALU_DEP_1) | instskip(NEXT) | instid1(VALU_DEP_1)
	v_fmac_f32_e32 v149, v150, v146
	v_fma_f32 v145, -v145, v149, v148
	s_delay_alu instid0(VALU_DEP_1) | instskip(NEXT) | instid1(VALU_DEP_1)
	v_div_fmas_f32 v145, v145, v146, v149
	v_div_fixup_f32 v146, v145, v144, 1.0
	s_delay_alu instid0(VALU_DEP_1)
	v_mul_f32_e64 v147, v147, -v146
.LBB49_196:
	s_or_b32 exec_lo, exec_lo, s1
	ds_store_b64 v153, v[146:147]
.LBB49_197:
	s_or_b32 exec_lo, exec_lo, s2
	s_wait_dscnt 0x0
	s_barrier_signal -1
	s_barrier_wait -1
	ds_load_b64 v[144:145], v153
	s_mov_b32 s1, exec_lo
	v_cmpx_lt_u32_e32 21, v152
	s_cbranch_execz .LBB49_199
; %bb.198:
	ds_load_2addr_b64 v[146:149], v154 offset0:22 offset1:23
	ds_load_b64 v[150:151], v154 offset:192
	s_wait_dscnt 0x2
	v_pk_mul_f32 v[156:157], v[144:145], v[98:99] op_sel:[1,1] op_sel_hi:[0,1]
	s_delay_alu instid0(VALU_DEP_1) | instskip(SKIP_2) | instid1(VALU_DEP_2)
	v_pk_fma_f32 v[158:159], v[144:145], v[98:99], v[156:157] op_sel_hi:[1,0,1]
	v_pk_fma_f32 v[98:99], v[144:145], v[98:99], v[156:157] op_sel_hi:[1,0,1] neg_lo:[0,0,1] neg_hi:[0,0,1]
	s_wait_dscnt 0x1
	v_pk_mul_f32 v[156:157], v[146:147], v[158:159] op_sel:[0,1]
	v_pk_mul_f32 v[160:161], v[148:149], v[158:159] op_sel:[0,1]
	s_wait_dscnt 0x0
	v_pk_mul_f32 v[162:163], v[150:151], v[158:159] op_sel:[1,1] op_sel_hi:[0,1]
	s_delay_alu instid0(VALU_DEP_3) | instskip(SKIP_2) | instid1(VALU_DEP_4)
	v_pk_fma_f32 v[164:165], v[146:147], v[98:99], v[156:157] op_sel:[0,0,1] op_sel_hi:[1,1,0] neg_lo:[0,0,1] neg_hi:[0,0,1]
	v_pk_fma_f32 v[146:147], v[146:147], v[98:99], v[156:157] op_sel:[0,0,1] op_sel_hi:[1,0,0]
	v_pk_fma_f32 v[156:157], v[148:149], v[98:99], v[160:161] op_sel:[0,0,1] op_sel_hi:[1,0,0]
	v_pk_fma_f32 v[166:167], v[150:151], v[98:99], v[162:163] op_sel_hi:[1,0,1]
	v_pk_fma_f32 v[148:149], v[148:149], v[98:99], v[160:161] op_sel:[0,0,1] op_sel_hi:[1,1,0] neg_lo:[0,0,1] neg_hi:[0,0,1]
	v_pk_fma_f32 v[150:151], v[150:151], v[98:99], v[162:163] neg_lo:[0,0,1] neg_hi:[0,0,1]
	s_delay_alu instid0(VALU_DEP_4) | instskip(NEXT) | instid1(VALU_DEP_4)
	v_dual_mov_b32 v165, v147 :: v_dual_mov_b32 v149, v157
	v_dual_mov_b32 v151, v167 :: v_dual_mov_b32 v99, v159
	s_delay_alu instid0(VALU_DEP_2) | instskip(NEXT) | instid1(VALU_DEP_3)
	v_pk_add_f32 v[96:97], v[96:97], v[164:165] neg_lo:[0,1] neg_hi:[0,1]
	v_pk_add_f32 v[94:95], v[94:95], v[148:149] neg_lo:[0,1] neg_hi:[0,1]
	s_delay_alu instid0(VALU_DEP_3)
	v_pk_add_f32 v[100:101], v[100:101], v[150:151] neg_lo:[0,1] neg_hi:[0,1]
.LBB49_199:
	s_or_b32 exec_lo, exec_lo, s1
	s_delay_alu instid0(SALU_CYCLE_1)
	s_mov_b32 s2, exec_lo
	s_wait_dscnt 0x0
	s_barrier_signal -1
	s_barrier_wait -1
	v_cmpx_eq_u32_e32 22, v152
	s_cbranch_execz .LBB49_206
; %bb.200:
	ds_store_b64 v153, v[96:97]
	ds_store_2addr_b64 v154, v[94:95], v[100:101] offset0:23 offset1:24
	ds_load_b64 v[146:147], v153
	s_wait_dscnt 0x0
	v_cmp_neq_f32_e32 vcc_lo, 0, v146
	v_cmp_neq_f32_e64 s1, 0, v147
	s_or_b32 s1, vcc_lo, s1
	s_delay_alu instid0(SALU_CYCLE_1)
	s_and_b32 exec_lo, exec_lo, s1
	s_cbranch_execz .LBB49_206
; %bb.201:
	v_cmp_ngt_f32_e64 s1, |v146|, |v147|
                                        ; implicit-def: $vgpr148_vgpr149
	s_and_saveexec_b32 s4, s1
	s_delay_alu instid0(SALU_CYCLE_1)
	s_xor_b32 s1, exec_lo, s4
	s_cbranch_execz .LBB49_203
; %bb.202:
	v_div_scale_f32 v148, null, v147, v147, v146
	v_div_scale_f32 v151, vcc_lo, v146, v147, v146
	s_delay_alu instid0(VALU_DEP_2) | instskip(SKIP_1) | instid1(TRANS32_DEP_1)
	v_rcp_f32_e32 v149, v148
	v_nop
	v_fma_f32 v150, -v148, v149, 1.0
	s_delay_alu instid0(VALU_DEP_1) | instskip(NEXT) | instid1(VALU_DEP_1)
	v_fmac_f32_e32 v149, v150, v149
	v_mul_f32_e32 v150, v151, v149
	s_delay_alu instid0(VALU_DEP_1) | instskip(NEXT) | instid1(VALU_DEP_1)
	v_fma_f32 v155, -v148, v150, v151
	v_fmac_f32_e32 v150, v155, v149
	s_delay_alu instid0(VALU_DEP_1) | instskip(NEXT) | instid1(VALU_DEP_1)
	v_fma_f32 v148, -v148, v150, v151
	v_div_fmas_f32 v148, v148, v149, v150
	s_delay_alu instid0(VALU_DEP_1) | instskip(NEXT) | instid1(VALU_DEP_1)
	v_div_fixup_f32 v148, v148, v147, v146
	v_fmac_f32_e32 v147, v146, v148
	s_delay_alu instid0(VALU_DEP_1) | instskip(SKIP_1) | instid1(VALU_DEP_2)
	v_div_scale_f32 v146, null, v147, v147, 1.0
	v_div_scale_f32 v151, vcc_lo, 1.0, v147, 1.0
	v_rcp_f32_e32 v149, v146
	v_nop
	s_delay_alu instid0(TRANS32_DEP_1) | instskip(NEXT) | instid1(VALU_DEP_1)
	v_fma_f32 v150, -v146, v149, 1.0
	v_fmac_f32_e32 v149, v150, v149
	s_delay_alu instid0(VALU_DEP_1) | instskip(NEXT) | instid1(VALU_DEP_1)
	v_mul_f32_e32 v150, v151, v149
	v_fma_f32 v155, -v146, v150, v151
	s_delay_alu instid0(VALU_DEP_1) | instskip(NEXT) | instid1(VALU_DEP_1)
	v_fmac_f32_e32 v150, v155, v149
	v_fma_f32 v146, -v146, v150, v151
	s_delay_alu instid0(VALU_DEP_1) | instskip(NEXT) | instid1(VALU_DEP_1)
	v_div_fmas_f32 v146, v146, v149, v150
	v_div_fixup_f32 v146, v146, v147, 1.0
	s_delay_alu instid0(VALU_DEP_1)
	v_mul_f32_e32 v148, v148, v146
	v_xor_b32_e32 v149, 0x80000000, v146
                                        ; implicit-def: $vgpr146_vgpr147
.LBB49_203:
	s_and_not1_saveexec_b32 s1, s1
	s_cbranch_execz .LBB49_205
; %bb.204:
	v_div_scale_f32 v148, null, v146, v146, v147
	v_div_scale_f32 v151, vcc_lo, v147, v146, v147
	s_delay_alu instid0(VALU_DEP_2) | instskip(SKIP_1) | instid1(TRANS32_DEP_1)
	v_rcp_f32_e32 v149, v148
	v_nop
	v_fma_f32 v150, -v148, v149, 1.0
	s_delay_alu instid0(VALU_DEP_1) | instskip(NEXT) | instid1(VALU_DEP_1)
	v_fmac_f32_e32 v149, v150, v149
	v_mul_f32_e32 v150, v151, v149
	s_delay_alu instid0(VALU_DEP_1) | instskip(NEXT) | instid1(VALU_DEP_1)
	v_fma_f32 v155, -v148, v150, v151
	v_fmac_f32_e32 v150, v155, v149
	s_delay_alu instid0(VALU_DEP_1) | instskip(NEXT) | instid1(VALU_DEP_1)
	v_fma_f32 v148, -v148, v150, v151
	v_div_fmas_f32 v148, v148, v149, v150
	s_delay_alu instid0(VALU_DEP_1) | instskip(NEXT) | instid1(VALU_DEP_1)
	v_div_fixup_f32 v149, v148, v146, v147
	v_fmac_f32_e32 v146, v147, v149
	s_delay_alu instid0(VALU_DEP_1) | instskip(NEXT) | instid1(VALU_DEP_1)
	v_div_scale_f32 v147, null, v146, v146, 1.0
	v_rcp_f32_e32 v148, v147
	v_nop
	s_delay_alu instid0(TRANS32_DEP_1) | instskip(NEXT) | instid1(VALU_DEP_1)
	v_fma_f32 v150, -v147, v148, 1.0
	v_fmac_f32_e32 v148, v150, v148
	v_div_scale_f32 v150, vcc_lo, 1.0, v146, 1.0
	s_delay_alu instid0(VALU_DEP_1) | instskip(NEXT) | instid1(VALU_DEP_1)
	v_mul_f32_e32 v151, v150, v148
	v_fma_f32 v155, -v147, v151, v150
	s_delay_alu instid0(VALU_DEP_1) | instskip(NEXT) | instid1(VALU_DEP_1)
	v_fmac_f32_e32 v151, v155, v148
	v_fma_f32 v147, -v147, v151, v150
	s_delay_alu instid0(VALU_DEP_1) | instskip(NEXT) | instid1(VALU_DEP_1)
	v_div_fmas_f32 v147, v147, v148, v151
	v_div_fixup_f32 v148, v147, v146, 1.0
	s_delay_alu instid0(VALU_DEP_1)
	v_mul_f32_e64 v149, v149, -v148
.LBB49_205:
	s_or_b32 exec_lo, exec_lo, s1
	ds_store_b64 v153, v[148:149]
.LBB49_206:
	s_or_b32 exec_lo, exec_lo, s2
	s_wait_dscnt 0x0
	s_barrier_signal -1
	s_barrier_wait -1
	ds_load_b64 v[146:147], v153
	s_mov_b32 s1, exec_lo
	v_cmpx_lt_u32_e32 22, v152
	s_cbranch_execz .LBB49_208
; %bb.207:
	ds_load_2addr_b64 v[148:151], v154 offset0:23 offset1:24
	s_wait_dscnt 0x1
	v_pk_mul_f32 v[156:157], v[146:147], v[96:97] op_sel:[1,1] op_sel_hi:[0,1]
	s_delay_alu instid0(VALU_DEP_1) | instskip(SKIP_3) | instid1(VALU_DEP_3)
	v_pk_fma_f32 v[158:159], v[146:147], v[96:97], v[156:157] op_sel_hi:[1,0,1]
	v_pk_fma_f32 v[96:97], v[146:147], v[96:97], v[156:157] op_sel_hi:[1,0,1] neg_lo:[0,0,1] neg_hi:[0,0,1]
	s_wait_dscnt 0x0
	v_dual_mov_b32 v160, v151 :: v_dual_mov_b32 v161, v150
	v_pk_mul_f32 v[156:157], v[148:149], v[158:159] op_sel:[0,1]
	s_delay_alu instid0(VALU_DEP_2) | instskip(NEXT) | instid1(VALU_DEP_2)
	v_pk_mul_f32 v[160:161], v[160:161], v[158:159] op_sel:[0,1]
	v_pk_fma_f32 v[162:163], v[148:149], v[96:97], v[156:157] op_sel:[0,0,1] op_sel_hi:[1,0,0]
	v_pk_fma_f32 v[148:149], v[148:149], v[96:97], v[156:157] op_sel:[0,0,1] op_sel_hi:[1,1,0] neg_lo:[0,0,1] neg_hi:[0,0,1]
	s_delay_alu instid0(VALU_DEP_3) | instskip(SKIP_1) | instid1(VALU_DEP_4)
	v_pk_fma_f32 v[164:165], v[150:151], v[96:97], v[160:161] op_sel_hi:[1,0,1]
	v_pk_fma_f32 v[150:151], v[150:151], v[96:97], v[160:161] neg_lo:[0,0,1] neg_hi:[0,0,1]
	v_dual_mov_b32 v149, v163 :: v_dual_mov_b32 v97, v159
	s_delay_alu instid0(VALU_DEP_3) | instskip(NEXT) | instid1(VALU_DEP_2)
	v_mov_b32_e32 v151, v165
	v_pk_add_f32 v[94:95], v[94:95], v[148:149] neg_lo:[0,1] neg_hi:[0,1]
	s_delay_alu instid0(VALU_DEP_2)
	v_pk_add_f32 v[100:101], v[100:101], v[150:151] neg_lo:[0,1] neg_hi:[0,1]
.LBB49_208:
	s_or_b32 exec_lo, exec_lo, s1
	s_delay_alu instid0(SALU_CYCLE_1)
	s_mov_b32 s2, exec_lo
	s_wait_dscnt 0x0
	s_barrier_signal -1
	s_barrier_wait -1
	v_cmpx_eq_u32_e32 23, v152
	s_cbranch_execz .LBB49_215
; %bb.209:
	ds_store_b64 v153, v[94:95]
	ds_store_b64 v154, v[100:101] offset:192
	ds_load_b64 v[148:149], v153
	s_wait_dscnt 0x0
	v_cmp_neq_f32_e32 vcc_lo, 0, v148
	v_cmp_neq_f32_e64 s1, 0, v149
	s_or_b32 s1, vcc_lo, s1
	s_delay_alu instid0(SALU_CYCLE_1)
	s_and_b32 exec_lo, exec_lo, s1
	s_cbranch_execz .LBB49_215
; %bb.210:
	v_cmp_ngt_f32_e64 s1, |v148|, |v149|
                                        ; implicit-def: $vgpr150_vgpr151
	s_and_saveexec_b32 s4, s1
	s_delay_alu instid0(SALU_CYCLE_1)
	s_xor_b32 s1, exec_lo, s4
	s_cbranch_execz .LBB49_212
; %bb.211:
	v_div_scale_f32 v150, null, v149, v149, v148
	v_div_scale_f32 v156, vcc_lo, v148, v149, v148
	s_delay_alu instid0(VALU_DEP_2) | instskip(SKIP_1) | instid1(TRANS32_DEP_1)
	v_rcp_f32_e32 v151, v150
	v_nop
	v_fma_f32 v155, -v150, v151, 1.0
	s_delay_alu instid0(VALU_DEP_1) | instskip(NEXT) | instid1(VALU_DEP_1)
	v_fmac_f32_e32 v151, v155, v151
	v_mul_f32_e32 v155, v156, v151
	s_delay_alu instid0(VALU_DEP_1) | instskip(NEXT) | instid1(VALU_DEP_1)
	v_fma_f32 v157, -v150, v155, v156
	v_fmac_f32_e32 v155, v157, v151
	s_delay_alu instid0(VALU_DEP_1) | instskip(NEXT) | instid1(VALU_DEP_1)
	v_fma_f32 v150, -v150, v155, v156
	v_div_fmas_f32 v150, v150, v151, v155
	s_delay_alu instid0(VALU_DEP_1) | instskip(NEXT) | instid1(VALU_DEP_1)
	v_div_fixup_f32 v150, v150, v149, v148
	v_fmac_f32_e32 v149, v148, v150
	s_delay_alu instid0(VALU_DEP_1) | instskip(SKIP_1) | instid1(VALU_DEP_2)
	v_div_scale_f32 v148, null, v149, v149, 1.0
	v_div_scale_f32 v156, vcc_lo, 1.0, v149, 1.0
	v_rcp_f32_e32 v151, v148
	v_nop
	s_delay_alu instid0(TRANS32_DEP_1) | instskip(NEXT) | instid1(VALU_DEP_1)
	v_fma_f32 v155, -v148, v151, 1.0
	v_fmac_f32_e32 v151, v155, v151
	s_delay_alu instid0(VALU_DEP_1) | instskip(NEXT) | instid1(VALU_DEP_1)
	v_mul_f32_e32 v155, v156, v151
	v_fma_f32 v157, -v148, v155, v156
	s_delay_alu instid0(VALU_DEP_1) | instskip(NEXT) | instid1(VALU_DEP_1)
	v_fmac_f32_e32 v155, v157, v151
	v_fma_f32 v148, -v148, v155, v156
	s_delay_alu instid0(VALU_DEP_1) | instskip(NEXT) | instid1(VALU_DEP_1)
	v_div_fmas_f32 v148, v148, v151, v155
	v_div_fixup_f32 v148, v148, v149, 1.0
	s_delay_alu instid0(VALU_DEP_1)
	v_mul_f32_e32 v150, v150, v148
	v_xor_b32_e32 v151, 0x80000000, v148
                                        ; implicit-def: $vgpr148_vgpr149
.LBB49_212:
	s_and_not1_saveexec_b32 s1, s1
	s_cbranch_execz .LBB49_214
; %bb.213:
	v_div_scale_f32 v150, null, v148, v148, v149
	v_div_scale_f32 v156, vcc_lo, v149, v148, v149
	s_delay_alu instid0(VALU_DEP_2) | instskip(SKIP_1) | instid1(TRANS32_DEP_1)
	v_rcp_f32_e32 v151, v150
	v_nop
	v_fma_f32 v155, -v150, v151, 1.0
	s_delay_alu instid0(VALU_DEP_1) | instskip(NEXT) | instid1(VALU_DEP_1)
	v_fmac_f32_e32 v151, v155, v151
	v_mul_f32_e32 v155, v156, v151
	s_delay_alu instid0(VALU_DEP_1) | instskip(NEXT) | instid1(VALU_DEP_1)
	v_fma_f32 v157, -v150, v155, v156
	v_fmac_f32_e32 v155, v157, v151
	s_delay_alu instid0(VALU_DEP_1) | instskip(NEXT) | instid1(VALU_DEP_1)
	v_fma_f32 v150, -v150, v155, v156
	v_div_fmas_f32 v150, v150, v151, v155
	s_delay_alu instid0(VALU_DEP_1) | instskip(NEXT) | instid1(VALU_DEP_1)
	v_div_fixup_f32 v151, v150, v148, v149
	v_fmac_f32_e32 v148, v149, v151
	s_delay_alu instid0(VALU_DEP_1) | instskip(NEXT) | instid1(VALU_DEP_1)
	v_div_scale_f32 v149, null, v148, v148, 1.0
	v_rcp_f32_e32 v150, v149
	v_nop
	s_delay_alu instid0(TRANS32_DEP_1) | instskip(NEXT) | instid1(VALU_DEP_1)
	v_fma_f32 v155, -v149, v150, 1.0
	v_fmac_f32_e32 v150, v155, v150
	v_div_scale_f32 v155, vcc_lo, 1.0, v148, 1.0
	s_delay_alu instid0(VALU_DEP_1) | instskip(NEXT) | instid1(VALU_DEP_1)
	v_mul_f32_e32 v156, v155, v150
	v_fma_f32 v157, -v149, v156, v155
	s_delay_alu instid0(VALU_DEP_1) | instskip(NEXT) | instid1(VALU_DEP_1)
	v_fmac_f32_e32 v156, v157, v150
	v_fma_f32 v149, -v149, v156, v155
	s_delay_alu instid0(VALU_DEP_1) | instskip(NEXT) | instid1(VALU_DEP_1)
	v_div_fmas_f32 v149, v149, v150, v156
	v_div_fixup_f32 v150, v149, v148, 1.0
	s_delay_alu instid0(VALU_DEP_1)
	v_mul_f32_e64 v151, v151, -v150
.LBB49_214:
	s_or_b32 exec_lo, exec_lo, s1
	ds_store_b64 v153, v[150:151]
.LBB49_215:
	s_or_b32 exec_lo, exec_lo, s2
	s_wait_dscnt 0x0
	s_barrier_signal -1
	s_barrier_wait -1
	ds_load_b64 v[148:149], v153
	s_mov_b32 s1, exec_lo
	v_cmpx_lt_u32_e32 23, v152
	s_cbranch_execz .LBB49_217
; %bb.216:
	ds_load_b64 v[150:151], v154 offset:192
	s_wait_dscnt 0x1
	v_pk_mul_f32 v[154:155], v[148:149], v[94:95] op_sel:[1,1] op_sel_hi:[0,1]
	s_delay_alu instid0(VALU_DEP_1) | instskip(SKIP_2) | instid1(VALU_DEP_2)
	v_pk_fma_f32 v[156:157], v[148:149], v[94:95], v[154:155] op_sel_hi:[1,0,1]
	v_pk_fma_f32 v[94:95], v[148:149], v[94:95], v[154:155] op_sel_hi:[1,0,1] neg_lo:[0,0,1] neg_hi:[0,0,1]
	s_wait_dscnt 0x0
	v_pk_mul_f32 v[154:155], v[150:151], v[156:157] op_sel:[1,1] op_sel_hi:[0,1]
	s_delay_alu instid0(VALU_DEP_1) | instskip(SKIP_1) | instid1(VALU_DEP_2)
	v_pk_fma_f32 v[158:159], v[150:151], v[94:95], v[154:155] op_sel_hi:[1,0,1]
	v_pk_fma_f32 v[150:151], v[150:151], v[94:95], v[154:155] neg_lo:[0,0,1] neg_hi:[0,0,1]
	v_dual_mov_b32 v95, v157 :: v_dual_mov_b32 v151, v159
	s_delay_alu instid0(VALU_DEP_1)
	v_pk_add_f32 v[100:101], v[100:101], v[150:151] neg_lo:[0,1] neg_hi:[0,1]
.LBB49_217:
	s_or_b32 exec_lo, exec_lo, s1
	s_delay_alu instid0(SALU_CYCLE_1)
	s_mov_b32 s2, exec_lo
	s_wait_dscnt 0x0
	s_barrier_signal -1
	s_barrier_wait -1
	v_cmpx_eq_u32_e32 24, v152
	s_cbranch_execz .LBB49_224
; %bb.218:
	v_cmp_neq_f32_e32 vcc_lo, 0, v100
	v_cmp_neq_f32_e64 s1, 0, v101
	ds_store_b64 v153, v[100:101]
	s_or_b32 s1, vcc_lo, s1
	s_delay_alu instid0(SALU_CYCLE_1)
	s_and_b32 exec_lo, exec_lo, s1
	s_cbranch_execz .LBB49_224
; %bb.219:
	v_cmp_ngt_f32_e64 s1, |v100|, |v101|
                                        ; implicit-def: $vgpr150_vgpr151
	s_and_saveexec_b32 s4, s1
	s_delay_alu instid0(SALU_CYCLE_1)
	s_xor_b32 s1, exec_lo, s4
	s_cbranch_execz .LBB49_221
; %bb.220:
	v_div_scale_f32 v150, null, v101, v101, v100
	v_div_scale_f32 v155, vcc_lo, v100, v101, v100
	s_delay_alu instid0(VALU_DEP_2) | instskip(SKIP_1) | instid1(TRANS32_DEP_1)
	v_rcp_f32_e32 v151, v150
	v_nop
	v_fma_f32 v154, -v150, v151, 1.0
	s_delay_alu instid0(VALU_DEP_1) | instskip(NEXT) | instid1(VALU_DEP_1)
	v_fmac_f32_e32 v151, v154, v151
	v_mul_f32_e32 v154, v155, v151
	s_delay_alu instid0(VALU_DEP_1) | instskip(NEXT) | instid1(VALU_DEP_1)
	v_fma_f32 v156, -v150, v154, v155
	v_fmac_f32_e32 v154, v156, v151
	s_delay_alu instid0(VALU_DEP_1) | instskip(NEXT) | instid1(VALU_DEP_1)
	v_fma_f32 v150, -v150, v154, v155
	v_div_fmas_f32 v150, v150, v151, v154
	s_delay_alu instid0(VALU_DEP_1) | instskip(NEXT) | instid1(VALU_DEP_1)
	v_div_fixup_f32 v150, v150, v101, v100
	v_fma_f32 v151, v100, v150, v101
	s_delay_alu instid0(VALU_DEP_1) | instskip(SKIP_1) | instid1(VALU_DEP_2)
	v_div_scale_f32 v154, null, v151, v151, 1.0
	v_div_scale_f32 v157, vcc_lo, 1.0, v151, 1.0
	v_rcp_f32_e32 v155, v154
	v_nop
	s_delay_alu instid0(TRANS32_DEP_1) | instskip(NEXT) | instid1(VALU_DEP_1)
	v_fma_f32 v156, -v154, v155, 1.0
	v_fmac_f32_e32 v155, v156, v155
	s_delay_alu instid0(VALU_DEP_1) | instskip(NEXT) | instid1(VALU_DEP_1)
	v_mul_f32_e32 v156, v157, v155
	v_fma_f32 v158, -v154, v156, v157
	s_delay_alu instid0(VALU_DEP_1) | instskip(NEXT) | instid1(VALU_DEP_1)
	v_fmac_f32_e32 v156, v158, v155
	v_fma_f32 v154, -v154, v156, v157
	s_delay_alu instid0(VALU_DEP_1) | instskip(NEXT) | instid1(VALU_DEP_1)
	v_div_fmas_f32 v154, v154, v155, v156
	v_div_fixup_f32 v151, v154, v151, 1.0
	s_delay_alu instid0(VALU_DEP_1)
	v_mul_f32_e32 v150, v150, v151
	v_xor_b32_e32 v151, 0x80000000, v151
.LBB49_221:
	s_and_not1_saveexec_b32 s1, s1
	s_cbranch_execz .LBB49_223
; %bb.222:
	v_div_scale_f32 v150, null, v100, v100, v101
	v_div_scale_f32 v155, vcc_lo, v101, v100, v101
	s_delay_alu instid0(VALU_DEP_2) | instskip(SKIP_1) | instid1(TRANS32_DEP_1)
	v_rcp_f32_e32 v151, v150
	v_nop
	v_fma_f32 v154, -v150, v151, 1.0
	s_delay_alu instid0(VALU_DEP_1) | instskip(NEXT) | instid1(VALU_DEP_1)
	v_fmac_f32_e32 v151, v154, v151
	v_mul_f32_e32 v154, v155, v151
	s_delay_alu instid0(VALU_DEP_1) | instskip(NEXT) | instid1(VALU_DEP_1)
	v_fma_f32 v156, -v150, v154, v155
	v_fmac_f32_e32 v154, v156, v151
	s_delay_alu instid0(VALU_DEP_1) | instskip(NEXT) | instid1(VALU_DEP_1)
	v_fma_f32 v150, -v150, v154, v155
	v_div_fmas_f32 v150, v150, v151, v154
	s_delay_alu instid0(VALU_DEP_1) | instskip(NEXT) | instid1(VALU_DEP_1)
	v_div_fixup_f32 v151, v150, v100, v101
	v_fma_f32 v150, v101, v151, v100
	s_delay_alu instid0(VALU_DEP_1) | instskip(NEXT) | instid1(VALU_DEP_1)
	v_div_scale_f32 v154, null, v150, v150, 1.0
	v_rcp_f32_e32 v155, v154
	v_nop
	s_delay_alu instid0(TRANS32_DEP_1) | instskip(NEXT) | instid1(VALU_DEP_1)
	v_fma_f32 v156, -v154, v155, 1.0
	v_fmac_f32_e32 v155, v156, v155
	v_div_scale_f32 v156, vcc_lo, 1.0, v150, 1.0
	s_delay_alu instid0(VALU_DEP_1) | instskip(NEXT) | instid1(VALU_DEP_1)
	v_mul_f32_e32 v157, v156, v155
	v_fma_f32 v158, -v154, v157, v156
	s_delay_alu instid0(VALU_DEP_1) | instskip(NEXT) | instid1(VALU_DEP_1)
	v_fmac_f32_e32 v157, v158, v155
	v_fma_f32 v154, -v154, v157, v156
	s_delay_alu instid0(VALU_DEP_1) | instskip(NEXT) | instid1(VALU_DEP_1)
	v_div_fmas_f32 v154, v154, v155, v157
	v_div_fixup_f32 v150, v154, v150, 1.0
	s_delay_alu instid0(VALU_DEP_1)
	v_mul_f32_e64 v151, v151, -v150
.LBB49_223:
	s_or_b32 exec_lo, exec_lo, s1
	ds_store_b64 v153, v[150:151]
.LBB49_224:
	s_or_b32 exec_lo, exec_lo, s2
	s_wait_dscnt 0x0
	s_barrier_signal -1
	s_barrier_wait -1
	ds_load_b64 v[150:151], v153
	s_wait_dscnt 0x0
	s_barrier_signal -1
	s_barrier_wait -1
	s_and_saveexec_b32 s4, s0
	s_cbranch_execz .LBB49_227
; %bb.225:
	v_lshl_add_u64 v[2:3], v[2:3], 2, s[6:7]
	v_cmp_eq_f32_e32 vcc_lo, 0, v102
	v_cmp_eq_f32_e64 s0, 0, v103
	v_cmp_neq_f32_e64 s1, 0, v104
	v_cmp_neq_f32_e64 s2, 0, v105
	global_load_b32 v153, v[2:3], off
	s_and_b32 s0, vcc_lo, s0
	s_delay_alu instid0(SALU_CYCLE_1) | instskip(SKIP_1) | instid1(SALU_CYCLE_1)
	v_cndmask_b32_e64 v102, 0, 1, s0
	s_or_b32 s1, s1, s2
	s_or_b32 vcc_lo, s1, s0
	v_cmp_eq_f32_e64 s0, 0, v107
	s_delay_alu instid0(VALU_DEP_2) | instskip(SKIP_1) | instid1(VALU_DEP_2)
	v_cndmask_b32_e32 v102, 2, v102, vcc_lo
	v_cmp_eq_f32_e32 vcc_lo, 0, v106
	v_cmp_eq_u32_e64 s1, 0, v102
	s_and_b32 s0, vcc_lo, s0
	v_cmp_eq_f32_e32 vcc_lo, 0, v108
	s_and_b32 s0, s0, s1
	s_delay_alu instid0(SALU_CYCLE_1) | instskip(SKIP_1) | instid1(VALU_DEP_2)
	v_cndmask_b32_e64 v102, v102, 3, s0
	v_cmp_eq_f32_e64 s0, 0, v109
	v_cmp_eq_u32_e64 s1, 0, v102
	s_and_b32 s0, vcc_lo, s0
	v_cmp_eq_f32_e32 vcc_lo, 0, v110
	s_and_b32 s0, s0, s1
	s_delay_alu instid0(SALU_CYCLE_1) | instskip(SKIP_1) | instid1(VALU_DEP_2)
	v_cndmask_b32_e64 v102, v102, 4, s0
	v_cmp_eq_f32_e64 s0, 0, v111
	;; [unrolled: 7-line block ×22, first 2 shown]
	v_cmp_eq_u32_e64 s1, 0, v102
	s_and_b32 s0, vcc_lo, s0
	s_delay_alu instid0(SALU_CYCLE_1) | instskip(NEXT) | instid1(SALU_CYCLE_1)
	s_and_b32 s0, s0, s1
	v_cndmask_b32_e64 v102, v102, 25, s0
	s_delay_alu instid0(VALU_DEP_1) | instskip(SKIP_3) | instid1(SALU_CYCLE_1)
	v_cmp_ne_u32_e64 s0, 0, v102
	s_wait_loadcnt 0x0
	v_cmp_eq_u32_e32 vcc_lo, 0, v153
	s_and_b32 s0, vcc_lo, s0
	s_and_b32 exec_lo, exec_lo, s0
	s_cbranch_execz .LBB49_227
; %bb.226:
	v_add_nc_u32_e32 v102, s3, v102
	global_store_b32 v[2:3], v102, off
.LBB49_227:
	s_wait_xcnt 0x0
	s_or_b32 exec_lo, exec_lo, s4
	v_pk_mul_f32 v[2:3], v[150:151], v[100:101] op_sel:[1,1] op_sel_hi:[0,1]
	s_clause 0x1
	global_store_b64 v[16:17], v[56:57], off
	global_store_b64 v[34:35], v[58:59], off
	v_cmp_lt_u32_e32 vcc_lo, 24, v152
	s_clause 0x2
	global_store_b64 v[0:1], v[52:53], off
	global_store_b64 v[8:9], v[50:51], off
	;; [unrolled: 1-line block ×3, first 2 shown]
	s_wait_xcnt 0x4
	v_pk_fma_f32 v[16:17], v[150:151], v[100:101], v[2:3] op_sel_hi:[1,0,1]
	v_pk_fma_f32 v[2:3], v[150:151], v[100:101], v[2:3] neg_lo:[0,0,1] neg_hi:[0,0,1]
	s_wait_xcnt 0x2
	s_delay_alu instid0(VALU_DEP_1)
	v_dual_cndmask_b32 v1, v101, v17 :: v_dual_cndmask_b32 v0, v100, v2
	s_clause 0x13
	global_store_b64 v[4:5], v[24:25], off
	global_store_b64 v[6:7], v[26:27], off
	;; [unrolled: 1-line block ×20, first 2 shown]
.LBB49_228:
	s_sendmsg sendmsg(MSG_DEALLOC_VGPRS)
	s_endpgm
	.section	.rodata,"a",@progbits
	.p2align	6, 0x0
	.amdhsa_kernel _ZN9rocsolver6v33100L23getf2_npvt_small_kernelILi25E19rocblas_complex_numIfEiiPS3_EEvT1_T3_lS5_lPT2_S5_S5_
		.amdhsa_group_segment_fixed_size 0
		.amdhsa_private_segment_fixed_size 0
		.amdhsa_kernarg_size 312
		.amdhsa_user_sgpr_count 2
		.amdhsa_user_sgpr_dispatch_ptr 0
		.amdhsa_user_sgpr_queue_ptr 0
		.amdhsa_user_sgpr_kernarg_segment_ptr 1
		.amdhsa_user_sgpr_dispatch_id 0
		.amdhsa_user_sgpr_kernarg_preload_length 0
		.amdhsa_user_sgpr_kernarg_preload_offset 0
		.amdhsa_user_sgpr_private_segment_size 0
		.amdhsa_wavefront_size32 1
		.amdhsa_uses_dynamic_stack 0
		.amdhsa_enable_private_segment 0
		.amdhsa_system_sgpr_workgroup_id_x 1
		.amdhsa_system_sgpr_workgroup_id_y 1
		.amdhsa_system_sgpr_workgroup_id_z 0
		.amdhsa_system_sgpr_workgroup_info 0
		.amdhsa_system_vgpr_workitem_id 1
		.amdhsa_next_free_vgpr 168
		.amdhsa_next_free_sgpr 15
		.amdhsa_named_barrier_count 0
		.amdhsa_reserve_vcc 1
		.amdhsa_float_round_mode_32 0
		.amdhsa_float_round_mode_16_64 0
		.amdhsa_float_denorm_mode_32 3
		.amdhsa_float_denorm_mode_16_64 3
		.amdhsa_fp16_overflow 0
		.amdhsa_memory_ordered 1
		.amdhsa_forward_progress 1
		.amdhsa_inst_pref_size 255
		.amdhsa_round_robin_scheduling 0
		.amdhsa_exception_fp_ieee_invalid_op 0
		.amdhsa_exception_fp_denorm_src 0
		.amdhsa_exception_fp_ieee_div_zero 0
		.amdhsa_exception_fp_ieee_overflow 0
		.amdhsa_exception_fp_ieee_underflow 0
		.amdhsa_exception_fp_ieee_inexact 0
		.amdhsa_exception_int_div_zero 0
	.end_amdhsa_kernel
	.section	.text._ZN9rocsolver6v33100L23getf2_npvt_small_kernelILi25E19rocblas_complex_numIfEiiPS3_EEvT1_T3_lS5_lPT2_S5_S5_,"axG",@progbits,_ZN9rocsolver6v33100L23getf2_npvt_small_kernelILi25E19rocblas_complex_numIfEiiPS3_EEvT1_T3_lS5_lPT2_S5_S5_,comdat
.Lfunc_end49:
	.size	_ZN9rocsolver6v33100L23getf2_npvt_small_kernelILi25E19rocblas_complex_numIfEiiPS3_EEvT1_T3_lS5_lPT2_S5_S5_, .Lfunc_end49-_ZN9rocsolver6v33100L23getf2_npvt_small_kernelILi25E19rocblas_complex_numIfEiiPS3_EEvT1_T3_lS5_lPT2_S5_S5_
                                        ; -- End function
	.set _ZN9rocsolver6v33100L23getf2_npvt_small_kernelILi25E19rocblas_complex_numIfEiiPS3_EEvT1_T3_lS5_lPT2_S5_S5_.num_vgpr, 168
	.set _ZN9rocsolver6v33100L23getf2_npvt_small_kernelILi25E19rocblas_complex_numIfEiiPS3_EEvT1_T3_lS5_lPT2_S5_S5_.num_agpr, 0
	.set _ZN9rocsolver6v33100L23getf2_npvt_small_kernelILi25E19rocblas_complex_numIfEiiPS3_EEvT1_T3_lS5_lPT2_S5_S5_.numbered_sgpr, 15
	.set _ZN9rocsolver6v33100L23getf2_npvt_small_kernelILi25E19rocblas_complex_numIfEiiPS3_EEvT1_T3_lS5_lPT2_S5_S5_.num_named_barrier, 0
	.set _ZN9rocsolver6v33100L23getf2_npvt_small_kernelILi25E19rocblas_complex_numIfEiiPS3_EEvT1_T3_lS5_lPT2_S5_S5_.private_seg_size, 0
	.set _ZN9rocsolver6v33100L23getf2_npvt_small_kernelILi25E19rocblas_complex_numIfEiiPS3_EEvT1_T3_lS5_lPT2_S5_S5_.uses_vcc, 1
	.set _ZN9rocsolver6v33100L23getf2_npvt_small_kernelILi25E19rocblas_complex_numIfEiiPS3_EEvT1_T3_lS5_lPT2_S5_S5_.uses_flat_scratch, 0
	.set _ZN9rocsolver6v33100L23getf2_npvt_small_kernelILi25E19rocblas_complex_numIfEiiPS3_EEvT1_T3_lS5_lPT2_S5_S5_.has_dyn_sized_stack, 0
	.set _ZN9rocsolver6v33100L23getf2_npvt_small_kernelILi25E19rocblas_complex_numIfEiiPS3_EEvT1_T3_lS5_lPT2_S5_S5_.has_recursion, 0
	.set _ZN9rocsolver6v33100L23getf2_npvt_small_kernelILi25E19rocblas_complex_numIfEiiPS3_EEvT1_T3_lS5_lPT2_S5_S5_.has_indirect_call, 0
	.section	.AMDGPU.csdata,"",@progbits
; Kernel info:
; codeLenInByte = 35160
; TotalNumSgprs: 17
; NumVgprs: 168
; ScratchSize: 0
; MemoryBound: 0
; FloatMode: 240
; IeeeMode: 1
; LDSByteSize: 0 bytes/workgroup (compile time only)
; SGPRBlocks: 0
; VGPRBlocks: 10
; NumSGPRsForWavesPerEU: 17
; NumVGPRsForWavesPerEU: 168
; NamedBarCnt: 0
; Occupancy: 5
; WaveLimiterHint : 0
; COMPUTE_PGM_RSRC2:SCRATCH_EN: 0
; COMPUTE_PGM_RSRC2:USER_SGPR: 2
; COMPUTE_PGM_RSRC2:TRAP_HANDLER: 0
; COMPUTE_PGM_RSRC2:TGID_X_EN: 1
; COMPUTE_PGM_RSRC2:TGID_Y_EN: 1
; COMPUTE_PGM_RSRC2:TGID_Z_EN: 0
; COMPUTE_PGM_RSRC2:TIDIG_COMP_CNT: 1
	.section	.text._ZN9rocsolver6v33100L18getf2_small_kernelILi26E19rocblas_complex_numIfEiiPS3_EEvT1_T3_lS5_lPS5_llPT2_S5_S5_S7_l,"axG",@progbits,_ZN9rocsolver6v33100L18getf2_small_kernelILi26E19rocblas_complex_numIfEiiPS3_EEvT1_T3_lS5_lPS5_llPT2_S5_S5_S7_l,comdat
	.globl	_ZN9rocsolver6v33100L18getf2_small_kernelILi26E19rocblas_complex_numIfEiiPS3_EEvT1_T3_lS5_lPS5_llPT2_S5_S5_S7_l ; -- Begin function _ZN9rocsolver6v33100L18getf2_small_kernelILi26E19rocblas_complex_numIfEiiPS3_EEvT1_T3_lS5_lPS5_llPT2_S5_S5_S7_l
	.p2align	8
	.type	_ZN9rocsolver6v33100L18getf2_small_kernelILi26E19rocblas_complex_numIfEiiPS3_EEvT1_T3_lS5_lPS5_llPT2_S5_S5_S7_l,@function
_ZN9rocsolver6v33100L18getf2_small_kernelILi26E19rocblas_complex_numIfEiiPS3_EEvT1_T3_lS5_lPS5_llPT2_S5_S5_S7_l: ; @_ZN9rocsolver6v33100L18getf2_small_kernelILi26E19rocblas_complex_numIfEiiPS3_EEvT1_T3_lS5_lPS5_llPT2_S5_S5_S7_l
; %bb.0:
	s_clause 0x1
	s_load_u16 s2, s[0:1], 0x6e
	s_load_b64 s[16:17], s[0:1], 0x48
	s_bfe_u32 s3, ttmp6, 0x40010
	s_bfe_u32 s4, ttmp6, 0x40004
	s_add_co_i32 s3, s3, 1
	s_getreg_b32 s5, hwreg(HW_REG_IB_STS2, 6, 4)
	s_mul_i32 s3, ttmp7, s3
	v_bfe_u32 v60, v0, 10, 10
	s_add_co_i32 s4, s4, s3
	s_cmp_eq_u32 s5, 0
	s_cselect_b32 s3, ttmp7, s4
	s_wait_kmcnt 0x0
	v_mad_u32 v2, s3, s2, v60
	s_mov_b32 s2, exec_lo
	s_delay_alu instid0(VALU_DEP_1)
	v_cmpx_gt_i32_e64 s16, v2
	s_cbranch_execz .LBB50_547
; %bb.1:
	s_load_b128 s[4:7], s[0:1], 0x50
	v_mov_b64_e32 v[4:5], 0
	v_ashrrev_i32_e32 v3, 31, v2
	s_wait_kmcnt 0x0
	s_cmp_eq_u64 s[4:5], 0
	s_cselect_b32 s16, -1, 0
	s_delay_alu instid0(SALU_CYCLE_1)
	s_and_b32 vcc_lo, exec_lo, s16
	s_cbranch_vccnz .LBB50_3
; %bb.2:
	v_mul_u64_e32 v[4:5], s[6:7], v[2:3]
	s_delay_alu instid0(VALU_DEP_1)
	v_lshl_add_u64 v[4:5], v[4:5], 2, s[4:5]
.LBB50_3:
	s_clause 0x1
	s_load_b32 s2, s[0:1], 0x18
	s_load_b32 s18, s[0:1], 0x0
	v_and_b32_e32 v64, 0x3ff, v0
	s_clause 0x1
	s_load_b256 s[4:11], s[0:1], 0x20
	s_load_b128 s[12:15], s[0:1], 0x8
	v_mov_b32_e32 v59, 0
	s_wait_kmcnt 0x0
	v_add3_u32 v6, s2, s2, v64
	s_ashr_i32 s3, s2, 31
	v_mul_u64_e32 v[0:1], s[4:5], v[2:3]
	s_max_i32 s4, s18, 26
	s_cmp_lt_i32 s18, 2
	v_dual_add_nc_u32 v8, s2, v6 :: v_dual_ashrrev_i32 v7, 31, v6
	s_delay_alu instid0(VALU_DEP_1) | instskip(NEXT) | instid1(VALU_DEP_1)
	v_add_nc_u32_e32 v10, s2, v8
	v_add_nc_u32_e32 v12, s2, v10
	s_delay_alu instid0(VALU_DEP_1) | instskip(NEXT) | instid1(VALU_DEP_1)
	v_add_nc_u32_e32 v14, s2, v12
	v_dual_add_nc_u32 v16, s2, v14 :: v_dual_lshlrev_b32 v58, 3, v64
	v_ashrrev_i32_e32 v11, 31, v10
	s_delay_alu instid0(VALU_DEP_2) | instskip(SKIP_2) | instid1(VALU_DEP_3)
	v_dual_ashrrev_i32 v15, 31, v14 :: v_dual_add_nc_u32 v18, s2, v16
	v_ashrrev_i32_e32 v13, 31, v12
	v_lshl_add_u64 v[0:1], v[0:1], 3, s[12:13]
	v_dual_add_nc_u32 v20, s2, v18 :: v_dual_ashrrev_i32 v19, 31, v18
	s_delay_alu instid0(VALU_DEP_2) | instskip(NEXT) | instid1(VALU_DEP_2)
	v_lshl_add_u64 v[0:1], s[14:15], 3, v[0:1]
	v_add_nc_u32_e32 v24, s2, v20
	s_delay_alu instid0(VALU_DEP_2) | instskip(NEXT) | instid1(VALU_DEP_2)
	v_lshl_add_u64 v[10:11], v[10:11], 3, v[0:1]
	v_add_nc_u32_e32 v26, s2, v24
	v_ashrrev_i32_e32 v9, 31, v8
	v_lshl_add_u64 v[12:13], v[12:13], 3, v[0:1]
	v_ashrrev_i32_e32 v21, 31, v20
	v_lshl_add_u64 v[42:43], v[18:19], 3, v[0:1]
	v_add_nc_u32_e32 v28, s2, v26
	v_lshl_add_u64 v[14:15], v[14:15], 3, v[0:1]
	v_ashrrev_i32_e32 v27, 31, v26
	v_add_nc_u64_e32 v[32:33], v[0:1], v[58:59]
	v_lshl_add_u64 v[6:7], v[6:7], 3, v[0:1]
	v_add_nc_u32_e32 v30, s2, v28
	v_ashrrev_i32_e32 v17, 31, v16
	v_lshl_add_u64 v[8:9], v[8:9], 3, v[0:1]
	v_lshl_add_u64 v[20:21], v[20:21], 3, v[0:1]
	s_delay_alu instid0(VALU_DEP_4) | instskip(NEXT) | instid1(VALU_DEP_4)
	v_add_nc_u32_e32 v34, s2, v30
	v_lshl_add_u64 v[38:39], v[16:17], 3, v[0:1]
	s_clause 0x3
	global_load_b64 v[44:45], v[10:11], off
	global_load_b64 v[18:19], v[12:13], off
	;; [unrolled: 1-line block ×4, first 2 shown]
	s_wait_xcnt 0x1
	v_lshl_add_u64 v[14:15], v[26:27], 3, v[0:1]
	v_add_nc_u32_e32 v36, s2, v34
	v_lshl_add_u64 v[10:11], s[2:3], 3, v[32:33]
	s_clause 0x3
	global_load_b64 v[50:51], v[6:7], off
	global_load_b64 v[48:49], v[8:9], off
	;; [unrolled: 1-line block ×4, first 2 shown]
	v_dual_ashrrev_i32 v29, 31, v28 :: v_dual_ashrrev_i32 v31, 31, v30
	v_add_nc_u32_e32 v46, s2, v36
	v_dual_ashrrev_i32 v25, 31, v24 :: v_dual_ashrrev_i32 v35, 31, v34
	s_delay_alu instid0(VALU_DEP_3) | instskip(NEXT) | instid1(VALU_DEP_4)
	v_lshl_add_u64 v[28:29], v[28:29], 3, v[0:1]
	v_lshl_add_u64 v[30:31], v[30:31], 3, v[0:1]
	s_delay_alu instid0(VALU_DEP_3)
	v_lshl_add_u64 v[12:13], v[24:25], 3, v[0:1]
	v_add_nc_u32_e32 v24, s2, v46
	s_clause 0x3
	global_load_b64 v[40:41], v[42:43], off
	global_load_b64 v[8:9], v[20:21], off
	global_load_b64 v[10:11], v[12:13], off
	global_load_b64 v[6:7], v[14:15], off
	v_lshl_add_u64 v[34:35], v[34:35], 3, v[0:1]
	v_dual_add_nc_u32 v26, s2, v24 :: v_dual_ashrrev_i32 v25, 31, v24
	s_delay_alu instid0(VALU_DEP_1) | instskip(SKIP_2) | instid1(VALU_DEP_4)
	v_dual_add_nc_u32 v32, s2, v26 :: v_dual_ashrrev_i32 v37, 31, v36
	v_ashrrev_i32_e32 v47, 31, v46
	v_ashrrev_i32_e32 v27, 31, v26
	v_lshl_add_u64 v[62:63], v[24:25], 3, v[0:1]
	s_delay_alu instid0(VALU_DEP_4)
	v_add_nc_u32_e32 v38, s2, v32
	v_lshl_add_u64 v[36:37], v[36:37], 3, v[0:1]
	s_clause 0x3
	global_load_b64 v[42:43], v[28:29], off
	global_load_b64 v[14:15], v[30:31], off
	;; [unrolled: 1-line block ×4, first 2 shown]
	s_wait_xcnt 0x1
	v_lshl_add_u64 v[34:35], v[46:47], 3, v[0:1]
	v_dual_add_nc_u32 v56, s2, v38 :: v_dual_ashrrev_i32 v39, 31, v38
	v_lshl_add_u64 v[66:67], v[26:27], 3, v[0:1]
	s_delay_alu instid0(VALU_DEP_2) | instskip(SKIP_2) | instid1(VALU_DEP_2)
	v_add_nc_u32_e32 v30, s2, v56
	v_ashrrev_i32_e32 v33, 31, v32
	s_wait_xcnt 0x0
	v_dual_ashrrev_i32 v57, 31, v56 :: v_dual_add_nc_u32 v36, s2, v30
	s_delay_alu instid0(VALU_DEP_2)
	v_lshl_add_u64 v[32:33], v[32:33], 3, v[0:1]
	s_clause 0x3
	global_load_b64 v[46:47], v[34:35], off
	global_load_b64 v[26:27], v[62:63], off
	;; [unrolled: 1-line block ×4, first 2 shown]
	v_dual_ashrrev_i32 v31, 31, v30 :: v_dual_add_nc_u32 v68, s2, v36
	v_ashrrev_i32_e32 v37, 31, v36
	s_wait_xcnt 0x2
	v_lshl_add_u64 v[62:63], v[38:39], 3, v[0:1]
	s_wait_xcnt 0x1
	v_lshl_add_u64 v[66:67], v[56:57], 3, v[0:1]
	v_lshl_add_u64 v[70:71], v[30:31], 3, v[0:1]
	s_wait_xcnt 0x0
	v_dual_add_nc_u32 v32, s2, v68 :: v_dual_ashrrev_i32 v69, 31, v68
	v_lshl_add_u64 v[72:73], v[36:37], 3, v[0:1]
	s_delay_alu instid0(VALU_DEP_2) | instskip(NEXT) | instid1(VALU_DEP_3)
	v_ashrrev_i32_e32 v33, 31, v32
	v_lshl_add_u64 v[68:69], v[68:69], 3, v[0:1]
	s_delay_alu instid0(VALU_DEP_2)
	v_lshl_add_u64 v[74:75], v[32:33], 3, v[0:1]
	s_clause 0x5
	global_load_b64 v[38:39], v[62:63], off
	global_load_b64 v[30:31], v[66:67], off
	;; [unrolled: 1-line block ×6, first 2 shown]
	s_wait_xcnt 0x5
	v_mul_lo_u32 v63, s4, v60
	s_load_b64 s[4:5], s[0:1], 0x40
	s_delay_alu instid0(VALU_DEP_1) | instskip(NEXT) | instid1(VALU_DEP_1)
	v_lshl_add_u32 v62, v63, 3, 0
	v_dual_lshlrev_b32 v63, 3, v63 :: v_dual_add_nc_u32 v58, v62, v58
	s_wait_loadcnt 0x13
	ds_store_b64 v58, v[54:55]
	s_wait_loadcnt_dscnt 0x0
	s_barrier_signal -1
	s_barrier_wait -1
	ds_load_b64 v[60:61], v62
	s_cbranch_scc1 .LBB50_6
; %bb.4:
	v_add3_u32 v58, v63, 0, 8
	v_mov_b32_e32 v59, 0
	s_wait_xcnt 0x0
	s_mov_b32 s0, 1
.LBB50_5:                               ; =>This Inner Loop Header: Depth=1
	ds_load_b64 v[66:67], v58
	s_wait_dscnt 0x1
	v_cmp_gt_f32_e32 vcc_lo, 0, v60
	v_cndmask_b32_e64 v68, v60, -v60, vcc_lo
	v_cmp_gt_f32_e32 vcc_lo, 0, v61
	v_cndmask_b32_e64 v70, v61, -v61, vcc_lo
	s_wait_dscnt 0x0
	v_cmp_gt_f32_e32 vcc_lo, 0, v66
	v_cndmask_b32_e64 v69, v66, -v66, vcc_lo
	v_cmp_gt_f32_e32 vcc_lo, 0, v67
	v_cndmask_b32_e64 v71, v67, -v67, vcc_lo
	s_delay_alu instid0(VALU_DEP_1) | instskip(NEXT) | instid1(VALU_DEP_1)
	v_pk_add_f32 v[68:69], v[68:69], v[70:71]
	v_cmp_lt_f32_e32 vcc_lo, v68, v69
	v_dual_cndmask_b32 v61, v61, v67 :: v_dual_add_nc_u32 v58, 8, v58
	v_cndmask_b32_e32 v60, v60, v66, vcc_lo
	v_cndmask_b32_e64 v59, v59, s0, vcc_lo
	s_add_co_i32 s0, s0, 1
	s_delay_alu instid0(SALU_CYCLE_1)
	s_cmp_eq_u32 s18, s0
	s_cbranch_scc0 .LBB50_5
.LBB50_6:
	s_wait_dscnt 0x0
	v_cmp_neq_f32_e32 vcc_lo, 0, v60
	s_wait_xcnt 0x0
	v_cmp_neq_f32_e64 s0, 0, v61
	v_dual_mov_b32 v65, 1 :: v_dual_mov_b32 v67, 1
	s_or_b32 s1, vcc_lo, s0
	s_delay_alu instid0(SALU_CYCLE_1)
	s_and_saveexec_b32 s0, s1
	s_cbranch_execz .LBB50_12
; %bb.7:
	v_cmp_ngt_f32_e64 s1, |v60|, |v61|
	s_and_saveexec_b32 s12, s1
	s_delay_alu instid0(SALU_CYCLE_1)
	s_xor_b32 s1, exec_lo, s12
	s_cbranch_execz .LBB50_9
; %bb.8:
	v_div_scale_f32 v58, null, v61, v61, v60
	v_div_scale_f32 v67, vcc_lo, v60, v61, v60
	s_delay_alu instid0(VALU_DEP_2) | instskip(SKIP_1) | instid1(TRANS32_DEP_1)
	v_rcp_f32_e32 v65, v58
	v_nop
	v_fma_f32 v66, -v58, v65, 1.0
	s_delay_alu instid0(VALU_DEP_1) | instskip(NEXT) | instid1(VALU_DEP_1)
	v_fmac_f32_e32 v65, v66, v65
	v_mul_f32_e32 v66, v67, v65
	s_delay_alu instid0(VALU_DEP_1) | instskip(NEXT) | instid1(VALU_DEP_1)
	v_fma_f32 v68, -v58, v66, v67
	v_fmac_f32_e32 v66, v68, v65
	s_delay_alu instid0(VALU_DEP_1) | instskip(NEXT) | instid1(VALU_DEP_1)
	v_fma_f32 v58, -v58, v66, v67
	v_div_fmas_f32 v58, v58, v65, v66
	s_delay_alu instid0(VALU_DEP_1) | instskip(NEXT) | instid1(VALU_DEP_1)
	v_div_fixup_f32 v58, v58, v61, v60
	v_fmac_f32_e32 v61, v60, v58
	s_delay_alu instid0(VALU_DEP_1) | instskip(SKIP_1) | instid1(VALU_DEP_2)
	v_div_scale_f32 v60, null, v61, v61, 1.0
	v_div_scale_f32 v67, vcc_lo, 1.0, v61, 1.0
	v_rcp_f32_e32 v65, v60
	v_nop
	s_delay_alu instid0(TRANS32_DEP_1) | instskip(NEXT) | instid1(VALU_DEP_1)
	v_fma_f32 v66, -v60, v65, 1.0
	v_fmac_f32_e32 v65, v66, v65
	s_delay_alu instid0(VALU_DEP_1) | instskip(NEXT) | instid1(VALU_DEP_1)
	v_mul_f32_e32 v66, v67, v65
	v_fma_f32 v68, -v60, v66, v67
	s_delay_alu instid0(VALU_DEP_1) | instskip(NEXT) | instid1(VALU_DEP_1)
	v_fmac_f32_e32 v66, v68, v65
	v_fma_f32 v60, -v60, v66, v67
	s_delay_alu instid0(VALU_DEP_1) | instskip(NEXT) | instid1(VALU_DEP_1)
	v_div_fmas_f32 v60, v60, v65, v66
	v_div_fixup_f32 v61, v60, v61, 1.0
	s_delay_alu instid0(VALU_DEP_1)
	v_mul_f32_e32 v60, v58, v61
	v_xor_b32_e32 v61, 0x80000000, v61
.LBB50_9:
	s_and_not1_saveexec_b32 s1, s1
	s_cbranch_execz .LBB50_11
; %bb.10:
	s_delay_alu instid0(VALU_DEP_1) | instskip(SKIP_1) | instid1(VALU_DEP_2)
	v_div_scale_f32 v58, null, v60, v60, v61
	v_div_scale_f32 v67, vcc_lo, v61, v60, v61
	v_rcp_f32_e32 v65, v58
	v_nop
	s_delay_alu instid0(TRANS32_DEP_1) | instskip(NEXT) | instid1(VALU_DEP_1)
	v_fma_f32 v66, -v58, v65, 1.0
	v_fmac_f32_e32 v65, v66, v65
	s_delay_alu instid0(VALU_DEP_1) | instskip(NEXT) | instid1(VALU_DEP_1)
	v_mul_f32_e32 v66, v67, v65
	v_fma_f32 v68, -v58, v66, v67
	s_delay_alu instid0(VALU_DEP_1) | instskip(NEXT) | instid1(VALU_DEP_1)
	v_fmac_f32_e32 v66, v68, v65
	v_fma_f32 v58, -v58, v66, v67
	s_delay_alu instid0(VALU_DEP_1) | instskip(NEXT) | instid1(VALU_DEP_1)
	v_div_fmas_f32 v58, v58, v65, v66
	v_div_fixup_f32 v58, v58, v60, v61
	s_delay_alu instid0(VALU_DEP_1) | instskip(NEXT) | instid1(VALU_DEP_1)
	v_fmac_f32_e32 v60, v61, v58
	v_div_scale_f32 v61, null, v60, v60, 1.0
	s_delay_alu instid0(VALU_DEP_1) | instskip(SKIP_1) | instid1(TRANS32_DEP_1)
	v_rcp_f32_e32 v65, v61
	v_nop
	v_fma_f32 v66, -v61, v65, 1.0
	s_delay_alu instid0(VALU_DEP_1) | instskip(SKIP_1) | instid1(VALU_DEP_1)
	v_fmac_f32_e32 v65, v66, v65
	v_div_scale_f32 v66, vcc_lo, 1.0, v60, 1.0
	v_mul_f32_e32 v67, v66, v65
	s_delay_alu instid0(VALU_DEP_1) | instskip(NEXT) | instid1(VALU_DEP_1)
	v_fma_f32 v68, -v61, v67, v66
	v_fmac_f32_e32 v67, v68, v65
	s_delay_alu instid0(VALU_DEP_1) | instskip(NEXT) | instid1(VALU_DEP_1)
	v_fma_f32 v61, -v61, v67, v66
	v_div_fmas_f32 v61, v61, v65, v67
	s_delay_alu instid0(VALU_DEP_1) | instskip(NEXT) | instid1(VALU_DEP_1)
	v_div_fixup_f32 v60, v61, v60, 1.0
	v_mul_f32_e64 v61, v58, -v60
.LBB50_11:
	s_or_b32 exec_lo, exec_lo, s1
	v_dual_mov_b32 v67, 0 :: v_dual_mov_b32 v65, 2
.LBB50_12:
	s_or_b32 exec_lo, exec_lo, s0
	s_delay_alu instid0(SALU_CYCLE_1)
	s_mov_b32 s0, exec_lo
	v_cmpx_ne_u32_e64 v64, v59
	s_xor_b32 s0, exec_lo, s0
	s_cbranch_execz .LBB50_18
; %bb.13:
	s_mov_b32 s1, exec_lo
	v_cmpx_eq_u32_e32 0, v64
	s_cbranch_execz .LBB50_17
; %bb.14:
	v_cmp_ne_u32_e32 vcc_lo, 0, v59
	s_xor_b32 s12, s16, -1
	s_delay_alu instid0(SALU_CYCLE_1) | instskip(NEXT) | instid1(SALU_CYCLE_1)
	s_and_b32 s13, s12, vcc_lo
	s_and_saveexec_b32 s12, s13
	s_cbranch_execz .LBB50_16
; %bb.15:
	v_dual_mov_b32 v68, v59 :: v_dual_ashrrev_i32 v69, 31, v59
	s_delay_alu instid0(VALU_DEP_1)
	v_lshl_add_u64 v[68:69], v[68:69], 2, v[4:5]
	s_clause 0x1
	global_load_b32 v58, v[68:69], off
	global_load_b32 v64, v[4:5], off
	s_wait_loadcnt 0x1
	global_store_b32 v[4:5], v58, off
	s_wait_loadcnt 0x0
	global_store_b32 v[68:69], v64, off
.LBB50_16:
	s_wait_xcnt 0x0
	s_or_b32 exec_lo, exec_lo, s12
	v_mov_b32_e32 v64, v59
.LBB50_17:
	s_or_b32 exec_lo, exec_lo, s1
.LBB50_18:
	s_or_saveexec_b32 s0, s0
	s_delay_alu instid0(VALU_DEP_1)
	v_mov_b32_e32 v66, v64
	s_xor_b32 exec_lo, exec_lo, s0
	s_cbranch_execz .LBB50_20
; %bb.19:
	v_mov_b32_e32 v66, 0
	ds_store_2addr_b64 v62, v[52:53], v[50:51] offset0:1 offset1:2
	ds_store_2addr_b64 v62, v[48:49], v[44:45] offset0:3 offset1:4
	;; [unrolled: 1-line block ×12, first 2 shown]
	ds_store_b64 v62, v[56:57] offset:200
.LBB50_20:
	s_or_b32 exec_lo, exec_lo, s0
	s_delay_alu instid0(SALU_CYCLE_1)
	s_mov_b32 s0, exec_lo
	s_wait_storecnt_dscnt 0x0
	s_barrier_signal -1
	s_barrier_wait -1
	v_cmpx_lt_i32_e32 0, v66
	s_cbranch_execz .LBB50_22
; %bb.21:
	v_pk_mul_f32 v[68:69], v[60:61], v[54:55] op_sel:[1,1] op_sel_hi:[0,1]
	s_delay_alu instid0(VALU_DEP_1)
	v_pk_fma_f32 v[58:59], v[60:61], v[54:55], v[68:69] op_sel_hi:[1,0,1] neg_lo:[0,0,1] neg_hi:[0,0,1]
	v_pk_fma_f32 v[60:61], v[60:61], v[54:55], v[68:69] op_sel_hi:[1,0,1]
	ds_load_2addr_b64 v[68:71], v62 offset0:1 offset1:2
	v_dual_mov_b32 v54, v58 :: v_dual_mov_b32 v55, v61
	s_wait_dscnt 0x0
	v_pk_mul_f32 v[72:73], v[68:69], v[60:61] op_sel:[0,1]
	s_delay_alu instid0(VALU_DEP_1) | instskip(SKIP_1) | instid1(VALU_DEP_1)
	v_pk_fma_f32 v[74:75], v[68:69], v[58:59], v[72:73] op_sel:[0,0,1] op_sel_hi:[1,1,0] neg_lo:[0,0,1] neg_hi:[0,0,1]
	v_pk_fma_f32 v[68:69], v[68:69], v[58:59], v[72:73] op_sel:[0,0,1] op_sel_hi:[1,0,0]
	v_mov_b32_e32 v75, v69
	v_pk_mul_f32 v[68:69], v[70:71], v[60:61] op_sel:[0,1]
	s_delay_alu instid0(VALU_DEP_1) | instskip(SKIP_1) | instid1(VALU_DEP_1)
	v_pk_fma_f32 v[72:73], v[70:71], v[58:59], v[68:69] op_sel:[0,0,1] op_sel_hi:[1,1,0] neg_lo:[0,0,1] neg_hi:[0,0,1]
	v_pk_fma_f32 v[68:69], v[70:71], v[58:59], v[68:69] op_sel:[0,0,1] op_sel_hi:[1,0,0]
	v_mov_b32_e32 v73, v69
	ds_load_2addr_b64 v[68:71], v62 offset0:3 offset1:4
	v_pk_add_f32 v[52:53], v[52:53], v[74:75] neg_lo:[0,1] neg_hi:[0,1]
	v_pk_add_f32 v[50:51], v[50:51], v[72:73] neg_lo:[0,1] neg_hi:[0,1]
	s_wait_dscnt 0x0
	v_pk_mul_f32 v[72:73], v[68:69], v[60:61] op_sel:[0,1]
	s_delay_alu instid0(VALU_DEP_1) | instskip(SKIP_2) | instid1(VALU_DEP_2)
	v_pk_fma_f32 v[74:75], v[68:69], v[58:59], v[72:73] op_sel:[0,0,1] op_sel_hi:[1,1,0] neg_lo:[0,0,1] neg_hi:[0,0,1]
	v_pk_fma_f32 v[68:69], v[68:69], v[58:59], v[72:73] op_sel:[0,0,1] op_sel_hi:[1,0,0]
	v_dual_mul_f32 v72, v71, v61 :: v_dual_mov_b32 v68, v71
	v_dual_mov_b32 v75, v69 :: v_dual_mov_b32 v69, v70
	s_delay_alu instid0(VALU_DEP_2) | instskip(SKIP_1) | instid1(VALU_DEP_3)
	v_pk_fma_f32 v[72:73], v[70:71], v[54:55], v[72:73] op_sel_hi:[1,1,0] neg_lo:[0,0,1] neg_hi:[0,0,1]
	v_mul_f32_e32 v70, v71, v58
	v_pk_add_f32 v[48:49], v[48:49], v[74:75] neg_lo:[0,1] neg_hi:[0,1]
	s_delay_alu instid0(VALU_DEP_2) | instskip(NEXT) | instid1(VALU_DEP_1)
	v_pk_fma_f32 v[68:69], v[68:69], v[54:55], v[70:71] op_sel_hi:[1,1,0]
	v_mov_b32_e32 v73, v69
	ds_load_2addr_b64 v[68:71], v62 offset0:5 offset1:6
	v_pk_add_f32 v[44:45], v[44:45], v[72:73] neg_lo:[0,1] neg_hi:[0,1]
	s_wait_dscnt 0x0
	v_pk_mul_f32 v[72:73], v[68:69], v[60:61] op_sel:[0,1]
	s_delay_alu instid0(VALU_DEP_1) | instskip(SKIP_1) | instid1(VALU_DEP_1)
	v_pk_fma_f32 v[74:75], v[68:69], v[58:59], v[72:73] op_sel:[0,0,1] op_sel_hi:[1,1,0] neg_lo:[0,0,1] neg_hi:[0,0,1]
	v_pk_fma_f32 v[68:69], v[68:69], v[58:59], v[72:73] op_sel:[0,0,1] op_sel_hi:[1,0,0]
	v_mov_b32_e32 v75, v69
	v_pk_mul_f32 v[68:69], v[70:71], v[60:61] op_sel:[0,1]
	s_delay_alu instid0(VALU_DEP_1) | instskip(SKIP_1) | instid1(VALU_DEP_1)
	v_pk_fma_f32 v[72:73], v[70:71], v[58:59], v[68:69] op_sel:[0,0,1] op_sel_hi:[1,1,0] neg_lo:[0,0,1] neg_hi:[0,0,1]
	v_pk_fma_f32 v[68:69], v[70:71], v[58:59], v[68:69] op_sel:[0,0,1] op_sel_hi:[1,0,0]
	v_mov_b32_e32 v73, v69
	ds_load_2addr_b64 v[68:71], v62 offset0:7 offset1:8
	v_pk_add_f32 v[18:19], v[18:19], v[74:75] neg_lo:[0,1] neg_hi:[0,1]
	v_pk_add_f32 v[22:23], v[22:23], v[72:73] neg_lo:[0,1] neg_hi:[0,1]
	s_wait_dscnt 0x0
	v_pk_mul_f32 v[72:73], v[68:69], v[60:61] op_sel:[0,1]
	s_delay_alu instid0(VALU_DEP_1) | instskip(SKIP_1) | instid1(VALU_DEP_1)
	v_pk_fma_f32 v[74:75], v[68:69], v[58:59], v[72:73] op_sel:[0,0,1] op_sel_hi:[1,1,0] neg_lo:[0,0,1] neg_hi:[0,0,1]
	v_pk_fma_f32 v[68:69], v[68:69], v[58:59], v[72:73] op_sel:[0,0,1] op_sel_hi:[1,0,0]
	v_mov_b32_e32 v75, v69
	v_pk_mul_f32 v[68:69], v[70:71], v[60:61] op_sel:[0,1]
	s_delay_alu instid0(VALU_DEP_1) | instskip(SKIP_1) | instid1(VALU_DEP_1)
	v_pk_fma_f32 v[72:73], v[70:71], v[58:59], v[68:69] op_sel:[0,0,1] op_sel_hi:[1,1,0] neg_lo:[0,0,1] neg_hi:[0,0,1]
	v_pk_fma_f32 v[68:69], v[70:71], v[58:59], v[68:69] op_sel:[0,0,1] op_sel_hi:[1,0,0]
	v_mov_b32_e32 v73, v69
	ds_load_2addr_b64 v[68:71], v62 offset0:9 offset1:10
	v_pk_add_f32 v[16:17], v[16:17], v[74:75] neg_lo:[0,1] neg_hi:[0,1]
	v_pk_add_f32 v[40:41], v[40:41], v[72:73] neg_lo:[0,1] neg_hi:[0,1]
	s_wait_dscnt 0x0
	v_dual_mul_f32 v72, v69, v61 :: v_dual_mul_f32 v74, v69, v58
	s_delay_alu instid0(VALU_DEP_1) | instskip(NEXT) | instid1(VALU_DEP_2)
	v_pk_fma_f32 v[72:73], v[68:69], v[54:55], v[72:73] op_sel_hi:[1,1,0] neg_lo:[0,0,1] neg_hi:[0,0,1]
	v_pk_fma_f32 v[68:69], v[68:69], v[54:55], v[74:75] op_sel:[1,0,0] op_sel_hi:[0,1,0]
	s_delay_alu instid0(VALU_DEP_1) | instskip(SKIP_1) | instid1(VALU_DEP_2)
	v_mov_b32_e32 v73, v69
	v_pk_mul_f32 v[68:69], v[70:71], v[60:61] op_sel:[0,1]
	v_pk_add_f32 v[8:9], v[8:9], v[72:73] neg_lo:[0,1] neg_hi:[0,1]
	s_delay_alu instid0(VALU_DEP_2) | instskip(SKIP_1) | instid1(VALU_DEP_1)
	v_pk_fma_f32 v[72:73], v[70:71], v[58:59], v[68:69] op_sel:[0,0,1] op_sel_hi:[1,1,0] neg_lo:[0,0,1] neg_hi:[0,0,1]
	v_pk_fma_f32 v[68:69], v[70:71], v[58:59], v[68:69] op_sel:[0,0,1] op_sel_hi:[1,0,0]
	v_mov_b32_e32 v73, v69
	ds_load_2addr_b64 v[68:71], v62 offset0:11 offset1:12
	v_pk_add_f32 v[10:11], v[10:11], v[72:73] neg_lo:[0,1] neg_hi:[0,1]
	s_wait_dscnt 0x0
	v_pk_mul_f32 v[72:73], v[68:69], v[60:61] op_sel:[0,1]
	s_delay_alu instid0(VALU_DEP_1) | instskip(SKIP_1) | instid1(VALU_DEP_1)
	v_pk_fma_f32 v[74:75], v[68:69], v[58:59], v[72:73] op_sel:[0,0,1] op_sel_hi:[1,1,0] neg_lo:[0,0,1] neg_hi:[0,0,1]
	v_pk_fma_f32 v[68:69], v[68:69], v[58:59], v[72:73] op_sel:[0,0,1] op_sel_hi:[1,0,0]
	v_mov_b32_e32 v75, v69
	v_pk_mul_f32 v[68:69], v[70:71], v[60:61] op_sel:[0,1]
	s_delay_alu instid0(VALU_DEP_2) | instskip(NEXT) | instid1(VALU_DEP_2)
	v_pk_add_f32 v[6:7], v[6:7], v[74:75] neg_lo:[0,1] neg_hi:[0,1]
	v_pk_fma_f32 v[72:73], v[70:71], v[58:59], v[68:69] op_sel:[0,0,1] op_sel_hi:[1,1,0] neg_lo:[0,0,1] neg_hi:[0,0,1]
	v_pk_fma_f32 v[68:69], v[70:71], v[58:59], v[68:69] op_sel:[0,0,1] op_sel_hi:[1,0,0]
	s_delay_alu instid0(VALU_DEP_1) | instskip(SKIP_4) | instid1(VALU_DEP_1)
	v_mov_b32_e32 v73, v69
	ds_load_2addr_b64 v[68:71], v62 offset0:13 offset1:14
	v_pk_add_f32 v[42:43], v[42:43], v[72:73] neg_lo:[0,1] neg_hi:[0,1]
	s_wait_dscnt 0x0
	v_pk_mul_f32 v[72:73], v[68:69], v[60:61] op_sel:[0,1]
	v_pk_fma_f32 v[74:75], v[68:69], v[58:59], v[72:73] op_sel:[0,0,1] op_sel_hi:[1,1,0] neg_lo:[0,0,1] neg_hi:[0,0,1]
	v_pk_fma_f32 v[68:69], v[68:69], v[58:59], v[72:73] op_sel:[0,0,1] op_sel_hi:[1,0,0]
	v_dual_mul_f32 v72, v71, v61 :: v_dual_mov_b32 v68, v71
	s_delay_alu instid0(VALU_DEP_2) | instskip(NEXT) | instid1(VALU_DEP_2)
	v_dual_mov_b32 v75, v69 :: v_dual_mov_b32 v69, v70
	v_pk_fma_f32 v[72:73], v[70:71], v[54:55], v[72:73] op_sel_hi:[1,1,0] neg_lo:[0,0,1] neg_hi:[0,0,1]
	v_mul_f32_e32 v70, v71, v58
	s_delay_alu instid0(VALU_DEP_3) | instskip(NEXT) | instid1(VALU_DEP_2)
	v_pk_add_f32 v[14:15], v[14:15], v[74:75] neg_lo:[0,1] neg_hi:[0,1]
	v_pk_fma_f32 v[68:69], v[68:69], v[54:55], v[70:71] op_sel_hi:[1,1,0]
	s_delay_alu instid0(VALU_DEP_1) | instskip(SKIP_4) | instid1(VALU_DEP_1)
	v_mov_b32_e32 v73, v69
	ds_load_2addr_b64 v[68:71], v62 offset0:15 offset1:16
	v_pk_add_f32 v[20:21], v[20:21], v[72:73] neg_lo:[0,1] neg_hi:[0,1]
	s_wait_dscnt 0x0
	v_pk_mul_f32 v[72:73], v[68:69], v[60:61] op_sel:[0,1]
	v_pk_fma_f32 v[74:75], v[68:69], v[58:59], v[72:73] op_sel:[0,0,1] op_sel_hi:[1,1,0] neg_lo:[0,0,1] neg_hi:[0,0,1]
	v_pk_fma_f32 v[68:69], v[68:69], v[58:59], v[72:73] op_sel:[0,0,1] op_sel_hi:[1,0,0]
	s_delay_alu instid0(VALU_DEP_1) | instskip(SKIP_1) | instid1(VALU_DEP_1)
	v_mov_b32_e32 v75, v69
	v_pk_mul_f32 v[68:69], v[70:71], v[60:61] op_sel:[0,1]
	v_pk_fma_f32 v[72:73], v[70:71], v[58:59], v[68:69] op_sel:[0,0,1] op_sel_hi:[1,1,0] neg_lo:[0,0,1] neg_hi:[0,0,1]
	v_pk_fma_f32 v[68:69], v[70:71], v[58:59], v[68:69] op_sel:[0,0,1] op_sel_hi:[1,0,0]
	s_delay_alu instid0(VALU_DEP_1)
	v_mov_b32_e32 v73, v69
	ds_load_2addr_b64 v[68:71], v62 offset0:17 offset1:18
	v_pk_add_f32 v[12:13], v[12:13], v[74:75] neg_lo:[0,1] neg_hi:[0,1]
	v_pk_add_f32 v[46:47], v[46:47], v[72:73] neg_lo:[0,1] neg_hi:[0,1]
	s_wait_dscnt 0x0
	v_pk_mul_f32 v[72:73], v[68:69], v[60:61] op_sel:[0,1]
	s_delay_alu instid0(VALU_DEP_1) | instskip(SKIP_1) | instid1(VALU_DEP_1)
	v_pk_fma_f32 v[74:75], v[68:69], v[58:59], v[72:73] op_sel:[0,0,1] op_sel_hi:[1,1,0] neg_lo:[0,0,1] neg_hi:[0,0,1]
	v_pk_fma_f32 v[68:69], v[68:69], v[58:59], v[72:73] op_sel:[0,0,1] op_sel_hi:[1,0,0]
	v_mov_b32_e32 v75, v69
	v_pk_mul_f32 v[68:69], v[70:71], v[60:61] op_sel:[0,1]
	s_delay_alu instid0(VALU_DEP_1) | instskip(SKIP_1) | instid1(VALU_DEP_1)
	v_pk_fma_f32 v[72:73], v[70:71], v[58:59], v[68:69] op_sel:[0,0,1] op_sel_hi:[1,1,0] neg_lo:[0,0,1] neg_hi:[0,0,1]
	v_pk_fma_f32 v[68:69], v[70:71], v[58:59], v[68:69] op_sel:[0,0,1] op_sel_hi:[1,0,0]
	v_mov_b32_e32 v73, v69
	ds_load_2addr_b64 v[68:71], v62 offset0:19 offset1:20
	v_pk_add_f32 v[26:27], v[26:27], v[74:75] neg_lo:[0,1] neg_hi:[0,1]
	v_pk_add_f32 v[28:29], v[28:29], v[72:73] neg_lo:[0,1] neg_hi:[0,1]
	s_wait_dscnt 0x0
	v_dual_mul_f32 v72, v69, v61 :: v_dual_mul_f32 v74, v69, v58
	s_delay_alu instid0(VALU_DEP_1) | instskip(NEXT) | instid1(VALU_DEP_2)
	v_pk_fma_f32 v[72:73], v[68:69], v[54:55], v[72:73] op_sel_hi:[1,1,0] neg_lo:[0,0,1] neg_hi:[0,0,1]
	v_pk_fma_f32 v[68:69], v[68:69], v[54:55], v[74:75] op_sel:[1,0,0] op_sel_hi:[0,1,0]
	s_delay_alu instid0(VALU_DEP_1) | instskip(SKIP_1) | instid1(VALU_DEP_2)
	v_mov_b32_e32 v73, v69
	v_pk_mul_f32 v[68:69], v[70:71], v[60:61] op_sel:[0,1]
	v_pk_add_f32 v[24:25], v[24:25], v[72:73] neg_lo:[0,1] neg_hi:[0,1]
	s_delay_alu instid0(VALU_DEP_2) | instskip(SKIP_1) | instid1(VALU_DEP_1)
	v_pk_fma_f32 v[72:73], v[70:71], v[58:59], v[68:69] op_sel:[0,0,1] op_sel_hi:[1,1,0] neg_lo:[0,0,1] neg_hi:[0,0,1]
	v_pk_fma_f32 v[68:69], v[70:71], v[58:59], v[68:69] op_sel:[0,0,1] op_sel_hi:[1,0,0]
	v_mov_b32_e32 v73, v69
	ds_load_2addr_b64 v[68:71], v62 offset0:21 offset1:22
	v_pk_add_f32 v[38:39], v[38:39], v[72:73] neg_lo:[0,1] neg_hi:[0,1]
	s_wait_dscnt 0x0
	v_pk_mul_f32 v[72:73], v[68:69], v[60:61] op_sel:[0,1]
	s_delay_alu instid0(VALU_DEP_1) | instskip(SKIP_1) | instid1(VALU_DEP_1)
	v_pk_fma_f32 v[74:75], v[68:69], v[58:59], v[72:73] op_sel:[0,0,1] op_sel_hi:[1,1,0] neg_lo:[0,0,1] neg_hi:[0,0,1]
	v_pk_fma_f32 v[68:69], v[68:69], v[58:59], v[72:73] op_sel:[0,0,1] op_sel_hi:[1,0,0]
	v_mov_b32_e32 v75, v69
	v_pk_mul_f32 v[68:69], v[70:71], v[60:61] op_sel:[0,1]
	s_delay_alu instid0(VALU_DEP_2) | instskip(NEXT) | instid1(VALU_DEP_2)
	v_pk_add_f32 v[30:31], v[30:31], v[74:75] neg_lo:[0,1] neg_hi:[0,1]
	v_pk_fma_f32 v[72:73], v[70:71], v[58:59], v[68:69] op_sel:[0,0,1] op_sel_hi:[1,1,0] neg_lo:[0,0,1] neg_hi:[0,0,1]
	v_pk_fma_f32 v[68:69], v[70:71], v[58:59], v[68:69] op_sel:[0,0,1] op_sel_hi:[1,0,0]
	s_delay_alu instid0(VALU_DEP_1) | instskip(SKIP_4) | instid1(VALU_DEP_1)
	v_mov_b32_e32 v73, v69
	ds_load_2addr_b64 v[68:71], v62 offset0:23 offset1:24
	v_pk_add_f32 v[36:37], v[36:37], v[72:73] neg_lo:[0,1] neg_hi:[0,1]
	s_wait_dscnt 0x0
	v_pk_mul_f32 v[72:73], v[68:69], v[60:61] op_sel:[0,1]
	v_pk_fma_f32 v[74:75], v[68:69], v[58:59], v[72:73] op_sel:[0,0,1] op_sel_hi:[1,1,0] neg_lo:[0,0,1] neg_hi:[0,0,1]
	v_pk_fma_f32 v[68:69], v[68:69], v[58:59], v[72:73] op_sel:[0,0,1] op_sel_hi:[1,0,0]
	v_dual_mul_f32 v72, v71, v61 :: v_dual_mov_b32 v68, v71
	s_delay_alu instid0(VALU_DEP_2) | instskip(NEXT) | instid1(VALU_DEP_2)
	v_dual_mov_b32 v75, v69 :: v_dual_mov_b32 v69, v70
	v_pk_fma_f32 v[72:73], v[70:71], v[54:55], v[72:73] op_sel_hi:[1,1,0] neg_lo:[0,0,1] neg_hi:[0,0,1]
	v_mul_f32_e32 v70, v71, v58
	s_delay_alu instid0(VALU_DEP_3) | instskip(NEXT) | instid1(VALU_DEP_2)
	v_pk_add_f32 v[34:35], v[34:35], v[74:75] neg_lo:[0,1] neg_hi:[0,1]
	v_pk_fma_f32 v[68:69], v[68:69], v[54:55], v[70:71] op_sel_hi:[1,1,0]
	s_delay_alu instid0(VALU_DEP_1) | instskip(SKIP_4) | instid1(VALU_DEP_1)
	v_mov_b32_e32 v73, v69
	ds_load_b64 v[68:69], v62 offset:200
	v_pk_add_f32 v[32:33], v[32:33], v[72:73] neg_lo:[0,1] neg_hi:[0,1]
	s_wait_dscnt 0x0
	v_pk_mul_f32 v[60:61], v[68:69], v[60:61] op_sel:[0,1]
	v_pk_fma_f32 v[70:71], v[68:69], v[58:59], v[60:61] op_sel:[0,0,1] op_sel_hi:[1,1,0] neg_lo:[0,0,1] neg_hi:[0,0,1]
	v_pk_fma_f32 v[58:59], v[68:69], v[58:59], v[60:61] op_sel:[0,0,1] op_sel_hi:[1,0,0]
	s_delay_alu instid0(VALU_DEP_1) | instskip(NEXT) | instid1(VALU_DEP_1)
	v_mov_b32_e32 v71, v59
	v_pk_add_f32 v[56:57], v[56:57], v[70:71] neg_lo:[0,1] neg_hi:[0,1]
.LBB50_22:
	s_or_b32 exec_lo, exec_lo, s0
	v_lshl_add_u32 v58, v66, 3, v62
	s_barrier_signal -1
	s_barrier_wait -1
	ds_store_b64 v58, v[52:53]
	s_wait_dscnt 0x0
	s_barrier_signal -1
	s_barrier_wait -1
	ds_load_b64 v[60:61], v62 offset:8
	v_mov_b32_e32 v58, 1
	s_cmp_lt_i32 s18, 3
	s_cbranch_scc1 .LBB50_25
; %bb.23:
	v_add3_u32 v59, v63, 0, 16
	v_mov_b32_e32 v58, 1
	s_mov_b32 s0, 2
.LBB50_24:                              ; =>This Inner Loop Header: Depth=1
	ds_load_b64 v[68:69], v59
	s_wait_dscnt 0x1
	v_cmp_gt_f32_e32 vcc_lo, 0, v60
	v_cndmask_b32_e64 v70, v60, -v60, vcc_lo
	v_cmp_gt_f32_e32 vcc_lo, 0, v61
	v_cndmask_b32_e64 v72, v61, -v61, vcc_lo
	s_wait_dscnt 0x0
	v_cmp_gt_f32_e32 vcc_lo, 0, v68
	v_cndmask_b32_e64 v71, v68, -v68, vcc_lo
	v_cmp_gt_f32_e32 vcc_lo, 0, v69
	v_cndmask_b32_e64 v73, v69, -v69, vcc_lo
	s_delay_alu instid0(VALU_DEP_1) | instskip(NEXT) | instid1(VALU_DEP_1)
	v_pk_add_f32 v[70:71], v[70:71], v[72:73]
	v_cmp_lt_f32_e32 vcc_lo, v70, v71
	v_dual_add_nc_u32 v59, 8, v59 :: v_dual_cndmask_b32 v61, v61, v69, vcc_lo
	v_cndmask_b32_e32 v60, v60, v68, vcc_lo
	v_cndmask_b32_e64 v58, v58, s0, vcc_lo
	s_add_co_i32 s0, s0, 1
	s_delay_alu instid0(SALU_CYCLE_1)
	s_cmp_lg_u32 s18, s0
	s_cbranch_scc1 .LBB50_24
.LBB50_25:
	s_wait_dscnt 0x0
	v_cmp_neq_f32_e32 vcc_lo, 0, v60
	v_cmp_neq_f32_e64 s0, 0, v61
	s_or_b32 s1, vcc_lo, s0
	s_delay_alu instid0(SALU_CYCLE_1)
	s_and_saveexec_b32 s0, s1
	s_cbranch_execz .LBB50_31
; %bb.26:
	v_cmp_ngt_f32_e64 s1, |v60|, |v61|
	s_and_saveexec_b32 s12, s1
	s_delay_alu instid0(SALU_CYCLE_1)
	s_xor_b32 s1, exec_lo, s12
	s_cbranch_execz .LBB50_28
; %bb.27:
	v_div_scale_f32 v59, null, v61, v61, v60
	v_div_scale_f32 v69, vcc_lo, v60, v61, v60
	s_delay_alu instid0(VALU_DEP_2) | instskip(SKIP_1) | instid1(TRANS32_DEP_1)
	v_rcp_f32_e32 v65, v59
	v_nop
	v_fma_f32 v68, -v59, v65, 1.0
	s_delay_alu instid0(VALU_DEP_1) | instskip(NEXT) | instid1(VALU_DEP_1)
	v_fmac_f32_e32 v65, v68, v65
	v_mul_f32_e32 v68, v69, v65
	s_delay_alu instid0(VALU_DEP_1) | instskip(NEXT) | instid1(VALU_DEP_1)
	v_fma_f32 v70, -v59, v68, v69
	v_fmac_f32_e32 v68, v70, v65
	s_delay_alu instid0(VALU_DEP_1) | instskip(NEXT) | instid1(VALU_DEP_1)
	v_fma_f32 v59, -v59, v68, v69
	v_div_fmas_f32 v59, v59, v65, v68
	s_delay_alu instid0(VALU_DEP_1) | instskip(NEXT) | instid1(VALU_DEP_1)
	v_div_fixup_f32 v59, v59, v61, v60
	v_fmac_f32_e32 v61, v60, v59
	s_delay_alu instid0(VALU_DEP_1) | instskip(SKIP_1) | instid1(VALU_DEP_2)
	v_div_scale_f32 v60, null, v61, v61, 1.0
	v_div_scale_f32 v69, vcc_lo, 1.0, v61, 1.0
	v_rcp_f32_e32 v65, v60
	v_nop
	s_delay_alu instid0(TRANS32_DEP_1) | instskip(NEXT) | instid1(VALU_DEP_1)
	v_fma_f32 v68, -v60, v65, 1.0
	v_fmac_f32_e32 v65, v68, v65
	s_delay_alu instid0(VALU_DEP_1) | instskip(NEXT) | instid1(VALU_DEP_1)
	v_mul_f32_e32 v68, v69, v65
	v_fma_f32 v70, -v60, v68, v69
	s_delay_alu instid0(VALU_DEP_1) | instskip(NEXT) | instid1(VALU_DEP_1)
	v_fmac_f32_e32 v68, v70, v65
	v_fma_f32 v60, -v60, v68, v69
	s_delay_alu instid0(VALU_DEP_1) | instskip(NEXT) | instid1(VALU_DEP_1)
	v_div_fmas_f32 v60, v60, v65, v68
	v_div_fixup_f32 v61, v60, v61, 1.0
	s_delay_alu instid0(VALU_DEP_1)
	v_mul_f32_e32 v60, v59, v61
	v_xor_b32_e32 v61, 0x80000000, v61
.LBB50_28:
	s_and_not1_saveexec_b32 s1, s1
	s_cbranch_execz .LBB50_30
; %bb.29:
	s_delay_alu instid0(VALU_DEP_1) | instskip(SKIP_1) | instid1(VALU_DEP_2)
	v_div_scale_f32 v59, null, v60, v60, v61
	v_div_scale_f32 v69, vcc_lo, v61, v60, v61
	v_rcp_f32_e32 v65, v59
	v_nop
	s_delay_alu instid0(TRANS32_DEP_1) | instskip(NEXT) | instid1(VALU_DEP_1)
	v_fma_f32 v68, -v59, v65, 1.0
	v_fmac_f32_e32 v65, v68, v65
	s_delay_alu instid0(VALU_DEP_1) | instskip(NEXT) | instid1(VALU_DEP_1)
	v_mul_f32_e32 v68, v69, v65
	v_fma_f32 v70, -v59, v68, v69
	s_delay_alu instid0(VALU_DEP_1) | instskip(NEXT) | instid1(VALU_DEP_1)
	v_fmac_f32_e32 v68, v70, v65
	v_fma_f32 v59, -v59, v68, v69
	s_delay_alu instid0(VALU_DEP_1) | instskip(NEXT) | instid1(VALU_DEP_1)
	v_div_fmas_f32 v59, v59, v65, v68
	v_div_fixup_f32 v59, v59, v60, v61
	s_delay_alu instid0(VALU_DEP_1) | instskip(NEXT) | instid1(VALU_DEP_1)
	v_fmac_f32_e32 v60, v61, v59
	v_div_scale_f32 v61, null, v60, v60, 1.0
	s_delay_alu instid0(VALU_DEP_1) | instskip(SKIP_1) | instid1(TRANS32_DEP_1)
	v_rcp_f32_e32 v65, v61
	v_nop
	v_fma_f32 v68, -v61, v65, 1.0
	s_delay_alu instid0(VALU_DEP_1) | instskip(SKIP_1) | instid1(VALU_DEP_1)
	v_fmac_f32_e32 v65, v68, v65
	v_div_scale_f32 v68, vcc_lo, 1.0, v60, 1.0
	v_mul_f32_e32 v69, v68, v65
	s_delay_alu instid0(VALU_DEP_1) | instskip(NEXT) | instid1(VALU_DEP_1)
	v_fma_f32 v70, -v61, v69, v68
	v_fmac_f32_e32 v69, v70, v65
	s_delay_alu instid0(VALU_DEP_1) | instskip(NEXT) | instid1(VALU_DEP_1)
	v_fma_f32 v61, -v61, v69, v68
	v_div_fmas_f32 v61, v61, v65, v69
	s_delay_alu instid0(VALU_DEP_1) | instskip(NEXT) | instid1(VALU_DEP_1)
	v_div_fixup_f32 v60, v61, v60, 1.0
	v_mul_f32_e64 v61, v59, -v60
.LBB50_30:
	s_or_b32 exec_lo, exec_lo, s1
	v_mov_b32_e32 v65, v67
.LBB50_31:
	s_or_b32 exec_lo, exec_lo, s0
	s_delay_alu instid0(SALU_CYCLE_1)
	s_mov_b32 s0, exec_lo
	v_cmpx_ne_u32_e64 v66, v58
	s_xor_b32 s0, exec_lo, s0
	s_cbranch_execz .LBB50_37
; %bb.32:
	s_mov_b32 s1, exec_lo
	v_cmpx_eq_u32_e32 1, v66
	s_cbranch_execz .LBB50_36
; %bb.33:
	v_cmp_ne_u32_e32 vcc_lo, 1, v58
	s_xor_b32 s12, s16, -1
	s_delay_alu instid0(SALU_CYCLE_1) | instskip(NEXT) | instid1(SALU_CYCLE_1)
	s_and_b32 s13, s12, vcc_lo
	s_and_saveexec_b32 s12, s13
	s_cbranch_execz .LBB50_35
; %bb.34:
	v_ashrrev_i32_e32 v59, 31, v58
	s_delay_alu instid0(VALU_DEP_1)
	v_lshl_add_u64 v[66:67], v[58:59], 2, v[4:5]
	s_clause 0x1
	global_load_b32 v59, v[66:67], off
	global_load_b32 v64, v[4:5], off offset:4
	s_wait_loadcnt 0x1
	global_store_b32 v[4:5], v59, off offset:4
	s_wait_loadcnt 0x0
	global_store_b32 v[66:67], v64, off
.LBB50_35:
	s_wait_xcnt 0x0
	s_or_b32 exec_lo, exec_lo, s12
	v_dual_mov_b32 v66, v58 :: v_dual_mov_b32 v64, v58
.LBB50_36:
	s_or_b32 exec_lo, exec_lo, s1
.LBB50_37:
	s_and_not1_saveexec_b32 s0, s0
	s_cbranch_execz .LBB50_39
; %bb.38:
	v_dual_mov_b32 v58, v50 :: v_dual_mov_b32 v59, v51
	v_dual_mov_b32 v66, v48 :: v_dual_mov_b32 v67, v49
	ds_store_2addr_b64 v62, v[58:59], v[66:67] offset0:2 offset1:3
	v_dual_mov_b32 v58, v44 :: v_dual_mov_b32 v59, v45
	v_dual_mov_b32 v66, v18 :: v_dual_mov_b32 v67, v19
	ds_store_2addr_b64 v62, v[58:59], v[66:67] offset0:4 offset1:5
	;; [unrolled: 3-line block ×11, first 2 shown]
	v_dual_mov_b32 v58, v32 :: v_dual_mov_b32 v59, v33
	v_mov_b32_e32 v66, 1
	ds_store_2addr_b64 v62, v[58:59], v[56:57] offset0:24 offset1:25
.LBB50_39:
	s_or_b32 exec_lo, exec_lo, s0
	s_delay_alu instid0(SALU_CYCLE_1)
	s_mov_b32 s0, exec_lo
	s_wait_storecnt_dscnt 0x0
	s_barrier_signal -1
	s_barrier_wait -1
	v_cmpx_lt_i32_e32 1, v66
	s_cbranch_execz .LBB50_41
; %bb.40:
	v_pk_mul_f32 v[68:69], v[60:61], v[52:53] op_sel:[1,1] op_sel_hi:[0,1]
	s_delay_alu instid0(VALU_DEP_1)
	v_pk_fma_f32 v[58:59], v[60:61], v[52:53], v[68:69] op_sel_hi:[1,0,1] neg_lo:[0,0,1] neg_hi:[0,0,1]
	v_pk_fma_f32 v[60:61], v[60:61], v[52:53], v[68:69] op_sel_hi:[1,0,1]
	ds_load_2addr_b64 v[68:71], v62 offset0:2 offset1:3
	v_dual_mov_b32 v52, v58 :: v_dual_mov_b32 v53, v61
	s_wait_dscnt 0x0
	v_pk_mul_f32 v[72:73], v[68:69], v[60:61] op_sel:[0,1]
	s_delay_alu instid0(VALU_DEP_1) | instskip(SKIP_1) | instid1(VALU_DEP_1)
	v_pk_fma_f32 v[74:75], v[68:69], v[58:59], v[72:73] op_sel:[0,0,1] op_sel_hi:[1,1,0] neg_lo:[0,0,1] neg_hi:[0,0,1]
	v_pk_fma_f32 v[68:69], v[68:69], v[58:59], v[72:73] op_sel:[0,0,1] op_sel_hi:[1,0,0]
	v_mov_b32_e32 v75, v69
	v_pk_mul_f32 v[68:69], v[70:71], v[60:61] op_sel:[0,1]
	s_delay_alu instid0(VALU_DEP_1) | instskip(SKIP_1) | instid1(VALU_DEP_1)
	v_pk_fma_f32 v[72:73], v[70:71], v[58:59], v[68:69] op_sel:[0,0,1] op_sel_hi:[1,1,0] neg_lo:[0,0,1] neg_hi:[0,0,1]
	v_pk_fma_f32 v[68:69], v[70:71], v[58:59], v[68:69] op_sel:[0,0,1] op_sel_hi:[1,0,0]
	v_mov_b32_e32 v73, v69
	ds_load_2addr_b64 v[68:71], v62 offset0:4 offset1:5
	v_pk_add_f32 v[50:51], v[50:51], v[74:75] neg_lo:[0,1] neg_hi:[0,1]
	v_pk_add_f32 v[48:49], v[48:49], v[72:73] neg_lo:[0,1] neg_hi:[0,1]
	s_wait_dscnt 0x0
	v_pk_mul_f32 v[72:73], v[68:69], v[60:61] op_sel:[0,1]
	s_delay_alu instid0(VALU_DEP_1) | instskip(SKIP_2) | instid1(VALU_DEP_2)
	v_pk_fma_f32 v[74:75], v[68:69], v[58:59], v[72:73] op_sel:[0,0,1] op_sel_hi:[1,1,0] neg_lo:[0,0,1] neg_hi:[0,0,1]
	v_pk_fma_f32 v[68:69], v[68:69], v[58:59], v[72:73] op_sel:[0,0,1] op_sel_hi:[1,0,0]
	v_dual_mul_f32 v72, v71, v61 :: v_dual_mov_b32 v68, v71
	v_dual_mov_b32 v75, v69 :: v_dual_mov_b32 v69, v70
	s_delay_alu instid0(VALU_DEP_2) | instskip(SKIP_1) | instid1(VALU_DEP_3)
	v_pk_fma_f32 v[72:73], v[70:71], v[52:53], v[72:73] op_sel_hi:[1,1,0] neg_lo:[0,0,1] neg_hi:[0,0,1]
	v_mul_f32_e32 v70, v71, v58
	v_pk_add_f32 v[44:45], v[44:45], v[74:75] neg_lo:[0,1] neg_hi:[0,1]
	s_delay_alu instid0(VALU_DEP_2) | instskip(NEXT) | instid1(VALU_DEP_1)
	v_pk_fma_f32 v[68:69], v[68:69], v[52:53], v[70:71] op_sel_hi:[1,1,0]
	v_mov_b32_e32 v73, v69
	ds_load_2addr_b64 v[68:71], v62 offset0:6 offset1:7
	v_pk_add_f32 v[18:19], v[18:19], v[72:73] neg_lo:[0,1] neg_hi:[0,1]
	s_wait_dscnt 0x0
	v_pk_mul_f32 v[72:73], v[68:69], v[60:61] op_sel:[0,1]
	s_delay_alu instid0(VALU_DEP_1) | instskip(SKIP_1) | instid1(VALU_DEP_1)
	v_pk_fma_f32 v[74:75], v[68:69], v[58:59], v[72:73] op_sel:[0,0,1] op_sel_hi:[1,1,0] neg_lo:[0,0,1] neg_hi:[0,0,1]
	v_pk_fma_f32 v[68:69], v[68:69], v[58:59], v[72:73] op_sel:[0,0,1] op_sel_hi:[1,0,0]
	v_mov_b32_e32 v75, v69
	v_pk_mul_f32 v[68:69], v[70:71], v[60:61] op_sel:[0,1]
	s_delay_alu instid0(VALU_DEP_1) | instskip(SKIP_1) | instid1(VALU_DEP_1)
	v_pk_fma_f32 v[72:73], v[70:71], v[58:59], v[68:69] op_sel:[0,0,1] op_sel_hi:[1,1,0] neg_lo:[0,0,1] neg_hi:[0,0,1]
	v_pk_fma_f32 v[68:69], v[70:71], v[58:59], v[68:69] op_sel:[0,0,1] op_sel_hi:[1,0,0]
	v_mov_b32_e32 v73, v69
	ds_load_2addr_b64 v[68:71], v62 offset0:8 offset1:9
	v_pk_add_f32 v[22:23], v[22:23], v[74:75] neg_lo:[0,1] neg_hi:[0,1]
	v_pk_add_f32 v[16:17], v[16:17], v[72:73] neg_lo:[0,1] neg_hi:[0,1]
	s_wait_dscnt 0x0
	v_pk_mul_f32 v[72:73], v[68:69], v[60:61] op_sel:[0,1]
	s_delay_alu instid0(VALU_DEP_1) | instskip(SKIP_1) | instid1(VALU_DEP_1)
	v_pk_fma_f32 v[74:75], v[68:69], v[58:59], v[72:73] op_sel:[0,0,1] op_sel_hi:[1,1,0] neg_lo:[0,0,1] neg_hi:[0,0,1]
	v_pk_fma_f32 v[68:69], v[68:69], v[58:59], v[72:73] op_sel:[0,0,1] op_sel_hi:[1,0,0]
	v_mov_b32_e32 v75, v69
	v_pk_mul_f32 v[68:69], v[70:71], v[60:61] op_sel:[0,1]
	s_delay_alu instid0(VALU_DEP_1) | instskip(SKIP_1) | instid1(VALU_DEP_1)
	v_pk_fma_f32 v[72:73], v[70:71], v[58:59], v[68:69] op_sel:[0,0,1] op_sel_hi:[1,1,0] neg_lo:[0,0,1] neg_hi:[0,0,1]
	v_pk_fma_f32 v[68:69], v[70:71], v[58:59], v[68:69] op_sel:[0,0,1] op_sel_hi:[1,0,0]
	v_mov_b32_e32 v73, v69
	ds_load_2addr_b64 v[68:71], v62 offset0:10 offset1:11
	v_pk_add_f32 v[40:41], v[40:41], v[74:75] neg_lo:[0,1] neg_hi:[0,1]
	v_pk_add_f32 v[8:9], v[8:9], v[72:73] neg_lo:[0,1] neg_hi:[0,1]
	s_wait_dscnt 0x0
	v_dual_mul_f32 v72, v69, v61 :: v_dual_mul_f32 v74, v69, v58
	s_delay_alu instid0(VALU_DEP_1) | instskip(NEXT) | instid1(VALU_DEP_2)
	v_pk_fma_f32 v[72:73], v[68:69], v[52:53], v[72:73] op_sel_hi:[1,1,0] neg_lo:[0,0,1] neg_hi:[0,0,1]
	v_pk_fma_f32 v[68:69], v[68:69], v[52:53], v[74:75] op_sel:[1,0,0] op_sel_hi:[0,1,0]
	s_delay_alu instid0(VALU_DEP_1) | instskip(SKIP_1) | instid1(VALU_DEP_2)
	v_mov_b32_e32 v73, v69
	v_pk_mul_f32 v[68:69], v[70:71], v[60:61] op_sel:[0,1]
	v_pk_add_f32 v[10:11], v[10:11], v[72:73] neg_lo:[0,1] neg_hi:[0,1]
	s_delay_alu instid0(VALU_DEP_2) | instskip(SKIP_1) | instid1(VALU_DEP_1)
	v_pk_fma_f32 v[72:73], v[70:71], v[58:59], v[68:69] op_sel:[0,0,1] op_sel_hi:[1,1,0] neg_lo:[0,0,1] neg_hi:[0,0,1]
	v_pk_fma_f32 v[68:69], v[70:71], v[58:59], v[68:69] op_sel:[0,0,1] op_sel_hi:[1,0,0]
	v_mov_b32_e32 v73, v69
	ds_load_2addr_b64 v[68:71], v62 offset0:12 offset1:13
	v_pk_add_f32 v[6:7], v[6:7], v[72:73] neg_lo:[0,1] neg_hi:[0,1]
	s_wait_dscnt 0x0
	v_pk_mul_f32 v[72:73], v[68:69], v[60:61] op_sel:[0,1]
	s_delay_alu instid0(VALU_DEP_1) | instskip(SKIP_1) | instid1(VALU_DEP_1)
	v_pk_fma_f32 v[74:75], v[68:69], v[58:59], v[72:73] op_sel:[0,0,1] op_sel_hi:[1,1,0] neg_lo:[0,0,1] neg_hi:[0,0,1]
	v_pk_fma_f32 v[68:69], v[68:69], v[58:59], v[72:73] op_sel:[0,0,1] op_sel_hi:[1,0,0]
	v_mov_b32_e32 v75, v69
	v_pk_mul_f32 v[68:69], v[70:71], v[60:61] op_sel:[0,1]
	s_delay_alu instid0(VALU_DEP_2) | instskip(NEXT) | instid1(VALU_DEP_2)
	v_pk_add_f32 v[42:43], v[42:43], v[74:75] neg_lo:[0,1] neg_hi:[0,1]
	v_pk_fma_f32 v[72:73], v[70:71], v[58:59], v[68:69] op_sel:[0,0,1] op_sel_hi:[1,1,0] neg_lo:[0,0,1] neg_hi:[0,0,1]
	v_pk_fma_f32 v[68:69], v[70:71], v[58:59], v[68:69] op_sel:[0,0,1] op_sel_hi:[1,0,0]
	s_delay_alu instid0(VALU_DEP_1) | instskip(SKIP_4) | instid1(VALU_DEP_1)
	v_mov_b32_e32 v73, v69
	ds_load_2addr_b64 v[68:71], v62 offset0:14 offset1:15
	v_pk_add_f32 v[14:15], v[14:15], v[72:73] neg_lo:[0,1] neg_hi:[0,1]
	s_wait_dscnt 0x0
	v_pk_mul_f32 v[72:73], v[68:69], v[60:61] op_sel:[0,1]
	v_pk_fma_f32 v[74:75], v[68:69], v[58:59], v[72:73] op_sel:[0,0,1] op_sel_hi:[1,1,0] neg_lo:[0,0,1] neg_hi:[0,0,1]
	v_pk_fma_f32 v[68:69], v[68:69], v[58:59], v[72:73] op_sel:[0,0,1] op_sel_hi:[1,0,0]
	v_dual_mul_f32 v72, v71, v61 :: v_dual_mov_b32 v68, v71
	s_delay_alu instid0(VALU_DEP_2) | instskip(NEXT) | instid1(VALU_DEP_2)
	v_dual_mov_b32 v75, v69 :: v_dual_mov_b32 v69, v70
	v_pk_fma_f32 v[72:73], v[70:71], v[52:53], v[72:73] op_sel_hi:[1,1,0] neg_lo:[0,0,1] neg_hi:[0,0,1]
	v_mul_f32_e32 v70, v71, v58
	s_delay_alu instid0(VALU_DEP_3) | instskip(NEXT) | instid1(VALU_DEP_2)
	v_pk_add_f32 v[20:21], v[20:21], v[74:75] neg_lo:[0,1] neg_hi:[0,1]
	v_pk_fma_f32 v[68:69], v[68:69], v[52:53], v[70:71] op_sel_hi:[1,1,0]
	s_delay_alu instid0(VALU_DEP_1) | instskip(SKIP_4) | instid1(VALU_DEP_1)
	v_mov_b32_e32 v73, v69
	ds_load_2addr_b64 v[68:71], v62 offset0:16 offset1:17
	v_pk_add_f32 v[12:13], v[12:13], v[72:73] neg_lo:[0,1] neg_hi:[0,1]
	s_wait_dscnt 0x0
	v_pk_mul_f32 v[72:73], v[68:69], v[60:61] op_sel:[0,1]
	v_pk_fma_f32 v[74:75], v[68:69], v[58:59], v[72:73] op_sel:[0,0,1] op_sel_hi:[1,1,0] neg_lo:[0,0,1] neg_hi:[0,0,1]
	v_pk_fma_f32 v[68:69], v[68:69], v[58:59], v[72:73] op_sel:[0,0,1] op_sel_hi:[1,0,0]
	s_delay_alu instid0(VALU_DEP_1) | instskip(SKIP_1) | instid1(VALU_DEP_1)
	v_mov_b32_e32 v75, v69
	v_pk_mul_f32 v[68:69], v[70:71], v[60:61] op_sel:[0,1]
	v_pk_fma_f32 v[72:73], v[70:71], v[58:59], v[68:69] op_sel:[0,0,1] op_sel_hi:[1,1,0] neg_lo:[0,0,1] neg_hi:[0,0,1]
	v_pk_fma_f32 v[68:69], v[70:71], v[58:59], v[68:69] op_sel:[0,0,1] op_sel_hi:[1,0,0]
	s_delay_alu instid0(VALU_DEP_1)
	v_mov_b32_e32 v73, v69
	ds_load_2addr_b64 v[68:71], v62 offset0:18 offset1:19
	v_pk_add_f32 v[46:47], v[46:47], v[74:75] neg_lo:[0,1] neg_hi:[0,1]
	v_pk_add_f32 v[26:27], v[26:27], v[72:73] neg_lo:[0,1] neg_hi:[0,1]
	s_wait_dscnt 0x0
	v_pk_mul_f32 v[72:73], v[68:69], v[60:61] op_sel:[0,1]
	s_delay_alu instid0(VALU_DEP_1) | instskip(SKIP_1) | instid1(VALU_DEP_1)
	v_pk_fma_f32 v[74:75], v[68:69], v[58:59], v[72:73] op_sel:[0,0,1] op_sel_hi:[1,1,0] neg_lo:[0,0,1] neg_hi:[0,0,1]
	v_pk_fma_f32 v[68:69], v[68:69], v[58:59], v[72:73] op_sel:[0,0,1] op_sel_hi:[1,0,0]
	v_mov_b32_e32 v75, v69
	v_pk_mul_f32 v[68:69], v[70:71], v[60:61] op_sel:[0,1]
	s_delay_alu instid0(VALU_DEP_1) | instskip(SKIP_1) | instid1(VALU_DEP_1)
	v_pk_fma_f32 v[72:73], v[70:71], v[58:59], v[68:69] op_sel:[0,0,1] op_sel_hi:[1,1,0] neg_lo:[0,0,1] neg_hi:[0,0,1]
	v_pk_fma_f32 v[68:69], v[70:71], v[58:59], v[68:69] op_sel:[0,0,1] op_sel_hi:[1,0,0]
	v_mov_b32_e32 v73, v69
	ds_load_2addr_b64 v[68:71], v62 offset0:20 offset1:21
	v_pk_add_f32 v[28:29], v[28:29], v[74:75] neg_lo:[0,1] neg_hi:[0,1]
	v_pk_add_f32 v[24:25], v[24:25], v[72:73] neg_lo:[0,1] neg_hi:[0,1]
	s_wait_dscnt 0x0
	v_dual_mul_f32 v72, v69, v61 :: v_dual_mul_f32 v74, v69, v58
	s_delay_alu instid0(VALU_DEP_1) | instskip(NEXT) | instid1(VALU_DEP_2)
	v_pk_fma_f32 v[72:73], v[68:69], v[52:53], v[72:73] op_sel_hi:[1,1,0] neg_lo:[0,0,1] neg_hi:[0,0,1]
	v_pk_fma_f32 v[68:69], v[68:69], v[52:53], v[74:75] op_sel:[1,0,0] op_sel_hi:[0,1,0]
	s_delay_alu instid0(VALU_DEP_1) | instskip(SKIP_1) | instid1(VALU_DEP_2)
	v_mov_b32_e32 v73, v69
	v_pk_mul_f32 v[68:69], v[70:71], v[60:61] op_sel:[0,1]
	v_pk_add_f32 v[38:39], v[38:39], v[72:73] neg_lo:[0,1] neg_hi:[0,1]
	s_delay_alu instid0(VALU_DEP_2) | instskip(SKIP_1) | instid1(VALU_DEP_1)
	v_pk_fma_f32 v[72:73], v[70:71], v[58:59], v[68:69] op_sel:[0,0,1] op_sel_hi:[1,1,0] neg_lo:[0,0,1] neg_hi:[0,0,1]
	v_pk_fma_f32 v[68:69], v[70:71], v[58:59], v[68:69] op_sel:[0,0,1] op_sel_hi:[1,0,0]
	v_mov_b32_e32 v73, v69
	ds_load_2addr_b64 v[68:71], v62 offset0:22 offset1:23
	v_pk_add_f32 v[30:31], v[30:31], v[72:73] neg_lo:[0,1] neg_hi:[0,1]
	s_wait_dscnt 0x0
	v_pk_mul_f32 v[72:73], v[68:69], v[60:61] op_sel:[0,1]
	s_delay_alu instid0(VALU_DEP_1) | instskip(SKIP_1) | instid1(VALU_DEP_1)
	v_pk_fma_f32 v[74:75], v[68:69], v[58:59], v[72:73] op_sel:[0,0,1] op_sel_hi:[1,1,0] neg_lo:[0,0,1] neg_hi:[0,0,1]
	v_pk_fma_f32 v[68:69], v[68:69], v[58:59], v[72:73] op_sel:[0,0,1] op_sel_hi:[1,0,0]
	v_mov_b32_e32 v75, v69
	v_pk_mul_f32 v[68:69], v[70:71], v[60:61] op_sel:[0,1]
	s_delay_alu instid0(VALU_DEP_2) | instskip(NEXT) | instid1(VALU_DEP_2)
	v_pk_add_f32 v[36:37], v[36:37], v[74:75] neg_lo:[0,1] neg_hi:[0,1]
	v_pk_fma_f32 v[72:73], v[70:71], v[58:59], v[68:69] op_sel:[0,0,1] op_sel_hi:[1,1,0] neg_lo:[0,0,1] neg_hi:[0,0,1]
	v_pk_fma_f32 v[68:69], v[70:71], v[58:59], v[68:69] op_sel:[0,0,1] op_sel_hi:[1,0,0]
	s_delay_alu instid0(VALU_DEP_1)
	v_mov_b32_e32 v73, v69
	ds_load_2addr_b64 v[68:71], v62 offset0:24 offset1:25
	v_pk_add_f32 v[34:35], v[34:35], v[72:73] neg_lo:[0,1] neg_hi:[0,1]
	s_wait_dscnt 0x0
	v_pk_mul_f32 v[72:73], v[68:69], v[60:61] op_sel:[0,1]
	v_mul_f32_e32 v60, v71, v61
	s_delay_alu instid0(VALU_DEP_2) | instskip(SKIP_2) | instid1(VALU_DEP_4)
	v_pk_fma_f32 v[74:75], v[68:69], v[58:59], v[72:73] op_sel:[0,0,1] op_sel_hi:[1,1,0] neg_lo:[0,0,1] neg_hi:[0,0,1]
	v_pk_fma_f32 v[68:69], v[68:69], v[58:59], v[72:73] op_sel:[0,0,1] op_sel_hi:[1,0,0]
	v_dual_mov_b32 v68, v71 :: v_dual_mul_f32 v58, v71, v58
	v_pk_fma_f32 v[60:61], v[70:71], v[52:53], v[60:61] op_sel_hi:[1,1,0] neg_lo:[0,0,1] neg_hi:[0,0,1]
	s_delay_alu instid0(VALU_DEP_3) | instskip(NEXT) | instid1(VALU_DEP_1)
	v_dual_mov_b32 v75, v69 :: v_dual_mov_b32 v69, v70
	v_pk_add_f32 v[32:33], v[32:33], v[74:75] neg_lo:[0,1] neg_hi:[0,1]
	s_delay_alu instid0(VALU_DEP_2) | instskip(NEXT) | instid1(VALU_DEP_1)
	v_pk_fma_f32 v[58:59], v[68:69], v[52:53], v[58:59] op_sel_hi:[1,1,0]
	v_mov_b32_e32 v61, v59
	s_delay_alu instid0(VALU_DEP_1)
	v_pk_add_f32 v[56:57], v[56:57], v[60:61] neg_lo:[0,1] neg_hi:[0,1]
.LBB50_41:
	s_or_b32 exec_lo, exec_lo, s0
	v_lshl_add_u32 v58, v66, 3, v62
	s_barrier_signal -1
	s_barrier_wait -1
	ds_store_b64 v58, v[50:51]
	s_wait_dscnt 0x0
	s_barrier_signal -1
	s_barrier_wait -1
	ds_load_b64 v[60:61], v62 offset:16
	v_mov_b32_e32 v58, 2
	s_cmp_lt_i32 s18, 4
	s_mov_b32 s0, 3
	s_cbranch_scc1 .LBB50_44
; %bb.42:
	v_add3_u32 v59, v63, 0, 24
	v_mov_b32_e32 v58, 2
.LBB50_43:                              ; =>This Inner Loop Header: Depth=1
	ds_load_b64 v[68:69], v59
	s_wait_dscnt 0x1
	v_cmp_gt_f32_e32 vcc_lo, 0, v60
	v_cndmask_b32_e64 v70, v60, -v60, vcc_lo
	v_cmp_gt_f32_e32 vcc_lo, 0, v61
	v_cndmask_b32_e64 v72, v61, -v61, vcc_lo
	s_wait_dscnt 0x0
	v_cmp_gt_f32_e32 vcc_lo, 0, v68
	v_cndmask_b32_e64 v71, v68, -v68, vcc_lo
	v_cmp_gt_f32_e32 vcc_lo, 0, v69
	v_cndmask_b32_e64 v73, v69, -v69, vcc_lo
	s_delay_alu instid0(VALU_DEP_1) | instskip(NEXT) | instid1(VALU_DEP_1)
	v_pk_add_f32 v[70:71], v[70:71], v[72:73]
	v_cmp_lt_f32_e32 vcc_lo, v70, v71
	v_dual_add_nc_u32 v59, 8, v59 :: v_dual_cndmask_b32 v61, v61, v69, vcc_lo
	v_cndmask_b32_e32 v60, v60, v68, vcc_lo
	v_cndmask_b32_e64 v58, v58, s0, vcc_lo
	s_add_co_i32 s0, s0, 1
	s_delay_alu instid0(SALU_CYCLE_1)
	s_cmp_lg_u32 s18, s0
	s_cbranch_scc1 .LBB50_43
.LBB50_44:
	s_wait_dscnt 0x0
	v_cmp_eq_f32_e32 vcc_lo, 0, v60
	v_cmp_eq_f32_e64 s0, 0, v61
	s_and_b32 s0, vcc_lo, s0
	s_delay_alu instid0(SALU_CYCLE_1) | instskip(NEXT) | instid1(SALU_CYCLE_1)
	s_and_saveexec_b32 s1, s0
	s_xor_b32 s0, exec_lo, s1
; %bb.45:
	v_cmp_ne_u32_e32 vcc_lo, 0, v65
	v_cndmask_b32_e32 v65, 3, v65, vcc_lo
; %bb.46:
	s_and_not1_saveexec_b32 s0, s0
	s_cbranch_execz .LBB50_52
; %bb.47:
	v_cmp_ngt_f32_e64 s1, |v60|, |v61|
	s_and_saveexec_b32 s12, s1
	s_delay_alu instid0(SALU_CYCLE_1)
	s_xor_b32 s1, exec_lo, s12
	s_cbranch_execz .LBB50_49
; %bb.48:
	v_div_scale_f32 v59, null, v61, v61, v60
	v_div_scale_f32 v69, vcc_lo, v60, v61, v60
	s_delay_alu instid0(VALU_DEP_2) | instskip(SKIP_1) | instid1(TRANS32_DEP_1)
	v_rcp_f32_e32 v67, v59
	v_nop
	v_fma_f32 v68, -v59, v67, 1.0
	s_delay_alu instid0(VALU_DEP_1) | instskip(NEXT) | instid1(VALU_DEP_1)
	v_fmac_f32_e32 v67, v68, v67
	v_mul_f32_e32 v68, v69, v67
	s_delay_alu instid0(VALU_DEP_1) | instskip(NEXT) | instid1(VALU_DEP_1)
	v_fma_f32 v70, -v59, v68, v69
	v_fmac_f32_e32 v68, v70, v67
	s_delay_alu instid0(VALU_DEP_1) | instskip(NEXT) | instid1(VALU_DEP_1)
	v_fma_f32 v59, -v59, v68, v69
	v_div_fmas_f32 v59, v59, v67, v68
	s_delay_alu instid0(VALU_DEP_1) | instskip(NEXT) | instid1(VALU_DEP_1)
	v_div_fixup_f32 v59, v59, v61, v60
	v_fmac_f32_e32 v61, v60, v59
	s_delay_alu instid0(VALU_DEP_1) | instskip(SKIP_1) | instid1(VALU_DEP_2)
	v_div_scale_f32 v60, null, v61, v61, 1.0
	v_div_scale_f32 v69, vcc_lo, 1.0, v61, 1.0
	v_rcp_f32_e32 v67, v60
	v_nop
	s_delay_alu instid0(TRANS32_DEP_1) | instskip(NEXT) | instid1(VALU_DEP_1)
	v_fma_f32 v68, -v60, v67, 1.0
	v_fmac_f32_e32 v67, v68, v67
	s_delay_alu instid0(VALU_DEP_1) | instskip(NEXT) | instid1(VALU_DEP_1)
	v_mul_f32_e32 v68, v69, v67
	v_fma_f32 v70, -v60, v68, v69
	s_delay_alu instid0(VALU_DEP_1) | instskip(NEXT) | instid1(VALU_DEP_1)
	v_fmac_f32_e32 v68, v70, v67
	v_fma_f32 v60, -v60, v68, v69
	s_delay_alu instid0(VALU_DEP_1) | instskip(NEXT) | instid1(VALU_DEP_1)
	v_div_fmas_f32 v60, v60, v67, v68
	v_div_fixup_f32 v61, v60, v61, 1.0
	s_delay_alu instid0(VALU_DEP_1)
	v_mul_f32_e32 v60, v59, v61
	v_xor_b32_e32 v61, 0x80000000, v61
.LBB50_49:
	s_and_not1_saveexec_b32 s1, s1
	s_cbranch_execz .LBB50_51
; %bb.50:
	s_delay_alu instid0(VALU_DEP_1) | instskip(SKIP_1) | instid1(VALU_DEP_2)
	v_div_scale_f32 v59, null, v60, v60, v61
	v_div_scale_f32 v69, vcc_lo, v61, v60, v61
	v_rcp_f32_e32 v67, v59
	v_nop
	s_delay_alu instid0(TRANS32_DEP_1) | instskip(NEXT) | instid1(VALU_DEP_1)
	v_fma_f32 v68, -v59, v67, 1.0
	v_fmac_f32_e32 v67, v68, v67
	s_delay_alu instid0(VALU_DEP_1) | instskip(NEXT) | instid1(VALU_DEP_1)
	v_mul_f32_e32 v68, v69, v67
	v_fma_f32 v70, -v59, v68, v69
	s_delay_alu instid0(VALU_DEP_1) | instskip(NEXT) | instid1(VALU_DEP_1)
	v_fmac_f32_e32 v68, v70, v67
	v_fma_f32 v59, -v59, v68, v69
	s_delay_alu instid0(VALU_DEP_1) | instskip(NEXT) | instid1(VALU_DEP_1)
	v_div_fmas_f32 v59, v59, v67, v68
	v_div_fixup_f32 v59, v59, v60, v61
	s_delay_alu instid0(VALU_DEP_1) | instskip(NEXT) | instid1(VALU_DEP_1)
	v_fmac_f32_e32 v60, v61, v59
	v_div_scale_f32 v61, null, v60, v60, 1.0
	s_delay_alu instid0(VALU_DEP_1) | instskip(SKIP_1) | instid1(TRANS32_DEP_1)
	v_rcp_f32_e32 v67, v61
	v_nop
	v_fma_f32 v68, -v61, v67, 1.0
	s_delay_alu instid0(VALU_DEP_1) | instskip(SKIP_1) | instid1(VALU_DEP_1)
	v_fmac_f32_e32 v67, v68, v67
	v_div_scale_f32 v68, vcc_lo, 1.0, v60, 1.0
	v_mul_f32_e32 v69, v68, v67
	s_delay_alu instid0(VALU_DEP_1) | instskip(NEXT) | instid1(VALU_DEP_1)
	v_fma_f32 v70, -v61, v69, v68
	v_fmac_f32_e32 v69, v70, v67
	s_delay_alu instid0(VALU_DEP_1) | instskip(NEXT) | instid1(VALU_DEP_1)
	v_fma_f32 v61, -v61, v69, v68
	v_div_fmas_f32 v61, v61, v67, v69
	s_delay_alu instid0(VALU_DEP_1) | instskip(NEXT) | instid1(VALU_DEP_1)
	v_div_fixup_f32 v60, v61, v60, 1.0
	v_mul_f32_e64 v61, v59, -v60
.LBB50_51:
	s_or_b32 exec_lo, exec_lo, s1
.LBB50_52:
	s_delay_alu instid0(SALU_CYCLE_1) | instskip(NEXT) | instid1(SALU_CYCLE_1)
	s_or_b32 exec_lo, exec_lo, s0
	s_mov_b32 s0, exec_lo
	v_cmpx_ne_u32_e64 v66, v58
	s_xor_b32 s0, exec_lo, s0
	s_cbranch_execz .LBB50_58
; %bb.53:
	s_mov_b32 s1, exec_lo
	v_cmpx_eq_u32_e32 2, v66
	s_cbranch_execz .LBB50_57
; %bb.54:
	v_cmp_ne_u32_e32 vcc_lo, 2, v58
	s_xor_b32 s12, s16, -1
	s_delay_alu instid0(SALU_CYCLE_1) | instskip(NEXT) | instid1(SALU_CYCLE_1)
	s_and_b32 s13, s12, vcc_lo
	s_and_saveexec_b32 s12, s13
	s_cbranch_execz .LBB50_56
; %bb.55:
	v_ashrrev_i32_e32 v59, 31, v58
	s_delay_alu instid0(VALU_DEP_1)
	v_lshl_add_u64 v[66:67], v[58:59], 2, v[4:5]
	s_clause 0x1
	global_load_b32 v59, v[66:67], off
	global_load_b32 v64, v[4:5], off offset:8
	s_wait_loadcnt 0x1
	global_store_b32 v[4:5], v59, off offset:8
	s_wait_loadcnt 0x0
	global_store_b32 v[66:67], v64, off
.LBB50_56:
	s_wait_xcnt 0x0
	s_or_b32 exec_lo, exec_lo, s12
	v_dual_mov_b32 v66, v58 :: v_dual_mov_b32 v64, v58
.LBB50_57:
	s_or_b32 exec_lo, exec_lo, s1
.LBB50_58:
	s_and_not1_saveexec_b32 s0, s0
	s_cbranch_execz .LBB50_60
; %bb.59:
	v_mov_b32_e32 v66, 2
	ds_store_2addr_b64 v62, v[48:49], v[44:45] offset0:3 offset1:4
	ds_store_2addr_b64 v62, v[18:19], v[22:23] offset0:5 offset1:6
	;; [unrolled: 1-line block ×11, first 2 shown]
	ds_store_b64 v62, v[56:57] offset:200
.LBB50_60:
	s_or_b32 exec_lo, exec_lo, s0
	s_delay_alu instid0(SALU_CYCLE_1)
	s_mov_b32 s0, exec_lo
	s_wait_storecnt_dscnt 0x0
	s_barrier_signal -1
	s_barrier_wait -1
	v_cmpx_lt_i32_e32 2, v66
	s_cbranch_execz .LBB50_62
; %bb.61:
	v_pk_mul_f32 v[68:69], v[60:61], v[50:51] op_sel:[1,1] op_sel_hi:[0,1]
	s_delay_alu instid0(VALU_DEP_1)
	v_pk_fma_f32 v[58:59], v[60:61], v[50:51], v[68:69] op_sel_hi:[1,0,1] neg_lo:[0,0,1] neg_hi:[0,0,1]
	v_pk_fma_f32 v[60:61], v[60:61], v[50:51], v[68:69] op_sel_hi:[1,0,1]
	ds_load_2addr_b64 v[68:71], v62 offset0:3 offset1:4
	v_dual_mov_b32 v50, v58 :: v_dual_mov_b32 v51, v61
	s_wait_dscnt 0x0
	v_pk_mul_f32 v[72:73], v[68:69], v[60:61] op_sel:[0,1]
	s_delay_alu instid0(VALU_DEP_1) | instskip(SKIP_1) | instid1(VALU_DEP_1)
	v_pk_fma_f32 v[74:75], v[68:69], v[58:59], v[72:73] op_sel:[0,0,1] op_sel_hi:[1,1,0] neg_lo:[0,0,1] neg_hi:[0,0,1]
	v_pk_fma_f32 v[68:69], v[68:69], v[58:59], v[72:73] op_sel:[0,0,1] op_sel_hi:[1,0,0]
	v_mov_b32_e32 v75, v69
	v_pk_mul_f32 v[68:69], v[70:71], v[60:61] op_sel:[0,1]
	s_delay_alu instid0(VALU_DEP_1) | instskip(SKIP_1) | instid1(VALU_DEP_1)
	v_pk_fma_f32 v[72:73], v[70:71], v[58:59], v[68:69] op_sel:[0,0,1] op_sel_hi:[1,1,0] neg_lo:[0,0,1] neg_hi:[0,0,1]
	v_pk_fma_f32 v[68:69], v[70:71], v[58:59], v[68:69] op_sel:[0,0,1] op_sel_hi:[1,0,0]
	v_mov_b32_e32 v73, v69
	ds_load_2addr_b64 v[68:71], v62 offset0:5 offset1:6
	v_pk_add_f32 v[48:49], v[48:49], v[74:75] neg_lo:[0,1] neg_hi:[0,1]
	v_pk_add_f32 v[44:45], v[44:45], v[72:73] neg_lo:[0,1] neg_hi:[0,1]
	s_wait_dscnt 0x0
	v_pk_mul_f32 v[72:73], v[68:69], v[60:61] op_sel:[0,1]
	s_delay_alu instid0(VALU_DEP_1) | instskip(SKIP_2) | instid1(VALU_DEP_2)
	v_pk_fma_f32 v[74:75], v[68:69], v[58:59], v[72:73] op_sel:[0,0,1] op_sel_hi:[1,1,0] neg_lo:[0,0,1] neg_hi:[0,0,1]
	v_pk_fma_f32 v[68:69], v[68:69], v[58:59], v[72:73] op_sel:[0,0,1] op_sel_hi:[1,0,0]
	v_dual_mul_f32 v72, v71, v61 :: v_dual_mov_b32 v68, v71
	v_dual_mov_b32 v75, v69 :: v_dual_mov_b32 v69, v70
	s_delay_alu instid0(VALU_DEP_2) | instskip(SKIP_1) | instid1(VALU_DEP_3)
	v_pk_fma_f32 v[72:73], v[70:71], v[50:51], v[72:73] op_sel_hi:[1,1,0] neg_lo:[0,0,1] neg_hi:[0,0,1]
	v_mul_f32_e32 v70, v71, v58
	v_pk_add_f32 v[18:19], v[18:19], v[74:75] neg_lo:[0,1] neg_hi:[0,1]
	s_delay_alu instid0(VALU_DEP_2) | instskip(NEXT) | instid1(VALU_DEP_1)
	v_pk_fma_f32 v[68:69], v[68:69], v[50:51], v[70:71] op_sel_hi:[1,1,0]
	v_mov_b32_e32 v73, v69
	ds_load_2addr_b64 v[68:71], v62 offset0:7 offset1:8
	v_pk_add_f32 v[22:23], v[22:23], v[72:73] neg_lo:[0,1] neg_hi:[0,1]
	s_wait_dscnt 0x0
	v_pk_mul_f32 v[72:73], v[68:69], v[60:61] op_sel:[0,1]
	s_delay_alu instid0(VALU_DEP_1) | instskip(SKIP_1) | instid1(VALU_DEP_1)
	v_pk_fma_f32 v[74:75], v[68:69], v[58:59], v[72:73] op_sel:[0,0,1] op_sel_hi:[1,1,0] neg_lo:[0,0,1] neg_hi:[0,0,1]
	v_pk_fma_f32 v[68:69], v[68:69], v[58:59], v[72:73] op_sel:[0,0,1] op_sel_hi:[1,0,0]
	v_mov_b32_e32 v75, v69
	v_pk_mul_f32 v[68:69], v[70:71], v[60:61] op_sel:[0,1]
	s_delay_alu instid0(VALU_DEP_1) | instskip(SKIP_1) | instid1(VALU_DEP_1)
	v_pk_fma_f32 v[72:73], v[70:71], v[58:59], v[68:69] op_sel:[0,0,1] op_sel_hi:[1,1,0] neg_lo:[0,0,1] neg_hi:[0,0,1]
	v_pk_fma_f32 v[68:69], v[70:71], v[58:59], v[68:69] op_sel:[0,0,1] op_sel_hi:[1,0,0]
	v_mov_b32_e32 v73, v69
	ds_load_2addr_b64 v[68:71], v62 offset0:9 offset1:10
	v_pk_add_f32 v[16:17], v[16:17], v[74:75] neg_lo:[0,1] neg_hi:[0,1]
	v_pk_add_f32 v[40:41], v[40:41], v[72:73] neg_lo:[0,1] neg_hi:[0,1]
	s_wait_dscnt 0x0
	v_pk_mul_f32 v[72:73], v[68:69], v[60:61] op_sel:[0,1]
	s_delay_alu instid0(VALU_DEP_1) | instskip(SKIP_1) | instid1(VALU_DEP_1)
	v_pk_fma_f32 v[74:75], v[68:69], v[58:59], v[72:73] op_sel:[0,0,1] op_sel_hi:[1,1,0] neg_lo:[0,0,1] neg_hi:[0,0,1]
	v_pk_fma_f32 v[68:69], v[68:69], v[58:59], v[72:73] op_sel:[0,0,1] op_sel_hi:[1,0,0]
	v_mov_b32_e32 v75, v69
	v_pk_mul_f32 v[68:69], v[70:71], v[60:61] op_sel:[0,1]
	s_delay_alu instid0(VALU_DEP_1) | instskip(SKIP_1) | instid1(VALU_DEP_1)
	v_pk_fma_f32 v[72:73], v[70:71], v[58:59], v[68:69] op_sel:[0,0,1] op_sel_hi:[1,1,0] neg_lo:[0,0,1] neg_hi:[0,0,1]
	v_pk_fma_f32 v[68:69], v[70:71], v[58:59], v[68:69] op_sel:[0,0,1] op_sel_hi:[1,0,0]
	v_mov_b32_e32 v73, v69
	ds_load_2addr_b64 v[68:71], v62 offset0:11 offset1:12
	v_pk_add_f32 v[8:9], v[8:9], v[74:75] neg_lo:[0,1] neg_hi:[0,1]
	v_pk_add_f32 v[10:11], v[10:11], v[72:73] neg_lo:[0,1] neg_hi:[0,1]
	s_wait_dscnt 0x0
	v_dual_mul_f32 v72, v69, v61 :: v_dual_mul_f32 v74, v69, v58
	s_delay_alu instid0(VALU_DEP_1) | instskip(NEXT) | instid1(VALU_DEP_2)
	v_pk_fma_f32 v[72:73], v[68:69], v[50:51], v[72:73] op_sel_hi:[1,1,0] neg_lo:[0,0,1] neg_hi:[0,0,1]
	v_pk_fma_f32 v[68:69], v[68:69], v[50:51], v[74:75] op_sel:[1,0,0] op_sel_hi:[0,1,0]
	s_delay_alu instid0(VALU_DEP_1) | instskip(SKIP_1) | instid1(VALU_DEP_2)
	v_mov_b32_e32 v73, v69
	v_pk_mul_f32 v[68:69], v[70:71], v[60:61] op_sel:[0,1]
	v_pk_add_f32 v[6:7], v[6:7], v[72:73] neg_lo:[0,1] neg_hi:[0,1]
	s_delay_alu instid0(VALU_DEP_2) | instskip(SKIP_1) | instid1(VALU_DEP_1)
	v_pk_fma_f32 v[72:73], v[70:71], v[58:59], v[68:69] op_sel:[0,0,1] op_sel_hi:[1,1,0] neg_lo:[0,0,1] neg_hi:[0,0,1]
	v_pk_fma_f32 v[68:69], v[70:71], v[58:59], v[68:69] op_sel:[0,0,1] op_sel_hi:[1,0,0]
	v_mov_b32_e32 v73, v69
	ds_load_2addr_b64 v[68:71], v62 offset0:13 offset1:14
	v_pk_add_f32 v[42:43], v[42:43], v[72:73] neg_lo:[0,1] neg_hi:[0,1]
	s_wait_dscnt 0x0
	v_pk_mul_f32 v[72:73], v[68:69], v[60:61] op_sel:[0,1]
	s_delay_alu instid0(VALU_DEP_1) | instskip(SKIP_1) | instid1(VALU_DEP_1)
	v_pk_fma_f32 v[74:75], v[68:69], v[58:59], v[72:73] op_sel:[0,0,1] op_sel_hi:[1,1,0] neg_lo:[0,0,1] neg_hi:[0,0,1]
	v_pk_fma_f32 v[68:69], v[68:69], v[58:59], v[72:73] op_sel:[0,0,1] op_sel_hi:[1,0,0]
	v_mov_b32_e32 v75, v69
	v_pk_mul_f32 v[68:69], v[70:71], v[60:61] op_sel:[0,1]
	s_delay_alu instid0(VALU_DEP_2) | instskip(NEXT) | instid1(VALU_DEP_2)
	v_pk_add_f32 v[14:15], v[14:15], v[74:75] neg_lo:[0,1] neg_hi:[0,1]
	v_pk_fma_f32 v[72:73], v[70:71], v[58:59], v[68:69] op_sel:[0,0,1] op_sel_hi:[1,1,0] neg_lo:[0,0,1] neg_hi:[0,0,1]
	v_pk_fma_f32 v[68:69], v[70:71], v[58:59], v[68:69] op_sel:[0,0,1] op_sel_hi:[1,0,0]
	s_delay_alu instid0(VALU_DEP_1) | instskip(SKIP_4) | instid1(VALU_DEP_1)
	v_mov_b32_e32 v73, v69
	ds_load_2addr_b64 v[68:71], v62 offset0:15 offset1:16
	v_pk_add_f32 v[20:21], v[20:21], v[72:73] neg_lo:[0,1] neg_hi:[0,1]
	s_wait_dscnt 0x0
	v_pk_mul_f32 v[72:73], v[68:69], v[60:61] op_sel:[0,1]
	v_pk_fma_f32 v[74:75], v[68:69], v[58:59], v[72:73] op_sel:[0,0,1] op_sel_hi:[1,1,0] neg_lo:[0,0,1] neg_hi:[0,0,1]
	v_pk_fma_f32 v[68:69], v[68:69], v[58:59], v[72:73] op_sel:[0,0,1] op_sel_hi:[1,0,0]
	v_dual_mul_f32 v72, v71, v61 :: v_dual_mov_b32 v68, v71
	s_delay_alu instid0(VALU_DEP_2) | instskip(NEXT) | instid1(VALU_DEP_2)
	v_dual_mov_b32 v75, v69 :: v_dual_mov_b32 v69, v70
	v_pk_fma_f32 v[72:73], v[70:71], v[50:51], v[72:73] op_sel_hi:[1,1,0] neg_lo:[0,0,1] neg_hi:[0,0,1]
	v_mul_f32_e32 v70, v71, v58
	s_delay_alu instid0(VALU_DEP_3) | instskip(NEXT) | instid1(VALU_DEP_2)
	v_pk_add_f32 v[12:13], v[12:13], v[74:75] neg_lo:[0,1] neg_hi:[0,1]
	v_pk_fma_f32 v[68:69], v[68:69], v[50:51], v[70:71] op_sel_hi:[1,1,0]
	s_delay_alu instid0(VALU_DEP_1) | instskip(SKIP_4) | instid1(VALU_DEP_1)
	v_mov_b32_e32 v73, v69
	ds_load_2addr_b64 v[68:71], v62 offset0:17 offset1:18
	v_pk_add_f32 v[46:47], v[46:47], v[72:73] neg_lo:[0,1] neg_hi:[0,1]
	s_wait_dscnt 0x0
	v_pk_mul_f32 v[72:73], v[68:69], v[60:61] op_sel:[0,1]
	v_pk_fma_f32 v[74:75], v[68:69], v[58:59], v[72:73] op_sel:[0,0,1] op_sel_hi:[1,1,0] neg_lo:[0,0,1] neg_hi:[0,0,1]
	v_pk_fma_f32 v[68:69], v[68:69], v[58:59], v[72:73] op_sel:[0,0,1] op_sel_hi:[1,0,0]
	s_delay_alu instid0(VALU_DEP_1) | instskip(SKIP_1) | instid1(VALU_DEP_1)
	v_mov_b32_e32 v75, v69
	v_pk_mul_f32 v[68:69], v[70:71], v[60:61] op_sel:[0,1]
	v_pk_fma_f32 v[72:73], v[70:71], v[58:59], v[68:69] op_sel:[0,0,1] op_sel_hi:[1,1,0] neg_lo:[0,0,1] neg_hi:[0,0,1]
	v_pk_fma_f32 v[68:69], v[70:71], v[58:59], v[68:69] op_sel:[0,0,1] op_sel_hi:[1,0,0]
	s_delay_alu instid0(VALU_DEP_1)
	v_mov_b32_e32 v73, v69
	ds_load_2addr_b64 v[68:71], v62 offset0:19 offset1:20
	v_pk_add_f32 v[26:27], v[26:27], v[74:75] neg_lo:[0,1] neg_hi:[0,1]
	v_pk_add_f32 v[28:29], v[28:29], v[72:73] neg_lo:[0,1] neg_hi:[0,1]
	s_wait_dscnt 0x0
	v_pk_mul_f32 v[72:73], v[68:69], v[60:61] op_sel:[0,1]
	s_delay_alu instid0(VALU_DEP_1) | instskip(SKIP_1) | instid1(VALU_DEP_1)
	v_pk_fma_f32 v[74:75], v[68:69], v[58:59], v[72:73] op_sel:[0,0,1] op_sel_hi:[1,1,0] neg_lo:[0,0,1] neg_hi:[0,0,1]
	v_pk_fma_f32 v[68:69], v[68:69], v[58:59], v[72:73] op_sel:[0,0,1] op_sel_hi:[1,0,0]
	v_mov_b32_e32 v75, v69
	v_pk_mul_f32 v[68:69], v[70:71], v[60:61] op_sel:[0,1]
	s_delay_alu instid0(VALU_DEP_1) | instskip(SKIP_1) | instid1(VALU_DEP_1)
	v_pk_fma_f32 v[72:73], v[70:71], v[58:59], v[68:69] op_sel:[0,0,1] op_sel_hi:[1,1,0] neg_lo:[0,0,1] neg_hi:[0,0,1]
	v_pk_fma_f32 v[68:69], v[70:71], v[58:59], v[68:69] op_sel:[0,0,1] op_sel_hi:[1,0,0]
	v_mov_b32_e32 v73, v69
	ds_load_2addr_b64 v[68:71], v62 offset0:21 offset1:22
	v_pk_add_f32 v[24:25], v[24:25], v[74:75] neg_lo:[0,1] neg_hi:[0,1]
	v_pk_add_f32 v[38:39], v[38:39], v[72:73] neg_lo:[0,1] neg_hi:[0,1]
	s_wait_dscnt 0x0
	v_dual_mul_f32 v72, v69, v61 :: v_dual_mul_f32 v74, v69, v58
	s_delay_alu instid0(VALU_DEP_1) | instskip(NEXT) | instid1(VALU_DEP_2)
	v_pk_fma_f32 v[72:73], v[68:69], v[50:51], v[72:73] op_sel_hi:[1,1,0] neg_lo:[0,0,1] neg_hi:[0,0,1]
	v_pk_fma_f32 v[68:69], v[68:69], v[50:51], v[74:75] op_sel:[1,0,0] op_sel_hi:[0,1,0]
	s_delay_alu instid0(VALU_DEP_1) | instskip(SKIP_1) | instid1(VALU_DEP_2)
	v_mov_b32_e32 v73, v69
	v_pk_mul_f32 v[68:69], v[70:71], v[60:61] op_sel:[0,1]
	v_pk_add_f32 v[30:31], v[30:31], v[72:73] neg_lo:[0,1] neg_hi:[0,1]
	s_delay_alu instid0(VALU_DEP_2) | instskip(SKIP_1) | instid1(VALU_DEP_1)
	v_pk_fma_f32 v[72:73], v[70:71], v[58:59], v[68:69] op_sel:[0,0,1] op_sel_hi:[1,1,0] neg_lo:[0,0,1] neg_hi:[0,0,1]
	v_pk_fma_f32 v[68:69], v[70:71], v[58:59], v[68:69] op_sel:[0,0,1] op_sel_hi:[1,0,0]
	v_mov_b32_e32 v73, v69
	ds_load_2addr_b64 v[68:71], v62 offset0:23 offset1:24
	v_pk_add_f32 v[36:37], v[36:37], v[72:73] neg_lo:[0,1] neg_hi:[0,1]
	s_wait_dscnt 0x0
	v_pk_mul_f32 v[72:73], v[68:69], v[60:61] op_sel:[0,1]
	s_delay_alu instid0(VALU_DEP_1) | instskip(SKIP_1) | instid1(VALU_DEP_1)
	v_pk_fma_f32 v[74:75], v[68:69], v[58:59], v[72:73] op_sel:[0,0,1] op_sel_hi:[1,1,0] neg_lo:[0,0,1] neg_hi:[0,0,1]
	v_pk_fma_f32 v[68:69], v[68:69], v[58:59], v[72:73] op_sel:[0,0,1] op_sel_hi:[1,0,0]
	v_mov_b32_e32 v75, v69
	v_pk_mul_f32 v[68:69], v[70:71], v[60:61] op_sel:[0,1]
	s_delay_alu instid0(VALU_DEP_2) | instskip(NEXT) | instid1(VALU_DEP_2)
	v_pk_add_f32 v[34:35], v[34:35], v[74:75] neg_lo:[0,1] neg_hi:[0,1]
	v_pk_fma_f32 v[72:73], v[70:71], v[58:59], v[68:69] op_sel:[0,0,1] op_sel_hi:[1,1,0] neg_lo:[0,0,1] neg_hi:[0,0,1]
	v_pk_fma_f32 v[68:69], v[70:71], v[58:59], v[68:69] op_sel:[0,0,1] op_sel_hi:[1,0,0]
	s_delay_alu instid0(VALU_DEP_1) | instskip(SKIP_4) | instid1(VALU_DEP_1)
	v_mov_b32_e32 v73, v69
	ds_load_b64 v[68:69], v62 offset:200
	v_pk_add_f32 v[32:33], v[32:33], v[72:73] neg_lo:[0,1] neg_hi:[0,1]
	s_wait_dscnt 0x0
	v_pk_mul_f32 v[60:61], v[68:69], v[60:61] op_sel:[0,1]
	v_pk_fma_f32 v[70:71], v[68:69], v[58:59], v[60:61] op_sel:[0,0,1] op_sel_hi:[1,1,0] neg_lo:[0,0,1] neg_hi:[0,0,1]
	v_pk_fma_f32 v[58:59], v[68:69], v[58:59], v[60:61] op_sel:[0,0,1] op_sel_hi:[1,0,0]
	s_delay_alu instid0(VALU_DEP_1) | instskip(NEXT) | instid1(VALU_DEP_1)
	v_mov_b32_e32 v71, v59
	v_pk_add_f32 v[56:57], v[56:57], v[70:71] neg_lo:[0,1] neg_hi:[0,1]
.LBB50_62:
	s_or_b32 exec_lo, exec_lo, s0
	v_lshl_add_u32 v58, v66, 3, v62
	s_barrier_signal -1
	s_barrier_wait -1
	ds_store_b64 v58, v[48:49]
	s_wait_dscnt 0x0
	s_barrier_signal -1
	s_barrier_wait -1
	ds_load_b64 v[60:61], v62 offset:24
	v_mov_b32_e32 v58, 3
	s_cmp_lt_i32 s18, 5
	s_cbranch_scc1 .LBB50_65
; %bb.63:
	v_mov_b32_e32 v58, 3
	v_add3_u32 v59, v63, 0, 32
	s_mov_b32 s0, 4
.LBB50_64:                              ; =>This Inner Loop Header: Depth=1
	ds_load_b64 v[68:69], v59
	s_wait_dscnt 0x1
	v_cmp_gt_f32_e32 vcc_lo, 0, v60
	v_cndmask_b32_e64 v70, v60, -v60, vcc_lo
	v_cmp_gt_f32_e32 vcc_lo, 0, v61
	v_cndmask_b32_e64 v72, v61, -v61, vcc_lo
	s_wait_dscnt 0x0
	v_cmp_gt_f32_e32 vcc_lo, 0, v68
	v_cndmask_b32_e64 v71, v68, -v68, vcc_lo
	v_cmp_gt_f32_e32 vcc_lo, 0, v69
	v_cndmask_b32_e64 v73, v69, -v69, vcc_lo
	s_delay_alu instid0(VALU_DEP_1) | instskip(NEXT) | instid1(VALU_DEP_1)
	v_pk_add_f32 v[70:71], v[70:71], v[72:73]
	v_cmp_lt_f32_e32 vcc_lo, v70, v71
	v_dual_add_nc_u32 v59, 8, v59 :: v_dual_cndmask_b32 v61, v61, v69, vcc_lo
	v_cndmask_b32_e32 v60, v60, v68, vcc_lo
	v_cndmask_b32_e64 v58, v58, s0, vcc_lo
	s_add_co_i32 s0, s0, 1
	s_delay_alu instid0(SALU_CYCLE_1)
	s_cmp_lg_u32 s18, s0
	s_cbranch_scc1 .LBB50_64
.LBB50_65:
	s_wait_dscnt 0x0
	v_cmp_eq_f32_e32 vcc_lo, 0, v60
	v_cmp_eq_f32_e64 s0, 0, v61
	s_and_b32 s0, vcc_lo, s0
	s_delay_alu instid0(SALU_CYCLE_1) | instskip(NEXT) | instid1(SALU_CYCLE_1)
	s_and_saveexec_b32 s1, s0
	s_xor_b32 s0, exec_lo, s1
; %bb.66:
	v_cmp_ne_u32_e32 vcc_lo, 0, v65
	v_cndmask_b32_e32 v65, 4, v65, vcc_lo
; %bb.67:
	s_and_not1_saveexec_b32 s0, s0
	s_cbranch_execz .LBB50_73
; %bb.68:
	v_cmp_ngt_f32_e64 s1, |v60|, |v61|
	s_and_saveexec_b32 s12, s1
	s_delay_alu instid0(SALU_CYCLE_1)
	s_xor_b32 s1, exec_lo, s12
	s_cbranch_execz .LBB50_70
; %bb.69:
	v_div_scale_f32 v59, null, v61, v61, v60
	v_div_scale_f32 v69, vcc_lo, v60, v61, v60
	s_delay_alu instid0(VALU_DEP_2) | instskip(SKIP_1) | instid1(TRANS32_DEP_1)
	v_rcp_f32_e32 v67, v59
	v_nop
	v_fma_f32 v68, -v59, v67, 1.0
	s_delay_alu instid0(VALU_DEP_1) | instskip(NEXT) | instid1(VALU_DEP_1)
	v_fmac_f32_e32 v67, v68, v67
	v_mul_f32_e32 v68, v69, v67
	s_delay_alu instid0(VALU_DEP_1) | instskip(NEXT) | instid1(VALU_DEP_1)
	v_fma_f32 v70, -v59, v68, v69
	v_fmac_f32_e32 v68, v70, v67
	s_delay_alu instid0(VALU_DEP_1) | instskip(NEXT) | instid1(VALU_DEP_1)
	v_fma_f32 v59, -v59, v68, v69
	v_div_fmas_f32 v59, v59, v67, v68
	s_delay_alu instid0(VALU_DEP_1) | instskip(NEXT) | instid1(VALU_DEP_1)
	v_div_fixup_f32 v59, v59, v61, v60
	v_fmac_f32_e32 v61, v60, v59
	s_delay_alu instid0(VALU_DEP_1) | instskip(SKIP_1) | instid1(VALU_DEP_2)
	v_div_scale_f32 v60, null, v61, v61, 1.0
	v_div_scale_f32 v69, vcc_lo, 1.0, v61, 1.0
	v_rcp_f32_e32 v67, v60
	v_nop
	s_delay_alu instid0(TRANS32_DEP_1) | instskip(NEXT) | instid1(VALU_DEP_1)
	v_fma_f32 v68, -v60, v67, 1.0
	v_fmac_f32_e32 v67, v68, v67
	s_delay_alu instid0(VALU_DEP_1) | instskip(NEXT) | instid1(VALU_DEP_1)
	v_mul_f32_e32 v68, v69, v67
	v_fma_f32 v70, -v60, v68, v69
	s_delay_alu instid0(VALU_DEP_1) | instskip(NEXT) | instid1(VALU_DEP_1)
	v_fmac_f32_e32 v68, v70, v67
	v_fma_f32 v60, -v60, v68, v69
	s_delay_alu instid0(VALU_DEP_1) | instskip(NEXT) | instid1(VALU_DEP_1)
	v_div_fmas_f32 v60, v60, v67, v68
	v_div_fixup_f32 v61, v60, v61, 1.0
	s_delay_alu instid0(VALU_DEP_1)
	v_mul_f32_e32 v60, v59, v61
	v_xor_b32_e32 v61, 0x80000000, v61
.LBB50_70:
	s_and_not1_saveexec_b32 s1, s1
	s_cbranch_execz .LBB50_72
; %bb.71:
	s_delay_alu instid0(VALU_DEP_1) | instskip(SKIP_1) | instid1(VALU_DEP_2)
	v_div_scale_f32 v59, null, v60, v60, v61
	v_div_scale_f32 v69, vcc_lo, v61, v60, v61
	v_rcp_f32_e32 v67, v59
	v_nop
	s_delay_alu instid0(TRANS32_DEP_1) | instskip(NEXT) | instid1(VALU_DEP_1)
	v_fma_f32 v68, -v59, v67, 1.0
	v_fmac_f32_e32 v67, v68, v67
	s_delay_alu instid0(VALU_DEP_1) | instskip(NEXT) | instid1(VALU_DEP_1)
	v_mul_f32_e32 v68, v69, v67
	v_fma_f32 v70, -v59, v68, v69
	s_delay_alu instid0(VALU_DEP_1) | instskip(NEXT) | instid1(VALU_DEP_1)
	v_fmac_f32_e32 v68, v70, v67
	v_fma_f32 v59, -v59, v68, v69
	s_delay_alu instid0(VALU_DEP_1) | instskip(NEXT) | instid1(VALU_DEP_1)
	v_div_fmas_f32 v59, v59, v67, v68
	v_div_fixup_f32 v59, v59, v60, v61
	s_delay_alu instid0(VALU_DEP_1) | instskip(NEXT) | instid1(VALU_DEP_1)
	v_fmac_f32_e32 v60, v61, v59
	v_div_scale_f32 v61, null, v60, v60, 1.0
	s_delay_alu instid0(VALU_DEP_1) | instskip(SKIP_1) | instid1(TRANS32_DEP_1)
	v_rcp_f32_e32 v67, v61
	v_nop
	v_fma_f32 v68, -v61, v67, 1.0
	s_delay_alu instid0(VALU_DEP_1) | instskip(SKIP_1) | instid1(VALU_DEP_1)
	v_fmac_f32_e32 v67, v68, v67
	v_div_scale_f32 v68, vcc_lo, 1.0, v60, 1.0
	v_mul_f32_e32 v69, v68, v67
	s_delay_alu instid0(VALU_DEP_1) | instskip(NEXT) | instid1(VALU_DEP_1)
	v_fma_f32 v70, -v61, v69, v68
	v_fmac_f32_e32 v69, v70, v67
	s_delay_alu instid0(VALU_DEP_1) | instskip(NEXT) | instid1(VALU_DEP_1)
	v_fma_f32 v61, -v61, v69, v68
	v_div_fmas_f32 v61, v61, v67, v69
	s_delay_alu instid0(VALU_DEP_1) | instskip(NEXT) | instid1(VALU_DEP_1)
	v_div_fixup_f32 v60, v61, v60, 1.0
	v_mul_f32_e64 v61, v59, -v60
.LBB50_72:
	s_or_b32 exec_lo, exec_lo, s1
.LBB50_73:
	s_delay_alu instid0(SALU_CYCLE_1) | instskip(NEXT) | instid1(SALU_CYCLE_1)
	s_or_b32 exec_lo, exec_lo, s0
	s_mov_b32 s0, exec_lo
	v_cmpx_ne_u32_e64 v66, v58
	s_xor_b32 s0, exec_lo, s0
	s_cbranch_execz .LBB50_79
; %bb.74:
	s_mov_b32 s1, exec_lo
	v_cmpx_eq_u32_e32 3, v66
	s_cbranch_execz .LBB50_78
; %bb.75:
	v_cmp_ne_u32_e32 vcc_lo, 3, v58
	s_xor_b32 s12, s16, -1
	s_delay_alu instid0(SALU_CYCLE_1) | instskip(NEXT) | instid1(SALU_CYCLE_1)
	s_and_b32 s13, s12, vcc_lo
	s_and_saveexec_b32 s12, s13
	s_cbranch_execz .LBB50_77
; %bb.76:
	v_ashrrev_i32_e32 v59, 31, v58
	s_delay_alu instid0(VALU_DEP_1)
	v_lshl_add_u64 v[66:67], v[58:59], 2, v[4:5]
	s_clause 0x1
	global_load_b32 v59, v[66:67], off
	global_load_b32 v64, v[4:5], off offset:12
	s_wait_loadcnt 0x1
	global_store_b32 v[4:5], v59, off offset:12
	s_wait_loadcnt 0x0
	global_store_b32 v[66:67], v64, off
.LBB50_77:
	s_wait_xcnt 0x0
	s_or_b32 exec_lo, exec_lo, s12
	v_dual_mov_b32 v66, v58 :: v_dual_mov_b32 v64, v58
.LBB50_78:
	s_or_b32 exec_lo, exec_lo, s1
.LBB50_79:
	s_and_not1_saveexec_b32 s0, s0
	s_cbranch_execz .LBB50_81
; %bb.80:
	v_dual_mov_b32 v58, v44 :: v_dual_mov_b32 v59, v45
	v_dual_mov_b32 v66, v18 :: v_dual_mov_b32 v67, v19
	ds_store_2addr_b64 v62, v[58:59], v[66:67] offset0:4 offset1:5
	v_dual_mov_b32 v58, v22 :: v_dual_mov_b32 v59, v23
	v_dual_mov_b32 v66, v16 :: v_dual_mov_b32 v67, v17
	ds_store_2addr_b64 v62, v[58:59], v[66:67] offset0:6 offset1:7
	;; [unrolled: 3-line block ×10, first 2 shown]
	v_dual_mov_b32 v58, v32 :: v_dual_mov_b32 v59, v33
	v_mov_b32_e32 v66, 3
	ds_store_2addr_b64 v62, v[58:59], v[56:57] offset0:24 offset1:25
.LBB50_81:
	s_or_b32 exec_lo, exec_lo, s0
	s_delay_alu instid0(SALU_CYCLE_1)
	s_mov_b32 s0, exec_lo
	s_wait_storecnt_dscnt 0x0
	s_barrier_signal -1
	s_barrier_wait -1
	v_cmpx_lt_i32_e32 3, v66
	s_cbranch_execz .LBB50_83
; %bb.82:
	v_pk_mul_f32 v[68:69], v[60:61], v[48:49] op_sel:[1,1] op_sel_hi:[0,1]
	s_delay_alu instid0(VALU_DEP_1)
	v_pk_fma_f32 v[58:59], v[60:61], v[48:49], v[68:69] op_sel_hi:[1,0,1] neg_lo:[0,0,1] neg_hi:[0,0,1]
	v_pk_fma_f32 v[60:61], v[60:61], v[48:49], v[68:69] op_sel_hi:[1,0,1]
	ds_load_2addr_b64 v[68:71], v62 offset0:4 offset1:5
	v_dual_mov_b32 v48, v58 :: v_dual_mov_b32 v49, v61
	s_wait_dscnt 0x0
	v_pk_mul_f32 v[72:73], v[68:69], v[60:61] op_sel:[0,1]
	s_delay_alu instid0(VALU_DEP_1) | instskip(SKIP_1) | instid1(VALU_DEP_1)
	v_pk_fma_f32 v[74:75], v[68:69], v[58:59], v[72:73] op_sel:[0,0,1] op_sel_hi:[1,1,0] neg_lo:[0,0,1] neg_hi:[0,0,1]
	v_pk_fma_f32 v[68:69], v[68:69], v[58:59], v[72:73] op_sel:[0,0,1] op_sel_hi:[1,0,0]
	v_mov_b32_e32 v75, v69
	v_pk_mul_f32 v[68:69], v[70:71], v[60:61] op_sel:[0,1]
	s_delay_alu instid0(VALU_DEP_1) | instskip(SKIP_1) | instid1(VALU_DEP_1)
	v_pk_fma_f32 v[72:73], v[70:71], v[58:59], v[68:69] op_sel:[0,0,1] op_sel_hi:[1,1,0] neg_lo:[0,0,1] neg_hi:[0,0,1]
	v_pk_fma_f32 v[68:69], v[70:71], v[58:59], v[68:69] op_sel:[0,0,1] op_sel_hi:[1,0,0]
	v_mov_b32_e32 v73, v69
	ds_load_2addr_b64 v[68:71], v62 offset0:6 offset1:7
	v_pk_add_f32 v[44:45], v[44:45], v[74:75] neg_lo:[0,1] neg_hi:[0,1]
	v_pk_add_f32 v[18:19], v[18:19], v[72:73] neg_lo:[0,1] neg_hi:[0,1]
	s_wait_dscnt 0x0
	v_pk_mul_f32 v[72:73], v[68:69], v[60:61] op_sel:[0,1]
	s_delay_alu instid0(VALU_DEP_1) | instskip(SKIP_2) | instid1(VALU_DEP_2)
	v_pk_fma_f32 v[74:75], v[68:69], v[58:59], v[72:73] op_sel:[0,0,1] op_sel_hi:[1,1,0] neg_lo:[0,0,1] neg_hi:[0,0,1]
	v_pk_fma_f32 v[68:69], v[68:69], v[58:59], v[72:73] op_sel:[0,0,1] op_sel_hi:[1,0,0]
	v_dual_mul_f32 v72, v71, v61 :: v_dual_mov_b32 v68, v71
	v_dual_mov_b32 v75, v69 :: v_dual_mov_b32 v69, v70
	s_delay_alu instid0(VALU_DEP_2) | instskip(SKIP_1) | instid1(VALU_DEP_3)
	v_pk_fma_f32 v[72:73], v[70:71], v[48:49], v[72:73] op_sel_hi:[1,1,0] neg_lo:[0,0,1] neg_hi:[0,0,1]
	v_mul_f32_e32 v70, v71, v58
	v_pk_add_f32 v[22:23], v[22:23], v[74:75] neg_lo:[0,1] neg_hi:[0,1]
	s_delay_alu instid0(VALU_DEP_2) | instskip(NEXT) | instid1(VALU_DEP_1)
	v_pk_fma_f32 v[68:69], v[68:69], v[48:49], v[70:71] op_sel_hi:[1,1,0]
	v_mov_b32_e32 v73, v69
	ds_load_2addr_b64 v[68:71], v62 offset0:8 offset1:9
	v_pk_add_f32 v[16:17], v[16:17], v[72:73] neg_lo:[0,1] neg_hi:[0,1]
	s_wait_dscnt 0x0
	v_pk_mul_f32 v[72:73], v[68:69], v[60:61] op_sel:[0,1]
	s_delay_alu instid0(VALU_DEP_1) | instskip(SKIP_1) | instid1(VALU_DEP_1)
	v_pk_fma_f32 v[74:75], v[68:69], v[58:59], v[72:73] op_sel:[0,0,1] op_sel_hi:[1,1,0] neg_lo:[0,0,1] neg_hi:[0,0,1]
	v_pk_fma_f32 v[68:69], v[68:69], v[58:59], v[72:73] op_sel:[0,0,1] op_sel_hi:[1,0,0]
	v_mov_b32_e32 v75, v69
	v_pk_mul_f32 v[68:69], v[70:71], v[60:61] op_sel:[0,1]
	s_delay_alu instid0(VALU_DEP_1) | instskip(SKIP_1) | instid1(VALU_DEP_1)
	v_pk_fma_f32 v[72:73], v[70:71], v[58:59], v[68:69] op_sel:[0,0,1] op_sel_hi:[1,1,0] neg_lo:[0,0,1] neg_hi:[0,0,1]
	v_pk_fma_f32 v[68:69], v[70:71], v[58:59], v[68:69] op_sel:[0,0,1] op_sel_hi:[1,0,0]
	v_mov_b32_e32 v73, v69
	ds_load_2addr_b64 v[68:71], v62 offset0:10 offset1:11
	v_pk_add_f32 v[40:41], v[40:41], v[74:75] neg_lo:[0,1] neg_hi:[0,1]
	v_pk_add_f32 v[8:9], v[8:9], v[72:73] neg_lo:[0,1] neg_hi:[0,1]
	s_wait_dscnt 0x0
	v_pk_mul_f32 v[72:73], v[68:69], v[60:61] op_sel:[0,1]
	s_delay_alu instid0(VALU_DEP_1) | instskip(SKIP_1) | instid1(VALU_DEP_1)
	v_pk_fma_f32 v[74:75], v[68:69], v[58:59], v[72:73] op_sel:[0,0,1] op_sel_hi:[1,1,0] neg_lo:[0,0,1] neg_hi:[0,0,1]
	v_pk_fma_f32 v[68:69], v[68:69], v[58:59], v[72:73] op_sel:[0,0,1] op_sel_hi:[1,0,0]
	v_mov_b32_e32 v75, v69
	v_pk_mul_f32 v[68:69], v[70:71], v[60:61] op_sel:[0,1]
	s_delay_alu instid0(VALU_DEP_1) | instskip(SKIP_1) | instid1(VALU_DEP_1)
	v_pk_fma_f32 v[72:73], v[70:71], v[58:59], v[68:69] op_sel:[0,0,1] op_sel_hi:[1,1,0] neg_lo:[0,0,1] neg_hi:[0,0,1]
	v_pk_fma_f32 v[68:69], v[70:71], v[58:59], v[68:69] op_sel:[0,0,1] op_sel_hi:[1,0,0]
	v_mov_b32_e32 v73, v69
	ds_load_2addr_b64 v[68:71], v62 offset0:12 offset1:13
	v_pk_add_f32 v[10:11], v[10:11], v[74:75] neg_lo:[0,1] neg_hi:[0,1]
	v_pk_add_f32 v[6:7], v[6:7], v[72:73] neg_lo:[0,1] neg_hi:[0,1]
	s_wait_dscnt 0x0
	v_dual_mul_f32 v72, v69, v61 :: v_dual_mul_f32 v74, v69, v58
	s_delay_alu instid0(VALU_DEP_1) | instskip(NEXT) | instid1(VALU_DEP_2)
	v_pk_fma_f32 v[72:73], v[68:69], v[48:49], v[72:73] op_sel_hi:[1,1,0] neg_lo:[0,0,1] neg_hi:[0,0,1]
	v_pk_fma_f32 v[68:69], v[68:69], v[48:49], v[74:75] op_sel:[1,0,0] op_sel_hi:[0,1,0]
	s_delay_alu instid0(VALU_DEP_1) | instskip(SKIP_1) | instid1(VALU_DEP_2)
	v_mov_b32_e32 v73, v69
	v_pk_mul_f32 v[68:69], v[70:71], v[60:61] op_sel:[0,1]
	v_pk_add_f32 v[42:43], v[42:43], v[72:73] neg_lo:[0,1] neg_hi:[0,1]
	s_delay_alu instid0(VALU_DEP_2) | instskip(SKIP_1) | instid1(VALU_DEP_1)
	v_pk_fma_f32 v[72:73], v[70:71], v[58:59], v[68:69] op_sel:[0,0,1] op_sel_hi:[1,1,0] neg_lo:[0,0,1] neg_hi:[0,0,1]
	v_pk_fma_f32 v[68:69], v[70:71], v[58:59], v[68:69] op_sel:[0,0,1] op_sel_hi:[1,0,0]
	v_mov_b32_e32 v73, v69
	ds_load_2addr_b64 v[68:71], v62 offset0:14 offset1:15
	v_pk_add_f32 v[14:15], v[14:15], v[72:73] neg_lo:[0,1] neg_hi:[0,1]
	s_wait_dscnt 0x0
	v_pk_mul_f32 v[72:73], v[68:69], v[60:61] op_sel:[0,1]
	s_delay_alu instid0(VALU_DEP_1) | instskip(SKIP_1) | instid1(VALU_DEP_1)
	v_pk_fma_f32 v[74:75], v[68:69], v[58:59], v[72:73] op_sel:[0,0,1] op_sel_hi:[1,1,0] neg_lo:[0,0,1] neg_hi:[0,0,1]
	v_pk_fma_f32 v[68:69], v[68:69], v[58:59], v[72:73] op_sel:[0,0,1] op_sel_hi:[1,0,0]
	v_mov_b32_e32 v75, v69
	v_pk_mul_f32 v[68:69], v[70:71], v[60:61] op_sel:[0,1]
	s_delay_alu instid0(VALU_DEP_2) | instskip(NEXT) | instid1(VALU_DEP_2)
	v_pk_add_f32 v[20:21], v[20:21], v[74:75] neg_lo:[0,1] neg_hi:[0,1]
	v_pk_fma_f32 v[72:73], v[70:71], v[58:59], v[68:69] op_sel:[0,0,1] op_sel_hi:[1,1,0] neg_lo:[0,0,1] neg_hi:[0,0,1]
	v_pk_fma_f32 v[68:69], v[70:71], v[58:59], v[68:69] op_sel:[0,0,1] op_sel_hi:[1,0,0]
	s_delay_alu instid0(VALU_DEP_1) | instskip(SKIP_4) | instid1(VALU_DEP_1)
	v_mov_b32_e32 v73, v69
	ds_load_2addr_b64 v[68:71], v62 offset0:16 offset1:17
	v_pk_add_f32 v[12:13], v[12:13], v[72:73] neg_lo:[0,1] neg_hi:[0,1]
	s_wait_dscnt 0x0
	v_pk_mul_f32 v[72:73], v[68:69], v[60:61] op_sel:[0,1]
	v_pk_fma_f32 v[74:75], v[68:69], v[58:59], v[72:73] op_sel:[0,0,1] op_sel_hi:[1,1,0] neg_lo:[0,0,1] neg_hi:[0,0,1]
	v_pk_fma_f32 v[68:69], v[68:69], v[58:59], v[72:73] op_sel:[0,0,1] op_sel_hi:[1,0,0]
	v_dual_mul_f32 v72, v71, v61 :: v_dual_mov_b32 v68, v71
	s_delay_alu instid0(VALU_DEP_2) | instskip(NEXT) | instid1(VALU_DEP_2)
	v_dual_mov_b32 v75, v69 :: v_dual_mov_b32 v69, v70
	v_pk_fma_f32 v[72:73], v[70:71], v[48:49], v[72:73] op_sel_hi:[1,1,0] neg_lo:[0,0,1] neg_hi:[0,0,1]
	v_mul_f32_e32 v70, v71, v58
	s_delay_alu instid0(VALU_DEP_3) | instskip(NEXT) | instid1(VALU_DEP_2)
	v_pk_add_f32 v[46:47], v[46:47], v[74:75] neg_lo:[0,1] neg_hi:[0,1]
	v_pk_fma_f32 v[68:69], v[68:69], v[48:49], v[70:71] op_sel_hi:[1,1,0]
	s_delay_alu instid0(VALU_DEP_1) | instskip(SKIP_4) | instid1(VALU_DEP_1)
	v_mov_b32_e32 v73, v69
	ds_load_2addr_b64 v[68:71], v62 offset0:18 offset1:19
	v_pk_add_f32 v[26:27], v[26:27], v[72:73] neg_lo:[0,1] neg_hi:[0,1]
	s_wait_dscnt 0x0
	v_pk_mul_f32 v[72:73], v[68:69], v[60:61] op_sel:[0,1]
	v_pk_fma_f32 v[74:75], v[68:69], v[58:59], v[72:73] op_sel:[0,0,1] op_sel_hi:[1,1,0] neg_lo:[0,0,1] neg_hi:[0,0,1]
	v_pk_fma_f32 v[68:69], v[68:69], v[58:59], v[72:73] op_sel:[0,0,1] op_sel_hi:[1,0,0]
	s_delay_alu instid0(VALU_DEP_1) | instskip(SKIP_1) | instid1(VALU_DEP_1)
	v_mov_b32_e32 v75, v69
	v_pk_mul_f32 v[68:69], v[70:71], v[60:61] op_sel:[0,1]
	v_pk_fma_f32 v[72:73], v[70:71], v[58:59], v[68:69] op_sel:[0,0,1] op_sel_hi:[1,1,0] neg_lo:[0,0,1] neg_hi:[0,0,1]
	v_pk_fma_f32 v[68:69], v[70:71], v[58:59], v[68:69] op_sel:[0,0,1] op_sel_hi:[1,0,0]
	s_delay_alu instid0(VALU_DEP_1)
	v_mov_b32_e32 v73, v69
	ds_load_2addr_b64 v[68:71], v62 offset0:20 offset1:21
	v_pk_add_f32 v[28:29], v[28:29], v[74:75] neg_lo:[0,1] neg_hi:[0,1]
	v_pk_add_f32 v[24:25], v[24:25], v[72:73] neg_lo:[0,1] neg_hi:[0,1]
	s_wait_dscnt 0x0
	v_pk_mul_f32 v[72:73], v[68:69], v[60:61] op_sel:[0,1]
	s_delay_alu instid0(VALU_DEP_1) | instskip(SKIP_1) | instid1(VALU_DEP_1)
	v_pk_fma_f32 v[74:75], v[68:69], v[58:59], v[72:73] op_sel:[0,0,1] op_sel_hi:[1,1,0] neg_lo:[0,0,1] neg_hi:[0,0,1]
	v_pk_fma_f32 v[68:69], v[68:69], v[58:59], v[72:73] op_sel:[0,0,1] op_sel_hi:[1,0,0]
	v_mov_b32_e32 v75, v69
	v_pk_mul_f32 v[68:69], v[70:71], v[60:61] op_sel:[0,1]
	s_delay_alu instid0(VALU_DEP_1) | instskip(SKIP_1) | instid1(VALU_DEP_1)
	v_pk_fma_f32 v[72:73], v[70:71], v[58:59], v[68:69] op_sel:[0,0,1] op_sel_hi:[1,1,0] neg_lo:[0,0,1] neg_hi:[0,0,1]
	v_pk_fma_f32 v[68:69], v[70:71], v[58:59], v[68:69] op_sel:[0,0,1] op_sel_hi:[1,0,0]
	v_mov_b32_e32 v73, v69
	ds_load_2addr_b64 v[68:71], v62 offset0:22 offset1:23
	v_pk_add_f32 v[38:39], v[38:39], v[74:75] neg_lo:[0,1] neg_hi:[0,1]
	v_pk_add_f32 v[30:31], v[30:31], v[72:73] neg_lo:[0,1] neg_hi:[0,1]
	s_wait_dscnt 0x0
	v_dual_mul_f32 v72, v69, v61 :: v_dual_mul_f32 v74, v69, v58
	s_delay_alu instid0(VALU_DEP_1) | instskip(NEXT) | instid1(VALU_DEP_2)
	v_pk_fma_f32 v[72:73], v[68:69], v[48:49], v[72:73] op_sel_hi:[1,1,0] neg_lo:[0,0,1] neg_hi:[0,0,1]
	v_pk_fma_f32 v[68:69], v[68:69], v[48:49], v[74:75] op_sel:[1,0,0] op_sel_hi:[0,1,0]
	s_delay_alu instid0(VALU_DEP_1) | instskip(SKIP_1) | instid1(VALU_DEP_2)
	v_mov_b32_e32 v73, v69
	v_pk_mul_f32 v[68:69], v[70:71], v[60:61] op_sel:[0,1]
	v_pk_add_f32 v[36:37], v[36:37], v[72:73] neg_lo:[0,1] neg_hi:[0,1]
	s_delay_alu instid0(VALU_DEP_2) | instskip(SKIP_1) | instid1(VALU_DEP_1)
	v_pk_fma_f32 v[72:73], v[70:71], v[58:59], v[68:69] op_sel:[0,0,1] op_sel_hi:[1,1,0] neg_lo:[0,0,1] neg_hi:[0,0,1]
	v_pk_fma_f32 v[68:69], v[70:71], v[58:59], v[68:69] op_sel:[0,0,1] op_sel_hi:[1,0,0]
	v_mov_b32_e32 v73, v69
	ds_load_2addr_b64 v[68:71], v62 offset0:24 offset1:25
	v_pk_add_f32 v[34:35], v[34:35], v[72:73] neg_lo:[0,1] neg_hi:[0,1]
	s_wait_dscnt 0x0
	v_pk_mul_f32 v[72:73], v[68:69], v[60:61] op_sel:[0,1]
	v_pk_mul_f32 v[60:61], v[70:71], v[60:61] op_sel:[0,1]
	s_delay_alu instid0(VALU_DEP_2) | instskip(SKIP_1) | instid1(VALU_DEP_1)
	v_pk_fma_f32 v[74:75], v[68:69], v[58:59], v[72:73] op_sel:[0,0,1] op_sel_hi:[1,1,0] neg_lo:[0,0,1] neg_hi:[0,0,1]
	v_pk_fma_f32 v[68:69], v[68:69], v[58:59], v[72:73] op_sel:[0,0,1] op_sel_hi:[1,0,0]
	v_mov_b32_e32 v75, v69
	s_delay_alu instid0(VALU_DEP_4) | instskip(SKIP_1) | instid1(VALU_DEP_3)
	v_pk_fma_f32 v[68:69], v[70:71], v[58:59], v[60:61] op_sel:[0,0,1] op_sel_hi:[1,1,0] neg_lo:[0,0,1] neg_hi:[0,0,1]
	v_pk_fma_f32 v[58:59], v[70:71], v[58:59], v[60:61] op_sel:[0,0,1] op_sel_hi:[1,0,0]
	v_pk_add_f32 v[32:33], v[32:33], v[74:75] neg_lo:[0,1] neg_hi:[0,1]
	s_delay_alu instid0(VALU_DEP_2) | instskip(NEXT) | instid1(VALU_DEP_1)
	v_mov_b32_e32 v69, v59
	v_pk_add_f32 v[56:57], v[56:57], v[68:69] neg_lo:[0,1] neg_hi:[0,1]
.LBB50_83:
	s_or_b32 exec_lo, exec_lo, s0
	v_lshl_add_u32 v58, v66, 3, v62
	s_barrier_signal -1
	s_barrier_wait -1
	ds_store_b64 v58, v[44:45]
	s_wait_dscnt 0x0
	s_barrier_signal -1
	s_barrier_wait -1
	ds_load_b64 v[60:61], v62 offset:32
	v_mov_b32_e32 v58, 4
	s_cmp_lt_i32 s18, 6
	s_cbranch_scc1 .LBB50_86
; %bb.84:
	v_add3_u32 v59, v63, 0, 40
	v_mov_b32_e32 v58, 4
	s_mov_b32 s0, 5
.LBB50_85:                              ; =>This Inner Loop Header: Depth=1
	ds_load_b64 v[68:69], v59
	s_wait_dscnt 0x1
	v_cmp_gt_f32_e32 vcc_lo, 0, v60
	v_cndmask_b32_e64 v70, v60, -v60, vcc_lo
	v_cmp_gt_f32_e32 vcc_lo, 0, v61
	v_cndmask_b32_e64 v72, v61, -v61, vcc_lo
	s_wait_dscnt 0x0
	v_cmp_gt_f32_e32 vcc_lo, 0, v68
	v_cndmask_b32_e64 v71, v68, -v68, vcc_lo
	v_cmp_gt_f32_e32 vcc_lo, 0, v69
	v_cndmask_b32_e64 v73, v69, -v69, vcc_lo
	s_delay_alu instid0(VALU_DEP_1) | instskip(NEXT) | instid1(VALU_DEP_1)
	v_pk_add_f32 v[70:71], v[70:71], v[72:73]
	v_cmp_lt_f32_e32 vcc_lo, v70, v71
	v_dual_add_nc_u32 v59, 8, v59 :: v_dual_cndmask_b32 v61, v61, v69, vcc_lo
	v_cndmask_b32_e32 v60, v60, v68, vcc_lo
	v_cndmask_b32_e64 v58, v58, s0, vcc_lo
	s_add_co_i32 s0, s0, 1
	s_delay_alu instid0(SALU_CYCLE_1)
	s_cmp_lg_u32 s18, s0
	s_cbranch_scc1 .LBB50_85
.LBB50_86:
	s_wait_dscnt 0x0
	v_cmp_eq_f32_e32 vcc_lo, 0, v60
	v_cmp_eq_f32_e64 s0, 0, v61
	s_and_b32 s0, vcc_lo, s0
	s_delay_alu instid0(SALU_CYCLE_1) | instskip(NEXT) | instid1(SALU_CYCLE_1)
	s_and_saveexec_b32 s1, s0
	s_xor_b32 s0, exec_lo, s1
; %bb.87:
	v_cmp_ne_u32_e32 vcc_lo, 0, v65
	v_cndmask_b32_e32 v65, 5, v65, vcc_lo
; %bb.88:
	s_and_not1_saveexec_b32 s0, s0
	s_cbranch_execz .LBB50_94
; %bb.89:
	v_cmp_ngt_f32_e64 s1, |v60|, |v61|
	s_and_saveexec_b32 s12, s1
	s_delay_alu instid0(SALU_CYCLE_1)
	s_xor_b32 s1, exec_lo, s12
	s_cbranch_execz .LBB50_91
; %bb.90:
	v_div_scale_f32 v59, null, v61, v61, v60
	v_div_scale_f32 v69, vcc_lo, v60, v61, v60
	s_delay_alu instid0(VALU_DEP_2) | instskip(SKIP_1) | instid1(TRANS32_DEP_1)
	v_rcp_f32_e32 v67, v59
	v_nop
	v_fma_f32 v68, -v59, v67, 1.0
	s_delay_alu instid0(VALU_DEP_1) | instskip(NEXT) | instid1(VALU_DEP_1)
	v_fmac_f32_e32 v67, v68, v67
	v_mul_f32_e32 v68, v69, v67
	s_delay_alu instid0(VALU_DEP_1) | instskip(NEXT) | instid1(VALU_DEP_1)
	v_fma_f32 v70, -v59, v68, v69
	v_fmac_f32_e32 v68, v70, v67
	s_delay_alu instid0(VALU_DEP_1) | instskip(NEXT) | instid1(VALU_DEP_1)
	v_fma_f32 v59, -v59, v68, v69
	v_div_fmas_f32 v59, v59, v67, v68
	s_delay_alu instid0(VALU_DEP_1) | instskip(NEXT) | instid1(VALU_DEP_1)
	v_div_fixup_f32 v59, v59, v61, v60
	v_fmac_f32_e32 v61, v60, v59
	s_delay_alu instid0(VALU_DEP_1) | instskip(SKIP_1) | instid1(VALU_DEP_2)
	v_div_scale_f32 v60, null, v61, v61, 1.0
	v_div_scale_f32 v69, vcc_lo, 1.0, v61, 1.0
	v_rcp_f32_e32 v67, v60
	v_nop
	s_delay_alu instid0(TRANS32_DEP_1) | instskip(NEXT) | instid1(VALU_DEP_1)
	v_fma_f32 v68, -v60, v67, 1.0
	v_fmac_f32_e32 v67, v68, v67
	s_delay_alu instid0(VALU_DEP_1) | instskip(NEXT) | instid1(VALU_DEP_1)
	v_mul_f32_e32 v68, v69, v67
	v_fma_f32 v70, -v60, v68, v69
	s_delay_alu instid0(VALU_DEP_1) | instskip(NEXT) | instid1(VALU_DEP_1)
	v_fmac_f32_e32 v68, v70, v67
	v_fma_f32 v60, -v60, v68, v69
	s_delay_alu instid0(VALU_DEP_1) | instskip(NEXT) | instid1(VALU_DEP_1)
	v_div_fmas_f32 v60, v60, v67, v68
	v_div_fixup_f32 v61, v60, v61, 1.0
	s_delay_alu instid0(VALU_DEP_1)
	v_mul_f32_e32 v60, v59, v61
	v_xor_b32_e32 v61, 0x80000000, v61
.LBB50_91:
	s_and_not1_saveexec_b32 s1, s1
	s_cbranch_execz .LBB50_93
; %bb.92:
	s_delay_alu instid0(VALU_DEP_1) | instskip(SKIP_1) | instid1(VALU_DEP_2)
	v_div_scale_f32 v59, null, v60, v60, v61
	v_div_scale_f32 v69, vcc_lo, v61, v60, v61
	v_rcp_f32_e32 v67, v59
	v_nop
	s_delay_alu instid0(TRANS32_DEP_1) | instskip(NEXT) | instid1(VALU_DEP_1)
	v_fma_f32 v68, -v59, v67, 1.0
	v_fmac_f32_e32 v67, v68, v67
	s_delay_alu instid0(VALU_DEP_1) | instskip(NEXT) | instid1(VALU_DEP_1)
	v_mul_f32_e32 v68, v69, v67
	v_fma_f32 v70, -v59, v68, v69
	s_delay_alu instid0(VALU_DEP_1) | instskip(NEXT) | instid1(VALU_DEP_1)
	v_fmac_f32_e32 v68, v70, v67
	v_fma_f32 v59, -v59, v68, v69
	s_delay_alu instid0(VALU_DEP_1) | instskip(NEXT) | instid1(VALU_DEP_1)
	v_div_fmas_f32 v59, v59, v67, v68
	v_div_fixup_f32 v59, v59, v60, v61
	s_delay_alu instid0(VALU_DEP_1) | instskip(NEXT) | instid1(VALU_DEP_1)
	v_fmac_f32_e32 v60, v61, v59
	v_div_scale_f32 v61, null, v60, v60, 1.0
	s_delay_alu instid0(VALU_DEP_1) | instskip(SKIP_1) | instid1(TRANS32_DEP_1)
	v_rcp_f32_e32 v67, v61
	v_nop
	v_fma_f32 v68, -v61, v67, 1.0
	s_delay_alu instid0(VALU_DEP_1) | instskip(SKIP_1) | instid1(VALU_DEP_1)
	v_fmac_f32_e32 v67, v68, v67
	v_div_scale_f32 v68, vcc_lo, 1.0, v60, 1.0
	v_mul_f32_e32 v69, v68, v67
	s_delay_alu instid0(VALU_DEP_1) | instskip(NEXT) | instid1(VALU_DEP_1)
	v_fma_f32 v70, -v61, v69, v68
	v_fmac_f32_e32 v69, v70, v67
	s_delay_alu instid0(VALU_DEP_1) | instskip(NEXT) | instid1(VALU_DEP_1)
	v_fma_f32 v61, -v61, v69, v68
	v_div_fmas_f32 v61, v61, v67, v69
	s_delay_alu instid0(VALU_DEP_1) | instskip(NEXT) | instid1(VALU_DEP_1)
	v_div_fixup_f32 v60, v61, v60, 1.0
	v_mul_f32_e64 v61, v59, -v60
.LBB50_93:
	s_or_b32 exec_lo, exec_lo, s1
.LBB50_94:
	s_delay_alu instid0(SALU_CYCLE_1) | instskip(NEXT) | instid1(SALU_CYCLE_1)
	s_or_b32 exec_lo, exec_lo, s0
	s_mov_b32 s0, exec_lo
	v_cmpx_ne_u32_e64 v66, v58
	s_xor_b32 s0, exec_lo, s0
	s_cbranch_execz .LBB50_100
; %bb.95:
	s_mov_b32 s1, exec_lo
	v_cmpx_eq_u32_e32 4, v66
	s_cbranch_execz .LBB50_99
; %bb.96:
	v_cmp_ne_u32_e32 vcc_lo, 4, v58
	s_xor_b32 s12, s16, -1
	s_delay_alu instid0(SALU_CYCLE_1) | instskip(NEXT) | instid1(SALU_CYCLE_1)
	s_and_b32 s13, s12, vcc_lo
	s_and_saveexec_b32 s12, s13
	s_cbranch_execz .LBB50_98
; %bb.97:
	v_ashrrev_i32_e32 v59, 31, v58
	s_delay_alu instid0(VALU_DEP_1)
	v_lshl_add_u64 v[66:67], v[58:59], 2, v[4:5]
	s_clause 0x1
	global_load_b32 v59, v[66:67], off
	global_load_b32 v64, v[4:5], off offset:16
	s_wait_loadcnt 0x1
	global_store_b32 v[4:5], v59, off offset:16
	s_wait_loadcnt 0x0
	global_store_b32 v[66:67], v64, off
.LBB50_98:
	s_wait_xcnt 0x0
	s_or_b32 exec_lo, exec_lo, s12
	v_dual_mov_b32 v66, v58 :: v_dual_mov_b32 v64, v58
.LBB50_99:
	s_or_b32 exec_lo, exec_lo, s1
.LBB50_100:
	s_and_not1_saveexec_b32 s0, s0
	s_cbranch_execz .LBB50_102
; %bb.101:
	v_mov_b32_e32 v66, 4
	ds_store_2addr_b64 v62, v[18:19], v[22:23] offset0:5 offset1:6
	ds_store_2addr_b64 v62, v[16:17], v[40:41] offset0:7 offset1:8
	;; [unrolled: 1-line block ×10, first 2 shown]
	ds_store_b64 v62, v[56:57] offset:200
.LBB50_102:
	s_or_b32 exec_lo, exec_lo, s0
	s_delay_alu instid0(SALU_CYCLE_1)
	s_mov_b32 s0, exec_lo
	s_wait_storecnt_dscnt 0x0
	s_barrier_signal -1
	s_barrier_wait -1
	v_cmpx_lt_i32_e32 4, v66
	s_cbranch_execz .LBB50_104
; %bb.103:
	v_pk_mul_f32 v[68:69], v[60:61], v[44:45] op_sel:[1,1] op_sel_hi:[0,1]
	s_delay_alu instid0(VALU_DEP_1)
	v_pk_fma_f32 v[58:59], v[60:61], v[44:45], v[68:69] op_sel_hi:[1,0,1] neg_lo:[0,0,1] neg_hi:[0,0,1]
	v_pk_fma_f32 v[60:61], v[60:61], v[44:45], v[68:69] op_sel_hi:[1,0,1]
	ds_load_2addr_b64 v[68:71], v62 offset0:5 offset1:6
	v_dual_mov_b32 v44, v58 :: v_dual_mov_b32 v45, v61
	s_wait_dscnt 0x0
	v_pk_mul_f32 v[72:73], v[68:69], v[60:61] op_sel:[0,1]
	s_delay_alu instid0(VALU_DEP_1) | instskip(SKIP_1) | instid1(VALU_DEP_1)
	v_pk_fma_f32 v[74:75], v[68:69], v[58:59], v[72:73] op_sel:[0,0,1] op_sel_hi:[1,1,0] neg_lo:[0,0,1] neg_hi:[0,0,1]
	v_pk_fma_f32 v[68:69], v[68:69], v[58:59], v[72:73] op_sel:[0,0,1] op_sel_hi:[1,0,0]
	v_mov_b32_e32 v75, v69
	v_pk_mul_f32 v[68:69], v[70:71], v[60:61] op_sel:[0,1]
	s_delay_alu instid0(VALU_DEP_1) | instskip(SKIP_1) | instid1(VALU_DEP_1)
	v_pk_fma_f32 v[72:73], v[70:71], v[58:59], v[68:69] op_sel:[0,0,1] op_sel_hi:[1,1,0] neg_lo:[0,0,1] neg_hi:[0,0,1]
	v_pk_fma_f32 v[68:69], v[70:71], v[58:59], v[68:69] op_sel:[0,0,1] op_sel_hi:[1,0,0]
	v_mov_b32_e32 v73, v69
	ds_load_2addr_b64 v[68:71], v62 offset0:7 offset1:8
	v_pk_add_f32 v[18:19], v[18:19], v[74:75] neg_lo:[0,1] neg_hi:[0,1]
	v_pk_add_f32 v[22:23], v[22:23], v[72:73] neg_lo:[0,1] neg_hi:[0,1]
	s_wait_dscnt 0x0
	v_pk_mul_f32 v[72:73], v[68:69], v[60:61] op_sel:[0,1]
	s_delay_alu instid0(VALU_DEP_1) | instskip(SKIP_2) | instid1(VALU_DEP_2)
	v_pk_fma_f32 v[74:75], v[68:69], v[58:59], v[72:73] op_sel:[0,0,1] op_sel_hi:[1,1,0] neg_lo:[0,0,1] neg_hi:[0,0,1]
	v_pk_fma_f32 v[68:69], v[68:69], v[58:59], v[72:73] op_sel:[0,0,1] op_sel_hi:[1,0,0]
	v_dual_mul_f32 v72, v71, v61 :: v_dual_mov_b32 v68, v71
	v_dual_mov_b32 v75, v69 :: v_dual_mov_b32 v69, v70
	s_delay_alu instid0(VALU_DEP_2) | instskip(SKIP_1) | instid1(VALU_DEP_3)
	v_pk_fma_f32 v[72:73], v[70:71], v[44:45], v[72:73] op_sel_hi:[1,1,0] neg_lo:[0,0,1] neg_hi:[0,0,1]
	v_mul_f32_e32 v70, v71, v58
	v_pk_add_f32 v[16:17], v[16:17], v[74:75] neg_lo:[0,1] neg_hi:[0,1]
	s_delay_alu instid0(VALU_DEP_2) | instskip(NEXT) | instid1(VALU_DEP_1)
	v_pk_fma_f32 v[68:69], v[68:69], v[44:45], v[70:71] op_sel_hi:[1,1,0]
	v_mov_b32_e32 v73, v69
	ds_load_2addr_b64 v[68:71], v62 offset0:9 offset1:10
	v_pk_add_f32 v[40:41], v[40:41], v[72:73] neg_lo:[0,1] neg_hi:[0,1]
	s_wait_dscnt 0x0
	v_pk_mul_f32 v[72:73], v[68:69], v[60:61] op_sel:[0,1]
	s_delay_alu instid0(VALU_DEP_1) | instskip(SKIP_1) | instid1(VALU_DEP_1)
	v_pk_fma_f32 v[74:75], v[68:69], v[58:59], v[72:73] op_sel:[0,0,1] op_sel_hi:[1,1,0] neg_lo:[0,0,1] neg_hi:[0,0,1]
	v_pk_fma_f32 v[68:69], v[68:69], v[58:59], v[72:73] op_sel:[0,0,1] op_sel_hi:[1,0,0]
	v_mov_b32_e32 v75, v69
	v_pk_mul_f32 v[68:69], v[70:71], v[60:61] op_sel:[0,1]
	s_delay_alu instid0(VALU_DEP_1) | instskip(SKIP_1) | instid1(VALU_DEP_1)
	v_pk_fma_f32 v[72:73], v[70:71], v[58:59], v[68:69] op_sel:[0,0,1] op_sel_hi:[1,1,0] neg_lo:[0,0,1] neg_hi:[0,0,1]
	v_pk_fma_f32 v[68:69], v[70:71], v[58:59], v[68:69] op_sel:[0,0,1] op_sel_hi:[1,0,0]
	v_mov_b32_e32 v73, v69
	ds_load_2addr_b64 v[68:71], v62 offset0:11 offset1:12
	v_pk_add_f32 v[8:9], v[8:9], v[74:75] neg_lo:[0,1] neg_hi:[0,1]
	v_pk_add_f32 v[10:11], v[10:11], v[72:73] neg_lo:[0,1] neg_hi:[0,1]
	s_wait_dscnt 0x0
	v_pk_mul_f32 v[72:73], v[68:69], v[60:61] op_sel:[0,1]
	s_delay_alu instid0(VALU_DEP_1) | instskip(SKIP_1) | instid1(VALU_DEP_1)
	v_pk_fma_f32 v[74:75], v[68:69], v[58:59], v[72:73] op_sel:[0,0,1] op_sel_hi:[1,1,0] neg_lo:[0,0,1] neg_hi:[0,0,1]
	v_pk_fma_f32 v[68:69], v[68:69], v[58:59], v[72:73] op_sel:[0,0,1] op_sel_hi:[1,0,0]
	v_mov_b32_e32 v75, v69
	v_pk_mul_f32 v[68:69], v[70:71], v[60:61] op_sel:[0,1]
	s_delay_alu instid0(VALU_DEP_1) | instskip(SKIP_1) | instid1(VALU_DEP_1)
	v_pk_fma_f32 v[72:73], v[70:71], v[58:59], v[68:69] op_sel:[0,0,1] op_sel_hi:[1,1,0] neg_lo:[0,0,1] neg_hi:[0,0,1]
	v_pk_fma_f32 v[68:69], v[70:71], v[58:59], v[68:69] op_sel:[0,0,1] op_sel_hi:[1,0,0]
	v_mov_b32_e32 v73, v69
	ds_load_2addr_b64 v[68:71], v62 offset0:13 offset1:14
	v_pk_add_f32 v[6:7], v[6:7], v[74:75] neg_lo:[0,1] neg_hi:[0,1]
	v_pk_add_f32 v[42:43], v[42:43], v[72:73] neg_lo:[0,1] neg_hi:[0,1]
	s_wait_dscnt 0x0
	v_dual_mul_f32 v72, v69, v61 :: v_dual_mul_f32 v74, v69, v58
	s_delay_alu instid0(VALU_DEP_1) | instskip(NEXT) | instid1(VALU_DEP_2)
	v_pk_fma_f32 v[72:73], v[68:69], v[44:45], v[72:73] op_sel_hi:[1,1,0] neg_lo:[0,0,1] neg_hi:[0,0,1]
	v_pk_fma_f32 v[68:69], v[68:69], v[44:45], v[74:75] op_sel:[1,0,0] op_sel_hi:[0,1,0]
	s_delay_alu instid0(VALU_DEP_1) | instskip(SKIP_1) | instid1(VALU_DEP_2)
	v_mov_b32_e32 v73, v69
	v_pk_mul_f32 v[68:69], v[70:71], v[60:61] op_sel:[0,1]
	v_pk_add_f32 v[14:15], v[14:15], v[72:73] neg_lo:[0,1] neg_hi:[0,1]
	s_delay_alu instid0(VALU_DEP_2) | instskip(SKIP_1) | instid1(VALU_DEP_1)
	v_pk_fma_f32 v[72:73], v[70:71], v[58:59], v[68:69] op_sel:[0,0,1] op_sel_hi:[1,1,0] neg_lo:[0,0,1] neg_hi:[0,0,1]
	v_pk_fma_f32 v[68:69], v[70:71], v[58:59], v[68:69] op_sel:[0,0,1] op_sel_hi:[1,0,0]
	v_mov_b32_e32 v73, v69
	ds_load_2addr_b64 v[68:71], v62 offset0:15 offset1:16
	v_pk_add_f32 v[20:21], v[20:21], v[72:73] neg_lo:[0,1] neg_hi:[0,1]
	s_wait_dscnt 0x0
	v_pk_mul_f32 v[72:73], v[68:69], v[60:61] op_sel:[0,1]
	s_delay_alu instid0(VALU_DEP_1) | instskip(SKIP_1) | instid1(VALU_DEP_1)
	v_pk_fma_f32 v[74:75], v[68:69], v[58:59], v[72:73] op_sel:[0,0,1] op_sel_hi:[1,1,0] neg_lo:[0,0,1] neg_hi:[0,0,1]
	v_pk_fma_f32 v[68:69], v[68:69], v[58:59], v[72:73] op_sel:[0,0,1] op_sel_hi:[1,0,0]
	v_mov_b32_e32 v75, v69
	v_pk_mul_f32 v[68:69], v[70:71], v[60:61] op_sel:[0,1]
	s_delay_alu instid0(VALU_DEP_2) | instskip(NEXT) | instid1(VALU_DEP_2)
	v_pk_add_f32 v[12:13], v[12:13], v[74:75] neg_lo:[0,1] neg_hi:[0,1]
	v_pk_fma_f32 v[72:73], v[70:71], v[58:59], v[68:69] op_sel:[0,0,1] op_sel_hi:[1,1,0] neg_lo:[0,0,1] neg_hi:[0,0,1]
	v_pk_fma_f32 v[68:69], v[70:71], v[58:59], v[68:69] op_sel:[0,0,1] op_sel_hi:[1,0,0]
	s_delay_alu instid0(VALU_DEP_1) | instskip(SKIP_4) | instid1(VALU_DEP_1)
	v_mov_b32_e32 v73, v69
	ds_load_2addr_b64 v[68:71], v62 offset0:17 offset1:18
	v_pk_add_f32 v[46:47], v[46:47], v[72:73] neg_lo:[0,1] neg_hi:[0,1]
	s_wait_dscnt 0x0
	v_pk_mul_f32 v[72:73], v[68:69], v[60:61] op_sel:[0,1]
	v_pk_fma_f32 v[74:75], v[68:69], v[58:59], v[72:73] op_sel:[0,0,1] op_sel_hi:[1,1,0] neg_lo:[0,0,1] neg_hi:[0,0,1]
	v_pk_fma_f32 v[68:69], v[68:69], v[58:59], v[72:73] op_sel:[0,0,1] op_sel_hi:[1,0,0]
	v_dual_mul_f32 v72, v71, v61 :: v_dual_mov_b32 v68, v71
	s_delay_alu instid0(VALU_DEP_2) | instskip(NEXT) | instid1(VALU_DEP_2)
	v_dual_mov_b32 v75, v69 :: v_dual_mov_b32 v69, v70
	v_pk_fma_f32 v[72:73], v[70:71], v[44:45], v[72:73] op_sel_hi:[1,1,0] neg_lo:[0,0,1] neg_hi:[0,0,1]
	v_mul_f32_e32 v70, v71, v58
	s_delay_alu instid0(VALU_DEP_3) | instskip(NEXT) | instid1(VALU_DEP_2)
	v_pk_add_f32 v[26:27], v[26:27], v[74:75] neg_lo:[0,1] neg_hi:[0,1]
	v_pk_fma_f32 v[68:69], v[68:69], v[44:45], v[70:71] op_sel_hi:[1,1,0]
	s_delay_alu instid0(VALU_DEP_1) | instskip(SKIP_4) | instid1(VALU_DEP_1)
	v_mov_b32_e32 v73, v69
	ds_load_2addr_b64 v[68:71], v62 offset0:19 offset1:20
	v_pk_add_f32 v[28:29], v[28:29], v[72:73] neg_lo:[0,1] neg_hi:[0,1]
	s_wait_dscnt 0x0
	v_pk_mul_f32 v[72:73], v[68:69], v[60:61] op_sel:[0,1]
	v_pk_fma_f32 v[74:75], v[68:69], v[58:59], v[72:73] op_sel:[0,0,1] op_sel_hi:[1,1,0] neg_lo:[0,0,1] neg_hi:[0,0,1]
	v_pk_fma_f32 v[68:69], v[68:69], v[58:59], v[72:73] op_sel:[0,0,1] op_sel_hi:[1,0,0]
	s_delay_alu instid0(VALU_DEP_1) | instskip(SKIP_1) | instid1(VALU_DEP_1)
	v_mov_b32_e32 v75, v69
	v_pk_mul_f32 v[68:69], v[70:71], v[60:61] op_sel:[0,1]
	v_pk_fma_f32 v[72:73], v[70:71], v[58:59], v[68:69] op_sel:[0,0,1] op_sel_hi:[1,1,0] neg_lo:[0,0,1] neg_hi:[0,0,1]
	v_pk_fma_f32 v[68:69], v[70:71], v[58:59], v[68:69] op_sel:[0,0,1] op_sel_hi:[1,0,0]
	s_delay_alu instid0(VALU_DEP_1)
	v_mov_b32_e32 v73, v69
	ds_load_2addr_b64 v[68:71], v62 offset0:21 offset1:22
	v_pk_add_f32 v[24:25], v[24:25], v[74:75] neg_lo:[0,1] neg_hi:[0,1]
	v_pk_add_f32 v[38:39], v[38:39], v[72:73] neg_lo:[0,1] neg_hi:[0,1]
	s_wait_dscnt 0x0
	v_pk_mul_f32 v[72:73], v[68:69], v[60:61] op_sel:[0,1]
	s_delay_alu instid0(VALU_DEP_1) | instskip(SKIP_1) | instid1(VALU_DEP_1)
	v_pk_fma_f32 v[74:75], v[68:69], v[58:59], v[72:73] op_sel:[0,0,1] op_sel_hi:[1,1,0] neg_lo:[0,0,1] neg_hi:[0,0,1]
	v_pk_fma_f32 v[68:69], v[68:69], v[58:59], v[72:73] op_sel:[0,0,1] op_sel_hi:[1,0,0]
	v_mov_b32_e32 v75, v69
	v_pk_mul_f32 v[68:69], v[70:71], v[60:61] op_sel:[0,1]
	s_delay_alu instid0(VALU_DEP_1) | instskip(SKIP_1) | instid1(VALU_DEP_1)
	v_pk_fma_f32 v[72:73], v[70:71], v[58:59], v[68:69] op_sel:[0,0,1] op_sel_hi:[1,1,0] neg_lo:[0,0,1] neg_hi:[0,0,1]
	v_pk_fma_f32 v[68:69], v[70:71], v[58:59], v[68:69] op_sel:[0,0,1] op_sel_hi:[1,0,0]
	v_mov_b32_e32 v73, v69
	ds_load_2addr_b64 v[68:71], v62 offset0:23 offset1:24
	v_pk_add_f32 v[30:31], v[30:31], v[74:75] neg_lo:[0,1] neg_hi:[0,1]
	v_pk_add_f32 v[36:37], v[36:37], v[72:73] neg_lo:[0,1] neg_hi:[0,1]
	s_wait_dscnt 0x0
	v_dual_mul_f32 v72, v69, v61 :: v_dual_mul_f32 v74, v69, v58
	s_delay_alu instid0(VALU_DEP_1) | instskip(NEXT) | instid1(VALU_DEP_2)
	v_pk_fma_f32 v[72:73], v[68:69], v[44:45], v[72:73] op_sel_hi:[1,1,0] neg_lo:[0,0,1] neg_hi:[0,0,1]
	v_pk_fma_f32 v[68:69], v[68:69], v[44:45], v[74:75] op_sel:[1,0,0] op_sel_hi:[0,1,0]
	s_delay_alu instid0(VALU_DEP_1) | instskip(SKIP_1) | instid1(VALU_DEP_2)
	v_mov_b32_e32 v73, v69
	v_pk_mul_f32 v[68:69], v[70:71], v[60:61] op_sel:[0,1]
	v_pk_add_f32 v[34:35], v[34:35], v[72:73] neg_lo:[0,1] neg_hi:[0,1]
	s_delay_alu instid0(VALU_DEP_2) | instskip(SKIP_1) | instid1(VALU_DEP_1)
	v_pk_fma_f32 v[72:73], v[70:71], v[58:59], v[68:69] op_sel:[0,0,1] op_sel_hi:[1,1,0] neg_lo:[0,0,1] neg_hi:[0,0,1]
	v_pk_fma_f32 v[68:69], v[70:71], v[58:59], v[68:69] op_sel:[0,0,1] op_sel_hi:[1,0,0]
	v_mov_b32_e32 v73, v69
	ds_load_b64 v[68:69], v62 offset:200
	v_pk_add_f32 v[32:33], v[32:33], v[72:73] neg_lo:[0,1] neg_hi:[0,1]
	s_wait_dscnt 0x0
	v_pk_mul_f32 v[60:61], v[68:69], v[60:61] op_sel:[0,1]
	s_delay_alu instid0(VALU_DEP_1) | instskip(SKIP_1) | instid1(VALU_DEP_1)
	v_pk_fma_f32 v[70:71], v[68:69], v[58:59], v[60:61] op_sel:[0,0,1] op_sel_hi:[1,1,0] neg_lo:[0,0,1] neg_hi:[0,0,1]
	v_pk_fma_f32 v[58:59], v[68:69], v[58:59], v[60:61] op_sel:[0,0,1] op_sel_hi:[1,0,0]
	v_mov_b32_e32 v71, v59
	s_delay_alu instid0(VALU_DEP_1)
	v_pk_add_f32 v[56:57], v[56:57], v[70:71] neg_lo:[0,1] neg_hi:[0,1]
.LBB50_104:
	s_or_b32 exec_lo, exec_lo, s0
	v_lshl_add_u32 v58, v66, 3, v62
	s_barrier_signal -1
	s_barrier_wait -1
	ds_store_b64 v58, v[18:19]
	s_wait_dscnt 0x0
	s_barrier_signal -1
	s_barrier_wait -1
	ds_load_b64 v[60:61], v62 offset:40
	v_mov_b32_e32 v58, 5
	s_cmp_lt_i32 s18, 7
	s_cbranch_scc1 .LBB50_107
; %bb.105:
	v_add3_u32 v59, v63, 0, 48
	v_mov_b32_e32 v58, 5
	s_mov_b32 s0, 6
.LBB50_106:                             ; =>This Inner Loop Header: Depth=1
	ds_load_b64 v[68:69], v59
	s_wait_dscnt 0x1
	v_cmp_gt_f32_e32 vcc_lo, 0, v60
	v_cndmask_b32_e64 v70, v60, -v60, vcc_lo
	v_cmp_gt_f32_e32 vcc_lo, 0, v61
	v_cndmask_b32_e64 v72, v61, -v61, vcc_lo
	s_wait_dscnt 0x0
	v_cmp_gt_f32_e32 vcc_lo, 0, v68
	v_cndmask_b32_e64 v71, v68, -v68, vcc_lo
	v_cmp_gt_f32_e32 vcc_lo, 0, v69
	v_cndmask_b32_e64 v73, v69, -v69, vcc_lo
	s_delay_alu instid0(VALU_DEP_1) | instskip(NEXT) | instid1(VALU_DEP_1)
	v_pk_add_f32 v[70:71], v[70:71], v[72:73]
	v_cmp_lt_f32_e32 vcc_lo, v70, v71
	v_dual_add_nc_u32 v59, 8, v59 :: v_dual_cndmask_b32 v61, v61, v69, vcc_lo
	v_cndmask_b32_e32 v60, v60, v68, vcc_lo
	v_cndmask_b32_e64 v58, v58, s0, vcc_lo
	s_add_co_i32 s0, s0, 1
	s_delay_alu instid0(SALU_CYCLE_1)
	s_cmp_lg_u32 s18, s0
	s_cbranch_scc1 .LBB50_106
.LBB50_107:
	s_wait_dscnt 0x0
	v_cmp_eq_f32_e32 vcc_lo, 0, v60
	v_cmp_eq_f32_e64 s0, 0, v61
	s_and_b32 s0, vcc_lo, s0
	s_delay_alu instid0(SALU_CYCLE_1) | instskip(NEXT) | instid1(SALU_CYCLE_1)
	s_and_saveexec_b32 s1, s0
	s_xor_b32 s0, exec_lo, s1
; %bb.108:
	v_cmp_ne_u32_e32 vcc_lo, 0, v65
	v_cndmask_b32_e32 v65, 6, v65, vcc_lo
; %bb.109:
	s_and_not1_saveexec_b32 s0, s0
	s_cbranch_execz .LBB50_115
; %bb.110:
	v_cmp_ngt_f32_e64 s1, |v60|, |v61|
	s_and_saveexec_b32 s12, s1
	s_delay_alu instid0(SALU_CYCLE_1)
	s_xor_b32 s1, exec_lo, s12
	s_cbranch_execz .LBB50_112
; %bb.111:
	v_div_scale_f32 v59, null, v61, v61, v60
	v_div_scale_f32 v69, vcc_lo, v60, v61, v60
	s_delay_alu instid0(VALU_DEP_2) | instskip(SKIP_1) | instid1(TRANS32_DEP_1)
	v_rcp_f32_e32 v67, v59
	v_nop
	v_fma_f32 v68, -v59, v67, 1.0
	s_delay_alu instid0(VALU_DEP_1) | instskip(NEXT) | instid1(VALU_DEP_1)
	v_fmac_f32_e32 v67, v68, v67
	v_mul_f32_e32 v68, v69, v67
	s_delay_alu instid0(VALU_DEP_1) | instskip(NEXT) | instid1(VALU_DEP_1)
	v_fma_f32 v70, -v59, v68, v69
	v_fmac_f32_e32 v68, v70, v67
	s_delay_alu instid0(VALU_DEP_1) | instskip(NEXT) | instid1(VALU_DEP_1)
	v_fma_f32 v59, -v59, v68, v69
	v_div_fmas_f32 v59, v59, v67, v68
	s_delay_alu instid0(VALU_DEP_1) | instskip(NEXT) | instid1(VALU_DEP_1)
	v_div_fixup_f32 v59, v59, v61, v60
	v_fmac_f32_e32 v61, v60, v59
	s_delay_alu instid0(VALU_DEP_1) | instskip(SKIP_1) | instid1(VALU_DEP_2)
	v_div_scale_f32 v60, null, v61, v61, 1.0
	v_div_scale_f32 v69, vcc_lo, 1.0, v61, 1.0
	v_rcp_f32_e32 v67, v60
	v_nop
	s_delay_alu instid0(TRANS32_DEP_1) | instskip(NEXT) | instid1(VALU_DEP_1)
	v_fma_f32 v68, -v60, v67, 1.0
	v_fmac_f32_e32 v67, v68, v67
	s_delay_alu instid0(VALU_DEP_1) | instskip(NEXT) | instid1(VALU_DEP_1)
	v_mul_f32_e32 v68, v69, v67
	v_fma_f32 v70, -v60, v68, v69
	s_delay_alu instid0(VALU_DEP_1) | instskip(NEXT) | instid1(VALU_DEP_1)
	v_fmac_f32_e32 v68, v70, v67
	v_fma_f32 v60, -v60, v68, v69
	s_delay_alu instid0(VALU_DEP_1) | instskip(NEXT) | instid1(VALU_DEP_1)
	v_div_fmas_f32 v60, v60, v67, v68
	v_div_fixup_f32 v61, v60, v61, 1.0
	s_delay_alu instid0(VALU_DEP_1)
	v_mul_f32_e32 v60, v59, v61
	v_xor_b32_e32 v61, 0x80000000, v61
.LBB50_112:
	s_and_not1_saveexec_b32 s1, s1
	s_cbranch_execz .LBB50_114
; %bb.113:
	s_delay_alu instid0(VALU_DEP_1) | instskip(SKIP_1) | instid1(VALU_DEP_2)
	v_div_scale_f32 v59, null, v60, v60, v61
	v_div_scale_f32 v69, vcc_lo, v61, v60, v61
	v_rcp_f32_e32 v67, v59
	v_nop
	s_delay_alu instid0(TRANS32_DEP_1) | instskip(NEXT) | instid1(VALU_DEP_1)
	v_fma_f32 v68, -v59, v67, 1.0
	v_fmac_f32_e32 v67, v68, v67
	s_delay_alu instid0(VALU_DEP_1) | instskip(NEXT) | instid1(VALU_DEP_1)
	v_mul_f32_e32 v68, v69, v67
	v_fma_f32 v70, -v59, v68, v69
	s_delay_alu instid0(VALU_DEP_1) | instskip(NEXT) | instid1(VALU_DEP_1)
	v_fmac_f32_e32 v68, v70, v67
	v_fma_f32 v59, -v59, v68, v69
	s_delay_alu instid0(VALU_DEP_1) | instskip(NEXT) | instid1(VALU_DEP_1)
	v_div_fmas_f32 v59, v59, v67, v68
	v_div_fixup_f32 v59, v59, v60, v61
	s_delay_alu instid0(VALU_DEP_1) | instskip(NEXT) | instid1(VALU_DEP_1)
	v_fmac_f32_e32 v60, v61, v59
	v_div_scale_f32 v61, null, v60, v60, 1.0
	s_delay_alu instid0(VALU_DEP_1) | instskip(SKIP_1) | instid1(TRANS32_DEP_1)
	v_rcp_f32_e32 v67, v61
	v_nop
	v_fma_f32 v68, -v61, v67, 1.0
	s_delay_alu instid0(VALU_DEP_1) | instskip(SKIP_1) | instid1(VALU_DEP_1)
	v_fmac_f32_e32 v67, v68, v67
	v_div_scale_f32 v68, vcc_lo, 1.0, v60, 1.0
	v_mul_f32_e32 v69, v68, v67
	s_delay_alu instid0(VALU_DEP_1) | instskip(NEXT) | instid1(VALU_DEP_1)
	v_fma_f32 v70, -v61, v69, v68
	v_fmac_f32_e32 v69, v70, v67
	s_delay_alu instid0(VALU_DEP_1) | instskip(NEXT) | instid1(VALU_DEP_1)
	v_fma_f32 v61, -v61, v69, v68
	v_div_fmas_f32 v61, v61, v67, v69
	s_delay_alu instid0(VALU_DEP_1) | instskip(NEXT) | instid1(VALU_DEP_1)
	v_div_fixup_f32 v60, v61, v60, 1.0
	v_mul_f32_e64 v61, v59, -v60
.LBB50_114:
	s_or_b32 exec_lo, exec_lo, s1
.LBB50_115:
	s_delay_alu instid0(SALU_CYCLE_1) | instskip(NEXT) | instid1(SALU_CYCLE_1)
	s_or_b32 exec_lo, exec_lo, s0
	s_mov_b32 s0, exec_lo
	v_cmpx_ne_u32_e64 v66, v58
	s_xor_b32 s0, exec_lo, s0
	s_cbranch_execz .LBB50_121
; %bb.116:
	s_mov_b32 s1, exec_lo
	v_cmpx_eq_u32_e32 5, v66
	s_cbranch_execz .LBB50_120
; %bb.117:
	v_cmp_ne_u32_e32 vcc_lo, 5, v58
	s_xor_b32 s12, s16, -1
	s_delay_alu instid0(SALU_CYCLE_1) | instskip(NEXT) | instid1(SALU_CYCLE_1)
	s_and_b32 s13, s12, vcc_lo
	s_and_saveexec_b32 s12, s13
	s_cbranch_execz .LBB50_119
; %bb.118:
	v_ashrrev_i32_e32 v59, 31, v58
	s_delay_alu instid0(VALU_DEP_1)
	v_lshl_add_u64 v[66:67], v[58:59], 2, v[4:5]
	s_clause 0x1
	global_load_b32 v59, v[66:67], off
	global_load_b32 v64, v[4:5], off offset:20
	s_wait_loadcnt 0x1
	global_store_b32 v[4:5], v59, off offset:20
	s_wait_loadcnt 0x0
	global_store_b32 v[66:67], v64, off
.LBB50_119:
	s_wait_xcnt 0x0
	s_or_b32 exec_lo, exec_lo, s12
	v_dual_mov_b32 v66, v58 :: v_dual_mov_b32 v64, v58
.LBB50_120:
	s_or_b32 exec_lo, exec_lo, s1
.LBB50_121:
	s_and_not1_saveexec_b32 s0, s0
	s_cbranch_execz .LBB50_123
; %bb.122:
	v_dual_mov_b32 v58, v22 :: v_dual_mov_b32 v59, v23
	v_dual_mov_b32 v66, v16 :: v_dual_mov_b32 v67, v17
	ds_store_2addr_b64 v62, v[58:59], v[66:67] offset0:6 offset1:7
	v_dual_mov_b32 v58, v40 :: v_dual_mov_b32 v59, v41
	v_dual_mov_b32 v66, v8 :: v_dual_mov_b32 v67, v9
	ds_store_2addr_b64 v62, v[58:59], v[66:67] offset0:8 offset1:9
	;; [unrolled: 3-line block ×9, first 2 shown]
	v_dual_mov_b32 v58, v32 :: v_dual_mov_b32 v59, v33
	v_mov_b32_e32 v66, 5
	ds_store_2addr_b64 v62, v[58:59], v[56:57] offset0:24 offset1:25
.LBB50_123:
	s_or_b32 exec_lo, exec_lo, s0
	s_delay_alu instid0(SALU_CYCLE_1)
	s_mov_b32 s0, exec_lo
	s_wait_storecnt_dscnt 0x0
	s_barrier_signal -1
	s_barrier_wait -1
	v_cmpx_lt_i32_e32 5, v66
	s_cbranch_execz .LBB50_125
; %bb.124:
	v_pk_mul_f32 v[68:69], v[60:61], v[18:19] op_sel:[1,1] op_sel_hi:[0,1]
	s_delay_alu instid0(VALU_DEP_1)
	v_pk_fma_f32 v[58:59], v[60:61], v[18:19], v[68:69] op_sel_hi:[1,0,1] neg_lo:[0,0,1] neg_hi:[0,0,1]
	v_pk_fma_f32 v[60:61], v[60:61], v[18:19], v[68:69] op_sel_hi:[1,0,1]
	ds_load_2addr_b64 v[68:71], v62 offset0:6 offset1:7
	v_dual_mov_b32 v18, v58 :: v_dual_mov_b32 v19, v61
	s_wait_dscnt 0x0
	v_pk_mul_f32 v[72:73], v[68:69], v[60:61] op_sel:[0,1]
	s_delay_alu instid0(VALU_DEP_1) | instskip(SKIP_1) | instid1(VALU_DEP_1)
	v_pk_fma_f32 v[74:75], v[68:69], v[58:59], v[72:73] op_sel:[0,0,1] op_sel_hi:[1,1,0] neg_lo:[0,0,1] neg_hi:[0,0,1]
	v_pk_fma_f32 v[68:69], v[68:69], v[58:59], v[72:73] op_sel:[0,0,1] op_sel_hi:[1,0,0]
	v_mov_b32_e32 v75, v69
	v_pk_mul_f32 v[68:69], v[70:71], v[60:61] op_sel:[0,1]
	s_delay_alu instid0(VALU_DEP_1) | instskip(SKIP_1) | instid1(VALU_DEP_1)
	v_pk_fma_f32 v[72:73], v[70:71], v[58:59], v[68:69] op_sel:[0,0,1] op_sel_hi:[1,1,0] neg_lo:[0,0,1] neg_hi:[0,0,1]
	v_pk_fma_f32 v[68:69], v[70:71], v[58:59], v[68:69] op_sel:[0,0,1] op_sel_hi:[1,0,0]
	v_mov_b32_e32 v73, v69
	ds_load_2addr_b64 v[68:71], v62 offset0:8 offset1:9
	v_pk_add_f32 v[22:23], v[22:23], v[74:75] neg_lo:[0,1] neg_hi:[0,1]
	v_pk_add_f32 v[16:17], v[16:17], v[72:73] neg_lo:[0,1] neg_hi:[0,1]
	s_wait_dscnt 0x0
	v_pk_mul_f32 v[72:73], v[68:69], v[60:61] op_sel:[0,1]
	s_delay_alu instid0(VALU_DEP_1) | instskip(SKIP_2) | instid1(VALU_DEP_2)
	v_pk_fma_f32 v[74:75], v[68:69], v[58:59], v[72:73] op_sel:[0,0,1] op_sel_hi:[1,1,0] neg_lo:[0,0,1] neg_hi:[0,0,1]
	v_pk_fma_f32 v[68:69], v[68:69], v[58:59], v[72:73] op_sel:[0,0,1] op_sel_hi:[1,0,0]
	v_dual_mul_f32 v72, v71, v61 :: v_dual_mov_b32 v68, v71
	v_dual_mov_b32 v75, v69 :: v_dual_mov_b32 v69, v70
	s_delay_alu instid0(VALU_DEP_2) | instskip(SKIP_1) | instid1(VALU_DEP_3)
	v_pk_fma_f32 v[72:73], v[70:71], v[18:19], v[72:73] op_sel_hi:[1,1,0] neg_lo:[0,0,1] neg_hi:[0,0,1]
	v_mul_f32_e32 v70, v71, v58
	v_pk_add_f32 v[40:41], v[40:41], v[74:75] neg_lo:[0,1] neg_hi:[0,1]
	s_delay_alu instid0(VALU_DEP_2) | instskip(NEXT) | instid1(VALU_DEP_1)
	v_pk_fma_f32 v[68:69], v[68:69], v[18:19], v[70:71] op_sel_hi:[1,1,0]
	v_mov_b32_e32 v73, v69
	ds_load_2addr_b64 v[68:71], v62 offset0:10 offset1:11
	v_pk_add_f32 v[8:9], v[8:9], v[72:73] neg_lo:[0,1] neg_hi:[0,1]
	s_wait_dscnt 0x0
	v_pk_mul_f32 v[72:73], v[68:69], v[60:61] op_sel:[0,1]
	s_delay_alu instid0(VALU_DEP_1) | instskip(SKIP_1) | instid1(VALU_DEP_1)
	v_pk_fma_f32 v[74:75], v[68:69], v[58:59], v[72:73] op_sel:[0,0,1] op_sel_hi:[1,1,0] neg_lo:[0,0,1] neg_hi:[0,0,1]
	v_pk_fma_f32 v[68:69], v[68:69], v[58:59], v[72:73] op_sel:[0,0,1] op_sel_hi:[1,0,0]
	v_mov_b32_e32 v75, v69
	v_pk_mul_f32 v[68:69], v[70:71], v[60:61] op_sel:[0,1]
	s_delay_alu instid0(VALU_DEP_1) | instskip(SKIP_1) | instid1(VALU_DEP_1)
	v_pk_fma_f32 v[72:73], v[70:71], v[58:59], v[68:69] op_sel:[0,0,1] op_sel_hi:[1,1,0] neg_lo:[0,0,1] neg_hi:[0,0,1]
	v_pk_fma_f32 v[68:69], v[70:71], v[58:59], v[68:69] op_sel:[0,0,1] op_sel_hi:[1,0,0]
	v_mov_b32_e32 v73, v69
	ds_load_2addr_b64 v[68:71], v62 offset0:12 offset1:13
	v_pk_add_f32 v[10:11], v[10:11], v[74:75] neg_lo:[0,1] neg_hi:[0,1]
	v_pk_add_f32 v[6:7], v[6:7], v[72:73] neg_lo:[0,1] neg_hi:[0,1]
	s_wait_dscnt 0x0
	v_pk_mul_f32 v[72:73], v[68:69], v[60:61] op_sel:[0,1]
	s_delay_alu instid0(VALU_DEP_1) | instskip(SKIP_1) | instid1(VALU_DEP_1)
	v_pk_fma_f32 v[74:75], v[68:69], v[58:59], v[72:73] op_sel:[0,0,1] op_sel_hi:[1,1,0] neg_lo:[0,0,1] neg_hi:[0,0,1]
	v_pk_fma_f32 v[68:69], v[68:69], v[58:59], v[72:73] op_sel:[0,0,1] op_sel_hi:[1,0,0]
	v_mov_b32_e32 v75, v69
	v_pk_mul_f32 v[68:69], v[70:71], v[60:61] op_sel:[0,1]
	s_delay_alu instid0(VALU_DEP_1) | instskip(SKIP_1) | instid1(VALU_DEP_1)
	v_pk_fma_f32 v[72:73], v[70:71], v[58:59], v[68:69] op_sel:[0,0,1] op_sel_hi:[1,1,0] neg_lo:[0,0,1] neg_hi:[0,0,1]
	v_pk_fma_f32 v[68:69], v[70:71], v[58:59], v[68:69] op_sel:[0,0,1] op_sel_hi:[1,0,0]
	v_mov_b32_e32 v73, v69
	ds_load_2addr_b64 v[68:71], v62 offset0:14 offset1:15
	v_pk_add_f32 v[42:43], v[42:43], v[74:75] neg_lo:[0,1] neg_hi:[0,1]
	v_pk_add_f32 v[14:15], v[14:15], v[72:73] neg_lo:[0,1] neg_hi:[0,1]
	s_wait_dscnt 0x0
	v_dual_mul_f32 v72, v69, v61 :: v_dual_mul_f32 v74, v69, v58
	s_delay_alu instid0(VALU_DEP_1) | instskip(NEXT) | instid1(VALU_DEP_2)
	v_pk_fma_f32 v[72:73], v[68:69], v[18:19], v[72:73] op_sel_hi:[1,1,0] neg_lo:[0,0,1] neg_hi:[0,0,1]
	v_pk_fma_f32 v[68:69], v[68:69], v[18:19], v[74:75] op_sel:[1,0,0] op_sel_hi:[0,1,0]
	s_delay_alu instid0(VALU_DEP_1) | instskip(SKIP_1) | instid1(VALU_DEP_2)
	v_mov_b32_e32 v73, v69
	v_pk_mul_f32 v[68:69], v[70:71], v[60:61] op_sel:[0,1]
	v_pk_add_f32 v[20:21], v[20:21], v[72:73] neg_lo:[0,1] neg_hi:[0,1]
	s_delay_alu instid0(VALU_DEP_2) | instskip(SKIP_1) | instid1(VALU_DEP_1)
	v_pk_fma_f32 v[72:73], v[70:71], v[58:59], v[68:69] op_sel:[0,0,1] op_sel_hi:[1,1,0] neg_lo:[0,0,1] neg_hi:[0,0,1]
	v_pk_fma_f32 v[68:69], v[70:71], v[58:59], v[68:69] op_sel:[0,0,1] op_sel_hi:[1,0,0]
	v_mov_b32_e32 v73, v69
	ds_load_2addr_b64 v[68:71], v62 offset0:16 offset1:17
	v_pk_add_f32 v[12:13], v[12:13], v[72:73] neg_lo:[0,1] neg_hi:[0,1]
	s_wait_dscnt 0x0
	v_pk_mul_f32 v[72:73], v[68:69], v[60:61] op_sel:[0,1]
	s_delay_alu instid0(VALU_DEP_1) | instskip(SKIP_1) | instid1(VALU_DEP_1)
	v_pk_fma_f32 v[74:75], v[68:69], v[58:59], v[72:73] op_sel:[0,0,1] op_sel_hi:[1,1,0] neg_lo:[0,0,1] neg_hi:[0,0,1]
	v_pk_fma_f32 v[68:69], v[68:69], v[58:59], v[72:73] op_sel:[0,0,1] op_sel_hi:[1,0,0]
	v_mov_b32_e32 v75, v69
	v_pk_mul_f32 v[68:69], v[70:71], v[60:61] op_sel:[0,1]
	s_delay_alu instid0(VALU_DEP_2) | instskip(NEXT) | instid1(VALU_DEP_2)
	v_pk_add_f32 v[46:47], v[46:47], v[74:75] neg_lo:[0,1] neg_hi:[0,1]
	v_pk_fma_f32 v[72:73], v[70:71], v[58:59], v[68:69] op_sel:[0,0,1] op_sel_hi:[1,1,0] neg_lo:[0,0,1] neg_hi:[0,0,1]
	v_pk_fma_f32 v[68:69], v[70:71], v[58:59], v[68:69] op_sel:[0,0,1] op_sel_hi:[1,0,0]
	s_delay_alu instid0(VALU_DEP_1) | instskip(SKIP_4) | instid1(VALU_DEP_1)
	v_mov_b32_e32 v73, v69
	ds_load_2addr_b64 v[68:71], v62 offset0:18 offset1:19
	v_pk_add_f32 v[26:27], v[26:27], v[72:73] neg_lo:[0,1] neg_hi:[0,1]
	s_wait_dscnt 0x0
	v_pk_mul_f32 v[72:73], v[68:69], v[60:61] op_sel:[0,1]
	v_pk_fma_f32 v[74:75], v[68:69], v[58:59], v[72:73] op_sel:[0,0,1] op_sel_hi:[1,1,0] neg_lo:[0,0,1] neg_hi:[0,0,1]
	v_pk_fma_f32 v[68:69], v[68:69], v[58:59], v[72:73] op_sel:[0,0,1] op_sel_hi:[1,0,0]
	v_dual_mul_f32 v72, v71, v61 :: v_dual_mov_b32 v68, v71
	s_delay_alu instid0(VALU_DEP_2) | instskip(NEXT) | instid1(VALU_DEP_2)
	v_dual_mov_b32 v75, v69 :: v_dual_mov_b32 v69, v70
	v_pk_fma_f32 v[72:73], v[70:71], v[18:19], v[72:73] op_sel_hi:[1,1,0] neg_lo:[0,0,1] neg_hi:[0,0,1]
	v_mul_f32_e32 v70, v71, v58
	s_delay_alu instid0(VALU_DEP_3) | instskip(NEXT) | instid1(VALU_DEP_2)
	v_pk_add_f32 v[28:29], v[28:29], v[74:75] neg_lo:[0,1] neg_hi:[0,1]
	v_pk_fma_f32 v[68:69], v[68:69], v[18:19], v[70:71] op_sel_hi:[1,1,0]
	s_delay_alu instid0(VALU_DEP_1) | instskip(SKIP_4) | instid1(VALU_DEP_1)
	v_mov_b32_e32 v73, v69
	ds_load_2addr_b64 v[68:71], v62 offset0:20 offset1:21
	v_pk_add_f32 v[24:25], v[24:25], v[72:73] neg_lo:[0,1] neg_hi:[0,1]
	s_wait_dscnt 0x0
	v_pk_mul_f32 v[72:73], v[68:69], v[60:61] op_sel:[0,1]
	v_pk_fma_f32 v[74:75], v[68:69], v[58:59], v[72:73] op_sel:[0,0,1] op_sel_hi:[1,1,0] neg_lo:[0,0,1] neg_hi:[0,0,1]
	v_pk_fma_f32 v[68:69], v[68:69], v[58:59], v[72:73] op_sel:[0,0,1] op_sel_hi:[1,0,0]
	s_delay_alu instid0(VALU_DEP_1) | instskip(SKIP_1) | instid1(VALU_DEP_1)
	v_mov_b32_e32 v75, v69
	v_pk_mul_f32 v[68:69], v[70:71], v[60:61] op_sel:[0,1]
	v_pk_fma_f32 v[72:73], v[70:71], v[58:59], v[68:69] op_sel:[0,0,1] op_sel_hi:[1,1,0] neg_lo:[0,0,1] neg_hi:[0,0,1]
	v_pk_fma_f32 v[68:69], v[70:71], v[58:59], v[68:69] op_sel:[0,0,1] op_sel_hi:[1,0,0]
	s_delay_alu instid0(VALU_DEP_1)
	v_mov_b32_e32 v73, v69
	ds_load_2addr_b64 v[68:71], v62 offset0:22 offset1:23
	v_pk_add_f32 v[38:39], v[38:39], v[74:75] neg_lo:[0,1] neg_hi:[0,1]
	v_pk_add_f32 v[30:31], v[30:31], v[72:73] neg_lo:[0,1] neg_hi:[0,1]
	s_wait_dscnt 0x0
	v_pk_mul_f32 v[72:73], v[68:69], v[60:61] op_sel:[0,1]
	s_delay_alu instid0(VALU_DEP_1) | instskip(SKIP_1) | instid1(VALU_DEP_1)
	v_pk_fma_f32 v[74:75], v[68:69], v[58:59], v[72:73] op_sel:[0,0,1] op_sel_hi:[1,1,0] neg_lo:[0,0,1] neg_hi:[0,0,1]
	v_pk_fma_f32 v[68:69], v[68:69], v[58:59], v[72:73] op_sel:[0,0,1] op_sel_hi:[1,0,0]
	v_mov_b32_e32 v75, v69
	v_pk_mul_f32 v[68:69], v[70:71], v[60:61] op_sel:[0,1]
	s_delay_alu instid0(VALU_DEP_1) | instskip(SKIP_1) | instid1(VALU_DEP_1)
	v_pk_fma_f32 v[72:73], v[70:71], v[58:59], v[68:69] op_sel:[0,0,1] op_sel_hi:[1,1,0] neg_lo:[0,0,1] neg_hi:[0,0,1]
	v_pk_fma_f32 v[68:69], v[70:71], v[58:59], v[68:69] op_sel:[0,0,1] op_sel_hi:[1,0,0]
	v_mov_b32_e32 v73, v69
	ds_load_2addr_b64 v[68:71], v62 offset0:24 offset1:25
	v_pk_add_f32 v[36:37], v[36:37], v[74:75] neg_lo:[0,1] neg_hi:[0,1]
	v_pk_add_f32 v[34:35], v[34:35], v[72:73] neg_lo:[0,1] neg_hi:[0,1]
	s_wait_dscnt 0x0
	v_dual_mul_f32 v72, v69, v61 :: v_dual_mul_f32 v74, v69, v58
	v_pk_mul_f32 v[60:61], v[70:71], v[60:61] op_sel:[0,1]
	s_delay_alu instid0(VALU_DEP_2) | instskip(NEXT) | instid1(VALU_DEP_3)
	v_pk_fma_f32 v[72:73], v[68:69], v[18:19], v[72:73] op_sel_hi:[1,1,0] neg_lo:[0,0,1] neg_hi:[0,0,1]
	v_pk_fma_f32 v[68:69], v[68:69], v[18:19], v[74:75] op_sel:[1,0,0] op_sel_hi:[0,1,0]
	s_delay_alu instid0(VALU_DEP_1) | instskip(NEXT) | instid1(VALU_DEP_4)
	v_mov_b32_e32 v73, v69
	v_pk_fma_f32 v[68:69], v[70:71], v[58:59], v[60:61] op_sel:[0,0,1] op_sel_hi:[1,1,0] neg_lo:[0,0,1] neg_hi:[0,0,1]
	v_pk_fma_f32 v[58:59], v[70:71], v[58:59], v[60:61] op_sel:[0,0,1] op_sel_hi:[1,0,0]
	s_delay_alu instid0(VALU_DEP_1) | instskip(NEXT) | instid1(VALU_DEP_4)
	v_mov_b32_e32 v69, v59
	v_pk_add_f32 v[32:33], v[32:33], v[72:73] neg_lo:[0,1] neg_hi:[0,1]
	s_delay_alu instid0(VALU_DEP_2)
	v_pk_add_f32 v[56:57], v[56:57], v[68:69] neg_lo:[0,1] neg_hi:[0,1]
.LBB50_125:
	s_or_b32 exec_lo, exec_lo, s0
	v_lshl_add_u32 v58, v66, 3, v62
	s_barrier_signal -1
	s_barrier_wait -1
	ds_store_b64 v58, v[22:23]
	s_wait_dscnt 0x0
	s_barrier_signal -1
	s_barrier_wait -1
	ds_load_b64 v[60:61], v62 offset:48
	v_mov_b32_e32 v58, 6
	s_cmp_lt_i32 s18, 8
	s_cbranch_scc1 .LBB50_128
; %bb.126:
	v_add3_u32 v59, v63, 0, 56
	v_mov_b32_e32 v58, 6
	s_mov_b32 s0, 7
.LBB50_127:                             ; =>This Inner Loop Header: Depth=1
	ds_load_b64 v[68:69], v59
	s_wait_dscnt 0x1
	v_cmp_gt_f32_e32 vcc_lo, 0, v60
	v_cndmask_b32_e64 v70, v60, -v60, vcc_lo
	v_cmp_gt_f32_e32 vcc_lo, 0, v61
	v_cndmask_b32_e64 v72, v61, -v61, vcc_lo
	s_wait_dscnt 0x0
	v_cmp_gt_f32_e32 vcc_lo, 0, v68
	v_cndmask_b32_e64 v71, v68, -v68, vcc_lo
	v_cmp_gt_f32_e32 vcc_lo, 0, v69
	v_cndmask_b32_e64 v73, v69, -v69, vcc_lo
	s_delay_alu instid0(VALU_DEP_1) | instskip(NEXT) | instid1(VALU_DEP_1)
	v_pk_add_f32 v[70:71], v[70:71], v[72:73]
	v_cmp_lt_f32_e32 vcc_lo, v70, v71
	v_dual_add_nc_u32 v59, 8, v59 :: v_dual_cndmask_b32 v61, v61, v69, vcc_lo
	v_cndmask_b32_e32 v60, v60, v68, vcc_lo
	v_cndmask_b32_e64 v58, v58, s0, vcc_lo
	s_add_co_i32 s0, s0, 1
	s_delay_alu instid0(SALU_CYCLE_1)
	s_cmp_lg_u32 s18, s0
	s_cbranch_scc1 .LBB50_127
.LBB50_128:
	s_wait_dscnt 0x0
	v_cmp_eq_f32_e32 vcc_lo, 0, v60
	v_cmp_eq_f32_e64 s0, 0, v61
	s_and_b32 s0, vcc_lo, s0
	s_delay_alu instid0(SALU_CYCLE_1) | instskip(NEXT) | instid1(SALU_CYCLE_1)
	s_and_saveexec_b32 s1, s0
	s_xor_b32 s0, exec_lo, s1
; %bb.129:
	v_cmp_ne_u32_e32 vcc_lo, 0, v65
	v_cndmask_b32_e32 v65, 7, v65, vcc_lo
; %bb.130:
	s_and_not1_saveexec_b32 s0, s0
	s_cbranch_execz .LBB50_136
; %bb.131:
	v_cmp_ngt_f32_e64 s1, |v60|, |v61|
	s_and_saveexec_b32 s12, s1
	s_delay_alu instid0(SALU_CYCLE_1)
	s_xor_b32 s1, exec_lo, s12
	s_cbranch_execz .LBB50_133
; %bb.132:
	v_div_scale_f32 v59, null, v61, v61, v60
	v_div_scale_f32 v69, vcc_lo, v60, v61, v60
	s_delay_alu instid0(VALU_DEP_2) | instskip(SKIP_1) | instid1(TRANS32_DEP_1)
	v_rcp_f32_e32 v67, v59
	v_nop
	v_fma_f32 v68, -v59, v67, 1.0
	s_delay_alu instid0(VALU_DEP_1) | instskip(NEXT) | instid1(VALU_DEP_1)
	v_fmac_f32_e32 v67, v68, v67
	v_mul_f32_e32 v68, v69, v67
	s_delay_alu instid0(VALU_DEP_1) | instskip(NEXT) | instid1(VALU_DEP_1)
	v_fma_f32 v70, -v59, v68, v69
	v_fmac_f32_e32 v68, v70, v67
	s_delay_alu instid0(VALU_DEP_1) | instskip(NEXT) | instid1(VALU_DEP_1)
	v_fma_f32 v59, -v59, v68, v69
	v_div_fmas_f32 v59, v59, v67, v68
	s_delay_alu instid0(VALU_DEP_1) | instskip(NEXT) | instid1(VALU_DEP_1)
	v_div_fixup_f32 v59, v59, v61, v60
	v_fmac_f32_e32 v61, v60, v59
	s_delay_alu instid0(VALU_DEP_1) | instskip(SKIP_1) | instid1(VALU_DEP_2)
	v_div_scale_f32 v60, null, v61, v61, 1.0
	v_div_scale_f32 v69, vcc_lo, 1.0, v61, 1.0
	v_rcp_f32_e32 v67, v60
	v_nop
	s_delay_alu instid0(TRANS32_DEP_1) | instskip(NEXT) | instid1(VALU_DEP_1)
	v_fma_f32 v68, -v60, v67, 1.0
	v_fmac_f32_e32 v67, v68, v67
	s_delay_alu instid0(VALU_DEP_1) | instskip(NEXT) | instid1(VALU_DEP_1)
	v_mul_f32_e32 v68, v69, v67
	v_fma_f32 v70, -v60, v68, v69
	s_delay_alu instid0(VALU_DEP_1) | instskip(NEXT) | instid1(VALU_DEP_1)
	v_fmac_f32_e32 v68, v70, v67
	v_fma_f32 v60, -v60, v68, v69
	s_delay_alu instid0(VALU_DEP_1) | instskip(NEXT) | instid1(VALU_DEP_1)
	v_div_fmas_f32 v60, v60, v67, v68
	v_div_fixup_f32 v61, v60, v61, 1.0
	s_delay_alu instid0(VALU_DEP_1)
	v_mul_f32_e32 v60, v59, v61
	v_xor_b32_e32 v61, 0x80000000, v61
.LBB50_133:
	s_and_not1_saveexec_b32 s1, s1
	s_cbranch_execz .LBB50_135
; %bb.134:
	s_delay_alu instid0(VALU_DEP_1) | instskip(SKIP_1) | instid1(VALU_DEP_2)
	v_div_scale_f32 v59, null, v60, v60, v61
	v_div_scale_f32 v69, vcc_lo, v61, v60, v61
	v_rcp_f32_e32 v67, v59
	v_nop
	s_delay_alu instid0(TRANS32_DEP_1) | instskip(NEXT) | instid1(VALU_DEP_1)
	v_fma_f32 v68, -v59, v67, 1.0
	v_fmac_f32_e32 v67, v68, v67
	s_delay_alu instid0(VALU_DEP_1) | instskip(NEXT) | instid1(VALU_DEP_1)
	v_mul_f32_e32 v68, v69, v67
	v_fma_f32 v70, -v59, v68, v69
	s_delay_alu instid0(VALU_DEP_1) | instskip(NEXT) | instid1(VALU_DEP_1)
	v_fmac_f32_e32 v68, v70, v67
	v_fma_f32 v59, -v59, v68, v69
	s_delay_alu instid0(VALU_DEP_1) | instskip(NEXT) | instid1(VALU_DEP_1)
	v_div_fmas_f32 v59, v59, v67, v68
	v_div_fixup_f32 v59, v59, v60, v61
	s_delay_alu instid0(VALU_DEP_1) | instskip(NEXT) | instid1(VALU_DEP_1)
	v_fmac_f32_e32 v60, v61, v59
	v_div_scale_f32 v61, null, v60, v60, 1.0
	s_delay_alu instid0(VALU_DEP_1) | instskip(SKIP_1) | instid1(TRANS32_DEP_1)
	v_rcp_f32_e32 v67, v61
	v_nop
	v_fma_f32 v68, -v61, v67, 1.0
	s_delay_alu instid0(VALU_DEP_1) | instskip(SKIP_1) | instid1(VALU_DEP_1)
	v_fmac_f32_e32 v67, v68, v67
	v_div_scale_f32 v68, vcc_lo, 1.0, v60, 1.0
	v_mul_f32_e32 v69, v68, v67
	s_delay_alu instid0(VALU_DEP_1) | instskip(NEXT) | instid1(VALU_DEP_1)
	v_fma_f32 v70, -v61, v69, v68
	v_fmac_f32_e32 v69, v70, v67
	s_delay_alu instid0(VALU_DEP_1) | instskip(NEXT) | instid1(VALU_DEP_1)
	v_fma_f32 v61, -v61, v69, v68
	v_div_fmas_f32 v61, v61, v67, v69
	s_delay_alu instid0(VALU_DEP_1) | instskip(NEXT) | instid1(VALU_DEP_1)
	v_div_fixup_f32 v60, v61, v60, 1.0
	v_mul_f32_e64 v61, v59, -v60
.LBB50_135:
	s_or_b32 exec_lo, exec_lo, s1
.LBB50_136:
	s_delay_alu instid0(SALU_CYCLE_1) | instskip(NEXT) | instid1(SALU_CYCLE_1)
	s_or_b32 exec_lo, exec_lo, s0
	s_mov_b32 s0, exec_lo
	v_cmpx_ne_u32_e64 v66, v58
	s_xor_b32 s0, exec_lo, s0
	s_cbranch_execz .LBB50_142
; %bb.137:
	s_mov_b32 s1, exec_lo
	v_cmpx_eq_u32_e32 6, v66
	s_cbranch_execz .LBB50_141
; %bb.138:
	v_cmp_ne_u32_e32 vcc_lo, 6, v58
	s_xor_b32 s12, s16, -1
	s_delay_alu instid0(SALU_CYCLE_1) | instskip(NEXT) | instid1(SALU_CYCLE_1)
	s_and_b32 s13, s12, vcc_lo
	s_and_saveexec_b32 s12, s13
	s_cbranch_execz .LBB50_140
; %bb.139:
	v_ashrrev_i32_e32 v59, 31, v58
	s_delay_alu instid0(VALU_DEP_1)
	v_lshl_add_u64 v[66:67], v[58:59], 2, v[4:5]
	s_clause 0x1
	global_load_b32 v59, v[66:67], off
	global_load_b32 v64, v[4:5], off offset:24
	s_wait_loadcnt 0x1
	global_store_b32 v[4:5], v59, off offset:24
	s_wait_loadcnt 0x0
	global_store_b32 v[66:67], v64, off
.LBB50_140:
	s_wait_xcnt 0x0
	s_or_b32 exec_lo, exec_lo, s12
	v_dual_mov_b32 v66, v58 :: v_dual_mov_b32 v64, v58
.LBB50_141:
	s_or_b32 exec_lo, exec_lo, s1
.LBB50_142:
	s_and_not1_saveexec_b32 s0, s0
	s_cbranch_execz .LBB50_144
; %bb.143:
	v_mov_b32_e32 v66, 6
	ds_store_2addr_b64 v62, v[16:17], v[40:41] offset0:7 offset1:8
	ds_store_2addr_b64 v62, v[8:9], v[10:11] offset0:9 offset1:10
	;; [unrolled: 1-line block ×9, first 2 shown]
	ds_store_b64 v62, v[56:57] offset:200
.LBB50_144:
	s_or_b32 exec_lo, exec_lo, s0
	s_delay_alu instid0(SALU_CYCLE_1)
	s_mov_b32 s0, exec_lo
	s_wait_storecnt_dscnt 0x0
	s_barrier_signal -1
	s_barrier_wait -1
	v_cmpx_lt_i32_e32 6, v66
	s_cbranch_execz .LBB50_146
; %bb.145:
	v_pk_mul_f32 v[68:69], v[60:61], v[22:23] op_sel:[1,1] op_sel_hi:[0,1]
	s_delay_alu instid0(VALU_DEP_1)
	v_pk_fma_f32 v[58:59], v[60:61], v[22:23], v[68:69] op_sel_hi:[1,0,1] neg_lo:[0,0,1] neg_hi:[0,0,1]
	v_pk_fma_f32 v[60:61], v[60:61], v[22:23], v[68:69] op_sel_hi:[1,0,1]
	ds_load_2addr_b64 v[68:71], v62 offset0:7 offset1:8
	v_dual_mov_b32 v22, v58 :: v_dual_mov_b32 v23, v61
	s_wait_dscnt 0x0
	v_pk_mul_f32 v[72:73], v[68:69], v[60:61] op_sel:[0,1]
	s_delay_alu instid0(VALU_DEP_1) | instskip(SKIP_1) | instid1(VALU_DEP_1)
	v_pk_fma_f32 v[74:75], v[68:69], v[58:59], v[72:73] op_sel:[0,0,1] op_sel_hi:[1,1,0] neg_lo:[0,0,1] neg_hi:[0,0,1]
	v_pk_fma_f32 v[68:69], v[68:69], v[58:59], v[72:73] op_sel:[0,0,1] op_sel_hi:[1,0,0]
	v_mov_b32_e32 v75, v69
	v_pk_mul_f32 v[68:69], v[70:71], v[60:61] op_sel:[0,1]
	s_delay_alu instid0(VALU_DEP_1) | instskip(SKIP_1) | instid1(VALU_DEP_1)
	v_pk_fma_f32 v[72:73], v[70:71], v[58:59], v[68:69] op_sel:[0,0,1] op_sel_hi:[1,1,0] neg_lo:[0,0,1] neg_hi:[0,0,1]
	v_pk_fma_f32 v[68:69], v[70:71], v[58:59], v[68:69] op_sel:[0,0,1] op_sel_hi:[1,0,0]
	v_mov_b32_e32 v73, v69
	ds_load_2addr_b64 v[68:71], v62 offset0:9 offset1:10
	v_pk_add_f32 v[16:17], v[16:17], v[74:75] neg_lo:[0,1] neg_hi:[0,1]
	v_pk_add_f32 v[40:41], v[40:41], v[72:73] neg_lo:[0,1] neg_hi:[0,1]
	s_wait_dscnt 0x0
	v_pk_mul_f32 v[72:73], v[68:69], v[60:61] op_sel:[0,1]
	s_delay_alu instid0(VALU_DEP_1) | instskip(SKIP_2) | instid1(VALU_DEP_2)
	v_pk_fma_f32 v[74:75], v[68:69], v[58:59], v[72:73] op_sel:[0,0,1] op_sel_hi:[1,1,0] neg_lo:[0,0,1] neg_hi:[0,0,1]
	v_pk_fma_f32 v[68:69], v[68:69], v[58:59], v[72:73] op_sel:[0,0,1] op_sel_hi:[1,0,0]
	v_dual_mul_f32 v72, v71, v61 :: v_dual_mov_b32 v68, v71
	v_dual_mov_b32 v75, v69 :: v_dual_mov_b32 v69, v70
	s_delay_alu instid0(VALU_DEP_2) | instskip(SKIP_1) | instid1(VALU_DEP_3)
	v_pk_fma_f32 v[72:73], v[70:71], v[22:23], v[72:73] op_sel_hi:[1,1,0] neg_lo:[0,0,1] neg_hi:[0,0,1]
	v_mul_f32_e32 v70, v71, v58
	v_pk_add_f32 v[8:9], v[8:9], v[74:75] neg_lo:[0,1] neg_hi:[0,1]
	s_delay_alu instid0(VALU_DEP_2) | instskip(NEXT) | instid1(VALU_DEP_1)
	v_pk_fma_f32 v[68:69], v[68:69], v[22:23], v[70:71] op_sel_hi:[1,1,0]
	v_mov_b32_e32 v73, v69
	ds_load_2addr_b64 v[68:71], v62 offset0:11 offset1:12
	v_pk_add_f32 v[10:11], v[10:11], v[72:73] neg_lo:[0,1] neg_hi:[0,1]
	s_wait_dscnt 0x0
	v_pk_mul_f32 v[72:73], v[68:69], v[60:61] op_sel:[0,1]
	s_delay_alu instid0(VALU_DEP_1) | instskip(SKIP_1) | instid1(VALU_DEP_1)
	v_pk_fma_f32 v[74:75], v[68:69], v[58:59], v[72:73] op_sel:[0,0,1] op_sel_hi:[1,1,0] neg_lo:[0,0,1] neg_hi:[0,0,1]
	v_pk_fma_f32 v[68:69], v[68:69], v[58:59], v[72:73] op_sel:[0,0,1] op_sel_hi:[1,0,0]
	v_mov_b32_e32 v75, v69
	v_pk_mul_f32 v[68:69], v[70:71], v[60:61] op_sel:[0,1]
	s_delay_alu instid0(VALU_DEP_1) | instskip(SKIP_1) | instid1(VALU_DEP_1)
	v_pk_fma_f32 v[72:73], v[70:71], v[58:59], v[68:69] op_sel:[0,0,1] op_sel_hi:[1,1,0] neg_lo:[0,0,1] neg_hi:[0,0,1]
	v_pk_fma_f32 v[68:69], v[70:71], v[58:59], v[68:69] op_sel:[0,0,1] op_sel_hi:[1,0,0]
	v_mov_b32_e32 v73, v69
	ds_load_2addr_b64 v[68:71], v62 offset0:13 offset1:14
	v_pk_add_f32 v[6:7], v[6:7], v[74:75] neg_lo:[0,1] neg_hi:[0,1]
	v_pk_add_f32 v[42:43], v[42:43], v[72:73] neg_lo:[0,1] neg_hi:[0,1]
	s_wait_dscnt 0x0
	v_pk_mul_f32 v[72:73], v[68:69], v[60:61] op_sel:[0,1]
	s_delay_alu instid0(VALU_DEP_1) | instskip(SKIP_1) | instid1(VALU_DEP_1)
	v_pk_fma_f32 v[74:75], v[68:69], v[58:59], v[72:73] op_sel:[0,0,1] op_sel_hi:[1,1,0] neg_lo:[0,0,1] neg_hi:[0,0,1]
	v_pk_fma_f32 v[68:69], v[68:69], v[58:59], v[72:73] op_sel:[0,0,1] op_sel_hi:[1,0,0]
	v_mov_b32_e32 v75, v69
	v_pk_mul_f32 v[68:69], v[70:71], v[60:61] op_sel:[0,1]
	s_delay_alu instid0(VALU_DEP_1) | instskip(SKIP_1) | instid1(VALU_DEP_1)
	v_pk_fma_f32 v[72:73], v[70:71], v[58:59], v[68:69] op_sel:[0,0,1] op_sel_hi:[1,1,0] neg_lo:[0,0,1] neg_hi:[0,0,1]
	v_pk_fma_f32 v[68:69], v[70:71], v[58:59], v[68:69] op_sel:[0,0,1] op_sel_hi:[1,0,0]
	v_mov_b32_e32 v73, v69
	ds_load_2addr_b64 v[68:71], v62 offset0:15 offset1:16
	v_pk_add_f32 v[14:15], v[14:15], v[74:75] neg_lo:[0,1] neg_hi:[0,1]
	v_pk_add_f32 v[20:21], v[20:21], v[72:73] neg_lo:[0,1] neg_hi:[0,1]
	s_wait_dscnt 0x0
	v_dual_mul_f32 v72, v69, v61 :: v_dual_mul_f32 v74, v69, v58
	s_delay_alu instid0(VALU_DEP_1) | instskip(NEXT) | instid1(VALU_DEP_2)
	v_pk_fma_f32 v[72:73], v[68:69], v[22:23], v[72:73] op_sel_hi:[1,1,0] neg_lo:[0,0,1] neg_hi:[0,0,1]
	v_pk_fma_f32 v[68:69], v[68:69], v[22:23], v[74:75] op_sel:[1,0,0] op_sel_hi:[0,1,0]
	s_delay_alu instid0(VALU_DEP_1) | instskip(SKIP_1) | instid1(VALU_DEP_2)
	v_mov_b32_e32 v73, v69
	v_pk_mul_f32 v[68:69], v[70:71], v[60:61] op_sel:[0,1]
	v_pk_add_f32 v[12:13], v[12:13], v[72:73] neg_lo:[0,1] neg_hi:[0,1]
	s_delay_alu instid0(VALU_DEP_2) | instskip(SKIP_1) | instid1(VALU_DEP_1)
	v_pk_fma_f32 v[72:73], v[70:71], v[58:59], v[68:69] op_sel:[0,0,1] op_sel_hi:[1,1,0] neg_lo:[0,0,1] neg_hi:[0,0,1]
	v_pk_fma_f32 v[68:69], v[70:71], v[58:59], v[68:69] op_sel:[0,0,1] op_sel_hi:[1,0,0]
	v_mov_b32_e32 v73, v69
	ds_load_2addr_b64 v[68:71], v62 offset0:17 offset1:18
	v_pk_add_f32 v[46:47], v[46:47], v[72:73] neg_lo:[0,1] neg_hi:[0,1]
	s_wait_dscnt 0x0
	v_pk_mul_f32 v[72:73], v[68:69], v[60:61] op_sel:[0,1]
	s_delay_alu instid0(VALU_DEP_1) | instskip(SKIP_1) | instid1(VALU_DEP_1)
	v_pk_fma_f32 v[74:75], v[68:69], v[58:59], v[72:73] op_sel:[0,0,1] op_sel_hi:[1,1,0] neg_lo:[0,0,1] neg_hi:[0,0,1]
	v_pk_fma_f32 v[68:69], v[68:69], v[58:59], v[72:73] op_sel:[0,0,1] op_sel_hi:[1,0,0]
	v_mov_b32_e32 v75, v69
	v_pk_mul_f32 v[68:69], v[70:71], v[60:61] op_sel:[0,1]
	s_delay_alu instid0(VALU_DEP_2) | instskip(NEXT) | instid1(VALU_DEP_2)
	v_pk_add_f32 v[26:27], v[26:27], v[74:75] neg_lo:[0,1] neg_hi:[0,1]
	v_pk_fma_f32 v[72:73], v[70:71], v[58:59], v[68:69] op_sel:[0,0,1] op_sel_hi:[1,1,0] neg_lo:[0,0,1] neg_hi:[0,0,1]
	v_pk_fma_f32 v[68:69], v[70:71], v[58:59], v[68:69] op_sel:[0,0,1] op_sel_hi:[1,0,0]
	s_delay_alu instid0(VALU_DEP_1) | instskip(SKIP_4) | instid1(VALU_DEP_1)
	v_mov_b32_e32 v73, v69
	ds_load_2addr_b64 v[68:71], v62 offset0:19 offset1:20
	v_pk_add_f32 v[28:29], v[28:29], v[72:73] neg_lo:[0,1] neg_hi:[0,1]
	s_wait_dscnt 0x0
	v_pk_mul_f32 v[72:73], v[68:69], v[60:61] op_sel:[0,1]
	v_pk_fma_f32 v[74:75], v[68:69], v[58:59], v[72:73] op_sel:[0,0,1] op_sel_hi:[1,1,0] neg_lo:[0,0,1] neg_hi:[0,0,1]
	v_pk_fma_f32 v[68:69], v[68:69], v[58:59], v[72:73] op_sel:[0,0,1] op_sel_hi:[1,0,0]
	v_dual_mul_f32 v72, v71, v61 :: v_dual_mov_b32 v68, v71
	s_delay_alu instid0(VALU_DEP_2) | instskip(NEXT) | instid1(VALU_DEP_2)
	v_dual_mov_b32 v75, v69 :: v_dual_mov_b32 v69, v70
	v_pk_fma_f32 v[72:73], v[70:71], v[22:23], v[72:73] op_sel_hi:[1,1,0] neg_lo:[0,0,1] neg_hi:[0,0,1]
	v_mul_f32_e32 v70, v71, v58
	s_delay_alu instid0(VALU_DEP_3) | instskip(NEXT) | instid1(VALU_DEP_2)
	v_pk_add_f32 v[24:25], v[24:25], v[74:75] neg_lo:[0,1] neg_hi:[0,1]
	v_pk_fma_f32 v[68:69], v[68:69], v[22:23], v[70:71] op_sel_hi:[1,1,0]
	s_delay_alu instid0(VALU_DEP_1) | instskip(SKIP_4) | instid1(VALU_DEP_1)
	v_mov_b32_e32 v73, v69
	ds_load_2addr_b64 v[68:71], v62 offset0:21 offset1:22
	v_pk_add_f32 v[38:39], v[38:39], v[72:73] neg_lo:[0,1] neg_hi:[0,1]
	s_wait_dscnt 0x0
	v_pk_mul_f32 v[72:73], v[68:69], v[60:61] op_sel:[0,1]
	v_pk_fma_f32 v[74:75], v[68:69], v[58:59], v[72:73] op_sel:[0,0,1] op_sel_hi:[1,1,0] neg_lo:[0,0,1] neg_hi:[0,0,1]
	v_pk_fma_f32 v[68:69], v[68:69], v[58:59], v[72:73] op_sel:[0,0,1] op_sel_hi:[1,0,0]
	s_delay_alu instid0(VALU_DEP_1) | instskip(SKIP_1) | instid1(VALU_DEP_1)
	v_mov_b32_e32 v75, v69
	v_pk_mul_f32 v[68:69], v[70:71], v[60:61] op_sel:[0,1]
	v_pk_fma_f32 v[72:73], v[70:71], v[58:59], v[68:69] op_sel:[0,0,1] op_sel_hi:[1,1,0] neg_lo:[0,0,1] neg_hi:[0,0,1]
	v_pk_fma_f32 v[68:69], v[70:71], v[58:59], v[68:69] op_sel:[0,0,1] op_sel_hi:[1,0,0]
	s_delay_alu instid0(VALU_DEP_1)
	v_mov_b32_e32 v73, v69
	ds_load_2addr_b64 v[68:71], v62 offset0:23 offset1:24
	v_pk_add_f32 v[30:31], v[30:31], v[74:75] neg_lo:[0,1] neg_hi:[0,1]
	v_pk_add_f32 v[36:37], v[36:37], v[72:73] neg_lo:[0,1] neg_hi:[0,1]
	s_wait_dscnt 0x0
	v_pk_mul_f32 v[72:73], v[68:69], v[60:61] op_sel:[0,1]
	s_delay_alu instid0(VALU_DEP_1) | instskip(SKIP_1) | instid1(VALU_DEP_1)
	v_pk_fma_f32 v[74:75], v[68:69], v[58:59], v[72:73] op_sel:[0,0,1] op_sel_hi:[1,1,0] neg_lo:[0,0,1] neg_hi:[0,0,1]
	v_pk_fma_f32 v[68:69], v[68:69], v[58:59], v[72:73] op_sel:[0,0,1] op_sel_hi:[1,0,0]
	v_mov_b32_e32 v75, v69
	v_pk_mul_f32 v[68:69], v[70:71], v[60:61] op_sel:[0,1]
	s_delay_alu instid0(VALU_DEP_1) | instskip(SKIP_1) | instid1(VALU_DEP_1)
	v_pk_fma_f32 v[72:73], v[70:71], v[58:59], v[68:69] op_sel:[0,0,1] op_sel_hi:[1,1,0] neg_lo:[0,0,1] neg_hi:[0,0,1]
	v_pk_fma_f32 v[68:69], v[70:71], v[58:59], v[68:69] op_sel:[0,0,1] op_sel_hi:[1,0,0]
	v_mov_b32_e32 v73, v69
	ds_load_b64 v[68:69], v62 offset:200
	v_pk_add_f32 v[34:35], v[34:35], v[74:75] neg_lo:[0,1] neg_hi:[0,1]
	v_pk_add_f32 v[32:33], v[32:33], v[72:73] neg_lo:[0,1] neg_hi:[0,1]
	s_wait_dscnt 0x0
	v_pk_mul_f32 v[60:61], v[68:69], v[60:61] op_sel:[0,1]
	s_delay_alu instid0(VALU_DEP_1) | instskip(SKIP_1) | instid1(VALU_DEP_1)
	v_pk_fma_f32 v[70:71], v[68:69], v[58:59], v[60:61] op_sel:[0,0,1] op_sel_hi:[1,1,0] neg_lo:[0,0,1] neg_hi:[0,0,1]
	v_pk_fma_f32 v[58:59], v[68:69], v[58:59], v[60:61] op_sel:[0,0,1] op_sel_hi:[1,0,0]
	v_mov_b32_e32 v71, v59
	s_delay_alu instid0(VALU_DEP_1)
	v_pk_add_f32 v[56:57], v[56:57], v[70:71] neg_lo:[0,1] neg_hi:[0,1]
.LBB50_146:
	s_or_b32 exec_lo, exec_lo, s0
	v_lshl_add_u32 v58, v66, 3, v62
	s_barrier_signal -1
	s_barrier_wait -1
	ds_store_b64 v58, v[16:17]
	s_wait_dscnt 0x0
	s_barrier_signal -1
	s_barrier_wait -1
	ds_load_b64 v[60:61], v62 offset:56
	v_mov_b32_e32 v58, 7
	s_cmp_lt_i32 s18, 9
	s_cbranch_scc1 .LBB50_149
; %bb.147:
	v_add3_u32 v59, v63, 0, 64
	v_mov_b32_e32 v58, 7
	s_mov_b32 s0, 8
.LBB50_148:                             ; =>This Inner Loop Header: Depth=1
	ds_load_b64 v[68:69], v59
	s_wait_dscnt 0x1
	v_cmp_gt_f32_e32 vcc_lo, 0, v60
	v_cndmask_b32_e64 v70, v60, -v60, vcc_lo
	v_cmp_gt_f32_e32 vcc_lo, 0, v61
	v_cndmask_b32_e64 v72, v61, -v61, vcc_lo
	s_wait_dscnt 0x0
	v_cmp_gt_f32_e32 vcc_lo, 0, v68
	v_cndmask_b32_e64 v71, v68, -v68, vcc_lo
	v_cmp_gt_f32_e32 vcc_lo, 0, v69
	v_cndmask_b32_e64 v73, v69, -v69, vcc_lo
	s_delay_alu instid0(VALU_DEP_1) | instskip(NEXT) | instid1(VALU_DEP_1)
	v_pk_add_f32 v[70:71], v[70:71], v[72:73]
	v_cmp_lt_f32_e32 vcc_lo, v70, v71
	v_dual_add_nc_u32 v59, 8, v59 :: v_dual_cndmask_b32 v61, v61, v69, vcc_lo
	v_cndmask_b32_e32 v60, v60, v68, vcc_lo
	v_cndmask_b32_e64 v58, v58, s0, vcc_lo
	s_add_co_i32 s0, s0, 1
	s_delay_alu instid0(SALU_CYCLE_1)
	s_cmp_lg_u32 s18, s0
	s_cbranch_scc1 .LBB50_148
.LBB50_149:
	s_wait_dscnt 0x0
	v_cmp_eq_f32_e32 vcc_lo, 0, v60
	v_cmp_eq_f32_e64 s0, 0, v61
	s_and_b32 s0, vcc_lo, s0
	s_delay_alu instid0(SALU_CYCLE_1) | instskip(NEXT) | instid1(SALU_CYCLE_1)
	s_and_saveexec_b32 s1, s0
	s_xor_b32 s0, exec_lo, s1
; %bb.150:
	v_cmp_ne_u32_e32 vcc_lo, 0, v65
	v_cndmask_b32_e32 v65, 8, v65, vcc_lo
; %bb.151:
	s_and_not1_saveexec_b32 s0, s0
	s_cbranch_execz .LBB50_157
; %bb.152:
	v_cmp_ngt_f32_e64 s1, |v60|, |v61|
	s_and_saveexec_b32 s12, s1
	s_delay_alu instid0(SALU_CYCLE_1)
	s_xor_b32 s1, exec_lo, s12
	s_cbranch_execz .LBB50_154
; %bb.153:
	v_div_scale_f32 v59, null, v61, v61, v60
	v_div_scale_f32 v69, vcc_lo, v60, v61, v60
	s_delay_alu instid0(VALU_DEP_2) | instskip(SKIP_1) | instid1(TRANS32_DEP_1)
	v_rcp_f32_e32 v67, v59
	v_nop
	v_fma_f32 v68, -v59, v67, 1.0
	s_delay_alu instid0(VALU_DEP_1) | instskip(NEXT) | instid1(VALU_DEP_1)
	v_fmac_f32_e32 v67, v68, v67
	v_mul_f32_e32 v68, v69, v67
	s_delay_alu instid0(VALU_DEP_1) | instskip(NEXT) | instid1(VALU_DEP_1)
	v_fma_f32 v70, -v59, v68, v69
	v_fmac_f32_e32 v68, v70, v67
	s_delay_alu instid0(VALU_DEP_1) | instskip(NEXT) | instid1(VALU_DEP_1)
	v_fma_f32 v59, -v59, v68, v69
	v_div_fmas_f32 v59, v59, v67, v68
	s_delay_alu instid0(VALU_DEP_1) | instskip(NEXT) | instid1(VALU_DEP_1)
	v_div_fixup_f32 v59, v59, v61, v60
	v_fmac_f32_e32 v61, v60, v59
	s_delay_alu instid0(VALU_DEP_1) | instskip(SKIP_1) | instid1(VALU_DEP_2)
	v_div_scale_f32 v60, null, v61, v61, 1.0
	v_div_scale_f32 v69, vcc_lo, 1.0, v61, 1.0
	v_rcp_f32_e32 v67, v60
	v_nop
	s_delay_alu instid0(TRANS32_DEP_1) | instskip(NEXT) | instid1(VALU_DEP_1)
	v_fma_f32 v68, -v60, v67, 1.0
	v_fmac_f32_e32 v67, v68, v67
	s_delay_alu instid0(VALU_DEP_1) | instskip(NEXT) | instid1(VALU_DEP_1)
	v_mul_f32_e32 v68, v69, v67
	v_fma_f32 v70, -v60, v68, v69
	s_delay_alu instid0(VALU_DEP_1) | instskip(NEXT) | instid1(VALU_DEP_1)
	v_fmac_f32_e32 v68, v70, v67
	v_fma_f32 v60, -v60, v68, v69
	s_delay_alu instid0(VALU_DEP_1) | instskip(NEXT) | instid1(VALU_DEP_1)
	v_div_fmas_f32 v60, v60, v67, v68
	v_div_fixup_f32 v61, v60, v61, 1.0
	s_delay_alu instid0(VALU_DEP_1)
	v_mul_f32_e32 v60, v59, v61
	v_xor_b32_e32 v61, 0x80000000, v61
.LBB50_154:
	s_and_not1_saveexec_b32 s1, s1
	s_cbranch_execz .LBB50_156
; %bb.155:
	s_delay_alu instid0(VALU_DEP_1) | instskip(SKIP_1) | instid1(VALU_DEP_2)
	v_div_scale_f32 v59, null, v60, v60, v61
	v_div_scale_f32 v69, vcc_lo, v61, v60, v61
	v_rcp_f32_e32 v67, v59
	v_nop
	s_delay_alu instid0(TRANS32_DEP_1) | instskip(NEXT) | instid1(VALU_DEP_1)
	v_fma_f32 v68, -v59, v67, 1.0
	v_fmac_f32_e32 v67, v68, v67
	s_delay_alu instid0(VALU_DEP_1) | instskip(NEXT) | instid1(VALU_DEP_1)
	v_mul_f32_e32 v68, v69, v67
	v_fma_f32 v70, -v59, v68, v69
	s_delay_alu instid0(VALU_DEP_1) | instskip(NEXT) | instid1(VALU_DEP_1)
	v_fmac_f32_e32 v68, v70, v67
	v_fma_f32 v59, -v59, v68, v69
	s_delay_alu instid0(VALU_DEP_1) | instskip(NEXT) | instid1(VALU_DEP_1)
	v_div_fmas_f32 v59, v59, v67, v68
	v_div_fixup_f32 v59, v59, v60, v61
	s_delay_alu instid0(VALU_DEP_1) | instskip(NEXT) | instid1(VALU_DEP_1)
	v_fmac_f32_e32 v60, v61, v59
	v_div_scale_f32 v61, null, v60, v60, 1.0
	s_delay_alu instid0(VALU_DEP_1) | instskip(SKIP_1) | instid1(TRANS32_DEP_1)
	v_rcp_f32_e32 v67, v61
	v_nop
	v_fma_f32 v68, -v61, v67, 1.0
	s_delay_alu instid0(VALU_DEP_1) | instskip(SKIP_1) | instid1(VALU_DEP_1)
	v_fmac_f32_e32 v67, v68, v67
	v_div_scale_f32 v68, vcc_lo, 1.0, v60, 1.0
	v_mul_f32_e32 v69, v68, v67
	s_delay_alu instid0(VALU_DEP_1) | instskip(NEXT) | instid1(VALU_DEP_1)
	v_fma_f32 v70, -v61, v69, v68
	v_fmac_f32_e32 v69, v70, v67
	s_delay_alu instid0(VALU_DEP_1) | instskip(NEXT) | instid1(VALU_DEP_1)
	v_fma_f32 v61, -v61, v69, v68
	v_div_fmas_f32 v61, v61, v67, v69
	s_delay_alu instid0(VALU_DEP_1) | instskip(NEXT) | instid1(VALU_DEP_1)
	v_div_fixup_f32 v60, v61, v60, 1.0
	v_mul_f32_e64 v61, v59, -v60
.LBB50_156:
	s_or_b32 exec_lo, exec_lo, s1
.LBB50_157:
	s_delay_alu instid0(SALU_CYCLE_1) | instskip(NEXT) | instid1(SALU_CYCLE_1)
	s_or_b32 exec_lo, exec_lo, s0
	s_mov_b32 s0, exec_lo
	v_cmpx_ne_u32_e64 v66, v58
	s_xor_b32 s0, exec_lo, s0
	s_cbranch_execz .LBB50_163
; %bb.158:
	s_mov_b32 s1, exec_lo
	v_cmpx_eq_u32_e32 7, v66
	s_cbranch_execz .LBB50_162
; %bb.159:
	v_cmp_ne_u32_e32 vcc_lo, 7, v58
	s_xor_b32 s12, s16, -1
	s_delay_alu instid0(SALU_CYCLE_1) | instskip(NEXT) | instid1(SALU_CYCLE_1)
	s_and_b32 s13, s12, vcc_lo
	s_and_saveexec_b32 s12, s13
	s_cbranch_execz .LBB50_161
; %bb.160:
	v_ashrrev_i32_e32 v59, 31, v58
	s_delay_alu instid0(VALU_DEP_1)
	v_lshl_add_u64 v[66:67], v[58:59], 2, v[4:5]
	s_clause 0x1
	global_load_b32 v59, v[66:67], off
	global_load_b32 v64, v[4:5], off offset:28
	s_wait_loadcnt 0x1
	global_store_b32 v[4:5], v59, off offset:28
	s_wait_loadcnt 0x0
	global_store_b32 v[66:67], v64, off
.LBB50_161:
	s_wait_xcnt 0x0
	s_or_b32 exec_lo, exec_lo, s12
	v_dual_mov_b32 v66, v58 :: v_dual_mov_b32 v64, v58
.LBB50_162:
	s_or_b32 exec_lo, exec_lo, s1
.LBB50_163:
	s_and_not1_saveexec_b32 s0, s0
	s_cbranch_execz .LBB50_165
; %bb.164:
	v_dual_mov_b32 v58, v40 :: v_dual_mov_b32 v59, v41
	v_dual_mov_b32 v66, v8 :: v_dual_mov_b32 v67, v9
	ds_store_2addr_b64 v62, v[58:59], v[66:67] offset0:8 offset1:9
	v_dual_mov_b32 v58, v10 :: v_dual_mov_b32 v59, v11
	v_dual_mov_b32 v66, v6 :: v_dual_mov_b32 v67, v7
	ds_store_2addr_b64 v62, v[58:59], v[66:67] offset0:10 offset1:11
	v_dual_mov_b32 v58, v42 :: v_dual_mov_b32 v59, v43
	v_dual_mov_b32 v66, v14 :: v_dual_mov_b32 v67, v15
	ds_store_2addr_b64 v62, v[58:59], v[66:67] offset0:12 offset1:13
	v_dual_mov_b32 v58, v20 :: v_dual_mov_b32 v59, v21
	v_dual_mov_b32 v66, v12 :: v_dual_mov_b32 v67, v13
	ds_store_2addr_b64 v62, v[58:59], v[66:67] offset0:14 offset1:15
	v_dual_mov_b32 v58, v46 :: v_dual_mov_b32 v59, v47
	v_dual_mov_b32 v66, v26 :: v_dual_mov_b32 v67, v27
	ds_store_2addr_b64 v62, v[58:59], v[66:67] offset0:16 offset1:17
	v_dual_mov_b32 v58, v28 :: v_dual_mov_b32 v59, v29
	v_dual_mov_b32 v66, v24 :: v_dual_mov_b32 v67, v25
	ds_store_2addr_b64 v62, v[58:59], v[66:67] offset0:18 offset1:19
	v_dual_mov_b32 v58, v38 :: v_dual_mov_b32 v59, v39
	v_dual_mov_b32 v66, v30 :: v_dual_mov_b32 v67, v31
	ds_store_2addr_b64 v62, v[58:59], v[66:67] offset0:20 offset1:21
	v_dual_mov_b32 v58, v36 :: v_dual_mov_b32 v59, v37
	v_dual_mov_b32 v66, v34 :: v_dual_mov_b32 v67, v35
	ds_store_2addr_b64 v62, v[58:59], v[66:67] offset0:22 offset1:23
	v_dual_mov_b32 v58, v32 :: v_dual_mov_b32 v59, v33
	v_mov_b32_e32 v66, 7
	ds_store_2addr_b64 v62, v[58:59], v[56:57] offset0:24 offset1:25
.LBB50_165:
	s_or_b32 exec_lo, exec_lo, s0
	s_delay_alu instid0(SALU_CYCLE_1)
	s_mov_b32 s0, exec_lo
	s_wait_storecnt_dscnt 0x0
	s_barrier_signal -1
	s_barrier_wait -1
	v_cmpx_lt_i32_e32 7, v66
	s_cbranch_execz .LBB50_167
; %bb.166:
	v_pk_mul_f32 v[68:69], v[60:61], v[16:17] op_sel:[1,1] op_sel_hi:[0,1]
	s_delay_alu instid0(VALU_DEP_1)
	v_pk_fma_f32 v[58:59], v[60:61], v[16:17], v[68:69] op_sel_hi:[1,0,1] neg_lo:[0,0,1] neg_hi:[0,0,1]
	v_pk_fma_f32 v[60:61], v[60:61], v[16:17], v[68:69] op_sel_hi:[1,0,1]
	ds_load_2addr_b64 v[68:71], v62 offset0:8 offset1:9
	v_dual_mov_b32 v16, v58 :: v_dual_mov_b32 v17, v61
	s_wait_dscnt 0x0
	v_pk_mul_f32 v[72:73], v[68:69], v[60:61] op_sel:[0,1]
	s_delay_alu instid0(VALU_DEP_1) | instskip(SKIP_1) | instid1(VALU_DEP_1)
	v_pk_fma_f32 v[74:75], v[68:69], v[58:59], v[72:73] op_sel:[0,0,1] op_sel_hi:[1,1,0] neg_lo:[0,0,1] neg_hi:[0,0,1]
	v_pk_fma_f32 v[68:69], v[68:69], v[58:59], v[72:73] op_sel:[0,0,1] op_sel_hi:[1,0,0]
	v_mov_b32_e32 v75, v69
	v_pk_mul_f32 v[68:69], v[70:71], v[60:61] op_sel:[0,1]
	s_delay_alu instid0(VALU_DEP_1) | instskip(SKIP_1) | instid1(VALU_DEP_1)
	v_pk_fma_f32 v[72:73], v[70:71], v[58:59], v[68:69] op_sel:[0,0,1] op_sel_hi:[1,1,0] neg_lo:[0,0,1] neg_hi:[0,0,1]
	v_pk_fma_f32 v[68:69], v[70:71], v[58:59], v[68:69] op_sel:[0,0,1] op_sel_hi:[1,0,0]
	v_mov_b32_e32 v73, v69
	ds_load_2addr_b64 v[68:71], v62 offset0:10 offset1:11
	v_pk_add_f32 v[40:41], v[40:41], v[74:75] neg_lo:[0,1] neg_hi:[0,1]
	v_pk_add_f32 v[8:9], v[8:9], v[72:73] neg_lo:[0,1] neg_hi:[0,1]
	s_wait_dscnt 0x0
	v_pk_mul_f32 v[72:73], v[68:69], v[60:61] op_sel:[0,1]
	s_delay_alu instid0(VALU_DEP_1) | instskip(SKIP_2) | instid1(VALU_DEP_2)
	v_pk_fma_f32 v[74:75], v[68:69], v[58:59], v[72:73] op_sel:[0,0,1] op_sel_hi:[1,1,0] neg_lo:[0,0,1] neg_hi:[0,0,1]
	v_pk_fma_f32 v[68:69], v[68:69], v[58:59], v[72:73] op_sel:[0,0,1] op_sel_hi:[1,0,0]
	v_dual_mul_f32 v72, v71, v61 :: v_dual_mov_b32 v68, v71
	v_dual_mov_b32 v75, v69 :: v_dual_mov_b32 v69, v70
	s_delay_alu instid0(VALU_DEP_2) | instskip(SKIP_1) | instid1(VALU_DEP_3)
	v_pk_fma_f32 v[72:73], v[70:71], v[16:17], v[72:73] op_sel_hi:[1,1,0] neg_lo:[0,0,1] neg_hi:[0,0,1]
	v_mul_f32_e32 v70, v71, v58
	v_pk_add_f32 v[10:11], v[10:11], v[74:75] neg_lo:[0,1] neg_hi:[0,1]
	s_delay_alu instid0(VALU_DEP_2) | instskip(NEXT) | instid1(VALU_DEP_1)
	v_pk_fma_f32 v[68:69], v[68:69], v[16:17], v[70:71] op_sel_hi:[1,1,0]
	v_mov_b32_e32 v73, v69
	ds_load_2addr_b64 v[68:71], v62 offset0:12 offset1:13
	v_pk_add_f32 v[6:7], v[6:7], v[72:73] neg_lo:[0,1] neg_hi:[0,1]
	s_wait_dscnt 0x0
	v_pk_mul_f32 v[72:73], v[68:69], v[60:61] op_sel:[0,1]
	s_delay_alu instid0(VALU_DEP_1) | instskip(SKIP_1) | instid1(VALU_DEP_1)
	v_pk_fma_f32 v[74:75], v[68:69], v[58:59], v[72:73] op_sel:[0,0,1] op_sel_hi:[1,1,0] neg_lo:[0,0,1] neg_hi:[0,0,1]
	v_pk_fma_f32 v[68:69], v[68:69], v[58:59], v[72:73] op_sel:[0,0,1] op_sel_hi:[1,0,0]
	v_mov_b32_e32 v75, v69
	v_pk_mul_f32 v[68:69], v[70:71], v[60:61] op_sel:[0,1]
	s_delay_alu instid0(VALU_DEP_1) | instskip(SKIP_1) | instid1(VALU_DEP_1)
	v_pk_fma_f32 v[72:73], v[70:71], v[58:59], v[68:69] op_sel:[0,0,1] op_sel_hi:[1,1,0] neg_lo:[0,0,1] neg_hi:[0,0,1]
	v_pk_fma_f32 v[68:69], v[70:71], v[58:59], v[68:69] op_sel:[0,0,1] op_sel_hi:[1,0,0]
	v_mov_b32_e32 v73, v69
	ds_load_2addr_b64 v[68:71], v62 offset0:14 offset1:15
	v_pk_add_f32 v[42:43], v[42:43], v[74:75] neg_lo:[0,1] neg_hi:[0,1]
	v_pk_add_f32 v[14:15], v[14:15], v[72:73] neg_lo:[0,1] neg_hi:[0,1]
	s_wait_dscnt 0x0
	v_pk_mul_f32 v[72:73], v[68:69], v[60:61] op_sel:[0,1]
	s_delay_alu instid0(VALU_DEP_1) | instskip(SKIP_1) | instid1(VALU_DEP_1)
	v_pk_fma_f32 v[74:75], v[68:69], v[58:59], v[72:73] op_sel:[0,0,1] op_sel_hi:[1,1,0] neg_lo:[0,0,1] neg_hi:[0,0,1]
	v_pk_fma_f32 v[68:69], v[68:69], v[58:59], v[72:73] op_sel:[0,0,1] op_sel_hi:[1,0,0]
	v_mov_b32_e32 v75, v69
	v_pk_mul_f32 v[68:69], v[70:71], v[60:61] op_sel:[0,1]
	s_delay_alu instid0(VALU_DEP_1) | instskip(SKIP_1) | instid1(VALU_DEP_1)
	v_pk_fma_f32 v[72:73], v[70:71], v[58:59], v[68:69] op_sel:[0,0,1] op_sel_hi:[1,1,0] neg_lo:[0,0,1] neg_hi:[0,0,1]
	v_pk_fma_f32 v[68:69], v[70:71], v[58:59], v[68:69] op_sel:[0,0,1] op_sel_hi:[1,0,0]
	v_mov_b32_e32 v73, v69
	ds_load_2addr_b64 v[68:71], v62 offset0:16 offset1:17
	v_pk_add_f32 v[20:21], v[20:21], v[74:75] neg_lo:[0,1] neg_hi:[0,1]
	v_pk_add_f32 v[12:13], v[12:13], v[72:73] neg_lo:[0,1] neg_hi:[0,1]
	s_wait_dscnt 0x0
	v_dual_mul_f32 v72, v69, v61 :: v_dual_mul_f32 v74, v69, v58
	s_delay_alu instid0(VALU_DEP_1) | instskip(NEXT) | instid1(VALU_DEP_2)
	v_pk_fma_f32 v[72:73], v[68:69], v[16:17], v[72:73] op_sel_hi:[1,1,0] neg_lo:[0,0,1] neg_hi:[0,0,1]
	v_pk_fma_f32 v[68:69], v[68:69], v[16:17], v[74:75] op_sel:[1,0,0] op_sel_hi:[0,1,0]
	s_delay_alu instid0(VALU_DEP_1) | instskip(SKIP_1) | instid1(VALU_DEP_2)
	v_mov_b32_e32 v73, v69
	v_pk_mul_f32 v[68:69], v[70:71], v[60:61] op_sel:[0,1]
	v_pk_add_f32 v[46:47], v[46:47], v[72:73] neg_lo:[0,1] neg_hi:[0,1]
	s_delay_alu instid0(VALU_DEP_2) | instskip(SKIP_1) | instid1(VALU_DEP_1)
	v_pk_fma_f32 v[72:73], v[70:71], v[58:59], v[68:69] op_sel:[0,0,1] op_sel_hi:[1,1,0] neg_lo:[0,0,1] neg_hi:[0,0,1]
	v_pk_fma_f32 v[68:69], v[70:71], v[58:59], v[68:69] op_sel:[0,0,1] op_sel_hi:[1,0,0]
	v_mov_b32_e32 v73, v69
	ds_load_2addr_b64 v[68:71], v62 offset0:18 offset1:19
	v_pk_add_f32 v[26:27], v[26:27], v[72:73] neg_lo:[0,1] neg_hi:[0,1]
	s_wait_dscnt 0x0
	v_pk_mul_f32 v[72:73], v[68:69], v[60:61] op_sel:[0,1]
	s_delay_alu instid0(VALU_DEP_1) | instskip(SKIP_1) | instid1(VALU_DEP_1)
	v_pk_fma_f32 v[74:75], v[68:69], v[58:59], v[72:73] op_sel:[0,0,1] op_sel_hi:[1,1,0] neg_lo:[0,0,1] neg_hi:[0,0,1]
	v_pk_fma_f32 v[68:69], v[68:69], v[58:59], v[72:73] op_sel:[0,0,1] op_sel_hi:[1,0,0]
	v_mov_b32_e32 v75, v69
	v_pk_mul_f32 v[68:69], v[70:71], v[60:61] op_sel:[0,1]
	s_delay_alu instid0(VALU_DEP_2) | instskip(NEXT) | instid1(VALU_DEP_2)
	v_pk_add_f32 v[28:29], v[28:29], v[74:75] neg_lo:[0,1] neg_hi:[0,1]
	v_pk_fma_f32 v[72:73], v[70:71], v[58:59], v[68:69] op_sel:[0,0,1] op_sel_hi:[1,1,0] neg_lo:[0,0,1] neg_hi:[0,0,1]
	v_pk_fma_f32 v[68:69], v[70:71], v[58:59], v[68:69] op_sel:[0,0,1] op_sel_hi:[1,0,0]
	s_delay_alu instid0(VALU_DEP_1) | instskip(SKIP_4) | instid1(VALU_DEP_1)
	v_mov_b32_e32 v73, v69
	ds_load_2addr_b64 v[68:71], v62 offset0:20 offset1:21
	v_pk_add_f32 v[24:25], v[24:25], v[72:73] neg_lo:[0,1] neg_hi:[0,1]
	s_wait_dscnt 0x0
	v_pk_mul_f32 v[72:73], v[68:69], v[60:61] op_sel:[0,1]
	v_pk_fma_f32 v[74:75], v[68:69], v[58:59], v[72:73] op_sel:[0,0,1] op_sel_hi:[1,1,0] neg_lo:[0,0,1] neg_hi:[0,0,1]
	v_pk_fma_f32 v[68:69], v[68:69], v[58:59], v[72:73] op_sel:[0,0,1] op_sel_hi:[1,0,0]
	v_dual_mul_f32 v72, v71, v61 :: v_dual_mov_b32 v68, v71
	s_delay_alu instid0(VALU_DEP_2) | instskip(NEXT) | instid1(VALU_DEP_2)
	v_dual_mov_b32 v75, v69 :: v_dual_mov_b32 v69, v70
	v_pk_fma_f32 v[72:73], v[70:71], v[16:17], v[72:73] op_sel_hi:[1,1,0] neg_lo:[0,0,1] neg_hi:[0,0,1]
	v_mul_f32_e32 v70, v71, v58
	s_delay_alu instid0(VALU_DEP_3) | instskip(NEXT) | instid1(VALU_DEP_2)
	v_pk_add_f32 v[38:39], v[38:39], v[74:75] neg_lo:[0,1] neg_hi:[0,1]
	v_pk_fma_f32 v[68:69], v[68:69], v[16:17], v[70:71] op_sel_hi:[1,1,0]
	s_delay_alu instid0(VALU_DEP_1) | instskip(SKIP_4) | instid1(VALU_DEP_1)
	v_mov_b32_e32 v73, v69
	ds_load_2addr_b64 v[68:71], v62 offset0:22 offset1:23
	v_pk_add_f32 v[30:31], v[30:31], v[72:73] neg_lo:[0,1] neg_hi:[0,1]
	s_wait_dscnt 0x0
	v_pk_mul_f32 v[72:73], v[68:69], v[60:61] op_sel:[0,1]
	v_pk_fma_f32 v[74:75], v[68:69], v[58:59], v[72:73] op_sel:[0,0,1] op_sel_hi:[1,1,0] neg_lo:[0,0,1] neg_hi:[0,0,1]
	v_pk_fma_f32 v[68:69], v[68:69], v[58:59], v[72:73] op_sel:[0,0,1] op_sel_hi:[1,0,0]
	s_delay_alu instid0(VALU_DEP_1) | instskip(SKIP_1) | instid1(VALU_DEP_1)
	v_mov_b32_e32 v75, v69
	v_pk_mul_f32 v[68:69], v[70:71], v[60:61] op_sel:[0,1]
	v_pk_fma_f32 v[72:73], v[70:71], v[58:59], v[68:69] op_sel:[0,0,1] op_sel_hi:[1,1,0] neg_lo:[0,0,1] neg_hi:[0,0,1]
	v_pk_fma_f32 v[68:69], v[70:71], v[58:59], v[68:69] op_sel:[0,0,1] op_sel_hi:[1,0,0]
	s_delay_alu instid0(VALU_DEP_1)
	v_mov_b32_e32 v73, v69
	ds_load_2addr_b64 v[68:71], v62 offset0:24 offset1:25
	v_pk_add_f32 v[36:37], v[36:37], v[74:75] neg_lo:[0,1] neg_hi:[0,1]
	v_pk_add_f32 v[34:35], v[34:35], v[72:73] neg_lo:[0,1] neg_hi:[0,1]
	s_wait_dscnt 0x0
	v_pk_mul_f32 v[72:73], v[68:69], v[60:61] op_sel:[0,1]
	v_mul_f32_e32 v60, v71, v61
	s_delay_alu instid0(VALU_DEP_2) | instskip(SKIP_2) | instid1(VALU_DEP_4)
	v_pk_fma_f32 v[74:75], v[68:69], v[58:59], v[72:73] op_sel:[0,0,1] op_sel_hi:[1,1,0] neg_lo:[0,0,1] neg_hi:[0,0,1]
	v_pk_fma_f32 v[68:69], v[68:69], v[58:59], v[72:73] op_sel:[0,0,1] op_sel_hi:[1,0,0]
	v_dual_mov_b32 v68, v71 :: v_dual_mul_f32 v58, v71, v58
	v_pk_fma_f32 v[60:61], v[70:71], v[16:17], v[60:61] op_sel_hi:[1,1,0] neg_lo:[0,0,1] neg_hi:[0,0,1]
	s_delay_alu instid0(VALU_DEP_3) | instskip(NEXT) | instid1(VALU_DEP_1)
	v_dual_mov_b32 v75, v69 :: v_dual_mov_b32 v69, v70
	v_pk_add_f32 v[32:33], v[32:33], v[74:75] neg_lo:[0,1] neg_hi:[0,1]
	s_delay_alu instid0(VALU_DEP_2) | instskip(NEXT) | instid1(VALU_DEP_1)
	v_pk_fma_f32 v[58:59], v[68:69], v[16:17], v[58:59] op_sel_hi:[1,1,0]
	v_mov_b32_e32 v61, v59
	s_delay_alu instid0(VALU_DEP_1)
	v_pk_add_f32 v[56:57], v[56:57], v[60:61] neg_lo:[0,1] neg_hi:[0,1]
.LBB50_167:
	s_or_b32 exec_lo, exec_lo, s0
	v_lshl_add_u32 v58, v66, 3, v62
	s_barrier_signal -1
	s_barrier_wait -1
	ds_store_b64 v58, v[40:41]
	s_wait_dscnt 0x0
	s_barrier_signal -1
	s_barrier_wait -1
	ds_load_b64 v[60:61], v62 offset:64
	v_mov_b32_e32 v58, 8
	s_cmp_lt_i32 s18, 10
	s_cbranch_scc1 .LBB50_170
; %bb.168:
	v_add3_u32 v59, v63, 0, 0x48
	v_mov_b32_e32 v58, 8
	s_mov_b32 s0, 9
.LBB50_169:                             ; =>This Inner Loop Header: Depth=1
	ds_load_b64 v[68:69], v59
	s_wait_dscnt 0x1
	v_cmp_gt_f32_e32 vcc_lo, 0, v60
	v_cndmask_b32_e64 v70, v60, -v60, vcc_lo
	v_cmp_gt_f32_e32 vcc_lo, 0, v61
	v_cndmask_b32_e64 v72, v61, -v61, vcc_lo
	s_wait_dscnt 0x0
	v_cmp_gt_f32_e32 vcc_lo, 0, v68
	v_cndmask_b32_e64 v71, v68, -v68, vcc_lo
	v_cmp_gt_f32_e32 vcc_lo, 0, v69
	v_cndmask_b32_e64 v73, v69, -v69, vcc_lo
	s_delay_alu instid0(VALU_DEP_1) | instskip(NEXT) | instid1(VALU_DEP_1)
	v_pk_add_f32 v[70:71], v[70:71], v[72:73]
	v_cmp_lt_f32_e32 vcc_lo, v70, v71
	v_dual_add_nc_u32 v59, 8, v59 :: v_dual_cndmask_b32 v61, v61, v69, vcc_lo
	v_cndmask_b32_e32 v60, v60, v68, vcc_lo
	v_cndmask_b32_e64 v58, v58, s0, vcc_lo
	s_add_co_i32 s0, s0, 1
	s_delay_alu instid0(SALU_CYCLE_1)
	s_cmp_lg_u32 s18, s0
	s_cbranch_scc1 .LBB50_169
.LBB50_170:
	s_wait_dscnt 0x0
	v_cmp_eq_f32_e32 vcc_lo, 0, v60
	v_cmp_eq_f32_e64 s0, 0, v61
	s_and_b32 s0, vcc_lo, s0
	s_delay_alu instid0(SALU_CYCLE_1) | instskip(NEXT) | instid1(SALU_CYCLE_1)
	s_and_saveexec_b32 s1, s0
	s_xor_b32 s0, exec_lo, s1
; %bb.171:
	v_cmp_ne_u32_e32 vcc_lo, 0, v65
	v_cndmask_b32_e32 v65, 9, v65, vcc_lo
; %bb.172:
	s_and_not1_saveexec_b32 s0, s0
	s_cbranch_execz .LBB50_178
; %bb.173:
	v_cmp_ngt_f32_e64 s1, |v60|, |v61|
	s_and_saveexec_b32 s12, s1
	s_delay_alu instid0(SALU_CYCLE_1)
	s_xor_b32 s1, exec_lo, s12
	s_cbranch_execz .LBB50_175
; %bb.174:
	v_div_scale_f32 v59, null, v61, v61, v60
	v_div_scale_f32 v69, vcc_lo, v60, v61, v60
	s_delay_alu instid0(VALU_DEP_2) | instskip(SKIP_1) | instid1(TRANS32_DEP_1)
	v_rcp_f32_e32 v67, v59
	v_nop
	v_fma_f32 v68, -v59, v67, 1.0
	s_delay_alu instid0(VALU_DEP_1) | instskip(NEXT) | instid1(VALU_DEP_1)
	v_fmac_f32_e32 v67, v68, v67
	v_mul_f32_e32 v68, v69, v67
	s_delay_alu instid0(VALU_DEP_1) | instskip(NEXT) | instid1(VALU_DEP_1)
	v_fma_f32 v70, -v59, v68, v69
	v_fmac_f32_e32 v68, v70, v67
	s_delay_alu instid0(VALU_DEP_1) | instskip(NEXT) | instid1(VALU_DEP_1)
	v_fma_f32 v59, -v59, v68, v69
	v_div_fmas_f32 v59, v59, v67, v68
	s_delay_alu instid0(VALU_DEP_1) | instskip(NEXT) | instid1(VALU_DEP_1)
	v_div_fixup_f32 v59, v59, v61, v60
	v_fmac_f32_e32 v61, v60, v59
	s_delay_alu instid0(VALU_DEP_1) | instskip(SKIP_1) | instid1(VALU_DEP_2)
	v_div_scale_f32 v60, null, v61, v61, 1.0
	v_div_scale_f32 v69, vcc_lo, 1.0, v61, 1.0
	v_rcp_f32_e32 v67, v60
	v_nop
	s_delay_alu instid0(TRANS32_DEP_1) | instskip(NEXT) | instid1(VALU_DEP_1)
	v_fma_f32 v68, -v60, v67, 1.0
	v_fmac_f32_e32 v67, v68, v67
	s_delay_alu instid0(VALU_DEP_1) | instskip(NEXT) | instid1(VALU_DEP_1)
	v_mul_f32_e32 v68, v69, v67
	v_fma_f32 v70, -v60, v68, v69
	s_delay_alu instid0(VALU_DEP_1) | instskip(NEXT) | instid1(VALU_DEP_1)
	v_fmac_f32_e32 v68, v70, v67
	v_fma_f32 v60, -v60, v68, v69
	s_delay_alu instid0(VALU_DEP_1) | instskip(NEXT) | instid1(VALU_DEP_1)
	v_div_fmas_f32 v60, v60, v67, v68
	v_div_fixup_f32 v61, v60, v61, 1.0
	s_delay_alu instid0(VALU_DEP_1)
	v_mul_f32_e32 v60, v59, v61
	v_xor_b32_e32 v61, 0x80000000, v61
.LBB50_175:
	s_and_not1_saveexec_b32 s1, s1
	s_cbranch_execz .LBB50_177
; %bb.176:
	s_delay_alu instid0(VALU_DEP_1) | instskip(SKIP_1) | instid1(VALU_DEP_2)
	v_div_scale_f32 v59, null, v60, v60, v61
	v_div_scale_f32 v69, vcc_lo, v61, v60, v61
	v_rcp_f32_e32 v67, v59
	v_nop
	s_delay_alu instid0(TRANS32_DEP_1) | instskip(NEXT) | instid1(VALU_DEP_1)
	v_fma_f32 v68, -v59, v67, 1.0
	v_fmac_f32_e32 v67, v68, v67
	s_delay_alu instid0(VALU_DEP_1) | instskip(NEXT) | instid1(VALU_DEP_1)
	v_mul_f32_e32 v68, v69, v67
	v_fma_f32 v70, -v59, v68, v69
	s_delay_alu instid0(VALU_DEP_1) | instskip(NEXT) | instid1(VALU_DEP_1)
	v_fmac_f32_e32 v68, v70, v67
	v_fma_f32 v59, -v59, v68, v69
	s_delay_alu instid0(VALU_DEP_1) | instskip(NEXT) | instid1(VALU_DEP_1)
	v_div_fmas_f32 v59, v59, v67, v68
	v_div_fixup_f32 v59, v59, v60, v61
	s_delay_alu instid0(VALU_DEP_1) | instskip(NEXT) | instid1(VALU_DEP_1)
	v_fmac_f32_e32 v60, v61, v59
	v_div_scale_f32 v61, null, v60, v60, 1.0
	s_delay_alu instid0(VALU_DEP_1) | instskip(SKIP_1) | instid1(TRANS32_DEP_1)
	v_rcp_f32_e32 v67, v61
	v_nop
	v_fma_f32 v68, -v61, v67, 1.0
	s_delay_alu instid0(VALU_DEP_1) | instskip(SKIP_1) | instid1(VALU_DEP_1)
	v_fmac_f32_e32 v67, v68, v67
	v_div_scale_f32 v68, vcc_lo, 1.0, v60, 1.0
	v_mul_f32_e32 v69, v68, v67
	s_delay_alu instid0(VALU_DEP_1) | instskip(NEXT) | instid1(VALU_DEP_1)
	v_fma_f32 v70, -v61, v69, v68
	v_fmac_f32_e32 v69, v70, v67
	s_delay_alu instid0(VALU_DEP_1) | instskip(NEXT) | instid1(VALU_DEP_1)
	v_fma_f32 v61, -v61, v69, v68
	v_div_fmas_f32 v61, v61, v67, v69
	s_delay_alu instid0(VALU_DEP_1) | instskip(NEXT) | instid1(VALU_DEP_1)
	v_div_fixup_f32 v60, v61, v60, 1.0
	v_mul_f32_e64 v61, v59, -v60
.LBB50_177:
	s_or_b32 exec_lo, exec_lo, s1
.LBB50_178:
	s_delay_alu instid0(SALU_CYCLE_1) | instskip(NEXT) | instid1(SALU_CYCLE_1)
	s_or_b32 exec_lo, exec_lo, s0
	s_mov_b32 s0, exec_lo
	v_cmpx_ne_u32_e64 v66, v58
	s_xor_b32 s0, exec_lo, s0
	s_cbranch_execz .LBB50_184
; %bb.179:
	s_mov_b32 s1, exec_lo
	v_cmpx_eq_u32_e32 8, v66
	s_cbranch_execz .LBB50_183
; %bb.180:
	v_cmp_ne_u32_e32 vcc_lo, 8, v58
	s_xor_b32 s12, s16, -1
	s_delay_alu instid0(SALU_CYCLE_1) | instskip(NEXT) | instid1(SALU_CYCLE_1)
	s_and_b32 s13, s12, vcc_lo
	s_and_saveexec_b32 s12, s13
	s_cbranch_execz .LBB50_182
; %bb.181:
	v_ashrrev_i32_e32 v59, 31, v58
	s_delay_alu instid0(VALU_DEP_1)
	v_lshl_add_u64 v[66:67], v[58:59], 2, v[4:5]
	s_clause 0x1
	global_load_b32 v59, v[66:67], off
	global_load_b32 v64, v[4:5], off offset:32
	s_wait_loadcnt 0x1
	global_store_b32 v[4:5], v59, off offset:32
	s_wait_loadcnt 0x0
	global_store_b32 v[66:67], v64, off
.LBB50_182:
	s_wait_xcnt 0x0
	s_or_b32 exec_lo, exec_lo, s12
	v_dual_mov_b32 v66, v58 :: v_dual_mov_b32 v64, v58
.LBB50_183:
	s_or_b32 exec_lo, exec_lo, s1
.LBB50_184:
	s_and_not1_saveexec_b32 s0, s0
	s_cbranch_execz .LBB50_186
; %bb.185:
	v_mov_b32_e32 v66, 8
	ds_store_2addr_b64 v62, v[8:9], v[10:11] offset0:9 offset1:10
	ds_store_2addr_b64 v62, v[6:7], v[42:43] offset0:11 offset1:12
	;; [unrolled: 1-line block ×8, first 2 shown]
	ds_store_b64 v62, v[56:57] offset:200
.LBB50_186:
	s_or_b32 exec_lo, exec_lo, s0
	s_delay_alu instid0(SALU_CYCLE_1)
	s_mov_b32 s0, exec_lo
	s_wait_storecnt_dscnt 0x0
	s_barrier_signal -1
	s_barrier_wait -1
	v_cmpx_lt_i32_e32 8, v66
	s_cbranch_execz .LBB50_188
; %bb.187:
	v_pk_mul_f32 v[68:69], v[60:61], v[40:41] op_sel:[1,1] op_sel_hi:[0,1]
	s_delay_alu instid0(VALU_DEP_1)
	v_pk_fma_f32 v[58:59], v[60:61], v[40:41], v[68:69] op_sel_hi:[1,0,1] neg_lo:[0,0,1] neg_hi:[0,0,1]
	v_pk_fma_f32 v[60:61], v[60:61], v[40:41], v[68:69] op_sel_hi:[1,0,1]
	ds_load_2addr_b64 v[68:71], v62 offset0:9 offset1:10
	v_dual_mov_b32 v40, v58 :: v_dual_mov_b32 v41, v61
	s_wait_dscnt 0x0
	v_pk_mul_f32 v[72:73], v[68:69], v[60:61] op_sel:[0,1]
	s_delay_alu instid0(VALU_DEP_1) | instskip(SKIP_1) | instid1(VALU_DEP_1)
	v_pk_fma_f32 v[74:75], v[68:69], v[58:59], v[72:73] op_sel:[0,0,1] op_sel_hi:[1,1,0] neg_lo:[0,0,1] neg_hi:[0,0,1]
	v_pk_fma_f32 v[68:69], v[68:69], v[58:59], v[72:73] op_sel:[0,0,1] op_sel_hi:[1,0,0]
	v_mov_b32_e32 v75, v69
	v_pk_mul_f32 v[68:69], v[70:71], v[60:61] op_sel:[0,1]
	s_delay_alu instid0(VALU_DEP_1) | instskip(SKIP_1) | instid1(VALU_DEP_1)
	v_pk_fma_f32 v[72:73], v[70:71], v[58:59], v[68:69] op_sel:[0,0,1] op_sel_hi:[1,1,0] neg_lo:[0,0,1] neg_hi:[0,0,1]
	v_pk_fma_f32 v[68:69], v[70:71], v[58:59], v[68:69] op_sel:[0,0,1] op_sel_hi:[1,0,0]
	v_mov_b32_e32 v73, v69
	ds_load_2addr_b64 v[68:71], v62 offset0:11 offset1:12
	v_pk_add_f32 v[8:9], v[8:9], v[74:75] neg_lo:[0,1] neg_hi:[0,1]
	v_pk_add_f32 v[10:11], v[10:11], v[72:73] neg_lo:[0,1] neg_hi:[0,1]
	s_wait_dscnt 0x0
	v_pk_mul_f32 v[72:73], v[68:69], v[60:61] op_sel:[0,1]
	s_delay_alu instid0(VALU_DEP_1) | instskip(SKIP_2) | instid1(VALU_DEP_2)
	v_pk_fma_f32 v[74:75], v[68:69], v[58:59], v[72:73] op_sel:[0,0,1] op_sel_hi:[1,1,0] neg_lo:[0,0,1] neg_hi:[0,0,1]
	v_pk_fma_f32 v[68:69], v[68:69], v[58:59], v[72:73] op_sel:[0,0,1] op_sel_hi:[1,0,0]
	v_dual_mul_f32 v72, v71, v61 :: v_dual_mov_b32 v68, v71
	v_dual_mov_b32 v75, v69 :: v_dual_mov_b32 v69, v70
	s_delay_alu instid0(VALU_DEP_2) | instskip(SKIP_1) | instid1(VALU_DEP_3)
	v_pk_fma_f32 v[72:73], v[70:71], v[40:41], v[72:73] op_sel_hi:[1,1,0] neg_lo:[0,0,1] neg_hi:[0,0,1]
	v_mul_f32_e32 v70, v71, v58
	v_pk_add_f32 v[6:7], v[6:7], v[74:75] neg_lo:[0,1] neg_hi:[0,1]
	s_delay_alu instid0(VALU_DEP_2) | instskip(NEXT) | instid1(VALU_DEP_1)
	v_pk_fma_f32 v[68:69], v[68:69], v[40:41], v[70:71] op_sel_hi:[1,1,0]
	v_mov_b32_e32 v73, v69
	ds_load_2addr_b64 v[68:71], v62 offset0:13 offset1:14
	v_pk_add_f32 v[42:43], v[42:43], v[72:73] neg_lo:[0,1] neg_hi:[0,1]
	s_wait_dscnt 0x0
	v_pk_mul_f32 v[72:73], v[68:69], v[60:61] op_sel:[0,1]
	s_delay_alu instid0(VALU_DEP_1) | instskip(SKIP_1) | instid1(VALU_DEP_1)
	v_pk_fma_f32 v[74:75], v[68:69], v[58:59], v[72:73] op_sel:[0,0,1] op_sel_hi:[1,1,0] neg_lo:[0,0,1] neg_hi:[0,0,1]
	v_pk_fma_f32 v[68:69], v[68:69], v[58:59], v[72:73] op_sel:[0,0,1] op_sel_hi:[1,0,0]
	v_mov_b32_e32 v75, v69
	v_pk_mul_f32 v[68:69], v[70:71], v[60:61] op_sel:[0,1]
	s_delay_alu instid0(VALU_DEP_1) | instskip(SKIP_1) | instid1(VALU_DEP_1)
	v_pk_fma_f32 v[72:73], v[70:71], v[58:59], v[68:69] op_sel:[0,0,1] op_sel_hi:[1,1,0] neg_lo:[0,0,1] neg_hi:[0,0,1]
	v_pk_fma_f32 v[68:69], v[70:71], v[58:59], v[68:69] op_sel:[0,0,1] op_sel_hi:[1,0,0]
	v_mov_b32_e32 v73, v69
	ds_load_2addr_b64 v[68:71], v62 offset0:15 offset1:16
	v_pk_add_f32 v[14:15], v[14:15], v[74:75] neg_lo:[0,1] neg_hi:[0,1]
	v_pk_add_f32 v[20:21], v[20:21], v[72:73] neg_lo:[0,1] neg_hi:[0,1]
	s_wait_dscnt 0x0
	v_pk_mul_f32 v[72:73], v[68:69], v[60:61] op_sel:[0,1]
	s_delay_alu instid0(VALU_DEP_1) | instskip(SKIP_1) | instid1(VALU_DEP_1)
	v_pk_fma_f32 v[74:75], v[68:69], v[58:59], v[72:73] op_sel:[0,0,1] op_sel_hi:[1,1,0] neg_lo:[0,0,1] neg_hi:[0,0,1]
	v_pk_fma_f32 v[68:69], v[68:69], v[58:59], v[72:73] op_sel:[0,0,1] op_sel_hi:[1,0,0]
	v_mov_b32_e32 v75, v69
	v_pk_mul_f32 v[68:69], v[70:71], v[60:61] op_sel:[0,1]
	s_delay_alu instid0(VALU_DEP_1) | instskip(SKIP_1) | instid1(VALU_DEP_1)
	v_pk_fma_f32 v[72:73], v[70:71], v[58:59], v[68:69] op_sel:[0,0,1] op_sel_hi:[1,1,0] neg_lo:[0,0,1] neg_hi:[0,0,1]
	v_pk_fma_f32 v[68:69], v[70:71], v[58:59], v[68:69] op_sel:[0,0,1] op_sel_hi:[1,0,0]
	v_mov_b32_e32 v73, v69
	ds_load_2addr_b64 v[68:71], v62 offset0:17 offset1:18
	v_pk_add_f32 v[12:13], v[12:13], v[74:75] neg_lo:[0,1] neg_hi:[0,1]
	v_pk_add_f32 v[46:47], v[46:47], v[72:73] neg_lo:[0,1] neg_hi:[0,1]
	s_wait_dscnt 0x0
	v_dual_mul_f32 v72, v69, v61 :: v_dual_mul_f32 v74, v69, v58
	s_delay_alu instid0(VALU_DEP_1) | instskip(NEXT) | instid1(VALU_DEP_2)
	v_pk_fma_f32 v[72:73], v[68:69], v[40:41], v[72:73] op_sel_hi:[1,1,0] neg_lo:[0,0,1] neg_hi:[0,0,1]
	v_pk_fma_f32 v[68:69], v[68:69], v[40:41], v[74:75] op_sel:[1,0,0] op_sel_hi:[0,1,0]
	s_delay_alu instid0(VALU_DEP_1) | instskip(SKIP_1) | instid1(VALU_DEP_2)
	v_mov_b32_e32 v73, v69
	v_pk_mul_f32 v[68:69], v[70:71], v[60:61] op_sel:[0,1]
	v_pk_add_f32 v[26:27], v[26:27], v[72:73] neg_lo:[0,1] neg_hi:[0,1]
	s_delay_alu instid0(VALU_DEP_2) | instskip(SKIP_1) | instid1(VALU_DEP_1)
	v_pk_fma_f32 v[72:73], v[70:71], v[58:59], v[68:69] op_sel:[0,0,1] op_sel_hi:[1,1,0] neg_lo:[0,0,1] neg_hi:[0,0,1]
	v_pk_fma_f32 v[68:69], v[70:71], v[58:59], v[68:69] op_sel:[0,0,1] op_sel_hi:[1,0,0]
	v_mov_b32_e32 v73, v69
	ds_load_2addr_b64 v[68:71], v62 offset0:19 offset1:20
	v_pk_add_f32 v[28:29], v[28:29], v[72:73] neg_lo:[0,1] neg_hi:[0,1]
	s_wait_dscnt 0x0
	v_pk_mul_f32 v[72:73], v[68:69], v[60:61] op_sel:[0,1]
	s_delay_alu instid0(VALU_DEP_1) | instskip(SKIP_1) | instid1(VALU_DEP_1)
	v_pk_fma_f32 v[74:75], v[68:69], v[58:59], v[72:73] op_sel:[0,0,1] op_sel_hi:[1,1,0] neg_lo:[0,0,1] neg_hi:[0,0,1]
	v_pk_fma_f32 v[68:69], v[68:69], v[58:59], v[72:73] op_sel:[0,0,1] op_sel_hi:[1,0,0]
	v_mov_b32_e32 v75, v69
	v_pk_mul_f32 v[68:69], v[70:71], v[60:61] op_sel:[0,1]
	s_delay_alu instid0(VALU_DEP_2) | instskip(NEXT) | instid1(VALU_DEP_2)
	v_pk_add_f32 v[24:25], v[24:25], v[74:75] neg_lo:[0,1] neg_hi:[0,1]
	v_pk_fma_f32 v[72:73], v[70:71], v[58:59], v[68:69] op_sel:[0,0,1] op_sel_hi:[1,1,0] neg_lo:[0,0,1] neg_hi:[0,0,1]
	v_pk_fma_f32 v[68:69], v[70:71], v[58:59], v[68:69] op_sel:[0,0,1] op_sel_hi:[1,0,0]
	s_delay_alu instid0(VALU_DEP_1) | instskip(SKIP_4) | instid1(VALU_DEP_1)
	v_mov_b32_e32 v73, v69
	ds_load_2addr_b64 v[68:71], v62 offset0:21 offset1:22
	v_pk_add_f32 v[38:39], v[38:39], v[72:73] neg_lo:[0,1] neg_hi:[0,1]
	s_wait_dscnt 0x0
	v_pk_mul_f32 v[72:73], v[68:69], v[60:61] op_sel:[0,1]
	v_pk_fma_f32 v[74:75], v[68:69], v[58:59], v[72:73] op_sel:[0,0,1] op_sel_hi:[1,1,0] neg_lo:[0,0,1] neg_hi:[0,0,1]
	v_pk_fma_f32 v[68:69], v[68:69], v[58:59], v[72:73] op_sel:[0,0,1] op_sel_hi:[1,0,0]
	v_dual_mul_f32 v72, v71, v61 :: v_dual_mov_b32 v68, v71
	s_delay_alu instid0(VALU_DEP_2) | instskip(NEXT) | instid1(VALU_DEP_2)
	v_dual_mov_b32 v75, v69 :: v_dual_mov_b32 v69, v70
	v_pk_fma_f32 v[72:73], v[70:71], v[40:41], v[72:73] op_sel_hi:[1,1,0] neg_lo:[0,0,1] neg_hi:[0,0,1]
	v_mul_f32_e32 v70, v71, v58
	s_delay_alu instid0(VALU_DEP_3) | instskip(NEXT) | instid1(VALU_DEP_2)
	v_pk_add_f32 v[30:31], v[30:31], v[74:75] neg_lo:[0,1] neg_hi:[0,1]
	v_pk_fma_f32 v[68:69], v[68:69], v[40:41], v[70:71] op_sel_hi:[1,1,0]
	s_delay_alu instid0(VALU_DEP_1) | instskip(SKIP_4) | instid1(VALU_DEP_1)
	v_mov_b32_e32 v73, v69
	ds_load_2addr_b64 v[68:71], v62 offset0:23 offset1:24
	v_pk_add_f32 v[36:37], v[36:37], v[72:73] neg_lo:[0,1] neg_hi:[0,1]
	s_wait_dscnt 0x0
	v_pk_mul_f32 v[72:73], v[68:69], v[60:61] op_sel:[0,1]
	v_pk_fma_f32 v[74:75], v[68:69], v[58:59], v[72:73] op_sel:[0,0,1] op_sel_hi:[1,1,0] neg_lo:[0,0,1] neg_hi:[0,0,1]
	v_pk_fma_f32 v[68:69], v[68:69], v[58:59], v[72:73] op_sel:[0,0,1] op_sel_hi:[1,0,0]
	s_delay_alu instid0(VALU_DEP_1) | instskip(SKIP_1) | instid1(VALU_DEP_1)
	v_mov_b32_e32 v75, v69
	v_pk_mul_f32 v[68:69], v[70:71], v[60:61] op_sel:[0,1]
	v_pk_fma_f32 v[72:73], v[70:71], v[58:59], v[68:69] op_sel:[0,0,1] op_sel_hi:[1,1,0] neg_lo:[0,0,1] neg_hi:[0,0,1]
	v_pk_fma_f32 v[68:69], v[70:71], v[58:59], v[68:69] op_sel:[0,0,1] op_sel_hi:[1,0,0]
	s_delay_alu instid0(VALU_DEP_1)
	v_mov_b32_e32 v73, v69
	ds_load_b64 v[68:69], v62 offset:200
	v_pk_add_f32 v[34:35], v[34:35], v[74:75] neg_lo:[0,1] neg_hi:[0,1]
	v_pk_add_f32 v[32:33], v[32:33], v[72:73] neg_lo:[0,1] neg_hi:[0,1]
	s_wait_dscnt 0x0
	v_pk_mul_f32 v[60:61], v[68:69], v[60:61] op_sel:[0,1]
	s_delay_alu instid0(VALU_DEP_1) | instskip(SKIP_1) | instid1(VALU_DEP_1)
	v_pk_fma_f32 v[70:71], v[68:69], v[58:59], v[60:61] op_sel:[0,0,1] op_sel_hi:[1,1,0] neg_lo:[0,0,1] neg_hi:[0,0,1]
	v_pk_fma_f32 v[58:59], v[68:69], v[58:59], v[60:61] op_sel:[0,0,1] op_sel_hi:[1,0,0]
	v_mov_b32_e32 v71, v59
	s_delay_alu instid0(VALU_DEP_1)
	v_pk_add_f32 v[56:57], v[56:57], v[70:71] neg_lo:[0,1] neg_hi:[0,1]
.LBB50_188:
	s_or_b32 exec_lo, exec_lo, s0
	v_lshl_add_u32 v58, v66, 3, v62
	s_barrier_signal -1
	s_barrier_wait -1
	ds_store_b64 v58, v[8:9]
	s_wait_dscnt 0x0
	s_barrier_signal -1
	s_barrier_wait -1
	ds_load_b64 v[60:61], v62 offset:72
	v_mov_b32_e32 v58, 9
	s_cmp_lt_i32 s18, 11
	s_cbranch_scc1 .LBB50_191
; %bb.189:
	v_add3_u32 v59, v63, 0, 0x50
	v_mov_b32_e32 v58, 9
	s_mov_b32 s0, 10
.LBB50_190:                             ; =>This Inner Loop Header: Depth=1
	ds_load_b64 v[68:69], v59
	s_wait_dscnt 0x1
	v_cmp_gt_f32_e32 vcc_lo, 0, v60
	v_cndmask_b32_e64 v70, v60, -v60, vcc_lo
	v_cmp_gt_f32_e32 vcc_lo, 0, v61
	v_cndmask_b32_e64 v72, v61, -v61, vcc_lo
	s_wait_dscnt 0x0
	v_cmp_gt_f32_e32 vcc_lo, 0, v68
	v_cndmask_b32_e64 v71, v68, -v68, vcc_lo
	v_cmp_gt_f32_e32 vcc_lo, 0, v69
	v_cndmask_b32_e64 v73, v69, -v69, vcc_lo
	s_delay_alu instid0(VALU_DEP_1) | instskip(NEXT) | instid1(VALU_DEP_1)
	v_pk_add_f32 v[70:71], v[70:71], v[72:73]
	v_cmp_lt_f32_e32 vcc_lo, v70, v71
	v_dual_add_nc_u32 v59, 8, v59 :: v_dual_cndmask_b32 v61, v61, v69, vcc_lo
	v_cndmask_b32_e32 v60, v60, v68, vcc_lo
	v_cndmask_b32_e64 v58, v58, s0, vcc_lo
	s_add_co_i32 s0, s0, 1
	s_delay_alu instid0(SALU_CYCLE_1)
	s_cmp_lg_u32 s18, s0
	s_cbranch_scc1 .LBB50_190
.LBB50_191:
	s_wait_dscnt 0x0
	v_cmp_eq_f32_e32 vcc_lo, 0, v60
	v_cmp_eq_f32_e64 s0, 0, v61
	s_and_b32 s0, vcc_lo, s0
	s_delay_alu instid0(SALU_CYCLE_1) | instskip(NEXT) | instid1(SALU_CYCLE_1)
	s_and_saveexec_b32 s1, s0
	s_xor_b32 s0, exec_lo, s1
; %bb.192:
	v_cmp_ne_u32_e32 vcc_lo, 0, v65
	v_cndmask_b32_e32 v65, 10, v65, vcc_lo
; %bb.193:
	s_and_not1_saveexec_b32 s0, s0
	s_cbranch_execz .LBB50_199
; %bb.194:
	v_cmp_ngt_f32_e64 s1, |v60|, |v61|
	s_and_saveexec_b32 s12, s1
	s_delay_alu instid0(SALU_CYCLE_1)
	s_xor_b32 s1, exec_lo, s12
	s_cbranch_execz .LBB50_196
; %bb.195:
	v_div_scale_f32 v59, null, v61, v61, v60
	v_div_scale_f32 v69, vcc_lo, v60, v61, v60
	s_delay_alu instid0(VALU_DEP_2) | instskip(SKIP_1) | instid1(TRANS32_DEP_1)
	v_rcp_f32_e32 v67, v59
	v_nop
	v_fma_f32 v68, -v59, v67, 1.0
	s_delay_alu instid0(VALU_DEP_1) | instskip(NEXT) | instid1(VALU_DEP_1)
	v_fmac_f32_e32 v67, v68, v67
	v_mul_f32_e32 v68, v69, v67
	s_delay_alu instid0(VALU_DEP_1) | instskip(NEXT) | instid1(VALU_DEP_1)
	v_fma_f32 v70, -v59, v68, v69
	v_fmac_f32_e32 v68, v70, v67
	s_delay_alu instid0(VALU_DEP_1) | instskip(NEXT) | instid1(VALU_DEP_1)
	v_fma_f32 v59, -v59, v68, v69
	v_div_fmas_f32 v59, v59, v67, v68
	s_delay_alu instid0(VALU_DEP_1) | instskip(NEXT) | instid1(VALU_DEP_1)
	v_div_fixup_f32 v59, v59, v61, v60
	v_fmac_f32_e32 v61, v60, v59
	s_delay_alu instid0(VALU_DEP_1) | instskip(SKIP_1) | instid1(VALU_DEP_2)
	v_div_scale_f32 v60, null, v61, v61, 1.0
	v_div_scale_f32 v69, vcc_lo, 1.0, v61, 1.0
	v_rcp_f32_e32 v67, v60
	v_nop
	s_delay_alu instid0(TRANS32_DEP_1) | instskip(NEXT) | instid1(VALU_DEP_1)
	v_fma_f32 v68, -v60, v67, 1.0
	v_fmac_f32_e32 v67, v68, v67
	s_delay_alu instid0(VALU_DEP_1) | instskip(NEXT) | instid1(VALU_DEP_1)
	v_mul_f32_e32 v68, v69, v67
	v_fma_f32 v70, -v60, v68, v69
	s_delay_alu instid0(VALU_DEP_1) | instskip(NEXT) | instid1(VALU_DEP_1)
	v_fmac_f32_e32 v68, v70, v67
	v_fma_f32 v60, -v60, v68, v69
	s_delay_alu instid0(VALU_DEP_1) | instskip(NEXT) | instid1(VALU_DEP_1)
	v_div_fmas_f32 v60, v60, v67, v68
	v_div_fixup_f32 v61, v60, v61, 1.0
	s_delay_alu instid0(VALU_DEP_1)
	v_mul_f32_e32 v60, v59, v61
	v_xor_b32_e32 v61, 0x80000000, v61
.LBB50_196:
	s_and_not1_saveexec_b32 s1, s1
	s_cbranch_execz .LBB50_198
; %bb.197:
	s_delay_alu instid0(VALU_DEP_1) | instskip(SKIP_1) | instid1(VALU_DEP_2)
	v_div_scale_f32 v59, null, v60, v60, v61
	v_div_scale_f32 v69, vcc_lo, v61, v60, v61
	v_rcp_f32_e32 v67, v59
	v_nop
	s_delay_alu instid0(TRANS32_DEP_1) | instskip(NEXT) | instid1(VALU_DEP_1)
	v_fma_f32 v68, -v59, v67, 1.0
	v_fmac_f32_e32 v67, v68, v67
	s_delay_alu instid0(VALU_DEP_1) | instskip(NEXT) | instid1(VALU_DEP_1)
	v_mul_f32_e32 v68, v69, v67
	v_fma_f32 v70, -v59, v68, v69
	s_delay_alu instid0(VALU_DEP_1) | instskip(NEXT) | instid1(VALU_DEP_1)
	v_fmac_f32_e32 v68, v70, v67
	v_fma_f32 v59, -v59, v68, v69
	s_delay_alu instid0(VALU_DEP_1) | instskip(NEXT) | instid1(VALU_DEP_1)
	v_div_fmas_f32 v59, v59, v67, v68
	v_div_fixup_f32 v59, v59, v60, v61
	s_delay_alu instid0(VALU_DEP_1) | instskip(NEXT) | instid1(VALU_DEP_1)
	v_fmac_f32_e32 v60, v61, v59
	v_div_scale_f32 v61, null, v60, v60, 1.0
	s_delay_alu instid0(VALU_DEP_1) | instskip(SKIP_1) | instid1(TRANS32_DEP_1)
	v_rcp_f32_e32 v67, v61
	v_nop
	v_fma_f32 v68, -v61, v67, 1.0
	s_delay_alu instid0(VALU_DEP_1) | instskip(SKIP_1) | instid1(VALU_DEP_1)
	v_fmac_f32_e32 v67, v68, v67
	v_div_scale_f32 v68, vcc_lo, 1.0, v60, 1.0
	v_mul_f32_e32 v69, v68, v67
	s_delay_alu instid0(VALU_DEP_1) | instskip(NEXT) | instid1(VALU_DEP_1)
	v_fma_f32 v70, -v61, v69, v68
	v_fmac_f32_e32 v69, v70, v67
	s_delay_alu instid0(VALU_DEP_1) | instskip(NEXT) | instid1(VALU_DEP_1)
	v_fma_f32 v61, -v61, v69, v68
	v_div_fmas_f32 v61, v61, v67, v69
	s_delay_alu instid0(VALU_DEP_1) | instskip(NEXT) | instid1(VALU_DEP_1)
	v_div_fixup_f32 v60, v61, v60, 1.0
	v_mul_f32_e64 v61, v59, -v60
.LBB50_198:
	s_or_b32 exec_lo, exec_lo, s1
.LBB50_199:
	s_delay_alu instid0(SALU_CYCLE_1) | instskip(NEXT) | instid1(SALU_CYCLE_1)
	s_or_b32 exec_lo, exec_lo, s0
	s_mov_b32 s0, exec_lo
	v_cmpx_ne_u32_e64 v66, v58
	s_xor_b32 s0, exec_lo, s0
	s_cbranch_execz .LBB50_205
; %bb.200:
	s_mov_b32 s1, exec_lo
	v_cmpx_eq_u32_e32 9, v66
	s_cbranch_execz .LBB50_204
; %bb.201:
	v_cmp_ne_u32_e32 vcc_lo, 9, v58
	s_xor_b32 s12, s16, -1
	s_delay_alu instid0(SALU_CYCLE_1) | instskip(NEXT) | instid1(SALU_CYCLE_1)
	s_and_b32 s13, s12, vcc_lo
	s_and_saveexec_b32 s12, s13
	s_cbranch_execz .LBB50_203
; %bb.202:
	v_ashrrev_i32_e32 v59, 31, v58
	s_delay_alu instid0(VALU_DEP_1)
	v_lshl_add_u64 v[66:67], v[58:59], 2, v[4:5]
	s_clause 0x1
	global_load_b32 v59, v[66:67], off
	global_load_b32 v64, v[4:5], off offset:36
	s_wait_loadcnt 0x1
	global_store_b32 v[4:5], v59, off offset:36
	s_wait_loadcnt 0x0
	global_store_b32 v[66:67], v64, off
.LBB50_203:
	s_wait_xcnt 0x0
	s_or_b32 exec_lo, exec_lo, s12
	v_dual_mov_b32 v66, v58 :: v_dual_mov_b32 v64, v58
.LBB50_204:
	s_or_b32 exec_lo, exec_lo, s1
.LBB50_205:
	s_and_not1_saveexec_b32 s0, s0
	s_cbranch_execz .LBB50_207
; %bb.206:
	v_dual_mov_b32 v58, v10 :: v_dual_mov_b32 v59, v11
	v_dual_mov_b32 v66, v6 :: v_dual_mov_b32 v67, v7
	;; [unrolled: 1-line block ×8, first 2 shown]
	ds_store_2addr_b64 v62, v[58:59], v[66:67] offset0:10 offset1:11
	ds_store_2addr_b64 v62, v[68:69], v[70:71] offset0:12 offset1:13
	;; [unrolled: 1-line block ×4, first 2 shown]
	v_dual_mov_b32 v58, v28 :: v_dual_mov_b32 v59, v29
	v_dual_mov_b32 v68, v24 :: v_dual_mov_b32 v69, v25
	;; [unrolled: 1-line block ×7, first 2 shown]
	v_mov_b32_e32 v79, v33
	ds_store_2addr_b64 v62, v[58:59], v[68:69] offset0:18 offset1:19
	ds_store_2addr_b64 v62, v[70:71], v[72:73] offset0:20 offset1:21
	;; [unrolled: 1-line block ×4, first 2 shown]
.LBB50_207:
	s_or_b32 exec_lo, exec_lo, s0
	s_delay_alu instid0(SALU_CYCLE_1)
	s_mov_b32 s0, exec_lo
	s_wait_storecnt_dscnt 0x0
	s_barrier_signal -1
	s_barrier_wait -1
	v_cmpx_lt_i32_e32 9, v66
	s_cbranch_execz .LBB50_209
; %bb.208:
	v_pk_mul_f32 v[68:69], v[60:61], v[8:9] op_sel:[1,1] op_sel_hi:[0,1]
	s_delay_alu instid0(VALU_DEP_1)
	v_pk_fma_f32 v[58:59], v[60:61], v[8:9], v[68:69] op_sel_hi:[1,0,1] neg_lo:[0,0,1] neg_hi:[0,0,1]
	v_pk_fma_f32 v[60:61], v[60:61], v[8:9], v[68:69] op_sel_hi:[1,0,1]
	ds_load_2addr_b64 v[68:71], v62 offset0:10 offset1:11
	v_dual_mov_b32 v8, v58 :: v_dual_mov_b32 v9, v61
	s_wait_dscnt 0x0
	v_pk_mul_f32 v[72:73], v[68:69], v[60:61] op_sel:[0,1]
	s_delay_alu instid0(VALU_DEP_1) | instskip(SKIP_1) | instid1(VALU_DEP_1)
	v_pk_fma_f32 v[74:75], v[68:69], v[58:59], v[72:73] op_sel:[0,0,1] op_sel_hi:[1,1,0] neg_lo:[0,0,1] neg_hi:[0,0,1]
	v_pk_fma_f32 v[68:69], v[68:69], v[58:59], v[72:73] op_sel:[0,0,1] op_sel_hi:[1,0,0]
	v_mov_b32_e32 v75, v69
	v_pk_mul_f32 v[68:69], v[70:71], v[60:61] op_sel:[0,1]
	s_delay_alu instid0(VALU_DEP_1) | instskip(SKIP_1) | instid1(VALU_DEP_1)
	v_pk_fma_f32 v[72:73], v[70:71], v[58:59], v[68:69] op_sel:[0,0,1] op_sel_hi:[1,1,0] neg_lo:[0,0,1] neg_hi:[0,0,1]
	v_pk_fma_f32 v[68:69], v[70:71], v[58:59], v[68:69] op_sel:[0,0,1] op_sel_hi:[1,0,0]
	v_mov_b32_e32 v73, v69
	ds_load_2addr_b64 v[68:71], v62 offset0:12 offset1:13
	v_pk_add_f32 v[10:11], v[10:11], v[74:75] neg_lo:[0,1] neg_hi:[0,1]
	v_pk_add_f32 v[6:7], v[6:7], v[72:73] neg_lo:[0,1] neg_hi:[0,1]
	s_wait_dscnt 0x0
	v_pk_mul_f32 v[72:73], v[68:69], v[60:61] op_sel:[0,1]
	s_delay_alu instid0(VALU_DEP_1) | instskip(SKIP_2) | instid1(VALU_DEP_2)
	v_pk_fma_f32 v[74:75], v[68:69], v[58:59], v[72:73] op_sel:[0,0,1] op_sel_hi:[1,1,0] neg_lo:[0,0,1] neg_hi:[0,0,1]
	v_pk_fma_f32 v[68:69], v[68:69], v[58:59], v[72:73] op_sel:[0,0,1] op_sel_hi:[1,0,0]
	v_dual_mul_f32 v72, v71, v61 :: v_dual_mov_b32 v68, v71
	v_dual_mov_b32 v75, v69 :: v_dual_mov_b32 v69, v70
	s_delay_alu instid0(VALU_DEP_2) | instskip(SKIP_1) | instid1(VALU_DEP_3)
	v_pk_fma_f32 v[72:73], v[70:71], v[8:9], v[72:73] op_sel_hi:[1,1,0] neg_lo:[0,0,1] neg_hi:[0,0,1]
	v_mul_f32_e32 v70, v71, v58
	v_pk_add_f32 v[42:43], v[42:43], v[74:75] neg_lo:[0,1] neg_hi:[0,1]
	s_delay_alu instid0(VALU_DEP_2) | instskip(NEXT) | instid1(VALU_DEP_1)
	v_pk_fma_f32 v[68:69], v[68:69], v[8:9], v[70:71] op_sel_hi:[1,1,0]
	v_mov_b32_e32 v73, v69
	ds_load_2addr_b64 v[68:71], v62 offset0:14 offset1:15
	v_pk_add_f32 v[14:15], v[14:15], v[72:73] neg_lo:[0,1] neg_hi:[0,1]
	s_wait_dscnt 0x0
	v_pk_mul_f32 v[72:73], v[68:69], v[60:61] op_sel:[0,1]
	s_delay_alu instid0(VALU_DEP_1) | instskip(SKIP_1) | instid1(VALU_DEP_1)
	v_pk_fma_f32 v[74:75], v[68:69], v[58:59], v[72:73] op_sel:[0,0,1] op_sel_hi:[1,1,0] neg_lo:[0,0,1] neg_hi:[0,0,1]
	v_pk_fma_f32 v[68:69], v[68:69], v[58:59], v[72:73] op_sel:[0,0,1] op_sel_hi:[1,0,0]
	v_mov_b32_e32 v75, v69
	v_pk_mul_f32 v[68:69], v[70:71], v[60:61] op_sel:[0,1]
	s_delay_alu instid0(VALU_DEP_1) | instskip(SKIP_1) | instid1(VALU_DEP_1)
	v_pk_fma_f32 v[72:73], v[70:71], v[58:59], v[68:69] op_sel:[0,0,1] op_sel_hi:[1,1,0] neg_lo:[0,0,1] neg_hi:[0,0,1]
	v_pk_fma_f32 v[68:69], v[70:71], v[58:59], v[68:69] op_sel:[0,0,1] op_sel_hi:[1,0,0]
	v_mov_b32_e32 v73, v69
	ds_load_2addr_b64 v[68:71], v62 offset0:16 offset1:17
	v_pk_add_f32 v[20:21], v[20:21], v[74:75] neg_lo:[0,1] neg_hi:[0,1]
	v_pk_add_f32 v[12:13], v[12:13], v[72:73] neg_lo:[0,1] neg_hi:[0,1]
	s_wait_dscnt 0x0
	v_pk_mul_f32 v[72:73], v[68:69], v[60:61] op_sel:[0,1]
	s_delay_alu instid0(VALU_DEP_1) | instskip(SKIP_1) | instid1(VALU_DEP_1)
	v_pk_fma_f32 v[74:75], v[68:69], v[58:59], v[72:73] op_sel:[0,0,1] op_sel_hi:[1,1,0] neg_lo:[0,0,1] neg_hi:[0,0,1]
	v_pk_fma_f32 v[68:69], v[68:69], v[58:59], v[72:73] op_sel:[0,0,1] op_sel_hi:[1,0,0]
	v_mov_b32_e32 v75, v69
	v_pk_mul_f32 v[68:69], v[70:71], v[60:61] op_sel:[0,1]
	s_delay_alu instid0(VALU_DEP_1) | instskip(SKIP_1) | instid1(VALU_DEP_1)
	v_pk_fma_f32 v[72:73], v[70:71], v[58:59], v[68:69] op_sel:[0,0,1] op_sel_hi:[1,1,0] neg_lo:[0,0,1] neg_hi:[0,0,1]
	v_pk_fma_f32 v[68:69], v[70:71], v[58:59], v[68:69] op_sel:[0,0,1] op_sel_hi:[1,0,0]
	v_mov_b32_e32 v73, v69
	ds_load_2addr_b64 v[68:71], v62 offset0:18 offset1:19
	v_pk_add_f32 v[46:47], v[46:47], v[74:75] neg_lo:[0,1] neg_hi:[0,1]
	v_pk_add_f32 v[26:27], v[26:27], v[72:73] neg_lo:[0,1] neg_hi:[0,1]
	s_wait_dscnt 0x0
	v_dual_mul_f32 v72, v69, v61 :: v_dual_mul_f32 v74, v69, v58
	s_delay_alu instid0(VALU_DEP_1) | instskip(NEXT) | instid1(VALU_DEP_2)
	v_pk_fma_f32 v[72:73], v[68:69], v[8:9], v[72:73] op_sel_hi:[1,1,0] neg_lo:[0,0,1] neg_hi:[0,0,1]
	v_pk_fma_f32 v[68:69], v[68:69], v[8:9], v[74:75] op_sel:[1,0,0] op_sel_hi:[0,1,0]
	s_delay_alu instid0(VALU_DEP_1) | instskip(SKIP_1) | instid1(VALU_DEP_2)
	v_mov_b32_e32 v73, v69
	v_pk_mul_f32 v[68:69], v[70:71], v[60:61] op_sel:[0,1]
	v_pk_add_f32 v[28:29], v[28:29], v[72:73] neg_lo:[0,1] neg_hi:[0,1]
	s_delay_alu instid0(VALU_DEP_2) | instskip(SKIP_1) | instid1(VALU_DEP_1)
	v_pk_fma_f32 v[72:73], v[70:71], v[58:59], v[68:69] op_sel:[0,0,1] op_sel_hi:[1,1,0] neg_lo:[0,0,1] neg_hi:[0,0,1]
	v_pk_fma_f32 v[68:69], v[70:71], v[58:59], v[68:69] op_sel:[0,0,1] op_sel_hi:[1,0,0]
	v_mov_b32_e32 v73, v69
	ds_load_2addr_b64 v[68:71], v62 offset0:20 offset1:21
	v_pk_add_f32 v[24:25], v[24:25], v[72:73] neg_lo:[0,1] neg_hi:[0,1]
	s_wait_dscnt 0x0
	v_pk_mul_f32 v[72:73], v[68:69], v[60:61] op_sel:[0,1]
	s_delay_alu instid0(VALU_DEP_1) | instskip(SKIP_1) | instid1(VALU_DEP_1)
	v_pk_fma_f32 v[74:75], v[68:69], v[58:59], v[72:73] op_sel:[0,0,1] op_sel_hi:[1,1,0] neg_lo:[0,0,1] neg_hi:[0,0,1]
	v_pk_fma_f32 v[68:69], v[68:69], v[58:59], v[72:73] op_sel:[0,0,1] op_sel_hi:[1,0,0]
	v_mov_b32_e32 v75, v69
	v_pk_mul_f32 v[68:69], v[70:71], v[60:61] op_sel:[0,1]
	s_delay_alu instid0(VALU_DEP_2) | instskip(NEXT) | instid1(VALU_DEP_2)
	v_pk_add_f32 v[38:39], v[38:39], v[74:75] neg_lo:[0,1] neg_hi:[0,1]
	v_pk_fma_f32 v[72:73], v[70:71], v[58:59], v[68:69] op_sel:[0,0,1] op_sel_hi:[1,1,0] neg_lo:[0,0,1] neg_hi:[0,0,1]
	v_pk_fma_f32 v[68:69], v[70:71], v[58:59], v[68:69] op_sel:[0,0,1] op_sel_hi:[1,0,0]
	s_delay_alu instid0(VALU_DEP_1) | instskip(SKIP_4) | instid1(VALU_DEP_1)
	v_mov_b32_e32 v73, v69
	ds_load_2addr_b64 v[68:71], v62 offset0:22 offset1:23
	v_pk_add_f32 v[30:31], v[30:31], v[72:73] neg_lo:[0,1] neg_hi:[0,1]
	s_wait_dscnt 0x0
	v_pk_mul_f32 v[72:73], v[68:69], v[60:61] op_sel:[0,1]
	v_pk_fma_f32 v[74:75], v[68:69], v[58:59], v[72:73] op_sel:[0,0,1] op_sel_hi:[1,1,0] neg_lo:[0,0,1] neg_hi:[0,0,1]
	v_pk_fma_f32 v[68:69], v[68:69], v[58:59], v[72:73] op_sel:[0,0,1] op_sel_hi:[1,0,0]
	v_dual_mul_f32 v72, v71, v61 :: v_dual_mov_b32 v68, v71
	s_delay_alu instid0(VALU_DEP_2) | instskip(NEXT) | instid1(VALU_DEP_2)
	v_dual_mov_b32 v75, v69 :: v_dual_mov_b32 v69, v70
	v_pk_fma_f32 v[72:73], v[70:71], v[8:9], v[72:73] op_sel_hi:[1,1,0] neg_lo:[0,0,1] neg_hi:[0,0,1]
	v_mul_f32_e32 v70, v71, v58
	s_delay_alu instid0(VALU_DEP_3) | instskip(NEXT) | instid1(VALU_DEP_2)
	v_pk_add_f32 v[36:37], v[36:37], v[74:75] neg_lo:[0,1] neg_hi:[0,1]
	v_pk_fma_f32 v[68:69], v[68:69], v[8:9], v[70:71] op_sel_hi:[1,1,0]
	s_delay_alu instid0(VALU_DEP_1)
	v_mov_b32_e32 v73, v69
	ds_load_2addr_b64 v[68:71], v62 offset0:24 offset1:25
	v_pk_add_f32 v[34:35], v[34:35], v[72:73] neg_lo:[0,1] neg_hi:[0,1]
	s_wait_dscnt 0x0
	v_pk_mul_f32 v[72:73], v[68:69], v[60:61] op_sel:[0,1]
	v_pk_mul_f32 v[60:61], v[70:71], v[60:61] op_sel:[0,1]
	s_delay_alu instid0(VALU_DEP_2) | instskip(SKIP_1) | instid1(VALU_DEP_1)
	v_pk_fma_f32 v[74:75], v[68:69], v[58:59], v[72:73] op_sel:[0,0,1] op_sel_hi:[1,1,0] neg_lo:[0,0,1] neg_hi:[0,0,1]
	v_pk_fma_f32 v[68:69], v[68:69], v[58:59], v[72:73] op_sel:[0,0,1] op_sel_hi:[1,0,0]
	v_mov_b32_e32 v75, v69
	s_delay_alu instid0(VALU_DEP_4) | instskip(SKIP_1) | instid1(VALU_DEP_1)
	v_pk_fma_f32 v[68:69], v[70:71], v[58:59], v[60:61] op_sel:[0,0,1] op_sel_hi:[1,1,0] neg_lo:[0,0,1] neg_hi:[0,0,1]
	v_pk_fma_f32 v[58:59], v[70:71], v[58:59], v[60:61] op_sel:[0,0,1] op_sel_hi:[1,0,0]
	v_mov_b32_e32 v69, v59
	s_delay_alu instid0(VALU_DEP_4) | instskip(NEXT) | instid1(VALU_DEP_2)
	v_pk_add_f32 v[32:33], v[32:33], v[74:75] neg_lo:[0,1] neg_hi:[0,1]
	v_pk_add_f32 v[56:57], v[56:57], v[68:69] neg_lo:[0,1] neg_hi:[0,1]
.LBB50_209:
	s_or_b32 exec_lo, exec_lo, s0
	v_lshl_add_u32 v58, v66, 3, v62
	s_barrier_signal -1
	s_barrier_wait -1
	ds_store_b64 v58, v[10:11]
	s_wait_dscnt 0x0
	s_barrier_signal -1
	s_barrier_wait -1
	ds_load_b64 v[60:61], v62 offset:80
	v_mov_b32_e32 v58, 10
	s_cmp_lt_i32 s18, 12
	s_cbranch_scc1 .LBB50_212
; %bb.210:
	v_add3_u32 v59, v63, 0, 0x58
	v_mov_b32_e32 v58, 10
	s_mov_b32 s0, 11
.LBB50_211:                             ; =>This Inner Loop Header: Depth=1
	ds_load_b64 v[68:69], v59
	s_wait_dscnt 0x1
	v_cmp_gt_f32_e32 vcc_lo, 0, v60
	v_cndmask_b32_e64 v70, v60, -v60, vcc_lo
	v_cmp_gt_f32_e32 vcc_lo, 0, v61
	v_cndmask_b32_e64 v72, v61, -v61, vcc_lo
	s_wait_dscnt 0x0
	v_cmp_gt_f32_e32 vcc_lo, 0, v68
	v_cndmask_b32_e64 v71, v68, -v68, vcc_lo
	v_cmp_gt_f32_e32 vcc_lo, 0, v69
	v_cndmask_b32_e64 v73, v69, -v69, vcc_lo
	s_delay_alu instid0(VALU_DEP_1) | instskip(NEXT) | instid1(VALU_DEP_1)
	v_pk_add_f32 v[70:71], v[70:71], v[72:73]
	v_cmp_lt_f32_e32 vcc_lo, v70, v71
	v_dual_add_nc_u32 v59, 8, v59 :: v_dual_cndmask_b32 v61, v61, v69, vcc_lo
	v_cndmask_b32_e32 v60, v60, v68, vcc_lo
	v_cndmask_b32_e64 v58, v58, s0, vcc_lo
	s_add_co_i32 s0, s0, 1
	s_delay_alu instid0(SALU_CYCLE_1)
	s_cmp_lg_u32 s18, s0
	s_cbranch_scc1 .LBB50_211
.LBB50_212:
	s_wait_dscnt 0x0
	v_cmp_eq_f32_e32 vcc_lo, 0, v60
	v_cmp_eq_f32_e64 s0, 0, v61
	s_and_b32 s0, vcc_lo, s0
	s_delay_alu instid0(SALU_CYCLE_1) | instskip(NEXT) | instid1(SALU_CYCLE_1)
	s_and_saveexec_b32 s1, s0
	s_xor_b32 s0, exec_lo, s1
; %bb.213:
	v_cmp_ne_u32_e32 vcc_lo, 0, v65
	v_cndmask_b32_e32 v65, 11, v65, vcc_lo
; %bb.214:
	s_and_not1_saveexec_b32 s0, s0
	s_cbranch_execz .LBB50_220
; %bb.215:
	v_cmp_ngt_f32_e64 s1, |v60|, |v61|
	s_and_saveexec_b32 s12, s1
	s_delay_alu instid0(SALU_CYCLE_1)
	s_xor_b32 s1, exec_lo, s12
	s_cbranch_execz .LBB50_217
; %bb.216:
	v_div_scale_f32 v59, null, v61, v61, v60
	v_div_scale_f32 v69, vcc_lo, v60, v61, v60
	s_delay_alu instid0(VALU_DEP_2) | instskip(SKIP_1) | instid1(TRANS32_DEP_1)
	v_rcp_f32_e32 v67, v59
	v_nop
	v_fma_f32 v68, -v59, v67, 1.0
	s_delay_alu instid0(VALU_DEP_1) | instskip(NEXT) | instid1(VALU_DEP_1)
	v_fmac_f32_e32 v67, v68, v67
	v_mul_f32_e32 v68, v69, v67
	s_delay_alu instid0(VALU_DEP_1) | instskip(NEXT) | instid1(VALU_DEP_1)
	v_fma_f32 v70, -v59, v68, v69
	v_fmac_f32_e32 v68, v70, v67
	s_delay_alu instid0(VALU_DEP_1) | instskip(NEXT) | instid1(VALU_DEP_1)
	v_fma_f32 v59, -v59, v68, v69
	v_div_fmas_f32 v59, v59, v67, v68
	s_delay_alu instid0(VALU_DEP_1) | instskip(NEXT) | instid1(VALU_DEP_1)
	v_div_fixup_f32 v59, v59, v61, v60
	v_fmac_f32_e32 v61, v60, v59
	s_delay_alu instid0(VALU_DEP_1) | instskip(SKIP_1) | instid1(VALU_DEP_2)
	v_div_scale_f32 v60, null, v61, v61, 1.0
	v_div_scale_f32 v69, vcc_lo, 1.0, v61, 1.0
	v_rcp_f32_e32 v67, v60
	v_nop
	s_delay_alu instid0(TRANS32_DEP_1) | instskip(NEXT) | instid1(VALU_DEP_1)
	v_fma_f32 v68, -v60, v67, 1.0
	v_fmac_f32_e32 v67, v68, v67
	s_delay_alu instid0(VALU_DEP_1) | instskip(NEXT) | instid1(VALU_DEP_1)
	v_mul_f32_e32 v68, v69, v67
	v_fma_f32 v70, -v60, v68, v69
	s_delay_alu instid0(VALU_DEP_1) | instskip(NEXT) | instid1(VALU_DEP_1)
	v_fmac_f32_e32 v68, v70, v67
	v_fma_f32 v60, -v60, v68, v69
	s_delay_alu instid0(VALU_DEP_1) | instskip(NEXT) | instid1(VALU_DEP_1)
	v_div_fmas_f32 v60, v60, v67, v68
	v_div_fixup_f32 v61, v60, v61, 1.0
	s_delay_alu instid0(VALU_DEP_1)
	v_mul_f32_e32 v60, v59, v61
	v_xor_b32_e32 v61, 0x80000000, v61
.LBB50_217:
	s_and_not1_saveexec_b32 s1, s1
	s_cbranch_execz .LBB50_219
; %bb.218:
	s_delay_alu instid0(VALU_DEP_1) | instskip(SKIP_1) | instid1(VALU_DEP_2)
	v_div_scale_f32 v59, null, v60, v60, v61
	v_div_scale_f32 v69, vcc_lo, v61, v60, v61
	v_rcp_f32_e32 v67, v59
	v_nop
	s_delay_alu instid0(TRANS32_DEP_1) | instskip(NEXT) | instid1(VALU_DEP_1)
	v_fma_f32 v68, -v59, v67, 1.0
	v_fmac_f32_e32 v67, v68, v67
	s_delay_alu instid0(VALU_DEP_1) | instskip(NEXT) | instid1(VALU_DEP_1)
	v_mul_f32_e32 v68, v69, v67
	v_fma_f32 v70, -v59, v68, v69
	s_delay_alu instid0(VALU_DEP_1) | instskip(NEXT) | instid1(VALU_DEP_1)
	v_fmac_f32_e32 v68, v70, v67
	v_fma_f32 v59, -v59, v68, v69
	s_delay_alu instid0(VALU_DEP_1) | instskip(NEXT) | instid1(VALU_DEP_1)
	v_div_fmas_f32 v59, v59, v67, v68
	v_div_fixup_f32 v59, v59, v60, v61
	s_delay_alu instid0(VALU_DEP_1) | instskip(NEXT) | instid1(VALU_DEP_1)
	v_fmac_f32_e32 v60, v61, v59
	v_div_scale_f32 v61, null, v60, v60, 1.0
	s_delay_alu instid0(VALU_DEP_1) | instskip(SKIP_1) | instid1(TRANS32_DEP_1)
	v_rcp_f32_e32 v67, v61
	v_nop
	v_fma_f32 v68, -v61, v67, 1.0
	s_delay_alu instid0(VALU_DEP_1) | instskip(SKIP_1) | instid1(VALU_DEP_1)
	v_fmac_f32_e32 v67, v68, v67
	v_div_scale_f32 v68, vcc_lo, 1.0, v60, 1.0
	v_mul_f32_e32 v69, v68, v67
	s_delay_alu instid0(VALU_DEP_1) | instskip(NEXT) | instid1(VALU_DEP_1)
	v_fma_f32 v70, -v61, v69, v68
	v_fmac_f32_e32 v69, v70, v67
	s_delay_alu instid0(VALU_DEP_1) | instskip(NEXT) | instid1(VALU_DEP_1)
	v_fma_f32 v61, -v61, v69, v68
	v_div_fmas_f32 v61, v61, v67, v69
	s_delay_alu instid0(VALU_DEP_1) | instskip(NEXT) | instid1(VALU_DEP_1)
	v_div_fixup_f32 v60, v61, v60, 1.0
	v_mul_f32_e64 v61, v59, -v60
.LBB50_219:
	s_or_b32 exec_lo, exec_lo, s1
.LBB50_220:
	s_delay_alu instid0(SALU_CYCLE_1) | instskip(NEXT) | instid1(SALU_CYCLE_1)
	s_or_b32 exec_lo, exec_lo, s0
	s_mov_b32 s0, exec_lo
	v_cmpx_ne_u32_e64 v66, v58
	s_xor_b32 s0, exec_lo, s0
	s_cbranch_execz .LBB50_226
; %bb.221:
	s_mov_b32 s1, exec_lo
	v_cmpx_eq_u32_e32 10, v66
	s_cbranch_execz .LBB50_225
; %bb.222:
	v_cmp_ne_u32_e32 vcc_lo, 10, v58
	s_xor_b32 s12, s16, -1
	s_delay_alu instid0(SALU_CYCLE_1) | instskip(NEXT) | instid1(SALU_CYCLE_1)
	s_and_b32 s13, s12, vcc_lo
	s_and_saveexec_b32 s12, s13
	s_cbranch_execz .LBB50_224
; %bb.223:
	v_ashrrev_i32_e32 v59, 31, v58
	s_delay_alu instid0(VALU_DEP_1)
	v_lshl_add_u64 v[66:67], v[58:59], 2, v[4:5]
	s_clause 0x1
	global_load_b32 v59, v[66:67], off
	global_load_b32 v64, v[4:5], off offset:40
	s_wait_loadcnt 0x1
	global_store_b32 v[4:5], v59, off offset:40
	s_wait_loadcnt 0x0
	global_store_b32 v[66:67], v64, off
.LBB50_224:
	s_wait_xcnt 0x0
	s_or_b32 exec_lo, exec_lo, s12
	v_dual_mov_b32 v66, v58 :: v_dual_mov_b32 v64, v58
.LBB50_225:
	s_or_b32 exec_lo, exec_lo, s1
.LBB50_226:
	s_and_not1_saveexec_b32 s0, s0
	s_cbranch_execz .LBB50_228
; %bb.227:
	v_mov_b32_e32 v66, 10
	ds_store_2addr_b64 v62, v[6:7], v[42:43] offset0:11 offset1:12
	ds_store_2addr_b64 v62, v[14:15], v[20:21] offset0:13 offset1:14
	;; [unrolled: 1-line block ×7, first 2 shown]
	ds_store_b64 v62, v[56:57] offset:200
.LBB50_228:
	s_or_b32 exec_lo, exec_lo, s0
	s_delay_alu instid0(SALU_CYCLE_1)
	s_mov_b32 s0, exec_lo
	s_wait_storecnt_dscnt 0x0
	s_barrier_signal -1
	s_barrier_wait -1
	v_cmpx_lt_i32_e32 10, v66
	s_cbranch_execz .LBB50_230
; %bb.229:
	v_pk_mul_f32 v[68:69], v[60:61], v[10:11] op_sel:[1,1] op_sel_hi:[0,1]
	s_delay_alu instid0(VALU_DEP_1)
	v_pk_fma_f32 v[58:59], v[60:61], v[10:11], v[68:69] op_sel_hi:[1,0,1] neg_lo:[0,0,1] neg_hi:[0,0,1]
	v_pk_fma_f32 v[60:61], v[60:61], v[10:11], v[68:69] op_sel_hi:[1,0,1]
	ds_load_2addr_b64 v[68:71], v62 offset0:11 offset1:12
	v_dual_mov_b32 v10, v58 :: v_dual_mov_b32 v11, v61
	s_wait_dscnt 0x0
	v_pk_mul_f32 v[72:73], v[68:69], v[60:61] op_sel:[0,1]
	s_delay_alu instid0(VALU_DEP_1) | instskip(SKIP_1) | instid1(VALU_DEP_1)
	v_pk_fma_f32 v[74:75], v[68:69], v[58:59], v[72:73] op_sel:[0,0,1] op_sel_hi:[1,1,0] neg_lo:[0,0,1] neg_hi:[0,0,1]
	v_pk_fma_f32 v[68:69], v[68:69], v[58:59], v[72:73] op_sel:[0,0,1] op_sel_hi:[1,0,0]
	v_mov_b32_e32 v75, v69
	v_pk_mul_f32 v[68:69], v[70:71], v[60:61] op_sel:[0,1]
	s_delay_alu instid0(VALU_DEP_1) | instskip(SKIP_1) | instid1(VALU_DEP_1)
	v_pk_fma_f32 v[72:73], v[70:71], v[58:59], v[68:69] op_sel:[0,0,1] op_sel_hi:[1,1,0] neg_lo:[0,0,1] neg_hi:[0,0,1]
	v_pk_fma_f32 v[68:69], v[70:71], v[58:59], v[68:69] op_sel:[0,0,1] op_sel_hi:[1,0,0]
	v_mov_b32_e32 v73, v69
	ds_load_2addr_b64 v[68:71], v62 offset0:13 offset1:14
	v_pk_add_f32 v[6:7], v[6:7], v[74:75] neg_lo:[0,1] neg_hi:[0,1]
	v_pk_add_f32 v[42:43], v[42:43], v[72:73] neg_lo:[0,1] neg_hi:[0,1]
	s_wait_dscnt 0x0
	v_pk_mul_f32 v[72:73], v[68:69], v[60:61] op_sel:[0,1]
	s_delay_alu instid0(VALU_DEP_1) | instskip(SKIP_2) | instid1(VALU_DEP_2)
	v_pk_fma_f32 v[74:75], v[68:69], v[58:59], v[72:73] op_sel:[0,0,1] op_sel_hi:[1,1,0] neg_lo:[0,0,1] neg_hi:[0,0,1]
	v_pk_fma_f32 v[68:69], v[68:69], v[58:59], v[72:73] op_sel:[0,0,1] op_sel_hi:[1,0,0]
	v_dual_mul_f32 v72, v71, v61 :: v_dual_mov_b32 v68, v71
	v_dual_mov_b32 v75, v69 :: v_dual_mov_b32 v69, v70
	s_delay_alu instid0(VALU_DEP_2) | instskip(SKIP_1) | instid1(VALU_DEP_3)
	v_pk_fma_f32 v[72:73], v[70:71], v[10:11], v[72:73] op_sel_hi:[1,1,0] neg_lo:[0,0,1] neg_hi:[0,0,1]
	v_mul_f32_e32 v70, v71, v58
	v_pk_add_f32 v[14:15], v[14:15], v[74:75] neg_lo:[0,1] neg_hi:[0,1]
	s_delay_alu instid0(VALU_DEP_2) | instskip(NEXT) | instid1(VALU_DEP_1)
	v_pk_fma_f32 v[68:69], v[68:69], v[10:11], v[70:71] op_sel_hi:[1,1,0]
	v_mov_b32_e32 v73, v69
	ds_load_2addr_b64 v[68:71], v62 offset0:15 offset1:16
	v_pk_add_f32 v[20:21], v[20:21], v[72:73] neg_lo:[0,1] neg_hi:[0,1]
	s_wait_dscnt 0x0
	v_pk_mul_f32 v[72:73], v[68:69], v[60:61] op_sel:[0,1]
	s_delay_alu instid0(VALU_DEP_1) | instskip(SKIP_1) | instid1(VALU_DEP_1)
	v_pk_fma_f32 v[74:75], v[68:69], v[58:59], v[72:73] op_sel:[0,0,1] op_sel_hi:[1,1,0] neg_lo:[0,0,1] neg_hi:[0,0,1]
	v_pk_fma_f32 v[68:69], v[68:69], v[58:59], v[72:73] op_sel:[0,0,1] op_sel_hi:[1,0,0]
	v_mov_b32_e32 v75, v69
	v_pk_mul_f32 v[68:69], v[70:71], v[60:61] op_sel:[0,1]
	s_delay_alu instid0(VALU_DEP_1) | instskip(SKIP_1) | instid1(VALU_DEP_1)
	v_pk_fma_f32 v[72:73], v[70:71], v[58:59], v[68:69] op_sel:[0,0,1] op_sel_hi:[1,1,0] neg_lo:[0,0,1] neg_hi:[0,0,1]
	v_pk_fma_f32 v[68:69], v[70:71], v[58:59], v[68:69] op_sel:[0,0,1] op_sel_hi:[1,0,0]
	v_mov_b32_e32 v73, v69
	ds_load_2addr_b64 v[68:71], v62 offset0:17 offset1:18
	v_pk_add_f32 v[12:13], v[12:13], v[74:75] neg_lo:[0,1] neg_hi:[0,1]
	v_pk_add_f32 v[46:47], v[46:47], v[72:73] neg_lo:[0,1] neg_hi:[0,1]
	s_wait_dscnt 0x0
	v_pk_mul_f32 v[72:73], v[68:69], v[60:61] op_sel:[0,1]
	s_delay_alu instid0(VALU_DEP_1) | instskip(SKIP_1) | instid1(VALU_DEP_1)
	v_pk_fma_f32 v[74:75], v[68:69], v[58:59], v[72:73] op_sel:[0,0,1] op_sel_hi:[1,1,0] neg_lo:[0,0,1] neg_hi:[0,0,1]
	v_pk_fma_f32 v[68:69], v[68:69], v[58:59], v[72:73] op_sel:[0,0,1] op_sel_hi:[1,0,0]
	v_mov_b32_e32 v75, v69
	v_pk_mul_f32 v[68:69], v[70:71], v[60:61] op_sel:[0,1]
	s_delay_alu instid0(VALU_DEP_1) | instskip(SKIP_1) | instid1(VALU_DEP_1)
	v_pk_fma_f32 v[72:73], v[70:71], v[58:59], v[68:69] op_sel:[0,0,1] op_sel_hi:[1,1,0] neg_lo:[0,0,1] neg_hi:[0,0,1]
	v_pk_fma_f32 v[68:69], v[70:71], v[58:59], v[68:69] op_sel:[0,0,1] op_sel_hi:[1,0,0]
	v_mov_b32_e32 v73, v69
	ds_load_2addr_b64 v[68:71], v62 offset0:19 offset1:20
	v_pk_add_f32 v[26:27], v[26:27], v[74:75] neg_lo:[0,1] neg_hi:[0,1]
	v_pk_add_f32 v[28:29], v[28:29], v[72:73] neg_lo:[0,1] neg_hi:[0,1]
	s_wait_dscnt 0x0
	v_dual_mul_f32 v72, v69, v61 :: v_dual_mul_f32 v74, v69, v58
	s_delay_alu instid0(VALU_DEP_1) | instskip(NEXT) | instid1(VALU_DEP_2)
	v_pk_fma_f32 v[72:73], v[68:69], v[10:11], v[72:73] op_sel_hi:[1,1,0] neg_lo:[0,0,1] neg_hi:[0,0,1]
	v_pk_fma_f32 v[68:69], v[68:69], v[10:11], v[74:75] op_sel:[1,0,0] op_sel_hi:[0,1,0]
	s_delay_alu instid0(VALU_DEP_1) | instskip(SKIP_1) | instid1(VALU_DEP_2)
	v_mov_b32_e32 v73, v69
	v_pk_mul_f32 v[68:69], v[70:71], v[60:61] op_sel:[0,1]
	v_pk_add_f32 v[24:25], v[24:25], v[72:73] neg_lo:[0,1] neg_hi:[0,1]
	s_delay_alu instid0(VALU_DEP_2) | instskip(SKIP_1) | instid1(VALU_DEP_1)
	v_pk_fma_f32 v[72:73], v[70:71], v[58:59], v[68:69] op_sel:[0,0,1] op_sel_hi:[1,1,0] neg_lo:[0,0,1] neg_hi:[0,0,1]
	v_pk_fma_f32 v[68:69], v[70:71], v[58:59], v[68:69] op_sel:[0,0,1] op_sel_hi:[1,0,0]
	v_mov_b32_e32 v73, v69
	ds_load_2addr_b64 v[68:71], v62 offset0:21 offset1:22
	v_pk_add_f32 v[38:39], v[38:39], v[72:73] neg_lo:[0,1] neg_hi:[0,1]
	s_wait_dscnt 0x0
	v_pk_mul_f32 v[72:73], v[68:69], v[60:61] op_sel:[0,1]
	s_delay_alu instid0(VALU_DEP_1) | instskip(SKIP_1) | instid1(VALU_DEP_1)
	v_pk_fma_f32 v[74:75], v[68:69], v[58:59], v[72:73] op_sel:[0,0,1] op_sel_hi:[1,1,0] neg_lo:[0,0,1] neg_hi:[0,0,1]
	v_pk_fma_f32 v[68:69], v[68:69], v[58:59], v[72:73] op_sel:[0,0,1] op_sel_hi:[1,0,0]
	v_mov_b32_e32 v75, v69
	v_pk_mul_f32 v[68:69], v[70:71], v[60:61] op_sel:[0,1]
	s_delay_alu instid0(VALU_DEP_2) | instskip(NEXT) | instid1(VALU_DEP_2)
	v_pk_add_f32 v[30:31], v[30:31], v[74:75] neg_lo:[0,1] neg_hi:[0,1]
	v_pk_fma_f32 v[72:73], v[70:71], v[58:59], v[68:69] op_sel:[0,0,1] op_sel_hi:[1,1,0] neg_lo:[0,0,1] neg_hi:[0,0,1]
	v_pk_fma_f32 v[68:69], v[70:71], v[58:59], v[68:69] op_sel:[0,0,1] op_sel_hi:[1,0,0]
	s_delay_alu instid0(VALU_DEP_1) | instskip(SKIP_4) | instid1(VALU_DEP_1)
	v_mov_b32_e32 v73, v69
	ds_load_2addr_b64 v[68:71], v62 offset0:23 offset1:24
	v_pk_add_f32 v[36:37], v[36:37], v[72:73] neg_lo:[0,1] neg_hi:[0,1]
	s_wait_dscnt 0x0
	v_pk_mul_f32 v[72:73], v[68:69], v[60:61] op_sel:[0,1]
	v_pk_fma_f32 v[74:75], v[68:69], v[58:59], v[72:73] op_sel:[0,0,1] op_sel_hi:[1,1,0] neg_lo:[0,0,1] neg_hi:[0,0,1]
	v_pk_fma_f32 v[68:69], v[68:69], v[58:59], v[72:73] op_sel:[0,0,1] op_sel_hi:[1,0,0]
	v_dual_mul_f32 v72, v71, v61 :: v_dual_mov_b32 v68, v71
	s_delay_alu instid0(VALU_DEP_2) | instskip(NEXT) | instid1(VALU_DEP_2)
	v_dual_mov_b32 v75, v69 :: v_dual_mov_b32 v69, v70
	v_pk_fma_f32 v[72:73], v[70:71], v[10:11], v[72:73] op_sel_hi:[1,1,0] neg_lo:[0,0,1] neg_hi:[0,0,1]
	v_mul_f32_e32 v70, v71, v58
	s_delay_alu instid0(VALU_DEP_3) | instskip(NEXT) | instid1(VALU_DEP_2)
	v_pk_add_f32 v[34:35], v[34:35], v[74:75] neg_lo:[0,1] neg_hi:[0,1]
	v_pk_fma_f32 v[68:69], v[68:69], v[10:11], v[70:71] op_sel_hi:[1,1,0]
	s_delay_alu instid0(VALU_DEP_1) | instskip(SKIP_4) | instid1(VALU_DEP_1)
	v_mov_b32_e32 v73, v69
	ds_load_b64 v[68:69], v62 offset:200
	v_pk_add_f32 v[32:33], v[32:33], v[72:73] neg_lo:[0,1] neg_hi:[0,1]
	s_wait_dscnt 0x0
	v_pk_mul_f32 v[60:61], v[68:69], v[60:61] op_sel:[0,1]
	v_pk_fma_f32 v[70:71], v[68:69], v[58:59], v[60:61] op_sel:[0,0,1] op_sel_hi:[1,1,0] neg_lo:[0,0,1] neg_hi:[0,0,1]
	v_pk_fma_f32 v[58:59], v[68:69], v[58:59], v[60:61] op_sel:[0,0,1] op_sel_hi:[1,0,0]
	s_delay_alu instid0(VALU_DEP_1) | instskip(NEXT) | instid1(VALU_DEP_1)
	v_mov_b32_e32 v71, v59
	v_pk_add_f32 v[56:57], v[56:57], v[70:71] neg_lo:[0,1] neg_hi:[0,1]
.LBB50_230:
	s_or_b32 exec_lo, exec_lo, s0
	v_lshl_add_u32 v58, v66, 3, v62
	s_barrier_signal -1
	s_barrier_wait -1
	ds_store_b64 v58, v[6:7]
	s_wait_dscnt 0x0
	s_barrier_signal -1
	s_barrier_wait -1
	ds_load_b64 v[60:61], v62 offset:88
	v_mov_b32_e32 v58, 11
	s_cmp_lt_i32 s18, 13
	s_cbranch_scc1 .LBB50_233
; %bb.231:
	v_add3_u32 v59, v63, 0, 0x60
	v_mov_b32_e32 v58, 11
	s_mov_b32 s0, 12
.LBB50_232:                             ; =>This Inner Loop Header: Depth=1
	ds_load_b64 v[68:69], v59
	s_wait_dscnt 0x1
	v_cmp_gt_f32_e32 vcc_lo, 0, v60
	v_cndmask_b32_e64 v70, v60, -v60, vcc_lo
	v_cmp_gt_f32_e32 vcc_lo, 0, v61
	v_cndmask_b32_e64 v72, v61, -v61, vcc_lo
	s_wait_dscnt 0x0
	v_cmp_gt_f32_e32 vcc_lo, 0, v68
	v_cndmask_b32_e64 v71, v68, -v68, vcc_lo
	v_cmp_gt_f32_e32 vcc_lo, 0, v69
	v_cndmask_b32_e64 v73, v69, -v69, vcc_lo
	s_delay_alu instid0(VALU_DEP_1) | instskip(NEXT) | instid1(VALU_DEP_1)
	v_pk_add_f32 v[70:71], v[70:71], v[72:73]
	v_cmp_lt_f32_e32 vcc_lo, v70, v71
	v_dual_add_nc_u32 v59, 8, v59 :: v_dual_cndmask_b32 v61, v61, v69, vcc_lo
	v_cndmask_b32_e32 v60, v60, v68, vcc_lo
	v_cndmask_b32_e64 v58, v58, s0, vcc_lo
	s_add_co_i32 s0, s0, 1
	s_delay_alu instid0(SALU_CYCLE_1)
	s_cmp_lg_u32 s18, s0
	s_cbranch_scc1 .LBB50_232
.LBB50_233:
	s_wait_dscnt 0x0
	v_cmp_eq_f32_e32 vcc_lo, 0, v60
	v_cmp_eq_f32_e64 s0, 0, v61
	s_and_b32 s0, vcc_lo, s0
	s_delay_alu instid0(SALU_CYCLE_1) | instskip(NEXT) | instid1(SALU_CYCLE_1)
	s_and_saveexec_b32 s1, s0
	s_xor_b32 s0, exec_lo, s1
; %bb.234:
	v_cmp_ne_u32_e32 vcc_lo, 0, v65
	v_cndmask_b32_e32 v65, 12, v65, vcc_lo
; %bb.235:
	s_and_not1_saveexec_b32 s0, s0
	s_cbranch_execz .LBB50_241
; %bb.236:
	v_cmp_ngt_f32_e64 s1, |v60|, |v61|
	s_and_saveexec_b32 s12, s1
	s_delay_alu instid0(SALU_CYCLE_1)
	s_xor_b32 s1, exec_lo, s12
	s_cbranch_execz .LBB50_238
; %bb.237:
	v_div_scale_f32 v59, null, v61, v61, v60
	v_div_scale_f32 v69, vcc_lo, v60, v61, v60
	s_delay_alu instid0(VALU_DEP_2) | instskip(SKIP_1) | instid1(TRANS32_DEP_1)
	v_rcp_f32_e32 v67, v59
	v_nop
	v_fma_f32 v68, -v59, v67, 1.0
	s_delay_alu instid0(VALU_DEP_1) | instskip(NEXT) | instid1(VALU_DEP_1)
	v_fmac_f32_e32 v67, v68, v67
	v_mul_f32_e32 v68, v69, v67
	s_delay_alu instid0(VALU_DEP_1) | instskip(NEXT) | instid1(VALU_DEP_1)
	v_fma_f32 v70, -v59, v68, v69
	v_fmac_f32_e32 v68, v70, v67
	s_delay_alu instid0(VALU_DEP_1) | instskip(NEXT) | instid1(VALU_DEP_1)
	v_fma_f32 v59, -v59, v68, v69
	v_div_fmas_f32 v59, v59, v67, v68
	s_delay_alu instid0(VALU_DEP_1) | instskip(NEXT) | instid1(VALU_DEP_1)
	v_div_fixup_f32 v59, v59, v61, v60
	v_fmac_f32_e32 v61, v60, v59
	s_delay_alu instid0(VALU_DEP_1) | instskip(SKIP_1) | instid1(VALU_DEP_2)
	v_div_scale_f32 v60, null, v61, v61, 1.0
	v_div_scale_f32 v69, vcc_lo, 1.0, v61, 1.0
	v_rcp_f32_e32 v67, v60
	v_nop
	s_delay_alu instid0(TRANS32_DEP_1) | instskip(NEXT) | instid1(VALU_DEP_1)
	v_fma_f32 v68, -v60, v67, 1.0
	v_fmac_f32_e32 v67, v68, v67
	s_delay_alu instid0(VALU_DEP_1) | instskip(NEXT) | instid1(VALU_DEP_1)
	v_mul_f32_e32 v68, v69, v67
	v_fma_f32 v70, -v60, v68, v69
	s_delay_alu instid0(VALU_DEP_1) | instskip(NEXT) | instid1(VALU_DEP_1)
	v_fmac_f32_e32 v68, v70, v67
	v_fma_f32 v60, -v60, v68, v69
	s_delay_alu instid0(VALU_DEP_1) | instskip(NEXT) | instid1(VALU_DEP_1)
	v_div_fmas_f32 v60, v60, v67, v68
	v_div_fixup_f32 v61, v60, v61, 1.0
	s_delay_alu instid0(VALU_DEP_1)
	v_mul_f32_e32 v60, v59, v61
	v_xor_b32_e32 v61, 0x80000000, v61
.LBB50_238:
	s_and_not1_saveexec_b32 s1, s1
	s_cbranch_execz .LBB50_240
; %bb.239:
	s_delay_alu instid0(VALU_DEP_1) | instskip(SKIP_1) | instid1(VALU_DEP_2)
	v_div_scale_f32 v59, null, v60, v60, v61
	v_div_scale_f32 v69, vcc_lo, v61, v60, v61
	v_rcp_f32_e32 v67, v59
	v_nop
	s_delay_alu instid0(TRANS32_DEP_1) | instskip(NEXT) | instid1(VALU_DEP_1)
	v_fma_f32 v68, -v59, v67, 1.0
	v_fmac_f32_e32 v67, v68, v67
	s_delay_alu instid0(VALU_DEP_1) | instskip(NEXT) | instid1(VALU_DEP_1)
	v_mul_f32_e32 v68, v69, v67
	v_fma_f32 v70, -v59, v68, v69
	s_delay_alu instid0(VALU_DEP_1) | instskip(NEXT) | instid1(VALU_DEP_1)
	v_fmac_f32_e32 v68, v70, v67
	v_fma_f32 v59, -v59, v68, v69
	s_delay_alu instid0(VALU_DEP_1) | instskip(NEXT) | instid1(VALU_DEP_1)
	v_div_fmas_f32 v59, v59, v67, v68
	v_div_fixup_f32 v59, v59, v60, v61
	s_delay_alu instid0(VALU_DEP_1) | instskip(NEXT) | instid1(VALU_DEP_1)
	v_fmac_f32_e32 v60, v61, v59
	v_div_scale_f32 v61, null, v60, v60, 1.0
	s_delay_alu instid0(VALU_DEP_1) | instskip(SKIP_1) | instid1(TRANS32_DEP_1)
	v_rcp_f32_e32 v67, v61
	v_nop
	v_fma_f32 v68, -v61, v67, 1.0
	s_delay_alu instid0(VALU_DEP_1) | instskip(SKIP_1) | instid1(VALU_DEP_1)
	v_fmac_f32_e32 v67, v68, v67
	v_div_scale_f32 v68, vcc_lo, 1.0, v60, 1.0
	v_mul_f32_e32 v69, v68, v67
	s_delay_alu instid0(VALU_DEP_1) | instskip(NEXT) | instid1(VALU_DEP_1)
	v_fma_f32 v70, -v61, v69, v68
	v_fmac_f32_e32 v69, v70, v67
	s_delay_alu instid0(VALU_DEP_1) | instskip(NEXT) | instid1(VALU_DEP_1)
	v_fma_f32 v61, -v61, v69, v68
	v_div_fmas_f32 v61, v61, v67, v69
	s_delay_alu instid0(VALU_DEP_1) | instskip(NEXT) | instid1(VALU_DEP_1)
	v_div_fixup_f32 v60, v61, v60, 1.0
	v_mul_f32_e64 v61, v59, -v60
.LBB50_240:
	s_or_b32 exec_lo, exec_lo, s1
.LBB50_241:
	s_delay_alu instid0(SALU_CYCLE_1) | instskip(NEXT) | instid1(SALU_CYCLE_1)
	s_or_b32 exec_lo, exec_lo, s0
	s_mov_b32 s0, exec_lo
	v_cmpx_ne_u32_e64 v66, v58
	s_xor_b32 s0, exec_lo, s0
	s_cbranch_execz .LBB50_247
; %bb.242:
	s_mov_b32 s1, exec_lo
	v_cmpx_eq_u32_e32 11, v66
	s_cbranch_execz .LBB50_246
; %bb.243:
	v_cmp_ne_u32_e32 vcc_lo, 11, v58
	s_xor_b32 s12, s16, -1
	s_delay_alu instid0(SALU_CYCLE_1) | instskip(NEXT) | instid1(SALU_CYCLE_1)
	s_and_b32 s13, s12, vcc_lo
	s_and_saveexec_b32 s12, s13
	s_cbranch_execz .LBB50_245
; %bb.244:
	v_ashrrev_i32_e32 v59, 31, v58
	s_delay_alu instid0(VALU_DEP_1)
	v_lshl_add_u64 v[66:67], v[58:59], 2, v[4:5]
	s_clause 0x1
	global_load_b32 v59, v[66:67], off
	global_load_b32 v64, v[4:5], off offset:44
	s_wait_loadcnt 0x1
	global_store_b32 v[4:5], v59, off offset:44
	s_wait_loadcnt 0x0
	global_store_b32 v[66:67], v64, off
.LBB50_245:
	s_wait_xcnt 0x0
	s_or_b32 exec_lo, exec_lo, s12
	v_dual_mov_b32 v66, v58 :: v_dual_mov_b32 v64, v58
.LBB50_246:
	s_or_b32 exec_lo, exec_lo, s1
.LBB50_247:
	s_and_not1_saveexec_b32 s0, s0
	s_cbranch_execz .LBB50_249
; %bb.248:
	v_dual_mov_b32 v58, v42 :: v_dual_mov_b32 v59, v43
	v_dual_mov_b32 v66, v14 :: v_dual_mov_b32 v67, v15
	ds_store_2addr_b64 v62, v[58:59], v[66:67] offset0:12 offset1:13
	v_dual_mov_b32 v58, v20 :: v_dual_mov_b32 v59, v21
	v_dual_mov_b32 v66, v12 :: v_dual_mov_b32 v67, v13
	ds_store_2addr_b64 v62, v[58:59], v[66:67] offset0:14 offset1:15
	;; [unrolled: 3-line block ×6, first 2 shown]
	v_dual_mov_b32 v58, v32 :: v_dual_mov_b32 v59, v33
	v_mov_b32_e32 v66, 11
	ds_store_2addr_b64 v62, v[58:59], v[56:57] offset0:24 offset1:25
.LBB50_249:
	s_or_b32 exec_lo, exec_lo, s0
	s_delay_alu instid0(SALU_CYCLE_1)
	s_mov_b32 s0, exec_lo
	s_wait_storecnt_dscnt 0x0
	s_barrier_signal -1
	s_barrier_wait -1
	v_cmpx_lt_i32_e32 11, v66
	s_cbranch_execz .LBB50_251
; %bb.250:
	v_pk_mul_f32 v[68:69], v[60:61], v[6:7] op_sel:[1,1] op_sel_hi:[0,1]
	s_delay_alu instid0(VALU_DEP_1)
	v_pk_fma_f32 v[58:59], v[60:61], v[6:7], v[68:69] op_sel_hi:[1,0,1] neg_lo:[0,0,1] neg_hi:[0,0,1]
	v_pk_fma_f32 v[60:61], v[60:61], v[6:7], v[68:69] op_sel_hi:[1,0,1]
	ds_load_2addr_b64 v[68:71], v62 offset0:12 offset1:13
	v_dual_mov_b32 v6, v58 :: v_dual_mov_b32 v7, v61
	s_wait_dscnt 0x0
	v_pk_mul_f32 v[72:73], v[68:69], v[60:61] op_sel:[0,1]
	s_delay_alu instid0(VALU_DEP_1) | instskip(SKIP_1) | instid1(VALU_DEP_1)
	v_pk_fma_f32 v[74:75], v[68:69], v[58:59], v[72:73] op_sel:[0,0,1] op_sel_hi:[1,1,0] neg_lo:[0,0,1] neg_hi:[0,0,1]
	v_pk_fma_f32 v[68:69], v[68:69], v[58:59], v[72:73] op_sel:[0,0,1] op_sel_hi:[1,0,0]
	v_mov_b32_e32 v75, v69
	v_pk_mul_f32 v[68:69], v[70:71], v[60:61] op_sel:[0,1]
	s_delay_alu instid0(VALU_DEP_1) | instskip(SKIP_1) | instid1(VALU_DEP_1)
	v_pk_fma_f32 v[72:73], v[70:71], v[58:59], v[68:69] op_sel:[0,0,1] op_sel_hi:[1,1,0] neg_lo:[0,0,1] neg_hi:[0,0,1]
	v_pk_fma_f32 v[68:69], v[70:71], v[58:59], v[68:69] op_sel:[0,0,1] op_sel_hi:[1,0,0]
	v_mov_b32_e32 v73, v69
	ds_load_2addr_b64 v[68:71], v62 offset0:14 offset1:15
	v_pk_add_f32 v[42:43], v[42:43], v[74:75] neg_lo:[0,1] neg_hi:[0,1]
	v_pk_add_f32 v[14:15], v[14:15], v[72:73] neg_lo:[0,1] neg_hi:[0,1]
	s_wait_dscnt 0x0
	v_pk_mul_f32 v[72:73], v[68:69], v[60:61] op_sel:[0,1]
	s_delay_alu instid0(VALU_DEP_1) | instskip(SKIP_2) | instid1(VALU_DEP_2)
	v_pk_fma_f32 v[74:75], v[68:69], v[58:59], v[72:73] op_sel:[0,0,1] op_sel_hi:[1,1,0] neg_lo:[0,0,1] neg_hi:[0,0,1]
	v_pk_fma_f32 v[68:69], v[68:69], v[58:59], v[72:73] op_sel:[0,0,1] op_sel_hi:[1,0,0]
	v_dual_mul_f32 v72, v71, v61 :: v_dual_mov_b32 v68, v71
	v_dual_mov_b32 v75, v69 :: v_dual_mov_b32 v69, v70
	s_delay_alu instid0(VALU_DEP_2) | instskip(SKIP_1) | instid1(VALU_DEP_3)
	v_pk_fma_f32 v[72:73], v[70:71], v[6:7], v[72:73] op_sel_hi:[1,1,0] neg_lo:[0,0,1] neg_hi:[0,0,1]
	v_mul_f32_e32 v70, v71, v58
	v_pk_add_f32 v[20:21], v[20:21], v[74:75] neg_lo:[0,1] neg_hi:[0,1]
	s_delay_alu instid0(VALU_DEP_2) | instskip(NEXT) | instid1(VALU_DEP_1)
	v_pk_fma_f32 v[68:69], v[68:69], v[6:7], v[70:71] op_sel_hi:[1,1,0]
	v_mov_b32_e32 v73, v69
	ds_load_2addr_b64 v[68:71], v62 offset0:16 offset1:17
	v_pk_add_f32 v[12:13], v[12:13], v[72:73] neg_lo:[0,1] neg_hi:[0,1]
	s_wait_dscnt 0x0
	v_pk_mul_f32 v[72:73], v[68:69], v[60:61] op_sel:[0,1]
	s_delay_alu instid0(VALU_DEP_1) | instskip(SKIP_1) | instid1(VALU_DEP_1)
	v_pk_fma_f32 v[74:75], v[68:69], v[58:59], v[72:73] op_sel:[0,0,1] op_sel_hi:[1,1,0] neg_lo:[0,0,1] neg_hi:[0,0,1]
	v_pk_fma_f32 v[68:69], v[68:69], v[58:59], v[72:73] op_sel:[0,0,1] op_sel_hi:[1,0,0]
	v_mov_b32_e32 v75, v69
	v_pk_mul_f32 v[68:69], v[70:71], v[60:61] op_sel:[0,1]
	s_delay_alu instid0(VALU_DEP_1) | instskip(SKIP_1) | instid1(VALU_DEP_1)
	v_pk_fma_f32 v[72:73], v[70:71], v[58:59], v[68:69] op_sel:[0,0,1] op_sel_hi:[1,1,0] neg_lo:[0,0,1] neg_hi:[0,0,1]
	v_pk_fma_f32 v[68:69], v[70:71], v[58:59], v[68:69] op_sel:[0,0,1] op_sel_hi:[1,0,0]
	v_mov_b32_e32 v73, v69
	ds_load_2addr_b64 v[68:71], v62 offset0:18 offset1:19
	v_pk_add_f32 v[46:47], v[46:47], v[74:75] neg_lo:[0,1] neg_hi:[0,1]
	v_pk_add_f32 v[26:27], v[26:27], v[72:73] neg_lo:[0,1] neg_hi:[0,1]
	s_wait_dscnt 0x0
	v_pk_mul_f32 v[72:73], v[68:69], v[60:61] op_sel:[0,1]
	s_delay_alu instid0(VALU_DEP_1) | instskip(SKIP_1) | instid1(VALU_DEP_1)
	v_pk_fma_f32 v[74:75], v[68:69], v[58:59], v[72:73] op_sel:[0,0,1] op_sel_hi:[1,1,0] neg_lo:[0,0,1] neg_hi:[0,0,1]
	v_pk_fma_f32 v[68:69], v[68:69], v[58:59], v[72:73] op_sel:[0,0,1] op_sel_hi:[1,0,0]
	v_mov_b32_e32 v75, v69
	v_pk_mul_f32 v[68:69], v[70:71], v[60:61] op_sel:[0,1]
	s_delay_alu instid0(VALU_DEP_1) | instskip(SKIP_1) | instid1(VALU_DEP_1)
	v_pk_fma_f32 v[72:73], v[70:71], v[58:59], v[68:69] op_sel:[0,0,1] op_sel_hi:[1,1,0] neg_lo:[0,0,1] neg_hi:[0,0,1]
	v_pk_fma_f32 v[68:69], v[70:71], v[58:59], v[68:69] op_sel:[0,0,1] op_sel_hi:[1,0,0]
	v_mov_b32_e32 v73, v69
	ds_load_2addr_b64 v[68:71], v62 offset0:20 offset1:21
	v_pk_add_f32 v[28:29], v[28:29], v[74:75] neg_lo:[0,1] neg_hi:[0,1]
	v_pk_add_f32 v[24:25], v[24:25], v[72:73] neg_lo:[0,1] neg_hi:[0,1]
	s_wait_dscnt 0x0
	v_dual_mul_f32 v72, v69, v61 :: v_dual_mul_f32 v74, v69, v58
	s_delay_alu instid0(VALU_DEP_1) | instskip(NEXT) | instid1(VALU_DEP_2)
	v_pk_fma_f32 v[72:73], v[68:69], v[6:7], v[72:73] op_sel_hi:[1,1,0] neg_lo:[0,0,1] neg_hi:[0,0,1]
	v_pk_fma_f32 v[68:69], v[68:69], v[6:7], v[74:75] op_sel:[1,0,0] op_sel_hi:[0,1,0]
	s_delay_alu instid0(VALU_DEP_1) | instskip(SKIP_1) | instid1(VALU_DEP_2)
	v_mov_b32_e32 v73, v69
	v_pk_mul_f32 v[68:69], v[70:71], v[60:61] op_sel:[0,1]
	v_pk_add_f32 v[38:39], v[38:39], v[72:73] neg_lo:[0,1] neg_hi:[0,1]
	s_delay_alu instid0(VALU_DEP_2) | instskip(SKIP_1) | instid1(VALU_DEP_1)
	v_pk_fma_f32 v[72:73], v[70:71], v[58:59], v[68:69] op_sel:[0,0,1] op_sel_hi:[1,1,0] neg_lo:[0,0,1] neg_hi:[0,0,1]
	v_pk_fma_f32 v[68:69], v[70:71], v[58:59], v[68:69] op_sel:[0,0,1] op_sel_hi:[1,0,0]
	v_mov_b32_e32 v73, v69
	ds_load_2addr_b64 v[68:71], v62 offset0:22 offset1:23
	v_pk_add_f32 v[30:31], v[30:31], v[72:73] neg_lo:[0,1] neg_hi:[0,1]
	s_wait_dscnt 0x0
	v_pk_mul_f32 v[72:73], v[68:69], v[60:61] op_sel:[0,1]
	s_delay_alu instid0(VALU_DEP_1) | instskip(SKIP_1) | instid1(VALU_DEP_1)
	v_pk_fma_f32 v[74:75], v[68:69], v[58:59], v[72:73] op_sel:[0,0,1] op_sel_hi:[1,1,0] neg_lo:[0,0,1] neg_hi:[0,0,1]
	v_pk_fma_f32 v[68:69], v[68:69], v[58:59], v[72:73] op_sel:[0,0,1] op_sel_hi:[1,0,0]
	v_mov_b32_e32 v75, v69
	v_pk_mul_f32 v[68:69], v[70:71], v[60:61] op_sel:[0,1]
	s_delay_alu instid0(VALU_DEP_2) | instskip(NEXT) | instid1(VALU_DEP_2)
	v_pk_add_f32 v[36:37], v[36:37], v[74:75] neg_lo:[0,1] neg_hi:[0,1]
	v_pk_fma_f32 v[72:73], v[70:71], v[58:59], v[68:69] op_sel:[0,0,1] op_sel_hi:[1,1,0] neg_lo:[0,0,1] neg_hi:[0,0,1]
	v_pk_fma_f32 v[68:69], v[70:71], v[58:59], v[68:69] op_sel:[0,0,1] op_sel_hi:[1,0,0]
	s_delay_alu instid0(VALU_DEP_1)
	v_mov_b32_e32 v73, v69
	ds_load_2addr_b64 v[68:71], v62 offset0:24 offset1:25
	v_pk_add_f32 v[34:35], v[34:35], v[72:73] neg_lo:[0,1] neg_hi:[0,1]
	s_wait_dscnt 0x0
	v_pk_mul_f32 v[72:73], v[68:69], v[60:61] op_sel:[0,1]
	v_pk_mul_f32 v[60:61], v[70:71], v[60:61] op_sel:[0,1]
	s_delay_alu instid0(VALU_DEP_2) | instskip(SKIP_1) | instid1(VALU_DEP_1)
	v_pk_fma_f32 v[74:75], v[68:69], v[58:59], v[72:73] op_sel:[0,0,1] op_sel_hi:[1,1,0] neg_lo:[0,0,1] neg_hi:[0,0,1]
	v_pk_fma_f32 v[68:69], v[68:69], v[58:59], v[72:73] op_sel:[0,0,1] op_sel_hi:[1,0,0]
	v_mov_b32_e32 v75, v69
	s_delay_alu instid0(VALU_DEP_4) | instskip(SKIP_1) | instid1(VALU_DEP_3)
	v_pk_fma_f32 v[68:69], v[70:71], v[58:59], v[60:61] op_sel:[0,0,1] op_sel_hi:[1,1,0] neg_lo:[0,0,1] neg_hi:[0,0,1]
	v_pk_fma_f32 v[58:59], v[70:71], v[58:59], v[60:61] op_sel:[0,0,1] op_sel_hi:[1,0,0]
	v_pk_add_f32 v[32:33], v[32:33], v[74:75] neg_lo:[0,1] neg_hi:[0,1]
	s_delay_alu instid0(VALU_DEP_2) | instskip(NEXT) | instid1(VALU_DEP_1)
	v_mov_b32_e32 v69, v59
	v_pk_add_f32 v[56:57], v[56:57], v[68:69] neg_lo:[0,1] neg_hi:[0,1]
.LBB50_251:
	s_or_b32 exec_lo, exec_lo, s0
	v_lshl_add_u32 v58, v66, 3, v62
	s_barrier_signal -1
	s_barrier_wait -1
	ds_store_b64 v58, v[42:43]
	s_wait_dscnt 0x0
	s_barrier_signal -1
	s_barrier_wait -1
	ds_load_b64 v[58:59], v62 offset:96
	v_mov_b32_e32 v60, 12
	s_cmp_lt_i32 s18, 14
	s_cbranch_scc1 .LBB50_254
; %bb.252:
	v_add3_u32 v61, v63, 0, 0x68
	v_mov_b32_e32 v60, 12
	s_mov_b32 s0, 13
.LBB50_253:                             ; =>This Inner Loop Header: Depth=1
	ds_load_b64 v[68:69], v61
	s_wait_dscnt 0x1
	v_cmp_gt_f32_e32 vcc_lo, 0, v58
	v_cndmask_b32_e64 v70, v58, -v58, vcc_lo
	v_cmp_gt_f32_e32 vcc_lo, 0, v59
	v_cndmask_b32_e64 v72, v59, -v59, vcc_lo
	s_wait_dscnt 0x0
	v_cmp_gt_f32_e32 vcc_lo, 0, v68
	v_cndmask_b32_e64 v71, v68, -v68, vcc_lo
	v_cmp_gt_f32_e32 vcc_lo, 0, v69
	v_cndmask_b32_e64 v73, v69, -v69, vcc_lo
	s_delay_alu instid0(VALU_DEP_1) | instskip(NEXT) | instid1(VALU_DEP_1)
	v_pk_add_f32 v[70:71], v[70:71], v[72:73]
	v_cmp_lt_f32_e32 vcc_lo, v70, v71
	v_dual_cndmask_b32 v58, v58, v68 :: v_dual_add_nc_u32 v61, 8, v61
	v_cndmask_b32_e32 v59, v59, v69, vcc_lo
	v_cndmask_b32_e64 v60, v60, s0, vcc_lo
	s_add_co_i32 s0, s0, 1
	s_delay_alu instid0(SALU_CYCLE_1)
	s_cmp_lg_u32 s18, s0
	s_cbranch_scc1 .LBB50_253
.LBB50_254:
	s_wait_dscnt 0x0
	v_cmp_eq_f32_e32 vcc_lo, 0, v58
	v_cmp_eq_f32_e64 s0, 0, v59
	s_and_b32 s0, vcc_lo, s0
	s_delay_alu instid0(SALU_CYCLE_1) | instskip(NEXT) | instid1(SALU_CYCLE_1)
	s_and_saveexec_b32 s1, s0
	s_xor_b32 s0, exec_lo, s1
; %bb.255:
	v_cmp_ne_u32_e32 vcc_lo, 0, v65
	v_cndmask_b32_e32 v65, 13, v65, vcc_lo
; %bb.256:
	s_and_not1_saveexec_b32 s0, s0
	s_cbranch_execz .LBB50_262
; %bb.257:
	v_cmp_ngt_f32_e64 s1, |v58|, |v59|
	s_and_saveexec_b32 s12, s1
	s_delay_alu instid0(SALU_CYCLE_1)
	s_xor_b32 s1, exec_lo, s12
	s_cbranch_execz .LBB50_259
; %bb.258:
	v_div_scale_f32 v61, null, v59, v59, v58
	v_div_scale_f32 v69, vcc_lo, v58, v59, v58
	s_delay_alu instid0(VALU_DEP_2) | instskip(SKIP_1) | instid1(TRANS32_DEP_1)
	v_rcp_f32_e32 v67, v61
	v_nop
	v_fma_f32 v68, -v61, v67, 1.0
	s_delay_alu instid0(VALU_DEP_1) | instskip(NEXT) | instid1(VALU_DEP_1)
	v_fmac_f32_e32 v67, v68, v67
	v_mul_f32_e32 v68, v69, v67
	s_delay_alu instid0(VALU_DEP_1) | instskip(NEXT) | instid1(VALU_DEP_1)
	v_fma_f32 v70, -v61, v68, v69
	v_fmac_f32_e32 v68, v70, v67
	s_delay_alu instid0(VALU_DEP_1) | instskip(NEXT) | instid1(VALU_DEP_1)
	v_fma_f32 v61, -v61, v68, v69
	v_div_fmas_f32 v61, v61, v67, v68
	s_delay_alu instid0(VALU_DEP_1) | instskip(NEXT) | instid1(VALU_DEP_1)
	v_div_fixup_f32 v61, v61, v59, v58
	v_fmac_f32_e32 v59, v58, v61
	s_delay_alu instid0(VALU_DEP_1) | instskip(SKIP_1) | instid1(VALU_DEP_2)
	v_div_scale_f32 v58, null, v59, v59, 1.0
	v_div_scale_f32 v69, vcc_lo, 1.0, v59, 1.0
	v_rcp_f32_e32 v67, v58
	v_nop
	s_delay_alu instid0(TRANS32_DEP_1) | instskip(NEXT) | instid1(VALU_DEP_1)
	v_fma_f32 v68, -v58, v67, 1.0
	v_fmac_f32_e32 v67, v68, v67
	s_delay_alu instid0(VALU_DEP_1) | instskip(NEXT) | instid1(VALU_DEP_1)
	v_mul_f32_e32 v68, v69, v67
	v_fma_f32 v70, -v58, v68, v69
	s_delay_alu instid0(VALU_DEP_1) | instskip(NEXT) | instid1(VALU_DEP_1)
	v_fmac_f32_e32 v68, v70, v67
	v_fma_f32 v58, -v58, v68, v69
	s_delay_alu instid0(VALU_DEP_1) | instskip(NEXT) | instid1(VALU_DEP_1)
	v_div_fmas_f32 v58, v58, v67, v68
	v_div_fixup_f32 v59, v58, v59, 1.0
	s_delay_alu instid0(VALU_DEP_1)
	v_mul_f32_e32 v58, v61, v59
	v_xor_b32_e32 v59, 0x80000000, v59
.LBB50_259:
	s_and_not1_saveexec_b32 s1, s1
	s_cbranch_execz .LBB50_261
; %bb.260:
	s_delay_alu instid0(VALU_DEP_1) | instskip(SKIP_1) | instid1(VALU_DEP_2)
	v_div_scale_f32 v61, null, v58, v58, v59
	v_div_scale_f32 v69, vcc_lo, v59, v58, v59
	v_rcp_f32_e32 v67, v61
	v_nop
	s_delay_alu instid0(TRANS32_DEP_1) | instskip(NEXT) | instid1(VALU_DEP_1)
	v_fma_f32 v68, -v61, v67, 1.0
	v_fmac_f32_e32 v67, v68, v67
	s_delay_alu instid0(VALU_DEP_1) | instskip(NEXT) | instid1(VALU_DEP_1)
	v_mul_f32_e32 v68, v69, v67
	v_fma_f32 v70, -v61, v68, v69
	s_delay_alu instid0(VALU_DEP_1) | instskip(NEXT) | instid1(VALU_DEP_1)
	v_fmac_f32_e32 v68, v70, v67
	v_fma_f32 v61, -v61, v68, v69
	s_delay_alu instid0(VALU_DEP_1) | instskip(NEXT) | instid1(VALU_DEP_1)
	v_div_fmas_f32 v61, v61, v67, v68
	v_div_fixup_f32 v61, v61, v58, v59
	s_delay_alu instid0(VALU_DEP_1) | instskip(NEXT) | instid1(VALU_DEP_1)
	v_fmac_f32_e32 v58, v59, v61
	v_div_scale_f32 v59, null, v58, v58, 1.0
	s_delay_alu instid0(VALU_DEP_1) | instskip(SKIP_1) | instid1(TRANS32_DEP_1)
	v_rcp_f32_e32 v67, v59
	v_nop
	v_fma_f32 v68, -v59, v67, 1.0
	s_delay_alu instid0(VALU_DEP_1) | instskip(SKIP_1) | instid1(VALU_DEP_1)
	v_fmac_f32_e32 v67, v68, v67
	v_div_scale_f32 v68, vcc_lo, 1.0, v58, 1.0
	v_mul_f32_e32 v69, v68, v67
	s_delay_alu instid0(VALU_DEP_1) | instskip(NEXT) | instid1(VALU_DEP_1)
	v_fma_f32 v70, -v59, v69, v68
	v_fmac_f32_e32 v69, v70, v67
	s_delay_alu instid0(VALU_DEP_1) | instskip(NEXT) | instid1(VALU_DEP_1)
	v_fma_f32 v59, -v59, v69, v68
	v_div_fmas_f32 v59, v59, v67, v69
	s_delay_alu instid0(VALU_DEP_1) | instskip(NEXT) | instid1(VALU_DEP_1)
	v_div_fixup_f32 v58, v59, v58, 1.0
	v_mul_f32_e64 v59, v61, -v58
.LBB50_261:
	s_or_b32 exec_lo, exec_lo, s1
.LBB50_262:
	s_delay_alu instid0(SALU_CYCLE_1) | instskip(NEXT) | instid1(SALU_CYCLE_1)
	s_or_b32 exec_lo, exec_lo, s0
	s_mov_b32 s0, exec_lo
	v_cmpx_ne_u32_e64 v66, v60
	s_xor_b32 s0, exec_lo, s0
	s_cbranch_execz .LBB50_268
; %bb.263:
	s_mov_b32 s1, exec_lo
	v_cmpx_eq_u32_e32 12, v66
	s_cbranch_execz .LBB50_267
; %bb.264:
	v_cmp_ne_u32_e32 vcc_lo, 12, v60
	s_xor_b32 s12, s16, -1
	s_delay_alu instid0(SALU_CYCLE_1) | instskip(NEXT) | instid1(SALU_CYCLE_1)
	s_and_b32 s13, s12, vcc_lo
	s_and_saveexec_b32 s12, s13
	s_cbranch_execz .LBB50_266
; %bb.265:
	v_ashrrev_i32_e32 v61, 31, v60
	s_delay_alu instid0(VALU_DEP_1)
	v_lshl_add_u64 v[66:67], v[60:61], 2, v[4:5]
	s_clause 0x1
	global_load_b32 v61, v[66:67], off
	global_load_b32 v64, v[4:5], off offset:48
	s_wait_loadcnt 0x1
	global_store_b32 v[4:5], v61, off offset:48
	s_wait_loadcnt 0x0
	global_store_b32 v[66:67], v64, off
.LBB50_266:
	s_wait_xcnt 0x0
	s_or_b32 exec_lo, exec_lo, s12
	v_dual_mov_b32 v66, v60 :: v_dual_mov_b32 v64, v60
.LBB50_267:
	s_or_b32 exec_lo, exec_lo, s1
.LBB50_268:
	s_and_not1_saveexec_b32 s0, s0
	s_cbranch_execz .LBB50_270
; %bb.269:
	v_mov_b32_e32 v66, 12
	ds_store_2addr_b64 v62, v[14:15], v[20:21] offset0:13 offset1:14
	ds_store_2addr_b64 v62, v[12:13], v[46:47] offset0:15 offset1:16
	ds_store_2addr_b64 v62, v[26:27], v[28:29] offset0:17 offset1:18
	ds_store_2addr_b64 v62, v[24:25], v[38:39] offset0:19 offset1:20
	ds_store_2addr_b64 v62, v[30:31], v[36:37] offset0:21 offset1:22
	ds_store_2addr_b64 v62, v[34:35], v[32:33] offset0:23 offset1:24
	ds_store_b64 v62, v[56:57] offset:200
.LBB50_270:
	s_or_b32 exec_lo, exec_lo, s0
	s_delay_alu instid0(SALU_CYCLE_1)
	s_mov_b32 s0, exec_lo
	s_wait_storecnt_dscnt 0x0
	s_barrier_signal -1
	s_barrier_wait -1
	v_cmpx_lt_i32_e32 12, v66
	s_cbranch_execz .LBB50_272
; %bb.271:
	v_pk_mul_f32 v[60:61], v[58:59], v[42:43] op_sel:[1,1] op_sel_hi:[0,1]
	s_delay_alu instid0(VALU_DEP_1)
	v_pk_fma_f32 v[68:69], v[58:59], v[42:43], v[60:61] op_sel_hi:[1,0,1] neg_lo:[0,0,1] neg_hi:[0,0,1]
	v_pk_fma_f32 v[70:71], v[58:59], v[42:43], v[60:61] op_sel_hi:[1,0,1]
	ds_load_2addr_b64 v[58:61], v62 offset0:13 offset1:14
	v_dual_mov_b32 v42, v68 :: v_dual_mov_b32 v43, v71
	s_wait_dscnt 0x0
	v_pk_mul_f32 v[72:73], v[58:59], v[70:71] op_sel:[0,1]
	s_delay_alu instid0(VALU_DEP_1) | instskip(SKIP_1) | instid1(VALU_DEP_1)
	v_pk_fma_f32 v[74:75], v[58:59], v[68:69], v[72:73] op_sel:[0,0,1] op_sel_hi:[1,1,0] neg_lo:[0,0,1] neg_hi:[0,0,1]
	v_pk_fma_f32 v[58:59], v[58:59], v[68:69], v[72:73] op_sel:[0,0,1] op_sel_hi:[1,0,0]
	v_mov_b32_e32 v75, v59
	v_pk_mul_f32 v[58:59], v[60:61], v[70:71] op_sel:[0,1]
	s_delay_alu instid0(VALU_DEP_1) | instskip(SKIP_1) | instid1(VALU_DEP_1)
	v_pk_fma_f32 v[72:73], v[60:61], v[68:69], v[58:59] op_sel:[0,0,1] op_sel_hi:[1,1,0] neg_lo:[0,0,1] neg_hi:[0,0,1]
	v_pk_fma_f32 v[58:59], v[60:61], v[68:69], v[58:59] op_sel:[0,0,1] op_sel_hi:[1,0,0]
	v_mov_b32_e32 v73, v59
	ds_load_2addr_b64 v[58:61], v62 offset0:15 offset1:16
	v_pk_add_f32 v[14:15], v[14:15], v[74:75] neg_lo:[0,1] neg_hi:[0,1]
	v_pk_add_f32 v[20:21], v[20:21], v[72:73] neg_lo:[0,1] neg_hi:[0,1]
	s_wait_dscnt 0x0
	v_pk_mul_f32 v[72:73], v[58:59], v[70:71] op_sel:[0,1]
	s_delay_alu instid0(VALU_DEP_1) | instskip(SKIP_2) | instid1(VALU_DEP_2)
	v_pk_fma_f32 v[74:75], v[58:59], v[68:69], v[72:73] op_sel:[0,0,1] op_sel_hi:[1,1,0] neg_lo:[0,0,1] neg_hi:[0,0,1]
	v_pk_fma_f32 v[58:59], v[58:59], v[68:69], v[72:73] op_sel:[0,0,1] op_sel_hi:[1,0,0]
	v_dual_mul_f32 v72, v61, v71 :: v_dual_mov_b32 v58, v61
	v_dual_mov_b32 v75, v59 :: v_dual_mov_b32 v59, v60
	s_delay_alu instid0(VALU_DEP_2) | instskip(SKIP_1) | instid1(VALU_DEP_3)
	v_pk_fma_f32 v[72:73], v[60:61], v[42:43], v[72:73] op_sel_hi:[1,1,0] neg_lo:[0,0,1] neg_hi:[0,0,1]
	v_mul_f32_e32 v60, v61, v68
	v_pk_add_f32 v[12:13], v[12:13], v[74:75] neg_lo:[0,1] neg_hi:[0,1]
	s_delay_alu instid0(VALU_DEP_2) | instskip(NEXT) | instid1(VALU_DEP_1)
	v_pk_fma_f32 v[58:59], v[58:59], v[42:43], v[60:61] op_sel_hi:[1,1,0]
	v_mov_b32_e32 v73, v59
	ds_load_2addr_b64 v[58:61], v62 offset0:17 offset1:18
	v_pk_add_f32 v[46:47], v[46:47], v[72:73] neg_lo:[0,1] neg_hi:[0,1]
	s_wait_dscnt 0x0
	v_pk_mul_f32 v[72:73], v[58:59], v[70:71] op_sel:[0,1]
	s_delay_alu instid0(VALU_DEP_1) | instskip(SKIP_1) | instid1(VALU_DEP_1)
	v_pk_fma_f32 v[74:75], v[58:59], v[68:69], v[72:73] op_sel:[0,0,1] op_sel_hi:[1,1,0] neg_lo:[0,0,1] neg_hi:[0,0,1]
	v_pk_fma_f32 v[58:59], v[58:59], v[68:69], v[72:73] op_sel:[0,0,1] op_sel_hi:[1,0,0]
	v_mov_b32_e32 v75, v59
	v_pk_mul_f32 v[58:59], v[60:61], v[70:71] op_sel:[0,1]
	s_delay_alu instid0(VALU_DEP_1) | instskip(SKIP_1) | instid1(VALU_DEP_1)
	v_pk_fma_f32 v[72:73], v[60:61], v[68:69], v[58:59] op_sel:[0,0,1] op_sel_hi:[1,1,0] neg_lo:[0,0,1] neg_hi:[0,0,1]
	v_pk_fma_f32 v[58:59], v[60:61], v[68:69], v[58:59] op_sel:[0,0,1] op_sel_hi:[1,0,0]
	v_mov_b32_e32 v73, v59
	ds_load_2addr_b64 v[58:61], v62 offset0:19 offset1:20
	v_pk_add_f32 v[26:27], v[26:27], v[74:75] neg_lo:[0,1] neg_hi:[0,1]
	v_pk_add_f32 v[28:29], v[28:29], v[72:73] neg_lo:[0,1] neg_hi:[0,1]
	s_wait_dscnt 0x0
	v_pk_mul_f32 v[72:73], v[58:59], v[70:71] op_sel:[0,1]
	s_delay_alu instid0(VALU_DEP_1) | instskip(SKIP_1) | instid1(VALU_DEP_1)
	v_pk_fma_f32 v[74:75], v[58:59], v[68:69], v[72:73] op_sel:[0,0,1] op_sel_hi:[1,1,0] neg_lo:[0,0,1] neg_hi:[0,0,1]
	v_pk_fma_f32 v[58:59], v[58:59], v[68:69], v[72:73] op_sel:[0,0,1] op_sel_hi:[1,0,0]
	v_mov_b32_e32 v75, v59
	v_pk_mul_f32 v[58:59], v[60:61], v[70:71] op_sel:[0,1]
	s_delay_alu instid0(VALU_DEP_1) | instskip(SKIP_1) | instid1(VALU_DEP_1)
	v_pk_fma_f32 v[72:73], v[60:61], v[68:69], v[58:59] op_sel:[0,0,1] op_sel_hi:[1,1,0] neg_lo:[0,0,1] neg_hi:[0,0,1]
	v_pk_fma_f32 v[58:59], v[60:61], v[68:69], v[58:59] op_sel:[0,0,1] op_sel_hi:[1,0,0]
	v_mov_b32_e32 v73, v59
	ds_load_2addr_b64 v[58:61], v62 offset0:21 offset1:22
	v_pk_add_f32 v[24:25], v[24:25], v[74:75] neg_lo:[0,1] neg_hi:[0,1]
	v_pk_add_f32 v[38:39], v[38:39], v[72:73] neg_lo:[0,1] neg_hi:[0,1]
	s_wait_dscnt 0x0
	v_dual_mul_f32 v72, v59, v71 :: v_dual_mul_f32 v74, v59, v68
	s_delay_alu instid0(VALU_DEP_1) | instskip(NEXT) | instid1(VALU_DEP_2)
	v_pk_fma_f32 v[72:73], v[58:59], v[42:43], v[72:73] op_sel_hi:[1,1,0] neg_lo:[0,0,1] neg_hi:[0,0,1]
	v_pk_fma_f32 v[58:59], v[58:59], v[42:43], v[74:75] op_sel:[1,0,0] op_sel_hi:[0,1,0]
	s_delay_alu instid0(VALU_DEP_1) | instskip(SKIP_1) | instid1(VALU_DEP_2)
	v_mov_b32_e32 v73, v59
	v_pk_mul_f32 v[58:59], v[60:61], v[70:71] op_sel:[0,1]
	v_pk_add_f32 v[30:31], v[30:31], v[72:73] neg_lo:[0,1] neg_hi:[0,1]
	s_delay_alu instid0(VALU_DEP_2) | instskip(SKIP_1) | instid1(VALU_DEP_1)
	v_pk_fma_f32 v[72:73], v[60:61], v[68:69], v[58:59] op_sel:[0,0,1] op_sel_hi:[1,1,0] neg_lo:[0,0,1] neg_hi:[0,0,1]
	v_pk_fma_f32 v[58:59], v[60:61], v[68:69], v[58:59] op_sel:[0,0,1] op_sel_hi:[1,0,0]
	v_mov_b32_e32 v73, v59
	ds_load_2addr_b64 v[58:61], v62 offset0:23 offset1:24
	v_pk_add_f32 v[36:37], v[36:37], v[72:73] neg_lo:[0,1] neg_hi:[0,1]
	s_wait_dscnt 0x0
	v_pk_mul_f32 v[72:73], v[58:59], v[70:71] op_sel:[0,1]
	s_delay_alu instid0(VALU_DEP_1) | instskip(SKIP_1) | instid1(VALU_DEP_1)
	v_pk_fma_f32 v[74:75], v[58:59], v[68:69], v[72:73] op_sel:[0,0,1] op_sel_hi:[1,1,0] neg_lo:[0,0,1] neg_hi:[0,0,1]
	v_pk_fma_f32 v[58:59], v[58:59], v[68:69], v[72:73] op_sel:[0,0,1] op_sel_hi:[1,0,0]
	v_mov_b32_e32 v75, v59
	v_pk_mul_f32 v[58:59], v[60:61], v[70:71] op_sel:[0,1]
	s_delay_alu instid0(VALU_DEP_2) | instskip(NEXT) | instid1(VALU_DEP_2)
	v_pk_add_f32 v[34:35], v[34:35], v[74:75] neg_lo:[0,1] neg_hi:[0,1]
	v_pk_fma_f32 v[72:73], v[60:61], v[68:69], v[58:59] op_sel:[0,0,1] op_sel_hi:[1,1,0] neg_lo:[0,0,1] neg_hi:[0,0,1]
	v_pk_fma_f32 v[58:59], v[60:61], v[68:69], v[58:59] op_sel:[0,0,1] op_sel_hi:[1,0,0]
	s_delay_alu instid0(VALU_DEP_1) | instskip(SKIP_4) | instid1(VALU_DEP_1)
	v_mov_b32_e32 v73, v59
	ds_load_b64 v[58:59], v62 offset:200
	v_pk_add_f32 v[32:33], v[32:33], v[72:73] neg_lo:[0,1] neg_hi:[0,1]
	s_wait_dscnt 0x0
	v_pk_mul_f32 v[60:61], v[58:59], v[70:71] op_sel:[0,1]
	v_pk_fma_f32 v[70:71], v[58:59], v[68:69], v[60:61] op_sel:[0,0,1] op_sel_hi:[1,1,0] neg_lo:[0,0,1] neg_hi:[0,0,1]
	v_pk_fma_f32 v[58:59], v[58:59], v[68:69], v[60:61] op_sel:[0,0,1] op_sel_hi:[1,0,0]
	s_delay_alu instid0(VALU_DEP_1) | instskip(NEXT) | instid1(VALU_DEP_1)
	v_mov_b32_e32 v71, v59
	v_pk_add_f32 v[56:57], v[56:57], v[70:71] neg_lo:[0,1] neg_hi:[0,1]
.LBB50_272:
	s_or_b32 exec_lo, exec_lo, s0
	v_lshl_add_u32 v58, v66, 3, v62
	s_barrier_signal -1
	s_barrier_wait -1
	ds_store_b64 v58, v[14:15]
	s_wait_dscnt 0x0
	s_barrier_signal -1
	s_barrier_wait -1
	ds_load_b64 v[58:59], v62 offset:104
	v_mov_b32_e32 v60, 13
	s_cmp_lt_i32 s18, 15
	s_cbranch_scc1 .LBB50_275
; %bb.273:
	v_add3_u32 v61, v63, 0, 0x70
	v_mov_b32_e32 v60, 13
	s_mov_b32 s0, 14
.LBB50_274:                             ; =>This Inner Loop Header: Depth=1
	ds_load_b64 v[68:69], v61
	s_wait_dscnt 0x1
	v_cmp_gt_f32_e32 vcc_lo, 0, v58
	v_cndmask_b32_e64 v70, v58, -v58, vcc_lo
	v_cmp_gt_f32_e32 vcc_lo, 0, v59
	v_cndmask_b32_e64 v72, v59, -v59, vcc_lo
	s_wait_dscnt 0x0
	v_cmp_gt_f32_e32 vcc_lo, 0, v68
	v_cndmask_b32_e64 v71, v68, -v68, vcc_lo
	v_cmp_gt_f32_e32 vcc_lo, 0, v69
	v_cndmask_b32_e64 v73, v69, -v69, vcc_lo
	s_delay_alu instid0(VALU_DEP_1) | instskip(NEXT) | instid1(VALU_DEP_1)
	v_pk_add_f32 v[70:71], v[70:71], v[72:73]
	v_cmp_lt_f32_e32 vcc_lo, v70, v71
	v_dual_cndmask_b32 v58, v58, v68 :: v_dual_add_nc_u32 v61, 8, v61
	v_cndmask_b32_e32 v59, v59, v69, vcc_lo
	v_cndmask_b32_e64 v60, v60, s0, vcc_lo
	s_add_co_i32 s0, s0, 1
	s_delay_alu instid0(SALU_CYCLE_1)
	s_cmp_lg_u32 s18, s0
	s_cbranch_scc1 .LBB50_274
.LBB50_275:
	s_wait_dscnt 0x0
	v_cmp_eq_f32_e32 vcc_lo, 0, v58
	v_cmp_eq_f32_e64 s0, 0, v59
	s_and_b32 s0, vcc_lo, s0
	s_delay_alu instid0(SALU_CYCLE_1) | instskip(NEXT) | instid1(SALU_CYCLE_1)
	s_and_saveexec_b32 s1, s0
	s_xor_b32 s0, exec_lo, s1
; %bb.276:
	v_cmp_ne_u32_e32 vcc_lo, 0, v65
	v_cndmask_b32_e32 v65, 14, v65, vcc_lo
; %bb.277:
	s_and_not1_saveexec_b32 s0, s0
	s_cbranch_execz .LBB50_283
; %bb.278:
	v_cmp_ngt_f32_e64 s1, |v58|, |v59|
	s_and_saveexec_b32 s12, s1
	s_delay_alu instid0(SALU_CYCLE_1)
	s_xor_b32 s1, exec_lo, s12
	s_cbranch_execz .LBB50_280
; %bb.279:
	v_div_scale_f32 v61, null, v59, v59, v58
	v_div_scale_f32 v69, vcc_lo, v58, v59, v58
	s_delay_alu instid0(VALU_DEP_2) | instskip(SKIP_1) | instid1(TRANS32_DEP_1)
	v_rcp_f32_e32 v67, v61
	v_nop
	v_fma_f32 v68, -v61, v67, 1.0
	s_delay_alu instid0(VALU_DEP_1) | instskip(NEXT) | instid1(VALU_DEP_1)
	v_fmac_f32_e32 v67, v68, v67
	v_mul_f32_e32 v68, v69, v67
	s_delay_alu instid0(VALU_DEP_1) | instskip(NEXT) | instid1(VALU_DEP_1)
	v_fma_f32 v70, -v61, v68, v69
	v_fmac_f32_e32 v68, v70, v67
	s_delay_alu instid0(VALU_DEP_1) | instskip(NEXT) | instid1(VALU_DEP_1)
	v_fma_f32 v61, -v61, v68, v69
	v_div_fmas_f32 v61, v61, v67, v68
	s_delay_alu instid0(VALU_DEP_1) | instskip(NEXT) | instid1(VALU_DEP_1)
	v_div_fixup_f32 v61, v61, v59, v58
	v_fmac_f32_e32 v59, v58, v61
	s_delay_alu instid0(VALU_DEP_1) | instskip(SKIP_1) | instid1(VALU_DEP_2)
	v_div_scale_f32 v58, null, v59, v59, 1.0
	v_div_scale_f32 v69, vcc_lo, 1.0, v59, 1.0
	v_rcp_f32_e32 v67, v58
	v_nop
	s_delay_alu instid0(TRANS32_DEP_1) | instskip(NEXT) | instid1(VALU_DEP_1)
	v_fma_f32 v68, -v58, v67, 1.0
	v_fmac_f32_e32 v67, v68, v67
	s_delay_alu instid0(VALU_DEP_1) | instskip(NEXT) | instid1(VALU_DEP_1)
	v_mul_f32_e32 v68, v69, v67
	v_fma_f32 v70, -v58, v68, v69
	s_delay_alu instid0(VALU_DEP_1) | instskip(NEXT) | instid1(VALU_DEP_1)
	v_fmac_f32_e32 v68, v70, v67
	v_fma_f32 v58, -v58, v68, v69
	s_delay_alu instid0(VALU_DEP_1) | instskip(NEXT) | instid1(VALU_DEP_1)
	v_div_fmas_f32 v58, v58, v67, v68
	v_div_fixup_f32 v59, v58, v59, 1.0
	s_delay_alu instid0(VALU_DEP_1)
	v_mul_f32_e32 v58, v61, v59
	v_xor_b32_e32 v59, 0x80000000, v59
.LBB50_280:
	s_and_not1_saveexec_b32 s1, s1
	s_cbranch_execz .LBB50_282
; %bb.281:
	s_delay_alu instid0(VALU_DEP_1) | instskip(SKIP_1) | instid1(VALU_DEP_2)
	v_div_scale_f32 v61, null, v58, v58, v59
	v_div_scale_f32 v69, vcc_lo, v59, v58, v59
	v_rcp_f32_e32 v67, v61
	v_nop
	s_delay_alu instid0(TRANS32_DEP_1) | instskip(NEXT) | instid1(VALU_DEP_1)
	v_fma_f32 v68, -v61, v67, 1.0
	v_fmac_f32_e32 v67, v68, v67
	s_delay_alu instid0(VALU_DEP_1) | instskip(NEXT) | instid1(VALU_DEP_1)
	v_mul_f32_e32 v68, v69, v67
	v_fma_f32 v70, -v61, v68, v69
	s_delay_alu instid0(VALU_DEP_1) | instskip(NEXT) | instid1(VALU_DEP_1)
	v_fmac_f32_e32 v68, v70, v67
	v_fma_f32 v61, -v61, v68, v69
	s_delay_alu instid0(VALU_DEP_1) | instskip(NEXT) | instid1(VALU_DEP_1)
	v_div_fmas_f32 v61, v61, v67, v68
	v_div_fixup_f32 v61, v61, v58, v59
	s_delay_alu instid0(VALU_DEP_1) | instskip(NEXT) | instid1(VALU_DEP_1)
	v_fmac_f32_e32 v58, v59, v61
	v_div_scale_f32 v59, null, v58, v58, 1.0
	s_delay_alu instid0(VALU_DEP_1) | instskip(SKIP_1) | instid1(TRANS32_DEP_1)
	v_rcp_f32_e32 v67, v59
	v_nop
	v_fma_f32 v68, -v59, v67, 1.0
	s_delay_alu instid0(VALU_DEP_1) | instskip(SKIP_1) | instid1(VALU_DEP_1)
	v_fmac_f32_e32 v67, v68, v67
	v_div_scale_f32 v68, vcc_lo, 1.0, v58, 1.0
	v_mul_f32_e32 v69, v68, v67
	s_delay_alu instid0(VALU_DEP_1) | instskip(NEXT) | instid1(VALU_DEP_1)
	v_fma_f32 v70, -v59, v69, v68
	v_fmac_f32_e32 v69, v70, v67
	s_delay_alu instid0(VALU_DEP_1) | instskip(NEXT) | instid1(VALU_DEP_1)
	v_fma_f32 v59, -v59, v69, v68
	v_div_fmas_f32 v59, v59, v67, v69
	s_delay_alu instid0(VALU_DEP_1) | instskip(NEXT) | instid1(VALU_DEP_1)
	v_div_fixup_f32 v58, v59, v58, 1.0
	v_mul_f32_e64 v59, v61, -v58
.LBB50_282:
	s_or_b32 exec_lo, exec_lo, s1
.LBB50_283:
	s_delay_alu instid0(SALU_CYCLE_1) | instskip(NEXT) | instid1(SALU_CYCLE_1)
	s_or_b32 exec_lo, exec_lo, s0
	s_mov_b32 s0, exec_lo
	v_cmpx_ne_u32_e64 v66, v60
	s_xor_b32 s0, exec_lo, s0
	s_cbranch_execz .LBB50_289
; %bb.284:
	s_mov_b32 s1, exec_lo
	v_cmpx_eq_u32_e32 13, v66
	s_cbranch_execz .LBB50_288
; %bb.285:
	v_cmp_ne_u32_e32 vcc_lo, 13, v60
	s_xor_b32 s12, s16, -1
	s_delay_alu instid0(SALU_CYCLE_1) | instskip(NEXT) | instid1(SALU_CYCLE_1)
	s_and_b32 s13, s12, vcc_lo
	s_and_saveexec_b32 s12, s13
	s_cbranch_execz .LBB50_287
; %bb.286:
	v_ashrrev_i32_e32 v61, 31, v60
	s_delay_alu instid0(VALU_DEP_1)
	v_lshl_add_u64 v[66:67], v[60:61], 2, v[4:5]
	s_clause 0x1
	global_load_b32 v61, v[66:67], off
	global_load_b32 v64, v[4:5], off offset:52
	s_wait_loadcnt 0x1
	global_store_b32 v[4:5], v61, off offset:52
	s_wait_loadcnt 0x0
	global_store_b32 v[66:67], v64, off
.LBB50_287:
	s_wait_xcnt 0x0
	s_or_b32 exec_lo, exec_lo, s12
	v_dual_mov_b32 v66, v60 :: v_dual_mov_b32 v64, v60
.LBB50_288:
	s_or_b32 exec_lo, exec_lo, s1
.LBB50_289:
	s_and_not1_saveexec_b32 s0, s0
	s_cbranch_execz .LBB50_291
; %bb.290:
	v_dual_mov_b32 v60, v20 :: v_dual_mov_b32 v61, v21
	v_dual_mov_b32 v66, v12 :: v_dual_mov_b32 v67, v13
	;; [unrolled: 1-line block ×4, first 2 shown]
	ds_store_2addr_b64 v62, v[60:61], v[66:67] offset0:14 offset1:15
	ds_store_2addr_b64 v62, v[68:69], v[70:71] offset0:16 offset1:17
	v_dual_mov_b32 v60, v28 :: v_dual_mov_b32 v61, v29
	v_dual_mov_b32 v68, v24 :: v_dual_mov_b32 v69, v25
	;; [unrolled: 1-line block ×7, first 2 shown]
	v_mov_b32_e32 v79, v33
	ds_store_2addr_b64 v62, v[60:61], v[68:69] offset0:18 offset1:19
	ds_store_2addr_b64 v62, v[70:71], v[72:73] offset0:20 offset1:21
	;; [unrolled: 1-line block ×4, first 2 shown]
.LBB50_291:
	s_or_b32 exec_lo, exec_lo, s0
	s_delay_alu instid0(SALU_CYCLE_1)
	s_mov_b32 s0, exec_lo
	s_wait_storecnt_dscnt 0x0
	s_barrier_signal -1
	s_barrier_wait -1
	v_cmpx_lt_i32_e32 13, v66
	s_cbranch_execz .LBB50_293
; %bb.292:
	v_pk_mul_f32 v[60:61], v[58:59], v[14:15] op_sel:[1,1] op_sel_hi:[0,1]
	s_delay_alu instid0(VALU_DEP_1)
	v_pk_fma_f32 v[68:69], v[58:59], v[14:15], v[60:61] op_sel_hi:[1,0,1] neg_lo:[0,0,1] neg_hi:[0,0,1]
	v_pk_fma_f32 v[70:71], v[58:59], v[14:15], v[60:61] op_sel_hi:[1,0,1]
	ds_load_2addr_b64 v[58:61], v62 offset0:14 offset1:15
	v_dual_mov_b32 v14, v68 :: v_dual_mov_b32 v15, v71
	s_wait_dscnt 0x0
	v_pk_mul_f32 v[72:73], v[58:59], v[70:71] op_sel:[0,1]
	s_delay_alu instid0(VALU_DEP_1) | instskip(SKIP_1) | instid1(VALU_DEP_1)
	v_pk_fma_f32 v[74:75], v[58:59], v[68:69], v[72:73] op_sel:[0,0,1] op_sel_hi:[1,1,0] neg_lo:[0,0,1] neg_hi:[0,0,1]
	v_pk_fma_f32 v[58:59], v[58:59], v[68:69], v[72:73] op_sel:[0,0,1] op_sel_hi:[1,0,0]
	v_mov_b32_e32 v75, v59
	v_pk_mul_f32 v[58:59], v[60:61], v[70:71] op_sel:[0,1]
	s_delay_alu instid0(VALU_DEP_1) | instskip(SKIP_1) | instid1(VALU_DEP_1)
	v_pk_fma_f32 v[72:73], v[60:61], v[68:69], v[58:59] op_sel:[0,0,1] op_sel_hi:[1,1,0] neg_lo:[0,0,1] neg_hi:[0,0,1]
	v_pk_fma_f32 v[58:59], v[60:61], v[68:69], v[58:59] op_sel:[0,0,1] op_sel_hi:[1,0,0]
	v_mov_b32_e32 v73, v59
	ds_load_2addr_b64 v[58:61], v62 offset0:16 offset1:17
	v_pk_add_f32 v[20:21], v[20:21], v[74:75] neg_lo:[0,1] neg_hi:[0,1]
	v_pk_add_f32 v[12:13], v[12:13], v[72:73] neg_lo:[0,1] neg_hi:[0,1]
	s_wait_dscnt 0x0
	v_pk_mul_f32 v[72:73], v[58:59], v[70:71] op_sel:[0,1]
	s_delay_alu instid0(VALU_DEP_1) | instskip(SKIP_2) | instid1(VALU_DEP_2)
	v_pk_fma_f32 v[74:75], v[58:59], v[68:69], v[72:73] op_sel:[0,0,1] op_sel_hi:[1,1,0] neg_lo:[0,0,1] neg_hi:[0,0,1]
	v_pk_fma_f32 v[58:59], v[58:59], v[68:69], v[72:73] op_sel:[0,0,1] op_sel_hi:[1,0,0]
	v_dual_mul_f32 v72, v61, v71 :: v_dual_mov_b32 v58, v61
	v_dual_mov_b32 v75, v59 :: v_dual_mov_b32 v59, v60
	s_delay_alu instid0(VALU_DEP_2) | instskip(SKIP_1) | instid1(VALU_DEP_3)
	v_pk_fma_f32 v[72:73], v[60:61], v[14:15], v[72:73] op_sel_hi:[1,1,0] neg_lo:[0,0,1] neg_hi:[0,0,1]
	v_mul_f32_e32 v60, v61, v68
	v_pk_add_f32 v[46:47], v[46:47], v[74:75] neg_lo:[0,1] neg_hi:[0,1]
	s_delay_alu instid0(VALU_DEP_2) | instskip(NEXT) | instid1(VALU_DEP_1)
	v_pk_fma_f32 v[58:59], v[58:59], v[14:15], v[60:61] op_sel_hi:[1,1,0]
	v_mov_b32_e32 v73, v59
	ds_load_2addr_b64 v[58:61], v62 offset0:18 offset1:19
	v_pk_add_f32 v[26:27], v[26:27], v[72:73] neg_lo:[0,1] neg_hi:[0,1]
	s_wait_dscnt 0x0
	v_pk_mul_f32 v[72:73], v[58:59], v[70:71] op_sel:[0,1]
	s_delay_alu instid0(VALU_DEP_1) | instskip(SKIP_1) | instid1(VALU_DEP_1)
	v_pk_fma_f32 v[74:75], v[58:59], v[68:69], v[72:73] op_sel:[0,0,1] op_sel_hi:[1,1,0] neg_lo:[0,0,1] neg_hi:[0,0,1]
	v_pk_fma_f32 v[58:59], v[58:59], v[68:69], v[72:73] op_sel:[0,0,1] op_sel_hi:[1,0,0]
	v_mov_b32_e32 v75, v59
	v_pk_mul_f32 v[58:59], v[60:61], v[70:71] op_sel:[0,1]
	s_delay_alu instid0(VALU_DEP_1) | instskip(SKIP_1) | instid1(VALU_DEP_1)
	v_pk_fma_f32 v[72:73], v[60:61], v[68:69], v[58:59] op_sel:[0,0,1] op_sel_hi:[1,1,0] neg_lo:[0,0,1] neg_hi:[0,0,1]
	v_pk_fma_f32 v[58:59], v[60:61], v[68:69], v[58:59] op_sel:[0,0,1] op_sel_hi:[1,0,0]
	v_mov_b32_e32 v73, v59
	ds_load_2addr_b64 v[58:61], v62 offset0:20 offset1:21
	v_pk_add_f32 v[28:29], v[28:29], v[74:75] neg_lo:[0,1] neg_hi:[0,1]
	v_pk_add_f32 v[24:25], v[24:25], v[72:73] neg_lo:[0,1] neg_hi:[0,1]
	s_wait_dscnt 0x0
	v_pk_mul_f32 v[72:73], v[58:59], v[70:71] op_sel:[0,1]
	s_delay_alu instid0(VALU_DEP_1) | instskip(SKIP_1) | instid1(VALU_DEP_1)
	v_pk_fma_f32 v[74:75], v[58:59], v[68:69], v[72:73] op_sel:[0,0,1] op_sel_hi:[1,1,0] neg_lo:[0,0,1] neg_hi:[0,0,1]
	v_pk_fma_f32 v[58:59], v[58:59], v[68:69], v[72:73] op_sel:[0,0,1] op_sel_hi:[1,0,0]
	v_mov_b32_e32 v75, v59
	v_pk_mul_f32 v[58:59], v[60:61], v[70:71] op_sel:[0,1]
	s_delay_alu instid0(VALU_DEP_1) | instskip(SKIP_1) | instid1(VALU_DEP_1)
	v_pk_fma_f32 v[72:73], v[60:61], v[68:69], v[58:59] op_sel:[0,0,1] op_sel_hi:[1,1,0] neg_lo:[0,0,1] neg_hi:[0,0,1]
	v_pk_fma_f32 v[58:59], v[60:61], v[68:69], v[58:59] op_sel:[0,0,1] op_sel_hi:[1,0,0]
	v_mov_b32_e32 v73, v59
	ds_load_2addr_b64 v[58:61], v62 offset0:22 offset1:23
	v_pk_add_f32 v[38:39], v[38:39], v[74:75] neg_lo:[0,1] neg_hi:[0,1]
	v_pk_add_f32 v[30:31], v[30:31], v[72:73] neg_lo:[0,1] neg_hi:[0,1]
	s_wait_dscnt 0x0
	v_dual_mul_f32 v72, v59, v71 :: v_dual_mul_f32 v74, v59, v68
	s_delay_alu instid0(VALU_DEP_1) | instskip(NEXT) | instid1(VALU_DEP_2)
	v_pk_fma_f32 v[72:73], v[58:59], v[14:15], v[72:73] op_sel_hi:[1,1,0] neg_lo:[0,0,1] neg_hi:[0,0,1]
	v_pk_fma_f32 v[58:59], v[58:59], v[14:15], v[74:75] op_sel:[1,0,0] op_sel_hi:[0,1,0]
	s_delay_alu instid0(VALU_DEP_1) | instskip(SKIP_1) | instid1(VALU_DEP_2)
	v_mov_b32_e32 v73, v59
	v_pk_mul_f32 v[58:59], v[60:61], v[70:71] op_sel:[0,1]
	v_pk_add_f32 v[36:37], v[36:37], v[72:73] neg_lo:[0,1] neg_hi:[0,1]
	s_delay_alu instid0(VALU_DEP_2) | instskip(SKIP_1) | instid1(VALU_DEP_1)
	v_pk_fma_f32 v[72:73], v[60:61], v[68:69], v[58:59] op_sel:[0,0,1] op_sel_hi:[1,1,0] neg_lo:[0,0,1] neg_hi:[0,0,1]
	v_pk_fma_f32 v[58:59], v[60:61], v[68:69], v[58:59] op_sel:[0,0,1] op_sel_hi:[1,0,0]
	v_mov_b32_e32 v73, v59
	ds_load_2addr_b64 v[58:61], v62 offset0:24 offset1:25
	v_pk_add_f32 v[34:35], v[34:35], v[72:73] neg_lo:[0,1] neg_hi:[0,1]
	s_wait_dscnt 0x0
	v_pk_mul_f32 v[72:73], v[58:59], v[70:71] op_sel:[0,1]
	v_mul_f32_e32 v70, v61, v71
	s_delay_alu instid0(VALU_DEP_2) | instskip(SKIP_2) | instid1(VALU_DEP_4)
	v_pk_fma_f32 v[74:75], v[58:59], v[68:69], v[72:73] op_sel:[0,0,1] op_sel_hi:[1,1,0] neg_lo:[0,0,1] neg_hi:[0,0,1]
	v_pk_fma_f32 v[58:59], v[58:59], v[68:69], v[72:73] op_sel:[0,0,1] op_sel_hi:[1,0,0]
	v_mov_b32_e32 v58, v61
	v_pk_fma_f32 v[70:71], v[60:61], v[14:15], v[70:71] op_sel_hi:[1,1,0] neg_lo:[0,0,1] neg_hi:[0,0,1]
	s_delay_alu instid0(VALU_DEP_3) | instskip(SKIP_1) | instid1(VALU_DEP_2)
	v_dual_mov_b32 v75, v59 :: v_dual_mov_b32 v59, v60
	v_mul_f32_e32 v60, v61, v68
	v_pk_add_f32 v[32:33], v[32:33], v[74:75] neg_lo:[0,1] neg_hi:[0,1]
	s_delay_alu instid0(VALU_DEP_2) | instskip(NEXT) | instid1(VALU_DEP_1)
	v_pk_fma_f32 v[58:59], v[58:59], v[14:15], v[60:61] op_sel_hi:[1,1,0]
	v_mov_b32_e32 v71, v59
	s_delay_alu instid0(VALU_DEP_1)
	v_pk_add_f32 v[56:57], v[56:57], v[70:71] neg_lo:[0,1] neg_hi:[0,1]
.LBB50_293:
	s_or_b32 exec_lo, exec_lo, s0
	v_lshl_add_u32 v58, v66, 3, v62
	s_barrier_signal -1
	s_barrier_wait -1
	ds_store_b64 v58, v[20:21]
	s_wait_dscnt 0x0
	s_barrier_signal -1
	s_barrier_wait -1
	ds_load_b64 v[58:59], v62 offset:112
	v_mov_b32_e32 v60, 14
	s_cmp_lt_i32 s18, 16
	s_cbranch_scc1 .LBB50_296
; %bb.294:
	v_add3_u32 v61, v63, 0, 0x78
	v_mov_b32_e32 v60, 14
	s_mov_b32 s0, 15
.LBB50_295:                             ; =>This Inner Loop Header: Depth=1
	ds_load_b64 v[68:69], v61
	s_wait_dscnt 0x1
	v_cmp_gt_f32_e32 vcc_lo, 0, v58
	v_cndmask_b32_e64 v70, v58, -v58, vcc_lo
	v_cmp_gt_f32_e32 vcc_lo, 0, v59
	v_cndmask_b32_e64 v72, v59, -v59, vcc_lo
	s_wait_dscnt 0x0
	v_cmp_gt_f32_e32 vcc_lo, 0, v68
	v_cndmask_b32_e64 v71, v68, -v68, vcc_lo
	v_cmp_gt_f32_e32 vcc_lo, 0, v69
	v_cndmask_b32_e64 v73, v69, -v69, vcc_lo
	s_delay_alu instid0(VALU_DEP_1) | instskip(NEXT) | instid1(VALU_DEP_1)
	v_pk_add_f32 v[70:71], v[70:71], v[72:73]
	v_cmp_lt_f32_e32 vcc_lo, v70, v71
	v_dual_cndmask_b32 v58, v58, v68 :: v_dual_add_nc_u32 v61, 8, v61
	v_cndmask_b32_e32 v59, v59, v69, vcc_lo
	v_cndmask_b32_e64 v60, v60, s0, vcc_lo
	s_add_co_i32 s0, s0, 1
	s_delay_alu instid0(SALU_CYCLE_1)
	s_cmp_lg_u32 s18, s0
	s_cbranch_scc1 .LBB50_295
.LBB50_296:
	s_wait_dscnt 0x0
	v_cmp_eq_f32_e32 vcc_lo, 0, v58
	v_cmp_eq_f32_e64 s0, 0, v59
	s_and_b32 s0, vcc_lo, s0
	s_delay_alu instid0(SALU_CYCLE_1) | instskip(NEXT) | instid1(SALU_CYCLE_1)
	s_and_saveexec_b32 s1, s0
	s_xor_b32 s0, exec_lo, s1
; %bb.297:
	v_cmp_ne_u32_e32 vcc_lo, 0, v65
	v_cndmask_b32_e32 v65, 15, v65, vcc_lo
; %bb.298:
	s_and_not1_saveexec_b32 s0, s0
	s_cbranch_execz .LBB50_304
; %bb.299:
	v_cmp_ngt_f32_e64 s1, |v58|, |v59|
	s_and_saveexec_b32 s12, s1
	s_delay_alu instid0(SALU_CYCLE_1)
	s_xor_b32 s1, exec_lo, s12
	s_cbranch_execz .LBB50_301
; %bb.300:
	v_div_scale_f32 v61, null, v59, v59, v58
	v_div_scale_f32 v69, vcc_lo, v58, v59, v58
	s_delay_alu instid0(VALU_DEP_2) | instskip(SKIP_1) | instid1(TRANS32_DEP_1)
	v_rcp_f32_e32 v67, v61
	v_nop
	v_fma_f32 v68, -v61, v67, 1.0
	s_delay_alu instid0(VALU_DEP_1) | instskip(NEXT) | instid1(VALU_DEP_1)
	v_fmac_f32_e32 v67, v68, v67
	v_mul_f32_e32 v68, v69, v67
	s_delay_alu instid0(VALU_DEP_1) | instskip(NEXT) | instid1(VALU_DEP_1)
	v_fma_f32 v70, -v61, v68, v69
	v_fmac_f32_e32 v68, v70, v67
	s_delay_alu instid0(VALU_DEP_1) | instskip(NEXT) | instid1(VALU_DEP_1)
	v_fma_f32 v61, -v61, v68, v69
	v_div_fmas_f32 v61, v61, v67, v68
	s_delay_alu instid0(VALU_DEP_1) | instskip(NEXT) | instid1(VALU_DEP_1)
	v_div_fixup_f32 v61, v61, v59, v58
	v_fmac_f32_e32 v59, v58, v61
	s_delay_alu instid0(VALU_DEP_1) | instskip(SKIP_1) | instid1(VALU_DEP_2)
	v_div_scale_f32 v58, null, v59, v59, 1.0
	v_div_scale_f32 v69, vcc_lo, 1.0, v59, 1.0
	v_rcp_f32_e32 v67, v58
	v_nop
	s_delay_alu instid0(TRANS32_DEP_1) | instskip(NEXT) | instid1(VALU_DEP_1)
	v_fma_f32 v68, -v58, v67, 1.0
	v_fmac_f32_e32 v67, v68, v67
	s_delay_alu instid0(VALU_DEP_1) | instskip(NEXT) | instid1(VALU_DEP_1)
	v_mul_f32_e32 v68, v69, v67
	v_fma_f32 v70, -v58, v68, v69
	s_delay_alu instid0(VALU_DEP_1) | instskip(NEXT) | instid1(VALU_DEP_1)
	v_fmac_f32_e32 v68, v70, v67
	v_fma_f32 v58, -v58, v68, v69
	s_delay_alu instid0(VALU_DEP_1) | instskip(NEXT) | instid1(VALU_DEP_1)
	v_div_fmas_f32 v58, v58, v67, v68
	v_div_fixup_f32 v59, v58, v59, 1.0
	s_delay_alu instid0(VALU_DEP_1)
	v_mul_f32_e32 v58, v61, v59
	v_xor_b32_e32 v59, 0x80000000, v59
.LBB50_301:
	s_and_not1_saveexec_b32 s1, s1
	s_cbranch_execz .LBB50_303
; %bb.302:
	s_delay_alu instid0(VALU_DEP_1) | instskip(SKIP_1) | instid1(VALU_DEP_2)
	v_div_scale_f32 v61, null, v58, v58, v59
	v_div_scale_f32 v69, vcc_lo, v59, v58, v59
	v_rcp_f32_e32 v67, v61
	v_nop
	s_delay_alu instid0(TRANS32_DEP_1) | instskip(NEXT) | instid1(VALU_DEP_1)
	v_fma_f32 v68, -v61, v67, 1.0
	v_fmac_f32_e32 v67, v68, v67
	s_delay_alu instid0(VALU_DEP_1) | instskip(NEXT) | instid1(VALU_DEP_1)
	v_mul_f32_e32 v68, v69, v67
	v_fma_f32 v70, -v61, v68, v69
	s_delay_alu instid0(VALU_DEP_1) | instskip(NEXT) | instid1(VALU_DEP_1)
	v_fmac_f32_e32 v68, v70, v67
	v_fma_f32 v61, -v61, v68, v69
	s_delay_alu instid0(VALU_DEP_1) | instskip(NEXT) | instid1(VALU_DEP_1)
	v_div_fmas_f32 v61, v61, v67, v68
	v_div_fixup_f32 v61, v61, v58, v59
	s_delay_alu instid0(VALU_DEP_1) | instskip(NEXT) | instid1(VALU_DEP_1)
	v_fmac_f32_e32 v58, v59, v61
	v_div_scale_f32 v59, null, v58, v58, 1.0
	s_delay_alu instid0(VALU_DEP_1) | instskip(SKIP_1) | instid1(TRANS32_DEP_1)
	v_rcp_f32_e32 v67, v59
	v_nop
	v_fma_f32 v68, -v59, v67, 1.0
	s_delay_alu instid0(VALU_DEP_1) | instskip(SKIP_1) | instid1(VALU_DEP_1)
	v_fmac_f32_e32 v67, v68, v67
	v_div_scale_f32 v68, vcc_lo, 1.0, v58, 1.0
	v_mul_f32_e32 v69, v68, v67
	s_delay_alu instid0(VALU_DEP_1) | instskip(NEXT) | instid1(VALU_DEP_1)
	v_fma_f32 v70, -v59, v69, v68
	v_fmac_f32_e32 v69, v70, v67
	s_delay_alu instid0(VALU_DEP_1) | instskip(NEXT) | instid1(VALU_DEP_1)
	v_fma_f32 v59, -v59, v69, v68
	v_div_fmas_f32 v59, v59, v67, v69
	s_delay_alu instid0(VALU_DEP_1) | instskip(NEXT) | instid1(VALU_DEP_1)
	v_div_fixup_f32 v58, v59, v58, 1.0
	v_mul_f32_e64 v59, v61, -v58
.LBB50_303:
	s_or_b32 exec_lo, exec_lo, s1
.LBB50_304:
	s_delay_alu instid0(SALU_CYCLE_1) | instskip(NEXT) | instid1(SALU_CYCLE_1)
	s_or_b32 exec_lo, exec_lo, s0
	s_mov_b32 s0, exec_lo
	v_cmpx_ne_u32_e64 v66, v60
	s_xor_b32 s0, exec_lo, s0
	s_cbranch_execz .LBB50_310
; %bb.305:
	s_mov_b32 s1, exec_lo
	v_cmpx_eq_u32_e32 14, v66
	s_cbranch_execz .LBB50_309
; %bb.306:
	v_cmp_ne_u32_e32 vcc_lo, 14, v60
	s_xor_b32 s12, s16, -1
	s_delay_alu instid0(SALU_CYCLE_1) | instskip(NEXT) | instid1(SALU_CYCLE_1)
	s_and_b32 s13, s12, vcc_lo
	s_and_saveexec_b32 s12, s13
	s_cbranch_execz .LBB50_308
; %bb.307:
	v_ashrrev_i32_e32 v61, 31, v60
	s_delay_alu instid0(VALU_DEP_1)
	v_lshl_add_u64 v[66:67], v[60:61], 2, v[4:5]
	s_clause 0x1
	global_load_b32 v61, v[66:67], off
	global_load_b32 v64, v[4:5], off offset:56
	s_wait_loadcnt 0x1
	global_store_b32 v[4:5], v61, off offset:56
	s_wait_loadcnt 0x0
	global_store_b32 v[66:67], v64, off
.LBB50_308:
	s_wait_xcnt 0x0
	s_or_b32 exec_lo, exec_lo, s12
	v_dual_mov_b32 v66, v60 :: v_dual_mov_b32 v64, v60
.LBB50_309:
	s_or_b32 exec_lo, exec_lo, s1
.LBB50_310:
	s_and_not1_saveexec_b32 s0, s0
	s_cbranch_execz .LBB50_312
; %bb.311:
	v_mov_b32_e32 v66, 14
	ds_store_2addr_b64 v62, v[12:13], v[46:47] offset0:15 offset1:16
	ds_store_2addr_b64 v62, v[26:27], v[28:29] offset0:17 offset1:18
	;; [unrolled: 1-line block ×5, first 2 shown]
	ds_store_b64 v62, v[56:57] offset:200
.LBB50_312:
	s_or_b32 exec_lo, exec_lo, s0
	s_delay_alu instid0(SALU_CYCLE_1)
	s_mov_b32 s0, exec_lo
	s_wait_storecnt_dscnt 0x0
	s_barrier_signal -1
	s_barrier_wait -1
	v_cmpx_lt_i32_e32 14, v66
	s_cbranch_execz .LBB50_314
; %bb.313:
	v_pk_mul_f32 v[60:61], v[58:59], v[20:21] op_sel:[1,1] op_sel_hi:[0,1]
	s_delay_alu instid0(VALU_DEP_1)
	v_pk_fma_f32 v[68:69], v[58:59], v[20:21], v[60:61] op_sel_hi:[1,0,1] neg_lo:[0,0,1] neg_hi:[0,0,1]
	v_pk_fma_f32 v[70:71], v[58:59], v[20:21], v[60:61] op_sel_hi:[1,0,1]
	ds_load_2addr_b64 v[58:61], v62 offset0:15 offset1:16
	v_dual_mov_b32 v20, v68 :: v_dual_mov_b32 v21, v71
	s_wait_dscnt 0x0
	v_pk_mul_f32 v[72:73], v[58:59], v[70:71] op_sel:[0,1]
	s_delay_alu instid0(VALU_DEP_1) | instskip(SKIP_1) | instid1(VALU_DEP_1)
	v_pk_fma_f32 v[74:75], v[58:59], v[68:69], v[72:73] op_sel:[0,0,1] op_sel_hi:[1,1,0] neg_lo:[0,0,1] neg_hi:[0,0,1]
	v_pk_fma_f32 v[58:59], v[58:59], v[68:69], v[72:73] op_sel:[0,0,1] op_sel_hi:[1,0,0]
	v_mov_b32_e32 v75, v59
	v_pk_mul_f32 v[58:59], v[60:61], v[70:71] op_sel:[0,1]
	s_delay_alu instid0(VALU_DEP_1) | instskip(SKIP_1) | instid1(VALU_DEP_1)
	v_pk_fma_f32 v[72:73], v[60:61], v[68:69], v[58:59] op_sel:[0,0,1] op_sel_hi:[1,1,0] neg_lo:[0,0,1] neg_hi:[0,0,1]
	v_pk_fma_f32 v[58:59], v[60:61], v[68:69], v[58:59] op_sel:[0,0,1] op_sel_hi:[1,0,0]
	v_mov_b32_e32 v73, v59
	ds_load_2addr_b64 v[58:61], v62 offset0:17 offset1:18
	v_pk_add_f32 v[12:13], v[12:13], v[74:75] neg_lo:[0,1] neg_hi:[0,1]
	v_pk_add_f32 v[46:47], v[46:47], v[72:73] neg_lo:[0,1] neg_hi:[0,1]
	s_wait_dscnt 0x0
	v_pk_mul_f32 v[72:73], v[58:59], v[70:71] op_sel:[0,1]
	s_delay_alu instid0(VALU_DEP_1) | instskip(SKIP_2) | instid1(VALU_DEP_2)
	v_pk_fma_f32 v[74:75], v[58:59], v[68:69], v[72:73] op_sel:[0,0,1] op_sel_hi:[1,1,0] neg_lo:[0,0,1] neg_hi:[0,0,1]
	v_pk_fma_f32 v[58:59], v[58:59], v[68:69], v[72:73] op_sel:[0,0,1] op_sel_hi:[1,0,0]
	v_dual_mul_f32 v72, v61, v71 :: v_dual_mov_b32 v58, v61
	v_dual_mov_b32 v75, v59 :: v_dual_mov_b32 v59, v60
	s_delay_alu instid0(VALU_DEP_2) | instskip(SKIP_1) | instid1(VALU_DEP_3)
	v_pk_fma_f32 v[72:73], v[60:61], v[20:21], v[72:73] op_sel_hi:[1,1,0] neg_lo:[0,0,1] neg_hi:[0,0,1]
	v_mul_f32_e32 v60, v61, v68
	v_pk_add_f32 v[26:27], v[26:27], v[74:75] neg_lo:[0,1] neg_hi:[0,1]
	s_delay_alu instid0(VALU_DEP_2) | instskip(NEXT) | instid1(VALU_DEP_1)
	v_pk_fma_f32 v[58:59], v[58:59], v[20:21], v[60:61] op_sel_hi:[1,1,0]
	v_mov_b32_e32 v73, v59
	ds_load_2addr_b64 v[58:61], v62 offset0:19 offset1:20
	v_pk_add_f32 v[28:29], v[28:29], v[72:73] neg_lo:[0,1] neg_hi:[0,1]
	s_wait_dscnt 0x0
	v_pk_mul_f32 v[72:73], v[58:59], v[70:71] op_sel:[0,1]
	s_delay_alu instid0(VALU_DEP_1) | instskip(SKIP_1) | instid1(VALU_DEP_1)
	v_pk_fma_f32 v[74:75], v[58:59], v[68:69], v[72:73] op_sel:[0,0,1] op_sel_hi:[1,1,0] neg_lo:[0,0,1] neg_hi:[0,0,1]
	v_pk_fma_f32 v[58:59], v[58:59], v[68:69], v[72:73] op_sel:[0,0,1] op_sel_hi:[1,0,0]
	v_mov_b32_e32 v75, v59
	v_pk_mul_f32 v[58:59], v[60:61], v[70:71] op_sel:[0,1]
	s_delay_alu instid0(VALU_DEP_1) | instskip(SKIP_1) | instid1(VALU_DEP_1)
	v_pk_fma_f32 v[72:73], v[60:61], v[68:69], v[58:59] op_sel:[0,0,1] op_sel_hi:[1,1,0] neg_lo:[0,0,1] neg_hi:[0,0,1]
	v_pk_fma_f32 v[58:59], v[60:61], v[68:69], v[58:59] op_sel:[0,0,1] op_sel_hi:[1,0,0]
	v_mov_b32_e32 v73, v59
	ds_load_2addr_b64 v[58:61], v62 offset0:21 offset1:22
	v_pk_add_f32 v[24:25], v[24:25], v[74:75] neg_lo:[0,1] neg_hi:[0,1]
	v_pk_add_f32 v[38:39], v[38:39], v[72:73] neg_lo:[0,1] neg_hi:[0,1]
	s_wait_dscnt 0x0
	v_pk_mul_f32 v[72:73], v[58:59], v[70:71] op_sel:[0,1]
	s_delay_alu instid0(VALU_DEP_1) | instskip(SKIP_1) | instid1(VALU_DEP_1)
	v_pk_fma_f32 v[74:75], v[58:59], v[68:69], v[72:73] op_sel:[0,0,1] op_sel_hi:[1,1,0] neg_lo:[0,0,1] neg_hi:[0,0,1]
	v_pk_fma_f32 v[58:59], v[58:59], v[68:69], v[72:73] op_sel:[0,0,1] op_sel_hi:[1,0,0]
	v_mov_b32_e32 v75, v59
	v_pk_mul_f32 v[58:59], v[60:61], v[70:71] op_sel:[0,1]
	s_delay_alu instid0(VALU_DEP_1) | instskip(SKIP_1) | instid1(VALU_DEP_1)
	v_pk_fma_f32 v[72:73], v[60:61], v[68:69], v[58:59] op_sel:[0,0,1] op_sel_hi:[1,1,0] neg_lo:[0,0,1] neg_hi:[0,0,1]
	v_pk_fma_f32 v[58:59], v[60:61], v[68:69], v[58:59] op_sel:[0,0,1] op_sel_hi:[1,0,0]
	v_mov_b32_e32 v73, v59
	ds_load_2addr_b64 v[58:61], v62 offset0:23 offset1:24
	v_pk_add_f32 v[30:31], v[30:31], v[74:75] neg_lo:[0,1] neg_hi:[0,1]
	v_pk_add_f32 v[36:37], v[36:37], v[72:73] neg_lo:[0,1] neg_hi:[0,1]
	s_wait_dscnt 0x0
	v_dual_mul_f32 v72, v59, v71 :: v_dual_mul_f32 v74, v59, v68
	s_delay_alu instid0(VALU_DEP_1) | instskip(NEXT) | instid1(VALU_DEP_2)
	v_pk_fma_f32 v[72:73], v[58:59], v[20:21], v[72:73] op_sel_hi:[1,1,0] neg_lo:[0,0,1] neg_hi:[0,0,1]
	v_pk_fma_f32 v[58:59], v[58:59], v[20:21], v[74:75] op_sel:[1,0,0] op_sel_hi:[0,1,0]
	s_delay_alu instid0(VALU_DEP_1) | instskip(SKIP_1) | instid1(VALU_DEP_2)
	v_mov_b32_e32 v73, v59
	v_pk_mul_f32 v[58:59], v[60:61], v[70:71] op_sel:[0,1]
	v_pk_add_f32 v[34:35], v[34:35], v[72:73] neg_lo:[0,1] neg_hi:[0,1]
	s_delay_alu instid0(VALU_DEP_2) | instskip(SKIP_1) | instid1(VALU_DEP_1)
	v_pk_fma_f32 v[72:73], v[60:61], v[68:69], v[58:59] op_sel:[0,0,1] op_sel_hi:[1,1,0] neg_lo:[0,0,1] neg_hi:[0,0,1]
	v_pk_fma_f32 v[58:59], v[60:61], v[68:69], v[58:59] op_sel:[0,0,1] op_sel_hi:[1,0,0]
	v_mov_b32_e32 v73, v59
	ds_load_b64 v[58:59], v62 offset:200
	v_pk_add_f32 v[32:33], v[32:33], v[72:73] neg_lo:[0,1] neg_hi:[0,1]
	s_wait_dscnt 0x0
	v_pk_mul_f32 v[60:61], v[58:59], v[70:71] op_sel:[0,1]
	s_delay_alu instid0(VALU_DEP_1) | instskip(SKIP_1) | instid1(VALU_DEP_1)
	v_pk_fma_f32 v[70:71], v[58:59], v[68:69], v[60:61] op_sel:[0,0,1] op_sel_hi:[1,1,0] neg_lo:[0,0,1] neg_hi:[0,0,1]
	v_pk_fma_f32 v[58:59], v[58:59], v[68:69], v[60:61] op_sel:[0,0,1] op_sel_hi:[1,0,0]
	v_mov_b32_e32 v71, v59
	s_delay_alu instid0(VALU_DEP_1)
	v_pk_add_f32 v[56:57], v[56:57], v[70:71] neg_lo:[0,1] neg_hi:[0,1]
.LBB50_314:
	s_or_b32 exec_lo, exec_lo, s0
	v_lshl_add_u32 v58, v66, 3, v62
	s_barrier_signal -1
	s_barrier_wait -1
	ds_store_b64 v58, v[12:13]
	s_wait_dscnt 0x0
	s_barrier_signal -1
	s_barrier_wait -1
	ds_load_b64 v[58:59], v62 offset:120
	v_mov_b32_e32 v60, 15
	s_cmp_lt_i32 s18, 17
	s_cbranch_scc1 .LBB50_317
; %bb.315:
	v_add3_u32 v61, v63, 0, 0x80
	v_mov_b32_e32 v60, 15
	s_mov_b32 s0, 16
.LBB50_316:                             ; =>This Inner Loop Header: Depth=1
	ds_load_b64 v[68:69], v61
	s_wait_dscnt 0x1
	v_cmp_gt_f32_e32 vcc_lo, 0, v58
	v_cndmask_b32_e64 v70, v58, -v58, vcc_lo
	v_cmp_gt_f32_e32 vcc_lo, 0, v59
	v_cndmask_b32_e64 v72, v59, -v59, vcc_lo
	s_wait_dscnt 0x0
	v_cmp_gt_f32_e32 vcc_lo, 0, v68
	v_cndmask_b32_e64 v71, v68, -v68, vcc_lo
	v_cmp_gt_f32_e32 vcc_lo, 0, v69
	v_cndmask_b32_e64 v73, v69, -v69, vcc_lo
	s_delay_alu instid0(VALU_DEP_1) | instskip(NEXT) | instid1(VALU_DEP_1)
	v_pk_add_f32 v[70:71], v[70:71], v[72:73]
	v_cmp_lt_f32_e32 vcc_lo, v70, v71
	v_dual_cndmask_b32 v58, v58, v68 :: v_dual_add_nc_u32 v61, 8, v61
	v_cndmask_b32_e32 v59, v59, v69, vcc_lo
	v_cndmask_b32_e64 v60, v60, s0, vcc_lo
	s_add_co_i32 s0, s0, 1
	s_delay_alu instid0(SALU_CYCLE_1)
	s_cmp_lg_u32 s18, s0
	s_cbranch_scc1 .LBB50_316
.LBB50_317:
	s_wait_dscnt 0x0
	v_cmp_eq_f32_e32 vcc_lo, 0, v58
	v_cmp_eq_f32_e64 s0, 0, v59
	s_and_b32 s0, vcc_lo, s0
	s_delay_alu instid0(SALU_CYCLE_1) | instskip(NEXT) | instid1(SALU_CYCLE_1)
	s_and_saveexec_b32 s1, s0
	s_xor_b32 s0, exec_lo, s1
; %bb.318:
	v_cmp_ne_u32_e32 vcc_lo, 0, v65
	v_cndmask_b32_e32 v65, 16, v65, vcc_lo
; %bb.319:
	s_and_not1_saveexec_b32 s0, s0
	s_cbranch_execz .LBB50_325
; %bb.320:
	v_cmp_ngt_f32_e64 s1, |v58|, |v59|
	s_and_saveexec_b32 s12, s1
	s_delay_alu instid0(SALU_CYCLE_1)
	s_xor_b32 s1, exec_lo, s12
	s_cbranch_execz .LBB50_322
; %bb.321:
	v_div_scale_f32 v61, null, v59, v59, v58
	v_div_scale_f32 v69, vcc_lo, v58, v59, v58
	s_delay_alu instid0(VALU_DEP_2) | instskip(SKIP_1) | instid1(TRANS32_DEP_1)
	v_rcp_f32_e32 v67, v61
	v_nop
	v_fma_f32 v68, -v61, v67, 1.0
	s_delay_alu instid0(VALU_DEP_1) | instskip(NEXT) | instid1(VALU_DEP_1)
	v_fmac_f32_e32 v67, v68, v67
	v_mul_f32_e32 v68, v69, v67
	s_delay_alu instid0(VALU_DEP_1) | instskip(NEXT) | instid1(VALU_DEP_1)
	v_fma_f32 v70, -v61, v68, v69
	v_fmac_f32_e32 v68, v70, v67
	s_delay_alu instid0(VALU_DEP_1) | instskip(NEXT) | instid1(VALU_DEP_1)
	v_fma_f32 v61, -v61, v68, v69
	v_div_fmas_f32 v61, v61, v67, v68
	s_delay_alu instid0(VALU_DEP_1) | instskip(NEXT) | instid1(VALU_DEP_1)
	v_div_fixup_f32 v61, v61, v59, v58
	v_fmac_f32_e32 v59, v58, v61
	s_delay_alu instid0(VALU_DEP_1) | instskip(SKIP_1) | instid1(VALU_DEP_2)
	v_div_scale_f32 v58, null, v59, v59, 1.0
	v_div_scale_f32 v69, vcc_lo, 1.0, v59, 1.0
	v_rcp_f32_e32 v67, v58
	v_nop
	s_delay_alu instid0(TRANS32_DEP_1) | instskip(NEXT) | instid1(VALU_DEP_1)
	v_fma_f32 v68, -v58, v67, 1.0
	v_fmac_f32_e32 v67, v68, v67
	s_delay_alu instid0(VALU_DEP_1) | instskip(NEXT) | instid1(VALU_DEP_1)
	v_mul_f32_e32 v68, v69, v67
	v_fma_f32 v70, -v58, v68, v69
	s_delay_alu instid0(VALU_DEP_1) | instskip(NEXT) | instid1(VALU_DEP_1)
	v_fmac_f32_e32 v68, v70, v67
	v_fma_f32 v58, -v58, v68, v69
	s_delay_alu instid0(VALU_DEP_1) | instskip(NEXT) | instid1(VALU_DEP_1)
	v_div_fmas_f32 v58, v58, v67, v68
	v_div_fixup_f32 v59, v58, v59, 1.0
	s_delay_alu instid0(VALU_DEP_1)
	v_mul_f32_e32 v58, v61, v59
	v_xor_b32_e32 v59, 0x80000000, v59
.LBB50_322:
	s_and_not1_saveexec_b32 s1, s1
	s_cbranch_execz .LBB50_324
; %bb.323:
	s_delay_alu instid0(VALU_DEP_1) | instskip(SKIP_1) | instid1(VALU_DEP_2)
	v_div_scale_f32 v61, null, v58, v58, v59
	v_div_scale_f32 v69, vcc_lo, v59, v58, v59
	v_rcp_f32_e32 v67, v61
	v_nop
	s_delay_alu instid0(TRANS32_DEP_1) | instskip(NEXT) | instid1(VALU_DEP_1)
	v_fma_f32 v68, -v61, v67, 1.0
	v_fmac_f32_e32 v67, v68, v67
	s_delay_alu instid0(VALU_DEP_1) | instskip(NEXT) | instid1(VALU_DEP_1)
	v_mul_f32_e32 v68, v69, v67
	v_fma_f32 v70, -v61, v68, v69
	s_delay_alu instid0(VALU_DEP_1) | instskip(NEXT) | instid1(VALU_DEP_1)
	v_fmac_f32_e32 v68, v70, v67
	v_fma_f32 v61, -v61, v68, v69
	s_delay_alu instid0(VALU_DEP_1) | instskip(NEXT) | instid1(VALU_DEP_1)
	v_div_fmas_f32 v61, v61, v67, v68
	v_div_fixup_f32 v61, v61, v58, v59
	s_delay_alu instid0(VALU_DEP_1) | instskip(NEXT) | instid1(VALU_DEP_1)
	v_fmac_f32_e32 v58, v59, v61
	v_div_scale_f32 v59, null, v58, v58, 1.0
	s_delay_alu instid0(VALU_DEP_1) | instskip(SKIP_1) | instid1(TRANS32_DEP_1)
	v_rcp_f32_e32 v67, v59
	v_nop
	v_fma_f32 v68, -v59, v67, 1.0
	s_delay_alu instid0(VALU_DEP_1) | instskip(SKIP_1) | instid1(VALU_DEP_1)
	v_fmac_f32_e32 v67, v68, v67
	v_div_scale_f32 v68, vcc_lo, 1.0, v58, 1.0
	v_mul_f32_e32 v69, v68, v67
	s_delay_alu instid0(VALU_DEP_1) | instskip(NEXT) | instid1(VALU_DEP_1)
	v_fma_f32 v70, -v59, v69, v68
	v_fmac_f32_e32 v69, v70, v67
	s_delay_alu instid0(VALU_DEP_1) | instskip(NEXT) | instid1(VALU_DEP_1)
	v_fma_f32 v59, -v59, v69, v68
	v_div_fmas_f32 v59, v59, v67, v69
	s_delay_alu instid0(VALU_DEP_1) | instskip(NEXT) | instid1(VALU_DEP_1)
	v_div_fixup_f32 v58, v59, v58, 1.0
	v_mul_f32_e64 v59, v61, -v58
.LBB50_324:
	s_or_b32 exec_lo, exec_lo, s1
.LBB50_325:
	s_delay_alu instid0(SALU_CYCLE_1) | instskip(NEXT) | instid1(SALU_CYCLE_1)
	s_or_b32 exec_lo, exec_lo, s0
	s_mov_b32 s0, exec_lo
	v_cmpx_ne_u32_e64 v66, v60
	s_xor_b32 s0, exec_lo, s0
	s_cbranch_execz .LBB50_331
; %bb.326:
	s_mov_b32 s1, exec_lo
	v_cmpx_eq_u32_e32 15, v66
	s_cbranch_execz .LBB50_330
; %bb.327:
	v_cmp_ne_u32_e32 vcc_lo, 15, v60
	s_xor_b32 s12, s16, -1
	s_delay_alu instid0(SALU_CYCLE_1) | instskip(NEXT) | instid1(SALU_CYCLE_1)
	s_and_b32 s13, s12, vcc_lo
	s_and_saveexec_b32 s12, s13
	s_cbranch_execz .LBB50_329
; %bb.328:
	v_ashrrev_i32_e32 v61, 31, v60
	s_delay_alu instid0(VALU_DEP_1)
	v_lshl_add_u64 v[66:67], v[60:61], 2, v[4:5]
	s_clause 0x1
	global_load_b32 v61, v[66:67], off
	global_load_b32 v64, v[4:5], off offset:60
	s_wait_loadcnt 0x1
	global_store_b32 v[4:5], v61, off offset:60
	s_wait_loadcnt 0x0
	global_store_b32 v[66:67], v64, off
.LBB50_329:
	s_wait_xcnt 0x0
	s_or_b32 exec_lo, exec_lo, s12
	v_dual_mov_b32 v66, v60 :: v_dual_mov_b32 v64, v60
.LBB50_330:
	s_or_b32 exec_lo, exec_lo, s1
.LBB50_331:
	s_and_not1_saveexec_b32 s0, s0
	s_cbranch_execz .LBB50_333
; %bb.332:
	v_dual_mov_b32 v60, v46 :: v_dual_mov_b32 v61, v47
	v_dual_mov_b32 v66, v26 :: v_dual_mov_b32 v67, v27
	ds_store_2addr_b64 v62, v[60:61], v[66:67] offset0:16 offset1:17
	v_dual_mov_b32 v60, v28 :: v_dual_mov_b32 v61, v29
	v_dual_mov_b32 v66, v24 :: v_dual_mov_b32 v67, v25
	ds_store_2addr_b64 v62, v[60:61], v[66:67] offset0:18 offset1:19
	;; [unrolled: 3-line block ×4, first 2 shown]
	v_dual_mov_b32 v60, v32 :: v_dual_mov_b32 v61, v33
	v_mov_b32_e32 v66, 15
	ds_store_2addr_b64 v62, v[60:61], v[56:57] offset0:24 offset1:25
.LBB50_333:
	s_or_b32 exec_lo, exec_lo, s0
	s_delay_alu instid0(SALU_CYCLE_1)
	s_mov_b32 s0, exec_lo
	s_wait_storecnt_dscnt 0x0
	s_barrier_signal -1
	s_barrier_wait -1
	v_cmpx_lt_i32_e32 15, v66
	s_cbranch_execz .LBB50_335
; %bb.334:
	v_pk_mul_f32 v[60:61], v[58:59], v[12:13] op_sel:[1,1] op_sel_hi:[0,1]
	s_delay_alu instid0(VALU_DEP_1)
	v_pk_fma_f32 v[68:69], v[58:59], v[12:13], v[60:61] op_sel_hi:[1,0,1] neg_lo:[0,0,1] neg_hi:[0,0,1]
	v_pk_fma_f32 v[70:71], v[58:59], v[12:13], v[60:61] op_sel_hi:[1,0,1]
	ds_load_2addr_b64 v[58:61], v62 offset0:16 offset1:17
	v_dual_mov_b32 v12, v68 :: v_dual_mov_b32 v13, v71
	s_wait_dscnt 0x0
	v_pk_mul_f32 v[72:73], v[58:59], v[70:71] op_sel:[0,1]
	s_delay_alu instid0(VALU_DEP_1) | instskip(SKIP_1) | instid1(VALU_DEP_1)
	v_pk_fma_f32 v[74:75], v[58:59], v[68:69], v[72:73] op_sel:[0,0,1] op_sel_hi:[1,1,0] neg_lo:[0,0,1] neg_hi:[0,0,1]
	v_pk_fma_f32 v[58:59], v[58:59], v[68:69], v[72:73] op_sel:[0,0,1] op_sel_hi:[1,0,0]
	v_mov_b32_e32 v75, v59
	v_pk_mul_f32 v[58:59], v[60:61], v[70:71] op_sel:[0,1]
	s_delay_alu instid0(VALU_DEP_1) | instskip(SKIP_1) | instid1(VALU_DEP_1)
	v_pk_fma_f32 v[72:73], v[60:61], v[68:69], v[58:59] op_sel:[0,0,1] op_sel_hi:[1,1,0] neg_lo:[0,0,1] neg_hi:[0,0,1]
	v_pk_fma_f32 v[58:59], v[60:61], v[68:69], v[58:59] op_sel:[0,0,1] op_sel_hi:[1,0,0]
	v_mov_b32_e32 v73, v59
	ds_load_2addr_b64 v[58:61], v62 offset0:18 offset1:19
	v_pk_add_f32 v[46:47], v[46:47], v[74:75] neg_lo:[0,1] neg_hi:[0,1]
	v_pk_add_f32 v[26:27], v[26:27], v[72:73] neg_lo:[0,1] neg_hi:[0,1]
	s_wait_dscnt 0x0
	v_pk_mul_f32 v[72:73], v[58:59], v[70:71] op_sel:[0,1]
	s_delay_alu instid0(VALU_DEP_1) | instskip(SKIP_2) | instid1(VALU_DEP_2)
	v_pk_fma_f32 v[74:75], v[58:59], v[68:69], v[72:73] op_sel:[0,0,1] op_sel_hi:[1,1,0] neg_lo:[0,0,1] neg_hi:[0,0,1]
	v_pk_fma_f32 v[58:59], v[58:59], v[68:69], v[72:73] op_sel:[0,0,1] op_sel_hi:[1,0,0]
	v_dual_mul_f32 v72, v61, v71 :: v_dual_mov_b32 v58, v61
	v_dual_mov_b32 v75, v59 :: v_dual_mov_b32 v59, v60
	s_delay_alu instid0(VALU_DEP_2) | instskip(SKIP_1) | instid1(VALU_DEP_3)
	v_pk_fma_f32 v[72:73], v[60:61], v[12:13], v[72:73] op_sel_hi:[1,1,0] neg_lo:[0,0,1] neg_hi:[0,0,1]
	v_mul_f32_e32 v60, v61, v68
	v_pk_add_f32 v[28:29], v[28:29], v[74:75] neg_lo:[0,1] neg_hi:[0,1]
	s_delay_alu instid0(VALU_DEP_2) | instskip(NEXT) | instid1(VALU_DEP_1)
	v_pk_fma_f32 v[58:59], v[58:59], v[12:13], v[60:61] op_sel_hi:[1,1,0]
	v_mov_b32_e32 v73, v59
	ds_load_2addr_b64 v[58:61], v62 offset0:20 offset1:21
	v_pk_add_f32 v[24:25], v[24:25], v[72:73] neg_lo:[0,1] neg_hi:[0,1]
	s_wait_dscnt 0x0
	v_pk_mul_f32 v[72:73], v[58:59], v[70:71] op_sel:[0,1]
	s_delay_alu instid0(VALU_DEP_1) | instskip(SKIP_1) | instid1(VALU_DEP_1)
	v_pk_fma_f32 v[74:75], v[58:59], v[68:69], v[72:73] op_sel:[0,0,1] op_sel_hi:[1,1,0] neg_lo:[0,0,1] neg_hi:[0,0,1]
	v_pk_fma_f32 v[58:59], v[58:59], v[68:69], v[72:73] op_sel:[0,0,1] op_sel_hi:[1,0,0]
	v_mov_b32_e32 v75, v59
	v_pk_mul_f32 v[58:59], v[60:61], v[70:71] op_sel:[0,1]
	s_delay_alu instid0(VALU_DEP_1) | instskip(SKIP_1) | instid1(VALU_DEP_1)
	v_pk_fma_f32 v[72:73], v[60:61], v[68:69], v[58:59] op_sel:[0,0,1] op_sel_hi:[1,1,0] neg_lo:[0,0,1] neg_hi:[0,0,1]
	v_pk_fma_f32 v[58:59], v[60:61], v[68:69], v[58:59] op_sel:[0,0,1] op_sel_hi:[1,0,0]
	v_mov_b32_e32 v73, v59
	ds_load_2addr_b64 v[58:61], v62 offset0:22 offset1:23
	v_pk_add_f32 v[38:39], v[38:39], v[74:75] neg_lo:[0,1] neg_hi:[0,1]
	v_pk_add_f32 v[30:31], v[30:31], v[72:73] neg_lo:[0,1] neg_hi:[0,1]
	s_wait_dscnt 0x0
	v_pk_mul_f32 v[72:73], v[58:59], v[70:71] op_sel:[0,1]
	s_delay_alu instid0(VALU_DEP_1) | instskip(SKIP_1) | instid1(VALU_DEP_1)
	v_pk_fma_f32 v[74:75], v[58:59], v[68:69], v[72:73] op_sel:[0,0,1] op_sel_hi:[1,1,0] neg_lo:[0,0,1] neg_hi:[0,0,1]
	v_pk_fma_f32 v[58:59], v[58:59], v[68:69], v[72:73] op_sel:[0,0,1] op_sel_hi:[1,0,0]
	v_mov_b32_e32 v75, v59
	v_pk_mul_f32 v[58:59], v[60:61], v[70:71] op_sel:[0,1]
	s_delay_alu instid0(VALU_DEP_1) | instskip(SKIP_1) | instid1(VALU_DEP_1)
	v_pk_fma_f32 v[72:73], v[60:61], v[68:69], v[58:59] op_sel:[0,0,1] op_sel_hi:[1,1,0] neg_lo:[0,0,1] neg_hi:[0,0,1]
	v_pk_fma_f32 v[58:59], v[60:61], v[68:69], v[58:59] op_sel:[0,0,1] op_sel_hi:[1,0,0]
	v_mov_b32_e32 v73, v59
	ds_load_2addr_b64 v[58:61], v62 offset0:24 offset1:25
	v_pk_add_f32 v[36:37], v[36:37], v[74:75] neg_lo:[0,1] neg_hi:[0,1]
	v_pk_add_f32 v[34:35], v[34:35], v[72:73] neg_lo:[0,1] neg_hi:[0,1]
	s_wait_dscnt 0x0
	v_dual_mul_f32 v72, v59, v71 :: v_dual_mul_f32 v74, v59, v68
	s_delay_alu instid0(VALU_DEP_1) | instskip(NEXT) | instid1(VALU_DEP_2)
	v_pk_fma_f32 v[72:73], v[58:59], v[12:13], v[72:73] op_sel_hi:[1,1,0] neg_lo:[0,0,1] neg_hi:[0,0,1]
	v_pk_fma_f32 v[58:59], v[58:59], v[12:13], v[74:75] op_sel:[1,0,0] op_sel_hi:[0,1,0]
	s_delay_alu instid0(VALU_DEP_1) | instskip(SKIP_1) | instid1(VALU_DEP_1)
	v_mov_b32_e32 v73, v59
	v_pk_mul_f32 v[58:59], v[60:61], v[70:71] op_sel:[0,1]
	v_pk_fma_f32 v[70:71], v[60:61], v[68:69], v[58:59] op_sel:[0,0,1] op_sel_hi:[1,1,0] neg_lo:[0,0,1] neg_hi:[0,0,1]
	v_pk_fma_f32 v[58:59], v[60:61], v[68:69], v[58:59] op_sel:[0,0,1] op_sel_hi:[1,0,0]
	s_delay_alu instid0(VALU_DEP_1) | instskip(SKIP_1) | instid1(VALU_DEP_2)
	v_mov_b32_e32 v71, v59
	v_pk_add_f32 v[32:33], v[32:33], v[72:73] neg_lo:[0,1] neg_hi:[0,1]
	v_pk_add_f32 v[56:57], v[56:57], v[70:71] neg_lo:[0,1] neg_hi:[0,1]
.LBB50_335:
	s_or_b32 exec_lo, exec_lo, s0
	v_lshl_add_u32 v58, v66, 3, v62
	s_barrier_signal -1
	s_barrier_wait -1
	ds_store_b64 v58, v[46:47]
	s_wait_dscnt 0x0
	s_barrier_signal -1
	s_barrier_wait -1
	ds_load_b64 v[58:59], v62 offset:128
	v_mov_b32_e32 v60, 16
	s_cmp_lt_i32 s18, 18
	s_cbranch_scc1 .LBB50_338
; %bb.336:
	v_add3_u32 v61, v63, 0, 0x88
	v_mov_b32_e32 v60, 16
	s_mov_b32 s0, 17
.LBB50_337:                             ; =>This Inner Loop Header: Depth=1
	ds_load_b64 v[68:69], v61
	s_wait_dscnt 0x1
	v_cmp_gt_f32_e32 vcc_lo, 0, v58
	v_cndmask_b32_e64 v70, v58, -v58, vcc_lo
	v_cmp_gt_f32_e32 vcc_lo, 0, v59
	v_cndmask_b32_e64 v72, v59, -v59, vcc_lo
	s_wait_dscnt 0x0
	v_cmp_gt_f32_e32 vcc_lo, 0, v68
	v_cndmask_b32_e64 v71, v68, -v68, vcc_lo
	v_cmp_gt_f32_e32 vcc_lo, 0, v69
	v_cndmask_b32_e64 v73, v69, -v69, vcc_lo
	s_delay_alu instid0(VALU_DEP_1) | instskip(NEXT) | instid1(VALU_DEP_1)
	v_pk_add_f32 v[70:71], v[70:71], v[72:73]
	v_cmp_lt_f32_e32 vcc_lo, v70, v71
	v_dual_cndmask_b32 v58, v58, v68 :: v_dual_add_nc_u32 v61, 8, v61
	v_cndmask_b32_e32 v59, v59, v69, vcc_lo
	v_cndmask_b32_e64 v60, v60, s0, vcc_lo
	s_add_co_i32 s0, s0, 1
	s_delay_alu instid0(SALU_CYCLE_1)
	s_cmp_lg_u32 s18, s0
	s_cbranch_scc1 .LBB50_337
.LBB50_338:
	s_wait_dscnt 0x0
	v_cmp_eq_f32_e32 vcc_lo, 0, v58
	v_cmp_eq_f32_e64 s0, 0, v59
	s_and_b32 s0, vcc_lo, s0
	s_delay_alu instid0(SALU_CYCLE_1) | instskip(NEXT) | instid1(SALU_CYCLE_1)
	s_and_saveexec_b32 s1, s0
	s_xor_b32 s0, exec_lo, s1
; %bb.339:
	v_cmp_ne_u32_e32 vcc_lo, 0, v65
	v_cndmask_b32_e32 v65, 17, v65, vcc_lo
; %bb.340:
	s_and_not1_saveexec_b32 s0, s0
	s_cbranch_execz .LBB50_346
; %bb.341:
	v_cmp_ngt_f32_e64 s1, |v58|, |v59|
	s_and_saveexec_b32 s12, s1
	s_delay_alu instid0(SALU_CYCLE_1)
	s_xor_b32 s1, exec_lo, s12
	s_cbranch_execz .LBB50_343
; %bb.342:
	v_div_scale_f32 v61, null, v59, v59, v58
	v_div_scale_f32 v69, vcc_lo, v58, v59, v58
	s_delay_alu instid0(VALU_DEP_2) | instskip(SKIP_1) | instid1(TRANS32_DEP_1)
	v_rcp_f32_e32 v67, v61
	v_nop
	v_fma_f32 v68, -v61, v67, 1.0
	s_delay_alu instid0(VALU_DEP_1) | instskip(NEXT) | instid1(VALU_DEP_1)
	v_fmac_f32_e32 v67, v68, v67
	v_mul_f32_e32 v68, v69, v67
	s_delay_alu instid0(VALU_DEP_1) | instskip(NEXT) | instid1(VALU_DEP_1)
	v_fma_f32 v70, -v61, v68, v69
	v_fmac_f32_e32 v68, v70, v67
	s_delay_alu instid0(VALU_DEP_1) | instskip(NEXT) | instid1(VALU_DEP_1)
	v_fma_f32 v61, -v61, v68, v69
	v_div_fmas_f32 v61, v61, v67, v68
	s_delay_alu instid0(VALU_DEP_1) | instskip(NEXT) | instid1(VALU_DEP_1)
	v_div_fixup_f32 v61, v61, v59, v58
	v_fmac_f32_e32 v59, v58, v61
	s_delay_alu instid0(VALU_DEP_1) | instskip(SKIP_1) | instid1(VALU_DEP_2)
	v_div_scale_f32 v58, null, v59, v59, 1.0
	v_div_scale_f32 v69, vcc_lo, 1.0, v59, 1.0
	v_rcp_f32_e32 v67, v58
	v_nop
	s_delay_alu instid0(TRANS32_DEP_1) | instskip(NEXT) | instid1(VALU_DEP_1)
	v_fma_f32 v68, -v58, v67, 1.0
	v_fmac_f32_e32 v67, v68, v67
	s_delay_alu instid0(VALU_DEP_1) | instskip(NEXT) | instid1(VALU_DEP_1)
	v_mul_f32_e32 v68, v69, v67
	v_fma_f32 v70, -v58, v68, v69
	s_delay_alu instid0(VALU_DEP_1) | instskip(NEXT) | instid1(VALU_DEP_1)
	v_fmac_f32_e32 v68, v70, v67
	v_fma_f32 v58, -v58, v68, v69
	s_delay_alu instid0(VALU_DEP_1) | instskip(NEXT) | instid1(VALU_DEP_1)
	v_div_fmas_f32 v58, v58, v67, v68
	v_div_fixup_f32 v59, v58, v59, 1.0
	s_delay_alu instid0(VALU_DEP_1)
	v_mul_f32_e32 v58, v61, v59
	v_xor_b32_e32 v59, 0x80000000, v59
.LBB50_343:
	s_and_not1_saveexec_b32 s1, s1
	s_cbranch_execz .LBB50_345
; %bb.344:
	s_delay_alu instid0(VALU_DEP_1) | instskip(SKIP_1) | instid1(VALU_DEP_2)
	v_div_scale_f32 v61, null, v58, v58, v59
	v_div_scale_f32 v69, vcc_lo, v59, v58, v59
	v_rcp_f32_e32 v67, v61
	v_nop
	s_delay_alu instid0(TRANS32_DEP_1) | instskip(NEXT) | instid1(VALU_DEP_1)
	v_fma_f32 v68, -v61, v67, 1.0
	v_fmac_f32_e32 v67, v68, v67
	s_delay_alu instid0(VALU_DEP_1) | instskip(NEXT) | instid1(VALU_DEP_1)
	v_mul_f32_e32 v68, v69, v67
	v_fma_f32 v70, -v61, v68, v69
	s_delay_alu instid0(VALU_DEP_1) | instskip(NEXT) | instid1(VALU_DEP_1)
	v_fmac_f32_e32 v68, v70, v67
	v_fma_f32 v61, -v61, v68, v69
	s_delay_alu instid0(VALU_DEP_1) | instskip(NEXT) | instid1(VALU_DEP_1)
	v_div_fmas_f32 v61, v61, v67, v68
	v_div_fixup_f32 v61, v61, v58, v59
	s_delay_alu instid0(VALU_DEP_1) | instskip(NEXT) | instid1(VALU_DEP_1)
	v_fmac_f32_e32 v58, v59, v61
	v_div_scale_f32 v59, null, v58, v58, 1.0
	s_delay_alu instid0(VALU_DEP_1) | instskip(SKIP_1) | instid1(TRANS32_DEP_1)
	v_rcp_f32_e32 v67, v59
	v_nop
	v_fma_f32 v68, -v59, v67, 1.0
	s_delay_alu instid0(VALU_DEP_1) | instskip(SKIP_1) | instid1(VALU_DEP_1)
	v_fmac_f32_e32 v67, v68, v67
	v_div_scale_f32 v68, vcc_lo, 1.0, v58, 1.0
	v_mul_f32_e32 v69, v68, v67
	s_delay_alu instid0(VALU_DEP_1) | instskip(NEXT) | instid1(VALU_DEP_1)
	v_fma_f32 v70, -v59, v69, v68
	v_fmac_f32_e32 v69, v70, v67
	s_delay_alu instid0(VALU_DEP_1) | instskip(NEXT) | instid1(VALU_DEP_1)
	v_fma_f32 v59, -v59, v69, v68
	v_div_fmas_f32 v59, v59, v67, v69
	s_delay_alu instid0(VALU_DEP_1) | instskip(NEXT) | instid1(VALU_DEP_1)
	v_div_fixup_f32 v58, v59, v58, 1.0
	v_mul_f32_e64 v59, v61, -v58
.LBB50_345:
	s_or_b32 exec_lo, exec_lo, s1
.LBB50_346:
	s_delay_alu instid0(SALU_CYCLE_1) | instskip(NEXT) | instid1(SALU_CYCLE_1)
	s_or_b32 exec_lo, exec_lo, s0
	s_mov_b32 s0, exec_lo
	v_cmpx_ne_u32_e64 v66, v60
	s_xor_b32 s0, exec_lo, s0
	s_cbranch_execz .LBB50_352
; %bb.347:
	s_mov_b32 s1, exec_lo
	v_cmpx_eq_u32_e32 16, v66
	s_cbranch_execz .LBB50_351
; %bb.348:
	v_cmp_ne_u32_e32 vcc_lo, 16, v60
	s_xor_b32 s12, s16, -1
	s_delay_alu instid0(SALU_CYCLE_1) | instskip(NEXT) | instid1(SALU_CYCLE_1)
	s_and_b32 s13, s12, vcc_lo
	s_and_saveexec_b32 s12, s13
	s_cbranch_execz .LBB50_350
; %bb.349:
	v_ashrrev_i32_e32 v61, 31, v60
	s_delay_alu instid0(VALU_DEP_1)
	v_lshl_add_u64 v[66:67], v[60:61], 2, v[4:5]
	s_clause 0x1
	global_load_b32 v61, v[66:67], off
	global_load_b32 v64, v[4:5], off offset:64
	s_wait_loadcnt 0x1
	global_store_b32 v[4:5], v61, off offset:64
	s_wait_loadcnt 0x0
	global_store_b32 v[66:67], v64, off
.LBB50_350:
	s_wait_xcnt 0x0
	s_or_b32 exec_lo, exec_lo, s12
	v_dual_mov_b32 v66, v60 :: v_dual_mov_b32 v64, v60
.LBB50_351:
	s_or_b32 exec_lo, exec_lo, s1
.LBB50_352:
	s_and_not1_saveexec_b32 s0, s0
	s_cbranch_execz .LBB50_354
; %bb.353:
	v_mov_b32_e32 v66, 16
	ds_store_2addr_b64 v62, v[26:27], v[28:29] offset0:17 offset1:18
	ds_store_2addr_b64 v62, v[24:25], v[38:39] offset0:19 offset1:20
	;; [unrolled: 1-line block ×4, first 2 shown]
	ds_store_b64 v62, v[56:57] offset:200
.LBB50_354:
	s_or_b32 exec_lo, exec_lo, s0
	s_delay_alu instid0(SALU_CYCLE_1)
	s_mov_b32 s0, exec_lo
	s_wait_storecnt_dscnt 0x0
	s_barrier_signal -1
	s_barrier_wait -1
	v_cmpx_lt_i32_e32 16, v66
	s_cbranch_execz .LBB50_356
; %bb.355:
	v_pk_mul_f32 v[60:61], v[58:59], v[46:47] op_sel:[1,1] op_sel_hi:[0,1]
	s_delay_alu instid0(VALU_DEP_1)
	v_pk_fma_f32 v[68:69], v[58:59], v[46:47], v[60:61] op_sel_hi:[1,0,1] neg_lo:[0,0,1] neg_hi:[0,0,1]
	v_pk_fma_f32 v[70:71], v[58:59], v[46:47], v[60:61] op_sel_hi:[1,0,1]
	ds_load_2addr_b64 v[58:61], v62 offset0:17 offset1:18
	v_dual_mov_b32 v46, v68 :: v_dual_mov_b32 v47, v71
	s_wait_dscnt 0x0
	v_pk_mul_f32 v[72:73], v[58:59], v[70:71] op_sel:[0,1]
	s_delay_alu instid0(VALU_DEP_1) | instskip(SKIP_1) | instid1(VALU_DEP_1)
	v_pk_fma_f32 v[74:75], v[58:59], v[68:69], v[72:73] op_sel:[0,0,1] op_sel_hi:[1,1,0] neg_lo:[0,0,1] neg_hi:[0,0,1]
	v_pk_fma_f32 v[58:59], v[58:59], v[68:69], v[72:73] op_sel:[0,0,1] op_sel_hi:[1,0,0]
	v_mov_b32_e32 v75, v59
	v_pk_mul_f32 v[58:59], v[60:61], v[70:71] op_sel:[0,1]
	s_delay_alu instid0(VALU_DEP_1) | instskip(SKIP_1) | instid1(VALU_DEP_1)
	v_pk_fma_f32 v[72:73], v[60:61], v[68:69], v[58:59] op_sel:[0,0,1] op_sel_hi:[1,1,0] neg_lo:[0,0,1] neg_hi:[0,0,1]
	v_pk_fma_f32 v[58:59], v[60:61], v[68:69], v[58:59] op_sel:[0,0,1] op_sel_hi:[1,0,0]
	v_mov_b32_e32 v73, v59
	ds_load_2addr_b64 v[58:61], v62 offset0:19 offset1:20
	v_pk_add_f32 v[26:27], v[26:27], v[74:75] neg_lo:[0,1] neg_hi:[0,1]
	v_pk_add_f32 v[28:29], v[28:29], v[72:73] neg_lo:[0,1] neg_hi:[0,1]
	s_wait_dscnt 0x0
	v_pk_mul_f32 v[72:73], v[58:59], v[70:71] op_sel:[0,1]
	s_delay_alu instid0(VALU_DEP_1) | instskip(SKIP_2) | instid1(VALU_DEP_2)
	v_pk_fma_f32 v[74:75], v[58:59], v[68:69], v[72:73] op_sel:[0,0,1] op_sel_hi:[1,1,0] neg_lo:[0,0,1] neg_hi:[0,0,1]
	v_pk_fma_f32 v[58:59], v[58:59], v[68:69], v[72:73] op_sel:[0,0,1] op_sel_hi:[1,0,0]
	v_dual_mul_f32 v72, v61, v71 :: v_dual_mov_b32 v58, v61
	v_dual_mov_b32 v75, v59 :: v_dual_mov_b32 v59, v60
	s_delay_alu instid0(VALU_DEP_2) | instskip(SKIP_1) | instid1(VALU_DEP_3)
	v_pk_fma_f32 v[72:73], v[60:61], v[46:47], v[72:73] op_sel_hi:[1,1,0] neg_lo:[0,0,1] neg_hi:[0,0,1]
	v_mul_f32_e32 v60, v61, v68
	v_pk_add_f32 v[24:25], v[24:25], v[74:75] neg_lo:[0,1] neg_hi:[0,1]
	s_delay_alu instid0(VALU_DEP_2) | instskip(NEXT) | instid1(VALU_DEP_1)
	v_pk_fma_f32 v[58:59], v[58:59], v[46:47], v[60:61] op_sel_hi:[1,1,0]
	v_mov_b32_e32 v73, v59
	ds_load_2addr_b64 v[58:61], v62 offset0:21 offset1:22
	v_pk_add_f32 v[38:39], v[38:39], v[72:73] neg_lo:[0,1] neg_hi:[0,1]
	s_wait_dscnt 0x0
	v_pk_mul_f32 v[72:73], v[58:59], v[70:71] op_sel:[0,1]
	s_delay_alu instid0(VALU_DEP_1) | instskip(SKIP_1) | instid1(VALU_DEP_1)
	v_pk_fma_f32 v[74:75], v[58:59], v[68:69], v[72:73] op_sel:[0,0,1] op_sel_hi:[1,1,0] neg_lo:[0,0,1] neg_hi:[0,0,1]
	v_pk_fma_f32 v[58:59], v[58:59], v[68:69], v[72:73] op_sel:[0,0,1] op_sel_hi:[1,0,0]
	v_mov_b32_e32 v75, v59
	v_pk_mul_f32 v[58:59], v[60:61], v[70:71] op_sel:[0,1]
	s_delay_alu instid0(VALU_DEP_1) | instskip(SKIP_1) | instid1(VALU_DEP_1)
	v_pk_fma_f32 v[72:73], v[60:61], v[68:69], v[58:59] op_sel:[0,0,1] op_sel_hi:[1,1,0] neg_lo:[0,0,1] neg_hi:[0,0,1]
	v_pk_fma_f32 v[58:59], v[60:61], v[68:69], v[58:59] op_sel:[0,0,1] op_sel_hi:[1,0,0]
	v_mov_b32_e32 v73, v59
	ds_load_2addr_b64 v[58:61], v62 offset0:23 offset1:24
	v_pk_add_f32 v[30:31], v[30:31], v[74:75] neg_lo:[0,1] neg_hi:[0,1]
	v_pk_add_f32 v[36:37], v[36:37], v[72:73] neg_lo:[0,1] neg_hi:[0,1]
	s_wait_dscnt 0x0
	v_pk_mul_f32 v[72:73], v[58:59], v[70:71] op_sel:[0,1]
	s_delay_alu instid0(VALU_DEP_1) | instskip(SKIP_1) | instid1(VALU_DEP_1)
	v_pk_fma_f32 v[74:75], v[58:59], v[68:69], v[72:73] op_sel:[0,0,1] op_sel_hi:[1,1,0] neg_lo:[0,0,1] neg_hi:[0,0,1]
	v_pk_fma_f32 v[58:59], v[58:59], v[68:69], v[72:73] op_sel:[0,0,1] op_sel_hi:[1,0,0]
	v_mov_b32_e32 v75, v59
	v_pk_mul_f32 v[58:59], v[60:61], v[70:71] op_sel:[0,1]
	s_delay_alu instid0(VALU_DEP_1) | instskip(SKIP_1) | instid1(VALU_DEP_1)
	v_pk_fma_f32 v[72:73], v[60:61], v[68:69], v[58:59] op_sel:[0,0,1] op_sel_hi:[1,1,0] neg_lo:[0,0,1] neg_hi:[0,0,1]
	v_pk_fma_f32 v[58:59], v[60:61], v[68:69], v[58:59] op_sel:[0,0,1] op_sel_hi:[1,0,0]
	v_mov_b32_e32 v73, v59
	ds_load_b64 v[58:59], v62 offset:200
	v_pk_add_f32 v[34:35], v[34:35], v[74:75] neg_lo:[0,1] neg_hi:[0,1]
	v_pk_add_f32 v[32:33], v[32:33], v[72:73] neg_lo:[0,1] neg_hi:[0,1]
	s_wait_dscnt 0x0
	v_pk_mul_f32 v[60:61], v[58:59], v[70:71] op_sel:[0,1]
	s_delay_alu instid0(VALU_DEP_1) | instskip(SKIP_1) | instid1(VALU_DEP_1)
	v_pk_fma_f32 v[70:71], v[58:59], v[68:69], v[60:61] op_sel:[0,0,1] op_sel_hi:[1,1,0] neg_lo:[0,0,1] neg_hi:[0,0,1]
	v_pk_fma_f32 v[58:59], v[58:59], v[68:69], v[60:61] op_sel:[0,0,1] op_sel_hi:[1,0,0]
	v_mov_b32_e32 v71, v59
	s_delay_alu instid0(VALU_DEP_1)
	v_pk_add_f32 v[56:57], v[56:57], v[70:71] neg_lo:[0,1] neg_hi:[0,1]
.LBB50_356:
	s_or_b32 exec_lo, exec_lo, s0
	v_lshl_add_u32 v58, v66, 3, v62
	s_barrier_signal -1
	s_barrier_wait -1
	ds_store_b64 v58, v[26:27]
	s_wait_dscnt 0x0
	s_barrier_signal -1
	s_barrier_wait -1
	ds_load_b64 v[58:59], v62 offset:136
	v_mov_b32_e32 v60, 17
	s_cmp_lt_i32 s18, 19
	s_cbranch_scc1 .LBB50_359
; %bb.357:
	v_add3_u32 v61, v63, 0, 0x90
	v_mov_b32_e32 v60, 17
	s_mov_b32 s0, 18
.LBB50_358:                             ; =>This Inner Loop Header: Depth=1
	ds_load_b64 v[68:69], v61
	s_wait_dscnt 0x1
	v_cmp_gt_f32_e32 vcc_lo, 0, v58
	v_cndmask_b32_e64 v70, v58, -v58, vcc_lo
	v_cmp_gt_f32_e32 vcc_lo, 0, v59
	v_cndmask_b32_e64 v72, v59, -v59, vcc_lo
	s_wait_dscnt 0x0
	v_cmp_gt_f32_e32 vcc_lo, 0, v68
	v_cndmask_b32_e64 v71, v68, -v68, vcc_lo
	v_cmp_gt_f32_e32 vcc_lo, 0, v69
	v_cndmask_b32_e64 v73, v69, -v69, vcc_lo
	s_delay_alu instid0(VALU_DEP_1) | instskip(NEXT) | instid1(VALU_DEP_1)
	v_pk_add_f32 v[70:71], v[70:71], v[72:73]
	v_cmp_lt_f32_e32 vcc_lo, v70, v71
	v_dual_cndmask_b32 v58, v58, v68 :: v_dual_add_nc_u32 v61, 8, v61
	v_cndmask_b32_e32 v59, v59, v69, vcc_lo
	v_cndmask_b32_e64 v60, v60, s0, vcc_lo
	s_add_co_i32 s0, s0, 1
	s_delay_alu instid0(SALU_CYCLE_1)
	s_cmp_lg_u32 s18, s0
	s_cbranch_scc1 .LBB50_358
.LBB50_359:
	s_wait_dscnt 0x0
	v_cmp_eq_f32_e32 vcc_lo, 0, v58
	v_cmp_eq_f32_e64 s0, 0, v59
	s_and_b32 s0, vcc_lo, s0
	s_delay_alu instid0(SALU_CYCLE_1) | instskip(NEXT) | instid1(SALU_CYCLE_1)
	s_and_saveexec_b32 s1, s0
	s_xor_b32 s0, exec_lo, s1
; %bb.360:
	v_cmp_ne_u32_e32 vcc_lo, 0, v65
	v_cndmask_b32_e32 v65, 18, v65, vcc_lo
; %bb.361:
	s_and_not1_saveexec_b32 s0, s0
	s_cbranch_execz .LBB50_367
; %bb.362:
	v_cmp_ngt_f32_e64 s1, |v58|, |v59|
	s_and_saveexec_b32 s12, s1
	s_delay_alu instid0(SALU_CYCLE_1)
	s_xor_b32 s1, exec_lo, s12
	s_cbranch_execz .LBB50_364
; %bb.363:
	v_div_scale_f32 v61, null, v59, v59, v58
	v_div_scale_f32 v69, vcc_lo, v58, v59, v58
	s_delay_alu instid0(VALU_DEP_2) | instskip(SKIP_1) | instid1(TRANS32_DEP_1)
	v_rcp_f32_e32 v67, v61
	v_nop
	v_fma_f32 v68, -v61, v67, 1.0
	s_delay_alu instid0(VALU_DEP_1) | instskip(NEXT) | instid1(VALU_DEP_1)
	v_fmac_f32_e32 v67, v68, v67
	v_mul_f32_e32 v68, v69, v67
	s_delay_alu instid0(VALU_DEP_1) | instskip(NEXT) | instid1(VALU_DEP_1)
	v_fma_f32 v70, -v61, v68, v69
	v_fmac_f32_e32 v68, v70, v67
	s_delay_alu instid0(VALU_DEP_1) | instskip(NEXT) | instid1(VALU_DEP_1)
	v_fma_f32 v61, -v61, v68, v69
	v_div_fmas_f32 v61, v61, v67, v68
	s_delay_alu instid0(VALU_DEP_1) | instskip(NEXT) | instid1(VALU_DEP_1)
	v_div_fixup_f32 v61, v61, v59, v58
	v_fmac_f32_e32 v59, v58, v61
	s_delay_alu instid0(VALU_DEP_1) | instskip(SKIP_1) | instid1(VALU_DEP_2)
	v_div_scale_f32 v58, null, v59, v59, 1.0
	v_div_scale_f32 v69, vcc_lo, 1.0, v59, 1.0
	v_rcp_f32_e32 v67, v58
	v_nop
	s_delay_alu instid0(TRANS32_DEP_1) | instskip(NEXT) | instid1(VALU_DEP_1)
	v_fma_f32 v68, -v58, v67, 1.0
	v_fmac_f32_e32 v67, v68, v67
	s_delay_alu instid0(VALU_DEP_1) | instskip(NEXT) | instid1(VALU_DEP_1)
	v_mul_f32_e32 v68, v69, v67
	v_fma_f32 v70, -v58, v68, v69
	s_delay_alu instid0(VALU_DEP_1) | instskip(NEXT) | instid1(VALU_DEP_1)
	v_fmac_f32_e32 v68, v70, v67
	v_fma_f32 v58, -v58, v68, v69
	s_delay_alu instid0(VALU_DEP_1) | instskip(NEXT) | instid1(VALU_DEP_1)
	v_div_fmas_f32 v58, v58, v67, v68
	v_div_fixup_f32 v59, v58, v59, 1.0
	s_delay_alu instid0(VALU_DEP_1)
	v_mul_f32_e32 v58, v61, v59
	v_xor_b32_e32 v59, 0x80000000, v59
.LBB50_364:
	s_and_not1_saveexec_b32 s1, s1
	s_cbranch_execz .LBB50_366
; %bb.365:
	s_delay_alu instid0(VALU_DEP_1) | instskip(SKIP_1) | instid1(VALU_DEP_2)
	v_div_scale_f32 v61, null, v58, v58, v59
	v_div_scale_f32 v69, vcc_lo, v59, v58, v59
	v_rcp_f32_e32 v67, v61
	v_nop
	s_delay_alu instid0(TRANS32_DEP_1) | instskip(NEXT) | instid1(VALU_DEP_1)
	v_fma_f32 v68, -v61, v67, 1.0
	v_fmac_f32_e32 v67, v68, v67
	s_delay_alu instid0(VALU_DEP_1) | instskip(NEXT) | instid1(VALU_DEP_1)
	v_mul_f32_e32 v68, v69, v67
	v_fma_f32 v70, -v61, v68, v69
	s_delay_alu instid0(VALU_DEP_1) | instskip(NEXT) | instid1(VALU_DEP_1)
	v_fmac_f32_e32 v68, v70, v67
	v_fma_f32 v61, -v61, v68, v69
	s_delay_alu instid0(VALU_DEP_1) | instskip(NEXT) | instid1(VALU_DEP_1)
	v_div_fmas_f32 v61, v61, v67, v68
	v_div_fixup_f32 v61, v61, v58, v59
	s_delay_alu instid0(VALU_DEP_1) | instskip(NEXT) | instid1(VALU_DEP_1)
	v_fmac_f32_e32 v58, v59, v61
	v_div_scale_f32 v59, null, v58, v58, 1.0
	s_delay_alu instid0(VALU_DEP_1) | instskip(SKIP_1) | instid1(TRANS32_DEP_1)
	v_rcp_f32_e32 v67, v59
	v_nop
	v_fma_f32 v68, -v59, v67, 1.0
	s_delay_alu instid0(VALU_DEP_1) | instskip(SKIP_1) | instid1(VALU_DEP_1)
	v_fmac_f32_e32 v67, v68, v67
	v_div_scale_f32 v68, vcc_lo, 1.0, v58, 1.0
	v_mul_f32_e32 v69, v68, v67
	s_delay_alu instid0(VALU_DEP_1) | instskip(NEXT) | instid1(VALU_DEP_1)
	v_fma_f32 v70, -v59, v69, v68
	v_fmac_f32_e32 v69, v70, v67
	s_delay_alu instid0(VALU_DEP_1) | instskip(NEXT) | instid1(VALU_DEP_1)
	v_fma_f32 v59, -v59, v69, v68
	v_div_fmas_f32 v59, v59, v67, v69
	s_delay_alu instid0(VALU_DEP_1) | instskip(NEXT) | instid1(VALU_DEP_1)
	v_div_fixup_f32 v58, v59, v58, 1.0
	v_mul_f32_e64 v59, v61, -v58
.LBB50_366:
	s_or_b32 exec_lo, exec_lo, s1
.LBB50_367:
	s_delay_alu instid0(SALU_CYCLE_1) | instskip(NEXT) | instid1(SALU_CYCLE_1)
	s_or_b32 exec_lo, exec_lo, s0
	s_mov_b32 s0, exec_lo
	v_cmpx_ne_u32_e64 v66, v60
	s_xor_b32 s0, exec_lo, s0
	s_cbranch_execz .LBB50_373
; %bb.368:
	s_mov_b32 s1, exec_lo
	v_cmpx_eq_u32_e32 17, v66
	s_cbranch_execz .LBB50_372
; %bb.369:
	v_cmp_ne_u32_e32 vcc_lo, 17, v60
	s_xor_b32 s12, s16, -1
	s_delay_alu instid0(SALU_CYCLE_1) | instskip(NEXT) | instid1(SALU_CYCLE_1)
	s_and_b32 s13, s12, vcc_lo
	s_and_saveexec_b32 s12, s13
	s_cbranch_execz .LBB50_371
; %bb.370:
	v_ashrrev_i32_e32 v61, 31, v60
	s_delay_alu instid0(VALU_DEP_1)
	v_lshl_add_u64 v[66:67], v[60:61], 2, v[4:5]
	s_clause 0x1
	global_load_b32 v61, v[66:67], off
	global_load_b32 v64, v[4:5], off offset:68
	s_wait_loadcnt 0x1
	global_store_b32 v[4:5], v61, off offset:68
	s_wait_loadcnt 0x0
	global_store_b32 v[66:67], v64, off
.LBB50_371:
	s_wait_xcnt 0x0
	s_or_b32 exec_lo, exec_lo, s12
	v_dual_mov_b32 v66, v60 :: v_dual_mov_b32 v64, v60
.LBB50_372:
	s_or_b32 exec_lo, exec_lo, s1
.LBB50_373:
	s_and_not1_saveexec_b32 s0, s0
	s_cbranch_execz .LBB50_375
; %bb.374:
	v_dual_mov_b32 v60, v28 :: v_dual_mov_b32 v61, v29
	v_dual_mov_b32 v68, v24 :: v_dual_mov_b32 v69, v25
	;; [unrolled: 1-line block ×7, first 2 shown]
	v_mov_b32_e32 v79, v33
	ds_store_2addr_b64 v62, v[60:61], v[68:69] offset0:18 offset1:19
	ds_store_2addr_b64 v62, v[70:71], v[72:73] offset0:20 offset1:21
	;; [unrolled: 1-line block ×4, first 2 shown]
.LBB50_375:
	s_or_b32 exec_lo, exec_lo, s0
	s_delay_alu instid0(SALU_CYCLE_1)
	s_mov_b32 s0, exec_lo
	s_wait_storecnt_dscnt 0x0
	s_barrier_signal -1
	s_barrier_wait -1
	v_cmpx_lt_i32_e32 17, v66
	s_cbranch_execz .LBB50_377
; %bb.376:
	v_pk_mul_f32 v[60:61], v[58:59], v[26:27] op_sel:[1,1] op_sel_hi:[0,1]
	s_delay_alu instid0(VALU_DEP_1)
	v_pk_fma_f32 v[68:69], v[58:59], v[26:27], v[60:61] op_sel_hi:[1,0,1] neg_lo:[0,0,1] neg_hi:[0,0,1]
	v_pk_fma_f32 v[70:71], v[58:59], v[26:27], v[60:61] op_sel_hi:[1,0,1]
	ds_load_2addr_b64 v[58:61], v62 offset0:18 offset1:19
	v_dual_mov_b32 v26, v68 :: v_dual_mov_b32 v27, v71
	s_wait_dscnt 0x0
	v_pk_mul_f32 v[72:73], v[58:59], v[70:71] op_sel:[0,1]
	s_delay_alu instid0(VALU_DEP_1) | instskip(SKIP_1) | instid1(VALU_DEP_1)
	v_pk_fma_f32 v[74:75], v[58:59], v[68:69], v[72:73] op_sel:[0,0,1] op_sel_hi:[1,1,0] neg_lo:[0,0,1] neg_hi:[0,0,1]
	v_pk_fma_f32 v[58:59], v[58:59], v[68:69], v[72:73] op_sel:[0,0,1] op_sel_hi:[1,0,0]
	v_mov_b32_e32 v75, v59
	v_pk_mul_f32 v[58:59], v[60:61], v[70:71] op_sel:[0,1]
	s_delay_alu instid0(VALU_DEP_1) | instskip(SKIP_1) | instid1(VALU_DEP_1)
	v_pk_fma_f32 v[72:73], v[60:61], v[68:69], v[58:59] op_sel:[0,0,1] op_sel_hi:[1,1,0] neg_lo:[0,0,1] neg_hi:[0,0,1]
	v_pk_fma_f32 v[58:59], v[60:61], v[68:69], v[58:59] op_sel:[0,0,1] op_sel_hi:[1,0,0]
	v_mov_b32_e32 v73, v59
	ds_load_2addr_b64 v[58:61], v62 offset0:20 offset1:21
	v_pk_add_f32 v[28:29], v[28:29], v[74:75] neg_lo:[0,1] neg_hi:[0,1]
	v_pk_add_f32 v[24:25], v[24:25], v[72:73] neg_lo:[0,1] neg_hi:[0,1]
	s_wait_dscnt 0x0
	v_pk_mul_f32 v[72:73], v[58:59], v[70:71] op_sel:[0,1]
	s_delay_alu instid0(VALU_DEP_1) | instskip(SKIP_2) | instid1(VALU_DEP_2)
	v_pk_fma_f32 v[74:75], v[58:59], v[68:69], v[72:73] op_sel:[0,0,1] op_sel_hi:[1,1,0] neg_lo:[0,0,1] neg_hi:[0,0,1]
	v_pk_fma_f32 v[58:59], v[58:59], v[68:69], v[72:73] op_sel:[0,0,1] op_sel_hi:[1,0,0]
	v_dual_mul_f32 v72, v61, v71 :: v_dual_mov_b32 v58, v61
	v_dual_mov_b32 v75, v59 :: v_dual_mov_b32 v59, v60
	s_delay_alu instid0(VALU_DEP_2) | instskip(SKIP_1) | instid1(VALU_DEP_3)
	v_pk_fma_f32 v[72:73], v[60:61], v[26:27], v[72:73] op_sel_hi:[1,1,0] neg_lo:[0,0,1] neg_hi:[0,0,1]
	v_mul_f32_e32 v60, v61, v68
	v_pk_add_f32 v[38:39], v[38:39], v[74:75] neg_lo:[0,1] neg_hi:[0,1]
	s_delay_alu instid0(VALU_DEP_2) | instskip(NEXT) | instid1(VALU_DEP_1)
	v_pk_fma_f32 v[58:59], v[58:59], v[26:27], v[60:61] op_sel_hi:[1,1,0]
	v_mov_b32_e32 v73, v59
	ds_load_2addr_b64 v[58:61], v62 offset0:22 offset1:23
	v_pk_add_f32 v[30:31], v[30:31], v[72:73] neg_lo:[0,1] neg_hi:[0,1]
	s_wait_dscnt 0x0
	v_pk_mul_f32 v[72:73], v[58:59], v[70:71] op_sel:[0,1]
	s_delay_alu instid0(VALU_DEP_1) | instskip(SKIP_1) | instid1(VALU_DEP_1)
	v_pk_fma_f32 v[74:75], v[58:59], v[68:69], v[72:73] op_sel:[0,0,1] op_sel_hi:[1,1,0] neg_lo:[0,0,1] neg_hi:[0,0,1]
	v_pk_fma_f32 v[58:59], v[58:59], v[68:69], v[72:73] op_sel:[0,0,1] op_sel_hi:[1,0,0]
	v_mov_b32_e32 v75, v59
	v_pk_mul_f32 v[58:59], v[60:61], v[70:71] op_sel:[0,1]
	s_delay_alu instid0(VALU_DEP_1) | instskip(SKIP_1) | instid1(VALU_DEP_1)
	v_pk_fma_f32 v[72:73], v[60:61], v[68:69], v[58:59] op_sel:[0,0,1] op_sel_hi:[1,1,0] neg_lo:[0,0,1] neg_hi:[0,0,1]
	v_pk_fma_f32 v[58:59], v[60:61], v[68:69], v[58:59] op_sel:[0,0,1] op_sel_hi:[1,0,0]
	v_mov_b32_e32 v73, v59
	ds_load_2addr_b64 v[58:61], v62 offset0:24 offset1:25
	v_pk_add_f32 v[36:37], v[36:37], v[74:75] neg_lo:[0,1] neg_hi:[0,1]
	v_pk_add_f32 v[34:35], v[34:35], v[72:73] neg_lo:[0,1] neg_hi:[0,1]
	s_wait_dscnt 0x0
	v_pk_mul_f32 v[72:73], v[58:59], v[70:71] op_sel:[0,1]
	s_delay_alu instid0(VALU_DEP_1) | instskip(SKIP_1) | instid1(VALU_DEP_1)
	v_pk_fma_f32 v[74:75], v[58:59], v[68:69], v[72:73] op_sel:[0,0,1] op_sel_hi:[1,1,0] neg_lo:[0,0,1] neg_hi:[0,0,1]
	v_pk_fma_f32 v[58:59], v[58:59], v[68:69], v[72:73] op_sel:[0,0,1] op_sel_hi:[1,0,0]
	v_mov_b32_e32 v75, v59
	v_pk_mul_f32 v[58:59], v[60:61], v[70:71] op_sel:[0,1]
	s_delay_alu instid0(VALU_DEP_1) | instskip(SKIP_1) | instid1(VALU_DEP_1)
	v_pk_fma_f32 v[70:71], v[60:61], v[68:69], v[58:59] op_sel:[0,0,1] op_sel_hi:[1,1,0] neg_lo:[0,0,1] neg_hi:[0,0,1]
	v_pk_fma_f32 v[58:59], v[60:61], v[68:69], v[58:59] op_sel:[0,0,1] op_sel_hi:[1,0,0]
	v_mov_b32_e32 v71, v59
	v_pk_add_f32 v[32:33], v[32:33], v[74:75] neg_lo:[0,1] neg_hi:[0,1]
	s_delay_alu instid0(VALU_DEP_2)
	v_pk_add_f32 v[56:57], v[56:57], v[70:71] neg_lo:[0,1] neg_hi:[0,1]
.LBB50_377:
	s_or_b32 exec_lo, exec_lo, s0
	v_lshl_add_u32 v58, v66, 3, v62
	s_barrier_signal -1
	s_barrier_wait -1
	ds_store_b64 v58, v[28:29]
	s_wait_dscnt 0x0
	s_barrier_signal -1
	s_barrier_wait -1
	ds_load_b64 v[58:59], v62 offset:144
	v_mov_b32_e32 v60, 18
	s_cmp_lt_i32 s18, 20
	s_cbranch_scc1 .LBB50_380
; %bb.378:
	v_add3_u32 v61, v63, 0, 0x98
	v_mov_b32_e32 v60, 18
	s_mov_b32 s0, 19
.LBB50_379:                             ; =>This Inner Loop Header: Depth=1
	ds_load_b64 v[68:69], v61
	s_wait_dscnt 0x1
	v_cmp_gt_f32_e32 vcc_lo, 0, v58
	v_cndmask_b32_e64 v70, v58, -v58, vcc_lo
	v_cmp_gt_f32_e32 vcc_lo, 0, v59
	v_cndmask_b32_e64 v72, v59, -v59, vcc_lo
	s_wait_dscnt 0x0
	v_cmp_gt_f32_e32 vcc_lo, 0, v68
	v_cndmask_b32_e64 v71, v68, -v68, vcc_lo
	v_cmp_gt_f32_e32 vcc_lo, 0, v69
	v_cndmask_b32_e64 v73, v69, -v69, vcc_lo
	s_delay_alu instid0(VALU_DEP_1) | instskip(NEXT) | instid1(VALU_DEP_1)
	v_pk_add_f32 v[70:71], v[70:71], v[72:73]
	v_cmp_lt_f32_e32 vcc_lo, v70, v71
	v_dual_cndmask_b32 v58, v58, v68 :: v_dual_add_nc_u32 v61, 8, v61
	v_cndmask_b32_e32 v59, v59, v69, vcc_lo
	v_cndmask_b32_e64 v60, v60, s0, vcc_lo
	s_add_co_i32 s0, s0, 1
	s_delay_alu instid0(SALU_CYCLE_1)
	s_cmp_lg_u32 s18, s0
	s_cbranch_scc1 .LBB50_379
.LBB50_380:
	s_wait_dscnt 0x0
	v_cmp_eq_f32_e32 vcc_lo, 0, v58
	v_cmp_eq_f32_e64 s0, 0, v59
	s_and_b32 s0, vcc_lo, s0
	s_delay_alu instid0(SALU_CYCLE_1) | instskip(NEXT) | instid1(SALU_CYCLE_1)
	s_and_saveexec_b32 s1, s0
	s_xor_b32 s0, exec_lo, s1
; %bb.381:
	v_cmp_ne_u32_e32 vcc_lo, 0, v65
	v_cndmask_b32_e32 v65, 19, v65, vcc_lo
; %bb.382:
	s_and_not1_saveexec_b32 s0, s0
	s_cbranch_execz .LBB50_388
; %bb.383:
	v_cmp_ngt_f32_e64 s1, |v58|, |v59|
	s_and_saveexec_b32 s12, s1
	s_delay_alu instid0(SALU_CYCLE_1)
	s_xor_b32 s1, exec_lo, s12
	s_cbranch_execz .LBB50_385
; %bb.384:
	v_div_scale_f32 v61, null, v59, v59, v58
	v_div_scale_f32 v69, vcc_lo, v58, v59, v58
	s_delay_alu instid0(VALU_DEP_2) | instskip(SKIP_1) | instid1(TRANS32_DEP_1)
	v_rcp_f32_e32 v67, v61
	v_nop
	v_fma_f32 v68, -v61, v67, 1.0
	s_delay_alu instid0(VALU_DEP_1) | instskip(NEXT) | instid1(VALU_DEP_1)
	v_fmac_f32_e32 v67, v68, v67
	v_mul_f32_e32 v68, v69, v67
	s_delay_alu instid0(VALU_DEP_1) | instskip(NEXT) | instid1(VALU_DEP_1)
	v_fma_f32 v70, -v61, v68, v69
	v_fmac_f32_e32 v68, v70, v67
	s_delay_alu instid0(VALU_DEP_1) | instskip(NEXT) | instid1(VALU_DEP_1)
	v_fma_f32 v61, -v61, v68, v69
	v_div_fmas_f32 v61, v61, v67, v68
	s_delay_alu instid0(VALU_DEP_1) | instskip(NEXT) | instid1(VALU_DEP_1)
	v_div_fixup_f32 v61, v61, v59, v58
	v_fmac_f32_e32 v59, v58, v61
	s_delay_alu instid0(VALU_DEP_1) | instskip(SKIP_1) | instid1(VALU_DEP_2)
	v_div_scale_f32 v58, null, v59, v59, 1.0
	v_div_scale_f32 v69, vcc_lo, 1.0, v59, 1.0
	v_rcp_f32_e32 v67, v58
	v_nop
	s_delay_alu instid0(TRANS32_DEP_1) | instskip(NEXT) | instid1(VALU_DEP_1)
	v_fma_f32 v68, -v58, v67, 1.0
	v_fmac_f32_e32 v67, v68, v67
	s_delay_alu instid0(VALU_DEP_1) | instskip(NEXT) | instid1(VALU_DEP_1)
	v_mul_f32_e32 v68, v69, v67
	v_fma_f32 v70, -v58, v68, v69
	s_delay_alu instid0(VALU_DEP_1) | instskip(NEXT) | instid1(VALU_DEP_1)
	v_fmac_f32_e32 v68, v70, v67
	v_fma_f32 v58, -v58, v68, v69
	s_delay_alu instid0(VALU_DEP_1) | instskip(NEXT) | instid1(VALU_DEP_1)
	v_div_fmas_f32 v58, v58, v67, v68
	v_div_fixup_f32 v59, v58, v59, 1.0
	s_delay_alu instid0(VALU_DEP_1)
	v_mul_f32_e32 v58, v61, v59
	v_xor_b32_e32 v59, 0x80000000, v59
.LBB50_385:
	s_and_not1_saveexec_b32 s1, s1
	s_cbranch_execz .LBB50_387
; %bb.386:
	s_delay_alu instid0(VALU_DEP_1) | instskip(SKIP_1) | instid1(VALU_DEP_2)
	v_div_scale_f32 v61, null, v58, v58, v59
	v_div_scale_f32 v69, vcc_lo, v59, v58, v59
	v_rcp_f32_e32 v67, v61
	v_nop
	s_delay_alu instid0(TRANS32_DEP_1) | instskip(NEXT) | instid1(VALU_DEP_1)
	v_fma_f32 v68, -v61, v67, 1.0
	v_fmac_f32_e32 v67, v68, v67
	s_delay_alu instid0(VALU_DEP_1) | instskip(NEXT) | instid1(VALU_DEP_1)
	v_mul_f32_e32 v68, v69, v67
	v_fma_f32 v70, -v61, v68, v69
	s_delay_alu instid0(VALU_DEP_1) | instskip(NEXT) | instid1(VALU_DEP_1)
	v_fmac_f32_e32 v68, v70, v67
	v_fma_f32 v61, -v61, v68, v69
	s_delay_alu instid0(VALU_DEP_1) | instskip(NEXT) | instid1(VALU_DEP_1)
	v_div_fmas_f32 v61, v61, v67, v68
	v_div_fixup_f32 v61, v61, v58, v59
	s_delay_alu instid0(VALU_DEP_1) | instskip(NEXT) | instid1(VALU_DEP_1)
	v_fmac_f32_e32 v58, v59, v61
	v_div_scale_f32 v59, null, v58, v58, 1.0
	s_delay_alu instid0(VALU_DEP_1) | instskip(SKIP_1) | instid1(TRANS32_DEP_1)
	v_rcp_f32_e32 v67, v59
	v_nop
	v_fma_f32 v68, -v59, v67, 1.0
	s_delay_alu instid0(VALU_DEP_1) | instskip(SKIP_1) | instid1(VALU_DEP_1)
	v_fmac_f32_e32 v67, v68, v67
	v_div_scale_f32 v68, vcc_lo, 1.0, v58, 1.0
	v_mul_f32_e32 v69, v68, v67
	s_delay_alu instid0(VALU_DEP_1) | instskip(NEXT) | instid1(VALU_DEP_1)
	v_fma_f32 v70, -v59, v69, v68
	v_fmac_f32_e32 v69, v70, v67
	s_delay_alu instid0(VALU_DEP_1) | instskip(NEXT) | instid1(VALU_DEP_1)
	v_fma_f32 v59, -v59, v69, v68
	v_div_fmas_f32 v59, v59, v67, v69
	s_delay_alu instid0(VALU_DEP_1) | instskip(NEXT) | instid1(VALU_DEP_1)
	v_div_fixup_f32 v58, v59, v58, 1.0
	v_mul_f32_e64 v59, v61, -v58
.LBB50_387:
	s_or_b32 exec_lo, exec_lo, s1
.LBB50_388:
	s_delay_alu instid0(SALU_CYCLE_1) | instskip(NEXT) | instid1(SALU_CYCLE_1)
	s_or_b32 exec_lo, exec_lo, s0
	s_mov_b32 s0, exec_lo
	v_cmpx_ne_u32_e64 v66, v60
	s_xor_b32 s0, exec_lo, s0
	s_cbranch_execz .LBB50_394
; %bb.389:
	s_mov_b32 s1, exec_lo
	v_cmpx_eq_u32_e32 18, v66
	s_cbranch_execz .LBB50_393
; %bb.390:
	v_cmp_ne_u32_e32 vcc_lo, 18, v60
	s_xor_b32 s12, s16, -1
	s_delay_alu instid0(SALU_CYCLE_1) | instskip(NEXT) | instid1(SALU_CYCLE_1)
	s_and_b32 s13, s12, vcc_lo
	s_and_saveexec_b32 s12, s13
	s_cbranch_execz .LBB50_392
; %bb.391:
	v_ashrrev_i32_e32 v61, 31, v60
	s_delay_alu instid0(VALU_DEP_1)
	v_lshl_add_u64 v[66:67], v[60:61], 2, v[4:5]
	s_clause 0x1
	global_load_b32 v61, v[66:67], off
	global_load_b32 v64, v[4:5], off offset:72
	s_wait_loadcnt 0x1
	global_store_b32 v[4:5], v61, off offset:72
	s_wait_loadcnt 0x0
	global_store_b32 v[66:67], v64, off
.LBB50_392:
	s_wait_xcnt 0x0
	s_or_b32 exec_lo, exec_lo, s12
	v_dual_mov_b32 v66, v60 :: v_dual_mov_b32 v64, v60
.LBB50_393:
	s_or_b32 exec_lo, exec_lo, s1
.LBB50_394:
	s_and_not1_saveexec_b32 s0, s0
	s_cbranch_execz .LBB50_396
; %bb.395:
	v_mov_b32_e32 v66, 18
	ds_store_2addr_b64 v62, v[24:25], v[38:39] offset0:19 offset1:20
	ds_store_2addr_b64 v62, v[30:31], v[36:37] offset0:21 offset1:22
	;; [unrolled: 1-line block ×3, first 2 shown]
	ds_store_b64 v62, v[56:57] offset:200
.LBB50_396:
	s_or_b32 exec_lo, exec_lo, s0
	s_delay_alu instid0(SALU_CYCLE_1)
	s_mov_b32 s0, exec_lo
	s_wait_storecnt_dscnt 0x0
	s_barrier_signal -1
	s_barrier_wait -1
	v_cmpx_lt_i32_e32 18, v66
	s_cbranch_execz .LBB50_398
; %bb.397:
	v_pk_mul_f32 v[60:61], v[58:59], v[28:29] op_sel:[1,1] op_sel_hi:[0,1]
	s_delay_alu instid0(VALU_DEP_1)
	v_pk_fma_f32 v[68:69], v[58:59], v[28:29], v[60:61] op_sel_hi:[1,0,1] neg_lo:[0,0,1] neg_hi:[0,0,1]
	v_pk_fma_f32 v[70:71], v[58:59], v[28:29], v[60:61] op_sel_hi:[1,0,1]
	ds_load_2addr_b64 v[58:61], v62 offset0:19 offset1:20
	v_dual_mov_b32 v28, v68 :: v_dual_mov_b32 v29, v71
	s_wait_dscnt 0x0
	v_pk_mul_f32 v[72:73], v[58:59], v[70:71] op_sel:[0,1]
	s_delay_alu instid0(VALU_DEP_1) | instskip(SKIP_1) | instid1(VALU_DEP_1)
	v_pk_fma_f32 v[74:75], v[58:59], v[68:69], v[72:73] op_sel:[0,0,1] op_sel_hi:[1,1,0] neg_lo:[0,0,1] neg_hi:[0,0,1]
	v_pk_fma_f32 v[58:59], v[58:59], v[68:69], v[72:73] op_sel:[0,0,1] op_sel_hi:[1,0,0]
	v_mov_b32_e32 v75, v59
	v_pk_mul_f32 v[58:59], v[60:61], v[70:71] op_sel:[0,1]
	s_delay_alu instid0(VALU_DEP_1) | instskip(SKIP_1) | instid1(VALU_DEP_1)
	v_pk_fma_f32 v[72:73], v[60:61], v[68:69], v[58:59] op_sel:[0,0,1] op_sel_hi:[1,1,0] neg_lo:[0,0,1] neg_hi:[0,0,1]
	v_pk_fma_f32 v[58:59], v[60:61], v[68:69], v[58:59] op_sel:[0,0,1] op_sel_hi:[1,0,0]
	v_mov_b32_e32 v73, v59
	ds_load_2addr_b64 v[58:61], v62 offset0:21 offset1:22
	v_pk_add_f32 v[24:25], v[24:25], v[74:75] neg_lo:[0,1] neg_hi:[0,1]
	v_pk_add_f32 v[38:39], v[38:39], v[72:73] neg_lo:[0,1] neg_hi:[0,1]
	s_wait_dscnt 0x0
	v_pk_mul_f32 v[72:73], v[58:59], v[70:71] op_sel:[0,1]
	s_delay_alu instid0(VALU_DEP_1) | instskip(SKIP_2) | instid1(VALU_DEP_2)
	v_pk_fma_f32 v[74:75], v[58:59], v[68:69], v[72:73] op_sel:[0,0,1] op_sel_hi:[1,1,0] neg_lo:[0,0,1] neg_hi:[0,0,1]
	v_pk_fma_f32 v[58:59], v[58:59], v[68:69], v[72:73] op_sel:[0,0,1] op_sel_hi:[1,0,0]
	v_dual_mul_f32 v72, v61, v71 :: v_dual_mov_b32 v58, v61
	v_dual_mov_b32 v75, v59 :: v_dual_mov_b32 v59, v60
	s_delay_alu instid0(VALU_DEP_2) | instskip(SKIP_1) | instid1(VALU_DEP_3)
	v_pk_fma_f32 v[72:73], v[60:61], v[28:29], v[72:73] op_sel_hi:[1,1,0] neg_lo:[0,0,1] neg_hi:[0,0,1]
	v_mul_f32_e32 v60, v61, v68
	v_pk_add_f32 v[30:31], v[30:31], v[74:75] neg_lo:[0,1] neg_hi:[0,1]
	s_delay_alu instid0(VALU_DEP_2) | instskip(NEXT) | instid1(VALU_DEP_1)
	v_pk_fma_f32 v[58:59], v[58:59], v[28:29], v[60:61] op_sel_hi:[1,1,0]
	v_mov_b32_e32 v73, v59
	ds_load_2addr_b64 v[58:61], v62 offset0:23 offset1:24
	v_pk_add_f32 v[36:37], v[36:37], v[72:73] neg_lo:[0,1] neg_hi:[0,1]
	s_wait_dscnt 0x0
	v_pk_mul_f32 v[72:73], v[58:59], v[70:71] op_sel:[0,1]
	s_delay_alu instid0(VALU_DEP_1) | instskip(SKIP_1) | instid1(VALU_DEP_1)
	v_pk_fma_f32 v[74:75], v[58:59], v[68:69], v[72:73] op_sel:[0,0,1] op_sel_hi:[1,1,0] neg_lo:[0,0,1] neg_hi:[0,0,1]
	v_pk_fma_f32 v[58:59], v[58:59], v[68:69], v[72:73] op_sel:[0,0,1] op_sel_hi:[1,0,0]
	v_mov_b32_e32 v75, v59
	v_pk_mul_f32 v[58:59], v[60:61], v[70:71] op_sel:[0,1]
	s_delay_alu instid0(VALU_DEP_1) | instskip(SKIP_1) | instid1(VALU_DEP_1)
	v_pk_fma_f32 v[72:73], v[60:61], v[68:69], v[58:59] op_sel:[0,0,1] op_sel_hi:[1,1,0] neg_lo:[0,0,1] neg_hi:[0,0,1]
	v_pk_fma_f32 v[58:59], v[60:61], v[68:69], v[58:59] op_sel:[0,0,1] op_sel_hi:[1,0,0]
	v_mov_b32_e32 v73, v59
	ds_load_b64 v[58:59], v62 offset:200
	v_pk_add_f32 v[34:35], v[34:35], v[74:75] neg_lo:[0,1] neg_hi:[0,1]
	v_pk_add_f32 v[32:33], v[32:33], v[72:73] neg_lo:[0,1] neg_hi:[0,1]
	s_wait_dscnt 0x0
	v_pk_mul_f32 v[60:61], v[58:59], v[70:71] op_sel:[0,1]
	s_delay_alu instid0(VALU_DEP_1) | instskip(SKIP_1) | instid1(VALU_DEP_1)
	v_pk_fma_f32 v[70:71], v[58:59], v[68:69], v[60:61] op_sel:[0,0,1] op_sel_hi:[1,1,0] neg_lo:[0,0,1] neg_hi:[0,0,1]
	v_pk_fma_f32 v[58:59], v[58:59], v[68:69], v[60:61] op_sel:[0,0,1] op_sel_hi:[1,0,0]
	v_mov_b32_e32 v71, v59
	s_delay_alu instid0(VALU_DEP_1)
	v_pk_add_f32 v[56:57], v[56:57], v[70:71] neg_lo:[0,1] neg_hi:[0,1]
.LBB50_398:
	s_or_b32 exec_lo, exec_lo, s0
	v_lshl_add_u32 v58, v66, 3, v62
	s_barrier_signal -1
	s_barrier_wait -1
	ds_store_b64 v58, v[24:25]
	s_wait_dscnt 0x0
	s_barrier_signal -1
	s_barrier_wait -1
	ds_load_b64 v[58:59], v62 offset:152
	v_mov_b32_e32 v60, 19
	s_cmp_lt_i32 s18, 21
	s_cbranch_scc1 .LBB50_401
; %bb.399:
	v_add3_u32 v61, v63, 0, 0xa0
	v_mov_b32_e32 v60, 19
	s_mov_b32 s0, 20
.LBB50_400:                             ; =>This Inner Loop Header: Depth=1
	ds_load_b64 v[68:69], v61
	s_wait_dscnt 0x1
	v_cmp_gt_f32_e32 vcc_lo, 0, v58
	v_cndmask_b32_e64 v70, v58, -v58, vcc_lo
	v_cmp_gt_f32_e32 vcc_lo, 0, v59
	v_cndmask_b32_e64 v72, v59, -v59, vcc_lo
	s_wait_dscnt 0x0
	v_cmp_gt_f32_e32 vcc_lo, 0, v68
	v_cndmask_b32_e64 v71, v68, -v68, vcc_lo
	v_cmp_gt_f32_e32 vcc_lo, 0, v69
	v_cndmask_b32_e64 v73, v69, -v69, vcc_lo
	s_delay_alu instid0(VALU_DEP_1) | instskip(NEXT) | instid1(VALU_DEP_1)
	v_pk_add_f32 v[70:71], v[70:71], v[72:73]
	v_cmp_lt_f32_e32 vcc_lo, v70, v71
	v_dual_cndmask_b32 v58, v58, v68 :: v_dual_add_nc_u32 v61, 8, v61
	v_cndmask_b32_e32 v59, v59, v69, vcc_lo
	v_cndmask_b32_e64 v60, v60, s0, vcc_lo
	s_add_co_i32 s0, s0, 1
	s_delay_alu instid0(SALU_CYCLE_1)
	s_cmp_lg_u32 s18, s0
	s_cbranch_scc1 .LBB50_400
.LBB50_401:
	s_wait_dscnt 0x0
	v_cmp_eq_f32_e32 vcc_lo, 0, v58
	v_cmp_eq_f32_e64 s0, 0, v59
	s_and_b32 s0, vcc_lo, s0
	s_delay_alu instid0(SALU_CYCLE_1) | instskip(NEXT) | instid1(SALU_CYCLE_1)
	s_and_saveexec_b32 s1, s0
	s_xor_b32 s0, exec_lo, s1
; %bb.402:
	v_cmp_ne_u32_e32 vcc_lo, 0, v65
	v_cndmask_b32_e32 v65, 20, v65, vcc_lo
; %bb.403:
	s_and_not1_saveexec_b32 s0, s0
	s_cbranch_execz .LBB50_409
; %bb.404:
	v_cmp_ngt_f32_e64 s1, |v58|, |v59|
	s_and_saveexec_b32 s12, s1
	s_delay_alu instid0(SALU_CYCLE_1)
	s_xor_b32 s1, exec_lo, s12
	s_cbranch_execz .LBB50_406
; %bb.405:
	v_div_scale_f32 v61, null, v59, v59, v58
	v_div_scale_f32 v69, vcc_lo, v58, v59, v58
	s_delay_alu instid0(VALU_DEP_2) | instskip(SKIP_1) | instid1(TRANS32_DEP_1)
	v_rcp_f32_e32 v67, v61
	v_nop
	v_fma_f32 v68, -v61, v67, 1.0
	s_delay_alu instid0(VALU_DEP_1) | instskip(NEXT) | instid1(VALU_DEP_1)
	v_fmac_f32_e32 v67, v68, v67
	v_mul_f32_e32 v68, v69, v67
	s_delay_alu instid0(VALU_DEP_1) | instskip(NEXT) | instid1(VALU_DEP_1)
	v_fma_f32 v70, -v61, v68, v69
	v_fmac_f32_e32 v68, v70, v67
	s_delay_alu instid0(VALU_DEP_1) | instskip(NEXT) | instid1(VALU_DEP_1)
	v_fma_f32 v61, -v61, v68, v69
	v_div_fmas_f32 v61, v61, v67, v68
	s_delay_alu instid0(VALU_DEP_1) | instskip(NEXT) | instid1(VALU_DEP_1)
	v_div_fixup_f32 v61, v61, v59, v58
	v_fmac_f32_e32 v59, v58, v61
	s_delay_alu instid0(VALU_DEP_1) | instskip(SKIP_1) | instid1(VALU_DEP_2)
	v_div_scale_f32 v58, null, v59, v59, 1.0
	v_div_scale_f32 v69, vcc_lo, 1.0, v59, 1.0
	v_rcp_f32_e32 v67, v58
	v_nop
	s_delay_alu instid0(TRANS32_DEP_1) | instskip(NEXT) | instid1(VALU_DEP_1)
	v_fma_f32 v68, -v58, v67, 1.0
	v_fmac_f32_e32 v67, v68, v67
	s_delay_alu instid0(VALU_DEP_1) | instskip(NEXT) | instid1(VALU_DEP_1)
	v_mul_f32_e32 v68, v69, v67
	v_fma_f32 v70, -v58, v68, v69
	s_delay_alu instid0(VALU_DEP_1) | instskip(NEXT) | instid1(VALU_DEP_1)
	v_fmac_f32_e32 v68, v70, v67
	v_fma_f32 v58, -v58, v68, v69
	s_delay_alu instid0(VALU_DEP_1) | instskip(NEXT) | instid1(VALU_DEP_1)
	v_div_fmas_f32 v58, v58, v67, v68
	v_div_fixup_f32 v59, v58, v59, 1.0
	s_delay_alu instid0(VALU_DEP_1)
	v_mul_f32_e32 v58, v61, v59
	v_xor_b32_e32 v59, 0x80000000, v59
.LBB50_406:
	s_and_not1_saveexec_b32 s1, s1
	s_cbranch_execz .LBB50_408
; %bb.407:
	s_delay_alu instid0(VALU_DEP_1) | instskip(SKIP_1) | instid1(VALU_DEP_2)
	v_div_scale_f32 v61, null, v58, v58, v59
	v_div_scale_f32 v69, vcc_lo, v59, v58, v59
	v_rcp_f32_e32 v67, v61
	v_nop
	s_delay_alu instid0(TRANS32_DEP_1) | instskip(NEXT) | instid1(VALU_DEP_1)
	v_fma_f32 v68, -v61, v67, 1.0
	v_fmac_f32_e32 v67, v68, v67
	s_delay_alu instid0(VALU_DEP_1) | instskip(NEXT) | instid1(VALU_DEP_1)
	v_mul_f32_e32 v68, v69, v67
	v_fma_f32 v70, -v61, v68, v69
	s_delay_alu instid0(VALU_DEP_1) | instskip(NEXT) | instid1(VALU_DEP_1)
	v_fmac_f32_e32 v68, v70, v67
	v_fma_f32 v61, -v61, v68, v69
	s_delay_alu instid0(VALU_DEP_1) | instskip(NEXT) | instid1(VALU_DEP_1)
	v_div_fmas_f32 v61, v61, v67, v68
	v_div_fixup_f32 v61, v61, v58, v59
	s_delay_alu instid0(VALU_DEP_1) | instskip(NEXT) | instid1(VALU_DEP_1)
	v_fmac_f32_e32 v58, v59, v61
	v_div_scale_f32 v59, null, v58, v58, 1.0
	s_delay_alu instid0(VALU_DEP_1) | instskip(SKIP_1) | instid1(TRANS32_DEP_1)
	v_rcp_f32_e32 v67, v59
	v_nop
	v_fma_f32 v68, -v59, v67, 1.0
	s_delay_alu instid0(VALU_DEP_1) | instskip(SKIP_1) | instid1(VALU_DEP_1)
	v_fmac_f32_e32 v67, v68, v67
	v_div_scale_f32 v68, vcc_lo, 1.0, v58, 1.0
	v_mul_f32_e32 v69, v68, v67
	s_delay_alu instid0(VALU_DEP_1) | instskip(NEXT) | instid1(VALU_DEP_1)
	v_fma_f32 v70, -v59, v69, v68
	v_fmac_f32_e32 v69, v70, v67
	s_delay_alu instid0(VALU_DEP_1) | instskip(NEXT) | instid1(VALU_DEP_1)
	v_fma_f32 v59, -v59, v69, v68
	v_div_fmas_f32 v59, v59, v67, v69
	s_delay_alu instid0(VALU_DEP_1) | instskip(NEXT) | instid1(VALU_DEP_1)
	v_div_fixup_f32 v58, v59, v58, 1.0
	v_mul_f32_e64 v59, v61, -v58
.LBB50_408:
	s_or_b32 exec_lo, exec_lo, s1
.LBB50_409:
	s_delay_alu instid0(SALU_CYCLE_1) | instskip(NEXT) | instid1(SALU_CYCLE_1)
	s_or_b32 exec_lo, exec_lo, s0
	s_mov_b32 s0, exec_lo
	v_cmpx_ne_u32_e64 v66, v60
	s_xor_b32 s0, exec_lo, s0
	s_cbranch_execz .LBB50_415
; %bb.410:
	s_mov_b32 s1, exec_lo
	v_cmpx_eq_u32_e32 19, v66
	s_cbranch_execz .LBB50_414
; %bb.411:
	v_cmp_ne_u32_e32 vcc_lo, 19, v60
	s_xor_b32 s12, s16, -1
	s_delay_alu instid0(SALU_CYCLE_1) | instskip(NEXT) | instid1(SALU_CYCLE_1)
	s_and_b32 s13, s12, vcc_lo
	s_and_saveexec_b32 s12, s13
	s_cbranch_execz .LBB50_413
; %bb.412:
	v_ashrrev_i32_e32 v61, 31, v60
	s_delay_alu instid0(VALU_DEP_1)
	v_lshl_add_u64 v[66:67], v[60:61], 2, v[4:5]
	s_clause 0x1
	global_load_b32 v61, v[66:67], off
	global_load_b32 v64, v[4:5], off offset:76
	s_wait_loadcnt 0x1
	global_store_b32 v[4:5], v61, off offset:76
	s_wait_loadcnt 0x0
	global_store_b32 v[66:67], v64, off
.LBB50_413:
	s_wait_xcnt 0x0
	s_or_b32 exec_lo, exec_lo, s12
	v_dual_mov_b32 v66, v60 :: v_dual_mov_b32 v64, v60
.LBB50_414:
	s_or_b32 exec_lo, exec_lo, s1
.LBB50_415:
	s_and_not1_saveexec_b32 s0, s0
	s_cbranch_execz .LBB50_417
; %bb.416:
	v_dual_mov_b32 v60, v38 :: v_dual_mov_b32 v61, v39
	v_dual_mov_b32 v68, v30 :: v_dual_mov_b32 v69, v31
	;; [unrolled: 1-line block ×5, first 2 shown]
	v_mov_b32_e32 v75, v33
	ds_store_2addr_b64 v62, v[60:61], v[68:69] offset0:20 offset1:21
	ds_store_2addr_b64 v62, v[70:71], v[72:73] offset0:22 offset1:23
	;; [unrolled: 1-line block ×3, first 2 shown]
.LBB50_417:
	s_or_b32 exec_lo, exec_lo, s0
	s_delay_alu instid0(SALU_CYCLE_1)
	s_mov_b32 s0, exec_lo
	s_wait_storecnt_dscnt 0x0
	s_barrier_signal -1
	s_barrier_wait -1
	v_cmpx_lt_i32_e32 19, v66
	s_cbranch_execz .LBB50_419
; %bb.418:
	v_pk_mul_f32 v[60:61], v[58:59], v[24:25] op_sel:[1,1] op_sel_hi:[0,1]
	s_delay_alu instid0(VALU_DEP_1)
	v_pk_fma_f32 v[68:69], v[58:59], v[24:25], v[60:61] op_sel_hi:[1,0,1] neg_lo:[0,0,1] neg_hi:[0,0,1]
	v_pk_fma_f32 v[70:71], v[58:59], v[24:25], v[60:61] op_sel_hi:[1,0,1]
	ds_load_2addr_b64 v[58:61], v62 offset0:20 offset1:21
	v_dual_mov_b32 v24, v68 :: v_dual_mov_b32 v25, v71
	s_wait_dscnt 0x0
	v_pk_mul_f32 v[72:73], v[58:59], v[70:71] op_sel:[0,1]
	s_delay_alu instid0(VALU_DEP_1) | instskip(SKIP_1) | instid1(VALU_DEP_1)
	v_pk_fma_f32 v[74:75], v[58:59], v[68:69], v[72:73] op_sel:[0,0,1] op_sel_hi:[1,1,0] neg_lo:[0,0,1] neg_hi:[0,0,1]
	v_pk_fma_f32 v[58:59], v[58:59], v[68:69], v[72:73] op_sel:[0,0,1] op_sel_hi:[1,0,0]
	v_mov_b32_e32 v75, v59
	v_pk_mul_f32 v[58:59], v[60:61], v[70:71] op_sel:[0,1]
	s_delay_alu instid0(VALU_DEP_1) | instskip(SKIP_1) | instid1(VALU_DEP_1)
	v_pk_fma_f32 v[72:73], v[60:61], v[68:69], v[58:59] op_sel:[0,0,1] op_sel_hi:[1,1,0] neg_lo:[0,0,1] neg_hi:[0,0,1]
	v_pk_fma_f32 v[58:59], v[60:61], v[68:69], v[58:59] op_sel:[0,0,1] op_sel_hi:[1,0,0]
	v_mov_b32_e32 v73, v59
	ds_load_2addr_b64 v[58:61], v62 offset0:22 offset1:23
	v_pk_add_f32 v[38:39], v[38:39], v[74:75] neg_lo:[0,1] neg_hi:[0,1]
	v_pk_add_f32 v[30:31], v[30:31], v[72:73] neg_lo:[0,1] neg_hi:[0,1]
	s_wait_dscnt 0x0
	v_pk_mul_f32 v[72:73], v[58:59], v[70:71] op_sel:[0,1]
	s_delay_alu instid0(VALU_DEP_1) | instskip(SKIP_2) | instid1(VALU_DEP_2)
	v_pk_fma_f32 v[74:75], v[58:59], v[68:69], v[72:73] op_sel:[0,0,1] op_sel_hi:[1,1,0] neg_lo:[0,0,1] neg_hi:[0,0,1]
	v_pk_fma_f32 v[58:59], v[58:59], v[68:69], v[72:73] op_sel:[0,0,1] op_sel_hi:[1,0,0]
	v_dual_mul_f32 v72, v61, v71 :: v_dual_mov_b32 v58, v61
	v_dual_mov_b32 v75, v59 :: v_dual_mov_b32 v59, v60
	s_delay_alu instid0(VALU_DEP_2) | instskip(SKIP_1) | instid1(VALU_DEP_3)
	v_pk_fma_f32 v[72:73], v[60:61], v[24:25], v[72:73] op_sel_hi:[1,1,0] neg_lo:[0,0,1] neg_hi:[0,0,1]
	v_mul_f32_e32 v60, v61, v68
	v_pk_add_f32 v[36:37], v[36:37], v[74:75] neg_lo:[0,1] neg_hi:[0,1]
	s_delay_alu instid0(VALU_DEP_2) | instskip(NEXT) | instid1(VALU_DEP_1)
	v_pk_fma_f32 v[58:59], v[58:59], v[24:25], v[60:61] op_sel_hi:[1,1,0]
	v_mov_b32_e32 v73, v59
	ds_load_2addr_b64 v[58:61], v62 offset0:24 offset1:25
	v_pk_add_f32 v[34:35], v[34:35], v[72:73] neg_lo:[0,1] neg_hi:[0,1]
	s_wait_dscnt 0x0
	v_pk_mul_f32 v[72:73], v[58:59], v[70:71] op_sel:[0,1]
	v_mul_f32_e32 v70, v61, v71
	s_delay_alu instid0(VALU_DEP_2) | instskip(SKIP_2) | instid1(VALU_DEP_4)
	v_pk_fma_f32 v[74:75], v[58:59], v[68:69], v[72:73] op_sel:[0,0,1] op_sel_hi:[1,1,0] neg_lo:[0,0,1] neg_hi:[0,0,1]
	v_pk_fma_f32 v[58:59], v[58:59], v[68:69], v[72:73] op_sel:[0,0,1] op_sel_hi:[1,0,0]
	v_mov_b32_e32 v58, v61
	v_pk_fma_f32 v[70:71], v[60:61], v[24:25], v[70:71] op_sel_hi:[1,1,0] neg_lo:[0,0,1] neg_hi:[0,0,1]
	s_delay_alu instid0(VALU_DEP_3) | instskip(SKIP_1) | instid1(VALU_DEP_2)
	v_dual_mov_b32 v75, v59 :: v_dual_mov_b32 v59, v60
	v_mul_f32_e32 v60, v61, v68
	v_pk_add_f32 v[32:33], v[32:33], v[74:75] neg_lo:[0,1] neg_hi:[0,1]
	s_delay_alu instid0(VALU_DEP_2) | instskip(NEXT) | instid1(VALU_DEP_1)
	v_pk_fma_f32 v[58:59], v[58:59], v[24:25], v[60:61] op_sel_hi:[1,1,0]
	v_mov_b32_e32 v71, v59
	s_delay_alu instid0(VALU_DEP_1)
	v_pk_add_f32 v[56:57], v[56:57], v[70:71] neg_lo:[0,1] neg_hi:[0,1]
.LBB50_419:
	s_or_b32 exec_lo, exec_lo, s0
	v_lshl_add_u32 v58, v66, 3, v62
	s_barrier_signal -1
	s_barrier_wait -1
	ds_store_b64 v58, v[38:39]
	s_wait_dscnt 0x0
	s_barrier_signal -1
	s_barrier_wait -1
	ds_load_b64 v[58:59], v62 offset:160
	v_mov_b32_e32 v60, 20
	s_cmp_lt_i32 s18, 22
	s_cbranch_scc1 .LBB50_422
; %bb.420:
	v_add3_u32 v61, v63, 0, 0xa8
	v_mov_b32_e32 v60, 20
	s_mov_b32 s0, 21
.LBB50_421:                             ; =>This Inner Loop Header: Depth=1
	ds_load_b64 v[68:69], v61
	s_wait_dscnt 0x1
	v_cmp_gt_f32_e32 vcc_lo, 0, v58
	v_cndmask_b32_e64 v70, v58, -v58, vcc_lo
	v_cmp_gt_f32_e32 vcc_lo, 0, v59
	v_cndmask_b32_e64 v72, v59, -v59, vcc_lo
	s_wait_dscnt 0x0
	v_cmp_gt_f32_e32 vcc_lo, 0, v68
	v_cndmask_b32_e64 v71, v68, -v68, vcc_lo
	v_cmp_gt_f32_e32 vcc_lo, 0, v69
	v_cndmask_b32_e64 v73, v69, -v69, vcc_lo
	s_delay_alu instid0(VALU_DEP_1) | instskip(NEXT) | instid1(VALU_DEP_1)
	v_pk_add_f32 v[70:71], v[70:71], v[72:73]
	v_cmp_lt_f32_e32 vcc_lo, v70, v71
	v_dual_cndmask_b32 v58, v58, v68 :: v_dual_add_nc_u32 v61, 8, v61
	v_cndmask_b32_e32 v59, v59, v69, vcc_lo
	v_cndmask_b32_e64 v60, v60, s0, vcc_lo
	s_add_co_i32 s0, s0, 1
	s_delay_alu instid0(SALU_CYCLE_1)
	s_cmp_lg_u32 s18, s0
	s_cbranch_scc1 .LBB50_421
.LBB50_422:
	s_wait_dscnt 0x0
	v_cmp_eq_f32_e32 vcc_lo, 0, v58
	v_cmp_eq_f32_e64 s0, 0, v59
	s_and_b32 s0, vcc_lo, s0
	s_delay_alu instid0(SALU_CYCLE_1) | instskip(NEXT) | instid1(SALU_CYCLE_1)
	s_and_saveexec_b32 s1, s0
	s_xor_b32 s0, exec_lo, s1
; %bb.423:
	v_cmp_ne_u32_e32 vcc_lo, 0, v65
	v_cndmask_b32_e32 v65, 21, v65, vcc_lo
; %bb.424:
	s_and_not1_saveexec_b32 s0, s0
	s_cbranch_execz .LBB50_430
; %bb.425:
	v_cmp_ngt_f32_e64 s1, |v58|, |v59|
	s_and_saveexec_b32 s12, s1
	s_delay_alu instid0(SALU_CYCLE_1)
	s_xor_b32 s1, exec_lo, s12
	s_cbranch_execz .LBB50_427
; %bb.426:
	v_div_scale_f32 v61, null, v59, v59, v58
	v_div_scale_f32 v69, vcc_lo, v58, v59, v58
	s_delay_alu instid0(VALU_DEP_2) | instskip(SKIP_1) | instid1(TRANS32_DEP_1)
	v_rcp_f32_e32 v67, v61
	v_nop
	v_fma_f32 v68, -v61, v67, 1.0
	s_delay_alu instid0(VALU_DEP_1) | instskip(NEXT) | instid1(VALU_DEP_1)
	v_fmac_f32_e32 v67, v68, v67
	v_mul_f32_e32 v68, v69, v67
	s_delay_alu instid0(VALU_DEP_1) | instskip(NEXT) | instid1(VALU_DEP_1)
	v_fma_f32 v70, -v61, v68, v69
	v_fmac_f32_e32 v68, v70, v67
	s_delay_alu instid0(VALU_DEP_1) | instskip(NEXT) | instid1(VALU_DEP_1)
	v_fma_f32 v61, -v61, v68, v69
	v_div_fmas_f32 v61, v61, v67, v68
	s_delay_alu instid0(VALU_DEP_1) | instskip(NEXT) | instid1(VALU_DEP_1)
	v_div_fixup_f32 v61, v61, v59, v58
	v_fmac_f32_e32 v59, v58, v61
	s_delay_alu instid0(VALU_DEP_1) | instskip(SKIP_1) | instid1(VALU_DEP_2)
	v_div_scale_f32 v58, null, v59, v59, 1.0
	v_div_scale_f32 v69, vcc_lo, 1.0, v59, 1.0
	v_rcp_f32_e32 v67, v58
	v_nop
	s_delay_alu instid0(TRANS32_DEP_1) | instskip(NEXT) | instid1(VALU_DEP_1)
	v_fma_f32 v68, -v58, v67, 1.0
	v_fmac_f32_e32 v67, v68, v67
	s_delay_alu instid0(VALU_DEP_1) | instskip(NEXT) | instid1(VALU_DEP_1)
	v_mul_f32_e32 v68, v69, v67
	v_fma_f32 v70, -v58, v68, v69
	s_delay_alu instid0(VALU_DEP_1) | instskip(NEXT) | instid1(VALU_DEP_1)
	v_fmac_f32_e32 v68, v70, v67
	v_fma_f32 v58, -v58, v68, v69
	s_delay_alu instid0(VALU_DEP_1) | instskip(NEXT) | instid1(VALU_DEP_1)
	v_div_fmas_f32 v58, v58, v67, v68
	v_div_fixup_f32 v59, v58, v59, 1.0
	s_delay_alu instid0(VALU_DEP_1)
	v_mul_f32_e32 v58, v61, v59
	v_xor_b32_e32 v59, 0x80000000, v59
.LBB50_427:
	s_and_not1_saveexec_b32 s1, s1
	s_cbranch_execz .LBB50_429
; %bb.428:
	s_delay_alu instid0(VALU_DEP_1) | instskip(SKIP_1) | instid1(VALU_DEP_2)
	v_div_scale_f32 v61, null, v58, v58, v59
	v_div_scale_f32 v69, vcc_lo, v59, v58, v59
	v_rcp_f32_e32 v67, v61
	v_nop
	s_delay_alu instid0(TRANS32_DEP_1) | instskip(NEXT) | instid1(VALU_DEP_1)
	v_fma_f32 v68, -v61, v67, 1.0
	v_fmac_f32_e32 v67, v68, v67
	s_delay_alu instid0(VALU_DEP_1) | instskip(NEXT) | instid1(VALU_DEP_1)
	v_mul_f32_e32 v68, v69, v67
	v_fma_f32 v70, -v61, v68, v69
	s_delay_alu instid0(VALU_DEP_1) | instskip(NEXT) | instid1(VALU_DEP_1)
	v_fmac_f32_e32 v68, v70, v67
	v_fma_f32 v61, -v61, v68, v69
	s_delay_alu instid0(VALU_DEP_1) | instskip(NEXT) | instid1(VALU_DEP_1)
	v_div_fmas_f32 v61, v61, v67, v68
	v_div_fixup_f32 v61, v61, v58, v59
	s_delay_alu instid0(VALU_DEP_1) | instskip(NEXT) | instid1(VALU_DEP_1)
	v_fmac_f32_e32 v58, v59, v61
	v_div_scale_f32 v59, null, v58, v58, 1.0
	s_delay_alu instid0(VALU_DEP_1) | instskip(SKIP_1) | instid1(TRANS32_DEP_1)
	v_rcp_f32_e32 v67, v59
	v_nop
	v_fma_f32 v68, -v59, v67, 1.0
	s_delay_alu instid0(VALU_DEP_1) | instskip(SKIP_1) | instid1(VALU_DEP_1)
	v_fmac_f32_e32 v67, v68, v67
	v_div_scale_f32 v68, vcc_lo, 1.0, v58, 1.0
	v_mul_f32_e32 v69, v68, v67
	s_delay_alu instid0(VALU_DEP_1) | instskip(NEXT) | instid1(VALU_DEP_1)
	v_fma_f32 v70, -v59, v69, v68
	v_fmac_f32_e32 v69, v70, v67
	s_delay_alu instid0(VALU_DEP_1) | instskip(NEXT) | instid1(VALU_DEP_1)
	v_fma_f32 v59, -v59, v69, v68
	v_div_fmas_f32 v59, v59, v67, v69
	s_delay_alu instid0(VALU_DEP_1) | instskip(NEXT) | instid1(VALU_DEP_1)
	v_div_fixup_f32 v58, v59, v58, 1.0
	v_mul_f32_e64 v59, v61, -v58
.LBB50_429:
	s_or_b32 exec_lo, exec_lo, s1
.LBB50_430:
	s_delay_alu instid0(SALU_CYCLE_1) | instskip(NEXT) | instid1(SALU_CYCLE_1)
	s_or_b32 exec_lo, exec_lo, s0
	s_mov_b32 s0, exec_lo
	v_cmpx_ne_u32_e64 v66, v60
	s_xor_b32 s0, exec_lo, s0
	s_cbranch_execz .LBB50_436
; %bb.431:
	s_mov_b32 s1, exec_lo
	v_cmpx_eq_u32_e32 20, v66
	s_cbranch_execz .LBB50_435
; %bb.432:
	v_cmp_ne_u32_e32 vcc_lo, 20, v60
	s_xor_b32 s12, s16, -1
	s_delay_alu instid0(SALU_CYCLE_1) | instskip(NEXT) | instid1(SALU_CYCLE_1)
	s_and_b32 s13, s12, vcc_lo
	s_and_saveexec_b32 s12, s13
	s_cbranch_execz .LBB50_434
; %bb.433:
	v_ashrrev_i32_e32 v61, 31, v60
	s_delay_alu instid0(VALU_DEP_1)
	v_lshl_add_u64 v[66:67], v[60:61], 2, v[4:5]
	s_clause 0x1
	global_load_b32 v61, v[66:67], off
	global_load_b32 v64, v[4:5], off offset:80
	s_wait_loadcnt 0x1
	global_store_b32 v[4:5], v61, off offset:80
	s_wait_loadcnt 0x0
	global_store_b32 v[66:67], v64, off
.LBB50_434:
	s_wait_xcnt 0x0
	s_or_b32 exec_lo, exec_lo, s12
	v_dual_mov_b32 v66, v60 :: v_dual_mov_b32 v64, v60
.LBB50_435:
	s_or_b32 exec_lo, exec_lo, s1
.LBB50_436:
	s_and_not1_saveexec_b32 s0, s0
	s_cbranch_execz .LBB50_438
; %bb.437:
	v_mov_b32_e32 v66, 20
	ds_store_2addr_b64 v62, v[30:31], v[36:37] offset0:21 offset1:22
	ds_store_2addr_b64 v62, v[34:35], v[32:33] offset0:23 offset1:24
	ds_store_b64 v62, v[56:57] offset:200
.LBB50_438:
	s_or_b32 exec_lo, exec_lo, s0
	s_delay_alu instid0(SALU_CYCLE_1)
	s_mov_b32 s0, exec_lo
	s_wait_storecnt_dscnt 0x0
	s_barrier_signal -1
	s_barrier_wait -1
	v_cmpx_lt_i32_e32 20, v66
	s_cbranch_execz .LBB50_440
; %bb.439:
	v_pk_mul_f32 v[60:61], v[58:59], v[38:39] op_sel:[1,1] op_sel_hi:[0,1]
	s_delay_alu instid0(VALU_DEP_1)
	v_pk_fma_f32 v[68:69], v[58:59], v[38:39], v[60:61] op_sel_hi:[1,0,1] neg_lo:[0,0,1] neg_hi:[0,0,1]
	v_pk_fma_f32 v[70:71], v[58:59], v[38:39], v[60:61] op_sel_hi:[1,0,1]
	ds_load_2addr_b64 v[58:61], v62 offset0:21 offset1:22
	v_dual_mov_b32 v38, v68 :: v_dual_mov_b32 v39, v71
	s_wait_dscnt 0x0
	v_pk_mul_f32 v[72:73], v[58:59], v[70:71] op_sel:[0,1]
	s_delay_alu instid0(VALU_DEP_1) | instskip(SKIP_1) | instid1(VALU_DEP_1)
	v_pk_fma_f32 v[74:75], v[58:59], v[68:69], v[72:73] op_sel:[0,0,1] op_sel_hi:[1,1,0] neg_lo:[0,0,1] neg_hi:[0,0,1]
	v_pk_fma_f32 v[58:59], v[58:59], v[68:69], v[72:73] op_sel:[0,0,1] op_sel_hi:[1,0,0]
	v_mov_b32_e32 v75, v59
	v_pk_mul_f32 v[58:59], v[60:61], v[70:71] op_sel:[0,1]
	s_delay_alu instid0(VALU_DEP_1) | instskip(SKIP_1) | instid1(VALU_DEP_1)
	v_pk_fma_f32 v[72:73], v[60:61], v[68:69], v[58:59] op_sel:[0,0,1] op_sel_hi:[1,1,0] neg_lo:[0,0,1] neg_hi:[0,0,1]
	v_pk_fma_f32 v[58:59], v[60:61], v[68:69], v[58:59] op_sel:[0,0,1] op_sel_hi:[1,0,0]
	v_mov_b32_e32 v73, v59
	ds_load_2addr_b64 v[58:61], v62 offset0:23 offset1:24
	v_pk_add_f32 v[30:31], v[30:31], v[74:75] neg_lo:[0,1] neg_hi:[0,1]
	v_pk_add_f32 v[36:37], v[36:37], v[72:73] neg_lo:[0,1] neg_hi:[0,1]
	s_wait_dscnt 0x0
	v_pk_mul_f32 v[72:73], v[58:59], v[70:71] op_sel:[0,1]
	s_delay_alu instid0(VALU_DEP_1) | instskip(SKIP_2) | instid1(VALU_DEP_2)
	v_pk_fma_f32 v[74:75], v[58:59], v[68:69], v[72:73] op_sel:[0,0,1] op_sel_hi:[1,1,0] neg_lo:[0,0,1] neg_hi:[0,0,1]
	v_pk_fma_f32 v[58:59], v[58:59], v[68:69], v[72:73] op_sel:[0,0,1] op_sel_hi:[1,0,0]
	v_dual_mul_f32 v72, v61, v71 :: v_dual_mov_b32 v58, v61
	v_dual_mov_b32 v75, v59 :: v_dual_mov_b32 v59, v60
	s_delay_alu instid0(VALU_DEP_2) | instskip(SKIP_1) | instid1(VALU_DEP_3)
	v_pk_fma_f32 v[72:73], v[60:61], v[38:39], v[72:73] op_sel_hi:[1,1,0] neg_lo:[0,0,1] neg_hi:[0,0,1]
	v_mul_f32_e32 v60, v61, v68
	v_pk_add_f32 v[34:35], v[34:35], v[74:75] neg_lo:[0,1] neg_hi:[0,1]
	s_delay_alu instid0(VALU_DEP_2) | instskip(NEXT) | instid1(VALU_DEP_1)
	v_pk_fma_f32 v[58:59], v[58:59], v[38:39], v[60:61] op_sel_hi:[1,1,0]
	v_mov_b32_e32 v73, v59
	ds_load_b64 v[58:59], v62 offset:200
	v_pk_add_f32 v[32:33], v[32:33], v[72:73] neg_lo:[0,1] neg_hi:[0,1]
	s_wait_dscnt 0x0
	v_pk_mul_f32 v[60:61], v[58:59], v[70:71] op_sel:[0,1]
	s_delay_alu instid0(VALU_DEP_1) | instskip(SKIP_1) | instid1(VALU_DEP_1)
	v_pk_fma_f32 v[70:71], v[58:59], v[68:69], v[60:61] op_sel:[0,0,1] op_sel_hi:[1,1,0] neg_lo:[0,0,1] neg_hi:[0,0,1]
	v_pk_fma_f32 v[58:59], v[58:59], v[68:69], v[60:61] op_sel:[0,0,1] op_sel_hi:[1,0,0]
	v_mov_b32_e32 v71, v59
	s_delay_alu instid0(VALU_DEP_1)
	v_pk_add_f32 v[56:57], v[56:57], v[70:71] neg_lo:[0,1] neg_hi:[0,1]
.LBB50_440:
	s_or_b32 exec_lo, exec_lo, s0
	v_lshl_add_u32 v58, v66, 3, v62
	s_barrier_signal -1
	s_barrier_wait -1
	ds_store_b64 v58, v[30:31]
	s_wait_dscnt 0x0
	s_barrier_signal -1
	s_barrier_wait -1
	ds_load_b64 v[58:59], v62 offset:168
	v_mov_b32_e32 v60, 21
	s_cmp_lt_i32 s18, 23
	s_cbranch_scc1 .LBB50_443
; %bb.441:
	v_add3_u32 v61, v63, 0, 0xb0
	v_mov_b32_e32 v60, 21
	s_mov_b32 s0, 22
.LBB50_442:                             ; =>This Inner Loop Header: Depth=1
	ds_load_b64 v[68:69], v61
	s_wait_dscnt 0x1
	v_cmp_gt_f32_e32 vcc_lo, 0, v58
	v_cndmask_b32_e64 v70, v58, -v58, vcc_lo
	v_cmp_gt_f32_e32 vcc_lo, 0, v59
	v_cndmask_b32_e64 v72, v59, -v59, vcc_lo
	s_wait_dscnt 0x0
	v_cmp_gt_f32_e32 vcc_lo, 0, v68
	v_cndmask_b32_e64 v71, v68, -v68, vcc_lo
	v_cmp_gt_f32_e32 vcc_lo, 0, v69
	v_cndmask_b32_e64 v73, v69, -v69, vcc_lo
	s_delay_alu instid0(VALU_DEP_1) | instskip(NEXT) | instid1(VALU_DEP_1)
	v_pk_add_f32 v[70:71], v[70:71], v[72:73]
	v_cmp_lt_f32_e32 vcc_lo, v70, v71
	v_dual_cndmask_b32 v58, v58, v68 :: v_dual_add_nc_u32 v61, 8, v61
	v_cndmask_b32_e32 v59, v59, v69, vcc_lo
	v_cndmask_b32_e64 v60, v60, s0, vcc_lo
	s_add_co_i32 s0, s0, 1
	s_delay_alu instid0(SALU_CYCLE_1)
	s_cmp_lg_u32 s18, s0
	s_cbranch_scc1 .LBB50_442
.LBB50_443:
	s_wait_dscnt 0x0
	v_cmp_eq_f32_e32 vcc_lo, 0, v58
	v_cmp_eq_f32_e64 s0, 0, v59
	s_and_b32 s0, vcc_lo, s0
	s_delay_alu instid0(SALU_CYCLE_1) | instskip(NEXT) | instid1(SALU_CYCLE_1)
	s_and_saveexec_b32 s1, s0
	s_xor_b32 s0, exec_lo, s1
; %bb.444:
	v_cmp_ne_u32_e32 vcc_lo, 0, v65
	v_cndmask_b32_e32 v65, 22, v65, vcc_lo
; %bb.445:
	s_and_not1_saveexec_b32 s0, s0
	s_cbranch_execz .LBB50_451
; %bb.446:
	v_cmp_ngt_f32_e64 s1, |v58|, |v59|
	s_and_saveexec_b32 s12, s1
	s_delay_alu instid0(SALU_CYCLE_1)
	s_xor_b32 s1, exec_lo, s12
	s_cbranch_execz .LBB50_448
; %bb.447:
	v_div_scale_f32 v61, null, v59, v59, v58
	v_div_scale_f32 v69, vcc_lo, v58, v59, v58
	s_delay_alu instid0(VALU_DEP_2) | instskip(SKIP_1) | instid1(TRANS32_DEP_1)
	v_rcp_f32_e32 v67, v61
	v_nop
	v_fma_f32 v68, -v61, v67, 1.0
	s_delay_alu instid0(VALU_DEP_1) | instskip(NEXT) | instid1(VALU_DEP_1)
	v_fmac_f32_e32 v67, v68, v67
	v_mul_f32_e32 v68, v69, v67
	s_delay_alu instid0(VALU_DEP_1) | instskip(NEXT) | instid1(VALU_DEP_1)
	v_fma_f32 v70, -v61, v68, v69
	v_fmac_f32_e32 v68, v70, v67
	s_delay_alu instid0(VALU_DEP_1) | instskip(NEXT) | instid1(VALU_DEP_1)
	v_fma_f32 v61, -v61, v68, v69
	v_div_fmas_f32 v61, v61, v67, v68
	s_delay_alu instid0(VALU_DEP_1) | instskip(NEXT) | instid1(VALU_DEP_1)
	v_div_fixup_f32 v61, v61, v59, v58
	v_fmac_f32_e32 v59, v58, v61
	s_delay_alu instid0(VALU_DEP_1) | instskip(SKIP_1) | instid1(VALU_DEP_2)
	v_div_scale_f32 v58, null, v59, v59, 1.0
	v_div_scale_f32 v69, vcc_lo, 1.0, v59, 1.0
	v_rcp_f32_e32 v67, v58
	v_nop
	s_delay_alu instid0(TRANS32_DEP_1) | instskip(NEXT) | instid1(VALU_DEP_1)
	v_fma_f32 v68, -v58, v67, 1.0
	v_fmac_f32_e32 v67, v68, v67
	s_delay_alu instid0(VALU_DEP_1) | instskip(NEXT) | instid1(VALU_DEP_1)
	v_mul_f32_e32 v68, v69, v67
	v_fma_f32 v70, -v58, v68, v69
	s_delay_alu instid0(VALU_DEP_1) | instskip(NEXT) | instid1(VALU_DEP_1)
	v_fmac_f32_e32 v68, v70, v67
	v_fma_f32 v58, -v58, v68, v69
	s_delay_alu instid0(VALU_DEP_1) | instskip(NEXT) | instid1(VALU_DEP_1)
	v_div_fmas_f32 v58, v58, v67, v68
	v_div_fixup_f32 v59, v58, v59, 1.0
	s_delay_alu instid0(VALU_DEP_1)
	v_mul_f32_e32 v58, v61, v59
	v_xor_b32_e32 v59, 0x80000000, v59
.LBB50_448:
	s_and_not1_saveexec_b32 s1, s1
	s_cbranch_execz .LBB50_450
; %bb.449:
	s_delay_alu instid0(VALU_DEP_1) | instskip(SKIP_1) | instid1(VALU_DEP_2)
	v_div_scale_f32 v61, null, v58, v58, v59
	v_div_scale_f32 v69, vcc_lo, v59, v58, v59
	v_rcp_f32_e32 v67, v61
	v_nop
	s_delay_alu instid0(TRANS32_DEP_1) | instskip(NEXT) | instid1(VALU_DEP_1)
	v_fma_f32 v68, -v61, v67, 1.0
	v_fmac_f32_e32 v67, v68, v67
	s_delay_alu instid0(VALU_DEP_1) | instskip(NEXT) | instid1(VALU_DEP_1)
	v_mul_f32_e32 v68, v69, v67
	v_fma_f32 v70, -v61, v68, v69
	s_delay_alu instid0(VALU_DEP_1) | instskip(NEXT) | instid1(VALU_DEP_1)
	v_fmac_f32_e32 v68, v70, v67
	v_fma_f32 v61, -v61, v68, v69
	s_delay_alu instid0(VALU_DEP_1) | instskip(NEXT) | instid1(VALU_DEP_1)
	v_div_fmas_f32 v61, v61, v67, v68
	v_div_fixup_f32 v61, v61, v58, v59
	s_delay_alu instid0(VALU_DEP_1) | instskip(NEXT) | instid1(VALU_DEP_1)
	v_fmac_f32_e32 v58, v59, v61
	v_div_scale_f32 v59, null, v58, v58, 1.0
	s_delay_alu instid0(VALU_DEP_1) | instskip(SKIP_1) | instid1(TRANS32_DEP_1)
	v_rcp_f32_e32 v67, v59
	v_nop
	v_fma_f32 v68, -v59, v67, 1.0
	s_delay_alu instid0(VALU_DEP_1) | instskip(SKIP_1) | instid1(VALU_DEP_1)
	v_fmac_f32_e32 v67, v68, v67
	v_div_scale_f32 v68, vcc_lo, 1.0, v58, 1.0
	v_mul_f32_e32 v69, v68, v67
	s_delay_alu instid0(VALU_DEP_1) | instskip(NEXT) | instid1(VALU_DEP_1)
	v_fma_f32 v70, -v59, v69, v68
	v_fmac_f32_e32 v69, v70, v67
	s_delay_alu instid0(VALU_DEP_1) | instskip(NEXT) | instid1(VALU_DEP_1)
	v_fma_f32 v59, -v59, v69, v68
	v_div_fmas_f32 v59, v59, v67, v69
	s_delay_alu instid0(VALU_DEP_1) | instskip(NEXT) | instid1(VALU_DEP_1)
	v_div_fixup_f32 v58, v59, v58, 1.0
	v_mul_f32_e64 v59, v61, -v58
.LBB50_450:
	s_or_b32 exec_lo, exec_lo, s1
.LBB50_451:
	s_delay_alu instid0(SALU_CYCLE_1) | instskip(NEXT) | instid1(SALU_CYCLE_1)
	s_or_b32 exec_lo, exec_lo, s0
	s_mov_b32 s0, exec_lo
	v_cmpx_ne_u32_e64 v66, v60
	s_xor_b32 s0, exec_lo, s0
	s_cbranch_execz .LBB50_457
; %bb.452:
	s_mov_b32 s1, exec_lo
	v_cmpx_eq_u32_e32 21, v66
	s_cbranch_execz .LBB50_456
; %bb.453:
	v_cmp_ne_u32_e32 vcc_lo, 21, v60
	s_xor_b32 s12, s16, -1
	s_delay_alu instid0(SALU_CYCLE_1) | instskip(NEXT) | instid1(SALU_CYCLE_1)
	s_and_b32 s13, s12, vcc_lo
	s_and_saveexec_b32 s12, s13
	s_cbranch_execz .LBB50_455
; %bb.454:
	v_ashrrev_i32_e32 v61, 31, v60
	s_delay_alu instid0(VALU_DEP_1)
	v_lshl_add_u64 v[66:67], v[60:61], 2, v[4:5]
	s_clause 0x1
	global_load_b32 v61, v[66:67], off
	global_load_b32 v64, v[4:5], off offset:84
	s_wait_loadcnt 0x1
	global_store_b32 v[4:5], v61, off offset:84
	s_wait_loadcnt 0x0
	global_store_b32 v[66:67], v64, off
.LBB50_455:
	s_wait_xcnt 0x0
	s_or_b32 exec_lo, exec_lo, s12
	v_dual_mov_b32 v66, v60 :: v_dual_mov_b32 v64, v60
.LBB50_456:
	s_or_b32 exec_lo, exec_lo, s1
.LBB50_457:
	s_and_not1_saveexec_b32 s0, s0
	s_cbranch_execz .LBB50_459
; %bb.458:
	v_dual_mov_b32 v60, v36 :: v_dual_mov_b32 v61, v37
	v_dual_mov_b32 v68, v34 :: v_dual_mov_b32 v69, v35
	;; [unrolled: 1-line block ×3, first 2 shown]
	v_mov_b32_e32 v71, v33
	ds_store_2addr_b64 v62, v[60:61], v[68:69] offset0:22 offset1:23
	ds_store_2addr_b64 v62, v[70:71], v[56:57] offset0:24 offset1:25
.LBB50_459:
	s_or_b32 exec_lo, exec_lo, s0
	s_delay_alu instid0(SALU_CYCLE_1)
	s_mov_b32 s0, exec_lo
	s_wait_storecnt_dscnt 0x0
	s_barrier_signal -1
	s_barrier_wait -1
	v_cmpx_lt_i32_e32 21, v66
	s_cbranch_execz .LBB50_461
; %bb.460:
	v_pk_mul_f32 v[60:61], v[58:59], v[30:31] op_sel:[1,1] op_sel_hi:[0,1]
	s_delay_alu instid0(VALU_DEP_1)
	v_pk_fma_f32 v[68:69], v[58:59], v[30:31], v[60:61] op_sel_hi:[1,0,1] neg_lo:[0,0,1] neg_hi:[0,0,1]
	v_pk_fma_f32 v[70:71], v[58:59], v[30:31], v[60:61] op_sel_hi:[1,0,1]
	ds_load_2addr_b64 v[58:61], v62 offset0:22 offset1:23
	v_dual_mov_b32 v30, v68 :: v_dual_mov_b32 v31, v71
	s_wait_dscnt 0x0
	v_pk_mul_f32 v[72:73], v[58:59], v[70:71] op_sel:[0,1]
	s_delay_alu instid0(VALU_DEP_1) | instskip(SKIP_1) | instid1(VALU_DEP_1)
	v_pk_fma_f32 v[74:75], v[58:59], v[68:69], v[72:73] op_sel:[0,0,1] op_sel_hi:[1,1,0] neg_lo:[0,0,1] neg_hi:[0,0,1]
	v_pk_fma_f32 v[58:59], v[58:59], v[68:69], v[72:73] op_sel:[0,0,1] op_sel_hi:[1,0,0]
	v_mov_b32_e32 v75, v59
	v_pk_mul_f32 v[58:59], v[60:61], v[70:71] op_sel:[0,1]
	s_delay_alu instid0(VALU_DEP_1) | instskip(SKIP_1) | instid1(VALU_DEP_1)
	v_pk_fma_f32 v[72:73], v[60:61], v[68:69], v[58:59] op_sel:[0,0,1] op_sel_hi:[1,1,0] neg_lo:[0,0,1] neg_hi:[0,0,1]
	v_pk_fma_f32 v[58:59], v[60:61], v[68:69], v[58:59] op_sel:[0,0,1] op_sel_hi:[1,0,0]
	v_mov_b32_e32 v73, v59
	ds_load_2addr_b64 v[58:61], v62 offset0:24 offset1:25
	v_pk_add_f32 v[36:37], v[36:37], v[74:75] neg_lo:[0,1] neg_hi:[0,1]
	v_pk_add_f32 v[34:35], v[34:35], v[72:73] neg_lo:[0,1] neg_hi:[0,1]
	s_wait_dscnt 0x0
	v_pk_mul_f32 v[72:73], v[58:59], v[70:71] op_sel:[0,1]
	s_delay_alu instid0(VALU_DEP_1) | instskip(SKIP_1) | instid1(VALU_DEP_1)
	v_pk_fma_f32 v[74:75], v[58:59], v[68:69], v[72:73] op_sel:[0,0,1] op_sel_hi:[1,1,0] neg_lo:[0,0,1] neg_hi:[0,0,1]
	v_pk_fma_f32 v[58:59], v[58:59], v[68:69], v[72:73] op_sel:[0,0,1] op_sel_hi:[1,0,0]
	v_dual_mov_b32 v58, v61 :: v_dual_mov_b32 v75, v59
	v_mov_b32_e32 v59, v60
	s_delay_alu instid0(VALU_DEP_2) | instskip(NEXT) | instid1(VALU_DEP_2)
	v_pk_add_f32 v[32:33], v[32:33], v[74:75] neg_lo:[0,1] neg_hi:[0,1]
	v_pk_mul_f32 v[58:59], v[58:59], v[70:71] op_sel:[0,1]
	s_delay_alu instid0(VALU_DEP_1) | instskip(SKIP_1) | instid1(VALU_DEP_1)
	v_pk_fma_f32 v[70:71], v[60:61], v[68:69], v[58:59] neg_lo:[0,0,1] neg_hi:[0,0,1]
	v_pk_fma_f32 v[58:59], v[60:61], v[68:69], v[58:59] op_sel_hi:[1,0,1]
	v_mov_b32_e32 v71, v59
	s_delay_alu instid0(VALU_DEP_1)
	v_pk_add_f32 v[56:57], v[56:57], v[70:71] neg_lo:[0,1] neg_hi:[0,1]
.LBB50_461:
	s_or_b32 exec_lo, exec_lo, s0
	v_lshl_add_u32 v58, v66, 3, v62
	s_barrier_signal -1
	s_barrier_wait -1
	ds_store_b64 v58, v[36:37]
	s_wait_dscnt 0x0
	s_barrier_signal -1
	s_barrier_wait -1
	ds_load_b64 v[58:59], v62 offset:176
	v_mov_b32_e32 v60, 22
	s_cmp_lt_i32 s18, 24
	s_cbranch_scc1 .LBB50_464
; %bb.462:
	v_add3_u32 v61, v63, 0, 0xb8
	v_mov_b32_e32 v60, 22
	s_mov_b32 s0, 23
.LBB50_463:                             ; =>This Inner Loop Header: Depth=1
	ds_load_b64 v[68:69], v61
	s_wait_dscnt 0x1
	v_cmp_gt_f32_e32 vcc_lo, 0, v58
	v_cndmask_b32_e64 v70, v58, -v58, vcc_lo
	v_cmp_gt_f32_e32 vcc_lo, 0, v59
	v_cndmask_b32_e64 v72, v59, -v59, vcc_lo
	s_wait_dscnt 0x0
	v_cmp_gt_f32_e32 vcc_lo, 0, v68
	v_cndmask_b32_e64 v71, v68, -v68, vcc_lo
	v_cmp_gt_f32_e32 vcc_lo, 0, v69
	v_cndmask_b32_e64 v73, v69, -v69, vcc_lo
	s_delay_alu instid0(VALU_DEP_1) | instskip(NEXT) | instid1(VALU_DEP_1)
	v_pk_add_f32 v[70:71], v[70:71], v[72:73]
	v_cmp_lt_f32_e32 vcc_lo, v70, v71
	v_dual_cndmask_b32 v58, v58, v68 :: v_dual_add_nc_u32 v61, 8, v61
	v_cndmask_b32_e32 v59, v59, v69, vcc_lo
	v_cndmask_b32_e64 v60, v60, s0, vcc_lo
	s_add_co_i32 s0, s0, 1
	s_delay_alu instid0(SALU_CYCLE_1)
	s_cmp_lg_u32 s18, s0
	s_cbranch_scc1 .LBB50_463
.LBB50_464:
	s_wait_dscnt 0x0
	v_cmp_eq_f32_e32 vcc_lo, 0, v58
	v_cmp_eq_f32_e64 s0, 0, v59
	s_and_b32 s0, vcc_lo, s0
	s_delay_alu instid0(SALU_CYCLE_1) | instskip(NEXT) | instid1(SALU_CYCLE_1)
	s_and_saveexec_b32 s1, s0
	s_xor_b32 s0, exec_lo, s1
; %bb.465:
	v_cmp_ne_u32_e32 vcc_lo, 0, v65
	v_cndmask_b32_e32 v65, 23, v65, vcc_lo
; %bb.466:
	s_and_not1_saveexec_b32 s0, s0
	s_cbranch_execz .LBB50_472
; %bb.467:
	v_cmp_ngt_f32_e64 s1, |v58|, |v59|
	s_and_saveexec_b32 s12, s1
	s_delay_alu instid0(SALU_CYCLE_1)
	s_xor_b32 s1, exec_lo, s12
	s_cbranch_execz .LBB50_469
; %bb.468:
	v_div_scale_f32 v61, null, v59, v59, v58
	v_div_scale_f32 v69, vcc_lo, v58, v59, v58
	s_delay_alu instid0(VALU_DEP_2) | instskip(SKIP_1) | instid1(TRANS32_DEP_1)
	v_rcp_f32_e32 v67, v61
	v_nop
	v_fma_f32 v68, -v61, v67, 1.0
	s_delay_alu instid0(VALU_DEP_1) | instskip(NEXT) | instid1(VALU_DEP_1)
	v_fmac_f32_e32 v67, v68, v67
	v_mul_f32_e32 v68, v69, v67
	s_delay_alu instid0(VALU_DEP_1) | instskip(NEXT) | instid1(VALU_DEP_1)
	v_fma_f32 v70, -v61, v68, v69
	v_fmac_f32_e32 v68, v70, v67
	s_delay_alu instid0(VALU_DEP_1) | instskip(NEXT) | instid1(VALU_DEP_1)
	v_fma_f32 v61, -v61, v68, v69
	v_div_fmas_f32 v61, v61, v67, v68
	s_delay_alu instid0(VALU_DEP_1) | instskip(NEXT) | instid1(VALU_DEP_1)
	v_div_fixup_f32 v61, v61, v59, v58
	v_fmac_f32_e32 v59, v58, v61
	s_delay_alu instid0(VALU_DEP_1) | instskip(SKIP_1) | instid1(VALU_DEP_2)
	v_div_scale_f32 v58, null, v59, v59, 1.0
	v_div_scale_f32 v69, vcc_lo, 1.0, v59, 1.0
	v_rcp_f32_e32 v67, v58
	v_nop
	s_delay_alu instid0(TRANS32_DEP_1) | instskip(NEXT) | instid1(VALU_DEP_1)
	v_fma_f32 v68, -v58, v67, 1.0
	v_fmac_f32_e32 v67, v68, v67
	s_delay_alu instid0(VALU_DEP_1) | instskip(NEXT) | instid1(VALU_DEP_1)
	v_mul_f32_e32 v68, v69, v67
	v_fma_f32 v70, -v58, v68, v69
	s_delay_alu instid0(VALU_DEP_1) | instskip(NEXT) | instid1(VALU_DEP_1)
	v_fmac_f32_e32 v68, v70, v67
	v_fma_f32 v58, -v58, v68, v69
	s_delay_alu instid0(VALU_DEP_1) | instskip(NEXT) | instid1(VALU_DEP_1)
	v_div_fmas_f32 v58, v58, v67, v68
	v_div_fixup_f32 v59, v58, v59, 1.0
	s_delay_alu instid0(VALU_DEP_1)
	v_mul_f32_e32 v58, v61, v59
	v_xor_b32_e32 v59, 0x80000000, v59
.LBB50_469:
	s_and_not1_saveexec_b32 s1, s1
	s_cbranch_execz .LBB50_471
; %bb.470:
	s_delay_alu instid0(VALU_DEP_1) | instskip(SKIP_1) | instid1(VALU_DEP_2)
	v_div_scale_f32 v61, null, v58, v58, v59
	v_div_scale_f32 v69, vcc_lo, v59, v58, v59
	v_rcp_f32_e32 v67, v61
	v_nop
	s_delay_alu instid0(TRANS32_DEP_1) | instskip(NEXT) | instid1(VALU_DEP_1)
	v_fma_f32 v68, -v61, v67, 1.0
	v_fmac_f32_e32 v67, v68, v67
	s_delay_alu instid0(VALU_DEP_1) | instskip(NEXT) | instid1(VALU_DEP_1)
	v_mul_f32_e32 v68, v69, v67
	v_fma_f32 v70, -v61, v68, v69
	s_delay_alu instid0(VALU_DEP_1) | instskip(NEXT) | instid1(VALU_DEP_1)
	v_fmac_f32_e32 v68, v70, v67
	v_fma_f32 v61, -v61, v68, v69
	s_delay_alu instid0(VALU_DEP_1) | instskip(NEXT) | instid1(VALU_DEP_1)
	v_div_fmas_f32 v61, v61, v67, v68
	v_div_fixup_f32 v61, v61, v58, v59
	s_delay_alu instid0(VALU_DEP_1) | instskip(NEXT) | instid1(VALU_DEP_1)
	v_fmac_f32_e32 v58, v59, v61
	v_div_scale_f32 v59, null, v58, v58, 1.0
	s_delay_alu instid0(VALU_DEP_1) | instskip(SKIP_1) | instid1(TRANS32_DEP_1)
	v_rcp_f32_e32 v67, v59
	v_nop
	v_fma_f32 v68, -v59, v67, 1.0
	s_delay_alu instid0(VALU_DEP_1) | instskip(SKIP_1) | instid1(VALU_DEP_1)
	v_fmac_f32_e32 v67, v68, v67
	v_div_scale_f32 v68, vcc_lo, 1.0, v58, 1.0
	v_mul_f32_e32 v69, v68, v67
	s_delay_alu instid0(VALU_DEP_1) | instskip(NEXT) | instid1(VALU_DEP_1)
	v_fma_f32 v70, -v59, v69, v68
	v_fmac_f32_e32 v69, v70, v67
	s_delay_alu instid0(VALU_DEP_1) | instskip(NEXT) | instid1(VALU_DEP_1)
	v_fma_f32 v59, -v59, v69, v68
	v_div_fmas_f32 v59, v59, v67, v69
	s_delay_alu instid0(VALU_DEP_1) | instskip(NEXT) | instid1(VALU_DEP_1)
	v_div_fixup_f32 v58, v59, v58, 1.0
	v_mul_f32_e64 v59, v61, -v58
.LBB50_471:
	s_or_b32 exec_lo, exec_lo, s1
.LBB50_472:
	s_delay_alu instid0(SALU_CYCLE_1) | instskip(NEXT) | instid1(SALU_CYCLE_1)
	s_or_b32 exec_lo, exec_lo, s0
	s_mov_b32 s0, exec_lo
	v_cmpx_ne_u32_e64 v66, v60
	s_xor_b32 s0, exec_lo, s0
	s_cbranch_execz .LBB50_478
; %bb.473:
	s_mov_b32 s1, exec_lo
	v_cmpx_eq_u32_e32 22, v66
	s_cbranch_execz .LBB50_477
; %bb.474:
	v_cmp_ne_u32_e32 vcc_lo, 22, v60
	s_xor_b32 s12, s16, -1
	s_delay_alu instid0(SALU_CYCLE_1) | instskip(NEXT) | instid1(SALU_CYCLE_1)
	s_and_b32 s13, s12, vcc_lo
	s_and_saveexec_b32 s12, s13
	s_cbranch_execz .LBB50_476
; %bb.475:
	v_ashrrev_i32_e32 v61, 31, v60
	s_delay_alu instid0(VALU_DEP_1)
	v_lshl_add_u64 v[66:67], v[60:61], 2, v[4:5]
	s_clause 0x1
	global_load_b32 v61, v[66:67], off
	global_load_b32 v64, v[4:5], off offset:88
	s_wait_loadcnt 0x1
	global_store_b32 v[4:5], v61, off offset:88
	s_wait_loadcnt 0x0
	global_store_b32 v[66:67], v64, off
.LBB50_476:
	s_wait_xcnt 0x0
	s_or_b32 exec_lo, exec_lo, s12
	v_dual_mov_b32 v66, v60 :: v_dual_mov_b32 v64, v60
.LBB50_477:
	s_or_b32 exec_lo, exec_lo, s1
.LBB50_478:
	s_and_not1_saveexec_b32 s0, s0
	s_cbranch_execz .LBB50_480
; %bb.479:
	v_mov_b32_e32 v66, 22
	ds_store_2addr_b64 v62, v[34:35], v[32:33] offset0:23 offset1:24
	ds_store_b64 v62, v[56:57] offset:200
.LBB50_480:
	s_or_b32 exec_lo, exec_lo, s0
	s_delay_alu instid0(SALU_CYCLE_1)
	s_mov_b32 s0, exec_lo
	s_wait_storecnt_dscnt 0x0
	s_barrier_signal -1
	s_barrier_wait -1
	v_cmpx_lt_i32_e32 22, v66
	s_cbranch_execz .LBB50_482
; %bb.481:
	ds_load_2addr_b64 v[68:71], v62 offset0:23 offset1:24
	ds_load_b64 v[60:61], v62 offset:200
	v_pk_mul_f32 v[72:73], v[58:59], v[36:37] op_sel:[1,1] op_sel_hi:[0,1]
	s_delay_alu instid0(VALU_DEP_1) | instskip(SKIP_2) | instid1(VALU_DEP_2)
	v_pk_fma_f32 v[74:75], v[58:59], v[36:37], v[72:73] op_sel_hi:[1,0,1]
	v_pk_fma_f32 v[36:37], v[58:59], v[36:37], v[72:73] op_sel_hi:[1,0,1] neg_lo:[0,0,1] neg_hi:[0,0,1]
	s_wait_dscnt 0x1
	v_pk_mul_f32 v[58:59], v[68:69], v[74:75] op_sel:[0,1]
	v_pk_mul_f32 v[72:73], v[70:71], v[74:75] op_sel:[0,1]
	s_wait_dscnt 0x0
	v_pk_mul_f32 v[76:77], v[60:61], v[74:75] op_sel:[1,1] op_sel_hi:[0,1]
	s_delay_alu instid0(VALU_DEP_3) | instskip(SKIP_2) | instid1(VALU_DEP_4)
	v_pk_fma_f32 v[78:79], v[68:69], v[36:37], v[58:59] op_sel:[0,0,1] op_sel_hi:[1,1,0] neg_lo:[0,0,1] neg_hi:[0,0,1]
	v_pk_fma_f32 v[58:59], v[68:69], v[36:37], v[58:59] op_sel:[0,0,1] op_sel_hi:[1,0,0]
	v_pk_fma_f32 v[68:69], v[70:71], v[36:37], v[72:73] op_sel:[0,0,1] op_sel_hi:[1,0,0]
	v_pk_fma_f32 v[80:81], v[60:61], v[36:37], v[76:77] op_sel_hi:[1,0,1]
	v_pk_fma_f32 v[70:71], v[70:71], v[36:37], v[72:73] op_sel:[0,0,1] op_sel_hi:[1,1,0] neg_lo:[0,0,1] neg_hi:[0,0,1]
	v_pk_fma_f32 v[60:61], v[60:61], v[36:37], v[76:77] neg_lo:[0,0,1] neg_hi:[0,0,1]
	s_delay_alu instid0(VALU_DEP_4) | instskip(NEXT) | instid1(VALU_DEP_4)
	v_dual_mov_b32 v79, v59 :: v_dual_mov_b32 v71, v69
	v_dual_mov_b32 v61, v81 :: v_dual_mov_b32 v37, v75
	s_delay_alu instid0(VALU_DEP_2) | instskip(NEXT) | instid1(VALU_DEP_3)
	v_pk_add_f32 v[34:35], v[34:35], v[78:79] neg_lo:[0,1] neg_hi:[0,1]
	v_pk_add_f32 v[32:33], v[32:33], v[70:71] neg_lo:[0,1] neg_hi:[0,1]
	s_delay_alu instid0(VALU_DEP_3)
	v_pk_add_f32 v[56:57], v[56:57], v[60:61] neg_lo:[0,1] neg_hi:[0,1]
.LBB50_482:
	s_or_b32 exec_lo, exec_lo, s0
	v_lshl_add_u32 v58, v66, 3, v62
	s_barrier_signal -1
	s_barrier_wait -1
	ds_store_b64 v58, v[34:35]
	s_wait_dscnt 0x0
	s_barrier_signal -1
	s_barrier_wait -1
	ds_load_b64 v[58:59], v62 offset:184
	v_mov_b32_e32 v60, 23
	s_cmp_lt_i32 s18, 25
	s_cbranch_scc1 .LBB50_485
; %bb.483:
	v_add3_u32 v61, v63, 0, 0xc0
	v_mov_b32_e32 v60, 23
	s_mov_b32 s0, 24
.LBB50_484:                             ; =>This Inner Loop Header: Depth=1
	ds_load_b64 v[68:69], v61
	s_wait_dscnt 0x1
	v_cmp_gt_f32_e32 vcc_lo, 0, v58
	v_cndmask_b32_e64 v70, v58, -v58, vcc_lo
	v_cmp_gt_f32_e32 vcc_lo, 0, v59
	v_cndmask_b32_e64 v72, v59, -v59, vcc_lo
	s_wait_dscnt 0x0
	v_cmp_gt_f32_e32 vcc_lo, 0, v68
	v_cndmask_b32_e64 v71, v68, -v68, vcc_lo
	v_cmp_gt_f32_e32 vcc_lo, 0, v69
	v_cndmask_b32_e64 v73, v69, -v69, vcc_lo
	s_delay_alu instid0(VALU_DEP_1) | instskip(NEXT) | instid1(VALU_DEP_1)
	v_pk_add_f32 v[70:71], v[70:71], v[72:73]
	v_cmp_lt_f32_e32 vcc_lo, v70, v71
	v_dual_cndmask_b32 v58, v58, v68 :: v_dual_add_nc_u32 v61, 8, v61
	v_cndmask_b32_e32 v59, v59, v69, vcc_lo
	v_cndmask_b32_e64 v60, v60, s0, vcc_lo
	s_add_co_i32 s0, s0, 1
	s_delay_alu instid0(SALU_CYCLE_1)
	s_cmp_lg_u32 s18, s0
	s_cbranch_scc1 .LBB50_484
.LBB50_485:
	s_wait_dscnt 0x0
	v_cmp_eq_f32_e32 vcc_lo, 0, v58
	v_cmp_eq_f32_e64 s0, 0, v59
	s_and_b32 s0, vcc_lo, s0
	s_delay_alu instid0(SALU_CYCLE_1) | instskip(NEXT) | instid1(SALU_CYCLE_1)
	s_and_saveexec_b32 s1, s0
	s_xor_b32 s0, exec_lo, s1
; %bb.486:
	v_cmp_ne_u32_e32 vcc_lo, 0, v65
	v_cndmask_b32_e32 v65, 24, v65, vcc_lo
; %bb.487:
	s_and_not1_saveexec_b32 s0, s0
	s_cbranch_execz .LBB50_493
; %bb.488:
	v_cmp_ngt_f32_e64 s1, |v58|, |v59|
	s_and_saveexec_b32 s12, s1
	s_delay_alu instid0(SALU_CYCLE_1)
	s_xor_b32 s1, exec_lo, s12
	s_cbranch_execz .LBB50_490
; %bb.489:
	v_div_scale_f32 v61, null, v59, v59, v58
	v_div_scale_f32 v69, vcc_lo, v58, v59, v58
	s_delay_alu instid0(VALU_DEP_2) | instskip(SKIP_1) | instid1(TRANS32_DEP_1)
	v_rcp_f32_e32 v67, v61
	v_nop
	v_fma_f32 v68, -v61, v67, 1.0
	s_delay_alu instid0(VALU_DEP_1) | instskip(NEXT) | instid1(VALU_DEP_1)
	v_fmac_f32_e32 v67, v68, v67
	v_mul_f32_e32 v68, v69, v67
	s_delay_alu instid0(VALU_DEP_1) | instskip(NEXT) | instid1(VALU_DEP_1)
	v_fma_f32 v70, -v61, v68, v69
	v_fmac_f32_e32 v68, v70, v67
	s_delay_alu instid0(VALU_DEP_1) | instskip(NEXT) | instid1(VALU_DEP_1)
	v_fma_f32 v61, -v61, v68, v69
	v_div_fmas_f32 v61, v61, v67, v68
	s_delay_alu instid0(VALU_DEP_1) | instskip(NEXT) | instid1(VALU_DEP_1)
	v_div_fixup_f32 v61, v61, v59, v58
	v_fmac_f32_e32 v59, v58, v61
	s_delay_alu instid0(VALU_DEP_1) | instskip(SKIP_1) | instid1(VALU_DEP_2)
	v_div_scale_f32 v58, null, v59, v59, 1.0
	v_div_scale_f32 v69, vcc_lo, 1.0, v59, 1.0
	v_rcp_f32_e32 v67, v58
	v_nop
	s_delay_alu instid0(TRANS32_DEP_1) | instskip(NEXT) | instid1(VALU_DEP_1)
	v_fma_f32 v68, -v58, v67, 1.0
	v_fmac_f32_e32 v67, v68, v67
	s_delay_alu instid0(VALU_DEP_1) | instskip(NEXT) | instid1(VALU_DEP_1)
	v_mul_f32_e32 v68, v69, v67
	v_fma_f32 v70, -v58, v68, v69
	s_delay_alu instid0(VALU_DEP_1) | instskip(NEXT) | instid1(VALU_DEP_1)
	v_fmac_f32_e32 v68, v70, v67
	v_fma_f32 v58, -v58, v68, v69
	s_delay_alu instid0(VALU_DEP_1) | instskip(NEXT) | instid1(VALU_DEP_1)
	v_div_fmas_f32 v58, v58, v67, v68
	v_div_fixup_f32 v59, v58, v59, 1.0
	s_delay_alu instid0(VALU_DEP_1)
	v_mul_f32_e32 v58, v61, v59
	v_xor_b32_e32 v59, 0x80000000, v59
.LBB50_490:
	s_and_not1_saveexec_b32 s1, s1
	s_cbranch_execz .LBB50_492
; %bb.491:
	s_delay_alu instid0(VALU_DEP_1) | instskip(SKIP_1) | instid1(VALU_DEP_2)
	v_div_scale_f32 v61, null, v58, v58, v59
	v_div_scale_f32 v69, vcc_lo, v59, v58, v59
	v_rcp_f32_e32 v67, v61
	v_nop
	s_delay_alu instid0(TRANS32_DEP_1) | instskip(NEXT) | instid1(VALU_DEP_1)
	v_fma_f32 v68, -v61, v67, 1.0
	v_fmac_f32_e32 v67, v68, v67
	s_delay_alu instid0(VALU_DEP_1) | instskip(NEXT) | instid1(VALU_DEP_1)
	v_mul_f32_e32 v68, v69, v67
	v_fma_f32 v70, -v61, v68, v69
	s_delay_alu instid0(VALU_DEP_1) | instskip(NEXT) | instid1(VALU_DEP_1)
	v_fmac_f32_e32 v68, v70, v67
	v_fma_f32 v61, -v61, v68, v69
	s_delay_alu instid0(VALU_DEP_1) | instskip(NEXT) | instid1(VALU_DEP_1)
	v_div_fmas_f32 v61, v61, v67, v68
	v_div_fixup_f32 v61, v61, v58, v59
	s_delay_alu instid0(VALU_DEP_1) | instskip(NEXT) | instid1(VALU_DEP_1)
	v_fmac_f32_e32 v58, v59, v61
	v_div_scale_f32 v59, null, v58, v58, 1.0
	s_delay_alu instid0(VALU_DEP_1) | instskip(SKIP_1) | instid1(TRANS32_DEP_1)
	v_rcp_f32_e32 v67, v59
	v_nop
	v_fma_f32 v68, -v59, v67, 1.0
	s_delay_alu instid0(VALU_DEP_1) | instskip(SKIP_1) | instid1(VALU_DEP_1)
	v_fmac_f32_e32 v67, v68, v67
	v_div_scale_f32 v68, vcc_lo, 1.0, v58, 1.0
	v_mul_f32_e32 v69, v68, v67
	s_delay_alu instid0(VALU_DEP_1) | instskip(NEXT) | instid1(VALU_DEP_1)
	v_fma_f32 v70, -v59, v69, v68
	v_fmac_f32_e32 v69, v70, v67
	s_delay_alu instid0(VALU_DEP_1) | instskip(NEXT) | instid1(VALU_DEP_1)
	v_fma_f32 v59, -v59, v69, v68
	v_div_fmas_f32 v59, v59, v67, v69
	s_delay_alu instid0(VALU_DEP_1) | instskip(NEXT) | instid1(VALU_DEP_1)
	v_div_fixup_f32 v58, v59, v58, 1.0
	v_mul_f32_e64 v59, v61, -v58
.LBB50_492:
	s_or_b32 exec_lo, exec_lo, s1
.LBB50_493:
	s_delay_alu instid0(SALU_CYCLE_1) | instskip(NEXT) | instid1(SALU_CYCLE_1)
	s_or_b32 exec_lo, exec_lo, s0
	s_mov_b32 s0, exec_lo
	v_cmpx_ne_u32_e64 v66, v60
	s_xor_b32 s0, exec_lo, s0
	s_cbranch_execz .LBB50_499
; %bb.494:
	s_mov_b32 s1, exec_lo
	v_cmpx_eq_u32_e32 23, v66
	s_cbranch_execz .LBB50_498
; %bb.495:
	v_cmp_ne_u32_e32 vcc_lo, 23, v60
	s_xor_b32 s12, s16, -1
	s_delay_alu instid0(SALU_CYCLE_1) | instskip(NEXT) | instid1(SALU_CYCLE_1)
	s_and_b32 s13, s12, vcc_lo
	s_and_saveexec_b32 s12, s13
	s_cbranch_execz .LBB50_497
; %bb.496:
	v_ashrrev_i32_e32 v61, 31, v60
	s_delay_alu instid0(VALU_DEP_1)
	v_lshl_add_u64 v[66:67], v[60:61], 2, v[4:5]
	s_clause 0x1
	global_load_b32 v61, v[66:67], off
	global_load_b32 v64, v[4:5], off offset:92
	s_wait_loadcnt 0x1
	global_store_b32 v[4:5], v61, off offset:92
	s_wait_loadcnt 0x0
	global_store_b32 v[66:67], v64, off
.LBB50_497:
	s_wait_xcnt 0x0
	s_or_b32 exec_lo, exec_lo, s12
	v_dual_mov_b32 v66, v60 :: v_dual_mov_b32 v64, v60
.LBB50_498:
	s_or_b32 exec_lo, exec_lo, s1
.LBB50_499:
	s_and_not1_saveexec_b32 s0, s0
; %bb.500:
	v_dual_mov_b32 v60, v32 :: v_dual_mov_b32 v61, v33
	v_mov_b32_e32 v66, 23
	ds_store_2addr_b64 v62, v[60:61], v[56:57] offset0:24 offset1:25
; %bb.501:
	s_or_b32 exec_lo, exec_lo, s0
	s_delay_alu instid0(SALU_CYCLE_1)
	s_mov_b32 s0, exec_lo
	s_wait_storecnt_dscnt 0x0
	s_barrier_signal -1
	s_barrier_wait -1
	v_cmpx_lt_i32_e32 23, v66
	s_cbranch_execz .LBB50_503
; %bb.502:
	ds_load_2addr_b64 v[68:71], v62 offset0:24 offset1:25
	v_pk_mul_f32 v[60:61], v[58:59], v[34:35] op_sel:[1,1] op_sel_hi:[0,1]
	s_delay_alu instid0(VALU_DEP_1) | instskip(SKIP_3) | instid1(VALU_DEP_3)
	v_pk_fma_f32 v[72:73], v[58:59], v[34:35], v[60:61] op_sel_hi:[1,0,1]
	v_pk_fma_f32 v[34:35], v[58:59], v[34:35], v[60:61] op_sel_hi:[1,0,1] neg_lo:[0,0,1] neg_hi:[0,0,1]
	s_wait_dscnt 0x0
	v_dual_mov_b32 v74, v71 :: v_dual_mov_b32 v75, v70
	v_pk_mul_f32 v[58:59], v[68:69], v[72:73] op_sel:[0,1]
	s_delay_alu instid0(VALU_DEP_2) | instskip(NEXT) | instid1(VALU_DEP_2)
	v_pk_mul_f32 v[60:61], v[74:75], v[72:73] op_sel:[0,1]
	v_pk_fma_f32 v[74:75], v[68:69], v[34:35], v[58:59] op_sel:[0,0,1] op_sel_hi:[1,0,0]
	v_pk_fma_f32 v[58:59], v[68:69], v[34:35], v[58:59] op_sel:[0,0,1] op_sel_hi:[1,1,0] neg_lo:[0,0,1] neg_hi:[0,0,1]
	s_delay_alu instid0(VALU_DEP_3) | instskip(SKIP_1) | instid1(VALU_DEP_4)
	v_pk_fma_f32 v[76:77], v[70:71], v[34:35], v[60:61] op_sel_hi:[1,0,1]
	v_pk_fma_f32 v[60:61], v[70:71], v[34:35], v[60:61] neg_lo:[0,0,1] neg_hi:[0,0,1]
	v_dual_mov_b32 v59, v75 :: v_dual_mov_b32 v35, v73
	s_delay_alu instid0(VALU_DEP_3) | instskip(NEXT) | instid1(VALU_DEP_2)
	v_mov_b32_e32 v61, v77
	v_pk_add_f32 v[32:33], v[32:33], v[58:59] neg_lo:[0,1] neg_hi:[0,1]
	s_delay_alu instid0(VALU_DEP_2)
	v_pk_add_f32 v[56:57], v[56:57], v[60:61] neg_lo:[0,1] neg_hi:[0,1]
.LBB50_503:
	s_or_b32 exec_lo, exec_lo, s0
	v_lshl_add_u32 v58, v66, 3, v62
	s_barrier_signal -1
	s_barrier_wait -1
	ds_store_b64 v58, v[32:33]
	s_wait_dscnt 0x0
	s_barrier_signal -1
	s_barrier_wait -1
	ds_load_b64 v[58:59], v62 offset:192
	v_mov_b32_e32 v60, 24
	s_cmp_lt_i32 s18, 26
	s_cbranch_scc1 .LBB50_506
; %bb.504:
	v_add3_u32 v61, v63, 0, 0xc8
	v_mov_b32_e32 v60, 24
	s_mov_b32 s0, 25
.LBB50_505:                             ; =>This Inner Loop Header: Depth=1
	ds_load_b64 v[68:69], v61
	s_wait_dscnt 0x1
	v_cmp_gt_f32_e32 vcc_lo, 0, v58
	v_cndmask_b32_e64 v70, v58, -v58, vcc_lo
	v_cmp_gt_f32_e32 vcc_lo, 0, v59
	v_cndmask_b32_e64 v72, v59, -v59, vcc_lo
	s_wait_dscnt 0x0
	v_cmp_gt_f32_e32 vcc_lo, 0, v68
	v_cndmask_b32_e64 v71, v68, -v68, vcc_lo
	v_cmp_gt_f32_e32 vcc_lo, 0, v69
	v_cndmask_b32_e64 v73, v69, -v69, vcc_lo
	s_delay_alu instid0(VALU_DEP_1) | instskip(NEXT) | instid1(VALU_DEP_1)
	v_pk_add_f32 v[70:71], v[70:71], v[72:73]
	v_cmp_lt_f32_e32 vcc_lo, v70, v71
	v_dual_cndmask_b32 v58, v58, v68 :: v_dual_add_nc_u32 v61, 8, v61
	v_cndmask_b32_e32 v59, v59, v69, vcc_lo
	v_cndmask_b32_e64 v60, v60, s0, vcc_lo
	s_add_co_i32 s0, s0, 1
	s_delay_alu instid0(SALU_CYCLE_1)
	s_cmp_lg_u32 s18, s0
	s_cbranch_scc1 .LBB50_505
.LBB50_506:
	s_wait_dscnt 0x0
	v_cmp_eq_f32_e32 vcc_lo, 0, v58
	v_cmp_eq_f32_e64 s0, 0, v59
	s_and_b32 s0, vcc_lo, s0
	s_delay_alu instid0(SALU_CYCLE_1) | instskip(NEXT) | instid1(SALU_CYCLE_1)
	s_and_saveexec_b32 s1, s0
	s_xor_b32 s0, exec_lo, s1
; %bb.507:
	v_cmp_ne_u32_e32 vcc_lo, 0, v65
	v_cndmask_b32_e32 v65, 25, v65, vcc_lo
; %bb.508:
	s_and_not1_saveexec_b32 s0, s0
	s_cbranch_execz .LBB50_514
; %bb.509:
	v_cmp_ngt_f32_e64 s1, |v58|, |v59|
	s_and_saveexec_b32 s12, s1
	s_delay_alu instid0(SALU_CYCLE_1)
	s_xor_b32 s1, exec_lo, s12
	s_cbranch_execz .LBB50_511
; %bb.510:
	v_div_scale_f32 v61, null, v59, v59, v58
	v_div_scale_f32 v69, vcc_lo, v58, v59, v58
	s_delay_alu instid0(VALU_DEP_2) | instskip(SKIP_1) | instid1(TRANS32_DEP_1)
	v_rcp_f32_e32 v67, v61
	v_nop
	v_fma_f32 v68, -v61, v67, 1.0
	s_delay_alu instid0(VALU_DEP_1) | instskip(NEXT) | instid1(VALU_DEP_1)
	v_fmac_f32_e32 v67, v68, v67
	v_mul_f32_e32 v68, v69, v67
	s_delay_alu instid0(VALU_DEP_1) | instskip(NEXT) | instid1(VALU_DEP_1)
	v_fma_f32 v70, -v61, v68, v69
	v_fmac_f32_e32 v68, v70, v67
	s_delay_alu instid0(VALU_DEP_1) | instskip(NEXT) | instid1(VALU_DEP_1)
	v_fma_f32 v61, -v61, v68, v69
	v_div_fmas_f32 v61, v61, v67, v68
	s_delay_alu instid0(VALU_DEP_1) | instskip(NEXT) | instid1(VALU_DEP_1)
	v_div_fixup_f32 v61, v61, v59, v58
	v_fmac_f32_e32 v59, v58, v61
	s_delay_alu instid0(VALU_DEP_1) | instskip(SKIP_1) | instid1(VALU_DEP_2)
	v_div_scale_f32 v58, null, v59, v59, 1.0
	v_div_scale_f32 v69, vcc_lo, 1.0, v59, 1.0
	v_rcp_f32_e32 v67, v58
	v_nop
	s_delay_alu instid0(TRANS32_DEP_1) | instskip(NEXT) | instid1(VALU_DEP_1)
	v_fma_f32 v68, -v58, v67, 1.0
	v_fmac_f32_e32 v67, v68, v67
	s_delay_alu instid0(VALU_DEP_1) | instskip(NEXT) | instid1(VALU_DEP_1)
	v_mul_f32_e32 v68, v69, v67
	v_fma_f32 v70, -v58, v68, v69
	s_delay_alu instid0(VALU_DEP_1) | instskip(NEXT) | instid1(VALU_DEP_1)
	v_fmac_f32_e32 v68, v70, v67
	v_fma_f32 v58, -v58, v68, v69
	s_delay_alu instid0(VALU_DEP_1) | instskip(NEXT) | instid1(VALU_DEP_1)
	v_div_fmas_f32 v58, v58, v67, v68
	v_div_fixup_f32 v59, v58, v59, 1.0
	s_delay_alu instid0(VALU_DEP_1)
	v_mul_f32_e32 v58, v61, v59
	v_xor_b32_e32 v59, 0x80000000, v59
.LBB50_511:
	s_and_not1_saveexec_b32 s1, s1
	s_cbranch_execz .LBB50_513
; %bb.512:
	s_delay_alu instid0(VALU_DEP_1) | instskip(SKIP_1) | instid1(VALU_DEP_2)
	v_div_scale_f32 v61, null, v58, v58, v59
	v_div_scale_f32 v69, vcc_lo, v59, v58, v59
	v_rcp_f32_e32 v67, v61
	v_nop
	s_delay_alu instid0(TRANS32_DEP_1) | instskip(NEXT) | instid1(VALU_DEP_1)
	v_fma_f32 v68, -v61, v67, 1.0
	v_fmac_f32_e32 v67, v68, v67
	s_delay_alu instid0(VALU_DEP_1) | instskip(NEXT) | instid1(VALU_DEP_1)
	v_mul_f32_e32 v68, v69, v67
	v_fma_f32 v70, -v61, v68, v69
	s_delay_alu instid0(VALU_DEP_1) | instskip(NEXT) | instid1(VALU_DEP_1)
	v_fmac_f32_e32 v68, v70, v67
	v_fma_f32 v61, -v61, v68, v69
	s_delay_alu instid0(VALU_DEP_1) | instskip(NEXT) | instid1(VALU_DEP_1)
	v_div_fmas_f32 v61, v61, v67, v68
	v_div_fixup_f32 v61, v61, v58, v59
	s_delay_alu instid0(VALU_DEP_1) | instskip(NEXT) | instid1(VALU_DEP_1)
	v_fmac_f32_e32 v58, v59, v61
	v_div_scale_f32 v59, null, v58, v58, 1.0
	s_delay_alu instid0(VALU_DEP_1) | instskip(SKIP_1) | instid1(TRANS32_DEP_1)
	v_rcp_f32_e32 v67, v59
	v_nop
	v_fma_f32 v68, -v59, v67, 1.0
	s_delay_alu instid0(VALU_DEP_1) | instskip(SKIP_1) | instid1(VALU_DEP_1)
	v_fmac_f32_e32 v67, v68, v67
	v_div_scale_f32 v68, vcc_lo, 1.0, v58, 1.0
	v_mul_f32_e32 v69, v68, v67
	s_delay_alu instid0(VALU_DEP_1) | instskip(NEXT) | instid1(VALU_DEP_1)
	v_fma_f32 v70, -v59, v69, v68
	v_fmac_f32_e32 v69, v70, v67
	s_delay_alu instid0(VALU_DEP_1) | instskip(NEXT) | instid1(VALU_DEP_1)
	v_fma_f32 v59, -v59, v69, v68
	v_div_fmas_f32 v59, v59, v67, v69
	s_delay_alu instid0(VALU_DEP_1) | instskip(NEXT) | instid1(VALU_DEP_1)
	v_div_fixup_f32 v58, v59, v58, 1.0
	v_mul_f32_e64 v59, v61, -v58
.LBB50_513:
	s_or_b32 exec_lo, exec_lo, s1
.LBB50_514:
	s_delay_alu instid0(SALU_CYCLE_1) | instskip(NEXT) | instid1(SALU_CYCLE_1)
	s_or_b32 exec_lo, exec_lo, s0
	s_mov_b32 s0, exec_lo
	v_cmpx_ne_u32_e64 v66, v60
	s_xor_b32 s0, exec_lo, s0
	s_cbranch_execz .LBB50_520
; %bb.515:
	s_mov_b32 s1, exec_lo
	v_cmpx_eq_u32_e32 24, v66
	s_cbranch_execz .LBB50_519
; %bb.516:
	v_cmp_ne_u32_e32 vcc_lo, 24, v60
	s_xor_b32 s12, s16, -1
	s_delay_alu instid0(SALU_CYCLE_1) | instskip(NEXT) | instid1(SALU_CYCLE_1)
	s_and_b32 s13, s12, vcc_lo
	s_and_saveexec_b32 s12, s13
	s_cbranch_execz .LBB50_518
; %bb.517:
	v_ashrrev_i32_e32 v61, 31, v60
	s_delay_alu instid0(VALU_DEP_1)
	v_lshl_add_u64 v[66:67], v[60:61], 2, v[4:5]
	s_clause 0x1
	global_load_b32 v61, v[66:67], off
	global_load_b32 v64, v[4:5], off offset:96
	s_wait_loadcnt 0x1
	global_store_b32 v[4:5], v61, off offset:96
	s_wait_loadcnt 0x0
	global_store_b32 v[66:67], v64, off
.LBB50_518:
	s_wait_xcnt 0x0
	s_or_b32 exec_lo, exec_lo, s12
	v_dual_mov_b32 v66, v60 :: v_dual_mov_b32 v64, v60
.LBB50_519:
	s_or_b32 exec_lo, exec_lo, s1
.LBB50_520:
	s_and_not1_saveexec_b32 s0, s0
; %bb.521:
	v_mov_b32_e32 v66, 24
	ds_store_b64 v62, v[56:57] offset:200
; %bb.522:
	s_or_b32 exec_lo, exec_lo, s0
	s_delay_alu instid0(SALU_CYCLE_1)
	s_mov_b32 s0, exec_lo
	s_wait_storecnt_dscnt 0x0
	s_barrier_signal -1
	s_barrier_wait -1
	v_cmpx_lt_i32_e32 24, v66
	s_cbranch_execz .LBB50_524
; %bb.523:
	ds_load_b64 v[60:61], v62 offset:200
	v_pk_mul_f32 v[68:69], v[58:59], v[32:33] op_sel:[1,1] op_sel_hi:[0,1]
	s_delay_alu instid0(VALU_DEP_1) | instskip(SKIP_2) | instid1(VALU_DEP_2)
	v_pk_fma_f32 v[70:71], v[58:59], v[32:33], v[68:69] op_sel_hi:[1,0,1]
	v_pk_fma_f32 v[32:33], v[58:59], v[32:33], v[68:69] op_sel_hi:[1,0,1] neg_lo:[0,0,1] neg_hi:[0,0,1]
	s_wait_dscnt 0x0
	v_pk_mul_f32 v[58:59], v[60:61], v[70:71] op_sel:[1,1] op_sel_hi:[0,1]
	s_delay_alu instid0(VALU_DEP_1) | instskip(SKIP_1) | instid1(VALU_DEP_2)
	v_pk_fma_f32 v[68:69], v[60:61], v[32:33], v[58:59] op_sel_hi:[1,0,1]
	v_pk_fma_f32 v[58:59], v[60:61], v[32:33], v[58:59] neg_lo:[0,0,1] neg_hi:[0,0,1]
	v_dual_mov_b32 v33, v71 :: v_dual_mov_b32 v59, v69
	s_delay_alu instid0(VALU_DEP_1)
	v_pk_add_f32 v[56:57], v[56:57], v[58:59] neg_lo:[0,1] neg_hi:[0,1]
.LBB50_524:
	s_or_b32 exec_lo, exec_lo, s0
	v_lshl_add_u32 v58, v66, 3, v62
	s_barrier_signal -1
	s_barrier_wait -1
	ds_store_b64 v58, v[56:57]
	s_wait_dscnt 0x0
	s_barrier_signal -1
	s_barrier_wait -1
	ds_load_b64 v[58:59], v62 offset:200
	v_mov_b32_e32 v60, 25
	s_cmp_lt_i32 s18, 27
	s_cbranch_scc1 .LBB50_527
; %bb.525:
	v_add3_u32 v61, v63, 0, 0xd0
	v_mov_b32_e32 v60, 25
	s_mov_b32 s0, 26
.LBB50_526:                             ; =>This Inner Loop Header: Depth=1
	ds_load_b64 v[62:63], v61
	s_wait_dscnt 0x1
	v_cmp_gt_f32_e32 vcc_lo, 0, v58
	v_cndmask_b32_e64 v68, v58, -v58, vcc_lo
	v_cmp_gt_f32_e32 vcc_lo, 0, v59
	v_cndmask_b32_e64 v70, v59, -v59, vcc_lo
	s_wait_dscnt 0x0
	v_cmp_gt_f32_e32 vcc_lo, 0, v62
	v_cndmask_b32_e64 v69, v62, -v62, vcc_lo
	v_cmp_gt_f32_e32 vcc_lo, 0, v63
	v_cndmask_b32_e64 v71, v63, -v63, vcc_lo
	s_delay_alu instid0(VALU_DEP_1) | instskip(NEXT) | instid1(VALU_DEP_1)
	v_pk_add_f32 v[68:69], v[68:69], v[70:71]
	v_cmp_lt_f32_e32 vcc_lo, v68, v69
	v_dual_add_nc_u32 v61, 8, v61 :: v_dual_cndmask_b32 v59, v59, v63, vcc_lo
	v_cndmask_b32_e32 v58, v58, v62, vcc_lo
	v_cndmask_b32_e64 v60, v60, s0, vcc_lo
	s_add_co_i32 s0, s0, 1
	s_delay_alu instid0(SALU_CYCLE_1)
	s_cmp_lg_u32 s18, s0
	s_cbranch_scc1 .LBB50_526
.LBB50_527:
	s_wait_dscnt 0x0
	v_cmp_eq_f32_e32 vcc_lo, 0, v58
	v_cmp_eq_f32_e64 s0, 0, v59
	s_and_b32 s0, vcc_lo, s0
	s_delay_alu instid0(SALU_CYCLE_1) | instskip(NEXT) | instid1(SALU_CYCLE_1)
	s_and_saveexec_b32 s1, s0
	s_xor_b32 s0, exec_lo, s1
; %bb.528:
	v_cmp_ne_u32_e32 vcc_lo, 0, v65
	v_cndmask_b32_e32 v65, 26, v65, vcc_lo
; %bb.529:
	s_and_not1_saveexec_b32 s0, s0
	s_cbranch_execz .LBB50_535
; %bb.530:
	v_cmp_ngt_f32_e64 s1, |v58|, |v59|
	s_and_saveexec_b32 s12, s1
	s_delay_alu instid0(SALU_CYCLE_1)
	s_xor_b32 s1, exec_lo, s12
	s_cbranch_execz .LBB50_532
; %bb.531:
	v_div_scale_f32 v61, null, v59, v59, v58
	v_div_scale_f32 v67, vcc_lo, v58, v59, v58
	s_delay_alu instid0(VALU_DEP_2) | instskip(SKIP_1) | instid1(TRANS32_DEP_1)
	v_rcp_f32_e32 v62, v61
	v_nop
	v_fma_f32 v63, -v61, v62, 1.0
	s_delay_alu instid0(VALU_DEP_1) | instskip(NEXT) | instid1(VALU_DEP_1)
	v_fmac_f32_e32 v62, v63, v62
	v_mul_f32_e32 v63, v67, v62
	s_delay_alu instid0(VALU_DEP_1) | instskip(NEXT) | instid1(VALU_DEP_1)
	v_fma_f32 v68, -v61, v63, v67
	v_fmac_f32_e32 v63, v68, v62
	s_delay_alu instid0(VALU_DEP_1) | instskip(NEXT) | instid1(VALU_DEP_1)
	v_fma_f32 v61, -v61, v63, v67
	v_div_fmas_f32 v61, v61, v62, v63
	s_delay_alu instid0(VALU_DEP_1) | instskip(NEXT) | instid1(VALU_DEP_1)
	v_div_fixup_f32 v61, v61, v59, v58
	v_fmac_f32_e32 v59, v58, v61
	s_delay_alu instid0(VALU_DEP_1) | instskip(SKIP_1) | instid1(VALU_DEP_2)
	v_div_scale_f32 v58, null, v59, v59, 1.0
	v_div_scale_f32 v67, vcc_lo, 1.0, v59, 1.0
	v_rcp_f32_e32 v62, v58
	v_nop
	s_delay_alu instid0(TRANS32_DEP_1) | instskip(NEXT) | instid1(VALU_DEP_1)
	v_fma_f32 v63, -v58, v62, 1.0
	v_fmac_f32_e32 v62, v63, v62
	s_delay_alu instid0(VALU_DEP_1) | instskip(NEXT) | instid1(VALU_DEP_1)
	v_mul_f32_e32 v63, v67, v62
	v_fma_f32 v68, -v58, v63, v67
	s_delay_alu instid0(VALU_DEP_1) | instskip(NEXT) | instid1(VALU_DEP_1)
	v_fmac_f32_e32 v63, v68, v62
	v_fma_f32 v58, -v58, v63, v67
	s_delay_alu instid0(VALU_DEP_1) | instskip(NEXT) | instid1(VALU_DEP_1)
	v_div_fmas_f32 v58, v58, v62, v63
	v_div_fixup_f32 v59, v58, v59, 1.0
	s_delay_alu instid0(VALU_DEP_1)
	v_mul_f32_e32 v58, v61, v59
	v_xor_b32_e32 v59, 0x80000000, v59
.LBB50_532:
	s_and_not1_saveexec_b32 s1, s1
	s_cbranch_execz .LBB50_534
; %bb.533:
	s_delay_alu instid0(VALU_DEP_1) | instskip(SKIP_1) | instid1(VALU_DEP_2)
	v_div_scale_f32 v61, null, v58, v58, v59
	v_div_scale_f32 v67, vcc_lo, v59, v58, v59
	v_rcp_f32_e32 v62, v61
	v_nop
	s_delay_alu instid0(TRANS32_DEP_1) | instskip(NEXT) | instid1(VALU_DEP_1)
	v_fma_f32 v63, -v61, v62, 1.0
	v_fmac_f32_e32 v62, v63, v62
	s_delay_alu instid0(VALU_DEP_1) | instskip(NEXT) | instid1(VALU_DEP_1)
	v_mul_f32_e32 v63, v67, v62
	v_fma_f32 v68, -v61, v63, v67
	s_delay_alu instid0(VALU_DEP_1) | instskip(NEXT) | instid1(VALU_DEP_1)
	v_fmac_f32_e32 v63, v68, v62
	v_fma_f32 v61, -v61, v63, v67
	s_delay_alu instid0(VALU_DEP_1) | instskip(NEXT) | instid1(VALU_DEP_1)
	v_div_fmas_f32 v61, v61, v62, v63
	v_div_fixup_f32 v61, v61, v58, v59
	s_delay_alu instid0(VALU_DEP_1) | instskip(NEXT) | instid1(VALU_DEP_1)
	v_fmac_f32_e32 v58, v59, v61
	v_div_scale_f32 v59, null, v58, v58, 1.0
	s_delay_alu instid0(VALU_DEP_1) | instskip(SKIP_1) | instid1(TRANS32_DEP_1)
	v_rcp_f32_e32 v62, v59
	v_nop
	v_fma_f32 v63, -v59, v62, 1.0
	s_delay_alu instid0(VALU_DEP_1) | instskip(SKIP_1) | instid1(VALU_DEP_1)
	v_fmac_f32_e32 v62, v63, v62
	v_div_scale_f32 v63, vcc_lo, 1.0, v58, 1.0
	v_mul_f32_e32 v67, v63, v62
	s_delay_alu instid0(VALU_DEP_1) | instskip(NEXT) | instid1(VALU_DEP_1)
	v_fma_f32 v68, -v59, v67, v63
	v_fmac_f32_e32 v67, v68, v62
	s_delay_alu instid0(VALU_DEP_1) | instskip(NEXT) | instid1(VALU_DEP_1)
	v_fma_f32 v59, -v59, v67, v63
	v_div_fmas_f32 v59, v59, v62, v67
	s_delay_alu instid0(VALU_DEP_1) | instskip(NEXT) | instid1(VALU_DEP_1)
	v_div_fixup_f32 v58, v59, v58, 1.0
	v_mul_f32_e64 v59, v61, -v58
.LBB50_534:
	s_or_b32 exec_lo, exec_lo, s1
.LBB50_535:
	s_delay_alu instid0(SALU_CYCLE_1)
	s_or_b32 exec_lo, exec_lo, s0
	v_mov_b32_e32 v62, 25
	s_mov_b32 s0, exec_lo
	v_cmpx_ne_u32_e64 v66, v60
	s_cbranch_execz .LBB50_541
; %bb.536:
	s_mov_b32 s1, exec_lo
	v_cmpx_eq_u32_e32 25, v66
	s_cbranch_execz .LBB50_540
; %bb.537:
	v_cmp_ne_u32_e32 vcc_lo, 25, v60
	s_xor_b32 s12, s16, -1
	s_delay_alu instid0(SALU_CYCLE_1) | instskip(NEXT) | instid1(SALU_CYCLE_1)
	s_and_b32 s13, s12, vcc_lo
	s_and_saveexec_b32 s12, s13
	s_cbranch_execz .LBB50_539
; %bb.538:
	v_ashrrev_i32_e32 v61, 31, v60
	s_delay_alu instid0(VALU_DEP_1)
	v_lshl_add_u64 v[62:63], v[60:61], 2, v[4:5]
	s_clause 0x1
	global_load_b32 v61, v[62:63], off
	global_load_b32 v64, v[4:5], off offset:100
	s_wait_loadcnt 0x1
	global_store_b32 v[4:5], v61, off offset:100
	s_wait_loadcnt 0x0
	global_store_b32 v[62:63], v64, off
.LBB50_539:
	s_wait_xcnt 0x0
	s_or_b32 exec_lo, exec_lo, s12
	v_dual_mov_b32 v66, v60 :: v_dual_mov_b32 v64, v60
.LBB50_540:
	s_or_b32 exec_lo, exec_lo, s1
	s_delay_alu instid0(VALU_DEP_1)
	v_mov_b32_e32 v62, v66
.LBB50_541:
	s_or_b32 exec_lo, exec_lo, s0
	s_delay_alu instid0(VALU_DEP_1)
	v_ashrrev_i32_e32 v63, 31, v62
	s_mov_b32 s0, exec_lo
	s_wait_storecnt 0x0
	s_barrier_signal -1
	s_barrier_wait -1
	s_barrier_signal -1
	s_barrier_wait -1
	v_cmpx_gt_i32_e32 26, v62
	s_cbranch_execz .LBB50_543
; %bb.542:
	v_mul_u64_e32 v[4:5], s[10:11], v[2:3]
	v_add3_u32 v60, v64, s17, 1
	s_delay_alu instid0(VALU_DEP_2) | instskip(NEXT) | instid1(VALU_DEP_1)
	v_lshl_add_u64 v[4:5], v[4:5], 2, s[6:7]
	v_lshl_add_u64 v[4:5], s[8:9], 2, v[4:5]
	s_delay_alu instid0(VALU_DEP_1)
	v_lshl_add_u64 v[4:5], v[62:63], 2, v[4:5]
	global_store_b32 v[4:5], v60, off
.LBB50_543:
	s_wait_xcnt 0x0
	s_or_b32 exec_lo, exec_lo, s0
	s_delay_alu instid0(SALU_CYCLE_1)
	s_mov_b32 s1, exec_lo
	v_cmpx_eq_u32_e32 0, v62
	s_cbranch_execz .LBB50_546
; %bb.544:
	s_wait_kmcnt 0x0
	v_lshl_add_u64 v[2:3], v[2:3], 2, s[4:5]
	v_cmp_ne_u32_e64 s0, 0, v65
	global_load_b32 v4, v[2:3], off
	s_wait_loadcnt 0x0
	v_cmp_eq_u32_e32 vcc_lo, 0, v4
	s_and_b32 s0, vcc_lo, s0
	s_wait_xcnt 0x0
	s_and_b32 exec_lo, exec_lo, s0
	s_cbranch_execz .LBB50_546
; %bb.545:
	v_add_nc_u32_e32 v4, s17, v65
	global_store_b32 v[2:3], v4, off
.LBB50_546:
	s_wait_xcnt 0x0
	s_or_b32 exec_lo, exec_lo, s1
	v_add3_u32 v2, s2, s2, v62
	v_pk_mul_f32 v[70:71], v[58:59], v[56:57] op_sel:[1,1] op_sel_hi:[0,1]
	v_cmp_lt_i32_e32 vcc_lo, 25, v62
	v_lshl_add_u64 v[62:63], v[62:63], 3, v[0:1]
	s_delay_alu instid0(VALU_DEP_4) | instskip(NEXT) | instid1(VALU_DEP_4)
	v_add_nc_u32_e32 v4, s2, v2
	v_pk_fma_f32 v[74:75], v[58:59], v[56:57], v[70:71] op_sel_hi:[1,0,1]
	v_pk_fma_f32 v[58:59], v[58:59], v[56:57], v[70:71] neg_lo:[0,0,1] neg_hi:[0,0,1]
	global_store_b64 v[62:63], v[54:55], off
	s_wait_xcnt 0x0
	v_lshl_add_u64 v[62:63], s[2:3], 3, v[62:63]
	v_dual_cndmask_b32 v57, v57, v75 :: v_dual_add_nc_u32 v60, s2, v4
	v_cndmask_b32_e32 v56, v56, v58, vcc_lo
	s_delay_alu instid0(VALU_DEP_2) | instskip(SKIP_1) | instid1(VALU_DEP_2)
	v_dual_ashrrev_i32 v3, 31, v2 :: v_dual_add_nc_u32 v64, s2, v60
	v_ashrrev_i32_e32 v5, 31, v4
	v_lshl_add_u64 v[2:3], v[2:3], 3, v[0:1]
	s_delay_alu instid0(VALU_DEP_3) | instskip(NEXT) | instid1(VALU_DEP_3)
	v_add_nc_u32_e32 v66, s2, v64
	v_lshl_add_u64 v[4:5], v[4:5], 3, v[0:1]
	s_delay_alu instid0(VALU_DEP_2) | instskip(NEXT) | instid1(VALU_DEP_1)
	v_dual_ashrrev_i32 v65, 31, v64 :: v_dual_add_nc_u32 v68, s2, v66
	v_dual_add_nc_u32 v72, s2, v68 :: v_dual_ashrrev_i32 v67, 31, v66
	v_ashrrev_i32_e32 v69, 31, v68
	s_delay_alu instid0(VALU_DEP_2) | instskip(NEXT) | instid1(VALU_DEP_1)
	v_dual_add_nc_u32 v70, s2, v72 :: v_dual_ashrrev_i32 v73, 31, v72
	v_dual_add_nc_u32 v58, s2, v70 :: v_dual_ashrrev_i32 v61, 31, v60
	v_ashrrev_i32_e32 v71, 31, v70
	s_delay_alu instid0(VALU_DEP_2) | instskip(NEXT) | instid1(VALU_DEP_3)
	v_add_nc_u32_e32 v54, s2, v58
	v_lshl_add_u64 v[60:61], v[60:61], 3, v[0:1]
	s_clause 0x3
	global_store_b64 v[62:63], v[52:53], off
	global_store_b64 v[2:3], v[50:51], off
	;; [unrolled: 1-line block ×4, first 2 shown]
	s_wait_xcnt 0x0
	v_lshl_add_u64 v[44:45], v[64:65], 3, v[0:1]
	v_add_nc_u32_e32 v74, s2, v54
	v_lshl_add_u64 v[48:49], v[66:67], 3, v[0:1]
	v_lshl_add_u64 v[50:51], v[68:69], 3, v[0:1]
	;; [unrolled: 1-line block ×3, first 2 shown]
	s_clause 0x3
	global_store_b64 v[44:45], v[18:19], off
	global_store_b64 v[48:49], v[22:23], off
	;; [unrolled: 1-line block ×4, first 2 shown]
	v_add_nc_u32_e32 v2, s2, v74
	s_wait_xcnt 0x2
	v_lshl_add_u64 v[22:23], v[70:71], 3, v[0:1]
	s_delay_alu instid0(VALU_DEP_2) | instskip(NEXT) | instid1(VALU_DEP_1)
	v_add_nc_u32_e32 v4, s2, v2
	v_dual_add_nc_u32 v60, s2, v4 :: v_dual_ashrrev_i32 v75, 31, v74
	s_wait_xcnt 0x1
	s_delay_alu instid0(VALU_DEP_1) | instskip(SKIP_3) | instid1(VALU_DEP_4)
	v_dual_ashrrev_i32 v61, 31, v60 :: v_dual_add_nc_u32 v16, s2, v60
	v_ashrrev_i32_e32 v59, 31, v58
	v_dual_ashrrev_i32 v55, 31, v54 :: v_dual_ashrrev_i32 v5, 31, v4
	v_lshl_add_u64 v[48:49], v[74:75], 3, v[0:1]
	v_add_nc_u32_e32 v18, s2, v16
	s_wait_xcnt 0x0
	v_lshl_add_u64 v[40:41], v[58:59], 3, v[0:1]
	v_lshl_add_u64 v[44:45], v[54:55], 3, v[0:1]
	s_clause 0x3
	global_store_b64 v[22:23], v[8:9], off
	global_store_b64 v[40:41], v[10:11], off
	;; [unrolled: 1-line block ×4, first 2 shown]
	v_dual_add_nc_u32 v50, s2, v18 :: v_dual_ashrrev_i32 v17, 31, v16
	v_lshl_add_u64 v[4:5], v[4:5], 3, v[0:1]
	s_wait_xcnt 0x2
	v_lshl_add_u64 v[10:11], v[60:61], 3, v[0:1]
	s_wait_xcnt 0x1
	v_add_nc_u32_e32 v6, s2, v50
	v_lshl_add_u64 v[16:17], v[16:17], 3, v[0:1]
	v_ashrrev_i32_e32 v51, 31, v50
	s_delay_alu instid0(VALU_DEP_3) | instskip(NEXT) | instid1(VALU_DEP_1)
	v_add_nc_u32_e32 v8, s2, v6
	v_dual_add_nc_u32 v22, s2, v8 :: v_dual_ashrrev_i32 v7, 31, v6
	v_dual_ashrrev_i32 v3, 31, v2 :: v_dual_ashrrev_i32 v9, 31, v8
	s_delay_alu instid0(VALU_DEP_2) | instskip(NEXT) | instid1(VALU_DEP_3)
	v_ashrrev_i32_e32 v23, 31, v22
	v_lshl_add_u64 v[6:7], v[6:7], 3, v[0:1]
	s_delay_alu instid0(VALU_DEP_3)
	v_lshl_add_u64 v[2:3], v[2:3], 3, v[0:1]
	s_clause 0x3
	global_store_b64 v[2:3], v[14:15], off
	global_store_b64 v[4:5], v[20:21], off
	;; [unrolled: 1-line block ×4, first 2 shown]
	s_wait_xcnt 0x3
	v_add_nc_u32_e32 v2, s2, v22
	s_wait_xcnt 0x1
	v_lshl_add_u64 v[12:13], v[50:51], 3, v[0:1]
	v_lshl_add_u64 v[8:9], v[8:9], 3, v[0:1]
	s_delay_alu instid0(VALU_DEP_3) | instskip(NEXT) | instid1(VALU_DEP_1)
	v_add_nc_u32_e32 v4, s2, v2
	v_dual_add_nc_u32 v14, s2, v4 :: v_dual_ashrrev_i32 v3, 31, v2
	v_dual_ashrrev_i32 v19, 31, v18 :: v_dual_ashrrev_i32 v5, 31, v4
	s_delay_alu instid0(VALU_DEP_2) | instskip(NEXT) | instid1(VALU_DEP_3)
	v_ashrrev_i32_e32 v15, 31, v14
	v_lshl_add_u64 v[2:3], v[2:3], 3, v[0:1]
	s_delay_alu instid0(VALU_DEP_3)
	v_lshl_add_u64 v[10:11], v[18:19], 3, v[0:1]
	s_clause 0x3
	global_store_b64 v[10:11], v[26:27], off
	global_store_b64 v[12:13], v[28:29], off
	;; [unrolled: 1-line block ×4, first 2 shown]
	s_wait_xcnt 0x1
	v_add_nc_u32_e32 v6, s2, v14
	s_wait_xcnt 0x0
	v_lshl_add_u64 v[8:9], v[22:23], 3, v[0:1]
	v_lshl_add_u64 v[4:5], v[4:5], 3, v[0:1]
	;; [unrolled: 1-line block ×3, first 2 shown]
	v_ashrrev_i32_e32 v7, 31, v6
	s_delay_alu instid0(VALU_DEP_1)
	v_lshl_add_u64 v[0:1], v[6:7], 3, v[0:1]
	s_clause 0x4
	global_store_b64 v[8:9], v[30:31], off
	global_store_b64 v[2:3], v[36:37], off
	;; [unrolled: 1-line block ×5, first 2 shown]
.LBB50_547:
	s_sendmsg sendmsg(MSG_DEALLOC_VGPRS)
	s_endpgm
	.section	.rodata,"a",@progbits
	.p2align	6, 0x0
	.amdhsa_kernel _ZN9rocsolver6v33100L18getf2_small_kernelILi26E19rocblas_complex_numIfEiiPS3_EEvT1_T3_lS5_lPS5_llPT2_S5_S5_S7_l
		.amdhsa_group_segment_fixed_size 0
		.amdhsa_private_segment_fixed_size 0
		.amdhsa_kernarg_size 352
		.amdhsa_user_sgpr_count 2
		.amdhsa_user_sgpr_dispatch_ptr 0
		.amdhsa_user_sgpr_queue_ptr 0
		.amdhsa_user_sgpr_kernarg_segment_ptr 1
		.amdhsa_user_sgpr_dispatch_id 0
		.amdhsa_user_sgpr_kernarg_preload_length 0
		.amdhsa_user_sgpr_kernarg_preload_offset 0
		.amdhsa_user_sgpr_private_segment_size 0
		.amdhsa_wavefront_size32 1
		.amdhsa_uses_dynamic_stack 0
		.amdhsa_enable_private_segment 0
		.amdhsa_system_sgpr_workgroup_id_x 1
		.amdhsa_system_sgpr_workgroup_id_y 1
		.amdhsa_system_sgpr_workgroup_id_z 0
		.amdhsa_system_sgpr_workgroup_info 0
		.amdhsa_system_vgpr_workitem_id 1
		.amdhsa_next_free_vgpr 82
		.amdhsa_next_free_sgpr 19
		.amdhsa_named_barrier_count 0
		.amdhsa_reserve_vcc 1
		.amdhsa_float_round_mode_32 0
		.amdhsa_float_round_mode_16_64 0
		.amdhsa_float_denorm_mode_32 3
		.amdhsa_float_denorm_mode_16_64 3
		.amdhsa_fp16_overflow 0
		.amdhsa_memory_ordered 1
		.amdhsa_forward_progress 1
		.amdhsa_inst_pref_size 255
		.amdhsa_round_robin_scheduling 0
		.amdhsa_exception_fp_ieee_invalid_op 0
		.amdhsa_exception_fp_denorm_src 0
		.amdhsa_exception_fp_ieee_div_zero 0
		.amdhsa_exception_fp_ieee_overflow 0
		.amdhsa_exception_fp_ieee_underflow 0
		.amdhsa_exception_fp_ieee_inexact 0
		.amdhsa_exception_int_div_zero 0
	.end_amdhsa_kernel
	.section	.text._ZN9rocsolver6v33100L18getf2_small_kernelILi26E19rocblas_complex_numIfEiiPS3_EEvT1_T3_lS5_lPS5_llPT2_S5_S5_S7_l,"axG",@progbits,_ZN9rocsolver6v33100L18getf2_small_kernelILi26E19rocblas_complex_numIfEiiPS3_EEvT1_T3_lS5_lPS5_llPT2_S5_S5_S7_l,comdat
.Lfunc_end50:
	.size	_ZN9rocsolver6v33100L18getf2_small_kernelILi26E19rocblas_complex_numIfEiiPS3_EEvT1_T3_lS5_lPS5_llPT2_S5_S5_S7_l, .Lfunc_end50-_ZN9rocsolver6v33100L18getf2_small_kernelILi26E19rocblas_complex_numIfEiiPS3_EEvT1_T3_lS5_lPS5_llPT2_S5_S5_S7_l
                                        ; -- End function
	.set _ZN9rocsolver6v33100L18getf2_small_kernelILi26E19rocblas_complex_numIfEiiPS3_EEvT1_T3_lS5_lPS5_llPT2_S5_S5_S7_l.num_vgpr, 82
	.set _ZN9rocsolver6v33100L18getf2_small_kernelILi26E19rocblas_complex_numIfEiiPS3_EEvT1_T3_lS5_lPS5_llPT2_S5_S5_S7_l.num_agpr, 0
	.set _ZN9rocsolver6v33100L18getf2_small_kernelILi26E19rocblas_complex_numIfEiiPS3_EEvT1_T3_lS5_lPS5_llPT2_S5_S5_S7_l.numbered_sgpr, 19
	.set _ZN9rocsolver6v33100L18getf2_small_kernelILi26E19rocblas_complex_numIfEiiPS3_EEvT1_T3_lS5_lPS5_llPT2_S5_S5_S7_l.num_named_barrier, 0
	.set _ZN9rocsolver6v33100L18getf2_small_kernelILi26E19rocblas_complex_numIfEiiPS3_EEvT1_T3_lS5_lPS5_llPT2_S5_S5_S7_l.private_seg_size, 0
	.set _ZN9rocsolver6v33100L18getf2_small_kernelILi26E19rocblas_complex_numIfEiiPS3_EEvT1_T3_lS5_lPS5_llPT2_S5_S5_S7_l.uses_vcc, 1
	.set _ZN9rocsolver6v33100L18getf2_small_kernelILi26E19rocblas_complex_numIfEiiPS3_EEvT1_T3_lS5_lPS5_llPT2_S5_S5_S7_l.uses_flat_scratch, 0
	.set _ZN9rocsolver6v33100L18getf2_small_kernelILi26E19rocblas_complex_numIfEiiPS3_EEvT1_T3_lS5_lPS5_llPT2_S5_S5_S7_l.has_dyn_sized_stack, 0
	.set _ZN9rocsolver6v33100L18getf2_small_kernelILi26E19rocblas_complex_numIfEiiPS3_EEvT1_T3_lS5_lPS5_llPT2_S5_S5_S7_l.has_recursion, 0
	.set _ZN9rocsolver6v33100L18getf2_small_kernelILi26E19rocblas_complex_numIfEiiPS3_EEvT1_T3_lS5_lPS5_llPT2_S5_S5_S7_l.has_indirect_call, 0
	.section	.AMDGPU.csdata,"",@progbits
; Kernel info:
; codeLenInByte = 45400
; TotalNumSgprs: 21
; NumVgprs: 82
; ScratchSize: 0
; MemoryBound: 0
; FloatMode: 240
; IeeeMode: 1
; LDSByteSize: 0 bytes/workgroup (compile time only)
; SGPRBlocks: 0
; VGPRBlocks: 5
; NumSGPRsForWavesPerEU: 21
; NumVGPRsForWavesPerEU: 82
; NamedBarCnt: 0
; Occupancy: 10
; WaveLimiterHint : 0
; COMPUTE_PGM_RSRC2:SCRATCH_EN: 0
; COMPUTE_PGM_RSRC2:USER_SGPR: 2
; COMPUTE_PGM_RSRC2:TRAP_HANDLER: 0
; COMPUTE_PGM_RSRC2:TGID_X_EN: 1
; COMPUTE_PGM_RSRC2:TGID_Y_EN: 1
; COMPUTE_PGM_RSRC2:TGID_Z_EN: 0
; COMPUTE_PGM_RSRC2:TIDIG_COMP_CNT: 1
	.section	.text._ZN9rocsolver6v33100L23getf2_npvt_small_kernelILi26E19rocblas_complex_numIfEiiPS3_EEvT1_T3_lS5_lPT2_S5_S5_,"axG",@progbits,_ZN9rocsolver6v33100L23getf2_npvt_small_kernelILi26E19rocblas_complex_numIfEiiPS3_EEvT1_T3_lS5_lPT2_S5_S5_,comdat
	.globl	_ZN9rocsolver6v33100L23getf2_npvt_small_kernelILi26E19rocblas_complex_numIfEiiPS3_EEvT1_T3_lS5_lPT2_S5_S5_ ; -- Begin function _ZN9rocsolver6v33100L23getf2_npvt_small_kernelILi26E19rocblas_complex_numIfEiiPS3_EEvT1_T3_lS5_lPT2_S5_S5_
	.p2align	8
	.type	_ZN9rocsolver6v33100L23getf2_npvt_small_kernelILi26E19rocblas_complex_numIfEiiPS3_EEvT1_T3_lS5_lPT2_S5_S5_,@function
_ZN9rocsolver6v33100L23getf2_npvt_small_kernelILi26E19rocblas_complex_numIfEiiPS3_EEvT1_T3_lS5_lPT2_S5_S5_: ; @_ZN9rocsolver6v33100L23getf2_npvt_small_kernelILi26E19rocblas_complex_numIfEiiPS3_EEvT1_T3_lS5_lPT2_S5_S5_
; %bb.0:
	s_clause 0x1
	s_load_u16 s14, s[0:1], 0x46
	s_load_b64 s[2:3], s[0:1], 0x30
	s_bfe_u32 s4, ttmp6, 0x40010
	s_bfe_u32 s5, ttmp6, 0x40004
	s_add_co_i32 s4, s4, 1
	s_getreg_b32 s6, hwreg(HW_REG_IB_STS2, 6, 4)
	s_mul_i32 s4, ttmp7, s4
	v_bfe_u32 v106, v0, 10, 10
	s_add_co_i32 s5, s5, s4
	s_cmp_eq_u32 s6, 0
	s_cselect_b32 s4, ttmp7, s5
	s_wait_kmcnt 0x0
	v_mad_u32 v2, s4, s14, v106
	s_delay_alu instid0(VALU_DEP_1)
	v_cmp_gt_i32_e32 vcc_lo, s2, v2
	s_and_saveexec_b32 s2, vcc_lo
	s_cbranch_execz .LBB51_237
; %bb.1:
	s_load_b32 s12, s[0:1], 0x18
	v_and_b32_e32 v158, 0x3ff, v0
	s_clause 0x1
	s_load_b128 s[4:7], s[0:1], 0x20
	s_load_b128 s[8:11], s[0:1], 0x8
	v_lshlrev_b32_e32 v107, 3, v106
	s_mulk_i32 s14, 0xd0
	v_mad_u32_u24 v160, 0xd0, v106, 0
	s_wait_xcnt 0x0
	v_cmp_ne_u32_e64 s1, 0, v158
	v_cmp_eq_u32_e64 s0, 0, v158
	v_add3_u32 v159, 0, s14, v107
	v_dual_ashrrev_i32 v3, 31, v2 :: v_dual_mov_b32 v11, 0
	s_wait_kmcnt 0x0
	v_add3_u32 v0, s12, s12, v158
	s_delay_alu instid0(VALU_DEP_2) | instskip(SKIP_2) | instid1(VALU_DEP_3)
	v_mul_u64_e32 v[8:9], s[4:5], v[2:3]
	v_lshlrev_b32_e32 v10, 3, v158
	s_ashr_i32 s13, s12, 31
	v_dual_add_nc_u32 v4, s12, v0 :: v_dual_ashrrev_i32 v1, 31, v0
	s_delay_alu instid0(VALU_DEP_1) | instskip(NEXT) | instid1(VALU_DEP_1)
	v_dual_add_nc_u32 v6, s12, v4 :: v_dual_ashrrev_i32 v5, 31, v4
	v_add_nc_u32_e32 v12, s12, v6
	s_delay_alu instid0(VALU_DEP_1) | instskip(NEXT) | instid1(VALU_DEP_1)
	v_add_nc_u32_e32 v14, s12, v12
	v_add_nc_u32_e32 v16, s12, v14
	s_delay_alu instid0(VALU_DEP_1) | instskip(SKIP_1) | instid1(VALU_DEP_2)
	v_add_nc_u32_e32 v20, s12, v16
	v_lshl_add_u64 v[8:9], v[8:9], 3, s[8:9]
	v_add_nc_u32_e32 v22, s12, v20
	v_ashrrev_i32_e32 v17, 31, v16
	s_delay_alu instid0(VALU_DEP_3) | instskip(NEXT) | instid1(VALU_DEP_3)
	v_lshl_add_u64 v[76:77], s[10:11], 3, v[8:9]
	v_dual_add_nc_u32 v30, s12, v22 :: v_dual_ashrrev_i32 v13, 31, v12
	v_dual_ashrrev_i32 v15, 31, v14 :: v_dual_ashrrev_i32 v21, 31, v20
	v_ashrrev_i32_e32 v23, 31, v22
	s_delay_alu instid0(VALU_DEP_3)
	v_add_nc_u32_e32 v32, s12, v30
	v_ashrrev_i32_e32 v7, 31, v6
	v_ashrrev_i32_e32 v31, 31, v30
	v_add_nc_u64_e32 v[18:19], v[76:77], v[10:11]
	v_lshl_add_u64 v[8:9], v[4:5], 3, v[76:77]
	v_add_nc_u32_e32 v36, s12, v32
	v_lshl_add_u64 v[10:11], v[6:7], 3, v[76:77]
	v_lshl_add_u64 v[6:7], v[14:15], 3, v[76:77]
	v_lshl_add_u64 v[14:15], v[20:21], 3, v[76:77]
	v_lshl_add_u64 v[20:21], v[30:31], 3, v[76:77]
	v_add_nc_u32_e32 v44, s12, v36
	v_lshl_add_u64 v[4:5], v[12:13], 3, v[76:77]
	v_lshl_add_u64 v[12:13], v[16:17], 3, v[76:77]
	;; [unrolled: 1-line block ×4, first 2 shown]
	v_add_nc_u32_e32 v50, s12, v44
	v_lshl_add_u64 v[0:1], v[0:1], 3, v[76:77]
	s_clause 0x7
	global_load_b64 v[28:29], v[10:11], off
	global_load_b64 v[24:25], v[4:5], off
	;; [unrolled: 1-line block ×8, first 2 shown]
	v_add_nc_u32_e32 v52, s12, v50
	s_delay_alu instid0(VALU_DEP_1) | instskip(NEXT) | instid1(VALU_DEP_1)
	v_add_nc_u32_e32 v54, s12, v52
	v_dual_add_nc_u32 v68, s12, v54 :: v_dual_ashrrev_i32 v33, 31, v32
	s_delay_alu instid0(VALU_DEP_1) | instskip(NEXT) | instid1(VALU_DEP_2)
	v_dual_ashrrev_i32 v51, 31, v50 :: v_dual_add_nc_u32 v70, s12, v68
	v_lshl_add_u64 v[30:31], v[32:33], 3, v[76:77]
	s_delay_alu instid0(VALU_DEP_2) | instskip(NEXT) | instid1(VALU_DEP_3)
	v_lshl_add_u64 v[50:51], v[50:51], 3, v[76:77]
	v_dual_add_nc_u32 v72, s12, v70 :: v_dual_ashrrev_i32 v37, 31, v36
	s_delay_alu instid0(VALU_DEP_1) | instskip(NEXT) | instid1(VALU_DEP_2)
	v_dual_ashrrev_i32 v55, 31, v54 :: v_dual_add_nc_u32 v74, s12, v72
	v_lshl_add_u64 v[32:33], v[36:37], 3, v[76:77]
	s_delay_alu instid0(VALU_DEP_2)
	v_lshl_add_u64 v[54:55], v[54:55], 3, v[76:77]
	s_clause 0x3
	global_load_b64 v[42:43], v[14:15], off
	global_load_b64 v[38:39], v[16:17], off
	;; [unrolled: 1-line block ×4, first 2 shown]
	v_dual_add_nc_u32 v86, s12, v74 :: v_dual_ashrrev_i32 v45, 31, v44
	v_dual_ashrrev_i32 v71, 31, v70 :: v_dual_ashrrev_i32 v53, 31, v52
	v_ashrrev_i32_e32 v75, 31, v74
	s_delay_alu instid0(VALU_DEP_3) | instskip(NEXT) | instid1(VALU_DEP_4)
	v_add_nc_u32_e32 v88, s12, v86
	v_lshl_add_u64 v[44:45], v[44:45], 3, v[76:77]
	s_delay_alu instid0(VALU_DEP_4)
	v_lshl_add_u64 v[70:71], v[70:71], 3, v[76:77]
	v_lshl_add_u64 v[52:53], v[52:53], 3, v[76:77]
	;; [unrolled: 1-line block ×3, first 2 shown]
	v_dual_add_nc_u32 v90, s12, v88 :: v_dual_ashrrev_i32 v87, 31, v86
	v_ashrrev_i32_e32 v69, 31, v68
	v_ashrrev_i32_e32 v73, 31, v72
	s_clause 0x3
	global_load_b64 v[66:67], v[32:33], off
	global_load_b64 v[62:63], v[44:45], off
	;; [unrolled: 1-line block ×4, first 2 shown]
	v_dual_add_nc_u32 v92, s12, v90 :: v_dual_ashrrev_i32 v91, 31, v90
	v_lshl_add_u64 v[68:69], v[68:69], 3, v[76:77]
	v_lshl_add_u64 v[86:87], v[86:87], 3, v[76:77]
	;; [unrolled: 1-line block ×3, first 2 shown]
	s_delay_alu instid0(VALU_DEP_4)
	v_dual_add_nc_u32 v94, s12, v92 :: v_dual_ashrrev_i32 v93, 31, v92
	v_ashrrev_i32_e32 v89, 31, v88
	v_lshl_add_u64 v[90:91], v[90:91], 3, v[76:77]
	s_clause 0x3
	global_load_b64 v[84:85], v[54:55], off
	global_load_b64 v[80:81], v[68:69], off
	;; [unrolled: 1-line block ×4, first 2 shown]
	v_ashrrev_i32_e32 v95, 31, v94
	v_lshl_add_u64 v[92:93], v[92:93], 3, v[76:77]
	v_lshl_add_u64 v[88:89], v[88:89], 3, v[76:77]
	s_delay_alu instid0(VALU_DEP_3)
	v_lshl_add_u64 v[76:77], v[94:95], 3, v[76:77]
	s_clause 0x5
	global_load_b64 v[96:97], v[74:75], off
	global_load_b64 v[94:95], v[86:87], off
	;; [unrolled: 1-line block ×6, first 2 shown]
	s_wait_xcnt 0x0
	s_and_saveexec_b32 s4, s0
	s_cbranch_execz .LBB51_8
; %bb.2:
	s_wait_loadcnt 0x15
	ds_store_b64 v159, v[56:57]
	s_wait_loadcnt 0x13
	ds_store_2addr_b64 v160, v[58:59], v[48:49] offset0:1 offset1:2
	s_wait_loadcnt 0x12
	ds_store_2addr_b64 v160, v[46:47], v[28:29] offset0:3 offset1:4
	ds_store_2addr_b64 v160, v[24:25], v[26:27] offset0:5 offset1:6
	s_wait_loadcnt 0x11
	ds_store_2addr_b64 v160, v[22:23], v[42:43] offset0:7 offset1:8
	s_wait_loadcnt 0xf
	;; [unrolled: 2-line block ×10, first 2 shown]
	ds_store_b64 v160, v[104:105] offset:200
	ds_load_b64 v[106:107], v159
	s_wait_dscnt 0x0
	v_cmp_neq_f32_e32 vcc_lo, 0, v106
	v_cmp_neq_f32_e64 s2, 0, v107
	s_or_b32 s2, vcc_lo, s2
	s_delay_alu instid0(SALU_CYCLE_1)
	s_and_b32 exec_lo, exec_lo, s2
	s_cbranch_execz .LBB51_8
; %bb.3:
	v_cmp_ngt_f32_e64 s2, |v106|, |v107|
                                        ; implicit-def: $vgpr108_vgpr109
	s_and_saveexec_b32 s5, s2
	s_delay_alu instid0(SALU_CYCLE_1)
	s_xor_b32 s2, exec_lo, s5
	s_cbranch_execz .LBB51_5
; %bb.4:
	v_div_scale_f32 v108, null, v107, v107, v106
	v_div_scale_f32 v111, vcc_lo, v106, v107, v106
	s_delay_alu instid0(VALU_DEP_2) | instskip(SKIP_1) | instid1(TRANS32_DEP_1)
	v_rcp_f32_e32 v109, v108
	v_nop
	v_fma_f32 v110, -v108, v109, 1.0
	s_delay_alu instid0(VALU_DEP_1) | instskip(NEXT) | instid1(VALU_DEP_1)
	v_fmac_f32_e32 v109, v110, v109
	v_mul_f32_e32 v110, v111, v109
	s_delay_alu instid0(VALU_DEP_1) | instskip(NEXT) | instid1(VALU_DEP_1)
	v_fma_f32 v112, -v108, v110, v111
	v_fmac_f32_e32 v110, v112, v109
	s_delay_alu instid0(VALU_DEP_1) | instskip(NEXT) | instid1(VALU_DEP_1)
	v_fma_f32 v108, -v108, v110, v111
	v_div_fmas_f32 v108, v108, v109, v110
	s_delay_alu instid0(VALU_DEP_1) | instskip(NEXT) | instid1(VALU_DEP_1)
	v_div_fixup_f32 v108, v108, v107, v106
	v_fmac_f32_e32 v107, v106, v108
	s_delay_alu instid0(VALU_DEP_1) | instskip(SKIP_1) | instid1(VALU_DEP_2)
	v_div_scale_f32 v106, null, v107, v107, 1.0
	v_div_scale_f32 v111, vcc_lo, 1.0, v107, 1.0
	v_rcp_f32_e32 v109, v106
	v_nop
	s_delay_alu instid0(TRANS32_DEP_1) | instskip(NEXT) | instid1(VALU_DEP_1)
	v_fma_f32 v110, -v106, v109, 1.0
	v_fmac_f32_e32 v109, v110, v109
	s_delay_alu instid0(VALU_DEP_1) | instskip(NEXT) | instid1(VALU_DEP_1)
	v_mul_f32_e32 v110, v111, v109
	v_fma_f32 v112, -v106, v110, v111
	s_delay_alu instid0(VALU_DEP_1) | instskip(NEXT) | instid1(VALU_DEP_1)
	v_fmac_f32_e32 v110, v112, v109
	v_fma_f32 v106, -v106, v110, v111
	s_delay_alu instid0(VALU_DEP_1) | instskip(NEXT) | instid1(VALU_DEP_1)
	v_div_fmas_f32 v106, v106, v109, v110
	v_div_fixup_f32 v106, v106, v107, 1.0
	s_delay_alu instid0(VALU_DEP_1)
	v_mul_f32_e32 v108, v108, v106
	v_xor_b32_e32 v109, 0x80000000, v106
                                        ; implicit-def: $vgpr106_vgpr107
.LBB51_5:
	s_and_not1_saveexec_b32 s2, s2
	s_cbranch_execz .LBB51_7
; %bb.6:
	v_div_scale_f32 v108, null, v106, v106, v107
	v_div_scale_f32 v111, vcc_lo, v107, v106, v107
	s_delay_alu instid0(VALU_DEP_2) | instskip(SKIP_1) | instid1(TRANS32_DEP_1)
	v_rcp_f32_e32 v109, v108
	v_nop
	v_fma_f32 v110, -v108, v109, 1.0
	s_delay_alu instid0(VALU_DEP_1) | instskip(NEXT) | instid1(VALU_DEP_1)
	v_fmac_f32_e32 v109, v110, v109
	v_mul_f32_e32 v110, v111, v109
	s_delay_alu instid0(VALU_DEP_1) | instskip(NEXT) | instid1(VALU_DEP_1)
	v_fma_f32 v112, -v108, v110, v111
	v_fmac_f32_e32 v110, v112, v109
	s_delay_alu instid0(VALU_DEP_1) | instskip(NEXT) | instid1(VALU_DEP_1)
	v_fma_f32 v108, -v108, v110, v111
	v_div_fmas_f32 v108, v108, v109, v110
	s_delay_alu instid0(VALU_DEP_1) | instskip(NEXT) | instid1(VALU_DEP_1)
	v_div_fixup_f32 v109, v108, v106, v107
	v_fmac_f32_e32 v106, v107, v109
	s_delay_alu instid0(VALU_DEP_1) | instskip(NEXT) | instid1(VALU_DEP_1)
	v_div_scale_f32 v107, null, v106, v106, 1.0
	v_rcp_f32_e32 v108, v107
	v_nop
	s_delay_alu instid0(TRANS32_DEP_1) | instskip(NEXT) | instid1(VALU_DEP_1)
	v_fma_f32 v110, -v107, v108, 1.0
	v_fmac_f32_e32 v108, v110, v108
	v_div_scale_f32 v110, vcc_lo, 1.0, v106, 1.0
	s_delay_alu instid0(VALU_DEP_1) | instskip(NEXT) | instid1(VALU_DEP_1)
	v_mul_f32_e32 v111, v110, v108
	v_fma_f32 v112, -v107, v111, v110
	s_delay_alu instid0(VALU_DEP_1) | instskip(NEXT) | instid1(VALU_DEP_1)
	v_fmac_f32_e32 v111, v112, v108
	v_fma_f32 v107, -v107, v111, v110
	s_delay_alu instid0(VALU_DEP_1) | instskip(NEXT) | instid1(VALU_DEP_1)
	v_div_fmas_f32 v107, v107, v108, v111
	v_div_fixup_f32 v108, v107, v106, 1.0
	s_delay_alu instid0(VALU_DEP_1)
	v_mul_f32_e64 v109, v109, -v108
.LBB51_7:
	s_or_b32 exec_lo, exec_lo, s2
	ds_store_b64 v159, v[108:109]
.LBB51_8:
	s_or_b32 exec_lo, exec_lo, s4
	s_wait_loadcnt_dscnt 0x0
	s_barrier_signal -1
	s_barrier_wait -1
	ds_load_b64 v[106:107], v159
	s_and_saveexec_b32 s2, s1
	s_cbranch_execz .LBB51_10
; %bb.9:
	ds_load_2addr_b64 v[112:115], v160 offset0:1 offset1:2
	s_wait_dscnt 0x1
	v_pk_mul_f32 v[110:111], v[106:107], v[56:57] op_sel:[1,1] op_sel_hi:[0,1]
	s_delay_alu instid0(VALU_DEP_1) | instskip(SKIP_1) | instid1(VALU_DEP_1)
	v_pk_fma_f32 v[108:109], v[106:107], v[56:57], v[110:111] op_sel_hi:[1,0,1] neg_lo:[0,0,1] neg_hi:[0,0,1]
	v_pk_fma_f32 v[110:111], v[106:107], v[56:57], v[110:111] op_sel_hi:[1,0,1]
	v_dual_mov_b32 v56, v108 :: v_dual_mov_b32 v57, v111
	s_wait_dscnt 0x0
	s_delay_alu instid0(VALU_DEP_2) | instskip(NEXT) | instid1(VALU_DEP_1)
	v_pk_mul_f32 v[116:117], v[112:113], v[110:111] op_sel:[0,1]
	v_pk_fma_f32 v[118:119], v[112:113], v[108:109], v[116:117] op_sel:[0,0,1] op_sel_hi:[1,1,0] neg_lo:[0,0,1] neg_hi:[0,0,1]
	v_pk_fma_f32 v[112:113], v[112:113], v[108:109], v[116:117] op_sel:[0,0,1] op_sel_hi:[1,0,0]
	s_delay_alu instid0(VALU_DEP_1) | instskip(SKIP_1) | instid1(VALU_DEP_1)
	v_mov_b32_e32 v119, v113
	v_pk_mul_f32 v[112:113], v[114:115], v[110:111] op_sel:[0,1]
	v_pk_fma_f32 v[116:117], v[114:115], v[108:109], v[112:113] op_sel:[0,0,1] op_sel_hi:[1,1,0] neg_lo:[0,0,1] neg_hi:[0,0,1]
	v_pk_fma_f32 v[112:113], v[114:115], v[108:109], v[112:113] op_sel:[0,0,1] op_sel_hi:[1,0,0]
	s_delay_alu instid0(VALU_DEP_1)
	v_mov_b32_e32 v117, v113
	ds_load_2addr_b64 v[112:115], v160 offset0:3 offset1:4
	v_pk_add_f32 v[58:59], v[58:59], v[118:119] neg_lo:[0,1] neg_hi:[0,1]
	v_pk_add_f32 v[48:49], v[48:49], v[116:117] neg_lo:[0,1] neg_hi:[0,1]
	s_wait_dscnt 0x0
	v_pk_mul_f32 v[116:117], v[112:113], v[110:111] op_sel:[0,1]
	s_delay_alu instid0(VALU_DEP_1) | instskip(SKIP_2) | instid1(VALU_DEP_2)
	v_pk_fma_f32 v[118:119], v[112:113], v[108:109], v[116:117] op_sel:[0,0,1] op_sel_hi:[1,1,0] neg_lo:[0,0,1] neg_hi:[0,0,1]
	v_pk_fma_f32 v[112:113], v[112:113], v[108:109], v[116:117] op_sel:[0,0,1] op_sel_hi:[1,0,0]
	v_dual_mul_f32 v116, v115, v111 :: v_dual_mov_b32 v112, v115
	v_dual_mov_b32 v119, v113 :: v_dual_mov_b32 v113, v114
	s_delay_alu instid0(VALU_DEP_2) | instskip(SKIP_1) | instid1(VALU_DEP_3)
	v_pk_fma_f32 v[116:117], v[114:115], v[56:57], v[116:117] op_sel_hi:[1,1,0] neg_lo:[0,0,1] neg_hi:[0,0,1]
	v_mul_f32_e32 v114, v115, v108
	v_pk_add_f32 v[46:47], v[46:47], v[118:119] neg_lo:[0,1] neg_hi:[0,1]
	s_delay_alu instid0(VALU_DEP_2) | instskip(NEXT) | instid1(VALU_DEP_1)
	v_pk_fma_f32 v[112:113], v[112:113], v[56:57], v[114:115] op_sel_hi:[1,1,0]
	v_mov_b32_e32 v117, v113
	ds_load_2addr_b64 v[112:115], v160 offset0:5 offset1:6
	v_pk_add_f32 v[28:29], v[28:29], v[116:117] neg_lo:[0,1] neg_hi:[0,1]
	s_wait_dscnt 0x0
	v_pk_mul_f32 v[116:117], v[112:113], v[110:111] op_sel:[0,1]
	s_delay_alu instid0(VALU_DEP_1) | instskip(SKIP_1) | instid1(VALU_DEP_1)
	v_pk_fma_f32 v[118:119], v[112:113], v[108:109], v[116:117] op_sel:[0,0,1] op_sel_hi:[1,1,0] neg_lo:[0,0,1] neg_hi:[0,0,1]
	v_pk_fma_f32 v[112:113], v[112:113], v[108:109], v[116:117] op_sel:[0,0,1] op_sel_hi:[1,0,0]
	v_mov_b32_e32 v119, v113
	v_pk_mul_f32 v[112:113], v[114:115], v[110:111] op_sel:[0,1]
	s_delay_alu instid0(VALU_DEP_1) | instskip(SKIP_1) | instid1(VALU_DEP_1)
	v_pk_fma_f32 v[116:117], v[114:115], v[108:109], v[112:113] op_sel:[0,0,1] op_sel_hi:[1,1,0] neg_lo:[0,0,1] neg_hi:[0,0,1]
	v_pk_fma_f32 v[112:113], v[114:115], v[108:109], v[112:113] op_sel:[0,0,1] op_sel_hi:[1,0,0]
	v_mov_b32_e32 v117, v113
	ds_load_2addr_b64 v[112:115], v160 offset0:7 offset1:8
	v_pk_add_f32 v[24:25], v[24:25], v[118:119] neg_lo:[0,1] neg_hi:[0,1]
	v_pk_add_f32 v[26:27], v[26:27], v[116:117] neg_lo:[0,1] neg_hi:[0,1]
	s_wait_dscnt 0x0
	v_pk_mul_f32 v[116:117], v[112:113], v[110:111] op_sel:[0,1]
	s_delay_alu instid0(VALU_DEP_1) | instskip(SKIP_1) | instid1(VALU_DEP_1)
	v_pk_fma_f32 v[118:119], v[112:113], v[108:109], v[116:117] op_sel:[0,0,1] op_sel_hi:[1,1,0] neg_lo:[0,0,1] neg_hi:[0,0,1]
	v_pk_fma_f32 v[112:113], v[112:113], v[108:109], v[116:117] op_sel:[0,0,1] op_sel_hi:[1,0,0]
	v_mov_b32_e32 v119, v113
	v_pk_mul_f32 v[112:113], v[114:115], v[110:111] op_sel:[0,1]
	s_delay_alu instid0(VALU_DEP_1) | instskip(SKIP_1) | instid1(VALU_DEP_1)
	v_pk_fma_f32 v[116:117], v[114:115], v[108:109], v[112:113] op_sel:[0,0,1] op_sel_hi:[1,1,0] neg_lo:[0,0,1] neg_hi:[0,0,1]
	v_pk_fma_f32 v[112:113], v[114:115], v[108:109], v[112:113] op_sel:[0,0,1] op_sel_hi:[1,0,0]
	v_mov_b32_e32 v117, v113
	ds_load_2addr_b64 v[112:115], v160 offset0:9 offset1:10
	v_pk_add_f32 v[22:23], v[22:23], v[118:119] neg_lo:[0,1] neg_hi:[0,1]
	v_pk_add_f32 v[42:43], v[42:43], v[116:117] neg_lo:[0,1] neg_hi:[0,1]
	s_wait_dscnt 0x0
	v_dual_mul_f32 v116, v113, v111 :: v_dual_mul_f32 v118, v113, v108
	s_delay_alu instid0(VALU_DEP_1) | instskip(NEXT) | instid1(VALU_DEP_2)
	v_pk_fma_f32 v[116:117], v[112:113], v[56:57], v[116:117] op_sel_hi:[1,1,0] neg_lo:[0,0,1] neg_hi:[0,0,1]
	v_pk_fma_f32 v[112:113], v[112:113], v[56:57], v[118:119] op_sel:[1,0,0] op_sel_hi:[0,1,0]
	s_delay_alu instid0(VALU_DEP_1) | instskip(SKIP_1) | instid1(VALU_DEP_2)
	v_mov_b32_e32 v117, v113
	v_pk_mul_f32 v[112:113], v[114:115], v[110:111] op_sel:[0,1]
	v_pk_add_f32 v[38:39], v[38:39], v[116:117] neg_lo:[0,1] neg_hi:[0,1]
	s_delay_alu instid0(VALU_DEP_2) | instskip(SKIP_1) | instid1(VALU_DEP_1)
	v_pk_fma_f32 v[116:117], v[114:115], v[108:109], v[112:113] op_sel:[0,0,1] op_sel_hi:[1,1,0] neg_lo:[0,0,1] neg_hi:[0,0,1]
	v_pk_fma_f32 v[112:113], v[114:115], v[108:109], v[112:113] op_sel:[0,0,1] op_sel_hi:[1,0,0]
	v_mov_b32_e32 v117, v113
	ds_load_2addr_b64 v[112:115], v160 offset0:11 offset1:12
	v_pk_add_f32 v[40:41], v[40:41], v[116:117] neg_lo:[0,1] neg_hi:[0,1]
	s_wait_dscnt 0x0
	v_pk_mul_f32 v[116:117], v[112:113], v[110:111] op_sel:[0,1]
	s_delay_alu instid0(VALU_DEP_1) | instskip(SKIP_1) | instid1(VALU_DEP_1)
	v_pk_fma_f32 v[118:119], v[112:113], v[108:109], v[116:117] op_sel:[0,0,1] op_sel_hi:[1,1,0] neg_lo:[0,0,1] neg_hi:[0,0,1]
	v_pk_fma_f32 v[112:113], v[112:113], v[108:109], v[116:117] op_sel:[0,0,1] op_sel_hi:[1,0,0]
	v_mov_b32_e32 v119, v113
	v_pk_mul_f32 v[112:113], v[114:115], v[110:111] op_sel:[0,1]
	s_delay_alu instid0(VALU_DEP_2) | instskip(NEXT) | instid1(VALU_DEP_2)
	v_pk_add_f32 v[36:37], v[36:37], v[118:119] neg_lo:[0,1] neg_hi:[0,1]
	v_pk_fma_f32 v[116:117], v[114:115], v[108:109], v[112:113] op_sel:[0,0,1] op_sel_hi:[1,1,0] neg_lo:[0,0,1] neg_hi:[0,0,1]
	v_pk_fma_f32 v[112:113], v[114:115], v[108:109], v[112:113] op_sel:[0,0,1] op_sel_hi:[1,0,0]
	s_delay_alu instid0(VALU_DEP_1) | instskip(SKIP_4) | instid1(VALU_DEP_1)
	v_mov_b32_e32 v117, v113
	ds_load_2addr_b64 v[112:115], v160 offset0:13 offset1:14
	v_pk_add_f32 v[66:67], v[66:67], v[116:117] neg_lo:[0,1] neg_hi:[0,1]
	s_wait_dscnt 0x0
	v_pk_mul_f32 v[116:117], v[112:113], v[110:111] op_sel:[0,1]
	v_pk_fma_f32 v[118:119], v[112:113], v[108:109], v[116:117] op_sel:[0,0,1] op_sel_hi:[1,1,0] neg_lo:[0,0,1] neg_hi:[0,0,1]
	v_pk_fma_f32 v[112:113], v[112:113], v[108:109], v[116:117] op_sel:[0,0,1] op_sel_hi:[1,0,0]
	v_dual_mul_f32 v116, v115, v111 :: v_dual_mov_b32 v112, v115
	s_delay_alu instid0(VALU_DEP_2) | instskip(NEXT) | instid1(VALU_DEP_2)
	v_dual_mov_b32 v119, v113 :: v_dual_mov_b32 v113, v114
	v_pk_fma_f32 v[116:117], v[114:115], v[56:57], v[116:117] op_sel_hi:[1,1,0] neg_lo:[0,0,1] neg_hi:[0,0,1]
	v_mul_f32_e32 v114, v115, v108
	s_delay_alu instid0(VALU_DEP_3) | instskip(NEXT) | instid1(VALU_DEP_2)
	v_pk_add_f32 v[62:63], v[62:63], v[118:119] neg_lo:[0,1] neg_hi:[0,1]
	v_pk_fma_f32 v[112:113], v[112:113], v[56:57], v[114:115] op_sel_hi:[1,1,0]
	s_delay_alu instid0(VALU_DEP_1) | instskip(SKIP_4) | instid1(VALU_DEP_1)
	v_mov_b32_e32 v117, v113
	ds_load_2addr_b64 v[112:115], v160 offset0:15 offset1:16
	v_pk_add_f32 v[64:65], v[64:65], v[116:117] neg_lo:[0,1] neg_hi:[0,1]
	s_wait_dscnt 0x0
	v_pk_mul_f32 v[116:117], v[112:113], v[110:111] op_sel:[0,1]
	v_pk_fma_f32 v[118:119], v[112:113], v[108:109], v[116:117] op_sel:[0,0,1] op_sel_hi:[1,1,0] neg_lo:[0,0,1] neg_hi:[0,0,1]
	v_pk_fma_f32 v[112:113], v[112:113], v[108:109], v[116:117] op_sel:[0,0,1] op_sel_hi:[1,0,0]
	s_delay_alu instid0(VALU_DEP_1) | instskip(SKIP_1) | instid1(VALU_DEP_1)
	v_mov_b32_e32 v119, v113
	v_pk_mul_f32 v[112:113], v[114:115], v[110:111] op_sel:[0,1]
	v_pk_fma_f32 v[116:117], v[114:115], v[108:109], v[112:113] op_sel:[0,0,1] op_sel_hi:[1,1,0] neg_lo:[0,0,1] neg_hi:[0,0,1]
	v_pk_fma_f32 v[112:113], v[114:115], v[108:109], v[112:113] op_sel:[0,0,1] op_sel_hi:[1,0,0]
	s_delay_alu instid0(VALU_DEP_1)
	v_mov_b32_e32 v117, v113
	ds_load_2addr_b64 v[112:115], v160 offset0:17 offset1:18
	v_pk_add_f32 v[60:61], v[60:61], v[118:119] neg_lo:[0,1] neg_hi:[0,1]
	v_pk_add_f32 v[84:85], v[84:85], v[116:117] neg_lo:[0,1] neg_hi:[0,1]
	s_wait_dscnt 0x0
	v_pk_mul_f32 v[116:117], v[112:113], v[110:111] op_sel:[0,1]
	s_delay_alu instid0(VALU_DEP_1) | instskip(SKIP_1) | instid1(VALU_DEP_1)
	v_pk_fma_f32 v[118:119], v[112:113], v[108:109], v[116:117] op_sel:[0,0,1] op_sel_hi:[1,1,0] neg_lo:[0,0,1] neg_hi:[0,0,1]
	v_pk_fma_f32 v[112:113], v[112:113], v[108:109], v[116:117] op_sel:[0,0,1] op_sel_hi:[1,0,0]
	v_mov_b32_e32 v119, v113
	v_pk_mul_f32 v[112:113], v[114:115], v[110:111] op_sel:[0,1]
	s_delay_alu instid0(VALU_DEP_1) | instskip(SKIP_1) | instid1(VALU_DEP_1)
	v_pk_fma_f32 v[116:117], v[114:115], v[108:109], v[112:113] op_sel:[0,0,1] op_sel_hi:[1,1,0] neg_lo:[0,0,1] neg_hi:[0,0,1]
	v_pk_fma_f32 v[112:113], v[114:115], v[108:109], v[112:113] op_sel:[0,0,1] op_sel_hi:[1,0,0]
	v_mov_b32_e32 v117, v113
	ds_load_2addr_b64 v[112:115], v160 offset0:19 offset1:20
	v_pk_add_f32 v[80:81], v[80:81], v[118:119] neg_lo:[0,1] neg_hi:[0,1]
	v_pk_add_f32 v[82:83], v[82:83], v[116:117] neg_lo:[0,1] neg_hi:[0,1]
	s_wait_dscnt 0x0
	v_dual_mul_f32 v116, v113, v111 :: v_dual_mul_f32 v118, v113, v108
	s_delay_alu instid0(VALU_DEP_1) | instskip(NEXT) | instid1(VALU_DEP_2)
	v_pk_fma_f32 v[116:117], v[112:113], v[56:57], v[116:117] op_sel_hi:[1,1,0] neg_lo:[0,0,1] neg_hi:[0,0,1]
	v_pk_fma_f32 v[112:113], v[112:113], v[56:57], v[118:119] op_sel:[1,0,0] op_sel_hi:[0,1,0]
	s_delay_alu instid0(VALU_DEP_1) | instskip(SKIP_1) | instid1(VALU_DEP_2)
	v_mov_b32_e32 v117, v113
	v_pk_mul_f32 v[112:113], v[114:115], v[110:111] op_sel:[0,1]
	v_pk_add_f32 v[78:79], v[78:79], v[116:117] neg_lo:[0,1] neg_hi:[0,1]
	s_delay_alu instid0(VALU_DEP_2) | instskip(SKIP_1) | instid1(VALU_DEP_1)
	v_pk_fma_f32 v[116:117], v[114:115], v[108:109], v[112:113] op_sel:[0,0,1] op_sel_hi:[1,1,0] neg_lo:[0,0,1] neg_hi:[0,0,1]
	v_pk_fma_f32 v[112:113], v[114:115], v[108:109], v[112:113] op_sel:[0,0,1] op_sel_hi:[1,0,0]
	v_mov_b32_e32 v117, v113
	ds_load_2addr_b64 v[112:115], v160 offset0:21 offset1:22
	v_pk_add_f32 v[96:97], v[96:97], v[116:117] neg_lo:[0,1] neg_hi:[0,1]
	s_wait_dscnt 0x0
	v_pk_mul_f32 v[116:117], v[112:113], v[110:111] op_sel:[0,1]
	s_delay_alu instid0(VALU_DEP_1) | instskip(SKIP_1) | instid1(VALU_DEP_1)
	v_pk_fma_f32 v[118:119], v[112:113], v[108:109], v[116:117] op_sel:[0,0,1] op_sel_hi:[1,1,0] neg_lo:[0,0,1] neg_hi:[0,0,1]
	v_pk_fma_f32 v[112:113], v[112:113], v[108:109], v[116:117] op_sel:[0,0,1] op_sel_hi:[1,0,0]
	v_mov_b32_e32 v119, v113
	v_pk_mul_f32 v[112:113], v[114:115], v[110:111] op_sel:[0,1]
	s_delay_alu instid0(VALU_DEP_2) | instskip(NEXT) | instid1(VALU_DEP_2)
	v_pk_add_f32 v[94:95], v[94:95], v[118:119] neg_lo:[0,1] neg_hi:[0,1]
	v_pk_fma_f32 v[116:117], v[114:115], v[108:109], v[112:113] op_sel:[0,0,1] op_sel_hi:[1,1,0] neg_lo:[0,0,1] neg_hi:[0,0,1]
	v_pk_fma_f32 v[112:113], v[114:115], v[108:109], v[112:113] op_sel:[0,0,1] op_sel_hi:[1,0,0]
	s_delay_alu instid0(VALU_DEP_1) | instskip(SKIP_4) | instid1(VALU_DEP_1)
	v_mov_b32_e32 v117, v113
	ds_load_2addr_b64 v[112:115], v160 offset0:23 offset1:24
	v_pk_add_f32 v[102:103], v[102:103], v[116:117] neg_lo:[0,1] neg_hi:[0,1]
	s_wait_dscnt 0x0
	v_pk_mul_f32 v[116:117], v[112:113], v[110:111] op_sel:[0,1]
	v_pk_fma_f32 v[118:119], v[112:113], v[108:109], v[116:117] op_sel:[0,0,1] op_sel_hi:[1,1,0] neg_lo:[0,0,1] neg_hi:[0,0,1]
	v_pk_fma_f32 v[112:113], v[112:113], v[108:109], v[116:117] op_sel:[0,0,1] op_sel_hi:[1,0,0]
	v_dual_mul_f32 v116, v115, v111 :: v_dual_mov_b32 v112, v115
	s_delay_alu instid0(VALU_DEP_2) | instskip(NEXT) | instid1(VALU_DEP_2)
	v_dual_mov_b32 v119, v113 :: v_dual_mov_b32 v113, v114
	v_pk_fma_f32 v[116:117], v[114:115], v[56:57], v[116:117] op_sel_hi:[1,1,0] neg_lo:[0,0,1] neg_hi:[0,0,1]
	v_mul_f32_e32 v114, v115, v108
	s_delay_alu instid0(VALU_DEP_3) | instskip(NEXT) | instid1(VALU_DEP_2)
	v_pk_add_f32 v[100:101], v[100:101], v[118:119] neg_lo:[0,1] neg_hi:[0,1]
	v_pk_fma_f32 v[112:113], v[112:113], v[56:57], v[114:115] op_sel_hi:[1,1,0]
	s_delay_alu instid0(VALU_DEP_1) | instskip(SKIP_4) | instid1(VALU_DEP_1)
	v_mov_b32_e32 v117, v113
	ds_load_b64 v[112:113], v160 offset:200
	v_pk_add_f32 v[98:99], v[98:99], v[116:117] neg_lo:[0,1] neg_hi:[0,1]
	s_wait_dscnt 0x0
	v_pk_mul_f32 v[110:111], v[112:113], v[110:111] op_sel:[0,1]
	v_pk_fma_f32 v[114:115], v[112:113], v[108:109], v[110:111] op_sel:[0,0,1] op_sel_hi:[1,1,0] neg_lo:[0,0,1] neg_hi:[0,0,1]
	v_pk_fma_f32 v[108:109], v[112:113], v[108:109], v[110:111] op_sel:[0,0,1] op_sel_hi:[1,0,0]
	s_delay_alu instid0(VALU_DEP_1) | instskip(NEXT) | instid1(VALU_DEP_1)
	v_mov_b32_e32 v115, v109
	v_pk_add_f32 v[104:105], v[104:105], v[114:115] neg_lo:[0,1] neg_hi:[0,1]
.LBB51_10:
	s_or_b32 exec_lo, exec_lo, s2
	s_delay_alu instid0(SALU_CYCLE_1)
	s_mov_b32 s2, exec_lo
	s_wait_dscnt 0x0
	s_barrier_signal -1
	s_barrier_wait -1
	v_cmpx_eq_u32_e32 1, v158
	s_cbranch_execz .LBB51_17
; %bb.11:
	v_dual_mov_b32 v108, v48 :: v_dual_mov_b32 v109, v49
	v_dual_mov_b32 v110, v46 :: v_dual_mov_b32 v111, v47
	ds_store_b64 v159, v[58:59]
	ds_store_2addr_b64 v160, v[108:109], v[110:111] offset0:2 offset1:3
	v_dual_mov_b32 v108, v28 :: v_dual_mov_b32 v109, v29
	v_dual_mov_b32 v110, v24 :: v_dual_mov_b32 v111, v25
	ds_store_2addr_b64 v160, v[108:109], v[110:111] offset0:4 offset1:5
	v_dual_mov_b32 v108, v26 :: v_dual_mov_b32 v109, v27
	v_dual_mov_b32 v110, v22 :: v_dual_mov_b32 v111, v23
	;; [unrolled: 3-line block ×10, first 2 shown]
	ds_store_2addr_b64 v160, v[108:109], v[110:111] offset0:22 offset1:23
	v_dual_mov_b32 v108, v98 :: v_dual_mov_b32 v109, v99
	ds_store_2addr_b64 v160, v[108:109], v[104:105] offset0:24 offset1:25
	ds_load_b64 v[108:109], v159
	s_wait_dscnt 0x0
	v_cmp_neq_f32_e32 vcc_lo, 0, v108
	v_cmp_neq_f32_e64 s1, 0, v109
	s_or_b32 s1, vcc_lo, s1
	s_delay_alu instid0(SALU_CYCLE_1)
	s_and_b32 exec_lo, exec_lo, s1
	s_cbranch_execz .LBB51_17
; %bb.12:
	v_cmp_ngt_f32_e64 s1, |v108|, |v109|
                                        ; implicit-def: $vgpr110_vgpr111
	s_and_saveexec_b32 s4, s1
	s_delay_alu instid0(SALU_CYCLE_1)
	s_xor_b32 s1, exec_lo, s4
	s_cbranch_execz .LBB51_14
; %bb.13:
	v_div_scale_f32 v110, null, v109, v109, v108
	v_div_scale_f32 v113, vcc_lo, v108, v109, v108
	s_delay_alu instid0(VALU_DEP_2) | instskip(SKIP_1) | instid1(TRANS32_DEP_1)
	v_rcp_f32_e32 v111, v110
	v_nop
	v_fma_f32 v112, -v110, v111, 1.0
	s_delay_alu instid0(VALU_DEP_1) | instskip(NEXT) | instid1(VALU_DEP_1)
	v_fmac_f32_e32 v111, v112, v111
	v_mul_f32_e32 v112, v113, v111
	s_delay_alu instid0(VALU_DEP_1) | instskip(NEXT) | instid1(VALU_DEP_1)
	v_fma_f32 v114, -v110, v112, v113
	v_fmac_f32_e32 v112, v114, v111
	s_delay_alu instid0(VALU_DEP_1) | instskip(NEXT) | instid1(VALU_DEP_1)
	v_fma_f32 v110, -v110, v112, v113
	v_div_fmas_f32 v110, v110, v111, v112
	s_delay_alu instid0(VALU_DEP_1) | instskip(NEXT) | instid1(VALU_DEP_1)
	v_div_fixup_f32 v110, v110, v109, v108
	v_fmac_f32_e32 v109, v108, v110
	s_delay_alu instid0(VALU_DEP_1) | instskip(SKIP_1) | instid1(VALU_DEP_2)
	v_div_scale_f32 v108, null, v109, v109, 1.0
	v_div_scale_f32 v113, vcc_lo, 1.0, v109, 1.0
	v_rcp_f32_e32 v111, v108
	v_nop
	s_delay_alu instid0(TRANS32_DEP_1) | instskip(NEXT) | instid1(VALU_DEP_1)
	v_fma_f32 v112, -v108, v111, 1.0
	v_fmac_f32_e32 v111, v112, v111
	s_delay_alu instid0(VALU_DEP_1) | instskip(NEXT) | instid1(VALU_DEP_1)
	v_mul_f32_e32 v112, v113, v111
	v_fma_f32 v114, -v108, v112, v113
	s_delay_alu instid0(VALU_DEP_1) | instskip(NEXT) | instid1(VALU_DEP_1)
	v_fmac_f32_e32 v112, v114, v111
	v_fma_f32 v108, -v108, v112, v113
	s_delay_alu instid0(VALU_DEP_1) | instskip(NEXT) | instid1(VALU_DEP_1)
	v_div_fmas_f32 v108, v108, v111, v112
	v_div_fixup_f32 v108, v108, v109, 1.0
	s_delay_alu instid0(VALU_DEP_1)
	v_mul_f32_e32 v110, v110, v108
	v_xor_b32_e32 v111, 0x80000000, v108
                                        ; implicit-def: $vgpr108_vgpr109
.LBB51_14:
	s_and_not1_saveexec_b32 s1, s1
	s_cbranch_execz .LBB51_16
; %bb.15:
	v_div_scale_f32 v110, null, v108, v108, v109
	v_div_scale_f32 v113, vcc_lo, v109, v108, v109
	s_delay_alu instid0(VALU_DEP_2) | instskip(SKIP_1) | instid1(TRANS32_DEP_1)
	v_rcp_f32_e32 v111, v110
	v_nop
	v_fma_f32 v112, -v110, v111, 1.0
	s_delay_alu instid0(VALU_DEP_1) | instskip(NEXT) | instid1(VALU_DEP_1)
	v_fmac_f32_e32 v111, v112, v111
	v_mul_f32_e32 v112, v113, v111
	s_delay_alu instid0(VALU_DEP_1) | instskip(NEXT) | instid1(VALU_DEP_1)
	v_fma_f32 v114, -v110, v112, v113
	v_fmac_f32_e32 v112, v114, v111
	s_delay_alu instid0(VALU_DEP_1) | instskip(NEXT) | instid1(VALU_DEP_1)
	v_fma_f32 v110, -v110, v112, v113
	v_div_fmas_f32 v110, v110, v111, v112
	s_delay_alu instid0(VALU_DEP_1) | instskip(NEXT) | instid1(VALU_DEP_1)
	v_div_fixup_f32 v111, v110, v108, v109
	v_fmac_f32_e32 v108, v109, v111
	s_delay_alu instid0(VALU_DEP_1) | instskip(NEXT) | instid1(VALU_DEP_1)
	v_div_scale_f32 v109, null, v108, v108, 1.0
	v_rcp_f32_e32 v110, v109
	v_nop
	s_delay_alu instid0(TRANS32_DEP_1) | instskip(NEXT) | instid1(VALU_DEP_1)
	v_fma_f32 v112, -v109, v110, 1.0
	v_fmac_f32_e32 v110, v112, v110
	v_div_scale_f32 v112, vcc_lo, 1.0, v108, 1.0
	s_delay_alu instid0(VALU_DEP_1) | instskip(NEXT) | instid1(VALU_DEP_1)
	v_mul_f32_e32 v113, v112, v110
	v_fma_f32 v114, -v109, v113, v112
	s_delay_alu instid0(VALU_DEP_1) | instskip(NEXT) | instid1(VALU_DEP_1)
	v_fmac_f32_e32 v113, v114, v110
	v_fma_f32 v109, -v109, v113, v112
	s_delay_alu instid0(VALU_DEP_1) | instskip(NEXT) | instid1(VALU_DEP_1)
	v_div_fmas_f32 v109, v109, v110, v113
	v_div_fixup_f32 v110, v109, v108, 1.0
	s_delay_alu instid0(VALU_DEP_1)
	v_mul_f32_e64 v111, v111, -v110
.LBB51_16:
	s_or_b32 exec_lo, exec_lo, s1
	ds_store_b64 v159, v[110:111]
.LBB51_17:
	s_or_b32 exec_lo, exec_lo, s2
	s_wait_dscnt 0x0
	s_barrier_signal -1
	s_barrier_wait -1
	ds_load_b64 v[108:109], v159
	s_mov_b32 s1, exec_lo
	v_cmpx_lt_u32_e32 1, v158
	s_cbranch_execz .LBB51_19
; %bb.18:
	ds_load_2addr_b64 v[114:117], v160 offset0:2 offset1:3
	s_wait_dscnt 0x1
	v_pk_mul_f32 v[112:113], v[108:109], v[58:59] op_sel:[1,1] op_sel_hi:[0,1]
	s_delay_alu instid0(VALU_DEP_1) | instskip(SKIP_1) | instid1(VALU_DEP_1)
	v_pk_fma_f32 v[110:111], v[108:109], v[58:59], v[112:113] op_sel_hi:[1,0,1] neg_lo:[0,0,1] neg_hi:[0,0,1]
	v_pk_fma_f32 v[112:113], v[108:109], v[58:59], v[112:113] op_sel_hi:[1,0,1]
	v_dual_mov_b32 v58, v110 :: v_dual_mov_b32 v59, v113
	s_wait_dscnt 0x0
	s_delay_alu instid0(VALU_DEP_2) | instskip(NEXT) | instid1(VALU_DEP_1)
	v_pk_mul_f32 v[118:119], v[114:115], v[112:113] op_sel:[0,1]
	v_pk_fma_f32 v[120:121], v[114:115], v[110:111], v[118:119] op_sel:[0,0,1] op_sel_hi:[1,1,0] neg_lo:[0,0,1] neg_hi:[0,0,1]
	v_pk_fma_f32 v[114:115], v[114:115], v[110:111], v[118:119] op_sel:[0,0,1] op_sel_hi:[1,0,0]
	s_delay_alu instid0(VALU_DEP_1) | instskip(SKIP_1) | instid1(VALU_DEP_1)
	v_mov_b32_e32 v121, v115
	v_pk_mul_f32 v[114:115], v[116:117], v[112:113] op_sel:[0,1]
	v_pk_fma_f32 v[118:119], v[116:117], v[110:111], v[114:115] op_sel:[0,0,1] op_sel_hi:[1,1,0] neg_lo:[0,0,1] neg_hi:[0,0,1]
	v_pk_fma_f32 v[114:115], v[116:117], v[110:111], v[114:115] op_sel:[0,0,1] op_sel_hi:[1,0,0]
	s_delay_alu instid0(VALU_DEP_1)
	v_mov_b32_e32 v119, v115
	ds_load_2addr_b64 v[114:117], v160 offset0:4 offset1:5
	v_pk_add_f32 v[48:49], v[48:49], v[120:121] neg_lo:[0,1] neg_hi:[0,1]
	v_pk_add_f32 v[46:47], v[46:47], v[118:119] neg_lo:[0,1] neg_hi:[0,1]
	s_wait_dscnt 0x0
	v_pk_mul_f32 v[118:119], v[114:115], v[112:113] op_sel:[0,1]
	s_delay_alu instid0(VALU_DEP_1) | instskip(SKIP_2) | instid1(VALU_DEP_2)
	v_pk_fma_f32 v[120:121], v[114:115], v[110:111], v[118:119] op_sel:[0,0,1] op_sel_hi:[1,1,0] neg_lo:[0,0,1] neg_hi:[0,0,1]
	v_pk_fma_f32 v[114:115], v[114:115], v[110:111], v[118:119] op_sel:[0,0,1] op_sel_hi:[1,0,0]
	v_dual_mul_f32 v118, v117, v113 :: v_dual_mov_b32 v114, v117
	v_dual_mov_b32 v121, v115 :: v_dual_mov_b32 v115, v116
	s_delay_alu instid0(VALU_DEP_2) | instskip(SKIP_1) | instid1(VALU_DEP_3)
	v_pk_fma_f32 v[118:119], v[116:117], v[58:59], v[118:119] op_sel_hi:[1,1,0] neg_lo:[0,0,1] neg_hi:[0,0,1]
	v_mul_f32_e32 v116, v117, v110
	v_pk_add_f32 v[28:29], v[28:29], v[120:121] neg_lo:[0,1] neg_hi:[0,1]
	s_delay_alu instid0(VALU_DEP_2) | instskip(NEXT) | instid1(VALU_DEP_1)
	v_pk_fma_f32 v[114:115], v[114:115], v[58:59], v[116:117] op_sel_hi:[1,1,0]
	v_mov_b32_e32 v119, v115
	ds_load_2addr_b64 v[114:117], v160 offset0:6 offset1:7
	v_pk_add_f32 v[24:25], v[24:25], v[118:119] neg_lo:[0,1] neg_hi:[0,1]
	s_wait_dscnt 0x0
	v_pk_mul_f32 v[118:119], v[114:115], v[112:113] op_sel:[0,1]
	s_delay_alu instid0(VALU_DEP_1) | instskip(SKIP_1) | instid1(VALU_DEP_1)
	v_pk_fma_f32 v[120:121], v[114:115], v[110:111], v[118:119] op_sel:[0,0,1] op_sel_hi:[1,1,0] neg_lo:[0,0,1] neg_hi:[0,0,1]
	v_pk_fma_f32 v[114:115], v[114:115], v[110:111], v[118:119] op_sel:[0,0,1] op_sel_hi:[1,0,0]
	v_mov_b32_e32 v121, v115
	v_pk_mul_f32 v[114:115], v[116:117], v[112:113] op_sel:[0,1]
	s_delay_alu instid0(VALU_DEP_1) | instskip(SKIP_1) | instid1(VALU_DEP_1)
	v_pk_fma_f32 v[118:119], v[116:117], v[110:111], v[114:115] op_sel:[0,0,1] op_sel_hi:[1,1,0] neg_lo:[0,0,1] neg_hi:[0,0,1]
	v_pk_fma_f32 v[114:115], v[116:117], v[110:111], v[114:115] op_sel:[0,0,1] op_sel_hi:[1,0,0]
	v_mov_b32_e32 v119, v115
	ds_load_2addr_b64 v[114:117], v160 offset0:8 offset1:9
	v_pk_add_f32 v[26:27], v[26:27], v[120:121] neg_lo:[0,1] neg_hi:[0,1]
	v_pk_add_f32 v[22:23], v[22:23], v[118:119] neg_lo:[0,1] neg_hi:[0,1]
	s_wait_dscnt 0x0
	v_pk_mul_f32 v[118:119], v[114:115], v[112:113] op_sel:[0,1]
	s_delay_alu instid0(VALU_DEP_1) | instskip(SKIP_1) | instid1(VALU_DEP_1)
	v_pk_fma_f32 v[120:121], v[114:115], v[110:111], v[118:119] op_sel:[0,0,1] op_sel_hi:[1,1,0] neg_lo:[0,0,1] neg_hi:[0,0,1]
	v_pk_fma_f32 v[114:115], v[114:115], v[110:111], v[118:119] op_sel:[0,0,1] op_sel_hi:[1,0,0]
	v_mov_b32_e32 v121, v115
	v_pk_mul_f32 v[114:115], v[116:117], v[112:113] op_sel:[0,1]
	s_delay_alu instid0(VALU_DEP_1) | instskip(SKIP_1) | instid1(VALU_DEP_1)
	v_pk_fma_f32 v[118:119], v[116:117], v[110:111], v[114:115] op_sel:[0,0,1] op_sel_hi:[1,1,0] neg_lo:[0,0,1] neg_hi:[0,0,1]
	v_pk_fma_f32 v[114:115], v[116:117], v[110:111], v[114:115] op_sel:[0,0,1] op_sel_hi:[1,0,0]
	v_mov_b32_e32 v119, v115
	ds_load_2addr_b64 v[114:117], v160 offset0:10 offset1:11
	v_pk_add_f32 v[42:43], v[42:43], v[120:121] neg_lo:[0,1] neg_hi:[0,1]
	v_pk_add_f32 v[38:39], v[38:39], v[118:119] neg_lo:[0,1] neg_hi:[0,1]
	s_wait_dscnt 0x0
	v_dual_mul_f32 v118, v115, v113 :: v_dual_mul_f32 v120, v115, v110
	s_delay_alu instid0(VALU_DEP_1) | instskip(NEXT) | instid1(VALU_DEP_2)
	v_pk_fma_f32 v[118:119], v[114:115], v[58:59], v[118:119] op_sel_hi:[1,1,0] neg_lo:[0,0,1] neg_hi:[0,0,1]
	v_pk_fma_f32 v[114:115], v[114:115], v[58:59], v[120:121] op_sel:[1,0,0] op_sel_hi:[0,1,0]
	s_delay_alu instid0(VALU_DEP_1) | instskip(SKIP_1) | instid1(VALU_DEP_2)
	v_mov_b32_e32 v119, v115
	v_pk_mul_f32 v[114:115], v[116:117], v[112:113] op_sel:[0,1]
	v_pk_add_f32 v[40:41], v[40:41], v[118:119] neg_lo:[0,1] neg_hi:[0,1]
	s_delay_alu instid0(VALU_DEP_2) | instskip(SKIP_1) | instid1(VALU_DEP_1)
	v_pk_fma_f32 v[118:119], v[116:117], v[110:111], v[114:115] op_sel:[0,0,1] op_sel_hi:[1,1,0] neg_lo:[0,0,1] neg_hi:[0,0,1]
	v_pk_fma_f32 v[114:115], v[116:117], v[110:111], v[114:115] op_sel:[0,0,1] op_sel_hi:[1,0,0]
	v_mov_b32_e32 v119, v115
	ds_load_2addr_b64 v[114:117], v160 offset0:12 offset1:13
	v_pk_add_f32 v[36:37], v[36:37], v[118:119] neg_lo:[0,1] neg_hi:[0,1]
	s_wait_dscnt 0x0
	v_pk_mul_f32 v[118:119], v[114:115], v[112:113] op_sel:[0,1]
	s_delay_alu instid0(VALU_DEP_1) | instskip(SKIP_1) | instid1(VALU_DEP_1)
	v_pk_fma_f32 v[120:121], v[114:115], v[110:111], v[118:119] op_sel:[0,0,1] op_sel_hi:[1,1,0] neg_lo:[0,0,1] neg_hi:[0,0,1]
	v_pk_fma_f32 v[114:115], v[114:115], v[110:111], v[118:119] op_sel:[0,0,1] op_sel_hi:[1,0,0]
	v_mov_b32_e32 v121, v115
	v_pk_mul_f32 v[114:115], v[116:117], v[112:113] op_sel:[0,1]
	s_delay_alu instid0(VALU_DEP_2) | instskip(NEXT) | instid1(VALU_DEP_2)
	v_pk_add_f32 v[66:67], v[66:67], v[120:121] neg_lo:[0,1] neg_hi:[0,1]
	v_pk_fma_f32 v[118:119], v[116:117], v[110:111], v[114:115] op_sel:[0,0,1] op_sel_hi:[1,1,0] neg_lo:[0,0,1] neg_hi:[0,0,1]
	v_pk_fma_f32 v[114:115], v[116:117], v[110:111], v[114:115] op_sel:[0,0,1] op_sel_hi:[1,0,0]
	s_delay_alu instid0(VALU_DEP_1) | instskip(SKIP_4) | instid1(VALU_DEP_1)
	v_mov_b32_e32 v119, v115
	ds_load_2addr_b64 v[114:117], v160 offset0:14 offset1:15
	v_pk_add_f32 v[62:63], v[62:63], v[118:119] neg_lo:[0,1] neg_hi:[0,1]
	s_wait_dscnt 0x0
	v_pk_mul_f32 v[118:119], v[114:115], v[112:113] op_sel:[0,1]
	v_pk_fma_f32 v[120:121], v[114:115], v[110:111], v[118:119] op_sel:[0,0,1] op_sel_hi:[1,1,0] neg_lo:[0,0,1] neg_hi:[0,0,1]
	v_pk_fma_f32 v[114:115], v[114:115], v[110:111], v[118:119] op_sel:[0,0,1] op_sel_hi:[1,0,0]
	v_dual_mul_f32 v118, v117, v113 :: v_dual_mov_b32 v114, v117
	s_delay_alu instid0(VALU_DEP_2) | instskip(NEXT) | instid1(VALU_DEP_2)
	v_dual_mov_b32 v121, v115 :: v_dual_mov_b32 v115, v116
	v_pk_fma_f32 v[118:119], v[116:117], v[58:59], v[118:119] op_sel_hi:[1,1,0] neg_lo:[0,0,1] neg_hi:[0,0,1]
	v_mul_f32_e32 v116, v117, v110
	s_delay_alu instid0(VALU_DEP_3) | instskip(NEXT) | instid1(VALU_DEP_2)
	v_pk_add_f32 v[64:65], v[64:65], v[120:121] neg_lo:[0,1] neg_hi:[0,1]
	v_pk_fma_f32 v[114:115], v[114:115], v[58:59], v[116:117] op_sel_hi:[1,1,0]
	s_delay_alu instid0(VALU_DEP_1) | instskip(SKIP_4) | instid1(VALU_DEP_1)
	v_mov_b32_e32 v119, v115
	ds_load_2addr_b64 v[114:117], v160 offset0:16 offset1:17
	v_pk_add_f32 v[60:61], v[60:61], v[118:119] neg_lo:[0,1] neg_hi:[0,1]
	s_wait_dscnt 0x0
	v_pk_mul_f32 v[118:119], v[114:115], v[112:113] op_sel:[0,1]
	v_pk_fma_f32 v[120:121], v[114:115], v[110:111], v[118:119] op_sel:[0,0,1] op_sel_hi:[1,1,0] neg_lo:[0,0,1] neg_hi:[0,0,1]
	v_pk_fma_f32 v[114:115], v[114:115], v[110:111], v[118:119] op_sel:[0,0,1] op_sel_hi:[1,0,0]
	s_delay_alu instid0(VALU_DEP_1) | instskip(SKIP_1) | instid1(VALU_DEP_1)
	v_mov_b32_e32 v121, v115
	v_pk_mul_f32 v[114:115], v[116:117], v[112:113] op_sel:[0,1]
	v_pk_fma_f32 v[118:119], v[116:117], v[110:111], v[114:115] op_sel:[0,0,1] op_sel_hi:[1,1,0] neg_lo:[0,0,1] neg_hi:[0,0,1]
	v_pk_fma_f32 v[114:115], v[116:117], v[110:111], v[114:115] op_sel:[0,0,1] op_sel_hi:[1,0,0]
	s_delay_alu instid0(VALU_DEP_1)
	v_mov_b32_e32 v119, v115
	ds_load_2addr_b64 v[114:117], v160 offset0:18 offset1:19
	v_pk_add_f32 v[84:85], v[84:85], v[120:121] neg_lo:[0,1] neg_hi:[0,1]
	v_pk_add_f32 v[80:81], v[80:81], v[118:119] neg_lo:[0,1] neg_hi:[0,1]
	s_wait_dscnt 0x0
	v_pk_mul_f32 v[118:119], v[114:115], v[112:113] op_sel:[0,1]
	s_delay_alu instid0(VALU_DEP_1) | instskip(SKIP_1) | instid1(VALU_DEP_1)
	v_pk_fma_f32 v[120:121], v[114:115], v[110:111], v[118:119] op_sel:[0,0,1] op_sel_hi:[1,1,0] neg_lo:[0,0,1] neg_hi:[0,0,1]
	v_pk_fma_f32 v[114:115], v[114:115], v[110:111], v[118:119] op_sel:[0,0,1] op_sel_hi:[1,0,0]
	v_mov_b32_e32 v121, v115
	v_pk_mul_f32 v[114:115], v[116:117], v[112:113] op_sel:[0,1]
	s_delay_alu instid0(VALU_DEP_1) | instskip(SKIP_1) | instid1(VALU_DEP_1)
	v_pk_fma_f32 v[118:119], v[116:117], v[110:111], v[114:115] op_sel:[0,0,1] op_sel_hi:[1,1,0] neg_lo:[0,0,1] neg_hi:[0,0,1]
	v_pk_fma_f32 v[114:115], v[116:117], v[110:111], v[114:115] op_sel:[0,0,1] op_sel_hi:[1,0,0]
	v_mov_b32_e32 v119, v115
	ds_load_2addr_b64 v[114:117], v160 offset0:20 offset1:21
	v_pk_add_f32 v[82:83], v[82:83], v[120:121] neg_lo:[0,1] neg_hi:[0,1]
	v_pk_add_f32 v[78:79], v[78:79], v[118:119] neg_lo:[0,1] neg_hi:[0,1]
	s_wait_dscnt 0x0
	v_dual_mul_f32 v118, v115, v113 :: v_dual_mul_f32 v120, v115, v110
	s_delay_alu instid0(VALU_DEP_1) | instskip(NEXT) | instid1(VALU_DEP_2)
	v_pk_fma_f32 v[118:119], v[114:115], v[58:59], v[118:119] op_sel_hi:[1,1,0] neg_lo:[0,0,1] neg_hi:[0,0,1]
	v_pk_fma_f32 v[114:115], v[114:115], v[58:59], v[120:121] op_sel:[1,0,0] op_sel_hi:[0,1,0]
	s_delay_alu instid0(VALU_DEP_1) | instskip(SKIP_1) | instid1(VALU_DEP_2)
	v_mov_b32_e32 v119, v115
	v_pk_mul_f32 v[114:115], v[116:117], v[112:113] op_sel:[0,1]
	v_pk_add_f32 v[96:97], v[96:97], v[118:119] neg_lo:[0,1] neg_hi:[0,1]
	s_delay_alu instid0(VALU_DEP_2) | instskip(SKIP_1) | instid1(VALU_DEP_1)
	v_pk_fma_f32 v[118:119], v[116:117], v[110:111], v[114:115] op_sel:[0,0,1] op_sel_hi:[1,1,0] neg_lo:[0,0,1] neg_hi:[0,0,1]
	v_pk_fma_f32 v[114:115], v[116:117], v[110:111], v[114:115] op_sel:[0,0,1] op_sel_hi:[1,0,0]
	v_mov_b32_e32 v119, v115
	ds_load_2addr_b64 v[114:117], v160 offset0:22 offset1:23
	v_pk_add_f32 v[94:95], v[94:95], v[118:119] neg_lo:[0,1] neg_hi:[0,1]
	s_wait_dscnt 0x0
	v_pk_mul_f32 v[118:119], v[114:115], v[112:113] op_sel:[0,1]
	s_delay_alu instid0(VALU_DEP_1) | instskip(SKIP_1) | instid1(VALU_DEP_1)
	v_pk_fma_f32 v[120:121], v[114:115], v[110:111], v[118:119] op_sel:[0,0,1] op_sel_hi:[1,1,0] neg_lo:[0,0,1] neg_hi:[0,0,1]
	v_pk_fma_f32 v[114:115], v[114:115], v[110:111], v[118:119] op_sel:[0,0,1] op_sel_hi:[1,0,0]
	v_mov_b32_e32 v121, v115
	v_pk_mul_f32 v[114:115], v[116:117], v[112:113] op_sel:[0,1]
	s_delay_alu instid0(VALU_DEP_2) | instskip(NEXT) | instid1(VALU_DEP_2)
	v_pk_add_f32 v[102:103], v[102:103], v[120:121] neg_lo:[0,1] neg_hi:[0,1]
	v_pk_fma_f32 v[118:119], v[116:117], v[110:111], v[114:115] op_sel:[0,0,1] op_sel_hi:[1,1,0] neg_lo:[0,0,1] neg_hi:[0,0,1]
	v_pk_fma_f32 v[114:115], v[116:117], v[110:111], v[114:115] op_sel:[0,0,1] op_sel_hi:[1,0,0]
	s_delay_alu instid0(VALU_DEP_1)
	v_mov_b32_e32 v119, v115
	ds_load_2addr_b64 v[114:117], v160 offset0:24 offset1:25
	v_pk_add_f32 v[100:101], v[100:101], v[118:119] neg_lo:[0,1] neg_hi:[0,1]
	s_wait_dscnt 0x0
	v_pk_mul_f32 v[118:119], v[114:115], v[112:113] op_sel:[0,1]
	v_mul_f32_e32 v112, v117, v113
	s_delay_alu instid0(VALU_DEP_2) | instskip(SKIP_2) | instid1(VALU_DEP_4)
	v_pk_fma_f32 v[120:121], v[114:115], v[110:111], v[118:119] op_sel:[0,0,1] op_sel_hi:[1,1,0] neg_lo:[0,0,1] neg_hi:[0,0,1]
	v_pk_fma_f32 v[114:115], v[114:115], v[110:111], v[118:119] op_sel:[0,0,1] op_sel_hi:[1,0,0]
	v_dual_mov_b32 v114, v117 :: v_dual_mul_f32 v110, v117, v110
	v_pk_fma_f32 v[112:113], v[116:117], v[58:59], v[112:113] op_sel_hi:[1,1,0] neg_lo:[0,0,1] neg_hi:[0,0,1]
	s_delay_alu instid0(VALU_DEP_3) | instskip(NEXT) | instid1(VALU_DEP_1)
	v_dual_mov_b32 v121, v115 :: v_dual_mov_b32 v115, v116
	v_pk_add_f32 v[98:99], v[98:99], v[120:121] neg_lo:[0,1] neg_hi:[0,1]
	s_delay_alu instid0(VALU_DEP_2) | instskip(NEXT) | instid1(VALU_DEP_1)
	v_pk_fma_f32 v[110:111], v[114:115], v[58:59], v[110:111] op_sel_hi:[1,1,0]
	v_mov_b32_e32 v113, v111
	s_delay_alu instid0(VALU_DEP_1)
	v_pk_add_f32 v[104:105], v[104:105], v[112:113] neg_lo:[0,1] neg_hi:[0,1]
.LBB51_19:
	s_or_b32 exec_lo, exec_lo, s1
	s_delay_alu instid0(SALU_CYCLE_1)
	s_mov_b32 s2, exec_lo
	s_wait_dscnt 0x0
	s_barrier_signal -1
	s_barrier_wait -1
	v_cmpx_eq_u32_e32 2, v158
	s_cbranch_execz .LBB51_26
; %bb.20:
	ds_store_b64 v159, v[48:49]
	ds_store_2addr_b64 v160, v[46:47], v[28:29] offset0:3 offset1:4
	ds_store_2addr_b64 v160, v[24:25], v[26:27] offset0:5 offset1:6
	;; [unrolled: 1-line block ×11, first 2 shown]
	ds_store_b64 v160, v[104:105] offset:200
	ds_load_b64 v[110:111], v159
	s_wait_dscnt 0x0
	v_cmp_neq_f32_e32 vcc_lo, 0, v110
	v_cmp_neq_f32_e64 s1, 0, v111
	s_or_b32 s1, vcc_lo, s1
	s_delay_alu instid0(SALU_CYCLE_1)
	s_and_b32 exec_lo, exec_lo, s1
	s_cbranch_execz .LBB51_26
; %bb.21:
	v_cmp_ngt_f32_e64 s1, |v110|, |v111|
                                        ; implicit-def: $vgpr112_vgpr113
	s_and_saveexec_b32 s4, s1
	s_delay_alu instid0(SALU_CYCLE_1)
	s_xor_b32 s1, exec_lo, s4
	s_cbranch_execz .LBB51_23
; %bb.22:
	v_div_scale_f32 v112, null, v111, v111, v110
	v_div_scale_f32 v115, vcc_lo, v110, v111, v110
	s_delay_alu instid0(VALU_DEP_2) | instskip(SKIP_1) | instid1(TRANS32_DEP_1)
	v_rcp_f32_e32 v113, v112
	v_nop
	v_fma_f32 v114, -v112, v113, 1.0
	s_delay_alu instid0(VALU_DEP_1) | instskip(NEXT) | instid1(VALU_DEP_1)
	v_fmac_f32_e32 v113, v114, v113
	v_mul_f32_e32 v114, v115, v113
	s_delay_alu instid0(VALU_DEP_1) | instskip(NEXT) | instid1(VALU_DEP_1)
	v_fma_f32 v116, -v112, v114, v115
	v_fmac_f32_e32 v114, v116, v113
	s_delay_alu instid0(VALU_DEP_1) | instskip(NEXT) | instid1(VALU_DEP_1)
	v_fma_f32 v112, -v112, v114, v115
	v_div_fmas_f32 v112, v112, v113, v114
	s_delay_alu instid0(VALU_DEP_1) | instskip(NEXT) | instid1(VALU_DEP_1)
	v_div_fixup_f32 v112, v112, v111, v110
	v_fmac_f32_e32 v111, v110, v112
	s_delay_alu instid0(VALU_DEP_1) | instskip(SKIP_1) | instid1(VALU_DEP_2)
	v_div_scale_f32 v110, null, v111, v111, 1.0
	v_div_scale_f32 v115, vcc_lo, 1.0, v111, 1.0
	v_rcp_f32_e32 v113, v110
	v_nop
	s_delay_alu instid0(TRANS32_DEP_1) | instskip(NEXT) | instid1(VALU_DEP_1)
	v_fma_f32 v114, -v110, v113, 1.0
	v_fmac_f32_e32 v113, v114, v113
	s_delay_alu instid0(VALU_DEP_1) | instskip(NEXT) | instid1(VALU_DEP_1)
	v_mul_f32_e32 v114, v115, v113
	v_fma_f32 v116, -v110, v114, v115
	s_delay_alu instid0(VALU_DEP_1) | instskip(NEXT) | instid1(VALU_DEP_1)
	v_fmac_f32_e32 v114, v116, v113
	v_fma_f32 v110, -v110, v114, v115
	s_delay_alu instid0(VALU_DEP_1) | instskip(NEXT) | instid1(VALU_DEP_1)
	v_div_fmas_f32 v110, v110, v113, v114
	v_div_fixup_f32 v110, v110, v111, 1.0
	s_delay_alu instid0(VALU_DEP_1)
	v_mul_f32_e32 v112, v112, v110
	v_xor_b32_e32 v113, 0x80000000, v110
                                        ; implicit-def: $vgpr110_vgpr111
.LBB51_23:
	s_and_not1_saveexec_b32 s1, s1
	s_cbranch_execz .LBB51_25
; %bb.24:
	v_div_scale_f32 v112, null, v110, v110, v111
	v_div_scale_f32 v115, vcc_lo, v111, v110, v111
	s_delay_alu instid0(VALU_DEP_2) | instskip(SKIP_1) | instid1(TRANS32_DEP_1)
	v_rcp_f32_e32 v113, v112
	v_nop
	v_fma_f32 v114, -v112, v113, 1.0
	s_delay_alu instid0(VALU_DEP_1) | instskip(NEXT) | instid1(VALU_DEP_1)
	v_fmac_f32_e32 v113, v114, v113
	v_mul_f32_e32 v114, v115, v113
	s_delay_alu instid0(VALU_DEP_1) | instskip(NEXT) | instid1(VALU_DEP_1)
	v_fma_f32 v116, -v112, v114, v115
	v_fmac_f32_e32 v114, v116, v113
	s_delay_alu instid0(VALU_DEP_1) | instskip(NEXT) | instid1(VALU_DEP_1)
	v_fma_f32 v112, -v112, v114, v115
	v_div_fmas_f32 v112, v112, v113, v114
	s_delay_alu instid0(VALU_DEP_1) | instskip(NEXT) | instid1(VALU_DEP_1)
	v_div_fixup_f32 v113, v112, v110, v111
	v_fmac_f32_e32 v110, v111, v113
	s_delay_alu instid0(VALU_DEP_1) | instskip(NEXT) | instid1(VALU_DEP_1)
	v_div_scale_f32 v111, null, v110, v110, 1.0
	v_rcp_f32_e32 v112, v111
	v_nop
	s_delay_alu instid0(TRANS32_DEP_1) | instskip(NEXT) | instid1(VALU_DEP_1)
	v_fma_f32 v114, -v111, v112, 1.0
	v_fmac_f32_e32 v112, v114, v112
	v_div_scale_f32 v114, vcc_lo, 1.0, v110, 1.0
	s_delay_alu instid0(VALU_DEP_1) | instskip(NEXT) | instid1(VALU_DEP_1)
	v_mul_f32_e32 v115, v114, v112
	v_fma_f32 v116, -v111, v115, v114
	s_delay_alu instid0(VALU_DEP_1) | instskip(NEXT) | instid1(VALU_DEP_1)
	v_fmac_f32_e32 v115, v116, v112
	v_fma_f32 v111, -v111, v115, v114
	s_delay_alu instid0(VALU_DEP_1) | instskip(NEXT) | instid1(VALU_DEP_1)
	v_div_fmas_f32 v111, v111, v112, v115
	v_div_fixup_f32 v112, v111, v110, 1.0
	s_delay_alu instid0(VALU_DEP_1)
	v_mul_f32_e64 v113, v113, -v112
.LBB51_25:
	s_or_b32 exec_lo, exec_lo, s1
	ds_store_b64 v159, v[112:113]
.LBB51_26:
	s_or_b32 exec_lo, exec_lo, s2
	s_wait_dscnt 0x0
	s_barrier_signal -1
	s_barrier_wait -1
	ds_load_b64 v[110:111], v159
	s_mov_b32 s1, exec_lo
	v_cmpx_lt_u32_e32 2, v158
	s_cbranch_execz .LBB51_28
; %bb.27:
	ds_load_2addr_b64 v[116:119], v160 offset0:3 offset1:4
	s_wait_dscnt 0x1
	v_pk_mul_f32 v[114:115], v[110:111], v[48:49] op_sel:[1,1] op_sel_hi:[0,1]
	s_delay_alu instid0(VALU_DEP_1) | instskip(SKIP_1) | instid1(VALU_DEP_1)
	v_pk_fma_f32 v[112:113], v[110:111], v[48:49], v[114:115] op_sel_hi:[1,0,1] neg_lo:[0,0,1] neg_hi:[0,0,1]
	v_pk_fma_f32 v[114:115], v[110:111], v[48:49], v[114:115] op_sel_hi:[1,0,1]
	v_dual_mov_b32 v48, v112 :: v_dual_mov_b32 v49, v115
	s_wait_dscnt 0x0
	s_delay_alu instid0(VALU_DEP_2) | instskip(NEXT) | instid1(VALU_DEP_1)
	v_pk_mul_f32 v[120:121], v[116:117], v[114:115] op_sel:[0,1]
	v_pk_fma_f32 v[122:123], v[116:117], v[112:113], v[120:121] op_sel:[0,0,1] op_sel_hi:[1,1,0] neg_lo:[0,0,1] neg_hi:[0,0,1]
	v_pk_fma_f32 v[116:117], v[116:117], v[112:113], v[120:121] op_sel:[0,0,1] op_sel_hi:[1,0,0]
	s_delay_alu instid0(VALU_DEP_1) | instskip(SKIP_1) | instid1(VALU_DEP_1)
	v_mov_b32_e32 v123, v117
	v_pk_mul_f32 v[116:117], v[118:119], v[114:115] op_sel:[0,1]
	v_pk_fma_f32 v[120:121], v[118:119], v[112:113], v[116:117] op_sel:[0,0,1] op_sel_hi:[1,1,0] neg_lo:[0,0,1] neg_hi:[0,0,1]
	v_pk_fma_f32 v[116:117], v[118:119], v[112:113], v[116:117] op_sel:[0,0,1] op_sel_hi:[1,0,0]
	s_delay_alu instid0(VALU_DEP_1)
	v_mov_b32_e32 v121, v117
	ds_load_2addr_b64 v[116:119], v160 offset0:5 offset1:6
	v_pk_add_f32 v[46:47], v[46:47], v[122:123] neg_lo:[0,1] neg_hi:[0,1]
	v_pk_add_f32 v[28:29], v[28:29], v[120:121] neg_lo:[0,1] neg_hi:[0,1]
	s_wait_dscnt 0x0
	v_pk_mul_f32 v[120:121], v[116:117], v[114:115] op_sel:[0,1]
	s_delay_alu instid0(VALU_DEP_1) | instskip(SKIP_2) | instid1(VALU_DEP_2)
	v_pk_fma_f32 v[122:123], v[116:117], v[112:113], v[120:121] op_sel:[0,0,1] op_sel_hi:[1,1,0] neg_lo:[0,0,1] neg_hi:[0,0,1]
	v_pk_fma_f32 v[116:117], v[116:117], v[112:113], v[120:121] op_sel:[0,0,1] op_sel_hi:[1,0,0]
	v_dual_mul_f32 v120, v119, v115 :: v_dual_mov_b32 v116, v119
	v_dual_mov_b32 v123, v117 :: v_dual_mov_b32 v117, v118
	s_delay_alu instid0(VALU_DEP_2) | instskip(SKIP_1) | instid1(VALU_DEP_3)
	v_pk_fma_f32 v[120:121], v[118:119], v[48:49], v[120:121] op_sel_hi:[1,1,0] neg_lo:[0,0,1] neg_hi:[0,0,1]
	v_mul_f32_e32 v118, v119, v112
	v_pk_add_f32 v[24:25], v[24:25], v[122:123] neg_lo:[0,1] neg_hi:[0,1]
	s_delay_alu instid0(VALU_DEP_2) | instskip(NEXT) | instid1(VALU_DEP_1)
	v_pk_fma_f32 v[116:117], v[116:117], v[48:49], v[118:119] op_sel_hi:[1,1,0]
	v_mov_b32_e32 v121, v117
	ds_load_2addr_b64 v[116:119], v160 offset0:7 offset1:8
	v_pk_add_f32 v[26:27], v[26:27], v[120:121] neg_lo:[0,1] neg_hi:[0,1]
	s_wait_dscnt 0x0
	v_pk_mul_f32 v[120:121], v[116:117], v[114:115] op_sel:[0,1]
	s_delay_alu instid0(VALU_DEP_1) | instskip(SKIP_1) | instid1(VALU_DEP_1)
	v_pk_fma_f32 v[122:123], v[116:117], v[112:113], v[120:121] op_sel:[0,0,1] op_sel_hi:[1,1,0] neg_lo:[0,0,1] neg_hi:[0,0,1]
	v_pk_fma_f32 v[116:117], v[116:117], v[112:113], v[120:121] op_sel:[0,0,1] op_sel_hi:[1,0,0]
	v_mov_b32_e32 v123, v117
	v_pk_mul_f32 v[116:117], v[118:119], v[114:115] op_sel:[0,1]
	s_delay_alu instid0(VALU_DEP_1) | instskip(SKIP_1) | instid1(VALU_DEP_1)
	v_pk_fma_f32 v[120:121], v[118:119], v[112:113], v[116:117] op_sel:[0,0,1] op_sel_hi:[1,1,0] neg_lo:[0,0,1] neg_hi:[0,0,1]
	v_pk_fma_f32 v[116:117], v[118:119], v[112:113], v[116:117] op_sel:[0,0,1] op_sel_hi:[1,0,0]
	v_mov_b32_e32 v121, v117
	ds_load_2addr_b64 v[116:119], v160 offset0:9 offset1:10
	v_pk_add_f32 v[22:23], v[22:23], v[122:123] neg_lo:[0,1] neg_hi:[0,1]
	v_pk_add_f32 v[42:43], v[42:43], v[120:121] neg_lo:[0,1] neg_hi:[0,1]
	s_wait_dscnt 0x0
	v_pk_mul_f32 v[120:121], v[116:117], v[114:115] op_sel:[0,1]
	s_delay_alu instid0(VALU_DEP_1) | instskip(SKIP_1) | instid1(VALU_DEP_1)
	v_pk_fma_f32 v[122:123], v[116:117], v[112:113], v[120:121] op_sel:[0,0,1] op_sel_hi:[1,1,0] neg_lo:[0,0,1] neg_hi:[0,0,1]
	v_pk_fma_f32 v[116:117], v[116:117], v[112:113], v[120:121] op_sel:[0,0,1] op_sel_hi:[1,0,0]
	v_mov_b32_e32 v123, v117
	v_pk_mul_f32 v[116:117], v[118:119], v[114:115] op_sel:[0,1]
	s_delay_alu instid0(VALU_DEP_1) | instskip(SKIP_1) | instid1(VALU_DEP_1)
	v_pk_fma_f32 v[120:121], v[118:119], v[112:113], v[116:117] op_sel:[0,0,1] op_sel_hi:[1,1,0] neg_lo:[0,0,1] neg_hi:[0,0,1]
	v_pk_fma_f32 v[116:117], v[118:119], v[112:113], v[116:117] op_sel:[0,0,1] op_sel_hi:[1,0,0]
	v_mov_b32_e32 v121, v117
	ds_load_2addr_b64 v[116:119], v160 offset0:11 offset1:12
	v_pk_add_f32 v[38:39], v[38:39], v[122:123] neg_lo:[0,1] neg_hi:[0,1]
	v_pk_add_f32 v[40:41], v[40:41], v[120:121] neg_lo:[0,1] neg_hi:[0,1]
	s_wait_dscnt 0x0
	v_dual_mul_f32 v120, v117, v115 :: v_dual_mul_f32 v122, v117, v112
	s_delay_alu instid0(VALU_DEP_1) | instskip(NEXT) | instid1(VALU_DEP_2)
	v_pk_fma_f32 v[120:121], v[116:117], v[48:49], v[120:121] op_sel_hi:[1,1,0] neg_lo:[0,0,1] neg_hi:[0,0,1]
	v_pk_fma_f32 v[116:117], v[116:117], v[48:49], v[122:123] op_sel:[1,0,0] op_sel_hi:[0,1,0]
	s_delay_alu instid0(VALU_DEP_1) | instskip(SKIP_1) | instid1(VALU_DEP_2)
	v_mov_b32_e32 v121, v117
	v_pk_mul_f32 v[116:117], v[118:119], v[114:115] op_sel:[0,1]
	v_pk_add_f32 v[36:37], v[36:37], v[120:121] neg_lo:[0,1] neg_hi:[0,1]
	s_delay_alu instid0(VALU_DEP_2) | instskip(SKIP_1) | instid1(VALU_DEP_1)
	v_pk_fma_f32 v[120:121], v[118:119], v[112:113], v[116:117] op_sel:[0,0,1] op_sel_hi:[1,1,0] neg_lo:[0,0,1] neg_hi:[0,0,1]
	v_pk_fma_f32 v[116:117], v[118:119], v[112:113], v[116:117] op_sel:[0,0,1] op_sel_hi:[1,0,0]
	v_mov_b32_e32 v121, v117
	ds_load_2addr_b64 v[116:119], v160 offset0:13 offset1:14
	v_pk_add_f32 v[66:67], v[66:67], v[120:121] neg_lo:[0,1] neg_hi:[0,1]
	s_wait_dscnt 0x0
	v_pk_mul_f32 v[120:121], v[116:117], v[114:115] op_sel:[0,1]
	s_delay_alu instid0(VALU_DEP_1) | instskip(SKIP_1) | instid1(VALU_DEP_1)
	v_pk_fma_f32 v[122:123], v[116:117], v[112:113], v[120:121] op_sel:[0,0,1] op_sel_hi:[1,1,0] neg_lo:[0,0,1] neg_hi:[0,0,1]
	v_pk_fma_f32 v[116:117], v[116:117], v[112:113], v[120:121] op_sel:[0,0,1] op_sel_hi:[1,0,0]
	v_mov_b32_e32 v123, v117
	v_pk_mul_f32 v[116:117], v[118:119], v[114:115] op_sel:[0,1]
	s_delay_alu instid0(VALU_DEP_2) | instskip(NEXT) | instid1(VALU_DEP_2)
	v_pk_add_f32 v[62:63], v[62:63], v[122:123] neg_lo:[0,1] neg_hi:[0,1]
	v_pk_fma_f32 v[120:121], v[118:119], v[112:113], v[116:117] op_sel:[0,0,1] op_sel_hi:[1,1,0] neg_lo:[0,0,1] neg_hi:[0,0,1]
	v_pk_fma_f32 v[116:117], v[118:119], v[112:113], v[116:117] op_sel:[0,0,1] op_sel_hi:[1,0,0]
	s_delay_alu instid0(VALU_DEP_1) | instskip(SKIP_4) | instid1(VALU_DEP_1)
	v_mov_b32_e32 v121, v117
	ds_load_2addr_b64 v[116:119], v160 offset0:15 offset1:16
	v_pk_add_f32 v[64:65], v[64:65], v[120:121] neg_lo:[0,1] neg_hi:[0,1]
	s_wait_dscnt 0x0
	v_pk_mul_f32 v[120:121], v[116:117], v[114:115] op_sel:[0,1]
	v_pk_fma_f32 v[122:123], v[116:117], v[112:113], v[120:121] op_sel:[0,0,1] op_sel_hi:[1,1,0] neg_lo:[0,0,1] neg_hi:[0,0,1]
	v_pk_fma_f32 v[116:117], v[116:117], v[112:113], v[120:121] op_sel:[0,0,1] op_sel_hi:[1,0,0]
	v_dual_mul_f32 v120, v119, v115 :: v_dual_mov_b32 v116, v119
	s_delay_alu instid0(VALU_DEP_2) | instskip(NEXT) | instid1(VALU_DEP_2)
	v_dual_mov_b32 v123, v117 :: v_dual_mov_b32 v117, v118
	v_pk_fma_f32 v[120:121], v[118:119], v[48:49], v[120:121] op_sel_hi:[1,1,0] neg_lo:[0,0,1] neg_hi:[0,0,1]
	v_mul_f32_e32 v118, v119, v112
	s_delay_alu instid0(VALU_DEP_3) | instskip(NEXT) | instid1(VALU_DEP_2)
	v_pk_add_f32 v[60:61], v[60:61], v[122:123] neg_lo:[0,1] neg_hi:[0,1]
	v_pk_fma_f32 v[116:117], v[116:117], v[48:49], v[118:119] op_sel_hi:[1,1,0]
	s_delay_alu instid0(VALU_DEP_1) | instskip(SKIP_4) | instid1(VALU_DEP_1)
	v_mov_b32_e32 v121, v117
	ds_load_2addr_b64 v[116:119], v160 offset0:17 offset1:18
	v_pk_add_f32 v[84:85], v[84:85], v[120:121] neg_lo:[0,1] neg_hi:[0,1]
	s_wait_dscnt 0x0
	v_pk_mul_f32 v[120:121], v[116:117], v[114:115] op_sel:[0,1]
	v_pk_fma_f32 v[122:123], v[116:117], v[112:113], v[120:121] op_sel:[0,0,1] op_sel_hi:[1,1,0] neg_lo:[0,0,1] neg_hi:[0,0,1]
	v_pk_fma_f32 v[116:117], v[116:117], v[112:113], v[120:121] op_sel:[0,0,1] op_sel_hi:[1,0,0]
	s_delay_alu instid0(VALU_DEP_1) | instskip(SKIP_1) | instid1(VALU_DEP_1)
	v_mov_b32_e32 v123, v117
	v_pk_mul_f32 v[116:117], v[118:119], v[114:115] op_sel:[0,1]
	v_pk_fma_f32 v[120:121], v[118:119], v[112:113], v[116:117] op_sel:[0,0,1] op_sel_hi:[1,1,0] neg_lo:[0,0,1] neg_hi:[0,0,1]
	v_pk_fma_f32 v[116:117], v[118:119], v[112:113], v[116:117] op_sel:[0,0,1] op_sel_hi:[1,0,0]
	s_delay_alu instid0(VALU_DEP_1)
	v_mov_b32_e32 v121, v117
	ds_load_2addr_b64 v[116:119], v160 offset0:19 offset1:20
	v_pk_add_f32 v[80:81], v[80:81], v[122:123] neg_lo:[0,1] neg_hi:[0,1]
	v_pk_add_f32 v[82:83], v[82:83], v[120:121] neg_lo:[0,1] neg_hi:[0,1]
	s_wait_dscnt 0x0
	v_pk_mul_f32 v[120:121], v[116:117], v[114:115] op_sel:[0,1]
	s_delay_alu instid0(VALU_DEP_1) | instskip(SKIP_1) | instid1(VALU_DEP_1)
	v_pk_fma_f32 v[122:123], v[116:117], v[112:113], v[120:121] op_sel:[0,0,1] op_sel_hi:[1,1,0] neg_lo:[0,0,1] neg_hi:[0,0,1]
	v_pk_fma_f32 v[116:117], v[116:117], v[112:113], v[120:121] op_sel:[0,0,1] op_sel_hi:[1,0,0]
	v_mov_b32_e32 v123, v117
	v_pk_mul_f32 v[116:117], v[118:119], v[114:115] op_sel:[0,1]
	s_delay_alu instid0(VALU_DEP_1) | instskip(SKIP_1) | instid1(VALU_DEP_1)
	v_pk_fma_f32 v[120:121], v[118:119], v[112:113], v[116:117] op_sel:[0,0,1] op_sel_hi:[1,1,0] neg_lo:[0,0,1] neg_hi:[0,0,1]
	v_pk_fma_f32 v[116:117], v[118:119], v[112:113], v[116:117] op_sel:[0,0,1] op_sel_hi:[1,0,0]
	v_mov_b32_e32 v121, v117
	ds_load_2addr_b64 v[116:119], v160 offset0:21 offset1:22
	v_pk_add_f32 v[78:79], v[78:79], v[122:123] neg_lo:[0,1] neg_hi:[0,1]
	v_pk_add_f32 v[96:97], v[96:97], v[120:121] neg_lo:[0,1] neg_hi:[0,1]
	s_wait_dscnt 0x0
	v_dual_mul_f32 v120, v117, v115 :: v_dual_mul_f32 v122, v117, v112
	s_delay_alu instid0(VALU_DEP_1) | instskip(NEXT) | instid1(VALU_DEP_2)
	v_pk_fma_f32 v[120:121], v[116:117], v[48:49], v[120:121] op_sel_hi:[1,1,0] neg_lo:[0,0,1] neg_hi:[0,0,1]
	v_pk_fma_f32 v[116:117], v[116:117], v[48:49], v[122:123] op_sel:[1,0,0] op_sel_hi:[0,1,0]
	s_delay_alu instid0(VALU_DEP_1) | instskip(SKIP_1) | instid1(VALU_DEP_2)
	v_mov_b32_e32 v121, v117
	v_pk_mul_f32 v[116:117], v[118:119], v[114:115] op_sel:[0,1]
	v_pk_add_f32 v[94:95], v[94:95], v[120:121] neg_lo:[0,1] neg_hi:[0,1]
	s_delay_alu instid0(VALU_DEP_2) | instskip(SKIP_1) | instid1(VALU_DEP_1)
	v_pk_fma_f32 v[120:121], v[118:119], v[112:113], v[116:117] op_sel:[0,0,1] op_sel_hi:[1,1,0] neg_lo:[0,0,1] neg_hi:[0,0,1]
	v_pk_fma_f32 v[116:117], v[118:119], v[112:113], v[116:117] op_sel:[0,0,1] op_sel_hi:[1,0,0]
	v_mov_b32_e32 v121, v117
	ds_load_2addr_b64 v[116:119], v160 offset0:23 offset1:24
	v_pk_add_f32 v[102:103], v[102:103], v[120:121] neg_lo:[0,1] neg_hi:[0,1]
	s_wait_dscnt 0x0
	v_pk_mul_f32 v[120:121], v[116:117], v[114:115] op_sel:[0,1]
	s_delay_alu instid0(VALU_DEP_1) | instskip(SKIP_1) | instid1(VALU_DEP_1)
	v_pk_fma_f32 v[122:123], v[116:117], v[112:113], v[120:121] op_sel:[0,0,1] op_sel_hi:[1,1,0] neg_lo:[0,0,1] neg_hi:[0,0,1]
	v_pk_fma_f32 v[116:117], v[116:117], v[112:113], v[120:121] op_sel:[0,0,1] op_sel_hi:[1,0,0]
	v_mov_b32_e32 v123, v117
	v_pk_mul_f32 v[116:117], v[118:119], v[114:115] op_sel:[0,1]
	s_delay_alu instid0(VALU_DEP_2) | instskip(NEXT) | instid1(VALU_DEP_2)
	v_pk_add_f32 v[100:101], v[100:101], v[122:123] neg_lo:[0,1] neg_hi:[0,1]
	v_pk_fma_f32 v[120:121], v[118:119], v[112:113], v[116:117] op_sel:[0,0,1] op_sel_hi:[1,1,0] neg_lo:[0,0,1] neg_hi:[0,0,1]
	v_pk_fma_f32 v[116:117], v[118:119], v[112:113], v[116:117] op_sel:[0,0,1] op_sel_hi:[1,0,0]
	s_delay_alu instid0(VALU_DEP_1) | instskip(SKIP_4) | instid1(VALU_DEP_1)
	v_mov_b32_e32 v121, v117
	ds_load_b64 v[116:117], v160 offset:200
	v_pk_add_f32 v[98:99], v[98:99], v[120:121] neg_lo:[0,1] neg_hi:[0,1]
	s_wait_dscnt 0x0
	v_pk_mul_f32 v[114:115], v[116:117], v[114:115] op_sel:[0,1]
	v_pk_fma_f32 v[118:119], v[116:117], v[112:113], v[114:115] op_sel:[0,0,1] op_sel_hi:[1,1,0] neg_lo:[0,0,1] neg_hi:[0,0,1]
	v_pk_fma_f32 v[112:113], v[116:117], v[112:113], v[114:115] op_sel:[0,0,1] op_sel_hi:[1,0,0]
	s_delay_alu instid0(VALU_DEP_1) | instskip(NEXT) | instid1(VALU_DEP_1)
	v_mov_b32_e32 v119, v113
	v_pk_add_f32 v[104:105], v[104:105], v[118:119] neg_lo:[0,1] neg_hi:[0,1]
.LBB51_28:
	s_or_b32 exec_lo, exec_lo, s1
	s_delay_alu instid0(SALU_CYCLE_1)
	s_mov_b32 s2, exec_lo
	s_wait_dscnt 0x0
	s_barrier_signal -1
	s_barrier_wait -1
	v_cmpx_eq_u32_e32 3, v158
	s_cbranch_execz .LBB51_35
; %bb.29:
	v_dual_mov_b32 v112, v28 :: v_dual_mov_b32 v113, v29
	v_dual_mov_b32 v114, v24 :: v_dual_mov_b32 v115, v25
	ds_store_b64 v159, v[46:47]
	ds_store_2addr_b64 v160, v[112:113], v[114:115] offset0:4 offset1:5
	v_dual_mov_b32 v112, v26 :: v_dual_mov_b32 v113, v27
	v_dual_mov_b32 v114, v22 :: v_dual_mov_b32 v115, v23
	ds_store_2addr_b64 v160, v[112:113], v[114:115] offset0:6 offset1:7
	v_dual_mov_b32 v112, v42 :: v_dual_mov_b32 v113, v43
	v_dual_mov_b32 v114, v38 :: v_dual_mov_b32 v115, v39
	;; [unrolled: 3-line block ×9, first 2 shown]
	ds_store_2addr_b64 v160, v[112:113], v[114:115] offset0:22 offset1:23
	v_dual_mov_b32 v112, v98 :: v_dual_mov_b32 v113, v99
	ds_store_2addr_b64 v160, v[112:113], v[104:105] offset0:24 offset1:25
	ds_load_b64 v[112:113], v159
	s_wait_dscnt 0x0
	v_cmp_neq_f32_e32 vcc_lo, 0, v112
	v_cmp_neq_f32_e64 s1, 0, v113
	s_or_b32 s1, vcc_lo, s1
	s_delay_alu instid0(SALU_CYCLE_1)
	s_and_b32 exec_lo, exec_lo, s1
	s_cbranch_execz .LBB51_35
; %bb.30:
	v_cmp_ngt_f32_e64 s1, |v112|, |v113|
                                        ; implicit-def: $vgpr114_vgpr115
	s_and_saveexec_b32 s4, s1
	s_delay_alu instid0(SALU_CYCLE_1)
	s_xor_b32 s1, exec_lo, s4
	s_cbranch_execz .LBB51_32
; %bb.31:
	v_div_scale_f32 v114, null, v113, v113, v112
	v_div_scale_f32 v117, vcc_lo, v112, v113, v112
	s_delay_alu instid0(VALU_DEP_2) | instskip(SKIP_1) | instid1(TRANS32_DEP_1)
	v_rcp_f32_e32 v115, v114
	v_nop
	v_fma_f32 v116, -v114, v115, 1.0
	s_delay_alu instid0(VALU_DEP_1) | instskip(NEXT) | instid1(VALU_DEP_1)
	v_fmac_f32_e32 v115, v116, v115
	v_mul_f32_e32 v116, v117, v115
	s_delay_alu instid0(VALU_DEP_1) | instskip(NEXT) | instid1(VALU_DEP_1)
	v_fma_f32 v118, -v114, v116, v117
	v_fmac_f32_e32 v116, v118, v115
	s_delay_alu instid0(VALU_DEP_1) | instskip(NEXT) | instid1(VALU_DEP_1)
	v_fma_f32 v114, -v114, v116, v117
	v_div_fmas_f32 v114, v114, v115, v116
	s_delay_alu instid0(VALU_DEP_1) | instskip(NEXT) | instid1(VALU_DEP_1)
	v_div_fixup_f32 v114, v114, v113, v112
	v_fmac_f32_e32 v113, v112, v114
	s_delay_alu instid0(VALU_DEP_1) | instskip(SKIP_1) | instid1(VALU_DEP_2)
	v_div_scale_f32 v112, null, v113, v113, 1.0
	v_div_scale_f32 v117, vcc_lo, 1.0, v113, 1.0
	v_rcp_f32_e32 v115, v112
	v_nop
	s_delay_alu instid0(TRANS32_DEP_1) | instskip(NEXT) | instid1(VALU_DEP_1)
	v_fma_f32 v116, -v112, v115, 1.0
	v_fmac_f32_e32 v115, v116, v115
	s_delay_alu instid0(VALU_DEP_1) | instskip(NEXT) | instid1(VALU_DEP_1)
	v_mul_f32_e32 v116, v117, v115
	v_fma_f32 v118, -v112, v116, v117
	s_delay_alu instid0(VALU_DEP_1) | instskip(NEXT) | instid1(VALU_DEP_1)
	v_fmac_f32_e32 v116, v118, v115
	v_fma_f32 v112, -v112, v116, v117
	s_delay_alu instid0(VALU_DEP_1) | instskip(NEXT) | instid1(VALU_DEP_1)
	v_div_fmas_f32 v112, v112, v115, v116
	v_div_fixup_f32 v112, v112, v113, 1.0
	s_delay_alu instid0(VALU_DEP_1)
	v_mul_f32_e32 v114, v114, v112
	v_xor_b32_e32 v115, 0x80000000, v112
                                        ; implicit-def: $vgpr112_vgpr113
.LBB51_32:
	s_and_not1_saveexec_b32 s1, s1
	s_cbranch_execz .LBB51_34
; %bb.33:
	v_div_scale_f32 v114, null, v112, v112, v113
	v_div_scale_f32 v117, vcc_lo, v113, v112, v113
	s_delay_alu instid0(VALU_DEP_2) | instskip(SKIP_1) | instid1(TRANS32_DEP_1)
	v_rcp_f32_e32 v115, v114
	v_nop
	v_fma_f32 v116, -v114, v115, 1.0
	s_delay_alu instid0(VALU_DEP_1) | instskip(NEXT) | instid1(VALU_DEP_1)
	v_fmac_f32_e32 v115, v116, v115
	v_mul_f32_e32 v116, v117, v115
	s_delay_alu instid0(VALU_DEP_1) | instskip(NEXT) | instid1(VALU_DEP_1)
	v_fma_f32 v118, -v114, v116, v117
	v_fmac_f32_e32 v116, v118, v115
	s_delay_alu instid0(VALU_DEP_1) | instskip(NEXT) | instid1(VALU_DEP_1)
	v_fma_f32 v114, -v114, v116, v117
	v_div_fmas_f32 v114, v114, v115, v116
	s_delay_alu instid0(VALU_DEP_1) | instskip(NEXT) | instid1(VALU_DEP_1)
	v_div_fixup_f32 v115, v114, v112, v113
	v_fmac_f32_e32 v112, v113, v115
	s_delay_alu instid0(VALU_DEP_1) | instskip(NEXT) | instid1(VALU_DEP_1)
	v_div_scale_f32 v113, null, v112, v112, 1.0
	v_rcp_f32_e32 v114, v113
	v_nop
	s_delay_alu instid0(TRANS32_DEP_1) | instskip(NEXT) | instid1(VALU_DEP_1)
	v_fma_f32 v116, -v113, v114, 1.0
	v_fmac_f32_e32 v114, v116, v114
	v_div_scale_f32 v116, vcc_lo, 1.0, v112, 1.0
	s_delay_alu instid0(VALU_DEP_1) | instskip(NEXT) | instid1(VALU_DEP_1)
	v_mul_f32_e32 v117, v116, v114
	v_fma_f32 v118, -v113, v117, v116
	s_delay_alu instid0(VALU_DEP_1) | instskip(NEXT) | instid1(VALU_DEP_1)
	v_fmac_f32_e32 v117, v118, v114
	v_fma_f32 v113, -v113, v117, v116
	s_delay_alu instid0(VALU_DEP_1) | instskip(NEXT) | instid1(VALU_DEP_1)
	v_div_fmas_f32 v113, v113, v114, v117
	v_div_fixup_f32 v114, v113, v112, 1.0
	s_delay_alu instid0(VALU_DEP_1)
	v_mul_f32_e64 v115, v115, -v114
.LBB51_34:
	s_or_b32 exec_lo, exec_lo, s1
	ds_store_b64 v159, v[114:115]
.LBB51_35:
	s_or_b32 exec_lo, exec_lo, s2
	s_wait_dscnt 0x0
	s_barrier_signal -1
	s_barrier_wait -1
	ds_load_b64 v[112:113], v159
	s_mov_b32 s1, exec_lo
	v_cmpx_lt_u32_e32 3, v158
	s_cbranch_execz .LBB51_37
; %bb.36:
	ds_load_2addr_b64 v[118:121], v160 offset0:4 offset1:5
	s_wait_dscnt 0x1
	v_pk_mul_f32 v[116:117], v[112:113], v[46:47] op_sel:[1,1] op_sel_hi:[0,1]
	s_delay_alu instid0(VALU_DEP_1) | instskip(SKIP_1) | instid1(VALU_DEP_1)
	v_pk_fma_f32 v[114:115], v[112:113], v[46:47], v[116:117] op_sel_hi:[1,0,1] neg_lo:[0,0,1] neg_hi:[0,0,1]
	v_pk_fma_f32 v[116:117], v[112:113], v[46:47], v[116:117] op_sel_hi:[1,0,1]
	v_dual_mov_b32 v46, v114 :: v_dual_mov_b32 v47, v117
	s_wait_dscnt 0x0
	s_delay_alu instid0(VALU_DEP_2) | instskip(NEXT) | instid1(VALU_DEP_1)
	v_pk_mul_f32 v[122:123], v[118:119], v[116:117] op_sel:[0,1]
	v_pk_fma_f32 v[124:125], v[118:119], v[114:115], v[122:123] op_sel:[0,0,1] op_sel_hi:[1,1,0] neg_lo:[0,0,1] neg_hi:[0,0,1]
	v_pk_fma_f32 v[118:119], v[118:119], v[114:115], v[122:123] op_sel:[0,0,1] op_sel_hi:[1,0,0]
	s_delay_alu instid0(VALU_DEP_1) | instskip(SKIP_1) | instid1(VALU_DEP_1)
	v_mov_b32_e32 v125, v119
	v_pk_mul_f32 v[118:119], v[120:121], v[116:117] op_sel:[0,1]
	v_pk_fma_f32 v[122:123], v[120:121], v[114:115], v[118:119] op_sel:[0,0,1] op_sel_hi:[1,1,0] neg_lo:[0,0,1] neg_hi:[0,0,1]
	v_pk_fma_f32 v[118:119], v[120:121], v[114:115], v[118:119] op_sel:[0,0,1] op_sel_hi:[1,0,0]
	s_delay_alu instid0(VALU_DEP_1)
	v_mov_b32_e32 v123, v119
	ds_load_2addr_b64 v[118:121], v160 offset0:6 offset1:7
	v_pk_add_f32 v[28:29], v[28:29], v[124:125] neg_lo:[0,1] neg_hi:[0,1]
	v_pk_add_f32 v[24:25], v[24:25], v[122:123] neg_lo:[0,1] neg_hi:[0,1]
	s_wait_dscnt 0x0
	v_pk_mul_f32 v[122:123], v[118:119], v[116:117] op_sel:[0,1]
	s_delay_alu instid0(VALU_DEP_1) | instskip(SKIP_2) | instid1(VALU_DEP_2)
	v_pk_fma_f32 v[124:125], v[118:119], v[114:115], v[122:123] op_sel:[0,0,1] op_sel_hi:[1,1,0] neg_lo:[0,0,1] neg_hi:[0,0,1]
	v_pk_fma_f32 v[118:119], v[118:119], v[114:115], v[122:123] op_sel:[0,0,1] op_sel_hi:[1,0,0]
	v_dual_mul_f32 v122, v121, v117 :: v_dual_mov_b32 v118, v121
	v_dual_mov_b32 v125, v119 :: v_dual_mov_b32 v119, v120
	s_delay_alu instid0(VALU_DEP_2) | instskip(SKIP_1) | instid1(VALU_DEP_3)
	v_pk_fma_f32 v[122:123], v[120:121], v[46:47], v[122:123] op_sel_hi:[1,1,0] neg_lo:[0,0,1] neg_hi:[0,0,1]
	v_mul_f32_e32 v120, v121, v114
	v_pk_add_f32 v[26:27], v[26:27], v[124:125] neg_lo:[0,1] neg_hi:[0,1]
	s_delay_alu instid0(VALU_DEP_2) | instskip(NEXT) | instid1(VALU_DEP_1)
	v_pk_fma_f32 v[118:119], v[118:119], v[46:47], v[120:121] op_sel_hi:[1,1,0]
	v_mov_b32_e32 v123, v119
	ds_load_2addr_b64 v[118:121], v160 offset0:8 offset1:9
	v_pk_add_f32 v[22:23], v[22:23], v[122:123] neg_lo:[0,1] neg_hi:[0,1]
	s_wait_dscnt 0x0
	v_pk_mul_f32 v[122:123], v[118:119], v[116:117] op_sel:[0,1]
	s_delay_alu instid0(VALU_DEP_1) | instskip(SKIP_1) | instid1(VALU_DEP_1)
	v_pk_fma_f32 v[124:125], v[118:119], v[114:115], v[122:123] op_sel:[0,0,1] op_sel_hi:[1,1,0] neg_lo:[0,0,1] neg_hi:[0,0,1]
	v_pk_fma_f32 v[118:119], v[118:119], v[114:115], v[122:123] op_sel:[0,0,1] op_sel_hi:[1,0,0]
	v_mov_b32_e32 v125, v119
	v_pk_mul_f32 v[118:119], v[120:121], v[116:117] op_sel:[0,1]
	s_delay_alu instid0(VALU_DEP_1) | instskip(SKIP_1) | instid1(VALU_DEP_1)
	v_pk_fma_f32 v[122:123], v[120:121], v[114:115], v[118:119] op_sel:[0,0,1] op_sel_hi:[1,1,0] neg_lo:[0,0,1] neg_hi:[0,0,1]
	v_pk_fma_f32 v[118:119], v[120:121], v[114:115], v[118:119] op_sel:[0,0,1] op_sel_hi:[1,0,0]
	v_mov_b32_e32 v123, v119
	ds_load_2addr_b64 v[118:121], v160 offset0:10 offset1:11
	v_pk_add_f32 v[42:43], v[42:43], v[124:125] neg_lo:[0,1] neg_hi:[0,1]
	v_pk_add_f32 v[38:39], v[38:39], v[122:123] neg_lo:[0,1] neg_hi:[0,1]
	s_wait_dscnt 0x0
	v_pk_mul_f32 v[122:123], v[118:119], v[116:117] op_sel:[0,1]
	s_delay_alu instid0(VALU_DEP_1) | instskip(SKIP_1) | instid1(VALU_DEP_1)
	v_pk_fma_f32 v[124:125], v[118:119], v[114:115], v[122:123] op_sel:[0,0,1] op_sel_hi:[1,1,0] neg_lo:[0,0,1] neg_hi:[0,0,1]
	v_pk_fma_f32 v[118:119], v[118:119], v[114:115], v[122:123] op_sel:[0,0,1] op_sel_hi:[1,0,0]
	v_mov_b32_e32 v125, v119
	v_pk_mul_f32 v[118:119], v[120:121], v[116:117] op_sel:[0,1]
	s_delay_alu instid0(VALU_DEP_1) | instskip(SKIP_1) | instid1(VALU_DEP_1)
	v_pk_fma_f32 v[122:123], v[120:121], v[114:115], v[118:119] op_sel:[0,0,1] op_sel_hi:[1,1,0] neg_lo:[0,0,1] neg_hi:[0,0,1]
	v_pk_fma_f32 v[118:119], v[120:121], v[114:115], v[118:119] op_sel:[0,0,1] op_sel_hi:[1,0,0]
	v_mov_b32_e32 v123, v119
	ds_load_2addr_b64 v[118:121], v160 offset0:12 offset1:13
	v_pk_add_f32 v[40:41], v[40:41], v[124:125] neg_lo:[0,1] neg_hi:[0,1]
	v_pk_add_f32 v[36:37], v[36:37], v[122:123] neg_lo:[0,1] neg_hi:[0,1]
	s_wait_dscnt 0x0
	v_dual_mul_f32 v122, v119, v117 :: v_dual_mul_f32 v124, v119, v114
	s_delay_alu instid0(VALU_DEP_1) | instskip(NEXT) | instid1(VALU_DEP_2)
	v_pk_fma_f32 v[122:123], v[118:119], v[46:47], v[122:123] op_sel_hi:[1,1,0] neg_lo:[0,0,1] neg_hi:[0,0,1]
	v_pk_fma_f32 v[118:119], v[118:119], v[46:47], v[124:125] op_sel:[1,0,0] op_sel_hi:[0,1,0]
	s_delay_alu instid0(VALU_DEP_1) | instskip(SKIP_1) | instid1(VALU_DEP_2)
	v_mov_b32_e32 v123, v119
	v_pk_mul_f32 v[118:119], v[120:121], v[116:117] op_sel:[0,1]
	v_pk_add_f32 v[66:67], v[66:67], v[122:123] neg_lo:[0,1] neg_hi:[0,1]
	s_delay_alu instid0(VALU_DEP_2) | instskip(SKIP_1) | instid1(VALU_DEP_1)
	v_pk_fma_f32 v[122:123], v[120:121], v[114:115], v[118:119] op_sel:[0,0,1] op_sel_hi:[1,1,0] neg_lo:[0,0,1] neg_hi:[0,0,1]
	v_pk_fma_f32 v[118:119], v[120:121], v[114:115], v[118:119] op_sel:[0,0,1] op_sel_hi:[1,0,0]
	v_mov_b32_e32 v123, v119
	ds_load_2addr_b64 v[118:121], v160 offset0:14 offset1:15
	v_pk_add_f32 v[62:63], v[62:63], v[122:123] neg_lo:[0,1] neg_hi:[0,1]
	s_wait_dscnt 0x0
	v_pk_mul_f32 v[122:123], v[118:119], v[116:117] op_sel:[0,1]
	s_delay_alu instid0(VALU_DEP_1) | instskip(SKIP_1) | instid1(VALU_DEP_1)
	v_pk_fma_f32 v[124:125], v[118:119], v[114:115], v[122:123] op_sel:[0,0,1] op_sel_hi:[1,1,0] neg_lo:[0,0,1] neg_hi:[0,0,1]
	v_pk_fma_f32 v[118:119], v[118:119], v[114:115], v[122:123] op_sel:[0,0,1] op_sel_hi:[1,0,0]
	v_mov_b32_e32 v125, v119
	v_pk_mul_f32 v[118:119], v[120:121], v[116:117] op_sel:[0,1]
	s_delay_alu instid0(VALU_DEP_2) | instskip(NEXT) | instid1(VALU_DEP_2)
	v_pk_add_f32 v[64:65], v[64:65], v[124:125] neg_lo:[0,1] neg_hi:[0,1]
	v_pk_fma_f32 v[122:123], v[120:121], v[114:115], v[118:119] op_sel:[0,0,1] op_sel_hi:[1,1,0] neg_lo:[0,0,1] neg_hi:[0,0,1]
	v_pk_fma_f32 v[118:119], v[120:121], v[114:115], v[118:119] op_sel:[0,0,1] op_sel_hi:[1,0,0]
	s_delay_alu instid0(VALU_DEP_1) | instskip(SKIP_4) | instid1(VALU_DEP_1)
	v_mov_b32_e32 v123, v119
	ds_load_2addr_b64 v[118:121], v160 offset0:16 offset1:17
	v_pk_add_f32 v[60:61], v[60:61], v[122:123] neg_lo:[0,1] neg_hi:[0,1]
	s_wait_dscnt 0x0
	v_pk_mul_f32 v[122:123], v[118:119], v[116:117] op_sel:[0,1]
	v_pk_fma_f32 v[124:125], v[118:119], v[114:115], v[122:123] op_sel:[0,0,1] op_sel_hi:[1,1,0] neg_lo:[0,0,1] neg_hi:[0,0,1]
	v_pk_fma_f32 v[118:119], v[118:119], v[114:115], v[122:123] op_sel:[0,0,1] op_sel_hi:[1,0,0]
	v_dual_mul_f32 v122, v121, v117 :: v_dual_mov_b32 v118, v121
	s_delay_alu instid0(VALU_DEP_2) | instskip(NEXT) | instid1(VALU_DEP_2)
	v_dual_mov_b32 v125, v119 :: v_dual_mov_b32 v119, v120
	v_pk_fma_f32 v[122:123], v[120:121], v[46:47], v[122:123] op_sel_hi:[1,1,0] neg_lo:[0,0,1] neg_hi:[0,0,1]
	v_mul_f32_e32 v120, v121, v114
	s_delay_alu instid0(VALU_DEP_3) | instskip(NEXT) | instid1(VALU_DEP_2)
	v_pk_add_f32 v[84:85], v[84:85], v[124:125] neg_lo:[0,1] neg_hi:[0,1]
	v_pk_fma_f32 v[118:119], v[118:119], v[46:47], v[120:121] op_sel_hi:[1,1,0]
	s_delay_alu instid0(VALU_DEP_1) | instskip(SKIP_4) | instid1(VALU_DEP_1)
	v_mov_b32_e32 v123, v119
	ds_load_2addr_b64 v[118:121], v160 offset0:18 offset1:19
	v_pk_add_f32 v[80:81], v[80:81], v[122:123] neg_lo:[0,1] neg_hi:[0,1]
	s_wait_dscnt 0x0
	v_pk_mul_f32 v[122:123], v[118:119], v[116:117] op_sel:[0,1]
	v_pk_fma_f32 v[124:125], v[118:119], v[114:115], v[122:123] op_sel:[0,0,1] op_sel_hi:[1,1,0] neg_lo:[0,0,1] neg_hi:[0,0,1]
	v_pk_fma_f32 v[118:119], v[118:119], v[114:115], v[122:123] op_sel:[0,0,1] op_sel_hi:[1,0,0]
	s_delay_alu instid0(VALU_DEP_1) | instskip(SKIP_1) | instid1(VALU_DEP_1)
	v_mov_b32_e32 v125, v119
	v_pk_mul_f32 v[118:119], v[120:121], v[116:117] op_sel:[0,1]
	v_pk_fma_f32 v[122:123], v[120:121], v[114:115], v[118:119] op_sel:[0,0,1] op_sel_hi:[1,1,0] neg_lo:[0,0,1] neg_hi:[0,0,1]
	v_pk_fma_f32 v[118:119], v[120:121], v[114:115], v[118:119] op_sel:[0,0,1] op_sel_hi:[1,0,0]
	s_delay_alu instid0(VALU_DEP_1)
	v_mov_b32_e32 v123, v119
	ds_load_2addr_b64 v[118:121], v160 offset0:20 offset1:21
	v_pk_add_f32 v[82:83], v[82:83], v[124:125] neg_lo:[0,1] neg_hi:[0,1]
	v_pk_add_f32 v[78:79], v[78:79], v[122:123] neg_lo:[0,1] neg_hi:[0,1]
	s_wait_dscnt 0x0
	v_pk_mul_f32 v[122:123], v[118:119], v[116:117] op_sel:[0,1]
	s_delay_alu instid0(VALU_DEP_1) | instskip(SKIP_1) | instid1(VALU_DEP_1)
	v_pk_fma_f32 v[124:125], v[118:119], v[114:115], v[122:123] op_sel:[0,0,1] op_sel_hi:[1,1,0] neg_lo:[0,0,1] neg_hi:[0,0,1]
	v_pk_fma_f32 v[118:119], v[118:119], v[114:115], v[122:123] op_sel:[0,0,1] op_sel_hi:[1,0,0]
	v_mov_b32_e32 v125, v119
	v_pk_mul_f32 v[118:119], v[120:121], v[116:117] op_sel:[0,1]
	s_delay_alu instid0(VALU_DEP_1) | instskip(SKIP_1) | instid1(VALU_DEP_1)
	v_pk_fma_f32 v[122:123], v[120:121], v[114:115], v[118:119] op_sel:[0,0,1] op_sel_hi:[1,1,0] neg_lo:[0,0,1] neg_hi:[0,0,1]
	v_pk_fma_f32 v[118:119], v[120:121], v[114:115], v[118:119] op_sel:[0,0,1] op_sel_hi:[1,0,0]
	v_mov_b32_e32 v123, v119
	ds_load_2addr_b64 v[118:121], v160 offset0:22 offset1:23
	v_pk_add_f32 v[96:97], v[96:97], v[124:125] neg_lo:[0,1] neg_hi:[0,1]
	v_pk_add_f32 v[94:95], v[94:95], v[122:123] neg_lo:[0,1] neg_hi:[0,1]
	s_wait_dscnt 0x0
	v_dual_mul_f32 v122, v119, v117 :: v_dual_mul_f32 v124, v119, v114
	s_delay_alu instid0(VALU_DEP_1) | instskip(NEXT) | instid1(VALU_DEP_2)
	v_pk_fma_f32 v[122:123], v[118:119], v[46:47], v[122:123] op_sel_hi:[1,1,0] neg_lo:[0,0,1] neg_hi:[0,0,1]
	v_pk_fma_f32 v[118:119], v[118:119], v[46:47], v[124:125] op_sel:[1,0,0] op_sel_hi:[0,1,0]
	s_delay_alu instid0(VALU_DEP_1) | instskip(SKIP_1) | instid1(VALU_DEP_2)
	v_mov_b32_e32 v123, v119
	v_pk_mul_f32 v[118:119], v[120:121], v[116:117] op_sel:[0,1]
	v_pk_add_f32 v[102:103], v[102:103], v[122:123] neg_lo:[0,1] neg_hi:[0,1]
	s_delay_alu instid0(VALU_DEP_2) | instskip(SKIP_1) | instid1(VALU_DEP_1)
	v_pk_fma_f32 v[122:123], v[120:121], v[114:115], v[118:119] op_sel:[0,0,1] op_sel_hi:[1,1,0] neg_lo:[0,0,1] neg_hi:[0,0,1]
	v_pk_fma_f32 v[118:119], v[120:121], v[114:115], v[118:119] op_sel:[0,0,1] op_sel_hi:[1,0,0]
	v_mov_b32_e32 v123, v119
	ds_load_2addr_b64 v[118:121], v160 offset0:24 offset1:25
	v_pk_add_f32 v[100:101], v[100:101], v[122:123] neg_lo:[0,1] neg_hi:[0,1]
	s_wait_dscnt 0x0
	v_pk_mul_f32 v[122:123], v[118:119], v[116:117] op_sel:[0,1]
	v_pk_mul_f32 v[116:117], v[120:121], v[116:117] op_sel:[0,1]
	s_delay_alu instid0(VALU_DEP_2) | instskip(SKIP_1) | instid1(VALU_DEP_1)
	v_pk_fma_f32 v[124:125], v[118:119], v[114:115], v[122:123] op_sel:[0,0,1] op_sel_hi:[1,1,0] neg_lo:[0,0,1] neg_hi:[0,0,1]
	v_pk_fma_f32 v[118:119], v[118:119], v[114:115], v[122:123] op_sel:[0,0,1] op_sel_hi:[1,0,0]
	v_mov_b32_e32 v125, v119
	s_delay_alu instid0(VALU_DEP_4) | instskip(SKIP_1) | instid1(VALU_DEP_3)
	v_pk_fma_f32 v[118:119], v[120:121], v[114:115], v[116:117] op_sel:[0,0,1] op_sel_hi:[1,1,0] neg_lo:[0,0,1] neg_hi:[0,0,1]
	v_pk_fma_f32 v[114:115], v[120:121], v[114:115], v[116:117] op_sel:[0,0,1] op_sel_hi:[1,0,0]
	v_pk_add_f32 v[98:99], v[98:99], v[124:125] neg_lo:[0,1] neg_hi:[0,1]
	s_delay_alu instid0(VALU_DEP_2) | instskip(NEXT) | instid1(VALU_DEP_1)
	v_mov_b32_e32 v119, v115
	v_pk_add_f32 v[104:105], v[104:105], v[118:119] neg_lo:[0,1] neg_hi:[0,1]
.LBB51_37:
	s_or_b32 exec_lo, exec_lo, s1
	s_delay_alu instid0(SALU_CYCLE_1)
	s_mov_b32 s2, exec_lo
	s_wait_dscnt 0x0
	s_barrier_signal -1
	s_barrier_wait -1
	v_cmpx_eq_u32_e32 4, v158
	s_cbranch_execz .LBB51_44
; %bb.38:
	ds_store_b64 v159, v[28:29]
	ds_store_2addr_b64 v160, v[24:25], v[26:27] offset0:5 offset1:6
	ds_store_2addr_b64 v160, v[22:23], v[42:43] offset0:7 offset1:8
	;; [unrolled: 1-line block ×10, first 2 shown]
	ds_store_b64 v160, v[104:105] offset:200
	ds_load_b64 v[114:115], v159
	s_wait_dscnt 0x0
	v_cmp_neq_f32_e32 vcc_lo, 0, v114
	v_cmp_neq_f32_e64 s1, 0, v115
	s_or_b32 s1, vcc_lo, s1
	s_delay_alu instid0(SALU_CYCLE_1)
	s_and_b32 exec_lo, exec_lo, s1
	s_cbranch_execz .LBB51_44
; %bb.39:
	v_cmp_ngt_f32_e64 s1, |v114|, |v115|
                                        ; implicit-def: $vgpr116_vgpr117
	s_and_saveexec_b32 s4, s1
	s_delay_alu instid0(SALU_CYCLE_1)
	s_xor_b32 s1, exec_lo, s4
	s_cbranch_execz .LBB51_41
; %bb.40:
	v_div_scale_f32 v116, null, v115, v115, v114
	v_div_scale_f32 v119, vcc_lo, v114, v115, v114
	s_delay_alu instid0(VALU_DEP_2) | instskip(SKIP_1) | instid1(TRANS32_DEP_1)
	v_rcp_f32_e32 v117, v116
	v_nop
	v_fma_f32 v118, -v116, v117, 1.0
	s_delay_alu instid0(VALU_DEP_1) | instskip(NEXT) | instid1(VALU_DEP_1)
	v_fmac_f32_e32 v117, v118, v117
	v_mul_f32_e32 v118, v119, v117
	s_delay_alu instid0(VALU_DEP_1) | instskip(NEXT) | instid1(VALU_DEP_1)
	v_fma_f32 v120, -v116, v118, v119
	v_fmac_f32_e32 v118, v120, v117
	s_delay_alu instid0(VALU_DEP_1) | instskip(NEXT) | instid1(VALU_DEP_1)
	v_fma_f32 v116, -v116, v118, v119
	v_div_fmas_f32 v116, v116, v117, v118
	s_delay_alu instid0(VALU_DEP_1) | instskip(NEXT) | instid1(VALU_DEP_1)
	v_div_fixup_f32 v116, v116, v115, v114
	v_fmac_f32_e32 v115, v114, v116
	s_delay_alu instid0(VALU_DEP_1) | instskip(SKIP_1) | instid1(VALU_DEP_2)
	v_div_scale_f32 v114, null, v115, v115, 1.0
	v_div_scale_f32 v119, vcc_lo, 1.0, v115, 1.0
	v_rcp_f32_e32 v117, v114
	v_nop
	s_delay_alu instid0(TRANS32_DEP_1) | instskip(NEXT) | instid1(VALU_DEP_1)
	v_fma_f32 v118, -v114, v117, 1.0
	v_fmac_f32_e32 v117, v118, v117
	s_delay_alu instid0(VALU_DEP_1) | instskip(NEXT) | instid1(VALU_DEP_1)
	v_mul_f32_e32 v118, v119, v117
	v_fma_f32 v120, -v114, v118, v119
	s_delay_alu instid0(VALU_DEP_1) | instskip(NEXT) | instid1(VALU_DEP_1)
	v_fmac_f32_e32 v118, v120, v117
	v_fma_f32 v114, -v114, v118, v119
	s_delay_alu instid0(VALU_DEP_1) | instskip(NEXT) | instid1(VALU_DEP_1)
	v_div_fmas_f32 v114, v114, v117, v118
	v_div_fixup_f32 v114, v114, v115, 1.0
	s_delay_alu instid0(VALU_DEP_1)
	v_mul_f32_e32 v116, v116, v114
	v_xor_b32_e32 v117, 0x80000000, v114
                                        ; implicit-def: $vgpr114_vgpr115
.LBB51_41:
	s_and_not1_saveexec_b32 s1, s1
	s_cbranch_execz .LBB51_43
; %bb.42:
	v_div_scale_f32 v116, null, v114, v114, v115
	v_div_scale_f32 v119, vcc_lo, v115, v114, v115
	s_delay_alu instid0(VALU_DEP_2) | instskip(SKIP_1) | instid1(TRANS32_DEP_1)
	v_rcp_f32_e32 v117, v116
	v_nop
	v_fma_f32 v118, -v116, v117, 1.0
	s_delay_alu instid0(VALU_DEP_1) | instskip(NEXT) | instid1(VALU_DEP_1)
	v_fmac_f32_e32 v117, v118, v117
	v_mul_f32_e32 v118, v119, v117
	s_delay_alu instid0(VALU_DEP_1) | instskip(NEXT) | instid1(VALU_DEP_1)
	v_fma_f32 v120, -v116, v118, v119
	v_fmac_f32_e32 v118, v120, v117
	s_delay_alu instid0(VALU_DEP_1) | instskip(NEXT) | instid1(VALU_DEP_1)
	v_fma_f32 v116, -v116, v118, v119
	v_div_fmas_f32 v116, v116, v117, v118
	s_delay_alu instid0(VALU_DEP_1) | instskip(NEXT) | instid1(VALU_DEP_1)
	v_div_fixup_f32 v117, v116, v114, v115
	v_fmac_f32_e32 v114, v115, v117
	s_delay_alu instid0(VALU_DEP_1) | instskip(NEXT) | instid1(VALU_DEP_1)
	v_div_scale_f32 v115, null, v114, v114, 1.0
	v_rcp_f32_e32 v116, v115
	v_nop
	s_delay_alu instid0(TRANS32_DEP_1) | instskip(NEXT) | instid1(VALU_DEP_1)
	v_fma_f32 v118, -v115, v116, 1.0
	v_fmac_f32_e32 v116, v118, v116
	v_div_scale_f32 v118, vcc_lo, 1.0, v114, 1.0
	s_delay_alu instid0(VALU_DEP_1) | instskip(NEXT) | instid1(VALU_DEP_1)
	v_mul_f32_e32 v119, v118, v116
	v_fma_f32 v120, -v115, v119, v118
	s_delay_alu instid0(VALU_DEP_1) | instskip(NEXT) | instid1(VALU_DEP_1)
	v_fmac_f32_e32 v119, v120, v116
	v_fma_f32 v115, -v115, v119, v118
	s_delay_alu instid0(VALU_DEP_1) | instskip(NEXT) | instid1(VALU_DEP_1)
	v_div_fmas_f32 v115, v115, v116, v119
	v_div_fixup_f32 v116, v115, v114, 1.0
	s_delay_alu instid0(VALU_DEP_1)
	v_mul_f32_e64 v117, v117, -v116
.LBB51_43:
	s_or_b32 exec_lo, exec_lo, s1
	ds_store_b64 v159, v[116:117]
.LBB51_44:
	s_or_b32 exec_lo, exec_lo, s2
	s_wait_dscnt 0x0
	s_barrier_signal -1
	s_barrier_wait -1
	ds_load_b64 v[114:115], v159
	s_mov_b32 s1, exec_lo
	v_cmpx_lt_u32_e32 4, v158
	s_cbranch_execz .LBB51_46
; %bb.45:
	ds_load_2addr_b64 v[120:123], v160 offset0:5 offset1:6
	s_wait_dscnt 0x1
	v_pk_mul_f32 v[118:119], v[114:115], v[28:29] op_sel:[1,1] op_sel_hi:[0,1]
	s_delay_alu instid0(VALU_DEP_1) | instskip(SKIP_1) | instid1(VALU_DEP_1)
	v_pk_fma_f32 v[116:117], v[114:115], v[28:29], v[118:119] op_sel_hi:[1,0,1] neg_lo:[0,0,1] neg_hi:[0,0,1]
	v_pk_fma_f32 v[118:119], v[114:115], v[28:29], v[118:119] op_sel_hi:[1,0,1]
	v_dual_mov_b32 v28, v116 :: v_dual_mov_b32 v29, v119
	s_wait_dscnt 0x0
	s_delay_alu instid0(VALU_DEP_2) | instskip(NEXT) | instid1(VALU_DEP_1)
	v_pk_mul_f32 v[124:125], v[120:121], v[118:119] op_sel:[0,1]
	v_pk_fma_f32 v[126:127], v[120:121], v[116:117], v[124:125] op_sel:[0,0,1] op_sel_hi:[1,1,0] neg_lo:[0,0,1] neg_hi:[0,0,1]
	v_pk_fma_f32 v[120:121], v[120:121], v[116:117], v[124:125] op_sel:[0,0,1] op_sel_hi:[1,0,0]
	s_delay_alu instid0(VALU_DEP_1) | instskip(SKIP_1) | instid1(VALU_DEP_1)
	v_mov_b32_e32 v127, v121
	v_pk_mul_f32 v[120:121], v[122:123], v[118:119] op_sel:[0,1]
	v_pk_fma_f32 v[124:125], v[122:123], v[116:117], v[120:121] op_sel:[0,0,1] op_sel_hi:[1,1,0] neg_lo:[0,0,1] neg_hi:[0,0,1]
	v_pk_fma_f32 v[120:121], v[122:123], v[116:117], v[120:121] op_sel:[0,0,1] op_sel_hi:[1,0,0]
	s_delay_alu instid0(VALU_DEP_1)
	v_mov_b32_e32 v125, v121
	ds_load_2addr_b64 v[120:123], v160 offset0:7 offset1:8
	v_pk_add_f32 v[24:25], v[24:25], v[126:127] neg_lo:[0,1] neg_hi:[0,1]
	v_pk_add_f32 v[26:27], v[26:27], v[124:125] neg_lo:[0,1] neg_hi:[0,1]
	s_wait_dscnt 0x0
	v_pk_mul_f32 v[124:125], v[120:121], v[118:119] op_sel:[0,1]
	s_delay_alu instid0(VALU_DEP_1) | instskip(SKIP_2) | instid1(VALU_DEP_2)
	v_pk_fma_f32 v[126:127], v[120:121], v[116:117], v[124:125] op_sel:[0,0,1] op_sel_hi:[1,1,0] neg_lo:[0,0,1] neg_hi:[0,0,1]
	v_pk_fma_f32 v[120:121], v[120:121], v[116:117], v[124:125] op_sel:[0,0,1] op_sel_hi:[1,0,0]
	v_dual_mul_f32 v124, v123, v119 :: v_dual_mov_b32 v120, v123
	v_dual_mov_b32 v127, v121 :: v_dual_mov_b32 v121, v122
	s_delay_alu instid0(VALU_DEP_2) | instskip(SKIP_1) | instid1(VALU_DEP_3)
	v_pk_fma_f32 v[124:125], v[122:123], v[28:29], v[124:125] op_sel_hi:[1,1,0] neg_lo:[0,0,1] neg_hi:[0,0,1]
	v_mul_f32_e32 v122, v123, v116
	v_pk_add_f32 v[22:23], v[22:23], v[126:127] neg_lo:[0,1] neg_hi:[0,1]
	s_delay_alu instid0(VALU_DEP_2) | instskip(NEXT) | instid1(VALU_DEP_1)
	v_pk_fma_f32 v[120:121], v[120:121], v[28:29], v[122:123] op_sel_hi:[1,1,0]
	v_mov_b32_e32 v125, v121
	ds_load_2addr_b64 v[120:123], v160 offset0:9 offset1:10
	v_pk_add_f32 v[42:43], v[42:43], v[124:125] neg_lo:[0,1] neg_hi:[0,1]
	s_wait_dscnt 0x0
	v_pk_mul_f32 v[124:125], v[120:121], v[118:119] op_sel:[0,1]
	s_delay_alu instid0(VALU_DEP_1) | instskip(SKIP_1) | instid1(VALU_DEP_1)
	v_pk_fma_f32 v[126:127], v[120:121], v[116:117], v[124:125] op_sel:[0,0,1] op_sel_hi:[1,1,0] neg_lo:[0,0,1] neg_hi:[0,0,1]
	v_pk_fma_f32 v[120:121], v[120:121], v[116:117], v[124:125] op_sel:[0,0,1] op_sel_hi:[1,0,0]
	v_mov_b32_e32 v127, v121
	v_pk_mul_f32 v[120:121], v[122:123], v[118:119] op_sel:[0,1]
	s_delay_alu instid0(VALU_DEP_1) | instskip(SKIP_1) | instid1(VALU_DEP_1)
	v_pk_fma_f32 v[124:125], v[122:123], v[116:117], v[120:121] op_sel:[0,0,1] op_sel_hi:[1,1,0] neg_lo:[0,0,1] neg_hi:[0,0,1]
	v_pk_fma_f32 v[120:121], v[122:123], v[116:117], v[120:121] op_sel:[0,0,1] op_sel_hi:[1,0,0]
	v_mov_b32_e32 v125, v121
	ds_load_2addr_b64 v[120:123], v160 offset0:11 offset1:12
	v_pk_add_f32 v[38:39], v[38:39], v[126:127] neg_lo:[0,1] neg_hi:[0,1]
	v_pk_add_f32 v[40:41], v[40:41], v[124:125] neg_lo:[0,1] neg_hi:[0,1]
	s_wait_dscnt 0x0
	v_pk_mul_f32 v[124:125], v[120:121], v[118:119] op_sel:[0,1]
	s_delay_alu instid0(VALU_DEP_1) | instskip(SKIP_1) | instid1(VALU_DEP_1)
	v_pk_fma_f32 v[126:127], v[120:121], v[116:117], v[124:125] op_sel:[0,0,1] op_sel_hi:[1,1,0] neg_lo:[0,0,1] neg_hi:[0,0,1]
	v_pk_fma_f32 v[120:121], v[120:121], v[116:117], v[124:125] op_sel:[0,0,1] op_sel_hi:[1,0,0]
	v_mov_b32_e32 v127, v121
	v_pk_mul_f32 v[120:121], v[122:123], v[118:119] op_sel:[0,1]
	s_delay_alu instid0(VALU_DEP_1) | instskip(SKIP_1) | instid1(VALU_DEP_1)
	v_pk_fma_f32 v[124:125], v[122:123], v[116:117], v[120:121] op_sel:[0,0,1] op_sel_hi:[1,1,0] neg_lo:[0,0,1] neg_hi:[0,0,1]
	v_pk_fma_f32 v[120:121], v[122:123], v[116:117], v[120:121] op_sel:[0,0,1] op_sel_hi:[1,0,0]
	v_mov_b32_e32 v125, v121
	ds_load_2addr_b64 v[120:123], v160 offset0:13 offset1:14
	v_pk_add_f32 v[36:37], v[36:37], v[126:127] neg_lo:[0,1] neg_hi:[0,1]
	v_pk_add_f32 v[66:67], v[66:67], v[124:125] neg_lo:[0,1] neg_hi:[0,1]
	s_wait_dscnt 0x0
	v_dual_mul_f32 v124, v121, v119 :: v_dual_mul_f32 v126, v121, v116
	s_delay_alu instid0(VALU_DEP_1) | instskip(NEXT) | instid1(VALU_DEP_2)
	v_pk_fma_f32 v[124:125], v[120:121], v[28:29], v[124:125] op_sel_hi:[1,1,0] neg_lo:[0,0,1] neg_hi:[0,0,1]
	v_pk_fma_f32 v[120:121], v[120:121], v[28:29], v[126:127] op_sel:[1,0,0] op_sel_hi:[0,1,0]
	s_delay_alu instid0(VALU_DEP_1) | instskip(SKIP_1) | instid1(VALU_DEP_2)
	v_mov_b32_e32 v125, v121
	v_pk_mul_f32 v[120:121], v[122:123], v[118:119] op_sel:[0,1]
	v_pk_add_f32 v[62:63], v[62:63], v[124:125] neg_lo:[0,1] neg_hi:[0,1]
	s_delay_alu instid0(VALU_DEP_2) | instskip(SKIP_1) | instid1(VALU_DEP_1)
	v_pk_fma_f32 v[124:125], v[122:123], v[116:117], v[120:121] op_sel:[0,0,1] op_sel_hi:[1,1,0] neg_lo:[0,0,1] neg_hi:[0,0,1]
	v_pk_fma_f32 v[120:121], v[122:123], v[116:117], v[120:121] op_sel:[0,0,1] op_sel_hi:[1,0,0]
	v_mov_b32_e32 v125, v121
	ds_load_2addr_b64 v[120:123], v160 offset0:15 offset1:16
	v_pk_add_f32 v[64:65], v[64:65], v[124:125] neg_lo:[0,1] neg_hi:[0,1]
	s_wait_dscnt 0x0
	v_pk_mul_f32 v[124:125], v[120:121], v[118:119] op_sel:[0,1]
	s_delay_alu instid0(VALU_DEP_1) | instskip(SKIP_1) | instid1(VALU_DEP_1)
	v_pk_fma_f32 v[126:127], v[120:121], v[116:117], v[124:125] op_sel:[0,0,1] op_sel_hi:[1,1,0] neg_lo:[0,0,1] neg_hi:[0,0,1]
	v_pk_fma_f32 v[120:121], v[120:121], v[116:117], v[124:125] op_sel:[0,0,1] op_sel_hi:[1,0,0]
	v_mov_b32_e32 v127, v121
	v_pk_mul_f32 v[120:121], v[122:123], v[118:119] op_sel:[0,1]
	s_delay_alu instid0(VALU_DEP_2) | instskip(NEXT) | instid1(VALU_DEP_2)
	v_pk_add_f32 v[60:61], v[60:61], v[126:127] neg_lo:[0,1] neg_hi:[0,1]
	v_pk_fma_f32 v[124:125], v[122:123], v[116:117], v[120:121] op_sel:[0,0,1] op_sel_hi:[1,1,0] neg_lo:[0,0,1] neg_hi:[0,0,1]
	v_pk_fma_f32 v[120:121], v[122:123], v[116:117], v[120:121] op_sel:[0,0,1] op_sel_hi:[1,0,0]
	s_delay_alu instid0(VALU_DEP_1) | instskip(SKIP_4) | instid1(VALU_DEP_1)
	v_mov_b32_e32 v125, v121
	ds_load_2addr_b64 v[120:123], v160 offset0:17 offset1:18
	v_pk_add_f32 v[84:85], v[84:85], v[124:125] neg_lo:[0,1] neg_hi:[0,1]
	s_wait_dscnt 0x0
	v_pk_mul_f32 v[124:125], v[120:121], v[118:119] op_sel:[0,1]
	v_pk_fma_f32 v[126:127], v[120:121], v[116:117], v[124:125] op_sel:[0,0,1] op_sel_hi:[1,1,0] neg_lo:[0,0,1] neg_hi:[0,0,1]
	v_pk_fma_f32 v[120:121], v[120:121], v[116:117], v[124:125] op_sel:[0,0,1] op_sel_hi:[1,0,0]
	v_dual_mul_f32 v124, v123, v119 :: v_dual_mov_b32 v120, v123
	s_delay_alu instid0(VALU_DEP_2) | instskip(NEXT) | instid1(VALU_DEP_2)
	v_dual_mov_b32 v127, v121 :: v_dual_mov_b32 v121, v122
	v_pk_fma_f32 v[124:125], v[122:123], v[28:29], v[124:125] op_sel_hi:[1,1,0] neg_lo:[0,0,1] neg_hi:[0,0,1]
	v_mul_f32_e32 v122, v123, v116
	s_delay_alu instid0(VALU_DEP_3) | instskip(NEXT) | instid1(VALU_DEP_2)
	v_pk_add_f32 v[80:81], v[80:81], v[126:127] neg_lo:[0,1] neg_hi:[0,1]
	v_pk_fma_f32 v[120:121], v[120:121], v[28:29], v[122:123] op_sel_hi:[1,1,0]
	s_delay_alu instid0(VALU_DEP_1) | instskip(SKIP_4) | instid1(VALU_DEP_1)
	v_mov_b32_e32 v125, v121
	ds_load_2addr_b64 v[120:123], v160 offset0:19 offset1:20
	v_pk_add_f32 v[82:83], v[82:83], v[124:125] neg_lo:[0,1] neg_hi:[0,1]
	s_wait_dscnt 0x0
	v_pk_mul_f32 v[124:125], v[120:121], v[118:119] op_sel:[0,1]
	v_pk_fma_f32 v[126:127], v[120:121], v[116:117], v[124:125] op_sel:[0,0,1] op_sel_hi:[1,1,0] neg_lo:[0,0,1] neg_hi:[0,0,1]
	v_pk_fma_f32 v[120:121], v[120:121], v[116:117], v[124:125] op_sel:[0,0,1] op_sel_hi:[1,0,0]
	s_delay_alu instid0(VALU_DEP_1) | instskip(SKIP_1) | instid1(VALU_DEP_1)
	v_mov_b32_e32 v127, v121
	v_pk_mul_f32 v[120:121], v[122:123], v[118:119] op_sel:[0,1]
	v_pk_fma_f32 v[124:125], v[122:123], v[116:117], v[120:121] op_sel:[0,0,1] op_sel_hi:[1,1,0] neg_lo:[0,0,1] neg_hi:[0,0,1]
	v_pk_fma_f32 v[120:121], v[122:123], v[116:117], v[120:121] op_sel:[0,0,1] op_sel_hi:[1,0,0]
	s_delay_alu instid0(VALU_DEP_1)
	v_mov_b32_e32 v125, v121
	ds_load_2addr_b64 v[120:123], v160 offset0:21 offset1:22
	v_pk_add_f32 v[78:79], v[78:79], v[126:127] neg_lo:[0,1] neg_hi:[0,1]
	v_pk_add_f32 v[96:97], v[96:97], v[124:125] neg_lo:[0,1] neg_hi:[0,1]
	s_wait_dscnt 0x0
	v_pk_mul_f32 v[124:125], v[120:121], v[118:119] op_sel:[0,1]
	s_delay_alu instid0(VALU_DEP_1) | instskip(SKIP_1) | instid1(VALU_DEP_1)
	v_pk_fma_f32 v[126:127], v[120:121], v[116:117], v[124:125] op_sel:[0,0,1] op_sel_hi:[1,1,0] neg_lo:[0,0,1] neg_hi:[0,0,1]
	v_pk_fma_f32 v[120:121], v[120:121], v[116:117], v[124:125] op_sel:[0,0,1] op_sel_hi:[1,0,0]
	v_mov_b32_e32 v127, v121
	v_pk_mul_f32 v[120:121], v[122:123], v[118:119] op_sel:[0,1]
	s_delay_alu instid0(VALU_DEP_1) | instskip(SKIP_1) | instid1(VALU_DEP_1)
	v_pk_fma_f32 v[124:125], v[122:123], v[116:117], v[120:121] op_sel:[0,0,1] op_sel_hi:[1,1,0] neg_lo:[0,0,1] neg_hi:[0,0,1]
	v_pk_fma_f32 v[120:121], v[122:123], v[116:117], v[120:121] op_sel:[0,0,1] op_sel_hi:[1,0,0]
	v_mov_b32_e32 v125, v121
	ds_load_2addr_b64 v[120:123], v160 offset0:23 offset1:24
	v_pk_add_f32 v[94:95], v[94:95], v[126:127] neg_lo:[0,1] neg_hi:[0,1]
	v_pk_add_f32 v[102:103], v[102:103], v[124:125] neg_lo:[0,1] neg_hi:[0,1]
	s_wait_dscnt 0x0
	v_dual_mul_f32 v124, v121, v119 :: v_dual_mul_f32 v126, v121, v116
	s_delay_alu instid0(VALU_DEP_1) | instskip(NEXT) | instid1(VALU_DEP_2)
	v_pk_fma_f32 v[124:125], v[120:121], v[28:29], v[124:125] op_sel_hi:[1,1,0] neg_lo:[0,0,1] neg_hi:[0,0,1]
	v_pk_fma_f32 v[120:121], v[120:121], v[28:29], v[126:127] op_sel:[1,0,0] op_sel_hi:[0,1,0]
	s_delay_alu instid0(VALU_DEP_1) | instskip(SKIP_1) | instid1(VALU_DEP_2)
	v_mov_b32_e32 v125, v121
	v_pk_mul_f32 v[120:121], v[122:123], v[118:119] op_sel:[0,1]
	v_pk_add_f32 v[100:101], v[100:101], v[124:125] neg_lo:[0,1] neg_hi:[0,1]
	s_delay_alu instid0(VALU_DEP_2) | instskip(SKIP_1) | instid1(VALU_DEP_1)
	v_pk_fma_f32 v[124:125], v[122:123], v[116:117], v[120:121] op_sel:[0,0,1] op_sel_hi:[1,1,0] neg_lo:[0,0,1] neg_hi:[0,0,1]
	v_pk_fma_f32 v[120:121], v[122:123], v[116:117], v[120:121] op_sel:[0,0,1] op_sel_hi:[1,0,0]
	v_mov_b32_e32 v125, v121
	ds_load_b64 v[120:121], v160 offset:200
	v_pk_add_f32 v[98:99], v[98:99], v[124:125] neg_lo:[0,1] neg_hi:[0,1]
	s_wait_dscnt 0x0
	v_pk_mul_f32 v[118:119], v[120:121], v[118:119] op_sel:[0,1]
	s_delay_alu instid0(VALU_DEP_1) | instskip(SKIP_1) | instid1(VALU_DEP_1)
	v_pk_fma_f32 v[122:123], v[120:121], v[116:117], v[118:119] op_sel:[0,0,1] op_sel_hi:[1,1,0] neg_lo:[0,0,1] neg_hi:[0,0,1]
	v_pk_fma_f32 v[116:117], v[120:121], v[116:117], v[118:119] op_sel:[0,0,1] op_sel_hi:[1,0,0]
	v_mov_b32_e32 v123, v117
	s_delay_alu instid0(VALU_DEP_1)
	v_pk_add_f32 v[104:105], v[104:105], v[122:123] neg_lo:[0,1] neg_hi:[0,1]
.LBB51_46:
	s_or_b32 exec_lo, exec_lo, s1
	s_delay_alu instid0(SALU_CYCLE_1)
	s_mov_b32 s2, exec_lo
	s_wait_dscnt 0x0
	s_barrier_signal -1
	s_barrier_wait -1
	v_cmpx_eq_u32_e32 5, v158
	s_cbranch_execz .LBB51_53
; %bb.47:
	v_dual_mov_b32 v116, v26 :: v_dual_mov_b32 v117, v27
	v_dual_mov_b32 v118, v22 :: v_dual_mov_b32 v119, v23
	;; [unrolled: 1-line block ×8, first 2 shown]
	ds_store_b64 v159, v[24:25]
	ds_store_2addr_b64 v160, v[116:117], v[118:119] offset0:6 offset1:7
	ds_store_2addr_b64 v160, v[120:121], v[122:123] offset0:8 offset1:9
	;; [unrolled: 1-line block ×4, first 2 shown]
	v_dual_mov_b32 v116, v64 :: v_dual_mov_b32 v117, v65
	v_dual_mov_b32 v118, v60 :: v_dual_mov_b32 v119, v61
	;; [unrolled: 1-line block ×11, first 2 shown]
	ds_store_2addr_b64 v160, v[116:117], v[118:119] offset0:14 offset1:15
	ds_store_2addr_b64 v160, v[120:121], v[122:123] offset0:16 offset1:17
	;; [unrolled: 1-line block ×6, first 2 shown]
	ds_load_b64 v[116:117], v159
	s_wait_dscnt 0x0
	v_cmp_neq_f32_e32 vcc_lo, 0, v116
	v_cmp_neq_f32_e64 s1, 0, v117
	s_or_b32 s1, vcc_lo, s1
	s_delay_alu instid0(SALU_CYCLE_1)
	s_and_b32 exec_lo, exec_lo, s1
	s_cbranch_execz .LBB51_53
; %bb.48:
	v_cmp_ngt_f32_e64 s1, |v116|, |v117|
                                        ; implicit-def: $vgpr118_vgpr119
	s_and_saveexec_b32 s4, s1
	s_delay_alu instid0(SALU_CYCLE_1)
	s_xor_b32 s1, exec_lo, s4
	s_cbranch_execz .LBB51_50
; %bb.49:
	v_div_scale_f32 v118, null, v117, v117, v116
	v_div_scale_f32 v121, vcc_lo, v116, v117, v116
	s_delay_alu instid0(VALU_DEP_2) | instskip(SKIP_1) | instid1(TRANS32_DEP_1)
	v_rcp_f32_e32 v119, v118
	v_nop
	v_fma_f32 v120, -v118, v119, 1.0
	s_delay_alu instid0(VALU_DEP_1) | instskip(NEXT) | instid1(VALU_DEP_1)
	v_fmac_f32_e32 v119, v120, v119
	v_mul_f32_e32 v120, v121, v119
	s_delay_alu instid0(VALU_DEP_1) | instskip(NEXT) | instid1(VALU_DEP_1)
	v_fma_f32 v122, -v118, v120, v121
	v_fmac_f32_e32 v120, v122, v119
	s_delay_alu instid0(VALU_DEP_1) | instskip(NEXT) | instid1(VALU_DEP_1)
	v_fma_f32 v118, -v118, v120, v121
	v_div_fmas_f32 v118, v118, v119, v120
	s_delay_alu instid0(VALU_DEP_1) | instskip(NEXT) | instid1(VALU_DEP_1)
	v_div_fixup_f32 v118, v118, v117, v116
	v_fmac_f32_e32 v117, v116, v118
	s_delay_alu instid0(VALU_DEP_1) | instskip(SKIP_1) | instid1(VALU_DEP_2)
	v_div_scale_f32 v116, null, v117, v117, 1.0
	v_div_scale_f32 v121, vcc_lo, 1.0, v117, 1.0
	v_rcp_f32_e32 v119, v116
	v_nop
	s_delay_alu instid0(TRANS32_DEP_1) | instskip(NEXT) | instid1(VALU_DEP_1)
	v_fma_f32 v120, -v116, v119, 1.0
	v_fmac_f32_e32 v119, v120, v119
	s_delay_alu instid0(VALU_DEP_1) | instskip(NEXT) | instid1(VALU_DEP_1)
	v_mul_f32_e32 v120, v121, v119
	v_fma_f32 v122, -v116, v120, v121
	s_delay_alu instid0(VALU_DEP_1) | instskip(NEXT) | instid1(VALU_DEP_1)
	v_fmac_f32_e32 v120, v122, v119
	v_fma_f32 v116, -v116, v120, v121
	s_delay_alu instid0(VALU_DEP_1) | instskip(NEXT) | instid1(VALU_DEP_1)
	v_div_fmas_f32 v116, v116, v119, v120
	v_div_fixup_f32 v116, v116, v117, 1.0
	s_delay_alu instid0(VALU_DEP_1)
	v_mul_f32_e32 v118, v118, v116
	v_xor_b32_e32 v119, 0x80000000, v116
                                        ; implicit-def: $vgpr116_vgpr117
.LBB51_50:
	s_and_not1_saveexec_b32 s1, s1
	s_cbranch_execz .LBB51_52
; %bb.51:
	v_div_scale_f32 v118, null, v116, v116, v117
	v_div_scale_f32 v121, vcc_lo, v117, v116, v117
	s_delay_alu instid0(VALU_DEP_2) | instskip(SKIP_1) | instid1(TRANS32_DEP_1)
	v_rcp_f32_e32 v119, v118
	v_nop
	v_fma_f32 v120, -v118, v119, 1.0
	s_delay_alu instid0(VALU_DEP_1) | instskip(NEXT) | instid1(VALU_DEP_1)
	v_fmac_f32_e32 v119, v120, v119
	v_mul_f32_e32 v120, v121, v119
	s_delay_alu instid0(VALU_DEP_1) | instskip(NEXT) | instid1(VALU_DEP_1)
	v_fma_f32 v122, -v118, v120, v121
	v_fmac_f32_e32 v120, v122, v119
	s_delay_alu instid0(VALU_DEP_1) | instskip(NEXT) | instid1(VALU_DEP_1)
	v_fma_f32 v118, -v118, v120, v121
	v_div_fmas_f32 v118, v118, v119, v120
	s_delay_alu instid0(VALU_DEP_1) | instskip(NEXT) | instid1(VALU_DEP_1)
	v_div_fixup_f32 v119, v118, v116, v117
	v_fmac_f32_e32 v116, v117, v119
	s_delay_alu instid0(VALU_DEP_1) | instskip(NEXT) | instid1(VALU_DEP_1)
	v_div_scale_f32 v117, null, v116, v116, 1.0
	v_rcp_f32_e32 v118, v117
	v_nop
	s_delay_alu instid0(TRANS32_DEP_1) | instskip(NEXT) | instid1(VALU_DEP_1)
	v_fma_f32 v120, -v117, v118, 1.0
	v_fmac_f32_e32 v118, v120, v118
	v_div_scale_f32 v120, vcc_lo, 1.0, v116, 1.0
	s_delay_alu instid0(VALU_DEP_1) | instskip(NEXT) | instid1(VALU_DEP_1)
	v_mul_f32_e32 v121, v120, v118
	v_fma_f32 v122, -v117, v121, v120
	s_delay_alu instid0(VALU_DEP_1) | instskip(NEXT) | instid1(VALU_DEP_1)
	v_fmac_f32_e32 v121, v122, v118
	v_fma_f32 v117, -v117, v121, v120
	s_delay_alu instid0(VALU_DEP_1) | instskip(NEXT) | instid1(VALU_DEP_1)
	v_div_fmas_f32 v117, v117, v118, v121
	v_div_fixup_f32 v118, v117, v116, 1.0
	s_delay_alu instid0(VALU_DEP_1)
	v_mul_f32_e64 v119, v119, -v118
.LBB51_52:
	s_or_b32 exec_lo, exec_lo, s1
	ds_store_b64 v159, v[118:119]
.LBB51_53:
	s_or_b32 exec_lo, exec_lo, s2
	s_wait_dscnt 0x0
	s_barrier_signal -1
	s_barrier_wait -1
	ds_load_b64 v[116:117], v159
	s_mov_b32 s1, exec_lo
	v_cmpx_lt_u32_e32 5, v158
	s_cbranch_execz .LBB51_55
; %bb.54:
	ds_load_2addr_b64 v[122:125], v160 offset0:6 offset1:7
	s_wait_dscnt 0x1
	v_pk_mul_f32 v[120:121], v[116:117], v[24:25] op_sel:[1,1] op_sel_hi:[0,1]
	s_delay_alu instid0(VALU_DEP_1) | instskip(SKIP_1) | instid1(VALU_DEP_1)
	v_pk_fma_f32 v[118:119], v[116:117], v[24:25], v[120:121] op_sel_hi:[1,0,1] neg_lo:[0,0,1] neg_hi:[0,0,1]
	v_pk_fma_f32 v[120:121], v[116:117], v[24:25], v[120:121] op_sel_hi:[1,0,1]
	v_dual_mov_b32 v24, v118 :: v_dual_mov_b32 v25, v121
	s_wait_dscnt 0x0
	s_delay_alu instid0(VALU_DEP_2) | instskip(NEXT) | instid1(VALU_DEP_1)
	v_pk_mul_f32 v[126:127], v[122:123], v[120:121] op_sel:[0,1]
	v_pk_fma_f32 v[128:129], v[122:123], v[118:119], v[126:127] op_sel:[0,0,1] op_sel_hi:[1,1,0] neg_lo:[0,0,1] neg_hi:[0,0,1]
	v_pk_fma_f32 v[122:123], v[122:123], v[118:119], v[126:127] op_sel:[0,0,1] op_sel_hi:[1,0,0]
	s_delay_alu instid0(VALU_DEP_1) | instskip(SKIP_1) | instid1(VALU_DEP_1)
	v_mov_b32_e32 v129, v123
	v_pk_mul_f32 v[122:123], v[124:125], v[120:121] op_sel:[0,1]
	v_pk_fma_f32 v[126:127], v[124:125], v[118:119], v[122:123] op_sel:[0,0,1] op_sel_hi:[1,1,0] neg_lo:[0,0,1] neg_hi:[0,0,1]
	v_pk_fma_f32 v[122:123], v[124:125], v[118:119], v[122:123] op_sel:[0,0,1] op_sel_hi:[1,0,0]
	s_delay_alu instid0(VALU_DEP_1)
	v_mov_b32_e32 v127, v123
	ds_load_2addr_b64 v[122:125], v160 offset0:8 offset1:9
	v_pk_add_f32 v[26:27], v[26:27], v[128:129] neg_lo:[0,1] neg_hi:[0,1]
	v_pk_add_f32 v[22:23], v[22:23], v[126:127] neg_lo:[0,1] neg_hi:[0,1]
	s_wait_dscnt 0x0
	v_pk_mul_f32 v[126:127], v[122:123], v[120:121] op_sel:[0,1]
	s_delay_alu instid0(VALU_DEP_1) | instskip(SKIP_2) | instid1(VALU_DEP_2)
	v_pk_fma_f32 v[128:129], v[122:123], v[118:119], v[126:127] op_sel:[0,0,1] op_sel_hi:[1,1,0] neg_lo:[0,0,1] neg_hi:[0,0,1]
	v_pk_fma_f32 v[122:123], v[122:123], v[118:119], v[126:127] op_sel:[0,0,1] op_sel_hi:[1,0,0]
	v_dual_mul_f32 v126, v125, v121 :: v_dual_mov_b32 v122, v125
	v_dual_mov_b32 v129, v123 :: v_dual_mov_b32 v123, v124
	s_delay_alu instid0(VALU_DEP_2) | instskip(SKIP_1) | instid1(VALU_DEP_3)
	v_pk_fma_f32 v[126:127], v[124:125], v[24:25], v[126:127] op_sel_hi:[1,1,0] neg_lo:[0,0,1] neg_hi:[0,0,1]
	v_mul_f32_e32 v124, v125, v118
	v_pk_add_f32 v[42:43], v[42:43], v[128:129] neg_lo:[0,1] neg_hi:[0,1]
	s_delay_alu instid0(VALU_DEP_2) | instskip(NEXT) | instid1(VALU_DEP_1)
	v_pk_fma_f32 v[122:123], v[122:123], v[24:25], v[124:125] op_sel_hi:[1,1,0]
	v_mov_b32_e32 v127, v123
	ds_load_2addr_b64 v[122:125], v160 offset0:10 offset1:11
	v_pk_add_f32 v[38:39], v[38:39], v[126:127] neg_lo:[0,1] neg_hi:[0,1]
	s_wait_dscnt 0x0
	v_pk_mul_f32 v[126:127], v[122:123], v[120:121] op_sel:[0,1]
	s_delay_alu instid0(VALU_DEP_1) | instskip(SKIP_1) | instid1(VALU_DEP_1)
	v_pk_fma_f32 v[128:129], v[122:123], v[118:119], v[126:127] op_sel:[0,0,1] op_sel_hi:[1,1,0] neg_lo:[0,0,1] neg_hi:[0,0,1]
	v_pk_fma_f32 v[122:123], v[122:123], v[118:119], v[126:127] op_sel:[0,0,1] op_sel_hi:[1,0,0]
	v_mov_b32_e32 v129, v123
	v_pk_mul_f32 v[122:123], v[124:125], v[120:121] op_sel:[0,1]
	s_delay_alu instid0(VALU_DEP_1) | instskip(SKIP_1) | instid1(VALU_DEP_1)
	v_pk_fma_f32 v[126:127], v[124:125], v[118:119], v[122:123] op_sel:[0,0,1] op_sel_hi:[1,1,0] neg_lo:[0,0,1] neg_hi:[0,0,1]
	v_pk_fma_f32 v[122:123], v[124:125], v[118:119], v[122:123] op_sel:[0,0,1] op_sel_hi:[1,0,0]
	v_mov_b32_e32 v127, v123
	ds_load_2addr_b64 v[122:125], v160 offset0:12 offset1:13
	v_pk_add_f32 v[40:41], v[40:41], v[128:129] neg_lo:[0,1] neg_hi:[0,1]
	v_pk_add_f32 v[36:37], v[36:37], v[126:127] neg_lo:[0,1] neg_hi:[0,1]
	s_wait_dscnt 0x0
	v_pk_mul_f32 v[126:127], v[122:123], v[120:121] op_sel:[0,1]
	s_delay_alu instid0(VALU_DEP_1) | instskip(SKIP_1) | instid1(VALU_DEP_1)
	v_pk_fma_f32 v[128:129], v[122:123], v[118:119], v[126:127] op_sel:[0,0,1] op_sel_hi:[1,1,0] neg_lo:[0,0,1] neg_hi:[0,0,1]
	v_pk_fma_f32 v[122:123], v[122:123], v[118:119], v[126:127] op_sel:[0,0,1] op_sel_hi:[1,0,0]
	v_mov_b32_e32 v129, v123
	v_pk_mul_f32 v[122:123], v[124:125], v[120:121] op_sel:[0,1]
	s_delay_alu instid0(VALU_DEP_1) | instskip(SKIP_1) | instid1(VALU_DEP_1)
	v_pk_fma_f32 v[126:127], v[124:125], v[118:119], v[122:123] op_sel:[0,0,1] op_sel_hi:[1,1,0] neg_lo:[0,0,1] neg_hi:[0,0,1]
	v_pk_fma_f32 v[122:123], v[124:125], v[118:119], v[122:123] op_sel:[0,0,1] op_sel_hi:[1,0,0]
	v_mov_b32_e32 v127, v123
	ds_load_2addr_b64 v[122:125], v160 offset0:14 offset1:15
	v_pk_add_f32 v[66:67], v[66:67], v[128:129] neg_lo:[0,1] neg_hi:[0,1]
	v_pk_add_f32 v[62:63], v[62:63], v[126:127] neg_lo:[0,1] neg_hi:[0,1]
	s_wait_dscnt 0x0
	v_dual_mul_f32 v126, v123, v121 :: v_dual_mul_f32 v128, v123, v118
	s_delay_alu instid0(VALU_DEP_1) | instskip(NEXT) | instid1(VALU_DEP_2)
	v_pk_fma_f32 v[126:127], v[122:123], v[24:25], v[126:127] op_sel_hi:[1,1,0] neg_lo:[0,0,1] neg_hi:[0,0,1]
	v_pk_fma_f32 v[122:123], v[122:123], v[24:25], v[128:129] op_sel:[1,0,0] op_sel_hi:[0,1,0]
	s_delay_alu instid0(VALU_DEP_1) | instskip(SKIP_1) | instid1(VALU_DEP_2)
	v_mov_b32_e32 v127, v123
	v_pk_mul_f32 v[122:123], v[124:125], v[120:121] op_sel:[0,1]
	v_pk_add_f32 v[64:65], v[64:65], v[126:127] neg_lo:[0,1] neg_hi:[0,1]
	s_delay_alu instid0(VALU_DEP_2) | instskip(SKIP_1) | instid1(VALU_DEP_1)
	v_pk_fma_f32 v[126:127], v[124:125], v[118:119], v[122:123] op_sel:[0,0,1] op_sel_hi:[1,1,0] neg_lo:[0,0,1] neg_hi:[0,0,1]
	v_pk_fma_f32 v[122:123], v[124:125], v[118:119], v[122:123] op_sel:[0,0,1] op_sel_hi:[1,0,0]
	v_mov_b32_e32 v127, v123
	ds_load_2addr_b64 v[122:125], v160 offset0:16 offset1:17
	v_pk_add_f32 v[60:61], v[60:61], v[126:127] neg_lo:[0,1] neg_hi:[0,1]
	s_wait_dscnt 0x0
	v_pk_mul_f32 v[126:127], v[122:123], v[120:121] op_sel:[0,1]
	s_delay_alu instid0(VALU_DEP_1) | instskip(SKIP_1) | instid1(VALU_DEP_1)
	v_pk_fma_f32 v[128:129], v[122:123], v[118:119], v[126:127] op_sel:[0,0,1] op_sel_hi:[1,1,0] neg_lo:[0,0,1] neg_hi:[0,0,1]
	v_pk_fma_f32 v[122:123], v[122:123], v[118:119], v[126:127] op_sel:[0,0,1] op_sel_hi:[1,0,0]
	v_mov_b32_e32 v129, v123
	v_pk_mul_f32 v[122:123], v[124:125], v[120:121] op_sel:[0,1]
	s_delay_alu instid0(VALU_DEP_2) | instskip(NEXT) | instid1(VALU_DEP_2)
	v_pk_add_f32 v[84:85], v[84:85], v[128:129] neg_lo:[0,1] neg_hi:[0,1]
	v_pk_fma_f32 v[126:127], v[124:125], v[118:119], v[122:123] op_sel:[0,0,1] op_sel_hi:[1,1,0] neg_lo:[0,0,1] neg_hi:[0,0,1]
	v_pk_fma_f32 v[122:123], v[124:125], v[118:119], v[122:123] op_sel:[0,0,1] op_sel_hi:[1,0,0]
	s_delay_alu instid0(VALU_DEP_1) | instskip(SKIP_4) | instid1(VALU_DEP_1)
	v_mov_b32_e32 v127, v123
	ds_load_2addr_b64 v[122:125], v160 offset0:18 offset1:19
	v_pk_add_f32 v[80:81], v[80:81], v[126:127] neg_lo:[0,1] neg_hi:[0,1]
	s_wait_dscnt 0x0
	v_pk_mul_f32 v[126:127], v[122:123], v[120:121] op_sel:[0,1]
	v_pk_fma_f32 v[128:129], v[122:123], v[118:119], v[126:127] op_sel:[0,0,1] op_sel_hi:[1,1,0] neg_lo:[0,0,1] neg_hi:[0,0,1]
	v_pk_fma_f32 v[122:123], v[122:123], v[118:119], v[126:127] op_sel:[0,0,1] op_sel_hi:[1,0,0]
	v_dual_mul_f32 v126, v125, v121 :: v_dual_mov_b32 v122, v125
	s_delay_alu instid0(VALU_DEP_2) | instskip(NEXT) | instid1(VALU_DEP_2)
	v_dual_mov_b32 v129, v123 :: v_dual_mov_b32 v123, v124
	v_pk_fma_f32 v[126:127], v[124:125], v[24:25], v[126:127] op_sel_hi:[1,1,0] neg_lo:[0,0,1] neg_hi:[0,0,1]
	v_mul_f32_e32 v124, v125, v118
	s_delay_alu instid0(VALU_DEP_3) | instskip(NEXT) | instid1(VALU_DEP_2)
	v_pk_add_f32 v[82:83], v[82:83], v[128:129] neg_lo:[0,1] neg_hi:[0,1]
	v_pk_fma_f32 v[122:123], v[122:123], v[24:25], v[124:125] op_sel_hi:[1,1,0]
	s_delay_alu instid0(VALU_DEP_1) | instskip(SKIP_4) | instid1(VALU_DEP_1)
	v_mov_b32_e32 v127, v123
	ds_load_2addr_b64 v[122:125], v160 offset0:20 offset1:21
	v_pk_add_f32 v[78:79], v[78:79], v[126:127] neg_lo:[0,1] neg_hi:[0,1]
	s_wait_dscnt 0x0
	v_pk_mul_f32 v[126:127], v[122:123], v[120:121] op_sel:[0,1]
	v_pk_fma_f32 v[128:129], v[122:123], v[118:119], v[126:127] op_sel:[0,0,1] op_sel_hi:[1,1,0] neg_lo:[0,0,1] neg_hi:[0,0,1]
	v_pk_fma_f32 v[122:123], v[122:123], v[118:119], v[126:127] op_sel:[0,0,1] op_sel_hi:[1,0,0]
	s_delay_alu instid0(VALU_DEP_1) | instskip(SKIP_1) | instid1(VALU_DEP_1)
	v_mov_b32_e32 v129, v123
	v_pk_mul_f32 v[122:123], v[124:125], v[120:121] op_sel:[0,1]
	v_pk_fma_f32 v[126:127], v[124:125], v[118:119], v[122:123] op_sel:[0,0,1] op_sel_hi:[1,1,0] neg_lo:[0,0,1] neg_hi:[0,0,1]
	v_pk_fma_f32 v[122:123], v[124:125], v[118:119], v[122:123] op_sel:[0,0,1] op_sel_hi:[1,0,0]
	s_delay_alu instid0(VALU_DEP_1)
	v_mov_b32_e32 v127, v123
	ds_load_2addr_b64 v[122:125], v160 offset0:22 offset1:23
	v_pk_add_f32 v[96:97], v[96:97], v[128:129] neg_lo:[0,1] neg_hi:[0,1]
	v_pk_add_f32 v[94:95], v[94:95], v[126:127] neg_lo:[0,1] neg_hi:[0,1]
	s_wait_dscnt 0x0
	v_pk_mul_f32 v[126:127], v[122:123], v[120:121] op_sel:[0,1]
	s_delay_alu instid0(VALU_DEP_1) | instskip(SKIP_1) | instid1(VALU_DEP_1)
	v_pk_fma_f32 v[128:129], v[122:123], v[118:119], v[126:127] op_sel:[0,0,1] op_sel_hi:[1,1,0] neg_lo:[0,0,1] neg_hi:[0,0,1]
	v_pk_fma_f32 v[122:123], v[122:123], v[118:119], v[126:127] op_sel:[0,0,1] op_sel_hi:[1,0,0]
	v_mov_b32_e32 v129, v123
	v_pk_mul_f32 v[122:123], v[124:125], v[120:121] op_sel:[0,1]
	s_delay_alu instid0(VALU_DEP_1) | instskip(SKIP_1) | instid1(VALU_DEP_1)
	v_pk_fma_f32 v[126:127], v[124:125], v[118:119], v[122:123] op_sel:[0,0,1] op_sel_hi:[1,1,0] neg_lo:[0,0,1] neg_hi:[0,0,1]
	v_pk_fma_f32 v[122:123], v[124:125], v[118:119], v[122:123] op_sel:[0,0,1] op_sel_hi:[1,0,0]
	v_mov_b32_e32 v127, v123
	ds_load_2addr_b64 v[122:125], v160 offset0:24 offset1:25
	v_pk_add_f32 v[102:103], v[102:103], v[128:129] neg_lo:[0,1] neg_hi:[0,1]
	v_pk_add_f32 v[100:101], v[100:101], v[126:127] neg_lo:[0,1] neg_hi:[0,1]
	s_wait_dscnt 0x0
	v_dual_mul_f32 v126, v123, v121 :: v_dual_mul_f32 v128, v123, v118
	v_pk_mul_f32 v[120:121], v[124:125], v[120:121] op_sel:[0,1]
	s_delay_alu instid0(VALU_DEP_2) | instskip(NEXT) | instid1(VALU_DEP_3)
	v_pk_fma_f32 v[126:127], v[122:123], v[24:25], v[126:127] op_sel_hi:[1,1,0] neg_lo:[0,0,1] neg_hi:[0,0,1]
	v_pk_fma_f32 v[122:123], v[122:123], v[24:25], v[128:129] op_sel:[1,0,0] op_sel_hi:[0,1,0]
	s_delay_alu instid0(VALU_DEP_1) | instskip(NEXT) | instid1(VALU_DEP_4)
	v_mov_b32_e32 v127, v123
	v_pk_fma_f32 v[122:123], v[124:125], v[118:119], v[120:121] op_sel:[0,0,1] op_sel_hi:[1,1,0] neg_lo:[0,0,1] neg_hi:[0,0,1]
	v_pk_fma_f32 v[118:119], v[124:125], v[118:119], v[120:121] op_sel:[0,0,1] op_sel_hi:[1,0,0]
	s_delay_alu instid0(VALU_DEP_1) | instskip(NEXT) | instid1(VALU_DEP_4)
	v_mov_b32_e32 v123, v119
	v_pk_add_f32 v[98:99], v[98:99], v[126:127] neg_lo:[0,1] neg_hi:[0,1]
	s_delay_alu instid0(VALU_DEP_2)
	v_pk_add_f32 v[104:105], v[104:105], v[122:123] neg_lo:[0,1] neg_hi:[0,1]
.LBB51_55:
	s_or_b32 exec_lo, exec_lo, s1
	s_delay_alu instid0(SALU_CYCLE_1)
	s_mov_b32 s2, exec_lo
	s_wait_dscnt 0x0
	s_barrier_signal -1
	s_barrier_wait -1
	v_cmpx_eq_u32_e32 6, v158
	s_cbranch_execz .LBB51_62
; %bb.56:
	ds_store_b64 v159, v[26:27]
	ds_store_2addr_b64 v160, v[22:23], v[42:43] offset0:7 offset1:8
	ds_store_2addr_b64 v160, v[38:39], v[40:41] offset0:9 offset1:10
	;; [unrolled: 1-line block ×9, first 2 shown]
	ds_store_b64 v160, v[104:105] offset:200
	ds_load_b64 v[118:119], v159
	s_wait_dscnt 0x0
	v_cmp_neq_f32_e32 vcc_lo, 0, v118
	v_cmp_neq_f32_e64 s1, 0, v119
	s_or_b32 s1, vcc_lo, s1
	s_delay_alu instid0(SALU_CYCLE_1)
	s_and_b32 exec_lo, exec_lo, s1
	s_cbranch_execz .LBB51_62
; %bb.57:
	v_cmp_ngt_f32_e64 s1, |v118|, |v119|
                                        ; implicit-def: $vgpr120_vgpr121
	s_and_saveexec_b32 s4, s1
	s_delay_alu instid0(SALU_CYCLE_1)
	s_xor_b32 s1, exec_lo, s4
	s_cbranch_execz .LBB51_59
; %bb.58:
	v_div_scale_f32 v120, null, v119, v119, v118
	v_div_scale_f32 v123, vcc_lo, v118, v119, v118
	s_delay_alu instid0(VALU_DEP_2) | instskip(SKIP_1) | instid1(TRANS32_DEP_1)
	v_rcp_f32_e32 v121, v120
	v_nop
	v_fma_f32 v122, -v120, v121, 1.0
	s_delay_alu instid0(VALU_DEP_1) | instskip(NEXT) | instid1(VALU_DEP_1)
	v_fmac_f32_e32 v121, v122, v121
	v_mul_f32_e32 v122, v123, v121
	s_delay_alu instid0(VALU_DEP_1) | instskip(NEXT) | instid1(VALU_DEP_1)
	v_fma_f32 v124, -v120, v122, v123
	v_fmac_f32_e32 v122, v124, v121
	s_delay_alu instid0(VALU_DEP_1) | instskip(NEXT) | instid1(VALU_DEP_1)
	v_fma_f32 v120, -v120, v122, v123
	v_div_fmas_f32 v120, v120, v121, v122
	s_delay_alu instid0(VALU_DEP_1) | instskip(NEXT) | instid1(VALU_DEP_1)
	v_div_fixup_f32 v120, v120, v119, v118
	v_fmac_f32_e32 v119, v118, v120
	s_delay_alu instid0(VALU_DEP_1) | instskip(SKIP_1) | instid1(VALU_DEP_2)
	v_div_scale_f32 v118, null, v119, v119, 1.0
	v_div_scale_f32 v123, vcc_lo, 1.0, v119, 1.0
	v_rcp_f32_e32 v121, v118
	v_nop
	s_delay_alu instid0(TRANS32_DEP_1) | instskip(NEXT) | instid1(VALU_DEP_1)
	v_fma_f32 v122, -v118, v121, 1.0
	v_fmac_f32_e32 v121, v122, v121
	s_delay_alu instid0(VALU_DEP_1) | instskip(NEXT) | instid1(VALU_DEP_1)
	v_mul_f32_e32 v122, v123, v121
	v_fma_f32 v124, -v118, v122, v123
	s_delay_alu instid0(VALU_DEP_1) | instskip(NEXT) | instid1(VALU_DEP_1)
	v_fmac_f32_e32 v122, v124, v121
	v_fma_f32 v118, -v118, v122, v123
	s_delay_alu instid0(VALU_DEP_1) | instskip(NEXT) | instid1(VALU_DEP_1)
	v_div_fmas_f32 v118, v118, v121, v122
	v_div_fixup_f32 v118, v118, v119, 1.0
	s_delay_alu instid0(VALU_DEP_1)
	v_mul_f32_e32 v120, v120, v118
	v_xor_b32_e32 v121, 0x80000000, v118
                                        ; implicit-def: $vgpr118_vgpr119
.LBB51_59:
	s_and_not1_saveexec_b32 s1, s1
	s_cbranch_execz .LBB51_61
; %bb.60:
	v_div_scale_f32 v120, null, v118, v118, v119
	v_div_scale_f32 v123, vcc_lo, v119, v118, v119
	s_delay_alu instid0(VALU_DEP_2) | instskip(SKIP_1) | instid1(TRANS32_DEP_1)
	v_rcp_f32_e32 v121, v120
	v_nop
	v_fma_f32 v122, -v120, v121, 1.0
	s_delay_alu instid0(VALU_DEP_1) | instskip(NEXT) | instid1(VALU_DEP_1)
	v_fmac_f32_e32 v121, v122, v121
	v_mul_f32_e32 v122, v123, v121
	s_delay_alu instid0(VALU_DEP_1) | instskip(NEXT) | instid1(VALU_DEP_1)
	v_fma_f32 v124, -v120, v122, v123
	v_fmac_f32_e32 v122, v124, v121
	s_delay_alu instid0(VALU_DEP_1) | instskip(NEXT) | instid1(VALU_DEP_1)
	v_fma_f32 v120, -v120, v122, v123
	v_div_fmas_f32 v120, v120, v121, v122
	s_delay_alu instid0(VALU_DEP_1) | instskip(NEXT) | instid1(VALU_DEP_1)
	v_div_fixup_f32 v121, v120, v118, v119
	v_fmac_f32_e32 v118, v119, v121
	s_delay_alu instid0(VALU_DEP_1) | instskip(NEXT) | instid1(VALU_DEP_1)
	v_div_scale_f32 v119, null, v118, v118, 1.0
	v_rcp_f32_e32 v120, v119
	v_nop
	s_delay_alu instid0(TRANS32_DEP_1) | instskip(NEXT) | instid1(VALU_DEP_1)
	v_fma_f32 v122, -v119, v120, 1.0
	v_fmac_f32_e32 v120, v122, v120
	v_div_scale_f32 v122, vcc_lo, 1.0, v118, 1.0
	s_delay_alu instid0(VALU_DEP_1) | instskip(NEXT) | instid1(VALU_DEP_1)
	v_mul_f32_e32 v123, v122, v120
	v_fma_f32 v124, -v119, v123, v122
	s_delay_alu instid0(VALU_DEP_1) | instskip(NEXT) | instid1(VALU_DEP_1)
	v_fmac_f32_e32 v123, v124, v120
	v_fma_f32 v119, -v119, v123, v122
	s_delay_alu instid0(VALU_DEP_1) | instskip(NEXT) | instid1(VALU_DEP_1)
	v_div_fmas_f32 v119, v119, v120, v123
	v_div_fixup_f32 v120, v119, v118, 1.0
	s_delay_alu instid0(VALU_DEP_1)
	v_mul_f32_e64 v121, v121, -v120
.LBB51_61:
	s_or_b32 exec_lo, exec_lo, s1
	ds_store_b64 v159, v[120:121]
.LBB51_62:
	s_or_b32 exec_lo, exec_lo, s2
	s_wait_dscnt 0x0
	s_barrier_signal -1
	s_barrier_wait -1
	ds_load_b64 v[118:119], v159
	s_mov_b32 s1, exec_lo
	v_cmpx_lt_u32_e32 6, v158
	s_cbranch_execz .LBB51_64
; %bb.63:
	ds_load_2addr_b64 v[124:127], v160 offset0:7 offset1:8
	s_wait_dscnt 0x1
	v_pk_mul_f32 v[122:123], v[118:119], v[26:27] op_sel:[1,1] op_sel_hi:[0,1]
	s_delay_alu instid0(VALU_DEP_1) | instskip(SKIP_1) | instid1(VALU_DEP_1)
	v_pk_fma_f32 v[120:121], v[118:119], v[26:27], v[122:123] op_sel_hi:[1,0,1] neg_lo:[0,0,1] neg_hi:[0,0,1]
	v_pk_fma_f32 v[122:123], v[118:119], v[26:27], v[122:123] op_sel_hi:[1,0,1]
	v_dual_mov_b32 v26, v120 :: v_dual_mov_b32 v27, v123
	s_wait_dscnt 0x0
	s_delay_alu instid0(VALU_DEP_2) | instskip(NEXT) | instid1(VALU_DEP_1)
	v_pk_mul_f32 v[128:129], v[124:125], v[122:123] op_sel:[0,1]
	v_pk_fma_f32 v[130:131], v[124:125], v[120:121], v[128:129] op_sel:[0,0,1] op_sel_hi:[1,1,0] neg_lo:[0,0,1] neg_hi:[0,0,1]
	v_pk_fma_f32 v[124:125], v[124:125], v[120:121], v[128:129] op_sel:[0,0,1] op_sel_hi:[1,0,0]
	s_delay_alu instid0(VALU_DEP_1) | instskip(SKIP_1) | instid1(VALU_DEP_1)
	v_mov_b32_e32 v131, v125
	v_pk_mul_f32 v[124:125], v[126:127], v[122:123] op_sel:[0,1]
	v_pk_fma_f32 v[128:129], v[126:127], v[120:121], v[124:125] op_sel:[0,0,1] op_sel_hi:[1,1,0] neg_lo:[0,0,1] neg_hi:[0,0,1]
	v_pk_fma_f32 v[124:125], v[126:127], v[120:121], v[124:125] op_sel:[0,0,1] op_sel_hi:[1,0,0]
	s_delay_alu instid0(VALU_DEP_1)
	v_mov_b32_e32 v129, v125
	ds_load_2addr_b64 v[124:127], v160 offset0:9 offset1:10
	v_pk_add_f32 v[22:23], v[22:23], v[130:131] neg_lo:[0,1] neg_hi:[0,1]
	v_pk_add_f32 v[42:43], v[42:43], v[128:129] neg_lo:[0,1] neg_hi:[0,1]
	s_wait_dscnt 0x0
	v_pk_mul_f32 v[128:129], v[124:125], v[122:123] op_sel:[0,1]
	s_delay_alu instid0(VALU_DEP_1) | instskip(SKIP_2) | instid1(VALU_DEP_2)
	v_pk_fma_f32 v[130:131], v[124:125], v[120:121], v[128:129] op_sel:[0,0,1] op_sel_hi:[1,1,0] neg_lo:[0,0,1] neg_hi:[0,0,1]
	v_pk_fma_f32 v[124:125], v[124:125], v[120:121], v[128:129] op_sel:[0,0,1] op_sel_hi:[1,0,0]
	v_dual_mul_f32 v128, v127, v123 :: v_dual_mov_b32 v124, v127
	v_dual_mov_b32 v131, v125 :: v_dual_mov_b32 v125, v126
	s_delay_alu instid0(VALU_DEP_2) | instskip(SKIP_1) | instid1(VALU_DEP_3)
	v_pk_fma_f32 v[128:129], v[126:127], v[26:27], v[128:129] op_sel_hi:[1,1,0] neg_lo:[0,0,1] neg_hi:[0,0,1]
	v_mul_f32_e32 v126, v127, v120
	v_pk_add_f32 v[38:39], v[38:39], v[130:131] neg_lo:[0,1] neg_hi:[0,1]
	s_delay_alu instid0(VALU_DEP_2) | instskip(NEXT) | instid1(VALU_DEP_1)
	v_pk_fma_f32 v[124:125], v[124:125], v[26:27], v[126:127] op_sel_hi:[1,1,0]
	v_mov_b32_e32 v129, v125
	ds_load_2addr_b64 v[124:127], v160 offset0:11 offset1:12
	v_pk_add_f32 v[40:41], v[40:41], v[128:129] neg_lo:[0,1] neg_hi:[0,1]
	s_wait_dscnt 0x0
	v_pk_mul_f32 v[128:129], v[124:125], v[122:123] op_sel:[0,1]
	s_delay_alu instid0(VALU_DEP_1) | instskip(SKIP_1) | instid1(VALU_DEP_1)
	v_pk_fma_f32 v[130:131], v[124:125], v[120:121], v[128:129] op_sel:[0,0,1] op_sel_hi:[1,1,0] neg_lo:[0,0,1] neg_hi:[0,0,1]
	v_pk_fma_f32 v[124:125], v[124:125], v[120:121], v[128:129] op_sel:[0,0,1] op_sel_hi:[1,0,0]
	v_mov_b32_e32 v131, v125
	v_pk_mul_f32 v[124:125], v[126:127], v[122:123] op_sel:[0,1]
	s_delay_alu instid0(VALU_DEP_1) | instskip(SKIP_1) | instid1(VALU_DEP_1)
	v_pk_fma_f32 v[128:129], v[126:127], v[120:121], v[124:125] op_sel:[0,0,1] op_sel_hi:[1,1,0] neg_lo:[0,0,1] neg_hi:[0,0,1]
	v_pk_fma_f32 v[124:125], v[126:127], v[120:121], v[124:125] op_sel:[0,0,1] op_sel_hi:[1,0,0]
	v_mov_b32_e32 v129, v125
	ds_load_2addr_b64 v[124:127], v160 offset0:13 offset1:14
	v_pk_add_f32 v[36:37], v[36:37], v[130:131] neg_lo:[0,1] neg_hi:[0,1]
	v_pk_add_f32 v[66:67], v[66:67], v[128:129] neg_lo:[0,1] neg_hi:[0,1]
	s_wait_dscnt 0x0
	v_pk_mul_f32 v[128:129], v[124:125], v[122:123] op_sel:[0,1]
	s_delay_alu instid0(VALU_DEP_1) | instskip(SKIP_1) | instid1(VALU_DEP_1)
	v_pk_fma_f32 v[130:131], v[124:125], v[120:121], v[128:129] op_sel:[0,0,1] op_sel_hi:[1,1,0] neg_lo:[0,0,1] neg_hi:[0,0,1]
	v_pk_fma_f32 v[124:125], v[124:125], v[120:121], v[128:129] op_sel:[0,0,1] op_sel_hi:[1,0,0]
	v_mov_b32_e32 v131, v125
	v_pk_mul_f32 v[124:125], v[126:127], v[122:123] op_sel:[0,1]
	s_delay_alu instid0(VALU_DEP_1) | instskip(SKIP_1) | instid1(VALU_DEP_1)
	v_pk_fma_f32 v[128:129], v[126:127], v[120:121], v[124:125] op_sel:[0,0,1] op_sel_hi:[1,1,0] neg_lo:[0,0,1] neg_hi:[0,0,1]
	v_pk_fma_f32 v[124:125], v[126:127], v[120:121], v[124:125] op_sel:[0,0,1] op_sel_hi:[1,0,0]
	v_mov_b32_e32 v129, v125
	ds_load_2addr_b64 v[124:127], v160 offset0:15 offset1:16
	v_pk_add_f32 v[62:63], v[62:63], v[130:131] neg_lo:[0,1] neg_hi:[0,1]
	v_pk_add_f32 v[64:65], v[64:65], v[128:129] neg_lo:[0,1] neg_hi:[0,1]
	s_wait_dscnt 0x0
	v_dual_mul_f32 v128, v125, v123 :: v_dual_mul_f32 v130, v125, v120
	s_delay_alu instid0(VALU_DEP_1) | instskip(NEXT) | instid1(VALU_DEP_2)
	v_pk_fma_f32 v[128:129], v[124:125], v[26:27], v[128:129] op_sel_hi:[1,1,0] neg_lo:[0,0,1] neg_hi:[0,0,1]
	v_pk_fma_f32 v[124:125], v[124:125], v[26:27], v[130:131] op_sel:[1,0,0] op_sel_hi:[0,1,0]
	s_delay_alu instid0(VALU_DEP_1) | instskip(SKIP_1) | instid1(VALU_DEP_2)
	v_mov_b32_e32 v129, v125
	v_pk_mul_f32 v[124:125], v[126:127], v[122:123] op_sel:[0,1]
	v_pk_add_f32 v[60:61], v[60:61], v[128:129] neg_lo:[0,1] neg_hi:[0,1]
	s_delay_alu instid0(VALU_DEP_2) | instskip(SKIP_1) | instid1(VALU_DEP_1)
	v_pk_fma_f32 v[128:129], v[126:127], v[120:121], v[124:125] op_sel:[0,0,1] op_sel_hi:[1,1,0] neg_lo:[0,0,1] neg_hi:[0,0,1]
	v_pk_fma_f32 v[124:125], v[126:127], v[120:121], v[124:125] op_sel:[0,0,1] op_sel_hi:[1,0,0]
	v_mov_b32_e32 v129, v125
	ds_load_2addr_b64 v[124:127], v160 offset0:17 offset1:18
	v_pk_add_f32 v[84:85], v[84:85], v[128:129] neg_lo:[0,1] neg_hi:[0,1]
	s_wait_dscnt 0x0
	v_pk_mul_f32 v[128:129], v[124:125], v[122:123] op_sel:[0,1]
	s_delay_alu instid0(VALU_DEP_1) | instskip(SKIP_1) | instid1(VALU_DEP_1)
	v_pk_fma_f32 v[130:131], v[124:125], v[120:121], v[128:129] op_sel:[0,0,1] op_sel_hi:[1,1,0] neg_lo:[0,0,1] neg_hi:[0,0,1]
	v_pk_fma_f32 v[124:125], v[124:125], v[120:121], v[128:129] op_sel:[0,0,1] op_sel_hi:[1,0,0]
	v_mov_b32_e32 v131, v125
	v_pk_mul_f32 v[124:125], v[126:127], v[122:123] op_sel:[0,1]
	s_delay_alu instid0(VALU_DEP_2) | instskip(NEXT) | instid1(VALU_DEP_2)
	v_pk_add_f32 v[80:81], v[80:81], v[130:131] neg_lo:[0,1] neg_hi:[0,1]
	v_pk_fma_f32 v[128:129], v[126:127], v[120:121], v[124:125] op_sel:[0,0,1] op_sel_hi:[1,1,0] neg_lo:[0,0,1] neg_hi:[0,0,1]
	v_pk_fma_f32 v[124:125], v[126:127], v[120:121], v[124:125] op_sel:[0,0,1] op_sel_hi:[1,0,0]
	s_delay_alu instid0(VALU_DEP_1) | instskip(SKIP_4) | instid1(VALU_DEP_1)
	v_mov_b32_e32 v129, v125
	ds_load_2addr_b64 v[124:127], v160 offset0:19 offset1:20
	v_pk_add_f32 v[82:83], v[82:83], v[128:129] neg_lo:[0,1] neg_hi:[0,1]
	s_wait_dscnt 0x0
	v_pk_mul_f32 v[128:129], v[124:125], v[122:123] op_sel:[0,1]
	v_pk_fma_f32 v[130:131], v[124:125], v[120:121], v[128:129] op_sel:[0,0,1] op_sel_hi:[1,1,0] neg_lo:[0,0,1] neg_hi:[0,0,1]
	v_pk_fma_f32 v[124:125], v[124:125], v[120:121], v[128:129] op_sel:[0,0,1] op_sel_hi:[1,0,0]
	v_dual_mul_f32 v128, v127, v123 :: v_dual_mov_b32 v124, v127
	s_delay_alu instid0(VALU_DEP_2) | instskip(NEXT) | instid1(VALU_DEP_2)
	v_dual_mov_b32 v131, v125 :: v_dual_mov_b32 v125, v126
	v_pk_fma_f32 v[128:129], v[126:127], v[26:27], v[128:129] op_sel_hi:[1,1,0] neg_lo:[0,0,1] neg_hi:[0,0,1]
	v_mul_f32_e32 v126, v127, v120
	s_delay_alu instid0(VALU_DEP_3) | instskip(NEXT) | instid1(VALU_DEP_2)
	v_pk_add_f32 v[78:79], v[78:79], v[130:131] neg_lo:[0,1] neg_hi:[0,1]
	v_pk_fma_f32 v[124:125], v[124:125], v[26:27], v[126:127] op_sel_hi:[1,1,0]
	s_delay_alu instid0(VALU_DEP_1) | instskip(SKIP_4) | instid1(VALU_DEP_1)
	v_mov_b32_e32 v129, v125
	ds_load_2addr_b64 v[124:127], v160 offset0:21 offset1:22
	v_pk_add_f32 v[96:97], v[96:97], v[128:129] neg_lo:[0,1] neg_hi:[0,1]
	s_wait_dscnt 0x0
	v_pk_mul_f32 v[128:129], v[124:125], v[122:123] op_sel:[0,1]
	v_pk_fma_f32 v[130:131], v[124:125], v[120:121], v[128:129] op_sel:[0,0,1] op_sel_hi:[1,1,0] neg_lo:[0,0,1] neg_hi:[0,0,1]
	v_pk_fma_f32 v[124:125], v[124:125], v[120:121], v[128:129] op_sel:[0,0,1] op_sel_hi:[1,0,0]
	s_delay_alu instid0(VALU_DEP_1) | instskip(SKIP_1) | instid1(VALU_DEP_1)
	v_mov_b32_e32 v131, v125
	v_pk_mul_f32 v[124:125], v[126:127], v[122:123] op_sel:[0,1]
	v_pk_fma_f32 v[128:129], v[126:127], v[120:121], v[124:125] op_sel:[0,0,1] op_sel_hi:[1,1,0] neg_lo:[0,0,1] neg_hi:[0,0,1]
	v_pk_fma_f32 v[124:125], v[126:127], v[120:121], v[124:125] op_sel:[0,0,1] op_sel_hi:[1,0,0]
	s_delay_alu instid0(VALU_DEP_1)
	v_mov_b32_e32 v129, v125
	ds_load_2addr_b64 v[124:127], v160 offset0:23 offset1:24
	v_pk_add_f32 v[94:95], v[94:95], v[130:131] neg_lo:[0,1] neg_hi:[0,1]
	v_pk_add_f32 v[102:103], v[102:103], v[128:129] neg_lo:[0,1] neg_hi:[0,1]
	s_wait_dscnt 0x0
	v_pk_mul_f32 v[128:129], v[124:125], v[122:123] op_sel:[0,1]
	s_delay_alu instid0(VALU_DEP_1) | instskip(SKIP_1) | instid1(VALU_DEP_1)
	v_pk_fma_f32 v[130:131], v[124:125], v[120:121], v[128:129] op_sel:[0,0,1] op_sel_hi:[1,1,0] neg_lo:[0,0,1] neg_hi:[0,0,1]
	v_pk_fma_f32 v[124:125], v[124:125], v[120:121], v[128:129] op_sel:[0,0,1] op_sel_hi:[1,0,0]
	v_mov_b32_e32 v131, v125
	v_pk_mul_f32 v[124:125], v[126:127], v[122:123] op_sel:[0,1]
	s_delay_alu instid0(VALU_DEP_1) | instskip(SKIP_1) | instid1(VALU_DEP_1)
	v_pk_fma_f32 v[128:129], v[126:127], v[120:121], v[124:125] op_sel:[0,0,1] op_sel_hi:[1,1,0] neg_lo:[0,0,1] neg_hi:[0,0,1]
	v_pk_fma_f32 v[124:125], v[126:127], v[120:121], v[124:125] op_sel:[0,0,1] op_sel_hi:[1,0,0]
	v_mov_b32_e32 v129, v125
	ds_load_b64 v[124:125], v160 offset:200
	v_pk_add_f32 v[100:101], v[100:101], v[130:131] neg_lo:[0,1] neg_hi:[0,1]
	v_pk_add_f32 v[98:99], v[98:99], v[128:129] neg_lo:[0,1] neg_hi:[0,1]
	s_wait_dscnt 0x0
	v_pk_mul_f32 v[122:123], v[124:125], v[122:123] op_sel:[0,1]
	s_delay_alu instid0(VALU_DEP_1) | instskip(SKIP_1) | instid1(VALU_DEP_1)
	v_pk_fma_f32 v[126:127], v[124:125], v[120:121], v[122:123] op_sel:[0,0,1] op_sel_hi:[1,1,0] neg_lo:[0,0,1] neg_hi:[0,0,1]
	v_pk_fma_f32 v[120:121], v[124:125], v[120:121], v[122:123] op_sel:[0,0,1] op_sel_hi:[1,0,0]
	v_mov_b32_e32 v127, v121
	s_delay_alu instid0(VALU_DEP_1)
	v_pk_add_f32 v[104:105], v[104:105], v[126:127] neg_lo:[0,1] neg_hi:[0,1]
.LBB51_64:
	s_or_b32 exec_lo, exec_lo, s1
	s_delay_alu instid0(SALU_CYCLE_1)
	s_mov_b32 s2, exec_lo
	s_wait_dscnt 0x0
	s_barrier_signal -1
	s_barrier_wait -1
	v_cmpx_eq_u32_e32 7, v158
	s_cbranch_execz .LBB51_71
; %bb.65:
	v_dual_mov_b32 v120, v42 :: v_dual_mov_b32 v121, v43
	v_dual_mov_b32 v122, v38 :: v_dual_mov_b32 v123, v39
	;; [unrolled: 1-line block ×8, first 2 shown]
	ds_store_b64 v159, v[22:23]
	ds_store_2addr_b64 v160, v[120:121], v[122:123] offset0:8 offset1:9
	ds_store_2addr_b64 v160, v[124:125], v[126:127] offset0:10 offset1:11
	ds_store_2addr_b64 v160, v[128:129], v[130:131] offset0:12 offset1:13
	ds_store_2addr_b64 v160, v[132:133], v[134:135] offset0:14 offset1:15
	v_dual_mov_b32 v120, v84 :: v_dual_mov_b32 v121, v85
	v_dual_mov_b32 v122, v80 :: v_dual_mov_b32 v123, v81
	;; [unrolled: 1-line block ×9, first 2 shown]
	ds_store_2addr_b64 v160, v[120:121], v[122:123] offset0:16 offset1:17
	ds_store_2addr_b64 v160, v[124:125], v[126:127] offset0:18 offset1:19
	;; [unrolled: 1-line block ×5, first 2 shown]
	ds_load_b64 v[120:121], v159
	s_wait_dscnt 0x0
	v_cmp_neq_f32_e32 vcc_lo, 0, v120
	v_cmp_neq_f32_e64 s1, 0, v121
	s_or_b32 s1, vcc_lo, s1
	s_delay_alu instid0(SALU_CYCLE_1)
	s_and_b32 exec_lo, exec_lo, s1
	s_cbranch_execz .LBB51_71
; %bb.66:
	v_cmp_ngt_f32_e64 s1, |v120|, |v121|
                                        ; implicit-def: $vgpr122_vgpr123
	s_and_saveexec_b32 s4, s1
	s_delay_alu instid0(SALU_CYCLE_1)
	s_xor_b32 s1, exec_lo, s4
	s_cbranch_execz .LBB51_68
; %bb.67:
	v_div_scale_f32 v122, null, v121, v121, v120
	v_div_scale_f32 v125, vcc_lo, v120, v121, v120
	s_delay_alu instid0(VALU_DEP_2) | instskip(SKIP_1) | instid1(TRANS32_DEP_1)
	v_rcp_f32_e32 v123, v122
	v_nop
	v_fma_f32 v124, -v122, v123, 1.0
	s_delay_alu instid0(VALU_DEP_1) | instskip(NEXT) | instid1(VALU_DEP_1)
	v_fmac_f32_e32 v123, v124, v123
	v_mul_f32_e32 v124, v125, v123
	s_delay_alu instid0(VALU_DEP_1) | instskip(NEXT) | instid1(VALU_DEP_1)
	v_fma_f32 v126, -v122, v124, v125
	v_fmac_f32_e32 v124, v126, v123
	s_delay_alu instid0(VALU_DEP_1) | instskip(NEXT) | instid1(VALU_DEP_1)
	v_fma_f32 v122, -v122, v124, v125
	v_div_fmas_f32 v122, v122, v123, v124
	s_delay_alu instid0(VALU_DEP_1) | instskip(NEXT) | instid1(VALU_DEP_1)
	v_div_fixup_f32 v122, v122, v121, v120
	v_fmac_f32_e32 v121, v120, v122
	s_delay_alu instid0(VALU_DEP_1) | instskip(SKIP_1) | instid1(VALU_DEP_2)
	v_div_scale_f32 v120, null, v121, v121, 1.0
	v_div_scale_f32 v125, vcc_lo, 1.0, v121, 1.0
	v_rcp_f32_e32 v123, v120
	v_nop
	s_delay_alu instid0(TRANS32_DEP_1) | instskip(NEXT) | instid1(VALU_DEP_1)
	v_fma_f32 v124, -v120, v123, 1.0
	v_fmac_f32_e32 v123, v124, v123
	s_delay_alu instid0(VALU_DEP_1) | instskip(NEXT) | instid1(VALU_DEP_1)
	v_mul_f32_e32 v124, v125, v123
	v_fma_f32 v126, -v120, v124, v125
	s_delay_alu instid0(VALU_DEP_1) | instskip(NEXT) | instid1(VALU_DEP_1)
	v_fmac_f32_e32 v124, v126, v123
	v_fma_f32 v120, -v120, v124, v125
	s_delay_alu instid0(VALU_DEP_1) | instskip(NEXT) | instid1(VALU_DEP_1)
	v_div_fmas_f32 v120, v120, v123, v124
	v_div_fixup_f32 v120, v120, v121, 1.0
	s_delay_alu instid0(VALU_DEP_1)
	v_mul_f32_e32 v122, v122, v120
	v_xor_b32_e32 v123, 0x80000000, v120
                                        ; implicit-def: $vgpr120_vgpr121
.LBB51_68:
	s_and_not1_saveexec_b32 s1, s1
	s_cbranch_execz .LBB51_70
; %bb.69:
	v_div_scale_f32 v122, null, v120, v120, v121
	v_div_scale_f32 v125, vcc_lo, v121, v120, v121
	s_delay_alu instid0(VALU_DEP_2) | instskip(SKIP_1) | instid1(TRANS32_DEP_1)
	v_rcp_f32_e32 v123, v122
	v_nop
	v_fma_f32 v124, -v122, v123, 1.0
	s_delay_alu instid0(VALU_DEP_1) | instskip(NEXT) | instid1(VALU_DEP_1)
	v_fmac_f32_e32 v123, v124, v123
	v_mul_f32_e32 v124, v125, v123
	s_delay_alu instid0(VALU_DEP_1) | instskip(NEXT) | instid1(VALU_DEP_1)
	v_fma_f32 v126, -v122, v124, v125
	v_fmac_f32_e32 v124, v126, v123
	s_delay_alu instid0(VALU_DEP_1) | instskip(NEXT) | instid1(VALU_DEP_1)
	v_fma_f32 v122, -v122, v124, v125
	v_div_fmas_f32 v122, v122, v123, v124
	s_delay_alu instid0(VALU_DEP_1) | instskip(NEXT) | instid1(VALU_DEP_1)
	v_div_fixup_f32 v123, v122, v120, v121
	v_fmac_f32_e32 v120, v121, v123
	s_delay_alu instid0(VALU_DEP_1) | instskip(NEXT) | instid1(VALU_DEP_1)
	v_div_scale_f32 v121, null, v120, v120, 1.0
	v_rcp_f32_e32 v122, v121
	v_nop
	s_delay_alu instid0(TRANS32_DEP_1) | instskip(NEXT) | instid1(VALU_DEP_1)
	v_fma_f32 v124, -v121, v122, 1.0
	v_fmac_f32_e32 v122, v124, v122
	v_div_scale_f32 v124, vcc_lo, 1.0, v120, 1.0
	s_delay_alu instid0(VALU_DEP_1) | instskip(NEXT) | instid1(VALU_DEP_1)
	v_mul_f32_e32 v125, v124, v122
	v_fma_f32 v126, -v121, v125, v124
	s_delay_alu instid0(VALU_DEP_1) | instskip(NEXT) | instid1(VALU_DEP_1)
	v_fmac_f32_e32 v125, v126, v122
	v_fma_f32 v121, -v121, v125, v124
	s_delay_alu instid0(VALU_DEP_1) | instskip(NEXT) | instid1(VALU_DEP_1)
	v_div_fmas_f32 v121, v121, v122, v125
	v_div_fixup_f32 v122, v121, v120, 1.0
	s_delay_alu instid0(VALU_DEP_1)
	v_mul_f32_e64 v123, v123, -v122
.LBB51_70:
	s_or_b32 exec_lo, exec_lo, s1
	ds_store_b64 v159, v[122:123]
.LBB51_71:
	s_or_b32 exec_lo, exec_lo, s2
	s_wait_dscnt 0x0
	s_barrier_signal -1
	s_barrier_wait -1
	ds_load_b64 v[120:121], v159
	s_mov_b32 s1, exec_lo
	v_cmpx_lt_u32_e32 7, v158
	s_cbranch_execz .LBB51_73
; %bb.72:
	ds_load_2addr_b64 v[126:129], v160 offset0:8 offset1:9
	s_wait_dscnt 0x1
	v_pk_mul_f32 v[124:125], v[120:121], v[22:23] op_sel:[1,1] op_sel_hi:[0,1]
	s_delay_alu instid0(VALU_DEP_1) | instskip(SKIP_1) | instid1(VALU_DEP_1)
	v_pk_fma_f32 v[122:123], v[120:121], v[22:23], v[124:125] op_sel_hi:[1,0,1] neg_lo:[0,0,1] neg_hi:[0,0,1]
	v_pk_fma_f32 v[124:125], v[120:121], v[22:23], v[124:125] op_sel_hi:[1,0,1]
	v_dual_mov_b32 v22, v122 :: v_dual_mov_b32 v23, v125
	s_wait_dscnt 0x0
	s_delay_alu instid0(VALU_DEP_2) | instskip(NEXT) | instid1(VALU_DEP_1)
	v_pk_mul_f32 v[130:131], v[126:127], v[124:125] op_sel:[0,1]
	v_pk_fma_f32 v[132:133], v[126:127], v[122:123], v[130:131] op_sel:[0,0,1] op_sel_hi:[1,1,0] neg_lo:[0,0,1] neg_hi:[0,0,1]
	v_pk_fma_f32 v[126:127], v[126:127], v[122:123], v[130:131] op_sel:[0,0,1] op_sel_hi:[1,0,0]
	s_delay_alu instid0(VALU_DEP_1) | instskip(SKIP_1) | instid1(VALU_DEP_1)
	v_mov_b32_e32 v133, v127
	v_pk_mul_f32 v[126:127], v[128:129], v[124:125] op_sel:[0,1]
	v_pk_fma_f32 v[130:131], v[128:129], v[122:123], v[126:127] op_sel:[0,0,1] op_sel_hi:[1,1,0] neg_lo:[0,0,1] neg_hi:[0,0,1]
	v_pk_fma_f32 v[126:127], v[128:129], v[122:123], v[126:127] op_sel:[0,0,1] op_sel_hi:[1,0,0]
	s_delay_alu instid0(VALU_DEP_1)
	v_mov_b32_e32 v131, v127
	ds_load_2addr_b64 v[126:129], v160 offset0:10 offset1:11
	v_pk_add_f32 v[42:43], v[42:43], v[132:133] neg_lo:[0,1] neg_hi:[0,1]
	v_pk_add_f32 v[38:39], v[38:39], v[130:131] neg_lo:[0,1] neg_hi:[0,1]
	s_wait_dscnt 0x0
	v_pk_mul_f32 v[130:131], v[126:127], v[124:125] op_sel:[0,1]
	s_delay_alu instid0(VALU_DEP_1) | instskip(SKIP_2) | instid1(VALU_DEP_2)
	v_pk_fma_f32 v[132:133], v[126:127], v[122:123], v[130:131] op_sel:[0,0,1] op_sel_hi:[1,1,0] neg_lo:[0,0,1] neg_hi:[0,0,1]
	v_pk_fma_f32 v[126:127], v[126:127], v[122:123], v[130:131] op_sel:[0,0,1] op_sel_hi:[1,0,0]
	v_dual_mul_f32 v130, v129, v125 :: v_dual_mov_b32 v126, v129
	v_dual_mov_b32 v133, v127 :: v_dual_mov_b32 v127, v128
	s_delay_alu instid0(VALU_DEP_2) | instskip(SKIP_1) | instid1(VALU_DEP_3)
	v_pk_fma_f32 v[130:131], v[128:129], v[22:23], v[130:131] op_sel_hi:[1,1,0] neg_lo:[0,0,1] neg_hi:[0,0,1]
	v_mul_f32_e32 v128, v129, v122
	v_pk_add_f32 v[40:41], v[40:41], v[132:133] neg_lo:[0,1] neg_hi:[0,1]
	s_delay_alu instid0(VALU_DEP_2) | instskip(NEXT) | instid1(VALU_DEP_1)
	v_pk_fma_f32 v[126:127], v[126:127], v[22:23], v[128:129] op_sel_hi:[1,1,0]
	v_mov_b32_e32 v131, v127
	ds_load_2addr_b64 v[126:129], v160 offset0:12 offset1:13
	v_pk_add_f32 v[36:37], v[36:37], v[130:131] neg_lo:[0,1] neg_hi:[0,1]
	s_wait_dscnt 0x0
	v_pk_mul_f32 v[130:131], v[126:127], v[124:125] op_sel:[0,1]
	s_delay_alu instid0(VALU_DEP_1) | instskip(SKIP_1) | instid1(VALU_DEP_1)
	v_pk_fma_f32 v[132:133], v[126:127], v[122:123], v[130:131] op_sel:[0,0,1] op_sel_hi:[1,1,0] neg_lo:[0,0,1] neg_hi:[0,0,1]
	v_pk_fma_f32 v[126:127], v[126:127], v[122:123], v[130:131] op_sel:[0,0,1] op_sel_hi:[1,0,0]
	v_mov_b32_e32 v133, v127
	v_pk_mul_f32 v[126:127], v[128:129], v[124:125] op_sel:[0,1]
	s_delay_alu instid0(VALU_DEP_1) | instskip(SKIP_1) | instid1(VALU_DEP_1)
	v_pk_fma_f32 v[130:131], v[128:129], v[122:123], v[126:127] op_sel:[0,0,1] op_sel_hi:[1,1,0] neg_lo:[0,0,1] neg_hi:[0,0,1]
	v_pk_fma_f32 v[126:127], v[128:129], v[122:123], v[126:127] op_sel:[0,0,1] op_sel_hi:[1,0,0]
	v_mov_b32_e32 v131, v127
	ds_load_2addr_b64 v[126:129], v160 offset0:14 offset1:15
	v_pk_add_f32 v[66:67], v[66:67], v[132:133] neg_lo:[0,1] neg_hi:[0,1]
	v_pk_add_f32 v[62:63], v[62:63], v[130:131] neg_lo:[0,1] neg_hi:[0,1]
	s_wait_dscnt 0x0
	v_pk_mul_f32 v[130:131], v[126:127], v[124:125] op_sel:[0,1]
	s_delay_alu instid0(VALU_DEP_1) | instskip(SKIP_1) | instid1(VALU_DEP_1)
	v_pk_fma_f32 v[132:133], v[126:127], v[122:123], v[130:131] op_sel:[0,0,1] op_sel_hi:[1,1,0] neg_lo:[0,0,1] neg_hi:[0,0,1]
	v_pk_fma_f32 v[126:127], v[126:127], v[122:123], v[130:131] op_sel:[0,0,1] op_sel_hi:[1,0,0]
	v_mov_b32_e32 v133, v127
	v_pk_mul_f32 v[126:127], v[128:129], v[124:125] op_sel:[0,1]
	s_delay_alu instid0(VALU_DEP_1) | instskip(SKIP_1) | instid1(VALU_DEP_1)
	v_pk_fma_f32 v[130:131], v[128:129], v[122:123], v[126:127] op_sel:[0,0,1] op_sel_hi:[1,1,0] neg_lo:[0,0,1] neg_hi:[0,0,1]
	v_pk_fma_f32 v[126:127], v[128:129], v[122:123], v[126:127] op_sel:[0,0,1] op_sel_hi:[1,0,0]
	v_mov_b32_e32 v131, v127
	ds_load_2addr_b64 v[126:129], v160 offset0:16 offset1:17
	v_pk_add_f32 v[64:65], v[64:65], v[132:133] neg_lo:[0,1] neg_hi:[0,1]
	v_pk_add_f32 v[60:61], v[60:61], v[130:131] neg_lo:[0,1] neg_hi:[0,1]
	s_wait_dscnt 0x0
	v_dual_mul_f32 v130, v127, v125 :: v_dual_mul_f32 v132, v127, v122
	s_delay_alu instid0(VALU_DEP_1) | instskip(NEXT) | instid1(VALU_DEP_2)
	v_pk_fma_f32 v[130:131], v[126:127], v[22:23], v[130:131] op_sel_hi:[1,1,0] neg_lo:[0,0,1] neg_hi:[0,0,1]
	v_pk_fma_f32 v[126:127], v[126:127], v[22:23], v[132:133] op_sel:[1,0,0] op_sel_hi:[0,1,0]
	s_delay_alu instid0(VALU_DEP_1) | instskip(SKIP_1) | instid1(VALU_DEP_2)
	v_mov_b32_e32 v131, v127
	v_pk_mul_f32 v[126:127], v[128:129], v[124:125] op_sel:[0,1]
	v_pk_add_f32 v[84:85], v[84:85], v[130:131] neg_lo:[0,1] neg_hi:[0,1]
	s_delay_alu instid0(VALU_DEP_2) | instskip(SKIP_1) | instid1(VALU_DEP_1)
	v_pk_fma_f32 v[130:131], v[128:129], v[122:123], v[126:127] op_sel:[0,0,1] op_sel_hi:[1,1,0] neg_lo:[0,0,1] neg_hi:[0,0,1]
	v_pk_fma_f32 v[126:127], v[128:129], v[122:123], v[126:127] op_sel:[0,0,1] op_sel_hi:[1,0,0]
	v_mov_b32_e32 v131, v127
	ds_load_2addr_b64 v[126:129], v160 offset0:18 offset1:19
	v_pk_add_f32 v[80:81], v[80:81], v[130:131] neg_lo:[0,1] neg_hi:[0,1]
	s_wait_dscnt 0x0
	v_pk_mul_f32 v[130:131], v[126:127], v[124:125] op_sel:[0,1]
	s_delay_alu instid0(VALU_DEP_1) | instskip(SKIP_1) | instid1(VALU_DEP_1)
	v_pk_fma_f32 v[132:133], v[126:127], v[122:123], v[130:131] op_sel:[0,0,1] op_sel_hi:[1,1,0] neg_lo:[0,0,1] neg_hi:[0,0,1]
	v_pk_fma_f32 v[126:127], v[126:127], v[122:123], v[130:131] op_sel:[0,0,1] op_sel_hi:[1,0,0]
	v_mov_b32_e32 v133, v127
	v_pk_mul_f32 v[126:127], v[128:129], v[124:125] op_sel:[0,1]
	s_delay_alu instid0(VALU_DEP_2) | instskip(NEXT) | instid1(VALU_DEP_2)
	v_pk_add_f32 v[82:83], v[82:83], v[132:133] neg_lo:[0,1] neg_hi:[0,1]
	v_pk_fma_f32 v[130:131], v[128:129], v[122:123], v[126:127] op_sel:[0,0,1] op_sel_hi:[1,1,0] neg_lo:[0,0,1] neg_hi:[0,0,1]
	v_pk_fma_f32 v[126:127], v[128:129], v[122:123], v[126:127] op_sel:[0,0,1] op_sel_hi:[1,0,0]
	s_delay_alu instid0(VALU_DEP_1) | instskip(SKIP_4) | instid1(VALU_DEP_1)
	v_mov_b32_e32 v131, v127
	ds_load_2addr_b64 v[126:129], v160 offset0:20 offset1:21
	v_pk_add_f32 v[78:79], v[78:79], v[130:131] neg_lo:[0,1] neg_hi:[0,1]
	s_wait_dscnt 0x0
	v_pk_mul_f32 v[130:131], v[126:127], v[124:125] op_sel:[0,1]
	v_pk_fma_f32 v[132:133], v[126:127], v[122:123], v[130:131] op_sel:[0,0,1] op_sel_hi:[1,1,0] neg_lo:[0,0,1] neg_hi:[0,0,1]
	v_pk_fma_f32 v[126:127], v[126:127], v[122:123], v[130:131] op_sel:[0,0,1] op_sel_hi:[1,0,0]
	v_dual_mul_f32 v130, v129, v125 :: v_dual_mov_b32 v126, v129
	s_delay_alu instid0(VALU_DEP_2) | instskip(NEXT) | instid1(VALU_DEP_2)
	v_dual_mov_b32 v133, v127 :: v_dual_mov_b32 v127, v128
	v_pk_fma_f32 v[130:131], v[128:129], v[22:23], v[130:131] op_sel_hi:[1,1,0] neg_lo:[0,0,1] neg_hi:[0,0,1]
	v_mul_f32_e32 v128, v129, v122
	s_delay_alu instid0(VALU_DEP_3) | instskip(NEXT) | instid1(VALU_DEP_2)
	v_pk_add_f32 v[96:97], v[96:97], v[132:133] neg_lo:[0,1] neg_hi:[0,1]
	v_pk_fma_f32 v[126:127], v[126:127], v[22:23], v[128:129] op_sel_hi:[1,1,0]
	s_delay_alu instid0(VALU_DEP_1) | instskip(SKIP_4) | instid1(VALU_DEP_1)
	v_mov_b32_e32 v131, v127
	ds_load_2addr_b64 v[126:129], v160 offset0:22 offset1:23
	v_pk_add_f32 v[94:95], v[94:95], v[130:131] neg_lo:[0,1] neg_hi:[0,1]
	s_wait_dscnt 0x0
	v_pk_mul_f32 v[130:131], v[126:127], v[124:125] op_sel:[0,1]
	v_pk_fma_f32 v[132:133], v[126:127], v[122:123], v[130:131] op_sel:[0,0,1] op_sel_hi:[1,1,0] neg_lo:[0,0,1] neg_hi:[0,0,1]
	v_pk_fma_f32 v[126:127], v[126:127], v[122:123], v[130:131] op_sel:[0,0,1] op_sel_hi:[1,0,0]
	s_delay_alu instid0(VALU_DEP_1) | instskip(SKIP_1) | instid1(VALU_DEP_1)
	v_mov_b32_e32 v133, v127
	v_pk_mul_f32 v[126:127], v[128:129], v[124:125] op_sel:[0,1]
	v_pk_fma_f32 v[130:131], v[128:129], v[122:123], v[126:127] op_sel:[0,0,1] op_sel_hi:[1,1,0] neg_lo:[0,0,1] neg_hi:[0,0,1]
	v_pk_fma_f32 v[126:127], v[128:129], v[122:123], v[126:127] op_sel:[0,0,1] op_sel_hi:[1,0,0]
	s_delay_alu instid0(VALU_DEP_1)
	v_mov_b32_e32 v131, v127
	ds_load_2addr_b64 v[126:129], v160 offset0:24 offset1:25
	v_pk_add_f32 v[102:103], v[102:103], v[132:133] neg_lo:[0,1] neg_hi:[0,1]
	v_pk_add_f32 v[100:101], v[100:101], v[130:131] neg_lo:[0,1] neg_hi:[0,1]
	s_wait_dscnt 0x0
	v_pk_mul_f32 v[130:131], v[126:127], v[124:125] op_sel:[0,1]
	v_mul_f32_e32 v124, v129, v125
	s_delay_alu instid0(VALU_DEP_2) | instskip(SKIP_2) | instid1(VALU_DEP_4)
	v_pk_fma_f32 v[132:133], v[126:127], v[122:123], v[130:131] op_sel:[0,0,1] op_sel_hi:[1,1,0] neg_lo:[0,0,1] neg_hi:[0,0,1]
	v_pk_fma_f32 v[126:127], v[126:127], v[122:123], v[130:131] op_sel:[0,0,1] op_sel_hi:[1,0,0]
	v_dual_mov_b32 v126, v129 :: v_dual_mul_f32 v122, v129, v122
	v_pk_fma_f32 v[124:125], v[128:129], v[22:23], v[124:125] op_sel_hi:[1,1,0] neg_lo:[0,0,1] neg_hi:[0,0,1]
	s_delay_alu instid0(VALU_DEP_3) | instskip(NEXT) | instid1(VALU_DEP_1)
	v_dual_mov_b32 v133, v127 :: v_dual_mov_b32 v127, v128
	v_pk_add_f32 v[98:99], v[98:99], v[132:133] neg_lo:[0,1] neg_hi:[0,1]
	s_delay_alu instid0(VALU_DEP_2) | instskip(NEXT) | instid1(VALU_DEP_1)
	v_pk_fma_f32 v[122:123], v[126:127], v[22:23], v[122:123] op_sel_hi:[1,1,0]
	v_mov_b32_e32 v125, v123
	s_delay_alu instid0(VALU_DEP_1)
	v_pk_add_f32 v[104:105], v[104:105], v[124:125] neg_lo:[0,1] neg_hi:[0,1]
.LBB51_73:
	s_or_b32 exec_lo, exec_lo, s1
	s_delay_alu instid0(SALU_CYCLE_1)
	s_mov_b32 s2, exec_lo
	s_wait_dscnt 0x0
	s_barrier_signal -1
	s_barrier_wait -1
	v_cmpx_eq_u32_e32 8, v158
	s_cbranch_execz .LBB51_80
; %bb.74:
	ds_store_b64 v159, v[42:43]
	ds_store_2addr_b64 v160, v[38:39], v[40:41] offset0:9 offset1:10
	ds_store_2addr_b64 v160, v[36:37], v[66:67] offset0:11 offset1:12
	;; [unrolled: 1-line block ×8, first 2 shown]
	ds_store_b64 v160, v[104:105] offset:200
	ds_load_b64 v[122:123], v159
	s_wait_dscnt 0x0
	v_cmp_neq_f32_e32 vcc_lo, 0, v122
	v_cmp_neq_f32_e64 s1, 0, v123
	s_or_b32 s1, vcc_lo, s1
	s_delay_alu instid0(SALU_CYCLE_1)
	s_and_b32 exec_lo, exec_lo, s1
	s_cbranch_execz .LBB51_80
; %bb.75:
	v_cmp_ngt_f32_e64 s1, |v122|, |v123|
                                        ; implicit-def: $vgpr124_vgpr125
	s_and_saveexec_b32 s4, s1
	s_delay_alu instid0(SALU_CYCLE_1)
	s_xor_b32 s1, exec_lo, s4
	s_cbranch_execz .LBB51_77
; %bb.76:
	v_div_scale_f32 v124, null, v123, v123, v122
	v_div_scale_f32 v127, vcc_lo, v122, v123, v122
	s_delay_alu instid0(VALU_DEP_2) | instskip(SKIP_1) | instid1(TRANS32_DEP_1)
	v_rcp_f32_e32 v125, v124
	v_nop
	v_fma_f32 v126, -v124, v125, 1.0
	s_delay_alu instid0(VALU_DEP_1) | instskip(NEXT) | instid1(VALU_DEP_1)
	v_fmac_f32_e32 v125, v126, v125
	v_mul_f32_e32 v126, v127, v125
	s_delay_alu instid0(VALU_DEP_1) | instskip(NEXT) | instid1(VALU_DEP_1)
	v_fma_f32 v128, -v124, v126, v127
	v_fmac_f32_e32 v126, v128, v125
	s_delay_alu instid0(VALU_DEP_1) | instskip(NEXT) | instid1(VALU_DEP_1)
	v_fma_f32 v124, -v124, v126, v127
	v_div_fmas_f32 v124, v124, v125, v126
	s_delay_alu instid0(VALU_DEP_1) | instskip(NEXT) | instid1(VALU_DEP_1)
	v_div_fixup_f32 v124, v124, v123, v122
	v_fmac_f32_e32 v123, v122, v124
	s_delay_alu instid0(VALU_DEP_1) | instskip(SKIP_1) | instid1(VALU_DEP_2)
	v_div_scale_f32 v122, null, v123, v123, 1.0
	v_div_scale_f32 v127, vcc_lo, 1.0, v123, 1.0
	v_rcp_f32_e32 v125, v122
	v_nop
	s_delay_alu instid0(TRANS32_DEP_1) | instskip(NEXT) | instid1(VALU_DEP_1)
	v_fma_f32 v126, -v122, v125, 1.0
	v_fmac_f32_e32 v125, v126, v125
	s_delay_alu instid0(VALU_DEP_1) | instskip(NEXT) | instid1(VALU_DEP_1)
	v_mul_f32_e32 v126, v127, v125
	v_fma_f32 v128, -v122, v126, v127
	s_delay_alu instid0(VALU_DEP_1) | instskip(NEXT) | instid1(VALU_DEP_1)
	v_fmac_f32_e32 v126, v128, v125
	v_fma_f32 v122, -v122, v126, v127
	s_delay_alu instid0(VALU_DEP_1) | instskip(NEXT) | instid1(VALU_DEP_1)
	v_div_fmas_f32 v122, v122, v125, v126
	v_div_fixup_f32 v122, v122, v123, 1.0
	s_delay_alu instid0(VALU_DEP_1)
	v_mul_f32_e32 v124, v124, v122
	v_xor_b32_e32 v125, 0x80000000, v122
                                        ; implicit-def: $vgpr122_vgpr123
.LBB51_77:
	s_and_not1_saveexec_b32 s1, s1
	s_cbranch_execz .LBB51_79
; %bb.78:
	v_div_scale_f32 v124, null, v122, v122, v123
	v_div_scale_f32 v127, vcc_lo, v123, v122, v123
	s_delay_alu instid0(VALU_DEP_2) | instskip(SKIP_1) | instid1(TRANS32_DEP_1)
	v_rcp_f32_e32 v125, v124
	v_nop
	v_fma_f32 v126, -v124, v125, 1.0
	s_delay_alu instid0(VALU_DEP_1) | instskip(NEXT) | instid1(VALU_DEP_1)
	v_fmac_f32_e32 v125, v126, v125
	v_mul_f32_e32 v126, v127, v125
	s_delay_alu instid0(VALU_DEP_1) | instskip(NEXT) | instid1(VALU_DEP_1)
	v_fma_f32 v128, -v124, v126, v127
	v_fmac_f32_e32 v126, v128, v125
	s_delay_alu instid0(VALU_DEP_1) | instskip(NEXT) | instid1(VALU_DEP_1)
	v_fma_f32 v124, -v124, v126, v127
	v_div_fmas_f32 v124, v124, v125, v126
	s_delay_alu instid0(VALU_DEP_1) | instskip(NEXT) | instid1(VALU_DEP_1)
	v_div_fixup_f32 v125, v124, v122, v123
	v_fmac_f32_e32 v122, v123, v125
	s_delay_alu instid0(VALU_DEP_1) | instskip(NEXT) | instid1(VALU_DEP_1)
	v_div_scale_f32 v123, null, v122, v122, 1.0
	v_rcp_f32_e32 v124, v123
	v_nop
	s_delay_alu instid0(TRANS32_DEP_1) | instskip(NEXT) | instid1(VALU_DEP_1)
	v_fma_f32 v126, -v123, v124, 1.0
	v_fmac_f32_e32 v124, v126, v124
	v_div_scale_f32 v126, vcc_lo, 1.0, v122, 1.0
	s_delay_alu instid0(VALU_DEP_1) | instskip(NEXT) | instid1(VALU_DEP_1)
	v_mul_f32_e32 v127, v126, v124
	v_fma_f32 v128, -v123, v127, v126
	s_delay_alu instid0(VALU_DEP_1) | instskip(NEXT) | instid1(VALU_DEP_1)
	v_fmac_f32_e32 v127, v128, v124
	v_fma_f32 v123, -v123, v127, v126
	s_delay_alu instid0(VALU_DEP_1) | instskip(NEXT) | instid1(VALU_DEP_1)
	v_div_fmas_f32 v123, v123, v124, v127
	v_div_fixup_f32 v124, v123, v122, 1.0
	s_delay_alu instid0(VALU_DEP_1)
	v_mul_f32_e64 v125, v125, -v124
.LBB51_79:
	s_or_b32 exec_lo, exec_lo, s1
	ds_store_b64 v159, v[124:125]
.LBB51_80:
	s_or_b32 exec_lo, exec_lo, s2
	s_wait_dscnt 0x0
	s_barrier_signal -1
	s_barrier_wait -1
	ds_load_b64 v[122:123], v159
	s_mov_b32 s1, exec_lo
	v_cmpx_lt_u32_e32 8, v158
	s_cbranch_execz .LBB51_82
; %bb.81:
	ds_load_2addr_b64 v[128:131], v160 offset0:9 offset1:10
	s_wait_dscnt 0x1
	v_pk_mul_f32 v[126:127], v[122:123], v[42:43] op_sel:[1,1] op_sel_hi:[0,1]
	s_delay_alu instid0(VALU_DEP_1) | instskip(SKIP_1) | instid1(VALU_DEP_1)
	v_pk_fma_f32 v[124:125], v[122:123], v[42:43], v[126:127] op_sel_hi:[1,0,1] neg_lo:[0,0,1] neg_hi:[0,0,1]
	v_pk_fma_f32 v[126:127], v[122:123], v[42:43], v[126:127] op_sel_hi:[1,0,1]
	v_dual_mov_b32 v42, v124 :: v_dual_mov_b32 v43, v127
	s_wait_dscnt 0x0
	s_delay_alu instid0(VALU_DEP_2) | instskip(NEXT) | instid1(VALU_DEP_1)
	v_pk_mul_f32 v[132:133], v[128:129], v[126:127] op_sel:[0,1]
	v_pk_fma_f32 v[134:135], v[128:129], v[124:125], v[132:133] op_sel:[0,0,1] op_sel_hi:[1,1,0] neg_lo:[0,0,1] neg_hi:[0,0,1]
	v_pk_fma_f32 v[128:129], v[128:129], v[124:125], v[132:133] op_sel:[0,0,1] op_sel_hi:[1,0,0]
	s_delay_alu instid0(VALU_DEP_1) | instskip(SKIP_1) | instid1(VALU_DEP_1)
	v_mov_b32_e32 v135, v129
	v_pk_mul_f32 v[128:129], v[130:131], v[126:127] op_sel:[0,1]
	v_pk_fma_f32 v[132:133], v[130:131], v[124:125], v[128:129] op_sel:[0,0,1] op_sel_hi:[1,1,0] neg_lo:[0,0,1] neg_hi:[0,0,1]
	v_pk_fma_f32 v[128:129], v[130:131], v[124:125], v[128:129] op_sel:[0,0,1] op_sel_hi:[1,0,0]
	s_delay_alu instid0(VALU_DEP_1)
	v_mov_b32_e32 v133, v129
	ds_load_2addr_b64 v[128:131], v160 offset0:11 offset1:12
	v_pk_add_f32 v[38:39], v[38:39], v[134:135] neg_lo:[0,1] neg_hi:[0,1]
	v_pk_add_f32 v[40:41], v[40:41], v[132:133] neg_lo:[0,1] neg_hi:[0,1]
	s_wait_dscnt 0x0
	v_pk_mul_f32 v[132:133], v[128:129], v[126:127] op_sel:[0,1]
	s_delay_alu instid0(VALU_DEP_1) | instskip(SKIP_2) | instid1(VALU_DEP_2)
	v_pk_fma_f32 v[134:135], v[128:129], v[124:125], v[132:133] op_sel:[0,0,1] op_sel_hi:[1,1,0] neg_lo:[0,0,1] neg_hi:[0,0,1]
	v_pk_fma_f32 v[128:129], v[128:129], v[124:125], v[132:133] op_sel:[0,0,1] op_sel_hi:[1,0,0]
	v_dual_mul_f32 v132, v131, v127 :: v_dual_mov_b32 v128, v131
	v_dual_mov_b32 v135, v129 :: v_dual_mov_b32 v129, v130
	s_delay_alu instid0(VALU_DEP_2) | instskip(SKIP_1) | instid1(VALU_DEP_3)
	v_pk_fma_f32 v[132:133], v[130:131], v[42:43], v[132:133] op_sel_hi:[1,1,0] neg_lo:[0,0,1] neg_hi:[0,0,1]
	v_mul_f32_e32 v130, v131, v124
	v_pk_add_f32 v[36:37], v[36:37], v[134:135] neg_lo:[0,1] neg_hi:[0,1]
	s_delay_alu instid0(VALU_DEP_2) | instskip(NEXT) | instid1(VALU_DEP_1)
	v_pk_fma_f32 v[128:129], v[128:129], v[42:43], v[130:131] op_sel_hi:[1,1,0]
	v_mov_b32_e32 v133, v129
	ds_load_2addr_b64 v[128:131], v160 offset0:13 offset1:14
	v_pk_add_f32 v[66:67], v[66:67], v[132:133] neg_lo:[0,1] neg_hi:[0,1]
	s_wait_dscnt 0x0
	v_pk_mul_f32 v[132:133], v[128:129], v[126:127] op_sel:[0,1]
	s_delay_alu instid0(VALU_DEP_1) | instskip(SKIP_1) | instid1(VALU_DEP_1)
	v_pk_fma_f32 v[134:135], v[128:129], v[124:125], v[132:133] op_sel:[0,0,1] op_sel_hi:[1,1,0] neg_lo:[0,0,1] neg_hi:[0,0,1]
	v_pk_fma_f32 v[128:129], v[128:129], v[124:125], v[132:133] op_sel:[0,0,1] op_sel_hi:[1,0,0]
	v_mov_b32_e32 v135, v129
	v_pk_mul_f32 v[128:129], v[130:131], v[126:127] op_sel:[0,1]
	s_delay_alu instid0(VALU_DEP_1) | instskip(SKIP_1) | instid1(VALU_DEP_1)
	v_pk_fma_f32 v[132:133], v[130:131], v[124:125], v[128:129] op_sel:[0,0,1] op_sel_hi:[1,1,0] neg_lo:[0,0,1] neg_hi:[0,0,1]
	v_pk_fma_f32 v[128:129], v[130:131], v[124:125], v[128:129] op_sel:[0,0,1] op_sel_hi:[1,0,0]
	v_mov_b32_e32 v133, v129
	ds_load_2addr_b64 v[128:131], v160 offset0:15 offset1:16
	v_pk_add_f32 v[62:63], v[62:63], v[134:135] neg_lo:[0,1] neg_hi:[0,1]
	v_pk_add_f32 v[64:65], v[64:65], v[132:133] neg_lo:[0,1] neg_hi:[0,1]
	s_wait_dscnt 0x0
	v_pk_mul_f32 v[132:133], v[128:129], v[126:127] op_sel:[0,1]
	s_delay_alu instid0(VALU_DEP_1) | instskip(SKIP_1) | instid1(VALU_DEP_1)
	v_pk_fma_f32 v[134:135], v[128:129], v[124:125], v[132:133] op_sel:[0,0,1] op_sel_hi:[1,1,0] neg_lo:[0,0,1] neg_hi:[0,0,1]
	v_pk_fma_f32 v[128:129], v[128:129], v[124:125], v[132:133] op_sel:[0,0,1] op_sel_hi:[1,0,0]
	v_mov_b32_e32 v135, v129
	v_pk_mul_f32 v[128:129], v[130:131], v[126:127] op_sel:[0,1]
	s_delay_alu instid0(VALU_DEP_1) | instskip(SKIP_1) | instid1(VALU_DEP_1)
	v_pk_fma_f32 v[132:133], v[130:131], v[124:125], v[128:129] op_sel:[0,0,1] op_sel_hi:[1,1,0] neg_lo:[0,0,1] neg_hi:[0,0,1]
	v_pk_fma_f32 v[128:129], v[130:131], v[124:125], v[128:129] op_sel:[0,0,1] op_sel_hi:[1,0,0]
	v_mov_b32_e32 v133, v129
	ds_load_2addr_b64 v[128:131], v160 offset0:17 offset1:18
	v_pk_add_f32 v[60:61], v[60:61], v[134:135] neg_lo:[0,1] neg_hi:[0,1]
	v_pk_add_f32 v[84:85], v[84:85], v[132:133] neg_lo:[0,1] neg_hi:[0,1]
	s_wait_dscnt 0x0
	v_dual_mul_f32 v132, v129, v127 :: v_dual_mul_f32 v134, v129, v124
	s_delay_alu instid0(VALU_DEP_1) | instskip(NEXT) | instid1(VALU_DEP_2)
	v_pk_fma_f32 v[132:133], v[128:129], v[42:43], v[132:133] op_sel_hi:[1,1,0] neg_lo:[0,0,1] neg_hi:[0,0,1]
	v_pk_fma_f32 v[128:129], v[128:129], v[42:43], v[134:135] op_sel:[1,0,0] op_sel_hi:[0,1,0]
	s_delay_alu instid0(VALU_DEP_1) | instskip(SKIP_1) | instid1(VALU_DEP_2)
	v_mov_b32_e32 v133, v129
	v_pk_mul_f32 v[128:129], v[130:131], v[126:127] op_sel:[0,1]
	v_pk_add_f32 v[80:81], v[80:81], v[132:133] neg_lo:[0,1] neg_hi:[0,1]
	s_delay_alu instid0(VALU_DEP_2) | instskip(SKIP_1) | instid1(VALU_DEP_1)
	v_pk_fma_f32 v[132:133], v[130:131], v[124:125], v[128:129] op_sel:[0,0,1] op_sel_hi:[1,1,0] neg_lo:[0,0,1] neg_hi:[0,0,1]
	v_pk_fma_f32 v[128:129], v[130:131], v[124:125], v[128:129] op_sel:[0,0,1] op_sel_hi:[1,0,0]
	v_mov_b32_e32 v133, v129
	ds_load_2addr_b64 v[128:131], v160 offset0:19 offset1:20
	v_pk_add_f32 v[82:83], v[82:83], v[132:133] neg_lo:[0,1] neg_hi:[0,1]
	s_wait_dscnt 0x0
	v_pk_mul_f32 v[132:133], v[128:129], v[126:127] op_sel:[0,1]
	s_delay_alu instid0(VALU_DEP_1) | instskip(SKIP_1) | instid1(VALU_DEP_1)
	v_pk_fma_f32 v[134:135], v[128:129], v[124:125], v[132:133] op_sel:[0,0,1] op_sel_hi:[1,1,0] neg_lo:[0,0,1] neg_hi:[0,0,1]
	v_pk_fma_f32 v[128:129], v[128:129], v[124:125], v[132:133] op_sel:[0,0,1] op_sel_hi:[1,0,0]
	v_mov_b32_e32 v135, v129
	v_pk_mul_f32 v[128:129], v[130:131], v[126:127] op_sel:[0,1]
	s_delay_alu instid0(VALU_DEP_2) | instskip(NEXT) | instid1(VALU_DEP_2)
	v_pk_add_f32 v[78:79], v[78:79], v[134:135] neg_lo:[0,1] neg_hi:[0,1]
	v_pk_fma_f32 v[132:133], v[130:131], v[124:125], v[128:129] op_sel:[0,0,1] op_sel_hi:[1,1,0] neg_lo:[0,0,1] neg_hi:[0,0,1]
	v_pk_fma_f32 v[128:129], v[130:131], v[124:125], v[128:129] op_sel:[0,0,1] op_sel_hi:[1,0,0]
	s_delay_alu instid0(VALU_DEP_1) | instskip(SKIP_4) | instid1(VALU_DEP_1)
	v_mov_b32_e32 v133, v129
	ds_load_2addr_b64 v[128:131], v160 offset0:21 offset1:22
	v_pk_add_f32 v[96:97], v[96:97], v[132:133] neg_lo:[0,1] neg_hi:[0,1]
	s_wait_dscnt 0x0
	v_pk_mul_f32 v[132:133], v[128:129], v[126:127] op_sel:[0,1]
	v_pk_fma_f32 v[134:135], v[128:129], v[124:125], v[132:133] op_sel:[0,0,1] op_sel_hi:[1,1,0] neg_lo:[0,0,1] neg_hi:[0,0,1]
	v_pk_fma_f32 v[128:129], v[128:129], v[124:125], v[132:133] op_sel:[0,0,1] op_sel_hi:[1,0,0]
	v_dual_mul_f32 v132, v131, v127 :: v_dual_mov_b32 v128, v131
	s_delay_alu instid0(VALU_DEP_2) | instskip(NEXT) | instid1(VALU_DEP_2)
	v_dual_mov_b32 v135, v129 :: v_dual_mov_b32 v129, v130
	v_pk_fma_f32 v[132:133], v[130:131], v[42:43], v[132:133] op_sel_hi:[1,1,0] neg_lo:[0,0,1] neg_hi:[0,0,1]
	v_mul_f32_e32 v130, v131, v124
	s_delay_alu instid0(VALU_DEP_3) | instskip(NEXT) | instid1(VALU_DEP_2)
	v_pk_add_f32 v[94:95], v[94:95], v[134:135] neg_lo:[0,1] neg_hi:[0,1]
	v_pk_fma_f32 v[128:129], v[128:129], v[42:43], v[130:131] op_sel_hi:[1,1,0]
	s_delay_alu instid0(VALU_DEP_1) | instskip(SKIP_4) | instid1(VALU_DEP_1)
	v_mov_b32_e32 v133, v129
	ds_load_2addr_b64 v[128:131], v160 offset0:23 offset1:24
	v_pk_add_f32 v[102:103], v[102:103], v[132:133] neg_lo:[0,1] neg_hi:[0,1]
	s_wait_dscnt 0x0
	v_pk_mul_f32 v[132:133], v[128:129], v[126:127] op_sel:[0,1]
	v_pk_fma_f32 v[134:135], v[128:129], v[124:125], v[132:133] op_sel:[0,0,1] op_sel_hi:[1,1,0] neg_lo:[0,0,1] neg_hi:[0,0,1]
	v_pk_fma_f32 v[128:129], v[128:129], v[124:125], v[132:133] op_sel:[0,0,1] op_sel_hi:[1,0,0]
	s_delay_alu instid0(VALU_DEP_1) | instskip(SKIP_1) | instid1(VALU_DEP_1)
	v_mov_b32_e32 v135, v129
	v_pk_mul_f32 v[128:129], v[130:131], v[126:127] op_sel:[0,1]
	v_pk_fma_f32 v[132:133], v[130:131], v[124:125], v[128:129] op_sel:[0,0,1] op_sel_hi:[1,1,0] neg_lo:[0,0,1] neg_hi:[0,0,1]
	v_pk_fma_f32 v[128:129], v[130:131], v[124:125], v[128:129] op_sel:[0,0,1] op_sel_hi:[1,0,0]
	s_delay_alu instid0(VALU_DEP_1)
	v_mov_b32_e32 v133, v129
	ds_load_b64 v[128:129], v160 offset:200
	v_pk_add_f32 v[100:101], v[100:101], v[134:135] neg_lo:[0,1] neg_hi:[0,1]
	v_pk_add_f32 v[98:99], v[98:99], v[132:133] neg_lo:[0,1] neg_hi:[0,1]
	s_wait_dscnt 0x0
	v_pk_mul_f32 v[126:127], v[128:129], v[126:127] op_sel:[0,1]
	s_delay_alu instid0(VALU_DEP_1) | instskip(SKIP_1) | instid1(VALU_DEP_1)
	v_pk_fma_f32 v[130:131], v[128:129], v[124:125], v[126:127] op_sel:[0,0,1] op_sel_hi:[1,1,0] neg_lo:[0,0,1] neg_hi:[0,0,1]
	v_pk_fma_f32 v[124:125], v[128:129], v[124:125], v[126:127] op_sel:[0,0,1] op_sel_hi:[1,0,0]
	v_mov_b32_e32 v131, v125
	s_delay_alu instid0(VALU_DEP_1)
	v_pk_add_f32 v[104:105], v[104:105], v[130:131] neg_lo:[0,1] neg_hi:[0,1]
.LBB51_82:
	s_or_b32 exec_lo, exec_lo, s1
	s_delay_alu instid0(SALU_CYCLE_1)
	s_mov_b32 s2, exec_lo
	s_wait_dscnt 0x0
	s_barrier_signal -1
	s_barrier_wait -1
	v_cmpx_eq_u32_e32 9, v158
	s_cbranch_execz .LBB51_89
; %bb.83:
	v_dual_mov_b32 v124, v40 :: v_dual_mov_b32 v125, v41
	v_dual_mov_b32 v126, v36 :: v_dual_mov_b32 v127, v37
	ds_store_b64 v159, v[38:39]
	ds_store_2addr_b64 v160, v[124:125], v[126:127] offset0:10 offset1:11
	v_dual_mov_b32 v124, v66 :: v_dual_mov_b32 v125, v67
	v_dual_mov_b32 v126, v62 :: v_dual_mov_b32 v127, v63
	ds_store_2addr_b64 v160, v[124:125], v[126:127] offset0:12 offset1:13
	v_dual_mov_b32 v124, v64 :: v_dual_mov_b32 v125, v65
	v_dual_mov_b32 v126, v60 :: v_dual_mov_b32 v127, v61
	;; [unrolled: 3-line block ×6, first 2 shown]
	ds_store_2addr_b64 v160, v[124:125], v[126:127] offset0:22 offset1:23
	v_dual_mov_b32 v124, v98 :: v_dual_mov_b32 v125, v99
	ds_store_2addr_b64 v160, v[124:125], v[104:105] offset0:24 offset1:25
	ds_load_b64 v[124:125], v159
	s_wait_dscnt 0x0
	v_cmp_neq_f32_e32 vcc_lo, 0, v124
	v_cmp_neq_f32_e64 s1, 0, v125
	s_or_b32 s1, vcc_lo, s1
	s_delay_alu instid0(SALU_CYCLE_1)
	s_and_b32 exec_lo, exec_lo, s1
	s_cbranch_execz .LBB51_89
; %bb.84:
	v_cmp_ngt_f32_e64 s1, |v124|, |v125|
                                        ; implicit-def: $vgpr126_vgpr127
	s_and_saveexec_b32 s4, s1
	s_delay_alu instid0(SALU_CYCLE_1)
	s_xor_b32 s1, exec_lo, s4
	s_cbranch_execz .LBB51_86
; %bb.85:
	v_div_scale_f32 v126, null, v125, v125, v124
	v_div_scale_f32 v129, vcc_lo, v124, v125, v124
	s_delay_alu instid0(VALU_DEP_2) | instskip(SKIP_1) | instid1(TRANS32_DEP_1)
	v_rcp_f32_e32 v127, v126
	v_nop
	v_fma_f32 v128, -v126, v127, 1.0
	s_delay_alu instid0(VALU_DEP_1) | instskip(NEXT) | instid1(VALU_DEP_1)
	v_fmac_f32_e32 v127, v128, v127
	v_mul_f32_e32 v128, v129, v127
	s_delay_alu instid0(VALU_DEP_1) | instskip(NEXT) | instid1(VALU_DEP_1)
	v_fma_f32 v130, -v126, v128, v129
	v_fmac_f32_e32 v128, v130, v127
	s_delay_alu instid0(VALU_DEP_1) | instskip(NEXT) | instid1(VALU_DEP_1)
	v_fma_f32 v126, -v126, v128, v129
	v_div_fmas_f32 v126, v126, v127, v128
	s_delay_alu instid0(VALU_DEP_1) | instskip(NEXT) | instid1(VALU_DEP_1)
	v_div_fixup_f32 v126, v126, v125, v124
	v_fmac_f32_e32 v125, v124, v126
	s_delay_alu instid0(VALU_DEP_1) | instskip(SKIP_1) | instid1(VALU_DEP_2)
	v_div_scale_f32 v124, null, v125, v125, 1.0
	v_div_scale_f32 v129, vcc_lo, 1.0, v125, 1.0
	v_rcp_f32_e32 v127, v124
	v_nop
	s_delay_alu instid0(TRANS32_DEP_1) | instskip(NEXT) | instid1(VALU_DEP_1)
	v_fma_f32 v128, -v124, v127, 1.0
	v_fmac_f32_e32 v127, v128, v127
	s_delay_alu instid0(VALU_DEP_1) | instskip(NEXT) | instid1(VALU_DEP_1)
	v_mul_f32_e32 v128, v129, v127
	v_fma_f32 v130, -v124, v128, v129
	s_delay_alu instid0(VALU_DEP_1) | instskip(NEXT) | instid1(VALU_DEP_1)
	v_fmac_f32_e32 v128, v130, v127
	v_fma_f32 v124, -v124, v128, v129
	s_delay_alu instid0(VALU_DEP_1) | instskip(NEXT) | instid1(VALU_DEP_1)
	v_div_fmas_f32 v124, v124, v127, v128
	v_div_fixup_f32 v124, v124, v125, 1.0
	s_delay_alu instid0(VALU_DEP_1)
	v_mul_f32_e32 v126, v126, v124
	v_xor_b32_e32 v127, 0x80000000, v124
                                        ; implicit-def: $vgpr124_vgpr125
.LBB51_86:
	s_and_not1_saveexec_b32 s1, s1
	s_cbranch_execz .LBB51_88
; %bb.87:
	v_div_scale_f32 v126, null, v124, v124, v125
	v_div_scale_f32 v129, vcc_lo, v125, v124, v125
	s_delay_alu instid0(VALU_DEP_2) | instskip(SKIP_1) | instid1(TRANS32_DEP_1)
	v_rcp_f32_e32 v127, v126
	v_nop
	v_fma_f32 v128, -v126, v127, 1.0
	s_delay_alu instid0(VALU_DEP_1) | instskip(NEXT) | instid1(VALU_DEP_1)
	v_fmac_f32_e32 v127, v128, v127
	v_mul_f32_e32 v128, v129, v127
	s_delay_alu instid0(VALU_DEP_1) | instskip(NEXT) | instid1(VALU_DEP_1)
	v_fma_f32 v130, -v126, v128, v129
	v_fmac_f32_e32 v128, v130, v127
	s_delay_alu instid0(VALU_DEP_1) | instskip(NEXT) | instid1(VALU_DEP_1)
	v_fma_f32 v126, -v126, v128, v129
	v_div_fmas_f32 v126, v126, v127, v128
	s_delay_alu instid0(VALU_DEP_1) | instskip(NEXT) | instid1(VALU_DEP_1)
	v_div_fixup_f32 v127, v126, v124, v125
	v_fmac_f32_e32 v124, v125, v127
	s_delay_alu instid0(VALU_DEP_1) | instskip(NEXT) | instid1(VALU_DEP_1)
	v_div_scale_f32 v125, null, v124, v124, 1.0
	v_rcp_f32_e32 v126, v125
	v_nop
	s_delay_alu instid0(TRANS32_DEP_1) | instskip(NEXT) | instid1(VALU_DEP_1)
	v_fma_f32 v128, -v125, v126, 1.0
	v_fmac_f32_e32 v126, v128, v126
	v_div_scale_f32 v128, vcc_lo, 1.0, v124, 1.0
	s_delay_alu instid0(VALU_DEP_1) | instskip(NEXT) | instid1(VALU_DEP_1)
	v_mul_f32_e32 v129, v128, v126
	v_fma_f32 v130, -v125, v129, v128
	s_delay_alu instid0(VALU_DEP_1) | instskip(NEXT) | instid1(VALU_DEP_1)
	v_fmac_f32_e32 v129, v130, v126
	v_fma_f32 v125, -v125, v129, v128
	s_delay_alu instid0(VALU_DEP_1) | instskip(NEXT) | instid1(VALU_DEP_1)
	v_div_fmas_f32 v125, v125, v126, v129
	v_div_fixup_f32 v126, v125, v124, 1.0
	s_delay_alu instid0(VALU_DEP_1)
	v_mul_f32_e64 v127, v127, -v126
.LBB51_88:
	s_or_b32 exec_lo, exec_lo, s1
	ds_store_b64 v159, v[126:127]
.LBB51_89:
	s_or_b32 exec_lo, exec_lo, s2
	s_wait_dscnt 0x0
	s_barrier_signal -1
	s_barrier_wait -1
	ds_load_b64 v[124:125], v159
	s_mov_b32 s1, exec_lo
	v_cmpx_lt_u32_e32 9, v158
	s_cbranch_execz .LBB51_91
; %bb.90:
	ds_load_2addr_b64 v[130:133], v160 offset0:10 offset1:11
	s_wait_dscnt 0x1
	v_pk_mul_f32 v[128:129], v[124:125], v[38:39] op_sel:[1,1] op_sel_hi:[0,1]
	s_delay_alu instid0(VALU_DEP_1) | instskip(SKIP_1) | instid1(VALU_DEP_1)
	v_pk_fma_f32 v[126:127], v[124:125], v[38:39], v[128:129] op_sel_hi:[1,0,1] neg_lo:[0,0,1] neg_hi:[0,0,1]
	v_pk_fma_f32 v[128:129], v[124:125], v[38:39], v[128:129] op_sel_hi:[1,0,1]
	v_dual_mov_b32 v38, v126 :: v_dual_mov_b32 v39, v129
	s_wait_dscnt 0x0
	s_delay_alu instid0(VALU_DEP_2) | instskip(NEXT) | instid1(VALU_DEP_1)
	v_pk_mul_f32 v[134:135], v[130:131], v[128:129] op_sel:[0,1]
	v_pk_fma_f32 v[136:137], v[130:131], v[126:127], v[134:135] op_sel:[0,0,1] op_sel_hi:[1,1,0] neg_lo:[0,0,1] neg_hi:[0,0,1]
	v_pk_fma_f32 v[130:131], v[130:131], v[126:127], v[134:135] op_sel:[0,0,1] op_sel_hi:[1,0,0]
	s_delay_alu instid0(VALU_DEP_1) | instskip(SKIP_1) | instid1(VALU_DEP_1)
	v_mov_b32_e32 v137, v131
	v_pk_mul_f32 v[130:131], v[132:133], v[128:129] op_sel:[0,1]
	v_pk_fma_f32 v[134:135], v[132:133], v[126:127], v[130:131] op_sel:[0,0,1] op_sel_hi:[1,1,0] neg_lo:[0,0,1] neg_hi:[0,0,1]
	v_pk_fma_f32 v[130:131], v[132:133], v[126:127], v[130:131] op_sel:[0,0,1] op_sel_hi:[1,0,0]
	s_delay_alu instid0(VALU_DEP_1)
	v_mov_b32_e32 v135, v131
	ds_load_2addr_b64 v[130:133], v160 offset0:12 offset1:13
	v_pk_add_f32 v[40:41], v[40:41], v[136:137] neg_lo:[0,1] neg_hi:[0,1]
	v_pk_add_f32 v[36:37], v[36:37], v[134:135] neg_lo:[0,1] neg_hi:[0,1]
	s_wait_dscnt 0x0
	v_pk_mul_f32 v[134:135], v[130:131], v[128:129] op_sel:[0,1]
	s_delay_alu instid0(VALU_DEP_1) | instskip(SKIP_2) | instid1(VALU_DEP_2)
	v_pk_fma_f32 v[136:137], v[130:131], v[126:127], v[134:135] op_sel:[0,0,1] op_sel_hi:[1,1,0] neg_lo:[0,0,1] neg_hi:[0,0,1]
	v_pk_fma_f32 v[130:131], v[130:131], v[126:127], v[134:135] op_sel:[0,0,1] op_sel_hi:[1,0,0]
	v_dual_mul_f32 v134, v133, v129 :: v_dual_mov_b32 v130, v133
	v_dual_mov_b32 v137, v131 :: v_dual_mov_b32 v131, v132
	s_delay_alu instid0(VALU_DEP_2) | instskip(SKIP_1) | instid1(VALU_DEP_3)
	v_pk_fma_f32 v[134:135], v[132:133], v[38:39], v[134:135] op_sel_hi:[1,1,0] neg_lo:[0,0,1] neg_hi:[0,0,1]
	v_mul_f32_e32 v132, v133, v126
	v_pk_add_f32 v[66:67], v[66:67], v[136:137] neg_lo:[0,1] neg_hi:[0,1]
	s_delay_alu instid0(VALU_DEP_2) | instskip(NEXT) | instid1(VALU_DEP_1)
	v_pk_fma_f32 v[130:131], v[130:131], v[38:39], v[132:133] op_sel_hi:[1,1,0]
	v_mov_b32_e32 v135, v131
	ds_load_2addr_b64 v[130:133], v160 offset0:14 offset1:15
	v_pk_add_f32 v[62:63], v[62:63], v[134:135] neg_lo:[0,1] neg_hi:[0,1]
	s_wait_dscnt 0x0
	v_pk_mul_f32 v[134:135], v[130:131], v[128:129] op_sel:[0,1]
	s_delay_alu instid0(VALU_DEP_1) | instskip(SKIP_1) | instid1(VALU_DEP_1)
	v_pk_fma_f32 v[136:137], v[130:131], v[126:127], v[134:135] op_sel:[0,0,1] op_sel_hi:[1,1,0] neg_lo:[0,0,1] neg_hi:[0,0,1]
	v_pk_fma_f32 v[130:131], v[130:131], v[126:127], v[134:135] op_sel:[0,0,1] op_sel_hi:[1,0,0]
	v_mov_b32_e32 v137, v131
	v_pk_mul_f32 v[130:131], v[132:133], v[128:129] op_sel:[0,1]
	s_delay_alu instid0(VALU_DEP_1) | instskip(SKIP_1) | instid1(VALU_DEP_1)
	v_pk_fma_f32 v[134:135], v[132:133], v[126:127], v[130:131] op_sel:[0,0,1] op_sel_hi:[1,1,0] neg_lo:[0,0,1] neg_hi:[0,0,1]
	v_pk_fma_f32 v[130:131], v[132:133], v[126:127], v[130:131] op_sel:[0,0,1] op_sel_hi:[1,0,0]
	v_mov_b32_e32 v135, v131
	ds_load_2addr_b64 v[130:133], v160 offset0:16 offset1:17
	v_pk_add_f32 v[64:65], v[64:65], v[136:137] neg_lo:[0,1] neg_hi:[0,1]
	v_pk_add_f32 v[60:61], v[60:61], v[134:135] neg_lo:[0,1] neg_hi:[0,1]
	s_wait_dscnt 0x0
	v_pk_mul_f32 v[134:135], v[130:131], v[128:129] op_sel:[0,1]
	s_delay_alu instid0(VALU_DEP_1) | instskip(SKIP_1) | instid1(VALU_DEP_1)
	v_pk_fma_f32 v[136:137], v[130:131], v[126:127], v[134:135] op_sel:[0,0,1] op_sel_hi:[1,1,0] neg_lo:[0,0,1] neg_hi:[0,0,1]
	v_pk_fma_f32 v[130:131], v[130:131], v[126:127], v[134:135] op_sel:[0,0,1] op_sel_hi:[1,0,0]
	v_mov_b32_e32 v137, v131
	v_pk_mul_f32 v[130:131], v[132:133], v[128:129] op_sel:[0,1]
	s_delay_alu instid0(VALU_DEP_1) | instskip(SKIP_1) | instid1(VALU_DEP_1)
	v_pk_fma_f32 v[134:135], v[132:133], v[126:127], v[130:131] op_sel:[0,0,1] op_sel_hi:[1,1,0] neg_lo:[0,0,1] neg_hi:[0,0,1]
	v_pk_fma_f32 v[130:131], v[132:133], v[126:127], v[130:131] op_sel:[0,0,1] op_sel_hi:[1,0,0]
	v_mov_b32_e32 v135, v131
	ds_load_2addr_b64 v[130:133], v160 offset0:18 offset1:19
	v_pk_add_f32 v[84:85], v[84:85], v[136:137] neg_lo:[0,1] neg_hi:[0,1]
	v_pk_add_f32 v[80:81], v[80:81], v[134:135] neg_lo:[0,1] neg_hi:[0,1]
	s_wait_dscnt 0x0
	v_dual_mul_f32 v134, v131, v129 :: v_dual_mul_f32 v136, v131, v126
	s_delay_alu instid0(VALU_DEP_1) | instskip(NEXT) | instid1(VALU_DEP_2)
	v_pk_fma_f32 v[134:135], v[130:131], v[38:39], v[134:135] op_sel_hi:[1,1,0] neg_lo:[0,0,1] neg_hi:[0,0,1]
	v_pk_fma_f32 v[130:131], v[130:131], v[38:39], v[136:137] op_sel:[1,0,0] op_sel_hi:[0,1,0]
	s_delay_alu instid0(VALU_DEP_1) | instskip(SKIP_1) | instid1(VALU_DEP_2)
	v_mov_b32_e32 v135, v131
	v_pk_mul_f32 v[130:131], v[132:133], v[128:129] op_sel:[0,1]
	v_pk_add_f32 v[82:83], v[82:83], v[134:135] neg_lo:[0,1] neg_hi:[0,1]
	s_delay_alu instid0(VALU_DEP_2) | instskip(SKIP_1) | instid1(VALU_DEP_1)
	v_pk_fma_f32 v[134:135], v[132:133], v[126:127], v[130:131] op_sel:[0,0,1] op_sel_hi:[1,1,0] neg_lo:[0,0,1] neg_hi:[0,0,1]
	v_pk_fma_f32 v[130:131], v[132:133], v[126:127], v[130:131] op_sel:[0,0,1] op_sel_hi:[1,0,0]
	v_mov_b32_e32 v135, v131
	ds_load_2addr_b64 v[130:133], v160 offset0:20 offset1:21
	v_pk_add_f32 v[78:79], v[78:79], v[134:135] neg_lo:[0,1] neg_hi:[0,1]
	s_wait_dscnt 0x0
	v_pk_mul_f32 v[134:135], v[130:131], v[128:129] op_sel:[0,1]
	s_delay_alu instid0(VALU_DEP_1) | instskip(SKIP_1) | instid1(VALU_DEP_1)
	v_pk_fma_f32 v[136:137], v[130:131], v[126:127], v[134:135] op_sel:[0,0,1] op_sel_hi:[1,1,0] neg_lo:[0,0,1] neg_hi:[0,0,1]
	v_pk_fma_f32 v[130:131], v[130:131], v[126:127], v[134:135] op_sel:[0,0,1] op_sel_hi:[1,0,0]
	v_mov_b32_e32 v137, v131
	v_pk_mul_f32 v[130:131], v[132:133], v[128:129] op_sel:[0,1]
	s_delay_alu instid0(VALU_DEP_2) | instskip(NEXT) | instid1(VALU_DEP_2)
	v_pk_add_f32 v[96:97], v[96:97], v[136:137] neg_lo:[0,1] neg_hi:[0,1]
	v_pk_fma_f32 v[134:135], v[132:133], v[126:127], v[130:131] op_sel:[0,0,1] op_sel_hi:[1,1,0] neg_lo:[0,0,1] neg_hi:[0,0,1]
	v_pk_fma_f32 v[130:131], v[132:133], v[126:127], v[130:131] op_sel:[0,0,1] op_sel_hi:[1,0,0]
	s_delay_alu instid0(VALU_DEP_1) | instskip(SKIP_4) | instid1(VALU_DEP_1)
	v_mov_b32_e32 v135, v131
	ds_load_2addr_b64 v[130:133], v160 offset0:22 offset1:23
	v_pk_add_f32 v[94:95], v[94:95], v[134:135] neg_lo:[0,1] neg_hi:[0,1]
	s_wait_dscnt 0x0
	v_pk_mul_f32 v[134:135], v[130:131], v[128:129] op_sel:[0,1]
	v_pk_fma_f32 v[136:137], v[130:131], v[126:127], v[134:135] op_sel:[0,0,1] op_sel_hi:[1,1,0] neg_lo:[0,0,1] neg_hi:[0,0,1]
	v_pk_fma_f32 v[130:131], v[130:131], v[126:127], v[134:135] op_sel:[0,0,1] op_sel_hi:[1,0,0]
	v_dual_mul_f32 v134, v133, v129 :: v_dual_mov_b32 v130, v133
	s_delay_alu instid0(VALU_DEP_2) | instskip(NEXT) | instid1(VALU_DEP_2)
	v_dual_mov_b32 v137, v131 :: v_dual_mov_b32 v131, v132
	v_pk_fma_f32 v[134:135], v[132:133], v[38:39], v[134:135] op_sel_hi:[1,1,0] neg_lo:[0,0,1] neg_hi:[0,0,1]
	v_mul_f32_e32 v132, v133, v126
	s_delay_alu instid0(VALU_DEP_3) | instskip(NEXT) | instid1(VALU_DEP_2)
	v_pk_add_f32 v[102:103], v[102:103], v[136:137] neg_lo:[0,1] neg_hi:[0,1]
	v_pk_fma_f32 v[130:131], v[130:131], v[38:39], v[132:133] op_sel_hi:[1,1,0]
	s_delay_alu instid0(VALU_DEP_1)
	v_mov_b32_e32 v135, v131
	ds_load_2addr_b64 v[130:133], v160 offset0:24 offset1:25
	v_pk_add_f32 v[100:101], v[100:101], v[134:135] neg_lo:[0,1] neg_hi:[0,1]
	s_wait_dscnt 0x0
	v_pk_mul_f32 v[134:135], v[130:131], v[128:129] op_sel:[0,1]
	v_pk_mul_f32 v[128:129], v[132:133], v[128:129] op_sel:[0,1]
	s_delay_alu instid0(VALU_DEP_2) | instskip(SKIP_1) | instid1(VALU_DEP_1)
	v_pk_fma_f32 v[136:137], v[130:131], v[126:127], v[134:135] op_sel:[0,0,1] op_sel_hi:[1,1,0] neg_lo:[0,0,1] neg_hi:[0,0,1]
	v_pk_fma_f32 v[130:131], v[130:131], v[126:127], v[134:135] op_sel:[0,0,1] op_sel_hi:[1,0,0]
	v_mov_b32_e32 v137, v131
	s_delay_alu instid0(VALU_DEP_4) | instskip(SKIP_1) | instid1(VALU_DEP_1)
	v_pk_fma_f32 v[130:131], v[132:133], v[126:127], v[128:129] op_sel:[0,0,1] op_sel_hi:[1,1,0] neg_lo:[0,0,1] neg_hi:[0,0,1]
	v_pk_fma_f32 v[126:127], v[132:133], v[126:127], v[128:129] op_sel:[0,0,1] op_sel_hi:[1,0,0]
	v_mov_b32_e32 v131, v127
	s_delay_alu instid0(VALU_DEP_4) | instskip(NEXT) | instid1(VALU_DEP_2)
	v_pk_add_f32 v[98:99], v[98:99], v[136:137] neg_lo:[0,1] neg_hi:[0,1]
	v_pk_add_f32 v[104:105], v[104:105], v[130:131] neg_lo:[0,1] neg_hi:[0,1]
.LBB51_91:
	s_or_b32 exec_lo, exec_lo, s1
	s_delay_alu instid0(SALU_CYCLE_1)
	s_mov_b32 s2, exec_lo
	s_wait_dscnt 0x0
	s_barrier_signal -1
	s_barrier_wait -1
	v_cmpx_eq_u32_e32 10, v158
	s_cbranch_execz .LBB51_98
; %bb.92:
	ds_store_b64 v159, v[40:41]
	ds_store_2addr_b64 v160, v[36:37], v[66:67] offset0:11 offset1:12
	ds_store_2addr_b64 v160, v[62:63], v[64:65] offset0:13 offset1:14
	ds_store_2addr_b64 v160, v[60:61], v[84:85] offset0:15 offset1:16
	ds_store_2addr_b64 v160, v[80:81], v[82:83] offset0:17 offset1:18
	ds_store_2addr_b64 v160, v[78:79], v[96:97] offset0:19 offset1:20
	ds_store_2addr_b64 v160, v[94:95], v[102:103] offset0:21 offset1:22
	ds_store_2addr_b64 v160, v[100:101], v[98:99] offset0:23 offset1:24
	ds_store_b64 v160, v[104:105] offset:200
	ds_load_b64 v[126:127], v159
	s_wait_dscnt 0x0
	v_cmp_neq_f32_e32 vcc_lo, 0, v126
	v_cmp_neq_f32_e64 s1, 0, v127
	s_or_b32 s1, vcc_lo, s1
	s_delay_alu instid0(SALU_CYCLE_1)
	s_and_b32 exec_lo, exec_lo, s1
	s_cbranch_execz .LBB51_98
; %bb.93:
	v_cmp_ngt_f32_e64 s1, |v126|, |v127|
                                        ; implicit-def: $vgpr128_vgpr129
	s_and_saveexec_b32 s4, s1
	s_delay_alu instid0(SALU_CYCLE_1)
	s_xor_b32 s1, exec_lo, s4
	s_cbranch_execz .LBB51_95
; %bb.94:
	v_div_scale_f32 v128, null, v127, v127, v126
	v_div_scale_f32 v131, vcc_lo, v126, v127, v126
	s_delay_alu instid0(VALU_DEP_2) | instskip(SKIP_1) | instid1(TRANS32_DEP_1)
	v_rcp_f32_e32 v129, v128
	v_nop
	v_fma_f32 v130, -v128, v129, 1.0
	s_delay_alu instid0(VALU_DEP_1) | instskip(NEXT) | instid1(VALU_DEP_1)
	v_fmac_f32_e32 v129, v130, v129
	v_mul_f32_e32 v130, v131, v129
	s_delay_alu instid0(VALU_DEP_1) | instskip(NEXT) | instid1(VALU_DEP_1)
	v_fma_f32 v132, -v128, v130, v131
	v_fmac_f32_e32 v130, v132, v129
	s_delay_alu instid0(VALU_DEP_1) | instskip(NEXT) | instid1(VALU_DEP_1)
	v_fma_f32 v128, -v128, v130, v131
	v_div_fmas_f32 v128, v128, v129, v130
	s_delay_alu instid0(VALU_DEP_1) | instskip(NEXT) | instid1(VALU_DEP_1)
	v_div_fixup_f32 v128, v128, v127, v126
	v_fmac_f32_e32 v127, v126, v128
	s_delay_alu instid0(VALU_DEP_1) | instskip(SKIP_1) | instid1(VALU_DEP_2)
	v_div_scale_f32 v126, null, v127, v127, 1.0
	v_div_scale_f32 v131, vcc_lo, 1.0, v127, 1.0
	v_rcp_f32_e32 v129, v126
	v_nop
	s_delay_alu instid0(TRANS32_DEP_1) | instskip(NEXT) | instid1(VALU_DEP_1)
	v_fma_f32 v130, -v126, v129, 1.0
	v_fmac_f32_e32 v129, v130, v129
	s_delay_alu instid0(VALU_DEP_1) | instskip(NEXT) | instid1(VALU_DEP_1)
	v_mul_f32_e32 v130, v131, v129
	v_fma_f32 v132, -v126, v130, v131
	s_delay_alu instid0(VALU_DEP_1) | instskip(NEXT) | instid1(VALU_DEP_1)
	v_fmac_f32_e32 v130, v132, v129
	v_fma_f32 v126, -v126, v130, v131
	s_delay_alu instid0(VALU_DEP_1) | instskip(NEXT) | instid1(VALU_DEP_1)
	v_div_fmas_f32 v126, v126, v129, v130
	v_div_fixup_f32 v126, v126, v127, 1.0
	s_delay_alu instid0(VALU_DEP_1)
	v_mul_f32_e32 v128, v128, v126
	v_xor_b32_e32 v129, 0x80000000, v126
                                        ; implicit-def: $vgpr126_vgpr127
.LBB51_95:
	s_and_not1_saveexec_b32 s1, s1
	s_cbranch_execz .LBB51_97
; %bb.96:
	v_div_scale_f32 v128, null, v126, v126, v127
	v_div_scale_f32 v131, vcc_lo, v127, v126, v127
	s_delay_alu instid0(VALU_DEP_2) | instskip(SKIP_1) | instid1(TRANS32_DEP_1)
	v_rcp_f32_e32 v129, v128
	v_nop
	v_fma_f32 v130, -v128, v129, 1.0
	s_delay_alu instid0(VALU_DEP_1) | instskip(NEXT) | instid1(VALU_DEP_1)
	v_fmac_f32_e32 v129, v130, v129
	v_mul_f32_e32 v130, v131, v129
	s_delay_alu instid0(VALU_DEP_1) | instskip(NEXT) | instid1(VALU_DEP_1)
	v_fma_f32 v132, -v128, v130, v131
	v_fmac_f32_e32 v130, v132, v129
	s_delay_alu instid0(VALU_DEP_1) | instskip(NEXT) | instid1(VALU_DEP_1)
	v_fma_f32 v128, -v128, v130, v131
	v_div_fmas_f32 v128, v128, v129, v130
	s_delay_alu instid0(VALU_DEP_1) | instskip(NEXT) | instid1(VALU_DEP_1)
	v_div_fixup_f32 v129, v128, v126, v127
	v_fmac_f32_e32 v126, v127, v129
	s_delay_alu instid0(VALU_DEP_1) | instskip(NEXT) | instid1(VALU_DEP_1)
	v_div_scale_f32 v127, null, v126, v126, 1.0
	v_rcp_f32_e32 v128, v127
	v_nop
	s_delay_alu instid0(TRANS32_DEP_1) | instskip(NEXT) | instid1(VALU_DEP_1)
	v_fma_f32 v130, -v127, v128, 1.0
	v_fmac_f32_e32 v128, v130, v128
	v_div_scale_f32 v130, vcc_lo, 1.0, v126, 1.0
	s_delay_alu instid0(VALU_DEP_1) | instskip(NEXT) | instid1(VALU_DEP_1)
	v_mul_f32_e32 v131, v130, v128
	v_fma_f32 v132, -v127, v131, v130
	s_delay_alu instid0(VALU_DEP_1) | instskip(NEXT) | instid1(VALU_DEP_1)
	v_fmac_f32_e32 v131, v132, v128
	v_fma_f32 v127, -v127, v131, v130
	s_delay_alu instid0(VALU_DEP_1) | instskip(NEXT) | instid1(VALU_DEP_1)
	v_div_fmas_f32 v127, v127, v128, v131
	v_div_fixup_f32 v128, v127, v126, 1.0
	s_delay_alu instid0(VALU_DEP_1)
	v_mul_f32_e64 v129, v129, -v128
.LBB51_97:
	s_or_b32 exec_lo, exec_lo, s1
	ds_store_b64 v159, v[128:129]
.LBB51_98:
	s_or_b32 exec_lo, exec_lo, s2
	s_wait_dscnt 0x0
	s_barrier_signal -1
	s_barrier_wait -1
	ds_load_b64 v[126:127], v159
	s_mov_b32 s1, exec_lo
	v_cmpx_lt_u32_e32 10, v158
	s_cbranch_execz .LBB51_100
; %bb.99:
	ds_load_2addr_b64 v[132:135], v160 offset0:11 offset1:12
	s_wait_dscnt 0x1
	v_pk_mul_f32 v[130:131], v[126:127], v[40:41] op_sel:[1,1] op_sel_hi:[0,1]
	s_delay_alu instid0(VALU_DEP_1) | instskip(SKIP_1) | instid1(VALU_DEP_1)
	v_pk_fma_f32 v[128:129], v[126:127], v[40:41], v[130:131] op_sel_hi:[1,0,1] neg_lo:[0,0,1] neg_hi:[0,0,1]
	v_pk_fma_f32 v[130:131], v[126:127], v[40:41], v[130:131] op_sel_hi:[1,0,1]
	v_dual_mov_b32 v40, v128 :: v_dual_mov_b32 v41, v131
	s_wait_dscnt 0x0
	s_delay_alu instid0(VALU_DEP_2) | instskip(NEXT) | instid1(VALU_DEP_1)
	v_pk_mul_f32 v[136:137], v[132:133], v[130:131] op_sel:[0,1]
	v_pk_fma_f32 v[138:139], v[132:133], v[128:129], v[136:137] op_sel:[0,0,1] op_sel_hi:[1,1,0] neg_lo:[0,0,1] neg_hi:[0,0,1]
	v_pk_fma_f32 v[132:133], v[132:133], v[128:129], v[136:137] op_sel:[0,0,1] op_sel_hi:[1,0,0]
	s_delay_alu instid0(VALU_DEP_1) | instskip(SKIP_1) | instid1(VALU_DEP_1)
	v_mov_b32_e32 v139, v133
	v_pk_mul_f32 v[132:133], v[134:135], v[130:131] op_sel:[0,1]
	v_pk_fma_f32 v[136:137], v[134:135], v[128:129], v[132:133] op_sel:[0,0,1] op_sel_hi:[1,1,0] neg_lo:[0,0,1] neg_hi:[0,0,1]
	v_pk_fma_f32 v[132:133], v[134:135], v[128:129], v[132:133] op_sel:[0,0,1] op_sel_hi:[1,0,0]
	s_delay_alu instid0(VALU_DEP_1)
	v_mov_b32_e32 v137, v133
	ds_load_2addr_b64 v[132:135], v160 offset0:13 offset1:14
	v_pk_add_f32 v[36:37], v[36:37], v[138:139] neg_lo:[0,1] neg_hi:[0,1]
	v_pk_add_f32 v[66:67], v[66:67], v[136:137] neg_lo:[0,1] neg_hi:[0,1]
	s_wait_dscnt 0x0
	v_pk_mul_f32 v[136:137], v[132:133], v[130:131] op_sel:[0,1]
	s_delay_alu instid0(VALU_DEP_1) | instskip(SKIP_2) | instid1(VALU_DEP_2)
	v_pk_fma_f32 v[138:139], v[132:133], v[128:129], v[136:137] op_sel:[0,0,1] op_sel_hi:[1,1,0] neg_lo:[0,0,1] neg_hi:[0,0,1]
	v_pk_fma_f32 v[132:133], v[132:133], v[128:129], v[136:137] op_sel:[0,0,1] op_sel_hi:[1,0,0]
	v_dual_mul_f32 v136, v135, v131 :: v_dual_mov_b32 v132, v135
	v_dual_mov_b32 v139, v133 :: v_dual_mov_b32 v133, v134
	s_delay_alu instid0(VALU_DEP_2) | instskip(SKIP_1) | instid1(VALU_DEP_3)
	v_pk_fma_f32 v[136:137], v[134:135], v[40:41], v[136:137] op_sel_hi:[1,1,0] neg_lo:[0,0,1] neg_hi:[0,0,1]
	v_mul_f32_e32 v134, v135, v128
	v_pk_add_f32 v[62:63], v[62:63], v[138:139] neg_lo:[0,1] neg_hi:[0,1]
	s_delay_alu instid0(VALU_DEP_2) | instskip(NEXT) | instid1(VALU_DEP_1)
	v_pk_fma_f32 v[132:133], v[132:133], v[40:41], v[134:135] op_sel_hi:[1,1,0]
	v_mov_b32_e32 v137, v133
	ds_load_2addr_b64 v[132:135], v160 offset0:15 offset1:16
	v_pk_add_f32 v[64:65], v[64:65], v[136:137] neg_lo:[0,1] neg_hi:[0,1]
	s_wait_dscnt 0x0
	v_pk_mul_f32 v[136:137], v[132:133], v[130:131] op_sel:[0,1]
	s_delay_alu instid0(VALU_DEP_1) | instskip(SKIP_1) | instid1(VALU_DEP_1)
	v_pk_fma_f32 v[138:139], v[132:133], v[128:129], v[136:137] op_sel:[0,0,1] op_sel_hi:[1,1,0] neg_lo:[0,0,1] neg_hi:[0,0,1]
	v_pk_fma_f32 v[132:133], v[132:133], v[128:129], v[136:137] op_sel:[0,0,1] op_sel_hi:[1,0,0]
	v_mov_b32_e32 v139, v133
	v_pk_mul_f32 v[132:133], v[134:135], v[130:131] op_sel:[0,1]
	s_delay_alu instid0(VALU_DEP_1) | instskip(SKIP_1) | instid1(VALU_DEP_1)
	v_pk_fma_f32 v[136:137], v[134:135], v[128:129], v[132:133] op_sel:[0,0,1] op_sel_hi:[1,1,0] neg_lo:[0,0,1] neg_hi:[0,0,1]
	v_pk_fma_f32 v[132:133], v[134:135], v[128:129], v[132:133] op_sel:[0,0,1] op_sel_hi:[1,0,0]
	v_mov_b32_e32 v137, v133
	ds_load_2addr_b64 v[132:135], v160 offset0:17 offset1:18
	v_pk_add_f32 v[60:61], v[60:61], v[138:139] neg_lo:[0,1] neg_hi:[0,1]
	v_pk_add_f32 v[84:85], v[84:85], v[136:137] neg_lo:[0,1] neg_hi:[0,1]
	s_wait_dscnt 0x0
	v_pk_mul_f32 v[136:137], v[132:133], v[130:131] op_sel:[0,1]
	s_delay_alu instid0(VALU_DEP_1) | instskip(SKIP_1) | instid1(VALU_DEP_1)
	v_pk_fma_f32 v[138:139], v[132:133], v[128:129], v[136:137] op_sel:[0,0,1] op_sel_hi:[1,1,0] neg_lo:[0,0,1] neg_hi:[0,0,1]
	v_pk_fma_f32 v[132:133], v[132:133], v[128:129], v[136:137] op_sel:[0,0,1] op_sel_hi:[1,0,0]
	v_mov_b32_e32 v139, v133
	v_pk_mul_f32 v[132:133], v[134:135], v[130:131] op_sel:[0,1]
	s_delay_alu instid0(VALU_DEP_1) | instskip(SKIP_1) | instid1(VALU_DEP_1)
	v_pk_fma_f32 v[136:137], v[134:135], v[128:129], v[132:133] op_sel:[0,0,1] op_sel_hi:[1,1,0] neg_lo:[0,0,1] neg_hi:[0,0,1]
	v_pk_fma_f32 v[132:133], v[134:135], v[128:129], v[132:133] op_sel:[0,0,1] op_sel_hi:[1,0,0]
	v_mov_b32_e32 v137, v133
	ds_load_2addr_b64 v[132:135], v160 offset0:19 offset1:20
	v_pk_add_f32 v[80:81], v[80:81], v[138:139] neg_lo:[0,1] neg_hi:[0,1]
	v_pk_add_f32 v[82:83], v[82:83], v[136:137] neg_lo:[0,1] neg_hi:[0,1]
	s_wait_dscnt 0x0
	v_dual_mul_f32 v136, v133, v131 :: v_dual_mul_f32 v138, v133, v128
	s_delay_alu instid0(VALU_DEP_1) | instskip(NEXT) | instid1(VALU_DEP_2)
	v_pk_fma_f32 v[136:137], v[132:133], v[40:41], v[136:137] op_sel_hi:[1,1,0] neg_lo:[0,0,1] neg_hi:[0,0,1]
	v_pk_fma_f32 v[132:133], v[132:133], v[40:41], v[138:139] op_sel:[1,0,0] op_sel_hi:[0,1,0]
	s_delay_alu instid0(VALU_DEP_1) | instskip(SKIP_1) | instid1(VALU_DEP_2)
	v_mov_b32_e32 v137, v133
	v_pk_mul_f32 v[132:133], v[134:135], v[130:131] op_sel:[0,1]
	v_pk_add_f32 v[78:79], v[78:79], v[136:137] neg_lo:[0,1] neg_hi:[0,1]
	s_delay_alu instid0(VALU_DEP_2) | instskip(SKIP_1) | instid1(VALU_DEP_1)
	v_pk_fma_f32 v[136:137], v[134:135], v[128:129], v[132:133] op_sel:[0,0,1] op_sel_hi:[1,1,0] neg_lo:[0,0,1] neg_hi:[0,0,1]
	v_pk_fma_f32 v[132:133], v[134:135], v[128:129], v[132:133] op_sel:[0,0,1] op_sel_hi:[1,0,0]
	v_mov_b32_e32 v137, v133
	ds_load_2addr_b64 v[132:135], v160 offset0:21 offset1:22
	v_pk_add_f32 v[96:97], v[96:97], v[136:137] neg_lo:[0,1] neg_hi:[0,1]
	s_wait_dscnt 0x0
	v_pk_mul_f32 v[136:137], v[132:133], v[130:131] op_sel:[0,1]
	s_delay_alu instid0(VALU_DEP_1) | instskip(SKIP_1) | instid1(VALU_DEP_1)
	v_pk_fma_f32 v[138:139], v[132:133], v[128:129], v[136:137] op_sel:[0,0,1] op_sel_hi:[1,1,0] neg_lo:[0,0,1] neg_hi:[0,0,1]
	v_pk_fma_f32 v[132:133], v[132:133], v[128:129], v[136:137] op_sel:[0,0,1] op_sel_hi:[1,0,0]
	v_mov_b32_e32 v139, v133
	v_pk_mul_f32 v[132:133], v[134:135], v[130:131] op_sel:[0,1]
	s_delay_alu instid0(VALU_DEP_2) | instskip(NEXT) | instid1(VALU_DEP_2)
	v_pk_add_f32 v[94:95], v[94:95], v[138:139] neg_lo:[0,1] neg_hi:[0,1]
	v_pk_fma_f32 v[136:137], v[134:135], v[128:129], v[132:133] op_sel:[0,0,1] op_sel_hi:[1,1,0] neg_lo:[0,0,1] neg_hi:[0,0,1]
	v_pk_fma_f32 v[132:133], v[134:135], v[128:129], v[132:133] op_sel:[0,0,1] op_sel_hi:[1,0,0]
	s_delay_alu instid0(VALU_DEP_1) | instskip(SKIP_4) | instid1(VALU_DEP_1)
	v_mov_b32_e32 v137, v133
	ds_load_2addr_b64 v[132:135], v160 offset0:23 offset1:24
	v_pk_add_f32 v[102:103], v[102:103], v[136:137] neg_lo:[0,1] neg_hi:[0,1]
	s_wait_dscnt 0x0
	v_pk_mul_f32 v[136:137], v[132:133], v[130:131] op_sel:[0,1]
	v_pk_fma_f32 v[138:139], v[132:133], v[128:129], v[136:137] op_sel:[0,0,1] op_sel_hi:[1,1,0] neg_lo:[0,0,1] neg_hi:[0,0,1]
	v_pk_fma_f32 v[132:133], v[132:133], v[128:129], v[136:137] op_sel:[0,0,1] op_sel_hi:[1,0,0]
	v_dual_mul_f32 v136, v135, v131 :: v_dual_mov_b32 v132, v135
	s_delay_alu instid0(VALU_DEP_2) | instskip(NEXT) | instid1(VALU_DEP_2)
	v_dual_mov_b32 v139, v133 :: v_dual_mov_b32 v133, v134
	v_pk_fma_f32 v[136:137], v[134:135], v[40:41], v[136:137] op_sel_hi:[1,1,0] neg_lo:[0,0,1] neg_hi:[0,0,1]
	v_mul_f32_e32 v134, v135, v128
	s_delay_alu instid0(VALU_DEP_3) | instskip(NEXT) | instid1(VALU_DEP_2)
	v_pk_add_f32 v[100:101], v[100:101], v[138:139] neg_lo:[0,1] neg_hi:[0,1]
	v_pk_fma_f32 v[132:133], v[132:133], v[40:41], v[134:135] op_sel_hi:[1,1,0]
	s_delay_alu instid0(VALU_DEP_1) | instskip(SKIP_4) | instid1(VALU_DEP_1)
	v_mov_b32_e32 v137, v133
	ds_load_b64 v[132:133], v160 offset:200
	v_pk_add_f32 v[98:99], v[98:99], v[136:137] neg_lo:[0,1] neg_hi:[0,1]
	s_wait_dscnt 0x0
	v_pk_mul_f32 v[130:131], v[132:133], v[130:131] op_sel:[0,1]
	v_pk_fma_f32 v[134:135], v[132:133], v[128:129], v[130:131] op_sel:[0,0,1] op_sel_hi:[1,1,0] neg_lo:[0,0,1] neg_hi:[0,0,1]
	v_pk_fma_f32 v[128:129], v[132:133], v[128:129], v[130:131] op_sel:[0,0,1] op_sel_hi:[1,0,0]
	s_delay_alu instid0(VALU_DEP_1) | instskip(NEXT) | instid1(VALU_DEP_1)
	v_mov_b32_e32 v135, v129
	v_pk_add_f32 v[104:105], v[104:105], v[134:135] neg_lo:[0,1] neg_hi:[0,1]
.LBB51_100:
	s_or_b32 exec_lo, exec_lo, s1
	s_delay_alu instid0(SALU_CYCLE_1)
	s_mov_b32 s2, exec_lo
	s_wait_dscnt 0x0
	s_barrier_signal -1
	s_barrier_wait -1
	v_cmpx_eq_u32_e32 11, v158
	s_cbranch_execz .LBB51_107
; %bb.101:
	v_dual_mov_b32 v128, v66 :: v_dual_mov_b32 v129, v67
	v_dual_mov_b32 v130, v62 :: v_dual_mov_b32 v131, v63
	ds_store_b64 v159, v[36:37]
	ds_store_2addr_b64 v160, v[128:129], v[130:131] offset0:12 offset1:13
	v_dual_mov_b32 v128, v64 :: v_dual_mov_b32 v129, v65
	v_dual_mov_b32 v130, v60 :: v_dual_mov_b32 v131, v61
	ds_store_2addr_b64 v160, v[128:129], v[130:131] offset0:14 offset1:15
	v_dual_mov_b32 v128, v84 :: v_dual_mov_b32 v129, v85
	v_dual_mov_b32 v130, v80 :: v_dual_mov_b32 v131, v81
	;; [unrolled: 3-line block ×5, first 2 shown]
	ds_store_2addr_b64 v160, v[128:129], v[130:131] offset0:22 offset1:23
	v_dual_mov_b32 v128, v98 :: v_dual_mov_b32 v129, v99
	ds_store_2addr_b64 v160, v[128:129], v[104:105] offset0:24 offset1:25
	ds_load_b64 v[128:129], v159
	s_wait_dscnt 0x0
	v_cmp_neq_f32_e32 vcc_lo, 0, v128
	v_cmp_neq_f32_e64 s1, 0, v129
	s_or_b32 s1, vcc_lo, s1
	s_delay_alu instid0(SALU_CYCLE_1)
	s_and_b32 exec_lo, exec_lo, s1
	s_cbranch_execz .LBB51_107
; %bb.102:
	v_cmp_ngt_f32_e64 s1, |v128|, |v129|
                                        ; implicit-def: $vgpr130_vgpr131
	s_and_saveexec_b32 s4, s1
	s_delay_alu instid0(SALU_CYCLE_1)
	s_xor_b32 s1, exec_lo, s4
	s_cbranch_execz .LBB51_104
; %bb.103:
	v_div_scale_f32 v130, null, v129, v129, v128
	v_div_scale_f32 v133, vcc_lo, v128, v129, v128
	s_delay_alu instid0(VALU_DEP_2) | instskip(SKIP_1) | instid1(TRANS32_DEP_1)
	v_rcp_f32_e32 v131, v130
	v_nop
	v_fma_f32 v132, -v130, v131, 1.0
	s_delay_alu instid0(VALU_DEP_1) | instskip(NEXT) | instid1(VALU_DEP_1)
	v_fmac_f32_e32 v131, v132, v131
	v_mul_f32_e32 v132, v133, v131
	s_delay_alu instid0(VALU_DEP_1) | instskip(NEXT) | instid1(VALU_DEP_1)
	v_fma_f32 v134, -v130, v132, v133
	v_fmac_f32_e32 v132, v134, v131
	s_delay_alu instid0(VALU_DEP_1) | instskip(NEXT) | instid1(VALU_DEP_1)
	v_fma_f32 v130, -v130, v132, v133
	v_div_fmas_f32 v130, v130, v131, v132
	s_delay_alu instid0(VALU_DEP_1) | instskip(NEXT) | instid1(VALU_DEP_1)
	v_div_fixup_f32 v130, v130, v129, v128
	v_fmac_f32_e32 v129, v128, v130
	s_delay_alu instid0(VALU_DEP_1) | instskip(SKIP_1) | instid1(VALU_DEP_2)
	v_div_scale_f32 v128, null, v129, v129, 1.0
	v_div_scale_f32 v133, vcc_lo, 1.0, v129, 1.0
	v_rcp_f32_e32 v131, v128
	v_nop
	s_delay_alu instid0(TRANS32_DEP_1) | instskip(NEXT) | instid1(VALU_DEP_1)
	v_fma_f32 v132, -v128, v131, 1.0
	v_fmac_f32_e32 v131, v132, v131
	s_delay_alu instid0(VALU_DEP_1) | instskip(NEXT) | instid1(VALU_DEP_1)
	v_mul_f32_e32 v132, v133, v131
	v_fma_f32 v134, -v128, v132, v133
	s_delay_alu instid0(VALU_DEP_1) | instskip(NEXT) | instid1(VALU_DEP_1)
	v_fmac_f32_e32 v132, v134, v131
	v_fma_f32 v128, -v128, v132, v133
	s_delay_alu instid0(VALU_DEP_1) | instskip(NEXT) | instid1(VALU_DEP_1)
	v_div_fmas_f32 v128, v128, v131, v132
	v_div_fixup_f32 v128, v128, v129, 1.0
	s_delay_alu instid0(VALU_DEP_1)
	v_mul_f32_e32 v130, v130, v128
	v_xor_b32_e32 v131, 0x80000000, v128
                                        ; implicit-def: $vgpr128_vgpr129
.LBB51_104:
	s_and_not1_saveexec_b32 s1, s1
	s_cbranch_execz .LBB51_106
; %bb.105:
	v_div_scale_f32 v130, null, v128, v128, v129
	v_div_scale_f32 v133, vcc_lo, v129, v128, v129
	s_delay_alu instid0(VALU_DEP_2) | instskip(SKIP_1) | instid1(TRANS32_DEP_1)
	v_rcp_f32_e32 v131, v130
	v_nop
	v_fma_f32 v132, -v130, v131, 1.0
	s_delay_alu instid0(VALU_DEP_1) | instskip(NEXT) | instid1(VALU_DEP_1)
	v_fmac_f32_e32 v131, v132, v131
	v_mul_f32_e32 v132, v133, v131
	s_delay_alu instid0(VALU_DEP_1) | instskip(NEXT) | instid1(VALU_DEP_1)
	v_fma_f32 v134, -v130, v132, v133
	v_fmac_f32_e32 v132, v134, v131
	s_delay_alu instid0(VALU_DEP_1) | instskip(NEXT) | instid1(VALU_DEP_1)
	v_fma_f32 v130, -v130, v132, v133
	v_div_fmas_f32 v130, v130, v131, v132
	s_delay_alu instid0(VALU_DEP_1) | instskip(NEXT) | instid1(VALU_DEP_1)
	v_div_fixup_f32 v131, v130, v128, v129
	v_fmac_f32_e32 v128, v129, v131
	s_delay_alu instid0(VALU_DEP_1) | instskip(NEXT) | instid1(VALU_DEP_1)
	v_div_scale_f32 v129, null, v128, v128, 1.0
	v_rcp_f32_e32 v130, v129
	v_nop
	s_delay_alu instid0(TRANS32_DEP_1) | instskip(NEXT) | instid1(VALU_DEP_1)
	v_fma_f32 v132, -v129, v130, 1.0
	v_fmac_f32_e32 v130, v132, v130
	v_div_scale_f32 v132, vcc_lo, 1.0, v128, 1.0
	s_delay_alu instid0(VALU_DEP_1) | instskip(NEXT) | instid1(VALU_DEP_1)
	v_mul_f32_e32 v133, v132, v130
	v_fma_f32 v134, -v129, v133, v132
	s_delay_alu instid0(VALU_DEP_1) | instskip(NEXT) | instid1(VALU_DEP_1)
	v_fmac_f32_e32 v133, v134, v130
	v_fma_f32 v129, -v129, v133, v132
	s_delay_alu instid0(VALU_DEP_1) | instskip(NEXT) | instid1(VALU_DEP_1)
	v_div_fmas_f32 v129, v129, v130, v133
	v_div_fixup_f32 v130, v129, v128, 1.0
	s_delay_alu instid0(VALU_DEP_1)
	v_mul_f32_e64 v131, v131, -v130
.LBB51_106:
	s_or_b32 exec_lo, exec_lo, s1
	ds_store_b64 v159, v[130:131]
.LBB51_107:
	s_or_b32 exec_lo, exec_lo, s2
	s_wait_dscnt 0x0
	s_barrier_signal -1
	s_barrier_wait -1
	ds_load_b64 v[128:129], v159
	s_mov_b32 s1, exec_lo
	v_cmpx_lt_u32_e32 11, v158
	s_cbranch_execz .LBB51_109
; %bb.108:
	s_wait_dscnt 0x0
	v_pk_mul_f32 v[130:131], v[128:129], v[36:37] op_sel:[1,1] op_sel_hi:[0,1]
	s_delay_alu instid0(VALU_DEP_1)
	v_pk_fma_f32 v[134:135], v[128:129], v[36:37], v[130:131] op_sel_hi:[1,0,1] neg_lo:[0,0,1] neg_hi:[0,0,1]
	v_pk_fma_f32 v[136:137], v[128:129], v[36:37], v[130:131] op_sel_hi:[1,0,1]
	ds_load_2addr_b64 v[130:133], v160 offset0:12 offset1:13
	v_dual_mov_b32 v36, v134 :: v_dual_mov_b32 v37, v137
	s_wait_dscnt 0x0
	v_pk_mul_f32 v[138:139], v[130:131], v[136:137] op_sel:[0,1]
	s_delay_alu instid0(VALU_DEP_1) | instskip(SKIP_1) | instid1(VALU_DEP_1)
	v_pk_fma_f32 v[140:141], v[130:131], v[134:135], v[138:139] op_sel:[0,0,1] op_sel_hi:[1,1,0] neg_lo:[0,0,1] neg_hi:[0,0,1]
	v_pk_fma_f32 v[130:131], v[130:131], v[134:135], v[138:139] op_sel:[0,0,1] op_sel_hi:[1,0,0]
	v_mov_b32_e32 v141, v131
	v_pk_mul_f32 v[130:131], v[132:133], v[136:137] op_sel:[0,1]
	s_delay_alu instid0(VALU_DEP_1) | instskip(SKIP_1) | instid1(VALU_DEP_1)
	v_pk_fma_f32 v[138:139], v[132:133], v[134:135], v[130:131] op_sel:[0,0,1] op_sel_hi:[1,1,0] neg_lo:[0,0,1] neg_hi:[0,0,1]
	v_pk_fma_f32 v[130:131], v[132:133], v[134:135], v[130:131] op_sel:[0,0,1] op_sel_hi:[1,0,0]
	v_mov_b32_e32 v139, v131
	ds_load_2addr_b64 v[130:133], v160 offset0:14 offset1:15
	v_pk_add_f32 v[66:67], v[66:67], v[140:141] neg_lo:[0,1] neg_hi:[0,1]
	v_pk_add_f32 v[62:63], v[62:63], v[138:139] neg_lo:[0,1] neg_hi:[0,1]
	s_wait_dscnt 0x0
	v_pk_mul_f32 v[138:139], v[130:131], v[136:137] op_sel:[0,1]
	s_delay_alu instid0(VALU_DEP_1) | instskip(SKIP_2) | instid1(VALU_DEP_2)
	v_pk_fma_f32 v[140:141], v[130:131], v[134:135], v[138:139] op_sel:[0,0,1] op_sel_hi:[1,1,0] neg_lo:[0,0,1] neg_hi:[0,0,1]
	v_pk_fma_f32 v[130:131], v[130:131], v[134:135], v[138:139] op_sel:[0,0,1] op_sel_hi:[1,0,0]
	v_dual_mul_f32 v138, v133, v137 :: v_dual_mov_b32 v130, v133
	v_dual_mov_b32 v141, v131 :: v_dual_mov_b32 v131, v132
	s_delay_alu instid0(VALU_DEP_2) | instskip(SKIP_1) | instid1(VALU_DEP_3)
	v_pk_fma_f32 v[138:139], v[132:133], v[36:37], v[138:139] op_sel_hi:[1,1,0] neg_lo:[0,0,1] neg_hi:[0,0,1]
	v_mul_f32_e32 v132, v133, v134
	v_pk_add_f32 v[64:65], v[64:65], v[140:141] neg_lo:[0,1] neg_hi:[0,1]
	s_delay_alu instid0(VALU_DEP_2) | instskip(NEXT) | instid1(VALU_DEP_1)
	v_pk_fma_f32 v[130:131], v[130:131], v[36:37], v[132:133] op_sel_hi:[1,1,0]
	v_mov_b32_e32 v139, v131
	ds_load_2addr_b64 v[130:133], v160 offset0:16 offset1:17
	v_pk_add_f32 v[60:61], v[60:61], v[138:139] neg_lo:[0,1] neg_hi:[0,1]
	s_wait_dscnt 0x0
	v_pk_mul_f32 v[138:139], v[130:131], v[136:137] op_sel:[0,1]
	s_delay_alu instid0(VALU_DEP_1) | instskip(SKIP_1) | instid1(VALU_DEP_1)
	v_pk_fma_f32 v[140:141], v[130:131], v[134:135], v[138:139] op_sel:[0,0,1] op_sel_hi:[1,1,0] neg_lo:[0,0,1] neg_hi:[0,0,1]
	v_pk_fma_f32 v[130:131], v[130:131], v[134:135], v[138:139] op_sel:[0,0,1] op_sel_hi:[1,0,0]
	v_mov_b32_e32 v141, v131
	v_pk_mul_f32 v[130:131], v[132:133], v[136:137] op_sel:[0,1]
	s_delay_alu instid0(VALU_DEP_1) | instskip(SKIP_1) | instid1(VALU_DEP_1)
	v_pk_fma_f32 v[138:139], v[132:133], v[134:135], v[130:131] op_sel:[0,0,1] op_sel_hi:[1,1,0] neg_lo:[0,0,1] neg_hi:[0,0,1]
	v_pk_fma_f32 v[130:131], v[132:133], v[134:135], v[130:131] op_sel:[0,0,1] op_sel_hi:[1,0,0]
	v_mov_b32_e32 v139, v131
	ds_load_2addr_b64 v[130:133], v160 offset0:18 offset1:19
	v_pk_add_f32 v[84:85], v[84:85], v[140:141] neg_lo:[0,1] neg_hi:[0,1]
	v_pk_add_f32 v[80:81], v[80:81], v[138:139] neg_lo:[0,1] neg_hi:[0,1]
	s_wait_dscnt 0x0
	v_pk_mul_f32 v[138:139], v[130:131], v[136:137] op_sel:[0,1]
	s_delay_alu instid0(VALU_DEP_1) | instskip(SKIP_1) | instid1(VALU_DEP_1)
	v_pk_fma_f32 v[140:141], v[130:131], v[134:135], v[138:139] op_sel:[0,0,1] op_sel_hi:[1,1,0] neg_lo:[0,0,1] neg_hi:[0,0,1]
	v_pk_fma_f32 v[130:131], v[130:131], v[134:135], v[138:139] op_sel:[0,0,1] op_sel_hi:[1,0,0]
	v_mov_b32_e32 v141, v131
	v_pk_mul_f32 v[130:131], v[132:133], v[136:137] op_sel:[0,1]
	s_delay_alu instid0(VALU_DEP_1) | instskip(SKIP_1) | instid1(VALU_DEP_1)
	v_pk_fma_f32 v[138:139], v[132:133], v[134:135], v[130:131] op_sel:[0,0,1] op_sel_hi:[1,1,0] neg_lo:[0,0,1] neg_hi:[0,0,1]
	v_pk_fma_f32 v[130:131], v[132:133], v[134:135], v[130:131] op_sel:[0,0,1] op_sel_hi:[1,0,0]
	v_mov_b32_e32 v139, v131
	ds_load_2addr_b64 v[130:133], v160 offset0:20 offset1:21
	v_pk_add_f32 v[82:83], v[82:83], v[140:141] neg_lo:[0,1] neg_hi:[0,1]
	v_pk_add_f32 v[78:79], v[78:79], v[138:139] neg_lo:[0,1] neg_hi:[0,1]
	s_wait_dscnt 0x0
	v_dual_mul_f32 v138, v131, v137 :: v_dual_mul_f32 v140, v131, v134
	s_delay_alu instid0(VALU_DEP_1) | instskip(NEXT) | instid1(VALU_DEP_2)
	v_pk_fma_f32 v[138:139], v[130:131], v[36:37], v[138:139] op_sel_hi:[1,1,0] neg_lo:[0,0,1] neg_hi:[0,0,1]
	v_pk_fma_f32 v[130:131], v[130:131], v[36:37], v[140:141] op_sel:[1,0,0] op_sel_hi:[0,1,0]
	s_delay_alu instid0(VALU_DEP_1) | instskip(SKIP_1) | instid1(VALU_DEP_2)
	v_mov_b32_e32 v139, v131
	v_pk_mul_f32 v[130:131], v[132:133], v[136:137] op_sel:[0,1]
	v_pk_add_f32 v[96:97], v[96:97], v[138:139] neg_lo:[0,1] neg_hi:[0,1]
	s_delay_alu instid0(VALU_DEP_2) | instskip(SKIP_1) | instid1(VALU_DEP_1)
	v_pk_fma_f32 v[138:139], v[132:133], v[134:135], v[130:131] op_sel:[0,0,1] op_sel_hi:[1,1,0] neg_lo:[0,0,1] neg_hi:[0,0,1]
	v_pk_fma_f32 v[130:131], v[132:133], v[134:135], v[130:131] op_sel:[0,0,1] op_sel_hi:[1,0,0]
	v_mov_b32_e32 v139, v131
	ds_load_2addr_b64 v[130:133], v160 offset0:22 offset1:23
	v_pk_add_f32 v[94:95], v[94:95], v[138:139] neg_lo:[0,1] neg_hi:[0,1]
	s_wait_dscnt 0x0
	v_pk_mul_f32 v[138:139], v[130:131], v[136:137] op_sel:[0,1]
	s_delay_alu instid0(VALU_DEP_1) | instskip(SKIP_1) | instid1(VALU_DEP_1)
	v_pk_fma_f32 v[140:141], v[130:131], v[134:135], v[138:139] op_sel:[0,0,1] op_sel_hi:[1,1,0] neg_lo:[0,0,1] neg_hi:[0,0,1]
	v_pk_fma_f32 v[130:131], v[130:131], v[134:135], v[138:139] op_sel:[0,0,1] op_sel_hi:[1,0,0]
	v_mov_b32_e32 v141, v131
	v_pk_mul_f32 v[130:131], v[132:133], v[136:137] op_sel:[0,1]
	s_delay_alu instid0(VALU_DEP_2) | instskip(NEXT) | instid1(VALU_DEP_2)
	v_pk_add_f32 v[102:103], v[102:103], v[140:141] neg_lo:[0,1] neg_hi:[0,1]
	v_pk_fma_f32 v[138:139], v[132:133], v[134:135], v[130:131] op_sel:[0,0,1] op_sel_hi:[1,1,0] neg_lo:[0,0,1] neg_hi:[0,0,1]
	v_pk_fma_f32 v[130:131], v[132:133], v[134:135], v[130:131] op_sel:[0,0,1] op_sel_hi:[1,0,0]
	s_delay_alu instid0(VALU_DEP_1) | instskip(SKIP_4) | instid1(VALU_DEP_1)
	v_mov_b32_e32 v139, v131
	ds_load_2addr_b64 v[130:133], v160 offset0:24 offset1:25
	v_pk_add_f32 v[100:101], v[100:101], v[138:139] neg_lo:[0,1] neg_hi:[0,1]
	s_wait_dscnt 0x0
	v_pk_mul_f32 v[138:139], v[130:131], v[136:137] op_sel:[0,1]
	v_pk_fma_f32 v[140:141], v[130:131], v[134:135], v[138:139] op_sel:[0,0,1] op_sel_hi:[1,1,0] neg_lo:[0,0,1] neg_hi:[0,0,1]
	v_pk_fma_f32 v[130:131], v[130:131], v[134:135], v[138:139] op_sel:[0,0,1] op_sel_hi:[1,0,0]
	s_delay_alu instid0(VALU_DEP_1) | instskip(SKIP_1) | instid1(VALU_DEP_2)
	v_mov_b32_e32 v141, v131
	v_pk_mul_f32 v[130:131], v[132:133], v[136:137] op_sel:[0,1]
	v_pk_add_f32 v[98:99], v[98:99], v[140:141] neg_lo:[0,1] neg_hi:[0,1]
	s_delay_alu instid0(VALU_DEP_2) | instskip(SKIP_1) | instid1(VALU_DEP_1)
	v_pk_fma_f32 v[136:137], v[132:133], v[134:135], v[130:131] op_sel:[0,0,1] op_sel_hi:[1,1,0] neg_lo:[0,0,1] neg_hi:[0,0,1]
	v_pk_fma_f32 v[130:131], v[132:133], v[134:135], v[130:131] op_sel:[0,0,1] op_sel_hi:[1,0,0]
	v_mov_b32_e32 v137, v131
	s_delay_alu instid0(VALU_DEP_1)
	v_pk_add_f32 v[104:105], v[104:105], v[136:137] neg_lo:[0,1] neg_hi:[0,1]
.LBB51_109:
	s_or_b32 exec_lo, exec_lo, s1
	s_delay_alu instid0(SALU_CYCLE_1)
	s_mov_b32 s2, exec_lo
	s_wait_dscnt 0x0
	s_barrier_signal -1
	s_barrier_wait -1
	v_cmpx_eq_u32_e32 12, v158
	s_cbranch_execz .LBB51_116
; %bb.110:
	ds_store_b64 v159, v[66:67]
	ds_store_2addr_b64 v160, v[62:63], v[64:65] offset0:13 offset1:14
	ds_store_2addr_b64 v160, v[60:61], v[84:85] offset0:15 offset1:16
	;; [unrolled: 1-line block ×6, first 2 shown]
	ds_store_b64 v160, v[104:105] offset:200
	ds_load_b64 v[130:131], v159
	s_wait_dscnt 0x0
	v_cmp_neq_f32_e32 vcc_lo, 0, v130
	v_cmp_neq_f32_e64 s1, 0, v131
	s_or_b32 s1, vcc_lo, s1
	s_delay_alu instid0(SALU_CYCLE_1)
	s_and_b32 exec_lo, exec_lo, s1
	s_cbranch_execz .LBB51_116
; %bb.111:
	v_cmp_ngt_f32_e64 s1, |v130|, |v131|
                                        ; implicit-def: $vgpr132_vgpr133
	s_and_saveexec_b32 s4, s1
	s_delay_alu instid0(SALU_CYCLE_1)
	s_xor_b32 s1, exec_lo, s4
	s_cbranch_execz .LBB51_113
; %bb.112:
	v_div_scale_f32 v132, null, v131, v131, v130
	v_div_scale_f32 v135, vcc_lo, v130, v131, v130
	s_delay_alu instid0(VALU_DEP_2) | instskip(SKIP_1) | instid1(TRANS32_DEP_1)
	v_rcp_f32_e32 v133, v132
	v_nop
	v_fma_f32 v134, -v132, v133, 1.0
	s_delay_alu instid0(VALU_DEP_1) | instskip(NEXT) | instid1(VALU_DEP_1)
	v_fmac_f32_e32 v133, v134, v133
	v_mul_f32_e32 v134, v135, v133
	s_delay_alu instid0(VALU_DEP_1) | instskip(NEXT) | instid1(VALU_DEP_1)
	v_fma_f32 v136, -v132, v134, v135
	v_fmac_f32_e32 v134, v136, v133
	s_delay_alu instid0(VALU_DEP_1) | instskip(NEXT) | instid1(VALU_DEP_1)
	v_fma_f32 v132, -v132, v134, v135
	v_div_fmas_f32 v132, v132, v133, v134
	s_delay_alu instid0(VALU_DEP_1) | instskip(NEXT) | instid1(VALU_DEP_1)
	v_div_fixup_f32 v132, v132, v131, v130
	v_fmac_f32_e32 v131, v130, v132
	s_delay_alu instid0(VALU_DEP_1) | instskip(SKIP_1) | instid1(VALU_DEP_2)
	v_div_scale_f32 v130, null, v131, v131, 1.0
	v_div_scale_f32 v135, vcc_lo, 1.0, v131, 1.0
	v_rcp_f32_e32 v133, v130
	v_nop
	s_delay_alu instid0(TRANS32_DEP_1) | instskip(NEXT) | instid1(VALU_DEP_1)
	v_fma_f32 v134, -v130, v133, 1.0
	v_fmac_f32_e32 v133, v134, v133
	s_delay_alu instid0(VALU_DEP_1) | instskip(NEXT) | instid1(VALU_DEP_1)
	v_mul_f32_e32 v134, v135, v133
	v_fma_f32 v136, -v130, v134, v135
	s_delay_alu instid0(VALU_DEP_1) | instskip(NEXT) | instid1(VALU_DEP_1)
	v_fmac_f32_e32 v134, v136, v133
	v_fma_f32 v130, -v130, v134, v135
	s_delay_alu instid0(VALU_DEP_1) | instskip(NEXT) | instid1(VALU_DEP_1)
	v_div_fmas_f32 v130, v130, v133, v134
	v_div_fixup_f32 v130, v130, v131, 1.0
	s_delay_alu instid0(VALU_DEP_1)
	v_mul_f32_e32 v132, v132, v130
	v_xor_b32_e32 v133, 0x80000000, v130
                                        ; implicit-def: $vgpr130_vgpr131
.LBB51_113:
	s_and_not1_saveexec_b32 s1, s1
	s_cbranch_execz .LBB51_115
; %bb.114:
	v_div_scale_f32 v132, null, v130, v130, v131
	v_div_scale_f32 v135, vcc_lo, v131, v130, v131
	s_delay_alu instid0(VALU_DEP_2) | instskip(SKIP_1) | instid1(TRANS32_DEP_1)
	v_rcp_f32_e32 v133, v132
	v_nop
	v_fma_f32 v134, -v132, v133, 1.0
	s_delay_alu instid0(VALU_DEP_1) | instskip(NEXT) | instid1(VALU_DEP_1)
	v_fmac_f32_e32 v133, v134, v133
	v_mul_f32_e32 v134, v135, v133
	s_delay_alu instid0(VALU_DEP_1) | instskip(NEXT) | instid1(VALU_DEP_1)
	v_fma_f32 v136, -v132, v134, v135
	v_fmac_f32_e32 v134, v136, v133
	s_delay_alu instid0(VALU_DEP_1) | instskip(NEXT) | instid1(VALU_DEP_1)
	v_fma_f32 v132, -v132, v134, v135
	v_div_fmas_f32 v132, v132, v133, v134
	s_delay_alu instid0(VALU_DEP_1) | instskip(NEXT) | instid1(VALU_DEP_1)
	v_div_fixup_f32 v133, v132, v130, v131
	v_fmac_f32_e32 v130, v131, v133
	s_delay_alu instid0(VALU_DEP_1) | instskip(NEXT) | instid1(VALU_DEP_1)
	v_div_scale_f32 v131, null, v130, v130, 1.0
	v_rcp_f32_e32 v132, v131
	v_nop
	s_delay_alu instid0(TRANS32_DEP_1) | instskip(NEXT) | instid1(VALU_DEP_1)
	v_fma_f32 v134, -v131, v132, 1.0
	v_fmac_f32_e32 v132, v134, v132
	v_div_scale_f32 v134, vcc_lo, 1.0, v130, 1.0
	s_delay_alu instid0(VALU_DEP_1) | instskip(NEXT) | instid1(VALU_DEP_1)
	v_mul_f32_e32 v135, v134, v132
	v_fma_f32 v136, -v131, v135, v134
	s_delay_alu instid0(VALU_DEP_1) | instskip(NEXT) | instid1(VALU_DEP_1)
	v_fmac_f32_e32 v135, v136, v132
	v_fma_f32 v131, -v131, v135, v134
	s_delay_alu instid0(VALU_DEP_1) | instskip(NEXT) | instid1(VALU_DEP_1)
	v_div_fmas_f32 v131, v131, v132, v135
	v_div_fixup_f32 v132, v131, v130, 1.0
	s_delay_alu instid0(VALU_DEP_1)
	v_mul_f32_e64 v133, v133, -v132
.LBB51_115:
	s_or_b32 exec_lo, exec_lo, s1
	ds_store_b64 v159, v[132:133]
.LBB51_116:
	s_or_b32 exec_lo, exec_lo, s2
	s_wait_dscnt 0x0
	s_barrier_signal -1
	s_barrier_wait -1
	ds_load_b64 v[130:131], v159
	s_mov_b32 s1, exec_lo
	v_cmpx_lt_u32_e32 12, v158
	s_cbranch_execz .LBB51_118
; %bb.117:
	s_wait_dscnt 0x0
	v_pk_mul_f32 v[132:133], v[130:131], v[66:67] op_sel:[1,1] op_sel_hi:[0,1]
	s_delay_alu instid0(VALU_DEP_1)
	v_pk_fma_f32 v[136:137], v[130:131], v[66:67], v[132:133] op_sel_hi:[1,0,1] neg_lo:[0,0,1] neg_hi:[0,0,1]
	v_pk_fma_f32 v[138:139], v[130:131], v[66:67], v[132:133] op_sel_hi:[1,0,1]
	ds_load_2addr_b64 v[132:135], v160 offset0:13 offset1:14
	v_dual_mov_b32 v66, v136 :: v_dual_mov_b32 v67, v139
	s_wait_dscnt 0x0
	v_pk_mul_f32 v[140:141], v[132:133], v[138:139] op_sel:[0,1]
	s_delay_alu instid0(VALU_DEP_1) | instskip(SKIP_1) | instid1(VALU_DEP_1)
	v_pk_fma_f32 v[142:143], v[132:133], v[136:137], v[140:141] op_sel:[0,0,1] op_sel_hi:[1,1,0] neg_lo:[0,0,1] neg_hi:[0,0,1]
	v_pk_fma_f32 v[132:133], v[132:133], v[136:137], v[140:141] op_sel:[0,0,1] op_sel_hi:[1,0,0]
	v_mov_b32_e32 v143, v133
	v_pk_mul_f32 v[132:133], v[134:135], v[138:139] op_sel:[0,1]
	s_delay_alu instid0(VALU_DEP_1) | instskip(SKIP_1) | instid1(VALU_DEP_1)
	v_pk_fma_f32 v[140:141], v[134:135], v[136:137], v[132:133] op_sel:[0,0,1] op_sel_hi:[1,1,0] neg_lo:[0,0,1] neg_hi:[0,0,1]
	v_pk_fma_f32 v[132:133], v[134:135], v[136:137], v[132:133] op_sel:[0,0,1] op_sel_hi:[1,0,0]
	v_mov_b32_e32 v141, v133
	ds_load_2addr_b64 v[132:135], v160 offset0:15 offset1:16
	v_pk_add_f32 v[62:63], v[62:63], v[142:143] neg_lo:[0,1] neg_hi:[0,1]
	v_pk_add_f32 v[64:65], v[64:65], v[140:141] neg_lo:[0,1] neg_hi:[0,1]
	s_wait_dscnt 0x0
	v_pk_mul_f32 v[140:141], v[132:133], v[138:139] op_sel:[0,1]
	s_delay_alu instid0(VALU_DEP_1) | instskip(SKIP_2) | instid1(VALU_DEP_2)
	v_pk_fma_f32 v[142:143], v[132:133], v[136:137], v[140:141] op_sel:[0,0,1] op_sel_hi:[1,1,0] neg_lo:[0,0,1] neg_hi:[0,0,1]
	v_pk_fma_f32 v[132:133], v[132:133], v[136:137], v[140:141] op_sel:[0,0,1] op_sel_hi:[1,0,0]
	v_dual_mul_f32 v140, v135, v139 :: v_dual_mov_b32 v132, v135
	v_dual_mov_b32 v143, v133 :: v_dual_mov_b32 v133, v134
	s_delay_alu instid0(VALU_DEP_2) | instskip(SKIP_1) | instid1(VALU_DEP_3)
	v_pk_fma_f32 v[140:141], v[134:135], v[66:67], v[140:141] op_sel_hi:[1,1,0] neg_lo:[0,0,1] neg_hi:[0,0,1]
	v_mul_f32_e32 v134, v135, v136
	v_pk_add_f32 v[60:61], v[60:61], v[142:143] neg_lo:[0,1] neg_hi:[0,1]
	s_delay_alu instid0(VALU_DEP_2) | instskip(NEXT) | instid1(VALU_DEP_1)
	v_pk_fma_f32 v[132:133], v[132:133], v[66:67], v[134:135] op_sel_hi:[1,1,0]
	v_mov_b32_e32 v141, v133
	ds_load_2addr_b64 v[132:135], v160 offset0:17 offset1:18
	v_pk_add_f32 v[84:85], v[84:85], v[140:141] neg_lo:[0,1] neg_hi:[0,1]
	s_wait_dscnt 0x0
	v_pk_mul_f32 v[140:141], v[132:133], v[138:139] op_sel:[0,1]
	s_delay_alu instid0(VALU_DEP_1) | instskip(SKIP_1) | instid1(VALU_DEP_1)
	v_pk_fma_f32 v[142:143], v[132:133], v[136:137], v[140:141] op_sel:[0,0,1] op_sel_hi:[1,1,0] neg_lo:[0,0,1] neg_hi:[0,0,1]
	v_pk_fma_f32 v[132:133], v[132:133], v[136:137], v[140:141] op_sel:[0,0,1] op_sel_hi:[1,0,0]
	v_mov_b32_e32 v143, v133
	v_pk_mul_f32 v[132:133], v[134:135], v[138:139] op_sel:[0,1]
	s_delay_alu instid0(VALU_DEP_1) | instskip(SKIP_1) | instid1(VALU_DEP_1)
	v_pk_fma_f32 v[140:141], v[134:135], v[136:137], v[132:133] op_sel:[0,0,1] op_sel_hi:[1,1,0] neg_lo:[0,0,1] neg_hi:[0,0,1]
	v_pk_fma_f32 v[132:133], v[134:135], v[136:137], v[132:133] op_sel:[0,0,1] op_sel_hi:[1,0,0]
	v_mov_b32_e32 v141, v133
	ds_load_2addr_b64 v[132:135], v160 offset0:19 offset1:20
	v_pk_add_f32 v[80:81], v[80:81], v[142:143] neg_lo:[0,1] neg_hi:[0,1]
	v_pk_add_f32 v[82:83], v[82:83], v[140:141] neg_lo:[0,1] neg_hi:[0,1]
	s_wait_dscnt 0x0
	v_pk_mul_f32 v[140:141], v[132:133], v[138:139] op_sel:[0,1]
	s_delay_alu instid0(VALU_DEP_1) | instskip(SKIP_1) | instid1(VALU_DEP_1)
	v_pk_fma_f32 v[142:143], v[132:133], v[136:137], v[140:141] op_sel:[0,0,1] op_sel_hi:[1,1,0] neg_lo:[0,0,1] neg_hi:[0,0,1]
	v_pk_fma_f32 v[132:133], v[132:133], v[136:137], v[140:141] op_sel:[0,0,1] op_sel_hi:[1,0,0]
	v_mov_b32_e32 v143, v133
	v_pk_mul_f32 v[132:133], v[134:135], v[138:139] op_sel:[0,1]
	s_delay_alu instid0(VALU_DEP_1) | instskip(SKIP_1) | instid1(VALU_DEP_1)
	v_pk_fma_f32 v[140:141], v[134:135], v[136:137], v[132:133] op_sel:[0,0,1] op_sel_hi:[1,1,0] neg_lo:[0,0,1] neg_hi:[0,0,1]
	v_pk_fma_f32 v[132:133], v[134:135], v[136:137], v[132:133] op_sel:[0,0,1] op_sel_hi:[1,0,0]
	v_mov_b32_e32 v141, v133
	ds_load_2addr_b64 v[132:135], v160 offset0:21 offset1:22
	v_pk_add_f32 v[78:79], v[78:79], v[142:143] neg_lo:[0,1] neg_hi:[0,1]
	v_pk_add_f32 v[96:97], v[96:97], v[140:141] neg_lo:[0,1] neg_hi:[0,1]
	s_wait_dscnt 0x0
	v_dual_mul_f32 v140, v133, v139 :: v_dual_mul_f32 v142, v133, v136
	s_delay_alu instid0(VALU_DEP_1) | instskip(NEXT) | instid1(VALU_DEP_2)
	v_pk_fma_f32 v[140:141], v[132:133], v[66:67], v[140:141] op_sel_hi:[1,1,0] neg_lo:[0,0,1] neg_hi:[0,0,1]
	v_pk_fma_f32 v[132:133], v[132:133], v[66:67], v[142:143] op_sel:[1,0,0] op_sel_hi:[0,1,0]
	s_delay_alu instid0(VALU_DEP_1) | instskip(SKIP_1) | instid1(VALU_DEP_2)
	v_mov_b32_e32 v141, v133
	v_pk_mul_f32 v[132:133], v[134:135], v[138:139] op_sel:[0,1]
	v_pk_add_f32 v[94:95], v[94:95], v[140:141] neg_lo:[0,1] neg_hi:[0,1]
	s_delay_alu instid0(VALU_DEP_2) | instskip(SKIP_1) | instid1(VALU_DEP_1)
	v_pk_fma_f32 v[140:141], v[134:135], v[136:137], v[132:133] op_sel:[0,0,1] op_sel_hi:[1,1,0] neg_lo:[0,0,1] neg_hi:[0,0,1]
	v_pk_fma_f32 v[132:133], v[134:135], v[136:137], v[132:133] op_sel:[0,0,1] op_sel_hi:[1,0,0]
	v_mov_b32_e32 v141, v133
	ds_load_2addr_b64 v[132:135], v160 offset0:23 offset1:24
	v_pk_add_f32 v[102:103], v[102:103], v[140:141] neg_lo:[0,1] neg_hi:[0,1]
	s_wait_dscnt 0x0
	v_pk_mul_f32 v[140:141], v[132:133], v[138:139] op_sel:[0,1]
	s_delay_alu instid0(VALU_DEP_1) | instskip(SKIP_1) | instid1(VALU_DEP_1)
	v_pk_fma_f32 v[142:143], v[132:133], v[136:137], v[140:141] op_sel:[0,0,1] op_sel_hi:[1,1,0] neg_lo:[0,0,1] neg_hi:[0,0,1]
	v_pk_fma_f32 v[132:133], v[132:133], v[136:137], v[140:141] op_sel:[0,0,1] op_sel_hi:[1,0,0]
	v_mov_b32_e32 v143, v133
	v_pk_mul_f32 v[132:133], v[134:135], v[138:139] op_sel:[0,1]
	s_delay_alu instid0(VALU_DEP_2) | instskip(NEXT) | instid1(VALU_DEP_2)
	v_pk_add_f32 v[100:101], v[100:101], v[142:143] neg_lo:[0,1] neg_hi:[0,1]
	v_pk_fma_f32 v[140:141], v[134:135], v[136:137], v[132:133] op_sel:[0,0,1] op_sel_hi:[1,1,0] neg_lo:[0,0,1] neg_hi:[0,0,1]
	v_pk_fma_f32 v[132:133], v[134:135], v[136:137], v[132:133] op_sel:[0,0,1] op_sel_hi:[1,0,0]
	s_delay_alu instid0(VALU_DEP_1) | instskip(SKIP_4) | instid1(VALU_DEP_1)
	v_mov_b32_e32 v141, v133
	ds_load_b64 v[132:133], v160 offset:200
	v_pk_add_f32 v[98:99], v[98:99], v[140:141] neg_lo:[0,1] neg_hi:[0,1]
	s_wait_dscnt 0x0
	v_pk_mul_f32 v[134:135], v[132:133], v[138:139] op_sel:[0,1]
	v_pk_fma_f32 v[138:139], v[132:133], v[136:137], v[134:135] op_sel:[0,0,1] op_sel_hi:[1,1,0] neg_lo:[0,0,1] neg_hi:[0,0,1]
	v_pk_fma_f32 v[132:133], v[132:133], v[136:137], v[134:135] op_sel:[0,0,1] op_sel_hi:[1,0,0]
	s_delay_alu instid0(VALU_DEP_1) | instskip(NEXT) | instid1(VALU_DEP_1)
	v_mov_b32_e32 v139, v133
	v_pk_add_f32 v[104:105], v[104:105], v[138:139] neg_lo:[0,1] neg_hi:[0,1]
.LBB51_118:
	s_or_b32 exec_lo, exec_lo, s1
	s_delay_alu instid0(SALU_CYCLE_1)
	s_mov_b32 s2, exec_lo
	s_wait_dscnt 0x0
	s_barrier_signal -1
	s_barrier_wait -1
	v_cmpx_eq_u32_e32 13, v158
	s_cbranch_execz .LBB51_125
; %bb.119:
	v_dual_mov_b32 v132, v64 :: v_dual_mov_b32 v133, v65
	v_dual_mov_b32 v134, v60 :: v_dual_mov_b32 v135, v61
	;; [unrolled: 1-line block ×10, first 2 shown]
	ds_store_b64 v159, v[62:63]
	v_dual_mov_b32 v152, v98 :: v_dual_mov_b32 v153, v99
	ds_store_2addr_b64 v160, v[132:133], v[134:135] offset0:14 offset1:15
	ds_store_2addr_b64 v160, v[136:137], v[138:139] offset0:16 offset1:17
	;; [unrolled: 1-line block ×6, first 2 shown]
	ds_load_b64 v[132:133], v159
	s_wait_dscnt 0x0
	v_cmp_neq_f32_e32 vcc_lo, 0, v132
	v_cmp_neq_f32_e64 s1, 0, v133
	s_or_b32 s1, vcc_lo, s1
	s_delay_alu instid0(SALU_CYCLE_1)
	s_and_b32 exec_lo, exec_lo, s1
	s_cbranch_execz .LBB51_125
; %bb.120:
	v_cmp_ngt_f32_e64 s1, |v132|, |v133|
                                        ; implicit-def: $vgpr134_vgpr135
	s_and_saveexec_b32 s4, s1
	s_delay_alu instid0(SALU_CYCLE_1)
	s_xor_b32 s1, exec_lo, s4
	s_cbranch_execz .LBB51_122
; %bb.121:
	v_div_scale_f32 v134, null, v133, v133, v132
	v_div_scale_f32 v137, vcc_lo, v132, v133, v132
	s_delay_alu instid0(VALU_DEP_2) | instskip(SKIP_1) | instid1(TRANS32_DEP_1)
	v_rcp_f32_e32 v135, v134
	v_nop
	v_fma_f32 v136, -v134, v135, 1.0
	s_delay_alu instid0(VALU_DEP_1) | instskip(NEXT) | instid1(VALU_DEP_1)
	v_fmac_f32_e32 v135, v136, v135
	v_mul_f32_e32 v136, v137, v135
	s_delay_alu instid0(VALU_DEP_1) | instskip(NEXT) | instid1(VALU_DEP_1)
	v_fma_f32 v138, -v134, v136, v137
	v_fmac_f32_e32 v136, v138, v135
	s_delay_alu instid0(VALU_DEP_1) | instskip(NEXT) | instid1(VALU_DEP_1)
	v_fma_f32 v134, -v134, v136, v137
	v_div_fmas_f32 v134, v134, v135, v136
	s_delay_alu instid0(VALU_DEP_1) | instskip(NEXT) | instid1(VALU_DEP_1)
	v_div_fixup_f32 v134, v134, v133, v132
	v_fmac_f32_e32 v133, v132, v134
	s_delay_alu instid0(VALU_DEP_1) | instskip(SKIP_1) | instid1(VALU_DEP_2)
	v_div_scale_f32 v132, null, v133, v133, 1.0
	v_div_scale_f32 v137, vcc_lo, 1.0, v133, 1.0
	v_rcp_f32_e32 v135, v132
	v_nop
	s_delay_alu instid0(TRANS32_DEP_1) | instskip(NEXT) | instid1(VALU_DEP_1)
	v_fma_f32 v136, -v132, v135, 1.0
	v_fmac_f32_e32 v135, v136, v135
	s_delay_alu instid0(VALU_DEP_1) | instskip(NEXT) | instid1(VALU_DEP_1)
	v_mul_f32_e32 v136, v137, v135
	v_fma_f32 v138, -v132, v136, v137
	s_delay_alu instid0(VALU_DEP_1) | instskip(NEXT) | instid1(VALU_DEP_1)
	v_fmac_f32_e32 v136, v138, v135
	v_fma_f32 v132, -v132, v136, v137
	s_delay_alu instid0(VALU_DEP_1) | instskip(NEXT) | instid1(VALU_DEP_1)
	v_div_fmas_f32 v132, v132, v135, v136
	v_div_fixup_f32 v132, v132, v133, 1.0
	s_delay_alu instid0(VALU_DEP_1)
	v_mul_f32_e32 v134, v134, v132
	v_xor_b32_e32 v135, 0x80000000, v132
                                        ; implicit-def: $vgpr132_vgpr133
.LBB51_122:
	s_and_not1_saveexec_b32 s1, s1
	s_cbranch_execz .LBB51_124
; %bb.123:
	v_div_scale_f32 v134, null, v132, v132, v133
	v_div_scale_f32 v137, vcc_lo, v133, v132, v133
	s_delay_alu instid0(VALU_DEP_2) | instskip(SKIP_1) | instid1(TRANS32_DEP_1)
	v_rcp_f32_e32 v135, v134
	v_nop
	v_fma_f32 v136, -v134, v135, 1.0
	s_delay_alu instid0(VALU_DEP_1) | instskip(NEXT) | instid1(VALU_DEP_1)
	v_fmac_f32_e32 v135, v136, v135
	v_mul_f32_e32 v136, v137, v135
	s_delay_alu instid0(VALU_DEP_1) | instskip(NEXT) | instid1(VALU_DEP_1)
	v_fma_f32 v138, -v134, v136, v137
	v_fmac_f32_e32 v136, v138, v135
	s_delay_alu instid0(VALU_DEP_1) | instskip(NEXT) | instid1(VALU_DEP_1)
	v_fma_f32 v134, -v134, v136, v137
	v_div_fmas_f32 v134, v134, v135, v136
	s_delay_alu instid0(VALU_DEP_1) | instskip(NEXT) | instid1(VALU_DEP_1)
	v_div_fixup_f32 v135, v134, v132, v133
	v_fmac_f32_e32 v132, v133, v135
	s_delay_alu instid0(VALU_DEP_1) | instskip(NEXT) | instid1(VALU_DEP_1)
	v_div_scale_f32 v133, null, v132, v132, 1.0
	v_rcp_f32_e32 v134, v133
	v_nop
	s_delay_alu instid0(TRANS32_DEP_1) | instskip(NEXT) | instid1(VALU_DEP_1)
	v_fma_f32 v136, -v133, v134, 1.0
	v_fmac_f32_e32 v134, v136, v134
	v_div_scale_f32 v136, vcc_lo, 1.0, v132, 1.0
	s_delay_alu instid0(VALU_DEP_1) | instskip(NEXT) | instid1(VALU_DEP_1)
	v_mul_f32_e32 v137, v136, v134
	v_fma_f32 v138, -v133, v137, v136
	s_delay_alu instid0(VALU_DEP_1) | instskip(NEXT) | instid1(VALU_DEP_1)
	v_fmac_f32_e32 v137, v138, v134
	v_fma_f32 v133, -v133, v137, v136
	s_delay_alu instid0(VALU_DEP_1) | instskip(NEXT) | instid1(VALU_DEP_1)
	v_div_fmas_f32 v133, v133, v134, v137
	v_div_fixup_f32 v134, v133, v132, 1.0
	s_delay_alu instid0(VALU_DEP_1)
	v_mul_f32_e64 v135, v135, -v134
.LBB51_124:
	s_or_b32 exec_lo, exec_lo, s1
	ds_store_b64 v159, v[134:135]
.LBB51_125:
	s_or_b32 exec_lo, exec_lo, s2
	s_wait_dscnt 0x0
	s_barrier_signal -1
	s_barrier_wait -1
	ds_load_b64 v[132:133], v159
	s_mov_b32 s1, exec_lo
	v_cmpx_lt_u32_e32 13, v158
	s_cbranch_execz .LBB51_127
; %bb.126:
	s_wait_dscnt 0x0
	v_pk_mul_f32 v[134:135], v[132:133], v[62:63] op_sel:[1,1] op_sel_hi:[0,1]
	s_delay_alu instid0(VALU_DEP_1)
	v_pk_fma_f32 v[138:139], v[132:133], v[62:63], v[134:135] op_sel_hi:[1,0,1] neg_lo:[0,0,1] neg_hi:[0,0,1]
	v_pk_fma_f32 v[140:141], v[132:133], v[62:63], v[134:135] op_sel_hi:[1,0,1]
	ds_load_2addr_b64 v[134:137], v160 offset0:14 offset1:15
	v_dual_mov_b32 v62, v138 :: v_dual_mov_b32 v63, v141
	s_wait_dscnt 0x0
	v_pk_mul_f32 v[142:143], v[134:135], v[140:141] op_sel:[0,1]
	s_delay_alu instid0(VALU_DEP_1) | instskip(SKIP_1) | instid1(VALU_DEP_1)
	v_pk_fma_f32 v[144:145], v[134:135], v[138:139], v[142:143] op_sel:[0,0,1] op_sel_hi:[1,1,0] neg_lo:[0,0,1] neg_hi:[0,0,1]
	v_pk_fma_f32 v[134:135], v[134:135], v[138:139], v[142:143] op_sel:[0,0,1] op_sel_hi:[1,0,0]
	v_mov_b32_e32 v145, v135
	v_pk_mul_f32 v[134:135], v[136:137], v[140:141] op_sel:[0,1]
	s_delay_alu instid0(VALU_DEP_1) | instskip(SKIP_1) | instid1(VALU_DEP_1)
	v_pk_fma_f32 v[142:143], v[136:137], v[138:139], v[134:135] op_sel:[0,0,1] op_sel_hi:[1,1,0] neg_lo:[0,0,1] neg_hi:[0,0,1]
	v_pk_fma_f32 v[134:135], v[136:137], v[138:139], v[134:135] op_sel:[0,0,1] op_sel_hi:[1,0,0]
	v_mov_b32_e32 v143, v135
	ds_load_2addr_b64 v[134:137], v160 offset0:16 offset1:17
	v_pk_add_f32 v[64:65], v[64:65], v[144:145] neg_lo:[0,1] neg_hi:[0,1]
	v_pk_add_f32 v[60:61], v[60:61], v[142:143] neg_lo:[0,1] neg_hi:[0,1]
	s_wait_dscnt 0x0
	v_pk_mul_f32 v[142:143], v[134:135], v[140:141] op_sel:[0,1]
	s_delay_alu instid0(VALU_DEP_1) | instskip(SKIP_2) | instid1(VALU_DEP_2)
	v_pk_fma_f32 v[144:145], v[134:135], v[138:139], v[142:143] op_sel:[0,0,1] op_sel_hi:[1,1,0] neg_lo:[0,0,1] neg_hi:[0,0,1]
	v_pk_fma_f32 v[134:135], v[134:135], v[138:139], v[142:143] op_sel:[0,0,1] op_sel_hi:[1,0,0]
	v_dual_mul_f32 v142, v137, v141 :: v_dual_mov_b32 v134, v137
	v_dual_mov_b32 v145, v135 :: v_dual_mov_b32 v135, v136
	s_delay_alu instid0(VALU_DEP_2) | instskip(SKIP_1) | instid1(VALU_DEP_3)
	v_pk_fma_f32 v[142:143], v[136:137], v[62:63], v[142:143] op_sel_hi:[1,1,0] neg_lo:[0,0,1] neg_hi:[0,0,1]
	v_mul_f32_e32 v136, v137, v138
	v_pk_add_f32 v[84:85], v[84:85], v[144:145] neg_lo:[0,1] neg_hi:[0,1]
	s_delay_alu instid0(VALU_DEP_2) | instskip(NEXT) | instid1(VALU_DEP_1)
	v_pk_fma_f32 v[134:135], v[134:135], v[62:63], v[136:137] op_sel_hi:[1,1,0]
	v_mov_b32_e32 v143, v135
	ds_load_2addr_b64 v[134:137], v160 offset0:18 offset1:19
	v_pk_add_f32 v[80:81], v[80:81], v[142:143] neg_lo:[0,1] neg_hi:[0,1]
	s_wait_dscnt 0x0
	v_pk_mul_f32 v[142:143], v[134:135], v[140:141] op_sel:[0,1]
	s_delay_alu instid0(VALU_DEP_1) | instskip(SKIP_1) | instid1(VALU_DEP_1)
	v_pk_fma_f32 v[144:145], v[134:135], v[138:139], v[142:143] op_sel:[0,0,1] op_sel_hi:[1,1,0] neg_lo:[0,0,1] neg_hi:[0,0,1]
	v_pk_fma_f32 v[134:135], v[134:135], v[138:139], v[142:143] op_sel:[0,0,1] op_sel_hi:[1,0,0]
	v_mov_b32_e32 v145, v135
	v_pk_mul_f32 v[134:135], v[136:137], v[140:141] op_sel:[0,1]
	s_delay_alu instid0(VALU_DEP_1) | instskip(SKIP_1) | instid1(VALU_DEP_1)
	v_pk_fma_f32 v[142:143], v[136:137], v[138:139], v[134:135] op_sel:[0,0,1] op_sel_hi:[1,1,0] neg_lo:[0,0,1] neg_hi:[0,0,1]
	v_pk_fma_f32 v[134:135], v[136:137], v[138:139], v[134:135] op_sel:[0,0,1] op_sel_hi:[1,0,0]
	v_mov_b32_e32 v143, v135
	ds_load_2addr_b64 v[134:137], v160 offset0:20 offset1:21
	v_pk_add_f32 v[82:83], v[82:83], v[144:145] neg_lo:[0,1] neg_hi:[0,1]
	v_pk_add_f32 v[78:79], v[78:79], v[142:143] neg_lo:[0,1] neg_hi:[0,1]
	s_wait_dscnt 0x0
	v_pk_mul_f32 v[142:143], v[134:135], v[140:141] op_sel:[0,1]
	s_delay_alu instid0(VALU_DEP_1) | instskip(SKIP_1) | instid1(VALU_DEP_1)
	v_pk_fma_f32 v[144:145], v[134:135], v[138:139], v[142:143] op_sel:[0,0,1] op_sel_hi:[1,1,0] neg_lo:[0,0,1] neg_hi:[0,0,1]
	v_pk_fma_f32 v[134:135], v[134:135], v[138:139], v[142:143] op_sel:[0,0,1] op_sel_hi:[1,0,0]
	v_mov_b32_e32 v145, v135
	v_pk_mul_f32 v[134:135], v[136:137], v[140:141] op_sel:[0,1]
	s_delay_alu instid0(VALU_DEP_1) | instskip(SKIP_1) | instid1(VALU_DEP_1)
	v_pk_fma_f32 v[142:143], v[136:137], v[138:139], v[134:135] op_sel:[0,0,1] op_sel_hi:[1,1,0] neg_lo:[0,0,1] neg_hi:[0,0,1]
	v_pk_fma_f32 v[134:135], v[136:137], v[138:139], v[134:135] op_sel:[0,0,1] op_sel_hi:[1,0,0]
	v_mov_b32_e32 v143, v135
	ds_load_2addr_b64 v[134:137], v160 offset0:22 offset1:23
	v_pk_add_f32 v[96:97], v[96:97], v[144:145] neg_lo:[0,1] neg_hi:[0,1]
	v_pk_add_f32 v[94:95], v[94:95], v[142:143] neg_lo:[0,1] neg_hi:[0,1]
	s_wait_dscnt 0x0
	v_dual_mul_f32 v142, v135, v141 :: v_dual_mul_f32 v144, v135, v138
	s_delay_alu instid0(VALU_DEP_1) | instskip(NEXT) | instid1(VALU_DEP_2)
	v_pk_fma_f32 v[142:143], v[134:135], v[62:63], v[142:143] op_sel_hi:[1,1,0] neg_lo:[0,0,1] neg_hi:[0,0,1]
	v_pk_fma_f32 v[134:135], v[134:135], v[62:63], v[144:145] op_sel:[1,0,0] op_sel_hi:[0,1,0]
	s_delay_alu instid0(VALU_DEP_1) | instskip(SKIP_1) | instid1(VALU_DEP_2)
	v_mov_b32_e32 v143, v135
	v_pk_mul_f32 v[134:135], v[136:137], v[140:141] op_sel:[0,1]
	v_pk_add_f32 v[102:103], v[102:103], v[142:143] neg_lo:[0,1] neg_hi:[0,1]
	s_delay_alu instid0(VALU_DEP_2) | instskip(SKIP_1) | instid1(VALU_DEP_1)
	v_pk_fma_f32 v[142:143], v[136:137], v[138:139], v[134:135] op_sel:[0,0,1] op_sel_hi:[1,1,0] neg_lo:[0,0,1] neg_hi:[0,0,1]
	v_pk_fma_f32 v[134:135], v[136:137], v[138:139], v[134:135] op_sel:[0,0,1] op_sel_hi:[1,0,0]
	v_mov_b32_e32 v143, v135
	ds_load_2addr_b64 v[134:137], v160 offset0:24 offset1:25
	v_pk_add_f32 v[100:101], v[100:101], v[142:143] neg_lo:[0,1] neg_hi:[0,1]
	s_wait_dscnt 0x0
	v_pk_mul_f32 v[142:143], v[134:135], v[140:141] op_sel:[0,1]
	v_mul_f32_e32 v140, v137, v141
	s_delay_alu instid0(VALU_DEP_2) | instskip(SKIP_2) | instid1(VALU_DEP_4)
	v_pk_fma_f32 v[144:145], v[134:135], v[138:139], v[142:143] op_sel:[0,0,1] op_sel_hi:[1,1,0] neg_lo:[0,0,1] neg_hi:[0,0,1]
	v_pk_fma_f32 v[134:135], v[134:135], v[138:139], v[142:143] op_sel:[0,0,1] op_sel_hi:[1,0,0]
	v_mov_b32_e32 v134, v137
	v_pk_fma_f32 v[140:141], v[136:137], v[62:63], v[140:141] op_sel_hi:[1,1,0] neg_lo:[0,0,1] neg_hi:[0,0,1]
	s_delay_alu instid0(VALU_DEP_3) | instskip(SKIP_1) | instid1(VALU_DEP_2)
	v_dual_mov_b32 v145, v135 :: v_dual_mov_b32 v135, v136
	v_mul_f32_e32 v136, v137, v138
	v_pk_add_f32 v[98:99], v[98:99], v[144:145] neg_lo:[0,1] neg_hi:[0,1]
	s_delay_alu instid0(VALU_DEP_2) | instskip(NEXT) | instid1(VALU_DEP_1)
	v_pk_fma_f32 v[134:135], v[134:135], v[62:63], v[136:137] op_sel_hi:[1,1,0]
	v_mov_b32_e32 v141, v135
	s_delay_alu instid0(VALU_DEP_1)
	v_pk_add_f32 v[104:105], v[104:105], v[140:141] neg_lo:[0,1] neg_hi:[0,1]
.LBB51_127:
	s_or_b32 exec_lo, exec_lo, s1
	s_delay_alu instid0(SALU_CYCLE_1)
	s_mov_b32 s2, exec_lo
	s_wait_dscnt 0x0
	s_barrier_signal -1
	s_barrier_wait -1
	v_cmpx_eq_u32_e32 14, v158
	s_cbranch_execz .LBB51_134
; %bb.128:
	ds_store_b64 v159, v[64:65]
	ds_store_2addr_b64 v160, v[60:61], v[84:85] offset0:15 offset1:16
	ds_store_2addr_b64 v160, v[80:81], v[82:83] offset0:17 offset1:18
	;; [unrolled: 1-line block ×5, first 2 shown]
	ds_store_b64 v160, v[104:105] offset:200
	ds_load_b64 v[134:135], v159
	s_wait_dscnt 0x0
	v_cmp_neq_f32_e32 vcc_lo, 0, v134
	v_cmp_neq_f32_e64 s1, 0, v135
	s_or_b32 s1, vcc_lo, s1
	s_delay_alu instid0(SALU_CYCLE_1)
	s_and_b32 exec_lo, exec_lo, s1
	s_cbranch_execz .LBB51_134
; %bb.129:
	v_cmp_ngt_f32_e64 s1, |v134|, |v135|
                                        ; implicit-def: $vgpr136_vgpr137
	s_and_saveexec_b32 s4, s1
	s_delay_alu instid0(SALU_CYCLE_1)
	s_xor_b32 s1, exec_lo, s4
	s_cbranch_execz .LBB51_131
; %bb.130:
	v_div_scale_f32 v136, null, v135, v135, v134
	v_div_scale_f32 v139, vcc_lo, v134, v135, v134
	s_delay_alu instid0(VALU_DEP_2) | instskip(SKIP_1) | instid1(TRANS32_DEP_1)
	v_rcp_f32_e32 v137, v136
	v_nop
	v_fma_f32 v138, -v136, v137, 1.0
	s_delay_alu instid0(VALU_DEP_1) | instskip(NEXT) | instid1(VALU_DEP_1)
	v_fmac_f32_e32 v137, v138, v137
	v_mul_f32_e32 v138, v139, v137
	s_delay_alu instid0(VALU_DEP_1) | instskip(NEXT) | instid1(VALU_DEP_1)
	v_fma_f32 v140, -v136, v138, v139
	v_fmac_f32_e32 v138, v140, v137
	s_delay_alu instid0(VALU_DEP_1) | instskip(NEXT) | instid1(VALU_DEP_1)
	v_fma_f32 v136, -v136, v138, v139
	v_div_fmas_f32 v136, v136, v137, v138
	s_delay_alu instid0(VALU_DEP_1) | instskip(NEXT) | instid1(VALU_DEP_1)
	v_div_fixup_f32 v136, v136, v135, v134
	v_fmac_f32_e32 v135, v134, v136
	s_delay_alu instid0(VALU_DEP_1) | instskip(SKIP_1) | instid1(VALU_DEP_2)
	v_div_scale_f32 v134, null, v135, v135, 1.0
	v_div_scale_f32 v139, vcc_lo, 1.0, v135, 1.0
	v_rcp_f32_e32 v137, v134
	v_nop
	s_delay_alu instid0(TRANS32_DEP_1) | instskip(NEXT) | instid1(VALU_DEP_1)
	v_fma_f32 v138, -v134, v137, 1.0
	v_fmac_f32_e32 v137, v138, v137
	s_delay_alu instid0(VALU_DEP_1) | instskip(NEXT) | instid1(VALU_DEP_1)
	v_mul_f32_e32 v138, v139, v137
	v_fma_f32 v140, -v134, v138, v139
	s_delay_alu instid0(VALU_DEP_1) | instskip(NEXT) | instid1(VALU_DEP_1)
	v_fmac_f32_e32 v138, v140, v137
	v_fma_f32 v134, -v134, v138, v139
	s_delay_alu instid0(VALU_DEP_1) | instskip(NEXT) | instid1(VALU_DEP_1)
	v_div_fmas_f32 v134, v134, v137, v138
	v_div_fixup_f32 v134, v134, v135, 1.0
	s_delay_alu instid0(VALU_DEP_1)
	v_mul_f32_e32 v136, v136, v134
	v_xor_b32_e32 v137, 0x80000000, v134
                                        ; implicit-def: $vgpr134_vgpr135
.LBB51_131:
	s_and_not1_saveexec_b32 s1, s1
	s_cbranch_execz .LBB51_133
; %bb.132:
	v_div_scale_f32 v136, null, v134, v134, v135
	v_div_scale_f32 v139, vcc_lo, v135, v134, v135
	s_delay_alu instid0(VALU_DEP_2) | instskip(SKIP_1) | instid1(TRANS32_DEP_1)
	v_rcp_f32_e32 v137, v136
	v_nop
	v_fma_f32 v138, -v136, v137, 1.0
	s_delay_alu instid0(VALU_DEP_1) | instskip(NEXT) | instid1(VALU_DEP_1)
	v_fmac_f32_e32 v137, v138, v137
	v_mul_f32_e32 v138, v139, v137
	s_delay_alu instid0(VALU_DEP_1) | instskip(NEXT) | instid1(VALU_DEP_1)
	v_fma_f32 v140, -v136, v138, v139
	v_fmac_f32_e32 v138, v140, v137
	s_delay_alu instid0(VALU_DEP_1) | instskip(NEXT) | instid1(VALU_DEP_1)
	v_fma_f32 v136, -v136, v138, v139
	v_div_fmas_f32 v136, v136, v137, v138
	s_delay_alu instid0(VALU_DEP_1) | instskip(NEXT) | instid1(VALU_DEP_1)
	v_div_fixup_f32 v137, v136, v134, v135
	v_fmac_f32_e32 v134, v135, v137
	s_delay_alu instid0(VALU_DEP_1) | instskip(NEXT) | instid1(VALU_DEP_1)
	v_div_scale_f32 v135, null, v134, v134, 1.0
	v_rcp_f32_e32 v136, v135
	v_nop
	s_delay_alu instid0(TRANS32_DEP_1) | instskip(NEXT) | instid1(VALU_DEP_1)
	v_fma_f32 v138, -v135, v136, 1.0
	v_fmac_f32_e32 v136, v138, v136
	v_div_scale_f32 v138, vcc_lo, 1.0, v134, 1.0
	s_delay_alu instid0(VALU_DEP_1) | instskip(NEXT) | instid1(VALU_DEP_1)
	v_mul_f32_e32 v139, v138, v136
	v_fma_f32 v140, -v135, v139, v138
	s_delay_alu instid0(VALU_DEP_1) | instskip(NEXT) | instid1(VALU_DEP_1)
	v_fmac_f32_e32 v139, v140, v136
	v_fma_f32 v135, -v135, v139, v138
	s_delay_alu instid0(VALU_DEP_1) | instskip(NEXT) | instid1(VALU_DEP_1)
	v_div_fmas_f32 v135, v135, v136, v139
	v_div_fixup_f32 v136, v135, v134, 1.0
	s_delay_alu instid0(VALU_DEP_1)
	v_mul_f32_e64 v137, v137, -v136
.LBB51_133:
	s_or_b32 exec_lo, exec_lo, s1
	ds_store_b64 v159, v[136:137]
.LBB51_134:
	s_or_b32 exec_lo, exec_lo, s2
	s_wait_dscnt 0x0
	s_barrier_signal -1
	s_barrier_wait -1
	ds_load_b64 v[134:135], v159
	s_mov_b32 s1, exec_lo
	v_cmpx_lt_u32_e32 14, v158
	s_cbranch_execz .LBB51_136
; %bb.135:
	s_wait_dscnt 0x0
	v_pk_mul_f32 v[136:137], v[134:135], v[64:65] op_sel:[1,1] op_sel_hi:[0,1]
	s_delay_alu instid0(VALU_DEP_1)
	v_pk_fma_f32 v[140:141], v[134:135], v[64:65], v[136:137] op_sel_hi:[1,0,1] neg_lo:[0,0,1] neg_hi:[0,0,1]
	v_pk_fma_f32 v[142:143], v[134:135], v[64:65], v[136:137] op_sel_hi:[1,0,1]
	ds_load_2addr_b64 v[136:139], v160 offset0:15 offset1:16
	v_dual_mov_b32 v64, v140 :: v_dual_mov_b32 v65, v143
	s_wait_dscnt 0x0
	v_pk_mul_f32 v[144:145], v[136:137], v[142:143] op_sel:[0,1]
	s_delay_alu instid0(VALU_DEP_1) | instskip(SKIP_1) | instid1(VALU_DEP_1)
	v_pk_fma_f32 v[146:147], v[136:137], v[140:141], v[144:145] op_sel:[0,0,1] op_sel_hi:[1,1,0] neg_lo:[0,0,1] neg_hi:[0,0,1]
	v_pk_fma_f32 v[136:137], v[136:137], v[140:141], v[144:145] op_sel:[0,0,1] op_sel_hi:[1,0,0]
	v_mov_b32_e32 v147, v137
	v_pk_mul_f32 v[136:137], v[138:139], v[142:143] op_sel:[0,1]
	s_delay_alu instid0(VALU_DEP_1) | instskip(SKIP_1) | instid1(VALU_DEP_1)
	v_pk_fma_f32 v[144:145], v[138:139], v[140:141], v[136:137] op_sel:[0,0,1] op_sel_hi:[1,1,0] neg_lo:[0,0,1] neg_hi:[0,0,1]
	v_pk_fma_f32 v[136:137], v[138:139], v[140:141], v[136:137] op_sel:[0,0,1] op_sel_hi:[1,0,0]
	v_mov_b32_e32 v145, v137
	ds_load_2addr_b64 v[136:139], v160 offset0:17 offset1:18
	v_pk_add_f32 v[60:61], v[60:61], v[146:147] neg_lo:[0,1] neg_hi:[0,1]
	v_pk_add_f32 v[84:85], v[84:85], v[144:145] neg_lo:[0,1] neg_hi:[0,1]
	s_wait_dscnt 0x0
	v_pk_mul_f32 v[144:145], v[136:137], v[142:143] op_sel:[0,1]
	s_delay_alu instid0(VALU_DEP_1) | instskip(SKIP_2) | instid1(VALU_DEP_2)
	v_pk_fma_f32 v[146:147], v[136:137], v[140:141], v[144:145] op_sel:[0,0,1] op_sel_hi:[1,1,0] neg_lo:[0,0,1] neg_hi:[0,0,1]
	v_pk_fma_f32 v[136:137], v[136:137], v[140:141], v[144:145] op_sel:[0,0,1] op_sel_hi:[1,0,0]
	v_dual_mul_f32 v144, v139, v143 :: v_dual_mov_b32 v136, v139
	v_dual_mov_b32 v147, v137 :: v_dual_mov_b32 v137, v138
	s_delay_alu instid0(VALU_DEP_2) | instskip(SKIP_1) | instid1(VALU_DEP_3)
	v_pk_fma_f32 v[144:145], v[138:139], v[64:65], v[144:145] op_sel_hi:[1,1,0] neg_lo:[0,0,1] neg_hi:[0,0,1]
	v_mul_f32_e32 v138, v139, v140
	v_pk_add_f32 v[80:81], v[80:81], v[146:147] neg_lo:[0,1] neg_hi:[0,1]
	s_delay_alu instid0(VALU_DEP_2) | instskip(NEXT) | instid1(VALU_DEP_1)
	v_pk_fma_f32 v[136:137], v[136:137], v[64:65], v[138:139] op_sel_hi:[1,1,0]
	v_mov_b32_e32 v145, v137
	ds_load_2addr_b64 v[136:139], v160 offset0:19 offset1:20
	v_pk_add_f32 v[82:83], v[82:83], v[144:145] neg_lo:[0,1] neg_hi:[0,1]
	s_wait_dscnt 0x0
	v_pk_mul_f32 v[144:145], v[136:137], v[142:143] op_sel:[0,1]
	s_delay_alu instid0(VALU_DEP_1) | instskip(SKIP_1) | instid1(VALU_DEP_1)
	v_pk_fma_f32 v[146:147], v[136:137], v[140:141], v[144:145] op_sel:[0,0,1] op_sel_hi:[1,1,0] neg_lo:[0,0,1] neg_hi:[0,0,1]
	v_pk_fma_f32 v[136:137], v[136:137], v[140:141], v[144:145] op_sel:[0,0,1] op_sel_hi:[1,0,0]
	v_mov_b32_e32 v147, v137
	v_pk_mul_f32 v[136:137], v[138:139], v[142:143] op_sel:[0,1]
	s_delay_alu instid0(VALU_DEP_1) | instskip(SKIP_1) | instid1(VALU_DEP_1)
	v_pk_fma_f32 v[144:145], v[138:139], v[140:141], v[136:137] op_sel:[0,0,1] op_sel_hi:[1,1,0] neg_lo:[0,0,1] neg_hi:[0,0,1]
	v_pk_fma_f32 v[136:137], v[138:139], v[140:141], v[136:137] op_sel:[0,0,1] op_sel_hi:[1,0,0]
	v_mov_b32_e32 v145, v137
	ds_load_2addr_b64 v[136:139], v160 offset0:21 offset1:22
	v_pk_add_f32 v[78:79], v[78:79], v[146:147] neg_lo:[0,1] neg_hi:[0,1]
	v_pk_add_f32 v[96:97], v[96:97], v[144:145] neg_lo:[0,1] neg_hi:[0,1]
	s_wait_dscnt 0x0
	v_pk_mul_f32 v[144:145], v[136:137], v[142:143] op_sel:[0,1]
	s_delay_alu instid0(VALU_DEP_1) | instskip(SKIP_1) | instid1(VALU_DEP_1)
	v_pk_fma_f32 v[146:147], v[136:137], v[140:141], v[144:145] op_sel:[0,0,1] op_sel_hi:[1,1,0] neg_lo:[0,0,1] neg_hi:[0,0,1]
	v_pk_fma_f32 v[136:137], v[136:137], v[140:141], v[144:145] op_sel:[0,0,1] op_sel_hi:[1,0,0]
	v_mov_b32_e32 v147, v137
	v_pk_mul_f32 v[136:137], v[138:139], v[142:143] op_sel:[0,1]
	s_delay_alu instid0(VALU_DEP_1) | instskip(SKIP_1) | instid1(VALU_DEP_1)
	v_pk_fma_f32 v[144:145], v[138:139], v[140:141], v[136:137] op_sel:[0,0,1] op_sel_hi:[1,1,0] neg_lo:[0,0,1] neg_hi:[0,0,1]
	v_pk_fma_f32 v[136:137], v[138:139], v[140:141], v[136:137] op_sel:[0,0,1] op_sel_hi:[1,0,0]
	v_mov_b32_e32 v145, v137
	ds_load_2addr_b64 v[136:139], v160 offset0:23 offset1:24
	v_pk_add_f32 v[94:95], v[94:95], v[146:147] neg_lo:[0,1] neg_hi:[0,1]
	v_pk_add_f32 v[102:103], v[102:103], v[144:145] neg_lo:[0,1] neg_hi:[0,1]
	s_wait_dscnt 0x0
	v_dual_mul_f32 v144, v137, v143 :: v_dual_mul_f32 v146, v137, v140
	s_delay_alu instid0(VALU_DEP_1) | instskip(NEXT) | instid1(VALU_DEP_2)
	v_pk_fma_f32 v[144:145], v[136:137], v[64:65], v[144:145] op_sel_hi:[1,1,0] neg_lo:[0,0,1] neg_hi:[0,0,1]
	v_pk_fma_f32 v[136:137], v[136:137], v[64:65], v[146:147] op_sel:[1,0,0] op_sel_hi:[0,1,0]
	s_delay_alu instid0(VALU_DEP_1) | instskip(SKIP_1) | instid1(VALU_DEP_2)
	v_mov_b32_e32 v145, v137
	v_pk_mul_f32 v[136:137], v[138:139], v[142:143] op_sel:[0,1]
	v_pk_add_f32 v[100:101], v[100:101], v[144:145] neg_lo:[0,1] neg_hi:[0,1]
	s_delay_alu instid0(VALU_DEP_2) | instskip(SKIP_1) | instid1(VALU_DEP_1)
	v_pk_fma_f32 v[144:145], v[138:139], v[140:141], v[136:137] op_sel:[0,0,1] op_sel_hi:[1,1,0] neg_lo:[0,0,1] neg_hi:[0,0,1]
	v_pk_fma_f32 v[136:137], v[138:139], v[140:141], v[136:137] op_sel:[0,0,1] op_sel_hi:[1,0,0]
	v_mov_b32_e32 v145, v137
	ds_load_b64 v[136:137], v160 offset:200
	v_pk_add_f32 v[98:99], v[98:99], v[144:145] neg_lo:[0,1] neg_hi:[0,1]
	s_wait_dscnt 0x0
	v_pk_mul_f32 v[138:139], v[136:137], v[142:143] op_sel:[0,1]
	s_delay_alu instid0(VALU_DEP_1) | instskip(SKIP_1) | instid1(VALU_DEP_1)
	v_pk_fma_f32 v[142:143], v[136:137], v[140:141], v[138:139] op_sel:[0,0,1] op_sel_hi:[1,1,0] neg_lo:[0,0,1] neg_hi:[0,0,1]
	v_pk_fma_f32 v[136:137], v[136:137], v[140:141], v[138:139] op_sel:[0,0,1] op_sel_hi:[1,0,0]
	v_mov_b32_e32 v143, v137
	s_delay_alu instid0(VALU_DEP_1)
	v_pk_add_f32 v[104:105], v[104:105], v[142:143] neg_lo:[0,1] neg_hi:[0,1]
.LBB51_136:
	s_or_b32 exec_lo, exec_lo, s1
	s_delay_alu instid0(SALU_CYCLE_1)
	s_mov_b32 s2, exec_lo
	s_wait_dscnt 0x0
	s_barrier_signal -1
	s_barrier_wait -1
	v_cmpx_eq_u32_e32 15, v158
	s_cbranch_execz .LBB51_143
; %bb.137:
	v_dual_mov_b32 v136, v84 :: v_dual_mov_b32 v137, v85
	v_dual_mov_b32 v138, v80 :: v_dual_mov_b32 v139, v81
	;; [unrolled: 1-line block ×9, first 2 shown]
	ds_store_b64 v159, v[60:61]
	ds_store_2addr_b64 v160, v[136:137], v[138:139] offset0:16 offset1:17
	ds_store_2addr_b64 v160, v[140:141], v[142:143] offset0:18 offset1:19
	;; [unrolled: 1-line block ×5, first 2 shown]
	ds_load_b64 v[136:137], v159
	s_wait_dscnt 0x0
	v_cmp_neq_f32_e32 vcc_lo, 0, v136
	v_cmp_neq_f32_e64 s1, 0, v137
	s_or_b32 s1, vcc_lo, s1
	s_delay_alu instid0(SALU_CYCLE_1)
	s_and_b32 exec_lo, exec_lo, s1
	s_cbranch_execz .LBB51_143
; %bb.138:
	v_cmp_ngt_f32_e64 s1, |v136|, |v137|
                                        ; implicit-def: $vgpr138_vgpr139
	s_and_saveexec_b32 s4, s1
	s_delay_alu instid0(SALU_CYCLE_1)
	s_xor_b32 s1, exec_lo, s4
	s_cbranch_execz .LBB51_140
; %bb.139:
	v_div_scale_f32 v138, null, v137, v137, v136
	v_div_scale_f32 v141, vcc_lo, v136, v137, v136
	s_delay_alu instid0(VALU_DEP_2) | instskip(SKIP_1) | instid1(TRANS32_DEP_1)
	v_rcp_f32_e32 v139, v138
	v_nop
	v_fma_f32 v140, -v138, v139, 1.0
	s_delay_alu instid0(VALU_DEP_1) | instskip(NEXT) | instid1(VALU_DEP_1)
	v_fmac_f32_e32 v139, v140, v139
	v_mul_f32_e32 v140, v141, v139
	s_delay_alu instid0(VALU_DEP_1) | instskip(NEXT) | instid1(VALU_DEP_1)
	v_fma_f32 v142, -v138, v140, v141
	v_fmac_f32_e32 v140, v142, v139
	s_delay_alu instid0(VALU_DEP_1) | instskip(NEXT) | instid1(VALU_DEP_1)
	v_fma_f32 v138, -v138, v140, v141
	v_div_fmas_f32 v138, v138, v139, v140
	s_delay_alu instid0(VALU_DEP_1) | instskip(NEXT) | instid1(VALU_DEP_1)
	v_div_fixup_f32 v138, v138, v137, v136
	v_fmac_f32_e32 v137, v136, v138
	s_delay_alu instid0(VALU_DEP_1) | instskip(SKIP_1) | instid1(VALU_DEP_2)
	v_div_scale_f32 v136, null, v137, v137, 1.0
	v_div_scale_f32 v141, vcc_lo, 1.0, v137, 1.0
	v_rcp_f32_e32 v139, v136
	v_nop
	s_delay_alu instid0(TRANS32_DEP_1) | instskip(NEXT) | instid1(VALU_DEP_1)
	v_fma_f32 v140, -v136, v139, 1.0
	v_fmac_f32_e32 v139, v140, v139
	s_delay_alu instid0(VALU_DEP_1) | instskip(NEXT) | instid1(VALU_DEP_1)
	v_mul_f32_e32 v140, v141, v139
	v_fma_f32 v142, -v136, v140, v141
	s_delay_alu instid0(VALU_DEP_1) | instskip(NEXT) | instid1(VALU_DEP_1)
	v_fmac_f32_e32 v140, v142, v139
	v_fma_f32 v136, -v136, v140, v141
	s_delay_alu instid0(VALU_DEP_1) | instskip(NEXT) | instid1(VALU_DEP_1)
	v_div_fmas_f32 v136, v136, v139, v140
	v_div_fixup_f32 v136, v136, v137, 1.0
	s_delay_alu instid0(VALU_DEP_1)
	v_mul_f32_e32 v138, v138, v136
	v_xor_b32_e32 v139, 0x80000000, v136
                                        ; implicit-def: $vgpr136_vgpr137
.LBB51_140:
	s_and_not1_saveexec_b32 s1, s1
	s_cbranch_execz .LBB51_142
; %bb.141:
	v_div_scale_f32 v138, null, v136, v136, v137
	v_div_scale_f32 v141, vcc_lo, v137, v136, v137
	s_delay_alu instid0(VALU_DEP_2) | instskip(SKIP_1) | instid1(TRANS32_DEP_1)
	v_rcp_f32_e32 v139, v138
	v_nop
	v_fma_f32 v140, -v138, v139, 1.0
	s_delay_alu instid0(VALU_DEP_1) | instskip(NEXT) | instid1(VALU_DEP_1)
	v_fmac_f32_e32 v139, v140, v139
	v_mul_f32_e32 v140, v141, v139
	s_delay_alu instid0(VALU_DEP_1) | instskip(NEXT) | instid1(VALU_DEP_1)
	v_fma_f32 v142, -v138, v140, v141
	v_fmac_f32_e32 v140, v142, v139
	s_delay_alu instid0(VALU_DEP_1) | instskip(NEXT) | instid1(VALU_DEP_1)
	v_fma_f32 v138, -v138, v140, v141
	v_div_fmas_f32 v138, v138, v139, v140
	s_delay_alu instid0(VALU_DEP_1) | instskip(NEXT) | instid1(VALU_DEP_1)
	v_div_fixup_f32 v139, v138, v136, v137
	v_fmac_f32_e32 v136, v137, v139
	s_delay_alu instid0(VALU_DEP_1) | instskip(NEXT) | instid1(VALU_DEP_1)
	v_div_scale_f32 v137, null, v136, v136, 1.0
	v_rcp_f32_e32 v138, v137
	v_nop
	s_delay_alu instid0(TRANS32_DEP_1) | instskip(NEXT) | instid1(VALU_DEP_1)
	v_fma_f32 v140, -v137, v138, 1.0
	v_fmac_f32_e32 v138, v140, v138
	v_div_scale_f32 v140, vcc_lo, 1.0, v136, 1.0
	s_delay_alu instid0(VALU_DEP_1) | instskip(NEXT) | instid1(VALU_DEP_1)
	v_mul_f32_e32 v141, v140, v138
	v_fma_f32 v142, -v137, v141, v140
	s_delay_alu instid0(VALU_DEP_1) | instskip(NEXT) | instid1(VALU_DEP_1)
	v_fmac_f32_e32 v141, v142, v138
	v_fma_f32 v137, -v137, v141, v140
	s_delay_alu instid0(VALU_DEP_1) | instskip(NEXT) | instid1(VALU_DEP_1)
	v_div_fmas_f32 v137, v137, v138, v141
	v_div_fixup_f32 v138, v137, v136, 1.0
	s_delay_alu instid0(VALU_DEP_1)
	v_mul_f32_e64 v139, v139, -v138
.LBB51_142:
	s_or_b32 exec_lo, exec_lo, s1
	ds_store_b64 v159, v[138:139]
.LBB51_143:
	s_or_b32 exec_lo, exec_lo, s2
	s_wait_dscnt 0x0
	s_barrier_signal -1
	s_barrier_wait -1
	ds_load_b64 v[136:137], v159
	s_mov_b32 s1, exec_lo
	v_cmpx_lt_u32_e32 15, v158
	s_cbranch_execz .LBB51_145
; %bb.144:
	s_wait_dscnt 0x0
	v_pk_mul_f32 v[138:139], v[136:137], v[60:61] op_sel:[1,1] op_sel_hi:[0,1]
	s_delay_alu instid0(VALU_DEP_1)
	v_pk_fma_f32 v[142:143], v[136:137], v[60:61], v[138:139] op_sel_hi:[1,0,1] neg_lo:[0,0,1] neg_hi:[0,0,1]
	v_pk_fma_f32 v[144:145], v[136:137], v[60:61], v[138:139] op_sel_hi:[1,0,1]
	ds_load_2addr_b64 v[138:141], v160 offset0:16 offset1:17
	v_dual_mov_b32 v60, v142 :: v_dual_mov_b32 v61, v145
	s_wait_dscnt 0x0
	v_pk_mul_f32 v[146:147], v[138:139], v[144:145] op_sel:[0,1]
	s_delay_alu instid0(VALU_DEP_1) | instskip(SKIP_1) | instid1(VALU_DEP_1)
	v_pk_fma_f32 v[148:149], v[138:139], v[142:143], v[146:147] op_sel:[0,0,1] op_sel_hi:[1,1,0] neg_lo:[0,0,1] neg_hi:[0,0,1]
	v_pk_fma_f32 v[138:139], v[138:139], v[142:143], v[146:147] op_sel:[0,0,1] op_sel_hi:[1,0,0]
	v_mov_b32_e32 v149, v139
	v_pk_mul_f32 v[138:139], v[140:141], v[144:145] op_sel:[0,1]
	s_delay_alu instid0(VALU_DEP_1) | instskip(SKIP_1) | instid1(VALU_DEP_1)
	v_pk_fma_f32 v[146:147], v[140:141], v[142:143], v[138:139] op_sel:[0,0,1] op_sel_hi:[1,1,0] neg_lo:[0,0,1] neg_hi:[0,0,1]
	v_pk_fma_f32 v[138:139], v[140:141], v[142:143], v[138:139] op_sel:[0,0,1] op_sel_hi:[1,0,0]
	v_mov_b32_e32 v147, v139
	ds_load_2addr_b64 v[138:141], v160 offset0:18 offset1:19
	v_pk_add_f32 v[84:85], v[84:85], v[148:149] neg_lo:[0,1] neg_hi:[0,1]
	v_pk_add_f32 v[80:81], v[80:81], v[146:147] neg_lo:[0,1] neg_hi:[0,1]
	s_wait_dscnt 0x0
	v_pk_mul_f32 v[146:147], v[138:139], v[144:145] op_sel:[0,1]
	s_delay_alu instid0(VALU_DEP_1) | instskip(SKIP_2) | instid1(VALU_DEP_2)
	v_pk_fma_f32 v[148:149], v[138:139], v[142:143], v[146:147] op_sel:[0,0,1] op_sel_hi:[1,1,0] neg_lo:[0,0,1] neg_hi:[0,0,1]
	v_pk_fma_f32 v[138:139], v[138:139], v[142:143], v[146:147] op_sel:[0,0,1] op_sel_hi:[1,0,0]
	v_dual_mul_f32 v146, v141, v145 :: v_dual_mov_b32 v138, v141
	v_dual_mov_b32 v149, v139 :: v_dual_mov_b32 v139, v140
	s_delay_alu instid0(VALU_DEP_2) | instskip(SKIP_1) | instid1(VALU_DEP_3)
	v_pk_fma_f32 v[146:147], v[140:141], v[60:61], v[146:147] op_sel_hi:[1,1,0] neg_lo:[0,0,1] neg_hi:[0,0,1]
	v_mul_f32_e32 v140, v141, v142
	v_pk_add_f32 v[82:83], v[82:83], v[148:149] neg_lo:[0,1] neg_hi:[0,1]
	s_delay_alu instid0(VALU_DEP_2) | instskip(NEXT) | instid1(VALU_DEP_1)
	v_pk_fma_f32 v[138:139], v[138:139], v[60:61], v[140:141] op_sel_hi:[1,1,0]
	v_mov_b32_e32 v147, v139
	ds_load_2addr_b64 v[138:141], v160 offset0:20 offset1:21
	v_pk_add_f32 v[78:79], v[78:79], v[146:147] neg_lo:[0,1] neg_hi:[0,1]
	s_wait_dscnt 0x0
	v_pk_mul_f32 v[146:147], v[138:139], v[144:145] op_sel:[0,1]
	s_delay_alu instid0(VALU_DEP_1) | instskip(SKIP_1) | instid1(VALU_DEP_1)
	v_pk_fma_f32 v[148:149], v[138:139], v[142:143], v[146:147] op_sel:[0,0,1] op_sel_hi:[1,1,0] neg_lo:[0,0,1] neg_hi:[0,0,1]
	v_pk_fma_f32 v[138:139], v[138:139], v[142:143], v[146:147] op_sel:[0,0,1] op_sel_hi:[1,0,0]
	v_mov_b32_e32 v149, v139
	v_pk_mul_f32 v[138:139], v[140:141], v[144:145] op_sel:[0,1]
	s_delay_alu instid0(VALU_DEP_1) | instskip(SKIP_1) | instid1(VALU_DEP_1)
	v_pk_fma_f32 v[146:147], v[140:141], v[142:143], v[138:139] op_sel:[0,0,1] op_sel_hi:[1,1,0] neg_lo:[0,0,1] neg_hi:[0,0,1]
	v_pk_fma_f32 v[138:139], v[140:141], v[142:143], v[138:139] op_sel:[0,0,1] op_sel_hi:[1,0,0]
	v_mov_b32_e32 v147, v139
	ds_load_2addr_b64 v[138:141], v160 offset0:22 offset1:23
	v_pk_add_f32 v[96:97], v[96:97], v[148:149] neg_lo:[0,1] neg_hi:[0,1]
	v_pk_add_f32 v[94:95], v[94:95], v[146:147] neg_lo:[0,1] neg_hi:[0,1]
	s_wait_dscnt 0x0
	v_pk_mul_f32 v[146:147], v[138:139], v[144:145] op_sel:[0,1]
	s_delay_alu instid0(VALU_DEP_1) | instskip(SKIP_1) | instid1(VALU_DEP_1)
	v_pk_fma_f32 v[148:149], v[138:139], v[142:143], v[146:147] op_sel:[0,0,1] op_sel_hi:[1,1,0] neg_lo:[0,0,1] neg_hi:[0,0,1]
	v_pk_fma_f32 v[138:139], v[138:139], v[142:143], v[146:147] op_sel:[0,0,1] op_sel_hi:[1,0,0]
	v_mov_b32_e32 v149, v139
	v_pk_mul_f32 v[138:139], v[140:141], v[144:145] op_sel:[0,1]
	s_delay_alu instid0(VALU_DEP_1) | instskip(SKIP_1) | instid1(VALU_DEP_1)
	v_pk_fma_f32 v[146:147], v[140:141], v[142:143], v[138:139] op_sel:[0,0,1] op_sel_hi:[1,1,0] neg_lo:[0,0,1] neg_hi:[0,0,1]
	v_pk_fma_f32 v[138:139], v[140:141], v[142:143], v[138:139] op_sel:[0,0,1] op_sel_hi:[1,0,0]
	v_mov_b32_e32 v147, v139
	ds_load_2addr_b64 v[138:141], v160 offset0:24 offset1:25
	v_pk_add_f32 v[102:103], v[102:103], v[148:149] neg_lo:[0,1] neg_hi:[0,1]
	v_pk_add_f32 v[100:101], v[100:101], v[146:147] neg_lo:[0,1] neg_hi:[0,1]
	s_wait_dscnt 0x0
	v_dual_mul_f32 v146, v139, v145 :: v_dual_mul_f32 v148, v139, v142
	s_delay_alu instid0(VALU_DEP_1) | instskip(NEXT) | instid1(VALU_DEP_2)
	v_pk_fma_f32 v[146:147], v[138:139], v[60:61], v[146:147] op_sel_hi:[1,1,0] neg_lo:[0,0,1] neg_hi:[0,0,1]
	v_pk_fma_f32 v[138:139], v[138:139], v[60:61], v[148:149] op_sel:[1,0,0] op_sel_hi:[0,1,0]
	s_delay_alu instid0(VALU_DEP_1) | instskip(SKIP_1) | instid1(VALU_DEP_1)
	v_mov_b32_e32 v147, v139
	v_pk_mul_f32 v[138:139], v[140:141], v[144:145] op_sel:[0,1]
	v_pk_fma_f32 v[144:145], v[140:141], v[142:143], v[138:139] op_sel:[0,0,1] op_sel_hi:[1,1,0] neg_lo:[0,0,1] neg_hi:[0,0,1]
	v_pk_fma_f32 v[138:139], v[140:141], v[142:143], v[138:139] op_sel:[0,0,1] op_sel_hi:[1,0,0]
	s_delay_alu instid0(VALU_DEP_1) | instskip(SKIP_1) | instid1(VALU_DEP_2)
	v_mov_b32_e32 v145, v139
	v_pk_add_f32 v[98:99], v[98:99], v[146:147] neg_lo:[0,1] neg_hi:[0,1]
	v_pk_add_f32 v[104:105], v[104:105], v[144:145] neg_lo:[0,1] neg_hi:[0,1]
.LBB51_145:
	s_or_b32 exec_lo, exec_lo, s1
	s_delay_alu instid0(SALU_CYCLE_1)
	s_mov_b32 s2, exec_lo
	s_wait_dscnt 0x0
	s_barrier_signal -1
	s_barrier_wait -1
	v_cmpx_eq_u32_e32 16, v158
	s_cbranch_execz .LBB51_152
; %bb.146:
	ds_store_b64 v159, v[84:85]
	ds_store_2addr_b64 v160, v[80:81], v[82:83] offset0:17 offset1:18
	ds_store_2addr_b64 v160, v[78:79], v[96:97] offset0:19 offset1:20
	;; [unrolled: 1-line block ×4, first 2 shown]
	ds_store_b64 v160, v[104:105] offset:200
	ds_load_b64 v[138:139], v159
	s_wait_dscnt 0x0
	v_cmp_neq_f32_e32 vcc_lo, 0, v138
	v_cmp_neq_f32_e64 s1, 0, v139
	s_or_b32 s1, vcc_lo, s1
	s_delay_alu instid0(SALU_CYCLE_1)
	s_and_b32 exec_lo, exec_lo, s1
	s_cbranch_execz .LBB51_152
; %bb.147:
	v_cmp_ngt_f32_e64 s1, |v138|, |v139|
                                        ; implicit-def: $vgpr140_vgpr141
	s_and_saveexec_b32 s4, s1
	s_delay_alu instid0(SALU_CYCLE_1)
	s_xor_b32 s1, exec_lo, s4
	s_cbranch_execz .LBB51_149
; %bb.148:
	v_div_scale_f32 v140, null, v139, v139, v138
	v_div_scale_f32 v143, vcc_lo, v138, v139, v138
	s_delay_alu instid0(VALU_DEP_2) | instskip(SKIP_1) | instid1(TRANS32_DEP_1)
	v_rcp_f32_e32 v141, v140
	v_nop
	v_fma_f32 v142, -v140, v141, 1.0
	s_delay_alu instid0(VALU_DEP_1) | instskip(NEXT) | instid1(VALU_DEP_1)
	v_fmac_f32_e32 v141, v142, v141
	v_mul_f32_e32 v142, v143, v141
	s_delay_alu instid0(VALU_DEP_1) | instskip(NEXT) | instid1(VALU_DEP_1)
	v_fma_f32 v144, -v140, v142, v143
	v_fmac_f32_e32 v142, v144, v141
	s_delay_alu instid0(VALU_DEP_1) | instskip(NEXT) | instid1(VALU_DEP_1)
	v_fma_f32 v140, -v140, v142, v143
	v_div_fmas_f32 v140, v140, v141, v142
	s_delay_alu instid0(VALU_DEP_1) | instskip(NEXT) | instid1(VALU_DEP_1)
	v_div_fixup_f32 v140, v140, v139, v138
	v_fmac_f32_e32 v139, v138, v140
	s_delay_alu instid0(VALU_DEP_1) | instskip(SKIP_1) | instid1(VALU_DEP_2)
	v_div_scale_f32 v138, null, v139, v139, 1.0
	v_div_scale_f32 v143, vcc_lo, 1.0, v139, 1.0
	v_rcp_f32_e32 v141, v138
	v_nop
	s_delay_alu instid0(TRANS32_DEP_1) | instskip(NEXT) | instid1(VALU_DEP_1)
	v_fma_f32 v142, -v138, v141, 1.0
	v_fmac_f32_e32 v141, v142, v141
	s_delay_alu instid0(VALU_DEP_1) | instskip(NEXT) | instid1(VALU_DEP_1)
	v_mul_f32_e32 v142, v143, v141
	v_fma_f32 v144, -v138, v142, v143
	s_delay_alu instid0(VALU_DEP_1) | instskip(NEXT) | instid1(VALU_DEP_1)
	v_fmac_f32_e32 v142, v144, v141
	v_fma_f32 v138, -v138, v142, v143
	s_delay_alu instid0(VALU_DEP_1) | instskip(NEXT) | instid1(VALU_DEP_1)
	v_div_fmas_f32 v138, v138, v141, v142
	v_div_fixup_f32 v138, v138, v139, 1.0
	s_delay_alu instid0(VALU_DEP_1)
	v_mul_f32_e32 v140, v140, v138
	v_xor_b32_e32 v141, 0x80000000, v138
                                        ; implicit-def: $vgpr138_vgpr139
.LBB51_149:
	s_and_not1_saveexec_b32 s1, s1
	s_cbranch_execz .LBB51_151
; %bb.150:
	v_div_scale_f32 v140, null, v138, v138, v139
	v_div_scale_f32 v143, vcc_lo, v139, v138, v139
	s_delay_alu instid0(VALU_DEP_2) | instskip(SKIP_1) | instid1(TRANS32_DEP_1)
	v_rcp_f32_e32 v141, v140
	v_nop
	v_fma_f32 v142, -v140, v141, 1.0
	s_delay_alu instid0(VALU_DEP_1) | instskip(NEXT) | instid1(VALU_DEP_1)
	v_fmac_f32_e32 v141, v142, v141
	v_mul_f32_e32 v142, v143, v141
	s_delay_alu instid0(VALU_DEP_1) | instskip(NEXT) | instid1(VALU_DEP_1)
	v_fma_f32 v144, -v140, v142, v143
	v_fmac_f32_e32 v142, v144, v141
	s_delay_alu instid0(VALU_DEP_1) | instskip(NEXT) | instid1(VALU_DEP_1)
	v_fma_f32 v140, -v140, v142, v143
	v_div_fmas_f32 v140, v140, v141, v142
	s_delay_alu instid0(VALU_DEP_1) | instskip(NEXT) | instid1(VALU_DEP_1)
	v_div_fixup_f32 v141, v140, v138, v139
	v_fmac_f32_e32 v138, v139, v141
	s_delay_alu instid0(VALU_DEP_1) | instskip(NEXT) | instid1(VALU_DEP_1)
	v_div_scale_f32 v139, null, v138, v138, 1.0
	v_rcp_f32_e32 v140, v139
	v_nop
	s_delay_alu instid0(TRANS32_DEP_1) | instskip(NEXT) | instid1(VALU_DEP_1)
	v_fma_f32 v142, -v139, v140, 1.0
	v_fmac_f32_e32 v140, v142, v140
	v_div_scale_f32 v142, vcc_lo, 1.0, v138, 1.0
	s_delay_alu instid0(VALU_DEP_1) | instskip(NEXT) | instid1(VALU_DEP_1)
	v_mul_f32_e32 v143, v142, v140
	v_fma_f32 v144, -v139, v143, v142
	s_delay_alu instid0(VALU_DEP_1) | instskip(NEXT) | instid1(VALU_DEP_1)
	v_fmac_f32_e32 v143, v144, v140
	v_fma_f32 v139, -v139, v143, v142
	s_delay_alu instid0(VALU_DEP_1) | instskip(NEXT) | instid1(VALU_DEP_1)
	v_div_fmas_f32 v139, v139, v140, v143
	v_div_fixup_f32 v140, v139, v138, 1.0
	s_delay_alu instid0(VALU_DEP_1)
	v_mul_f32_e64 v141, v141, -v140
.LBB51_151:
	s_or_b32 exec_lo, exec_lo, s1
	ds_store_b64 v159, v[140:141]
.LBB51_152:
	s_or_b32 exec_lo, exec_lo, s2
	s_wait_dscnt 0x0
	s_barrier_signal -1
	s_barrier_wait -1
	ds_load_b64 v[138:139], v159
	s_mov_b32 s1, exec_lo
	v_cmpx_lt_u32_e32 16, v158
	s_cbranch_execz .LBB51_154
; %bb.153:
	s_wait_dscnt 0x0
	v_pk_mul_f32 v[140:141], v[138:139], v[84:85] op_sel:[1,1] op_sel_hi:[0,1]
	s_delay_alu instid0(VALU_DEP_1)
	v_pk_fma_f32 v[144:145], v[138:139], v[84:85], v[140:141] op_sel_hi:[1,0,1] neg_lo:[0,0,1] neg_hi:[0,0,1]
	v_pk_fma_f32 v[146:147], v[138:139], v[84:85], v[140:141] op_sel_hi:[1,0,1]
	ds_load_2addr_b64 v[140:143], v160 offset0:17 offset1:18
	v_dual_mov_b32 v84, v144 :: v_dual_mov_b32 v85, v147
	s_wait_dscnt 0x0
	v_pk_mul_f32 v[148:149], v[140:141], v[146:147] op_sel:[0,1]
	s_delay_alu instid0(VALU_DEP_1) | instskip(SKIP_1) | instid1(VALU_DEP_1)
	v_pk_fma_f32 v[150:151], v[140:141], v[144:145], v[148:149] op_sel:[0,0,1] op_sel_hi:[1,1,0] neg_lo:[0,0,1] neg_hi:[0,0,1]
	v_pk_fma_f32 v[140:141], v[140:141], v[144:145], v[148:149] op_sel:[0,0,1] op_sel_hi:[1,0,0]
	v_mov_b32_e32 v151, v141
	v_pk_mul_f32 v[140:141], v[142:143], v[146:147] op_sel:[0,1]
	s_delay_alu instid0(VALU_DEP_1) | instskip(SKIP_1) | instid1(VALU_DEP_1)
	v_pk_fma_f32 v[148:149], v[142:143], v[144:145], v[140:141] op_sel:[0,0,1] op_sel_hi:[1,1,0] neg_lo:[0,0,1] neg_hi:[0,0,1]
	v_pk_fma_f32 v[140:141], v[142:143], v[144:145], v[140:141] op_sel:[0,0,1] op_sel_hi:[1,0,0]
	v_mov_b32_e32 v149, v141
	ds_load_2addr_b64 v[140:143], v160 offset0:19 offset1:20
	v_pk_add_f32 v[80:81], v[80:81], v[150:151] neg_lo:[0,1] neg_hi:[0,1]
	v_pk_add_f32 v[82:83], v[82:83], v[148:149] neg_lo:[0,1] neg_hi:[0,1]
	s_wait_dscnt 0x0
	v_pk_mul_f32 v[148:149], v[140:141], v[146:147] op_sel:[0,1]
	s_delay_alu instid0(VALU_DEP_1) | instskip(SKIP_2) | instid1(VALU_DEP_2)
	v_pk_fma_f32 v[150:151], v[140:141], v[144:145], v[148:149] op_sel:[0,0,1] op_sel_hi:[1,1,0] neg_lo:[0,0,1] neg_hi:[0,0,1]
	v_pk_fma_f32 v[140:141], v[140:141], v[144:145], v[148:149] op_sel:[0,0,1] op_sel_hi:[1,0,0]
	v_dual_mul_f32 v148, v143, v147 :: v_dual_mov_b32 v140, v143
	v_dual_mov_b32 v151, v141 :: v_dual_mov_b32 v141, v142
	s_delay_alu instid0(VALU_DEP_2) | instskip(SKIP_1) | instid1(VALU_DEP_3)
	v_pk_fma_f32 v[148:149], v[142:143], v[84:85], v[148:149] op_sel_hi:[1,1,0] neg_lo:[0,0,1] neg_hi:[0,0,1]
	v_mul_f32_e32 v142, v143, v144
	v_pk_add_f32 v[78:79], v[78:79], v[150:151] neg_lo:[0,1] neg_hi:[0,1]
	s_delay_alu instid0(VALU_DEP_2) | instskip(NEXT) | instid1(VALU_DEP_1)
	v_pk_fma_f32 v[140:141], v[140:141], v[84:85], v[142:143] op_sel_hi:[1,1,0]
	v_mov_b32_e32 v149, v141
	ds_load_2addr_b64 v[140:143], v160 offset0:21 offset1:22
	v_pk_add_f32 v[96:97], v[96:97], v[148:149] neg_lo:[0,1] neg_hi:[0,1]
	s_wait_dscnt 0x0
	v_pk_mul_f32 v[148:149], v[140:141], v[146:147] op_sel:[0,1]
	s_delay_alu instid0(VALU_DEP_1) | instskip(SKIP_1) | instid1(VALU_DEP_1)
	v_pk_fma_f32 v[150:151], v[140:141], v[144:145], v[148:149] op_sel:[0,0,1] op_sel_hi:[1,1,0] neg_lo:[0,0,1] neg_hi:[0,0,1]
	v_pk_fma_f32 v[140:141], v[140:141], v[144:145], v[148:149] op_sel:[0,0,1] op_sel_hi:[1,0,0]
	v_mov_b32_e32 v151, v141
	v_pk_mul_f32 v[140:141], v[142:143], v[146:147] op_sel:[0,1]
	s_delay_alu instid0(VALU_DEP_1) | instskip(SKIP_1) | instid1(VALU_DEP_1)
	v_pk_fma_f32 v[148:149], v[142:143], v[144:145], v[140:141] op_sel:[0,0,1] op_sel_hi:[1,1,0] neg_lo:[0,0,1] neg_hi:[0,0,1]
	v_pk_fma_f32 v[140:141], v[142:143], v[144:145], v[140:141] op_sel:[0,0,1] op_sel_hi:[1,0,0]
	v_mov_b32_e32 v149, v141
	ds_load_2addr_b64 v[140:143], v160 offset0:23 offset1:24
	v_pk_add_f32 v[94:95], v[94:95], v[150:151] neg_lo:[0,1] neg_hi:[0,1]
	v_pk_add_f32 v[102:103], v[102:103], v[148:149] neg_lo:[0,1] neg_hi:[0,1]
	s_wait_dscnt 0x0
	v_pk_mul_f32 v[148:149], v[140:141], v[146:147] op_sel:[0,1]
	s_delay_alu instid0(VALU_DEP_1) | instskip(SKIP_1) | instid1(VALU_DEP_1)
	v_pk_fma_f32 v[150:151], v[140:141], v[144:145], v[148:149] op_sel:[0,0,1] op_sel_hi:[1,1,0] neg_lo:[0,0,1] neg_hi:[0,0,1]
	v_pk_fma_f32 v[140:141], v[140:141], v[144:145], v[148:149] op_sel:[0,0,1] op_sel_hi:[1,0,0]
	v_mov_b32_e32 v151, v141
	v_pk_mul_f32 v[140:141], v[142:143], v[146:147] op_sel:[0,1]
	s_delay_alu instid0(VALU_DEP_1) | instskip(SKIP_1) | instid1(VALU_DEP_1)
	v_pk_fma_f32 v[148:149], v[142:143], v[144:145], v[140:141] op_sel:[0,0,1] op_sel_hi:[1,1,0] neg_lo:[0,0,1] neg_hi:[0,0,1]
	v_pk_fma_f32 v[140:141], v[142:143], v[144:145], v[140:141] op_sel:[0,0,1] op_sel_hi:[1,0,0]
	v_mov_b32_e32 v149, v141
	ds_load_b64 v[140:141], v160 offset:200
	v_pk_add_f32 v[100:101], v[100:101], v[150:151] neg_lo:[0,1] neg_hi:[0,1]
	v_pk_add_f32 v[98:99], v[98:99], v[148:149] neg_lo:[0,1] neg_hi:[0,1]
	s_wait_dscnt 0x0
	v_pk_mul_f32 v[142:143], v[140:141], v[146:147] op_sel:[0,1]
	s_delay_alu instid0(VALU_DEP_1) | instskip(SKIP_1) | instid1(VALU_DEP_1)
	v_pk_fma_f32 v[146:147], v[140:141], v[144:145], v[142:143] op_sel:[0,0,1] op_sel_hi:[1,1,0] neg_lo:[0,0,1] neg_hi:[0,0,1]
	v_pk_fma_f32 v[140:141], v[140:141], v[144:145], v[142:143] op_sel:[0,0,1] op_sel_hi:[1,0,0]
	v_mov_b32_e32 v147, v141
	s_delay_alu instid0(VALU_DEP_1)
	v_pk_add_f32 v[104:105], v[104:105], v[146:147] neg_lo:[0,1] neg_hi:[0,1]
.LBB51_154:
	s_or_b32 exec_lo, exec_lo, s1
	s_delay_alu instid0(SALU_CYCLE_1)
	s_mov_b32 s2, exec_lo
	s_wait_dscnt 0x0
	s_barrier_signal -1
	s_barrier_wait -1
	v_cmpx_eq_u32_e32 17, v158
	s_cbranch_execz .LBB51_161
; %bb.155:
	v_dual_mov_b32 v140, v82 :: v_dual_mov_b32 v141, v83
	v_dual_mov_b32 v142, v78 :: v_dual_mov_b32 v143, v79
	;; [unrolled: 1-line block ×7, first 2 shown]
	ds_store_b64 v159, v[80:81]
	ds_store_2addr_b64 v160, v[140:141], v[142:143] offset0:18 offset1:19
	ds_store_2addr_b64 v160, v[144:145], v[146:147] offset0:20 offset1:21
	;; [unrolled: 1-line block ×4, first 2 shown]
	ds_load_b64 v[140:141], v159
	s_wait_dscnt 0x0
	v_cmp_neq_f32_e32 vcc_lo, 0, v140
	v_cmp_neq_f32_e64 s1, 0, v141
	s_or_b32 s1, vcc_lo, s1
	s_delay_alu instid0(SALU_CYCLE_1)
	s_and_b32 exec_lo, exec_lo, s1
	s_cbranch_execz .LBB51_161
; %bb.156:
	v_cmp_ngt_f32_e64 s1, |v140|, |v141|
                                        ; implicit-def: $vgpr142_vgpr143
	s_and_saveexec_b32 s4, s1
	s_delay_alu instid0(SALU_CYCLE_1)
	s_xor_b32 s1, exec_lo, s4
	s_cbranch_execz .LBB51_158
; %bb.157:
	v_div_scale_f32 v142, null, v141, v141, v140
	v_div_scale_f32 v145, vcc_lo, v140, v141, v140
	s_delay_alu instid0(VALU_DEP_2) | instskip(SKIP_1) | instid1(TRANS32_DEP_1)
	v_rcp_f32_e32 v143, v142
	v_nop
	v_fma_f32 v144, -v142, v143, 1.0
	s_delay_alu instid0(VALU_DEP_1) | instskip(NEXT) | instid1(VALU_DEP_1)
	v_fmac_f32_e32 v143, v144, v143
	v_mul_f32_e32 v144, v145, v143
	s_delay_alu instid0(VALU_DEP_1) | instskip(NEXT) | instid1(VALU_DEP_1)
	v_fma_f32 v146, -v142, v144, v145
	v_fmac_f32_e32 v144, v146, v143
	s_delay_alu instid0(VALU_DEP_1) | instskip(NEXT) | instid1(VALU_DEP_1)
	v_fma_f32 v142, -v142, v144, v145
	v_div_fmas_f32 v142, v142, v143, v144
	s_delay_alu instid0(VALU_DEP_1) | instskip(NEXT) | instid1(VALU_DEP_1)
	v_div_fixup_f32 v142, v142, v141, v140
	v_fmac_f32_e32 v141, v140, v142
	s_delay_alu instid0(VALU_DEP_1) | instskip(SKIP_1) | instid1(VALU_DEP_2)
	v_div_scale_f32 v140, null, v141, v141, 1.0
	v_div_scale_f32 v145, vcc_lo, 1.0, v141, 1.0
	v_rcp_f32_e32 v143, v140
	v_nop
	s_delay_alu instid0(TRANS32_DEP_1) | instskip(NEXT) | instid1(VALU_DEP_1)
	v_fma_f32 v144, -v140, v143, 1.0
	v_fmac_f32_e32 v143, v144, v143
	s_delay_alu instid0(VALU_DEP_1) | instskip(NEXT) | instid1(VALU_DEP_1)
	v_mul_f32_e32 v144, v145, v143
	v_fma_f32 v146, -v140, v144, v145
	s_delay_alu instid0(VALU_DEP_1) | instskip(NEXT) | instid1(VALU_DEP_1)
	v_fmac_f32_e32 v144, v146, v143
	v_fma_f32 v140, -v140, v144, v145
	s_delay_alu instid0(VALU_DEP_1) | instskip(NEXT) | instid1(VALU_DEP_1)
	v_div_fmas_f32 v140, v140, v143, v144
	v_div_fixup_f32 v140, v140, v141, 1.0
	s_delay_alu instid0(VALU_DEP_1)
	v_mul_f32_e32 v142, v142, v140
	v_xor_b32_e32 v143, 0x80000000, v140
                                        ; implicit-def: $vgpr140_vgpr141
.LBB51_158:
	s_and_not1_saveexec_b32 s1, s1
	s_cbranch_execz .LBB51_160
; %bb.159:
	v_div_scale_f32 v142, null, v140, v140, v141
	v_div_scale_f32 v145, vcc_lo, v141, v140, v141
	s_delay_alu instid0(VALU_DEP_2) | instskip(SKIP_1) | instid1(TRANS32_DEP_1)
	v_rcp_f32_e32 v143, v142
	v_nop
	v_fma_f32 v144, -v142, v143, 1.0
	s_delay_alu instid0(VALU_DEP_1) | instskip(NEXT) | instid1(VALU_DEP_1)
	v_fmac_f32_e32 v143, v144, v143
	v_mul_f32_e32 v144, v145, v143
	s_delay_alu instid0(VALU_DEP_1) | instskip(NEXT) | instid1(VALU_DEP_1)
	v_fma_f32 v146, -v142, v144, v145
	v_fmac_f32_e32 v144, v146, v143
	s_delay_alu instid0(VALU_DEP_1) | instskip(NEXT) | instid1(VALU_DEP_1)
	v_fma_f32 v142, -v142, v144, v145
	v_div_fmas_f32 v142, v142, v143, v144
	s_delay_alu instid0(VALU_DEP_1) | instskip(NEXT) | instid1(VALU_DEP_1)
	v_div_fixup_f32 v143, v142, v140, v141
	v_fmac_f32_e32 v140, v141, v143
	s_delay_alu instid0(VALU_DEP_1) | instskip(NEXT) | instid1(VALU_DEP_1)
	v_div_scale_f32 v141, null, v140, v140, 1.0
	v_rcp_f32_e32 v142, v141
	v_nop
	s_delay_alu instid0(TRANS32_DEP_1) | instskip(NEXT) | instid1(VALU_DEP_1)
	v_fma_f32 v144, -v141, v142, 1.0
	v_fmac_f32_e32 v142, v144, v142
	v_div_scale_f32 v144, vcc_lo, 1.0, v140, 1.0
	s_delay_alu instid0(VALU_DEP_1) | instskip(NEXT) | instid1(VALU_DEP_1)
	v_mul_f32_e32 v145, v144, v142
	v_fma_f32 v146, -v141, v145, v144
	s_delay_alu instid0(VALU_DEP_1) | instskip(NEXT) | instid1(VALU_DEP_1)
	v_fmac_f32_e32 v145, v146, v142
	v_fma_f32 v141, -v141, v145, v144
	s_delay_alu instid0(VALU_DEP_1) | instskip(NEXT) | instid1(VALU_DEP_1)
	v_div_fmas_f32 v141, v141, v142, v145
	v_div_fixup_f32 v142, v141, v140, 1.0
	s_delay_alu instid0(VALU_DEP_1)
	v_mul_f32_e64 v143, v143, -v142
.LBB51_160:
	s_or_b32 exec_lo, exec_lo, s1
	ds_store_b64 v159, v[142:143]
.LBB51_161:
	s_or_b32 exec_lo, exec_lo, s2
	s_wait_dscnt 0x0
	s_barrier_signal -1
	s_barrier_wait -1
	ds_load_b64 v[140:141], v159
	s_mov_b32 s1, exec_lo
	v_cmpx_lt_u32_e32 17, v158
	s_cbranch_execz .LBB51_163
; %bb.162:
	s_wait_dscnt 0x0
	v_pk_mul_f32 v[142:143], v[140:141], v[80:81] op_sel:[1,1] op_sel_hi:[0,1]
	s_delay_alu instid0(VALU_DEP_1)
	v_pk_fma_f32 v[146:147], v[140:141], v[80:81], v[142:143] op_sel_hi:[1,0,1] neg_lo:[0,0,1] neg_hi:[0,0,1]
	v_pk_fma_f32 v[148:149], v[140:141], v[80:81], v[142:143] op_sel_hi:[1,0,1]
	ds_load_2addr_b64 v[142:145], v160 offset0:18 offset1:19
	v_dual_mov_b32 v80, v146 :: v_dual_mov_b32 v81, v149
	s_wait_dscnt 0x0
	v_pk_mul_f32 v[150:151], v[142:143], v[148:149] op_sel:[0,1]
	s_delay_alu instid0(VALU_DEP_1) | instskip(SKIP_1) | instid1(VALU_DEP_1)
	v_pk_fma_f32 v[152:153], v[142:143], v[146:147], v[150:151] op_sel:[0,0,1] op_sel_hi:[1,1,0] neg_lo:[0,0,1] neg_hi:[0,0,1]
	v_pk_fma_f32 v[142:143], v[142:143], v[146:147], v[150:151] op_sel:[0,0,1] op_sel_hi:[1,0,0]
	v_mov_b32_e32 v153, v143
	v_pk_mul_f32 v[142:143], v[144:145], v[148:149] op_sel:[0,1]
	s_delay_alu instid0(VALU_DEP_1) | instskip(SKIP_1) | instid1(VALU_DEP_1)
	v_pk_fma_f32 v[150:151], v[144:145], v[146:147], v[142:143] op_sel:[0,0,1] op_sel_hi:[1,1,0] neg_lo:[0,0,1] neg_hi:[0,0,1]
	v_pk_fma_f32 v[142:143], v[144:145], v[146:147], v[142:143] op_sel:[0,0,1] op_sel_hi:[1,0,0]
	v_mov_b32_e32 v151, v143
	ds_load_2addr_b64 v[142:145], v160 offset0:20 offset1:21
	v_pk_add_f32 v[82:83], v[82:83], v[152:153] neg_lo:[0,1] neg_hi:[0,1]
	v_pk_add_f32 v[78:79], v[78:79], v[150:151] neg_lo:[0,1] neg_hi:[0,1]
	s_wait_dscnt 0x0
	v_pk_mul_f32 v[150:151], v[142:143], v[148:149] op_sel:[0,1]
	s_delay_alu instid0(VALU_DEP_1) | instskip(SKIP_2) | instid1(VALU_DEP_2)
	v_pk_fma_f32 v[152:153], v[142:143], v[146:147], v[150:151] op_sel:[0,0,1] op_sel_hi:[1,1,0] neg_lo:[0,0,1] neg_hi:[0,0,1]
	v_pk_fma_f32 v[142:143], v[142:143], v[146:147], v[150:151] op_sel:[0,0,1] op_sel_hi:[1,0,0]
	v_dual_mul_f32 v150, v145, v149 :: v_dual_mov_b32 v142, v145
	v_dual_mov_b32 v153, v143 :: v_dual_mov_b32 v143, v144
	s_delay_alu instid0(VALU_DEP_2) | instskip(SKIP_1) | instid1(VALU_DEP_3)
	v_pk_fma_f32 v[150:151], v[144:145], v[80:81], v[150:151] op_sel_hi:[1,1,0] neg_lo:[0,0,1] neg_hi:[0,0,1]
	v_mul_f32_e32 v144, v145, v146
	v_pk_add_f32 v[96:97], v[96:97], v[152:153] neg_lo:[0,1] neg_hi:[0,1]
	s_delay_alu instid0(VALU_DEP_2) | instskip(NEXT) | instid1(VALU_DEP_1)
	v_pk_fma_f32 v[142:143], v[142:143], v[80:81], v[144:145] op_sel_hi:[1,1,0]
	v_mov_b32_e32 v151, v143
	ds_load_2addr_b64 v[142:145], v160 offset0:22 offset1:23
	v_pk_add_f32 v[94:95], v[94:95], v[150:151] neg_lo:[0,1] neg_hi:[0,1]
	s_wait_dscnt 0x0
	v_pk_mul_f32 v[150:151], v[142:143], v[148:149] op_sel:[0,1]
	s_delay_alu instid0(VALU_DEP_1) | instskip(SKIP_1) | instid1(VALU_DEP_1)
	v_pk_fma_f32 v[152:153], v[142:143], v[146:147], v[150:151] op_sel:[0,0,1] op_sel_hi:[1,1,0] neg_lo:[0,0,1] neg_hi:[0,0,1]
	v_pk_fma_f32 v[142:143], v[142:143], v[146:147], v[150:151] op_sel:[0,0,1] op_sel_hi:[1,0,0]
	v_mov_b32_e32 v153, v143
	v_pk_mul_f32 v[142:143], v[144:145], v[148:149] op_sel:[0,1]
	s_delay_alu instid0(VALU_DEP_1) | instskip(SKIP_1) | instid1(VALU_DEP_1)
	v_pk_fma_f32 v[150:151], v[144:145], v[146:147], v[142:143] op_sel:[0,0,1] op_sel_hi:[1,1,0] neg_lo:[0,0,1] neg_hi:[0,0,1]
	v_pk_fma_f32 v[142:143], v[144:145], v[146:147], v[142:143] op_sel:[0,0,1] op_sel_hi:[1,0,0]
	v_mov_b32_e32 v151, v143
	ds_load_2addr_b64 v[142:145], v160 offset0:24 offset1:25
	v_pk_add_f32 v[102:103], v[102:103], v[152:153] neg_lo:[0,1] neg_hi:[0,1]
	v_pk_add_f32 v[100:101], v[100:101], v[150:151] neg_lo:[0,1] neg_hi:[0,1]
	s_wait_dscnt 0x0
	v_pk_mul_f32 v[150:151], v[142:143], v[148:149] op_sel:[0,1]
	s_delay_alu instid0(VALU_DEP_1) | instskip(SKIP_1) | instid1(VALU_DEP_1)
	v_pk_fma_f32 v[152:153], v[142:143], v[146:147], v[150:151] op_sel:[0,0,1] op_sel_hi:[1,1,0] neg_lo:[0,0,1] neg_hi:[0,0,1]
	v_pk_fma_f32 v[142:143], v[142:143], v[146:147], v[150:151] op_sel:[0,0,1] op_sel_hi:[1,0,0]
	v_mov_b32_e32 v153, v143
	v_pk_mul_f32 v[142:143], v[144:145], v[148:149] op_sel:[0,1]
	s_delay_alu instid0(VALU_DEP_1) | instskip(SKIP_1) | instid1(VALU_DEP_1)
	v_pk_fma_f32 v[148:149], v[144:145], v[146:147], v[142:143] op_sel:[0,0,1] op_sel_hi:[1,1,0] neg_lo:[0,0,1] neg_hi:[0,0,1]
	v_pk_fma_f32 v[142:143], v[144:145], v[146:147], v[142:143] op_sel:[0,0,1] op_sel_hi:[1,0,0]
	v_mov_b32_e32 v149, v143
	v_pk_add_f32 v[98:99], v[98:99], v[152:153] neg_lo:[0,1] neg_hi:[0,1]
	s_delay_alu instid0(VALU_DEP_2)
	v_pk_add_f32 v[104:105], v[104:105], v[148:149] neg_lo:[0,1] neg_hi:[0,1]
.LBB51_163:
	s_or_b32 exec_lo, exec_lo, s1
	s_delay_alu instid0(SALU_CYCLE_1)
	s_mov_b32 s2, exec_lo
	s_wait_dscnt 0x0
	s_barrier_signal -1
	s_barrier_wait -1
	v_cmpx_eq_u32_e32 18, v158
	s_cbranch_execz .LBB51_170
; %bb.164:
	ds_store_b64 v159, v[82:83]
	ds_store_2addr_b64 v160, v[78:79], v[96:97] offset0:19 offset1:20
	ds_store_2addr_b64 v160, v[94:95], v[102:103] offset0:21 offset1:22
	;; [unrolled: 1-line block ×3, first 2 shown]
	ds_store_b64 v160, v[104:105] offset:200
	ds_load_b64 v[142:143], v159
	s_wait_dscnt 0x0
	v_cmp_neq_f32_e32 vcc_lo, 0, v142
	v_cmp_neq_f32_e64 s1, 0, v143
	s_or_b32 s1, vcc_lo, s1
	s_delay_alu instid0(SALU_CYCLE_1)
	s_and_b32 exec_lo, exec_lo, s1
	s_cbranch_execz .LBB51_170
; %bb.165:
	v_cmp_ngt_f32_e64 s1, |v142|, |v143|
                                        ; implicit-def: $vgpr144_vgpr145
	s_and_saveexec_b32 s4, s1
	s_delay_alu instid0(SALU_CYCLE_1)
	s_xor_b32 s1, exec_lo, s4
	s_cbranch_execz .LBB51_167
; %bb.166:
	v_div_scale_f32 v144, null, v143, v143, v142
	v_div_scale_f32 v147, vcc_lo, v142, v143, v142
	s_delay_alu instid0(VALU_DEP_2) | instskip(SKIP_1) | instid1(TRANS32_DEP_1)
	v_rcp_f32_e32 v145, v144
	v_nop
	v_fma_f32 v146, -v144, v145, 1.0
	s_delay_alu instid0(VALU_DEP_1) | instskip(NEXT) | instid1(VALU_DEP_1)
	v_fmac_f32_e32 v145, v146, v145
	v_mul_f32_e32 v146, v147, v145
	s_delay_alu instid0(VALU_DEP_1) | instskip(NEXT) | instid1(VALU_DEP_1)
	v_fma_f32 v148, -v144, v146, v147
	v_fmac_f32_e32 v146, v148, v145
	s_delay_alu instid0(VALU_DEP_1) | instskip(NEXT) | instid1(VALU_DEP_1)
	v_fma_f32 v144, -v144, v146, v147
	v_div_fmas_f32 v144, v144, v145, v146
	s_delay_alu instid0(VALU_DEP_1) | instskip(NEXT) | instid1(VALU_DEP_1)
	v_div_fixup_f32 v144, v144, v143, v142
	v_fmac_f32_e32 v143, v142, v144
	s_delay_alu instid0(VALU_DEP_1) | instskip(SKIP_1) | instid1(VALU_DEP_2)
	v_div_scale_f32 v142, null, v143, v143, 1.0
	v_div_scale_f32 v147, vcc_lo, 1.0, v143, 1.0
	v_rcp_f32_e32 v145, v142
	v_nop
	s_delay_alu instid0(TRANS32_DEP_1) | instskip(NEXT) | instid1(VALU_DEP_1)
	v_fma_f32 v146, -v142, v145, 1.0
	v_fmac_f32_e32 v145, v146, v145
	s_delay_alu instid0(VALU_DEP_1) | instskip(NEXT) | instid1(VALU_DEP_1)
	v_mul_f32_e32 v146, v147, v145
	v_fma_f32 v148, -v142, v146, v147
	s_delay_alu instid0(VALU_DEP_1) | instskip(NEXT) | instid1(VALU_DEP_1)
	v_fmac_f32_e32 v146, v148, v145
	v_fma_f32 v142, -v142, v146, v147
	s_delay_alu instid0(VALU_DEP_1) | instskip(NEXT) | instid1(VALU_DEP_1)
	v_div_fmas_f32 v142, v142, v145, v146
	v_div_fixup_f32 v142, v142, v143, 1.0
	s_delay_alu instid0(VALU_DEP_1)
	v_mul_f32_e32 v144, v144, v142
	v_xor_b32_e32 v145, 0x80000000, v142
                                        ; implicit-def: $vgpr142_vgpr143
.LBB51_167:
	s_and_not1_saveexec_b32 s1, s1
	s_cbranch_execz .LBB51_169
; %bb.168:
	v_div_scale_f32 v144, null, v142, v142, v143
	v_div_scale_f32 v147, vcc_lo, v143, v142, v143
	s_delay_alu instid0(VALU_DEP_2) | instskip(SKIP_1) | instid1(TRANS32_DEP_1)
	v_rcp_f32_e32 v145, v144
	v_nop
	v_fma_f32 v146, -v144, v145, 1.0
	s_delay_alu instid0(VALU_DEP_1) | instskip(NEXT) | instid1(VALU_DEP_1)
	v_fmac_f32_e32 v145, v146, v145
	v_mul_f32_e32 v146, v147, v145
	s_delay_alu instid0(VALU_DEP_1) | instskip(NEXT) | instid1(VALU_DEP_1)
	v_fma_f32 v148, -v144, v146, v147
	v_fmac_f32_e32 v146, v148, v145
	s_delay_alu instid0(VALU_DEP_1) | instskip(NEXT) | instid1(VALU_DEP_1)
	v_fma_f32 v144, -v144, v146, v147
	v_div_fmas_f32 v144, v144, v145, v146
	s_delay_alu instid0(VALU_DEP_1) | instskip(NEXT) | instid1(VALU_DEP_1)
	v_div_fixup_f32 v145, v144, v142, v143
	v_fmac_f32_e32 v142, v143, v145
	s_delay_alu instid0(VALU_DEP_1) | instskip(NEXT) | instid1(VALU_DEP_1)
	v_div_scale_f32 v143, null, v142, v142, 1.0
	v_rcp_f32_e32 v144, v143
	v_nop
	s_delay_alu instid0(TRANS32_DEP_1) | instskip(NEXT) | instid1(VALU_DEP_1)
	v_fma_f32 v146, -v143, v144, 1.0
	v_fmac_f32_e32 v144, v146, v144
	v_div_scale_f32 v146, vcc_lo, 1.0, v142, 1.0
	s_delay_alu instid0(VALU_DEP_1) | instskip(NEXT) | instid1(VALU_DEP_1)
	v_mul_f32_e32 v147, v146, v144
	v_fma_f32 v148, -v143, v147, v146
	s_delay_alu instid0(VALU_DEP_1) | instskip(NEXT) | instid1(VALU_DEP_1)
	v_fmac_f32_e32 v147, v148, v144
	v_fma_f32 v143, -v143, v147, v146
	s_delay_alu instid0(VALU_DEP_1) | instskip(NEXT) | instid1(VALU_DEP_1)
	v_div_fmas_f32 v143, v143, v144, v147
	v_div_fixup_f32 v144, v143, v142, 1.0
	s_delay_alu instid0(VALU_DEP_1)
	v_mul_f32_e64 v145, v145, -v144
.LBB51_169:
	s_or_b32 exec_lo, exec_lo, s1
	ds_store_b64 v159, v[144:145]
.LBB51_170:
	s_or_b32 exec_lo, exec_lo, s2
	s_wait_dscnt 0x0
	s_barrier_signal -1
	s_barrier_wait -1
	ds_load_b64 v[142:143], v159
	s_mov_b32 s1, exec_lo
	v_cmpx_lt_u32_e32 18, v158
	s_cbranch_execz .LBB51_172
; %bb.171:
	s_wait_dscnt 0x0
	v_pk_mul_f32 v[144:145], v[142:143], v[82:83] op_sel:[1,1] op_sel_hi:[0,1]
	s_delay_alu instid0(VALU_DEP_1)
	v_pk_fma_f32 v[148:149], v[142:143], v[82:83], v[144:145] op_sel_hi:[1,0,1] neg_lo:[0,0,1] neg_hi:[0,0,1]
	v_pk_fma_f32 v[150:151], v[142:143], v[82:83], v[144:145] op_sel_hi:[1,0,1]
	ds_load_2addr_b64 v[144:147], v160 offset0:19 offset1:20
	v_dual_mov_b32 v82, v148 :: v_dual_mov_b32 v83, v151
	s_wait_dscnt 0x0
	v_pk_mul_f32 v[152:153], v[144:145], v[150:151] op_sel:[0,1]
	s_delay_alu instid0(VALU_DEP_1) | instskip(SKIP_1) | instid1(VALU_DEP_1)
	v_pk_fma_f32 v[154:155], v[144:145], v[148:149], v[152:153] op_sel:[0,0,1] op_sel_hi:[1,1,0] neg_lo:[0,0,1] neg_hi:[0,0,1]
	v_pk_fma_f32 v[144:145], v[144:145], v[148:149], v[152:153] op_sel:[0,0,1] op_sel_hi:[1,0,0]
	v_mov_b32_e32 v155, v145
	v_pk_mul_f32 v[144:145], v[146:147], v[150:151] op_sel:[0,1]
	s_delay_alu instid0(VALU_DEP_1) | instskip(SKIP_1) | instid1(VALU_DEP_1)
	v_pk_fma_f32 v[152:153], v[146:147], v[148:149], v[144:145] op_sel:[0,0,1] op_sel_hi:[1,1,0] neg_lo:[0,0,1] neg_hi:[0,0,1]
	v_pk_fma_f32 v[144:145], v[146:147], v[148:149], v[144:145] op_sel:[0,0,1] op_sel_hi:[1,0,0]
	v_mov_b32_e32 v153, v145
	ds_load_2addr_b64 v[144:147], v160 offset0:21 offset1:22
	v_pk_add_f32 v[78:79], v[78:79], v[154:155] neg_lo:[0,1] neg_hi:[0,1]
	v_pk_add_f32 v[96:97], v[96:97], v[152:153] neg_lo:[0,1] neg_hi:[0,1]
	s_wait_dscnt 0x0
	v_pk_mul_f32 v[152:153], v[144:145], v[150:151] op_sel:[0,1]
	s_delay_alu instid0(VALU_DEP_1) | instskip(SKIP_2) | instid1(VALU_DEP_2)
	v_pk_fma_f32 v[154:155], v[144:145], v[148:149], v[152:153] op_sel:[0,0,1] op_sel_hi:[1,1,0] neg_lo:[0,0,1] neg_hi:[0,0,1]
	v_pk_fma_f32 v[144:145], v[144:145], v[148:149], v[152:153] op_sel:[0,0,1] op_sel_hi:[1,0,0]
	v_dual_mul_f32 v152, v147, v151 :: v_dual_mov_b32 v144, v147
	v_dual_mov_b32 v155, v145 :: v_dual_mov_b32 v145, v146
	s_delay_alu instid0(VALU_DEP_2) | instskip(SKIP_1) | instid1(VALU_DEP_3)
	v_pk_fma_f32 v[152:153], v[146:147], v[82:83], v[152:153] op_sel_hi:[1,1,0] neg_lo:[0,0,1] neg_hi:[0,0,1]
	v_mul_f32_e32 v146, v147, v148
	v_pk_add_f32 v[94:95], v[94:95], v[154:155] neg_lo:[0,1] neg_hi:[0,1]
	s_delay_alu instid0(VALU_DEP_2) | instskip(NEXT) | instid1(VALU_DEP_1)
	v_pk_fma_f32 v[144:145], v[144:145], v[82:83], v[146:147] op_sel_hi:[1,1,0]
	v_mov_b32_e32 v153, v145
	ds_load_2addr_b64 v[144:147], v160 offset0:23 offset1:24
	v_pk_add_f32 v[102:103], v[102:103], v[152:153] neg_lo:[0,1] neg_hi:[0,1]
	s_wait_dscnt 0x0
	v_pk_mul_f32 v[152:153], v[144:145], v[150:151] op_sel:[0,1]
	s_delay_alu instid0(VALU_DEP_1) | instskip(SKIP_1) | instid1(VALU_DEP_1)
	v_pk_fma_f32 v[154:155], v[144:145], v[148:149], v[152:153] op_sel:[0,0,1] op_sel_hi:[1,1,0] neg_lo:[0,0,1] neg_hi:[0,0,1]
	v_pk_fma_f32 v[144:145], v[144:145], v[148:149], v[152:153] op_sel:[0,0,1] op_sel_hi:[1,0,0]
	v_mov_b32_e32 v155, v145
	v_pk_mul_f32 v[144:145], v[146:147], v[150:151] op_sel:[0,1]
	s_delay_alu instid0(VALU_DEP_1) | instskip(SKIP_1) | instid1(VALU_DEP_1)
	v_pk_fma_f32 v[152:153], v[146:147], v[148:149], v[144:145] op_sel:[0,0,1] op_sel_hi:[1,1,0] neg_lo:[0,0,1] neg_hi:[0,0,1]
	v_pk_fma_f32 v[144:145], v[146:147], v[148:149], v[144:145] op_sel:[0,0,1] op_sel_hi:[1,0,0]
	v_mov_b32_e32 v153, v145
	ds_load_b64 v[144:145], v160 offset:200
	v_pk_add_f32 v[100:101], v[100:101], v[154:155] neg_lo:[0,1] neg_hi:[0,1]
	v_pk_add_f32 v[98:99], v[98:99], v[152:153] neg_lo:[0,1] neg_hi:[0,1]
	s_wait_dscnt 0x0
	v_pk_mul_f32 v[146:147], v[144:145], v[150:151] op_sel:[0,1]
	s_delay_alu instid0(VALU_DEP_1) | instskip(SKIP_1) | instid1(VALU_DEP_1)
	v_pk_fma_f32 v[150:151], v[144:145], v[148:149], v[146:147] op_sel:[0,0,1] op_sel_hi:[1,1,0] neg_lo:[0,0,1] neg_hi:[0,0,1]
	v_pk_fma_f32 v[144:145], v[144:145], v[148:149], v[146:147] op_sel:[0,0,1] op_sel_hi:[1,0,0]
	v_mov_b32_e32 v151, v145
	s_delay_alu instid0(VALU_DEP_1)
	v_pk_add_f32 v[104:105], v[104:105], v[150:151] neg_lo:[0,1] neg_hi:[0,1]
.LBB51_172:
	s_or_b32 exec_lo, exec_lo, s1
	s_delay_alu instid0(SALU_CYCLE_1)
	s_mov_b32 s2, exec_lo
	s_wait_dscnt 0x0
	s_barrier_signal -1
	s_barrier_wait -1
	v_cmpx_eq_u32_e32 19, v158
	s_cbranch_execz .LBB51_179
; %bb.173:
	v_dual_mov_b32 v144, v96 :: v_dual_mov_b32 v145, v97
	v_dual_mov_b32 v146, v94 :: v_dual_mov_b32 v147, v95
	;; [unrolled: 1-line block ×5, first 2 shown]
	ds_store_b64 v159, v[78:79]
	ds_store_2addr_b64 v160, v[144:145], v[146:147] offset0:20 offset1:21
	ds_store_2addr_b64 v160, v[148:149], v[150:151] offset0:22 offset1:23
	;; [unrolled: 1-line block ×3, first 2 shown]
	ds_load_b64 v[144:145], v159
	s_wait_dscnt 0x0
	v_cmp_neq_f32_e32 vcc_lo, 0, v144
	v_cmp_neq_f32_e64 s1, 0, v145
	s_or_b32 s1, vcc_lo, s1
	s_delay_alu instid0(SALU_CYCLE_1)
	s_and_b32 exec_lo, exec_lo, s1
	s_cbranch_execz .LBB51_179
; %bb.174:
	v_cmp_ngt_f32_e64 s1, |v144|, |v145|
                                        ; implicit-def: $vgpr146_vgpr147
	s_and_saveexec_b32 s4, s1
	s_delay_alu instid0(SALU_CYCLE_1)
	s_xor_b32 s1, exec_lo, s4
	s_cbranch_execz .LBB51_176
; %bb.175:
	v_div_scale_f32 v146, null, v145, v145, v144
	v_div_scale_f32 v149, vcc_lo, v144, v145, v144
	s_delay_alu instid0(VALU_DEP_2) | instskip(SKIP_1) | instid1(TRANS32_DEP_1)
	v_rcp_f32_e32 v147, v146
	v_nop
	v_fma_f32 v148, -v146, v147, 1.0
	s_delay_alu instid0(VALU_DEP_1) | instskip(NEXT) | instid1(VALU_DEP_1)
	v_fmac_f32_e32 v147, v148, v147
	v_mul_f32_e32 v148, v149, v147
	s_delay_alu instid0(VALU_DEP_1) | instskip(NEXT) | instid1(VALU_DEP_1)
	v_fma_f32 v150, -v146, v148, v149
	v_fmac_f32_e32 v148, v150, v147
	s_delay_alu instid0(VALU_DEP_1) | instskip(NEXT) | instid1(VALU_DEP_1)
	v_fma_f32 v146, -v146, v148, v149
	v_div_fmas_f32 v146, v146, v147, v148
	s_delay_alu instid0(VALU_DEP_1) | instskip(NEXT) | instid1(VALU_DEP_1)
	v_div_fixup_f32 v146, v146, v145, v144
	v_fmac_f32_e32 v145, v144, v146
	s_delay_alu instid0(VALU_DEP_1) | instskip(SKIP_1) | instid1(VALU_DEP_2)
	v_div_scale_f32 v144, null, v145, v145, 1.0
	v_div_scale_f32 v149, vcc_lo, 1.0, v145, 1.0
	v_rcp_f32_e32 v147, v144
	v_nop
	s_delay_alu instid0(TRANS32_DEP_1) | instskip(NEXT) | instid1(VALU_DEP_1)
	v_fma_f32 v148, -v144, v147, 1.0
	v_fmac_f32_e32 v147, v148, v147
	s_delay_alu instid0(VALU_DEP_1) | instskip(NEXT) | instid1(VALU_DEP_1)
	v_mul_f32_e32 v148, v149, v147
	v_fma_f32 v150, -v144, v148, v149
	s_delay_alu instid0(VALU_DEP_1) | instskip(NEXT) | instid1(VALU_DEP_1)
	v_fmac_f32_e32 v148, v150, v147
	v_fma_f32 v144, -v144, v148, v149
	s_delay_alu instid0(VALU_DEP_1) | instskip(NEXT) | instid1(VALU_DEP_1)
	v_div_fmas_f32 v144, v144, v147, v148
	v_div_fixup_f32 v144, v144, v145, 1.0
	s_delay_alu instid0(VALU_DEP_1)
	v_mul_f32_e32 v146, v146, v144
	v_xor_b32_e32 v147, 0x80000000, v144
                                        ; implicit-def: $vgpr144_vgpr145
.LBB51_176:
	s_and_not1_saveexec_b32 s1, s1
	s_cbranch_execz .LBB51_178
; %bb.177:
	v_div_scale_f32 v146, null, v144, v144, v145
	v_div_scale_f32 v149, vcc_lo, v145, v144, v145
	s_delay_alu instid0(VALU_DEP_2) | instskip(SKIP_1) | instid1(TRANS32_DEP_1)
	v_rcp_f32_e32 v147, v146
	v_nop
	v_fma_f32 v148, -v146, v147, 1.0
	s_delay_alu instid0(VALU_DEP_1) | instskip(NEXT) | instid1(VALU_DEP_1)
	v_fmac_f32_e32 v147, v148, v147
	v_mul_f32_e32 v148, v149, v147
	s_delay_alu instid0(VALU_DEP_1) | instskip(NEXT) | instid1(VALU_DEP_1)
	v_fma_f32 v150, -v146, v148, v149
	v_fmac_f32_e32 v148, v150, v147
	s_delay_alu instid0(VALU_DEP_1) | instskip(NEXT) | instid1(VALU_DEP_1)
	v_fma_f32 v146, -v146, v148, v149
	v_div_fmas_f32 v146, v146, v147, v148
	s_delay_alu instid0(VALU_DEP_1) | instskip(NEXT) | instid1(VALU_DEP_1)
	v_div_fixup_f32 v147, v146, v144, v145
	v_fmac_f32_e32 v144, v145, v147
	s_delay_alu instid0(VALU_DEP_1) | instskip(NEXT) | instid1(VALU_DEP_1)
	v_div_scale_f32 v145, null, v144, v144, 1.0
	v_rcp_f32_e32 v146, v145
	v_nop
	s_delay_alu instid0(TRANS32_DEP_1) | instskip(NEXT) | instid1(VALU_DEP_1)
	v_fma_f32 v148, -v145, v146, 1.0
	v_fmac_f32_e32 v146, v148, v146
	v_div_scale_f32 v148, vcc_lo, 1.0, v144, 1.0
	s_delay_alu instid0(VALU_DEP_1) | instskip(NEXT) | instid1(VALU_DEP_1)
	v_mul_f32_e32 v149, v148, v146
	v_fma_f32 v150, -v145, v149, v148
	s_delay_alu instid0(VALU_DEP_1) | instskip(NEXT) | instid1(VALU_DEP_1)
	v_fmac_f32_e32 v149, v150, v146
	v_fma_f32 v145, -v145, v149, v148
	s_delay_alu instid0(VALU_DEP_1) | instskip(NEXT) | instid1(VALU_DEP_1)
	v_div_fmas_f32 v145, v145, v146, v149
	v_div_fixup_f32 v146, v145, v144, 1.0
	s_delay_alu instid0(VALU_DEP_1)
	v_mul_f32_e64 v147, v147, -v146
.LBB51_178:
	s_or_b32 exec_lo, exec_lo, s1
	ds_store_b64 v159, v[146:147]
.LBB51_179:
	s_or_b32 exec_lo, exec_lo, s2
	s_wait_dscnt 0x0
	s_barrier_signal -1
	s_barrier_wait -1
	ds_load_b64 v[144:145], v159
	s_mov_b32 s1, exec_lo
	v_cmpx_lt_u32_e32 19, v158
	s_cbranch_execz .LBB51_181
; %bb.180:
	ds_load_2addr_b64 v[146:149], v160 offset0:20 offset1:21
	ds_load_2addr_b64 v[150:153], v160 offset0:22 offset1:23
	;; [unrolled: 1-line block ×3, first 2 shown]
	s_wait_dscnt 0x3
	v_pk_mul_f32 v[162:163], v[144:145], v[78:79] op_sel:[1,1] op_sel_hi:[0,1]
	s_delay_alu instid0(VALU_DEP_1) | instskip(SKIP_1) | instid1(VALU_DEP_1)
	v_pk_fma_f32 v[164:165], v[144:145], v[78:79], v[162:163] op_sel_hi:[1,0,1] neg_lo:[0,0,1] neg_hi:[0,0,1]
	v_pk_fma_f32 v[162:163], v[144:145], v[78:79], v[162:163] op_sel_hi:[1,0,1]
	v_dual_mov_b32 v78, v164 :: v_dual_mov_b32 v79, v163
	s_wait_dscnt 0x2
	s_delay_alu instid0(VALU_DEP_2)
	v_pk_mul_f32 v[166:167], v[146:147], v[162:163] op_sel:[0,1]
	v_pk_mul_f32 v[168:169], v[148:149], v[162:163] op_sel:[0,1]
	s_wait_dscnt 0x1
	v_pk_mul_f32 v[170:171], v[150:151], v[162:163] op_sel:[0,1]
	v_dual_mov_b32 v172, v153 :: v_dual_mov_b32 v173, v152
	v_dual_mul_f32 v174, v153, v163 :: v_dual_mul_f32 v176, v153, v164
	s_wait_dscnt 0x0
	v_pk_mul_f32 v[178:179], v[154:155], v[162:163] op_sel:[0,1]
	v_dual_mov_b32 v180, v157 :: v_dual_mov_b32 v181, v156
	v_dual_mul_f32 v162, v157, v163 :: v_dual_mul_f32 v182, v157, v164
	v_pk_fma_f32 v[184:185], v[146:147], v[164:165], v[166:167] op_sel:[0,0,1] op_sel_hi:[1,1,0] neg_lo:[0,0,1] neg_hi:[0,0,1]
	v_pk_fma_f32 v[146:147], v[146:147], v[164:165], v[166:167] op_sel:[0,0,1] op_sel_hi:[1,0,0]
	v_pk_fma_f32 v[166:167], v[148:149], v[164:165], v[168:169] op_sel:[0,0,1] op_sel_hi:[1,1,0] neg_lo:[0,0,1] neg_hi:[0,0,1]
	v_pk_fma_f32 v[148:149], v[148:149], v[164:165], v[168:169] op_sel:[0,0,1] op_sel_hi:[1,0,0]
	;; [unrolled: 2-line block ×3, first 2 shown]
	v_pk_fma_f32 v[170:171], v[172:173], v[78:79], v[176:177] op_sel_hi:[1,1,0]
	v_pk_fma_f32 v[172:173], v[154:155], v[164:165], v[178:179] op_sel:[0,0,1] op_sel_hi:[1,1,0] neg_lo:[0,0,1] neg_hi:[0,0,1]
	v_pk_fma_f32 v[154:155], v[154:155], v[164:165], v[178:179] op_sel:[0,0,1] op_sel_hi:[1,0,0]
	v_dual_mov_b32 v185, v147 :: v_dual_mov_b32 v167, v149
	v_pk_fma_f32 v[146:147], v[180:181], v[78:79], v[182:183] op_sel_hi:[1,1,0]
	v_pk_fma_f32 v[152:153], v[152:153], v[78:79], v[174:175] op_sel_hi:[1,1,0] neg_lo:[0,0,1] neg_hi:[0,0,1]
	v_pk_fma_f32 v[148:149], v[156:157], v[78:79], v[162:163] op_sel_hi:[1,1,0] neg_lo:[0,0,1] neg_hi:[0,0,1]
	v_dual_mov_b32 v169, v151 :: v_dual_mov_b32 v153, v171
	s_delay_alu instid0(VALU_DEP_4) | instskip(SKIP_2) | instid1(VALU_DEP_4)
	v_dual_mov_b32 v173, v155 :: v_dual_mov_b32 v149, v147
	v_pk_add_f32 v[96:97], v[96:97], v[184:185] neg_lo:[0,1] neg_hi:[0,1]
	v_pk_add_f32 v[94:95], v[94:95], v[166:167] neg_lo:[0,1] neg_hi:[0,1]
	;; [unrolled: 1-line block ×6, first 2 shown]
.LBB51_181:
	s_or_b32 exec_lo, exec_lo, s1
	s_delay_alu instid0(SALU_CYCLE_1)
	s_mov_b32 s2, exec_lo
	s_wait_dscnt 0x0
	s_barrier_signal -1
	s_barrier_wait -1
	v_cmpx_eq_u32_e32 20, v158
	s_cbranch_execz .LBB51_188
; %bb.182:
	ds_store_b64 v159, v[96:97]
	ds_store_2addr_b64 v160, v[94:95], v[102:103] offset0:21 offset1:22
	ds_store_2addr_b64 v160, v[100:101], v[98:99] offset0:23 offset1:24
	ds_store_b64 v160, v[104:105] offset:200
	ds_load_b64 v[146:147], v159
	s_wait_dscnt 0x0
	v_cmp_neq_f32_e32 vcc_lo, 0, v146
	v_cmp_neq_f32_e64 s1, 0, v147
	s_or_b32 s1, vcc_lo, s1
	s_delay_alu instid0(SALU_CYCLE_1)
	s_and_b32 exec_lo, exec_lo, s1
	s_cbranch_execz .LBB51_188
; %bb.183:
	v_cmp_ngt_f32_e64 s1, |v146|, |v147|
                                        ; implicit-def: $vgpr148_vgpr149
	s_and_saveexec_b32 s4, s1
	s_delay_alu instid0(SALU_CYCLE_1)
	s_xor_b32 s1, exec_lo, s4
	s_cbranch_execz .LBB51_185
; %bb.184:
	v_div_scale_f32 v148, null, v147, v147, v146
	v_div_scale_f32 v151, vcc_lo, v146, v147, v146
	s_delay_alu instid0(VALU_DEP_2) | instskip(SKIP_1) | instid1(TRANS32_DEP_1)
	v_rcp_f32_e32 v149, v148
	v_nop
	v_fma_f32 v150, -v148, v149, 1.0
	s_delay_alu instid0(VALU_DEP_1) | instskip(NEXT) | instid1(VALU_DEP_1)
	v_fmac_f32_e32 v149, v150, v149
	v_mul_f32_e32 v150, v151, v149
	s_delay_alu instid0(VALU_DEP_1) | instskip(NEXT) | instid1(VALU_DEP_1)
	v_fma_f32 v152, -v148, v150, v151
	v_fmac_f32_e32 v150, v152, v149
	s_delay_alu instid0(VALU_DEP_1) | instskip(NEXT) | instid1(VALU_DEP_1)
	v_fma_f32 v148, -v148, v150, v151
	v_div_fmas_f32 v148, v148, v149, v150
	s_delay_alu instid0(VALU_DEP_1) | instskip(NEXT) | instid1(VALU_DEP_1)
	v_div_fixup_f32 v148, v148, v147, v146
	v_fmac_f32_e32 v147, v146, v148
	s_delay_alu instid0(VALU_DEP_1) | instskip(SKIP_1) | instid1(VALU_DEP_2)
	v_div_scale_f32 v146, null, v147, v147, 1.0
	v_div_scale_f32 v151, vcc_lo, 1.0, v147, 1.0
	v_rcp_f32_e32 v149, v146
	v_nop
	s_delay_alu instid0(TRANS32_DEP_1) | instskip(NEXT) | instid1(VALU_DEP_1)
	v_fma_f32 v150, -v146, v149, 1.0
	v_fmac_f32_e32 v149, v150, v149
	s_delay_alu instid0(VALU_DEP_1) | instskip(NEXT) | instid1(VALU_DEP_1)
	v_mul_f32_e32 v150, v151, v149
	v_fma_f32 v152, -v146, v150, v151
	s_delay_alu instid0(VALU_DEP_1) | instskip(NEXT) | instid1(VALU_DEP_1)
	v_fmac_f32_e32 v150, v152, v149
	v_fma_f32 v146, -v146, v150, v151
	s_delay_alu instid0(VALU_DEP_1) | instskip(NEXT) | instid1(VALU_DEP_1)
	v_div_fmas_f32 v146, v146, v149, v150
	v_div_fixup_f32 v146, v146, v147, 1.0
	s_delay_alu instid0(VALU_DEP_1)
	v_mul_f32_e32 v148, v148, v146
	v_xor_b32_e32 v149, 0x80000000, v146
                                        ; implicit-def: $vgpr146_vgpr147
.LBB51_185:
	s_and_not1_saveexec_b32 s1, s1
	s_cbranch_execz .LBB51_187
; %bb.186:
	v_div_scale_f32 v148, null, v146, v146, v147
	v_div_scale_f32 v151, vcc_lo, v147, v146, v147
	s_delay_alu instid0(VALU_DEP_2) | instskip(SKIP_1) | instid1(TRANS32_DEP_1)
	v_rcp_f32_e32 v149, v148
	v_nop
	v_fma_f32 v150, -v148, v149, 1.0
	s_delay_alu instid0(VALU_DEP_1) | instskip(NEXT) | instid1(VALU_DEP_1)
	v_fmac_f32_e32 v149, v150, v149
	v_mul_f32_e32 v150, v151, v149
	s_delay_alu instid0(VALU_DEP_1) | instskip(NEXT) | instid1(VALU_DEP_1)
	v_fma_f32 v152, -v148, v150, v151
	v_fmac_f32_e32 v150, v152, v149
	s_delay_alu instid0(VALU_DEP_1) | instskip(NEXT) | instid1(VALU_DEP_1)
	v_fma_f32 v148, -v148, v150, v151
	v_div_fmas_f32 v148, v148, v149, v150
	s_delay_alu instid0(VALU_DEP_1) | instskip(NEXT) | instid1(VALU_DEP_1)
	v_div_fixup_f32 v149, v148, v146, v147
	v_fmac_f32_e32 v146, v147, v149
	s_delay_alu instid0(VALU_DEP_1) | instskip(NEXT) | instid1(VALU_DEP_1)
	v_div_scale_f32 v147, null, v146, v146, 1.0
	v_rcp_f32_e32 v148, v147
	v_nop
	s_delay_alu instid0(TRANS32_DEP_1) | instskip(NEXT) | instid1(VALU_DEP_1)
	v_fma_f32 v150, -v147, v148, 1.0
	v_fmac_f32_e32 v148, v150, v148
	v_div_scale_f32 v150, vcc_lo, 1.0, v146, 1.0
	s_delay_alu instid0(VALU_DEP_1) | instskip(NEXT) | instid1(VALU_DEP_1)
	v_mul_f32_e32 v151, v150, v148
	v_fma_f32 v152, -v147, v151, v150
	s_delay_alu instid0(VALU_DEP_1) | instskip(NEXT) | instid1(VALU_DEP_1)
	v_fmac_f32_e32 v151, v152, v148
	v_fma_f32 v147, -v147, v151, v150
	s_delay_alu instid0(VALU_DEP_1) | instskip(NEXT) | instid1(VALU_DEP_1)
	v_div_fmas_f32 v147, v147, v148, v151
	v_div_fixup_f32 v148, v147, v146, 1.0
	s_delay_alu instid0(VALU_DEP_1)
	v_mul_f32_e64 v149, v149, -v148
.LBB51_187:
	s_or_b32 exec_lo, exec_lo, s1
	ds_store_b64 v159, v[148:149]
.LBB51_188:
	s_or_b32 exec_lo, exec_lo, s2
	s_wait_dscnt 0x0
	s_barrier_signal -1
	s_barrier_wait -1
	ds_load_b64 v[146:147], v159
	s_mov_b32 s1, exec_lo
	v_cmpx_lt_u32_e32 20, v158
	s_cbranch_execz .LBB51_190
; %bb.189:
	ds_load_2addr_b64 v[148:151], v160 offset0:21 offset1:22
	ds_load_2addr_b64 v[152:155], v160 offset0:23 offset1:24
	ds_load_b64 v[156:157], v160 offset:200
	s_wait_dscnt 0x3
	v_pk_mul_f32 v[162:163], v[146:147], v[96:97] op_sel:[1,1] op_sel_hi:[0,1]
	s_delay_alu instid0(VALU_DEP_1) | instskip(SKIP_1) | instid1(VALU_DEP_1)
	v_pk_fma_f32 v[164:165], v[146:147], v[96:97], v[162:163] op_sel_hi:[1,0,1] neg_lo:[0,0,1] neg_hi:[0,0,1]
	v_pk_fma_f32 v[162:163], v[146:147], v[96:97], v[162:163] op_sel_hi:[1,0,1]
	v_dual_mov_b32 v96, v164 :: v_dual_mov_b32 v97, v163
	s_wait_dscnt 0x2
	s_delay_alu instid0(VALU_DEP_2)
	v_pk_mul_f32 v[166:167], v[148:149], v[162:163] op_sel:[0,1]
	v_pk_mul_f32 v[168:169], v[150:151], v[162:163] op_sel:[0,1]
	s_wait_dscnt 0x1
	v_pk_mul_f32 v[170:171], v[152:153], v[162:163] op_sel:[0,1]
	v_dual_mov_b32 v172, v155 :: v_dual_mov_b32 v173, v154
	v_dual_mul_f32 v174, v155, v163 :: v_dual_mul_f32 v176, v155, v164
	s_wait_dscnt 0x0
	v_pk_mul_f32 v[162:163], v[156:157], v[162:163] op_sel:[0,1]
	v_pk_fma_f32 v[178:179], v[148:149], v[164:165], v[166:167] op_sel:[0,0,1] op_sel_hi:[1,1,0] neg_lo:[0,0,1] neg_hi:[0,0,1]
	v_pk_fma_f32 v[148:149], v[148:149], v[164:165], v[166:167] op_sel:[0,0,1] op_sel_hi:[1,0,0]
	v_pk_fma_f32 v[166:167], v[150:151], v[164:165], v[168:169] op_sel:[0,0,1] op_sel_hi:[1,1,0] neg_lo:[0,0,1] neg_hi:[0,0,1]
	v_pk_fma_f32 v[150:151], v[150:151], v[164:165], v[168:169] op_sel:[0,0,1] op_sel_hi:[1,0,0]
	;; [unrolled: 2-line block ×3, first 2 shown]
	v_pk_fma_f32 v[170:171], v[172:173], v[96:97], v[176:177] op_sel_hi:[1,1,0]
	v_pk_fma_f32 v[172:173], v[156:157], v[164:165], v[162:163] op_sel:[0,0,1] op_sel_hi:[1,1,0] neg_lo:[0,0,1] neg_hi:[0,0,1]
	v_pk_fma_f32 v[156:157], v[156:157], v[164:165], v[162:163] op_sel:[0,0,1] op_sel_hi:[1,0,0]
	v_pk_fma_f32 v[154:155], v[154:155], v[96:97], v[174:175] op_sel_hi:[1,1,0] neg_lo:[0,0,1] neg_hi:[0,0,1]
	v_dual_mov_b32 v179, v149 :: v_dual_mov_b32 v167, v151
	v_dual_mov_b32 v169, v153 :: v_dual_mov_b32 v155, v171
	s_delay_alu instid0(VALU_DEP_4) | instskip(NEXT) | instid1(VALU_DEP_3)
	v_mov_b32_e32 v173, v157
	v_pk_add_f32 v[94:95], v[94:95], v[178:179] neg_lo:[0,1] neg_hi:[0,1]
	s_delay_alu instid0(VALU_DEP_4) | instskip(NEXT) | instid1(VALU_DEP_4)
	v_pk_add_f32 v[102:103], v[102:103], v[166:167] neg_lo:[0,1] neg_hi:[0,1]
	v_pk_add_f32 v[100:101], v[100:101], v[168:169] neg_lo:[0,1] neg_hi:[0,1]
	;; [unrolled: 1-line block ×4, first 2 shown]
.LBB51_190:
	s_or_b32 exec_lo, exec_lo, s1
	s_delay_alu instid0(SALU_CYCLE_1)
	s_mov_b32 s2, exec_lo
	s_wait_dscnt 0x0
	s_barrier_signal -1
	s_barrier_wait -1
	v_cmpx_eq_u32_e32 21, v158
	s_cbranch_execz .LBB51_197
; %bb.191:
	v_dual_mov_b32 v148, v102 :: v_dual_mov_b32 v149, v103
	v_dual_mov_b32 v150, v100 :: v_dual_mov_b32 v151, v101
	;; [unrolled: 1-line block ×3, first 2 shown]
	ds_store_b64 v159, v[94:95]
	ds_store_2addr_b64 v160, v[148:149], v[150:151] offset0:22 offset1:23
	ds_store_2addr_b64 v160, v[152:153], v[104:105] offset0:24 offset1:25
	ds_load_b64 v[148:149], v159
	s_wait_dscnt 0x0
	v_cmp_neq_f32_e32 vcc_lo, 0, v148
	v_cmp_neq_f32_e64 s1, 0, v149
	s_or_b32 s1, vcc_lo, s1
	s_delay_alu instid0(SALU_CYCLE_1)
	s_and_b32 exec_lo, exec_lo, s1
	s_cbranch_execz .LBB51_197
; %bb.192:
	v_cmp_ngt_f32_e64 s1, |v148|, |v149|
                                        ; implicit-def: $vgpr150_vgpr151
	s_and_saveexec_b32 s4, s1
	s_delay_alu instid0(SALU_CYCLE_1)
	s_xor_b32 s1, exec_lo, s4
	s_cbranch_execz .LBB51_194
; %bb.193:
	v_div_scale_f32 v150, null, v149, v149, v148
	v_div_scale_f32 v153, vcc_lo, v148, v149, v148
	s_delay_alu instid0(VALU_DEP_2) | instskip(SKIP_1) | instid1(TRANS32_DEP_1)
	v_rcp_f32_e32 v151, v150
	v_nop
	v_fma_f32 v152, -v150, v151, 1.0
	s_delay_alu instid0(VALU_DEP_1) | instskip(NEXT) | instid1(VALU_DEP_1)
	v_fmac_f32_e32 v151, v152, v151
	v_mul_f32_e32 v152, v153, v151
	s_delay_alu instid0(VALU_DEP_1) | instskip(NEXT) | instid1(VALU_DEP_1)
	v_fma_f32 v154, -v150, v152, v153
	v_fmac_f32_e32 v152, v154, v151
	s_delay_alu instid0(VALU_DEP_1) | instskip(NEXT) | instid1(VALU_DEP_1)
	v_fma_f32 v150, -v150, v152, v153
	v_div_fmas_f32 v150, v150, v151, v152
	s_delay_alu instid0(VALU_DEP_1) | instskip(NEXT) | instid1(VALU_DEP_1)
	v_div_fixup_f32 v150, v150, v149, v148
	v_fmac_f32_e32 v149, v148, v150
	s_delay_alu instid0(VALU_DEP_1) | instskip(SKIP_1) | instid1(VALU_DEP_2)
	v_div_scale_f32 v148, null, v149, v149, 1.0
	v_div_scale_f32 v153, vcc_lo, 1.0, v149, 1.0
	v_rcp_f32_e32 v151, v148
	v_nop
	s_delay_alu instid0(TRANS32_DEP_1) | instskip(NEXT) | instid1(VALU_DEP_1)
	v_fma_f32 v152, -v148, v151, 1.0
	v_fmac_f32_e32 v151, v152, v151
	s_delay_alu instid0(VALU_DEP_1) | instskip(NEXT) | instid1(VALU_DEP_1)
	v_mul_f32_e32 v152, v153, v151
	v_fma_f32 v154, -v148, v152, v153
	s_delay_alu instid0(VALU_DEP_1) | instskip(NEXT) | instid1(VALU_DEP_1)
	v_fmac_f32_e32 v152, v154, v151
	v_fma_f32 v148, -v148, v152, v153
	s_delay_alu instid0(VALU_DEP_1) | instskip(NEXT) | instid1(VALU_DEP_1)
	v_div_fmas_f32 v148, v148, v151, v152
	v_div_fixup_f32 v148, v148, v149, 1.0
	s_delay_alu instid0(VALU_DEP_1)
	v_mul_f32_e32 v150, v150, v148
	v_xor_b32_e32 v151, 0x80000000, v148
                                        ; implicit-def: $vgpr148_vgpr149
.LBB51_194:
	s_and_not1_saveexec_b32 s1, s1
	s_cbranch_execz .LBB51_196
; %bb.195:
	v_div_scale_f32 v150, null, v148, v148, v149
	v_div_scale_f32 v153, vcc_lo, v149, v148, v149
	s_delay_alu instid0(VALU_DEP_2) | instskip(SKIP_1) | instid1(TRANS32_DEP_1)
	v_rcp_f32_e32 v151, v150
	v_nop
	v_fma_f32 v152, -v150, v151, 1.0
	s_delay_alu instid0(VALU_DEP_1) | instskip(NEXT) | instid1(VALU_DEP_1)
	v_fmac_f32_e32 v151, v152, v151
	v_mul_f32_e32 v152, v153, v151
	s_delay_alu instid0(VALU_DEP_1) | instskip(NEXT) | instid1(VALU_DEP_1)
	v_fma_f32 v154, -v150, v152, v153
	v_fmac_f32_e32 v152, v154, v151
	s_delay_alu instid0(VALU_DEP_1) | instskip(NEXT) | instid1(VALU_DEP_1)
	v_fma_f32 v150, -v150, v152, v153
	v_div_fmas_f32 v150, v150, v151, v152
	s_delay_alu instid0(VALU_DEP_1) | instskip(NEXT) | instid1(VALU_DEP_1)
	v_div_fixup_f32 v151, v150, v148, v149
	v_fmac_f32_e32 v148, v149, v151
	s_delay_alu instid0(VALU_DEP_1) | instskip(NEXT) | instid1(VALU_DEP_1)
	v_div_scale_f32 v149, null, v148, v148, 1.0
	v_rcp_f32_e32 v150, v149
	v_nop
	s_delay_alu instid0(TRANS32_DEP_1) | instskip(NEXT) | instid1(VALU_DEP_1)
	v_fma_f32 v152, -v149, v150, 1.0
	v_fmac_f32_e32 v150, v152, v150
	v_div_scale_f32 v152, vcc_lo, 1.0, v148, 1.0
	s_delay_alu instid0(VALU_DEP_1) | instskip(NEXT) | instid1(VALU_DEP_1)
	v_mul_f32_e32 v153, v152, v150
	v_fma_f32 v154, -v149, v153, v152
	s_delay_alu instid0(VALU_DEP_1) | instskip(NEXT) | instid1(VALU_DEP_1)
	v_fmac_f32_e32 v153, v154, v150
	v_fma_f32 v149, -v149, v153, v152
	s_delay_alu instid0(VALU_DEP_1) | instskip(NEXT) | instid1(VALU_DEP_1)
	v_div_fmas_f32 v149, v149, v150, v153
	v_div_fixup_f32 v150, v149, v148, 1.0
	s_delay_alu instid0(VALU_DEP_1)
	v_mul_f32_e64 v151, v151, -v150
.LBB51_196:
	s_or_b32 exec_lo, exec_lo, s1
	ds_store_b64 v159, v[150:151]
.LBB51_197:
	s_or_b32 exec_lo, exec_lo, s2
	s_wait_dscnt 0x0
	s_barrier_signal -1
	s_barrier_wait -1
	ds_load_b64 v[148:149], v159
	s_mov_b32 s1, exec_lo
	v_cmpx_lt_u32_e32 21, v158
	s_cbranch_execz .LBB51_199
; %bb.198:
	ds_load_2addr_b64 v[150:153], v160 offset0:22 offset1:23
	ds_load_2addr_b64 v[154:157], v160 offset0:24 offset1:25
	s_wait_dscnt 0x2
	v_pk_mul_f32 v[162:163], v[148:149], v[94:95] op_sel:[1,1] op_sel_hi:[0,1]
	s_delay_alu instid0(VALU_DEP_1) | instskip(SKIP_1) | instid1(VALU_DEP_1)
	v_pk_fma_f32 v[164:165], v[148:149], v[94:95], v[162:163] op_sel_hi:[1,0,1] neg_lo:[0,0,1] neg_hi:[0,0,1]
	v_pk_fma_f32 v[162:163], v[148:149], v[94:95], v[162:163] op_sel_hi:[1,0,1]
	v_dual_mov_b32 v94, v164 :: v_dual_mov_b32 v95, v163
	s_wait_dscnt 0x1
	s_delay_alu instid0(VALU_DEP_2)
	v_pk_mul_f32 v[166:167], v[150:151], v[162:163] op_sel:[0,1]
	s_wait_dscnt 0x0
	v_mov_b32_e32 v168, v157
	v_pk_mul_f32 v[170:171], v[152:153], v[162:163] op_sel:[0,1]
	v_pk_mul_f32 v[172:173], v[154:155], v[162:163] op_sel:[0,1]
	v_pk_fma_f32 v[174:175], v[150:151], v[164:165], v[166:167] op_sel:[0,0,1] op_sel_hi:[1,1,0] neg_lo:[0,0,1] neg_hi:[0,0,1]
	v_pk_fma_f32 v[150:151], v[150:151], v[164:165], v[166:167] op_sel:[0,0,1] op_sel_hi:[1,0,0]
	s_delay_alu instid0(VALU_DEP_1) | instskip(NEXT) | instid1(VALU_DEP_1)
	v_dual_mov_b32 v169, v156 :: v_dual_mov_b32 v175, v151
	v_pk_mul_f32 v[166:167], v[168:169], v[162:163] op_sel:[0,1]
	v_pk_fma_f32 v[168:169], v[152:153], v[164:165], v[170:171] op_sel:[0,0,1] op_sel_hi:[1,0,0]
	v_pk_fma_f32 v[152:153], v[152:153], v[164:165], v[170:171] op_sel:[0,0,1] op_sel_hi:[1,1,0] neg_lo:[0,0,1] neg_hi:[0,0,1]
	v_pk_fma_f32 v[170:171], v[154:155], v[164:165], v[172:173] op_sel:[0,0,1] op_sel_hi:[1,0,0]
	v_pk_fma_f32 v[154:155], v[154:155], v[164:165], v[172:173] op_sel:[0,0,1] op_sel_hi:[1,1,0] neg_lo:[0,0,1] neg_hi:[0,0,1]
	v_pk_fma_f32 v[150:151], v[156:157], v[164:165], v[166:167] op_sel_hi:[1,0,1]
	v_pk_fma_f32 v[156:157], v[156:157], v[164:165], v[166:167] neg_lo:[0,0,1] neg_hi:[0,0,1]
	s_delay_alu instid0(VALU_DEP_4) | instskip(SKIP_1) | instid1(VALU_DEP_4)
	v_dual_mov_b32 v153, v169 :: v_dual_mov_b32 v155, v171
	v_pk_add_f32 v[102:103], v[102:103], v[174:175] neg_lo:[0,1] neg_hi:[0,1]
	v_mov_b32_e32 v157, v151
	s_delay_alu instid0(VALU_DEP_3) | instskip(NEXT) | instid1(VALU_DEP_4)
	v_pk_add_f32 v[100:101], v[100:101], v[152:153] neg_lo:[0,1] neg_hi:[0,1]
	v_pk_add_f32 v[98:99], v[98:99], v[154:155] neg_lo:[0,1] neg_hi:[0,1]
	s_delay_alu instid0(VALU_DEP_3)
	v_pk_add_f32 v[104:105], v[104:105], v[156:157] neg_lo:[0,1] neg_hi:[0,1]
.LBB51_199:
	s_or_b32 exec_lo, exec_lo, s1
	s_delay_alu instid0(SALU_CYCLE_1)
	s_mov_b32 s2, exec_lo
	s_wait_dscnt 0x0
	s_barrier_signal -1
	s_barrier_wait -1
	v_cmpx_eq_u32_e32 22, v158
	s_cbranch_execz .LBB51_206
; %bb.200:
	ds_store_b64 v159, v[102:103]
	ds_store_2addr_b64 v160, v[100:101], v[98:99] offset0:23 offset1:24
	ds_store_b64 v160, v[104:105] offset:200
	ds_load_b64 v[150:151], v159
	s_wait_dscnt 0x0
	v_cmp_neq_f32_e32 vcc_lo, 0, v150
	v_cmp_neq_f32_e64 s1, 0, v151
	s_or_b32 s1, vcc_lo, s1
	s_delay_alu instid0(SALU_CYCLE_1)
	s_and_b32 exec_lo, exec_lo, s1
	s_cbranch_execz .LBB51_206
; %bb.201:
	v_cmp_ngt_f32_e64 s1, |v150|, |v151|
                                        ; implicit-def: $vgpr152_vgpr153
	s_and_saveexec_b32 s4, s1
	s_delay_alu instid0(SALU_CYCLE_1)
	s_xor_b32 s1, exec_lo, s4
	s_cbranch_execz .LBB51_203
; %bb.202:
	v_div_scale_f32 v152, null, v151, v151, v150
	v_div_scale_f32 v155, vcc_lo, v150, v151, v150
	s_delay_alu instid0(VALU_DEP_2) | instskip(SKIP_1) | instid1(TRANS32_DEP_1)
	v_rcp_f32_e32 v153, v152
	v_nop
	v_fma_f32 v154, -v152, v153, 1.0
	s_delay_alu instid0(VALU_DEP_1) | instskip(NEXT) | instid1(VALU_DEP_1)
	v_fmac_f32_e32 v153, v154, v153
	v_mul_f32_e32 v154, v155, v153
	s_delay_alu instid0(VALU_DEP_1) | instskip(NEXT) | instid1(VALU_DEP_1)
	v_fma_f32 v156, -v152, v154, v155
	v_fmac_f32_e32 v154, v156, v153
	s_delay_alu instid0(VALU_DEP_1) | instskip(NEXT) | instid1(VALU_DEP_1)
	v_fma_f32 v152, -v152, v154, v155
	v_div_fmas_f32 v152, v152, v153, v154
	s_delay_alu instid0(VALU_DEP_1) | instskip(NEXT) | instid1(VALU_DEP_1)
	v_div_fixup_f32 v152, v152, v151, v150
	v_fmac_f32_e32 v151, v150, v152
	s_delay_alu instid0(VALU_DEP_1) | instskip(SKIP_1) | instid1(VALU_DEP_2)
	v_div_scale_f32 v150, null, v151, v151, 1.0
	v_div_scale_f32 v155, vcc_lo, 1.0, v151, 1.0
	v_rcp_f32_e32 v153, v150
	v_nop
	s_delay_alu instid0(TRANS32_DEP_1) | instskip(NEXT) | instid1(VALU_DEP_1)
	v_fma_f32 v154, -v150, v153, 1.0
	v_fmac_f32_e32 v153, v154, v153
	s_delay_alu instid0(VALU_DEP_1) | instskip(NEXT) | instid1(VALU_DEP_1)
	v_mul_f32_e32 v154, v155, v153
	v_fma_f32 v156, -v150, v154, v155
	s_delay_alu instid0(VALU_DEP_1) | instskip(NEXT) | instid1(VALU_DEP_1)
	v_fmac_f32_e32 v154, v156, v153
	v_fma_f32 v150, -v150, v154, v155
	s_delay_alu instid0(VALU_DEP_1) | instskip(NEXT) | instid1(VALU_DEP_1)
	v_div_fmas_f32 v150, v150, v153, v154
	v_div_fixup_f32 v150, v150, v151, 1.0
	s_delay_alu instid0(VALU_DEP_1)
	v_mul_f32_e32 v152, v152, v150
	v_xor_b32_e32 v153, 0x80000000, v150
                                        ; implicit-def: $vgpr150_vgpr151
.LBB51_203:
	s_and_not1_saveexec_b32 s1, s1
	s_cbranch_execz .LBB51_205
; %bb.204:
	v_div_scale_f32 v152, null, v150, v150, v151
	v_div_scale_f32 v155, vcc_lo, v151, v150, v151
	s_delay_alu instid0(VALU_DEP_2) | instskip(SKIP_1) | instid1(TRANS32_DEP_1)
	v_rcp_f32_e32 v153, v152
	v_nop
	v_fma_f32 v154, -v152, v153, 1.0
	s_delay_alu instid0(VALU_DEP_1) | instskip(NEXT) | instid1(VALU_DEP_1)
	v_fmac_f32_e32 v153, v154, v153
	v_mul_f32_e32 v154, v155, v153
	s_delay_alu instid0(VALU_DEP_1) | instskip(NEXT) | instid1(VALU_DEP_1)
	v_fma_f32 v156, -v152, v154, v155
	v_fmac_f32_e32 v154, v156, v153
	s_delay_alu instid0(VALU_DEP_1) | instskip(NEXT) | instid1(VALU_DEP_1)
	v_fma_f32 v152, -v152, v154, v155
	v_div_fmas_f32 v152, v152, v153, v154
	s_delay_alu instid0(VALU_DEP_1) | instskip(NEXT) | instid1(VALU_DEP_1)
	v_div_fixup_f32 v153, v152, v150, v151
	v_fmac_f32_e32 v150, v151, v153
	s_delay_alu instid0(VALU_DEP_1) | instskip(NEXT) | instid1(VALU_DEP_1)
	v_div_scale_f32 v151, null, v150, v150, 1.0
	v_rcp_f32_e32 v152, v151
	v_nop
	s_delay_alu instid0(TRANS32_DEP_1) | instskip(NEXT) | instid1(VALU_DEP_1)
	v_fma_f32 v154, -v151, v152, 1.0
	v_fmac_f32_e32 v152, v154, v152
	v_div_scale_f32 v154, vcc_lo, 1.0, v150, 1.0
	s_delay_alu instid0(VALU_DEP_1) | instskip(NEXT) | instid1(VALU_DEP_1)
	v_mul_f32_e32 v155, v154, v152
	v_fma_f32 v156, -v151, v155, v154
	s_delay_alu instid0(VALU_DEP_1) | instskip(NEXT) | instid1(VALU_DEP_1)
	v_fmac_f32_e32 v155, v156, v152
	v_fma_f32 v151, -v151, v155, v154
	s_delay_alu instid0(VALU_DEP_1) | instskip(NEXT) | instid1(VALU_DEP_1)
	v_div_fmas_f32 v151, v151, v152, v155
	v_div_fixup_f32 v152, v151, v150, 1.0
	s_delay_alu instid0(VALU_DEP_1)
	v_mul_f32_e64 v153, v153, -v152
.LBB51_205:
	s_or_b32 exec_lo, exec_lo, s1
	ds_store_b64 v159, v[152:153]
.LBB51_206:
	s_or_b32 exec_lo, exec_lo, s2
	s_wait_dscnt 0x0
	s_barrier_signal -1
	s_barrier_wait -1
	ds_load_b64 v[150:151], v159
	s_mov_b32 s1, exec_lo
	v_cmpx_lt_u32_e32 22, v158
	s_cbranch_execz .LBB51_208
; %bb.207:
	ds_load_2addr_b64 v[152:155], v160 offset0:23 offset1:24
	ds_load_b64 v[156:157], v160 offset:200
	s_wait_dscnt 0x2
	v_pk_mul_f32 v[162:163], v[150:151], v[102:103] op_sel:[1,1] op_sel_hi:[0,1]
	s_delay_alu instid0(VALU_DEP_1) | instskip(SKIP_2) | instid1(VALU_DEP_2)
	v_pk_fma_f32 v[164:165], v[150:151], v[102:103], v[162:163] op_sel_hi:[1,0,1]
	v_pk_fma_f32 v[102:103], v[150:151], v[102:103], v[162:163] op_sel_hi:[1,0,1] neg_lo:[0,0,1] neg_hi:[0,0,1]
	s_wait_dscnt 0x1
	v_pk_mul_f32 v[162:163], v[152:153], v[164:165] op_sel:[0,1]
	v_pk_mul_f32 v[166:167], v[154:155], v[164:165] op_sel:[0,1]
	s_wait_dscnt 0x0
	v_pk_mul_f32 v[168:169], v[156:157], v[164:165] op_sel:[1,1] op_sel_hi:[0,1]
	s_delay_alu instid0(VALU_DEP_3) | instskip(SKIP_2) | instid1(VALU_DEP_4)
	v_pk_fma_f32 v[170:171], v[152:153], v[102:103], v[162:163] op_sel:[0,0,1] op_sel_hi:[1,1,0] neg_lo:[0,0,1] neg_hi:[0,0,1]
	v_pk_fma_f32 v[152:153], v[152:153], v[102:103], v[162:163] op_sel:[0,0,1] op_sel_hi:[1,0,0]
	v_pk_fma_f32 v[162:163], v[154:155], v[102:103], v[166:167] op_sel:[0,0,1] op_sel_hi:[1,0,0]
	v_pk_fma_f32 v[172:173], v[156:157], v[102:103], v[168:169] op_sel_hi:[1,0,1]
	v_pk_fma_f32 v[154:155], v[154:155], v[102:103], v[166:167] op_sel:[0,0,1] op_sel_hi:[1,1,0] neg_lo:[0,0,1] neg_hi:[0,0,1]
	v_pk_fma_f32 v[156:157], v[156:157], v[102:103], v[168:169] neg_lo:[0,0,1] neg_hi:[0,0,1]
	s_delay_alu instid0(VALU_DEP_4) | instskip(NEXT) | instid1(VALU_DEP_4)
	v_dual_mov_b32 v171, v153 :: v_dual_mov_b32 v155, v163
	v_dual_mov_b32 v157, v173 :: v_dual_mov_b32 v103, v165
	s_delay_alu instid0(VALU_DEP_2) | instskip(NEXT) | instid1(VALU_DEP_3)
	v_pk_add_f32 v[100:101], v[100:101], v[170:171] neg_lo:[0,1] neg_hi:[0,1]
	v_pk_add_f32 v[98:99], v[98:99], v[154:155] neg_lo:[0,1] neg_hi:[0,1]
	s_delay_alu instid0(VALU_DEP_3)
	v_pk_add_f32 v[104:105], v[104:105], v[156:157] neg_lo:[0,1] neg_hi:[0,1]
.LBB51_208:
	s_or_b32 exec_lo, exec_lo, s1
	s_delay_alu instid0(SALU_CYCLE_1)
	s_mov_b32 s2, exec_lo
	s_wait_dscnt 0x0
	s_barrier_signal -1
	s_barrier_wait -1
	v_cmpx_eq_u32_e32 23, v158
	s_cbranch_execz .LBB51_215
; %bb.209:
	v_dual_mov_b32 v152, v98 :: v_dual_mov_b32 v153, v99
	ds_store_b64 v159, v[100:101]
	ds_store_2addr_b64 v160, v[152:153], v[104:105] offset0:24 offset1:25
	ds_load_b64 v[152:153], v159
	s_wait_dscnt 0x0
	v_cmp_neq_f32_e32 vcc_lo, 0, v152
	v_cmp_neq_f32_e64 s1, 0, v153
	s_or_b32 s1, vcc_lo, s1
	s_delay_alu instid0(SALU_CYCLE_1)
	s_and_b32 exec_lo, exec_lo, s1
	s_cbranch_execz .LBB51_215
; %bb.210:
	v_cmp_ngt_f32_e64 s1, |v152|, |v153|
                                        ; implicit-def: $vgpr154_vgpr155
	s_and_saveexec_b32 s4, s1
	s_delay_alu instid0(SALU_CYCLE_1)
	s_xor_b32 s1, exec_lo, s4
	s_cbranch_execz .LBB51_212
; %bb.211:
	v_div_scale_f32 v154, null, v153, v153, v152
	v_div_scale_f32 v157, vcc_lo, v152, v153, v152
	s_delay_alu instid0(VALU_DEP_2) | instskip(SKIP_1) | instid1(TRANS32_DEP_1)
	v_rcp_f32_e32 v155, v154
	v_nop
	v_fma_f32 v156, -v154, v155, 1.0
	s_delay_alu instid0(VALU_DEP_1) | instskip(NEXT) | instid1(VALU_DEP_1)
	v_fmac_f32_e32 v155, v156, v155
	v_mul_f32_e32 v156, v157, v155
	s_delay_alu instid0(VALU_DEP_1) | instskip(NEXT) | instid1(VALU_DEP_1)
	v_fma_f32 v161, -v154, v156, v157
	v_fmac_f32_e32 v156, v161, v155
	s_delay_alu instid0(VALU_DEP_1) | instskip(NEXT) | instid1(VALU_DEP_1)
	v_fma_f32 v154, -v154, v156, v157
	v_div_fmas_f32 v154, v154, v155, v156
	s_delay_alu instid0(VALU_DEP_1) | instskip(NEXT) | instid1(VALU_DEP_1)
	v_div_fixup_f32 v154, v154, v153, v152
	v_fmac_f32_e32 v153, v152, v154
	s_delay_alu instid0(VALU_DEP_1) | instskip(SKIP_1) | instid1(VALU_DEP_2)
	v_div_scale_f32 v152, null, v153, v153, 1.0
	v_div_scale_f32 v157, vcc_lo, 1.0, v153, 1.0
	v_rcp_f32_e32 v155, v152
	v_nop
	s_delay_alu instid0(TRANS32_DEP_1) | instskip(NEXT) | instid1(VALU_DEP_1)
	v_fma_f32 v156, -v152, v155, 1.0
	v_fmac_f32_e32 v155, v156, v155
	s_delay_alu instid0(VALU_DEP_1) | instskip(NEXT) | instid1(VALU_DEP_1)
	v_mul_f32_e32 v156, v157, v155
	v_fma_f32 v161, -v152, v156, v157
	s_delay_alu instid0(VALU_DEP_1) | instskip(NEXT) | instid1(VALU_DEP_1)
	v_fmac_f32_e32 v156, v161, v155
	v_fma_f32 v152, -v152, v156, v157
	s_delay_alu instid0(VALU_DEP_1) | instskip(NEXT) | instid1(VALU_DEP_1)
	v_div_fmas_f32 v152, v152, v155, v156
	v_div_fixup_f32 v152, v152, v153, 1.0
	s_delay_alu instid0(VALU_DEP_1)
	v_mul_f32_e32 v154, v154, v152
	v_xor_b32_e32 v155, 0x80000000, v152
                                        ; implicit-def: $vgpr152_vgpr153
.LBB51_212:
	s_and_not1_saveexec_b32 s1, s1
	s_cbranch_execz .LBB51_214
; %bb.213:
	v_div_scale_f32 v154, null, v152, v152, v153
	v_div_scale_f32 v157, vcc_lo, v153, v152, v153
	s_delay_alu instid0(VALU_DEP_2) | instskip(SKIP_1) | instid1(TRANS32_DEP_1)
	v_rcp_f32_e32 v155, v154
	v_nop
	v_fma_f32 v156, -v154, v155, 1.0
	s_delay_alu instid0(VALU_DEP_1) | instskip(NEXT) | instid1(VALU_DEP_1)
	v_fmac_f32_e32 v155, v156, v155
	v_mul_f32_e32 v156, v157, v155
	s_delay_alu instid0(VALU_DEP_1) | instskip(NEXT) | instid1(VALU_DEP_1)
	v_fma_f32 v161, -v154, v156, v157
	v_fmac_f32_e32 v156, v161, v155
	s_delay_alu instid0(VALU_DEP_1) | instskip(NEXT) | instid1(VALU_DEP_1)
	v_fma_f32 v154, -v154, v156, v157
	v_div_fmas_f32 v154, v154, v155, v156
	s_delay_alu instid0(VALU_DEP_1) | instskip(NEXT) | instid1(VALU_DEP_1)
	v_div_fixup_f32 v155, v154, v152, v153
	v_fmac_f32_e32 v152, v153, v155
	s_delay_alu instid0(VALU_DEP_1) | instskip(NEXT) | instid1(VALU_DEP_1)
	v_div_scale_f32 v153, null, v152, v152, 1.0
	v_rcp_f32_e32 v154, v153
	v_nop
	s_delay_alu instid0(TRANS32_DEP_1) | instskip(NEXT) | instid1(VALU_DEP_1)
	v_fma_f32 v156, -v153, v154, 1.0
	v_fmac_f32_e32 v154, v156, v154
	v_div_scale_f32 v156, vcc_lo, 1.0, v152, 1.0
	s_delay_alu instid0(VALU_DEP_1) | instskip(NEXT) | instid1(VALU_DEP_1)
	v_mul_f32_e32 v157, v156, v154
	v_fma_f32 v161, -v153, v157, v156
	s_delay_alu instid0(VALU_DEP_1) | instskip(NEXT) | instid1(VALU_DEP_1)
	v_fmac_f32_e32 v157, v161, v154
	v_fma_f32 v153, -v153, v157, v156
	s_delay_alu instid0(VALU_DEP_1) | instskip(NEXT) | instid1(VALU_DEP_1)
	v_div_fmas_f32 v153, v153, v154, v157
	v_div_fixup_f32 v154, v153, v152, 1.0
	s_delay_alu instid0(VALU_DEP_1)
	v_mul_f32_e64 v155, v155, -v154
.LBB51_214:
	s_or_b32 exec_lo, exec_lo, s1
	ds_store_b64 v159, v[154:155]
.LBB51_215:
	s_or_b32 exec_lo, exec_lo, s2
	s_wait_dscnt 0x0
	s_barrier_signal -1
	s_barrier_wait -1
	ds_load_b64 v[152:153], v159
	s_mov_b32 s1, exec_lo
	v_cmpx_lt_u32_e32 23, v158
	s_cbranch_execz .LBB51_217
; %bb.216:
	ds_load_2addr_b64 v[154:157], v160 offset0:24 offset1:25
	s_wait_dscnt 0x1
	v_pk_mul_f32 v[162:163], v[152:153], v[100:101] op_sel:[1,1] op_sel_hi:[0,1]
	s_delay_alu instid0(VALU_DEP_1) | instskip(SKIP_3) | instid1(VALU_DEP_3)
	v_pk_fma_f32 v[164:165], v[152:153], v[100:101], v[162:163] op_sel_hi:[1,0,1]
	v_pk_fma_f32 v[100:101], v[152:153], v[100:101], v[162:163] op_sel_hi:[1,0,1] neg_lo:[0,0,1] neg_hi:[0,0,1]
	s_wait_dscnt 0x0
	v_dual_mov_b32 v166, v157 :: v_dual_mov_b32 v167, v156
	v_pk_mul_f32 v[162:163], v[154:155], v[164:165] op_sel:[0,1]
	s_delay_alu instid0(VALU_DEP_2) | instskip(NEXT) | instid1(VALU_DEP_2)
	v_pk_mul_f32 v[166:167], v[166:167], v[164:165] op_sel:[0,1]
	v_pk_fma_f32 v[168:169], v[154:155], v[100:101], v[162:163] op_sel:[0,0,1] op_sel_hi:[1,0,0]
	v_pk_fma_f32 v[154:155], v[154:155], v[100:101], v[162:163] op_sel:[0,0,1] op_sel_hi:[1,1,0] neg_lo:[0,0,1] neg_hi:[0,0,1]
	s_delay_alu instid0(VALU_DEP_3) | instskip(SKIP_1) | instid1(VALU_DEP_4)
	v_pk_fma_f32 v[170:171], v[156:157], v[100:101], v[166:167] op_sel_hi:[1,0,1]
	v_pk_fma_f32 v[156:157], v[156:157], v[100:101], v[166:167] neg_lo:[0,0,1] neg_hi:[0,0,1]
	v_dual_mov_b32 v155, v169 :: v_dual_mov_b32 v101, v165
	s_delay_alu instid0(VALU_DEP_3) | instskip(NEXT) | instid1(VALU_DEP_2)
	v_mov_b32_e32 v157, v171
	v_pk_add_f32 v[98:99], v[98:99], v[154:155] neg_lo:[0,1] neg_hi:[0,1]
	s_delay_alu instid0(VALU_DEP_2)
	v_pk_add_f32 v[104:105], v[104:105], v[156:157] neg_lo:[0,1] neg_hi:[0,1]
.LBB51_217:
	s_or_b32 exec_lo, exec_lo, s1
	s_delay_alu instid0(SALU_CYCLE_1)
	s_mov_b32 s2, exec_lo
	s_wait_dscnt 0x0
	s_barrier_signal -1
	s_barrier_wait -1
	v_cmpx_eq_u32_e32 24, v158
	s_cbranch_execz .LBB51_224
; %bb.218:
	ds_store_b64 v159, v[98:99]
	ds_store_b64 v160, v[104:105] offset:200
	ds_load_b64 v[154:155], v159
	s_wait_dscnt 0x0
	v_cmp_neq_f32_e32 vcc_lo, 0, v154
	v_cmp_neq_f32_e64 s1, 0, v155
	s_or_b32 s1, vcc_lo, s1
	s_delay_alu instid0(SALU_CYCLE_1)
	s_and_b32 exec_lo, exec_lo, s1
	s_cbranch_execz .LBB51_224
; %bb.219:
	v_cmp_ngt_f32_e64 s1, |v154|, |v155|
                                        ; implicit-def: $vgpr156_vgpr157
	s_and_saveexec_b32 s4, s1
	s_delay_alu instid0(SALU_CYCLE_1)
	s_xor_b32 s1, exec_lo, s4
	s_cbranch_execz .LBB51_221
; %bb.220:
	v_div_scale_f32 v156, null, v155, v155, v154
	v_div_scale_f32 v162, vcc_lo, v154, v155, v154
	s_delay_alu instid0(VALU_DEP_2) | instskip(SKIP_1) | instid1(TRANS32_DEP_1)
	v_rcp_f32_e32 v157, v156
	v_nop
	v_fma_f32 v161, -v156, v157, 1.0
	s_delay_alu instid0(VALU_DEP_1) | instskip(NEXT) | instid1(VALU_DEP_1)
	v_fmac_f32_e32 v157, v161, v157
	v_mul_f32_e32 v161, v162, v157
	s_delay_alu instid0(VALU_DEP_1) | instskip(NEXT) | instid1(VALU_DEP_1)
	v_fma_f32 v163, -v156, v161, v162
	v_fmac_f32_e32 v161, v163, v157
	s_delay_alu instid0(VALU_DEP_1) | instskip(NEXT) | instid1(VALU_DEP_1)
	v_fma_f32 v156, -v156, v161, v162
	v_div_fmas_f32 v156, v156, v157, v161
	s_delay_alu instid0(VALU_DEP_1) | instskip(NEXT) | instid1(VALU_DEP_1)
	v_div_fixup_f32 v156, v156, v155, v154
	v_fmac_f32_e32 v155, v154, v156
	s_delay_alu instid0(VALU_DEP_1) | instskip(SKIP_1) | instid1(VALU_DEP_2)
	v_div_scale_f32 v154, null, v155, v155, 1.0
	v_div_scale_f32 v162, vcc_lo, 1.0, v155, 1.0
	v_rcp_f32_e32 v157, v154
	v_nop
	s_delay_alu instid0(TRANS32_DEP_1) | instskip(NEXT) | instid1(VALU_DEP_1)
	v_fma_f32 v161, -v154, v157, 1.0
	v_fmac_f32_e32 v157, v161, v157
	s_delay_alu instid0(VALU_DEP_1) | instskip(NEXT) | instid1(VALU_DEP_1)
	v_mul_f32_e32 v161, v162, v157
	v_fma_f32 v163, -v154, v161, v162
	s_delay_alu instid0(VALU_DEP_1) | instskip(NEXT) | instid1(VALU_DEP_1)
	v_fmac_f32_e32 v161, v163, v157
	v_fma_f32 v154, -v154, v161, v162
	s_delay_alu instid0(VALU_DEP_1) | instskip(NEXT) | instid1(VALU_DEP_1)
	v_div_fmas_f32 v154, v154, v157, v161
	v_div_fixup_f32 v154, v154, v155, 1.0
	s_delay_alu instid0(VALU_DEP_1)
	v_mul_f32_e32 v156, v156, v154
	v_xor_b32_e32 v157, 0x80000000, v154
                                        ; implicit-def: $vgpr154_vgpr155
.LBB51_221:
	s_and_not1_saveexec_b32 s1, s1
	s_cbranch_execz .LBB51_223
; %bb.222:
	v_div_scale_f32 v156, null, v154, v154, v155
	v_div_scale_f32 v162, vcc_lo, v155, v154, v155
	s_delay_alu instid0(VALU_DEP_2) | instskip(SKIP_1) | instid1(TRANS32_DEP_1)
	v_rcp_f32_e32 v157, v156
	v_nop
	v_fma_f32 v161, -v156, v157, 1.0
	s_delay_alu instid0(VALU_DEP_1) | instskip(NEXT) | instid1(VALU_DEP_1)
	v_fmac_f32_e32 v157, v161, v157
	v_mul_f32_e32 v161, v162, v157
	s_delay_alu instid0(VALU_DEP_1) | instskip(NEXT) | instid1(VALU_DEP_1)
	v_fma_f32 v163, -v156, v161, v162
	v_fmac_f32_e32 v161, v163, v157
	s_delay_alu instid0(VALU_DEP_1) | instskip(NEXT) | instid1(VALU_DEP_1)
	v_fma_f32 v156, -v156, v161, v162
	v_div_fmas_f32 v156, v156, v157, v161
	s_delay_alu instid0(VALU_DEP_1) | instskip(NEXT) | instid1(VALU_DEP_1)
	v_div_fixup_f32 v157, v156, v154, v155
	v_fmac_f32_e32 v154, v155, v157
	s_delay_alu instid0(VALU_DEP_1) | instskip(NEXT) | instid1(VALU_DEP_1)
	v_div_scale_f32 v155, null, v154, v154, 1.0
	v_rcp_f32_e32 v156, v155
	v_nop
	s_delay_alu instid0(TRANS32_DEP_1) | instskip(NEXT) | instid1(VALU_DEP_1)
	v_fma_f32 v161, -v155, v156, 1.0
	v_fmac_f32_e32 v156, v161, v156
	v_div_scale_f32 v161, vcc_lo, 1.0, v154, 1.0
	s_delay_alu instid0(VALU_DEP_1) | instskip(NEXT) | instid1(VALU_DEP_1)
	v_mul_f32_e32 v162, v161, v156
	v_fma_f32 v163, -v155, v162, v161
	s_delay_alu instid0(VALU_DEP_1) | instskip(NEXT) | instid1(VALU_DEP_1)
	v_fmac_f32_e32 v162, v163, v156
	v_fma_f32 v155, -v155, v162, v161
	s_delay_alu instid0(VALU_DEP_1) | instskip(NEXT) | instid1(VALU_DEP_1)
	v_div_fmas_f32 v155, v155, v156, v162
	v_div_fixup_f32 v156, v155, v154, 1.0
	s_delay_alu instid0(VALU_DEP_1)
	v_mul_f32_e64 v157, v157, -v156
.LBB51_223:
	s_or_b32 exec_lo, exec_lo, s1
	ds_store_b64 v159, v[156:157]
.LBB51_224:
	s_or_b32 exec_lo, exec_lo, s2
	s_wait_dscnt 0x0
	s_barrier_signal -1
	s_barrier_wait -1
	ds_load_b64 v[154:155], v159
	s_mov_b32 s1, exec_lo
	v_cmpx_lt_u32_e32 24, v158
	s_cbranch_execz .LBB51_226
; %bb.225:
	ds_load_b64 v[156:157], v160 offset:200
	s_wait_dscnt 0x1
	v_pk_mul_f32 v[160:161], v[154:155], v[98:99] op_sel:[1,1] op_sel_hi:[0,1]
	s_delay_alu instid0(VALU_DEP_1) | instskip(SKIP_2) | instid1(VALU_DEP_2)
	v_pk_fma_f32 v[162:163], v[154:155], v[98:99], v[160:161] op_sel_hi:[1,0,1]
	v_pk_fma_f32 v[98:99], v[154:155], v[98:99], v[160:161] op_sel_hi:[1,0,1] neg_lo:[0,0,1] neg_hi:[0,0,1]
	s_wait_dscnt 0x0
	v_pk_mul_f32 v[160:161], v[156:157], v[162:163] op_sel:[1,1] op_sel_hi:[0,1]
	s_delay_alu instid0(VALU_DEP_1) | instskip(SKIP_1) | instid1(VALU_DEP_2)
	v_pk_fma_f32 v[164:165], v[156:157], v[98:99], v[160:161] op_sel_hi:[1,0,1]
	v_pk_fma_f32 v[156:157], v[156:157], v[98:99], v[160:161] neg_lo:[0,0,1] neg_hi:[0,0,1]
	v_dual_mov_b32 v99, v163 :: v_dual_mov_b32 v157, v165
	s_delay_alu instid0(VALU_DEP_1)
	v_pk_add_f32 v[104:105], v[104:105], v[156:157] neg_lo:[0,1] neg_hi:[0,1]
.LBB51_226:
	s_or_b32 exec_lo, exec_lo, s1
	s_delay_alu instid0(SALU_CYCLE_1)
	s_mov_b32 s2, exec_lo
	s_wait_dscnt 0x0
	s_barrier_signal -1
	s_barrier_wait -1
	v_cmpx_eq_u32_e32 25, v158
	s_cbranch_execz .LBB51_233
; %bb.227:
	v_cmp_neq_f32_e32 vcc_lo, 0, v104
	v_cmp_neq_f32_e64 s1, 0, v105
	ds_store_b64 v159, v[104:105]
	s_or_b32 s1, vcc_lo, s1
	s_delay_alu instid0(SALU_CYCLE_1)
	s_and_b32 exec_lo, exec_lo, s1
	s_cbranch_execz .LBB51_233
; %bb.228:
	v_cmp_ngt_f32_e64 s1, |v104|, |v105|
                                        ; implicit-def: $vgpr156_vgpr157
	s_and_saveexec_b32 s4, s1
	s_delay_alu instid0(SALU_CYCLE_1)
	s_xor_b32 s1, exec_lo, s4
	s_cbranch_execz .LBB51_230
; %bb.229:
	v_div_scale_f32 v156, null, v105, v105, v104
	v_div_scale_f32 v161, vcc_lo, v104, v105, v104
	s_delay_alu instid0(VALU_DEP_2) | instskip(SKIP_1) | instid1(TRANS32_DEP_1)
	v_rcp_f32_e32 v157, v156
	v_nop
	v_fma_f32 v160, -v156, v157, 1.0
	s_delay_alu instid0(VALU_DEP_1) | instskip(NEXT) | instid1(VALU_DEP_1)
	v_fmac_f32_e32 v157, v160, v157
	v_mul_f32_e32 v160, v161, v157
	s_delay_alu instid0(VALU_DEP_1) | instskip(NEXT) | instid1(VALU_DEP_1)
	v_fma_f32 v162, -v156, v160, v161
	v_fmac_f32_e32 v160, v162, v157
	s_delay_alu instid0(VALU_DEP_1) | instskip(NEXT) | instid1(VALU_DEP_1)
	v_fma_f32 v156, -v156, v160, v161
	v_div_fmas_f32 v156, v156, v157, v160
	s_delay_alu instid0(VALU_DEP_1) | instskip(NEXT) | instid1(VALU_DEP_1)
	v_div_fixup_f32 v156, v156, v105, v104
	v_fma_f32 v157, v104, v156, v105
	s_delay_alu instid0(VALU_DEP_1) | instskip(SKIP_1) | instid1(VALU_DEP_2)
	v_div_scale_f32 v160, null, v157, v157, 1.0
	v_div_scale_f32 v163, vcc_lo, 1.0, v157, 1.0
	v_rcp_f32_e32 v161, v160
	v_nop
	s_delay_alu instid0(TRANS32_DEP_1) | instskip(NEXT) | instid1(VALU_DEP_1)
	v_fma_f32 v162, -v160, v161, 1.0
	v_fmac_f32_e32 v161, v162, v161
	s_delay_alu instid0(VALU_DEP_1) | instskip(NEXT) | instid1(VALU_DEP_1)
	v_mul_f32_e32 v162, v163, v161
	v_fma_f32 v164, -v160, v162, v163
	s_delay_alu instid0(VALU_DEP_1) | instskip(NEXT) | instid1(VALU_DEP_1)
	v_fmac_f32_e32 v162, v164, v161
	v_fma_f32 v160, -v160, v162, v163
	s_delay_alu instid0(VALU_DEP_1) | instskip(NEXT) | instid1(VALU_DEP_1)
	v_div_fmas_f32 v160, v160, v161, v162
	v_div_fixup_f32 v157, v160, v157, 1.0
	s_delay_alu instid0(VALU_DEP_1)
	v_mul_f32_e32 v156, v156, v157
	v_xor_b32_e32 v157, 0x80000000, v157
.LBB51_230:
	s_and_not1_saveexec_b32 s1, s1
	s_cbranch_execz .LBB51_232
; %bb.231:
	v_div_scale_f32 v156, null, v104, v104, v105
	v_div_scale_f32 v161, vcc_lo, v105, v104, v105
	s_delay_alu instid0(VALU_DEP_2) | instskip(SKIP_1) | instid1(TRANS32_DEP_1)
	v_rcp_f32_e32 v157, v156
	v_nop
	v_fma_f32 v160, -v156, v157, 1.0
	s_delay_alu instid0(VALU_DEP_1) | instskip(NEXT) | instid1(VALU_DEP_1)
	v_fmac_f32_e32 v157, v160, v157
	v_mul_f32_e32 v160, v161, v157
	s_delay_alu instid0(VALU_DEP_1) | instskip(NEXT) | instid1(VALU_DEP_1)
	v_fma_f32 v162, -v156, v160, v161
	v_fmac_f32_e32 v160, v162, v157
	s_delay_alu instid0(VALU_DEP_1) | instskip(NEXT) | instid1(VALU_DEP_1)
	v_fma_f32 v156, -v156, v160, v161
	v_div_fmas_f32 v156, v156, v157, v160
	s_delay_alu instid0(VALU_DEP_1) | instskip(NEXT) | instid1(VALU_DEP_1)
	v_div_fixup_f32 v157, v156, v104, v105
	v_fma_f32 v156, v105, v157, v104
	s_delay_alu instid0(VALU_DEP_1) | instskip(NEXT) | instid1(VALU_DEP_1)
	v_div_scale_f32 v160, null, v156, v156, 1.0
	v_rcp_f32_e32 v161, v160
	v_nop
	s_delay_alu instid0(TRANS32_DEP_1) | instskip(NEXT) | instid1(VALU_DEP_1)
	v_fma_f32 v162, -v160, v161, 1.0
	v_fmac_f32_e32 v161, v162, v161
	v_div_scale_f32 v162, vcc_lo, 1.0, v156, 1.0
	s_delay_alu instid0(VALU_DEP_1) | instskip(NEXT) | instid1(VALU_DEP_1)
	v_mul_f32_e32 v163, v162, v161
	v_fma_f32 v164, -v160, v163, v162
	s_delay_alu instid0(VALU_DEP_1) | instskip(NEXT) | instid1(VALU_DEP_1)
	v_fmac_f32_e32 v163, v164, v161
	v_fma_f32 v160, -v160, v163, v162
	s_delay_alu instid0(VALU_DEP_1) | instskip(NEXT) | instid1(VALU_DEP_1)
	v_div_fmas_f32 v160, v160, v161, v163
	v_div_fixup_f32 v156, v160, v156, 1.0
	s_delay_alu instid0(VALU_DEP_1)
	v_mul_f32_e64 v157, v157, -v156
.LBB51_232:
	s_or_b32 exec_lo, exec_lo, s1
	ds_store_b64 v159, v[156:157]
.LBB51_233:
	s_or_b32 exec_lo, exec_lo, s2
	s_wait_dscnt 0x0
	s_barrier_signal -1
	s_barrier_wait -1
	ds_load_b64 v[156:157], v159
	s_wait_dscnt 0x0
	s_barrier_signal -1
	s_barrier_wait -1
	s_and_saveexec_b32 s4, s0
	s_cbranch_execz .LBB51_236
; %bb.234:
	v_lshl_add_u64 v[2:3], v[2:3], 2, s[6:7]
	v_cmp_eq_f32_e32 vcc_lo, 0, v106
	v_cmp_eq_f32_e64 s0, 0, v107
	v_cmp_neq_f32_e64 s1, 0, v108
	v_cmp_neq_f32_e64 s2, 0, v109
	global_load_b32 v159, v[2:3], off
	s_and_b32 s0, vcc_lo, s0
	s_delay_alu instid0(SALU_CYCLE_1) | instskip(SKIP_1) | instid1(SALU_CYCLE_1)
	v_cndmask_b32_e64 v106, 0, 1, s0
	s_or_b32 s1, s1, s2
	s_or_b32 vcc_lo, s1, s0
	v_cmp_eq_f32_e64 s0, 0, v111
	s_delay_alu instid0(VALU_DEP_2) | instskip(SKIP_1) | instid1(VALU_DEP_2)
	v_cndmask_b32_e32 v106, 2, v106, vcc_lo
	v_cmp_eq_f32_e32 vcc_lo, 0, v110
	v_cmp_eq_u32_e64 s1, 0, v106
	s_and_b32 s0, vcc_lo, s0
	v_cmp_eq_f32_e32 vcc_lo, 0, v112
	s_and_b32 s0, s0, s1
	s_delay_alu instid0(SALU_CYCLE_1) | instskip(SKIP_1) | instid1(VALU_DEP_2)
	v_cndmask_b32_e64 v106, v106, 3, s0
	v_cmp_eq_f32_e64 s0, 0, v113
	v_cmp_eq_u32_e64 s1, 0, v106
	s_and_b32 s0, vcc_lo, s0
	v_cmp_eq_f32_e32 vcc_lo, 0, v114
	s_and_b32 s0, s0, s1
	s_delay_alu instid0(SALU_CYCLE_1) | instskip(SKIP_1) | instid1(VALU_DEP_2)
	v_cndmask_b32_e64 v106, v106, 4, s0
	v_cmp_eq_f32_e64 s0, 0, v115
	;; [unrolled: 7-line block ×23, first 2 shown]
	v_cmp_eq_u32_e64 s1, 0, v106
	s_and_b32 s0, vcc_lo, s0
	s_delay_alu instid0(SALU_CYCLE_1) | instskip(NEXT) | instid1(SALU_CYCLE_1)
	s_and_b32 s0, s0, s1
	v_cndmask_b32_e64 v106, v106, 26, s0
	s_delay_alu instid0(VALU_DEP_1) | instskip(SKIP_3) | instid1(SALU_CYCLE_1)
	v_cmp_ne_u32_e64 s0, 0, v106
	s_wait_loadcnt 0x0
	v_cmp_eq_u32_e32 vcc_lo, 0, v159
	s_and_b32 s0, vcc_lo, s0
	s_and_b32 exec_lo, exec_lo, s0
	s_cbranch_execz .LBB51_236
; %bb.235:
	v_add_nc_u32_e32 v106, s3, v106
	global_store_b32 v[2:3], v106, off
.LBB51_236:
	s_wait_xcnt 0x0
	s_or_b32 exec_lo, exec_lo, s4
	v_pk_mul_f32 v[2:3], v[156:157], v[104:105] op_sel:[1,1] op_sel_hi:[0,1]
	s_clause 0x1
	global_store_b64 v[18:19], v[56:57], off
	global_store_b64 v[34:35], v[58:59], off
	v_cmp_lt_u32_e32 vcc_lo, 25, v158
	s_clause 0x2
	global_store_b64 v[0:1], v[48:49], off
	global_store_b64 v[8:9], v[46:47], off
	;; [unrolled: 1-line block ×3, first 2 shown]
	s_wait_xcnt 0x4
	v_pk_fma_f32 v[18:19], v[156:157], v[104:105], v[2:3] op_sel_hi:[1,0,1]
	v_pk_fma_f32 v[2:3], v[156:157], v[104:105], v[2:3] neg_lo:[0,0,1] neg_hi:[0,0,1]
	s_wait_xcnt 0x2
	s_delay_alu instid0(VALU_DEP_1)
	v_dual_cndmask_b32 v1, v105, v19 :: v_dual_cndmask_b32 v0, v104, v2
	s_clause 0x14
	global_store_b64 v[4:5], v[24:25], off
	global_store_b64 v[6:7], v[26:27], off
	;; [unrolled: 1-line block ×21, first 2 shown]
.LBB51_237:
	s_sendmsg sendmsg(MSG_DEALLOC_VGPRS)
	s_endpgm
	.section	.rodata,"a",@progbits
	.p2align	6, 0x0
	.amdhsa_kernel _ZN9rocsolver6v33100L23getf2_npvt_small_kernelILi26E19rocblas_complex_numIfEiiPS3_EEvT1_T3_lS5_lPT2_S5_S5_
		.amdhsa_group_segment_fixed_size 0
		.amdhsa_private_segment_fixed_size 0
		.amdhsa_kernarg_size 312
		.amdhsa_user_sgpr_count 2
		.amdhsa_user_sgpr_dispatch_ptr 0
		.amdhsa_user_sgpr_queue_ptr 0
		.amdhsa_user_sgpr_kernarg_segment_ptr 1
		.amdhsa_user_sgpr_dispatch_id 0
		.amdhsa_user_sgpr_kernarg_preload_length 0
		.amdhsa_user_sgpr_kernarg_preload_offset 0
		.amdhsa_user_sgpr_private_segment_size 0
		.amdhsa_wavefront_size32 1
		.amdhsa_uses_dynamic_stack 0
		.amdhsa_enable_private_segment 0
		.amdhsa_system_sgpr_workgroup_id_x 1
		.amdhsa_system_sgpr_workgroup_id_y 1
		.amdhsa_system_sgpr_workgroup_id_z 0
		.amdhsa_system_sgpr_workgroup_info 0
		.amdhsa_system_vgpr_workitem_id 1
		.amdhsa_next_free_vgpr 186
		.amdhsa_next_free_sgpr 15
		.amdhsa_named_barrier_count 0
		.amdhsa_reserve_vcc 1
		.amdhsa_float_round_mode_32 0
		.amdhsa_float_round_mode_16_64 0
		.amdhsa_float_denorm_mode_32 3
		.amdhsa_float_denorm_mode_16_64 3
		.amdhsa_fp16_overflow 0
		.amdhsa_memory_ordered 1
		.amdhsa_forward_progress 1
		.amdhsa_inst_pref_size 255
		.amdhsa_round_robin_scheduling 0
		.amdhsa_exception_fp_ieee_invalid_op 0
		.amdhsa_exception_fp_denorm_src 0
		.amdhsa_exception_fp_ieee_div_zero 0
		.amdhsa_exception_fp_ieee_overflow 0
		.amdhsa_exception_fp_ieee_underflow 0
		.amdhsa_exception_fp_ieee_inexact 0
		.amdhsa_exception_int_div_zero 0
	.end_amdhsa_kernel
	.section	.text._ZN9rocsolver6v33100L23getf2_npvt_small_kernelILi26E19rocblas_complex_numIfEiiPS3_EEvT1_T3_lS5_lPT2_S5_S5_,"axG",@progbits,_ZN9rocsolver6v33100L23getf2_npvt_small_kernelILi26E19rocblas_complex_numIfEiiPS3_EEvT1_T3_lS5_lPT2_S5_S5_,comdat
.Lfunc_end51:
	.size	_ZN9rocsolver6v33100L23getf2_npvt_small_kernelILi26E19rocblas_complex_numIfEiiPS3_EEvT1_T3_lS5_lPT2_S5_S5_, .Lfunc_end51-_ZN9rocsolver6v33100L23getf2_npvt_small_kernelILi26E19rocblas_complex_numIfEiiPS3_EEvT1_T3_lS5_lPT2_S5_S5_
                                        ; -- End function
	.set _ZN9rocsolver6v33100L23getf2_npvt_small_kernelILi26E19rocblas_complex_numIfEiiPS3_EEvT1_T3_lS5_lPT2_S5_S5_.num_vgpr, 186
	.set _ZN9rocsolver6v33100L23getf2_npvt_small_kernelILi26E19rocblas_complex_numIfEiiPS3_EEvT1_T3_lS5_lPT2_S5_S5_.num_agpr, 0
	.set _ZN9rocsolver6v33100L23getf2_npvt_small_kernelILi26E19rocblas_complex_numIfEiiPS3_EEvT1_T3_lS5_lPT2_S5_S5_.numbered_sgpr, 15
	.set _ZN9rocsolver6v33100L23getf2_npvt_small_kernelILi26E19rocblas_complex_numIfEiiPS3_EEvT1_T3_lS5_lPT2_S5_S5_.num_named_barrier, 0
	.set _ZN9rocsolver6v33100L23getf2_npvt_small_kernelILi26E19rocblas_complex_numIfEiiPS3_EEvT1_T3_lS5_lPT2_S5_S5_.private_seg_size, 0
	.set _ZN9rocsolver6v33100L23getf2_npvt_small_kernelILi26E19rocblas_complex_numIfEiiPS3_EEvT1_T3_lS5_lPT2_S5_S5_.uses_vcc, 1
	.set _ZN9rocsolver6v33100L23getf2_npvt_small_kernelILi26E19rocblas_complex_numIfEiiPS3_EEvT1_T3_lS5_lPT2_S5_S5_.uses_flat_scratch, 0
	.set _ZN9rocsolver6v33100L23getf2_npvt_small_kernelILi26E19rocblas_complex_numIfEiiPS3_EEvT1_T3_lS5_lPT2_S5_S5_.has_dyn_sized_stack, 0
	.set _ZN9rocsolver6v33100L23getf2_npvt_small_kernelILi26E19rocblas_complex_numIfEiiPS3_EEvT1_T3_lS5_lPT2_S5_S5_.has_recursion, 0
	.set _ZN9rocsolver6v33100L23getf2_npvt_small_kernelILi26E19rocblas_complex_numIfEiiPS3_EEvT1_T3_lS5_lPT2_S5_S5_.has_indirect_call, 0
	.section	.AMDGPU.csdata,"",@progbits
; Kernel info:
; codeLenInByte = 37284
; TotalNumSgprs: 17
; NumVgprs: 186
; ScratchSize: 0
; MemoryBound: 0
; FloatMode: 240
; IeeeMode: 1
; LDSByteSize: 0 bytes/workgroup (compile time only)
; SGPRBlocks: 0
; VGPRBlocks: 11
; NumSGPRsForWavesPerEU: 17
; NumVGPRsForWavesPerEU: 186
; NamedBarCnt: 0
; Occupancy: 5
; WaveLimiterHint : 0
; COMPUTE_PGM_RSRC2:SCRATCH_EN: 0
; COMPUTE_PGM_RSRC2:USER_SGPR: 2
; COMPUTE_PGM_RSRC2:TRAP_HANDLER: 0
; COMPUTE_PGM_RSRC2:TGID_X_EN: 1
; COMPUTE_PGM_RSRC2:TGID_Y_EN: 1
; COMPUTE_PGM_RSRC2:TGID_Z_EN: 0
; COMPUTE_PGM_RSRC2:TIDIG_COMP_CNT: 1
	.section	.text._ZN9rocsolver6v33100L18getf2_small_kernelILi27E19rocblas_complex_numIfEiiPS3_EEvT1_T3_lS5_lPS5_llPT2_S5_S5_S7_l,"axG",@progbits,_ZN9rocsolver6v33100L18getf2_small_kernelILi27E19rocblas_complex_numIfEiiPS3_EEvT1_T3_lS5_lPS5_llPT2_S5_S5_S7_l,comdat
	.globl	_ZN9rocsolver6v33100L18getf2_small_kernelILi27E19rocblas_complex_numIfEiiPS3_EEvT1_T3_lS5_lPS5_llPT2_S5_S5_S7_l ; -- Begin function _ZN9rocsolver6v33100L18getf2_small_kernelILi27E19rocblas_complex_numIfEiiPS3_EEvT1_T3_lS5_lPS5_llPT2_S5_S5_S7_l
	.p2align	8
	.type	_ZN9rocsolver6v33100L18getf2_small_kernelILi27E19rocblas_complex_numIfEiiPS3_EEvT1_T3_lS5_lPS5_llPT2_S5_S5_S7_l,@function
_ZN9rocsolver6v33100L18getf2_small_kernelILi27E19rocblas_complex_numIfEiiPS3_EEvT1_T3_lS5_lPS5_llPT2_S5_S5_S7_l: ; @_ZN9rocsolver6v33100L18getf2_small_kernelILi27E19rocblas_complex_numIfEiiPS3_EEvT1_T3_lS5_lPS5_llPT2_S5_S5_S7_l
; %bb.0:
	s_clause 0x1
	s_load_u16 s4, s[0:1], 0x6e
	s_load_b64 s[2:3], s[0:1], 0x48
	s_bfe_u32 s5, ttmp6, 0x40010
	s_bfe_u32 s6, ttmp6, 0x40004
	s_add_co_i32 s5, s5, 1
	s_getreg_b32 s7, hwreg(HW_REG_IB_STS2, 6, 4)
	s_mul_i32 s5, ttmp7, s5
	v_bfe_u32 v62, v0, 10, 10
	s_add_co_i32 s6, s6, s5
	s_cmp_eq_u32 s7, 0
	s_cselect_b32 s5, ttmp7, s6
	s_wait_kmcnt 0x0
	v_mad_u32 v2, s5, s4, v62
	s_delay_alu instid0(VALU_DEP_1)
	v_cmp_gt_i32_e32 vcc_lo, s2, v2
	s_and_saveexec_b32 s2, vcc_lo
	s_cbranch_execz .LBB52_568
; %bb.1:
	s_load_b128 s[4:7], s[0:1], 0x50
	v_mov_b64_e32 v[4:5], 0
	v_ashrrev_i32_e32 v3, 31, v2
	s_wait_kmcnt 0x0
	s_cmp_eq_u64 s[4:5], 0
	s_cselect_b32 s2, -1, 0
	s_delay_alu instid0(SALU_CYCLE_1)
	s_and_b32 vcc_lo, exec_lo, s2
	s_cbranch_vccnz .LBB52_3
; %bb.2:
	v_mul_u64_e32 v[4:5], s[6:7], v[2:3]
	s_delay_alu instid0(VALU_DEP_1)
	v_lshl_add_u64 v[4:5], v[4:5], 2, s[4:5]
.LBB52_3:
	s_clause 0x2
	s_load_b32 s12, s[0:1], 0x18
	s_load_b128 s[16:19], s[0:1], 0x8
	s_load_b32 s14, s[0:1], 0x0
	v_and_b32_e32 v67, 0x3ff, v0
	s_load_b256 s[4:11], s[0:1], 0x20
	s_delay_alu instid0(VALU_DEP_1) | instskip(SKIP_4) | instid1(VALU_DEP_2)
	v_dual_mov_b32 v61, 0 :: v_dual_lshlrev_b32 v60, 3, v67
	s_wait_kmcnt 0x0
	v_add3_u32 v6, s12, s12, v67
	s_ashr_i32 s13, s12, 31
	v_mul_u64_e32 v[0:1], s[4:5], v[2:3]
	v_add_nc_u32_e32 v8, s12, v6
	s_max_i32 s4, s14, 27
	s_cmp_lt_i32 s14, 2
	s_delay_alu instid0(VALU_DEP_1) | instskip(NEXT) | instid1(VALU_DEP_1)
	v_dual_ashrrev_i32 v7, 31, v6 :: v_dual_add_nc_u32 v10, s12, v8
	v_add_nc_u32_e32 v12, s12, v10
	s_delay_alu instid0(VALU_DEP_1) | instskip(NEXT) | instid1(VALU_DEP_1)
	v_add_nc_u32_e32 v14, s12, v12
	v_dual_ashrrev_i32 v9, 31, v8 :: v_dual_add_nc_u32 v16, s12, v14
	s_delay_alu instid0(VALU_DEP_1) | instskip(SKIP_1) | instid1(VALU_DEP_2)
	v_dual_add_nc_u32 v18, s12, v16 :: v_dual_ashrrev_i32 v11, 31, v10
	v_ashrrev_i32_e32 v13, 31, v12
	v_dual_ashrrev_i32 v17, 31, v16 :: v_dual_add_nc_u32 v20, s12, v18
	v_lshl_add_u64 v[0:1], v[0:1], 3, s[16:17]
	s_delay_alu instid0(VALU_DEP_2) | instskip(SKIP_1) | instid1(VALU_DEP_3)
	v_dual_ashrrev_i32 v15, 31, v14 :: v_dual_ashrrev_i32 v21, 31, v20
	v_add_nc_u32_e32 v22, s12, v20
	v_lshl_add_u64 v[0:1], s[18:19], 3, v[0:1]
	s_delay_alu instid0(VALU_DEP_2) | instskip(NEXT) | instid1(VALU_DEP_2)
	v_add_nc_u32_e32 v24, s12, v22
	v_add_nc_u64_e32 v[28:29], v[0:1], v[60:61]
	v_lshl_add_u64 v[10:11], v[10:11], 3, v[0:1]
	v_lshl_add_u64 v[12:13], v[12:13], 3, v[0:1]
	;; [unrolled: 1-line block ×3, first 2 shown]
	v_add_nc_u32_e32 v26, s12, v24
	v_lshl_add_u64 v[38:39], v[14:15], 3, v[0:1]
	v_lshl_add_u64 v[42:43], v[8:9], 3, v[0:1]
	;; [unrolled: 1-line block ×4, first 2 shown]
	v_add_nc_u32_e32 v30, s12, v26
	s_clause 0x3
	global_load_b64 v[16:17], v[10:11], off
	global_load_b64 v[14:15], v[12:13], off
	;; [unrolled: 1-line block ×4, first 2 shown]
	s_wait_xcnt 0x3
	v_lshl_add_u64 v[10:11], s[12:13], 3, v[28:29]
	s_clause 0x3
	global_load_b64 v[40:41], v[34:35], off
	global_load_b64 v[38:39], v[42:43], off
	global_load_b64 v[56:57], v[28:29], off
	global_load_b64 v[54:55], v[10:11], off
	v_add_nc_u32_e32 v32, s12, v30
	s_delay_alu instid0(VALU_DEP_1) | instskip(NEXT) | instid1(VALU_DEP_1)
	v_dual_ashrrev_i32 v19, 31, v18 :: v_dual_add_nc_u32 v36, s12, v32
	v_lshl_add_u64 v[18:19], v[18:19], 3, v[0:1]
	s_delay_alu instid0(VALU_DEP_2) | instskip(SKIP_2) | instid1(VALU_DEP_3)
	v_dual_add_nc_u32 v44, s12, v36 :: v_dual_ashrrev_i32 v23, 31, v22
	v_dual_ashrrev_i32 v31, 31, v30 :: v_dual_ashrrev_i32 v33, 31, v32
	v_ashrrev_i32_e32 v37, 31, v36
	v_add_nc_u32_e32 v50, s12, v44
	v_ashrrev_i32_e32 v25, 31, v24
	v_lshl_add_u64 v[22:23], v[22:23], 3, v[0:1]
	v_lshl_add_u64 v[32:33], v[32:33], 3, v[0:1]
	s_delay_alu instid0(VALU_DEP_4)
	v_dual_ashrrev_i32 v45, 31, v44 :: v_dual_add_nc_u32 v52, s12, v50
	v_ashrrev_i32_e32 v27, 31, v26
	s_wait_xcnt 0x3
	v_lshl_add_u64 v[34:35], v[24:25], 3, v[0:1]
	s_clause 0x3
	global_load_b64 v[28:29], v[18:19], off
	global_load_b64 v[24:25], v[20:21], off
	;; [unrolled: 1-line block ×4, first 2 shown]
	v_add_nc_u32_e32 v42, s12, v52
	s_wait_xcnt 0x1
	v_lshl_add_u64 v[22:23], v[26:27], 3, v[0:1]
	v_lshl_add_u64 v[26:27], v[30:31], 3, v[0:1]
	;; [unrolled: 1-line block ×3, first 2 shown]
	v_dual_ashrrev_i32 v51, 31, v50 :: v_dual_ashrrev_i32 v53, 31, v52
	s_wait_xcnt 0x0
	v_add_nc_u32_e32 v34, s12, v42
	s_clause 0x3
	global_load_b64 v[48:49], v[22:23], off
	global_load_b64 v[46:47], v[26:27], off
	;; [unrolled: 1-line block ×4, first 2 shown]
	s_wait_xcnt 0x0
	v_lshl_add_u64 v[36:37], v[44:45], 3, v[0:1]
	v_lshl_add_u64 v[44:45], v[50:51], 3, v[0:1]
	;; [unrolled: 1-line block ×3, first 2 shown]
	v_add_nc_u32_e32 v30, s12, v34
	s_delay_alu instid0(VALU_DEP_1) | instskip(NEXT) | instid1(VALU_DEP_1)
	v_dual_add_nc_u32 v58, s12, v30 :: v_dual_ashrrev_i32 v31, 31, v30
	v_add_nc_u32_e32 v32, s12, v58
	s_delay_alu instid0(VALU_DEP_2) | instskip(NEXT) | instid1(VALU_DEP_2)
	v_lshl_add_u64 v[72:73], v[30:31], 3, v[0:1]
	v_dual_add_nc_u32 v64, s12, v32 :: v_dual_ashrrev_i32 v35, 31, v34
	s_delay_alu instid0(VALU_DEP_1) | instskip(SKIP_2) | instid1(VALU_DEP_3)
	v_dual_ashrrev_i32 v59, 31, v58 :: v_dual_add_nc_u32 v70, s12, v64
	v_dual_ashrrev_i32 v43, 31, v42 :: v_dual_ashrrev_i32 v33, 31, v32
	v_ashrrev_i32_e32 v65, 31, v64
	v_lshl_add_u64 v[74:75], v[58:59], 3, v[0:1]
	s_delay_alu instid0(VALU_DEP_4) | instskip(NEXT) | instid1(VALU_DEP_4)
	v_dual_add_nc_u32 v30, s12, v70 :: v_dual_ashrrev_i32 v71, 31, v70
	v_lshl_add_u64 v[42:43], v[42:43], 3, v[0:1]
	s_clause 0x3
	global_load_b64 v[52:53], v[36:37], off
	global_load_b64 v[50:51], v[44:45], off
	;; [unrolled: 1-line block ×4, first 2 shown]
	s_wait_xcnt 0x1
	v_lshl_add_u64 v[68:69], v[34:35], 3, v[0:1]
	v_ashrrev_i32_e32 v31, 31, v30
	v_lshl_add_u64 v[76:77], v[32:33], 3, v[0:1]
	v_lshl_add_u64 v[64:65], v[64:65], 3, v[0:1]
	;; [unrolled: 1-line block ×3, first 2 shown]
	s_delay_alu instid0(VALU_DEP_4)
	v_lshl_add_u64 v[78:79], v[30:31], 3, v[0:1]
	s_clause 0x6
	global_load_b64 v[44:45], v[68:69], off
	global_load_b64 v[42:43], v[72:73], off
	;; [unrolled: 1-line block ×7, first 2 shown]
	s_wait_xcnt 0x2
	v_mul_lo_u32 v65, s4, v62
	s_load_b64 s[4:5], s[0:1], 0x40
	s_delay_alu instid0(VALU_DEP_1) | instskip(NEXT) | instid1(VALU_DEP_1)
	v_lshl_add_u32 v64, v65, 3, 0
	v_dual_lshlrev_b32 v65, 3, v65 :: v_dual_add_nc_u32 v60, v64, v60
	s_wait_loadcnt 0x14
	ds_store_b64 v60, v[56:57]
	s_wait_loadcnt_dscnt 0x0
	s_barrier_signal -1
	s_barrier_wait -1
	ds_load_b64 v[62:63], v64
	s_cbranch_scc1 .LBB52_6
; %bb.4:
	v_add3_u32 v60, v65, 0, 8
	v_mov_b32_e32 v61, 0
	s_wait_xcnt 0x0
	s_mov_b32 s0, 1
.LBB52_5:                               ; =>This Inner Loop Header: Depth=1
	ds_load_b64 v[68:69], v60
	s_wait_dscnt 0x1
	v_cmp_gt_f32_e32 vcc_lo, 0, v62
	v_cndmask_b32_e64 v70, v62, -v62, vcc_lo
	v_cmp_gt_f32_e32 vcc_lo, 0, v63
	v_cndmask_b32_e64 v72, v63, -v63, vcc_lo
	s_wait_dscnt 0x0
	v_cmp_gt_f32_e32 vcc_lo, 0, v68
	v_cndmask_b32_e64 v71, v68, -v68, vcc_lo
	v_cmp_gt_f32_e32 vcc_lo, 0, v69
	v_cndmask_b32_e64 v73, v69, -v69, vcc_lo
	s_delay_alu instid0(VALU_DEP_1) | instskip(NEXT) | instid1(VALU_DEP_1)
	v_pk_add_f32 v[70:71], v[70:71], v[72:73]
	v_cmp_lt_f32_e32 vcc_lo, v70, v71
	v_dual_cndmask_b32 v63, v63, v69 :: v_dual_add_nc_u32 v60, 8, v60
	v_cndmask_b32_e32 v62, v62, v68, vcc_lo
	v_cndmask_b32_e64 v61, v61, s0, vcc_lo
	s_add_co_i32 s0, s0, 1
	s_delay_alu instid0(SALU_CYCLE_1)
	s_cmp_eq_u32 s14, s0
	s_cbranch_scc0 .LBB52_5
.LBB52_6:
	s_wait_dscnt 0x0
	v_cmp_neq_f32_e32 vcc_lo, 0, v62
	s_wait_xcnt 0x0
	v_cmp_neq_f32_e64 s0, 0, v63
	v_dual_mov_b32 v66, 1 :: v_dual_mov_b32 v69, 1
	s_or_b32 s1, vcc_lo, s0
	s_delay_alu instid0(SALU_CYCLE_1)
	s_and_saveexec_b32 s0, s1
	s_cbranch_execz .LBB52_12
; %bb.7:
	v_cmp_ngt_f32_e64 s1, |v62|, |v63|
	s_and_saveexec_b32 s15, s1
	s_delay_alu instid0(SALU_CYCLE_1)
	s_xor_b32 s1, exec_lo, s15
	s_cbranch_execz .LBB52_9
; %bb.8:
	v_div_scale_f32 v60, null, v63, v63, v62
	v_div_scale_f32 v69, vcc_lo, v62, v63, v62
	s_delay_alu instid0(VALU_DEP_2) | instskip(SKIP_1) | instid1(TRANS32_DEP_1)
	v_rcp_f32_e32 v66, v60
	v_nop
	v_fma_f32 v68, -v60, v66, 1.0
	s_delay_alu instid0(VALU_DEP_1) | instskip(NEXT) | instid1(VALU_DEP_1)
	v_fmac_f32_e32 v66, v68, v66
	v_mul_f32_e32 v68, v69, v66
	s_delay_alu instid0(VALU_DEP_1) | instskip(NEXT) | instid1(VALU_DEP_1)
	v_fma_f32 v70, -v60, v68, v69
	v_fmac_f32_e32 v68, v70, v66
	s_delay_alu instid0(VALU_DEP_1) | instskip(NEXT) | instid1(VALU_DEP_1)
	v_fma_f32 v60, -v60, v68, v69
	v_div_fmas_f32 v60, v60, v66, v68
	s_delay_alu instid0(VALU_DEP_1) | instskip(NEXT) | instid1(VALU_DEP_1)
	v_div_fixup_f32 v60, v60, v63, v62
	v_fmac_f32_e32 v63, v62, v60
	s_delay_alu instid0(VALU_DEP_1) | instskip(SKIP_1) | instid1(VALU_DEP_2)
	v_div_scale_f32 v62, null, v63, v63, 1.0
	v_div_scale_f32 v69, vcc_lo, 1.0, v63, 1.0
	v_rcp_f32_e32 v66, v62
	v_nop
	s_delay_alu instid0(TRANS32_DEP_1) | instskip(NEXT) | instid1(VALU_DEP_1)
	v_fma_f32 v68, -v62, v66, 1.0
	v_fmac_f32_e32 v66, v68, v66
	s_delay_alu instid0(VALU_DEP_1) | instskip(NEXT) | instid1(VALU_DEP_1)
	v_mul_f32_e32 v68, v69, v66
	v_fma_f32 v70, -v62, v68, v69
	s_delay_alu instid0(VALU_DEP_1) | instskip(NEXT) | instid1(VALU_DEP_1)
	v_fmac_f32_e32 v68, v70, v66
	v_fma_f32 v62, -v62, v68, v69
	s_delay_alu instid0(VALU_DEP_1) | instskip(NEXT) | instid1(VALU_DEP_1)
	v_div_fmas_f32 v62, v62, v66, v68
	v_div_fixup_f32 v63, v62, v63, 1.0
	s_delay_alu instid0(VALU_DEP_1)
	v_mul_f32_e32 v62, v60, v63
	v_xor_b32_e32 v63, 0x80000000, v63
.LBB52_9:
	s_and_not1_saveexec_b32 s1, s1
	s_cbranch_execz .LBB52_11
; %bb.10:
	s_delay_alu instid0(VALU_DEP_1) | instskip(SKIP_1) | instid1(VALU_DEP_2)
	v_div_scale_f32 v60, null, v62, v62, v63
	v_div_scale_f32 v69, vcc_lo, v63, v62, v63
	v_rcp_f32_e32 v66, v60
	v_nop
	s_delay_alu instid0(TRANS32_DEP_1) | instskip(NEXT) | instid1(VALU_DEP_1)
	v_fma_f32 v68, -v60, v66, 1.0
	v_fmac_f32_e32 v66, v68, v66
	s_delay_alu instid0(VALU_DEP_1) | instskip(NEXT) | instid1(VALU_DEP_1)
	v_mul_f32_e32 v68, v69, v66
	v_fma_f32 v70, -v60, v68, v69
	s_delay_alu instid0(VALU_DEP_1) | instskip(NEXT) | instid1(VALU_DEP_1)
	v_fmac_f32_e32 v68, v70, v66
	v_fma_f32 v60, -v60, v68, v69
	s_delay_alu instid0(VALU_DEP_1) | instskip(NEXT) | instid1(VALU_DEP_1)
	v_div_fmas_f32 v60, v60, v66, v68
	v_div_fixup_f32 v60, v60, v62, v63
	s_delay_alu instid0(VALU_DEP_1) | instskip(NEXT) | instid1(VALU_DEP_1)
	v_fmac_f32_e32 v62, v63, v60
	v_div_scale_f32 v63, null, v62, v62, 1.0
	s_delay_alu instid0(VALU_DEP_1) | instskip(SKIP_1) | instid1(TRANS32_DEP_1)
	v_rcp_f32_e32 v66, v63
	v_nop
	v_fma_f32 v68, -v63, v66, 1.0
	s_delay_alu instid0(VALU_DEP_1) | instskip(SKIP_1) | instid1(VALU_DEP_1)
	v_fmac_f32_e32 v66, v68, v66
	v_div_scale_f32 v68, vcc_lo, 1.0, v62, 1.0
	v_mul_f32_e32 v69, v68, v66
	s_delay_alu instid0(VALU_DEP_1) | instskip(NEXT) | instid1(VALU_DEP_1)
	v_fma_f32 v70, -v63, v69, v68
	v_fmac_f32_e32 v69, v70, v66
	s_delay_alu instid0(VALU_DEP_1) | instskip(NEXT) | instid1(VALU_DEP_1)
	v_fma_f32 v63, -v63, v69, v68
	v_div_fmas_f32 v63, v63, v66, v69
	s_delay_alu instid0(VALU_DEP_1) | instskip(NEXT) | instid1(VALU_DEP_1)
	v_div_fixup_f32 v62, v63, v62, 1.0
	v_mul_f32_e64 v63, v60, -v62
.LBB52_11:
	s_or_b32 exec_lo, exec_lo, s1
	v_dual_mov_b32 v69, 0 :: v_dual_mov_b32 v66, 2
.LBB52_12:
	s_or_b32 exec_lo, exec_lo, s0
	s_delay_alu instid0(SALU_CYCLE_1)
	s_mov_b32 s0, exec_lo
	v_cmpx_ne_u32_e64 v67, v61
	s_xor_b32 s0, exec_lo, s0
	s_cbranch_execz .LBB52_18
; %bb.13:
	s_mov_b32 s1, exec_lo
	v_cmpx_eq_u32_e32 0, v67
	s_cbranch_execz .LBB52_17
; %bb.14:
	v_cmp_ne_u32_e32 vcc_lo, 0, v61
	s_xor_b32 s15, s2, -1
	s_delay_alu instid0(SALU_CYCLE_1) | instskip(NEXT) | instid1(SALU_CYCLE_1)
	s_and_b32 s16, s15, vcc_lo
	s_and_saveexec_b32 s15, s16
	s_cbranch_execz .LBB52_16
; %bb.15:
	v_dual_mov_b32 v70, v61 :: v_dual_ashrrev_i32 v71, 31, v61
	s_delay_alu instid0(VALU_DEP_1)
	v_lshl_add_u64 v[70:71], v[70:71], 2, v[4:5]
	s_clause 0x1
	global_load_b32 v60, v[70:71], off
	global_load_b32 v67, v[4:5], off
	s_wait_loadcnt 0x1
	global_store_b32 v[4:5], v60, off
	s_wait_loadcnt 0x0
	global_store_b32 v[70:71], v67, off
.LBB52_16:
	s_wait_xcnt 0x0
	s_or_b32 exec_lo, exec_lo, s15
	v_mov_b32_e32 v67, v61
.LBB52_17:
	s_or_b32 exec_lo, exec_lo, s1
.LBB52_18:
	s_or_saveexec_b32 s0, s0
	s_delay_alu instid0(VALU_DEP_1)
	v_mov_b32_e32 v68, v67
	s_xor_b32 exec_lo, exec_lo, s0
	s_cbranch_execz .LBB52_20
; %bb.19:
	v_mov_b32_e32 v68, 0
	ds_store_2addr_b64 v64, v[54:55], v[40:41] offset0:1 offset1:2
	ds_store_2addr_b64 v64, v[38:39], v[16:17] offset0:3 offset1:4
	;; [unrolled: 1-line block ×13, first 2 shown]
.LBB52_20:
	s_or_b32 exec_lo, exec_lo, s0
	s_delay_alu instid0(SALU_CYCLE_1)
	s_mov_b32 s0, exec_lo
	s_wait_storecnt_dscnt 0x0
	s_barrier_signal -1
	s_barrier_wait -1
	v_cmpx_lt_i32_e32 0, v68
	s_cbranch_execz .LBB52_22
; %bb.21:
	v_pk_mul_f32 v[70:71], v[62:63], v[56:57] op_sel:[1,1] op_sel_hi:[0,1]
	s_delay_alu instid0(VALU_DEP_1)
	v_pk_fma_f32 v[60:61], v[62:63], v[56:57], v[70:71] op_sel_hi:[1,0,1] neg_lo:[0,0,1] neg_hi:[0,0,1]
	v_pk_fma_f32 v[62:63], v[62:63], v[56:57], v[70:71] op_sel_hi:[1,0,1]
	ds_load_2addr_b64 v[70:73], v64 offset0:1 offset1:2
	v_dual_mov_b32 v56, v60 :: v_dual_mov_b32 v57, v63
	s_wait_dscnt 0x0
	v_pk_mul_f32 v[74:75], v[70:71], v[62:63] op_sel:[0,1]
	s_delay_alu instid0(VALU_DEP_1) | instskip(SKIP_1) | instid1(VALU_DEP_1)
	v_pk_fma_f32 v[76:77], v[70:71], v[60:61], v[74:75] op_sel:[0,0,1] op_sel_hi:[1,1,0] neg_lo:[0,0,1] neg_hi:[0,0,1]
	v_pk_fma_f32 v[70:71], v[70:71], v[60:61], v[74:75] op_sel:[0,0,1] op_sel_hi:[1,0,0]
	v_mov_b32_e32 v77, v71
	v_pk_mul_f32 v[70:71], v[72:73], v[62:63] op_sel:[0,1]
	s_delay_alu instid0(VALU_DEP_1) | instskip(SKIP_1) | instid1(VALU_DEP_1)
	v_pk_fma_f32 v[74:75], v[72:73], v[60:61], v[70:71] op_sel:[0,0,1] op_sel_hi:[1,1,0] neg_lo:[0,0,1] neg_hi:[0,0,1]
	v_pk_fma_f32 v[70:71], v[72:73], v[60:61], v[70:71] op_sel:[0,0,1] op_sel_hi:[1,0,0]
	v_mov_b32_e32 v75, v71
	ds_load_2addr_b64 v[70:73], v64 offset0:3 offset1:4
	v_pk_add_f32 v[54:55], v[54:55], v[76:77] neg_lo:[0,1] neg_hi:[0,1]
	v_pk_add_f32 v[40:41], v[40:41], v[74:75] neg_lo:[0,1] neg_hi:[0,1]
	s_wait_dscnt 0x0
	v_pk_mul_f32 v[74:75], v[70:71], v[62:63] op_sel:[0,1]
	s_delay_alu instid0(VALU_DEP_1) | instskip(SKIP_2) | instid1(VALU_DEP_2)
	v_pk_fma_f32 v[76:77], v[70:71], v[60:61], v[74:75] op_sel:[0,0,1] op_sel_hi:[1,1,0] neg_lo:[0,0,1] neg_hi:[0,0,1]
	v_pk_fma_f32 v[70:71], v[70:71], v[60:61], v[74:75] op_sel:[0,0,1] op_sel_hi:[1,0,0]
	v_dual_mul_f32 v74, v73, v63 :: v_dual_mov_b32 v70, v73
	v_dual_mov_b32 v77, v71 :: v_dual_mov_b32 v71, v72
	s_delay_alu instid0(VALU_DEP_2) | instskip(SKIP_1) | instid1(VALU_DEP_3)
	v_pk_fma_f32 v[74:75], v[72:73], v[56:57], v[74:75] op_sel_hi:[1,1,0] neg_lo:[0,0,1] neg_hi:[0,0,1]
	v_mul_f32_e32 v72, v73, v60
	v_pk_add_f32 v[38:39], v[38:39], v[76:77] neg_lo:[0,1] neg_hi:[0,1]
	s_delay_alu instid0(VALU_DEP_2) | instskip(NEXT) | instid1(VALU_DEP_1)
	v_pk_fma_f32 v[70:71], v[70:71], v[56:57], v[72:73] op_sel_hi:[1,1,0]
	v_mov_b32_e32 v75, v71
	ds_load_2addr_b64 v[70:73], v64 offset0:5 offset1:6
	v_pk_add_f32 v[16:17], v[16:17], v[74:75] neg_lo:[0,1] neg_hi:[0,1]
	s_wait_dscnt 0x0
	v_pk_mul_f32 v[74:75], v[70:71], v[62:63] op_sel:[0,1]
	s_delay_alu instid0(VALU_DEP_1) | instskip(SKIP_1) | instid1(VALU_DEP_1)
	v_pk_fma_f32 v[76:77], v[70:71], v[60:61], v[74:75] op_sel:[0,0,1] op_sel_hi:[1,1,0] neg_lo:[0,0,1] neg_hi:[0,0,1]
	v_pk_fma_f32 v[70:71], v[70:71], v[60:61], v[74:75] op_sel:[0,0,1] op_sel_hi:[1,0,0]
	v_mov_b32_e32 v77, v71
	v_pk_mul_f32 v[70:71], v[72:73], v[62:63] op_sel:[0,1]
	s_delay_alu instid0(VALU_DEP_1) | instskip(SKIP_1) | instid1(VALU_DEP_1)
	v_pk_fma_f32 v[74:75], v[72:73], v[60:61], v[70:71] op_sel:[0,0,1] op_sel_hi:[1,1,0] neg_lo:[0,0,1] neg_hi:[0,0,1]
	v_pk_fma_f32 v[70:71], v[72:73], v[60:61], v[70:71] op_sel:[0,0,1] op_sel_hi:[1,0,0]
	v_mov_b32_e32 v75, v71
	ds_load_2addr_b64 v[70:73], v64 offset0:7 offset1:8
	v_pk_add_f32 v[14:15], v[14:15], v[76:77] neg_lo:[0,1] neg_hi:[0,1]
	v_pk_add_f32 v[8:9], v[8:9], v[74:75] neg_lo:[0,1] neg_hi:[0,1]
	s_wait_dscnt 0x0
	v_pk_mul_f32 v[74:75], v[70:71], v[62:63] op_sel:[0,1]
	s_delay_alu instid0(VALU_DEP_1) | instskip(SKIP_1) | instid1(VALU_DEP_1)
	v_pk_fma_f32 v[76:77], v[70:71], v[60:61], v[74:75] op_sel:[0,0,1] op_sel_hi:[1,1,0] neg_lo:[0,0,1] neg_hi:[0,0,1]
	v_pk_fma_f32 v[70:71], v[70:71], v[60:61], v[74:75] op_sel:[0,0,1] op_sel_hi:[1,0,0]
	v_mov_b32_e32 v77, v71
	v_pk_mul_f32 v[70:71], v[72:73], v[62:63] op_sel:[0,1]
	s_delay_alu instid0(VALU_DEP_1) | instskip(SKIP_1) | instid1(VALU_DEP_1)
	v_pk_fma_f32 v[74:75], v[72:73], v[60:61], v[70:71] op_sel:[0,0,1] op_sel_hi:[1,1,0] neg_lo:[0,0,1] neg_hi:[0,0,1]
	v_pk_fma_f32 v[70:71], v[72:73], v[60:61], v[70:71] op_sel:[0,0,1] op_sel_hi:[1,0,0]
	v_mov_b32_e32 v75, v71
	ds_load_2addr_b64 v[70:73], v64 offset0:9 offset1:10
	v_pk_add_f32 v[6:7], v[6:7], v[76:77] neg_lo:[0,1] neg_hi:[0,1]
	v_pk_add_f32 v[28:29], v[28:29], v[74:75] neg_lo:[0,1] neg_hi:[0,1]
	s_wait_dscnt 0x0
	v_dual_mul_f32 v74, v71, v63 :: v_dual_mul_f32 v76, v71, v60
	s_delay_alu instid0(VALU_DEP_1) | instskip(NEXT) | instid1(VALU_DEP_2)
	v_pk_fma_f32 v[74:75], v[70:71], v[56:57], v[74:75] op_sel_hi:[1,1,0] neg_lo:[0,0,1] neg_hi:[0,0,1]
	v_pk_fma_f32 v[70:71], v[70:71], v[56:57], v[76:77] op_sel:[1,0,0] op_sel_hi:[0,1,0]
	s_delay_alu instid0(VALU_DEP_1) | instskip(SKIP_1) | instid1(VALU_DEP_2)
	v_mov_b32_e32 v75, v71
	v_pk_mul_f32 v[70:71], v[72:73], v[62:63] op_sel:[0,1]
	v_pk_add_f32 v[24:25], v[24:25], v[74:75] neg_lo:[0,1] neg_hi:[0,1]
	s_delay_alu instid0(VALU_DEP_2) | instskip(SKIP_1) | instid1(VALU_DEP_1)
	v_pk_fma_f32 v[74:75], v[72:73], v[60:61], v[70:71] op_sel:[0,0,1] op_sel_hi:[1,1,0] neg_lo:[0,0,1] neg_hi:[0,0,1]
	v_pk_fma_f32 v[70:71], v[72:73], v[60:61], v[70:71] op_sel:[0,0,1] op_sel_hi:[1,0,0]
	v_mov_b32_e32 v75, v71
	ds_load_2addr_b64 v[70:73], v64 offset0:11 offset1:12
	v_pk_add_f32 v[12:13], v[12:13], v[74:75] neg_lo:[0,1] neg_hi:[0,1]
	s_wait_dscnt 0x0
	v_pk_mul_f32 v[74:75], v[70:71], v[62:63] op_sel:[0,1]
	s_delay_alu instid0(VALU_DEP_1) | instskip(SKIP_1) | instid1(VALU_DEP_1)
	v_pk_fma_f32 v[76:77], v[70:71], v[60:61], v[74:75] op_sel:[0,0,1] op_sel_hi:[1,1,0] neg_lo:[0,0,1] neg_hi:[0,0,1]
	v_pk_fma_f32 v[70:71], v[70:71], v[60:61], v[74:75] op_sel:[0,0,1] op_sel_hi:[1,0,0]
	v_mov_b32_e32 v77, v71
	v_pk_mul_f32 v[70:71], v[72:73], v[62:63] op_sel:[0,1]
	s_delay_alu instid0(VALU_DEP_2) | instskip(NEXT) | instid1(VALU_DEP_2)
	v_pk_add_f32 v[10:11], v[10:11], v[76:77] neg_lo:[0,1] neg_hi:[0,1]
	v_pk_fma_f32 v[74:75], v[72:73], v[60:61], v[70:71] op_sel:[0,0,1] op_sel_hi:[1,1,0] neg_lo:[0,0,1] neg_hi:[0,0,1]
	v_pk_fma_f32 v[70:71], v[72:73], v[60:61], v[70:71] op_sel:[0,0,1] op_sel_hi:[1,0,0]
	s_delay_alu instid0(VALU_DEP_1) | instskip(SKIP_4) | instid1(VALU_DEP_1)
	v_mov_b32_e32 v75, v71
	ds_load_2addr_b64 v[70:73], v64 offset0:13 offset1:14
	v_pk_add_f32 v[48:49], v[48:49], v[74:75] neg_lo:[0,1] neg_hi:[0,1]
	s_wait_dscnt 0x0
	v_pk_mul_f32 v[74:75], v[70:71], v[62:63] op_sel:[0,1]
	v_pk_fma_f32 v[76:77], v[70:71], v[60:61], v[74:75] op_sel:[0,0,1] op_sel_hi:[1,1,0] neg_lo:[0,0,1] neg_hi:[0,0,1]
	v_pk_fma_f32 v[70:71], v[70:71], v[60:61], v[74:75] op_sel:[0,0,1] op_sel_hi:[1,0,0]
	v_dual_mul_f32 v74, v73, v63 :: v_dual_mov_b32 v70, v73
	s_delay_alu instid0(VALU_DEP_2) | instskip(NEXT) | instid1(VALU_DEP_2)
	v_dual_mov_b32 v77, v71 :: v_dual_mov_b32 v71, v72
	v_pk_fma_f32 v[74:75], v[72:73], v[56:57], v[74:75] op_sel_hi:[1,1,0] neg_lo:[0,0,1] neg_hi:[0,0,1]
	v_mul_f32_e32 v72, v73, v60
	s_delay_alu instid0(VALU_DEP_3) | instskip(NEXT) | instid1(VALU_DEP_2)
	v_pk_add_f32 v[46:47], v[46:47], v[76:77] neg_lo:[0,1] neg_hi:[0,1]
	v_pk_fma_f32 v[70:71], v[70:71], v[56:57], v[72:73] op_sel_hi:[1,1,0]
	s_delay_alu instid0(VALU_DEP_1) | instskip(SKIP_4) | instid1(VALU_DEP_1)
	v_mov_b32_e32 v75, v71
	ds_load_2addr_b64 v[70:73], v64 offset0:15 offset1:16
	v_pk_add_f32 v[20:21], v[20:21], v[74:75] neg_lo:[0,1] neg_hi:[0,1]
	s_wait_dscnt 0x0
	v_pk_mul_f32 v[74:75], v[70:71], v[62:63] op_sel:[0,1]
	v_pk_fma_f32 v[76:77], v[70:71], v[60:61], v[74:75] op_sel:[0,0,1] op_sel_hi:[1,1,0] neg_lo:[0,0,1] neg_hi:[0,0,1]
	v_pk_fma_f32 v[70:71], v[70:71], v[60:61], v[74:75] op_sel:[0,0,1] op_sel_hi:[1,0,0]
	s_delay_alu instid0(VALU_DEP_1) | instskip(SKIP_1) | instid1(VALU_DEP_1)
	v_mov_b32_e32 v77, v71
	v_pk_mul_f32 v[70:71], v[72:73], v[62:63] op_sel:[0,1]
	v_pk_fma_f32 v[74:75], v[72:73], v[60:61], v[70:71] op_sel:[0,0,1] op_sel_hi:[1,1,0] neg_lo:[0,0,1] neg_hi:[0,0,1]
	v_pk_fma_f32 v[70:71], v[72:73], v[60:61], v[70:71] op_sel:[0,0,1] op_sel_hi:[1,0,0]
	s_delay_alu instid0(VALU_DEP_1)
	v_mov_b32_e32 v75, v71
	ds_load_2addr_b64 v[70:73], v64 offset0:17 offset1:18
	v_pk_add_f32 v[18:19], v[18:19], v[76:77] neg_lo:[0,1] neg_hi:[0,1]
	v_pk_add_f32 v[52:53], v[52:53], v[74:75] neg_lo:[0,1] neg_hi:[0,1]
	s_wait_dscnt 0x0
	v_pk_mul_f32 v[74:75], v[70:71], v[62:63] op_sel:[0,1]
	s_delay_alu instid0(VALU_DEP_1) | instskip(SKIP_1) | instid1(VALU_DEP_1)
	v_pk_fma_f32 v[76:77], v[70:71], v[60:61], v[74:75] op_sel:[0,0,1] op_sel_hi:[1,1,0] neg_lo:[0,0,1] neg_hi:[0,0,1]
	v_pk_fma_f32 v[70:71], v[70:71], v[60:61], v[74:75] op_sel:[0,0,1] op_sel_hi:[1,0,0]
	v_mov_b32_e32 v77, v71
	v_pk_mul_f32 v[70:71], v[72:73], v[62:63] op_sel:[0,1]
	s_delay_alu instid0(VALU_DEP_1) | instskip(SKIP_1) | instid1(VALU_DEP_1)
	v_pk_fma_f32 v[74:75], v[72:73], v[60:61], v[70:71] op_sel:[0,0,1] op_sel_hi:[1,1,0] neg_lo:[0,0,1] neg_hi:[0,0,1]
	v_pk_fma_f32 v[70:71], v[72:73], v[60:61], v[70:71] op_sel:[0,0,1] op_sel_hi:[1,0,0]
	v_mov_b32_e32 v75, v71
	ds_load_2addr_b64 v[70:73], v64 offset0:19 offset1:20
	v_pk_add_f32 v[50:51], v[50:51], v[76:77] neg_lo:[0,1] neg_hi:[0,1]
	v_pk_add_f32 v[26:27], v[26:27], v[74:75] neg_lo:[0,1] neg_hi:[0,1]
	s_wait_dscnt 0x0
	v_dual_mul_f32 v74, v71, v63 :: v_dual_mul_f32 v76, v71, v60
	s_delay_alu instid0(VALU_DEP_1) | instskip(NEXT) | instid1(VALU_DEP_2)
	v_pk_fma_f32 v[74:75], v[70:71], v[56:57], v[74:75] op_sel_hi:[1,1,0] neg_lo:[0,0,1] neg_hi:[0,0,1]
	v_pk_fma_f32 v[70:71], v[70:71], v[56:57], v[76:77] op_sel:[1,0,0] op_sel_hi:[0,1,0]
	s_delay_alu instid0(VALU_DEP_1) | instskip(SKIP_1) | instid1(VALU_DEP_2)
	v_mov_b32_e32 v75, v71
	v_pk_mul_f32 v[70:71], v[72:73], v[62:63] op_sel:[0,1]
	v_pk_add_f32 v[22:23], v[22:23], v[74:75] neg_lo:[0,1] neg_hi:[0,1]
	s_delay_alu instid0(VALU_DEP_2) | instskip(SKIP_1) | instid1(VALU_DEP_1)
	v_pk_fma_f32 v[74:75], v[72:73], v[60:61], v[70:71] op_sel:[0,0,1] op_sel_hi:[1,1,0] neg_lo:[0,0,1] neg_hi:[0,0,1]
	v_pk_fma_f32 v[70:71], v[72:73], v[60:61], v[70:71] op_sel:[0,0,1] op_sel_hi:[1,0,0]
	v_mov_b32_e32 v75, v71
	ds_load_2addr_b64 v[70:73], v64 offset0:21 offset1:22
	v_pk_add_f32 v[44:45], v[44:45], v[74:75] neg_lo:[0,1] neg_hi:[0,1]
	s_wait_dscnt 0x0
	v_pk_mul_f32 v[74:75], v[70:71], v[62:63] op_sel:[0,1]
	s_delay_alu instid0(VALU_DEP_1) | instskip(SKIP_1) | instid1(VALU_DEP_1)
	v_pk_fma_f32 v[76:77], v[70:71], v[60:61], v[74:75] op_sel:[0,0,1] op_sel_hi:[1,1,0] neg_lo:[0,0,1] neg_hi:[0,0,1]
	v_pk_fma_f32 v[70:71], v[70:71], v[60:61], v[74:75] op_sel:[0,0,1] op_sel_hi:[1,0,0]
	v_mov_b32_e32 v77, v71
	v_pk_mul_f32 v[70:71], v[72:73], v[62:63] op_sel:[0,1]
	s_delay_alu instid0(VALU_DEP_2) | instskip(NEXT) | instid1(VALU_DEP_2)
	v_pk_add_f32 v[42:43], v[42:43], v[76:77] neg_lo:[0,1] neg_hi:[0,1]
	v_pk_fma_f32 v[74:75], v[72:73], v[60:61], v[70:71] op_sel:[0,0,1] op_sel_hi:[1,1,0] neg_lo:[0,0,1] neg_hi:[0,0,1]
	v_pk_fma_f32 v[70:71], v[72:73], v[60:61], v[70:71] op_sel:[0,0,1] op_sel_hi:[1,0,0]
	s_delay_alu instid0(VALU_DEP_1) | instskip(SKIP_4) | instid1(VALU_DEP_1)
	v_mov_b32_e32 v75, v71
	ds_load_2addr_b64 v[70:73], v64 offset0:23 offset1:24
	v_pk_add_f32 v[32:33], v[32:33], v[74:75] neg_lo:[0,1] neg_hi:[0,1]
	s_wait_dscnt 0x0
	v_pk_mul_f32 v[74:75], v[70:71], v[62:63] op_sel:[0,1]
	v_pk_fma_f32 v[76:77], v[70:71], v[60:61], v[74:75] op_sel:[0,0,1] op_sel_hi:[1,1,0] neg_lo:[0,0,1] neg_hi:[0,0,1]
	v_pk_fma_f32 v[70:71], v[70:71], v[60:61], v[74:75] op_sel:[0,0,1] op_sel_hi:[1,0,0]
	v_dual_mul_f32 v74, v73, v63 :: v_dual_mov_b32 v70, v73
	s_delay_alu instid0(VALU_DEP_2) | instskip(NEXT) | instid1(VALU_DEP_2)
	v_dual_mov_b32 v77, v71 :: v_dual_mov_b32 v71, v72
	v_pk_fma_f32 v[74:75], v[72:73], v[56:57], v[74:75] op_sel_hi:[1,1,0] neg_lo:[0,0,1] neg_hi:[0,0,1]
	v_mul_f32_e32 v72, v73, v60
	s_delay_alu instid0(VALU_DEP_3) | instskip(NEXT) | instid1(VALU_DEP_2)
	v_pk_add_f32 v[30:31], v[30:31], v[76:77] neg_lo:[0,1] neg_hi:[0,1]
	v_pk_fma_f32 v[70:71], v[70:71], v[56:57], v[72:73] op_sel_hi:[1,1,0]
	s_delay_alu instid0(VALU_DEP_1)
	v_mov_b32_e32 v75, v71
	ds_load_2addr_b64 v[70:73], v64 offset0:25 offset1:26
	v_pk_add_f32 v[36:37], v[36:37], v[74:75] neg_lo:[0,1] neg_hi:[0,1]
	s_wait_dscnt 0x0
	v_pk_mul_f32 v[74:75], v[70:71], v[62:63] op_sel:[0,1]
	v_pk_mul_f32 v[62:63], v[72:73], v[62:63] op_sel:[0,1]
	s_delay_alu instid0(VALU_DEP_2) | instskip(SKIP_1) | instid1(VALU_DEP_1)
	v_pk_fma_f32 v[76:77], v[70:71], v[60:61], v[74:75] op_sel:[0,0,1] op_sel_hi:[1,1,0] neg_lo:[0,0,1] neg_hi:[0,0,1]
	v_pk_fma_f32 v[70:71], v[70:71], v[60:61], v[74:75] op_sel:[0,0,1] op_sel_hi:[1,0,0]
	v_mov_b32_e32 v77, v71
	s_delay_alu instid0(VALU_DEP_4) | instskip(SKIP_1) | instid1(VALU_DEP_1)
	v_pk_fma_f32 v[70:71], v[72:73], v[60:61], v[62:63] op_sel:[0,0,1] op_sel_hi:[1,1,0] neg_lo:[0,0,1] neg_hi:[0,0,1]
	v_pk_fma_f32 v[60:61], v[72:73], v[60:61], v[62:63] op_sel:[0,0,1] op_sel_hi:[1,0,0]
	v_mov_b32_e32 v71, v61
	s_delay_alu instid0(VALU_DEP_4) | instskip(NEXT) | instid1(VALU_DEP_2)
	v_pk_add_f32 v[34:35], v[34:35], v[76:77] neg_lo:[0,1] neg_hi:[0,1]
	v_pk_add_f32 v[58:59], v[58:59], v[70:71] neg_lo:[0,1] neg_hi:[0,1]
.LBB52_22:
	s_or_b32 exec_lo, exec_lo, s0
	v_lshl_add_u32 v60, v68, 3, v64
	s_barrier_signal -1
	s_barrier_wait -1
	ds_store_b64 v60, v[54:55]
	s_wait_dscnt 0x0
	s_barrier_signal -1
	s_barrier_wait -1
	ds_load_b64 v[62:63], v64 offset:8
	v_mov_b32_e32 v60, 1
	s_cmp_lt_i32 s14, 3
	s_cbranch_scc1 .LBB52_25
; %bb.23:
	v_add3_u32 v61, v65, 0, 16
	v_mov_b32_e32 v60, 1
	s_mov_b32 s0, 2
.LBB52_24:                              ; =>This Inner Loop Header: Depth=1
	ds_load_b64 v[70:71], v61
	s_wait_dscnt 0x1
	v_cmp_gt_f32_e32 vcc_lo, 0, v62
	v_cndmask_b32_e64 v72, v62, -v62, vcc_lo
	v_cmp_gt_f32_e32 vcc_lo, 0, v63
	v_cndmask_b32_e64 v74, v63, -v63, vcc_lo
	s_wait_dscnt 0x0
	v_cmp_gt_f32_e32 vcc_lo, 0, v70
	v_cndmask_b32_e64 v73, v70, -v70, vcc_lo
	v_cmp_gt_f32_e32 vcc_lo, 0, v71
	v_cndmask_b32_e64 v75, v71, -v71, vcc_lo
	s_delay_alu instid0(VALU_DEP_1) | instskip(NEXT) | instid1(VALU_DEP_1)
	v_pk_add_f32 v[72:73], v[72:73], v[74:75]
	v_cmp_lt_f32_e32 vcc_lo, v72, v73
	v_dual_add_nc_u32 v61, 8, v61 :: v_dual_cndmask_b32 v63, v63, v71, vcc_lo
	v_cndmask_b32_e32 v62, v62, v70, vcc_lo
	v_cndmask_b32_e64 v60, v60, s0, vcc_lo
	s_add_co_i32 s0, s0, 1
	s_delay_alu instid0(SALU_CYCLE_1)
	s_cmp_lg_u32 s14, s0
	s_cbranch_scc1 .LBB52_24
.LBB52_25:
	s_wait_dscnt 0x0
	v_cmp_neq_f32_e32 vcc_lo, 0, v62
	v_cmp_neq_f32_e64 s0, 0, v63
	s_or_b32 s1, vcc_lo, s0
	s_delay_alu instid0(SALU_CYCLE_1)
	s_and_saveexec_b32 s0, s1
	s_cbranch_execz .LBB52_31
; %bb.26:
	v_cmp_ngt_f32_e64 s1, |v62|, |v63|
	s_and_saveexec_b32 s15, s1
	s_delay_alu instid0(SALU_CYCLE_1)
	s_xor_b32 s1, exec_lo, s15
	s_cbranch_execz .LBB52_28
; %bb.27:
	v_div_scale_f32 v61, null, v63, v63, v62
	v_div_scale_f32 v71, vcc_lo, v62, v63, v62
	s_delay_alu instid0(VALU_DEP_2) | instskip(SKIP_1) | instid1(TRANS32_DEP_1)
	v_rcp_f32_e32 v66, v61
	v_nop
	v_fma_f32 v70, -v61, v66, 1.0
	s_delay_alu instid0(VALU_DEP_1) | instskip(NEXT) | instid1(VALU_DEP_1)
	v_fmac_f32_e32 v66, v70, v66
	v_mul_f32_e32 v70, v71, v66
	s_delay_alu instid0(VALU_DEP_1) | instskip(NEXT) | instid1(VALU_DEP_1)
	v_fma_f32 v72, -v61, v70, v71
	v_fmac_f32_e32 v70, v72, v66
	s_delay_alu instid0(VALU_DEP_1) | instskip(NEXT) | instid1(VALU_DEP_1)
	v_fma_f32 v61, -v61, v70, v71
	v_div_fmas_f32 v61, v61, v66, v70
	s_delay_alu instid0(VALU_DEP_1) | instskip(NEXT) | instid1(VALU_DEP_1)
	v_div_fixup_f32 v61, v61, v63, v62
	v_fmac_f32_e32 v63, v62, v61
	s_delay_alu instid0(VALU_DEP_1) | instskip(SKIP_1) | instid1(VALU_DEP_2)
	v_div_scale_f32 v62, null, v63, v63, 1.0
	v_div_scale_f32 v71, vcc_lo, 1.0, v63, 1.0
	v_rcp_f32_e32 v66, v62
	v_nop
	s_delay_alu instid0(TRANS32_DEP_1) | instskip(NEXT) | instid1(VALU_DEP_1)
	v_fma_f32 v70, -v62, v66, 1.0
	v_fmac_f32_e32 v66, v70, v66
	s_delay_alu instid0(VALU_DEP_1) | instskip(NEXT) | instid1(VALU_DEP_1)
	v_mul_f32_e32 v70, v71, v66
	v_fma_f32 v72, -v62, v70, v71
	s_delay_alu instid0(VALU_DEP_1) | instskip(NEXT) | instid1(VALU_DEP_1)
	v_fmac_f32_e32 v70, v72, v66
	v_fma_f32 v62, -v62, v70, v71
	s_delay_alu instid0(VALU_DEP_1) | instskip(NEXT) | instid1(VALU_DEP_1)
	v_div_fmas_f32 v62, v62, v66, v70
	v_div_fixup_f32 v63, v62, v63, 1.0
	s_delay_alu instid0(VALU_DEP_1)
	v_mul_f32_e32 v62, v61, v63
	v_xor_b32_e32 v63, 0x80000000, v63
.LBB52_28:
	s_and_not1_saveexec_b32 s1, s1
	s_cbranch_execz .LBB52_30
; %bb.29:
	s_delay_alu instid0(VALU_DEP_1) | instskip(SKIP_1) | instid1(VALU_DEP_2)
	v_div_scale_f32 v61, null, v62, v62, v63
	v_div_scale_f32 v71, vcc_lo, v63, v62, v63
	v_rcp_f32_e32 v66, v61
	v_nop
	s_delay_alu instid0(TRANS32_DEP_1) | instskip(NEXT) | instid1(VALU_DEP_1)
	v_fma_f32 v70, -v61, v66, 1.0
	v_fmac_f32_e32 v66, v70, v66
	s_delay_alu instid0(VALU_DEP_1) | instskip(NEXT) | instid1(VALU_DEP_1)
	v_mul_f32_e32 v70, v71, v66
	v_fma_f32 v72, -v61, v70, v71
	s_delay_alu instid0(VALU_DEP_1) | instskip(NEXT) | instid1(VALU_DEP_1)
	v_fmac_f32_e32 v70, v72, v66
	v_fma_f32 v61, -v61, v70, v71
	s_delay_alu instid0(VALU_DEP_1) | instskip(NEXT) | instid1(VALU_DEP_1)
	v_div_fmas_f32 v61, v61, v66, v70
	v_div_fixup_f32 v61, v61, v62, v63
	s_delay_alu instid0(VALU_DEP_1) | instskip(NEXT) | instid1(VALU_DEP_1)
	v_fmac_f32_e32 v62, v63, v61
	v_div_scale_f32 v63, null, v62, v62, 1.0
	s_delay_alu instid0(VALU_DEP_1) | instskip(SKIP_1) | instid1(TRANS32_DEP_1)
	v_rcp_f32_e32 v66, v63
	v_nop
	v_fma_f32 v70, -v63, v66, 1.0
	s_delay_alu instid0(VALU_DEP_1) | instskip(SKIP_1) | instid1(VALU_DEP_1)
	v_fmac_f32_e32 v66, v70, v66
	v_div_scale_f32 v70, vcc_lo, 1.0, v62, 1.0
	v_mul_f32_e32 v71, v70, v66
	s_delay_alu instid0(VALU_DEP_1) | instskip(NEXT) | instid1(VALU_DEP_1)
	v_fma_f32 v72, -v63, v71, v70
	v_fmac_f32_e32 v71, v72, v66
	s_delay_alu instid0(VALU_DEP_1) | instskip(NEXT) | instid1(VALU_DEP_1)
	v_fma_f32 v63, -v63, v71, v70
	v_div_fmas_f32 v63, v63, v66, v71
	s_delay_alu instid0(VALU_DEP_1) | instskip(NEXT) | instid1(VALU_DEP_1)
	v_div_fixup_f32 v62, v63, v62, 1.0
	v_mul_f32_e64 v63, v61, -v62
.LBB52_30:
	s_or_b32 exec_lo, exec_lo, s1
	v_mov_b32_e32 v66, v69
.LBB52_31:
	s_or_b32 exec_lo, exec_lo, s0
	s_delay_alu instid0(SALU_CYCLE_1)
	s_mov_b32 s0, exec_lo
	v_cmpx_ne_u32_e64 v68, v60
	s_xor_b32 s0, exec_lo, s0
	s_cbranch_execz .LBB52_37
; %bb.32:
	s_mov_b32 s1, exec_lo
	v_cmpx_eq_u32_e32 1, v68
	s_cbranch_execz .LBB52_36
; %bb.33:
	v_cmp_ne_u32_e32 vcc_lo, 1, v60
	s_xor_b32 s15, s2, -1
	s_delay_alu instid0(SALU_CYCLE_1) | instskip(NEXT) | instid1(SALU_CYCLE_1)
	s_and_b32 s16, s15, vcc_lo
	s_and_saveexec_b32 s15, s16
	s_cbranch_execz .LBB52_35
; %bb.34:
	v_ashrrev_i32_e32 v61, 31, v60
	s_delay_alu instid0(VALU_DEP_1)
	v_lshl_add_u64 v[68:69], v[60:61], 2, v[4:5]
	s_clause 0x1
	global_load_b32 v61, v[68:69], off
	global_load_b32 v67, v[4:5], off offset:4
	s_wait_loadcnt 0x1
	global_store_b32 v[4:5], v61, off offset:4
	s_wait_loadcnt 0x0
	global_store_b32 v[68:69], v67, off
.LBB52_35:
	s_wait_xcnt 0x0
	s_or_b32 exec_lo, exec_lo, s15
	v_dual_mov_b32 v68, v60 :: v_dual_mov_b32 v67, v60
.LBB52_36:
	s_or_b32 exec_lo, exec_lo, s1
.LBB52_37:
	s_and_not1_saveexec_b32 s0, s0
	s_cbranch_execz .LBB52_39
; %bb.38:
	v_dual_mov_b32 v60, v40 :: v_dual_mov_b32 v61, v41
	v_dual_mov_b32 v68, v38 :: v_dual_mov_b32 v69, v39
	ds_store_2addr_b64 v64, v[60:61], v[68:69] offset0:2 offset1:3
	v_dual_mov_b32 v60, v16 :: v_dual_mov_b32 v61, v17
	v_dual_mov_b32 v68, v14 :: v_dual_mov_b32 v69, v15
	ds_store_2addr_b64 v64, v[60:61], v[68:69] offset0:4 offset1:5
	;; [unrolled: 3-line block ×12, first 2 shown]
	ds_store_b64 v64, v[58:59] offset:208
	v_mov_b32_e32 v68, 1
.LBB52_39:
	s_or_b32 exec_lo, exec_lo, s0
	s_delay_alu instid0(SALU_CYCLE_1)
	s_mov_b32 s0, exec_lo
	s_wait_storecnt_dscnt 0x0
	s_barrier_signal -1
	s_barrier_wait -1
	v_cmpx_lt_i32_e32 1, v68
	s_cbranch_execz .LBB52_41
; %bb.40:
	v_pk_mul_f32 v[70:71], v[62:63], v[54:55] op_sel:[1,1] op_sel_hi:[0,1]
	s_delay_alu instid0(VALU_DEP_1)
	v_pk_fma_f32 v[60:61], v[62:63], v[54:55], v[70:71] op_sel_hi:[1,0,1] neg_lo:[0,0,1] neg_hi:[0,0,1]
	v_pk_fma_f32 v[62:63], v[62:63], v[54:55], v[70:71] op_sel_hi:[1,0,1]
	ds_load_2addr_b64 v[70:73], v64 offset0:2 offset1:3
	v_dual_mov_b32 v54, v60 :: v_dual_mov_b32 v55, v63
	s_wait_dscnt 0x0
	v_pk_mul_f32 v[74:75], v[70:71], v[62:63] op_sel:[0,1]
	s_delay_alu instid0(VALU_DEP_1) | instskip(SKIP_1) | instid1(VALU_DEP_1)
	v_pk_fma_f32 v[76:77], v[70:71], v[60:61], v[74:75] op_sel:[0,0,1] op_sel_hi:[1,1,0] neg_lo:[0,0,1] neg_hi:[0,0,1]
	v_pk_fma_f32 v[70:71], v[70:71], v[60:61], v[74:75] op_sel:[0,0,1] op_sel_hi:[1,0,0]
	v_mov_b32_e32 v77, v71
	v_pk_mul_f32 v[70:71], v[72:73], v[62:63] op_sel:[0,1]
	s_delay_alu instid0(VALU_DEP_1) | instskip(SKIP_1) | instid1(VALU_DEP_1)
	v_pk_fma_f32 v[74:75], v[72:73], v[60:61], v[70:71] op_sel:[0,0,1] op_sel_hi:[1,1,0] neg_lo:[0,0,1] neg_hi:[0,0,1]
	v_pk_fma_f32 v[70:71], v[72:73], v[60:61], v[70:71] op_sel:[0,0,1] op_sel_hi:[1,0,0]
	v_mov_b32_e32 v75, v71
	ds_load_2addr_b64 v[70:73], v64 offset0:4 offset1:5
	v_pk_add_f32 v[40:41], v[40:41], v[76:77] neg_lo:[0,1] neg_hi:[0,1]
	v_pk_add_f32 v[38:39], v[38:39], v[74:75] neg_lo:[0,1] neg_hi:[0,1]
	s_wait_dscnt 0x0
	v_pk_mul_f32 v[74:75], v[70:71], v[62:63] op_sel:[0,1]
	s_delay_alu instid0(VALU_DEP_1) | instskip(SKIP_2) | instid1(VALU_DEP_2)
	v_pk_fma_f32 v[76:77], v[70:71], v[60:61], v[74:75] op_sel:[0,0,1] op_sel_hi:[1,1,0] neg_lo:[0,0,1] neg_hi:[0,0,1]
	v_pk_fma_f32 v[70:71], v[70:71], v[60:61], v[74:75] op_sel:[0,0,1] op_sel_hi:[1,0,0]
	v_dual_mul_f32 v74, v73, v63 :: v_dual_mov_b32 v70, v73
	v_dual_mov_b32 v77, v71 :: v_dual_mov_b32 v71, v72
	s_delay_alu instid0(VALU_DEP_2) | instskip(SKIP_1) | instid1(VALU_DEP_3)
	v_pk_fma_f32 v[74:75], v[72:73], v[54:55], v[74:75] op_sel_hi:[1,1,0] neg_lo:[0,0,1] neg_hi:[0,0,1]
	v_mul_f32_e32 v72, v73, v60
	v_pk_add_f32 v[16:17], v[16:17], v[76:77] neg_lo:[0,1] neg_hi:[0,1]
	s_delay_alu instid0(VALU_DEP_2) | instskip(NEXT) | instid1(VALU_DEP_1)
	v_pk_fma_f32 v[70:71], v[70:71], v[54:55], v[72:73] op_sel_hi:[1,1,0]
	v_mov_b32_e32 v75, v71
	ds_load_2addr_b64 v[70:73], v64 offset0:6 offset1:7
	v_pk_add_f32 v[14:15], v[14:15], v[74:75] neg_lo:[0,1] neg_hi:[0,1]
	s_wait_dscnt 0x0
	v_pk_mul_f32 v[74:75], v[70:71], v[62:63] op_sel:[0,1]
	s_delay_alu instid0(VALU_DEP_1) | instskip(SKIP_1) | instid1(VALU_DEP_1)
	v_pk_fma_f32 v[76:77], v[70:71], v[60:61], v[74:75] op_sel:[0,0,1] op_sel_hi:[1,1,0] neg_lo:[0,0,1] neg_hi:[0,0,1]
	v_pk_fma_f32 v[70:71], v[70:71], v[60:61], v[74:75] op_sel:[0,0,1] op_sel_hi:[1,0,0]
	v_mov_b32_e32 v77, v71
	v_pk_mul_f32 v[70:71], v[72:73], v[62:63] op_sel:[0,1]
	s_delay_alu instid0(VALU_DEP_1) | instskip(SKIP_1) | instid1(VALU_DEP_1)
	v_pk_fma_f32 v[74:75], v[72:73], v[60:61], v[70:71] op_sel:[0,0,1] op_sel_hi:[1,1,0] neg_lo:[0,0,1] neg_hi:[0,0,1]
	v_pk_fma_f32 v[70:71], v[72:73], v[60:61], v[70:71] op_sel:[0,0,1] op_sel_hi:[1,0,0]
	v_mov_b32_e32 v75, v71
	ds_load_2addr_b64 v[70:73], v64 offset0:8 offset1:9
	v_pk_add_f32 v[8:9], v[8:9], v[76:77] neg_lo:[0,1] neg_hi:[0,1]
	v_pk_add_f32 v[6:7], v[6:7], v[74:75] neg_lo:[0,1] neg_hi:[0,1]
	s_wait_dscnt 0x0
	v_pk_mul_f32 v[74:75], v[70:71], v[62:63] op_sel:[0,1]
	s_delay_alu instid0(VALU_DEP_1) | instskip(SKIP_1) | instid1(VALU_DEP_1)
	v_pk_fma_f32 v[76:77], v[70:71], v[60:61], v[74:75] op_sel:[0,0,1] op_sel_hi:[1,1,0] neg_lo:[0,0,1] neg_hi:[0,0,1]
	v_pk_fma_f32 v[70:71], v[70:71], v[60:61], v[74:75] op_sel:[0,0,1] op_sel_hi:[1,0,0]
	v_mov_b32_e32 v77, v71
	v_pk_mul_f32 v[70:71], v[72:73], v[62:63] op_sel:[0,1]
	s_delay_alu instid0(VALU_DEP_1) | instskip(SKIP_1) | instid1(VALU_DEP_1)
	v_pk_fma_f32 v[74:75], v[72:73], v[60:61], v[70:71] op_sel:[0,0,1] op_sel_hi:[1,1,0] neg_lo:[0,0,1] neg_hi:[0,0,1]
	v_pk_fma_f32 v[70:71], v[72:73], v[60:61], v[70:71] op_sel:[0,0,1] op_sel_hi:[1,0,0]
	v_mov_b32_e32 v75, v71
	ds_load_2addr_b64 v[70:73], v64 offset0:10 offset1:11
	v_pk_add_f32 v[28:29], v[28:29], v[76:77] neg_lo:[0,1] neg_hi:[0,1]
	v_pk_add_f32 v[24:25], v[24:25], v[74:75] neg_lo:[0,1] neg_hi:[0,1]
	s_wait_dscnt 0x0
	v_dual_mul_f32 v74, v71, v63 :: v_dual_mul_f32 v76, v71, v60
	s_delay_alu instid0(VALU_DEP_1) | instskip(NEXT) | instid1(VALU_DEP_2)
	v_pk_fma_f32 v[74:75], v[70:71], v[54:55], v[74:75] op_sel_hi:[1,1,0] neg_lo:[0,0,1] neg_hi:[0,0,1]
	v_pk_fma_f32 v[70:71], v[70:71], v[54:55], v[76:77] op_sel:[1,0,0] op_sel_hi:[0,1,0]
	s_delay_alu instid0(VALU_DEP_1) | instskip(SKIP_1) | instid1(VALU_DEP_2)
	v_mov_b32_e32 v75, v71
	v_pk_mul_f32 v[70:71], v[72:73], v[62:63] op_sel:[0,1]
	v_pk_add_f32 v[12:13], v[12:13], v[74:75] neg_lo:[0,1] neg_hi:[0,1]
	s_delay_alu instid0(VALU_DEP_2) | instskip(SKIP_1) | instid1(VALU_DEP_1)
	v_pk_fma_f32 v[74:75], v[72:73], v[60:61], v[70:71] op_sel:[0,0,1] op_sel_hi:[1,1,0] neg_lo:[0,0,1] neg_hi:[0,0,1]
	v_pk_fma_f32 v[70:71], v[72:73], v[60:61], v[70:71] op_sel:[0,0,1] op_sel_hi:[1,0,0]
	v_mov_b32_e32 v75, v71
	ds_load_2addr_b64 v[70:73], v64 offset0:12 offset1:13
	v_pk_add_f32 v[10:11], v[10:11], v[74:75] neg_lo:[0,1] neg_hi:[0,1]
	s_wait_dscnt 0x0
	v_pk_mul_f32 v[74:75], v[70:71], v[62:63] op_sel:[0,1]
	s_delay_alu instid0(VALU_DEP_1) | instskip(SKIP_1) | instid1(VALU_DEP_1)
	v_pk_fma_f32 v[76:77], v[70:71], v[60:61], v[74:75] op_sel:[0,0,1] op_sel_hi:[1,1,0] neg_lo:[0,0,1] neg_hi:[0,0,1]
	v_pk_fma_f32 v[70:71], v[70:71], v[60:61], v[74:75] op_sel:[0,0,1] op_sel_hi:[1,0,0]
	v_mov_b32_e32 v77, v71
	v_pk_mul_f32 v[70:71], v[72:73], v[62:63] op_sel:[0,1]
	s_delay_alu instid0(VALU_DEP_2) | instskip(NEXT) | instid1(VALU_DEP_2)
	v_pk_add_f32 v[48:49], v[48:49], v[76:77] neg_lo:[0,1] neg_hi:[0,1]
	v_pk_fma_f32 v[74:75], v[72:73], v[60:61], v[70:71] op_sel:[0,0,1] op_sel_hi:[1,1,0] neg_lo:[0,0,1] neg_hi:[0,0,1]
	v_pk_fma_f32 v[70:71], v[72:73], v[60:61], v[70:71] op_sel:[0,0,1] op_sel_hi:[1,0,0]
	s_delay_alu instid0(VALU_DEP_1) | instskip(SKIP_4) | instid1(VALU_DEP_1)
	v_mov_b32_e32 v75, v71
	ds_load_2addr_b64 v[70:73], v64 offset0:14 offset1:15
	v_pk_add_f32 v[46:47], v[46:47], v[74:75] neg_lo:[0,1] neg_hi:[0,1]
	s_wait_dscnt 0x0
	v_pk_mul_f32 v[74:75], v[70:71], v[62:63] op_sel:[0,1]
	v_pk_fma_f32 v[76:77], v[70:71], v[60:61], v[74:75] op_sel:[0,0,1] op_sel_hi:[1,1,0] neg_lo:[0,0,1] neg_hi:[0,0,1]
	v_pk_fma_f32 v[70:71], v[70:71], v[60:61], v[74:75] op_sel:[0,0,1] op_sel_hi:[1,0,0]
	v_dual_mul_f32 v74, v73, v63 :: v_dual_mov_b32 v70, v73
	s_delay_alu instid0(VALU_DEP_2) | instskip(NEXT) | instid1(VALU_DEP_2)
	v_dual_mov_b32 v77, v71 :: v_dual_mov_b32 v71, v72
	v_pk_fma_f32 v[74:75], v[72:73], v[54:55], v[74:75] op_sel_hi:[1,1,0] neg_lo:[0,0,1] neg_hi:[0,0,1]
	v_mul_f32_e32 v72, v73, v60
	s_delay_alu instid0(VALU_DEP_3) | instskip(NEXT) | instid1(VALU_DEP_2)
	v_pk_add_f32 v[20:21], v[20:21], v[76:77] neg_lo:[0,1] neg_hi:[0,1]
	v_pk_fma_f32 v[70:71], v[70:71], v[54:55], v[72:73] op_sel_hi:[1,1,0]
	s_delay_alu instid0(VALU_DEP_1) | instskip(SKIP_4) | instid1(VALU_DEP_1)
	v_mov_b32_e32 v75, v71
	ds_load_2addr_b64 v[70:73], v64 offset0:16 offset1:17
	v_pk_add_f32 v[18:19], v[18:19], v[74:75] neg_lo:[0,1] neg_hi:[0,1]
	s_wait_dscnt 0x0
	v_pk_mul_f32 v[74:75], v[70:71], v[62:63] op_sel:[0,1]
	v_pk_fma_f32 v[76:77], v[70:71], v[60:61], v[74:75] op_sel:[0,0,1] op_sel_hi:[1,1,0] neg_lo:[0,0,1] neg_hi:[0,0,1]
	v_pk_fma_f32 v[70:71], v[70:71], v[60:61], v[74:75] op_sel:[0,0,1] op_sel_hi:[1,0,0]
	s_delay_alu instid0(VALU_DEP_1) | instskip(SKIP_1) | instid1(VALU_DEP_1)
	v_mov_b32_e32 v77, v71
	v_pk_mul_f32 v[70:71], v[72:73], v[62:63] op_sel:[0,1]
	v_pk_fma_f32 v[74:75], v[72:73], v[60:61], v[70:71] op_sel:[0,0,1] op_sel_hi:[1,1,0] neg_lo:[0,0,1] neg_hi:[0,0,1]
	v_pk_fma_f32 v[70:71], v[72:73], v[60:61], v[70:71] op_sel:[0,0,1] op_sel_hi:[1,0,0]
	s_delay_alu instid0(VALU_DEP_1)
	v_mov_b32_e32 v75, v71
	ds_load_2addr_b64 v[70:73], v64 offset0:18 offset1:19
	v_pk_add_f32 v[52:53], v[52:53], v[76:77] neg_lo:[0,1] neg_hi:[0,1]
	v_pk_add_f32 v[50:51], v[50:51], v[74:75] neg_lo:[0,1] neg_hi:[0,1]
	s_wait_dscnt 0x0
	v_pk_mul_f32 v[74:75], v[70:71], v[62:63] op_sel:[0,1]
	s_delay_alu instid0(VALU_DEP_1) | instskip(SKIP_1) | instid1(VALU_DEP_1)
	v_pk_fma_f32 v[76:77], v[70:71], v[60:61], v[74:75] op_sel:[0,0,1] op_sel_hi:[1,1,0] neg_lo:[0,0,1] neg_hi:[0,0,1]
	v_pk_fma_f32 v[70:71], v[70:71], v[60:61], v[74:75] op_sel:[0,0,1] op_sel_hi:[1,0,0]
	v_mov_b32_e32 v77, v71
	v_pk_mul_f32 v[70:71], v[72:73], v[62:63] op_sel:[0,1]
	s_delay_alu instid0(VALU_DEP_1) | instskip(SKIP_1) | instid1(VALU_DEP_1)
	v_pk_fma_f32 v[74:75], v[72:73], v[60:61], v[70:71] op_sel:[0,0,1] op_sel_hi:[1,1,0] neg_lo:[0,0,1] neg_hi:[0,0,1]
	v_pk_fma_f32 v[70:71], v[72:73], v[60:61], v[70:71] op_sel:[0,0,1] op_sel_hi:[1,0,0]
	v_mov_b32_e32 v75, v71
	ds_load_2addr_b64 v[70:73], v64 offset0:20 offset1:21
	v_pk_add_f32 v[26:27], v[26:27], v[76:77] neg_lo:[0,1] neg_hi:[0,1]
	v_pk_add_f32 v[22:23], v[22:23], v[74:75] neg_lo:[0,1] neg_hi:[0,1]
	s_wait_dscnt 0x0
	v_dual_mul_f32 v74, v71, v63 :: v_dual_mul_f32 v76, v71, v60
	s_delay_alu instid0(VALU_DEP_1) | instskip(NEXT) | instid1(VALU_DEP_2)
	v_pk_fma_f32 v[74:75], v[70:71], v[54:55], v[74:75] op_sel_hi:[1,1,0] neg_lo:[0,0,1] neg_hi:[0,0,1]
	v_pk_fma_f32 v[70:71], v[70:71], v[54:55], v[76:77] op_sel:[1,0,0] op_sel_hi:[0,1,0]
	s_delay_alu instid0(VALU_DEP_1) | instskip(SKIP_1) | instid1(VALU_DEP_2)
	v_mov_b32_e32 v75, v71
	v_pk_mul_f32 v[70:71], v[72:73], v[62:63] op_sel:[0,1]
	v_pk_add_f32 v[44:45], v[44:45], v[74:75] neg_lo:[0,1] neg_hi:[0,1]
	s_delay_alu instid0(VALU_DEP_2) | instskip(SKIP_1) | instid1(VALU_DEP_1)
	v_pk_fma_f32 v[74:75], v[72:73], v[60:61], v[70:71] op_sel:[0,0,1] op_sel_hi:[1,1,0] neg_lo:[0,0,1] neg_hi:[0,0,1]
	v_pk_fma_f32 v[70:71], v[72:73], v[60:61], v[70:71] op_sel:[0,0,1] op_sel_hi:[1,0,0]
	v_mov_b32_e32 v75, v71
	ds_load_2addr_b64 v[70:73], v64 offset0:22 offset1:23
	v_pk_add_f32 v[42:43], v[42:43], v[74:75] neg_lo:[0,1] neg_hi:[0,1]
	s_wait_dscnt 0x0
	v_pk_mul_f32 v[74:75], v[70:71], v[62:63] op_sel:[0,1]
	s_delay_alu instid0(VALU_DEP_1) | instskip(SKIP_1) | instid1(VALU_DEP_1)
	v_pk_fma_f32 v[76:77], v[70:71], v[60:61], v[74:75] op_sel:[0,0,1] op_sel_hi:[1,1,0] neg_lo:[0,0,1] neg_hi:[0,0,1]
	v_pk_fma_f32 v[70:71], v[70:71], v[60:61], v[74:75] op_sel:[0,0,1] op_sel_hi:[1,0,0]
	v_mov_b32_e32 v77, v71
	v_pk_mul_f32 v[70:71], v[72:73], v[62:63] op_sel:[0,1]
	s_delay_alu instid0(VALU_DEP_2) | instskip(NEXT) | instid1(VALU_DEP_2)
	v_pk_add_f32 v[32:33], v[32:33], v[76:77] neg_lo:[0,1] neg_hi:[0,1]
	v_pk_fma_f32 v[74:75], v[72:73], v[60:61], v[70:71] op_sel:[0,0,1] op_sel_hi:[1,1,0] neg_lo:[0,0,1] neg_hi:[0,0,1]
	v_pk_fma_f32 v[70:71], v[72:73], v[60:61], v[70:71] op_sel:[0,0,1] op_sel_hi:[1,0,0]
	s_delay_alu instid0(VALU_DEP_1) | instskip(SKIP_4) | instid1(VALU_DEP_1)
	v_mov_b32_e32 v75, v71
	ds_load_2addr_b64 v[70:73], v64 offset0:24 offset1:25
	v_pk_add_f32 v[30:31], v[30:31], v[74:75] neg_lo:[0,1] neg_hi:[0,1]
	s_wait_dscnt 0x0
	v_pk_mul_f32 v[74:75], v[70:71], v[62:63] op_sel:[0,1]
	v_pk_fma_f32 v[76:77], v[70:71], v[60:61], v[74:75] op_sel:[0,0,1] op_sel_hi:[1,1,0] neg_lo:[0,0,1] neg_hi:[0,0,1]
	v_pk_fma_f32 v[70:71], v[70:71], v[60:61], v[74:75] op_sel:[0,0,1] op_sel_hi:[1,0,0]
	v_dual_mul_f32 v74, v73, v63 :: v_dual_mov_b32 v70, v73
	s_delay_alu instid0(VALU_DEP_2) | instskip(NEXT) | instid1(VALU_DEP_2)
	v_dual_mov_b32 v77, v71 :: v_dual_mov_b32 v71, v72
	v_pk_fma_f32 v[74:75], v[72:73], v[54:55], v[74:75] op_sel_hi:[1,1,0] neg_lo:[0,0,1] neg_hi:[0,0,1]
	v_mul_f32_e32 v72, v73, v60
	s_delay_alu instid0(VALU_DEP_3) | instskip(NEXT) | instid1(VALU_DEP_2)
	v_pk_add_f32 v[36:37], v[36:37], v[76:77] neg_lo:[0,1] neg_hi:[0,1]
	v_pk_fma_f32 v[70:71], v[70:71], v[54:55], v[72:73] op_sel_hi:[1,1,0]
	s_delay_alu instid0(VALU_DEP_1) | instskip(SKIP_4) | instid1(VALU_DEP_1)
	v_mov_b32_e32 v75, v71
	ds_load_b64 v[70:71], v64 offset:208
	v_pk_add_f32 v[34:35], v[34:35], v[74:75] neg_lo:[0,1] neg_hi:[0,1]
	s_wait_dscnt 0x0
	v_pk_mul_f32 v[62:63], v[70:71], v[62:63] op_sel:[0,1]
	v_pk_fma_f32 v[72:73], v[70:71], v[60:61], v[62:63] op_sel:[0,0,1] op_sel_hi:[1,1,0] neg_lo:[0,0,1] neg_hi:[0,0,1]
	v_pk_fma_f32 v[60:61], v[70:71], v[60:61], v[62:63] op_sel:[0,0,1] op_sel_hi:[1,0,0]
	s_delay_alu instid0(VALU_DEP_1) | instskip(NEXT) | instid1(VALU_DEP_1)
	v_mov_b32_e32 v73, v61
	v_pk_add_f32 v[58:59], v[58:59], v[72:73] neg_lo:[0,1] neg_hi:[0,1]
.LBB52_41:
	s_or_b32 exec_lo, exec_lo, s0
	v_lshl_add_u32 v60, v68, 3, v64
	s_barrier_signal -1
	s_barrier_wait -1
	ds_store_b64 v60, v[40:41]
	s_wait_dscnt 0x0
	s_barrier_signal -1
	s_barrier_wait -1
	ds_load_b64 v[62:63], v64 offset:16
	v_mov_b32_e32 v60, 2
	s_cmp_lt_i32 s14, 4
	s_mov_b32 s0, 3
	s_cbranch_scc1 .LBB52_44
; %bb.42:
	v_add3_u32 v61, v65, 0, 24
	v_mov_b32_e32 v60, 2
.LBB52_43:                              ; =>This Inner Loop Header: Depth=1
	ds_load_b64 v[70:71], v61
	s_wait_dscnt 0x1
	v_cmp_gt_f32_e32 vcc_lo, 0, v62
	v_cndmask_b32_e64 v72, v62, -v62, vcc_lo
	v_cmp_gt_f32_e32 vcc_lo, 0, v63
	v_cndmask_b32_e64 v74, v63, -v63, vcc_lo
	s_wait_dscnt 0x0
	v_cmp_gt_f32_e32 vcc_lo, 0, v70
	v_cndmask_b32_e64 v73, v70, -v70, vcc_lo
	v_cmp_gt_f32_e32 vcc_lo, 0, v71
	v_cndmask_b32_e64 v75, v71, -v71, vcc_lo
	s_delay_alu instid0(VALU_DEP_1) | instskip(NEXT) | instid1(VALU_DEP_1)
	v_pk_add_f32 v[72:73], v[72:73], v[74:75]
	v_cmp_lt_f32_e32 vcc_lo, v72, v73
	v_dual_add_nc_u32 v61, 8, v61 :: v_dual_cndmask_b32 v63, v63, v71, vcc_lo
	v_cndmask_b32_e32 v62, v62, v70, vcc_lo
	v_cndmask_b32_e64 v60, v60, s0, vcc_lo
	s_add_co_i32 s0, s0, 1
	s_delay_alu instid0(SALU_CYCLE_1)
	s_cmp_lg_u32 s14, s0
	s_cbranch_scc1 .LBB52_43
.LBB52_44:
	s_wait_dscnt 0x0
	v_cmp_eq_f32_e32 vcc_lo, 0, v62
	v_cmp_eq_f32_e64 s0, 0, v63
	s_and_b32 s0, vcc_lo, s0
	s_delay_alu instid0(SALU_CYCLE_1) | instskip(NEXT) | instid1(SALU_CYCLE_1)
	s_and_saveexec_b32 s1, s0
	s_xor_b32 s0, exec_lo, s1
; %bb.45:
	v_cmp_ne_u32_e32 vcc_lo, 0, v66
	v_cndmask_b32_e32 v66, 3, v66, vcc_lo
; %bb.46:
	s_and_not1_saveexec_b32 s0, s0
	s_cbranch_execz .LBB52_52
; %bb.47:
	v_cmp_ngt_f32_e64 s1, |v62|, |v63|
	s_and_saveexec_b32 s15, s1
	s_delay_alu instid0(SALU_CYCLE_1)
	s_xor_b32 s1, exec_lo, s15
	s_cbranch_execz .LBB52_49
; %bb.48:
	v_div_scale_f32 v61, null, v63, v63, v62
	v_div_scale_f32 v71, vcc_lo, v62, v63, v62
	s_delay_alu instid0(VALU_DEP_2) | instskip(SKIP_1) | instid1(TRANS32_DEP_1)
	v_rcp_f32_e32 v69, v61
	v_nop
	v_fma_f32 v70, -v61, v69, 1.0
	s_delay_alu instid0(VALU_DEP_1) | instskip(NEXT) | instid1(VALU_DEP_1)
	v_fmac_f32_e32 v69, v70, v69
	v_mul_f32_e32 v70, v71, v69
	s_delay_alu instid0(VALU_DEP_1) | instskip(NEXT) | instid1(VALU_DEP_1)
	v_fma_f32 v72, -v61, v70, v71
	v_fmac_f32_e32 v70, v72, v69
	s_delay_alu instid0(VALU_DEP_1) | instskip(NEXT) | instid1(VALU_DEP_1)
	v_fma_f32 v61, -v61, v70, v71
	v_div_fmas_f32 v61, v61, v69, v70
	s_delay_alu instid0(VALU_DEP_1) | instskip(NEXT) | instid1(VALU_DEP_1)
	v_div_fixup_f32 v61, v61, v63, v62
	v_fmac_f32_e32 v63, v62, v61
	s_delay_alu instid0(VALU_DEP_1) | instskip(SKIP_1) | instid1(VALU_DEP_2)
	v_div_scale_f32 v62, null, v63, v63, 1.0
	v_div_scale_f32 v71, vcc_lo, 1.0, v63, 1.0
	v_rcp_f32_e32 v69, v62
	v_nop
	s_delay_alu instid0(TRANS32_DEP_1) | instskip(NEXT) | instid1(VALU_DEP_1)
	v_fma_f32 v70, -v62, v69, 1.0
	v_fmac_f32_e32 v69, v70, v69
	s_delay_alu instid0(VALU_DEP_1) | instskip(NEXT) | instid1(VALU_DEP_1)
	v_mul_f32_e32 v70, v71, v69
	v_fma_f32 v72, -v62, v70, v71
	s_delay_alu instid0(VALU_DEP_1) | instskip(NEXT) | instid1(VALU_DEP_1)
	v_fmac_f32_e32 v70, v72, v69
	v_fma_f32 v62, -v62, v70, v71
	s_delay_alu instid0(VALU_DEP_1) | instskip(NEXT) | instid1(VALU_DEP_1)
	v_div_fmas_f32 v62, v62, v69, v70
	v_div_fixup_f32 v63, v62, v63, 1.0
	s_delay_alu instid0(VALU_DEP_1)
	v_mul_f32_e32 v62, v61, v63
	v_xor_b32_e32 v63, 0x80000000, v63
.LBB52_49:
	s_and_not1_saveexec_b32 s1, s1
	s_cbranch_execz .LBB52_51
; %bb.50:
	s_delay_alu instid0(VALU_DEP_1) | instskip(SKIP_1) | instid1(VALU_DEP_2)
	v_div_scale_f32 v61, null, v62, v62, v63
	v_div_scale_f32 v71, vcc_lo, v63, v62, v63
	v_rcp_f32_e32 v69, v61
	v_nop
	s_delay_alu instid0(TRANS32_DEP_1) | instskip(NEXT) | instid1(VALU_DEP_1)
	v_fma_f32 v70, -v61, v69, 1.0
	v_fmac_f32_e32 v69, v70, v69
	s_delay_alu instid0(VALU_DEP_1) | instskip(NEXT) | instid1(VALU_DEP_1)
	v_mul_f32_e32 v70, v71, v69
	v_fma_f32 v72, -v61, v70, v71
	s_delay_alu instid0(VALU_DEP_1) | instskip(NEXT) | instid1(VALU_DEP_1)
	v_fmac_f32_e32 v70, v72, v69
	v_fma_f32 v61, -v61, v70, v71
	s_delay_alu instid0(VALU_DEP_1) | instskip(NEXT) | instid1(VALU_DEP_1)
	v_div_fmas_f32 v61, v61, v69, v70
	v_div_fixup_f32 v61, v61, v62, v63
	s_delay_alu instid0(VALU_DEP_1) | instskip(NEXT) | instid1(VALU_DEP_1)
	v_fmac_f32_e32 v62, v63, v61
	v_div_scale_f32 v63, null, v62, v62, 1.0
	s_delay_alu instid0(VALU_DEP_1) | instskip(SKIP_1) | instid1(TRANS32_DEP_1)
	v_rcp_f32_e32 v69, v63
	v_nop
	v_fma_f32 v70, -v63, v69, 1.0
	s_delay_alu instid0(VALU_DEP_1) | instskip(SKIP_1) | instid1(VALU_DEP_1)
	v_fmac_f32_e32 v69, v70, v69
	v_div_scale_f32 v70, vcc_lo, 1.0, v62, 1.0
	v_mul_f32_e32 v71, v70, v69
	s_delay_alu instid0(VALU_DEP_1) | instskip(NEXT) | instid1(VALU_DEP_1)
	v_fma_f32 v72, -v63, v71, v70
	v_fmac_f32_e32 v71, v72, v69
	s_delay_alu instid0(VALU_DEP_1) | instskip(NEXT) | instid1(VALU_DEP_1)
	v_fma_f32 v63, -v63, v71, v70
	v_div_fmas_f32 v63, v63, v69, v71
	s_delay_alu instid0(VALU_DEP_1) | instskip(NEXT) | instid1(VALU_DEP_1)
	v_div_fixup_f32 v62, v63, v62, 1.0
	v_mul_f32_e64 v63, v61, -v62
.LBB52_51:
	s_or_b32 exec_lo, exec_lo, s1
.LBB52_52:
	s_delay_alu instid0(SALU_CYCLE_1) | instskip(NEXT) | instid1(SALU_CYCLE_1)
	s_or_b32 exec_lo, exec_lo, s0
	s_mov_b32 s0, exec_lo
	v_cmpx_ne_u32_e64 v68, v60
	s_xor_b32 s0, exec_lo, s0
	s_cbranch_execz .LBB52_58
; %bb.53:
	s_mov_b32 s1, exec_lo
	v_cmpx_eq_u32_e32 2, v68
	s_cbranch_execz .LBB52_57
; %bb.54:
	v_cmp_ne_u32_e32 vcc_lo, 2, v60
	s_xor_b32 s15, s2, -1
	s_delay_alu instid0(SALU_CYCLE_1) | instskip(NEXT) | instid1(SALU_CYCLE_1)
	s_and_b32 s16, s15, vcc_lo
	s_and_saveexec_b32 s15, s16
	s_cbranch_execz .LBB52_56
; %bb.55:
	v_ashrrev_i32_e32 v61, 31, v60
	s_delay_alu instid0(VALU_DEP_1)
	v_lshl_add_u64 v[68:69], v[60:61], 2, v[4:5]
	s_clause 0x1
	global_load_b32 v61, v[68:69], off
	global_load_b32 v67, v[4:5], off offset:8
	s_wait_loadcnt 0x1
	global_store_b32 v[4:5], v61, off offset:8
	s_wait_loadcnt 0x0
	global_store_b32 v[68:69], v67, off
.LBB52_56:
	s_wait_xcnt 0x0
	s_or_b32 exec_lo, exec_lo, s15
	v_dual_mov_b32 v68, v60 :: v_dual_mov_b32 v67, v60
.LBB52_57:
	s_or_b32 exec_lo, exec_lo, s1
.LBB52_58:
	s_and_not1_saveexec_b32 s0, s0
	s_cbranch_execz .LBB52_60
; %bb.59:
	v_mov_b32_e32 v68, 2
	ds_store_2addr_b64 v64, v[38:39], v[16:17] offset0:3 offset1:4
	ds_store_2addr_b64 v64, v[14:15], v[8:9] offset0:5 offset1:6
	;; [unrolled: 1-line block ×12, first 2 shown]
.LBB52_60:
	s_or_b32 exec_lo, exec_lo, s0
	s_delay_alu instid0(SALU_CYCLE_1)
	s_mov_b32 s0, exec_lo
	s_wait_storecnt_dscnt 0x0
	s_barrier_signal -1
	s_barrier_wait -1
	v_cmpx_lt_i32_e32 2, v68
	s_cbranch_execz .LBB52_62
; %bb.61:
	v_pk_mul_f32 v[70:71], v[62:63], v[40:41] op_sel:[1,1] op_sel_hi:[0,1]
	s_delay_alu instid0(VALU_DEP_1)
	v_pk_fma_f32 v[60:61], v[62:63], v[40:41], v[70:71] op_sel_hi:[1,0,1] neg_lo:[0,0,1] neg_hi:[0,0,1]
	v_pk_fma_f32 v[62:63], v[62:63], v[40:41], v[70:71] op_sel_hi:[1,0,1]
	ds_load_2addr_b64 v[70:73], v64 offset0:3 offset1:4
	v_dual_mov_b32 v40, v60 :: v_dual_mov_b32 v41, v63
	s_wait_dscnt 0x0
	v_pk_mul_f32 v[74:75], v[70:71], v[62:63] op_sel:[0,1]
	s_delay_alu instid0(VALU_DEP_1) | instskip(SKIP_1) | instid1(VALU_DEP_1)
	v_pk_fma_f32 v[76:77], v[70:71], v[60:61], v[74:75] op_sel:[0,0,1] op_sel_hi:[1,1,0] neg_lo:[0,0,1] neg_hi:[0,0,1]
	v_pk_fma_f32 v[70:71], v[70:71], v[60:61], v[74:75] op_sel:[0,0,1] op_sel_hi:[1,0,0]
	v_mov_b32_e32 v77, v71
	v_pk_mul_f32 v[70:71], v[72:73], v[62:63] op_sel:[0,1]
	s_delay_alu instid0(VALU_DEP_1) | instskip(SKIP_1) | instid1(VALU_DEP_1)
	v_pk_fma_f32 v[74:75], v[72:73], v[60:61], v[70:71] op_sel:[0,0,1] op_sel_hi:[1,1,0] neg_lo:[0,0,1] neg_hi:[0,0,1]
	v_pk_fma_f32 v[70:71], v[72:73], v[60:61], v[70:71] op_sel:[0,0,1] op_sel_hi:[1,0,0]
	v_mov_b32_e32 v75, v71
	ds_load_2addr_b64 v[70:73], v64 offset0:5 offset1:6
	v_pk_add_f32 v[38:39], v[38:39], v[76:77] neg_lo:[0,1] neg_hi:[0,1]
	v_pk_add_f32 v[16:17], v[16:17], v[74:75] neg_lo:[0,1] neg_hi:[0,1]
	s_wait_dscnt 0x0
	v_pk_mul_f32 v[74:75], v[70:71], v[62:63] op_sel:[0,1]
	s_delay_alu instid0(VALU_DEP_1) | instskip(SKIP_2) | instid1(VALU_DEP_2)
	v_pk_fma_f32 v[76:77], v[70:71], v[60:61], v[74:75] op_sel:[0,0,1] op_sel_hi:[1,1,0] neg_lo:[0,0,1] neg_hi:[0,0,1]
	v_pk_fma_f32 v[70:71], v[70:71], v[60:61], v[74:75] op_sel:[0,0,1] op_sel_hi:[1,0,0]
	v_dual_mul_f32 v74, v73, v63 :: v_dual_mov_b32 v70, v73
	v_dual_mov_b32 v77, v71 :: v_dual_mov_b32 v71, v72
	s_delay_alu instid0(VALU_DEP_2) | instskip(SKIP_1) | instid1(VALU_DEP_3)
	v_pk_fma_f32 v[74:75], v[72:73], v[40:41], v[74:75] op_sel_hi:[1,1,0] neg_lo:[0,0,1] neg_hi:[0,0,1]
	v_mul_f32_e32 v72, v73, v60
	v_pk_add_f32 v[14:15], v[14:15], v[76:77] neg_lo:[0,1] neg_hi:[0,1]
	s_delay_alu instid0(VALU_DEP_2) | instskip(NEXT) | instid1(VALU_DEP_1)
	v_pk_fma_f32 v[70:71], v[70:71], v[40:41], v[72:73] op_sel_hi:[1,1,0]
	v_mov_b32_e32 v75, v71
	ds_load_2addr_b64 v[70:73], v64 offset0:7 offset1:8
	v_pk_add_f32 v[8:9], v[8:9], v[74:75] neg_lo:[0,1] neg_hi:[0,1]
	s_wait_dscnt 0x0
	v_pk_mul_f32 v[74:75], v[70:71], v[62:63] op_sel:[0,1]
	s_delay_alu instid0(VALU_DEP_1) | instskip(SKIP_1) | instid1(VALU_DEP_1)
	v_pk_fma_f32 v[76:77], v[70:71], v[60:61], v[74:75] op_sel:[0,0,1] op_sel_hi:[1,1,0] neg_lo:[0,0,1] neg_hi:[0,0,1]
	v_pk_fma_f32 v[70:71], v[70:71], v[60:61], v[74:75] op_sel:[0,0,1] op_sel_hi:[1,0,0]
	v_mov_b32_e32 v77, v71
	v_pk_mul_f32 v[70:71], v[72:73], v[62:63] op_sel:[0,1]
	s_delay_alu instid0(VALU_DEP_1) | instskip(SKIP_1) | instid1(VALU_DEP_1)
	v_pk_fma_f32 v[74:75], v[72:73], v[60:61], v[70:71] op_sel:[0,0,1] op_sel_hi:[1,1,0] neg_lo:[0,0,1] neg_hi:[0,0,1]
	v_pk_fma_f32 v[70:71], v[72:73], v[60:61], v[70:71] op_sel:[0,0,1] op_sel_hi:[1,0,0]
	v_mov_b32_e32 v75, v71
	ds_load_2addr_b64 v[70:73], v64 offset0:9 offset1:10
	v_pk_add_f32 v[6:7], v[6:7], v[76:77] neg_lo:[0,1] neg_hi:[0,1]
	v_pk_add_f32 v[28:29], v[28:29], v[74:75] neg_lo:[0,1] neg_hi:[0,1]
	s_wait_dscnt 0x0
	v_pk_mul_f32 v[74:75], v[70:71], v[62:63] op_sel:[0,1]
	s_delay_alu instid0(VALU_DEP_1) | instskip(SKIP_1) | instid1(VALU_DEP_1)
	v_pk_fma_f32 v[76:77], v[70:71], v[60:61], v[74:75] op_sel:[0,0,1] op_sel_hi:[1,1,0] neg_lo:[0,0,1] neg_hi:[0,0,1]
	v_pk_fma_f32 v[70:71], v[70:71], v[60:61], v[74:75] op_sel:[0,0,1] op_sel_hi:[1,0,0]
	v_mov_b32_e32 v77, v71
	v_pk_mul_f32 v[70:71], v[72:73], v[62:63] op_sel:[0,1]
	s_delay_alu instid0(VALU_DEP_1) | instskip(SKIP_1) | instid1(VALU_DEP_1)
	v_pk_fma_f32 v[74:75], v[72:73], v[60:61], v[70:71] op_sel:[0,0,1] op_sel_hi:[1,1,0] neg_lo:[0,0,1] neg_hi:[0,0,1]
	v_pk_fma_f32 v[70:71], v[72:73], v[60:61], v[70:71] op_sel:[0,0,1] op_sel_hi:[1,0,0]
	v_mov_b32_e32 v75, v71
	ds_load_2addr_b64 v[70:73], v64 offset0:11 offset1:12
	v_pk_add_f32 v[24:25], v[24:25], v[76:77] neg_lo:[0,1] neg_hi:[0,1]
	v_pk_add_f32 v[12:13], v[12:13], v[74:75] neg_lo:[0,1] neg_hi:[0,1]
	s_wait_dscnt 0x0
	v_dual_mul_f32 v74, v71, v63 :: v_dual_mul_f32 v76, v71, v60
	s_delay_alu instid0(VALU_DEP_1) | instskip(NEXT) | instid1(VALU_DEP_2)
	v_pk_fma_f32 v[74:75], v[70:71], v[40:41], v[74:75] op_sel_hi:[1,1,0] neg_lo:[0,0,1] neg_hi:[0,0,1]
	v_pk_fma_f32 v[70:71], v[70:71], v[40:41], v[76:77] op_sel:[1,0,0] op_sel_hi:[0,1,0]
	s_delay_alu instid0(VALU_DEP_1) | instskip(SKIP_1) | instid1(VALU_DEP_2)
	v_mov_b32_e32 v75, v71
	v_pk_mul_f32 v[70:71], v[72:73], v[62:63] op_sel:[0,1]
	v_pk_add_f32 v[10:11], v[10:11], v[74:75] neg_lo:[0,1] neg_hi:[0,1]
	s_delay_alu instid0(VALU_DEP_2) | instskip(SKIP_1) | instid1(VALU_DEP_1)
	v_pk_fma_f32 v[74:75], v[72:73], v[60:61], v[70:71] op_sel:[0,0,1] op_sel_hi:[1,1,0] neg_lo:[0,0,1] neg_hi:[0,0,1]
	v_pk_fma_f32 v[70:71], v[72:73], v[60:61], v[70:71] op_sel:[0,0,1] op_sel_hi:[1,0,0]
	v_mov_b32_e32 v75, v71
	ds_load_2addr_b64 v[70:73], v64 offset0:13 offset1:14
	v_pk_add_f32 v[48:49], v[48:49], v[74:75] neg_lo:[0,1] neg_hi:[0,1]
	s_wait_dscnt 0x0
	v_pk_mul_f32 v[74:75], v[70:71], v[62:63] op_sel:[0,1]
	s_delay_alu instid0(VALU_DEP_1) | instskip(SKIP_1) | instid1(VALU_DEP_1)
	v_pk_fma_f32 v[76:77], v[70:71], v[60:61], v[74:75] op_sel:[0,0,1] op_sel_hi:[1,1,0] neg_lo:[0,0,1] neg_hi:[0,0,1]
	v_pk_fma_f32 v[70:71], v[70:71], v[60:61], v[74:75] op_sel:[0,0,1] op_sel_hi:[1,0,0]
	v_mov_b32_e32 v77, v71
	v_pk_mul_f32 v[70:71], v[72:73], v[62:63] op_sel:[0,1]
	s_delay_alu instid0(VALU_DEP_2) | instskip(NEXT) | instid1(VALU_DEP_2)
	v_pk_add_f32 v[46:47], v[46:47], v[76:77] neg_lo:[0,1] neg_hi:[0,1]
	v_pk_fma_f32 v[74:75], v[72:73], v[60:61], v[70:71] op_sel:[0,0,1] op_sel_hi:[1,1,0] neg_lo:[0,0,1] neg_hi:[0,0,1]
	v_pk_fma_f32 v[70:71], v[72:73], v[60:61], v[70:71] op_sel:[0,0,1] op_sel_hi:[1,0,0]
	s_delay_alu instid0(VALU_DEP_1) | instskip(SKIP_4) | instid1(VALU_DEP_1)
	v_mov_b32_e32 v75, v71
	ds_load_2addr_b64 v[70:73], v64 offset0:15 offset1:16
	v_pk_add_f32 v[20:21], v[20:21], v[74:75] neg_lo:[0,1] neg_hi:[0,1]
	s_wait_dscnt 0x0
	v_pk_mul_f32 v[74:75], v[70:71], v[62:63] op_sel:[0,1]
	v_pk_fma_f32 v[76:77], v[70:71], v[60:61], v[74:75] op_sel:[0,0,1] op_sel_hi:[1,1,0] neg_lo:[0,0,1] neg_hi:[0,0,1]
	v_pk_fma_f32 v[70:71], v[70:71], v[60:61], v[74:75] op_sel:[0,0,1] op_sel_hi:[1,0,0]
	v_dual_mul_f32 v74, v73, v63 :: v_dual_mov_b32 v70, v73
	s_delay_alu instid0(VALU_DEP_2) | instskip(NEXT) | instid1(VALU_DEP_2)
	v_dual_mov_b32 v77, v71 :: v_dual_mov_b32 v71, v72
	v_pk_fma_f32 v[74:75], v[72:73], v[40:41], v[74:75] op_sel_hi:[1,1,0] neg_lo:[0,0,1] neg_hi:[0,0,1]
	v_mul_f32_e32 v72, v73, v60
	s_delay_alu instid0(VALU_DEP_3) | instskip(NEXT) | instid1(VALU_DEP_2)
	v_pk_add_f32 v[18:19], v[18:19], v[76:77] neg_lo:[0,1] neg_hi:[0,1]
	v_pk_fma_f32 v[70:71], v[70:71], v[40:41], v[72:73] op_sel_hi:[1,1,0]
	s_delay_alu instid0(VALU_DEP_1) | instskip(SKIP_4) | instid1(VALU_DEP_1)
	v_mov_b32_e32 v75, v71
	ds_load_2addr_b64 v[70:73], v64 offset0:17 offset1:18
	v_pk_add_f32 v[52:53], v[52:53], v[74:75] neg_lo:[0,1] neg_hi:[0,1]
	s_wait_dscnt 0x0
	v_pk_mul_f32 v[74:75], v[70:71], v[62:63] op_sel:[0,1]
	v_pk_fma_f32 v[76:77], v[70:71], v[60:61], v[74:75] op_sel:[0,0,1] op_sel_hi:[1,1,0] neg_lo:[0,0,1] neg_hi:[0,0,1]
	v_pk_fma_f32 v[70:71], v[70:71], v[60:61], v[74:75] op_sel:[0,0,1] op_sel_hi:[1,0,0]
	s_delay_alu instid0(VALU_DEP_1) | instskip(SKIP_1) | instid1(VALU_DEP_1)
	v_mov_b32_e32 v77, v71
	v_pk_mul_f32 v[70:71], v[72:73], v[62:63] op_sel:[0,1]
	v_pk_fma_f32 v[74:75], v[72:73], v[60:61], v[70:71] op_sel:[0,0,1] op_sel_hi:[1,1,0] neg_lo:[0,0,1] neg_hi:[0,0,1]
	v_pk_fma_f32 v[70:71], v[72:73], v[60:61], v[70:71] op_sel:[0,0,1] op_sel_hi:[1,0,0]
	s_delay_alu instid0(VALU_DEP_1)
	v_mov_b32_e32 v75, v71
	ds_load_2addr_b64 v[70:73], v64 offset0:19 offset1:20
	v_pk_add_f32 v[50:51], v[50:51], v[76:77] neg_lo:[0,1] neg_hi:[0,1]
	v_pk_add_f32 v[26:27], v[26:27], v[74:75] neg_lo:[0,1] neg_hi:[0,1]
	s_wait_dscnt 0x0
	v_pk_mul_f32 v[74:75], v[70:71], v[62:63] op_sel:[0,1]
	s_delay_alu instid0(VALU_DEP_1) | instskip(SKIP_1) | instid1(VALU_DEP_1)
	v_pk_fma_f32 v[76:77], v[70:71], v[60:61], v[74:75] op_sel:[0,0,1] op_sel_hi:[1,1,0] neg_lo:[0,0,1] neg_hi:[0,0,1]
	v_pk_fma_f32 v[70:71], v[70:71], v[60:61], v[74:75] op_sel:[0,0,1] op_sel_hi:[1,0,0]
	v_mov_b32_e32 v77, v71
	v_pk_mul_f32 v[70:71], v[72:73], v[62:63] op_sel:[0,1]
	s_delay_alu instid0(VALU_DEP_1) | instskip(SKIP_1) | instid1(VALU_DEP_1)
	v_pk_fma_f32 v[74:75], v[72:73], v[60:61], v[70:71] op_sel:[0,0,1] op_sel_hi:[1,1,0] neg_lo:[0,0,1] neg_hi:[0,0,1]
	v_pk_fma_f32 v[70:71], v[72:73], v[60:61], v[70:71] op_sel:[0,0,1] op_sel_hi:[1,0,0]
	v_mov_b32_e32 v75, v71
	ds_load_2addr_b64 v[70:73], v64 offset0:21 offset1:22
	v_pk_add_f32 v[22:23], v[22:23], v[76:77] neg_lo:[0,1] neg_hi:[0,1]
	v_pk_add_f32 v[44:45], v[44:45], v[74:75] neg_lo:[0,1] neg_hi:[0,1]
	s_wait_dscnt 0x0
	v_dual_mul_f32 v74, v71, v63 :: v_dual_mul_f32 v76, v71, v60
	s_delay_alu instid0(VALU_DEP_1) | instskip(NEXT) | instid1(VALU_DEP_2)
	v_pk_fma_f32 v[74:75], v[70:71], v[40:41], v[74:75] op_sel_hi:[1,1,0] neg_lo:[0,0,1] neg_hi:[0,0,1]
	v_pk_fma_f32 v[70:71], v[70:71], v[40:41], v[76:77] op_sel:[1,0,0] op_sel_hi:[0,1,0]
	s_delay_alu instid0(VALU_DEP_1) | instskip(SKIP_1) | instid1(VALU_DEP_2)
	v_mov_b32_e32 v75, v71
	v_pk_mul_f32 v[70:71], v[72:73], v[62:63] op_sel:[0,1]
	v_pk_add_f32 v[42:43], v[42:43], v[74:75] neg_lo:[0,1] neg_hi:[0,1]
	s_delay_alu instid0(VALU_DEP_2) | instskip(SKIP_1) | instid1(VALU_DEP_1)
	v_pk_fma_f32 v[74:75], v[72:73], v[60:61], v[70:71] op_sel:[0,0,1] op_sel_hi:[1,1,0] neg_lo:[0,0,1] neg_hi:[0,0,1]
	v_pk_fma_f32 v[70:71], v[72:73], v[60:61], v[70:71] op_sel:[0,0,1] op_sel_hi:[1,0,0]
	v_mov_b32_e32 v75, v71
	ds_load_2addr_b64 v[70:73], v64 offset0:23 offset1:24
	v_pk_add_f32 v[32:33], v[32:33], v[74:75] neg_lo:[0,1] neg_hi:[0,1]
	s_wait_dscnt 0x0
	v_pk_mul_f32 v[74:75], v[70:71], v[62:63] op_sel:[0,1]
	s_delay_alu instid0(VALU_DEP_1) | instskip(SKIP_1) | instid1(VALU_DEP_1)
	v_pk_fma_f32 v[76:77], v[70:71], v[60:61], v[74:75] op_sel:[0,0,1] op_sel_hi:[1,1,0] neg_lo:[0,0,1] neg_hi:[0,0,1]
	v_pk_fma_f32 v[70:71], v[70:71], v[60:61], v[74:75] op_sel:[0,0,1] op_sel_hi:[1,0,0]
	v_mov_b32_e32 v77, v71
	v_pk_mul_f32 v[70:71], v[72:73], v[62:63] op_sel:[0,1]
	s_delay_alu instid0(VALU_DEP_2) | instskip(NEXT) | instid1(VALU_DEP_2)
	v_pk_add_f32 v[30:31], v[30:31], v[76:77] neg_lo:[0,1] neg_hi:[0,1]
	v_pk_fma_f32 v[74:75], v[72:73], v[60:61], v[70:71] op_sel:[0,0,1] op_sel_hi:[1,1,0] neg_lo:[0,0,1] neg_hi:[0,0,1]
	v_pk_fma_f32 v[70:71], v[72:73], v[60:61], v[70:71] op_sel:[0,0,1] op_sel_hi:[1,0,0]
	s_delay_alu instid0(VALU_DEP_1)
	v_mov_b32_e32 v75, v71
	ds_load_2addr_b64 v[70:73], v64 offset0:25 offset1:26
	v_pk_add_f32 v[36:37], v[36:37], v[74:75] neg_lo:[0,1] neg_hi:[0,1]
	s_wait_dscnt 0x0
	v_pk_mul_f32 v[74:75], v[70:71], v[62:63] op_sel:[0,1]
	v_mul_f32_e32 v62, v73, v63
	s_delay_alu instid0(VALU_DEP_2) | instskip(SKIP_2) | instid1(VALU_DEP_4)
	v_pk_fma_f32 v[76:77], v[70:71], v[60:61], v[74:75] op_sel:[0,0,1] op_sel_hi:[1,1,0] neg_lo:[0,0,1] neg_hi:[0,0,1]
	v_pk_fma_f32 v[70:71], v[70:71], v[60:61], v[74:75] op_sel:[0,0,1] op_sel_hi:[1,0,0]
	v_dual_mov_b32 v70, v73 :: v_dual_mul_f32 v60, v73, v60
	v_pk_fma_f32 v[62:63], v[72:73], v[40:41], v[62:63] op_sel_hi:[1,1,0] neg_lo:[0,0,1] neg_hi:[0,0,1]
	s_delay_alu instid0(VALU_DEP_3) | instskip(NEXT) | instid1(VALU_DEP_1)
	v_dual_mov_b32 v77, v71 :: v_dual_mov_b32 v71, v72
	v_pk_add_f32 v[34:35], v[34:35], v[76:77] neg_lo:[0,1] neg_hi:[0,1]
	s_delay_alu instid0(VALU_DEP_2) | instskip(NEXT) | instid1(VALU_DEP_1)
	v_pk_fma_f32 v[60:61], v[70:71], v[40:41], v[60:61] op_sel_hi:[1,1,0]
	v_mov_b32_e32 v63, v61
	s_delay_alu instid0(VALU_DEP_1)
	v_pk_add_f32 v[58:59], v[58:59], v[62:63] neg_lo:[0,1] neg_hi:[0,1]
.LBB52_62:
	s_or_b32 exec_lo, exec_lo, s0
	v_lshl_add_u32 v60, v68, 3, v64
	s_barrier_signal -1
	s_barrier_wait -1
	ds_store_b64 v60, v[38:39]
	s_wait_dscnt 0x0
	s_barrier_signal -1
	s_barrier_wait -1
	ds_load_b64 v[62:63], v64 offset:24
	v_mov_b32_e32 v60, 3
	s_cmp_lt_i32 s14, 5
	s_cbranch_scc1 .LBB52_65
; %bb.63:
	v_mov_b32_e32 v60, 3
	v_add3_u32 v61, v65, 0, 32
	s_mov_b32 s0, 4
.LBB52_64:                              ; =>This Inner Loop Header: Depth=1
	ds_load_b64 v[70:71], v61
	s_wait_dscnt 0x1
	v_cmp_gt_f32_e32 vcc_lo, 0, v62
	v_cndmask_b32_e64 v72, v62, -v62, vcc_lo
	v_cmp_gt_f32_e32 vcc_lo, 0, v63
	v_cndmask_b32_e64 v74, v63, -v63, vcc_lo
	s_wait_dscnt 0x0
	v_cmp_gt_f32_e32 vcc_lo, 0, v70
	v_cndmask_b32_e64 v73, v70, -v70, vcc_lo
	v_cmp_gt_f32_e32 vcc_lo, 0, v71
	v_cndmask_b32_e64 v75, v71, -v71, vcc_lo
	s_delay_alu instid0(VALU_DEP_1) | instskip(NEXT) | instid1(VALU_DEP_1)
	v_pk_add_f32 v[72:73], v[72:73], v[74:75]
	v_cmp_lt_f32_e32 vcc_lo, v72, v73
	v_dual_add_nc_u32 v61, 8, v61 :: v_dual_cndmask_b32 v63, v63, v71, vcc_lo
	v_cndmask_b32_e32 v62, v62, v70, vcc_lo
	v_cndmask_b32_e64 v60, v60, s0, vcc_lo
	s_add_co_i32 s0, s0, 1
	s_delay_alu instid0(SALU_CYCLE_1)
	s_cmp_lg_u32 s14, s0
	s_cbranch_scc1 .LBB52_64
.LBB52_65:
	s_wait_dscnt 0x0
	v_cmp_eq_f32_e32 vcc_lo, 0, v62
	v_cmp_eq_f32_e64 s0, 0, v63
	s_and_b32 s0, vcc_lo, s0
	s_delay_alu instid0(SALU_CYCLE_1) | instskip(NEXT) | instid1(SALU_CYCLE_1)
	s_and_saveexec_b32 s1, s0
	s_xor_b32 s0, exec_lo, s1
; %bb.66:
	v_cmp_ne_u32_e32 vcc_lo, 0, v66
	v_cndmask_b32_e32 v66, 4, v66, vcc_lo
; %bb.67:
	s_and_not1_saveexec_b32 s0, s0
	s_cbranch_execz .LBB52_73
; %bb.68:
	v_cmp_ngt_f32_e64 s1, |v62|, |v63|
	s_and_saveexec_b32 s15, s1
	s_delay_alu instid0(SALU_CYCLE_1)
	s_xor_b32 s1, exec_lo, s15
	s_cbranch_execz .LBB52_70
; %bb.69:
	v_div_scale_f32 v61, null, v63, v63, v62
	v_div_scale_f32 v71, vcc_lo, v62, v63, v62
	s_delay_alu instid0(VALU_DEP_2) | instskip(SKIP_1) | instid1(TRANS32_DEP_1)
	v_rcp_f32_e32 v69, v61
	v_nop
	v_fma_f32 v70, -v61, v69, 1.0
	s_delay_alu instid0(VALU_DEP_1) | instskip(NEXT) | instid1(VALU_DEP_1)
	v_fmac_f32_e32 v69, v70, v69
	v_mul_f32_e32 v70, v71, v69
	s_delay_alu instid0(VALU_DEP_1) | instskip(NEXT) | instid1(VALU_DEP_1)
	v_fma_f32 v72, -v61, v70, v71
	v_fmac_f32_e32 v70, v72, v69
	s_delay_alu instid0(VALU_DEP_1) | instskip(NEXT) | instid1(VALU_DEP_1)
	v_fma_f32 v61, -v61, v70, v71
	v_div_fmas_f32 v61, v61, v69, v70
	s_delay_alu instid0(VALU_DEP_1) | instskip(NEXT) | instid1(VALU_DEP_1)
	v_div_fixup_f32 v61, v61, v63, v62
	v_fmac_f32_e32 v63, v62, v61
	s_delay_alu instid0(VALU_DEP_1) | instskip(SKIP_1) | instid1(VALU_DEP_2)
	v_div_scale_f32 v62, null, v63, v63, 1.0
	v_div_scale_f32 v71, vcc_lo, 1.0, v63, 1.0
	v_rcp_f32_e32 v69, v62
	v_nop
	s_delay_alu instid0(TRANS32_DEP_1) | instskip(NEXT) | instid1(VALU_DEP_1)
	v_fma_f32 v70, -v62, v69, 1.0
	v_fmac_f32_e32 v69, v70, v69
	s_delay_alu instid0(VALU_DEP_1) | instskip(NEXT) | instid1(VALU_DEP_1)
	v_mul_f32_e32 v70, v71, v69
	v_fma_f32 v72, -v62, v70, v71
	s_delay_alu instid0(VALU_DEP_1) | instskip(NEXT) | instid1(VALU_DEP_1)
	v_fmac_f32_e32 v70, v72, v69
	v_fma_f32 v62, -v62, v70, v71
	s_delay_alu instid0(VALU_DEP_1) | instskip(NEXT) | instid1(VALU_DEP_1)
	v_div_fmas_f32 v62, v62, v69, v70
	v_div_fixup_f32 v63, v62, v63, 1.0
	s_delay_alu instid0(VALU_DEP_1)
	v_mul_f32_e32 v62, v61, v63
	v_xor_b32_e32 v63, 0x80000000, v63
.LBB52_70:
	s_and_not1_saveexec_b32 s1, s1
	s_cbranch_execz .LBB52_72
; %bb.71:
	s_delay_alu instid0(VALU_DEP_1) | instskip(SKIP_1) | instid1(VALU_DEP_2)
	v_div_scale_f32 v61, null, v62, v62, v63
	v_div_scale_f32 v71, vcc_lo, v63, v62, v63
	v_rcp_f32_e32 v69, v61
	v_nop
	s_delay_alu instid0(TRANS32_DEP_1) | instskip(NEXT) | instid1(VALU_DEP_1)
	v_fma_f32 v70, -v61, v69, 1.0
	v_fmac_f32_e32 v69, v70, v69
	s_delay_alu instid0(VALU_DEP_1) | instskip(NEXT) | instid1(VALU_DEP_1)
	v_mul_f32_e32 v70, v71, v69
	v_fma_f32 v72, -v61, v70, v71
	s_delay_alu instid0(VALU_DEP_1) | instskip(NEXT) | instid1(VALU_DEP_1)
	v_fmac_f32_e32 v70, v72, v69
	v_fma_f32 v61, -v61, v70, v71
	s_delay_alu instid0(VALU_DEP_1) | instskip(NEXT) | instid1(VALU_DEP_1)
	v_div_fmas_f32 v61, v61, v69, v70
	v_div_fixup_f32 v61, v61, v62, v63
	s_delay_alu instid0(VALU_DEP_1) | instskip(NEXT) | instid1(VALU_DEP_1)
	v_fmac_f32_e32 v62, v63, v61
	v_div_scale_f32 v63, null, v62, v62, 1.0
	s_delay_alu instid0(VALU_DEP_1) | instskip(SKIP_1) | instid1(TRANS32_DEP_1)
	v_rcp_f32_e32 v69, v63
	v_nop
	v_fma_f32 v70, -v63, v69, 1.0
	s_delay_alu instid0(VALU_DEP_1) | instskip(SKIP_1) | instid1(VALU_DEP_1)
	v_fmac_f32_e32 v69, v70, v69
	v_div_scale_f32 v70, vcc_lo, 1.0, v62, 1.0
	v_mul_f32_e32 v71, v70, v69
	s_delay_alu instid0(VALU_DEP_1) | instskip(NEXT) | instid1(VALU_DEP_1)
	v_fma_f32 v72, -v63, v71, v70
	v_fmac_f32_e32 v71, v72, v69
	s_delay_alu instid0(VALU_DEP_1) | instskip(NEXT) | instid1(VALU_DEP_1)
	v_fma_f32 v63, -v63, v71, v70
	v_div_fmas_f32 v63, v63, v69, v71
	s_delay_alu instid0(VALU_DEP_1) | instskip(NEXT) | instid1(VALU_DEP_1)
	v_div_fixup_f32 v62, v63, v62, 1.0
	v_mul_f32_e64 v63, v61, -v62
.LBB52_72:
	s_or_b32 exec_lo, exec_lo, s1
.LBB52_73:
	s_delay_alu instid0(SALU_CYCLE_1) | instskip(NEXT) | instid1(SALU_CYCLE_1)
	s_or_b32 exec_lo, exec_lo, s0
	s_mov_b32 s0, exec_lo
	v_cmpx_ne_u32_e64 v68, v60
	s_xor_b32 s0, exec_lo, s0
	s_cbranch_execz .LBB52_79
; %bb.74:
	s_mov_b32 s1, exec_lo
	v_cmpx_eq_u32_e32 3, v68
	s_cbranch_execz .LBB52_78
; %bb.75:
	v_cmp_ne_u32_e32 vcc_lo, 3, v60
	s_xor_b32 s15, s2, -1
	s_delay_alu instid0(SALU_CYCLE_1) | instskip(NEXT) | instid1(SALU_CYCLE_1)
	s_and_b32 s16, s15, vcc_lo
	s_and_saveexec_b32 s15, s16
	s_cbranch_execz .LBB52_77
; %bb.76:
	v_ashrrev_i32_e32 v61, 31, v60
	s_delay_alu instid0(VALU_DEP_1)
	v_lshl_add_u64 v[68:69], v[60:61], 2, v[4:5]
	s_clause 0x1
	global_load_b32 v61, v[68:69], off
	global_load_b32 v67, v[4:5], off offset:12
	s_wait_loadcnt 0x1
	global_store_b32 v[4:5], v61, off offset:12
	s_wait_loadcnt 0x0
	global_store_b32 v[68:69], v67, off
.LBB52_77:
	s_wait_xcnt 0x0
	s_or_b32 exec_lo, exec_lo, s15
	v_dual_mov_b32 v68, v60 :: v_dual_mov_b32 v67, v60
.LBB52_78:
	s_or_b32 exec_lo, exec_lo, s1
.LBB52_79:
	s_and_not1_saveexec_b32 s0, s0
	s_cbranch_execz .LBB52_81
; %bb.80:
	v_dual_mov_b32 v60, v16 :: v_dual_mov_b32 v61, v17
	v_dual_mov_b32 v68, v14 :: v_dual_mov_b32 v69, v15
	ds_store_2addr_b64 v64, v[60:61], v[68:69] offset0:4 offset1:5
	v_dual_mov_b32 v60, v8 :: v_dual_mov_b32 v61, v9
	v_dual_mov_b32 v68, v6 :: v_dual_mov_b32 v69, v7
	ds_store_2addr_b64 v64, v[60:61], v[68:69] offset0:6 offset1:7
	v_dual_mov_b32 v60, v28 :: v_dual_mov_b32 v61, v29
	v_dual_mov_b32 v68, v24 :: v_dual_mov_b32 v69, v25
	ds_store_2addr_b64 v64, v[60:61], v[68:69] offset0:8 offset1:9
	v_dual_mov_b32 v60, v12 :: v_dual_mov_b32 v61, v13
	v_dual_mov_b32 v68, v10 :: v_dual_mov_b32 v69, v11
	ds_store_2addr_b64 v64, v[60:61], v[68:69] offset0:10 offset1:11
	v_dual_mov_b32 v60, v48 :: v_dual_mov_b32 v61, v49
	v_dual_mov_b32 v68, v46 :: v_dual_mov_b32 v69, v47
	ds_store_2addr_b64 v64, v[60:61], v[68:69] offset0:12 offset1:13
	v_dual_mov_b32 v60, v20 :: v_dual_mov_b32 v61, v21
	v_dual_mov_b32 v68, v18 :: v_dual_mov_b32 v69, v19
	ds_store_2addr_b64 v64, v[60:61], v[68:69] offset0:14 offset1:15
	v_dual_mov_b32 v60, v52 :: v_dual_mov_b32 v61, v53
	v_dual_mov_b32 v68, v50 :: v_dual_mov_b32 v69, v51
	ds_store_2addr_b64 v64, v[60:61], v[68:69] offset0:16 offset1:17
	v_dual_mov_b32 v60, v26 :: v_dual_mov_b32 v61, v27
	v_dual_mov_b32 v68, v22 :: v_dual_mov_b32 v69, v23
	ds_store_2addr_b64 v64, v[60:61], v[68:69] offset0:18 offset1:19
	v_dual_mov_b32 v60, v44 :: v_dual_mov_b32 v61, v45
	v_dual_mov_b32 v68, v42 :: v_dual_mov_b32 v69, v43
	ds_store_2addr_b64 v64, v[60:61], v[68:69] offset0:20 offset1:21
	v_dual_mov_b32 v60, v32 :: v_dual_mov_b32 v61, v33
	v_dual_mov_b32 v68, v30 :: v_dual_mov_b32 v69, v31
	ds_store_2addr_b64 v64, v[60:61], v[68:69] offset0:22 offset1:23
	v_dual_mov_b32 v60, v36 :: v_dual_mov_b32 v61, v37
	v_dual_mov_b32 v68, v34 :: v_dual_mov_b32 v69, v35
	ds_store_2addr_b64 v64, v[60:61], v[68:69] offset0:24 offset1:25
	ds_store_b64 v64, v[58:59] offset:208
	v_mov_b32_e32 v68, 3
.LBB52_81:
	s_or_b32 exec_lo, exec_lo, s0
	s_delay_alu instid0(SALU_CYCLE_1)
	s_mov_b32 s0, exec_lo
	s_wait_storecnt_dscnt 0x0
	s_barrier_signal -1
	s_barrier_wait -1
	v_cmpx_lt_i32_e32 3, v68
	s_cbranch_execz .LBB52_83
; %bb.82:
	v_pk_mul_f32 v[70:71], v[62:63], v[38:39] op_sel:[1,1] op_sel_hi:[0,1]
	s_delay_alu instid0(VALU_DEP_1)
	v_pk_fma_f32 v[60:61], v[62:63], v[38:39], v[70:71] op_sel_hi:[1,0,1] neg_lo:[0,0,1] neg_hi:[0,0,1]
	v_pk_fma_f32 v[62:63], v[62:63], v[38:39], v[70:71] op_sel_hi:[1,0,1]
	ds_load_2addr_b64 v[70:73], v64 offset0:4 offset1:5
	v_dual_mov_b32 v38, v60 :: v_dual_mov_b32 v39, v63
	s_wait_dscnt 0x0
	v_pk_mul_f32 v[74:75], v[70:71], v[62:63] op_sel:[0,1]
	s_delay_alu instid0(VALU_DEP_1) | instskip(SKIP_1) | instid1(VALU_DEP_1)
	v_pk_fma_f32 v[76:77], v[70:71], v[60:61], v[74:75] op_sel:[0,0,1] op_sel_hi:[1,1,0] neg_lo:[0,0,1] neg_hi:[0,0,1]
	v_pk_fma_f32 v[70:71], v[70:71], v[60:61], v[74:75] op_sel:[0,0,1] op_sel_hi:[1,0,0]
	v_mov_b32_e32 v77, v71
	v_pk_mul_f32 v[70:71], v[72:73], v[62:63] op_sel:[0,1]
	s_delay_alu instid0(VALU_DEP_1) | instskip(SKIP_1) | instid1(VALU_DEP_1)
	v_pk_fma_f32 v[74:75], v[72:73], v[60:61], v[70:71] op_sel:[0,0,1] op_sel_hi:[1,1,0] neg_lo:[0,0,1] neg_hi:[0,0,1]
	v_pk_fma_f32 v[70:71], v[72:73], v[60:61], v[70:71] op_sel:[0,0,1] op_sel_hi:[1,0,0]
	v_mov_b32_e32 v75, v71
	ds_load_2addr_b64 v[70:73], v64 offset0:6 offset1:7
	v_pk_add_f32 v[16:17], v[16:17], v[76:77] neg_lo:[0,1] neg_hi:[0,1]
	v_pk_add_f32 v[14:15], v[14:15], v[74:75] neg_lo:[0,1] neg_hi:[0,1]
	s_wait_dscnt 0x0
	v_pk_mul_f32 v[74:75], v[70:71], v[62:63] op_sel:[0,1]
	s_delay_alu instid0(VALU_DEP_1) | instskip(SKIP_2) | instid1(VALU_DEP_2)
	v_pk_fma_f32 v[76:77], v[70:71], v[60:61], v[74:75] op_sel:[0,0,1] op_sel_hi:[1,1,0] neg_lo:[0,0,1] neg_hi:[0,0,1]
	v_pk_fma_f32 v[70:71], v[70:71], v[60:61], v[74:75] op_sel:[0,0,1] op_sel_hi:[1,0,0]
	v_dual_mul_f32 v74, v73, v63 :: v_dual_mov_b32 v70, v73
	v_dual_mov_b32 v77, v71 :: v_dual_mov_b32 v71, v72
	s_delay_alu instid0(VALU_DEP_2) | instskip(SKIP_1) | instid1(VALU_DEP_3)
	v_pk_fma_f32 v[74:75], v[72:73], v[38:39], v[74:75] op_sel_hi:[1,1,0] neg_lo:[0,0,1] neg_hi:[0,0,1]
	v_mul_f32_e32 v72, v73, v60
	v_pk_add_f32 v[8:9], v[8:9], v[76:77] neg_lo:[0,1] neg_hi:[0,1]
	s_delay_alu instid0(VALU_DEP_2) | instskip(NEXT) | instid1(VALU_DEP_1)
	v_pk_fma_f32 v[70:71], v[70:71], v[38:39], v[72:73] op_sel_hi:[1,1,0]
	v_mov_b32_e32 v75, v71
	ds_load_2addr_b64 v[70:73], v64 offset0:8 offset1:9
	v_pk_add_f32 v[6:7], v[6:7], v[74:75] neg_lo:[0,1] neg_hi:[0,1]
	s_wait_dscnt 0x0
	v_pk_mul_f32 v[74:75], v[70:71], v[62:63] op_sel:[0,1]
	s_delay_alu instid0(VALU_DEP_1) | instskip(SKIP_1) | instid1(VALU_DEP_1)
	v_pk_fma_f32 v[76:77], v[70:71], v[60:61], v[74:75] op_sel:[0,0,1] op_sel_hi:[1,1,0] neg_lo:[0,0,1] neg_hi:[0,0,1]
	v_pk_fma_f32 v[70:71], v[70:71], v[60:61], v[74:75] op_sel:[0,0,1] op_sel_hi:[1,0,0]
	v_mov_b32_e32 v77, v71
	v_pk_mul_f32 v[70:71], v[72:73], v[62:63] op_sel:[0,1]
	s_delay_alu instid0(VALU_DEP_1) | instskip(SKIP_1) | instid1(VALU_DEP_1)
	v_pk_fma_f32 v[74:75], v[72:73], v[60:61], v[70:71] op_sel:[0,0,1] op_sel_hi:[1,1,0] neg_lo:[0,0,1] neg_hi:[0,0,1]
	v_pk_fma_f32 v[70:71], v[72:73], v[60:61], v[70:71] op_sel:[0,0,1] op_sel_hi:[1,0,0]
	v_mov_b32_e32 v75, v71
	ds_load_2addr_b64 v[70:73], v64 offset0:10 offset1:11
	v_pk_add_f32 v[28:29], v[28:29], v[76:77] neg_lo:[0,1] neg_hi:[0,1]
	v_pk_add_f32 v[24:25], v[24:25], v[74:75] neg_lo:[0,1] neg_hi:[0,1]
	s_wait_dscnt 0x0
	v_pk_mul_f32 v[74:75], v[70:71], v[62:63] op_sel:[0,1]
	s_delay_alu instid0(VALU_DEP_1) | instskip(SKIP_1) | instid1(VALU_DEP_1)
	v_pk_fma_f32 v[76:77], v[70:71], v[60:61], v[74:75] op_sel:[0,0,1] op_sel_hi:[1,1,0] neg_lo:[0,0,1] neg_hi:[0,0,1]
	v_pk_fma_f32 v[70:71], v[70:71], v[60:61], v[74:75] op_sel:[0,0,1] op_sel_hi:[1,0,0]
	v_mov_b32_e32 v77, v71
	v_pk_mul_f32 v[70:71], v[72:73], v[62:63] op_sel:[0,1]
	s_delay_alu instid0(VALU_DEP_1) | instskip(SKIP_1) | instid1(VALU_DEP_1)
	v_pk_fma_f32 v[74:75], v[72:73], v[60:61], v[70:71] op_sel:[0,0,1] op_sel_hi:[1,1,0] neg_lo:[0,0,1] neg_hi:[0,0,1]
	v_pk_fma_f32 v[70:71], v[72:73], v[60:61], v[70:71] op_sel:[0,0,1] op_sel_hi:[1,0,0]
	v_mov_b32_e32 v75, v71
	ds_load_2addr_b64 v[70:73], v64 offset0:12 offset1:13
	v_pk_add_f32 v[12:13], v[12:13], v[76:77] neg_lo:[0,1] neg_hi:[0,1]
	v_pk_add_f32 v[10:11], v[10:11], v[74:75] neg_lo:[0,1] neg_hi:[0,1]
	s_wait_dscnt 0x0
	v_dual_mul_f32 v74, v71, v63 :: v_dual_mul_f32 v76, v71, v60
	s_delay_alu instid0(VALU_DEP_1) | instskip(NEXT) | instid1(VALU_DEP_2)
	v_pk_fma_f32 v[74:75], v[70:71], v[38:39], v[74:75] op_sel_hi:[1,1,0] neg_lo:[0,0,1] neg_hi:[0,0,1]
	v_pk_fma_f32 v[70:71], v[70:71], v[38:39], v[76:77] op_sel:[1,0,0] op_sel_hi:[0,1,0]
	s_delay_alu instid0(VALU_DEP_1) | instskip(SKIP_1) | instid1(VALU_DEP_2)
	v_mov_b32_e32 v75, v71
	v_pk_mul_f32 v[70:71], v[72:73], v[62:63] op_sel:[0,1]
	v_pk_add_f32 v[48:49], v[48:49], v[74:75] neg_lo:[0,1] neg_hi:[0,1]
	s_delay_alu instid0(VALU_DEP_2) | instskip(SKIP_1) | instid1(VALU_DEP_1)
	v_pk_fma_f32 v[74:75], v[72:73], v[60:61], v[70:71] op_sel:[0,0,1] op_sel_hi:[1,1,0] neg_lo:[0,0,1] neg_hi:[0,0,1]
	v_pk_fma_f32 v[70:71], v[72:73], v[60:61], v[70:71] op_sel:[0,0,1] op_sel_hi:[1,0,0]
	v_mov_b32_e32 v75, v71
	ds_load_2addr_b64 v[70:73], v64 offset0:14 offset1:15
	v_pk_add_f32 v[46:47], v[46:47], v[74:75] neg_lo:[0,1] neg_hi:[0,1]
	s_wait_dscnt 0x0
	v_pk_mul_f32 v[74:75], v[70:71], v[62:63] op_sel:[0,1]
	s_delay_alu instid0(VALU_DEP_1) | instskip(SKIP_1) | instid1(VALU_DEP_1)
	v_pk_fma_f32 v[76:77], v[70:71], v[60:61], v[74:75] op_sel:[0,0,1] op_sel_hi:[1,1,0] neg_lo:[0,0,1] neg_hi:[0,0,1]
	v_pk_fma_f32 v[70:71], v[70:71], v[60:61], v[74:75] op_sel:[0,0,1] op_sel_hi:[1,0,0]
	v_mov_b32_e32 v77, v71
	v_pk_mul_f32 v[70:71], v[72:73], v[62:63] op_sel:[0,1]
	s_delay_alu instid0(VALU_DEP_2) | instskip(NEXT) | instid1(VALU_DEP_2)
	v_pk_add_f32 v[20:21], v[20:21], v[76:77] neg_lo:[0,1] neg_hi:[0,1]
	v_pk_fma_f32 v[74:75], v[72:73], v[60:61], v[70:71] op_sel:[0,0,1] op_sel_hi:[1,1,0] neg_lo:[0,0,1] neg_hi:[0,0,1]
	v_pk_fma_f32 v[70:71], v[72:73], v[60:61], v[70:71] op_sel:[0,0,1] op_sel_hi:[1,0,0]
	s_delay_alu instid0(VALU_DEP_1) | instskip(SKIP_4) | instid1(VALU_DEP_1)
	v_mov_b32_e32 v75, v71
	ds_load_2addr_b64 v[70:73], v64 offset0:16 offset1:17
	v_pk_add_f32 v[18:19], v[18:19], v[74:75] neg_lo:[0,1] neg_hi:[0,1]
	s_wait_dscnt 0x0
	v_pk_mul_f32 v[74:75], v[70:71], v[62:63] op_sel:[0,1]
	v_pk_fma_f32 v[76:77], v[70:71], v[60:61], v[74:75] op_sel:[0,0,1] op_sel_hi:[1,1,0] neg_lo:[0,0,1] neg_hi:[0,0,1]
	v_pk_fma_f32 v[70:71], v[70:71], v[60:61], v[74:75] op_sel:[0,0,1] op_sel_hi:[1,0,0]
	v_dual_mul_f32 v74, v73, v63 :: v_dual_mov_b32 v70, v73
	s_delay_alu instid0(VALU_DEP_2) | instskip(NEXT) | instid1(VALU_DEP_2)
	v_dual_mov_b32 v77, v71 :: v_dual_mov_b32 v71, v72
	v_pk_fma_f32 v[74:75], v[72:73], v[38:39], v[74:75] op_sel_hi:[1,1,0] neg_lo:[0,0,1] neg_hi:[0,0,1]
	v_mul_f32_e32 v72, v73, v60
	s_delay_alu instid0(VALU_DEP_3) | instskip(NEXT) | instid1(VALU_DEP_2)
	v_pk_add_f32 v[52:53], v[52:53], v[76:77] neg_lo:[0,1] neg_hi:[0,1]
	v_pk_fma_f32 v[70:71], v[70:71], v[38:39], v[72:73] op_sel_hi:[1,1,0]
	s_delay_alu instid0(VALU_DEP_1) | instskip(SKIP_4) | instid1(VALU_DEP_1)
	v_mov_b32_e32 v75, v71
	ds_load_2addr_b64 v[70:73], v64 offset0:18 offset1:19
	v_pk_add_f32 v[50:51], v[50:51], v[74:75] neg_lo:[0,1] neg_hi:[0,1]
	s_wait_dscnt 0x0
	v_pk_mul_f32 v[74:75], v[70:71], v[62:63] op_sel:[0,1]
	v_pk_fma_f32 v[76:77], v[70:71], v[60:61], v[74:75] op_sel:[0,0,1] op_sel_hi:[1,1,0] neg_lo:[0,0,1] neg_hi:[0,0,1]
	v_pk_fma_f32 v[70:71], v[70:71], v[60:61], v[74:75] op_sel:[0,0,1] op_sel_hi:[1,0,0]
	s_delay_alu instid0(VALU_DEP_1) | instskip(SKIP_1) | instid1(VALU_DEP_1)
	v_mov_b32_e32 v77, v71
	v_pk_mul_f32 v[70:71], v[72:73], v[62:63] op_sel:[0,1]
	v_pk_fma_f32 v[74:75], v[72:73], v[60:61], v[70:71] op_sel:[0,0,1] op_sel_hi:[1,1,0] neg_lo:[0,0,1] neg_hi:[0,0,1]
	v_pk_fma_f32 v[70:71], v[72:73], v[60:61], v[70:71] op_sel:[0,0,1] op_sel_hi:[1,0,0]
	s_delay_alu instid0(VALU_DEP_1)
	v_mov_b32_e32 v75, v71
	ds_load_2addr_b64 v[70:73], v64 offset0:20 offset1:21
	v_pk_add_f32 v[26:27], v[26:27], v[76:77] neg_lo:[0,1] neg_hi:[0,1]
	v_pk_add_f32 v[22:23], v[22:23], v[74:75] neg_lo:[0,1] neg_hi:[0,1]
	s_wait_dscnt 0x0
	v_pk_mul_f32 v[74:75], v[70:71], v[62:63] op_sel:[0,1]
	s_delay_alu instid0(VALU_DEP_1) | instskip(SKIP_1) | instid1(VALU_DEP_1)
	v_pk_fma_f32 v[76:77], v[70:71], v[60:61], v[74:75] op_sel:[0,0,1] op_sel_hi:[1,1,0] neg_lo:[0,0,1] neg_hi:[0,0,1]
	v_pk_fma_f32 v[70:71], v[70:71], v[60:61], v[74:75] op_sel:[0,0,1] op_sel_hi:[1,0,0]
	v_mov_b32_e32 v77, v71
	v_pk_mul_f32 v[70:71], v[72:73], v[62:63] op_sel:[0,1]
	s_delay_alu instid0(VALU_DEP_1) | instskip(SKIP_1) | instid1(VALU_DEP_1)
	v_pk_fma_f32 v[74:75], v[72:73], v[60:61], v[70:71] op_sel:[0,0,1] op_sel_hi:[1,1,0] neg_lo:[0,0,1] neg_hi:[0,0,1]
	v_pk_fma_f32 v[70:71], v[72:73], v[60:61], v[70:71] op_sel:[0,0,1] op_sel_hi:[1,0,0]
	v_mov_b32_e32 v75, v71
	ds_load_2addr_b64 v[70:73], v64 offset0:22 offset1:23
	v_pk_add_f32 v[44:45], v[44:45], v[76:77] neg_lo:[0,1] neg_hi:[0,1]
	v_pk_add_f32 v[42:43], v[42:43], v[74:75] neg_lo:[0,1] neg_hi:[0,1]
	s_wait_dscnt 0x0
	v_dual_mul_f32 v74, v71, v63 :: v_dual_mul_f32 v76, v71, v60
	s_delay_alu instid0(VALU_DEP_1) | instskip(NEXT) | instid1(VALU_DEP_2)
	v_pk_fma_f32 v[74:75], v[70:71], v[38:39], v[74:75] op_sel_hi:[1,1,0] neg_lo:[0,0,1] neg_hi:[0,0,1]
	v_pk_fma_f32 v[70:71], v[70:71], v[38:39], v[76:77] op_sel:[1,0,0] op_sel_hi:[0,1,0]
	s_delay_alu instid0(VALU_DEP_1) | instskip(SKIP_1) | instid1(VALU_DEP_2)
	v_mov_b32_e32 v75, v71
	v_pk_mul_f32 v[70:71], v[72:73], v[62:63] op_sel:[0,1]
	v_pk_add_f32 v[32:33], v[32:33], v[74:75] neg_lo:[0,1] neg_hi:[0,1]
	s_delay_alu instid0(VALU_DEP_2) | instskip(SKIP_1) | instid1(VALU_DEP_1)
	v_pk_fma_f32 v[74:75], v[72:73], v[60:61], v[70:71] op_sel:[0,0,1] op_sel_hi:[1,1,0] neg_lo:[0,0,1] neg_hi:[0,0,1]
	v_pk_fma_f32 v[70:71], v[72:73], v[60:61], v[70:71] op_sel:[0,0,1] op_sel_hi:[1,0,0]
	v_mov_b32_e32 v75, v71
	ds_load_2addr_b64 v[70:73], v64 offset0:24 offset1:25
	v_pk_add_f32 v[30:31], v[30:31], v[74:75] neg_lo:[0,1] neg_hi:[0,1]
	s_wait_dscnt 0x0
	v_pk_mul_f32 v[74:75], v[70:71], v[62:63] op_sel:[0,1]
	s_delay_alu instid0(VALU_DEP_1) | instskip(SKIP_1) | instid1(VALU_DEP_1)
	v_pk_fma_f32 v[76:77], v[70:71], v[60:61], v[74:75] op_sel:[0,0,1] op_sel_hi:[1,1,0] neg_lo:[0,0,1] neg_hi:[0,0,1]
	v_pk_fma_f32 v[70:71], v[70:71], v[60:61], v[74:75] op_sel:[0,0,1] op_sel_hi:[1,0,0]
	v_mov_b32_e32 v77, v71
	v_pk_mul_f32 v[70:71], v[72:73], v[62:63] op_sel:[0,1]
	s_delay_alu instid0(VALU_DEP_2) | instskip(NEXT) | instid1(VALU_DEP_2)
	v_pk_add_f32 v[36:37], v[36:37], v[76:77] neg_lo:[0,1] neg_hi:[0,1]
	v_pk_fma_f32 v[74:75], v[72:73], v[60:61], v[70:71] op_sel:[0,0,1] op_sel_hi:[1,1,0] neg_lo:[0,0,1] neg_hi:[0,0,1]
	v_pk_fma_f32 v[70:71], v[72:73], v[60:61], v[70:71] op_sel:[0,0,1] op_sel_hi:[1,0,0]
	s_delay_alu instid0(VALU_DEP_1) | instskip(SKIP_4) | instid1(VALU_DEP_1)
	v_mov_b32_e32 v75, v71
	ds_load_b64 v[70:71], v64 offset:208
	v_pk_add_f32 v[34:35], v[34:35], v[74:75] neg_lo:[0,1] neg_hi:[0,1]
	s_wait_dscnt 0x0
	v_pk_mul_f32 v[62:63], v[70:71], v[62:63] op_sel:[0,1]
	v_pk_fma_f32 v[72:73], v[70:71], v[60:61], v[62:63] op_sel:[0,0,1] op_sel_hi:[1,1,0] neg_lo:[0,0,1] neg_hi:[0,0,1]
	v_pk_fma_f32 v[60:61], v[70:71], v[60:61], v[62:63] op_sel:[0,0,1] op_sel_hi:[1,0,0]
	s_delay_alu instid0(VALU_DEP_1) | instskip(NEXT) | instid1(VALU_DEP_1)
	v_mov_b32_e32 v73, v61
	v_pk_add_f32 v[58:59], v[58:59], v[72:73] neg_lo:[0,1] neg_hi:[0,1]
.LBB52_83:
	s_or_b32 exec_lo, exec_lo, s0
	v_lshl_add_u32 v60, v68, 3, v64
	s_barrier_signal -1
	s_barrier_wait -1
	ds_store_b64 v60, v[16:17]
	s_wait_dscnt 0x0
	s_barrier_signal -1
	s_barrier_wait -1
	ds_load_b64 v[62:63], v64 offset:32
	v_mov_b32_e32 v60, 4
	s_cmp_lt_i32 s14, 6
	s_cbranch_scc1 .LBB52_86
; %bb.84:
	v_add3_u32 v61, v65, 0, 40
	v_mov_b32_e32 v60, 4
	s_mov_b32 s0, 5
.LBB52_85:                              ; =>This Inner Loop Header: Depth=1
	ds_load_b64 v[70:71], v61
	s_wait_dscnt 0x1
	v_cmp_gt_f32_e32 vcc_lo, 0, v62
	v_cndmask_b32_e64 v72, v62, -v62, vcc_lo
	v_cmp_gt_f32_e32 vcc_lo, 0, v63
	v_cndmask_b32_e64 v74, v63, -v63, vcc_lo
	s_wait_dscnt 0x0
	v_cmp_gt_f32_e32 vcc_lo, 0, v70
	v_cndmask_b32_e64 v73, v70, -v70, vcc_lo
	v_cmp_gt_f32_e32 vcc_lo, 0, v71
	v_cndmask_b32_e64 v75, v71, -v71, vcc_lo
	s_delay_alu instid0(VALU_DEP_1) | instskip(NEXT) | instid1(VALU_DEP_1)
	v_pk_add_f32 v[72:73], v[72:73], v[74:75]
	v_cmp_lt_f32_e32 vcc_lo, v72, v73
	v_dual_add_nc_u32 v61, 8, v61 :: v_dual_cndmask_b32 v63, v63, v71, vcc_lo
	v_cndmask_b32_e32 v62, v62, v70, vcc_lo
	v_cndmask_b32_e64 v60, v60, s0, vcc_lo
	s_add_co_i32 s0, s0, 1
	s_delay_alu instid0(SALU_CYCLE_1)
	s_cmp_lg_u32 s14, s0
	s_cbranch_scc1 .LBB52_85
.LBB52_86:
	s_wait_dscnt 0x0
	v_cmp_eq_f32_e32 vcc_lo, 0, v62
	v_cmp_eq_f32_e64 s0, 0, v63
	s_and_b32 s0, vcc_lo, s0
	s_delay_alu instid0(SALU_CYCLE_1) | instskip(NEXT) | instid1(SALU_CYCLE_1)
	s_and_saveexec_b32 s1, s0
	s_xor_b32 s0, exec_lo, s1
; %bb.87:
	v_cmp_ne_u32_e32 vcc_lo, 0, v66
	v_cndmask_b32_e32 v66, 5, v66, vcc_lo
; %bb.88:
	s_and_not1_saveexec_b32 s0, s0
	s_cbranch_execz .LBB52_94
; %bb.89:
	v_cmp_ngt_f32_e64 s1, |v62|, |v63|
	s_and_saveexec_b32 s15, s1
	s_delay_alu instid0(SALU_CYCLE_1)
	s_xor_b32 s1, exec_lo, s15
	s_cbranch_execz .LBB52_91
; %bb.90:
	v_div_scale_f32 v61, null, v63, v63, v62
	v_div_scale_f32 v71, vcc_lo, v62, v63, v62
	s_delay_alu instid0(VALU_DEP_2) | instskip(SKIP_1) | instid1(TRANS32_DEP_1)
	v_rcp_f32_e32 v69, v61
	v_nop
	v_fma_f32 v70, -v61, v69, 1.0
	s_delay_alu instid0(VALU_DEP_1) | instskip(NEXT) | instid1(VALU_DEP_1)
	v_fmac_f32_e32 v69, v70, v69
	v_mul_f32_e32 v70, v71, v69
	s_delay_alu instid0(VALU_DEP_1) | instskip(NEXT) | instid1(VALU_DEP_1)
	v_fma_f32 v72, -v61, v70, v71
	v_fmac_f32_e32 v70, v72, v69
	s_delay_alu instid0(VALU_DEP_1) | instskip(NEXT) | instid1(VALU_DEP_1)
	v_fma_f32 v61, -v61, v70, v71
	v_div_fmas_f32 v61, v61, v69, v70
	s_delay_alu instid0(VALU_DEP_1) | instskip(NEXT) | instid1(VALU_DEP_1)
	v_div_fixup_f32 v61, v61, v63, v62
	v_fmac_f32_e32 v63, v62, v61
	s_delay_alu instid0(VALU_DEP_1) | instskip(SKIP_1) | instid1(VALU_DEP_2)
	v_div_scale_f32 v62, null, v63, v63, 1.0
	v_div_scale_f32 v71, vcc_lo, 1.0, v63, 1.0
	v_rcp_f32_e32 v69, v62
	v_nop
	s_delay_alu instid0(TRANS32_DEP_1) | instskip(NEXT) | instid1(VALU_DEP_1)
	v_fma_f32 v70, -v62, v69, 1.0
	v_fmac_f32_e32 v69, v70, v69
	s_delay_alu instid0(VALU_DEP_1) | instskip(NEXT) | instid1(VALU_DEP_1)
	v_mul_f32_e32 v70, v71, v69
	v_fma_f32 v72, -v62, v70, v71
	s_delay_alu instid0(VALU_DEP_1) | instskip(NEXT) | instid1(VALU_DEP_1)
	v_fmac_f32_e32 v70, v72, v69
	v_fma_f32 v62, -v62, v70, v71
	s_delay_alu instid0(VALU_DEP_1) | instskip(NEXT) | instid1(VALU_DEP_1)
	v_div_fmas_f32 v62, v62, v69, v70
	v_div_fixup_f32 v63, v62, v63, 1.0
	s_delay_alu instid0(VALU_DEP_1)
	v_mul_f32_e32 v62, v61, v63
	v_xor_b32_e32 v63, 0x80000000, v63
.LBB52_91:
	s_and_not1_saveexec_b32 s1, s1
	s_cbranch_execz .LBB52_93
; %bb.92:
	s_delay_alu instid0(VALU_DEP_1) | instskip(SKIP_1) | instid1(VALU_DEP_2)
	v_div_scale_f32 v61, null, v62, v62, v63
	v_div_scale_f32 v71, vcc_lo, v63, v62, v63
	v_rcp_f32_e32 v69, v61
	v_nop
	s_delay_alu instid0(TRANS32_DEP_1) | instskip(NEXT) | instid1(VALU_DEP_1)
	v_fma_f32 v70, -v61, v69, 1.0
	v_fmac_f32_e32 v69, v70, v69
	s_delay_alu instid0(VALU_DEP_1) | instskip(NEXT) | instid1(VALU_DEP_1)
	v_mul_f32_e32 v70, v71, v69
	v_fma_f32 v72, -v61, v70, v71
	s_delay_alu instid0(VALU_DEP_1) | instskip(NEXT) | instid1(VALU_DEP_1)
	v_fmac_f32_e32 v70, v72, v69
	v_fma_f32 v61, -v61, v70, v71
	s_delay_alu instid0(VALU_DEP_1) | instskip(NEXT) | instid1(VALU_DEP_1)
	v_div_fmas_f32 v61, v61, v69, v70
	v_div_fixup_f32 v61, v61, v62, v63
	s_delay_alu instid0(VALU_DEP_1) | instskip(NEXT) | instid1(VALU_DEP_1)
	v_fmac_f32_e32 v62, v63, v61
	v_div_scale_f32 v63, null, v62, v62, 1.0
	s_delay_alu instid0(VALU_DEP_1) | instskip(SKIP_1) | instid1(TRANS32_DEP_1)
	v_rcp_f32_e32 v69, v63
	v_nop
	v_fma_f32 v70, -v63, v69, 1.0
	s_delay_alu instid0(VALU_DEP_1) | instskip(SKIP_1) | instid1(VALU_DEP_1)
	v_fmac_f32_e32 v69, v70, v69
	v_div_scale_f32 v70, vcc_lo, 1.0, v62, 1.0
	v_mul_f32_e32 v71, v70, v69
	s_delay_alu instid0(VALU_DEP_1) | instskip(NEXT) | instid1(VALU_DEP_1)
	v_fma_f32 v72, -v63, v71, v70
	v_fmac_f32_e32 v71, v72, v69
	s_delay_alu instid0(VALU_DEP_1) | instskip(NEXT) | instid1(VALU_DEP_1)
	v_fma_f32 v63, -v63, v71, v70
	v_div_fmas_f32 v63, v63, v69, v71
	s_delay_alu instid0(VALU_DEP_1) | instskip(NEXT) | instid1(VALU_DEP_1)
	v_div_fixup_f32 v62, v63, v62, 1.0
	v_mul_f32_e64 v63, v61, -v62
.LBB52_93:
	s_or_b32 exec_lo, exec_lo, s1
.LBB52_94:
	s_delay_alu instid0(SALU_CYCLE_1) | instskip(NEXT) | instid1(SALU_CYCLE_1)
	s_or_b32 exec_lo, exec_lo, s0
	s_mov_b32 s0, exec_lo
	v_cmpx_ne_u32_e64 v68, v60
	s_xor_b32 s0, exec_lo, s0
	s_cbranch_execz .LBB52_100
; %bb.95:
	s_mov_b32 s1, exec_lo
	v_cmpx_eq_u32_e32 4, v68
	s_cbranch_execz .LBB52_99
; %bb.96:
	v_cmp_ne_u32_e32 vcc_lo, 4, v60
	s_xor_b32 s15, s2, -1
	s_delay_alu instid0(SALU_CYCLE_1) | instskip(NEXT) | instid1(SALU_CYCLE_1)
	s_and_b32 s16, s15, vcc_lo
	s_and_saveexec_b32 s15, s16
	s_cbranch_execz .LBB52_98
; %bb.97:
	v_ashrrev_i32_e32 v61, 31, v60
	s_delay_alu instid0(VALU_DEP_1)
	v_lshl_add_u64 v[68:69], v[60:61], 2, v[4:5]
	s_clause 0x1
	global_load_b32 v61, v[68:69], off
	global_load_b32 v67, v[4:5], off offset:16
	s_wait_loadcnt 0x1
	global_store_b32 v[4:5], v61, off offset:16
	s_wait_loadcnt 0x0
	global_store_b32 v[68:69], v67, off
.LBB52_98:
	s_wait_xcnt 0x0
	s_or_b32 exec_lo, exec_lo, s15
	v_dual_mov_b32 v68, v60 :: v_dual_mov_b32 v67, v60
.LBB52_99:
	s_or_b32 exec_lo, exec_lo, s1
.LBB52_100:
	s_and_not1_saveexec_b32 s0, s0
	s_cbranch_execz .LBB52_102
; %bb.101:
	v_mov_b32_e32 v68, 4
	ds_store_2addr_b64 v64, v[14:15], v[8:9] offset0:5 offset1:6
	ds_store_2addr_b64 v64, v[6:7], v[28:29] offset0:7 offset1:8
	;; [unrolled: 1-line block ×11, first 2 shown]
.LBB52_102:
	s_or_b32 exec_lo, exec_lo, s0
	s_delay_alu instid0(SALU_CYCLE_1)
	s_mov_b32 s0, exec_lo
	s_wait_storecnt_dscnt 0x0
	s_barrier_signal -1
	s_barrier_wait -1
	v_cmpx_lt_i32_e32 4, v68
	s_cbranch_execz .LBB52_104
; %bb.103:
	v_pk_mul_f32 v[70:71], v[62:63], v[16:17] op_sel:[1,1] op_sel_hi:[0,1]
	s_delay_alu instid0(VALU_DEP_1)
	v_pk_fma_f32 v[60:61], v[62:63], v[16:17], v[70:71] op_sel_hi:[1,0,1] neg_lo:[0,0,1] neg_hi:[0,0,1]
	v_pk_fma_f32 v[62:63], v[62:63], v[16:17], v[70:71] op_sel_hi:[1,0,1]
	ds_load_2addr_b64 v[70:73], v64 offset0:5 offset1:6
	v_dual_mov_b32 v16, v60 :: v_dual_mov_b32 v17, v63
	s_wait_dscnt 0x0
	v_pk_mul_f32 v[74:75], v[70:71], v[62:63] op_sel:[0,1]
	s_delay_alu instid0(VALU_DEP_1) | instskip(SKIP_1) | instid1(VALU_DEP_1)
	v_pk_fma_f32 v[76:77], v[70:71], v[60:61], v[74:75] op_sel:[0,0,1] op_sel_hi:[1,1,0] neg_lo:[0,0,1] neg_hi:[0,0,1]
	v_pk_fma_f32 v[70:71], v[70:71], v[60:61], v[74:75] op_sel:[0,0,1] op_sel_hi:[1,0,0]
	v_mov_b32_e32 v77, v71
	v_pk_mul_f32 v[70:71], v[72:73], v[62:63] op_sel:[0,1]
	s_delay_alu instid0(VALU_DEP_1) | instskip(SKIP_1) | instid1(VALU_DEP_1)
	v_pk_fma_f32 v[74:75], v[72:73], v[60:61], v[70:71] op_sel:[0,0,1] op_sel_hi:[1,1,0] neg_lo:[0,0,1] neg_hi:[0,0,1]
	v_pk_fma_f32 v[70:71], v[72:73], v[60:61], v[70:71] op_sel:[0,0,1] op_sel_hi:[1,0,0]
	v_mov_b32_e32 v75, v71
	ds_load_2addr_b64 v[70:73], v64 offset0:7 offset1:8
	v_pk_add_f32 v[14:15], v[14:15], v[76:77] neg_lo:[0,1] neg_hi:[0,1]
	v_pk_add_f32 v[8:9], v[8:9], v[74:75] neg_lo:[0,1] neg_hi:[0,1]
	s_wait_dscnt 0x0
	v_pk_mul_f32 v[74:75], v[70:71], v[62:63] op_sel:[0,1]
	s_delay_alu instid0(VALU_DEP_1) | instskip(SKIP_2) | instid1(VALU_DEP_2)
	v_pk_fma_f32 v[76:77], v[70:71], v[60:61], v[74:75] op_sel:[0,0,1] op_sel_hi:[1,1,0] neg_lo:[0,0,1] neg_hi:[0,0,1]
	v_pk_fma_f32 v[70:71], v[70:71], v[60:61], v[74:75] op_sel:[0,0,1] op_sel_hi:[1,0,0]
	v_dual_mul_f32 v74, v73, v63 :: v_dual_mov_b32 v70, v73
	v_dual_mov_b32 v77, v71 :: v_dual_mov_b32 v71, v72
	s_delay_alu instid0(VALU_DEP_2) | instskip(SKIP_1) | instid1(VALU_DEP_3)
	v_pk_fma_f32 v[74:75], v[72:73], v[16:17], v[74:75] op_sel_hi:[1,1,0] neg_lo:[0,0,1] neg_hi:[0,0,1]
	v_mul_f32_e32 v72, v73, v60
	v_pk_add_f32 v[6:7], v[6:7], v[76:77] neg_lo:[0,1] neg_hi:[0,1]
	s_delay_alu instid0(VALU_DEP_2) | instskip(NEXT) | instid1(VALU_DEP_1)
	v_pk_fma_f32 v[70:71], v[70:71], v[16:17], v[72:73] op_sel_hi:[1,1,0]
	v_mov_b32_e32 v75, v71
	ds_load_2addr_b64 v[70:73], v64 offset0:9 offset1:10
	v_pk_add_f32 v[28:29], v[28:29], v[74:75] neg_lo:[0,1] neg_hi:[0,1]
	s_wait_dscnt 0x0
	v_pk_mul_f32 v[74:75], v[70:71], v[62:63] op_sel:[0,1]
	s_delay_alu instid0(VALU_DEP_1) | instskip(SKIP_1) | instid1(VALU_DEP_1)
	v_pk_fma_f32 v[76:77], v[70:71], v[60:61], v[74:75] op_sel:[0,0,1] op_sel_hi:[1,1,0] neg_lo:[0,0,1] neg_hi:[0,0,1]
	v_pk_fma_f32 v[70:71], v[70:71], v[60:61], v[74:75] op_sel:[0,0,1] op_sel_hi:[1,0,0]
	v_mov_b32_e32 v77, v71
	v_pk_mul_f32 v[70:71], v[72:73], v[62:63] op_sel:[0,1]
	s_delay_alu instid0(VALU_DEP_1) | instskip(SKIP_1) | instid1(VALU_DEP_1)
	v_pk_fma_f32 v[74:75], v[72:73], v[60:61], v[70:71] op_sel:[0,0,1] op_sel_hi:[1,1,0] neg_lo:[0,0,1] neg_hi:[0,0,1]
	v_pk_fma_f32 v[70:71], v[72:73], v[60:61], v[70:71] op_sel:[0,0,1] op_sel_hi:[1,0,0]
	v_mov_b32_e32 v75, v71
	ds_load_2addr_b64 v[70:73], v64 offset0:11 offset1:12
	v_pk_add_f32 v[24:25], v[24:25], v[76:77] neg_lo:[0,1] neg_hi:[0,1]
	v_pk_add_f32 v[12:13], v[12:13], v[74:75] neg_lo:[0,1] neg_hi:[0,1]
	s_wait_dscnt 0x0
	v_pk_mul_f32 v[74:75], v[70:71], v[62:63] op_sel:[0,1]
	s_delay_alu instid0(VALU_DEP_1) | instskip(SKIP_1) | instid1(VALU_DEP_1)
	v_pk_fma_f32 v[76:77], v[70:71], v[60:61], v[74:75] op_sel:[0,0,1] op_sel_hi:[1,1,0] neg_lo:[0,0,1] neg_hi:[0,0,1]
	v_pk_fma_f32 v[70:71], v[70:71], v[60:61], v[74:75] op_sel:[0,0,1] op_sel_hi:[1,0,0]
	v_mov_b32_e32 v77, v71
	v_pk_mul_f32 v[70:71], v[72:73], v[62:63] op_sel:[0,1]
	s_delay_alu instid0(VALU_DEP_1) | instskip(SKIP_1) | instid1(VALU_DEP_1)
	v_pk_fma_f32 v[74:75], v[72:73], v[60:61], v[70:71] op_sel:[0,0,1] op_sel_hi:[1,1,0] neg_lo:[0,0,1] neg_hi:[0,0,1]
	v_pk_fma_f32 v[70:71], v[72:73], v[60:61], v[70:71] op_sel:[0,0,1] op_sel_hi:[1,0,0]
	v_mov_b32_e32 v75, v71
	ds_load_2addr_b64 v[70:73], v64 offset0:13 offset1:14
	v_pk_add_f32 v[10:11], v[10:11], v[76:77] neg_lo:[0,1] neg_hi:[0,1]
	v_pk_add_f32 v[48:49], v[48:49], v[74:75] neg_lo:[0,1] neg_hi:[0,1]
	s_wait_dscnt 0x0
	v_dual_mul_f32 v74, v71, v63 :: v_dual_mul_f32 v76, v71, v60
	s_delay_alu instid0(VALU_DEP_1) | instskip(NEXT) | instid1(VALU_DEP_2)
	v_pk_fma_f32 v[74:75], v[70:71], v[16:17], v[74:75] op_sel_hi:[1,1,0] neg_lo:[0,0,1] neg_hi:[0,0,1]
	v_pk_fma_f32 v[70:71], v[70:71], v[16:17], v[76:77] op_sel:[1,0,0] op_sel_hi:[0,1,0]
	s_delay_alu instid0(VALU_DEP_1) | instskip(SKIP_1) | instid1(VALU_DEP_2)
	v_mov_b32_e32 v75, v71
	v_pk_mul_f32 v[70:71], v[72:73], v[62:63] op_sel:[0,1]
	v_pk_add_f32 v[46:47], v[46:47], v[74:75] neg_lo:[0,1] neg_hi:[0,1]
	s_delay_alu instid0(VALU_DEP_2) | instskip(SKIP_1) | instid1(VALU_DEP_1)
	v_pk_fma_f32 v[74:75], v[72:73], v[60:61], v[70:71] op_sel:[0,0,1] op_sel_hi:[1,1,0] neg_lo:[0,0,1] neg_hi:[0,0,1]
	v_pk_fma_f32 v[70:71], v[72:73], v[60:61], v[70:71] op_sel:[0,0,1] op_sel_hi:[1,0,0]
	v_mov_b32_e32 v75, v71
	ds_load_2addr_b64 v[70:73], v64 offset0:15 offset1:16
	v_pk_add_f32 v[20:21], v[20:21], v[74:75] neg_lo:[0,1] neg_hi:[0,1]
	s_wait_dscnt 0x0
	v_pk_mul_f32 v[74:75], v[70:71], v[62:63] op_sel:[0,1]
	s_delay_alu instid0(VALU_DEP_1) | instskip(SKIP_1) | instid1(VALU_DEP_1)
	v_pk_fma_f32 v[76:77], v[70:71], v[60:61], v[74:75] op_sel:[0,0,1] op_sel_hi:[1,1,0] neg_lo:[0,0,1] neg_hi:[0,0,1]
	v_pk_fma_f32 v[70:71], v[70:71], v[60:61], v[74:75] op_sel:[0,0,1] op_sel_hi:[1,0,0]
	v_mov_b32_e32 v77, v71
	v_pk_mul_f32 v[70:71], v[72:73], v[62:63] op_sel:[0,1]
	s_delay_alu instid0(VALU_DEP_2) | instskip(NEXT) | instid1(VALU_DEP_2)
	v_pk_add_f32 v[18:19], v[18:19], v[76:77] neg_lo:[0,1] neg_hi:[0,1]
	v_pk_fma_f32 v[74:75], v[72:73], v[60:61], v[70:71] op_sel:[0,0,1] op_sel_hi:[1,1,0] neg_lo:[0,0,1] neg_hi:[0,0,1]
	v_pk_fma_f32 v[70:71], v[72:73], v[60:61], v[70:71] op_sel:[0,0,1] op_sel_hi:[1,0,0]
	s_delay_alu instid0(VALU_DEP_1) | instskip(SKIP_4) | instid1(VALU_DEP_1)
	v_mov_b32_e32 v75, v71
	ds_load_2addr_b64 v[70:73], v64 offset0:17 offset1:18
	v_pk_add_f32 v[52:53], v[52:53], v[74:75] neg_lo:[0,1] neg_hi:[0,1]
	s_wait_dscnt 0x0
	v_pk_mul_f32 v[74:75], v[70:71], v[62:63] op_sel:[0,1]
	v_pk_fma_f32 v[76:77], v[70:71], v[60:61], v[74:75] op_sel:[0,0,1] op_sel_hi:[1,1,0] neg_lo:[0,0,1] neg_hi:[0,0,1]
	v_pk_fma_f32 v[70:71], v[70:71], v[60:61], v[74:75] op_sel:[0,0,1] op_sel_hi:[1,0,0]
	v_dual_mul_f32 v74, v73, v63 :: v_dual_mov_b32 v70, v73
	s_delay_alu instid0(VALU_DEP_2) | instskip(NEXT) | instid1(VALU_DEP_2)
	v_dual_mov_b32 v77, v71 :: v_dual_mov_b32 v71, v72
	v_pk_fma_f32 v[74:75], v[72:73], v[16:17], v[74:75] op_sel_hi:[1,1,0] neg_lo:[0,0,1] neg_hi:[0,0,1]
	v_mul_f32_e32 v72, v73, v60
	s_delay_alu instid0(VALU_DEP_3) | instskip(NEXT) | instid1(VALU_DEP_2)
	v_pk_add_f32 v[50:51], v[50:51], v[76:77] neg_lo:[0,1] neg_hi:[0,1]
	v_pk_fma_f32 v[70:71], v[70:71], v[16:17], v[72:73] op_sel_hi:[1,1,0]
	s_delay_alu instid0(VALU_DEP_1) | instskip(SKIP_4) | instid1(VALU_DEP_1)
	v_mov_b32_e32 v75, v71
	ds_load_2addr_b64 v[70:73], v64 offset0:19 offset1:20
	v_pk_add_f32 v[26:27], v[26:27], v[74:75] neg_lo:[0,1] neg_hi:[0,1]
	s_wait_dscnt 0x0
	v_pk_mul_f32 v[74:75], v[70:71], v[62:63] op_sel:[0,1]
	v_pk_fma_f32 v[76:77], v[70:71], v[60:61], v[74:75] op_sel:[0,0,1] op_sel_hi:[1,1,0] neg_lo:[0,0,1] neg_hi:[0,0,1]
	v_pk_fma_f32 v[70:71], v[70:71], v[60:61], v[74:75] op_sel:[0,0,1] op_sel_hi:[1,0,0]
	s_delay_alu instid0(VALU_DEP_1) | instskip(SKIP_1) | instid1(VALU_DEP_1)
	v_mov_b32_e32 v77, v71
	v_pk_mul_f32 v[70:71], v[72:73], v[62:63] op_sel:[0,1]
	v_pk_fma_f32 v[74:75], v[72:73], v[60:61], v[70:71] op_sel:[0,0,1] op_sel_hi:[1,1,0] neg_lo:[0,0,1] neg_hi:[0,0,1]
	v_pk_fma_f32 v[70:71], v[72:73], v[60:61], v[70:71] op_sel:[0,0,1] op_sel_hi:[1,0,0]
	s_delay_alu instid0(VALU_DEP_1)
	v_mov_b32_e32 v75, v71
	ds_load_2addr_b64 v[70:73], v64 offset0:21 offset1:22
	v_pk_add_f32 v[22:23], v[22:23], v[76:77] neg_lo:[0,1] neg_hi:[0,1]
	v_pk_add_f32 v[44:45], v[44:45], v[74:75] neg_lo:[0,1] neg_hi:[0,1]
	s_wait_dscnt 0x0
	v_pk_mul_f32 v[74:75], v[70:71], v[62:63] op_sel:[0,1]
	s_delay_alu instid0(VALU_DEP_1) | instskip(SKIP_1) | instid1(VALU_DEP_1)
	v_pk_fma_f32 v[76:77], v[70:71], v[60:61], v[74:75] op_sel:[0,0,1] op_sel_hi:[1,1,0] neg_lo:[0,0,1] neg_hi:[0,0,1]
	v_pk_fma_f32 v[70:71], v[70:71], v[60:61], v[74:75] op_sel:[0,0,1] op_sel_hi:[1,0,0]
	v_mov_b32_e32 v77, v71
	v_pk_mul_f32 v[70:71], v[72:73], v[62:63] op_sel:[0,1]
	s_delay_alu instid0(VALU_DEP_1) | instskip(SKIP_1) | instid1(VALU_DEP_1)
	v_pk_fma_f32 v[74:75], v[72:73], v[60:61], v[70:71] op_sel:[0,0,1] op_sel_hi:[1,1,0] neg_lo:[0,0,1] neg_hi:[0,0,1]
	v_pk_fma_f32 v[70:71], v[72:73], v[60:61], v[70:71] op_sel:[0,0,1] op_sel_hi:[1,0,0]
	v_mov_b32_e32 v75, v71
	ds_load_2addr_b64 v[70:73], v64 offset0:23 offset1:24
	v_pk_add_f32 v[42:43], v[42:43], v[76:77] neg_lo:[0,1] neg_hi:[0,1]
	v_pk_add_f32 v[32:33], v[32:33], v[74:75] neg_lo:[0,1] neg_hi:[0,1]
	s_wait_dscnt 0x0
	v_dual_mul_f32 v74, v71, v63 :: v_dual_mul_f32 v76, v71, v60
	s_delay_alu instid0(VALU_DEP_1) | instskip(NEXT) | instid1(VALU_DEP_2)
	v_pk_fma_f32 v[74:75], v[70:71], v[16:17], v[74:75] op_sel_hi:[1,1,0] neg_lo:[0,0,1] neg_hi:[0,0,1]
	v_pk_fma_f32 v[70:71], v[70:71], v[16:17], v[76:77] op_sel:[1,0,0] op_sel_hi:[0,1,0]
	s_delay_alu instid0(VALU_DEP_1) | instskip(SKIP_1) | instid1(VALU_DEP_2)
	v_mov_b32_e32 v75, v71
	v_pk_mul_f32 v[70:71], v[72:73], v[62:63] op_sel:[0,1]
	v_pk_add_f32 v[30:31], v[30:31], v[74:75] neg_lo:[0,1] neg_hi:[0,1]
	s_delay_alu instid0(VALU_DEP_2) | instskip(SKIP_1) | instid1(VALU_DEP_1)
	v_pk_fma_f32 v[74:75], v[72:73], v[60:61], v[70:71] op_sel:[0,0,1] op_sel_hi:[1,1,0] neg_lo:[0,0,1] neg_hi:[0,0,1]
	v_pk_fma_f32 v[70:71], v[72:73], v[60:61], v[70:71] op_sel:[0,0,1] op_sel_hi:[1,0,0]
	v_mov_b32_e32 v75, v71
	ds_load_2addr_b64 v[70:73], v64 offset0:25 offset1:26
	v_pk_add_f32 v[36:37], v[36:37], v[74:75] neg_lo:[0,1] neg_hi:[0,1]
	s_wait_dscnt 0x0
	v_pk_mul_f32 v[74:75], v[70:71], v[62:63] op_sel:[0,1]
	v_pk_mul_f32 v[62:63], v[72:73], v[62:63] op_sel:[0,1]
	s_delay_alu instid0(VALU_DEP_2) | instskip(SKIP_1) | instid1(VALU_DEP_1)
	v_pk_fma_f32 v[76:77], v[70:71], v[60:61], v[74:75] op_sel:[0,0,1] op_sel_hi:[1,1,0] neg_lo:[0,0,1] neg_hi:[0,0,1]
	v_pk_fma_f32 v[70:71], v[70:71], v[60:61], v[74:75] op_sel:[0,0,1] op_sel_hi:[1,0,0]
	v_mov_b32_e32 v77, v71
	s_delay_alu instid0(VALU_DEP_4) | instskip(SKIP_1) | instid1(VALU_DEP_3)
	v_pk_fma_f32 v[70:71], v[72:73], v[60:61], v[62:63] op_sel:[0,0,1] op_sel_hi:[1,1,0] neg_lo:[0,0,1] neg_hi:[0,0,1]
	v_pk_fma_f32 v[60:61], v[72:73], v[60:61], v[62:63] op_sel:[0,0,1] op_sel_hi:[1,0,0]
	v_pk_add_f32 v[34:35], v[34:35], v[76:77] neg_lo:[0,1] neg_hi:[0,1]
	s_delay_alu instid0(VALU_DEP_2) | instskip(NEXT) | instid1(VALU_DEP_1)
	v_mov_b32_e32 v71, v61
	v_pk_add_f32 v[58:59], v[58:59], v[70:71] neg_lo:[0,1] neg_hi:[0,1]
.LBB52_104:
	s_or_b32 exec_lo, exec_lo, s0
	v_lshl_add_u32 v60, v68, 3, v64
	s_barrier_signal -1
	s_barrier_wait -1
	ds_store_b64 v60, v[14:15]
	s_wait_dscnt 0x0
	s_barrier_signal -1
	s_barrier_wait -1
	ds_load_b64 v[62:63], v64 offset:40
	v_mov_b32_e32 v60, 5
	s_cmp_lt_i32 s14, 7
	s_cbranch_scc1 .LBB52_107
; %bb.105:
	v_add3_u32 v61, v65, 0, 48
	v_mov_b32_e32 v60, 5
	s_mov_b32 s0, 6
.LBB52_106:                             ; =>This Inner Loop Header: Depth=1
	ds_load_b64 v[70:71], v61
	s_wait_dscnt 0x1
	v_cmp_gt_f32_e32 vcc_lo, 0, v62
	v_cndmask_b32_e64 v72, v62, -v62, vcc_lo
	v_cmp_gt_f32_e32 vcc_lo, 0, v63
	v_cndmask_b32_e64 v74, v63, -v63, vcc_lo
	s_wait_dscnt 0x0
	v_cmp_gt_f32_e32 vcc_lo, 0, v70
	v_cndmask_b32_e64 v73, v70, -v70, vcc_lo
	v_cmp_gt_f32_e32 vcc_lo, 0, v71
	v_cndmask_b32_e64 v75, v71, -v71, vcc_lo
	s_delay_alu instid0(VALU_DEP_1) | instskip(NEXT) | instid1(VALU_DEP_1)
	v_pk_add_f32 v[72:73], v[72:73], v[74:75]
	v_cmp_lt_f32_e32 vcc_lo, v72, v73
	v_dual_add_nc_u32 v61, 8, v61 :: v_dual_cndmask_b32 v63, v63, v71, vcc_lo
	v_cndmask_b32_e32 v62, v62, v70, vcc_lo
	v_cndmask_b32_e64 v60, v60, s0, vcc_lo
	s_add_co_i32 s0, s0, 1
	s_delay_alu instid0(SALU_CYCLE_1)
	s_cmp_lg_u32 s14, s0
	s_cbranch_scc1 .LBB52_106
.LBB52_107:
	s_wait_dscnt 0x0
	v_cmp_eq_f32_e32 vcc_lo, 0, v62
	v_cmp_eq_f32_e64 s0, 0, v63
	s_and_b32 s0, vcc_lo, s0
	s_delay_alu instid0(SALU_CYCLE_1) | instskip(NEXT) | instid1(SALU_CYCLE_1)
	s_and_saveexec_b32 s1, s0
	s_xor_b32 s0, exec_lo, s1
; %bb.108:
	v_cmp_ne_u32_e32 vcc_lo, 0, v66
	v_cndmask_b32_e32 v66, 6, v66, vcc_lo
; %bb.109:
	s_and_not1_saveexec_b32 s0, s0
	s_cbranch_execz .LBB52_115
; %bb.110:
	v_cmp_ngt_f32_e64 s1, |v62|, |v63|
	s_and_saveexec_b32 s15, s1
	s_delay_alu instid0(SALU_CYCLE_1)
	s_xor_b32 s1, exec_lo, s15
	s_cbranch_execz .LBB52_112
; %bb.111:
	v_div_scale_f32 v61, null, v63, v63, v62
	v_div_scale_f32 v71, vcc_lo, v62, v63, v62
	s_delay_alu instid0(VALU_DEP_2) | instskip(SKIP_1) | instid1(TRANS32_DEP_1)
	v_rcp_f32_e32 v69, v61
	v_nop
	v_fma_f32 v70, -v61, v69, 1.0
	s_delay_alu instid0(VALU_DEP_1) | instskip(NEXT) | instid1(VALU_DEP_1)
	v_fmac_f32_e32 v69, v70, v69
	v_mul_f32_e32 v70, v71, v69
	s_delay_alu instid0(VALU_DEP_1) | instskip(NEXT) | instid1(VALU_DEP_1)
	v_fma_f32 v72, -v61, v70, v71
	v_fmac_f32_e32 v70, v72, v69
	s_delay_alu instid0(VALU_DEP_1) | instskip(NEXT) | instid1(VALU_DEP_1)
	v_fma_f32 v61, -v61, v70, v71
	v_div_fmas_f32 v61, v61, v69, v70
	s_delay_alu instid0(VALU_DEP_1) | instskip(NEXT) | instid1(VALU_DEP_1)
	v_div_fixup_f32 v61, v61, v63, v62
	v_fmac_f32_e32 v63, v62, v61
	s_delay_alu instid0(VALU_DEP_1) | instskip(SKIP_1) | instid1(VALU_DEP_2)
	v_div_scale_f32 v62, null, v63, v63, 1.0
	v_div_scale_f32 v71, vcc_lo, 1.0, v63, 1.0
	v_rcp_f32_e32 v69, v62
	v_nop
	s_delay_alu instid0(TRANS32_DEP_1) | instskip(NEXT) | instid1(VALU_DEP_1)
	v_fma_f32 v70, -v62, v69, 1.0
	v_fmac_f32_e32 v69, v70, v69
	s_delay_alu instid0(VALU_DEP_1) | instskip(NEXT) | instid1(VALU_DEP_1)
	v_mul_f32_e32 v70, v71, v69
	v_fma_f32 v72, -v62, v70, v71
	s_delay_alu instid0(VALU_DEP_1) | instskip(NEXT) | instid1(VALU_DEP_1)
	v_fmac_f32_e32 v70, v72, v69
	v_fma_f32 v62, -v62, v70, v71
	s_delay_alu instid0(VALU_DEP_1) | instskip(NEXT) | instid1(VALU_DEP_1)
	v_div_fmas_f32 v62, v62, v69, v70
	v_div_fixup_f32 v63, v62, v63, 1.0
	s_delay_alu instid0(VALU_DEP_1)
	v_mul_f32_e32 v62, v61, v63
	v_xor_b32_e32 v63, 0x80000000, v63
.LBB52_112:
	s_and_not1_saveexec_b32 s1, s1
	s_cbranch_execz .LBB52_114
; %bb.113:
	s_delay_alu instid0(VALU_DEP_1) | instskip(SKIP_1) | instid1(VALU_DEP_2)
	v_div_scale_f32 v61, null, v62, v62, v63
	v_div_scale_f32 v71, vcc_lo, v63, v62, v63
	v_rcp_f32_e32 v69, v61
	v_nop
	s_delay_alu instid0(TRANS32_DEP_1) | instskip(NEXT) | instid1(VALU_DEP_1)
	v_fma_f32 v70, -v61, v69, 1.0
	v_fmac_f32_e32 v69, v70, v69
	s_delay_alu instid0(VALU_DEP_1) | instskip(NEXT) | instid1(VALU_DEP_1)
	v_mul_f32_e32 v70, v71, v69
	v_fma_f32 v72, -v61, v70, v71
	s_delay_alu instid0(VALU_DEP_1) | instskip(NEXT) | instid1(VALU_DEP_1)
	v_fmac_f32_e32 v70, v72, v69
	v_fma_f32 v61, -v61, v70, v71
	s_delay_alu instid0(VALU_DEP_1) | instskip(NEXT) | instid1(VALU_DEP_1)
	v_div_fmas_f32 v61, v61, v69, v70
	v_div_fixup_f32 v61, v61, v62, v63
	s_delay_alu instid0(VALU_DEP_1) | instskip(NEXT) | instid1(VALU_DEP_1)
	v_fmac_f32_e32 v62, v63, v61
	v_div_scale_f32 v63, null, v62, v62, 1.0
	s_delay_alu instid0(VALU_DEP_1) | instskip(SKIP_1) | instid1(TRANS32_DEP_1)
	v_rcp_f32_e32 v69, v63
	v_nop
	v_fma_f32 v70, -v63, v69, 1.0
	s_delay_alu instid0(VALU_DEP_1) | instskip(SKIP_1) | instid1(VALU_DEP_1)
	v_fmac_f32_e32 v69, v70, v69
	v_div_scale_f32 v70, vcc_lo, 1.0, v62, 1.0
	v_mul_f32_e32 v71, v70, v69
	s_delay_alu instid0(VALU_DEP_1) | instskip(NEXT) | instid1(VALU_DEP_1)
	v_fma_f32 v72, -v63, v71, v70
	v_fmac_f32_e32 v71, v72, v69
	s_delay_alu instid0(VALU_DEP_1) | instskip(NEXT) | instid1(VALU_DEP_1)
	v_fma_f32 v63, -v63, v71, v70
	v_div_fmas_f32 v63, v63, v69, v71
	s_delay_alu instid0(VALU_DEP_1) | instskip(NEXT) | instid1(VALU_DEP_1)
	v_div_fixup_f32 v62, v63, v62, 1.0
	v_mul_f32_e64 v63, v61, -v62
.LBB52_114:
	s_or_b32 exec_lo, exec_lo, s1
.LBB52_115:
	s_delay_alu instid0(SALU_CYCLE_1) | instskip(NEXT) | instid1(SALU_CYCLE_1)
	s_or_b32 exec_lo, exec_lo, s0
	s_mov_b32 s0, exec_lo
	v_cmpx_ne_u32_e64 v68, v60
	s_xor_b32 s0, exec_lo, s0
	s_cbranch_execz .LBB52_121
; %bb.116:
	s_mov_b32 s1, exec_lo
	v_cmpx_eq_u32_e32 5, v68
	s_cbranch_execz .LBB52_120
; %bb.117:
	v_cmp_ne_u32_e32 vcc_lo, 5, v60
	s_xor_b32 s15, s2, -1
	s_delay_alu instid0(SALU_CYCLE_1) | instskip(NEXT) | instid1(SALU_CYCLE_1)
	s_and_b32 s16, s15, vcc_lo
	s_and_saveexec_b32 s15, s16
	s_cbranch_execz .LBB52_119
; %bb.118:
	v_ashrrev_i32_e32 v61, 31, v60
	s_delay_alu instid0(VALU_DEP_1)
	v_lshl_add_u64 v[68:69], v[60:61], 2, v[4:5]
	s_clause 0x1
	global_load_b32 v61, v[68:69], off
	global_load_b32 v67, v[4:5], off offset:20
	s_wait_loadcnt 0x1
	global_store_b32 v[4:5], v61, off offset:20
	s_wait_loadcnt 0x0
	global_store_b32 v[68:69], v67, off
.LBB52_119:
	s_wait_xcnt 0x0
	s_or_b32 exec_lo, exec_lo, s15
	v_dual_mov_b32 v68, v60 :: v_dual_mov_b32 v67, v60
.LBB52_120:
	s_or_b32 exec_lo, exec_lo, s1
.LBB52_121:
	s_and_not1_saveexec_b32 s0, s0
	s_cbranch_execz .LBB52_123
; %bb.122:
	v_dual_mov_b32 v60, v8 :: v_dual_mov_b32 v61, v9
	v_dual_mov_b32 v68, v6 :: v_dual_mov_b32 v69, v7
	ds_store_2addr_b64 v64, v[60:61], v[68:69] offset0:6 offset1:7
	v_dual_mov_b32 v60, v28 :: v_dual_mov_b32 v61, v29
	v_dual_mov_b32 v68, v24 :: v_dual_mov_b32 v69, v25
	ds_store_2addr_b64 v64, v[60:61], v[68:69] offset0:8 offset1:9
	;; [unrolled: 3-line block ×10, first 2 shown]
	ds_store_b64 v64, v[58:59] offset:208
	v_mov_b32_e32 v68, 5
.LBB52_123:
	s_or_b32 exec_lo, exec_lo, s0
	s_delay_alu instid0(SALU_CYCLE_1)
	s_mov_b32 s0, exec_lo
	s_wait_storecnt_dscnt 0x0
	s_barrier_signal -1
	s_barrier_wait -1
	v_cmpx_lt_i32_e32 5, v68
	s_cbranch_execz .LBB52_125
; %bb.124:
	v_pk_mul_f32 v[70:71], v[62:63], v[14:15] op_sel:[1,1] op_sel_hi:[0,1]
	s_delay_alu instid0(VALU_DEP_1)
	v_pk_fma_f32 v[60:61], v[62:63], v[14:15], v[70:71] op_sel_hi:[1,0,1] neg_lo:[0,0,1] neg_hi:[0,0,1]
	v_pk_fma_f32 v[62:63], v[62:63], v[14:15], v[70:71] op_sel_hi:[1,0,1]
	ds_load_2addr_b64 v[70:73], v64 offset0:6 offset1:7
	v_dual_mov_b32 v14, v60 :: v_dual_mov_b32 v15, v63
	s_wait_dscnt 0x0
	v_pk_mul_f32 v[74:75], v[70:71], v[62:63] op_sel:[0,1]
	s_delay_alu instid0(VALU_DEP_1) | instskip(SKIP_1) | instid1(VALU_DEP_1)
	v_pk_fma_f32 v[76:77], v[70:71], v[60:61], v[74:75] op_sel:[0,0,1] op_sel_hi:[1,1,0] neg_lo:[0,0,1] neg_hi:[0,0,1]
	v_pk_fma_f32 v[70:71], v[70:71], v[60:61], v[74:75] op_sel:[0,0,1] op_sel_hi:[1,0,0]
	v_mov_b32_e32 v77, v71
	v_pk_mul_f32 v[70:71], v[72:73], v[62:63] op_sel:[0,1]
	s_delay_alu instid0(VALU_DEP_1) | instskip(SKIP_1) | instid1(VALU_DEP_1)
	v_pk_fma_f32 v[74:75], v[72:73], v[60:61], v[70:71] op_sel:[0,0,1] op_sel_hi:[1,1,0] neg_lo:[0,0,1] neg_hi:[0,0,1]
	v_pk_fma_f32 v[70:71], v[72:73], v[60:61], v[70:71] op_sel:[0,0,1] op_sel_hi:[1,0,0]
	v_mov_b32_e32 v75, v71
	ds_load_2addr_b64 v[70:73], v64 offset0:8 offset1:9
	v_pk_add_f32 v[8:9], v[8:9], v[76:77] neg_lo:[0,1] neg_hi:[0,1]
	v_pk_add_f32 v[6:7], v[6:7], v[74:75] neg_lo:[0,1] neg_hi:[0,1]
	s_wait_dscnt 0x0
	v_pk_mul_f32 v[74:75], v[70:71], v[62:63] op_sel:[0,1]
	s_delay_alu instid0(VALU_DEP_1) | instskip(SKIP_2) | instid1(VALU_DEP_2)
	v_pk_fma_f32 v[76:77], v[70:71], v[60:61], v[74:75] op_sel:[0,0,1] op_sel_hi:[1,1,0] neg_lo:[0,0,1] neg_hi:[0,0,1]
	v_pk_fma_f32 v[70:71], v[70:71], v[60:61], v[74:75] op_sel:[0,0,1] op_sel_hi:[1,0,0]
	v_dual_mul_f32 v74, v73, v63 :: v_dual_mov_b32 v70, v73
	v_dual_mov_b32 v77, v71 :: v_dual_mov_b32 v71, v72
	s_delay_alu instid0(VALU_DEP_2) | instskip(SKIP_1) | instid1(VALU_DEP_3)
	v_pk_fma_f32 v[74:75], v[72:73], v[14:15], v[74:75] op_sel_hi:[1,1,0] neg_lo:[0,0,1] neg_hi:[0,0,1]
	v_mul_f32_e32 v72, v73, v60
	v_pk_add_f32 v[28:29], v[28:29], v[76:77] neg_lo:[0,1] neg_hi:[0,1]
	s_delay_alu instid0(VALU_DEP_2) | instskip(NEXT) | instid1(VALU_DEP_1)
	v_pk_fma_f32 v[70:71], v[70:71], v[14:15], v[72:73] op_sel_hi:[1,1,0]
	v_mov_b32_e32 v75, v71
	ds_load_2addr_b64 v[70:73], v64 offset0:10 offset1:11
	v_pk_add_f32 v[24:25], v[24:25], v[74:75] neg_lo:[0,1] neg_hi:[0,1]
	s_wait_dscnt 0x0
	v_pk_mul_f32 v[74:75], v[70:71], v[62:63] op_sel:[0,1]
	s_delay_alu instid0(VALU_DEP_1) | instskip(SKIP_1) | instid1(VALU_DEP_1)
	v_pk_fma_f32 v[76:77], v[70:71], v[60:61], v[74:75] op_sel:[0,0,1] op_sel_hi:[1,1,0] neg_lo:[0,0,1] neg_hi:[0,0,1]
	v_pk_fma_f32 v[70:71], v[70:71], v[60:61], v[74:75] op_sel:[0,0,1] op_sel_hi:[1,0,0]
	v_mov_b32_e32 v77, v71
	v_pk_mul_f32 v[70:71], v[72:73], v[62:63] op_sel:[0,1]
	s_delay_alu instid0(VALU_DEP_1) | instskip(SKIP_1) | instid1(VALU_DEP_1)
	v_pk_fma_f32 v[74:75], v[72:73], v[60:61], v[70:71] op_sel:[0,0,1] op_sel_hi:[1,1,0] neg_lo:[0,0,1] neg_hi:[0,0,1]
	v_pk_fma_f32 v[70:71], v[72:73], v[60:61], v[70:71] op_sel:[0,0,1] op_sel_hi:[1,0,0]
	v_mov_b32_e32 v75, v71
	ds_load_2addr_b64 v[70:73], v64 offset0:12 offset1:13
	v_pk_add_f32 v[12:13], v[12:13], v[76:77] neg_lo:[0,1] neg_hi:[0,1]
	v_pk_add_f32 v[10:11], v[10:11], v[74:75] neg_lo:[0,1] neg_hi:[0,1]
	s_wait_dscnt 0x0
	v_pk_mul_f32 v[74:75], v[70:71], v[62:63] op_sel:[0,1]
	s_delay_alu instid0(VALU_DEP_1) | instskip(SKIP_1) | instid1(VALU_DEP_1)
	v_pk_fma_f32 v[76:77], v[70:71], v[60:61], v[74:75] op_sel:[0,0,1] op_sel_hi:[1,1,0] neg_lo:[0,0,1] neg_hi:[0,0,1]
	v_pk_fma_f32 v[70:71], v[70:71], v[60:61], v[74:75] op_sel:[0,0,1] op_sel_hi:[1,0,0]
	v_mov_b32_e32 v77, v71
	v_pk_mul_f32 v[70:71], v[72:73], v[62:63] op_sel:[0,1]
	s_delay_alu instid0(VALU_DEP_1) | instskip(SKIP_1) | instid1(VALU_DEP_1)
	v_pk_fma_f32 v[74:75], v[72:73], v[60:61], v[70:71] op_sel:[0,0,1] op_sel_hi:[1,1,0] neg_lo:[0,0,1] neg_hi:[0,0,1]
	v_pk_fma_f32 v[70:71], v[72:73], v[60:61], v[70:71] op_sel:[0,0,1] op_sel_hi:[1,0,0]
	v_mov_b32_e32 v75, v71
	ds_load_2addr_b64 v[70:73], v64 offset0:14 offset1:15
	v_pk_add_f32 v[48:49], v[48:49], v[76:77] neg_lo:[0,1] neg_hi:[0,1]
	v_pk_add_f32 v[46:47], v[46:47], v[74:75] neg_lo:[0,1] neg_hi:[0,1]
	s_wait_dscnt 0x0
	v_dual_mul_f32 v74, v71, v63 :: v_dual_mul_f32 v76, v71, v60
	s_delay_alu instid0(VALU_DEP_1) | instskip(NEXT) | instid1(VALU_DEP_2)
	v_pk_fma_f32 v[74:75], v[70:71], v[14:15], v[74:75] op_sel_hi:[1,1,0] neg_lo:[0,0,1] neg_hi:[0,0,1]
	v_pk_fma_f32 v[70:71], v[70:71], v[14:15], v[76:77] op_sel:[1,0,0] op_sel_hi:[0,1,0]
	s_delay_alu instid0(VALU_DEP_1) | instskip(SKIP_1) | instid1(VALU_DEP_2)
	v_mov_b32_e32 v75, v71
	v_pk_mul_f32 v[70:71], v[72:73], v[62:63] op_sel:[0,1]
	v_pk_add_f32 v[20:21], v[20:21], v[74:75] neg_lo:[0,1] neg_hi:[0,1]
	s_delay_alu instid0(VALU_DEP_2) | instskip(SKIP_1) | instid1(VALU_DEP_1)
	v_pk_fma_f32 v[74:75], v[72:73], v[60:61], v[70:71] op_sel:[0,0,1] op_sel_hi:[1,1,0] neg_lo:[0,0,1] neg_hi:[0,0,1]
	v_pk_fma_f32 v[70:71], v[72:73], v[60:61], v[70:71] op_sel:[0,0,1] op_sel_hi:[1,0,0]
	v_mov_b32_e32 v75, v71
	ds_load_2addr_b64 v[70:73], v64 offset0:16 offset1:17
	v_pk_add_f32 v[18:19], v[18:19], v[74:75] neg_lo:[0,1] neg_hi:[0,1]
	s_wait_dscnt 0x0
	v_pk_mul_f32 v[74:75], v[70:71], v[62:63] op_sel:[0,1]
	s_delay_alu instid0(VALU_DEP_1) | instskip(SKIP_1) | instid1(VALU_DEP_1)
	v_pk_fma_f32 v[76:77], v[70:71], v[60:61], v[74:75] op_sel:[0,0,1] op_sel_hi:[1,1,0] neg_lo:[0,0,1] neg_hi:[0,0,1]
	v_pk_fma_f32 v[70:71], v[70:71], v[60:61], v[74:75] op_sel:[0,0,1] op_sel_hi:[1,0,0]
	v_mov_b32_e32 v77, v71
	v_pk_mul_f32 v[70:71], v[72:73], v[62:63] op_sel:[0,1]
	s_delay_alu instid0(VALU_DEP_2) | instskip(NEXT) | instid1(VALU_DEP_2)
	v_pk_add_f32 v[52:53], v[52:53], v[76:77] neg_lo:[0,1] neg_hi:[0,1]
	v_pk_fma_f32 v[74:75], v[72:73], v[60:61], v[70:71] op_sel:[0,0,1] op_sel_hi:[1,1,0] neg_lo:[0,0,1] neg_hi:[0,0,1]
	v_pk_fma_f32 v[70:71], v[72:73], v[60:61], v[70:71] op_sel:[0,0,1] op_sel_hi:[1,0,0]
	s_delay_alu instid0(VALU_DEP_1) | instskip(SKIP_4) | instid1(VALU_DEP_1)
	v_mov_b32_e32 v75, v71
	ds_load_2addr_b64 v[70:73], v64 offset0:18 offset1:19
	v_pk_add_f32 v[50:51], v[50:51], v[74:75] neg_lo:[0,1] neg_hi:[0,1]
	s_wait_dscnt 0x0
	v_pk_mul_f32 v[74:75], v[70:71], v[62:63] op_sel:[0,1]
	v_pk_fma_f32 v[76:77], v[70:71], v[60:61], v[74:75] op_sel:[0,0,1] op_sel_hi:[1,1,0] neg_lo:[0,0,1] neg_hi:[0,0,1]
	v_pk_fma_f32 v[70:71], v[70:71], v[60:61], v[74:75] op_sel:[0,0,1] op_sel_hi:[1,0,0]
	v_dual_mul_f32 v74, v73, v63 :: v_dual_mov_b32 v70, v73
	s_delay_alu instid0(VALU_DEP_2) | instskip(NEXT) | instid1(VALU_DEP_2)
	v_dual_mov_b32 v77, v71 :: v_dual_mov_b32 v71, v72
	v_pk_fma_f32 v[74:75], v[72:73], v[14:15], v[74:75] op_sel_hi:[1,1,0] neg_lo:[0,0,1] neg_hi:[0,0,1]
	v_mul_f32_e32 v72, v73, v60
	s_delay_alu instid0(VALU_DEP_3) | instskip(NEXT) | instid1(VALU_DEP_2)
	v_pk_add_f32 v[26:27], v[26:27], v[76:77] neg_lo:[0,1] neg_hi:[0,1]
	v_pk_fma_f32 v[70:71], v[70:71], v[14:15], v[72:73] op_sel_hi:[1,1,0]
	s_delay_alu instid0(VALU_DEP_1) | instskip(SKIP_4) | instid1(VALU_DEP_1)
	v_mov_b32_e32 v75, v71
	ds_load_2addr_b64 v[70:73], v64 offset0:20 offset1:21
	v_pk_add_f32 v[22:23], v[22:23], v[74:75] neg_lo:[0,1] neg_hi:[0,1]
	s_wait_dscnt 0x0
	v_pk_mul_f32 v[74:75], v[70:71], v[62:63] op_sel:[0,1]
	v_pk_fma_f32 v[76:77], v[70:71], v[60:61], v[74:75] op_sel:[0,0,1] op_sel_hi:[1,1,0] neg_lo:[0,0,1] neg_hi:[0,0,1]
	v_pk_fma_f32 v[70:71], v[70:71], v[60:61], v[74:75] op_sel:[0,0,1] op_sel_hi:[1,0,0]
	s_delay_alu instid0(VALU_DEP_1) | instskip(SKIP_1) | instid1(VALU_DEP_1)
	v_mov_b32_e32 v77, v71
	v_pk_mul_f32 v[70:71], v[72:73], v[62:63] op_sel:[0,1]
	v_pk_fma_f32 v[74:75], v[72:73], v[60:61], v[70:71] op_sel:[0,0,1] op_sel_hi:[1,1,0] neg_lo:[0,0,1] neg_hi:[0,0,1]
	v_pk_fma_f32 v[70:71], v[72:73], v[60:61], v[70:71] op_sel:[0,0,1] op_sel_hi:[1,0,0]
	s_delay_alu instid0(VALU_DEP_1)
	v_mov_b32_e32 v75, v71
	ds_load_2addr_b64 v[70:73], v64 offset0:22 offset1:23
	v_pk_add_f32 v[44:45], v[44:45], v[76:77] neg_lo:[0,1] neg_hi:[0,1]
	v_pk_add_f32 v[42:43], v[42:43], v[74:75] neg_lo:[0,1] neg_hi:[0,1]
	s_wait_dscnt 0x0
	v_pk_mul_f32 v[74:75], v[70:71], v[62:63] op_sel:[0,1]
	s_delay_alu instid0(VALU_DEP_1) | instskip(SKIP_1) | instid1(VALU_DEP_1)
	v_pk_fma_f32 v[76:77], v[70:71], v[60:61], v[74:75] op_sel:[0,0,1] op_sel_hi:[1,1,0] neg_lo:[0,0,1] neg_hi:[0,0,1]
	v_pk_fma_f32 v[70:71], v[70:71], v[60:61], v[74:75] op_sel:[0,0,1] op_sel_hi:[1,0,0]
	v_mov_b32_e32 v77, v71
	v_pk_mul_f32 v[70:71], v[72:73], v[62:63] op_sel:[0,1]
	s_delay_alu instid0(VALU_DEP_1) | instskip(SKIP_1) | instid1(VALU_DEP_1)
	v_pk_fma_f32 v[74:75], v[72:73], v[60:61], v[70:71] op_sel:[0,0,1] op_sel_hi:[1,1,0] neg_lo:[0,0,1] neg_hi:[0,0,1]
	v_pk_fma_f32 v[70:71], v[72:73], v[60:61], v[70:71] op_sel:[0,0,1] op_sel_hi:[1,0,0]
	v_mov_b32_e32 v75, v71
	ds_load_2addr_b64 v[70:73], v64 offset0:24 offset1:25
	v_pk_add_f32 v[32:33], v[32:33], v[76:77] neg_lo:[0,1] neg_hi:[0,1]
	v_pk_add_f32 v[30:31], v[30:31], v[74:75] neg_lo:[0,1] neg_hi:[0,1]
	s_wait_dscnt 0x0
	v_dual_mul_f32 v74, v71, v63 :: v_dual_mul_f32 v76, v71, v60
	s_delay_alu instid0(VALU_DEP_1) | instskip(NEXT) | instid1(VALU_DEP_2)
	v_pk_fma_f32 v[74:75], v[70:71], v[14:15], v[74:75] op_sel_hi:[1,1,0] neg_lo:[0,0,1] neg_hi:[0,0,1]
	v_pk_fma_f32 v[70:71], v[70:71], v[14:15], v[76:77] op_sel:[1,0,0] op_sel_hi:[0,1,0]
	s_delay_alu instid0(VALU_DEP_1) | instskip(SKIP_1) | instid1(VALU_DEP_2)
	v_mov_b32_e32 v75, v71
	v_pk_mul_f32 v[70:71], v[72:73], v[62:63] op_sel:[0,1]
	v_pk_add_f32 v[36:37], v[36:37], v[74:75] neg_lo:[0,1] neg_hi:[0,1]
	s_delay_alu instid0(VALU_DEP_2) | instskip(SKIP_1) | instid1(VALU_DEP_1)
	v_pk_fma_f32 v[74:75], v[72:73], v[60:61], v[70:71] op_sel:[0,0,1] op_sel_hi:[1,1,0] neg_lo:[0,0,1] neg_hi:[0,0,1]
	v_pk_fma_f32 v[70:71], v[72:73], v[60:61], v[70:71] op_sel:[0,0,1] op_sel_hi:[1,0,0]
	v_mov_b32_e32 v75, v71
	ds_load_b64 v[70:71], v64 offset:208
	v_pk_add_f32 v[34:35], v[34:35], v[74:75] neg_lo:[0,1] neg_hi:[0,1]
	s_wait_dscnt 0x0
	v_pk_mul_f32 v[62:63], v[70:71], v[62:63] op_sel:[0,1]
	s_delay_alu instid0(VALU_DEP_1) | instskip(SKIP_1) | instid1(VALU_DEP_1)
	v_pk_fma_f32 v[72:73], v[70:71], v[60:61], v[62:63] op_sel:[0,0,1] op_sel_hi:[1,1,0] neg_lo:[0,0,1] neg_hi:[0,0,1]
	v_pk_fma_f32 v[60:61], v[70:71], v[60:61], v[62:63] op_sel:[0,0,1] op_sel_hi:[1,0,0]
	v_mov_b32_e32 v73, v61
	s_delay_alu instid0(VALU_DEP_1)
	v_pk_add_f32 v[58:59], v[58:59], v[72:73] neg_lo:[0,1] neg_hi:[0,1]
.LBB52_125:
	s_or_b32 exec_lo, exec_lo, s0
	v_lshl_add_u32 v60, v68, 3, v64
	s_barrier_signal -1
	s_barrier_wait -1
	ds_store_b64 v60, v[8:9]
	s_wait_dscnt 0x0
	s_barrier_signal -1
	s_barrier_wait -1
	ds_load_b64 v[62:63], v64 offset:48
	v_mov_b32_e32 v60, 6
	s_cmp_lt_i32 s14, 8
	s_cbranch_scc1 .LBB52_128
; %bb.126:
	v_add3_u32 v61, v65, 0, 56
	v_mov_b32_e32 v60, 6
	s_mov_b32 s0, 7
.LBB52_127:                             ; =>This Inner Loop Header: Depth=1
	ds_load_b64 v[70:71], v61
	s_wait_dscnt 0x1
	v_cmp_gt_f32_e32 vcc_lo, 0, v62
	v_cndmask_b32_e64 v72, v62, -v62, vcc_lo
	v_cmp_gt_f32_e32 vcc_lo, 0, v63
	v_cndmask_b32_e64 v74, v63, -v63, vcc_lo
	s_wait_dscnt 0x0
	v_cmp_gt_f32_e32 vcc_lo, 0, v70
	v_cndmask_b32_e64 v73, v70, -v70, vcc_lo
	v_cmp_gt_f32_e32 vcc_lo, 0, v71
	v_cndmask_b32_e64 v75, v71, -v71, vcc_lo
	s_delay_alu instid0(VALU_DEP_1) | instskip(NEXT) | instid1(VALU_DEP_1)
	v_pk_add_f32 v[72:73], v[72:73], v[74:75]
	v_cmp_lt_f32_e32 vcc_lo, v72, v73
	v_dual_add_nc_u32 v61, 8, v61 :: v_dual_cndmask_b32 v63, v63, v71, vcc_lo
	v_cndmask_b32_e32 v62, v62, v70, vcc_lo
	v_cndmask_b32_e64 v60, v60, s0, vcc_lo
	s_add_co_i32 s0, s0, 1
	s_delay_alu instid0(SALU_CYCLE_1)
	s_cmp_lg_u32 s14, s0
	s_cbranch_scc1 .LBB52_127
.LBB52_128:
	s_wait_dscnt 0x0
	v_cmp_eq_f32_e32 vcc_lo, 0, v62
	v_cmp_eq_f32_e64 s0, 0, v63
	s_and_b32 s0, vcc_lo, s0
	s_delay_alu instid0(SALU_CYCLE_1) | instskip(NEXT) | instid1(SALU_CYCLE_1)
	s_and_saveexec_b32 s1, s0
	s_xor_b32 s0, exec_lo, s1
; %bb.129:
	v_cmp_ne_u32_e32 vcc_lo, 0, v66
	v_cndmask_b32_e32 v66, 7, v66, vcc_lo
; %bb.130:
	s_and_not1_saveexec_b32 s0, s0
	s_cbranch_execz .LBB52_136
; %bb.131:
	v_cmp_ngt_f32_e64 s1, |v62|, |v63|
	s_and_saveexec_b32 s15, s1
	s_delay_alu instid0(SALU_CYCLE_1)
	s_xor_b32 s1, exec_lo, s15
	s_cbranch_execz .LBB52_133
; %bb.132:
	v_div_scale_f32 v61, null, v63, v63, v62
	v_div_scale_f32 v71, vcc_lo, v62, v63, v62
	s_delay_alu instid0(VALU_DEP_2) | instskip(SKIP_1) | instid1(TRANS32_DEP_1)
	v_rcp_f32_e32 v69, v61
	v_nop
	v_fma_f32 v70, -v61, v69, 1.0
	s_delay_alu instid0(VALU_DEP_1) | instskip(NEXT) | instid1(VALU_DEP_1)
	v_fmac_f32_e32 v69, v70, v69
	v_mul_f32_e32 v70, v71, v69
	s_delay_alu instid0(VALU_DEP_1) | instskip(NEXT) | instid1(VALU_DEP_1)
	v_fma_f32 v72, -v61, v70, v71
	v_fmac_f32_e32 v70, v72, v69
	s_delay_alu instid0(VALU_DEP_1) | instskip(NEXT) | instid1(VALU_DEP_1)
	v_fma_f32 v61, -v61, v70, v71
	v_div_fmas_f32 v61, v61, v69, v70
	s_delay_alu instid0(VALU_DEP_1) | instskip(NEXT) | instid1(VALU_DEP_1)
	v_div_fixup_f32 v61, v61, v63, v62
	v_fmac_f32_e32 v63, v62, v61
	s_delay_alu instid0(VALU_DEP_1) | instskip(SKIP_1) | instid1(VALU_DEP_2)
	v_div_scale_f32 v62, null, v63, v63, 1.0
	v_div_scale_f32 v71, vcc_lo, 1.0, v63, 1.0
	v_rcp_f32_e32 v69, v62
	v_nop
	s_delay_alu instid0(TRANS32_DEP_1) | instskip(NEXT) | instid1(VALU_DEP_1)
	v_fma_f32 v70, -v62, v69, 1.0
	v_fmac_f32_e32 v69, v70, v69
	s_delay_alu instid0(VALU_DEP_1) | instskip(NEXT) | instid1(VALU_DEP_1)
	v_mul_f32_e32 v70, v71, v69
	v_fma_f32 v72, -v62, v70, v71
	s_delay_alu instid0(VALU_DEP_1) | instskip(NEXT) | instid1(VALU_DEP_1)
	v_fmac_f32_e32 v70, v72, v69
	v_fma_f32 v62, -v62, v70, v71
	s_delay_alu instid0(VALU_DEP_1) | instskip(NEXT) | instid1(VALU_DEP_1)
	v_div_fmas_f32 v62, v62, v69, v70
	v_div_fixup_f32 v63, v62, v63, 1.0
	s_delay_alu instid0(VALU_DEP_1)
	v_mul_f32_e32 v62, v61, v63
	v_xor_b32_e32 v63, 0x80000000, v63
.LBB52_133:
	s_and_not1_saveexec_b32 s1, s1
	s_cbranch_execz .LBB52_135
; %bb.134:
	s_delay_alu instid0(VALU_DEP_1) | instskip(SKIP_1) | instid1(VALU_DEP_2)
	v_div_scale_f32 v61, null, v62, v62, v63
	v_div_scale_f32 v71, vcc_lo, v63, v62, v63
	v_rcp_f32_e32 v69, v61
	v_nop
	s_delay_alu instid0(TRANS32_DEP_1) | instskip(NEXT) | instid1(VALU_DEP_1)
	v_fma_f32 v70, -v61, v69, 1.0
	v_fmac_f32_e32 v69, v70, v69
	s_delay_alu instid0(VALU_DEP_1) | instskip(NEXT) | instid1(VALU_DEP_1)
	v_mul_f32_e32 v70, v71, v69
	v_fma_f32 v72, -v61, v70, v71
	s_delay_alu instid0(VALU_DEP_1) | instskip(NEXT) | instid1(VALU_DEP_1)
	v_fmac_f32_e32 v70, v72, v69
	v_fma_f32 v61, -v61, v70, v71
	s_delay_alu instid0(VALU_DEP_1) | instskip(NEXT) | instid1(VALU_DEP_1)
	v_div_fmas_f32 v61, v61, v69, v70
	v_div_fixup_f32 v61, v61, v62, v63
	s_delay_alu instid0(VALU_DEP_1) | instskip(NEXT) | instid1(VALU_DEP_1)
	v_fmac_f32_e32 v62, v63, v61
	v_div_scale_f32 v63, null, v62, v62, 1.0
	s_delay_alu instid0(VALU_DEP_1) | instskip(SKIP_1) | instid1(TRANS32_DEP_1)
	v_rcp_f32_e32 v69, v63
	v_nop
	v_fma_f32 v70, -v63, v69, 1.0
	s_delay_alu instid0(VALU_DEP_1) | instskip(SKIP_1) | instid1(VALU_DEP_1)
	v_fmac_f32_e32 v69, v70, v69
	v_div_scale_f32 v70, vcc_lo, 1.0, v62, 1.0
	v_mul_f32_e32 v71, v70, v69
	s_delay_alu instid0(VALU_DEP_1) | instskip(NEXT) | instid1(VALU_DEP_1)
	v_fma_f32 v72, -v63, v71, v70
	v_fmac_f32_e32 v71, v72, v69
	s_delay_alu instid0(VALU_DEP_1) | instskip(NEXT) | instid1(VALU_DEP_1)
	v_fma_f32 v63, -v63, v71, v70
	v_div_fmas_f32 v63, v63, v69, v71
	s_delay_alu instid0(VALU_DEP_1) | instskip(NEXT) | instid1(VALU_DEP_1)
	v_div_fixup_f32 v62, v63, v62, 1.0
	v_mul_f32_e64 v63, v61, -v62
.LBB52_135:
	s_or_b32 exec_lo, exec_lo, s1
.LBB52_136:
	s_delay_alu instid0(SALU_CYCLE_1) | instskip(NEXT) | instid1(SALU_CYCLE_1)
	s_or_b32 exec_lo, exec_lo, s0
	s_mov_b32 s0, exec_lo
	v_cmpx_ne_u32_e64 v68, v60
	s_xor_b32 s0, exec_lo, s0
	s_cbranch_execz .LBB52_142
; %bb.137:
	s_mov_b32 s1, exec_lo
	v_cmpx_eq_u32_e32 6, v68
	s_cbranch_execz .LBB52_141
; %bb.138:
	v_cmp_ne_u32_e32 vcc_lo, 6, v60
	s_xor_b32 s15, s2, -1
	s_delay_alu instid0(SALU_CYCLE_1) | instskip(NEXT) | instid1(SALU_CYCLE_1)
	s_and_b32 s16, s15, vcc_lo
	s_and_saveexec_b32 s15, s16
	s_cbranch_execz .LBB52_140
; %bb.139:
	v_ashrrev_i32_e32 v61, 31, v60
	s_delay_alu instid0(VALU_DEP_1)
	v_lshl_add_u64 v[68:69], v[60:61], 2, v[4:5]
	s_clause 0x1
	global_load_b32 v61, v[68:69], off
	global_load_b32 v67, v[4:5], off offset:24
	s_wait_loadcnt 0x1
	global_store_b32 v[4:5], v61, off offset:24
	s_wait_loadcnt 0x0
	global_store_b32 v[68:69], v67, off
.LBB52_140:
	s_wait_xcnt 0x0
	s_or_b32 exec_lo, exec_lo, s15
	v_dual_mov_b32 v68, v60 :: v_dual_mov_b32 v67, v60
.LBB52_141:
	s_or_b32 exec_lo, exec_lo, s1
.LBB52_142:
	s_and_not1_saveexec_b32 s0, s0
	s_cbranch_execz .LBB52_144
; %bb.143:
	v_mov_b32_e32 v68, 6
	ds_store_2addr_b64 v64, v[6:7], v[28:29] offset0:7 offset1:8
	ds_store_2addr_b64 v64, v[24:25], v[12:13] offset0:9 offset1:10
	;; [unrolled: 1-line block ×10, first 2 shown]
.LBB52_144:
	s_or_b32 exec_lo, exec_lo, s0
	s_delay_alu instid0(SALU_CYCLE_1)
	s_mov_b32 s0, exec_lo
	s_wait_storecnt_dscnt 0x0
	s_barrier_signal -1
	s_barrier_wait -1
	v_cmpx_lt_i32_e32 6, v68
	s_cbranch_execz .LBB52_146
; %bb.145:
	v_pk_mul_f32 v[70:71], v[62:63], v[8:9] op_sel:[1,1] op_sel_hi:[0,1]
	s_delay_alu instid0(VALU_DEP_1)
	v_pk_fma_f32 v[60:61], v[62:63], v[8:9], v[70:71] op_sel_hi:[1,0,1] neg_lo:[0,0,1] neg_hi:[0,0,1]
	v_pk_fma_f32 v[62:63], v[62:63], v[8:9], v[70:71] op_sel_hi:[1,0,1]
	ds_load_2addr_b64 v[70:73], v64 offset0:7 offset1:8
	v_dual_mov_b32 v8, v60 :: v_dual_mov_b32 v9, v63
	s_wait_dscnt 0x0
	v_pk_mul_f32 v[74:75], v[70:71], v[62:63] op_sel:[0,1]
	s_delay_alu instid0(VALU_DEP_1) | instskip(SKIP_1) | instid1(VALU_DEP_1)
	v_pk_fma_f32 v[76:77], v[70:71], v[60:61], v[74:75] op_sel:[0,0,1] op_sel_hi:[1,1,0] neg_lo:[0,0,1] neg_hi:[0,0,1]
	v_pk_fma_f32 v[70:71], v[70:71], v[60:61], v[74:75] op_sel:[0,0,1] op_sel_hi:[1,0,0]
	v_mov_b32_e32 v77, v71
	v_pk_mul_f32 v[70:71], v[72:73], v[62:63] op_sel:[0,1]
	s_delay_alu instid0(VALU_DEP_1) | instskip(SKIP_1) | instid1(VALU_DEP_1)
	v_pk_fma_f32 v[74:75], v[72:73], v[60:61], v[70:71] op_sel:[0,0,1] op_sel_hi:[1,1,0] neg_lo:[0,0,1] neg_hi:[0,0,1]
	v_pk_fma_f32 v[70:71], v[72:73], v[60:61], v[70:71] op_sel:[0,0,1] op_sel_hi:[1,0,0]
	v_mov_b32_e32 v75, v71
	ds_load_2addr_b64 v[70:73], v64 offset0:9 offset1:10
	v_pk_add_f32 v[6:7], v[6:7], v[76:77] neg_lo:[0,1] neg_hi:[0,1]
	v_pk_add_f32 v[28:29], v[28:29], v[74:75] neg_lo:[0,1] neg_hi:[0,1]
	s_wait_dscnt 0x0
	v_pk_mul_f32 v[74:75], v[70:71], v[62:63] op_sel:[0,1]
	s_delay_alu instid0(VALU_DEP_1) | instskip(SKIP_2) | instid1(VALU_DEP_2)
	v_pk_fma_f32 v[76:77], v[70:71], v[60:61], v[74:75] op_sel:[0,0,1] op_sel_hi:[1,1,0] neg_lo:[0,0,1] neg_hi:[0,0,1]
	v_pk_fma_f32 v[70:71], v[70:71], v[60:61], v[74:75] op_sel:[0,0,1] op_sel_hi:[1,0,0]
	v_dual_mul_f32 v74, v73, v63 :: v_dual_mov_b32 v70, v73
	v_dual_mov_b32 v77, v71 :: v_dual_mov_b32 v71, v72
	s_delay_alu instid0(VALU_DEP_2) | instskip(SKIP_1) | instid1(VALU_DEP_3)
	v_pk_fma_f32 v[74:75], v[72:73], v[8:9], v[74:75] op_sel_hi:[1,1,0] neg_lo:[0,0,1] neg_hi:[0,0,1]
	v_mul_f32_e32 v72, v73, v60
	v_pk_add_f32 v[24:25], v[24:25], v[76:77] neg_lo:[0,1] neg_hi:[0,1]
	s_delay_alu instid0(VALU_DEP_2) | instskip(NEXT) | instid1(VALU_DEP_1)
	v_pk_fma_f32 v[70:71], v[70:71], v[8:9], v[72:73] op_sel_hi:[1,1,0]
	v_mov_b32_e32 v75, v71
	ds_load_2addr_b64 v[70:73], v64 offset0:11 offset1:12
	v_pk_add_f32 v[12:13], v[12:13], v[74:75] neg_lo:[0,1] neg_hi:[0,1]
	s_wait_dscnt 0x0
	v_pk_mul_f32 v[74:75], v[70:71], v[62:63] op_sel:[0,1]
	s_delay_alu instid0(VALU_DEP_1) | instskip(SKIP_1) | instid1(VALU_DEP_1)
	v_pk_fma_f32 v[76:77], v[70:71], v[60:61], v[74:75] op_sel:[0,0,1] op_sel_hi:[1,1,0] neg_lo:[0,0,1] neg_hi:[0,0,1]
	v_pk_fma_f32 v[70:71], v[70:71], v[60:61], v[74:75] op_sel:[0,0,1] op_sel_hi:[1,0,0]
	v_mov_b32_e32 v77, v71
	v_pk_mul_f32 v[70:71], v[72:73], v[62:63] op_sel:[0,1]
	s_delay_alu instid0(VALU_DEP_1) | instskip(SKIP_1) | instid1(VALU_DEP_1)
	v_pk_fma_f32 v[74:75], v[72:73], v[60:61], v[70:71] op_sel:[0,0,1] op_sel_hi:[1,1,0] neg_lo:[0,0,1] neg_hi:[0,0,1]
	v_pk_fma_f32 v[70:71], v[72:73], v[60:61], v[70:71] op_sel:[0,0,1] op_sel_hi:[1,0,0]
	v_mov_b32_e32 v75, v71
	ds_load_2addr_b64 v[70:73], v64 offset0:13 offset1:14
	v_pk_add_f32 v[10:11], v[10:11], v[76:77] neg_lo:[0,1] neg_hi:[0,1]
	v_pk_add_f32 v[48:49], v[48:49], v[74:75] neg_lo:[0,1] neg_hi:[0,1]
	s_wait_dscnt 0x0
	v_pk_mul_f32 v[74:75], v[70:71], v[62:63] op_sel:[0,1]
	s_delay_alu instid0(VALU_DEP_1) | instskip(SKIP_1) | instid1(VALU_DEP_1)
	v_pk_fma_f32 v[76:77], v[70:71], v[60:61], v[74:75] op_sel:[0,0,1] op_sel_hi:[1,1,0] neg_lo:[0,0,1] neg_hi:[0,0,1]
	v_pk_fma_f32 v[70:71], v[70:71], v[60:61], v[74:75] op_sel:[0,0,1] op_sel_hi:[1,0,0]
	v_mov_b32_e32 v77, v71
	v_pk_mul_f32 v[70:71], v[72:73], v[62:63] op_sel:[0,1]
	s_delay_alu instid0(VALU_DEP_1) | instskip(SKIP_1) | instid1(VALU_DEP_1)
	v_pk_fma_f32 v[74:75], v[72:73], v[60:61], v[70:71] op_sel:[0,0,1] op_sel_hi:[1,1,0] neg_lo:[0,0,1] neg_hi:[0,0,1]
	v_pk_fma_f32 v[70:71], v[72:73], v[60:61], v[70:71] op_sel:[0,0,1] op_sel_hi:[1,0,0]
	v_mov_b32_e32 v75, v71
	ds_load_2addr_b64 v[70:73], v64 offset0:15 offset1:16
	v_pk_add_f32 v[46:47], v[46:47], v[76:77] neg_lo:[0,1] neg_hi:[0,1]
	v_pk_add_f32 v[20:21], v[20:21], v[74:75] neg_lo:[0,1] neg_hi:[0,1]
	s_wait_dscnt 0x0
	v_dual_mul_f32 v74, v71, v63 :: v_dual_mul_f32 v76, v71, v60
	s_delay_alu instid0(VALU_DEP_1) | instskip(NEXT) | instid1(VALU_DEP_2)
	v_pk_fma_f32 v[74:75], v[70:71], v[8:9], v[74:75] op_sel_hi:[1,1,0] neg_lo:[0,0,1] neg_hi:[0,0,1]
	v_pk_fma_f32 v[70:71], v[70:71], v[8:9], v[76:77] op_sel:[1,0,0] op_sel_hi:[0,1,0]
	s_delay_alu instid0(VALU_DEP_1) | instskip(SKIP_1) | instid1(VALU_DEP_2)
	v_mov_b32_e32 v75, v71
	v_pk_mul_f32 v[70:71], v[72:73], v[62:63] op_sel:[0,1]
	v_pk_add_f32 v[18:19], v[18:19], v[74:75] neg_lo:[0,1] neg_hi:[0,1]
	s_delay_alu instid0(VALU_DEP_2) | instskip(SKIP_1) | instid1(VALU_DEP_1)
	v_pk_fma_f32 v[74:75], v[72:73], v[60:61], v[70:71] op_sel:[0,0,1] op_sel_hi:[1,1,0] neg_lo:[0,0,1] neg_hi:[0,0,1]
	v_pk_fma_f32 v[70:71], v[72:73], v[60:61], v[70:71] op_sel:[0,0,1] op_sel_hi:[1,0,0]
	v_mov_b32_e32 v75, v71
	ds_load_2addr_b64 v[70:73], v64 offset0:17 offset1:18
	v_pk_add_f32 v[52:53], v[52:53], v[74:75] neg_lo:[0,1] neg_hi:[0,1]
	s_wait_dscnt 0x0
	v_pk_mul_f32 v[74:75], v[70:71], v[62:63] op_sel:[0,1]
	s_delay_alu instid0(VALU_DEP_1) | instskip(SKIP_1) | instid1(VALU_DEP_1)
	v_pk_fma_f32 v[76:77], v[70:71], v[60:61], v[74:75] op_sel:[0,0,1] op_sel_hi:[1,1,0] neg_lo:[0,0,1] neg_hi:[0,0,1]
	v_pk_fma_f32 v[70:71], v[70:71], v[60:61], v[74:75] op_sel:[0,0,1] op_sel_hi:[1,0,0]
	v_mov_b32_e32 v77, v71
	v_pk_mul_f32 v[70:71], v[72:73], v[62:63] op_sel:[0,1]
	s_delay_alu instid0(VALU_DEP_2) | instskip(NEXT) | instid1(VALU_DEP_2)
	v_pk_add_f32 v[50:51], v[50:51], v[76:77] neg_lo:[0,1] neg_hi:[0,1]
	v_pk_fma_f32 v[74:75], v[72:73], v[60:61], v[70:71] op_sel:[0,0,1] op_sel_hi:[1,1,0] neg_lo:[0,0,1] neg_hi:[0,0,1]
	v_pk_fma_f32 v[70:71], v[72:73], v[60:61], v[70:71] op_sel:[0,0,1] op_sel_hi:[1,0,0]
	s_delay_alu instid0(VALU_DEP_1) | instskip(SKIP_4) | instid1(VALU_DEP_1)
	v_mov_b32_e32 v75, v71
	ds_load_2addr_b64 v[70:73], v64 offset0:19 offset1:20
	v_pk_add_f32 v[26:27], v[26:27], v[74:75] neg_lo:[0,1] neg_hi:[0,1]
	s_wait_dscnt 0x0
	v_pk_mul_f32 v[74:75], v[70:71], v[62:63] op_sel:[0,1]
	v_pk_fma_f32 v[76:77], v[70:71], v[60:61], v[74:75] op_sel:[0,0,1] op_sel_hi:[1,1,0] neg_lo:[0,0,1] neg_hi:[0,0,1]
	v_pk_fma_f32 v[70:71], v[70:71], v[60:61], v[74:75] op_sel:[0,0,1] op_sel_hi:[1,0,0]
	v_dual_mul_f32 v74, v73, v63 :: v_dual_mov_b32 v70, v73
	s_delay_alu instid0(VALU_DEP_2) | instskip(NEXT) | instid1(VALU_DEP_2)
	v_dual_mov_b32 v77, v71 :: v_dual_mov_b32 v71, v72
	v_pk_fma_f32 v[74:75], v[72:73], v[8:9], v[74:75] op_sel_hi:[1,1,0] neg_lo:[0,0,1] neg_hi:[0,0,1]
	v_mul_f32_e32 v72, v73, v60
	s_delay_alu instid0(VALU_DEP_3) | instskip(NEXT) | instid1(VALU_DEP_2)
	v_pk_add_f32 v[22:23], v[22:23], v[76:77] neg_lo:[0,1] neg_hi:[0,1]
	v_pk_fma_f32 v[70:71], v[70:71], v[8:9], v[72:73] op_sel_hi:[1,1,0]
	s_delay_alu instid0(VALU_DEP_1) | instskip(SKIP_4) | instid1(VALU_DEP_1)
	v_mov_b32_e32 v75, v71
	ds_load_2addr_b64 v[70:73], v64 offset0:21 offset1:22
	v_pk_add_f32 v[44:45], v[44:45], v[74:75] neg_lo:[0,1] neg_hi:[0,1]
	s_wait_dscnt 0x0
	v_pk_mul_f32 v[74:75], v[70:71], v[62:63] op_sel:[0,1]
	v_pk_fma_f32 v[76:77], v[70:71], v[60:61], v[74:75] op_sel:[0,0,1] op_sel_hi:[1,1,0] neg_lo:[0,0,1] neg_hi:[0,0,1]
	v_pk_fma_f32 v[70:71], v[70:71], v[60:61], v[74:75] op_sel:[0,0,1] op_sel_hi:[1,0,0]
	s_delay_alu instid0(VALU_DEP_1) | instskip(SKIP_1) | instid1(VALU_DEP_1)
	v_mov_b32_e32 v77, v71
	v_pk_mul_f32 v[70:71], v[72:73], v[62:63] op_sel:[0,1]
	v_pk_fma_f32 v[74:75], v[72:73], v[60:61], v[70:71] op_sel:[0,0,1] op_sel_hi:[1,1,0] neg_lo:[0,0,1] neg_hi:[0,0,1]
	v_pk_fma_f32 v[70:71], v[72:73], v[60:61], v[70:71] op_sel:[0,0,1] op_sel_hi:[1,0,0]
	s_delay_alu instid0(VALU_DEP_1)
	v_mov_b32_e32 v75, v71
	ds_load_2addr_b64 v[70:73], v64 offset0:23 offset1:24
	v_pk_add_f32 v[42:43], v[42:43], v[76:77] neg_lo:[0,1] neg_hi:[0,1]
	v_pk_add_f32 v[32:33], v[32:33], v[74:75] neg_lo:[0,1] neg_hi:[0,1]
	s_wait_dscnt 0x0
	v_pk_mul_f32 v[74:75], v[70:71], v[62:63] op_sel:[0,1]
	s_delay_alu instid0(VALU_DEP_1) | instskip(SKIP_1) | instid1(VALU_DEP_1)
	v_pk_fma_f32 v[76:77], v[70:71], v[60:61], v[74:75] op_sel:[0,0,1] op_sel_hi:[1,1,0] neg_lo:[0,0,1] neg_hi:[0,0,1]
	v_pk_fma_f32 v[70:71], v[70:71], v[60:61], v[74:75] op_sel:[0,0,1] op_sel_hi:[1,0,0]
	v_mov_b32_e32 v77, v71
	v_pk_mul_f32 v[70:71], v[72:73], v[62:63] op_sel:[0,1]
	s_delay_alu instid0(VALU_DEP_1) | instskip(SKIP_1) | instid1(VALU_DEP_1)
	v_pk_fma_f32 v[74:75], v[72:73], v[60:61], v[70:71] op_sel:[0,0,1] op_sel_hi:[1,1,0] neg_lo:[0,0,1] neg_hi:[0,0,1]
	v_pk_fma_f32 v[70:71], v[72:73], v[60:61], v[70:71] op_sel:[0,0,1] op_sel_hi:[1,0,0]
	v_mov_b32_e32 v75, v71
	ds_load_2addr_b64 v[70:73], v64 offset0:25 offset1:26
	v_pk_add_f32 v[30:31], v[30:31], v[76:77] neg_lo:[0,1] neg_hi:[0,1]
	v_pk_add_f32 v[36:37], v[36:37], v[74:75] neg_lo:[0,1] neg_hi:[0,1]
	s_wait_dscnt 0x0
	v_dual_mul_f32 v74, v71, v63 :: v_dual_mul_f32 v76, v71, v60
	v_pk_mul_f32 v[62:63], v[72:73], v[62:63] op_sel:[0,1]
	s_delay_alu instid0(VALU_DEP_2) | instskip(NEXT) | instid1(VALU_DEP_3)
	v_pk_fma_f32 v[74:75], v[70:71], v[8:9], v[74:75] op_sel_hi:[1,1,0] neg_lo:[0,0,1] neg_hi:[0,0,1]
	v_pk_fma_f32 v[70:71], v[70:71], v[8:9], v[76:77] op_sel:[1,0,0] op_sel_hi:[0,1,0]
	s_delay_alu instid0(VALU_DEP_1) | instskip(NEXT) | instid1(VALU_DEP_4)
	v_mov_b32_e32 v75, v71
	v_pk_fma_f32 v[70:71], v[72:73], v[60:61], v[62:63] op_sel:[0,0,1] op_sel_hi:[1,1,0] neg_lo:[0,0,1] neg_hi:[0,0,1]
	v_pk_fma_f32 v[60:61], v[72:73], v[60:61], v[62:63] op_sel:[0,0,1] op_sel_hi:[1,0,0]
	s_delay_alu instid0(VALU_DEP_1) | instskip(NEXT) | instid1(VALU_DEP_4)
	v_mov_b32_e32 v71, v61
	v_pk_add_f32 v[34:35], v[34:35], v[74:75] neg_lo:[0,1] neg_hi:[0,1]
	s_delay_alu instid0(VALU_DEP_2)
	v_pk_add_f32 v[58:59], v[58:59], v[70:71] neg_lo:[0,1] neg_hi:[0,1]
.LBB52_146:
	s_or_b32 exec_lo, exec_lo, s0
	v_lshl_add_u32 v60, v68, 3, v64
	s_barrier_signal -1
	s_barrier_wait -1
	ds_store_b64 v60, v[6:7]
	s_wait_dscnt 0x0
	s_barrier_signal -1
	s_barrier_wait -1
	ds_load_b64 v[62:63], v64 offset:56
	v_mov_b32_e32 v60, 7
	s_cmp_lt_i32 s14, 9
	s_cbranch_scc1 .LBB52_149
; %bb.147:
	v_add3_u32 v61, v65, 0, 64
	v_mov_b32_e32 v60, 7
	s_mov_b32 s0, 8
.LBB52_148:                             ; =>This Inner Loop Header: Depth=1
	ds_load_b64 v[70:71], v61
	s_wait_dscnt 0x1
	v_cmp_gt_f32_e32 vcc_lo, 0, v62
	v_cndmask_b32_e64 v72, v62, -v62, vcc_lo
	v_cmp_gt_f32_e32 vcc_lo, 0, v63
	v_cndmask_b32_e64 v74, v63, -v63, vcc_lo
	s_wait_dscnt 0x0
	v_cmp_gt_f32_e32 vcc_lo, 0, v70
	v_cndmask_b32_e64 v73, v70, -v70, vcc_lo
	v_cmp_gt_f32_e32 vcc_lo, 0, v71
	v_cndmask_b32_e64 v75, v71, -v71, vcc_lo
	s_delay_alu instid0(VALU_DEP_1) | instskip(NEXT) | instid1(VALU_DEP_1)
	v_pk_add_f32 v[72:73], v[72:73], v[74:75]
	v_cmp_lt_f32_e32 vcc_lo, v72, v73
	v_dual_add_nc_u32 v61, 8, v61 :: v_dual_cndmask_b32 v63, v63, v71, vcc_lo
	v_cndmask_b32_e32 v62, v62, v70, vcc_lo
	v_cndmask_b32_e64 v60, v60, s0, vcc_lo
	s_add_co_i32 s0, s0, 1
	s_delay_alu instid0(SALU_CYCLE_1)
	s_cmp_lg_u32 s14, s0
	s_cbranch_scc1 .LBB52_148
.LBB52_149:
	s_wait_dscnt 0x0
	v_cmp_eq_f32_e32 vcc_lo, 0, v62
	v_cmp_eq_f32_e64 s0, 0, v63
	s_and_b32 s0, vcc_lo, s0
	s_delay_alu instid0(SALU_CYCLE_1) | instskip(NEXT) | instid1(SALU_CYCLE_1)
	s_and_saveexec_b32 s1, s0
	s_xor_b32 s0, exec_lo, s1
; %bb.150:
	v_cmp_ne_u32_e32 vcc_lo, 0, v66
	v_cndmask_b32_e32 v66, 8, v66, vcc_lo
; %bb.151:
	s_and_not1_saveexec_b32 s0, s0
	s_cbranch_execz .LBB52_157
; %bb.152:
	v_cmp_ngt_f32_e64 s1, |v62|, |v63|
	s_and_saveexec_b32 s15, s1
	s_delay_alu instid0(SALU_CYCLE_1)
	s_xor_b32 s1, exec_lo, s15
	s_cbranch_execz .LBB52_154
; %bb.153:
	v_div_scale_f32 v61, null, v63, v63, v62
	v_div_scale_f32 v71, vcc_lo, v62, v63, v62
	s_delay_alu instid0(VALU_DEP_2) | instskip(SKIP_1) | instid1(TRANS32_DEP_1)
	v_rcp_f32_e32 v69, v61
	v_nop
	v_fma_f32 v70, -v61, v69, 1.0
	s_delay_alu instid0(VALU_DEP_1) | instskip(NEXT) | instid1(VALU_DEP_1)
	v_fmac_f32_e32 v69, v70, v69
	v_mul_f32_e32 v70, v71, v69
	s_delay_alu instid0(VALU_DEP_1) | instskip(NEXT) | instid1(VALU_DEP_1)
	v_fma_f32 v72, -v61, v70, v71
	v_fmac_f32_e32 v70, v72, v69
	s_delay_alu instid0(VALU_DEP_1) | instskip(NEXT) | instid1(VALU_DEP_1)
	v_fma_f32 v61, -v61, v70, v71
	v_div_fmas_f32 v61, v61, v69, v70
	s_delay_alu instid0(VALU_DEP_1) | instskip(NEXT) | instid1(VALU_DEP_1)
	v_div_fixup_f32 v61, v61, v63, v62
	v_fmac_f32_e32 v63, v62, v61
	s_delay_alu instid0(VALU_DEP_1) | instskip(SKIP_1) | instid1(VALU_DEP_2)
	v_div_scale_f32 v62, null, v63, v63, 1.0
	v_div_scale_f32 v71, vcc_lo, 1.0, v63, 1.0
	v_rcp_f32_e32 v69, v62
	v_nop
	s_delay_alu instid0(TRANS32_DEP_1) | instskip(NEXT) | instid1(VALU_DEP_1)
	v_fma_f32 v70, -v62, v69, 1.0
	v_fmac_f32_e32 v69, v70, v69
	s_delay_alu instid0(VALU_DEP_1) | instskip(NEXT) | instid1(VALU_DEP_1)
	v_mul_f32_e32 v70, v71, v69
	v_fma_f32 v72, -v62, v70, v71
	s_delay_alu instid0(VALU_DEP_1) | instskip(NEXT) | instid1(VALU_DEP_1)
	v_fmac_f32_e32 v70, v72, v69
	v_fma_f32 v62, -v62, v70, v71
	s_delay_alu instid0(VALU_DEP_1) | instskip(NEXT) | instid1(VALU_DEP_1)
	v_div_fmas_f32 v62, v62, v69, v70
	v_div_fixup_f32 v63, v62, v63, 1.0
	s_delay_alu instid0(VALU_DEP_1)
	v_mul_f32_e32 v62, v61, v63
	v_xor_b32_e32 v63, 0x80000000, v63
.LBB52_154:
	s_and_not1_saveexec_b32 s1, s1
	s_cbranch_execz .LBB52_156
; %bb.155:
	s_delay_alu instid0(VALU_DEP_1) | instskip(SKIP_1) | instid1(VALU_DEP_2)
	v_div_scale_f32 v61, null, v62, v62, v63
	v_div_scale_f32 v71, vcc_lo, v63, v62, v63
	v_rcp_f32_e32 v69, v61
	v_nop
	s_delay_alu instid0(TRANS32_DEP_1) | instskip(NEXT) | instid1(VALU_DEP_1)
	v_fma_f32 v70, -v61, v69, 1.0
	v_fmac_f32_e32 v69, v70, v69
	s_delay_alu instid0(VALU_DEP_1) | instskip(NEXT) | instid1(VALU_DEP_1)
	v_mul_f32_e32 v70, v71, v69
	v_fma_f32 v72, -v61, v70, v71
	s_delay_alu instid0(VALU_DEP_1) | instskip(NEXT) | instid1(VALU_DEP_1)
	v_fmac_f32_e32 v70, v72, v69
	v_fma_f32 v61, -v61, v70, v71
	s_delay_alu instid0(VALU_DEP_1) | instskip(NEXT) | instid1(VALU_DEP_1)
	v_div_fmas_f32 v61, v61, v69, v70
	v_div_fixup_f32 v61, v61, v62, v63
	s_delay_alu instid0(VALU_DEP_1) | instskip(NEXT) | instid1(VALU_DEP_1)
	v_fmac_f32_e32 v62, v63, v61
	v_div_scale_f32 v63, null, v62, v62, 1.0
	s_delay_alu instid0(VALU_DEP_1) | instskip(SKIP_1) | instid1(TRANS32_DEP_1)
	v_rcp_f32_e32 v69, v63
	v_nop
	v_fma_f32 v70, -v63, v69, 1.0
	s_delay_alu instid0(VALU_DEP_1) | instskip(SKIP_1) | instid1(VALU_DEP_1)
	v_fmac_f32_e32 v69, v70, v69
	v_div_scale_f32 v70, vcc_lo, 1.0, v62, 1.0
	v_mul_f32_e32 v71, v70, v69
	s_delay_alu instid0(VALU_DEP_1) | instskip(NEXT) | instid1(VALU_DEP_1)
	v_fma_f32 v72, -v63, v71, v70
	v_fmac_f32_e32 v71, v72, v69
	s_delay_alu instid0(VALU_DEP_1) | instskip(NEXT) | instid1(VALU_DEP_1)
	v_fma_f32 v63, -v63, v71, v70
	v_div_fmas_f32 v63, v63, v69, v71
	s_delay_alu instid0(VALU_DEP_1) | instskip(NEXT) | instid1(VALU_DEP_1)
	v_div_fixup_f32 v62, v63, v62, 1.0
	v_mul_f32_e64 v63, v61, -v62
.LBB52_156:
	s_or_b32 exec_lo, exec_lo, s1
.LBB52_157:
	s_delay_alu instid0(SALU_CYCLE_1) | instskip(NEXT) | instid1(SALU_CYCLE_1)
	s_or_b32 exec_lo, exec_lo, s0
	s_mov_b32 s0, exec_lo
	v_cmpx_ne_u32_e64 v68, v60
	s_xor_b32 s0, exec_lo, s0
	s_cbranch_execz .LBB52_163
; %bb.158:
	s_mov_b32 s1, exec_lo
	v_cmpx_eq_u32_e32 7, v68
	s_cbranch_execz .LBB52_162
; %bb.159:
	v_cmp_ne_u32_e32 vcc_lo, 7, v60
	s_xor_b32 s15, s2, -1
	s_delay_alu instid0(SALU_CYCLE_1) | instskip(NEXT) | instid1(SALU_CYCLE_1)
	s_and_b32 s16, s15, vcc_lo
	s_and_saveexec_b32 s15, s16
	s_cbranch_execz .LBB52_161
; %bb.160:
	v_ashrrev_i32_e32 v61, 31, v60
	s_delay_alu instid0(VALU_DEP_1)
	v_lshl_add_u64 v[68:69], v[60:61], 2, v[4:5]
	s_clause 0x1
	global_load_b32 v61, v[68:69], off
	global_load_b32 v67, v[4:5], off offset:28
	s_wait_loadcnt 0x1
	global_store_b32 v[4:5], v61, off offset:28
	s_wait_loadcnt 0x0
	global_store_b32 v[68:69], v67, off
.LBB52_161:
	s_wait_xcnt 0x0
	s_or_b32 exec_lo, exec_lo, s15
	v_dual_mov_b32 v68, v60 :: v_dual_mov_b32 v67, v60
.LBB52_162:
	s_or_b32 exec_lo, exec_lo, s1
.LBB52_163:
	s_and_not1_saveexec_b32 s0, s0
	s_cbranch_execz .LBB52_165
; %bb.164:
	v_dual_mov_b32 v60, v28 :: v_dual_mov_b32 v61, v29
	v_dual_mov_b32 v68, v24 :: v_dual_mov_b32 v69, v25
	ds_store_2addr_b64 v64, v[60:61], v[68:69] offset0:8 offset1:9
	v_dual_mov_b32 v60, v12 :: v_dual_mov_b32 v61, v13
	v_dual_mov_b32 v68, v10 :: v_dual_mov_b32 v69, v11
	ds_store_2addr_b64 v64, v[60:61], v[68:69] offset0:10 offset1:11
	;; [unrolled: 3-line block ×9, first 2 shown]
	ds_store_b64 v64, v[58:59] offset:208
	v_mov_b32_e32 v68, 7
.LBB52_165:
	s_or_b32 exec_lo, exec_lo, s0
	s_delay_alu instid0(SALU_CYCLE_1)
	s_mov_b32 s0, exec_lo
	s_wait_storecnt_dscnt 0x0
	s_barrier_signal -1
	s_barrier_wait -1
	v_cmpx_lt_i32_e32 7, v68
	s_cbranch_execz .LBB52_167
; %bb.166:
	v_pk_mul_f32 v[70:71], v[62:63], v[6:7] op_sel:[1,1] op_sel_hi:[0,1]
	s_delay_alu instid0(VALU_DEP_1)
	v_pk_fma_f32 v[60:61], v[62:63], v[6:7], v[70:71] op_sel_hi:[1,0,1] neg_lo:[0,0,1] neg_hi:[0,0,1]
	v_pk_fma_f32 v[62:63], v[62:63], v[6:7], v[70:71] op_sel_hi:[1,0,1]
	ds_load_2addr_b64 v[70:73], v64 offset0:8 offset1:9
	v_dual_mov_b32 v6, v60 :: v_dual_mov_b32 v7, v63
	s_wait_dscnt 0x0
	v_pk_mul_f32 v[74:75], v[70:71], v[62:63] op_sel:[0,1]
	s_delay_alu instid0(VALU_DEP_1) | instskip(SKIP_1) | instid1(VALU_DEP_1)
	v_pk_fma_f32 v[76:77], v[70:71], v[60:61], v[74:75] op_sel:[0,0,1] op_sel_hi:[1,1,0] neg_lo:[0,0,1] neg_hi:[0,0,1]
	v_pk_fma_f32 v[70:71], v[70:71], v[60:61], v[74:75] op_sel:[0,0,1] op_sel_hi:[1,0,0]
	v_mov_b32_e32 v77, v71
	v_pk_mul_f32 v[70:71], v[72:73], v[62:63] op_sel:[0,1]
	s_delay_alu instid0(VALU_DEP_1) | instskip(SKIP_1) | instid1(VALU_DEP_1)
	v_pk_fma_f32 v[74:75], v[72:73], v[60:61], v[70:71] op_sel:[0,0,1] op_sel_hi:[1,1,0] neg_lo:[0,0,1] neg_hi:[0,0,1]
	v_pk_fma_f32 v[70:71], v[72:73], v[60:61], v[70:71] op_sel:[0,0,1] op_sel_hi:[1,0,0]
	v_mov_b32_e32 v75, v71
	ds_load_2addr_b64 v[70:73], v64 offset0:10 offset1:11
	v_pk_add_f32 v[28:29], v[28:29], v[76:77] neg_lo:[0,1] neg_hi:[0,1]
	v_pk_add_f32 v[24:25], v[24:25], v[74:75] neg_lo:[0,1] neg_hi:[0,1]
	s_wait_dscnt 0x0
	v_pk_mul_f32 v[74:75], v[70:71], v[62:63] op_sel:[0,1]
	s_delay_alu instid0(VALU_DEP_1) | instskip(SKIP_2) | instid1(VALU_DEP_2)
	v_pk_fma_f32 v[76:77], v[70:71], v[60:61], v[74:75] op_sel:[0,0,1] op_sel_hi:[1,1,0] neg_lo:[0,0,1] neg_hi:[0,0,1]
	v_pk_fma_f32 v[70:71], v[70:71], v[60:61], v[74:75] op_sel:[0,0,1] op_sel_hi:[1,0,0]
	v_dual_mul_f32 v74, v73, v63 :: v_dual_mov_b32 v70, v73
	v_dual_mov_b32 v77, v71 :: v_dual_mov_b32 v71, v72
	s_delay_alu instid0(VALU_DEP_2) | instskip(SKIP_1) | instid1(VALU_DEP_3)
	v_pk_fma_f32 v[74:75], v[72:73], v[6:7], v[74:75] op_sel_hi:[1,1,0] neg_lo:[0,0,1] neg_hi:[0,0,1]
	v_mul_f32_e32 v72, v73, v60
	v_pk_add_f32 v[12:13], v[12:13], v[76:77] neg_lo:[0,1] neg_hi:[0,1]
	s_delay_alu instid0(VALU_DEP_2) | instskip(NEXT) | instid1(VALU_DEP_1)
	v_pk_fma_f32 v[70:71], v[70:71], v[6:7], v[72:73] op_sel_hi:[1,1,0]
	v_mov_b32_e32 v75, v71
	ds_load_2addr_b64 v[70:73], v64 offset0:12 offset1:13
	v_pk_add_f32 v[10:11], v[10:11], v[74:75] neg_lo:[0,1] neg_hi:[0,1]
	s_wait_dscnt 0x0
	v_pk_mul_f32 v[74:75], v[70:71], v[62:63] op_sel:[0,1]
	s_delay_alu instid0(VALU_DEP_1) | instskip(SKIP_1) | instid1(VALU_DEP_1)
	v_pk_fma_f32 v[76:77], v[70:71], v[60:61], v[74:75] op_sel:[0,0,1] op_sel_hi:[1,1,0] neg_lo:[0,0,1] neg_hi:[0,0,1]
	v_pk_fma_f32 v[70:71], v[70:71], v[60:61], v[74:75] op_sel:[0,0,1] op_sel_hi:[1,0,0]
	v_mov_b32_e32 v77, v71
	v_pk_mul_f32 v[70:71], v[72:73], v[62:63] op_sel:[0,1]
	s_delay_alu instid0(VALU_DEP_1) | instskip(SKIP_1) | instid1(VALU_DEP_1)
	v_pk_fma_f32 v[74:75], v[72:73], v[60:61], v[70:71] op_sel:[0,0,1] op_sel_hi:[1,1,0] neg_lo:[0,0,1] neg_hi:[0,0,1]
	v_pk_fma_f32 v[70:71], v[72:73], v[60:61], v[70:71] op_sel:[0,0,1] op_sel_hi:[1,0,0]
	v_mov_b32_e32 v75, v71
	ds_load_2addr_b64 v[70:73], v64 offset0:14 offset1:15
	v_pk_add_f32 v[48:49], v[48:49], v[76:77] neg_lo:[0,1] neg_hi:[0,1]
	v_pk_add_f32 v[46:47], v[46:47], v[74:75] neg_lo:[0,1] neg_hi:[0,1]
	s_wait_dscnt 0x0
	v_pk_mul_f32 v[74:75], v[70:71], v[62:63] op_sel:[0,1]
	s_delay_alu instid0(VALU_DEP_1) | instskip(SKIP_1) | instid1(VALU_DEP_1)
	v_pk_fma_f32 v[76:77], v[70:71], v[60:61], v[74:75] op_sel:[0,0,1] op_sel_hi:[1,1,0] neg_lo:[0,0,1] neg_hi:[0,0,1]
	v_pk_fma_f32 v[70:71], v[70:71], v[60:61], v[74:75] op_sel:[0,0,1] op_sel_hi:[1,0,0]
	v_mov_b32_e32 v77, v71
	v_pk_mul_f32 v[70:71], v[72:73], v[62:63] op_sel:[0,1]
	s_delay_alu instid0(VALU_DEP_1) | instskip(SKIP_1) | instid1(VALU_DEP_1)
	v_pk_fma_f32 v[74:75], v[72:73], v[60:61], v[70:71] op_sel:[0,0,1] op_sel_hi:[1,1,0] neg_lo:[0,0,1] neg_hi:[0,0,1]
	v_pk_fma_f32 v[70:71], v[72:73], v[60:61], v[70:71] op_sel:[0,0,1] op_sel_hi:[1,0,0]
	v_mov_b32_e32 v75, v71
	ds_load_2addr_b64 v[70:73], v64 offset0:16 offset1:17
	v_pk_add_f32 v[20:21], v[20:21], v[76:77] neg_lo:[0,1] neg_hi:[0,1]
	v_pk_add_f32 v[18:19], v[18:19], v[74:75] neg_lo:[0,1] neg_hi:[0,1]
	s_wait_dscnt 0x0
	v_dual_mul_f32 v74, v71, v63 :: v_dual_mul_f32 v76, v71, v60
	s_delay_alu instid0(VALU_DEP_1) | instskip(NEXT) | instid1(VALU_DEP_2)
	v_pk_fma_f32 v[74:75], v[70:71], v[6:7], v[74:75] op_sel_hi:[1,1,0] neg_lo:[0,0,1] neg_hi:[0,0,1]
	v_pk_fma_f32 v[70:71], v[70:71], v[6:7], v[76:77] op_sel:[1,0,0] op_sel_hi:[0,1,0]
	s_delay_alu instid0(VALU_DEP_1) | instskip(SKIP_1) | instid1(VALU_DEP_2)
	v_mov_b32_e32 v75, v71
	v_pk_mul_f32 v[70:71], v[72:73], v[62:63] op_sel:[0,1]
	v_pk_add_f32 v[52:53], v[52:53], v[74:75] neg_lo:[0,1] neg_hi:[0,1]
	s_delay_alu instid0(VALU_DEP_2) | instskip(SKIP_1) | instid1(VALU_DEP_1)
	v_pk_fma_f32 v[74:75], v[72:73], v[60:61], v[70:71] op_sel:[0,0,1] op_sel_hi:[1,1,0] neg_lo:[0,0,1] neg_hi:[0,0,1]
	v_pk_fma_f32 v[70:71], v[72:73], v[60:61], v[70:71] op_sel:[0,0,1] op_sel_hi:[1,0,0]
	v_mov_b32_e32 v75, v71
	ds_load_2addr_b64 v[70:73], v64 offset0:18 offset1:19
	v_pk_add_f32 v[50:51], v[50:51], v[74:75] neg_lo:[0,1] neg_hi:[0,1]
	s_wait_dscnt 0x0
	v_pk_mul_f32 v[74:75], v[70:71], v[62:63] op_sel:[0,1]
	s_delay_alu instid0(VALU_DEP_1) | instskip(SKIP_1) | instid1(VALU_DEP_1)
	v_pk_fma_f32 v[76:77], v[70:71], v[60:61], v[74:75] op_sel:[0,0,1] op_sel_hi:[1,1,0] neg_lo:[0,0,1] neg_hi:[0,0,1]
	v_pk_fma_f32 v[70:71], v[70:71], v[60:61], v[74:75] op_sel:[0,0,1] op_sel_hi:[1,0,0]
	v_mov_b32_e32 v77, v71
	v_pk_mul_f32 v[70:71], v[72:73], v[62:63] op_sel:[0,1]
	s_delay_alu instid0(VALU_DEP_2) | instskip(NEXT) | instid1(VALU_DEP_2)
	v_pk_add_f32 v[26:27], v[26:27], v[76:77] neg_lo:[0,1] neg_hi:[0,1]
	v_pk_fma_f32 v[74:75], v[72:73], v[60:61], v[70:71] op_sel:[0,0,1] op_sel_hi:[1,1,0] neg_lo:[0,0,1] neg_hi:[0,0,1]
	v_pk_fma_f32 v[70:71], v[72:73], v[60:61], v[70:71] op_sel:[0,0,1] op_sel_hi:[1,0,0]
	s_delay_alu instid0(VALU_DEP_1) | instskip(SKIP_4) | instid1(VALU_DEP_1)
	v_mov_b32_e32 v75, v71
	ds_load_2addr_b64 v[70:73], v64 offset0:20 offset1:21
	v_pk_add_f32 v[22:23], v[22:23], v[74:75] neg_lo:[0,1] neg_hi:[0,1]
	s_wait_dscnt 0x0
	v_pk_mul_f32 v[74:75], v[70:71], v[62:63] op_sel:[0,1]
	v_pk_fma_f32 v[76:77], v[70:71], v[60:61], v[74:75] op_sel:[0,0,1] op_sel_hi:[1,1,0] neg_lo:[0,0,1] neg_hi:[0,0,1]
	v_pk_fma_f32 v[70:71], v[70:71], v[60:61], v[74:75] op_sel:[0,0,1] op_sel_hi:[1,0,0]
	v_dual_mul_f32 v74, v73, v63 :: v_dual_mov_b32 v70, v73
	s_delay_alu instid0(VALU_DEP_2) | instskip(NEXT) | instid1(VALU_DEP_2)
	v_dual_mov_b32 v77, v71 :: v_dual_mov_b32 v71, v72
	v_pk_fma_f32 v[74:75], v[72:73], v[6:7], v[74:75] op_sel_hi:[1,1,0] neg_lo:[0,0,1] neg_hi:[0,0,1]
	v_mul_f32_e32 v72, v73, v60
	s_delay_alu instid0(VALU_DEP_3) | instskip(NEXT) | instid1(VALU_DEP_2)
	v_pk_add_f32 v[44:45], v[44:45], v[76:77] neg_lo:[0,1] neg_hi:[0,1]
	v_pk_fma_f32 v[70:71], v[70:71], v[6:7], v[72:73] op_sel_hi:[1,1,0]
	s_delay_alu instid0(VALU_DEP_1) | instskip(SKIP_4) | instid1(VALU_DEP_1)
	v_mov_b32_e32 v75, v71
	ds_load_2addr_b64 v[70:73], v64 offset0:22 offset1:23
	v_pk_add_f32 v[42:43], v[42:43], v[74:75] neg_lo:[0,1] neg_hi:[0,1]
	s_wait_dscnt 0x0
	v_pk_mul_f32 v[74:75], v[70:71], v[62:63] op_sel:[0,1]
	v_pk_fma_f32 v[76:77], v[70:71], v[60:61], v[74:75] op_sel:[0,0,1] op_sel_hi:[1,1,0] neg_lo:[0,0,1] neg_hi:[0,0,1]
	v_pk_fma_f32 v[70:71], v[70:71], v[60:61], v[74:75] op_sel:[0,0,1] op_sel_hi:[1,0,0]
	s_delay_alu instid0(VALU_DEP_1) | instskip(SKIP_1) | instid1(VALU_DEP_1)
	v_mov_b32_e32 v77, v71
	v_pk_mul_f32 v[70:71], v[72:73], v[62:63] op_sel:[0,1]
	v_pk_fma_f32 v[74:75], v[72:73], v[60:61], v[70:71] op_sel:[0,0,1] op_sel_hi:[1,1,0] neg_lo:[0,0,1] neg_hi:[0,0,1]
	v_pk_fma_f32 v[70:71], v[72:73], v[60:61], v[70:71] op_sel:[0,0,1] op_sel_hi:[1,0,0]
	s_delay_alu instid0(VALU_DEP_1)
	v_mov_b32_e32 v75, v71
	ds_load_2addr_b64 v[70:73], v64 offset0:24 offset1:25
	v_pk_add_f32 v[32:33], v[32:33], v[76:77] neg_lo:[0,1] neg_hi:[0,1]
	v_pk_add_f32 v[30:31], v[30:31], v[74:75] neg_lo:[0,1] neg_hi:[0,1]
	s_wait_dscnt 0x0
	v_pk_mul_f32 v[74:75], v[70:71], v[62:63] op_sel:[0,1]
	s_delay_alu instid0(VALU_DEP_1) | instskip(SKIP_1) | instid1(VALU_DEP_1)
	v_pk_fma_f32 v[76:77], v[70:71], v[60:61], v[74:75] op_sel:[0,0,1] op_sel_hi:[1,1,0] neg_lo:[0,0,1] neg_hi:[0,0,1]
	v_pk_fma_f32 v[70:71], v[70:71], v[60:61], v[74:75] op_sel:[0,0,1] op_sel_hi:[1,0,0]
	v_mov_b32_e32 v77, v71
	v_pk_mul_f32 v[70:71], v[72:73], v[62:63] op_sel:[0,1]
	s_delay_alu instid0(VALU_DEP_1) | instskip(SKIP_1) | instid1(VALU_DEP_1)
	v_pk_fma_f32 v[74:75], v[72:73], v[60:61], v[70:71] op_sel:[0,0,1] op_sel_hi:[1,1,0] neg_lo:[0,0,1] neg_hi:[0,0,1]
	v_pk_fma_f32 v[70:71], v[72:73], v[60:61], v[70:71] op_sel:[0,0,1] op_sel_hi:[1,0,0]
	v_mov_b32_e32 v75, v71
	ds_load_b64 v[70:71], v64 offset:208
	v_pk_add_f32 v[36:37], v[36:37], v[76:77] neg_lo:[0,1] neg_hi:[0,1]
	v_pk_add_f32 v[34:35], v[34:35], v[74:75] neg_lo:[0,1] neg_hi:[0,1]
	s_wait_dscnt 0x0
	v_pk_mul_f32 v[62:63], v[70:71], v[62:63] op_sel:[0,1]
	s_delay_alu instid0(VALU_DEP_1) | instskip(SKIP_1) | instid1(VALU_DEP_1)
	v_pk_fma_f32 v[72:73], v[70:71], v[60:61], v[62:63] op_sel:[0,0,1] op_sel_hi:[1,1,0] neg_lo:[0,0,1] neg_hi:[0,0,1]
	v_pk_fma_f32 v[60:61], v[70:71], v[60:61], v[62:63] op_sel:[0,0,1] op_sel_hi:[1,0,0]
	v_mov_b32_e32 v73, v61
	s_delay_alu instid0(VALU_DEP_1)
	v_pk_add_f32 v[58:59], v[58:59], v[72:73] neg_lo:[0,1] neg_hi:[0,1]
.LBB52_167:
	s_or_b32 exec_lo, exec_lo, s0
	v_lshl_add_u32 v60, v68, 3, v64
	s_barrier_signal -1
	s_barrier_wait -1
	ds_store_b64 v60, v[28:29]
	s_wait_dscnt 0x0
	s_barrier_signal -1
	s_barrier_wait -1
	ds_load_b64 v[62:63], v64 offset:64
	v_mov_b32_e32 v60, 8
	s_cmp_lt_i32 s14, 10
	s_cbranch_scc1 .LBB52_170
; %bb.168:
	v_add3_u32 v61, v65, 0, 0x48
	v_mov_b32_e32 v60, 8
	s_mov_b32 s0, 9
.LBB52_169:                             ; =>This Inner Loop Header: Depth=1
	ds_load_b64 v[70:71], v61
	s_wait_dscnt 0x1
	v_cmp_gt_f32_e32 vcc_lo, 0, v62
	v_cndmask_b32_e64 v72, v62, -v62, vcc_lo
	v_cmp_gt_f32_e32 vcc_lo, 0, v63
	v_cndmask_b32_e64 v74, v63, -v63, vcc_lo
	s_wait_dscnt 0x0
	v_cmp_gt_f32_e32 vcc_lo, 0, v70
	v_cndmask_b32_e64 v73, v70, -v70, vcc_lo
	v_cmp_gt_f32_e32 vcc_lo, 0, v71
	v_cndmask_b32_e64 v75, v71, -v71, vcc_lo
	s_delay_alu instid0(VALU_DEP_1) | instskip(NEXT) | instid1(VALU_DEP_1)
	v_pk_add_f32 v[72:73], v[72:73], v[74:75]
	v_cmp_lt_f32_e32 vcc_lo, v72, v73
	v_dual_add_nc_u32 v61, 8, v61 :: v_dual_cndmask_b32 v63, v63, v71, vcc_lo
	v_cndmask_b32_e32 v62, v62, v70, vcc_lo
	v_cndmask_b32_e64 v60, v60, s0, vcc_lo
	s_add_co_i32 s0, s0, 1
	s_delay_alu instid0(SALU_CYCLE_1)
	s_cmp_lg_u32 s14, s0
	s_cbranch_scc1 .LBB52_169
.LBB52_170:
	s_wait_dscnt 0x0
	v_cmp_eq_f32_e32 vcc_lo, 0, v62
	v_cmp_eq_f32_e64 s0, 0, v63
	s_and_b32 s0, vcc_lo, s0
	s_delay_alu instid0(SALU_CYCLE_1) | instskip(NEXT) | instid1(SALU_CYCLE_1)
	s_and_saveexec_b32 s1, s0
	s_xor_b32 s0, exec_lo, s1
; %bb.171:
	v_cmp_ne_u32_e32 vcc_lo, 0, v66
	v_cndmask_b32_e32 v66, 9, v66, vcc_lo
; %bb.172:
	s_and_not1_saveexec_b32 s0, s0
	s_cbranch_execz .LBB52_178
; %bb.173:
	v_cmp_ngt_f32_e64 s1, |v62|, |v63|
	s_and_saveexec_b32 s15, s1
	s_delay_alu instid0(SALU_CYCLE_1)
	s_xor_b32 s1, exec_lo, s15
	s_cbranch_execz .LBB52_175
; %bb.174:
	v_div_scale_f32 v61, null, v63, v63, v62
	v_div_scale_f32 v71, vcc_lo, v62, v63, v62
	s_delay_alu instid0(VALU_DEP_2) | instskip(SKIP_1) | instid1(TRANS32_DEP_1)
	v_rcp_f32_e32 v69, v61
	v_nop
	v_fma_f32 v70, -v61, v69, 1.0
	s_delay_alu instid0(VALU_DEP_1) | instskip(NEXT) | instid1(VALU_DEP_1)
	v_fmac_f32_e32 v69, v70, v69
	v_mul_f32_e32 v70, v71, v69
	s_delay_alu instid0(VALU_DEP_1) | instskip(NEXT) | instid1(VALU_DEP_1)
	v_fma_f32 v72, -v61, v70, v71
	v_fmac_f32_e32 v70, v72, v69
	s_delay_alu instid0(VALU_DEP_1) | instskip(NEXT) | instid1(VALU_DEP_1)
	v_fma_f32 v61, -v61, v70, v71
	v_div_fmas_f32 v61, v61, v69, v70
	s_delay_alu instid0(VALU_DEP_1) | instskip(NEXT) | instid1(VALU_DEP_1)
	v_div_fixup_f32 v61, v61, v63, v62
	v_fmac_f32_e32 v63, v62, v61
	s_delay_alu instid0(VALU_DEP_1) | instskip(SKIP_1) | instid1(VALU_DEP_2)
	v_div_scale_f32 v62, null, v63, v63, 1.0
	v_div_scale_f32 v71, vcc_lo, 1.0, v63, 1.0
	v_rcp_f32_e32 v69, v62
	v_nop
	s_delay_alu instid0(TRANS32_DEP_1) | instskip(NEXT) | instid1(VALU_DEP_1)
	v_fma_f32 v70, -v62, v69, 1.0
	v_fmac_f32_e32 v69, v70, v69
	s_delay_alu instid0(VALU_DEP_1) | instskip(NEXT) | instid1(VALU_DEP_1)
	v_mul_f32_e32 v70, v71, v69
	v_fma_f32 v72, -v62, v70, v71
	s_delay_alu instid0(VALU_DEP_1) | instskip(NEXT) | instid1(VALU_DEP_1)
	v_fmac_f32_e32 v70, v72, v69
	v_fma_f32 v62, -v62, v70, v71
	s_delay_alu instid0(VALU_DEP_1) | instskip(NEXT) | instid1(VALU_DEP_1)
	v_div_fmas_f32 v62, v62, v69, v70
	v_div_fixup_f32 v63, v62, v63, 1.0
	s_delay_alu instid0(VALU_DEP_1)
	v_mul_f32_e32 v62, v61, v63
	v_xor_b32_e32 v63, 0x80000000, v63
.LBB52_175:
	s_and_not1_saveexec_b32 s1, s1
	s_cbranch_execz .LBB52_177
; %bb.176:
	s_delay_alu instid0(VALU_DEP_1) | instskip(SKIP_1) | instid1(VALU_DEP_2)
	v_div_scale_f32 v61, null, v62, v62, v63
	v_div_scale_f32 v71, vcc_lo, v63, v62, v63
	v_rcp_f32_e32 v69, v61
	v_nop
	s_delay_alu instid0(TRANS32_DEP_1) | instskip(NEXT) | instid1(VALU_DEP_1)
	v_fma_f32 v70, -v61, v69, 1.0
	v_fmac_f32_e32 v69, v70, v69
	s_delay_alu instid0(VALU_DEP_1) | instskip(NEXT) | instid1(VALU_DEP_1)
	v_mul_f32_e32 v70, v71, v69
	v_fma_f32 v72, -v61, v70, v71
	s_delay_alu instid0(VALU_DEP_1) | instskip(NEXT) | instid1(VALU_DEP_1)
	v_fmac_f32_e32 v70, v72, v69
	v_fma_f32 v61, -v61, v70, v71
	s_delay_alu instid0(VALU_DEP_1) | instskip(NEXT) | instid1(VALU_DEP_1)
	v_div_fmas_f32 v61, v61, v69, v70
	v_div_fixup_f32 v61, v61, v62, v63
	s_delay_alu instid0(VALU_DEP_1) | instskip(NEXT) | instid1(VALU_DEP_1)
	v_fmac_f32_e32 v62, v63, v61
	v_div_scale_f32 v63, null, v62, v62, 1.0
	s_delay_alu instid0(VALU_DEP_1) | instskip(SKIP_1) | instid1(TRANS32_DEP_1)
	v_rcp_f32_e32 v69, v63
	v_nop
	v_fma_f32 v70, -v63, v69, 1.0
	s_delay_alu instid0(VALU_DEP_1) | instskip(SKIP_1) | instid1(VALU_DEP_1)
	v_fmac_f32_e32 v69, v70, v69
	v_div_scale_f32 v70, vcc_lo, 1.0, v62, 1.0
	v_mul_f32_e32 v71, v70, v69
	s_delay_alu instid0(VALU_DEP_1) | instskip(NEXT) | instid1(VALU_DEP_1)
	v_fma_f32 v72, -v63, v71, v70
	v_fmac_f32_e32 v71, v72, v69
	s_delay_alu instid0(VALU_DEP_1) | instskip(NEXT) | instid1(VALU_DEP_1)
	v_fma_f32 v63, -v63, v71, v70
	v_div_fmas_f32 v63, v63, v69, v71
	s_delay_alu instid0(VALU_DEP_1) | instskip(NEXT) | instid1(VALU_DEP_1)
	v_div_fixup_f32 v62, v63, v62, 1.0
	v_mul_f32_e64 v63, v61, -v62
.LBB52_177:
	s_or_b32 exec_lo, exec_lo, s1
.LBB52_178:
	s_delay_alu instid0(SALU_CYCLE_1) | instskip(NEXT) | instid1(SALU_CYCLE_1)
	s_or_b32 exec_lo, exec_lo, s0
	s_mov_b32 s0, exec_lo
	v_cmpx_ne_u32_e64 v68, v60
	s_xor_b32 s0, exec_lo, s0
	s_cbranch_execz .LBB52_184
; %bb.179:
	s_mov_b32 s1, exec_lo
	v_cmpx_eq_u32_e32 8, v68
	s_cbranch_execz .LBB52_183
; %bb.180:
	v_cmp_ne_u32_e32 vcc_lo, 8, v60
	s_xor_b32 s15, s2, -1
	s_delay_alu instid0(SALU_CYCLE_1) | instskip(NEXT) | instid1(SALU_CYCLE_1)
	s_and_b32 s16, s15, vcc_lo
	s_and_saveexec_b32 s15, s16
	s_cbranch_execz .LBB52_182
; %bb.181:
	v_ashrrev_i32_e32 v61, 31, v60
	s_delay_alu instid0(VALU_DEP_1)
	v_lshl_add_u64 v[68:69], v[60:61], 2, v[4:5]
	s_clause 0x1
	global_load_b32 v61, v[68:69], off
	global_load_b32 v67, v[4:5], off offset:32
	s_wait_loadcnt 0x1
	global_store_b32 v[4:5], v61, off offset:32
	s_wait_loadcnt 0x0
	global_store_b32 v[68:69], v67, off
.LBB52_182:
	s_wait_xcnt 0x0
	s_or_b32 exec_lo, exec_lo, s15
	v_dual_mov_b32 v68, v60 :: v_dual_mov_b32 v67, v60
.LBB52_183:
	s_or_b32 exec_lo, exec_lo, s1
.LBB52_184:
	s_and_not1_saveexec_b32 s0, s0
	s_cbranch_execz .LBB52_186
; %bb.185:
	v_mov_b32_e32 v68, 8
	ds_store_2addr_b64 v64, v[24:25], v[12:13] offset0:9 offset1:10
	ds_store_2addr_b64 v64, v[10:11], v[48:49] offset0:11 offset1:12
	;; [unrolled: 1-line block ×9, first 2 shown]
.LBB52_186:
	s_or_b32 exec_lo, exec_lo, s0
	s_delay_alu instid0(SALU_CYCLE_1)
	s_mov_b32 s0, exec_lo
	s_wait_storecnt_dscnt 0x0
	s_barrier_signal -1
	s_barrier_wait -1
	v_cmpx_lt_i32_e32 8, v68
	s_cbranch_execz .LBB52_188
; %bb.187:
	v_pk_mul_f32 v[70:71], v[62:63], v[28:29] op_sel:[1,1] op_sel_hi:[0,1]
	s_delay_alu instid0(VALU_DEP_1)
	v_pk_fma_f32 v[60:61], v[62:63], v[28:29], v[70:71] op_sel_hi:[1,0,1] neg_lo:[0,0,1] neg_hi:[0,0,1]
	v_pk_fma_f32 v[62:63], v[62:63], v[28:29], v[70:71] op_sel_hi:[1,0,1]
	ds_load_2addr_b64 v[70:73], v64 offset0:9 offset1:10
	v_dual_mov_b32 v28, v60 :: v_dual_mov_b32 v29, v63
	s_wait_dscnt 0x0
	v_pk_mul_f32 v[74:75], v[70:71], v[62:63] op_sel:[0,1]
	s_delay_alu instid0(VALU_DEP_1) | instskip(SKIP_1) | instid1(VALU_DEP_1)
	v_pk_fma_f32 v[76:77], v[70:71], v[60:61], v[74:75] op_sel:[0,0,1] op_sel_hi:[1,1,0] neg_lo:[0,0,1] neg_hi:[0,0,1]
	v_pk_fma_f32 v[70:71], v[70:71], v[60:61], v[74:75] op_sel:[0,0,1] op_sel_hi:[1,0,0]
	v_mov_b32_e32 v77, v71
	v_pk_mul_f32 v[70:71], v[72:73], v[62:63] op_sel:[0,1]
	s_delay_alu instid0(VALU_DEP_1) | instskip(SKIP_1) | instid1(VALU_DEP_1)
	v_pk_fma_f32 v[74:75], v[72:73], v[60:61], v[70:71] op_sel:[0,0,1] op_sel_hi:[1,1,0] neg_lo:[0,0,1] neg_hi:[0,0,1]
	v_pk_fma_f32 v[70:71], v[72:73], v[60:61], v[70:71] op_sel:[0,0,1] op_sel_hi:[1,0,0]
	v_mov_b32_e32 v75, v71
	ds_load_2addr_b64 v[70:73], v64 offset0:11 offset1:12
	v_pk_add_f32 v[24:25], v[24:25], v[76:77] neg_lo:[0,1] neg_hi:[0,1]
	v_pk_add_f32 v[12:13], v[12:13], v[74:75] neg_lo:[0,1] neg_hi:[0,1]
	s_wait_dscnt 0x0
	v_pk_mul_f32 v[74:75], v[70:71], v[62:63] op_sel:[0,1]
	s_delay_alu instid0(VALU_DEP_1) | instskip(SKIP_2) | instid1(VALU_DEP_2)
	v_pk_fma_f32 v[76:77], v[70:71], v[60:61], v[74:75] op_sel:[0,0,1] op_sel_hi:[1,1,0] neg_lo:[0,0,1] neg_hi:[0,0,1]
	v_pk_fma_f32 v[70:71], v[70:71], v[60:61], v[74:75] op_sel:[0,0,1] op_sel_hi:[1,0,0]
	v_dual_mul_f32 v74, v73, v63 :: v_dual_mov_b32 v70, v73
	v_dual_mov_b32 v77, v71 :: v_dual_mov_b32 v71, v72
	s_delay_alu instid0(VALU_DEP_2) | instskip(SKIP_1) | instid1(VALU_DEP_3)
	v_pk_fma_f32 v[74:75], v[72:73], v[28:29], v[74:75] op_sel_hi:[1,1,0] neg_lo:[0,0,1] neg_hi:[0,0,1]
	v_mul_f32_e32 v72, v73, v60
	v_pk_add_f32 v[10:11], v[10:11], v[76:77] neg_lo:[0,1] neg_hi:[0,1]
	s_delay_alu instid0(VALU_DEP_2) | instskip(NEXT) | instid1(VALU_DEP_1)
	v_pk_fma_f32 v[70:71], v[70:71], v[28:29], v[72:73] op_sel_hi:[1,1,0]
	v_mov_b32_e32 v75, v71
	ds_load_2addr_b64 v[70:73], v64 offset0:13 offset1:14
	v_pk_add_f32 v[48:49], v[48:49], v[74:75] neg_lo:[0,1] neg_hi:[0,1]
	s_wait_dscnt 0x0
	v_pk_mul_f32 v[74:75], v[70:71], v[62:63] op_sel:[0,1]
	s_delay_alu instid0(VALU_DEP_1) | instskip(SKIP_1) | instid1(VALU_DEP_1)
	v_pk_fma_f32 v[76:77], v[70:71], v[60:61], v[74:75] op_sel:[0,0,1] op_sel_hi:[1,1,0] neg_lo:[0,0,1] neg_hi:[0,0,1]
	v_pk_fma_f32 v[70:71], v[70:71], v[60:61], v[74:75] op_sel:[0,0,1] op_sel_hi:[1,0,0]
	v_mov_b32_e32 v77, v71
	v_pk_mul_f32 v[70:71], v[72:73], v[62:63] op_sel:[0,1]
	s_delay_alu instid0(VALU_DEP_1) | instskip(SKIP_1) | instid1(VALU_DEP_1)
	v_pk_fma_f32 v[74:75], v[72:73], v[60:61], v[70:71] op_sel:[0,0,1] op_sel_hi:[1,1,0] neg_lo:[0,0,1] neg_hi:[0,0,1]
	v_pk_fma_f32 v[70:71], v[72:73], v[60:61], v[70:71] op_sel:[0,0,1] op_sel_hi:[1,0,0]
	v_mov_b32_e32 v75, v71
	ds_load_2addr_b64 v[70:73], v64 offset0:15 offset1:16
	v_pk_add_f32 v[46:47], v[46:47], v[76:77] neg_lo:[0,1] neg_hi:[0,1]
	v_pk_add_f32 v[20:21], v[20:21], v[74:75] neg_lo:[0,1] neg_hi:[0,1]
	s_wait_dscnt 0x0
	v_pk_mul_f32 v[74:75], v[70:71], v[62:63] op_sel:[0,1]
	s_delay_alu instid0(VALU_DEP_1) | instskip(SKIP_1) | instid1(VALU_DEP_1)
	v_pk_fma_f32 v[76:77], v[70:71], v[60:61], v[74:75] op_sel:[0,0,1] op_sel_hi:[1,1,0] neg_lo:[0,0,1] neg_hi:[0,0,1]
	v_pk_fma_f32 v[70:71], v[70:71], v[60:61], v[74:75] op_sel:[0,0,1] op_sel_hi:[1,0,0]
	v_mov_b32_e32 v77, v71
	v_pk_mul_f32 v[70:71], v[72:73], v[62:63] op_sel:[0,1]
	s_delay_alu instid0(VALU_DEP_1) | instskip(SKIP_1) | instid1(VALU_DEP_1)
	v_pk_fma_f32 v[74:75], v[72:73], v[60:61], v[70:71] op_sel:[0,0,1] op_sel_hi:[1,1,0] neg_lo:[0,0,1] neg_hi:[0,0,1]
	v_pk_fma_f32 v[70:71], v[72:73], v[60:61], v[70:71] op_sel:[0,0,1] op_sel_hi:[1,0,0]
	v_mov_b32_e32 v75, v71
	ds_load_2addr_b64 v[70:73], v64 offset0:17 offset1:18
	v_pk_add_f32 v[18:19], v[18:19], v[76:77] neg_lo:[0,1] neg_hi:[0,1]
	v_pk_add_f32 v[52:53], v[52:53], v[74:75] neg_lo:[0,1] neg_hi:[0,1]
	s_wait_dscnt 0x0
	v_dual_mul_f32 v74, v71, v63 :: v_dual_mul_f32 v76, v71, v60
	s_delay_alu instid0(VALU_DEP_1) | instskip(NEXT) | instid1(VALU_DEP_2)
	v_pk_fma_f32 v[74:75], v[70:71], v[28:29], v[74:75] op_sel_hi:[1,1,0] neg_lo:[0,0,1] neg_hi:[0,0,1]
	v_pk_fma_f32 v[70:71], v[70:71], v[28:29], v[76:77] op_sel:[1,0,0] op_sel_hi:[0,1,0]
	s_delay_alu instid0(VALU_DEP_1) | instskip(SKIP_1) | instid1(VALU_DEP_2)
	v_mov_b32_e32 v75, v71
	v_pk_mul_f32 v[70:71], v[72:73], v[62:63] op_sel:[0,1]
	v_pk_add_f32 v[50:51], v[50:51], v[74:75] neg_lo:[0,1] neg_hi:[0,1]
	s_delay_alu instid0(VALU_DEP_2) | instskip(SKIP_1) | instid1(VALU_DEP_1)
	v_pk_fma_f32 v[74:75], v[72:73], v[60:61], v[70:71] op_sel:[0,0,1] op_sel_hi:[1,1,0] neg_lo:[0,0,1] neg_hi:[0,0,1]
	v_pk_fma_f32 v[70:71], v[72:73], v[60:61], v[70:71] op_sel:[0,0,1] op_sel_hi:[1,0,0]
	v_mov_b32_e32 v75, v71
	ds_load_2addr_b64 v[70:73], v64 offset0:19 offset1:20
	v_pk_add_f32 v[26:27], v[26:27], v[74:75] neg_lo:[0,1] neg_hi:[0,1]
	s_wait_dscnt 0x0
	v_pk_mul_f32 v[74:75], v[70:71], v[62:63] op_sel:[0,1]
	s_delay_alu instid0(VALU_DEP_1) | instskip(SKIP_1) | instid1(VALU_DEP_1)
	v_pk_fma_f32 v[76:77], v[70:71], v[60:61], v[74:75] op_sel:[0,0,1] op_sel_hi:[1,1,0] neg_lo:[0,0,1] neg_hi:[0,0,1]
	v_pk_fma_f32 v[70:71], v[70:71], v[60:61], v[74:75] op_sel:[0,0,1] op_sel_hi:[1,0,0]
	v_mov_b32_e32 v77, v71
	v_pk_mul_f32 v[70:71], v[72:73], v[62:63] op_sel:[0,1]
	s_delay_alu instid0(VALU_DEP_2) | instskip(NEXT) | instid1(VALU_DEP_2)
	v_pk_add_f32 v[22:23], v[22:23], v[76:77] neg_lo:[0,1] neg_hi:[0,1]
	v_pk_fma_f32 v[74:75], v[72:73], v[60:61], v[70:71] op_sel:[0,0,1] op_sel_hi:[1,1,0] neg_lo:[0,0,1] neg_hi:[0,0,1]
	v_pk_fma_f32 v[70:71], v[72:73], v[60:61], v[70:71] op_sel:[0,0,1] op_sel_hi:[1,0,0]
	s_delay_alu instid0(VALU_DEP_1) | instskip(SKIP_4) | instid1(VALU_DEP_1)
	v_mov_b32_e32 v75, v71
	ds_load_2addr_b64 v[70:73], v64 offset0:21 offset1:22
	v_pk_add_f32 v[44:45], v[44:45], v[74:75] neg_lo:[0,1] neg_hi:[0,1]
	s_wait_dscnt 0x0
	v_pk_mul_f32 v[74:75], v[70:71], v[62:63] op_sel:[0,1]
	v_pk_fma_f32 v[76:77], v[70:71], v[60:61], v[74:75] op_sel:[0,0,1] op_sel_hi:[1,1,0] neg_lo:[0,0,1] neg_hi:[0,0,1]
	v_pk_fma_f32 v[70:71], v[70:71], v[60:61], v[74:75] op_sel:[0,0,1] op_sel_hi:[1,0,0]
	v_dual_mul_f32 v74, v73, v63 :: v_dual_mov_b32 v70, v73
	s_delay_alu instid0(VALU_DEP_2) | instskip(NEXT) | instid1(VALU_DEP_2)
	v_dual_mov_b32 v77, v71 :: v_dual_mov_b32 v71, v72
	v_pk_fma_f32 v[74:75], v[72:73], v[28:29], v[74:75] op_sel_hi:[1,1,0] neg_lo:[0,0,1] neg_hi:[0,0,1]
	v_mul_f32_e32 v72, v73, v60
	s_delay_alu instid0(VALU_DEP_3) | instskip(NEXT) | instid1(VALU_DEP_2)
	v_pk_add_f32 v[42:43], v[42:43], v[76:77] neg_lo:[0,1] neg_hi:[0,1]
	v_pk_fma_f32 v[70:71], v[70:71], v[28:29], v[72:73] op_sel_hi:[1,1,0]
	s_delay_alu instid0(VALU_DEP_1) | instskip(SKIP_4) | instid1(VALU_DEP_1)
	v_mov_b32_e32 v75, v71
	ds_load_2addr_b64 v[70:73], v64 offset0:23 offset1:24
	v_pk_add_f32 v[32:33], v[32:33], v[74:75] neg_lo:[0,1] neg_hi:[0,1]
	s_wait_dscnt 0x0
	v_pk_mul_f32 v[74:75], v[70:71], v[62:63] op_sel:[0,1]
	v_pk_fma_f32 v[76:77], v[70:71], v[60:61], v[74:75] op_sel:[0,0,1] op_sel_hi:[1,1,0] neg_lo:[0,0,1] neg_hi:[0,0,1]
	v_pk_fma_f32 v[70:71], v[70:71], v[60:61], v[74:75] op_sel:[0,0,1] op_sel_hi:[1,0,0]
	s_delay_alu instid0(VALU_DEP_1) | instskip(SKIP_1) | instid1(VALU_DEP_1)
	v_mov_b32_e32 v77, v71
	v_pk_mul_f32 v[70:71], v[72:73], v[62:63] op_sel:[0,1]
	v_pk_fma_f32 v[74:75], v[72:73], v[60:61], v[70:71] op_sel:[0,0,1] op_sel_hi:[1,1,0] neg_lo:[0,0,1] neg_hi:[0,0,1]
	v_pk_fma_f32 v[70:71], v[72:73], v[60:61], v[70:71] op_sel:[0,0,1] op_sel_hi:[1,0,0]
	s_delay_alu instid0(VALU_DEP_1)
	v_mov_b32_e32 v75, v71
	ds_load_2addr_b64 v[70:73], v64 offset0:25 offset1:26
	v_pk_add_f32 v[30:31], v[30:31], v[76:77] neg_lo:[0,1] neg_hi:[0,1]
	v_pk_add_f32 v[36:37], v[36:37], v[74:75] neg_lo:[0,1] neg_hi:[0,1]
	s_wait_dscnt 0x0
	v_pk_mul_f32 v[74:75], v[70:71], v[62:63] op_sel:[0,1]
	v_mul_f32_e32 v62, v73, v63
	s_delay_alu instid0(VALU_DEP_2) | instskip(SKIP_2) | instid1(VALU_DEP_4)
	v_pk_fma_f32 v[76:77], v[70:71], v[60:61], v[74:75] op_sel:[0,0,1] op_sel_hi:[1,1,0] neg_lo:[0,0,1] neg_hi:[0,0,1]
	v_pk_fma_f32 v[70:71], v[70:71], v[60:61], v[74:75] op_sel:[0,0,1] op_sel_hi:[1,0,0]
	v_dual_mov_b32 v70, v73 :: v_dual_mul_f32 v60, v73, v60
	v_pk_fma_f32 v[62:63], v[72:73], v[28:29], v[62:63] op_sel_hi:[1,1,0] neg_lo:[0,0,1] neg_hi:[0,0,1]
	s_delay_alu instid0(VALU_DEP_3) | instskip(NEXT) | instid1(VALU_DEP_1)
	v_dual_mov_b32 v77, v71 :: v_dual_mov_b32 v71, v72
	v_pk_add_f32 v[34:35], v[34:35], v[76:77] neg_lo:[0,1] neg_hi:[0,1]
	s_delay_alu instid0(VALU_DEP_2) | instskip(NEXT) | instid1(VALU_DEP_1)
	v_pk_fma_f32 v[60:61], v[70:71], v[28:29], v[60:61] op_sel_hi:[1,1,0]
	v_mov_b32_e32 v63, v61
	s_delay_alu instid0(VALU_DEP_1)
	v_pk_add_f32 v[58:59], v[58:59], v[62:63] neg_lo:[0,1] neg_hi:[0,1]
.LBB52_188:
	s_or_b32 exec_lo, exec_lo, s0
	v_lshl_add_u32 v60, v68, 3, v64
	s_barrier_signal -1
	s_barrier_wait -1
	ds_store_b64 v60, v[24:25]
	s_wait_dscnt 0x0
	s_barrier_signal -1
	s_barrier_wait -1
	ds_load_b64 v[62:63], v64 offset:72
	v_mov_b32_e32 v60, 9
	s_cmp_lt_i32 s14, 11
	s_cbranch_scc1 .LBB52_191
; %bb.189:
	v_add3_u32 v61, v65, 0, 0x50
	v_mov_b32_e32 v60, 9
	s_mov_b32 s0, 10
.LBB52_190:                             ; =>This Inner Loop Header: Depth=1
	ds_load_b64 v[70:71], v61
	s_wait_dscnt 0x1
	v_cmp_gt_f32_e32 vcc_lo, 0, v62
	v_cndmask_b32_e64 v72, v62, -v62, vcc_lo
	v_cmp_gt_f32_e32 vcc_lo, 0, v63
	v_cndmask_b32_e64 v74, v63, -v63, vcc_lo
	s_wait_dscnt 0x0
	v_cmp_gt_f32_e32 vcc_lo, 0, v70
	v_cndmask_b32_e64 v73, v70, -v70, vcc_lo
	v_cmp_gt_f32_e32 vcc_lo, 0, v71
	v_cndmask_b32_e64 v75, v71, -v71, vcc_lo
	s_delay_alu instid0(VALU_DEP_1) | instskip(NEXT) | instid1(VALU_DEP_1)
	v_pk_add_f32 v[72:73], v[72:73], v[74:75]
	v_cmp_lt_f32_e32 vcc_lo, v72, v73
	v_dual_add_nc_u32 v61, 8, v61 :: v_dual_cndmask_b32 v63, v63, v71, vcc_lo
	v_cndmask_b32_e32 v62, v62, v70, vcc_lo
	v_cndmask_b32_e64 v60, v60, s0, vcc_lo
	s_add_co_i32 s0, s0, 1
	s_delay_alu instid0(SALU_CYCLE_1)
	s_cmp_lg_u32 s14, s0
	s_cbranch_scc1 .LBB52_190
.LBB52_191:
	s_wait_dscnt 0x0
	v_cmp_eq_f32_e32 vcc_lo, 0, v62
	v_cmp_eq_f32_e64 s0, 0, v63
	s_and_b32 s0, vcc_lo, s0
	s_delay_alu instid0(SALU_CYCLE_1) | instskip(NEXT) | instid1(SALU_CYCLE_1)
	s_and_saveexec_b32 s1, s0
	s_xor_b32 s0, exec_lo, s1
; %bb.192:
	v_cmp_ne_u32_e32 vcc_lo, 0, v66
	v_cndmask_b32_e32 v66, 10, v66, vcc_lo
; %bb.193:
	s_and_not1_saveexec_b32 s0, s0
	s_cbranch_execz .LBB52_199
; %bb.194:
	v_cmp_ngt_f32_e64 s1, |v62|, |v63|
	s_and_saveexec_b32 s15, s1
	s_delay_alu instid0(SALU_CYCLE_1)
	s_xor_b32 s1, exec_lo, s15
	s_cbranch_execz .LBB52_196
; %bb.195:
	v_div_scale_f32 v61, null, v63, v63, v62
	v_div_scale_f32 v71, vcc_lo, v62, v63, v62
	s_delay_alu instid0(VALU_DEP_2) | instskip(SKIP_1) | instid1(TRANS32_DEP_1)
	v_rcp_f32_e32 v69, v61
	v_nop
	v_fma_f32 v70, -v61, v69, 1.0
	s_delay_alu instid0(VALU_DEP_1) | instskip(NEXT) | instid1(VALU_DEP_1)
	v_fmac_f32_e32 v69, v70, v69
	v_mul_f32_e32 v70, v71, v69
	s_delay_alu instid0(VALU_DEP_1) | instskip(NEXT) | instid1(VALU_DEP_1)
	v_fma_f32 v72, -v61, v70, v71
	v_fmac_f32_e32 v70, v72, v69
	s_delay_alu instid0(VALU_DEP_1) | instskip(NEXT) | instid1(VALU_DEP_1)
	v_fma_f32 v61, -v61, v70, v71
	v_div_fmas_f32 v61, v61, v69, v70
	s_delay_alu instid0(VALU_DEP_1) | instskip(NEXT) | instid1(VALU_DEP_1)
	v_div_fixup_f32 v61, v61, v63, v62
	v_fmac_f32_e32 v63, v62, v61
	s_delay_alu instid0(VALU_DEP_1) | instskip(SKIP_1) | instid1(VALU_DEP_2)
	v_div_scale_f32 v62, null, v63, v63, 1.0
	v_div_scale_f32 v71, vcc_lo, 1.0, v63, 1.0
	v_rcp_f32_e32 v69, v62
	v_nop
	s_delay_alu instid0(TRANS32_DEP_1) | instskip(NEXT) | instid1(VALU_DEP_1)
	v_fma_f32 v70, -v62, v69, 1.0
	v_fmac_f32_e32 v69, v70, v69
	s_delay_alu instid0(VALU_DEP_1) | instskip(NEXT) | instid1(VALU_DEP_1)
	v_mul_f32_e32 v70, v71, v69
	v_fma_f32 v72, -v62, v70, v71
	s_delay_alu instid0(VALU_DEP_1) | instskip(NEXT) | instid1(VALU_DEP_1)
	v_fmac_f32_e32 v70, v72, v69
	v_fma_f32 v62, -v62, v70, v71
	s_delay_alu instid0(VALU_DEP_1) | instskip(NEXT) | instid1(VALU_DEP_1)
	v_div_fmas_f32 v62, v62, v69, v70
	v_div_fixup_f32 v63, v62, v63, 1.0
	s_delay_alu instid0(VALU_DEP_1)
	v_mul_f32_e32 v62, v61, v63
	v_xor_b32_e32 v63, 0x80000000, v63
.LBB52_196:
	s_and_not1_saveexec_b32 s1, s1
	s_cbranch_execz .LBB52_198
; %bb.197:
	s_delay_alu instid0(VALU_DEP_1) | instskip(SKIP_1) | instid1(VALU_DEP_2)
	v_div_scale_f32 v61, null, v62, v62, v63
	v_div_scale_f32 v71, vcc_lo, v63, v62, v63
	v_rcp_f32_e32 v69, v61
	v_nop
	s_delay_alu instid0(TRANS32_DEP_1) | instskip(NEXT) | instid1(VALU_DEP_1)
	v_fma_f32 v70, -v61, v69, 1.0
	v_fmac_f32_e32 v69, v70, v69
	s_delay_alu instid0(VALU_DEP_1) | instskip(NEXT) | instid1(VALU_DEP_1)
	v_mul_f32_e32 v70, v71, v69
	v_fma_f32 v72, -v61, v70, v71
	s_delay_alu instid0(VALU_DEP_1) | instskip(NEXT) | instid1(VALU_DEP_1)
	v_fmac_f32_e32 v70, v72, v69
	v_fma_f32 v61, -v61, v70, v71
	s_delay_alu instid0(VALU_DEP_1) | instskip(NEXT) | instid1(VALU_DEP_1)
	v_div_fmas_f32 v61, v61, v69, v70
	v_div_fixup_f32 v61, v61, v62, v63
	s_delay_alu instid0(VALU_DEP_1) | instskip(NEXT) | instid1(VALU_DEP_1)
	v_fmac_f32_e32 v62, v63, v61
	v_div_scale_f32 v63, null, v62, v62, 1.0
	s_delay_alu instid0(VALU_DEP_1) | instskip(SKIP_1) | instid1(TRANS32_DEP_1)
	v_rcp_f32_e32 v69, v63
	v_nop
	v_fma_f32 v70, -v63, v69, 1.0
	s_delay_alu instid0(VALU_DEP_1) | instskip(SKIP_1) | instid1(VALU_DEP_1)
	v_fmac_f32_e32 v69, v70, v69
	v_div_scale_f32 v70, vcc_lo, 1.0, v62, 1.0
	v_mul_f32_e32 v71, v70, v69
	s_delay_alu instid0(VALU_DEP_1) | instskip(NEXT) | instid1(VALU_DEP_1)
	v_fma_f32 v72, -v63, v71, v70
	v_fmac_f32_e32 v71, v72, v69
	s_delay_alu instid0(VALU_DEP_1) | instskip(NEXT) | instid1(VALU_DEP_1)
	v_fma_f32 v63, -v63, v71, v70
	v_div_fmas_f32 v63, v63, v69, v71
	s_delay_alu instid0(VALU_DEP_1) | instskip(NEXT) | instid1(VALU_DEP_1)
	v_div_fixup_f32 v62, v63, v62, 1.0
	v_mul_f32_e64 v63, v61, -v62
.LBB52_198:
	s_or_b32 exec_lo, exec_lo, s1
.LBB52_199:
	s_delay_alu instid0(SALU_CYCLE_1) | instskip(NEXT) | instid1(SALU_CYCLE_1)
	s_or_b32 exec_lo, exec_lo, s0
	s_mov_b32 s0, exec_lo
	v_cmpx_ne_u32_e64 v68, v60
	s_xor_b32 s0, exec_lo, s0
	s_cbranch_execz .LBB52_205
; %bb.200:
	s_mov_b32 s1, exec_lo
	v_cmpx_eq_u32_e32 9, v68
	s_cbranch_execz .LBB52_204
; %bb.201:
	v_cmp_ne_u32_e32 vcc_lo, 9, v60
	s_xor_b32 s15, s2, -1
	s_delay_alu instid0(SALU_CYCLE_1) | instskip(NEXT) | instid1(SALU_CYCLE_1)
	s_and_b32 s16, s15, vcc_lo
	s_and_saveexec_b32 s15, s16
	s_cbranch_execz .LBB52_203
; %bb.202:
	v_ashrrev_i32_e32 v61, 31, v60
	s_delay_alu instid0(VALU_DEP_1)
	v_lshl_add_u64 v[68:69], v[60:61], 2, v[4:5]
	s_clause 0x1
	global_load_b32 v61, v[68:69], off
	global_load_b32 v67, v[4:5], off offset:36
	s_wait_loadcnt 0x1
	global_store_b32 v[4:5], v61, off offset:36
	s_wait_loadcnt 0x0
	global_store_b32 v[68:69], v67, off
.LBB52_203:
	s_wait_xcnt 0x0
	s_or_b32 exec_lo, exec_lo, s15
	v_dual_mov_b32 v68, v60 :: v_dual_mov_b32 v67, v60
.LBB52_204:
	s_or_b32 exec_lo, exec_lo, s1
.LBB52_205:
	s_and_not1_saveexec_b32 s0, s0
	s_cbranch_execz .LBB52_207
; %bb.206:
	v_dual_mov_b32 v60, v12 :: v_dual_mov_b32 v61, v13
	v_dual_mov_b32 v68, v10 :: v_dual_mov_b32 v69, v11
	ds_store_2addr_b64 v64, v[60:61], v[68:69] offset0:10 offset1:11
	v_dual_mov_b32 v60, v48 :: v_dual_mov_b32 v61, v49
	v_dual_mov_b32 v68, v46 :: v_dual_mov_b32 v69, v47
	ds_store_2addr_b64 v64, v[60:61], v[68:69] offset0:12 offset1:13
	;; [unrolled: 3-line block ×8, first 2 shown]
	ds_store_b64 v64, v[58:59] offset:208
	v_mov_b32_e32 v68, 9
.LBB52_207:
	s_or_b32 exec_lo, exec_lo, s0
	s_delay_alu instid0(SALU_CYCLE_1)
	s_mov_b32 s0, exec_lo
	s_wait_storecnt_dscnt 0x0
	s_barrier_signal -1
	s_barrier_wait -1
	v_cmpx_lt_i32_e32 9, v68
	s_cbranch_execz .LBB52_209
; %bb.208:
	v_pk_mul_f32 v[70:71], v[62:63], v[24:25] op_sel:[1,1] op_sel_hi:[0,1]
	s_delay_alu instid0(VALU_DEP_1)
	v_pk_fma_f32 v[60:61], v[62:63], v[24:25], v[70:71] op_sel_hi:[1,0,1] neg_lo:[0,0,1] neg_hi:[0,0,1]
	v_pk_fma_f32 v[62:63], v[62:63], v[24:25], v[70:71] op_sel_hi:[1,0,1]
	ds_load_2addr_b64 v[70:73], v64 offset0:10 offset1:11
	v_dual_mov_b32 v24, v60 :: v_dual_mov_b32 v25, v63
	s_wait_dscnt 0x0
	v_pk_mul_f32 v[74:75], v[70:71], v[62:63] op_sel:[0,1]
	s_delay_alu instid0(VALU_DEP_1) | instskip(SKIP_1) | instid1(VALU_DEP_1)
	v_pk_fma_f32 v[76:77], v[70:71], v[60:61], v[74:75] op_sel:[0,0,1] op_sel_hi:[1,1,0] neg_lo:[0,0,1] neg_hi:[0,0,1]
	v_pk_fma_f32 v[70:71], v[70:71], v[60:61], v[74:75] op_sel:[0,0,1] op_sel_hi:[1,0,0]
	v_mov_b32_e32 v77, v71
	v_pk_mul_f32 v[70:71], v[72:73], v[62:63] op_sel:[0,1]
	s_delay_alu instid0(VALU_DEP_1) | instskip(SKIP_1) | instid1(VALU_DEP_1)
	v_pk_fma_f32 v[74:75], v[72:73], v[60:61], v[70:71] op_sel:[0,0,1] op_sel_hi:[1,1,0] neg_lo:[0,0,1] neg_hi:[0,0,1]
	v_pk_fma_f32 v[70:71], v[72:73], v[60:61], v[70:71] op_sel:[0,0,1] op_sel_hi:[1,0,0]
	v_mov_b32_e32 v75, v71
	ds_load_2addr_b64 v[70:73], v64 offset0:12 offset1:13
	v_pk_add_f32 v[12:13], v[12:13], v[76:77] neg_lo:[0,1] neg_hi:[0,1]
	v_pk_add_f32 v[10:11], v[10:11], v[74:75] neg_lo:[0,1] neg_hi:[0,1]
	s_wait_dscnt 0x0
	v_pk_mul_f32 v[74:75], v[70:71], v[62:63] op_sel:[0,1]
	s_delay_alu instid0(VALU_DEP_1) | instskip(SKIP_2) | instid1(VALU_DEP_2)
	v_pk_fma_f32 v[76:77], v[70:71], v[60:61], v[74:75] op_sel:[0,0,1] op_sel_hi:[1,1,0] neg_lo:[0,0,1] neg_hi:[0,0,1]
	v_pk_fma_f32 v[70:71], v[70:71], v[60:61], v[74:75] op_sel:[0,0,1] op_sel_hi:[1,0,0]
	v_dual_mul_f32 v74, v73, v63 :: v_dual_mov_b32 v70, v73
	v_dual_mov_b32 v77, v71 :: v_dual_mov_b32 v71, v72
	s_delay_alu instid0(VALU_DEP_2) | instskip(SKIP_1) | instid1(VALU_DEP_3)
	v_pk_fma_f32 v[74:75], v[72:73], v[24:25], v[74:75] op_sel_hi:[1,1,0] neg_lo:[0,0,1] neg_hi:[0,0,1]
	v_mul_f32_e32 v72, v73, v60
	v_pk_add_f32 v[48:49], v[48:49], v[76:77] neg_lo:[0,1] neg_hi:[0,1]
	s_delay_alu instid0(VALU_DEP_2) | instskip(NEXT) | instid1(VALU_DEP_1)
	v_pk_fma_f32 v[70:71], v[70:71], v[24:25], v[72:73] op_sel_hi:[1,1,0]
	v_mov_b32_e32 v75, v71
	ds_load_2addr_b64 v[70:73], v64 offset0:14 offset1:15
	v_pk_add_f32 v[46:47], v[46:47], v[74:75] neg_lo:[0,1] neg_hi:[0,1]
	s_wait_dscnt 0x0
	v_pk_mul_f32 v[74:75], v[70:71], v[62:63] op_sel:[0,1]
	s_delay_alu instid0(VALU_DEP_1) | instskip(SKIP_1) | instid1(VALU_DEP_1)
	v_pk_fma_f32 v[76:77], v[70:71], v[60:61], v[74:75] op_sel:[0,0,1] op_sel_hi:[1,1,0] neg_lo:[0,0,1] neg_hi:[0,0,1]
	v_pk_fma_f32 v[70:71], v[70:71], v[60:61], v[74:75] op_sel:[0,0,1] op_sel_hi:[1,0,0]
	v_mov_b32_e32 v77, v71
	v_pk_mul_f32 v[70:71], v[72:73], v[62:63] op_sel:[0,1]
	s_delay_alu instid0(VALU_DEP_1) | instskip(SKIP_1) | instid1(VALU_DEP_1)
	v_pk_fma_f32 v[74:75], v[72:73], v[60:61], v[70:71] op_sel:[0,0,1] op_sel_hi:[1,1,0] neg_lo:[0,0,1] neg_hi:[0,0,1]
	v_pk_fma_f32 v[70:71], v[72:73], v[60:61], v[70:71] op_sel:[0,0,1] op_sel_hi:[1,0,0]
	v_mov_b32_e32 v75, v71
	ds_load_2addr_b64 v[70:73], v64 offset0:16 offset1:17
	v_pk_add_f32 v[20:21], v[20:21], v[76:77] neg_lo:[0,1] neg_hi:[0,1]
	v_pk_add_f32 v[18:19], v[18:19], v[74:75] neg_lo:[0,1] neg_hi:[0,1]
	s_wait_dscnt 0x0
	v_pk_mul_f32 v[74:75], v[70:71], v[62:63] op_sel:[0,1]
	s_delay_alu instid0(VALU_DEP_1) | instskip(SKIP_1) | instid1(VALU_DEP_1)
	v_pk_fma_f32 v[76:77], v[70:71], v[60:61], v[74:75] op_sel:[0,0,1] op_sel_hi:[1,1,0] neg_lo:[0,0,1] neg_hi:[0,0,1]
	v_pk_fma_f32 v[70:71], v[70:71], v[60:61], v[74:75] op_sel:[0,0,1] op_sel_hi:[1,0,0]
	v_mov_b32_e32 v77, v71
	v_pk_mul_f32 v[70:71], v[72:73], v[62:63] op_sel:[0,1]
	s_delay_alu instid0(VALU_DEP_1) | instskip(SKIP_1) | instid1(VALU_DEP_1)
	v_pk_fma_f32 v[74:75], v[72:73], v[60:61], v[70:71] op_sel:[0,0,1] op_sel_hi:[1,1,0] neg_lo:[0,0,1] neg_hi:[0,0,1]
	v_pk_fma_f32 v[70:71], v[72:73], v[60:61], v[70:71] op_sel:[0,0,1] op_sel_hi:[1,0,0]
	v_mov_b32_e32 v75, v71
	ds_load_2addr_b64 v[70:73], v64 offset0:18 offset1:19
	v_pk_add_f32 v[52:53], v[52:53], v[76:77] neg_lo:[0,1] neg_hi:[0,1]
	v_pk_add_f32 v[50:51], v[50:51], v[74:75] neg_lo:[0,1] neg_hi:[0,1]
	s_wait_dscnt 0x0
	v_dual_mul_f32 v74, v71, v63 :: v_dual_mul_f32 v76, v71, v60
	s_delay_alu instid0(VALU_DEP_1) | instskip(NEXT) | instid1(VALU_DEP_2)
	v_pk_fma_f32 v[74:75], v[70:71], v[24:25], v[74:75] op_sel_hi:[1,1,0] neg_lo:[0,0,1] neg_hi:[0,0,1]
	v_pk_fma_f32 v[70:71], v[70:71], v[24:25], v[76:77] op_sel:[1,0,0] op_sel_hi:[0,1,0]
	s_delay_alu instid0(VALU_DEP_1) | instskip(SKIP_1) | instid1(VALU_DEP_2)
	v_mov_b32_e32 v75, v71
	v_pk_mul_f32 v[70:71], v[72:73], v[62:63] op_sel:[0,1]
	v_pk_add_f32 v[26:27], v[26:27], v[74:75] neg_lo:[0,1] neg_hi:[0,1]
	s_delay_alu instid0(VALU_DEP_2) | instskip(SKIP_1) | instid1(VALU_DEP_1)
	v_pk_fma_f32 v[74:75], v[72:73], v[60:61], v[70:71] op_sel:[0,0,1] op_sel_hi:[1,1,0] neg_lo:[0,0,1] neg_hi:[0,0,1]
	v_pk_fma_f32 v[70:71], v[72:73], v[60:61], v[70:71] op_sel:[0,0,1] op_sel_hi:[1,0,0]
	v_mov_b32_e32 v75, v71
	ds_load_2addr_b64 v[70:73], v64 offset0:20 offset1:21
	v_pk_add_f32 v[22:23], v[22:23], v[74:75] neg_lo:[0,1] neg_hi:[0,1]
	s_wait_dscnt 0x0
	v_pk_mul_f32 v[74:75], v[70:71], v[62:63] op_sel:[0,1]
	s_delay_alu instid0(VALU_DEP_1) | instskip(SKIP_1) | instid1(VALU_DEP_1)
	v_pk_fma_f32 v[76:77], v[70:71], v[60:61], v[74:75] op_sel:[0,0,1] op_sel_hi:[1,1,0] neg_lo:[0,0,1] neg_hi:[0,0,1]
	v_pk_fma_f32 v[70:71], v[70:71], v[60:61], v[74:75] op_sel:[0,0,1] op_sel_hi:[1,0,0]
	v_mov_b32_e32 v77, v71
	v_pk_mul_f32 v[70:71], v[72:73], v[62:63] op_sel:[0,1]
	s_delay_alu instid0(VALU_DEP_2) | instskip(NEXT) | instid1(VALU_DEP_2)
	v_pk_add_f32 v[44:45], v[44:45], v[76:77] neg_lo:[0,1] neg_hi:[0,1]
	v_pk_fma_f32 v[74:75], v[72:73], v[60:61], v[70:71] op_sel:[0,0,1] op_sel_hi:[1,1,0] neg_lo:[0,0,1] neg_hi:[0,0,1]
	v_pk_fma_f32 v[70:71], v[72:73], v[60:61], v[70:71] op_sel:[0,0,1] op_sel_hi:[1,0,0]
	s_delay_alu instid0(VALU_DEP_1) | instskip(SKIP_4) | instid1(VALU_DEP_1)
	v_mov_b32_e32 v75, v71
	ds_load_2addr_b64 v[70:73], v64 offset0:22 offset1:23
	v_pk_add_f32 v[42:43], v[42:43], v[74:75] neg_lo:[0,1] neg_hi:[0,1]
	s_wait_dscnt 0x0
	v_pk_mul_f32 v[74:75], v[70:71], v[62:63] op_sel:[0,1]
	v_pk_fma_f32 v[76:77], v[70:71], v[60:61], v[74:75] op_sel:[0,0,1] op_sel_hi:[1,1,0] neg_lo:[0,0,1] neg_hi:[0,0,1]
	v_pk_fma_f32 v[70:71], v[70:71], v[60:61], v[74:75] op_sel:[0,0,1] op_sel_hi:[1,0,0]
	v_dual_mul_f32 v74, v73, v63 :: v_dual_mov_b32 v70, v73
	s_delay_alu instid0(VALU_DEP_2) | instskip(NEXT) | instid1(VALU_DEP_2)
	v_dual_mov_b32 v77, v71 :: v_dual_mov_b32 v71, v72
	v_pk_fma_f32 v[74:75], v[72:73], v[24:25], v[74:75] op_sel_hi:[1,1,0] neg_lo:[0,0,1] neg_hi:[0,0,1]
	v_mul_f32_e32 v72, v73, v60
	s_delay_alu instid0(VALU_DEP_3) | instskip(NEXT) | instid1(VALU_DEP_2)
	v_pk_add_f32 v[32:33], v[32:33], v[76:77] neg_lo:[0,1] neg_hi:[0,1]
	v_pk_fma_f32 v[70:71], v[70:71], v[24:25], v[72:73] op_sel_hi:[1,1,0]
	s_delay_alu instid0(VALU_DEP_1) | instskip(SKIP_4) | instid1(VALU_DEP_1)
	v_mov_b32_e32 v75, v71
	ds_load_2addr_b64 v[70:73], v64 offset0:24 offset1:25
	v_pk_add_f32 v[30:31], v[30:31], v[74:75] neg_lo:[0,1] neg_hi:[0,1]
	s_wait_dscnt 0x0
	v_pk_mul_f32 v[74:75], v[70:71], v[62:63] op_sel:[0,1]
	v_pk_fma_f32 v[76:77], v[70:71], v[60:61], v[74:75] op_sel:[0,0,1] op_sel_hi:[1,1,0] neg_lo:[0,0,1] neg_hi:[0,0,1]
	v_pk_fma_f32 v[70:71], v[70:71], v[60:61], v[74:75] op_sel:[0,0,1] op_sel_hi:[1,0,0]
	s_delay_alu instid0(VALU_DEP_1) | instskip(SKIP_1) | instid1(VALU_DEP_1)
	v_mov_b32_e32 v77, v71
	v_pk_mul_f32 v[70:71], v[72:73], v[62:63] op_sel:[0,1]
	v_pk_fma_f32 v[74:75], v[72:73], v[60:61], v[70:71] op_sel:[0,0,1] op_sel_hi:[1,1,0] neg_lo:[0,0,1] neg_hi:[0,0,1]
	v_pk_fma_f32 v[70:71], v[72:73], v[60:61], v[70:71] op_sel:[0,0,1] op_sel_hi:[1,0,0]
	s_delay_alu instid0(VALU_DEP_1)
	v_mov_b32_e32 v75, v71
	ds_load_b64 v[70:71], v64 offset:208
	v_pk_add_f32 v[36:37], v[36:37], v[76:77] neg_lo:[0,1] neg_hi:[0,1]
	v_pk_add_f32 v[34:35], v[34:35], v[74:75] neg_lo:[0,1] neg_hi:[0,1]
	s_wait_dscnt 0x0
	v_pk_mul_f32 v[62:63], v[70:71], v[62:63] op_sel:[0,1]
	s_delay_alu instid0(VALU_DEP_1) | instskip(SKIP_1) | instid1(VALU_DEP_1)
	v_pk_fma_f32 v[72:73], v[70:71], v[60:61], v[62:63] op_sel:[0,0,1] op_sel_hi:[1,1,0] neg_lo:[0,0,1] neg_hi:[0,0,1]
	v_pk_fma_f32 v[60:61], v[70:71], v[60:61], v[62:63] op_sel:[0,0,1] op_sel_hi:[1,0,0]
	v_mov_b32_e32 v73, v61
	s_delay_alu instid0(VALU_DEP_1)
	v_pk_add_f32 v[58:59], v[58:59], v[72:73] neg_lo:[0,1] neg_hi:[0,1]
.LBB52_209:
	s_or_b32 exec_lo, exec_lo, s0
	v_lshl_add_u32 v60, v68, 3, v64
	s_barrier_signal -1
	s_barrier_wait -1
	ds_store_b64 v60, v[12:13]
	s_wait_dscnt 0x0
	s_barrier_signal -1
	s_barrier_wait -1
	ds_load_b64 v[62:63], v64 offset:80
	v_mov_b32_e32 v60, 10
	s_cmp_lt_i32 s14, 12
	s_cbranch_scc1 .LBB52_212
; %bb.210:
	v_add3_u32 v61, v65, 0, 0x58
	v_mov_b32_e32 v60, 10
	s_mov_b32 s0, 11
.LBB52_211:                             ; =>This Inner Loop Header: Depth=1
	ds_load_b64 v[70:71], v61
	s_wait_dscnt 0x1
	v_cmp_gt_f32_e32 vcc_lo, 0, v62
	v_cndmask_b32_e64 v72, v62, -v62, vcc_lo
	v_cmp_gt_f32_e32 vcc_lo, 0, v63
	v_cndmask_b32_e64 v74, v63, -v63, vcc_lo
	s_wait_dscnt 0x0
	v_cmp_gt_f32_e32 vcc_lo, 0, v70
	v_cndmask_b32_e64 v73, v70, -v70, vcc_lo
	v_cmp_gt_f32_e32 vcc_lo, 0, v71
	v_cndmask_b32_e64 v75, v71, -v71, vcc_lo
	s_delay_alu instid0(VALU_DEP_1) | instskip(NEXT) | instid1(VALU_DEP_1)
	v_pk_add_f32 v[72:73], v[72:73], v[74:75]
	v_cmp_lt_f32_e32 vcc_lo, v72, v73
	v_dual_add_nc_u32 v61, 8, v61 :: v_dual_cndmask_b32 v63, v63, v71, vcc_lo
	v_cndmask_b32_e32 v62, v62, v70, vcc_lo
	v_cndmask_b32_e64 v60, v60, s0, vcc_lo
	s_add_co_i32 s0, s0, 1
	s_delay_alu instid0(SALU_CYCLE_1)
	s_cmp_lg_u32 s14, s0
	s_cbranch_scc1 .LBB52_211
.LBB52_212:
	s_wait_dscnt 0x0
	v_cmp_eq_f32_e32 vcc_lo, 0, v62
	v_cmp_eq_f32_e64 s0, 0, v63
	s_and_b32 s0, vcc_lo, s0
	s_delay_alu instid0(SALU_CYCLE_1) | instskip(NEXT) | instid1(SALU_CYCLE_1)
	s_and_saveexec_b32 s1, s0
	s_xor_b32 s0, exec_lo, s1
; %bb.213:
	v_cmp_ne_u32_e32 vcc_lo, 0, v66
	v_cndmask_b32_e32 v66, 11, v66, vcc_lo
; %bb.214:
	s_and_not1_saveexec_b32 s0, s0
	s_cbranch_execz .LBB52_220
; %bb.215:
	v_cmp_ngt_f32_e64 s1, |v62|, |v63|
	s_and_saveexec_b32 s15, s1
	s_delay_alu instid0(SALU_CYCLE_1)
	s_xor_b32 s1, exec_lo, s15
	s_cbranch_execz .LBB52_217
; %bb.216:
	v_div_scale_f32 v61, null, v63, v63, v62
	v_div_scale_f32 v71, vcc_lo, v62, v63, v62
	s_delay_alu instid0(VALU_DEP_2) | instskip(SKIP_1) | instid1(TRANS32_DEP_1)
	v_rcp_f32_e32 v69, v61
	v_nop
	v_fma_f32 v70, -v61, v69, 1.0
	s_delay_alu instid0(VALU_DEP_1) | instskip(NEXT) | instid1(VALU_DEP_1)
	v_fmac_f32_e32 v69, v70, v69
	v_mul_f32_e32 v70, v71, v69
	s_delay_alu instid0(VALU_DEP_1) | instskip(NEXT) | instid1(VALU_DEP_1)
	v_fma_f32 v72, -v61, v70, v71
	v_fmac_f32_e32 v70, v72, v69
	s_delay_alu instid0(VALU_DEP_1) | instskip(NEXT) | instid1(VALU_DEP_1)
	v_fma_f32 v61, -v61, v70, v71
	v_div_fmas_f32 v61, v61, v69, v70
	s_delay_alu instid0(VALU_DEP_1) | instskip(NEXT) | instid1(VALU_DEP_1)
	v_div_fixup_f32 v61, v61, v63, v62
	v_fmac_f32_e32 v63, v62, v61
	s_delay_alu instid0(VALU_DEP_1) | instskip(SKIP_1) | instid1(VALU_DEP_2)
	v_div_scale_f32 v62, null, v63, v63, 1.0
	v_div_scale_f32 v71, vcc_lo, 1.0, v63, 1.0
	v_rcp_f32_e32 v69, v62
	v_nop
	s_delay_alu instid0(TRANS32_DEP_1) | instskip(NEXT) | instid1(VALU_DEP_1)
	v_fma_f32 v70, -v62, v69, 1.0
	v_fmac_f32_e32 v69, v70, v69
	s_delay_alu instid0(VALU_DEP_1) | instskip(NEXT) | instid1(VALU_DEP_1)
	v_mul_f32_e32 v70, v71, v69
	v_fma_f32 v72, -v62, v70, v71
	s_delay_alu instid0(VALU_DEP_1) | instskip(NEXT) | instid1(VALU_DEP_1)
	v_fmac_f32_e32 v70, v72, v69
	v_fma_f32 v62, -v62, v70, v71
	s_delay_alu instid0(VALU_DEP_1) | instskip(NEXT) | instid1(VALU_DEP_1)
	v_div_fmas_f32 v62, v62, v69, v70
	v_div_fixup_f32 v63, v62, v63, 1.0
	s_delay_alu instid0(VALU_DEP_1)
	v_mul_f32_e32 v62, v61, v63
	v_xor_b32_e32 v63, 0x80000000, v63
.LBB52_217:
	s_and_not1_saveexec_b32 s1, s1
	s_cbranch_execz .LBB52_219
; %bb.218:
	s_delay_alu instid0(VALU_DEP_1) | instskip(SKIP_1) | instid1(VALU_DEP_2)
	v_div_scale_f32 v61, null, v62, v62, v63
	v_div_scale_f32 v71, vcc_lo, v63, v62, v63
	v_rcp_f32_e32 v69, v61
	v_nop
	s_delay_alu instid0(TRANS32_DEP_1) | instskip(NEXT) | instid1(VALU_DEP_1)
	v_fma_f32 v70, -v61, v69, 1.0
	v_fmac_f32_e32 v69, v70, v69
	s_delay_alu instid0(VALU_DEP_1) | instskip(NEXT) | instid1(VALU_DEP_1)
	v_mul_f32_e32 v70, v71, v69
	v_fma_f32 v72, -v61, v70, v71
	s_delay_alu instid0(VALU_DEP_1) | instskip(NEXT) | instid1(VALU_DEP_1)
	v_fmac_f32_e32 v70, v72, v69
	v_fma_f32 v61, -v61, v70, v71
	s_delay_alu instid0(VALU_DEP_1) | instskip(NEXT) | instid1(VALU_DEP_1)
	v_div_fmas_f32 v61, v61, v69, v70
	v_div_fixup_f32 v61, v61, v62, v63
	s_delay_alu instid0(VALU_DEP_1) | instskip(NEXT) | instid1(VALU_DEP_1)
	v_fmac_f32_e32 v62, v63, v61
	v_div_scale_f32 v63, null, v62, v62, 1.0
	s_delay_alu instid0(VALU_DEP_1) | instskip(SKIP_1) | instid1(TRANS32_DEP_1)
	v_rcp_f32_e32 v69, v63
	v_nop
	v_fma_f32 v70, -v63, v69, 1.0
	s_delay_alu instid0(VALU_DEP_1) | instskip(SKIP_1) | instid1(VALU_DEP_1)
	v_fmac_f32_e32 v69, v70, v69
	v_div_scale_f32 v70, vcc_lo, 1.0, v62, 1.0
	v_mul_f32_e32 v71, v70, v69
	s_delay_alu instid0(VALU_DEP_1) | instskip(NEXT) | instid1(VALU_DEP_1)
	v_fma_f32 v72, -v63, v71, v70
	v_fmac_f32_e32 v71, v72, v69
	s_delay_alu instid0(VALU_DEP_1) | instskip(NEXT) | instid1(VALU_DEP_1)
	v_fma_f32 v63, -v63, v71, v70
	v_div_fmas_f32 v63, v63, v69, v71
	s_delay_alu instid0(VALU_DEP_1) | instskip(NEXT) | instid1(VALU_DEP_1)
	v_div_fixup_f32 v62, v63, v62, 1.0
	v_mul_f32_e64 v63, v61, -v62
.LBB52_219:
	s_or_b32 exec_lo, exec_lo, s1
.LBB52_220:
	s_delay_alu instid0(SALU_CYCLE_1) | instskip(NEXT) | instid1(SALU_CYCLE_1)
	s_or_b32 exec_lo, exec_lo, s0
	s_mov_b32 s0, exec_lo
	v_cmpx_ne_u32_e64 v68, v60
	s_xor_b32 s0, exec_lo, s0
	s_cbranch_execz .LBB52_226
; %bb.221:
	s_mov_b32 s1, exec_lo
	v_cmpx_eq_u32_e32 10, v68
	s_cbranch_execz .LBB52_225
; %bb.222:
	v_cmp_ne_u32_e32 vcc_lo, 10, v60
	s_xor_b32 s15, s2, -1
	s_delay_alu instid0(SALU_CYCLE_1) | instskip(NEXT) | instid1(SALU_CYCLE_1)
	s_and_b32 s16, s15, vcc_lo
	s_and_saveexec_b32 s15, s16
	s_cbranch_execz .LBB52_224
; %bb.223:
	v_ashrrev_i32_e32 v61, 31, v60
	s_delay_alu instid0(VALU_DEP_1)
	v_lshl_add_u64 v[68:69], v[60:61], 2, v[4:5]
	s_clause 0x1
	global_load_b32 v61, v[68:69], off
	global_load_b32 v67, v[4:5], off offset:40
	s_wait_loadcnt 0x1
	global_store_b32 v[4:5], v61, off offset:40
	s_wait_loadcnt 0x0
	global_store_b32 v[68:69], v67, off
.LBB52_224:
	s_wait_xcnt 0x0
	s_or_b32 exec_lo, exec_lo, s15
	v_dual_mov_b32 v68, v60 :: v_dual_mov_b32 v67, v60
.LBB52_225:
	s_or_b32 exec_lo, exec_lo, s1
.LBB52_226:
	s_and_not1_saveexec_b32 s0, s0
	s_cbranch_execz .LBB52_228
; %bb.227:
	v_mov_b32_e32 v68, 10
	ds_store_2addr_b64 v64, v[10:11], v[48:49] offset0:11 offset1:12
	ds_store_2addr_b64 v64, v[46:47], v[20:21] offset0:13 offset1:14
	;; [unrolled: 1-line block ×8, first 2 shown]
.LBB52_228:
	s_or_b32 exec_lo, exec_lo, s0
	s_delay_alu instid0(SALU_CYCLE_1)
	s_mov_b32 s0, exec_lo
	s_wait_storecnt_dscnt 0x0
	s_barrier_signal -1
	s_barrier_wait -1
	v_cmpx_lt_i32_e32 10, v68
	s_cbranch_execz .LBB52_230
; %bb.229:
	v_pk_mul_f32 v[70:71], v[62:63], v[12:13] op_sel:[1,1] op_sel_hi:[0,1]
	s_delay_alu instid0(VALU_DEP_1)
	v_pk_fma_f32 v[60:61], v[62:63], v[12:13], v[70:71] op_sel_hi:[1,0,1] neg_lo:[0,0,1] neg_hi:[0,0,1]
	v_pk_fma_f32 v[62:63], v[62:63], v[12:13], v[70:71] op_sel_hi:[1,0,1]
	ds_load_2addr_b64 v[70:73], v64 offset0:11 offset1:12
	v_dual_mov_b32 v12, v60 :: v_dual_mov_b32 v13, v63
	s_wait_dscnt 0x0
	v_pk_mul_f32 v[74:75], v[70:71], v[62:63] op_sel:[0,1]
	s_delay_alu instid0(VALU_DEP_1) | instskip(SKIP_1) | instid1(VALU_DEP_1)
	v_pk_fma_f32 v[76:77], v[70:71], v[60:61], v[74:75] op_sel:[0,0,1] op_sel_hi:[1,1,0] neg_lo:[0,0,1] neg_hi:[0,0,1]
	v_pk_fma_f32 v[70:71], v[70:71], v[60:61], v[74:75] op_sel:[0,0,1] op_sel_hi:[1,0,0]
	v_mov_b32_e32 v77, v71
	v_pk_mul_f32 v[70:71], v[72:73], v[62:63] op_sel:[0,1]
	s_delay_alu instid0(VALU_DEP_1) | instskip(SKIP_1) | instid1(VALU_DEP_1)
	v_pk_fma_f32 v[74:75], v[72:73], v[60:61], v[70:71] op_sel:[0,0,1] op_sel_hi:[1,1,0] neg_lo:[0,0,1] neg_hi:[0,0,1]
	v_pk_fma_f32 v[70:71], v[72:73], v[60:61], v[70:71] op_sel:[0,0,1] op_sel_hi:[1,0,0]
	v_mov_b32_e32 v75, v71
	ds_load_2addr_b64 v[70:73], v64 offset0:13 offset1:14
	v_pk_add_f32 v[10:11], v[10:11], v[76:77] neg_lo:[0,1] neg_hi:[0,1]
	v_pk_add_f32 v[48:49], v[48:49], v[74:75] neg_lo:[0,1] neg_hi:[0,1]
	s_wait_dscnt 0x0
	v_pk_mul_f32 v[74:75], v[70:71], v[62:63] op_sel:[0,1]
	s_delay_alu instid0(VALU_DEP_1) | instskip(SKIP_2) | instid1(VALU_DEP_2)
	v_pk_fma_f32 v[76:77], v[70:71], v[60:61], v[74:75] op_sel:[0,0,1] op_sel_hi:[1,1,0] neg_lo:[0,0,1] neg_hi:[0,0,1]
	v_pk_fma_f32 v[70:71], v[70:71], v[60:61], v[74:75] op_sel:[0,0,1] op_sel_hi:[1,0,0]
	v_dual_mul_f32 v74, v73, v63 :: v_dual_mov_b32 v70, v73
	v_dual_mov_b32 v77, v71 :: v_dual_mov_b32 v71, v72
	s_delay_alu instid0(VALU_DEP_2) | instskip(SKIP_1) | instid1(VALU_DEP_3)
	v_pk_fma_f32 v[74:75], v[72:73], v[12:13], v[74:75] op_sel_hi:[1,1,0] neg_lo:[0,0,1] neg_hi:[0,0,1]
	v_mul_f32_e32 v72, v73, v60
	v_pk_add_f32 v[46:47], v[46:47], v[76:77] neg_lo:[0,1] neg_hi:[0,1]
	s_delay_alu instid0(VALU_DEP_2) | instskip(NEXT) | instid1(VALU_DEP_1)
	v_pk_fma_f32 v[70:71], v[70:71], v[12:13], v[72:73] op_sel_hi:[1,1,0]
	v_mov_b32_e32 v75, v71
	ds_load_2addr_b64 v[70:73], v64 offset0:15 offset1:16
	v_pk_add_f32 v[20:21], v[20:21], v[74:75] neg_lo:[0,1] neg_hi:[0,1]
	s_wait_dscnt 0x0
	v_pk_mul_f32 v[74:75], v[70:71], v[62:63] op_sel:[0,1]
	s_delay_alu instid0(VALU_DEP_1) | instskip(SKIP_1) | instid1(VALU_DEP_1)
	v_pk_fma_f32 v[76:77], v[70:71], v[60:61], v[74:75] op_sel:[0,0,1] op_sel_hi:[1,1,0] neg_lo:[0,0,1] neg_hi:[0,0,1]
	v_pk_fma_f32 v[70:71], v[70:71], v[60:61], v[74:75] op_sel:[0,0,1] op_sel_hi:[1,0,0]
	v_mov_b32_e32 v77, v71
	v_pk_mul_f32 v[70:71], v[72:73], v[62:63] op_sel:[0,1]
	s_delay_alu instid0(VALU_DEP_1) | instskip(SKIP_1) | instid1(VALU_DEP_1)
	v_pk_fma_f32 v[74:75], v[72:73], v[60:61], v[70:71] op_sel:[0,0,1] op_sel_hi:[1,1,0] neg_lo:[0,0,1] neg_hi:[0,0,1]
	v_pk_fma_f32 v[70:71], v[72:73], v[60:61], v[70:71] op_sel:[0,0,1] op_sel_hi:[1,0,0]
	v_mov_b32_e32 v75, v71
	ds_load_2addr_b64 v[70:73], v64 offset0:17 offset1:18
	v_pk_add_f32 v[18:19], v[18:19], v[76:77] neg_lo:[0,1] neg_hi:[0,1]
	v_pk_add_f32 v[52:53], v[52:53], v[74:75] neg_lo:[0,1] neg_hi:[0,1]
	s_wait_dscnt 0x0
	v_pk_mul_f32 v[74:75], v[70:71], v[62:63] op_sel:[0,1]
	s_delay_alu instid0(VALU_DEP_1) | instskip(SKIP_1) | instid1(VALU_DEP_1)
	v_pk_fma_f32 v[76:77], v[70:71], v[60:61], v[74:75] op_sel:[0,0,1] op_sel_hi:[1,1,0] neg_lo:[0,0,1] neg_hi:[0,0,1]
	v_pk_fma_f32 v[70:71], v[70:71], v[60:61], v[74:75] op_sel:[0,0,1] op_sel_hi:[1,0,0]
	v_mov_b32_e32 v77, v71
	v_pk_mul_f32 v[70:71], v[72:73], v[62:63] op_sel:[0,1]
	s_delay_alu instid0(VALU_DEP_1) | instskip(SKIP_1) | instid1(VALU_DEP_1)
	v_pk_fma_f32 v[74:75], v[72:73], v[60:61], v[70:71] op_sel:[0,0,1] op_sel_hi:[1,1,0] neg_lo:[0,0,1] neg_hi:[0,0,1]
	v_pk_fma_f32 v[70:71], v[72:73], v[60:61], v[70:71] op_sel:[0,0,1] op_sel_hi:[1,0,0]
	v_mov_b32_e32 v75, v71
	ds_load_2addr_b64 v[70:73], v64 offset0:19 offset1:20
	v_pk_add_f32 v[50:51], v[50:51], v[76:77] neg_lo:[0,1] neg_hi:[0,1]
	v_pk_add_f32 v[26:27], v[26:27], v[74:75] neg_lo:[0,1] neg_hi:[0,1]
	s_wait_dscnt 0x0
	v_dual_mul_f32 v74, v71, v63 :: v_dual_mul_f32 v76, v71, v60
	s_delay_alu instid0(VALU_DEP_1) | instskip(NEXT) | instid1(VALU_DEP_2)
	v_pk_fma_f32 v[74:75], v[70:71], v[12:13], v[74:75] op_sel_hi:[1,1,0] neg_lo:[0,0,1] neg_hi:[0,0,1]
	v_pk_fma_f32 v[70:71], v[70:71], v[12:13], v[76:77] op_sel:[1,0,0] op_sel_hi:[0,1,0]
	s_delay_alu instid0(VALU_DEP_1) | instskip(SKIP_1) | instid1(VALU_DEP_2)
	v_mov_b32_e32 v75, v71
	v_pk_mul_f32 v[70:71], v[72:73], v[62:63] op_sel:[0,1]
	v_pk_add_f32 v[22:23], v[22:23], v[74:75] neg_lo:[0,1] neg_hi:[0,1]
	s_delay_alu instid0(VALU_DEP_2) | instskip(SKIP_1) | instid1(VALU_DEP_1)
	v_pk_fma_f32 v[74:75], v[72:73], v[60:61], v[70:71] op_sel:[0,0,1] op_sel_hi:[1,1,0] neg_lo:[0,0,1] neg_hi:[0,0,1]
	v_pk_fma_f32 v[70:71], v[72:73], v[60:61], v[70:71] op_sel:[0,0,1] op_sel_hi:[1,0,0]
	v_mov_b32_e32 v75, v71
	ds_load_2addr_b64 v[70:73], v64 offset0:21 offset1:22
	v_pk_add_f32 v[44:45], v[44:45], v[74:75] neg_lo:[0,1] neg_hi:[0,1]
	s_wait_dscnt 0x0
	v_pk_mul_f32 v[74:75], v[70:71], v[62:63] op_sel:[0,1]
	s_delay_alu instid0(VALU_DEP_1) | instskip(SKIP_1) | instid1(VALU_DEP_1)
	v_pk_fma_f32 v[76:77], v[70:71], v[60:61], v[74:75] op_sel:[0,0,1] op_sel_hi:[1,1,0] neg_lo:[0,0,1] neg_hi:[0,0,1]
	v_pk_fma_f32 v[70:71], v[70:71], v[60:61], v[74:75] op_sel:[0,0,1] op_sel_hi:[1,0,0]
	v_mov_b32_e32 v77, v71
	v_pk_mul_f32 v[70:71], v[72:73], v[62:63] op_sel:[0,1]
	s_delay_alu instid0(VALU_DEP_2) | instskip(NEXT) | instid1(VALU_DEP_2)
	v_pk_add_f32 v[42:43], v[42:43], v[76:77] neg_lo:[0,1] neg_hi:[0,1]
	v_pk_fma_f32 v[74:75], v[72:73], v[60:61], v[70:71] op_sel:[0,0,1] op_sel_hi:[1,1,0] neg_lo:[0,0,1] neg_hi:[0,0,1]
	v_pk_fma_f32 v[70:71], v[72:73], v[60:61], v[70:71] op_sel:[0,0,1] op_sel_hi:[1,0,0]
	s_delay_alu instid0(VALU_DEP_1) | instskip(SKIP_4) | instid1(VALU_DEP_1)
	v_mov_b32_e32 v75, v71
	ds_load_2addr_b64 v[70:73], v64 offset0:23 offset1:24
	v_pk_add_f32 v[32:33], v[32:33], v[74:75] neg_lo:[0,1] neg_hi:[0,1]
	s_wait_dscnt 0x0
	v_pk_mul_f32 v[74:75], v[70:71], v[62:63] op_sel:[0,1]
	v_pk_fma_f32 v[76:77], v[70:71], v[60:61], v[74:75] op_sel:[0,0,1] op_sel_hi:[1,1,0] neg_lo:[0,0,1] neg_hi:[0,0,1]
	v_pk_fma_f32 v[70:71], v[70:71], v[60:61], v[74:75] op_sel:[0,0,1] op_sel_hi:[1,0,0]
	v_dual_mul_f32 v74, v73, v63 :: v_dual_mov_b32 v70, v73
	s_delay_alu instid0(VALU_DEP_2) | instskip(NEXT) | instid1(VALU_DEP_2)
	v_dual_mov_b32 v77, v71 :: v_dual_mov_b32 v71, v72
	v_pk_fma_f32 v[74:75], v[72:73], v[12:13], v[74:75] op_sel_hi:[1,1,0] neg_lo:[0,0,1] neg_hi:[0,0,1]
	v_mul_f32_e32 v72, v73, v60
	s_delay_alu instid0(VALU_DEP_3) | instskip(NEXT) | instid1(VALU_DEP_2)
	v_pk_add_f32 v[30:31], v[30:31], v[76:77] neg_lo:[0,1] neg_hi:[0,1]
	v_pk_fma_f32 v[70:71], v[70:71], v[12:13], v[72:73] op_sel_hi:[1,1,0]
	s_delay_alu instid0(VALU_DEP_1)
	v_mov_b32_e32 v75, v71
	ds_load_2addr_b64 v[70:73], v64 offset0:25 offset1:26
	v_pk_add_f32 v[36:37], v[36:37], v[74:75] neg_lo:[0,1] neg_hi:[0,1]
	s_wait_dscnt 0x0
	v_pk_mul_f32 v[74:75], v[70:71], v[62:63] op_sel:[0,1]
	v_pk_mul_f32 v[62:63], v[72:73], v[62:63] op_sel:[0,1]
	s_delay_alu instid0(VALU_DEP_2) | instskip(SKIP_1) | instid1(VALU_DEP_1)
	v_pk_fma_f32 v[76:77], v[70:71], v[60:61], v[74:75] op_sel:[0,0,1] op_sel_hi:[1,1,0] neg_lo:[0,0,1] neg_hi:[0,0,1]
	v_pk_fma_f32 v[70:71], v[70:71], v[60:61], v[74:75] op_sel:[0,0,1] op_sel_hi:[1,0,0]
	v_mov_b32_e32 v77, v71
	s_delay_alu instid0(VALU_DEP_4) | instskip(SKIP_1) | instid1(VALU_DEP_1)
	v_pk_fma_f32 v[70:71], v[72:73], v[60:61], v[62:63] op_sel:[0,0,1] op_sel_hi:[1,1,0] neg_lo:[0,0,1] neg_hi:[0,0,1]
	v_pk_fma_f32 v[60:61], v[72:73], v[60:61], v[62:63] op_sel:[0,0,1] op_sel_hi:[1,0,0]
	v_mov_b32_e32 v71, v61
	s_delay_alu instid0(VALU_DEP_4) | instskip(NEXT) | instid1(VALU_DEP_2)
	v_pk_add_f32 v[34:35], v[34:35], v[76:77] neg_lo:[0,1] neg_hi:[0,1]
	v_pk_add_f32 v[58:59], v[58:59], v[70:71] neg_lo:[0,1] neg_hi:[0,1]
.LBB52_230:
	s_or_b32 exec_lo, exec_lo, s0
	v_lshl_add_u32 v60, v68, 3, v64
	s_barrier_signal -1
	s_barrier_wait -1
	ds_store_b64 v60, v[10:11]
	s_wait_dscnt 0x0
	s_barrier_signal -1
	s_barrier_wait -1
	ds_load_b64 v[62:63], v64 offset:88
	v_mov_b32_e32 v60, 11
	s_cmp_lt_i32 s14, 13
	s_cbranch_scc1 .LBB52_233
; %bb.231:
	v_add3_u32 v61, v65, 0, 0x60
	v_mov_b32_e32 v60, 11
	s_mov_b32 s0, 12
.LBB52_232:                             ; =>This Inner Loop Header: Depth=1
	ds_load_b64 v[70:71], v61
	s_wait_dscnt 0x1
	v_cmp_gt_f32_e32 vcc_lo, 0, v62
	v_cndmask_b32_e64 v72, v62, -v62, vcc_lo
	v_cmp_gt_f32_e32 vcc_lo, 0, v63
	v_cndmask_b32_e64 v74, v63, -v63, vcc_lo
	s_wait_dscnt 0x0
	v_cmp_gt_f32_e32 vcc_lo, 0, v70
	v_cndmask_b32_e64 v73, v70, -v70, vcc_lo
	v_cmp_gt_f32_e32 vcc_lo, 0, v71
	v_cndmask_b32_e64 v75, v71, -v71, vcc_lo
	s_delay_alu instid0(VALU_DEP_1) | instskip(NEXT) | instid1(VALU_DEP_1)
	v_pk_add_f32 v[72:73], v[72:73], v[74:75]
	v_cmp_lt_f32_e32 vcc_lo, v72, v73
	v_dual_add_nc_u32 v61, 8, v61 :: v_dual_cndmask_b32 v63, v63, v71, vcc_lo
	v_cndmask_b32_e32 v62, v62, v70, vcc_lo
	v_cndmask_b32_e64 v60, v60, s0, vcc_lo
	s_add_co_i32 s0, s0, 1
	s_delay_alu instid0(SALU_CYCLE_1)
	s_cmp_lg_u32 s14, s0
	s_cbranch_scc1 .LBB52_232
.LBB52_233:
	s_wait_dscnt 0x0
	v_cmp_eq_f32_e32 vcc_lo, 0, v62
	v_cmp_eq_f32_e64 s0, 0, v63
	s_and_b32 s0, vcc_lo, s0
	s_delay_alu instid0(SALU_CYCLE_1) | instskip(NEXT) | instid1(SALU_CYCLE_1)
	s_and_saveexec_b32 s1, s0
	s_xor_b32 s0, exec_lo, s1
; %bb.234:
	v_cmp_ne_u32_e32 vcc_lo, 0, v66
	v_cndmask_b32_e32 v66, 12, v66, vcc_lo
; %bb.235:
	s_and_not1_saveexec_b32 s0, s0
	s_cbranch_execz .LBB52_241
; %bb.236:
	v_cmp_ngt_f32_e64 s1, |v62|, |v63|
	s_and_saveexec_b32 s15, s1
	s_delay_alu instid0(SALU_CYCLE_1)
	s_xor_b32 s1, exec_lo, s15
	s_cbranch_execz .LBB52_238
; %bb.237:
	v_div_scale_f32 v61, null, v63, v63, v62
	v_div_scale_f32 v71, vcc_lo, v62, v63, v62
	s_delay_alu instid0(VALU_DEP_2) | instskip(SKIP_1) | instid1(TRANS32_DEP_1)
	v_rcp_f32_e32 v69, v61
	v_nop
	v_fma_f32 v70, -v61, v69, 1.0
	s_delay_alu instid0(VALU_DEP_1) | instskip(NEXT) | instid1(VALU_DEP_1)
	v_fmac_f32_e32 v69, v70, v69
	v_mul_f32_e32 v70, v71, v69
	s_delay_alu instid0(VALU_DEP_1) | instskip(NEXT) | instid1(VALU_DEP_1)
	v_fma_f32 v72, -v61, v70, v71
	v_fmac_f32_e32 v70, v72, v69
	s_delay_alu instid0(VALU_DEP_1) | instskip(NEXT) | instid1(VALU_DEP_1)
	v_fma_f32 v61, -v61, v70, v71
	v_div_fmas_f32 v61, v61, v69, v70
	s_delay_alu instid0(VALU_DEP_1) | instskip(NEXT) | instid1(VALU_DEP_1)
	v_div_fixup_f32 v61, v61, v63, v62
	v_fmac_f32_e32 v63, v62, v61
	s_delay_alu instid0(VALU_DEP_1) | instskip(SKIP_1) | instid1(VALU_DEP_2)
	v_div_scale_f32 v62, null, v63, v63, 1.0
	v_div_scale_f32 v71, vcc_lo, 1.0, v63, 1.0
	v_rcp_f32_e32 v69, v62
	v_nop
	s_delay_alu instid0(TRANS32_DEP_1) | instskip(NEXT) | instid1(VALU_DEP_1)
	v_fma_f32 v70, -v62, v69, 1.0
	v_fmac_f32_e32 v69, v70, v69
	s_delay_alu instid0(VALU_DEP_1) | instskip(NEXT) | instid1(VALU_DEP_1)
	v_mul_f32_e32 v70, v71, v69
	v_fma_f32 v72, -v62, v70, v71
	s_delay_alu instid0(VALU_DEP_1) | instskip(NEXT) | instid1(VALU_DEP_1)
	v_fmac_f32_e32 v70, v72, v69
	v_fma_f32 v62, -v62, v70, v71
	s_delay_alu instid0(VALU_DEP_1) | instskip(NEXT) | instid1(VALU_DEP_1)
	v_div_fmas_f32 v62, v62, v69, v70
	v_div_fixup_f32 v63, v62, v63, 1.0
	s_delay_alu instid0(VALU_DEP_1)
	v_mul_f32_e32 v62, v61, v63
	v_xor_b32_e32 v63, 0x80000000, v63
.LBB52_238:
	s_and_not1_saveexec_b32 s1, s1
	s_cbranch_execz .LBB52_240
; %bb.239:
	s_delay_alu instid0(VALU_DEP_1) | instskip(SKIP_1) | instid1(VALU_DEP_2)
	v_div_scale_f32 v61, null, v62, v62, v63
	v_div_scale_f32 v71, vcc_lo, v63, v62, v63
	v_rcp_f32_e32 v69, v61
	v_nop
	s_delay_alu instid0(TRANS32_DEP_1) | instskip(NEXT) | instid1(VALU_DEP_1)
	v_fma_f32 v70, -v61, v69, 1.0
	v_fmac_f32_e32 v69, v70, v69
	s_delay_alu instid0(VALU_DEP_1) | instskip(NEXT) | instid1(VALU_DEP_1)
	v_mul_f32_e32 v70, v71, v69
	v_fma_f32 v72, -v61, v70, v71
	s_delay_alu instid0(VALU_DEP_1) | instskip(NEXT) | instid1(VALU_DEP_1)
	v_fmac_f32_e32 v70, v72, v69
	v_fma_f32 v61, -v61, v70, v71
	s_delay_alu instid0(VALU_DEP_1) | instskip(NEXT) | instid1(VALU_DEP_1)
	v_div_fmas_f32 v61, v61, v69, v70
	v_div_fixup_f32 v61, v61, v62, v63
	s_delay_alu instid0(VALU_DEP_1) | instskip(NEXT) | instid1(VALU_DEP_1)
	v_fmac_f32_e32 v62, v63, v61
	v_div_scale_f32 v63, null, v62, v62, 1.0
	s_delay_alu instid0(VALU_DEP_1) | instskip(SKIP_1) | instid1(TRANS32_DEP_1)
	v_rcp_f32_e32 v69, v63
	v_nop
	v_fma_f32 v70, -v63, v69, 1.0
	s_delay_alu instid0(VALU_DEP_1) | instskip(SKIP_1) | instid1(VALU_DEP_1)
	v_fmac_f32_e32 v69, v70, v69
	v_div_scale_f32 v70, vcc_lo, 1.0, v62, 1.0
	v_mul_f32_e32 v71, v70, v69
	s_delay_alu instid0(VALU_DEP_1) | instskip(NEXT) | instid1(VALU_DEP_1)
	v_fma_f32 v72, -v63, v71, v70
	v_fmac_f32_e32 v71, v72, v69
	s_delay_alu instid0(VALU_DEP_1) | instskip(NEXT) | instid1(VALU_DEP_1)
	v_fma_f32 v63, -v63, v71, v70
	v_div_fmas_f32 v63, v63, v69, v71
	s_delay_alu instid0(VALU_DEP_1) | instskip(NEXT) | instid1(VALU_DEP_1)
	v_div_fixup_f32 v62, v63, v62, 1.0
	v_mul_f32_e64 v63, v61, -v62
.LBB52_240:
	s_or_b32 exec_lo, exec_lo, s1
.LBB52_241:
	s_delay_alu instid0(SALU_CYCLE_1) | instskip(NEXT) | instid1(SALU_CYCLE_1)
	s_or_b32 exec_lo, exec_lo, s0
	s_mov_b32 s0, exec_lo
	v_cmpx_ne_u32_e64 v68, v60
	s_xor_b32 s0, exec_lo, s0
	s_cbranch_execz .LBB52_247
; %bb.242:
	s_mov_b32 s1, exec_lo
	v_cmpx_eq_u32_e32 11, v68
	s_cbranch_execz .LBB52_246
; %bb.243:
	v_cmp_ne_u32_e32 vcc_lo, 11, v60
	s_xor_b32 s15, s2, -1
	s_delay_alu instid0(SALU_CYCLE_1) | instskip(NEXT) | instid1(SALU_CYCLE_1)
	s_and_b32 s16, s15, vcc_lo
	s_and_saveexec_b32 s15, s16
	s_cbranch_execz .LBB52_245
; %bb.244:
	v_ashrrev_i32_e32 v61, 31, v60
	s_delay_alu instid0(VALU_DEP_1)
	v_lshl_add_u64 v[68:69], v[60:61], 2, v[4:5]
	s_clause 0x1
	global_load_b32 v61, v[68:69], off
	global_load_b32 v67, v[4:5], off offset:44
	s_wait_loadcnt 0x1
	global_store_b32 v[4:5], v61, off offset:44
	s_wait_loadcnt 0x0
	global_store_b32 v[68:69], v67, off
.LBB52_245:
	s_wait_xcnt 0x0
	s_or_b32 exec_lo, exec_lo, s15
	v_dual_mov_b32 v68, v60 :: v_dual_mov_b32 v67, v60
.LBB52_246:
	s_or_b32 exec_lo, exec_lo, s1
.LBB52_247:
	s_and_not1_saveexec_b32 s0, s0
	s_cbranch_execz .LBB52_249
; %bb.248:
	v_dual_mov_b32 v60, v48 :: v_dual_mov_b32 v61, v49
	v_dual_mov_b32 v68, v46 :: v_dual_mov_b32 v69, v47
	ds_store_2addr_b64 v64, v[60:61], v[68:69] offset0:12 offset1:13
	v_dual_mov_b32 v60, v20 :: v_dual_mov_b32 v61, v21
	v_dual_mov_b32 v68, v18 :: v_dual_mov_b32 v69, v19
	ds_store_2addr_b64 v64, v[60:61], v[68:69] offset0:14 offset1:15
	;; [unrolled: 3-line block ×7, first 2 shown]
	ds_store_b64 v64, v[58:59] offset:208
	v_mov_b32_e32 v68, 11
.LBB52_249:
	s_or_b32 exec_lo, exec_lo, s0
	s_delay_alu instid0(SALU_CYCLE_1)
	s_mov_b32 s0, exec_lo
	s_wait_storecnt_dscnt 0x0
	s_barrier_signal -1
	s_barrier_wait -1
	v_cmpx_lt_i32_e32 11, v68
	s_cbranch_execz .LBB52_251
; %bb.250:
	v_pk_mul_f32 v[70:71], v[62:63], v[10:11] op_sel:[1,1] op_sel_hi:[0,1]
	s_delay_alu instid0(VALU_DEP_1)
	v_pk_fma_f32 v[60:61], v[62:63], v[10:11], v[70:71] op_sel_hi:[1,0,1] neg_lo:[0,0,1] neg_hi:[0,0,1]
	v_pk_fma_f32 v[62:63], v[62:63], v[10:11], v[70:71] op_sel_hi:[1,0,1]
	ds_load_2addr_b64 v[70:73], v64 offset0:12 offset1:13
	v_dual_mov_b32 v10, v60 :: v_dual_mov_b32 v11, v63
	s_wait_dscnt 0x0
	v_pk_mul_f32 v[74:75], v[70:71], v[62:63] op_sel:[0,1]
	s_delay_alu instid0(VALU_DEP_1) | instskip(SKIP_1) | instid1(VALU_DEP_1)
	v_pk_fma_f32 v[76:77], v[70:71], v[60:61], v[74:75] op_sel:[0,0,1] op_sel_hi:[1,1,0] neg_lo:[0,0,1] neg_hi:[0,0,1]
	v_pk_fma_f32 v[70:71], v[70:71], v[60:61], v[74:75] op_sel:[0,0,1] op_sel_hi:[1,0,0]
	v_mov_b32_e32 v77, v71
	v_pk_mul_f32 v[70:71], v[72:73], v[62:63] op_sel:[0,1]
	s_delay_alu instid0(VALU_DEP_1) | instskip(SKIP_1) | instid1(VALU_DEP_1)
	v_pk_fma_f32 v[74:75], v[72:73], v[60:61], v[70:71] op_sel:[0,0,1] op_sel_hi:[1,1,0] neg_lo:[0,0,1] neg_hi:[0,0,1]
	v_pk_fma_f32 v[70:71], v[72:73], v[60:61], v[70:71] op_sel:[0,0,1] op_sel_hi:[1,0,0]
	v_mov_b32_e32 v75, v71
	ds_load_2addr_b64 v[70:73], v64 offset0:14 offset1:15
	v_pk_add_f32 v[48:49], v[48:49], v[76:77] neg_lo:[0,1] neg_hi:[0,1]
	v_pk_add_f32 v[46:47], v[46:47], v[74:75] neg_lo:[0,1] neg_hi:[0,1]
	s_wait_dscnt 0x0
	v_pk_mul_f32 v[74:75], v[70:71], v[62:63] op_sel:[0,1]
	s_delay_alu instid0(VALU_DEP_1) | instskip(SKIP_2) | instid1(VALU_DEP_2)
	v_pk_fma_f32 v[76:77], v[70:71], v[60:61], v[74:75] op_sel:[0,0,1] op_sel_hi:[1,1,0] neg_lo:[0,0,1] neg_hi:[0,0,1]
	v_pk_fma_f32 v[70:71], v[70:71], v[60:61], v[74:75] op_sel:[0,0,1] op_sel_hi:[1,0,0]
	v_dual_mul_f32 v74, v73, v63 :: v_dual_mov_b32 v70, v73
	v_dual_mov_b32 v77, v71 :: v_dual_mov_b32 v71, v72
	s_delay_alu instid0(VALU_DEP_2) | instskip(SKIP_1) | instid1(VALU_DEP_3)
	v_pk_fma_f32 v[74:75], v[72:73], v[10:11], v[74:75] op_sel_hi:[1,1,0] neg_lo:[0,0,1] neg_hi:[0,0,1]
	v_mul_f32_e32 v72, v73, v60
	v_pk_add_f32 v[20:21], v[20:21], v[76:77] neg_lo:[0,1] neg_hi:[0,1]
	s_delay_alu instid0(VALU_DEP_2) | instskip(NEXT) | instid1(VALU_DEP_1)
	v_pk_fma_f32 v[70:71], v[70:71], v[10:11], v[72:73] op_sel_hi:[1,1,0]
	v_mov_b32_e32 v75, v71
	ds_load_2addr_b64 v[70:73], v64 offset0:16 offset1:17
	v_pk_add_f32 v[18:19], v[18:19], v[74:75] neg_lo:[0,1] neg_hi:[0,1]
	s_wait_dscnt 0x0
	v_pk_mul_f32 v[74:75], v[70:71], v[62:63] op_sel:[0,1]
	s_delay_alu instid0(VALU_DEP_1) | instskip(SKIP_1) | instid1(VALU_DEP_1)
	v_pk_fma_f32 v[76:77], v[70:71], v[60:61], v[74:75] op_sel:[0,0,1] op_sel_hi:[1,1,0] neg_lo:[0,0,1] neg_hi:[0,0,1]
	v_pk_fma_f32 v[70:71], v[70:71], v[60:61], v[74:75] op_sel:[0,0,1] op_sel_hi:[1,0,0]
	v_mov_b32_e32 v77, v71
	v_pk_mul_f32 v[70:71], v[72:73], v[62:63] op_sel:[0,1]
	s_delay_alu instid0(VALU_DEP_1) | instskip(SKIP_1) | instid1(VALU_DEP_1)
	v_pk_fma_f32 v[74:75], v[72:73], v[60:61], v[70:71] op_sel:[0,0,1] op_sel_hi:[1,1,0] neg_lo:[0,0,1] neg_hi:[0,0,1]
	v_pk_fma_f32 v[70:71], v[72:73], v[60:61], v[70:71] op_sel:[0,0,1] op_sel_hi:[1,0,0]
	v_mov_b32_e32 v75, v71
	ds_load_2addr_b64 v[70:73], v64 offset0:18 offset1:19
	v_pk_add_f32 v[52:53], v[52:53], v[76:77] neg_lo:[0,1] neg_hi:[0,1]
	v_pk_add_f32 v[50:51], v[50:51], v[74:75] neg_lo:[0,1] neg_hi:[0,1]
	s_wait_dscnt 0x0
	v_pk_mul_f32 v[74:75], v[70:71], v[62:63] op_sel:[0,1]
	s_delay_alu instid0(VALU_DEP_1) | instskip(SKIP_1) | instid1(VALU_DEP_1)
	v_pk_fma_f32 v[76:77], v[70:71], v[60:61], v[74:75] op_sel:[0,0,1] op_sel_hi:[1,1,0] neg_lo:[0,0,1] neg_hi:[0,0,1]
	v_pk_fma_f32 v[70:71], v[70:71], v[60:61], v[74:75] op_sel:[0,0,1] op_sel_hi:[1,0,0]
	v_mov_b32_e32 v77, v71
	v_pk_mul_f32 v[70:71], v[72:73], v[62:63] op_sel:[0,1]
	s_delay_alu instid0(VALU_DEP_1) | instskip(SKIP_1) | instid1(VALU_DEP_1)
	v_pk_fma_f32 v[74:75], v[72:73], v[60:61], v[70:71] op_sel:[0,0,1] op_sel_hi:[1,1,0] neg_lo:[0,0,1] neg_hi:[0,0,1]
	v_pk_fma_f32 v[70:71], v[72:73], v[60:61], v[70:71] op_sel:[0,0,1] op_sel_hi:[1,0,0]
	v_mov_b32_e32 v75, v71
	ds_load_2addr_b64 v[70:73], v64 offset0:20 offset1:21
	v_pk_add_f32 v[26:27], v[26:27], v[76:77] neg_lo:[0,1] neg_hi:[0,1]
	v_pk_add_f32 v[22:23], v[22:23], v[74:75] neg_lo:[0,1] neg_hi:[0,1]
	s_wait_dscnt 0x0
	v_dual_mul_f32 v74, v71, v63 :: v_dual_mul_f32 v76, v71, v60
	s_delay_alu instid0(VALU_DEP_1) | instskip(NEXT) | instid1(VALU_DEP_2)
	v_pk_fma_f32 v[74:75], v[70:71], v[10:11], v[74:75] op_sel_hi:[1,1,0] neg_lo:[0,0,1] neg_hi:[0,0,1]
	v_pk_fma_f32 v[70:71], v[70:71], v[10:11], v[76:77] op_sel:[1,0,0] op_sel_hi:[0,1,0]
	s_delay_alu instid0(VALU_DEP_1) | instskip(SKIP_1) | instid1(VALU_DEP_2)
	v_mov_b32_e32 v75, v71
	v_pk_mul_f32 v[70:71], v[72:73], v[62:63] op_sel:[0,1]
	v_pk_add_f32 v[44:45], v[44:45], v[74:75] neg_lo:[0,1] neg_hi:[0,1]
	s_delay_alu instid0(VALU_DEP_2) | instskip(SKIP_1) | instid1(VALU_DEP_1)
	v_pk_fma_f32 v[74:75], v[72:73], v[60:61], v[70:71] op_sel:[0,0,1] op_sel_hi:[1,1,0] neg_lo:[0,0,1] neg_hi:[0,0,1]
	v_pk_fma_f32 v[70:71], v[72:73], v[60:61], v[70:71] op_sel:[0,0,1] op_sel_hi:[1,0,0]
	v_mov_b32_e32 v75, v71
	ds_load_2addr_b64 v[70:73], v64 offset0:22 offset1:23
	v_pk_add_f32 v[42:43], v[42:43], v[74:75] neg_lo:[0,1] neg_hi:[0,1]
	s_wait_dscnt 0x0
	v_pk_mul_f32 v[74:75], v[70:71], v[62:63] op_sel:[0,1]
	s_delay_alu instid0(VALU_DEP_1) | instskip(SKIP_1) | instid1(VALU_DEP_1)
	v_pk_fma_f32 v[76:77], v[70:71], v[60:61], v[74:75] op_sel:[0,0,1] op_sel_hi:[1,1,0] neg_lo:[0,0,1] neg_hi:[0,0,1]
	v_pk_fma_f32 v[70:71], v[70:71], v[60:61], v[74:75] op_sel:[0,0,1] op_sel_hi:[1,0,0]
	v_mov_b32_e32 v77, v71
	v_pk_mul_f32 v[70:71], v[72:73], v[62:63] op_sel:[0,1]
	s_delay_alu instid0(VALU_DEP_2) | instskip(NEXT) | instid1(VALU_DEP_2)
	v_pk_add_f32 v[32:33], v[32:33], v[76:77] neg_lo:[0,1] neg_hi:[0,1]
	v_pk_fma_f32 v[74:75], v[72:73], v[60:61], v[70:71] op_sel:[0,0,1] op_sel_hi:[1,1,0] neg_lo:[0,0,1] neg_hi:[0,0,1]
	v_pk_fma_f32 v[70:71], v[72:73], v[60:61], v[70:71] op_sel:[0,0,1] op_sel_hi:[1,0,0]
	s_delay_alu instid0(VALU_DEP_1) | instskip(SKIP_4) | instid1(VALU_DEP_1)
	v_mov_b32_e32 v75, v71
	ds_load_2addr_b64 v[70:73], v64 offset0:24 offset1:25
	v_pk_add_f32 v[30:31], v[30:31], v[74:75] neg_lo:[0,1] neg_hi:[0,1]
	s_wait_dscnt 0x0
	v_pk_mul_f32 v[74:75], v[70:71], v[62:63] op_sel:[0,1]
	v_pk_fma_f32 v[76:77], v[70:71], v[60:61], v[74:75] op_sel:[0,0,1] op_sel_hi:[1,1,0] neg_lo:[0,0,1] neg_hi:[0,0,1]
	v_pk_fma_f32 v[70:71], v[70:71], v[60:61], v[74:75] op_sel:[0,0,1] op_sel_hi:[1,0,0]
	v_dual_mul_f32 v74, v73, v63 :: v_dual_mov_b32 v70, v73
	s_delay_alu instid0(VALU_DEP_2) | instskip(NEXT) | instid1(VALU_DEP_2)
	v_dual_mov_b32 v77, v71 :: v_dual_mov_b32 v71, v72
	v_pk_fma_f32 v[74:75], v[72:73], v[10:11], v[74:75] op_sel_hi:[1,1,0] neg_lo:[0,0,1] neg_hi:[0,0,1]
	v_mul_f32_e32 v72, v73, v60
	s_delay_alu instid0(VALU_DEP_3) | instskip(NEXT) | instid1(VALU_DEP_2)
	v_pk_add_f32 v[36:37], v[36:37], v[76:77] neg_lo:[0,1] neg_hi:[0,1]
	v_pk_fma_f32 v[70:71], v[70:71], v[10:11], v[72:73] op_sel_hi:[1,1,0]
	s_delay_alu instid0(VALU_DEP_1) | instskip(SKIP_4) | instid1(VALU_DEP_1)
	v_mov_b32_e32 v75, v71
	ds_load_b64 v[70:71], v64 offset:208
	v_pk_add_f32 v[34:35], v[34:35], v[74:75] neg_lo:[0,1] neg_hi:[0,1]
	s_wait_dscnt 0x0
	v_pk_mul_f32 v[62:63], v[70:71], v[62:63] op_sel:[0,1]
	v_pk_fma_f32 v[72:73], v[70:71], v[60:61], v[62:63] op_sel:[0,0,1] op_sel_hi:[1,1,0] neg_lo:[0,0,1] neg_hi:[0,0,1]
	v_pk_fma_f32 v[60:61], v[70:71], v[60:61], v[62:63] op_sel:[0,0,1] op_sel_hi:[1,0,0]
	s_delay_alu instid0(VALU_DEP_1) | instskip(NEXT) | instid1(VALU_DEP_1)
	v_mov_b32_e32 v73, v61
	v_pk_add_f32 v[58:59], v[58:59], v[72:73] neg_lo:[0,1] neg_hi:[0,1]
.LBB52_251:
	s_or_b32 exec_lo, exec_lo, s0
	v_lshl_add_u32 v60, v68, 3, v64
	s_barrier_signal -1
	s_barrier_wait -1
	ds_store_b64 v60, v[48:49]
	s_wait_dscnt 0x0
	s_barrier_signal -1
	s_barrier_wait -1
	ds_load_b64 v[62:63], v64 offset:96
	v_mov_b32_e32 v60, 12
	s_cmp_lt_i32 s14, 14
	s_cbranch_scc1 .LBB52_254
; %bb.252:
	v_add3_u32 v61, v65, 0, 0x68
	v_mov_b32_e32 v60, 12
	s_mov_b32 s0, 13
.LBB52_253:                             ; =>This Inner Loop Header: Depth=1
	ds_load_b64 v[70:71], v61
	s_wait_dscnt 0x1
	v_cmp_gt_f32_e32 vcc_lo, 0, v62
	v_cndmask_b32_e64 v72, v62, -v62, vcc_lo
	v_cmp_gt_f32_e32 vcc_lo, 0, v63
	v_cndmask_b32_e64 v74, v63, -v63, vcc_lo
	s_wait_dscnt 0x0
	v_cmp_gt_f32_e32 vcc_lo, 0, v70
	v_cndmask_b32_e64 v73, v70, -v70, vcc_lo
	v_cmp_gt_f32_e32 vcc_lo, 0, v71
	v_cndmask_b32_e64 v75, v71, -v71, vcc_lo
	s_delay_alu instid0(VALU_DEP_1) | instskip(NEXT) | instid1(VALU_DEP_1)
	v_pk_add_f32 v[72:73], v[72:73], v[74:75]
	v_cmp_lt_f32_e32 vcc_lo, v72, v73
	v_dual_add_nc_u32 v61, 8, v61 :: v_dual_cndmask_b32 v63, v63, v71, vcc_lo
	v_cndmask_b32_e32 v62, v62, v70, vcc_lo
	v_cndmask_b32_e64 v60, v60, s0, vcc_lo
	s_add_co_i32 s0, s0, 1
	s_delay_alu instid0(SALU_CYCLE_1)
	s_cmp_lg_u32 s14, s0
	s_cbranch_scc1 .LBB52_253
.LBB52_254:
	s_wait_dscnt 0x0
	v_cmp_eq_f32_e32 vcc_lo, 0, v62
	v_cmp_eq_f32_e64 s0, 0, v63
	s_and_b32 s0, vcc_lo, s0
	s_delay_alu instid0(SALU_CYCLE_1) | instskip(NEXT) | instid1(SALU_CYCLE_1)
	s_and_saveexec_b32 s1, s0
	s_xor_b32 s0, exec_lo, s1
; %bb.255:
	v_cmp_ne_u32_e32 vcc_lo, 0, v66
	v_cndmask_b32_e32 v66, 13, v66, vcc_lo
; %bb.256:
	s_and_not1_saveexec_b32 s0, s0
	s_cbranch_execz .LBB52_262
; %bb.257:
	v_cmp_ngt_f32_e64 s1, |v62|, |v63|
	s_and_saveexec_b32 s15, s1
	s_delay_alu instid0(SALU_CYCLE_1)
	s_xor_b32 s1, exec_lo, s15
	s_cbranch_execz .LBB52_259
; %bb.258:
	v_div_scale_f32 v61, null, v63, v63, v62
	v_div_scale_f32 v71, vcc_lo, v62, v63, v62
	s_delay_alu instid0(VALU_DEP_2) | instskip(SKIP_1) | instid1(TRANS32_DEP_1)
	v_rcp_f32_e32 v69, v61
	v_nop
	v_fma_f32 v70, -v61, v69, 1.0
	s_delay_alu instid0(VALU_DEP_1) | instskip(NEXT) | instid1(VALU_DEP_1)
	v_fmac_f32_e32 v69, v70, v69
	v_mul_f32_e32 v70, v71, v69
	s_delay_alu instid0(VALU_DEP_1) | instskip(NEXT) | instid1(VALU_DEP_1)
	v_fma_f32 v72, -v61, v70, v71
	v_fmac_f32_e32 v70, v72, v69
	s_delay_alu instid0(VALU_DEP_1) | instskip(NEXT) | instid1(VALU_DEP_1)
	v_fma_f32 v61, -v61, v70, v71
	v_div_fmas_f32 v61, v61, v69, v70
	s_delay_alu instid0(VALU_DEP_1) | instskip(NEXT) | instid1(VALU_DEP_1)
	v_div_fixup_f32 v61, v61, v63, v62
	v_fmac_f32_e32 v63, v62, v61
	s_delay_alu instid0(VALU_DEP_1) | instskip(SKIP_1) | instid1(VALU_DEP_2)
	v_div_scale_f32 v62, null, v63, v63, 1.0
	v_div_scale_f32 v71, vcc_lo, 1.0, v63, 1.0
	v_rcp_f32_e32 v69, v62
	v_nop
	s_delay_alu instid0(TRANS32_DEP_1) | instskip(NEXT) | instid1(VALU_DEP_1)
	v_fma_f32 v70, -v62, v69, 1.0
	v_fmac_f32_e32 v69, v70, v69
	s_delay_alu instid0(VALU_DEP_1) | instskip(NEXT) | instid1(VALU_DEP_1)
	v_mul_f32_e32 v70, v71, v69
	v_fma_f32 v72, -v62, v70, v71
	s_delay_alu instid0(VALU_DEP_1) | instskip(NEXT) | instid1(VALU_DEP_1)
	v_fmac_f32_e32 v70, v72, v69
	v_fma_f32 v62, -v62, v70, v71
	s_delay_alu instid0(VALU_DEP_1) | instskip(NEXT) | instid1(VALU_DEP_1)
	v_div_fmas_f32 v62, v62, v69, v70
	v_div_fixup_f32 v63, v62, v63, 1.0
	s_delay_alu instid0(VALU_DEP_1)
	v_mul_f32_e32 v62, v61, v63
	v_xor_b32_e32 v63, 0x80000000, v63
.LBB52_259:
	s_and_not1_saveexec_b32 s1, s1
	s_cbranch_execz .LBB52_261
; %bb.260:
	s_delay_alu instid0(VALU_DEP_1) | instskip(SKIP_1) | instid1(VALU_DEP_2)
	v_div_scale_f32 v61, null, v62, v62, v63
	v_div_scale_f32 v71, vcc_lo, v63, v62, v63
	v_rcp_f32_e32 v69, v61
	v_nop
	s_delay_alu instid0(TRANS32_DEP_1) | instskip(NEXT) | instid1(VALU_DEP_1)
	v_fma_f32 v70, -v61, v69, 1.0
	v_fmac_f32_e32 v69, v70, v69
	s_delay_alu instid0(VALU_DEP_1) | instskip(NEXT) | instid1(VALU_DEP_1)
	v_mul_f32_e32 v70, v71, v69
	v_fma_f32 v72, -v61, v70, v71
	s_delay_alu instid0(VALU_DEP_1) | instskip(NEXT) | instid1(VALU_DEP_1)
	v_fmac_f32_e32 v70, v72, v69
	v_fma_f32 v61, -v61, v70, v71
	s_delay_alu instid0(VALU_DEP_1) | instskip(NEXT) | instid1(VALU_DEP_1)
	v_div_fmas_f32 v61, v61, v69, v70
	v_div_fixup_f32 v61, v61, v62, v63
	s_delay_alu instid0(VALU_DEP_1) | instskip(NEXT) | instid1(VALU_DEP_1)
	v_fmac_f32_e32 v62, v63, v61
	v_div_scale_f32 v63, null, v62, v62, 1.0
	s_delay_alu instid0(VALU_DEP_1) | instskip(SKIP_1) | instid1(TRANS32_DEP_1)
	v_rcp_f32_e32 v69, v63
	v_nop
	v_fma_f32 v70, -v63, v69, 1.0
	s_delay_alu instid0(VALU_DEP_1) | instskip(SKIP_1) | instid1(VALU_DEP_1)
	v_fmac_f32_e32 v69, v70, v69
	v_div_scale_f32 v70, vcc_lo, 1.0, v62, 1.0
	v_mul_f32_e32 v71, v70, v69
	s_delay_alu instid0(VALU_DEP_1) | instskip(NEXT) | instid1(VALU_DEP_1)
	v_fma_f32 v72, -v63, v71, v70
	v_fmac_f32_e32 v71, v72, v69
	s_delay_alu instid0(VALU_DEP_1) | instskip(NEXT) | instid1(VALU_DEP_1)
	v_fma_f32 v63, -v63, v71, v70
	v_div_fmas_f32 v63, v63, v69, v71
	s_delay_alu instid0(VALU_DEP_1) | instskip(NEXT) | instid1(VALU_DEP_1)
	v_div_fixup_f32 v62, v63, v62, 1.0
	v_mul_f32_e64 v63, v61, -v62
.LBB52_261:
	s_or_b32 exec_lo, exec_lo, s1
.LBB52_262:
	s_delay_alu instid0(SALU_CYCLE_1) | instskip(NEXT) | instid1(SALU_CYCLE_1)
	s_or_b32 exec_lo, exec_lo, s0
	s_mov_b32 s0, exec_lo
	v_cmpx_ne_u32_e64 v68, v60
	s_xor_b32 s0, exec_lo, s0
	s_cbranch_execz .LBB52_268
; %bb.263:
	s_mov_b32 s1, exec_lo
	v_cmpx_eq_u32_e32 12, v68
	s_cbranch_execz .LBB52_267
; %bb.264:
	v_cmp_ne_u32_e32 vcc_lo, 12, v60
	s_xor_b32 s15, s2, -1
	s_delay_alu instid0(SALU_CYCLE_1) | instskip(NEXT) | instid1(SALU_CYCLE_1)
	s_and_b32 s16, s15, vcc_lo
	s_and_saveexec_b32 s15, s16
	s_cbranch_execz .LBB52_266
; %bb.265:
	v_ashrrev_i32_e32 v61, 31, v60
	s_delay_alu instid0(VALU_DEP_1)
	v_lshl_add_u64 v[68:69], v[60:61], 2, v[4:5]
	s_clause 0x1
	global_load_b32 v61, v[68:69], off
	global_load_b32 v67, v[4:5], off offset:48
	s_wait_loadcnt 0x1
	global_store_b32 v[4:5], v61, off offset:48
	s_wait_loadcnt 0x0
	global_store_b32 v[68:69], v67, off
.LBB52_266:
	s_wait_xcnt 0x0
	s_or_b32 exec_lo, exec_lo, s15
	v_dual_mov_b32 v68, v60 :: v_dual_mov_b32 v67, v60
.LBB52_267:
	s_or_b32 exec_lo, exec_lo, s1
.LBB52_268:
	s_and_not1_saveexec_b32 s0, s0
	s_cbranch_execz .LBB52_270
; %bb.269:
	v_mov_b32_e32 v68, 12
	ds_store_2addr_b64 v64, v[46:47], v[20:21] offset0:13 offset1:14
	ds_store_2addr_b64 v64, v[18:19], v[52:53] offset0:15 offset1:16
	;; [unrolled: 1-line block ×7, first 2 shown]
.LBB52_270:
	s_or_b32 exec_lo, exec_lo, s0
	s_delay_alu instid0(SALU_CYCLE_1)
	s_mov_b32 s0, exec_lo
	s_wait_storecnt_dscnt 0x0
	s_barrier_signal -1
	s_barrier_wait -1
	v_cmpx_lt_i32_e32 12, v68
	s_cbranch_execz .LBB52_272
; %bb.271:
	v_pk_mul_f32 v[70:71], v[62:63], v[48:49] op_sel:[1,1] op_sel_hi:[0,1]
	s_delay_alu instid0(VALU_DEP_1)
	v_pk_fma_f32 v[60:61], v[62:63], v[48:49], v[70:71] op_sel_hi:[1,0,1] neg_lo:[0,0,1] neg_hi:[0,0,1]
	v_pk_fma_f32 v[62:63], v[62:63], v[48:49], v[70:71] op_sel_hi:[1,0,1]
	ds_load_2addr_b64 v[70:73], v64 offset0:13 offset1:14
	v_dual_mov_b32 v48, v60 :: v_dual_mov_b32 v49, v63
	s_wait_dscnt 0x0
	v_pk_mul_f32 v[74:75], v[70:71], v[62:63] op_sel:[0,1]
	s_delay_alu instid0(VALU_DEP_1) | instskip(SKIP_1) | instid1(VALU_DEP_1)
	v_pk_fma_f32 v[76:77], v[70:71], v[60:61], v[74:75] op_sel:[0,0,1] op_sel_hi:[1,1,0] neg_lo:[0,0,1] neg_hi:[0,0,1]
	v_pk_fma_f32 v[70:71], v[70:71], v[60:61], v[74:75] op_sel:[0,0,1] op_sel_hi:[1,0,0]
	v_mov_b32_e32 v77, v71
	v_pk_mul_f32 v[70:71], v[72:73], v[62:63] op_sel:[0,1]
	s_delay_alu instid0(VALU_DEP_1) | instskip(SKIP_1) | instid1(VALU_DEP_1)
	v_pk_fma_f32 v[74:75], v[72:73], v[60:61], v[70:71] op_sel:[0,0,1] op_sel_hi:[1,1,0] neg_lo:[0,0,1] neg_hi:[0,0,1]
	v_pk_fma_f32 v[70:71], v[72:73], v[60:61], v[70:71] op_sel:[0,0,1] op_sel_hi:[1,0,0]
	v_mov_b32_e32 v75, v71
	ds_load_2addr_b64 v[70:73], v64 offset0:15 offset1:16
	v_pk_add_f32 v[46:47], v[46:47], v[76:77] neg_lo:[0,1] neg_hi:[0,1]
	v_pk_add_f32 v[20:21], v[20:21], v[74:75] neg_lo:[0,1] neg_hi:[0,1]
	s_wait_dscnt 0x0
	v_pk_mul_f32 v[74:75], v[70:71], v[62:63] op_sel:[0,1]
	s_delay_alu instid0(VALU_DEP_1) | instskip(SKIP_2) | instid1(VALU_DEP_2)
	v_pk_fma_f32 v[76:77], v[70:71], v[60:61], v[74:75] op_sel:[0,0,1] op_sel_hi:[1,1,0] neg_lo:[0,0,1] neg_hi:[0,0,1]
	v_pk_fma_f32 v[70:71], v[70:71], v[60:61], v[74:75] op_sel:[0,0,1] op_sel_hi:[1,0,0]
	v_dual_mul_f32 v74, v73, v63 :: v_dual_mov_b32 v70, v73
	v_dual_mov_b32 v77, v71 :: v_dual_mov_b32 v71, v72
	s_delay_alu instid0(VALU_DEP_2) | instskip(SKIP_1) | instid1(VALU_DEP_3)
	v_pk_fma_f32 v[74:75], v[72:73], v[48:49], v[74:75] op_sel_hi:[1,1,0] neg_lo:[0,0,1] neg_hi:[0,0,1]
	v_mul_f32_e32 v72, v73, v60
	v_pk_add_f32 v[18:19], v[18:19], v[76:77] neg_lo:[0,1] neg_hi:[0,1]
	s_delay_alu instid0(VALU_DEP_2) | instskip(NEXT) | instid1(VALU_DEP_1)
	v_pk_fma_f32 v[70:71], v[70:71], v[48:49], v[72:73] op_sel_hi:[1,1,0]
	v_mov_b32_e32 v75, v71
	ds_load_2addr_b64 v[70:73], v64 offset0:17 offset1:18
	v_pk_add_f32 v[52:53], v[52:53], v[74:75] neg_lo:[0,1] neg_hi:[0,1]
	s_wait_dscnt 0x0
	v_pk_mul_f32 v[74:75], v[70:71], v[62:63] op_sel:[0,1]
	s_delay_alu instid0(VALU_DEP_1) | instskip(SKIP_1) | instid1(VALU_DEP_1)
	v_pk_fma_f32 v[76:77], v[70:71], v[60:61], v[74:75] op_sel:[0,0,1] op_sel_hi:[1,1,0] neg_lo:[0,0,1] neg_hi:[0,0,1]
	v_pk_fma_f32 v[70:71], v[70:71], v[60:61], v[74:75] op_sel:[0,0,1] op_sel_hi:[1,0,0]
	v_mov_b32_e32 v77, v71
	v_pk_mul_f32 v[70:71], v[72:73], v[62:63] op_sel:[0,1]
	s_delay_alu instid0(VALU_DEP_1) | instskip(SKIP_1) | instid1(VALU_DEP_1)
	v_pk_fma_f32 v[74:75], v[72:73], v[60:61], v[70:71] op_sel:[0,0,1] op_sel_hi:[1,1,0] neg_lo:[0,0,1] neg_hi:[0,0,1]
	v_pk_fma_f32 v[70:71], v[72:73], v[60:61], v[70:71] op_sel:[0,0,1] op_sel_hi:[1,0,0]
	v_mov_b32_e32 v75, v71
	ds_load_2addr_b64 v[70:73], v64 offset0:19 offset1:20
	v_pk_add_f32 v[50:51], v[50:51], v[76:77] neg_lo:[0,1] neg_hi:[0,1]
	v_pk_add_f32 v[26:27], v[26:27], v[74:75] neg_lo:[0,1] neg_hi:[0,1]
	s_wait_dscnt 0x0
	v_pk_mul_f32 v[74:75], v[70:71], v[62:63] op_sel:[0,1]
	s_delay_alu instid0(VALU_DEP_1) | instskip(SKIP_1) | instid1(VALU_DEP_1)
	v_pk_fma_f32 v[76:77], v[70:71], v[60:61], v[74:75] op_sel:[0,0,1] op_sel_hi:[1,1,0] neg_lo:[0,0,1] neg_hi:[0,0,1]
	v_pk_fma_f32 v[70:71], v[70:71], v[60:61], v[74:75] op_sel:[0,0,1] op_sel_hi:[1,0,0]
	v_mov_b32_e32 v77, v71
	v_pk_mul_f32 v[70:71], v[72:73], v[62:63] op_sel:[0,1]
	s_delay_alu instid0(VALU_DEP_1) | instskip(SKIP_1) | instid1(VALU_DEP_1)
	v_pk_fma_f32 v[74:75], v[72:73], v[60:61], v[70:71] op_sel:[0,0,1] op_sel_hi:[1,1,0] neg_lo:[0,0,1] neg_hi:[0,0,1]
	v_pk_fma_f32 v[70:71], v[72:73], v[60:61], v[70:71] op_sel:[0,0,1] op_sel_hi:[1,0,0]
	v_mov_b32_e32 v75, v71
	ds_load_2addr_b64 v[70:73], v64 offset0:21 offset1:22
	v_pk_add_f32 v[22:23], v[22:23], v[76:77] neg_lo:[0,1] neg_hi:[0,1]
	v_pk_add_f32 v[44:45], v[44:45], v[74:75] neg_lo:[0,1] neg_hi:[0,1]
	s_wait_dscnt 0x0
	v_dual_mul_f32 v74, v71, v63 :: v_dual_mul_f32 v76, v71, v60
	s_delay_alu instid0(VALU_DEP_1) | instskip(NEXT) | instid1(VALU_DEP_2)
	v_pk_fma_f32 v[74:75], v[70:71], v[48:49], v[74:75] op_sel_hi:[1,1,0] neg_lo:[0,0,1] neg_hi:[0,0,1]
	v_pk_fma_f32 v[70:71], v[70:71], v[48:49], v[76:77] op_sel:[1,0,0] op_sel_hi:[0,1,0]
	s_delay_alu instid0(VALU_DEP_1) | instskip(SKIP_1) | instid1(VALU_DEP_2)
	v_mov_b32_e32 v75, v71
	v_pk_mul_f32 v[70:71], v[72:73], v[62:63] op_sel:[0,1]
	v_pk_add_f32 v[42:43], v[42:43], v[74:75] neg_lo:[0,1] neg_hi:[0,1]
	s_delay_alu instid0(VALU_DEP_2) | instskip(SKIP_1) | instid1(VALU_DEP_1)
	v_pk_fma_f32 v[74:75], v[72:73], v[60:61], v[70:71] op_sel:[0,0,1] op_sel_hi:[1,1,0] neg_lo:[0,0,1] neg_hi:[0,0,1]
	v_pk_fma_f32 v[70:71], v[72:73], v[60:61], v[70:71] op_sel:[0,0,1] op_sel_hi:[1,0,0]
	v_mov_b32_e32 v75, v71
	ds_load_2addr_b64 v[70:73], v64 offset0:23 offset1:24
	v_pk_add_f32 v[32:33], v[32:33], v[74:75] neg_lo:[0,1] neg_hi:[0,1]
	s_wait_dscnt 0x0
	v_pk_mul_f32 v[74:75], v[70:71], v[62:63] op_sel:[0,1]
	s_delay_alu instid0(VALU_DEP_1) | instskip(SKIP_1) | instid1(VALU_DEP_1)
	v_pk_fma_f32 v[76:77], v[70:71], v[60:61], v[74:75] op_sel:[0,0,1] op_sel_hi:[1,1,0] neg_lo:[0,0,1] neg_hi:[0,0,1]
	v_pk_fma_f32 v[70:71], v[70:71], v[60:61], v[74:75] op_sel:[0,0,1] op_sel_hi:[1,0,0]
	v_mov_b32_e32 v77, v71
	v_pk_mul_f32 v[70:71], v[72:73], v[62:63] op_sel:[0,1]
	s_delay_alu instid0(VALU_DEP_2) | instskip(NEXT) | instid1(VALU_DEP_2)
	v_pk_add_f32 v[30:31], v[30:31], v[76:77] neg_lo:[0,1] neg_hi:[0,1]
	v_pk_fma_f32 v[74:75], v[72:73], v[60:61], v[70:71] op_sel:[0,0,1] op_sel_hi:[1,1,0] neg_lo:[0,0,1] neg_hi:[0,0,1]
	v_pk_fma_f32 v[70:71], v[72:73], v[60:61], v[70:71] op_sel:[0,0,1] op_sel_hi:[1,0,0]
	s_delay_alu instid0(VALU_DEP_1)
	v_mov_b32_e32 v75, v71
	ds_load_2addr_b64 v[70:73], v64 offset0:25 offset1:26
	v_pk_add_f32 v[36:37], v[36:37], v[74:75] neg_lo:[0,1] neg_hi:[0,1]
	s_wait_dscnt 0x0
	v_pk_mul_f32 v[74:75], v[70:71], v[62:63] op_sel:[0,1]
	v_pk_mul_f32 v[62:63], v[72:73], v[62:63] op_sel:[0,1]
	s_delay_alu instid0(VALU_DEP_2) | instskip(SKIP_1) | instid1(VALU_DEP_1)
	v_pk_fma_f32 v[76:77], v[70:71], v[60:61], v[74:75] op_sel:[0,0,1] op_sel_hi:[1,1,0] neg_lo:[0,0,1] neg_hi:[0,0,1]
	v_pk_fma_f32 v[70:71], v[70:71], v[60:61], v[74:75] op_sel:[0,0,1] op_sel_hi:[1,0,0]
	v_mov_b32_e32 v77, v71
	s_delay_alu instid0(VALU_DEP_4) | instskip(SKIP_1) | instid1(VALU_DEP_3)
	v_pk_fma_f32 v[70:71], v[72:73], v[60:61], v[62:63] op_sel:[0,0,1] op_sel_hi:[1,1,0] neg_lo:[0,0,1] neg_hi:[0,0,1]
	v_pk_fma_f32 v[60:61], v[72:73], v[60:61], v[62:63] op_sel:[0,0,1] op_sel_hi:[1,0,0]
	v_pk_add_f32 v[34:35], v[34:35], v[76:77] neg_lo:[0,1] neg_hi:[0,1]
	s_delay_alu instid0(VALU_DEP_2) | instskip(NEXT) | instid1(VALU_DEP_1)
	v_mov_b32_e32 v71, v61
	v_pk_add_f32 v[58:59], v[58:59], v[70:71] neg_lo:[0,1] neg_hi:[0,1]
.LBB52_272:
	s_or_b32 exec_lo, exec_lo, s0
	v_lshl_add_u32 v60, v68, 3, v64
	s_barrier_signal -1
	s_barrier_wait -1
	ds_store_b64 v60, v[46:47]
	s_wait_dscnt 0x0
	s_barrier_signal -1
	s_barrier_wait -1
	ds_load_b64 v[60:61], v64 offset:104
	v_mov_b32_e32 v62, 13
	s_cmp_lt_i32 s14, 15
	s_cbranch_scc1 .LBB52_275
; %bb.273:
	v_add3_u32 v63, v65, 0, 0x70
	v_mov_b32_e32 v62, 13
	s_mov_b32 s0, 14
.LBB52_274:                             ; =>This Inner Loop Header: Depth=1
	ds_load_b64 v[70:71], v63
	s_wait_dscnt 0x1
	v_cmp_gt_f32_e32 vcc_lo, 0, v60
	v_cndmask_b32_e64 v72, v60, -v60, vcc_lo
	v_cmp_gt_f32_e32 vcc_lo, 0, v61
	v_cndmask_b32_e64 v74, v61, -v61, vcc_lo
	s_wait_dscnt 0x0
	v_cmp_gt_f32_e32 vcc_lo, 0, v70
	v_cndmask_b32_e64 v73, v70, -v70, vcc_lo
	v_cmp_gt_f32_e32 vcc_lo, 0, v71
	v_cndmask_b32_e64 v75, v71, -v71, vcc_lo
	s_delay_alu instid0(VALU_DEP_1) | instskip(NEXT) | instid1(VALU_DEP_1)
	v_pk_add_f32 v[72:73], v[72:73], v[74:75]
	v_cmp_lt_f32_e32 vcc_lo, v72, v73
	v_dual_cndmask_b32 v60, v60, v70 :: v_dual_add_nc_u32 v63, 8, v63
	v_cndmask_b32_e32 v61, v61, v71, vcc_lo
	v_cndmask_b32_e64 v62, v62, s0, vcc_lo
	s_add_co_i32 s0, s0, 1
	s_delay_alu instid0(SALU_CYCLE_1)
	s_cmp_lg_u32 s14, s0
	s_cbranch_scc1 .LBB52_274
.LBB52_275:
	s_wait_dscnt 0x0
	v_cmp_eq_f32_e32 vcc_lo, 0, v60
	v_cmp_eq_f32_e64 s0, 0, v61
	s_and_b32 s0, vcc_lo, s0
	s_delay_alu instid0(SALU_CYCLE_1) | instskip(NEXT) | instid1(SALU_CYCLE_1)
	s_and_saveexec_b32 s1, s0
	s_xor_b32 s0, exec_lo, s1
; %bb.276:
	v_cmp_ne_u32_e32 vcc_lo, 0, v66
	v_cndmask_b32_e32 v66, 14, v66, vcc_lo
; %bb.277:
	s_and_not1_saveexec_b32 s0, s0
	s_cbranch_execz .LBB52_283
; %bb.278:
	v_cmp_ngt_f32_e64 s1, |v60|, |v61|
	s_and_saveexec_b32 s15, s1
	s_delay_alu instid0(SALU_CYCLE_1)
	s_xor_b32 s1, exec_lo, s15
	s_cbranch_execz .LBB52_280
; %bb.279:
	v_div_scale_f32 v63, null, v61, v61, v60
	v_div_scale_f32 v71, vcc_lo, v60, v61, v60
	s_delay_alu instid0(VALU_DEP_2) | instskip(SKIP_1) | instid1(TRANS32_DEP_1)
	v_rcp_f32_e32 v69, v63
	v_nop
	v_fma_f32 v70, -v63, v69, 1.0
	s_delay_alu instid0(VALU_DEP_1) | instskip(NEXT) | instid1(VALU_DEP_1)
	v_fmac_f32_e32 v69, v70, v69
	v_mul_f32_e32 v70, v71, v69
	s_delay_alu instid0(VALU_DEP_1) | instskip(NEXT) | instid1(VALU_DEP_1)
	v_fma_f32 v72, -v63, v70, v71
	v_fmac_f32_e32 v70, v72, v69
	s_delay_alu instid0(VALU_DEP_1) | instskip(NEXT) | instid1(VALU_DEP_1)
	v_fma_f32 v63, -v63, v70, v71
	v_div_fmas_f32 v63, v63, v69, v70
	s_delay_alu instid0(VALU_DEP_1) | instskip(NEXT) | instid1(VALU_DEP_1)
	v_div_fixup_f32 v63, v63, v61, v60
	v_fmac_f32_e32 v61, v60, v63
	s_delay_alu instid0(VALU_DEP_1) | instskip(SKIP_1) | instid1(VALU_DEP_2)
	v_div_scale_f32 v60, null, v61, v61, 1.0
	v_div_scale_f32 v71, vcc_lo, 1.0, v61, 1.0
	v_rcp_f32_e32 v69, v60
	v_nop
	s_delay_alu instid0(TRANS32_DEP_1) | instskip(NEXT) | instid1(VALU_DEP_1)
	v_fma_f32 v70, -v60, v69, 1.0
	v_fmac_f32_e32 v69, v70, v69
	s_delay_alu instid0(VALU_DEP_1) | instskip(NEXT) | instid1(VALU_DEP_1)
	v_mul_f32_e32 v70, v71, v69
	v_fma_f32 v72, -v60, v70, v71
	s_delay_alu instid0(VALU_DEP_1) | instskip(NEXT) | instid1(VALU_DEP_1)
	v_fmac_f32_e32 v70, v72, v69
	v_fma_f32 v60, -v60, v70, v71
	s_delay_alu instid0(VALU_DEP_1) | instskip(NEXT) | instid1(VALU_DEP_1)
	v_div_fmas_f32 v60, v60, v69, v70
	v_div_fixup_f32 v61, v60, v61, 1.0
	s_delay_alu instid0(VALU_DEP_1)
	v_mul_f32_e32 v60, v63, v61
	v_xor_b32_e32 v61, 0x80000000, v61
.LBB52_280:
	s_and_not1_saveexec_b32 s1, s1
	s_cbranch_execz .LBB52_282
; %bb.281:
	s_delay_alu instid0(VALU_DEP_1) | instskip(SKIP_1) | instid1(VALU_DEP_2)
	v_div_scale_f32 v63, null, v60, v60, v61
	v_div_scale_f32 v71, vcc_lo, v61, v60, v61
	v_rcp_f32_e32 v69, v63
	v_nop
	s_delay_alu instid0(TRANS32_DEP_1) | instskip(NEXT) | instid1(VALU_DEP_1)
	v_fma_f32 v70, -v63, v69, 1.0
	v_fmac_f32_e32 v69, v70, v69
	s_delay_alu instid0(VALU_DEP_1) | instskip(NEXT) | instid1(VALU_DEP_1)
	v_mul_f32_e32 v70, v71, v69
	v_fma_f32 v72, -v63, v70, v71
	s_delay_alu instid0(VALU_DEP_1) | instskip(NEXT) | instid1(VALU_DEP_1)
	v_fmac_f32_e32 v70, v72, v69
	v_fma_f32 v63, -v63, v70, v71
	s_delay_alu instid0(VALU_DEP_1) | instskip(NEXT) | instid1(VALU_DEP_1)
	v_div_fmas_f32 v63, v63, v69, v70
	v_div_fixup_f32 v63, v63, v60, v61
	s_delay_alu instid0(VALU_DEP_1) | instskip(NEXT) | instid1(VALU_DEP_1)
	v_fmac_f32_e32 v60, v61, v63
	v_div_scale_f32 v61, null, v60, v60, 1.0
	s_delay_alu instid0(VALU_DEP_1) | instskip(SKIP_1) | instid1(TRANS32_DEP_1)
	v_rcp_f32_e32 v69, v61
	v_nop
	v_fma_f32 v70, -v61, v69, 1.0
	s_delay_alu instid0(VALU_DEP_1) | instskip(SKIP_1) | instid1(VALU_DEP_1)
	v_fmac_f32_e32 v69, v70, v69
	v_div_scale_f32 v70, vcc_lo, 1.0, v60, 1.0
	v_mul_f32_e32 v71, v70, v69
	s_delay_alu instid0(VALU_DEP_1) | instskip(NEXT) | instid1(VALU_DEP_1)
	v_fma_f32 v72, -v61, v71, v70
	v_fmac_f32_e32 v71, v72, v69
	s_delay_alu instid0(VALU_DEP_1) | instskip(NEXT) | instid1(VALU_DEP_1)
	v_fma_f32 v61, -v61, v71, v70
	v_div_fmas_f32 v61, v61, v69, v71
	s_delay_alu instid0(VALU_DEP_1) | instskip(NEXT) | instid1(VALU_DEP_1)
	v_div_fixup_f32 v60, v61, v60, 1.0
	v_mul_f32_e64 v61, v63, -v60
.LBB52_282:
	s_or_b32 exec_lo, exec_lo, s1
.LBB52_283:
	s_delay_alu instid0(SALU_CYCLE_1) | instskip(NEXT) | instid1(SALU_CYCLE_1)
	s_or_b32 exec_lo, exec_lo, s0
	s_mov_b32 s0, exec_lo
	v_cmpx_ne_u32_e64 v68, v62
	s_xor_b32 s0, exec_lo, s0
	s_cbranch_execz .LBB52_289
; %bb.284:
	s_mov_b32 s1, exec_lo
	v_cmpx_eq_u32_e32 13, v68
	s_cbranch_execz .LBB52_288
; %bb.285:
	v_cmp_ne_u32_e32 vcc_lo, 13, v62
	s_xor_b32 s15, s2, -1
	s_delay_alu instid0(SALU_CYCLE_1) | instskip(NEXT) | instid1(SALU_CYCLE_1)
	s_and_b32 s16, s15, vcc_lo
	s_and_saveexec_b32 s15, s16
	s_cbranch_execz .LBB52_287
; %bb.286:
	v_ashrrev_i32_e32 v63, 31, v62
	s_delay_alu instid0(VALU_DEP_1)
	v_lshl_add_u64 v[68:69], v[62:63], 2, v[4:5]
	s_clause 0x1
	global_load_b32 v63, v[68:69], off
	global_load_b32 v67, v[4:5], off offset:52
	s_wait_loadcnt 0x1
	global_store_b32 v[4:5], v63, off offset:52
	s_wait_loadcnt 0x0
	global_store_b32 v[68:69], v67, off
.LBB52_287:
	s_wait_xcnt 0x0
	s_or_b32 exec_lo, exec_lo, s15
	v_dual_mov_b32 v68, v62 :: v_dual_mov_b32 v67, v62
.LBB52_288:
	s_or_b32 exec_lo, exec_lo, s1
.LBB52_289:
	s_and_not1_saveexec_b32 s0, s0
	s_cbranch_execz .LBB52_291
; %bb.290:
	v_dual_mov_b32 v62, v20 :: v_dual_mov_b32 v63, v21
	v_dual_mov_b32 v68, v18 :: v_dual_mov_b32 v69, v19
	ds_store_2addr_b64 v64, v[62:63], v[68:69] offset0:14 offset1:15
	v_dual_mov_b32 v62, v52 :: v_dual_mov_b32 v63, v53
	v_dual_mov_b32 v68, v50 :: v_dual_mov_b32 v69, v51
	ds_store_2addr_b64 v64, v[62:63], v[68:69] offset0:16 offset1:17
	;; [unrolled: 3-line block ×6, first 2 shown]
	ds_store_b64 v64, v[58:59] offset:208
	v_mov_b32_e32 v68, 13
.LBB52_291:
	s_or_b32 exec_lo, exec_lo, s0
	s_delay_alu instid0(SALU_CYCLE_1)
	s_mov_b32 s0, exec_lo
	s_wait_storecnt_dscnt 0x0
	s_barrier_signal -1
	s_barrier_wait -1
	v_cmpx_lt_i32_e32 13, v68
	s_cbranch_execz .LBB52_293
; %bb.292:
	v_pk_mul_f32 v[62:63], v[60:61], v[46:47] op_sel:[1,1] op_sel_hi:[0,1]
	s_delay_alu instid0(VALU_DEP_1)
	v_pk_fma_f32 v[70:71], v[60:61], v[46:47], v[62:63] op_sel_hi:[1,0,1] neg_lo:[0,0,1] neg_hi:[0,0,1]
	v_pk_fma_f32 v[72:73], v[60:61], v[46:47], v[62:63] op_sel_hi:[1,0,1]
	ds_load_2addr_b64 v[60:63], v64 offset0:14 offset1:15
	v_dual_mov_b32 v46, v70 :: v_dual_mov_b32 v47, v73
	s_wait_dscnt 0x0
	v_pk_mul_f32 v[74:75], v[60:61], v[72:73] op_sel:[0,1]
	s_delay_alu instid0(VALU_DEP_1) | instskip(SKIP_1) | instid1(VALU_DEP_1)
	v_pk_fma_f32 v[76:77], v[60:61], v[70:71], v[74:75] op_sel:[0,0,1] op_sel_hi:[1,1,0] neg_lo:[0,0,1] neg_hi:[0,0,1]
	v_pk_fma_f32 v[60:61], v[60:61], v[70:71], v[74:75] op_sel:[0,0,1] op_sel_hi:[1,0,0]
	v_mov_b32_e32 v77, v61
	v_pk_mul_f32 v[60:61], v[62:63], v[72:73] op_sel:[0,1]
	s_delay_alu instid0(VALU_DEP_1) | instskip(SKIP_1) | instid1(VALU_DEP_1)
	v_pk_fma_f32 v[74:75], v[62:63], v[70:71], v[60:61] op_sel:[0,0,1] op_sel_hi:[1,1,0] neg_lo:[0,0,1] neg_hi:[0,0,1]
	v_pk_fma_f32 v[60:61], v[62:63], v[70:71], v[60:61] op_sel:[0,0,1] op_sel_hi:[1,0,0]
	v_mov_b32_e32 v75, v61
	ds_load_2addr_b64 v[60:63], v64 offset0:16 offset1:17
	v_pk_add_f32 v[20:21], v[20:21], v[76:77] neg_lo:[0,1] neg_hi:[0,1]
	v_pk_add_f32 v[18:19], v[18:19], v[74:75] neg_lo:[0,1] neg_hi:[0,1]
	s_wait_dscnt 0x0
	v_pk_mul_f32 v[74:75], v[60:61], v[72:73] op_sel:[0,1]
	s_delay_alu instid0(VALU_DEP_1) | instskip(SKIP_2) | instid1(VALU_DEP_2)
	v_pk_fma_f32 v[76:77], v[60:61], v[70:71], v[74:75] op_sel:[0,0,1] op_sel_hi:[1,1,0] neg_lo:[0,0,1] neg_hi:[0,0,1]
	v_pk_fma_f32 v[60:61], v[60:61], v[70:71], v[74:75] op_sel:[0,0,1] op_sel_hi:[1,0,0]
	v_dual_mul_f32 v74, v63, v73 :: v_dual_mov_b32 v60, v63
	v_dual_mov_b32 v77, v61 :: v_dual_mov_b32 v61, v62
	s_delay_alu instid0(VALU_DEP_2) | instskip(SKIP_1) | instid1(VALU_DEP_3)
	v_pk_fma_f32 v[74:75], v[62:63], v[46:47], v[74:75] op_sel_hi:[1,1,0] neg_lo:[0,0,1] neg_hi:[0,0,1]
	v_mul_f32_e32 v62, v63, v70
	v_pk_add_f32 v[52:53], v[52:53], v[76:77] neg_lo:[0,1] neg_hi:[0,1]
	s_delay_alu instid0(VALU_DEP_2) | instskip(NEXT) | instid1(VALU_DEP_1)
	v_pk_fma_f32 v[60:61], v[60:61], v[46:47], v[62:63] op_sel_hi:[1,1,0]
	v_mov_b32_e32 v75, v61
	ds_load_2addr_b64 v[60:63], v64 offset0:18 offset1:19
	v_pk_add_f32 v[50:51], v[50:51], v[74:75] neg_lo:[0,1] neg_hi:[0,1]
	s_wait_dscnt 0x0
	v_pk_mul_f32 v[74:75], v[60:61], v[72:73] op_sel:[0,1]
	s_delay_alu instid0(VALU_DEP_1) | instskip(SKIP_1) | instid1(VALU_DEP_1)
	v_pk_fma_f32 v[76:77], v[60:61], v[70:71], v[74:75] op_sel:[0,0,1] op_sel_hi:[1,1,0] neg_lo:[0,0,1] neg_hi:[0,0,1]
	v_pk_fma_f32 v[60:61], v[60:61], v[70:71], v[74:75] op_sel:[0,0,1] op_sel_hi:[1,0,0]
	v_mov_b32_e32 v77, v61
	v_pk_mul_f32 v[60:61], v[62:63], v[72:73] op_sel:[0,1]
	s_delay_alu instid0(VALU_DEP_1) | instskip(SKIP_1) | instid1(VALU_DEP_1)
	v_pk_fma_f32 v[74:75], v[62:63], v[70:71], v[60:61] op_sel:[0,0,1] op_sel_hi:[1,1,0] neg_lo:[0,0,1] neg_hi:[0,0,1]
	v_pk_fma_f32 v[60:61], v[62:63], v[70:71], v[60:61] op_sel:[0,0,1] op_sel_hi:[1,0,0]
	v_mov_b32_e32 v75, v61
	ds_load_2addr_b64 v[60:63], v64 offset0:20 offset1:21
	v_pk_add_f32 v[26:27], v[26:27], v[76:77] neg_lo:[0,1] neg_hi:[0,1]
	v_pk_add_f32 v[22:23], v[22:23], v[74:75] neg_lo:[0,1] neg_hi:[0,1]
	s_wait_dscnt 0x0
	v_pk_mul_f32 v[74:75], v[60:61], v[72:73] op_sel:[0,1]
	s_delay_alu instid0(VALU_DEP_1) | instskip(SKIP_1) | instid1(VALU_DEP_1)
	v_pk_fma_f32 v[76:77], v[60:61], v[70:71], v[74:75] op_sel:[0,0,1] op_sel_hi:[1,1,0] neg_lo:[0,0,1] neg_hi:[0,0,1]
	v_pk_fma_f32 v[60:61], v[60:61], v[70:71], v[74:75] op_sel:[0,0,1] op_sel_hi:[1,0,0]
	v_mov_b32_e32 v77, v61
	v_pk_mul_f32 v[60:61], v[62:63], v[72:73] op_sel:[0,1]
	s_delay_alu instid0(VALU_DEP_1) | instskip(SKIP_1) | instid1(VALU_DEP_1)
	v_pk_fma_f32 v[74:75], v[62:63], v[70:71], v[60:61] op_sel:[0,0,1] op_sel_hi:[1,1,0] neg_lo:[0,0,1] neg_hi:[0,0,1]
	v_pk_fma_f32 v[60:61], v[62:63], v[70:71], v[60:61] op_sel:[0,0,1] op_sel_hi:[1,0,0]
	v_mov_b32_e32 v75, v61
	ds_load_2addr_b64 v[60:63], v64 offset0:22 offset1:23
	v_pk_add_f32 v[44:45], v[44:45], v[76:77] neg_lo:[0,1] neg_hi:[0,1]
	v_pk_add_f32 v[42:43], v[42:43], v[74:75] neg_lo:[0,1] neg_hi:[0,1]
	s_wait_dscnt 0x0
	v_dual_mul_f32 v74, v61, v73 :: v_dual_mul_f32 v76, v61, v70
	s_delay_alu instid0(VALU_DEP_1) | instskip(NEXT) | instid1(VALU_DEP_2)
	v_pk_fma_f32 v[74:75], v[60:61], v[46:47], v[74:75] op_sel_hi:[1,1,0] neg_lo:[0,0,1] neg_hi:[0,0,1]
	v_pk_fma_f32 v[60:61], v[60:61], v[46:47], v[76:77] op_sel:[1,0,0] op_sel_hi:[0,1,0]
	s_delay_alu instid0(VALU_DEP_1) | instskip(SKIP_1) | instid1(VALU_DEP_2)
	v_mov_b32_e32 v75, v61
	v_pk_mul_f32 v[60:61], v[62:63], v[72:73] op_sel:[0,1]
	v_pk_add_f32 v[32:33], v[32:33], v[74:75] neg_lo:[0,1] neg_hi:[0,1]
	s_delay_alu instid0(VALU_DEP_2) | instskip(SKIP_1) | instid1(VALU_DEP_1)
	v_pk_fma_f32 v[74:75], v[62:63], v[70:71], v[60:61] op_sel:[0,0,1] op_sel_hi:[1,1,0] neg_lo:[0,0,1] neg_hi:[0,0,1]
	v_pk_fma_f32 v[60:61], v[62:63], v[70:71], v[60:61] op_sel:[0,0,1] op_sel_hi:[1,0,0]
	v_mov_b32_e32 v75, v61
	ds_load_2addr_b64 v[60:63], v64 offset0:24 offset1:25
	v_pk_add_f32 v[30:31], v[30:31], v[74:75] neg_lo:[0,1] neg_hi:[0,1]
	s_wait_dscnt 0x0
	v_pk_mul_f32 v[74:75], v[60:61], v[72:73] op_sel:[0,1]
	s_delay_alu instid0(VALU_DEP_1) | instskip(SKIP_1) | instid1(VALU_DEP_1)
	v_pk_fma_f32 v[76:77], v[60:61], v[70:71], v[74:75] op_sel:[0,0,1] op_sel_hi:[1,1,0] neg_lo:[0,0,1] neg_hi:[0,0,1]
	v_pk_fma_f32 v[60:61], v[60:61], v[70:71], v[74:75] op_sel:[0,0,1] op_sel_hi:[1,0,0]
	v_mov_b32_e32 v77, v61
	v_pk_mul_f32 v[60:61], v[62:63], v[72:73] op_sel:[0,1]
	s_delay_alu instid0(VALU_DEP_2) | instskip(NEXT) | instid1(VALU_DEP_2)
	v_pk_add_f32 v[36:37], v[36:37], v[76:77] neg_lo:[0,1] neg_hi:[0,1]
	v_pk_fma_f32 v[74:75], v[62:63], v[70:71], v[60:61] op_sel:[0,0,1] op_sel_hi:[1,1,0] neg_lo:[0,0,1] neg_hi:[0,0,1]
	v_pk_fma_f32 v[60:61], v[62:63], v[70:71], v[60:61] op_sel:[0,0,1] op_sel_hi:[1,0,0]
	s_delay_alu instid0(VALU_DEP_1) | instskip(SKIP_4) | instid1(VALU_DEP_1)
	v_mov_b32_e32 v75, v61
	ds_load_b64 v[60:61], v64 offset:208
	v_pk_add_f32 v[34:35], v[34:35], v[74:75] neg_lo:[0,1] neg_hi:[0,1]
	s_wait_dscnt 0x0
	v_pk_mul_f32 v[62:63], v[60:61], v[72:73] op_sel:[0,1]
	v_pk_fma_f32 v[72:73], v[60:61], v[70:71], v[62:63] op_sel:[0,0,1] op_sel_hi:[1,1,0] neg_lo:[0,0,1] neg_hi:[0,0,1]
	v_pk_fma_f32 v[60:61], v[60:61], v[70:71], v[62:63] op_sel:[0,0,1] op_sel_hi:[1,0,0]
	s_delay_alu instid0(VALU_DEP_1) | instskip(NEXT) | instid1(VALU_DEP_1)
	v_mov_b32_e32 v73, v61
	v_pk_add_f32 v[58:59], v[58:59], v[72:73] neg_lo:[0,1] neg_hi:[0,1]
.LBB52_293:
	s_or_b32 exec_lo, exec_lo, s0
	v_lshl_add_u32 v60, v68, 3, v64
	s_barrier_signal -1
	s_barrier_wait -1
	ds_store_b64 v60, v[20:21]
	s_wait_dscnt 0x0
	s_barrier_signal -1
	s_barrier_wait -1
	ds_load_b64 v[60:61], v64 offset:112
	v_mov_b32_e32 v62, 14
	s_cmp_lt_i32 s14, 16
	s_cbranch_scc1 .LBB52_296
; %bb.294:
	v_add3_u32 v63, v65, 0, 0x78
	v_mov_b32_e32 v62, 14
	s_mov_b32 s0, 15
.LBB52_295:                             ; =>This Inner Loop Header: Depth=1
	ds_load_b64 v[70:71], v63
	s_wait_dscnt 0x1
	v_cmp_gt_f32_e32 vcc_lo, 0, v60
	v_cndmask_b32_e64 v72, v60, -v60, vcc_lo
	v_cmp_gt_f32_e32 vcc_lo, 0, v61
	v_cndmask_b32_e64 v74, v61, -v61, vcc_lo
	s_wait_dscnt 0x0
	v_cmp_gt_f32_e32 vcc_lo, 0, v70
	v_cndmask_b32_e64 v73, v70, -v70, vcc_lo
	v_cmp_gt_f32_e32 vcc_lo, 0, v71
	v_cndmask_b32_e64 v75, v71, -v71, vcc_lo
	s_delay_alu instid0(VALU_DEP_1) | instskip(NEXT) | instid1(VALU_DEP_1)
	v_pk_add_f32 v[72:73], v[72:73], v[74:75]
	v_cmp_lt_f32_e32 vcc_lo, v72, v73
	v_dual_cndmask_b32 v60, v60, v70 :: v_dual_add_nc_u32 v63, 8, v63
	v_cndmask_b32_e32 v61, v61, v71, vcc_lo
	v_cndmask_b32_e64 v62, v62, s0, vcc_lo
	s_add_co_i32 s0, s0, 1
	s_delay_alu instid0(SALU_CYCLE_1)
	s_cmp_lg_u32 s14, s0
	s_cbranch_scc1 .LBB52_295
.LBB52_296:
	s_wait_dscnt 0x0
	v_cmp_eq_f32_e32 vcc_lo, 0, v60
	v_cmp_eq_f32_e64 s0, 0, v61
	s_and_b32 s0, vcc_lo, s0
	s_delay_alu instid0(SALU_CYCLE_1) | instskip(NEXT) | instid1(SALU_CYCLE_1)
	s_and_saveexec_b32 s1, s0
	s_xor_b32 s0, exec_lo, s1
; %bb.297:
	v_cmp_ne_u32_e32 vcc_lo, 0, v66
	v_cndmask_b32_e32 v66, 15, v66, vcc_lo
; %bb.298:
	s_and_not1_saveexec_b32 s0, s0
	s_cbranch_execz .LBB52_304
; %bb.299:
	v_cmp_ngt_f32_e64 s1, |v60|, |v61|
	s_and_saveexec_b32 s15, s1
	s_delay_alu instid0(SALU_CYCLE_1)
	s_xor_b32 s1, exec_lo, s15
	s_cbranch_execz .LBB52_301
; %bb.300:
	v_div_scale_f32 v63, null, v61, v61, v60
	v_div_scale_f32 v71, vcc_lo, v60, v61, v60
	s_delay_alu instid0(VALU_DEP_2) | instskip(SKIP_1) | instid1(TRANS32_DEP_1)
	v_rcp_f32_e32 v69, v63
	v_nop
	v_fma_f32 v70, -v63, v69, 1.0
	s_delay_alu instid0(VALU_DEP_1) | instskip(NEXT) | instid1(VALU_DEP_1)
	v_fmac_f32_e32 v69, v70, v69
	v_mul_f32_e32 v70, v71, v69
	s_delay_alu instid0(VALU_DEP_1) | instskip(NEXT) | instid1(VALU_DEP_1)
	v_fma_f32 v72, -v63, v70, v71
	v_fmac_f32_e32 v70, v72, v69
	s_delay_alu instid0(VALU_DEP_1) | instskip(NEXT) | instid1(VALU_DEP_1)
	v_fma_f32 v63, -v63, v70, v71
	v_div_fmas_f32 v63, v63, v69, v70
	s_delay_alu instid0(VALU_DEP_1) | instskip(NEXT) | instid1(VALU_DEP_1)
	v_div_fixup_f32 v63, v63, v61, v60
	v_fmac_f32_e32 v61, v60, v63
	s_delay_alu instid0(VALU_DEP_1) | instskip(SKIP_1) | instid1(VALU_DEP_2)
	v_div_scale_f32 v60, null, v61, v61, 1.0
	v_div_scale_f32 v71, vcc_lo, 1.0, v61, 1.0
	v_rcp_f32_e32 v69, v60
	v_nop
	s_delay_alu instid0(TRANS32_DEP_1) | instskip(NEXT) | instid1(VALU_DEP_1)
	v_fma_f32 v70, -v60, v69, 1.0
	v_fmac_f32_e32 v69, v70, v69
	s_delay_alu instid0(VALU_DEP_1) | instskip(NEXT) | instid1(VALU_DEP_1)
	v_mul_f32_e32 v70, v71, v69
	v_fma_f32 v72, -v60, v70, v71
	s_delay_alu instid0(VALU_DEP_1) | instskip(NEXT) | instid1(VALU_DEP_1)
	v_fmac_f32_e32 v70, v72, v69
	v_fma_f32 v60, -v60, v70, v71
	s_delay_alu instid0(VALU_DEP_1) | instskip(NEXT) | instid1(VALU_DEP_1)
	v_div_fmas_f32 v60, v60, v69, v70
	v_div_fixup_f32 v61, v60, v61, 1.0
	s_delay_alu instid0(VALU_DEP_1)
	v_mul_f32_e32 v60, v63, v61
	v_xor_b32_e32 v61, 0x80000000, v61
.LBB52_301:
	s_and_not1_saveexec_b32 s1, s1
	s_cbranch_execz .LBB52_303
; %bb.302:
	s_delay_alu instid0(VALU_DEP_1) | instskip(SKIP_1) | instid1(VALU_DEP_2)
	v_div_scale_f32 v63, null, v60, v60, v61
	v_div_scale_f32 v71, vcc_lo, v61, v60, v61
	v_rcp_f32_e32 v69, v63
	v_nop
	s_delay_alu instid0(TRANS32_DEP_1) | instskip(NEXT) | instid1(VALU_DEP_1)
	v_fma_f32 v70, -v63, v69, 1.0
	v_fmac_f32_e32 v69, v70, v69
	s_delay_alu instid0(VALU_DEP_1) | instskip(NEXT) | instid1(VALU_DEP_1)
	v_mul_f32_e32 v70, v71, v69
	v_fma_f32 v72, -v63, v70, v71
	s_delay_alu instid0(VALU_DEP_1) | instskip(NEXT) | instid1(VALU_DEP_1)
	v_fmac_f32_e32 v70, v72, v69
	v_fma_f32 v63, -v63, v70, v71
	s_delay_alu instid0(VALU_DEP_1) | instskip(NEXT) | instid1(VALU_DEP_1)
	v_div_fmas_f32 v63, v63, v69, v70
	v_div_fixup_f32 v63, v63, v60, v61
	s_delay_alu instid0(VALU_DEP_1) | instskip(NEXT) | instid1(VALU_DEP_1)
	v_fmac_f32_e32 v60, v61, v63
	v_div_scale_f32 v61, null, v60, v60, 1.0
	s_delay_alu instid0(VALU_DEP_1) | instskip(SKIP_1) | instid1(TRANS32_DEP_1)
	v_rcp_f32_e32 v69, v61
	v_nop
	v_fma_f32 v70, -v61, v69, 1.0
	s_delay_alu instid0(VALU_DEP_1) | instskip(SKIP_1) | instid1(VALU_DEP_1)
	v_fmac_f32_e32 v69, v70, v69
	v_div_scale_f32 v70, vcc_lo, 1.0, v60, 1.0
	v_mul_f32_e32 v71, v70, v69
	s_delay_alu instid0(VALU_DEP_1) | instskip(NEXT) | instid1(VALU_DEP_1)
	v_fma_f32 v72, -v61, v71, v70
	v_fmac_f32_e32 v71, v72, v69
	s_delay_alu instid0(VALU_DEP_1) | instskip(NEXT) | instid1(VALU_DEP_1)
	v_fma_f32 v61, -v61, v71, v70
	v_div_fmas_f32 v61, v61, v69, v71
	s_delay_alu instid0(VALU_DEP_1) | instskip(NEXT) | instid1(VALU_DEP_1)
	v_div_fixup_f32 v60, v61, v60, 1.0
	v_mul_f32_e64 v61, v63, -v60
.LBB52_303:
	s_or_b32 exec_lo, exec_lo, s1
.LBB52_304:
	s_delay_alu instid0(SALU_CYCLE_1) | instskip(NEXT) | instid1(SALU_CYCLE_1)
	s_or_b32 exec_lo, exec_lo, s0
	s_mov_b32 s0, exec_lo
	v_cmpx_ne_u32_e64 v68, v62
	s_xor_b32 s0, exec_lo, s0
	s_cbranch_execz .LBB52_310
; %bb.305:
	s_mov_b32 s1, exec_lo
	v_cmpx_eq_u32_e32 14, v68
	s_cbranch_execz .LBB52_309
; %bb.306:
	v_cmp_ne_u32_e32 vcc_lo, 14, v62
	s_xor_b32 s15, s2, -1
	s_delay_alu instid0(SALU_CYCLE_1) | instskip(NEXT) | instid1(SALU_CYCLE_1)
	s_and_b32 s16, s15, vcc_lo
	s_and_saveexec_b32 s15, s16
	s_cbranch_execz .LBB52_308
; %bb.307:
	v_ashrrev_i32_e32 v63, 31, v62
	s_delay_alu instid0(VALU_DEP_1)
	v_lshl_add_u64 v[68:69], v[62:63], 2, v[4:5]
	s_clause 0x1
	global_load_b32 v63, v[68:69], off
	global_load_b32 v67, v[4:5], off offset:56
	s_wait_loadcnt 0x1
	global_store_b32 v[4:5], v63, off offset:56
	s_wait_loadcnt 0x0
	global_store_b32 v[68:69], v67, off
.LBB52_308:
	s_wait_xcnt 0x0
	s_or_b32 exec_lo, exec_lo, s15
	v_dual_mov_b32 v68, v62 :: v_dual_mov_b32 v67, v62
.LBB52_309:
	s_or_b32 exec_lo, exec_lo, s1
.LBB52_310:
	s_and_not1_saveexec_b32 s0, s0
	s_cbranch_execz .LBB52_312
; %bb.311:
	v_mov_b32_e32 v68, 14
	ds_store_2addr_b64 v64, v[18:19], v[52:53] offset0:15 offset1:16
	ds_store_2addr_b64 v64, v[50:51], v[26:27] offset0:17 offset1:18
	;; [unrolled: 1-line block ×6, first 2 shown]
.LBB52_312:
	s_or_b32 exec_lo, exec_lo, s0
	s_delay_alu instid0(SALU_CYCLE_1)
	s_mov_b32 s0, exec_lo
	s_wait_storecnt_dscnt 0x0
	s_barrier_signal -1
	s_barrier_wait -1
	v_cmpx_lt_i32_e32 14, v68
	s_cbranch_execz .LBB52_314
; %bb.313:
	v_pk_mul_f32 v[62:63], v[60:61], v[20:21] op_sel:[1,1] op_sel_hi:[0,1]
	s_delay_alu instid0(VALU_DEP_1)
	v_pk_fma_f32 v[70:71], v[60:61], v[20:21], v[62:63] op_sel_hi:[1,0,1] neg_lo:[0,0,1] neg_hi:[0,0,1]
	v_pk_fma_f32 v[72:73], v[60:61], v[20:21], v[62:63] op_sel_hi:[1,0,1]
	ds_load_2addr_b64 v[60:63], v64 offset0:15 offset1:16
	v_dual_mov_b32 v20, v70 :: v_dual_mov_b32 v21, v73
	s_wait_dscnt 0x0
	v_pk_mul_f32 v[74:75], v[60:61], v[72:73] op_sel:[0,1]
	s_delay_alu instid0(VALU_DEP_1) | instskip(SKIP_1) | instid1(VALU_DEP_1)
	v_pk_fma_f32 v[76:77], v[60:61], v[70:71], v[74:75] op_sel:[0,0,1] op_sel_hi:[1,1,0] neg_lo:[0,0,1] neg_hi:[0,0,1]
	v_pk_fma_f32 v[60:61], v[60:61], v[70:71], v[74:75] op_sel:[0,0,1] op_sel_hi:[1,0,0]
	v_mov_b32_e32 v77, v61
	v_pk_mul_f32 v[60:61], v[62:63], v[72:73] op_sel:[0,1]
	s_delay_alu instid0(VALU_DEP_1) | instskip(SKIP_1) | instid1(VALU_DEP_1)
	v_pk_fma_f32 v[74:75], v[62:63], v[70:71], v[60:61] op_sel:[0,0,1] op_sel_hi:[1,1,0] neg_lo:[0,0,1] neg_hi:[0,0,1]
	v_pk_fma_f32 v[60:61], v[62:63], v[70:71], v[60:61] op_sel:[0,0,1] op_sel_hi:[1,0,0]
	v_mov_b32_e32 v75, v61
	ds_load_2addr_b64 v[60:63], v64 offset0:17 offset1:18
	v_pk_add_f32 v[18:19], v[18:19], v[76:77] neg_lo:[0,1] neg_hi:[0,1]
	v_pk_add_f32 v[52:53], v[52:53], v[74:75] neg_lo:[0,1] neg_hi:[0,1]
	s_wait_dscnt 0x0
	v_pk_mul_f32 v[74:75], v[60:61], v[72:73] op_sel:[0,1]
	s_delay_alu instid0(VALU_DEP_1) | instskip(SKIP_2) | instid1(VALU_DEP_2)
	v_pk_fma_f32 v[76:77], v[60:61], v[70:71], v[74:75] op_sel:[0,0,1] op_sel_hi:[1,1,0] neg_lo:[0,0,1] neg_hi:[0,0,1]
	v_pk_fma_f32 v[60:61], v[60:61], v[70:71], v[74:75] op_sel:[0,0,1] op_sel_hi:[1,0,0]
	v_dual_mul_f32 v74, v63, v73 :: v_dual_mov_b32 v60, v63
	v_dual_mov_b32 v77, v61 :: v_dual_mov_b32 v61, v62
	s_delay_alu instid0(VALU_DEP_2) | instskip(SKIP_1) | instid1(VALU_DEP_3)
	v_pk_fma_f32 v[74:75], v[62:63], v[20:21], v[74:75] op_sel_hi:[1,1,0] neg_lo:[0,0,1] neg_hi:[0,0,1]
	v_mul_f32_e32 v62, v63, v70
	v_pk_add_f32 v[50:51], v[50:51], v[76:77] neg_lo:[0,1] neg_hi:[0,1]
	s_delay_alu instid0(VALU_DEP_2) | instskip(NEXT) | instid1(VALU_DEP_1)
	v_pk_fma_f32 v[60:61], v[60:61], v[20:21], v[62:63] op_sel_hi:[1,1,0]
	v_mov_b32_e32 v75, v61
	ds_load_2addr_b64 v[60:63], v64 offset0:19 offset1:20
	v_pk_add_f32 v[26:27], v[26:27], v[74:75] neg_lo:[0,1] neg_hi:[0,1]
	s_wait_dscnt 0x0
	v_pk_mul_f32 v[74:75], v[60:61], v[72:73] op_sel:[0,1]
	s_delay_alu instid0(VALU_DEP_1) | instskip(SKIP_1) | instid1(VALU_DEP_1)
	v_pk_fma_f32 v[76:77], v[60:61], v[70:71], v[74:75] op_sel:[0,0,1] op_sel_hi:[1,1,0] neg_lo:[0,0,1] neg_hi:[0,0,1]
	v_pk_fma_f32 v[60:61], v[60:61], v[70:71], v[74:75] op_sel:[0,0,1] op_sel_hi:[1,0,0]
	v_mov_b32_e32 v77, v61
	v_pk_mul_f32 v[60:61], v[62:63], v[72:73] op_sel:[0,1]
	s_delay_alu instid0(VALU_DEP_1) | instskip(SKIP_1) | instid1(VALU_DEP_1)
	v_pk_fma_f32 v[74:75], v[62:63], v[70:71], v[60:61] op_sel:[0,0,1] op_sel_hi:[1,1,0] neg_lo:[0,0,1] neg_hi:[0,0,1]
	v_pk_fma_f32 v[60:61], v[62:63], v[70:71], v[60:61] op_sel:[0,0,1] op_sel_hi:[1,0,0]
	v_mov_b32_e32 v75, v61
	ds_load_2addr_b64 v[60:63], v64 offset0:21 offset1:22
	v_pk_add_f32 v[22:23], v[22:23], v[76:77] neg_lo:[0,1] neg_hi:[0,1]
	v_pk_add_f32 v[44:45], v[44:45], v[74:75] neg_lo:[0,1] neg_hi:[0,1]
	s_wait_dscnt 0x0
	v_pk_mul_f32 v[74:75], v[60:61], v[72:73] op_sel:[0,1]
	s_delay_alu instid0(VALU_DEP_1) | instskip(SKIP_1) | instid1(VALU_DEP_1)
	v_pk_fma_f32 v[76:77], v[60:61], v[70:71], v[74:75] op_sel:[0,0,1] op_sel_hi:[1,1,0] neg_lo:[0,0,1] neg_hi:[0,0,1]
	v_pk_fma_f32 v[60:61], v[60:61], v[70:71], v[74:75] op_sel:[0,0,1] op_sel_hi:[1,0,0]
	v_mov_b32_e32 v77, v61
	v_pk_mul_f32 v[60:61], v[62:63], v[72:73] op_sel:[0,1]
	s_delay_alu instid0(VALU_DEP_1) | instskip(SKIP_1) | instid1(VALU_DEP_1)
	v_pk_fma_f32 v[74:75], v[62:63], v[70:71], v[60:61] op_sel:[0,0,1] op_sel_hi:[1,1,0] neg_lo:[0,0,1] neg_hi:[0,0,1]
	v_pk_fma_f32 v[60:61], v[62:63], v[70:71], v[60:61] op_sel:[0,0,1] op_sel_hi:[1,0,0]
	v_mov_b32_e32 v75, v61
	ds_load_2addr_b64 v[60:63], v64 offset0:23 offset1:24
	v_pk_add_f32 v[42:43], v[42:43], v[76:77] neg_lo:[0,1] neg_hi:[0,1]
	v_pk_add_f32 v[32:33], v[32:33], v[74:75] neg_lo:[0,1] neg_hi:[0,1]
	s_wait_dscnt 0x0
	v_dual_mul_f32 v74, v61, v73 :: v_dual_mul_f32 v76, v61, v70
	s_delay_alu instid0(VALU_DEP_1) | instskip(NEXT) | instid1(VALU_DEP_2)
	v_pk_fma_f32 v[74:75], v[60:61], v[20:21], v[74:75] op_sel_hi:[1,1,0] neg_lo:[0,0,1] neg_hi:[0,0,1]
	v_pk_fma_f32 v[60:61], v[60:61], v[20:21], v[76:77] op_sel:[1,0,0] op_sel_hi:[0,1,0]
	s_delay_alu instid0(VALU_DEP_1) | instskip(SKIP_1) | instid1(VALU_DEP_2)
	v_mov_b32_e32 v75, v61
	v_pk_mul_f32 v[60:61], v[62:63], v[72:73] op_sel:[0,1]
	v_pk_add_f32 v[30:31], v[30:31], v[74:75] neg_lo:[0,1] neg_hi:[0,1]
	s_delay_alu instid0(VALU_DEP_2) | instskip(SKIP_1) | instid1(VALU_DEP_1)
	v_pk_fma_f32 v[74:75], v[62:63], v[70:71], v[60:61] op_sel:[0,0,1] op_sel_hi:[1,1,0] neg_lo:[0,0,1] neg_hi:[0,0,1]
	v_pk_fma_f32 v[60:61], v[62:63], v[70:71], v[60:61] op_sel:[0,0,1] op_sel_hi:[1,0,0]
	v_mov_b32_e32 v75, v61
	ds_load_2addr_b64 v[60:63], v64 offset0:25 offset1:26
	v_pk_add_f32 v[36:37], v[36:37], v[74:75] neg_lo:[0,1] neg_hi:[0,1]
	s_wait_dscnt 0x0
	v_pk_mul_f32 v[74:75], v[60:61], v[72:73] op_sel:[0,1]
	v_mul_f32_e32 v72, v63, v73
	s_delay_alu instid0(VALU_DEP_2) | instskip(SKIP_2) | instid1(VALU_DEP_4)
	v_pk_fma_f32 v[76:77], v[60:61], v[70:71], v[74:75] op_sel:[0,0,1] op_sel_hi:[1,1,0] neg_lo:[0,0,1] neg_hi:[0,0,1]
	v_pk_fma_f32 v[60:61], v[60:61], v[70:71], v[74:75] op_sel:[0,0,1] op_sel_hi:[1,0,0]
	v_mov_b32_e32 v60, v63
	v_pk_fma_f32 v[72:73], v[62:63], v[20:21], v[72:73] op_sel_hi:[1,1,0] neg_lo:[0,0,1] neg_hi:[0,0,1]
	s_delay_alu instid0(VALU_DEP_3) | instskip(SKIP_1) | instid1(VALU_DEP_2)
	v_dual_mov_b32 v77, v61 :: v_dual_mov_b32 v61, v62
	v_mul_f32_e32 v62, v63, v70
	v_pk_add_f32 v[34:35], v[34:35], v[76:77] neg_lo:[0,1] neg_hi:[0,1]
	s_delay_alu instid0(VALU_DEP_2) | instskip(NEXT) | instid1(VALU_DEP_1)
	v_pk_fma_f32 v[60:61], v[60:61], v[20:21], v[62:63] op_sel_hi:[1,1,0]
	v_mov_b32_e32 v73, v61
	s_delay_alu instid0(VALU_DEP_1)
	v_pk_add_f32 v[58:59], v[58:59], v[72:73] neg_lo:[0,1] neg_hi:[0,1]
.LBB52_314:
	s_or_b32 exec_lo, exec_lo, s0
	v_lshl_add_u32 v60, v68, 3, v64
	s_barrier_signal -1
	s_barrier_wait -1
	ds_store_b64 v60, v[18:19]
	s_wait_dscnt 0x0
	s_barrier_signal -1
	s_barrier_wait -1
	ds_load_b64 v[60:61], v64 offset:120
	v_mov_b32_e32 v62, 15
	s_cmp_lt_i32 s14, 17
	s_cbranch_scc1 .LBB52_317
; %bb.315:
	v_add3_u32 v63, v65, 0, 0x80
	v_mov_b32_e32 v62, 15
	s_mov_b32 s0, 16
.LBB52_316:                             ; =>This Inner Loop Header: Depth=1
	ds_load_b64 v[70:71], v63
	s_wait_dscnt 0x1
	v_cmp_gt_f32_e32 vcc_lo, 0, v60
	v_cndmask_b32_e64 v72, v60, -v60, vcc_lo
	v_cmp_gt_f32_e32 vcc_lo, 0, v61
	v_cndmask_b32_e64 v74, v61, -v61, vcc_lo
	s_wait_dscnt 0x0
	v_cmp_gt_f32_e32 vcc_lo, 0, v70
	v_cndmask_b32_e64 v73, v70, -v70, vcc_lo
	v_cmp_gt_f32_e32 vcc_lo, 0, v71
	v_cndmask_b32_e64 v75, v71, -v71, vcc_lo
	s_delay_alu instid0(VALU_DEP_1) | instskip(NEXT) | instid1(VALU_DEP_1)
	v_pk_add_f32 v[72:73], v[72:73], v[74:75]
	v_cmp_lt_f32_e32 vcc_lo, v72, v73
	v_dual_cndmask_b32 v60, v60, v70 :: v_dual_add_nc_u32 v63, 8, v63
	v_cndmask_b32_e32 v61, v61, v71, vcc_lo
	v_cndmask_b32_e64 v62, v62, s0, vcc_lo
	s_add_co_i32 s0, s0, 1
	s_delay_alu instid0(SALU_CYCLE_1)
	s_cmp_lg_u32 s14, s0
	s_cbranch_scc1 .LBB52_316
.LBB52_317:
	s_wait_dscnt 0x0
	v_cmp_eq_f32_e32 vcc_lo, 0, v60
	v_cmp_eq_f32_e64 s0, 0, v61
	s_and_b32 s0, vcc_lo, s0
	s_delay_alu instid0(SALU_CYCLE_1) | instskip(NEXT) | instid1(SALU_CYCLE_1)
	s_and_saveexec_b32 s1, s0
	s_xor_b32 s0, exec_lo, s1
; %bb.318:
	v_cmp_ne_u32_e32 vcc_lo, 0, v66
	v_cndmask_b32_e32 v66, 16, v66, vcc_lo
; %bb.319:
	s_and_not1_saveexec_b32 s0, s0
	s_cbranch_execz .LBB52_325
; %bb.320:
	v_cmp_ngt_f32_e64 s1, |v60|, |v61|
	s_and_saveexec_b32 s15, s1
	s_delay_alu instid0(SALU_CYCLE_1)
	s_xor_b32 s1, exec_lo, s15
	s_cbranch_execz .LBB52_322
; %bb.321:
	v_div_scale_f32 v63, null, v61, v61, v60
	v_div_scale_f32 v71, vcc_lo, v60, v61, v60
	s_delay_alu instid0(VALU_DEP_2) | instskip(SKIP_1) | instid1(TRANS32_DEP_1)
	v_rcp_f32_e32 v69, v63
	v_nop
	v_fma_f32 v70, -v63, v69, 1.0
	s_delay_alu instid0(VALU_DEP_1) | instskip(NEXT) | instid1(VALU_DEP_1)
	v_fmac_f32_e32 v69, v70, v69
	v_mul_f32_e32 v70, v71, v69
	s_delay_alu instid0(VALU_DEP_1) | instskip(NEXT) | instid1(VALU_DEP_1)
	v_fma_f32 v72, -v63, v70, v71
	v_fmac_f32_e32 v70, v72, v69
	s_delay_alu instid0(VALU_DEP_1) | instskip(NEXT) | instid1(VALU_DEP_1)
	v_fma_f32 v63, -v63, v70, v71
	v_div_fmas_f32 v63, v63, v69, v70
	s_delay_alu instid0(VALU_DEP_1) | instskip(NEXT) | instid1(VALU_DEP_1)
	v_div_fixup_f32 v63, v63, v61, v60
	v_fmac_f32_e32 v61, v60, v63
	s_delay_alu instid0(VALU_DEP_1) | instskip(SKIP_1) | instid1(VALU_DEP_2)
	v_div_scale_f32 v60, null, v61, v61, 1.0
	v_div_scale_f32 v71, vcc_lo, 1.0, v61, 1.0
	v_rcp_f32_e32 v69, v60
	v_nop
	s_delay_alu instid0(TRANS32_DEP_1) | instskip(NEXT) | instid1(VALU_DEP_1)
	v_fma_f32 v70, -v60, v69, 1.0
	v_fmac_f32_e32 v69, v70, v69
	s_delay_alu instid0(VALU_DEP_1) | instskip(NEXT) | instid1(VALU_DEP_1)
	v_mul_f32_e32 v70, v71, v69
	v_fma_f32 v72, -v60, v70, v71
	s_delay_alu instid0(VALU_DEP_1) | instskip(NEXT) | instid1(VALU_DEP_1)
	v_fmac_f32_e32 v70, v72, v69
	v_fma_f32 v60, -v60, v70, v71
	s_delay_alu instid0(VALU_DEP_1) | instskip(NEXT) | instid1(VALU_DEP_1)
	v_div_fmas_f32 v60, v60, v69, v70
	v_div_fixup_f32 v61, v60, v61, 1.0
	s_delay_alu instid0(VALU_DEP_1)
	v_mul_f32_e32 v60, v63, v61
	v_xor_b32_e32 v61, 0x80000000, v61
.LBB52_322:
	s_and_not1_saveexec_b32 s1, s1
	s_cbranch_execz .LBB52_324
; %bb.323:
	s_delay_alu instid0(VALU_DEP_1) | instskip(SKIP_1) | instid1(VALU_DEP_2)
	v_div_scale_f32 v63, null, v60, v60, v61
	v_div_scale_f32 v71, vcc_lo, v61, v60, v61
	v_rcp_f32_e32 v69, v63
	v_nop
	s_delay_alu instid0(TRANS32_DEP_1) | instskip(NEXT) | instid1(VALU_DEP_1)
	v_fma_f32 v70, -v63, v69, 1.0
	v_fmac_f32_e32 v69, v70, v69
	s_delay_alu instid0(VALU_DEP_1) | instskip(NEXT) | instid1(VALU_DEP_1)
	v_mul_f32_e32 v70, v71, v69
	v_fma_f32 v72, -v63, v70, v71
	s_delay_alu instid0(VALU_DEP_1) | instskip(NEXT) | instid1(VALU_DEP_1)
	v_fmac_f32_e32 v70, v72, v69
	v_fma_f32 v63, -v63, v70, v71
	s_delay_alu instid0(VALU_DEP_1) | instskip(NEXT) | instid1(VALU_DEP_1)
	v_div_fmas_f32 v63, v63, v69, v70
	v_div_fixup_f32 v63, v63, v60, v61
	s_delay_alu instid0(VALU_DEP_1) | instskip(NEXT) | instid1(VALU_DEP_1)
	v_fmac_f32_e32 v60, v61, v63
	v_div_scale_f32 v61, null, v60, v60, 1.0
	s_delay_alu instid0(VALU_DEP_1) | instskip(SKIP_1) | instid1(TRANS32_DEP_1)
	v_rcp_f32_e32 v69, v61
	v_nop
	v_fma_f32 v70, -v61, v69, 1.0
	s_delay_alu instid0(VALU_DEP_1) | instskip(SKIP_1) | instid1(VALU_DEP_1)
	v_fmac_f32_e32 v69, v70, v69
	v_div_scale_f32 v70, vcc_lo, 1.0, v60, 1.0
	v_mul_f32_e32 v71, v70, v69
	s_delay_alu instid0(VALU_DEP_1) | instskip(NEXT) | instid1(VALU_DEP_1)
	v_fma_f32 v72, -v61, v71, v70
	v_fmac_f32_e32 v71, v72, v69
	s_delay_alu instid0(VALU_DEP_1) | instskip(NEXT) | instid1(VALU_DEP_1)
	v_fma_f32 v61, -v61, v71, v70
	v_div_fmas_f32 v61, v61, v69, v71
	s_delay_alu instid0(VALU_DEP_1) | instskip(NEXT) | instid1(VALU_DEP_1)
	v_div_fixup_f32 v60, v61, v60, 1.0
	v_mul_f32_e64 v61, v63, -v60
.LBB52_324:
	s_or_b32 exec_lo, exec_lo, s1
.LBB52_325:
	s_delay_alu instid0(SALU_CYCLE_1) | instskip(NEXT) | instid1(SALU_CYCLE_1)
	s_or_b32 exec_lo, exec_lo, s0
	s_mov_b32 s0, exec_lo
	v_cmpx_ne_u32_e64 v68, v62
	s_xor_b32 s0, exec_lo, s0
	s_cbranch_execz .LBB52_331
; %bb.326:
	s_mov_b32 s1, exec_lo
	v_cmpx_eq_u32_e32 15, v68
	s_cbranch_execz .LBB52_330
; %bb.327:
	v_cmp_ne_u32_e32 vcc_lo, 15, v62
	s_xor_b32 s15, s2, -1
	s_delay_alu instid0(SALU_CYCLE_1) | instskip(NEXT) | instid1(SALU_CYCLE_1)
	s_and_b32 s16, s15, vcc_lo
	s_and_saveexec_b32 s15, s16
	s_cbranch_execz .LBB52_329
; %bb.328:
	v_ashrrev_i32_e32 v63, 31, v62
	s_delay_alu instid0(VALU_DEP_1)
	v_lshl_add_u64 v[68:69], v[62:63], 2, v[4:5]
	s_clause 0x1
	global_load_b32 v63, v[68:69], off
	global_load_b32 v67, v[4:5], off offset:60
	s_wait_loadcnt 0x1
	global_store_b32 v[4:5], v63, off offset:60
	s_wait_loadcnt 0x0
	global_store_b32 v[68:69], v67, off
.LBB52_329:
	s_wait_xcnt 0x0
	s_or_b32 exec_lo, exec_lo, s15
	v_dual_mov_b32 v68, v62 :: v_dual_mov_b32 v67, v62
.LBB52_330:
	s_or_b32 exec_lo, exec_lo, s1
.LBB52_331:
	s_and_not1_saveexec_b32 s0, s0
	s_cbranch_execz .LBB52_333
; %bb.332:
	v_dual_mov_b32 v62, v52 :: v_dual_mov_b32 v63, v53
	v_dual_mov_b32 v68, v50 :: v_dual_mov_b32 v69, v51
	ds_store_2addr_b64 v64, v[62:63], v[68:69] offset0:16 offset1:17
	v_dual_mov_b32 v62, v26 :: v_dual_mov_b32 v63, v27
	v_dual_mov_b32 v68, v22 :: v_dual_mov_b32 v69, v23
	ds_store_2addr_b64 v64, v[62:63], v[68:69] offset0:18 offset1:19
	;; [unrolled: 3-line block ×5, first 2 shown]
	ds_store_b64 v64, v[58:59] offset:208
	v_mov_b32_e32 v68, 15
.LBB52_333:
	s_or_b32 exec_lo, exec_lo, s0
	s_delay_alu instid0(SALU_CYCLE_1)
	s_mov_b32 s0, exec_lo
	s_wait_storecnt_dscnt 0x0
	s_barrier_signal -1
	s_barrier_wait -1
	v_cmpx_lt_i32_e32 15, v68
	s_cbranch_execz .LBB52_335
; %bb.334:
	v_pk_mul_f32 v[62:63], v[60:61], v[18:19] op_sel:[1,1] op_sel_hi:[0,1]
	s_delay_alu instid0(VALU_DEP_1)
	v_pk_fma_f32 v[70:71], v[60:61], v[18:19], v[62:63] op_sel_hi:[1,0,1] neg_lo:[0,0,1] neg_hi:[0,0,1]
	v_pk_fma_f32 v[72:73], v[60:61], v[18:19], v[62:63] op_sel_hi:[1,0,1]
	ds_load_2addr_b64 v[60:63], v64 offset0:16 offset1:17
	v_dual_mov_b32 v18, v70 :: v_dual_mov_b32 v19, v73
	s_wait_dscnt 0x0
	v_pk_mul_f32 v[74:75], v[60:61], v[72:73] op_sel:[0,1]
	s_delay_alu instid0(VALU_DEP_1) | instskip(SKIP_1) | instid1(VALU_DEP_1)
	v_pk_fma_f32 v[76:77], v[60:61], v[70:71], v[74:75] op_sel:[0,0,1] op_sel_hi:[1,1,0] neg_lo:[0,0,1] neg_hi:[0,0,1]
	v_pk_fma_f32 v[60:61], v[60:61], v[70:71], v[74:75] op_sel:[0,0,1] op_sel_hi:[1,0,0]
	v_mov_b32_e32 v77, v61
	v_pk_mul_f32 v[60:61], v[62:63], v[72:73] op_sel:[0,1]
	s_delay_alu instid0(VALU_DEP_1) | instskip(SKIP_1) | instid1(VALU_DEP_1)
	v_pk_fma_f32 v[74:75], v[62:63], v[70:71], v[60:61] op_sel:[0,0,1] op_sel_hi:[1,1,0] neg_lo:[0,0,1] neg_hi:[0,0,1]
	v_pk_fma_f32 v[60:61], v[62:63], v[70:71], v[60:61] op_sel:[0,0,1] op_sel_hi:[1,0,0]
	v_mov_b32_e32 v75, v61
	ds_load_2addr_b64 v[60:63], v64 offset0:18 offset1:19
	v_pk_add_f32 v[52:53], v[52:53], v[76:77] neg_lo:[0,1] neg_hi:[0,1]
	v_pk_add_f32 v[50:51], v[50:51], v[74:75] neg_lo:[0,1] neg_hi:[0,1]
	s_wait_dscnt 0x0
	v_pk_mul_f32 v[74:75], v[60:61], v[72:73] op_sel:[0,1]
	s_delay_alu instid0(VALU_DEP_1) | instskip(SKIP_2) | instid1(VALU_DEP_2)
	v_pk_fma_f32 v[76:77], v[60:61], v[70:71], v[74:75] op_sel:[0,0,1] op_sel_hi:[1,1,0] neg_lo:[0,0,1] neg_hi:[0,0,1]
	v_pk_fma_f32 v[60:61], v[60:61], v[70:71], v[74:75] op_sel:[0,0,1] op_sel_hi:[1,0,0]
	v_dual_mul_f32 v74, v63, v73 :: v_dual_mov_b32 v60, v63
	v_dual_mov_b32 v77, v61 :: v_dual_mov_b32 v61, v62
	s_delay_alu instid0(VALU_DEP_2) | instskip(SKIP_1) | instid1(VALU_DEP_3)
	v_pk_fma_f32 v[74:75], v[62:63], v[18:19], v[74:75] op_sel_hi:[1,1,0] neg_lo:[0,0,1] neg_hi:[0,0,1]
	v_mul_f32_e32 v62, v63, v70
	v_pk_add_f32 v[26:27], v[26:27], v[76:77] neg_lo:[0,1] neg_hi:[0,1]
	s_delay_alu instid0(VALU_DEP_2) | instskip(NEXT) | instid1(VALU_DEP_1)
	v_pk_fma_f32 v[60:61], v[60:61], v[18:19], v[62:63] op_sel_hi:[1,1,0]
	v_mov_b32_e32 v75, v61
	ds_load_2addr_b64 v[60:63], v64 offset0:20 offset1:21
	v_pk_add_f32 v[22:23], v[22:23], v[74:75] neg_lo:[0,1] neg_hi:[0,1]
	s_wait_dscnt 0x0
	v_pk_mul_f32 v[74:75], v[60:61], v[72:73] op_sel:[0,1]
	s_delay_alu instid0(VALU_DEP_1) | instskip(SKIP_1) | instid1(VALU_DEP_1)
	v_pk_fma_f32 v[76:77], v[60:61], v[70:71], v[74:75] op_sel:[0,0,1] op_sel_hi:[1,1,0] neg_lo:[0,0,1] neg_hi:[0,0,1]
	v_pk_fma_f32 v[60:61], v[60:61], v[70:71], v[74:75] op_sel:[0,0,1] op_sel_hi:[1,0,0]
	v_mov_b32_e32 v77, v61
	v_pk_mul_f32 v[60:61], v[62:63], v[72:73] op_sel:[0,1]
	s_delay_alu instid0(VALU_DEP_1) | instskip(SKIP_1) | instid1(VALU_DEP_1)
	v_pk_fma_f32 v[74:75], v[62:63], v[70:71], v[60:61] op_sel:[0,0,1] op_sel_hi:[1,1,0] neg_lo:[0,0,1] neg_hi:[0,0,1]
	v_pk_fma_f32 v[60:61], v[62:63], v[70:71], v[60:61] op_sel:[0,0,1] op_sel_hi:[1,0,0]
	v_mov_b32_e32 v75, v61
	ds_load_2addr_b64 v[60:63], v64 offset0:22 offset1:23
	v_pk_add_f32 v[44:45], v[44:45], v[76:77] neg_lo:[0,1] neg_hi:[0,1]
	v_pk_add_f32 v[42:43], v[42:43], v[74:75] neg_lo:[0,1] neg_hi:[0,1]
	s_wait_dscnt 0x0
	v_pk_mul_f32 v[74:75], v[60:61], v[72:73] op_sel:[0,1]
	s_delay_alu instid0(VALU_DEP_1) | instskip(SKIP_1) | instid1(VALU_DEP_1)
	v_pk_fma_f32 v[76:77], v[60:61], v[70:71], v[74:75] op_sel:[0,0,1] op_sel_hi:[1,1,0] neg_lo:[0,0,1] neg_hi:[0,0,1]
	v_pk_fma_f32 v[60:61], v[60:61], v[70:71], v[74:75] op_sel:[0,0,1] op_sel_hi:[1,0,0]
	v_mov_b32_e32 v77, v61
	v_pk_mul_f32 v[60:61], v[62:63], v[72:73] op_sel:[0,1]
	s_delay_alu instid0(VALU_DEP_1) | instskip(SKIP_1) | instid1(VALU_DEP_1)
	v_pk_fma_f32 v[74:75], v[62:63], v[70:71], v[60:61] op_sel:[0,0,1] op_sel_hi:[1,1,0] neg_lo:[0,0,1] neg_hi:[0,0,1]
	v_pk_fma_f32 v[60:61], v[62:63], v[70:71], v[60:61] op_sel:[0,0,1] op_sel_hi:[1,0,0]
	v_mov_b32_e32 v75, v61
	ds_load_2addr_b64 v[60:63], v64 offset0:24 offset1:25
	v_pk_add_f32 v[32:33], v[32:33], v[76:77] neg_lo:[0,1] neg_hi:[0,1]
	v_pk_add_f32 v[30:31], v[30:31], v[74:75] neg_lo:[0,1] neg_hi:[0,1]
	s_wait_dscnt 0x0
	v_dual_mul_f32 v74, v61, v73 :: v_dual_mul_f32 v76, v61, v70
	s_delay_alu instid0(VALU_DEP_1) | instskip(NEXT) | instid1(VALU_DEP_2)
	v_pk_fma_f32 v[74:75], v[60:61], v[18:19], v[74:75] op_sel_hi:[1,1,0] neg_lo:[0,0,1] neg_hi:[0,0,1]
	v_pk_fma_f32 v[60:61], v[60:61], v[18:19], v[76:77] op_sel:[1,0,0] op_sel_hi:[0,1,0]
	s_delay_alu instid0(VALU_DEP_1) | instskip(SKIP_1) | instid1(VALU_DEP_2)
	v_mov_b32_e32 v75, v61
	v_pk_mul_f32 v[60:61], v[62:63], v[72:73] op_sel:[0,1]
	v_pk_add_f32 v[36:37], v[36:37], v[74:75] neg_lo:[0,1] neg_hi:[0,1]
	s_delay_alu instid0(VALU_DEP_2) | instskip(SKIP_1) | instid1(VALU_DEP_1)
	v_pk_fma_f32 v[74:75], v[62:63], v[70:71], v[60:61] op_sel:[0,0,1] op_sel_hi:[1,1,0] neg_lo:[0,0,1] neg_hi:[0,0,1]
	v_pk_fma_f32 v[60:61], v[62:63], v[70:71], v[60:61] op_sel:[0,0,1] op_sel_hi:[1,0,0]
	v_mov_b32_e32 v75, v61
	ds_load_b64 v[60:61], v64 offset:208
	v_pk_add_f32 v[34:35], v[34:35], v[74:75] neg_lo:[0,1] neg_hi:[0,1]
	s_wait_dscnt 0x0
	v_pk_mul_f32 v[62:63], v[60:61], v[72:73] op_sel:[0,1]
	s_delay_alu instid0(VALU_DEP_1) | instskip(SKIP_1) | instid1(VALU_DEP_1)
	v_pk_fma_f32 v[72:73], v[60:61], v[70:71], v[62:63] op_sel:[0,0,1] op_sel_hi:[1,1,0] neg_lo:[0,0,1] neg_hi:[0,0,1]
	v_pk_fma_f32 v[60:61], v[60:61], v[70:71], v[62:63] op_sel:[0,0,1] op_sel_hi:[1,0,0]
	v_mov_b32_e32 v73, v61
	s_delay_alu instid0(VALU_DEP_1)
	v_pk_add_f32 v[58:59], v[58:59], v[72:73] neg_lo:[0,1] neg_hi:[0,1]
.LBB52_335:
	s_or_b32 exec_lo, exec_lo, s0
	v_lshl_add_u32 v60, v68, 3, v64
	s_barrier_signal -1
	s_barrier_wait -1
	ds_store_b64 v60, v[52:53]
	s_wait_dscnt 0x0
	s_barrier_signal -1
	s_barrier_wait -1
	ds_load_b64 v[60:61], v64 offset:128
	v_mov_b32_e32 v62, 16
	s_cmp_lt_i32 s14, 18
	s_cbranch_scc1 .LBB52_338
; %bb.336:
	v_add3_u32 v63, v65, 0, 0x88
	v_mov_b32_e32 v62, 16
	s_mov_b32 s0, 17
.LBB52_337:                             ; =>This Inner Loop Header: Depth=1
	ds_load_b64 v[70:71], v63
	s_wait_dscnt 0x1
	v_cmp_gt_f32_e32 vcc_lo, 0, v60
	v_cndmask_b32_e64 v72, v60, -v60, vcc_lo
	v_cmp_gt_f32_e32 vcc_lo, 0, v61
	v_cndmask_b32_e64 v74, v61, -v61, vcc_lo
	s_wait_dscnt 0x0
	v_cmp_gt_f32_e32 vcc_lo, 0, v70
	v_cndmask_b32_e64 v73, v70, -v70, vcc_lo
	v_cmp_gt_f32_e32 vcc_lo, 0, v71
	v_cndmask_b32_e64 v75, v71, -v71, vcc_lo
	s_delay_alu instid0(VALU_DEP_1) | instskip(NEXT) | instid1(VALU_DEP_1)
	v_pk_add_f32 v[72:73], v[72:73], v[74:75]
	v_cmp_lt_f32_e32 vcc_lo, v72, v73
	v_dual_cndmask_b32 v60, v60, v70 :: v_dual_add_nc_u32 v63, 8, v63
	v_cndmask_b32_e32 v61, v61, v71, vcc_lo
	v_cndmask_b32_e64 v62, v62, s0, vcc_lo
	s_add_co_i32 s0, s0, 1
	s_delay_alu instid0(SALU_CYCLE_1)
	s_cmp_lg_u32 s14, s0
	s_cbranch_scc1 .LBB52_337
.LBB52_338:
	s_wait_dscnt 0x0
	v_cmp_eq_f32_e32 vcc_lo, 0, v60
	v_cmp_eq_f32_e64 s0, 0, v61
	s_and_b32 s0, vcc_lo, s0
	s_delay_alu instid0(SALU_CYCLE_1) | instskip(NEXT) | instid1(SALU_CYCLE_1)
	s_and_saveexec_b32 s1, s0
	s_xor_b32 s0, exec_lo, s1
; %bb.339:
	v_cmp_ne_u32_e32 vcc_lo, 0, v66
	v_cndmask_b32_e32 v66, 17, v66, vcc_lo
; %bb.340:
	s_and_not1_saveexec_b32 s0, s0
	s_cbranch_execz .LBB52_346
; %bb.341:
	v_cmp_ngt_f32_e64 s1, |v60|, |v61|
	s_and_saveexec_b32 s15, s1
	s_delay_alu instid0(SALU_CYCLE_1)
	s_xor_b32 s1, exec_lo, s15
	s_cbranch_execz .LBB52_343
; %bb.342:
	v_div_scale_f32 v63, null, v61, v61, v60
	v_div_scale_f32 v71, vcc_lo, v60, v61, v60
	s_delay_alu instid0(VALU_DEP_2) | instskip(SKIP_1) | instid1(TRANS32_DEP_1)
	v_rcp_f32_e32 v69, v63
	v_nop
	v_fma_f32 v70, -v63, v69, 1.0
	s_delay_alu instid0(VALU_DEP_1) | instskip(NEXT) | instid1(VALU_DEP_1)
	v_fmac_f32_e32 v69, v70, v69
	v_mul_f32_e32 v70, v71, v69
	s_delay_alu instid0(VALU_DEP_1) | instskip(NEXT) | instid1(VALU_DEP_1)
	v_fma_f32 v72, -v63, v70, v71
	v_fmac_f32_e32 v70, v72, v69
	s_delay_alu instid0(VALU_DEP_1) | instskip(NEXT) | instid1(VALU_DEP_1)
	v_fma_f32 v63, -v63, v70, v71
	v_div_fmas_f32 v63, v63, v69, v70
	s_delay_alu instid0(VALU_DEP_1) | instskip(NEXT) | instid1(VALU_DEP_1)
	v_div_fixup_f32 v63, v63, v61, v60
	v_fmac_f32_e32 v61, v60, v63
	s_delay_alu instid0(VALU_DEP_1) | instskip(SKIP_1) | instid1(VALU_DEP_2)
	v_div_scale_f32 v60, null, v61, v61, 1.0
	v_div_scale_f32 v71, vcc_lo, 1.0, v61, 1.0
	v_rcp_f32_e32 v69, v60
	v_nop
	s_delay_alu instid0(TRANS32_DEP_1) | instskip(NEXT) | instid1(VALU_DEP_1)
	v_fma_f32 v70, -v60, v69, 1.0
	v_fmac_f32_e32 v69, v70, v69
	s_delay_alu instid0(VALU_DEP_1) | instskip(NEXT) | instid1(VALU_DEP_1)
	v_mul_f32_e32 v70, v71, v69
	v_fma_f32 v72, -v60, v70, v71
	s_delay_alu instid0(VALU_DEP_1) | instskip(NEXT) | instid1(VALU_DEP_1)
	v_fmac_f32_e32 v70, v72, v69
	v_fma_f32 v60, -v60, v70, v71
	s_delay_alu instid0(VALU_DEP_1) | instskip(NEXT) | instid1(VALU_DEP_1)
	v_div_fmas_f32 v60, v60, v69, v70
	v_div_fixup_f32 v61, v60, v61, 1.0
	s_delay_alu instid0(VALU_DEP_1)
	v_mul_f32_e32 v60, v63, v61
	v_xor_b32_e32 v61, 0x80000000, v61
.LBB52_343:
	s_and_not1_saveexec_b32 s1, s1
	s_cbranch_execz .LBB52_345
; %bb.344:
	s_delay_alu instid0(VALU_DEP_1) | instskip(SKIP_1) | instid1(VALU_DEP_2)
	v_div_scale_f32 v63, null, v60, v60, v61
	v_div_scale_f32 v71, vcc_lo, v61, v60, v61
	v_rcp_f32_e32 v69, v63
	v_nop
	s_delay_alu instid0(TRANS32_DEP_1) | instskip(NEXT) | instid1(VALU_DEP_1)
	v_fma_f32 v70, -v63, v69, 1.0
	v_fmac_f32_e32 v69, v70, v69
	s_delay_alu instid0(VALU_DEP_1) | instskip(NEXT) | instid1(VALU_DEP_1)
	v_mul_f32_e32 v70, v71, v69
	v_fma_f32 v72, -v63, v70, v71
	s_delay_alu instid0(VALU_DEP_1) | instskip(NEXT) | instid1(VALU_DEP_1)
	v_fmac_f32_e32 v70, v72, v69
	v_fma_f32 v63, -v63, v70, v71
	s_delay_alu instid0(VALU_DEP_1) | instskip(NEXT) | instid1(VALU_DEP_1)
	v_div_fmas_f32 v63, v63, v69, v70
	v_div_fixup_f32 v63, v63, v60, v61
	s_delay_alu instid0(VALU_DEP_1) | instskip(NEXT) | instid1(VALU_DEP_1)
	v_fmac_f32_e32 v60, v61, v63
	v_div_scale_f32 v61, null, v60, v60, 1.0
	s_delay_alu instid0(VALU_DEP_1) | instskip(SKIP_1) | instid1(TRANS32_DEP_1)
	v_rcp_f32_e32 v69, v61
	v_nop
	v_fma_f32 v70, -v61, v69, 1.0
	s_delay_alu instid0(VALU_DEP_1) | instskip(SKIP_1) | instid1(VALU_DEP_1)
	v_fmac_f32_e32 v69, v70, v69
	v_div_scale_f32 v70, vcc_lo, 1.0, v60, 1.0
	v_mul_f32_e32 v71, v70, v69
	s_delay_alu instid0(VALU_DEP_1) | instskip(NEXT) | instid1(VALU_DEP_1)
	v_fma_f32 v72, -v61, v71, v70
	v_fmac_f32_e32 v71, v72, v69
	s_delay_alu instid0(VALU_DEP_1) | instskip(NEXT) | instid1(VALU_DEP_1)
	v_fma_f32 v61, -v61, v71, v70
	v_div_fmas_f32 v61, v61, v69, v71
	s_delay_alu instid0(VALU_DEP_1) | instskip(NEXT) | instid1(VALU_DEP_1)
	v_div_fixup_f32 v60, v61, v60, 1.0
	v_mul_f32_e64 v61, v63, -v60
.LBB52_345:
	s_or_b32 exec_lo, exec_lo, s1
.LBB52_346:
	s_delay_alu instid0(SALU_CYCLE_1) | instskip(NEXT) | instid1(SALU_CYCLE_1)
	s_or_b32 exec_lo, exec_lo, s0
	s_mov_b32 s0, exec_lo
	v_cmpx_ne_u32_e64 v68, v62
	s_xor_b32 s0, exec_lo, s0
	s_cbranch_execz .LBB52_352
; %bb.347:
	s_mov_b32 s1, exec_lo
	v_cmpx_eq_u32_e32 16, v68
	s_cbranch_execz .LBB52_351
; %bb.348:
	v_cmp_ne_u32_e32 vcc_lo, 16, v62
	s_xor_b32 s15, s2, -1
	s_delay_alu instid0(SALU_CYCLE_1) | instskip(NEXT) | instid1(SALU_CYCLE_1)
	s_and_b32 s16, s15, vcc_lo
	s_and_saveexec_b32 s15, s16
	s_cbranch_execz .LBB52_350
; %bb.349:
	v_ashrrev_i32_e32 v63, 31, v62
	s_delay_alu instid0(VALU_DEP_1)
	v_lshl_add_u64 v[68:69], v[62:63], 2, v[4:5]
	s_clause 0x1
	global_load_b32 v63, v[68:69], off
	global_load_b32 v67, v[4:5], off offset:64
	s_wait_loadcnt 0x1
	global_store_b32 v[4:5], v63, off offset:64
	s_wait_loadcnt 0x0
	global_store_b32 v[68:69], v67, off
.LBB52_350:
	s_wait_xcnt 0x0
	s_or_b32 exec_lo, exec_lo, s15
	v_dual_mov_b32 v68, v62 :: v_dual_mov_b32 v67, v62
.LBB52_351:
	s_or_b32 exec_lo, exec_lo, s1
.LBB52_352:
	s_and_not1_saveexec_b32 s0, s0
	s_cbranch_execz .LBB52_354
; %bb.353:
	v_mov_b32_e32 v68, 16
	ds_store_2addr_b64 v64, v[50:51], v[26:27] offset0:17 offset1:18
	ds_store_2addr_b64 v64, v[22:23], v[44:45] offset0:19 offset1:20
	;; [unrolled: 1-line block ×5, first 2 shown]
.LBB52_354:
	s_or_b32 exec_lo, exec_lo, s0
	s_delay_alu instid0(SALU_CYCLE_1)
	s_mov_b32 s0, exec_lo
	s_wait_storecnt_dscnt 0x0
	s_barrier_signal -1
	s_barrier_wait -1
	v_cmpx_lt_i32_e32 16, v68
	s_cbranch_execz .LBB52_356
; %bb.355:
	v_pk_mul_f32 v[62:63], v[60:61], v[52:53] op_sel:[1,1] op_sel_hi:[0,1]
	s_delay_alu instid0(VALU_DEP_1)
	v_pk_fma_f32 v[70:71], v[60:61], v[52:53], v[62:63] op_sel_hi:[1,0,1] neg_lo:[0,0,1] neg_hi:[0,0,1]
	v_pk_fma_f32 v[72:73], v[60:61], v[52:53], v[62:63] op_sel_hi:[1,0,1]
	ds_load_2addr_b64 v[60:63], v64 offset0:17 offset1:18
	v_dual_mov_b32 v52, v70 :: v_dual_mov_b32 v53, v73
	s_wait_dscnt 0x0
	v_pk_mul_f32 v[74:75], v[60:61], v[72:73] op_sel:[0,1]
	s_delay_alu instid0(VALU_DEP_1) | instskip(SKIP_1) | instid1(VALU_DEP_1)
	v_pk_fma_f32 v[76:77], v[60:61], v[70:71], v[74:75] op_sel:[0,0,1] op_sel_hi:[1,1,0] neg_lo:[0,0,1] neg_hi:[0,0,1]
	v_pk_fma_f32 v[60:61], v[60:61], v[70:71], v[74:75] op_sel:[0,0,1] op_sel_hi:[1,0,0]
	v_mov_b32_e32 v77, v61
	v_pk_mul_f32 v[60:61], v[62:63], v[72:73] op_sel:[0,1]
	s_delay_alu instid0(VALU_DEP_1) | instskip(SKIP_1) | instid1(VALU_DEP_1)
	v_pk_fma_f32 v[74:75], v[62:63], v[70:71], v[60:61] op_sel:[0,0,1] op_sel_hi:[1,1,0] neg_lo:[0,0,1] neg_hi:[0,0,1]
	v_pk_fma_f32 v[60:61], v[62:63], v[70:71], v[60:61] op_sel:[0,0,1] op_sel_hi:[1,0,0]
	v_mov_b32_e32 v75, v61
	ds_load_2addr_b64 v[60:63], v64 offset0:19 offset1:20
	v_pk_add_f32 v[50:51], v[50:51], v[76:77] neg_lo:[0,1] neg_hi:[0,1]
	v_pk_add_f32 v[26:27], v[26:27], v[74:75] neg_lo:[0,1] neg_hi:[0,1]
	s_wait_dscnt 0x0
	v_pk_mul_f32 v[74:75], v[60:61], v[72:73] op_sel:[0,1]
	s_delay_alu instid0(VALU_DEP_1) | instskip(SKIP_2) | instid1(VALU_DEP_2)
	v_pk_fma_f32 v[76:77], v[60:61], v[70:71], v[74:75] op_sel:[0,0,1] op_sel_hi:[1,1,0] neg_lo:[0,0,1] neg_hi:[0,0,1]
	v_pk_fma_f32 v[60:61], v[60:61], v[70:71], v[74:75] op_sel:[0,0,1] op_sel_hi:[1,0,0]
	v_dual_mul_f32 v74, v63, v73 :: v_dual_mov_b32 v60, v63
	v_dual_mov_b32 v77, v61 :: v_dual_mov_b32 v61, v62
	s_delay_alu instid0(VALU_DEP_2) | instskip(SKIP_1) | instid1(VALU_DEP_3)
	v_pk_fma_f32 v[74:75], v[62:63], v[52:53], v[74:75] op_sel_hi:[1,1,0] neg_lo:[0,0,1] neg_hi:[0,0,1]
	v_mul_f32_e32 v62, v63, v70
	v_pk_add_f32 v[22:23], v[22:23], v[76:77] neg_lo:[0,1] neg_hi:[0,1]
	s_delay_alu instid0(VALU_DEP_2) | instskip(NEXT) | instid1(VALU_DEP_1)
	v_pk_fma_f32 v[60:61], v[60:61], v[52:53], v[62:63] op_sel_hi:[1,1,0]
	v_mov_b32_e32 v75, v61
	ds_load_2addr_b64 v[60:63], v64 offset0:21 offset1:22
	v_pk_add_f32 v[44:45], v[44:45], v[74:75] neg_lo:[0,1] neg_hi:[0,1]
	s_wait_dscnt 0x0
	v_pk_mul_f32 v[74:75], v[60:61], v[72:73] op_sel:[0,1]
	s_delay_alu instid0(VALU_DEP_1) | instskip(SKIP_1) | instid1(VALU_DEP_1)
	v_pk_fma_f32 v[76:77], v[60:61], v[70:71], v[74:75] op_sel:[0,0,1] op_sel_hi:[1,1,0] neg_lo:[0,0,1] neg_hi:[0,0,1]
	v_pk_fma_f32 v[60:61], v[60:61], v[70:71], v[74:75] op_sel:[0,0,1] op_sel_hi:[1,0,0]
	v_mov_b32_e32 v77, v61
	v_pk_mul_f32 v[60:61], v[62:63], v[72:73] op_sel:[0,1]
	s_delay_alu instid0(VALU_DEP_1) | instskip(SKIP_1) | instid1(VALU_DEP_1)
	v_pk_fma_f32 v[74:75], v[62:63], v[70:71], v[60:61] op_sel:[0,0,1] op_sel_hi:[1,1,0] neg_lo:[0,0,1] neg_hi:[0,0,1]
	v_pk_fma_f32 v[60:61], v[62:63], v[70:71], v[60:61] op_sel:[0,0,1] op_sel_hi:[1,0,0]
	v_mov_b32_e32 v75, v61
	ds_load_2addr_b64 v[60:63], v64 offset0:23 offset1:24
	v_pk_add_f32 v[42:43], v[42:43], v[76:77] neg_lo:[0,1] neg_hi:[0,1]
	v_pk_add_f32 v[32:33], v[32:33], v[74:75] neg_lo:[0,1] neg_hi:[0,1]
	s_wait_dscnt 0x0
	v_pk_mul_f32 v[74:75], v[60:61], v[72:73] op_sel:[0,1]
	s_delay_alu instid0(VALU_DEP_1) | instskip(SKIP_1) | instid1(VALU_DEP_1)
	v_pk_fma_f32 v[76:77], v[60:61], v[70:71], v[74:75] op_sel:[0,0,1] op_sel_hi:[1,1,0] neg_lo:[0,0,1] neg_hi:[0,0,1]
	v_pk_fma_f32 v[60:61], v[60:61], v[70:71], v[74:75] op_sel:[0,0,1] op_sel_hi:[1,0,0]
	v_mov_b32_e32 v77, v61
	v_pk_mul_f32 v[60:61], v[62:63], v[72:73] op_sel:[0,1]
	s_delay_alu instid0(VALU_DEP_1) | instskip(SKIP_1) | instid1(VALU_DEP_1)
	v_pk_fma_f32 v[74:75], v[62:63], v[70:71], v[60:61] op_sel:[0,0,1] op_sel_hi:[1,1,0] neg_lo:[0,0,1] neg_hi:[0,0,1]
	v_pk_fma_f32 v[60:61], v[62:63], v[70:71], v[60:61] op_sel:[0,0,1] op_sel_hi:[1,0,0]
	v_mov_b32_e32 v75, v61
	ds_load_2addr_b64 v[60:63], v64 offset0:25 offset1:26
	v_pk_add_f32 v[30:31], v[30:31], v[76:77] neg_lo:[0,1] neg_hi:[0,1]
	v_pk_add_f32 v[36:37], v[36:37], v[74:75] neg_lo:[0,1] neg_hi:[0,1]
	s_wait_dscnt 0x0
	v_dual_mul_f32 v74, v61, v73 :: v_dual_mul_f32 v76, v61, v70
	s_delay_alu instid0(VALU_DEP_1) | instskip(NEXT) | instid1(VALU_DEP_2)
	v_pk_fma_f32 v[74:75], v[60:61], v[52:53], v[74:75] op_sel_hi:[1,1,0] neg_lo:[0,0,1] neg_hi:[0,0,1]
	v_pk_fma_f32 v[60:61], v[60:61], v[52:53], v[76:77] op_sel:[1,0,0] op_sel_hi:[0,1,0]
	s_delay_alu instid0(VALU_DEP_1) | instskip(SKIP_1) | instid1(VALU_DEP_1)
	v_mov_b32_e32 v75, v61
	v_pk_mul_f32 v[60:61], v[62:63], v[72:73] op_sel:[0,1]
	v_pk_fma_f32 v[72:73], v[62:63], v[70:71], v[60:61] op_sel:[0,0,1] op_sel_hi:[1,1,0] neg_lo:[0,0,1] neg_hi:[0,0,1]
	v_pk_fma_f32 v[60:61], v[62:63], v[70:71], v[60:61] op_sel:[0,0,1] op_sel_hi:[1,0,0]
	s_delay_alu instid0(VALU_DEP_1) | instskip(SKIP_1) | instid1(VALU_DEP_2)
	v_mov_b32_e32 v73, v61
	v_pk_add_f32 v[34:35], v[34:35], v[74:75] neg_lo:[0,1] neg_hi:[0,1]
	v_pk_add_f32 v[58:59], v[58:59], v[72:73] neg_lo:[0,1] neg_hi:[0,1]
.LBB52_356:
	s_or_b32 exec_lo, exec_lo, s0
	v_lshl_add_u32 v60, v68, 3, v64
	s_barrier_signal -1
	s_barrier_wait -1
	ds_store_b64 v60, v[50:51]
	s_wait_dscnt 0x0
	s_barrier_signal -1
	s_barrier_wait -1
	ds_load_b64 v[60:61], v64 offset:136
	v_mov_b32_e32 v62, 17
	s_cmp_lt_i32 s14, 19
	s_cbranch_scc1 .LBB52_359
; %bb.357:
	v_add3_u32 v63, v65, 0, 0x90
	v_mov_b32_e32 v62, 17
	s_mov_b32 s0, 18
.LBB52_358:                             ; =>This Inner Loop Header: Depth=1
	ds_load_b64 v[70:71], v63
	s_wait_dscnt 0x1
	v_cmp_gt_f32_e32 vcc_lo, 0, v60
	v_cndmask_b32_e64 v72, v60, -v60, vcc_lo
	v_cmp_gt_f32_e32 vcc_lo, 0, v61
	v_cndmask_b32_e64 v74, v61, -v61, vcc_lo
	s_wait_dscnt 0x0
	v_cmp_gt_f32_e32 vcc_lo, 0, v70
	v_cndmask_b32_e64 v73, v70, -v70, vcc_lo
	v_cmp_gt_f32_e32 vcc_lo, 0, v71
	v_cndmask_b32_e64 v75, v71, -v71, vcc_lo
	s_delay_alu instid0(VALU_DEP_1) | instskip(NEXT) | instid1(VALU_DEP_1)
	v_pk_add_f32 v[72:73], v[72:73], v[74:75]
	v_cmp_lt_f32_e32 vcc_lo, v72, v73
	v_dual_cndmask_b32 v60, v60, v70 :: v_dual_add_nc_u32 v63, 8, v63
	v_cndmask_b32_e32 v61, v61, v71, vcc_lo
	v_cndmask_b32_e64 v62, v62, s0, vcc_lo
	s_add_co_i32 s0, s0, 1
	s_delay_alu instid0(SALU_CYCLE_1)
	s_cmp_lg_u32 s14, s0
	s_cbranch_scc1 .LBB52_358
.LBB52_359:
	s_wait_dscnt 0x0
	v_cmp_eq_f32_e32 vcc_lo, 0, v60
	v_cmp_eq_f32_e64 s0, 0, v61
	s_and_b32 s0, vcc_lo, s0
	s_delay_alu instid0(SALU_CYCLE_1) | instskip(NEXT) | instid1(SALU_CYCLE_1)
	s_and_saveexec_b32 s1, s0
	s_xor_b32 s0, exec_lo, s1
; %bb.360:
	v_cmp_ne_u32_e32 vcc_lo, 0, v66
	v_cndmask_b32_e32 v66, 18, v66, vcc_lo
; %bb.361:
	s_and_not1_saveexec_b32 s0, s0
	s_cbranch_execz .LBB52_367
; %bb.362:
	v_cmp_ngt_f32_e64 s1, |v60|, |v61|
	s_and_saveexec_b32 s15, s1
	s_delay_alu instid0(SALU_CYCLE_1)
	s_xor_b32 s1, exec_lo, s15
	s_cbranch_execz .LBB52_364
; %bb.363:
	v_div_scale_f32 v63, null, v61, v61, v60
	v_div_scale_f32 v71, vcc_lo, v60, v61, v60
	s_delay_alu instid0(VALU_DEP_2) | instskip(SKIP_1) | instid1(TRANS32_DEP_1)
	v_rcp_f32_e32 v69, v63
	v_nop
	v_fma_f32 v70, -v63, v69, 1.0
	s_delay_alu instid0(VALU_DEP_1) | instskip(NEXT) | instid1(VALU_DEP_1)
	v_fmac_f32_e32 v69, v70, v69
	v_mul_f32_e32 v70, v71, v69
	s_delay_alu instid0(VALU_DEP_1) | instskip(NEXT) | instid1(VALU_DEP_1)
	v_fma_f32 v72, -v63, v70, v71
	v_fmac_f32_e32 v70, v72, v69
	s_delay_alu instid0(VALU_DEP_1) | instskip(NEXT) | instid1(VALU_DEP_1)
	v_fma_f32 v63, -v63, v70, v71
	v_div_fmas_f32 v63, v63, v69, v70
	s_delay_alu instid0(VALU_DEP_1) | instskip(NEXT) | instid1(VALU_DEP_1)
	v_div_fixup_f32 v63, v63, v61, v60
	v_fmac_f32_e32 v61, v60, v63
	s_delay_alu instid0(VALU_DEP_1) | instskip(SKIP_1) | instid1(VALU_DEP_2)
	v_div_scale_f32 v60, null, v61, v61, 1.0
	v_div_scale_f32 v71, vcc_lo, 1.0, v61, 1.0
	v_rcp_f32_e32 v69, v60
	v_nop
	s_delay_alu instid0(TRANS32_DEP_1) | instskip(NEXT) | instid1(VALU_DEP_1)
	v_fma_f32 v70, -v60, v69, 1.0
	v_fmac_f32_e32 v69, v70, v69
	s_delay_alu instid0(VALU_DEP_1) | instskip(NEXT) | instid1(VALU_DEP_1)
	v_mul_f32_e32 v70, v71, v69
	v_fma_f32 v72, -v60, v70, v71
	s_delay_alu instid0(VALU_DEP_1) | instskip(NEXT) | instid1(VALU_DEP_1)
	v_fmac_f32_e32 v70, v72, v69
	v_fma_f32 v60, -v60, v70, v71
	s_delay_alu instid0(VALU_DEP_1) | instskip(NEXT) | instid1(VALU_DEP_1)
	v_div_fmas_f32 v60, v60, v69, v70
	v_div_fixup_f32 v61, v60, v61, 1.0
	s_delay_alu instid0(VALU_DEP_1)
	v_mul_f32_e32 v60, v63, v61
	v_xor_b32_e32 v61, 0x80000000, v61
.LBB52_364:
	s_and_not1_saveexec_b32 s1, s1
	s_cbranch_execz .LBB52_366
; %bb.365:
	s_delay_alu instid0(VALU_DEP_1) | instskip(SKIP_1) | instid1(VALU_DEP_2)
	v_div_scale_f32 v63, null, v60, v60, v61
	v_div_scale_f32 v71, vcc_lo, v61, v60, v61
	v_rcp_f32_e32 v69, v63
	v_nop
	s_delay_alu instid0(TRANS32_DEP_1) | instskip(NEXT) | instid1(VALU_DEP_1)
	v_fma_f32 v70, -v63, v69, 1.0
	v_fmac_f32_e32 v69, v70, v69
	s_delay_alu instid0(VALU_DEP_1) | instskip(NEXT) | instid1(VALU_DEP_1)
	v_mul_f32_e32 v70, v71, v69
	v_fma_f32 v72, -v63, v70, v71
	s_delay_alu instid0(VALU_DEP_1) | instskip(NEXT) | instid1(VALU_DEP_1)
	v_fmac_f32_e32 v70, v72, v69
	v_fma_f32 v63, -v63, v70, v71
	s_delay_alu instid0(VALU_DEP_1) | instskip(NEXT) | instid1(VALU_DEP_1)
	v_div_fmas_f32 v63, v63, v69, v70
	v_div_fixup_f32 v63, v63, v60, v61
	s_delay_alu instid0(VALU_DEP_1) | instskip(NEXT) | instid1(VALU_DEP_1)
	v_fmac_f32_e32 v60, v61, v63
	v_div_scale_f32 v61, null, v60, v60, 1.0
	s_delay_alu instid0(VALU_DEP_1) | instskip(SKIP_1) | instid1(TRANS32_DEP_1)
	v_rcp_f32_e32 v69, v61
	v_nop
	v_fma_f32 v70, -v61, v69, 1.0
	s_delay_alu instid0(VALU_DEP_1) | instskip(SKIP_1) | instid1(VALU_DEP_1)
	v_fmac_f32_e32 v69, v70, v69
	v_div_scale_f32 v70, vcc_lo, 1.0, v60, 1.0
	v_mul_f32_e32 v71, v70, v69
	s_delay_alu instid0(VALU_DEP_1) | instskip(NEXT) | instid1(VALU_DEP_1)
	v_fma_f32 v72, -v61, v71, v70
	v_fmac_f32_e32 v71, v72, v69
	s_delay_alu instid0(VALU_DEP_1) | instskip(NEXT) | instid1(VALU_DEP_1)
	v_fma_f32 v61, -v61, v71, v70
	v_div_fmas_f32 v61, v61, v69, v71
	s_delay_alu instid0(VALU_DEP_1) | instskip(NEXT) | instid1(VALU_DEP_1)
	v_div_fixup_f32 v60, v61, v60, 1.0
	v_mul_f32_e64 v61, v63, -v60
.LBB52_366:
	s_or_b32 exec_lo, exec_lo, s1
.LBB52_367:
	s_delay_alu instid0(SALU_CYCLE_1) | instskip(NEXT) | instid1(SALU_CYCLE_1)
	s_or_b32 exec_lo, exec_lo, s0
	s_mov_b32 s0, exec_lo
	v_cmpx_ne_u32_e64 v68, v62
	s_xor_b32 s0, exec_lo, s0
	s_cbranch_execz .LBB52_373
; %bb.368:
	s_mov_b32 s1, exec_lo
	v_cmpx_eq_u32_e32 17, v68
	s_cbranch_execz .LBB52_372
; %bb.369:
	v_cmp_ne_u32_e32 vcc_lo, 17, v62
	s_xor_b32 s15, s2, -1
	s_delay_alu instid0(SALU_CYCLE_1) | instskip(NEXT) | instid1(SALU_CYCLE_1)
	s_and_b32 s16, s15, vcc_lo
	s_and_saveexec_b32 s15, s16
	s_cbranch_execz .LBB52_371
; %bb.370:
	v_ashrrev_i32_e32 v63, 31, v62
	s_delay_alu instid0(VALU_DEP_1)
	v_lshl_add_u64 v[68:69], v[62:63], 2, v[4:5]
	s_clause 0x1
	global_load_b32 v63, v[68:69], off
	global_load_b32 v67, v[4:5], off offset:68
	s_wait_loadcnt 0x1
	global_store_b32 v[4:5], v63, off offset:68
	s_wait_loadcnt 0x0
	global_store_b32 v[68:69], v67, off
.LBB52_371:
	s_wait_xcnt 0x0
	s_or_b32 exec_lo, exec_lo, s15
	v_dual_mov_b32 v68, v62 :: v_dual_mov_b32 v67, v62
.LBB52_372:
	s_or_b32 exec_lo, exec_lo, s1
.LBB52_373:
	s_and_not1_saveexec_b32 s0, s0
	s_cbranch_execz .LBB52_375
; %bb.374:
	v_dual_mov_b32 v62, v26 :: v_dual_mov_b32 v63, v27
	v_dual_mov_b32 v68, v22 :: v_dual_mov_b32 v69, v23
	ds_store_2addr_b64 v64, v[62:63], v[68:69] offset0:18 offset1:19
	v_dual_mov_b32 v62, v44 :: v_dual_mov_b32 v63, v45
	v_dual_mov_b32 v68, v42 :: v_dual_mov_b32 v69, v43
	ds_store_2addr_b64 v64, v[62:63], v[68:69] offset0:20 offset1:21
	;; [unrolled: 3-line block ×4, first 2 shown]
	ds_store_b64 v64, v[58:59] offset:208
	v_mov_b32_e32 v68, 17
.LBB52_375:
	s_or_b32 exec_lo, exec_lo, s0
	s_delay_alu instid0(SALU_CYCLE_1)
	s_mov_b32 s0, exec_lo
	s_wait_storecnt_dscnt 0x0
	s_barrier_signal -1
	s_barrier_wait -1
	v_cmpx_lt_i32_e32 17, v68
	s_cbranch_execz .LBB52_377
; %bb.376:
	v_pk_mul_f32 v[62:63], v[60:61], v[50:51] op_sel:[1,1] op_sel_hi:[0,1]
	s_delay_alu instid0(VALU_DEP_1)
	v_pk_fma_f32 v[70:71], v[60:61], v[50:51], v[62:63] op_sel_hi:[1,0,1] neg_lo:[0,0,1] neg_hi:[0,0,1]
	v_pk_fma_f32 v[72:73], v[60:61], v[50:51], v[62:63] op_sel_hi:[1,0,1]
	ds_load_2addr_b64 v[60:63], v64 offset0:18 offset1:19
	v_dual_mov_b32 v50, v70 :: v_dual_mov_b32 v51, v73
	s_wait_dscnt 0x0
	v_pk_mul_f32 v[74:75], v[60:61], v[72:73] op_sel:[0,1]
	s_delay_alu instid0(VALU_DEP_1) | instskip(SKIP_1) | instid1(VALU_DEP_1)
	v_pk_fma_f32 v[76:77], v[60:61], v[70:71], v[74:75] op_sel:[0,0,1] op_sel_hi:[1,1,0] neg_lo:[0,0,1] neg_hi:[0,0,1]
	v_pk_fma_f32 v[60:61], v[60:61], v[70:71], v[74:75] op_sel:[0,0,1] op_sel_hi:[1,0,0]
	v_mov_b32_e32 v77, v61
	v_pk_mul_f32 v[60:61], v[62:63], v[72:73] op_sel:[0,1]
	s_delay_alu instid0(VALU_DEP_1) | instskip(SKIP_1) | instid1(VALU_DEP_1)
	v_pk_fma_f32 v[74:75], v[62:63], v[70:71], v[60:61] op_sel:[0,0,1] op_sel_hi:[1,1,0] neg_lo:[0,0,1] neg_hi:[0,0,1]
	v_pk_fma_f32 v[60:61], v[62:63], v[70:71], v[60:61] op_sel:[0,0,1] op_sel_hi:[1,0,0]
	v_mov_b32_e32 v75, v61
	ds_load_2addr_b64 v[60:63], v64 offset0:20 offset1:21
	v_pk_add_f32 v[26:27], v[26:27], v[76:77] neg_lo:[0,1] neg_hi:[0,1]
	v_pk_add_f32 v[22:23], v[22:23], v[74:75] neg_lo:[0,1] neg_hi:[0,1]
	s_wait_dscnt 0x0
	v_pk_mul_f32 v[74:75], v[60:61], v[72:73] op_sel:[0,1]
	s_delay_alu instid0(VALU_DEP_1) | instskip(SKIP_2) | instid1(VALU_DEP_2)
	v_pk_fma_f32 v[76:77], v[60:61], v[70:71], v[74:75] op_sel:[0,0,1] op_sel_hi:[1,1,0] neg_lo:[0,0,1] neg_hi:[0,0,1]
	v_pk_fma_f32 v[60:61], v[60:61], v[70:71], v[74:75] op_sel:[0,0,1] op_sel_hi:[1,0,0]
	v_dual_mul_f32 v74, v63, v73 :: v_dual_mov_b32 v60, v63
	v_dual_mov_b32 v77, v61 :: v_dual_mov_b32 v61, v62
	s_delay_alu instid0(VALU_DEP_2) | instskip(SKIP_1) | instid1(VALU_DEP_3)
	v_pk_fma_f32 v[74:75], v[62:63], v[50:51], v[74:75] op_sel_hi:[1,1,0] neg_lo:[0,0,1] neg_hi:[0,0,1]
	v_mul_f32_e32 v62, v63, v70
	v_pk_add_f32 v[44:45], v[44:45], v[76:77] neg_lo:[0,1] neg_hi:[0,1]
	s_delay_alu instid0(VALU_DEP_2) | instskip(NEXT) | instid1(VALU_DEP_1)
	v_pk_fma_f32 v[60:61], v[60:61], v[50:51], v[62:63] op_sel_hi:[1,1,0]
	v_mov_b32_e32 v75, v61
	ds_load_2addr_b64 v[60:63], v64 offset0:22 offset1:23
	v_pk_add_f32 v[42:43], v[42:43], v[74:75] neg_lo:[0,1] neg_hi:[0,1]
	s_wait_dscnt 0x0
	v_pk_mul_f32 v[74:75], v[60:61], v[72:73] op_sel:[0,1]
	s_delay_alu instid0(VALU_DEP_1) | instskip(SKIP_1) | instid1(VALU_DEP_1)
	v_pk_fma_f32 v[76:77], v[60:61], v[70:71], v[74:75] op_sel:[0,0,1] op_sel_hi:[1,1,0] neg_lo:[0,0,1] neg_hi:[0,0,1]
	v_pk_fma_f32 v[60:61], v[60:61], v[70:71], v[74:75] op_sel:[0,0,1] op_sel_hi:[1,0,0]
	v_mov_b32_e32 v77, v61
	v_pk_mul_f32 v[60:61], v[62:63], v[72:73] op_sel:[0,1]
	s_delay_alu instid0(VALU_DEP_1) | instskip(SKIP_1) | instid1(VALU_DEP_1)
	v_pk_fma_f32 v[74:75], v[62:63], v[70:71], v[60:61] op_sel:[0,0,1] op_sel_hi:[1,1,0] neg_lo:[0,0,1] neg_hi:[0,0,1]
	v_pk_fma_f32 v[60:61], v[62:63], v[70:71], v[60:61] op_sel:[0,0,1] op_sel_hi:[1,0,0]
	v_mov_b32_e32 v75, v61
	ds_load_2addr_b64 v[60:63], v64 offset0:24 offset1:25
	v_pk_add_f32 v[32:33], v[32:33], v[76:77] neg_lo:[0,1] neg_hi:[0,1]
	v_pk_add_f32 v[30:31], v[30:31], v[74:75] neg_lo:[0,1] neg_hi:[0,1]
	s_wait_dscnt 0x0
	v_pk_mul_f32 v[74:75], v[60:61], v[72:73] op_sel:[0,1]
	s_delay_alu instid0(VALU_DEP_1) | instskip(SKIP_1) | instid1(VALU_DEP_1)
	v_pk_fma_f32 v[76:77], v[60:61], v[70:71], v[74:75] op_sel:[0,0,1] op_sel_hi:[1,1,0] neg_lo:[0,0,1] neg_hi:[0,0,1]
	v_pk_fma_f32 v[60:61], v[60:61], v[70:71], v[74:75] op_sel:[0,0,1] op_sel_hi:[1,0,0]
	v_mov_b32_e32 v77, v61
	v_pk_mul_f32 v[60:61], v[62:63], v[72:73] op_sel:[0,1]
	s_delay_alu instid0(VALU_DEP_1) | instskip(SKIP_1) | instid1(VALU_DEP_1)
	v_pk_fma_f32 v[74:75], v[62:63], v[70:71], v[60:61] op_sel:[0,0,1] op_sel_hi:[1,1,0] neg_lo:[0,0,1] neg_hi:[0,0,1]
	v_pk_fma_f32 v[60:61], v[62:63], v[70:71], v[60:61] op_sel:[0,0,1] op_sel_hi:[1,0,0]
	v_mov_b32_e32 v75, v61
	ds_load_b64 v[60:61], v64 offset:208
	v_pk_add_f32 v[36:37], v[36:37], v[76:77] neg_lo:[0,1] neg_hi:[0,1]
	v_pk_add_f32 v[34:35], v[34:35], v[74:75] neg_lo:[0,1] neg_hi:[0,1]
	s_wait_dscnt 0x0
	v_pk_mul_f32 v[62:63], v[60:61], v[72:73] op_sel:[0,1]
	s_delay_alu instid0(VALU_DEP_1) | instskip(SKIP_1) | instid1(VALU_DEP_1)
	v_pk_fma_f32 v[72:73], v[60:61], v[70:71], v[62:63] op_sel:[0,0,1] op_sel_hi:[1,1,0] neg_lo:[0,0,1] neg_hi:[0,0,1]
	v_pk_fma_f32 v[60:61], v[60:61], v[70:71], v[62:63] op_sel:[0,0,1] op_sel_hi:[1,0,0]
	v_mov_b32_e32 v73, v61
	s_delay_alu instid0(VALU_DEP_1)
	v_pk_add_f32 v[58:59], v[58:59], v[72:73] neg_lo:[0,1] neg_hi:[0,1]
.LBB52_377:
	s_or_b32 exec_lo, exec_lo, s0
	v_lshl_add_u32 v60, v68, 3, v64
	s_barrier_signal -1
	s_barrier_wait -1
	ds_store_b64 v60, v[26:27]
	s_wait_dscnt 0x0
	s_barrier_signal -1
	s_barrier_wait -1
	ds_load_b64 v[60:61], v64 offset:144
	v_mov_b32_e32 v62, 18
	s_cmp_lt_i32 s14, 20
	s_cbranch_scc1 .LBB52_380
; %bb.378:
	v_add3_u32 v63, v65, 0, 0x98
	v_mov_b32_e32 v62, 18
	s_mov_b32 s0, 19
.LBB52_379:                             ; =>This Inner Loop Header: Depth=1
	ds_load_b64 v[70:71], v63
	s_wait_dscnt 0x1
	v_cmp_gt_f32_e32 vcc_lo, 0, v60
	v_cndmask_b32_e64 v72, v60, -v60, vcc_lo
	v_cmp_gt_f32_e32 vcc_lo, 0, v61
	v_cndmask_b32_e64 v74, v61, -v61, vcc_lo
	s_wait_dscnt 0x0
	v_cmp_gt_f32_e32 vcc_lo, 0, v70
	v_cndmask_b32_e64 v73, v70, -v70, vcc_lo
	v_cmp_gt_f32_e32 vcc_lo, 0, v71
	v_cndmask_b32_e64 v75, v71, -v71, vcc_lo
	s_delay_alu instid0(VALU_DEP_1) | instskip(NEXT) | instid1(VALU_DEP_1)
	v_pk_add_f32 v[72:73], v[72:73], v[74:75]
	v_cmp_lt_f32_e32 vcc_lo, v72, v73
	v_dual_cndmask_b32 v60, v60, v70 :: v_dual_add_nc_u32 v63, 8, v63
	v_cndmask_b32_e32 v61, v61, v71, vcc_lo
	v_cndmask_b32_e64 v62, v62, s0, vcc_lo
	s_add_co_i32 s0, s0, 1
	s_delay_alu instid0(SALU_CYCLE_1)
	s_cmp_lg_u32 s14, s0
	s_cbranch_scc1 .LBB52_379
.LBB52_380:
	s_wait_dscnt 0x0
	v_cmp_eq_f32_e32 vcc_lo, 0, v60
	v_cmp_eq_f32_e64 s0, 0, v61
	s_and_b32 s0, vcc_lo, s0
	s_delay_alu instid0(SALU_CYCLE_1) | instskip(NEXT) | instid1(SALU_CYCLE_1)
	s_and_saveexec_b32 s1, s0
	s_xor_b32 s0, exec_lo, s1
; %bb.381:
	v_cmp_ne_u32_e32 vcc_lo, 0, v66
	v_cndmask_b32_e32 v66, 19, v66, vcc_lo
; %bb.382:
	s_and_not1_saveexec_b32 s0, s0
	s_cbranch_execz .LBB52_388
; %bb.383:
	v_cmp_ngt_f32_e64 s1, |v60|, |v61|
	s_and_saveexec_b32 s15, s1
	s_delay_alu instid0(SALU_CYCLE_1)
	s_xor_b32 s1, exec_lo, s15
	s_cbranch_execz .LBB52_385
; %bb.384:
	v_div_scale_f32 v63, null, v61, v61, v60
	v_div_scale_f32 v71, vcc_lo, v60, v61, v60
	s_delay_alu instid0(VALU_DEP_2) | instskip(SKIP_1) | instid1(TRANS32_DEP_1)
	v_rcp_f32_e32 v69, v63
	v_nop
	v_fma_f32 v70, -v63, v69, 1.0
	s_delay_alu instid0(VALU_DEP_1) | instskip(NEXT) | instid1(VALU_DEP_1)
	v_fmac_f32_e32 v69, v70, v69
	v_mul_f32_e32 v70, v71, v69
	s_delay_alu instid0(VALU_DEP_1) | instskip(NEXT) | instid1(VALU_DEP_1)
	v_fma_f32 v72, -v63, v70, v71
	v_fmac_f32_e32 v70, v72, v69
	s_delay_alu instid0(VALU_DEP_1) | instskip(NEXT) | instid1(VALU_DEP_1)
	v_fma_f32 v63, -v63, v70, v71
	v_div_fmas_f32 v63, v63, v69, v70
	s_delay_alu instid0(VALU_DEP_1) | instskip(NEXT) | instid1(VALU_DEP_1)
	v_div_fixup_f32 v63, v63, v61, v60
	v_fmac_f32_e32 v61, v60, v63
	s_delay_alu instid0(VALU_DEP_1) | instskip(SKIP_1) | instid1(VALU_DEP_2)
	v_div_scale_f32 v60, null, v61, v61, 1.0
	v_div_scale_f32 v71, vcc_lo, 1.0, v61, 1.0
	v_rcp_f32_e32 v69, v60
	v_nop
	s_delay_alu instid0(TRANS32_DEP_1) | instskip(NEXT) | instid1(VALU_DEP_1)
	v_fma_f32 v70, -v60, v69, 1.0
	v_fmac_f32_e32 v69, v70, v69
	s_delay_alu instid0(VALU_DEP_1) | instskip(NEXT) | instid1(VALU_DEP_1)
	v_mul_f32_e32 v70, v71, v69
	v_fma_f32 v72, -v60, v70, v71
	s_delay_alu instid0(VALU_DEP_1) | instskip(NEXT) | instid1(VALU_DEP_1)
	v_fmac_f32_e32 v70, v72, v69
	v_fma_f32 v60, -v60, v70, v71
	s_delay_alu instid0(VALU_DEP_1) | instskip(NEXT) | instid1(VALU_DEP_1)
	v_div_fmas_f32 v60, v60, v69, v70
	v_div_fixup_f32 v61, v60, v61, 1.0
	s_delay_alu instid0(VALU_DEP_1)
	v_mul_f32_e32 v60, v63, v61
	v_xor_b32_e32 v61, 0x80000000, v61
.LBB52_385:
	s_and_not1_saveexec_b32 s1, s1
	s_cbranch_execz .LBB52_387
; %bb.386:
	s_delay_alu instid0(VALU_DEP_1) | instskip(SKIP_1) | instid1(VALU_DEP_2)
	v_div_scale_f32 v63, null, v60, v60, v61
	v_div_scale_f32 v71, vcc_lo, v61, v60, v61
	v_rcp_f32_e32 v69, v63
	v_nop
	s_delay_alu instid0(TRANS32_DEP_1) | instskip(NEXT) | instid1(VALU_DEP_1)
	v_fma_f32 v70, -v63, v69, 1.0
	v_fmac_f32_e32 v69, v70, v69
	s_delay_alu instid0(VALU_DEP_1) | instskip(NEXT) | instid1(VALU_DEP_1)
	v_mul_f32_e32 v70, v71, v69
	v_fma_f32 v72, -v63, v70, v71
	s_delay_alu instid0(VALU_DEP_1) | instskip(NEXT) | instid1(VALU_DEP_1)
	v_fmac_f32_e32 v70, v72, v69
	v_fma_f32 v63, -v63, v70, v71
	s_delay_alu instid0(VALU_DEP_1) | instskip(NEXT) | instid1(VALU_DEP_1)
	v_div_fmas_f32 v63, v63, v69, v70
	v_div_fixup_f32 v63, v63, v60, v61
	s_delay_alu instid0(VALU_DEP_1) | instskip(NEXT) | instid1(VALU_DEP_1)
	v_fmac_f32_e32 v60, v61, v63
	v_div_scale_f32 v61, null, v60, v60, 1.0
	s_delay_alu instid0(VALU_DEP_1) | instskip(SKIP_1) | instid1(TRANS32_DEP_1)
	v_rcp_f32_e32 v69, v61
	v_nop
	v_fma_f32 v70, -v61, v69, 1.0
	s_delay_alu instid0(VALU_DEP_1) | instskip(SKIP_1) | instid1(VALU_DEP_1)
	v_fmac_f32_e32 v69, v70, v69
	v_div_scale_f32 v70, vcc_lo, 1.0, v60, 1.0
	v_mul_f32_e32 v71, v70, v69
	s_delay_alu instid0(VALU_DEP_1) | instskip(NEXT) | instid1(VALU_DEP_1)
	v_fma_f32 v72, -v61, v71, v70
	v_fmac_f32_e32 v71, v72, v69
	s_delay_alu instid0(VALU_DEP_1) | instskip(NEXT) | instid1(VALU_DEP_1)
	v_fma_f32 v61, -v61, v71, v70
	v_div_fmas_f32 v61, v61, v69, v71
	s_delay_alu instid0(VALU_DEP_1) | instskip(NEXT) | instid1(VALU_DEP_1)
	v_div_fixup_f32 v60, v61, v60, 1.0
	v_mul_f32_e64 v61, v63, -v60
.LBB52_387:
	s_or_b32 exec_lo, exec_lo, s1
.LBB52_388:
	s_delay_alu instid0(SALU_CYCLE_1) | instskip(NEXT) | instid1(SALU_CYCLE_1)
	s_or_b32 exec_lo, exec_lo, s0
	s_mov_b32 s0, exec_lo
	v_cmpx_ne_u32_e64 v68, v62
	s_xor_b32 s0, exec_lo, s0
	s_cbranch_execz .LBB52_394
; %bb.389:
	s_mov_b32 s1, exec_lo
	v_cmpx_eq_u32_e32 18, v68
	s_cbranch_execz .LBB52_393
; %bb.390:
	v_cmp_ne_u32_e32 vcc_lo, 18, v62
	s_xor_b32 s15, s2, -1
	s_delay_alu instid0(SALU_CYCLE_1) | instskip(NEXT) | instid1(SALU_CYCLE_1)
	s_and_b32 s16, s15, vcc_lo
	s_and_saveexec_b32 s15, s16
	s_cbranch_execz .LBB52_392
; %bb.391:
	v_ashrrev_i32_e32 v63, 31, v62
	s_delay_alu instid0(VALU_DEP_1)
	v_lshl_add_u64 v[68:69], v[62:63], 2, v[4:5]
	s_clause 0x1
	global_load_b32 v63, v[68:69], off
	global_load_b32 v67, v[4:5], off offset:72
	s_wait_loadcnt 0x1
	global_store_b32 v[4:5], v63, off offset:72
	s_wait_loadcnt 0x0
	global_store_b32 v[68:69], v67, off
.LBB52_392:
	s_wait_xcnt 0x0
	s_or_b32 exec_lo, exec_lo, s15
	v_dual_mov_b32 v68, v62 :: v_dual_mov_b32 v67, v62
.LBB52_393:
	s_or_b32 exec_lo, exec_lo, s1
.LBB52_394:
	s_and_not1_saveexec_b32 s0, s0
	s_cbranch_execz .LBB52_396
; %bb.395:
	v_mov_b32_e32 v68, 18
	ds_store_2addr_b64 v64, v[22:23], v[44:45] offset0:19 offset1:20
	ds_store_2addr_b64 v64, v[42:43], v[32:33] offset0:21 offset1:22
	;; [unrolled: 1-line block ×4, first 2 shown]
.LBB52_396:
	s_or_b32 exec_lo, exec_lo, s0
	s_delay_alu instid0(SALU_CYCLE_1)
	s_mov_b32 s0, exec_lo
	s_wait_storecnt_dscnt 0x0
	s_barrier_signal -1
	s_barrier_wait -1
	v_cmpx_lt_i32_e32 18, v68
	s_cbranch_execz .LBB52_398
; %bb.397:
	v_pk_mul_f32 v[62:63], v[60:61], v[26:27] op_sel:[1,1] op_sel_hi:[0,1]
	s_delay_alu instid0(VALU_DEP_1)
	v_pk_fma_f32 v[70:71], v[60:61], v[26:27], v[62:63] op_sel_hi:[1,0,1] neg_lo:[0,0,1] neg_hi:[0,0,1]
	v_pk_fma_f32 v[72:73], v[60:61], v[26:27], v[62:63] op_sel_hi:[1,0,1]
	ds_load_2addr_b64 v[60:63], v64 offset0:19 offset1:20
	v_dual_mov_b32 v26, v70 :: v_dual_mov_b32 v27, v73
	s_wait_dscnt 0x0
	v_pk_mul_f32 v[74:75], v[60:61], v[72:73] op_sel:[0,1]
	s_delay_alu instid0(VALU_DEP_1) | instskip(SKIP_1) | instid1(VALU_DEP_1)
	v_pk_fma_f32 v[76:77], v[60:61], v[70:71], v[74:75] op_sel:[0,0,1] op_sel_hi:[1,1,0] neg_lo:[0,0,1] neg_hi:[0,0,1]
	v_pk_fma_f32 v[60:61], v[60:61], v[70:71], v[74:75] op_sel:[0,0,1] op_sel_hi:[1,0,0]
	v_mov_b32_e32 v77, v61
	v_pk_mul_f32 v[60:61], v[62:63], v[72:73] op_sel:[0,1]
	s_delay_alu instid0(VALU_DEP_1) | instskip(SKIP_1) | instid1(VALU_DEP_1)
	v_pk_fma_f32 v[74:75], v[62:63], v[70:71], v[60:61] op_sel:[0,0,1] op_sel_hi:[1,1,0] neg_lo:[0,0,1] neg_hi:[0,0,1]
	v_pk_fma_f32 v[60:61], v[62:63], v[70:71], v[60:61] op_sel:[0,0,1] op_sel_hi:[1,0,0]
	v_mov_b32_e32 v75, v61
	ds_load_2addr_b64 v[60:63], v64 offset0:21 offset1:22
	v_pk_add_f32 v[22:23], v[22:23], v[76:77] neg_lo:[0,1] neg_hi:[0,1]
	v_pk_add_f32 v[44:45], v[44:45], v[74:75] neg_lo:[0,1] neg_hi:[0,1]
	s_wait_dscnt 0x0
	v_pk_mul_f32 v[74:75], v[60:61], v[72:73] op_sel:[0,1]
	s_delay_alu instid0(VALU_DEP_1) | instskip(SKIP_2) | instid1(VALU_DEP_2)
	v_pk_fma_f32 v[76:77], v[60:61], v[70:71], v[74:75] op_sel:[0,0,1] op_sel_hi:[1,1,0] neg_lo:[0,0,1] neg_hi:[0,0,1]
	v_pk_fma_f32 v[60:61], v[60:61], v[70:71], v[74:75] op_sel:[0,0,1] op_sel_hi:[1,0,0]
	v_dual_mul_f32 v74, v63, v73 :: v_dual_mov_b32 v60, v63
	v_dual_mov_b32 v77, v61 :: v_dual_mov_b32 v61, v62
	s_delay_alu instid0(VALU_DEP_2) | instskip(SKIP_1) | instid1(VALU_DEP_3)
	v_pk_fma_f32 v[74:75], v[62:63], v[26:27], v[74:75] op_sel_hi:[1,1,0] neg_lo:[0,0,1] neg_hi:[0,0,1]
	v_mul_f32_e32 v62, v63, v70
	v_pk_add_f32 v[42:43], v[42:43], v[76:77] neg_lo:[0,1] neg_hi:[0,1]
	s_delay_alu instid0(VALU_DEP_2) | instskip(NEXT) | instid1(VALU_DEP_1)
	v_pk_fma_f32 v[60:61], v[60:61], v[26:27], v[62:63] op_sel_hi:[1,1,0]
	v_mov_b32_e32 v75, v61
	ds_load_2addr_b64 v[60:63], v64 offset0:23 offset1:24
	v_pk_add_f32 v[32:33], v[32:33], v[74:75] neg_lo:[0,1] neg_hi:[0,1]
	s_wait_dscnt 0x0
	v_pk_mul_f32 v[74:75], v[60:61], v[72:73] op_sel:[0,1]
	s_delay_alu instid0(VALU_DEP_1) | instskip(SKIP_1) | instid1(VALU_DEP_1)
	v_pk_fma_f32 v[76:77], v[60:61], v[70:71], v[74:75] op_sel:[0,0,1] op_sel_hi:[1,1,0] neg_lo:[0,0,1] neg_hi:[0,0,1]
	v_pk_fma_f32 v[60:61], v[60:61], v[70:71], v[74:75] op_sel:[0,0,1] op_sel_hi:[1,0,0]
	v_mov_b32_e32 v77, v61
	v_pk_mul_f32 v[60:61], v[62:63], v[72:73] op_sel:[0,1]
	s_delay_alu instid0(VALU_DEP_1) | instskip(SKIP_1) | instid1(VALU_DEP_1)
	v_pk_fma_f32 v[74:75], v[62:63], v[70:71], v[60:61] op_sel:[0,0,1] op_sel_hi:[1,1,0] neg_lo:[0,0,1] neg_hi:[0,0,1]
	v_pk_fma_f32 v[60:61], v[62:63], v[70:71], v[60:61] op_sel:[0,0,1] op_sel_hi:[1,0,0]
	v_mov_b32_e32 v75, v61
	ds_load_2addr_b64 v[60:63], v64 offset0:25 offset1:26
	v_pk_add_f32 v[30:31], v[30:31], v[76:77] neg_lo:[0,1] neg_hi:[0,1]
	v_pk_add_f32 v[36:37], v[36:37], v[74:75] neg_lo:[0,1] neg_hi:[0,1]
	s_wait_dscnt 0x0
	v_pk_mul_f32 v[74:75], v[60:61], v[72:73] op_sel:[0,1]
	s_delay_alu instid0(VALU_DEP_1) | instskip(SKIP_1) | instid1(VALU_DEP_1)
	v_pk_fma_f32 v[76:77], v[60:61], v[70:71], v[74:75] op_sel:[0,0,1] op_sel_hi:[1,1,0] neg_lo:[0,0,1] neg_hi:[0,0,1]
	v_pk_fma_f32 v[60:61], v[60:61], v[70:71], v[74:75] op_sel:[0,0,1] op_sel_hi:[1,0,0]
	v_mov_b32_e32 v77, v61
	v_pk_mul_f32 v[60:61], v[62:63], v[72:73] op_sel:[0,1]
	s_delay_alu instid0(VALU_DEP_1) | instskip(SKIP_1) | instid1(VALU_DEP_1)
	v_pk_fma_f32 v[72:73], v[62:63], v[70:71], v[60:61] op_sel:[0,0,1] op_sel_hi:[1,1,0] neg_lo:[0,0,1] neg_hi:[0,0,1]
	v_pk_fma_f32 v[60:61], v[62:63], v[70:71], v[60:61] op_sel:[0,0,1] op_sel_hi:[1,0,0]
	v_mov_b32_e32 v73, v61
	v_pk_add_f32 v[34:35], v[34:35], v[76:77] neg_lo:[0,1] neg_hi:[0,1]
	s_delay_alu instid0(VALU_DEP_2)
	v_pk_add_f32 v[58:59], v[58:59], v[72:73] neg_lo:[0,1] neg_hi:[0,1]
.LBB52_398:
	s_or_b32 exec_lo, exec_lo, s0
	v_lshl_add_u32 v60, v68, 3, v64
	s_barrier_signal -1
	s_barrier_wait -1
	ds_store_b64 v60, v[22:23]
	s_wait_dscnt 0x0
	s_barrier_signal -1
	s_barrier_wait -1
	ds_load_b64 v[60:61], v64 offset:152
	v_mov_b32_e32 v62, 19
	s_cmp_lt_i32 s14, 21
	s_cbranch_scc1 .LBB52_401
; %bb.399:
	v_add3_u32 v63, v65, 0, 0xa0
	v_mov_b32_e32 v62, 19
	s_mov_b32 s0, 20
.LBB52_400:                             ; =>This Inner Loop Header: Depth=1
	ds_load_b64 v[70:71], v63
	s_wait_dscnt 0x1
	v_cmp_gt_f32_e32 vcc_lo, 0, v60
	v_cndmask_b32_e64 v72, v60, -v60, vcc_lo
	v_cmp_gt_f32_e32 vcc_lo, 0, v61
	v_cndmask_b32_e64 v74, v61, -v61, vcc_lo
	s_wait_dscnt 0x0
	v_cmp_gt_f32_e32 vcc_lo, 0, v70
	v_cndmask_b32_e64 v73, v70, -v70, vcc_lo
	v_cmp_gt_f32_e32 vcc_lo, 0, v71
	v_cndmask_b32_e64 v75, v71, -v71, vcc_lo
	s_delay_alu instid0(VALU_DEP_1) | instskip(NEXT) | instid1(VALU_DEP_1)
	v_pk_add_f32 v[72:73], v[72:73], v[74:75]
	v_cmp_lt_f32_e32 vcc_lo, v72, v73
	v_dual_cndmask_b32 v60, v60, v70 :: v_dual_add_nc_u32 v63, 8, v63
	v_cndmask_b32_e32 v61, v61, v71, vcc_lo
	v_cndmask_b32_e64 v62, v62, s0, vcc_lo
	s_add_co_i32 s0, s0, 1
	s_delay_alu instid0(SALU_CYCLE_1)
	s_cmp_lg_u32 s14, s0
	s_cbranch_scc1 .LBB52_400
.LBB52_401:
	s_wait_dscnt 0x0
	v_cmp_eq_f32_e32 vcc_lo, 0, v60
	v_cmp_eq_f32_e64 s0, 0, v61
	s_and_b32 s0, vcc_lo, s0
	s_delay_alu instid0(SALU_CYCLE_1) | instskip(NEXT) | instid1(SALU_CYCLE_1)
	s_and_saveexec_b32 s1, s0
	s_xor_b32 s0, exec_lo, s1
; %bb.402:
	v_cmp_ne_u32_e32 vcc_lo, 0, v66
	v_cndmask_b32_e32 v66, 20, v66, vcc_lo
; %bb.403:
	s_and_not1_saveexec_b32 s0, s0
	s_cbranch_execz .LBB52_409
; %bb.404:
	v_cmp_ngt_f32_e64 s1, |v60|, |v61|
	s_and_saveexec_b32 s15, s1
	s_delay_alu instid0(SALU_CYCLE_1)
	s_xor_b32 s1, exec_lo, s15
	s_cbranch_execz .LBB52_406
; %bb.405:
	v_div_scale_f32 v63, null, v61, v61, v60
	v_div_scale_f32 v71, vcc_lo, v60, v61, v60
	s_delay_alu instid0(VALU_DEP_2) | instskip(SKIP_1) | instid1(TRANS32_DEP_1)
	v_rcp_f32_e32 v69, v63
	v_nop
	v_fma_f32 v70, -v63, v69, 1.0
	s_delay_alu instid0(VALU_DEP_1) | instskip(NEXT) | instid1(VALU_DEP_1)
	v_fmac_f32_e32 v69, v70, v69
	v_mul_f32_e32 v70, v71, v69
	s_delay_alu instid0(VALU_DEP_1) | instskip(NEXT) | instid1(VALU_DEP_1)
	v_fma_f32 v72, -v63, v70, v71
	v_fmac_f32_e32 v70, v72, v69
	s_delay_alu instid0(VALU_DEP_1) | instskip(NEXT) | instid1(VALU_DEP_1)
	v_fma_f32 v63, -v63, v70, v71
	v_div_fmas_f32 v63, v63, v69, v70
	s_delay_alu instid0(VALU_DEP_1) | instskip(NEXT) | instid1(VALU_DEP_1)
	v_div_fixup_f32 v63, v63, v61, v60
	v_fmac_f32_e32 v61, v60, v63
	s_delay_alu instid0(VALU_DEP_1) | instskip(SKIP_1) | instid1(VALU_DEP_2)
	v_div_scale_f32 v60, null, v61, v61, 1.0
	v_div_scale_f32 v71, vcc_lo, 1.0, v61, 1.0
	v_rcp_f32_e32 v69, v60
	v_nop
	s_delay_alu instid0(TRANS32_DEP_1) | instskip(NEXT) | instid1(VALU_DEP_1)
	v_fma_f32 v70, -v60, v69, 1.0
	v_fmac_f32_e32 v69, v70, v69
	s_delay_alu instid0(VALU_DEP_1) | instskip(NEXT) | instid1(VALU_DEP_1)
	v_mul_f32_e32 v70, v71, v69
	v_fma_f32 v72, -v60, v70, v71
	s_delay_alu instid0(VALU_DEP_1) | instskip(NEXT) | instid1(VALU_DEP_1)
	v_fmac_f32_e32 v70, v72, v69
	v_fma_f32 v60, -v60, v70, v71
	s_delay_alu instid0(VALU_DEP_1) | instskip(NEXT) | instid1(VALU_DEP_1)
	v_div_fmas_f32 v60, v60, v69, v70
	v_div_fixup_f32 v61, v60, v61, 1.0
	s_delay_alu instid0(VALU_DEP_1)
	v_mul_f32_e32 v60, v63, v61
	v_xor_b32_e32 v61, 0x80000000, v61
.LBB52_406:
	s_and_not1_saveexec_b32 s1, s1
	s_cbranch_execz .LBB52_408
; %bb.407:
	s_delay_alu instid0(VALU_DEP_1) | instskip(SKIP_1) | instid1(VALU_DEP_2)
	v_div_scale_f32 v63, null, v60, v60, v61
	v_div_scale_f32 v71, vcc_lo, v61, v60, v61
	v_rcp_f32_e32 v69, v63
	v_nop
	s_delay_alu instid0(TRANS32_DEP_1) | instskip(NEXT) | instid1(VALU_DEP_1)
	v_fma_f32 v70, -v63, v69, 1.0
	v_fmac_f32_e32 v69, v70, v69
	s_delay_alu instid0(VALU_DEP_1) | instskip(NEXT) | instid1(VALU_DEP_1)
	v_mul_f32_e32 v70, v71, v69
	v_fma_f32 v72, -v63, v70, v71
	s_delay_alu instid0(VALU_DEP_1) | instskip(NEXT) | instid1(VALU_DEP_1)
	v_fmac_f32_e32 v70, v72, v69
	v_fma_f32 v63, -v63, v70, v71
	s_delay_alu instid0(VALU_DEP_1) | instskip(NEXT) | instid1(VALU_DEP_1)
	v_div_fmas_f32 v63, v63, v69, v70
	v_div_fixup_f32 v63, v63, v60, v61
	s_delay_alu instid0(VALU_DEP_1) | instskip(NEXT) | instid1(VALU_DEP_1)
	v_fmac_f32_e32 v60, v61, v63
	v_div_scale_f32 v61, null, v60, v60, 1.0
	s_delay_alu instid0(VALU_DEP_1) | instskip(SKIP_1) | instid1(TRANS32_DEP_1)
	v_rcp_f32_e32 v69, v61
	v_nop
	v_fma_f32 v70, -v61, v69, 1.0
	s_delay_alu instid0(VALU_DEP_1) | instskip(SKIP_1) | instid1(VALU_DEP_1)
	v_fmac_f32_e32 v69, v70, v69
	v_div_scale_f32 v70, vcc_lo, 1.0, v60, 1.0
	v_mul_f32_e32 v71, v70, v69
	s_delay_alu instid0(VALU_DEP_1) | instskip(NEXT) | instid1(VALU_DEP_1)
	v_fma_f32 v72, -v61, v71, v70
	v_fmac_f32_e32 v71, v72, v69
	s_delay_alu instid0(VALU_DEP_1) | instskip(NEXT) | instid1(VALU_DEP_1)
	v_fma_f32 v61, -v61, v71, v70
	v_div_fmas_f32 v61, v61, v69, v71
	s_delay_alu instid0(VALU_DEP_1) | instskip(NEXT) | instid1(VALU_DEP_1)
	v_div_fixup_f32 v60, v61, v60, 1.0
	v_mul_f32_e64 v61, v63, -v60
.LBB52_408:
	s_or_b32 exec_lo, exec_lo, s1
.LBB52_409:
	s_delay_alu instid0(SALU_CYCLE_1) | instskip(NEXT) | instid1(SALU_CYCLE_1)
	s_or_b32 exec_lo, exec_lo, s0
	s_mov_b32 s0, exec_lo
	v_cmpx_ne_u32_e64 v68, v62
	s_xor_b32 s0, exec_lo, s0
	s_cbranch_execz .LBB52_415
; %bb.410:
	s_mov_b32 s1, exec_lo
	v_cmpx_eq_u32_e32 19, v68
	s_cbranch_execz .LBB52_414
; %bb.411:
	v_cmp_ne_u32_e32 vcc_lo, 19, v62
	s_xor_b32 s15, s2, -1
	s_delay_alu instid0(SALU_CYCLE_1) | instskip(NEXT) | instid1(SALU_CYCLE_1)
	s_and_b32 s16, s15, vcc_lo
	s_and_saveexec_b32 s15, s16
	s_cbranch_execz .LBB52_413
; %bb.412:
	v_ashrrev_i32_e32 v63, 31, v62
	s_delay_alu instid0(VALU_DEP_1)
	v_lshl_add_u64 v[68:69], v[62:63], 2, v[4:5]
	s_clause 0x1
	global_load_b32 v63, v[68:69], off
	global_load_b32 v67, v[4:5], off offset:76
	s_wait_loadcnt 0x1
	global_store_b32 v[4:5], v63, off offset:76
	s_wait_loadcnt 0x0
	global_store_b32 v[68:69], v67, off
.LBB52_413:
	s_wait_xcnt 0x0
	s_or_b32 exec_lo, exec_lo, s15
	v_dual_mov_b32 v68, v62 :: v_dual_mov_b32 v67, v62
.LBB52_414:
	s_or_b32 exec_lo, exec_lo, s1
.LBB52_415:
	s_and_not1_saveexec_b32 s0, s0
	s_cbranch_execz .LBB52_417
; %bb.416:
	v_dual_mov_b32 v62, v44 :: v_dual_mov_b32 v63, v45
	v_dual_mov_b32 v70, v42 :: v_dual_mov_b32 v71, v43
	;; [unrolled: 1-line block ×6, first 2 shown]
	v_mov_b32_e32 v79, v35
	ds_store_2addr_b64 v64, v[62:63], v[70:71] offset0:20 offset1:21
	ds_store_2addr_b64 v64, v[72:73], v[74:75] offset0:22 offset1:23
	;; [unrolled: 1-line block ×3, first 2 shown]
	ds_store_b64 v64, v[58:59] offset:208
.LBB52_417:
	s_or_b32 exec_lo, exec_lo, s0
	s_delay_alu instid0(SALU_CYCLE_1)
	s_mov_b32 s0, exec_lo
	s_wait_storecnt_dscnt 0x0
	s_barrier_signal -1
	s_barrier_wait -1
	v_cmpx_lt_i32_e32 19, v68
	s_cbranch_execz .LBB52_419
; %bb.418:
	v_pk_mul_f32 v[62:63], v[60:61], v[22:23] op_sel:[1,1] op_sel_hi:[0,1]
	s_delay_alu instid0(VALU_DEP_1)
	v_pk_fma_f32 v[70:71], v[60:61], v[22:23], v[62:63] op_sel_hi:[1,0,1] neg_lo:[0,0,1] neg_hi:[0,0,1]
	v_pk_fma_f32 v[72:73], v[60:61], v[22:23], v[62:63] op_sel_hi:[1,0,1]
	ds_load_2addr_b64 v[60:63], v64 offset0:20 offset1:21
	v_dual_mov_b32 v22, v70 :: v_dual_mov_b32 v23, v73
	s_wait_dscnt 0x0
	v_pk_mul_f32 v[74:75], v[60:61], v[72:73] op_sel:[0,1]
	s_delay_alu instid0(VALU_DEP_1) | instskip(SKIP_1) | instid1(VALU_DEP_1)
	v_pk_fma_f32 v[76:77], v[60:61], v[70:71], v[74:75] op_sel:[0,0,1] op_sel_hi:[1,1,0] neg_lo:[0,0,1] neg_hi:[0,0,1]
	v_pk_fma_f32 v[60:61], v[60:61], v[70:71], v[74:75] op_sel:[0,0,1] op_sel_hi:[1,0,0]
	v_mov_b32_e32 v77, v61
	v_pk_mul_f32 v[60:61], v[62:63], v[72:73] op_sel:[0,1]
	s_delay_alu instid0(VALU_DEP_1) | instskip(SKIP_1) | instid1(VALU_DEP_1)
	v_pk_fma_f32 v[74:75], v[62:63], v[70:71], v[60:61] op_sel:[0,0,1] op_sel_hi:[1,1,0] neg_lo:[0,0,1] neg_hi:[0,0,1]
	v_pk_fma_f32 v[60:61], v[62:63], v[70:71], v[60:61] op_sel:[0,0,1] op_sel_hi:[1,0,0]
	v_mov_b32_e32 v75, v61
	ds_load_2addr_b64 v[60:63], v64 offset0:22 offset1:23
	v_pk_add_f32 v[44:45], v[44:45], v[76:77] neg_lo:[0,1] neg_hi:[0,1]
	v_pk_add_f32 v[42:43], v[42:43], v[74:75] neg_lo:[0,1] neg_hi:[0,1]
	s_wait_dscnt 0x0
	v_pk_mul_f32 v[74:75], v[60:61], v[72:73] op_sel:[0,1]
	s_delay_alu instid0(VALU_DEP_1) | instskip(SKIP_2) | instid1(VALU_DEP_2)
	v_pk_fma_f32 v[76:77], v[60:61], v[70:71], v[74:75] op_sel:[0,0,1] op_sel_hi:[1,1,0] neg_lo:[0,0,1] neg_hi:[0,0,1]
	v_pk_fma_f32 v[60:61], v[60:61], v[70:71], v[74:75] op_sel:[0,0,1] op_sel_hi:[1,0,0]
	v_dual_mul_f32 v74, v63, v73 :: v_dual_mov_b32 v60, v63
	v_dual_mov_b32 v77, v61 :: v_dual_mov_b32 v61, v62
	s_delay_alu instid0(VALU_DEP_2) | instskip(SKIP_1) | instid1(VALU_DEP_3)
	v_pk_fma_f32 v[74:75], v[62:63], v[22:23], v[74:75] op_sel_hi:[1,1,0] neg_lo:[0,0,1] neg_hi:[0,0,1]
	v_mul_f32_e32 v62, v63, v70
	v_pk_add_f32 v[32:33], v[32:33], v[76:77] neg_lo:[0,1] neg_hi:[0,1]
	s_delay_alu instid0(VALU_DEP_2) | instskip(NEXT) | instid1(VALU_DEP_1)
	v_pk_fma_f32 v[60:61], v[60:61], v[22:23], v[62:63] op_sel_hi:[1,1,0]
	v_mov_b32_e32 v75, v61
	ds_load_2addr_b64 v[60:63], v64 offset0:24 offset1:25
	v_pk_add_f32 v[30:31], v[30:31], v[74:75] neg_lo:[0,1] neg_hi:[0,1]
	s_wait_dscnt 0x0
	v_pk_mul_f32 v[74:75], v[60:61], v[72:73] op_sel:[0,1]
	s_delay_alu instid0(VALU_DEP_1) | instskip(SKIP_1) | instid1(VALU_DEP_1)
	v_pk_fma_f32 v[76:77], v[60:61], v[70:71], v[74:75] op_sel:[0,0,1] op_sel_hi:[1,1,0] neg_lo:[0,0,1] neg_hi:[0,0,1]
	v_pk_fma_f32 v[60:61], v[60:61], v[70:71], v[74:75] op_sel:[0,0,1] op_sel_hi:[1,0,0]
	v_mov_b32_e32 v77, v61
	v_pk_mul_f32 v[60:61], v[62:63], v[72:73] op_sel:[0,1]
	s_delay_alu instid0(VALU_DEP_1) | instskip(SKIP_1) | instid1(VALU_DEP_1)
	v_pk_fma_f32 v[74:75], v[62:63], v[70:71], v[60:61] op_sel:[0,0,1] op_sel_hi:[1,1,0] neg_lo:[0,0,1] neg_hi:[0,0,1]
	v_pk_fma_f32 v[60:61], v[62:63], v[70:71], v[60:61] op_sel:[0,0,1] op_sel_hi:[1,0,0]
	v_mov_b32_e32 v75, v61
	ds_load_b64 v[60:61], v64 offset:208
	v_pk_add_f32 v[36:37], v[36:37], v[76:77] neg_lo:[0,1] neg_hi:[0,1]
	v_pk_add_f32 v[34:35], v[34:35], v[74:75] neg_lo:[0,1] neg_hi:[0,1]
	s_wait_dscnt 0x0
	v_pk_mul_f32 v[62:63], v[60:61], v[72:73] op_sel:[0,1]
	s_delay_alu instid0(VALU_DEP_1) | instskip(SKIP_1) | instid1(VALU_DEP_1)
	v_pk_fma_f32 v[72:73], v[60:61], v[70:71], v[62:63] op_sel:[0,0,1] op_sel_hi:[1,1,0] neg_lo:[0,0,1] neg_hi:[0,0,1]
	v_pk_fma_f32 v[60:61], v[60:61], v[70:71], v[62:63] op_sel:[0,0,1] op_sel_hi:[1,0,0]
	v_mov_b32_e32 v73, v61
	s_delay_alu instid0(VALU_DEP_1)
	v_pk_add_f32 v[58:59], v[58:59], v[72:73] neg_lo:[0,1] neg_hi:[0,1]
.LBB52_419:
	s_or_b32 exec_lo, exec_lo, s0
	v_lshl_add_u32 v60, v68, 3, v64
	s_barrier_signal -1
	s_barrier_wait -1
	ds_store_b64 v60, v[44:45]
	s_wait_dscnt 0x0
	s_barrier_signal -1
	s_barrier_wait -1
	ds_load_b64 v[60:61], v64 offset:160
	v_mov_b32_e32 v62, 20
	s_cmp_lt_i32 s14, 22
	s_cbranch_scc1 .LBB52_422
; %bb.420:
	v_add3_u32 v63, v65, 0, 0xa8
	v_mov_b32_e32 v62, 20
	s_mov_b32 s0, 21
.LBB52_421:                             ; =>This Inner Loop Header: Depth=1
	ds_load_b64 v[70:71], v63
	s_wait_dscnt 0x1
	v_cmp_gt_f32_e32 vcc_lo, 0, v60
	v_cndmask_b32_e64 v72, v60, -v60, vcc_lo
	v_cmp_gt_f32_e32 vcc_lo, 0, v61
	v_cndmask_b32_e64 v74, v61, -v61, vcc_lo
	s_wait_dscnt 0x0
	v_cmp_gt_f32_e32 vcc_lo, 0, v70
	v_cndmask_b32_e64 v73, v70, -v70, vcc_lo
	v_cmp_gt_f32_e32 vcc_lo, 0, v71
	v_cndmask_b32_e64 v75, v71, -v71, vcc_lo
	s_delay_alu instid0(VALU_DEP_1) | instskip(NEXT) | instid1(VALU_DEP_1)
	v_pk_add_f32 v[72:73], v[72:73], v[74:75]
	v_cmp_lt_f32_e32 vcc_lo, v72, v73
	v_dual_cndmask_b32 v60, v60, v70 :: v_dual_add_nc_u32 v63, 8, v63
	v_cndmask_b32_e32 v61, v61, v71, vcc_lo
	v_cndmask_b32_e64 v62, v62, s0, vcc_lo
	s_add_co_i32 s0, s0, 1
	s_delay_alu instid0(SALU_CYCLE_1)
	s_cmp_lg_u32 s14, s0
	s_cbranch_scc1 .LBB52_421
.LBB52_422:
	s_wait_dscnt 0x0
	v_cmp_eq_f32_e32 vcc_lo, 0, v60
	v_cmp_eq_f32_e64 s0, 0, v61
	s_and_b32 s0, vcc_lo, s0
	s_delay_alu instid0(SALU_CYCLE_1) | instskip(NEXT) | instid1(SALU_CYCLE_1)
	s_and_saveexec_b32 s1, s0
	s_xor_b32 s0, exec_lo, s1
; %bb.423:
	v_cmp_ne_u32_e32 vcc_lo, 0, v66
	v_cndmask_b32_e32 v66, 21, v66, vcc_lo
; %bb.424:
	s_and_not1_saveexec_b32 s0, s0
	s_cbranch_execz .LBB52_430
; %bb.425:
	v_cmp_ngt_f32_e64 s1, |v60|, |v61|
	s_and_saveexec_b32 s15, s1
	s_delay_alu instid0(SALU_CYCLE_1)
	s_xor_b32 s1, exec_lo, s15
	s_cbranch_execz .LBB52_427
; %bb.426:
	v_div_scale_f32 v63, null, v61, v61, v60
	v_div_scale_f32 v71, vcc_lo, v60, v61, v60
	s_delay_alu instid0(VALU_DEP_2) | instskip(SKIP_1) | instid1(TRANS32_DEP_1)
	v_rcp_f32_e32 v69, v63
	v_nop
	v_fma_f32 v70, -v63, v69, 1.0
	s_delay_alu instid0(VALU_DEP_1) | instskip(NEXT) | instid1(VALU_DEP_1)
	v_fmac_f32_e32 v69, v70, v69
	v_mul_f32_e32 v70, v71, v69
	s_delay_alu instid0(VALU_DEP_1) | instskip(NEXT) | instid1(VALU_DEP_1)
	v_fma_f32 v72, -v63, v70, v71
	v_fmac_f32_e32 v70, v72, v69
	s_delay_alu instid0(VALU_DEP_1) | instskip(NEXT) | instid1(VALU_DEP_1)
	v_fma_f32 v63, -v63, v70, v71
	v_div_fmas_f32 v63, v63, v69, v70
	s_delay_alu instid0(VALU_DEP_1) | instskip(NEXT) | instid1(VALU_DEP_1)
	v_div_fixup_f32 v63, v63, v61, v60
	v_fmac_f32_e32 v61, v60, v63
	s_delay_alu instid0(VALU_DEP_1) | instskip(SKIP_1) | instid1(VALU_DEP_2)
	v_div_scale_f32 v60, null, v61, v61, 1.0
	v_div_scale_f32 v71, vcc_lo, 1.0, v61, 1.0
	v_rcp_f32_e32 v69, v60
	v_nop
	s_delay_alu instid0(TRANS32_DEP_1) | instskip(NEXT) | instid1(VALU_DEP_1)
	v_fma_f32 v70, -v60, v69, 1.0
	v_fmac_f32_e32 v69, v70, v69
	s_delay_alu instid0(VALU_DEP_1) | instskip(NEXT) | instid1(VALU_DEP_1)
	v_mul_f32_e32 v70, v71, v69
	v_fma_f32 v72, -v60, v70, v71
	s_delay_alu instid0(VALU_DEP_1) | instskip(NEXT) | instid1(VALU_DEP_1)
	v_fmac_f32_e32 v70, v72, v69
	v_fma_f32 v60, -v60, v70, v71
	s_delay_alu instid0(VALU_DEP_1) | instskip(NEXT) | instid1(VALU_DEP_1)
	v_div_fmas_f32 v60, v60, v69, v70
	v_div_fixup_f32 v61, v60, v61, 1.0
	s_delay_alu instid0(VALU_DEP_1)
	v_mul_f32_e32 v60, v63, v61
	v_xor_b32_e32 v61, 0x80000000, v61
.LBB52_427:
	s_and_not1_saveexec_b32 s1, s1
	s_cbranch_execz .LBB52_429
; %bb.428:
	s_delay_alu instid0(VALU_DEP_1) | instskip(SKIP_1) | instid1(VALU_DEP_2)
	v_div_scale_f32 v63, null, v60, v60, v61
	v_div_scale_f32 v71, vcc_lo, v61, v60, v61
	v_rcp_f32_e32 v69, v63
	v_nop
	s_delay_alu instid0(TRANS32_DEP_1) | instskip(NEXT) | instid1(VALU_DEP_1)
	v_fma_f32 v70, -v63, v69, 1.0
	v_fmac_f32_e32 v69, v70, v69
	s_delay_alu instid0(VALU_DEP_1) | instskip(NEXT) | instid1(VALU_DEP_1)
	v_mul_f32_e32 v70, v71, v69
	v_fma_f32 v72, -v63, v70, v71
	s_delay_alu instid0(VALU_DEP_1) | instskip(NEXT) | instid1(VALU_DEP_1)
	v_fmac_f32_e32 v70, v72, v69
	v_fma_f32 v63, -v63, v70, v71
	s_delay_alu instid0(VALU_DEP_1) | instskip(NEXT) | instid1(VALU_DEP_1)
	v_div_fmas_f32 v63, v63, v69, v70
	v_div_fixup_f32 v63, v63, v60, v61
	s_delay_alu instid0(VALU_DEP_1) | instskip(NEXT) | instid1(VALU_DEP_1)
	v_fmac_f32_e32 v60, v61, v63
	v_div_scale_f32 v61, null, v60, v60, 1.0
	s_delay_alu instid0(VALU_DEP_1) | instskip(SKIP_1) | instid1(TRANS32_DEP_1)
	v_rcp_f32_e32 v69, v61
	v_nop
	v_fma_f32 v70, -v61, v69, 1.0
	s_delay_alu instid0(VALU_DEP_1) | instskip(SKIP_1) | instid1(VALU_DEP_1)
	v_fmac_f32_e32 v69, v70, v69
	v_div_scale_f32 v70, vcc_lo, 1.0, v60, 1.0
	v_mul_f32_e32 v71, v70, v69
	s_delay_alu instid0(VALU_DEP_1) | instskip(NEXT) | instid1(VALU_DEP_1)
	v_fma_f32 v72, -v61, v71, v70
	v_fmac_f32_e32 v71, v72, v69
	s_delay_alu instid0(VALU_DEP_1) | instskip(NEXT) | instid1(VALU_DEP_1)
	v_fma_f32 v61, -v61, v71, v70
	v_div_fmas_f32 v61, v61, v69, v71
	s_delay_alu instid0(VALU_DEP_1) | instskip(NEXT) | instid1(VALU_DEP_1)
	v_div_fixup_f32 v60, v61, v60, 1.0
	v_mul_f32_e64 v61, v63, -v60
.LBB52_429:
	s_or_b32 exec_lo, exec_lo, s1
.LBB52_430:
	s_delay_alu instid0(SALU_CYCLE_1) | instskip(NEXT) | instid1(SALU_CYCLE_1)
	s_or_b32 exec_lo, exec_lo, s0
	s_mov_b32 s0, exec_lo
	v_cmpx_ne_u32_e64 v68, v62
	s_xor_b32 s0, exec_lo, s0
	s_cbranch_execz .LBB52_436
; %bb.431:
	s_mov_b32 s1, exec_lo
	v_cmpx_eq_u32_e32 20, v68
	s_cbranch_execz .LBB52_435
; %bb.432:
	v_cmp_ne_u32_e32 vcc_lo, 20, v62
	s_xor_b32 s15, s2, -1
	s_delay_alu instid0(SALU_CYCLE_1) | instskip(NEXT) | instid1(SALU_CYCLE_1)
	s_and_b32 s16, s15, vcc_lo
	s_and_saveexec_b32 s15, s16
	s_cbranch_execz .LBB52_434
; %bb.433:
	v_ashrrev_i32_e32 v63, 31, v62
	s_delay_alu instid0(VALU_DEP_1)
	v_lshl_add_u64 v[68:69], v[62:63], 2, v[4:5]
	s_clause 0x1
	global_load_b32 v63, v[68:69], off
	global_load_b32 v67, v[4:5], off offset:80
	s_wait_loadcnt 0x1
	global_store_b32 v[4:5], v63, off offset:80
	s_wait_loadcnt 0x0
	global_store_b32 v[68:69], v67, off
.LBB52_434:
	s_wait_xcnt 0x0
	s_or_b32 exec_lo, exec_lo, s15
	v_dual_mov_b32 v68, v62 :: v_dual_mov_b32 v67, v62
.LBB52_435:
	s_or_b32 exec_lo, exec_lo, s1
.LBB52_436:
	s_and_not1_saveexec_b32 s0, s0
	s_cbranch_execz .LBB52_438
; %bb.437:
	v_mov_b32_e32 v68, 20
	ds_store_2addr_b64 v64, v[42:43], v[32:33] offset0:21 offset1:22
	ds_store_2addr_b64 v64, v[30:31], v[36:37] offset0:23 offset1:24
	;; [unrolled: 1-line block ×3, first 2 shown]
.LBB52_438:
	s_or_b32 exec_lo, exec_lo, s0
	s_delay_alu instid0(SALU_CYCLE_1)
	s_mov_b32 s0, exec_lo
	s_wait_storecnt_dscnt 0x0
	s_barrier_signal -1
	s_barrier_wait -1
	v_cmpx_lt_i32_e32 20, v68
	s_cbranch_execz .LBB52_440
; %bb.439:
	v_pk_mul_f32 v[62:63], v[60:61], v[44:45] op_sel:[1,1] op_sel_hi:[0,1]
	s_delay_alu instid0(VALU_DEP_1)
	v_pk_fma_f32 v[70:71], v[60:61], v[44:45], v[62:63] op_sel_hi:[1,0,1] neg_lo:[0,0,1] neg_hi:[0,0,1]
	v_pk_fma_f32 v[72:73], v[60:61], v[44:45], v[62:63] op_sel_hi:[1,0,1]
	ds_load_2addr_b64 v[60:63], v64 offset0:21 offset1:22
	v_dual_mov_b32 v44, v70 :: v_dual_mov_b32 v45, v73
	s_wait_dscnt 0x0
	v_pk_mul_f32 v[74:75], v[60:61], v[72:73] op_sel:[0,1]
	s_delay_alu instid0(VALU_DEP_1) | instskip(SKIP_1) | instid1(VALU_DEP_1)
	v_pk_fma_f32 v[76:77], v[60:61], v[70:71], v[74:75] op_sel:[0,0,1] op_sel_hi:[1,1,0] neg_lo:[0,0,1] neg_hi:[0,0,1]
	v_pk_fma_f32 v[60:61], v[60:61], v[70:71], v[74:75] op_sel:[0,0,1] op_sel_hi:[1,0,0]
	v_mov_b32_e32 v77, v61
	v_pk_mul_f32 v[60:61], v[62:63], v[72:73] op_sel:[0,1]
	s_delay_alu instid0(VALU_DEP_1) | instskip(SKIP_1) | instid1(VALU_DEP_1)
	v_pk_fma_f32 v[74:75], v[62:63], v[70:71], v[60:61] op_sel:[0,0,1] op_sel_hi:[1,1,0] neg_lo:[0,0,1] neg_hi:[0,0,1]
	v_pk_fma_f32 v[60:61], v[62:63], v[70:71], v[60:61] op_sel:[0,0,1] op_sel_hi:[1,0,0]
	v_mov_b32_e32 v75, v61
	ds_load_2addr_b64 v[60:63], v64 offset0:23 offset1:24
	v_pk_add_f32 v[42:43], v[42:43], v[76:77] neg_lo:[0,1] neg_hi:[0,1]
	v_pk_add_f32 v[32:33], v[32:33], v[74:75] neg_lo:[0,1] neg_hi:[0,1]
	s_wait_dscnt 0x0
	v_pk_mul_f32 v[74:75], v[60:61], v[72:73] op_sel:[0,1]
	s_delay_alu instid0(VALU_DEP_1) | instskip(SKIP_2) | instid1(VALU_DEP_2)
	v_pk_fma_f32 v[76:77], v[60:61], v[70:71], v[74:75] op_sel:[0,0,1] op_sel_hi:[1,1,0] neg_lo:[0,0,1] neg_hi:[0,0,1]
	v_pk_fma_f32 v[60:61], v[60:61], v[70:71], v[74:75] op_sel:[0,0,1] op_sel_hi:[1,0,0]
	v_dual_mul_f32 v74, v63, v73 :: v_dual_mov_b32 v60, v63
	v_dual_mov_b32 v77, v61 :: v_dual_mov_b32 v61, v62
	s_delay_alu instid0(VALU_DEP_2) | instskip(SKIP_1) | instid1(VALU_DEP_3)
	v_pk_fma_f32 v[74:75], v[62:63], v[44:45], v[74:75] op_sel_hi:[1,1,0] neg_lo:[0,0,1] neg_hi:[0,0,1]
	v_mul_f32_e32 v62, v63, v70
	v_pk_add_f32 v[30:31], v[30:31], v[76:77] neg_lo:[0,1] neg_hi:[0,1]
	s_delay_alu instid0(VALU_DEP_2) | instskip(NEXT) | instid1(VALU_DEP_1)
	v_pk_fma_f32 v[60:61], v[60:61], v[44:45], v[62:63] op_sel_hi:[1,1,0]
	v_mov_b32_e32 v75, v61
	ds_load_2addr_b64 v[60:63], v64 offset0:25 offset1:26
	v_pk_add_f32 v[36:37], v[36:37], v[74:75] neg_lo:[0,1] neg_hi:[0,1]
	s_wait_dscnt 0x0
	v_pk_mul_f32 v[74:75], v[60:61], v[72:73] op_sel:[0,1]
	v_mul_f32_e32 v72, v63, v73
	s_delay_alu instid0(VALU_DEP_2) | instskip(SKIP_2) | instid1(VALU_DEP_4)
	v_pk_fma_f32 v[76:77], v[60:61], v[70:71], v[74:75] op_sel:[0,0,1] op_sel_hi:[1,1,0] neg_lo:[0,0,1] neg_hi:[0,0,1]
	v_pk_fma_f32 v[60:61], v[60:61], v[70:71], v[74:75] op_sel:[0,0,1] op_sel_hi:[1,0,0]
	v_mov_b32_e32 v60, v63
	v_pk_fma_f32 v[72:73], v[62:63], v[44:45], v[72:73] op_sel_hi:[1,1,0] neg_lo:[0,0,1] neg_hi:[0,0,1]
	s_delay_alu instid0(VALU_DEP_3) | instskip(SKIP_1) | instid1(VALU_DEP_2)
	v_dual_mov_b32 v77, v61 :: v_dual_mov_b32 v61, v62
	v_mul_f32_e32 v62, v63, v70
	v_pk_add_f32 v[34:35], v[34:35], v[76:77] neg_lo:[0,1] neg_hi:[0,1]
	s_delay_alu instid0(VALU_DEP_2) | instskip(NEXT) | instid1(VALU_DEP_1)
	v_pk_fma_f32 v[60:61], v[60:61], v[44:45], v[62:63] op_sel_hi:[1,1,0]
	v_mov_b32_e32 v73, v61
	s_delay_alu instid0(VALU_DEP_1)
	v_pk_add_f32 v[58:59], v[58:59], v[72:73] neg_lo:[0,1] neg_hi:[0,1]
.LBB52_440:
	s_or_b32 exec_lo, exec_lo, s0
	v_lshl_add_u32 v60, v68, 3, v64
	s_barrier_signal -1
	s_barrier_wait -1
	ds_store_b64 v60, v[42:43]
	s_wait_dscnt 0x0
	s_barrier_signal -1
	s_barrier_wait -1
	ds_load_b64 v[60:61], v64 offset:168
	v_mov_b32_e32 v62, 21
	s_cmp_lt_i32 s14, 23
	s_cbranch_scc1 .LBB52_443
; %bb.441:
	v_add3_u32 v63, v65, 0, 0xb0
	v_mov_b32_e32 v62, 21
	s_mov_b32 s0, 22
.LBB52_442:                             ; =>This Inner Loop Header: Depth=1
	ds_load_b64 v[70:71], v63
	s_wait_dscnt 0x1
	v_cmp_gt_f32_e32 vcc_lo, 0, v60
	v_cndmask_b32_e64 v72, v60, -v60, vcc_lo
	v_cmp_gt_f32_e32 vcc_lo, 0, v61
	v_cndmask_b32_e64 v74, v61, -v61, vcc_lo
	s_wait_dscnt 0x0
	v_cmp_gt_f32_e32 vcc_lo, 0, v70
	v_cndmask_b32_e64 v73, v70, -v70, vcc_lo
	v_cmp_gt_f32_e32 vcc_lo, 0, v71
	v_cndmask_b32_e64 v75, v71, -v71, vcc_lo
	s_delay_alu instid0(VALU_DEP_1) | instskip(NEXT) | instid1(VALU_DEP_1)
	v_pk_add_f32 v[72:73], v[72:73], v[74:75]
	v_cmp_lt_f32_e32 vcc_lo, v72, v73
	v_dual_cndmask_b32 v60, v60, v70 :: v_dual_add_nc_u32 v63, 8, v63
	v_cndmask_b32_e32 v61, v61, v71, vcc_lo
	v_cndmask_b32_e64 v62, v62, s0, vcc_lo
	s_add_co_i32 s0, s0, 1
	s_delay_alu instid0(SALU_CYCLE_1)
	s_cmp_lg_u32 s14, s0
	s_cbranch_scc1 .LBB52_442
.LBB52_443:
	s_wait_dscnt 0x0
	v_cmp_eq_f32_e32 vcc_lo, 0, v60
	v_cmp_eq_f32_e64 s0, 0, v61
	s_and_b32 s0, vcc_lo, s0
	s_delay_alu instid0(SALU_CYCLE_1) | instskip(NEXT) | instid1(SALU_CYCLE_1)
	s_and_saveexec_b32 s1, s0
	s_xor_b32 s0, exec_lo, s1
; %bb.444:
	v_cmp_ne_u32_e32 vcc_lo, 0, v66
	v_cndmask_b32_e32 v66, 22, v66, vcc_lo
; %bb.445:
	s_and_not1_saveexec_b32 s0, s0
	s_cbranch_execz .LBB52_451
; %bb.446:
	v_cmp_ngt_f32_e64 s1, |v60|, |v61|
	s_and_saveexec_b32 s15, s1
	s_delay_alu instid0(SALU_CYCLE_1)
	s_xor_b32 s1, exec_lo, s15
	s_cbranch_execz .LBB52_448
; %bb.447:
	v_div_scale_f32 v63, null, v61, v61, v60
	v_div_scale_f32 v71, vcc_lo, v60, v61, v60
	s_delay_alu instid0(VALU_DEP_2) | instskip(SKIP_1) | instid1(TRANS32_DEP_1)
	v_rcp_f32_e32 v69, v63
	v_nop
	v_fma_f32 v70, -v63, v69, 1.0
	s_delay_alu instid0(VALU_DEP_1) | instskip(NEXT) | instid1(VALU_DEP_1)
	v_fmac_f32_e32 v69, v70, v69
	v_mul_f32_e32 v70, v71, v69
	s_delay_alu instid0(VALU_DEP_1) | instskip(NEXT) | instid1(VALU_DEP_1)
	v_fma_f32 v72, -v63, v70, v71
	v_fmac_f32_e32 v70, v72, v69
	s_delay_alu instid0(VALU_DEP_1) | instskip(NEXT) | instid1(VALU_DEP_1)
	v_fma_f32 v63, -v63, v70, v71
	v_div_fmas_f32 v63, v63, v69, v70
	s_delay_alu instid0(VALU_DEP_1) | instskip(NEXT) | instid1(VALU_DEP_1)
	v_div_fixup_f32 v63, v63, v61, v60
	v_fmac_f32_e32 v61, v60, v63
	s_delay_alu instid0(VALU_DEP_1) | instskip(SKIP_1) | instid1(VALU_DEP_2)
	v_div_scale_f32 v60, null, v61, v61, 1.0
	v_div_scale_f32 v71, vcc_lo, 1.0, v61, 1.0
	v_rcp_f32_e32 v69, v60
	v_nop
	s_delay_alu instid0(TRANS32_DEP_1) | instskip(NEXT) | instid1(VALU_DEP_1)
	v_fma_f32 v70, -v60, v69, 1.0
	v_fmac_f32_e32 v69, v70, v69
	s_delay_alu instid0(VALU_DEP_1) | instskip(NEXT) | instid1(VALU_DEP_1)
	v_mul_f32_e32 v70, v71, v69
	v_fma_f32 v72, -v60, v70, v71
	s_delay_alu instid0(VALU_DEP_1) | instskip(NEXT) | instid1(VALU_DEP_1)
	v_fmac_f32_e32 v70, v72, v69
	v_fma_f32 v60, -v60, v70, v71
	s_delay_alu instid0(VALU_DEP_1) | instskip(NEXT) | instid1(VALU_DEP_1)
	v_div_fmas_f32 v60, v60, v69, v70
	v_div_fixup_f32 v61, v60, v61, 1.0
	s_delay_alu instid0(VALU_DEP_1)
	v_mul_f32_e32 v60, v63, v61
	v_xor_b32_e32 v61, 0x80000000, v61
.LBB52_448:
	s_and_not1_saveexec_b32 s1, s1
	s_cbranch_execz .LBB52_450
; %bb.449:
	s_delay_alu instid0(VALU_DEP_1) | instskip(SKIP_1) | instid1(VALU_DEP_2)
	v_div_scale_f32 v63, null, v60, v60, v61
	v_div_scale_f32 v71, vcc_lo, v61, v60, v61
	v_rcp_f32_e32 v69, v63
	v_nop
	s_delay_alu instid0(TRANS32_DEP_1) | instskip(NEXT) | instid1(VALU_DEP_1)
	v_fma_f32 v70, -v63, v69, 1.0
	v_fmac_f32_e32 v69, v70, v69
	s_delay_alu instid0(VALU_DEP_1) | instskip(NEXT) | instid1(VALU_DEP_1)
	v_mul_f32_e32 v70, v71, v69
	v_fma_f32 v72, -v63, v70, v71
	s_delay_alu instid0(VALU_DEP_1) | instskip(NEXT) | instid1(VALU_DEP_1)
	v_fmac_f32_e32 v70, v72, v69
	v_fma_f32 v63, -v63, v70, v71
	s_delay_alu instid0(VALU_DEP_1) | instskip(NEXT) | instid1(VALU_DEP_1)
	v_div_fmas_f32 v63, v63, v69, v70
	v_div_fixup_f32 v63, v63, v60, v61
	s_delay_alu instid0(VALU_DEP_1) | instskip(NEXT) | instid1(VALU_DEP_1)
	v_fmac_f32_e32 v60, v61, v63
	v_div_scale_f32 v61, null, v60, v60, 1.0
	s_delay_alu instid0(VALU_DEP_1) | instskip(SKIP_1) | instid1(TRANS32_DEP_1)
	v_rcp_f32_e32 v69, v61
	v_nop
	v_fma_f32 v70, -v61, v69, 1.0
	s_delay_alu instid0(VALU_DEP_1) | instskip(SKIP_1) | instid1(VALU_DEP_1)
	v_fmac_f32_e32 v69, v70, v69
	v_div_scale_f32 v70, vcc_lo, 1.0, v60, 1.0
	v_mul_f32_e32 v71, v70, v69
	s_delay_alu instid0(VALU_DEP_1) | instskip(NEXT) | instid1(VALU_DEP_1)
	v_fma_f32 v72, -v61, v71, v70
	v_fmac_f32_e32 v71, v72, v69
	s_delay_alu instid0(VALU_DEP_1) | instskip(NEXT) | instid1(VALU_DEP_1)
	v_fma_f32 v61, -v61, v71, v70
	v_div_fmas_f32 v61, v61, v69, v71
	s_delay_alu instid0(VALU_DEP_1) | instskip(NEXT) | instid1(VALU_DEP_1)
	v_div_fixup_f32 v60, v61, v60, 1.0
	v_mul_f32_e64 v61, v63, -v60
.LBB52_450:
	s_or_b32 exec_lo, exec_lo, s1
.LBB52_451:
	s_delay_alu instid0(SALU_CYCLE_1) | instskip(NEXT) | instid1(SALU_CYCLE_1)
	s_or_b32 exec_lo, exec_lo, s0
	s_mov_b32 s0, exec_lo
	v_cmpx_ne_u32_e64 v68, v62
	s_xor_b32 s0, exec_lo, s0
	s_cbranch_execz .LBB52_457
; %bb.452:
	s_mov_b32 s1, exec_lo
	v_cmpx_eq_u32_e32 21, v68
	s_cbranch_execz .LBB52_456
; %bb.453:
	v_cmp_ne_u32_e32 vcc_lo, 21, v62
	s_xor_b32 s15, s2, -1
	s_delay_alu instid0(SALU_CYCLE_1) | instskip(NEXT) | instid1(SALU_CYCLE_1)
	s_and_b32 s16, s15, vcc_lo
	s_and_saveexec_b32 s15, s16
	s_cbranch_execz .LBB52_455
; %bb.454:
	v_ashrrev_i32_e32 v63, 31, v62
	s_delay_alu instid0(VALU_DEP_1)
	v_lshl_add_u64 v[68:69], v[62:63], 2, v[4:5]
	s_clause 0x1
	global_load_b32 v63, v[68:69], off
	global_load_b32 v67, v[4:5], off offset:84
	s_wait_loadcnt 0x1
	global_store_b32 v[4:5], v63, off offset:84
	s_wait_loadcnt 0x0
	global_store_b32 v[68:69], v67, off
.LBB52_455:
	s_wait_xcnt 0x0
	s_or_b32 exec_lo, exec_lo, s15
	v_dual_mov_b32 v68, v62 :: v_dual_mov_b32 v67, v62
.LBB52_456:
	s_or_b32 exec_lo, exec_lo, s1
.LBB52_457:
	s_and_not1_saveexec_b32 s0, s0
	s_cbranch_execz .LBB52_459
; %bb.458:
	v_dual_mov_b32 v62, v32 :: v_dual_mov_b32 v63, v33
	v_dual_mov_b32 v70, v30 :: v_dual_mov_b32 v71, v31
	;; [unrolled: 1-line block ×4, first 2 shown]
	v_mov_b32_e32 v75, v35
	ds_store_2addr_b64 v64, v[62:63], v[70:71] offset0:22 offset1:23
	ds_store_2addr_b64 v64, v[72:73], v[74:75] offset0:24 offset1:25
	ds_store_b64 v64, v[58:59] offset:208
.LBB52_459:
	s_or_b32 exec_lo, exec_lo, s0
	s_delay_alu instid0(SALU_CYCLE_1)
	s_mov_b32 s0, exec_lo
	s_wait_storecnt_dscnt 0x0
	s_barrier_signal -1
	s_barrier_wait -1
	v_cmpx_lt_i32_e32 21, v68
	s_cbranch_execz .LBB52_461
; %bb.460:
	v_pk_mul_f32 v[62:63], v[60:61], v[42:43] op_sel:[1,1] op_sel_hi:[0,1]
	s_delay_alu instid0(VALU_DEP_1)
	v_pk_fma_f32 v[70:71], v[60:61], v[42:43], v[62:63] op_sel_hi:[1,0,1] neg_lo:[0,0,1] neg_hi:[0,0,1]
	v_pk_fma_f32 v[72:73], v[60:61], v[42:43], v[62:63] op_sel_hi:[1,0,1]
	ds_load_2addr_b64 v[60:63], v64 offset0:22 offset1:23
	v_dual_mov_b32 v42, v70 :: v_dual_mov_b32 v43, v73
	s_wait_dscnt 0x0
	v_pk_mul_f32 v[74:75], v[60:61], v[72:73] op_sel:[0,1]
	s_delay_alu instid0(VALU_DEP_1) | instskip(SKIP_1) | instid1(VALU_DEP_1)
	v_pk_fma_f32 v[76:77], v[60:61], v[70:71], v[74:75] op_sel:[0,0,1] op_sel_hi:[1,1,0] neg_lo:[0,0,1] neg_hi:[0,0,1]
	v_pk_fma_f32 v[60:61], v[60:61], v[70:71], v[74:75] op_sel:[0,0,1] op_sel_hi:[1,0,0]
	v_mov_b32_e32 v77, v61
	v_pk_mul_f32 v[60:61], v[62:63], v[72:73] op_sel:[0,1]
	s_delay_alu instid0(VALU_DEP_1) | instskip(SKIP_1) | instid1(VALU_DEP_1)
	v_pk_fma_f32 v[74:75], v[62:63], v[70:71], v[60:61] op_sel:[0,0,1] op_sel_hi:[1,1,0] neg_lo:[0,0,1] neg_hi:[0,0,1]
	v_pk_fma_f32 v[60:61], v[62:63], v[70:71], v[60:61] op_sel:[0,0,1] op_sel_hi:[1,0,0]
	v_mov_b32_e32 v75, v61
	ds_load_2addr_b64 v[60:63], v64 offset0:24 offset1:25
	v_pk_add_f32 v[32:33], v[32:33], v[76:77] neg_lo:[0,1] neg_hi:[0,1]
	v_pk_add_f32 v[30:31], v[30:31], v[74:75] neg_lo:[0,1] neg_hi:[0,1]
	s_wait_dscnt 0x0
	v_pk_mul_f32 v[74:75], v[60:61], v[72:73] op_sel:[0,1]
	s_delay_alu instid0(VALU_DEP_1) | instskip(SKIP_2) | instid1(VALU_DEP_2)
	v_pk_fma_f32 v[76:77], v[60:61], v[70:71], v[74:75] op_sel:[0,0,1] op_sel_hi:[1,1,0] neg_lo:[0,0,1] neg_hi:[0,0,1]
	v_pk_fma_f32 v[60:61], v[60:61], v[70:71], v[74:75] op_sel:[0,0,1] op_sel_hi:[1,0,0]
	v_dual_mul_f32 v74, v63, v73 :: v_dual_mov_b32 v60, v63
	v_dual_mov_b32 v77, v61 :: v_dual_mov_b32 v61, v62
	s_delay_alu instid0(VALU_DEP_2) | instskip(SKIP_1) | instid1(VALU_DEP_3)
	v_pk_fma_f32 v[74:75], v[62:63], v[42:43], v[74:75] op_sel_hi:[1,1,0] neg_lo:[0,0,1] neg_hi:[0,0,1]
	v_mul_f32_e32 v62, v63, v70
	v_pk_add_f32 v[36:37], v[36:37], v[76:77] neg_lo:[0,1] neg_hi:[0,1]
	s_delay_alu instid0(VALU_DEP_2) | instskip(NEXT) | instid1(VALU_DEP_1)
	v_pk_fma_f32 v[60:61], v[60:61], v[42:43], v[62:63] op_sel_hi:[1,1,0]
	v_mov_b32_e32 v75, v61
	ds_load_b64 v[60:61], v64 offset:208
	v_pk_add_f32 v[34:35], v[34:35], v[74:75] neg_lo:[0,1] neg_hi:[0,1]
	s_wait_dscnt 0x0
	v_pk_mul_f32 v[62:63], v[60:61], v[72:73] op_sel:[0,1]
	s_delay_alu instid0(VALU_DEP_1) | instskip(SKIP_1) | instid1(VALU_DEP_1)
	v_pk_fma_f32 v[72:73], v[60:61], v[70:71], v[62:63] op_sel:[0,0,1] op_sel_hi:[1,1,0] neg_lo:[0,0,1] neg_hi:[0,0,1]
	v_pk_fma_f32 v[60:61], v[60:61], v[70:71], v[62:63] op_sel:[0,0,1] op_sel_hi:[1,0,0]
	v_mov_b32_e32 v73, v61
	s_delay_alu instid0(VALU_DEP_1)
	v_pk_add_f32 v[58:59], v[58:59], v[72:73] neg_lo:[0,1] neg_hi:[0,1]
.LBB52_461:
	s_or_b32 exec_lo, exec_lo, s0
	v_lshl_add_u32 v60, v68, 3, v64
	s_barrier_signal -1
	s_barrier_wait -1
	ds_store_b64 v60, v[32:33]
	s_wait_dscnt 0x0
	s_barrier_signal -1
	s_barrier_wait -1
	ds_load_b64 v[60:61], v64 offset:176
	v_mov_b32_e32 v62, 22
	s_cmp_lt_i32 s14, 24
	s_cbranch_scc1 .LBB52_464
; %bb.462:
	v_add3_u32 v63, v65, 0, 0xb8
	v_mov_b32_e32 v62, 22
	s_mov_b32 s0, 23
.LBB52_463:                             ; =>This Inner Loop Header: Depth=1
	ds_load_b64 v[70:71], v63
	s_wait_dscnt 0x1
	v_cmp_gt_f32_e32 vcc_lo, 0, v60
	v_cndmask_b32_e64 v72, v60, -v60, vcc_lo
	v_cmp_gt_f32_e32 vcc_lo, 0, v61
	v_cndmask_b32_e64 v74, v61, -v61, vcc_lo
	s_wait_dscnt 0x0
	v_cmp_gt_f32_e32 vcc_lo, 0, v70
	v_cndmask_b32_e64 v73, v70, -v70, vcc_lo
	v_cmp_gt_f32_e32 vcc_lo, 0, v71
	v_cndmask_b32_e64 v75, v71, -v71, vcc_lo
	s_delay_alu instid0(VALU_DEP_1) | instskip(NEXT) | instid1(VALU_DEP_1)
	v_pk_add_f32 v[72:73], v[72:73], v[74:75]
	v_cmp_lt_f32_e32 vcc_lo, v72, v73
	v_dual_cndmask_b32 v60, v60, v70 :: v_dual_add_nc_u32 v63, 8, v63
	v_cndmask_b32_e32 v61, v61, v71, vcc_lo
	v_cndmask_b32_e64 v62, v62, s0, vcc_lo
	s_add_co_i32 s0, s0, 1
	s_delay_alu instid0(SALU_CYCLE_1)
	s_cmp_lg_u32 s14, s0
	s_cbranch_scc1 .LBB52_463
.LBB52_464:
	s_wait_dscnt 0x0
	v_cmp_eq_f32_e32 vcc_lo, 0, v60
	v_cmp_eq_f32_e64 s0, 0, v61
	s_and_b32 s0, vcc_lo, s0
	s_delay_alu instid0(SALU_CYCLE_1) | instskip(NEXT) | instid1(SALU_CYCLE_1)
	s_and_saveexec_b32 s1, s0
	s_xor_b32 s0, exec_lo, s1
; %bb.465:
	v_cmp_ne_u32_e32 vcc_lo, 0, v66
	v_cndmask_b32_e32 v66, 23, v66, vcc_lo
; %bb.466:
	s_and_not1_saveexec_b32 s0, s0
	s_cbranch_execz .LBB52_472
; %bb.467:
	v_cmp_ngt_f32_e64 s1, |v60|, |v61|
	s_and_saveexec_b32 s15, s1
	s_delay_alu instid0(SALU_CYCLE_1)
	s_xor_b32 s1, exec_lo, s15
	s_cbranch_execz .LBB52_469
; %bb.468:
	v_div_scale_f32 v63, null, v61, v61, v60
	v_div_scale_f32 v71, vcc_lo, v60, v61, v60
	s_delay_alu instid0(VALU_DEP_2) | instskip(SKIP_1) | instid1(TRANS32_DEP_1)
	v_rcp_f32_e32 v69, v63
	v_nop
	v_fma_f32 v70, -v63, v69, 1.0
	s_delay_alu instid0(VALU_DEP_1) | instskip(NEXT) | instid1(VALU_DEP_1)
	v_fmac_f32_e32 v69, v70, v69
	v_mul_f32_e32 v70, v71, v69
	s_delay_alu instid0(VALU_DEP_1) | instskip(NEXT) | instid1(VALU_DEP_1)
	v_fma_f32 v72, -v63, v70, v71
	v_fmac_f32_e32 v70, v72, v69
	s_delay_alu instid0(VALU_DEP_1) | instskip(NEXT) | instid1(VALU_DEP_1)
	v_fma_f32 v63, -v63, v70, v71
	v_div_fmas_f32 v63, v63, v69, v70
	s_delay_alu instid0(VALU_DEP_1) | instskip(NEXT) | instid1(VALU_DEP_1)
	v_div_fixup_f32 v63, v63, v61, v60
	v_fmac_f32_e32 v61, v60, v63
	s_delay_alu instid0(VALU_DEP_1) | instskip(SKIP_1) | instid1(VALU_DEP_2)
	v_div_scale_f32 v60, null, v61, v61, 1.0
	v_div_scale_f32 v71, vcc_lo, 1.0, v61, 1.0
	v_rcp_f32_e32 v69, v60
	v_nop
	s_delay_alu instid0(TRANS32_DEP_1) | instskip(NEXT) | instid1(VALU_DEP_1)
	v_fma_f32 v70, -v60, v69, 1.0
	v_fmac_f32_e32 v69, v70, v69
	s_delay_alu instid0(VALU_DEP_1) | instskip(NEXT) | instid1(VALU_DEP_1)
	v_mul_f32_e32 v70, v71, v69
	v_fma_f32 v72, -v60, v70, v71
	s_delay_alu instid0(VALU_DEP_1) | instskip(NEXT) | instid1(VALU_DEP_1)
	v_fmac_f32_e32 v70, v72, v69
	v_fma_f32 v60, -v60, v70, v71
	s_delay_alu instid0(VALU_DEP_1) | instskip(NEXT) | instid1(VALU_DEP_1)
	v_div_fmas_f32 v60, v60, v69, v70
	v_div_fixup_f32 v61, v60, v61, 1.0
	s_delay_alu instid0(VALU_DEP_1)
	v_mul_f32_e32 v60, v63, v61
	v_xor_b32_e32 v61, 0x80000000, v61
.LBB52_469:
	s_and_not1_saveexec_b32 s1, s1
	s_cbranch_execz .LBB52_471
; %bb.470:
	s_delay_alu instid0(VALU_DEP_1) | instskip(SKIP_1) | instid1(VALU_DEP_2)
	v_div_scale_f32 v63, null, v60, v60, v61
	v_div_scale_f32 v71, vcc_lo, v61, v60, v61
	v_rcp_f32_e32 v69, v63
	v_nop
	s_delay_alu instid0(TRANS32_DEP_1) | instskip(NEXT) | instid1(VALU_DEP_1)
	v_fma_f32 v70, -v63, v69, 1.0
	v_fmac_f32_e32 v69, v70, v69
	s_delay_alu instid0(VALU_DEP_1) | instskip(NEXT) | instid1(VALU_DEP_1)
	v_mul_f32_e32 v70, v71, v69
	v_fma_f32 v72, -v63, v70, v71
	s_delay_alu instid0(VALU_DEP_1) | instskip(NEXT) | instid1(VALU_DEP_1)
	v_fmac_f32_e32 v70, v72, v69
	v_fma_f32 v63, -v63, v70, v71
	s_delay_alu instid0(VALU_DEP_1) | instskip(NEXT) | instid1(VALU_DEP_1)
	v_div_fmas_f32 v63, v63, v69, v70
	v_div_fixup_f32 v63, v63, v60, v61
	s_delay_alu instid0(VALU_DEP_1) | instskip(NEXT) | instid1(VALU_DEP_1)
	v_fmac_f32_e32 v60, v61, v63
	v_div_scale_f32 v61, null, v60, v60, 1.0
	s_delay_alu instid0(VALU_DEP_1) | instskip(SKIP_1) | instid1(TRANS32_DEP_1)
	v_rcp_f32_e32 v69, v61
	v_nop
	v_fma_f32 v70, -v61, v69, 1.0
	s_delay_alu instid0(VALU_DEP_1) | instskip(SKIP_1) | instid1(VALU_DEP_1)
	v_fmac_f32_e32 v69, v70, v69
	v_div_scale_f32 v70, vcc_lo, 1.0, v60, 1.0
	v_mul_f32_e32 v71, v70, v69
	s_delay_alu instid0(VALU_DEP_1) | instskip(NEXT) | instid1(VALU_DEP_1)
	v_fma_f32 v72, -v61, v71, v70
	v_fmac_f32_e32 v71, v72, v69
	s_delay_alu instid0(VALU_DEP_1) | instskip(NEXT) | instid1(VALU_DEP_1)
	v_fma_f32 v61, -v61, v71, v70
	v_div_fmas_f32 v61, v61, v69, v71
	s_delay_alu instid0(VALU_DEP_1) | instskip(NEXT) | instid1(VALU_DEP_1)
	v_div_fixup_f32 v60, v61, v60, 1.0
	v_mul_f32_e64 v61, v63, -v60
.LBB52_471:
	s_or_b32 exec_lo, exec_lo, s1
.LBB52_472:
	s_delay_alu instid0(SALU_CYCLE_1) | instskip(NEXT) | instid1(SALU_CYCLE_1)
	s_or_b32 exec_lo, exec_lo, s0
	s_mov_b32 s0, exec_lo
	v_cmpx_ne_u32_e64 v68, v62
	s_xor_b32 s0, exec_lo, s0
	s_cbranch_execz .LBB52_478
; %bb.473:
	s_mov_b32 s1, exec_lo
	v_cmpx_eq_u32_e32 22, v68
	s_cbranch_execz .LBB52_477
; %bb.474:
	v_cmp_ne_u32_e32 vcc_lo, 22, v62
	s_xor_b32 s15, s2, -1
	s_delay_alu instid0(SALU_CYCLE_1) | instskip(NEXT) | instid1(SALU_CYCLE_1)
	s_and_b32 s16, s15, vcc_lo
	s_and_saveexec_b32 s15, s16
	s_cbranch_execz .LBB52_476
; %bb.475:
	v_ashrrev_i32_e32 v63, 31, v62
	s_delay_alu instid0(VALU_DEP_1)
	v_lshl_add_u64 v[68:69], v[62:63], 2, v[4:5]
	s_clause 0x1
	global_load_b32 v63, v[68:69], off
	global_load_b32 v67, v[4:5], off offset:88
	s_wait_loadcnt 0x1
	global_store_b32 v[4:5], v63, off offset:88
	s_wait_loadcnt 0x0
	global_store_b32 v[68:69], v67, off
.LBB52_476:
	s_wait_xcnt 0x0
	s_or_b32 exec_lo, exec_lo, s15
	v_dual_mov_b32 v68, v62 :: v_dual_mov_b32 v67, v62
.LBB52_477:
	s_or_b32 exec_lo, exec_lo, s1
.LBB52_478:
	s_and_not1_saveexec_b32 s0, s0
	s_cbranch_execz .LBB52_480
; %bb.479:
	v_mov_b32_e32 v68, 22
	ds_store_2addr_b64 v64, v[30:31], v[36:37] offset0:23 offset1:24
	ds_store_2addr_b64 v64, v[34:35], v[58:59] offset0:25 offset1:26
.LBB52_480:
	s_or_b32 exec_lo, exec_lo, s0
	s_delay_alu instid0(SALU_CYCLE_1)
	s_mov_b32 s0, exec_lo
	s_wait_storecnt_dscnt 0x0
	s_barrier_signal -1
	s_barrier_wait -1
	v_cmpx_lt_i32_e32 22, v68
	s_cbranch_execz .LBB52_482
; %bb.481:
	v_pk_mul_f32 v[62:63], v[60:61], v[32:33] op_sel:[1,1] op_sel_hi:[0,1]
	s_delay_alu instid0(VALU_DEP_1)
	v_pk_fma_f32 v[70:71], v[60:61], v[32:33], v[62:63] op_sel_hi:[1,0,1] neg_lo:[0,0,1] neg_hi:[0,0,1]
	v_pk_fma_f32 v[72:73], v[60:61], v[32:33], v[62:63] op_sel_hi:[1,0,1]
	ds_load_2addr_b64 v[60:63], v64 offset0:23 offset1:24
	v_dual_mov_b32 v32, v70 :: v_dual_mov_b32 v33, v73
	s_wait_dscnt 0x0
	v_pk_mul_f32 v[74:75], v[60:61], v[72:73] op_sel:[0,1]
	s_delay_alu instid0(VALU_DEP_1) | instskip(SKIP_1) | instid1(VALU_DEP_1)
	v_pk_fma_f32 v[76:77], v[60:61], v[70:71], v[74:75] op_sel:[0,0,1] op_sel_hi:[1,1,0] neg_lo:[0,0,1] neg_hi:[0,0,1]
	v_pk_fma_f32 v[60:61], v[60:61], v[70:71], v[74:75] op_sel:[0,0,1] op_sel_hi:[1,0,0]
	v_mov_b32_e32 v77, v61
	v_pk_mul_f32 v[60:61], v[62:63], v[72:73] op_sel:[0,1]
	s_delay_alu instid0(VALU_DEP_1) | instskip(SKIP_1) | instid1(VALU_DEP_1)
	v_pk_fma_f32 v[74:75], v[62:63], v[70:71], v[60:61] op_sel:[0,0,1] op_sel_hi:[1,1,0] neg_lo:[0,0,1] neg_hi:[0,0,1]
	v_pk_fma_f32 v[60:61], v[62:63], v[70:71], v[60:61] op_sel:[0,0,1] op_sel_hi:[1,0,0]
	v_mov_b32_e32 v75, v61
	ds_load_2addr_b64 v[60:63], v64 offset0:25 offset1:26
	v_pk_add_f32 v[30:31], v[30:31], v[76:77] neg_lo:[0,1] neg_hi:[0,1]
	v_pk_add_f32 v[36:37], v[36:37], v[74:75] neg_lo:[0,1] neg_hi:[0,1]
	s_wait_dscnt 0x0
	v_pk_mul_f32 v[74:75], v[60:61], v[72:73] op_sel:[0,1]
	s_delay_alu instid0(VALU_DEP_1) | instskip(SKIP_1) | instid1(VALU_DEP_1)
	v_pk_fma_f32 v[76:77], v[60:61], v[70:71], v[74:75] op_sel:[0,0,1] op_sel_hi:[1,1,0] neg_lo:[0,0,1] neg_hi:[0,0,1]
	v_pk_fma_f32 v[60:61], v[60:61], v[70:71], v[74:75] op_sel:[0,0,1] op_sel_hi:[1,0,0]
	v_dual_mov_b32 v60, v63 :: v_dual_mov_b32 v77, v61
	v_mov_b32_e32 v61, v62
	s_delay_alu instid0(VALU_DEP_2) | instskip(NEXT) | instid1(VALU_DEP_2)
	v_pk_add_f32 v[34:35], v[34:35], v[76:77] neg_lo:[0,1] neg_hi:[0,1]
	v_pk_mul_f32 v[60:61], v[60:61], v[72:73] op_sel:[0,1]
	s_delay_alu instid0(VALU_DEP_1) | instskip(SKIP_1) | instid1(VALU_DEP_1)
	v_pk_fma_f32 v[72:73], v[62:63], v[70:71], v[60:61] neg_lo:[0,0,1] neg_hi:[0,0,1]
	v_pk_fma_f32 v[60:61], v[62:63], v[70:71], v[60:61] op_sel_hi:[1,0,1]
	v_mov_b32_e32 v73, v61
	s_delay_alu instid0(VALU_DEP_1)
	v_pk_add_f32 v[58:59], v[58:59], v[72:73] neg_lo:[0,1] neg_hi:[0,1]
.LBB52_482:
	s_or_b32 exec_lo, exec_lo, s0
	v_lshl_add_u32 v60, v68, 3, v64
	s_barrier_signal -1
	s_barrier_wait -1
	ds_store_b64 v60, v[30:31]
	s_wait_dscnt 0x0
	s_barrier_signal -1
	s_barrier_wait -1
	ds_load_b64 v[60:61], v64 offset:184
	v_mov_b32_e32 v62, 23
	s_cmp_lt_i32 s14, 25
	s_cbranch_scc1 .LBB52_485
; %bb.483:
	v_add3_u32 v63, v65, 0, 0xc0
	v_mov_b32_e32 v62, 23
	s_mov_b32 s0, 24
.LBB52_484:                             ; =>This Inner Loop Header: Depth=1
	ds_load_b64 v[70:71], v63
	s_wait_dscnt 0x1
	v_cmp_gt_f32_e32 vcc_lo, 0, v60
	v_cndmask_b32_e64 v72, v60, -v60, vcc_lo
	v_cmp_gt_f32_e32 vcc_lo, 0, v61
	v_cndmask_b32_e64 v74, v61, -v61, vcc_lo
	s_wait_dscnt 0x0
	v_cmp_gt_f32_e32 vcc_lo, 0, v70
	v_cndmask_b32_e64 v73, v70, -v70, vcc_lo
	v_cmp_gt_f32_e32 vcc_lo, 0, v71
	v_cndmask_b32_e64 v75, v71, -v71, vcc_lo
	s_delay_alu instid0(VALU_DEP_1) | instskip(NEXT) | instid1(VALU_DEP_1)
	v_pk_add_f32 v[72:73], v[72:73], v[74:75]
	v_cmp_lt_f32_e32 vcc_lo, v72, v73
	v_dual_cndmask_b32 v60, v60, v70 :: v_dual_add_nc_u32 v63, 8, v63
	v_cndmask_b32_e32 v61, v61, v71, vcc_lo
	v_cndmask_b32_e64 v62, v62, s0, vcc_lo
	s_add_co_i32 s0, s0, 1
	s_delay_alu instid0(SALU_CYCLE_1)
	s_cmp_lg_u32 s14, s0
	s_cbranch_scc1 .LBB52_484
.LBB52_485:
	s_wait_dscnt 0x0
	v_cmp_eq_f32_e32 vcc_lo, 0, v60
	v_cmp_eq_f32_e64 s0, 0, v61
	s_and_b32 s0, vcc_lo, s0
	s_delay_alu instid0(SALU_CYCLE_1) | instskip(NEXT) | instid1(SALU_CYCLE_1)
	s_and_saveexec_b32 s1, s0
	s_xor_b32 s0, exec_lo, s1
; %bb.486:
	v_cmp_ne_u32_e32 vcc_lo, 0, v66
	v_cndmask_b32_e32 v66, 24, v66, vcc_lo
; %bb.487:
	s_and_not1_saveexec_b32 s0, s0
	s_cbranch_execz .LBB52_493
; %bb.488:
	v_cmp_ngt_f32_e64 s1, |v60|, |v61|
	s_and_saveexec_b32 s15, s1
	s_delay_alu instid0(SALU_CYCLE_1)
	s_xor_b32 s1, exec_lo, s15
	s_cbranch_execz .LBB52_490
; %bb.489:
	v_div_scale_f32 v63, null, v61, v61, v60
	v_div_scale_f32 v71, vcc_lo, v60, v61, v60
	s_delay_alu instid0(VALU_DEP_2) | instskip(SKIP_1) | instid1(TRANS32_DEP_1)
	v_rcp_f32_e32 v69, v63
	v_nop
	v_fma_f32 v70, -v63, v69, 1.0
	s_delay_alu instid0(VALU_DEP_1) | instskip(NEXT) | instid1(VALU_DEP_1)
	v_fmac_f32_e32 v69, v70, v69
	v_mul_f32_e32 v70, v71, v69
	s_delay_alu instid0(VALU_DEP_1) | instskip(NEXT) | instid1(VALU_DEP_1)
	v_fma_f32 v72, -v63, v70, v71
	v_fmac_f32_e32 v70, v72, v69
	s_delay_alu instid0(VALU_DEP_1) | instskip(NEXT) | instid1(VALU_DEP_1)
	v_fma_f32 v63, -v63, v70, v71
	v_div_fmas_f32 v63, v63, v69, v70
	s_delay_alu instid0(VALU_DEP_1) | instskip(NEXT) | instid1(VALU_DEP_1)
	v_div_fixup_f32 v63, v63, v61, v60
	v_fmac_f32_e32 v61, v60, v63
	s_delay_alu instid0(VALU_DEP_1) | instskip(SKIP_1) | instid1(VALU_DEP_2)
	v_div_scale_f32 v60, null, v61, v61, 1.0
	v_div_scale_f32 v71, vcc_lo, 1.0, v61, 1.0
	v_rcp_f32_e32 v69, v60
	v_nop
	s_delay_alu instid0(TRANS32_DEP_1) | instskip(NEXT) | instid1(VALU_DEP_1)
	v_fma_f32 v70, -v60, v69, 1.0
	v_fmac_f32_e32 v69, v70, v69
	s_delay_alu instid0(VALU_DEP_1) | instskip(NEXT) | instid1(VALU_DEP_1)
	v_mul_f32_e32 v70, v71, v69
	v_fma_f32 v72, -v60, v70, v71
	s_delay_alu instid0(VALU_DEP_1) | instskip(NEXT) | instid1(VALU_DEP_1)
	v_fmac_f32_e32 v70, v72, v69
	v_fma_f32 v60, -v60, v70, v71
	s_delay_alu instid0(VALU_DEP_1) | instskip(NEXT) | instid1(VALU_DEP_1)
	v_div_fmas_f32 v60, v60, v69, v70
	v_div_fixup_f32 v61, v60, v61, 1.0
	s_delay_alu instid0(VALU_DEP_1)
	v_mul_f32_e32 v60, v63, v61
	v_xor_b32_e32 v61, 0x80000000, v61
.LBB52_490:
	s_and_not1_saveexec_b32 s1, s1
	s_cbranch_execz .LBB52_492
; %bb.491:
	s_delay_alu instid0(VALU_DEP_1) | instskip(SKIP_1) | instid1(VALU_DEP_2)
	v_div_scale_f32 v63, null, v60, v60, v61
	v_div_scale_f32 v71, vcc_lo, v61, v60, v61
	v_rcp_f32_e32 v69, v63
	v_nop
	s_delay_alu instid0(TRANS32_DEP_1) | instskip(NEXT) | instid1(VALU_DEP_1)
	v_fma_f32 v70, -v63, v69, 1.0
	v_fmac_f32_e32 v69, v70, v69
	s_delay_alu instid0(VALU_DEP_1) | instskip(NEXT) | instid1(VALU_DEP_1)
	v_mul_f32_e32 v70, v71, v69
	v_fma_f32 v72, -v63, v70, v71
	s_delay_alu instid0(VALU_DEP_1) | instskip(NEXT) | instid1(VALU_DEP_1)
	v_fmac_f32_e32 v70, v72, v69
	v_fma_f32 v63, -v63, v70, v71
	s_delay_alu instid0(VALU_DEP_1) | instskip(NEXT) | instid1(VALU_DEP_1)
	v_div_fmas_f32 v63, v63, v69, v70
	v_div_fixup_f32 v63, v63, v60, v61
	s_delay_alu instid0(VALU_DEP_1) | instskip(NEXT) | instid1(VALU_DEP_1)
	v_fmac_f32_e32 v60, v61, v63
	v_div_scale_f32 v61, null, v60, v60, 1.0
	s_delay_alu instid0(VALU_DEP_1) | instskip(SKIP_1) | instid1(TRANS32_DEP_1)
	v_rcp_f32_e32 v69, v61
	v_nop
	v_fma_f32 v70, -v61, v69, 1.0
	s_delay_alu instid0(VALU_DEP_1) | instskip(SKIP_1) | instid1(VALU_DEP_1)
	v_fmac_f32_e32 v69, v70, v69
	v_div_scale_f32 v70, vcc_lo, 1.0, v60, 1.0
	v_mul_f32_e32 v71, v70, v69
	s_delay_alu instid0(VALU_DEP_1) | instskip(NEXT) | instid1(VALU_DEP_1)
	v_fma_f32 v72, -v61, v71, v70
	v_fmac_f32_e32 v71, v72, v69
	s_delay_alu instid0(VALU_DEP_1) | instskip(NEXT) | instid1(VALU_DEP_1)
	v_fma_f32 v61, -v61, v71, v70
	v_div_fmas_f32 v61, v61, v69, v71
	s_delay_alu instid0(VALU_DEP_1) | instskip(NEXT) | instid1(VALU_DEP_1)
	v_div_fixup_f32 v60, v61, v60, 1.0
	v_mul_f32_e64 v61, v63, -v60
.LBB52_492:
	s_or_b32 exec_lo, exec_lo, s1
.LBB52_493:
	s_delay_alu instid0(SALU_CYCLE_1) | instskip(NEXT) | instid1(SALU_CYCLE_1)
	s_or_b32 exec_lo, exec_lo, s0
	s_mov_b32 s0, exec_lo
	v_cmpx_ne_u32_e64 v68, v62
	s_xor_b32 s0, exec_lo, s0
	s_cbranch_execz .LBB52_499
; %bb.494:
	s_mov_b32 s1, exec_lo
	v_cmpx_eq_u32_e32 23, v68
	s_cbranch_execz .LBB52_498
; %bb.495:
	v_cmp_ne_u32_e32 vcc_lo, 23, v62
	s_xor_b32 s15, s2, -1
	s_delay_alu instid0(SALU_CYCLE_1) | instskip(NEXT) | instid1(SALU_CYCLE_1)
	s_and_b32 s16, s15, vcc_lo
	s_and_saveexec_b32 s15, s16
	s_cbranch_execz .LBB52_497
; %bb.496:
	v_ashrrev_i32_e32 v63, 31, v62
	s_delay_alu instid0(VALU_DEP_1)
	v_lshl_add_u64 v[68:69], v[62:63], 2, v[4:5]
	s_clause 0x1
	global_load_b32 v63, v[68:69], off
	global_load_b32 v67, v[4:5], off offset:92
	s_wait_loadcnt 0x1
	global_store_b32 v[4:5], v63, off offset:92
	s_wait_loadcnt 0x0
	global_store_b32 v[68:69], v67, off
.LBB52_497:
	s_wait_xcnt 0x0
	s_or_b32 exec_lo, exec_lo, s15
	v_dual_mov_b32 v68, v62 :: v_dual_mov_b32 v67, v62
.LBB52_498:
	s_or_b32 exec_lo, exec_lo, s1
.LBB52_499:
	s_and_not1_saveexec_b32 s0, s0
	s_cbranch_execz .LBB52_501
; %bb.500:
	v_dual_mov_b32 v62, v36 :: v_dual_mov_b32 v63, v37
	v_dual_mov_b32 v70, v34 :: v_dual_mov_b32 v71, v35
	v_mov_b32_e32 v68, 23
	ds_store_2addr_b64 v64, v[62:63], v[70:71] offset0:24 offset1:25
	ds_store_b64 v64, v[58:59] offset:208
.LBB52_501:
	s_or_b32 exec_lo, exec_lo, s0
	s_delay_alu instid0(SALU_CYCLE_1)
	s_mov_b32 s0, exec_lo
	s_wait_storecnt_dscnt 0x0
	s_barrier_signal -1
	s_barrier_wait -1
	v_cmpx_lt_i32_e32 23, v68
	s_cbranch_execz .LBB52_503
; %bb.502:
	v_pk_mul_f32 v[62:63], v[60:61], v[30:31] op_sel:[1,1] op_sel_hi:[0,1]
	s_delay_alu instid0(VALU_DEP_1)
	v_pk_fma_f32 v[70:71], v[60:61], v[30:31], v[62:63] op_sel_hi:[1,0,1] neg_lo:[0,0,1] neg_hi:[0,0,1]
	v_pk_fma_f32 v[72:73], v[60:61], v[30:31], v[62:63] op_sel_hi:[1,0,1]
	ds_load_2addr_b64 v[60:63], v64 offset0:24 offset1:25
	v_dual_mov_b32 v30, v70 :: v_dual_mov_b32 v31, v73
	s_wait_dscnt 0x0
	v_pk_mul_f32 v[74:75], v[60:61], v[72:73] op_sel:[0,1]
	s_delay_alu instid0(VALU_DEP_1) | instskip(SKIP_1) | instid1(VALU_DEP_1)
	v_pk_fma_f32 v[76:77], v[60:61], v[70:71], v[74:75] op_sel:[0,0,1] op_sel_hi:[1,1,0] neg_lo:[0,0,1] neg_hi:[0,0,1]
	v_pk_fma_f32 v[60:61], v[60:61], v[70:71], v[74:75] op_sel:[0,0,1] op_sel_hi:[1,0,0]
	v_mov_b32_e32 v77, v61
	v_pk_mul_f32 v[60:61], v[62:63], v[72:73] op_sel:[0,1]
	s_delay_alu instid0(VALU_DEP_1) | instskip(SKIP_1) | instid1(VALU_DEP_1)
	v_pk_fma_f32 v[74:75], v[62:63], v[70:71], v[60:61] op_sel:[0,0,1] op_sel_hi:[1,1,0] neg_lo:[0,0,1] neg_hi:[0,0,1]
	v_pk_fma_f32 v[60:61], v[62:63], v[70:71], v[60:61] op_sel:[0,0,1] op_sel_hi:[1,0,0]
	v_mov_b32_e32 v75, v61
	ds_load_b64 v[60:61], v64 offset:208
	v_pk_add_f32 v[36:37], v[36:37], v[76:77] neg_lo:[0,1] neg_hi:[0,1]
	v_pk_add_f32 v[34:35], v[34:35], v[74:75] neg_lo:[0,1] neg_hi:[0,1]
	s_wait_dscnt 0x0
	v_pk_mul_f32 v[62:63], v[60:61], v[72:73] op_sel:[1,1] op_sel_hi:[0,1]
	s_delay_alu instid0(VALU_DEP_1) | instskip(SKIP_1) | instid1(VALU_DEP_1)
	v_pk_fma_f32 v[72:73], v[60:61], v[70:71], v[62:63] neg_lo:[0,0,1] neg_hi:[0,0,1]
	v_pk_fma_f32 v[60:61], v[60:61], v[70:71], v[62:63] op_sel_hi:[1,0,1]
	v_mov_b32_e32 v73, v61
	s_delay_alu instid0(VALU_DEP_1)
	v_pk_add_f32 v[58:59], v[58:59], v[72:73] neg_lo:[0,1] neg_hi:[0,1]
.LBB52_503:
	s_or_b32 exec_lo, exec_lo, s0
	v_lshl_add_u32 v60, v68, 3, v64
	s_barrier_signal -1
	s_barrier_wait -1
	ds_store_b64 v60, v[36:37]
	s_wait_dscnt 0x0
	s_barrier_signal -1
	s_barrier_wait -1
	ds_load_b64 v[60:61], v64 offset:192
	v_mov_b32_e32 v62, 24
	s_cmp_lt_i32 s14, 26
	s_cbranch_scc1 .LBB52_506
; %bb.504:
	v_add3_u32 v63, v65, 0, 0xc8
	v_mov_b32_e32 v62, 24
	s_mov_b32 s0, 25
.LBB52_505:                             ; =>This Inner Loop Header: Depth=1
	ds_load_b64 v[70:71], v63
	s_wait_dscnt 0x1
	v_cmp_gt_f32_e32 vcc_lo, 0, v60
	v_cndmask_b32_e64 v72, v60, -v60, vcc_lo
	v_cmp_gt_f32_e32 vcc_lo, 0, v61
	v_cndmask_b32_e64 v74, v61, -v61, vcc_lo
	s_wait_dscnt 0x0
	v_cmp_gt_f32_e32 vcc_lo, 0, v70
	v_cndmask_b32_e64 v73, v70, -v70, vcc_lo
	v_cmp_gt_f32_e32 vcc_lo, 0, v71
	v_cndmask_b32_e64 v75, v71, -v71, vcc_lo
	s_delay_alu instid0(VALU_DEP_1) | instskip(NEXT) | instid1(VALU_DEP_1)
	v_pk_add_f32 v[72:73], v[72:73], v[74:75]
	v_cmp_lt_f32_e32 vcc_lo, v72, v73
	v_dual_cndmask_b32 v60, v60, v70 :: v_dual_add_nc_u32 v63, 8, v63
	v_cndmask_b32_e32 v61, v61, v71, vcc_lo
	v_cndmask_b32_e64 v62, v62, s0, vcc_lo
	s_add_co_i32 s0, s0, 1
	s_delay_alu instid0(SALU_CYCLE_1)
	s_cmp_lg_u32 s14, s0
	s_cbranch_scc1 .LBB52_505
.LBB52_506:
	s_wait_dscnt 0x0
	v_cmp_eq_f32_e32 vcc_lo, 0, v60
	v_cmp_eq_f32_e64 s0, 0, v61
	s_and_b32 s0, vcc_lo, s0
	s_delay_alu instid0(SALU_CYCLE_1) | instskip(NEXT) | instid1(SALU_CYCLE_1)
	s_and_saveexec_b32 s1, s0
	s_xor_b32 s0, exec_lo, s1
; %bb.507:
	v_cmp_ne_u32_e32 vcc_lo, 0, v66
	v_cndmask_b32_e32 v66, 25, v66, vcc_lo
; %bb.508:
	s_and_not1_saveexec_b32 s0, s0
	s_cbranch_execz .LBB52_514
; %bb.509:
	v_cmp_ngt_f32_e64 s1, |v60|, |v61|
	s_and_saveexec_b32 s15, s1
	s_delay_alu instid0(SALU_CYCLE_1)
	s_xor_b32 s1, exec_lo, s15
	s_cbranch_execz .LBB52_511
; %bb.510:
	v_div_scale_f32 v63, null, v61, v61, v60
	v_div_scale_f32 v71, vcc_lo, v60, v61, v60
	s_delay_alu instid0(VALU_DEP_2) | instskip(SKIP_1) | instid1(TRANS32_DEP_1)
	v_rcp_f32_e32 v69, v63
	v_nop
	v_fma_f32 v70, -v63, v69, 1.0
	s_delay_alu instid0(VALU_DEP_1) | instskip(NEXT) | instid1(VALU_DEP_1)
	v_fmac_f32_e32 v69, v70, v69
	v_mul_f32_e32 v70, v71, v69
	s_delay_alu instid0(VALU_DEP_1) | instskip(NEXT) | instid1(VALU_DEP_1)
	v_fma_f32 v72, -v63, v70, v71
	v_fmac_f32_e32 v70, v72, v69
	s_delay_alu instid0(VALU_DEP_1) | instskip(NEXT) | instid1(VALU_DEP_1)
	v_fma_f32 v63, -v63, v70, v71
	v_div_fmas_f32 v63, v63, v69, v70
	s_delay_alu instid0(VALU_DEP_1) | instskip(NEXT) | instid1(VALU_DEP_1)
	v_div_fixup_f32 v63, v63, v61, v60
	v_fmac_f32_e32 v61, v60, v63
	s_delay_alu instid0(VALU_DEP_1) | instskip(SKIP_1) | instid1(VALU_DEP_2)
	v_div_scale_f32 v60, null, v61, v61, 1.0
	v_div_scale_f32 v71, vcc_lo, 1.0, v61, 1.0
	v_rcp_f32_e32 v69, v60
	v_nop
	s_delay_alu instid0(TRANS32_DEP_1) | instskip(NEXT) | instid1(VALU_DEP_1)
	v_fma_f32 v70, -v60, v69, 1.0
	v_fmac_f32_e32 v69, v70, v69
	s_delay_alu instid0(VALU_DEP_1) | instskip(NEXT) | instid1(VALU_DEP_1)
	v_mul_f32_e32 v70, v71, v69
	v_fma_f32 v72, -v60, v70, v71
	s_delay_alu instid0(VALU_DEP_1) | instskip(NEXT) | instid1(VALU_DEP_1)
	v_fmac_f32_e32 v70, v72, v69
	v_fma_f32 v60, -v60, v70, v71
	s_delay_alu instid0(VALU_DEP_1) | instskip(NEXT) | instid1(VALU_DEP_1)
	v_div_fmas_f32 v60, v60, v69, v70
	v_div_fixup_f32 v61, v60, v61, 1.0
	s_delay_alu instid0(VALU_DEP_1)
	v_mul_f32_e32 v60, v63, v61
	v_xor_b32_e32 v61, 0x80000000, v61
.LBB52_511:
	s_and_not1_saveexec_b32 s1, s1
	s_cbranch_execz .LBB52_513
; %bb.512:
	s_delay_alu instid0(VALU_DEP_1) | instskip(SKIP_1) | instid1(VALU_DEP_2)
	v_div_scale_f32 v63, null, v60, v60, v61
	v_div_scale_f32 v71, vcc_lo, v61, v60, v61
	v_rcp_f32_e32 v69, v63
	v_nop
	s_delay_alu instid0(TRANS32_DEP_1) | instskip(NEXT) | instid1(VALU_DEP_1)
	v_fma_f32 v70, -v63, v69, 1.0
	v_fmac_f32_e32 v69, v70, v69
	s_delay_alu instid0(VALU_DEP_1) | instskip(NEXT) | instid1(VALU_DEP_1)
	v_mul_f32_e32 v70, v71, v69
	v_fma_f32 v72, -v63, v70, v71
	s_delay_alu instid0(VALU_DEP_1) | instskip(NEXT) | instid1(VALU_DEP_1)
	v_fmac_f32_e32 v70, v72, v69
	v_fma_f32 v63, -v63, v70, v71
	s_delay_alu instid0(VALU_DEP_1) | instskip(NEXT) | instid1(VALU_DEP_1)
	v_div_fmas_f32 v63, v63, v69, v70
	v_div_fixup_f32 v63, v63, v60, v61
	s_delay_alu instid0(VALU_DEP_1) | instskip(NEXT) | instid1(VALU_DEP_1)
	v_fmac_f32_e32 v60, v61, v63
	v_div_scale_f32 v61, null, v60, v60, 1.0
	s_delay_alu instid0(VALU_DEP_1) | instskip(SKIP_1) | instid1(TRANS32_DEP_1)
	v_rcp_f32_e32 v69, v61
	v_nop
	v_fma_f32 v70, -v61, v69, 1.0
	s_delay_alu instid0(VALU_DEP_1) | instskip(SKIP_1) | instid1(VALU_DEP_1)
	v_fmac_f32_e32 v69, v70, v69
	v_div_scale_f32 v70, vcc_lo, 1.0, v60, 1.0
	v_mul_f32_e32 v71, v70, v69
	s_delay_alu instid0(VALU_DEP_1) | instskip(NEXT) | instid1(VALU_DEP_1)
	v_fma_f32 v72, -v61, v71, v70
	v_fmac_f32_e32 v71, v72, v69
	s_delay_alu instid0(VALU_DEP_1) | instskip(NEXT) | instid1(VALU_DEP_1)
	v_fma_f32 v61, -v61, v71, v70
	v_div_fmas_f32 v61, v61, v69, v71
	s_delay_alu instid0(VALU_DEP_1) | instskip(NEXT) | instid1(VALU_DEP_1)
	v_div_fixup_f32 v60, v61, v60, 1.0
	v_mul_f32_e64 v61, v63, -v60
.LBB52_513:
	s_or_b32 exec_lo, exec_lo, s1
.LBB52_514:
	s_delay_alu instid0(SALU_CYCLE_1) | instskip(NEXT) | instid1(SALU_CYCLE_1)
	s_or_b32 exec_lo, exec_lo, s0
	s_mov_b32 s0, exec_lo
	v_cmpx_ne_u32_e64 v68, v62
	s_xor_b32 s0, exec_lo, s0
	s_cbranch_execz .LBB52_520
; %bb.515:
	s_mov_b32 s1, exec_lo
	v_cmpx_eq_u32_e32 24, v68
	s_cbranch_execz .LBB52_519
; %bb.516:
	v_cmp_ne_u32_e32 vcc_lo, 24, v62
	s_xor_b32 s15, s2, -1
	s_delay_alu instid0(SALU_CYCLE_1) | instskip(NEXT) | instid1(SALU_CYCLE_1)
	s_and_b32 s16, s15, vcc_lo
	s_and_saveexec_b32 s15, s16
	s_cbranch_execz .LBB52_518
; %bb.517:
	v_ashrrev_i32_e32 v63, 31, v62
	s_delay_alu instid0(VALU_DEP_1)
	v_lshl_add_u64 v[68:69], v[62:63], 2, v[4:5]
	s_clause 0x1
	global_load_b32 v63, v[68:69], off
	global_load_b32 v67, v[4:5], off offset:96
	s_wait_loadcnt 0x1
	global_store_b32 v[4:5], v63, off offset:96
	s_wait_loadcnt 0x0
	global_store_b32 v[68:69], v67, off
.LBB52_518:
	s_wait_xcnt 0x0
	s_or_b32 exec_lo, exec_lo, s15
	v_dual_mov_b32 v68, v62 :: v_dual_mov_b32 v67, v62
.LBB52_519:
	s_or_b32 exec_lo, exec_lo, s1
.LBB52_520:
	s_and_not1_saveexec_b32 s0, s0
; %bb.521:
	v_mov_b32_e32 v68, 24
	ds_store_2addr_b64 v64, v[34:35], v[58:59] offset0:25 offset1:26
; %bb.522:
	s_or_b32 exec_lo, exec_lo, s0
	s_delay_alu instid0(SALU_CYCLE_1)
	s_mov_b32 s0, exec_lo
	s_wait_storecnt_dscnt 0x0
	s_barrier_signal -1
	s_barrier_wait -1
	v_cmpx_lt_i32_e32 24, v68
	s_cbranch_execz .LBB52_524
; %bb.523:
	ds_load_2addr_b64 v[70:73], v64 offset0:25 offset1:26
	v_pk_mul_f32 v[62:63], v[60:61], v[36:37] op_sel:[1,1] op_sel_hi:[0,1]
	s_delay_alu instid0(VALU_DEP_1) | instskip(SKIP_3) | instid1(VALU_DEP_3)
	v_pk_fma_f32 v[74:75], v[60:61], v[36:37], v[62:63] op_sel_hi:[1,0,1]
	v_pk_fma_f32 v[36:37], v[60:61], v[36:37], v[62:63] op_sel_hi:[1,0,1] neg_lo:[0,0,1] neg_hi:[0,0,1]
	s_wait_dscnt 0x0
	v_dual_mov_b32 v76, v73 :: v_dual_mov_b32 v77, v72
	v_pk_mul_f32 v[60:61], v[70:71], v[74:75] op_sel:[0,1]
	s_delay_alu instid0(VALU_DEP_2) | instskip(NEXT) | instid1(VALU_DEP_2)
	v_pk_mul_f32 v[62:63], v[76:77], v[74:75] op_sel:[0,1]
	v_pk_fma_f32 v[76:77], v[70:71], v[36:37], v[60:61] op_sel:[0,0,1] op_sel_hi:[1,0,0]
	v_pk_fma_f32 v[60:61], v[70:71], v[36:37], v[60:61] op_sel:[0,0,1] op_sel_hi:[1,1,0] neg_lo:[0,0,1] neg_hi:[0,0,1]
	s_delay_alu instid0(VALU_DEP_3) | instskip(SKIP_1) | instid1(VALU_DEP_4)
	v_pk_fma_f32 v[78:79], v[72:73], v[36:37], v[62:63] op_sel_hi:[1,0,1]
	v_pk_fma_f32 v[62:63], v[72:73], v[36:37], v[62:63] neg_lo:[0,0,1] neg_hi:[0,0,1]
	v_dual_mov_b32 v61, v77 :: v_dual_mov_b32 v37, v75
	s_delay_alu instid0(VALU_DEP_3) | instskip(NEXT) | instid1(VALU_DEP_2)
	v_mov_b32_e32 v63, v79
	v_pk_add_f32 v[34:35], v[34:35], v[60:61] neg_lo:[0,1] neg_hi:[0,1]
	s_delay_alu instid0(VALU_DEP_2)
	v_pk_add_f32 v[58:59], v[58:59], v[62:63] neg_lo:[0,1] neg_hi:[0,1]
.LBB52_524:
	s_or_b32 exec_lo, exec_lo, s0
	v_lshl_add_u32 v60, v68, 3, v64
	s_barrier_signal -1
	s_barrier_wait -1
	ds_store_b64 v60, v[34:35]
	s_wait_dscnt 0x0
	s_barrier_signal -1
	s_barrier_wait -1
	ds_load_b64 v[60:61], v64 offset:200
	v_mov_b32_e32 v62, 25
	s_cmp_lt_i32 s14, 27
	s_cbranch_scc1 .LBB52_527
; %bb.525:
	v_add3_u32 v63, v65, 0, 0xd0
	v_mov_b32_e32 v62, 25
	s_mov_b32 s0, 26
.LBB52_526:                             ; =>This Inner Loop Header: Depth=1
	ds_load_b64 v[70:71], v63
	s_wait_dscnt 0x1
	v_cmp_gt_f32_e32 vcc_lo, 0, v60
	v_cndmask_b32_e64 v72, v60, -v60, vcc_lo
	v_cmp_gt_f32_e32 vcc_lo, 0, v61
	v_cndmask_b32_e64 v74, v61, -v61, vcc_lo
	s_wait_dscnt 0x0
	v_cmp_gt_f32_e32 vcc_lo, 0, v70
	v_cndmask_b32_e64 v73, v70, -v70, vcc_lo
	v_cmp_gt_f32_e32 vcc_lo, 0, v71
	v_cndmask_b32_e64 v75, v71, -v71, vcc_lo
	s_delay_alu instid0(VALU_DEP_1) | instskip(NEXT) | instid1(VALU_DEP_1)
	v_pk_add_f32 v[72:73], v[72:73], v[74:75]
	v_cmp_lt_f32_e32 vcc_lo, v72, v73
	v_dual_cndmask_b32 v60, v60, v70 :: v_dual_add_nc_u32 v63, 8, v63
	v_cndmask_b32_e32 v61, v61, v71, vcc_lo
	v_cndmask_b32_e64 v62, v62, s0, vcc_lo
	s_add_co_i32 s0, s0, 1
	s_delay_alu instid0(SALU_CYCLE_1)
	s_cmp_lg_u32 s14, s0
	s_cbranch_scc1 .LBB52_526
.LBB52_527:
	s_wait_dscnt 0x0
	v_cmp_eq_f32_e32 vcc_lo, 0, v60
	v_cmp_eq_f32_e64 s0, 0, v61
	s_and_b32 s0, vcc_lo, s0
	s_delay_alu instid0(SALU_CYCLE_1) | instskip(NEXT) | instid1(SALU_CYCLE_1)
	s_and_saveexec_b32 s1, s0
	s_xor_b32 s0, exec_lo, s1
; %bb.528:
	v_cmp_ne_u32_e32 vcc_lo, 0, v66
	v_cndmask_b32_e32 v66, 26, v66, vcc_lo
; %bb.529:
	s_and_not1_saveexec_b32 s0, s0
	s_cbranch_execz .LBB52_535
; %bb.530:
	v_cmp_ngt_f32_e64 s1, |v60|, |v61|
	s_and_saveexec_b32 s15, s1
	s_delay_alu instid0(SALU_CYCLE_1)
	s_xor_b32 s1, exec_lo, s15
	s_cbranch_execz .LBB52_532
; %bb.531:
	v_div_scale_f32 v63, null, v61, v61, v60
	v_div_scale_f32 v71, vcc_lo, v60, v61, v60
	s_delay_alu instid0(VALU_DEP_2) | instskip(SKIP_1) | instid1(TRANS32_DEP_1)
	v_rcp_f32_e32 v69, v63
	v_nop
	v_fma_f32 v70, -v63, v69, 1.0
	s_delay_alu instid0(VALU_DEP_1) | instskip(NEXT) | instid1(VALU_DEP_1)
	v_fmac_f32_e32 v69, v70, v69
	v_mul_f32_e32 v70, v71, v69
	s_delay_alu instid0(VALU_DEP_1) | instskip(NEXT) | instid1(VALU_DEP_1)
	v_fma_f32 v72, -v63, v70, v71
	v_fmac_f32_e32 v70, v72, v69
	s_delay_alu instid0(VALU_DEP_1) | instskip(NEXT) | instid1(VALU_DEP_1)
	v_fma_f32 v63, -v63, v70, v71
	v_div_fmas_f32 v63, v63, v69, v70
	s_delay_alu instid0(VALU_DEP_1) | instskip(NEXT) | instid1(VALU_DEP_1)
	v_div_fixup_f32 v63, v63, v61, v60
	v_fmac_f32_e32 v61, v60, v63
	s_delay_alu instid0(VALU_DEP_1) | instskip(SKIP_1) | instid1(VALU_DEP_2)
	v_div_scale_f32 v60, null, v61, v61, 1.0
	v_div_scale_f32 v71, vcc_lo, 1.0, v61, 1.0
	v_rcp_f32_e32 v69, v60
	v_nop
	s_delay_alu instid0(TRANS32_DEP_1) | instskip(NEXT) | instid1(VALU_DEP_1)
	v_fma_f32 v70, -v60, v69, 1.0
	v_fmac_f32_e32 v69, v70, v69
	s_delay_alu instid0(VALU_DEP_1) | instskip(NEXT) | instid1(VALU_DEP_1)
	v_mul_f32_e32 v70, v71, v69
	v_fma_f32 v72, -v60, v70, v71
	s_delay_alu instid0(VALU_DEP_1) | instskip(NEXT) | instid1(VALU_DEP_1)
	v_fmac_f32_e32 v70, v72, v69
	v_fma_f32 v60, -v60, v70, v71
	s_delay_alu instid0(VALU_DEP_1) | instskip(NEXT) | instid1(VALU_DEP_1)
	v_div_fmas_f32 v60, v60, v69, v70
	v_div_fixup_f32 v61, v60, v61, 1.0
	s_delay_alu instid0(VALU_DEP_1)
	v_mul_f32_e32 v60, v63, v61
	v_xor_b32_e32 v61, 0x80000000, v61
.LBB52_532:
	s_and_not1_saveexec_b32 s1, s1
	s_cbranch_execz .LBB52_534
; %bb.533:
	s_delay_alu instid0(VALU_DEP_1) | instskip(SKIP_1) | instid1(VALU_DEP_2)
	v_div_scale_f32 v63, null, v60, v60, v61
	v_div_scale_f32 v71, vcc_lo, v61, v60, v61
	v_rcp_f32_e32 v69, v63
	v_nop
	s_delay_alu instid0(TRANS32_DEP_1) | instskip(NEXT) | instid1(VALU_DEP_1)
	v_fma_f32 v70, -v63, v69, 1.0
	v_fmac_f32_e32 v69, v70, v69
	s_delay_alu instid0(VALU_DEP_1) | instskip(NEXT) | instid1(VALU_DEP_1)
	v_mul_f32_e32 v70, v71, v69
	v_fma_f32 v72, -v63, v70, v71
	s_delay_alu instid0(VALU_DEP_1) | instskip(NEXT) | instid1(VALU_DEP_1)
	v_fmac_f32_e32 v70, v72, v69
	v_fma_f32 v63, -v63, v70, v71
	s_delay_alu instid0(VALU_DEP_1) | instskip(NEXT) | instid1(VALU_DEP_1)
	v_div_fmas_f32 v63, v63, v69, v70
	v_div_fixup_f32 v63, v63, v60, v61
	s_delay_alu instid0(VALU_DEP_1) | instskip(NEXT) | instid1(VALU_DEP_1)
	v_fmac_f32_e32 v60, v61, v63
	v_div_scale_f32 v61, null, v60, v60, 1.0
	s_delay_alu instid0(VALU_DEP_1) | instskip(SKIP_1) | instid1(TRANS32_DEP_1)
	v_rcp_f32_e32 v69, v61
	v_nop
	v_fma_f32 v70, -v61, v69, 1.0
	s_delay_alu instid0(VALU_DEP_1) | instskip(SKIP_1) | instid1(VALU_DEP_1)
	v_fmac_f32_e32 v69, v70, v69
	v_div_scale_f32 v70, vcc_lo, 1.0, v60, 1.0
	v_mul_f32_e32 v71, v70, v69
	s_delay_alu instid0(VALU_DEP_1) | instskip(NEXT) | instid1(VALU_DEP_1)
	v_fma_f32 v72, -v61, v71, v70
	v_fmac_f32_e32 v71, v72, v69
	s_delay_alu instid0(VALU_DEP_1) | instskip(NEXT) | instid1(VALU_DEP_1)
	v_fma_f32 v61, -v61, v71, v70
	v_div_fmas_f32 v61, v61, v69, v71
	s_delay_alu instid0(VALU_DEP_1) | instskip(NEXT) | instid1(VALU_DEP_1)
	v_div_fixup_f32 v60, v61, v60, 1.0
	v_mul_f32_e64 v61, v63, -v60
.LBB52_534:
	s_or_b32 exec_lo, exec_lo, s1
.LBB52_535:
	s_delay_alu instid0(SALU_CYCLE_1) | instskip(NEXT) | instid1(SALU_CYCLE_1)
	s_or_b32 exec_lo, exec_lo, s0
	s_mov_b32 s0, exec_lo
	v_cmpx_ne_u32_e64 v68, v62
	s_xor_b32 s0, exec_lo, s0
	s_cbranch_execz .LBB52_541
; %bb.536:
	s_mov_b32 s1, exec_lo
	v_cmpx_eq_u32_e32 25, v68
	s_cbranch_execz .LBB52_540
; %bb.537:
	v_cmp_ne_u32_e32 vcc_lo, 25, v62
	s_xor_b32 s15, s2, -1
	s_delay_alu instid0(SALU_CYCLE_1) | instskip(NEXT) | instid1(SALU_CYCLE_1)
	s_and_b32 s16, s15, vcc_lo
	s_and_saveexec_b32 s15, s16
	s_cbranch_execz .LBB52_539
; %bb.538:
	v_ashrrev_i32_e32 v63, 31, v62
	s_delay_alu instid0(VALU_DEP_1)
	v_lshl_add_u64 v[68:69], v[62:63], 2, v[4:5]
	s_clause 0x1
	global_load_b32 v63, v[68:69], off
	global_load_b32 v67, v[4:5], off offset:100
	s_wait_loadcnt 0x1
	global_store_b32 v[4:5], v63, off offset:100
	s_wait_loadcnt 0x0
	global_store_b32 v[68:69], v67, off
.LBB52_539:
	s_wait_xcnt 0x0
	s_or_b32 exec_lo, exec_lo, s15
	v_dual_mov_b32 v68, v62 :: v_dual_mov_b32 v67, v62
.LBB52_540:
	s_or_b32 exec_lo, exec_lo, s1
.LBB52_541:
	s_and_not1_saveexec_b32 s0, s0
; %bb.542:
	v_mov_b32_e32 v68, 25
	ds_store_b64 v64, v[58:59] offset:208
; %bb.543:
	s_or_b32 exec_lo, exec_lo, s0
	s_delay_alu instid0(SALU_CYCLE_1)
	s_mov_b32 s0, exec_lo
	s_wait_storecnt_dscnt 0x0
	s_barrier_signal -1
	s_barrier_wait -1
	v_cmpx_lt_i32_e32 25, v68
	s_cbranch_execz .LBB52_545
; %bb.544:
	ds_load_b64 v[62:63], v64 offset:208
	v_pk_mul_f32 v[70:71], v[60:61], v[34:35] op_sel:[1,1] op_sel_hi:[0,1]
	s_delay_alu instid0(VALU_DEP_1) | instskip(SKIP_2) | instid1(VALU_DEP_2)
	v_pk_fma_f32 v[72:73], v[60:61], v[34:35], v[70:71] op_sel_hi:[1,0,1]
	v_pk_fma_f32 v[34:35], v[60:61], v[34:35], v[70:71] op_sel_hi:[1,0,1] neg_lo:[0,0,1] neg_hi:[0,0,1]
	s_wait_dscnt 0x0
	v_pk_mul_f32 v[60:61], v[62:63], v[72:73] op_sel:[1,1] op_sel_hi:[0,1]
	s_delay_alu instid0(VALU_DEP_1) | instskip(SKIP_1) | instid1(VALU_DEP_2)
	v_pk_fma_f32 v[70:71], v[62:63], v[34:35], v[60:61] op_sel_hi:[1,0,1]
	v_pk_fma_f32 v[60:61], v[62:63], v[34:35], v[60:61] neg_lo:[0,0,1] neg_hi:[0,0,1]
	v_dual_mov_b32 v35, v73 :: v_dual_mov_b32 v61, v71
	s_delay_alu instid0(VALU_DEP_1)
	v_pk_add_f32 v[58:59], v[58:59], v[60:61] neg_lo:[0,1] neg_hi:[0,1]
.LBB52_545:
	s_or_b32 exec_lo, exec_lo, s0
	v_lshl_add_u32 v60, v68, 3, v64
	s_barrier_signal -1
	s_barrier_wait -1
	ds_store_b64 v60, v[58:59]
	s_wait_dscnt 0x0
	s_barrier_signal -1
	s_barrier_wait -1
	ds_load_b64 v[60:61], v64 offset:208
	v_mov_b32_e32 v62, 26
	s_cmp_lt_i32 s14, 28
	s_cbranch_scc1 .LBB52_548
; %bb.546:
	v_add3_u32 v63, v65, 0, 0xd8
	v_mov_b32_e32 v62, 26
	s_mov_b32 s0, 27
.LBB52_547:                             ; =>This Inner Loop Header: Depth=1
	ds_load_b64 v[64:65], v63
	s_wait_dscnt 0x1
	v_cmp_gt_f32_e32 vcc_lo, 0, v60
	v_cndmask_b32_e64 v70, v60, -v60, vcc_lo
	v_cmp_gt_f32_e32 vcc_lo, 0, v61
	v_cndmask_b32_e64 v72, v61, -v61, vcc_lo
	s_wait_dscnt 0x0
	v_cmp_gt_f32_e32 vcc_lo, 0, v64
	v_cndmask_b32_e64 v71, v64, -v64, vcc_lo
	v_cmp_gt_f32_e32 vcc_lo, 0, v65
	v_cndmask_b32_e64 v73, v65, -v65, vcc_lo
	s_delay_alu instid0(VALU_DEP_1) | instskip(NEXT) | instid1(VALU_DEP_1)
	v_pk_add_f32 v[70:71], v[70:71], v[72:73]
	v_cmp_lt_f32_e32 vcc_lo, v70, v71
	v_dual_add_nc_u32 v63, 8, v63 :: v_dual_cndmask_b32 v61, v61, v65, vcc_lo
	v_cndmask_b32_e32 v60, v60, v64, vcc_lo
	v_cndmask_b32_e64 v62, v62, s0, vcc_lo
	s_add_co_i32 s0, s0, 1
	s_delay_alu instid0(SALU_CYCLE_1)
	s_cmp_lg_u32 s14, s0
	s_cbranch_scc1 .LBB52_547
.LBB52_548:
	s_wait_dscnt 0x0
	v_cmp_eq_f32_e32 vcc_lo, 0, v60
	v_cmp_eq_f32_e64 s0, 0, v61
	s_and_b32 s0, vcc_lo, s0
	s_delay_alu instid0(SALU_CYCLE_1) | instskip(NEXT) | instid1(SALU_CYCLE_1)
	s_and_saveexec_b32 s1, s0
	s_xor_b32 s0, exec_lo, s1
; %bb.549:
	v_cmp_ne_u32_e32 vcc_lo, 0, v66
	v_cndmask_b32_e32 v66, 27, v66, vcc_lo
; %bb.550:
	s_and_not1_saveexec_b32 s0, s0
	s_cbranch_execz .LBB52_556
; %bb.551:
	v_cmp_ngt_f32_e64 s1, |v60|, |v61|
	s_and_saveexec_b32 s14, s1
	s_delay_alu instid0(SALU_CYCLE_1)
	s_xor_b32 s1, exec_lo, s14
	s_cbranch_execz .LBB52_553
; %bb.552:
	v_div_scale_f32 v63, null, v61, v61, v60
	v_div_scale_f32 v69, vcc_lo, v60, v61, v60
	s_delay_alu instid0(VALU_DEP_2) | instskip(SKIP_1) | instid1(TRANS32_DEP_1)
	v_rcp_f32_e32 v64, v63
	v_nop
	v_fma_f32 v65, -v63, v64, 1.0
	s_delay_alu instid0(VALU_DEP_1) | instskip(NEXT) | instid1(VALU_DEP_1)
	v_fmac_f32_e32 v64, v65, v64
	v_mul_f32_e32 v65, v69, v64
	s_delay_alu instid0(VALU_DEP_1) | instskip(NEXT) | instid1(VALU_DEP_1)
	v_fma_f32 v70, -v63, v65, v69
	v_fmac_f32_e32 v65, v70, v64
	s_delay_alu instid0(VALU_DEP_1) | instskip(NEXT) | instid1(VALU_DEP_1)
	v_fma_f32 v63, -v63, v65, v69
	v_div_fmas_f32 v63, v63, v64, v65
	s_delay_alu instid0(VALU_DEP_1) | instskip(NEXT) | instid1(VALU_DEP_1)
	v_div_fixup_f32 v63, v63, v61, v60
	v_fmac_f32_e32 v61, v60, v63
	s_delay_alu instid0(VALU_DEP_1) | instskip(SKIP_1) | instid1(VALU_DEP_2)
	v_div_scale_f32 v60, null, v61, v61, 1.0
	v_div_scale_f32 v69, vcc_lo, 1.0, v61, 1.0
	v_rcp_f32_e32 v64, v60
	v_nop
	s_delay_alu instid0(TRANS32_DEP_1) | instskip(NEXT) | instid1(VALU_DEP_1)
	v_fma_f32 v65, -v60, v64, 1.0
	v_fmac_f32_e32 v64, v65, v64
	s_delay_alu instid0(VALU_DEP_1) | instskip(NEXT) | instid1(VALU_DEP_1)
	v_mul_f32_e32 v65, v69, v64
	v_fma_f32 v70, -v60, v65, v69
	s_delay_alu instid0(VALU_DEP_1) | instskip(NEXT) | instid1(VALU_DEP_1)
	v_fmac_f32_e32 v65, v70, v64
	v_fma_f32 v60, -v60, v65, v69
	s_delay_alu instid0(VALU_DEP_1) | instskip(NEXT) | instid1(VALU_DEP_1)
	v_div_fmas_f32 v60, v60, v64, v65
	v_div_fixup_f32 v61, v60, v61, 1.0
	s_delay_alu instid0(VALU_DEP_1)
	v_mul_f32_e32 v60, v63, v61
	v_xor_b32_e32 v61, 0x80000000, v61
.LBB52_553:
	s_and_not1_saveexec_b32 s1, s1
	s_cbranch_execz .LBB52_555
; %bb.554:
	s_delay_alu instid0(VALU_DEP_1) | instskip(SKIP_1) | instid1(VALU_DEP_2)
	v_div_scale_f32 v63, null, v60, v60, v61
	v_div_scale_f32 v69, vcc_lo, v61, v60, v61
	v_rcp_f32_e32 v64, v63
	v_nop
	s_delay_alu instid0(TRANS32_DEP_1) | instskip(NEXT) | instid1(VALU_DEP_1)
	v_fma_f32 v65, -v63, v64, 1.0
	v_fmac_f32_e32 v64, v65, v64
	s_delay_alu instid0(VALU_DEP_1) | instskip(NEXT) | instid1(VALU_DEP_1)
	v_mul_f32_e32 v65, v69, v64
	v_fma_f32 v70, -v63, v65, v69
	s_delay_alu instid0(VALU_DEP_1) | instskip(NEXT) | instid1(VALU_DEP_1)
	v_fmac_f32_e32 v65, v70, v64
	v_fma_f32 v63, -v63, v65, v69
	s_delay_alu instid0(VALU_DEP_1) | instskip(NEXT) | instid1(VALU_DEP_1)
	v_div_fmas_f32 v63, v63, v64, v65
	v_div_fixup_f32 v63, v63, v60, v61
	s_delay_alu instid0(VALU_DEP_1) | instskip(NEXT) | instid1(VALU_DEP_1)
	v_fmac_f32_e32 v60, v61, v63
	v_div_scale_f32 v61, null, v60, v60, 1.0
	s_delay_alu instid0(VALU_DEP_1) | instskip(SKIP_1) | instid1(TRANS32_DEP_1)
	v_rcp_f32_e32 v64, v61
	v_nop
	v_fma_f32 v65, -v61, v64, 1.0
	s_delay_alu instid0(VALU_DEP_1) | instskip(SKIP_1) | instid1(VALU_DEP_1)
	v_fmac_f32_e32 v64, v65, v64
	v_div_scale_f32 v65, vcc_lo, 1.0, v60, 1.0
	v_mul_f32_e32 v69, v65, v64
	s_delay_alu instid0(VALU_DEP_1) | instskip(NEXT) | instid1(VALU_DEP_1)
	v_fma_f32 v70, -v61, v69, v65
	v_fmac_f32_e32 v69, v70, v64
	s_delay_alu instid0(VALU_DEP_1) | instskip(NEXT) | instid1(VALU_DEP_1)
	v_fma_f32 v61, -v61, v69, v65
	v_div_fmas_f32 v61, v61, v64, v69
	s_delay_alu instid0(VALU_DEP_1) | instskip(NEXT) | instid1(VALU_DEP_1)
	v_div_fixup_f32 v60, v61, v60, 1.0
	v_mul_f32_e64 v61, v63, -v60
.LBB52_555:
	s_or_b32 exec_lo, exec_lo, s1
.LBB52_556:
	s_delay_alu instid0(SALU_CYCLE_1)
	s_or_b32 exec_lo, exec_lo, s0
	v_mov_b32_e32 v64, 26
	s_mov_b32 s0, exec_lo
	v_cmpx_ne_u32_e64 v68, v62
	s_cbranch_execz .LBB52_562
; %bb.557:
	s_mov_b32 s1, exec_lo
	v_cmpx_eq_u32_e32 26, v68
	s_cbranch_execz .LBB52_561
; %bb.558:
	v_cmp_ne_u32_e32 vcc_lo, 26, v62
	s_xor_b32 s2, s2, -1
	s_delay_alu instid0(SALU_CYCLE_1) | instskip(NEXT) | instid1(SALU_CYCLE_1)
	s_and_b32 s14, s2, vcc_lo
	s_and_saveexec_b32 s2, s14
	s_cbranch_execz .LBB52_560
; %bb.559:
	v_ashrrev_i32_e32 v63, 31, v62
	s_delay_alu instid0(VALU_DEP_1)
	v_lshl_add_u64 v[64:65], v[62:63], 2, v[4:5]
	s_clause 0x1
	global_load_b32 v63, v[64:65], off
	global_load_b32 v67, v[4:5], off offset:104
	s_wait_loadcnt 0x1
	global_store_b32 v[4:5], v63, off offset:104
	s_wait_loadcnt 0x0
	global_store_b32 v[64:65], v67, off
.LBB52_560:
	s_wait_xcnt 0x0
	s_or_b32 exec_lo, exec_lo, s2
	v_dual_mov_b32 v68, v62 :: v_dual_mov_b32 v67, v62
.LBB52_561:
	s_or_b32 exec_lo, exec_lo, s1
	s_delay_alu instid0(VALU_DEP_1)
	v_mov_b32_e32 v64, v68
.LBB52_562:
	s_or_b32 exec_lo, exec_lo, s0
	s_delay_alu instid0(VALU_DEP_1)
	v_ashrrev_i32_e32 v65, 31, v64
	s_mov_b32 s0, exec_lo
	s_wait_storecnt 0x0
	s_barrier_signal -1
	s_barrier_wait -1
	s_barrier_signal -1
	s_barrier_wait -1
	v_cmpx_gt_i32_e32 27, v64
	s_cbranch_execz .LBB52_564
; %bb.563:
	v_mul_u64_e32 v[4:5], s[10:11], v[2:3]
	v_add3_u32 v62, v67, s3, 1
	s_delay_alu instid0(VALU_DEP_2) | instskip(NEXT) | instid1(VALU_DEP_1)
	v_lshl_add_u64 v[4:5], v[4:5], 2, s[6:7]
	v_lshl_add_u64 v[4:5], s[8:9], 2, v[4:5]
	s_delay_alu instid0(VALU_DEP_1)
	v_lshl_add_u64 v[4:5], v[64:65], 2, v[4:5]
	global_store_b32 v[4:5], v62, off
.LBB52_564:
	s_wait_xcnt 0x0
	s_or_b32 exec_lo, exec_lo, s0
	s_delay_alu instid0(SALU_CYCLE_1)
	s_mov_b32 s1, exec_lo
	v_cmpx_eq_u32_e32 0, v64
	s_cbranch_execz .LBB52_567
; %bb.565:
	s_wait_kmcnt 0x0
	v_lshl_add_u64 v[2:3], v[2:3], 2, s[4:5]
	v_cmp_ne_u32_e64 s0, 0, v66
	global_load_b32 v4, v[2:3], off
	s_wait_loadcnt 0x0
	v_cmp_eq_u32_e32 vcc_lo, 0, v4
	s_and_b32 s0, vcc_lo, s0
	s_wait_xcnt 0x0
	s_and_b32 exec_lo, exec_lo, s0
	s_cbranch_execz .LBB52_567
; %bb.566:
	v_add_nc_u32_e32 v4, s3, v66
	global_store_b32 v[2:3], v4, off
.LBB52_567:
	s_wait_xcnt 0x0
	s_or_b32 exec_lo, exec_lo, s1
	v_add3_u32 v2, s12, s12, v64
	v_pk_mul_f32 v[70:71], v[60:61], v[58:59] op_sel:[1,1] op_sel_hi:[0,1]
	v_cmp_lt_i32_e32 vcc_lo, 26, v64
	v_lshl_add_u64 v[64:65], v[64:65], 3, v[0:1]
	s_delay_alu instid0(VALU_DEP_4) | instskip(NEXT) | instid1(VALU_DEP_4)
	v_add_nc_u32_e32 v4, s12, v2
	v_pk_fma_f32 v[74:75], v[60:61], v[58:59], v[70:71] op_sel_hi:[1,0,1]
	v_pk_fma_f32 v[60:61], v[60:61], v[58:59], v[70:71] neg_lo:[0,0,1] neg_hi:[0,0,1]
	global_store_b64 v[64:65], v[56:57], off
	s_wait_xcnt 0x0
	v_lshl_add_u64 v[56:57], s[12:13], 3, v[64:65]
	v_dual_cndmask_b32 v59, v59, v75 :: v_dual_add_nc_u32 v62, s12, v4
	v_dual_cndmask_b32 v58, v58, v60 :: v_dual_ashrrev_i32 v3, 31, v2
	global_store_b64 v[56:57], v[54:55], off
	v_add_nc_u32_e32 v66, s12, v62
	v_lshl_add_u64 v[2:3], v[2:3], 3, v[0:1]
	s_delay_alu instid0(VALU_DEP_2) | instskip(NEXT) | instid1(VALU_DEP_1)
	v_add_nc_u32_e32 v68, s12, v66
	v_dual_ashrrev_i32 v63, 31, v62 :: v_dual_add_nc_u32 v72, s12, v68
	v_ashrrev_i32_e32 v5, 31, v4
	s_delay_alu instid0(VALU_DEP_2) | instskip(SKIP_1) | instid1(VALU_DEP_4)
	v_lshl_add_u64 v[62:63], v[62:63], 3, v[0:1]
	v_ashrrev_i32_e32 v69, 31, v68
	v_add_nc_u32_e32 v70, s12, v72
	s_delay_alu instid0(VALU_DEP_4) | instskip(NEXT) | instid1(VALU_DEP_2)
	v_lshl_add_u64 v[4:5], v[4:5], 3, v[0:1]
	v_dual_ashrrev_i32 v73, 31, v72 :: v_dual_add_nc_u32 v60, s12, v70
	s_delay_alu instid0(VALU_DEP_1) | instskip(SKIP_1) | instid1(VALU_DEP_1)
	v_add_nc_u32_e32 v64, s12, v60
	s_wait_xcnt 0x0
	v_dual_add_nc_u32 v54, s12, v64 :: v_dual_ashrrev_i32 v71, 31, v70
	s_delay_alu instid0(VALU_DEP_1) | instskip(SKIP_1) | instid1(VALU_DEP_2)
	v_dual_ashrrev_i32 v61, 31, v60 :: v_dual_add_nc_u32 v56, s12, v54
	v_ashrrev_i32_e32 v67, 31, v66
	v_dual_ashrrev_i32 v55, 31, v54 :: v_dual_add_nc_u32 v74, s12, v56
	s_delay_alu instid0(VALU_DEP_2)
	v_lshl_add_u64 v[66:67], v[66:67], 3, v[0:1]
	s_clause 0x3
	global_store_b64 v[2:3], v[40:41], off
	global_store_b64 v[4:5], v[38:39], off
	;; [unrolled: 1-line block ×4, first 2 shown]
	s_wait_xcnt 0x0
	v_lshl_add_u64 v[14:15], v[68:69], 3, v[0:1]
	v_add_nc_u32_e32 v2, s12, v74
	v_lshl_add_u64 v[40:41], v[60:61], 3, v[0:1]
	v_lshl_add_u64 v[16:17], v[72:73], 3, v[0:1]
	;; [unrolled: 1-line block ×3, first 2 shown]
	s_clause 0x3
	global_store_b64 v[14:15], v[8:9], off
	global_store_b64 v[16:17], v[6:7], off
	global_store_b64 v[38:39], v[28:29], off
	global_store_b64 v[40:41], v[24:25], off
	v_dual_add_nc_u32 v4, s12, v2 :: v_dual_ashrrev_i32 v65, 31, v64
	v_ashrrev_i32_e32 v75, 31, v74
	s_wait_xcnt 0x2
	v_lshl_add_u64 v[16:17], v[54:55], 3, v[0:1]
	s_delay_alu instid0(VALU_DEP_3) | instskip(SKIP_3) | instid1(VALU_DEP_3)
	v_dual_ashrrev_i32 v3, 31, v2 :: v_dual_add_nc_u32 v60, s12, v4
	v_lshl_add_u64 v[14:15], v[64:65], 3, v[0:1]
	s_wait_xcnt 0x1
	v_lshl_add_u64 v[28:29], v[74:75], 3, v[0:1]
	v_lshl_add_u64 v[2:3], v[2:3], 3, v[0:1]
	v_add_nc_u32_e32 v6, s12, v60
	v_ashrrev_i32_e32 v57, 31, v56
	v_ashrrev_i32_e32 v5, 31, v4
	s_delay_alu instid0(VALU_DEP_3)
	v_dual_ashrrev_i32 v61, 31, v60 :: v_dual_ashrrev_i32 v7, 31, v6
	v_add_nc_u32_e32 v8, s12, v6
	s_wait_xcnt 0x0
	v_lshl_add_u64 v[24:25], v[56:57], 3, v[0:1]
	s_clause 0x3
	global_store_b64 v[14:15], v[12:13], off
	global_store_b64 v[16:17], v[10:11], off
	;; [unrolled: 1-line block ×4, first 2 shown]
	v_add_nc_u32_e32 v38, s12, v8
	s_wait_xcnt 0x3
	v_lshl_add_u64 v[14:15], v[60:61], 3, v[0:1]
	v_lshl_add_u64 v[6:7], v[6:7], 3, v[0:1]
	;; [unrolled: 1-line block ×3, first 2 shown]
	s_clause 0x3
	global_store_b64 v[2:3], v[20:21], off
	global_store_b64 v[4:5], v[18:19], off
	;; [unrolled: 1-line block ×4, first 2 shown]
	s_wait_xcnt 0x6
	v_dual_add_nc_u32 v10, s12, v38 :: v_dual_ashrrev_i32 v9, 31, v8
	v_ashrrev_i32_e32 v39, 31, v38
	s_delay_alu instid0(VALU_DEP_2) | instskip(SKIP_1) | instid1(VALU_DEP_3)
	v_dual_add_nc_u32 v12, s12, v10 :: v_dual_ashrrev_i32 v11, 31, v10
	s_wait_xcnt 0x0
	v_lshl_add_u64 v[6:7], v[8:9], 3, v[0:1]
	s_delay_alu instid0(VALU_DEP_3) | instskip(NEXT) | instid1(VALU_DEP_3)
	v_lshl_add_u64 v[8:9], v[38:39], 3, v[0:1]
	v_add_nc_u32_e32 v16, s12, v12
	v_lshl_add_u64 v[10:11], v[10:11], 3, v[0:1]
	s_delay_alu instid0(VALU_DEP_2) | instskip(SKIP_1) | instid1(VALU_DEP_2)
	v_add_nc_u32_e32 v2, s12, v16
	v_ashrrev_i32_e32 v13, 31, v12
	v_dual_ashrrev_i32 v17, 31, v16 :: v_dual_add_nc_u32 v4, s12, v2
	s_delay_alu instid0(VALU_DEP_2)
	v_lshl_add_u64 v[12:13], v[12:13], 3, v[0:1]
	s_clause 0x3
	global_store_b64 v[6:7], v[26:27], off
	global_store_b64 v[8:9], v[22:23], off
	global_store_b64 v[10:11], v[44:45], off
	global_store_b64 v[12:13], v[42:43], off
	v_dual_ashrrev_i32 v3, 31, v2 :: v_dual_add_nc_u32 v14, s12, v4
	v_ashrrev_i32_e32 v5, 31, v4
	s_wait_xcnt 0x2
	v_lshl_add_u64 v[8:9], v[16:17], 3, v[0:1]
	s_delay_alu instid0(VALU_DEP_3) | instskip(SKIP_2) | instid1(VALU_DEP_2)
	v_lshl_add_u64 v[2:3], v[2:3], 3, v[0:1]
	v_dual_add_nc_u32 v6, s12, v14 :: v_dual_ashrrev_i32 v15, 31, v14
	v_lshl_add_u64 v[4:5], v[4:5], 3, v[0:1]
	v_ashrrev_i32_e32 v7, 31, v6
	s_wait_xcnt 0x1
	s_delay_alu instid0(VALU_DEP_3) | instskip(NEXT) | instid1(VALU_DEP_2)
	v_lshl_add_u64 v[10:11], v[14:15], 3, v[0:1]
	v_lshl_add_u64 v[0:1], v[6:7], 3, v[0:1]
	s_clause 0x4
	global_store_b64 v[8:9], v[32:33], off
	global_store_b64 v[2:3], v[30:31], off
	;; [unrolled: 1-line block ×5, first 2 shown]
.LBB52_568:
	s_sendmsg sendmsg(MSG_DEALLOC_VGPRS)
	s_endpgm
	.section	.rodata,"a",@progbits
	.p2align	6, 0x0
	.amdhsa_kernel _ZN9rocsolver6v33100L18getf2_small_kernelILi27E19rocblas_complex_numIfEiiPS3_EEvT1_T3_lS5_lPS5_llPT2_S5_S5_S7_l
		.amdhsa_group_segment_fixed_size 0
		.amdhsa_private_segment_fixed_size 0
		.amdhsa_kernarg_size 352
		.amdhsa_user_sgpr_count 2
		.amdhsa_user_sgpr_dispatch_ptr 0
		.amdhsa_user_sgpr_queue_ptr 0
		.amdhsa_user_sgpr_kernarg_segment_ptr 1
		.amdhsa_user_sgpr_dispatch_id 0
		.amdhsa_user_sgpr_kernarg_preload_length 0
		.amdhsa_user_sgpr_kernarg_preload_offset 0
		.amdhsa_user_sgpr_private_segment_size 0
		.amdhsa_wavefront_size32 1
		.amdhsa_uses_dynamic_stack 0
		.amdhsa_enable_private_segment 0
		.amdhsa_system_sgpr_workgroup_id_x 1
		.amdhsa_system_sgpr_workgroup_id_y 1
		.amdhsa_system_sgpr_workgroup_id_z 0
		.amdhsa_system_sgpr_workgroup_info 0
		.amdhsa_system_vgpr_workitem_id 1
		.amdhsa_next_free_vgpr 80
		.amdhsa_next_free_sgpr 20
		.amdhsa_named_barrier_count 0
		.amdhsa_reserve_vcc 1
		.amdhsa_float_round_mode_32 0
		.amdhsa_float_round_mode_16_64 0
		.amdhsa_float_denorm_mode_32 3
		.amdhsa_float_denorm_mode_16_64 3
		.amdhsa_fp16_overflow 0
		.amdhsa_memory_ordered 1
		.amdhsa_forward_progress 1
		.amdhsa_inst_pref_size 255
		.amdhsa_round_robin_scheduling 0
		.amdhsa_exception_fp_ieee_invalid_op 0
		.amdhsa_exception_fp_denorm_src 0
		.amdhsa_exception_fp_ieee_div_zero 0
		.amdhsa_exception_fp_ieee_overflow 0
		.amdhsa_exception_fp_ieee_underflow 0
		.amdhsa_exception_fp_ieee_inexact 0
		.amdhsa_exception_int_div_zero 0
	.end_amdhsa_kernel
	.section	.text._ZN9rocsolver6v33100L18getf2_small_kernelILi27E19rocblas_complex_numIfEiiPS3_EEvT1_T3_lS5_lPS5_llPT2_S5_S5_S7_l,"axG",@progbits,_ZN9rocsolver6v33100L18getf2_small_kernelILi27E19rocblas_complex_numIfEiiPS3_EEvT1_T3_lS5_lPS5_llPT2_S5_S5_S7_l,comdat
.Lfunc_end52:
	.size	_ZN9rocsolver6v33100L18getf2_small_kernelILi27E19rocblas_complex_numIfEiiPS3_EEvT1_T3_lS5_lPS5_llPT2_S5_S5_S7_l, .Lfunc_end52-_ZN9rocsolver6v33100L18getf2_small_kernelILi27E19rocblas_complex_numIfEiiPS3_EEvT1_T3_lS5_lPS5_llPT2_S5_S5_S7_l
                                        ; -- End function
	.set _ZN9rocsolver6v33100L18getf2_small_kernelILi27E19rocblas_complex_numIfEiiPS3_EEvT1_T3_lS5_lPS5_llPT2_S5_S5_S7_l.num_vgpr, 80
	.set _ZN9rocsolver6v33100L18getf2_small_kernelILi27E19rocblas_complex_numIfEiiPS3_EEvT1_T3_lS5_lPS5_llPT2_S5_S5_S7_l.num_agpr, 0
	.set _ZN9rocsolver6v33100L18getf2_small_kernelILi27E19rocblas_complex_numIfEiiPS3_EEvT1_T3_lS5_lPS5_llPT2_S5_S5_S7_l.numbered_sgpr, 20
	.set _ZN9rocsolver6v33100L18getf2_small_kernelILi27E19rocblas_complex_numIfEiiPS3_EEvT1_T3_lS5_lPS5_llPT2_S5_S5_S7_l.num_named_barrier, 0
	.set _ZN9rocsolver6v33100L18getf2_small_kernelILi27E19rocblas_complex_numIfEiiPS3_EEvT1_T3_lS5_lPS5_llPT2_S5_S5_S7_l.private_seg_size, 0
	.set _ZN9rocsolver6v33100L18getf2_small_kernelILi27E19rocblas_complex_numIfEiiPS3_EEvT1_T3_lS5_lPS5_llPT2_S5_S5_S7_l.uses_vcc, 1
	.set _ZN9rocsolver6v33100L18getf2_small_kernelILi27E19rocblas_complex_numIfEiiPS3_EEvT1_T3_lS5_lPS5_llPT2_S5_S5_S7_l.uses_flat_scratch, 0
	.set _ZN9rocsolver6v33100L18getf2_small_kernelILi27E19rocblas_complex_numIfEiiPS3_EEvT1_T3_lS5_lPS5_llPT2_S5_S5_S7_l.has_dyn_sized_stack, 0
	.set _ZN9rocsolver6v33100L18getf2_small_kernelILi27E19rocblas_complex_numIfEiiPS3_EEvT1_T3_lS5_lPS5_llPT2_S5_S5_S7_l.has_recursion, 0
	.set _ZN9rocsolver6v33100L18getf2_small_kernelILi27E19rocblas_complex_numIfEiiPS3_EEvT1_T3_lS5_lPS5_llPT2_S5_S5_S7_l.has_indirect_call, 0
	.section	.AMDGPU.csdata,"",@progbits
; Kernel info:
; codeLenInByte = 47764
; TotalNumSgprs: 22
; NumVgprs: 80
; ScratchSize: 0
; MemoryBound: 0
; FloatMode: 240
; IeeeMode: 1
; LDSByteSize: 0 bytes/workgroup (compile time only)
; SGPRBlocks: 0
; VGPRBlocks: 4
; NumSGPRsForWavesPerEU: 22
; NumVGPRsForWavesPerEU: 80
; NamedBarCnt: 0
; Occupancy: 12
; WaveLimiterHint : 0
; COMPUTE_PGM_RSRC2:SCRATCH_EN: 0
; COMPUTE_PGM_RSRC2:USER_SGPR: 2
; COMPUTE_PGM_RSRC2:TRAP_HANDLER: 0
; COMPUTE_PGM_RSRC2:TGID_X_EN: 1
; COMPUTE_PGM_RSRC2:TGID_Y_EN: 1
; COMPUTE_PGM_RSRC2:TGID_Z_EN: 0
; COMPUTE_PGM_RSRC2:TIDIG_COMP_CNT: 1
	.section	.text._ZN9rocsolver6v33100L23getf2_npvt_small_kernelILi27E19rocblas_complex_numIfEiiPS3_EEvT1_T3_lS5_lPT2_S5_S5_,"axG",@progbits,_ZN9rocsolver6v33100L23getf2_npvt_small_kernelILi27E19rocblas_complex_numIfEiiPS3_EEvT1_T3_lS5_lPT2_S5_S5_,comdat
	.globl	_ZN9rocsolver6v33100L23getf2_npvt_small_kernelILi27E19rocblas_complex_numIfEiiPS3_EEvT1_T3_lS5_lPT2_S5_S5_ ; -- Begin function _ZN9rocsolver6v33100L23getf2_npvt_small_kernelILi27E19rocblas_complex_numIfEiiPS3_EEvT1_T3_lS5_lPT2_S5_S5_
	.p2align	8
	.type	_ZN9rocsolver6v33100L23getf2_npvt_small_kernelILi27E19rocblas_complex_numIfEiiPS3_EEvT1_T3_lS5_lPT2_S5_S5_,@function
_ZN9rocsolver6v33100L23getf2_npvt_small_kernelILi27E19rocblas_complex_numIfEiiPS3_EEvT1_T3_lS5_lPT2_S5_S5_: ; @_ZN9rocsolver6v33100L23getf2_npvt_small_kernelILi27E19rocblas_complex_numIfEiiPS3_EEvT1_T3_lS5_lPT2_S5_S5_
; %bb.0:
	s_clause 0x1
	s_load_u16 s14, s[0:1], 0x46
	s_load_b64 s[2:3], s[0:1], 0x30
	s_bfe_u32 s4, ttmp6, 0x40010
	s_bfe_u32 s5, ttmp6, 0x40004
	s_add_co_i32 s4, s4, 1
	s_getreg_b32 s6, hwreg(HW_REG_IB_STS2, 6, 4)
	s_mul_i32 s4, ttmp7, s4
	v_bfe_u32 v110, v0, 10, 10
	s_add_co_i32 s5, s5, s4
	s_cmp_eq_u32 s6, 0
	s_cselect_b32 s4, ttmp7, s5
	s_wait_kmcnt 0x0
	v_mad_u32 v2, s4, s14, v110
	s_delay_alu instid0(VALU_DEP_1)
	v_cmp_gt_i32_e32 vcc_lo, s2, v2
	s_and_saveexec_b32 s2, vcc_lo
	s_cbranch_execz .LBB53_246
; %bb.1:
	s_load_b32 s12, s[0:1], 0x18
	v_and_b32_e32 v164, 0x3ff, v0
	s_clause 0x1
	s_load_b128 s[4:7], s[0:1], 0x20
	s_load_b128 s[8:11], s[0:1], 0x8
	v_lshlrev_b32_e32 v111, 3, v110
	s_mulk_i32 s14, 0xd8
	v_mad_u32_u24 v166, 0xd8, v110, 0
	s_wait_xcnt 0x0
	v_cmp_ne_u32_e64 s1, 0, v164
	v_cmp_eq_u32_e64 s0, 0, v164
	v_add3_u32 v165, 0, s14, v111
	v_dual_ashrrev_i32 v3, 31, v2 :: v_dual_mov_b32 v9, 0
	s_wait_kmcnt 0x0
	v_add3_u32 v0, s12, s12, v164
	s_delay_alu instid0(VALU_DEP_2) | instskip(SKIP_1) | instid1(VALU_DEP_2)
	v_mul_u64_e32 v[4:5], s[4:5], v[2:3]
	s_ashr_i32 s13, s12, 31
	v_dual_add_nc_u32 v6, s12, v0 :: v_dual_ashrrev_i32 v1, 31, v0
	s_delay_alu instid0(VALU_DEP_1) | instskip(NEXT) | instid1(VALU_DEP_1)
	v_dual_ashrrev_i32 v7, 31, v6 :: v_dual_add_nc_u32 v10, s12, v6
	v_add_nc_u32_e32 v12, s12, v10
	s_delay_alu instid0(VALU_DEP_1) | instskip(NEXT) | instid1(VALU_DEP_1)
	v_add_nc_u32_e32 v14, s12, v12
	v_dual_add_nc_u32 v16, s12, v14 :: v_dual_ashrrev_i32 v15, 31, v14
	s_delay_alu instid0(VALU_DEP_1) | instskip(SKIP_2) | instid1(VALU_DEP_3)
	v_add_nc_u32_e32 v20, s12, v16
	v_ashrrev_i32_e32 v13, 31, v12
	v_lshl_add_u64 v[4:5], v[4:5], 3, s[8:9]
	v_add_nc_u32_e32 v22, s12, v20
	v_ashrrev_i32_e32 v17, 31, v16
	s_delay_alu instid0(VALU_DEP_3) | instskip(NEXT) | instid1(VALU_DEP_3)
	v_lshl_add_u64 v[84:85], s[10:11], 3, v[4:5]
	v_dual_add_nc_u32 v30, s12, v22 :: v_dual_lshlrev_b32 v8, 3, v164
	v_dual_ashrrev_i32 v21, 31, v20 :: v_dual_ashrrev_i32 v23, 31, v22
	s_delay_alu instid0(VALU_DEP_3) | instskip(NEXT) | instid1(VALU_DEP_3)
	v_lshl_add_u64 v[4:5], v[0:1], 3, v[84:85]
	v_add_nc_u32_e32 v32, s12, v30
	v_ashrrev_i32_e32 v11, 31, v10
	v_add_nc_u64_e32 v[18:19], v[84:85], v[8:9]
	v_ashrrev_i32_e32 v31, 31, v30
	v_lshl_add_u64 v[8:9], v[6:7], 3, v[84:85]
	v_add_nc_u32_e32 v36, s12, v32
	v_lshl_add_u64 v[10:11], v[10:11], 3, v[84:85]
	v_lshl_add_u64 v[6:7], v[14:15], 3, v[84:85]
	v_lshl_add_u64 v[14:15], v[20:21], 3, v[84:85]
	v_lshl_add_u64 v[20:21], v[30:31], 3, v[84:85]
	v_add_nc_u32_e32 v44, s12, v36
	v_lshl_add_u64 v[0:1], v[12:13], 3, v[84:85]
	v_lshl_add_u64 v[12:13], v[16:17], 3, v[84:85]
	;; [unrolled: 1-line block ×4, first 2 shown]
	v_add_nc_u32_e32 v50, s12, v44
	s_clause 0x7
	global_load_b64 v[28:29], v[10:11], off
	global_load_b64 v[24:25], v[0:1], off
	;; [unrolled: 1-line block ×8, first 2 shown]
	v_add_nc_u32_e32 v52, s12, v50
	s_delay_alu instid0(VALU_DEP_1) | instskip(NEXT) | instid1(VALU_DEP_1)
	v_add_nc_u32_e32 v54, s12, v52
	v_dual_add_nc_u32 v68, s12, v54 :: v_dual_ashrrev_i32 v33, 31, v32
	s_delay_alu instid0(VALU_DEP_1) | instskip(NEXT) | instid1(VALU_DEP_2)
	v_dual_ashrrev_i32 v51, 31, v50 :: v_dual_add_nc_u32 v70, s12, v68
	v_lshl_add_u64 v[30:31], v[32:33], 3, v[84:85]
	s_delay_alu instid0(VALU_DEP_2) | instskip(NEXT) | instid1(VALU_DEP_3)
	v_lshl_add_u64 v[50:51], v[50:51], 3, v[84:85]
	v_dual_add_nc_u32 v72, s12, v70 :: v_dual_ashrrev_i32 v37, 31, v36
	s_delay_alu instid0(VALU_DEP_1) | instskip(NEXT) | instid1(VALU_DEP_2)
	v_dual_ashrrev_i32 v55, 31, v54 :: v_dual_add_nc_u32 v74, s12, v72
	v_lshl_add_u64 v[32:33], v[36:37], 3, v[84:85]
	s_delay_alu instid0(VALU_DEP_2)
	v_lshl_add_u64 v[54:55], v[54:55], 3, v[84:85]
	s_clause 0x3
	global_load_b64 v[42:43], v[14:15], off
	global_load_b64 v[38:39], v[16:17], off
	;; [unrolled: 1-line block ×4, first 2 shown]
	v_add_nc_u32_e32 v76, s12, v74
	v_dual_ashrrev_i32 v71, 31, v70 :: v_dual_ashrrev_i32 v53, 31, v52
	s_delay_alu instid0(VALU_DEP_2) | instskip(SKIP_3) | instid1(VALU_DEP_4)
	v_dual_ashrrev_i32 v75, 31, v74 :: v_dual_add_nc_u32 v86, s12, v76
	v_ashrrev_i32_e32 v77, 31, v76
	v_ashrrev_i32_e32 v45, 31, v44
	;; [unrolled: 1-line block ×3, first 2 shown]
	v_lshl_add_u64 v[74:75], v[74:75], 3, v[84:85]
	v_dual_add_nc_u32 v88, s12, v86 :: v_dual_ashrrev_i32 v87, 31, v86
	s_delay_alu instid0(VALU_DEP_4) | instskip(SKIP_2) | instid1(VALU_DEP_4)
	v_lshl_add_u64 v[44:45], v[44:45], 3, v[84:85]
	v_lshl_add_u64 v[76:77], v[76:77], 3, v[84:85]
	;; [unrolled: 1-line block ×3, first 2 shown]
	v_dual_add_nc_u32 v90, s12, v88 :: v_dual_ashrrev_i32 v89, 31, v88
	v_ashrrev_i32_e32 v69, 31, v68
	v_lshl_add_u64 v[86:87], v[86:87], 3, v[84:85]
	v_lshl_add_u64 v[52:53], v[52:53], 3, v[84:85]
	s_delay_alu instid0(VALU_DEP_4) | instskip(SKIP_3) | instid1(VALU_DEP_4)
	v_add_nc_u32_e32 v92, s12, v90
	v_lshl_add_u64 v[72:73], v[72:73], 3, v[84:85]
	v_lshl_add_u64 v[68:69], v[68:69], 3, v[84:85]
	v_lshl_add_u64 v[88:89], v[88:89], 3, v[84:85]
	v_dual_ashrrev_i32 v91, 31, v90 :: v_dual_add_nc_u32 v94, s12, v92
	v_ashrrev_i32_e32 v93, 31, v92
	s_clause 0x7
	global_load_b64 v[66:67], v[32:33], off
	global_load_b64 v[62:63], v[44:45], off
	;; [unrolled: 1-line block ×8, first 2 shown]
	v_lshl_add_u64 v[90:91], v[90:91], 3, v[84:85]
	v_ashrrev_i32_e32 v95, 31, v94
	v_lshl_add_u64 v[92:93], v[92:93], 3, v[84:85]
	s_delay_alu instid0(VALU_DEP_2)
	v_lshl_add_u64 v[84:85], v[94:95], 3, v[84:85]
	s_clause 0x6
	global_load_b64 v[98:99], v[74:75], off
	global_load_b64 v[94:95], v[76:77], off
	;; [unrolled: 1-line block ×7, first 2 shown]
	s_wait_xcnt 0x0
	s_and_saveexec_b32 s4, s0
	s_cbranch_execz .LBB53_8
; %bb.2:
	s_wait_loadcnt 0x16
	ds_store_b64 v165, v[56:57]
	s_wait_loadcnt 0x14
	ds_store_2addr_b64 v166, v[58:59], v[48:49] offset0:1 offset1:2
	s_wait_loadcnt 0x13
	ds_store_2addr_b64 v166, v[46:47], v[28:29] offset0:3 offset1:4
	ds_store_2addr_b64 v166, v[24:25], v[26:27] offset0:5 offset1:6
	s_wait_loadcnt 0x12
	ds_store_2addr_b64 v166, v[22:23], v[42:43] offset0:7 offset1:8
	s_wait_loadcnt 0x10
	;; [unrolled: 2-line block ×10, first 2 shown]
	ds_store_2addr_b64 v166, v[100:101], v[108:109] offset0:25 offset1:26
	ds_load_b64 v[110:111], v165
	s_wait_dscnt 0x0
	v_cmp_neq_f32_e32 vcc_lo, 0, v110
	v_cmp_neq_f32_e64 s2, 0, v111
	s_or_b32 s2, vcc_lo, s2
	s_delay_alu instid0(SALU_CYCLE_1)
	s_and_b32 exec_lo, exec_lo, s2
	s_cbranch_execz .LBB53_8
; %bb.3:
	v_cmp_ngt_f32_e64 s2, |v110|, |v111|
                                        ; implicit-def: $vgpr112_vgpr113
	s_and_saveexec_b32 s5, s2
	s_delay_alu instid0(SALU_CYCLE_1)
	s_xor_b32 s2, exec_lo, s5
	s_cbranch_execz .LBB53_5
; %bb.4:
	v_div_scale_f32 v112, null, v111, v111, v110
	v_div_scale_f32 v115, vcc_lo, v110, v111, v110
	s_delay_alu instid0(VALU_DEP_2) | instskip(SKIP_1) | instid1(TRANS32_DEP_1)
	v_rcp_f32_e32 v113, v112
	v_nop
	v_fma_f32 v114, -v112, v113, 1.0
	s_delay_alu instid0(VALU_DEP_1) | instskip(NEXT) | instid1(VALU_DEP_1)
	v_fmac_f32_e32 v113, v114, v113
	v_mul_f32_e32 v114, v115, v113
	s_delay_alu instid0(VALU_DEP_1) | instskip(NEXT) | instid1(VALU_DEP_1)
	v_fma_f32 v116, -v112, v114, v115
	v_fmac_f32_e32 v114, v116, v113
	s_delay_alu instid0(VALU_DEP_1) | instskip(NEXT) | instid1(VALU_DEP_1)
	v_fma_f32 v112, -v112, v114, v115
	v_div_fmas_f32 v112, v112, v113, v114
	s_delay_alu instid0(VALU_DEP_1) | instskip(NEXT) | instid1(VALU_DEP_1)
	v_div_fixup_f32 v112, v112, v111, v110
	v_fmac_f32_e32 v111, v110, v112
	s_delay_alu instid0(VALU_DEP_1) | instskip(SKIP_1) | instid1(VALU_DEP_2)
	v_div_scale_f32 v110, null, v111, v111, 1.0
	v_div_scale_f32 v115, vcc_lo, 1.0, v111, 1.0
	v_rcp_f32_e32 v113, v110
	v_nop
	s_delay_alu instid0(TRANS32_DEP_1) | instskip(NEXT) | instid1(VALU_DEP_1)
	v_fma_f32 v114, -v110, v113, 1.0
	v_fmac_f32_e32 v113, v114, v113
	s_delay_alu instid0(VALU_DEP_1) | instskip(NEXT) | instid1(VALU_DEP_1)
	v_mul_f32_e32 v114, v115, v113
	v_fma_f32 v116, -v110, v114, v115
	s_delay_alu instid0(VALU_DEP_1) | instskip(NEXT) | instid1(VALU_DEP_1)
	v_fmac_f32_e32 v114, v116, v113
	v_fma_f32 v110, -v110, v114, v115
	s_delay_alu instid0(VALU_DEP_1) | instskip(NEXT) | instid1(VALU_DEP_1)
	v_div_fmas_f32 v110, v110, v113, v114
	v_div_fixup_f32 v110, v110, v111, 1.0
	s_delay_alu instid0(VALU_DEP_1)
	v_mul_f32_e32 v112, v112, v110
	v_xor_b32_e32 v113, 0x80000000, v110
                                        ; implicit-def: $vgpr110_vgpr111
.LBB53_5:
	s_and_not1_saveexec_b32 s2, s2
	s_cbranch_execz .LBB53_7
; %bb.6:
	v_div_scale_f32 v112, null, v110, v110, v111
	v_div_scale_f32 v115, vcc_lo, v111, v110, v111
	s_delay_alu instid0(VALU_DEP_2) | instskip(SKIP_1) | instid1(TRANS32_DEP_1)
	v_rcp_f32_e32 v113, v112
	v_nop
	v_fma_f32 v114, -v112, v113, 1.0
	s_delay_alu instid0(VALU_DEP_1) | instskip(NEXT) | instid1(VALU_DEP_1)
	v_fmac_f32_e32 v113, v114, v113
	v_mul_f32_e32 v114, v115, v113
	s_delay_alu instid0(VALU_DEP_1) | instskip(NEXT) | instid1(VALU_DEP_1)
	v_fma_f32 v116, -v112, v114, v115
	v_fmac_f32_e32 v114, v116, v113
	s_delay_alu instid0(VALU_DEP_1) | instskip(NEXT) | instid1(VALU_DEP_1)
	v_fma_f32 v112, -v112, v114, v115
	v_div_fmas_f32 v112, v112, v113, v114
	s_delay_alu instid0(VALU_DEP_1) | instskip(NEXT) | instid1(VALU_DEP_1)
	v_div_fixup_f32 v113, v112, v110, v111
	v_fmac_f32_e32 v110, v111, v113
	s_delay_alu instid0(VALU_DEP_1) | instskip(NEXT) | instid1(VALU_DEP_1)
	v_div_scale_f32 v111, null, v110, v110, 1.0
	v_rcp_f32_e32 v112, v111
	v_nop
	s_delay_alu instid0(TRANS32_DEP_1) | instskip(NEXT) | instid1(VALU_DEP_1)
	v_fma_f32 v114, -v111, v112, 1.0
	v_fmac_f32_e32 v112, v114, v112
	v_div_scale_f32 v114, vcc_lo, 1.0, v110, 1.0
	s_delay_alu instid0(VALU_DEP_1) | instskip(NEXT) | instid1(VALU_DEP_1)
	v_mul_f32_e32 v115, v114, v112
	v_fma_f32 v116, -v111, v115, v114
	s_delay_alu instid0(VALU_DEP_1) | instskip(NEXT) | instid1(VALU_DEP_1)
	v_fmac_f32_e32 v115, v116, v112
	v_fma_f32 v111, -v111, v115, v114
	s_delay_alu instid0(VALU_DEP_1) | instskip(NEXT) | instid1(VALU_DEP_1)
	v_div_fmas_f32 v111, v111, v112, v115
	v_div_fixup_f32 v112, v111, v110, 1.0
	s_delay_alu instid0(VALU_DEP_1)
	v_mul_f32_e64 v113, v113, -v112
.LBB53_7:
	s_or_b32 exec_lo, exec_lo, s2
	ds_store_b64 v165, v[112:113]
.LBB53_8:
	s_or_b32 exec_lo, exec_lo, s4
	s_wait_loadcnt_dscnt 0x0
	s_barrier_signal -1
	s_barrier_wait -1
	ds_load_b64 v[110:111], v165
	s_and_saveexec_b32 s2, s1
	s_cbranch_execz .LBB53_10
; %bb.9:
	ds_load_2addr_b64 v[116:119], v166 offset0:1 offset1:2
	s_wait_dscnt 0x1
	v_pk_mul_f32 v[114:115], v[110:111], v[56:57] op_sel:[1,1] op_sel_hi:[0,1]
	s_delay_alu instid0(VALU_DEP_1) | instskip(SKIP_1) | instid1(VALU_DEP_1)
	v_pk_fma_f32 v[112:113], v[110:111], v[56:57], v[114:115] op_sel_hi:[1,0,1] neg_lo:[0,0,1] neg_hi:[0,0,1]
	v_pk_fma_f32 v[114:115], v[110:111], v[56:57], v[114:115] op_sel_hi:[1,0,1]
	v_dual_mov_b32 v56, v112 :: v_dual_mov_b32 v57, v115
	s_wait_dscnt 0x0
	s_delay_alu instid0(VALU_DEP_2) | instskip(NEXT) | instid1(VALU_DEP_1)
	v_pk_mul_f32 v[120:121], v[116:117], v[114:115] op_sel:[0,1]
	v_pk_fma_f32 v[122:123], v[116:117], v[112:113], v[120:121] op_sel:[0,0,1] op_sel_hi:[1,1,0] neg_lo:[0,0,1] neg_hi:[0,0,1]
	v_pk_fma_f32 v[116:117], v[116:117], v[112:113], v[120:121] op_sel:[0,0,1] op_sel_hi:[1,0,0]
	s_delay_alu instid0(VALU_DEP_1) | instskip(SKIP_1) | instid1(VALU_DEP_1)
	v_mov_b32_e32 v123, v117
	v_pk_mul_f32 v[116:117], v[118:119], v[114:115] op_sel:[0,1]
	v_pk_fma_f32 v[120:121], v[118:119], v[112:113], v[116:117] op_sel:[0,0,1] op_sel_hi:[1,1,0] neg_lo:[0,0,1] neg_hi:[0,0,1]
	v_pk_fma_f32 v[116:117], v[118:119], v[112:113], v[116:117] op_sel:[0,0,1] op_sel_hi:[1,0,0]
	s_delay_alu instid0(VALU_DEP_1)
	v_mov_b32_e32 v121, v117
	ds_load_2addr_b64 v[116:119], v166 offset0:3 offset1:4
	v_pk_add_f32 v[58:59], v[58:59], v[122:123] neg_lo:[0,1] neg_hi:[0,1]
	v_pk_add_f32 v[48:49], v[48:49], v[120:121] neg_lo:[0,1] neg_hi:[0,1]
	s_wait_dscnt 0x0
	v_pk_mul_f32 v[120:121], v[116:117], v[114:115] op_sel:[0,1]
	s_delay_alu instid0(VALU_DEP_1) | instskip(SKIP_2) | instid1(VALU_DEP_2)
	v_pk_fma_f32 v[122:123], v[116:117], v[112:113], v[120:121] op_sel:[0,0,1] op_sel_hi:[1,1,0] neg_lo:[0,0,1] neg_hi:[0,0,1]
	v_pk_fma_f32 v[116:117], v[116:117], v[112:113], v[120:121] op_sel:[0,0,1] op_sel_hi:[1,0,0]
	v_dual_mul_f32 v120, v119, v115 :: v_dual_mov_b32 v116, v119
	v_dual_mov_b32 v123, v117 :: v_dual_mov_b32 v117, v118
	s_delay_alu instid0(VALU_DEP_2) | instskip(SKIP_1) | instid1(VALU_DEP_3)
	v_pk_fma_f32 v[120:121], v[118:119], v[56:57], v[120:121] op_sel_hi:[1,1,0] neg_lo:[0,0,1] neg_hi:[0,0,1]
	v_mul_f32_e32 v118, v119, v112
	v_pk_add_f32 v[46:47], v[46:47], v[122:123] neg_lo:[0,1] neg_hi:[0,1]
	s_delay_alu instid0(VALU_DEP_2) | instskip(NEXT) | instid1(VALU_DEP_1)
	v_pk_fma_f32 v[116:117], v[116:117], v[56:57], v[118:119] op_sel_hi:[1,1,0]
	v_mov_b32_e32 v121, v117
	ds_load_2addr_b64 v[116:119], v166 offset0:5 offset1:6
	v_pk_add_f32 v[28:29], v[28:29], v[120:121] neg_lo:[0,1] neg_hi:[0,1]
	s_wait_dscnt 0x0
	v_pk_mul_f32 v[120:121], v[116:117], v[114:115] op_sel:[0,1]
	s_delay_alu instid0(VALU_DEP_1) | instskip(SKIP_1) | instid1(VALU_DEP_1)
	v_pk_fma_f32 v[122:123], v[116:117], v[112:113], v[120:121] op_sel:[0,0,1] op_sel_hi:[1,1,0] neg_lo:[0,0,1] neg_hi:[0,0,1]
	v_pk_fma_f32 v[116:117], v[116:117], v[112:113], v[120:121] op_sel:[0,0,1] op_sel_hi:[1,0,0]
	v_mov_b32_e32 v123, v117
	v_pk_mul_f32 v[116:117], v[118:119], v[114:115] op_sel:[0,1]
	s_delay_alu instid0(VALU_DEP_1) | instskip(SKIP_1) | instid1(VALU_DEP_1)
	v_pk_fma_f32 v[120:121], v[118:119], v[112:113], v[116:117] op_sel:[0,0,1] op_sel_hi:[1,1,0] neg_lo:[0,0,1] neg_hi:[0,0,1]
	v_pk_fma_f32 v[116:117], v[118:119], v[112:113], v[116:117] op_sel:[0,0,1] op_sel_hi:[1,0,0]
	v_mov_b32_e32 v121, v117
	ds_load_2addr_b64 v[116:119], v166 offset0:7 offset1:8
	v_pk_add_f32 v[24:25], v[24:25], v[122:123] neg_lo:[0,1] neg_hi:[0,1]
	v_pk_add_f32 v[26:27], v[26:27], v[120:121] neg_lo:[0,1] neg_hi:[0,1]
	s_wait_dscnt 0x0
	v_pk_mul_f32 v[120:121], v[116:117], v[114:115] op_sel:[0,1]
	s_delay_alu instid0(VALU_DEP_1) | instskip(SKIP_1) | instid1(VALU_DEP_1)
	v_pk_fma_f32 v[122:123], v[116:117], v[112:113], v[120:121] op_sel:[0,0,1] op_sel_hi:[1,1,0] neg_lo:[0,0,1] neg_hi:[0,0,1]
	v_pk_fma_f32 v[116:117], v[116:117], v[112:113], v[120:121] op_sel:[0,0,1] op_sel_hi:[1,0,0]
	v_mov_b32_e32 v123, v117
	v_pk_mul_f32 v[116:117], v[118:119], v[114:115] op_sel:[0,1]
	s_delay_alu instid0(VALU_DEP_1) | instskip(SKIP_1) | instid1(VALU_DEP_1)
	v_pk_fma_f32 v[120:121], v[118:119], v[112:113], v[116:117] op_sel:[0,0,1] op_sel_hi:[1,1,0] neg_lo:[0,0,1] neg_hi:[0,0,1]
	v_pk_fma_f32 v[116:117], v[118:119], v[112:113], v[116:117] op_sel:[0,0,1] op_sel_hi:[1,0,0]
	v_mov_b32_e32 v121, v117
	ds_load_2addr_b64 v[116:119], v166 offset0:9 offset1:10
	v_pk_add_f32 v[22:23], v[22:23], v[122:123] neg_lo:[0,1] neg_hi:[0,1]
	v_pk_add_f32 v[42:43], v[42:43], v[120:121] neg_lo:[0,1] neg_hi:[0,1]
	s_wait_dscnt 0x0
	v_dual_mul_f32 v120, v117, v115 :: v_dual_mul_f32 v122, v117, v112
	s_delay_alu instid0(VALU_DEP_1) | instskip(NEXT) | instid1(VALU_DEP_2)
	v_pk_fma_f32 v[120:121], v[116:117], v[56:57], v[120:121] op_sel_hi:[1,1,0] neg_lo:[0,0,1] neg_hi:[0,0,1]
	v_pk_fma_f32 v[116:117], v[116:117], v[56:57], v[122:123] op_sel:[1,0,0] op_sel_hi:[0,1,0]
	s_delay_alu instid0(VALU_DEP_1) | instskip(SKIP_1) | instid1(VALU_DEP_2)
	v_mov_b32_e32 v121, v117
	v_pk_mul_f32 v[116:117], v[118:119], v[114:115] op_sel:[0,1]
	v_pk_add_f32 v[38:39], v[38:39], v[120:121] neg_lo:[0,1] neg_hi:[0,1]
	s_delay_alu instid0(VALU_DEP_2) | instskip(SKIP_1) | instid1(VALU_DEP_1)
	v_pk_fma_f32 v[120:121], v[118:119], v[112:113], v[116:117] op_sel:[0,0,1] op_sel_hi:[1,1,0] neg_lo:[0,0,1] neg_hi:[0,0,1]
	v_pk_fma_f32 v[116:117], v[118:119], v[112:113], v[116:117] op_sel:[0,0,1] op_sel_hi:[1,0,0]
	v_mov_b32_e32 v121, v117
	ds_load_2addr_b64 v[116:119], v166 offset0:11 offset1:12
	v_pk_add_f32 v[40:41], v[40:41], v[120:121] neg_lo:[0,1] neg_hi:[0,1]
	s_wait_dscnt 0x0
	v_pk_mul_f32 v[120:121], v[116:117], v[114:115] op_sel:[0,1]
	s_delay_alu instid0(VALU_DEP_1) | instskip(SKIP_1) | instid1(VALU_DEP_1)
	v_pk_fma_f32 v[122:123], v[116:117], v[112:113], v[120:121] op_sel:[0,0,1] op_sel_hi:[1,1,0] neg_lo:[0,0,1] neg_hi:[0,0,1]
	v_pk_fma_f32 v[116:117], v[116:117], v[112:113], v[120:121] op_sel:[0,0,1] op_sel_hi:[1,0,0]
	v_mov_b32_e32 v123, v117
	v_pk_mul_f32 v[116:117], v[118:119], v[114:115] op_sel:[0,1]
	s_delay_alu instid0(VALU_DEP_2) | instskip(NEXT) | instid1(VALU_DEP_2)
	v_pk_add_f32 v[36:37], v[36:37], v[122:123] neg_lo:[0,1] neg_hi:[0,1]
	v_pk_fma_f32 v[120:121], v[118:119], v[112:113], v[116:117] op_sel:[0,0,1] op_sel_hi:[1,1,0] neg_lo:[0,0,1] neg_hi:[0,0,1]
	v_pk_fma_f32 v[116:117], v[118:119], v[112:113], v[116:117] op_sel:[0,0,1] op_sel_hi:[1,0,0]
	s_delay_alu instid0(VALU_DEP_1) | instskip(SKIP_4) | instid1(VALU_DEP_1)
	v_mov_b32_e32 v121, v117
	ds_load_2addr_b64 v[116:119], v166 offset0:13 offset1:14
	v_pk_add_f32 v[66:67], v[66:67], v[120:121] neg_lo:[0,1] neg_hi:[0,1]
	s_wait_dscnt 0x0
	v_pk_mul_f32 v[120:121], v[116:117], v[114:115] op_sel:[0,1]
	v_pk_fma_f32 v[122:123], v[116:117], v[112:113], v[120:121] op_sel:[0,0,1] op_sel_hi:[1,1,0] neg_lo:[0,0,1] neg_hi:[0,0,1]
	v_pk_fma_f32 v[116:117], v[116:117], v[112:113], v[120:121] op_sel:[0,0,1] op_sel_hi:[1,0,0]
	v_dual_mul_f32 v120, v119, v115 :: v_dual_mov_b32 v116, v119
	s_delay_alu instid0(VALU_DEP_2) | instskip(NEXT) | instid1(VALU_DEP_2)
	v_dual_mov_b32 v123, v117 :: v_dual_mov_b32 v117, v118
	v_pk_fma_f32 v[120:121], v[118:119], v[56:57], v[120:121] op_sel_hi:[1,1,0] neg_lo:[0,0,1] neg_hi:[0,0,1]
	v_mul_f32_e32 v118, v119, v112
	s_delay_alu instid0(VALU_DEP_3) | instskip(NEXT) | instid1(VALU_DEP_2)
	v_pk_add_f32 v[62:63], v[62:63], v[122:123] neg_lo:[0,1] neg_hi:[0,1]
	v_pk_fma_f32 v[116:117], v[116:117], v[56:57], v[118:119] op_sel_hi:[1,1,0]
	s_delay_alu instid0(VALU_DEP_1) | instskip(SKIP_4) | instid1(VALU_DEP_1)
	v_mov_b32_e32 v121, v117
	ds_load_2addr_b64 v[116:119], v166 offset0:15 offset1:16
	v_pk_add_f32 v[64:65], v[64:65], v[120:121] neg_lo:[0,1] neg_hi:[0,1]
	s_wait_dscnt 0x0
	v_pk_mul_f32 v[120:121], v[116:117], v[114:115] op_sel:[0,1]
	v_pk_fma_f32 v[122:123], v[116:117], v[112:113], v[120:121] op_sel:[0,0,1] op_sel_hi:[1,1,0] neg_lo:[0,0,1] neg_hi:[0,0,1]
	v_pk_fma_f32 v[116:117], v[116:117], v[112:113], v[120:121] op_sel:[0,0,1] op_sel_hi:[1,0,0]
	s_delay_alu instid0(VALU_DEP_1) | instskip(SKIP_1) | instid1(VALU_DEP_1)
	v_mov_b32_e32 v123, v117
	v_pk_mul_f32 v[116:117], v[118:119], v[114:115] op_sel:[0,1]
	v_pk_fma_f32 v[120:121], v[118:119], v[112:113], v[116:117] op_sel:[0,0,1] op_sel_hi:[1,1,0] neg_lo:[0,0,1] neg_hi:[0,0,1]
	v_pk_fma_f32 v[116:117], v[118:119], v[112:113], v[116:117] op_sel:[0,0,1] op_sel_hi:[1,0,0]
	s_delay_alu instid0(VALU_DEP_1)
	v_mov_b32_e32 v121, v117
	ds_load_2addr_b64 v[116:119], v166 offset0:17 offset1:18
	v_pk_add_f32 v[60:61], v[60:61], v[122:123] neg_lo:[0,1] neg_hi:[0,1]
	v_pk_add_f32 v[82:83], v[82:83], v[120:121] neg_lo:[0,1] neg_hi:[0,1]
	s_wait_dscnt 0x0
	v_pk_mul_f32 v[120:121], v[116:117], v[114:115] op_sel:[0,1]
	s_delay_alu instid0(VALU_DEP_1) | instskip(SKIP_1) | instid1(VALU_DEP_1)
	v_pk_fma_f32 v[122:123], v[116:117], v[112:113], v[120:121] op_sel:[0,0,1] op_sel_hi:[1,1,0] neg_lo:[0,0,1] neg_hi:[0,0,1]
	v_pk_fma_f32 v[116:117], v[116:117], v[112:113], v[120:121] op_sel:[0,0,1] op_sel_hi:[1,0,0]
	v_mov_b32_e32 v123, v117
	v_pk_mul_f32 v[116:117], v[118:119], v[114:115] op_sel:[0,1]
	s_delay_alu instid0(VALU_DEP_1) | instskip(SKIP_1) | instid1(VALU_DEP_1)
	v_pk_fma_f32 v[120:121], v[118:119], v[112:113], v[116:117] op_sel:[0,0,1] op_sel_hi:[1,1,0] neg_lo:[0,0,1] neg_hi:[0,0,1]
	v_pk_fma_f32 v[116:117], v[118:119], v[112:113], v[116:117] op_sel:[0,0,1] op_sel_hi:[1,0,0]
	v_mov_b32_e32 v121, v117
	ds_load_2addr_b64 v[116:119], v166 offset0:19 offset1:20
	v_pk_add_f32 v[106:107], v[106:107], v[122:123] neg_lo:[0,1] neg_hi:[0,1]
	v_pk_add_f32 v[80:81], v[80:81], v[120:121] neg_lo:[0,1] neg_hi:[0,1]
	s_wait_dscnt 0x0
	v_dual_mul_f32 v120, v117, v115 :: v_dual_mul_f32 v122, v117, v112
	s_delay_alu instid0(VALU_DEP_1) | instskip(NEXT) | instid1(VALU_DEP_2)
	v_pk_fma_f32 v[120:121], v[116:117], v[56:57], v[120:121] op_sel_hi:[1,1,0] neg_lo:[0,0,1] neg_hi:[0,0,1]
	v_pk_fma_f32 v[116:117], v[116:117], v[56:57], v[122:123] op_sel:[1,0,0] op_sel_hi:[0,1,0]
	s_delay_alu instid0(VALU_DEP_1) | instskip(SKIP_1) | instid1(VALU_DEP_2)
	v_mov_b32_e32 v121, v117
	v_pk_mul_f32 v[116:117], v[118:119], v[114:115] op_sel:[0,1]
	v_pk_add_f32 v[78:79], v[78:79], v[120:121] neg_lo:[0,1] neg_hi:[0,1]
	s_delay_alu instid0(VALU_DEP_2) | instskip(SKIP_1) | instid1(VALU_DEP_1)
	v_pk_fma_f32 v[120:121], v[118:119], v[112:113], v[116:117] op_sel:[0,0,1] op_sel_hi:[1,1,0] neg_lo:[0,0,1] neg_hi:[0,0,1]
	v_pk_fma_f32 v[116:117], v[118:119], v[112:113], v[116:117] op_sel:[0,0,1] op_sel_hi:[1,0,0]
	v_mov_b32_e32 v121, v117
	ds_load_2addr_b64 v[116:119], v166 offset0:21 offset1:22
	v_pk_add_f32 v[98:99], v[98:99], v[120:121] neg_lo:[0,1] neg_hi:[0,1]
	s_wait_dscnt 0x0
	v_pk_mul_f32 v[120:121], v[116:117], v[114:115] op_sel:[0,1]
	s_delay_alu instid0(VALU_DEP_1) | instskip(SKIP_1) | instid1(VALU_DEP_1)
	v_pk_fma_f32 v[122:123], v[116:117], v[112:113], v[120:121] op_sel:[0,0,1] op_sel_hi:[1,1,0] neg_lo:[0,0,1] neg_hi:[0,0,1]
	v_pk_fma_f32 v[116:117], v[116:117], v[112:113], v[120:121] op_sel:[0,0,1] op_sel_hi:[1,0,0]
	v_mov_b32_e32 v123, v117
	v_pk_mul_f32 v[116:117], v[118:119], v[114:115] op_sel:[0,1]
	s_delay_alu instid0(VALU_DEP_2) | instskip(NEXT) | instid1(VALU_DEP_2)
	v_pk_add_f32 v[94:95], v[94:95], v[122:123] neg_lo:[0,1] neg_hi:[0,1]
	v_pk_fma_f32 v[120:121], v[118:119], v[112:113], v[116:117] op_sel:[0,0,1] op_sel_hi:[1,1,0] neg_lo:[0,0,1] neg_hi:[0,0,1]
	v_pk_fma_f32 v[116:117], v[118:119], v[112:113], v[116:117] op_sel:[0,0,1] op_sel_hi:[1,0,0]
	s_delay_alu instid0(VALU_DEP_1) | instskip(SKIP_4) | instid1(VALU_DEP_1)
	v_mov_b32_e32 v121, v117
	ds_load_2addr_b64 v[116:119], v166 offset0:23 offset1:24
	v_pk_add_f32 v[96:97], v[96:97], v[120:121] neg_lo:[0,1] neg_hi:[0,1]
	s_wait_dscnt 0x0
	v_pk_mul_f32 v[120:121], v[116:117], v[114:115] op_sel:[0,1]
	v_pk_fma_f32 v[122:123], v[116:117], v[112:113], v[120:121] op_sel:[0,0,1] op_sel_hi:[1,1,0] neg_lo:[0,0,1] neg_hi:[0,0,1]
	v_pk_fma_f32 v[116:117], v[116:117], v[112:113], v[120:121] op_sel:[0,0,1] op_sel_hi:[1,0,0]
	v_dual_mul_f32 v120, v119, v115 :: v_dual_mov_b32 v116, v119
	s_delay_alu instid0(VALU_DEP_2) | instskip(NEXT) | instid1(VALU_DEP_2)
	v_dual_mov_b32 v123, v117 :: v_dual_mov_b32 v117, v118
	v_pk_fma_f32 v[120:121], v[118:119], v[56:57], v[120:121] op_sel_hi:[1,1,0] neg_lo:[0,0,1] neg_hi:[0,0,1]
	v_mul_f32_e32 v118, v119, v112
	s_delay_alu instid0(VALU_DEP_3) | instskip(NEXT) | instid1(VALU_DEP_2)
	v_pk_add_f32 v[104:105], v[104:105], v[122:123] neg_lo:[0,1] neg_hi:[0,1]
	v_pk_fma_f32 v[116:117], v[116:117], v[56:57], v[118:119] op_sel_hi:[1,1,0]
	s_delay_alu instid0(VALU_DEP_1)
	v_mov_b32_e32 v121, v117
	ds_load_2addr_b64 v[116:119], v166 offset0:25 offset1:26
	v_pk_add_f32 v[102:103], v[102:103], v[120:121] neg_lo:[0,1] neg_hi:[0,1]
	s_wait_dscnt 0x0
	v_pk_mul_f32 v[120:121], v[116:117], v[114:115] op_sel:[0,1]
	v_pk_mul_f32 v[114:115], v[118:119], v[114:115] op_sel:[0,1]
	s_delay_alu instid0(VALU_DEP_2) | instskip(SKIP_1) | instid1(VALU_DEP_1)
	v_pk_fma_f32 v[122:123], v[116:117], v[112:113], v[120:121] op_sel:[0,0,1] op_sel_hi:[1,1,0] neg_lo:[0,0,1] neg_hi:[0,0,1]
	v_pk_fma_f32 v[116:117], v[116:117], v[112:113], v[120:121] op_sel:[0,0,1] op_sel_hi:[1,0,0]
	v_mov_b32_e32 v123, v117
	s_delay_alu instid0(VALU_DEP_4) | instskip(SKIP_1) | instid1(VALU_DEP_1)
	v_pk_fma_f32 v[116:117], v[118:119], v[112:113], v[114:115] op_sel:[0,0,1] op_sel_hi:[1,1,0] neg_lo:[0,0,1] neg_hi:[0,0,1]
	v_pk_fma_f32 v[112:113], v[118:119], v[112:113], v[114:115] op_sel:[0,0,1] op_sel_hi:[1,0,0]
	v_mov_b32_e32 v117, v113
	s_delay_alu instid0(VALU_DEP_4) | instskip(NEXT) | instid1(VALU_DEP_2)
	v_pk_add_f32 v[100:101], v[100:101], v[122:123] neg_lo:[0,1] neg_hi:[0,1]
	v_pk_add_f32 v[108:109], v[108:109], v[116:117] neg_lo:[0,1] neg_hi:[0,1]
.LBB53_10:
	s_or_b32 exec_lo, exec_lo, s2
	s_delay_alu instid0(SALU_CYCLE_1)
	s_mov_b32 s2, exec_lo
	s_wait_dscnt 0x0
	s_barrier_signal -1
	s_barrier_wait -1
	v_cmpx_eq_u32_e32 1, v164
	s_cbranch_execz .LBB53_17
; %bb.11:
	v_dual_mov_b32 v112, v48 :: v_dual_mov_b32 v113, v49
	v_dual_mov_b32 v114, v46 :: v_dual_mov_b32 v115, v47
	ds_store_b64 v165, v[58:59]
	ds_store_2addr_b64 v166, v[112:113], v[114:115] offset0:2 offset1:3
	v_dual_mov_b32 v112, v28 :: v_dual_mov_b32 v113, v29
	v_dual_mov_b32 v114, v24 :: v_dual_mov_b32 v115, v25
	ds_store_2addr_b64 v166, v[112:113], v[114:115] offset0:4 offset1:5
	v_dual_mov_b32 v112, v26 :: v_dual_mov_b32 v113, v27
	v_dual_mov_b32 v114, v22 :: v_dual_mov_b32 v115, v23
	;; [unrolled: 3-line block ×11, first 2 shown]
	ds_store_2addr_b64 v166, v[112:113], v[114:115] offset0:24 offset1:25
	ds_store_b64 v166, v[108:109] offset:208
	ds_load_b64 v[112:113], v165
	s_wait_dscnt 0x0
	v_cmp_neq_f32_e32 vcc_lo, 0, v112
	v_cmp_neq_f32_e64 s1, 0, v113
	s_or_b32 s1, vcc_lo, s1
	s_delay_alu instid0(SALU_CYCLE_1)
	s_and_b32 exec_lo, exec_lo, s1
	s_cbranch_execz .LBB53_17
; %bb.12:
	v_cmp_ngt_f32_e64 s1, |v112|, |v113|
                                        ; implicit-def: $vgpr114_vgpr115
	s_and_saveexec_b32 s4, s1
	s_delay_alu instid0(SALU_CYCLE_1)
	s_xor_b32 s1, exec_lo, s4
	s_cbranch_execz .LBB53_14
; %bb.13:
	v_div_scale_f32 v114, null, v113, v113, v112
	v_div_scale_f32 v117, vcc_lo, v112, v113, v112
	s_delay_alu instid0(VALU_DEP_2) | instskip(SKIP_1) | instid1(TRANS32_DEP_1)
	v_rcp_f32_e32 v115, v114
	v_nop
	v_fma_f32 v116, -v114, v115, 1.0
	s_delay_alu instid0(VALU_DEP_1) | instskip(NEXT) | instid1(VALU_DEP_1)
	v_fmac_f32_e32 v115, v116, v115
	v_mul_f32_e32 v116, v117, v115
	s_delay_alu instid0(VALU_DEP_1) | instskip(NEXT) | instid1(VALU_DEP_1)
	v_fma_f32 v118, -v114, v116, v117
	v_fmac_f32_e32 v116, v118, v115
	s_delay_alu instid0(VALU_DEP_1) | instskip(NEXT) | instid1(VALU_DEP_1)
	v_fma_f32 v114, -v114, v116, v117
	v_div_fmas_f32 v114, v114, v115, v116
	s_delay_alu instid0(VALU_DEP_1) | instskip(NEXT) | instid1(VALU_DEP_1)
	v_div_fixup_f32 v114, v114, v113, v112
	v_fmac_f32_e32 v113, v112, v114
	s_delay_alu instid0(VALU_DEP_1) | instskip(SKIP_1) | instid1(VALU_DEP_2)
	v_div_scale_f32 v112, null, v113, v113, 1.0
	v_div_scale_f32 v117, vcc_lo, 1.0, v113, 1.0
	v_rcp_f32_e32 v115, v112
	v_nop
	s_delay_alu instid0(TRANS32_DEP_1) | instskip(NEXT) | instid1(VALU_DEP_1)
	v_fma_f32 v116, -v112, v115, 1.0
	v_fmac_f32_e32 v115, v116, v115
	s_delay_alu instid0(VALU_DEP_1) | instskip(NEXT) | instid1(VALU_DEP_1)
	v_mul_f32_e32 v116, v117, v115
	v_fma_f32 v118, -v112, v116, v117
	s_delay_alu instid0(VALU_DEP_1) | instskip(NEXT) | instid1(VALU_DEP_1)
	v_fmac_f32_e32 v116, v118, v115
	v_fma_f32 v112, -v112, v116, v117
	s_delay_alu instid0(VALU_DEP_1) | instskip(NEXT) | instid1(VALU_DEP_1)
	v_div_fmas_f32 v112, v112, v115, v116
	v_div_fixup_f32 v112, v112, v113, 1.0
	s_delay_alu instid0(VALU_DEP_1)
	v_mul_f32_e32 v114, v114, v112
	v_xor_b32_e32 v115, 0x80000000, v112
                                        ; implicit-def: $vgpr112_vgpr113
.LBB53_14:
	s_and_not1_saveexec_b32 s1, s1
	s_cbranch_execz .LBB53_16
; %bb.15:
	v_div_scale_f32 v114, null, v112, v112, v113
	v_div_scale_f32 v117, vcc_lo, v113, v112, v113
	s_delay_alu instid0(VALU_DEP_2) | instskip(SKIP_1) | instid1(TRANS32_DEP_1)
	v_rcp_f32_e32 v115, v114
	v_nop
	v_fma_f32 v116, -v114, v115, 1.0
	s_delay_alu instid0(VALU_DEP_1) | instskip(NEXT) | instid1(VALU_DEP_1)
	v_fmac_f32_e32 v115, v116, v115
	v_mul_f32_e32 v116, v117, v115
	s_delay_alu instid0(VALU_DEP_1) | instskip(NEXT) | instid1(VALU_DEP_1)
	v_fma_f32 v118, -v114, v116, v117
	v_fmac_f32_e32 v116, v118, v115
	s_delay_alu instid0(VALU_DEP_1) | instskip(NEXT) | instid1(VALU_DEP_1)
	v_fma_f32 v114, -v114, v116, v117
	v_div_fmas_f32 v114, v114, v115, v116
	s_delay_alu instid0(VALU_DEP_1) | instskip(NEXT) | instid1(VALU_DEP_1)
	v_div_fixup_f32 v115, v114, v112, v113
	v_fmac_f32_e32 v112, v113, v115
	s_delay_alu instid0(VALU_DEP_1) | instskip(NEXT) | instid1(VALU_DEP_1)
	v_div_scale_f32 v113, null, v112, v112, 1.0
	v_rcp_f32_e32 v114, v113
	v_nop
	s_delay_alu instid0(TRANS32_DEP_1) | instskip(NEXT) | instid1(VALU_DEP_1)
	v_fma_f32 v116, -v113, v114, 1.0
	v_fmac_f32_e32 v114, v116, v114
	v_div_scale_f32 v116, vcc_lo, 1.0, v112, 1.0
	s_delay_alu instid0(VALU_DEP_1) | instskip(NEXT) | instid1(VALU_DEP_1)
	v_mul_f32_e32 v117, v116, v114
	v_fma_f32 v118, -v113, v117, v116
	s_delay_alu instid0(VALU_DEP_1) | instskip(NEXT) | instid1(VALU_DEP_1)
	v_fmac_f32_e32 v117, v118, v114
	v_fma_f32 v113, -v113, v117, v116
	s_delay_alu instid0(VALU_DEP_1) | instskip(NEXT) | instid1(VALU_DEP_1)
	v_div_fmas_f32 v113, v113, v114, v117
	v_div_fixup_f32 v114, v113, v112, 1.0
	s_delay_alu instid0(VALU_DEP_1)
	v_mul_f32_e64 v115, v115, -v114
.LBB53_16:
	s_or_b32 exec_lo, exec_lo, s1
	ds_store_b64 v165, v[114:115]
.LBB53_17:
	s_or_b32 exec_lo, exec_lo, s2
	s_wait_dscnt 0x0
	s_barrier_signal -1
	s_barrier_wait -1
	ds_load_b64 v[112:113], v165
	s_mov_b32 s1, exec_lo
	v_cmpx_lt_u32_e32 1, v164
	s_cbranch_execz .LBB53_19
; %bb.18:
	ds_load_2addr_b64 v[118:121], v166 offset0:2 offset1:3
	s_wait_dscnt 0x1
	v_pk_mul_f32 v[116:117], v[112:113], v[58:59] op_sel:[1,1] op_sel_hi:[0,1]
	s_delay_alu instid0(VALU_DEP_1) | instskip(SKIP_1) | instid1(VALU_DEP_1)
	v_pk_fma_f32 v[114:115], v[112:113], v[58:59], v[116:117] op_sel_hi:[1,0,1] neg_lo:[0,0,1] neg_hi:[0,0,1]
	v_pk_fma_f32 v[116:117], v[112:113], v[58:59], v[116:117] op_sel_hi:[1,0,1]
	v_dual_mov_b32 v58, v114 :: v_dual_mov_b32 v59, v117
	s_wait_dscnt 0x0
	s_delay_alu instid0(VALU_DEP_2) | instskip(NEXT) | instid1(VALU_DEP_1)
	v_pk_mul_f32 v[122:123], v[118:119], v[116:117] op_sel:[0,1]
	v_pk_fma_f32 v[124:125], v[118:119], v[114:115], v[122:123] op_sel:[0,0,1] op_sel_hi:[1,1,0] neg_lo:[0,0,1] neg_hi:[0,0,1]
	v_pk_fma_f32 v[118:119], v[118:119], v[114:115], v[122:123] op_sel:[0,0,1] op_sel_hi:[1,0,0]
	s_delay_alu instid0(VALU_DEP_1) | instskip(SKIP_1) | instid1(VALU_DEP_1)
	v_mov_b32_e32 v125, v119
	v_pk_mul_f32 v[118:119], v[120:121], v[116:117] op_sel:[0,1]
	v_pk_fma_f32 v[122:123], v[120:121], v[114:115], v[118:119] op_sel:[0,0,1] op_sel_hi:[1,1,0] neg_lo:[0,0,1] neg_hi:[0,0,1]
	v_pk_fma_f32 v[118:119], v[120:121], v[114:115], v[118:119] op_sel:[0,0,1] op_sel_hi:[1,0,0]
	s_delay_alu instid0(VALU_DEP_1)
	v_mov_b32_e32 v123, v119
	ds_load_2addr_b64 v[118:121], v166 offset0:4 offset1:5
	v_pk_add_f32 v[48:49], v[48:49], v[124:125] neg_lo:[0,1] neg_hi:[0,1]
	v_pk_add_f32 v[46:47], v[46:47], v[122:123] neg_lo:[0,1] neg_hi:[0,1]
	s_wait_dscnt 0x0
	v_pk_mul_f32 v[122:123], v[118:119], v[116:117] op_sel:[0,1]
	s_delay_alu instid0(VALU_DEP_1) | instskip(SKIP_2) | instid1(VALU_DEP_2)
	v_pk_fma_f32 v[124:125], v[118:119], v[114:115], v[122:123] op_sel:[0,0,1] op_sel_hi:[1,1,0] neg_lo:[0,0,1] neg_hi:[0,0,1]
	v_pk_fma_f32 v[118:119], v[118:119], v[114:115], v[122:123] op_sel:[0,0,1] op_sel_hi:[1,0,0]
	v_dual_mul_f32 v122, v121, v117 :: v_dual_mov_b32 v118, v121
	v_dual_mov_b32 v125, v119 :: v_dual_mov_b32 v119, v120
	s_delay_alu instid0(VALU_DEP_2) | instskip(SKIP_1) | instid1(VALU_DEP_3)
	v_pk_fma_f32 v[122:123], v[120:121], v[58:59], v[122:123] op_sel_hi:[1,1,0] neg_lo:[0,0,1] neg_hi:[0,0,1]
	v_mul_f32_e32 v120, v121, v114
	v_pk_add_f32 v[28:29], v[28:29], v[124:125] neg_lo:[0,1] neg_hi:[0,1]
	s_delay_alu instid0(VALU_DEP_2) | instskip(NEXT) | instid1(VALU_DEP_1)
	v_pk_fma_f32 v[118:119], v[118:119], v[58:59], v[120:121] op_sel_hi:[1,1,0]
	v_mov_b32_e32 v123, v119
	ds_load_2addr_b64 v[118:121], v166 offset0:6 offset1:7
	v_pk_add_f32 v[24:25], v[24:25], v[122:123] neg_lo:[0,1] neg_hi:[0,1]
	s_wait_dscnt 0x0
	v_pk_mul_f32 v[122:123], v[118:119], v[116:117] op_sel:[0,1]
	s_delay_alu instid0(VALU_DEP_1) | instskip(SKIP_1) | instid1(VALU_DEP_1)
	v_pk_fma_f32 v[124:125], v[118:119], v[114:115], v[122:123] op_sel:[0,0,1] op_sel_hi:[1,1,0] neg_lo:[0,0,1] neg_hi:[0,0,1]
	v_pk_fma_f32 v[118:119], v[118:119], v[114:115], v[122:123] op_sel:[0,0,1] op_sel_hi:[1,0,0]
	v_mov_b32_e32 v125, v119
	v_pk_mul_f32 v[118:119], v[120:121], v[116:117] op_sel:[0,1]
	s_delay_alu instid0(VALU_DEP_1) | instskip(SKIP_1) | instid1(VALU_DEP_1)
	v_pk_fma_f32 v[122:123], v[120:121], v[114:115], v[118:119] op_sel:[0,0,1] op_sel_hi:[1,1,0] neg_lo:[0,0,1] neg_hi:[0,0,1]
	v_pk_fma_f32 v[118:119], v[120:121], v[114:115], v[118:119] op_sel:[0,0,1] op_sel_hi:[1,0,0]
	v_mov_b32_e32 v123, v119
	ds_load_2addr_b64 v[118:121], v166 offset0:8 offset1:9
	v_pk_add_f32 v[26:27], v[26:27], v[124:125] neg_lo:[0,1] neg_hi:[0,1]
	v_pk_add_f32 v[22:23], v[22:23], v[122:123] neg_lo:[0,1] neg_hi:[0,1]
	s_wait_dscnt 0x0
	v_pk_mul_f32 v[122:123], v[118:119], v[116:117] op_sel:[0,1]
	s_delay_alu instid0(VALU_DEP_1) | instskip(SKIP_1) | instid1(VALU_DEP_1)
	v_pk_fma_f32 v[124:125], v[118:119], v[114:115], v[122:123] op_sel:[0,0,1] op_sel_hi:[1,1,0] neg_lo:[0,0,1] neg_hi:[0,0,1]
	v_pk_fma_f32 v[118:119], v[118:119], v[114:115], v[122:123] op_sel:[0,0,1] op_sel_hi:[1,0,0]
	v_mov_b32_e32 v125, v119
	v_pk_mul_f32 v[118:119], v[120:121], v[116:117] op_sel:[0,1]
	s_delay_alu instid0(VALU_DEP_1) | instskip(SKIP_1) | instid1(VALU_DEP_1)
	v_pk_fma_f32 v[122:123], v[120:121], v[114:115], v[118:119] op_sel:[0,0,1] op_sel_hi:[1,1,0] neg_lo:[0,0,1] neg_hi:[0,0,1]
	v_pk_fma_f32 v[118:119], v[120:121], v[114:115], v[118:119] op_sel:[0,0,1] op_sel_hi:[1,0,0]
	v_mov_b32_e32 v123, v119
	ds_load_2addr_b64 v[118:121], v166 offset0:10 offset1:11
	v_pk_add_f32 v[42:43], v[42:43], v[124:125] neg_lo:[0,1] neg_hi:[0,1]
	v_pk_add_f32 v[38:39], v[38:39], v[122:123] neg_lo:[0,1] neg_hi:[0,1]
	s_wait_dscnt 0x0
	v_dual_mul_f32 v122, v119, v117 :: v_dual_mul_f32 v124, v119, v114
	s_delay_alu instid0(VALU_DEP_1) | instskip(NEXT) | instid1(VALU_DEP_2)
	v_pk_fma_f32 v[122:123], v[118:119], v[58:59], v[122:123] op_sel_hi:[1,1,0] neg_lo:[0,0,1] neg_hi:[0,0,1]
	v_pk_fma_f32 v[118:119], v[118:119], v[58:59], v[124:125] op_sel:[1,0,0] op_sel_hi:[0,1,0]
	s_delay_alu instid0(VALU_DEP_1) | instskip(SKIP_1) | instid1(VALU_DEP_2)
	v_mov_b32_e32 v123, v119
	v_pk_mul_f32 v[118:119], v[120:121], v[116:117] op_sel:[0,1]
	v_pk_add_f32 v[40:41], v[40:41], v[122:123] neg_lo:[0,1] neg_hi:[0,1]
	s_delay_alu instid0(VALU_DEP_2) | instskip(SKIP_1) | instid1(VALU_DEP_1)
	v_pk_fma_f32 v[122:123], v[120:121], v[114:115], v[118:119] op_sel:[0,0,1] op_sel_hi:[1,1,0] neg_lo:[0,0,1] neg_hi:[0,0,1]
	v_pk_fma_f32 v[118:119], v[120:121], v[114:115], v[118:119] op_sel:[0,0,1] op_sel_hi:[1,0,0]
	v_mov_b32_e32 v123, v119
	ds_load_2addr_b64 v[118:121], v166 offset0:12 offset1:13
	v_pk_add_f32 v[36:37], v[36:37], v[122:123] neg_lo:[0,1] neg_hi:[0,1]
	s_wait_dscnt 0x0
	v_pk_mul_f32 v[122:123], v[118:119], v[116:117] op_sel:[0,1]
	s_delay_alu instid0(VALU_DEP_1) | instskip(SKIP_1) | instid1(VALU_DEP_1)
	v_pk_fma_f32 v[124:125], v[118:119], v[114:115], v[122:123] op_sel:[0,0,1] op_sel_hi:[1,1,0] neg_lo:[0,0,1] neg_hi:[0,0,1]
	v_pk_fma_f32 v[118:119], v[118:119], v[114:115], v[122:123] op_sel:[0,0,1] op_sel_hi:[1,0,0]
	v_mov_b32_e32 v125, v119
	v_pk_mul_f32 v[118:119], v[120:121], v[116:117] op_sel:[0,1]
	s_delay_alu instid0(VALU_DEP_2) | instskip(NEXT) | instid1(VALU_DEP_2)
	v_pk_add_f32 v[66:67], v[66:67], v[124:125] neg_lo:[0,1] neg_hi:[0,1]
	v_pk_fma_f32 v[122:123], v[120:121], v[114:115], v[118:119] op_sel:[0,0,1] op_sel_hi:[1,1,0] neg_lo:[0,0,1] neg_hi:[0,0,1]
	v_pk_fma_f32 v[118:119], v[120:121], v[114:115], v[118:119] op_sel:[0,0,1] op_sel_hi:[1,0,0]
	s_delay_alu instid0(VALU_DEP_1) | instskip(SKIP_4) | instid1(VALU_DEP_1)
	v_mov_b32_e32 v123, v119
	ds_load_2addr_b64 v[118:121], v166 offset0:14 offset1:15
	v_pk_add_f32 v[62:63], v[62:63], v[122:123] neg_lo:[0,1] neg_hi:[0,1]
	s_wait_dscnt 0x0
	v_pk_mul_f32 v[122:123], v[118:119], v[116:117] op_sel:[0,1]
	v_pk_fma_f32 v[124:125], v[118:119], v[114:115], v[122:123] op_sel:[0,0,1] op_sel_hi:[1,1,0] neg_lo:[0,0,1] neg_hi:[0,0,1]
	v_pk_fma_f32 v[118:119], v[118:119], v[114:115], v[122:123] op_sel:[0,0,1] op_sel_hi:[1,0,0]
	v_dual_mul_f32 v122, v121, v117 :: v_dual_mov_b32 v118, v121
	s_delay_alu instid0(VALU_DEP_2) | instskip(NEXT) | instid1(VALU_DEP_2)
	v_dual_mov_b32 v125, v119 :: v_dual_mov_b32 v119, v120
	v_pk_fma_f32 v[122:123], v[120:121], v[58:59], v[122:123] op_sel_hi:[1,1,0] neg_lo:[0,0,1] neg_hi:[0,0,1]
	v_mul_f32_e32 v120, v121, v114
	s_delay_alu instid0(VALU_DEP_3) | instskip(NEXT) | instid1(VALU_DEP_2)
	v_pk_add_f32 v[64:65], v[64:65], v[124:125] neg_lo:[0,1] neg_hi:[0,1]
	v_pk_fma_f32 v[118:119], v[118:119], v[58:59], v[120:121] op_sel_hi:[1,1,0]
	s_delay_alu instid0(VALU_DEP_1) | instskip(SKIP_4) | instid1(VALU_DEP_1)
	v_mov_b32_e32 v123, v119
	ds_load_2addr_b64 v[118:121], v166 offset0:16 offset1:17
	v_pk_add_f32 v[60:61], v[60:61], v[122:123] neg_lo:[0,1] neg_hi:[0,1]
	s_wait_dscnt 0x0
	v_pk_mul_f32 v[122:123], v[118:119], v[116:117] op_sel:[0,1]
	v_pk_fma_f32 v[124:125], v[118:119], v[114:115], v[122:123] op_sel:[0,0,1] op_sel_hi:[1,1,0] neg_lo:[0,0,1] neg_hi:[0,0,1]
	v_pk_fma_f32 v[118:119], v[118:119], v[114:115], v[122:123] op_sel:[0,0,1] op_sel_hi:[1,0,0]
	s_delay_alu instid0(VALU_DEP_1) | instskip(SKIP_1) | instid1(VALU_DEP_1)
	v_mov_b32_e32 v125, v119
	v_pk_mul_f32 v[118:119], v[120:121], v[116:117] op_sel:[0,1]
	v_pk_fma_f32 v[122:123], v[120:121], v[114:115], v[118:119] op_sel:[0,0,1] op_sel_hi:[1,1,0] neg_lo:[0,0,1] neg_hi:[0,0,1]
	v_pk_fma_f32 v[118:119], v[120:121], v[114:115], v[118:119] op_sel:[0,0,1] op_sel_hi:[1,0,0]
	s_delay_alu instid0(VALU_DEP_1)
	v_mov_b32_e32 v123, v119
	ds_load_2addr_b64 v[118:121], v166 offset0:18 offset1:19
	v_pk_add_f32 v[82:83], v[82:83], v[124:125] neg_lo:[0,1] neg_hi:[0,1]
	v_pk_add_f32 v[106:107], v[106:107], v[122:123] neg_lo:[0,1] neg_hi:[0,1]
	s_wait_dscnt 0x0
	v_pk_mul_f32 v[122:123], v[118:119], v[116:117] op_sel:[0,1]
	s_delay_alu instid0(VALU_DEP_1) | instskip(SKIP_1) | instid1(VALU_DEP_1)
	v_pk_fma_f32 v[124:125], v[118:119], v[114:115], v[122:123] op_sel:[0,0,1] op_sel_hi:[1,1,0] neg_lo:[0,0,1] neg_hi:[0,0,1]
	v_pk_fma_f32 v[118:119], v[118:119], v[114:115], v[122:123] op_sel:[0,0,1] op_sel_hi:[1,0,0]
	v_mov_b32_e32 v125, v119
	v_pk_mul_f32 v[118:119], v[120:121], v[116:117] op_sel:[0,1]
	s_delay_alu instid0(VALU_DEP_1) | instskip(SKIP_1) | instid1(VALU_DEP_1)
	v_pk_fma_f32 v[122:123], v[120:121], v[114:115], v[118:119] op_sel:[0,0,1] op_sel_hi:[1,1,0] neg_lo:[0,0,1] neg_hi:[0,0,1]
	v_pk_fma_f32 v[118:119], v[120:121], v[114:115], v[118:119] op_sel:[0,0,1] op_sel_hi:[1,0,0]
	v_mov_b32_e32 v123, v119
	ds_load_2addr_b64 v[118:121], v166 offset0:20 offset1:21
	v_pk_add_f32 v[80:81], v[80:81], v[124:125] neg_lo:[0,1] neg_hi:[0,1]
	v_pk_add_f32 v[78:79], v[78:79], v[122:123] neg_lo:[0,1] neg_hi:[0,1]
	s_wait_dscnt 0x0
	v_dual_mul_f32 v122, v119, v117 :: v_dual_mul_f32 v124, v119, v114
	s_delay_alu instid0(VALU_DEP_1) | instskip(NEXT) | instid1(VALU_DEP_2)
	v_pk_fma_f32 v[122:123], v[118:119], v[58:59], v[122:123] op_sel_hi:[1,1,0] neg_lo:[0,0,1] neg_hi:[0,0,1]
	v_pk_fma_f32 v[118:119], v[118:119], v[58:59], v[124:125] op_sel:[1,0,0] op_sel_hi:[0,1,0]
	s_delay_alu instid0(VALU_DEP_1) | instskip(SKIP_1) | instid1(VALU_DEP_2)
	v_mov_b32_e32 v123, v119
	v_pk_mul_f32 v[118:119], v[120:121], v[116:117] op_sel:[0,1]
	v_pk_add_f32 v[98:99], v[98:99], v[122:123] neg_lo:[0,1] neg_hi:[0,1]
	s_delay_alu instid0(VALU_DEP_2) | instskip(SKIP_1) | instid1(VALU_DEP_1)
	v_pk_fma_f32 v[122:123], v[120:121], v[114:115], v[118:119] op_sel:[0,0,1] op_sel_hi:[1,1,0] neg_lo:[0,0,1] neg_hi:[0,0,1]
	v_pk_fma_f32 v[118:119], v[120:121], v[114:115], v[118:119] op_sel:[0,0,1] op_sel_hi:[1,0,0]
	v_mov_b32_e32 v123, v119
	ds_load_2addr_b64 v[118:121], v166 offset0:22 offset1:23
	v_pk_add_f32 v[94:95], v[94:95], v[122:123] neg_lo:[0,1] neg_hi:[0,1]
	s_wait_dscnt 0x0
	v_pk_mul_f32 v[122:123], v[118:119], v[116:117] op_sel:[0,1]
	s_delay_alu instid0(VALU_DEP_1) | instskip(SKIP_1) | instid1(VALU_DEP_1)
	v_pk_fma_f32 v[124:125], v[118:119], v[114:115], v[122:123] op_sel:[0,0,1] op_sel_hi:[1,1,0] neg_lo:[0,0,1] neg_hi:[0,0,1]
	v_pk_fma_f32 v[118:119], v[118:119], v[114:115], v[122:123] op_sel:[0,0,1] op_sel_hi:[1,0,0]
	v_mov_b32_e32 v125, v119
	v_pk_mul_f32 v[118:119], v[120:121], v[116:117] op_sel:[0,1]
	s_delay_alu instid0(VALU_DEP_2) | instskip(NEXT) | instid1(VALU_DEP_2)
	v_pk_add_f32 v[96:97], v[96:97], v[124:125] neg_lo:[0,1] neg_hi:[0,1]
	v_pk_fma_f32 v[122:123], v[120:121], v[114:115], v[118:119] op_sel:[0,0,1] op_sel_hi:[1,1,0] neg_lo:[0,0,1] neg_hi:[0,0,1]
	v_pk_fma_f32 v[118:119], v[120:121], v[114:115], v[118:119] op_sel:[0,0,1] op_sel_hi:[1,0,0]
	s_delay_alu instid0(VALU_DEP_1) | instskip(SKIP_4) | instid1(VALU_DEP_1)
	v_mov_b32_e32 v123, v119
	ds_load_2addr_b64 v[118:121], v166 offset0:24 offset1:25
	v_pk_add_f32 v[104:105], v[104:105], v[122:123] neg_lo:[0,1] neg_hi:[0,1]
	s_wait_dscnt 0x0
	v_pk_mul_f32 v[122:123], v[118:119], v[116:117] op_sel:[0,1]
	v_pk_fma_f32 v[124:125], v[118:119], v[114:115], v[122:123] op_sel:[0,0,1] op_sel_hi:[1,1,0] neg_lo:[0,0,1] neg_hi:[0,0,1]
	v_pk_fma_f32 v[118:119], v[118:119], v[114:115], v[122:123] op_sel:[0,0,1] op_sel_hi:[1,0,0]
	v_dual_mul_f32 v122, v121, v117 :: v_dual_mov_b32 v118, v121
	s_delay_alu instid0(VALU_DEP_2) | instskip(NEXT) | instid1(VALU_DEP_2)
	v_dual_mov_b32 v125, v119 :: v_dual_mov_b32 v119, v120
	v_pk_fma_f32 v[122:123], v[120:121], v[58:59], v[122:123] op_sel_hi:[1,1,0] neg_lo:[0,0,1] neg_hi:[0,0,1]
	v_mul_f32_e32 v120, v121, v114
	s_delay_alu instid0(VALU_DEP_3) | instskip(NEXT) | instid1(VALU_DEP_2)
	v_pk_add_f32 v[102:103], v[102:103], v[124:125] neg_lo:[0,1] neg_hi:[0,1]
	v_pk_fma_f32 v[118:119], v[118:119], v[58:59], v[120:121] op_sel_hi:[1,1,0]
	s_delay_alu instid0(VALU_DEP_1) | instskip(SKIP_4) | instid1(VALU_DEP_1)
	v_mov_b32_e32 v123, v119
	ds_load_b64 v[118:119], v166 offset:208
	v_pk_add_f32 v[100:101], v[100:101], v[122:123] neg_lo:[0,1] neg_hi:[0,1]
	s_wait_dscnt 0x0
	v_pk_mul_f32 v[116:117], v[118:119], v[116:117] op_sel:[0,1]
	v_pk_fma_f32 v[120:121], v[118:119], v[114:115], v[116:117] op_sel:[0,0,1] op_sel_hi:[1,1,0] neg_lo:[0,0,1] neg_hi:[0,0,1]
	v_pk_fma_f32 v[114:115], v[118:119], v[114:115], v[116:117] op_sel:[0,0,1] op_sel_hi:[1,0,0]
	s_delay_alu instid0(VALU_DEP_1) | instskip(NEXT) | instid1(VALU_DEP_1)
	v_mov_b32_e32 v121, v115
	v_pk_add_f32 v[108:109], v[108:109], v[120:121] neg_lo:[0,1] neg_hi:[0,1]
.LBB53_19:
	s_or_b32 exec_lo, exec_lo, s1
	s_delay_alu instid0(SALU_CYCLE_1)
	s_mov_b32 s2, exec_lo
	s_wait_dscnt 0x0
	s_barrier_signal -1
	s_barrier_wait -1
	v_cmpx_eq_u32_e32 2, v164
	s_cbranch_execz .LBB53_26
; %bb.20:
	ds_store_b64 v165, v[48:49]
	ds_store_2addr_b64 v166, v[46:47], v[28:29] offset0:3 offset1:4
	ds_store_2addr_b64 v166, v[24:25], v[26:27] offset0:5 offset1:6
	;; [unrolled: 1-line block ×12, first 2 shown]
	ds_load_b64 v[114:115], v165
	s_wait_dscnt 0x0
	v_cmp_neq_f32_e32 vcc_lo, 0, v114
	v_cmp_neq_f32_e64 s1, 0, v115
	s_or_b32 s1, vcc_lo, s1
	s_delay_alu instid0(SALU_CYCLE_1)
	s_and_b32 exec_lo, exec_lo, s1
	s_cbranch_execz .LBB53_26
; %bb.21:
	v_cmp_ngt_f32_e64 s1, |v114|, |v115|
                                        ; implicit-def: $vgpr116_vgpr117
	s_and_saveexec_b32 s4, s1
	s_delay_alu instid0(SALU_CYCLE_1)
	s_xor_b32 s1, exec_lo, s4
	s_cbranch_execz .LBB53_23
; %bb.22:
	v_div_scale_f32 v116, null, v115, v115, v114
	v_div_scale_f32 v119, vcc_lo, v114, v115, v114
	s_delay_alu instid0(VALU_DEP_2) | instskip(SKIP_1) | instid1(TRANS32_DEP_1)
	v_rcp_f32_e32 v117, v116
	v_nop
	v_fma_f32 v118, -v116, v117, 1.0
	s_delay_alu instid0(VALU_DEP_1) | instskip(NEXT) | instid1(VALU_DEP_1)
	v_fmac_f32_e32 v117, v118, v117
	v_mul_f32_e32 v118, v119, v117
	s_delay_alu instid0(VALU_DEP_1) | instskip(NEXT) | instid1(VALU_DEP_1)
	v_fma_f32 v120, -v116, v118, v119
	v_fmac_f32_e32 v118, v120, v117
	s_delay_alu instid0(VALU_DEP_1) | instskip(NEXT) | instid1(VALU_DEP_1)
	v_fma_f32 v116, -v116, v118, v119
	v_div_fmas_f32 v116, v116, v117, v118
	s_delay_alu instid0(VALU_DEP_1) | instskip(NEXT) | instid1(VALU_DEP_1)
	v_div_fixup_f32 v116, v116, v115, v114
	v_fmac_f32_e32 v115, v114, v116
	s_delay_alu instid0(VALU_DEP_1) | instskip(SKIP_1) | instid1(VALU_DEP_2)
	v_div_scale_f32 v114, null, v115, v115, 1.0
	v_div_scale_f32 v119, vcc_lo, 1.0, v115, 1.0
	v_rcp_f32_e32 v117, v114
	v_nop
	s_delay_alu instid0(TRANS32_DEP_1) | instskip(NEXT) | instid1(VALU_DEP_1)
	v_fma_f32 v118, -v114, v117, 1.0
	v_fmac_f32_e32 v117, v118, v117
	s_delay_alu instid0(VALU_DEP_1) | instskip(NEXT) | instid1(VALU_DEP_1)
	v_mul_f32_e32 v118, v119, v117
	v_fma_f32 v120, -v114, v118, v119
	s_delay_alu instid0(VALU_DEP_1) | instskip(NEXT) | instid1(VALU_DEP_1)
	v_fmac_f32_e32 v118, v120, v117
	v_fma_f32 v114, -v114, v118, v119
	s_delay_alu instid0(VALU_DEP_1) | instskip(NEXT) | instid1(VALU_DEP_1)
	v_div_fmas_f32 v114, v114, v117, v118
	v_div_fixup_f32 v114, v114, v115, 1.0
	s_delay_alu instid0(VALU_DEP_1)
	v_mul_f32_e32 v116, v116, v114
	v_xor_b32_e32 v117, 0x80000000, v114
                                        ; implicit-def: $vgpr114_vgpr115
.LBB53_23:
	s_and_not1_saveexec_b32 s1, s1
	s_cbranch_execz .LBB53_25
; %bb.24:
	v_div_scale_f32 v116, null, v114, v114, v115
	v_div_scale_f32 v119, vcc_lo, v115, v114, v115
	s_delay_alu instid0(VALU_DEP_2) | instskip(SKIP_1) | instid1(TRANS32_DEP_1)
	v_rcp_f32_e32 v117, v116
	v_nop
	v_fma_f32 v118, -v116, v117, 1.0
	s_delay_alu instid0(VALU_DEP_1) | instskip(NEXT) | instid1(VALU_DEP_1)
	v_fmac_f32_e32 v117, v118, v117
	v_mul_f32_e32 v118, v119, v117
	s_delay_alu instid0(VALU_DEP_1) | instskip(NEXT) | instid1(VALU_DEP_1)
	v_fma_f32 v120, -v116, v118, v119
	v_fmac_f32_e32 v118, v120, v117
	s_delay_alu instid0(VALU_DEP_1) | instskip(NEXT) | instid1(VALU_DEP_1)
	v_fma_f32 v116, -v116, v118, v119
	v_div_fmas_f32 v116, v116, v117, v118
	s_delay_alu instid0(VALU_DEP_1) | instskip(NEXT) | instid1(VALU_DEP_1)
	v_div_fixup_f32 v117, v116, v114, v115
	v_fmac_f32_e32 v114, v115, v117
	s_delay_alu instid0(VALU_DEP_1) | instskip(NEXT) | instid1(VALU_DEP_1)
	v_div_scale_f32 v115, null, v114, v114, 1.0
	v_rcp_f32_e32 v116, v115
	v_nop
	s_delay_alu instid0(TRANS32_DEP_1) | instskip(NEXT) | instid1(VALU_DEP_1)
	v_fma_f32 v118, -v115, v116, 1.0
	v_fmac_f32_e32 v116, v118, v116
	v_div_scale_f32 v118, vcc_lo, 1.0, v114, 1.0
	s_delay_alu instid0(VALU_DEP_1) | instskip(NEXT) | instid1(VALU_DEP_1)
	v_mul_f32_e32 v119, v118, v116
	v_fma_f32 v120, -v115, v119, v118
	s_delay_alu instid0(VALU_DEP_1) | instskip(NEXT) | instid1(VALU_DEP_1)
	v_fmac_f32_e32 v119, v120, v116
	v_fma_f32 v115, -v115, v119, v118
	s_delay_alu instid0(VALU_DEP_1) | instskip(NEXT) | instid1(VALU_DEP_1)
	v_div_fmas_f32 v115, v115, v116, v119
	v_div_fixup_f32 v116, v115, v114, 1.0
	s_delay_alu instid0(VALU_DEP_1)
	v_mul_f32_e64 v117, v117, -v116
.LBB53_25:
	s_or_b32 exec_lo, exec_lo, s1
	ds_store_b64 v165, v[116:117]
.LBB53_26:
	s_or_b32 exec_lo, exec_lo, s2
	s_wait_dscnt 0x0
	s_barrier_signal -1
	s_barrier_wait -1
	ds_load_b64 v[114:115], v165
	s_mov_b32 s1, exec_lo
	v_cmpx_lt_u32_e32 2, v164
	s_cbranch_execz .LBB53_28
; %bb.27:
	ds_load_2addr_b64 v[120:123], v166 offset0:3 offset1:4
	s_wait_dscnt 0x1
	v_pk_mul_f32 v[118:119], v[114:115], v[48:49] op_sel:[1,1] op_sel_hi:[0,1]
	s_delay_alu instid0(VALU_DEP_1) | instskip(SKIP_1) | instid1(VALU_DEP_1)
	v_pk_fma_f32 v[116:117], v[114:115], v[48:49], v[118:119] op_sel_hi:[1,0,1] neg_lo:[0,0,1] neg_hi:[0,0,1]
	v_pk_fma_f32 v[118:119], v[114:115], v[48:49], v[118:119] op_sel_hi:[1,0,1]
	v_dual_mov_b32 v48, v116 :: v_dual_mov_b32 v49, v119
	s_wait_dscnt 0x0
	s_delay_alu instid0(VALU_DEP_2) | instskip(NEXT) | instid1(VALU_DEP_1)
	v_pk_mul_f32 v[124:125], v[120:121], v[118:119] op_sel:[0,1]
	v_pk_fma_f32 v[126:127], v[120:121], v[116:117], v[124:125] op_sel:[0,0,1] op_sel_hi:[1,1,0] neg_lo:[0,0,1] neg_hi:[0,0,1]
	v_pk_fma_f32 v[120:121], v[120:121], v[116:117], v[124:125] op_sel:[0,0,1] op_sel_hi:[1,0,0]
	s_delay_alu instid0(VALU_DEP_1) | instskip(SKIP_1) | instid1(VALU_DEP_1)
	v_mov_b32_e32 v127, v121
	v_pk_mul_f32 v[120:121], v[122:123], v[118:119] op_sel:[0,1]
	v_pk_fma_f32 v[124:125], v[122:123], v[116:117], v[120:121] op_sel:[0,0,1] op_sel_hi:[1,1,0] neg_lo:[0,0,1] neg_hi:[0,0,1]
	v_pk_fma_f32 v[120:121], v[122:123], v[116:117], v[120:121] op_sel:[0,0,1] op_sel_hi:[1,0,0]
	s_delay_alu instid0(VALU_DEP_1)
	v_mov_b32_e32 v125, v121
	ds_load_2addr_b64 v[120:123], v166 offset0:5 offset1:6
	v_pk_add_f32 v[46:47], v[46:47], v[126:127] neg_lo:[0,1] neg_hi:[0,1]
	v_pk_add_f32 v[28:29], v[28:29], v[124:125] neg_lo:[0,1] neg_hi:[0,1]
	s_wait_dscnt 0x0
	v_pk_mul_f32 v[124:125], v[120:121], v[118:119] op_sel:[0,1]
	s_delay_alu instid0(VALU_DEP_1) | instskip(SKIP_2) | instid1(VALU_DEP_2)
	v_pk_fma_f32 v[126:127], v[120:121], v[116:117], v[124:125] op_sel:[0,0,1] op_sel_hi:[1,1,0] neg_lo:[0,0,1] neg_hi:[0,0,1]
	v_pk_fma_f32 v[120:121], v[120:121], v[116:117], v[124:125] op_sel:[0,0,1] op_sel_hi:[1,0,0]
	v_dual_mul_f32 v124, v123, v119 :: v_dual_mov_b32 v120, v123
	v_dual_mov_b32 v127, v121 :: v_dual_mov_b32 v121, v122
	s_delay_alu instid0(VALU_DEP_2) | instskip(SKIP_1) | instid1(VALU_DEP_3)
	v_pk_fma_f32 v[124:125], v[122:123], v[48:49], v[124:125] op_sel_hi:[1,1,0] neg_lo:[0,0,1] neg_hi:[0,0,1]
	v_mul_f32_e32 v122, v123, v116
	v_pk_add_f32 v[24:25], v[24:25], v[126:127] neg_lo:[0,1] neg_hi:[0,1]
	s_delay_alu instid0(VALU_DEP_2) | instskip(NEXT) | instid1(VALU_DEP_1)
	v_pk_fma_f32 v[120:121], v[120:121], v[48:49], v[122:123] op_sel_hi:[1,1,0]
	v_mov_b32_e32 v125, v121
	ds_load_2addr_b64 v[120:123], v166 offset0:7 offset1:8
	v_pk_add_f32 v[26:27], v[26:27], v[124:125] neg_lo:[0,1] neg_hi:[0,1]
	s_wait_dscnt 0x0
	v_pk_mul_f32 v[124:125], v[120:121], v[118:119] op_sel:[0,1]
	s_delay_alu instid0(VALU_DEP_1) | instskip(SKIP_1) | instid1(VALU_DEP_1)
	v_pk_fma_f32 v[126:127], v[120:121], v[116:117], v[124:125] op_sel:[0,0,1] op_sel_hi:[1,1,0] neg_lo:[0,0,1] neg_hi:[0,0,1]
	v_pk_fma_f32 v[120:121], v[120:121], v[116:117], v[124:125] op_sel:[0,0,1] op_sel_hi:[1,0,0]
	v_mov_b32_e32 v127, v121
	v_pk_mul_f32 v[120:121], v[122:123], v[118:119] op_sel:[0,1]
	s_delay_alu instid0(VALU_DEP_1) | instskip(SKIP_1) | instid1(VALU_DEP_1)
	v_pk_fma_f32 v[124:125], v[122:123], v[116:117], v[120:121] op_sel:[0,0,1] op_sel_hi:[1,1,0] neg_lo:[0,0,1] neg_hi:[0,0,1]
	v_pk_fma_f32 v[120:121], v[122:123], v[116:117], v[120:121] op_sel:[0,0,1] op_sel_hi:[1,0,0]
	v_mov_b32_e32 v125, v121
	ds_load_2addr_b64 v[120:123], v166 offset0:9 offset1:10
	v_pk_add_f32 v[22:23], v[22:23], v[126:127] neg_lo:[0,1] neg_hi:[0,1]
	v_pk_add_f32 v[42:43], v[42:43], v[124:125] neg_lo:[0,1] neg_hi:[0,1]
	s_wait_dscnt 0x0
	v_pk_mul_f32 v[124:125], v[120:121], v[118:119] op_sel:[0,1]
	s_delay_alu instid0(VALU_DEP_1) | instskip(SKIP_1) | instid1(VALU_DEP_1)
	v_pk_fma_f32 v[126:127], v[120:121], v[116:117], v[124:125] op_sel:[0,0,1] op_sel_hi:[1,1,0] neg_lo:[0,0,1] neg_hi:[0,0,1]
	v_pk_fma_f32 v[120:121], v[120:121], v[116:117], v[124:125] op_sel:[0,0,1] op_sel_hi:[1,0,0]
	v_mov_b32_e32 v127, v121
	v_pk_mul_f32 v[120:121], v[122:123], v[118:119] op_sel:[0,1]
	s_delay_alu instid0(VALU_DEP_1) | instskip(SKIP_1) | instid1(VALU_DEP_1)
	v_pk_fma_f32 v[124:125], v[122:123], v[116:117], v[120:121] op_sel:[0,0,1] op_sel_hi:[1,1,0] neg_lo:[0,0,1] neg_hi:[0,0,1]
	v_pk_fma_f32 v[120:121], v[122:123], v[116:117], v[120:121] op_sel:[0,0,1] op_sel_hi:[1,0,0]
	v_mov_b32_e32 v125, v121
	ds_load_2addr_b64 v[120:123], v166 offset0:11 offset1:12
	v_pk_add_f32 v[38:39], v[38:39], v[126:127] neg_lo:[0,1] neg_hi:[0,1]
	v_pk_add_f32 v[40:41], v[40:41], v[124:125] neg_lo:[0,1] neg_hi:[0,1]
	s_wait_dscnt 0x0
	v_dual_mul_f32 v124, v121, v119 :: v_dual_mul_f32 v126, v121, v116
	s_delay_alu instid0(VALU_DEP_1) | instskip(NEXT) | instid1(VALU_DEP_2)
	v_pk_fma_f32 v[124:125], v[120:121], v[48:49], v[124:125] op_sel_hi:[1,1,0] neg_lo:[0,0,1] neg_hi:[0,0,1]
	v_pk_fma_f32 v[120:121], v[120:121], v[48:49], v[126:127] op_sel:[1,0,0] op_sel_hi:[0,1,0]
	s_delay_alu instid0(VALU_DEP_1) | instskip(SKIP_1) | instid1(VALU_DEP_2)
	v_mov_b32_e32 v125, v121
	v_pk_mul_f32 v[120:121], v[122:123], v[118:119] op_sel:[0,1]
	v_pk_add_f32 v[36:37], v[36:37], v[124:125] neg_lo:[0,1] neg_hi:[0,1]
	s_delay_alu instid0(VALU_DEP_2) | instskip(SKIP_1) | instid1(VALU_DEP_1)
	v_pk_fma_f32 v[124:125], v[122:123], v[116:117], v[120:121] op_sel:[0,0,1] op_sel_hi:[1,1,0] neg_lo:[0,0,1] neg_hi:[0,0,1]
	v_pk_fma_f32 v[120:121], v[122:123], v[116:117], v[120:121] op_sel:[0,0,1] op_sel_hi:[1,0,0]
	v_mov_b32_e32 v125, v121
	ds_load_2addr_b64 v[120:123], v166 offset0:13 offset1:14
	v_pk_add_f32 v[66:67], v[66:67], v[124:125] neg_lo:[0,1] neg_hi:[0,1]
	s_wait_dscnt 0x0
	v_pk_mul_f32 v[124:125], v[120:121], v[118:119] op_sel:[0,1]
	s_delay_alu instid0(VALU_DEP_1) | instskip(SKIP_1) | instid1(VALU_DEP_1)
	v_pk_fma_f32 v[126:127], v[120:121], v[116:117], v[124:125] op_sel:[0,0,1] op_sel_hi:[1,1,0] neg_lo:[0,0,1] neg_hi:[0,0,1]
	v_pk_fma_f32 v[120:121], v[120:121], v[116:117], v[124:125] op_sel:[0,0,1] op_sel_hi:[1,0,0]
	v_mov_b32_e32 v127, v121
	v_pk_mul_f32 v[120:121], v[122:123], v[118:119] op_sel:[0,1]
	s_delay_alu instid0(VALU_DEP_2) | instskip(NEXT) | instid1(VALU_DEP_2)
	v_pk_add_f32 v[62:63], v[62:63], v[126:127] neg_lo:[0,1] neg_hi:[0,1]
	v_pk_fma_f32 v[124:125], v[122:123], v[116:117], v[120:121] op_sel:[0,0,1] op_sel_hi:[1,1,0] neg_lo:[0,0,1] neg_hi:[0,0,1]
	v_pk_fma_f32 v[120:121], v[122:123], v[116:117], v[120:121] op_sel:[0,0,1] op_sel_hi:[1,0,0]
	s_delay_alu instid0(VALU_DEP_1) | instskip(SKIP_4) | instid1(VALU_DEP_1)
	v_mov_b32_e32 v125, v121
	ds_load_2addr_b64 v[120:123], v166 offset0:15 offset1:16
	v_pk_add_f32 v[64:65], v[64:65], v[124:125] neg_lo:[0,1] neg_hi:[0,1]
	s_wait_dscnt 0x0
	v_pk_mul_f32 v[124:125], v[120:121], v[118:119] op_sel:[0,1]
	v_pk_fma_f32 v[126:127], v[120:121], v[116:117], v[124:125] op_sel:[0,0,1] op_sel_hi:[1,1,0] neg_lo:[0,0,1] neg_hi:[0,0,1]
	v_pk_fma_f32 v[120:121], v[120:121], v[116:117], v[124:125] op_sel:[0,0,1] op_sel_hi:[1,0,0]
	v_dual_mul_f32 v124, v123, v119 :: v_dual_mov_b32 v120, v123
	s_delay_alu instid0(VALU_DEP_2) | instskip(NEXT) | instid1(VALU_DEP_2)
	v_dual_mov_b32 v127, v121 :: v_dual_mov_b32 v121, v122
	v_pk_fma_f32 v[124:125], v[122:123], v[48:49], v[124:125] op_sel_hi:[1,1,0] neg_lo:[0,0,1] neg_hi:[0,0,1]
	v_mul_f32_e32 v122, v123, v116
	s_delay_alu instid0(VALU_DEP_3) | instskip(NEXT) | instid1(VALU_DEP_2)
	v_pk_add_f32 v[60:61], v[60:61], v[126:127] neg_lo:[0,1] neg_hi:[0,1]
	v_pk_fma_f32 v[120:121], v[120:121], v[48:49], v[122:123] op_sel_hi:[1,1,0]
	s_delay_alu instid0(VALU_DEP_1) | instskip(SKIP_4) | instid1(VALU_DEP_1)
	v_mov_b32_e32 v125, v121
	ds_load_2addr_b64 v[120:123], v166 offset0:17 offset1:18
	v_pk_add_f32 v[82:83], v[82:83], v[124:125] neg_lo:[0,1] neg_hi:[0,1]
	s_wait_dscnt 0x0
	v_pk_mul_f32 v[124:125], v[120:121], v[118:119] op_sel:[0,1]
	v_pk_fma_f32 v[126:127], v[120:121], v[116:117], v[124:125] op_sel:[0,0,1] op_sel_hi:[1,1,0] neg_lo:[0,0,1] neg_hi:[0,0,1]
	v_pk_fma_f32 v[120:121], v[120:121], v[116:117], v[124:125] op_sel:[0,0,1] op_sel_hi:[1,0,0]
	s_delay_alu instid0(VALU_DEP_1) | instskip(SKIP_1) | instid1(VALU_DEP_1)
	v_mov_b32_e32 v127, v121
	v_pk_mul_f32 v[120:121], v[122:123], v[118:119] op_sel:[0,1]
	v_pk_fma_f32 v[124:125], v[122:123], v[116:117], v[120:121] op_sel:[0,0,1] op_sel_hi:[1,1,0] neg_lo:[0,0,1] neg_hi:[0,0,1]
	v_pk_fma_f32 v[120:121], v[122:123], v[116:117], v[120:121] op_sel:[0,0,1] op_sel_hi:[1,0,0]
	s_delay_alu instid0(VALU_DEP_1)
	v_mov_b32_e32 v125, v121
	ds_load_2addr_b64 v[120:123], v166 offset0:19 offset1:20
	v_pk_add_f32 v[106:107], v[106:107], v[126:127] neg_lo:[0,1] neg_hi:[0,1]
	v_pk_add_f32 v[80:81], v[80:81], v[124:125] neg_lo:[0,1] neg_hi:[0,1]
	s_wait_dscnt 0x0
	v_pk_mul_f32 v[124:125], v[120:121], v[118:119] op_sel:[0,1]
	s_delay_alu instid0(VALU_DEP_1) | instskip(SKIP_1) | instid1(VALU_DEP_1)
	v_pk_fma_f32 v[126:127], v[120:121], v[116:117], v[124:125] op_sel:[0,0,1] op_sel_hi:[1,1,0] neg_lo:[0,0,1] neg_hi:[0,0,1]
	v_pk_fma_f32 v[120:121], v[120:121], v[116:117], v[124:125] op_sel:[0,0,1] op_sel_hi:[1,0,0]
	v_mov_b32_e32 v127, v121
	v_pk_mul_f32 v[120:121], v[122:123], v[118:119] op_sel:[0,1]
	s_delay_alu instid0(VALU_DEP_1) | instskip(SKIP_1) | instid1(VALU_DEP_1)
	v_pk_fma_f32 v[124:125], v[122:123], v[116:117], v[120:121] op_sel:[0,0,1] op_sel_hi:[1,1,0] neg_lo:[0,0,1] neg_hi:[0,0,1]
	v_pk_fma_f32 v[120:121], v[122:123], v[116:117], v[120:121] op_sel:[0,0,1] op_sel_hi:[1,0,0]
	v_mov_b32_e32 v125, v121
	ds_load_2addr_b64 v[120:123], v166 offset0:21 offset1:22
	v_pk_add_f32 v[78:79], v[78:79], v[126:127] neg_lo:[0,1] neg_hi:[0,1]
	v_pk_add_f32 v[98:99], v[98:99], v[124:125] neg_lo:[0,1] neg_hi:[0,1]
	s_wait_dscnt 0x0
	v_dual_mul_f32 v124, v121, v119 :: v_dual_mul_f32 v126, v121, v116
	s_delay_alu instid0(VALU_DEP_1) | instskip(NEXT) | instid1(VALU_DEP_2)
	v_pk_fma_f32 v[124:125], v[120:121], v[48:49], v[124:125] op_sel_hi:[1,1,0] neg_lo:[0,0,1] neg_hi:[0,0,1]
	v_pk_fma_f32 v[120:121], v[120:121], v[48:49], v[126:127] op_sel:[1,0,0] op_sel_hi:[0,1,0]
	s_delay_alu instid0(VALU_DEP_1) | instskip(SKIP_1) | instid1(VALU_DEP_2)
	v_mov_b32_e32 v125, v121
	v_pk_mul_f32 v[120:121], v[122:123], v[118:119] op_sel:[0,1]
	v_pk_add_f32 v[94:95], v[94:95], v[124:125] neg_lo:[0,1] neg_hi:[0,1]
	s_delay_alu instid0(VALU_DEP_2) | instskip(SKIP_1) | instid1(VALU_DEP_1)
	v_pk_fma_f32 v[124:125], v[122:123], v[116:117], v[120:121] op_sel:[0,0,1] op_sel_hi:[1,1,0] neg_lo:[0,0,1] neg_hi:[0,0,1]
	v_pk_fma_f32 v[120:121], v[122:123], v[116:117], v[120:121] op_sel:[0,0,1] op_sel_hi:[1,0,0]
	v_mov_b32_e32 v125, v121
	ds_load_2addr_b64 v[120:123], v166 offset0:23 offset1:24
	v_pk_add_f32 v[96:97], v[96:97], v[124:125] neg_lo:[0,1] neg_hi:[0,1]
	s_wait_dscnt 0x0
	v_pk_mul_f32 v[124:125], v[120:121], v[118:119] op_sel:[0,1]
	s_delay_alu instid0(VALU_DEP_1) | instskip(SKIP_1) | instid1(VALU_DEP_1)
	v_pk_fma_f32 v[126:127], v[120:121], v[116:117], v[124:125] op_sel:[0,0,1] op_sel_hi:[1,1,0] neg_lo:[0,0,1] neg_hi:[0,0,1]
	v_pk_fma_f32 v[120:121], v[120:121], v[116:117], v[124:125] op_sel:[0,0,1] op_sel_hi:[1,0,0]
	v_mov_b32_e32 v127, v121
	v_pk_mul_f32 v[120:121], v[122:123], v[118:119] op_sel:[0,1]
	s_delay_alu instid0(VALU_DEP_2) | instskip(NEXT) | instid1(VALU_DEP_2)
	v_pk_add_f32 v[104:105], v[104:105], v[126:127] neg_lo:[0,1] neg_hi:[0,1]
	v_pk_fma_f32 v[124:125], v[122:123], v[116:117], v[120:121] op_sel:[0,0,1] op_sel_hi:[1,1,0] neg_lo:[0,0,1] neg_hi:[0,0,1]
	v_pk_fma_f32 v[120:121], v[122:123], v[116:117], v[120:121] op_sel:[0,0,1] op_sel_hi:[1,0,0]
	s_delay_alu instid0(VALU_DEP_1)
	v_mov_b32_e32 v125, v121
	ds_load_2addr_b64 v[120:123], v166 offset0:25 offset1:26
	v_pk_add_f32 v[102:103], v[102:103], v[124:125] neg_lo:[0,1] neg_hi:[0,1]
	s_wait_dscnt 0x0
	v_pk_mul_f32 v[124:125], v[120:121], v[118:119] op_sel:[0,1]
	v_mul_f32_e32 v118, v123, v119
	s_delay_alu instid0(VALU_DEP_2) | instskip(SKIP_2) | instid1(VALU_DEP_4)
	v_pk_fma_f32 v[126:127], v[120:121], v[116:117], v[124:125] op_sel:[0,0,1] op_sel_hi:[1,1,0] neg_lo:[0,0,1] neg_hi:[0,0,1]
	v_pk_fma_f32 v[120:121], v[120:121], v[116:117], v[124:125] op_sel:[0,0,1] op_sel_hi:[1,0,0]
	v_dual_mov_b32 v120, v123 :: v_dual_mul_f32 v116, v123, v116
	v_pk_fma_f32 v[118:119], v[122:123], v[48:49], v[118:119] op_sel_hi:[1,1,0] neg_lo:[0,0,1] neg_hi:[0,0,1]
	s_delay_alu instid0(VALU_DEP_3) | instskip(NEXT) | instid1(VALU_DEP_1)
	v_dual_mov_b32 v127, v121 :: v_dual_mov_b32 v121, v122
	v_pk_add_f32 v[100:101], v[100:101], v[126:127] neg_lo:[0,1] neg_hi:[0,1]
	s_delay_alu instid0(VALU_DEP_2) | instskip(NEXT) | instid1(VALU_DEP_1)
	v_pk_fma_f32 v[116:117], v[120:121], v[48:49], v[116:117] op_sel_hi:[1,1,0]
	v_mov_b32_e32 v119, v117
	s_delay_alu instid0(VALU_DEP_1)
	v_pk_add_f32 v[108:109], v[108:109], v[118:119] neg_lo:[0,1] neg_hi:[0,1]
.LBB53_28:
	s_or_b32 exec_lo, exec_lo, s1
	s_delay_alu instid0(SALU_CYCLE_1)
	s_mov_b32 s2, exec_lo
	s_wait_dscnt 0x0
	s_barrier_signal -1
	s_barrier_wait -1
	v_cmpx_eq_u32_e32 3, v164
	s_cbranch_execz .LBB53_35
; %bb.29:
	v_dual_mov_b32 v116, v28 :: v_dual_mov_b32 v117, v29
	v_dual_mov_b32 v118, v24 :: v_dual_mov_b32 v119, v25
	;; [unrolled: 1-line block ×10, first 2 shown]
	ds_store_b64 v165, v[46:47]
	v_dual_mov_b32 v136, v64 :: v_dual_mov_b32 v137, v65
	v_dual_mov_b32 v138, v60 :: v_dual_mov_b32 v139, v61
	ds_store_2addr_b64 v166, v[116:117], v[118:119] offset0:4 offset1:5
	ds_store_2addr_b64 v166, v[120:121], v[122:123] offset0:6 offset1:7
	;; [unrolled: 1-line block ×6, first 2 shown]
	v_dual_mov_b32 v116, v82 :: v_dual_mov_b32 v117, v83
	v_dual_mov_b32 v118, v106 :: v_dual_mov_b32 v119, v107
	v_dual_mov_b32 v120, v80 :: v_dual_mov_b32 v121, v81
	v_dual_mov_b32 v122, v78 :: v_dual_mov_b32 v123, v79
	v_dual_mov_b32 v124, v98 :: v_dual_mov_b32 v125, v99
	v_dual_mov_b32 v126, v94 :: v_dual_mov_b32 v127, v95
	v_dual_mov_b32 v128, v96 :: v_dual_mov_b32 v129, v97
	v_dual_mov_b32 v130, v104 :: v_dual_mov_b32 v131, v105
	v_dual_mov_b32 v132, v102 :: v_dual_mov_b32 v133, v103
	v_dual_mov_b32 v134, v100 :: v_dual_mov_b32 v135, v101
	ds_store_2addr_b64 v166, v[116:117], v[118:119] offset0:16 offset1:17
	ds_store_2addr_b64 v166, v[120:121], v[122:123] offset0:18 offset1:19
	;; [unrolled: 1-line block ×5, first 2 shown]
	ds_store_b64 v166, v[108:109] offset:208
	ds_load_b64 v[116:117], v165
	s_wait_dscnt 0x0
	v_cmp_neq_f32_e32 vcc_lo, 0, v116
	v_cmp_neq_f32_e64 s1, 0, v117
	s_or_b32 s1, vcc_lo, s1
	s_delay_alu instid0(SALU_CYCLE_1)
	s_and_b32 exec_lo, exec_lo, s1
	s_cbranch_execz .LBB53_35
; %bb.30:
	v_cmp_ngt_f32_e64 s1, |v116|, |v117|
                                        ; implicit-def: $vgpr118_vgpr119
	s_and_saveexec_b32 s4, s1
	s_delay_alu instid0(SALU_CYCLE_1)
	s_xor_b32 s1, exec_lo, s4
	s_cbranch_execz .LBB53_32
; %bb.31:
	v_div_scale_f32 v118, null, v117, v117, v116
	v_div_scale_f32 v121, vcc_lo, v116, v117, v116
	s_delay_alu instid0(VALU_DEP_2) | instskip(SKIP_1) | instid1(TRANS32_DEP_1)
	v_rcp_f32_e32 v119, v118
	v_nop
	v_fma_f32 v120, -v118, v119, 1.0
	s_delay_alu instid0(VALU_DEP_1) | instskip(NEXT) | instid1(VALU_DEP_1)
	v_fmac_f32_e32 v119, v120, v119
	v_mul_f32_e32 v120, v121, v119
	s_delay_alu instid0(VALU_DEP_1) | instskip(NEXT) | instid1(VALU_DEP_1)
	v_fma_f32 v122, -v118, v120, v121
	v_fmac_f32_e32 v120, v122, v119
	s_delay_alu instid0(VALU_DEP_1) | instskip(NEXT) | instid1(VALU_DEP_1)
	v_fma_f32 v118, -v118, v120, v121
	v_div_fmas_f32 v118, v118, v119, v120
	s_delay_alu instid0(VALU_DEP_1) | instskip(NEXT) | instid1(VALU_DEP_1)
	v_div_fixup_f32 v118, v118, v117, v116
	v_fmac_f32_e32 v117, v116, v118
	s_delay_alu instid0(VALU_DEP_1) | instskip(SKIP_1) | instid1(VALU_DEP_2)
	v_div_scale_f32 v116, null, v117, v117, 1.0
	v_div_scale_f32 v121, vcc_lo, 1.0, v117, 1.0
	v_rcp_f32_e32 v119, v116
	v_nop
	s_delay_alu instid0(TRANS32_DEP_1) | instskip(NEXT) | instid1(VALU_DEP_1)
	v_fma_f32 v120, -v116, v119, 1.0
	v_fmac_f32_e32 v119, v120, v119
	s_delay_alu instid0(VALU_DEP_1) | instskip(NEXT) | instid1(VALU_DEP_1)
	v_mul_f32_e32 v120, v121, v119
	v_fma_f32 v122, -v116, v120, v121
	s_delay_alu instid0(VALU_DEP_1) | instskip(NEXT) | instid1(VALU_DEP_1)
	v_fmac_f32_e32 v120, v122, v119
	v_fma_f32 v116, -v116, v120, v121
	s_delay_alu instid0(VALU_DEP_1) | instskip(NEXT) | instid1(VALU_DEP_1)
	v_div_fmas_f32 v116, v116, v119, v120
	v_div_fixup_f32 v116, v116, v117, 1.0
	s_delay_alu instid0(VALU_DEP_1)
	v_mul_f32_e32 v118, v118, v116
	v_xor_b32_e32 v119, 0x80000000, v116
                                        ; implicit-def: $vgpr116_vgpr117
.LBB53_32:
	s_and_not1_saveexec_b32 s1, s1
	s_cbranch_execz .LBB53_34
; %bb.33:
	v_div_scale_f32 v118, null, v116, v116, v117
	v_div_scale_f32 v121, vcc_lo, v117, v116, v117
	s_delay_alu instid0(VALU_DEP_2) | instskip(SKIP_1) | instid1(TRANS32_DEP_1)
	v_rcp_f32_e32 v119, v118
	v_nop
	v_fma_f32 v120, -v118, v119, 1.0
	s_delay_alu instid0(VALU_DEP_1) | instskip(NEXT) | instid1(VALU_DEP_1)
	v_fmac_f32_e32 v119, v120, v119
	v_mul_f32_e32 v120, v121, v119
	s_delay_alu instid0(VALU_DEP_1) | instskip(NEXT) | instid1(VALU_DEP_1)
	v_fma_f32 v122, -v118, v120, v121
	v_fmac_f32_e32 v120, v122, v119
	s_delay_alu instid0(VALU_DEP_1) | instskip(NEXT) | instid1(VALU_DEP_1)
	v_fma_f32 v118, -v118, v120, v121
	v_div_fmas_f32 v118, v118, v119, v120
	s_delay_alu instid0(VALU_DEP_1) | instskip(NEXT) | instid1(VALU_DEP_1)
	v_div_fixup_f32 v119, v118, v116, v117
	v_fmac_f32_e32 v116, v117, v119
	s_delay_alu instid0(VALU_DEP_1) | instskip(NEXT) | instid1(VALU_DEP_1)
	v_div_scale_f32 v117, null, v116, v116, 1.0
	v_rcp_f32_e32 v118, v117
	v_nop
	s_delay_alu instid0(TRANS32_DEP_1) | instskip(NEXT) | instid1(VALU_DEP_1)
	v_fma_f32 v120, -v117, v118, 1.0
	v_fmac_f32_e32 v118, v120, v118
	v_div_scale_f32 v120, vcc_lo, 1.0, v116, 1.0
	s_delay_alu instid0(VALU_DEP_1) | instskip(NEXT) | instid1(VALU_DEP_1)
	v_mul_f32_e32 v121, v120, v118
	v_fma_f32 v122, -v117, v121, v120
	s_delay_alu instid0(VALU_DEP_1) | instskip(NEXT) | instid1(VALU_DEP_1)
	v_fmac_f32_e32 v121, v122, v118
	v_fma_f32 v117, -v117, v121, v120
	s_delay_alu instid0(VALU_DEP_1) | instskip(NEXT) | instid1(VALU_DEP_1)
	v_div_fmas_f32 v117, v117, v118, v121
	v_div_fixup_f32 v118, v117, v116, 1.0
	s_delay_alu instid0(VALU_DEP_1)
	v_mul_f32_e64 v119, v119, -v118
.LBB53_34:
	s_or_b32 exec_lo, exec_lo, s1
	ds_store_b64 v165, v[118:119]
.LBB53_35:
	s_or_b32 exec_lo, exec_lo, s2
	s_wait_dscnt 0x0
	s_barrier_signal -1
	s_barrier_wait -1
	ds_load_b64 v[116:117], v165
	s_mov_b32 s1, exec_lo
	v_cmpx_lt_u32_e32 3, v164
	s_cbranch_execz .LBB53_37
; %bb.36:
	ds_load_2addr_b64 v[122:125], v166 offset0:4 offset1:5
	s_wait_dscnt 0x1
	v_pk_mul_f32 v[120:121], v[116:117], v[46:47] op_sel:[1,1] op_sel_hi:[0,1]
	s_delay_alu instid0(VALU_DEP_1) | instskip(SKIP_1) | instid1(VALU_DEP_1)
	v_pk_fma_f32 v[118:119], v[116:117], v[46:47], v[120:121] op_sel_hi:[1,0,1] neg_lo:[0,0,1] neg_hi:[0,0,1]
	v_pk_fma_f32 v[120:121], v[116:117], v[46:47], v[120:121] op_sel_hi:[1,0,1]
	v_dual_mov_b32 v46, v118 :: v_dual_mov_b32 v47, v121
	s_wait_dscnt 0x0
	s_delay_alu instid0(VALU_DEP_2) | instskip(NEXT) | instid1(VALU_DEP_1)
	v_pk_mul_f32 v[126:127], v[122:123], v[120:121] op_sel:[0,1]
	v_pk_fma_f32 v[128:129], v[122:123], v[118:119], v[126:127] op_sel:[0,0,1] op_sel_hi:[1,1,0] neg_lo:[0,0,1] neg_hi:[0,0,1]
	v_pk_fma_f32 v[122:123], v[122:123], v[118:119], v[126:127] op_sel:[0,0,1] op_sel_hi:[1,0,0]
	s_delay_alu instid0(VALU_DEP_1) | instskip(SKIP_1) | instid1(VALU_DEP_1)
	v_mov_b32_e32 v129, v123
	v_pk_mul_f32 v[122:123], v[124:125], v[120:121] op_sel:[0,1]
	v_pk_fma_f32 v[126:127], v[124:125], v[118:119], v[122:123] op_sel:[0,0,1] op_sel_hi:[1,1,0] neg_lo:[0,0,1] neg_hi:[0,0,1]
	v_pk_fma_f32 v[122:123], v[124:125], v[118:119], v[122:123] op_sel:[0,0,1] op_sel_hi:[1,0,0]
	s_delay_alu instid0(VALU_DEP_1)
	v_mov_b32_e32 v127, v123
	ds_load_2addr_b64 v[122:125], v166 offset0:6 offset1:7
	v_pk_add_f32 v[28:29], v[28:29], v[128:129] neg_lo:[0,1] neg_hi:[0,1]
	v_pk_add_f32 v[24:25], v[24:25], v[126:127] neg_lo:[0,1] neg_hi:[0,1]
	s_wait_dscnt 0x0
	v_pk_mul_f32 v[126:127], v[122:123], v[120:121] op_sel:[0,1]
	s_delay_alu instid0(VALU_DEP_1) | instskip(SKIP_2) | instid1(VALU_DEP_2)
	v_pk_fma_f32 v[128:129], v[122:123], v[118:119], v[126:127] op_sel:[0,0,1] op_sel_hi:[1,1,0] neg_lo:[0,0,1] neg_hi:[0,0,1]
	v_pk_fma_f32 v[122:123], v[122:123], v[118:119], v[126:127] op_sel:[0,0,1] op_sel_hi:[1,0,0]
	v_dual_mul_f32 v126, v125, v121 :: v_dual_mov_b32 v122, v125
	v_dual_mov_b32 v129, v123 :: v_dual_mov_b32 v123, v124
	s_delay_alu instid0(VALU_DEP_2) | instskip(SKIP_1) | instid1(VALU_DEP_3)
	v_pk_fma_f32 v[126:127], v[124:125], v[46:47], v[126:127] op_sel_hi:[1,1,0] neg_lo:[0,0,1] neg_hi:[0,0,1]
	v_mul_f32_e32 v124, v125, v118
	v_pk_add_f32 v[26:27], v[26:27], v[128:129] neg_lo:[0,1] neg_hi:[0,1]
	s_delay_alu instid0(VALU_DEP_2) | instskip(NEXT) | instid1(VALU_DEP_1)
	v_pk_fma_f32 v[122:123], v[122:123], v[46:47], v[124:125] op_sel_hi:[1,1,0]
	v_mov_b32_e32 v127, v123
	ds_load_2addr_b64 v[122:125], v166 offset0:8 offset1:9
	v_pk_add_f32 v[22:23], v[22:23], v[126:127] neg_lo:[0,1] neg_hi:[0,1]
	s_wait_dscnt 0x0
	v_pk_mul_f32 v[126:127], v[122:123], v[120:121] op_sel:[0,1]
	s_delay_alu instid0(VALU_DEP_1) | instskip(SKIP_1) | instid1(VALU_DEP_1)
	v_pk_fma_f32 v[128:129], v[122:123], v[118:119], v[126:127] op_sel:[0,0,1] op_sel_hi:[1,1,0] neg_lo:[0,0,1] neg_hi:[0,0,1]
	v_pk_fma_f32 v[122:123], v[122:123], v[118:119], v[126:127] op_sel:[0,0,1] op_sel_hi:[1,0,0]
	v_mov_b32_e32 v129, v123
	v_pk_mul_f32 v[122:123], v[124:125], v[120:121] op_sel:[0,1]
	s_delay_alu instid0(VALU_DEP_1) | instskip(SKIP_1) | instid1(VALU_DEP_1)
	v_pk_fma_f32 v[126:127], v[124:125], v[118:119], v[122:123] op_sel:[0,0,1] op_sel_hi:[1,1,0] neg_lo:[0,0,1] neg_hi:[0,0,1]
	v_pk_fma_f32 v[122:123], v[124:125], v[118:119], v[122:123] op_sel:[0,0,1] op_sel_hi:[1,0,0]
	v_mov_b32_e32 v127, v123
	ds_load_2addr_b64 v[122:125], v166 offset0:10 offset1:11
	v_pk_add_f32 v[42:43], v[42:43], v[128:129] neg_lo:[0,1] neg_hi:[0,1]
	v_pk_add_f32 v[38:39], v[38:39], v[126:127] neg_lo:[0,1] neg_hi:[0,1]
	s_wait_dscnt 0x0
	v_pk_mul_f32 v[126:127], v[122:123], v[120:121] op_sel:[0,1]
	s_delay_alu instid0(VALU_DEP_1) | instskip(SKIP_1) | instid1(VALU_DEP_1)
	v_pk_fma_f32 v[128:129], v[122:123], v[118:119], v[126:127] op_sel:[0,0,1] op_sel_hi:[1,1,0] neg_lo:[0,0,1] neg_hi:[0,0,1]
	v_pk_fma_f32 v[122:123], v[122:123], v[118:119], v[126:127] op_sel:[0,0,1] op_sel_hi:[1,0,0]
	v_mov_b32_e32 v129, v123
	v_pk_mul_f32 v[122:123], v[124:125], v[120:121] op_sel:[0,1]
	s_delay_alu instid0(VALU_DEP_1) | instskip(SKIP_1) | instid1(VALU_DEP_1)
	v_pk_fma_f32 v[126:127], v[124:125], v[118:119], v[122:123] op_sel:[0,0,1] op_sel_hi:[1,1,0] neg_lo:[0,0,1] neg_hi:[0,0,1]
	v_pk_fma_f32 v[122:123], v[124:125], v[118:119], v[122:123] op_sel:[0,0,1] op_sel_hi:[1,0,0]
	v_mov_b32_e32 v127, v123
	ds_load_2addr_b64 v[122:125], v166 offset0:12 offset1:13
	v_pk_add_f32 v[40:41], v[40:41], v[128:129] neg_lo:[0,1] neg_hi:[0,1]
	v_pk_add_f32 v[36:37], v[36:37], v[126:127] neg_lo:[0,1] neg_hi:[0,1]
	s_wait_dscnt 0x0
	v_dual_mul_f32 v126, v123, v121 :: v_dual_mul_f32 v128, v123, v118
	s_delay_alu instid0(VALU_DEP_1) | instskip(NEXT) | instid1(VALU_DEP_2)
	v_pk_fma_f32 v[126:127], v[122:123], v[46:47], v[126:127] op_sel_hi:[1,1,0] neg_lo:[0,0,1] neg_hi:[0,0,1]
	v_pk_fma_f32 v[122:123], v[122:123], v[46:47], v[128:129] op_sel:[1,0,0] op_sel_hi:[0,1,0]
	s_delay_alu instid0(VALU_DEP_1) | instskip(SKIP_1) | instid1(VALU_DEP_2)
	v_mov_b32_e32 v127, v123
	v_pk_mul_f32 v[122:123], v[124:125], v[120:121] op_sel:[0,1]
	v_pk_add_f32 v[66:67], v[66:67], v[126:127] neg_lo:[0,1] neg_hi:[0,1]
	s_delay_alu instid0(VALU_DEP_2) | instskip(SKIP_1) | instid1(VALU_DEP_1)
	v_pk_fma_f32 v[126:127], v[124:125], v[118:119], v[122:123] op_sel:[0,0,1] op_sel_hi:[1,1,0] neg_lo:[0,0,1] neg_hi:[0,0,1]
	v_pk_fma_f32 v[122:123], v[124:125], v[118:119], v[122:123] op_sel:[0,0,1] op_sel_hi:[1,0,0]
	v_mov_b32_e32 v127, v123
	ds_load_2addr_b64 v[122:125], v166 offset0:14 offset1:15
	v_pk_add_f32 v[62:63], v[62:63], v[126:127] neg_lo:[0,1] neg_hi:[0,1]
	s_wait_dscnt 0x0
	v_pk_mul_f32 v[126:127], v[122:123], v[120:121] op_sel:[0,1]
	s_delay_alu instid0(VALU_DEP_1) | instskip(SKIP_1) | instid1(VALU_DEP_1)
	v_pk_fma_f32 v[128:129], v[122:123], v[118:119], v[126:127] op_sel:[0,0,1] op_sel_hi:[1,1,0] neg_lo:[0,0,1] neg_hi:[0,0,1]
	v_pk_fma_f32 v[122:123], v[122:123], v[118:119], v[126:127] op_sel:[0,0,1] op_sel_hi:[1,0,0]
	v_mov_b32_e32 v129, v123
	v_pk_mul_f32 v[122:123], v[124:125], v[120:121] op_sel:[0,1]
	s_delay_alu instid0(VALU_DEP_2) | instskip(NEXT) | instid1(VALU_DEP_2)
	v_pk_add_f32 v[64:65], v[64:65], v[128:129] neg_lo:[0,1] neg_hi:[0,1]
	v_pk_fma_f32 v[126:127], v[124:125], v[118:119], v[122:123] op_sel:[0,0,1] op_sel_hi:[1,1,0] neg_lo:[0,0,1] neg_hi:[0,0,1]
	v_pk_fma_f32 v[122:123], v[124:125], v[118:119], v[122:123] op_sel:[0,0,1] op_sel_hi:[1,0,0]
	s_delay_alu instid0(VALU_DEP_1) | instskip(SKIP_4) | instid1(VALU_DEP_1)
	v_mov_b32_e32 v127, v123
	ds_load_2addr_b64 v[122:125], v166 offset0:16 offset1:17
	v_pk_add_f32 v[60:61], v[60:61], v[126:127] neg_lo:[0,1] neg_hi:[0,1]
	s_wait_dscnt 0x0
	v_pk_mul_f32 v[126:127], v[122:123], v[120:121] op_sel:[0,1]
	v_pk_fma_f32 v[128:129], v[122:123], v[118:119], v[126:127] op_sel:[0,0,1] op_sel_hi:[1,1,0] neg_lo:[0,0,1] neg_hi:[0,0,1]
	v_pk_fma_f32 v[122:123], v[122:123], v[118:119], v[126:127] op_sel:[0,0,1] op_sel_hi:[1,0,0]
	v_dual_mul_f32 v126, v125, v121 :: v_dual_mov_b32 v122, v125
	s_delay_alu instid0(VALU_DEP_2) | instskip(NEXT) | instid1(VALU_DEP_2)
	v_dual_mov_b32 v129, v123 :: v_dual_mov_b32 v123, v124
	v_pk_fma_f32 v[126:127], v[124:125], v[46:47], v[126:127] op_sel_hi:[1,1,0] neg_lo:[0,0,1] neg_hi:[0,0,1]
	v_mul_f32_e32 v124, v125, v118
	s_delay_alu instid0(VALU_DEP_3) | instskip(NEXT) | instid1(VALU_DEP_2)
	v_pk_add_f32 v[82:83], v[82:83], v[128:129] neg_lo:[0,1] neg_hi:[0,1]
	v_pk_fma_f32 v[122:123], v[122:123], v[46:47], v[124:125] op_sel_hi:[1,1,0]
	s_delay_alu instid0(VALU_DEP_1) | instskip(SKIP_4) | instid1(VALU_DEP_1)
	v_mov_b32_e32 v127, v123
	ds_load_2addr_b64 v[122:125], v166 offset0:18 offset1:19
	v_pk_add_f32 v[106:107], v[106:107], v[126:127] neg_lo:[0,1] neg_hi:[0,1]
	s_wait_dscnt 0x0
	v_pk_mul_f32 v[126:127], v[122:123], v[120:121] op_sel:[0,1]
	v_pk_fma_f32 v[128:129], v[122:123], v[118:119], v[126:127] op_sel:[0,0,1] op_sel_hi:[1,1,0] neg_lo:[0,0,1] neg_hi:[0,0,1]
	v_pk_fma_f32 v[122:123], v[122:123], v[118:119], v[126:127] op_sel:[0,0,1] op_sel_hi:[1,0,0]
	s_delay_alu instid0(VALU_DEP_1) | instskip(SKIP_1) | instid1(VALU_DEP_1)
	v_mov_b32_e32 v129, v123
	v_pk_mul_f32 v[122:123], v[124:125], v[120:121] op_sel:[0,1]
	v_pk_fma_f32 v[126:127], v[124:125], v[118:119], v[122:123] op_sel:[0,0,1] op_sel_hi:[1,1,0] neg_lo:[0,0,1] neg_hi:[0,0,1]
	v_pk_fma_f32 v[122:123], v[124:125], v[118:119], v[122:123] op_sel:[0,0,1] op_sel_hi:[1,0,0]
	s_delay_alu instid0(VALU_DEP_1)
	v_mov_b32_e32 v127, v123
	ds_load_2addr_b64 v[122:125], v166 offset0:20 offset1:21
	v_pk_add_f32 v[80:81], v[80:81], v[128:129] neg_lo:[0,1] neg_hi:[0,1]
	v_pk_add_f32 v[78:79], v[78:79], v[126:127] neg_lo:[0,1] neg_hi:[0,1]
	s_wait_dscnt 0x0
	v_pk_mul_f32 v[126:127], v[122:123], v[120:121] op_sel:[0,1]
	s_delay_alu instid0(VALU_DEP_1) | instskip(SKIP_1) | instid1(VALU_DEP_1)
	v_pk_fma_f32 v[128:129], v[122:123], v[118:119], v[126:127] op_sel:[0,0,1] op_sel_hi:[1,1,0] neg_lo:[0,0,1] neg_hi:[0,0,1]
	v_pk_fma_f32 v[122:123], v[122:123], v[118:119], v[126:127] op_sel:[0,0,1] op_sel_hi:[1,0,0]
	v_mov_b32_e32 v129, v123
	v_pk_mul_f32 v[122:123], v[124:125], v[120:121] op_sel:[0,1]
	s_delay_alu instid0(VALU_DEP_1) | instskip(SKIP_1) | instid1(VALU_DEP_1)
	v_pk_fma_f32 v[126:127], v[124:125], v[118:119], v[122:123] op_sel:[0,0,1] op_sel_hi:[1,1,0] neg_lo:[0,0,1] neg_hi:[0,0,1]
	v_pk_fma_f32 v[122:123], v[124:125], v[118:119], v[122:123] op_sel:[0,0,1] op_sel_hi:[1,0,0]
	v_mov_b32_e32 v127, v123
	ds_load_2addr_b64 v[122:125], v166 offset0:22 offset1:23
	v_pk_add_f32 v[98:99], v[98:99], v[128:129] neg_lo:[0,1] neg_hi:[0,1]
	v_pk_add_f32 v[94:95], v[94:95], v[126:127] neg_lo:[0,1] neg_hi:[0,1]
	s_wait_dscnt 0x0
	v_dual_mul_f32 v126, v123, v121 :: v_dual_mul_f32 v128, v123, v118
	s_delay_alu instid0(VALU_DEP_1) | instskip(NEXT) | instid1(VALU_DEP_2)
	v_pk_fma_f32 v[126:127], v[122:123], v[46:47], v[126:127] op_sel_hi:[1,1,0] neg_lo:[0,0,1] neg_hi:[0,0,1]
	v_pk_fma_f32 v[122:123], v[122:123], v[46:47], v[128:129] op_sel:[1,0,0] op_sel_hi:[0,1,0]
	s_delay_alu instid0(VALU_DEP_1) | instskip(SKIP_1) | instid1(VALU_DEP_2)
	v_mov_b32_e32 v127, v123
	v_pk_mul_f32 v[122:123], v[124:125], v[120:121] op_sel:[0,1]
	v_pk_add_f32 v[96:97], v[96:97], v[126:127] neg_lo:[0,1] neg_hi:[0,1]
	s_delay_alu instid0(VALU_DEP_2) | instskip(SKIP_1) | instid1(VALU_DEP_1)
	v_pk_fma_f32 v[126:127], v[124:125], v[118:119], v[122:123] op_sel:[0,0,1] op_sel_hi:[1,1,0] neg_lo:[0,0,1] neg_hi:[0,0,1]
	v_pk_fma_f32 v[122:123], v[124:125], v[118:119], v[122:123] op_sel:[0,0,1] op_sel_hi:[1,0,0]
	v_mov_b32_e32 v127, v123
	ds_load_2addr_b64 v[122:125], v166 offset0:24 offset1:25
	v_pk_add_f32 v[104:105], v[104:105], v[126:127] neg_lo:[0,1] neg_hi:[0,1]
	s_wait_dscnt 0x0
	v_pk_mul_f32 v[126:127], v[122:123], v[120:121] op_sel:[0,1]
	s_delay_alu instid0(VALU_DEP_1) | instskip(SKIP_1) | instid1(VALU_DEP_1)
	v_pk_fma_f32 v[128:129], v[122:123], v[118:119], v[126:127] op_sel:[0,0,1] op_sel_hi:[1,1,0] neg_lo:[0,0,1] neg_hi:[0,0,1]
	v_pk_fma_f32 v[122:123], v[122:123], v[118:119], v[126:127] op_sel:[0,0,1] op_sel_hi:[1,0,0]
	v_mov_b32_e32 v129, v123
	v_pk_mul_f32 v[122:123], v[124:125], v[120:121] op_sel:[0,1]
	s_delay_alu instid0(VALU_DEP_2) | instskip(NEXT) | instid1(VALU_DEP_2)
	v_pk_add_f32 v[102:103], v[102:103], v[128:129] neg_lo:[0,1] neg_hi:[0,1]
	v_pk_fma_f32 v[126:127], v[124:125], v[118:119], v[122:123] op_sel:[0,0,1] op_sel_hi:[1,1,0] neg_lo:[0,0,1] neg_hi:[0,0,1]
	v_pk_fma_f32 v[122:123], v[124:125], v[118:119], v[122:123] op_sel:[0,0,1] op_sel_hi:[1,0,0]
	s_delay_alu instid0(VALU_DEP_1) | instskip(SKIP_4) | instid1(VALU_DEP_1)
	v_mov_b32_e32 v127, v123
	ds_load_b64 v[122:123], v166 offset:208
	v_pk_add_f32 v[100:101], v[100:101], v[126:127] neg_lo:[0,1] neg_hi:[0,1]
	s_wait_dscnt 0x0
	v_pk_mul_f32 v[120:121], v[122:123], v[120:121] op_sel:[0,1]
	v_pk_fma_f32 v[124:125], v[122:123], v[118:119], v[120:121] op_sel:[0,0,1] op_sel_hi:[1,1,0] neg_lo:[0,0,1] neg_hi:[0,0,1]
	v_pk_fma_f32 v[118:119], v[122:123], v[118:119], v[120:121] op_sel:[0,0,1] op_sel_hi:[1,0,0]
	s_delay_alu instid0(VALU_DEP_1) | instskip(NEXT) | instid1(VALU_DEP_1)
	v_mov_b32_e32 v125, v119
	v_pk_add_f32 v[108:109], v[108:109], v[124:125] neg_lo:[0,1] neg_hi:[0,1]
.LBB53_37:
	s_or_b32 exec_lo, exec_lo, s1
	s_delay_alu instid0(SALU_CYCLE_1)
	s_mov_b32 s2, exec_lo
	s_wait_dscnt 0x0
	s_barrier_signal -1
	s_barrier_wait -1
	v_cmpx_eq_u32_e32 4, v164
	s_cbranch_execz .LBB53_44
; %bb.38:
	ds_store_b64 v165, v[28:29]
	ds_store_2addr_b64 v166, v[24:25], v[26:27] offset0:5 offset1:6
	ds_store_2addr_b64 v166, v[22:23], v[42:43] offset0:7 offset1:8
	;; [unrolled: 1-line block ×11, first 2 shown]
	ds_load_b64 v[118:119], v165
	s_wait_dscnt 0x0
	v_cmp_neq_f32_e32 vcc_lo, 0, v118
	v_cmp_neq_f32_e64 s1, 0, v119
	s_or_b32 s1, vcc_lo, s1
	s_delay_alu instid0(SALU_CYCLE_1)
	s_and_b32 exec_lo, exec_lo, s1
	s_cbranch_execz .LBB53_44
; %bb.39:
	v_cmp_ngt_f32_e64 s1, |v118|, |v119|
                                        ; implicit-def: $vgpr120_vgpr121
	s_and_saveexec_b32 s4, s1
	s_delay_alu instid0(SALU_CYCLE_1)
	s_xor_b32 s1, exec_lo, s4
	s_cbranch_execz .LBB53_41
; %bb.40:
	v_div_scale_f32 v120, null, v119, v119, v118
	v_div_scale_f32 v123, vcc_lo, v118, v119, v118
	s_delay_alu instid0(VALU_DEP_2) | instskip(SKIP_1) | instid1(TRANS32_DEP_1)
	v_rcp_f32_e32 v121, v120
	v_nop
	v_fma_f32 v122, -v120, v121, 1.0
	s_delay_alu instid0(VALU_DEP_1) | instskip(NEXT) | instid1(VALU_DEP_1)
	v_fmac_f32_e32 v121, v122, v121
	v_mul_f32_e32 v122, v123, v121
	s_delay_alu instid0(VALU_DEP_1) | instskip(NEXT) | instid1(VALU_DEP_1)
	v_fma_f32 v124, -v120, v122, v123
	v_fmac_f32_e32 v122, v124, v121
	s_delay_alu instid0(VALU_DEP_1) | instskip(NEXT) | instid1(VALU_DEP_1)
	v_fma_f32 v120, -v120, v122, v123
	v_div_fmas_f32 v120, v120, v121, v122
	s_delay_alu instid0(VALU_DEP_1) | instskip(NEXT) | instid1(VALU_DEP_1)
	v_div_fixup_f32 v120, v120, v119, v118
	v_fmac_f32_e32 v119, v118, v120
	s_delay_alu instid0(VALU_DEP_1) | instskip(SKIP_1) | instid1(VALU_DEP_2)
	v_div_scale_f32 v118, null, v119, v119, 1.0
	v_div_scale_f32 v123, vcc_lo, 1.0, v119, 1.0
	v_rcp_f32_e32 v121, v118
	v_nop
	s_delay_alu instid0(TRANS32_DEP_1) | instskip(NEXT) | instid1(VALU_DEP_1)
	v_fma_f32 v122, -v118, v121, 1.0
	v_fmac_f32_e32 v121, v122, v121
	s_delay_alu instid0(VALU_DEP_1) | instskip(NEXT) | instid1(VALU_DEP_1)
	v_mul_f32_e32 v122, v123, v121
	v_fma_f32 v124, -v118, v122, v123
	s_delay_alu instid0(VALU_DEP_1) | instskip(NEXT) | instid1(VALU_DEP_1)
	v_fmac_f32_e32 v122, v124, v121
	v_fma_f32 v118, -v118, v122, v123
	s_delay_alu instid0(VALU_DEP_1) | instskip(NEXT) | instid1(VALU_DEP_1)
	v_div_fmas_f32 v118, v118, v121, v122
	v_div_fixup_f32 v118, v118, v119, 1.0
	s_delay_alu instid0(VALU_DEP_1)
	v_mul_f32_e32 v120, v120, v118
	v_xor_b32_e32 v121, 0x80000000, v118
                                        ; implicit-def: $vgpr118_vgpr119
.LBB53_41:
	s_and_not1_saveexec_b32 s1, s1
	s_cbranch_execz .LBB53_43
; %bb.42:
	v_div_scale_f32 v120, null, v118, v118, v119
	v_div_scale_f32 v123, vcc_lo, v119, v118, v119
	s_delay_alu instid0(VALU_DEP_2) | instskip(SKIP_1) | instid1(TRANS32_DEP_1)
	v_rcp_f32_e32 v121, v120
	v_nop
	v_fma_f32 v122, -v120, v121, 1.0
	s_delay_alu instid0(VALU_DEP_1) | instskip(NEXT) | instid1(VALU_DEP_1)
	v_fmac_f32_e32 v121, v122, v121
	v_mul_f32_e32 v122, v123, v121
	s_delay_alu instid0(VALU_DEP_1) | instskip(NEXT) | instid1(VALU_DEP_1)
	v_fma_f32 v124, -v120, v122, v123
	v_fmac_f32_e32 v122, v124, v121
	s_delay_alu instid0(VALU_DEP_1) | instskip(NEXT) | instid1(VALU_DEP_1)
	v_fma_f32 v120, -v120, v122, v123
	v_div_fmas_f32 v120, v120, v121, v122
	s_delay_alu instid0(VALU_DEP_1) | instskip(NEXT) | instid1(VALU_DEP_1)
	v_div_fixup_f32 v121, v120, v118, v119
	v_fmac_f32_e32 v118, v119, v121
	s_delay_alu instid0(VALU_DEP_1) | instskip(NEXT) | instid1(VALU_DEP_1)
	v_div_scale_f32 v119, null, v118, v118, 1.0
	v_rcp_f32_e32 v120, v119
	v_nop
	s_delay_alu instid0(TRANS32_DEP_1) | instskip(NEXT) | instid1(VALU_DEP_1)
	v_fma_f32 v122, -v119, v120, 1.0
	v_fmac_f32_e32 v120, v122, v120
	v_div_scale_f32 v122, vcc_lo, 1.0, v118, 1.0
	s_delay_alu instid0(VALU_DEP_1) | instskip(NEXT) | instid1(VALU_DEP_1)
	v_mul_f32_e32 v123, v122, v120
	v_fma_f32 v124, -v119, v123, v122
	s_delay_alu instid0(VALU_DEP_1) | instskip(NEXT) | instid1(VALU_DEP_1)
	v_fmac_f32_e32 v123, v124, v120
	v_fma_f32 v119, -v119, v123, v122
	s_delay_alu instid0(VALU_DEP_1) | instskip(NEXT) | instid1(VALU_DEP_1)
	v_div_fmas_f32 v119, v119, v120, v123
	v_div_fixup_f32 v120, v119, v118, 1.0
	s_delay_alu instid0(VALU_DEP_1)
	v_mul_f32_e64 v121, v121, -v120
.LBB53_43:
	s_or_b32 exec_lo, exec_lo, s1
	ds_store_b64 v165, v[120:121]
.LBB53_44:
	s_or_b32 exec_lo, exec_lo, s2
	s_wait_dscnt 0x0
	s_barrier_signal -1
	s_barrier_wait -1
	ds_load_b64 v[118:119], v165
	s_mov_b32 s1, exec_lo
	v_cmpx_lt_u32_e32 4, v164
	s_cbranch_execz .LBB53_46
; %bb.45:
	ds_load_2addr_b64 v[124:127], v166 offset0:5 offset1:6
	s_wait_dscnt 0x1
	v_pk_mul_f32 v[122:123], v[118:119], v[28:29] op_sel:[1,1] op_sel_hi:[0,1]
	s_delay_alu instid0(VALU_DEP_1) | instskip(SKIP_1) | instid1(VALU_DEP_1)
	v_pk_fma_f32 v[120:121], v[118:119], v[28:29], v[122:123] op_sel_hi:[1,0,1] neg_lo:[0,0,1] neg_hi:[0,0,1]
	v_pk_fma_f32 v[122:123], v[118:119], v[28:29], v[122:123] op_sel_hi:[1,0,1]
	v_dual_mov_b32 v28, v120 :: v_dual_mov_b32 v29, v123
	s_wait_dscnt 0x0
	s_delay_alu instid0(VALU_DEP_2) | instskip(NEXT) | instid1(VALU_DEP_1)
	v_pk_mul_f32 v[128:129], v[124:125], v[122:123] op_sel:[0,1]
	v_pk_fma_f32 v[130:131], v[124:125], v[120:121], v[128:129] op_sel:[0,0,1] op_sel_hi:[1,1,0] neg_lo:[0,0,1] neg_hi:[0,0,1]
	v_pk_fma_f32 v[124:125], v[124:125], v[120:121], v[128:129] op_sel:[0,0,1] op_sel_hi:[1,0,0]
	s_delay_alu instid0(VALU_DEP_1) | instskip(SKIP_1) | instid1(VALU_DEP_1)
	v_mov_b32_e32 v131, v125
	v_pk_mul_f32 v[124:125], v[126:127], v[122:123] op_sel:[0,1]
	v_pk_fma_f32 v[128:129], v[126:127], v[120:121], v[124:125] op_sel:[0,0,1] op_sel_hi:[1,1,0] neg_lo:[0,0,1] neg_hi:[0,0,1]
	v_pk_fma_f32 v[124:125], v[126:127], v[120:121], v[124:125] op_sel:[0,0,1] op_sel_hi:[1,0,0]
	s_delay_alu instid0(VALU_DEP_1)
	v_mov_b32_e32 v129, v125
	ds_load_2addr_b64 v[124:127], v166 offset0:7 offset1:8
	v_pk_add_f32 v[24:25], v[24:25], v[130:131] neg_lo:[0,1] neg_hi:[0,1]
	v_pk_add_f32 v[26:27], v[26:27], v[128:129] neg_lo:[0,1] neg_hi:[0,1]
	s_wait_dscnt 0x0
	v_pk_mul_f32 v[128:129], v[124:125], v[122:123] op_sel:[0,1]
	s_delay_alu instid0(VALU_DEP_1) | instskip(SKIP_2) | instid1(VALU_DEP_2)
	v_pk_fma_f32 v[130:131], v[124:125], v[120:121], v[128:129] op_sel:[0,0,1] op_sel_hi:[1,1,0] neg_lo:[0,0,1] neg_hi:[0,0,1]
	v_pk_fma_f32 v[124:125], v[124:125], v[120:121], v[128:129] op_sel:[0,0,1] op_sel_hi:[1,0,0]
	v_dual_mul_f32 v128, v127, v123 :: v_dual_mov_b32 v124, v127
	v_dual_mov_b32 v131, v125 :: v_dual_mov_b32 v125, v126
	s_delay_alu instid0(VALU_DEP_2) | instskip(SKIP_1) | instid1(VALU_DEP_3)
	v_pk_fma_f32 v[128:129], v[126:127], v[28:29], v[128:129] op_sel_hi:[1,1,0] neg_lo:[0,0,1] neg_hi:[0,0,1]
	v_mul_f32_e32 v126, v127, v120
	v_pk_add_f32 v[22:23], v[22:23], v[130:131] neg_lo:[0,1] neg_hi:[0,1]
	s_delay_alu instid0(VALU_DEP_2) | instskip(NEXT) | instid1(VALU_DEP_1)
	v_pk_fma_f32 v[124:125], v[124:125], v[28:29], v[126:127] op_sel_hi:[1,1,0]
	v_mov_b32_e32 v129, v125
	ds_load_2addr_b64 v[124:127], v166 offset0:9 offset1:10
	v_pk_add_f32 v[42:43], v[42:43], v[128:129] neg_lo:[0,1] neg_hi:[0,1]
	s_wait_dscnt 0x0
	v_pk_mul_f32 v[128:129], v[124:125], v[122:123] op_sel:[0,1]
	s_delay_alu instid0(VALU_DEP_1) | instskip(SKIP_1) | instid1(VALU_DEP_1)
	v_pk_fma_f32 v[130:131], v[124:125], v[120:121], v[128:129] op_sel:[0,0,1] op_sel_hi:[1,1,0] neg_lo:[0,0,1] neg_hi:[0,0,1]
	v_pk_fma_f32 v[124:125], v[124:125], v[120:121], v[128:129] op_sel:[0,0,1] op_sel_hi:[1,0,0]
	v_mov_b32_e32 v131, v125
	v_pk_mul_f32 v[124:125], v[126:127], v[122:123] op_sel:[0,1]
	s_delay_alu instid0(VALU_DEP_1) | instskip(SKIP_1) | instid1(VALU_DEP_1)
	v_pk_fma_f32 v[128:129], v[126:127], v[120:121], v[124:125] op_sel:[0,0,1] op_sel_hi:[1,1,0] neg_lo:[0,0,1] neg_hi:[0,0,1]
	v_pk_fma_f32 v[124:125], v[126:127], v[120:121], v[124:125] op_sel:[0,0,1] op_sel_hi:[1,0,0]
	v_mov_b32_e32 v129, v125
	ds_load_2addr_b64 v[124:127], v166 offset0:11 offset1:12
	v_pk_add_f32 v[38:39], v[38:39], v[130:131] neg_lo:[0,1] neg_hi:[0,1]
	v_pk_add_f32 v[40:41], v[40:41], v[128:129] neg_lo:[0,1] neg_hi:[0,1]
	s_wait_dscnt 0x0
	v_pk_mul_f32 v[128:129], v[124:125], v[122:123] op_sel:[0,1]
	s_delay_alu instid0(VALU_DEP_1) | instskip(SKIP_1) | instid1(VALU_DEP_1)
	v_pk_fma_f32 v[130:131], v[124:125], v[120:121], v[128:129] op_sel:[0,0,1] op_sel_hi:[1,1,0] neg_lo:[0,0,1] neg_hi:[0,0,1]
	v_pk_fma_f32 v[124:125], v[124:125], v[120:121], v[128:129] op_sel:[0,0,1] op_sel_hi:[1,0,0]
	v_mov_b32_e32 v131, v125
	v_pk_mul_f32 v[124:125], v[126:127], v[122:123] op_sel:[0,1]
	s_delay_alu instid0(VALU_DEP_1) | instskip(SKIP_1) | instid1(VALU_DEP_1)
	v_pk_fma_f32 v[128:129], v[126:127], v[120:121], v[124:125] op_sel:[0,0,1] op_sel_hi:[1,1,0] neg_lo:[0,0,1] neg_hi:[0,0,1]
	v_pk_fma_f32 v[124:125], v[126:127], v[120:121], v[124:125] op_sel:[0,0,1] op_sel_hi:[1,0,0]
	v_mov_b32_e32 v129, v125
	ds_load_2addr_b64 v[124:127], v166 offset0:13 offset1:14
	v_pk_add_f32 v[36:37], v[36:37], v[130:131] neg_lo:[0,1] neg_hi:[0,1]
	v_pk_add_f32 v[66:67], v[66:67], v[128:129] neg_lo:[0,1] neg_hi:[0,1]
	s_wait_dscnt 0x0
	v_dual_mul_f32 v128, v125, v123 :: v_dual_mul_f32 v130, v125, v120
	s_delay_alu instid0(VALU_DEP_1) | instskip(NEXT) | instid1(VALU_DEP_2)
	v_pk_fma_f32 v[128:129], v[124:125], v[28:29], v[128:129] op_sel_hi:[1,1,0] neg_lo:[0,0,1] neg_hi:[0,0,1]
	v_pk_fma_f32 v[124:125], v[124:125], v[28:29], v[130:131] op_sel:[1,0,0] op_sel_hi:[0,1,0]
	s_delay_alu instid0(VALU_DEP_1) | instskip(SKIP_1) | instid1(VALU_DEP_2)
	v_mov_b32_e32 v129, v125
	v_pk_mul_f32 v[124:125], v[126:127], v[122:123] op_sel:[0,1]
	v_pk_add_f32 v[62:63], v[62:63], v[128:129] neg_lo:[0,1] neg_hi:[0,1]
	s_delay_alu instid0(VALU_DEP_2) | instskip(SKIP_1) | instid1(VALU_DEP_1)
	v_pk_fma_f32 v[128:129], v[126:127], v[120:121], v[124:125] op_sel:[0,0,1] op_sel_hi:[1,1,0] neg_lo:[0,0,1] neg_hi:[0,0,1]
	v_pk_fma_f32 v[124:125], v[126:127], v[120:121], v[124:125] op_sel:[0,0,1] op_sel_hi:[1,0,0]
	v_mov_b32_e32 v129, v125
	ds_load_2addr_b64 v[124:127], v166 offset0:15 offset1:16
	v_pk_add_f32 v[64:65], v[64:65], v[128:129] neg_lo:[0,1] neg_hi:[0,1]
	s_wait_dscnt 0x0
	v_pk_mul_f32 v[128:129], v[124:125], v[122:123] op_sel:[0,1]
	s_delay_alu instid0(VALU_DEP_1) | instskip(SKIP_1) | instid1(VALU_DEP_1)
	v_pk_fma_f32 v[130:131], v[124:125], v[120:121], v[128:129] op_sel:[0,0,1] op_sel_hi:[1,1,0] neg_lo:[0,0,1] neg_hi:[0,0,1]
	v_pk_fma_f32 v[124:125], v[124:125], v[120:121], v[128:129] op_sel:[0,0,1] op_sel_hi:[1,0,0]
	v_mov_b32_e32 v131, v125
	v_pk_mul_f32 v[124:125], v[126:127], v[122:123] op_sel:[0,1]
	s_delay_alu instid0(VALU_DEP_2) | instskip(NEXT) | instid1(VALU_DEP_2)
	v_pk_add_f32 v[60:61], v[60:61], v[130:131] neg_lo:[0,1] neg_hi:[0,1]
	v_pk_fma_f32 v[128:129], v[126:127], v[120:121], v[124:125] op_sel:[0,0,1] op_sel_hi:[1,1,0] neg_lo:[0,0,1] neg_hi:[0,0,1]
	v_pk_fma_f32 v[124:125], v[126:127], v[120:121], v[124:125] op_sel:[0,0,1] op_sel_hi:[1,0,0]
	s_delay_alu instid0(VALU_DEP_1) | instskip(SKIP_4) | instid1(VALU_DEP_1)
	v_mov_b32_e32 v129, v125
	ds_load_2addr_b64 v[124:127], v166 offset0:17 offset1:18
	v_pk_add_f32 v[82:83], v[82:83], v[128:129] neg_lo:[0,1] neg_hi:[0,1]
	s_wait_dscnt 0x0
	v_pk_mul_f32 v[128:129], v[124:125], v[122:123] op_sel:[0,1]
	v_pk_fma_f32 v[130:131], v[124:125], v[120:121], v[128:129] op_sel:[0,0,1] op_sel_hi:[1,1,0] neg_lo:[0,0,1] neg_hi:[0,0,1]
	v_pk_fma_f32 v[124:125], v[124:125], v[120:121], v[128:129] op_sel:[0,0,1] op_sel_hi:[1,0,0]
	v_dual_mul_f32 v128, v127, v123 :: v_dual_mov_b32 v124, v127
	s_delay_alu instid0(VALU_DEP_2) | instskip(NEXT) | instid1(VALU_DEP_2)
	v_dual_mov_b32 v131, v125 :: v_dual_mov_b32 v125, v126
	v_pk_fma_f32 v[128:129], v[126:127], v[28:29], v[128:129] op_sel_hi:[1,1,0] neg_lo:[0,0,1] neg_hi:[0,0,1]
	v_mul_f32_e32 v126, v127, v120
	s_delay_alu instid0(VALU_DEP_3) | instskip(NEXT) | instid1(VALU_DEP_2)
	v_pk_add_f32 v[106:107], v[106:107], v[130:131] neg_lo:[0,1] neg_hi:[0,1]
	v_pk_fma_f32 v[124:125], v[124:125], v[28:29], v[126:127] op_sel_hi:[1,1,0]
	s_delay_alu instid0(VALU_DEP_1) | instskip(SKIP_4) | instid1(VALU_DEP_1)
	v_mov_b32_e32 v129, v125
	ds_load_2addr_b64 v[124:127], v166 offset0:19 offset1:20
	v_pk_add_f32 v[80:81], v[80:81], v[128:129] neg_lo:[0,1] neg_hi:[0,1]
	s_wait_dscnt 0x0
	v_pk_mul_f32 v[128:129], v[124:125], v[122:123] op_sel:[0,1]
	v_pk_fma_f32 v[130:131], v[124:125], v[120:121], v[128:129] op_sel:[0,0,1] op_sel_hi:[1,1,0] neg_lo:[0,0,1] neg_hi:[0,0,1]
	v_pk_fma_f32 v[124:125], v[124:125], v[120:121], v[128:129] op_sel:[0,0,1] op_sel_hi:[1,0,0]
	s_delay_alu instid0(VALU_DEP_1) | instskip(SKIP_1) | instid1(VALU_DEP_1)
	v_mov_b32_e32 v131, v125
	v_pk_mul_f32 v[124:125], v[126:127], v[122:123] op_sel:[0,1]
	v_pk_fma_f32 v[128:129], v[126:127], v[120:121], v[124:125] op_sel:[0,0,1] op_sel_hi:[1,1,0] neg_lo:[0,0,1] neg_hi:[0,0,1]
	v_pk_fma_f32 v[124:125], v[126:127], v[120:121], v[124:125] op_sel:[0,0,1] op_sel_hi:[1,0,0]
	s_delay_alu instid0(VALU_DEP_1)
	v_mov_b32_e32 v129, v125
	ds_load_2addr_b64 v[124:127], v166 offset0:21 offset1:22
	v_pk_add_f32 v[78:79], v[78:79], v[130:131] neg_lo:[0,1] neg_hi:[0,1]
	v_pk_add_f32 v[98:99], v[98:99], v[128:129] neg_lo:[0,1] neg_hi:[0,1]
	s_wait_dscnt 0x0
	v_pk_mul_f32 v[128:129], v[124:125], v[122:123] op_sel:[0,1]
	s_delay_alu instid0(VALU_DEP_1) | instskip(SKIP_1) | instid1(VALU_DEP_1)
	v_pk_fma_f32 v[130:131], v[124:125], v[120:121], v[128:129] op_sel:[0,0,1] op_sel_hi:[1,1,0] neg_lo:[0,0,1] neg_hi:[0,0,1]
	v_pk_fma_f32 v[124:125], v[124:125], v[120:121], v[128:129] op_sel:[0,0,1] op_sel_hi:[1,0,0]
	v_mov_b32_e32 v131, v125
	v_pk_mul_f32 v[124:125], v[126:127], v[122:123] op_sel:[0,1]
	s_delay_alu instid0(VALU_DEP_1) | instskip(SKIP_1) | instid1(VALU_DEP_1)
	v_pk_fma_f32 v[128:129], v[126:127], v[120:121], v[124:125] op_sel:[0,0,1] op_sel_hi:[1,1,0] neg_lo:[0,0,1] neg_hi:[0,0,1]
	v_pk_fma_f32 v[124:125], v[126:127], v[120:121], v[124:125] op_sel:[0,0,1] op_sel_hi:[1,0,0]
	v_mov_b32_e32 v129, v125
	ds_load_2addr_b64 v[124:127], v166 offset0:23 offset1:24
	v_pk_add_f32 v[94:95], v[94:95], v[130:131] neg_lo:[0,1] neg_hi:[0,1]
	v_pk_add_f32 v[96:97], v[96:97], v[128:129] neg_lo:[0,1] neg_hi:[0,1]
	s_wait_dscnt 0x0
	v_dual_mul_f32 v128, v125, v123 :: v_dual_mul_f32 v130, v125, v120
	s_delay_alu instid0(VALU_DEP_1) | instskip(NEXT) | instid1(VALU_DEP_2)
	v_pk_fma_f32 v[128:129], v[124:125], v[28:29], v[128:129] op_sel_hi:[1,1,0] neg_lo:[0,0,1] neg_hi:[0,0,1]
	v_pk_fma_f32 v[124:125], v[124:125], v[28:29], v[130:131] op_sel:[1,0,0] op_sel_hi:[0,1,0]
	s_delay_alu instid0(VALU_DEP_1) | instskip(SKIP_1) | instid1(VALU_DEP_2)
	v_mov_b32_e32 v129, v125
	v_pk_mul_f32 v[124:125], v[126:127], v[122:123] op_sel:[0,1]
	v_pk_add_f32 v[104:105], v[104:105], v[128:129] neg_lo:[0,1] neg_hi:[0,1]
	s_delay_alu instid0(VALU_DEP_2) | instskip(SKIP_1) | instid1(VALU_DEP_1)
	v_pk_fma_f32 v[128:129], v[126:127], v[120:121], v[124:125] op_sel:[0,0,1] op_sel_hi:[1,1,0] neg_lo:[0,0,1] neg_hi:[0,0,1]
	v_pk_fma_f32 v[124:125], v[126:127], v[120:121], v[124:125] op_sel:[0,0,1] op_sel_hi:[1,0,0]
	v_mov_b32_e32 v129, v125
	ds_load_2addr_b64 v[124:127], v166 offset0:25 offset1:26
	v_pk_add_f32 v[102:103], v[102:103], v[128:129] neg_lo:[0,1] neg_hi:[0,1]
	s_wait_dscnt 0x0
	v_pk_mul_f32 v[128:129], v[124:125], v[122:123] op_sel:[0,1]
	v_pk_mul_f32 v[122:123], v[126:127], v[122:123] op_sel:[0,1]
	s_delay_alu instid0(VALU_DEP_2) | instskip(SKIP_1) | instid1(VALU_DEP_1)
	v_pk_fma_f32 v[130:131], v[124:125], v[120:121], v[128:129] op_sel:[0,0,1] op_sel_hi:[1,1,0] neg_lo:[0,0,1] neg_hi:[0,0,1]
	v_pk_fma_f32 v[124:125], v[124:125], v[120:121], v[128:129] op_sel:[0,0,1] op_sel_hi:[1,0,0]
	v_mov_b32_e32 v131, v125
	s_delay_alu instid0(VALU_DEP_4) | instskip(SKIP_1) | instid1(VALU_DEP_3)
	v_pk_fma_f32 v[124:125], v[126:127], v[120:121], v[122:123] op_sel:[0,0,1] op_sel_hi:[1,1,0] neg_lo:[0,0,1] neg_hi:[0,0,1]
	v_pk_fma_f32 v[120:121], v[126:127], v[120:121], v[122:123] op_sel:[0,0,1] op_sel_hi:[1,0,0]
	v_pk_add_f32 v[100:101], v[100:101], v[130:131] neg_lo:[0,1] neg_hi:[0,1]
	s_delay_alu instid0(VALU_DEP_2) | instskip(NEXT) | instid1(VALU_DEP_1)
	v_mov_b32_e32 v125, v121
	v_pk_add_f32 v[108:109], v[108:109], v[124:125] neg_lo:[0,1] neg_hi:[0,1]
.LBB53_46:
	s_or_b32 exec_lo, exec_lo, s1
	s_delay_alu instid0(SALU_CYCLE_1)
	s_mov_b32 s2, exec_lo
	s_wait_dscnt 0x0
	s_barrier_signal -1
	s_barrier_wait -1
	v_cmpx_eq_u32_e32 5, v164
	s_cbranch_execz .LBB53_53
; %bb.47:
	v_dual_mov_b32 v120, v26 :: v_dual_mov_b32 v121, v27
	v_dual_mov_b32 v122, v22 :: v_dual_mov_b32 v123, v23
	ds_store_b64 v165, v[24:25]
	ds_store_2addr_b64 v166, v[120:121], v[122:123] offset0:6 offset1:7
	v_dual_mov_b32 v120, v42 :: v_dual_mov_b32 v121, v43
	v_dual_mov_b32 v122, v38 :: v_dual_mov_b32 v123, v39
	ds_store_2addr_b64 v166, v[120:121], v[122:123] offset0:8 offset1:9
	v_dual_mov_b32 v120, v40 :: v_dual_mov_b32 v121, v41
	v_dual_mov_b32 v122, v36 :: v_dual_mov_b32 v123, v37
	;; [unrolled: 3-line block ×9, first 2 shown]
	ds_store_2addr_b64 v166, v[120:121], v[122:123] offset0:24 offset1:25
	ds_store_b64 v166, v[108:109] offset:208
	ds_load_b64 v[120:121], v165
	s_wait_dscnt 0x0
	v_cmp_neq_f32_e32 vcc_lo, 0, v120
	v_cmp_neq_f32_e64 s1, 0, v121
	s_or_b32 s1, vcc_lo, s1
	s_delay_alu instid0(SALU_CYCLE_1)
	s_and_b32 exec_lo, exec_lo, s1
	s_cbranch_execz .LBB53_53
; %bb.48:
	v_cmp_ngt_f32_e64 s1, |v120|, |v121|
                                        ; implicit-def: $vgpr122_vgpr123
	s_and_saveexec_b32 s4, s1
	s_delay_alu instid0(SALU_CYCLE_1)
	s_xor_b32 s1, exec_lo, s4
	s_cbranch_execz .LBB53_50
; %bb.49:
	v_div_scale_f32 v122, null, v121, v121, v120
	v_div_scale_f32 v125, vcc_lo, v120, v121, v120
	s_delay_alu instid0(VALU_DEP_2) | instskip(SKIP_1) | instid1(TRANS32_DEP_1)
	v_rcp_f32_e32 v123, v122
	v_nop
	v_fma_f32 v124, -v122, v123, 1.0
	s_delay_alu instid0(VALU_DEP_1) | instskip(NEXT) | instid1(VALU_DEP_1)
	v_fmac_f32_e32 v123, v124, v123
	v_mul_f32_e32 v124, v125, v123
	s_delay_alu instid0(VALU_DEP_1) | instskip(NEXT) | instid1(VALU_DEP_1)
	v_fma_f32 v126, -v122, v124, v125
	v_fmac_f32_e32 v124, v126, v123
	s_delay_alu instid0(VALU_DEP_1) | instskip(NEXT) | instid1(VALU_DEP_1)
	v_fma_f32 v122, -v122, v124, v125
	v_div_fmas_f32 v122, v122, v123, v124
	s_delay_alu instid0(VALU_DEP_1) | instskip(NEXT) | instid1(VALU_DEP_1)
	v_div_fixup_f32 v122, v122, v121, v120
	v_fmac_f32_e32 v121, v120, v122
	s_delay_alu instid0(VALU_DEP_1) | instskip(SKIP_1) | instid1(VALU_DEP_2)
	v_div_scale_f32 v120, null, v121, v121, 1.0
	v_div_scale_f32 v125, vcc_lo, 1.0, v121, 1.0
	v_rcp_f32_e32 v123, v120
	v_nop
	s_delay_alu instid0(TRANS32_DEP_1) | instskip(NEXT) | instid1(VALU_DEP_1)
	v_fma_f32 v124, -v120, v123, 1.0
	v_fmac_f32_e32 v123, v124, v123
	s_delay_alu instid0(VALU_DEP_1) | instskip(NEXT) | instid1(VALU_DEP_1)
	v_mul_f32_e32 v124, v125, v123
	v_fma_f32 v126, -v120, v124, v125
	s_delay_alu instid0(VALU_DEP_1) | instskip(NEXT) | instid1(VALU_DEP_1)
	v_fmac_f32_e32 v124, v126, v123
	v_fma_f32 v120, -v120, v124, v125
	s_delay_alu instid0(VALU_DEP_1) | instskip(NEXT) | instid1(VALU_DEP_1)
	v_div_fmas_f32 v120, v120, v123, v124
	v_div_fixup_f32 v120, v120, v121, 1.0
	s_delay_alu instid0(VALU_DEP_1)
	v_mul_f32_e32 v122, v122, v120
	v_xor_b32_e32 v123, 0x80000000, v120
                                        ; implicit-def: $vgpr120_vgpr121
.LBB53_50:
	s_and_not1_saveexec_b32 s1, s1
	s_cbranch_execz .LBB53_52
; %bb.51:
	v_div_scale_f32 v122, null, v120, v120, v121
	v_div_scale_f32 v125, vcc_lo, v121, v120, v121
	s_delay_alu instid0(VALU_DEP_2) | instskip(SKIP_1) | instid1(TRANS32_DEP_1)
	v_rcp_f32_e32 v123, v122
	v_nop
	v_fma_f32 v124, -v122, v123, 1.0
	s_delay_alu instid0(VALU_DEP_1) | instskip(NEXT) | instid1(VALU_DEP_1)
	v_fmac_f32_e32 v123, v124, v123
	v_mul_f32_e32 v124, v125, v123
	s_delay_alu instid0(VALU_DEP_1) | instskip(NEXT) | instid1(VALU_DEP_1)
	v_fma_f32 v126, -v122, v124, v125
	v_fmac_f32_e32 v124, v126, v123
	s_delay_alu instid0(VALU_DEP_1) | instskip(NEXT) | instid1(VALU_DEP_1)
	v_fma_f32 v122, -v122, v124, v125
	v_div_fmas_f32 v122, v122, v123, v124
	s_delay_alu instid0(VALU_DEP_1) | instskip(NEXT) | instid1(VALU_DEP_1)
	v_div_fixup_f32 v123, v122, v120, v121
	v_fmac_f32_e32 v120, v121, v123
	s_delay_alu instid0(VALU_DEP_1) | instskip(NEXT) | instid1(VALU_DEP_1)
	v_div_scale_f32 v121, null, v120, v120, 1.0
	v_rcp_f32_e32 v122, v121
	v_nop
	s_delay_alu instid0(TRANS32_DEP_1) | instskip(NEXT) | instid1(VALU_DEP_1)
	v_fma_f32 v124, -v121, v122, 1.0
	v_fmac_f32_e32 v122, v124, v122
	v_div_scale_f32 v124, vcc_lo, 1.0, v120, 1.0
	s_delay_alu instid0(VALU_DEP_1) | instskip(NEXT) | instid1(VALU_DEP_1)
	v_mul_f32_e32 v125, v124, v122
	v_fma_f32 v126, -v121, v125, v124
	s_delay_alu instid0(VALU_DEP_1) | instskip(NEXT) | instid1(VALU_DEP_1)
	v_fmac_f32_e32 v125, v126, v122
	v_fma_f32 v121, -v121, v125, v124
	s_delay_alu instid0(VALU_DEP_1) | instskip(NEXT) | instid1(VALU_DEP_1)
	v_div_fmas_f32 v121, v121, v122, v125
	v_div_fixup_f32 v122, v121, v120, 1.0
	s_delay_alu instid0(VALU_DEP_1)
	v_mul_f32_e64 v123, v123, -v122
.LBB53_52:
	s_or_b32 exec_lo, exec_lo, s1
	ds_store_b64 v165, v[122:123]
.LBB53_53:
	s_or_b32 exec_lo, exec_lo, s2
	s_wait_dscnt 0x0
	s_barrier_signal -1
	s_barrier_wait -1
	ds_load_b64 v[120:121], v165
	s_mov_b32 s1, exec_lo
	v_cmpx_lt_u32_e32 5, v164
	s_cbranch_execz .LBB53_55
; %bb.54:
	ds_load_2addr_b64 v[126:129], v166 offset0:6 offset1:7
	s_wait_dscnt 0x1
	v_pk_mul_f32 v[124:125], v[120:121], v[24:25] op_sel:[1,1] op_sel_hi:[0,1]
	s_delay_alu instid0(VALU_DEP_1) | instskip(SKIP_1) | instid1(VALU_DEP_1)
	v_pk_fma_f32 v[122:123], v[120:121], v[24:25], v[124:125] op_sel_hi:[1,0,1] neg_lo:[0,0,1] neg_hi:[0,0,1]
	v_pk_fma_f32 v[124:125], v[120:121], v[24:25], v[124:125] op_sel_hi:[1,0,1]
	v_dual_mov_b32 v24, v122 :: v_dual_mov_b32 v25, v125
	s_wait_dscnt 0x0
	s_delay_alu instid0(VALU_DEP_2) | instskip(NEXT) | instid1(VALU_DEP_1)
	v_pk_mul_f32 v[130:131], v[126:127], v[124:125] op_sel:[0,1]
	v_pk_fma_f32 v[132:133], v[126:127], v[122:123], v[130:131] op_sel:[0,0,1] op_sel_hi:[1,1,0] neg_lo:[0,0,1] neg_hi:[0,0,1]
	v_pk_fma_f32 v[126:127], v[126:127], v[122:123], v[130:131] op_sel:[0,0,1] op_sel_hi:[1,0,0]
	s_delay_alu instid0(VALU_DEP_1) | instskip(SKIP_1) | instid1(VALU_DEP_1)
	v_mov_b32_e32 v133, v127
	v_pk_mul_f32 v[126:127], v[128:129], v[124:125] op_sel:[0,1]
	v_pk_fma_f32 v[130:131], v[128:129], v[122:123], v[126:127] op_sel:[0,0,1] op_sel_hi:[1,1,0] neg_lo:[0,0,1] neg_hi:[0,0,1]
	v_pk_fma_f32 v[126:127], v[128:129], v[122:123], v[126:127] op_sel:[0,0,1] op_sel_hi:[1,0,0]
	s_delay_alu instid0(VALU_DEP_1)
	v_mov_b32_e32 v131, v127
	ds_load_2addr_b64 v[126:129], v166 offset0:8 offset1:9
	v_pk_add_f32 v[26:27], v[26:27], v[132:133] neg_lo:[0,1] neg_hi:[0,1]
	v_pk_add_f32 v[22:23], v[22:23], v[130:131] neg_lo:[0,1] neg_hi:[0,1]
	s_wait_dscnt 0x0
	v_pk_mul_f32 v[130:131], v[126:127], v[124:125] op_sel:[0,1]
	s_delay_alu instid0(VALU_DEP_1) | instskip(SKIP_2) | instid1(VALU_DEP_2)
	v_pk_fma_f32 v[132:133], v[126:127], v[122:123], v[130:131] op_sel:[0,0,1] op_sel_hi:[1,1,0] neg_lo:[0,0,1] neg_hi:[0,0,1]
	v_pk_fma_f32 v[126:127], v[126:127], v[122:123], v[130:131] op_sel:[0,0,1] op_sel_hi:[1,0,0]
	v_dual_mul_f32 v130, v129, v125 :: v_dual_mov_b32 v126, v129
	v_dual_mov_b32 v133, v127 :: v_dual_mov_b32 v127, v128
	s_delay_alu instid0(VALU_DEP_2) | instskip(SKIP_1) | instid1(VALU_DEP_3)
	v_pk_fma_f32 v[130:131], v[128:129], v[24:25], v[130:131] op_sel_hi:[1,1,0] neg_lo:[0,0,1] neg_hi:[0,0,1]
	v_mul_f32_e32 v128, v129, v122
	v_pk_add_f32 v[42:43], v[42:43], v[132:133] neg_lo:[0,1] neg_hi:[0,1]
	s_delay_alu instid0(VALU_DEP_2) | instskip(NEXT) | instid1(VALU_DEP_1)
	v_pk_fma_f32 v[126:127], v[126:127], v[24:25], v[128:129] op_sel_hi:[1,1,0]
	v_mov_b32_e32 v131, v127
	ds_load_2addr_b64 v[126:129], v166 offset0:10 offset1:11
	v_pk_add_f32 v[38:39], v[38:39], v[130:131] neg_lo:[0,1] neg_hi:[0,1]
	s_wait_dscnt 0x0
	v_pk_mul_f32 v[130:131], v[126:127], v[124:125] op_sel:[0,1]
	s_delay_alu instid0(VALU_DEP_1) | instskip(SKIP_1) | instid1(VALU_DEP_1)
	v_pk_fma_f32 v[132:133], v[126:127], v[122:123], v[130:131] op_sel:[0,0,1] op_sel_hi:[1,1,0] neg_lo:[0,0,1] neg_hi:[0,0,1]
	v_pk_fma_f32 v[126:127], v[126:127], v[122:123], v[130:131] op_sel:[0,0,1] op_sel_hi:[1,0,0]
	v_mov_b32_e32 v133, v127
	v_pk_mul_f32 v[126:127], v[128:129], v[124:125] op_sel:[0,1]
	s_delay_alu instid0(VALU_DEP_1) | instskip(SKIP_1) | instid1(VALU_DEP_1)
	v_pk_fma_f32 v[130:131], v[128:129], v[122:123], v[126:127] op_sel:[0,0,1] op_sel_hi:[1,1,0] neg_lo:[0,0,1] neg_hi:[0,0,1]
	v_pk_fma_f32 v[126:127], v[128:129], v[122:123], v[126:127] op_sel:[0,0,1] op_sel_hi:[1,0,0]
	v_mov_b32_e32 v131, v127
	ds_load_2addr_b64 v[126:129], v166 offset0:12 offset1:13
	v_pk_add_f32 v[40:41], v[40:41], v[132:133] neg_lo:[0,1] neg_hi:[0,1]
	v_pk_add_f32 v[36:37], v[36:37], v[130:131] neg_lo:[0,1] neg_hi:[0,1]
	s_wait_dscnt 0x0
	v_pk_mul_f32 v[130:131], v[126:127], v[124:125] op_sel:[0,1]
	s_delay_alu instid0(VALU_DEP_1) | instskip(SKIP_1) | instid1(VALU_DEP_1)
	v_pk_fma_f32 v[132:133], v[126:127], v[122:123], v[130:131] op_sel:[0,0,1] op_sel_hi:[1,1,0] neg_lo:[0,0,1] neg_hi:[0,0,1]
	v_pk_fma_f32 v[126:127], v[126:127], v[122:123], v[130:131] op_sel:[0,0,1] op_sel_hi:[1,0,0]
	v_mov_b32_e32 v133, v127
	v_pk_mul_f32 v[126:127], v[128:129], v[124:125] op_sel:[0,1]
	s_delay_alu instid0(VALU_DEP_1) | instskip(SKIP_1) | instid1(VALU_DEP_1)
	v_pk_fma_f32 v[130:131], v[128:129], v[122:123], v[126:127] op_sel:[0,0,1] op_sel_hi:[1,1,0] neg_lo:[0,0,1] neg_hi:[0,0,1]
	v_pk_fma_f32 v[126:127], v[128:129], v[122:123], v[126:127] op_sel:[0,0,1] op_sel_hi:[1,0,0]
	v_mov_b32_e32 v131, v127
	ds_load_2addr_b64 v[126:129], v166 offset0:14 offset1:15
	v_pk_add_f32 v[66:67], v[66:67], v[132:133] neg_lo:[0,1] neg_hi:[0,1]
	v_pk_add_f32 v[62:63], v[62:63], v[130:131] neg_lo:[0,1] neg_hi:[0,1]
	s_wait_dscnt 0x0
	v_dual_mul_f32 v130, v127, v125 :: v_dual_mul_f32 v132, v127, v122
	s_delay_alu instid0(VALU_DEP_1) | instskip(NEXT) | instid1(VALU_DEP_2)
	v_pk_fma_f32 v[130:131], v[126:127], v[24:25], v[130:131] op_sel_hi:[1,1,0] neg_lo:[0,0,1] neg_hi:[0,0,1]
	v_pk_fma_f32 v[126:127], v[126:127], v[24:25], v[132:133] op_sel:[1,0,0] op_sel_hi:[0,1,0]
	s_delay_alu instid0(VALU_DEP_1) | instskip(SKIP_1) | instid1(VALU_DEP_2)
	v_mov_b32_e32 v131, v127
	v_pk_mul_f32 v[126:127], v[128:129], v[124:125] op_sel:[0,1]
	v_pk_add_f32 v[64:65], v[64:65], v[130:131] neg_lo:[0,1] neg_hi:[0,1]
	s_delay_alu instid0(VALU_DEP_2) | instskip(SKIP_1) | instid1(VALU_DEP_1)
	v_pk_fma_f32 v[130:131], v[128:129], v[122:123], v[126:127] op_sel:[0,0,1] op_sel_hi:[1,1,0] neg_lo:[0,0,1] neg_hi:[0,0,1]
	v_pk_fma_f32 v[126:127], v[128:129], v[122:123], v[126:127] op_sel:[0,0,1] op_sel_hi:[1,0,0]
	v_mov_b32_e32 v131, v127
	ds_load_2addr_b64 v[126:129], v166 offset0:16 offset1:17
	v_pk_add_f32 v[60:61], v[60:61], v[130:131] neg_lo:[0,1] neg_hi:[0,1]
	s_wait_dscnt 0x0
	v_pk_mul_f32 v[130:131], v[126:127], v[124:125] op_sel:[0,1]
	s_delay_alu instid0(VALU_DEP_1) | instskip(SKIP_1) | instid1(VALU_DEP_1)
	v_pk_fma_f32 v[132:133], v[126:127], v[122:123], v[130:131] op_sel:[0,0,1] op_sel_hi:[1,1,0] neg_lo:[0,0,1] neg_hi:[0,0,1]
	v_pk_fma_f32 v[126:127], v[126:127], v[122:123], v[130:131] op_sel:[0,0,1] op_sel_hi:[1,0,0]
	v_mov_b32_e32 v133, v127
	v_pk_mul_f32 v[126:127], v[128:129], v[124:125] op_sel:[0,1]
	s_delay_alu instid0(VALU_DEP_2) | instskip(NEXT) | instid1(VALU_DEP_2)
	v_pk_add_f32 v[82:83], v[82:83], v[132:133] neg_lo:[0,1] neg_hi:[0,1]
	v_pk_fma_f32 v[130:131], v[128:129], v[122:123], v[126:127] op_sel:[0,0,1] op_sel_hi:[1,1,0] neg_lo:[0,0,1] neg_hi:[0,0,1]
	v_pk_fma_f32 v[126:127], v[128:129], v[122:123], v[126:127] op_sel:[0,0,1] op_sel_hi:[1,0,0]
	s_delay_alu instid0(VALU_DEP_1) | instskip(SKIP_4) | instid1(VALU_DEP_1)
	v_mov_b32_e32 v131, v127
	ds_load_2addr_b64 v[126:129], v166 offset0:18 offset1:19
	v_pk_add_f32 v[106:107], v[106:107], v[130:131] neg_lo:[0,1] neg_hi:[0,1]
	s_wait_dscnt 0x0
	v_pk_mul_f32 v[130:131], v[126:127], v[124:125] op_sel:[0,1]
	v_pk_fma_f32 v[132:133], v[126:127], v[122:123], v[130:131] op_sel:[0,0,1] op_sel_hi:[1,1,0] neg_lo:[0,0,1] neg_hi:[0,0,1]
	v_pk_fma_f32 v[126:127], v[126:127], v[122:123], v[130:131] op_sel:[0,0,1] op_sel_hi:[1,0,0]
	v_dual_mul_f32 v130, v129, v125 :: v_dual_mov_b32 v126, v129
	s_delay_alu instid0(VALU_DEP_2) | instskip(NEXT) | instid1(VALU_DEP_2)
	v_dual_mov_b32 v133, v127 :: v_dual_mov_b32 v127, v128
	v_pk_fma_f32 v[130:131], v[128:129], v[24:25], v[130:131] op_sel_hi:[1,1,0] neg_lo:[0,0,1] neg_hi:[0,0,1]
	v_mul_f32_e32 v128, v129, v122
	s_delay_alu instid0(VALU_DEP_3) | instskip(NEXT) | instid1(VALU_DEP_2)
	v_pk_add_f32 v[80:81], v[80:81], v[132:133] neg_lo:[0,1] neg_hi:[0,1]
	v_pk_fma_f32 v[126:127], v[126:127], v[24:25], v[128:129] op_sel_hi:[1,1,0]
	s_delay_alu instid0(VALU_DEP_1) | instskip(SKIP_4) | instid1(VALU_DEP_1)
	v_mov_b32_e32 v131, v127
	ds_load_2addr_b64 v[126:129], v166 offset0:20 offset1:21
	v_pk_add_f32 v[78:79], v[78:79], v[130:131] neg_lo:[0,1] neg_hi:[0,1]
	s_wait_dscnt 0x0
	v_pk_mul_f32 v[130:131], v[126:127], v[124:125] op_sel:[0,1]
	v_pk_fma_f32 v[132:133], v[126:127], v[122:123], v[130:131] op_sel:[0,0,1] op_sel_hi:[1,1,0] neg_lo:[0,0,1] neg_hi:[0,0,1]
	v_pk_fma_f32 v[126:127], v[126:127], v[122:123], v[130:131] op_sel:[0,0,1] op_sel_hi:[1,0,0]
	s_delay_alu instid0(VALU_DEP_1) | instskip(SKIP_1) | instid1(VALU_DEP_1)
	v_mov_b32_e32 v133, v127
	v_pk_mul_f32 v[126:127], v[128:129], v[124:125] op_sel:[0,1]
	v_pk_fma_f32 v[130:131], v[128:129], v[122:123], v[126:127] op_sel:[0,0,1] op_sel_hi:[1,1,0] neg_lo:[0,0,1] neg_hi:[0,0,1]
	v_pk_fma_f32 v[126:127], v[128:129], v[122:123], v[126:127] op_sel:[0,0,1] op_sel_hi:[1,0,0]
	s_delay_alu instid0(VALU_DEP_1)
	v_mov_b32_e32 v131, v127
	ds_load_2addr_b64 v[126:129], v166 offset0:22 offset1:23
	v_pk_add_f32 v[98:99], v[98:99], v[132:133] neg_lo:[0,1] neg_hi:[0,1]
	v_pk_add_f32 v[94:95], v[94:95], v[130:131] neg_lo:[0,1] neg_hi:[0,1]
	s_wait_dscnt 0x0
	v_pk_mul_f32 v[130:131], v[126:127], v[124:125] op_sel:[0,1]
	s_delay_alu instid0(VALU_DEP_1) | instskip(SKIP_1) | instid1(VALU_DEP_1)
	v_pk_fma_f32 v[132:133], v[126:127], v[122:123], v[130:131] op_sel:[0,0,1] op_sel_hi:[1,1,0] neg_lo:[0,0,1] neg_hi:[0,0,1]
	v_pk_fma_f32 v[126:127], v[126:127], v[122:123], v[130:131] op_sel:[0,0,1] op_sel_hi:[1,0,0]
	v_mov_b32_e32 v133, v127
	v_pk_mul_f32 v[126:127], v[128:129], v[124:125] op_sel:[0,1]
	s_delay_alu instid0(VALU_DEP_1) | instskip(SKIP_1) | instid1(VALU_DEP_1)
	v_pk_fma_f32 v[130:131], v[128:129], v[122:123], v[126:127] op_sel:[0,0,1] op_sel_hi:[1,1,0] neg_lo:[0,0,1] neg_hi:[0,0,1]
	v_pk_fma_f32 v[126:127], v[128:129], v[122:123], v[126:127] op_sel:[0,0,1] op_sel_hi:[1,0,0]
	v_mov_b32_e32 v131, v127
	ds_load_2addr_b64 v[126:129], v166 offset0:24 offset1:25
	v_pk_add_f32 v[96:97], v[96:97], v[132:133] neg_lo:[0,1] neg_hi:[0,1]
	v_pk_add_f32 v[104:105], v[104:105], v[130:131] neg_lo:[0,1] neg_hi:[0,1]
	s_wait_dscnt 0x0
	v_dual_mul_f32 v130, v127, v125 :: v_dual_mul_f32 v132, v127, v122
	s_delay_alu instid0(VALU_DEP_1) | instskip(NEXT) | instid1(VALU_DEP_2)
	v_pk_fma_f32 v[130:131], v[126:127], v[24:25], v[130:131] op_sel_hi:[1,1,0] neg_lo:[0,0,1] neg_hi:[0,0,1]
	v_pk_fma_f32 v[126:127], v[126:127], v[24:25], v[132:133] op_sel:[1,0,0] op_sel_hi:[0,1,0]
	s_delay_alu instid0(VALU_DEP_1) | instskip(SKIP_1) | instid1(VALU_DEP_2)
	v_mov_b32_e32 v131, v127
	v_pk_mul_f32 v[126:127], v[128:129], v[124:125] op_sel:[0,1]
	v_pk_add_f32 v[102:103], v[102:103], v[130:131] neg_lo:[0,1] neg_hi:[0,1]
	s_delay_alu instid0(VALU_DEP_2) | instskip(SKIP_1) | instid1(VALU_DEP_1)
	v_pk_fma_f32 v[130:131], v[128:129], v[122:123], v[126:127] op_sel:[0,0,1] op_sel_hi:[1,1,0] neg_lo:[0,0,1] neg_hi:[0,0,1]
	v_pk_fma_f32 v[126:127], v[128:129], v[122:123], v[126:127] op_sel:[0,0,1] op_sel_hi:[1,0,0]
	v_mov_b32_e32 v131, v127
	ds_load_b64 v[126:127], v166 offset:208
	v_pk_add_f32 v[100:101], v[100:101], v[130:131] neg_lo:[0,1] neg_hi:[0,1]
	s_wait_dscnt 0x0
	v_pk_mul_f32 v[124:125], v[126:127], v[124:125] op_sel:[0,1]
	s_delay_alu instid0(VALU_DEP_1) | instskip(SKIP_1) | instid1(VALU_DEP_1)
	v_pk_fma_f32 v[128:129], v[126:127], v[122:123], v[124:125] op_sel:[0,0,1] op_sel_hi:[1,1,0] neg_lo:[0,0,1] neg_hi:[0,0,1]
	v_pk_fma_f32 v[122:123], v[126:127], v[122:123], v[124:125] op_sel:[0,0,1] op_sel_hi:[1,0,0]
	v_mov_b32_e32 v129, v123
	s_delay_alu instid0(VALU_DEP_1)
	v_pk_add_f32 v[108:109], v[108:109], v[128:129] neg_lo:[0,1] neg_hi:[0,1]
.LBB53_55:
	s_or_b32 exec_lo, exec_lo, s1
	s_delay_alu instid0(SALU_CYCLE_1)
	s_mov_b32 s2, exec_lo
	s_wait_dscnt 0x0
	s_barrier_signal -1
	s_barrier_wait -1
	v_cmpx_eq_u32_e32 6, v164
	s_cbranch_execz .LBB53_62
; %bb.56:
	ds_store_b64 v165, v[26:27]
	ds_store_2addr_b64 v166, v[22:23], v[42:43] offset0:7 offset1:8
	ds_store_2addr_b64 v166, v[38:39], v[40:41] offset0:9 offset1:10
	ds_store_2addr_b64 v166, v[36:37], v[66:67] offset0:11 offset1:12
	ds_store_2addr_b64 v166, v[62:63], v[64:65] offset0:13 offset1:14
	ds_store_2addr_b64 v166, v[60:61], v[82:83] offset0:15 offset1:16
	ds_store_2addr_b64 v166, v[106:107], v[80:81] offset0:17 offset1:18
	ds_store_2addr_b64 v166, v[78:79], v[98:99] offset0:19 offset1:20
	ds_store_2addr_b64 v166, v[94:95], v[96:97] offset0:21 offset1:22
	ds_store_2addr_b64 v166, v[104:105], v[102:103] offset0:23 offset1:24
	ds_store_2addr_b64 v166, v[100:101], v[108:109] offset0:25 offset1:26
	ds_load_b64 v[122:123], v165
	s_wait_dscnt 0x0
	v_cmp_neq_f32_e32 vcc_lo, 0, v122
	v_cmp_neq_f32_e64 s1, 0, v123
	s_or_b32 s1, vcc_lo, s1
	s_delay_alu instid0(SALU_CYCLE_1)
	s_and_b32 exec_lo, exec_lo, s1
	s_cbranch_execz .LBB53_62
; %bb.57:
	v_cmp_ngt_f32_e64 s1, |v122|, |v123|
                                        ; implicit-def: $vgpr124_vgpr125
	s_and_saveexec_b32 s4, s1
	s_delay_alu instid0(SALU_CYCLE_1)
	s_xor_b32 s1, exec_lo, s4
	s_cbranch_execz .LBB53_59
; %bb.58:
	v_div_scale_f32 v124, null, v123, v123, v122
	v_div_scale_f32 v127, vcc_lo, v122, v123, v122
	s_delay_alu instid0(VALU_DEP_2) | instskip(SKIP_1) | instid1(TRANS32_DEP_1)
	v_rcp_f32_e32 v125, v124
	v_nop
	v_fma_f32 v126, -v124, v125, 1.0
	s_delay_alu instid0(VALU_DEP_1) | instskip(NEXT) | instid1(VALU_DEP_1)
	v_fmac_f32_e32 v125, v126, v125
	v_mul_f32_e32 v126, v127, v125
	s_delay_alu instid0(VALU_DEP_1) | instskip(NEXT) | instid1(VALU_DEP_1)
	v_fma_f32 v128, -v124, v126, v127
	v_fmac_f32_e32 v126, v128, v125
	s_delay_alu instid0(VALU_DEP_1) | instskip(NEXT) | instid1(VALU_DEP_1)
	v_fma_f32 v124, -v124, v126, v127
	v_div_fmas_f32 v124, v124, v125, v126
	s_delay_alu instid0(VALU_DEP_1) | instskip(NEXT) | instid1(VALU_DEP_1)
	v_div_fixup_f32 v124, v124, v123, v122
	v_fmac_f32_e32 v123, v122, v124
	s_delay_alu instid0(VALU_DEP_1) | instskip(SKIP_1) | instid1(VALU_DEP_2)
	v_div_scale_f32 v122, null, v123, v123, 1.0
	v_div_scale_f32 v127, vcc_lo, 1.0, v123, 1.0
	v_rcp_f32_e32 v125, v122
	v_nop
	s_delay_alu instid0(TRANS32_DEP_1) | instskip(NEXT) | instid1(VALU_DEP_1)
	v_fma_f32 v126, -v122, v125, 1.0
	v_fmac_f32_e32 v125, v126, v125
	s_delay_alu instid0(VALU_DEP_1) | instskip(NEXT) | instid1(VALU_DEP_1)
	v_mul_f32_e32 v126, v127, v125
	v_fma_f32 v128, -v122, v126, v127
	s_delay_alu instid0(VALU_DEP_1) | instskip(NEXT) | instid1(VALU_DEP_1)
	v_fmac_f32_e32 v126, v128, v125
	v_fma_f32 v122, -v122, v126, v127
	s_delay_alu instid0(VALU_DEP_1) | instskip(NEXT) | instid1(VALU_DEP_1)
	v_div_fmas_f32 v122, v122, v125, v126
	v_div_fixup_f32 v122, v122, v123, 1.0
	s_delay_alu instid0(VALU_DEP_1)
	v_mul_f32_e32 v124, v124, v122
	v_xor_b32_e32 v125, 0x80000000, v122
                                        ; implicit-def: $vgpr122_vgpr123
.LBB53_59:
	s_and_not1_saveexec_b32 s1, s1
	s_cbranch_execz .LBB53_61
; %bb.60:
	v_div_scale_f32 v124, null, v122, v122, v123
	v_div_scale_f32 v127, vcc_lo, v123, v122, v123
	s_delay_alu instid0(VALU_DEP_2) | instskip(SKIP_1) | instid1(TRANS32_DEP_1)
	v_rcp_f32_e32 v125, v124
	v_nop
	v_fma_f32 v126, -v124, v125, 1.0
	s_delay_alu instid0(VALU_DEP_1) | instskip(NEXT) | instid1(VALU_DEP_1)
	v_fmac_f32_e32 v125, v126, v125
	v_mul_f32_e32 v126, v127, v125
	s_delay_alu instid0(VALU_DEP_1) | instskip(NEXT) | instid1(VALU_DEP_1)
	v_fma_f32 v128, -v124, v126, v127
	v_fmac_f32_e32 v126, v128, v125
	s_delay_alu instid0(VALU_DEP_1) | instskip(NEXT) | instid1(VALU_DEP_1)
	v_fma_f32 v124, -v124, v126, v127
	v_div_fmas_f32 v124, v124, v125, v126
	s_delay_alu instid0(VALU_DEP_1) | instskip(NEXT) | instid1(VALU_DEP_1)
	v_div_fixup_f32 v125, v124, v122, v123
	v_fmac_f32_e32 v122, v123, v125
	s_delay_alu instid0(VALU_DEP_1) | instskip(NEXT) | instid1(VALU_DEP_1)
	v_div_scale_f32 v123, null, v122, v122, 1.0
	v_rcp_f32_e32 v124, v123
	v_nop
	s_delay_alu instid0(TRANS32_DEP_1) | instskip(NEXT) | instid1(VALU_DEP_1)
	v_fma_f32 v126, -v123, v124, 1.0
	v_fmac_f32_e32 v124, v126, v124
	v_div_scale_f32 v126, vcc_lo, 1.0, v122, 1.0
	s_delay_alu instid0(VALU_DEP_1) | instskip(NEXT) | instid1(VALU_DEP_1)
	v_mul_f32_e32 v127, v126, v124
	v_fma_f32 v128, -v123, v127, v126
	s_delay_alu instid0(VALU_DEP_1) | instskip(NEXT) | instid1(VALU_DEP_1)
	v_fmac_f32_e32 v127, v128, v124
	v_fma_f32 v123, -v123, v127, v126
	s_delay_alu instid0(VALU_DEP_1) | instskip(NEXT) | instid1(VALU_DEP_1)
	v_div_fmas_f32 v123, v123, v124, v127
	v_div_fixup_f32 v124, v123, v122, 1.0
	s_delay_alu instid0(VALU_DEP_1)
	v_mul_f32_e64 v125, v125, -v124
.LBB53_61:
	s_or_b32 exec_lo, exec_lo, s1
	ds_store_b64 v165, v[124:125]
.LBB53_62:
	s_or_b32 exec_lo, exec_lo, s2
	s_wait_dscnt 0x0
	s_barrier_signal -1
	s_barrier_wait -1
	ds_load_b64 v[122:123], v165
	s_mov_b32 s1, exec_lo
	v_cmpx_lt_u32_e32 6, v164
	s_cbranch_execz .LBB53_64
; %bb.63:
	ds_load_2addr_b64 v[128:131], v166 offset0:7 offset1:8
	s_wait_dscnt 0x1
	v_pk_mul_f32 v[126:127], v[122:123], v[26:27] op_sel:[1,1] op_sel_hi:[0,1]
	s_delay_alu instid0(VALU_DEP_1) | instskip(SKIP_1) | instid1(VALU_DEP_1)
	v_pk_fma_f32 v[124:125], v[122:123], v[26:27], v[126:127] op_sel_hi:[1,0,1] neg_lo:[0,0,1] neg_hi:[0,0,1]
	v_pk_fma_f32 v[126:127], v[122:123], v[26:27], v[126:127] op_sel_hi:[1,0,1]
	v_dual_mov_b32 v26, v124 :: v_dual_mov_b32 v27, v127
	s_wait_dscnt 0x0
	s_delay_alu instid0(VALU_DEP_2) | instskip(NEXT) | instid1(VALU_DEP_1)
	v_pk_mul_f32 v[132:133], v[128:129], v[126:127] op_sel:[0,1]
	v_pk_fma_f32 v[134:135], v[128:129], v[124:125], v[132:133] op_sel:[0,0,1] op_sel_hi:[1,1,0] neg_lo:[0,0,1] neg_hi:[0,0,1]
	v_pk_fma_f32 v[128:129], v[128:129], v[124:125], v[132:133] op_sel:[0,0,1] op_sel_hi:[1,0,0]
	s_delay_alu instid0(VALU_DEP_1) | instskip(SKIP_1) | instid1(VALU_DEP_1)
	v_mov_b32_e32 v135, v129
	v_pk_mul_f32 v[128:129], v[130:131], v[126:127] op_sel:[0,1]
	v_pk_fma_f32 v[132:133], v[130:131], v[124:125], v[128:129] op_sel:[0,0,1] op_sel_hi:[1,1,0] neg_lo:[0,0,1] neg_hi:[0,0,1]
	v_pk_fma_f32 v[128:129], v[130:131], v[124:125], v[128:129] op_sel:[0,0,1] op_sel_hi:[1,0,0]
	s_delay_alu instid0(VALU_DEP_1)
	v_mov_b32_e32 v133, v129
	ds_load_2addr_b64 v[128:131], v166 offset0:9 offset1:10
	v_pk_add_f32 v[22:23], v[22:23], v[134:135] neg_lo:[0,1] neg_hi:[0,1]
	v_pk_add_f32 v[42:43], v[42:43], v[132:133] neg_lo:[0,1] neg_hi:[0,1]
	s_wait_dscnt 0x0
	v_pk_mul_f32 v[132:133], v[128:129], v[126:127] op_sel:[0,1]
	s_delay_alu instid0(VALU_DEP_1) | instskip(SKIP_2) | instid1(VALU_DEP_2)
	v_pk_fma_f32 v[134:135], v[128:129], v[124:125], v[132:133] op_sel:[0,0,1] op_sel_hi:[1,1,0] neg_lo:[0,0,1] neg_hi:[0,0,1]
	v_pk_fma_f32 v[128:129], v[128:129], v[124:125], v[132:133] op_sel:[0,0,1] op_sel_hi:[1,0,0]
	v_dual_mul_f32 v132, v131, v127 :: v_dual_mov_b32 v128, v131
	v_dual_mov_b32 v135, v129 :: v_dual_mov_b32 v129, v130
	s_delay_alu instid0(VALU_DEP_2) | instskip(SKIP_1) | instid1(VALU_DEP_3)
	v_pk_fma_f32 v[132:133], v[130:131], v[26:27], v[132:133] op_sel_hi:[1,1,0] neg_lo:[0,0,1] neg_hi:[0,0,1]
	v_mul_f32_e32 v130, v131, v124
	v_pk_add_f32 v[38:39], v[38:39], v[134:135] neg_lo:[0,1] neg_hi:[0,1]
	s_delay_alu instid0(VALU_DEP_2) | instskip(NEXT) | instid1(VALU_DEP_1)
	v_pk_fma_f32 v[128:129], v[128:129], v[26:27], v[130:131] op_sel_hi:[1,1,0]
	v_mov_b32_e32 v133, v129
	ds_load_2addr_b64 v[128:131], v166 offset0:11 offset1:12
	v_pk_add_f32 v[40:41], v[40:41], v[132:133] neg_lo:[0,1] neg_hi:[0,1]
	s_wait_dscnt 0x0
	v_pk_mul_f32 v[132:133], v[128:129], v[126:127] op_sel:[0,1]
	s_delay_alu instid0(VALU_DEP_1) | instskip(SKIP_1) | instid1(VALU_DEP_1)
	v_pk_fma_f32 v[134:135], v[128:129], v[124:125], v[132:133] op_sel:[0,0,1] op_sel_hi:[1,1,0] neg_lo:[0,0,1] neg_hi:[0,0,1]
	v_pk_fma_f32 v[128:129], v[128:129], v[124:125], v[132:133] op_sel:[0,0,1] op_sel_hi:[1,0,0]
	v_mov_b32_e32 v135, v129
	v_pk_mul_f32 v[128:129], v[130:131], v[126:127] op_sel:[0,1]
	s_delay_alu instid0(VALU_DEP_1) | instskip(SKIP_1) | instid1(VALU_DEP_1)
	v_pk_fma_f32 v[132:133], v[130:131], v[124:125], v[128:129] op_sel:[0,0,1] op_sel_hi:[1,1,0] neg_lo:[0,0,1] neg_hi:[0,0,1]
	v_pk_fma_f32 v[128:129], v[130:131], v[124:125], v[128:129] op_sel:[0,0,1] op_sel_hi:[1,0,0]
	v_mov_b32_e32 v133, v129
	ds_load_2addr_b64 v[128:131], v166 offset0:13 offset1:14
	v_pk_add_f32 v[36:37], v[36:37], v[134:135] neg_lo:[0,1] neg_hi:[0,1]
	v_pk_add_f32 v[66:67], v[66:67], v[132:133] neg_lo:[0,1] neg_hi:[0,1]
	s_wait_dscnt 0x0
	v_pk_mul_f32 v[132:133], v[128:129], v[126:127] op_sel:[0,1]
	s_delay_alu instid0(VALU_DEP_1) | instskip(SKIP_1) | instid1(VALU_DEP_1)
	v_pk_fma_f32 v[134:135], v[128:129], v[124:125], v[132:133] op_sel:[0,0,1] op_sel_hi:[1,1,0] neg_lo:[0,0,1] neg_hi:[0,0,1]
	v_pk_fma_f32 v[128:129], v[128:129], v[124:125], v[132:133] op_sel:[0,0,1] op_sel_hi:[1,0,0]
	v_mov_b32_e32 v135, v129
	v_pk_mul_f32 v[128:129], v[130:131], v[126:127] op_sel:[0,1]
	s_delay_alu instid0(VALU_DEP_1) | instskip(SKIP_1) | instid1(VALU_DEP_1)
	v_pk_fma_f32 v[132:133], v[130:131], v[124:125], v[128:129] op_sel:[0,0,1] op_sel_hi:[1,1,0] neg_lo:[0,0,1] neg_hi:[0,0,1]
	v_pk_fma_f32 v[128:129], v[130:131], v[124:125], v[128:129] op_sel:[0,0,1] op_sel_hi:[1,0,0]
	v_mov_b32_e32 v133, v129
	ds_load_2addr_b64 v[128:131], v166 offset0:15 offset1:16
	v_pk_add_f32 v[62:63], v[62:63], v[134:135] neg_lo:[0,1] neg_hi:[0,1]
	v_pk_add_f32 v[64:65], v[64:65], v[132:133] neg_lo:[0,1] neg_hi:[0,1]
	s_wait_dscnt 0x0
	v_dual_mul_f32 v132, v129, v127 :: v_dual_mul_f32 v134, v129, v124
	s_delay_alu instid0(VALU_DEP_1) | instskip(NEXT) | instid1(VALU_DEP_2)
	v_pk_fma_f32 v[132:133], v[128:129], v[26:27], v[132:133] op_sel_hi:[1,1,0] neg_lo:[0,0,1] neg_hi:[0,0,1]
	v_pk_fma_f32 v[128:129], v[128:129], v[26:27], v[134:135] op_sel:[1,0,0] op_sel_hi:[0,1,0]
	s_delay_alu instid0(VALU_DEP_1) | instskip(SKIP_1) | instid1(VALU_DEP_2)
	v_mov_b32_e32 v133, v129
	v_pk_mul_f32 v[128:129], v[130:131], v[126:127] op_sel:[0,1]
	v_pk_add_f32 v[60:61], v[60:61], v[132:133] neg_lo:[0,1] neg_hi:[0,1]
	s_delay_alu instid0(VALU_DEP_2) | instskip(SKIP_1) | instid1(VALU_DEP_1)
	v_pk_fma_f32 v[132:133], v[130:131], v[124:125], v[128:129] op_sel:[0,0,1] op_sel_hi:[1,1,0] neg_lo:[0,0,1] neg_hi:[0,0,1]
	v_pk_fma_f32 v[128:129], v[130:131], v[124:125], v[128:129] op_sel:[0,0,1] op_sel_hi:[1,0,0]
	v_mov_b32_e32 v133, v129
	ds_load_2addr_b64 v[128:131], v166 offset0:17 offset1:18
	v_pk_add_f32 v[82:83], v[82:83], v[132:133] neg_lo:[0,1] neg_hi:[0,1]
	s_wait_dscnt 0x0
	v_pk_mul_f32 v[132:133], v[128:129], v[126:127] op_sel:[0,1]
	s_delay_alu instid0(VALU_DEP_1) | instskip(SKIP_1) | instid1(VALU_DEP_1)
	v_pk_fma_f32 v[134:135], v[128:129], v[124:125], v[132:133] op_sel:[0,0,1] op_sel_hi:[1,1,0] neg_lo:[0,0,1] neg_hi:[0,0,1]
	v_pk_fma_f32 v[128:129], v[128:129], v[124:125], v[132:133] op_sel:[0,0,1] op_sel_hi:[1,0,0]
	v_mov_b32_e32 v135, v129
	v_pk_mul_f32 v[128:129], v[130:131], v[126:127] op_sel:[0,1]
	s_delay_alu instid0(VALU_DEP_2) | instskip(NEXT) | instid1(VALU_DEP_2)
	v_pk_add_f32 v[106:107], v[106:107], v[134:135] neg_lo:[0,1] neg_hi:[0,1]
	v_pk_fma_f32 v[132:133], v[130:131], v[124:125], v[128:129] op_sel:[0,0,1] op_sel_hi:[1,1,0] neg_lo:[0,0,1] neg_hi:[0,0,1]
	v_pk_fma_f32 v[128:129], v[130:131], v[124:125], v[128:129] op_sel:[0,0,1] op_sel_hi:[1,0,0]
	s_delay_alu instid0(VALU_DEP_1) | instskip(SKIP_4) | instid1(VALU_DEP_1)
	v_mov_b32_e32 v133, v129
	ds_load_2addr_b64 v[128:131], v166 offset0:19 offset1:20
	v_pk_add_f32 v[80:81], v[80:81], v[132:133] neg_lo:[0,1] neg_hi:[0,1]
	s_wait_dscnt 0x0
	v_pk_mul_f32 v[132:133], v[128:129], v[126:127] op_sel:[0,1]
	v_pk_fma_f32 v[134:135], v[128:129], v[124:125], v[132:133] op_sel:[0,0,1] op_sel_hi:[1,1,0] neg_lo:[0,0,1] neg_hi:[0,0,1]
	v_pk_fma_f32 v[128:129], v[128:129], v[124:125], v[132:133] op_sel:[0,0,1] op_sel_hi:[1,0,0]
	v_dual_mul_f32 v132, v131, v127 :: v_dual_mov_b32 v128, v131
	s_delay_alu instid0(VALU_DEP_2) | instskip(NEXT) | instid1(VALU_DEP_2)
	v_dual_mov_b32 v135, v129 :: v_dual_mov_b32 v129, v130
	v_pk_fma_f32 v[132:133], v[130:131], v[26:27], v[132:133] op_sel_hi:[1,1,0] neg_lo:[0,0,1] neg_hi:[0,0,1]
	v_mul_f32_e32 v130, v131, v124
	s_delay_alu instid0(VALU_DEP_3) | instskip(NEXT) | instid1(VALU_DEP_2)
	v_pk_add_f32 v[78:79], v[78:79], v[134:135] neg_lo:[0,1] neg_hi:[0,1]
	v_pk_fma_f32 v[128:129], v[128:129], v[26:27], v[130:131] op_sel_hi:[1,1,0]
	s_delay_alu instid0(VALU_DEP_1) | instskip(SKIP_4) | instid1(VALU_DEP_1)
	v_mov_b32_e32 v133, v129
	ds_load_2addr_b64 v[128:131], v166 offset0:21 offset1:22
	v_pk_add_f32 v[98:99], v[98:99], v[132:133] neg_lo:[0,1] neg_hi:[0,1]
	s_wait_dscnt 0x0
	v_pk_mul_f32 v[132:133], v[128:129], v[126:127] op_sel:[0,1]
	v_pk_fma_f32 v[134:135], v[128:129], v[124:125], v[132:133] op_sel:[0,0,1] op_sel_hi:[1,1,0] neg_lo:[0,0,1] neg_hi:[0,0,1]
	v_pk_fma_f32 v[128:129], v[128:129], v[124:125], v[132:133] op_sel:[0,0,1] op_sel_hi:[1,0,0]
	s_delay_alu instid0(VALU_DEP_1) | instskip(SKIP_1) | instid1(VALU_DEP_1)
	v_mov_b32_e32 v135, v129
	v_pk_mul_f32 v[128:129], v[130:131], v[126:127] op_sel:[0,1]
	v_pk_fma_f32 v[132:133], v[130:131], v[124:125], v[128:129] op_sel:[0,0,1] op_sel_hi:[1,1,0] neg_lo:[0,0,1] neg_hi:[0,0,1]
	v_pk_fma_f32 v[128:129], v[130:131], v[124:125], v[128:129] op_sel:[0,0,1] op_sel_hi:[1,0,0]
	s_delay_alu instid0(VALU_DEP_1)
	v_mov_b32_e32 v133, v129
	ds_load_2addr_b64 v[128:131], v166 offset0:23 offset1:24
	v_pk_add_f32 v[94:95], v[94:95], v[134:135] neg_lo:[0,1] neg_hi:[0,1]
	v_pk_add_f32 v[96:97], v[96:97], v[132:133] neg_lo:[0,1] neg_hi:[0,1]
	s_wait_dscnt 0x0
	v_pk_mul_f32 v[132:133], v[128:129], v[126:127] op_sel:[0,1]
	s_delay_alu instid0(VALU_DEP_1) | instskip(SKIP_1) | instid1(VALU_DEP_1)
	v_pk_fma_f32 v[134:135], v[128:129], v[124:125], v[132:133] op_sel:[0,0,1] op_sel_hi:[1,1,0] neg_lo:[0,0,1] neg_hi:[0,0,1]
	v_pk_fma_f32 v[128:129], v[128:129], v[124:125], v[132:133] op_sel:[0,0,1] op_sel_hi:[1,0,0]
	v_mov_b32_e32 v135, v129
	v_pk_mul_f32 v[128:129], v[130:131], v[126:127] op_sel:[0,1]
	s_delay_alu instid0(VALU_DEP_1) | instskip(SKIP_1) | instid1(VALU_DEP_1)
	v_pk_fma_f32 v[132:133], v[130:131], v[124:125], v[128:129] op_sel:[0,0,1] op_sel_hi:[1,1,0] neg_lo:[0,0,1] neg_hi:[0,0,1]
	v_pk_fma_f32 v[128:129], v[130:131], v[124:125], v[128:129] op_sel:[0,0,1] op_sel_hi:[1,0,0]
	v_mov_b32_e32 v133, v129
	ds_load_2addr_b64 v[128:131], v166 offset0:25 offset1:26
	v_pk_add_f32 v[104:105], v[104:105], v[134:135] neg_lo:[0,1] neg_hi:[0,1]
	v_pk_add_f32 v[102:103], v[102:103], v[132:133] neg_lo:[0,1] neg_hi:[0,1]
	s_wait_dscnt 0x0
	v_dual_mul_f32 v132, v129, v127 :: v_dual_mul_f32 v134, v129, v124
	v_pk_mul_f32 v[126:127], v[130:131], v[126:127] op_sel:[0,1]
	s_delay_alu instid0(VALU_DEP_2) | instskip(NEXT) | instid1(VALU_DEP_3)
	v_pk_fma_f32 v[132:133], v[128:129], v[26:27], v[132:133] op_sel_hi:[1,1,0] neg_lo:[0,0,1] neg_hi:[0,0,1]
	v_pk_fma_f32 v[128:129], v[128:129], v[26:27], v[134:135] op_sel:[1,0,0] op_sel_hi:[0,1,0]
	s_delay_alu instid0(VALU_DEP_1) | instskip(NEXT) | instid1(VALU_DEP_4)
	v_mov_b32_e32 v133, v129
	v_pk_fma_f32 v[128:129], v[130:131], v[124:125], v[126:127] op_sel:[0,0,1] op_sel_hi:[1,1,0] neg_lo:[0,0,1] neg_hi:[0,0,1]
	v_pk_fma_f32 v[124:125], v[130:131], v[124:125], v[126:127] op_sel:[0,0,1] op_sel_hi:[1,0,0]
	s_delay_alu instid0(VALU_DEP_1) | instskip(NEXT) | instid1(VALU_DEP_4)
	v_mov_b32_e32 v129, v125
	v_pk_add_f32 v[100:101], v[100:101], v[132:133] neg_lo:[0,1] neg_hi:[0,1]
	s_delay_alu instid0(VALU_DEP_2)
	v_pk_add_f32 v[108:109], v[108:109], v[128:129] neg_lo:[0,1] neg_hi:[0,1]
.LBB53_64:
	s_or_b32 exec_lo, exec_lo, s1
	s_delay_alu instid0(SALU_CYCLE_1)
	s_mov_b32 s2, exec_lo
	s_wait_dscnt 0x0
	s_barrier_signal -1
	s_barrier_wait -1
	v_cmpx_eq_u32_e32 7, v164
	s_cbranch_execz .LBB53_71
; %bb.65:
	v_dual_mov_b32 v124, v42 :: v_dual_mov_b32 v125, v43
	v_dual_mov_b32 v126, v38 :: v_dual_mov_b32 v127, v39
	ds_store_b64 v165, v[22:23]
	ds_store_2addr_b64 v166, v[124:125], v[126:127] offset0:8 offset1:9
	v_dual_mov_b32 v124, v40 :: v_dual_mov_b32 v125, v41
	v_dual_mov_b32 v126, v36 :: v_dual_mov_b32 v127, v37
	ds_store_2addr_b64 v166, v[124:125], v[126:127] offset0:10 offset1:11
	v_dual_mov_b32 v124, v66 :: v_dual_mov_b32 v125, v67
	v_dual_mov_b32 v126, v62 :: v_dual_mov_b32 v127, v63
	;; [unrolled: 3-line block ×8, first 2 shown]
	ds_store_2addr_b64 v166, v[124:125], v[126:127] offset0:24 offset1:25
	ds_store_b64 v166, v[108:109] offset:208
	ds_load_b64 v[124:125], v165
	s_wait_dscnt 0x0
	v_cmp_neq_f32_e32 vcc_lo, 0, v124
	v_cmp_neq_f32_e64 s1, 0, v125
	s_or_b32 s1, vcc_lo, s1
	s_delay_alu instid0(SALU_CYCLE_1)
	s_and_b32 exec_lo, exec_lo, s1
	s_cbranch_execz .LBB53_71
; %bb.66:
	v_cmp_ngt_f32_e64 s1, |v124|, |v125|
                                        ; implicit-def: $vgpr126_vgpr127
	s_and_saveexec_b32 s4, s1
	s_delay_alu instid0(SALU_CYCLE_1)
	s_xor_b32 s1, exec_lo, s4
	s_cbranch_execz .LBB53_68
; %bb.67:
	v_div_scale_f32 v126, null, v125, v125, v124
	v_div_scale_f32 v129, vcc_lo, v124, v125, v124
	s_delay_alu instid0(VALU_DEP_2) | instskip(SKIP_1) | instid1(TRANS32_DEP_1)
	v_rcp_f32_e32 v127, v126
	v_nop
	v_fma_f32 v128, -v126, v127, 1.0
	s_delay_alu instid0(VALU_DEP_1) | instskip(NEXT) | instid1(VALU_DEP_1)
	v_fmac_f32_e32 v127, v128, v127
	v_mul_f32_e32 v128, v129, v127
	s_delay_alu instid0(VALU_DEP_1) | instskip(NEXT) | instid1(VALU_DEP_1)
	v_fma_f32 v130, -v126, v128, v129
	v_fmac_f32_e32 v128, v130, v127
	s_delay_alu instid0(VALU_DEP_1) | instskip(NEXT) | instid1(VALU_DEP_1)
	v_fma_f32 v126, -v126, v128, v129
	v_div_fmas_f32 v126, v126, v127, v128
	s_delay_alu instid0(VALU_DEP_1) | instskip(NEXT) | instid1(VALU_DEP_1)
	v_div_fixup_f32 v126, v126, v125, v124
	v_fmac_f32_e32 v125, v124, v126
	s_delay_alu instid0(VALU_DEP_1) | instskip(SKIP_1) | instid1(VALU_DEP_2)
	v_div_scale_f32 v124, null, v125, v125, 1.0
	v_div_scale_f32 v129, vcc_lo, 1.0, v125, 1.0
	v_rcp_f32_e32 v127, v124
	v_nop
	s_delay_alu instid0(TRANS32_DEP_1) | instskip(NEXT) | instid1(VALU_DEP_1)
	v_fma_f32 v128, -v124, v127, 1.0
	v_fmac_f32_e32 v127, v128, v127
	s_delay_alu instid0(VALU_DEP_1) | instskip(NEXT) | instid1(VALU_DEP_1)
	v_mul_f32_e32 v128, v129, v127
	v_fma_f32 v130, -v124, v128, v129
	s_delay_alu instid0(VALU_DEP_1) | instskip(NEXT) | instid1(VALU_DEP_1)
	v_fmac_f32_e32 v128, v130, v127
	v_fma_f32 v124, -v124, v128, v129
	s_delay_alu instid0(VALU_DEP_1) | instskip(NEXT) | instid1(VALU_DEP_1)
	v_div_fmas_f32 v124, v124, v127, v128
	v_div_fixup_f32 v124, v124, v125, 1.0
	s_delay_alu instid0(VALU_DEP_1)
	v_mul_f32_e32 v126, v126, v124
	v_xor_b32_e32 v127, 0x80000000, v124
                                        ; implicit-def: $vgpr124_vgpr125
.LBB53_68:
	s_and_not1_saveexec_b32 s1, s1
	s_cbranch_execz .LBB53_70
; %bb.69:
	v_div_scale_f32 v126, null, v124, v124, v125
	v_div_scale_f32 v129, vcc_lo, v125, v124, v125
	s_delay_alu instid0(VALU_DEP_2) | instskip(SKIP_1) | instid1(TRANS32_DEP_1)
	v_rcp_f32_e32 v127, v126
	v_nop
	v_fma_f32 v128, -v126, v127, 1.0
	s_delay_alu instid0(VALU_DEP_1) | instskip(NEXT) | instid1(VALU_DEP_1)
	v_fmac_f32_e32 v127, v128, v127
	v_mul_f32_e32 v128, v129, v127
	s_delay_alu instid0(VALU_DEP_1) | instskip(NEXT) | instid1(VALU_DEP_1)
	v_fma_f32 v130, -v126, v128, v129
	v_fmac_f32_e32 v128, v130, v127
	s_delay_alu instid0(VALU_DEP_1) | instskip(NEXT) | instid1(VALU_DEP_1)
	v_fma_f32 v126, -v126, v128, v129
	v_div_fmas_f32 v126, v126, v127, v128
	s_delay_alu instid0(VALU_DEP_1) | instskip(NEXT) | instid1(VALU_DEP_1)
	v_div_fixup_f32 v127, v126, v124, v125
	v_fmac_f32_e32 v124, v125, v127
	s_delay_alu instid0(VALU_DEP_1) | instskip(NEXT) | instid1(VALU_DEP_1)
	v_div_scale_f32 v125, null, v124, v124, 1.0
	v_rcp_f32_e32 v126, v125
	v_nop
	s_delay_alu instid0(TRANS32_DEP_1) | instskip(NEXT) | instid1(VALU_DEP_1)
	v_fma_f32 v128, -v125, v126, 1.0
	v_fmac_f32_e32 v126, v128, v126
	v_div_scale_f32 v128, vcc_lo, 1.0, v124, 1.0
	s_delay_alu instid0(VALU_DEP_1) | instskip(NEXT) | instid1(VALU_DEP_1)
	v_mul_f32_e32 v129, v128, v126
	v_fma_f32 v130, -v125, v129, v128
	s_delay_alu instid0(VALU_DEP_1) | instskip(NEXT) | instid1(VALU_DEP_1)
	v_fmac_f32_e32 v129, v130, v126
	v_fma_f32 v125, -v125, v129, v128
	s_delay_alu instid0(VALU_DEP_1) | instskip(NEXT) | instid1(VALU_DEP_1)
	v_div_fmas_f32 v125, v125, v126, v129
	v_div_fixup_f32 v126, v125, v124, 1.0
	s_delay_alu instid0(VALU_DEP_1)
	v_mul_f32_e64 v127, v127, -v126
.LBB53_70:
	s_or_b32 exec_lo, exec_lo, s1
	ds_store_b64 v165, v[126:127]
.LBB53_71:
	s_or_b32 exec_lo, exec_lo, s2
	s_wait_dscnt 0x0
	s_barrier_signal -1
	s_barrier_wait -1
	ds_load_b64 v[124:125], v165
	s_mov_b32 s1, exec_lo
	v_cmpx_lt_u32_e32 7, v164
	s_cbranch_execz .LBB53_73
; %bb.72:
	ds_load_2addr_b64 v[130:133], v166 offset0:8 offset1:9
	s_wait_dscnt 0x1
	v_pk_mul_f32 v[128:129], v[124:125], v[22:23] op_sel:[1,1] op_sel_hi:[0,1]
	s_delay_alu instid0(VALU_DEP_1) | instskip(SKIP_1) | instid1(VALU_DEP_1)
	v_pk_fma_f32 v[126:127], v[124:125], v[22:23], v[128:129] op_sel_hi:[1,0,1] neg_lo:[0,0,1] neg_hi:[0,0,1]
	v_pk_fma_f32 v[128:129], v[124:125], v[22:23], v[128:129] op_sel_hi:[1,0,1]
	v_dual_mov_b32 v22, v126 :: v_dual_mov_b32 v23, v129
	s_wait_dscnt 0x0
	s_delay_alu instid0(VALU_DEP_2) | instskip(NEXT) | instid1(VALU_DEP_1)
	v_pk_mul_f32 v[134:135], v[130:131], v[128:129] op_sel:[0,1]
	v_pk_fma_f32 v[136:137], v[130:131], v[126:127], v[134:135] op_sel:[0,0,1] op_sel_hi:[1,1,0] neg_lo:[0,0,1] neg_hi:[0,0,1]
	v_pk_fma_f32 v[130:131], v[130:131], v[126:127], v[134:135] op_sel:[0,0,1] op_sel_hi:[1,0,0]
	s_delay_alu instid0(VALU_DEP_1) | instskip(SKIP_1) | instid1(VALU_DEP_1)
	v_mov_b32_e32 v137, v131
	v_pk_mul_f32 v[130:131], v[132:133], v[128:129] op_sel:[0,1]
	v_pk_fma_f32 v[134:135], v[132:133], v[126:127], v[130:131] op_sel:[0,0,1] op_sel_hi:[1,1,0] neg_lo:[0,0,1] neg_hi:[0,0,1]
	v_pk_fma_f32 v[130:131], v[132:133], v[126:127], v[130:131] op_sel:[0,0,1] op_sel_hi:[1,0,0]
	s_delay_alu instid0(VALU_DEP_1)
	v_mov_b32_e32 v135, v131
	ds_load_2addr_b64 v[130:133], v166 offset0:10 offset1:11
	v_pk_add_f32 v[42:43], v[42:43], v[136:137] neg_lo:[0,1] neg_hi:[0,1]
	v_pk_add_f32 v[38:39], v[38:39], v[134:135] neg_lo:[0,1] neg_hi:[0,1]
	s_wait_dscnt 0x0
	v_pk_mul_f32 v[134:135], v[130:131], v[128:129] op_sel:[0,1]
	s_delay_alu instid0(VALU_DEP_1) | instskip(SKIP_2) | instid1(VALU_DEP_2)
	v_pk_fma_f32 v[136:137], v[130:131], v[126:127], v[134:135] op_sel:[0,0,1] op_sel_hi:[1,1,0] neg_lo:[0,0,1] neg_hi:[0,0,1]
	v_pk_fma_f32 v[130:131], v[130:131], v[126:127], v[134:135] op_sel:[0,0,1] op_sel_hi:[1,0,0]
	v_dual_mul_f32 v134, v133, v129 :: v_dual_mov_b32 v130, v133
	v_dual_mov_b32 v137, v131 :: v_dual_mov_b32 v131, v132
	s_delay_alu instid0(VALU_DEP_2) | instskip(SKIP_1) | instid1(VALU_DEP_3)
	v_pk_fma_f32 v[134:135], v[132:133], v[22:23], v[134:135] op_sel_hi:[1,1,0] neg_lo:[0,0,1] neg_hi:[0,0,1]
	v_mul_f32_e32 v132, v133, v126
	v_pk_add_f32 v[40:41], v[40:41], v[136:137] neg_lo:[0,1] neg_hi:[0,1]
	s_delay_alu instid0(VALU_DEP_2) | instskip(NEXT) | instid1(VALU_DEP_1)
	v_pk_fma_f32 v[130:131], v[130:131], v[22:23], v[132:133] op_sel_hi:[1,1,0]
	v_mov_b32_e32 v135, v131
	ds_load_2addr_b64 v[130:133], v166 offset0:12 offset1:13
	v_pk_add_f32 v[36:37], v[36:37], v[134:135] neg_lo:[0,1] neg_hi:[0,1]
	s_wait_dscnt 0x0
	v_pk_mul_f32 v[134:135], v[130:131], v[128:129] op_sel:[0,1]
	s_delay_alu instid0(VALU_DEP_1) | instskip(SKIP_1) | instid1(VALU_DEP_1)
	v_pk_fma_f32 v[136:137], v[130:131], v[126:127], v[134:135] op_sel:[0,0,1] op_sel_hi:[1,1,0] neg_lo:[0,0,1] neg_hi:[0,0,1]
	v_pk_fma_f32 v[130:131], v[130:131], v[126:127], v[134:135] op_sel:[0,0,1] op_sel_hi:[1,0,0]
	v_mov_b32_e32 v137, v131
	v_pk_mul_f32 v[130:131], v[132:133], v[128:129] op_sel:[0,1]
	s_delay_alu instid0(VALU_DEP_1) | instskip(SKIP_1) | instid1(VALU_DEP_1)
	v_pk_fma_f32 v[134:135], v[132:133], v[126:127], v[130:131] op_sel:[0,0,1] op_sel_hi:[1,1,0] neg_lo:[0,0,1] neg_hi:[0,0,1]
	v_pk_fma_f32 v[130:131], v[132:133], v[126:127], v[130:131] op_sel:[0,0,1] op_sel_hi:[1,0,0]
	v_mov_b32_e32 v135, v131
	ds_load_2addr_b64 v[130:133], v166 offset0:14 offset1:15
	v_pk_add_f32 v[66:67], v[66:67], v[136:137] neg_lo:[0,1] neg_hi:[0,1]
	v_pk_add_f32 v[62:63], v[62:63], v[134:135] neg_lo:[0,1] neg_hi:[0,1]
	s_wait_dscnt 0x0
	v_pk_mul_f32 v[134:135], v[130:131], v[128:129] op_sel:[0,1]
	s_delay_alu instid0(VALU_DEP_1) | instskip(SKIP_1) | instid1(VALU_DEP_1)
	v_pk_fma_f32 v[136:137], v[130:131], v[126:127], v[134:135] op_sel:[0,0,1] op_sel_hi:[1,1,0] neg_lo:[0,0,1] neg_hi:[0,0,1]
	v_pk_fma_f32 v[130:131], v[130:131], v[126:127], v[134:135] op_sel:[0,0,1] op_sel_hi:[1,0,0]
	v_mov_b32_e32 v137, v131
	v_pk_mul_f32 v[130:131], v[132:133], v[128:129] op_sel:[0,1]
	s_delay_alu instid0(VALU_DEP_1) | instskip(SKIP_1) | instid1(VALU_DEP_1)
	v_pk_fma_f32 v[134:135], v[132:133], v[126:127], v[130:131] op_sel:[0,0,1] op_sel_hi:[1,1,0] neg_lo:[0,0,1] neg_hi:[0,0,1]
	v_pk_fma_f32 v[130:131], v[132:133], v[126:127], v[130:131] op_sel:[0,0,1] op_sel_hi:[1,0,0]
	v_mov_b32_e32 v135, v131
	ds_load_2addr_b64 v[130:133], v166 offset0:16 offset1:17
	v_pk_add_f32 v[64:65], v[64:65], v[136:137] neg_lo:[0,1] neg_hi:[0,1]
	v_pk_add_f32 v[60:61], v[60:61], v[134:135] neg_lo:[0,1] neg_hi:[0,1]
	s_wait_dscnt 0x0
	v_dual_mul_f32 v134, v131, v129 :: v_dual_mul_f32 v136, v131, v126
	s_delay_alu instid0(VALU_DEP_1) | instskip(NEXT) | instid1(VALU_DEP_2)
	v_pk_fma_f32 v[134:135], v[130:131], v[22:23], v[134:135] op_sel_hi:[1,1,0] neg_lo:[0,0,1] neg_hi:[0,0,1]
	v_pk_fma_f32 v[130:131], v[130:131], v[22:23], v[136:137] op_sel:[1,0,0] op_sel_hi:[0,1,0]
	s_delay_alu instid0(VALU_DEP_1) | instskip(SKIP_1) | instid1(VALU_DEP_2)
	v_mov_b32_e32 v135, v131
	v_pk_mul_f32 v[130:131], v[132:133], v[128:129] op_sel:[0,1]
	v_pk_add_f32 v[82:83], v[82:83], v[134:135] neg_lo:[0,1] neg_hi:[0,1]
	s_delay_alu instid0(VALU_DEP_2) | instskip(SKIP_1) | instid1(VALU_DEP_1)
	v_pk_fma_f32 v[134:135], v[132:133], v[126:127], v[130:131] op_sel:[0,0,1] op_sel_hi:[1,1,0] neg_lo:[0,0,1] neg_hi:[0,0,1]
	v_pk_fma_f32 v[130:131], v[132:133], v[126:127], v[130:131] op_sel:[0,0,1] op_sel_hi:[1,0,0]
	v_mov_b32_e32 v135, v131
	ds_load_2addr_b64 v[130:133], v166 offset0:18 offset1:19
	v_pk_add_f32 v[106:107], v[106:107], v[134:135] neg_lo:[0,1] neg_hi:[0,1]
	s_wait_dscnt 0x0
	v_pk_mul_f32 v[134:135], v[130:131], v[128:129] op_sel:[0,1]
	s_delay_alu instid0(VALU_DEP_1) | instskip(SKIP_1) | instid1(VALU_DEP_1)
	v_pk_fma_f32 v[136:137], v[130:131], v[126:127], v[134:135] op_sel:[0,0,1] op_sel_hi:[1,1,0] neg_lo:[0,0,1] neg_hi:[0,0,1]
	v_pk_fma_f32 v[130:131], v[130:131], v[126:127], v[134:135] op_sel:[0,0,1] op_sel_hi:[1,0,0]
	v_mov_b32_e32 v137, v131
	v_pk_mul_f32 v[130:131], v[132:133], v[128:129] op_sel:[0,1]
	s_delay_alu instid0(VALU_DEP_2) | instskip(NEXT) | instid1(VALU_DEP_2)
	v_pk_add_f32 v[80:81], v[80:81], v[136:137] neg_lo:[0,1] neg_hi:[0,1]
	v_pk_fma_f32 v[134:135], v[132:133], v[126:127], v[130:131] op_sel:[0,0,1] op_sel_hi:[1,1,0] neg_lo:[0,0,1] neg_hi:[0,0,1]
	v_pk_fma_f32 v[130:131], v[132:133], v[126:127], v[130:131] op_sel:[0,0,1] op_sel_hi:[1,0,0]
	s_delay_alu instid0(VALU_DEP_1) | instskip(SKIP_4) | instid1(VALU_DEP_1)
	v_mov_b32_e32 v135, v131
	ds_load_2addr_b64 v[130:133], v166 offset0:20 offset1:21
	v_pk_add_f32 v[78:79], v[78:79], v[134:135] neg_lo:[0,1] neg_hi:[0,1]
	s_wait_dscnt 0x0
	v_pk_mul_f32 v[134:135], v[130:131], v[128:129] op_sel:[0,1]
	v_pk_fma_f32 v[136:137], v[130:131], v[126:127], v[134:135] op_sel:[0,0,1] op_sel_hi:[1,1,0] neg_lo:[0,0,1] neg_hi:[0,0,1]
	v_pk_fma_f32 v[130:131], v[130:131], v[126:127], v[134:135] op_sel:[0,0,1] op_sel_hi:[1,0,0]
	v_dual_mul_f32 v134, v133, v129 :: v_dual_mov_b32 v130, v133
	s_delay_alu instid0(VALU_DEP_2) | instskip(NEXT) | instid1(VALU_DEP_2)
	v_dual_mov_b32 v137, v131 :: v_dual_mov_b32 v131, v132
	v_pk_fma_f32 v[134:135], v[132:133], v[22:23], v[134:135] op_sel_hi:[1,1,0] neg_lo:[0,0,1] neg_hi:[0,0,1]
	v_mul_f32_e32 v132, v133, v126
	s_delay_alu instid0(VALU_DEP_3) | instskip(NEXT) | instid1(VALU_DEP_2)
	v_pk_add_f32 v[98:99], v[98:99], v[136:137] neg_lo:[0,1] neg_hi:[0,1]
	v_pk_fma_f32 v[130:131], v[130:131], v[22:23], v[132:133] op_sel_hi:[1,1,0]
	s_delay_alu instid0(VALU_DEP_1) | instskip(SKIP_4) | instid1(VALU_DEP_1)
	v_mov_b32_e32 v135, v131
	ds_load_2addr_b64 v[130:133], v166 offset0:22 offset1:23
	v_pk_add_f32 v[94:95], v[94:95], v[134:135] neg_lo:[0,1] neg_hi:[0,1]
	s_wait_dscnt 0x0
	v_pk_mul_f32 v[134:135], v[130:131], v[128:129] op_sel:[0,1]
	v_pk_fma_f32 v[136:137], v[130:131], v[126:127], v[134:135] op_sel:[0,0,1] op_sel_hi:[1,1,0] neg_lo:[0,0,1] neg_hi:[0,0,1]
	v_pk_fma_f32 v[130:131], v[130:131], v[126:127], v[134:135] op_sel:[0,0,1] op_sel_hi:[1,0,0]
	s_delay_alu instid0(VALU_DEP_1) | instskip(SKIP_1) | instid1(VALU_DEP_1)
	v_mov_b32_e32 v137, v131
	v_pk_mul_f32 v[130:131], v[132:133], v[128:129] op_sel:[0,1]
	v_pk_fma_f32 v[134:135], v[132:133], v[126:127], v[130:131] op_sel:[0,0,1] op_sel_hi:[1,1,0] neg_lo:[0,0,1] neg_hi:[0,0,1]
	v_pk_fma_f32 v[130:131], v[132:133], v[126:127], v[130:131] op_sel:[0,0,1] op_sel_hi:[1,0,0]
	s_delay_alu instid0(VALU_DEP_1)
	v_mov_b32_e32 v135, v131
	ds_load_2addr_b64 v[130:133], v166 offset0:24 offset1:25
	v_pk_add_f32 v[96:97], v[96:97], v[136:137] neg_lo:[0,1] neg_hi:[0,1]
	v_pk_add_f32 v[104:105], v[104:105], v[134:135] neg_lo:[0,1] neg_hi:[0,1]
	s_wait_dscnt 0x0
	v_pk_mul_f32 v[134:135], v[130:131], v[128:129] op_sel:[0,1]
	s_delay_alu instid0(VALU_DEP_1) | instskip(SKIP_1) | instid1(VALU_DEP_1)
	v_pk_fma_f32 v[136:137], v[130:131], v[126:127], v[134:135] op_sel:[0,0,1] op_sel_hi:[1,1,0] neg_lo:[0,0,1] neg_hi:[0,0,1]
	v_pk_fma_f32 v[130:131], v[130:131], v[126:127], v[134:135] op_sel:[0,0,1] op_sel_hi:[1,0,0]
	v_mov_b32_e32 v137, v131
	v_pk_mul_f32 v[130:131], v[132:133], v[128:129] op_sel:[0,1]
	s_delay_alu instid0(VALU_DEP_1) | instskip(SKIP_1) | instid1(VALU_DEP_1)
	v_pk_fma_f32 v[134:135], v[132:133], v[126:127], v[130:131] op_sel:[0,0,1] op_sel_hi:[1,1,0] neg_lo:[0,0,1] neg_hi:[0,0,1]
	v_pk_fma_f32 v[130:131], v[132:133], v[126:127], v[130:131] op_sel:[0,0,1] op_sel_hi:[1,0,0]
	v_mov_b32_e32 v135, v131
	ds_load_b64 v[130:131], v166 offset:208
	v_pk_add_f32 v[102:103], v[102:103], v[136:137] neg_lo:[0,1] neg_hi:[0,1]
	v_pk_add_f32 v[100:101], v[100:101], v[134:135] neg_lo:[0,1] neg_hi:[0,1]
	s_wait_dscnt 0x0
	v_pk_mul_f32 v[128:129], v[130:131], v[128:129] op_sel:[0,1]
	s_delay_alu instid0(VALU_DEP_1) | instskip(SKIP_1) | instid1(VALU_DEP_1)
	v_pk_fma_f32 v[132:133], v[130:131], v[126:127], v[128:129] op_sel:[0,0,1] op_sel_hi:[1,1,0] neg_lo:[0,0,1] neg_hi:[0,0,1]
	v_pk_fma_f32 v[126:127], v[130:131], v[126:127], v[128:129] op_sel:[0,0,1] op_sel_hi:[1,0,0]
	v_mov_b32_e32 v133, v127
	s_delay_alu instid0(VALU_DEP_1)
	v_pk_add_f32 v[108:109], v[108:109], v[132:133] neg_lo:[0,1] neg_hi:[0,1]
.LBB53_73:
	s_or_b32 exec_lo, exec_lo, s1
	s_delay_alu instid0(SALU_CYCLE_1)
	s_mov_b32 s2, exec_lo
	s_wait_dscnt 0x0
	s_barrier_signal -1
	s_barrier_wait -1
	v_cmpx_eq_u32_e32 8, v164
	s_cbranch_execz .LBB53_80
; %bb.74:
	ds_store_b64 v165, v[42:43]
	ds_store_2addr_b64 v166, v[38:39], v[40:41] offset0:9 offset1:10
	ds_store_2addr_b64 v166, v[36:37], v[66:67] offset0:11 offset1:12
	ds_store_2addr_b64 v166, v[62:63], v[64:65] offset0:13 offset1:14
	ds_store_2addr_b64 v166, v[60:61], v[82:83] offset0:15 offset1:16
	ds_store_2addr_b64 v166, v[106:107], v[80:81] offset0:17 offset1:18
	ds_store_2addr_b64 v166, v[78:79], v[98:99] offset0:19 offset1:20
	ds_store_2addr_b64 v166, v[94:95], v[96:97] offset0:21 offset1:22
	ds_store_2addr_b64 v166, v[104:105], v[102:103] offset0:23 offset1:24
	ds_store_2addr_b64 v166, v[100:101], v[108:109] offset0:25 offset1:26
	ds_load_b64 v[126:127], v165
	s_wait_dscnt 0x0
	v_cmp_neq_f32_e32 vcc_lo, 0, v126
	v_cmp_neq_f32_e64 s1, 0, v127
	s_or_b32 s1, vcc_lo, s1
	s_delay_alu instid0(SALU_CYCLE_1)
	s_and_b32 exec_lo, exec_lo, s1
	s_cbranch_execz .LBB53_80
; %bb.75:
	v_cmp_ngt_f32_e64 s1, |v126|, |v127|
                                        ; implicit-def: $vgpr128_vgpr129
	s_and_saveexec_b32 s4, s1
	s_delay_alu instid0(SALU_CYCLE_1)
	s_xor_b32 s1, exec_lo, s4
	s_cbranch_execz .LBB53_77
; %bb.76:
	v_div_scale_f32 v128, null, v127, v127, v126
	v_div_scale_f32 v131, vcc_lo, v126, v127, v126
	s_delay_alu instid0(VALU_DEP_2) | instskip(SKIP_1) | instid1(TRANS32_DEP_1)
	v_rcp_f32_e32 v129, v128
	v_nop
	v_fma_f32 v130, -v128, v129, 1.0
	s_delay_alu instid0(VALU_DEP_1) | instskip(NEXT) | instid1(VALU_DEP_1)
	v_fmac_f32_e32 v129, v130, v129
	v_mul_f32_e32 v130, v131, v129
	s_delay_alu instid0(VALU_DEP_1) | instskip(NEXT) | instid1(VALU_DEP_1)
	v_fma_f32 v132, -v128, v130, v131
	v_fmac_f32_e32 v130, v132, v129
	s_delay_alu instid0(VALU_DEP_1) | instskip(NEXT) | instid1(VALU_DEP_1)
	v_fma_f32 v128, -v128, v130, v131
	v_div_fmas_f32 v128, v128, v129, v130
	s_delay_alu instid0(VALU_DEP_1) | instskip(NEXT) | instid1(VALU_DEP_1)
	v_div_fixup_f32 v128, v128, v127, v126
	v_fmac_f32_e32 v127, v126, v128
	s_delay_alu instid0(VALU_DEP_1) | instskip(SKIP_1) | instid1(VALU_DEP_2)
	v_div_scale_f32 v126, null, v127, v127, 1.0
	v_div_scale_f32 v131, vcc_lo, 1.0, v127, 1.0
	v_rcp_f32_e32 v129, v126
	v_nop
	s_delay_alu instid0(TRANS32_DEP_1) | instskip(NEXT) | instid1(VALU_DEP_1)
	v_fma_f32 v130, -v126, v129, 1.0
	v_fmac_f32_e32 v129, v130, v129
	s_delay_alu instid0(VALU_DEP_1) | instskip(NEXT) | instid1(VALU_DEP_1)
	v_mul_f32_e32 v130, v131, v129
	v_fma_f32 v132, -v126, v130, v131
	s_delay_alu instid0(VALU_DEP_1) | instskip(NEXT) | instid1(VALU_DEP_1)
	v_fmac_f32_e32 v130, v132, v129
	v_fma_f32 v126, -v126, v130, v131
	s_delay_alu instid0(VALU_DEP_1) | instskip(NEXT) | instid1(VALU_DEP_1)
	v_div_fmas_f32 v126, v126, v129, v130
	v_div_fixup_f32 v126, v126, v127, 1.0
	s_delay_alu instid0(VALU_DEP_1)
	v_mul_f32_e32 v128, v128, v126
	v_xor_b32_e32 v129, 0x80000000, v126
                                        ; implicit-def: $vgpr126_vgpr127
.LBB53_77:
	s_and_not1_saveexec_b32 s1, s1
	s_cbranch_execz .LBB53_79
; %bb.78:
	v_div_scale_f32 v128, null, v126, v126, v127
	v_div_scale_f32 v131, vcc_lo, v127, v126, v127
	s_delay_alu instid0(VALU_DEP_2) | instskip(SKIP_1) | instid1(TRANS32_DEP_1)
	v_rcp_f32_e32 v129, v128
	v_nop
	v_fma_f32 v130, -v128, v129, 1.0
	s_delay_alu instid0(VALU_DEP_1) | instskip(NEXT) | instid1(VALU_DEP_1)
	v_fmac_f32_e32 v129, v130, v129
	v_mul_f32_e32 v130, v131, v129
	s_delay_alu instid0(VALU_DEP_1) | instskip(NEXT) | instid1(VALU_DEP_1)
	v_fma_f32 v132, -v128, v130, v131
	v_fmac_f32_e32 v130, v132, v129
	s_delay_alu instid0(VALU_DEP_1) | instskip(NEXT) | instid1(VALU_DEP_1)
	v_fma_f32 v128, -v128, v130, v131
	v_div_fmas_f32 v128, v128, v129, v130
	s_delay_alu instid0(VALU_DEP_1) | instskip(NEXT) | instid1(VALU_DEP_1)
	v_div_fixup_f32 v129, v128, v126, v127
	v_fmac_f32_e32 v126, v127, v129
	s_delay_alu instid0(VALU_DEP_1) | instskip(NEXT) | instid1(VALU_DEP_1)
	v_div_scale_f32 v127, null, v126, v126, 1.0
	v_rcp_f32_e32 v128, v127
	v_nop
	s_delay_alu instid0(TRANS32_DEP_1) | instskip(NEXT) | instid1(VALU_DEP_1)
	v_fma_f32 v130, -v127, v128, 1.0
	v_fmac_f32_e32 v128, v130, v128
	v_div_scale_f32 v130, vcc_lo, 1.0, v126, 1.0
	s_delay_alu instid0(VALU_DEP_1) | instskip(NEXT) | instid1(VALU_DEP_1)
	v_mul_f32_e32 v131, v130, v128
	v_fma_f32 v132, -v127, v131, v130
	s_delay_alu instid0(VALU_DEP_1) | instskip(NEXT) | instid1(VALU_DEP_1)
	v_fmac_f32_e32 v131, v132, v128
	v_fma_f32 v127, -v127, v131, v130
	s_delay_alu instid0(VALU_DEP_1) | instskip(NEXT) | instid1(VALU_DEP_1)
	v_div_fmas_f32 v127, v127, v128, v131
	v_div_fixup_f32 v128, v127, v126, 1.0
	s_delay_alu instid0(VALU_DEP_1)
	v_mul_f32_e64 v129, v129, -v128
.LBB53_79:
	s_or_b32 exec_lo, exec_lo, s1
	ds_store_b64 v165, v[128:129]
.LBB53_80:
	s_or_b32 exec_lo, exec_lo, s2
	s_wait_dscnt 0x0
	s_barrier_signal -1
	s_barrier_wait -1
	ds_load_b64 v[126:127], v165
	s_mov_b32 s1, exec_lo
	v_cmpx_lt_u32_e32 8, v164
	s_cbranch_execz .LBB53_82
; %bb.81:
	ds_load_2addr_b64 v[132:135], v166 offset0:9 offset1:10
	s_wait_dscnt 0x1
	v_pk_mul_f32 v[130:131], v[126:127], v[42:43] op_sel:[1,1] op_sel_hi:[0,1]
	s_delay_alu instid0(VALU_DEP_1) | instskip(SKIP_1) | instid1(VALU_DEP_1)
	v_pk_fma_f32 v[128:129], v[126:127], v[42:43], v[130:131] op_sel_hi:[1,0,1] neg_lo:[0,0,1] neg_hi:[0,0,1]
	v_pk_fma_f32 v[130:131], v[126:127], v[42:43], v[130:131] op_sel_hi:[1,0,1]
	v_dual_mov_b32 v42, v128 :: v_dual_mov_b32 v43, v131
	s_wait_dscnt 0x0
	s_delay_alu instid0(VALU_DEP_2) | instskip(NEXT) | instid1(VALU_DEP_1)
	v_pk_mul_f32 v[136:137], v[132:133], v[130:131] op_sel:[0,1]
	v_pk_fma_f32 v[138:139], v[132:133], v[128:129], v[136:137] op_sel:[0,0,1] op_sel_hi:[1,1,0] neg_lo:[0,0,1] neg_hi:[0,0,1]
	v_pk_fma_f32 v[132:133], v[132:133], v[128:129], v[136:137] op_sel:[0,0,1] op_sel_hi:[1,0,0]
	s_delay_alu instid0(VALU_DEP_1) | instskip(SKIP_1) | instid1(VALU_DEP_1)
	v_mov_b32_e32 v139, v133
	v_pk_mul_f32 v[132:133], v[134:135], v[130:131] op_sel:[0,1]
	v_pk_fma_f32 v[136:137], v[134:135], v[128:129], v[132:133] op_sel:[0,0,1] op_sel_hi:[1,1,0] neg_lo:[0,0,1] neg_hi:[0,0,1]
	v_pk_fma_f32 v[132:133], v[134:135], v[128:129], v[132:133] op_sel:[0,0,1] op_sel_hi:[1,0,0]
	s_delay_alu instid0(VALU_DEP_1)
	v_mov_b32_e32 v137, v133
	ds_load_2addr_b64 v[132:135], v166 offset0:11 offset1:12
	v_pk_add_f32 v[38:39], v[38:39], v[138:139] neg_lo:[0,1] neg_hi:[0,1]
	v_pk_add_f32 v[40:41], v[40:41], v[136:137] neg_lo:[0,1] neg_hi:[0,1]
	s_wait_dscnt 0x0
	v_pk_mul_f32 v[136:137], v[132:133], v[130:131] op_sel:[0,1]
	s_delay_alu instid0(VALU_DEP_1) | instskip(SKIP_2) | instid1(VALU_DEP_2)
	v_pk_fma_f32 v[138:139], v[132:133], v[128:129], v[136:137] op_sel:[0,0,1] op_sel_hi:[1,1,0] neg_lo:[0,0,1] neg_hi:[0,0,1]
	v_pk_fma_f32 v[132:133], v[132:133], v[128:129], v[136:137] op_sel:[0,0,1] op_sel_hi:[1,0,0]
	v_dual_mul_f32 v136, v135, v131 :: v_dual_mov_b32 v132, v135
	v_dual_mov_b32 v139, v133 :: v_dual_mov_b32 v133, v134
	s_delay_alu instid0(VALU_DEP_2) | instskip(SKIP_1) | instid1(VALU_DEP_3)
	v_pk_fma_f32 v[136:137], v[134:135], v[42:43], v[136:137] op_sel_hi:[1,1,0] neg_lo:[0,0,1] neg_hi:[0,0,1]
	v_mul_f32_e32 v134, v135, v128
	v_pk_add_f32 v[36:37], v[36:37], v[138:139] neg_lo:[0,1] neg_hi:[0,1]
	s_delay_alu instid0(VALU_DEP_2) | instskip(NEXT) | instid1(VALU_DEP_1)
	v_pk_fma_f32 v[132:133], v[132:133], v[42:43], v[134:135] op_sel_hi:[1,1,0]
	v_mov_b32_e32 v137, v133
	ds_load_2addr_b64 v[132:135], v166 offset0:13 offset1:14
	v_pk_add_f32 v[66:67], v[66:67], v[136:137] neg_lo:[0,1] neg_hi:[0,1]
	s_wait_dscnt 0x0
	v_pk_mul_f32 v[136:137], v[132:133], v[130:131] op_sel:[0,1]
	s_delay_alu instid0(VALU_DEP_1) | instskip(SKIP_1) | instid1(VALU_DEP_1)
	v_pk_fma_f32 v[138:139], v[132:133], v[128:129], v[136:137] op_sel:[0,0,1] op_sel_hi:[1,1,0] neg_lo:[0,0,1] neg_hi:[0,0,1]
	v_pk_fma_f32 v[132:133], v[132:133], v[128:129], v[136:137] op_sel:[0,0,1] op_sel_hi:[1,0,0]
	v_mov_b32_e32 v139, v133
	v_pk_mul_f32 v[132:133], v[134:135], v[130:131] op_sel:[0,1]
	s_delay_alu instid0(VALU_DEP_1) | instskip(SKIP_1) | instid1(VALU_DEP_1)
	v_pk_fma_f32 v[136:137], v[134:135], v[128:129], v[132:133] op_sel:[0,0,1] op_sel_hi:[1,1,0] neg_lo:[0,0,1] neg_hi:[0,0,1]
	v_pk_fma_f32 v[132:133], v[134:135], v[128:129], v[132:133] op_sel:[0,0,1] op_sel_hi:[1,0,0]
	v_mov_b32_e32 v137, v133
	ds_load_2addr_b64 v[132:135], v166 offset0:15 offset1:16
	v_pk_add_f32 v[62:63], v[62:63], v[138:139] neg_lo:[0,1] neg_hi:[0,1]
	v_pk_add_f32 v[64:65], v[64:65], v[136:137] neg_lo:[0,1] neg_hi:[0,1]
	s_wait_dscnt 0x0
	v_pk_mul_f32 v[136:137], v[132:133], v[130:131] op_sel:[0,1]
	s_delay_alu instid0(VALU_DEP_1) | instskip(SKIP_1) | instid1(VALU_DEP_1)
	v_pk_fma_f32 v[138:139], v[132:133], v[128:129], v[136:137] op_sel:[0,0,1] op_sel_hi:[1,1,0] neg_lo:[0,0,1] neg_hi:[0,0,1]
	v_pk_fma_f32 v[132:133], v[132:133], v[128:129], v[136:137] op_sel:[0,0,1] op_sel_hi:[1,0,0]
	v_mov_b32_e32 v139, v133
	v_pk_mul_f32 v[132:133], v[134:135], v[130:131] op_sel:[0,1]
	s_delay_alu instid0(VALU_DEP_1) | instskip(SKIP_1) | instid1(VALU_DEP_1)
	v_pk_fma_f32 v[136:137], v[134:135], v[128:129], v[132:133] op_sel:[0,0,1] op_sel_hi:[1,1,0] neg_lo:[0,0,1] neg_hi:[0,0,1]
	v_pk_fma_f32 v[132:133], v[134:135], v[128:129], v[132:133] op_sel:[0,0,1] op_sel_hi:[1,0,0]
	v_mov_b32_e32 v137, v133
	ds_load_2addr_b64 v[132:135], v166 offset0:17 offset1:18
	v_pk_add_f32 v[60:61], v[60:61], v[138:139] neg_lo:[0,1] neg_hi:[0,1]
	v_pk_add_f32 v[82:83], v[82:83], v[136:137] neg_lo:[0,1] neg_hi:[0,1]
	s_wait_dscnt 0x0
	v_dual_mul_f32 v136, v133, v131 :: v_dual_mul_f32 v138, v133, v128
	s_delay_alu instid0(VALU_DEP_1) | instskip(NEXT) | instid1(VALU_DEP_2)
	v_pk_fma_f32 v[136:137], v[132:133], v[42:43], v[136:137] op_sel_hi:[1,1,0] neg_lo:[0,0,1] neg_hi:[0,0,1]
	v_pk_fma_f32 v[132:133], v[132:133], v[42:43], v[138:139] op_sel:[1,0,0] op_sel_hi:[0,1,0]
	s_delay_alu instid0(VALU_DEP_1) | instskip(SKIP_1) | instid1(VALU_DEP_2)
	v_mov_b32_e32 v137, v133
	v_pk_mul_f32 v[132:133], v[134:135], v[130:131] op_sel:[0,1]
	v_pk_add_f32 v[106:107], v[106:107], v[136:137] neg_lo:[0,1] neg_hi:[0,1]
	s_delay_alu instid0(VALU_DEP_2) | instskip(SKIP_1) | instid1(VALU_DEP_1)
	v_pk_fma_f32 v[136:137], v[134:135], v[128:129], v[132:133] op_sel:[0,0,1] op_sel_hi:[1,1,0] neg_lo:[0,0,1] neg_hi:[0,0,1]
	v_pk_fma_f32 v[132:133], v[134:135], v[128:129], v[132:133] op_sel:[0,0,1] op_sel_hi:[1,0,0]
	v_mov_b32_e32 v137, v133
	ds_load_2addr_b64 v[132:135], v166 offset0:19 offset1:20
	v_pk_add_f32 v[80:81], v[80:81], v[136:137] neg_lo:[0,1] neg_hi:[0,1]
	s_wait_dscnt 0x0
	v_pk_mul_f32 v[136:137], v[132:133], v[130:131] op_sel:[0,1]
	s_delay_alu instid0(VALU_DEP_1) | instskip(SKIP_1) | instid1(VALU_DEP_1)
	v_pk_fma_f32 v[138:139], v[132:133], v[128:129], v[136:137] op_sel:[0,0,1] op_sel_hi:[1,1,0] neg_lo:[0,0,1] neg_hi:[0,0,1]
	v_pk_fma_f32 v[132:133], v[132:133], v[128:129], v[136:137] op_sel:[0,0,1] op_sel_hi:[1,0,0]
	v_mov_b32_e32 v139, v133
	v_pk_mul_f32 v[132:133], v[134:135], v[130:131] op_sel:[0,1]
	s_delay_alu instid0(VALU_DEP_2) | instskip(NEXT) | instid1(VALU_DEP_2)
	v_pk_add_f32 v[78:79], v[78:79], v[138:139] neg_lo:[0,1] neg_hi:[0,1]
	v_pk_fma_f32 v[136:137], v[134:135], v[128:129], v[132:133] op_sel:[0,0,1] op_sel_hi:[1,1,0] neg_lo:[0,0,1] neg_hi:[0,0,1]
	v_pk_fma_f32 v[132:133], v[134:135], v[128:129], v[132:133] op_sel:[0,0,1] op_sel_hi:[1,0,0]
	s_delay_alu instid0(VALU_DEP_1) | instskip(SKIP_4) | instid1(VALU_DEP_1)
	v_mov_b32_e32 v137, v133
	ds_load_2addr_b64 v[132:135], v166 offset0:21 offset1:22
	v_pk_add_f32 v[98:99], v[98:99], v[136:137] neg_lo:[0,1] neg_hi:[0,1]
	s_wait_dscnt 0x0
	v_pk_mul_f32 v[136:137], v[132:133], v[130:131] op_sel:[0,1]
	v_pk_fma_f32 v[138:139], v[132:133], v[128:129], v[136:137] op_sel:[0,0,1] op_sel_hi:[1,1,0] neg_lo:[0,0,1] neg_hi:[0,0,1]
	v_pk_fma_f32 v[132:133], v[132:133], v[128:129], v[136:137] op_sel:[0,0,1] op_sel_hi:[1,0,0]
	v_dual_mul_f32 v136, v135, v131 :: v_dual_mov_b32 v132, v135
	s_delay_alu instid0(VALU_DEP_2) | instskip(NEXT) | instid1(VALU_DEP_2)
	v_dual_mov_b32 v139, v133 :: v_dual_mov_b32 v133, v134
	v_pk_fma_f32 v[136:137], v[134:135], v[42:43], v[136:137] op_sel_hi:[1,1,0] neg_lo:[0,0,1] neg_hi:[0,0,1]
	v_mul_f32_e32 v134, v135, v128
	s_delay_alu instid0(VALU_DEP_3) | instskip(NEXT) | instid1(VALU_DEP_2)
	v_pk_add_f32 v[94:95], v[94:95], v[138:139] neg_lo:[0,1] neg_hi:[0,1]
	v_pk_fma_f32 v[132:133], v[132:133], v[42:43], v[134:135] op_sel_hi:[1,1,0]
	s_delay_alu instid0(VALU_DEP_1) | instskip(SKIP_4) | instid1(VALU_DEP_1)
	v_mov_b32_e32 v137, v133
	ds_load_2addr_b64 v[132:135], v166 offset0:23 offset1:24
	v_pk_add_f32 v[96:97], v[96:97], v[136:137] neg_lo:[0,1] neg_hi:[0,1]
	s_wait_dscnt 0x0
	v_pk_mul_f32 v[136:137], v[132:133], v[130:131] op_sel:[0,1]
	v_pk_fma_f32 v[138:139], v[132:133], v[128:129], v[136:137] op_sel:[0,0,1] op_sel_hi:[1,1,0] neg_lo:[0,0,1] neg_hi:[0,0,1]
	v_pk_fma_f32 v[132:133], v[132:133], v[128:129], v[136:137] op_sel:[0,0,1] op_sel_hi:[1,0,0]
	s_delay_alu instid0(VALU_DEP_1) | instskip(SKIP_1) | instid1(VALU_DEP_1)
	v_mov_b32_e32 v139, v133
	v_pk_mul_f32 v[132:133], v[134:135], v[130:131] op_sel:[0,1]
	v_pk_fma_f32 v[136:137], v[134:135], v[128:129], v[132:133] op_sel:[0,0,1] op_sel_hi:[1,1,0] neg_lo:[0,0,1] neg_hi:[0,0,1]
	v_pk_fma_f32 v[132:133], v[134:135], v[128:129], v[132:133] op_sel:[0,0,1] op_sel_hi:[1,0,0]
	s_delay_alu instid0(VALU_DEP_1)
	v_mov_b32_e32 v137, v133
	ds_load_2addr_b64 v[132:135], v166 offset0:25 offset1:26
	v_pk_add_f32 v[104:105], v[104:105], v[138:139] neg_lo:[0,1] neg_hi:[0,1]
	v_pk_add_f32 v[102:103], v[102:103], v[136:137] neg_lo:[0,1] neg_hi:[0,1]
	s_wait_dscnt 0x0
	v_pk_mul_f32 v[136:137], v[132:133], v[130:131] op_sel:[0,1]
	v_mul_f32_e32 v130, v135, v131
	s_delay_alu instid0(VALU_DEP_2) | instskip(SKIP_2) | instid1(VALU_DEP_4)
	v_pk_fma_f32 v[138:139], v[132:133], v[128:129], v[136:137] op_sel:[0,0,1] op_sel_hi:[1,1,0] neg_lo:[0,0,1] neg_hi:[0,0,1]
	v_pk_fma_f32 v[132:133], v[132:133], v[128:129], v[136:137] op_sel:[0,0,1] op_sel_hi:[1,0,0]
	v_dual_mov_b32 v132, v135 :: v_dual_mul_f32 v128, v135, v128
	v_pk_fma_f32 v[130:131], v[134:135], v[42:43], v[130:131] op_sel_hi:[1,1,0] neg_lo:[0,0,1] neg_hi:[0,0,1]
	s_delay_alu instid0(VALU_DEP_3) | instskip(NEXT) | instid1(VALU_DEP_1)
	v_dual_mov_b32 v139, v133 :: v_dual_mov_b32 v133, v134
	v_pk_add_f32 v[100:101], v[100:101], v[138:139] neg_lo:[0,1] neg_hi:[0,1]
	s_delay_alu instid0(VALU_DEP_2) | instskip(NEXT) | instid1(VALU_DEP_1)
	v_pk_fma_f32 v[128:129], v[132:133], v[42:43], v[128:129] op_sel_hi:[1,1,0]
	v_mov_b32_e32 v131, v129
	s_delay_alu instid0(VALU_DEP_1)
	v_pk_add_f32 v[108:109], v[108:109], v[130:131] neg_lo:[0,1] neg_hi:[0,1]
.LBB53_82:
	s_or_b32 exec_lo, exec_lo, s1
	s_delay_alu instid0(SALU_CYCLE_1)
	s_mov_b32 s2, exec_lo
	s_wait_dscnt 0x0
	s_barrier_signal -1
	s_barrier_wait -1
	v_cmpx_eq_u32_e32 9, v164
	s_cbranch_execz .LBB53_89
; %bb.83:
	v_dual_mov_b32 v128, v40 :: v_dual_mov_b32 v129, v41
	v_dual_mov_b32 v130, v36 :: v_dual_mov_b32 v131, v37
	ds_store_b64 v165, v[38:39]
	ds_store_2addr_b64 v166, v[128:129], v[130:131] offset0:10 offset1:11
	v_dual_mov_b32 v128, v66 :: v_dual_mov_b32 v129, v67
	v_dual_mov_b32 v130, v62 :: v_dual_mov_b32 v131, v63
	ds_store_2addr_b64 v166, v[128:129], v[130:131] offset0:12 offset1:13
	v_dual_mov_b32 v128, v64 :: v_dual_mov_b32 v129, v65
	v_dual_mov_b32 v130, v60 :: v_dual_mov_b32 v131, v61
	;; [unrolled: 3-line block ×7, first 2 shown]
	ds_store_2addr_b64 v166, v[128:129], v[130:131] offset0:24 offset1:25
	ds_store_b64 v166, v[108:109] offset:208
	ds_load_b64 v[128:129], v165
	s_wait_dscnt 0x0
	v_cmp_neq_f32_e32 vcc_lo, 0, v128
	v_cmp_neq_f32_e64 s1, 0, v129
	s_or_b32 s1, vcc_lo, s1
	s_delay_alu instid0(SALU_CYCLE_1)
	s_and_b32 exec_lo, exec_lo, s1
	s_cbranch_execz .LBB53_89
; %bb.84:
	v_cmp_ngt_f32_e64 s1, |v128|, |v129|
                                        ; implicit-def: $vgpr130_vgpr131
	s_and_saveexec_b32 s4, s1
	s_delay_alu instid0(SALU_CYCLE_1)
	s_xor_b32 s1, exec_lo, s4
	s_cbranch_execz .LBB53_86
; %bb.85:
	v_div_scale_f32 v130, null, v129, v129, v128
	v_div_scale_f32 v133, vcc_lo, v128, v129, v128
	s_delay_alu instid0(VALU_DEP_2) | instskip(SKIP_1) | instid1(TRANS32_DEP_1)
	v_rcp_f32_e32 v131, v130
	v_nop
	v_fma_f32 v132, -v130, v131, 1.0
	s_delay_alu instid0(VALU_DEP_1) | instskip(NEXT) | instid1(VALU_DEP_1)
	v_fmac_f32_e32 v131, v132, v131
	v_mul_f32_e32 v132, v133, v131
	s_delay_alu instid0(VALU_DEP_1) | instskip(NEXT) | instid1(VALU_DEP_1)
	v_fma_f32 v134, -v130, v132, v133
	v_fmac_f32_e32 v132, v134, v131
	s_delay_alu instid0(VALU_DEP_1) | instskip(NEXT) | instid1(VALU_DEP_1)
	v_fma_f32 v130, -v130, v132, v133
	v_div_fmas_f32 v130, v130, v131, v132
	s_delay_alu instid0(VALU_DEP_1) | instskip(NEXT) | instid1(VALU_DEP_1)
	v_div_fixup_f32 v130, v130, v129, v128
	v_fmac_f32_e32 v129, v128, v130
	s_delay_alu instid0(VALU_DEP_1) | instskip(SKIP_1) | instid1(VALU_DEP_2)
	v_div_scale_f32 v128, null, v129, v129, 1.0
	v_div_scale_f32 v133, vcc_lo, 1.0, v129, 1.0
	v_rcp_f32_e32 v131, v128
	v_nop
	s_delay_alu instid0(TRANS32_DEP_1) | instskip(NEXT) | instid1(VALU_DEP_1)
	v_fma_f32 v132, -v128, v131, 1.0
	v_fmac_f32_e32 v131, v132, v131
	s_delay_alu instid0(VALU_DEP_1) | instskip(NEXT) | instid1(VALU_DEP_1)
	v_mul_f32_e32 v132, v133, v131
	v_fma_f32 v134, -v128, v132, v133
	s_delay_alu instid0(VALU_DEP_1) | instskip(NEXT) | instid1(VALU_DEP_1)
	v_fmac_f32_e32 v132, v134, v131
	v_fma_f32 v128, -v128, v132, v133
	s_delay_alu instid0(VALU_DEP_1) | instskip(NEXT) | instid1(VALU_DEP_1)
	v_div_fmas_f32 v128, v128, v131, v132
	v_div_fixup_f32 v128, v128, v129, 1.0
	s_delay_alu instid0(VALU_DEP_1)
	v_mul_f32_e32 v130, v130, v128
	v_xor_b32_e32 v131, 0x80000000, v128
                                        ; implicit-def: $vgpr128_vgpr129
.LBB53_86:
	s_and_not1_saveexec_b32 s1, s1
	s_cbranch_execz .LBB53_88
; %bb.87:
	v_div_scale_f32 v130, null, v128, v128, v129
	v_div_scale_f32 v133, vcc_lo, v129, v128, v129
	s_delay_alu instid0(VALU_DEP_2) | instskip(SKIP_1) | instid1(TRANS32_DEP_1)
	v_rcp_f32_e32 v131, v130
	v_nop
	v_fma_f32 v132, -v130, v131, 1.0
	s_delay_alu instid0(VALU_DEP_1) | instskip(NEXT) | instid1(VALU_DEP_1)
	v_fmac_f32_e32 v131, v132, v131
	v_mul_f32_e32 v132, v133, v131
	s_delay_alu instid0(VALU_DEP_1) | instskip(NEXT) | instid1(VALU_DEP_1)
	v_fma_f32 v134, -v130, v132, v133
	v_fmac_f32_e32 v132, v134, v131
	s_delay_alu instid0(VALU_DEP_1) | instskip(NEXT) | instid1(VALU_DEP_1)
	v_fma_f32 v130, -v130, v132, v133
	v_div_fmas_f32 v130, v130, v131, v132
	s_delay_alu instid0(VALU_DEP_1) | instskip(NEXT) | instid1(VALU_DEP_1)
	v_div_fixup_f32 v131, v130, v128, v129
	v_fmac_f32_e32 v128, v129, v131
	s_delay_alu instid0(VALU_DEP_1) | instskip(NEXT) | instid1(VALU_DEP_1)
	v_div_scale_f32 v129, null, v128, v128, 1.0
	v_rcp_f32_e32 v130, v129
	v_nop
	s_delay_alu instid0(TRANS32_DEP_1) | instskip(NEXT) | instid1(VALU_DEP_1)
	v_fma_f32 v132, -v129, v130, 1.0
	v_fmac_f32_e32 v130, v132, v130
	v_div_scale_f32 v132, vcc_lo, 1.0, v128, 1.0
	s_delay_alu instid0(VALU_DEP_1) | instskip(NEXT) | instid1(VALU_DEP_1)
	v_mul_f32_e32 v133, v132, v130
	v_fma_f32 v134, -v129, v133, v132
	s_delay_alu instid0(VALU_DEP_1) | instskip(NEXT) | instid1(VALU_DEP_1)
	v_fmac_f32_e32 v133, v134, v130
	v_fma_f32 v129, -v129, v133, v132
	s_delay_alu instid0(VALU_DEP_1) | instskip(NEXT) | instid1(VALU_DEP_1)
	v_div_fmas_f32 v129, v129, v130, v133
	v_div_fixup_f32 v130, v129, v128, 1.0
	s_delay_alu instid0(VALU_DEP_1)
	v_mul_f32_e64 v131, v131, -v130
.LBB53_88:
	s_or_b32 exec_lo, exec_lo, s1
	ds_store_b64 v165, v[130:131]
.LBB53_89:
	s_or_b32 exec_lo, exec_lo, s2
	s_wait_dscnt 0x0
	s_barrier_signal -1
	s_barrier_wait -1
	ds_load_b64 v[128:129], v165
	s_mov_b32 s1, exec_lo
	v_cmpx_lt_u32_e32 9, v164
	s_cbranch_execz .LBB53_91
; %bb.90:
	ds_load_2addr_b64 v[134:137], v166 offset0:10 offset1:11
	s_wait_dscnt 0x1
	v_pk_mul_f32 v[132:133], v[128:129], v[38:39] op_sel:[1,1] op_sel_hi:[0,1]
	s_delay_alu instid0(VALU_DEP_1) | instskip(SKIP_1) | instid1(VALU_DEP_1)
	v_pk_fma_f32 v[130:131], v[128:129], v[38:39], v[132:133] op_sel_hi:[1,0,1] neg_lo:[0,0,1] neg_hi:[0,0,1]
	v_pk_fma_f32 v[132:133], v[128:129], v[38:39], v[132:133] op_sel_hi:[1,0,1]
	v_dual_mov_b32 v38, v130 :: v_dual_mov_b32 v39, v133
	s_wait_dscnt 0x0
	s_delay_alu instid0(VALU_DEP_2) | instskip(NEXT) | instid1(VALU_DEP_1)
	v_pk_mul_f32 v[138:139], v[134:135], v[132:133] op_sel:[0,1]
	v_pk_fma_f32 v[140:141], v[134:135], v[130:131], v[138:139] op_sel:[0,0,1] op_sel_hi:[1,1,0] neg_lo:[0,0,1] neg_hi:[0,0,1]
	v_pk_fma_f32 v[134:135], v[134:135], v[130:131], v[138:139] op_sel:[0,0,1] op_sel_hi:[1,0,0]
	s_delay_alu instid0(VALU_DEP_1) | instskip(SKIP_1) | instid1(VALU_DEP_1)
	v_mov_b32_e32 v141, v135
	v_pk_mul_f32 v[134:135], v[136:137], v[132:133] op_sel:[0,1]
	v_pk_fma_f32 v[138:139], v[136:137], v[130:131], v[134:135] op_sel:[0,0,1] op_sel_hi:[1,1,0] neg_lo:[0,0,1] neg_hi:[0,0,1]
	v_pk_fma_f32 v[134:135], v[136:137], v[130:131], v[134:135] op_sel:[0,0,1] op_sel_hi:[1,0,0]
	s_delay_alu instid0(VALU_DEP_1)
	v_mov_b32_e32 v139, v135
	ds_load_2addr_b64 v[134:137], v166 offset0:12 offset1:13
	v_pk_add_f32 v[40:41], v[40:41], v[140:141] neg_lo:[0,1] neg_hi:[0,1]
	v_pk_add_f32 v[36:37], v[36:37], v[138:139] neg_lo:[0,1] neg_hi:[0,1]
	s_wait_dscnt 0x0
	v_pk_mul_f32 v[138:139], v[134:135], v[132:133] op_sel:[0,1]
	s_delay_alu instid0(VALU_DEP_1) | instskip(SKIP_2) | instid1(VALU_DEP_2)
	v_pk_fma_f32 v[140:141], v[134:135], v[130:131], v[138:139] op_sel:[0,0,1] op_sel_hi:[1,1,0] neg_lo:[0,0,1] neg_hi:[0,0,1]
	v_pk_fma_f32 v[134:135], v[134:135], v[130:131], v[138:139] op_sel:[0,0,1] op_sel_hi:[1,0,0]
	v_dual_mul_f32 v138, v137, v133 :: v_dual_mov_b32 v134, v137
	v_dual_mov_b32 v141, v135 :: v_dual_mov_b32 v135, v136
	s_delay_alu instid0(VALU_DEP_2) | instskip(SKIP_1) | instid1(VALU_DEP_3)
	v_pk_fma_f32 v[138:139], v[136:137], v[38:39], v[138:139] op_sel_hi:[1,1,0] neg_lo:[0,0,1] neg_hi:[0,0,1]
	v_mul_f32_e32 v136, v137, v130
	v_pk_add_f32 v[66:67], v[66:67], v[140:141] neg_lo:[0,1] neg_hi:[0,1]
	s_delay_alu instid0(VALU_DEP_2) | instskip(NEXT) | instid1(VALU_DEP_1)
	v_pk_fma_f32 v[134:135], v[134:135], v[38:39], v[136:137] op_sel_hi:[1,1,0]
	v_mov_b32_e32 v139, v135
	ds_load_2addr_b64 v[134:137], v166 offset0:14 offset1:15
	v_pk_add_f32 v[62:63], v[62:63], v[138:139] neg_lo:[0,1] neg_hi:[0,1]
	s_wait_dscnt 0x0
	v_pk_mul_f32 v[138:139], v[134:135], v[132:133] op_sel:[0,1]
	s_delay_alu instid0(VALU_DEP_1) | instskip(SKIP_1) | instid1(VALU_DEP_1)
	v_pk_fma_f32 v[140:141], v[134:135], v[130:131], v[138:139] op_sel:[0,0,1] op_sel_hi:[1,1,0] neg_lo:[0,0,1] neg_hi:[0,0,1]
	v_pk_fma_f32 v[134:135], v[134:135], v[130:131], v[138:139] op_sel:[0,0,1] op_sel_hi:[1,0,0]
	v_mov_b32_e32 v141, v135
	v_pk_mul_f32 v[134:135], v[136:137], v[132:133] op_sel:[0,1]
	s_delay_alu instid0(VALU_DEP_1) | instskip(SKIP_1) | instid1(VALU_DEP_1)
	v_pk_fma_f32 v[138:139], v[136:137], v[130:131], v[134:135] op_sel:[0,0,1] op_sel_hi:[1,1,0] neg_lo:[0,0,1] neg_hi:[0,0,1]
	v_pk_fma_f32 v[134:135], v[136:137], v[130:131], v[134:135] op_sel:[0,0,1] op_sel_hi:[1,0,0]
	v_mov_b32_e32 v139, v135
	ds_load_2addr_b64 v[134:137], v166 offset0:16 offset1:17
	v_pk_add_f32 v[64:65], v[64:65], v[140:141] neg_lo:[0,1] neg_hi:[0,1]
	v_pk_add_f32 v[60:61], v[60:61], v[138:139] neg_lo:[0,1] neg_hi:[0,1]
	s_wait_dscnt 0x0
	v_pk_mul_f32 v[138:139], v[134:135], v[132:133] op_sel:[0,1]
	s_delay_alu instid0(VALU_DEP_1) | instskip(SKIP_1) | instid1(VALU_DEP_1)
	v_pk_fma_f32 v[140:141], v[134:135], v[130:131], v[138:139] op_sel:[0,0,1] op_sel_hi:[1,1,0] neg_lo:[0,0,1] neg_hi:[0,0,1]
	v_pk_fma_f32 v[134:135], v[134:135], v[130:131], v[138:139] op_sel:[0,0,1] op_sel_hi:[1,0,0]
	v_mov_b32_e32 v141, v135
	v_pk_mul_f32 v[134:135], v[136:137], v[132:133] op_sel:[0,1]
	s_delay_alu instid0(VALU_DEP_1) | instskip(SKIP_1) | instid1(VALU_DEP_1)
	v_pk_fma_f32 v[138:139], v[136:137], v[130:131], v[134:135] op_sel:[0,0,1] op_sel_hi:[1,1,0] neg_lo:[0,0,1] neg_hi:[0,0,1]
	v_pk_fma_f32 v[134:135], v[136:137], v[130:131], v[134:135] op_sel:[0,0,1] op_sel_hi:[1,0,0]
	v_mov_b32_e32 v139, v135
	ds_load_2addr_b64 v[134:137], v166 offset0:18 offset1:19
	v_pk_add_f32 v[82:83], v[82:83], v[140:141] neg_lo:[0,1] neg_hi:[0,1]
	v_pk_add_f32 v[106:107], v[106:107], v[138:139] neg_lo:[0,1] neg_hi:[0,1]
	s_wait_dscnt 0x0
	v_dual_mul_f32 v138, v135, v133 :: v_dual_mul_f32 v140, v135, v130
	s_delay_alu instid0(VALU_DEP_1) | instskip(NEXT) | instid1(VALU_DEP_2)
	v_pk_fma_f32 v[138:139], v[134:135], v[38:39], v[138:139] op_sel_hi:[1,1,0] neg_lo:[0,0,1] neg_hi:[0,0,1]
	v_pk_fma_f32 v[134:135], v[134:135], v[38:39], v[140:141] op_sel:[1,0,0] op_sel_hi:[0,1,0]
	s_delay_alu instid0(VALU_DEP_1) | instskip(SKIP_1) | instid1(VALU_DEP_2)
	v_mov_b32_e32 v139, v135
	v_pk_mul_f32 v[134:135], v[136:137], v[132:133] op_sel:[0,1]
	v_pk_add_f32 v[80:81], v[80:81], v[138:139] neg_lo:[0,1] neg_hi:[0,1]
	s_delay_alu instid0(VALU_DEP_2) | instskip(SKIP_1) | instid1(VALU_DEP_1)
	v_pk_fma_f32 v[138:139], v[136:137], v[130:131], v[134:135] op_sel:[0,0,1] op_sel_hi:[1,1,0] neg_lo:[0,0,1] neg_hi:[0,0,1]
	v_pk_fma_f32 v[134:135], v[136:137], v[130:131], v[134:135] op_sel:[0,0,1] op_sel_hi:[1,0,0]
	v_mov_b32_e32 v139, v135
	ds_load_2addr_b64 v[134:137], v166 offset0:20 offset1:21
	v_pk_add_f32 v[78:79], v[78:79], v[138:139] neg_lo:[0,1] neg_hi:[0,1]
	s_wait_dscnt 0x0
	v_pk_mul_f32 v[138:139], v[134:135], v[132:133] op_sel:[0,1]
	s_delay_alu instid0(VALU_DEP_1) | instskip(SKIP_1) | instid1(VALU_DEP_1)
	v_pk_fma_f32 v[140:141], v[134:135], v[130:131], v[138:139] op_sel:[0,0,1] op_sel_hi:[1,1,0] neg_lo:[0,0,1] neg_hi:[0,0,1]
	v_pk_fma_f32 v[134:135], v[134:135], v[130:131], v[138:139] op_sel:[0,0,1] op_sel_hi:[1,0,0]
	v_mov_b32_e32 v141, v135
	v_pk_mul_f32 v[134:135], v[136:137], v[132:133] op_sel:[0,1]
	s_delay_alu instid0(VALU_DEP_2) | instskip(NEXT) | instid1(VALU_DEP_2)
	v_pk_add_f32 v[98:99], v[98:99], v[140:141] neg_lo:[0,1] neg_hi:[0,1]
	v_pk_fma_f32 v[138:139], v[136:137], v[130:131], v[134:135] op_sel:[0,0,1] op_sel_hi:[1,1,0] neg_lo:[0,0,1] neg_hi:[0,0,1]
	v_pk_fma_f32 v[134:135], v[136:137], v[130:131], v[134:135] op_sel:[0,0,1] op_sel_hi:[1,0,0]
	s_delay_alu instid0(VALU_DEP_1) | instskip(SKIP_4) | instid1(VALU_DEP_1)
	v_mov_b32_e32 v139, v135
	ds_load_2addr_b64 v[134:137], v166 offset0:22 offset1:23
	v_pk_add_f32 v[94:95], v[94:95], v[138:139] neg_lo:[0,1] neg_hi:[0,1]
	s_wait_dscnt 0x0
	v_pk_mul_f32 v[138:139], v[134:135], v[132:133] op_sel:[0,1]
	v_pk_fma_f32 v[140:141], v[134:135], v[130:131], v[138:139] op_sel:[0,0,1] op_sel_hi:[1,1,0] neg_lo:[0,0,1] neg_hi:[0,0,1]
	v_pk_fma_f32 v[134:135], v[134:135], v[130:131], v[138:139] op_sel:[0,0,1] op_sel_hi:[1,0,0]
	v_dual_mul_f32 v138, v137, v133 :: v_dual_mov_b32 v134, v137
	s_delay_alu instid0(VALU_DEP_2) | instskip(NEXT) | instid1(VALU_DEP_2)
	v_dual_mov_b32 v141, v135 :: v_dual_mov_b32 v135, v136
	v_pk_fma_f32 v[138:139], v[136:137], v[38:39], v[138:139] op_sel_hi:[1,1,0] neg_lo:[0,0,1] neg_hi:[0,0,1]
	v_mul_f32_e32 v136, v137, v130
	s_delay_alu instid0(VALU_DEP_3) | instskip(NEXT) | instid1(VALU_DEP_2)
	v_pk_add_f32 v[96:97], v[96:97], v[140:141] neg_lo:[0,1] neg_hi:[0,1]
	v_pk_fma_f32 v[134:135], v[134:135], v[38:39], v[136:137] op_sel_hi:[1,1,0]
	s_delay_alu instid0(VALU_DEP_1) | instskip(SKIP_4) | instid1(VALU_DEP_1)
	v_mov_b32_e32 v139, v135
	ds_load_2addr_b64 v[134:137], v166 offset0:24 offset1:25
	v_pk_add_f32 v[104:105], v[104:105], v[138:139] neg_lo:[0,1] neg_hi:[0,1]
	s_wait_dscnt 0x0
	v_pk_mul_f32 v[138:139], v[134:135], v[132:133] op_sel:[0,1]
	v_pk_fma_f32 v[140:141], v[134:135], v[130:131], v[138:139] op_sel:[0,0,1] op_sel_hi:[1,1,0] neg_lo:[0,0,1] neg_hi:[0,0,1]
	v_pk_fma_f32 v[134:135], v[134:135], v[130:131], v[138:139] op_sel:[0,0,1] op_sel_hi:[1,0,0]
	s_delay_alu instid0(VALU_DEP_1) | instskip(SKIP_1) | instid1(VALU_DEP_1)
	v_mov_b32_e32 v141, v135
	v_pk_mul_f32 v[134:135], v[136:137], v[132:133] op_sel:[0,1]
	v_pk_fma_f32 v[138:139], v[136:137], v[130:131], v[134:135] op_sel:[0,0,1] op_sel_hi:[1,1,0] neg_lo:[0,0,1] neg_hi:[0,0,1]
	v_pk_fma_f32 v[134:135], v[136:137], v[130:131], v[134:135] op_sel:[0,0,1] op_sel_hi:[1,0,0]
	s_delay_alu instid0(VALU_DEP_1)
	v_mov_b32_e32 v139, v135
	ds_load_b64 v[134:135], v166 offset:208
	v_pk_add_f32 v[102:103], v[102:103], v[140:141] neg_lo:[0,1] neg_hi:[0,1]
	v_pk_add_f32 v[100:101], v[100:101], v[138:139] neg_lo:[0,1] neg_hi:[0,1]
	s_wait_dscnt 0x0
	v_pk_mul_f32 v[132:133], v[134:135], v[132:133] op_sel:[0,1]
	s_delay_alu instid0(VALU_DEP_1) | instskip(SKIP_1) | instid1(VALU_DEP_1)
	v_pk_fma_f32 v[136:137], v[134:135], v[130:131], v[132:133] op_sel:[0,0,1] op_sel_hi:[1,1,0] neg_lo:[0,0,1] neg_hi:[0,0,1]
	v_pk_fma_f32 v[130:131], v[134:135], v[130:131], v[132:133] op_sel:[0,0,1] op_sel_hi:[1,0,0]
	v_mov_b32_e32 v137, v131
	s_delay_alu instid0(VALU_DEP_1)
	v_pk_add_f32 v[108:109], v[108:109], v[136:137] neg_lo:[0,1] neg_hi:[0,1]
.LBB53_91:
	s_or_b32 exec_lo, exec_lo, s1
	s_delay_alu instid0(SALU_CYCLE_1)
	s_mov_b32 s2, exec_lo
	s_wait_dscnt 0x0
	s_barrier_signal -1
	s_barrier_wait -1
	v_cmpx_eq_u32_e32 10, v164
	s_cbranch_execz .LBB53_98
; %bb.92:
	ds_store_b64 v165, v[40:41]
	ds_store_2addr_b64 v166, v[36:37], v[66:67] offset0:11 offset1:12
	ds_store_2addr_b64 v166, v[62:63], v[64:65] offset0:13 offset1:14
	;; [unrolled: 1-line block ×8, first 2 shown]
	ds_load_b64 v[130:131], v165
	s_wait_dscnt 0x0
	v_cmp_neq_f32_e32 vcc_lo, 0, v130
	v_cmp_neq_f32_e64 s1, 0, v131
	s_or_b32 s1, vcc_lo, s1
	s_delay_alu instid0(SALU_CYCLE_1)
	s_and_b32 exec_lo, exec_lo, s1
	s_cbranch_execz .LBB53_98
; %bb.93:
	v_cmp_ngt_f32_e64 s1, |v130|, |v131|
                                        ; implicit-def: $vgpr132_vgpr133
	s_and_saveexec_b32 s4, s1
	s_delay_alu instid0(SALU_CYCLE_1)
	s_xor_b32 s1, exec_lo, s4
	s_cbranch_execz .LBB53_95
; %bb.94:
	v_div_scale_f32 v132, null, v131, v131, v130
	v_div_scale_f32 v135, vcc_lo, v130, v131, v130
	s_delay_alu instid0(VALU_DEP_2) | instskip(SKIP_1) | instid1(TRANS32_DEP_1)
	v_rcp_f32_e32 v133, v132
	v_nop
	v_fma_f32 v134, -v132, v133, 1.0
	s_delay_alu instid0(VALU_DEP_1) | instskip(NEXT) | instid1(VALU_DEP_1)
	v_fmac_f32_e32 v133, v134, v133
	v_mul_f32_e32 v134, v135, v133
	s_delay_alu instid0(VALU_DEP_1) | instskip(NEXT) | instid1(VALU_DEP_1)
	v_fma_f32 v136, -v132, v134, v135
	v_fmac_f32_e32 v134, v136, v133
	s_delay_alu instid0(VALU_DEP_1) | instskip(NEXT) | instid1(VALU_DEP_1)
	v_fma_f32 v132, -v132, v134, v135
	v_div_fmas_f32 v132, v132, v133, v134
	s_delay_alu instid0(VALU_DEP_1) | instskip(NEXT) | instid1(VALU_DEP_1)
	v_div_fixup_f32 v132, v132, v131, v130
	v_fmac_f32_e32 v131, v130, v132
	s_delay_alu instid0(VALU_DEP_1) | instskip(SKIP_1) | instid1(VALU_DEP_2)
	v_div_scale_f32 v130, null, v131, v131, 1.0
	v_div_scale_f32 v135, vcc_lo, 1.0, v131, 1.0
	v_rcp_f32_e32 v133, v130
	v_nop
	s_delay_alu instid0(TRANS32_DEP_1) | instskip(NEXT) | instid1(VALU_DEP_1)
	v_fma_f32 v134, -v130, v133, 1.0
	v_fmac_f32_e32 v133, v134, v133
	s_delay_alu instid0(VALU_DEP_1) | instskip(NEXT) | instid1(VALU_DEP_1)
	v_mul_f32_e32 v134, v135, v133
	v_fma_f32 v136, -v130, v134, v135
	s_delay_alu instid0(VALU_DEP_1) | instskip(NEXT) | instid1(VALU_DEP_1)
	v_fmac_f32_e32 v134, v136, v133
	v_fma_f32 v130, -v130, v134, v135
	s_delay_alu instid0(VALU_DEP_1) | instskip(NEXT) | instid1(VALU_DEP_1)
	v_div_fmas_f32 v130, v130, v133, v134
	v_div_fixup_f32 v130, v130, v131, 1.0
	s_delay_alu instid0(VALU_DEP_1)
	v_mul_f32_e32 v132, v132, v130
	v_xor_b32_e32 v133, 0x80000000, v130
                                        ; implicit-def: $vgpr130_vgpr131
.LBB53_95:
	s_and_not1_saveexec_b32 s1, s1
	s_cbranch_execz .LBB53_97
; %bb.96:
	v_div_scale_f32 v132, null, v130, v130, v131
	v_div_scale_f32 v135, vcc_lo, v131, v130, v131
	s_delay_alu instid0(VALU_DEP_2) | instskip(SKIP_1) | instid1(TRANS32_DEP_1)
	v_rcp_f32_e32 v133, v132
	v_nop
	v_fma_f32 v134, -v132, v133, 1.0
	s_delay_alu instid0(VALU_DEP_1) | instskip(NEXT) | instid1(VALU_DEP_1)
	v_fmac_f32_e32 v133, v134, v133
	v_mul_f32_e32 v134, v135, v133
	s_delay_alu instid0(VALU_DEP_1) | instskip(NEXT) | instid1(VALU_DEP_1)
	v_fma_f32 v136, -v132, v134, v135
	v_fmac_f32_e32 v134, v136, v133
	s_delay_alu instid0(VALU_DEP_1) | instskip(NEXT) | instid1(VALU_DEP_1)
	v_fma_f32 v132, -v132, v134, v135
	v_div_fmas_f32 v132, v132, v133, v134
	s_delay_alu instid0(VALU_DEP_1) | instskip(NEXT) | instid1(VALU_DEP_1)
	v_div_fixup_f32 v133, v132, v130, v131
	v_fmac_f32_e32 v130, v131, v133
	s_delay_alu instid0(VALU_DEP_1) | instskip(NEXT) | instid1(VALU_DEP_1)
	v_div_scale_f32 v131, null, v130, v130, 1.0
	v_rcp_f32_e32 v132, v131
	v_nop
	s_delay_alu instid0(TRANS32_DEP_1) | instskip(NEXT) | instid1(VALU_DEP_1)
	v_fma_f32 v134, -v131, v132, 1.0
	v_fmac_f32_e32 v132, v134, v132
	v_div_scale_f32 v134, vcc_lo, 1.0, v130, 1.0
	s_delay_alu instid0(VALU_DEP_1) | instskip(NEXT) | instid1(VALU_DEP_1)
	v_mul_f32_e32 v135, v134, v132
	v_fma_f32 v136, -v131, v135, v134
	s_delay_alu instid0(VALU_DEP_1) | instskip(NEXT) | instid1(VALU_DEP_1)
	v_fmac_f32_e32 v135, v136, v132
	v_fma_f32 v131, -v131, v135, v134
	s_delay_alu instid0(VALU_DEP_1) | instskip(NEXT) | instid1(VALU_DEP_1)
	v_div_fmas_f32 v131, v131, v132, v135
	v_div_fixup_f32 v132, v131, v130, 1.0
	s_delay_alu instid0(VALU_DEP_1)
	v_mul_f32_e64 v133, v133, -v132
.LBB53_97:
	s_or_b32 exec_lo, exec_lo, s1
	ds_store_b64 v165, v[132:133]
.LBB53_98:
	s_or_b32 exec_lo, exec_lo, s2
	s_wait_dscnt 0x0
	s_barrier_signal -1
	s_barrier_wait -1
	ds_load_b64 v[130:131], v165
	s_mov_b32 s1, exec_lo
	v_cmpx_lt_u32_e32 10, v164
	s_cbranch_execz .LBB53_100
; %bb.99:
	ds_load_2addr_b64 v[136:139], v166 offset0:11 offset1:12
	s_wait_dscnt 0x1
	v_pk_mul_f32 v[134:135], v[130:131], v[40:41] op_sel:[1,1] op_sel_hi:[0,1]
	s_delay_alu instid0(VALU_DEP_1) | instskip(SKIP_1) | instid1(VALU_DEP_1)
	v_pk_fma_f32 v[132:133], v[130:131], v[40:41], v[134:135] op_sel_hi:[1,0,1] neg_lo:[0,0,1] neg_hi:[0,0,1]
	v_pk_fma_f32 v[134:135], v[130:131], v[40:41], v[134:135] op_sel_hi:[1,0,1]
	v_dual_mov_b32 v40, v132 :: v_dual_mov_b32 v41, v135
	s_wait_dscnt 0x0
	s_delay_alu instid0(VALU_DEP_2) | instskip(NEXT) | instid1(VALU_DEP_1)
	v_pk_mul_f32 v[140:141], v[136:137], v[134:135] op_sel:[0,1]
	v_pk_fma_f32 v[142:143], v[136:137], v[132:133], v[140:141] op_sel:[0,0,1] op_sel_hi:[1,1,0] neg_lo:[0,0,1] neg_hi:[0,0,1]
	v_pk_fma_f32 v[136:137], v[136:137], v[132:133], v[140:141] op_sel:[0,0,1] op_sel_hi:[1,0,0]
	s_delay_alu instid0(VALU_DEP_1) | instskip(SKIP_1) | instid1(VALU_DEP_1)
	v_mov_b32_e32 v143, v137
	v_pk_mul_f32 v[136:137], v[138:139], v[134:135] op_sel:[0,1]
	v_pk_fma_f32 v[140:141], v[138:139], v[132:133], v[136:137] op_sel:[0,0,1] op_sel_hi:[1,1,0] neg_lo:[0,0,1] neg_hi:[0,0,1]
	v_pk_fma_f32 v[136:137], v[138:139], v[132:133], v[136:137] op_sel:[0,0,1] op_sel_hi:[1,0,0]
	s_delay_alu instid0(VALU_DEP_1)
	v_mov_b32_e32 v141, v137
	ds_load_2addr_b64 v[136:139], v166 offset0:13 offset1:14
	v_pk_add_f32 v[36:37], v[36:37], v[142:143] neg_lo:[0,1] neg_hi:[0,1]
	v_pk_add_f32 v[66:67], v[66:67], v[140:141] neg_lo:[0,1] neg_hi:[0,1]
	s_wait_dscnt 0x0
	v_pk_mul_f32 v[140:141], v[136:137], v[134:135] op_sel:[0,1]
	s_delay_alu instid0(VALU_DEP_1) | instskip(SKIP_2) | instid1(VALU_DEP_2)
	v_pk_fma_f32 v[142:143], v[136:137], v[132:133], v[140:141] op_sel:[0,0,1] op_sel_hi:[1,1,0] neg_lo:[0,0,1] neg_hi:[0,0,1]
	v_pk_fma_f32 v[136:137], v[136:137], v[132:133], v[140:141] op_sel:[0,0,1] op_sel_hi:[1,0,0]
	v_dual_mul_f32 v140, v139, v135 :: v_dual_mov_b32 v136, v139
	v_dual_mov_b32 v143, v137 :: v_dual_mov_b32 v137, v138
	s_delay_alu instid0(VALU_DEP_2) | instskip(SKIP_1) | instid1(VALU_DEP_3)
	v_pk_fma_f32 v[140:141], v[138:139], v[40:41], v[140:141] op_sel_hi:[1,1,0] neg_lo:[0,0,1] neg_hi:[0,0,1]
	v_mul_f32_e32 v138, v139, v132
	v_pk_add_f32 v[62:63], v[62:63], v[142:143] neg_lo:[0,1] neg_hi:[0,1]
	s_delay_alu instid0(VALU_DEP_2) | instskip(NEXT) | instid1(VALU_DEP_1)
	v_pk_fma_f32 v[136:137], v[136:137], v[40:41], v[138:139] op_sel_hi:[1,1,0]
	v_mov_b32_e32 v141, v137
	ds_load_2addr_b64 v[136:139], v166 offset0:15 offset1:16
	v_pk_add_f32 v[64:65], v[64:65], v[140:141] neg_lo:[0,1] neg_hi:[0,1]
	s_wait_dscnt 0x0
	v_pk_mul_f32 v[140:141], v[136:137], v[134:135] op_sel:[0,1]
	s_delay_alu instid0(VALU_DEP_1) | instskip(SKIP_1) | instid1(VALU_DEP_1)
	v_pk_fma_f32 v[142:143], v[136:137], v[132:133], v[140:141] op_sel:[0,0,1] op_sel_hi:[1,1,0] neg_lo:[0,0,1] neg_hi:[0,0,1]
	v_pk_fma_f32 v[136:137], v[136:137], v[132:133], v[140:141] op_sel:[0,0,1] op_sel_hi:[1,0,0]
	v_mov_b32_e32 v143, v137
	v_pk_mul_f32 v[136:137], v[138:139], v[134:135] op_sel:[0,1]
	s_delay_alu instid0(VALU_DEP_1) | instskip(SKIP_1) | instid1(VALU_DEP_1)
	v_pk_fma_f32 v[140:141], v[138:139], v[132:133], v[136:137] op_sel:[0,0,1] op_sel_hi:[1,1,0] neg_lo:[0,0,1] neg_hi:[0,0,1]
	v_pk_fma_f32 v[136:137], v[138:139], v[132:133], v[136:137] op_sel:[0,0,1] op_sel_hi:[1,0,0]
	v_mov_b32_e32 v141, v137
	ds_load_2addr_b64 v[136:139], v166 offset0:17 offset1:18
	v_pk_add_f32 v[60:61], v[60:61], v[142:143] neg_lo:[0,1] neg_hi:[0,1]
	v_pk_add_f32 v[82:83], v[82:83], v[140:141] neg_lo:[0,1] neg_hi:[0,1]
	s_wait_dscnt 0x0
	v_pk_mul_f32 v[140:141], v[136:137], v[134:135] op_sel:[0,1]
	s_delay_alu instid0(VALU_DEP_1) | instskip(SKIP_1) | instid1(VALU_DEP_1)
	v_pk_fma_f32 v[142:143], v[136:137], v[132:133], v[140:141] op_sel:[0,0,1] op_sel_hi:[1,1,0] neg_lo:[0,0,1] neg_hi:[0,0,1]
	v_pk_fma_f32 v[136:137], v[136:137], v[132:133], v[140:141] op_sel:[0,0,1] op_sel_hi:[1,0,0]
	v_mov_b32_e32 v143, v137
	v_pk_mul_f32 v[136:137], v[138:139], v[134:135] op_sel:[0,1]
	s_delay_alu instid0(VALU_DEP_1) | instskip(SKIP_1) | instid1(VALU_DEP_1)
	v_pk_fma_f32 v[140:141], v[138:139], v[132:133], v[136:137] op_sel:[0,0,1] op_sel_hi:[1,1,0] neg_lo:[0,0,1] neg_hi:[0,0,1]
	v_pk_fma_f32 v[136:137], v[138:139], v[132:133], v[136:137] op_sel:[0,0,1] op_sel_hi:[1,0,0]
	v_mov_b32_e32 v141, v137
	ds_load_2addr_b64 v[136:139], v166 offset0:19 offset1:20
	v_pk_add_f32 v[106:107], v[106:107], v[142:143] neg_lo:[0,1] neg_hi:[0,1]
	v_pk_add_f32 v[80:81], v[80:81], v[140:141] neg_lo:[0,1] neg_hi:[0,1]
	s_wait_dscnt 0x0
	v_dual_mul_f32 v140, v137, v135 :: v_dual_mul_f32 v142, v137, v132
	s_delay_alu instid0(VALU_DEP_1) | instskip(NEXT) | instid1(VALU_DEP_2)
	v_pk_fma_f32 v[140:141], v[136:137], v[40:41], v[140:141] op_sel_hi:[1,1,0] neg_lo:[0,0,1] neg_hi:[0,0,1]
	v_pk_fma_f32 v[136:137], v[136:137], v[40:41], v[142:143] op_sel:[1,0,0] op_sel_hi:[0,1,0]
	s_delay_alu instid0(VALU_DEP_1) | instskip(SKIP_1) | instid1(VALU_DEP_2)
	v_mov_b32_e32 v141, v137
	v_pk_mul_f32 v[136:137], v[138:139], v[134:135] op_sel:[0,1]
	v_pk_add_f32 v[78:79], v[78:79], v[140:141] neg_lo:[0,1] neg_hi:[0,1]
	s_delay_alu instid0(VALU_DEP_2) | instskip(SKIP_1) | instid1(VALU_DEP_1)
	v_pk_fma_f32 v[140:141], v[138:139], v[132:133], v[136:137] op_sel:[0,0,1] op_sel_hi:[1,1,0] neg_lo:[0,0,1] neg_hi:[0,0,1]
	v_pk_fma_f32 v[136:137], v[138:139], v[132:133], v[136:137] op_sel:[0,0,1] op_sel_hi:[1,0,0]
	v_mov_b32_e32 v141, v137
	ds_load_2addr_b64 v[136:139], v166 offset0:21 offset1:22
	v_pk_add_f32 v[98:99], v[98:99], v[140:141] neg_lo:[0,1] neg_hi:[0,1]
	s_wait_dscnt 0x0
	v_pk_mul_f32 v[140:141], v[136:137], v[134:135] op_sel:[0,1]
	s_delay_alu instid0(VALU_DEP_1) | instskip(SKIP_1) | instid1(VALU_DEP_1)
	v_pk_fma_f32 v[142:143], v[136:137], v[132:133], v[140:141] op_sel:[0,0,1] op_sel_hi:[1,1,0] neg_lo:[0,0,1] neg_hi:[0,0,1]
	v_pk_fma_f32 v[136:137], v[136:137], v[132:133], v[140:141] op_sel:[0,0,1] op_sel_hi:[1,0,0]
	v_mov_b32_e32 v143, v137
	v_pk_mul_f32 v[136:137], v[138:139], v[134:135] op_sel:[0,1]
	s_delay_alu instid0(VALU_DEP_2) | instskip(NEXT) | instid1(VALU_DEP_2)
	v_pk_add_f32 v[94:95], v[94:95], v[142:143] neg_lo:[0,1] neg_hi:[0,1]
	v_pk_fma_f32 v[140:141], v[138:139], v[132:133], v[136:137] op_sel:[0,0,1] op_sel_hi:[1,1,0] neg_lo:[0,0,1] neg_hi:[0,0,1]
	v_pk_fma_f32 v[136:137], v[138:139], v[132:133], v[136:137] op_sel:[0,0,1] op_sel_hi:[1,0,0]
	s_delay_alu instid0(VALU_DEP_1) | instskip(SKIP_4) | instid1(VALU_DEP_1)
	v_mov_b32_e32 v141, v137
	ds_load_2addr_b64 v[136:139], v166 offset0:23 offset1:24
	v_pk_add_f32 v[96:97], v[96:97], v[140:141] neg_lo:[0,1] neg_hi:[0,1]
	s_wait_dscnt 0x0
	v_pk_mul_f32 v[140:141], v[136:137], v[134:135] op_sel:[0,1]
	v_pk_fma_f32 v[142:143], v[136:137], v[132:133], v[140:141] op_sel:[0,0,1] op_sel_hi:[1,1,0] neg_lo:[0,0,1] neg_hi:[0,0,1]
	v_pk_fma_f32 v[136:137], v[136:137], v[132:133], v[140:141] op_sel:[0,0,1] op_sel_hi:[1,0,0]
	v_dual_mul_f32 v140, v139, v135 :: v_dual_mov_b32 v136, v139
	s_delay_alu instid0(VALU_DEP_2) | instskip(NEXT) | instid1(VALU_DEP_2)
	v_dual_mov_b32 v143, v137 :: v_dual_mov_b32 v137, v138
	v_pk_fma_f32 v[140:141], v[138:139], v[40:41], v[140:141] op_sel_hi:[1,1,0] neg_lo:[0,0,1] neg_hi:[0,0,1]
	v_mul_f32_e32 v138, v139, v132
	s_delay_alu instid0(VALU_DEP_3) | instskip(NEXT) | instid1(VALU_DEP_2)
	v_pk_add_f32 v[104:105], v[104:105], v[142:143] neg_lo:[0,1] neg_hi:[0,1]
	v_pk_fma_f32 v[136:137], v[136:137], v[40:41], v[138:139] op_sel_hi:[1,1,0]
	s_delay_alu instid0(VALU_DEP_1)
	v_mov_b32_e32 v141, v137
	ds_load_2addr_b64 v[136:139], v166 offset0:25 offset1:26
	v_pk_add_f32 v[102:103], v[102:103], v[140:141] neg_lo:[0,1] neg_hi:[0,1]
	s_wait_dscnt 0x0
	v_pk_mul_f32 v[140:141], v[136:137], v[134:135] op_sel:[0,1]
	v_pk_mul_f32 v[134:135], v[138:139], v[134:135] op_sel:[0,1]
	s_delay_alu instid0(VALU_DEP_2) | instskip(SKIP_1) | instid1(VALU_DEP_1)
	v_pk_fma_f32 v[142:143], v[136:137], v[132:133], v[140:141] op_sel:[0,0,1] op_sel_hi:[1,1,0] neg_lo:[0,0,1] neg_hi:[0,0,1]
	v_pk_fma_f32 v[136:137], v[136:137], v[132:133], v[140:141] op_sel:[0,0,1] op_sel_hi:[1,0,0]
	v_mov_b32_e32 v143, v137
	s_delay_alu instid0(VALU_DEP_4) | instskip(SKIP_1) | instid1(VALU_DEP_1)
	v_pk_fma_f32 v[136:137], v[138:139], v[132:133], v[134:135] op_sel:[0,0,1] op_sel_hi:[1,1,0] neg_lo:[0,0,1] neg_hi:[0,0,1]
	v_pk_fma_f32 v[132:133], v[138:139], v[132:133], v[134:135] op_sel:[0,0,1] op_sel_hi:[1,0,0]
	v_mov_b32_e32 v137, v133
	s_delay_alu instid0(VALU_DEP_4) | instskip(NEXT) | instid1(VALU_DEP_2)
	v_pk_add_f32 v[100:101], v[100:101], v[142:143] neg_lo:[0,1] neg_hi:[0,1]
	v_pk_add_f32 v[108:109], v[108:109], v[136:137] neg_lo:[0,1] neg_hi:[0,1]
.LBB53_100:
	s_or_b32 exec_lo, exec_lo, s1
	s_delay_alu instid0(SALU_CYCLE_1)
	s_mov_b32 s2, exec_lo
	s_wait_dscnt 0x0
	s_barrier_signal -1
	s_barrier_wait -1
	v_cmpx_eq_u32_e32 11, v164
	s_cbranch_execz .LBB53_107
; %bb.101:
	v_dual_mov_b32 v132, v66 :: v_dual_mov_b32 v133, v67
	v_dual_mov_b32 v134, v62 :: v_dual_mov_b32 v135, v63
	;; [unrolled: 1-line block ×4, first 2 shown]
	ds_store_b64 v165, v[36:37]
	ds_store_2addr_b64 v166, v[132:133], v[134:135] offset0:12 offset1:13
	ds_store_2addr_b64 v166, v[136:137], v[138:139] offset0:14 offset1:15
	v_dual_mov_b32 v132, v82 :: v_dual_mov_b32 v133, v83
	v_dual_mov_b32 v134, v106 :: v_dual_mov_b32 v135, v107
	;; [unrolled: 1-line block ×10, first 2 shown]
	ds_store_2addr_b64 v166, v[132:133], v[134:135] offset0:16 offset1:17
	ds_store_2addr_b64 v166, v[136:137], v[138:139] offset0:18 offset1:19
	;; [unrolled: 1-line block ×5, first 2 shown]
	ds_store_b64 v166, v[108:109] offset:208
	ds_load_b64 v[132:133], v165
	s_wait_dscnt 0x0
	v_cmp_neq_f32_e32 vcc_lo, 0, v132
	v_cmp_neq_f32_e64 s1, 0, v133
	s_or_b32 s1, vcc_lo, s1
	s_delay_alu instid0(SALU_CYCLE_1)
	s_and_b32 exec_lo, exec_lo, s1
	s_cbranch_execz .LBB53_107
; %bb.102:
	v_cmp_ngt_f32_e64 s1, |v132|, |v133|
                                        ; implicit-def: $vgpr134_vgpr135
	s_and_saveexec_b32 s4, s1
	s_delay_alu instid0(SALU_CYCLE_1)
	s_xor_b32 s1, exec_lo, s4
	s_cbranch_execz .LBB53_104
; %bb.103:
	v_div_scale_f32 v134, null, v133, v133, v132
	v_div_scale_f32 v137, vcc_lo, v132, v133, v132
	s_delay_alu instid0(VALU_DEP_2) | instskip(SKIP_1) | instid1(TRANS32_DEP_1)
	v_rcp_f32_e32 v135, v134
	v_nop
	v_fma_f32 v136, -v134, v135, 1.0
	s_delay_alu instid0(VALU_DEP_1) | instskip(NEXT) | instid1(VALU_DEP_1)
	v_fmac_f32_e32 v135, v136, v135
	v_mul_f32_e32 v136, v137, v135
	s_delay_alu instid0(VALU_DEP_1) | instskip(NEXT) | instid1(VALU_DEP_1)
	v_fma_f32 v138, -v134, v136, v137
	v_fmac_f32_e32 v136, v138, v135
	s_delay_alu instid0(VALU_DEP_1) | instskip(NEXT) | instid1(VALU_DEP_1)
	v_fma_f32 v134, -v134, v136, v137
	v_div_fmas_f32 v134, v134, v135, v136
	s_delay_alu instid0(VALU_DEP_1) | instskip(NEXT) | instid1(VALU_DEP_1)
	v_div_fixup_f32 v134, v134, v133, v132
	v_fmac_f32_e32 v133, v132, v134
	s_delay_alu instid0(VALU_DEP_1) | instskip(SKIP_1) | instid1(VALU_DEP_2)
	v_div_scale_f32 v132, null, v133, v133, 1.0
	v_div_scale_f32 v137, vcc_lo, 1.0, v133, 1.0
	v_rcp_f32_e32 v135, v132
	v_nop
	s_delay_alu instid0(TRANS32_DEP_1) | instskip(NEXT) | instid1(VALU_DEP_1)
	v_fma_f32 v136, -v132, v135, 1.0
	v_fmac_f32_e32 v135, v136, v135
	s_delay_alu instid0(VALU_DEP_1) | instskip(NEXT) | instid1(VALU_DEP_1)
	v_mul_f32_e32 v136, v137, v135
	v_fma_f32 v138, -v132, v136, v137
	s_delay_alu instid0(VALU_DEP_1) | instskip(NEXT) | instid1(VALU_DEP_1)
	v_fmac_f32_e32 v136, v138, v135
	v_fma_f32 v132, -v132, v136, v137
	s_delay_alu instid0(VALU_DEP_1) | instskip(NEXT) | instid1(VALU_DEP_1)
	v_div_fmas_f32 v132, v132, v135, v136
	v_div_fixup_f32 v132, v132, v133, 1.0
	s_delay_alu instid0(VALU_DEP_1)
	v_mul_f32_e32 v134, v134, v132
	v_xor_b32_e32 v135, 0x80000000, v132
                                        ; implicit-def: $vgpr132_vgpr133
.LBB53_104:
	s_and_not1_saveexec_b32 s1, s1
	s_cbranch_execz .LBB53_106
; %bb.105:
	v_div_scale_f32 v134, null, v132, v132, v133
	v_div_scale_f32 v137, vcc_lo, v133, v132, v133
	s_delay_alu instid0(VALU_DEP_2) | instskip(SKIP_1) | instid1(TRANS32_DEP_1)
	v_rcp_f32_e32 v135, v134
	v_nop
	v_fma_f32 v136, -v134, v135, 1.0
	s_delay_alu instid0(VALU_DEP_1) | instskip(NEXT) | instid1(VALU_DEP_1)
	v_fmac_f32_e32 v135, v136, v135
	v_mul_f32_e32 v136, v137, v135
	s_delay_alu instid0(VALU_DEP_1) | instskip(NEXT) | instid1(VALU_DEP_1)
	v_fma_f32 v138, -v134, v136, v137
	v_fmac_f32_e32 v136, v138, v135
	s_delay_alu instid0(VALU_DEP_1) | instskip(NEXT) | instid1(VALU_DEP_1)
	v_fma_f32 v134, -v134, v136, v137
	v_div_fmas_f32 v134, v134, v135, v136
	s_delay_alu instid0(VALU_DEP_1) | instskip(NEXT) | instid1(VALU_DEP_1)
	v_div_fixup_f32 v135, v134, v132, v133
	v_fmac_f32_e32 v132, v133, v135
	s_delay_alu instid0(VALU_DEP_1) | instskip(NEXT) | instid1(VALU_DEP_1)
	v_div_scale_f32 v133, null, v132, v132, 1.0
	v_rcp_f32_e32 v134, v133
	v_nop
	s_delay_alu instid0(TRANS32_DEP_1) | instskip(NEXT) | instid1(VALU_DEP_1)
	v_fma_f32 v136, -v133, v134, 1.0
	v_fmac_f32_e32 v134, v136, v134
	v_div_scale_f32 v136, vcc_lo, 1.0, v132, 1.0
	s_delay_alu instid0(VALU_DEP_1) | instskip(NEXT) | instid1(VALU_DEP_1)
	v_mul_f32_e32 v137, v136, v134
	v_fma_f32 v138, -v133, v137, v136
	s_delay_alu instid0(VALU_DEP_1) | instskip(NEXT) | instid1(VALU_DEP_1)
	v_fmac_f32_e32 v137, v138, v134
	v_fma_f32 v133, -v133, v137, v136
	s_delay_alu instid0(VALU_DEP_1) | instskip(NEXT) | instid1(VALU_DEP_1)
	v_div_fmas_f32 v133, v133, v134, v137
	v_div_fixup_f32 v134, v133, v132, 1.0
	s_delay_alu instid0(VALU_DEP_1)
	v_mul_f32_e64 v135, v135, -v134
.LBB53_106:
	s_or_b32 exec_lo, exec_lo, s1
	ds_store_b64 v165, v[134:135]
.LBB53_107:
	s_or_b32 exec_lo, exec_lo, s2
	s_wait_dscnt 0x0
	s_barrier_signal -1
	s_barrier_wait -1
	ds_load_b64 v[132:133], v165
	s_mov_b32 s1, exec_lo
	v_cmpx_lt_u32_e32 11, v164
	s_cbranch_execz .LBB53_109
; %bb.108:
	ds_load_2addr_b64 v[138:141], v166 offset0:12 offset1:13
	s_wait_dscnt 0x1
	v_pk_mul_f32 v[136:137], v[132:133], v[36:37] op_sel:[1,1] op_sel_hi:[0,1]
	s_delay_alu instid0(VALU_DEP_1) | instskip(SKIP_1) | instid1(VALU_DEP_1)
	v_pk_fma_f32 v[134:135], v[132:133], v[36:37], v[136:137] op_sel_hi:[1,0,1] neg_lo:[0,0,1] neg_hi:[0,0,1]
	v_pk_fma_f32 v[136:137], v[132:133], v[36:37], v[136:137] op_sel_hi:[1,0,1]
	v_dual_mov_b32 v36, v134 :: v_dual_mov_b32 v37, v137
	s_wait_dscnt 0x0
	s_delay_alu instid0(VALU_DEP_2) | instskip(NEXT) | instid1(VALU_DEP_1)
	v_pk_mul_f32 v[142:143], v[138:139], v[136:137] op_sel:[0,1]
	v_pk_fma_f32 v[144:145], v[138:139], v[134:135], v[142:143] op_sel:[0,0,1] op_sel_hi:[1,1,0] neg_lo:[0,0,1] neg_hi:[0,0,1]
	v_pk_fma_f32 v[138:139], v[138:139], v[134:135], v[142:143] op_sel:[0,0,1] op_sel_hi:[1,0,0]
	s_delay_alu instid0(VALU_DEP_1) | instskip(SKIP_1) | instid1(VALU_DEP_1)
	v_mov_b32_e32 v145, v139
	v_pk_mul_f32 v[138:139], v[140:141], v[136:137] op_sel:[0,1]
	v_pk_fma_f32 v[142:143], v[140:141], v[134:135], v[138:139] op_sel:[0,0,1] op_sel_hi:[1,1,0] neg_lo:[0,0,1] neg_hi:[0,0,1]
	v_pk_fma_f32 v[138:139], v[140:141], v[134:135], v[138:139] op_sel:[0,0,1] op_sel_hi:[1,0,0]
	s_delay_alu instid0(VALU_DEP_1)
	v_mov_b32_e32 v143, v139
	ds_load_2addr_b64 v[138:141], v166 offset0:14 offset1:15
	v_pk_add_f32 v[66:67], v[66:67], v[144:145] neg_lo:[0,1] neg_hi:[0,1]
	v_pk_add_f32 v[62:63], v[62:63], v[142:143] neg_lo:[0,1] neg_hi:[0,1]
	s_wait_dscnt 0x0
	v_pk_mul_f32 v[142:143], v[138:139], v[136:137] op_sel:[0,1]
	s_delay_alu instid0(VALU_DEP_1) | instskip(SKIP_2) | instid1(VALU_DEP_2)
	v_pk_fma_f32 v[144:145], v[138:139], v[134:135], v[142:143] op_sel:[0,0,1] op_sel_hi:[1,1,0] neg_lo:[0,0,1] neg_hi:[0,0,1]
	v_pk_fma_f32 v[138:139], v[138:139], v[134:135], v[142:143] op_sel:[0,0,1] op_sel_hi:[1,0,0]
	v_dual_mul_f32 v142, v141, v137 :: v_dual_mov_b32 v138, v141
	v_dual_mov_b32 v145, v139 :: v_dual_mov_b32 v139, v140
	s_delay_alu instid0(VALU_DEP_2) | instskip(SKIP_1) | instid1(VALU_DEP_3)
	v_pk_fma_f32 v[142:143], v[140:141], v[36:37], v[142:143] op_sel_hi:[1,1,0] neg_lo:[0,0,1] neg_hi:[0,0,1]
	v_mul_f32_e32 v140, v141, v134
	v_pk_add_f32 v[64:65], v[64:65], v[144:145] neg_lo:[0,1] neg_hi:[0,1]
	s_delay_alu instid0(VALU_DEP_2) | instskip(NEXT) | instid1(VALU_DEP_1)
	v_pk_fma_f32 v[138:139], v[138:139], v[36:37], v[140:141] op_sel_hi:[1,1,0]
	v_mov_b32_e32 v143, v139
	ds_load_2addr_b64 v[138:141], v166 offset0:16 offset1:17
	v_pk_add_f32 v[60:61], v[60:61], v[142:143] neg_lo:[0,1] neg_hi:[0,1]
	s_wait_dscnt 0x0
	v_pk_mul_f32 v[142:143], v[138:139], v[136:137] op_sel:[0,1]
	s_delay_alu instid0(VALU_DEP_1) | instskip(SKIP_1) | instid1(VALU_DEP_1)
	v_pk_fma_f32 v[144:145], v[138:139], v[134:135], v[142:143] op_sel:[0,0,1] op_sel_hi:[1,1,0] neg_lo:[0,0,1] neg_hi:[0,0,1]
	v_pk_fma_f32 v[138:139], v[138:139], v[134:135], v[142:143] op_sel:[0,0,1] op_sel_hi:[1,0,0]
	v_mov_b32_e32 v145, v139
	v_pk_mul_f32 v[138:139], v[140:141], v[136:137] op_sel:[0,1]
	s_delay_alu instid0(VALU_DEP_1) | instskip(SKIP_1) | instid1(VALU_DEP_1)
	v_pk_fma_f32 v[142:143], v[140:141], v[134:135], v[138:139] op_sel:[0,0,1] op_sel_hi:[1,1,0] neg_lo:[0,0,1] neg_hi:[0,0,1]
	v_pk_fma_f32 v[138:139], v[140:141], v[134:135], v[138:139] op_sel:[0,0,1] op_sel_hi:[1,0,0]
	v_mov_b32_e32 v143, v139
	ds_load_2addr_b64 v[138:141], v166 offset0:18 offset1:19
	v_pk_add_f32 v[82:83], v[82:83], v[144:145] neg_lo:[0,1] neg_hi:[0,1]
	v_pk_add_f32 v[106:107], v[106:107], v[142:143] neg_lo:[0,1] neg_hi:[0,1]
	s_wait_dscnt 0x0
	v_pk_mul_f32 v[142:143], v[138:139], v[136:137] op_sel:[0,1]
	s_delay_alu instid0(VALU_DEP_1) | instskip(SKIP_1) | instid1(VALU_DEP_1)
	v_pk_fma_f32 v[144:145], v[138:139], v[134:135], v[142:143] op_sel:[0,0,1] op_sel_hi:[1,1,0] neg_lo:[0,0,1] neg_hi:[0,0,1]
	v_pk_fma_f32 v[138:139], v[138:139], v[134:135], v[142:143] op_sel:[0,0,1] op_sel_hi:[1,0,0]
	v_mov_b32_e32 v145, v139
	v_pk_mul_f32 v[138:139], v[140:141], v[136:137] op_sel:[0,1]
	s_delay_alu instid0(VALU_DEP_1) | instskip(SKIP_1) | instid1(VALU_DEP_1)
	v_pk_fma_f32 v[142:143], v[140:141], v[134:135], v[138:139] op_sel:[0,0,1] op_sel_hi:[1,1,0] neg_lo:[0,0,1] neg_hi:[0,0,1]
	v_pk_fma_f32 v[138:139], v[140:141], v[134:135], v[138:139] op_sel:[0,0,1] op_sel_hi:[1,0,0]
	v_mov_b32_e32 v143, v139
	ds_load_2addr_b64 v[138:141], v166 offset0:20 offset1:21
	v_pk_add_f32 v[80:81], v[80:81], v[144:145] neg_lo:[0,1] neg_hi:[0,1]
	v_pk_add_f32 v[78:79], v[78:79], v[142:143] neg_lo:[0,1] neg_hi:[0,1]
	s_wait_dscnt 0x0
	v_dual_mul_f32 v142, v139, v137 :: v_dual_mul_f32 v144, v139, v134
	s_delay_alu instid0(VALU_DEP_1) | instskip(NEXT) | instid1(VALU_DEP_2)
	v_pk_fma_f32 v[142:143], v[138:139], v[36:37], v[142:143] op_sel_hi:[1,1,0] neg_lo:[0,0,1] neg_hi:[0,0,1]
	v_pk_fma_f32 v[138:139], v[138:139], v[36:37], v[144:145] op_sel:[1,0,0] op_sel_hi:[0,1,0]
	s_delay_alu instid0(VALU_DEP_1) | instskip(SKIP_1) | instid1(VALU_DEP_2)
	v_mov_b32_e32 v143, v139
	v_pk_mul_f32 v[138:139], v[140:141], v[136:137] op_sel:[0,1]
	v_pk_add_f32 v[98:99], v[98:99], v[142:143] neg_lo:[0,1] neg_hi:[0,1]
	s_delay_alu instid0(VALU_DEP_2) | instskip(SKIP_1) | instid1(VALU_DEP_1)
	v_pk_fma_f32 v[142:143], v[140:141], v[134:135], v[138:139] op_sel:[0,0,1] op_sel_hi:[1,1,0] neg_lo:[0,0,1] neg_hi:[0,0,1]
	v_pk_fma_f32 v[138:139], v[140:141], v[134:135], v[138:139] op_sel:[0,0,1] op_sel_hi:[1,0,0]
	v_mov_b32_e32 v143, v139
	ds_load_2addr_b64 v[138:141], v166 offset0:22 offset1:23
	v_pk_add_f32 v[94:95], v[94:95], v[142:143] neg_lo:[0,1] neg_hi:[0,1]
	s_wait_dscnt 0x0
	v_pk_mul_f32 v[142:143], v[138:139], v[136:137] op_sel:[0,1]
	s_delay_alu instid0(VALU_DEP_1) | instskip(SKIP_1) | instid1(VALU_DEP_1)
	v_pk_fma_f32 v[144:145], v[138:139], v[134:135], v[142:143] op_sel:[0,0,1] op_sel_hi:[1,1,0] neg_lo:[0,0,1] neg_hi:[0,0,1]
	v_pk_fma_f32 v[138:139], v[138:139], v[134:135], v[142:143] op_sel:[0,0,1] op_sel_hi:[1,0,0]
	v_mov_b32_e32 v145, v139
	v_pk_mul_f32 v[138:139], v[140:141], v[136:137] op_sel:[0,1]
	s_delay_alu instid0(VALU_DEP_2) | instskip(NEXT) | instid1(VALU_DEP_2)
	v_pk_add_f32 v[96:97], v[96:97], v[144:145] neg_lo:[0,1] neg_hi:[0,1]
	v_pk_fma_f32 v[142:143], v[140:141], v[134:135], v[138:139] op_sel:[0,0,1] op_sel_hi:[1,1,0] neg_lo:[0,0,1] neg_hi:[0,0,1]
	v_pk_fma_f32 v[138:139], v[140:141], v[134:135], v[138:139] op_sel:[0,0,1] op_sel_hi:[1,0,0]
	s_delay_alu instid0(VALU_DEP_1) | instskip(SKIP_4) | instid1(VALU_DEP_1)
	v_mov_b32_e32 v143, v139
	ds_load_2addr_b64 v[138:141], v166 offset0:24 offset1:25
	v_pk_add_f32 v[104:105], v[104:105], v[142:143] neg_lo:[0,1] neg_hi:[0,1]
	s_wait_dscnt 0x0
	v_pk_mul_f32 v[142:143], v[138:139], v[136:137] op_sel:[0,1]
	v_pk_fma_f32 v[144:145], v[138:139], v[134:135], v[142:143] op_sel:[0,0,1] op_sel_hi:[1,1,0] neg_lo:[0,0,1] neg_hi:[0,0,1]
	v_pk_fma_f32 v[138:139], v[138:139], v[134:135], v[142:143] op_sel:[0,0,1] op_sel_hi:[1,0,0]
	v_dual_mul_f32 v142, v141, v137 :: v_dual_mov_b32 v138, v141
	s_delay_alu instid0(VALU_DEP_2) | instskip(NEXT) | instid1(VALU_DEP_2)
	v_dual_mov_b32 v145, v139 :: v_dual_mov_b32 v139, v140
	v_pk_fma_f32 v[142:143], v[140:141], v[36:37], v[142:143] op_sel_hi:[1,1,0] neg_lo:[0,0,1] neg_hi:[0,0,1]
	v_mul_f32_e32 v140, v141, v134
	s_delay_alu instid0(VALU_DEP_3) | instskip(NEXT) | instid1(VALU_DEP_2)
	v_pk_add_f32 v[102:103], v[102:103], v[144:145] neg_lo:[0,1] neg_hi:[0,1]
	v_pk_fma_f32 v[138:139], v[138:139], v[36:37], v[140:141] op_sel_hi:[1,1,0]
	s_delay_alu instid0(VALU_DEP_1) | instskip(SKIP_4) | instid1(VALU_DEP_1)
	v_mov_b32_e32 v143, v139
	ds_load_b64 v[138:139], v166 offset:208
	v_pk_add_f32 v[100:101], v[100:101], v[142:143] neg_lo:[0,1] neg_hi:[0,1]
	s_wait_dscnt 0x0
	v_pk_mul_f32 v[136:137], v[138:139], v[136:137] op_sel:[0,1]
	v_pk_fma_f32 v[140:141], v[138:139], v[134:135], v[136:137] op_sel:[0,0,1] op_sel_hi:[1,1,0] neg_lo:[0,0,1] neg_hi:[0,0,1]
	v_pk_fma_f32 v[134:135], v[138:139], v[134:135], v[136:137] op_sel:[0,0,1] op_sel_hi:[1,0,0]
	s_delay_alu instid0(VALU_DEP_1) | instskip(NEXT) | instid1(VALU_DEP_1)
	v_mov_b32_e32 v141, v135
	v_pk_add_f32 v[108:109], v[108:109], v[140:141] neg_lo:[0,1] neg_hi:[0,1]
.LBB53_109:
	s_or_b32 exec_lo, exec_lo, s1
	s_delay_alu instid0(SALU_CYCLE_1)
	s_mov_b32 s2, exec_lo
	s_wait_dscnt 0x0
	s_barrier_signal -1
	s_barrier_wait -1
	v_cmpx_eq_u32_e32 12, v164
	s_cbranch_execz .LBB53_116
; %bb.110:
	ds_store_b64 v165, v[66:67]
	ds_store_2addr_b64 v166, v[62:63], v[64:65] offset0:13 offset1:14
	ds_store_2addr_b64 v166, v[60:61], v[82:83] offset0:15 offset1:16
	;; [unrolled: 1-line block ×7, first 2 shown]
	ds_load_b64 v[134:135], v165
	s_wait_dscnt 0x0
	v_cmp_neq_f32_e32 vcc_lo, 0, v134
	v_cmp_neq_f32_e64 s1, 0, v135
	s_or_b32 s1, vcc_lo, s1
	s_delay_alu instid0(SALU_CYCLE_1)
	s_and_b32 exec_lo, exec_lo, s1
	s_cbranch_execz .LBB53_116
; %bb.111:
	v_cmp_ngt_f32_e64 s1, |v134|, |v135|
                                        ; implicit-def: $vgpr136_vgpr137
	s_and_saveexec_b32 s4, s1
	s_delay_alu instid0(SALU_CYCLE_1)
	s_xor_b32 s1, exec_lo, s4
	s_cbranch_execz .LBB53_113
; %bb.112:
	v_div_scale_f32 v136, null, v135, v135, v134
	v_div_scale_f32 v139, vcc_lo, v134, v135, v134
	s_delay_alu instid0(VALU_DEP_2) | instskip(SKIP_1) | instid1(TRANS32_DEP_1)
	v_rcp_f32_e32 v137, v136
	v_nop
	v_fma_f32 v138, -v136, v137, 1.0
	s_delay_alu instid0(VALU_DEP_1) | instskip(NEXT) | instid1(VALU_DEP_1)
	v_fmac_f32_e32 v137, v138, v137
	v_mul_f32_e32 v138, v139, v137
	s_delay_alu instid0(VALU_DEP_1) | instskip(NEXT) | instid1(VALU_DEP_1)
	v_fma_f32 v140, -v136, v138, v139
	v_fmac_f32_e32 v138, v140, v137
	s_delay_alu instid0(VALU_DEP_1) | instskip(NEXT) | instid1(VALU_DEP_1)
	v_fma_f32 v136, -v136, v138, v139
	v_div_fmas_f32 v136, v136, v137, v138
	s_delay_alu instid0(VALU_DEP_1) | instskip(NEXT) | instid1(VALU_DEP_1)
	v_div_fixup_f32 v136, v136, v135, v134
	v_fmac_f32_e32 v135, v134, v136
	s_delay_alu instid0(VALU_DEP_1) | instskip(SKIP_1) | instid1(VALU_DEP_2)
	v_div_scale_f32 v134, null, v135, v135, 1.0
	v_div_scale_f32 v139, vcc_lo, 1.0, v135, 1.0
	v_rcp_f32_e32 v137, v134
	v_nop
	s_delay_alu instid0(TRANS32_DEP_1) | instskip(NEXT) | instid1(VALU_DEP_1)
	v_fma_f32 v138, -v134, v137, 1.0
	v_fmac_f32_e32 v137, v138, v137
	s_delay_alu instid0(VALU_DEP_1) | instskip(NEXT) | instid1(VALU_DEP_1)
	v_mul_f32_e32 v138, v139, v137
	v_fma_f32 v140, -v134, v138, v139
	s_delay_alu instid0(VALU_DEP_1) | instskip(NEXT) | instid1(VALU_DEP_1)
	v_fmac_f32_e32 v138, v140, v137
	v_fma_f32 v134, -v134, v138, v139
	s_delay_alu instid0(VALU_DEP_1) | instskip(NEXT) | instid1(VALU_DEP_1)
	v_div_fmas_f32 v134, v134, v137, v138
	v_div_fixup_f32 v134, v134, v135, 1.0
	s_delay_alu instid0(VALU_DEP_1)
	v_mul_f32_e32 v136, v136, v134
	v_xor_b32_e32 v137, 0x80000000, v134
                                        ; implicit-def: $vgpr134_vgpr135
.LBB53_113:
	s_and_not1_saveexec_b32 s1, s1
	s_cbranch_execz .LBB53_115
; %bb.114:
	v_div_scale_f32 v136, null, v134, v134, v135
	v_div_scale_f32 v139, vcc_lo, v135, v134, v135
	s_delay_alu instid0(VALU_DEP_2) | instskip(SKIP_1) | instid1(TRANS32_DEP_1)
	v_rcp_f32_e32 v137, v136
	v_nop
	v_fma_f32 v138, -v136, v137, 1.0
	s_delay_alu instid0(VALU_DEP_1) | instskip(NEXT) | instid1(VALU_DEP_1)
	v_fmac_f32_e32 v137, v138, v137
	v_mul_f32_e32 v138, v139, v137
	s_delay_alu instid0(VALU_DEP_1) | instskip(NEXT) | instid1(VALU_DEP_1)
	v_fma_f32 v140, -v136, v138, v139
	v_fmac_f32_e32 v138, v140, v137
	s_delay_alu instid0(VALU_DEP_1) | instskip(NEXT) | instid1(VALU_DEP_1)
	v_fma_f32 v136, -v136, v138, v139
	v_div_fmas_f32 v136, v136, v137, v138
	s_delay_alu instid0(VALU_DEP_1) | instskip(NEXT) | instid1(VALU_DEP_1)
	v_div_fixup_f32 v137, v136, v134, v135
	v_fmac_f32_e32 v134, v135, v137
	s_delay_alu instid0(VALU_DEP_1) | instskip(NEXT) | instid1(VALU_DEP_1)
	v_div_scale_f32 v135, null, v134, v134, 1.0
	v_rcp_f32_e32 v136, v135
	v_nop
	s_delay_alu instid0(TRANS32_DEP_1) | instskip(NEXT) | instid1(VALU_DEP_1)
	v_fma_f32 v138, -v135, v136, 1.0
	v_fmac_f32_e32 v136, v138, v136
	v_div_scale_f32 v138, vcc_lo, 1.0, v134, 1.0
	s_delay_alu instid0(VALU_DEP_1) | instskip(NEXT) | instid1(VALU_DEP_1)
	v_mul_f32_e32 v139, v138, v136
	v_fma_f32 v140, -v135, v139, v138
	s_delay_alu instid0(VALU_DEP_1) | instskip(NEXT) | instid1(VALU_DEP_1)
	v_fmac_f32_e32 v139, v140, v136
	v_fma_f32 v135, -v135, v139, v138
	s_delay_alu instid0(VALU_DEP_1) | instskip(NEXT) | instid1(VALU_DEP_1)
	v_div_fmas_f32 v135, v135, v136, v139
	v_div_fixup_f32 v136, v135, v134, 1.0
	s_delay_alu instid0(VALU_DEP_1)
	v_mul_f32_e64 v137, v137, -v136
.LBB53_115:
	s_or_b32 exec_lo, exec_lo, s1
	ds_store_b64 v165, v[136:137]
.LBB53_116:
	s_or_b32 exec_lo, exec_lo, s2
	s_wait_dscnt 0x0
	s_barrier_signal -1
	s_barrier_wait -1
	ds_load_b64 v[134:135], v165
	s_mov_b32 s1, exec_lo
	v_cmpx_lt_u32_e32 12, v164
	s_cbranch_execz .LBB53_118
; %bb.117:
	s_wait_dscnt 0x0
	v_pk_mul_f32 v[136:137], v[134:135], v[66:67] op_sel:[1,1] op_sel_hi:[0,1]
	s_delay_alu instid0(VALU_DEP_1)
	v_pk_fma_f32 v[140:141], v[134:135], v[66:67], v[136:137] op_sel_hi:[1,0,1] neg_lo:[0,0,1] neg_hi:[0,0,1]
	v_pk_fma_f32 v[142:143], v[134:135], v[66:67], v[136:137] op_sel_hi:[1,0,1]
	ds_load_2addr_b64 v[136:139], v166 offset0:13 offset1:14
	v_dual_mov_b32 v66, v140 :: v_dual_mov_b32 v67, v143
	s_wait_dscnt 0x0
	v_pk_mul_f32 v[144:145], v[136:137], v[142:143] op_sel:[0,1]
	s_delay_alu instid0(VALU_DEP_1) | instskip(SKIP_1) | instid1(VALU_DEP_1)
	v_pk_fma_f32 v[146:147], v[136:137], v[140:141], v[144:145] op_sel:[0,0,1] op_sel_hi:[1,1,0] neg_lo:[0,0,1] neg_hi:[0,0,1]
	v_pk_fma_f32 v[136:137], v[136:137], v[140:141], v[144:145] op_sel:[0,0,1] op_sel_hi:[1,0,0]
	v_mov_b32_e32 v147, v137
	v_pk_mul_f32 v[136:137], v[138:139], v[142:143] op_sel:[0,1]
	s_delay_alu instid0(VALU_DEP_1) | instskip(SKIP_1) | instid1(VALU_DEP_1)
	v_pk_fma_f32 v[144:145], v[138:139], v[140:141], v[136:137] op_sel:[0,0,1] op_sel_hi:[1,1,0] neg_lo:[0,0,1] neg_hi:[0,0,1]
	v_pk_fma_f32 v[136:137], v[138:139], v[140:141], v[136:137] op_sel:[0,0,1] op_sel_hi:[1,0,0]
	v_mov_b32_e32 v145, v137
	ds_load_2addr_b64 v[136:139], v166 offset0:15 offset1:16
	v_pk_add_f32 v[62:63], v[62:63], v[146:147] neg_lo:[0,1] neg_hi:[0,1]
	v_pk_add_f32 v[64:65], v[64:65], v[144:145] neg_lo:[0,1] neg_hi:[0,1]
	s_wait_dscnt 0x0
	v_pk_mul_f32 v[144:145], v[136:137], v[142:143] op_sel:[0,1]
	s_delay_alu instid0(VALU_DEP_1) | instskip(SKIP_2) | instid1(VALU_DEP_2)
	v_pk_fma_f32 v[146:147], v[136:137], v[140:141], v[144:145] op_sel:[0,0,1] op_sel_hi:[1,1,0] neg_lo:[0,0,1] neg_hi:[0,0,1]
	v_pk_fma_f32 v[136:137], v[136:137], v[140:141], v[144:145] op_sel:[0,0,1] op_sel_hi:[1,0,0]
	v_dual_mul_f32 v144, v139, v143 :: v_dual_mov_b32 v136, v139
	v_dual_mov_b32 v147, v137 :: v_dual_mov_b32 v137, v138
	s_delay_alu instid0(VALU_DEP_2) | instskip(SKIP_1) | instid1(VALU_DEP_3)
	v_pk_fma_f32 v[144:145], v[138:139], v[66:67], v[144:145] op_sel_hi:[1,1,0] neg_lo:[0,0,1] neg_hi:[0,0,1]
	v_mul_f32_e32 v138, v139, v140
	v_pk_add_f32 v[60:61], v[60:61], v[146:147] neg_lo:[0,1] neg_hi:[0,1]
	s_delay_alu instid0(VALU_DEP_2) | instskip(NEXT) | instid1(VALU_DEP_1)
	v_pk_fma_f32 v[136:137], v[136:137], v[66:67], v[138:139] op_sel_hi:[1,1,0]
	v_mov_b32_e32 v145, v137
	ds_load_2addr_b64 v[136:139], v166 offset0:17 offset1:18
	v_pk_add_f32 v[82:83], v[82:83], v[144:145] neg_lo:[0,1] neg_hi:[0,1]
	s_wait_dscnt 0x0
	v_pk_mul_f32 v[144:145], v[136:137], v[142:143] op_sel:[0,1]
	s_delay_alu instid0(VALU_DEP_1) | instskip(SKIP_1) | instid1(VALU_DEP_1)
	v_pk_fma_f32 v[146:147], v[136:137], v[140:141], v[144:145] op_sel:[0,0,1] op_sel_hi:[1,1,0] neg_lo:[0,0,1] neg_hi:[0,0,1]
	v_pk_fma_f32 v[136:137], v[136:137], v[140:141], v[144:145] op_sel:[0,0,1] op_sel_hi:[1,0,0]
	v_mov_b32_e32 v147, v137
	v_pk_mul_f32 v[136:137], v[138:139], v[142:143] op_sel:[0,1]
	s_delay_alu instid0(VALU_DEP_1) | instskip(SKIP_1) | instid1(VALU_DEP_1)
	v_pk_fma_f32 v[144:145], v[138:139], v[140:141], v[136:137] op_sel:[0,0,1] op_sel_hi:[1,1,0] neg_lo:[0,0,1] neg_hi:[0,0,1]
	v_pk_fma_f32 v[136:137], v[138:139], v[140:141], v[136:137] op_sel:[0,0,1] op_sel_hi:[1,0,0]
	v_mov_b32_e32 v145, v137
	ds_load_2addr_b64 v[136:139], v166 offset0:19 offset1:20
	v_pk_add_f32 v[106:107], v[106:107], v[146:147] neg_lo:[0,1] neg_hi:[0,1]
	v_pk_add_f32 v[80:81], v[80:81], v[144:145] neg_lo:[0,1] neg_hi:[0,1]
	s_wait_dscnt 0x0
	v_pk_mul_f32 v[144:145], v[136:137], v[142:143] op_sel:[0,1]
	s_delay_alu instid0(VALU_DEP_1) | instskip(SKIP_1) | instid1(VALU_DEP_1)
	v_pk_fma_f32 v[146:147], v[136:137], v[140:141], v[144:145] op_sel:[0,0,1] op_sel_hi:[1,1,0] neg_lo:[0,0,1] neg_hi:[0,0,1]
	v_pk_fma_f32 v[136:137], v[136:137], v[140:141], v[144:145] op_sel:[0,0,1] op_sel_hi:[1,0,0]
	v_mov_b32_e32 v147, v137
	v_pk_mul_f32 v[136:137], v[138:139], v[142:143] op_sel:[0,1]
	s_delay_alu instid0(VALU_DEP_1) | instskip(SKIP_1) | instid1(VALU_DEP_1)
	v_pk_fma_f32 v[144:145], v[138:139], v[140:141], v[136:137] op_sel:[0,0,1] op_sel_hi:[1,1,0] neg_lo:[0,0,1] neg_hi:[0,0,1]
	v_pk_fma_f32 v[136:137], v[138:139], v[140:141], v[136:137] op_sel:[0,0,1] op_sel_hi:[1,0,0]
	v_mov_b32_e32 v145, v137
	ds_load_2addr_b64 v[136:139], v166 offset0:21 offset1:22
	v_pk_add_f32 v[78:79], v[78:79], v[146:147] neg_lo:[0,1] neg_hi:[0,1]
	v_pk_add_f32 v[98:99], v[98:99], v[144:145] neg_lo:[0,1] neg_hi:[0,1]
	s_wait_dscnt 0x0
	v_dual_mul_f32 v144, v137, v143 :: v_dual_mul_f32 v146, v137, v140
	s_delay_alu instid0(VALU_DEP_1) | instskip(NEXT) | instid1(VALU_DEP_2)
	v_pk_fma_f32 v[144:145], v[136:137], v[66:67], v[144:145] op_sel_hi:[1,1,0] neg_lo:[0,0,1] neg_hi:[0,0,1]
	v_pk_fma_f32 v[136:137], v[136:137], v[66:67], v[146:147] op_sel:[1,0,0] op_sel_hi:[0,1,0]
	s_delay_alu instid0(VALU_DEP_1) | instskip(SKIP_1) | instid1(VALU_DEP_2)
	v_mov_b32_e32 v145, v137
	v_pk_mul_f32 v[136:137], v[138:139], v[142:143] op_sel:[0,1]
	v_pk_add_f32 v[94:95], v[94:95], v[144:145] neg_lo:[0,1] neg_hi:[0,1]
	s_delay_alu instid0(VALU_DEP_2) | instskip(SKIP_1) | instid1(VALU_DEP_1)
	v_pk_fma_f32 v[144:145], v[138:139], v[140:141], v[136:137] op_sel:[0,0,1] op_sel_hi:[1,1,0] neg_lo:[0,0,1] neg_hi:[0,0,1]
	v_pk_fma_f32 v[136:137], v[138:139], v[140:141], v[136:137] op_sel:[0,0,1] op_sel_hi:[1,0,0]
	v_mov_b32_e32 v145, v137
	ds_load_2addr_b64 v[136:139], v166 offset0:23 offset1:24
	v_pk_add_f32 v[96:97], v[96:97], v[144:145] neg_lo:[0,1] neg_hi:[0,1]
	s_wait_dscnt 0x0
	v_pk_mul_f32 v[144:145], v[136:137], v[142:143] op_sel:[0,1]
	s_delay_alu instid0(VALU_DEP_1) | instskip(SKIP_1) | instid1(VALU_DEP_1)
	v_pk_fma_f32 v[146:147], v[136:137], v[140:141], v[144:145] op_sel:[0,0,1] op_sel_hi:[1,1,0] neg_lo:[0,0,1] neg_hi:[0,0,1]
	v_pk_fma_f32 v[136:137], v[136:137], v[140:141], v[144:145] op_sel:[0,0,1] op_sel_hi:[1,0,0]
	v_mov_b32_e32 v147, v137
	v_pk_mul_f32 v[136:137], v[138:139], v[142:143] op_sel:[0,1]
	s_delay_alu instid0(VALU_DEP_2) | instskip(NEXT) | instid1(VALU_DEP_2)
	v_pk_add_f32 v[104:105], v[104:105], v[146:147] neg_lo:[0,1] neg_hi:[0,1]
	v_pk_fma_f32 v[144:145], v[138:139], v[140:141], v[136:137] op_sel:[0,0,1] op_sel_hi:[1,1,0] neg_lo:[0,0,1] neg_hi:[0,0,1]
	v_pk_fma_f32 v[136:137], v[138:139], v[140:141], v[136:137] op_sel:[0,0,1] op_sel_hi:[1,0,0]
	s_delay_alu instid0(VALU_DEP_1) | instskip(SKIP_4) | instid1(VALU_DEP_1)
	v_mov_b32_e32 v145, v137
	ds_load_2addr_b64 v[136:139], v166 offset0:25 offset1:26
	v_pk_add_f32 v[102:103], v[102:103], v[144:145] neg_lo:[0,1] neg_hi:[0,1]
	s_wait_dscnt 0x0
	v_pk_mul_f32 v[144:145], v[136:137], v[142:143] op_sel:[0,1]
	v_pk_fma_f32 v[146:147], v[136:137], v[140:141], v[144:145] op_sel:[0,0,1] op_sel_hi:[1,1,0] neg_lo:[0,0,1] neg_hi:[0,0,1]
	v_pk_fma_f32 v[136:137], v[136:137], v[140:141], v[144:145] op_sel:[0,0,1] op_sel_hi:[1,0,0]
	s_delay_alu instid0(VALU_DEP_1) | instskip(SKIP_1) | instid1(VALU_DEP_2)
	v_mov_b32_e32 v147, v137
	v_pk_mul_f32 v[136:137], v[138:139], v[142:143] op_sel:[0,1]
	v_pk_add_f32 v[100:101], v[100:101], v[146:147] neg_lo:[0,1] neg_hi:[0,1]
	s_delay_alu instid0(VALU_DEP_2) | instskip(SKIP_1) | instid1(VALU_DEP_1)
	v_pk_fma_f32 v[142:143], v[138:139], v[140:141], v[136:137] op_sel:[0,0,1] op_sel_hi:[1,1,0] neg_lo:[0,0,1] neg_hi:[0,0,1]
	v_pk_fma_f32 v[136:137], v[138:139], v[140:141], v[136:137] op_sel:[0,0,1] op_sel_hi:[1,0,0]
	v_mov_b32_e32 v143, v137
	s_delay_alu instid0(VALU_DEP_1)
	v_pk_add_f32 v[108:109], v[108:109], v[142:143] neg_lo:[0,1] neg_hi:[0,1]
.LBB53_118:
	s_or_b32 exec_lo, exec_lo, s1
	s_delay_alu instid0(SALU_CYCLE_1)
	s_mov_b32 s2, exec_lo
	s_wait_dscnt 0x0
	s_barrier_signal -1
	s_barrier_wait -1
	v_cmpx_eq_u32_e32 13, v164
	s_cbranch_execz .LBB53_125
; %bb.119:
	v_dual_mov_b32 v136, v64 :: v_dual_mov_b32 v137, v65
	v_dual_mov_b32 v138, v60 :: v_dual_mov_b32 v139, v61
	ds_store_b64 v165, v[62:63]
	ds_store_2addr_b64 v166, v[136:137], v[138:139] offset0:14 offset1:15
	v_dual_mov_b32 v136, v82 :: v_dual_mov_b32 v137, v83
	v_dual_mov_b32 v138, v106 :: v_dual_mov_b32 v139, v107
	ds_store_2addr_b64 v166, v[136:137], v[138:139] offset0:16 offset1:17
	v_dual_mov_b32 v136, v80 :: v_dual_mov_b32 v137, v81
	v_dual_mov_b32 v138, v78 :: v_dual_mov_b32 v139, v79
	;; [unrolled: 3-line block ×5, first 2 shown]
	ds_store_2addr_b64 v166, v[136:137], v[138:139] offset0:24 offset1:25
	ds_store_b64 v166, v[108:109] offset:208
	ds_load_b64 v[136:137], v165
	s_wait_dscnt 0x0
	v_cmp_neq_f32_e32 vcc_lo, 0, v136
	v_cmp_neq_f32_e64 s1, 0, v137
	s_or_b32 s1, vcc_lo, s1
	s_delay_alu instid0(SALU_CYCLE_1)
	s_and_b32 exec_lo, exec_lo, s1
	s_cbranch_execz .LBB53_125
; %bb.120:
	v_cmp_ngt_f32_e64 s1, |v136|, |v137|
                                        ; implicit-def: $vgpr138_vgpr139
	s_and_saveexec_b32 s4, s1
	s_delay_alu instid0(SALU_CYCLE_1)
	s_xor_b32 s1, exec_lo, s4
	s_cbranch_execz .LBB53_122
; %bb.121:
	v_div_scale_f32 v138, null, v137, v137, v136
	v_div_scale_f32 v141, vcc_lo, v136, v137, v136
	s_delay_alu instid0(VALU_DEP_2) | instskip(SKIP_1) | instid1(TRANS32_DEP_1)
	v_rcp_f32_e32 v139, v138
	v_nop
	v_fma_f32 v140, -v138, v139, 1.0
	s_delay_alu instid0(VALU_DEP_1) | instskip(NEXT) | instid1(VALU_DEP_1)
	v_fmac_f32_e32 v139, v140, v139
	v_mul_f32_e32 v140, v141, v139
	s_delay_alu instid0(VALU_DEP_1) | instskip(NEXT) | instid1(VALU_DEP_1)
	v_fma_f32 v142, -v138, v140, v141
	v_fmac_f32_e32 v140, v142, v139
	s_delay_alu instid0(VALU_DEP_1) | instskip(NEXT) | instid1(VALU_DEP_1)
	v_fma_f32 v138, -v138, v140, v141
	v_div_fmas_f32 v138, v138, v139, v140
	s_delay_alu instid0(VALU_DEP_1) | instskip(NEXT) | instid1(VALU_DEP_1)
	v_div_fixup_f32 v138, v138, v137, v136
	v_fmac_f32_e32 v137, v136, v138
	s_delay_alu instid0(VALU_DEP_1) | instskip(SKIP_1) | instid1(VALU_DEP_2)
	v_div_scale_f32 v136, null, v137, v137, 1.0
	v_div_scale_f32 v141, vcc_lo, 1.0, v137, 1.0
	v_rcp_f32_e32 v139, v136
	v_nop
	s_delay_alu instid0(TRANS32_DEP_1) | instskip(NEXT) | instid1(VALU_DEP_1)
	v_fma_f32 v140, -v136, v139, 1.0
	v_fmac_f32_e32 v139, v140, v139
	s_delay_alu instid0(VALU_DEP_1) | instskip(NEXT) | instid1(VALU_DEP_1)
	v_mul_f32_e32 v140, v141, v139
	v_fma_f32 v142, -v136, v140, v141
	s_delay_alu instid0(VALU_DEP_1) | instskip(NEXT) | instid1(VALU_DEP_1)
	v_fmac_f32_e32 v140, v142, v139
	v_fma_f32 v136, -v136, v140, v141
	s_delay_alu instid0(VALU_DEP_1) | instskip(NEXT) | instid1(VALU_DEP_1)
	v_div_fmas_f32 v136, v136, v139, v140
	v_div_fixup_f32 v136, v136, v137, 1.0
	s_delay_alu instid0(VALU_DEP_1)
	v_mul_f32_e32 v138, v138, v136
	v_xor_b32_e32 v139, 0x80000000, v136
                                        ; implicit-def: $vgpr136_vgpr137
.LBB53_122:
	s_and_not1_saveexec_b32 s1, s1
	s_cbranch_execz .LBB53_124
; %bb.123:
	v_div_scale_f32 v138, null, v136, v136, v137
	v_div_scale_f32 v141, vcc_lo, v137, v136, v137
	s_delay_alu instid0(VALU_DEP_2) | instskip(SKIP_1) | instid1(TRANS32_DEP_1)
	v_rcp_f32_e32 v139, v138
	v_nop
	v_fma_f32 v140, -v138, v139, 1.0
	s_delay_alu instid0(VALU_DEP_1) | instskip(NEXT) | instid1(VALU_DEP_1)
	v_fmac_f32_e32 v139, v140, v139
	v_mul_f32_e32 v140, v141, v139
	s_delay_alu instid0(VALU_DEP_1) | instskip(NEXT) | instid1(VALU_DEP_1)
	v_fma_f32 v142, -v138, v140, v141
	v_fmac_f32_e32 v140, v142, v139
	s_delay_alu instid0(VALU_DEP_1) | instskip(NEXT) | instid1(VALU_DEP_1)
	v_fma_f32 v138, -v138, v140, v141
	v_div_fmas_f32 v138, v138, v139, v140
	s_delay_alu instid0(VALU_DEP_1) | instskip(NEXT) | instid1(VALU_DEP_1)
	v_div_fixup_f32 v139, v138, v136, v137
	v_fmac_f32_e32 v136, v137, v139
	s_delay_alu instid0(VALU_DEP_1) | instskip(NEXT) | instid1(VALU_DEP_1)
	v_div_scale_f32 v137, null, v136, v136, 1.0
	v_rcp_f32_e32 v138, v137
	v_nop
	s_delay_alu instid0(TRANS32_DEP_1) | instskip(NEXT) | instid1(VALU_DEP_1)
	v_fma_f32 v140, -v137, v138, 1.0
	v_fmac_f32_e32 v138, v140, v138
	v_div_scale_f32 v140, vcc_lo, 1.0, v136, 1.0
	s_delay_alu instid0(VALU_DEP_1) | instskip(NEXT) | instid1(VALU_DEP_1)
	v_mul_f32_e32 v141, v140, v138
	v_fma_f32 v142, -v137, v141, v140
	s_delay_alu instid0(VALU_DEP_1) | instskip(NEXT) | instid1(VALU_DEP_1)
	v_fmac_f32_e32 v141, v142, v138
	v_fma_f32 v137, -v137, v141, v140
	s_delay_alu instid0(VALU_DEP_1) | instskip(NEXT) | instid1(VALU_DEP_1)
	v_div_fmas_f32 v137, v137, v138, v141
	v_div_fixup_f32 v138, v137, v136, 1.0
	s_delay_alu instid0(VALU_DEP_1)
	v_mul_f32_e64 v139, v139, -v138
.LBB53_124:
	s_or_b32 exec_lo, exec_lo, s1
	ds_store_b64 v165, v[138:139]
.LBB53_125:
	s_or_b32 exec_lo, exec_lo, s2
	s_wait_dscnt 0x0
	s_barrier_signal -1
	s_barrier_wait -1
	ds_load_b64 v[136:137], v165
	s_mov_b32 s1, exec_lo
	v_cmpx_lt_u32_e32 13, v164
	s_cbranch_execz .LBB53_127
; %bb.126:
	s_wait_dscnt 0x0
	v_pk_mul_f32 v[138:139], v[136:137], v[62:63] op_sel:[1,1] op_sel_hi:[0,1]
	s_delay_alu instid0(VALU_DEP_1)
	v_pk_fma_f32 v[142:143], v[136:137], v[62:63], v[138:139] op_sel_hi:[1,0,1] neg_lo:[0,0,1] neg_hi:[0,0,1]
	v_pk_fma_f32 v[144:145], v[136:137], v[62:63], v[138:139] op_sel_hi:[1,0,1]
	ds_load_2addr_b64 v[138:141], v166 offset0:14 offset1:15
	v_dual_mov_b32 v62, v142 :: v_dual_mov_b32 v63, v145
	s_wait_dscnt 0x0
	v_pk_mul_f32 v[146:147], v[138:139], v[144:145] op_sel:[0,1]
	s_delay_alu instid0(VALU_DEP_1) | instskip(SKIP_1) | instid1(VALU_DEP_1)
	v_pk_fma_f32 v[148:149], v[138:139], v[142:143], v[146:147] op_sel:[0,0,1] op_sel_hi:[1,1,0] neg_lo:[0,0,1] neg_hi:[0,0,1]
	v_pk_fma_f32 v[138:139], v[138:139], v[142:143], v[146:147] op_sel:[0,0,1] op_sel_hi:[1,0,0]
	v_mov_b32_e32 v149, v139
	v_pk_mul_f32 v[138:139], v[140:141], v[144:145] op_sel:[0,1]
	s_delay_alu instid0(VALU_DEP_1) | instskip(SKIP_1) | instid1(VALU_DEP_1)
	v_pk_fma_f32 v[146:147], v[140:141], v[142:143], v[138:139] op_sel:[0,0,1] op_sel_hi:[1,1,0] neg_lo:[0,0,1] neg_hi:[0,0,1]
	v_pk_fma_f32 v[138:139], v[140:141], v[142:143], v[138:139] op_sel:[0,0,1] op_sel_hi:[1,0,0]
	v_mov_b32_e32 v147, v139
	ds_load_2addr_b64 v[138:141], v166 offset0:16 offset1:17
	v_pk_add_f32 v[64:65], v[64:65], v[148:149] neg_lo:[0,1] neg_hi:[0,1]
	v_pk_add_f32 v[60:61], v[60:61], v[146:147] neg_lo:[0,1] neg_hi:[0,1]
	s_wait_dscnt 0x0
	v_pk_mul_f32 v[146:147], v[138:139], v[144:145] op_sel:[0,1]
	s_delay_alu instid0(VALU_DEP_1) | instskip(SKIP_2) | instid1(VALU_DEP_2)
	v_pk_fma_f32 v[148:149], v[138:139], v[142:143], v[146:147] op_sel:[0,0,1] op_sel_hi:[1,1,0] neg_lo:[0,0,1] neg_hi:[0,0,1]
	v_pk_fma_f32 v[138:139], v[138:139], v[142:143], v[146:147] op_sel:[0,0,1] op_sel_hi:[1,0,0]
	v_dual_mul_f32 v146, v141, v145 :: v_dual_mov_b32 v138, v141
	v_dual_mov_b32 v149, v139 :: v_dual_mov_b32 v139, v140
	s_delay_alu instid0(VALU_DEP_2) | instskip(SKIP_1) | instid1(VALU_DEP_3)
	v_pk_fma_f32 v[146:147], v[140:141], v[62:63], v[146:147] op_sel_hi:[1,1,0] neg_lo:[0,0,1] neg_hi:[0,0,1]
	v_mul_f32_e32 v140, v141, v142
	v_pk_add_f32 v[82:83], v[82:83], v[148:149] neg_lo:[0,1] neg_hi:[0,1]
	s_delay_alu instid0(VALU_DEP_2) | instskip(NEXT) | instid1(VALU_DEP_1)
	v_pk_fma_f32 v[138:139], v[138:139], v[62:63], v[140:141] op_sel_hi:[1,1,0]
	v_mov_b32_e32 v147, v139
	ds_load_2addr_b64 v[138:141], v166 offset0:18 offset1:19
	v_pk_add_f32 v[106:107], v[106:107], v[146:147] neg_lo:[0,1] neg_hi:[0,1]
	s_wait_dscnt 0x0
	v_pk_mul_f32 v[146:147], v[138:139], v[144:145] op_sel:[0,1]
	s_delay_alu instid0(VALU_DEP_1) | instskip(SKIP_1) | instid1(VALU_DEP_1)
	v_pk_fma_f32 v[148:149], v[138:139], v[142:143], v[146:147] op_sel:[0,0,1] op_sel_hi:[1,1,0] neg_lo:[0,0,1] neg_hi:[0,0,1]
	v_pk_fma_f32 v[138:139], v[138:139], v[142:143], v[146:147] op_sel:[0,0,1] op_sel_hi:[1,0,0]
	v_mov_b32_e32 v149, v139
	v_pk_mul_f32 v[138:139], v[140:141], v[144:145] op_sel:[0,1]
	s_delay_alu instid0(VALU_DEP_1) | instskip(SKIP_1) | instid1(VALU_DEP_1)
	v_pk_fma_f32 v[146:147], v[140:141], v[142:143], v[138:139] op_sel:[0,0,1] op_sel_hi:[1,1,0] neg_lo:[0,0,1] neg_hi:[0,0,1]
	v_pk_fma_f32 v[138:139], v[140:141], v[142:143], v[138:139] op_sel:[0,0,1] op_sel_hi:[1,0,0]
	v_mov_b32_e32 v147, v139
	ds_load_2addr_b64 v[138:141], v166 offset0:20 offset1:21
	v_pk_add_f32 v[80:81], v[80:81], v[148:149] neg_lo:[0,1] neg_hi:[0,1]
	v_pk_add_f32 v[78:79], v[78:79], v[146:147] neg_lo:[0,1] neg_hi:[0,1]
	s_wait_dscnt 0x0
	v_pk_mul_f32 v[146:147], v[138:139], v[144:145] op_sel:[0,1]
	s_delay_alu instid0(VALU_DEP_1) | instskip(SKIP_1) | instid1(VALU_DEP_1)
	v_pk_fma_f32 v[148:149], v[138:139], v[142:143], v[146:147] op_sel:[0,0,1] op_sel_hi:[1,1,0] neg_lo:[0,0,1] neg_hi:[0,0,1]
	v_pk_fma_f32 v[138:139], v[138:139], v[142:143], v[146:147] op_sel:[0,0,1] op_sel_hi:[1,0,0]
	v_mov_b32_e32 v149, v139
	v_pk_mul_f32 v[138:139], v[140:141], v[144:145] op_sel:[0,1]
	s_delay_alu instid0(VALU_DEP_1) | instskip(SKIP_1) | instid1(VALU_DEP_1)
	v_pk_fma_f32 v[146:147], v[140:141], v[142:143], v[138:139] op_sel:[0,0,1] op_sel_hi:[1,1,0] neg_lo:[0,0,1] neg_hi:[0,0,1]
	v_pk_fma_f32 v[138:139], v[140:141], v[142:143], v[138:139] op_sel:[0,0,1] op_sel_hi:[1,0,0]
	v_mov_b32_e32 v147, v139
	ds_load_2addr_b64 v[138:141], v166 offset0:22 offset1:23
	v_pk_add_f32 v[98:99], v[98:99], v[148:149] neg_lo:[0,1] neg_hi:[0,1]
	v_pk_add_f32 v[94:95], v[94:95], v[146:147] neg_lo:[0,1] neg_hi:[0,1]
	s_wait_dscnt 0x0
	v_dual_mul_f32 v146, v139, v145 :: v_dual_mul_f32 v148, v139, v142
	s_delay_alu instid0(VALU_DEP_1) | instskip(NEXT) | instid1(VALU_DEP_2)
	v_pk_fma_f32 v[146:147], v[138:139], v[62:63], v[146:147] op_sel_hi:[1,1,0] neg_lo:[0,0,1] neg_hi:[0,0,1]
	v_pk_fma_f32 v[138:139], v[138:139], v[62:63], v[148:149] op_sel:[1,0,0] op_sel_hi:[0,1,0]
	s_delay_alu instid0(VALU_DEP_1) | instskip(SKIP_1) | instid1(VALU_DEP_2)
	v_mov_b32_e32 v147, v139
	v_pk_mul_f32 v[138:139], v[140:141], v[144:145] op_sel:[0,1]
	v_pk_add_f32 v[96:97], v[96:97], v[146:147] neg_lo:[0,1] neg_hi:[0,1]
	s_delay_alu instid0(VALU_DEP_2) | instskip(SKIP_1) | instid1(VALU_DEP_1)
	v_pk_fma_f32 v[146:147], v[140:141], v[142:143], v[138:139] op_sel:[0,0,1] op_sel_hi:[1,1,0] neg_lo:[0,0,1] neg_hi:[0,0,1]
	v_pk_fma_f32 v[138:139], v[140:141], v[142:143], v[138:139] op_sel:[0,0,1] op_sel_hi:[1,0,0]
	v_mov_b32_e32 v147, v139
	ds_load_2addr_b64 v[138:141], v166 offset0:24 offset1:25
	v_pk_add_f32 v[104:105], v[104:105], v[146:147] neg_lo:[0,1] neg_hi:[0,1]
	s_wait_dscnt 0x0
	v_pk_mul_f32 v[146:147], v[138:139], v[144:145] op_sel:[0,1]
	s_delay_alu instid0(VALU_DEP_1) | instskip(SKIP_1) | instid1(VALU_DEP_1)
	v_pk_fma_f32 v[148:149], v[138:139], v[142:143], v[146:147] op_sel:[0,0,1] op_sel_hi:[1,1,0] neg_lo:[0,0,1] neg_hi:[0,0,1]
	v_pk_fma_f32 v[138:139], v[138:139], v[142:143], v[146:147] op_sel:[0,0,1] op_sel_hi:[1,0,0]
	v_mov_b32_e32 v149, v139
	v_pk_mul_f32 v[138:139], v[140:141], v[144:145] op_sel:[0,1]
	s_delay_alu instid0(VALU_DEP_2) | instskip(NEXT) | instid1(VALU_DEP_2)
	v_pk_add_f32 v[102:103], v[102:103], v[148:149] neg_lo:[0,1] neg_hi:[0,1]
	v_pk_fma_f32 v[146:147], v[140:141], v[142:143], v[138:139] op_sel:[0,0,1] op_sel_hi:[1,1,0] neg_lo:[0,0,1] neg_hi:[0,0,1]
	v_pk_fma_f32 v[138:139], v[140:141], v[142:143], v[138:139] op_sel:[0,0,1] op_sel_hi:[1,0,0]
	s_delay_alu instid0(VALU_DEP_1) | instskip(SKIP_4) | instid1(VALU_DEP_1)
	v_mov_b32_e32 v147, v139
	ds_load_b64 v[138:139], v166 offset:208
	v_pk_add_f32 v[100:101], v[100:101], v[146:147] neg_lo:[0,1] neg_hi:[0,1]
	s_wait_dscnt 0x0
	v_pk_mul_f32 v[140:141], v[138:139], v[144:145] op_sel:[0,1]
	v_pk_fma_f32 v[144:145], v[138:139], v[142:143], v[140:141] op_sel:[0,0,1] op_sel_hi:[1,1,0] neg_lo:[0,0,1] neg_hi:[0,0,1]
	v_pk_fma_f32 v[138:139], v[138:139], v[142:143], v[140:141] op_sel:[0,0,1] op_sel_hi:[1,0,0]
	s_delay_alu instid0(VALU_DEP_1) | instskip(NEXT) | instid1(VALU_DEP_1)
	v_mov_b32_e32 v145, v139
	v_pk_add_f32 v[108:109], v[108:109], v[144:145] neg_lo:[0,1] neg_hi:[0,1]
.LBB53_127:
	s_or_b32 exec_lo, exec_lo, s1
	s_delay_alu instid0(SALU_CYCLE_1)
	s_mov_b32 s2, exec_lo
	s_wait_dscnt 0x0
	s_barrier_signal -1
	s_barrier_wait -1
	v_cmpx_eq_u32_e32 14, v164
	s_cbranch_execz .LBB53_134
; %bb.128:
	ds_store_b64 v165, v[64:65]
	ds_store_2addr_b64 v166, v[60:61], v[82:83] offset0:15 offset1:16
	ds_store_2addr_b64 v166, v[106:107], v[80:81] offset0:17 offset1:18
	;; [unrolled: 1-line block ×6, first 2 shown]
	ds_load_b64 v[138:139], v165
	s_wait_dscnt 0x0
	v_cmp_neq_f32_e32 vcc_lo, 0, v138
	v_cmp_neq_f32_e64 s1, 0, v139
	s_or_b32 s1, vcc_lo, s1
	s_delay_alu instid0(SALU_CYCLE_1)
	s_and_b32 exec_lo, exec_lo, s1
	s_cbranch_execz .LBB53_134
; %bb.129:
	v_cmp_ngt_f32_e64 s1, |v138|, |v139|
                                        ; implicit-def: $vgpr140_vgpr141
	s_and_saveexec_b32 s4, s1
	s_delay_alu instid0(SALU_CYCLE_1)
	s_xor_b32 s1, exec_lo, s4
	s_cbranch_execz .LBB53_131
; %bb.130:
	v_div_scale_f32 v140, null, v139, v139, v138
	v_div_scale_f32 v143, vcc_lo, v138, v139, v138
	s_delay_alu instid0(VALU_DEP_2) | instskip(SKIP_1) | instid1(TRANS32_DEP_1)
	v_rcp_f32_e32 v141, v140
	v_nop
	v_fma_f32 v142, -v140, v141, 1.0
	s_delay_alu instid0(VALU_DEP_1) | instskip(NEXT) | instid1(VALU_DEP_1)
	v_fmac_f32_e32 v141, v142, v141
	v_mul_f32_e32 v142, v143, v141
	s_delay_alu instid0(VALU_DEP_1) | instskip(NEXT) | instid1(VALU_DEP_1)
	v_fma_f32 v144, -v140, v142, v143
	v_fmac_f32_e32 v142, v144, v141
	s_delay_alu instid0(VALU_DEP_1) | instskip(NEXT) | instid1(VALU_DEP_1)
	v_fma_f32 v140, -v140, v142, v143
	v_div_fmas_f32 v140, v140, v141, v142
	s_delay_alu instid0(VALU_DEP_1) | instskip(NEXT) | instid1(VALU_DEP_1)
	v_div_fixup_f32 v140, v140, v139, v138
	v_fmac_f32_e32 v139, v138, v140
	s_delay_alu instid0(VALU_DEP_1) | instskip(SKIP_1) | instid1(VALU_DEP_2)
	v_div_scale_f32 v138, null, v139, v139, 1.0
	v_div_scale_f32 v143, vcc_lo, 1.0, v139, 1.0
	v_rcp_f32_e32 v141, v138
	v_nop
	s_delay_alu instid0(TRANS32_DEP_1) | instskip(NEXT) | instid1(VALU_DEP_1)
	v_fma_f32 v142, -v138, v141, 1.0
	v_fmac_f32_e32 v141, v142, v141
	s_delay_alu instid0(VALU_DEP_1) | instskip(NEXT) | instid1(VALU_DEP_1)
	v_mul_f32_e32 v142, v143, v141
	v_fma_f32 v144, -v138, v142, v143
	s_delay_alu instid0(VALU_DEP_1) | instskip(NEXT) | instid1(VALU_DEP_1)
	v_fmac_f32_e32 v142, v144, v141
	v_fma_f32 v138, -v138, v142, v143
	s_delay_alu instid0(VALU_DEP_1) | instskip(NEXT) | instid1(VALU_DEP_1)
	v_div_fmas_f32 v138, v138, v141, v142
	v_div_fixup_f32 v138, v138, v139, 1.0
	s_delay_alu instid0(VALU_DEP_1)
	v_mul_f32_e32 v140, v140, v138
	v_xor_b32_e32 v141, 0x80000000, v138
                                        ; implicit-def: $vgpr138_vgpr139
.LBB53_131:
	s_and_not1_saveexec_b32 s1, s1
	s_cbranch_execz .LBB53_133
; %bb.132:
	v_div_scale_f32 v140, null, v138, v138, v139
	v_div_scale_f32 v143, vcc_lo, v139, v138, v139
	s_delay_alu instid0(VALU_DEP_2) | instskip(SKIP_1) | instid1(TRANS32_DEP_1)
	v_rcp_f32_e32 v141, v140
	v_nop
	v_fma_f32 v142, -v140, v141, 1.0
	s_delay_alu instid0(VALU_DEP_1) | instskip(NEXT) | instid1(VALU_DEP_1)
	v_fmac_f32_e32 v141, v142, v141
	v_mul_f32_e32 v142, v143, v141
	s_delay_alu instid0(VALU_DEP_1) | instskip(NEXT) | instid1(VALU_DEP_1)
	v_fma_f32 v144, -v140, v142, v143
	v_fmac_f32_e32 v142, v144, v141
	s_delay_alu instid0(VALU_DEP_1) | instskip(NEXT) | instid1(VALU_DEP_1)
	v_fma_f32 v140, -v140, v142, v143
	v_div_fmas_f32 v140, v140, v141, v142
	s_delay_alu instid0(VALU_DEP_1) | instskip(NEXT) | instid1(VALU_DEP_1)
	v_div_fixup_f32 v141, v140, v138, v139
	v_fmac_f32_e32 v138, v139, v141
	s_delay_alu instid0(VALU_DEP_1) | instskip(NEXT) | instid1(VALU_DEP_1)
	v_div_scale_f32 v139, null, v138, v138, 1.0
	v_rcp_f32_e32 v140, v139
	v_nop
	s_delay_alu instid0(TRANS32_DEP_1) | instskip(NEXT) | instid1(VALU_DEP_1)
	v_fma_f32 v142, -v139, v140, 1.0
	v_fmac_f32_e32 v140, v142, v140
	v_div_scale_f32 v142, vcc_lo, 1.0, v138, 1.0
	s_delay_alu instid0(VALU_DEP_1) | instskip(NEXT) | instid1(VALU_DEP_1)
	v_mul_f32_e32 v143, v142, v140
	v_fma_f32 v144, -v139, v143, v142
	s_delay_alu instid0(VALU_DEP_1) | instskip(NEXT) | instid1(VALU_DEP_1)
	v_fmac_f32_e32 v143, v144, v140
	v_fma_f32 v139, -v139, v143, v142
	s_delay_alu instid0(VALU_DEP_1) | instskip(NEXT) | instid1(VALU_DEP_1)
	v_div_fmas_f32 v139, v139, v140, v143
	v_div_fixup_f32 v140, v139, v138, 1.0
	s_delay_alu instid0(VALU_DEP_1)
	v_mul_f32_e64 v141, v141, -v140
.LBB53_133:
	s_or_b32 exec_lo, exec_lo, s1
	ds_store_b64 v165, v[140:141]
.LBB53_134:
	s_or_b32 exec_lo, exec_lo, s2
	s_wait_dscnt 0x0
	s_barrier_signal -1
	s_barrier_wait -1
	ds_load_b64 v[138:139], v165
	s_mov_b32 s1, exec_lo
	v_cmpx_lt_u32_e32 14, v164
	s_cbranch_execz .LBB53_136
; %bb.135:
	s_wait_dscnt 0x0
	v_pk_mul_f32 v[140:141], v[138:139], v[64:65] op_sel:[1,1] op_sel_hi:[0,1]
	s_delay_alu instid0(VALU_DEP_1)
	v_pk_fma_f32 v[144:145], v[138:139], v[64:65], v[140:141] op_sel_hi:[1,0,1] neg_lo:[0,0,1] neg_hi:[0,0,1]
	v_pk_fma_f32 v[146:147], v[138:139], v[64:65], v[140:141] op_sel_hi:[1,0,1]
	ds_load_2addr_b64 v[140:143], v166 offset0:15 offset1:16
	v_dual_mov_b32 v64, v144 :: v_dual_mov_b32 v65, v147
	s_wait_dscnt 0x0
	v_pk_mul_f32 v[148:149], v[140:141], v[146:147] op_sel:[0,1]
	s_delay_alu instid0(VALU_DEP_1) | instskip(SKIP_1) | instid1(VALU_DEP_1)
	v_pk_fma_f32 v[150:151], v[140:141], v[144:145], v[148:149] op_sel:[0,0,1] op_sel_hi:[1,1,0] neg_lo:[0,0,1] neg_hi:[0,0,1]
	v_pk_fma_f32 v[140:141], v[140:141], v[144:145], v[148:149] op_sel:[0,0,1] op_sel_hi:[1,0,0]
	v_mov_b32_e32 v151, v141
	v_pk_mul_f32 v[140:141], v[142:143], v[146:147] op_sel:[0,1]
	s_delay_alu instid0(VALU_DEP_1) | instskip(SKIP_1) | instid1(VALU_DEP_1)
	v_pk_fma_f32 v[148:149], v[142:143], v[144:145], v[140:141] op_sel:[0,0,1] op_sel_hi:[1,1,0] neg_lo:[0,0,1] neg_hi:[0,0,1]
	v_pk_fma_f32 v[140:141], v[142:143], v[144:145], v[140:141] op_sel:[0,0,1] op_sel_hi:[1,0,0]
	v_mov_b32_e32 v149, v141
	ds_load_2addr_b64 v[140:143], v166 offset0:17 offset1:18
	v_pk_add_f32 v[60:61], v[60:61], v[150:151] neg_lo:[0,1] neg_hi:[0,1]
	v_pk_add_f32 v[82:83], v[82:83], v[148:149] neg_lo:[0,1] neg_hi:[0,1]
	s_wait_dscnt 0x0
	v_pk_mul_f32 v[148:149], v[140:141], v[146:147] op_sel:[0,1]
	s_delay_alu instid0(VALU_DEP_1) | instskip(SKIP_2) | instid1(VALU_DEP_2)
	v_pk_fma_f32 v[150:151], v[140:141], v[144:145], v[148:149] op_sel:[0,0,1] op_sel_hi:[1,1,0] neg_lo:[0,0,1] neg_hi:[0,0,1]
	v_pk_fma_f32 v[140:141], v[140:141], v[144:145], v[148:149] op_sel:[0,0,1] op_sel_hi:[1,0,0]
	v_dual_mul_f32 v148, v143, v147 :: v_dual_mov_b32 v140, v143
	v_dual_mov_b32 v151, v141 :: v_dual_mov_b32 v141, v142
	s_delay_alu instid0(VALU_DEP_2) | instskip(SKIP_1) | instid1(VALU_DEP_3)
	v_pk_fma_f32 v[148:149], v[142:143], v[64:65], v[148:149] op_sel_hi:[1,1,0] neg_lo:[0,0,1] neg_hi:[0,0,1]
	v_mul_f32_e32 v142, v143, v144
	v_pk_add_f32 v[106:107], v[106:107], v[150:151] neg_lo:[0,1] neg_hi:[0,1]
	s_delay_alu instid0(VALU_DEP_2) | instskip(NEXT) | instid1(VALU_DEP_1)
	v_pk_fma_f32 v[140:141], v[140:141], v[64:65], v[142:143] op_sel_hi:[1,1,0]
	v_mov_b32_e32 v149, v141
	ds_load_2addr_b64 v[140:143], v166 offset0:19 offset1:20
	v_pk_add_f32 v[80:81], v[80:81], v[148:149] neg_lo:[0,1] neg_hi:[0,1]
	s_wait_dscnt 0x0
	v_pk_mul_f32 v[148:149], v[140:141], v[146:147] op_sel:[0,1]
	s_delay_alu instid0(VALU_DEP_1) | instskip(SKIP_1) | instid1(VALU_DEP_1)
	v_pk_fma_f32 v[150:151], v[140:141], v[144:145], v[148:149] op_sel:[0,0,1] op_sel_hi:[1,1,0] neg_lo:[0,0,1] neg_hi:[0,0,1]
	v_pk_fma_f32 v[140:141], v[140:141], v[144:145], v[148:149] op_sel:[0,0,1] op_sel_hi:[1,0,0]
	v_mov_b32_e32 v151, v141
	v_pk_mul_f32 v[140:141], v[142:143], v[146:147] op_sel:[0,1]
	s_delay_alu instid0(VALU_DEP_1) | instskip(SKIP_1) | instid1(VALU_DEP_1)
	v_pk_fma_f32 v[148:149], v[142:143], v[144:145], v[140:141] op_sel:[0,0,1] op_sel_hi:[1,1,0] neg_lo:[0,0,1] neg_hi:[0,0,1]
	v_pk_fma_f32 v[140:141], v[142:143], v[144:145], v[140:141] op_sel:[0,0,1] op_sel_hi:[1,0,0]
	v_mov_b32_e32 v149, v141
	ds_load_2addr_b64 v[140:143], v166 offset0:21 offset1:22
	v_pk_add_f32 v[78:79], v[78:79], v[150:151] neg_lo:[0,1] neg_hi:[0,1]
	v_pk_add_f32 v[98:99], v[98:99], v[148:149] neg_lo:[0,1] neg_hi:[0,1]
	s_wait_dscnt 0x0
	v_pk_mul_f32 v[148:149], v[140:141], v[146:147] op_sel:[0,1]
	s_delay_alu instid0(VALU_DEP_1) | instskip(SKIP_1) | instid1(VALU_DEP_1)
	v_pk_fma_f32 v[150:151], v[140:141], v[144:145], v[148:149] op_sel:[0,0,1] op_sel_hi:[1,1,0] neg_lo:[0,0,1] neg_hi:[0,0,1]
	v_pk_fma_f32 v[140:141], v[140:141], v[144:145], v[148:149] op_sel:[0,0,1] op_sel_hi:[1,0,0]
	v_mov_b32_e32 v151, v141
	v_pk_mul_f32 v[140:141], v[142:143], v[146:147] op_sel:[0,1]
	s_delay_alu instid0(VALU_DEP_1) | instskip(SKIP_1) | instid1(VALU_DEP_1)
	v_pk_fma_f32 v[148:149], v[142:143], v[144:145], v[140:141] op_sel:[0,0,1] op_sel_hi:[1,1,0] neg_lo:[0,0,1] neg_hi:[0,0,1]
	v_pk_fma_f32 v[140:141], v[142:143], v[144:145], v[140:141] op_sel:[0,0,1] op_sel_hi:[1,0,0]
	v_mov_b32_e32 v149, v141
	ds_load_2addr_b64 v[140:143], v166 offset0:23 offset1:24
	v_pk_add_f32 v[94:95], v[94:95], v[150:151] neg_lo:[0,1] neg_hi:[0,1]
	v_pk_add_f32 v[96:97], v[96:97], v[148:149] neg_lo:[0,1] neg_hi:[0,1]
	s_wait_dscnt 0x0
	v_dual_mul_f32 v148, v141, v147 :: v_dual_mul_f32 v150, v141, v144
	s_delay_alu instid0(VALU_DEP_1) | instskip(NEXT) | instid1(VALU_DEP_2)
	v_pk_fma_f32 v[148:149], v[140:141], v[64:65], v[148:149] op_sel_hi:[1,1,0] neg_lo:[0,0,1] neg_hi:[0,0,1]
	v_pk_fma_f32 v[140:141], v[140:141], v[64:65], v[150:151] op_sel:[1,0,0] op_sel_hi:[0,1,0]
	s_delay_alu instid0(VALU_DEP_1) | instskip(SKIP_1) | instid1(VALU_DEP_2)
	v_mov_b32_e32 v149, v141
	v_pk_mul_f32 v[140:141], v[142:143], v[146:147] op_sel:[0,1]
	v_pk_add_f32 v[104:105], v[104:105], v[148:149] neg_lo:[0,1] neg_hi:[0,1]
	s_delay_alu instid0(VALU_DEP_2) | instskip(SKIP_1) | instid1(VALU_DEP_1)
	v_pk_fma_f32 v[148:149], v[142:143], v[144:145], v[140:141] op_sel:[0,0,1] op_sel_hi:[1,1,0] neg_lo:[0,0,1] neg_hi:[0,0,1]
	v_pk_fma_f32 v[140:141], v[142:143], v[144:145], v[140:141] op_sel:[0,0,1] op_sel_hi:[1,0,0]
	v_mov_b32_e32 v149, v141
	ds_load_2addr_b64 v[140:143], v166 offset0:25 offset1:26
	v_pk_add_f32 v[102:103], v[102:103], v[148:149] neg_lo:[0,1] neg_hi:[0,1]
	s_wait_dscnt 0x0
	v_pk_mul_f32 v[148:149], v[140:141], v[146:147] op_sel:[0,1]
	v_mul_f32_e32 v146, v143, v147
	s_delay_alu instid0(VALU_DEP_2) | instskip(SKIP_2) | instid1(VALU_DEP_4)
	v_pk_fma_f32 v[150:151], v[140:141], v[144:145], v[148:149] op_sel:[0,0,1] op_sel_hi:[1,1,0] neg_lo:[0,0,1] neg_hi:[0,0,1]
	v_pk_fma_f32 v[140:141], v[140:141], v[144:145], v[148:149] op_sel:[0,0,1] op_sel_hi:[1,0,0]
	v_mov_b32_e32 v140, v143
	v_pk_fma_f32 v[146:147], v[142:143], v[64:65], v[146:147] op_sel_hi:[1,1,0] neg_lo:[0,0,1] neg_hi:[0,0,1]
	s_delay_alu instid0(VALU_DEP_3) | instskip(SKIP_1) | instid1(VALU_DEP_2)
	v_dual_mov_b32 v151, v141 :: v_dual_mov_b32 v141, v142
	v_mul_f32_e32 v142, v143, v144
	v_pk_add_f32 v[100:101], v[100:101], v[150:151] neg_lo:[0,1] neg_hi:[0,1]
	s_delay_alu instid0(VALU_DEP_2) | instskip(NEXT) | instid1(VALU_DEP_1)
	v_pk_fma_f32 v[140:141], v[140:141], v[64:65], v[142:143] op_sel_hi:[1,1,0]
	v_mov_b32_e32 v147, v141
	s_delay_alu instid0(VALU_DEP_1)
	v_pk_add_f32 v[108:109], v[108:109], v[146:147] neg_lo:[0,1] neg_hi:[0,1]
.LBB53_136:
	s_or_b32 exec_lo, exec_lo, s1
	s_delay_alu instid0(SALU_CYCLE_1)
	s_mov_b32 s2, exec_lo
	s_wait_dscnt 0x0
	s_barrier_signal -1
	s_barrier_wait -1
	v_cmpx_eq_u32_e32 15, v164
	s_cbranch_execz .LBB53_143
; %bb.137:
	v_dual_mov_b32 v140, v82 :: v_dual_mov_b32 v141, v83
	v_dual_mov_b32 v142, v106 :: v_dual_mov_b32 v143, v107
	ds_store_b64 v165, v[60:61]
	ds_store_2addr_b64 v166, v[140:141], v[142:143] offset0:16 offset1:17
	v_dual_mov_b32 v140, v80 :: v_dual_mov_b32 v141, v81
	v_dual_mov_b32 v142, v78 :: v_dual_mov_b32 v143, v79
	ds_store_2addr_b64 v166, v[140:141], v[142:143] offset0:18 offset1:19
	v_dual_mov_b32 v140, v98 :: v_dual_mov_b32 v141, v99
	v_dual_mov_b32 v142, v94 :: v_dual_mov_b32 v143, v95
	;; [unrolled: 3-line block ×4, first 2 shown]
	ds_store_2addr_b64 v166, v[140:141], v[142:143] offset0:24 offset1:25
	ds_store_b64 v166, v[108:109] offset:208
	ds_load_b64 v[140:141], v165
	s_wait_dscnt 0x0
	v_cmp_neq_f32_e32 vcc_lo, 0, v140
	v_cmp_neq_f32_e64 s1, 0, v141
	s_or_b32 s1, vcc_lo, s1
	s_delay_alu instid0(SALU_CYCLE_1)
	s_and_b32 exec_lo, exec_lo, s1
	s_cbranch_execz .LBB53_143
; %bb.138:
	v_cmp_ngt_f32_e64 s1, |v140|, |v141|
                                        ; implicit-def: $vgpr142_vgpr143
	s_and_saveexec_b32 s4, s1
	s_delay_alu instid0(SALU_CYCLE_1)
	s_xor_b32 s1, exec_lo, s4
	s_cbranch_execz .LBB53_140
; %bb.139:
	v_div_scale_f32 v142, null, v141, v141, v140
	v_div_scale_f32 v145, vcc_lo, v140, v141, v140
	s_delay_alu instid0(VALU_DEP_2) | instskip(SKIP_1) | instid1(TRANS32_DEP_1)
	v_rcp_f32_e32 v143, v142
	v_nop
	v_fma_f32 v144, -v142, v143, 1.0
	s_delay_alu instid0(VALU_DEP_1) | instskip(NEXT) | instid1(VALU_DEP_1)
	v_fmac_f32_e32 v143, v144, v143
	v_mul_f32_e32 v144, v145, v143
	s_delay_alu instid0(VALU_DEP_1) | instskip(NEXT) | instid1(VALU_DEP_1)
	v_fma_f32 v146, -v142, v144, v145
	v_fmac_f32_e32 v144, v146, v143
	s_delay_alu instid0(VALU_DEP_1) | instskip(NEXT) | instid1(VALU_DEP_1)
	v_fma_f32 v142, -v142, v144, v145
	v_div_fmas_f32 v142, v142, v143, v144
	s_delay_alu instid0(VALU_DEP_1) | instskip(NEXT) | instid1(VALU_DEP_1)
	v_div_fixup_f32 v142, v142, v141, v140
	v_fmac_f32_e32 v141, v140, v142
	s_delay_alu instid0(VALU_DEP_1) | instskip(SKIP_1) | instid1(VALU_DEP_2)
	v_div_scale_f32 v140, null, v141, v141, 1.0
	v_div_scale_f32 v145, vcc_lo, 1.0, v141, 1.0
	v_rcp_f32_e32 v143, v140
	v_nop
	s_delay_alu instid0(TRANS32_DEP_1) | instskip(NEXT) | instid1(VALU_DEP_1)
	v_fma_f32 v144, -v140, v143, 1.0
	v_fmac_f32_e32 v143, v144, v143
	s_delay_alu instid0(VALU_DEP_1) | instskip(NEXT) | instid1(VALU_DEP_1)
	v_mul_f32_e32 v144, v145, v143
	v_fma_f32 v146, -v140, v144, v145
	s_delay_alu instid0(VALU_DEP_1) | instskip(NEXT) | instid1(VALU_DEP_1)
	v_fmac_f32_e32 v144, v146, v143
	v_fma_f32 v140, -v140, v144, v145
	s_delay_alu instid0(VALU_DEP_1) | instskip(NEXT) | instid1(VALU_DEP_1)
	v_div_fmas_f32 v140, v140, v143, v144
	v_div_fixup_f32 v140, v140, v141, 1.0
	s_delay_alu instid0(VALU_DEP_1)
	v_mul_f32_e32 v142, v142, v140
	v_xor_b32_e32 v143, 0x80000000, v140
                                        ; implicit-def: $vgpr140_vgpr141
.LBB53_140:
	s_and_not1_saveexec_b32 s1, s1
	s_cbranch_execz .LBB53_142
; %bb.141:
	v_div_scale_f32 v142, null, v140, v140, v141
	v_div_scale_f32 v145, vcc_lo, v141, v140, v141
	s_delay_alu instid0(VALU_DEP_2) | instskip(SKIP_1) | instid1(TRANS32_DEP_1)
	v_rcp_f32_e32 v143, v142
	v_nop
	v_fma_f32 v144, -v142, v143, 1.0
	s_delay_alu instid0(VALU_DEP_1) | instskip(NEXT) | instid1(VALU_DEP_1)
	v_fmac_f32_e32 v143, v144, v143
	v_mul_f32_e32 v144, v145, v143
	s_delay_alu instid0(VALU_DEP_1) | instskip(NEXT) | instid1(VALU_DEP_1)
	v_fma_f32 v146, -v142, v144, v145
	v_fmac_f32_e32 v144, v146, v143
	s_delay_alu instid0(VALU_DEP_1) | instskip(NEXT) | instid1(VALU_DEP_1)
	v_fma_f32 v142, -v142, v144, v145
	v_div_fmas_f32 v142, v142, v143, v144
	s_delay_alu instid0(VALU_DEP_1) | instskip(NEXT) | instid1(VALU_DEP_1)
	v_div_fixup_f32 v143, v142, v140, v141
	v_fmac_f32_e32 v140, v141, v143
	s_delay_alu instid0(VALU_DEP_1) | instskip(NEXT) | instid1(VALU_DEP_1)
	v_div_scale_f32 v141, null, v140, v140, 1.0
	v_rcp_f32_e32 v142, v141
	v_nop
	s_delay_alu instid0(TRANS32_DEP_1) | instskip(NEXT) | instid1(VALU_DEP_1)
	v_fma_f32 v144, -v141, v142, 1.0
	v_fmac_f32_e32 v142, v144, v142
	v_div_scale_f32 v144, vcc_lo, 1.0, v140, 1.0
	s_delay_alu instid0(VALU_DEP_1) | instskip(NEXT) | instid1(VALU_DEP_1)
	v_mul_f32_e32 v145, v144, v142
	v_fma_f32 v146, -v141, v145, v144
	s_delay_alu instid0(VALU_DEP_1) | instskip(NEXT) | instid1(VALU_DEP_1)
	v_fmac_f32_e32 v145, v146, v142
	v_fma_f32 v141, -v141, v145, v144
	s_delay_alu instid0(VALU_DEP_1) | instskip(NEXT) | instid1(VALU_DEP_1)
	v_div_fmas_f32 v141, v141, v142, v145
	v_div_fixup_f32 v142, v141, v140, 1.0
	s_delay_alu instid0(VALU_DEP_1)
	v_mul_f32_e64 v143, v143, -v142
.LBB53_142:
	s_or_b32 exec_lo, exec_lo, s1
	ds_store_b64 v165, v[142:143]
.LBB53_143:
	s_or_b32 exec_lo, exec_lo, s2
	s_wait_dscnt 0x0
	s_barrier_signal -1
	s_barrier_wait -1
	ds_load_b64 v[140:141], v165
	s_mov_b32 s1, exec_lo
	v_cmpx_lt_u32_e32 15, v164
	s_cbranch_execz .LBB53_145
; %bb.144:
	s_wait_dscnt 0x0
	v_pk_mul_f32 v[142:143], v[140:141], v[60:61] op_sel:[1,1] op_sel_hi:[0,1]
	s_delay_alu instid0(VALU_DEP_1)
	v_pk_fma_f32 v[146:147], v[140:141], v[60:61], v[142:143] op_sel_hi:[1,0,1] neg_lo:[0,0,1] neg_hi:[0,0,1]
	v_pk_fma_f32 v[148:149], v[140:141], v[60:61], v[142:143] op_sel_hi:[1,0,1]
	ds_load_2addr_b64 v[142:145], v166 offset0:16 offset1:17
	v_dual_mov_b32 v60, v146 :: v_dual_mov_b32 v61, v149
	s_wait_dscnt 0x0
	v_pk_mul_f32 v[150:151], v[142:143], v[148:149] op_sel:[0,1]
	s_delay_alu instid0(VALU_DEP_1) | instskip(SKIP_1) | instid1(VALU_DEP_1)
	v_pk_fma_f32 v[152:153], v[142:143], v[146:147], v[150:151] op_sel:[0,0,1] op_sel_hi:[1,1,0] neg_lo:[0,0,1] neg_hi:[0,0,1]
	v_pk_fma_f32 v[142:143], v[142:143], v[146:147], v[150:151] op_sel:[0,0,1] op_sel_hi:[1,0,0]
	v_mov_b32_e32 v153, v143
	v_pk_mul_f32 v[142:143], v[144:145], v[148:149] op_sel:[0,1]
	s_delay_alu instid0(VALU_DEP_1) | instskip(SKIP_1) | instid1(VALU_DEP_1)
	v_pk_fma_f32 v[150:151], v[144:145], v[146:147], v[142:143] op_sel:[0,0,1] op_sel_hi:[1,1,0] neg_lo:[0,0,1] neg_hi:[0,0,1]
	v_pk_fma_f32 v[142:143], v[144:145], v[146:147], v[142:143] op_sel:[0,0,1] op_sel_hi:[1,0,0]
	v_mov_b32_e32 v151, v143
	ds_load_2addr_b64 v[142:145], v166 offset0:18 offset1:19
	v_pk_add_f32 v[82:83], v[82:83], v[152:153] neg_lo:[0,1] neg_hi:[0,1]
	v_pk_add_f32 v[106:107], v[106:107], v[150:151] neg_lo:[0,1] neg_hi:[0,1]
	s_wait_dscnt 0x0
	v_pk_mul_f32 v[150:151], v[142:143], v[148:149] op_sel:[0,1]
	s_delay_alu instid0(VALU_DEP_1) | instskip(SKIP_2) | instid1(VALU_DEP_2)
	v_pk_fma_f32 v[152:153], v[142:143], v[146:147], v[150:151] op_sel:[0,0,1] op_sel_hi:[1,1,0] neg_lo:[0,0,1] neg_hi:[0,0,1]
	v_pk_fma_f32 v[142:143], v[142:143], v[146:147], v[150:151] op_sel:[0,0,1] op_sel_hi:[1,0,0]
	v_dual_mul_f32 v150, v145, v149 :: v_dual_mov_b32 v142, v145
	v_dual_mov_b32 v153, v143 :: v_dual_mov_b32 v143, v144
	s_delay_alu instid0(VALU_DEP_2) | instskip(SKIP_1) | instid1(VALU_DEP_3)
	v_pk_fma_f32 v[150:151], v[144:145], v[60:61], v[150:151] op_sel_hi:[1,1,0] neg_lo:[0,0,1] neg_hi:[0,0,1]
	v_mul_f32_e32 v144, v145, v146
	v_pk_add_f32 v[80:81], v[80:81], v[152:153] neg_lo:[0,1] neg_hi:[0,1]
	s_delay_alu instid0(VALU_DEP_2) | instskip(NEXT) | instid1(VALU_DEP_1)
	v_pk_fma_f32 v[142:143], v[142:143], v[60:61], v[144:145] op_sel_hi:[1,1,0]
	v_mov_b32_e32 v151, v143
	ds_load_2addr_b64 v[142:145], v166 offset0:20 offset1:21
	v_pk_add_f32 v[78:79], v[78:79], v[150:151] neg_lo:[0,1] neg_hi:[0,1]
	s_wait_dscnt 0x0
	v_pk_mul_f32 v[150:151], v[142:143], v[148:149] op_sel:[0,1]
	s_delay_alu instid0(VALU_DEP_1) | instskip(SKIP_1) | instid1(VALU_DEP_1)
	v_pk_fma_f32 v[152:153], v[142:143], v[146:147], v[150:151] op_sel:[0,0,1] op_sel_hi:[1,1,0] neg_lo:[0,0,1] neg_hi:[0,0,1]
	v_pk_fma_f32 v[142:143], v[142:143], v[146:147], v[150:151] op_sel:[0,0,1] op_sel_hi:[1,0,0]
	v_mov_b32_e32 v153, v143
	v_pk_mul_f32 v[142:143], v[144:145], v[148:149] op_sel:[0,1]
	s_delay_alu instid0(VALU_DEP_1) | instskip(SKIP_1) | instid1(VALU_DEP_1)
	v_pk_fma_f32 v[150:151], v[144:145], v[146:147], v[142:143] op_sel:[0,0,1] op_sel_hi:[1,1,0] neg_lo:[0,0,1] neg_hi:[0,0,1]
	v_pk_fma_f32 v[142:143], v[144:145], v[146:147], v[142:143] op_sel:[0,0,1] op_sel_hi:[1,0,0]
	v_mov_b32_e32 v151, v143
	ds_load_2addr_b64 v[142:145], v166 offset0:22 offset1:23
	v_pk_add_f32 v[98:99], v[98:99], v[152:153] neg_lo:[0,1] neg_hi:[0,1]
	v_pk_add_f32 v[94:95], v[94:95], v[150:151] neg_lo:[0,1] neg_hi:[0,1]
	s_wait_dscnt 0x0
	v_pk_mul_f32 v[150:151], v[142:143], v[148:149] op_sel:[0,1]
	s_delay_alu instid0(VALU_DEP_1) | instskip(SKIP_1) | instid1(VALU_DEP_1)
	v_pk_fma_f32 v[152:153], v[142:143], v[146:147], v[150:151] op_sel:[0,0,1] op_sel_hi:[1,1,0] neg_lo:[0,0,1] neg_hi:[0,0,1]
	v_pk_fma_f32 v[142:143], v[142:143], v[146:147], v[150:151] op_sel:[0,0,1] op_sel_hi:[1,0,0]
	v_mov_b32_e32 v153, v143
	v_pk_mul_f32 v[142:143], v[144:145], v[148:149] op_sel:[0,1]
	s_delay_alu instid0(VALU_DEP_1) | instskip(SKIP_1) | instid1(VALU_DEP_1)
	v_pk_fma_f32 v[150:151], v[144:145], v[146:147], v[142:143] op_sel:[0,0,1] op_sel_hi:[1,1,0] neg_lo:[0,0,1] neg_hi:[0,0,1]
	v_pk_fma_f32 v[142:143], v[144:145], v[146:147], v[142:143] op_sel:[0,0,1] op_sel_hi:[1,0,0]
	v_mov_b32_e32 v151, v143
	ds_load_2addr_b64 v[142:145], v166 offset0:24 offset1:25
	v_pk_add_f32 v[96:97], v[96:97], v[152:153] neg_lo:[0,1] neg_hi:[0,1]
	v_pk_add_f32 v[104:105], v[104:105], v[150:151] neg_lo:[0,1] neg_hi:[0,1]
	s_wait_dscnt 0x0
	v_dual_mul_f32 v150, v143, v149 :: v_dual_mul_f32 v152, v143, v146
	s_delay_alu instid0(VALU_DEP_1) | instskip(NEXT) | instid1(VALU_DEP_2)
	v_pk_fma_f32 v[150:151], v[142:143], v[60:61], v[150:151] op_sel_hi:[1,1,0] neg_lo:[0,0,1] neg_hi:[0,0,1]
	v_pk_fma_f32 v[142:143], v[142:143], v[60:61], v[152:153] op_sel:[1,0,0] op_sel_hi:[0,1,0]
	s_delay_alu instid0(VALU_DEP_1) | instskip(SKIP_1) | instid1(VALU_DEP_2)
	v_mov_b32_e32 v151, v143
	v_pk_mul_f32 v[142:143], v[144:145], v[148:149] op_sel:[0,1]
	v_pk_add_f32 v[102:103], v[102:103], v[150:151] neg_lo:[0,1] neg_hi:[0,1]
	s_delay_alu instid0(VALU_DEP_2) | instskip(SKIP_1) | instid1(VALU_DEP_1)
	v_pk_fma_f32 v[150:151], v[144:145], v[146:147], v[142:143] op_sel:[0,0,1] op_sel_hi:[1,1,0] neg_lo:[0,0,1] neg_hi:[0,0,1]
	v_pk_fma_f32 v[142:143], v[144:145], v[146:147], v[142:143] op_sel:[0,0,1] op_sel_hi:[1,0,0]
	v_mov_b32_e32 v151, v143
	ds_load_b64 v[142:143], v166 offset:208
	v_pk_add_f32 v[100:101], v[100:101], v[150:151] neg_lo:[0,1] neg_hi:[0,1]
	s_wait_dscnt 0x0
	v_pk_mul_f32 v[144:145], v[142:143], v[148:149] op_sel:[0,1]
	s_delay_alu instid0(VALU_DEP_1) | instskip(SKIP_1) | instid1(VALU_DEP_1)
	v_pk_fma_f32 v[148:149], v[142:143], v[146:147], v[144:145] op_sel:[0,0,1] op_sel_hi:[1,1,0] neg_lo:[0,0,1] neg_hi:[0,0,1]
	v_pk_fma_f32 v[142:143], v[142:143], v[146:147], v[144:145] op_sel:[0,0,1] op_sel_hi:[1,0,0]
	v_mov_b32_e32 v149, v143
	s_delay_alu instid0(VALU_DEP_1)
	v_pk_add_f32 v[108:109], v[108:109], v[148:149] neg_lo:[0,1] neg_hi:[0,1]
.LBB53_145:
	s_or_b32 exec_lo, exec_lo, s1
	s_delay_alu instid0(SALU_CYCLE_1)
	s_mov_b32 s2, exec_lo
	s_wait_dscnt 0x0
	s_barrier_signal -1
	s_barrier_wait -1
	v_cmpx_eq_u32_e32 16, v164
	s_cbranch_execz .LBB53_152
; %bb.146:
	ds_store_b64 v165, v[82:83]
	ds_store_2addr_b64 v166, v[106:107], v[80:81] offset0:17 offset1:18
	ds_store_2addr_b64 v166, v[78:79], v[98:99] offset0:19 offset1:20
	;; [unrolled: 1-line block ×5, first 2 shown]
	ds_load_b64 v[142:143], v165
	s_wait_dscnt 0x0
	v_cmp_neq_f32_e32 vcc_lo, 0, v142
	v_cmp_neq_f32_e64 s1, 0, v143
	s_or_b32 s1, vcc_lo, s1
	s_delay_alu instid0(SALU_CYCLE_1)
	s_and_b32 exec_lo, exec_lo, s1
	s_cbranch_execz .LBB53_152
; %bb.147:
	v_cmp_ngt_f32_e64 s1, |v142|, |v143|
                                        ; implicit-def: $vgpr144_vgpr145
	s_and_saveexec_b32 s4, s1
	s_delay_alu instid0(SALU_CYCLE_1)
	s_xor_b32 s1, exec_lo, s4
	s_cbranch_execz .LBB53_149
; %bb.148:
	v_div_scale_f32 v144, null, v143, v143, v142
	v_div_scale_f32 v147, vcc_lo, v142, v143, v142
	s_delay_alu instid0(VALU_DEP_2) | instskip(SKIP_1) | instid1(TRANS32_DEP_1)
	v_rcp_f32_e32 v145, v144
	v_nop
	v_fma_f32 v146, -v144, v145, 1.0
	s_delay_alu instid0(VALU_DEP_1) | instskip(NEXT) | instid1(VALU_DEP_1)
	v_fmac_f32_e32 v145, v146, v145
	v_mul_f32_e32 v146, v147, v145
	s_delay_alu instid0(VALU_DEP_1) | instskip(NEXT) | instid1(VALU_DEP_1)
	v_fma_f32 v148, -v144, v146, v147
	v_fmac_f32_e32 v146, v148, v145
	s_delay_alu instid0(VALU_DEP_1) | instskip(NEXT) | instid1(VALU_DEP_1)
	v_fma_f32 v144, -v144, v146, v147
	v_div_fmas_f32 v144, v144, v145, v146
	s_delay_alu instid0(VALU_DEP_1) | instskip(NEXT) | instid1(VALU_DEP_1)
	v_div_fixup_f32 v144, v144, v143, v142
	v_fmac_f32_e32 v143, v142, v144
	s_delay_alu instid0(VALU_DEP_1) | instskip(SKIP_1) | instid1(VALU_DEP_2)
	v_div_scale_f32 v142, null, v143, v143, 1.0
	v_div_scale_f32 v147, vcc_lo, 1.0, v143, 1.0
	v_rcp_f32_e32 v145, v142
	v_nop
	s_delay_alu instid0(TRANS32_DEP_1) | instskip(NEXT) | instid1(VALU_DEP_1)
	v_fma_f32 v146, -v142, v145, 1.0
	v_fmac_f32_e32 v145, v146, v145
	s_delay_alu instid0(VALU_DEP_1) | instskip(NEXT) | instid1(VALU_DEP_1)
	v_mul_f32_e32 v146, v147, v145
	v_fma_f32 v148, -v142, v146, v147
	s_delay_alu instid0(VALU_DEP_1) | instskip(NEXT) | instid1(VALU_DEP_1)
	v_fmac_f32_e32 v146, v148, v145
	v_fma_f32 v142, -v142, v146, v147
	s_delay_alu instid0(VALU_DEP_1) | instskip(NEXT) | instid1(VALU_DEP_1)
	v_div_fmas_f32 v142, v142, v145, v146
	v_div_fixup_f32 v142, v142, v143, 1.0
	s_delay_alu instid0(VALU_DEP_1)
	v_mul_f32_e32 v144, v144, v142
	v_xor_b32_e32 v145, 0x80000000, v142
                                        ; implicit-def: $vgpr142_vgpr143
.LBB53_149:
	s_and_not1_saveexec_b32 s1, s1
	s_cbranch_execz .LBB53_151
; %bb.150:
	v_div_scale_f32 v144, null, v142, v142, v143
	v_div_scale_f32 v147, vcc_lo, v143, v142, v143
	s_delay_alu instid0(VALU_DEP_2) | instskip(SKIP_1) | instid1(TRANS32_DEP_1)
	v_rcp_f32_e32 v145, v144
	v_nop
	v_fma_f32 v146, -v144, v145, 1.0
	s_delay_alu instid0(VALU_DEP_1) | instskip(NEXT) | instid1(VALU_DEP_1)
	v_fmac_f32_e32 v145, v146, v145
	v_mul_f32_e32 v146, v147, v145
	s_delay_alu instid0(VALU_DEP_1) | instskip(NEXT) | instid1(VALU_DEP_1)
	v_fma_f32 v148, -v144, v146, v147
	v_fmac_f32_e32 v146, v148, v145
	s_delay_alu instid0(VALU_DEP_1) | instskip(NEXT) | instid1(VALU_DEP_1)
	v_fma_f32 v144, -v144, v146, v147
	v_div_fmas_f32 v144, v144, v145, v146
	s_delay_alu instid0(VALU_DEP_1) | instskip(NEXT) | instid1(VALU_DEP_1)
	v_div_fixup_f32 v145, v144, v142, v143
	v_fmac_f32_e32 v142, v143, v145
	s_delay_alu instid0(VALU_DEP_1) | instskip(NEXT) | instid1(VALU_DEP_1)
	v_div_scale_f32 v143, null, v142, v142, 1.0
	v_rcp_f32_e32 v144, v143
	v_nop
	s_delay_alu instid0(TRANS32_DEP_1) | instskip(NEXT) | instid1(VALU_DEP_1)
	v_fma_f32 v146, -v143, v144, 1.0
	v_fmac_f32_e32 v144, v146, v144
	v_div_scale_f32 v146, vcc_lo, 1.0, v142, 1.0
	s_delay_alu instid0(VALU_DEP_1) | instskip(NEXT) | instid1(VALU_DEP_1)
	v_mul_f32_e32 v147, v146, v144
	v_fma_f32 v148, -v143, v147, v146
	s_delay_alu instid0(VALU_DEP_1) | instskip(NEXT) | instid1(VALU_DEP_1)
	v_fmac_f32_e32 v147, v148, v144
	v_fma_f32 v143, -v143, v147, v146
	s_delay_alu instid0(VALU_DEP_1) | instskip(NEXT) | instid1(VALU_DEP_1)
	v_div_fmas_f32 v143, v143, v144, v147
	v_div_fixup_f32 v144, v143, v142, 1.0
	s_delay_alu instid0(VALU_DEP_1)
	v_mul_f32_e64 v145, v145, -v144
.LBB53_151:
	s_or_b32 exec_lo, exec_lo, s1
	ds_store_b64 v165, v[144:145]
.LBB53_152:
	s_or_b32 exec_lo, exec_lo, s2
	s_wait_dscnt 0x0
	s_barrier_signal -1
	s_barrier_wait -1
	ds_load_b64 v[142:143], v165
	s_mov_b32 s1, exec_lo
	v_cmpx_lt_u32_e32 16, v164
	s_cbranch_execz .LBB53_154
; %bb.153:
	s_wait_dscnt 0x0
	v_pk_mul_f32 v[144:145], v[142:143], v[82:83] op_sel:[1,1] op_sel_hi:[0,1]
	s_delay_alu instid0(VALU_DEP_1)
	v_pk_fma_f32 v[148:149], v[142:143], v[82:83], v[144:145] op_sel_hi:[1,0,1] neg_lo:[0,0,1] neg_hi:[0,0,1]
	v_pk_fma_f32 v[150:151], v[142:143], v[82:83], v[144:145] op_sel_hi:[1,0,1]
	ds_load_2addr_b64 v[144:147], v166 offset0:17 offset1:18
	v_dual_mov_b32 v82, v148 :: v_dual_mov_b32 v83, v151
	s_wait_dscnt 0x0
	v_pk_mul_f32 v[152:153], v[144:145], v[150:151] op_sel:[0,1]
	s_delay_alu instid0(VALU_DEP_1) | instskip(SKIP_1) | instid1(VALU_DEP_1)
	v_pk_fma_f32 v[154:155], v[144:145], v[148:149], v[152:153] op_sel:[0,0,1] op_sel_hi:[1,1,0] neg_lo:[0,0,1] neg_hi:[0,0,1]
	v_pk_fma_f32 v[144:145], v[144:145], v[148:149], v[152:153] op_sel:[0,0,1] op_sel_hi:[1,0,0]
	v_mov_b32_e32 v155, v145
	v_pk_mul_f32 v[144:145], v[146:147], v[150:151] op_sel:[0,1]
	s_delay_alu instid0(VALU_DEP_1) | instskip(SKIP_1) | instid1(VALU_DEP_1)
	v_pk_fma_f32 v[152:153], v[146:147], v[148:149], v[144:145] op_sel:[0,0,1] op_sel_hi:[1,1,0] neg_lo:[0,0,1] neg_hi:[0,0,1]
	v_pk_fma_f32 v[144:145], v[146:147], v[148:149], v[144:145] op_sel:[0,0,1] op_sel_hi:[1,0,0]
	v_mov_b32_e32 v153, v145
	ds_load_2addr_b64 v[144:147], v166 offset0:19 offset1:20
	v_pk_add_f32 v[106:107], v[106:107], v[154:155] neg_lo:[0,1] neg_hi:[0,1]
	v_pk_add_f32 v[80:81], v[80:81], v[152:153] neg_lo:[0,1] neg_hi:[0,1]
	s_wait_dscnt 0x0
	v_pk_mul_f32 v[152:153], v[144:145], v[150:151] op_sel:[0,1]
	s_delay_alu instid0(VALU_DEP_1) | instskip(SKIP_2) | instid1(VALU_DEP_2)
	v_pk_fma_f32 v[154:155], v[144:145], v[148:149], v[152:153] op_sel:[0,0,1] op_sel_hi:[1,1,0] neg_lo:[0,0,1] neg_hi:[0,0,1]
	v_pk_fma_f32 v[144:145], v[144:145], v[148:149], v[152:153] op_sel:[0,0,1] op_sel_hi:[1,0,0]
	v_dual_mul_f32 v152, v147, v151 :: v_dual_mov_b32 v144, v147
	v_dual_mov_b32 v155, v145 :: v_dual_mov_b32 v145, v146
	s_delay_alu instid0(VALU_DEP_2) | instskip(SKIP_1) | instid1(VALU_DEP_3)
	v_pk_fma_f32 v[152:153], v[146:147], v[82:83], v[152:153] op_sel_hi:[1,1,0] neg_lo:[0,0,1] neg_hi:[0,0,1]
	v_mul_f32_e32 v146, v147, v148
	v_pk_add_f32 v[78:79], v[78:79], v[154:155] neg_lo:[0,1] neg_hi:[0,1]
	s_delay_alu instid0(VALU_DEP_2) | instskip(NEXT) | instid1(VALU_DEP_1)
	v_pk_fma_f32 v[144:145], v[144:145], v[82:83], v[146:147] op_sel_hi:[1,1,0]
	v_mov_b32_e32 v153, v145
	ds_load_2addr_b64 v[144:147], v166 offset0:21 offset1:22
	v_pk_add_f32 v[98:99], v[98:99], v[152:153] neg_lo:[0,1] neg_hi:[0,1]
	s_wait_dscnt 0x0
	v_pk_mul_f32 v[152:153], v[144:145], v[150:151] op_sel:[0,1]
	s_delay_alu instid0(VALU_DEP_1) | instskip(SKIP_1) | instid1(VALU_DEP_1)
	v_pk_fma_f32 v[154:155], v[144:145], v[148:149], v[152:153] op_sel:[0,0,1] op_sel_hi:[1,1,0] neg_lo:[0,0,1] neg_hi:[0,0,1]
	v_pk_fma_f32 v[144:145], v[144:145], v[148:149], v[152:153] op_sel:[0,0,1] op_sel_hi:[1,0,0]
	v_mov_b32_e32 v155, v145
	v_pk_mul_f32 v[144:145], v[146:147], v[150:151] op_sel:[0,1]
	s_delay_alu instid0(VALU_DEP_1) | instskip(SKIP_1) | instid1(VALU_DEP_1)
	v_pk_fma_f32 v[152:153], v[146:147], v[148:149], v[144:145] op_sel:[0,0,1] op_sel_hi:[1,1,0] neg_lo:[0,0,1] neg_hi:[0,0,1]
	v_pk_fma_f32 v[144:145], v[146:147], v[148:149], v[144:145] op_sel:[0,0,1] op_sel_hi:[1,0,0]
	v_mov_b32_e32 v153, v145
	ds_load_2addr_b64 v[144:147], v166 offset0:23 offset1:24
	v_pk_add_f32 v[94:95], v[94:95], v[154:155] neg_lo:[0,1] neg_hi:[0,1]
	v_pk_add_f32 v[96:97], v[96:97], v[152:153] neg_lo:[0,1] neg_hi:[0,1]
	s_wait_dscnt 0x0
	v_pk_mul_f32 v[152:153], v[144:145], v[150:151] op_sel:[0,1]
	s_delay_alu instid0(VALU_DEP_1) | instskip(SKIP_1) | instid1(VALU_DEP_1)
	v_pk_fma_f32 v[154:155], v[144:145], v[148:149], v[152:153] op_sel:[0,0,1] op_sel_hi:[1,1,0] neg_lo:[0,0,1] neg_hi:[0,0,1]
	v_pk_fma_f32 v[144:145], v[144:145], v[148:149], v[152:153] op_sel:[0,0,1] op_sel_hi:[1,0,0]
	v_mov_b32_e32 v155, v145
	v_pk_mul_f32 v[144:145], v[146:147], v[150:151] op_sel:[0,1]
	s_delay_alu instid0(VALU_DEP_1) | instskip(SKIP_1) | instid1(VALU_DEP_1)
	v_pk_fma_f32 v[152:153], v[146:147], v[148:149], v[144:145] op_sel:[0,0,1] op_sel_hi:[1,1,0] neg_lo:[0,0,1] neg_hi:[0,0,1]
	v_pk_fma_f32 v[144:145], v[146:147], v[148:149], v[144:145] op_sel:[0,0,1] op_sel_hi:[1,0,0]
	v_mov_b32_e32 v153, v145
	ds_load_2addr_b64 v[144:147], v166 offset0:25 offset1:26
	v_pk_add_f32 v[104:105], v[104:105], v[154:155] neg_lo:[0,1] neg_hi:[0,1]
	v_pk_add_f32 v[102:103], v[102:103], v[152:153] neg_lo:[0,1] neg_hi:[0,1]
	s_wait_dscnt 0x0
	v_dual_mul_f32 v152, v145, v151 :: v_dual_mul_f32 v154, v145, v148
	s_delay_alu instid0(VALU_DEP_1) | instskip(NEXT) | instid1(VALU_DEP_2)
	v_pk_fma_f32 v[152:153], v[144:145], v[82:83], v[152:153] op_sel_hi:[1,1,0] neg_lo:[0,0,1] neg_hi:[0,0,1]
	v_pk_fma_f32 v[144:145], v[144:145], v[82:83], v[154:155] op_sel:[1,0,0] op_sel_hi:[0,1,0]
	s_delay_alu instid0(VALU_DEP_1) | instskip(SKIP_1) | instid1(VALU_DEP_1)
	v_mov_b32_e32 v153, v145
	v_pk_mul_f32 v[144:145], v[146:147], v[150:151] op_sel:[0,1]
	v_pk_fma_f32 v[150:151], v[146:147], v[148:149], v[144:145] op_sel:[0,0,1] op_sel_hi:[1,1,0] neg_lo:[0,0,1] neg_hi:[0,0,1]
	v_pk_fma_f32 v[144:145], v[146:147], v[148:149], v[144:145] op_sel:[0,0,1] op_sel_hi:[1,0,0]
	s_delay_alu instid0(VALU_DEP_1) | instskip(SKIP_1) | instid1(VALU_DEP_2)
	v_mov_b32_e32 v151, v145
	v_pk_add_f32 v[100:101], v[100:101], v[152:153] neg_lo:[0,1] neg_hi:[0,1]
	v_pk_add_f32 v[108:109], v[108:109], v[150:151] neg_lo:[0,1] neg_hi:[0,1]
.LBB53_154:
	s_or_b32 exec_lo, exec_lo, s1
	s_delay_alu instid0(SALU_CYCLE_1)
	s_mov_b32 s2, exec_lo
	s_wait_dscnt 0x0
	s_barrier_signal -1
	s_barrier_wait -1
	v_cmpx_eq_u32_e32 17, v164
	s_cbranch_execz .LBB53_161
; %bb.155:
	v_dual_mov_b32 v144, v80 :: v_dual_mov_b32 v145, v81
	v_dual_mov_b32 v146, v78 :: v_dual_mov_b32 v147, v79
	ds_store_b64 v165, v[106:107]
	ds_store_2addr_b64 v166, v[144:145], v[146:147] offset0:18 offset1:19
	v_dual_mov_b32 v144, v98 :: v_dual_mov_b32 v145, v99
	v_dual_mov_b32 v146, v94 :: v_dual_mov_b32 v147, v95
	ds_store_2addr_b64 v166, v[144:145], v[146:147] offset0:20 offset1:21
	v_dual_mov_b32 v144, v96 :: v_dual_mov_b32 v145, v97
	v_dual_mov_b32 v146, v104 :: v_dual_mov_b32 v147, v105
	;; [unrolled: 3-line block ×3, first 2 shown]
	ds_store_2addr_b64 v166, v[144:145], v[146:147] offset0:24 offset1:25
	ds_store_b64 v166, v[108:109] offset:208
	ds_load_b64 v[144:145], v165
	s_wait_dscnt 0x0
	v_cmp_neq_f32_e32 vcc_lo, 0, v144
	v_cmp_neq_f32_e64 s1, 0, v145
	s_or_b32 s1, vcc_lo, s1
	s_delay_alu instid0(SALU_CYCLE_1)
	s_and_b32 exec_lo, exec_lo, s1
	s_cbranch_execz .LBB53_161
; %bb.156:
	v_cmp_ngt_f32_e64 s1, |v144|, |v145|
                                        ; implicit-def: $vgpr146_vgpr147
	s_and_saveexec_b32 s4, s1
	s_delay_alu instid0(SALU_CYCLE_1)
	s_xor_b32 s1, exec_lo, s4
	s_cbranch_execz .LBB53_158
; %bb.157:
	v_div_scale_f32 v146, null, v145, v145, v144
	v_div_scale_f32 v149, vcc_lo, v144, v145, v144
	s_delay_alu instid0(VALU_DEP_2) | instskip(SKIP_1) | instid1(TRANS32_DEP_1)
	v_rcp_f32_e32 v147, v146
	v_nop
	v_fma_f32 v148, -v146, v147, 1.0
	s_delay_alu instid0(VALU_DEP_1) | instskip(NEXT) | instid1(VALU_DEP_1)
	v_fmac_f32_e32 v147, v148, v147
	v_mul_f32_e32 v148, v149, v147
	s_delay_alu instid0(VALU_DEP_1) | instskip(NEXT) | instid1(VALU_DEP_1)
	v_fma_f32 v150, -v146, v148, v149
	v_fmac_f32_e32 v148, v150, v147
	s_delay_alu instid0(VALU_DEP_1) | instskip(NEXT) | instid1(VALU_DEP_1)
	v_fma_f32 v146, -v146, v148, v149
	v_div_fmas_f32 v146, v146, v147, v148
	s_delay_alu instid0(VALU_DEP_1) | instskip(NEXT) | instid1(VALU_DEP_1)
	v_div_fixup_f32 v146, v146, v145, v144
	v_fmac_f32_e32 v145, v144, v146
	s_delay_alu instid0(VALU_DEP_1) | instskip(SKIP_1) | instid1(VALU_DEP_2)
	v_div_scale_f32 v144, null, v145, v145, 1.0
	v_div_scale_f32 v149, vcc_lo, 1.0, v145, 1.0
	v_rcp_f32_e32 v147, v144
	v_nop
	s_delay_alu instid0(TRANS32_DEP_1) | instskip(NEXT) | instid1(VALU_DEP_1)
	v_fma_f32 v148, -v144, v147, 1.0
	v_fmac_f32_e32 v147, v148, v147
	s_delay_alu instid0(VALU_DEP_1) | instskip(NEXT) | instid1(VALU_DEP_1)
	v_mul_f32_e32 v148, v149, v147
	v_fma_f32 v150, -v144, v148, v149
	s_delay_alu instid0(VALU_DEP_1) | instskip(NEXT) | instid1(VALU_DEP_1)
	v_fmac_f32_e32 v148, v150, v147
	v_fma_f32 v144, -v144, v148, v149
	s_delay_alu instid0(VALU_DEP_1) | instskip(NEXT) | instid1(VALU_DEP_1)
	v_div_fmas_f32 v144, v144, v147, v148
	v_div_fixup_f32 v144, v144, v145, 1.0
	s_delay_alu instid0(VALU_DEP_1)
	v_mul_f32_e32 v146, v146, v144
	v_xor_b32_e32 v147, 0x80000000, v144
                                        ; implicit-def: $vgpr144_vgpr145
.LBB53_158:
	s_and_not1_saveexec_b32 s1, s1
	s_cbranch_execz .LBB53_160
; %bb.159:
	v_div_scale_f32 v146, null, v144, v144, v145
	v_div_scale_f32 v149, vcc_lo, v145, v144, v145
	s_delay_alu instid0(VALU_DEP_2) | instskip(SKIP_1) | instid1(TRANS32_DEP_1)
	v_rcp_f32_e32 v147, v146
	v_nop
	v_fma_f32 v148, -v146, v147, 1.0
	s_delay_alu instid0(VALU_DEP_1) | instskip(NEXT) | instid1(VALU_DEP_1)
	v_fmac_f32_e32 v147, v148, v147
	v_mul_f32_e32 v148, v149, v147
	s_delay_alu instid0(VALU_DEP_1) | instskip(NEXT) | instid1(VALU_DEP_1)
	v_fma_f32 v150, -v146, v148, v149
	v_fmac_f32_e32 v148, v150, v147
	s_delay_alu instid0(VALU_DEP_1) | instskip(NEXT) | instid1(VALU_DEP_1)
	v_fma_f32 v146, -v146, v148, v149
	v_div_fmas_f32 v146, v146, v147, v148
	s_delay_alu instid0(VALU_DEP_1) | instskip(NEXT) | instid1(VALU_DEP_1)
	v_div_fixup_f32 v147, v146, v144, v145
	v_fmac_f32_e32 v144, v145, v147
	s_delay_alu instid0(VALU_DEP_1) | instskip(NEXT) | instid1(VALU_DEP_1)
	v_div_scale_f32 v145, null, v144, v144, 1.0
	v_rcp_f32_e32 v146, v145
	v_nop
	s_delay_alu instid0(TRANS32_DEP_1) | instskip(NEXT) | instid1(VALU_DEP_1)
	v_fma_f32 v148, -v145, v146, 1.0
	v_fmac_f32_e32 v146, v148, v146
	v_div_scale_f32 v148, vcc_lo, 1.0, v144, 1.0
	s_delay_alu instid0(VALU_DEP_1) | instskip(NEXT) | instid1(VALU_DEP_1)
	v_mul_f32_e32 v149, v148, v146
	v_fma_f32 v150, -v145, v149, v148
	s_delay_alu instid0(VALU_DEP_1) | instskip(NEXT) | instid1(VALU_DEP_1)
	v_fmac_f32_e32 v149, v150, v146
	v_fma_f32 v145, -v145, v149, v148
	s_delay_alu instid0(VALU_DEP_1) | instskip(NEXT) | instid1(VALU_DEP_1)
	v_div_fmas_f32 v145, v145, v146, v149
	v_div_fixup_f32 v146, v145, v144, 1.0
	s_delay_alu instid0(VALU_DEP_1)
	v_mul_f32_e64 v147, v147, -v146
.LBB53_160:
	s_or_b32 exec_lo, exec_lo, s1
	ds_store_b64 v165, v[146:147]
.LBB53_161:
	s_or_b32 exec_lo, exec_lo, s2
	s_wait_dscnt 0x0
	s_barrier_signal -1
	s_barrier_wait -1
	ds_load_b64 v[144:145], v165
	s_mov_b32 s1, exec_lo
	v_cmpx_lt_u32_e32 17, v164
	s_cbranch_execz .LBB53_163
; %bb.162:
	ds_load_2addr_b64 v[146:149], v166 offset0:18 offset1:19
	ds_load_2addr_b64 v[150:153], v166 offset0:20 offset1:21
	;; [unrolled: 1-line block ×3, first 2 shown]
	s_wait_dscnt 0x3
	v_pk_mul_f32 v[158:159], v[144:145], v[106:107] op_sel:[1,1] op_sel_hi:[0,1]
	s_delay_alu instid0(VALU_DEP_1)
	v_pk_fma_f32 v[162:163], v[144:145], v[106:107], v[158:159] op_sel_hi:[1,0,1] neg_lo:[0,0,1] neg_hi:[0,0,1]
	v_pk_fma_f32 v[168:169], v[144:145], v[106:107], v[158:159] op_sel_hi:[1,0,1]
	ds_load_2addr_b64 v[158:161], v166 offset0:24 offset1:25
	ds_load_b64 v[170:171], v166 offset:208
	v_dual_mov_b32 v106, v162 :: v_dual_mov_b32 v107, v169
	s_wait_dscnt 0x4
	v_pk_mul_f32 v[172:173], v[146:147], v[168:169] op_sel:[0,1]
	v_pk_mul_f32 v[174:175], v[148:149], v[168:169] op_sel:[0,1]
	s_wait_dscnt 0x3
	v_pk_mul_f32 v[176:177], v[150:151], v[168:169] op_sel:[0,1]
	v_dual_mov_b32 v178, v153 :: v_dual_mov_b32 v179, v152
	v_dual_mul_f32 v180, v153, v169 :: v_dual_mul_f32 v182, v153, v162
	s_wait_dscnt 0x2
	v_pk_mul_f32 v[184:185], v[154:155], v[168:169] op_sel:[0,1]
	v_pk_fma_f32 v[188:189], v[146:147], v[162:163], v[172:173] op_sel:[0,0,1] op_sel_hi:[1,1,0] neg_lo:[0,0,1] neg_hi:[0,0,1]
	v_pk_fma_f32 v[146:147], v[146:147], v[162:163], v[172:173] op_sel:[0,0,1] op_sel_hi:[1,0,0]
	v_pk_fma_f32 v[172:173], v[148:149], v[162:163], v[174:175] op_sel:[0,0,1] op_sel_hi:[1,1,0] neg_lo:[0,0,1] neg_hi:[0,0,1]
	v_pk_fma_f32 v[148:149], v[148:149], v[162:163], v[174:175] op_sel:[0,0,1] op_sel_hi:[1,0,0]
	;; [unrolled: 2-line block ×3, first 2 shown]
	v_pk_fma_f32 v[176:177], v[178:179], v[106:107], v[182:183] op_sel_hi:[1,1,0]
	v_pk_fma_f32 v[152:153], v[152:153], v[106:107], v[180:181] op_sel_hi:[1,1,0] neg_lo:[0,0,1] neg_hi:[0,0,1]
	v_pk_mul_f32 v[186:187], v[156:157], v[168:169] op_sel:[0,1]
	v_dual_mov_b32 v189, v147 :: v_dual_mov_b32 v173, v149
	s_delay_alu instid0(VALU_DEP_4)
	v_dual_mov_b32 v175, v151 :: v_dual_mov_b32 v153, v177
	v_pk_fma_f32 v[146:147], v[154:155], v[162:163], v[184:185] op_sel:[0,0,1] op_sel_hi:[1,0,0]
	v_pk_fma_f32 v[148:149], v[154:155], v[162:163], v[184:185] op_sel:[0,0,1] op_sel_hi:[1,1,0] neg_lo:[0,0,1] neg_hi:[0,0,1]
	v_pk_fma_f32 v[150:151], v[156:157], v[162:163], v[186:187] op_sel:[0,0,1] op_sel_hi:[1,0,0]
	v_pk_fma_f32 v[154:155], v[156:157], v[162:163], v[186:187] op_sel:[0,0,1] op_sel_hi:[1,1,0] neg_lo:[0,0,1] neg_hi:[0,0,1]
	v_pk_add_f32 v[94:95], v[94:95], v[152:153] neg_lo:[0,1] neg_hi:[0,1]
	v_mov_b32_e32 v149, v147
	s_wait_dscnt 0x1
	v_pk_mul_f32 v[146:147], v[158:159], v[168:169] op_sel:[0,1]
	v_pk_mul_f32 v[152:153], v[160:161], v[168:169] op_sel:[0,1]
	s_wait_dscnt 0x0
	v_pk_mul_f32 v[156:157], v[170:171], v[168:169] op_sel:[0,1]
	v_mov_b32_e32 v155, v151
	v_pk_add_f32 v[80:81], v[80:81], v[188:189] neg_lo:[0,1] neg_hi:[0,1]
	v_pk_fma_f32 v[168:169], v[158:159], v[162:163], v[146:147] op_sel:[0,0,1] op_sel_hi:[1,0,0]
	v_pk_fma_f32 v[150:151], v[160:161], v[162:163], v[152:153] op_sel:[0,0,1] op_sel_hi:[1,0,0]
	v_pk_fma_f32 v[146:147], v[158:159], v[162:163], v[146:147] op_sel:[0,0,1] op_sel_hi:[1,1,0] neg_lo:[0,0,1] neg_hi:[0,0,1]
	v_pk_fma_f32 v[158:159], v[170:171], v[162:163], v[156:157] op_sel:[0,0,1] op_sel_hi:[1,0,0]
	v_pk_fma_f32 v[152:153], v[160:161], v[162:163], v[152:153] op_sel:[0,0,1] op_sel_hi:[1,1,0] neg_lo:[0,0,1] neg_hi:[0,0,1]
	s_delay_alu instid0(VALU_DEP_4) | instskip(SKIP_1) | instid1(VALU_DEP_4)
	v_dual_mov_b32 v147, v169 :: v_dual_mov_b32 v153, v151
	v_pk_fma_f32 v[150:151], v[170:171], v[162:163], v[156:157] op_sel:[0,0,1] op_sel_hi:[1,1,0] neg_lo:[0,0,1] neg_hi:[0,0,1]
	v_mov_b32_e32 v151, v159
	v_pk_add_f32 v[78:79], v[78:79], v[172:173] neg_lo:[0,1] neg_hi:[0,1]
	v_pk_add_f32 v[98:99], v[98:99], v[174:175] neg_lo:[0,1] neg_hi:[0,1]
	;; [unrolled: 1-line block ×7, first 2 shown]
.LBB53_163:
	s_or_b32 exec_lo, exec_lo, s1
	s_delay_alu instid0(SALU_CYCLE_1)
	s_mov_b32 s2, exec_lo
	s_wait_dscnt 0x0
	s_barrier_signal -1
	s_barrier_wait -1
	v_cmpx_eq_u32_e32 18, v164
	s_cbranch_execz .LBB53_170
; %bb.164:
	ds_store_b64 v165, v[80:81]
	ds_store_2addr_b64 v166, v[78:79], v[98:99] offset0:19 offset1:20
	ds_store_2addr_b64 v166, v[94:95], v[96:97] offset0:21 offset1:22
	;; [unrolled: 1-line block ×4, first 2 shown]
	ds_load_b64 v[146:147], v165
	s_wait_dscnt 0x0
	v_cmp_neq_f32_e32 vcc_lo, 0, v146
	v_cmp_neq_f32_e64 s1, 0, v147
	s_or_b32 s1, vcc_lo, s1
	s_delay_alu instid0(SALU_CYCLE_1)
	s_and_b32 exec_lo, exec_lo, s1
	s_cbranch_execz .LBB53_170
; %bb.165:
	v_cmp_ngt_f32_e64 s1, |v146|, |v147|
                                        ; implicit-def: $vgpr148_vgpr149
	s_and_saveexec_b32 s4, s1
	s_delay_alu instid0(SALU_CYCLE_1)
	s_xor_b32 s1, exec_lo, s4
	s_cbranch_execz .LBB53_167
; %bb.166:
	v_div_scale_f32 v148, null, v147, v147, v146
	v_div_scale_f32 v151, vcc_lo, v146, v147, v146
	s_delay_alu instid0(VALU_DEP_2) | instskip(SKIP_1) | instid1(TRANS32_DEP_1)
	v_rcp_f32_e32 v149, v148
	v_nop
	v_fma_f32 v150, -v148, v149, 1.0
	s_delay_alu instid0(VALU_DEP_1) | instskip(NEXT) | instid1(VALU_DEP_1)
	v_fmac_f32_e32 v149, v150, v149
	v_mul_f32_e32 v150, v151, v149
	s_delay_alu instid0(VALU_DEP_1) | instskip(NEXT) | instid1(VALU_DEP_1)
	v_fma_f32 v152, -v148, v150, v151
	v_fmac_f32_e32 v150, v152, v149
	s_delay_alu instid0(VALU_DEP_1) | instskip(NEXT) | instid1(VALU_DEP_1)
	v_fma_f32 v148, -v148, v150, v151
	v_div_fmas_f32 v148, v148, v149, v150
	s_delay_alu instid0(VALU_DEP_1) | instskip(NEXT) | instid1(VALU_DEP_1)
	v_div_fixup_f32 v148, v148, v147, v146
	v_fmac_f32_e32 v147, v146, v148
	s_delay_alu instid0(VALU_DEP_1) | instskip(SKIP_1) | instid1(VALU_DEP_2)
	v_div_scale_f32 v146, null, v147, v147, 1.0
	v_div_scale_f32 v151, vcc_lo, 1.0, v147, 1.0
	v_rcp_f32_e32 v149, v146
	v_nop
	s_delay_alu instid0(TRANS32_DEP_1) | instskip(NEXT) | instid1(VALU_DEP_1)
	v_fma_f32 v150, -v146, v149, 1.0
	v_fmac_f32_e32 v149, v150, v149
	s_delay_alu instid0(VALU_DEP_1) | instskip(NEXT) | instid1(VALU_DEP_1)
	v_mul_f32_e32 v150, v151, v149
	v_fma_f32 v152, -v146, v150, v151
	s_delay_alu instid0(VALU_DEP_1) | instskip(NEXT) | instid1(VALU_DEP_1)
	v_fmac_f32_e32 v150, v152, v149
	v_fma_f32 v146, -v146, v150, v151
	s_delay_alu instid0(VALU_DEP_1) | instskip(NEXT) | instid1(VALU_DEP_1)
	v_div_fmas_f32 v146, v146, v149, v150
	v_div_fixup_f32 v146, v146, v147, 1.0
	s_delay_alu instid0(VALU_DEP_1)
	v_mul_f32_e32 v148, v148, v146
	v_xor_b32_e32 v149, 0x80000000, v146
                                        ; implicit-def: $vgpr146_vgpr147
.LBB53_167:
	s_and_not1_saveexec_b32 s1, s1
	s_cbranch_execz .LBB53_169
; %bb.168:
	v_div_scale_f32 v148, null, v146, v146, v147
	v_div_scale_f32 v151, vcc_lo, v147, v146, v147
	s_delay_alu instid0(VALU_DEP_2) | instskip(SKIP_1) | instid1(TRANS32_DEP_1)
	v_rcp_f32_e32 v149, v148
	v_nop
	v_fma_f32 v150, -v148, v149, 1.0
	s_delay_alu instid0(VALU_DEP_1) | instskip(NEXT) | instid1(VALU_DEP_1)
	v_fmac_f32_e32 v149, v150, v149
	v_mul_f32_e32 v150, v151, v149
	s_delay_alu instid0(VALU_DEP_1) | instskip(NEXT) | instid1(VALU_DEP_1)
	v_fma_f32 v152, -v148, v150, v151
	v_fmac_f32_e32 v150, v152, v149
	s_delay_alu instid0(VALU_DEP_1) | instskip(NEXT) | instid1(VALU_DEP_1)
	v_fma_f32 v148, -v148, v150, v151
	v_div_fmas_f32 v148, v148, v149, v150
	s_delay_alu instid0(VALU_DEP_1) | instskip(NEXT) | instid1(VALU_DEP_1)
	v_div_fixup_f32 v149, v148, v146, v147
	v_fmac_f32_e32 v146, v147, v149
	s_delay_alu instid0(VALU_DEP_1) | instskip(NEXT) | instid1(VALU_DEP_1)
	v_div_scale_f32 v147, null, v146, v146, 1.0
	v_rcp_f32_e32 v148, v147
	v_nop
	s_delay_alu instid0(TRANS32_DEP_1) | instskip(NEXT) | instid1(VALU_DEP_1)
	v_fma_f32 v150, -v147, v148, 1.0
	v_fmac_f32_e32 v148, v150, v148
	v_div_scale_f32 v150, vcc_lo, 1.0, v146, 1.0
	s_delay_alu instid0(VALU_DEP_1) | instskip(NEXT) | instid1(VALU_DEP_1)
	v_mul_f32_e32 v151, v150, v148
	v_fma_f32 v152, -v147, v151, v150
	s_delay_alu instid0(VALU_DEP_1) | instskip(NEXT) | instid1(VALU_DEP_1)
	v_fmac_f32_e32 v151, v152, v148
	v_fma_f32 v147, -v147, v151, v150
	s_delay_alu instid0(VALU_DEP_1) | instskip(NEXT) | instid1(VALU_DEP_1)
	v_div_fmas_f32 v147, v147, v148, v151
	v_div_fixup_f32 v148, v147, v146, 1.0
	s_delay_alu instid0(VALU_DEP_1)
	v_mul_f32_e64 v149, v149, -v148
.LBB53_169:
	s_or_b32 exec_lo, exec_lo, s1
	ds_store_b64 v165, v[148:149]
.LBB53_170:
	s_or_b32 exec_lo, exec_lo, s2
	s_wait_dscnt 0x0
	s_barrier_signal -1
	s_barrier_wait -1
	ds_load_b64 v[146:147], v165
	s_mov_b32 s1, exec_lo
	v_cmpx_lt_u32_e32 18, v164
	s_cbranch_execz .LBB53_172
; %bb.171:
	ds_load_2addr_b64 v[148:151], v166 offset0:19 offset1:20
	ds_load_2addr_b64 v[152:155], v166 offset0:21 offset1:22
	;; [unrolled: 1-line block ×3, first 2 shown]
	s_wait_dscnt 0x3
	v_pk_mul_f32 v[168:169], v[146:147], v[80:81] op_sel:[1,1] op_sel_hi:[0,1]
	ds_load_2addr_b64 v[160:163], v166 offset0:25 offset1:26
	v_pk_fma_f32 v[170:171], v[146:147], v[80:81], v[168:169] op_sel_hi:[1,0,1] neg_lo:[0,0,1] neg_hi:[0,0,1]
	v_pk_fma_f32 v[168:169], v[146:147], v[80:81], v[168:169] op_sel_hi:[1,0,1]
	s_delay_alu instid0(VALU_DEP_1) | instskip(SKIP_1) | instid1(VALU_DEP_2)
	v_dual_mov_b32 v80, v170 :: v_dual_mov_b32 v81, v169
	s_wait_dscnt 0x3
	v_pk_mul_f32 v[172:173], v[148:149], v[168:169] op_sel:[0,1]
	v_pk_mul_f32 v[174:175], v[150:151], v[168:169] op_sel:[0,1]
	s_wait_dscnt 0x2
	v_pk_mul_f32 v[176:177], v[152:153], v[168:169] op_sel:[0,1]
	s_wait_dscnt 0x1
	v_pk_mul_f32 v[184:185], v[156:157], v[168:169] op_sel:[0,1]
	v_dual_mov_b32 v178, v155 :: v_dual_mov_b32 v179, v154
	v_pk_fma_f32 v[190:191], v[148:149], v[170:171], v[172:173] op_sel:[0,0,1] op_sel_hi:[1,1,0] neg_lo:[0,0,1] neg_hi:[0,0,1]
	v_pk_fma_f32 v[148:149], v[148:149], v[170:171], v[172:173] op_sel:[0,0,1] op_sel_hi:[1,0,0]
	v_pk_fma_f32 v[172:173], v[150:151], v[170:171], v[174:175] op_sel:[0,0,1] op_sel_hi:[1,1,0] neg_lo:[0,0,1] neg_hi:[0,0,1]
	v_pk_fma_f32 v[150:151], v[150:151], v[170:171], v[174:175] op_sel:[0,0,1] op_sel_hi:[1,0,0]
	v_dual_mul_f32 v180, v155, v169 :: v_dual_mul_f32 v182, v155, v170
	v_pk_mul_f32 v[186:187], v[158:159], v[168:169] op_sel:[0,1]
	v_pk_fma_f32 v[174:175], v[152:153], v[170:171], v[176:177] op_sel:[0,0,1] op_sel_hi:[1,1,0] neg_lo:[0,0,1] neg_hi:[0,0,1]
	v_pk_fma_f32 v[152:153], v[152:153], v[170:171], v[176:177] op_sel:[0,0,1] op_sel_hi:[1,0,0]
	s_wait_dscnt 0x0
	v_pk_mul_f32 v[188:189], v[160:161], v[168:169] op_sel:[0,1]
	v_dual_mov_b32 v191, v149 :: v_dual_mov_b32 v173, v151
	v_pk_fma_f32 v[148:149], v[156:157], v[170:171], v[184:185] op_sel:[0,0,1] op_sel_hi:[1,0,0]
	v_pk_mul_f32 v[150:151], v[162:163], v[168:169] op_sel:[0,1]
	v_pk_fma_f32 v[176:177], v[178:179], v[80:81], v[182:183] op_sel_hi:[1,1,0]
	v_pk_fma_f32 v[178:179], v[156:157], v[170:171], v[184:185] op_sel:[0,0,1] op_sel_hi:[1,1,0] neg_lo:[0,0,1] neg_hi:[0,0,1]
	v_mov_b32_e32 v175, v153
	v_pk_fma_f32 v[152:153], v[158:159], v[170:171], v[186:187] op_sel:[0,0,1] op_sel_hi:[1,0,0]
	v_mov_b32_e32 v179, v149
	v_pk_fma_f32 v[148:149], v[160:161], v[170:171], v[188:189] op_sel:[0,0,1] op_sel_hi:[1,0,0]
	v_pk_fma_f32 v[156:157], v[158:159], v[170:171], v[186:187] op_sel:[0,0,1] op_sel_hi:[1,1,0] neg_lo:[0,0,1] neg_hi:[0,0,1]
	v_pk_fma_f32 v[158:159], v[162:163], v[170:171], v[150:151] op_sel:[0,0,1] op_sel_hi:[1,0,0]
	v_mov_b32_e32 v157, v153
	v_pk_fma_f32 v[152:153], v[160:161], v[170:171], v[188:189] op_sel:[0,0,1] op_sel_hi:[1,1,0] neg_lo:[0,0,1] neg_hi:[0,0,1]
	v_pk_fma_f32 v[154:155], v[154:155], v[80:81], v[180:181] op_sel_hi:[1,1,0] neg_lo:[0,0,1] neg_hi:[0,0,1]
	v_mov_b32_e32 v153, v149
	v_pk_fma_f32 v[148:149], v[162:163], v[170:171], v[150:151] op_sel:[0,0,1] op_sel_hi:[1,1,0] neg_lo:[0,0,1] neg_hi:[0,0,1]
	v_dual_mov_b32 v155, v177 :: v_dual_mov_b32 v149, v159
	v_pk_add_f32 v[78:79], v[78:79], v[190:191] neg_lo:[0,1] neg_hi:[0,1]
	v_pk_add_f32 v[98:99], v[98:99], v[172:173] neg_lo:[0,1] neg_hi:[0,1]
	;; [unrolled: 1-line block ×3, first 2 shown]
	s_delay_alu instid0(VALU_DEP_4)
	v_pk_add_f32 v[96:97], v[96:97], v[154:155] neg_lo:[0,1] neg_hi:[0,1]
	v_pk_add_f32 v[104:105], v[104:105], v[178:179] neg_lo:[0,1] neg_hi:[0,1]
	;; [unrolled: 1-line block ×5, first 2 shown]
.LBB53_172:
	s_or_b32 exec_lo, exec_lo, s1
	s_delay_alu instid0(SALU_CYCLE_1)
	s_mov_b32 s2, exec_lo
	s_wait_dscnt 0x0
	s_barrier_signal -1
	s_barrier_wait -1
	v_cmpx_eq_u32_e32 19, v164
	s_cbranch_execz .LBB53_179
; %bb.173:
	v_dual_mov_b32 v148, v98 :: v_dual_mov_b32 v149, v99
	v_dual_mov_b32 v150, v94 :: v_dual_mov_b32 v151, v95
	;; [unrolled: 1-line block ×6, first 2 shown]
	ds_store_b64 v165, v[78:79]
	ds_store_2addr_b64 v166, v[148:149], v[150:151] offset0:20 offset1:21
	ds_store_2addr_b64 v166, v[152:153], v[154:155] offset0:22 offset1:23
	ds_store_2addr_b64 v166, v[156:157], v[158:159] offset0:24 offset1:25
	ds_store_b64 v166, v[108:109] offset:208
	ds_load_b64 v[148:149], v165
	s_wait_dscnt 0x0
	v_cmp_neq_f32_e32 vcc_lo, 0, v148
	v_cmp_neq_f32_e64 s1, 0, v149
	s_or_b32 s1, vcc_lo, s1
	s_delay_alu instid0(SALU_CYCLE_1)
	s_and_b32 exec_lo, exec_lo, s1
	s_cbranch_execz .LBB53_179
; %bb.174:
	v_cmp_ngt_f32_e64 s1, |v148|, |v149|
                                        ; implicit-def: $vgpr150_vgpr151
	s_and_saveexec_b32 s4, s1
	s_delay_alu instid0(SALU_CYCLE_1)
	s_xor_b32 s1, exec_lo, s4
	s_cbranch_execz .LBB53_176
; %bb.175:
	v_div_scale_f32 v150, null, v149, v149, v148
	v_div_scale_f32 v153, vcc_lo, v148, v149, v148
	s_delay_alu instid0(VALU_DEP_2) | instskip(SKIP_1) | instid1(TRANS32_DEP_1)
	v_rcp_f32_e32 v151, v150
	v_nop
	v_fma_f32 v152, -v150, v151, 1.0
	s_delay_alu instid0(VALU_DEP_1) | instskip(NEXT) | instid1(VALU_DEP_1)
	v_fmac_f32_e32 v151, v152, v151
	v_mul_f32_e32 v152, v153, v151
	s_delay_alu instid0(VALU_DEP_1) | instskip(NEXT) | instid1(VALU_DEP_1)
	v_fma_f32 v154, -v150, v152, v153
	v_fmac_f32_e32 v152, v154, v151
	s_delay_alu instid0(VALU_DEP_1) | instskip(NEXT) | instid1(VALU_DEP_1)
	v_fma_f32 v150, -v150, v152, v153
	v_div_fmas_f32 v150, v150, v151, v152
	s_delay_alu instid0(VALU_DEP_1) | instskip(NEXT) | instid1(VALU_DEP_1)
	v_div_fixup_f32 v150, v150, v149, v148
	v_fmac_f32_e32 v149, v148, v150
	s_delay_alu instid0(VALU_DEP_1) | instskip(SKIP_1) | instid1(VALU_DEP_2)
	v_div_scale_f32 v148, null, v149, v149, 1.0
	v_div_scale_f32 v153, vcc_lo, 1.0, v149, 1.0
	v_rcp_f32_e32 v151, v148
	v_nop
	s_delay_alu instid0(TRANS32_DEP_1) | instskip(NEXT) | instid1(VALU_DEP_1)
	v_fma_f32 v152, -v148, v151, 1.0
	v_fmac_f32_e32 v151, v152, v151
	s_delay_alu instid0(VALU_DEP_1) | instskip(NEXT) | instid1(VALU_DEP_1)
	v_mul_f32_e32 v152, v153, v151
	v_fma_f32 v154, -v148, v152, v153
	s_delay_alu instid0(VALU_DEP_1) | instskip(NEXT) | instid1(VALU_DEP_1)
	v_fmac_f32_e32 v152, v154, v151
	v_fma_f32 v148, -v148, v152, v153
	s_delay_alu instid0(VALU_DEP_1) | instskip(NEXT) | instid1(VALU_DEP_1)
	v_div_fmas_f32 v148, v148, v151, v152
	v_div_fixup_f32 v148, v148, v149, 1.0
	s_delay_alu instid0(VALU_DEP_1)
	v_mul_f32_e32 v150, v150, v148
	v_xor_b32_e32 v151, 0x80000000, v148
                                        ; implicit-def: $vgpr148_vgpr149
.LBB53_176:
	s_and_not1_saveexec_b32 s1, s1
	s_cbranch_execz .LBB53_178
; %bb.177:
	v_div_scale_f32 v150, null, v148, v148, v149
	v_div_scale_f32 v153, vcc_lo, v149, v148, v149
	s_delay_alu instid0(VALU_DEP_2) | instskip(SKIP_1) | instid1(TRANS32_DEP_1)
	v_rcp_f32_e32 v151, v150
	v_nop
	v_fma_f32 v152, -v150, v151, 1.0
	s_delay_alu instid0(VALU_DEP_1) | instskip(NEXT) | instid1(VALU_DEP_1)
	v_fmac_f32_e32 v151, v152, v151
	v_mul_f32_e32 v152, v153, v151
	s_delay_alu instid0(VALU_DEP_1) | instskip(NEXT) | instid1(VALU_DEP_1)
	v_fma_f32 v154, -v150, v152, v153
	v_fmac_f32_e32 v152, v154, v151
	s_delay_alu instid0(VALU_DEP_1) | instskip(NEXT) | instid1(VALU_DEP_1)
	v_fma_f32 v150, -v150, v152, v153
	v_div_fmas_f32 v150, v150, v151, v152
	s_delay_alu instid0(VALU_DEP_1) | instskip(NEXT) | instid1(VALU_DEP_1)
	v_div_fixup_f32 v151, v150, v148, v149
	v_fmac_f32_e32 v148, v149, v151
	s_delay_alu instid0(VALU_DEP_1) | instskip(NEXT) | instid1(VALU_DEP_1)
	v_div_scale_f32 v149, null, v148, v148, 1.0
	v_rcp_f32_e32 v150, v149
	v_nop
	s_delay_alu instid0(TRANS32_DEP_1) | instskip(NEXT) | instid1(VALU_DEP_1)
	v_fma_f32 v152, -v149, v150, 1.0
	v_fmac_f32_e32 v150, v152, v150
	v_div_scale_f32 v152, vcc_lo, 1.0, v148, 1.0
	s_delay_alu instid0(VALU_DEP_1) | instskip(NEXT) | instid1(VALU_DEP_1)
	v_mul_f32_e32 v153, v152, v150
	v_fma_f32 v154, -v149, v153, v152
	s_delay_alu instid0(VALU_DEP_1) | instskip(NEXT) | instid1(VALU_DEP_1)
	v_fmac_f32_e32 v153, v154, v150
	v_fma_f32 v149, -v149, v153, v152
	s_delay_alu instid0(VALU_DEP_1) | instskip(NEXT) | instid1(VALU_DEP_1)
	v_div_fmas_f32 v149, v149, v150, v153
	v_div_fixup_f32 v150, v149, v148, 1.0
	s_delay_alu instid0(VALU_DEP_1)
	v_mul_f32_e64 v151, v151, -v150
.LBB53_178:
	s_or_b32 exec_lo, exec_lo, s1
	ds_store_b64 v165, v[150:151]
.LBB53_179:
	s_or_b32 exec_lo, exec_lo, s2
	s_wait_dscnt 0x0
	s_barrier_signal -1
	s_barrier_wait -1
	ds_load_b64 v[148:149], v165
	s_mov_b32 s1, exec_lo
	v_cmpx_lt_u32_e32 19, v164
	s_cbranch_execz .LBB53_181
; %bb.180:
	ds_load_2addr_b64 v[150:153], v166 offset0:20 offset1:21
	ds_load_2addr_b64 v[154:157], v166 offset0:22 offset1:23
	;; [unrolled: 1-line block ×3, first 2 shown]
	ds_load_b64 v[168:169], v166 offset:208
	s_wait_dscnt 0x4
	v_pk_mul_f32 v[162:163], v[148:149], v[78:79] op_sel:[1,1] op_sel_hi:[0,1]
	s_delay_alu instid0(VALU_DEP_1) | instskip(SKIP_1) | instid1(VALU_DEP_1)
	v_pk_fma_f32 v[170:171], v[148:149], v[78:79], v[162:163] op_sel_hi:[1,0,1] neg_lo:[0,0,1] neg_hi:[0,0,1]
	v_pk_fma_f32 v[162:163], v[148:149], v[78:79], v[162:163] op_sel_hi:[1,0,1]
	v_dual_mov_b32 v78, v170 :: v_dual_mov_b32 v79, v163
	s_wait_dscnt 0x3
	s_delay_alu instid0(VALU_DEP_2)
	v_pk_mul_f32 v[172:173], v[150:151], v[162:163] op_sel:[0,1]
	v_pk_mul_f32 v[174:175], v[152:153], v[162:163] op_sel:[0,1]
	s_wait_dscnt 0x2
	v_pk_mul_f32 v[176:177], v[154:155], v[162:163] op_sel:[0,1]
	v_dual_mov_b32 v178, v157 :: v_dual_mov_b32 v179, v156
	v_dual_mul_f32 v180, v157, v163 :: v_dual_mul_f32 v182, v157, v170
	s_wait_dscnt 0x1
	v_pk_mul_f32 v[184:185], v[158:159], v[162:163] op_sel:[0,1]
	v_pk_mul_f32 v[186:187], v[160:161], v[162:163] op_sel:[0,1]
	v_pk_fma_f32 v[188:189], v[150:151], v[170:171], v[172:173] op_sel:[0,0,1] op_sel_hi:[1,1,0] neg_lo:[0,0,1] neg_hi:[0,0,1]
	v_pk_fma_f32 v[150:151], v[150:151], v[170:171], v[172:173] op_sel:[0,0,1] op_sel_hi:[1,0,0]
	s_wait_dscnt 0x0
	v_pk_mul_f32 v[162:163], v[168:169], v[162:163] op_sel:[0,1]
	v_pk_fma_f32 v[172:173], v[152:153], v[170:171], v[174:175] op_sel:[0,0,1] op_sel_hi:[1,1,0] neg_lo:[0,0,1] neg_hi:[0,0,1]
	v_pk_fma_f32 v[152:153], v[152:153], v[170:171], v[174:175] op_sel:[0,0,1] op_sel_hi:[1,0,0]
	v_pk_fma_f32 v[174:175], v[154:155], v[170:171], v[176:177] op_sel:[0,0,1] op_sel_hi:[1,1,0] neg_lo:[0,0,1] neg_hi:[0,0,1]
	v_pk_fma_f32 v[154:155], v[154:155], v[170:171], v[176:177] op_sel:[0,0,1] op_sel_hi:[1,0,0]
	v_pk_fma_f32 v[176:177], v[178:179], v[78:79], v[182:183] op_sel_hi:[1,1,0]
	v_pk_fma_f32 v[178:179], v[158:159], v[170:171], v[184:185] op_sel:[0,0,1] op_sel_hi:[1,1,0] neg_lo:[0,0,1] neg_hi:[0,0,1]
	v_pk_fma_f32 v[158:159], v[158:159], v[170:171], v[184:185] op_sel:[0,0,1] op_sel_hi:[1,0,0]
	v_dual_mov_b32 v189, v151 :: v_dual_mov_b32 v173, v153
	v_pk_fma_f32 v[150:151], v[160:161], v[170:171], v[186:187] op_sel:[0,0,1] op_sel_hi:[1,0,0]
	v_pk_fma_f32 v[152:153], v[168:169], v[170:171], v[162:163] op_sel:[0,0,1] op_sel_hi:[1,0,0]
	v_mov_b32_e32 v175, v155
	v_pk_fma_f32 v[154:155], v[160:161], v[170:171], v[186:187] op_sel:[0,0,1] op_sel_hi:[1,1,0] neg_lo:[0,0,1] neg_hi:[0,0,1]
	v_pk_fma_f32 v[156:157], v[156:157], v[78:79], v[180:181] op_sel_hi:[1,1,0] neg_lo:[0,0,1] neg_hi:[0,0,1]
	v_dual_mov_b32 v179, v159 :: v_dual_mov_b32 v155, v151
	v_pk_fma_f32 v[150:151], v[168:169], v[170:171], v[162:163] op_sel:[0,0,1] op_sel_hi:[1,1,0] neg_lo:[0,0,1] neg_hi:[0,0,1]
	v_dual_mov_b32 v157, v177 :: v_dual_mov_b32 v151, v153
	v_pk_add_f32 v[98:99], v[98:99], v[188:189] neg_lo:[0,1] neg_hi:[0,1]
	v_pk_add_f32 v[94:95], v[94:95], v[172:173] neg_lo:[0,1] neg_hi:[0,1]
	;; [unrolled: 1-line block ×3, first 2 shown]
	s_delay_alu instid0(VALU_DEP_4)
	v_pk_add_f32 v[104:105], v[104:105], v[156:157] neg_lo:[0,1] neg_hi:[0,1]
	v_pk_add_f32 v[102:103], v[102:103], v[178:179] neg_lo:[0,1] neg_hi:[0,1]
	;; [unrolled: 1-line block ×4, first 2 shown]
.LBB53_181:
	s_or_b32 exec_lo, exec_lo, s1
	s_delay_alu instid0(SALU_CYCLE_1)
	s_mov_b32 s2, exec_lo
	s_wait_dscnt 0x0
	s_barrier_signal -1
	s_barrier_wait -1
	v_cmpx_eq_u32_e32 20, v164
	s_cbranch_execz .LBB53_188
; %bb.182:
	ds_store_b64 v165, v[98:99]
	ds_store_2addr_b64 v166, v[94:95], v[96:97] offset0:21 offset1:22
	ds_store_2addr_b64 v166, v[104:105], v[102:103] offset0:23 offset1:24
	;; [unrolled: 1-line block ×3, first 2 shown]
	ds_load_b64 v[150:151], v165
	s_wait_dscnt 0x0
	v_cmp_neq_f32_e32 vcc_lo, 0, v150
	v_cmp_neq_f32_e64 s1, 0, v151
	s_or_b32 s1, vcc_lo, s1
	s_delay_alu instid0(SALU_CYCLE_1)
	s_and_b32 exec_lo, exec_lo, s1
	s_cbranch_execz .LBB53_188
; %bb.183:
	v_cmp_ngt_f32_e64 s1, |v150|, |v151|
                                        ; implicit-def: $vgpr152_vgpr153
	s_and_saveexec_b32 s4, s1
	s_delay_alu instid0(SALU_CYCLE_1)
	s_xor_b32 s1, exec_lo, s4
	s_cbranch_execz .LBB53_185
; %bb.184:
	v_div_scale_f32 v152, null, v151, v151, v150
	v_div_scale_f32 v155, vcc_lo, v150, v151, v150
	s_delay_alu instid0(VALU_DEP_2) | instskip(SKIP_1) | instid1(TRANS32_DEP_1)
	v_rcp_f32_e32 v153, v152
	v_nop
	v_fma_f32 v154, -v152, v153, 1.0
	s_delay_alu instid0(VALU_DEP_1) | instskip(NEXT) | instid1(VALU_DEP_1)
	v_fmac_f32_e32 v153, v154, v153
	v_mul_f32_e32 v154, v155, v153
	s_delay_alu instid0(VALU_DEP_1) | instskip(NEXT) | instid1(VALU_DEP_1)
	v_fma_f32 v156, -v152, v154, v155
	v_fmac_f32_e32 v154, v156, v153
	s_delay_alu instid0(VALU_DEP_1) | instskip(NEXT) | instid1(VALU_DEP_1)
	v_fma_f32 v152, -v152, v154, v155
	v_div_fmas_f32 v152, v152, v153, v154
	s_delay_alu instid0(VALU_DEP_1) | instskip(NEXT) | instid1(VALU_DEP_1)
	v_div_fixup_f32 v152, v152, v151, v150
	v_fmac_f32_e32 v151, v150, v152
	s_delay_alu instid0(VALU_DEP_1) | instskip(SKIP_1) | instid1(VALU_DEP_2)
	v_div_scale_f32 v150, null, v151, v151, 1.0
	v_div_scale_f32 v155, vcc_lo, 1.0, v151, 1.0
	v_rcp_f32_e32 v153, v150
	v_nop
	s_delay_alu instid0(TRANS32_DEP_1) | instskip(NEXT) | instid1(VALU_DEP_1)
	v_fma_f32 v154, -v150, v153, 1.0
	v_fmac_f32_e32 v153, v154, v153
	s_delay_alu instid0(VALU_DEP_1) | instskip(NEXT) | instid1(VALU_DEP_1)
	v_mul_f32_e32 v154, v155, v153
	v_fma_f32 v156, -v150, v154, v155
	s_delay_alu instid0(VALU_DEP_1) | instskip(NEXT) | instid1(VALU_DEP_1)
	v_fmac_f32_e32 v154, v156, v153
	v_fma_f32 v150, -v150, v154, v155
	s_delay_alu instid0(VALU_DEP_1) | instskip(NEXT) | instid1(VALU_DEP_1)
	v_div_fmas_f32 v150, v150, v153, v154
	v_div_fixup_f32 v150, v150, v151, 1.0
	s_delay_alu instid0(VALU_DEP_1)
	v_mul_f32_e32 v152, v152, v150
	v_xor_b32_e32 v153, 0x80000000, v150
                                        ; implicit-def: $vgpr150_vgpr151
.LBB53_185:
	s_and_not1_saveexec_b32 s1, s1
	s_cbranch_execz .LBB53_187
; %bb.186:
	v_div_scale_f32 v152, null, v150, v150, v151
	v_div_scale_f32 v155, vcc_lo, v151, v150, v151
	s_delay_alu instid0(VALU_DEP_2) | instskip(SKIP_1) | instid1(TRANS32_DEP_1)
	v_rcp_f32_e32 v153, v152
	v_nop
	v_fma_f32 v154, -v152, v153, 1.0
	s_delay_alu instid0(VALU_DEP_1) | instskip(NEXT) | instid1(VALU_DEP_1)
	v_fmac_f32_e32 v153, v154, v153
	v_mul_f32_e32 v154, v155, v153
	s_delay_alu instid0(VALU_DEP_1) | instskip(NEXT) | instid1(VALU_DEP_1)
	v_fma_f32 v156, -v152, v154, v155
	v_fmac_f32_e32 v154, v156, v153
	s_delay_alu instid0(VALU_DEP_1) | instskip(NEXT) | instid1(VALU_DEP_1)
	v_fma_f32 v152, -v152, v154, v155
	v_div_fmas_f32 v152, v152, v153, v154
	s_delay_alu instid0(VALU_DEP_1) | instskip(NEXT) | instid1(VALU_DEP_1)
	v_div_fixup_f32 v153, v152, v150, v151
	v_fmac_f32_e32 v150, v151, v153
	s_delay_alu instid0(VALU_DEP_1) | instskip(NEXT) | instid1(VALU_DEP_1)
	v_div_scale_f32 v151, null, v150, v150, 1.0
	v_rcp_f32_e32 v152, v151
	v_nop
	s_delay_alu instid0(TRANS32_DEP_1) | instskip(NEXT) | instid1(VALU_DEP_1)
	v_fma_f32 v154, -v151, v152, 1.0
	v_fmac_f32_e32 v152, v154, v152
	v_div_scale_f32 v154, vcc_lo, 1.0, v150, 1.0
	s_delay_alu instid0(VALU_DEP_1) | instskip(NEXT) | instid1(VALU_DEP_1)
	v_mul_f32_e32 v155, v154, v152
	v_fma_f32 v156, -v151, v155, v154
	s_delay_alu instid0(VALU_DEP_1) | instskip(NEXT) | instid1(VALU_DEP_1)
	v_fmac_f32_e32 v155, v156, v152
	v_fma_f32 v151, -v151, v155, v154
	s_delay_alu instid0(VALU_DEP_1) | instskip(NEXT) | instid1(VALU_DEP_1)
	v_div_fmas_f32 v151, v151, v152, v155
	v_div_fixup_f32 v152, v151, v150, 1.0
	s_delay_alu instid0(VALU_DEP_1)
	v_mul_f32_e64 v153, v153, -v152
.LBB53_187:
	s_or_b32 exec_lo, exec_lo, s1
	ds_store_b64 v165, v[152:153]
.LBB53_188:
	s_or_b32 exec_lo, exec_lo, s2
	s_wait_dscnt 0x0
	s_barrier_signal -1
	s_barrier_wait -1
	ds_load_b64 v[150:151], v165
	s_mov_b32 s1, exec_lo
	v_cmpx_lt_u32_e32 20, v164
	s_cbranch_execz .LBB53_190
; %bb.189:
	ds_load_2addr_b64 v[152:155], v166 offset0:21 offset1:22
	ds_load_2addr_b64 v[156:159], v166 offset0:23 offset1:24
	;; [unrolled: 1-line block ×3, first 2 shown]
	s_wait_dscnt 0x3
	v_pk_mul_f32 v[168:169], v[150:151], v[98:99] op_sel:[1,1] op_sel_hi:[0,1]
	s_delay_alu instid0(VALU_DEP_1) | instskip(SKIP_1) | instid1(VALU_DEP_1)
	v_pk_fma_f32 v[170:171], v[150:151], v[98:99], v[168:169] op_sel_hi:[1,0,1] neg_lo:[0,0,1] neg_hi:[0,0,1]
	v_pk_fma_f32 v[168:169], v[150:151], v[98:99], v[168:169] op_sel_hi:[1,0,1]
	v_dual_mov_b32 v98, v170 :: v_dual_mov_b32 v99, v169
	s_wait_dscnt 0x2
	s_delay_alu instid0(VALU_DEP_2)
	v_pk_mul_f32 v[172:173], v[152:153], v[168:169] op_sel:[0,1]
	v_pk_mul_f32 v[174:175], v[154:155], v[168:169] op_sel:[0,1]
	s_wait_dscnt 0x1
	v_pk_mul_f32 v[176:177], v[156:157], v[168:169] op_sel:[0,1]
	v_dual_mov_b32 v178, v159 :: v_dual_mov_b32 v179, v158
	v_dual_mul_f32 v180, v159, v169 :: v_dual_mul_f32 v182, v159, v170
	s_wait_dscnt 0x0
	v_pk_mul_f32 v[184:185], v[160:161], v[168:169] op_sel:[0,1]
	v_dual_mov_b32 v186, v163 :: v_dual_mov_b32 v187, v162
	v_dual_mul_f32 v168, v163, v169 :: v_dual_mul_f32 v188, v163, v170
	v_pk_fma_f32 v[190:191], v[152:153], v[170:171], v[172:173] op_sel:[0,0,1] op_sel_hi:[1,1,0] neg_lo:[0,0,1] neg_hi:[0,0,1]
	v_pk_fma_f32 v[152:153], v[152:153], v[170:171], v[172:173] op_sel:[0,0,1] op_sel_hi:[1,0,0]
	v_pk_fma_f32 v[172:173], v[154:155], v[170:171], v[174:175] op_sel:[0,0,1] op_sel_hi:[1,1,0] neg_lo:[0,0,1] neg_hi:[0,0,1]
	v_pk_fma_f32 v[154:155], v[154:155], v[170:171], v[174:175] op_sel:[0,0,1] op_sel_hi:[1,0,0]
	;; [unrolled: 2-line block ×3, first 2 shown]
	v_pk_fma_f32 v[176:177], v[178:179], v[98:99], v[182:183] op_sel_hi:[1,1,0]
	v_pk_fma_f32 v[178:179], v[160:161], v[170:171], v[184:185] op_sel:[0,0,1] op_sel_hi:[1,1,0] neg_lo:[0,0,1] neg_hi:[0,0,1]
	v_pk_fma_f32 v[160:161], v[160:161], v[170:171], v[184:185] op_sel:[0,0,1] op_sel_hi:[1,0,0]
	v_dual_mov_b32 v191, v153 :: v_dual_mov_b32 v173, v155
	v_pk_fma_f32 v[152:153], v[186:187], v[98:99], v[188:189] op_sel_hi:[1,1,0]
	v_pk_fma_f32 v[158:159], v[158:159], v[98:99], v[180:181] op_sel_hi:[1,1,0] neg_lo:[0,0,1] neg_hi:[0,0,1]
	v_pk_fma_f32 v[154:155], v[162:163], v[98:99], v[168:169] op_sel_hi:[1,1,0] neg_lo:[0,0,1] neg_hi:[0,0,1]
	v_dual_mov_b32 v175, v157 :: v_dual_mov_b32 v159, v177
	s_delay_alu instid0(VALU_DEP_4) | instskip(SKIP_2) | instid1(VALU_DEP_4)
	v_dual_mov_b32 v179, v161 :: v_dual_mov_b32 v155, v153
	v_pk_add_f32 v[94:95], v[94:95], v[190:191] neg_lo:[0,1] neg_hi:[0,1]
	v_pk_add_f32 v[96:97], v[96:97], v[172:173] neg_lo:[0,1] neg_hi:[0,1]
	;; [unrolled: 1-line block ×6, first 2 shown]
.LBB53_190:
	s_or_b32 exec_lo, exec_lo, s1
	s_delay_alu instid0(SALU_CYCLE_1)
	s_mov_b32 s2, exec_lo
	s_wait_dscnt 0x0
	s_barrier_signal -1
	s_barrier_wait -1
	v_cmpx_eq_u32_e32 21, v164
	s_cbranch_execz .LBB53_197
; %bb.191:
	v_dual_mov_b32 v152, v96 :: v_dual_mov_b32 v153, v97
	v_dual_mov_b32 v154, v104 :: v_dual_mov_b32 v155, v105
	;; [unrolled: 1-line block ×4, first 2 shown]
	ds_store_b64 v165, v[94:95]
	ds_store_2addr_b64 v166, v[152:153], v[154:155] offset0:22 offset1:23
	ds_store_2addr_b64 v166, v[156:157], v[158:159] offset0:24 offset1:25
	ds_store_b64 v166, v[108:109] offset:208
	ds_load_b64 v[152:153], v165
	s_wait_dscnt 0x0
	v_cmp_neq_f32_e32 vcc_lo, 0, v152
	v_cmp_neq_f32_e64 s1, 0, v153
	s_or_b32 s1, vcc_lo, s1
	s_delay_alu instid0(SALU_CYCLE_1)
	s_and_b32 exec_lo, exec_lo, s1
	s_cbranch_execz .LBB53_197
; %bb.192:
	v_cmp_ngt_f32_e64 s1, |v152|, |v153|
                                        ; implicit-def: $vgpr154_vgpr155
	s_and_saveexec_b32 s4, s1
	s_delay_alu instid0(SALU_CYCLE_1)
	s_xor_b32 s1, exec_lo, s4
	s_cbranch_execz .LBB53_194
; %bb.193:
	v_div_scale_f32 v154, null, v153, v153, v152
	v_div_scale_f32 v157, vcc_lo, v152, v153, v152
	s_delay_alu instid0(VALU_DEP_2) | instskip(SKIP_1) | instid1(TRANS32_DEP_1)
	v_rcp_f32_e32 v155, v154
	v_nop
	v_fma_f32 v156, -v154, v155, 1.0
	s_delay_alu instid0(VALU_DEP_1) | instskip(NEXT) | instid1(VALU_DEP_1)
	v_fmac_f32_e32 v155, v156, v155
	v_mul_f32_e32 v156, v157, v155
	s_delay_alu instid0(VALU_DEP_1) | instskip(NEXT) | instid1(VALU_DEP_1)
	v_fma_f32 v158, -v154, v156, v157
	v_fmac_f32_e32 v156, v158, v155
	s_delay_alu instid0(VALU_DEP_1) | instskip(NEXT) | instid1(VALU_DEP_1)
	v_fma_f32 v154, -v154, v156, v157
	v_div_fmas_f32 v154, v154, v155, v156
	s_delay_alu instid0(VALU_DEP_1) | instskip(NEXT) | instid1(VALU_DEP_1)
	v_div_fixup_f32 v154, v154, v153, v152
	v_fmac_f32_e32 v153, v152, v154
	s_delay_alu instid0(VALU_DEP_1) | instskip(SKIP_1) | instid1(VALU_DEP_2)
	v_div_scale_f32 v152, null, v153, v153, 1.0
	v_div_scale_f32 v157, vcc_lo, 1.0, v153, 1.0
	v_rcp_f32_e32 v155, v152
	v_nop
	s_delay_alu instid0(TRANS32_DEP_1) | instskip(NEXT) | instid1(VALU_DEP_1)
	v_fma_f32 v156, -v152, v155, 1.0
	v_fmac_f32_e32 v155, v156, v155
	s_delay_alu instid0(VALU_DEP_1) | instskip(NEXT) | instid1(VALU_DEP_1)
	v_mul_f32_e32 v156, v157, v155
	v_fma_f32 v158, -v152, v156, v157
	s_delay_alu instid0(VALU_DEP_1) | instskip(NEXT) | instid1(VALU_DEP_1)
	v_fmac_f32_e32 v156, v158, v155
	v_fma_f32 v152, -v152, v156, v157
	s_delay_alu instid0(VALU_DEP_1) | instskip(NEXT) | instid1(VALU_DEP_1)
	v_div_fmas_f32 v152, v152, v155, v156
	v_div_fixup_f32 v152, v152, v153, 1.0
	s_delay_alu instid0(VALU_DEP_1)
	v_mul_f32_e32 v154, v154, v152
	v_xor_b32_e32 v155, 0x80000000, v152
                                        ; implicit-def: $vgpr152_vgpr153
.LBB53_194:
	s_and_not1_saveexec_b32 s1, s1
	s_cbranch_execz .LBB53_196
; %bb.195:
	v_div_scale_f32 v154, null, v152, v152, v153
	v_div_scale_f32 v157, vcc_lo, v153, v152, v153
	s_delay_alu instid0(VALU_DEP_2) | instskip(SKIP_1) | instid1(TRANS32_DEP_1)
	v_rcp_f32_e32 v155, v154
	v_nop
	v_fma_f32 v156, -v154, v155, 1.0
	s_delay_alu instid0(VALU_DEP_1) | instskip(NEXT) | instid1(VALU_DEP_1)
	v_fmac_f32_e32 v155, v156, v155
	v_mul_f32_e32 v156, v157, v155
	s_delay_alu instid0(VALU_DEP_1) | instskip(NEXT) | instid1(VALU_DEP_1)
	v_fma_f32 v158, -v154, v156, v157
	v_fmac_f32_e32 v156, v158, v155
	s_delay_alu instid0(VALU_DEP_1) | instskip(NEXT) | instid1(VALU_DEP_1)
	v_fma_f32 v154, -v154, v156, v157
	v_div_fmas_f32 v154, v154, v155, v156
	s_delay_alu instid0(VALU_DEP_1) | instskip(NEXT) | instid1(VALU_DEP_1)
	v_div_fixup_f32 v155, v154, v152, v153
	v_fmac_f32_e32 v152, v153, v155
	s_delay_alu instid0(VALU_DEP_1) | instskip(NEXT) | instid1(VALU_DEP_1)
	v_div_scale_f32 v153, null, v152, v152, 1.0
	v_rcp_f32_e32 v154, v153
	v_nop
	s_delay_alu instid0(TRANS32_DEP_1) | instskip(NEXT) | instid1(VALU_DEP_1)
	v_fma_f32 v156, -v153, v154, 1.0
	v_fmac_f32_e32 v154, v156, v154
	v_div_scale_f32 v156, vcc_lo, 1.0, v152, 1.0
	s_delay_alu instid0(VALU_DEP_1) | instskip(NEXT) | instid1(VALU_DEP_1)
	v_mul_f32_e32 v157, v156, v154
	v_fma_f32 v158, -v153, v157, v156
	s_delay_alu instid0(VALU_DEP_1) | instskip(NEXT) | instid1(VALU_DEP_1)
	v_fmac_f32_e32 v157, v158, v154
	v_fma_f32 v153, -v153, v157, v156
	s_delay_alu instid0(VALU_DEP_1) | instskip(NEXT) | instid1(VALU_DEP_1)
	v_div_fmas_f32 v153, v153, v154, v157
	v_div_fixup_f32 v154, v153, v152, 1.0
	s_delay_alu instid0(VALU_DEP_1)
	v_mul_f32_e64 v155, v155, -v154
.LBB53_196:
	s_or_b32 exec_lo, exec_lo, s1
	ds_store_b64 v165, v[154:155]
.LBB53_197:
	s_or_b32 exec_lo, exec_lo, s2
	s_wait_dscnt 0x0
	s_barrier_signal -1
	s_barrier_wait -1
	ds_load_b64 v[152:153], v165
	s_mov_b32 s1, exec_lo
	v_cmpx_lt_u32_e32 21, v164
	s_cbranch_execz .LBB53_199
; %bb.198:
	ds_load_2addr_b64 v[154:157], v166 offset0:22 offset1:23
	ds_load_2addr_b64 v[158:161], v166 offset0:24 offset1:25
	ds_load_b64 v[162:163], v166 offset:208
	s_wait_dscnt 0x3
	v_pk_mul_f32 v[168:169], v[152:153], v[94:95] op_sel:[1,1] op_sel_hi:[0,1]
	s_delay_alu instid0(VALU_DEP_1) | instskip(SKIP_1) | instid1(VALU_DEP_1)
	v_pk_fma_f32 v[170:171], v[152:153], v[94:95], v[168:169] op_sel_hi:[1,0,1] neg_lo:[0,0,1] neg_hi:[0,0,1]
	v_pk_fma_f32 v[168:169], v[152:153], v[94:95], v[168:169] op_sel_hi:[1,0,1]
	v_dual_mov_b32 v94, v170 :: v_dual_mov_b32 v95, v169
	s_wait_dscnt 0x2
	s_delay_alu instid0(VALU_DEP_2)
	v_pk_mul_f32 v[172:173], v[154:155], v[168:169] op_sel:[0,1]
	v_pk_mul_f32 v[174:175], v[156:157], v[168:169] op_sel:[0,1]
	s_wait_dscnt 0x1
	v_pk_mul_f32 v[176:177], v[158:159], v[168:169] op_sel:[0,1]
	v_dual_mov_b32 v178, v161 :: v_dual_mov_b32 v179, v160
	v_dual_mul_f32 v180, v161, v169 :: v_dual_mul_f32 v182, v161, v170
	s_wait_dscnt 0x0
	v_pk_mul_f32 v[168:169], v[162:163], v[168:169] op_sel:[0,1]
	v_pk_fma_f32 v[184:185], v[154:155], v[170:171], v[172:173] op_sel:[0,0,1] op_sel_hi:[1,1,0] neg_lo:[0,0,1] neg_hi:[0,0,1]
	v_pk_fma_f32 v[154:155], v[154:155], v[170:171], v[172:173] op_sel:[0,0,1] op_sel_hi:[1,0,0]
	v_pk_fma_f32 v[172:173], v[156:157], v[170:171], v[174:175] op_sel:[0,0,1] op_sel_hi:[1,1,0] neg_lo:[0,0,1] neg_hi:[0,0,1]
	v_pk_fma_f32 v[156:157], v[156:157], v[170:171], v[174:175] op_sel:[0,0,1] op_sel_hi:[1,0,0]
	;; [unrolled: 2-line block ×3, first 2 shown]
	v_pk_fma_f32 v[176:177], v[178:179], v[94:95], v[182:183] op_sel_hi:[1,1,0]
	v_pk_fma_f32 v[178:179], v[162:163], v[170:171], v[168:169] op_sel:[0,0,1] op_sel_hi:[1,1,0] neg_lo:[0,0,1] neg_hi:[0,0,1]
	v_pk_fma_f32 v[162:163], v[162:163], v[170:171], v[168:169] op_sel:[0,0,1] op_sel_hi:[1,0,0]
	v_pk_fma_f32 v[160:161], v[160:161], v[94:95], v[180:181] op_sel_hi:[1,1,0] neg_lo:[0,0,1] neg_hi:[0,0,1]
	v_dual_mov_b32 v185, v155 :: v_dual_mov_b32 v173, v157
	v_dual_mov_b32 v175, v159 :: v_dual_mov_b32 v161, v177
	s_delay_alu instid0(VALU_DEP_4) | instskip(NEXT) | instid1(VALU_DEP_3)
	v_mov_b32_e32 v179, v163
	v_pk_add_f32 v[96:97], v[96:97], v[184:185] neg_lo:[0,1] neg_hi:[0,1]
	s_delay_alu instid0(VALU_DEP_4) | instskip(NEXT) | instid1(VALU_DEP_4)
	v_pk_add_f32 v[104:105], v[104:105], v[172:173] neg_lo:[0,1] neg_hi:[0,1]
	v_pk_add_f32 v[102:103], v[102:103], v[174:175] neg_lo:[0,1] neg_hi:[0,1]
	;; [unrolled: 1-line block ×4, first 2 shown]
.LBB53_199:
	s_or_b32 exec_lo, exec_lo, s1
	s_delay_alu instid0(SALU_CYCLE_1)
	s_mov_b32 s2, exec_lo
	s_wait_dscnt 0x0
	s_barrier_signal -1
	s_barrier_wait -1
	v_cmpx_eq_u32_e32 22, v164
	s_cbranch_execz .LBB53_206
; %bb.200:
	ds_store_b64 v165, v[96:97]
	ds_store_2addr_b64 v166, v[104:105], v[102:103] offset0:23 offset1:24
	ds_store_2addr_b64 v166, v[100:101], v[108:109] offset0:25 offset1:26
	ds_load_b64 v[154:155], v165
	s_wait_dscnt 0x0
	v_cmp_neq_f32_e32 vcc_lo, 0, v154
	v_cmp_neq_f32_e64 s1, 0, v155
	s_or_b32 s1, vcc_lo, s1
	s_delay_alu instid0(SALU_CYCLE_1)
	s_and_b32 exec_lo, exec_lo, s1
	s_cbranch_execz .LBB53_206
; %bb.201:
	v_cmp_ngt_f32_e64 s1, |v154|, |v155|
                                        ; implicit-def: $vgpr156_vgpr157
	s_and_saveexec_b32 s4, s1
	s_delay_alu instid0(SALU_CYCLE_1)
	s_xor_b32 s1, exec_lo, s4
	s_cbranch_execz .LBB53_203
; %bb.202:
	v_div_scale_f32 v156, null, v155, v155, v154
	v_div_scale_f32 v159, vcc_lo, v154, v155, v154
	s_delay_alu instid0(VALU_DEP_2) | instskip(SKIP_1) | instid1(TRANS32_DEP_1)
	v_rcp_f32_e32 v157, v156
	v_nop
	v_fma_f32 v158, -v156, v157, 1.0
	s_delay_alu instid0(VALU_DEP_1) | instskip(NEXT) | instid1(VALU_DEP_1)
	v_fmac_f32_e32 v157, v158, v157
	v_mul_f32_e32 v158, v159, v157
	s_delay_alu instid0(VALU_DEP_1) | instskip(NEXT) | instid1(VALU_DEP_1)
	v_fma_f32 v160, -v156, v158, v159
	v_fmac_f32_e32 v158, v160, v157
	s_delay_alu instid0(VALU_DEP_1) | instskip(NEXT) | instid1(VALU_DEP_1)
	v_fma_f32 v156, -v156, v158, v159
	v_div_fmas_f32 v156, v156, v157, v158
	s_delay_alu instid0(VALU_DEP_1) | instskip(NEXT) | instid1(VALU_DEP_1)
	v_div_fixup_f32 v156, v156, v155, v154
	v_fmac_f32_e32 v155, v154, v156
	s_delay_alu instid0(VALU_DEP_1) | instskip(SKIP_1) | instid1(VALU_DEP_2)
	v_div_scale_f32 v154, null, v155, v155, 1.0
	v_div_scale_f32 v159, vcc_lo, 1.0, v155, 1.0
	v_rcp_f32_e32 v157, v154
	v_nop
	s_delay_alu instid0(TRANS32_DEP_1) | instskip(NEXT) | instid1(VALU_DEP_1)
	v_fma_f32 v158, -v154, v157, 1.0
	v_fmac_f32_e32 v157, v158, v157
	s_delay_alu instid0(VALU_DEP_1) | instskip(NEXT) | instid1(VALU_DEP_1)
	v_mul_f32_e32 v158, v159, v157
	v_fma_f32 v160, -v154, v158, v159
	s_delay_alu instid0(VALU_DEP_1) | instskip(NEXT) | instid1(VALU_DEP_1)
	v_fmac_f32_e32 v158, v160, v157
	v_fma_f32 v154, -v154, v158, v159
	s_delay_alu instid0(VALU_DEP_1) | instskip(NEXT) | instid1(VALU_DEP_1)
	v_div_fmas_f32 v154, v154, v157, v158
	v_div_fixup_f32 v154, v154, v155, 1.0
	s_delay_alu instid0(VALU_DEP_1)
	v_mul_f32_e32 v156, v156, v154
	v_xor_b32_e32 v157, 0x80000000, v154
                                        ; implicit-def: $vgpr154_vgpr155
.LBB53_203:
	s_and_not1_saveexec_b32 s1, s1
	s_cbranch_execz .LBB53_205
; %bb.204:
	v_div_scale_f32 v156, null, v154, v154, v155
	v_div_scale_f32 v159, vcc_lo, v155, v154, v155
	s_delay_alu instid0(VALU_DEP_2) | instskip(SKIP_1) | instid1(TRANS32_DEP_1)
	v_rcp_f32_e32 v157, v156
	v_nop
	v_fma_f32 v158, -v156, v157, 1.0
	s_delay_alu instid0(VALU_DEP_1) | instskip(NEXT) | instid1(VALU_DEP_1)
	v_fmac_f32_e32 v157, v158, v157
	v_mul_f32_e32 v158, v159, v157
	s_delay_alu instid0(VALU_DEP_1) | instskip(NEXT) | instid1(VALU_DEP_1)
	v_fma_f32 v160, -v156, v158, v159
	v_fmac_f32_e32 v158, v160, v157
	s_delay_alu instid0(VALU_DEP_1) | instskip(NEXT) | instid1(VALU_DEP_1)
	v_fma_f32 v156, -v156, v158, v159
	v_div_fmas_f32 v156, v156, v157, v158
	s_delay_alu instid0(VALU_DEP_1) | instskip(NEXT) | instid1(VALU_DEP_1)
	v_div_fixup_f32 v157, v156, v154, v155
	v_fmac_f32_e32 v154, v155, v157
	s_delay_alu instid0(VALU_DEP_1) | instskip(NEXT) | instid1(VALU_DEP_1)
	v_div_scale_f32 v155, null, v154, v154, 1.0
	v_rcp_f32_e32 v156, v155
	v_nop
	s_delay_alu instid0(TRANS32_DEP_1) | instskip(NEXT) | instid1(VALU_DEP_1)
	v_fma_f32 v158, -v155, v156, 1.0
	v_fmac_f32_e32 v156, v158, v156
	v_div_scale_f32 v158, vcc_lo, 1.0, v154, 1.0
	s_delay_alu instid0(VALU_DEP_1) | instskip(NEXT) | instid1(VALU_DEP_1)
	v_mul_f32_e32 v159, v158, v156
	v_fma_f32 v160, -v155, v159, v158
	s_delay_alu instid0(VALU_DEP_1) | instskip(NEXT) | instid1(VALU_DEP_1)
	v_fmac_f32_e32 v159, v160, v156
	v_fma_f32 v155, -v155, v159, v158
	s_delay_alu instid0(VALU_DEP_1) | instskip(NEXT) | instid1(VALU_DEP_1)
	v_div_fmas_f32 v155, v155, v156, v159
	v_div_fixup_f32 v156, v155, v154, 1.0
	s_delay_alu instid0(VALU_DEP_1)
	v_mul_f32_e64 v157, v157, -v156
.LBB53_205:
	s_or_b32 exec_lo, exec_lo, s1
	ds_store_b64 v165, v[156:157]
.LBB53_206:
	s_or_b32 exec_lo, exec_lo, s2
	s_wait_dscnt 0x0
	s_barrier_signal -1
	s_barrier_wait -1
	ds_load_b64 v[154:155], v165
	s_mov_b32 s1, exec_lo
	v_cmpx_lt_u32_e32 22, v164
	s_cbranch_execz .LBB53_208
; %bb.207:
	ds_load_2addr_b64 v[156:159], v166 offset0:23 offset1:24
	ds_load_2addr_b64 v[160:163], v166 offset0:25 offset1:26
	s_wait_dscnt 0x2
	v_pk_mul_f32 v[168:169], v[154:155], v[96:97] op_sel:[1,1] op_sel_hi:[0,1]
	s_delay_alu instid0(VALU_DEP_1) | instskip(SKIP_1) | instid1(VALU_DEP_1)
	v_pk_fma_f32 v[170:171], v[154:155], v[96:97], v[168:169] op_sel_hi:[1,0,1] neg_lo:[0,0,1] neg_hi:[0,0,1]
	v_pk_fma_f32 v[168:169], v[154:155], v[96:97], v[168:169] op_sel_hi:[1,0,1]
	v_dual_mov_b32 v96, v170 :: v_dual_mov_b32 v97, v169
	s_wait_dscnt 0x1
	s_delay_alu instid0(VALU_DEP_2)
	v_pk_mul_f32 v[172:173], v[156:157], v[168:169] op_sel:[0,1]
	s_wait_dscnt 0x0
	v_mov_b32_e32 v174, v163
	v_pk_mul_f32 v[176:177], v[158:159], v[168:169] op_sel:[0,1]
	v_pk_mul_f32 v[178:179], v[160:161], v[168:169] op_sel:[0,1]
	v_pk_fma_f32 v[180:181], v[156:157], v[170:171], v[172:173] op_sel:[0,0,1] op_sel_hi:[1,1,0] neg_lo:[0,0,1] neg_hi:[0,0,1]
	v_pk_fma_f32 v[156:157], v[156:157], v[170:171], v[172:173] op_sel:[0,0,1] op_sel_hi:[1,0,0]
	s_delay_alu instid0(VALU_DEP_1) | instskip(NEXT) | instid1(VALU_DEP_1)
	v_dual_mov_b32 v175, v162 :: v_dual_mov_b32 v181, v157
	v_pk_mul_f32 v[172:173], v[174:175], v[168:169] op_sel:[0,1]
	v_pk_fma_f32 v[174:175], v[158:159], v[170:171], v[176:177] op_sel:[0,0,1] op_sel_hi:[1,0,0]
	v_pk_fma_f32 v[158:159], v[158:159], v[170:171], v[176:177] op_sel:[0,0,1] op_sel_hi:[1,1,0] neg_lo:[0,0,1] neg_hi:[0,0,1]
	v_pk_fma_f32 v[176:177], v[160:161], v[170:171], v[178:179] op_sel:[0,0,1] op_sel_hi:[1,0,0]
	v_pk_fma_f32 v[160:161], v[160:161], v[170:171], v[178:179] op_sel:[0,0,1] op_sel_hi:[1,1,0] neg_lo:[0,0,1] neg_hi:[0,0,1]
	v_pk_fma_f32 v[156:157], v[162:163], v[170:171], v[172:173] op_sel_hi:[1,0,1]
	v_pk_fma_f32 v[162:163], v[162:163], v[170:171], v[172:173] neg_lo:[0,0,1] neg_hi:[0,0,1]
	s_delay_alu instid0(VALU_DEP_4) | instskip(SKIP_1) | instid1(VALU_DEP_4)
	v_dual_mov_b32 v159, v175 :: v_dual_mov_b32 v161, v177
	v_pk_add_f32 v[104:105], v[104:105], v[180:181] neg_lo:[0,1] neg_hi:[0,1]
	v_mov_b32_e32 v163, v157
	s_delay_alu instid0(VALU_DEP_3) | instskip(NEXT) | instid1(VALU_DEP_4)
	v_pk_add_f32 v[102:103], v[102:103], v[158:159] neg_lo:[0,1] neg_hi:[0,1]
	v_pk_add_f32 v[100:101], v[100:101], v[160:161] neg_lo:[0,1] neg_hi:[0,1]
	s_delay_alu instid0(VALU_DEP_3)
	v_pk_add_f32 v[108:109], v[108:109], v[162:163] neg_lo:[0,1] neg_hi:[0,1]
.LBB53_208:
	s_or_b32 exec_lo, exec_lo, s1
	s_delay_alu instid0(SALU_CYCLE_1)
	s_mov_b32 s2, exec_lo
	s_wait_dscnt 0x0
	s_barrier_signal -1
	s_barrier_wait -1
	v_cmpx_eq_u32_e32 23, v164
	s_cbranch_execz .LBB53_215
; %bb.209:
	v_dual_mov_b32 v156, v102 :: v_dual_mov_b32 v157, v103
	v_dual_mov_b32 v158, v100 :: v_dual_mov_b32 v159, v101
	ds_store_b64 v165, v[104:105]
	ds_store_2addr_b64 v166, v[156:157], v[158:159] offset0:24 offset1:25
	ds_store_b64 v166, v[108:109] offset:208
	ds_load_b64 v[156:157], v165
	s_wait_dscnt 0x0
	v_cmp_neq_f32_e32 vcc_lo, 0, v156
	v_cmp_neq_f32_e64 s1, 0, v157
	s_or_b32 s1, vcc_lo, s1
	s_delay_alu instid0(SALU_CYCLE_1)
	s_and_b32 exec_lo, exec_lo, s1
	s_cbranch_execz .LBB53_215
; %bb.210:
	v_cmp_ngt_f32_e64 s1, |v156|, |v157|
                                        ; implicit-def: $vgpr158_vgpr159
	s_and_saveexec_b32 s4, s1
	s_delay_alu instid0(SALU_CYCLE_1)
	s_xor_b32 s1, exec_lo, s4
	s_cbranch_execz .LBB53_212
; %bb.211:
	v_div_scale_f32 v158, null, v157, v157, v156
	v_div_scale_f32 v161, vcc_lo, v156, v157, v156
	s_delay_alu instid0(VALU_DEP_2) | instskip(SKIP_1) | instid1(TRANS32_DEP_1)
	v_rcp_f32_e32 v159, v158
	v_nop
	v_fma_f32 v160, -v158, v159, 1.0
	s_delay_alu instid0(VALU_DEP_1) | instskip(NEXT) | instid1(VALU_DEP_1)
	v_fmac_f32_e32 v159, v160, v159
	v_mul_f32_e32 v160, v161, v159
	s_delay_alu instid0(VALU_DEP_1) | instskip(NEXT) | instid1(VALU_DEP_1)
	v_fma_f32 v162, -v158, v160, v161
	v_fmac_f32_e32 v160, v162, v159
	s_delay_alu instid0(VALU_DEP_1) | instskip(NEXT) | instid1(VALU_DEP_1)
	v_fma_f32 v158, -v158, v160, v161
	v_div_fmas_f32 v158, v158, v159, v160
	s_delay_alu instid0(VALU_DEP_1) | instskip(NEXT) | instid1(VALU_DEP_1)
	v_div_fixup_f32 v158, v158, v157, v156
	v_fmac_f32_e32 v157, v156, v158
	s_delay_alu instid0(VALU_DEP_1) | instskip(SKIP_1) | instid1(VALU_DEP_2)
	v_div_scale_f32 v156, null, v157, v157, 1.0
	v_div_scale_f32 v161, vcc_lo, 1.0, v157, 1.0
	v_rcp_f32_e32 v159, v156
	v_nop
	s_delay_alu instid0(TRANS32_DEP_1) | instskip(NEXT) | instid1(VALU_DEP_1)
	v_fma_f32 v160, -v156, v159, 1.0
	v_fmac_f32_e32 v159, v160, v159
	s_delay_alu instid0(VALU_DEP_1) | instskip(NEXT) | instid1(VALU_DEP_1)
	v_mul_f32_e32 v160, v161, v159
	v_fma_f32 v162, -v156, v160, v161
	s_delay_alu instid0(VALU_DEP_1) | instskip(NEXT) | instid1(VALU_DEP_1)
	v_fmac_f32_e32 v160, v162, v159
	v_fma_f32 v156, -v156, v160, v161
	s_delay_alu instid0(VALU_DEP_1) | instskip(NEXT) | instid1(VALU_DEP_1)
	v_div_fmas_f32 v156, v156, v159, v160
	v_div_fixup_f32 v156, v156, v157, 1.0
	s_delay_alu instid0(VALU_DEP_1)
	v_mul_f32_e32 v158, v158, v156
	v_xor_b32_e32 v159, 0x80000000, v156
                                        ; implicit-def: $vgpr156_vgpr157
.LBB53_212:
	s_and_not1_saveexec_b32 s1, s1
	s_cbranch_execz .LBB53_214
; %bb.213:
	v_div_scale_f32 v158, null, v156, v156, v157
	v_div_scale_f32 v161, vcc_lo, v157, v156, v157
	s_delay_alu instid0(VALU_DEP_2) | instskip(SKIP_1) | instid1(TRANS32_DEP_1)
	v_rcp_f32_e32 v159, v158
	v_nop
	v_fma_f32 v160, -v158, v159, 1.0
	s_delay_alu instid0(VALU_DEP_1) | instskip(NEXT) | instid1(VALU_DEP_1)
	v_fmac_f32_e32 v159, v160, v159
	v_mul_f32_e32 v160, v161, v159
	s_delay_alu instid0(VALU_DEP_1) | instskip(NEXT) | instid1(VALU_DEP_1)
	v_fma_f32 v162, -v158, v160, v161
	v_fmac_f32_e32 v160, v162, v159
	s_delay_alu instid0(VALU_DEP_1) | instskip(NEXT) | instid1(VALU_DEP_1)
	v_fma_f32 v158, -v158, v160, v161
	v_div_fmas_f32 v158, v158, v159, v160
	s_delay_alu instid0(VALU_DEP_1) | instskip(NEXT) | instid1(VALU_DEP_1)
	v_div_fixup_f32 v159, v158, v156, v157
	v_fmac_f32_e32 v156, v157, v159
	s_delay_alu instid0(VALU_DEP_1) | instskip(NEXT) | instid1(VALU_DEP_1)
	v_div_scale_f32 v157, null, v156, v156, 1.0
	v_rcp_f32_e32 v158, v157
	v_nop
	s_delay_alu instid0(TRANS32_DEP_1) | instskip(NEXT) | instid1(VALU_DEP_1)
	v_fma_f32 v160, -v157, v158, 1.0
	v_fmac_f32_e32 v158, v160, v158
	v_div_scale_f32 v160, vcc_lo, 1.0, v156, 1.0
	s_delay_alu instid0(VALU_DEP_1) | instskip(NEXT) | instid1(VALU_DEP_1)
	v_mul_f32_e32 v161, v160, v158
	v_fma_f32 v162, -v157, v161, v160
	s_delay_alu instid0(VALU_DEP_1) | instskip(NEXT) | instid1(VALU_DEP_1)
	v_fmac_f32_e32 v161, v162, v158
	v_fma_f32 v157, -v157, v161, v160
	s_delay_alu instid0(VALU_DEP_1) | instskip(NEXT) | instid1(VALU_DEP_1)
	v_div_fmas_f32 v157, v157, v158, v161
	v_div_fixup_f32 v158, v157, v156, 1.0
	s_delay_alu instid0(VALU_DEP_1)
	v_mul_f32_e64 v159, v159, -v158
.LBB53_214:
	s_or_b32 exec_lo, exec_lo, s1
	ds_store_b64 v165, v[158:159]
.LBB53_215:
	s_or_b32 exec_lo, exec_lo, s2
	s_wait_dscnt 0x0
	s_barrier_signal -1
	s_barrier_wait -1
	ds_load_b64 v[156:157], v165
	s_mov_b32 s1, exec_lo
	v_cmpx_lt_u32_e32 23, v164
	s_cbranch_execz .LBB53_217
; %bb.216:
	ds_load_2addr_b64 v[158:161], v166 offset0:24 offset1:25
	ds_load_b64 v[162:163], v166 offset:208
	s_wait_dscnt 0x2
	v_pk_mul_f32 v[168:169], v[156:157], v[104:105] op_sel:[1,1] op_sel_hi:[0,1]
	s_delay_alu instid0(VALU_DEP_1) | instskip(SKIP_2) | instid1(VALU_DEP_2)
	v_pk_fma_f32 v[170:171], v[156:157], v[104:105], v[168:169] op_sel_hi:[1,0,1]
	v_pk_fma_f32 v[104:105], v[156:157], v[104:105], v[168:169] op_sel_hi:[1,0,1] neg_lo:[0,0,1] neg_hi:[0,0,1]
	s_wait_dscnt 0x1
	v_pk_mul_f32 v[168:169], v[158:159], v[170:171] op_sel:[0,1]
	v_pk_mul_f32 v[172:173], v[160:161], v[170:171] op_sel:[0,1]
	s_wait_dscnt 0x0
	v_pk_mul_f32 v[174:175], v[162:163], v[170:171] op_sel:[1,1] op_sel_hi:[0,1]
	s_delay_alu instid0(VALU_DEP_3) | instskip(SKIP_2) | instid1(VALU_DEP_4)
	v_pk_fma_f32 v[176:177], v[158:159], v[104:105], v[168:169] op_sel:[0,0,1] op_sel_hi:[1,1,0] neg_lo:[0,0,1] neg_hi:[0,0,1]
	v_pk_fma_f32 v[158:159], v[158:159], v[104:105], v[168:169] op_sel:[0,0,1] op_sel_hi:[1,0,0]
	v_pk_fma_f32 v[168:169], v[160:161], v[104:105], v[172:173] op_sel:[0,0,1] op_sel_hi:[1,0,0]
	v_pk_fma_f32 v[178:179], v[162:163], v[104:105], v[174:175] op_sel_hi:[1,0,1]
	v_pk_fma_f32 v[160:161], v[160:161], v[104:105], v[172:173] op_sel:[0,0,1] op_sel_hi:[1,1,0] neg_lo:[0,0,1] neg_hi:[0,0,1]
	v_pk_fma_f32 v[162:163], v[162:163], v[104:105], v[174:175] neg_lo:[0,0,1] neg_hi:[0,0,1]
	s_delay_alu instid0(VALU_DEP_4) | instskip(NEXT) | instid1(VALU_DEP_4)
	v_dual_mov_b32 v177, v159 :: v_dual_mov_b32 v161, v169
	v_dual_mov_b32 v163, v179 :: v_dual_mov_b32 v105, v171
	s_delay_alu instid0(VALU_DEP_2) | instskip(NEXT) | instid1(VALU_DEP_3)
	v_pk_add_f32 v[102:103], v[102:103], v[176:177] neg_lo:[0,1] neg_hi:[0,1]
	v_pk_add_f32 v[100:101], v[100:101], v[160:161] neg_lo:[0,1] neg_hi:[0,1]
	s_delay_alu instid0(VALU_DEP_3)
	v_pk_add_f32 v[108:109], v[108:109], v[162:163] neg_lo:[0,1] neg_hi:[0,1]
.LBB53_217:
	s_or_b32 exec_lo, exec_lo, s1
	s_delay_alu instid0(SALU_CYCLE_1)
	s_mov_b32 s2, exec_lo
	s_wait_dscnt 0x0
	s_barrier_signal -1
	s_barrier_wait -1
	v_cmpx_eq_u32_e32 24, v164
	s_cbranch_execz .LBB53_224
; %bb.218:
	ds_store_b64 v165, v[102:103]
	ds_store_2addr_b64 v166, v[100:101], v[108:109] offset0:25 offset1:26
	ds_load_b64 v[158:159], v165
	s_wait_dscnt 0x0
	v_cmp_neq_f32_e32 vcc_lo, 0, v158
	v_cmp_neq_f32_e64 s1, 0, v159
	s_or_b32 s1, vcc_lo, s1
	s_delay_alu instid0(SALU_CYCLE_1)
	s_and_b32 exec_lo, exec_lo, s1
	s_cbranch_execz .LBB53_224
; %bb.219:
	v_cmp_ngt_f32_e64 s1, |v158|, |v159|
                                        ; implicit-def: $vgpr160_vgpr161
	s_and_saveexec_b32 s4, s1
	s_delay_alu instid0(SALU_CYCLE_1)
	s_xor_b32 s1, exec_lo, s4
	s_cbranch_execz .LBB53_221
; %bb.220:
	v_div_scale_f32 v160, null, v159, v159, v158
	v_div_scale_f32 v163, vcc_lo, v158, v159, v158
	s_delay_alu instid0(VALU_DEP_2) | instskip(SKIP_1) | instid1(TRANS32_DEP_1)
	v_rcp_f32_e32 v161, v160
	v_nop
	v_fma_f32 v162, -v160, v161, 1.0
	s_delay_alu instid0(VALU_DEP_1) | instskip(NEXT) | instid1(VALU_DEP_1)
	v_fmac_f32_e32 v161, v162, v161
	v_mul_f32_e32 v162, v163, v161
	s_delay_alu instid0(VALU_DEP_1) | instskip(NEXT) | instid1(VALU_DEP_1)
	v_fma_f32 v167, -v160, v162, v163
	v_fmac_f32_e32 v162, v167, v161
	s_delay_alu instid0(VALU_DEP_1) | instskip(NEXT) | instid1(VALU_DEP_1)
	v_fma_f32 v160, -v160, v162, v163
	v_div_fmas_f32 v160, v160, v161, v162
	s_delay_alu instid0(VALU_DEP_1) | instskip(NEXT) | instid1(VALU_DEP_1)
	v_div_fixup_f32 v160, v160, v159, v158
	v_fmac_f32_e32 v159, v158, v160
	s_delay_alu instid0(VALU_DEP_1) | instskip(SKIP_1) | instid1(VALU_DEP_2)
	v_div_scale_f32 v158, null, v159, v159, 1.0
	v_div_scale_f32 v163, vcc_lo, 1.0, v159, 1.0
	v_rcp_f32_e32 v161, v158
	v_nop
	s_delay_alu instid0(TRANS32_DEP_1) | instskip(NEXT) | instid1(VALU_DEP_1)
	v_fma_f32 v162, -v158, v161, 1.0
	v_fmac_f32_e32 v161, v162, v161
	s_delay_alu instid0(VALU_DEP_1) | instskip(NEXT) | instid1(VALU_DEP_1)
	v_mul_f32_e32 v162, v163, v161
	v_fma_f32 v167, -v158, v162, v163
	s_delay_alu instid0(VALU_DEP_1) | instskip(NEXT) | instid1(VALU_DEP_1)
	v_fmac_f32_e32 v162, v167, v161
	v_fma_f32 v158, -v158, v162, v163
	s_delay_alu instid0(VALU_DEP_1) | instskip(NEXT) | instid1(VALU_DEP_1)
	v_div_fmas_f32 v158, v158, v161, v162
	v_div_fixup_f32 v158, v158, v159, 1.0
	s_delay_alu instid0(VALU_DEP_1)
	v_mul_f32_e32 v160, v160, v158
	v_xor_b32_e32 v161, 0x80000000, v158
                                        ; implicit-def: $vgpr158_vgpr159
.LBB53_221:
	s_and_not1_saveexec_b32 s1, s1
	s_cbranch_execz .LBB53_223
; %bb.222:
	v_div_scale_f32 v160, null, v158, v158, v159
	v_div_scale_f32 v163, vcc_lo, v159, v158, v159
	s_delay_alu instid0(VALU_DEP_2) | instskip(SKIP_1) | instid1(TRANS32_DEP_1)
	v_rcp_f32_e32 v161, v160
	v_nop
	v_fma_f32 v162, -v160, v161, 1.0
	s_delay_alu instid0(VALU_DEP_1) | instskip(NEXT) | instid1(VALU_DEP_1)
	v_fmac_f32_e32 v161, v162, v161
	v_mul_f32_e32 v162, v163, v161
	s_delay_alu instid0(VALU_DEP_1) | instskip(NEXT) | instid1(VALU_DEP_1)
	v_fma_f32 v167, -v160, v162, v163
	v_fmac_f32_e32 v162, v167, v161
	s_delay_alu instid0(VALU_DEP_1) | instskip(NEXT) | instid1(VALU_DEP_1)
	v_fma_f32 v160, -v160, v162, v163
	v_div_fmas_f32 v160, v160, v161, v162
	s_delay_alu instid0(VALU_DEP_1) | instskip(NEXT) | instid1(VALU_DEP_1)
	v_div_fixup_f32 v161, v160, v158, v159
	v_fmac_f32_e32 v158, v159, v161
	s_delay_alu instid0(VALU_DEP_1) | instskip(NEXT) | instid1(VALU_DEP_1)
	v_div_scale_f32 v159, null, v158, v158, 1.0
	v_rcp_f32_e32 v160, v159
	v_nop
	s_delay_alu instid0(TRANS32_DEP_1) | instskip(NEXT) | instid1(VALU_DEP_1)
	v_fma_f32 v162, -v159, v160, 1.0
	v_fmac_f32_e32 v160, v162, v160
	v_div_scale_f32 v162, vcc_lo, 1.0, v158, 1.0
	s_delay_alu instid0(VALU_DEP_1) | instskip(NEXT) | instid1(VALU_DEP_1)
	v_mul_f32_e32 v163, v162, v160
	v_fma_f32 v167, -v159, v163, v162
	s_delay_alu instid0(VALU_DEP_1) | instskip(NEXT) | instid1(VALU_DEP_1)
	v_fmac_f32_e32 v163, v167, v160
	v_fma_f32 v159, -v159, v163, v162
	s_delay_alu instid0(VALU_DEP_1) | instskip(NEXT) | instid1(VALU_DEP_1)
	v_div_fmas_f32 v159, v159, v160, v163
	v_div_fixup_f32 v160, v159, v158, 1.0
	s_delay_alu instid0(VALU_DEP_1)
	v_mul_f32_e64 v161, v161, -v160
.LBB53_223:
	s_or_b32 exec_lo, exec_lo, s1
	ds_store_b64 v165, v[160:161]
.LBB53_224:
	s_or_b32 exec_lo, exec_lo, s2
	s_wait_dscnt 0x0
	s_barrier_signal -1
	s_barrier_wait -1
	ds_load_b64 v[158:159], v165
	s_mov_b32 s1, exec_lo
	v_cmpx_lt_u32_e32 24, v164
	s_cbranch_execz .LBB53_226
; %bb.225:
	ds_load_2addr_b64 v[160:163], v166 offset0:25 offset1:26
	s_wait_dscnt 0x1
	v_pk_mul_f32 v[168:169], v[158:159], v[102:103] op_sel:[1,1] op_sel_hi:[0,1]
	s_delay_alu instid0(VALU_DEP_1) | instskip(SKIP_3) | instid1(VALU_DEP_3)
	v_pk_fma_f32 v[170:171], v[158:159], v[102:103], v[168:169] op_sel_hi:[1,0,1]
	v_pk_fma_f32 v[102:103], v[158:159], v[102:103], v[168:169] op_sel_hi:[1,0,1] neg_lo:[0,0,1] neg_hi:[0,0,1]
	s_wait_dscnt 0x0
	v_dual_mov_b32 v172, v163 :: v_dual_mov_b32 v173, v162
	v_pk_mul_f32 v[168:169], v[160:161], v[170:171] op_sel:[0,1]
	s_delay_alu instid0(VALU_DEP_2) | instskip(NEXT) | instid1(VALU_DEP_2)
	v_pk_mul_f32 v[172:173], v[172:173], v[170:171] op_sel:[0,1]
	v_pk_fma_f32 v[174:175], v[160:161], v[102:103], v[168:169] op_sel:[0,0,1] op_sel_hi:[1,0,0]
	v_pk_fma_f32 v[160:161], v[160:161], v[102:103], v[168:169] op_sel:[0,0,1] op_sel_hi:[1,1,0] neg_lo:[0,0,1] neg_hi:[0,0,1]
	s_delay_alu instid0(VALU_DEP_3) | instskip(SKIP_1) | instid1(VALU_DEP_4)
	v_pk_fma_f32 v[176:177], v[162:163], v[102:103], v[172:173] op_sel_hi:[1,0,1]
	v_pk_fma_f32 v[162:163], v[162:163], v[102:103], v[172:173] neg_lo:[0,0,1] neg_hi:[0,0,1]
	v_dual_mov_b32 v161, v175 :: v_dual_mov_b32 v103, v171
	s_delay_alu instid0(VALU_DEP_3) | instskip(NEXT) | instid1(VALU_DEP_2)
	v_mov_b32_e32 v163, v177
	v_pk_add_f32 v[100:101], v[100:101], v[160:161] neg_lo:[0,1] neg_hi:[0,1]
	s_delay_alu instid0(VALU_DEP_2)
	v_pk_add_f32 v[108:109], v[108:109], v[162:163] neg_lo:[0,1] neg_hi:[0,1]
.LBB53_226:
	s_or_b32 exec_lo, exec_lo, s1
	s_delay_alu instid0(SALU_CYCLE_1)
	s_mov_b32 s2, exec_lo
	s_wait_dscnt 0x0
	s_barrier_signal -1
	s_barrier_wait -1
	v_cmpx_eq_u32_e32 25, v164
	s_cbranch_execz .LBB53_233
; %bb.227:
	ds_store_b64 v165, v[100:101]
	ds_store_b64 v166, v[108:109] offset:208
	ds_load_b64 v[160:161], v165
	s_wait_dscnt 0x0
	v_cmp_neq_f32_e32 vcc_lo, 0, v160
	v_cmp_neq_f32_e64 s1, 0, v161
	s_or_b32 s1, vcc_lo, s1
	s_delay_alu instid0(SALU_CYCLE_1)
	s_and_b32 exec_lo, exec_lo, s1
	s_cbranch_execz .LBB53_233
; %bb.228:
	v_cmp_ngt_f32_e64 s1, |v160|, |v161|
                                        ; implicit-def: $vgpr162_vgpr163
	s_and_saveexec_b32 s4, s1
	s_delay_alu instid0(SALU_CYCLE_1)
	s_xor_b32 s1, exec_lo, s4
	s_cbranch_execz .LBB53_230
; %bb.229:
	v_div_scale_f32 v162, null, v161, v161, v160
	v_div_scale_f32 v168, vcc_lo, v160, v161, v160
	s_delay_alu instid0(VALU_DEP_2) | instskip(SKIP_1) | instid1(TRANS32_DEP_1)
	v_rcp_f32_e32 v163, v162
	v_nop
	v_fma_f32 v167, -v162, v163, 1.0
	s_delay_alu instid0(VALU_DEP_1) | instskip(NEXT) | instid1(VALU_DEP_1)
	v_fmac_f32_e32 v163, v167, v163
	v_mul_f32_e32 v167, v168, v163
	s_delay_alu instid0(VALU_DEP_1) | instskip(NEXT) | instid1(VALU_DEP_1)
	v_fma_f32 v169, -v162, v167, v168
	v_fmac_f32_e32 v167, v169, v163
	s_delay_alu instid0(VALU_DEP_1) | instskip(NEXT) | instid1(VALU_DEP_1)
	v_fma_f32 v162, -v162, v167, v168
	v_div_fmas_f32 v162, v162, v163, v167
	s_delay_alu instid0(VALU_DEP_1) | instskip(NEXT) | instid1(VALU_DEP_1)
	v_div_fixup_f32 v162, v162, v161, v160
	v_fmac_f32_e32 v161, v160, v162
	s_delay_alu instid0(VALU_DEP_1) | instskip(SKIP_1) | instid1(VALU_DEP_2)
	v_div_scale_f32 v160, null, v161, v161, 1.0
	v_div_scale_f32 v168, vcc_lo, 1.0, v161, 1.0
	v_rcp_f32_e32 v163, v160
	v_nop
	s_delay_alu instid0(TRANS32_DEP_1) | instskip(NEXT) | instid1(VALU_DEP_1)
	v_fma_f32 v167, -v160, v163, 1.0
	v_fmac_f32_e32 v163, v167, v163
	s_delay_alu instid0(VALU_DEP_1) | instskip(NEXT) | instid1(VALU_DEP_1)
	v_mul_f32_e32 v167, v168, v163
	v_fma_f32 v169, -v160, v167, v168
	s_delay_alu instid0(VALU_DEP_1) | instskip(NEXT) | instid1(VALU_DEP_1)
	v_fmac_f32_e32 v167, v169, v163
	v_fma_f32 v160, -v160, v167, v168
	s_delay_alu instid0(VALU_DEP_1) | instskip(NEXT) | instid1(VALU_DEP_1)
	v_div_fmas_f32 v160, v160, v163, v167
	v_div_fixup_f32 v160, v160, v161, 1.0
	s_delay_alu instid0(VALU_DEP_1)
	v_mul_f32_e32 v162, v162, v160
	v_xor_b32_e32 v163, 0x80000000, v160
                                        ; implicit-def: $vgpr160_vgpr161
.LBB53_230:
	s_and_not1_saveexec_b32 s1, s1
	s_cbranch_execz .LBB53_232
; %bb.231:
	v_div_scale_f32 v162, null, v160, v160, v161
	v_div_scale_f32 v168, vcc_lo, v161, v160, v161
	s_delay_alu instid0(VALU_DEP_2) | instskip(SKIP_1) | instid1(TRANS32_DEP_1)
	v_rcp_f32_e32 v163, v162
	v_nop
	v_fma_f32 v167, -v162, v163, 1.0
	s_delay_alu instid0(VALU_DEP_1) | instskip(NEXT) | instid1(VALU_DEP_1)
	v_fmac_f32_e32 v163, v167, v163
	v_mul_f32_e32 v167, v168, v163
	s_delay_alu instid0(VALU_DEP_1) | instskip(NEXT) | instid1(VALU_DEP_1)
	v_fma_f32 v169, -v162, v167, v168
	v_fmac_f32_e32 v167, v169, v163
	s_delay_alu instid0(VALU_DEP_1) | instskip(NEXT) | instid1(VALU_DEP_1)
	v_fma_f32 v162, -v162, v167, v168
	v_div_fmas_f32 v162, v162, v163, v167
	s_delay_alu instid0(VALU_DEP_1) | instskip(NEXT) | instid1(VALU_DEP_1)
	v_div_fixup_f32 v163, v162, v160, v161
	v_fmac_f32_e32 v160, v161, v163
	s_delay_alu instid0(VALU_DEP_1) | instskip(NEXT) | instid1(VALU_DEP_1)
	v_div_scale_f32 v161, null, v160, v160, 1.0
	v_rcp_f32_e32 v162, v161
	v_nop
	s_delay_alu instid0(TRANS32_DEP_1) | instskip(NEXT) | instid1(VALU_DEP_1)
	v_fma_f32 v167, -v161, v162, 1.0
	v_fmac_f32_e32 v162, v167, v162
	v_div_scale_f32 v167, vcc_lo, 1.0, v160, 1.0
	s_delay_alu instid0(VALU_DEP_1) | instskip(NEXT) | instid1(VALU_DEP_1)
	v_mul_f32_e32 v168, v167, v162
	v_fma_f32 v169, -v161, v168, v167
	s_delay_alu instid0(VALU_DEP_1) | instskip(NEXT) | instid1(VALU_DEP_1)
	v_fmac_f32_e32 v168, v169, v162
	v_fma_f32 v161, -v161, v168, v167
	s_delay_alu instid0(VALU_DEP_1) | instskip(NEXT) | instid1(VALU_DEP_1)
	v_div_fmas_f32 v161, v161, v162, v168
	v_div_fixup_f32 v162, v161, v160, 1.0
	s_delay_alu instid0(VALU_DEP_1)
	v_mul_f32_e64 v163, v163, -v162
.LBB53_232:
	s_or_b32 exec_lo, exec_lo, s1
	ds_store_b64 v165, v[162:163]
.LBB53_233:
	s_or_b32 exec_lo, exec_lo, s2
	s_wait_dscnt 0x0
	s_barrier_signal -1
	s_barrier_wait -1
	ds_load_b64 v[160:161], v165
	s_mov_b32 s1, exec_lo
	v_cmpx_lt_u32_e32 25, v164
	s_cbranch_execz .LBB53_235
; %bb.234:
	ds_load_b64 v[162:163], v166 offset:208
	s_wait_dscnt 0x1
	v_pk_mul_f32 v[166:167], v[160:161], v[100:101] op_sel:[1,1] op_sel_hi:[0,1]
	s_delay_alu instid0(VALU_DEP_1) | instskip(SKIP_2) | instid1(VALU_DEP_2)
	v_pk_fma_f32 v[168:169], v[160:161], v[100:101], v[166:167] op_sel_hi:[1,0,1]
	v_pk_fma_f32 v[100:101], v[160:161], v[100:101], v[166:167] op_sel_hi:[1,0,1] neg_lo:[0,0,1] neg_hi:[0,0,1]
	s_wait_dscnt 0x0
	v_pk_mul_f32 v[166:167], v[162:163], v[168:169] op_sel:[1,1] op_sel_hi:[0,1]
	s_delay_alu instid0(VALU_DEP_1) | instskip(SKIP_1) | instid1(VALU_DEP_2)
	v_pk_fma_f32 v[170:171], v[162:163], v[100:101], v[166:167] op_sel_hi:[1,0,1]
	v_pk_fma_f32 v[162:163], v[162:163], v[100:101], v[166:167] neg_lo:[0,0,1] neg_hi:[0,0,1]
	v_dual_mov_b32 v101, v169 :: v_dual_mov_b32 v163, v171
	s_delay_alu instid0(VALU_DEP_1)
	v_pk_add_f32 v[108:109], v[108:109], v[162:163] neg_lo:[0,1] neg_hi:[0,1]
.LBB53_235:
	s_or_b32 exec_lo, exec_lo, s1
	s_delay_alu instid0(SALU_CYCLE_1)
	s_mov_b32 s2, exec_lo
	s_wait_dscnt 0x0
	s_barrier_signal -1
	s_barrier_wait -1
	v_cmpx_eq_u32_e32 26, v164
	s_cbranch_execz .LBB53_242
; %bb.236:
	v_cmp_neq_f32_e32 vcc_lo, 0, v108
	v_cmp_neq_f32_e64 s1, 0, v109
	ds_store_b64 v165, v[108:109]
	s_or_b32 s1, vcc_lo, s1
	s_delay_alu instid0(SALU_CYCLE_1)
	s_and_b32 exec_lo, exec_lo, s1
	s_cbranch_execz .LBB53_242
; %bb.237:
	v_cmp_ngt_f32_e64 s1, |v108|, |v109|
                                        ; implicit-def: $vgpr162_vgpr163
	s_and_saveexec_b32 s4, s1
	s_delay_alu instid0(SALU_CYCLE_1)
	s_xor_b32 s1, exec_lo, s4
	s_cbranch_execz .LBB53_239
; %bb.238:
	v_div_scale_f32 v162, null, v109, v109, v108
	v_div_scale_f32 v167, vcc_lo, v108, v109, v108
	s_delay_alu instid0(VALU_DEP_2) | instskip(SKIP_1) | instid1(TRANS32_DEP_1)
	v_rcp_f32_e32 v163, v162
	v_nop
	v_fma_f32 v166, -v162, v163, 1.0
	s_delay_alu instid0(VALU_DEP_1) | instskip(NEXT) | instid1(VALU_DEP_1)
	v_fmac_f32_e32 v163, v166, v163
	v_mul_f32_e32 v166, v167, v163
	s_delay_alu instid0(VALU_DEP_1) | instskip(NEXT) | instid1(VALU_DEP_1)
	v_fma_f32 v168, -v162, v166, v167
	v_fmac_f32_e32 v166, v168, v163
	s_delay_alu instid0(VALU_DEP_1) | instskip(NEXT) | instid1(VALU_DEP_1)
	v_fma_f32 v162, -v162, v166, v167
	v_div_fmas_f32 v162, v162, v163, v166
	s_delay_alu instid0(VALU_DEP_1) | instskip(NEXT) | instid1(VALU_DEP_1)
	v_div_fixup_f32 v162, v162, v109, v108
	v_fma_f32 v163, v108, v162, v109
	s_delay_alu instid0(VALU_DEP_1) | instskip(SKIP_1) | instid1(VALU_DEP_2)
	v_div_scale_f32 v166, null, v163, v163, 1.0
	v_div_scale_f32 v169, vcc_lo, 1.0, v163, 1.0
	v_rcp_f32_e32 v167, v166
	v_nop
	s_delay_alu instid0(TRANS32_DEP_1) | instskip(NEXT) | instid1(VALU_DEP_1)
	v_fma_f32 v168, -v166, v167, 1.0
	v_fmac_f32_e32 v167, v168, v167
	s_delay_alu instid0(VALU_DEP_1) | instskip(NEXT) | instid1(VALU_DEP_1)
	v_mul_f32_e32 v168, v169, v167
	v_fma_f32 v170, -v166, v168, v169
	s_delay_alu instid0(VALU_DEP_1) | instskip(NEXT) | instid1(VALU_DEP_1)
	v_fmac_f32_e32 v168, v170, v167
	v_fma_f32 v166, -v166, v168, v169
	s_delay_alu instid0(VALU_DEP_1) | instskip(NEXT) | instid1(VALU_DEP_1)
	v_div_fmas_f32 v166, v166, v167, v168
	v_div_fixup_f32 v163, v166, v163, 1.0
	s_delay_alu instid0(VALU_DEP_1)
	v_mul_f32_e32 v162, v162, v163
	v_xor_b32_e32 v163, 0x80000000, v163
.LBB53_239:
	s_and_not1_saveexec_b32 s1, s1
	s_cbranch_execz .LBB53_241
; %bb.240:
	v_div_scale_f32 v162, null, v108, v108, v109
	v_div_scale_f32 v167, vcc_lo, v109, v108, v109
	s_delay_alu instid0(VALU_DEP_2) | instskip(SKIP_1) | instid1(TRANS32_DEP_1)
	v_rcp_f32_e32 v163, v162
	v_nop
	v_fma_f32 v166, -v162, v163, 1.0
	s_delay_alu instid0(VALU_DEP_1) | instskip(NEXT) | instid1(VALU_DEP_1)
	v_fmac_f32_e32 v163, v166, v163
	v_mul_f32_e32 v166, v167, v163
	s_delay_alu instid0(VALU_DEP_1) | instskip(NEXT) | instid1(VALU_DEP_1)
	v_fma_f32 v168, -v162, v166, v167
	v_fmac_f32_e32 v166, v168, v163
	s_delay_alu instid0(VALU_DEP_1) | instskip(NEXT) | instid1(VALU_DEP_1)
	v_fma_f32 v162, -v162, v166, v167
	v_div_fmas_f32 v162, v162, v163, v166
	s_delay_alu instid0(VALU_DEP_1) | instskip(NEXT) | instid1(VALU_DEP_1)
	v_div_fixup_f32 v163, v162, v108, v109
	v_fma_f32 v162, v109, v163, v108
	s_delay_alu instid0(VALU_DEP_1) | instskip(NEXT) | instid1(VALU_DEP_1)
	v_div_scale_f32 v166, null, v162, v162, 1.0
	v_rcp_f32_e32 v167, v166
	v_nop
	s_delay_alu instid0(TRANS32_DEP_1) | instskip(NEXT) | instid1(VALU_DEP_1)
	v_fma_f32 v168, -v166, v167, 1.0
	v_fmac_f32_e32 v167, v168, v167
	v_div_scale_f32 v168, vcc_lo, 1.0, v162, 1.0
	s_delay_alu instid0(VALU_DEP_1) | instskip(NEXT) | instid1(VALU_DEP_1)
	v_mul_f32_e32 v169, v168, v167
	v_fma_f32 v170, -v166, v169, v168
	s_delay_alu instid0(VALU_DEP_1) | instskip(NEXT) | instid1(VALU_DEP_1)
	v_fmac_f32_e32 v169, v170, v167
	v_fma_f32 v166, -v166, v169, v168
	s_delay_alu instid0(VALU_DEP_1) | instskip(NEXT) | instid1(VALU_DEP_1)
	v_div_fmas_f32 v166, v166, v167, v169
	v_div_fixup_f32 v162, v166, v162, 1.0
	s_delay_alu instid0(VALU_DEP_1)
	v_mul_f32_e64 v163, v163, -v162
.LBB53_241:
	s_or_b32 exec_lo, exec_lo, s1
	ds_store_b64 v165, v[162:163]
.LBB53_242:
	s_or_b32 exec_lo, exec_lo, s2
	s_wait_dscnt 0x0
	s_barrier_signal -1
	s_barrier_wait -1
	ds_load_b64 v[162:163], v165
	s_wait_dscnt 0x0
	s_barrier_signal -1
	s_barrier_wait -1
	s_and_saveexec_b32 s4, s0
	s_cbranch_execz .LBB53_245
; %bb.243:
	v_lshl_add_u64 v[2:3], v[2:3], 2, s[6:7]
	v_cmp_eq_f32_e32 vcc_lo, 0, v110
	v_cmp_eq_f32_e64 s0, 0, v111
	v_cmp_neq_f32_e64 s1, 0, v112
	v_cmp_neq_f32_e64 s2, 0, v113
	global_load_b32 v165, v[2:3], off
	s_and_b32 s0, vcc_lo, s0
	s_delay_alu instid0(SALU_CYCLE_1) | instskip(SKIP_1) | instid1(SALU_CYCLE_1)
	v_cndmask_b32_e64 v110, 0, 1, s0
	s_or_b32 s1, s1, s2
	s_or_b32 vcc_lo, s1, s0
	v_cmp_eq_f32_e64 s0, 0, v115
	s_delay_alu instid0(VALU_DEP_2) | instskip(SKIP_1) | instid1(VALU_DEP_2)
	v_cndmask_b32_e32 v110, 2, v110, vcc_lo
	v_cmp_eq_f32_e32 vcc_lo, 0, v114
	v_cmp_eq_u32_e64 s1, 0, v110
	s_and_b32 s0, vcc_lo, s0
	v_cmp_eq_f32_e32 vcc_lo, 0, v116
	s_and_b32 s0, s0, s1
	s_delay_alu instid0(SALU_CYCLE_1) | instskip(SKIP_1) | instid1(VALU_DEP_2)
	v_cndmask_b32_e64 v110, v110, 3, s0
	v_cmp_eq_f32_e64 s0, 0, v117
	v_cmp_eq_u32_e64 s1, 0, v110
	s_and_b32 s0, vcc_lo, s0
	v_cmp_eq_f32_e32 vcc_lo, 0, v118
	s_and_b32 s0, s0, s1
	s_delay_alu instid0(SALU_CYCLE_1) | instskip(SKIP_1) | instid1(VALU_DEP_2)
	v_cndmask_b32_e64 v110, v110, 4, s0
	v_cmp_eq_f32_e64 s0, 0, v119
	;; [unrolled: 7-line block ×24, first 2 shown]
	v_cmp_eq_u32_e64 s1, 0, v110
	s_and_b32 s0, vcc_lo, s0
	s_delay_alu instid0(SALU_CYCLE_1) | instskip(NEXT) | instid1(SALU_CYCLE_1)
	s_and_b32 s0, s0, s1
	v_cndmask_b32_e64 v110, v110, 27, s0
	s_delay_alu instid0(VALU_DEP_1) | instskip(SKIP_3) | instid1(SALU_CYCLE_1)
	v_cmp_ne_u32_e64 s0, 0, v110
	s_wait_loadcnt 0x0
	v_cmp_eq_u32_e32 vcc_lo, 0, v165
	s_and_b32 s0, vcc_lo, s0
	s_and_b32 exec_lo, exec_lo, s0
	s_cbranch_execz .LBB53_245
; %bb.244:
	v_add_nc_u32_e32 v110, s3, v110
	global_store_b32 v[2:3], v110, off
.LBB53_245:
	s_wait_xcnt 0x0
	s_or_b32 exec_lo, exec_lo, s4
	v_pk_mul_f32 v[2:3], v[162:163], v[108:109] op_sel:[1,1] op_sel_hi:[0,1]
	s_clause 0x1
	global_store_b64 v[18:19], v[56:57], off
	global_store_b64 v[34:35], v[58:59], off
	v_cmp_lt_u32_e32 vcc_lo, 26, v164
	s_clause 0x2
	global_store_b64 v[4:5], v[48:49], off
	global_store_b64 v[8:9], v[46:47], off
	;; [unrolled: 1-line block ×3, first 2 shown]
	s_wait_xcnt 0x4
	v_pk_fma_f32 v[18:19], v[162:163], v[108:109], v[2:3] op_sel_hi:[1,0,1]
	v_pk_fma_f32 v[2:3], v[162:163], v[108:109], v[2:3] neg_lo:[0,0,1] neg_hi:[0,0,1]
	s_delay_alu instid0(VALU_DEP_1)
	v_dual_cndmask_b32 v3, v109, v19 :: v_dual_cndmask_b32 v2, v108, v2
	s_clause 0x15
	global_store_b64 v[0:1], v[24:25], off
	global_store_b64 v[6:7], v[26:27], off
	;; [unrolled: 1-line block ×22, first 2 shown]
.LBB53_246:
	s_sendmsg sendmsg(MSG_DEALLOC_VGPRS)
	s_endpgm
	.section	.rodata,"a",@progbits
	.p2align	6, 0x0
	.amdhsa_kernel _ZN9rocsolver6v33100L23getf2_npvt_small_kernelILi27E19rocblas_complex_numIfEiiPS3_EEvT1_T3_lS5_lPT2_S5_S5_
		.amdhsa_group_segment_fixed_size 0
		.amdhsa_private_segment_fixed_size 0
		.amdhsa_kernarg_size 312
		.amdhsa_user_sgpr_count 2
		.amdhsa_user_sgpr_dispatch_ptr 0
		.amdhsa_user_sgpr_queue_ptr 0
		.amdhsa_user_sgpr_kernarg_segment_ptr 1
		.amdhsa_user_sgpr_dispatch_id 0
		.amdhsa_user_sgpr_kernarg_preload_length 0
		.amdhsa_user_sgpr_kernarg_preload_offset 0
		.amdhsa_user_sgpr_private_segment_size 0
		.amdhsa_wavefront_size32 1
		.amdhsa_uses_dynamic_stack 0
		.amdhsa_enable_private_segment 0
		.amdhsa_system_sgpr_workgroup_id_x 1
		.amdhsa_system_sgpr_workgroup_id_y 1
		.amdhsa_system_sgpr_workgroup_id_z 0
		.amdhsa_system_sgpr_workgroup_info 0
		.amdhsa_system_vgpr_workitem_id 1
		.amdhsa_next_free_vgpr 192
		.amdhsa_next_free_sgpr 15
		.amdhsa_named_barrier_count 0
		.amdhsa_reserve_vcc 1
		.amdhsa_float_round_mode_32 0
		.amdhsa_float_round_mode_16_64 0
		.amdhsa_float_denorm_mode_32 3
		.amdhsa_float_denorm_mode_16_64 3
		.amdhsa_fp16_overflow 0
		.amdhsa_memory_ordered 1
		.amdhsa_forward_progress 1
		.amdhsa_inst_pref_size 255
		.amdhsa_round_robin_scheduling 0
		.amdhsa_exception_fp_ieee_invalid_op 0
		.amdhsa_exception_fp_denorm_src 0
		.amdhsa_exception_fp_ieee_div_zero 0
		.amdhsa_exception_fp_ieee_overflow 0
		.amdhsa_exception_fp_ieee_underflow 0
		.amdhsa_exception_fp_ieee_inexact 0
		.amdhsa_exception_int_div_zero 0
	.end_amdhsa_kernel
	.section	.text._ZN9rocsolver6v33100L23getf2_npvt_small_kernelILi27E19rocblas_complex_numIfEiiPS3_EEvT1_T3_lS5_lPT2_S5_S5_,"axG",@progbits,_ZN9rocsolver6v33100L23getf2_npvt_small_kernelILi27E19rocblas_complex_numIfEiiPS3_EEvT1_T3_lS5_lPT2_S5_S5_,comdat
.Lfunc_end53:
	.size	_ZN9rocsolver6v33100L23getf2_npvt_small_kernelILi27E19rocblas_complex_numIfEiiPS3_EEvT1_T3_lS5_lPT2_S5_S5_, .Lfunc_end53-_ZN9rocsolver6v33100L23getf2_npvt_small_kernelILi27E19rocblas_complex_numIfEiiPS3_EEvT1_T3_lS5_lPT2_S5_S5_
                                        ; -- End function
	.set _ZN9rocsolver6v33100L23getf2_npvt_small_kernelILi27E19rocblas_complex_numIfEiiPS3_EEvT1_T3_lS5_lPT2_S5_S5_.num_vgpr, 192
	.set _ZN9rocsolver6v33100L23getf2_npvt_small_kernelILi27E19rocblas_complex_numIfEiiPS3_EEvT1_T3_lS5_lPT2_S5_S5_.num_agpr, 0
	.set _ZN9rocsolver6v33100L23getf2_npvt_small_kernelILi27E19rocblas_complex_numIfEiiPS3_EEvT1_T3_lS5_lPT2_S5_S5_.numbered_sgpr, 15
	.set _ZN9rocsolver6v33100L23getf2_npvt_small_kernelILi27E19rocblas_complex_numIfEiiPS3_EEvT1_T3_lS5_lPT2_S5_S5_.num_named_barrier, 0
	.set _ZN9rocsolver6v33100L23getf2_npvt_small_kernelILi27E19rocblas_complex_numIfEiiPS3_EEvT1_T3_lS5_lPT2_S5_S5_.private_seg_size, 0
	.set _ZN9rocsolver6v33100L23getf2_npvt_small_kernelILi27E19rocblas_complex_numIfEiiPS3_EEvT1_T3_lS5_lPT2_S5_S5_.uses_vcc, 1
	.set _ZN9rocsolver6v33100L23getf2_npvt_small_kernelILi27E19rocblas_complex_numIfEiiPS3_EEvT1_T3_lS5_lPT2_S5_S5_.uses_flat_scratch, 0
	.set _ZN9rocsolver6v33100L23getf2_npvt_small_kernelILi27E19rocblas_complex_numIfEiiPS3_EEvT1_T3_lS5_lPT2_S5_S5_.has_dyn_sized_stack, 0
	.set _ZN9rocsolver6v33100L23getf2_npvt_small_kernelILi27E19rocblas_complex_numIfEiiPS3_EEvT1_T3_lS5_lPT2_S5_S5_.has_recursion, 0
	.set _ZN9rocsolver6v33100L23getf2_npvt_small_kernelILi27E19rocblas_complex_numIfEiiPS3_EEvT1_T3_lS5_lPT2_S5_S5_.has_indirect_call, 0
	.section	.AMDGPU.csdata,"",@progbits
; Kernel info:
; codeLenInByte = 39388
; TotalNumSgprs: 17
; NumVgprs: 192
; ScratchSize: 0
; MemoryBound: 0
; FloatMode: 240
; IeeeMode: 1
; LDSByteSize: 0 bytes/workgroup (compile time only)
; SGPRBlocks: 0
; VGPRBlocks: 11
; NumSGPRsForWavesPerEU: 17
; NumVGPRsForWavesPerEU: 192
; NamedBarCnt: 0
; Occupancy: 5
; WaveLimiterHint : 0
; COMPUTE_PGM_RSRC2:SCRATCH_EN: 0
; COMPUTE_PGM_RSRC2:USER_SGPR: 2
; COMPUTE_PGM_RSRC2:TRAP_HANDLER: 0
; COMPUTE_PGM_RSRC2:TGID_X_EN: 1
; COMPUTE_PGM_RSRC2:TGID_Y_EN: 1
; COMPUTE_PGM_RSRC2:TGID_Z_EN: 0
; COMPUTE_PGM_RSRC2:TIDIG_COMP_CNT: 1
	.section	.text._ZN9rocsolver6v33100L18getf2_small_kernelILi28E19rocblas_complex_numIfEiiPS3_EEvT1_T3_lS5_lPS5_llPT2_S5_S5_S7_l,"axG",@progbits,_ZN9rocsolver6v33100L18getf2_small_kernelILi28E19rocblas_complex_numIfEiiPS3_EEvT1_T3_lS5_lPS5_llPT2_S5_S5_S7_l,comdat
	.globl	_ZN9rocsolver6v33100L18getf2_small_kernelILi28E19rocblas_complex_numIfEiiPS3_EEvT1_T3_lS5_lPS5_llPT2_S5_S5_S7_l ; -- Begin function _ZN9rocsolver6v33100L18getf2_small_kernelILi28E19rocblas_complex_numIfEiiPS3_EEvT1_T3_lS5_lPS5_llPT2_S5_S5_S7_l
	.p2align	8
	.type	_ZN9rocsolver6v33100L18getf2_small_kernelILi28E19rocblas_complex_numIfEiiPS3_EEvT1_T3_lS5_lPS5_llPT2_S5_S5_S7_l,@function
_ZN9rocsolver6v33100L18getf2_small_kernelILi28E19rocblas_complex_numIfEiiPS3_EEvT1_T3_lS5_lPS5_llPT2_S5_S5_S7_l: ; @_ZN9rocsolver6v33100L18getf2_small_kernelILi28E19rocblas_complex_numIfEiiPS3_EEvT1_T3_lS5_lPS5_llPT2_S5_S5_S7_l
; %bb.0:
	s_clause 0x1
	s_load_u16 s2, s[0:1], 0x6e
	s_load_b64 s[16:17], s[0:1], 0x48
	s_bfe_u32 s3, ttmp6, 0x40010
	s_bfe_u32 s4, ttmp6, 0x40004
	s_add_co_i32 s3, s3, 1
	s_getreg_b32 s5, hwreg(HW_REG_IB_STS2, 6, 4)
	s_mul_i32 s3, ttmp7, s3
	v_bfe_u32 v64, v0, 10, 10
	s_add_co_i32 s4, s4, s3
	s_cmp_eq_u32 s5, 0
	s_cselect_b32 s3, ttmp7, s4
	s_wait_kmcnt 0x0
	v_mad_u32 v2, s3, s2, v64
	s_mov_b32 s2, exec_lo
	s_delay_alu instid0(VALU_DEP_1)
	v_cmpx_gt_i32_e64 s16, v2
	s_cbranch_execz .LBB54_589
; %bb.1:
	s_load_b128 s[4:7], s[0:1], 0x50
	v_mov_b64_e32 v[4:5], 0
	v_ashrrev_i32_e32 v3, 31, v2
	s_wait_kmcnt 0x0
	s_cmp_eq_u64 s[4:5], 0
	s_cselect_b32 s16, -1, 0
	s_delay_alu instid0(SALU_CYCLE_1)
	s_and_b32 vcc_lo, exec_lo, s16
	s_cbranch_vccnz .LBB54_3
; %bb.2:
	v_mul_u64_e32 v[4:5], s[6:7], v[2:3]
	s_delay_alu instid0(VALU_DEP_1)
	v_lshl_add_u64 v[4:5], v[4:5], 2, s[4:5]
.LBB54_3:
	s_clause 0x2
	s_load_b32 s2, s[0:1], 0x18
	s_load_b128 s[12:15], s[0:1], 0x8
	s_load_b32 s18, s[0:1], 0x0
	v_and_b32_e32 v68, 0x3ff, v0
	s_load_b256 s[4:11], s[0:1], 0x20
	s_delay_alu instid0(VALU_DEP_1) | instskip(SKIP_4) | instid1(VALU_DEP_2)
	v_dual_mov_b32 v63, 0 :: v_dual_lshlrev_b32 v62, 3, v68
	s_wait_kmcnt 0x0
	v_add3_u32 v6, s2, s2, v68
	s_ashr_i32 s3, s2, 31
	v_mul_u64_e32 v[0:1], s[4:5], v[2:3]
	v_add_nc_u32_e32 v8, s2, v6
	s_max_i32 s4, s18, 28
	s_cmp_lt_i32 s18, 2
	s_delay_alu instid0(VALU_DEP_1) | instskip(NEXT) | instid1(VALU_DEP_1)
	v_add_nc_u32_e32 v10, s2, v8
	v_add_nc_u32_e32 v12, s2, v10
	s_delay_alu instid0(VALU_DEP_1) | instskip(NEXT) | instid1(VALU_DEP_1)
	v_add_nc_u32_e32 v14, s2, v12
	v_dual_ashrrev_i32 v9, 31, v8 :: v_dual_add_nc_u32 v16, s2, v14
	s_delay_alu instid0(VALU_DEP_1) | instskip(SKIP_1) | instid1(VALU_DEP_1)
	v_dual_ashrrev_i32 v15, 31, v14 :: v_dual_ashrrev_i32 v17, 31, v16
	v_dual_add_nc_u32 v18, s2, v16 :: v_dual_ashrrev_i32 v11, 31, v10
	v_dual_ashrrev_i32 v13, 31, v12 :: v_dual_add_nc_u32 v20, s2, v18
	v_lshl_add_u64 v[0:1], v[0:1], 3, s[12:13]
	s_delay_alu instid0(VALU_DEP_2) | instskip(NEXT) | instid1(VALU_DEP_2)
	v_add_nc_u32_e32 v22, s2, v20
	v_lshl_add_u64 v[0:1], s[14:15], 3, v[0:1]
	s_delay_alu instid0(VALU_DEP_2) | instskip(NEXT) | instid1(VALU_DEP_2)
	v_add_nc_u32_e32 v24, s2, v22
	v_lshl_add_u64 v[10:11], v[10:11], 3, v[0:1]
	v_lshl_add_u64 v[12:13], v[12:13], 3, v[0:1]
	v_lshl_add_u64 v[14:15], v[14:15], 3, v[0:1]
	v_lshl_add_u64 v[16:17], v[16:17], 3, v[0:1]
	v_add_nc_u32_e32 v26, s2, v24
	v_add_nc_u64_e32 v[34:35], v[0:1], v[62:63]
	v_lshl_add_u64 v[8:9], v[8:9], 3, v[0:1]
	v_ashrrev_i32_e32 v21, 31, v20
	s_delay_alu instid0(VALU_DEP_4) | instskip(SKIP_2) | instid1(VALU_DEP_4)
	v_dual_ashrrev_i32 v25, 31, v24 :: v_dual_add_nc_u32 v40, s2, v26
	v_ashrrev_i32_e32 v7, 31, v6
	v_ashrrev_i32_e32 v27, 31, v26
	v_lshl_add_u64 v[20:21], v[20:21], 3, v[0:1]
	s_delay_alu instid0(VALU_DEP_4) | instskip(NEXT) | instid1(VALU_DEP_4)
	v_add_nc_u32_e32 v42, s2, v40
	v_lshl_add_u64 v[36:37], v[6:7], 3, v[0:1]
	s_clause 0x3
	global_load_b64 v[32:33], v[10:11], off
	global_load_b64 v[28:29], v[12:13], off
	;; [unrolled: 1-line block ×4, first 2 shown]
	s_wait_xcnt 0x3
	v_lshl_add_u64 v[10:11], s[2:3], 3, v[34:35]
	s_clause 0x3
	global_load_b64 v[54:55], v[36:37], off
	global_load_b64 v[52:53], v[8:9], off
	;; [unrolled: 1-line block ×4, first 2 shown]
	v_add_nc_u32_e32 v44, s2, v42
	v_dual_ashrrev_i32 v19, 31, v18 :: v_dual_ashrrev_i32 v41, 31, v40
	s_wait_xcnt 0x0
	v_lshl_add_u64 v[10:11], v[24:25], 3, v[0:1]
	s_delay_alu instid0(VALU_DEP_3) | instskip(NEXT) | instid1(VALU_DEP_3)
	v_add_nc_u32_e32 v46, s2, v44
	v_lshl_add_u64 v[18:19], v[18:19], 3, v[0:1]
	s_delay_alu instid0(VALU_DEP_2) | instskip(NEXT) | instid1(VALU_DEP_1)
	v_dual_ashrrev_i32 v45, 31, v44 :: v_dual_add_nc_u32 v48, s2, v46
	v_dual_ashrrev_i32 v23, 31, v22 :: v_dual_add_nc_u32 v50, s2, v48
	s_delay_alu instid0(VALU_DEP_1)
	v_lshl_add_u64 v[12:13], v[22:23], 3, v[0:1]
	s_clause 0x3
	global_load_b64 v[38:39], v[18:19], off
	global_load_b64 v[34:35], v[20:21], off
	;; [unrolled: 1-line block ×4, first 2 shown]
	v_add_nc_u32_e32 v14, s2, v50
	s_wait_xcnt 0x1
	v_lshl_add_u64 v[12:13], v[26:27], 3, v[0:1]
	v_lshl_add_u64 v[22:23], v[40:41], 3, v[0:1]
	;; [unrolled: 1-line block ×3, first 2 shown]
	v_dual_ashrrev_i32 v49, 31, v48 :: v_dual_add_nc_u32 v16, s2, v14
	s_delay_alu instid0(VALU_DEP_1) | instskip(SKIP_1) | instid1(VALU_DEP_2)
	v_dual_ashrrev_i32 v51, 31, v50 :: v_dual_ashrrev_i32 v17, 31, v16
	v_add_nc_u32_e32 v18, s2, v16
	v_lshl_add_u64 v[66:67], v[50:51], 3, v[0:1]
	s_delay_alu instid0(VALU_DEP_2) | instskip(SKIP_1) | instid1(VALU_DEP_2)
	v_add_nc_u32_e32 v20, s2, v18
	v_ashrrev_i32_e32 v43, 31, v42
	v_dual_ashrrev_i32 v15, 31, v14 :: v_dual_ashrrev_i32 v21, 31, v20
	v_add_nc_u32_e32 v60, s2, v20
	s_delay_alu instid0(VALU_DEP_3)
	v_lshl_add_u64 v[24:25], v[42:43], 3, v[0:1]
	v_ashrrev_i32_e32 v47, 31, v46
	s_clause 0x3
	global_load_b64 v[44:45], v[12:13], off
	global_load_b64 v[40:41], v[22:23], off
	;; [unrolled: 1-line block ×4, first 2 shown]
	s_wait_xcnt 0x2
	v_add_nc_u32_e32 v22, s2, v60
	s_wait_xcnt 0x0
	v_lshl_add_u64 v[26:27], v[48:49], 3, v[0:1]
	v_lshl_add_u64 v[24:25], v[46:47], 3, v[0:1]
	;; [unrolled: 1-line block ×3, first 2 shown]
	s_clause 0x3
	global_load_b64 v[50:51], v[24:25], off
	global_load_b64 v[46:47], v[26:27], off
	;; [unrolled: 1-line block ×4, first 2 shown]
	v_add_nc_u32_e32 v70, s2, v22
	v_dual_ashrrev_i32 v19, 31, v18 :: v_dual_ashrrev_i32 v61, 31, v60
	s_wait_xcnt 0x1
	v_lshl_add_u64 v[66:67], v[16:17], 3, v[0:1]
	v_lshl_add_u64 v[76:77], v[20:21], 3, v[0:1]
	v_add_nc_u32_e32 v72, s2, v70
	v_lshl_add_u64 v[74:75], v[18:19], 3, v[0:1]
	v_lshl_add_u64 v[78:79], v[60:61], 3, v[0:1]
	s_wait_xcnt 0x0
	s_delay_alu instid0(VALU_DEP_3) | instskip(SKIP_1) | instid1(VALU_DEP_2)
	v_dual_add_nc_u32 v14, s2, v72 :: v_dual_ashrrev_i32 v71, 31, v70
	v_dual_ashrrev_i32 v23, 31, v22 :: v_dual_ashrrev_i32 v73, 31, v72
	v_ashrrev_i32_e32 v15, 31, v14
	s_delay_alu instid0(VALU_DEP_3) | instskip(NEXT) | instid1(VALU_DEP_3)
	v_lshl_add_u64 v[70:71], v[70:71], 3, v[0:1]
	v_lshl_add_u64 v[80:81], v[22:23], 3, v[0:1]
	s_delay_alu instid0(VALU_DEP_4) | instskip(NEXT) | instid1(VALU_DEP_4)
	v_lshl_add_u64 v[72:73], v[72:73], 3, v[0:1]
	v_lshl_add_u64 v[82:83], v[14:15], 3, v[0:1]
	s_clause 0x7
	global_load_b64 v[26:27], v[66:67], off
	global_load_b64 v[22:23], v[74:75], off
	;; [unrolled: 1-line block ×8, first 2 shown]
	s_wait_xcnt 0x7
	v_mul_lo_u32 v67, s4, v64
	s_load_b64 s[4:5], s[0:1], 0x40
	s_delay_alu instid0(VALU_DEP_1) | instskip(NEXT) | instid1(VALU_DEP_1)
	v_lshl_add_u32 v66, v67, 3, 0
	v_dual_lshlrev_b32 v67, 3, v67 :: v_dual_add_nc_u32 v62, v66, v62
	s_wait_loadcnt 0x15
	ds_store_b64 v62, v[56:57]
	s_wait_loadcnt_dscnt 0x0
	s_barrier_signal -1
	s_barrier_wait -1
	ds_load_b64 v[64:65], v66
	s_cbranch_scc1 .LBB54_6
; %bb.4:
	v_add3_u32 v62, v67, 0, 8
	v_mov_b32_e32 v63, 0
	s_wait_xcnt 0x0
	s_mov_b32 s0, 1
.LBB54_5:                               ; =>This Inner Loop Header: Depth=1
	ds_load_b64 v[70:71], v62
	s_wait_dscnt 0x1
	v_cmp_gt_f32_e32 vcc_lo, 0, v64
	v_cndmask_b32_e64 v72, v64, -v64, vcc_lo
	v_cmp_gt_f32_e32 vcc_lo, 0, v65
	v_cndmask_b32_e64 v74, v65, -v65, vcc_lo
	s_wait_dscnt 0x0
	v_cmp_gt_f32_e32 vcc_lo, 0, v70
	v_cndmask_b32_e64 v73, v70, -v70, vcc_lo
	v_cmp_gt_f32_e32 vcc_lo, 0, v71
	v_cndmask_b32_e64 v75, v71, -v71, vcc_lo
	s_delay_alu instid0(VALU_DEP_1) | instskip(NEXT) | instid1(VALU_DEP_1)
	v_pk_add_f32 v[72:73], v[72:73], v[74:75]
	v_cmp_lt_f32_e32 vcc_lo, v72, v73
	v_dual_cndmask_b32 v65, v65, v71 :: v_dual_add_nc_u32 v62, 8, v62
	v_cndmask_b32_e32 v64, v64, v70, vcc_lo
	v_cndmask_b32_e64 v63, v63, s0, vcc_lo
	s_add_co_i32 s0, s0, 1
	s_delay_alu instid0(SALU_CYCLE_1)
	s_cmp_eq_u32 s18, s0
	s_cbranch_scc0 .LBB54_5
.LBB54_6:
	s_wait_dscnt 0x0
	v_cmp_neq_f32_e32 vcc_lo, 0, v64
	s_wait_xcnt 0x0
	v_cmp_neq_f32_e64 s0, 0, v65
	v_dual_mov_b32 v69, 1 :: v_dual_mov_b32 v71, 1
	s_or_b32 s1, vcc_lo, s0
	s_delay_alu instid0(SALU_CYCLE_1)
	s_and_saveexec_b32 s0, s1
	s_cbranch_execz .LBB54_12
; %bb.7:
	v_cmp_ngt_f32_e64 s1, |v64|, |v65|
	s_and_saveexec_b32 s12, s1
	s_delay_alu instid0(SALU_CYCLE_1)
	s_xor_b32 s1, exec_lo, s12
	s_cbranch_execz .LBB54_9
; %bb.8:
	v_div_scale_f32 v62, null, v65, v65, v64
	v_div_scale_f32 v71, vcc_lo, v64, v65, v64
	s_delay_alu instid0(VALU_DEP_2) | instskip(SKIP_1) | instid1(TRANS32_DEP_1)
	v_rcp_f32_e32 v69, v62
	v_nop
	v_fma_f32 v70, -v62, v69, 1.0
	s_delay_alu instid0(VALU_DEP_1) | instskip(NEXT) | instid1(VALU_DEP_1)
	v_fmac_f32_e32 v69, v70, v69
	v_mul_f32_e32 v70, v71, v69
	s_delay_alu instid0(VALU_DEP_1) | instskip(NEXT) | instid1(VALU_DEP_1)
	v_fma_f32 v72, -v62, v70, v71
	v_fmac_f32_e32 v70, v72, v69
	s_delay_alu instid0(VALU_DEP_1) | instskip(NEXT) | instid1(VALU_DEP_1)
	v_fma_f32 v62, -v62, v70, v71
	v_div_fmas_f32 v62, v62, v69, v70
	s_delay_alu instid0(VALU_DEP_1) | instskip(NEXT) | instid1(VALU_DEP_1)
	v_div_fixup_f32 v62, v62, v65, v64
	v_fmac_f32_e32 v65, v64, v62
	s_delay_alu instid0(VALU_DEP_1) | instskip(SKIP_1) | instid1(VALU_DEP_2)
	v_div_scale_f32 v64, null, v65, v65, 1.0
	v_div_scale_f32 v71, vcc_lo, 1.0, v65, 1.0
	v_rcp_f32_e32 v69, v64
	v_nop
	s_delay_alu instid0(TRANS32_DEP_1) | instskip(NEXT) | instid1(VALU_DEP_1)
	v_fma_f32 v70, -v64, v69, 1.0
	v_fmac_f32_e32 v69, v70, v69
	s_delay_alu instid0(VALU_DEP_1) | instskip(NEXT) | instid1(VALU_DEP_1)
	v_mul_f32_e32 v70, v71, v69
	v_fma_f32 v72, -v64, v70, v71
	s_delay_alu instid0(VALU_DEP_1) | instskip(NEXT) | instid1(VALU_DEP_1)
	v_fmac_f32_e32 v70, v72, v69
	v_fma_f32 v64, -v64, v70, v71
	s_delay_alu instid0(VALU_DEP_1) | instskip(NEXT) | instid1(VALU_DEP_1)
	v_div_fmas_f32 v64, v64, v69, v70
	v_div_fixup_f32 v65, v64, v65, 1.0
	s_delay_alu instid0(VALU_DEP_1)
	v_mul_f32_e32 v64, v62, v65
	v_xor_b32_e32 v65, 0x80000000, v65
.LBB54_9:
	s_and_not1_saveexec_b32 s1, s1
	s_cbranch_execz .LBB54_11
; %bb.10:
	s_delay_alu instid0(VALU_DEP_1) | instskip(SKIP_1) | instid1(VALU_DEP_2)
	v_div_scale_f32 v62, null, v64, v64, v65
	v_div_scale_f32 v71, vcc_lo, v65, v64, v65
	v_rcp_f32_e32 v69, v62
	v_nop
	s_delay_alu instid0(TRANS32_DEP_1) | instskip(NEXT) | instid1(VALU_DEP_1)
	v_fma_f32 v70, -v62, v69, 1.0
	v_fmac_f32_e32 v69, v70, v69
	s_delay_alu instid0(VALU_DEP_1) | instskip(NEXT) | instid1(VALU_DEP_1)
	v_mul_f32_e32 v70, v71, v69
	v_fma_f32 v72, -v62, v70, v71
	s_delay_alu instid0(VALU_DEP_1) | instskip(NEXT) | instid1(VALU_DEP_1)
	v_fmac_f32_e32 v70, v72, v69
	v_fma_f32 v62, -v62, v70, v71
	s_delay_alu instid0(VALU_DEP_1) | instskip(NEXT) | instid1(VALU_DEP_1)
	v_div_fmas_f32 v62, v62, v69, v70
	v_div_fixup_f32 v62, v62, v64, v65
	s_delay_alu instid0(VALU_DEP_1) | instskip(NEXT) | instid1(VALU_DEP_1)
	v_fmac_f32_e32 v64, v65, v62
	v_div_scale_f32 v65, null, v64, v64, 1.0
	s_delay_alu instid0(VALU_DEP_1) | instskip(SKIP_1) | instid1(TRANS32_DEP_1)
	v_rcp_f32_e32 v69, v65
	v_nop
	v_fma_f32 v70, -v65, v69, 1.0
	s_delay_alu instid0(VALU_DEP_1) | instskip(SKIP_1) | instid1(VALU_DEP_1)
	v_fmac_f32_e32 v69, v70, v69
	v_div_scale_f32 v70, vcc_lo, 1.0, v64, 1.0
	v_mul_f32_e32 v71, v70, v69
	s_delay_alu instid0(VALU_DEP_1) | instskip(NEXT) | instid1(VALU_DEP_1)
	v_fma_f32 v72, -v65, v71, v70
	v_fmac_f32_e32 v71, v72, v69
	s_delay_alu instid0(VALU_DEP_1) | instskip(NEXT) | instid1(VALU_DEP_1)
	v_fma_f32 v65, -v65, v71, v70
	v_div_fmas_f32 v65, v65, v69, v71
	s_delay_alu instid0(VALU_DEP_1) | instskip(NEXT) | instid1(VALU_DEP_1)
	v_div_fixup_f32 v64, v65, v64, 1.0
	v_mul_f32_e64 v65, v62, -v64
.LBB54_11:
	s_or_b32 exec_lo, exec_lo, s1
	v_dual_mov_b32 v71, 0 :: v_dual_mov_b32 v69, 2
.LBB54_12:
	s_or_b32 exec_lo, exec_lo, s0
	s_delay_alu instid0(SALU_CYCLE_1)
	s_mov_b32 s0, exec_lo
	v_cmpx_ne_u32_e64 v68, v63
	s_xor_b32 s0, exec_lo, s0
	s_cbranch_execz .LBB54_18
; %bb.13:
	s_mov_b32 s1, exec_lo
	v_cmpx_eq_u32_e32 0, v68
	s_cbranch_execz .LBB54_17
; %bb.14:
	v_cmp_ne_u32_e32 vcc_lo, 0, v63
	s_xor_b32 s12, s16, -1
	s_delay_alu instid0(SALU_CYCLE_1) | instskip(NEXT) | instid1(SALU_CYCLE_1)
	s_and_b32 s13, s12, vcc_lo
	s_and_saveexec_b32 s12, s13
	s_cbranch_execz .LBB54_16
; %bb.15:
	v_dual_mov_b32 v72, v63 :: v_dual_ashrrev_i32 v73, 31, v63
	s_delay_alu instid0(VALU_DEP_1)
	v_lshl_add_u64 v[72:73], v[72:73], 2, v[4:5]
	s_clause 0x1
	global_load_b32 v62, v[72:73], off
	global_load_b32 v68, v[4:5], off
	s_wait_loadcnt 0x1
	global_store_b32 v[4:5], v62, off
	s_wait_loadcnt 0x0
	global_store_b32 v[72:73], v68, off
.LBB54_16:
	s_wait_xcnt 0x0
	s_or_b32 exec_lo, exec_lo, s12
	v_mov_b32_e32 v68, v63
.LBB54_17:
	s_or_b32 exec_lo, exec_lo, s1
.LBB54_18:
	s_or_saveexec_b32 s0, s0
	s_delay_alu instid0(VALU_DEP_1)
	v_mov_b32_e32 v70, v68
	s_xor_b32 exec_lo, exec_lo, s0
	s_cbranch_execz .LBB54_20
; %bb.19:
	v_mov_b32_e32 v70, 0
	ds_store_2addr_b64 v66, v[58:59], v[54:55] offset0:1 offset1:2
	ds_store_2addr_b64 v66, v[52:53], v[32:33] offset0:3 offset1:4
	;; [unrolled: 1-line block ×13, first 2 shown]
	ds_store_b64 v66, v[60:61] offset:216
.LBB54_20:
	s_or_b32 exec_lo, exec_lo, s0
	s_delay_alu instid0(SALU_CYCLE_1)
	s_mov_b32 s0, exec_lo
	s_wait_storecnt_dscnt 0x0
	s_barrier_signal -1
	s_barrier_wait -1
	v_cmpx_lt_i32_e32 0, v70
	s_cbranch_execz .LBB54_22
; %bb.21:
	v_pk_mul_f32 v[72:73], v[64:65], v[56:57] op_sel:[1,1] op_sel_hi:[0,1]
	s_delay_alu instid0(VALU_DEP_1)
	v_pk_fma_f32 v[62:63], v[64:65], v[56:57], v[72:73] op_sel_hi:[1,0,1] neg_lo:[0,0,1] neg_hi:[0,0,1]
	v_pk_fma_f32 v[64:65], v[64:65], v[56:57], v[72:73] op_sel_hi:[1,0,1]
	ds_load_2addr_b64 v[72:75], v66 offset0:1 offset1:2
	v_dual_mov_b32 v56, v62 :: v_dual_mov_b32 v57, v65
	s_wait_dscnt 0x0
	v_pk_mul_f32 v[76:77], v[72:73], v[64:65] op_sel:[0,1]
	s_delay_alu instid0(VALU_DEP_1) | instskip(SKIP_1) | instid1(VALU_DEP_1)
	v_pk_fma_f32 v[78:79], v[72:73], v[62:63], v[76:77] op_sel:[0,0,1] op_sel_hi:[1,1,0] neg_lo:[0,0,1] neg_hi:[0,0,1]
	v_pk_fma_f32 v[72:73], v[72:73], v[62:63], v[76:77] op_sel:[0,0,1] op_sel_hi:[1,0,0]
	v_mov_b32_e32 v79, v73
	v_pk_mul_f32 v[72:73], v[74:75], v[64:65] op_sel:[0,1]
	s_delay_alu instid0(VALU_DEP_1) | instskip(SKIP_1) | instid1(VALU_DEP_1)
	v_pk_fma_f32 v[76:77], v[74:75], v[62:63], v[72:73] op_sel:[0,0,1] op_sel_hi:[1,1,0] neg_lo:[0,0,1] neg_hi:[0,0,1]
	v_pk_fma_f32 v[72:73], v[74:75], v[62:63], v[72:73] op_sel:[0,0,1] op_sel_hi:[1,0,0]
	v_mov_b32_e32 v77, v73
	ds_load_2addr_b64 v[72:75], v66 offset0:3 offset1:4
	v_pk_add_f32 v[58:59], v[58:59], v[78:79] neg_lo:[0,1] neg_hi:[0,1]
	v_pk_add_f32 v[54:55], v[54:55], v[76:77] neg_lo:[0,1] neg_hi:[0,1]
	s_wait_dscnt 0x0
	v_pk_mul_f32 v[76:77], v[72:73], v[64:65] op_sel:[0,1]
	s_delay_alu instid0(VALU_DEP_1) | instskip(SKIP_2) | instid1(VALU_DEP_2)
	v_pk_fma_f32 v[78:79], v[72:73], v[62:63], v[76:77] op_sel:[0,0,1] op_sel_hi:[1,1,0] neg_lo:[0,0,1] neg_hi:[0,0,1]
	v_pk_fma_f32 v[72:73], v[72:73], v[62:63], v[76:77] op_sel:[0,0,1] op_sel_hi:[1,0,0]
	v_dual_mul_f32 v76, v75, v65 :: v_dual_mov_b32 v72, v75
	v_dual_mov_b32 v79, v73 :: v_dual_mov_b32 v73, v74
	s_delay_alu instid0(VALU_DEP_2) | instskip(SKIP_1) | instid1(VALU_DEP_3)
	v_pk_fma_f32 v[76:77], v[74:75], v[56:57], v[76:77] op_sel_hi:[1,1,0] neg_lo:[0,0,1] neg_hi:[0,0,1]
	v_mul_f32_e32 v74, v75, v62
	v_pk_add_f32 v[52:53], v[52:53], v[78:79] neg_lo:[0,1] neg_hi:[0,1]
	s_delay_alu instid0(VALU_DEP_2) | instskip(NEXT) | instid1(VALU_DEP_1)
	v_pk_fma_f32 v[72:73], v[72:73], v[56:57], v[74:75] op_sel_hi:[1,1,0]
	v_mov_b32_e32 v77, v73
	ds_load_2addr_b64 v[72:75], v66 offset0:5 offset1:6
	v_pk_add_f32 v[32:33], v[32:33], v[76:77] neg_lo:[0,1] neg_hi:[0,1]
	s_wait_dscnt 0x0
	v_pk_mul_f32 v[76:77], v[72:73], v[64:65] op_sel:[0,1]
	s_delay_alu instid0(VALU_DEP_1) | instskip(SKIP_1) | instid1(VALU_DEP_1)
	v_pk_fma_f32 v[78:79], v[72:73], v[62:63], v[76:77] op_sel:[0,0,1] op_sel_hi:[1,1,0] neg_lo:[0,0,1] neg_hi:[0,0,1]
	v_pk_fma_f32 v[72:73], v[72:73], v[62:63], v[76:77] op_sel:[0,0,1] op_sel_hi:[1,0,0]
	v_mov_b32_e32 v79, v73
	v_pk_mul_f32 v[72:73], v[74:75], v[64:65] op_sel:[0,1]
	s_delay_alu instid0(VALU_DEP_1) | instskip(SKIP_1) | instid1(VALU_DEP_1)
	v_pk_fma_f32 v[76:77], v[74:75], v[62:63], v[72:73] op_sel:[0,0,1] op_sel_hi:[1,1,0] neg_lo:[0,0,1] neg_hi:[0,0,1]
	v_pk_fma_f32 v[72:73], v[74:75], v[62:63], v[72:73] op_sel:[0,0,1] op_sel_hi:[1,0,0]
	v_mov_b32_e32 v77, v73
	ds_load_2addr_b64 v[72:75], v66 offset0:7 offset1:8
	v_pk_add_f32 v[28:29], v[28:29], v[78:79] neg_lo:[0,1] neg_hi:[0,1]
	v_pk_add_f32 v[30:31], v[30:31], v[76:77] neg_lo:[0,1] neg_hi:[0,1]
	s_wait_dscnt 0x0
	v_pk_mul_f32 v[76:77], v[72:73], v[64:65] op_sel:[0,1]
	s_delay_alu instid0(VALU_DEP_1) | instskip(SKIP_1) | instid1(VALU_DEP_1)
	v_pk_fma_f32 v[78:79], v[72:73], v[62:63], v[76:77] op_sel:[0,0,1] op_sel_hi:[1,1,0] neg_lo:[0,0,1] neg_hi:[0,0,1]
	v_pk_fma_f32 v[72:73], v[72:73], v[62:63], v[76:77] op_sel:[0,0,1] op_sel_hi:[1,0,0]
	v_mov_b32_e32 v79, v73
	v_pk_mul_f32 v[72:73], v[74:75], v[64:65] op_sel:[0,1]
	s_delay_alu instid0(VALU_DEP_1) | instskip(SKIP_1) | instid1(VALU_DEP_1)
	v_pk_fma_f32 v[76:77], v[74:75], v[62:63], v[72:73] op_sel:[0,0,1] op_sel_hi:[1,1,0] neg_lo:[0,0,1] neg_hi:[0,0,1]
	v_pk_fma_f32 v[72:73], v[74:75], v[62:63], v[72:73] op_sel:[0,0,1] op_sel_hi:[1,0,0]
	v_mov_b32_e32 v77, v73
	ds_load_2addr_b64 v[72:75], v66 offset0:9 offset1:10
	v_pk_add_f32 v[6:7], v[6:7], v[78:79] neg_lo:[0,1] neg_hi:[0,1]
	v_pk_add_f32 v[38:39], v[38:39], v[76:77] neg_lo:[0,1] neg_hi:[0,1]
	s_wait_dscnt 0x0
	v_dual_mul_f32 v76, v73, v65 :: v_dual_mul_f32 v78, v73, v62
	s_delay_alu instid0(VALU_DEP_1) | instskip(NEXT) | instid1(VALU_DEP_2)
	v_pk_fma_f32 v[76:77], v[72:73], v[56:57], v[76:77] op_sel_hi:[1,1,0] neg_lo:[0,0,1] neg_hi:[0,0,1]
	v_pk_fma_f32 v[72:73], v[72:73], v[56:57], v[78:79] op_sel:[1,0,0] op_sel_hi:[0,1,0]
	s_delay_alu instid0(VALU_DEP_1) | instskip(SKIP_1) | instid1(VALU_DEP_2)
	v_mov_b32_e32 v77, v73
	v_pk_mul_f32 v[72:73], v[74:75], v[64:65] op_sel:[0,1]
	v_pk_add_f32 v[34:35], v[34:35], v[76:77] neg_lo:[0,1] neg_hi:[0,1]
	s_delay_alu instid0(VALU_DEP_2) | instskip(SKIP_1) | instid1(VALU_DEP_1)
	v_pk_fma_f32 v[76:77], v[74:75], v[62:63], v[72:73] op_sel:[0,0,1] op_sel_hi:[1,1,0] neg_lo:[0,0,1] neg_hi:[0,0,1]
	v_pk_fma_f32 v[72:73], v[74:75], v[62:63], v[72:73] op_sel:[0,0,1] op_sel_hi:[1,0,0]
	v_mov_b32_e32 v77, v73
	ds_load_2addr_b64 v[72:75], v66 offset0:11 offset1:12
	v_pk_add_f32 v[36:37], v[36:37], v[76:77] neg_lo:[0,1] neg_hi:[0,1]
	s_wait_dscnt 0x0
	v_pk_mul_f32 v[76:77], v[72:73], v[64:65] op_sel:[0,1]
	s_delay_alu instid0(VALU_DEP_1) | instskip(SKIP_1) | instid1(VALU_DEP_1)
	v_pk_fma_f32 v[78:79], v[72:73], v[62:63], v[76:77] op_sel:[0,0,1] op_sel_hi:[1,1,0] neg_lo:[0,0,1] neg_hi:[0,0,1]
	v_pk_fma_f32 v[72:73], v[72:73], v[62:63], v[76:77] op_sel:[0,0,1] op_sel_hi:[1,0,0]
	v_mov_b32_e32 v79, v73
	v_pk_mul_f32 v[72:73], v[74:75], v[64:65] op_sel:[0,1]
	s_delay_alu instid0(VALU_DEP_2) | instskip(NEXT) | instid1(VALU_DEP_2)
	v_pk_add_f32 v[8:9], v[8:9], v[78:79] neg_lo:[0,1] neg_hi:[0,1]
	v_pk_fma_f32 v[76:77], v[74:75], v[62:63], v[72:73] op_sel:[0,0,1] op_sel_hi:[1,1,0] neg_lo:[0,0,1] neg_hi:[0,0,1]
	v_pk_fma_f32 v[72:73], v[74:75], v[62:63], v[72:73] op_sel:[0,0,1] op_sel_hi:[1,0,0]
	s_delay_alu instid0(VALU_DEP_1) | instskip(SKIP_4) | instid1(VALU_DEP_1)
	v_mov_b32_e32 v77, v73
	ds_load_2addr_b64 v[72:75], v66 offset0:13 offset1:14
	v_pk_add_f32 v[44:45], v[44:45], v[76:77] neg_lo:[0,1] neg_hi:[0,1]
	s_wait_dscnt 0x0
	v_pk_mul_f32 v[76:77], v[72:73], v[64:65] op_sel:[0,1]
	v_pk_fma_f32 v[78:79], v[72:73], v[62:63], v[76:77] op_sel:[0,0,1] op_sel_hi:[1,1,0] neg_lo:[0,0,1] neg_hi:[0,0,1]
	v_pk_fma_f32 v[72:73], v[72:73], v[62:63], v[76:77] op_sel:[0,0,1] op_sel_hi:[1,0,0]
	v_dual_mul_f32 v76, v75, v65 :: v_dual_mov_b32 v72, v75
	s_delay_alu instid0(VALU_DEP_2) | instskip(NEXT) | instid1(VALU_DEP_2)
	v_dual_mov_b32 v79, v73 :: v_dual_mov_b32 v73, v74
	v_pk_fma_f32 v[76:77], v[74:75], v[56:57], v[76:77] op_sel_hi:[1,1,0] neg_lo:[0,0,1] neg_hi:[0,0,1]
	v_mul_f32_e32 v74, v75, v62
	s_delay_alu instid0(VALU_DEP_3) | instskip(NEXT) | instid1(VALU_DEP_2)
	v_pk_add_f32 v[40:41], v[40:41], v[78:79] neg_lo:[0,1] neg_hi:[0,1]
	v_pk_fma_f32 v[72:73], v[72:73], v[56:57], v[74:75] op_sel_hi:[1,1,0]
	s_delay_alu instid0(VALU_DEP_1) | instskip(SKIP_4) | instid1(VALU_DEP_1)
	v_mov_b32_e32 v77, v73
	ds_load_2addr_b64 v[72:75], v66 offset0:15 offset1:16
	v_pk_add_f32 v[42:43], v[42:43], v[76:77] neg_lo:[0,1] neg_hi:[0,1]
	s_wait_dscnt 0x0
	v_pk_mul_f32 v[76:77], v[72:73], v[64:65] op_sel:[0,1]
	v_pk_fma_f32 v[78:79], v[72:73], v[62:63], v[76:77] op_sel:[0,0,1] op_sel_hi:[1,1,0] neg_lo:[0,0,1] neg_hi:[0,0,1]
	v_pk_fma_f32 v[72:73], v[72:73], v[62:63], v[76:77] op_sel:[0,0,1] op_sel_hi:[1,0,0]
	s_delay_alu instid0(VALU_DEP_1) | instskip(SKIP_1) | instid1(VALU_DEP_1)
	v_mov_b32_e32 v79, v73
	v_pk_mul_f32 v[72:73], v[74:75], v[64:65] op_sel:[0,1]
	v_pk_fma_f32 v[76:77], v[74:75], v[62:63], v[72:73] op_sel:[0,0,1] op_sel_hi:[1,1,0] neg_lo:[0,0,1] neg_hi:[0,0,1]
	v_pk_fma_f32 v[72:73], v[74:75], v[62:63], v[72:73] op_sel:[0,0,1] op_sel_hi:[1,0,0]
	s_delay_alu instid0(VALU_DEP_1)
	v_mov_b32_e32 v77, v73
	ds_load_2addr_b64 v[72:75], v66 offset0:17 offset1:18
	v_pk_add_f32 v[10:11], v[10:11], v[78:79] neg_lo:[0,1] neg_hi:[0,1]
	v_pk_add_f32 v[50:51], v[50:51], v[76:77] neg_lo:[0,1] neg_hi:[0,1]
	s_wait_dscnt 0x0
	v_pk_mul_f32 v[76:77], v[72:73], v[64:65] op_sel:[0,1]
	s_delay_alu instid0(VALU_DEP_1) | instskip(SKIP_1) | instid1(VALU_DEP_1)
	v_pk_fma_f32 v[78:79], v[72:73], v[62:63], v[76:77] op_sel:[0,0,1] op_sel_hi:[1,1,0] neg_lo:[0,0,1] neg_hi:[0,0,1]
	v_pk_fma_f32 v[72:73], v[72:73], v[62:63], v[76:77] op_sel:[0,0,1] op_sel_hi:[1,0,0]
	v_mov_b32_e32 v79, v73
	v_pk_mul_f32 v[72:73], v[74:75], v[64:65] op_sel:[0,1]
	s_delay_alu instid0(VALU_DEP_1) | instskip(SKIP_1) | instid1(VALU_DEP_1)
	v_pk_fma_f32 v[76:77], v[74:75], v[62:63], v[72:73] op_sel:[0,0,1] op_sel_hi:[1,1,0] neg_lo:[0,0,1] neg_hi:[0,0,1]
	v_pk_fma_f32 v[72:73], v[74:75], v[62:63], v[72:73] op_sel:[0,0,1] op_sel_hi:[1,0,0]
	v_mov_b32_e32 v77, v73
	ds_load_2addr_b64 v[72:75], v66 offset0:19 offset1:20
	v_pk_add_f32 v[46:47], v[46:47], v[78:79] neg_lo:[0,1] neg_hi:[0,1]
	v_pk_add_f32 v[48:49], v[48:49], v[76:77] neg_lo:[0,1] neg_hi:[0,1]
	s_wait_dscnt 0x0
	v_dual_mul_f32 v76, v73, v65 :: v_dual_mul_f32 v78, v73, v62
	s_delay_alu instid0(VALU_DEP_1) | instskip(NEXT) | instid1(VALU_DEP_2)
	v_pk_fma_f32 v[76:77], v[72:73], v[56:57], v[76:77] op_sel_hi:[1,1,0] neg_lo:[0,0,1] neg_hi:[0,0,1]
	v_pk_fma_f32 v[72:73], v[72:73], v[56:57], v[78:79] op_sel:[1,0,0] op_sel_hi:[0,1,0]
	s_delay_alu instid0(VALU_DEP_1) | instskip(SKIP_1) | instid1(VALU_DEP_2)
	v_mov_b32_e32 v77, v73
	v_pk_mul_f32 v[72:73], v[74:75], v[64:65] op_sel:[0,1]
	v_pk_add_f32 v[12:13], v[12:13], v[76:77] neg_lo:[0,1] neg_hi:[0,1]
	s_delay_alu instid0(VALU_DEP_2) | instskip(SKIP_1) | instid1(VALU_DEP_1)
	v_pk_fma_f32 v[76:77], v[74:75], v[62:63], v[72:73] op_sel:[0,0,1] op_sel_hi:[1,1,0] neg_lo:[0,0,1] neg_hi:[0,0,1]
	v_pk_fma_f32 v[72:73], v[74:75], v[62:63], v[72:73] op_sel:[0,0,1] op_sel_hi:[1,0,0]
	v_mov_b32_e32 v77, v73
	ds_load_2addr_b64 v[72:75], v66 offset0:21 offset1:22
	v_pk_add_f32 v[26:27], v[26:27], v[76:77] neg_lo:[0,1] neg_hi:[0,1]
	s_wait_dscnt 0x0
	v_pk_mul_f32 v[76:77], v[72:73], v[64:65] op_sel:[0,1]
	s_delay_alu instid0(VALU_DEP_1) | instskip(SKIP_1) | instid1(VALU_DEP_1)
	v_pk_fma_f32 v[78:79], v[72:73], v[62:63], v[76:77] op_sel:[0,0,1] op_sel_hi:[1,1,0] neg_lo:[0,0,1] neg_hi:[0,0,1]
	v_pk_fma_f32 v[72:73], v[72:73], v[62:63], v[76:77] op_sel:[0,0,1] op_sel_hi:[1,0,0]
	v_mov_b32_e32 v79, v73
	v_pk_mul_f32 v[72:73], v[74:75], v[64:65] op_sel:[0,1]
	s_delay_alu instid0(VALU_DEP_2) | instskip(NEXT) | instid1(VALU_DEP_2)
	v_pk_add_f32 v[22:23], v[22:23], v[78:79] neg_lo:[0,1] neg_hi:[0,1]
	v_pk_fma_f32 v[76:77], v[74:75], v[62:63], v[72:73] op_sel:[0,0,1] op_sel_hi:[1,1,0] neg_lo:[0,0,1] neg_hi:[0,0,1]
	v_pk_fma_f32 v[72:73], v[74:75], v[62:63], v[72:73] op_sel:[0,0,1] op_sel_hi:[1,0,0]
	s_delay_alu instid0(VALU_DEP_1) | instskip(SKIP_4) | instid1(VALU_DEP_1)
	v_mov_b32_e32 v77, v73
	ds_load_2addr_b64 v[72:75], v66 offset0:23 offset1:24
	v_pk_add_f32 v[24:25], v[24:25], v[76:77] neg_lo:[0,1] neg_hi:[0,1]
	s_wait_dscnt 0x0
	v_pk_mul_f32 v[76:77], v[72:73], v[64:65] op_sel:[0,1]
	v_pk_fma_f32 v[78:79], v[72:73], v[62:63], v[76:77] op_sel:[0,0,1] op_sel_hi:[1,1,0] neg_lo:[0,0,1] neg_hi:[0,0,1]
	v_pk_fma_f32 v[72:73], v[72:73], v[62:63], v[76:77] op_sel:[0,0,1] op_sel_hi:[1,0,0]
	v_dual_mul_f32 v76, v75, v65 :: v_dual_mov_b32 v72, v75
	s_delay_alu instid0(VALU_DEP_2) | instskip(NEXT) | instid1(VALU_DEP_2)
	v_dual_mov_b32 v79, v73 :: v_dual_mov_b32 v73, v74
	v_pk_fma_f32 v[76:77], v[74:75], v[56:57], v[76:77] op_sel_hi:[1,1,0] neg_lo:[0,0,1] neg_hi:[0,0,1]
	v_mul_f32_e32 v74, v75, v62
	s_delay_alu instid0(VALU_DEP_3) | instskip(NEXT) | instid1(VALU_DEP_2)
	v_pk_add_f32 v[14:15], v[14:15], v[78:79] neg_lo:[0,1] neg_hi:[0,1]
	v_pk_fma_f32 v[72:73], v[72:73], v[56:57], v[74:75] op_sel_hi:[1,1,0]
	s_delay_alu instid0(VALU_DEP_1) | instskip(SKIP_4) | instid1(VALU_DEP_1)
	v_mov_b32_e32 v77, v73
	ds_load_2addr_b64 v[72:75], v66 offset0:25 offset1:26
	v_pk_add_f32 v[20:21], v[20:21], v[76:77] neg_lo:[0,1] neg_hi:[0,1]
	s_wait_dscnt 0x0
	v_pk_mul_f32 v[76:77], v[72:73], v[64:65] op_sel:[0,1]
	v_pk_fma_f32 v[78:79], v[72:73], v[62:63], v[76:77] op_sel:[0,0,1] op_sel_hi:[1,1,0] neg_lo:[0,0,1] neg_hi:[0,0,1]
	v_pk_fma_f32 v[72:73], v[72:73], v[62:63], v[76:77] op_sel:[0,0,1] op_sel_hi:[1,0,0]
	s_delay_alu instid0(VALU_DEP_1) | instskip(SKIP_1) | instid1(VALU_DEP_1)
	v_mov_b32_e32 v79, v73
	v_pk_mul_f32 v[72:73], v[74:75], v[64:65] op_sel:[0,1]
	v_pk_fma_f32 v[76:77], v[74:75], v[62:63], v[72:73] op_sel:[0,0,1] op_sel_hi:[1,1,0] neg_lo:[0,0,1] neg_hi:[0,0,1]
	v_pk_fma_f32 v[72:73], v[74:75], v[62:63], v[72:73] op_sel:[0,0,1] op_sel_hi:[1,0,0]
	s_delay_alu instid0(VALU_DEP_1)
	v_mov_b32_e32 v77, v73
	ds_load_b64 v[72:73], v66 offset:216
	v_pk_add_f32 v[18:19], v[18:19], v[78:79] neg_lo:[0,1] neg_hi:[0,1]
	v_pk_add_f32 v[16:17], v[16:17], v[76:77] neg_lo:[0,1] neg_hi:[0,1]
	s_wait_dscnt 0x0
	v_pk_mul_f32 v[64:65], v[72:73], v[64:65] op_sel:[0,1]
	s_delay_alu instid0(VALU_DEP_1) | instskip(SKIP_1) | instid1(VALU_DEP_1)
	v_pk_fma_f32 v[74:75], v[72:73], v[62:63], v[64:65] op_sel:[0,0,1] op_sel_hi:[1,1,0] neg_lo:[0,0,1] neg_hi:[0,0,1]
	v_pk_fma_f32 v[62:63], v[72:73], v[62:63], v[64:65] op_sel:[0,0,1] op_sel_hi:[1,0,0]
	v_mov_b32_e32 v75, v63
	s_delay_alu instid0(VALU_DEP_1)
	v_pk_add_f32 v[60:61], v[60:61], v[74:75] neg_lo:[0,1] neg_hi:[0,1]
.LBB54_22:
	s_or_b32 exec_lo, exec_lo, s0
	v_lshl_add_u32 v62, v70, 3, v66
	s_barrier_signal -1
	s_barrier_wait -1
	ds_store_b64 v62, v[58:59]
	s_wait_dscnt 0x0
	s_barrier_signal -1
	s_barrier_wait -1
	ds_load_b64 v[64:65], v66 offset:8
	v_mov_b32_e32 v62, 1
	s_cmp_lt_i32 s18, 3
	s_cbranch_scc1 .LBB54_25
; %bb.23:
	v_add3_u32 v63, v67, 0, 16
	v_mov_b32_e32 v62, 1
	s_mov_b32 s0, 2
.LBB54_24:                              ; =>This Inner Loop Header: Depth=1
	ds_load_b64 v[72:73], v63
	s_wait_dscnt 0x1
	v_cmp_gt_f32_e32 vcc_lo, 0, v64
	v_cndmask_b32_e64 v74, v64, -v64, vcc_lo
	v_cmp_gt_f32_e32 vcc_lo, 0, v65
	v_cndmask_b32_e64 v76, v65, -v65, vcc_lo
	s_wait_dscnt 0x0
	v_cmp_gt_f32_e32 vcc_lo, 0, v72
	v_cndmask_b32_e64 v75, v72, -v72, vcc_lo
	v_cmp_gt_f32_e32 vcc_lo, 0, v73
	v_cndmask_b32_e64 v77, v73, -v73, vcc_lo
	s_delay_alu instid0(VALU_DEP_1) | instskip(NEXT) | instid1(VALU_DEP_1)
	v_pk_add_f32 v[74:75], v[74:75], v[76:77]
	v_cmp_lt_f32_e32 vcc_lo, v74, v75
	v_dual_add_nc_u32 v63, 8, v63 :: v_dual_cndmask_b32 v65, v65, v73, vcc_lo
	v_cndmask_b32_e32 v64, v64, v72, vcc_lo
	v_cndmask_b32_e64 v62, v62, s0, vcc_lo
	s_add_co_i32 s0, s0, 1
	s_delay_alu instid0(SALU_CYCLE_1)
	s_cmp_lg_u32 s18, s0
	s_cbranch_scc1 .LBB54_24
.LBB54_25:
	s_wait_dscnt 0x0
	v_cmp_neq_f32_e32 vcc_lo, 0, v64
	v_cmp_neq_f32_e64 s0, 0, v65
	s_or_b32 s1, vcc_lo, s0
	s_delay_alu instid0(SALU_CYCLE_1)
	s_and_saveexec_b32 s0, s1
	s_cbranch_execz .LBB54_31
; %bb.26:
	v_cmp_ngt_f32_e64 s1, |v64|, |v65|
	s_and_saveexec_b32 s12, s1
	s_delay_alu instid0(SALU_CYCLE_1)
	s_xor_b32 s1, exec_lo, s12
	s_cbranch_execz .LBB54_28
; %bb.27:
	v_div_scale_f32 v63, null, v65, v65, v64
	v_div_scale_f32 v73, vcc_lo, v64, v65, v64
	s_delay_alu instid0(VALU_DEP_2) | instskip(SKIP_1) | instid1(TRANS32_DEP_1)
	v_rcp_f32_e32 v69, v63
	v_nop
	v_fma_f32 v72, -v63, v69, 1.0
	s_delay_alu instid0(VALU_DEP_1) | instskip(NEXT) | instid1(VALU_DEP_1)
	v_fmac_f32_e32 v69, v72, v69
	v_mul_f32_e32 v72, v73, v69
	s_delay_alu instid0(VALU_DEP_1) | instskip(NEXT) | instid1(VALU_DEP_1)
	v_fma_f32 v74, -v63, v72, v73
	v_fmac_f32_e32 v72, v74, v69
	s_delay_alu instid0(VALU_DEP_1) | instskip(NEXT) | instid1(VALU_DEP_1)
	v_fma_f32 v63, -v63, v72, v73
	v_div_fmas_f32 v63, v63, v69, v72
	s_delay_alu instid0(VALU_DEP_1) | instskip(NEXT) | instid1(VALU_DEP_1)
	v_div_fixup_f32 v63, v63, v65, v64
	v_fmac_f32_e32 v65, v64, v63
	s_delay_alu instid0(VALU_DEP_1) | instskip(SKIP_1) | instid1(VALU_DEP_2)
	v_div_scale_f32 v64, null, v65, v65, 1.0
	v_div_scale_f32 v73, vcc_lo, 1.0, v65, 1.0
	v_rcp_f32_e32 v69, v64
	v_nop
	s_delay_alu instid0(TRANS32_DEP_1) | instskip(NEXT) | instid1(VALU_DEP_1)
	v_fma_f32 v72, -v64, v69, 1.0
	v_fmac_f32_e32 v69, v72, v69
	s_delay_alu instid0(VALU_DEP_1) | instskip(NEXT) | instid1(VALU_DEP_1)
	v_mul_f32_e32 v72, v73, v69
	v_fma_f32 v74, -v64, v72, v73
	s_delay_alu instid0(VALU_DEP_1) | instskip(NEXT) | instid1(VALU_DEP_1)
	v_fmac_f32_e32 v72, v74, v69
	v_fma_f32 v64, -v64, v72, v73
	s_delay_alu instid0(VALU_DEP_1) | instskip(NEXT) | instid1(VALU_DEP_1)
	v_div_fmas_f32 v64, v64, v69, v72
	v_div_fixup_f32 v65, v64, v65, 1.0
	s_delay_alu instid0(VALU_DEP_1)
	v_mul_f32_e32 v64, v63, v65
	v_xor_b32_e32 v65, 0x80000000, v65
.LBB54_28:
	s_and_not1_saveexec_b32 s1, s1
	s_cbranch_execz .LBB54_30
; %bb.29:
	s_delay_alu instid0(VALU_DEP_1) | instskip(SKIP_1) | instid1(VALU_DEP_2)
	v_div_scale_f32 v63, null, v64, v64, v65
	v_div_scale_f32 v73, vcc_lo, v65, v64, v65
	v_rcp_f32_e32 v69, v63
	v_nop
	s_delay_alu instid0(TRANS32_DEP_1) | instskip(NEXT) | instid1(VALU_DEP_1)
	v_fma_f32 v72, -v63, v69, 1.0
	v_fmac_f32_e32 v69, v72, v69
	s_delay_alu instid0(VALU_DEP_1) | instskip(NEXT) | instid1(VALU_DEP_1)
	v_mul_f32_e32 v72, v73, v69
	v_fma_f32 v74, -v63, v72, v73
	s_delay_alu instid0(VALU_DEP_1) | instskip(NEXT) | instid1(VALU_DEP_1)
	v_fmac_f32_e32 v72, v74, v69
	v_fma_f32 v63, -v63, v72, v73
	s_delay_alu instid0(VALU_DEP_1) | instskip(NEXT) | instid1(VALU_DEP_1)
	v_div_fmas_f32 v63, v63, v69, v72
	v_div_fixup_f32 v63, v63, v64, v65
	s_delay_alu instid0(VALU_DEP_1) | instskip(NEXT) | instid1(VALU_DEP_1)
	v_fmac_f32_e32 v64, v65, v63
	v_div_scale_f32 v65, null, v64, v64, 1.0
	s_delay_alu instid0(VALU_DEP_1) | instskip(SKIP_1) | instid1(TRANS32_DEP_1)
	v_rcp_f32_e32 v69, v65
	v_nop
	v_fma_f32 v72, -v65, v69, 1.0
	s_delay_alu instid0(VALU_DEP_1) | instskip(SKIP_1) | instid1(VALU_DEP_1)
	v_fmac_f32_e32 v69, v72, v69
	v_div_scale_f32 v72, vcc_lo, 1.0, v64, 1.0
	v_mul_f32_e32 v73, v72, v69
	s_delay_alu instid0(VALU_DEP_1) | instskip(NEXT) | instid1(VALU_DEP_1)
	v_fma_f32 v74, -v65, v73, v72
	v_fmac_f32_e32 v73, v74, v69
	s_delay_alu instid0(VALU_DEP_1) | instskip(NEXT) | instid1(VALU_DEP_1)
	v_fma_f32 v65, -v65, v73, v72
	v_div_fmas_f32 v65, v65, v69, v73
	s_delay_alu instid0(VALU_DEP_1) | instskip(NEXT) | instid1(VALU_DEP_1)
	v_div_fixup_f32 v64, v65, v64, 1.0
	v_mul_f32_e64 v65, v63, -v64
.LBB54_30:
	s_or_b32 exec_lo, exec_lo, s1
	v_mov_b32_e32 v69, v71
.LBB54_31:
	s_or_b32 exec_lo, exec_lo, s0
	s_delay_alu instid0(SALU_CYCLE_1)
	s_mov_b32 s0, exec_lo
	v_cmpx_ne_u32_e64 v70, v62
	s_xor_b32 s0, exec_lo, s0
	s_cbranch_execz .LBB54_37
; %bb.32:
	s_mov_b32 s1, exec_lo
	v_cmpx_eq_u32_e32 1, v70
	s_cbranch_execz .LBB54_36
; %bb.33:
	v_cmp_ne_u32_e32 vcc_lo, 1, v62
	s_xor_b32 s12, s16, -1
	s_delay_alu instid0(SALU_CYCLE_1) | instskip(NEXT) | instid1(SALU_CYCLE_1)
	s_and_b32 s13, s12, vcc_lo
	s_and_saveexec_b32 s12, s13
	s_cbranch_execz .LBB54_35
; %bb.34:
	v_ashrrev_i32_e32 v63, 31, v62
	s_delay_alu instid0(VALU_DEP_1)
	v_lshl_add_u64 v[70:71], v[62:63], 2, v[4:5]
	s_clause 0x1
	global_load_b32 v63, v[70:71], off
	global_load_b32 v68, v[4:5], off offset:4
	s_wait_loadcnt 0x1
	global_store_b32 v[4:5], v63, off offset:4
	s_wait_loadcnt 0x0
	global_store_b32 v[70:71], v68, off
.LBB54_35:
	s_wait_xcnt 0x0
	s_or_b32 exec_lo, exec_lo, s12
	v_dual_mov_b32 v70, v62 :: v_dual_mov_b32 v68, v62
.LBB54_36:
	s_or_b32 exec_lo, exec_lo, s1
.LBB54_37:
	s_and_not1_saveexec_b32 s0, s0
	s_cbranch_execz .LBB54_39
; %bb.38:
	v_dual_mov_b32 v62, v54 :: v_dual_mov_b32 v63, v55
	v_dual_mov_b32 v70, v52 :: v_dual_mov_b32 v71, v53
	;; [unrolled: 1-line block ×4, first 2 shown]
	ds_store_2addr_b64 v66, v[62:63], v[70:71] offset0:2 offset1:3
	ds_store_2addr_b64 v66, v[72:73], v[74:75] offset0:4 offset1:5
	v_dual_mov_b32 v62, v30 :: v_dual_mov_b32 v63, v31
	v_dual_mov_b32 v70, v6 :: v_dual_mov_b32 v71, v7
	;; [unrolled: 1-line block ×12, first 2 shown]
	ds_store_2addr_b64 v66, v[62:63], v[70:71] offset0:6 offset1:7
	ds_store_2addr_b64 v66, v[72:73], v[74:75] offset0:8 offset1:9
	;; [unrolled: 1-line block ×6, first 2 shown]
	v_dual_mov_b32 v62, v48 :: v_dual_mov_b32 v63, v49
	v_dual_mov_b32 v72, v12 :: v_dual_mov_b32 v73, v13
	;; [unrolled: 1-line block ×9, first 2 shown]
	v_mov_b32_e32 v87, v17
	ds_store_2addr_b64 v66, v[62:63], v[72:73] offset0:18 offset1:19
	ds_store_2addr_b64 v66, v[74:75], v[76:77] offset0:20 offset1:21
	;; [unrolled: 1-line block ×5, first 2 shown]
.LBB54_39:
	s_or_b32 exec_lo, exec_lo, s0
	s_delay_alu instid0(SALU_CYCLE_1)
	s_mov_b32 s0, exec_lo
	s_wait_storecnt_dscnt 0x0
	s_barrier_signal -1
	s_barrier_wait -1
	v_cmpx_lt_i32_e32 1, v70
	s_cbranch_execz .LBB54_41
; %bb.40:
	v_pk_mul_f32 v[72:73], v[64:65], v[58:59] op_sel:[1,1] op_sel_hi:[0,1]
	s_delay_alu instid0(VALU_DEP_1)
	v_pk_fma_f32 v[62:63], v[64:65], v[58:59], v[72:73] op_sel_hi:[1,0,1] neg_lo:[0,0,1] neg_hi:[0,0,1]
	v_pk_fma_f32 v[64:65], v[64:65], v[58:59], v[72:73] op_sel_hi:[1,0,1]
	ds_load_2addr_b64 v[72:75], v66 offset0:2 offset1:3
	v_dual_mov_b32 v58, v62 :: v_dual_mov_b32 v59, v65
	s_wait_dscnt 0x0
	v_pk_mul_f32 v[76:77], v[72:73], v[64:65] op_sel:[0,1]
	s_delay_alu instid0(VALU_DEP_1) | instskip(SKIP_1) | instid1(VALU_DEP_1)
	v_pk_fma_f32 v[78:79], v[72:73], v[62:63], v[76:77] op_sel:[0,0,1] op_sel_hi:[1,1,0] neg_lo:[0,0,1] neg_hi:[0,0,1]
	v_pk_fma_f32 v[72:73], v[72:73], v[62:63], v[76:77] op_sel:[0,0,1] op_sel_hi:[1,0,0]
	v_mov_b32_e32 v79, v73
	v_pk_mul_f32 v[72:73], v[74:75], v[64:65] op_sel:[0,1]
	s_delay_alu instid0(VALU_DEP_1) | instskip(SKIP_1) | instid1(VALU_DEP_1)
	v_pk_fma_f32 v[76:77], v[74:75], v[62:63], v[72:73] op_sel:[0,0,1] op_sel_hi:[1,1,0] neg_lo:[0,0,1] neg_hi:[0,0,1]
	v_pk_fma_f32 v[72:73], v[74:75], v[62:63], v[72:73] op_sel:[0,0,1] op_sel_hi:[1,0,0]
	v_mov_b32_e32 v77, v73
	ds_load_2addr_b64 v[72:75], v66 offset0:4 offset1:5
	v_pk_add_f32 v[54:55], v[54:55], v[78:79] neg_lo:[0,1] neg_hi:[0,1]
	v_pk_add_f32 v[52:53], v[52:53], v[76:77] neg_lo:[0,1] neg_hi:[0,1]
	s_wait_dscnt 0x0
	v_pk_mul_f32 v[76:77], v[72:73], v[64:65] op_sel:[0,1]
	s_delay_alu instid0(VALU_DEP_1) | instskip(SKIP_2) | instid1(VALU_DEP_2)
	v_pk_fma_f32 v[78:79], v[72:73], v[62:63], v[76:77] op_sel:[0,0,1] op_sel_hi:[1,1,0] neg_lo:[0,0,1] neg_hi:[0,0,1]
	v_pk_fma_f32 v[72:73], v[72:73], v[62:63], v[76:77] op_sel:[0,0,1] op_sel_hi:[1,0,0]
	v_dual_mul_f32 v76, v75, v65 :: v_dual_mov_b32 v72, v75
	v_dual_mov_b32 v79, v73 :: v_dual_mov_b32 v73, v74
	s_delay_alu instid0(VALU_DEP_2) | instskip(SKIP_1) | instid1(VALU_DEP_3)
	v_pk_fma_f32 v[76:77], v[74:75], v[58:59], v[76:77] op_sel_hi:[1,1,0] neg_lo:[0,0,1] neg_hi:[0,0,1]
	v_mul_f32_e32 v74, v75, v62
	v_pk_add_f32 v[32:33], v[32:33], v[78:79] neg_lo:[0,1] neg_hi:[0,1]
	s_delay_alu instid0(VALU_DEP_2) | instskip(NEXT) | instid1(VALU_DEP_1)
	v_pk_fma_f32 v[72:73], v[72:73], v[58:59], v[74:75] op_sel_hi:[1,1,0]
	v_mov_b32_e32 v77, v73
	ds_load_2addr_b64 v[72:75], v66 offset0:6 offset1:7
	v_pk_add_f32 v[28:29], v[28:29], v[76:77] neg_lo:[0,1] neg_hi:[0,1]
	s_wait_dscnt 0x0
	v_pk_mul_f32 v[76:77], v[72:73], v[64:65] op_sel:[0,1]
	s_delay_alu instid0(VALU_DEP_1) | instskip(SKIP_1) | instid1(VALU_DEP_1)
	v_pk_fma_f32 v[78:79], v[72:73], v[62:63], v[76:77] op_sel:[0,0,1] op_sel_hi:[1,1,0] neg_lo:[0,0,1] neg_hi:[0,0,1]
	v_pk_fma_f32 v[72:73], v[72:73], v[62:63], v[76:77] op_sel:[0,0,1] op_sel_hi:[1,0,0]
	v_mov_b32_e32 v79, v73
	v_pk_mul_f32 v[72:73], v[74:75], v[64:65] op_sel:[0,1]
	s_delay_alu instid0(VALU_DEP_1) | instskip(SKIP_1) | instid1(VALU_DEP_1)
	v_pk_fma_f32 v[76:77], v[74:75], v[62:63], v[72:73] op_sel:[0,0,1] op_sel_hi:[1,1,0] neg_lo:[0,0,1] neg_hi:[0,0,1]
	v_pk_fma_f32 v[72:73], v[74:75], v[62:63], v[72:73] op_sel:[0,0,1] op_sel_hi:[1,0,0]
	v_mov_b32_e32 v77, v73
	ds_load_2addr_b64 v[72:75], v66 offset0:8 offset1:9
	v_pk_add_f32 v[30:31], v[30:31], v[78:79] neg_lo:[0,1] neg_hi:[0,1]
	v_pk_add_f32 v[6:7], v[6:7], v[76:77] neg_lo:[0,1] neg_hi:[0,1]
	s_wait_dscnt 0x0
	v_pk_mul_f32 v[76:77], v[72:73], v[64:65] op_sel:[0,1]
	s_delay_alu instid0(VALU_DEP_1) | instskip(SKIP_1) | instid1(VALU_DEP_1)
	v_pk_fma_f32 v[78:79], v[72:73], v[62:63], v[76:77] op_sel:[0,0,1] op_sel_hi:[1,1,0] neg_lo:[0,0,1] neg_hi:[0,0,1]
	v_pk_fma_f32 v[72:73], v[72:73], v[62:63], v[76:77] op_sel:[0,0,1] op_sel_hi:[1,0,0]
	v_mov_b32_e32 v79, v73
	v_pk_mul_f32 v[72:73], v[74:75], v[64:65] op_sel:[0,1]
	s_delay_alu instid0(VALU_DEP_1) | instskip(SKIP_1) | instid1(VALU_DEP_1)
	v_pk_fma_f32 v[76:77], v[74:75], v[62:63], v[72:73] op_sel:[0,0,1] op_sel_hi:[1,1,0] neg_lo:[0,0,1] neg_hi:[0,0,1]
	v_pk_fma_f32 v[72:73], v[74:75], v[62:63], v[72:73] op_sel:[0,0,1] op_sel_hi:[1,0,0]
	v_mov_b32_e32 v77, v73
	ds_load_2addr_b64 v[72:75], v66 offset0:10 offset1:11
	v_pk_add_f32 v[38:39], v[38:39], v[78:79] neg_lo:[0,1] neg_hi:[0,1]
	v_pk_add_f32 v[34:35], v[34:35], v[76:77] neg_lo:[0,1] neg_hi:[0,1]
	s_wait_dscnt 0x0
	v_dual_mul_f32 v76, v73, v65 :: v_dual_mul_f32 v78, v73, v62
	s_delay_alu instid0(VALU_DEP_1) | instskip(NEXT) | instid1(VALU_DEP_2)
	v_pk_fma_f32 v[76:77], v[72:73], v[58:59], v[76:77] op_sel_hi:[1,1,0] neg_lo:[0,0,1] neg_hi:[0,0,1]
	v_pk_fma_f32 v[72:73], v[72:73], v[58:59], v[78:79] op_sel:[1,0,0] op_sel_hi:[0,1,0]
	s_delay_alu instid0(VALU_DEP_1) | instskip(SKIP_1) | instid1(VALU_DEP_2)
	v_mov_b32_e32 v77, v73
	v_pk_mul_f32 v[72:73], v[74:75], v[64:65] op_sel:[0,1]
	v_pk_add_f32 v[36:37], v[36:37], v[76:77] neg_lo:[0,1] neg_hi:[0,1]
	s_delay_alu instid0(VALU_DEP_2) | instskip(SKIP_1) | instid1(VALU_DEP_1)
	v_pk_fma_f32 v[76:77], v[74:75], v[62:63], v[72:73] op_sel:[0,0,1] op_sel_hi:[1,1,0] neg_lo:[0,0,1] neg_hi:[0,0,1]
	v_pk_fma_f32 v[72:73], v[74:75], v[62:63], v[72:73] op_sel:[0,0,1] op_sel_hi:[1,0,0]
	v_mov_b32_e32 v77, v73
	ds_load_2addr_b64 v[72:75], v66 offset0:12 offset1:13
	v_pk_add_f32 v[8:9], v[8:9], v[76:77] neg_lo:[0,1] neg_hi:[0,1]
	s_wait_dscnt 0x0
	v_pk_mul_f32 v[76:77], v[72:73], v[64:65] op_sel:[0,1]
	s_delay_alu instid0(VALU_DEP_1) | instskip(SKIP_1) | instid1(VALU_DEP_1)
	v_pk_fma_f32 v[78:79], v[72:73], v[62:63], v[76:77] op_sel:[0,0,1] op_sel_hi:[1,1,0] neg_lo:[0,0,1] neg_hi:[0,0,1]
	v_pk_fma_f32 v[72:73], v[72:73], v[62:63], v[76:77] op_sel:[0,0,1] op_sel_hi:[1,0,0]
	v_mov_b32_e32 v79, v73
	v_pk_mul_f32 v[72:73], v[74:75], v[64:65] op_sel:[0,1]
	s_delay_alu instid0(VALU_DEP_2) | instskip(NEXT) | instid1(VALU_DEP_2)
	v_pk_add_f32 v[44:45], v[44:45], v[78:79] neg_lo:[0,1] neg_hi:[0,1]
	v_pk_fma_f32 v[76:77], v[74:75], v[62:63], v[72:73] op_sel:[0,0,1] op_sel_hi:[1,1,0] neg_lo:[0,0,1] neg_hi:[0,0,1]
	v_pk_fma_f32 v[72:73], v[74:75], v[62:63], v[72:73] op_sel:[0,0,1] op_sel_hi:[1,0,0]
	s_delay_alu instid0(VALU_DEP_1) | instskip(SKIP_4) | instid1(VALU_DEP_1)
	v_mov_b32_e32 v77, v73
	ds_load_2addr_b64 v[72:75], v66 offset0:14 offset1:15
	v_pk_add_f32 v[40:41], v[40:41], v[76:77] neg_lo:[0,1] neg_hi:[0,1]
	s_wait_dscnt 0x0
	v_pk_mul_f32 v[76:77], v[72:73], v[64:65] op_sel:[0,1]
	v_pk_fma_f32 v[78:79], v[72:73], v[62:63], v[76:77] op_sel:[0,0,1] op_sel_hi:[1,1,0] neg_lo:[0,0,1] neg_hi:[0,0,1]
	v_pk_fma_f32 v[72:73], v[72:73], v[62:63], v[76:77] op_sel:[0,0,1] op_sel_hi:[1,0,0]
	v_dual_mul_f32 v76, v75, v65 :: v_dual_mov_b32 v72, v75
	s_delay_alu instid0(VALU_DEP_2) | instskip(NEXT) | instid1(VALU_DEP_2)
	v_dual_mov_b32 v79, v73 :: v_dual_mov_b32 v73, v74
	v_pk_fma_f32 v[76:77], v[74:75], v[58:59], v[76:77] op_sel_hi:[1,1,0] neg_lo:[0,0,1] neg_hi:[0,0,1]
	v_mul_f32_e32 v74, v75, v62
	s_delay_alu instid0(VALU_DEP_3) | instskip(NEXT) | instid1(VALU_DEP_2)
	v_pk_add_f32 v[42:43], v[42:43], v[78:79] neg_lo:[0,1] neg_hi:[0,1]
	v_pk_fma_f32 v[72:73], v[72:73], v[58:59], v[74:75] op_sel_hi:[1,1,0]
	s_delay_alu instid0(VALU_DEP_1) | instskip(SKIP_4) | instid1(VALU_DEP_1)
	v_mov_b32_e32 v77, v73
	ds_load_2addr_b64 v[72:75], v66 offset0:16 offset1:17
	v_pk_add_f32 v[10:11], v[10:11], v[76:77] neg_lo:[0,1] neg_hi:[0,1]
	s_wait_dscnt 0x0
	v_pk_mul_f32 v[76:77], v[72:73], v[64:65] op_sel:[0,1]
	v_pk_fma_f32 v[78:79], v[72:73], v[62:63], v[76:77] op_sel:[0,0,1] op_sel_hi:[1,1,0] neg_lo:[0,0,1] neg_hi:[0,0,1]
	v_pk_fma_f32 v[72:73], v[72:73], v[62:63], v[76:77] op_sel:[0,0,1] op_sel_hi:[1,0,0]
	s_delay_alu instid0(VALU_DEP_1) | instskip(SKIP_1) | instid1(VALU_DEP_1)
	v_mov_b32_e32 v79, v73
	v_pk_mul_f32 v[72:73], v[74:75], v[64:65] op_sel:[0,1]
	v_pk_fma_f32 v[76:77], v[74:75], v[62:63], v[72:73] op_sel:[0,0,1] op_sel_hi:[1,1,0] neg_lo:[0,0,1] neg_hi:[0,0,1]
	v_pk_fma_f32 v[72:73], v[74:75], v[62:63], v[72:73] op_sel:[0,0,1] op_sel_hi:[1,0,0]
	s_delay_alu instid0(VALU_DEP_1)
	v_mov_b32_e32 v77, v73
	ds_load_2addr_b64 v[72:75], v66 offset0:18 offset1:19
	v_pk_add_f32 v[50:51], v[50:51], v[78:79] neg_lo:[0,1] neg_hi:[0,1]
	v_pk_add_f32 v[46:47], v[46:47], v[76:77] neg_lo:[0,1] neg_hi:[0,1]
	s_wait_dscnt 0x0
	v_pk_mul_f32 v[76:77], v[72:73], v[64:65] op_sel:[0,1]
	s_delay_alu instid0(VALU_DEP_1) | instskip(SKIP_1) | instid1(VALU_DEP_1)
	v_pk_fma_f32 v[78:79], v[72:73], v[62:63], v[76:77] op_sel:[0,0,1] op_sel_hi:[1,1,0] neg_lo:[0,0,1] neg_hi:[0,0,1]
	v_pk_fma_f32 v[72:73], v[72:73], v[62:63], v[76:77] op_sel:[0,0,1] op_sel_hi:[1,0,0]
	v_mov_b32_e32 v79, v73
	v_pk_mul_f32 v[72:73], v[74:75], v[64:65] op_sel:[0,1]
	s_delay_alu instid0(VALU_DEP_1) | instskip(SKIP_1) | instid1(VALU_DEP_1)
	v_pk_fma_f32 v[76:77], v[74:75], v[62:63], v[72:73] op_sel:[0,0,1] op_sel_hi:[1,1,0] neg_lo:[0,0,1] neg_hi:[0,0,1]
	v_pk_fma_f32 v[72:73], v[74:75], v[62:63], v[72:73] op_sel:[0,0,1] op_sel_hi:[1,0,0]
	v_mov_b32_e32 v77, v73
	ds_load_2addr_b64 v[72:75], v66 offset0:20 offset1:21
	v_pk_add_f32 v[48:49], v[48:49], v[78:79] neg_lo:[0,1] neg_hi:[0,1]
	v_pk_add_f32 v[12:13], v[12:13], v[76:77] neg_lo:[0,1] neg_hi:[0,1]
	s_wait_dscnt 0x0
	v_dual_mul_f32 v76, v73, v65 :: v_dual_mul_f32 v78, v73, v62
	s_delay_alu instid0(VALU_DEP_1) | instskip(NEXT) | instid1(VALU_DEP_2)
	v_pk_fma_f32 v[76:77], v[72:73], v[58:59], v[76:77] op_sel_hi:[1,1,0] neg_lo:[0,0,1] neg_hi:[0,0,1]
	v_pk_fma_f32 v[72:73], v[72:73], v[58:59], v[78:79] op_sel:[1,0,0] op_sel_hi:[0,1,0]
	s_delay_alu instid0(VALU_DEP_1) | instskip(SKIP_1) | instid1(VALU_DEP_2)
	v_mov_b32_e32 v77, v73
	v_pk_mul_f32 v[72:73], v[74:75], v[64:65] op_sel:[0,1]
	v_pk_add_f32 v[26:27], v[26:27], v[76:77] neg_lo:[0,1] neg_hi:[0,1]
	s_delay_alu instid0(VALU_DEP_2) | instskip(SKIP_1) | instid1(VALU_DEP_1)
	v_pk_fma_f32 v[76:77], v[74:75], v[62:63], v[72:73] op_sel:[0,0,1] op_sel_hi:[1,1,0] neg_lo:[0,0,1] neg_hi:[0,0,1]
	v_pk_fma_f32 v[72:73], v[74:75], v[62:63], v[72:73] op_sel:[0,0,1] op_sel_hi:[1,0,0]
	v_mov_b32_e32 v77, v73
	ds_load_2addr_b64 v[72:75], v66 offset0:22 offset1:23
	v_pk_add_f32 v[22:23], v[22:23], v[76:77] neg_lo:[0,1] neg_hi:[0,1]
	s_wait_dscnt 0x0
	v_pk_mul_f32 v[76:77], v[72:73], v[64:65] op_sel:[0,1]
	s_delay_alu instid0(VALU_DEP_1) | instskip(SKIP_1) | instid1(VALU_DEP_1)
	v_pk_fma_f32 v[78:79], v[72:73], v[62:63], v[76:77] op_sel:[0,0,1] op_sel_hi:[1,1,0] neg_lo:[0,0,1] neg_hi:[0,0,1]
	v_pk_fma_f32 v[72:73], v[72:73], v[62:63], v[76:77] op_sel:[0,0,1] op_sel_hi:[1,0,0]
	v_mov_b32_e32 v79, v73
	v_pk_mul_f32 v[72:73], v[74:75], v[64:65] op_sel:[0,1]
	s_delay_alu instid0(VALU_DEP_2) | instskip(NEXT) | instid1(VALU_DEP_2)
	v_pk_add_f32 v[24:25], v[24:25], v[78:79] neg_lo:[0,1] neg_hi:[0,1]
	v_pk_fma_f32 v[76:77], v[74:75], v[62:63], v[72:73] op_sel:[0,0,1] op_sel_hi:[1,1,0] neg_lo:[0,0,1] neg_hi:[0,0,1]
	v_pk_fma_f32 v[72:73], v[74:75], v[62:63], v[72:73] op_sel:[0,0,1] op_sel_hi:[1,0,0]
	s_delay_alu instid0(VALU_DEP_1) | instskip(SKIP_4) | instid1(VALU_DEP_1)
	v_mov_b32_e32 v77, v73
	ds_load_2addr_b64 v[72:75], v66 offset0:24 offset1:25
	v_pk_add_f32 v[14:15], v[14:15], v[76:77] neg_lo:[0,1] neg_hi:[0,1]
	s_wait_dscnt 0x0
	v_pk_mul_f32 v[76:77], v[72:73], v[64:65] op_sel:[0,1]
	v_pk_fma_f32 v[78:79], v[72:73], v[62:63], v[76:77] op_sel:[0,0,1] op_sel_hi:[1,1,0] neg_lo:[0,0,1] neg_hi:[0,0,1]
	v_pk_fma_f32 v[72:73], v[72:73], v[62:63], v[76:77] op_sel:[0,0,1] op_sel_hi:[1,0,0]
	v_dual_mul_f32 v76, v75, v65 :: v_dual_mov_b32 v72, v75
	s_delay_alu instid0(VALU_DEP_2) | instskip(NEXT) | instid1(VALU_DEP_2)
	v_dual_mov_b32 v79, v73 :: v_dual_mov_b32 v73, v74
	v_pk_fma_f32 v[76:77], v[74:75], v[58:59], v[76:77] op_sel_hi:[1,1,0] neg_lo:[0,0,1] neg_hi:[0,0,1]
	v_mul_f32_e32 v74, v75, v62
	s_delay_alu instid0(VALU_DEP_3) | instskip(NEXT) | instid1(VALU_DEP_2)
	v_pk_add_f32 v[20:21], v[20:21], v[78:79] neg_lo:[0,1] neg_hi:[0,1]
	v_pk_fma_f32 v[72:73], v[72:73], v[58:59], v[74:75] op_sel_hi:[1,1,0]
	s_delay_alu instid0(VALU_DEP_1)
	v_mov_b32_e32 v77, v73
	ds_load_2addr_b64 v[72:75], v66 offset0:26 offset1:27
	v_pk_add_f32 v[18:19], v[18:19], v[76:77] neg_lo:[0,1] neg_hi:[0,1]
	s_wait_dscnt 0x0
	v_pk_mul_f32 v[76:77], v[72:73], v[64:65] op_sel:[0,1]
	v_pk_mul_f32 v[64:65], v[74:75], v[64:65] op_sel:[0,1]
	s_delay_alu instid0(VALU_DEP_2) | instskip(SKIP_1) | instid1(VALU_DEP_1)
	v_pk_fma_f32 v[78:79], v[72:73], v[62:63], v[76:77] op_sel:[0,0,1] op_sel_hi:[1,1,0] neg_lo:[0,0,1] neg_hi:[0,0,1]
	v_pk_fma_f32 v[72:73], v[72:73], v[62:63], v[76:77] op_sel:[0,0,1] op_sel_hi:[1,0,0]
	v_mov_b32_e32 v79, v73
	s_delay_alu instid0(VALU_DEP_4) | instskip(SKIP_1) | instid1(VALU_DEP_1)
	v_pk_fma_f32 v[72:73], v[74:75], v[62:63], v[64:65] op_sel:[0,0,1] op_sel_hi:[1,1,0] neg_lo:[0,0,1] neg_hi:[0,0,1]
	v_pk_fma_f32 v[62:63], v[74:75], v[62:63], v[64:65] op_sel:[0,0,1] op_sel_hi:[1,0,0]
	v_mov_b32_e32 v73, v63
	s_delay_alu instid0(VALU_DEP_4) | instskip(NEXT) | instid1(VALU_DEP_2)
	v_pk_add_f32 v[16:17], v[16:17], v[78:79] neg_lo:[0,1] neg_hi:[0,1]
	v_pk_add_f32 v[60:61], v[60:61], v[72:73] neg_lo:[0,1] neg_hi:[0,1]
.LBB54_41:
	s_or_b32 exec_lo, exec_lo, s0
	v_lshl_add_u32 v62, v70, 3, v66
	s_barrier_signal -1
	s_barrier_wait -1
	ds_store_b64 v62, v[54:55]
	s_wait_dscnt 0x0
	s_barrier_signal -1
	s_barrier_wait -1
	ds_load_b64 v[64:65], v66 offset:16
	v_mov_b32_e32 v62, 2
	s_cmp_lt_i32 s18, 4
	s_mov_b32 s0, 3
	s_cbranch_scc1 .LBB54_44
; %bb.42:
	v_add3_u32 v63, v67, 0, 24
	v_mov_b32_e32 v62, 2
.LBB54_43:                              ; =>This Inner Loop Header: Depth=1
	ds_load_b64 v[72:73], v63
	s_wait_dscnt 0x1
	v_cmp_gt_f32_e32 vcc_lo, 0, v64
	v_cndmask_b32_e64 v74, v64, -v64, vcc_lo
	v_cmp_gt_f32_e32 vcc_lo, 0, v65
	v_cndmask_b32_e64 v76, v65, -v65, vcc_lo
	s_wait_dscnt 0x0
	v_cmp_gt_f32_e32 vcc_lo, 0, v72
	v_cndmask_b32_e64 v75, v72, -v72, vcc_lo
	v_cmp_gt_f32_e32 vcc_lo, 0, v73
	v_cndmask_b32_e64 v77, v73, -v73, vcc_lo
	s_delay_alu instid0(VALU_DEP_1) | instskip(NEXT) | instid1(VALU_DEP_1)
	v_pk_add_f32 v[74:75], v[74:75], v[76:77]
	v_cmp_lt_f32_e32 vcc_lo, v74, v75
	v_dual_add_nc_u32 v63, 8, v63 :: v_dual_cndmask_b32 v65, v65, v73, vcc_lo
	v_cndmask_b32_e32 v64, v64, v72, vcc_lo
	v_cndmask_b32_e64 v62, v62, s0, vcc_lo
	s_add_co_i32 s0, s0, 1
	s_delay_alu instid0(SALU_CYCLE_1)
	s_cmp_lg_u32 s18, s0
	s_cbranch_scc1 .LBB54_43
.LBB54_44:
	s_wait_dscnt 0x0
	v_cmp_eq_f32_e32 vcc_lo, 0, v64
	v_cmp_eq_f32_e64 s0, 0, v65
	s_and_b32 s0, vcc_lo, s0
	s_delay_alu instid0(SALU_CYCLE_1) | instskip(NEXT) | instid1(SALU_CYCLE_1)
	s_and_saveexec_b32 s1, s0
	s_xor_b32 s0, exec_lo, s1
; %bb.45:
	v_cmp_ne_u32_e32 vcc_lo, 0, v69
	v_cndmask_b32_e32 v69, 3, v69, vcc_lo
; %bb.46:
	s_and_not1_saveexec_b32 s0, s0
	s_cbranch_execz .LBB54_52
; %bb.47:
	v_cmp_ngt_f32_e64 s1, |v64|, |v65|
	s_and_saveexec_b32 s12, s1
	s_delay_alu instid0(SALU_CYCLE_1)
	s_xor_b32 s1, exec_lo, s12
	s_cbranch_execz .LBB54_49
; %bb.48:
	v_div_scale_f32 v63, null, v65, v65, v64
	v_div_scale_f32 v73, vcc_lo, v64, v65, v64
	s_delay_alu instid0(VALU_DEP_2) | instskip(SKIP_1) | instid1(TRANS32_DEP_1)
	v_rcp_f32_e32 v71, v63
	v_nop
	v_fma_f32 v72, -v63, v71, 1.0
	s_delay_alu instid0(VALU_DEP_1) | instskip(NEXT) | instid1(VALU_DEP_1)
	v_fmac_f32_e32 v71, v72, v71
	v_mul_f32_e32 v72, v73, v71
	s_delay_alu instid0(VALU_DEP_1) | instskip(NEXT) | instid1(VALU_DEP_1)
	v_fma_f32 v74, -v63, v72, v73
	v_fmac_f32_e32 v72, v74, v71
	s_delay_alu instid0(VALU_DEP_1) | instskip(NEXT) | instid1(VALU_DEP_1)
	v_fma_f32 v63, -v63, v72, v73
	v_div_fmas_f32 v63, v63, v71, v72
	s_delay_alu instid0(VALU_DEP_1) | instskip(NEXT) | instid1(VALU_DEP_1)
	v_div_fixup_f32 v63, v63, v65, v64
	v_fmac_f32_e32 v65, v64, v63
	s_delay_alu instid0(VALU_DEP_1) | instskip(SKIP_1) | instid1(VALU_DEP_2)
	v_div_scale_f32 v64, null, v65, v65, 1.0
	v_div_scale_f32 v73, vcc_lo, 1.0, v65, 1.0
	v_rcp_f32_e32 v71, v64
	v_nop
	s_delay_alu instid0(TRANS32_DEP_1) | instskip(NEXT) | instid1(VALU_DEP_1)
	v_fma_f32 v72, -v64, v71, 1.0
	v_fmac_f32_e32 v71, v72, v71
	s_delay_alu instid0(VALU_DEP_1) | instskip(NEXT) | instid1(VALU_DEP_1)
	v_mul_f32_e32 v72, v73, v71
	v_fma_f32 v74, -v64, v72, v73
	s_delay_alu instid0(VALU_DEP_1) | instskip(NEXT) | instid1(VALU_DEP_1)
	v_fmac_f32_e32 v72, v74, v71
	v_fma_f32 v64, -v64, v72, v73
	s_delay_alu instid0(VALU_DEP_1) | instskip(NEXT) | instid1(VALU_DEP_1)
	v_div_fmas_f32 v64, v64, v71, v72
	v_div_fixup_f32 v65, v64, v65, 1.0
	s_delay_alu instid0(VALU_DEP_1)
	v_mul_f32_e32 v64, v63, v65
	v_xor_b32_e32 v65, 0x80000000, v65
.LBB54_49:
	s_and_not1_saveexec_b32 s1, s1
	s_cbranch_execz .LBB54_51
; %bb.50:
	s_delay_alu instid0(VALU_DEP_1) | instskip(SKIP_1) | instid1(VALU_DEP_2)
	v_div_scale_f32 v63, null, v64, v64, v65
	v_div_scale_f32 v73, vcc_lo, v65, v64, v65
	v_rcp_f32_e32 v71, v63
	v_nop
	s_delay_alu instid0(TRANS32_DEP_1) | instskip(NEXT) | instid1(VALU_DEP_1)
	v_fma_f32 v72, -v63, v71, 1.0
	v_fmac_f32_e32 v71, v72, v71
	s_delay_alu instid0(VALU_DEP_1) | instskip(NEXT) | instid1(VALU_DEP_1)
	v_mul_f32_e32 v72, v73, v71
	v_fma_f32 v74, -v63, v72, v73
	s_delay_alu instid0(VALU_DEP_1) | instskip(NEXT) | instid1(VALU_DEP_1)
	v_fmac_f32_e32 v72, v74, v71
	v_fma_f32 v63, -v63, v72, v73
	s_delay_alu instid0(VALU_DEP_1) | instskip(NEXT) | instid1(VALU_DEP_1)
	v_div_fmas_f32 v63, v63, v71, v72
	v_div_fixup_f32 v63, v63, v64, v65
	s_delay_alu instid0(VALU_DEP_1) | instskip(NEXT) | instid1(VALU_DEP_1)
	v_fmac_f32_e32 v64, v65, v63
	v_div_scale_f32 v65, null, v64, v64, 1.0
	s_delay_alu instid0(VALU_DEP_1) | instskip(SKIP_1) | instid1(TRANS32_DEP_1)
	v_rcp_f32_e32 v71, v65
	v_nop
	v_fma_f32 v72, -v65, v71, 1.0
	s_delay_alu instid0(VALU_DEP_1) | instskip(SKIP_1) | instid1(VALU_DEP_1)
	v_fmac_f32_e32 v71, v72, v71
	v_div_scale_f32 v72, vcc_lo, 1.0, v64, 1.0
	v_mul_f32_e32 v73, v72, v71
	s_delay_alu instid0(VALU_DEP_1) | instskip(NEXT) | instid1(VALU_DEP_1)
	v_fma_f32 v74, -v65, v73, v72
	v_fmac_f32_e32 v73, v74, v71
	s_delay_alu instid0(VALU_DEP_1) | instskip(NEXT) | instid1(VALU_DEP_1)
	v_fma_f32 v65, -v65, v73, v72
	v_div_fmas_f32 v65, v65, v71, v73
	s_delay_alu instid0(VALU_DEP_1) | instskip(NEXT) | instid1(VALU_DEP_1)
	v_div_fixup_f32 v64, v65, v64, 1.0
	v_mul_f32_e64 v65, v63, -v64
.LBB54_51:
	s_or_b32 exec_lo, exec_lo, s1
.LBB54_52:
	s_delay_alu instid0(SALU_CYCLE_1) | instskip(NEXT) | instid1(SALU_CYCLE_1)
	s_or_b32 exec_lo, exec_lo, s0
	s_mov_b32 s0, exec_lo
	v_cmpx_ne_u32_e64 v70, v62
	s_xor_b32 s0, exec_lo, s0
	s_cbranch_execz .LBB54_58
; %bb.53:
	s_mov_b32 s1, exec_lo
	v_cmpx_eq_u32_e32 2, v70
	s_cbranch_execz .LBB54_57
; %bb.54:
	v_cmp_ne_u32_e32 vcc_lo, 2, v62
	s_xor_b32 s12, s16, -1
	s_delay_alu instid0(SALU_CYCLE_1) | instskip(NEXT) | instid1(SALU_CYCLE_1)
	s_and_b32 s13, s12, vcc_lo
	s_and_saveexec_b32 s12, s13
	s_cbranch_execz .LBB54_56
; %bb.55:
	v_ashrrev_i32_e32 v63, 31, v62
	s_delay_alu instid0(VALU_DEP_1)
	v_lshl_add_u64 v[70:71], v[62:63], 2, v[4:5]
	s_clause 0x1
	global_load_b32 v63, v[70:71], off
	global_load_b32 v68, v[4:5], off offset:8
	s_wait_loadcnt 0x1
	global_store_b32 v[4:5], v63, off offset:8
	s_wait_loadcnt 0x0
	global_store_b32 v[70:71], v68, off
.LBB54_56:
	s_wait_xcnt 0x0
	s_or_b32 exec_lo, exec_lo, s12
	v_dual_mov_b32 v70, v62 :: v_dual_mov_b32 v68, v62
.LBB54_57:
	s_or_b32 exec_lo, exec_lo, s1
.LBB54_58:
	s_and_not1_saveexec_b32 s0, s0
	s_cbranch_execz .LBB54_60
; %bb.59:
	v_mov_b32_e32 v70, 2
	ds_store_2addr_b64 v66, v[52:53], v[32:33] offset0:3 offset1:4
	ds_store_2addr_b64 v66, v[28:29], v[30:31] offset0:5 offset1:6
	;; [unrolled: 1-line block ×12, first 2 shown]
	ds_store_b64 v66, v[60:61] offset:216
.LBB54_60:
	s_or_b32 exec_lo, exec_lo, s0
	s_delay_alu instid0(SALU_CYCLE_1)
	s_mov_b32 s0, exec_lo
	s_wait_storecnt_dscnt 0x0
	s_barrier_signal -1
	s_barrier_wait -1
	v_cmpx_lt_i32_e32 2, v70
	s_cbranch_execz .LBB54_62
; %bb.61:
	v_pk_mul_f32 v[72:73], v[64:65], v[54:55] op_sel:[1,1] op_sel_hi:[0,1]
	s_delay_alu instid0(VALU_DEP_1)
	v_pk_fma_f32 v[62:63], v[64:65], v[54:55], v[72:73] op_sel_hi:[1,0,1] neg_lo:[0,0,1] neg_hi:[0,0,1]
	v_pk_fma_f32 v[64:65], v[64:65], v[54:55], v[72:73] op_sel_hi:[1,0,1]
	ds_load_2addr_b64 v[72:75], v66 offset0:3 offset1:4
	v_dual_mov_b32 v54, v62 :: v_dual_mov_b32 v55, v65
	s_wait_dscnt 0x0
	v_pk_mul_f32 v[76:77], v[72:73], v[64:65] op_sel:[0,1]
	s_delay_alu instid0(VALU_DEP_1) | instskip(SKIP_1) | instid1(VALU_DEP_1)
	v_pk_fma_f32 v[78:79], v[72:73], v[62:63], v[76:77] op_sel:[0,0,1] op_sel_hi:[1,1,0] neg_lo:[0,0,1] neg_hi:[0,0,1]
	v_pk_fma_f32 v[72:73], v[72:73], v[62:63], v[76:77] op_sel:[0,0,1] op_sel_hi:[1,0,0]
	v_mov_b32_e32 v79, v73
	v_pk_mul_f32 v[72:73], v[74:75], v[64:65] op_sel:[0,1]
	s_delay_alu instid0(VALU_DEP_1) | instskip(SKIP_1) | instid1(VALU_DEP_1)
	v_pk_fma_f32 v[76:77], v[74:75], v[62:63], v[72:73] op_sel:[0,0,1] op_sel_hi:[1,1,0] neg_lo:[0,0,1] neg_hi:[0,0,1]
	v_pk_fma_f32 v[72:73], v[74:75], v[62:63], v[72:73] op_sel:[0,0,1] op_sel_hi:[1,0,0]
	v_mov_b32_e32 v77, v73
	ds_load_2addr_b64 v[72:75], v66 offset0:5 offset1:6
	v_pk_add_f32 v[52:53], v[52:53], v[78:79] neg_lo:[0,1] neg_hi:[0,1]
	v_pk_add_f32 v[32:33], v[32:33], v[76:77] neg_lo:[0,1] neg_hi:[0,1]
	s_wait_dscnt 0x0
	v_pk_mul_f32 v[76:77], v[72:73], v[64:65] op_sel:[0,1]
	s_delay_alu instid0(VALU_DEP_1) | instskip(SKIP_2) | instid1(VALU_DEP_2)
	v_pk_fma_f32 v[78:79], v[72:73], v[62:63], v[76:77] op_sel:[0,0,1] op_sel_hi:[1,1,0] neg_lo:[0,0,1] neg_hi:[0,0,1]
	v_pk_fma_f32 v[72:73], v[72:73], v[62:63], v[76:77] op_sel:[0,0,1] op_sel_hi:[1,0,0]
	v_dual_mul_f32 v76, v75, v65 :: v_dual_mov_b32 v72, v75
	v_dual_mov_b32 v79, v73 :: v_dual_mov_b32 v73, v74
	s_delay_alu instid0(VALU_DEP_2) | instskip(SKIP_1) | instid1(VALU_DEP_3)
	v_pk_fma_f32 v[76:77], v[74:75], v[54:55], v[76:77] op_sel_hi:[1,1,0] neg_lo:[0,0,1] neg_hi:[0,0,1]
	v_mul_f32_e32 v74, v75, v62
	v_pk_add_f32 v[28:29], v[28:29], v[78:79] neg_lo:[0,1] neg_hi:[0,1]
	s_delay_alu instid0(VALU_DEP_2) | instskip(NEXT) | instid1(VALU_DEP_1)
	v_pk_fma_f32 v[72:73], v[72:73], v[54:55], v[74:75] op_sel_hi:[1,1,0]
	v_mov_b32_e32 v77, v73
	ds_load_2addr_b64 v[72:75], v66 offset0:7 offset1:8
	v_pk_add_f32 v[30:31], v[30:31], v[76:77] neg_lo:[0,1] neg_hi:[0,1]
	s_wait_dscnt 0x0
	v_pk_mul_f32 v[76:77], v[72:73], v[64:65] op_sel:[0,1]
	s_delay_alu instid0(VALU_DEP_1) | instskip(SKIP_1) | instid1(VALU_DEP_1)
	v_pk_fma_f32 v[78:79], v[72:73], v[62:63], v[76:77] op_sel:[0,0,1] op_sel_hi:[1,1,0] neg_lo:[0,0,1] neg_hi:[0,0,1]
	v_pk_fma_f32 v[72:73], v[72:73], v[62:63], v[76:77] op_sel:[0,0,1] op_sel_hi:[1,0,0]
	v_mov_b32_e32 v79, v73
	v_pk_mul_f32 v[72:73], v[74:75], v[64:65] op_sel:[0,1]
	s_delay_alu instid0(VALU_DEP_1) | instskip(SKIP_1) | instid1(VALU_DEP_1)
	v_pk_fma_f32 v[76:77], v[74:75], v[62:63], v[72:73] op_sel:[0,0,1] op_sel_hi:[1,1,0] neg_lo:[0,0,1] neg_hi:[0,0,1]
	v_pk_fma_f32 v[72:73], v[74:75], v[62:63], v[72:73] op_sel:[0,0,1] op_sel_hi:[1,0,0]
	v_mov_b32_e32 v77, v73
	ds_load_2addr_b64 v[72:75], v66 offset0:9 offset1:10
	v_pk_add_f32 v[6:7], v[6:7], v[78:79] neg_lo:[0,1] neg_hi:[0,1]
	v_pk_add_f32 v[38:39], v[38:39], v[76:77] neg_lo:[0,1] neg_hi:[0,1]
	s_wait_dscnt 0x0
	v_pk_mul_f32 v[76:77], v[72:73], v[64:65] op_sel:[0,1]
	s_delay_alu instid0(VALU_DEP_1) | instskip(SKIP_1) | instid1(VALU_DEP_1)
	v_pk_fma_f32 v[78:79], v[72:73], v[62:63], v[76:77] op_sel:[0,0,1] op_sel_hi:[1,1,0] neg_lo:[0,0,1] neg_hi:[0,0,1]
	v_pk_fma_f32 v[72:73], v[72:73], v[62:63], v[76:77] op_sel:[0,0,1] op_sel_hi:[1,0,0]
	v_mov_b32_e32 v79, v73
	v_pk_mul_f32 v[72:73], v[74:75], v[64:65] op_sel:[0,1]
	s_delay_alu instid0(VALU_DEP_1) | instskip(SKIP_1) | instid1(VALU_DEP_1)
	v_pk_fma_f32 v[76:77], v[74:75], v[62:63], v[72:73] op_sel:[0,0,1] op_sel_hi:[1,1,0] neg_lo:[0,0,1] neg_hi:[0,0,1]
	v_pk_fma_f32 v[72:73], v[74:75], v[62:63], v[72:73] op_sel:[0,0,1] op_sel_hi:[1,0,0]
	v_mov_b32_e32 v77, v73
	ds_load_2addr_b64 v[72:75], v66 offset0:11 offset1:12
	v_pk_add_f32 v[34:35], v[34:35], v[78:79] neg_lo:[0,1] neg_hi:[0,1]
	v_pk_add_f32 v[36:37], v[36:37], v[76:77] neg_lo:[0,1] neg_hi:[0,1]
	s_wait_dscnt 0x0
	v_dual_mul_f32 v76, v73, v65 :: v_dual_mul_f32 v78, v73, v62
	s_delay_alu instid0(VALU_DEP_1) | instskip(NEXT) | instid1(VALU_DEP_2)
	v_pk_fma_f32 v[76:77], v[72:73], v[54:55], v[76:77] op_sel_hi:[1,1,0] neg_lo:[0,0,1] neg_hi:[0,0,1]
	v_pk_fma_f32 v[72:73], v[72:73], v[54:55], v[78:79] op_sel:[1,0,0] op_sel_hi:[0,1,0]
	s_delay_alu instid0(VALU_DEP_1) | instskip(SKIP_1) | instid1(VALU_DEP_2)
	v_mov_b32_e32 v77, v73
	v_pk_mul_f32 v[72:73], v[74:75], v[64:65] op_sel:[0,1]
	v_pk_add_f32 v[8:9], v[8:9], v[76:77] neg_lo:[0,1] neg_hi:[0,1]
	s_delay_alu instid0(VALU_DEP_2) | instskip(SKIP_1) | instid1(VALU_DEP_1)
	v_pk_fma_f32 v[76:77], v[74:75], v[62:63], v[72:73] op_sel:[0,0,1] op_sel_hi:[1,1,0] neg_lo:[0,0,1] neg_hi:[0,0,1]
	v_pk_fma_f32 v[72:73], v[74:75], v[62:63], v[72:73] op_sel:[0,0,1] op_sel_hi:[1,0,0]
	v_mov_b32_e32 v77, v73
	ds_load_2addr_b64 v[72:75], v66 offset0:13 offset1:14
	v_pk_add_f32 v[44:45], v[44:45], v[76:77] neg_lo:[0,1] neg_hi:[0,1]
	s_wait_dscnt 0x0
	v_pk_mul_f32 v[76:77], v[72:73], v[64:65] op_sel:[0,1]
	s_delay_alu instid0(VALU_DEP_1) | instskip(SKIP_1) | instid1(VALU_DEP_1)
	v_pk_fma_f32 v[78:79], v[72:73], v[62:63], v[76:77] op_sel:[0,0,1] op_sel_hi:[1,1,0] neg_lo:[0,0,1] neg_hi:[0,0,1]
	v_pk_fma_f32 v[72:73], v[72:73], v[62:63], v[76:77] op_sel:[0,0,1] op_sel_hi:[1,0,0]
	v_mov_b32_e32 v79, v73
	v_pk_mul_f32 v[72:73], v[74:75], v[64:65] op_sel:[0,1]
	s_delay_alu instid0(VALU_DEP_2) | instskip(NEXT) | instid1(VALU_DEP_2)
	v_pk_add_f32 v[40:41], v[40:41], v[78:79] neg_lo:[0,1] neg_hi:[0,1]
	v_pk_fma_f32 v[76:77], v[74:75], v[62:63], v[72:73] op_sel:[0,0,1] op_sel_hi:[1,1,0] neg_lo:[0,0,1] neg_hi:[0,0,1]
	v_pk_fma_f32 v[72:73], v[74:75], v[62:63], v[72:73] op_sel:[0,0,1] op_sel_hi:[1,0,0]
	s_delay_alu instid0(VALU_DEP_1) | instskip(SKIP_4) | instid1(VALU_DEP_1)
	v_mov_b32_e32 v77, v73
	ds_load_2addr_b64 v[72:75], v66 offset0:15 offset1:16
	v_pk_add_f32 v[42:43], v[42:43], v[76:77] neg_lo:[0,1] neg_hi:[0,1]
	s_wait_dscnt 0x0
	v_pk_mul_f32 v[76:77], v[72:73], v[64:65] op_sel:[0,1]
	v_pk_fma_f32 v[78:79], v[72:73], v[62:63], v[76:77] op_sel:[0,0,1] op_sel_hi:[1,1,0] neg_lo:[0,0,1] neg_hi:[0,0,1]
	v_pk_fma_f32 v[72:73], v[72:73], v[62:63], v[76:77] op_sel:[0,0,1] op_sel_hi:[1,0,0]
	v_dual_mul_f32 v76, v75, v65 :: v_dual_mov_b32 v72, v75
	s_delay_alu instid0(VALU_DEP_2) | instskip(NEXT) | instid1(VALU_DEP_2)
	v_dual_mov_b32 v79, v73 :: v_dual_mov_b32 v73, v74
	v_pk_fma_f32 v[76:77], v[74:75], v[54:55], v[76:77] op_sel_hi:[1,1,0] neg_lo:[0,0,1] neg_hi:[0,0,1]
	v_mul_f32_e32 v74, v75, v62
	s_delay_alu instid0(VALU_DEP_3) | instskip(NEXT) | instid1(VALU_DEP_2)
	v_pk_add_f32 v[10:11], v[10:11], v[78:79] neg_lo:[0,1] neg_hi:[0,1]
	v_pk_fma_f32 v[72:73], v[72:73], v[54:55], v[74:75] op_sel_hi:[1,1,0]
	s_delay_alu instid0(VALU_DEP_1) | instskip(SKIP_4) | instid1(VALU_DEP_1)
	v_mov_b32_e32 v77, v73
	ds_load_2addr_b64 v[72:75], v66 offset0:17 offset1:18
	v_pk_add_f32 v[50:51], v[50:51], v[76:77] neg_lo:[0,1] neg_hi:[0,1]
	s_wait_dscnt 0x0
	v_pk_mul_f32 v[76:77], v[72:73], v[64:65] op_sel:[0,1]
	v_pk_fma_f32 v[78:79], v[72:73], v[62:63], v[76:77] op_sel:[0,0,1] op_sel_hi:[1,1,0] neg_lo:[0,0,1] neg_hi:[0,0,1]
	v_pk_fma_f32 v[72:73], v[72:73], v[62:63], v[76:77] op_sel:[0,0,1] op_sel_hi:[1,0,0]
	s_delay_alu instid0(VALU_DEP_1) | instskip(SKIP_1) | instid1(VALU_DEP_1)
	v_mov_b32_e32 v79, v73
	v_pk_mul_f32 v[72:73], v[74:75], v[64:65] op_sel:[0,1]
	v_pk_fma_f32 v[76:77], v[74:75], v[62:63], v[72:73] op_sel:[0,0,1] op_sel_hi:[1,1,0] neg_lo:[0,0,1] neg_hi:[0,0,1]
	v_pk_fma_f32 v[72:73], v[74:75], v[62:63], v[72:73] op_sel:[0,0,1] op_sel_hi:[1,0,0]
	s_delay_alu instid0(VALU_DEP_1)
	v_mov_b32_e32 v77, v73
	ds_load_2addr_b64 v[72:75], v66 offset0:19 offset1:20
	v_pk_add_f32 v[46:47], v[46:47], v[78:79] neg_lo:[0,1] neg_hi:[0,1]
	v_pk_add_f32 v[48:49], v[48:49], v[76:77] neg_lo:[0,1] neg_hi:[0,1]
	s_wait_dscnt 0x0
	v_pk_mul_f32 v[76:77], v[72:73], v[64:65] op_sel:[0,1]
	s_delay_alu instid0(VALU_DEP_1) | instskip(SKIP_1) | instid1(VALU_DEP_1)
	v_pk_fma_f32 v[78:79], v[72:73], v[62:63], v[76:77] op_sel:[0,0,1] op_sel_hi:[1,1,0] neg_lo:[0,0,1] neg_hi:[0,0,1]
	v_pk_fma_f32 v[72:73], v[72:73], v[62:63], v[76:77] op_sel:[0,0,1] op_sel_hi:[1,0,0]
	v_mov_b32_e32 v79, v73
	v_pk_mul_f32 v[72:73], v[74:75], v[64:65] op_sel:[0,1]
	s_delay_alu instid0(VALU_DEP_1) | instskip(SKIP_1) | instid1(VALU_DEP_1)
	v_pk_fma_f32 v[76:77], v[74:75], v[62:63], v[72:73] op_sel:[0,0,1] op_sel_hi:[1,1,0] neg_lo:[0,0,1] neg_hi:[0,0,1]
	v_pk_fma_f32 v[72:73], v[74:75], v[62:63], v[72:73] op_sel:[0,0,1] op_sel_hi:[1,0,0]
	v_mov_b32_e32 v77, v73
	ds_load_2addr_b64 v[72:75], v66 offset0:21 offset1:22
	v_pk_add_f32 v[12:13], v[12:13], v[78:79] neg_lo:[0,1] neg_hi:[0,1]
	v_pk_add_f32 v[26:27], v[26:27], v[76:77] neg_lo:[0,1] neg_hi:[0,1]
	s_wait_dscnt 0x0
	v_dual_mul_f32 v76, v73, v65 :: v_dual_mul_f32 v78, v73, v62
	s_delay_alu instid0(VALU_DEP_1) | instskip(NEXT) | instid1(VALU_DEP_2)
	v_pk_fma_f32 v[76:77], v[72:73], v[54:55], v[76:77] op_sel_hi:[1,1,0] neg_lo:[0,0,1] neg_hi:[0,0,1]
	v_pk_fma_f32 v[72:73], v[72:73], v[54:55], v[78:79] op_sel:[1,0,0] op_sel_hi:[0,1,0]
	s_delay_alu instid0(VALU_DEP_1) | instskip(SKIP_1) | instid1(VALU_DEP_2)
	v_mov_b32_e32 v77, v73
	v_pk_mul_f32 v[72:73], v[74:75], v[64:65] op_sel:[0,1]
	v_pk_add_f32 v[22:23], v[22:23], v[76:77] neg_lo:[0,1] neg_hi:[0,1]
	s_delay_alu instid0(VALU_DEP_2) | instskip(SKIP_1) | instid1(VALU_DEP_1)
	v_pk_fma_f32 v[76:77], v[74:75], v[62:63], v[72:73] op_sel:[0,0,1] op_sel_hi:[1,1,0] neg_lo:[0,0,1] neg_hi:[0,0,1]
	v_pk_fma_f32 v[72:73], v[74:75], v[62:63], v[72:73] op_sel:[0,0,1] op_sel_hi:[1,0,0]
	v_mov_b32_e32 v77, v73
	ds_load_2addr_b64 v[72:75], v66 offset0:23 offset1:24
	v_pk_add_f32 v[24:25], v[24:25], v[76:77] neg_lo:[0,1] neg_hi:[0,1]
	s_wait_dscnt 0x0
	v_pk_mul_f32 v[76:77], v[72:73], v[64:65] op_sel:[0,1]
	s_delay_alu instid0(VALU_DEP_1) | instskip(SKIP_1) | instid1(VALU_DEP_1)
	v_pk_fma_f32 v[78:79], v[72:73], v[62:63], v[76:77] op_sel:[0,0,1] op_sel_hi:[1,1,0] neg_lo:[0,0,1] neg_hi:[0,0,1]
	v_pk_fma_f32 v[72:73], v[72:73], v[62:63], v[76:77] op_sel:[0,0,1] op_sel_hi:[1,0,0]
	v_mov_b32_e32 v79, v73
	v_pk_mul_f32 v[72:73], v[74:75], v[64:65] op_sel:[0,1]
	s_delay_alu instid0(VALU_DEP_2) | instskip(NEXT) | instid1(VALU_DEP_2)
	v_pk_add_f32 v[14:15], v[14:15], v[78:79] neg_lo:[0,1] neg_hi:[0,1]
	v_pk_fma_f32 v[76:77], v[74:75], v[62:63], v[72:73] op_sel:[0,0,1] op_sel_hi:[1,1,0] neg_lo:[0,0,1] neg_hi:[0,0,1]
	v_pk_fma_f32 v[72:73], v[74:75], v[62:63], v[72:73] op_sel:[0,0,1] op_sel_hi:[1,0,0]
	s_delay_alu instid0(VALU_DEP_1) | instskip(SKIP_4) | instid1(VALU_DEP_1)
	v_mov_b32_e32 v77, v73
	ds_load_2addr_b64 v[72:75], v66 offset0:25 offset1:26
	v_pk_add_f32 v[20:21], v[20:21], v[76:77] neg_lo:[0,1] neg_hi:[0,1]
	s_wait_dscnt 0x0
	v_pk_mul_f32 v[76:77], v[72:73], v[64:65] op_sel:[0,1]
	v_pk_fma_f32 v[78:79], v[72:73], v[62:63], v[76:77] op_sel:[0,0,1] op_sel_hi:[1,1,0] neg_lo:[0,0,1] neg_hi:[0,0,1]
	v_pk_fma_f32 v[72:73], v[72:73], v[62:63], v[76:77] op_sel:[0,0,1] op_sel_hi:[1,0,0]
	v_dual_mul_f32 v76, v75, v65 :: v_dual_mov_b32 v72, v75
	s_delay_alu instid0(VALU_DEP_2) | instskip(NEXT) | instid1(VALU_DEP_2)
	v_dual_mov_b32 v79, v73 :: v_dual_mov_b32 v73, v74
	v_pk_fma_f32 v[76:77], v[74:75], v[54:55], v[76:77] op_sel_hi:[1,1,0] neg_lo:[0,0,1] neg_hi:[0,0,1]
	v_mul_f32_e32 v74, v75, v62
	s_delay_alu instid0(VALU_DEP_3) | instskip(NEXT) | instid1(VALU_DEP_2)
	v_pk_add_f32 v[18:19], v[18:19], v[78:79] neg_lo:[0,1] neg_hi:[0,1]
	v_pk_fma_f32 v[72:73], v[72:73], v[54:55], v[74:75] op_sel_hi:[1,1,0]
	s_delay_alu instid0(VALU_DEP_1) | instskip(SKIP_4) | instid1(VALU_DEP_1)
	v_mov_b32_e32 v77, v73
	ds_load_b64 v[72:73], v66 offset:216
	v_pk_add_f32 v[16:17], v[16:17], v[76:77] neg_lo:[0,1] neg_hi:[0,1]
	s_wait_dscnt 0x0
	v_pk_mul_f32 v[64:65], v[72:73], v[64:65] op_sel:[0,1]
	v_pk_fma_f32 v[74:75], v[72:73], v[62:63], v[64:65] op_sel:[0,0,1] op_sel_hi:[1,1,0] neg_lo:[0,0,1] neg_hi:[0,0,1]
	v_pk_fma_f32 v[62:63], v[72:73], v[62:63], v[64:65] op_sel:[0,0,1] op_sel_hi:[1,0,0]
	s_delay_alu instid0(VALU_DEP_1) | instskip(NEXT) | instid1(VALU_DEP_1)
	v_mov_b32_e32 v75, v63
	v_pk_add_f32 v[60:61], v[60:61], v[74:75] neg_lo:[0,1] neg_hi:[0,1]
.LBB54_62:
	s_or_b32 exec_lo, exec_lo, s0
	v_lshl_add_u32 v62, v70, 3, v66
	s_barrier_signal -1
	s_barrier_wait -1
	ds_store_b64 v62, v[52:53]
	s_wait_dscnt 0x0
	s_barrier_signal -1
	s_barrier_wait -1
	ds_load_b64 v[64:65], v66 offset:24
	v_mov_b32_e32 v62, 3
	s_cmp_lt_i32 s18, 5
	s_cbranch_scc1 .LBB54_65
; %bb.63:
	v_mov_b32_e32 v62, 3
	v_add3_u32 v63, v67, 0, 32
	s_mov_b32 s0, 4
.LBB54_64:                              ; =>This Inner Loop Header: Depth=1
	ds_load_b64 v[72:73], v63
	s_wait_dscnt 0x1
	v_cmp_gt_f32_e32 vcc_lo, 0, v64
	v_cndmask_b32_e64 v74, v64, -v64, vcc_lo
	v_cmp_gt_f32_e32 vcc_lo, 0, v65
	v_cndmask_b32_e64 v76, v65, -v65, vcc_lo
	s_wait_dscnt 0x0
	v_cmp_gt_f32_e32 vcc_lo, 0, v72
	v_cndmask_b32_e64 v75, v72, -v72, vcc_lo
	v_cmp_gt_f32_e32 vcc_lo, 0, v73
	v_cndmask_b32_e64 v77, v73, -v73, vcc_lo
	s_delay_alu instid0(VALU_DEP_1) | instskip(NEXT) | instid1(VALU_DEP_1)
	v_pk_add_f32 v[74:75], v[74:75], v[76:77]
	v_cmp_lt_f32_e32 vcc_lo, v74, v75
	v_dual_add_nc_u32 v63, 8, v63 :: v_dual_cndmask_b32 v65, v65, v73, vcc_lo
	v_cndmask_b32_e32 v64, v64, v72, vcc_lo
	v_cndmask_b32_e64 v62, v62, s0, vcc_lo
	s_add_co_i32 s0, s0, 1
	s_delay_alu instid0(SALU_CYCLE_1)
	s_cmp_lg_u32 s18, s0
	s_cbranch_scc1 .LBB54_64
.LBB54_65:
	s_wait_dscnt 0x0
	v_cmp_eq_f32_e32 vcc_lo, 0, v64
	v_cmp_eq_f32_e64 s0, 0, v65
	s_and_b32 s0, vcc_lo, s0
	s_delay_alu instid0(SALU_CYCLE_1) | instskip(NEXT) | instid1(SALU_CYCLE_1)
	s_and_saveexec_b32 s1, s0
	s_xor_b32 s0, exec_lo, s1
; %bb.66:
	v_cmp_ne_u32_e32 vcc_lo, 0, v69
	v_cndmask_b32_e32 v69, 4, v69, vcc_lo
; %bb.67:
	s_and_not1_saveexec_b32 s0, s0
	s_cbranch_execz .LBB54_73
; %bb.68:
	v_cmp_ngt_f32_e64 s1, |v64|, |v65|
	s_and_saveexec_b32 s12, s1
	s_delay_alu instid0(SALU_CYCLE_1)
	s_xor_b32 s1, exec_lo, s12
	s_cbranch_execz .LBB54_70
; %bb.69:
	v_div_scale_f32 v63, null, v65, v65, v64
	v_div_scale_f32 v73, vcc_lo, v64, v65, v64
	s_delay_alu instid0(VALU_DEP_2) | instskip(SKIP_1) | instid1(TRANS32_DEP_1)
	v_rcp_f32_e32 v71, v63
	v_nop
	v_fma_f32 v72, -v63, v71, 1.0
	s_delay_alu instid0(VALU_DEP_1) | instskip(NEXT) | instid1(VALU_DEP_1)
	v_fmac_f32_e32 v71, v72, v71
	v_mul_f32_e32 v72, v73, v71
	s_delay_alu instid0(VALU_DEP_1) | instskip(NEXT) | instid1(VALU_DEP_1)
	v_fma_f32 v74, -v63, v72, v73
	v_fmac_f32_e32 v72, v74, v71
	s_delay_alu instid0(VALU_DEP_1) | instskip(NEXT) | instid1(VALU_DEP_1)
	v_fma_f32 v63, -v63, v72, v73
	v_div_fmas_f32 v63, v63, v71, v72
	s_delay_alu instid0(VALU_DEP_1) | instskip(NEXT) | instid1(VALU_DEP_1)
	v_div_fixup_f32 v63, v63, v65, v64
	v_fmac_f32_e32 v65, v64, v63
	s_delay_alu instid0(VALU_DEP_1) | instskip(SKIP_1) | instid1(VALU_DEP_2)
	v_div_scale_f32 v64, null, v65, v65, 1.0
	v_div_scale_f32 v73, vcc_lo, 1.0, v65, 1.0
	v_rcp_f32_e32 v71, v64
	v_nop
	s_delay_alu instid0(TRANS32_DEP_1) | instskip(NEXT) | instid1(VALU_DEP_1)
	v_fma_f32 v72, -v64, v71, 1.0
	v_fmac_f32_e32 v71, v72, v71
	s_delay_alu instid0(VALU_DEP_1) | instskip(NEXT) | instid1(VALU_DEP_1)
	v_mul_f32_e32 v72, v73, v71
	v_fma_f32 v74, -v64, v72, v73
	s_delay_alu instid0(VALU_DEP_1) | instskip(NEXT) | instid1(VALU_DEP_1)
	v_fmac_f32_e32 v72, v74, v71
	v_fma_f32 v64, -v64, v72, v73
	s_delay_alu instid0(VALU_DEP_1) | instskip(NEXT) | instid1(VALU_DEP_1)
	v_div_fmas_f32 v64, v64, v71, v72
	v_div_fixup_f32 v65, v64, v65, 1.0
	s_delay_alu instid0(VALU_DEP_1)
	v_mul_f32_e32 v64, v63, v65
	v_xor_b32_e32 v65, 0x80000000, v65
.LBB54_70:
	s_and_not1_saveexec_b32 s1, s1
	s_cbranch_execz .LBB54_72
; %bb.71:
	s_delay_alu instid0(VALU_DEP_1) | instskip(SKIP_1) | instid1(VALU_DEP_2)
	v_div_scale_f32 v63, null, v64, v64, v65
	v_div_scale_f32 v73, vcc_lo, v65, v64, v65
	v_rcp_f32_e32 v71, v63
	v_nop
	s_delay_alu instid0(TRANS32_DEP_1) | instskip(NEXT) | instid1(VALU_DEP_1)
	v_fma_f32 v72, -v63, v71, 1.0
	v_fmac_f32_e32 v71, v72, v71
	s_delay_alu instid0(VALU_DEP_1) | instskip(NEXT) | instid1(VALU_DEP_1)
	v_mul_f32_e32 v72, v73, v71
	v_fma_f32 v74, -v63, v72, v73
	s_delay_alu instid0(VALU_DEP_1) | instskip(NEXT) | instid1(VALU_DEP_1)
	v_fmac_f32_e32 v72, v74, v71
	v_fma_f32 v63, -v63, v72, v73
	s_delay_alu instid0(VALU_DEP_1) | instskip(NEXT) | instid1(VALU_DEP_1)
	v_div_fmas_f32 v63, v63, v71, v72
	v_div_fixup_f32 v63, v63, v64, v65
	s_delay_alu instid0(VALU_DEP_1) | instskip(NEXT) | instid1(VALU_DEP_1)
	v_fmac_f32_e32 v64, v65, v63
	v_div_scale_f32 v65, null, v64, v64, 1.0
	s_delay_alu instid0(VALU_DEP_1) | instskip(SKIP_1) | instid1(TRANS32_DEP_1)
	v_rcp_f32_e32 v71, v65
	v_nop
	v_fma_f32 v72, -v65, v71, 1.0
	s_delay_alu instid0(VALU_DEP_1) | instskip(SKIP_1) | instid1(VALU_DEP_1)
	v_fmac_f32_e32 v71, v72, v71
	v_div_scale_f32 v72, vcc_lo, 1.0, v64, 1.0
	v_mul_f32_e32 v73, v72, v71
	s_delay_alu instid0(VALU_DEP_1) | instskip(NEXT) | instid1(VALU_DEP_1)
	v_fma_f32 v74, -v65, v73, v72
	v_fmac_f32_e32 v73, v74, v71
	s_delay_alu instid0(VALU_DEP_1) | instskip(NEXT) | instid1(VALU_DEP_1)
	v_fma_f32 v65, -v65, v73, v72
	v_div_fmas_f32 v65, v65, v71, v73
	s_delay_alu instid0(VALU_DEP_1) | instskip(NEXT) | instid1(VALU_DEP_1)
	v_div_fixup_f32 v64, v65, v64, 1.0
	v_mul_f32_e64 v65, v63, -v64
.LBB54_72:
	s_or_b32 exec_lo, exec_lo, s1
.LBB54_73:
	s_delay_alu instid0(SALU_CYCLE_1) | instskip(NEXT) | instid1(SALU_CYCLE_1)
	s_or_b32 exec_lo, exec_lo, s0
	s_mov_b32 s0, exec_lo
	v_cmpx_ne_u32_e64 v70, v62
	s_xor_b32 s0, exec_lo, s0
	s_cbranch_execz .LBB54_79
; %bb.74:
	s_mov_b32 s1, exec_lo
	v_cmpx_eq_u32_e32 3, v70
	s_cbranch_execz .LBB54_78
; %bb.75:
	v_cmp_ne_u32_e32 vcc_lo, 3, v62
	s_xor_b32 s12, s16, -1
	s_delay_alu instid0(SALU_CYCLE_1) | instskip(NEXT) | instid1(SALU_CYCLE_1)
	s_and_b32 s13, s12, vcc_lo
	s_and_saveexec_b32 s12, s13
	s_cbranch_execz .LBB54_77
; %bb.76:
	v_ashrrev_i32_e32 v63, 31, v62
	s_delay_alu instid0(VALU_DEP_1)
	v_lshl_add_u64 v[70:71], v[62:63], 2, v[4:5]
	s_clause 0x1
	global_load_b32 v63, v[70:71], off
	global_load_b32 v68, v[4:5], off offset:12
	s_wait_loadcnt 0x1
	global_store_b32 v[4:5], v63, off offset:12
	s_wait_loadcnt 0x0
	global_store_b32 v[70:71], v68, off
.LBB54_77:
	s_wait_xcnt 0x0
	s_or_b32 exec_lo, exec_lo, s12
	v_dual_mov_b32 v70, v62 :: v_dual_mov_b32 v68, v62
.LBB54_78:
	s_or_b32 exec_lo, exec_lo, s1
.LBB54_79:
	s_and_not1_saveexec_b32 s0, s0
	s_cbranch_execz .LBB54_81
; %bb.80:
	v_dual_mov_b32 v62, v32 :: v_dual_mov_b32 v63, v33
	v_dual_mov_b32 v70, v28 :: v_dual_mov_b32 v71, v29
	;; [unrolled: 1-line block ×4, first 2 shown]
	ds_store_2addr_b64 v66, v[62:63], v[70:71] offset0:4 offset1:5
	ds_store_2addr_b64 v66, v[72:73], v[74:75] offset0:6 offset1:7
	v_dual_mov_b32 v62, v38 :: v_dual_mov_b32 v63, v39
	v_dual_mov_b32 v70, v34 :: v_dual_mov_b32 v71, v35
	;; [unrolled: 1-line block ×12, first 2 shown]
	ds_store_2addr_b64 v66, v[62:63], v[70:71] offset0:8 offset1:9
	ds_store_2addr_b64 v66, v[72:73], v[74:75] offset0:10 offset1:11
	;; [unrolled: 1-line block ×6, first 2 shown]
	v_dual_mov_b32 v62, v26 :: v_dual_mov_b32 v63, v27
	v_dual_mov_b32 v72, v22 :: v_dual_mov_b32 v73, v23
	;; [unrolled: 1-line block ×7, first 2 shown]
	v_mov_b32_e32 v83, v17
	ds_store_2addr_b64 v66, v[62:63], v[72:73] offset0:20 offset1:21
	ds_store_2addr_b64 v66, v[74:75], v[76:77] offset0:22 offset1:23
	;; [unrolled: 1-line block ×4, first 2 shown]
.LBB54_81:
	s_or_b32 exec_lo, exec_lo, s0
	s_delay_alu instid0(SALU_CYCLE_1)
	s_mov_b32 s0, exec_lo
	s_wait_storecnt_dscnt 0x0
	s_barrier_signal -1
	s_barrier_wait -1
	v_cmpx_lt_i32_e32 3, v70
	s_cbranch_execz .LBB54_83
; %bb.82:
	v_pk_mul_f32 v[72:73], v[64:65], v[52:53] op_sel:[1,1] op_sel_hi:[0,1]
	s_delay_alu instid0(VALU_DEP_1)
	v_pk_fma_f32 v[62:63], v[64:65], v[52:53], v[72:73] op_sel_hi:[1,0,1] neg_lo:[0,0,1] neg_hi:[0,0,1]
	v_pk_fma_f32 v[64:65], v[64:65], v[52:53], v[72:73] op_sel_hi:[1,0,1]
	ds_load_2addr_b64 v[72:75], v66 offset0:4 offset1:5
	v_dual_mov_b32 v52, v62 :: v_dual_mov_b32 v53, v65
	s_wait_dscnt 0x0
	v_pk_mul_f32 v[76:77], v[72:73], v[64:65] op_sel:[0,1]
	s_delay_alu instid0(VALU_DEP_1) | instskip(SKIP_1) | instid1(VALU_DEP_1)
	v_pk_fma_f32 v[78:79], v[72:73], v[62:63], v[76:77] op_sel:[0,0,1] op_sel_hi:[1,1,0] neg_lo:[0,0,1] neg_hi:[0,0,1]
	v_pk_fma_f32 v[72:73], v[72:73], v[62:63], v[76:77] op_sel:[0,0,1] op_sel_hi:[1,0,0]
	v_mov_b32_e32 v79, v73
	v_pk_mul_f32 v[72:73], v[74:75], v[64:65] op_sel:[0,1]
	s_delay_alu instid0(VALU_DEP_1) | instskip(SKIP_1) | instid1(VALU_DEP_1)
	v_pk_fma_f32 v[76:77], v[74:75], v[62:63], v[72:73] op_sel:[0,0,1] op_sel_hi:[1,1,0] neg_lo:[0,0,1] neg_hi:[0,0,1]
	v_pk_fma_f32 v[72:73], v[74:75], v[62:63], v[72:73] op_sel:[0,0,1] op_sel_hi:[1,0,0]
	v_mov_b32_e32 v77, v73
	ds_load_2addr_b64 v[72:75], v66 offset0:6 offset1:7
	v_pk_add_f32 v[32:33], v[32:33], v[78:79] neg_lo:[0,1] neg_hi:[0,1]
	v_pk_add_f32 v[28:29], v[28:29], v[76:77] neg_lo:[0,1] neg_hi:[0,1]
	s_wait_dscnt 0x0
	v_pk_mul_f32 v[76:77], v[72:73], v[64:65] op_sel:[0,1]
	s_delay_alu instid0(VALU_DEP_1) | instskip(SKIP_2) | instid1(VALU_DEP_2)
	v_pk_fma_f32 v[78:79], v[72:73], v[62:63], v[76:77] op_sel:[0,0,1] op_sel_hi:[1,1,0] neg_lo:[0,0,1] neg_hi:[0,0,1]
	v_pk_fma_f32 v[72:73], v[72:73], v[62:63], v[76:77] op_sel:[0,0,1] op_sel_hi:[1,0,0]
	v_dual_mul_f32 v76, v75, v65 :: v_dual_mov_b32 v72, v75
	v_dual_mov_b32 v79, v73 :: v_dual_mov_b32 v73, v74
	s_delay_alu instid0(VALU_DEP_2) | instskip(SKIP_1) | instid1(VALU_DEP_3)
	v_pk_fma_f32 v[76:77], v[74:75], v[52:53], v[76:77] op_sel_hi:[1,1,0] neg_lo:[0,0,1] neg_hi:[0,0,1]
	v_mul_f32_e32 v74, v75, v62
	v_pk_add_f32 v[30:31], v[30:31], v[78:79] neg_lo:[0,1] neg_hi:[0,1]
	s_delay_alu instid0(VALU_DEP_2) | instskip(NEXT) | instid1(VALU_DEP_1)
	v_pk_fma_f32 v[72:73], v[72:73], v[52:53], v[74:75] op_sel_hi:[1,1,0]
	v_mov_b32_e32 v77, v73
	ds_load_2addr_b64 v[72:75], v66 offset0:8 offset1:9
	v_pk_add_f32 v[6:7], v[6:7], v[76:77] neg_lo:[0,1] neg_hi:[0,1]
	s_wait_dscnt 0x0
	v_pk_mul_f32 v[76:77], v[72:73], v[64:65] op_sel:[0,1]
	s_delay_alu instid0(VALU_DEP_1) | instskip(SKIP_1) | instid1(VALU_DEP_1)
	v_pk_fma_f32 v[78:79], v[72:73], v[62:63], v[76:77] op_sel:[0,0,1] op_sel_hi:[1,1,0] neg_lo:[0,0,1] neg_hi:[0,0,1]
	v_pk_fma_f32 v[72:73], v[72:73], v[62:63], v[76:77] op_sel:[0,0,1] op_sel_hi:[1,0,0]
	v_mov_b32_e32 v79, v73
	v_pk_mul_f32 v[72:73], v[74:75], v[64:65] op_sel:[0,1]
	s_delay_alu instid0(VALU_DEP_1) | instskip(SKIP_1) | instid1(VALU_DEP_1)
	v_pk_fma_f32 v[76:77], v[74:75], v[62:63], v[72:73] op_sel:[0,0,1] op_sel_hi:[1,1,0] neg_lo:[0,0,1] neg_hi:[0,0,1]
	v_pk_fma_f32 v[72:73], v[74:75], v[62:63], v[72:73] op_sel:[0,0,1] op_sel_hi:[1,0,0]
	v_mov_b32_e32 v77, v73
	ds_load_2addr_b64 v[72:75], v66 offset0:10 offset1:11
	v_pk_add_f32 v[38:39], v[38:39], v[78:79] neg_lo:[0,1] neg_hi:[0,1]
	v_pk_add_f32 v[34:35], v[34:35], v[76:77] neg_lo:[0,1] neg_hi:[0,1]
	s_wait_dscnt 0x0
	v_pk_mul_f32 v[76:77], v[72:73], v[64:65] op_sel:[0,1]
	s_delay_alu instid0(VALU_DEP_1) | instskip(SKIP_1) | instid1(VALU_DEP_1)
	v_pk_fma_f32 v[78:79], v[72:73], v[62:63], v[76:77] op_sel:[0,0,1] op_sel_hi:[1,1,0] neg_lo:[0,0,1] neg_hi:[0,0,1]
	v_pk_fma_f32 v[72:73], v[72:73], v[62:63], v[76:77] op_sel:[0,0,1] op_sel_hi:[1,0,0]
	v_mov_b32_e32 v79, v73
	v_pk_mul_f32 v[72:73], v[74:75], v[64:65] op_sel:[0,1]
	s_delay_alu instid0(VALU_DEP_1) | instskip(SKIP_1) | instid1(VALU_DEP_1)
	v_pk_fma_f32 v[76:77], v[74:75], v[62:63], v[72:73] op_sel:[0,0,1] op_sel_hi:[1,1,0] neg_lo:[0,0,1] neg_hi:[0,0,1]
	v_pk_fma_f32 v[72:73], v[74:75], v[62:63], v[72:73] op_sel:[0,0,1] op_sel_hi:[1,0,0]
	v_mov_b32_e32 v77, v73
	ds_load_2addr_b64 v[72:75], v66 offset0:12 offset1:13
	v_pk_add_f32 v[36:37], v[36:37], v[78:79] neg_lo:[0,1] neg_hi:[0,1]
	v_pk_add_f32 v[8:9], v[8:9], v[76:77] neg_lo:[0,1] neg_hi:[0,1]
	s_wait_dscnt 0x0
	v_dual_mul_f32 v76, v73, v65 :: v_dual_mul_f32 v78, v73, v62
	s_delay_alu instid0(VALU_DEP_1) | instskip(NEXT) | instid1(VALU_DEP_2)
	v_pk_fma_f32 v[76:77], v[72:73], v[52:53], v[76:77] op_sel_hi:[1,1,0] neg_lo:[0,0,1] neg_hi:[0,0,1]
	v_pk_fma_f32 v[72:73], v[72:73], v[52:53], v[78:79] op_sel:[1,0,0] op_sel_hi:[0,1,0]
	s_delay_alu instid0(VALU_DEP_1) | instskip(SKIP_1) | instid1(VALU_DEP_2)
	v_mov_b32_e32 v77, v73
	v_pk_mul_f32 v[72:73], v[74:75], v[64:65] op_sel:[0,1]
	v_pk_add_f32 v[44:45], v[44:45], v[76:77] neg_lo:[0,1] neg_hi:[0,1]
	s_delay_alu instid0(VALU_DEP_2) | instskip(SKIP_1) | instid1(VALU_DEP_1)
	v_pk_fma_f32 v[76:77], v[74:75], v[62:63], v[72:73] op_sel:[0,0,1] op_sel_hi:[1,1,0] neg_lo:[0,0,1] neg_hi:[0,0,1]
	v_pk_fma_f32 v[72:73], v[74:75], v[62:63], v[72:73] op_sel:[0,0,1] op_sel_hi:[1,0,0]
	v_mov_b32_e32 v77, v73
	ds_load_2addr_b64 v[72:75], v66 offset0:14 offset1:15
	v_pk_add_f32 v[40:41], v[40:41], v[76:77] neg_lo:[0,1] neg_hi:[0,1]
	s_wait_dscnt 0x0
	v_pk_mul_f32 v[76:77], v[72:73], v[64:65] op_sel:[0,1]
	s_delay_alu instid0(VALU_DEP_1) | instskip(SKIP_1) | instid1(VALU_DEP_1)
	v_pk_fma_f32 v[78:79], v[72:73], v[62:63], v[76:77] op_sel:[0,0,1] op_sel_hi:[1,1,0] neg_lo:[0,0,1] neg_hi:[0,0,1]
	v_pk_fma_f32 v[72:73], v[72:73], v[62:63], v[76:77] op_sel:[0,0,1] op_sel_hi:[1,0,0]
	v_mov_b32_e32 v79, v73
	v_pk_mul_f32 v[72:73], v[74:75], v[64:65] op_sel:[0,1]
	s_delay_alu instid0(VALU_DEP_2) | instskip(NEXT) | instid1(VALU_DEP_2)
	v_pk_add_f32 v[42:43], v[42:43], v[78:79] neg_lo:[0,1] neg_hi:[0,1]
	v_pk_fma_f32 v[76:77], v[74:75], v[62:63], v[72:73] op_sel:[0,0,1] op_sel_hi:[1,1,0] neg_lo:[0,0,1] neg_hi:[0,0,1]
	v_pk_fma_f32 v[72:73], v[74:75], v[62:63], v[72:73] op_sel:[0,0,1] op_sel_hi:[1,0,0]
	s_delay_alu instid0(VALU_DEP_1) | instskip(SKIP_4) | instid1(VALU_DEP_1)
	v_mov_b32_e32 v77, v73
	ds_load_2addr_b64 v[72:75], v66 offset0:16 offset1:17
	v_pk_add_f32 v[10:11], v[10:11], v[76:77] neg_lo:[0,1] neg_hi:[0,1]
	s_wait_dscnt 0x0
	v_pk_mul_f32 v[76:77], v[72:73], v[64:65] op_sel:[0,1]
	v_pk_fma_f32 v[78:79], v[72:73], v[62:63], v[76:77] op_sel:[0,0,1] op_sel_hi:[1,1,0] neg_lo:[0,0,1] neg_hi:[0,0,1]
	v_pk_fma_f32 v[72:73], v[72:73], v[62:63], v[76:77] op_sel:[0,0,1] op_sel_hi:[1,0,0]
	v_dual_mul_f32 v76, v75, v65 :: v_dual_mov_b32 v72, v75
	s_delay_alu instid0(VALU_DEP_2) | instskip(NEXT) | instid1(VALU_DEP_2)
	v_dual_mov_b32 v79, v73 :: v_dual_mov_b32 v73, v74
	v_pk_fma_f32 v[76:77], v[74:75], v[52:53], v[76:77] op_sel_hi:[1,1,0] neg_lo:[0,0,1] neg_hi:[0,0,1]
	v_mul_f32_e32 v74, v75, v62
	s_delay_alu instid0(VALU_DEP_3) | instskip(NEXT) | instid1(VALU_DEP_2)
	v_pk_add_f32 v[50:51], v[50:51], v[78:79] neg_lo:[0,1] neg_hi:[0,1]
	v_pk_fma_f32 v[72:73], v[72:73], v[52:53], v[74:75] op_sel_hi:[1,1,0]
	s_delay_alu instid0(VALU_DEP_1) | instskip(SKIP_4) | instid1(VALU_DEP_1)
	v_mov_b32_e32 v77, v73
	ds_load_2addr_b64 v[72:75], v66 offset0:18 offset1:19
	v_pk_add_f32 v[46:47], v[46:47], v[76:77] neg_lo:[0,1] neg_hi:[0,1]
	s_wait_dscnt 0x0
	v_pk_mul_f32 v[76:77], v[72:73], v[64:65] op_sel:[0,1]
	v_pk_fma_f32 v[78:79], v[72:73], v[62:63], v[76:77] op_sel:[0,0,1] op_sel_hi:[1,1,0] neg_lo:[0,0,1] neg_hi:[0,0,1]
	v_pk_fma_f32 v[72:73], v[72:73], v[62:63], v[76:77] op_sel:[0,0,1] op_sel_hi:[1,0,0]
	s_delay_alu instid0(VALU_DEP_1) | instskip(SKIP_1) | instid1(VALU_DEP_1)
	v_mov_b32_e32 v79, v73
	v_pk_mul_f32 v[72:73], v[74:75], v[64:65] op_sel:[0,1]
	v_pk_fma_f32 v[76:77], v[74:75], v[62:63], v[72:73] op_sel:[0,0,1] op_sel_hi:[1,1,0] neg_lo:[0,0,1] neg_hi:[0,0,1]
	v_pk_fma_f32 v[72:73], v[74:75], v[62:63], v[72:73] op_sel:[0,0,1] op_sel_hi:[1,0,0]
	s_delay_alu instid0(VALU_DEP_1)
	v_mov_b32_e32 v77, v73
	ds_load_2addr_b64 v[72:75], v66 offset0:20 offset1:21
	v_pk_add_f32 v[48:49], v[48:49], v[78:79] neg_lo:[0,1] neg_hi:[0,1]
	v_pk_add_f32 v[12:13], v[12:13], v[76:77] neg_lo:[0,1] neg_hi:[0,1]
	s_wait_dscnt 0x0
	v_pk_mul_f32 v[76:77], v[72:73], v[64:65] op_sel:[0,1]
	s_delay_alu instid0(VALU_DEP_1) | instskip(SKIP_1) | instid1(VALU_DEP_1)
	v_pk_fma_f32 v[78:79], v[72:73], v[62:63], v[76:77] op_sel:[0,0,1] op_sel_hi:[1,1,0] neg_lo:[0,0,1] neg_hi:[0,0,1]
	v_pk_fma_f32 v[72:73], v[72:73], v[62:63], v[76:77] op_sel:[0,0,1] op_sel_hi:[1,0,0]
	v_mov_b32_e32 v79, v73
	v_pk_mul_f32 v[72:73], v[74:75], v[64:65] op_sel:[0,1]
	s_delay_alu instid0(VALU_DEP_1) | instskip(SKIP_1) | instid1(VALU_DEP_1)
	v_pk_fma_f32 v[76:77], v[74:75], v[62:63], v[72:73] op_sel:[0,0,1] op_sel_hi:[1,1,0] neg_lo:[0,0,1] neg_hi:[0,0,1]
	v_pk_fma_f32 v[72:73], v[74:75], v[62:63], v[72:73] op_sel:[0,0,1] op_sel_hi:[1,0,0]
	v_mov_b32_e32 v77, v73
	ds_load_2addr_b64 v[72:75], v66 offset0:22 offset1:23
	v_pk_add_f32 v[26:27], v[26:27], v[78:79] neg_lo:[0,1] neg_hi:[0,1]
	v_pk_add_f32 v[22:23], v[22:23], v[76:77] neg_lo:[0,1] neg_hi:[0,1]
	s_wait_dscnt 0x0
	v_dual_mul_f32 v76, v73, v65 :: v_dual_mul_f32 v78, v73, v62
	s_delay_alu instid0(VALU_DEP_1) | instskip(NEXT) | instid1(VALU_DEP_2)
	v_pk_fma_f32 v[76:77], v[72:73], v[52:53], v[76:77] op_sel_hi:[1,1,0] neg_lo:[0,0,1] neg_hi:[0,0,1]
	v_pk_fma_f32 v[72:73], v[72:73], v[52:53], v[78:79] op_sel:[1,0,0] op_sel_hi:[0,1,0]
	s_delay_alu instid0(VALU_DEP_1) | instskip(SKIP_1) | instid1(VALU_DEP_2)
	v_mov_b32_e32 v77, v73
	v_pk_mul_f32 v[72:73], v[74:75], v[64:65] op_sel:[0,1]
	v_pk_add_f32 v[24:25], v[24:25], v[76:77] neg_lo:[0,1] neg_hi:[0,1]
	s_delay_alu instid0(VALU_DEP_2) | instskip(SKIP_1) | instid1(VALU_DEP_1)
	v_pk_fma_f32 v[76:77], v[74:75], v[62:63], v[72:73] op_sel:[0,0,1] op_sel_hi:[1,1,0] neg_lo:[0,0,1] neg_hi:[0,0,1]
	v_pk_fma_f32 v[72:73], v[74:75], v[62:63], v[72:73] op_sel:[0,0,1] op_sel_hi:[1,0,0]
	v_mov_b32_e32 v77, v73
	ds_load_2addr_b64 v[72:75], v66 offset0:24 offset1:25
	v_pk_add_f32 v[14:15], v[14:15], v[76:77] neg_lo:[0,1] neg_hi:[0,1]
	s_wait_dscnt 0x0
	v_pk_mul_f32 v[76:77], v[72:73], v[64:65] op_sel:[0,1]
	s_delay_alu instid0(VALU_DEP_1) | instskip(SKIP_1) | instid1(VALU_DEP_1)
	v_pk_fma_f32 v[78:79], v[72:73], v[62:63], v[76:77] op_sel:[0,0,1] op_sel_hi:[1,1,0] neg_lo:[0,0,1] neg_hi:[0,0,1]
	v_pk_fma_f32 v[72:73], v[72:73], v[62:63], v[76:77] op_sel:[0,0,1] op_sel_hi:[1,0,0]
	v_mov_b32_e32 v79, v73
	v_pk_mul_f32 v[72:73], v[74:75], v[64:65] op_sel:[0,1]
	s_delay_alu instid0(VALU_DEP_2) | instskip(NEXT) | instid1(VALU_DEP_2)
	v_pk_add_f32 v[20:21], v[20:21], v[78:79] neg_lo:[0,1] neg_hi:[0,1]
	v_pk_fma_f32 v[76:77], v[74:75], v[62:63], v[72:73] op_sel:[0,0,1] op_sel_hi:[1,1,0] neg_lo:[0,0,1] neg_hi:[0,0,1]
	v_pk_fma_f32 v[72:73], v[74:75], v[62:63], v[72:73] op_sel:[0,0,1] op_sel_hi:[1,0,0]
	s_delay_alu instid0(VALU_DEP_1)
	v_mov_b32_e32 v77, v73
	ds_load_2addr_b64 v[72:75], v66 offset0:26 offset1:27
	v_pk_add_f32 v[18:19], v[18:19], v[76:77] neg_lo:[0,1] neg_hi:[0,1]
	s_wait_dscnt 0x0
	v_pk_mul_f32 v[76:77], v[72:73], v[64:65] op_sel:[0,1]
	v_mul_f32_e32 v64, v75, v65
	s_delay_alu instid0(VALU_DEP_2) | instskip(SKIP_2) | instid1(VALU_DEP_4)
	v_pk_fma_f32 v[78:79], v[72:73], v[62:63], v[76:77] op_sel:[0,0,1] op_sel_hi:[1,1,0] neg_lo:[0,0,1] neg_hi:[0,0,1]
	v_pk_fma_f32 v[72:73], v[72:73], v[62:63], v[76:77] op_sel:[0,0,1] op_sel_hi:[1,0,0]
	v_dual_mov_b32 v72, v75 :: v_dual_mul_f32 v62, v75, v62
	v_pk_fma_f32 v[64:65], v[74:75], v[52:53], v[64:65] op_sel_hi:[1,1,0] neg_lo:[0,0,1] neg_hi:[0,0,1]
	s_delay_alu instid0(VALU_DEP_3) | instskip(NEXT) | instid1(VALU_DEP_1)
	v_dual_mov_b32 v79, v73 :: v_dual_mov_b32 v73, v74
	v_pk_add_f32 v[16:17], v[16:17], v[78:79] neg_lo:[0,1] neg_hi:[0,1]
	s_delay_alu instid0(VALU_DEP_2) | instskip(NEXT) | instid1(VALU_DEP_1)
	v_pk_fma_f32 v[62:63], v[72:73], v[52:53], v[62:63] op_sel_hi:[1,1,0]
	v_mov_b32_e32 v65, v63
	s_delay_alu instid0(VALU_DEP_1)
	v_pk_add_f32 v[60:61], v[60:61], v[64:65] neg_lo:[0,1] neg_hi:[0,1]
.LBB54_83:
	s_or_b32 exec_lo, exec_lo, s0
	v_lshl_add_u32 v62, v70, 3, v66
	s_barrier_signal -1
	s_barrier_wait -1
	ds_store_b64 v62, v[32:33]
	s_wait_dscnt 0x0
	s_barrier_signal -1
	s_barrier_wait -1
	ds_load_b64 v[64:65], v66 offset:32
	v_mov_b32_e32 v62, 4
	s_cmp_lt_i32 s18, 6
	s_cbranch_scc1 .LBB54_86
; %bb.84:
	v_add3_u32 v63, v67, 0, 40
	v_mov_b32_e32 v62, 4
	s_mov_b32 s0, 5
.LBB54_85:                              ; =>This Inner Loop Header: Depth=1
	ds_load_b64 v[72:73], v63
	s_wait_dscnt 0x1
	v_cmp_gt_f32_e32 vcc_lo, 0, v64
	v_cndmask_b32_e64 v74, v64, -v64, vcc_lo
	v_cmp_gt_f32_e32 vcc_lo, 0, v65
	v_cndmask_b32_e64 v76, v65, -v65, vcc_lo
	s_wait_dscnt 0x0
	v_cmp_gt_f32_e32 vcc_lo, 0, v72
	v_cndmask_b32_e64 v75, v72, -v72, vcc_lo
	v_cmp_gt_f32_e32 vcc_lo, 0, v73
	v_cndmask_b32_e64 v77, v73, -v73, vcc_lo
	s_delay_alu instid0(VALU_DEP_1) | instskip(NEXT) | instid1(VALU_DEP_1)
	v_pk_add_f32 v[74:75], v[74:75], v[76:77]
	v_cmp_lt_f32_e32 vcc_lo, v74, v75
	v_dual_add_nc_u32 v63, 8, v63 :: v_dual_cndmask_b32 v65, v65, v73, vcc_lo
	v_cndmask_b32_e32 v64, v64, v72, vcc_lo
	v_cndmask_b32_e64 v62, v62, s0, vcc_lo
	s_add_co_i32 s0, s0, 1
	s_delay_alu instid0(SALU_CYCLE_1)
	s_cmp_lg_u32 s18, s0
	s_cbranch_scc1 .LBB54_85
.LBB54_86:
	s_wait_dscnt 0x0
	v_cmp_eq_f32_e32 vcc_lo, 0, v64
	v_cmp_eq_f32_e64 s0, 0, v65
	s_and_b32 s0, vcc_lo, s0
	s_delay_alu instid0(SALU_CYCLE_1) | instskip(NEXT) | instid1(SALU_CYCLE_1)
	s_and_saveexec_b32 s1, s0
	s_xor_b32 s0, exec_lo, s1
; %bb.87:
	v_cmp_ne_u32_e32 vcc_lo, 0, v69
	v_cndmask_b32_e32 v69, 5, v69, vcc_lo
; %bb.88:
	s_and_not1_saveexec_b32 s0, s0
	s_cbranch_execz .LBB54_94
; %bb.89:
	v_cmp_ngt_f32_e64 s1, |v64|, |v65|
	s_and_saveexec_b32 s12, s1
	s_delay_alu instid0(SALU_CYCLE_1)
	s_xor_b32 s1, exec_lo, s12
	s_cbranch_execz .LBB54_91
; %bb.90:
	v_div_scale_f32 v63, null, v65, v65, v64
	v_div_scale_f32 v73, vcc_lo, v64, v65, v64
	s_delay_alu instid0(VALU_DEP_2) | instskip(SKIP_1) | instid1(TRANS32_DEP_1)
	v_rcp_f32_e32 v71, v63
	v_nop
	v_fma_f32 v72, -v63, v71, 1.0
	s_delay_alu instid0(VALU_DEP_1) | instskip(NEXT) | instid1(VALU_DEP_1)
	v_fmac_f32_e32 v71, v72, v71
	v_mul_f32_e32 v72, v73, v71
	s_delay_alu instid0(VALU_DEP_1) | instskip(NEXT) | instid1(VALU_DEP_1)
	v_fma_f32 v74, -v63, v72, v73
	v_fmac_f32_e32 v72, v74, v71
	s_delay_alu instid0(VALU_DEP_1) | instskip(NEXT) | instid1(VALU_DEP_1)
	v_fma_f32 v63, -v63, v72, v73
	v_div_fmas_f32 v63, v63, v71, v72
	s_delay_alu instid0(VALU_DEP_1) | instskip(NEXT) | instid1(VALU_DEP_1)
	v_div_fixup_f32 v63, v63, v65, v64
	v_fmac_f32_e32 v65, v64, v63
	s_delay_alu instid0(VALU_DEP_1) | instskip(SKIP_1) | instid1(VALU_DEP_2)
	v_div_scale_f32 v64, null, v65, v65, 1.0
	v_div_scale_f32 v73, vcc_lo, 1.0, v65, 1.0
	v_rcp_f32_e32 v71, v64
	v_nop
	s_delay_alu instid0(TRANS32_DEP_1) | instskip(NEXT) | instid1(VALU_DEP_1)
	v_fma_f32 v72, -v64, v71, 1.0
	v_fmac_f32_e32 v71, v72, v71
	s_delay_alu instid0(VALU_DEP_1) | instskip(NEXT) | instid1(VALU_DEP_1)
	v_mul_f32_e32 v72, v73, v71
	v_fma_f32 v74, -v64, v72, v73
	s_delay_alu instid0(VALU_DEP_1) | instskip(NEXT) | instid1(VALU_DEP_1)
	v_fmac_f32_e32 v72, v74, v71
	v_fma_f32 v64, -v64, v72, v73
	s_delay_alu instid0(VALU_DEP_1) | instskip(NEXT) | instid1(VALU_DEP_1)
	v_div_fmas_f32 v64, v64, v71, v72
	v_div_fixup_f32 v65, v64, v65, 1.0
	s_delay_alu instid0(VALU_DEP_1)
	v_mul_f32_e32 v64, v63, v65
	v_xor_b32_e32 v65, 0x80000000, v65
.LBB54_91:
	s_and_not1_saveexec_b32 s1, s1
	s_cbranch_execz .LBB54_93
; %bb.92:
	s_delay_alu instid0(VALU_DEP_1) | instskip(SKIP_1) | instid1(VALU_DEP_2)
	v_div_scale_f32 v63, null, v64, v64, v65
	v_div_scale_f32 v73, vcc_lo, v65, v64, v65
	v_rcp_f32_e32 v71, v63
	v_nop
	s_delay_alu instid0(TRANS32_DEP_1) | instskip(NEXT) | instid1(VALU_DEP_1)
	v_fma_f32 v72, -v63, v71, 1.0
	v_fmac_f32_e32 v71, v72, v71
	s_delay_alu instid0(VALU_DEP_1) | instskip(NEXT) | instid1(VALU_DEP_1)
	v_mul_f32_e32 v72, v73, v71
	v_fma_f32 v74, -v63, v72, v73
	s_delay_alu instid0(VALU_DEP_1) | instskip(NEXT) | instid1(VALU_DEP_1)
	v_fmac_f32_e32 v72, v74, v71
	v_fma_f32 v63, -v63, v72, v73
	s_delay_alu instid0(VALU_DEP_1) | instskip(NEXT) | instid1(VALU_DEP_1)
	v_div_fmas_f32 v63, v63, v71, v72
	v_div_fixup_f32 v63, v63, v64, v65
	s_delay_alu instid0(VALU_DEP_1) | instskip(NEXT) | instid1(VALU_DEP_1)
	v_fmac_f32_e32 v64, v65, v63
	v_div_scale_f32 v65, null, v64, v64, 1.0
	s_delay_alu instid0(VALU_DEP_1) | instskip(SKIP_1) | instid1(TRANS32_DEP_1)
	v_rcp_f32_e32 v71, v65
	v_nop
	v_fma_f32 v72, -v65, v71, 1.0
	s_delay_alu instid0(VALU_DEP_1) | instskip(SKIP_1) | instid1(VALU_DEP_1)
	v_fmac_f32_e32 v71, v72, v71
	v_div_scale_f32 v72, vcc_lo, 1.0, v64, 1.0
	v_mul_f32_e32 v73, v72, v71
	s_delay_alu instid0(VALU_DEP_1) | instskip(NEXT) | instid1(VALU_DEP_1)
	v_fma_f32 v74, -v65, v73, v72
	v_fmac_f32_e32 v73, v74, v71
	s_delay_alu instid0(VALU_DEP_1) | instskip(NEXT) | instid1(VALU_DEP_1)
	v_fma_f32 v65, -v65, v73, v72
	v_div_fmas_f32 v65, v65, v71, v73
	s_delay_alu instid0(VALU_DEP_1) | instskip(NEXT) | instid1(VALU_DEP_1)
	v_div_fixup_f32 v64, v65, v64, 1.0
	v_mul_f32_e64 v65, v63, -v64
.LBB54_93:
	s_or_b32 exec_lo, exec_lo, s1
.LBB54_94:
	s_delay_alu instid0(SALU_CYCLE_1) | instskip(NEXT) | instid1(SALU_CYCLE_1)
	s_or_b32 exec_lo, exec_lo, s0
	s_mov_b32 s0, exec_lo
	v_cmpx_ne_u32_e64 v70, v62
	s_xor_b32 s0, exec_lo, s0
	s_cbranch_execz .LBB54_100
; %bb.95:
	s_mov_b32 s1, exec_lo
	v_cmpx_eq_u32_e32 4, v70
	s_cbranch_execz .LBB54_99
; %bb.96:
	v_cmp_ne_u32_e32 vcc_lo, 4, v62
	s_xor_b32 s12, s16, -1
	s_delay_alu instid0(SALU_CYCLE_1) | instskip(NEXT) | instid1(SALU_CYCLE_1)
	s_and_b32 s13, s12, vcc_lo
	s_and_saveexec_b32 s12, s13
	s_cbranch_execz .LBB54_98
; %bb.97:
	v_ashrrev_i32_e32 v63, 31, v62
	s_delay_alu instid0(VALU_DEP_1)
	v_lshl_add_u64 v[70:71], v[62:63], 2, v[4:5]
	s_clause 0x1
	global_load_b32 v63, v[70:71], off
	global_load_b32 v68, v[4:5], off offset:16
	s_wait_loadcnt 0x1
	global_store_b32 v[4:5], v63, off offset:16
	s_wait_loadcnt 0x0
	global_store_b32 v[70:71], v68, off
.LBB54_98:
	s_wait_xcnt 0x0
	s_or_b32 exec_lo, exec_lo, s12
	v_dual_mov_b32 v70, v62 :: v_dual_mov_b32 v68, v62
.LBB54_99:
	s_or_b32 exec_lo, exec_lo, s1
.LBB54_100:
	s_and_not1_saveexec_b32 s0, s0
	s_cbranch_execz .LBB54_102
; %bb.101:
	v_mov_b32_e32 v70, 4
	ds_store_2addr_b64 v66, v[28:29], v[30:31] offset0:5 offset1:6
	ds_store_2addr_b64 v66, v[6:7], v[38:39] offset0:7 offset1:8
	;; [unrolled: 1-line block ×11, first 2 shown]
	ds_store_b64 v66, v[60:61] offset:216
.LBB54_102:
	s_or_b32 exec_lo, exec_lo, s0
	s_delay_alu instid0(SALU_CYCLE_1)
	s_mov_b32 s0, exec_lo
	s_wait_storecnt_dscnt 0x0
	s_barrier_signal -1
	s_barrier_wait -1
	v_cmpx_lt_i32_e32 4, v70
	s_cbranch_execz .LBB54_104
; %bb.103:
	v_pk_mul_f32 v[72:73], v[64:65], v[32:33] op_sel:[1,1] op_sel_hi:[0,1]
	s_delay_alu instid0(VALU_DEP_1)
	v_pk_fma_f32 v[62:63], v[64:65], v[32:33], v[72:73] op_sel_hi:[1,0,1] neg_lo:[0,0,1] neg_hi:[0,0,1]
	v_pk_fma_f32 v[64:65], v[64:65], v[32:33], v[72:73] op_sel_hi:[1,0,1]
	ds_load_2addr_b64 v[72:75], v66 offset0:5 offset1:6
	v_dual_mov_b32 v32, v62 :: v_dual_mov_b32 v33, v65
	s_wait_dscnt 0x0
	v_pk_mul_f32 v[76:77], v[72:73], v[64:65] op_sel:[0,1]
	s_delay_alu instid0(VALU_DEP_1) | instskip(SKIP_1) | instid1(VALU_DEP_1)
	v_pk_fma_f32 v[78:79], v[72:73], v[62:63], v[76:77] op_sel:[0,0,1] op_sel_hi:[1,1,0] neg_lo:[0,0,1] neg_hi:[0,0,1]
	v_pk_fma_f32 v[72:73], v[72:73], v[62:63], v[76:77] op_sel:[0,0,1] op_sel_hi:[1,0,0]
	v_mov_b32_e32 v79, v73
	v_pk_mul_f32 v[72:73], v[74:75], v[64:65] op_sel:[0,1]
	s_delay_alu instid0(VALU_DEP_1) | instskip(SKIP_1) | instid1(VALU_DEP_1)
	v_pk_fma_f32 v[76:77], v[74:75], v[62:63], v[72:73] op_sel:[0,0,1] op_sel_hi:[1,1,0] neg_lo:[0,0,1] neg_hi:[0,0,1]
	v_pk_fma_f32 v[72:73], v[74:75], v[62:63], v[72:73] op_sel:[0,0,1] op_sel_hi:[1,0,0]
	v_mov_b32_e32 v77, v73
	ds_load_2addr_b64 v[72:75], v66 offset0:7 offset1:8
	v_pk_add_f32 v[28:29], v[28:29], v[78:79] neg_lo:[0,1] neg_hi:[0,1]
	v_pk_add_f32 v[30:31], v[30:31], v[76:77] neg_lo:[0,1] neg_hi:[0,1]
	s_wait_dscnt 0x0
	v_pk_mul_f32 v[76:77], v[72:73], v[64:65] op_sel:[0,1]
	s_delay_alu instid0(VALU_DEP_1) | instskip(SKIP_2) | instid1(VALU_DEP_2)
	v_pk_fma_f32 v[78:79], v[72:73], v[62:63], v[76:77] op_sel:[0,0,1] op_sel_hi:[1,1,0] neg_lo:[0,0,1] neg_hi:[0,0,1]
	v_pk_fma_f32 v[72:73], v[72:73], v[62:63], v[76:77] op_sel:[0,0,1] op_sel_hi:[1,0,0]
	v_dual_mul_f32 v76, v75, v65 :: v_dual_mov_b32 v72, v75
	v_dual_mov_b32 v79, v73 :: v_dual_mov_b32 v73, v74
	s_delay_alu instid0(VALU_DEP_2) | instskip(SKIP_1) | instid1(VALU_DEP_3)
	v_pk_fma_f32 v[76:77], v[74:75], v[32:33], v[76:77] op_sel_hi:[1,1,0] neg_lo:[0,0,1] neg_hi:[0,0,1]
	v_mul_f32_e32 v74, v75, v62
	v_pk_add_f32 v[6:7], v[6:7], v[78:79] neg_lo:[0,1] neg_hi:[0,1]
	s_delay_alu instid0(VALU_DEP_2) | instskip(NEXT) | instid1(VALU_DEP_1)
	v_pk_fma_f32 v[72:73], v[72:73], v[32:33], v[74:75] op_sel_hi:[1,1,0]
	v_mov_b32_e32 v77, v73
	ds_load_2addr_b64 v[72:75], v66 offset0:9 offset1:10
	v_pk_add_f32 v[38:39], v[38:39], v[76:77] neg_lo:[0,1] neg_hi:[0,1]
	s_wait_dscnt 0x0
	v_pk_mul_f32 v[76:77], v[72:73], v[64:65] op_sel:[0,1]
	s_delay_alu instid0(VALU_DEP_1) | instskip(SKIP_1) | instid1(VALU_DEP_1)
	v_pk_fma_f32 v[78:79], v[72:73], v[62:63], v[76:77] op_sel:[0,0,1] op_sel_hi:[1,1,0] neg_lo:[0,0,1] neg_hi:[0,0,1]
	v_pk_fma_f32 v[72:73], v[72:73], v[62:63], v[76:77] op_sel:[0,0,1] op_sel_hi:[1,0,0]
	v_mov_b32_e32 v79, v73
	v_pk_mul_f32 v[72:73], v[74:75], v[64:65] op_sel:[0,1]
	s_delay_alu instid0(VALU_DEP_1) | instskip(SKIP_1) | instid1(VALU_DEP_1)
	v_pk_fma_f32 v[76:77], v[74:75], v[62:63], v[72:73] op_sel:[0,0,1] op_sel_hi:[1,1,0] neg_lo:[0,0,1] neg_hi:[0,0,1]
	v_pk_fma_f32 v[72:73], v[74:75], v[62:63], v[72:73] op_sel:[0,0,1] op_sel_hi:[1,0,0]
	v_mov_b32_e32 v77, v73
	ds_load_2addr_b64 v[72:75], v66 offset0:11 offset1:12
	v_pk_add_f32 v[34:35], v[34:35], v[78:79] neg_lo:[0,1] neg_hi:[0,1]
	v_pk_add_f32 v[36:37], v[36:37], v[76:77] neg_lo:[0,1] neg_hi:[0,1]
	s_wait_dscnt 0x0
	v_pk_mul_f32 v[76:77], v[72:73], v[64:65] op_sel:[0,1]
	s_delay_alu instid0(VALU_DEP_1) | instskip(SKIP_1) | instid1(VALU_DEP_1)
	v_pk_fma_f32 v[78:79], v[72:73], v[62:63], v[76:77] op_sel:[0,0,1] op_sel_hi:[1,1,0] neg_lo:[0,0,1] neg_hi:[0,0,1]
	v_pk_fma_f32 v[72:73], v[72:73], v[62:63], v[76:77] op_sel:[0,0,1] op_sel_hi:[1,0,0]
	v_mov_b32_e32 v79, v73
	v_pk_mul_f32 v[72:73], v[74:75], v[64:65] op_sel:[0,1]
	s_delay_alu instid0(VALU_DEP_1) | instskip(SKIP_1) | instid1(VALU_DEP_1)
	v_pk_fma_f32 v[76:77], v[74:75], v[62:63], v[72:73] op_sel:[0,0,1] op_sel_hi:[1,1,0] neg_lo:[0,0,1] neg_hi:[0,0,1]
	v_pk_fma_f32 v[72:73], v[74:75], v[62:63], v[72:73] op_sel:[0,0,1] op_sel_hi:[1,0,0]
	v_mov_b32_e32 v77, v73
	ds_load_2addr_b64 v[72:75], v66 offset0:13 offset1:14
	v_pk_add_f32 v[8:9], v[8:9], v[78:79] neg_lo:[0,1] neg_hi:[0,1]
	v_pk_add_f32 v[44:45], v[44:45], v[76:77] neg_lo:[0,1] neg_hi:[0,1]
	s_wait_dscnt 0x0
	v_dual_mul_f32 v76, v73, v65 :: v_dual_mul_f32 v78, v73, v62
	s_delay_alu instid0(VALU_DEP_1) | instskip(NEXT) | instid1(VALU_DEP_2)
	v_pk_fma_f32 v[76:77], v[72:73], v[32:33], v[76:77] op_sel_hi:[1,1,0] neg_lo:[0,0,1] neg_hi:[0,0,1]
	v_pk_fma_f32 v[72:73], v[72:73], v[32:33], v[78:79] op_sel:[1,0,0] op_sel_hi:[0,1,0]
	s_delay_alu instid0(VALU_DEP_1) | instskip(SKIP_1) | instid1(VALU_DEP_2)
	v_mov_b32_e32 v77, v73
	v_pk_mul_f32 v[72:73], v[74:75], v[64:65] op_sel:[0,1]
	v_pk_add_f32 v[40:41], v[40:41], v[76:77] neg_lo:[0,1] neg_hi:[0,1]
	s_delay_alu instid0(VALU_DEP_2) | instskip(SKIP_1) | instid1(VALU_DEP_1)
	v_pk_fma_f32 v[76:77], v[74:75], v[62:63], v[72:73] op_sel:[0,0,1] op_sel_hi:[1,1,0] neg_lo:[0,0,1] neg_hi:[0,0,1]
	v_pk_fma_f32 v[72:73], v[74:75], v[62:63], v[72:73] op_sel:[0,0,1] op_sel_hi:[1,0,0]
	v_mov_b32_e32 v77, v73
	ds_load_2addr_b64 v[72:75], v66 offset0:15 offset1:16
	v_pk_add_f32 v[42:43], v[42:43], v[76:77] neg_lo:[0,1] neg_hi:[0,1]
	s_wait_dscnt 0x0
	v_pk_mul_f32 v[76:77], v[72:73], v[64:65] op_sel:[0,1]
	s_delay_alu instid0(VALU_DEP_1) | instskip(SKIP_1) | instid1(VALU_DEP_1)
	v_pk_fma_f32 v[78:79], v[72:73], v[62:63], v[76:77] op_sel:[0,0,1] op_sel_hi:[1,1,0] neg_lo:[0,0,1] neg_hi:[0,0,1]
	v_pk_fma_f32 v[72:73], v[72:73], v[62:63], v[76:77] op_sel:[0,0,1] op_sel_hi:[1,0,0]
	v_mov_b32_e32 v79, v73
	v_pk_mul_f32 v[72:73], v[74:75], v[64:65] op_sel:[0,1]
	s_delay_alu instid0(VALU_DEP_2) | instskip(NEXT) | instid1(VALU_DEP_2)
	v_pk_add_f32 v[10:11], v[10:11], v[78:79] neg_lo:[0,1] neg_hi:[0,1]
	v_pk_fma_f32 v[76:77], v[74:75], v[62:63], v[72:73] op_sel:[0,0,1] op_sel_hi:[1,1,0] neg_lo:[0,0,1] neg_hi:[0,0,1]
	v_pk_fma_f32 v[72:73], v[74:75], v[62:63], v[72:73] op_sel:[0,0,1] op_sel_hi:[1,0,0]
	s_delay_alu instid0(VALU_DEP_1) | instskip(SKIP_4) | instid1(VALU_DEP_1)
	v_mov_b32_e32 v77, v73
	ds_load_2addr_b64 v[72:75], v66 offset0:17 offset1:18
	v_pk_add_f32 v[50:51], v[50:51], v[76:77] neg_lo:[0,1] neg_hi:[0,1]
	s_wait_dscnt 0x0
	v_pk_mul_f32 v[76:77], v[72:73], v[64:65] op_sel:[0,1]
	v_pk_fma_f32 v[78:79], v[72:73], v[62:63], v[76:77] op_sel:[0,0,1] op_sel_hi:[1,1,0] neg_lo:[0,0,1] neg_hi:[0,0,1]
	v_pk_fma_f32 v[72:73], v[72:73], v[62:63], v[76:77] op_sel:[0,0,1] op_sel_hi:[1,0,0]
	v_dual_mul_f32 v76, v75, v65 :: v_dual_mov_b32 v72, v75
	s_delay_alu instid0(VALU_DEP_2) | instskip(NEXT) | instid1(VALU_DEP_2)
	v_dual_mov_b32 v79, v73 :: v_dual_mov_b32 v73, v74
	v_pk_fma_f32 v[76:77], v[74:75], v[32:33], v[76:77] op_sel_hi:[1,1,0] neg_lo:[0,0,1] neg_hi:[0,0,1]
	v_mul_f32_e32 v74, v75, v62
	s_delay_alu instid0(VALU_DEP_3) | instskip(NEXT) | instid1(VALU_DEP_2)
	v_pk_add_f32 v[46:47], v[46:47], v[78:79] neg_lo:[0,1] neg_hi:[0,1]
	v_pk_fma_f32 v[72:73], v[72:73], v[32:33], v[74:75] op_sel_hi:[1,1,0]
	s_delay_alu instid0(VALU_DEP_1) | instskip(SKIP_4) | instid1(VALU_DEP_1)
	v_mov_b32_e32 v77, v73
	ds_load_2addr_b64 v[72:75], v66 offset0:19 offset1:20
	v_pk_add_f32 v[48:49], v[48:49], v[76:77] neg_lo:[0,1] neg_hi:[0,1]
	s_wait_dscnt 0x0
	v_pk_mul_f32 v[76:77], v[72:73], v[64:65] op_sel:[0,1]
	v_pk_fma_f32 v[78:79], v[72:73], v[62:63], v[76:77] op_sel:[0,0,1] op_sel_hi:[1,1,0] neg_lo:[0,0,1] neg_hi:[0,0,1]
	v_pk_fma_f32 v[72:73], v[72:73], v[62:63], v[76:77] op_sel:[0,0,1] op_sel_hi:[1,0,0]
	s_delay_alu instid0(VALU_DEP_1) | instskip(SKIP_1) | instid1(VALU_DEP_1)
	v_mov_b32_e32 v79, v73
	v_pk_mul_f32 v[72:73], v[74:75], v[64:65] op_sel:[0,1]
	v_pk_fma_f32 v[76:77], v[74:75], v[62:63], v[72:73] op_sel:[0,0,1] op_sel_hi:[1,1,0] neg_lo:[0,0,1] neg_hi:[0,0,1]
	v_pk_fma_f32 v[72:73], v[74:75], v[62:63], v[72:73] op_sel:[0,0,1] op_sel_hi:[1,0,0]
	s_delay_alu instid0(VALU_DEP_1)
	v_mov_b32_e32 v77, v73
	ds_load_2addr_b64 v[72:75], v66 offset0:21 offset1:22
	v_pk_add_f32 v[12:13], v[12:13], v[78:79] neg_lo:[0,1] neg_hi:[0,1]
	v_pk_add_f32 v[26:27], v[26:27], v[76:77] neg_lo:[0,1] neg_hi:[0,1]
	s_wait_dscnt 0x0
	v_pk_mul_f32 v[76:77], v[72:73], v[64:65] op_sel:[0,1]
	s_delay_alu instid0(VALU_DEP_1) | instskip(SKIP_1) | instid1(VALU_DEP_1)
	v_pk_fma_f32 v[78:79], v[72:73], v[62:63], v[76:77] op_sel:[0,0,1] op_sel_hi:[1,1,0] neg_lo:[0,0,1] neg_hi:[0,0,1]
	v_pk_fma_f32 v[72:73], v[72:73], v[62:63], v[76:77] op_sel:[0,0,1] op_sel_hi:[1,0,0]
	v_mov_b32_e32 v79, v73
	v_pk_mul_f32 v[72:73], v[74:75], v[64:65] op_sel:[0,1]
	s_delay_alu instid0(VALU_DEP_1) | instskip(SKIP_1) | instid1(VALU_DEP_1)
	v_pk_fma_f32 v[76:77], v[74:75], v[62:63], v[72:73] op_sel:[0,0,1] op_sel_hi:[1,1,0] neg_lo:[0,0,1] neg_hi:[0,0,1]
	v_pk_fma_f32 v[72:73], v[74:75], v[62:63], v[72:73] op_sel:[0,0,1] op_sel_hi:[1,0,0]
	v_mov_b32_e32 v77, v73
	ds_load_2addr_b64 v[72:75], v66 offset0:23 offset1:24
	v_pk_add_f32 v[22:23], v[22:23], v[78:79] neg_lo:[0,1] neg_hi:[0,1]
	v_pk_add_f32 v[24:25], v[24:25], v[76:77] neg_lo:[0,1] neg_hi:[0,1]
	s_wait_dscnt 0x0
	v_dual_mul_f32 v76, v73, v65 :: v_dual_mul_f32 v78, v73, v62
	s_delay_alu instid0(VALU_DEP_1) | instskip(NEXT) | instid1(VALU_DEP_2)
	v_pk_fma_f32 v[76:77], v[72:73], v[32:33], v[76:77] op_sel_hi:[1,1,0] neg_lo:[0,0,1] neg_hi:[0,0,1]
	v_pk_fma_f32 v[72:73], v[72:73], v[32:33], v[78:79] op_sel:[1,0,0] op_sel_hi:[0,1,0]
	s_delay_alu instid0(VALU_DEP_1) | instskip(SKIP_1) | instid1(VALU_DEP_2)
	v_mov_b32_e32 v77, v73
	v_pk_mul_f32 v[72:73], v[74:75], v[64:65] op_sel:[0,1]
	v_pk_add_f32 v[14:15], v[14:15], v[76:77] neg_lo:[0,1] neg_hi:[0,1]
	s_delay_alu instid0(VALU_DEP_2) | instskip(SKIP_1) | instid1(VALU_DEP_1)
	v_pk_fma_f32 v[76:77], v[74:75], v[62:63], v[72:73] op_sel:[0,0,1] op_sel_hi:[1,1,0] neg_lo:[0,0,1] neg_hi:[0,0,1]
	v_pk_fma_f32 v[72:73], v[74:75], v[62:63], v[72:73] op_sel:[0,0,1] op_sel_hi:[1,0,0]
	v_mov_b32_e32 v77, v73
	ds_load_2addr_b64 v[72:75], v66 offset0:25 offset1:26
	v_pk_add_f32 v[20:21], v[20:21], v[76:77] neg_lo:[0,1] neg_hi:[0,1]
	s_wait_dscnt 0x0
	v_pk_mul_f32 v[76:77], v[72:73], v[64:65] op_sel:[0,1]
	s_delay_alu instid0(VALU_DEP_1) | instskip(SKIP_1) | instid1(VALU_DEP_1)
	v_pk_fma_f32 v[78:79], v[72:73], v[62:63], v[76:77] op_sel:[0,0,1] op_sel_hi:[1,1,0] neg_lo:[0,0,1] neg_hi:[0,0,1]
	v_pk_fma_f32 v[72:73], v[72:73], v[62:63], v[76:77] op_sel:[0,0,1] op_sel_hi:[1,0,0]
	v_mov_b32_e32 v79, v73
	v_pk_mul_f32 v[72:73], v[74:75], v[64:65] op_sel:[0,1]
	s_delay_alu instid0(VALU_DEP_2) | instskip(NEXT) | instid1(VALU_DEP_2)
	v_pk_add_f32 v[18:19], v[18:19], v[78:79] neg_lo:[0,1] neg_hi:[0,1]
	v_pk_fma_f32 v[76:77], v[74:75], v[62:63], v[72:73] op_sel:[0,0,1] op_sel_hi:[1,1,0] neg_lo:[0,0,1] neg_hi:[0,0,1]
	v_pk_fma_f32 v[72:73], v[74:75], v[62:63], v[72:73] op_sel:[0,0,1] op_sel_hi:[1,0,0]
	s_delay_alu instid0(VALU_DEP_1) | instskip(SKIP_4) | instid1(VALU_DEP_1)
	v_mov_b32_e32 v77, v73
	ds_load_b64 v[72:73], v66 offset:216
	v_pk_add_f32 v[16:17], v[16:17], v[76:77] neg_lo:[0,1] neg_hi:[0,1]
	s_wait_dscnt 0x0
	v_pk_mul_f32 v[64:65], v[72:73], v[64:65] op_sel:[0,1]
	v_pk_fma_f32 v[74:75], v[72:73], v[62:63], v[64:65] op_sel:[0,0,1] op_sel_hi:[1,1,0] neg_lo:[0,0,1] neg_hi:[0,0,1]
	v_pk_fma_f32 v[62:63], v[72:73], v[62:63], v[64:65] op_sel:[0,0,1] op_sel_hi:[1,0,0]
	s_delay_alu instid0(VALU_DEP_1) | instskip(NEXT) | instid1(VALU_DEP_1)
	v_mov_b32_e32 v75, v63
	v_pk_add_f32 v[60:61], v[60:61], v[74:75] neg_lo:[0,1] neg_hi:[0,1]
.LBB54_104:
	s_or_b32 exec_lo, exec_lo, s0
	v_lshl_add_u32 v62, v70, 3, v66
	s_barrier_signal -1
	s_barrier_wait -1
	ds_store_b64 v62, v[28:29]
	s_wait_dscnt 0x0
	s_barrier_signal -1
	s_barrier_wait -1
	ds_load_b64 v[64:65], v66 offset:40
	v_mov_b32_e32 v62, 5
	s_cmp_lt_i32 s18, 7
	s_cbranch_scc1 .LBB54_107
; %bb.105:
	v_add3_u32 v63, v67, 0, 48
	v_mov_b32_e32 v62, 5
	s_mov_b32 s0, 6
.LBB54_106:                             ; =>This Inner Loop Header: Depth=1
	ds_load_b64 v[72:73], v63
	s_wait_dscnt 0x1
	v_cmp_gt_f32_e32 vcc_lo, 0, v64
	v_cndmask_b32_e64 v74, v64, -v64, vcc_lo
	v_cmp_gt_f32_e32 vcc_lo, 0, v65
	v_cndmask_b32_e64 v76, v65, -v65, vcc_lo
	s_wait_dscnt 0x0
	v_cmp_gt_f32_e32 vcc_lo, 0, v72
	v_cndmask_b32_e64 v75, v72, -v72, vcc_lo
	v_cmp_gt_f32_e32 vcc_lo, 0, v73
	v_cndmask_b32_e64 v77, v73, -v73, vcc_lo
	s_delay_alu instid0(VALU_DEP_1) | instskip(NEXT) | instid1(VALU_DEP_1)
	v_pk_add_f32 v[74:75], v[74:75], v[76:77]
	v_cmp_lt_f32_e32 vcc_lo, v74, v75
	v_dual_add_nc_u32 v63, 8, v63 :: v_dual_cndmask_b32 v65, v65, v73, vcc_lo
	v_cndmask_b32_e32 v64, v64, v72, vcc_lo
	v_cndmask_b32_e64 v62, v62, s0, vcc_lo
	s_add_co_i32 s0, s0, 1
	s_delay_alu instid0(SALU_CYCLE_1)
	s_cmp_lg_u32 s18, s0
	s_cbranch_scc1 .LBB54_106
.LBB54_107:
	s_wait_dscnt 0x0
	v_cmp_eq_f32_e32 vcc_lo, 0, v64
	v_cmp_eq_f32_e64 s0, 0, v65
	s_and_b32 s0, vcc_lo, s0
	s_delay_alu instid0(SALU_CYCLE_1) | instskip(NEXT) | instid1(SALU_CYCLE_1)
	s_and_saveexec_b32 s1, s0
	s_xor_b32 s0, exec_lo, s1
; %bb.108:
	v_cmp_ne_u32_e32 vcc_lo, 0, v69
	v_cndmask_b32_e32 v69, 6, v69, vcc_lo
; %bb.109:
	s_and_not1_saveexec_b32 s0, s0
	s_cbranch_execz .LBB54_115
; %bb.110:
	v_cmp_ngt_f32_e64 s1, |v64|, |v65|
	s_and_saveexec_b32 s12, s1
	s_delay_alu instid0(SALU_CYCLE_1)
	s_xor_b32 s1, exec_lo, s12
	s_cbranch_execz .LBB54_112
; %bb.111:
	v_div_scale_f32 v63, null, v65, v65, v64
	v_div_scale_f32 v73, vcc_lo, v64, v65, v64
	s_delay_alu instid0(VALU_DEP_2) | instskip(SKIP_1) | instid1(TRANS32_DEP_1)
	v_rcp_f32_e32 v71, v63
	v_nop
	v_fma_f32 v72, -v63, v71, 1.0
	s_delay_alu instid0(VALU_DEP_1) | instskip(NEXT) | instid1(VALU_DEP_1)
	v_fmac_f32_e32 v71, v72, v71
	v_mul_f32_e32 v72, v73, v71
	s_delay_alu instid0(VALU_DEP_1) | instskip(NEXT) | instid1(VALU_DEP_1)
	v_fma_f32 v74, -v63, v72, v73
	v_fmac_f32_e32 v72, v74, v71
	s_delay_alu instid0(VALU_DEP_1) | instskip(NEXT) | instid1(VALU_DEP_1)
	v_fma_f32 v63, -v63, v72, v73
	v_div_fmas_f32 v63, v63, v71, v72
	s_delay_alu instid0(VALU_DEP_1) | instskip(NEXT) | instid1(VALU_DEP_1)
	v_div_fixup_f32 v63, v63, v65, v64
	v_fmac_f32_e32 v65, v64, v63
	s_delay_alu instid0(VALU_DEP_1) | instskip(SKIP_1) | instid1(VALU_DEP_2)
	v_div_scale_f32 v64, null, v65, v65, 1.0
	v_div_scale_f32 v73, vcc_lo, 1.0, v65, 1.0
	v_rcp_f32_e32 v71, v64
	v_nop
	s_delay_alu instid0(TRANS32_DEP_1) | instskip(NEXT) | instid1(VALU_DEP_1)
	v_fma_f32 v72, -v64, v71, 1.0
	v_fmac_f32_e32 v71, v72, v71
	s_delay_alu instid0(VALU_DEP_1) | instskip(NEXT) | instid1(VALU_DEP_1)
	v_mul_f32_e32 v72, v73, v71
	v_fma_f32 v74, -v64, v72, v73
	s_delay_alu instid0(VALU_DEP_1) | instskip(NEXT) | instid1(VALU_DEP_1)
	v_fmac_f32_e32 v72, v74, v71
	v_fma_f32 v64, -v64, v72, v73
	s_delay_alu instid0(VALU_DEP_1) | instskip(NEXT) | instid1(VALU_DEP_1)
	v_div_fmas_f32 v64, v64, v71, v72
	v_div_fixup_f32 v65, v64, v65, 1.0
	s_delay_alu instid0(VALU_DEP_1)
	v_mul_f32_e32 v64, v63, v65
	v_xor_b32_e32 v65, 0x80000000, v65
.LBB54_112:
	s_and_not1_saveexec_b32 s1, s1
	s_cbranch_execz .LBB54_114
; %bb.113:
	s_delay_alu instid0(VALU_DEP_1) | instskip(SKIP_1) | instid1(VALU_DEP_2)
	v_div_scale_f32 v63, null, v64, v64, v65
	v_div_scale_f32 v73, vcc_lo, v65, v64, v65
	v_rcp_f32_e32 v71, v63
	v_nop
	s_delay_alu instid0(TRANS32_DEP_1) | instskip(NEXT) | instid1(VALU_DEP_1)
	v_fma_f32 v72, -v63, v71, 1.0
	v_fmac_f32_e32 v71, v72, v71
	s_delay_alu instid0(VALU_DEP_1) | instskip(NEXT) | instid1(VALU_DEP_1)
	v_mul_f32_e32 v72, v73, v71
	v_fma_f32 v74, -v63, v72, v73
	s_delay_alu instid0(VALU_DEP_1) | instskip(NEXT) | instid1(VALU_DEP_1)
	v_fmac_f32_e32 v72, v74, v71
	v_fma_f32 v63, -v63, v72, v73
	s_delay_alu instid0(VALU_DEP_1) | instskip(NEXT) | instid1(VALU_DEP_1)
	v_div_fmas_f32 v63, v63, v71, v72
	v_div_fixup_f32 v63, v63, v64, v65
	s_delay_alu instid0(VALU_DEP_1) | instskip(NEXT) | instid1(VALU_DEP_1)
	v_fmac_f32_e32 v64, v65, v63
	v_div_scale_f32 v65, null, v64, v64, 1.0
	s_delay_alu instid0(VALU_DEP_1) | instskip(SKIP_1) | instid1(TRANS32_DEP_1)
	v_rcp_f32_e32 v71, v65
	v_nop
	v_fma_f32 v72, -v65, v71, 1.0
	s_delay_alu instid0(VALU_DEP_1) | instskip(SKIP_1) | instid1(VALU_DEP_1)
	v_fmac_f32_e32 v71, v72, v71
	v_div_scale_f32 v72, vcc_lo, 1.0, v64, 1.0
	v_mul_f32_e32 v73, v72, v71
	s_delay_alu instid0(VALU_DEP_1) | instskip(NEXT) | instid1(VALU_DEP_1)
	v_fma_f32 v74, -v65, v73, v72
	v_fmac_f32_e32 v73, v74, v71
	s_delay_alu instid0(VALU_DEP_1) | instskip(NEXT) | instid1(VALU_DEP_1)
	v_fma_f32 v65, -v65, v73, v72
	v_div_fmas_f32 v65, v65, v71, v73
	s_delay_alu instid0(VALU_DEP_1) | instskip(NEXT) | instid1(VALU_DEP_1)
	v_div_fixup_f32 v64, v65, v64, 1.0
	v_mul_f32_e64 v65, v63, -v64
.LBB54_114:
	s_or_b32 exec_lo, exec_lo, s1
.LBB54_115:
	s_delay_alu instid0(SALU_CYCLE_1) | instskip(NEXT) | instid1(SALU_CYCLE_1)
	s_or_b32 exec_lo, exec_lo, s0
	s_mov_b32 s0, exec_lo
	v_cmpx_ne_u32_e64 v70, v62
	s_xor_b32 s0, exec_lo, s0
	s_cbranch_execz .LBB54_121
; %bb.116:
	s_mov_b32 s1, exec_lo
	v_cmpx_eq_u32_e32 5, v70
	s_cbranch_execz .LBB54_120
; %bb.117:
	v_cmp_ne_u32_e32 vcc_lo, 5, v62
	s_xor_b32 s12, s16, -1
	s_delay_alu instid0(SALU_CYCLE_1) | instskip(NEXT) | instid1(SALU_CYCLE_1)
	s_and_b32 s13, s12, vcc_lo
	s_and_saveexec_b32 s12, s13
	s_cbranch_execz .LBB54_119
; %bb.118:
	v_ashrrev_i32_e32 v63, 31, v62
	s_delay_alu instid0(VALU_DEP_1)
	v_lshl_add_u64 v[70:71], v[62:63], 2, v[4:5]
	s_clause 0x1
	global_load_b32 v63, v[70:71], off
	global_load_b32 v68, v[4:5], off offset:20
	s_wait_loadcnt 0x1
	global_store_b32 v[4:5], v63, off offset:20
	s_wait_loadcnt 0x0
	global_store_b32 v[70:71], v68, off
.LBB54_119:
	s_wait_xcnt 0x0
	s_or_b32 exec_lo, exec_lo, s12
	v_dual_mov_b32 v70, v62 :: v_dual_mov_b32 v68, v62
.LBB54_120:
	s_or_b32 exec_lo, exec_lo, s1
.LBB54_121:
	s_and_not1_saveexec_b32 s0, s0
	s_cbranch_execz .LBB54_123
; %bb.122:
	v_dual_mov_b32 v62, v30 :: v_dual_mov_b32 v63, v31
	v_dual_mov_b32 v70, v6 :: v_dual_mov_b32 v71, v7
	;; [unrolled: 1-line block ×12, first 2 shown]
	ds_store_2addr_b64 v66, v[62:63], v[70:71] offset0:6 offset1:7
	ds_store_2addr_b64 v66, v[72:73], v[74:75] offset0:8 offset1:9
	;; [unrolled: 1-line block ×6, first 2 shown]
	v_dual_mov_b32 v62, v48 :: v_dual_mov_b32 v63, v49
	v_dual_mov_b32 v72, v12 :: v_dual_mov_b32 v73, v13
	;; [unrolled: 1-line block ×9, first 2 shown]
	v_mov_b32_e32 v87, v17
	ds_store_2addr_b64 v66, v[62:63], v[72:73] offset0:18 offset1:19
	ds_store_2addr_b64 v66, v[74:75], v[76:77] offset0:20 offset1:21
	;; [unrolled: 1-line block ×5, first 2 shown]
.LBB54_123:
	s_or_b32 exec_lo, exec_lo, s0
	s_delay_alu instid0(SALU_CYCLE_1)
	s_mov_b32 s0, exec_lo
	s_wait_storecnt_dscnt 0x0
	s_barrier_signal -1
	s_barrier_wait -1
	v_cmpx_lt_i32_e32 5, v70
	s_cbranch_execz .LBB54_125
; %bb.124:
	v_pk_mul_f32 v[72:73], v[64:65], v[28:29] op_sel:[1,1] op_sel_hi:[0,1]
	s_delay_alu instid0(VALU_DEP_1)
	v_pk_fma_f32 v[62:63], v[64:65], v[28:29], v[72:73] op_sel_hi:[1,0,1] neg_lo:[0,0,1] neg_hi:[0,0,1]
	v_pk_fma_f32 v[64:65], v[64:65], v[28:29], v[72:73] op_sel_hi:[1,0,1]
	ds_load_2addr_b64 v[72:75], v66 offset0:6 offset1:7
	v_dual_mov_b32 v28, v62 :: v_dual_mov_b32 v29, v65
	s_wait_dscnt 0x0
	v_pk_mul_f32 v[76:77], v[72:73], v[64:65] op_sel:[0,1]
	s_delay_alu instid0(VALU_DEP_1) | instskip(SKIP_1) | instid1(VALU_DEP_1)
	v_pk_fma_f32 v[78:79], v[72:73], v[62:63], v[76:77] op_sel:[0,0,1] op_sel_hi:[1,1,0] neg_lo:[0,0,1] neg_hi:[0,0,1]
	v_pk_fma_f32 v[72:73], v[72:73], v[62:63], v[76:77] op_sel:[0,0,1] op_sel_hi:[1,0,0]
	v_mov_b32_e32 v79, v73
	v_pk_mul_f32 v[72:73], v[74:75], v[64:65] op_sel:[0,1]
	s_delay_alu instid0(VALU_DEP_1) | instskip(SKIP_1) | instid1(VALU_DEP_1)
	v_pk_fma_f32 v[76:77], v[74:75], v[62:63], v[72:73] op_sel:[0,0,1] op_sel_hi:[1,1,0] neg_lo:[0,0,1] neg_hi:[0,0,1]
	v_pk_fma_f32 v[72:73], v[74:75], v[62:63], v[72:73] op_sel:[0,0,1] op_sel_hi:[1,0,0]
	v_mov_b32_e32 v77, v73
	ds_load_2addr_b64 v[72:75], v66 offset0:8 offset1:9
	v_pk_add_f32 v[30:31], v[30:31], v[78:79] neg_lo:[0,1] neg_hi:[0,1]
	v_pk_add_f32 v[6:7], v[6:7], v[76:77] neg_lo:[0,1] neg_hi:[0,1]
	s_wait_dscnt 0x0
	v_pk_mul_f32 v[76:77], v[72:73], v[64:65] op_sel:[0,1]
	s_delay_alu instid0(VALU_DEP_1) | instskip(SKIP_2) | instid1(VALU_DEP_2)
	v_pk_fma_f32 v[78:79], v[72:73], v[62:63], v[76:77] op_sel:[0,0,1] op_sel_hi:[1,1,0] neg_lo:[0,0,1] neg_hi:[0,0,1]
	v_pk_fma_f32 v[72:73], v[72:73], v[62:63], v[76:77] op_sel:[0,0,1] op_sel_hi:[1,0,0]
	v_dual_mul_f32 v76, v75, v65 :: v_dual_mov_b32 v72, v75
	v_dual_mov_b32 v79, v73 :: v_dual_mov_b32 v73, v74
	s_delay_alu instid0(VALU_DEP_2) | instskip(SKIP_1) | instid1(VALU_DEP_3)
	v_pk_fma_f32 v[76:77], v[74:75], v[28:29], v[76:77] op_sel_hi:[1,1,0] neg_lo:[0,0,1] neg_hi:[0,0,1]
	v_mul_f32_e32 v74, v75, v62
	v_pk_add_f32 v[38:39], v[38:39], v[78:79] neg_lo:[0,1] neg_hi:[0,1]
	s_delay_alu instid0(VALU_DEP_2) | instskip(NEXT) | instid1(VALU_DEP_1)
	v_pk_fma_f32 v[72:73], v[72:73], v[28:29], v[74:75] op_sel_hi:[1,1,0]
	v_mov_b32_e32 v77, v73
	ds_load_2addr_b64 v[72:75], v66 offset0:10 offset1:11
	v_pk_add_f32 v[34:35], v[34:35], v[76:77] neg_lo:[0,1] neg_hi:[0,1]
	s_wait_dscnt 0x0
	v_pk_mul_f32 v[76:77], v[72:73], v[64:65] op_sel:[0,1]
	s_delay_alu instid0(VALU_DEP_1) | instskip(SKIP_1) | instid1(VALU_DEP_1)
	v_pk_fma_f32 v[78:79], v[72:73], v[62:63], v[76:77] op_sel:[0,0,1] op_sel_hi:[1,1,0] neg_lo:[0,0,1] neg_hi:[0,0,1]
	v_pk_fma_f32 v[72:73], v[72:73], v[62:63], v[76:77] op_sel:[0,0,1] op_sel_hi:[1,0,0]
	v_mov_b32_e32 v79, v73
	v_pk_mul_f32 v[72:73], v[74:75], v[64:65] op_sel:[0,1]
	s_delay_alu instid0(VALU_DEP_1) | instskip(SKIP_1) | instid1(VALU_DEP_1)
	v_pk_fma_f32 v[76:77], v[74:75], v[62:63], v[72:73] op_sel:[0,0,1] op_sel_hi:[1,1,0] neg_lo:[0,0,1] neg_hi:[0,0,1]
	v_pk_fma_f32 v[72:73], v[74:75], v[62:63], v[72:73] op_sel:[0,0,1] op_sel_hi:[1,0,0]
	v_mov_b32_e32 v77, v73
	ds_load_2addr_b64 v[72:75], v66 offset0:12 offset1:13
	v_pk_add_f32 v[36:37], v[36:37], v[78:79] neg_lo:[0,1] neg_hi:[0,1]
	v_pk_add_f32 v[8:9], v[8:9], v[76:77] neg_lo:[0,1] neg_hi:[0,1]
	s_wait_dscnt 0x0
	v_pk_mul_f32 v[76:77], v[72:73], v[64:65] op_sel:[0,1]
	s_delay_alu instid0(VALU_DEP_1) | instskip(SKIP_1) | instid1(VALU_DEP_1)
	v_pk_fma_f32 v[78:79], v[72:73], v[62:63], v[76:77] op_sel:[0,0,1] op_sel_hi:[1,1,0] neg_lo:[0,0,1] neg_hi:[0,0,1]
	v_pk_fma_f32 v[72:73], v[72:73], v[62:63], v[76:77] op_sel:[0,0,1] op_sel_hi:[1,0,0]
	v_mov_b32_e32 v79, v73
	v_pk_mul_f32 v[72:73], v[74:75], v[64:65] op_sel:[0,1]
	s_delay_alu instid0(VALU_DEP_1) | instskip(SKIP_1) | instid1(VALU_DEP_1)
	v_pk_fma_f32 v[76:77], v[74:75], v[62:63], v[72:73] op_sel:[0,0,1] op_sel_hi:[1,1,0] neg_lo:[0,0,1] neg_hi:[0,0,1]
	v_pk_fma_f32 v[72:73], v[74:75], v[62:63], v[72:73] op_sel:[0,0,1] op_sel_hi:[1,0,0]
	v_mov_b32_e32 v77, v73
	ds_load_2addr_b64 v[72:75], v66 offset0:14 offset1:15
	v_pk_add_f32 v[44:45], v[44:45], v[78:79] neg_lo:[0,1] neg_hi:[0,1]
	v_pk_add_f32 v[40:41], v[40:41], v[76:77] neg_lo:[0,1] neg_hi:[0,1]
	s_wait_dscnt 0x0
	v_dual_mul_f32 v76, v73, v65 :: v_dual_mul_f32 v78, v73, v62
	s_delay_alu instid0(VALU_DEP_1) | instskip(NEXT) | instid1(VALU_DEP_2)
	v_pk_fma_f32 v[76:77], v[72:73], v[28:29], v[76:77] op_sel_hi:[1,1,0] neg_lo:[0,0,1] neg_hi:[0,0,1]
	v_pk_fma_f32 v[72:73], v[72:73], v[28:29], v[78:79] op_sel:[1,0,0] op_sel_hi:[0,1,0]
	s_delay_alu instid0(VALU_DEP_1) | instskip(SKIP_1) | instid1(VALU_DEP_2)
	v_mov_b32_e32 v77, v73
	v_pk_mul_f32 v[72:73], v[74:75], v[64:65] op_sel:[0,1]
	v_pk_add_f32 v[42:43], v[42:43], v[76:77] neg_lo:[0,1] neg_hi:[0,1]
	s_delay_alu instid0(VALU_DEP_2) | instskip(SKIP_1) | instid1(VALU_DEP_1)
	v_pk_fma_f32 v[76:77], v[74:75], v[62:63], v[72:73] op_sel:[0,0,1] op_sel_hi:[1,1,0] neg_lo:[0,0,1] neg_hi:[0,0,1]
	v_pk_fma_f32 v[72:73], v[74:75], v[62:63], v[72:73] op_sel:[0,0,1] op_sel_hi:[1,0,0]
	v_mov_b32_e32 v77, v73
	ds_load_2addr_b64 v[72:75], v66 offset0:16 offset1:17
	v_pk_add_f32 v[10:11], v[10:11], v[76:77] neg_lo:[0,1] neg_hi:[0,1]
	s_wait_dscnt 0x0
	v_pk_mul_f32 v[76:77], v[72:73], v[64:65] op_sel:[0,1]
	s_delay_alu instid0(VALU_DEP_1) | instskip(SKIP_1) | instid1(VALU_DEP_1)
	v_pk_fma_f32 v[78:79], v[72:73], v[62:63], v[76:77] op_sel:[0,0,1] op_sel_hi:[1,1,0] neg_lo:[0,0,1] neg_hi:[0,0,1]
	v_pk_fma_f32 v[72:73], v[72:73], v[62:63], v[76:77] op_sel:[0,0,1] op_sel_hi:[1,0,0]
	v_mov_b32_e32 v79, v73
	v_pk_mul_f32 v[72:73], v[74:75], v[64:65] op_sel:[0,1]
	s_delay_alu instid0(VALU_DEP_2) | instskip(NEXT) | instid1(VALU_DEP_2)
	v_pk_add_f32 v[50:51], v[50:51], v[78:79] neg_lo:[0,1] neg_hi:[0,1]
	v_pk_fma_f32 v[76:77], v[74:75], v[62:63], v[72:73] op_sel:[0,0,1] op_sel_hi:[1,1,0] neg_lo:[0,0,1] neg_hi:[0,0,1]
	v_pk_fma_f32 v[72:73], v[74:75], v[62:63], v[72:73] op_sel:[0,0,1] op_sel_hi:[1,0,0]
	s_delay_alu instid0(VALU_DEP_1) | instskip(SKIP_4) | instid1(VALU_DEP_1)
	v_mov_b32_e32 v77, v73
	ds_load_2addr_b64 v[72:75], v66 offset0:18 offset1:19
	v_pk_add_f32 v[46:47], v[46:47], v[76:77] neg_lo:[0,1] neg_hi:[0,1]
	s_wait_dscnt 0x0
	v_pk_mul_f32 v[76:77], v[72:73], v[64:65] op_sel:[0,1]
	v_pk_fma_f32 v[78:79], v[72:73], v[62:63], v[76:77] op_sel:[0,0,1] op_sel_hi:[1,1,0] neg_lo:[0,0,1] neg_hi:[0,0,1]
	v_pk_fma_f32 v[72:73], v[72:73], v[62:63], v[76:77] op_sel:[0,0,1] op_sel_hi:[1,0,0]
	v_dual_mul_f32 v76, v75, v65 :: v_dual_mov_b32 v72, v75
	s_delay_alu instid0(VALU_DEP_2) | instskip(NEXT) | instid1(VALU_DEP_2)
	v_dual_mov_b32 v79, v73 :: v_dual_mov_b32 v73, v74
	v_pk_fma_f32 v[76:77], v[74:75], v[28:29], v[76:77] op_sel_hi:[1,1,0] neg_lo:[0,0,1] neg_hi:[0,0,1]
	v_mul_f32_e32 v74, v75, v62
	s_delay_alu instid0(VALU_DEP_3) | instskip(NEXT) | instid1(VALU_DEP_2)
	v_pk_add_f32 v[48:49], v[48:49], v[78:79] neg_lo:[0,1] neg_hi:[0,1]
	v_pk_fma_f32 v[72:73], v[72:73], v[28:29], v[74:75] op_sel_hi:[1,1,0]
	s_delay_alu instid0(VALU_DEP_1) | instskip(SKIP_4) | instid1(VALU_DEP_1)
	v_mov_b32_e32 v77, v73
	ds_load_2addr_b64 v[72:75], v66 offset0:20 offset1:21
	v_pk_add_f32 v[12:13], v[12:13], v[76:77] neg_lo:[0,1] neg_hi:[0,1]
	s_wait_dscnt 0x0
	v_pk_mul_f32 v[76:77], v[72:73], v[64:65] op_sel:[0,1]
	v_pk_fma_f32 v[78:79], v[72:73], v[62:63], v[76:77] op_sel:[0,0,1] op_sel_hi:[1,1,0] neg_lo:[0,0,1] neg_hi:[0,0,1]
	v_pk_fma_f32 v[72:73], v[72:73], v[62:63], v[76:77] op_sel:[0,0,1] op_sel_hi:[1,0,0]
	s_delay_alu instid0(VALU_DEP_1) | instskip(SKIP_1) | instid1(VALU_DEP_1)
	v_mov_b32_e32 v79, v73
	v_pk_mul_f32 v[72:73], v[74:75], v[64:65] op_sel:[0,1]
	v_pk_fma_f32 v[76:77], v[74:75], v[62:63], v[72:73] op_sel:[0,0,1] op_sel_hi:[1,1,0] neg_lo:[0,0,1] neg_hi:[0,0,1]
	v_pk_fma_f32 v[72:73], v[74:75], v[62:63], v[72:73] op_sel:[0,0,1] op_sel_hi:[1,0,0]
	s_delay_alu instid0(VALU_DEP_1)
	v_mov_b32_e32 v77, v73
	ds_load_2addr_b64 v[72:75], v66 offset0:22 offset1:23
	v_pk_add_f32 v[26:27], v[26:27], v[78:79] neg_lo:[0,1] neg_hi:[0,1]
	v_pk_add_f32 v[22:23], v[22:23], v[76:77] neg_lo:[0,1] neg_hi:[0,1]
	s_wait_dscnt 0x0
	v_pk_mul_f32 v[76:77], v[72:73], v[64:65] op_sel:[0,1]
	s_delay_alu instid0(VALU_DEP_1) | instskip(SKIP_1) | instid1(VALU_DEP_1)
	v_pk_fma_f32 v[78:79], v[72:73], v[62:63], v[76:77] op_sel:[0,0,1] op_sel_hi:[1,1,0] neg_lo:[0,0,1] neg_hi:[0,0,1]
	v_pk_fma_f32 v[72:73], v[72:73], v[62:63], v[76:77] op_sel:[0,0,1] op_sel_hi:[1,0,0]
	v_mov_b32_e32 v79, v73
	v_pk_mul_f32 v[72:73], v[74:75], v[64:65] op_sel:[0,1]
	s_delay_alu instid0(VALU_DEP_1) | instskip(SKIP_1) | instid1(VALU_DEP_1)
	v_pk_fma_f32 v[76:77], v[74:75], v[62:63], v[72:73] op_sel:[0,0,1] op_sel_hi:[1,1,0] neg_lo:[0,0,1] neg_hi:[0,0,1]
	v_pk_fma_f32 v[72:73], v[74:75], v[62:63], v[72:73] op_sel:[0,0,1] op_sel_hi:[1,0,0]
	v_mov_b32_e32 v77, v73
	ds_load_2addr_b64 v[72:75], v66 offset0:24 offset1:25
	v_pk_add_f32 v[24:25], v[24:25], v[78:79] neg_lo:[0,1] neg_hi:[0,1]
	v_pk_add_f32 v[14:15], v[14:15], v[76:77] neg_lo:[0,1] neg_hi:[0,1]
	s_wait_dscnt 0x0
	v_dual_mul_f32 v76, v73, v65 :: v_dual_mul_f32 v78, v73, v62
	s_delay_alu instid0(VALU_DEP_1) | instskip(NEXT) | instid1(VALU_DEP_2)
	v_pk_fma_f32 v[76:77], v[72:73], v[28:29], v[76:77] op_sel_hi:[1,1,0] neg_lo:[0,0,1] neg_hi:[0,0,1]
	v_pk_fma_f32 v[72:73], v[72:73], v[28:29], v[78:79] op_sel:[1,0,0] op_sel_hi:[0,1,0]
	s_delay_alu instid0(VALU_DEP_1) | instskip(SKIP_1) | instid1(VALU_DEP_2)
	v_mov_b32_e32 v77, v73
	v_pk_mul_f32 v[72:73], v[74:75], v[64:65] op_sel:[0,1]
	v_pk_add_f32 v[20:21], v[20:21], v[76:77] neg_lo:[0,1] neg_hi:[0,1]
	s_delay_alu instid0(VALU_DEP_2) | instskip(SKIP_1) | instid1(VALU_DEP_1)
	v_pk_fma_f32 v[76:77], v[74:75], v[62:63], v[72:73] op_sel:[0,0,1] op_sel_hi:[1,1,0] neg_lo:[0,0,1] neg_hi:[0,0,1]
	v_pk_fma_f32 v[72:73], v[74:75], v[62:63], v[72:73] op_sel:[0,0,1] op_sel_hi:[1,0,0]
	v_mov_b32_e32 v77, v73
	ds_load_2addr_b64 v[72:75], v66 offset0:26 offset1:27
	v_pk_add_f32 v[18:19], v[18:19], v[76:77] neg_lo:[0,1] neg_hi:[0,1]
	s_wait_dscnt 0x0
	v_pk_mul_f32 v[76:77], v[72:73], v[64:65] op_sel:[0,1]
	v_pk_mul_f32 v[64:65], v[74:75], v[64:65] op_sel:[0,1]
	s_delay_alu instid0(VALU_DEP_2) | instskip(SKIP_1) | instid1(VALU_DEP_1)
	v_pk_fma_f32 v[78:79], v[72:73], v[62:63], v[76:77] op_sel:[0,0,1] op_sel_hi:[1,1,0] neg_lo:[0,0,1] neg_hi:[0,0,1]
	v_pk_fma_f32 v[72:73], v[72:73], v[62:63], v[76:77] op_sel:[0,0,1] op_sel_hi:[1,0,0]
	v_mov_b32_e32 v79, v73
	s_delay_alu instid0(VALU_DEP_4) | instskip(SKIP_1) | instid1(VALU_DEP_3)
	v_pk_fma_f32 v[72:73], v[74:75], v[62:63], v[64:65] op_sel:[0,0,1] op_sel_hi:[1,1,0] neg_lo:[0,0,1] neg_hi:[0,0,1]
	v_pk_fma_f32 v[62:63], v[74:75], v[62:63], v[64:65] op_sel:[0,0,1] op_sel_hi:[1,0,0]
	v_pk_add_f32 v[16:17], v[16:17], v[78:79] neg_lo:[0,1] neg_hi:[0,1]
	s_delay_alu instid0(VALU_DEP_2) | instskip(NEXT) | instid1(VALU_DEP_1)
	v_mov_b32_e32 v73, v63
	v_pk_add_f32 v[60:61], v[60:61], v[72:73] neg_lo:[0,1] neg_hi:[0,1]
.LBB54_125:
	s_or_b32 exec_lo, exec_lo, s0
	v_lshl_add_u32 v62, v70, 3, v66
	s_barrier_signal -1
	s_barrier_wait -1
	ds_store_b64 v62, v[30:31]
	s_wait_dscnt 0x0
	s_barrier_signal -1
	s_barrier_wait -1
	ds_load_b64 v[64:65], v66 offset:48
	v_mov_b32_e32 v62, 6
	s_cmp_lt_i32 s18, 8
	s_cbranch_scc1 .LBB54_128
; %bb.126:
	v_add3_u32 v63, v67, 0, 56
	v_mov_b32_e32 v62, 6
	s_mov_b32 s0, 7
.LBB54_127:                             ; =>This Inner Loop Header: Depth=1
	ds_load_b64 v[72:73], v63
	s_wait_dscnt 0x1
	v_cmp_gt_f32_e32 vcc_lo, 0, v64
	v_cndmask_b32_e64 v74, v64, -v64, vcc_lo
	v_cmp_gt_f32_e32 vcc_lo, 0, v65
	v_cndmask_b32_e64 v76, v65, -v65, vcc_lo
	s_wait_dscnt 0x0
	v_cmp_gt_f32_e32 vcc_lo, 0, v72
	v_cndmask_b32_e64 v75, v72, -v72, vcc_lo
	v_cmp_gt_f32_e32 vcc_lo, 0, v73
	v_cndmask_b32_e64 v77, v73, -v73, vcc_lo
	s_delay_alu instid0(VALU_DEP_1) | instskip(NEXT) | instid1(VALU_DEP_1)
	v_pk_add_f32 v[74:75], v[74:75], v[76:77]
	v_cmp_lt_f32_e32 vcc_lo, v74, v75
	v_dual_add_nc_u32 v63, 8, v63 :: v_dual_cndmask_b32 v65, v65, v73, vcc_lo
	v_cndmask_b32_e32 v64, v64, v72, vcc_lo
	v_cndmask_b32_e64 v62, v62, s0, vcc_lo
	s_add_co_i32 s0, s0, 1
	s_delay_alu instid0(SALU_CYCLE_1)
	s_cmp_lg_u32 s18, s0
	s_cbranch_scc1 .LBB54_127
.LBB54_128:
	s_wait_dscnt 0x0
	v_cmp_eq_f32_e32 vcc_lo, 0, v64
	v_cmp_eq_f32_e64 s0, 0, v65
	s_and_b32 s0, vcc_lo, s0
	s_delay_alu instid0(SALU_CYCLE_1) | instskip(NEXT) | instid1(SALU_CYCLE_1)
	s_and_saveexec_b32 s1, s0
	s_xor_b32 s0, exec_lo, s1
; %bb.129:
	v_cmp_ne_u32_e32 vcc_lo, 0, v69
	v_cndmask_b32_e32 v69, 7, v69, vcc_lo
; %bb.130:
	s_and_not1_saveexec_b32 s0, s0
	s_cbranch_execz .LBB54_136
; %bb.131:
	v_cmp_ngt_f32_e64 s1, |v64|, |v65|
	s_and_saveexec_b32 s12, s1
	s_delay_alu instid0(SALU_CYCLE_1)
	s_xor_b32 s1, exec_lo, s12
	s_cbranch_execz .LBB54_133
; %bb.132:
	v_div_scale_f32 v63, null, v65, v65, v64
	v_div_scale_f32 v73, vcc_lo, v64, v65, v64
	s_delay_alu instid0(VALU_DEP_2) | instskip(SKIP_1) | instid1(TRANS32_DEP_1)
	v_rcp_f32_e32 v71, v63
	v_nop
	v_fma_f32 v72, -v63, v71, 1.0
	s_delay_alu instid0(VALU_DEP_1) | instskip(NEXT) | instid1(VALU_DEP_1)
	v_fmac_f32_e32 v71, v72, v71
	v_mul_f32_e32 v72, v73, v71
	s_delay_alu instid0(VALU_DEP_1) | instskip(NEXT) | instid1(VALU_DEP_1)
	v_fma_f32 v74, -v63, v72, v73
	v_fmac_f32_e32 v72, v74, v71
	s_delay_alu instid0(VALU_DEP_1) | instskip(NEXT) | instid1(VALU_DEP_1)
	v_fma_f32 v63, -v63, v72, v73
	v_div_fmas_f32 v63, v63, v71, v72
	s_delay_alu instid0(VALU_DEP_1) | instskip(NEXT) | instid1(VALU_DEP_1)
	v_div_fixup_f32 v63, v63, v65, v64
	v_fmac_f32_e32 v65, v64, v63
	s_delay_alu instid0(VALU_DEP_1) | instskip(SKIP_1) | instid1(VALU_DEP_2)
	v_div_scale_f32 v64, null, v65, v65, 1.0
	v_div_scale_f32 v73, vcc_lo, 1.0, v65, 1.0
	v_rcp_f32_e32 v71, v64
	v_nop
	s_delay_alu instid0(TRANS32_DEP_1) | instskip(NEXT) | instid1(VALU_DEP_1)
	v_fma_f32 v72, -v64, v71, 1.0
	v_fmac_f32_e32 v71, v72, v71
	s_delay_alu instid0(VALU_DEP_1) | instskip(NEXT) | instid1(VALU_DEP_1)
	v_mul_f32_e32 v72, v73, v71
	v_fma_f32 v74, -v64, v72, v73
	s_delay_alu instid0(VALU_DEP_1) | instskip(NEXT) | instid1(VALU_DEP_1)
	v_fmac_f32_e32 v72, v74, v71
	v_fma_f32 v64, -v64, v72, v73
	s_delay_alu instid0(VALU_DEP_1) | instskip(NEXT) | instid1(VALU_DEP_1)
	v_div_fmas_f32 v64, v64, v71, v72
	v_div_fixup_f32 v65, v64, v65, 1.0
	s_delay_alu instid0(VALU_DEP_1)
	v_mul_f32_e32 v64, v63, v65
	v_xor_b32_e32 v65, 0x80000000, v65
.LBB54_133:
	s_and_not1_saveexec_b32 s1, s1
	s_cbranch_execz .LBB54_135
; %bb.134:
	s_delay_alu instid0(VALU_DEP_1) | instskip(SKIP_1) | instid1(VALU_DEP_2)
	v_div_scale_f32 v63, null, v64, v64, v65
	v_div_scale_f32 v73, vcc_lo, v65, v64, v65
	v_rcp_f32_e32 v71, v63
	v_nop
	s_delay_alu instid0(TRANS32_DEP_1) | instskip(NEXT) | instid1(VALU_DEP_1)
	v_fma_f32 v72, -v63, v71, 1.0
	v_fmac_f32_e32 v71, v72, v71
	s_delay_alu instid0(VALU_DEP_1) | instskip(NEXT) | instid1(VALU_DEP_1)
	v_mul_f32_e32 v72, v73, v71
	v_fma_f32 v74, -v63, v72, v73
	s_delay_alu instid0(VALU_DEP_1) | instskip(NEXT) | instid1(VALU_DEP_1)
	v_fmac_f32_e32 v72, v74, v71
	v_fma_f32 v63, -v63, v72, v73
	s_delay_alu instid0(VALU_DEP_1) | instskip(NEXT) | instid1(VALU_DEP_1)
	v_div_fmas_f32 v63, v63, v71, v72
	v_div_fixup_f32 v63, v63, v64, v65
	s_delay_alu instid0(VALU_DEP_1) | instskip(NEXT) | instid1(VALU_DEP_1)
	v_fmac_f32_e32 v64, v65, v63
	v_div_scale_f32 v65, null, v64, v64, 1.0
	s_delay_alu instid0(VALU_DEP_1) | instskip(SKIP_1) | instid1(TRANS32_DEP_1)
	v_rcp_f32_e32 v71, v65
	v_nop
	v_fma_f32 v72, -v65, v71, 1.0
	s_delay_alu instid0(VALU_DEP_1) | instskip(SKIP_1) | instid1(VALU_DEP_1)
	v_fmac_f32_e32 v71, v72, v71
	v_div_scale_f32 v72, vcc_lo, 1.0, v64, 1.0
	v_mul_f32_e32 v73, v72, v71
	s_delay_alu instid0(VALU_DEP_1) | instskip(NEXT) | instid1(VALU_DEP_1)
	v_fma_f32 v74, -v65, v73, v72
	v_fmac_f32_e32 v73, v74, v71
	s_delay_alu instid0(VALU_DEP_1) | instskip(NEXT) | instid1(VALU_DEP_1)
	v_fma_f32 v65, -v65, v73, v72
	v_div_fmas_f32 v65, v65, v71, v73
	s_delay_alu instid0(VALU_DEP_1) | instskip(NEXT) | instid1(VALU_DEP_1)
	v_div_fixup_f32 v64, v65, v64, 1.0
	v_mul_f32_e64 v65, v63, -v64
.LBB54_135:
	s_or_b32 exec_lo, exec_lo, s1
.LBB54_136:
	s_delay_alu instid0(SALU_CYCLE_1) | instskip(NEXT) | instid1(SALU_CYCLE_1)
	s_or_b32 exec_lo, exec_lo, s0
	s_mov_b32 s0, exec_lo
	v_cmpx_ne_u32_e64 v70, v62
	s_xor_b32 s0, exec_lo, s0
	s_cbranch_execz .LBB54_142
; %bb.137:
	s_mov_b32 s1, exec_lo
	v_cmpx_eq_u32_e32 6, v70
	s_cbranch_execz .LBB54_141
; %bb.138:
	v_cmp_ne_u32_e32 vcc_lo, 6, v62
	s_xor_b32 s12, s16, -1
	s_delay_alu instid0(SALU_CYCLE_1) | instskip(NEXT) | instid1(SALU_CYCLE_1)
	s_and_b32 s13, s12, vcc_lo
	s_and_saveexec_b32 s12, s13
	s_cbranch_execz .LBB54_140
; %bb.139:
	v_ashrrev_i32_e32 v63, 31, v62
	s_delay_alu instid0(VALU_DEP_1)
	v_lshl_add_u64 v[70:71], v[62:63], 2, v[4:5]
	s_clause 0x1
	global_load_b32 v63, v[70:71], off
	global_load_b32 v68, v[4:5], off offset:24
	s_wait_loadcnt 0x1
	global_store_b32 v[4:5], v63, off offset:24
	s_wait_loadcnt 0x0
	global_store_b32 v[70:71], v68, off
.LBB54_140:
	s_wait_xcnt 0x0
	s_or_b32 exec_lo, exec_lo, s12
	v_dual_mov_b32 v70, v62 :: v_dual_mov_b32 v68, v62
.LBB54_141:
	s_or_b32 exec_lo, exec_lo, s1
.LBB54_142:
	s_and_not1_saveexec_b32 s0, s0
	s_cbranch_execz .LBB54_144
; %bb.143:
	v_mov_b32_e32 v70, 6
	ds_store_2addr_b64 v66, v[6:7], v[38:39] offset0:7 offset1:8
	ds_store_2addr_b64 v66, v[34:35], v[36:37] offset0:9 offset1:10
	;; [unrolled: 1-line block ×10, first 2 shown]
	ds_store_b64 v66, v[60:61] offset:216
.LBB54_144:
	s_or_b32 exec_lo, exec_lo, s0
	s_delay_alu instid0(SALU_CYCLE_1)
	s_mov_b32 s0, exec_lo
	s_wait_storecnt_dscnt 0x0
	s_barrier_signal -1
	s_barrier_wait -1
	v_cmpx_lt_i32_e32 6, v70
	s_cbranch_execz .LBB54_146
; %bb.145:
	v_pk_mul_f32 v[72:73], v[64:65], v[30:31] op_sel:[1,1] op_sel_hi:[0,1]
	s_delay_alu instid0(VALU_DEP_1)
	v_pk_fma_f32 v[62:63], v[64:65], v[30:31], v[72:73] op_sel_hi:[1,0,1] neg_lo:[0,0,1] neg_hi:[0,0,1]
	v_pk_fma_f32 v[64:65], v[64:65], v[30:31], v[72:73] op_sel_hi:[1,0,1]
	ds_load_2addr_b64 v[72:75], v66 offset0:7 offset1:8
	v_dual_mov_b32 v30, v62 :: v_dual_mov_b32 v31, v65
	s_wait_dscnt 0x0
	v_pk_mul_f32 v[76:77], v[72:73], v[64:65] op_sel:[0,1]
	s_delay_alu instid0(VALU_DEP_1) | instskip(SKIP_1) | instid1(VALU_DEP_1)
	v_pk_fma_f32 v[78:79], v[72:73], v[62:63], v[76:77] op_sel:[0,0,1] op_sel_hi:[1,1,0] neg_lo:[0,0,1] neg_hi:[0,0,1]
	v_pk_fma_f32 v[72:73], v[72:73], v[62:63], v[76:77] op_sel:[0,0,1] op_sel_hi:[1,0,0]
	v_mov_b32_e32 v79, v73
	v_pk_mul_f32 v[72:73], v[74:75], v[64:65] op_sel:[0,1]
	s_delay_alu instid0(VALU_DEP_1) | instskip(SKIP_1) | instid1(VALU_DEP_1)
	v_pk_fma_f32 v[76:77], v[74:75], v[62:63], v[72:73] op_sel:[0,0,1] op_sel_hi:[1,1,0] neg_lo:[0,0,1] neg_hi:[0,0,1]
	v_pk_fma_f32 v[72:73], v[74:75], v[62:63], v[72:73] op_sel:[0,0,1] op_sel_hi:[1,0,0]
	v_mov_b32_e32 v77, v73
	ds_load_2addr_b64 v[72:75], v66 offset0:9 offset1:10
	v_pk_add_f32 v[6:7], v[6:7], v[78:79] neg_lo:[0,1] neg_hi:[0,1]
	v_pk_add_f32 v[38:39], v[38:39], v[76:77] neg_lo:[0,1] neg_hi:[0,1]
	s_wait_dscnt 0x0
	v_pk_mul_f32 v[76:77], v[72:73], v[64:65] op_sel:[0,1]
	s_delay_alu instid0(VALU_DEP_1) | instskip(SKIP_2) | instid1(VALU_DEP_2)
	v_pk_fma_f32 v[78:79], v[72:73], v[62:63], v[76:77] op_sel:[0,0,1] op_sel_hi:[1,1,0] neg_lo:[0,0,1] neg_hi:[0,0,1]
	v_pk_fma_f32 v[72:73], v[72:73], v[62:63], v[76:77] op_sel:[0,0,1] op_sel_hi:[1,0,0]
	v_dual_mul_f32 v76, v75, v65 :: v_dual_mov_b32 v72, v75
	v_dual_mov_b32 v79, v73 :: v_dual_mov_b32 v73, v74
	s_delay_alu instid0(VALU_DEP_2) | instskip(SKIP_1) | instid1(VALU_DEP_3)
	v_pk_fma_f32 v[76:77], v[74:75], v[30:31], v[76:77] op_sel_hi:[1,1,0] neg_lo:[0,0,1] neg_hi:[0,0,1]
	v_mul_f32_e32 v74, v75, v62
	v_pk_add_f32 v[34:35], v[34:35], v[78:79] neg_lo:[0,1] neg_hi:[0,1]
	s_delay_alu instid0(VALU_DEP_2) | instskip(NEXT) | instid1(VALU_DEP_1)
	v_pk_fma_f32 v[72:73], v[72:73], v[30:31], v[74:75] op_sel_hi:[1,1,0]
	v_mov_b32_e32 v77, v73
	ds_load_2addr_b64 v[72:75], v66 offset0:11 offset1:12
	v_pk_add_f32 v[36:37], v[36:37], v[76:77] neg_lo:[0,1] neg_hi:[0,1]
	s_wait_dscnt 0x0
	v_pk_mul_f32 v[76:77], v[72:73], v[64:65] op_sel:[0,1]
	s_delay_alu instid0(VALU_DEP_1) | instskip(SKIP_1) | instid1(VALU_DEP_1)
	v_pk_fma_f32 v[78:79], v[72:73], v[62:63], v[76:77] op_sel:[0,0,1] op_sel_hi:[1,1,0] neg_lo:[0,0,1] neg_hi:[0,0,1]
	v_pk_fma_f32 v[72:73], v[72:73], v[62:63], v[76:77] op_sel:[0,0,1] op_sel_hi:[1,0,0]
	v_mov_b32_e32 v79, v73
	v_pk_mul_f32 v[72:73], v[74:75], v[64:65] op_sel:[0,1]
	s_delay_alu instid0(VALU_DEP_1) | instskip(SKIP_1) | instid1(VALU_DEP_1)
	v_pk_fma_f32 v[76:77], v[74:75], v[62:63], v[72:73] op_sel:[0,0,1] op_sel_hi:[1,1,0] neg_lo:[0,0,1] neg_hi:[0,0,1]
	v_pk_fma_f32 v[72:73], v[74:75], v[62:63], v[72:73] op_sel:[0,0,1] op_sel_hi:[1,0,0]
	v_mov_b32_e32 v77, v73
	ds_load_2addr_b64 v[72:75], v66 offset0:13 offset1:14
	v_pk_add_f32 v[8:9], v[8:9], v[78:79] neg_lo:[0,1] neg_hi:[0,1]
	v_pk_add_f32 v[44:45], v[44:45], v[76:77] neg_lo:[0,1] neg_hi:[0,1]
	s_wait_dscnt 0x0
	v_pk_mul_f32 v[76:77], v[72:73], v[64:65] op_sel:[0,1]
	s_delay_alu instid0(VALU_DEP_1) | instskip(SKIP_1) | instid1(VALU_DEP_1)
	v_pk_fma_f32 v[78:79], v[72:73], v[62:63], v[76:77] op_sel:[0,0,1] op_sel_hi:[1,1,0] neg_lo:[0,0,1] neg_hi:[0,0,1]
	v_pk_fma_f32 v[72:73], v[72:73], v[62:63], v[76:77] op_sel:[0,0,1] op_sel_hi:[1,0,0]
	v_mov_b32_e32 v79, v73
	v_pk_mul_f32 v[72:73], v[74:75], v[64:65] op_sel:[0,1]
	s_delay_alu instid0(VALU_DEP_1) | instskip(SKIP_1) | instid1(VALU_DEP_1)
	v_pk_fma_f32 v[76:77], v[74:75], v[62:63], v[72:73] op_sel:[0,0,1] op_sel_hi:[1,1,0] neg_lo:[0,0,1] neg_hi:[0,0,1]
	v_pk_fma_f32 v[72:73], v[74:75], v[62:63], v[72:73] op_sel:[0,0,1] op_sel_hi:[1,0,0]
	v_mov_b32_e32 v77, v73
	ds_load_2addr_b64 v[72:75], v66 offset0:15 offset1:16
	v_pk_add_f32 v[40:41], v[40:41], v[78:79] neg_lo:[0,1] neg_hi:[0,1]
	v_pk_add_f32 v[42:43], v[42:43], v[76:77] neg_lo:[0,1] neg_hi:[0,1]
	s_wait_dscnt 0x0
	v_dual_mul_f32 v76, v73, v65 :: v_dual_mul_f32 v78, v73, v62
	s_delay_alu instid0(VALU_DEP_1) | instskip(NEXT) | instid1(VALU_DEP_2)
	v_pk_fma_f32 v[76:77], v[72:73], v[30:31], v[76:77] op_sel_hi:[1,1,0] neg_lo:[0,0,1] neg_hi:[0,0,1]
	v_pk_fma_f32 v[72:73], v[72:73], v[30:31], v[78:79] op_sel:[1,0,0] op_sel_hi:[0,1,0]
	s_delay_alu instid0(VALU_DEP_1) | instskip(SKIP_1) | instid1(VALU_DEP_2)
	v_mov_b32_e32 v77, v73
	v_pk_mul_f32 v[72:73], v[74:75], v[64:65] op_sel:[0,1]
	v_pk_add_f32 v[10:11], v[10:11], v[76:77] neg_lo:[0,1] neg_hi:[0,1]
	s_delay_alu instid0(VALU_DEP_2) | instskip(SKIP_1) | instid1(VALU_DEP_1)
	v_pk_fma_f32 v[76:77], v[74:75], v[62:63], v[72:73] op_sel:[0,0,1] op_sel_hi:[1,1,0] neg_lo:[0,0,1] neg_hi:[0,0,1]
	v_pk_fma_f32 v[72:73], v[74:75], v[62:63], v[72:73] op_sel:[0,0,1] op_sel_hi:[1,0,0]
	v_mov_b32_e32 v77, v73
	ds_load_2addr_b64 v[72:75], v66 offset0:17 offset1:18
	v_pk_add_f32 v[50:51], v[50:51], v[76:77] neg_lo:[0,1] neg_hi:[0,1]
	s_wait_dscnt 0x0
	v_pk_mul_f32 v[76:77], v[72:73], v[64:65] op_sel:[0,1]
	s_delay_alu instid0(VALU_DEP_1) | instskip(SKIP_1) | instid1(VALU_DEP_1)
	v_pk_fma_f32 v[78:79], v[72:73], v[62:63], v[76:77] op_sel:[0,0,1] op_sel_hi:[1,1,0] neg_lo:[0,0,1] neg_hi:[0,0,1]
	v_pk_fma_f32 v[72:73], v[72:73], v[62:63], v[76:77] op_sel:[0,0,1] op_sel_hi:[1,0,0]
	v_mov_b32_e32 v79, v73
	v_pk_mul_f32 v[72:73], v[74:75], v[64:65] op_sel:[0,1]
	s_delay_alu instid0(VALU_DEP_2) | instskip(NEXT) | instid1(VALU_DEP_2)
	v_pk_add_f32 v[46:47], v[46:47], v[78:79] neg_lo:[0,1] neg_hi:[0,1]
	v_pk_fma_f32 v[76:77], v[74:75], v[62:63], v[72:73] op_sel:[0,0,1] op_sel_hi:[1,1,0] neg_lo:[0,0,1] neg_hi:[0,0,1]
	v_pk_fma_f32 v[72:73], v[74:75], v[62:63], v[72:73] op_sel:[0,0,1] op_sel_hi:[1,0,0]
	s_delay_alu instid0(VALU_DEP_1) | instskip(SKIP_4) | instid1(VALU_DEP_1)
	v_mov_b32_e32 v77, v73
	ds_load_2addr_b64 v[72:75], v66 offset0:19 offset1:20
	v_pk_add_f32 v[48:49], v[48:49], v[76:77] neg_lo:[0,1] neg_hi:[0,1]
	s_wait_dscnt 0x0
	v_pk_mul_f32 v[76:77], v[72:73], v[64:65] op_sel:[0,1]
	v_pk_fma_f32 v[78:79], v[72:73], v[62:63], v[76:77] op_sel:[0,0,1] op_sel_hi:[1,1,0] neg_lo:[0,0,1] neg_hi:[0,0,1]
	v_pk_fma_f32 v[72:73], v[72:73], v[62:63], v[76:77] op_sel:[0,0,1] op_sel_hi:[1,0,0]
	v_dual_mul_f32 v76, v75, v65 :: v_dual_mov_b32 v72, v75
	s_delay_alu instid0(VALU_DEP_2) | instskip(NEXT) | instid1(VALU_DEP_2)
	v_dual_mov_b32 v79, v73 :: v_dual_mov_b32 v73, v74
	v_pk_fma_f32 v[76:77], v[74:75], v[30:31], v[76:77] op_sel_hi:[1,1,0] neg_lo:[0,0,1] neg_hi:[0,0,1]
	v_mul_f32_e32 v74, v75, v62
	s_delay_alu instid0(VALU_DEP_3) | instskip(NEXT) | instid1(VALU_DEP_2)
	v_pk_add_f32 v[12:13], v[12:13], v[78:79] neg_lo:[0,1] neg_hi:[0,1]
	v_pk_fma_f32 v[72:73], v[72:73], v[30:31], v[74:75] op_sel_hi:[1,1,0]
	s_delay_alu instid0(VALU_DEP_1) | instskip(SKIP_4) | instid1(VALU_DEP_1)
	v_mov_b32_e32 v77, v73
	ds_load_2addr_b64 v[72:75], v66 offset0:21 offset1:22
	v_pk_add_f32 v[26:27], v[26:27], v[76:77] neg_lo:[0,1] neg_hi:[0,1]
	s_wait_dscnt 0x0
	v_pk_mul_f32 v[76:77], v[72:73], v[64:65] op_sel:[0,1]
	v_pk_fma_f32 v[78:79], v[72:73], v[62:63], v[76:77] op_sel:[0,0,1] op_sel_hi:[1,1,0] neg_lo:[0,0,1] neg_hi:[0,0,1]
	v_pk_fma_f32 v[72:73], v[72:73], v[62:63], v[76:77] op_sel:[0,0,1] op_sel_hi:[1,0,0]
	s_delay_alu instid0(VALU_DEP_1) | instskip(SKIP_1) | instid1(VALU_DEP_1)
	v_mov_b32_e32 v79, v73
	v_pk_mul_f32 v[72:73], v[74:75], v[64:65] op_sel:[0,1]
	v_pk_fma_f32 v[76:77], v[74:75], v[62:63], v[72:73] op_sel:[0,0,1] op_sel_hi:[1,1,0] neg_lo:[0,0,1] neg_hi:[0,0,1]
	v_pk_fma_f32 v[72:73], v[74:75], v[62:63], v[72:73] op_sel:[0,0,1] op_sel_hi:[1,0,0]
	s_delay_alu instid0(VALU_DEP_1)
	v_mov_b32_e32 v77, v73
	ds_load_2addr_b64 v[72:75], v66 offset0:23 offset1:24
	v_pk_add_f32 v[22:23], v[22:23], v[78:79] neg_lo:[0,1] neg_hi:[0,1]
	v_pk_add_f32 v[24:25], v[24:25], v[76:77] neg_lo:[0,1] neg_hi:[0,1]
	s_wait_dscnt 0x0
	v_pk_mul_f32 v[76:77], v[72:73], v[64:65] op_sel:[0,1]
	s_delay_alu instid0(VALU_DEP_1) | instskip(SKIP_1) | instid1(VALU_DEP_1)
	v_pk_fma_f32 v[78:79], v[72:73], v[62:63], v[76:77] op_sel:[0,0,1] op_sel_hi:[1,1,0] neg_lo:[0,0,1] neg_hi:[0,0,1]
	v_pk_fma_f32 v[72:73], v[72:73], v[62:63], v[76:77] op_sel:[0,0,1] op_sel_hi:[1,0,0]
	v_mov_b32_e32 v79, v73
	v_pk_mul_f32 v[72:73], v[74:75], v[64:65] op_sel:[0,1]
	s_delay_alu instid0(VALU_DEP_1) | instskip(SKIP_1) | instid1(VALU_DEP_1)
	v_pk_fma_f32 v[76:77], v[74:75], v[62:63], v[72:73] op_sel:[0,0,1] op_sel_hi:[1,1,0] neg_lo:[0,0,1] neg_hi:[0,0,1]
	v_pk_fma_f32 v[72:73], v[74:75], v[62:63], v[72:73] op_sel:[0,0,1] op_sel_hi:[1,0,0]
	v_mov_b32_e32 v77, v73
	ds_load_2addr_b64 v[72:75], v66 offset0:25 offset1:26
	v_pk_add_f32 v[14:15], v[14:15], v[78:79] neg_lo:[0,1] neg_hi:[0,1]
	v_pk_add_f32 v[20:21], v[20:21], v[76:77] neg_lo:[0,1] neg_hi:[0,1]
	s_wait_dscnt 0x0
	v_dual_mul_f32 v76, v73, v65 :: v_dual_mul_f32 v78, v73, v62
	s_delay_alu instid0(VALU_DEP_1) | instskip(NEXT) | instid1(VALU_DEP_2)
	v_pk_fma_f32 v[76:77], v[72:73], v[30:31], v[76:77] op_sel_hi:[1,1,0] neg_lo:[0,0,1] neg_hi:[0,0,1]
	v_pk_fma_f32 v[72:73], v[72:73], v[30:31], v[78:79] op_sel:[1,0,0] op_sel_hi:[0,1,0]
	s_delay_alu instid0(VALU_DEP_1) | instskip(SKIP_1) | instid1(VALU_DEP_2)
	v_mov_b32_e32 v77, v73
	v_pk_mul_f32 v[72:73], v[74:75], v[64:65] op_sel:[0,1]
	v_pk_add_f32 v[18:19], v[18:19], v[76:77] neg_lo:[0,1] neg_hi:[0,1]
	s_delay_alu instid0(VALU_DEP_2) | instskip(SKIP_1) | instid1(VALU_DEP_1)
	v_pk_fma_f32 v[76:77], v[74:75], v[62:63], v[72:73] op_sel:[0,0,1] op_sel_hi:[1,1,0] neg_lo:[0,0,1] neg_hi:[0,0,1]
	v_pk_fma_f32 v[72:73], v[74:75], v[62:63], v[72:73] op_sel:[0,0,1] op_sel_hi:[1,0,0]
	v_mov_b32_e32 v77, v73
	ds_load_b64 v[72:73], v66 offset:216
	v_pk_add_f32 v[16:17], v[16:17], v[76:77] neg_lo:[0,1] neg_hi:[0,1]
	s_wait_dscnt 0x0
	v_pk_mul_f32 v[64:65], v[72:73], v[64:65] op_sel:[0,1]
	s_delay_alu instid0(VALU_DEP_1) | instskip(SKIP_1) | instid1(VALU_DEP_1)
	v_pk_fma_f32 v[74:75], v[72:73], v[62:63], v[64:65] op_sel:[0,0,1] op_sel_hi:[1,1,0] neg_lo:[0,0,1] neg_hi:[0,0,1]
	v_pk_fma_f32 v[62:63], v[72:73], v[62:63], v[64:65] op_sel:[0,0,1] op_sel_hi:[1,0,0]
	v_mov_b32_e32 v75, v63
	s_delay_alu instid0(VALU_DEP_1)
	v_pk_add_f32 v[60:61], v[60:61], v[74:75] neg_lo:[0,1] neg_hi:[0,1]
.LBB54_146:
	s_or_b32 exec_lo, exec_lo, s0
	v_lshl_add_u32 v62, v70, 3, v66
	s_barrier_signal -1
	s_barrier_wait -1
	ds_store_b64 v62, v[6:7]
	s_wait_dscnt 0x0
	s_barrier_signal -1
	s_barrier_wait -1
	ds_load_b64 v[64:65], v66 offset:56
	v_mov_b32_e32 v62, 7
	s_cmp_lt_i32 s18, 9
	s_cbranch_scc1 .LBB54_149
; %bb.147:
	v_add3_u32 v63, v67, 0, 64
	v_mov_b32_e32 v62, 7
	s_mov_b32 s0, 8
.LBB54_148:                             ; =>This Inner Loop Header: Depth=1
	ds_load_b64 v[72:73], v63
	s_wait_dscnt 0x1
	v_cmp_gt_f32_e32 vcc_lo, 0, v64
	v_cndmask_b32_e64 v74, v64, -v64, vcc_lo
	v_cmp_gt_f32_e32 vcc_lo, 0, v65
	v_cndmask_b32_e64 v76, v65, -v65, vcc_lo
	s_wait_dscnt 0x0
	v_cmp_gt_f32_e32 vcc_lo, 0, v72
	v_cndmask_b32_e64 v75, v72, -v72, vcc_lo
	v_cmp_gt_f32_e32 vcc_lo, 0, v73
	v_cndmask_b32_e64 v77, v73, -v73, vcc_lo
	s_delay_alu instid0(VALU_DEP_1) | instskip(NEXT) | instid1(VALU_DEP_1)
	v_pk_add_f32 v[74:75], v[74:75], v[76:77]
	v_cmp_lt_f32_e32 vcc_lo, v74, v75
	v_dual_add_nc_u32 v63, 8, v63 :: v_dual_cndmask_b32 v65, v65, v73, vcc_lo
	v_cndmask_b32_e32 v64, v64, v72, vcc_lo
	v_cndmask_b32_e64 v62, v62, s0, vcc_lo
	s_add_co_i32 s0, s0, 1
	s_delay_alu instid0(SALU_CYCLE_1)
	s_cmp_lg_u32 s18, s0
	s_cbranch_scc1 .LBB54_148
.LBB54_149:
	s_wait_dscnt 0x0
	v_cmp_eq_f32_e32 vcc_lo, 0, v64
	v_cmp_eq_f32_e64 s0, 0, v65
	s_and_b32 s0, vcc_lo, s0
	s_delay_alu instid0(SALU_CYCLE_1) | instskip(NEXT) | instid1(SALU_CYCLE_1)
	s_and_saveexec_b32 s1, s0
	s_xor_b32 s0, exec_lo, s1
; %bb.150:
	v_cmp_ne_u32_e32 vcc_lo, 0, v69
	v_cndmask_b32_e32 v69, 8, v69, vcc_lo
; %bb.151:
	s_and_not1_saveexec_b32 s0, s0
	s_cbranch_execz .LBB54_157
; %bb.152:
	v_cmp_ngt_f32_e64 s1, |v64|, |v65|
	s_and_saveexec_b32 s12, s1
	s_delay_alu instid0(SALU_CYCLE_1)
	s_xor_b32 s1, exec_lo, s12
	s_cbranch_execz .LBB54_154
; %bb.153:
	v_div_scale_f32 v63, null, v65, v65, v64
	v_div_scale_f32 v73, vcc_lo, v64, v65, v64
	s_delay_alu instid0(VALU_DEP_2) | instskip(SKIP_1) | instid1(TRANS32_DEP_1)
	v_rcp_f32_e32 v71, v63
	v_nop
	v_fma_f32 v72, -v63, v71, 1.0
	s_delay_alu instid0(VALU_DEP_1) | instskip(NEXT) | instid1(VALU_DEP_1)
	v_fmac_f32_e32 v71, v72, v71
	v_mul_f32_e32 v72, v73, v71
	s_delay_alu instid0(VALU_DEP_1) | instskip(NEXT) | instid1(VALU_DEP_1)
	v_fma_f32 v74, -v63, v72, v73
	v_fmac_f32_e32 v72, v74, v71
	s_delay_alu instid0(VALU_DEP_1) | instskip(NEXT) | instid1(VALU_DEP_1)
	v_fma_f32 v63, -v63, v72, v73
	v_div_fmas_f32 v63, v63, v71, v72
	s_delay_alu instid0(VALU_DEP_1) | instskip(NEXT) | instid1(VALU_DEP_1)
	v_div_fixup_f32 v63, v63, v65, v64
	v_fmac_f32_e32 v65, v64, v63
	s_delay_alu instid0(VALU_DEP_1) | instskip(SKIP_1) | instid1(VALU_DEP_2)
	v_div_scale_f32 v64, null, v65, v65, 1.0
	v_div_scale_f32 v73, vcc_lo, 1.0, v65, 1.0
	v_rcp_f32_e32 v71, v64
	v_nop
	s_delay_alu instid0(TRANS32_DEP_1) | instskip(NEXT) | instid1(VALU_DEP_1)
	v_fma_f32 v72, -v64, v71, 1.0
	v_fmac_f32_e32 v71, v72, v71
	s_delay_alu instid0(VALU_DEP_1) | instskip(NEXT) | instid1(VALU_DEP_1)
	v_mul_f32_e32 v72, v73, v71
	v_fma_f32 v74, -v64, v72, v73
	s_delay_alu instid0(VALU_DEP_1) | instskip(NEXT) | instid1(VALU_DEP_1)
	v_fmac_f32_e32 v72, v74, v71
	v_fma_f32 v64, -v64, v72, v73
	s_delay_alu instid0(VALU_DEP_1) | instskip(NEXT) | instid1(VALU_DEP_1)
	v_div_fmas_f32 v64, v64, v71, v72
	v_div_fixup_f32 v65, v64, v65, 1.0
	s_delay_alu instid0(VALU_DEP_1)
	v_mul_f32_e32 v64, v63, v65
	v_xor_b32_e32 v65, 0x80000000, v65
.LBB54_154:
	s_and_not1_saveexec_b32 s1, s1
	s_cbranch_execz .LBB54_156
; %bb.155:
	s_delay_alu instid0(VALU_DEP_1) | instskip(SKIP_1) | instid1(VALU_DEP_2)
	v_div_scale_f32 v63, null, v64, v64, v65
	v_div_scale_f32 v73, vcc_lo, v65, v64, v65
	v_rcp_f32_e32 v71, v63
	v_nop
	s_delay_alu instid0(TRANS32_DEP_1) | instskip(NEXT) | instid1(VALU_DEP_1)
	v_fma_f32 v72, -v63, v71, 1.0
	v_fmac_f32_e32 v71, v72, v71
	s_delay_alu instid0(VALU_DEP_1) | instskip(NEXT) | instid1(VALU_DEP_1)
	v_mul_f32_e32 v72, v73, v71
	v_fma_f32 v74, -v63, v72, v73
	s_delay_alu instid0(VALU_DEP_1) | instskip(NEXT) | instid1(VALU_DEP_1)
	v_fmac_f32_e32 v72, v74, v71
	v_fma_f32 v63, -v63, v72, v73
	s_delay_alu instid0(VALU_DEP_1) | instskip(NEXT) | instid1(VALU_DEP_1)
	v_div_fmas_f32 v63, v63, v71, v72
	v_div_fixup_f32 v63, v63, v64, v65
	s_delay_alu instid0(VALU_DEP_1) | instskip(NEXT) | instid1(VALU_DEP_1)
	v_fmac_f32_e32 v64, v65, v63
	v_div_scale_f32 v65, null, v64, v64, 1.0
	s_delay_alu instid0(VALU_DEP_1) | instskip(SKIP_1) | instid1(TRANS32_DEP_1)
	v_rcp_f32_e32 v71, v65
	v_nop
	v_fma_f32 v72, -v65, v71, 1.0
	s_delay_alu instid0(VALU_DEP_1) | instskip(SKIP_1) | instid1(VALU_DEP_1)
	v_fmac_f32_e32 v71, v72, v71
	v_div_scale_f32 v72, vcc_lo, 1.0, v64, 1.0
	v_mul_f32_e32 v73, v72, v71
	s_delay_alu instid0(VALU_DEP_1) | instskip(NEXT) | instid1(VALU_DEP_1)
	v_fma_f32 v74, -v65, v73, v72
	v_fmac_f32_e32 v73, v74, v71
	s_delay_alu instid0(VALU_DEP_1) | instskip(NEXT) | instid1(VALU_DEP_1)
	v_fma_f32 v65, -v65, v73, v72
	v_div_fmas_f32 v65, v65, v71, v73
	s_delay_alu instid0(VALU_DEP_1) | instskip(NEXT) | instid1(VALU_DEP_1)
	v_div_fixup_f32 v64, v65, v64, 1.0
	v_mul_f32_e64 v65, v63, -v64
.LBB54_156:
	s_or_b32 exec_lo, exec_lo, s1
.LBB54_157:
	s_delay_alu instid0(SALU_CYCLE_1) | instskip(NEXT) | instid1(SALU_CYCLE_1)
	s_or_b32 exec_lo, exec_lo, s0
	s_mov_b32 s0, exec_lo
	v_cmpx_ne_u32_e64 v70, v62
	s_xor_b32 s0, exec_lo, s0
	s_cbranch_execz .LBB54_163
; %bb.158:
	s_mov_b32 s1, exec_lo
	v_cmpx_eq_u32_e32 7, v70
	s_cbranch_execz .LBB54_162
; %bb.159:
	v_cmp_ne_u32_e32 vcc_lo, 7, v62
	s_xor_b32 s12, s16, -1
	s_delay_alu instid0(SALU_CYCLE_1) | instskip(NEXT) | instid1(SALU_CYCLE_1)
	s_and_b32 s13, s12, vcc_lo
	s_and_saveexec_b32 s12, s13
	s_cbranch_execz .LBB54_161
; %bb.160:
	v_ashrrev_i32_e32 v63, 31, v62
	s_delay_alu instid0(VALU_DEP_1)
	v_lshl_add_u64 v[70:71], v[62:63], 2, v[4:5]
	s_clause 0x1
	global_load_b32 v63, v[70:71], off
	global_load_b32 v68, v[4:5], off offset:28
	s_wait_loadcnt 0x1
	global_store_b32 v[4:5], v63, off offset:28
	s_wait_loadcnt 0x0
	global_store_b32 v[70:71], v68, off
.LBB54_161:
	s_wait_xcnt 0x0
	s_or_b32 exec_lo, exec_lo, s12
	v_dual_mov_b32 v70, v62 :: v_dual_mov_b32 v68, v62
.LBB54_162:
	s_or_b32 exec_lo, exec_lo, s1
.LBB54_163:
	s_and_not1_saveexec_b32 s0, s0
	s_cbranch_execz .LBB54_165
; %bb.164:
	v_dual_mov_b32 v62, v38 :: v_dual_mov_b32 v63, v39
	v_dual_mov_b32 v70, v34 :: v_dual_mov_b32 v71, v35
	;; [unrolled: 1-line block ×12, first 2 shown]
	ds_store_2addr_b64 v66, v[62:63], v[70:71] offset0:8 offset1:9
	ds_store_2addr_b64 v66, v[72:73], v[74:75] offset0:10 offset1:11
	;; [unrolled: 1-line block ×6, first 2 shown]
	v_dual_mov_b32 v62, v26 :: v_dual_mov_b32 v63, v27
	v_dual_mov_b32 v72, v22 :: v_dual_mov_b32 v73, v23
	v_dual_mov_b32 v70, 7 :: v_dual_mov_b32 v74, v24
	v_dual_mov_b32 v75, v25 :: v_dual_mov_b32 v76, v14
	v_dual_mov_b32 v77, v15 :: v_dual_mov_b32 v78, v20
	v_dual_mov_b32 v79, v21 :: v_dual_mov_b32 v80, v18
	v_dual_mov_b32 v81, v19 :: v_dual_mov_b32 v82, v16
	v_mov_b32_e32 v83, v17
	ds_store_2addr_b64 v66, v[62:63], v[72:73] offset0:20 offset1:21
	ds_store_2addr_b64 v66, v[74:75], v[76:77] offset0:22 offset1:23
	ds_store_2addr_b64 v66, v[78:79], v[80:81] offset0:24 offset1:25
	ds_store_2addr_b64 v66, v[82:83], v[60:61] offset0:26 offset1:27
.LBB54_165:
	s_or_b32 exec_lo, exec_lo, s0
	s_delay_alu instid0(SALU_CYCLE_1)
	s_mov_b32 s0, exec_lo
	s_wait_storecnt_dscnt 0x0
	s_barrier_signal -1
	s_barrier_wait -1
	v_cmpx_lt_i32_e32 7, v70
	s_cbranch_execz .LBB54_167
; %bb.166:
	v_pk_mul_f32 v[72:73], v[64:65], v[6:7] op_sel:[1,1] op_sel_hi:[0,1]
	s_delay_alu instid0(VALU_DEP_1)
	v_pk_fma_f32 v[62:63], v[64:65], v[6:7], v[72:73] op_sel_hi:[1,0,1] neg_lo:[0,0,1] neg_hi:[0,0,1]
	v_pk_fma_f32 v[64:65], v[64:65], v[6:7], v[72:73] op_sel_hi:[1,0,1]
	ds_load_2addr_b64 v[72:75], v66 offset0:8 offset1:9
	v_dual_mov_b32 v6, v62 :: v_dual_mov_b32 v7, v65
	s_wait_dscnt 0x0
	v_pk_mul_f32 v[76:77], v[72:73], v[64:65] op_sel:[0,1]
	s_delay_alu instid0(VALU_DEP_1) | instskip(SKIP_1) | instid1(VALU_DEP_1)
	v_pk_fma_f32 v[78:79], v[72:73], v[62:63], v[76:77] op_sel:[0,0,1] op_sel_hi:[1,1,0] neg_lo:[0,0,1] neg_hi:[0,0,1]
	v_pk_fma_f32 v[72:73], v[72:73], v[62:63], v[76:77] op_sel:[0,0,1] op_sel_hi:[1,0,0]
	v_mov_b32_e32 v79, v73
	v_pk_mul_f32 v[72:73], v[74:75], v[64:65] op_sel:[0,1]
	s_delay_alu instid0(VALU_DEP_1) | instskip(SKIP_1) | instid1(VALU_DEP_1)
	v_pk_fma_f32 v[76:77], v[74:75], v[62:63], v[72:73] op_sel:[0,0,1] op_sel_hi:[1,1,0] neg_lo:[0,0,1] neg_hi:[0,0,1]
	v_pk_fma_f32 v[72:73], v[74:75], v[62:63], v[72:73] op_sel:[0,0,1] op_sel_hi:[1,0,0]
	v_mov_b32_e32 v77, v73
	ds_load_2addr_b64 v[72:75], v66 offset0:10 offset1:11
	v_pk_add_f32 v[38:39], v[38:39], v[78:79] neg_lo:[0,1] neg_hi:[0,1]
	v_pk_add_f32 v[34:35], v[34:35], v[76:77] neg_lo:[0,1] neg_hi:[0,1]
	s_wait_dscnt 0x0
	v_pk_mul_f32 v[76:77], v[72:73], v[64:65] op_sel:[0,1]
	s_delay_alu instid0(VALU_DEP_1) | instskip(SKIP_2) | instid1(VALU_DEP_2)
	v_pk_fma_f32 v[78:79], v[72:73], v[62:63], v[76:77] op_sel:[0,0,1] op_sel_hi:[1,1,0] neg_lo:[0,0,1] neg_hi:[0,0,1]
	v_pk_fma_f32 v[72:73], v[72:73], v[62:63], v[76:77] op_sel:[0,0,1] op_sel_hi:[1,0,0]
	v_dual_mul_f32 v76, v75, v65 :: v_dual_mov_b32 v72, v75
	v_dual_mov_b32 v79, v73 :: v_dual_mov_b32 v73, v74
	s_delay_alu instid0(VALU_DEP_2) | instskip(SKIP_1) | instid1(VALU_DEP_3)
	v_pk_fma_f32 v[76:77], v[74:75], v[6:7], v[76:77] op_sel_hi:[1,1,0] neg_lo:[0,0,1] neg_hi:[0,0,1]
	v_mul_f32_e32 v74, v75, v62
	v_pk_add_f32 v[36:37], v[36:37], v[78:79] neg_lo:[0,1] neg_hi:[0,1]
	s_delay_alu instid0(VALU_DEP_2) | instskip(NEXT) | instid1(VALU_DEP_1)
	v_pk_fma_f32 v[72:73], v[72:73], v[6:7], v[74:75] op_sel_hi:[1,1,0]
	v_mov_b32_e32 v77, v73
	ds_load_2addr_b64 v[72:75], v66 offset0:12 offset1:13
	v_pk_add_f32 v[8:9], v[8:9], v[76:77] neg_lo:[0,1] neg_hi:[0,1]
	s_wait_dscnt 0x0
	v_pk_mul_f32 v[76:77], v[72:73], v[64:65] op_sel:[0,1]
	s_delay_alu instid0(VALU_DEP_1) | instskip(SKIP_1) | instid1(VALU_DEP_1)
	v_pk_fma_f32 v[78:79], v[72:73], v[62:63], v[76:77] op_sel:[0,0,1] op_sel_hi:[1,1,0] neg_lo:[0,0,1] neg_hi:[0,0,1]
	v_pk_fma_f32 v[72:73], v[72:73], v[62:63], v[76:77] op_sel:[0,0,1] op_sel_hi:[1,0,0]
	v_mov_b32_e32 v79, v73
	v_pk_mul_f32 v[72:73], v[74:75], v[64:65] op_sel:[0,1]
	s_delay_alu instid0(VALU_DEP_1) | instskip(SKIP_1) | instid1(VALU_DEP_1)
	v_pk_fma_f32 v[76:77], v[74:75], v[62:63], v[72:73] op_sel:[0,0,1] op_sel_hi:[1,1,0] neg_lo:[0,0,1] neg_hi:[0,0,1]
	v_pk_fma_f32 v[72:73], v[74:75], v[62:63], v[72:73] op_sel:[0,0,1] op_sel_hi:[1,0,0]
	v_mov_b32_e32 v77, v73
	ds_load_2addr_b64 v[72:75], v66 offset0:14 offset1:15
	v_pk_add_f32 v[44:45], v[44:45], v[78:79] neg_lo:[0,1] neg_hi:[0,1]
	v_pk_add_f32 v[40:41], v[40:41], v[76:77] neg_lo:[0,1] neg_hi:[0,1]
	s_wait_dscnt 0x0
	v_pk_mul_f32 v[76:77], v[72:73], v[64:65] op_sel:[0,1]
	s_delay_alu instid0(VALU_DEP_1) | instskip(SKIP_1) | instid1(VALU_DEP_1)
	v_pk_fma_f32 v[78:79], v[72:73], v[62:63], v[76:77] op_sel:[0,0,1] op_sel_hi:[1,1,0] neg_lo:[0,0,1] neg_hi:[0,0,1]
	v_pk_fma_f32 v[72:73], v[72:73], v[62:63], v[76:77] op_sel:[0,0,1] op_sel_hi:[1,0,0]
	v_mov_b32_e32 v79, v73
	v_pk_mul_f32 v[72:73], v[74:75], v[64:65] op_sel:[0,1]
	s_delay_alu instid0(VALU_DEP_1) | instskip(SKIP_1) | instid1(VALU_DEP_1)
	v_pk_fma_f32 v[76:77], v[74:75], v[62:63], v[72:73] op_sel:[0,0,1] op_sel_hi:[1,1,0] neg_lo:[0,0,1] neg_hi:[0,0,1]
	v_pk_fma_f32 v[72:73], v[74:75], v[62:63], v[72:73] op_sel:[0,0,1] op_sel_hi:[1,0,0]
	v_mov_b32_e32 v77, v73
	ds_load_2addr_b64 v[72:75], v66 offset0:16 offset1:17
	v_pk_add_f32 v[42:43], v[42:43], v[78:79] neg_lo:[0,1] neg_hi:[0,1]
	v_pk_add_f32 v[10:11], v[10:11], v[76:77] neg_lo:[0,1] neg_hi:[0,1]
	s_wait_dscnt 0x0
	v_dual_mul_f32 v76, v73, v65 :: v_dual_mul_f32 v78, v73, v62
	s_delay_alu instid0(VALU_DEP_1) | instskip(NEXT) | instid1(VALU_DEP_2)
	v_pk_fma_f32 v[76:77], v[72:73], v[6:7], v[76:77] op_sel_hi:[1,1,0] neg_lo:[0,0,1] neg_hi:[0,0,1]
	v_pk_fma_f32 v[72:73], v[72:73], v[6:7], v[78:79] op_sel:[1,0,0] op_sel_hi:[0,1,0]
	s_delay_alu instid0(VALU_DEP_1) | instskip(SKIP_1) | instid1(VALU_DEP_2)
	v_mov_b32_e32 v77, v73
	v_pk_mul_f32 v[72:73], v[74:75], v[64:65] op_sel:[0,1]
	v_pk_add_f32 v[50:51], v[50:51], v[76:77] neg_lo:[0,1] neg_hi:[0,1]
	s_delay_alu instid0(VALU_DEP_2) | instskip(SKIP_1) | instid1(VALU_DEP_1)
	v_pk_fma_f32 v[76:77], v[74:75], v[62:63], v[72:73] op_sel:[0,0,1] op_sel_hi:[1,1,0] neg_lo:[0,0,1] neg_hi:[0,0,1]
	v_pk_fma_f32 v[72:73], v[74:75], v[62:63], v[72:73] op_sel:[0,0,1] op_sel_hi:[1,0,0]
	v_mov_b32_e32 v77, v73
	ds_load_2addr_b64 v[72:75], v66 offset0:18 offset1:19
	v_pk_add_f32 v[46:47], v[46:47], v[76:77] neg_lo:[0,1] neg_hi:[0,1]
	s_wait_dscnt 0x0
	v_pk_mul_f32 v[76:77], v[72:73], v[64:65] op_sel:[0,1]
	s_delay_alu instid0(VALU_DEP_1) | instskip(SKIP_1) | instid1(VALU_DEP_1)
	v_pk_fma_f32 v[78:79], v[72:73], v[62:63], v[76:77] op_sel:[0,0,1] op_sel_hi:[1,1,0] neg_lo:[0,0,1] neg_hi:[0,0,1]
	v_pk_fma_f32 v[72:73], v[72:73], v[62:63], v[76:77] op_sel:[0,0,1] op_sel_hi:[1,0,0]
	v_mov_b32_e32 v79, v73
	v_pk_mul_f32 v[72:73], v[74:75], v[64:65] op_sel:[0,1]
	s_delay_alu instid0(VALU_DEP_2) | instskip(NEXT) | instid1(VALU_DEP_2)
	v_pk_add_f32 v[48:49], v[48:49], v[78:79] neg_lo:[0,1] neg_hi:[0,1]
	v_pk_fma_f32 v[76:77], v[74:75], v[62:63], v[72:73] op_sel:[0,0,1] op_sel_hi:[1,1,0] neg_lo:[0,0,1] neg_hi:[0,0,1]
	v_pk_fma_f32 v[72:73], v[74:75], v[62:63], v[72:73] op_sel:[0,0,1] op_sel_hi:[1,0,0]
	s_delay_alu instid0(VALU_DEP_1) | instskip(SKIP_4) | instid1(VALU_DEP_1)
	v_mov_b32_e32 v77, v73
	ds_load_2addr_b64 v[72:75], v66 offset0:20 offset1:21
	v_pk_add_f32 v[12:13], v[12:13], v[76:77] neg_lo:[0,1] neg_hi:[0,1]
	s_wait_dscnt 0x0
	v_pk_mul_f32 v[76:77], v[72:73], v[64:65] op_sel:[0,1]
	v_pk_fma_f32 v[78:79], v[72:73], v[62:63], v[76:77] op_sel:[0,0,1] op_sel_hi:[1,1,0] neg_lo:[0,0,1] neg_hi:[0,0,1]
	v_pk_fma_f32 v[72:73], v[72:73], v[62:63], v[76:77] op_sel:[0,0,1] op_sel_hi:[1,0,0]
	v_dual_mul_f32 v76, v75, v65 :: v_dual_mov_b32 v72, v75
	s_delay_alu instid0(VALU_DEP_2) | instskip(NEXT) | instid1(VALU_DEP_2)
	v_dual_mov_b32 v79, v73 :: v_dual_mov_b32 v73, v74
	v_pk_fma_f32 v[76:77], v[74:75], v[6:7], v[76:77] op_sel_hi:[1,1,0] neg_lo:[0,0,1] neg_hi:[0,0,1]
	v_mul_f32_e32 v74, v75, v62
	s_delay_alu instid0(VALU_DEP_3) | instskip(NEXT) | instid1(VALU_DEP_2)
	v_pk_add_f32 v[26:27], v[26:27], v[78:79] neg_lo:[0,1] neg_hi:[0,1]
	v_pk_fma_f32 v[72:73], v[72:73], v[6:7], v[74:75] op_sel_hi:[1,1,0]
	s_delay_alu instid0(VALU_DEP_1) | instskip(SKIP_4) | instid1(VALU_DEP_1)
	v_mov_b32_e32 v77, v73
	ds_load_2addr_b64 v[72:75], v66 offset0:22 offset1:23
	v_pk_add_f32 v[22:23], v[22:23], v[76:77] neg_lo:[0,1] neg_hi:[0,1]
	s_wait_dscnt 0x0
	v_pk_mul_f32 v[76:77], v[72:73], v[64:65] op_sel:[0,1]
	v_pk_fma_f32 v[78:79], v[72:73], v[62:63], v[76:77] op_sel:[0,0,1] op_sel_hi:[1,1,0] neg_lo:[0,0,1] neg_hi:[0,0,1]
	v_pk_fma_f32 v[72:73], v[72:73], v[62:63], v[76:77] op_sel:[0,0,1] op_sel_hi:[1,0,0]
	s_delay_alu instid0(VALU_DEP_1) | instskip(SKIP_1) | instid1(VALU_DEP_1)
	v_mov_b32_e32 v79, v73
	v_pk_mul_f32 v[72:73], v[74:75], v[64:65] op_sel:[0,1]
	v_pk_fma_f32 v[76:77], v[74:75], v[62:63], v[72:73] op_sel:[0,0,1] op_sel_hi:[1,1,0] neg_lo:[0,0,1] neg_hi:[0,0,1]
	v_pk_fma_f32 v[72:73], v[74:75], v[62:63], v[72:73] op_sel:[0,0,1] op_sel_hi:[1,0,0]
	s_delay_alu instid0(VALU_DEP_1)
	v_mov_b32_e32 v77, v73
	ds_load_2addr_b64 v[72:75], v66 offset0:24 offset1:25
	v_pk_add_f32 v[24:25], v[24:25], v[78:79] neg_lo:[0,1] neg_hi:[0,1]
	v_pk_add_f32 v[14:15], v[14:15], v[76:77] neg_lo:[0,1] neg_hi:[0,1]
	s_wait_dscnt 0x0
	v_pk_mul_f32 v[76:77], v[72:73], v[64:65] op_sel:[0,1]
	s_delay_alu instid0(VALU_DEP_1) | instskip(SKIP_1) | instid1(VALU_DEP_1)
	v_pk_fma_f32 v[78:79], v[72:73], v[62:63], v[76:77] op_sel:[0,0,1] op_sel_hi:[1,1,0] neg_lo:[0,0,1] neg_hi:[0,0,1]
	v_pk_fma_f32 v[72:73], v[72:73], v[62:63], v[76:77] op_sel:[0,0,1] op_sel_hi:[1,0,0]
	v_mov_b32_e32 v79, v73
	v_pk_mul_f32 v[72:73], v[74:75], v[64:65] op_sel:[0,1]
	s_delay_alu instid0(VALU_DEP_1) | instskip(SKIP_1) | instid1(VALU_DEP_1)
	v_pk_fma_f32 v[76:77], v[74:75], v[62:63], v[72:73] op_sel:[0,0,1] op_sel_hi:[1,1,0] neg_lo:[0,0,1] neg_hi:[0,0,1]
	v_pk_fma_f32 v[72:73], v[74:75], v[62:63], v[72:73] op_sel:[0,0,1] op_sel_hi:[1,0,0]
	v_mov_b32_e32 v77, v73
	ds_load_2addr_b64 v[72:75], v66 offset0:26 offset1:27
	v_pk_add_f32 v[20:21], v[20:21], v[78:79] neg_lo:[0,1] neg_hi:[0,1]
	v_pk_add_f32 v[18:19], v[18:19], v[76:77] neg_lo:[0,1] neg_hi:[0,1]
	s_wait_dscnt 0x0
	v_dual_mul_f32 v76, v73, v65 :: v_dual_mul_f32 v78, v73, v62
	v_pk_mul_f32 v[64:65], v[74:75], v[64:65] op_sel:[0,1]
	s_delay_alu instid0(VALU_DEP_2) | instskip(NEXT) | instid1(VALU_DEP_3)
	v_pk_fma_f32 v[76:77], v[72:73], v[6:7], v[76:77] op_sel_hi:[1,1,0] neg_lo:[0,0,1] neg_hi:[0,0,1]
	v_pk_fma_f32 v[72:73], v[72:73], v[6:7], v[78:79] op_sel:[1,0,0] op_sel_hi:[0,1,0]
	s_delay_alu instid0(VALU_DEP_1) | instskip(NEXT) | instid1(VALU_DEP_4)
	v_mov_b32_e32 v77, v73
	v_pk_fma_f32 v[72:73], v[74:75], v[62:63], v[64:65] op_sel:[0,0,1] op_sel_hi:[1,1,0] neg_lo:[0,0,1] neg_hi:[0,0,1]
	v_pk_fma_f32 v[62:63], v[74:75], v[62:63], v[64:65] op_sel:[0,0,1] op_sel_hi:[1,0,0]
	s_delay_alu instid0(VALU_DEP_1) | instskip(NEXT) | instid1(VALU_DEP_4)
	v_mov_b32_e32 v73, v63
	v_pk_add_f32 v[16:17], v[16:17], v[76:77] neg_lo:[0,1] neg_hi:[0,1]
	s_delay_alu instid0(VALU_DEP_2)
	v_pk_add_f32 v[60:61], v[60:61], v[72:73] neg_lo:[0,1] neg_hi:[0,1]
.LBB54_167:
	s_or_b32 exec_lo, exec_lo, s0
	v_lshl_add_u32 v62, v70, 3, v66
	s_barrier_signal -1
	s_barrier_wait -1
	ds_store_b64 v62, v[38:39]
	s_wait_dscnt 0x0
	s_barrier_signal -1
	s_barrier_wait -1
	ds_load_b64 v[64:65], v66 offset:64
	v_mov_b32_e32 v62, 8
	s_cmp_lt_i32 s18, 10
	s_cbranch_scc1 .LBB54_170
; %bb.168:
	v_add3_u32 v63, v67, 0, 0x48
	v_mov_b32_e32 v62, 8
	s_mov_b32 s0, 9
.LBB54_169:                             ; =>This Inner Loop Header: Depth=1
	ds_load_b64 v[72:73], v63
	s_wait_dscnt 0x1
	v_cmp_gt_f32_e32 vcc_lo, 0, v64
	v_cndmask_b32_e64 v74, v64, -v64, vcc_lo
	v_cmp_gt_f32_e32 vcc_lo, 0, v65
	v_cndmask_b32_e64 v76, v65, -v65, vcc_lo
	s_wait_dscnt 0x0
	v_cmp_gt_f32_e32 vcc_lo, 0, v72
	v_cndmask_b32_e64 v75, v72, -v72, vcc_lo
	v_cmp_gt_f32_e32 vcc_lo, 0, v73
	v_cndmask_b32_e64 v77, v73, -v73, vcc_lo
	s_delay_alu instid0(VALU_DEP_1) | instskip(NEXT) | instid1(VALU_DEP_1)
	v_pk_add_f32 v[74:75], v[74:75], v[76:77]
	v_cmp_lt_f32_e32 vcc_lo, v74, v75
	v_dual_add_nc_u32 v63, 8, v63 :: v_dual_cndmask_b32 v65, v65, v73, vcc_lo
	v_cndmask_b32_e32 v64, v64, v72, vcc_lo
	v_cndmask_b32_e64 v62, v62, s0, vcc_lo
	s_add_co_i32 s0, s0, 1
	s_delay_alu instid0(SALU_CYCLE_1)
	s_cmp_lg_u32 s18, s0
	s_cbranch_scc1 .LBB54_169
.LBB54_170:
	s_wait_dscnt 0x0
	v_cmp_eq_f32_e32 vcc_lo, 0, v64
	v_cmp_eq_f32_e64 s0, 0, v65
	s_and_b32 s0, vcc_lo, s0
	s_delay_alu instid0(SALU_CYCLE_1) | instskip(NEXT) | instid1(SALU_CYCLE_1)
	s_and_saveexec_b32 s1, s0
	s_xor_b32 s0, exec_lo, s1
; %bb.171:
	v_cmp_ne_u32_e32 vcc_lo, 0, v69
	v_cndmask_b32_e32 v69, 9, v69, vcc_lo
; %bb.172:
	s_and_not1_saveexec_b32 s0, s0
	s_cbranch_execz .LBB54_178
; %bb.173:
	v_cmp_ngt_f32_e64 s1, |v64|, |v65|
	s_and_saveexec_b32 s12, s1
	s_delay_alu instid0(SALU_CYCLE_1)
	s_xor_b32 s1, exec_lo, s12
	s_cbranch_execz .LBB54_175
; %bb.174:
	v_div_scale_f32 v63, null, v65, v65, v64
	v_div_scale_f32 v73, vcc_lo, v64, v65, v64
	s_delay_alu instid0(VALU_DEP_2) | instskip(SKIP_1) | instid1(TRANS32_DEP_1)
	v_rcp_f32_e32 v71, v63
	v_nop
	v_fma_f32 v72, -v63, v71, 1.0
	s_delay_alu instid0(VALU_DEP_1) | instskip(NEXT) | instid1(VALU_DEP_1)
	v_fmac_f32_e32 v71, v72, v71
	v_mul_f32_e32 v72, v73, v71
	s_delay_alu instid0(VALU_DEP_1) | instskip(NEXT) | instid1(VALU_DEP_1)
	v_fma_f32 v74, -v63, v72, v73
	v_fmac_f32_e32 v72, v74, v71
	s_delay_alu instid0(VALU_DEP_1) | instskip(NEXT) | instid1(VALU_DEP_1)
	v_fma_f32 v63, -v63, v72, v73
	v_div_fmas_f32 v63, v63, v71, v72
	s_delay_alu instid0(VALU_DEP_1) | instskip(NEXT) | instid1(VALU_DEP_1)
	v_div_fixup_f32 v63, v63, v65, v64
	v_fmac_f32_e32 v65, v64, v63
	s_delay_alu instid0(VALU_DEP_1) | instskip(SKIP_1) | instid1(VALU_DEP_2)
	v_div_scale_f32 v64, null, v65, v65, 1.0
	v_div_scale_f32 v73, vcc_lo, 1.0, v65, 1.0
	v_rcp_f32_e32 v71, v64
	v_nop
	s_delay_alu instid0(TRANS32_DEP_1) | instskip(NEXT) | instid1(VALU_DEP_1)
	v_fma_f32 v72, -v64, v71, 1.0
	v_fmac_f32_e32 v71, v72, v71
	s_delay_alu instid0(VALU_DEP_1) | instskip(NEXT) | instid1(VALU_DEP_1)
	v_mul_f32_e32 v72, v73, v71
	v_fma_f32 v74, -v64, v72, v73
	s_delay_alu instid0(VALU_DEP_1) | instskip(NEXT) | instid1(VALU_DEP_1)
	v_fmac_f32_e32 v72, v74, v71
	v_fma_f32 v64, -v64, v72, v73
	s_delay_alu instid0(VALU_DEP_1) | instskip(NEXT) | instid1(VALU_DEP_1)
	v_div_fmas_f32 v64, v64, v71, v72
	v_div_fixup_f32 v65, v64, v65, 1.0
	s_delay_alu instid0(VALU_DEP_1)
	v_mul_f32_e32 v64, v63, v65
	v_xor_b32_e32 v65, 0x80000000, v65
.LBB54_175:
	s_and_not1_saveexec_b32 s1, s1
	s_cbranch_execz .LBB54_177
; %bb.176:
	s_delay_alu instid0(VALU_DEP_1) | instskip(SKIP_1) | instid1(VALU_DEP_2)
	v_div_scale_f32 v63, null, v64, v64, v65
	v_div_scale_f32 v73, vcc_lo, v65, v64, v65
	v_rcp_f32_e32 v71, v63
	v_nop
	s_delay_alu instid0(TRANS32_DEP_1) | instskip(NEXT) | instid1(VALU_DEP_1)
	v_fma_f32 v72, -v63, v71, 1.0
	v_fmac_f32_e32 v71, v72, v71
	s_delay_alu instid0(VALU_DEP_1) | instskip(NEXT) | instid1(VALU_DEP_1)
	v_mul_f32_e32 v72, v73, v71
	v_fma_f32 v74, -v63, v72, v73
	s_delay_alu instid0(VALU_DEP_1) | instskip(NEXT) | instid1(VALU_DEP_1)
	v_fmac_f32_e32 v72, v74, v71
	v_fma_f32 v63, -v63, v72, v73
	s_delay_alu instid0(VALU_DEP_1) | instskip(NEXT) | instid1(VALU_DEP_1)
	v_div_fmas_f32 v63, v63, v71, v72
	v_div_fixup_f32 v63, v63, v64, v65
	s_delay_alu instid0(VALU_DEP_1) | instskip(NEXT) | instid1(VALU_DEP_1)
	v_fmac_f32_e32 v64, v65, v63
	v_div_scale_f32 v65, null, v64, v64, 1.0
	s_delay_alu instid0(VALU_DEP_1) | instskip(SKIP_1) | instid1(TRANS32_DEP_1)
	v_rcp_f32_e32 v71, v65
	v_nop
	v_fma_f32 v72, -v65, v71, 1.0
	s_delay_alu instid0(VALU_DEP_1) | instskip(SKIP_1) | instid1(VALU_DEP_1)
	v_fmac_f32_e32 v71, v72, v71
	v_div_scale_f32 v72, vcc_lo, 1.0, v64, 1.0
	v_mul_f32_e32 v73, v72, v71
	s_delay_alu instid0(VALU_DEP_1) | instskip(NEXT) | instid1(VALU_DEP_1)
	v_fma_f32 v74, -v65, v73, v72
	v_fmac_f32_e32 v73, v74, v71
	s_delay_alu instid0(VALU_DEP_1) | instskip(NEXT) | instid1(VALU_DEP_1)
	v_fma_f32 v65, -v65, v73, v72
	v_div_fmas_f32 v65, v65, v71, v73
	s_delay_alu instid0(VALU_DEP_1) | instskip(NEXT) | instid1(VALU_DEP_1)
	v_div_fixup_f32 v64, v65, v64, 1.0
	v_mul_f32_e64 v65, v63, -v64
.LBB54_177:
	s_or_b32 exec_lo, exec_lo, s1
.LBB54_178:
	s_delay_alu instid0(SALU_CYCLE_1) | instskip(NEXT) | instid1(SALU_CYCLE_1)
	s_or_b32 exec_lo, exec_lo, s0
	s_mov_b32 s0, exec_lo
	v_cmpx_ne_u32_e64 v70, v62
	s_xor_b32 s0, exec_lo, s0
	s_cbranch_execz .LBB54_184
; %bb.179:
	s_mov_b32 s1, exec_lo
	v_cmpx_eq_u32_e32 8, v70
	s_cbranch_execz .LBB54_183
; %bb.180:
	v_cmp_ne_u32_e32 vcc_lo, 8, v62
	s_xor_b32 s12, s16, -1
	s_delay_alu instid0(SALU_CYCLE_1) | instskip(NEXT) | instid1(SALU_CYCLE_1)
	s_and_b32 s13, s12, vcc_lo
	s_and_saveexec_b32 s12, s13
	s_cbranch_execz .LBB54_182
; %bb.181:
	v_ashrrev_i32_e32 v63, 31, v62
	s_delay_alu instid0(VALU_DEP_1)
	v_lshl_add_u64 v[70:71], v[62:63], 2, v[4:5]
	s_clause 0x1
	global_load_b32 v63, v[70:71], off
	global_load_b32 v68, v[4:5], off offset:32
	s_wait_loadcnt 0x1
	global_store_b32 v[4:5], v63, off offset:32
	s_wait_loadcnt 0x0
	global_store_b32 v[70:71], v68, off
.LBB54_182:
	s_wait_xcnt 0x0
	s_or_b32 exec_lo, exec_lo, s12
	v_dual_mov_b32 v70, v62 :: v_dual_mov_b32 v68, v62
.LBB54_183:
	s_or_b32 exec_lo, exec_lo, s1
.LBB54_184:
	s_and_not1_saveexec_b32 s0, s0
	s_cbranch_execz .LBB54_186
; %bb.185:
	v_mov_b32_e32 v70, 8
	ds_store_2addr_b64 v66, v[34:35], v[36:37] offset0:9 offset1:10
	ds_store_2addr_b64 v66, v[8:9], v[44:45] offset0:11 offset1:12
	;; [unrolled: 1-line block ×9, first 2 shown]
	ds_store_b64 v66, v[60:61] offset:216
.LBB54_186:
	s_or_b32 exec_lo, exec_lo, s0
	s_delay_alu instid0(SALU_CYCLE_1)
	s_mov_b32 s0, exec_lo
	s_wait_storecnt_dscnt 0x0
	s_barrier_signal -1
	s_barrier_wait -1
	v_cmpx_lt_i32_e32 8, v70
	s_cbranch_execz .LBB54_188
; %bb.187:
	v_pk_mul_f32 v[72:73], v[64:65], v[38:39] op_sel:[1,1] op_sel_hi:[0,1]
	s_delay_alu instid0(VALU_DEP_1)
	v_pk_fma_f32 v[62:63], v[64:65], v[38:39], v[72:73] op_sel_hi:[1,0,1] neg_lo:[0,0,1] neg_hi:[0,0,1]
	v_pk_fma_f32 v[64:65], v[64:65], v[38:39], v[72:73] op_sel_hi:[1,0,1]
	ds_load_2addr_b64 v[72:75], v66 offset0:9 offset1:10
	v_dual_mov_b32 v38, v62 :: v_dual_mov_b32 v39, v65
	s_wait_dscnt 0x0
	v_pk_mul_f32 v[76:77], v[72:73], v[64:65] op_sel:[0,1]
	s_delay_alu instid0(VALU_DEP_1) | instskip(SKIP_1) | instid1(VALU_DEP_1)
	v_pk_fma_f32 v[78:79], v[72:73], v[62:63], v[76:77] op_sel:[0,0,1] op_sel_hi:[1,1,0] neg_lo:[0,0,1] neg_hi:[0,0,1]
	v_pk_fma_f32 v[72:73], v[72:73], v[62:63], v[76:77] op_sel:[0,0,1] op_sel_hi:[1,0,0]
	v_mov_b32_e32 v79, v73
	v_pk_mul_f32 v[72:73], v[74:75], v[64:65] op_sel:[0,1]
	s_delay_alu instid0(VALU_DEP_1) | instskip(SKIP_1) | instid1(VALU_DEP_1)
	v_pk_fma_f32 v[76:77], v[74:75], v[62:63], v[72:73] op_sel:[0,0,1] op_sel_hi:[1,1,0] neg_lo:[0,0,1] neg_hi:[0,0,1]
	v_pk_fma_f32 v[72:73], v[74:75], v[62:63], v[72:73] op_sel:[0,0,1] op_sel_hi:[1,0,0]
	v_mov_b32_e32 v77, v73
	ds_load_2addr_b64 v[72:75], v66 offset0:11 offset1:12
	v_pk_add_f32 v[34:35], v[34:35], v[78:79] neg_lo:[0,1] neg_hi:[0,1]
	v_pk_add_f32 v[36:37], v[36:37], v[76:77] neg_lo:[0,1] neg_hi:[0,1]
	s_wait_dscnt 0x0
	v_pk_mul_f32 v[76:77], v[72:73], v[64:65] op_sel:[0,1]
	s_delay_alu instid0(VALU_DEP_1) | instskip(SKIP_2) | instid1(VALU_DEP_2)
	v_pk_fma_f32 v[78:79], v[72:73], v[62:63], v[76:77] op_sel:[0,0,1] op_sel_hi:[1,1,0] neg_lo:[0,0,1] neg_hi:[0,0,1]
	v_pk_fma_f32 v[72:73], v[72:73], v[62:63], v[76:77] op_sel:[0,0,1] op_sel_hi:[1,0,0]
	v_dual_mul_f32 v76, v75, v65 :: v_dual_mov_b32 v72, v75
	v_dual_mov_b32 v79, v73 :: v_dual_mov_b32 v73, v74
	s_delay_alu instid0(VALU_DEP_2) | instskip(SKIP_1) | instid1(VALU_DEP_3)
	v_pk_fma_f32 v[76:77], v[74:75], v[38:39], v[76:77] op_sel_hi:[1,1,0] neg_lo:[0,0,1] neg_hi:[0,0,1]
	v_mul_f32_e32 v74, v75, v62
	v_pk_add_f32 v[8:9], v[8:9], v[78:79] neg_lo:[0,1] neg_hi:[0,1]
	s_delay_alu instid0(VALU_DEP_2) | instskip(NEXT) | instid1(VALU_DEP_1)
	v_pk_fma_f32 v[72:73], v[72:73], v[38:39], v[74:75] op_sel_hi:[1,1,0]
	v_mov_b32_e32 v77, v73
	ds_load_2addr_b64 v[72:75], v66 offset0:13 offset1:14
	v_pk_add_f32 v[44:45], v[44:45], v[76:77] neg_lo:[0,1] neg_hi:[0,1]
	s_wait_dscnt 0x0
	v_pk_mul_f32 v[76:77], v[72:73], v[64:65] op_sel:[0,1]
	s_delay_alu instid0(VALU_DEP_1) | instskip(SKIP_1) | instid1(VALU_DEP_1)
	v_pk_fma_f32 v[78:79], v[72:73], v[62:63], v[76:77] op_sel:[0,0,1] op_sel_hi:[1,1,0] neg_lo:[0,0,1] neg_hi:[0,0,1]
	v_pk_fma_f32 v[72:73], v[72:73], v[62:63], v[76:77] op_sel:[0,0,1] op_sel_hi:[1,0,0]
	v_mov_b32_e32 v79, v73
	v_pk_mul_f32 v[72:73], v[74:75], v[64:65] op_sel:[0,1]
	s_delay_alu instid0(VALU_DEP_1) | instskip(SKIP_1) | instid1(VALU_DEP_1)
	v_pk_fma_f32 v[76:77], v[74:75], v[62:63], v[72:73] op_sel:[0,0,1] op_sel_hi:[1,1,0] neg_lo:[0,0,1] neg_hi:[0,0,1]
	v_pk_fma_f32 v[72:73], v[74:75], v[62:63], v[72:73] op_sel:[0,0,1] op_sel_hi:[1,0,0]
	v_mov_b32_e32 v77, v73
	ds_load_2addr_b64 v[72:75], v66 offset0:15 offset1:16
	v_pk_add_f32 v[40:41], v[40:41], v[78:79] neg_lo:[0,1] neg_hi:[0,1]
	v_pk_add_f32 v[42:43], v[42:43], v[76:77] neg_lo:[0,1] neg_hi:[0,1]
	s_wait_dscnt 0x0
	v_pk_mul_f32 v[76:77], v[72:73], v[64:65] op_sel:[0,1]
	s_delay_alu instid0(VALU_DEP_1) | instskip(SKIP_1) | instid1(VALU_DEP_1)
	v_pk_fma_f32 v[78:79], v[72:73], v[62:63], v[76:77] op_sel:[0,0,1] op_sel_hi:[1,1,0] neg_lo:[0,0,1] neg_hi:[0,0,1]
	v_pk_fma_f32 v[72:73], v[72:73], v[62:63], v[76:77] op_sel:[0,0,1] op_sel_hi:[1,0,0]
	v_mov_b32_e32 v79, v73
	v_pk_mul_f32 v[72:73], v[74:75], v[64:65] op_sel:[0,1]
	s_delay_alu instid0(VALU_DEP_1) | instskip(SKIP_1) | instid1(VALU_DEP_1)
	v_pk_fma_f32 v[76:77], v[74:75], v[62:63], v[72:73] op_sel:[0,0,1] op_sel_hi:[1,1,0] neg_lo:[0,0,1] neg_hi:[0,0,1]
	v_pk_fma_f32 v[72:73], v[74:75], v[62:63], v[72:73] op_sel:[0,0,1] op_sel_hi:[1,0,0]
	v_mov_b32_e32 v77, v73
	ds_load_2addr_b64 v[72:75], v66 offset0:17 offset1:18
	v_pk_add_f32 v[10:11], v[10:11], v[78:79] neg_lo:[0,1] neg_hi:[0,1]
	v_pk_add_f32 v[50:51], v[50:51], v[76:77] neg_lo:[0,1] neg_hi:[0,1]
	s_wait_dscnt 0x0
	v_dual_mul_f32 v76, v73, v65 :: v_dual_mul_f32 v78, v73, v62
	s_delay_alu instid0(VALU_DEP_1) | instskip(NEXT) | instid1(VALU_DEP_2)
	v_pk_fma_f32 v[76:77], v[72:73], v[38:39], v[76:77] op_sel_hi:[1,1,0] neg_lo:[0,0,1] neg_hi:[0,0,1]
	v_pk_fma_f32 v[72:73], v[72:73], v[38:39], v[78:79] op_sel:[1,0,0] op_sel_hi:[0,1,0]
	s_delay_alu instid0(VALU_DEP_1) | instskip(SKIP_1) | instid1(VALU_DEP_2)
	v_mov_b32_e32 v77, v73
	v_pk_mul_f32 v[72:73], v[74:75], v[64:65] op_sel:[0,1]
	v_pk_add_f32 v[46:47], v[46:47], v[76:77] neg_lo:[0,1] neg_hi:[0,1]
	s_delay_alu instid0(VALU_DEP_2) | instskip(SKIP_1) | instid1(VALU_DEP_1)
	v_pk_fma_f32 v[76:77], v[74:75], v[62:63], v[72:73] op_sel:[0,0,1] op_sel_hi:[1,1,0] neg_lo:[0,0,1] neg_hi:[0,0,1]
	v_pk_fma_f32 v[72:73], v[74:75], v[62:63], v[72:73] op_sel:[0,0,1] op_sel_hi:[1,0,0]
	v_mov_b32_e32 v77, v73
	ds_load_2addr_b64 v[72:75], v66 offset0:19 offset1:20
	v_pk_add_f32 v[48:49], v[48:49], v[76:77] neg_lo:[0,1] neg_hi:[0,1]
	s_wait_dscnt 0x0
	v_pk_mul_f32 v[76:77], v[72:73], v[64:65] op_sel:[0,1]
	s_delay_alu instid0(VALU_DEP_1) | instskip(SKIP_1) | instid1(VALU_DEP_1)
	v_pk_fma_f32 v[78:79], v[72:73], v[62:63], v[76:77] op_sel:[0,0,1] op_sel_hi:[1,1,0] neg_lo:[0,0,1] neg_hi:[0,0,1]
	v_pk_fma_f32 v[72:73], v[72:73], v[62:63], v[76:77] op_sel:[0,0,1] op_sel_hi:[1,0,0]
	v_mov_b32_e32 v79, v73
	v_pk_mul_f32 v[72:73], v[74:75], v[64:65] op_sel:[0,1]
	s_delay_alu instid0(VALU_DEP_2) | instskip(NEXT) | instid1(VALU_DEP_2)
	v_pk_add_f32 v[12:13], v[12:13], v[78:79] neg_lo:[0,1] neg_hi:[0,1]
	v_pk_fma_f32 v[76:77], v[74:75], v[62:63], v[72:73] op_sel:[0,0,1] op_sel_hi:[1,1,0] neg_lo:[0,0,1] neg_hi:[0,0,1]
	v_pk_fma_f32 v[72:73], v[74:75], v[62:63], v[72:73] op_sel:[0,0,1] op_sel_hi:[1,0,0]
	s_delay_alu instid0(VALU_DEP_1) | instskip(SKIP_4) | instid1(VALU_DEP_1)
	v_mov_b32_e32 v77, v73
	ds_load_2addr_b64 v[72:75], v66 offset0:21 offset1:22
	v_pk_add_f32 v[26:27], v[26:27], v[76:77] neg_lo:[0,1] neg_hi:[0,1]
	s_wait_dscnt 0x0
	v_pk_mul_f32 v[76:77], v[72:73], v[64:65] op_sel:[0,1]
	v_pk_fma_f32 v[78:79], v[72:73], v[62:63], v[76:77] op_sel:[0,0,1] op_sel_hi:[1,1,0] neg_lo:[0,0,1] neg_hi:[0,0,1]
	v_pk_fma_f32 v[72:73], v[72:73], v[62:63], v[76:77] op_sel:[0,0,1] op_sel_hi:[1,0,0]
	v_dual_mul_f32 v76, v75, v65 :: v_dual_mov_b32 v72, v75
	s_delay_alu instid0(VALU_DEP_2) | instskip(NEXT) | instid1(VALU_DEP_2)
	v_dual_mov_b32 v79, v73 :: v_dual_mov_b32 v73, v74
	v_pk_fma_f32 v[76:77], v[74:75], v[38:39], v[76:77] op_sel_hi:[1,1,0] neg_lo:[0,0,1] neg_hi:[0,0,1]
	v_mul_f32_e32 v74, v75, v62
	s_delay_alu instid0(VALU_DEP_3) | instskip(NEXT) | instid1(VALU_DEP_2)
	v_pk_add_f32 v[22:23], v[22:23], v[78:79] neg_lo:[0,1] neg_hi:[0,1]
	v_pk_fma_f32 v[72:73], v[72:73], v[38:39], v[74:75] op_sel_hi:[1,1,0]
	s_delay_alu instid0(VALU_DEP_1) | instskip(SKIP_4) | instid1(VALU_DEP_1)
	v_mov_b32_e32 v77, v73
	ds_load_2addr_b64 v[72:75], v66 offset0:23 offset1:24
	v_pk_add_f32 v[24:25], v[24:25], v[76:77] neg_lo:[0,1] neg_hi:[0,1]
	s_wait_dscnt 0x0
	v_pk_mul_f32 v[76:77], v[72:73], v[64:65] op_sel:[0,1]
	v_pk_fma_f32 v[78:79], v[72:73], v[62:63], v[76:77] op_sel:[0,0,1] op_sel_hi:[1,1,0] neg_lo:[0,0,1] neg_hi:[0,0,1]
	v_pk_fma_f32 v[72:73], v[72:73], v[62:63], v[76:77] op_sel:[0,0,1] op_sel_hi:[1,0,0]
	s_delay_alu instid0(VALU_DEP_1) | instskip(SKIP_1) | instid1(VALU_DEP_1)
	v_mov_b32_e32 v79, v73
	v_pk_mul_f32 v[72:73], v[74:75], v[64:65] op_sel:[0,1]
	v_pk_fma_f32 v[76:77], v[74:75], v[62:63], v[72:73] op_sel:[0,0,1] op_sel_hi:[1,1,0] neg_lo:[0,0,1] neg_hi:[0,0,1]
	v_pk_fma_f32 v[72:73], v[74:75], v[62:63], v[72:73] op_sel:[0,0,1] op_sel_hi:[1,0,0]
	s_delay_alu instid0(VALU_DEP_1)
	v_mov_b32_e32 v77, v73
	ds_load_2addr_b64 v[72:75], v66 offset0:25 offset1:26
	v_pk_add_f32 v[14:15], v[14:15], v[78:79] neg_lo:[0,1] neg_hi:[0,1]
	v_pk_add_f32 v[20:21], v[20:21], v[76:77] neg_lo:[0,1] neg_hi:[0,1]
	s_wait_dscnt 0x0
	v_pk_mul_f32 v[76:77], v[72:73], v[64:65] op_sel:[0,1]
	s_delay_alu instid0(VALU_DEP_1) | instskip(SKIP_1) | instid1(VALU_DEP_1)
	v_pk_fma_f32 v[78:79], v[72:73], v[62:63], v[76:77] op_sel:[0,0,1] op_sel_hi:[1,1,0] neg_lo:[0,0,1] neg_hi:[0,0,1]
	v_pk_fma_f32 v[72:73], v[72:73], v[62:63], v[76:77] op_sel:[0,0,1] op_sel_hi:[1,0,0]
	v_mov_b32_e32 v79, v73
	v_pk_mul_f32 v[72:73], v[74:75], v[64:65] op_sel:[0,1]
	s_delay_alu instid0(VALU_DEP_1) | instskip(SKIP_1) | instid1(VALU_DEP_1)
	v_pk_fma_f32 v[76:77], v[74:75], v[62:63], v[72:73] op_sel:[0,0,1] op_sel_hi:[1,1,0] neg_lo:[0,0,1] neg_hi:[0,0,1]
	v_pk_fma_f32 v[72:73], v[74:75], v[62:63], v[72:73] op_sel:[0,0,1] op_sel_hi:[1,0,0]
	v_mov_b32_e32 v77, v73
	ds_load_b64 v[72:73], v66 offset:216
	v_pk_add_f32 v[18:19], v[18:19], v[78:79] neg_lo:[0,1] neg_hi:[0,1]
	v_pk_add_f32 v[16:17], v[16:17], v[76:77] neg_lo:[0,1] neg_hi:[0,1]
	s_wait_dscnt 0x0
	v_pk_mul_f32 v[64:65], v[72:73], v[64:65] op_sel:[0,1]
	s_delay_alu instid0(VALU_DEP_1) | instskip(SKIP_1) | instid1(VALU_DEP_1)
	v_pk_fma_f32 v[74:75], v[72:73], v[62:63], v[64:65] op_sel:[0,0,1] op_sel_hi:[1,1,0] neg_lo:[0,0,1] neg_hi:[0,0,1]
	v_pk_fma_f32 v[62:63], v[72:73], v[62:63], v[64:65] op_sel:[0,0,1] op_sel_hi:[1,0,0]
	v_mov_b32_e32 v75, v63
	s_delay_alu instid0(VALU_DEP_1)
	v_pk_add_f32 v[60:61], v[60:61], v[74:75] neg_lo:[0,1] neg_hi:[0,1]
.LBB54_188:
	s_or_b32 exec_lo, exec_lo, s0
	v_lshl_add_u32 v62, v70, 3, v66
	s_barrier_signal -1
	s_barrier_wait -1
	ds_store_b64 v62, v[34:35]
	s_wait_dscnt 0x0
	s_barrier_signal -1
	s_barrier_wait -1
	ds_load_b64 v[62:63], v66 offset:72
	v_mov_b32_e32 v64, 9
	s_cmp_lt_i32 s18, 11
	s_cbranch_scc1 .LBB54_191
; %bb.189:
	v_add3_u32 v65, v67, 0, 0x50
	v_mov_b32_e32 v64, 9
	s_mov_b32 s0, 10
.LBB54_190:                             ; =>This Inner Loop Header: Depth=1
	ds_load_b64 v[72:73], v65
	s_wait_dscnt 0x1
	v_cmp_gt_f32_e32 vcc_lo, 0, v62
	v_cndmask_b32_e64 v74, v62, -v62, vcc_lo
	v_cmp_gt_f32_e32 vcc_lo, 0, v63
	v_cndmask_b32_e64 v76, v63, -v63, vcc_lo
	s_wait_dscnt 0x0
	v_cmp_gt_f32_e32 vcc_lo, 0, v72
	v_cndmask_b32_e64 v75, v72, -v72, vcc_lo
	v_cmp_gt_f32_e32 vcc_lo, 0, v73
	v_cndmask_b32_e64 v77, v73, -v73, vcc_lo
	s_delay_alu instid0(VALU_DEP_1) | instskip(NEXT) | instid1(VALU_DEP_1)
	v_pk_add_f32 v[74:75], v[74:75], v[76:77]
	v_cmp_lt_f32_e32 vcc_lo, v74, v75
	v_dual_cndmask_b32 v62, v62, v72 :: v_dual_add_nc_u32 v65, 8, v65
	v_cndmask_b32_e32 v63, v63, v73, vcc_lo
	v_cndmask_b32_e64 v64, v64, s0, vcc_lo
	s_add_co_i32 s0, s0, 1
	s_delay_alu instid0(SALU_CYCLE_1)
	s_cmp_lg_u32 s18, s0
	s_cbranch_scc1 .LBB54_190
.LBB54_191:
	s_wait_dscnt 0x0
	v_cmp_eq_f32_e32 vcc_lo, 0, v62
	v_cmp_eq_f32_e64 s0, 0, v63
	s_and_b32 s0, vcc_lo, s0
	s_delay_alu instid0(SALU_CYCLE_1) | instskip(NEXT) | instid1(SALU_CYCLE_1)
	s_and_saveexec_b32 s1, s0
	s_xor_b32 s0, exec_lo, s1
; %bb.192:
	v_cmp_ne_u32_e32 vcc_lo, 0, v69
	v_cndmask_b32_e32 v69, 10, v69, vcc_lo
; %bb.193:
	s_and_not1_saveexec_b32 s0, s0
	s_cbranch_execz .LBB54_199
; %bb.194:
	v_cmp_ngt_f32_e64 s1, |v62|, |v63|
	s_and_saveexec_b32 s12, s1
	s_delay_alu instid0(SALU_CYCLE_1)
	s_xor_b32 s1, exec_lo, s12
	s_cbranch_execz .LBB54_196
; %bb.195:
	v_div_scale_f32 v65, null, v63, v63, v62
	v_div_scale_f32 v73, vcc_lo, v62, v63, v62
	s_delay_alu instid0(VALU_DEP_2) | instskip(SKIP_1) | instid1(TRANS32_DEP_1)
	v_rcp_f32_e32 v71, v65
	v_nop
	v_fma_f32 v72, -v65, v71, 1.0
	s_delay_alu instid0(VALU_DEP_1) | instskip(NEXT) | instid1(VALU_DEP_1)
	v_fmac_f32_e32 v71, v72, v71
	v_mul_f32_e32 v72, v73, v71
	s_delay_alu instid0(VALU_DEP_1) | instskip(NEXT) | instid1(VALU_DEP_1)
	v_fma_f32 v74, -v65, v72, v73
	v_fmac_f32_e32 v72, v74, v71
	s_delay_alu instid0(VALU_DEP_1) | instskip(NEXT) | instid1(VALU_DEP_1)
	v_fma_f32 v65, -v65, v72, v73
	v_div_fmas_f32 v65, v65, v71, v72
	s_delay_alu instid0(VALU_DEP_1) | instskip(NEXT) | instid1(VALU_DEP_1)
	v_div_fixup_f32 v65, v65, v63, v62
	v_fmac_f32_e32 v63, v62, v65
	s_delay_alu instid0(VALU_DEP_1) | instskip(SKIP_1) | instid1(VALU_DEP_2)
	v_div_scale_f32 v62, null, v63, v63, 1.0
	v_div_scale_f32 v73, vcc_lo, 1.0, v63, 1.0
	v_rcp_f32_e32 v71, v62
	v_nop
	s_delay_alu instid0(TRANS32_DEP_1) | instskip(NEXT) | instid1(VALU_DEP_1)
	v_fma_f32 v72, -v62, v71, 1.0
	v_fmac_f32_e32 v71, v72, v71
	s_delay_alu instid0(VALU_DEP_1) | instskip(NEXT) | instid1(VALU_DEP_1)
	v_mul_f32_e32 v72, v73, v71
	v_fma_f32 v74, -v62, v72, v73
	s_delay_alu instid0(VALU_DEP_1) | instskip(NEXT) | instid1(VALU_DEP_1)
	v_fmac_f32_e32 v72, v74, v71
	v_fma_f32 v62, -v62, v72, v73
	s_delay_alu instid0(VALU_DEP_1) | instskip(NEXT) | instid1(VALU_DEP_1)
	v_div_fmas_f32 v62, v62, v71, v72
	v_div_fixup_f32 v63, v62, v63, 1.0
	s_delay_alu instid0(VALU_DEP_1)
	v_mul_f32_e32 v62, v65, v63
	v_xor_b32_e32 v63, 0x80000000, v63
.LBB54_196:
	s_and_not1_saveexec_b32 s1, s1
	s_cbranch_execz .LBB54_198
; %bb.197:
	s_delay_alu instid0(VALU_DEP_1) | instskip(SKIP_1) | instid1(VALU_DEP_2)
	v_div_scale_f32 v65, null, v62, v62, v63
	v_div_scale_f32 v73, vcc_lo, v63, v62, v63
	v_rcp_f32_e32 v71, v65
	v_nop
	s_delay_alu instid0(TRANS32_DEP_1) | instskip(NEXT) | instid1(VALU_DEP_1)
	v_fma_f32 v72, -v65, v71, 1.0
	v_fmac_f32_e32 v71, v72, v71
	s_delay_alu instid0(VALU_DEP_1) | instskip(NEXT) | instid1(VALU_DEP_1)
	v_mul_f32_e32 v72, v73, v71
	v_fma_f32 v74, -v65, v72, v73
	s_delay_alu instid0(VALU_DEP_1) | instskip(NEXT) | instid1(VALU_DEP_1)
	v_fmac_f32_e32 v72, v74, v71
	v_fma_f32 v65, -v65, v72, v73
	s_delay_alu instid0(VALU_DEP_1) | instskip(NEXT) | instid1(VALU_DEP_1)
	v_div_fmas_f32 v65, v65, v71, v72
	v_div_fixup_f32 v65, v65, v62, v63
	s_delay_alu instid0(VALU_DEP_1) | instskip(NEXT) | instid1(VALU_DEP_1)
	v_fmac_f32_e32 v62, v63, v65
	v_div_scale_f32 v63, null, v62, v62, 1.0
	s_delay_alu instid0(VALU_DEP_1) | instskip(SKIP_1) | instid1(TRANS32_DEP_1)
	v_rcp_f32_e32 v71, v63
	v_nop
	v_fma_f32 v72, -v63, v71, 1.0
	s_delay_alu instid0(VALU_DEP_1) | instskip(SKIP_1) | instid1(VALU_DEP_1)
	v_fmac_f32_e32 v71, v72, v71
	v_div_scale_f32 v72, vcc_lo, 1.0, v62, 1.0
	v_mul_f32_e32 v73, v72, v71
	s_delay_alu instid0(VALU_DEP_1) | instskip(NEXT) | instid1(VALU_DEP_1)
	v_fma_f32 v74, -v63, v73, v72
	v_fmac_f32_e32 v73, v74, v71
	s_delay_alu instid0(VALU_DEP_1) | instskip(NEXT) | instid1(VALU_DEP_1)
	v_fma_f32 v63, -v63, v73, v72
	v_div_fmas_f32 v63, v63, v71, v73
	s_delay_alu instid0(VALU_DEP_1) | instskip(NEXT) | instid1(VALU_DEP_1)
	v_div_fixup_f32 v62, v63, v62, 1.0
	v_mul_f32_e64 v63, v65, -v62
.LBB54_198:
	s_or_b32 exec_lo, exec_lo, s1
.LBB54_199:
	s_delay_alu instid0(SALU_CYCLE_1) | instskip(NEXT) | instid1(SALU_CYCLE_1)
	s_or_b32 exec_lo, exec_lo, s0
	s_mov_b32 s0, exec_lo
	v_cmpx_ne_u32_e64 v70, v64
	s_xor_b32 s0, exec_lo, s0
	s_cbranch_execz .LBB54_205
; %bb.200:
	s_mov_b32 s1, exec_lo
	v_cmpx_eq_u32_e32 9, v70
	s_cbranch_execz .LBB54_204
; %bb.201:
	v_cmp_ne_u32_e32 vcc_lo, 9, v64
	s_xor_b32 s12, s16, -1
	s_delay_alu instid0(SALU_CYCLE_1) | instskip(NEXT) | instid1(SALU_CYCLE_1)
	s_and_b32 s13, s12, vcc_lo
	s_and_saveexec_b32 s12, s13
	s_cbranch_execz .LBB54_203
; %bb.202:
	v_ashrrev_i32_e32 v65, 31, v64
	s_delay_alu instid0(VALU_DEP_1)
	v_lshl_add_u64 v[70:71], v[64:65], 2, v[4:5]
	s_clause 0x1
	global_load_b32 v65, v[70:71], off
	global_load_b32 v68, v[4:5], off offset:36
	s_wait_loadcnt 0x1
	global_store_b32 v[4:5], v65, off offset:36
	s_wait_loadcnt 0x0
	global_store_b32 v[70:71], v68, off
.LBB54_203:
	s_wait_xcnt 0x0
	s_or_b32 exec_lo, exec_lo, s12
	v_dual_mov_b32 v70, v64 :: v_dual_mov_b32 v68, v64
.LBB54_204:
	s_or_b32 exec_lo, exec_lo, s1
.LBB54_205:
	s_and_not1_saveexec_b32 s0, s0
	s_cbranch_execz .LBB54_207
; %bb.206:
	v_dual_mov_b32 v64, v36 :: v_dual_mov_b32 v65, v37
	v_dual_mov_b32 v70, v8 :: v_dual_mov_b32 v71, v9
	;; [unrolled: 1-line block ×8, first 2 shown]
	ds_store_2addr_b64 v66, v[64:65], v[70:71] offset0:10 offset1:11
	ds_store_2addr_b64 v66, v[72:73], v[74:75] offset0:12 offset1:13
	;; [unrolled: 1-line block ×4, first 2 shown]
	v_dual_mov_b32 v64, v48 :: v_dual_mov_b32 v65, v49
	v_dual_mov_b32 v72, v12 :: v_dual_mov_b32 v73, v13
	;; [unrolled: 1-line block ×9, first 2 shown]
	v_mov_b32_e32 v87, v17
	ds_store_2addr_b64 v66, v[64:65], v[72:73] offset0:18 offset1:19
	ds_store_2addr_b64 v66, v[74:75], v[76:77] offset0:20 offset1:21
	;; [unrolled: 1-line block ×5, first 2 shown]
.LBB54_207:
	s_or_b32 exec_lo, exec_lo, s0
	s_delay_alu instid0(SALU_CYCLE_1)
	s_mov_b32 s0, exec_lo
	s_wait_storecnt_dscnt 0x0
	s_barrier_signal -1
	s_barrier_wait -1
	v_cmpx_lt_i32_e32 9, v70
	s_cbranch_execz .LBB54_209
; %bb.208:
	v_pk_mul_f32 v[72:73], v[62:63], v[34:35] op_sel:[1,1] op_sel_hi:[0,1]
	s_delay_alu instid0(VALU_DEP_1)
	v_pk_fma_f32 v[64:65], v[62:63], v[34:35], v[72:73] op_sel_hi:[1,0,1] neg_lo:[0,0,1] neg_hi:[0,0,1]
	v_pk_fma_f32 v[62:63], v[62:63], v[34:35], v[72:73] op_sel_hi:[1,0,1]
	ds_load_2addr_b64 v[72:75], v66 offset0:10 offset1:11
	v_dual_mov_b32 v34, v64 :: v_dual_mov_b32 v35, v63
	s_wait_dscnt 0x0
	v_pk_mul_f32 v[76:77], v[72:73], v[62:63] op_sel:[0,1]
	s_delay_alu instid0(VALU_DEP_1) | instskip(SKIP_1) | instid1(VALU_DEP_1)
	v_pk_fma_f32 v[78:79], v[72:73], v[64:65], v[76:77] op_sel:[0,0,1] op_sel_hi:[1,1,0] neg_lo:[0,0,1] neg_hi:[0,0,1]
	v_pk_fma_f32 v[72:73], v[72:73], v[64:65], v[76:77] op_sel:[0,0,1] op_sel_hi:[1,0,0]
	v_mov_b32_e32 v79, v73
	v_pk_mul_f32 v[72:73], v[74:75], v[62:63] op_sel:[0,1]
	s_delay_alu instid0(VALU_DEP_1) | instskip(SKIP_1) | instid1(VALU_DEP_1)
	v_pk_fma_f32 v[76:77], v[74:75], v[64:65], v[72:73] op_sel:[0,0,1] op_sel_hi:[1,1,0] neg_lo:[0,0,1] neg_hi:[0,0,1]
	v_pk_fma_f32 v[72:73], v[74:75], v[64:65], v[72:73] op_sel:[0,0,1] op_sel_hi:[1,0,0]
	v_mov_b32_e32 v77, v73
	ds_load_2addr_b64 v[72:75], v66 offset0:12 offset1:13
	v_pk_add_f32 v[36:37], v[36:37], v[78:79] neg_lo:[0,1] neg_hi:[0,1]
	v_pk_add_f32 v[8:9], v[8:9], v[76:77] neg_lo:[0,1] neg_hi:[0,1]
	s_wait_dscnt 0x0
	v_pk_mul_f32 v[76:77], v[72:73], v[62:63] op_sel:[0,1]
	s_delay_alu instid0(VALU_DEP_1) | instskip(SKIP_2) | instid1(VALU_DEP_2)
	v_pk_fma_f32 v[78:79], v[72:73], v[64:65], v[76:77] op_sel:[0,0,1] op_sel_hi:[1,1,0] neg_lo:[0,0,1] neg_hi:[0,0,1]
	v_pk_fma_f32 v[72:73], v[72:73], v[64:65], v[76:77] op_sel:[0,0,1] op_sel_hi:[1,0,0]
	v_dual_mul_f32 v76, v75, v63 :: v_dual_mov_b32 v72, v75
	v_dual_mov_b32 v79, v73 :: v_dual_mov_b32 v73, v74
	s_delay_alu instid0(VALU_DEP_2) | instskip(SKIP_1) | instid1(VALU_DEP_3)
	v_pk_fma_f32 v[76:77], v[74:75], v[34:35], v[76:77] op_sel_hi:[1,1,0] neg_lo:[0,0,1] neg_hi:[0,0,1]
	v_mul_f32_e32 v74, v75, v64
	v_pk_add_f32 v[44:45], v[44:45], v[78:79] neg_lo:[0,1] neg_hi:[0,1]
	s_delay_alu instid0(VALU_DEP_2) | instskip(NEXT) | instid1(VALU_DEP_1)
	v_pk_fma_f32 v[72:73], v[72:73], v[34:35], v[74:75] op_sel_hi:[1,1,0]
	v_mov_b32_e32 v77, v73
	ds_load_2addr_b64 v[72:75], v66 offset0:14 offset1:15
	v_pk_add_f32 v[40:41], v[40:41], v[76:77] neg_lo:[0,1] neg_hi:[0,1]
	s_wait_dscnt 0x0
	v_pk_mul_f32 v[76:77], v[72:73], v[62:63] op_sel:[0,1]
	s_delay_alu instid0(VALU_DEP_1) | instskip(SKIP_1) | instid1(VALU_DEP_1)
	v_pk_fma_f32 v[78:79], v[72:73], v[64:65], v[76:77] op_sel:[0,0,1] op_sel_hi:[1,1,0] neg_lo:[0,0,1] neg_hi:[0,0,1]
	v_pk_fma_f32 v[72:73], v[72:73], v[64:65], v[76:77] op_sel:[0,0,1] op_sel_hi:[1,0,0]
	v_mov_b32_e32 v79, v73
	v_pk_mul_f32 v[72:73], v[74:75], v[62:63] op_sel:[0,1]
	s_delay_alu instid0(VALU_DEP_1) | instskip(SKIP_1) | instid1(VALU_DEP_1)
	v_pk_fma_f32 v[76:77], v[74:75], v[64:65], v[72:73] op_sel:[0,0,1] op_sel_hi:[1,1,0] neg_lo:[0,0,1] neg_hi:[0,0,1]
	v_pk_fma_f32 v[72:73], v[74:75], v[64:65], v[72:73] op_sel:[0,0,1] op_sel_hi:[1,0,0]
	v_mov_b32_e32 v77, v73
	ds_load_2addr_b64 v[72:75], v66 offset0:16 offset1:17
	v_pk_add_f32 v[42:43], v[42:43], v[78:79] neg_lo:[0,1] neg_hi:[0,1]
	v_pk_add_f32 v[10:11], v[10:11], v[76:77] neg_lo:[0,1] neg_hi:[0,1]
	s_wait_dscnt 0x0
	v_pk_mul_f32 v[76:77], v[72:73], v[62:63] op_sel:[0,1]
	s_delay_alu instid0(VALU_DEP_1) | instskip(SKIP_1) | instid1(VALU_DEP_1)
	v_pk_fma_f32 v[78:79], v[72:73], v[64:65], v[76:77] op_sel:[0,0,1] op_sel_hi:[1,1,0] neg_lo:[0,0,1] neg_hi:[0,0,1]
	v_pk_fma_f32 v[72:73], v[72:73], v[64:65], v[76:77] op_sel:[0,0,1] op_sel_hi:[1,0,0]
	v_mov_b32_e32 v79, v73
	v_pk_mul_f32 v[72:73], v[74:75], v[62:63] op_sel:[0,1]
	s_delay_alu instid0(VALU_DEP_1) | instskip(SKIP_1) | instid1(VALU_DEP_1)
	v_pk_fma_f32 v[76:77], v[74:75], v[64:65], v[72:73] op_sel:[0,0,1] op_sel_hi:[1,1,0] neg_lo:[0,0,1] neg_hi:[0,0,1]
	v_pk_fma_f32 v[72:73], v[74:75], v[64:65], v[72:73] op_sel:[0,0,1] op_sel_hi:[1,0,0]
	v_mov_b32_e32 v77, v73
	ds_load_2addr_b64 v[72:75], v66 offset0:18 offset1:19
	v_pk_add_f32 v[50:51], v[50:51], v[78:79] neg_lo:[0,1] neg_hi:[0,1]
	v_pk_add_f32 v[46:47], v[46:47], v[76:77] neg_lo:[0,1] neg_hi:[0,1]
	s_wait_dscnt 0x0
	v_dual_mul_f32 v76, v73, v63 :: v_dual_mul_f32 v78, v73, v64
	s_delay_alu instid0(VALU_DEP_1) | instskip(NEXT) | instid1(VALU_DEP_2)
	v_pk_fma_f32 v[76:77], v[72:73], v[34:35], v[76:77] op_sel_hi:[1,1,0] neg_lo:[0,0,1] neg_hi:[0,0,1]
	v_pk_fma_f32 v[72:73], v[72:73], v[34:35], v[78:79] op_sel:[1,0,0] op_sel_hi:[0,1,0]
	s_delay_alu instid0(VALU_DEP_1) | instskip(SKIP_1) | instid1(VALU_DEP_2)
	v_mov_b32_e32 v77, v73
	v_pk_mul_f32 v[72:73], v[74:75], v[62:63] op_sel:[0,1]
	v_pk_add_f32 v[48:49], v[48:49], v[76:77] neg_lo:[0,1] neg_hi:[0,1]
	s_delay_alu instid0(VALU_DEP_2) | instskip(SKIP_1) | instid1(VALU_DEP_1)
	v_pk_fma_f32 v[76:77], v[74:75], v[64:65], v[72:73] op_sel:[0,0,1] op_sel_hi:[1,1,0] neg_lo:[0,0,1] neg_hi:[0,0,1]
	v_pk_fma_f32 v[72:73], v[74:75], v[64:65], v[72:73] op_sel:[0,0,1] op_sel_hi:[1,0,0]
	v_mov_b32_e32 v77, v73
	ds_load_2addr_b64 v[72:75], v66 offset0:20 offset1:21
	v_pk_add_f32 v[12:13], v[12:13], v[76:77] neg_lo:[0,1] neg_hi:[0,1]
	s_wait_dscnt 0x0
	v_pk_mul_f32 v[76:77], v[72:73], v[62:63] op_sel:[0,1]
	s_delay_alu instid0(VALU_DEP_1) | instskip(SKIP_1) | instid1(VALU_DEP_1)
	v_pk_fma_f32 v[78:79], v[72:73], v[64:65], v[76:77] op_sel:[0,0,1] op_sel_hi:[1,1,0] neg_lo:[0,0,1] neg_hi:[0,0,1]
	v_pk_fma_f32 v[72:73], v[72:73], v[64:65], v[76:77] op_sel:[0,0,1] op_sel_hi:[1,0,0]
	v_mov_b32_e32 v79, v73
	v_pk_mul_f32 v[72:73], v[74:75], v[62:63] op_sel:[0,1]
	s_delay_alu instid0(VALU_DEP_2) | instskip(NEXT) | instid1(VALU_DEP_2)
	v_pk_add_f32 v[26:27], v[26:27], v[78:79] neg_lo:[0,1] neg_hi:[0,1]
	v_pk_fma_f32 v[76:77], v[74:75], v[64:65], v[72:73] op_sel:[0,0,1] op_sel_hi:[1,1,0] neg_lo:[0,0,1] neg_hi:[0,0,1]
	v_pk_fma_f32 v[72:73], v[74:75], v[64:65], v[72:73] op_sel:[0,0,1] op_sel_hi:[1,0,0]
	s_delay_alu instid0(VALU_DEP_1) | instskip(SKIP_4) | instid1(VALU_DEP_1)
	v_mov_b32_e32 v77, v73
	ds_load_2addr_b64 v[72:75], v66 offset0:22 offset1:23
	v_pk_add_f32 v[22:23], v[22:23], v[76:77] neg_lo:[0,1] neg_hi:[0,1]
	s_wait_dscnt 0x0
	v_pk_mul_f32 v[76:77], v[72:73], v[62:63] op_sel:[0,1]
	v_pk_fma_f32 v[78:79], v[72:73], v[64:65], v[76:77] op_sel:[0,0,1] op_sel_hi:[1,1,0] neg_lo:[0,0,1] neg_hi:[0,0,1]
	v_pk_fma_f32 v[72:73], v[72:73], v[64:65], v[76:77] op_sel:[0,0,1] op_sel_hi:[1,0,0]
	v_dual_mul_f32 v76, v75, v63 :: v_dual_mov_b32 v72, v75
	s_delay_alu instid0(VALU_DEP_2) | instskip(NEXT) | instid1(VALU_DEP_2)
	v_dual_mov_b32 v79, v73 :: v_dual_mov_b32 v73, v74
	v_pk_fma_f32 v[76:77], v[74:75], v[34:35], v[76:77] op_sel_hi:[1,1,0] neg_lo:[0,0,1] neg_hi:[0,0,1]
	v_mul_f32_e32 v74, v75, v64
	s_delay_alu instid0(VALU_DEP_3) | instskip(NEXT) | instid1(VALU_DEP_2)
	v_pk_add_f32 v[24:25], v[24:25], v[78:79] neg_lo:[0,1] neg_hi:[0,1]
	v_pk_fma_f32 v[72:73], v[72:73], v[34:35], v[74:75] op_sel_hi:[1,1,0]
	s_delay_alu instid0(VALU_DEP_1) | instskip(SKIP_4) | instid1(VALU_DEP_1)
	v_mov_b32_e32 v77, v73
	ds_load_2addr_b64 v[72:75], v66 offset0:24 offset1:25
	v_pk_add_f32 v[14:15], v[14:15], v[76:77] neg_lo:[0,1] neg_hi:[0,1]
	s_wait_dscnt 0x0
	v_pk_mul_f32 v[76:77], v[72:73], v[62:63] op_sel:[0,1]
	v_pk_fma_f32 v[78:79], v[72:73], v[64:65], v[76:77] op_sel:[0,0,1] op_sel_hi:[1,1,0] neg_lo:[0,0,1] neg_hi:[0,0,1]
	v_pk_fma_f32 v[72:73], v[72:73], v[64:65], v[76:77] op_sel:[0,0,1] op_sel_hi:[1,0,0]
	s_delay_alu instid0(VALU_DEP_1) | instskip(SKIP_1) | instid1(VALU_DEP_1)
	v_mov_b32_e32 v79, v73
	v_pk_mul_f32 v[72:73], v[74:75], v[62:63] op_sel:[0,1]
	v_pk_fma_f32 v[76:77], v[74:75], v[64:65], v[72:73] op_sel:[0,0,1] op_sel_hi:[1,1,0] neg_lo:[0,0,1] neg_hi:[0,0,1]
	v_pk_fma_f32 v[72:73], v[74:75], v[64:65], v[72:73] op_sel:[0,0,1] op_sel_hi:[1,0,0]
	s_delay_alu instid0(VALU_DEP_1)
	v_mov_b32_e32 v77, v73
	ds_load_2addr_b64 v[72:75], v66 offset0:26 offset1:27
	v_pk_add_f32 v[20:21], v[20:21], v[78:79] neg_lo:[0,1] neg_hi:[0,1]
	v_pk_add_f32 v[18:19], v[18:19], v[76:77] neg_lo:[0,1] neg_hi:[0,1]
	s_wait_dscnt 0x0
	v_pk_mul_f32 v[76:77], v[72:73], v[62:63] op_sel:[0,1]
	v_mul_f32_e32 v62, v75, v63
	s_delay_alu instid0(VALU_DEP_2) | instskip(SKIP_2) | instid1(VALU_DEP_4)
	v_pk_fma_f32 v[78:79], v[72:73], v[64:65], v[76:77] op_sel:[0,0,1] op_sel_hi:[1,1,0] neg_lo:[0,0,1] neg_hi:[0,0,1]
	v_pk_fma_f32 v[72:73], v[72:73], v[64:65], v[76:77] op_sel:[0,0,1] op_sel_hi:[1,0,0]
	v_dual_mov_b32 v72, v75 :: v_dual_mul_f32 v64, v75, v64
	v_pk_fma_f32 v[62:63], v[74:75], v[34:35], v[62:63] op_sel_hi:[1,1,0] neg_lo:[0,0,1] neg_hi:[0,0,1]
	s_delay_alu instid0(VALU_DEP_3) | instskip(NEXT) | instid1(VALU_DEP_1)
	v_dual_mov_b32 v79, v73 :: v_dual_mov_b32 v73, v74
	v_pk_add_f32 v[16:17], v[16:17], v[78:79] neg_lo:[0,1] neg_hi:[0,1]
	s_delay_alu instid0(VALU_DEP_2) | instskip(NEXT) | instid1(VALU_DEP_1)
	v_pk_fma_f32 v[64:65], v[72:73], v[34:35], v[64:65] op_sel_hi:[1,1,0]
	v_mov_b32_e32 v63, v65
	s_delay_alu instid0(VALU_DEP_1)
	v_pk_add_f32 v[60:61], v[60:61], v[62:63] neg_lo:[0,1] neg_hi:[0,1]
.LBB54_209:
	s_or_b32 exec_lo, exec_lo, s0
	v_lshl_add_u32 v62, v70, 3, v66
	s_barrier_signal -1
	s_barrier_wait -1
	ds_store_b64 v62, v[36:37]
	s_wait_dscnt 0x0
	s_barrier_signal -1
	s_barrier_wait -1
	ds_load_b64 v[62:63], v66 offset:80
	v_mov_b32_e32 v64, 10
	s_cmp_lt_i32 s18, 12
	s_cbranch_scc1 .LBB54_212
; %bb.210:
	v_add3_u32 v65, v67, 0, 0x58
	v_mov_b32_e32 v64, 10
	s_mov_b32 s0, 11
.LBB54_211:                             ; =>This Inner Loop Header: Depth=1
	ds_load_b64 v[72:73], v65
	s_wait_dscnt 0x1
	v_cmp_gt_f32_e32 vcc_lo, 0, v62
	v_cndmask_b32_e64 v74, v62, -v62, vcc_lo
	v_cmp_gt_f32_e32 vcc_lo, 0, v63
	v_cndmask_b32_e64 v76, v63, -v63, vcc_lo
	s_wait_dscnt 0x0
	v_cmp_gt_f32_e32 vcc_lo, 0, v72
	v_cndmask_b32_e64 v75, v72, -v72, vcc_lo
	v_cmp_gt_f32_e32 vcc_lo, 0, v73
	v_cndmask_b32_e64 v77, v73, -v73, vcc_lo
	s_delay_alu instid0(VALU_DEP_1) | instskip(NEXT) | instid1(VALU_DEP_1)
	v_pk_add_f32 v[74:75], v[74:75], v[76:77]
	v_cmp_lt_f32_e32 vcc_lo, v74, v75
	v_dual_cndmask_b32 v62, v62, v72 :: v_dual_add_nc_u32 v65, 8, v65
	v_cndmask_b32_e32 v63, v63, v73, vcc_lo
	v_cndmask_b32_e64 v64, v64, s0, vcc_lo
	s_add_co_i32 s0, s0, 1
	s_delay_alu instid0(SALU_CYCLE_1)
	s_cmp_lg_u32 s18, s0
	s_cbranch_scc1 .LBB54_211
.LBB54_212:
	s_wait_dscnt 0x0
	v_cmp_eq_f32_e32 vcc_lo, 0, v62
	v_cmp_eq_f32_e64 s0, 0, v63
	s_and_b32 s0, vcc_lo, s0
	s_delay_alu instid0(SALU_CYCLE_1) | instskip(NEXT) | instid1(SALU_CYCLE_1)
	s_and_saveexec_b32 s1, s0
	s_xor_b32 s0, exec_lo, s1
; %bb.213:
	v_cmp_ne_u32_e32 vcc_lo, 0, v69
	v_cndmask_b32_e32 v69, 11, v69, vcc_lo
; %bb.214:
	s_and_not1_saveexec_b32 s0, s0
	s_cbranch_execz .LBB54_220
; %bb.215:
	v_cmp_ngt_f32_e64 s1, |v62|, |v63|
	s_and_saveexec_b32 s12, s1
	s_delay_alu instid0(SALU_CYCLE_1)
	s_xor_b32 s1, exec_lo, s12
	s_cbranch_execz .LBB54_217
; %bb.216:
	v_div_scale_f32 v65, null, v63, v63, v62
	v_div_scale_f32 v73, vcc_lo, v62, v63, v62
	s_delay_alu instid0(VALU_DEP_2) | instskip(SKIP_1) | instid1(TRANS32_DEP_1)
	v_rcp_f32_e32 v71, v65
	v_nop
	v_fma_f32 v72, -v65, v71, 1.0
	s_delay_alu instid0(VALU_DEP_1) | instskip(NEXT) | instid1(VALU_DEP_1)
	v_fmac_f32_e32 v71, v72, v71
	v_mul_f32_e32 v72, v73, v71
	s_delay_alu instid0(VALU_DEP_1) | instskip(NEXT) | instid1(VALU_DEP_1)
	v_fma_f32 v74, -v65, v72, v73
	v_fmac_f32_e32 v72, v74, v71
	s_delay_alu instid0(VALU_DEP_1) | instskip(NEXT) | instid1(VALU_DEP_1)
	v_fma_f32 v65, -v65, v72, v73
	v_div_fmas_f32 v65, v65, v71, v72
	s_delay_alu instid0(VALU_DEP_1) | instskip(NEXT) | instid1(VALU_DEP_1)
	v_div_fixup_f32 v65, v65, v63, v62
	v_fmac_f32_e32 v63, v62, v65
	s_delay_alu instid0(VALU_DEP_1) | instskip(SKIP_1) | instid1(VALU_DEP_2)
	v_div_scale_f32 v62, null, v63, v63, 1.0
	v_div_scale_f32 v73, vcc_lo, 1.0, v63, 1.0
	v_rcp_f32_e32 v71, v62
	v_nop
	s_delay_alu instid0(TRANS32_DEP_1) | instskip(NEXT) | instid1(VALU_DEP_1)
	v_fma_f32 v72, -v62, v71, 1.0
	v_fmac_f32_e32 v71, v72, v71
	s_delay_alu instid0(VALU_DEP_1) | instskip(NEXT) | instid1(VALU_DEP_1)
	v_mul_f32_e32 v72, v73, v71
	v_fma_f32 v74, -v62, v72, v73
	s_delay_alu instid0(VALU_DEP_1) | instskip(NEXT) | instid1(VALU_DEP_1)
	v_fmac_f32_e32 v72, v74, v71
	v_fma_f32 v62, -v62, v72, v73
	s_delay_alu instid0(VALU_DEP_1) | instskip(NEXT) | instid1(VALU_DEP_1)
	v_div_fmas_f32 v62, v62, v71, v72
	v_div_fixup_f32 v63, v62, v63, 1.0
	s_delay_alu instid0(VALU_DEP_1)
	v_mul_f32_e32 v62, v65, v63
	v_xor_b32_e32 v63, 0x80000000, v63
.LBB54_217:
	s_and_not1_saveexec_b32 s1, s1
	s_cbranch_execz .LBB54_219
; %bb.218:
	s_delay_alu instid0(VALU_DEP_1) | instskip(SKIP_1) | instid1(VALU_DEP_2)
	v_div_scale_f32 v65, null, v62, v62, v63
	v_div_scale_f32 v73, vcc_lo, v63, v62, v63
	v_rcp_f32_e32 v71, v65
	v_nop
	s_delay_alu instid0(TRANS32_DEP_1) | instskip(NEXT) | instid1(VALU_DEP_1)
	v_fma_f32 v72, -v65, v71, 1.0
	v_fmac_f32_e32 v71, v72, v71
	s_delay_alu instid0(VALU_DEP_1) | instskip(NEXT) | instid1(VALU_DEP_1)
	v_mul_f32_e32 v72, v73, v71
	v_fma_f32 v74, -v65, v72, v73
	s_delay_alu instid0(VALU_DEP_1) | instskip(NEXT) | instid1(VALU_DEP_1)
	v_fmac_f32_e32 v72, v74, v71
	v_fma_f32 v65, -v65, v72, v73
	s_delay_alu instid0(VALU_DEP_1) | instskip(NEXT) | instid1(VALU_DEP_1)
	v_div_fmas_f32 v65, v65, v71, v72
	v_div_fixup_f32 v65, v65, v62, v63
	s_delay_alu instid0(VALU_DEP_1) | instskip(NEXT) | instid1(VALU_DEP_1)
	v_fmac_f32_e32 v62, v63, v65
	v_div_scale_f32 v63, null, v62, v62, 1.0
	s_delay_alu instid0(VALU_DEP_1) | instskip(SKIP_1) | instid1(TRANS32_DEP_1)
	v_rcp_f32_e32 v71, v63
	v_nop
	v_fma_f32 v72, -v63, v71, 1.0
	s_delay_alu instid0(VALU_DEP_1) | instskip(SKIP_1) | instid1(VALU_DEP_1)
	v_fmac_f32_e32 v71, v72, v71
	v_div_scale_f32 v72, vcc_lo, 1.0, v62, 1.0
	v_mul_f32_e32 v73, v72, v71
	s_delay_alu instid0(VALU_DEP_1) | instskip(NEXT) | instid1(VALU_DEP_1)
	v_fma_f32 v74, -v63, v73, v72
	v_fmac_f32_e32 v73, v74, v71
	s_delay_alu instid0(VALU_DEP_1) | instskip(NEXT) | instid1(VALU_DEP_1)
	v_fma_f32 v63, -v63, v73, v72
	v_div_fmas_f32 v63, v63, v71, v73
	s_delay_alu instid0(VALU_DEP_1) | instskip(NEXT) | instid1(VALU_DEP_1)
	v_div_fixup_f32 v62, v63, v62, 1.0
	v_mul_f32_e64 v63, v65, -v62
.LBB54_219:
	s_or_b32 exec_lo, exec_lo, s1
.LBB54_220:
	s_delay_alu instid0(SALU_CYCLE_1) | instskip(NEXT) | instid1(SALU_CYCLE_1)
	s_or_b32 exec_lo, exec_lo, s0
	s_mov_b32 s0, exec_lo
	v_cmpx_ne_u32_e64 v70, v64
	s_xor_b32 s0, exec_lo, s0
	s_cbranch_execz .LBB54_226
; %bb.221:
	s_mov_b32 s1, exec_lo
	v_cmpx_eq_u32_e32 10, v70
	s_cbranch_execz .LBB54_225
; %bb.222:
	v_cmp_ne_u32_e32 vcc_lo, 10, v64
	s_xor_b32 s12, s16, -1
	s_delay_alu instid0(SALU_CYCLE_1) | instskip(NEXT) | instid1(SALU_CYCLE_1)
	s_and_b32 s13, s12, vcc_lo
	s_and_saveexec_b32 s12, s13
	s_cbranch_execz .LBB54_224
; %bb.223:
	v_ashrrev_i32_e32 v65, 31, v64
	s_delay_alu instid0(VALU_DEP_1)
	v_lshl_add_u64 v[70:71], v[64:65], 2, v[4:5]
	s_clause 0x1
	global_load_b32 v65, v[70:71], off
	global_load_b32 v68, v[4:5], off offset:40
	s_wait_loadcnt 0x1
	global_store_b32 v[4:5], v65, off offset:40
	s_wait_loadcnt 0x0
	global_store_b32 v[70:71], v68, off
.LBB54_224:
	s_wait_xcnt 0x0
	s_or_b32 exec_lo, exec_lo, s12
	v_dual_mov_b32 v70, v64 :: v_dual_mov_b32 v68, v64
.LBB54_225:
	s_or_b32 exec_lo, exec_lo, s1
.LBB54_226:
	s_and_not1_saveexec_b32 s0, s0
	s_cbranch_execz .LBB54_228
; %bb.227:
	v_mov_b32_e32 v70, 10
	ds_store_2addr_b64 v66, v[8:9], v[44:45] offset0:11 offset1:12
	ds_store_2addr_b64 v66, v[40:41], v[42:43] offset0:13 offset1:14
	;; [unrolled: 1-line block ×8, first 2 shown]
	ds_store_b64 v66, v[60:61] offset:216
.LBB54_228:
	s_or_b32 exec_lo, exec_lo, s0
	s_delay_alu instid0(SALU_CYCLE_1)
	s_mov_b32 s0, exec_lo
	s_wait_storecnt_dscnt 0x0
	s_barrier_signal -1
	s_barrier_wait -1
	v_cmpx_lt_i32_e32 10, v70
	s_cbranch_execz .LBB54_230
; %bb.229:
	v_pk_mul_f32 v[72:73], v[62:63], v[36:37] op_sel:[1,1] op_sel_hi:[0,1]
	s_delay_alu instid0(VALU_DEP_1)
	v_pk_fma_f32 v[64:65], v[62:63], v[36:37], v[72:73] op_sel_hi:[1,0,1] neg_lo:[0,0,1] neg_hi:[0,0,1]
	v_pk_fma_f32 v[62:63], v[62:63], v[36:37], v[72:73] op_sel_hi:[1,0,1]
	ds_load_2addr_b64 v[72:75], v66 offset0:11 offset1:12
	v_dual_mov_b32 v36, v64 :: v_dual_mov_b32 v37, v63
	s_wait_dscnt 0x0
	v_pk_mul_f32 v[76:77], v[72:73], v[62:63] op_sel:[0,1]
	s_delay_alu instid0(VALU_DEP_1) | instskip(SKIP_1) | instid1(VALU_DEP_1)
	v_pk_fma_f32 v[78:79], v[72:73], v[64:65], v[76:77] op_sel:[0,0,1] op_sel_hi:[1,1,0] neg_lo:[0,0,1] neg_hi:[0,0,1]
	v_pk_fma_f32 v[72:73], v[72:73], v[64:65], v[76:77] op_sel:[0,0,1] op_sel_hi:[1,0,0]
	v_mov_b32_e32 v79, v73
	v_pk_mul_f32 v[72:73], v[74:75], v[62:63] op_sel:[0,1]
	s_delay_alu instid0(VALU_DEP_1) | instskip(SKIP_1) | instid1(VALU_DEP_1)
	v_pk_fma_f32 v[76:77], v[74:75], v[64:65], v[72:73] op_sel:[0,0,1] op_sel_hi:[1,1,0] neg_lo:[0,0,1] neg_hi:[0,0,1]
	v_pk_fma_f32 v[72:73], v[74:75], v[64:65], v[72:73] op_sel:[0,0,1] op_sel_hi:[1,0,0]
	v_mov_b32_e32 v77, v73
	ds_load_2addr_b64 v[72:75], v66 offset0:13 offset1:14
	v_pk_add_f32 v[8:9], v[8:9], v[78:79] neg_lo:[0,1] neg_hi:[0,1]
	v_pk_add_f32 v[44:45], v[44:45], v[76:77] neg_lo:[0,1] neg_hi:[0,1]
	s_wait_dscnt 0x0
	v_pk_mul_f32 v[76:77], v[72:73], v[62:63] op_sel:[0,1]
	s_delay_alu instid0(VALU_DEP_1) | instskip(SKIP_2) | instid1(VALU_DEP_2)
	v_pk_fma_f32 v[78:79], v[72:73], v[64:65], v[76:77] op_sel:[0,0,1] op_sel_hi:[1,1,0] neg_lo:[0,0,1] neg_hi:[0,0,1]
	v_pk_fma_f32 v[72:73], v[72:73], v[64:65], v[76:77] op_sel:[0,0,1] op_sel_hi:[1,0,0]
	v_dual_mul_f32 v76, v75, v63 :: v_dual_mov_b32 v72, v75
	v_dual_mov_b32 v79, v73 :: v_dual_mov_b32 v73, v74
	s_delay_alu instid0(VALU_DEP_2) | instskip(SKIP_1) | instid1(VALU_DEP_3)
	v_pk_fma_f32 v[76:77], v[74:75], v[36:37], v[76:77] op_sel_hi:[1,1,0] neg_lo:[0,0,1] neg_hi:[0,0,1]
	v_mul_f32_e32 v74, v75, v64
	v_pk_add_f32 v[40:41], v[40:41], v[78:79] neg_lo:[0,1] neg_hi:[0,1]
	s_delay_alu instid0(VALU_DEP_2) | instskip(NEXT) | instid1(VALU_DEP_1)
	v_pk_fma_f32 v[72:73], v[72:73], v[36:37], v[74:75] op_sel_hi:[1,1,0]
	v_mov_b32_e32 v77, v73
	ds_load_2addr_b64 v[72:75], v66 offset0:15 offset1:16
	v_pk_add_f32 v[42:43], v[42:43], v[76:77] neg_lo:[0,1] neg_hi:[0,1]
	s_wait_dscnt 0x0
	v_pk_mul_f32 v[76:77], v[72:73], v[62:63] op_sel:[0,1]
	s_delay_alu instid0(VALU_DEP_1) | instskip(SKIP_1) | instid1(VALU_DEP_1)
	v_pk_fma_f32 v[78:79], v[72:73], v[64:65], v[76:77] op_sel:[0,0,1] op_sel_hi:[1,1,0] neg_lo:[0,0,1] neg_hi:[0,0,1]
	v_pk_fma_f32 v[72:73], v[72:73], v[64:65], v[76:77] op_sel:[0,0,1] op_sel_hi:[1,0,0]
	v_mov_b32_e32 v79, v73
	v_pk_mul_f32 v[72:73], v[74:75], v[62:63] op_sel:[0,1]
	s_delay_alu instid0(VALU_DEP_1) | instskip(SKIP_1) | instid1(VALU_DEP_1)
	v_pk_fma_f32 v[76:77], v[74:75], v[64:65], v[72:73] op_sel:[0,0,1] op_sel_hi:[1,1,0] neg_lo:[0,0,1] neg_hi:[0,0,1]
	v_pk_fma_f32 v[72:73], v[74:75], v[64:65], v[72:73] op_sel:[0,0,1] op_sel_hi:[1,0,0]
	v_mov_b32_e32 v77, v73
	ds_load_2addr_b64 v[72:75], v66 offset0:17 offset1:18
	v_pk_add_f32 v[10:11], v[10:11], v[78:79] neg_lo:[0,1] neg_hi:[0,1]
	v_pk_add_f32 v[50:51], v[50:51], v[76:77] neg_lo:[0,1] neg_hi:[0,1]
	s_wait_dscnt 0x0
	v_pk_mul_f32 v[76:77], v[72:73], v[62:63] op_sel:[0,1]
	s_delay_alu instid0(VALU_DEP_1) | instskip(SKIP_1) | instid1(VALU_DEP_1)
	v_pk_fma_f32 v[78:79], v[72:73], v[64:65], v[76:77] op_sel:[0,0,1] op_sel_hi:[1,1,0] neg_lo:[0,0,1] neg_hi:[0,0,1]
	v_pk_fma_f32 v[72:73], v[72:73], v[64:65], v[76:77] op_sel:[0,0,1] op_sel_hi:[1,0,0]
	v_mov_b32_e32 v79, v73
	v_pk_mul_f32 v[72:73], v[74:75], v[62:63] op_sel:[0,1]
	s_delay_alu instid0(VALU_DEP_1) | instskip(SKIP_1) | instid1(VALU_DEP_1)
	v_pk_fma_f32 v[76:77], v[74:75], v[64:65], v[72:73] op_sel:[0,0,1] op_sel_hi:[1,1,0] neg_lo:[0,0,1] neg_hi:[0,0,1]
	v_pk_fma_f32 v[72:73], v[74:75], v[64:65], v[72:73] op_sel:[0,0,1] op_sel_hi:[1,0,0]
	v_mov_b32_e32 v77, v73
	ds_load_2addr_b64 v[72:75], v66 offset0:19 offset1:20
	v_pk_add_f32 v[46:47], v[46:47], v[78:79] neg_lo:[0,1] neg_hi:[0,1]
	v_pk_add_f32 v[48:49], v[48:49], v[76:77] neg_lo:[0,1] neg_hi:[0,1]
	s_wait_dscnt 0x0
	v_dual_mul_f32 v76, v73, v63 :: v_dual_mul_f32 v78, v73, v64
	s_delay_alu instid0(VALU_DEP_1) | instskip(NEXT) | instid1(VALU_DEP_2)
	v_pk_fma_f32 v[76:77], v[72:73], v[36:37], v[76:77] op_sel_hi:[1,1,0] neg_lo:[0,0,1] neg_hi:[0,0,1]
	v_pk_fma_f32 v[72:73], v[72:73], v[36:37], v[78:79] op_sel:[1,0,0] op_sel_hi:[0,1,0]
	s_delay_alu instid0(VALU_DEP_1) | instskip(SKIP_1) | instid1(VALU_DEP_2)
	v_mov_b32_e32 v77, v73
	v_pk_mul_f32 v[72:73], v[74:75], v[62:63] op_sel:[0,1]
	v_pk_add_f32 v[12:13], v[12:13], v[76:77] neg_lo:[0,1] neg_hi:[0,1]
	s_delay_alu instid0(VALU_DEP_2) | instskip(SKIP_1) | instid1(VALU_DEP_1)
	v_pk_fma_f32 v[76:77], v[74:75], v[64:65], v[72:73] op_sel:[0,0,1] op_sel_hi:[1,1,0] neg_lo:[0,0,1] neg_hi:[0,0,1]
	v_pk_fma_f32 v[72:73], v[74:75], v[64:65], v[72:73] op_sel:[0,0,1] op_sel_hi:[1,0,0]
	v_mov_b32_e32 v77, v73
	ds_load_2addr_b64 v[72:75], v66 offset0:21 offset1:22
	v_pk_add_f32 v[26:27], v[26:27], v[76:77] neg_lo:[0,1] neg_hi:[0,1]
	s_wait_dscnt 0x0
	v_pk_mul_f32 v[76:77], v[72:73], v[62:63] op_sel:[0,1]
	s_delay_alu instid0(VALU_DEP_1) | instskip(SKIP_1) | instid1(VALU_DEP_1)
	v_pk_fma_f32 v[78:79], v[72:73], v[64:65], v[76:77] op_sel:[0,0,1] op_sel_hi:[1,1,0] neg_lo:[0,0,1] neg_hi:[0,0,1]
	v_pk_fma_f32 v[72:73], v[72:73], v[64:65], v[76:77] op_sel:[0,0,1] op_sel_hi:[1,0,0]
	v_mov_b32_e32 v79, v73
	v_pk_mul_f32 v[72:73], v[74:75], v[62:63] op_sel:[0,1]
	s_delay_alu instid0(VALU_DEP_2) | instskip(NEXT) | instid1(VALU_DEP_2)
	v_pk_add_f32 v[22:23], v[22:23], v[78:79] neg_lo:[0,1] neg_hi:[0,1]
	v_pk_fma_f32 v[76:77], v[74:75], v[64:65], v[72:73] op_sel:[0,0,1] op_sel_hi:[1,1,0] neg_lo:[0,0,1] neg_hi:[0,0,1]
	v_pk_fma_f32 v[72:73], v[74:75], v[64:65], v[72:73] op_sel:[0,0,1] op_sel_hi:[1,0,0]
	s_delay_alu instid0(VALU_DEP_1) | instskip(SKIP_4) | instid1(VALU_DEP_1)
	v_mov_b32_e32 v77, v73
	ds_load_2addr_b64 v[72:75], v66 offset0:23 offset1:24
	v_pk_add_f32 v[24:25], v[24:25], v[76:77] neg_lo:[0,1] neg_hi:[0,1]
	s_wait_dscnt 0x0
	v_pk_mul_f32 v[76:77], v[72:73], v[62:63] op_sel:[0,1]
	v_pk_fma_f32 v[78:79], v[72:73], v[64:65], v[76:77] op_sel:[0,0,1] op_sel_hi:[1,1,0] neg_lo:[0,0,1] neg_hi:[0,0,1]
	v_pk_fma_f32 v[72:73], v[72:73], v[64:65], v[76:77] op_sel:[0,0,1] op_sel_hi:[1,0,0]
	v_dual_mul_f32 v76, v75, v63 :: v_dual_mov_b32 v72, v75
	s_delay_alu instid0(VALU_DEP_2) | instskip(NEXT) | instid1(VALU_DEP_2)
	v_dual_mov_b32 v79, v73 :: v_dual_mov_b32 v73, v74
	v_pk_fma_f32 v[76:77], v[74:75], v[36:37], v[76:77] op_sel_hi:[1,1,0] neg_lo:[0,0,1] neg_hi:[0,0,1]
	v_mul_f32_e32 v74, v75, v64
	s_delay_alu instid0(VALU_DEP_3) | instskip(NEXT) | instid1(VALU_DEP_2)
	v_pk_add_f32 v[14:15], v[14:15], v[78:79] neg_lo:[0,1] neg_hi:[0,1]
	v_pk_fma_f32 v[72:73], v[72:73], v[36:37], v[74:75] op_sel_hi:[1,1,0]
	s_delay_alu instid0(VALU_DEP_1) | instskip(SKIP_4) | instid1(VALU_DEP_1)
	v_mov_b32_e32 v77, v73
	ds_load_2addr_b64 v[72:75], v66 offset0:25 offset1:26
	v_pk_add_f32 v[20:21], v[20:21], v[76:77] neg_lo:[0,1] neg_hi:[0,1]
	s_wait_dscnt 0x0
	v_pk_mul_f32 v[76:77], v[72:73], v[62:63] op_sel:[0,1]
	v_pk_fma_f32 v[78:79], v[72:73], v[64:65], v[76:77] op_sel:[0,0,1] op_sel_hi:[1,1,0] neg_lo:[0,0,1] neg_hi:[0,0,1]
	v_pk_fma_f32 v[72:73], v[72:73], v[64:65], v[76:77] op_sel:[0,0,1] op_sel_hi:[1,0,0]
	s_delay_alu instid0(VALU_DEP_1) | instskip(SKIP_1) | instid1(VALU_DEP_1)
	v_mov_b32_e32 v79, v73
	v_pk_mul_f32 v[72:73], v[74:75], v[62:63] op_sel:[0,1]
	v_pk_fma_f32 v[76:77], v[74:75], v[64:65], v[72:73] op_sel:[0,0,1] op_sel_hi:[1,1,0] neg_lo:[0,0,1] neg_hi:[0,0,1]
	v_pk_fma_f32 v[72:73], v[74:75], v[64:65], v[72:73] op_sel:[0,0,1] op_sel_hi:[1,0,0]
	s_delay_alu instid0(VALU_DEP_1)
	v_mov_b32_e32 v77, v73
	ds_load_b64 v[72:73], v66 offset:216
	v_pk_add_f32 v[18:19], v[18:19], v[78:79] neg_lo:[0,1] neg_hi:[0,1]
	v_pk_add_f32 v[16:17], v[16:17], v[76:77] neg_lo:[0,1] neg_hi:[0,1]
	s_wait_dscnt 0x0
	v_pk_mul_f32 v[62:63], v[72:73], v[62:63] op_sel:[0,1]
	s_delay_alu instid0(VALU_DEP_1) | instskip(SKIP_1) | instid1(VALU_DEP_1)
	v_pk_fma_f32 v[74:75], v[72:73], v[64:65], v[62:63] op_sel:[0,0,1] op_sel_hi:[1,1,0] neg_lo:[0,0,1] neg_hi:[0,0,1]
	v_pk_fma_f32 v[62:63], v[72:73], v[64:65], v[62:63] op_sel:[0,0,1] op_sel_hi:[1,0,0]
	v_mov_b32_e32 v75, v63
	s_delay_alu instid0(VALU_DEP_1)
	v_pk_add_f32 v[60:61], v[60:61], v[74:75] neg_lo:[0,1] neg_hi:[0,1]
.LBB54_230:
	s_or_b32 exec_lo, exec_lo, s0
	v_lshl_add_u32 v62, v70, 3, v66
	s_barrier_signal -1
	s_barrier_wait -1
	ds_store_b64 v62, v[8:9]
	s_wait_dscnt 0x0
	s_barrier_signal -1
	s_barrier_wait -1
	ds_load_b64 v[62:63], v66 offset:88
	v_mov_b32_e32 v64, 11
	s_cmp_lt_i32 s18, 13
	s_cbranch_scc1 .LBB54_233
; %bb.231:
	v_add3_u32 v65, v67, 0, 0x60
	v_mov_b32_e32 v64, 11
	s_mov_b32 s0, 12
.LBB54_232:                             ; =>This Inner Loop Header: Depth=1
	ds_load_b64 v[72:73], v65
	s_wait_dscnt 0x1
	v_cmp_gt_f32_e32 vcc_lo, 0, v62
	v_cndmask_b32_e64 v74, v62, -v62, vcc_lo
	v_cmp_gt_f32_e32 vcc_lo, 0, v63
	v_cndmask_b32_e64 v76, v63, -v63, vcc_lo
	s_wait_dscnt 0x0
	v_cmp_gt_f32_e32 vcc_lo, 0, v72
	v_cndmask_b32_e64 v75, v72, -v72, vcc_lo
	v_cmp_gt_f32_e32 vcc_lo, 0, v73
	v_cndmask_b32_e64 v77, v73, -v73, vcc_lo
	s_delay_alu instid0(VALU_DEP_1) | instskip(NEXT) | instid1(VALU_DEP_1)
	v_pk_add_f32 v[74:75], v[74:75], v[76:77]
	v_cmp_lt_f32_e32 vcc_lo, v74, v75
	v_dual_cndmask_b32 v62, v62, v72 :: v_dual_add_nc_u32 v65, 8, v65
	v_cndmask_b32_e32 v63, v63, v73, vcc_lo
	v_cndmask_b32_e64 v64, v64, s0, vcc_lo
	s_add_co_i32 s0, s0, 1
	s_delay_alu instid0(SALU_CYCLE_1)
	s_cmp_lg_u32 s18, s0
	s_cbranch_scc1 .LBB54_232
.LBB54_233:
	s_wait_dscnt 0x0
	v_cmp_eq_f32_e32 vcc_lo, 0, v62
	v_cmp_eq_f32_e64 s0, 0, v63
	s_and_b32 s0, vcc_lo, s0
	s_delay_alu instid0(SALU_CYCLE_1) | instskip(NEXT) | instid1(SALU_CYCLE_1)
	s_and_saveexec_b32 s1, s0
	s_xor_b32 s0, exec_lo, s1
; %bb.234:
	v_cmp_ne_u32_e32 vcc_lo, 0, v69
	v_cndmask_b32_e32 v69, 12, v69, vcc_lo
; %bb.235:
	s_and_not1_saveexec_b32 s0, s0
	s_cbranch_execz .LBB54_241
; %bb.236:
	v_cmp_ngt_f32_e64 s1, |v62|, |v63|
	s_and_saveexec_b32 s12, s1
	s_delay_alu instid0(SALU_CYCLE_1)
	s_xor_b32 s1, exec_lo, s12
	s_cbranch_execz .LBB54_238
; %bb.237:
	v_div_scale_f32 v65, null, v63, v63, v62
	v_div_scale_f32 v73, vcc_lo, v62, v63, v62
	s_delay_alu instid0(VALU_DEP_2) | instskip(SKIP_1) | instid1(TRANS32_DEP_1)
	v_rcp_f32_e32 v71, v65
	v_nop
	v_fma_f32 v72, -v65, v71, 1.0
	s_delay_alu instid0(VALU_DEP_1) | instskip(NEXT) | instid1(VALU_DEP_1)
	v_fmac_f32_e32 v71, v72, v71
	v_mul_f32_e32 v72, v73, v71
	s_delay_alu instid0(VALU_DEP_1) | instskip(NEXT) | instid1(VALU_DEP_1)
	v_fma_f32 v74, -v65, v72, v73
	v_fmac_f32_e32 v72, v74, v71
	s_delay_alu instid0(VALU_DEP_1) | instskip(NEXT) | instid1(VALU_DEP_1)
	v_fma_f32 v65, -v65, v72, v73
	v_div_fmas_f32 v65, v65, v71, v72
	s_delay_alu instid0(VALU_DEP_1) | instskip(NEXT) | instid1(VALU_DEP_1)
	v_div_fixup_f32 v65, v65, v63, v62
	v_fmac_f32_e32 v63, v62, v65
	s_delay_alu instid0(VALU_DEP_1) | instskip(SKIP_1) | instid1(VALU_DEP_2)
	v_div_scale_f32 v62, null, v63, v63, 1.0
	v_div_scale_f32 v73, vcc_lo, 1.0, v63, 1.0
	v_rcp_f32_e32 v71, v62
	v_nop
	s_delay_alu instid0(TRANS32_DEP_1) | instskip(NEXT) | instid1(VALU_DEP_1)
	v_fma_f32 v72, -v62, v71, 1.0
	v_fmac_f32_e32 v71, v72, v71
	s_delay_alu instid0(VALU_DEP_1) | instskip(NEXT) | instid1(VALU_DEP_1)
	v_mul_f32_e32 v72, v73, v71
	v_fma_f32 v74, -v62, v72, v73
	s_delay_alu instid0(VALU_DEP_1) | instskip(NEXT) | instid1(VALU_DEP_1)
	v_fmac_f32_e32 v72, v74, v71
	v_fma_f32 v62, -v62, v72, v73
	s_delay_alu instid0(VALU_DEP_1) | instskip(NEXT) | instid1(VALU_DEP_1)
	v_div_fmas_f32 v62, v62, v71, v72
	v_div_fixup_f32 v63, v62, v63, 1.0
	s_delay_alu instid0(VALU_DEP_1)
	v_mul_f32_e32 v62, v65, v63
	v_xor_b32_e32 v63, 0x80000000, v63
.LBB54_238:
	s_and_not1_saveexec_b32 s1, s1
	s_cbranch_execz .LBB54_240
; %bb.239:
	s_delay_alu instid0(VALU_DEP_1) | instskip(SKIP_1) | instid1(VALU_DEP_2)
	v_div_scale_f32 v65, null, v62, v62, v63
	v_div_scale_f32 v73, vcc_lo, v63, v62, v63
	v_rcp_f32_e32 v71, v65
	v_nop
	s_delay_alu instid0(TRANS32_DEP_1) | instskip(NEXT) | instid1(VALU_DEP_1)
	v_fma_f32 v72, -v65, v71, 1.0
	v_fmac_f32_e32 v71, v72, v71
	s_delay_alu instid0(VALU_DEP_1) | instskip(NEXT) | instid1(VALU_DEP_1)
	v_mul_f32_e32 v72, v73, v71
	v_fma_f32 v74, -v65, v72, v73
	s_delay_alu instid0(VALU_DEP_1) | instskip(NEXT) | instid1(VALU_DEP_1)
	v_fmac_f32_e32 v72, v74, v71
	v_fma_f32 v65, -v65, v72, v73
	s_delay_alu instid0(VALU_DEP_1) | instskip(NEXT) | instid1(VALU_DEP_1)
	v_div_fmas_f32 v65, v65, v71, v72
	v_div_fixup_f32 v65, v65, v62, v63
	s_delay_alu instid0(VALU_DEP_1) | instskip(NEXT) | instid1(VALU_DEP_1)
	v_fmac_f32_e32 v62, v63, v65
	v_div_scale_f32 v63, null, v62, v62, 1.0
	s_delay_alu instid0(VALU_DEP_1) | instskip(SKIP_1) | instid1(TRANS32_DEP_1)
	v_rcp_f32_e32 v71, v63
	v_nop
	v_fma_f32 v72, -v63, v71, 1.0
	s_delay_alu instid0(VALU_DEP_1) | instskip(SKIP_1) | instid1(VALU_DEP_1)
	v_fmac_f32_e32 v71, v72, v71
	v_div_scale_f32 v72, vcc_lo, 1.0, v62, 1.0
	v_mul_f32_e32 v73, v72, v71
	s_delay_alu instid0(VALU_DEP_1) | instskip(NEXT) | instid1(VALU_DEP_1)
	v_fma_f32 v74, -v63, v73, v72
	v_fmac_f32_e32 v73, v74, v71
	s_delay_alu instid0(VALU_DEP_1) | instskip(NEXT) | instid1(VALU_DEP_1)
	v_fma_f32 v63, -v63, v73, v72
	v_div_fmas_f32 v63, v63, v71, v73
	s_delay_alu instid0(VALU_DEP_1) | instskip(NEXT) | instid1(VALU_DEP_1)
	v_div_fixup_f32 v62, v63, v62, 1.0
	v_mul_f32_e64 v63, v65, -v62
.LBB54_240:
	s_or_b32 exec_lo, exec_lo, s1
.LBB54_241:
	s_delay_alu instid0(SALU_CYCLE_1) | instskip(NEXT) | instid1(SALU_CYCLE_1)
	s_or_b32 exec_lo, exec_lo, s0
	s_mov_b32 s0, exec_lo
	v_cmpx_ne_u32_e64 v70, v64
	s_xor_b32 s0, exec_lo, s0
	s_cbranch_execz .LBB54_247
; %bb.242:
	s_mov_b32 s1, exec_lo
	v_cmpx_eq_u32_e32 11, v70
	s_cbranch_execz .LBB54_246
; %bb.243:
	v_cmp_ne_u32_e32 vcc_lo, 11, v64
	s_xor_b32 s12, s16, -1
	s_delay_alu instid0(SALU_CYCLE_1) | instskip(NEXT) | instid1(SALU_CYCLE_1)
	s_and_b32 s13, s12, vcc_lo
	s_and_saveexec_b32 s12, s13
	s_cbranch_execz .LBB54_245
; %bb.244:
	v_ashrrev_i32_e32 v65, 31, v64
	s_delay_alu instid0(VALU_DEP_1)
	v_lshl_add_u64 v[70:71], v[64:65], 2, v[4:5]
	s_clause 0x1
	global_load_b32 v65, v[70:71], off
	global_load_b32 v68, v[4:5], off offset:44
	s_wait_loadcnt 0x1
	global_store_b32 v[4:5], v65, off offset:44
	s_wait_loadcnt 0x0
	global_store_b32 v[70:71], v68, off
.LBB54_245:
	s_wait_xcnt 0x0
	s_or_b32 exec_lo, exec_lo, s12
	v_dual_mov_b32 v70, v64 :: v_dual_mov_b32 v68, v64
.LBB54_246:
	s_or_b32 exec_lo, exec_lo, s1
.LBB54_247:
	s_and_not1_saveexec_b32 s0, s0
	s_cbranch_execz .LBB54_249
; %bb.248:
	v_dual_mov_b32 v64, v44 :: v_dual_mov_b32 v65, v45
	v_dual_mov_b32 v70, v40 :: v_dual_mov_b32 v71, v41
	;; [unrolled: 1-line block ×8, first 2 shown]
	ds_store_2addr_b64 v66, v[64:65], v[70:71] offset0:12 offset1:13
	ds_store_2addr_b64 v66, v[72:73], v[74:75] offset0:14 offset1:15
	;; [unrolled: 1-line block ×4, first 2 shown]
	v_dual_mov_b32 v64, v26 :: v_dual_mov_b32 v65, v27
	v_dual_mov_b32 v72, v22 :: v_dual_mov_b32 v73, v23
	;; [unrolled: 1-line block ×7, first 2 shown]
	v_mov_b32_e32 v83, v17
	ds_store_2addr_b64 v66, v[64:65], v[72:73] offset0:20 offset1:21
	ds_store_2addr_b64 v66, v[74:75], v[76:77] offset0:22 offset1:23
	ds_store_2addr_b64 v66, v[78:79], v[80:81] offset0:24 offset1:25
	ds_store_2addr_b64 v66, v[82:83], v[60:61] offset0:26 offset1:27
.LBB54_249:
	s_or_b32 exec_lo, exec_lo, s0
	s_delay_alu instid0(SALU_CYCLE_1)
	s_mov_b32 s0, exec_lo
	s_wait_storecnt_dscnt 0x0
	s_barrier_signal -1
	s_barrier_wait -1
	v_cmpx_lt_i32_e32 11, v70
	s_cbranch_execz .LBB54_251
; %bb.250:
	v_pk_mul_f32 v[72:73], v[62:63], v[8:9] op_sel:[1,1] op_sel_hi:[0,1]
	s_delay_alu instid0(VALU_DEP_1)
	v_pk_fma_f32 v[64:65], v[62:63], v[8:9], v[72:73] op_sel_hi:[1,0,1] neg_lo:[0,0,1] neg_hi:[0,0,1]
	v_pk_fma_f32 v[62:63], v[62:63], v[8:9], v[72:73] op_sel_hi:[1,0,1]
	ds_load_2addr_b64 v[72:75], v66 offset0:12 offset1:13
	v_dual_mov_b32 v8, v64 :: v_dual_mov_b32 v9, v63
	s_wait_dscnt 0x0
	v_pk_mul_f32 v[76:77], v[72:73], v[62:63] op_sel:[0,1]
	s_delay_alu instid0(VALU_DEP_1) | instskip(SKIP_1) | instid1(VALU_DEP_1)
	v_pk_fma_f32 v[78:79], v[72:73], v[64:65], v[76:77] op_sel:[0,0,1] op_sel_hi:[1,1,0] neg_lo:[0,0,1] neg_hi:[0,0,1]
	v_pk_fma_f32 v[72:73], v[72:73], v[64:65], v[76:77] op_sel:[0,0,1] op_sel_hi:[1,0,0]
	v_mov_b32_e32 v79, v73
	v_pk_mul_f32 v[72:73], v[74:75], v[62:63] op_sel:[0,1]
	s_delay_alu instid0(VALU_DEP_1) | instskip(SKIP_1) | instid1(VALU_DEP_1)
	v_pk_fma_f32 v[76:77], v[74:75], v[64:65], v[72:73] op_sel:[0,0,1] op_sel_hi:[1,1,0] neg_lo:[0,0,1] neg_hi:[0,0,1]
	v_pk_fma_f32 v[72:73], v[74:75], v[64:65], v[72:73] op_sel:[0,0,1] op_sel_hi:[1,0,0]
	v_mov_b32_e32 v77, v73
	ds_load_2addr_b64 v[72:75], v66 offset0:14 offset1:15
	v_pk_add_f32 v[44:45], v[44:45], v[78:79] neg_lo:[0,1] neg_hi:[0,1]
	v_pk_add_f32 v[40:41], v[40:41], v[76:77] neg_lo:[0,1] neg_hi:[0,1]
	s_wait_dscnt 0x0
	v_pk_mul_f32 v[76:77], v[72:73], v[62:63] op_sel:[0,1]
	s_delay_alu instid0(VALU_DEP_1) | instskip(SKIP_2) | instid1(VALU_DEP_2)
	v_pk_fma_f32 v[78:79], v[72:73], v[64:65], v[76:77] op_sel:[0,0,1] op_sel_hi:[1,1,0] neg_lo:[0,0,1] neg_hi:[0,0,1]
	v_pk_fma_f32 v[72:73], v[72:73], v[64:65], v[76:77] op_sel:[0,0,1] op_sel_hi:[1,0,0]
	v_dual_mul_f32 v76, v75, v63 :: v_dual_mov_b32 v72, v75
	v_dual_mov_b32 v79, v73 :: v_dual_mov_b32 v73, v74
	s_delay_alu instid0(VALU_DEP_2) | instskip(SKIP_1) | instid1(VALU_DEP_3)
	v_pk_fma_f32 v[76:77], v[74:75], v[8:9], v[76:77] op_sel_hi:[1,1,0] neg_lo:[0,0,1] neg_hi:[0,0,1]
	v_mul_f32_e32 v74, v75, v64
	v_pk_add_f32 v[42:43], v[42:43], v[78:79] neg_lo:[0,1] neg_hi:[0,1]
	s_delay_alu instid0(VALU_DEP_2) | instskip(NEXT) | instid1(VALU_DEP_1)
	v_pk_fma_f32 v[72:73], v[72:73], v[8:9], v[74:75] op_sel_hi:[1,1,0]
	v_mov_b32_e32 v77, v73
	ds_load_2addr_b64 v[72:75], v66 offset0:16 offset1:17
	v_pk_add_f32 v[10:11], v[10:11], v[76:77] neg_lo:[0,1] neg_hi:[0,1]
	s_wait_dscnt 0x0
	v_pk_mul_f32 v[76:77], v[72:73], v[62:63] op_sel:[0,1]
	s_delay_alu instid0(VALU_DEP_1) | instskip(SKIP_1) | instid1(VALU_DEP_1)
	v_pk_fma_f32 v[78:79], v[72:73], v[64:65], v[76:77] op_sel:[0,0,1] op_sel_hi:[1,1,0] neg_lo:[0,0,1] neg_hi:[0,0,1]
	v_pk_fma_f32 v[72:73], v[72:73], v[64:65], v[76:77] op_sel:[0,0,1] op_sel_hi:[1,0,0]
	v_mov_b32_e32 v79, v73
	v_pk_mul_f32 v[72:73], v[74:75], v[62:63] op_sel:[0,1]
	s_delay_alu instid0(VALU_DEP_1) | instskip(SKIP_1) | instid1(VALU_DEP_1)
	v_pk_fma_f32 v[76:77], v[74:75], v[64:65], v[72:73] op_sel:[0,0,1] op_sel_hi:[1,1,0] neg_lo:[0,0,1] neg_hi:[0,0,1]
	v_pk_fma_f32 v[72:73], v[74:75], v[64:65], v[72:73] op_sel:[0,0,1] op_sel_hi:[1,0,0]
	v_mov_b32_e32 v77, v73
	ds_load_2addr_b64 v[72:75], v66 offset0:18 offset1:19
	v_pk_add_f32 v[50:51], v[50:51], v[78:79] neg_lo:[0,1] neg_hi:[0,1]
	v_pk_add_f32 v[46:47], v[46:47], v[76:77] neg_lo:[0,1] neg_hi:[0,1]
	s_wait_dscnt 0x0
	v_pk_mul_f32 v[76:77], v[72:73], v[62:63] op_sel:[0,1]
	s_delay_alu instid0(VALU_DEP_1) | instskip(SKIP_1) | instid1(VALU_DEP_1)
	v_pk_fma_f32 v[78:79], v[72:73], v[64:65], v[76:77] op_sel:[0,0,1] op_sel_hi:[1,1,0] neg_lo:[0,0,1] neg_hi:[0,0,1]
	v_pk_fma_f32 v[72:73], v[72:73], v[64:65], v[76:77] op_sel:[0,0,1] op_sel_hi:[1,0,0]
	v_mov_b32_e32 v79, v73
	v_pk_mul_f32 v[72:73], v[74:75], v[62:63] op_sel:[0,1]
	s_delay_alu instid0(VALU_DEP_1) | instskip(SKIP_1) | instid1(VALU_DEP_1)
	v_pk_fma_f32 v[76:77], v[74:75], v[64:65], v[72:73] op_sel:[0,0,1] op_sel_hi:[1,1,0] neg_lo:[0,0,1] neg_hi:[0,0,1]
	v_pk_fma_f32 v[72:73], v[74:75], v[64:65], v[72:73] op_sel:[0,0,1] op_sel_hi:[1,0,0]
	v_mov_b32_e32 v77, v73
	ds_load_2addr_b64 v[72:75], v66 offset0:20 offset1:21
	v_pk_add_f32 v[48:49], v[48:49], v[78:79] neg_lo:[0,1] neg_hi:[0,1]
	v_pk_add_f32 v[12:13], v[12:13], v[76:77] neg_lo:[0,1] neg_hi:[0,1]
	s_wait_dscnt 0x0
	v_dual_mul_f32 v76, v73, v63 :: v_dual_mul_f32 v78, v73, v64
	s_delay_alu instid0(VALU_DEP_1) | instskip(NEXT) | instid1(VALU_DEP_2)
	v_pk_fma_f32 v[76:77], v[72:73], v[8:9], v[76:77] op_sel_hi:[1,1,0] neg_lo:[0,0,1] neg_hi:[0,0,1]
	v_pk_fma_f32 v[72:73], v[72:73], v[8:9], v[78:79] op_sel:[1,0,0] op_sel_hi:[0,1,0]
	s_delay_alu instid0(VALU_DEP_1) | instskip(SKIP_1) | instid1(VALU_DEP_2)
	v_mov_b32_e32 v77, v73
	v_pk_mul_f32 v[72:73], v[74:75], v[62:63] op_sel:[0,1]
	v_pk_add_f32 v[26:27], v[26:27], v[76:77] neg_lo:[0,1] neg_hi:[0,1]
	s_delay_alu instid0(VALU_DEP_2) | instskip(SKIP_1) | instid1(VALU_DEP_1)
	v_pk_fma_f32 v[76:77], v[74:75], v[64:65], v[72:73] op_sel:[0,0,1] op_sel_hi:[1,1,0] neg_lo:[0,0,1] neg_hi:[0,0,1]
	v_pk_fma_f32 v[72:73], v[74:75], v[64:65], v[72:73] op_sel:[0,0,1] op_sel_hi:[1,0,0]
	v_mov_b32_e32 v77, v73
	ds_load_2addr_b64 v[72:75], v66 offset0:22 offset1:23
	v_pk_add_f32 v[22:23], v[22:23], v[76:77] neg_lo:[0,1] neg_hi:[0,1]
	s_wait_dscnt 0x0
	v_pk_mul_f32 v[76:77], v[72:73], v[62:63] op_sel:[0,1]
	s_delay_alu instid0(VALU_DEP_1) | instskip(SKIP_1) | instid1(VALU_DEP_1)
	v_pk_fma_f32 v[78:79], v[72:73], v[64:65], v[76:77] op_sel:[0,0,1] op_sel_hi:[1,1,0] neg_lo:[0,0,1] neg_hi:[0,0,1]
	v_pk_fma_f32 v[72:73], v[72:73], v[64:65], v[76:77] op_sel:[0,0,1] op_sel_hi:[1,0,0]
	v_mov_b32_e32 v79, v73
	v_pk_mul_f32 v[72:73], v[74:75], v[62:63] op_sel:[0,1]
	s_delay_alu instid0(VALU_DEP_2) | instskip(NEXT) | instid1(VALU_DEP_2)
	v_pk_add_f32 v[24:25], v[24:25], v[78:79] neg_lo:[0,1] neg_hi:[0,1]
	v_pk_fma_f32 v[76:77], v[74:75], v[64:65], v[72:73] op_sel:[0,0,1] op_sel_hi:[1,1,0] neg_lo:[0,0,1] neg_hi:[0,0,1]
	v_pk_fma_f32 v[72:73], v[74:75], v[64:65], v[72:73] op_sel:[0,0,1] op_sel_hi:[1,0,0]
	s_delay_alu instid0(VALU_DEP_1) | instskip(SKIP_4) | instid1(VALU_DEP_1)
	v_mov_b32_e32 v77, v73
	ds_load_2addr_b64 v[72:75], v66 offset0:24 offset1:25
	v_pk_add_f32 v[14:15], v[14:15], v[76:77] neg_lo:[0,1] neg_hi:[0,1]
	s_wait_dscnt 0x0
	v_pk_mul_f32 v[76:77], v[72:73], v[62:63] op_sel:[0,1]
	v_pk_fma_f32 v[78:79], v[72:73], v[64:65], v[76:77] op_sel:[0,0,1] op_sel_hi:[1,1,0] neg_lo:[0,0,1] neg_hi:[0,0,1]
	v_pk_fma_f32 v[72:73], v[72:73], v[64:65], v[76:77] op_sel:[0,0,1] op_sel_hi:[1,0,0]
	v_dual_mul_f32 v76, v75, v63 :: v_dual_mov_b32 v72, v75
	s_delay_alu instid0(VALU_DEP_2) | instskip(NEXT) | instid1(VALU_DEP_2)
	v_dual_mov_b32 v79, v73 :: v_dual_mov_b32 v73, v74
	v_pk_fma_f32 v[76:77], v[74:75], v[8:9], v[76:77] op_sel_hi:[1,1,0] neg_lo:[0,0,1] neg_hi:[0,0,1]
	v_mul_f32_e32 v74, v75, v64
	s_delay_alu instid0(VALU_DEP_3) | instskip(NEXT) | instid1(VALU_DEP_2)
	v_pk_add_f32 v[20:21], v[20:21], v[78:79] neg_lo:[0,1] neg_hi:[0,1]
	v_pk_fma_f32 v[72:73], v[72:73], v[8:9], v[74:75] op_sel_hi:[1,1,0]
	s_delay_alu instid0(VALU_DEP_1)
	v_mov_b32_e32 v77, v73
	ds_load_2addr_b64 v[72:75], v66 offset0:26 offset1:27
	v_pk_add_f32 v[18:19], v[18:19], v[76:77] neg_lo:[0,1] neg_hi:[0,1]
	s_wait_dscnt 0x0
	v_pk_mul_f32 v[76:77], v[72:73], v[62:63] op_sel:[0,1]
	v_pk_mul_f32 v[62:63], v[74:75], v[62:63] op_sel:[0,1]
	s_delay_alu instid0(VALU_DEP_2) | instskip(SKIP_1) | instid1(VALU_DEP_1)
	v_pk_fma_f32 v[78:79], v[72:73], v[64:65], v[76:77] op_sel:[0,0,1] op_sel_hi:[1,1,0] neg_lo:[0,0,1] neg_hi:[0,0,1]
	v_pk_fma_f32 v[72:73], v[72:73], v[64:65], v[76:77] op_sel:[0,0,1] op_sel_hi:[1,0,0]
	v_mov_b32_e32 v79, v73
	s_delay_alu instid0(VALU_DEP_4) | instskip(SKIP_1) | instid1(VALU_DEP_1)
	v_pk_fma_f32 v[72:73], v[74:75], v[64:65], v[62:63] op_sel:[0,0,1] op_sel_hi:[1,1,0] neg_lo:[0,0,1] neg_hi:[0,0,1]
	v_pk_fma_f32 v[62:63], v[74:75], v[64:65], v[62:63] op_sel:[0,0,1] op_sel_hi:[1,0,0]
	v_mov_b32_e32 v73, v63
	s_delay_alu instid0(VALU_DEP_4) | instskip(NEXT) | instid1(VALU_DEP_2)
	v_pk_add_f32 v[16:17], v[16:17], v[78:79] neg_lo:[0,1] neg_hi:[0,1]
	v_pk_add_f32 v[60:61], v[60:61], v[72:73] neg_lo:[0,1] neg_hi:[0,1]
.LBB54_251:
	s_or_b32 exec_lo, exec_lo, s0
	v_lshl_add_u32 v62, v70, 3, v66
	s_barrier_signal -1
	s_barrier_wait -1
	ds_store_b64 v62, v[44:45]
	s_wait_dscnt 0x0
	s_barrier_signal -1
	s_barrier_wait -1
	ds_load_b64 v[62:63], v66 offset:96
	v_mov_b32_e32 v64, 12
	s_cmp_lt_i32 s18, 14
	s_cbranch_scc1 .LBB54_254
; %bb.252:
	v_add3_u32 v65, v67, 0, 0x68
	v_mov_b32_e32 v64, 12
	s_mov_b32 s0, 13
.LBB54_253:                             ; =>This Inner Loop Header: Depth=1
	ds_load_b64 v[72:73], v65
	s_wait_dscnt 0x1
	v_cmp_gt_f32_e32 vcc_lo, 0, v62
	v_cndmask_b32_e64 v74, v62, -v62, vcc_lo
	v_cmp_gt_f32_e32 vcc_lo, 0, v63
	v_cndmask_b32_e64 v76, v63, -v63, vcc_lo
	s_wait_dscnt 0x0
	v_cmp_gt_f32_e32 vcc_lo, 0, v72
	v_cndmask_b32_e64 v75, v72, -v72, vcc_lo
	v_cmp_gt_f32_e32 vcc_lo, 0, v73
	v_cndmask_b32_e64 v77, v73, -v73, vcc_lo
	s_delay_alu instid0(VALU_DEP_1) | instskip(NEXT) | instid1(VALU_DEP_1)
	v_pk_add_f32 v[74:75], v[74:75], v[76:77]
	v_cmp_lt_f32_e32 vcc_lo, v74, v75
	v_dual_cndmask_b32 v62, v62, v72 :: v_dual_add_nc_u32 v65, 8, v65
	v_cndmask_b32_e32 v63, v63, v73, vcc_lo
	v_cndmask_b32_e64 v64, v64, s0, vcc_lo
	s_add_co_i32 s0, s0, 1
	s_delay_alu instid0(SALU_CYCLE_1)
	s_cmp_lg_u32 s18, s0
	s_cbranch_scc1 .LBB54_253
.LBB54_254:
	s_wait_dscnt 0x0
	v_cmp_eq_f32_e32 vcc_lo, 0, v62
	v_cmp_eq_f32_e64 s0, 0, v63
	s_and_b32 s0, vcc_lo, s0
	s_delay_alu instid0(SALU_CYCLE_1) | instskip(NEXT) | instid1(SALU_CYCLE_1)
	s_and_saveexec_b32 s1, s0
	s_xor_b32 s0, exec_lo, s1
; %bb.255:
	v_cmp_ne_u32_e32 vcc_lo, 0, v69
	v_cndmask_b32_e32 v69, 13, v69, vcc_lo
; %bb.256:
	s_and_not1_saveexec_b32 s0, s0
	s_cbranch_execz .LBB54_262
; %bb.257:
	v_cmp_ngt_f32_e64 s1, |v62|, |v63|
	s_and_saveexec_b32 s12, s1
	s_delay_alu instid0(SALU_CYCLE_1)
	s_xor_b32 s1, exec_lo, s12
	s_cbranch_execz .LBB54_259
; %bb.258:
	v_div_scale_f32 v65, null, v63, v63, v62
	v_div_scale_f32 v73, vcc_lo, v62, v63, v62
	s_delay_alu instid0(VALU_DEP_2) | instskip(SKIP_1) | instid1(TRANS32_DEP_1)
	v_rcp_f32_e32 v71, v65
	v_nop
	v_fma_f32 v72, -v65, v71, 1.0
	s_delay_alu instid0(VALU_DEP_1) | instskip(NEXT) | instid1(VALU_DEP_1)
	v_fmac_f32_e32 v71, v72, v71
	v_mul_f32_e32 v72, v73, v71
	s_delay_alu instid0(VALU_DEP_1) | instskip(NEXT) | instid1(VALU_DEP_1)
	v_fma_f32 v74, -v65, v72, v73
	v_fmac_f32_e32 v72, v74, v71
	s_delay_alu instid0(VALU_DEP_1) | instskip(NEXT) | instid1(VALU_DEP_1)
	v_fma_f32 v65, -v65, v72, v73
	v_div_fmas_f32 v65, v65, v71, v72
	s_delay_alu instid0(VALU_DEP_1) | instskip(NEXT) | instid1(VALU_DEP_1)
	v_div_fixup_f32 v65, v65, v63, v62
	v_fmac_f32_e32 v63, v62, v65
	s_delay_alu instid0(VALU_DEP_1) | instskip(SKIP_1) | instid1(VALU_DEP_2)
	v_div_scale_f32 v62, null, v63, v63, 1.0
	v_div_scale_f32 v73, vcc_lo, 1.0, v63, 1.0
	v_rcp_f32_e32 v71, v62
	v_nop
	s_delay_alu instid0(TRANS32_DEP_1) | instskip(NEXT) | instid1(VALU_DEP_1)
	v_fma_f32 v72, -v62, v71, 1.0
	v_fmac_f32_e32 v71, v72, v71
	s_delay_alu instid0(VALU_DEP_1) | instskip(NEXT) | instid1(VALU_DEP_1)
	v_mul_f32_e32 v72, v73, v71
	v_fma_f32 v74, -v62, v72, v73
	s_delay_alu instid0(VALU_DEP_1) | instskip(NEXT) | instid1(VALU_DEP_1)
	v_fmac_f32_e32 v72, v74, v71
	v_fma_f32 v62, -v62, v72, v73
	s_delay_alu instid0(VALU_DEP_1) | instskip(NEXT) | instid1(VALU_DEP_1)
	v_div_fmas_f32 v62, v62, v71, v72
	v_div_fixup_f32 v63, v62, v63, 1.0
	s_delay_alu instid0(VALU_DEP_1)
	v_mul_f32_e32 v62, v65, v63
	v_xor_b32_e32 v63, 0x80000000, v63
.LBB54_259:
	s_and_not1_saveexec_b32 s1, s1
	s_cbranch_execz .LBB54_261
; %bb.260:
	s_delay_alu instid0(VALU_DEP_1) | instskip(SKIP_1) | instid1(VALU_DEP_2)
	v_div_scale_f32 v65, null, v62, v62, v63
	v_div_scale_f32 v73, vcc_lo, v63, v62, v63
	v_rcp_f32_e32 v71, v65
	v_nop
	s_delay_alu instid0(TRANS32_DEP_1) | instskip(NEXT) | instid1(VALU_DEP_1)
	v_fma_f32 v72, -v65, v71, 1.0
	v_fmac_f32_e32 v71, v72, v71
	s_delay_alu instid0(VALU_DEP_1) | instskip(NEXT) | instid1(VALU_DEP_1)
	v_mul_f32_e32 v72, v73, v71
	v_fma_f32 v74, -v65, v72, v73
	s_delay_alu instid0(VALU_DEP_1) | instskip(NEXT) | instid1(VALU_DEP_1)
	v_fmac_f32_e32 v72, v74, v71
	v_fma_f32 v65, -v65, v72, v73
	s_delay_alu instid0(VALU_DEP_1) | instskip(NEXT) | instid1(VALU_DEP_1)
	v_div_fmas_f32 v65, v65, v71, v72
	v_div_fixup_f32 v65, v65, v62, v63
	s_delay_alu instid0(VALU_DEP_1) | instskip(NEXT) | instid1(VALU_DEP_1)
	v_fmac_f32_e32 v62, v63, v65
	v_div_scale_f32 v63, null, v62, v62, 1.0
	s_delay_alu instid0(VALU_DEP_1) | instskip(SKIP_1) | instid1(TRANS32_DEP_1)
	v_rcp_f32_e32 v71, v63
	v_nop
	v_fma_f32 v72, -v63, v71, 1.0
	s_delay_alu instid0(VALU_DEP_1) | instskip(SKIP_1) | instid1(VALU_DEP_1)
	v_fmac_f32_e32 v71, v72, v71
	v_div_scale_f32 v72, vcc_lo, 1.0, v62, 1.0
	v_mul_f32_e32 v73, v72, v71
	s_delay_alu instid0(VALU_DEP_1) | instskip(NEXT) | instid1(VALU_DEP_1)
	v_fma_f32 v74, -v63, v73, v72
	v_fmac_f32_e32 v73, v74, v71
	s_delay_alu instid0(VALU_DEP_1) | instskip(NEXT) | instid1(VALU_DEP_1)
	v_fma_f32 v63, -v63, v73, v72
	v_div_fmas_f32 v63, v63, v71, v73
	s_delay_alu instid0(VALU_DEP_1) | instskip(NEXT) | instid1(VALU_DEP_1)
	v_div_fixup_f32 v62, v63, v62, 1.0
	v_mul_f32_e64 v63, v65, -v62
.LBB54_261:
	s_or_b32 exec_lo, exec_lo, s1
.LBB54_262:
	s_delay_alu instid0(SALU_CYCLE_1) | instskip(NEXT) | instid1(SALU_CYCLE_1)
	s_or_b32 exec_lo, exec_lo, s0
	s_mov_b32 s0, exec_lo
	v_cmpx_ne_u32_e64 v70, v64
	s_xor_b32 s0, exec_lo, s0
	s_cbranch_execz .LBB54_268
; %bb.263:
	s_mov_b32 s1, exec_lo
	v_cmpx_eq_u32_e32 12, v70
	s_cbranch_execz .LBB54_267
; %bb.264:
	v_cmp_ne_u32_e32 vcc_lo, 12, v64
	s_xor_b32 s12, s16, -1
	s_delay_alu instid0(SALU_CYCLE_1) | instskip(NEXT) | instid1(SALU_CYCLE_1)
	s_and_b32 s13, s12, vcc_lo
	s_and_saveexec_b32 s12, s13
	s_cbranch_execz .LBB54_266
; %bb.265:
	v_ashrrev_i32_e32 v65, 31, v64
	s_delay_alu instid0(VALU_DEP_1)
	v_lshl_add_u64 v[70:71], v[64:65], 2, v[4:5]
	s_clause 0x1
	global_load_b32 v65, v[70:71], off
	global_load_b32 v68, v[4:5], off offset:48
	s_wait_loadcnt 0x1
	global_store_b32 v[4:5], v65, off offset:48
	s_wait_loadcnt 0x0
	global_store_b32 v[70:71], v68, off
.LBB54_266:
	s_wait_xcnt 0x0
	s_or_b32 exec_lo, exec_lo, s12
	v_dual_mov_b32 v70, v64 :: v_dual_mov_b32 v68, v64
.LBB54_267:
	s_or_b32 exec_lo, exec_lo, s1
.LBB54_268:
	s_and_not1_saveexec_b32 s0, s0
	s_cbranch_execz .LBB54_270
; %bb.269:
	v_mov_b32_e32 v70, 12
	ds_store_2addr_b64 v66, v[40:41], v[42:43] offset0:13 offset1:14
	ds_store_2addr_b64 v66, v[10:11], v[50:51] offset0:15 offset1:16
	;; [unrolled: 1-line block ×7, first 2 shown]
	ds_store_b64 v66, v[60:61] offset:216
.LBB54_270:
	s_or_b32 exec_lo, exec_lo, s0
	s_delay_alu instid0(SALU_CYCLE_1)
	s_mov_b32 s0, exec_lo
	s_wait_storecnt_dscnt 0x0
	s_barrier_signal -1
	s_barrier_wait -1
	v_cmpx_lt_i32_e32 12, v70
	s_cbranch_execz .LBB54_272
; %bb.271:
	v_pk_mul_f32 v[72:73], v[62:63], v[44:45] op_sel:[1,1] op_sel_hi:[0,1]
	s_delay_alu instid0(VALU_DEP_1)
	v_pk_fma_f32 v[64:65], v[62:63], v[44:45], v[72:73] op_sel_hi:[1,0,1] neg_lo:[0,0,1] neg_hi:[0,0,1]
	v_pk_fma_f32 v[62:63], v[62:63], v[44:45], v[72:73] op_sel_hi:[1,0,1]
	ds_load_2addr_b64 v[72:75], v66 offset0:13 offset1:14
	v_dual_mov_b32 v44, v64 :: v_dual_mov_b32 v45, v63
	s_wait_dscnt 0x0
	v_pk_mul_f32 v[76:77], v[72:73], v[62:63] op_sel:[0,1]
	s_delay_alu instid0(VALU_DEP_1) | instskip(SKIP_1) | instid1(VALU_DEP_1)
	v_pk_fma_f32 v[78:79], v[72:73], v[64:65], v[76:77] op_sel:[0,0,1] op_sel_hi:[1,1,0] neg_lo:[0,0,1] neg_hi:[0,0,1]
	v_pk_fma_f32 v[72:73], v[72:73], v[64:65], v[76:77] op_sel:[0,0,1] op_sel_hi:[1,0,0]
	v_mov_b32_e32 v79, v73
	v_pk_mul_f32 v[72:73], v[74:75], v[62:63] op_sel:[0,1]
	s_delay_alu instid0(VALU_DEP_1) | instskip(SKIP_1) | instid1(VALU_DEP_1)
	v_pk_fma_f32 v[76:77], v[74:75], v[64:65], v[72:73] op_sel:[0,0,1] op_sel_hi:[1,1,0] neg_lo:[0,0,1] neg_hi:[0,0,1]
	v_pk_fma_f32 v[72:73], v[74:75], v[64:65], v[72:73] op_sel:[0,0,1] op_sel_hi:[1,0,0]
	v_mov_b32_e32 v77, v73
	ds_load_2addr_b64 v[72:75], v66 offset0:15 offset1:16
	v_pk_add_f32 v[40:41], v[40:41], v[78:79] neg_lo:[0,1] neg_hi:[0,1]
	v_pk_add_f32 v[42:43], v[42:43], v[76:77] neg_lo:[0,1] neg_hi:[0,1]
	s_wait_dscnt 0x0
	v_pk_mul_f32 v[76:77], v[72:73], v[62:63] op_sel:[0,1]
	s_delay_alu instid0(VALU_DEP_1) | instskip(SKIP_2) | instid1(VALU_DEP_2)
	v_pk_fma_f32 v[78:79], v[72:73], v[64:65], v[76:77] op_sel:[0,0,1] op_sel_hi:[1,1,0] neg_lo:[0,0,1] neg_hi:[0,0,1]
	v_pk_fma_f32 v[72:73], v[72:73], v[64:65], v[76:77] op_sel:[0,0,1] op_sel_hi:[1,0,0]
	v_dual_mul_f32 v76, v75, v63 :: v_dual_mov_b32 v72, v75
	v_dual_mov_b32 v79, v73 :: v_dual_mov_b32 v73, v74
	s_delay_alu instid0(VALU_DEP_2) | instskip(SKIP_1) | instid1(VALU_DEP_3)
	v_pk_fma_f32 v[76:77], v[74:75], v[44:45], v[76:77] op_sel_hi:[1,1,0] neg_lo:[0,0,1] neg_hi:[0,0,1]
	v_mul_f32_e32 v74, v75, v64
	v_pk_add_f32 v[10:11], v[10:11], v[78:79] neg_lo:[0,1] neg_hi:[0,1]
	s_delay_alu instid0(VALU_DEP_2) | instskip(NEXT) | instid1(VALU_DEP_1)
	v_pk_fma_f32 v[72:73], v[72:73], v[44:45], v[74:75] op_sel_hi:[1,1,0]
	v_mov_b32_e32 v77, v73
	ds_load_2addr_b64 v[72:75], v66 offset0:17 offset1:18
	v_pk_add_f32 v[50:51], v[50:51], v[76:77] neg_lo:[0,1] neg_hi:[0,1]
	s_wait_dscnt 0x0
	v_pk_mul_f32 v[76:77], v[72:73], v[62:63] op_sel:[0,1]
	s_delay_alu instid0(VALU_DEP_1) | instskip(SKIP_1) | instid1(VALU_DEP_1)
	v_pk_fma_f32 v[78:79], v[72:73], v[64:65], v[76:77] op_sel:[0,0,1] op_sel_hi:[1,1,0] neg_lo:[0,0,1] neg_hi:[0,0,1]
	v_pk_fma_f32 v[72:73], v[72:73], v[64:65], v[76:77] op_sel:[0,0,1] op_sel_hi:[1,0,0]
	v_mov_b32_e32 v79, v73
	v_pk_mul_f32 v[72:73], v[74:75], v[62:63] op_sel:[0,1]
	s_delay_alu instid0(VALU_DEP_1) | instskip(SKIP_1) | instid1(VALU_DEP_1)
	v_pk_fma_f32 v[76:77], v[74:75], v[64:65], v[72:73] op_sel:[0,0,1] op_sel_hi:[1,1,0] neg_lo:[0,0,1] neg_hi:[0,0,1]
	v_pk_fma_f32 v[72:73], v[74:75], v[64:65], v[72:73] op_sel:[0,0,1] op_sel_hi:[1,0,0]
	v_mov_b32_e32 v77, v73
	ds_load_2addr_b64 v[72:75], v66 offset0:19 offset1:20
	v_pk_add_f32 v[46:47], v[46:47], v[78:79] neg_lo:[0,1] neg_hi:[0,1]
	v_pk_add_f32 v[48:49], v[48:49], v[76:77] neg_lo:[0,1] neg_hi:[0,1]
	s_wait_dscnt 0x0
	v_pk_mul_f32 v[76:77], v[72:73], v[62:63] op_sel:[0,1]
	s_delay_alu instid0(VALU_DEP_1) | instskip(SKIP_1) | instid1(VALU_DEP_1)
	v_pk_fma_f32 v[78:79], v[72:73], v[64:65], v[76:77] op_sel:[0,0,1] op_sel_hi:[1,1,0] neg_lo:[0,0,1] neg_hi:[0,0,1]
	v_pk_fma_f32 v[72:73], v[72:73], v[64:65], v[76:77] op_sel:[0,0,1] op_sel_hi:[1,0,0]
	v_mov_b32_e32 v79, v73
	v_pk_mul_f32 v[72:73], v[74:75], v[62:63] op_sel:[0,1]
	s_delay_alu instid0(VALU_DEP_1) | instskip(SKIP_1) | instid1(VALU_DEP_1)
	v_pk_fma_f32 v[76:77], v[74:75], v[64:65], v[72:73] op_sel:[0,0,1] op_sel_hi:[1,1,0] neg_lo:[0,0,1] neg_hi:[0,0,1]
	v_pk_fma_f32 v[72:73], v[74:75], v[64:65], v[72:73] op_sel:[0,0,1] op_sel_hi:[1,0,0]
	v_mov_b32_e32 v77, v73
	ds_load_2addr_b64 v[72:75], v66 offset0:21 offset1:22
	v_pk_add_f32 v[12:13], v[12:13], v[78:79] neg_lo:[0,1] neg_hi:[0,1]
	v_pk_add_f32 v[26:27], v[26:27], v[76:77] neg_lo:[0,1] neg_hi:[0,1]
	s_wait_dscnt 0x0
	v_dual_mul_f32 v76, v73, v63 :: v_dual_mul_f32 v78, v73, v64
	s_delay_alu instid0(VALU_DEP_1) | instskip(NEXT) | instid1(VALU_DEP_2)
	v_pk_fma_f32 v[76:77], v[72:73], v[44:45], v[76:77] op_sel_hi:[1,1,0] neg_lo:[0,0,1] neg_hi:[0,0,1]
	v_pk_fma_f32 v[72:73], v[72:73], v[44:45], v[78:79] op_sel:[1,0,0] op_sel_hi:[0,1,0]
	s_delay_alu instid0(VALU_DEP_1) | instskip(SKIP_1) | instid1(VALU_DEP_2)
	v_mov_b32_e32 v77, v73
	v_pk_mul_f32 v[72:73], v[74:75], v[62:63] op_sel:[0,1]
	v_pk_add_f32 v[22:23], v[22:23], v[76:77] neg_lo:[0,1] neg_hi:[0,1]
	s_delay_alu instid0(VALU_DEP_2) | instskip(SKIP_1) | instid1(VALU_DEP_1)
	v_pk_fma_f32 v[76:77], v[74:75], v[64:65], v[72:73] op_sel:[0,0,1] op_sel_hi:[1,1,0] neg_lo:[0,0,1] neg_hi:[0,0,1]
	v_pk_fma_f32 v[72:73], v[74:75], v[64:65], v[72:73] op_sel:[0,0,1] op_sel_hi:[1,0,0]
	v_mov_b32_e32 v77, v73
	ds_load_2addr_b64 v[72:75], v66 offset0:23 offset1:24
	v_pk_add_f32 v[24:25], v[24:25], v[76:77] neg_lo:[0,1] neg_hi:[0,1]
	s_wait_dscnt 0x0
	v_pk_mul_f32 v[76:77], v[72:73], v[62:63] op_sel:[0,1]
	s_delay_alu instid0(VALU_DEP_1) | instskip(SKIP_1) | instid1(VALU_DEP_1)
	v_pk_fma_f32 v[78:79], v[72:73], v[64:65], v[76:77] op_sel:[0,0,1] op_sel_hi:[1,1,0] neg_lo:[0,0,1] neg_hi:[0,0,1]
	v_pk_fma_f32 v[72:73], v[72:73], v[64:65], v[76:77] op_sel:[0,0,1] op_sel_hi:[1,0,0]
	v_mov_b32_e32 v79, v73
	v_pk_mul_f32 v[72:73], v[74:75], v[62:63] op_sel:[0,1]
	s_delay_alu instid0(VALU_DEP_2) | instskip(NEXT) | instid1(VALU_DEP_2)
	v_pk_add_f32 v[14:15], v[14:15], v[78:79] neg_lo:[0,1] neg_hi:[0,1]
	v_pk_fma_f32 v[76:77], v[74:75], v[64:65], v[72:73] op_sel:[0,0,1] op_sel_hi:[1,1,0] neg_lo:[0,0,1] neg_hi:[0,0,1]
	v_pk_fma_f32 v[72:73], v[74:75], v[64:65], v[72:73] op_sel:[0,0,1] op_sel_hi:[1,0,0]
	s_delay_alu instid0(VALU_DEP_1) | instskip(SKIP_4) | instid1(VALU_DEP_1)
	v_mov_b32_e32 v77, v73
	ds_load_2addr_b64 v[72:75], v66 offset0:25 offset1:26
	v_pk_add_f32 v[20:21], v[20:21], v[76:77] neg_lo:[0,1] neg_hi:[0,1]
	s_wait_dscnt 0x0
	v_pk_mul_f32 v[76:77], v[72:73], v[62:63] op_sel:[0,1]
	v_pk_fma_f32 v[78:79], v[72:73], v[64:65], v[76:77] op_sel:[0,0,1] op_sel_hi:[1,1,0] neg_lo:[0,0,1] neg_hi:[0,0,1]
	v_pk_fma_f32 v[72:73], v[72:73], v[64:65], v[76:77] op_sel:[0,0,1] op_sel_hi:[1,0,0]
	v_dual_mul_f32 v76, v75, v63 :: v_dual_mov_b32 v72, v75
	s_delay_alu instid0(VALU_DEP_2) | instskip(NEXT) | instid1(VALU_DEP_2)
	v_dual_mov_b32 v79, v73 :: v_dual_mov_b32 v73, v74
	v_pk_fma_f32 v[76:77], v[74:75], v[44:45], v[76:77] op_sel_hi:[1,1,0] neg_lo:[0,0,1] neg_hi:[0,0,1]
	v_mul_f32_e32 v74, v75, v64
	s_delay_alu instid0(VALU_DEP_3) | instskip(NEXT) | instid1(VALU_DEP_2)
	v_pk_add_f32 v[18:19], v[18:19], v[78:79] neg_lo:[0,1] neg_hi:[0,1]
	v_pk_fma_f32 v[72:73], v[72:73], v[44:45], v[74:75] op_sel_hi:[1,1,0]
	s_delay_alu instid0(VALU_DEP_1) | instskip(SKIP_4) | instid1(VALU_DEP_1)
	v_mov_b32_e32 v77, v73
	ds_load_b64 v[72:73], v66 offset:216
	v_pk_add_f32 v[16:17], v[16:17], v[76:77] neg_lo:[0,1] neg_hi:[0,1]
	s_wait_dscnt 0x0
	v_pk_mul_f32 v[62:63], v[72:73], v[62:63] op_sel:[0,1]
	v_pk_fma_f32 v[74:75], v[72:73], v[64:65], v[62:63] op_sel:[0,0,1] op_sel_hi:[1,1,0] neg_lo:[0,0,1] neg_hi:[0,0,1]
	v_pk_fma_f32 v[62:63], v[72:73], v[64:65], v[62:63] op_sel:[0,0,1] op_sel_hi:[1,0,0]
	s_delay_alu instid0(VALU_DEP_1) | instskip(NEXT) | instid1(VALU_DEP_1)
	v_mov_b32_e32 v75, v63
	v_pk_add_f32 v[60:61], v[60:61], v[74:75] neg_lo:[0,1] neg_hi:[0,1]
.LBB54_272:
	s_or_b32 exec_lo, exec_lo, s0
	v_lshl_add_u32 v62, v70, 3, v66
	s_barrier_signal -1
	s_barrier_wait -1
	ds_store_b64 v62, v[40:41]
	s_wait_dscnt 0x0
	s_barrier_signal -1
	s_barrier_wait -1
	ds_load_b64 v[62:63], v66 offset:104
	v_mov_b32_e32 v64, 13
	s_cmp_lt_i32 s18, 15
	s_cbranch_scc1 .LBB54_275
; %bb.273:
	v_add3_u32 v65, v67, 0, 0x70
	v_mov_b32_e32 v64, 13
	s_mov_b32 s0, 14
.LBB54_274:                             ; =>This Inner Loop Header: Depth=1
	ds_load_b64 v[72:73], v65
	s_wait_dscnt 0x1
	v_cmp_gt_f32_e32 vcc_lo, 0, v62
	v_cndmask_b32_e64 v74, v62, -v62, vcc_lo
	v_cmp_gt_f32_e32 vcc_lo, 0, v63
	v_cndmask_b32_e64 v76, v63, -v63, vcc_lo
	s_wait_dscnt 0x0
	v_cmp_gt_f32_e32 vcc_lo, 0, v72
	v_cndmask_b32_e64 v75, v72, -v72, vcc_lo
	v_cmp_gt_f32_e32 vcc_lo, 0, v73
	v_cndmask_b32_e64 v77, v73, -v73, vcc_lo
	s_delay_alu instid0(VALU_DEP_1) | instskip(NEXT) | instid1(VALU_DEP_1)
	v_pk_add_f32 v[74:75], v[74:75], v[76:77]
	v_cmp_lt_f32_e32 vcc_lo, v74, v75
	v_dual_cndmask_b32 v62, v62, v72 :: v_dual_add_nc_u32 v65, 8, v65
	v_cndmask_b32_e32 v63, v63, v73, vcc_lo
	v_cndmask_b32_e64 v64, v64, s0, vcc_lo
	s_add_co_i32 s0, s0, 1
	s_delay_alu instid0(SALU_CYCLE_1)
	s_cmp_lg_u32 s18, s0
	s_cbranch_scc1 .LBB54_274
.LBB54_275:
	s_wait_dscnt 0x0
	v_cmp_eq_f32_e32 vcc_lo, 0, v62
	v_cmp_eq_f32_e64 s0, 0, v63
	s_and_b32 s0, vcc_lo, s0
	s_delay_alu instid0(SALU_CYCLE_1) | instskip(NEXT) | instid1(SALU_CYCLE_1)
	s_and_saveexec_b32 s1, s0
	s_xor_b32 s0, exec_lo, s1
; %bb.276:
	v_cmp_ne_u32_e32 vcc_lo, 0, v69
	v_cndmask_b32_e32 v69, 14, v69, vcc_lo
; %bb.277:
	s_and_not1_saveexec_b32 s0, s0
	s_cbranch_execz .LBB54_283
; %bb.278:
	v_cmp_ngt_f32_e64 s1, |v62|, |v63|
	s_and_saveexec_b32 s12, s1
	s_delay_alu instid0(SALU_CYCLE_1)
	s_xor_b32 s1, exec_lo, s12
	s_cbranch_execz .LBB54_280
; %bb.279:
	v_div_scale_f32 v65, null, v63, v63, v62
	v_div_scale_f32 v73, vcc_lo, v62, v63, v62
	s_delay_alu instid0(VALU_DEP_2) | instskip(SKIP_1) | instid1(TRANS32_DEP_1)
	v_rcp_f32_e32 v71, v65
	v_nop
	v_fma_f32 v72, -v65, v71, 1.0
	s_delay_alu instid0(VALU_DEP_1) | instskip(NEXT) | instid1(VALU_DEP_1)
	v_fmac_f32_e32 v71, v72, v71
	v_mul_f32_e32 v72, v73, v71
	s_delay_alu instid0(VALU_DEP_1) | instskip(NEXT) | instid1(VALU_DEP_1)
	v_fma_f32 v74, -v65, v72, v73
	v_fmac_f32_e32 v72, v74, v71
	s_delay_alu instid0(VALU_DEP_1) | instskip(NEXT) | instid1(VALU_DEP_1)
	v_fma_f32 v65, -v65, v72, v73
	v_div_fmas_f32 v65, v65, v71, v72
	s_delay_alu instid0(VALU_DEP_1) | instskip(NEXT) | instid1(VALU_DEP_1)
	v_div_fixup_f32 v65, v65, v63, v62
	v_fmac_f32_e32 v63, v62, v65
	s_delay_alu instid0(VALU_DEP_1) | instskip(SKIP_1) | instid1(VALU_DEP_2)
	v_div_scale_f32 v62, null, v63, v63, 1.0
	v_div_scale_f32 v73, vcc_lo, 1.0, v63, 1.0
	v_rcp_f32_e32 v71, v62
	v_nop
	s_delay_alu instid0(TRANS32_DEP_1) | instskip(NEXT) | instid1(VALU_DEP_1)
	v_fma_f32 v72, -v62, v71, 1.0
	v_fmac_f32_e32 v71, v72, v71
	s_delay_alu instid0(VALU_DEP_1) | instskip(NEXT) | instid1(VALU_DEP_1)
	v_mul_f32_e32 v72, v73, v71
	v_fma_f32 v74, -v62, v72, v73
	s_delay_alu instid0(VALU_DEP_1) | instskip(NEXT) | instid1(VALU_DEP_1)
	v_fmac_f32_e32 v72, v74, v71
	v_fma_f32 v62, -v62, v72, v73
	s_delay_alu instid0(VALU_DEP_1) | instskip(NEXT) | instid1(VALU_DEP_1)
	v_div_fmas_f32 v62, v62, v71, v72
	v_div_fixup_f32 v63, v62, v63, 1.0
	s_delay_alu instid0(VALU_DEP_1)
	v_mul_f32_e32 v62, v65, v63
	v_xor_b32_e32 v63, 0x80000000, v63
.LBB54_280:
	s_and_not1_saveexec_b32 s1, s1
	s_cbranch_execz .LBB54_282
; %bb.281:
	s_delay_alu instid0(VALU_DEP_1) | instskip(SKIP_1) | instid1(VALU_DEP_2)
	v_div_scale_f32 v65, null, v62, v62, v63
	v_div_scale_f32 v73, vcc_lo, v63, v62, v63
	v_rcp_f32_e32 v71, v65
	v_nop
	s_delay_alu instid0(TRANS32_DEP_1) | instskip(NEXT) | instid1(VALU_DEP_1)
	v_fma_f32 v72, -v65, v71, 1.0
	v_fmac_f32_e32 v71, v72, v71
	s_delay_alu instid0(VALU_DEP_1) | instskip(NEXT) | instid1(VALU_DEP_1)
	v_mul_f32_e32 v72, v73, v71
	v_fma_f32 v74, -v65, v72, v73
	s_delay_alu instid0(VALU_DEP_1) | instskip(NEXT) | instid1(VALU_DEP_1)
	v_fmac_f32_e32 v72, v74, v71
	v_fma_f32 v65, -v65, v72, v73
	s_delay_alu instid0(VALU_DEP_1) | instskip(NEXT) | instid1(VALU_DEP_1)
	v_div_fmas_f32 v65, v65, v71, v72
	v_div_fixup_f32 v65, v65, v62, v63
	s_delay_alu instid0(VALU_DEP_1) | instskip(NEXT) | instid1(VALU_DEP_1)
	v_fmac_f32_e32 v62, v63, v65
	v_div_scale_f32 v63, null, v62, v62, 1.0
	s_delay_alu instid0(VALU_DEP_1) | instskip(SKIP_1) | instid1(TRANS32_DEP_1)
	v_rcp_f32_e32 v71, v63
	v_nop
	v_fma_f32 v72, -v63, v71, 1.0
	s_delay_alu instid0(VALU_DEP_1) | instskip(SKIP_1) | instid1(VALU_DEP_1)
	v_fmac_f32_e32 v71, v72, v71
	v_div_scale_f32 v72, vcc_lo, 1.0, v62, 1.0
	v_mul_f32_e32 v73, v72, v71
	s_delay_alu instid0(VALU_DEP_1) | instskip(NEXT) | instid1(VALU_DEP_1)
	v_fma_f32 v74, -v63, v73, v72
	v_fmac_f32_e32 v73, v74, v71
	s_delay_alu instid0(VALU_DEP_1) | instskip(NEXT) | instid1(VALU_DEP_1)
	v_fma_f32 v63, -v63, v73, v72
	v_div_fmas_f32 v63, v63, v71, v73
	s_delay_alu instid0(VALU_DEP_1) | instskip(NEXT) | instid1(VALU_DEP_1)
	v_div_fixup_f32 v62, v63, v62, 1.0
	v_mul_f32_e64 v63, v65, -v62
.LBB54_282:
	s_or_b32 exec_lo, exec_lo, s1
.LBB54_283:
	s_delay_alu instid0(SALU_CYCLE_1) | instskip(NEXT) | instid1(SALU_CYCLE_1)
	s_or_b32 exec_lo, exec_lo, s0
	s_mov_b32 s0, exec_lo
	v_cmpx_ne_u32_e64 v70, v64
	s_xor_b32 s0, exec_lo, s0
	s_cbranch_execz .LBB54_289
; %bb.284:
	s_mov_b32 s1, exec_lo
	v_cmpx_eq_u32_e32 13, v70
	s_cbranch_execz .LBB54_288
; %bb.285:
	v_cmp_ne_u32_e32 vcc_lo, 13, v64
	s_xor_b32 s12, s16, -1
	s_delay_alu instid0(SALU_CYCLE_1) | instskip(NEXT) | instid1(SALU_CYCLE_1)
	s_and_b32 s13, s12, vcc_lo
	s_and_saveexec_b32 s12, s13
	s_cbranch_execz .LBB54_287
; %bb.286:
	v_ashrrev_i32_e32 v65, 31, v64
	s_delay_alu instid0(VALU_DEP_1)
	v_lshl_add_u64 v[70:71], v[64:65], 2, v[4:5]
	s_clause 0x1
	global_load_b32 v65, v[70:71], off
	global_load_b32 v68, v[4:5], off offset:52
	s_wait_loadcnt 0x1
	global_store_b32 v[4:5], v65, off offset:52
	s_wait_loadcnt 0x0
	global_store_b32 v[70:71], v68, off
.LBB54_287:
	s_wait_xcnt 0x0
	s_or_b32 exec_lo, exec_lo, s12
	v_dual_mov_b32 v70, v64 :: v_dual_mov_b32 v68, v64
.LBB54_288:
	s_or_b32 exec_lo, exec_lo, s1
.LBB54_289:
	s_and_not1_saveexec_b32 s0, s0
	s_cbranch_execz .LBB54_291
; %bb.290:
	v_dual_mov_b32 v64, v42 :: v_dual_mov_b32 v65, v43
	v_dual_mov_b32 v70, v10 :: v_dual_mov_b32 v71, v11
	;; [unrolled: 1-line block ×4, first 2 shown]
	ds_store_2addr_b64 v66, v[64:65], v[70:71] offset0:14 offset1:15
	ds_store_2addr_b64 v66, v[72:73], v[74:75] offset0:16 offset1:17
	v_dual_mov_b32 v64, v48 :: v_dual_mov_b32 v65, v49
	v_dual_mov_b32 v72, v12 :: v_dual_mov_b32 v73, v13
	;; [unrolled: 1-line block ×9, first 2 shown]
	v_mov_b32_e32 v87, v17
	ds_store_2addr_b64 v66, v[64:65], v[72:73] offset0:18 offset1:19
	ds_store_2addr_b64 v66, v[74:75], v[76:77] offset0:20 offset1:21
	;; [unrolled: 1-line block ×5, first 2 shown]
.LBB54_291:
	s_or_b32 exec_lo, exec_lo, s0
	s_delay_alu instid0(SALU_CYCLE_1)
	s_mov_b32 s0, exec_lo
	s_wait_storecnt_dscnt 0x0
	s_barrier_signal -1
	s_barrier_wait -1
	v_cmpx_lt_i32_e32 13, v70
	s_cbranch_execz .LBB54_293
; %bb.292:
	v_pk_mul_f32 v[64:65], v[62:63], v[40:41] op_sel:[1,1] op_sel_hi:[0,1]
	s_delay_alu instid0(VALU_DEP_1)
	v_pk_fma_f32 v[72:73], v[62:63], v[40:41], v[64:65] op_sel_hi:[1,0,1] neg_lo:[0,0,1] neg_hi:[0,0,1]
	v_pk_fma_f32 v[74:75], v[62:63], v[40:41], v[64:65] op_sel_hi:[1,0,1]
	ds_load_2addr_b64 v[62:65], v66 offset0:14 offset1:15
	v_dual_mov_b32 v40, v72 :: v_dual_mov_b32 v41, v75
	s_wait_dscnt 0x0
	v_pk_mul_f32 v[76:77], v[62:63], v[74:75] op_sel:[0,1]
	s_delay_alu instid0(VALU_DEP_1) | instskip(SKIP_1) | instid1(VALU_DEP_1)
	v_pk_fma_f32 v[78:79], v[62:63], v[72:73], v[76:77] op_sel:[0,0,1] op_sel_hi:[1,1,0] neg_lo:[0,0,1] neg_hi:[0,0,1]
	v_pk_fma_f32 v[62:63], v[62:63], v[72:73], v[76:77] op_sel:[0,0,1] op_sel_hi:[1,0,0]
	v_mov_b32_e32 v79, v63
	v_pk_mul_f32 v[62:63], v[64:65], v[74:75] op_sel:[0,1]
	s_delay_alu instid0(VALU_DEP_1) | instskip(SKIP_1) | instid1(VALU_DEP_1)
	v_pk_fma_f32 v[76:77], v[64:65], v[72:73], v[62:63] op_sel:[0,0,1] op_sel_hi:[1,1,0] neg_lo:[0,0,1] neg_hi:[0,0,1]
	v_pk_fma_f32 v[62:63], v[64:65], v[72:73], v[62:63] op_sel:[0,0,1] op_sel_hi:[1,0,0]
	v_mov_b32_e32 v77, v63
	ds_load_2addr_b64 v[62:65], v66 offset0:16 offset1:17
	v_pk_add_f32 v[42:43], v[42:43], v[78:79] neg_lo:[0,1] neg_hi:[0,1]
	v_pk_add_f32 v[10:11], v[10:11], v[76:77] neg_lo:[0,1] neg_hi:[0,1]
	s_wait_dscnt 0x0
	v_pk_mul_f32 v[76:77], v[62:63], v[74:75] op_sel:[0,1]
	s_delay_alu instid0(VALU_DEP_1) | instskip(SKIP_2) | instid1(VALU_DEP_2)
	v_pk_fma_f32 v[78:79], v[62:63], v[72:73], v[76:77] op_sel:[0,0,1] op_sel_hi:[1,1,0] neg_lo:[0,0,1] neg_hi:[0,0,1]
	v_pk_fma_f32 v[62:63], v[62:63], v[72:73], v[76:77] op_sel:[0,0,1] op_sel_hi:[1,0,0]
	v_dual_mul_f32 v76, v65, v75 :: v_dual_mov_b32 v62, v65
	v_dual_mov_b32 v79, v63 :: v_dual_mov_b32 v63, v64
	s_delay_alu instid0(VALU_DEP_2) | instskip(SKIP_1) | instid1(VALU_DEP_3)
	v_pk_fma_f32 v[76:77], v[64:65], v[40:41], v[76:77] op_sel_hi:[1,1,0] neg_lo:[0,0,1] neg_hi:[0,0,1]
	v_mul_f32_e32 v64, v65, v72
	v_pk_add_f32 v[50:51], v[50:51], v[78:79] neg_lo:[0,1] neg_hi:[0,1]
	s_delay_alu instid0(VALU_DEP_2) | instskip(NEXT) | instid1(VALU_DEP_1)
	v_pk_fma_f32 v[62:63], v[62:63], v[40:41], v[64:65] op_sel_hi:[1,1,0]
	v_mov_b32_e32 v77, v63
	ds_load_2addr_b64 v[62:65], v66 offset0:18 offset1:19
	v_pk_add_f32 v[46:47], v[46:47], v[76:77] neg_lo:[0,1] neg_hi:[0,1]
	s_wait_dscnt 0x0
	v_pk_mul_f32 v[76:77], v[62:63], v[74:75] op_sel:[0,1]
	s_delay_alu instid0(VALU_DEP_1) | instskip(SKIP_1) | instid1(VALU_DEP_1)
	v_pk_fma_f32 v[78:79], v[62:63], v[72:73], v[76:77] op_sel:[0,0,1] op_sel_hi:[1,1,0] neg_lo:[0,0,1] neg_hi:[0,0,1]
	v_pk_fma_f32 v[62:63], v[62:63], v[72:73], v[76:77] op_sel:[0,0,1] op_sel_hi:[1,0,0]
	v_mov_b32_e32 v79, v63
	v_pk_mul_f32 v[62:63], v[64:65], v[74:75] op_sel:[0,1]
	s_delay_alu instid0(VALU_DEP_1) | instskip(SKIP_1) | instid1(VALU_DEP_1)
	v_pk_fma_f32 v[76:77], v[64:65], v[72:73], v[62:63] op_sel:[0,0,1] op_sel_hi:[1,1,0] neg_lo:[0,0,1] neg_hi:[0,0,1]
	v_pk_fma_f32 v[62:63], v[64:65], v[72:73], v[62:63] op_sel:[0,0,1] op_sel_hi:[1,0,0]
	v_mov_b32_e32 v77, v63
	ds_load_2addr_b64 v[62:65], v66 offset0:20 offset1:21
	v_pk_add_f32 v[48:49], v[48:49], v[78:79] neg_lo:[0,1] neg_hi:[0,1]
	v_pk_add_f32 v[12:13], v[12:13], v[76:77] neg_lo:[0,1] neg_hi:[0,1]
	s_wait_dscnt 0x0
	v_pk_mul_f32 v[76:77], v[62:63], v[74:75] op_sel:[0,1]
	s_delay_alu instid0(VALU_DEP_1) | instskip(SKIP_1) | instid1(VALU_DEP_1)
	v_pk_fma_f32 v[78:79], v[62:63], v[72:73], v[76:77] op_sel:[0,0,1] op_sel_hi:[1,1,0] neg_lo:[0,0,1] neg_hi:[0,0,1]
	v_pk_fma_f32 v[62:63], v[62:63], v[72:73], v[76:77] op_sel:[0,0,1] op_sel_hi:[1,0,0]
	v_mov_b32_e32 v79, v63
	v_pk_mul_f32 v[62:63], v[64:65], v[74:75] op_sel:[0,1]
	s_delay_alu instid0(VALU_DEP_1) | instskip(SKIP_1) | instid1(VALU_DEP_1)
	v_pk_fma_f32 v[76:77], v[64:65], v[72:73], v[62:63] op_sel:[0,0,1] op_sel_hi:[1,1,0] neg_lo:[0,0,1] neg_hi:[0,0,1]
	v_pk_fma_f32 v[62:63], v[64:65], v[72:73], v[62:63] op_sel:[0,0,1] op_sel_hi:[1,0,0]
	v_mov_b32_e32 v77, v63
	ds_load_2addr_b64 v[62:65], v66 offset0:22 offset1:23
	v_pk_add_f32 v[26:27], v[26:27], v[78:79] neg_lo:[0,1] neg_hi:[0,1]
	v_pk_add_f32 v[22:23], v[22:23], v[76:77] neg_lo:[0,1] neg_hi:[0,1]
	s_wait_dscnt 0x0
	v_dual_mul_f32 v76, v63, v75 :: v_dual_mul_f32 v78, v63, v72
	s_delay_alu instid0(VALU_DEP_1) | instskip(NEXT) | instid1(VALU_DEP_2)
	v_pk_fma_f32 v[76:77], v[62:63], v[40:41], v[76:77] op_sel_hi:[1,1,0] neg_lo:[0,0,1] neg_hi:[0,0,1]
	v_pk_fma_f32 v[62:63], v[62:63], v[40:41], v[78:79] op_sel:[1,0,0] op_sel_hi:[0,1,0]
	s_delay_alu instid0(VALU_DEP_1) | instskip(SKIP_1) | instid1(VALU_DEP_2)
	v_mov_b32_e32 v77, v63
	v_pk_mul_f32 v[62:63], v[64:65], v[74:75] op_sel:[0,1]
	v_pk_add_f32 v[24:25], v[24:25], v[76:77] neg_lo:[0,1] neg_hi:[0,1]
	s_delay_alu instid0(VALU_DEP_2) | instskip(SKIP_1) | instid1(VALU_DEP_1)
	v_pk_fma_f32 v[76:77], v[64:65], v[72:73], v[62:63] op_sel:[0,0,1] op_sel_hi:[1,1,0] neg_lo:[0,0,1] neg_hi:[0,0,1]
	v_pk_fma_f32 v[62:63], v[64:65], v[72:73], v[62:63] op_sel:[0,0,1] op_sel_hi:[1,0,0]
	v_mov_b32_e32 v77, v63
	ds_load_2addr_b64 v[62:65], v66 offset0:24 offset1:25
	v_pk_add_f32 v[14:15], v[14:15], v[76:77] neg_lo:[0,1] neg_hi:[0,1]
	s_wait_dscnt 0x0
	v_pk_mul_f32 v[76:77], v[62:63], v[74:75] op_sel:[0,1]
	s_delay_alu instid0(VALU_DEP_1) | instskip(SKIP_1) | instid1(VALU_DEP_1)
	v_pk_fma_f32 v[78:79], v[62:63], v[72:73], v[76:77] op_sel:[0,0,1] op_sel_hi:[1,1,0] neg_lo:[0,0,1] neg_hi:[0,0,1]
	v_pk_fma_f32 v[62:63], v[62:63], v[72:73], v[76:77] op_sel:[0,0,1] op_sel_hi:[1,0,0]
	v_mov_b32_e32 v79, v63
	v_pk_mul_f32 v[62:63], v[64:65], v[74:75] op_sel:[0,1]
	s_delay_alu instid0(VALU_DEP_2) | instskip(NEXT) | instid1(VALU_DEP_2)
	v_pk_add_f32 v[20:21], v[20:21], v[78:79] neg_lo:[0,1] neg_hi:[0,1]
	v_pk_fma_f32 v[76:77], v[64:65], v[72:73], v[62:63] op_sel:[0,0,1] op_sel_hi:[1,1,0] neg_lo:[0,0,1] neg_hi:[0,0,1]
	v_pk_fma_f32 v[62:63], v[64:65], v[72:73], v[62:63] op_sel:[0,0,1] op_sel_hi:[1,0,0]
	s_delay_alu instid0(VALU_DEP_1) | instskip(SKIP_4) | instid1(VALU_DEP_1)
	v_mov_b32_e32 v77, v63
	ds_load_2addr_b64 v[62:65], v66 offset0:26 offset1:27
	v_pk_add_f32 v[18:19], v[18:19], v[76:77] neg_lo:[0,1] neg_hi:[0,1]
	s_wait_dscnt 0x0
	v_pk_mul_f32 v[76:77], v[62:63], v[74:75] op_sel:[0,1]
	v_pk_fma_f32 v[78:79], v[62:63], v[72:73], v[76:77] op_sel:[0,0,1] op_sel_hi:[1,1,0] neg_lo:[0,0,1] neg_hi:[0,0,1]
	v_pk_fma_f32 v[62:63], v[62:63], v[72:73], v[76:77] op_sel:[0,0,1] op_sel_hi:[1,0,0]
	s_delay_alu instid0(VALU_DEP_1) | instskip(SKIP_1) | instid1(VALU_DEP_2)
	v_mov_b32_e32 v79, v63
	v_pk_mul_f32 v[62:63], v[64:65], v[74:75] op_sel:[0,1]
	v_pk_add_f32 v[16:17], v[16:17], v[78:79] neg_lo:[0,1] neg_hi:[0,1]
	s_delay_alu instid0(VALU_DEP_2) | instskip(SKIP_1) | instid1(VALU_DEP_1)
	v_pk_fma_f32 v[74:75], v[64:65], v[72:73], v[62:63] op_sel:[0,0,1] op_sel_hi:[1,1,0] neg_lo:[0,0,1] neg_hi:[0,0,1]
	v_pk_fma_f32 v[62:63], v[64:65], v[72:73], v[62:63] op_sel:[0,0,1] op_sel_hi:[1,0,0]
	v_mov_b32_e32 v75, v63
	s_delay_alu instid0(VALU_DEP_1)
	v_pk_add_f32 v[60:61], v[60:61], v[74:75] neg_lo:[0,1] neg_hi:[0,1]
.LBB54_293:
	s_or_b32 exec_lo, exec_lo, s0
	v_lshl_add_u32 v62, v70, 3, v66
	s_barrier_signal -1
	s_barrier_wait -1
	ds_store_b64 v62, v[42:43]
	s_wait_dscnt 0x0
	s_barrier_signal -1
	s_barrier_wait -1
	ds_load_b64 v[62:63], v66 offset:112
	v_mov_b32_e32 v64, 14
	s_cmp_lt_i32 s18, 16
	s_cbranch_scc1 .LBB54_296
; %bb.294:
	v_add3_u32 v65, v67, 0, 0x78
	v_mov_b32_e32 v64, 14
	s_mov_b32 s0, 15
.LBB54_295:                             ; =>This Inner Loop Header: Depth=1
	ds_load_b64 v[72:73], v65
	s_wait_dscnt 0x1
	v_cmp_gt_f32_e32 vcc_lo, 0, v62
	v_cndmask_b32_e64 v74, v62, -v62, vcc_lo
	v_cmp_gt_f32_e32 vcc_lo, 0, v63
	v_cndmask_b32_e64 v76, v63, -v63, vcc_lo
	s_wait_dscnt 0x0
	v_cmp_gt_f32_e32 vcc_lo, 0, v72
	v_cndmask_b32_e64 v75, v72, -v72, vcc_lo
	v_cmp_gt_f32_e32 vcc_lo, 0, v73
	v_cndmask_b32_e64 v77, v73, -v73, vcc_lo
	s_delay_alu instid0(VALU_DEP_1) | instskip(NEXT) | instid1(VALU_DEP_1)
	v_pk_add_f32 v[74:75], v[74:75], v[76:77]
	v_cmp_lt_f32_e32 vcc_lo, v74, v75
	v_dual_cndmask_b32 v62, v62, v72 :: v_dual_add_nc_u32 v65, 8, v65
	v_cndmask_b32_e32 v63, v63, v73, vcc_lo
	v_cndmask_b32_e64 v64, v64, s0, vcc_lo
	s_add_co_i32 s0, s0, 1
	s_delay_alu instid0(SALU_CYCLE_1)
	s_cmp_lg_u32 s18, s0
	s_cbranch_scc1 .LBB54_295
.LBB54_296:
	s_wait_dscnt 0x0
	v_cmp_eq_f32_e32 vcc_lo, 0, v62
	v_cmp_eq_f32_e64 s0, 0, v63
	s_and_b32 s0, vcc_lo, s0
	s_delay_alu instid0(SALU_CYCLE_1) | instskip(NEXT) | instid1(SALU_CYCLE_1)
	s_and_saveexec_b32 s1, s0
	s_xor_b32 s0, exec_lo, s1
; %bb.297:
	v_cmp_ne_u32_e32 vcc_lo, 0, v69
	v_cndmask_b32_e32 v69, 15, v69, vcc_lo
; %bb.298:
	s_and_not1_saveexec_b32 s0, s0
	s_cbranch_execz .LBB54_304
; %bb.299:
	v_cmp_ngt_f32_e64 s1, |v62|, |v63|
	s_and_saveexec_b32 s12, s1
	s_delay_alu instid0(SALU_CYCLE_1)
	s_xor_b32 s1, exec_lo, s12
	s_cbranch_execz .LBB54_301
; %bb.300:
	v_div_scale_f32 v65, null, v63, v63, v62
	v_div_scale_f32 v73, vcc_lo, v62, v63, v62
	s_delay_alu instid0(VALU_DEP_2) | instskip(SKIP_1) | instid1(TRANS32_DEP_1)
	v_rcp_f32_e32 v71, v65
	v_nop
	v_fma_f32 v72, -v65, v71, 1.0
	s_delay_alu instid0(VALU_DEP_1) | instskip(NEXT) | instid1(VALU_DEP_1)
	v_fmac_f32_e32 v71, v72, v71
	v_mul_f32_e32 v72, v73, v71
	s_delay_alu instid0(VALU_DEP_1) | instskip(NEXT) | instid1(VALU_DEP_1)
	v_fma_f32 v74, -v65, v72, v73
	v_fmac_f32_e32 v72, v74, v71
	s_delay_alu instid0(VALU_DEP_1) | instskip(NEXT) | instid1(VALU_DEP_1)
	v_fma_f32 v65, -v65, v72, v73
	v_div_fmas_f32 v65, v65, v71, v72
	s_delay_alu instid0(VALU_DEP_1) | instskip(NEXT) | instid1(VALU_DEP_1)
	v_div_fixup_f32 v65, v65, v63, v62
	v_fmac_f32_e32 v63, v62, v65
	s_delay_alu instid0(VALU_DEP_1) | instskip(SKIP_1) | instid1(VALU_DEP_2)
	v_div_scale_f32 v62, null, v63, v63, 1.0
	v_div_scale_f32 v73, vcc_lo, 1.0, v63, 1.0
	v_rcp_f32_e32 v71, v62
	v_nop
	s_delay_alu instid0(TRANS32_DEP_1) | instskip(NEXT) | instid1(VALU_DEP_1)
	v_fma_f32 v72, -v62, v71, 1.0
	v_fmac_f32_e32 v71, v72, v71
	s_delay_alu instid0(VALU_DEP_1) | instskip(NEXT) | instid1(VALU_DEP_1)
	v_mul_f32_e32 v72, v73, v71
	v_fma_f32 v74, -v62, v72, v73
	s_delay_alu instid0(VALU_DEP_1) | instskip(NEXT) | instid1(VALU_DEP_1)
	v_fmac_f32_e32 v72, v74, v71
	v_fma_f32 v62, -v62, v72, v73
	s_delay_alu instid0(VALU_DEP_1) | instskip(NEXT) | instid1(VALU_DEP_1)
	v_div_fmas_f32 v62, v62, v71, v72
	v_div_fixup_f32 v63, v62, v63, 1.0
	s_delay_alu instid0(VALU_DEP_1)
	v_mul_f32_e32 v62, v65, v63
	v_xor_b32_e32 v63, 0x80000000, v63
.LBB54_301:
	s_and_not1_saveexec_b32 s1, s1
	s_cbranch_execz .LBB54_303
; %bb.302:
	s_delay_alu instid0(VALU_DEP_1) | instskip(SKIP_1) | instid1(VALU_DEP_2)
	v_div_scale_f32 v65, null, v62, v62, v63
	v_div_scale_f32 v73, vcc_lo, v63, v62, v63
	v_rcp_f32_e32 v71, v65
	v_nop
	s_delay_alu instid0(TRANS32_DEP_1) | instskip(NEXT) | instid1(VALU_DEP_1)
	v_fma_f32 v72, -v65, v71, 1.0
	v_fmac_f32_e32 v71, v72, v71
	s_delay_alu instid0(VALU_DEP_1) | instskip(NEXT) | instid1(VALU_DEP_1)
	v_mul_f32_e32 v72, v73, v71
	v_fma_f32 v74, -v65, v72, v73
	s_delay_alu instid0(VALU_DEP_1) | instskip(NEXT) | instid1(VALU_DEP_1)
	v_fmac_f32_e32 v72, v74, v71
	v_fma_f32 v65, -v65, v72, v73
	s_delay_alu instid0(VALU_DEP_1) | instskip(NEXT) | instid1(VALU_DEP_1)
	v_div_fmas_f32 v65, v65, v71, v72
	v_div_fixup_f32 v65, v65, v62, v63
	s_delay_alu instid0(VALU_DEP_1) | instskip(NEXT) | instid1(VALU_DEP_1)
	v_fmac_f32_e32 v62, v63, v65
	v_div_scale_f32 v63, null, v62, v62, 1.0
	s_delay_alu instid0(VALU_DEP_1) | instskip(SKIP_1) | instid1(TRANS32_DEP_1)
	v_rcp_f32_e32 v71, v63
	v_nop
	v_fma_f32 v72, -v63, v71, 1.0
	s_delay_alu instid0(VALU_DEP_1) | instskip(SKIP_1) | instid1(VALU_DEP_1)
	v_fmac_f32_e32 v71, v72, v71
	v_div_scale_f32 v72, vcc_lo, 1.0, v62, 1.0
	v_mul_f32_e32 v73, v72, v71
	s_delay_alu instid0(VALU_DEP_1) | instskip(NEXT) | instid1(VALU_DEP_1)
	v_fma_f32 v74, -v63, v73, v72
	v_fmac_f32_e32 v73, v74, v71
	s_delay_alu instid0(VALU_DEP_1) | instskip(NEXT) | instid1(VALU_DEP_1)
	v_fma_f32 v63, -v63, v73, v72
	v_div_fmas_f32 v63, v63, v71, v73
	s_delay_alu instid0(VALU_DEP_1) | instskip(NEXT) | instid1(VALU_DEP_1)
	v_div_fixup_f32 v62, v63, v62, 1.0
	v_mul_f32_e64 v63, v65, -v62
.LBB54_303:
	s_or_b32 exec_lo, exec_lo, s1
.LBB54_304:
	s_delay_alu instid0(SALU_CYCLE_1) | instskip(NEXT) | instid1(SALU_CYCLE_1)
	s_or_b32 exec_lo, exec_lo, s0
	s_mov_b32 s0, exec_lo
	v_cmpx_ne_u32_e64 v70, v64
	s_xor_b32 s0, exec_lo, s0
	s_cbranch_execz .LBB54_310
; %bb.305:
	s_mov_b32 s1, exec_lo
	v_cmpx_eq_u32_e32 14, v70
	s_cbranch_execz .LBB54_309
; %bb.306:
	v_cmp_ne_u32_e32 vcc_lo, 14, v64
	s_xor_b32 s12, s16, -1
	s_delay_alu instid0(SALU_CYCLE_1) | instskip(NEXT) | instid1(SALU_CYCLE_1)
	s_and_b32 s13, s12, vcc_lo
	s_and_saveexec_b32 s12, s13
	s_cbranch_execz .LBB54_308
; %bb.307:
	v_ashrrev_i32_e32 v65, 31, v64
	s_delay_alu instid0(VALU_DEP_1)
	v_lshl_add_u64 v[70:71], v[64:65], 2, v[4:5]
	s_clause 0x1
	global_load_b32 v65, v[70:71], off
	global_load_b32 v68, v[4:5], off offset:56
	s_wait_loadcnt 0x1
	global_store_b32 v[4:5], v65, off offset:56
	s_wait_loadcnt 0x0
	global_store_b32 v[70:71], v68, off
.LBB54_308:
	s_wait_xcnt 0x0
	s_or_b32 exec_lo, exec_lo, s12
	v_dual_mov_b32 v70, v64 :: v_dual_mov_b32 v68, v64
.LBB54_309:
	s_or_b32 exec_lo, exec_lo, s1
.LBB54_310:
	s_and_not1_saveexec_b32 s0, s0
	s_cbranch_execz .LBB54_312
; %bb.311:
	v_mov_b32_e32 v70, 14
	ds_store_2addr_b64 v66, v[10:11], v[50:51] offset0:15 offset1:16
	ds_store_2addr_b64 v66, v[46:47], v[48:49] offset0:17 offset1:18
	;; [unrolled: 1-line block ×6, first 2 shown]
	ds_store_b64 v66, v[60:61] offset:216
.LBB54_312:
	s_or_b32 exec_lo, exec_lo, s0
	s_delay_alu instid0(SALU_CYCLE_1)
	s_mov_b32 s0, exec_lo
	s_wait_storecnt_dscnt 0x0
	s_barrier_signal -1
	s_barrier_wait -1
	v_cmpx_lt_i32_e32 14, v70
	s_cbranch_execz .LBB54_314
; %bb.313:
	v_pk_mul_f32 v[64:65], v[62:63], v[42:43] op_sel:[1,1] op_sel_hi:[0,1]
	s_delay_alu instid0(VALU_DEP_1)
	v_pk_fma_f32 v[72:73], v[62:63], v[42:43], v[64:65] op_sel_hi:[1,0,1] neg_lo:[0,0,1] neg_hi:[0,0,1]
	v_pk_fma_f32 v[74:75], v[62:63], v[42:43], v[64:65] op_sel_hi:[1,0,1]
	ds_load_2addr_b64 v[62:65], v66 offset0:15 offset1:16
	v_dual_mov_b32 v42, v72 :: v_dual_mov_b32 v43, v75
	s_wait_dscnt 0x0
	v_pk_mul_f32 v[76:77], v[62:63], v[74:75] op_sel:[0,1]
	s_delay_alu instid0(VALU_DEP_1) | instskip(SKIP_1) | instid1(VALU_DEP_1)
	v_pk_fma_f32 v[78:79], v[62:63], v[72:73], v[76:77] op_sel:[0,0,1] op_sel_hi:[1,1,0] neg_lo:[0,0,1] neg_hi:[0,0,1]
	v_pk_fma_f32 v[62:63], v[62:63], v[72:73], v[76:77] op_sel:[0,0,1] op_sel_hi:[1,0,0]
	v_mov_b32_e32 v79, v63
	v_pk_mul_f32 v[62:63], v[64:65], v[74:75] op_sel:[0,1]
	s_delay_alu instid0(VALU_DEP_1) | instskip(SKIP_1) | instid1(VALU_DEP_1)
	v_pk_fma_f32 v[76:77], v[64:65], v[72:73], v[62:63] op_sel:[0,0,1] op_sel_hi:[1,1,0] neg_lo:[0,0,1] neg_hi:[0,0,1]
	v_pk_fma_f32 v[62:63], v[64:65], v[72:73], v[62:63] op_sel:[0,0,1] op_sel_hi:[1,0,0]
	v_mov_b32_e32 v77, v63
	ds_load_2addr_b64 v[62:65], v66 offset0:17 offset1:18
	v_pk_add_f32 v[10:11], v[10:11], v[78:79] neg_lo:[0,1] neg_hi:[0,1]
	v_pk_add_f32 v[50:51], v[50:51], v[76:77] neg_lo:[0,1] neg_hi:[0,1]
	s_wait_dscnt 0x0
	v_pk_mul_f32 v[76:77], v[62:63], v[74:75] op_sel:[0,1]
	s_delay_alu instid0(VALU_DEP_1) | instskip(SKIP_2) | instid1(VALU_DEP_2)
	v_pk_fma_f32 v[78:79], v[62:63], v[72:73], v[76:77] op_sel:[0,0,1] op_sel_hi:[1,1,0] neg_lo:[0,0,1] neg_hi:[0,0,1]
	v_pk_fma_f32 v[62:63], v[62:63], v[72:73], v[76:77] op_sel:[0,0,1] op_sel_hi:[1,0,0]
	v_dual_mul_f32 v76, v65, v75 :: v_dual_mov_b32 v62, v65
	v_dual_mov_b32 v79, v63 :: v_dual_mov_b32 v63, v64
	s_delay_alu instid0(VALU_DEP_2) | instskip(SKIP_1) | instid1(VALU_DEP_3)
	v_pk_fma_f32 v[76:77], v[64:65], v[42:43], v[76:77] op_sel_hi:[1,1,0] neg_lo:[0,0,1] neg_hi:[0,0,1]
	v_mul_f32_e32 v64, v65, v72
	v_pk_add_f32 v[46:47], v[46:47], v[78:79] neg_lo:[0,1] neg_hi:[0,1]
	s_delay_alu instid0(VALU_DEP_2) | instskip(NEXT) | instid1(VALU_DEP_1)
	v_pk_fma_f32 v[62:63], v[62:63], v[42:43], v[64:65] op_sel_hi:[1,1,0]
	v_mov_b32_e32 v77, v63
	ds_load_2addr_b64 v[62:65], v66 offset0:19 offset1:20
	v_pk_add_f32 v[48:49], v[48:49], v[76:77] neg_lo:[0,1] neg_hi:[0,1]
	s_wait_dscnt 0x0
	v_pk_mul_f32 v[76:77], v[62:63], v[74:75] op_sel:[0,1]
	s_delay_alu instid0(VALU_DEP_1) | instskip(SKIP_1) | instid1(VALU_DEP_1)
	v_pk_fma_f32 v[78:79], v[62:63], v[72:73], v[76:77] op_sel:[0,0,1] op_sel_hi:[1,1,0] neg_lo:[0,0,1] neg_hi:[0,0,1]
	v_pk_fma_f32 v[62:63], v[62:63], v[72:73], v[76:77] op_sel:[0,0,1] op_sel_hi:[1,0,0]
	v_mov_b32_e32 v79, v63
	v_pk_mul_f32 v[62:63], v[64:65], v[74:75] op_sel:[0,1]
	s_delay_alu instid0(VALU_DEP_1) | instskip(SKIP_1) | instid1(VALU_DEP_1)
	v_pk_fma_f32 v[76:77], v[64:65], v[72:73], v[62:63] op_sel:[0,0,1] op_sel_hi:[1,1,0] neg_lo:[0,0,1] neg_hi:[0,0,1]
	v_pk_fma_f32 v[62:63], v[64:65], v[72:73], v[62:63] op_sel:[0,0,1] op_sel_hi:[1,0,0]
	v_mov_b32_e32 v77, v63
	ds_load_2addr_b64 v[62:65], v66 offset0:21 offset1:22
	v_pk_add_f32 v[12:13], v[12:13], v[78:79] neg_lo:[0,1] neg_hi:[0,1]
	v_pk_add_f32 v[26:27], v[26:27], v[76:77] neg_lo:[0,1] neg_hi:[0,1]
	s_wait_dscnt 0x0
	v_pk_mul_f32 v[76:77], v[62:63], v[74:75] op_sel:[0,1]
	s_delay_alu instid0(VALU_DEP_1) | instskip(SKIP_1) | instid1(VALU_DEP_1)
	v_pk_fma_f32 v[78:79], v[62:63], v[72:73], v[76:77] op_sel:[0,0,1] op_sel_hi:[1,1,0] neg_lo:[0,0,1] neg_hi:[0,0,1]
	v_pk_fma_f32 v[62:63], v[62:63], v[72:73], v[76:77] op_sel:[0,0,1] op_sel_hi:[1,0,0]
	v_mov_b32_e32 v79, v63
	v_pk_mul_f32 v[62:63], v[64:65], v[74:75] op_sel:[0,1]
	s_delay_alu instid0(VALU_DEP_1) | instskip(SKIP_1) | instid1(VALU_DEP_1)
	v_pk_fma_f32 v[76:77], v[64:65], v[72:73], v[62:63] op_sel:[0,0,1] op_sel_hi:[1,1,0] neg_lo:[0,0,1] neg_hi:[0,0,1]
	v_pk_fma_f32 v[62:63], v[64:65], v[72:73], v[62:63] op_sel:[0,0,1] op_sel_hi:[1,0,0]
	v_mov_b32_e32 v77, v63
	ds_load_2addr_b64 v[62:65], v66 offset0:23 offset1:24
	v_pk_add_f32 v[22:23], v[22:23], v[78:79] neg_lo:[0,1] neg_hi:[0,1]
	v_pk_add_f32 v[24:25], v[24:25], v[76:77] neg_lo:[0,1] neg_hi:[0,1]
	s_wait_dscnt 0x0
	v_dual_mul_f32 v76, v63, v75 :: v_dual_mul_f32 v78, v63, v72
	s_delay_alu instid0(VALU_DEP_1) | instskip(NEXT) | instid1(VALU_DEP_2)
	v_pk_fma_f32 v[76:77], v[62:63], v[42:43], v[76:77] op_sel_hi:[1,1,0] neg_lo:[0,0,1] neg_hi:[0,0,1]
	v_pk_fma_f32 v[62:63], v[62:63], v[42:43], v[78:79] op_sel:[1,0,0] op_sel_hi:[0,1,0]
	s_delay_alu instid0(VALU_DEP_1) | instskip(SKIP_1) | instid1(VALU_DEP_2)
	v_mov_b32_e32 v77, v63
	v_pk_mul_f32 v[62:63], v[64:65], v[74:75] op_sel:[0,1]
	v_pk_add_f32 v[14:15], v[14:15], v[76:77] neg_lo:[0,1] neg_hi:[0,1]
	s_delay_alu instid0(VALU_DEP_2) | instskip(SKIP_1) | instid1(VALU_DEP_1)
	v_pk_fma_f32 v[76:77], v[64:65], v[72:73], v[62:63] op_sel:[0,0,1] op_sel_hi:[1,1,0] neg_lo:[0,0,1] neg_hi:[0,0,1]
	v_pk_fma_f32 v[62:63], v[64:65], v[72:73], v[62:63] op_sel:[0,0,1] op_sel_hi:[1,0,0]
	v_mov_b32_e32 v77, v63
	ds_load_2addr_b64 v[62:65], v66 offset0:25 offset1:26
	v_pk_add_f32 v[20:21], v[20:21], v[76:77] neg_lo:[0,1] neg_hi:[0,1]
	s_wait_dscnt 0x0
	v_pk_mul_f32 v[76:77], v[62:63], v[74:75] op_sel:[0,1]
	s_delay_alu instid0(VALU_DEP_1) | instskip(SKIP_1) | instid1(VALU_DEP_1)
	v_pk_fma_f32 v[78:79], v[62:63], v[72:73], v[76:77] op_sel:[0,0,1] op_sel_hi:[1,1,0] neg_lo:[0,0,1] neg_hi:[0,0,1]
	v_pk_fma_f32 v[62:63], v[62:63], v[72:73], v[76:77] op_sel:[0,0,1] op_sel_hi:[1,0,0]
	v_mov_b32_e32 v79, v63
	v_pk_mul_f32 v[62:63], v[64:65], v[74:75] op_sel:[0,1]
	s_delay_alu instid0(VALU_DEP_2) | instskip(NEXT) | instid1(VALU_DEP_2)
	v_pk_add_f32 v[18:19], v[18:19], v[78:79] neg_lo:[0,1] neg_hi:[0,1]
	v_pk_fma_f32 v[76:77], v[64:65], v[72:73], v[62:63] op_sel:[0,0,1] op_sel_hi:[1,1,0] neg_lo:[0,0,1] neg_hi:[0,0,1]
	v_pk_fma_f32 v[62:63], v[64:65], v[72:73], v[62:63] op_sel:[0,0,1] op_sel_hi:[1,0,0]
	s_delay_alu instid0(VALU_DEP_1) | instskip(SKIP_4) | instid1(VALU_DEP_1)
	v_mov_b32_e32 v77, v63
	ds_load_b64 v[62:63], v66 offset:216
	v_pk_add_f32 v[16:17], v[16:17], v[76:77] neg_lo:[0,1] neg_hi:[0,1]
	s_wait_dscnt 0x0
	v_pk_mul_f32 v[64:65], v[62:63], v[74:75] op_sel:[0,1]
	v_pk_fma_f32 v[74:75], v[62:63], v[72:73], v[64:65] op_sel:[0,0,1] op_sel_hi:[1,1,0] neg_lo:[0,0,1] neg_hi:[0,0,1]
	v_pk_fma_f32 v[62:63], v[62:63], v[72:73], v[64:65] op_sel:[0,0,1] op_sel_hi:[1,0,0]
	s_delay_alu instid0(VALU_DEP_1) | instskip(NEXT) | instid1(VALU_DEP_1)
	v_mov_b32_e32 v75, v63
	v_pk_add_f32 v[60:61], v[60:61], v[74:75] neg_lo:[0,1] neg_hi:[0,1]
.LBB54_314:
	s_or_b32 exec_lo, exec_lo, s0
	v_lshl_add_u32 v62, v70, 3, v66
	s_barrier_signal -1
	s_barrier_wait -1
	ds_store_b64 v62, v[10:11]
	s_wait_dscnt 0x0
	s_barrier_signal -1
	s_barrier_wait -1
	ds_load_b64 v[62:63], v66 offset:120
	v_mov_b32_e32 v64, 15
	s_cmp_lt_i32 s18, 17
	s_cbranch_scc1 .LBB54_317
; %bb.315:
	v_add3_u32 v65, v67, 0, 0x80
	v_mov_b32_e32 v64, 15
	s_mov_b32 s0, 16
.LBB54_316:                             ; =>This Inner Loop Header: Depth=1
	ds_load_b64 v[72:73], v65
	s_wait_dscnt 0x1
	v_cmp_gt_f32_e32 vcc_lo, 0, v62
	v_cndmask_b32_e64 v74, v62, -v62, vcc_lo
	v_cmp_gt_f32_e32 vcc_lo, 0, v63
	v_cndmask_b32_e64 v76, v63, -v63, vcc_lo
	s_wait_dscnt 0x0
	v_cmp_gt_f32_e32 vcc_lo, 0, v72
	v_cndmask_b32_e64 v75, v72, -v72, vcc_lo
	v_cmp_gt_f32_e32 vcc_lo, 0, v73
	v_cndmask_b32_e64 v77, v73, -v73, vcc_lo
	s_delay_alu instid0(VALU_DEP_1) | instskip(NEXT) | instid1(VALU_DEP_1)
	v_pk_add_f32 v[74:75], v[74:75], v[76:77]
	v_cmp_lt_f32_e32 vcc_lo, v74, v75
	v_dual_cndmask_b32 v62, v62, v72 :: v_dual_add_nc_u32 v65, 8, v65
	v_cndmask_b32_e32 v63, v63, v73, vcc_lo
	v_cndmask_b32_e64 v64, v64, s0, vcc_lo
	s_add_co_i32 s0, s0, 1
	s_delay_alu instid0(SALU_CYCLE_1)
	s_cmp_lg_u32 s18, s0
	s_cbranch_scc1 .LBB54_316
.LBB54_317:
	s_wait_dscnt 0x0
	v_cmp_eq_f32_e32 vcc_lo, 0, v62
	v_cmp_eq_f32_e64 s0, 0, v63
	s_and_b32 s0, vcc_lo, s0
	s_delay_alu instid0(SALU_CYCLE_1) | instskip(NEXT) | instid1(SALU_CYCLE_1)
	s_and_saveexec_b32 s1, s0
	s_xor_b32 s0, exec_lo, s1
; %bb.318:
	v_cmp_ne_u32_e32 vcc_lo, 0, v69
	v_cndmask_b32_e32 v69, 16, v69, vcc_lo
; %bb.319:
	s_and_not1_saveexec_b32 s0, s0
	s_cbranch_execz .LBB54_325
; %bb.320:
	v_cmp_ngt_f32_e64 s1, |v62|, |v63|
	s_and_saveexec_b32 s12, s1
	s_delay_alu instid0(SALU_CYCLE_1)
	s_xor_b32 s1, exec_lo, s12
	s_cbranch_execz .LBB54_322
; %bb.321:
	v_div_scale_f32 v65, null, v63, v63, v62
	v_div_scale_f32 v73, vcc_lo, v62, v63, v62
	s_delay_alu instid0(VALU_DEP_2) | instskip(SKIP_1) | instid1(TRANS32_DEP_1)
	v_rcp_f32_e32 v71, v65
	v_nop
	v_fma_f32 v72, -v65, v71, 1.0
	s_delay_alu instid0(VALU_DEP_1) | instskip(NEXT) | instid1(VALU_DEP_1)
	v_fmac_f32_e32 v71, v72, v71
	v_mul_f32_e32 v72, v73, v71
	s_delay_alu instid0(VALU_DEP_1) | instskip(NEXT) | instid1(VALU_DEP_1)
	v_fma_f32 v74, -v65, v72, v73
	v_fmac_f32_e32 v72, v74, v71
	s_delay_alu instid0(VALU_DEP_1) | instskip(NEXT) | instid1(VALU_DEP_1)
	v_fma_f32 v65, -v65, v72, v73
	v_div_fmas_f32 v65, v65, v71, v72
	s_delay_alu instid0(VALU_DEP_1) | instskip(NEXT) | instid1(VALU_DEP_1)
	v_div_fixup_f32 v65, v65, v63, v62
	v_fmac_f32_e32 v63, v62, v65
	s_delay_alu instid0(VALU_DEP_1) | instskip(SKIP_1) | instid1(VALU_DEP_2)
	v_div_scale_f32 v62, null, v63, v63, 1.0
	v_div_scale_f32 v73, vcc_lo, 1.0, v63, 1.0
	v_rcp_f32_e32 v71, v62
	v_nop
	s_delay_alu instid0(TRANS32_DEP_1) | instskip(NEXT) | instid1(VALU_DEP_1)
	v_fma_f32 v72, -v62, v71, 1.0
	v_fmac_f32_e32 v71, v72, v71
	s_delay_alu instid0(VALU_DEP_1) | instskip(NEXT) | instid1(VALU_DEP_1)
	v_mul_f32_e32 v72, v73, v71
	v_fma_f32 v74, -v62, v72, v73
	s_delay_alu instid0(VALU_DEP_1) | instskip(NEXT) | instid1(VALU_DEP_1)
	v_fmac_f32_e32 v72, v74, v71
	v_fma_f32 v62, -v62, v72, v73
	s_delay_alu instid0(VALU_DEP_1) | instskip(NEXT) | instid1(VALU_DEP_1)
	v_div_fmas_f32 v62, v62, v71, v72
	v_div_fixup_f32 v63, v62, v63, 1.0
	s_delay_alu instid0(VALU_DEP_1)
	v_mul_f32_e32 v62, v65, v63
	v_xor_b32_e32 v63, 0x80000000, v63
.LBB54_322:
	s_and_not1_saveexec_b32 s1, s1
	s_cbranch_execz .LBB54_324
; %bb.323:
	s_delay_alu instid0(VALU_DEP_1) | instskip(SKIP_1) | instid1(VALU_DEP_2)
	v_div_scale_f32 v65, null, v62, v62, v63
	v_div_scale_f32 v73, vcc_lo, v63, v62, v63
	v_rcp_f32_e32 v71, v65
	v_nop
	s_delay_alu instid0(TRANS32_DEP_1) | instskip(NEXT) | instid1(VALU_DEP_1)
	v_fma_f32 v72, -v65, v71, 1.0
	v_fmac_f32_e32 v71, v72, v71
	s_delay_alu instid0(VALU_DEP_1) | instskip(NEXT) | instid1(VALU_DEP_1)
	v_mul_f32_e32 v72, v73, v71
	v_fma_f32 v74, -v65, v72, v73
	s_delay_alu instid0(VALU_DEP_1) | instskip(NEXT) | instid1(VALU_DEP_1)
	v_fmac_f32_e32 v72, v74, v71
	v_fma_f32 v65, -v65, v72, v73
	s_delay_alu instid0(VALU_DEP_1) | instskip(NEXT) | instid1(VALU_DEP_1)
	v_div_fmas_f32 v65, v65, v71, v72
	v_div_fixup_f32 v65, v65, v62, v63
	s_delay_alu instid0(VALU_DEP_1) | instskip(NEXT) | instid1(VALU_DEP_1)
	v_fmac_f32_e32 v62, v63, v65
	v_div_scale_f32 v63, null, v62, v62, 1.0
	s_delay_alu instid0(VALU_DEP_1) | instskip(SKIP_1) | instid1(TRANS32_DEP_1)
	v_rcp_f32_e32 v71, v63
	v_nop
	v_fma_f32 v72, -v63, v71, 1.0
	s_delay_alu instid0(VALU_DEP_1) | instskip(SKIP_1) | instid1(VALU_DEP_1)
	v_fmac_f32_e32 v71, v72, v71
	v_div_scale_f32 v72, vcc_lo, 1.0, v62, 1.0
	v_mul_f32_e32 v73, v72, v71
	s_delay_alu instid0(VALU_DEP_1) | instskip(NEXT) | instid1(VALU_DEP_1)
	v_fma_f32 v74, -v63, v73, v72
	v_fmac_f32_e32 v73, v74, v71
	s_delay_alu instid0(VALU_DEP_1) | instskip(NEXT) | instid1(VALU_DEP_1)
	v_fma_f32 v63, -v63, v73, v72
	v_div_fmas_f32 v63, v63, v71, v73
	s_delay_alu instid0(VALU_DEP_1) | instskip(NEXT) | instid1(VALU_DEP_1)
	v_div_fixup_f32 v62, v63, v62, 1.0
	v_mul_f32_e64 v63, v65, -v62
.LBB54_324:
	s_or_b32 exec_lo, exec_lo, s1
.LBB54_325:
	s_delay_alu instid0(SALU_CYCLE_1) | instskip(NEXT) | instid1(SALU_CYCLE_1)
	s_or_b32 exec_lo, exec_lo, s0
	s_mov_b32 s0, exec_lo
	v_cmpx_ne_u32_e64 v70, v64
	s_xor_b32 s0, exec_lo, s0
	s_cbranch_execz .LBB54_331
; %bb.326:
	s_mov_b32 s1, exec_lo
	v_cmpx_eq_u32_e32 15, v70
	s_cbranch_execz .LBB54_330
; %bb.327:
	v_cmp_ne_u32_e32 vcc_lo, 15, v64
	s_xor_b32 s12, s16, -1
	s_delay_alu instid0(SALU_CYCLE_1) | instskip(NEXT) | instid1(SALU_CYCLE_1)
	s_and_b32 s13, s12, vcc_lo
	s_and_saveexec_b32 s12, s13
	s_cbranch_execz .LBB54_329
; %bb.328:
	v_ashrrev_i32_e32 v65, 31, v64
	s_delay_alu instid0(VALU_DEP_1)
	v_lshl_add_u64 v[70:71], v[64:65], 2, v[4:5]
	s_clause 0x1
	global_load_b32 v65, v[70:71], off
	global_load_b32 v68, v[4:5], off offset:60
	s_wait_loadcnt 0x1
	global_store_b32 v[4:5], v65, off offset:60
	s_wait_loadcnt 0x0
	global_store_b32 v[70:71], v68, off
.LBB54_329:
	s_wait_xcnt 0x0
	s_or_b32 exec_lo, exec_lo, s12
	v_dual_mov_b32 v70, v64 :: v_dual_mov_b32 v68, v64
.LBB54_330:
	s_or_b32 exec_lo, exec_lo, s1
.LBB54_331:
	s_and_not1_saveexec_b32 s0, s0
	s_cbranch_execz .LBB54_333
; %bb.332:
	v_dual_mov_b32 v64, v50 :: v_dual_mov_b32 v65, v51
	v_dual_mov_b32 v70, v46 :: v_dual_mov_b32 v71, v47
	;; [unrolled: 1-line block ×4, first 2 shown]
	ds_store_2addr_b64 v66, v[64:65], v[70:71] offset0:16 offset1:17
	ds_store_2addr_b64 v66, v[72:73], v[74:75] offset0:18 offset1:19
	v_dual_mov_b32 v64, v26 :: v_dual_mov_b32 v65, v27
	v_dual_mov_b32 v72, v22 :: v_dual_mov_b32 v73, v23
	;; [unrolled: 1-line block ×7, first 2 shown]
	v_mov_b32_e32 v83, v17
	ds_store_2addr_b64 v66, v[64:65], v[72:73] offset0:20 offset1:21
	ds_store_2addr_b64 v66, v[74:75], v[76:77] offset0:22 offset1:23
	;; [unrolled: 1-line block ×4, first 2 shown]
.LBB54_333:
	s_or_b32 exec_lo, exec_lo, s0
	s_delay_alu instid0(SALU_CYCLE_1)
	s_mov_b32 s0, exec_lo
	s_wait_storecnt_dscnt 0x0
	s_barrier_signal -1
	s_barrier_wait -1
	v_cmpx_lt_i32_e32 15, v70
	s_cbranch_execz .LBB54_335
; %bb.334:
	v_pk_mul_f32 v[64:65], v[62:63], v[10:11] op_sel:[1,1] op_sel_hi:[0,1]
	s_delay_alu instid0(VALU_DEP_1)
	v_pk_fma_f32 v[72:73], v[62:63], v[10:11], v[64:65] op_sel_hi:[1,0,1] neg_lo:[0,0,1] neg_hi:[0,0,1]
	v_pk_fma_f32 v[74:75], v[62:63], v[10:11], v[64:65] op_sel_hi:[1,0,1]
	ds_load_2addr_b64 v[62:65], v66 offset0:16 offset1:17
	v_dual_mov_b32 v10, v72 :: v_dual_mov_b32 v11, v75
	s_wait_dscnt 0x0
	v_pk_mul_f32 v[76:77], v[62:63], v[74:75] op_sel:[0,1]
	s_delay_alu instid0(VALU_DEP_1) | instskip(SKIP_1) | instid1(VALU_DEP_1)
	v_pk_fma_f32 v[78:79], v[62:63], v[72:73], v[76:77] op_sel:[0,0,1] op_sel_hi:[1,1,0] neg_lo:[0,0,1] neg_hi:[0,0,1]
	v_pk_fma_f32 v[62:63], v[62:63], v[72:73], v[76:77] op_sel:[0,0,1] op_sel_hi:[1,0,0]
	v_mov_b32_e32 v79, v63
	v_pk_mul_f32 v[62:63], v[64:65], v[74:75] op_sel:[0,1]
	s_delay_alu instid0(VALU_DEP_1) | instskip(SKIP_1) | instid1(VALU_DEP_1)
	v_pk_fma_f32 v[76:77], v[64:65], v[72:73], v[62:63] op_sel:[0,0,1] op_sel_hi:[1,1,0] neg_lo:[0,0,1] neg_hi:[0,0,1]
	v_pk_fma_f32 v[62:63], v[64:65], v[72:73], v[62:63] op_sel:[0,0,1] op_sel_hi:[1,0,0]
	v_mov_b32_e32 v77, v63
	ds_load_2addr_b64 v[62:65], v66 offset0:18 offset1:19
	v_pk_add_f32 v[50:51], v[50:51], v[78:79] neg_lo:[0,1] neg_hi:[0,1]
	v_pk_add_f32 v[46:47], v[46:47], v[76:77] neg_lo:[0,1] neg_hi:[0,1]
	s_wait_dscnt 0x0
	v_pk_mul_f32 v[76:77], v[62:63], v[74:75] op_sel:[0,1]
	s_delay_alu instid0(VALU_DEP_1) | instskip(SKIP_2) | instid1(VALU_DEP_2)
	v_pk_fma_f32 v[78:79], v[62:63], v[72:73], v[76:77] op_sel:[0,0,1] op_sel_hi:[1,1,0] neg_lo:[0,0,1] neg_hi:[0,0,1]
	v_pk_fma_f32 v[62:63], v[62:63], v[72:73], v[76:77] op_sel:[0,0,1] op_sel_hi:[1,0,0]
	v_dual_mul_f32 v76, v65, v75 :: v_dual_mov_b32 v62, v65
	v_dual_mov_b32 v79, v63 :: v_dual_mov_b32 v63, v64
	s_delay_alu instid0(VALU_DEP_2) | instskip(SKIP_1) | instid1(VALU_DEP_3)
	v_pk_fma_f32 v[76:77], v[64:65], v[10:11], v[76:77] op_sel_hi:[1,1,0] neg_lo:[0,0,1] neg_hi:[0,0,1]
	v_mul_f32_e32 v64, v65, v72
	v_pk_add_f32 v[48:49], v[48:49], v[78:79] neg_lo:[0,1] neg_hi:[0,1]
	s_delay_alu instid0(VALU_DEP_2) | instskip(NEXT) | instid1(VALU_DEP_1)
	v_pk_fma_f32 v[62:63], v[62:63], v[10:11], v[64:65] op_sel_hi:[1,1,0]
	v_mov_b32_e32 v77, v63
	ds_load_2addr_b64 v[62:65], v66 offset0:20 offset1:21
	v_pk_add_f32 v[12:13], v[12:13], v[76:77] neg_lo:[0,1] neg_hi:[0,1]
	s_wait_dscnt 0x0
	v_pk_mul_f32 v[76:77], v[62:63], v[74:75] op_sel:[0,1]
	s_delay_alu instid0(VALU_DEP_1) | instskip(SKIP_1) | instid1(VALU_DEP_1)
	v_pk_fma_f32 v[78:79], v[62:63], v[72:73], v[76:77] op_sel:[0,0,1] op_sel_hi:[1,1,0] neg_lo:[0,0,1] neg_hi:[0,0,1]
	v_pk_fma_f32 v[62:63], v[62:63], v[72:73], v[76:77] op_sel:[0,0,1] op_sel_hi:[1,0,0]
	v_mov_b32_e32 v79, v63
	v_pk_mul_f32 v[62:63], v[64:65], v[74:75] op_sel:[0,1]
	s_delay_alu instid0(VALU_DEP_1) | instskip(SKIP_1) | instid1(VALU_DEP_1)
	v_pk_fma_f32 v[76:77], v[64:65], v[72:73], v[62:63] op_sel:[0,0,1] op_sel_hi:[1,1,0] neg_lo:[0,0,1] neg_hi:[0,0,1]
	v_pk_fma_f32 v[62:63], v[64:65], v[72:73], v[62:63] op_sel:[0,0,1] op_sel_hi:[1,0,0]
	v_mov_b32_e32 v77, v63
	ds_load_2addr_b64 v[62:65], v66 offset0:22 offset1:23
	v_pk_add_f32 v[26:27], v[26:27], v[78:79] neg_lo:[0,1] neg_hi:[0,1]
	v_pk_add_f32 v[22:23], v[22:23], v[76:77] neg_lo:[0,1] neg_hi:[0,1]
	s_wait_dscnt 0x0
	v_pk_mul_f32 v[76:77], v[62:63], v[74:75] op_sel:[0,1]
	s_delay_alu instid0(VALU_DEP_1) | instskip(SKIP_1) | instid1(VALU_DEP_1)
	v_pk_fma_f32 v[78:79], v[62:63], v[72:73], v[76:77] op_sel:[0,0,1] op_sel_hi:[1,1,0] neg_lo:[0,0,1] neg_hi:[0,0,1]
	v_pk_fma_f32 v[62:63], v[62:63], v[72:73], v[76:77] op_sel:[0,0,1] op_sel_hi:[1,0,0]
	v_mov_b32_e32 v79, v63
	v_pk_mul_f32 v[62:63], v[64:65], v[74:75] op_sel:[0,1]
	s_delay_alu instid0(VALU_DEP_1) | instskip(SKIP_1) | instid1(VALU_DEP_1)
	v_pk_fma_f32 v[76:77], v[64:65], v[72:73], v[62:63] op_sel:[0,0,1] op_sel_hi:[1,1,0] neg_lo:[0,0,1] neg_hi:[0,0,1]
	v_pk_fma_f32 v[62:63], v[64:65], v[72:73], v[62:63] op_sel:[0,0,1] op_sel_hi:[1,0,0]
	v_mov_b32_e32 v77, v63
	ds_load_2addr_b64 v[62:65], v66 offset0:24 offset1:25
	v_pk_add_f32 v[24:25], v[24:25], v[78:79] neg_lo:[0,1] neg_hi:[0,1]
	v_pk_add_f32 v[14:15], v[14:15], v[76:77] neg_lo:[0,1] neg_hi:[0,1]
	s_wait_dscnt 0x0
	v_dual_mul_f32 v76, v63, v75 :: v_dual_mul_f32 v78, v63, v72
	s_delay_alu instid0(VALU_DEP_1) | instskip(NEXT) | instid1(VALU_DEP_2)
	v_pk_fma_f32 v[76:77], v[62:63], v[10:11], v[76:77] op_sel_hi:[1,1,0] neg_lo:[0,0,1] neg_hi:[0,0,1]
	v_pk_fma_f32 v[62:63], v[62:63], v[10:11], v[78:79] op_sel:[1,0,0] op_sel_hi:[0,1,0]
	s_delay_alu instid0(VALU_DEP_1) | instskip(SKIP_1) | instid1(VALU_DEP_2)
	v_mov_b32_e32 v77, v63
	v_pk_mul_f32 v[62:63], v[64:65], v[74:75] op_sel:[0,1]
	v_pk_add_f32 v[20:21], v[20:21], v[76:77] neg_lo:[0,1] neg_hi:[0,1]
	s_delay_alu instid0(VALU_DEP_2) | instskip(SKIP_1) | instid1(VALU_DEP_1)
	v_pk_fma_f32 v[76:77], v[64:65], v[72:73], v[62:63] op_sel:[0,0,1] op_sel_hi:[1,1,0] neg_lo:[0,0,1] neg_hi:[0,0,1]
	v_pk_fma_f32 v[62:63], v[64:65], v[72:73], v[62:63] op_sel:[0,0,1] op_sel_hi:[1,0,0]
	v_mov_b32_e32 v77, v63
	ds_load_2addr_b64 v[62:65], v66 offset0:26 offset1:27
	v_pk_add_f32 v[18:19], v[18:19], v[76:77] neg_lo:[0,1] neg_hi:[0,1]
	s_wait_dscnt 0x0
	v_pk_mul_f32 v[76:77], v[62:63], v[74:75] op_sel:[0,1]
	v_mul_f32_e32 v74, v65, v75
	s_delay_alu instid0(VALU_DEP_2) | instskip(SKIP_2) | instid1(VALU_DEP_4)
	v_pk_fma_f32 v[78:79], v[62:63], v[72:73], v[76:77] op_sel:[0,0,1] op_sel_hi:[1,1,0] neg_lo:[0,0,1] neg_hi:[0,0,1]
	v_pk_fma_f32 v[62:63], v[62:63], v[72:73], v[76:77] op_sel:[0,0,1] op_sel_hi:[1,0,0]
	v_mov_b32_e32 v62, v65
	v_pk_fma_f32 v[74:75], v[64:65], v[10:11], v[74:75] op_sel_hi:[1,1,0] neg_lo:[0,0,1] neg_hi:[0,0,1]
	s_delay_alu instid0(VALU_DEP_3) | instskip(SKIP_1) | instid1(VALU_DEP_2)
	v_dual_mov_b32 v79, v63 :: v_dual_mov_b32 v63, v64
	v_mul_f32_e32 v64, v65, v72
	v_pk_add_f32 v[16:17], v[16:17], v[78:79] neg_lo:[0,1] neg_hi:[0,1]
	s_delay_alu instid0(VALU_DEP_2) | instskip(NEXT) | instid1(VALU_DEP_1)
	v_pk_fma_f32 v[62:63], v[62:63], v[10:11], v[64:65] op_sel_hi:[1,1,0]
	v_mov_b32_e32 v75, v63
	s_delay_alu instid0(VALU_DEP_1)
	v_pk_add_f32 v[60:61], v[60:61], v[74:75] neg_lo:[0,1] neg_hi:[0,1]
.LBB54_335:
	s_or_b32 exec_lo, exec_lo, s0
	v_lshl_add_u32 v62, v70, 3, v66
	s_barrier_signal -1
	s_barrier_wait -1
	ds_store_b64 v62, v[50:51]
	s_wait_dscnt 0x0
	s_barrier_signal -1
	s_barrier_wait -1
	ds_load_b64 v[62:63], v66 offset:128
	v_mov_b32_e32 v64, 16
	s_cmp_lt_i32 s18, 18
	s_cbranch_scc1 .LBB54_338
; %bb.336:
	v_add3_u32 v65, v67, 0, 0x88
	v_mov_b32_e32 v64, 16
	s_mov_b32 s0, 17
.LBB54_337:                             ; =>This Inner Loop Header: Depth=1
	ds_load_b64 v[72:73], v65
	s_wait_dscnt 0x1
	v_cmp_gt_f32_e32 vcc_lo, 0, v62
	v_cndmask_b32_e64 v74, v62, -v62, vcc_lo
	v_cmp_gt_f32_e32 vcc_lo, 0, v63
	v_cndmask_b32_e64 v76, v63, -v63, vcc_lo
	s_wait_dscnt 0x0
	v_cmp_gt_f32_e32 vcc_lo, 0, v72
	v_cndmask_b32_e64 v75, v72, -v72, vcc_lo
	v_cmp_gt_f32_e32 vcc_lo, 0, v73
	v_cndmask_b32_e64 v77, v73, -v73, vcc_lo
	s_delay_alu instid0(VALU_DEP_1) | instskip(NEXT) | instid1(VALU_DEP_1)
	v_pk_add_f32 v[74:75], v[74:75], v[76:77]
	v_cmp_lt_f32_e32 vcc_lo, v74, v75
	v_dual_cndmask_b32 v62, v62, v72 :: v_dual_add_nc_u32 v65, 8, v65
	v_cndmask_b32_e32 v63, v63, v73, vcc_lo
	v_cndmask_b32_e64 v64, v64, s0, vcc_lo
	s_add_co_i32 s0, s0, 1
	s_delay_alu instid0(SALU_CYCLE_1)
	s_cmp_lg_u32 s18, s0
	s_cbranch_scc1 .LBB54_337
.LBB54_338:
	s_wait_dscnt 0x0
	v_cmp_eq_f32_e32 vcc_lo, 0, v62
	v_cmp_eq_f32_e64 s0, 0, v63
	s_and_b32 s0, vcc_lo, s0
	s_delay_alu instid0(SALU_CYCLE_1) | instskip(NEXT) | instid1(SALU_CYCLE_1)
	s_and_saveexec_b32 s1, s0
	s_xor_b32 s0, exec_lo, s1
; %bb.339:
	v_cmp_ne_u32_e32 vcc_lo, 0, v69
	v_cndmask_b32_e32 v69, 17, v69, vcc_lo
; %bb.340:
	s_and_not1_saveexec_b32 s0, s0
	s_cbranch_execz .LBB54_346
; %bb.341:
	v_cmp_ngt_f32_e64 s1, |v62|, |v63|
	s_and_saveexec_b32 s12, s1
	s_delay_alu instid0(SALU_CYCLE_1)
	s_xor_b32 s1, exec_lo, s12
	s_cbranch_execz .LBB54_343
; %bb.342:
	v_div_scale_f32 v65, null, v63, v63, v62
	v_div_scale_f32 v73, vcc_lo, v62, v63, v62
	s_delay_alu instid0(VALU_DEP_2) | instskip(SKIP_1) | instid1(TRANS32_DEP_1)
	v_rcp_f32_e32 v71, v65
	v_nop
	v_fma_f32 v72, -v65, v71, 1.0
	s_delay_alu instid0(VALU_DEP_1) | instskip(NEXT) | instid1(VALU_DEP_1)
	v_fmac_f32_e32 v71, v72, v71
	v_mul_f32_e32 v72, v73, v71
	s_delay_alu instid0(VALU_DEP_1) | instskip(NEXT) | instid1(VALU_DEP_1)
	v_fma_f32 v74, -v65, v72, v73
	v_fmac_f32_e32 v72, v74, v71
	s_delay_alu instid0(VALU_DEP_1) | instskip(NEXT) | instid1(VALU_DEP_1)
	v_fma_f32 v65, -v65, v72, v73
	v_div_fmas_f32 v65, v65, v71, v72
	s_delay_alu instid0(VALU_DEP_1) | instskip(NEXT) | instid1(VALU_DEP_1)
	v_div_fixup_f32 v65, v65, v63, v62
	v_fmac_f32_e32 v63, v62, v65
	s_delay_alu instid0(VALU_DEP_1) | instskip(SKIP_1) | instid1(VALU_DEP_2)
	v_div_scale_f32 v62, null, v63, v63, 1.0
	v_div_scale_f32 v73, vcc_lo, 1.0, v63, 1.0
	v_rcp_f32_e32 v71, v62
	v_nop
	s_delay_alu instid0(TRANS32_DEP_1) | instskip(NEXT) | instid1(VALU_DEP_1)
	v_fma_f32 v72, -v62, v71, 1.0
	v_fmac_f32_e32 v71, v72, v71
	s_delay_alu instid0(VALU_DEP_1) | instskip(NEXT) | instid1(VALU_DEP_1)
	v_mul_f32_e32 v72, v73, v71
	v_fma_f32 v74, -v62, v72, v73
	s_delay_alu instid0(VALU_DEP_1) | instskip(NEXT) | instid1(VALU_DEP_1)
	v_fmac_f32_e32 v72, v74, v71
	v_fma_f32 v62, -v62, v72, v73
	s_delay_alu instid0(VALU_DEP_1) | instskip(NEXT) | instid1(VALU_DEP_1)
	v_div_fmas_f32 v62, v62, v71, v72
	v_div_fixup_f32 v63, v62, v63, 1.0
	s_delay_alu instid0(VALU_DEP_1)
	v_mul_f32_e32 v62, v65, v63
	v_xor_b32_e32 v63, 0x80000000, v63
.LBB54_343:
	s_and_not1_saveexec_b32 s1, s1
	s_cbranch_execz .LBB54_345
; %bb.344:
	s_delay_alu instid0(VALU_DEP_1) | instskip(SKIP_1) | instid1(VALU_DEP_2)
	v_div_scale_f32 v65, null, v62, v62, v63
	v_div_scale_f32 v73, vcc_lo, v63, v62, v63
	v_rcp_f32_e32 v71, v65
	v_nop
	s_delay_alu instid0(TRANS32_DEP_1) | instskip(NEXT) | instid1(VALU_DEP_1)
	v_fma_f32 v72, -v65, v71, 1.0
	v_fmac_f32_e32 v71, v72, v71
	s_delay_alu instid0(VALU_DEP_1) | instskip(NEXT) | instid1(VALU_DEP_1)
	v_mul_f32_e32 v72, v73, v71
	v_fma_f32 v74, -v65, v72, v73
	s_delay_alu instid0(VALU_DEP_1) | instskip(NEXT) | instid1(VALU_DEP_1)
	v_fmac_f32_e32 v72, v74, v71
	v_fma_f32 v65, -v65, v72, v73
	s_delay_alu instid0(VALU_DEP_1) | instskip(NEXT) | instid1(VALU_DEP_1)
	v_div_fmas_f32 v65, v65, v71, v72
	v_div_fixup_f32 v65, v65, v62, v63
	s_delay_alu instid0(VALU_DEP_1) | instskip(NEXT) | instid1(VALU_DEP_1)
	v_fmac_f32_e32 v62, v63, v65
	v_div_scale_f32 v63, null, v62, v62, 1.0
	s_delay_alu instid0(VALU_DEP_1) | instskip(SKIP_1) | instid1(TRANS32_DEP_1)
	v_rcp_f32_e32 v71, v63
	v_nop
	v_fma_f32 v72, -v63, v71, 1.0
	s_delay_alu instid0(VALU_DEP_1) | instskip(SKIP_1) | instid1(VALU_DEP_1)
	v_fmac_f32_e32 v71, v72, v71
	v_div_scale_f32 v72, vcc_lo, 1.0, v62, 1.0
	v_mul_f32_e32 v73, v72, v71
	s_delay_alu instid0(VALU_DEP_1) | instskip(NEXT) | instid1(VALU_DEP_1)
	v_fma_f32 v74, -v63, v73, v72
	v_fmac_f32_e32 v73, v74, v71
	s_delay_alu instid0(VALU_DEP_1) | instskip(NEXT) | instid1(VALU_DEP_1)
	v_fma_f32 v63, -v63, v73, v72
	v_div_fmas_f32 v63, v63, v71, v73
	s_delay_alu instid0(VALU_DEP_1) | instskip(NEXT) | instid1(VALU_DEP_1)
	v_div_fixup_f32 v62, v63, v62, 1.0
	v_mul_f32_e64 v63, v65, -v62
.LBB54_345:
	s_or_b32 exec_lo, exec_lo, s1
.LBB54_346:
	s_delay_alu instid0(SALU_CYCLE_1) | instskip(NEXT) | instid1(SALU_CYCLE_1)
	s_or_b32 exec_lo, exec_lo, s0
	s_mov_b32 s0, exec_lo
	v_cmpx_ne_u32_e64 v70, v64
	s_xor_b32 s0, exec_lo, s0
	s_cbranch_execz .LBB54_352
; %bb.347:
	s_mov_b32 s1, exec_lo
	v_cmpx_eq_u32_e32 16, v70
	s_cbranch_execz .LBB54_351
; %bb.348:
	v_cmp_ne_u32_e32 vcc_lo, 16, v64
	s_xor_b32 s12, s16, -1
	s_delay_alu instid0(SALU_CYCLE_1) | instskip(NEXT) | instid1(SALU_CYCLE_1)
	s_and_b32 s13, s12, vcc_lo
	s_and_saveexec_b32 s12, s13
	s_cbranch_execz .LBB54_350
; %bb.349:
	v_ashrrev_i32_e32 v65, 31, v64
	s_delay_alu instid0(VALU_DEP_1)
	v_lshl_add_u64 v[70:71], v[64:65], 2, v[4:5]
	s_clause 0x1
	global_load_b32 v65, v[70:71], off
	global_load_b32 v68, v[4:5], off offset:64
	s_wait_loadcnt 0x1
	global_store_b32 v[4:5], v65, off offset:64
	s_wait_loadcnt 0x0
	global_store_b32 v[70:71], v68, off
.LBB54_350:
	s_wait_xcnt 0x0
	s_or_b32 exec_lo, exec_lo, s12
	v_dual_mov_b32 v70, v64 :: v_dual_mov_b32 v68, v64
.LBB54_351:
	s_or_b32 exec_lo, exec_lo, s1
.LBB54_352:
	s_and_not1_saveexec_b32 s0, s0
	s_cbranch_execz .LBB54_354
; %bb.353:
	v_mov_b32_e32 v70, 16
	ds_store_2addr_b64 v66, v[46:47], v[48:49] offset0:17 offset1:18
	ds_store_2addr_b64 v66, v[12:13], v[26:27] offset0:19 offset1:20
	;; [unrolled: 1-line block ×5, first 2 shown]
	ds_store_b64 v66, v[60:61] offset:216
.LBB54_354:
	s_or_b32 exec_lo, exec_lo, s0
	s_delay_alu instid0(SALU_CYCLE_1)
	s_mov_b32 s0, exec_lo
	s_wait_storecnt_dscnt 0x0
	s_barrier_signal -1
	s_barrier_wait -1
	v_cmpx_lt_i32_e32 16, v70
	s_cbranch_execz .LBB54_356
; %bb.355:
	v_pk_mul_f32 v[64:65], v[62:63], v[50:51] op_sel:[1,1] op_sel_hi:[0,1]
	s_delay_alu instid0(VALU_DEP_1)
	v_pk_fma_f32 v[72:73], v[62:63], v[50:51], v[64:65] op_sel_hi:[1,0,1] neg_lo:[0,0,1] neg_hi:[0,0,1]
	v_pk_fma_f32 v[74:75], v[62:63], v[50:51], v[64:65] op_sel_hi:[1,0,1]
	ds_load_2addr_b64 v[62:65], v66 offset0:17 offset1:18
	v_dual_mov_b32 v50, v72 :: v_dual_mov_b32 v51, v75
	s_wait_dscnt 0x0
	v_pk_mul_f32 v[76:77], v[62:63], v[74:75] op_sel:[0,1]
	s_delay_alu instid0(VALU_DEP_1) | instskip(SKIP_1) | instid1(VALU_DEP_1)
	v_pk_fma_f32 v[78:79], v[62:63], v[72:73], v[76:77] op_sel:[0,0,1] op_sel_hi:[1,1,0] neg_lo:[0,0,1] neg_hi:[0,0,1]
	v_pk_fma_f32 v[62:63], v[62:63], v[72:73], v[76:77] op_sel:[0,0,1] op_sel_hi:[1,0,0]
	v_mov_b32_e32 v79, v63
	v_pk_mul_f32 v[62:63], v[64:65], v[74:75] op_sel:[0,1]
	s_delay_alu instid0(VALU_DEP_1) | instskip(SKIP_1) | instid1(VALU_DEP_1)
	v_pk_fma_f32 v[76:77], v[64:65], v[72:73], v[62:63] op_sel:[0,0,1] op_sel_hi:[1,1,0] neg_lo:[0,0,1] neg_hi:[0,0,1]
	v_pk_fma_f32 v[62:63], v[64:65], v[72:73], v[62:63] op_sel:[0,0,1] op_sel_hi:[1,0,0]
	v_mov_b32_e32 v77, v63
	ds_load_2addr_b64 v[62:65], v66 offset0:19 offset1:20
	v_pk_add_f32 v[46:47], v[46:47], v[78:79] neg_lo:[0,1] neg_hi:[0,1]
	v_pk_add_f32 v[48:49], v[48:49], v[76:77] neg_lo:[0,1] neg_hi:[0,1]
	s_wait_dscnt 0x0
	v_pk_mul_f32 v[76:77], v[62:63], v[74:75] op_sel:[0,1]
	s_delay_alu instid0(VALU_DEP_1) | instskip(SKIP_2) | instid1(VALU_DEP_2)
	v_pk_fma_f32 v[78:79], v[62:63], v[72:73], v[76:77] op_sel:[0,0,1] op_sel_hi:[1,1,0] neg_lo:[0,0,1] neg_hi:[0,0,1]
	v_pk_fma_f32 v[62:63], v[62:63], v[72:73], v[76:77] op_sel:[0,0,1] op_sel_hi:[1,0,0]
	v_dual_mul_f32 v76, v65, v75 :: v_dual_mov_b32 v62, v65
	v_dual_mov_b32 v79, v63 :: v_dual_mov_b32 v63, v64
	s_delay_alu instid0(VALU_DEP_2) | instskip(SKIP_1) | instid1(VALU_DEP_3)
	v_pk_fma_f32 v[76:77], v[64:65], v[50:51], v[76:77] op_sel_hi:[1,1,0] neg_lo:[0,0,1] neg_hi:[0,0,1]
	v_mul_f32_e32 v64, v65, v72
	v_pk_add_f32 v[12:13], v[12:13], v[78:79] neg_lo:[0,1] neg_hi:[0,1]
	s_delay_alu instid0(VALU_DEP_2) | instskip(NEXT) | instid1(VALU_DEP_1)
	v_pk_fma_f32 v[62:63], v[62:63], v[50:51], v[64:65] op_sel_hi:[1,1,0]
	v_mov_b32_e32 v77, v63
	ds_load_2addr_b64 v[62:65], v66 offset0:21 offset1:22
	v_pk_add_f32 v[26:27], v[26:27], v[76:77] neg_lo:[0,1] neg_hi:[0,1]
	s_wait_dscnt 0x0
	v_pk_mul_f32 v[76:77], v[62:63], v[74:75] op_sel:[0,1]
	s_delay_alu instid0(VALU_DEP_1) | instskip(SKIP_1) | instid1(VALU_DEP_1)
	v_pk_fma_f32 v[78:79], v[62:63], v[72:73], v[76:77] op_sel:[0,0,1] op_sel_hi:[1,1,0] neg_lo:[0,0,1] neg_hi:[0,0,1]
	v_pk_fma_f32 v[62:63], v[62:63], v[72:73], v[76:77] op_sel:[0,0,1] op_sel_hi:[1,0,0]
	v_mov_b32_e32 v79, v63
	v_pk_mul_f32 v[62:63], v[64:65], v[74:75] op_sel:[0,1]
	s_delay_alu instid0(VALU_DEP_1) | instskip(SKIP_1) | instid1(VALU_DEP_1)
	v_pk_fma_f32 v[76:77], v[64:65], v[72:73], v[62:63] op_sel:[0,0,1] op_sel_hi:[1,1,0] neg_lo:[0,0,1] neg_hi:[0,0,1]
	v_pk_fma_f32 v[62:63], v[64:65], v[72:73], v[62:63] op_sel:[0,0,1] op_sel_hi:[1,0,0]
	v_mov_b32_e32 v77, v63
	ds_load_2addr_b64 v[62:65], v66 offset0:23 offset1:24
	v_pk_add_f32 v[22:23], v[22:23], v[78:79] neg_lo:[0,1] neg_hi:[0,1]
	v_pk_add_f32 v[24:25], v[24:25], v[76:77] neg_lo:[0,1] neg_hi:[0,1]
	s_wait_dscnt 0x0
	v_pk_mul_f32 v[76:77], v[62:63], v[74:75] op_sel:[0,1]
	s_delay_alu instid0(VALU_DEP_1) | instskip(SKIP_1) | instid1(VALU_DEP_1)
	v_pk_fma_f32 v[78:79], v[62:63], v[72:73], v[76:77] op_sel:[0,0,1] op_sel_hi:[1,1,0] neg_lo:[0,0,1] neg_hi:[0,0,1]
	v_pk_fma_f32 v[62:63], v[62:63], v[72:73], v[76:77] op_sel:[0,0,1] op_sel_hi:[1,0,0]
	v_mov_b32_e32 v79, v63
	v_pk_mul_f32 v[62:63], v[64:65], v[74:75] op_sel:[0,1]
	s_delay_alu instid0(VALU_DEP_1) | instskip(SKIP_1) | instid1(VALU_DEP_1)
	v_pk_fma_f32 v[76:77], v[64:65], v[72:73], v[62:63] op_sel:[0,0,1] op_sel_hi:[1,1,0] neg_lo:[0,0,1] neg_hi:[0,0,1]
	v_pk_fma_f32 v[62:63], v[64:65], v[72:73], v[62:63] op_sel:[0,0,1] op_sel_hi:[1,0,0]
	v_mov_b32_e32 v77, v63
	ds_load_2addr_b64 v[62:65], v66 offset0:25 offset1:26
	v_pk_add_f32 v[14:15], v[14:15], v[78:79] neg_lo:[0,1] neg_hi:[0,1]
	v_pk_add_f32 v[20:21], v[20:21], v[76:77] neg_lo:[0,1] neg_hi:[0,1]
	s_wait_dscnt 0x0
	v_dual_mul_f32 v76, v63, v75 :: v_dual_mul_f32 v78, v63, v72
	s_delay_alu instid0(VALU_DEP_1) | instskip(NEXT) | instid1(VALU_DEP_2)
	v_pk_fma_f32 v[76:77], v[62:63], v[50:51], v[76:77] op_sel_hi:[1,1,0] neg_lo:[0,0,1] neg_hi:[0,0,1]
	v_pk_fma_f32 v[62:63], v[62:63], v[50:51], v[78:79] op_sel:[1,0,0] op_sel_hi:[0,1,0]
	s_delay_alu instid0(VALU_DEP_1) | instskip(SKIP_1) | instid1(VALU_DEP_2)
	v_mov_b32_e32 v77, v63
	v_pk_mul_f32 v[62:63], v[64:65], v[74:75] op_sel:[0,1]
	v_pk_add_f32 v[18:19], v[18:19], v[76:77] neg_lo:[0,1] neg_hi:[0,1]
	s_delay_alu instid0(VALU_DEP_2) | instskip(SKIP_1) | instid1(VALU_DEP_1)
	v_pk_fma_f32 v[76:77], v[64:65], v[72:73], v[62:63] op_sel:[0,0,1] op_sel_hi:[1,1,0] neg_lo:[0,0,1] neg_hi:[0,0,1]
	v_pk_fma_f32 v[62:63], v[64:65], v[72:73], v[62:63] op_sel:[0,0,1] op_sel_hi:[1,0,0]
	v_mov_b32_e32 v77, v63
	ds_load_b64 v[62:63], v66 offset:216
	v_pk_add_f32 v[16:17], v[16:17], v[76:77] neg_lo:[0,1] neg_hi:[0,1]
	s_wait_dscnt 0x0
	v_pk_mul_f32 v[64:65], v[62:63], v[74:75] op_sel:[0,1]
	s_delay_alu instid0(VALU_DEP_1) | instskip(SKIP_1) | instid1(VALU_DEP_1)
	v_pk_fma_f32 v[74:75], v[62:63], v[72:73], v[64:65] op_sel:[0,0,1] op_sel_hi:[1,1,0] neg_lo:[0,0,1] neg_hi:[0,0,1]
	v_pk_fma_f32 v[62:63], v[62:63], v[72:73], v[64:65] op_sel:[0,0,1] op_sel_hi:[1,0,0]
	v_mov_b32_e32 v75, v63
	s_delay_alu instid0(VALU_DEP_1)
	v_pk_add_f32 v[60:61], v[60:61], v[74:75] neg_lo:[0,1] neg_hi:[0,1]
.LBB54_356:
	s_or_b32 exec_lo, exec_lo, s0
	v_lshl_add_u32 v62, v70, 3, v66
	s_barrier_signal -1
	s_barrier_wait -1
	ds_store_b64 v62, v[46:47]
	s_wait_dscnt 0x0
	s_barrier_signal -1
	s_barrier_wait -1
	ds_load_b64 v[62:63], v66 offset:136
	v_mov_b32_e32 v64, 17
	s_cmp_lt_i32 s18, 19
	s_cbranch_scc1 .LBB54_359
; %bb.357:
	v_add3_u32 v65, v67, 0, 0x90
	v_mov_b32_e32 v64, 17
	s_mov_b32 s0, 18
.LBB54_358:                             ; =>This Inner Loop Header: Depth=1
	ds_load_b64 v[72:73], v65
	s_wait_dscnt 0x1
	v_cmp_gt_f32_e32 vcc_lo, 0, v62
	v_cndmask_b32_e64 v74, v62, -v62, vcc_lo
	v_cmp_gt_f32_e32 vcc_lo, 0, v63
	v_cndmask_b32_e64 v76, v63, -v63, vcc_lo
	s_wait_dscnt 0x0
	v_cmp_gt_f32_e32 vcc_lo, 0, v72
	v_cndmask_b32_e64 v75, v72, -v72, vcc_lo
	v_cmp_gt_f32_e32 vcc_lo, 0, v73
	v_cndmask_b32_e64 v77, v73, -v73, vcc_lo
	s_delay_alu instid0(VALU_DEP_1) | instskip(NEXT) | instid1(VALU_DEP_1)
	v_pk_add_f32 v[74:75], v[74:75], v[76:77]
	v_cmp_lt_f32_e32 vcc_lo, v74, v75
	v_dual_cndmask_b32 v62, v62, v72 :: v_dual_add_nc_u32 v65, 8, v65
	v_cndmask_b32_e32 v63, v63, v73, vcc_lo
	v_cndmask_b32_e64 v64, v64, s0, vcc_lo
	s_add_co_i32 s0, s0, 1
	s_delay_alu instid0(SALU_CYCLE_1)
	s_cmp_lg_u32 s18, s0
	s_cbranch_scc1 .LBB54_358
.LBB54_359:
	s_wait_dscnt 0x0
	v_cmp_eq_f32_e32 vcc_lo, 0, v62
	v_cmp_eq_f32_e64 s0, 0, v63
	s_and_b32 s0, vcc_lo, s0
	s_delay_alu instid0(SALU_CYCLE_1) | instskip(NEXT) | instid1(SALU_CYCLE_1)
	s_and_saveexec_b32 s1, s0
	s_xor_b32 s0, exec_lo, s1
; %bb.360:
	v_cmp_ne_u32_e32 vcc_lo, 0, v69
	v_cndmask_b32_e32 v69, 18, v69, vcc_lo
; %bb.361:
	s_and_not1_saveexec_b32 s0, s0
	s_cbranch_execz .LBB54_367
; %bb.362:
	v_cmp_ngt_f32_e64 s1, |v62|, |v63|
	s_and_saveexec_b32 s12, s1
	s_delay_alu instid0(SALU_CYCLE_1)
	s_xor_b32 s1, exec_lo, s12
	s_cbranch_execz .LBB54_364
; %bb.363:
	v_div_scale_f32 v65, null, v63, v63, v62
	v_div_scale_f32 v73, vcc_lo, v62, v63, v62
	s_delay_alu instid0(VALU_DEP_2) | instskip(SKIP_1) | instid1(TRANS32_DEP_1)
	v_rcp_f32_e32 v71, v65
	v_nop
	v_fma_f32 v72, -v65, v71, 1.0
	s_delay_alu instid0(VALU_DEP_1) | instskip(NEXT) | instid1(VALU_DEP_1)
	v_fmac_f32_e32 v71, v72, v71
	v_mul_f32_e32 v72, v73, v71
	s_delay_alu instid0(VALU_DEP_1) | instskip(NEXT) | instid1(VALU_DEP_1)
	v_fma_f32 v74, -v65, v72, v73
	v_fmac_f32_e32 v72, v74, v71
	s_delay_alu instid0(VALU_DEP_1) | instskip(NEXT) | instid1(VALU_DEP_1)
	v_fma_f32 v65, -v65, v72, v73
	v_div_fmas_f32 v65, v65, v71, v72
	s_delay_alu instid0(VALU_DEP_1) | instskip(NEXT) | instid1(VALU_DEP_1)
	v_div_fixup_f32 v65, v65, v63, v62
	v_fmac_f32_e32 v63, v62, v65
	s_delay_alu instid0(VALU_DEP_1) | instskip(SKIP_1) | instid1(VALU_DEP_2)
	v_div_scale_f32 v62, null, v63, v63, 1.0
	v_div_scale_f32 v73, vcc_lo, 1.0, v63, 1.0
	v_rcp_f32_e32 v71, v62
	v_nop
	s_delay_alu instid0(TRANS32_DEP_1) | instskip(NEXT) | instid1(VALU_DEP_1)
	v_fma_f32 v72, -v62, v71, 1.0
	v_fmac_f32_e32 v71, v72, v71
	s_delay_alu instid0(VALU_DEP_1) | instskip(NEXT) | instid1(VALU_DEP_1)
	v_mul_f32_e32 v72, v73, v71
	v_fma_f32 v74, -v62, v72, v73
	s_delay_alu instid0(VALU_DEP_1) | instskip(NEXT) | instid1(VALU_DEP_1)
	v_fmac_f32_e32 v72, v74, v71
	v_fma_f32 v62, -v62, v72, v73
	s_delay_alu instid0(VALU_DEP_1) | instskip(NEXT) | instid1(VALU_DEP_1)
	v_div_fmas_f32 v62, v62, v71, v72
	v_div_fixup_f32 v63, v62, v63, 1.0
	s_delay_alu instid0(VALU_DEP_1)
	v_mul_f32_e32 v62, v65, v63
	v_xor_b32_e32 v63, 0x80000000, v63
.LBB54_364:
	s_and_not1_saveexec_b32 s1, s1
	s_cbranch_execz .LBB54_366
; %bb.365:
	s_delay_alu instid0(VALU_DEP_1) | instskip(SKIP_1) | instid1(VALU_DEP_2)
	v_div_scale_f32 v65, null, v62, v62, v63
	v_div_scale_f32 v73, vcc_lo, v63, v62, v63
	v_rcp_f32_e32 v71, v65
	v_nop
	s_delay_alu instid0(TRANS32_DEP_1) | instskip(NEXT) | instid1(VALU_DEP_1)
	v_fma_f32 v72, -v65, v71, 1.0
	v_fmac_f32_e32 v71, v72, v71
	s_delay_alu instid0(VALU_DEP_1) | instskip(NEXT) | instid1(VALU_DEP_1)
	v_mul_f32_e32 v72, v73, v71
	v_fma_f32 v74, -v65, v72, v73
	s_delay_alu instid0(VALU_DEP_1) | instskip(NEXT) | instid1(VALU_DEP_1)
	v_fmac_f32_e32 v72, v74, v71
	v_fma_f32 v65, -v65, v72, v73
	s_delay_alu instid0(VALU_DEP_1) | instskip(NEXT) | instid1(VALU_DEP_1)
	v_div_fmas_f32 v65, v65, v71, v72
	v_div_fixup_f32 v65, v65, v62, v63
	s_delay_alu instid0(VALU_DEP_1) | instskip(NEXT) | instid1(VALU_DEP_1)
	v_fmac_f32_e32 v62, v63, v65
	v_div_scale_f32 v63, null, v62, v62, 1.0
	s_delay_alu instid0(VALU_DEP_1) | instskip(SKIP_1) | instid1(TRANS32_DEP_1)
	v_rcp_f32_e32 v71, v63
	v_nop
	v_fma_f32 v72, -v63, v71, 1.0
	s_delay_alu instid0(VALU_DEP_1) | instskip(SKIP_1) | instid1(VALU_DEP_1)
	v_fmac_f32_e32 v71, v72, v71
	v_div_scale_f32 v72, vcc_lo, 1.0, v62, 1.0
	v_mul_f32_e32 v73, v72, v71
	s_delay_alu instid0(VALU_DEP_1) | instskip(NEXT) | instid1(VALU_DEP_1)
	v_fma_f32 v74, -v63, v73, v72
	v_fmac_f32_e32 v73, v74, v71
	s_delay_alu instid0(VALU_DEP_1) | instskip(NEXT) | instid1(VALU_DEP_1)
	v_fma_f32 v63, -v63, v73, v72
	v_div_fmas_f32 v63, v63, v71, v73
	s_delay_alu instid0(VALU_DEP_1) | instskip(NEXT) | instid1(VALU_DEP_1)
	v_div_fixup_f32 v62, v63, v62, 1.0
	v_mul_f32_e64 v63, v65, -v62
.LBB54_366:
	s_or_b32 exec_lo, exec_lo, s1
.LBB54_367:
	s_delay_alu instid0(SALU_CYCLE_1) | instskip(NEXT) | instid1(SALU_CYCLE_1)
	s_or_b32 exec_lo, exec_lo, s0
	s_mov_b32 s0, exec_lo
	v_cmpx_ne_u32_e64 v70, v64
	s_xor_b32 s0, exec_lo, s0
	s_cbranch_execz .LBB54_373
; %bb.368:
	s_mov_b32 s1, exec_lo
	v_cmpx_eq_u32_e32 17, v70
	s_cbranch_execz .LBB54_372
; %bb.369:
	v_cmp_ne_u32_e32 vcc_lo, 17, v64
	s_xor_b32 s12, s16, -1
	s_delay_alu instid0(SALU_CYCLE_1) | instskip(NEXT) | instid1(SALU_CYCLE_1)
	s_and_b32 s13, s12, vcc_lo
	s_and_saveexec_b32 s12, s13
	s_cbranch_execz .LBB54_371
; %bb.370:
	v_ashrrev_i32_e32 v65, 31, v64
	s_delay_alu instid0(VALU_DEP_1)
	v_lshl_add_u64 v[70:71], v[64:65], 2, v[4:5]
	s_clause 0x1
	global_load_b32 v65, v[70:71], off
	global_load_b32 v68, v[4:5], off offset:68
	s_wait_loadcnt 0x1
	global_store_b32 v[4:5], v65, off offset:68
	s_wait_loadcnt 0x0
	global_store_b32 v[70:71], v68, off
.LBB54_371:
	s_wait_xcnt 0x0
	s_or_b32 exec_lo, exec_lo, s12
	v_dual_mov_b32 v70, v64 :: v_dual_mov_b32 v68, v64
.LBB54_372:
	s_or_b32 exec_lo, exec_lo, s1
.LBB54_373:
	s_and_not1_saveexec_b32 s0, s0
	s_cbranch_execz .LBB54_375
; %bb.374:
	v_dual_mov_b32 v64, v48 :: v_dual_mov_b32 v65, v49
	v_dual_mov_b32 v72, v12 :: v_dual_mov_b32 v73, v13
	;; [unrolled: 1-line block ×9, first 2 shown]
	v_mov_b32_e32 v87, v17
	ds_store_2addr_b64 v66, v[64:65], v[72:73] offset0:18 offset1:19
	ds_store_2addr_b64 v66, v[74:75], v[76:77] offset0:20 offset1:21
	;; [unrolled: 1-line block ×5, first 2 shown]
.LBB54_375:
	s_or_b32 exec_lo, exec_lo, s0
	s_delay_alu instid0(SALU_CYCLE_1)
	s_mov_b32 s0, exec_lo
	s_wait_storecnt_dscnt 0x0
	s_barrier_signal -1
	s_barrier_wait -1
	v_cmpx_lt_i32_e32 17, v70
	s_cbranch_execz .LBB54_377
; %bb.376:
	v_pk_mul_f32 v[64:65], v[62:63], v[46:47] op_sel:[1,1] op_sel_hi:[0,1]
	s_delay_alu instid0(VALU_DEP_1)
	v_pk_fma_f32 v[72:73], v[62:63], v[46:47], v[64:65] op_sel_hi:[1,0,1] neg_lo:[0,0,1] neg_hi:[0,0,1]
	v_pk_fma_f32 v[74:75], v[62:63], v[46:47], v[64:65] op_sel_hi:[1,0,1]
	ds_load_2addr_b64 v[62:65], v66 offset0:18 offset1:19
	v_dual_mov_b32 v46, v72 :: v_dual_mov_b32 v47, v75
	s_wait_dscnt 0x0
	v_pk_mul_f32 v[76:77], v[62:63], v[74:75] op_sel:[0,1]
	s_delay_alu instid0(VALU_DEP_1) | instskip(SKIP_1) | instid1(VALU_DEP_1)
	v_pk_fma_f32 v[78:79], v[62:63], v[72:73], v[76:77] op_sel:[0,0,1] op_sel_hi:[1,1,0] neg_lo:[0,0,1] neg_hi:[0,0,1]
	v_pk_fma_f32 v[62:63], v[62:63], v[72:73], v[76:77] op_sel:[0,0,1] op_sel_hi:[1,0,0]
	v_mov_b32_e32 v79, v63
	v_pk_mul_f32 v[62:63], v[64:65], v[74:75] op_sel:[0,1]
	s_delay_alu instid0(VALU_DEP_1) | instskip(SKIP_1) | instid1(VALU_DEP_1)
	v_pk_fma_f32 v[76:77], v[64:65], v[72:73], v[62:63] op_sel:[0,0,1] op_sel_hi:[1,1,0] neg_lo:[0,0,1] neg_hi:[0,0,1]
	v_pk_fma_f32 v[62:63], v[64:65], v[72:73], v[62:63] op_sel:[0,0,1] op_sel_hi:[1,0,0]
	v_mov_b32_e32 v77, v63
	ds_load_2addr_b64 v[62:65], v66 offset0:20 offset1:21
	v_pk_add_f32 v[48:49], v[48:49], v[78:79] neg_lo:[0,1] neg_hi:[0,1]
	v_pk_add_f32 v[12:13], v[12:13], v[76:77] neg_lo:[0,1] neg_hi:[0,1]
	s_wait_dscnt 0x0
	v_pk_mul_f32 v[76:77], v[62:63], v[74:75] op_sel:[0,1]
	s_delay_alu instid0(VALU_DEP_1) | instskip(SKIP_2) | instid1(VALU_DEP_2)
	v_pk_fma_f32 v[78:79], v[62:63], v[72:73], v[76:77] op_sel:[0,0,1] op_sel_hi:[1,1,0] neg_lo:[0,0,1] neg_hi:[0,0,1]
	v_pk_fma_f32 v[62:63], v[62:63], v[72:73], v[76:77] op_sel:[0,0,1] op_sel_hi:[1,0,0]
	v_dual_mul_f32 v76, v65, v75 :: v_dual_mov_b32 v62, v65
	v_dual_mov_b32 v79, v63 :: v_dual_mov_b32 v63, v64
	s_delay_alu instid0(VALU_DEP_2) | instskip(SKIP_1) | instid1(VALU_DEP_3)
	v_pk_fma_f32 v[76:77], v[64:65], v[46:47], v[76:77] op_sel_hi:[1,1,0] neg_lo:[0,0,1] neg_hi:[0,0,1]
	v_mul_f32_e32 v64, v65, v72
	v_pk_add_f32 v[26:27], v[26:27], v[78:79] neg_lo:[0,1] neg_hi:[0,1]
	s_delay_alu instid0(VALU_DEP_2) | instskip(NEXT) | instid1(VALU_DEP_1)
	v_pk_fma_f32 v[62:63], v[62:63], v[46:47], v[64:65] op_sel_hi:[1,1,0]
	v_mov_b32_e32 v77, v63
	ds_load_2addr_b64 v[62:65], v66 offset0:22 offset1:23
	v_pk_add_f32 v[22:23], v[22:23], v[76:77] neg_lo:[0,1] neg_hi:[0,1]
	s_wait_dscnt 0x0
	v_pk_mul_f32 v[76:77], v[62:63], v[74:75] op_sel:[0,1]
	s_delay_alu instid0(VALU_DEP_1) | instskip(SKIP_1) | instid1(VALU_DEP_1)
	v_pk_fma_f32 v[78:79], v[62:63], v[72:73], v[76:77] op_sel:[0,0,1] op_sel_hi:[1,1,0] neg_lo:[0,0,1] neg_hi:[0,0,1]
	v_pk_fma_f32 v[62:63], v[62:63], v[72:73], v[76:77] op_sel:[0,0,1] op_sel_hi:[1,0,0]
	v_mov_b32_e32 v79, v63
	v_pk_mul_f32 v[62:63], v[64:65], v[74:75] op_sel:[0,1]
	s_delay_alu instid0(VALU_DEP_1) | instskip(SKIP_1) | instid1(VALU_DEP_1)
	v_pk_fma_f32 v[76:77], v[64:65], v[72:73], v[62:63] op_sel:[0,0,1] op_sel_hi:[1,1,0] neg_lo:[0,0,1] neg_hi:[0,0,1]
	v_pk_fma_f32 v[62:63], v[64:65], v[72:73], v[62:63] op_sel:[0,0,1] op_sel_hi:[1,0,0]
	v_mov_b32_e32 v77, v63
	ds_load_2addr_b64 v[62:65], v66 offset0:24 offset1:25
	v_pk_add_f32 v[24:25], v[24:25], v[78:79] neg_lo:[0,1] neg_hi:[0,1]
	v_pk_add_f32 v[14:15], v[14:15], v[76:77] neg_lo:[0,1] neg_hi:[0,1]
	s_wait_dscnt 0x0
	v_pk_mul_f32 v[76:77], v[62:63], v[74:75] op_sel:[0,1]
	s_delay_alu instid0(VALU_DEP_1) | instskip(SKIP_1) | instid1(VALU_DEP_1)
	v_pk_fma_f32 v[78:79], v[62:63], v[72:73], v[76:77] op_sel:[0,0,1] op_sel_hi:[1,1,0] neg_lo:[0,0,1] neg_hi:[0,0,1]
	v_pk_fma_f32 v[62:63], v[62:63], v[72:73], v[76:77] op_sel:[0,0,1] op_sel_hi:[1,0,0]
	v_mov_b32_e32 v79, v63
	v_pk_mul_f32 v[62:63], v[64:65], v[74:75] op_sel:[0,1]
	s_delay_alu instid0(VALU_DEP_1) | instskip(SKIP_1) | instid1(VALU_DEP_1)
	v_pk_fma_f32 v[76:77], v[64:65], v[72:73], v[62:63] op_sel:[0,0,1] op_sel_hi:[1,1,0] neg_lo:[0,0,1] neg_hi:[0,0,1]
	v_pk_fma_f32 v[62:63], v[64:65], v[72:73], v[62:63] op_sel:[0,0,1] op_sel_hi:[1,0,0]
	v_mov_b32_e32 v77, v63
	ds_load_2addr_b64 v[62:65], v66 offset0:26 offset1:27
	v_pk_add_f32 v[20:21], v[20:21], v[78:79] neg_lo:[0,1] neg_hi:[0,1]
	v_pk_add_f32 v[18:19], v[18:19], v[76:77] neg_lo:[0,1] neg_hi:[0,1]
	s_wait_dscnt 0x0
	v_dual_mul_f32 v76, v63, v75 :: v_dual_mul_f32 v78, v63, v72
	s_delay_alu instid0(VALU_DEP_1) | instskip(NEXT) | instid1(VALU_DEP_2)
	v_pk_fma_f32 v[76:77], v[62:63], v[46:47], v[76:77] op_sel_hi:[1,1,0] neg_lo:[0,0,1] neg_hi:[0,0,1]
	v_pk_fma_f32 v[62:63], v[62:63], v[46:47], v[78:79] op_sel:[1,0,0] op_sel_hi:[0,1,0]
	s_delay_alu instid0(VALU_DEP_1) | instskip(SKIP_1) | instid1(VALU_DEP_1)
	v_mov_b32_e32 v77, v63
	v_pk_mul_f32 v[62:63], v[64:65], v[74:75] op_sel:[0,1]
	v_pk_fma_f32 v[74:75], v[64:65], v[72:73], v[62:63] op_sel:[0,0,1] op_sel_hi:[1,1,0] neg_lo:[0,0,1] neg_hi:[0,0,1]
	v_pk_fma_f32 v[62:63], v[64:65], v[72:73], v[62:63] op_sel:[0,0,1] op_sel_hi:[1,0,0]
	s_delay_alu instid0(VALU_DEP_1) | instskip(SKIP_1) | instid1(VALU_DEP_2)
	v_mov_b32_e32 v75, v63
	v_pk_add_f32 v[16:17], v[16:17], v[76:77] neg_lo:[0,1] neg_hi:[0,1]
	v_pk_add_f32 v[60:61], v[60:61], v[74:75] neg_lo:[0,1] neg_hi:[0,1]
.LBB54_377:
	s_or_b32 exec_lo, exec_lo, s0
	v_lshl_add_u32 v62, v70, 3, v66
	s_barrier_signal -1
	s_barrier_wait -1
	ds_store_b64 v62, v[48:49]
	s_wait_dscnt 0x0
	s_barrier_signal -1
	s_barrier_wait -1
	ds_load_b64 v[62:63], v66 offset:144
	v_mov_b32_e32 v64, 18
	s_cmp_lt_i32 s18, 20
	s_cbranch_scc1 .LBB54_380
; %bb.378:
	v_add3_u32 v65, v67, 0, 0x98
	v_mov_b32_e32 v64, 18
	s_mov_b32 s0, 19
.LBB54_379:                             ; =>This Inner Loop Header: Depth=1
	ds_load_b64 v[72:73], v65
	s_wait_dscnt 0x1
	v_cmp_gt_f32_e32 vcc_lo, 0, v62
	v_cndmask_b32_e64 v74, v62, -v62, vcc_lo
	v_cmp_gt_f32_e32 vcc_lo, 0, v63
	v_cndmask_b32_e64 v76, v63, -v63, vcc_lo
	s_wait_dscnt 0x0
	v_cmp_gt_f32_e32 vcc_lo, 0, v72
	v_cndmask_b32_e64 v75, v72, -v72, vcc_lo
	v_cmp_gt_f32_e32 vcc_lo, 0, v73
	v_cndmask_b32_e64 v77, v73, -v73, vcc_lo
	s_delay_alu instid0(VALU_DEP_1) | instskip(NEXT) | instid1(VALU_DEP_1)
	v_pk_add_f32 v[74:75], v[74:75], v[76:77]
	v_cmp_lt_f32_e32 vcc_lo, v74, v75
	v_dual_cndmask_b32 v62, v62, v72 :: v_dual_add_nc_u32 v65, 8, v65
	v_cndmask_b32_e32 v63, v63, v73, vcc_lo
	v_cndmask_b32_e64 v64, v64, s0, vcc_lo
	s_add_co_i32 s0, s0, 1
	s_delay_alu instid0(SALU_CYCLE_1)
	s_cmp_lg_u32 s18, s0
	s_cbranch_scc1 .LBB54_379
.LBB54_380:
	s_wait_dscnt 0x0
	v_cmp_eq_f32_e32 vcc_lo, 0, v62
	v_cmp_eq_f32_e64 s0, 0, v63
	s_and_b32 s0, vcc_lo, s0
	s_delay_alu instid0(SALU_CYCLE_1) | instskip(NEXT) | instid1(SALU_CYCLE_1)
	s_and_saveexec_b32 s1, s0
	s_xor_b32 s0, exec_lo, s1
; %bb.381:
	v_cmp_ne_u32_e32 vcc_lo, 0, v69
	v_cndmask_b32_e32 v69, 19, v69, vcc_lo
; %bb.382:
	s_and_not1_saveexec_b32 s0, s0
	s_cbranch_execz .LBB54_388
; %bb.383:
	v_cmp_ngt_f32_e64 s1, |v62|, |v63|
	s_and_saveexec_b32 s12, s1
	s_delay_alu instid0(SALU_CYCLE_1)
	s_xor_b32 s1, exec_lo, s12
	s_cbranch_execz .LBB54_385
; %bb.384:
	v_div_scale_f32 v65, null, v63, v63, v62
	v_div_scale_f32 v73, vcc_lo, v62, v63, v62
	s_delay_alu instid0(VALU_DEP_2) | instskip(SKIP_1) | instid1(TRANS32_DEP_1)
	v_rcp_f32_e32 v71, v65
	v_nop
	v_fma_f32 v72, -v65, v71, 1.0
	s_delay_alu instid0(VALU_DEP_1) | instskip(NEXT) | instid1(VALU_DEP_1)
	v_fmac_f32_e32 v71, v72, v71
	v_mul_f32_e32 v72, v73, v71
	s_delay_alu instid0(VALU_DEP_1) | instskip(NEXT) | instid1(VALU_DEP_1)
	v_fma_f32 v74, -v65, v72, v73
	v_fmac_f32_e32 v72, v74, v71
	s_delay_alu instid0(VALU_DEP_1) | instskip(NEXT) | instid1(VALU_DEP_1)
	v_fma_f32 v65, -v65, v72, v73
	v_div_fmas_f32 v65, v65, v71, v72
	s_delay_alu instid0(VALU_DEP_1) | instskip(NEXT) | instid1(VALU_DEP_1)
	v_div_fixup_f32 v65, v65, v63, v62
	v_fmac_f32_e32 v63, v62, v65
	s_delay_alu instid0(VALU_DEP_1) | instskip(SKIP_1) | instid1(VALU_DEP_2)
	v_div_scale_f32 v62, null, v63, v63, 1.0
	v_div_scale_f32 v73, vcc_lo, 1.0, v63, 1.0
	v_rcp_f32_e32 v71, v62
	v_nop
	s_delay_alu instid0(TRANS32_DEP_1) | instskip(NEXT) | instid1(VALU_DEP_1)
	v_fma_f32 v72, -v62, v71, 1.0
	v_fmac_f32_e32 v71, v72, v71
	s_delay_alu instid0(VALU_DEP_1) | instskip(NEXT) | instid1(VALU_DEP_1)
	v_mul_f32_e32 v72, v73, v71
	v_fma_f32 v74, -v62, v72, v73
	s_delay_alu instid0(VALU_DEP_1) | instskip(NEXT) | instid1(VALU_DEP_1)
	v_fmac_f32_e32 v72, v74, v71
	v_fma_f32 v62, -v62, v72, v73
	s_delay_alu instid0(VALU_DEP_1) | instskip(NEXT) | instid1(VALU_DEP_1)
	v_div_fmas_f32 v62, v62, v71, v72
	v_div_fixup_f32 v63, v62, v63, 1.0
	s_delay_alu instid0(VALU_DEP_1)
	v_mul_f32_e32 v62, v65, v63
	v_xor_b32_e32 v63, 0x80000000, v63
.LBB54_385:
	s_and_not1_saveexec_b32 s1, s1
	s_cbranch_execz .LBB54_387
; %bb.386:
	s_delay_alu instid0(VALU_DEP_1) | instskip(SKIP_1) | instid1(VALU_DEP_2)
	v_div_scale_f32 v65, null, v62, v62, v63
	v_div_scale_f32 v73, vcc_lo, v63, v62, v63
	v_rcp_f32_e32 v71, v65
	v_nop
	s_delay_alu instid0(TRANS32_DEP_1) | instskip(NEXT) | instid1(VALU_DEP_1)
	v_fma_f32 v72, -v65, v71, 1.0
	v_fmac_f32_e32 v71, v72, v71
	s_delay_alu instid0(VALU_DEP_1) | instskip(NEXT) | instid1(VALU_DEP_1)
	v_mul_f32_e32 v72, v73, v71
	v_fma_f32 v74, -v65, v72, v73
	s_delay_alu instid0(VALU_DEP_1) | instskip(NEXT) | instid1(VALU_DEP_1)
	v_fmac_f32_e32 v72, v74, v71
	v_fma_f32 v65, -v65, v72, v73
	s_delay_alu instid0(VALU_DEP_1) | instskip(NEXT) | instid1(VALU_DEP_1)
	v_div_fmas_f32 v65, v65, v71, v72
	v_div_fixup_f32 v65, v65, v62, v63
	s_delay_alu instid0(VALU_DEP_1) | instskip(NEXT) | instid1(VALU_DEP_1)
	v_fmac_f32_e32 v62, v63, v65
	v_div_scale_f32 v63, null, v62, v62, 1.0
	s_delay_alu instid0(VALU_DEP_1) | instskip(SKIP_1) | instid1(TRANS32_DEP_1)
	v_rcp_f32_e32 v71, v63
	v_nop
	v_fma_f32 v72, -v63, v71, 1.0
	s_delay_alu instid0(VALU_DEP_1) | instskip(SKIP_1) | instid1(VALU_DEP_1)
	v_fmac_f32_e32 v71, v72, v71
	v_div_scale_f32 v72, vcc_lo, 1.0, v62, 1.0
	v_mul_f32_e32 v73, v72, v71
	s_delay_alu instid0(VALU_DEP_1) | instskip(NEXT) | instid1(VALU_DEP_1)
	v_fma_f32 v74, -v63, v73, v72
	v_fmac_f32_e32 v73, v74, v71
	s_delay_alu instid0(VALU_DEP_1) | instskip(NEXT) | instid1(VALU_DEP_1)
	v_fma_f32 v63, -v63, v73, v72
	v_div_fmas_f32 v63, v63, v71, v73
	s_delay_alu instid0(VALU_DEP_1) | instskip(NEXT) | instid1(VALU_DEP_1)
	v_div_fixup_f32 v62, v63, v62, 1.0
	v_mul_f32_e64 v63, v65, -v62
.LBB54_387:
	s_or_b32 exec_lo, exec_lo, s1
.LBB54_388:
	s_delay_alu instid0(SALU_CYCLE_1) | instskip(NEXT) | instid1(SALU_CYCLE_1)
	s_or_b32 exec_lo, exec_lo, s0
	s_mov_b32 s0, exec_lo
	v_cmpx_ne_u32_e64 v70, v64
	s_xor_b32 s0, exec_lo, s0
	s_cbranch_execz .LBB54_394
; %bb.389:
	s_mov_b32 s1, exec_lo
	v_cmpx_eq_u32_e32 18, v70
	s_cbranch_execz .LBB54_393
; %bb.390:
	v_cmp_ne_u32_e32 vcc_lo, 18, v64
	s_xor_b32 s12, s16, -1
	s_delay_alu instid0(SALU_CYCLE_1) | instskip(NEXT) | instid1(SALU_CYCLE_1)
	s_and_b32 s13, s12, vcc_lo
	s_and_saveexec_b32 s12, s13
	s_cbranch_execz .LBB54_392
; %bb.391:
	v_ashrrev_i32_e32 v65, 31, v64
	s_delay_alu instid0(VALU_DEP_1)
	v_lshl_add_u64 v[70:71], v[64:65], 2, v[4:5]
	s_clause 0x1
	global_load_b32 v65, v[70:71], off
	global_load_b32 v68, v[4:5], off offset:72
	s_wait_loadcnt 0x1
	global_store_b32 v[4:5], v65, off offset:72
	s_wait_loadcnt 0x0
	global_store_b32 v[70:71], v68, off
.LBB54_392:
	s_wait_xcnt 0x0
	s_or_b32 exec_lo, exec_lo, s12
	v_dual_mov_b32 v70, v64 :: v_dual_mov_b32 v68, v64
.LBB54_393:
	s_or_b32 exec_lo, exec_lo, s1
.LBB54_394:
	s_and_not1_saveexec_b32 s0, s0
	s_cbranch_execz .LBB54_396
; %bb.395:
	v_mov_b32_e32 v70, 18
	ds_store_2addr_b64 v66, v[12:13], v[26:27] offset0:19 offset1:20
	ds_store_2addr_b64 v66, v[22:23], v[24:25] offset0:21 offset1:22
	;; [unrolled: 1-line block ×4, first 2 shown]
	ds_store_b64 v66, v[60:61] offset:216
.LBB54_396:
	s_or_b32 exec_lo, exec_lo, s0
	s_delay_alu instid0(SALU_CYCLE_1)
	s_mov_b32 s0, exec_lo
	s_wait_storecnt_dscnt 0x0
	s_barrier_signal -1
	s_barrier_wait -1
	v_cmpx_lt_i32_e32 18, v70
	s_cbranch_execz .LBB54_398
; %bb.397:
	v_pk_mul_f32 v[64:65], v[62:63], v[48:49] op_sel:[1,1] op_sel_hi:[0,1]
	s_delay_alu instid0(VALU_DEP_1)
	v_pk_fma_f32 v[72:73], v[62:63], v[48:49], v[64:65] op_sel_hi:[1,0,1] neg_lo:[0,0,1] neg_hi:[0,0,1]
	v_pk_fma_f32 v[74:75], v[62:63], v[48:49], v[64:65] op_sel_hi:[1,0,1]
	ds_load_2addr_b64 v[62:65], v66 offset0:19 offset1:20
	v_dual_mov_b32 v48, v72 :: v_dual_mov_b32 v49, v75
	s_wait_dscnt 0x0
	v_pk_mul_f32 v[76:77], v[62:63], v[74:75] op_sel:[0,1]
	s_delay_alu instid0(VALU_DEP_1) | instskip(SKIP_1) | instid1(VALU_DEP_1)
	v_pk_fma_f32 v[78:79], v[62:63], v[72:73], v[76:77] op_sel:[0,0,1] op_sel_hi:[1,1,0] neg_lo:[0,0,1] neg_hi:[0,0,1]
	v_pk_fma_f32 v[62:63], v[62:63], v[72:73], v[76:77] op_sel:[0,0,1] op_sel_hi:[1,0,0]
	v_mov_b32_e32 v79, v63
	v_pk_mul_f32 v[62:63], v[64:65], v[74:75] op_sel:[0,1]
	s_delay_alu instid0(VALU_DEP_1) | instskip(SKIP_1) | instid1(VALU_DEP_1)
	v_pk_fma_f32 v[76:77], v[64:65], v[72:73], v[62:63] op_sel:[0,0,1] op_sel_hi:[1,1,0] neg_lo:[0,0,1] neg_hi:[0,0,1]
	v_pk_fma_f32 v[62:63], v[64:65], v[72:73], v[62:63] op_sel:[0,0,1] op_sel_hi:[1,0,0]
	v_mov_b32_e32 v77, v63
	ds_load_2addr_b64 v[62:65], v66 offset0:21 offset1:22
	v_pk_add_f32 v[12:13], v[12:13], v[78:79] neg_lo:[0,1] neg_hi:[0,1]
	v_pk_add_f32 v[26:27], v[26:27], v[76:77] neg_lo:[0,1] neg_hi:[0,1]
	s_wait_dscnt 0x0
	v_pk_mul_f32 v[76:77], v[62:63], v[74:75] op_sel:[0,1]
	s_delay_alu instid0(VALU_DEP_1) | instskip(SKIP_2) | instid1(VALU_DEP_2)
	v_pk_fma_f32 v[78:79], v[62:63], v[72:73], v[76:77] op_sel:[0,0,1] op_sel_hi:[1,1,0] neg_lo:[0,0,1] neg_hi:[0,0,1]
	v_pk_fma_f32 v[62:63], v[62:63], v[72:73], v[76:77] op_sel:[0,0,1] op_sel_hi:[1,0,0]
	v_dual_mul_f32 v76, v65, v75 :: v_dual_mov_b32 v62, v65
	v_dual_mov_b32 v79, v63 :: v_dual_mov_b32 v63, v64
	s_delay_alu instid0(VALU_DEP_2) | instskip(SKIP_1) | instid1(VALU_DEP_3)
	v_pk_fma_f32 v[76:77], v[64:65], v[48:49], v[76:77] op_sel_hi:[1,1,0] neg_lo:[0,0,1] neg_hi:[0,0,1]
	v_mul_f32_e32 v64, v65, v72
	v_pk_add_f32 v[22:23], v[22:23], v[78:79] neg_lo:[0,1] neg_hi:[0,1]
	s_delay_alu instid0(VALU_DEP_2) | instskip(NEXT) | instid1(VALU_DEP_1)
	v_pk_fma_f32 v[62:63], v[62:63], v[48:49], v[64:65] op_sel_hi:[1,1,0]
	v_mov_b32_e32 v77, v63
	ds_load_2addr_b64 v[62:65], v66 offset0:23 offset1:24
	v_pk_add_f32 v[24:25], v[24:25], v[76:77] neg_lo:[0,1] neg_hi:[0,1]
	s_wait_dscnt 0x0
	v_pk_mul_f32 v[76:77], v[62:63], v[74:75] op_sel:[0,1]
	s_delay_alu instid0(VALU_DEP_1) | instskip(SKIP_1) | instid1(VALU_DEP_1)
	v_pk_fma_f32 v[78:79], v[62:63], v[72:73], v[76:77] op_sel:[0,0,1] op_sel_hi:[1,1,0] neg_lo:[0,0,1] neg_hi:[0,0,1]
	v_pk_fma_f32 v[62:63], v[62:63], v[72:73], v[76:77] op_sel:[0,0,1] op_sel_hi:[1,0,0]
	v_mov_b32_e32 v79, v63
	v_pk_mul_f32 v[62:63], v[64:65], v[74:75] op_sel:[0,1]
	s_delay_alu instid0(VALU_DEP_1) | instskip(SKIP_1) | instid1(VALU_DEP_1)
	v_pk_fma_f32 v[76:77], v[64:65], v[72:73], v[62:63] op_sel:[0,0,1] op_sel_hi:[1,1,0] neg_lo:[0,0,1] neg_hi:[0,0,1]
	v_pk_fma_f32 v[62:63], v[64:65], v[72:73], v[62:63] op_sel:[0,0,1] op_sel_hi:[1,0,0]
	v_mov_b32_e32 v77, v63
	ds_load_2addr_b64 v[62:65], v66 offset0:25 offset1:26
	v_pk_add_f32 v[14:15], v[14:15], v[78:79] neg_lo:[0,1] neg_hi:[0,1]
	v_pk_add_f32 v[20:21], v[20:21], v[76:77] neg_lo:[0,1] neg_hi:[0,1]
	s_wait_dscnt 0x0
	v_pk_mul_f32 v[76:77], v[62:63], v[74:75] op_sel:[0,1]
	s_delay_alu instid0(VALU_DEP_1) | instskip(SKIP_1) | instid1(VALU_DEP_1)
	v_pk_fma_f32 v[78:79], v[62:63], v[72:73], v[76:77] op_sel:[0,0,1] op_sel_hi:[1,1,0] neg_lo:[0,0,1] neg_hi:[0,0,1]
	v_pk_fma_f32 v[62:63], v[62:63], v[72:73], v[76:77] op_sel:[0,0,1] op_sel_hi:[1,0,0]
	v_mov_b32_e32 v79, v63
	v_pk_mul_f32 v[62:63], v[64:65], v[74:75] op_sel:[0,1]
	s_delay_alu instid0(VALU_DEP_1) | instskip(SKIP_1) | instid1(VALU_DEP_1)
	v_pk_fma_f32 v[76:77], v[64:65], v[72:73], v[62:63] op_sel:[0,0,1] op_sel_hi:[1,1,0] neg_lo:[0,0,1] neg_hi:[0,0,1]
	v_pk_fma_f32 v[62:63], v[64:65], v[72:73], v[62:63] op_sel:[0,0,1] op_sel_hi:[1,0,0]
	v_mov_b32_e32 v77, v63
	ds_load_b64 v[62:63], v66 offset:216
	v_pk_add_f32 v[18:19], v[18:19], v[78:79] neg_lo:[0,1] neg_hi:[0,1]
	v_pk_add_f32 v[16:17], v[16:17], v[76:77] neg_lo:[0,1] neg_hi:[0,1]
	s_wait_dscnt 0x0
	v_pk_mul_f32 v[64:65], v[62:63], v[74:75] op_sel:[0,1]
	s_delay_alu instid0(VALU_DEP_1) | instskip(SKIP_1) | instid1(VALU_DEP_1)
	v_pk_fma_f32 v[74:75], v[62:63], v[72:73], v[64:65] op_sel:[0,0,1] op_sel_hi:[1,1,0] neg_lo:[0,0,1] neg_hi:[0,0,1]
	v_pk_fma_f32 v[62:63], v[62:63], v[72:73], v[64:65] op_sel:[0,0,1] op_sel_hi:[1,0,0]
	v_mov_b32_e32 v75, v63
	s_delay_alu instid0(VALU_DEP_1)
	v_pk_add_f32 v[60:61], v[60:61], v[74:75] neg_lo:[0,1] neg_hi:[0,1]
.LBB54_398:
	s_or_b32 exec_lo, exec_lo, s0
	v_lshl_add_u32 v62, v70, 3, v66
	s_barrier_signal -1
	s_barrier_wait -1
	ds_store_b64 v62, v[12:13]
	s_wait_dscnt 0x0
	s_barrier_signal -1
	s_barrier_wait -1
	ds_load_b64 v[62:63], v66 offset:152
	v_mov_b32_e32 v64, 19
	s_cmp_lt_i32 s18, 21
	s_cbranch_scc1 .LBB54_401
; %bb.399:
	v_add3_u32 v65, v67, 0, 0xa0
	v_mov_b32_e32 v64, 19
	s_mov_b32 s0, 20
.LBB54_400:                             ; =>This Inner Loop Header: Depth=1
	ds_load_b64 v[72:73], v65
	s_wait_dscnt 0x1
	v_cmp_gt_f32_e32 vcc_lo, 0, v62
	v_cndmask_b32_e64 v74, v62, -v62, vcc_lo
	v_cmp_gt_f32_e32 vcc_lo, 0, v63
	v_cndmask_b32_e64 v76, v63, -v63, vcc_lo
	s_wait_dscnt 0x0
	v_cmp_gt_f32_e32 vcc_lo, 0, v72
	v_cndmask_b32_e64 v75, v72, -v72, vcc_lo
	v_cmp_gt_f32_e32 vcc_lo, 0, v73
	v_cndmask_b32_e64 v77, v73, -v73, vcc_lo
	s_delay_alu instid0(VALU_DEP_1) | instskip(NEXT) | instid1(VALU_DEP_1)
	v_pk_add_f32 v[74:75], v[74:75], v[76:77]
	v_cmp_lt_f32_e32 vcc_lo, v74, v75
	v_dual_cndmask_b32 v62, v62, v72 :: v_dual_add_nc_u32 v65, 8, v65
	v_cndmask_b32_e32 v63, v63, v73, vcc_lo
	v_cndmask_b32_e64 v64, v64, s0, vcc_lo
	s_add_co_i32 s0, s0, 1
	s_delay_alu instid0(SALU_CYCLE_1)
	s_cmp_lg_u32 s18, s0
	s_cbranch_scc1 .LBB54_400
.LBB54_401:
	s_wait_dscnt 0x0
	v_cmp_eq_f32_e32 vcc_lo, 0, v62
	v_cmp_eq_f32_e64 s0, 0, v63
	s_and_b32 s0, vcc_lo, s0
	s_delay_alu instid0(SALU_CYCLE_1) | instskip(NEXT) | instid1(SALU_CYCLE_1)
	s_and_saveexec_b32 s1, s0
	s_xor_b32 s0, exec_lo, s1
; %bb.402:
	v_cmp_ne_u32_e32 vcc_lo, 0, v69
	v_cndmask_b32_e32 v69, 20, v69, vcc_lo
; %bb.403:
	s_and_not1_saveexec_b32 s0, s0
	s_cbranch_execz .LBB54_409
; %bb.404:
	v_cmp_ngt_f32_e64 s1, |v62|, |v63|
	s_and_saveexec_b32 s12, s1
	s_delay_alu instid0(SALU_CYCLE_1)
	s_xor_b32 s1, exec_lo, s12
	s_cbranch_execz .LBB54_406
; %bb.405:
	v_div_scale_f32 v65, null, v63, v63, v62
	v_div_scale_f32 v73, vcc_lo, v62, v63, v62
	s_delay_alu instid0(VALU_DEP_2) | instskip(SKIP_1) | instid1(TRANS32_DEP_1)
	v_rcp_f32_e32 v71, v65
	v_nop
	v_fma_f32 v72, -v65, v71, 1.0
	s_delay_alu instid0(VALU_DEP_1) | instskip(NEXT) | instid1(VALU_DEP_1)
	v_fmac_f32_e32 v71, v72, v71
	v_mul_f32_e32 v72, v73, v71
	s_delay_alu instid0(VALU_DEP_1) | instskip(NEXT) | instid1(VALU_DEP_1)
	v_fma_f32 v74, -v65, v72, v73
	v_fmac_f32_e32 v72, v74, v71
	s_delay_alu instid0(VALU_DEP_1) | instskip(NEXT) | instid1(VALU_DEP_1)
	v_fma_f32 v65, -v65, v72, v73
	v_div_fmas_f32 v65, v65, v71, v72
	s_delay_alu instid0(VALU_DEP_1) | instskip(NEXT) | instid1(VALU_DEP_1)
	v_div_fixup_f32 v65, v65, v63, v62
	v_fmac_f32_e32 v63, v62, v65
	s_delay_alu instid0(VALU_DEP_1) | instskip(SKIP_1) | instid1(VALU_DEP_2)
	v_div_scale_f32 v62, null, v63, v63, 1.0
	v_div_scale_f32 v73, vcc_lo, 1.0, v63, 1.0
	v_rcp_f32_e32 v71, v62
	v_nop
	s_delay_alu instid0(TRANS32_DEP_1) | instskip(NEXT) | instid1(VALU_DEP_1)
	v_fma_f32 v72, -v62, v71, 1.0
	v_fmac_f32_e32 v71, v72, v71
	s_delay_alu instid0(VALU_DEP_1) | instskip(NEXT) | instid1(VALU_DEP_1)
	v_mul_f32_e32 v72, v73, v71
	v_fma_f32 v74, -v62, v72, v73
	s_delay_alu instid0(VALU_DEP_1) | instskip(NEXT) | instid1(VALU_DEP_1)
	v_fmac_f32_e32 v72, v74, v71
	v_fma_f32 v62, -v62, v72, v73
	s_delay_alu instid0(VALU_DEP_1) | instskip(NEXT) | instid1(VALU_DEP_1)
	v_div_fmas_f32 v62, v62, v71, v72
	v_div_fixup_f32 v63, v62, v63, 1.0
	s_delay_alu instid0(VALU_DEP_1)
	v_mul_f32_e32 v62, v65, v63
	v_xor_b32_e32 v63, 0x80000000, v63
.LBB54_406:
	s_and_not1_saveexec_b32 s1, s1
	s_cbranch_execz .LBB54_408
; %bb.407:
	s_delay_alu instid0(VALU_DEP_1) | instskip(SKIP_1) | instid1(VALU_DEP_2)
	v_div_scale_f32 v65, null, v62, v62, v63
	v_div_scale_f32 v73, vcc_lo, v63, v62, v63
	v_rcp_f32_e32 v71, v65
	v_nop
	s_delay_alu instid0(TRANS32_DEP_1) | instskip(NEXT) | instid1(VALU_DEP_1)
	v_fma_f32 v72, -v65, v71, 1.0
	v_fmac_f32_e32 v71, v72, v71
	s_delay_alu instid0(VALU_DEP_1) | instskip(NEXT) | instid1(VALU_DEP_1)
	v_mul_f32_e32 v72, v73, v71
	v_fma_f32 v74, -v65, v72, v73
	s_delay_alu instid0(VALU_DEP_1) | instskip(NEXT) | instid1(VALU_DEP_1)
	v_fmac_f32_e32 v72, v74, v71
	v_fma_f32 v65, -v65, v72, v73
	s_delay_alu instid0(VALU_DEP_1) | instskip(NEXT) | instid1(VALU_DEP_1)
	v_div_fmas_f32 v65, v65, v71, v72
	v_div_fixup_f32 v65, v65, v62, v63
	s_delay_alu instid0(VALU_DEP_1) | instskip(NEXT) | instid1(VALU_DEP_1)
	v_fmac_f32_e32 v62, v63, v65
	v_div_scale_f32 v63, null, v62, v62, 1.0
	s_delay_alu instid0(VALU_DEP_1) | instskip(SKIP_1) | instid1(TRANS32_DEP_1)
	v_rcp_f32_e32 v71, v63
	v_nop
	v_fma_f32 v72, -v63, v71, 1.0
	s_delay_alu instid0(VALU_DEP_1) | instskip(SKIP_1) | instid1(VALU_DEP_1)
	v_fmac_f32_e32 v71, v72, v71
	v_div_scale_f32 v72, vcc_lo, 1.0, v62, 1.0
	v_mul_f32_e32 v73, v72, v71
	s_delay_alu instid0(VALU_DEP_1) | instskip(NEXT) | instid1(VALU_DEP_1)
	v_fma_f32 v74, -v63, v73, v72
	v_fmac_f32_e32 v73, v74, v71
	s_delay_alu instid0(VALU_DEP_1) | instskip(NEXT) | instid1(VALU_DEP_1)
	v_fma_f32 v63, -v63, v73, v72
	v_div_fmas_f32 v63, v63, v71, v73
	s_delay_alu instid0(VALU_DEP_1) | instskip(NEXT) | instid1(VALU_DEP_1)
	v_div_fixup_f32 v62, v63, v62, 1.0
	v_mul_f32_e64 v63, v65, -v62
.LBB54_408:
	s_or_b32 exec_lo, exec_lo, s1
.LBB54_409:
	s_delay_alu instid0(SALU_CYCLE_1) | instskip(NEXT) | instid1(SALU_CYCLE_1)
	s_or_b32 exec_lo, exec_lo, s0
	s_mov_b32 s0, exec_lo
	v_cmpx_ne_u32_e64 v70, v64
	s_xor_b32 s0, exec_lo, s0
	s_cbranch_execz .LBB54_415
; %bb.410:
	s_mov_b32 s1, exec_lo
	v_cmpx_eq_u32_e32 19, v70
	s_cbranch_execz .LBB54_414
; %bb.411:
	v_cmp_ne_u32_e32 vcc_lo, 19, v64
	s_xor_b32 s12, s16, -1
	s_delay_alu instid0(SALU_CYCLE_1) | instskip(NEXT) | instid1(SALU_CYCLE_1)
	s_and_b32 s13, s12, vcc_lo
	s_and_saveexec_b32 s12, s13
	s_cbranch_execz .LBB54_413
; %bb.412:
	v_ashrrev_i32_e32 v65, 31, v64
	s_delay_alu instid0(VALU_DEP_1)
	v_lshl_add_u64 v[70:71], v[64:65], 2, v[4:5]
	s_clause 0x1
	global_load_b32 v65, v[70:71], off
	global_load_b32 v68, v[4:5], off offset:76
	s_wait_loadcnt 0x1
	global_store_b32 v[4:5], v65, off offset:76
	s_wait_loadcnt 0x0
	global_store_b32 v[70:71], v68, off
.LBB54_413:
	s_wait_xcnt 0x0
	s_or_b32 exec_lo, exec_lo, s12
	v_dual_mov_b32 v70, v64 :: v_dual_mov_b32 v68, v64
.LBB54_414:
	s_or_b32 exec_lo, exec_lo, s1
.LBB54_415:
	s_and_not1_saveexec_b32 s0, s0
	s_cbranch_execz .LBB54_417
; %bb.416:
	v_dual_mov_b32 v64, v26 :: v_dual_mov_b32 v65, v27
	v_dual_mov_b32 v72, v22 :: v_dual_mov_b32 v73, v23
	;; [unrolled: 1-line block ×7, first 2 shown]
	v_mov_b32_e32 v83, v17
	ds_store_2addr_b64 v66, v[64:65], v[72:73] offset0:20 offset1:21
	ds_store_2addr_b64 v66, v[74:75], v[76:77] offset0:22 offset1:23
	;; [unrolled: 1-line block ×4, first 2 shown]
.LBB54_417:
	s_or_b32 exec_lo, exec_lo, s0
	s_delay_alu instid0(SALU_CYCLE_1)
	s_mov_b32 s0, exec_lo
	s_wait_storecnt_dscnt 0x0
	s_barrier_signal -1
	s_barrier_wait -1
	v_cmpx_lt_i32_e32 19, v70
	s_cbranch_execz .LBB54_419
; %bb.418:
	v_pk_mul_f32 v[64:65], v[62:63], v[12:13] op_sel:[1,1] op_sel_hi:[0,1]
	s_delay_alu instid0(VALU_DEP_1)
	v_pk_fma_f32 v[72:73], v[62:63], v[12:13], v[64:65] op_sel_hi:[1,0,1] neg_lo:[0,0,1] neg_hi:[0,0,1]
	v_pk_fma_f32 v[74:75], v[62:63], v[12:13], v[64:65] op_sel_hi:[1,0,1]
	ds_load_2addr_b64 v[62:65], v66 offset0:20 offset1:21
	v_dual_mov_b32 v12, v72 :: v_dual_mov_b32 v13, v75
	s_wait_dscnt 0x0
	v_pk_mul_f32 v[76:77], v[62:63], v[74:75] op_sel:[0,1]
	s_delay_alu instid0(VALU_DEP_1) | instskip(SKIP_1) | instid1(VALU_DEP_1)
	v_pk_fma_f32 v[78:79], v[62:63], v[72:73], v[76:77] op_sel:[0,0,1] op_sel_hi:[1,1,0] neg_lo:[0,0,1] neg_hi:[0,0,1]
	v_pk_fma_f32 v[62:63], v[62:63], v[72:73], v[76:77] op_sel:[0,0,1] op_sel_hi:[1,0,0]
	v_mov_b32_e32 v79, v63
	v_pk_mul_f32 v[62:63], v[64:65], v[74:75] op_sel:[0,1]
	s_delay_alu instid0(VALU_DEP_1) | instskip(SKIP_1) | instid1(VALU_DEP_1)
	v_pk_fma_f32 v[76:77], v[64:65], v[72:73], v[62:63] op_sel:[0,0,1] op_sel_hi:[1,1,0] neg_lo:[0,0,1] neg_hi:[0,0,1]
	v_pk_fma_f32 v[62:63], v[64:65], v[72:73], v[62:63] op_sel:[0,0,1] op_sel_hi:[1,0,0]
	v_mov_b32_e32 v77, v63
	ds_load_2addr_b64 v[62:65], v66 offset0:22 offset1:23
	v_pk_add_f32 v[26:27], v[26:27], v[78:79] neg_lo:[0,1] neg_hi:[0,1]
	v_pk_add_f32 v[22:23], v[22:23], v[76:77] neg_lo:[0,1] neg_hi:[0,1]
	s_wait_dscnt 0x0
	v_pk_mul_f32 v[76:77], v[62:63], v[74:75] op_sel:[0,1]
	s_delay_alu instid0(VALU_DEP_1) | instskip(SKIP_2) | instid1(VALU_DEP_2)
	v_pk_fma_f32 v[78:79], v[62:63], v[72:73], v[76:77] op_sel:[0,0,1] op_sel_hi:[1,1,0] neg_lo:[0,0,1] neg_hi:[0,0,1]
	v_pk_fma_f32 v[62:63], v[62:63], v[72:73], v[76:77] op_sel:[0,0,1] op_sel_hi:[1,0,0]
	v_dual_mul_f32 v76, v65, v75 :: v_dual_mov_b32 v62, v65
	v_dual_mov_b32 v79, v63 :: v_dual_mov_b32 v63, v64
	s_delay_alu instid0(VALU_DEP_2) | instskip(SKIP_1) | instid1(VALU_DEP_3)
	v_pk_fma_f32 v[76:77], v[64:65], v[12:13], v[76:77] op_sel_hi:[1,1,0] neg_lo:[0,0,1] neg_hi:[0,0,1]
	v_mul_f32_e32 v64, v65, v72
	v_pk_add_f32 v[24:25], v[24:25], v[78:79] neg_lo:[0,1] neg_hi:[0,1]
	s_delay_alu instid0(VALU_DEP_2) | instskip(NEXT) | instid1(VALU_DEP_1)
	v_pk_fma_f32 v[62:63], v[62:63], v[12:13], v[64:65] op_sel_hi:[1,1,0]
	v_mov_b32_e32 v77, v63
	ds_load_2addr_b64 v[62:65], v66 offset0:24 offset1:25
	v_pk_add_f32 v[14:15], v[14:15], v[76:77] neg_lo:[0,1] neg_hi:[0,1]
	s_wait_dscnt 0x0
	v_pk_mul_f32 v[76:77], v[62:63], v[74:75] op_sel:[0,1]
	s_delay_alu instid0(VALU_DEP_1) | instskip(SKIP_1) | instid1(VALU_DEP_1)
	v_pk_fma_f32 v[78:79], v[62:63], v[72:73], v[76:77] op_sel:[0,0,1] op_sel_hi:[1,1,0] neg_lo:[0,0,1] neg_hi:[0,0,1]
	v_pk_fma_f32 v[62:63], v[62:63], v[72:73], v[76:77] op_sel:[0,0,1] op_sel_hi:[1,0,0]
	v_mov_b32_e32 v79, v63
	v_pk_mul_f32 v[62:63], v[64:65], v[74:75] op_sel:[0,1]
	s_delay_alu instid0(VALU_DEP_1) | instskip(SKIP_1) | instid1(VALU_DEP_1)
	v_pk_fma_f32 v[76:77], v[64:65], v[72:73], v[62:63] op_sel:[0,0,1] op_sel_hi:[1,1,0] neg_lo:[0,0,1] neg_hi:[0,0,1]
	v_pk_fma_f32 v[62:63], v[64:65], v[72:73], v[62:63] op_sel:[0,0,1] op_sel_hi:[1,0,0]
	v_mov_b32_e32 v77, v63
	ds_load_2addr_b64 v[62:65], v66 offset0:26 offset1:27
	v_pk_add_f32 v[20:21], v[20:21], v[78:79] neg_lo:[0,1] neg_hi:[0,1]
	v_pk_add_f32 v[18:19], v[18:19], v[76:77] neg_lo:[0,1] neg_hi:[0,1]
	s_wait_dscnt 0x0
	v_pk_mul_f32 v[76:77], v[62:63], v[74:75] op_sel:[0,1]
	s_delay_alu instid0(VALU_DEP_1) | instskip(SKIP_1) | instid1(VALU_DEP_1)
	v_pk_fma_f32 v[78:79], v[62:63], v[72:73], v[76:77] op_sel:[0,0,1] op_sel_hi:[1,1,0] neg_lo:[0,0,1] neg_hi:[0,0,1]
	v_pk_fma_f32 v[62:63], v[62:63], v[72:73], v[76:77] op_sel:[0,0,1] op_sel_hi:[1,0,0]
	v_mov_b32_e32 v79, v63
	v_pk_mul_f32 v[62:63], v[64:65], v[74:75] op_sel:[0,1]
	s_delay_alu instid0(VALU_DEP_1) | instskip(SKIP_1) | instid1(VALU_DEP_1)
	v_pk_fma_f32 v[74:75], v[64:65], v[72:73], v[62:63] op_sel:[0,0,1] op_sel_hi:[1,1,0] neg_lo:[0,0,1] neg_hi:[0,0,1]
	v_pk_fma_f32 v[62:63], v[64:65], v[72:73], v[62:63] op_sel:[0,0,1] op_sel_hi:[1,0,0]
	v_mov_b32_e32 v75, v63
	v_pk_add_f32 v[16:17], v[16:17], v[78:79] neg_lo:[0,1] neg_hi:[0,1]
	s_delay_alu instid0(VALU_DEP_2)
	v_pk_add_f32 v[60:61], v[60:61], v[74:75] neg_lo:[0,1] neg_hi:[0,1]
.LBB54_419:
	s_or_b32 exec_lo, exec_lo, s0
	v_lshl_add_u32 v62, v70, 3, v66
	s_barrier_signal -1
	s_barrier_wait -1
	ds_store_b64 v62, v[26:27]
	s_wait_dscnt 0x0
	s_barrier_signal -1
	s_barrier_wait -1
	ds_load_b64 v[62:63], v66 offset:160
	v_mov_b32_e32 v64, 20
	s_cmp_lt_i32 s18, 22
	s_cbranch_scc1 .LBB54_422
; %bb.420:
	v_add3_u32 v65, v67, 0, 0xa8
	v_mov_b32_e32 v64, 20
	s_mov_b32 s0, 21
.LBB54_421:                             ; =>This Inner Loop Header: Depth=1
	ds_load_b64 v[72:73], v65
	s_wait_dscnt 0x1
	v_cmp_gt_f32_e32 vcc_lo, 0, v62
	v_cndmask_b32_e64 v74, v62, -v62, vcc_lo
	v_cmp_gt_f32_e32 vcc_lo, 0, v63
	v_cndmask_b32_e64 v76, v63, -v63, vcc_lo
	s_wait_dscnt 0x0
	v_cmp_gt_f32_e32 vcc_lo, 0, v72
	v_cndmask_b32_e64 v75, v72, -v72, vcc_lo
	v_cmp_gt_f32_e32 vcc_lo, 0, v73
	v_cndmask_b32_e64 v77, v73, -v73, vcc_lo
	s_delay_alu instid0(VALU_DEP_1) | instskip(NEXT) | instid1(VALU_DEP_1)
	v_pk_add_f32 v[74:75], v[74:75], v[76:77]
	v_cmp_lt_f32_e32 vcc_lo, v74, v75
	v_dual_cndmask_b32 v62, v62, v72 :: v_dual_add_nc_u32 v65, 8, v65
	v_cndmask_b32_e32 v63, v63, v73, vcc_lo
	v_cndmask_b32_e64 v64, v64, s0, vcc_lo
	s_add_co_i32 s0, s0, 1
	s_delay_alu instid0(SALU_CYCLE_1)
	s_cmp_lg_u32 s18, s0
	s_cbranch_scc1 .LBB54_421
.LBB54_422:
	s_wait_dscnt 0x0
	v_cmp_eq_f32_e32 vcc_lo, 0, v62
	v_cmp_eq_f32_e64 s0, 0, v63
	s_and_b32 s0, vcc_lo, s0
	s_delay_alu instid0(SALU_CYCLE_1) | instskip(NEXT) | instid1(SALU_CYCLE_1)
	s_and_saveexec_b32 s1, s0
	s_xor_b32 s0, exec_lo, s1
; %bb.423:
	v_cmp_ne_u32_e32 vcc_lo, 0, v69
	v_cndmask_b32_e32 v69, 21, v69, vcc_lo
; %bb.424:
	s_and_not1_saveexec_b32 s0, s0
	s_cbranch_execz .LBB54_430
; %bb.425:
	v_cmp_ngt_f32_e64 s1, |v62|, |v63|
	s_and_saveexec_b32 s12, s1
	s_delay_alu instid0(SALU_CYCLE_1)
	s_xor_b32 s1, exec_lo, s12
	s_cbranch_execz .LBB54_427
; %bb.426:
	v_div_scale_f32 v65, null, v63, v63, v62
	v_div_scale_f32 v73, vcc_lo, v62, v63, v62
	s_delay_alu instid0(VALU_DEP_2) | instskip(SKIP_1) | instid1(TRANS32_DEP_1)
	v_rcp_f32_e32 v71, v65
	v_nop
	v_fma_f32 v72, -v65, v71, 1.0
	s_delay_alu instid0(VALU_DEP_1) | instskip(NEXT) | instid1(VALU_DEP_1)
	v_fmac_f32_e32 v71, v72, v71
	v_mul_f32_e32 v72, v73, v71
	s_delay_alu instid0(VALU_DEP_1) | instskip(NEXT) | instid1(VALU_DEP_1)
	v_fma_f32 v74, -v65, v72, v73
	v_fmac_f32_e32 v72, v74, v71
	s_delay_alu instid0(VALU_DEP_1) | instskip(NEXT) | instid1(VALU_DEP_1)
	v_fma_f32 v65, -v65, v72, v73
	v_div_fmas_f32 v65, v65, v71, v72
	s_delay_alu instid0(VALU_DEP_1) | instskip(NEXT) | instid1(VALU_DEP_1)
	v_div_fixup_f32 v65, v65, v63, v62
	v_fmac_f32_e32 v63, v62, v65
	s_delay_alu instid0(VALU_DEP_1) | instskip(SKIP_1) | instid1(VALU_DEP_2)
	v_div_scale_f32 v62, null, v63, v63, 1.0
	v_div_scale_f32 v73, vcc_lo, 1.0, v63, 1.0
	v_rcp_f32_e32 v71, v62
	v_nop
	s_delay_alu instid0(TRANS32_DEP_1) | instskip(NEXT) | instid1(VALU_DEP_1)
	v_fma_f32 v72, -v62, v71, 1.0
	v_fmac_f32_e32 v71, v72, v71
	s_delay_alu instid0(VALU_DEP_1) | instskip(NEXT) | instid1(VALU_DEP_1)
	v_mul_f32_e32 v72, v73, v71
	v_fma_f32 v74, -v62, v72, v73
	s_delay_alu instid0(VALU_DEP_1) | instskip(NEXT) | instid1(VALU_DEP_1)
	v_fmac_f32_e32 v72, v74, v71
	v_fma_f32 v62, -v62, v72, v73
	s_delay_alu instid0(VALU_DEP_1) | instskip(NEXT) | instid1(VALU_DEP_1)
	v_div_fmas_f32 v62, v62, v71, v72
	v_div_fixup_f32 v63, v62, v63, 1.0
	s_delay_alu instid0(VALU_DEP_1)
	v_mul_f32_e32 v62, v65, v63
	v_xor_b32_e32 v63, 0x80000000, v63
.LBB54_427:
	s_and_not1_saveexec_b32 s1, s1
	s_cbranch_execz .LBB54_429
; %bb.428:
	s_delay_alu instid0(VALU_DEP_1) | instskip(SKIP_1) | instid1(VALU_DEP_2)
	v_div_scale_f32 v65, null, v62, v62, v63
	v_div_scale_f32 v73, vcc_lo, v63, v62, v63
	v_rcp_f32_e32 v71, v65
	v_nop
	s_delay_alu instid0(TRANS32_DEP_1) | instskip(NEXT) | instid1(VALU_DEP_1)
	v_fma_f32 v72, -v65, v71, 1.0
	v_fmac_f32_e32 v71, v72, v71
	s_delay_alu instid0(VALU_DEP_1) | instskip(NEXT) | instid1(VALU_DEP_1)
	v_mul_f32_e32 v72, v73, v71
	v_fma_f32 v74, -v65, v72, v73
	s_delay_alu instid0(VALU_DEP_1) | instskip(NEXT) | instid1(VALU_DEP_1)
	v_fmac_f32_e32 v72, v74, v71
	v_fma_f32 v65, -v65, v72, v73
	s_delay_alu instid0(VALU_DEP_1) | instskip(NEXT) | instid1(VALU_DEP_1)
	v_div_fmas_f32 v65, v65, v71, v72
	v_div_fixup_f32 v65, v65, v62, v63
	s_delay_alu instid0(VALU_DEP_1) | instskip(NEXT) | instid1(VALU_DEP_1)
	v_fmac_f32_e32 v62, v63, v65
	v_div_scale_f32 v63, null, v62, v62, 1.0
	s_delay_alu instid0(VALU_DEP_1) | instskip(SKIP_1) | instid1(TRANS32_DEP_1)
	v_rcp_f32_e32 v71, v63
	v_nop
	v_fma_f32 v72, -v63, v71, 1.0
	s_delay_alu instid0(VALU_DEP_1) | instskip(SKIP_1) | instid1(VALU_DEP_1)
	v_fmac_f32_e32 v71, v72, v71
	v_div_scale_f32 v72, vcc_lo, 1.0, v62, 1.0
	v_mul_f32_e32 v73, v72, v71
	s_delay_alu instid0(VALU_DEP_1) | instskip(NEXT) | instid1(VALU_DEP_1)
	v_fma_f32 v74, -v63, v73, v72
	v_fmac_f32_e32 v73, v74, v71
	s_delay_alu instid0(VALU_DEP_1) | instskip(NEXT) | instid1(VALU_DEP_1)
	v_fma_f32 v63, -v63, v73, v72
	v_div_fmas_f32 v63, v63, v71, v73
	s_delay_alu instid0(VALU_DEP_1) | instskip(NEXT) | instid1(VALU_DEP_1)
	v_div_fixup_f32 v62, v63, v62, 1.0
	v_mul_f32_e64 v63, v65, -v62
.LBB54_429:
	s_or_b32 exec_lo, exec_lo, s1
.LBB54_430:
	s_delay_alu instid0(SALU_CYCLE_1) | instskip(NEXT) | instid1(SALU_CYCLE_1)
	s_or_b32 exec_lo, exec_lo, s0
	s_mov_b32 s0, exec_lo
	v_cmpx_ne_u32_e64 v70, v64
	s_xor_b32 s0, exec_lo, s0
	s_cbranch_execz .LBB54_436
; %bb.431:
	s_mov_b32 s1, exec_lo
	v_cmpx_eq_u32_e32 20, v70
	s_cbranch_execz .LBB54_435
; %bb.432:
	v_cmp_ne_u32_e32 vcc_lo, 20, v64
	s_xor_b32 s12, s16, -1
	s_delay_alu instid0(SALU_CYCLE_1) | instskip(NEXT) | instid1(SALU_CYCLE_1)
	s_and_b32 s13, s12, vcc_lo
	s_and_saveexec_b32 s12, s13
	s_cbranch_execz .LBB54_434
; %bb.433:
	v_ashrrev_i32_e32 v65, 31, v64
	s_delay_alu instid0(VALU_DEP_1)
	v_lshl_add_u64 v[70:71], v[64:65], 2, v[4:5]
	s_clause 0x1
	global_load_b32 v65, v[70:71], off
	global_load_b32 v68, v[4:5], off offset:80
	s_wait_loadcnt 0x1
	global_store_b32 v[4:5], v65, off offset:80
	s_wait_loadcnt 0x0
	global_store_b32 v[70:71], v68, off
.LBB54_434:
	s_wait_xcnt 0x0
	s_or_b32 exec_lo, exec_lo, s12
	v_dual_mov_b32 v70, v64 :: v_dual_mov_b32 v68, v64
.LBB54_435:
	s_or_b32 exec_lo, exec_lo, s1
.LBB54_436:
	s_and_not1_saveexec_b32 s0, s0
	s_cbranch_execz .LBB54_438
; %bb.437:
	v_mov_b32_e32 v70, 20
	ds_store_2addr_b64 v66, v[22:23], v[24:25] offset0:21 offset1:22
	ds_store_2addr_b64 v66, v[14:15], v[20:21] offset0:23 offset1:24
	;; [unrolled: 1-line block ×3, first 2 shown]
	ds_store_b64 v66, v[60:61] offset:216
.LBB54_438:
	s_or_b32 exec_lo, exec_lo, s0
	s_delay_alu instid0(SALU_CYCLE_1)
	s_mov_b32 s0, exec_lo
	s_wait_storecnt_dscnt 0x0
	s_barrier_signal -1
	s_barrier_wait -1
	v_cmpx_lt_i32_e32 20, v70
	s_cbranch_execz .LBB54_440
; %bb.439:
	v_pk_mul_f32 v[64:65], v[62:63], v[26:27] op_sel:[1,1] op_sel_hi:[0,1]
	s_delay_alu instid0(VALU_DEP_1)
	v_pk_fma_f32 v[72:73], v[62:63], v[26:27], v[64:65] op_sel_hi:[1,0,1] neg_lo:[0,0,1] neg_hi:[0,0,1]
	v_pk_fma_f32 v[74:75], v[62:63], v[26:27], v[64:65] op_sel_hi:[1,0,1]
	ds_load_2addr_b64 v[62:65], v66 offset0:21 offset1:22
	v_dual_mov_b32 v26, v72 :: v_dual_mov_b32 v27, v75
	s_wait_dscnt 0x0
	v_pk_mul_f32 v[76:77], v[62:63], v[74:75] op_sel:[0,1]
	s_delay_alu instid0(VALU_DEP_1) | instskip(SKIP_1) | instid1(VALU_DEP_1)
	v_pk_fma_f32 v[78:79], v[62:63], v[72:73], v[76:77] op_sel:[0,0,1] op_sel_hi:[1,1,0] neg_lo:[0,0,1] neg_hi:[0,0,1]
	v_pk_fma_f32 v[62:63], v[62:63], v[72:73], v[76:77] op_sel:[0,0,1] op_sel_hi:[1,0,0]
	v_mov_b32_e32 v79, v63
	v_pk_mul_f32 v[62:63], v[64:65], v[74:75] op_sel:[0,1]
	s_delay_alu instid0(VALU_DEP_1) | instskip(SKIP_1) | instid1(VALU_DEP_1)
	v_pk_fma_f32 v[76:77], v[64:65], v[72:73], v[62:63] op_sel:[0,0,1] op_sel_hi:[1,1,0] neg_lo:[0,0,1] neg_hi:[0,0,1]
	v_pk_fma_f32 v[62:63], v[64:65], v[72:73], v[62:63] op_sel:[0,0,1] op_sel_hi:[1,0,0]
	v_mov_b32_e32 v77, v63
	ds_load_2addr_b64 v[62:65], v66 offset0:23 offset1:24
	v_pk_add_f32 v[22:23], v[22:23], v[78:79] neg_lo:[0,1] neg_hi:[0,1]
	v_pk_add_f32 v[24:25], v[24:25], v[76:77] neg_lo:[0,1] neg_hi:[0,1]
	s_wait_dscnt 0x0
	v_pk_mul_f32 v[76:77], v[62:63], v[74:75] op_sel:[0,1]
	s_delay_alu instid0(VALU_DEP_1) | instskip(SKIP_2) | instid1(VALU_DEP_2)
	v_pk_fma_f32 v[78:79], v[62:63], v[72:73], v[76:77] op_sel:[0,0,1] op_sel_hi:[1,1,0] neg_lo:[0,0,1] neg_hi:[0,0,1]
	v_pk_fma_f32 v[62:63], v[62:63], v[72:73], v[76:77] op_sel:[0,0,1] op_sel_hi:[1,0,0]
	v_dual_mul_f32 v76, v65, v75 :: v_dual_mov_b32 v62, v65
	v_dual_mov_b32 v79, v63 :: v_dual_mov_b32 v63, v64
	s_delay_alu instid0(VALU_DEP_2) | instskip(SKIP_1) | instid1(VALU_DEP_3)
	v_pk_fma_f32 v[76:77], v[64:65], v[26:27], v[76:77] op_sel_hi:[1,1,0] neg_lo:[0,0,1] neg_hi:[0,0,1]
	v_mul_f32_e32 v64, v65, v72
	v_pk_add_f32 v[14:15], v[14:15], v[78:79] neg_lo:[0,1] neg_hi:[0,1]
	s_delay_alu instid0(VALU_DEP_2) | instskip(NEXT) | instid1(VALU_DEP_1)
	v_pk_fma_f32 v[62:63], v[62:63], v[26:27], v[64:65] op_sel_hi:[1,1,0]
	v_mov_b32_e32 v77, v63
	ds_load_2addr_b64 v[62:65], v66 offset0:25 offset1:26
	v_pk_add_f32 v[20:21], v[20:21], v[76:77] neg_lo:[0,1] neg_hi:[0,1]
	s_wait_dscnt 0x0
	v_pk_mul_f32 v[76:77], v[62:63], v[74:75] op_sel:[0,1]
	s_delay_alu instid0(VALU_DEP_1) | instskip(SKIP_1) | instid1(VALU_DEP_1)
	v_pk_fma_f32 v[78:79], v[62:63], v[72:73], v[76:77] op_sel:[0,0,1] op_sel_hi:[1,1,0] neg_lo:[0,0,1] neg_hi:[0,0,1]
	v_pk_fma_f32 v[62:63], v[62:63], v[72:73], v[76:77] op_sel:[0,0,1] op_sel_hi:[1,0,0]
	v_mov_b32_e32 v79, v63
	v_pk_mul_f32 v[62:63], v[64:65], v[74:75] op_sel:[0,1]
	s_delay_alu instid0(VALU_DEP_1) | instskip(SKIP_1) | instid1(VALU_DEP_1)
	v_pk_fma_f32 v[76:77], v[64:65], v[72:73], v[62:63] op_sel:[0,0,1] op_sel_hi:[1,1,0] neg_lo:[0,0,1] neg_hi:[0,0,1]
	v_pk_fma_f32 v[62:63], v[64:65], v[72:73], v[62:63] op_sel:[0,0,1] op_sel_hi:[1,0,0]
	v_mov_b32_e32 v77, v63
	ds_load_b64 v[62:63], v66 offset:216
	v_pk_add_f32 v[18:19], v[18:19], v[78:79] neg_lo:[0,1] neg_hi:[0,1]
	v_pk_add_f32 v[16:17], v[16:17], v[76:77] neg_lo:[0,1] neg_hi:[0,1]
	s_wait_dscnt 0x0
	v_pk_mul_f32 v[64:65], v[62:63], v[74:75] op_sel:[0,1]
	s_delay_alu instid0(VALU_DEP_1) | instskip(SKIP_1) | instid1(VALU_DEP_1)
	v_pk_fma_f32 v[74:75], v[62:63], v[72:73], v[64:65] op_sel:[0,0,1] op_sel_hi:[1,1,0] neg_lo:[0,0,1] neg_hi:[0,0,1]
	v_pk_fma_f32 v[62:63], v[62:63], v[72:73], v[64:65] op_sel:[0,0,1] op_sel_hi:[1,0,0]
	v_mov_b32_e32 v75, v63
	s_delay_alu instid0(VALU_DEP_1)
	v_pk_add_f32 v[60:61], v[60:61], v[74:75] neg_lo:[0,1] neg_hi:[0,1]
.LBB54_440:
	s_or_b32 exec_lo, exec_lo, s0
	v_lshl_add_u32 v62, v70, 3, v66
	s_barrier_signal -1
	s_barrier_wait -1
	ds_store_b64 v62, v[22:23]
	s_wait_dscnt 0x0
	s_barrier_signal -1
	s_barrier_wait -1
	ds_load_b64 v[62:63], v66 offset:168
	v_mov_b32_e32 v64, 21
	s_cmp_lt_i32 s18, 23
	s_cbranch_scc1 .LBB54_443
; %bb.441:
	v_add3_u32 v65, v67, 0, 0xb0
	v_mov_b32_e32 v64, 21
	s_mov_b32 s0, 22
.LBB54_442:                             ; =>This Inner Loop Header: Depth=1
	ds_load_b64 v[72:73], v65
	s_wait_dscnt 0x1
	v_cmp_gt_f32_e32 vcc_lo, 0, v62
	v_cndmask_b32_e64 v74, v62, -v62, vcc_lo
	v_cmp_gt_f32_e32 vcc_lo, 0, v63
	v_cndmask_b32_e64 v76, v63, -v63, vcc_lo
	s_wait_dscnt 0x0
	v_cmp_gt_f32_e32 vcc_lo, 0, v72
	v_cndmask_b32_e64 v75, v72, -v72, vcc_lo
	v_cmp_gt_f32_e32 vcc_lo, 0, v73
	v_cndmask_b32_e64 v77, v73, -v73, vcc_lo
	s_delay_alu instid0(VALU_DEP_1) | instskip(NEXT) | instid1(VALU_DEP_1)
	v_pk_add_f32 v[74:75], v[74:75], v[76:77]
	v_cmp_lt_f32_e32 vcc_lo, v74, v75
	v_dual_cndmask_b32 v62, v62, v72 :: v_dual_add_nc_u32 v65, 8, v65
	v_cndmask_b32_e32 v63, v63, v73, vcc_lo
	v_cndmask_b32_e64 v64, v64, s0, vcc_lo
	s_add_co_i32 s0, s0, 1
	s_delay_alu instid0(SALU_CYCLE_1)
	s_cmp_lg_u32 s18, s0
	s_cbranch_scc1 .LBB54_442
.LBB54_443:
	s_wait_dscnt 0x0
	v_cmp_eq_f32_e32 vcc_lo, 0, v62
	v_cmp_eq_f32_e64 s0, 0, v63
	s_and_b32 s0, vcc_lo, s0
	s_delay_alu instid0(SALU_CYCLE_1) | instskip(NEXT) | instid1(SALU_CYCLE_1)
	s_and_saveexec_b32 s1, s0
	s_xor_b32 s0, exec_lo, s1
; %bb.444:
	v_cmp_ne_u32_e32 vcc_lo, 0, v69
	v_cndmask_b32_e32 v69, 22, v69, vcc_lo
; %bb.445:
	s_and_not1_saveexec_b32 s0, s0
	s_cbranch_execz .LBB54_451
; %bb.446:
	v_cmp_ngt_f32_e64 s1, |v62|, |v63|
	s_and_saveexec_b32 s12, s1
	s_delay_alu instid0(SALU_CYCLE_1)
	s_xor_b32 s1, exec_lo, s12
	s_cbranch_execz .LBB54_448
; %bb.447:
	v_div_scale_f32 v65, null, v63, v63, v62
	v_div_scale_f32 v73, vcc_lo, v62, v63, v62
	s_delay_alu instid0(VALU_DEP_2) | instskip(SKIP_1) | instid1(TRANS32_DEP_1)
	v_rcp_f32_e32 v71, v65
	v_nop
	v_fma_f32 v72, -v65, v71, 1.0
	s_delay_alu instid0(VALU_DEP_1) | instskip(NEXT) | instid1(VALU_DEP_1)
	v_fmac_f32_e32 v71, v72, v71
	v_mul_f32_e32 v72, v73, v71
	s_delay_alu instid0(VALU_DEP_1) | instskip(NEXT) | instid1(VALU_DEP_1)
	v_fma_f32 v74, -v65, v72, v73
	v_fmac_f32_e32 v72, v74, v71
	s_delay_alu instid0(VALU_DEP_1) | instskip(NEXT) | instid1(VALU_DEP_1)
	v_fma_f32 v65, -v65, v72, v73
	v_div_fmas_f32 v65, v65, v71, v72
	s_delay_alu instid0(VALU_DEP_1) | instskip(NEXT) | instid1(VALU_DEP_1)
	v_div_fixup_f32 v65, v65, v63, v62
	v_fmac_f32_e32 v63, v62, v65
	s_delay_alu instid0(VALU_DEP_1) | instskip(SKIP_1) | instid1(VALU_DEP_2)
	v_div_scale_f32 v62, null, v63, v63, 1.0
	v_div_scale_f32 v73, vcc_lo, 1.0, v63, 1.0
	v_rcp_f32_e32 v71, v62
	v_nop
	s_delay_alu instid0(TRANS32_DEP_1) | instskip(NEXT) | instid1(VALU_DEP_1)
	v_fma_f32 v72, -v62, v71, 1.0
	v_fmac_f32_e32 v71, v72, v71
	s_delay_alu instid0(VALU_DEP_1) | instskip(NEXT) | instid1(VALU_DEP_1)
	v_mul_f32_e32 v72, v73, v71
	v_fma_f32 v74, -v62, v72, v73
	s_delay_alu instid0(VALU_DEP_1) | instskip(NEXT) | instid1(VALU_DEP_1)
	v_fmac_f32_e32 v72, v74, v71
	v_fma_f32 v62, -v62, v72, v73
	s_delay_alu instid0(VALU_DEP_1) | instskip(NEXT) | instid1(VALU_DEP_1)
	v_div_fmas_f32 v62, v62, v71, v72
	v_div_fixup_f32 v63, v62, v63, 1.0
	s_delay_alu instid0(VALU_DEP_1)
	v_mul_f32_e32 v62, v65, v63
	v_xor_b32_e32 v63, 0x80000000, v63
.LBB54_448:
	s_and_not1_saveexec_b32 s1, s1
	s_cbranch_execz .LBB54_450
; %bb.449:
	s_delay_alu instid0(VALU_DEP_1) | instskip(SKIP_1) | instid1(VALU_DEP_2)
	v_div_scale_f32 v65, null, v62, v62, v63
	v_div_scale_f32 v73, vcc_lo, v63, v62, v63
	v_rcp_f32_e32 v71, v65
	v_nop
	s_delay_alu instid0(TRANS32_DEP_1) | instskip(NEXT) | instid1(VALU_DEP_1)
	v_fma_f32 v72, -v65, v71, 1.0
	v_fmac_f32_e32 v71, v72, v71
	s_delay_alu instid0(VALU_DEP_1) | instskip(NEXT) | instid1(VALU_DEP_1)
	v_mul_f32_e32 v72, v73, v71
	v_fma_f32 v74, -v65, v72, v73
	s_delay_alu instid0(VALU_DEP_1) | instskip(NEXT) | instid1(VALU_DEP_1)
	v_fmac_f32_e32 v72, v74, v71
	v_fma_f32 v65, -v65, v72, v73
	s_delay_alu instid0(VALU_DEP_1) | instskip(NEXT) | instid1(VALU_DEP_1)
	v_div_fmas_f32 v65, v65, v71, v72
	v_div_fixup_f32 v65, v65, v62, v63
	s_delay_alu instid0(VALU_DEP_1) | instskip(NEXT) | instid1(VALU_DEP_1)
	v_fmac_f32_e32 v62, v63, v65
	v_div_scale_f32 v63, null, v62, v62, 1.0
	s_delay_alu instid0(VALU_DEP_1) | instskip(SKIP_1) | instid1(TRANS32_DEP_1)
	v_rcp_f32_e32 v71, v63
	v_nop
	v_fma_f32 v72, -v63, v71, 1.0
	s_delay_alu instid0(VALU_DEP_1) | instskip(SKIP_1) | instid1(VALU_DEP_1)
	v_fmac_f32_e32 v71, v72, v71
	v_div_scale_f32 v72, vcc_lo, 1.0, v62, 1.0
	v_mul_f32_e32 v73, v72, v71
	s_delay_alu instid0(VALU_DEP_1) | instskip(NEXT) | instid1(VALU_DEP_1)
	v_fma_f32 v74, -v63, v73, v72
	v_fmac_f32_e32 v73, v74, v71
	s_delay_alu instid0(VALU_DEP_1) | instskip(NEXT) | instid1(VALU_DEP_1)
	v_fma_f32 v63, -v63, v73, v72
	v_div_fmas_f32 v63, v63, v71, v73
	s_delay_alu instid0(VALU_DEP_1) | instskip(NEXT) | instid1(VALU_DEP_1)
	v_div_fixup_f32 v62, v63, v62, 1.0
	v_mul_f32_e64 v63, v65, -v62
.LBB54_450:
	s_or_b32 exec_lo, exec_lo, s1
.LBB54_451:
	s_delay_alu instid0(SALU_CYCLE_1) | instskip(NEXT) | instid1(SALU_CYCLE_1)
	s_or_b32 exec_lo, exec_lo, s0
	s_mov_b32 s0, exec_lo
	v_cmpx_ne_u32_e64 v70, v64
	s_xor_b32 s0, exec_lo, s0
	s_cbranch_execz .LBB54_457
; %bb.452:
	s_mov_b32 s1, exec_lo
	v_cmpx_eq_u32_e32 21, v70
	s_cbranch_execz .LBB54_456
; %bb.453:
	v_cmp_ne_u32_e32 vcc_lo, 21, v64
	s_xor_b32 s12, s16, -1
	s_delay_alu instid0(SALU_CYCLE_1) | instskip(NEXT) | instid1(SALU_CYCLE_1)
	s_and_b32 s13, s12, vcc_lo
	s_and_saveexec_b32 s12, s13
	s_cbranch_execz .LBB54_455
; %bb.454:
	v_ashrrev_i32_e32 v65, 31, v64
	s_delay_alu instid0(VALU_DEP_1)
	v_lshl_add_u64 v[70:71], v[64:65], 2, v[4:5]
	s_clause 0x1
	global_load_b32 v65, v[70:71], off
	global_load_b32 v68, v[4:5], off offset:84
	s_wait_loadcnt 0x1
	global_store_b32 v[4:5], v65, off offset:84
	s_wait_loadcnt 0x0
	global_store_b32 v[70:71], v68, off
.LBB54_455:
	s_wait_xcnt 0x0
	s_or_b32 exec_lo, exec_lo, s12
	v_dual_mov_b32 v70, v64 :: v_dual_mov_b32 v68, v64
.LBB54_456:
	s_or_b32 exec_lo, exec_lo, s1
.LBB54_457:
	s_and_not1_saveexec_b32 s0, s0
	s_cbranch_execz .LBB54_459
; %bb.458:
	v_dual_mov_b32 v64, v24 :: v_dual_mov_b32 v65, v25
	v_dual_mov_b32 v72, v14 :: v_dual_mov_b32 v73, v15
	v_dual_mov_b32 v70, 21 :: v_dual_mov_b32 v74, v20
	v_dual_mov_b32 v75, v21 :: v_dual_mov_b32 v76, v18
	v_dual_mov_b32 v77, v19 :: v_dual_mov_b32 v78, v16
	v_mov_b32_e32 v79, v17
	ds_store_2addr_b64 v66, v[64:65], v[72:73] offset0:22 offset1:23
	ds_store_2addr_b64 v66, v[74:75], v[76:77] offset0:24 offset1:25
	;; [unrolled: 1-line block ×3, first 2 shown]
.LBB54_459:
	s_or_b32 exec_lo, exec_lo, s0
	s_delay_alu instid0(SALU_CYCLE_1)
	s_mov_b32 s0, exec_lo
	s_wait_storecnt_dscnt 0x0
	s_barrier_signal -1
	s_barrier_wait -1
	v_cmpx_lt_i32_e32 21, v70
	s_cbranch_execz .LBB54_461
; %bb.460:
	v_pk_mul_f32 v[64:65], v[62:63], v[22:23] op_sel:[1,1] op_sel_hi:[0,1]
	s_delay_alu instid0(VALU_DEP_1)
	v_pk_fma_f32 v[72:73], v[62:63], v[22:23], v[64:65] op_sel_hi:[1,0,1] neg_lo:[0,0,1] neg_hi:[0,0,1]
	v_pk_fma_f32 v[74:75], v[62:63], v[22:23], v[64:65] op_sel_hi:[1,0,1]
	ds_load_2addr_b64 v[62:65], v66 offset0:22 offset1:23
	v_dual_mov_b32 v22, v72 :: v_dual_mov_b32 v23, v75
	s_wait_dscnt 0x0
	v_pk_mul_f32 v[76:77], v[62:63], v[74:75] op_sel:[0,1]
	s_delay_alu instid0(VALU_DEP_1) | instskip(SKIP_1) | instid1(VALU_DEP_1)
	v_pk_fma_f32 v[78:79], v[62:63], v[72:73], v[76:77] op_sel:[0,0,1] op_sel_hi:[1,1,0] neg_lo:[0,0,1] neg_hi:[0,0,1]
	v_pk_fma_f32 v[62:63], v[62:63], v[72:73], v[76:77] op_sel:[0,0,1] op_sel_hi:[1,0,0]
	v_mov_b32_e32 v79, v63
	v_pk_mul_f32 v[62:63], v[64:65], v[74:75] op_sel:[0,1]
	s_delay_alu instid0(VALU_DEP_1) | instskip(SKIP_1) | instid1(VALU_DEP_1)
	v_pk_fma_f32 v[76:77], v[64:65], v[72:73], v[62:63] op_sel:[0,0,1] op_sel_hi:[1,1,0] neg_lo:[0,0,1] neg_hi:[0,0,1]
	v_pk_fma_f32 v[62:63], v[64:65], v[72:73], v[62:63] op_sel:[0,0,1] op_sel_hi:[1,0,0]
	v_mov_b32_e32 v77, v63
	ds_load_2addr_b64 v[62:65], v66 offset0:24 offset1:25
	v_pk_add_f32 v[24:25], v[24:25], v[78:79] neg_lo:[0,1] neg_hi:[0,1]
	v_pk_add_f32 v[14:15], v[14:15], v[76:77] neg_lo:[0,1] neg_hi:[0,1]
	s_wait_dscnt 0x0
	v_pk_mul_f32 v[76:77], v[62:63], v[74:75] op_sel:[0,1]
	s_delay_alu instid0(VALU_DEP_1) | instskip(SKIP_2) | instid1(VALU_DEP_2)
	v_pk_fma_f32 v[78:79], v[62:63], v[72:73], v[76:77] op_sel:[0,0,1] op_sel_hi:[1,1,0] neg_lo:[0,0,1] neg_hi:[0,0,1]
	v_pk_fma_f32 v[62:63], v[62:63], v[72:73], v[76:77] op_sel:[0,0,1] op_sel_hi:[1,0,0]
	v_dual_mul_f32 v76, v65, v75 :: v_dual_mov_b32 v62, v65
	v_dual_mov_b32 v79, v63 :: v_dual_mov_b32 v63, v64
	s_delay_alu instid0(VALU_DEP_2) | instskip(SKIP_1) | instid1(VALU_DEP_3)
	v_pk_fma_f32 v[76:77], v[64:65], v[22:23], v[76:77] op_sel_hi:[1,1,0] neg_lo:[0,0,1] neg_hi:[0,0,1]
	v_mul_f32_e32 v64, v65, v72
	v_pk_add_f32 v[20:21], v[20:21], v[78:79] neg_lo:[0,1] neg_hi:[0,1]
	s_delay_alu instid0(VALU_DEP_2) | instskip(NEXT) | instid1(VALU_DEP_1)
	v_pk_fma_f32 v[62:63], v[62:63], v[22:23], v[64:65] op_sel_hi:[1,1,0]
	v_mov_b32_e32 v77, v63
	ds_load_2addr_b64 v[62:65], v66 offset0:26 offset1:27
	v_pk_add_f32 v[18:19], v[18:19], v[76:77] neg_lo:[0,1] neg_hi:[0,1]
	s_wait_dscnt 0x0
	v_pk_mul_f32 v[76:77], v[62:63], v[74:75] op_sel:[0,1]
	v_mul_f32_e32 v74, v65, v75
	s_delay_alu instid0(VALU_DEP_2) | instskip(SKIP_2) | instid1(VALU_DEP_4)
	v_pk_fma_f32 v[78:79], v[62:63], v[72:73], v[76:77] op_sel:[0,0,1] op_sel_hi:[1,1,0] neg_lo:[0,0,1] neg_hi:[0,0,1]
	v_pk_fma_f32 v[62:63], v[62:63], v[72:73], v[76:77] op_sel:[0,0,1] op_sel_hi:[1,0,0]
	v_mov_b32_e32 v62, v65
	v_pk_fma_f32 v[74:75], v[64:65], v[22:23], v[74:75] op_sel_hi:[1,1,0] neg_lo:[0,0,1] neg_hi:[0,0,1]
	s_delay_alu instid0(VALU_DEP_3) | instskip(SKIP_1) | instid1(VALU_DEP_2)
	v_dual_mov_b32 v79, v63 :: v_dual_mov_b32 v63, v64
	v_mul_f32_e32 v64, v65, v72
	v_pk_add_f32 v[16:17], v[16:17], v[78:79] neg_lo:[0,1] neg_hi:[0,1]
	s_delay_alu instid0(VALU_DEP_2) | instskip(NEXT) | instid1(VALU_DEP_1)
	v_pk_fma_f32 v[62:63], v[62:63], v[22:23], v[64:65] op_sel_hi:[1,1,0]
	v_mov_b32_e32 v75, v63
	s_delay_alu instid0(VALU_DEP_1)
	v_pk_add_f32 v[60:61], v[60:61], v[74:75] neg_lo:[0,1] neg_hi:[0,1]
.LBB54_461:
	s_or_b32 exec_lo, exec_lo, s0
	v_lshl_add_u32 v62, v70, 3, v66
	s_barrier_signal -1
	s_barrier_wait -1
	ds_store_b64 v62, v[24:25]
	s_wait_dscnt 0x0
	s_barrier_signal -1
	s_barrier_wait -1
	ds_load_b64 v[62:63], v66 offset:176
	v_mov_b32_e32 v64, 22
	s_cmp_lt_i32 s18, 24
	s_cbranch_scc1 .LBB54_464
; %bb.462:
	v_add3_u32 v65, v67, 0, 0xb8
	v_mov_b32_e32 v64, 22
	s_mov_b32 s0, 23
.LBB54_463:                             ; =>This Inner Loop Header: Depth=1
	ds_load_b64 v[72:73], v65
	s_wait_dscnt 0x1
	v_cmp_gt_f32_e32 vcc_lo, 0, v62
	v_cndmask_b32_e64 v74, v62, -v62, vcc_lo
	v_cmp_gt_f32_e32 vcc_lo, 0, v63
	v_cndmask_b32_e64 v76, v63, -v63, vcc_lo
	s_wait_dscnt 0x0
	v_cmp_gt_f32_e32 vcc_lo, 0, v72
	v_cndmask_b32_e64 v75, v72, -v72, vcc_lo
	v_cmp_gt_f32_e32 vcc_lo, 0, v73
	v_cndmask_b32_e64 v77, v73, -v73, vcc_lo
	s_delay_alu instid0(VALU_DEP_1) | instskip(NEXT) | instid1(VALU_DEP_1)
	v_pk_add_f32 v[74:75], v[74:75], v[76:77]
	v_cmp_lt_f32_e32 vcc_lo, v74, v75
	v_dual_cndmask_b32 v62, v62, v72 :: v_dual_add_nc_u32 v65, 8, v65
	v_cndmask_b32_e32 v63, v63, v73, vcc_lo
	v_cndmask_b32_e64 v64, v64, s0, vcc_lo
	s_add_co_i32 s0, s0, 1
	s_delay_alu instid0(SALU_CYCLE_1)
	s_cmp_lg_u32 s18, s0
	s_cbranch_scc1 .LBB54_463
.LBB54_464:
	s_wait_dscnt 0x0
	v_cmp_eq_f32_e32 vcc_lo, 0, v62
	v_cmp_eq_f32_e64 s0, 0, v63
	s_and_b32 s0, vcc_lo, s0
	s_delay_alu instid0(SALU_CYCLE_1) | instskip(NEXT) | instid1(SALU_CYCLE_1)
	s_and_saveexec_b32 s1, s0
	s_xor_b32 s0, exec_lo, s1
; %bb.465:
	v_cmp_ne_u32_e32 vcc_lo, 0, v69
	v_cndmask_b32_e32 v69, 23, v69, vcc_lo
; %bb.466:
	s_and_not1_saveexec_b32 s0, s0
	s_cbranch_execz .LBB54_472
; %bb.467:
	v_cmp_ngt_f32_e64 s1, |v62|, |v63|
	s_and_saveexec_b32 s12, s1
	s_delay_alu instid0(SALU_CYCLE_1)
	s_xor_b32 s1, exec_lo, s12
	s_cbranch_execz .LBB54_469
; %bb.468:
	v_div_scale_f32 v65, null, v63, v63, v62
	v_div_scale_f32 v73, vcc_lo, v62, v63, v62
	s_delay_alu instid0(VALU_DEP_2) | instskip(SKIP_1) | instid1(TRANS32_DEP_1)
	v_rcp_f32_e32 v71, v65
	v_nop
	v_fma_f32 v72, -v65, v71, 1.0
	s_delay_alu instid0(VALU_DEP_1) | instskip(NEXT) | instid1(VALU_DEP_1)
	v_fmac_f32_e32 v71, v72, v71
	v_mul_f32_e32 v72, v73, v71
	s_delay_alu instid0(VALU_DEP_1) | instskip(NEXT) | instid1(VALU_DEP_1)
	v_fma_f32 v74, -v65, v72, v73
	v_fmac_f32_e32 v72, v74, v71
	s_delay_alu instid0(VALU_DEP_1) | instskip(NEXT) | instid1(VALU_DEP_1)
	v_fma_f32 v65, -v65, v72, v73
	v_div_fmas_f32 v65, v65, v71, v72
	s_delay_alu instid0(VALU_DEP_1) | instskip(NEXT) | instid1(VALU_DEP_1)
	v_div_fixup_f32 v65, v65, v63, v62
	v_fmac_f32_e32 v63, v62, v65
	s_delay_alu instid0(VALU_DEP_1) | instskip(SKIP_1) | instid1(VALU_DEP_2)
	v_div_scale_f32 v62, null, v63, v63, 1.0
	v_div_scale_f32 v73, vcc_lo, 1.0, v63, 1.0
	v_rcp_f32_e32 v71, v62
	v_nop
	s_delay_alu instid0(TRANS32_DEP_1) | instskip(NEXT) | instid1(VALU_DEP_1)
	v_fma_f32 v72, -v62, v71, 1.0
	v_fmac_f32_e32 v71, v72, v71
	s_delay_alu instid0(VALU_DEP_1) | instskip(NEXT) | instid1(VALU_DEP_1)
	v_mul_f32_e32 v72, v73, v71
	v_fma_f32 v74, -v62, v72, v73
	s_delay_alu instid0(VALU_DEP_1) | instskip(NEXT) | instid1(VALU_DEP_1)
	v_fmac_f32_e32 v72, v74, v71
	v_fma_f32 v62, -v62, v72, v73
	s_delay_alu instid0(VALU_DEP_1) | instskip(NEXT) | instid1(VALU_DEP_1)
	v_div_fmas_f32 v62, v62, v71, v72
	v_div_fixup_f32 v63, v62, v63, 1.0
	s_delay_alu instid0(VALU_DEP_1)
	v_mul_f32_e32 v62, v65, v63
	v_xor_b32_e32 v63, 0x80000000, v63
.LBB54_469:
	s_and_not1_saveexec_b32 s1, s1
	s_cbranch_execz .LBB54_471
; %bb.470:
	s_delay_alu instid0(VALU_DEP_1) | instskip(SKIP_1) | instid1(VALU_DEP_2)
	v_div_scale_f32 v65, null, v62, v62, v63
	v_div_scale_f32 v73, vcc_lo, v63, v62, v63
	v_rcp_f32_e32 v71, v65
	v_nop
	s_delay_alu instid0(TRANS32_DEP_1) | instskip(NEXT) | instid1(VALU_DEP_1)
	v_fma_f32 v72, -v65, v71, 1.0
	v_fmac_f32_e32 v71, v72, v71
	s_delay_alu instid0(VALU_DEP_1) | instskip(NEXT) | instid1(VALU_DEP_1)
	v_mul_f32_e32 v72, v73, v71
	v_fma_f32 v74, -v65, v72, v73
	s_delay_alu instid0(VALU_DEP_1) | instskip(NEXT) | instid1(VALU_DEP_1)
	v_fmac_f32_e32 v72, v74, v71
	v_fma_f32 v65, -v65, v72, v73
	s_delay_alu instid0(VALU_DEP_1) | instskip(NEXT) | instid1(VALU_DEP_1)
	v_div_fmas_f32 v65, v65, v71, v72
	v_div_fixup_f32 v65, v65, v62, v63
	s_delay_alu instid0(VALU_DEP_1) | instskip(NEXT) | instid1(VALU_DEP_1)
	v_fmac_f32_e32 v62, v63, v65
	v_div_scale_f32 v63, null, v62, v62, 1.0
	s_delay_alu instid0(VALU_DEP_1) | instskip(SKIP_1) | instid1(TRANS32_DEP_1)
	v_rcp_f32_e32 v71, v63
	v_nop
	v_fma_f32 v72, -v63, v71, 1.0
	s_delay_alu instid0(VALU_DEP_1) | instskip(SKIP_1) | instid1(VALU_DEP_1)
	v_fmac_f32_e32 v71, v72, v71
	v_div_scale_f32 v72, vcc_lo, 1.0, v62, 1.0
	v_mul_f32_e32 v73, v72, v71
	s_delay_alu instid0(VALU_DEP_1) | instskip(NEXT) | instid1(VALU_DEP_1)
	v_fma_f32 v74, -v63, v73, v72
	v_fmac_f32_e32 v73, v74, v71
	s_delay_alu instid0(VALU_DEP_1) | instskip(NEXT) | instid1(VALU_DEP_1)
	v_fma_f32 v63, -v63, v73, v72
	v_div_fmas_f32 v63, v63, v71, v73
	s_delay_alu instid0(VALU_DEP_1) | instskip(NEXT) | instid1(VALU_DEP_1)
	v_div_fixup_f32 v62, v63, v62, 1.0
	v_mul_f32_e64 v63, v65, -v62
.LBB54_471:
	s_or_b32 exec_lo, exec_lo, s1
.LBB54_472:
	s_delay_alu instid0(SALU_CYCLE_1) | instskip(NEXT) | instid1(SALU_CYCLE_1)
	s_or_b32 exec_lo, exec_lo, s0
	s_mov_b32 s0, exec_lo
	v_cmpx_ne_u32_e64 v70, v64
	s_xor_b32 s0, exec_lo, s0
	s_cbranch_execz .LBB54_478
; %bb.473:
	s_mov_b32 s1, exec_lo
	v_cmpx_eq_u32_e32 22, v70
	s_cbranch_execz .LBB54_477
; %bb.474:
	v_cmp_ne_u32_e32 vcc_lo, 22, v64
	s_xor_b32 s12, s16, -1
	s_delay_alu instid0(SALU_CYCLE_1) | instskip(NEXT) | instid1(SALU_CYCLE_1)
	s_and_b32 s13, s12, vcc_lo
	s_and_saveexec_b32 s12, s13
	s_cbranch_execz .LBB54_476
; %bb.475:
	v_ashrrev_i32_e32 v65, 31, v64
	s_delay_alu instid0(VALU_DEP_1)
	v_lshl_add_u64 v[70:71], v[64:65], 2, v[4:5]
	s_clause 0x1
	global_load_b32 v65, v[70:71], off
	global_load_b32 v68, v[4:5], off offset:88
	s_wait_loadcnt 0x1
	global_store_b32 v[4:5], v65, off offset:88
	s_wait_loadcnt 0x0
	global_store_b32 v[70:71], v68, off
.LBB54_476:
	s_wait_xcnt 0x0
	s_or_b32 exec_lo, exec_lo, s12
	v_dual_mov_b32 v70, v64 :: v_dual_mov_b32 v68, v64
.LBB54_477:
	s_or_b32 exec_lo, exec_lo, s1
.LBB54_478:
	s_and_not1_saveexec_b32 s0, s0
	s_cbranch_execz .LBB54_480
; %bb.479:
	v_mov_b32_e32 v70, 22
	ds_store_2addr_b64 v66, v[14:15], v[20:21] offset0:23 offset1:24
	ds_store_2addr_b64 v66, v[18:19], v[16:17] offset0:25 offset1:26
	ds_store_b64 v66, v[60:61] offset:216
.LBB54_480:
	s_or_b32 exec_lo, exec_lo, s0
	s_delay_alu instid0(SALU_CYCLE_1)
	s_mov_b32 s0, exec_lo
	s_wait_storecnt_dscnt 0x0
	s_barrier_signal -1
	s_barrier_wait -1
	v_cmpx_lt_i32_e32 22, v70
	s_cbranch_execz .LBB54_482
; %bb.481:
	ds_load_2addr_b64 v[72:75], v66 offset0:23 offset1:24
	ds_load_2addr_b64 v[76:79], v66 offset0:25 offset1:26
	ds_load_b64 v[64:65], v66 offset:216
	v_pk_mul_f32 v[80:81], v[62:63], v[24:25] op_sel:[1,1] op_sel_hi:[0,1]
	s_delay_alu instid0(VALU_DEP_1) | instskip(SKIP_1) | instid1(VALU_DEP_1)
	v_pk_fma_f32 v[82:83], v[62:63], v[24:25], v[80:81] op_sel_hi:[1,0,1] neg_lo:[0,0,1] neg_hi:[0,0,1]
	v_pk_fma_f32 v[62:63], v[62:63], v[24:25], v[80:81] op_sel_hi:[1,0,1]
	v_dual_mov_b32 v24, v82 :: v_dual_mov_b32 v25, v63
	s_wait_dscnt 0x2
	s_delay_alu instid0(VALU_DEP_2)
	v_pk_mul_f32 v[80:81], v[72:73], v[62:63] op_sel:[0,1]
	v_pk_mul_f32 v[84:85], v[74:75], v[62:63] op_sel:[0,1]
	s_wait_dscnt 0x1
	v_pk_mul_f32 v[86:87], v[76:77], v[62:63] op_sel:[0,1]
	v_dual_mov_b32 v88, v79 :: v_dual_mov_b32 v89, v78
	v_dual_mul_f32 v90, v79, v63 :: v_dual_mul_f32 v92, v79, v82
	s_wait_dscnt 0x0
	v_pk_mul_f32 v[62:63], v[64:65], v[62:63] op_sel:[0,1]
	v_pk_fma_f32 v[94:95], v[72:73], v[82:83], v[80:81] op_sel:[0,0,1] op_sel_hi:[1,1,0] neg_lo:[0,0,1] neg_hi:[0,0,1]
	v_pk_fma_f32 v[72:73], v[72:73], v[82:83], v[80:81] op_sel:[0,0,1] op_sel_hi:[1,0,0]
	v_pk_fma_f32 v[80:81], v[74:75], v[82:83], v[84:85] op_sel:[0,0,1] op_sel_hi:[1,1,0] neg_lo:[0,0,1] neg_hi:[0,0,1]
	v_pk_fma_f32 v[74:75], v[74:75], v[82:83], v[84:85] op_sel:[0,0,1] op_sel_hi:[1,0,0]
	;; [unrolled: 2-line block ×3, first 2 shown]
	v_pk_fma_f32 v[86:87], v[88:89], v[24:25], v[92:93] op_sel_hi:[1,1,0]
	v_pk_fma_f32 v[88:89], v[64:65], v[82:83], v[62:63] op_sel:[0,0,1] op_sel_hi:[1,1,0] neg_lo:[0,0,1] neg_hi:[0,0,1]
	v_pk_fma_f32 v[62:63], v[64:65], v[82:83], v[62:63] op_sel:[0,0,1] op_sel_hi:[1,0,0]
	v_pk_fma_f32 v[78:79], v[78:79], v[24:25], v[90:91] op_sel_hi:[1,1,0] neg_lo:[0,0,1] neg_hi:[0,0,1]
	v_dual_mov_b32 v95, v73 :: v_dual_mov_b32 v81, v75
	v_dual_mov_b32 v85, v77 :: v_dual_mov_b32 v79, v87
	s_delay_alu instid0(VALU_DEP_4) | instskip(NEXT) | instid1(VALU_DEP_3)
	v_mov_b32_e32 v89, v63
	v_pk_add_f32 v[14:15], v[14:15], v[94:95] neg_lo:[0,1] neg_hi:[0,1]
	s_delay_alu instid0(VALU_DEP_4) | instskip(NEXT) | instid1(VALU_DEP_4)
	v_pk_add_f32 v[20:21], v[20:21], v[80:81] neg_lo:[0,1] neg_hi:[0,1]
	v_pk_add_f32 v[18:19], v[18:19], v[84:85] neg_lo:[0,1] neg_hi:[0,1]
	;; [unrolled: 1-line block ×4, first 2 shown]
.LBB54_482:
	s_or_b32 exec_lo, exec_lo, s0
	v_lshl_add_u32 v62, v70, 3, v66
	s_barrier_signal -1
	s_barrier_wait -1
	ds_store_b64 v62, v[14:15]
	s_wait_dscnt 0x0
	s_barrier_signal -1
	s_barrier_wait -1
	ds_load_b64 v[62:63], v66 offset:184
	v_mov_b32_e32 v64, 23
	s_cmp_lt_i32 s18, 25
	s_cbranch_scc1 .LBB54_485
; %bb.483:
	v_add3_u32 v65, v67, 0, 0xc0
	v_mov_b32_e32 v64, 23
	s_mov_b32 s0, 24
.LBB54_484:                             ; =>This Inner Loop Header: Depth=1
	ds_load_b64 v[72:73], v65
	s_wait_dscnt 0x1
	v_cmp_gt_f32_e32 vcc_lo, 0, v62
	v_cndmask_b32_e64 v74, v62, -v62, vcc_lo
	v_cmp_gt_f32_e32 vcc_lo, 0, v63
	v_cndmask_b32_e64 v76, v63, -v63, vcc_lo
	s_wait_dscnt 0x0
	v_cmp_gt_f32_e32 vcc_lo, 0, v72
	v_cndmask_b32_e64 v75, v72, -v72, vcc_lo
	v_cmp_gt_f32_e32 vcc_lo, 0, v73
	v_cndmask_b32_e64 v77, v73, -v73, vcc_lo
	s_delay_alu instid0(VALU_DEP_1) | instskip(NEXT) | instid1(VALU_DEP_1)
	v_pk_add_f32 v[74:75], v[74:75], v[76:77]
	v_cmp_lt_f32_e32 vcc_lo, v74, v75
	v_dual_cndmask_b32 v62, v62, v72 :: v_dual_add_nc_u32 v65, 8, v65
	v_cndmask_b32_e32 v63, v63, v73, vcc_lo
	v_cndmask_b32_e64 v64, v64, s0, vcc_lo
	s_add_co_i32 s0, s0, 1
	s_delay_alu instid0(SALU_CYCLE_1)
	s_cmp_lg_u32 s18, s0
	s_cbranch_scc1 .LBB54_484
.LBB54_485:
	s_wait_dscnt 0x0
	v_cmp_eq_f32_e32 vcc_lo, 0, v62
	v_cmp_eq_f32_e64 s0, 0, v63
	s_and_b32 s0, vcc_lo, s0
	s_delay_alu instid0(SALU_CYCLE_1) | instskip(NEXT) | instid1(SALU_CYCLE_1)
	s_and_saveexec_b32 s1, s0
	s_xor_b32 s0, exec_lo, s1
; %bb.486:
	v_cmp_ne_u32_e32 vcc_lo, 0, v69
	v_cndmask_b32_e32 v69, 24, v69, vcc_lo
; %bb.487:
	s_and_not1_saveexec_b32 s0, s0
	s_cbranch_execz .LBB54_493
; %bb.488:
	v_cmp_ngt_f32_e64 s1, |v62|, |v63|
	s_and_saveexec_b32 s12, s1
	s_delay_alu instid0(SALU_CYCLE_1)
	s_xor_b32 s1, exec_lo, s12
	s_cbranch_execz .LBB54_490
; %bb.489:
	v_div_scale_f32 v65, null, v63, v63, v62
	v_div_scale_f32 v73, vcc_lo, v62, v63, v62
	s_delay_alu instid0(VALU_DEP_2) | instskip(SKIP_1) | instid1(TRANS32_DEP_1)
	v_rcp_f32_e32 v71, v65
	v_nop
	v_fma_f32 v72, -v65, v71, 1.0
	s_delay_alu instid0(VALU_DEP_1) | instskip(NEXT) | instid1(VALU_DEP_1)
	v_fmac_f32_e32 v71, v72, v71
	v_mul_f32_e32 v72, v73, v71
	s_delay_alu instid0(VALU_DEP_1) | instskip(NEXT) | instid1(VALU_DEP_1)
	v_fma_f32 v74, -v65, v72, v73
	v_fmac_f32_e32 v72, v74, v71
	s_delay_alu instid0(VALU_DEP_1) | instskip(NEXT) | instid1(VALU_DEP_1)
	v_fma_f32 v65, -v65, v72, v73
	v_div_fmas_f32 v65, v65, v71, v72
	s_delay_alu instid0(VALU_DEP_1) | instskip(NEXT) | instid1(VALU_DEP_1)
	v_div_fixup_f32 v65, v65, v63, v62
	v_fmac_f32_e32 v63, v62, v65
	s_delay_alu instid0(VALU_DEP_1) | instskip(SKIP_1) | instid1(VALU_DEP_2)
	v_div_scale_f32 v62, null, v63, v63, 1.0
	v_div_scale_f32 v73, vcc_lo, 1.0, v63, 1.0
	v_rcp_f32_e32 v71, v62
	v_nop
	s_delay_alu instid0(TRANS32_DEP_1) | instskip(NEXT) | instid1(VALU_DEP_1)
	v_fma_f32 v72, -v62, v71, 1.0
	v_fmac_f32_e32 v71, v72, v71
	s_delay_alu instid0(VALU_DEP_1) | instskip(NEXT) | instid1(VALU_DEP_1)
	v_mul_f32_e32 v72, v73, v71
	v_fma_f32 v74, -v62, v72, v73
	s_delay_alu instid0(VALU_DEP_1) | instskip(NEXT) | instid1(VALU_DEP_1)
	v_fmac_f32_e32 v72, v74, v71
	v_fma_f32 v62, -v62, v72, v73
	s_delay_alu instid0(VALU_DEP_1) | instskip(NEXT) | instid1(VALU_DEP_1)
	v_div_fmas_f32 v62, v62, v71, v72
	v_div_fixup_f32 v63, v62, v63, 1.0
	s_delay_alu instid0(VALU_DEP_1)
	v_mul_f32_e32 v62, v65, v63
	v_xor_b32_e32 v63, 0x80000000, v63
.LBB54_490:
	s_and_not1_saveexec_b32 s1, s1
	s_cbranch_execz .LBB54_492
; %bb.491:
	s_delay_alu instid0(VALU_DEP_1) | instskip(SKIP_1) | instid1(VALU_DEP_2)
	v_div_scale_f32 v65, null, v62, v62, v63
	v_div_scale_f32 v73, vcc_lo, v63, v62, v63
	v_rcp_f32_e32 v71, v65
	v_nop
	s_delay_alu instid0(TRANS32_DEP_1) | instskip(NEXT) | instid1(VALU_DEP_1)
	v_fma_f32 v72, -v65, v71, 1.0
	v_fmac_f32_e32 v71, v72, v71
	s_delay_alu instid0(VALU_DEP_1) | instskip(NEXT) | instid1(VALU_DEP_1)
	v_mul_f32_e32 v72, v73, v71
	v_fma_f32 v74, -v65, v72, v73
	s_delay_alu instid0(VALU_DEP_1) | instskip(NEXT) | instid1(VALU_DEP_1)
	v_fmac_f32_e32 v72, v74, v71
	v_fma_f32 v65, -v65, v72, v73
	s_delay_alu instid0(VALU_DEP_1) | instskip(NEXT) | instid1(VALU_DEP_1)
	v_div_fmas_f32 v65, v65, v71, v72
	v_div_fixup_f32 v65, v65, v62, v63
	s_delay_alu instid0(VALU_DEP_1) | instskip(NEXT) | instid1(VALU_DEP_1)
	v_fmac_f32_e32 v62, v63, v65
	v_div_scale_f32 v63, null, v62, v62, 1.0
	s_delay_alu instid0(VALU_DEP_1) | instskip(SKIP_1) | instid1(TRANS32_DEP_1)
	v_rcp_f32_e32 v71, v63
	v_nop
	v_fma_f32 v72, -v63, v71, 1.0
	s_delay_alu instid0(VALU_DEP_1) | instskip(SKIP_1) | instid1(VALU_DEP_1)
	v_fmac_f32_e32 v71, v72, v71
	v_div_scale_f32 v72, vcc_lo, 1.0, v62, 1.0
	v_mul_f32_e32 v73, v72, v71
	s_delay_alu instid0(VALU_DEP_1) | instskip(NEXT) | instid1(VALU_DEP_1)
	v_fma_f32 v74, -v63, v73, v72
	v_fmac_f32_e32 v73, v74, v71
	s_delay_alu instid0(VALU_DEP_1) | instskip(NEXT) | instid1(VALU_DEP_1)
	v_fma_f32 v63, -v63, v73, v72
	v_div_fmas_f32 v63, v63, v71, v73
	s_delay_alu instid0(VALU_DEP_1) | instskip(NEXT) | instid1(VALU_DEP_1)
	v_div_fixup_f32 v62, v63, v62, 1.0
	v_mul_f32_e64 v63, v65, -v62
.LBB54_492:
	s_or_b32 exec_lo, exec_lo, s1
.LBB54_493:
	s_delay_alu instid0(SALU_CYCLE_1) | instskip(NEXT) | instid1(SALU_CYCLE_1)
	s_or_b32 exec_lo, exec_lo, s0
	s_mov_b32 s0, exec_lo
	v_cmpx_ne_u32_e64 v70, v64
	s_xor_b32 s0, exec_lo, s0
	s_cbranch_execz .LBB54_499
; %bb.494:
	s_mov_b32 s1, exec_lo
	v_cmpx_eq_u32_e32 23, v70
	s_cbranch_execz .LBB54_498
; %bb.495:
	v_cmp_ne_u32_e32 vcc_lo, 23, v64
	s_xor_b32 s12, s16, -1
	s_delay_alu instid0(SALU_CYCLE_1) | instskip(NEXT) | instid1(SALU_CYCLE_1)
	s_and_b32 s13, s12, vcc_lo
	s_and_saveexec_b32 s12, s13
	s_cbranch_execz .LBB54_497
; %bb.496:
	v_ashrrev_i32_e32 v65, 31, v64
	s_delay_alu instid0(VALU_DEP_1)
	v_lshl_add_u64 v[70:71], v[64:65], 2, v[4:5]
	s_clause 0x1
	global_load_b32 v65, v[70:71], off
	global_load_b32 v68, v[4:5], off offset:92
	s_wait_loadcnt 0x1
	global_store_b32 v[4:5], v65, off offset:92
	s_wait_loadcnt 0x0
	global_store_b32 v[70:71], v68, off
.LBB54_497:
	s_wait_xcnt 0x0
	s_or_b32 exec_lo, exec_lo, s12
	v_dual_mov_b32 v70, v64 :: v_dual_mov_b32 v68, v64
.LBB54_498:
	s_or_b32 exec_lo, exec_lo, s1
.LBB54_499:
	s_and_not1_saveexec_b32 s0, s0
	s_cbranch_execz .LBB54_501
; %bb.500:
	v_dual_mov_b32 v64, v20 :: v_dual_mov_b32 v65, v21
	v_dual_mov_b32 v72, v18 :: v_dual_mov_b32 v73, v19
	;; [unrolled: 1-line block ×3, first 2 shown]
	v_mov_b32_e32 v75, v17
	ds_store_2addr_b64 v66, v[64:65], v[72:73] offset0:24 offset1:25
	ds_store_2addr_b64 v66, v[74:75], v[60:61] offset0:26 offset1:27
.LBB54_501:
	s_or_b32 exec_lo, exec_lo, s0
	s_delay_alu instid0(SALU_CYCLE_1)
	s_mov_b32 s0, exec_lo
	s_wait_storecnt_dscnt 0x0
	s_barrier_signal -1
	s_barrier_wait -1
	v_cmpx_lt_i32_e32 23, v70
	s_cbranch_execz .LBB54_503
; %bb.502:
	ds_load_2addr_b64 v[72:75], v66 offset0:24 offset1:25
	ds_load_2addr_b64 v[76:79], v66 offset0:26 offset1:27
	v_pk_mul_f32 v[64:65], v[62:63], v[14:15] op_sel:[1,1] op_sel_hi:[0,1]
	s_delay_alu instid0(VALU_DEP_1) | instskip(SKIP_1) | instid1(VALU_DEP_1)
	v_pk_fma_f32 v[80:81], v[62:63], v[14:15], v[64:65] op_sel_hi:[1,0,1] neg_lo:[0,0,1] neg_hi:[0,0,1]
	v_pk_fma_f32 v[62:63], v[62:63], v[14:15], v[64:65] op_sel_hi:[1,0,1]
	v_dual_mov_b32 v14, v80 :: v_dual_mov_b32 v15, v63
	s_wait_dscnt 0x1
	s_delay_alu instid0(VALU_DEP_2)
	v_pk_mul_f32 v[64:65], v[72:73], v[62:63] op_sel:[0,1]
	s_wait_dscnt 0x0
	v_mov_b32_e32 v82, v79
	v_pk_mul_f32 v[84:85], v[74:75], v[62:63] op_sel:[0,1]
	v_pk_mul_f32 v[86:87], v[76:77], v[62:63] op_sel:[0,1]
	v_pk_fma_f32 v[88:89], v[72:73], v[80:81], v[64:65] op_sel:[0,0,1] op_sel_hi:[1,1,0] neg_lo:[0,0,1] neg_hi:[0,0,1]
	v_pk_fma_f32 v[64:65], v[72:73], v[80:81], v[64:65] op_sel:[0,0,1] op_sel_hi:[1,0,0]
	s_delay_alu instid0(VALU_DEP_1) | instskip(NEXT) | instid1(VALU_DEP_1)
	v_dual_mov_b32 v83, v78 :: v_dual_mov_b32 v89, v65
	v_pk_mul_f32 v[72:73], v[82:83], v[62:63] op_sel:[0,1]
	v_pk_fma_f32 v[82:83], v[74:75], v[80:81], v[84:85] op_sel:[0,0,1] op_sel_hi:[1,0,0]
	v_pk_fma_f32 v[74:75], v[74:75], v[80:81], v[84:85] op_sel:[0,0,1] op_sel_hi:[1,1,0] neg_lo:[0,0,1] neg_hi:[0,0,1]
	v_pk_fma_f32 v[84:85], v[76:77], v[80:81], v[86:87] op_sel:[0,0,1] op_sel_hi:[1,0,0]
	v_pk_fma_f32 v[76:77], v[76:77], v[80:81], v[86:87] op_sel:[0,0,1] op_sel_hi:[1,1,0] neg_lo:[0,0,1] neg_hi:[0,0,1]
	v_pk_fma_f32 v[64:65], v[78:79], v[80:81], v[72:73] op_sel_hi:[1,0,1]
	v_pk_fma_f32 v[72:73], v[78:79], v[80:81], v[72:73] neg_lo:[0,0,1] neg_hi:[0,0,1]
	s_delay_alu instid0(VALU_DEP_4) | instskip(SKIP_1) | instid1(VALU_DEP_4)
	v_dual_mov_b32 v75, v83 :: v_dual_mov_b32 v77, v85
	v_pk_add_f32 v[20:21], v[20:21], v[88:89] neg_lo:[0,1] neg_hi:[0,1]
	v_mov_b32_e32 v73, v65
	s_delay_alu instid0(VALU_DEP_3) | instskip(NEXT) | instid1(VALU_DEP_4)
	v_pk_add_f32 v[18:19], v[18:19], v[74:75] neg_lo:[0,1] neg_hi:[0,1]
	v_pk_add_f32 v[16:17], v[16:17], v[76:77] neg_lo:[0,1] neg_hi:[0,1]
	s_delay_alu instid0(VALU_DEP_3)
	v_pk_add_f32 v[60:61], v[60:61], v[72:73] neg_lo:[0,1] neg_hi:[0,1]
.LBB54_503:
	s_or_b32 exec_lo, exec_lo, s0
	v_lshl_add_u32 v62, v70, 3, v66
	s_barrier_signal -1
	s_barrier_wait -1
	ds_store_b64 v62, v[20:21]
	s_wait_dscnt 0x0
	s_barrier_signal -1
	s_barrier_wait -1
	ds_load_b64 v[62:63], v66 offset:192
	v_mov_b32_e32 v64, 24
	s_cmp_lt_i32 s18, 26
	s_cbranch_scc1 .LBB54_506
; %bb.504:
	v_add3_u32 v65, v67, 0, 0xc8
	v_mov_b32_e32 v64, 24
	s_mov_b32 s0, 25
.LBB54_505:                             ; =>This Inner Loop Header: Depth=1
	ds_load_b64 v[72:73], v65
	s_wait_dscnt 0x1
	v_cmp_gt_f32_e32 vcc_lo, 0, v62
	v_cndmask_b32_e64 v74, v62, -v62, vcc_lo
	v_cmp_gt_f32_e32 vcc_lo, 0, v63
	v_cndmask_b32_e64 v76, v63, -v63, vcc_lo
	s_wait_dscnt 0x0
	v_cmp_gt_f32_e32 vcc_lo, 0, v72
	v_cndmask_b32_e64 v75, v72, -v72, vcc_lo
	v_cmp_gt_f32_e32 vcc_lo, 0, v73
	v_cndmask_b32_e64 v77, v73, -v73, vcc_lo
	s_delay_alu instid0(VALU_DEP_1) | instskip(NEXT) | instid1(VALU_DEP_1)
	v_pk_add_f32 v[74:75], v[74:75], v[76:77]
	v_cmp_lt_f32_e32 vcc_lo, v74, v75
	v_dual_cndmask_b32 v62, v62, v72 :: v_dual_add_nc_u32 v65, 8, v65
	v_cndmask_b32_e32 v63, v63, v73, vcc_lo
	v_cndmask_b32_e64 v64, v64, s0, vcc_lo
	s_add_co_i32 s0, s0, 1
	s_delay_alu instid0(SALU_CYCLE_1)
	s_cmp_lg_u32 s18, s0
	s_cbranch_scc1 .LBB54_505
.LBB54_506:
	s_wait_dscnt 0x0
	v_cmp_eq_f32_e32 vcc_lo, 0, v62
	v_cmp_eq_f32_e64 s0, 0, v63
	s_and_b32 s0, vcc_lo, s0
	s_delay_alu instid0(SALU_CYCLE_1) | instskip(NEXT) | instid1(SALU_CYCLE_1)
	s_and_saveexec_b32 s1, s0
	s_xor_b32 s0, exec_lo, s1
; %bb.507:
	v_cmp_ne_u32_e32 vcc_lo, 0, v69
	v_cndmask_b32_e32 v69, 25, v69, vcc_lo
; %bb.508:
	s_and_not1_saveexec_b32 s0, s0
	s_cbranch_execz .LBB54_514
; %bb.509:
	v_cmp_ngt_f32_e64 s1, |v62|, |v63|
	s_and_saveexec_b32 s12, s1
	s_delay_alu instid0(SALU_CYCLE_1)
	s_xor_b32 s1, exec_lo, s12
	s_cbranch_execz .LBB54_511
; %bb.510:
	v_div_scale_f32 v65, null, v63, v63, v62
	v_div_scale_f32 v73, vcc_lo, v62, v63, v62
	s_delay_alu instid0(VALU_DEP_2) | instskip(SKIP_1) | instid1(TRANS32_DEP_1)
	v_rcp_f32_e32 v71, v65
	v_nop
	v_fma_f32 v72, -v65, v71, 1.0
	s_delay_alu instid0(VALU_DEP_1) | instskip(NEXT) | instid1(VALU_DEP_1)
	v_fmac_f32_e32 v71, v72, v71
	v_mul_f32_e32 v72, v73, v71
	s_delay_alu instid0(VALU_DEP_1) | instskip(NEXT) | instid1(VALU_DEP_1)
	v_fma_f32 v74, -v65, v72, v73
	v_fmac_f32_e32 v72, v74, v71
	s_delay_alu instid0(VALU_DEP_1) | instskip(NEXT) | instid1(VALU_DEP_1)
	v_fma_f32 v65, -v65, v72, v73
	v_div_fmas_f32 v65, v65, v71, v72
	s_delay_alu instid0(VALU_DEP_1) | instskip(NEXT) | instid1(VALU_DEP_1)
	v_div_fixup_f32 v65, v65, v63, v62
	v_fmac_f32_e32 v63, v62, v65
	s_delay_alu instid0(VALU_DEP_1) | instskip(SKIP_1) | instid1(VALU_DEP_2)
	v_div_scale_f32 v62, null, v63, v63, 1.0
	v_div_scale_f32 v73, vcc_lo, 1.0, v63, 1.0
	v_rcp_f32_e32 v71, v62
	v_nop
	s_delay_alu instid0(TRANS32_DEP_1) | instskip(NEXT) | instid1(VALU_DEP_1)
	v_fma_f32 v72, -v62, v71, 1.0
	v_fmac_f32_e32 v71, v72, v71
	s_delay_alu instid0(VALU_DEP_1) | instskip(NEXT) | instid1(VALU_DEP_1)
	v_mul_f32_e32 v72, v73, v71
	v_fma_f32 v74, -v62, v72, v73
	s_delay_alu instid0(VALU_DEP_1) | instskip(NEXT) | instid1(VALU_DEP_1)
	v_fmac_f32_e32 v72, v74, v71
	v_fma_f32 v62, -v62, v72, v73
	s_delay_alu instid0(VALU_DEP_1) | instskip(NEXT) | instid1(VALU_DEP_1)
	v_div_fmas_f32 v62, v62, v71, v72
	v_div_fixup_f32 v63, v62, v63, 1.0
	s_delay_alu instid0(VALU_DEP_1)
	v_mul_f32_e32 v62, v65, v63
	v_xor_b32_e32 v63, 0x80000000, v63
.LBB54_511:
	s_and_not1_saveexec_b32 s1, s1
	s_cbranch_execz .LBB54_513
; %bb.512:
	s_delay_alu instid0(VALU_DEP_1) | instskip(SKIP_1) | instid1(VALU_DEP_2)
	v_div_scale_f32 v65, null, v62, v62, v63
	v_div_scale_f32 v73, vcc_lo, v63, v62, v63
	v_rcp_f32_e32 v71, v65
	v_nop
	s_delay_alu instid0(TRANS32_DEP_1) | instskip(NEXT) | instid1(VALU_DEP_1)
	v_fma_f32 v72, -v65, v71, 1.0
	v_fmac_f32_e32 v71, v72, v71
	s_delay_alu instid0(VALU_DEP_1) | instskip(NEXT) | instid1(VALU_DEP_1)
	v_mul_f32_e32 v72, v73, v71
	v_fma_f32 v74, -v65, v72, v73
	s_delay_alu instid0(VALU_DEP_1) | instskip(NEXT) | instid1(VALU_DEP_1)
	v_fmac_f32_e32 v72, v74, v71
	v_fma_f32 v65, -v65, v72, v73
	s_delay_alu instid0(VALU_DEP_1) | instskip(NEXT) | instid1(VALU_DEP_1)
	v_div_fmas_f32 v65, v65, v71, v72
	v_div_fixup_f32 v65, v65, v62, v63
	s_delay_alu instid0(VALU_DEP_1) | instskip(NEXT) | instid1(VALU_DEP_1)
	v_fmac_f32_e32 v62, v63, v65
	v_div_scale_f32 v63, null, v62, v62, 1.0
	s_delay_alu instid0(VALU_DEP_1) | instskip(SKIP_1) | instid1(TRANS32_DEP_1)
	v_rcp_f32_e32 v71, v63
	v_nop
	v_fma_f32 v72, -v63, v71, 1.0
	s_delay_alu instid0(VALU_DEP_1) | instskip(SKIP_1) | instid1(VALU_DEP_1)
	v_fmac_f32_e32 v71, v72, v71
	v_div_scale_f32 v72, vcc_lo, 1.0, v62, 1.0
	v_mul_f32_e32 v73, v72, v71
	s_delay_alu instid0(VALU_DEP_1) | instskip(NEXT) | instid1(VALU_DEP_1)
	v_fma_f32 v74, -v63, v73, v72
	v_fmac_f32_e32 v73, v74, v71
	s_delay_alu instid0(VALU_DEP_1) | instskip(NEXT) | instid1(VALU_DEP_1)
	v_fma_f32 v63, -v63, v73, v72
	v_div_fmas_f32 v63, v63, v71, v73
	s_delay_alu instid0(VALU_DEP_1) | instskip(NEXT) | instid1(VALU_DEP_1)
	v_div_fixup_f32 v62, v63, v62, 1.0
	v_mul_f32_e64 v63, v65, -v62
.LBB54_513:
	s_or_b32 exec_lo, exec_lo, s1
.LBB54_514:
	s_delay_alu instid0(SALU_CYCLE_1) | instskip(NEXT) | instid1(SALU_CYCLE_1)
	s_or_b32 exec_lo, exec_lo, s0
	s_mov_b32 s0, exec_lo
	v_cmpx_ne_u32_e64 v70, v64
	s_xor_b32 s0, exec_lo, s0
	s_cbranch_execz .LBB54_520
; %bb.515:
	s_mov_b32 s1, exec_lo
	v_cmpx_eq_u32_e32 24, v70
	s_cbranch_execz .LBB54_519
; %bb.516:
	v_cmp_ne_u32_e32 vcc_lo, 24, v64
	s_xor_b32 s12, s16, -1
	s_delay_alu instid0(SALU_CYCLE_1) | instskip(NEXT) | instid1(SALU_CYCLE_1)
	s_and_b32 s13, s12, vcc_lo
	s_and_saveexec_b32 s12, s13
	s_cbranch_execz .LBB54_518
; %bb.517:
	v_ashrrev_i32_e32 v65, 31, v64
	s_delay_alu instid0(VALU_DEP_1)
	v_lshl_add_u64 v[70:71], v[64:65], 2, v[4:5]
	s_clause 0x1
	global_load_b32 v65, v[70:71], off
	global_load_b32 v68, v[4:5], off offset:96
	s_wait_loadcnt 0x1
	global_store_b32 v[4:5], v65, off offset:96
	s_wait_loadcnt 0x0
	global_store_b32 v[70:71], v68, off
.LBB54_518:
	s_wait_xcnt 0x0
	s_or_b32 exec_lo, exec_lo, s12
	v_dual_mov_b32 v70, v64 :: v_dual_mov_b32 v68, v64
.LBB54_519:
	s_or_b32 exec_lo, exec_lo, s1
.LBB54_520:
	s_and_not1_saveexec_b32 s0, s0
	s_cbranch_execz .LBB54_522
; %bb.521:
	v_mov_b32_e32 v70, 24
	ds_store_2addr_b64 v66, v[18:19], v[16:17] offset0:25 offset1:26
	ds_store_b64 v66, v[60:61] offset:216
.LBB54_522:
	s_or_b32 exec_lo, exec_lo, s0
	s_delay_alu instid0(SALU_CYCLE_1)
	s_mov_b32 s0, exec_lo
	s_wait_storecnt_dscnt 0x0
	s_barrier_signal -1
	s_barrier_wait -1
	v_cmpx_lt_i32_e32 24, v70
	s_cbranch_execz .LBB54_524
; %bb.523:
	ds_load_2addr_b64 v[72:75], v66 offset0:25 offset1:26
	ds_load_b64 v[64:65], v66 offset:216
	v_pk_mul_f32 v[76:77], v[62:63], v[20:21] op_sel:[1,1] op_sel_hi:[0,1]
	s_delay_alu instid0(VALU_DEP_1) | instskip(SKIP_2) | instid1(VALU_DEP_2)
	v_pk_fma_f32 v[78:79], v[62:63], v[20:21], v[76:77] op_sel_hi:[1,0,1]
	v_pk_fma_f32 v[20:21], v[62:63], v[20:21], v[76:77] op_sel_hi:[1,0,1] neg_lo:[0,0,1] neg_hi:[0,0,1]
	s_wait_dscnt 0x1
	v_pk_mul_f32 v[62:63], v[72:73], v[78:79] op_sel:[0,1]
	v_pk_mul_f32 v[76:77], v[74:75], v[78:79] op_sel:[0,1]
	s_wait_dscnt 0x0
	v_pk_mul_f32 v[80:81], v[64:65], v[78:79] op_sel:[1,1] op_sel_hi:[0,1]
	s_delay_alu instid0(VALU_DEP_3) | instskip(SKIP_2) | instid1(VALU_DEP_4)
	v_pk_fma_f32 v[82:83], v[72:73], v[20:21], v[62:63] op_sel:[0,0,1] op_sel_hi:[1,1,0] neg_lo:[0,0,1] neg_hi:[0,0,1]
	v_pk_fma_f32 v[62:63], v[72:73], v[20:21], v[62:63] op_sel:[0,0,1] op_sel_hi:[1,0,0]
	v_pk_fma_f32 v[72:73], v[74:75], v[20:21], v[76:77] op_sel:[0,0,1] op_sel_hi:[1,0,0]
	v_pk_fma_f32 v[84:85], v[64:65], v[20:21], v[80:81] op_sel_hi:[1,0,1]
	v_pk_fma_f32 v[74:75], v[74:75], v[20:21], v[76:77] op_sel:[0,0,1] op_sel_hi:[1,1,0] neg_lo:[0,0,1] neg_hi:[0,0,1]
	v_pk_fma_f32 v[64:65], v[64:65], v[20:21], v[80:81] neg_lo:[0,0,1] neg_hi:[0,0,1]
	s_delay_alu instid0(VALU_DEP_4) | instskip(NEXT) | instid1(VALU_DEP_4)
	v_dual_mov_b32 v83, v63 :: v_dual_mov_b32 v75, v73
	v_dual_mov_b32 v65, v85 :: v_dual_mov_b32 v21, v79
	s_delay_alu instid0(VALU_DEP_2) | instskip(NEXT) | instid1(VALU_DEP_3)
	v_pk_add_f32 v[18:19], v[18:19], v[82:83] neg_lo:[0,1] neg_hi:[0,1]
	v_pk_add_f32 v[16:17], v[16:17], v[74:75] neg_lo:[0,1] neg_hi:[0,1]
	s_delay_alu instid0(VALU_DEP_3)
	v_pk_add_f32 v[60:61], v[60:61], v[64:65] neg_lo:[0,1] neg_hi:[0,1]
.LBB54_524:
	s_or_b32 exec_lo, exec_lo, s0
	v_lshl_add_u32 v62, v70, 3, v66
	s_barrier_signal -1
	s_barrier_wait -1
	ds_store_b64 v62, v[18:19]
	s_wait_dscnt 0x0
	s_barrier_signal -1
	s_barrier_wait -1
	ds_load_b64 v[62:63], v66 offset:200
	v_mov_b32_e32 v64, 25
	s_cmp_lt_i32 s18, 27
	s_cbranch_scc1 .LBB54_527
; %bb.525:
	v_add3_u32 v65, v67, 0, 0xd0
	v_mov_b32_e32 v64, 25
	s_mov_b32 s0, 26
.LBB54_526:                             ; =>This Inner Loop Header: Depth=1
	ds_load_b64 v[72:73], v65
	s_wait_dscnt 0x1
	v_cmp_gt_f32_e32 vcc_lo, 0, v62
	v_cndmask_b32_e64 v74, v62, -v62, vcc_lo
	v_cmp_gt_f32_e32 vcc_lo, 0, v63
	v_cndmask_b32_e64 v76, v63, -v63, vcc_lo
	s_wait_dscnt 0x0
	v_cmp_gt_f32_e32 vcc_lo, 0, v72
	v_cndmask_b32_e64 v75, v72, -v72, vcc_lo
	v_cmp_gt_f32_e32 vcc_lo, 0, v73
	v_cndmask_b32_e64 v77, v73, -v73, vcc_lo
	s_delay_alu instid0(VALU_DEP_1) | instskip(NEXT) | instid1(VALU_DEP_1)
	v_pk_add_f32 v[74:75], v[74:75], v[76:77]
	v_cmp_lt_f32_e32 vcc_lo, v74, v75
	v_dual_cndmask_b32 v62, v62, v72 :: v_dual_add_nc_u32 v65, 8, v65
	v_cndmask_b32_e32 v63, v63, v73, vcc_lo
	v_cndmask_b32_e64 v64, v64, s0, vcc_lo
	s_add_co_i32 s0, s0, 1
	s_delay_alu instid0(SALU_CYCLE_1)
	s_cmp_lg_u32 s18, s0
	s_cbranch_scc1 .LBB54_526
.LBB54_527:
	s_wait_dscnt 0x0
	v_cmp_eq_f32_e32 vcc_lo, 0, v62
	v_cmp_eq_f32_e64 s0, 0, v63
	s_and_b32 s0, vcc_lo, s0
	s_delay_alu instid0(SALU_CYCLE_1) | instskip(NEXT) | instid1(SALU_CYCLE_1)
	s_and_saveexec_b32 s1, s0
	s_xor_b32 s0, exec_lo, s1
; %bb.528:
	v_cmp_ne_u32_e32 vcc_lo, 0, v69
	v_cndmask_b32_e32 v69, 26, v69, vcc_lo
; %bb.529:
	s_and_not1_saveexec_b32 s0, s0
	s_cbranch_execz .LBB54_535
; %bb.530:
	v_cmp_ngt_f32_e64 s1, |v62|, |v63|
	s_and_saveexec_b32 s12, s1
	s_delay_alu instid0(SALU_CYCLE_1)
	s_xor_b32 s1, exec_lo, s12
	s_cbranch_execz .LBB54_532
; %bb.531:
	v_div_scale_f32 v65, null, v63, v63, v62
	v_div_scale_f32 v73, vcc_lo, v62, v63, v62
	s_delay_alu instid0(VALU_DEP_2) | instskip(SKIP_1) | instid1(TRANS32_DEP_1)
	v_rcp_f32_e32 v71, v65
	v_nop
	v_fma_f32 v72, -v65, v71, 1.0
	s_delay_alu instid0(VALU_DEP_1) | instskip(NEXT) | instid1(VALU_DEP_1)
	v_fmac_f32_e32 v71, v72, v71
	v_mul_f32_e32 v72, v73, v71
	s_delay_alu instid0(VALU_DEP_1) | instskip(NEXT) | instid1(VALU_DEP_1)
	v_fma_f32 v74, -v65, v72, v73
	v_fmac_f32_e32 v72, v74, v71
	s_delay_alu instid0(VALU_DEP_1) | instskip(NEXT) | instid1(VALU_DEP_1)
	v_fma_f32 v65, -v65, v72, v73
	v_div_fmas_f32 v65, v65, v71, v72
	s_delay_alu instid0(VALU_DEP_1) | instskip(NEXT) | instid1(VALU_DEP_1)
	v_div_fixup_f32 v65, v65, v63, v62
	v_fmac_f32_e32 v63, v62, v65
	s_delay_alu instid0(VALU_DEP_1) | instskip(SKIP_1) | instid1(VALU_DEP_2)
	v_div_scale_f32 v62, null, v63, v63, 1.0
	v_div_scale_f32 v73, vcc_lo, 1.0, v63, 1.0
	v_rcp_f32_e32 v71, v62
	v_nop
	s_delay_alu instid0(TRANS32_DEP_1) | instskip(NEXT) | instid1(VALU_DEP_1)
	v_fma_f32 v72, -v62, v71, 1.0
	v_fmac_f32_e32 v71, v72, v71
	s_delay_alu instid0(VALU_DEP_1) | instskip(NEXT) | instid1(VALU_DEP_1)
	v_mul_f32_e32 v72, v73, v71
	v_fma_f32 v74, -v62, v72, v73
	s_delay_alu instid0(VALU_DEP_1) | instskip(NEXT) | instid1(VALU_DEP_1)
	v_fmac_f32_e32 v72, v74, v71
	v_fma_f32 v62, -v62, v72, v73
	s_delay_alu instid0(VALU_DEP_1) | instskip(NEXT) | instid1(VALU_DEP_1)
	v_div_fmas_f32 v62, v62, v71, v72
	v_div_fixup_f32 v63, v62, v63, 1.0
	s_delay_alu instid0(VALU_DEP_1)
	v_mul_f32_e32 v62, v65, v63
	v_xor_b32_e32 v63, 0x80000000, v63
.LBB54_532:
	s_and_not1_saveexec_b32 s1, s1
	s_cbranch_execz .LBB54_534
; %bb.533:
	s_delay_alu instid0(VALU_DEP_1) | instskip(SKIP_1) | instid1(VALU_DEP_2)
	v_div_scale_f32 v65, null, v62, v62, v63
	v_div_scale_f32 v73, vcc_lo, v63, v62, v63
	v_rcp_f32_e32 v71, v65
	v_nop
	s_delay_alu instid0(TRANS32_DEP_1) | instskip(NEXT) | instid1(VALU_DEP_1)
	v_fma_f32 v72, -v65, v71, 1.0
	v_fmac_f32_e32 v71, v72, v71
	s_delay_alu instid0(VALU_DEP_1) | instskip(NEXT) | instid1(VALU_DEP_1)
	v_mul_f32_e32 v72, v73, v71
	v_fma_f32 v74, -v65, v72, v73
	s_delay_alu instid0(VALU_DEP_1) | instskip(NEXT) | instid1(VALU_DEP_1)
	v_fmac_f32_e32 v72, v74, v71
	v_fma_f32 v65, -v65, v72, v73
	s_delay_alu instid0(VALU_DEP_1) | instskip(NEXT) | instid1(VALU_DEP_1)
	v_div_fmas_f32 v65, v65, v71, v72
	v_div_fixup_f32 v65, v65, v62, v63
	s_delay_alu instid0(VALU_DEP_1) | instskip(NEXT) | instid1(VALU_DEP_1)
	v_fmac_f32_e32 v62, v63, v65
	v_div_scale_f32 v63, null, v62, v62, 1.0
	s_delay_alu instid0(VALU_DEP_1) | instskip(SKIP_1) | instid1(TRANS32_DEP_1)
	v_rcp_f32_e32 v71, v63
	v_nop
	v_fma_f32 v72, -v63, v71, 1.0
	s_delay_alu instid0(VALU_DEP_1) | instskip(SKIP_1) | instid1(VALU_DEP_1)
	v_fmac_f32_e32 v71, v72, v71
	v_div_scale_f32 v72, vcc_lo, 1.0, v62, 1.0
	v_mul_f32_e32 v73, v72, v71
	s_delay_alu instid0(VALU_DEP_1) | instskip(NEXT) | instid1(VALU_DEP_1)
	v_fma_f32 v74, -v63, v73, v72
	v_fmac_f32_e32 v73, v74, v71
	s_delay_alu instid0(VALU_DEP_1) | instskip(NEXT) | instid1(VALU_DEP_1)
	v_fma_f32 v63, -v63, v73, v72
	v_div_fmas_f32 v63, v63, v71, v73
	s_delay_alu instid0(VALU_DEP_1) | instskip(NEXT) | instid1(VALU_DEP_1)
	v_div_fixup_f32 v62, v63, v62, 1.0
	v_mul_f32_e64 v63, v65, -v62
.LBB54_534:
	s_or_b32 exec_lo, exec_lo, s1
.LBB54_535:
	s_delay_alu instid0(SALU_CYCLE_1) | instskip(NEXT) | instid1(SALU_CYCLE_1)
	s_or_b32 exec_lo, exec_lo, s0
	s_mov_b32 s0, exec_lo
	v_cmpx_ne_u32_e64 v70, v64
	s_xor_b32 s0, exec_lo, s0
	s_cbranch_execz .LBB54_541
; %bb.536:
	s_mov_b32 s1, exec_lo
	v_cmpx_eq_u32_e32 25, v70
	s_cbranch_execz .LBB54_540
; %bb.537:
	v_cmp_ne_u32_e32 vcc_lo, 25, v64
	s_xor_b32 s12, s16, -1
	s_delay_alu instid0(SALU_CYCLE_1) | instskip(NEXT) | instid1(SALU_CYCLE_1)
	s_and_b32 s13, s12, vcc_lo
	s_and_saveexec_b32 s12, s13
	s_cbranch_execz .LBB54_539
; %bb.538:
	v_ashrrev_i32_e32 v65, 31, v64
	s_delay_alu instid0(VALU_DEP_1)
	v_lshl_add_u64 v[70:71], v[64:65], 2, v[4:5]
	s_clause 0x1
	global_load_b32 v65, v[70:71], off
	global_load_b32 v68, v[4:5], off offset:100
	s_wait_loadcnt 0x1
	global_store_b32 v[4:5], v65, off offset:100
	s_wait_loadcnt 0x0
	global_store_b32 v[70:71], v68, off
.LBB54_539:
	s_wait_xcnt 0x0
	s_or_b32 exec_lo, exec_lo, s12
	v_dual_mov_b32 v70, v64 :: v_dual_mov_b32 v68, v64
.LBB54_540:
	s_or_b32 exec_lo, exec_lo, s1
.LBB54_541:
	s_and_not1_saveexec_b32 s0, s0
; %bb.542:
	v_dual_mov_b32 v64, v16 :: v_dual_mov_b32 v65, v17
	v_mov_b32_e32 v70, 25
	ds_store_2addr_b64 v66, v[64:65], v[60:61] offset0:26 offset1:27
; %bb.543:
	s_or_b32 exec_lo, exec_lo, s0
	s_delay_alu instid0(SALU_CYCLE_1)
	s_mov_b32 s0, exec_lo
	s_wait_storecnt_dscnt 0x0
	s_barrier_signal -1
	s_barrier_wait -1
	v_cmpx_lt_i32_e32 25, v70
	s_cbranch_execz .LBB54_545
; %bb.544:
	ds_load_2addr_b64 v[72:75], v66 offset0:26 offset1:27
	v_pk_mul_f32 v[64:65], v[62:63], v[18:19] op_sel:[1,1] op_sel_hi:[0,1]
	s_delay_alu instid0(VALU_DEP_1) | instskip(SKIP_3) | instid1(VALU_DEP_3)
	v_pk_fma_f32 v[76:77], v[62:63], v[18:19], v[64:65] op_sel_hi:[1,0,1]
	v_pk_fma_f32 v[18:19], v[62:63], v[18:19], v[64:65] op_sel_hi:[1,0,1] neg_lo:[0,0,1] neg_hi:[0,0,1]
	s_wait_dscnt 0x0
	v_dual_mov_b32 v78, v75 :: v_dual_mov_b32 v79, v74
	v_pk_mul_f32 v[62:63], v[72:73], v[76:77] op_sel:[0,1]
	s_delay_alu instid0(VALU_DEP_2) | instskip(NEXT) | instid1(VALU_DEP_2)
	v_pk_mul_f32 v[64:65], v[78:79], v[76:77] op_sel:[0,1]
	v_pk_fma_f32 v[78:79], v[72:73], v[18:19], v[62:63] op_sel:[0,0,1] op_sel_hi:[1,0,0]
	v_pk_fma_f32 v[62:63], v[72:73], v[18:19], v[62:63] op_sel:[0,0,1] op_sel_hi:[1,1,0] neg_lo:[0,0,1] neg_hi:[0,0,1]
	s_delay_alu instid0(VALU_DEP_3) | instskip(SKIP_1) | instid1(VALU_DEP_4)
	v_pk_fma_f32 v[80:81], v[74:75], v[18:19], v[64:65] op_sel_hi:[1,0,1]
	v_pk_fma_f32 v[64:65], v[74:75], v[18:19], v[64:65] neg_lo:[0,0,1] neg_hi:[0,0,1]
	v_dual_mov_b32 v63, v79 :: v_dual_mov_b32 v19, v77
	s_delay_alu instid0(VALU_DEP_3) | instskip(NEXT) | instid1(VALU_DEP_2)
	v_mov_b32_e32 v65, v81
	v_pk_add_f32 v[16:17], v[16:17], v[62:63] neg_lo:[0,1] neg_hi:[0,1]
	s_delay_alu instid0(VALU_DEP_2)
	v_pk_add_f32 v[60:61], v[60:61], v[64:65] neg_lo:[0,1] neg_hi:[0,1]
.LBB54_545:
	s_or_b32 exec_lo, exec_lo, s0
	v_lshl_add_u32 v62, v70, 3, v66
	s_barrier_signal -1
	s_barrier_wait -1
	ds_store_b64 v62, v[16:17]
	s_wait_dscnt 0x0
	s_barrier_signal -1
	s_barrier_wait -1
	ds_load_b64 v[62:63], v66 offset:208
	v_mov_b32_e32 v64, 26
	s_cmp_lt_i32 s18, 28
	s_cbranch_scc1 .LBB54_548
; %bb.546:
	v_add3_u32 v65, v67, 0, 0xd8
	v_mov_b32_e32 v64, 26
	s_mov_b32 s0, 27
.LBB54_547:                             ; =>This Inner Loop Header: Depth=1
	ds_load_b64 v[72:73], v65
	s_wait_dscnt 0x1
	v_cmp_gt_f32_e32 vcc_lo, 0, v62
	v_cndmask_b32_e64 v74, v62, -v62, vcc_lo
	v_cmp_gt_f32_e32 vcc_lo, 0, v63
	v_cndmask_b32_e64 v76, v63, -v63, vcc_lo
	s_wait_dscnt 0x0
	v_cmp_gt_f32_e32 vcc_lo, 0, v72
	v_cndmask_b32_e64 v75, v72, -v72, vcc_lo
	v_cmp_gt_f32_e32 vcc_lo, 0, v73
	v_cndmask_b32_e64 v77, v73, -v73, vcc_lo
	s_delay_alu instid0(VALU_DEP_1) | instskip(NEXT) | instid1(VALU_DEP_1)
	v_pk_add_f32 v[74:75], v[74:75], v[76:77]
	v_cmp_lt_f32_e32 vcc_lo, v74, v75
	v_dual_cndmask_b32 v62, v62, v72 :: v_dual_add_nc_u32 v65, 8, v65
	v_cndmask_b32_e32 v63, v63, v73, vcc_lo
	v_cndmask_b32_e64 v64, v64, s0, vcc_lo
	s_add_co_i32 s0, s0, 1
	s_delay_alu instid0(SALU_CYCLE_1)
	s_cmp_lg_u32 s18, s0
	s_cbranch_scc1 .LBB54_547
.LBB54_548:
	s_wait_dscnt 0x0
	v_cmp_eq_f32_e32 vcc_lo, 0, v62
	v_cmp_eq_f32_e64 s0, 0, v63
	s_and_b32 s0, vcc_lo, s0
	s_delay_alu instid0(SALU_CYCLE_1) | instskip(NEXT) | instid1(SALU_CYCLE_1)
	s_and_saveexec_b32 s1, s0
	s_xor_b32 s0, exec_lo, s1
; %bb.549:
	v_cmp_ne_u32_e32 vcc_lo, 0, v69
	v_cndmask_b32_e32 v69, 27, v69, vcc_lo
; %bb.550:
	s_and_not1_saveexec_b32 s0, s0
	s_cbranch_execz .LBB54_556
; %bb.551:
	v_cmp_ngt_f32_e64 s1, |v62|, |v63|
	s_and_saveexec_b32 s12, s1
	s_delay_alu instid0(SALU_CYCLE_1)
	s_xor_b32 s1, exec_lo, s12
	s_cbranch_execz .LBB54_553
; %bb.552:
	v_div_scale_f32 v65, null, v63, v63, v62
	v_div_scale_f32 v73, vcc_lo, v62, v63, v62
	s_delay_alu instid0(VALU_DEP_2) | instskip(SKIP_1) | instid1(TRANS32_DEP_1)
	v_rcp_f32_e32 v71, v65
	v_nop
	v_fma_f32 v72, -v65, v71, 1.0
	s_delay_alu instid0(VALU_DEP_1) | instskip(NEXT) | instid1(VALU_DEP_1)
	v_fmac_f32_e32 v71, v72, v71
	v_mul_f32_e32 v72, v73, v71
	s_delay_alu instid0(VALU_DEP_1) | instskip(NEXT) | instid1(VALU_DEP_1)
	v_fma_f32 v74, -v65, v72, v73
	v_fmac_f32_e32 v72, v74, v71
	s_delay_alu instid0(VALU_DEP_1) | instskip(NEXT) | instid1(VALU_DEP_1)
	v_fma_f32 v65, -v65, v72, v73
	v_div_fmas_f32 v65, v65, v71, v72
	s_delay_alu instid0(VALU_DEP_1) | instskip(NEXT) | instid1(VALU_DEP_1)
	v_div_fixup_f32 v65, v65, v63, v62
	v_fmac_f32_e32 v63, v62, v65
	s_delay_alu instid0(VALU_DEP_1) | instskip(SKIP_1) | instid1(VALU_DEP_2)
	v_div_scale_f32 v62, null, v63, v63, 1.0
	v_div_scale_f32 v73, vcc_lo, 1.0, v63, 1.0
	v_rcp_f32_e32 v71, v62
	v_nop
	s_delay_alu instid0(TRANS32_DEP_1) | instskip(NEXT) | instid1(VALU_DEP_1)
	v_fma_f32 v72, -v62, v71, 1.0
	v_fmac_f32_e32 v71, v72, v71
	s_delay_alu instid0(VALU_DEP_1) | instskip(NEXT) | instid1(VALU_DEP_1)
	v_mul_f32_e32 v72, v73, v71
	v_fma_f32 v74, -v62, v72, v73
	s_delay_alu instid0(VALU_DEP_1) | instskip(NEXT) | instid1(VALU_DEP_1)
	v_fmac_f32_e32 v72, v74, v71
	v_fma_f32 v62, -v62, v72, v73
	s_delay_alu instid0(VALU_DEP_1) | instskip(NEXT) | instid1(VALU_DEP_1)
	v_div_fmas_f32 v62, v62, v71, v72
	v_div_fixup_f32 v63, v62, v63, 1.0
	s_delay_alu instid0(VALU_DEP_1)
	v_mul_f32_e32 v62, v65, v63
	v_xor_b32_e32 v63, 0x80000000, v63
.LBB54_553:
	s_and_not1_saveexec_b32 s1, s1
	s_cbranch_execz .LBB54_555
; %bb.554:
	s_delay_alu instid0(VALU_DEP_1) | instskip(SKIP_1) | instid1(VALU_DEP_2)
	v_div_scale_f32 v65, null, v62, v62, v63
	v_div_scale_f32 v73, vcc_lo, v63, v62, v63
	v_rcp_f32_e32 v71, v65
	v_nop
	s_delay_alu instid0(TRANS32_DEP_1) | instskip(NEXT) | instid1(VALU_DEP_1)
	v_fma_f32 v72, -v65, v71, 1.0
	v_fmac_f32_e32 v71, v72, v71
	s_delay_alu instid0(VALU_DEP_1) | instskip(NEXT) | instid1(VALU_DEP_1)
	v_mul_f32_e32 v72, v73, v71
	v_fma_f32 v74, -v65, v72, v73
	s_delay_alu instid0(VALU_DEP_1) | instskip(NEXT) | instid1(VALU_DEP_1)
	v_fmac_f32_e32 v72, v74, v71
	v_fma_f32 v65, -v65, v72, v73
	s_delay_alu instid0(VALU_DEP_1) | instskip(NEXT) | instid1(VALU_DEP_1)
	v_div_fmas_f32 v65, v65, v71, v72
	v_div_fixup_f32 v65, v65, v62, v63
	s_delay_alu instid0(VALU_DEP_1) | instskip(NEXT) | instid1(VALU_DEP_1)
	v_fmac_f32_e32 v62, v63, v65
	v_div_scale_f32 v63, null, v62, v62, 1.0
	s_delay_alu instid0(VALU_DEP_1) | instskip(SKIP_1) | instid1(TRANS32_DEP_1)
	v_rcp_f32_e32 v71, v63
	v_nop
	v_fma_f32 v72, -v63, v71, 1.0
	s_delay_alu instid0(VALU_DEP_1) | instskip(SKIP_1) | instid1(VALU_DEP_1)
	v_fmac_f32_e32 v71, v72, v71
	v_div_scale_f32 v72, vcc_lo, 1.0, v62, 1.0
	v_mul_f32_e32 v73, v72, v71
	s_delay_alu instid0(VALU_DEP_1) | instskip(NEXT) | instid1(VALU_DEP_1)
	v_fma_f32 v74, -v63, v73, v72
	v_fmac_f32_e32 v73, v74, v71
	s_delay_alu instid0(VALU_DEP_1) | instskip(NEXT) | instid1(VALU_DEP_1)
	v_fma_f32 v63, -v63, v73, v72
	v_div_fmas_f32 v63, v63, v71, v73
	s_delay_alu instid0(VALU_DEP_1) | instskip(NEXT) | instid1(VALU_DEP_1)
	v_div_fixup_f32 v62, v63, v62, 1.0
	v_mul_f32_e64 v63, v65, -v62
.LBB54_555:
	s_or_b32 exec_lo, exec_lo, s1
.LBB54_556:
	s_delay_alu instid0(SALU_CYCLE_1) | instskip(NEXT) | instid1(SALU_CYCLE_1)
	s_or_b32 exec_lo, exec_lo, s0
	s_mov_b32 s0, exec_lo
	v_cmpx_ne_u32_e64 v70, v64
	s_xor_b32 s0, exec_lo, s0
	s_cbranch_execz .LBB54_562
; %bb.557:
	s_mov_b32 s1, exec_lo
	v_cmpx_eq_u32_e32 26, v70
	s_cbranch_execz .LBB54_561
; %bb.558:
	v_cmp_ne_u32_e32 vcc_lo, 26, v64
	s_xor_b32 s12, s16, -1
	s_delay_alu instid0(SALU_CYCLE_1) | instskip(NEXT) | instid1(SALU_CYCLE_1)
	s_and_b32 s13, s12, vcc_lo
	s_and_saveexec_b32 s12, s13
	s_cbranch_execz .LBB54_560
; %bb.559:
	v_ashrrev_i32_e32 v65, 31, v64
	s_delay_alu instid0(VALU_DEP_1)
	v_lshl_add_u64 v[70:71], v[64:65], 2, v[4:5]
	s_clause 0x1
	global_load_b32 v65, v[70:71], off
	global_load_b32 v68, v[4:5], off offset:104
	s_wait_loadcnt 0x1
	global_store_b32 v[4:5], v65, off offset:104
	s_wait_loadcnt 0x0
	global_store_b32 v[70:71], v68, off
.LBB54_560:
	s_wait_xcnt 0x0
	s_or_b32 exec_lo, exec_lo, s12
	v_dual_mov_b32 v70, v64 :: v_dual_mov_b32 v68, v64
.LBB54_561:
	s_or_b32 exec_lo, exec_lo, s1
.LBB54_562:
	s_and_not1_saveexec_b32 s0, s0
; %bb.563:
	v_mov_b32_e32 v70, 26
	ds_store_b64 v66, v[60:61] offset:216
; %bb.564:
	s_or_b32 exec_lo, exec_lo, s0
	s_delay_alu instid0(SALU_CYCLE_1)
	s_mov_b32 s0, exec_lo
	s_wait_storecnt_dscnt 0x0
	s_barrier_signal -1
	s_barrier_wait -1
	v_cmpx_lt_i32_e32 26, v70
	s_cbranch_execz .LBB54_566
; %bb.565:
	ds_load_b64 v[64:65], v66 offset:216
	v_pk_mul_f32 v[72:73], v[62:63], v[16:17] op_sel:[1,1] op_sel_hi:[0,1]
	s_delay_alu instid0(VALU_DEP_1) | instskip(SKIP_2) | instid1(VALU_DEP_2)
	v_pk_fma_f32 v[74:75], v[62:63], v[16:17], v[72:73] op_sel_hi:[1,0,1]
	v_pk_fma_f32 v[16:17], v[62:63], v[16:17], v[72:73] op_sel_hi:[1,0,1] neg_lo:[0,0,1] neg_hi:[0,0,1]
	s_wait_dscnt 0x0
	v_pk_mul_f32 v[62:63], v[64:65], v[74:75] op_sel:[1,1] op_sel_hi:[0,1]
	s_delay_alu instid0(VALU_DEP_1) | instskip(SKIP_1) | instid1(VALU_DEP_2)
	v_pk_fma_f32 v[72:73], v[64:65], v[16:17], v[62:63] op_sel_hi:[1,0,1]
	v_pk_fma_f32 v[62:63], v[64:65], v[16:17], v[62:63] neg_lo:[0,0,1] neg_hi:[0,0,1]
	v_dual_mov_b32 v17, v75 :: v_dual_mov_b32 v63, v73
	s_delay_alu instid0(VALU_DEP_1)
	v_pk_add_f32 v[60:61], v[60:61], v[62:63] neg_lo:[0,1] neg_hi:[0,1]
.LBB54_566:
	s_or_b32 exec_lo, exec_lo, s0
	v_lshl_add_u32 v62, v70, 3, v66
	s_barrier_signal -1
	s_barrier_wait -1
	ds_store_b64 v62, v[60:61]
	s_wait_dscnt 0x0
	s_barrier_signal -1
	s_barrier_wait -1
	ds_load_b64 v[62:63], v66 offset:216
	v_mov_b32_e32 v64, 27
	s_cmp_lt_i32 s18, 29
	s_cbranch_scc1 .LBB54_569
; %bb.567:
	v_add3_u32 v65, v67, 0, 0xe0
	v_mov_b32_e32 v64, 27
	s_mov_b32 s0, 28
.LBB54_568:                             ; =>This Inner Loop Header: Depth=1
	ds_load_b64 v[66:67], v65
	s_wait_dscnt 0x1
	v_cmp_gt_f32_e32 vcc_lo, 0, v62
	v_cndmask_b32_e64 v72, v62, -v62, vcc_lo
	v_cmp_gt_f32_e32 vcc_lo, 0, v63
	v_cndmask_b32_e64 v74, v63, -v63, vcc_lo
	s_wait_dscnt 0x0
	v_cmp_gt_f32_e32 vcc_lo, 0, v66
	v_cndmask_b32_e64 v73, v66, -v66, vcc_lo
	v_cmp_gt_f32_e32 vcc_lo, 0, v67
	v_cndmask_b32_e64 v75, v67, -v67, vcc_lo
	s_delay_alu instid0(VALU_DEP_1) | instskip(NEXT) | instid1(VALU_DEP_1)
	v_pk_add_f32 v[72:73], v[72:73], v[74:75]
	v_cmp_lt_f32_e32 vcc_lo, v72, v73
	v_dual_add_nc_u32 v65, 8, v65 :: v_dual_cndmask_b32 v63, v63, v67, vcc_lo
	v_cndmask_b32_e32 v62, v62, v66, vcc_lo
	v_cndmask_b32_e64 v64, v64, s0, vcc_lo
	s_add_co_i32 s0, s0, 1
	s_delay_alu instid0(SALU_CYCLE_1)
	s_cmp_lg_u32 s18, s0
	s_cbranch_scc1 .LBB54_568
.LBB54_569:
	s_wait_dscnt 0x0
	v_cmp_eq_f32_e32 vcc_lo, 0, v62
	v_cmp_eq_f32_e64 s0, 0, v63
	s_and_b32 s0, vcc_lo, s0
	s_delay_alu instid0(SALU_CYCLE_1) | instskip(NEXT) | instid1(SALU_CYCLE_1)
	s_and_saveexec_b32 s1, s0
	s_xor_b32 s0, exec_lo, s1
; %bb.570:
	v_cmp_ne_u32_e32 vcc_lo, 0, v69
	v_cndmask_b32_e32 v69, 28, v69, vcc_lo
; %bb.571:
	s_and_not1_saveexec_b32 s0, s0
	s_cbranch_execz .LBB54_577
; %bb.572:
	v_cmp_ngt_f32_e64 s1, |v62|, |v63|
	s_and_saveexec_b32 s12, s1
	s_delay_alu instid0(SALU_CYCLE_1)
	s_xor_b32 s1, exec_lo, s12
	s_cbranch_execz .LBB54_574
; %bb.573:
	v_div_scale_f32 v65, null, v63, v63, v62
	v_div_scale_f32 v71, vcc_lo, v62, v63, v62
	s_delay_alu instid0(VALU_DEP_2) | instskip(SKIP_1) | instid1(TRANS32_DEP_1)
	v_rcp_f32_e32 v66, v65
	v_nop
	v_fma_f32 v67, -v65, v66, 1.0
	s_delay_alu instid0(VALU_DEP_1) | instskip(NEXT) | instid1(VALU_DEP_1)
	v_fmac_f32_e32 v66, v67, v66
	v_mul_f32_e32 v67, v71, v66
	s_delay_alu instid0(VALU_DEP_1) | instskip(NEXT) | instid1(VALU_DEP_1)
	v_fma_f32 v72, -v65, v67, v71
	v_fmac_f32_e32 v67, v72, v66
	s_delay_alu instid0(VALU_DEP_1) | instskip(NEXT) | instid1(VALU_DEP_1)
	v_fma_f32 v65, -v65, v67, v71
	v_div_fmas_f32 v65, v65, v66, v67
	s_delay_alu instid0(VALU_DEP_1) | instskip(NEXT) | instid1(VALU_DEP_1)
	v_div_fixup_f32 v65, v65, v63, v62
	v_fmac_f32_e32 v63, v62, v65
	s_delay_alu instid0(VALU_DEP_1) | instskip(SKIP_1) | instid1(VALU_DEP_2)
	v_div_scale_f32 v62, null, v63, v63, 1.0
	v_div_scale_f32 v71, vcc_lo, 1.0, v63, 1.0
	v_rcp_f32_e32 v66, v62
	v_nop
	s_delay_alu instid0(TRANS32_DEP_1) | instskip(NEXT) | instid1(VALU_DEP_1)
	v_fma_f32 v67, -v62, v66, 1.0
	v_fmac_f32_e32 v66, v67, v66
	s_delay_alu instid0(VALU_DEP_1) | instskip(NEXT) | instid1(VALU_DEP_1)
	v_mul_f32_e32 v67, v71, v66
	v_fma_f32 v72, -v62, v67, v71
	s_delay_alu instid0(VALU_DEP_1) | instskip(NEXT) | instid1(VALU_DEP_1)
	v_fmac_f32_e32 v67, v72, v66
	v_fma_f32 v62, -v62, v67, v71
	s_delay_alu instid0(VALU_DEP_1) | instskip(NEXT) | instid1(VALU_DEP_1)
	v_div_fmas_f32 v62, v62, v66, v67
	v_div_fixup_f32 v63, v62, v63, 1.0
	s_delay_alu instid0(VALU_DEP_1)
	v_mul_f32_e32 v62, v65, v63
	v_xor_b32_e32 v63, 0x80000000, v63
.LBB54_574:
	s_and_not1_saveexec_b32 s1, s1
	s_cbranch_execz .LBB54_576
; %bb.575:
	s_delay_alu instid0(VALU_DEP_1) | instskip(SKIP_1) | instid1(VALU_DEP_2)
	v_div_scale_f32 v65, null, v62, v62, v63
	v_div_scale_f32 v71, vcc_lo, v63, v62, v63
	v_rcp_f32_e32 v66, v65
	v_nop
	s_delay_alu instid0(TRANS32_DEP_1) | instskip(NEXT) | instid1(VALU_DEP_1)
	v_fma_f32 v67, -v65, v66, 1.0
	v_fmac_f32_e32 v66, v67, v66
	s_delay_alu instid0(VALU_DEP_1) | instskip(NEXT) | instid1(VALU_DEP_1)
	v_mul_f32_e32 v67, v71, v66
	v_fma_f32 v72, -v65, v67, v71
	s_delay_alu instid0(VALU_DEP_1) | instskip(NEXT) | instid1(VALU_DEP_1)
	v_fmac_f32_e32 v67, v72, v66
	v_fma_f32 v65, -v65, v67, v71
	s_delay_alu instid0(VALU_DEP_1) | instskip(NEXT) | instid1(VALU_DEP_1)
	v_div_fmas_f32 v65, v65, v66, v67
	v_div_fixup_f32 v65, v65, v62, v63
	s_delay_alu instid0(VALU_DEP_1) | instskip(NEXT) | instid1(VALU_DEP_1)
	v_fmac_f32_e32 v62, v63, v65
	v_div_scale_f32 v63, null, v62, v62, 1.0
	s_delay_alu instid0(VALU_DEP_1) | instskip(SKIP_1) | instid1(TRANS32_DEP_1)
	v_rcp_f32_e32 v66, v63
	v_nop
	v_fma_f32 v67, -v63, v66, 1.0
	s_delay_alu instid0(VALU_DEP_1) | instskip(SKIP_1) | instid1(VALU_DEP_1)
	v_fmac_f32_e32 v66, v67, v66
	v_div_scale_f32 v67, vcc_lo, 1.0, v62, 1.0
	v_mul_f32_e32 v71, v67, v66
	s_delay_alu instid0(VALU_DEP_1) | instskip(NEXT) | instid1(VALU_DEP_1)
	v_fma_f32 v72, -v63, v71, v67
	v_fmac_f32_e32 v71, v72, v66
	s_delay_alu instid0(VALU_DEP_1) | instskip(NEXT) | instid1(VALU_DEP_1)
	v_fma_f32 v63, -v63, v71, v67
	v_div_fmas_f32 v63, v63, v66, v71
	s_delay_alu instid0(VALU_DEP_1) | instskip(NEXT) | instid1(VALU_DEP_1)
	v_div_fixup_f32 v62, v63, v62, 1.0
	v_mul_f32_e64 v63, v65, -v62
.LBB54_576:
	s_or_b32 exec_lo, exec_lo, s1
.LBB54_577:
	s_delay_alu instid0(SALU_CYCLE_1)
	s_or_b32 exec_lo, exec_lo, s0
	v_mov_b32_e32 v66, 27
	s_mov_b32 s0, exec_lo
	v_cmpx_ne_u32_e64 v70, v64
	s_cbranch_execz .LBB54_583
; %bb.578:
	s_mov_b32 s1, exec_lo
	v_cmpx_eq_u32_e32 27, v70
	s_cbranch_execz .LBB54_582
; %bb.579:
	v_cmp_ne_u32_e32 vcc_lo, 27, v64
	s_xor_b32 s12, s16, -1
	s_delay_alu instid0(SALU_CYCLE_1) | instskip(NEXT) | instid1(SALU_CYCLE_1)
	s_and_b32 s13, s12, vcc_lo
	s_and_saveexec_b32 s12, s13
	s_cbranch_execz .LBB54_581
; %bb.580:
	v_ashrrev_i32_e32 v65, 31, v64
	s_delay_alu instid0(VALU_DEP_1)
	v_lshl_add_u64 v[66:67], v[64:65], 2, v[4:5]
	s_clause 0x1
	global_load_b32 v65, v[66:67], off
	global_load_b32 v68, v[4:5], off offset:108
	s_wait_loadcnt 0x1
	global_store_b32 v[4:5], v65, off offset:108
	s_wait_loadcnt 0x0
	global_store_b32 v[66:67], v68, off
.LBB54_581:
	s_wait_xcnt 0x0
	s_or_b32 exec_lo, exec_lo, s12
	v_dual_mov_b32 v70, v64 :: v_dual_mov_b32 v68, v64
.LBB54_582:
	s_or_b32 exec_lo, exec_lo, s1
	s_delay_alu instid0(VALU_DEP_1)
	v_mov_b32_e32 v66, v70
.LBB54_583:
	s_or_b32 exec_lo, exec_lo, s0
	s_delay_alu instid0(VALU_DEP_1)
	v_ashrrev_i32_e32 v67, 31, v66
	s_mov_b32 s0, exec_lo
	s_wait_storecnt 0x0
	s_barrier_signal -1
	s_barrier_wait -1
	s_barrier_signal -1
	s_barrier_wait -1
	v_cmpx_gt_i32_e32 28, v66
	s_cbranch_execz .LBB54_585
; %bb.584:
	v_mul_u64_e32 v[4:5], s[10:11], v[2:3]
	v_add3_u32 v64, v68, s17, 1
	s_delay_alu instid0(VALU_DEP_2) | instskip(NEXT) | instid1(VALU_DEP_1)
	v_lshl_add_u64 v[4:5], v[4:5], 2, s[6:7]
	v_lshl_add_u64 v[4:5], s[8:9], 2, v[4:5]
	s_delay_alu instid0(VALU_DEP_1)
	v_lshl_add_u64 v[4:5], v[66:67], 2, v[4:5]
	global_store_b32 v[4:5], v64, off
.LBB54_585:
	s_wait_xcnt 0x0
	s_or_b32 exec_lo, exec_lo, s0
	s_delay_alu instid0(SALU_CYCLE_1)
	s_mov_b32 s1, exec_lo
	v_cmpx_eq_u32_e32 0, v66
	s_cbranch_execz .LBB54_588
; %bb.586:
	s_wait_kmcnt 0x0
	v_lshl_add_u64 v[2:3], v[2:3], 2, s[4:5]
	v_cmp_ne_u32_e64 s0, 0, v69
	global_load_b32 v4, v[2:3], off
	s_wait_loadcnt 0x0
	v_cmp_eq_u32_e32 vcc_lo, 0, v4
	s_and_b32 s0, vcc_lo, s0
	s_wait_xcnt 0x0
	s_and_b32 exec_lo, exec_lo, s0
	s_cbranch_execz .LBB54_588
; %bb.587:
	v_add_nc_u32_e32 v4, s17, v69
	global_store_b32 v[2:3], v4, off
.LBB54_588:
	s_wait_xcnt 0x0
	s_or_b32 exec_lo, exec_lo, s1
	v_add3_u32 v2, s2, s2, v66
	v_pk_mul_f32 v[76:77], v[62:63], v[60:61] op_sel:[1,1] op_sel_hi:[0,1]
	v_cmp_lt_i32_e32 vcc_lo, 27, v66
	s_delay_alu instid0(VALU_DEP_3) | instskip(NEXT) | instid1(VALU_DEP_3)
	v_add_nc_u32_e32 v4, s2, v2
	v_pk_fma_f32 v[80:81], v[62:63], v[60:61], v[76:77] neg_lo:[0,0,1] neg_hi:[0,0,1]
	v_pk_fma_f32 v[62:63], v[62:63], v[60:61], v[76:77] op_sel_hi:[1,0,1]
	v_lshl_add_u64 v[76:77], v[66:67], 3, v[0:1]
	s_delay_alu instid0(VALU_DEP_4) | instskip(NEXT) | instid1(VALU_DEP_3)
	v_dual_ashrrev_i32 v3, 31, v2 :: v_dual_add_nc_u32 v64, s2, v4
	v_dual_cndmask_b32 v60, v60, v80 :: v_dual_cndmask_b32 v61, v61, v63
	s_delay_alu instid0(VALU_DEP_3) | instskip(NEXT) | instid1(VALU_DEP_3)
	v_lshl_add_u64 v[66:67], s[2:3], 3, v[76:77]
	v_lshl_add_u64 v[2:3], v[2:3], 3, v[0:1]
	s_delay_alu instid0(VALU_DEP_4)
	v_add_nc_u32_e32 v68, s2, v64
	s_clause 0x2
	global_store_b64 v[76:77], v[56:57], off
	global_store_b64 v[66:67], v[58:59], off
	;; [unrolled: 1-line block ×3, first 2 shown]
	v_ashrrev_i32_e32 v5, 31, v4
	v_add_nc_u32_e32 v70, s2, v68
	s_delay_alu instid0(VALU_DEP_2) | instskip(NEXT) | instid1(VALU_DEP_2)
	v_lshl_add_u64 v[4:5], v[4:5], 3, v[0:1]
	v_add_nc_u32_e32 v72, s2, v70
	s_delay_alu instid0(VALU_DEP_1) | instskip(NEXT) | instid1(VALU_DEP_1)
	v_dual_add_nc_u32 v74, s2, v72 :: v_dual_ashrrev_i32 v73, 31, v72
	v_dual_add_nc_u32 v78, s2, v74 :: v_dual_ashrrev_i32 v65, 31, v64
	v_ashrrev_i32_e32 v71, 31, v70
	s_delay_alu instid0(VALU_DEP_2) | instskip(SKIP_1) | instid1(VALU_DEP_3)
	v_add_nc_u32_e32 v62, s2, v78
	s_wait_xcnt 0x2
	v_lshl_add_u64 v[56:57], v[64:65], 3, v[0:1]
	s_delay_alu instid0(VALU_DEP_3) | instskip(NEXT) | instid1(VALU_DEP_3)
	v_lshl_add_u64 v[64:65], v[70:71], 3, v[0:1]
	v_add_nc_u32_e32 v82, s2, v62
	s_wait_xcnt 0x0
	s_delay_alu instid0(VALU_DEP_1) | instskip(SKIP_1) | instid1(VALU_DEP_2)
	v_dual_add_nc_u32 v2, s2, v82 :: v_dual_ashrrev_i32 v69, 31, v68
	v_ashrrev_i32_e32 v83, 31, v82
	v_add_nc_u32_e32 v54, s2, v2
	s_delay_alu instid0(VALU_DEP_3)
	v_lshl_add_u64 v[58:59], v[68:69], 3, v[0:1]
	s_clause 0x3
	global_store_b64 v[4:5], v[52:53], off
	global_store_b64 v[56:57], v[32:33], off
	;; [unrolled: 1-line block ×4, first 2 shown]
	v_add_nc_u32_e32 v66, s2, v54
	v_ashrrev_i32_e32 v3, 31, v2
	v_ashrrev_i32_e32 v55, 31, v54
	s_wait_xcnt 0x0
	v_lshl_add_u64 v[30:31], v[72:73], 3, v[0:1]
	v_add_nc_u32_e32 v4, s2, v66
	v_ashrrev_i32_e32 v75, 31, v74
	v_ashrrev_i32_e32 v67, 31, v66
	v_lshl_add_u64 v[2:3], v[2:3], 3, v[0:1]
	s_delay_alu instid0(VALU_DEP_4) | instskip(NEXT) | instid1(VALU_DEP_4)
	v_dual_add_nc_u32 v28, s2, v4 :: v_dual_ashrrev_i32 v63, 31, v62
	v_lshl_add_u64 v[32:33], v[74:75], 3, v[0:1]
	s_delay_alu instid0(VALU_DEP_2) | instskip(SKIP_3) | instid1(VALU_DEP_4)
	v_dual_add_nc_u32 v58, s2, v28 :: v_dual_ashrrev_i32 v79, 31, v78
	v_ashrrev_i32_e32 v5, 31, v4
	v_ashrrev_i32_e32 v29, 31, v28
	v_lshl_add_u64 v[56:57], v[62:63], 3, v[0:1]
	v_ashrrev_i32_e32 v59, 31, v58
	v_lshl_add_u64 v[52:53], v[78:79], 3, v[0:1]
	s_clause 0x3
	global_store_b64 v[30:31], v[6:7], off
	global_store_b64 v[32:33], v[38:39], off
	;; [unrolled: 1-line block ×4, first 2 shown]
	s_wait_xcnt 0x3
	v_add_nc_u32_e32 v6, s2, v58
	s_wait_xcnt 0x2
	v_lshl_add_u64 v[32:33], v[82:83], 3, v[0:1]
	s_wait_xcnt 0x1
	v_lshl_add_u64 v[34:35], v[54:55], 3, v[0:1]
	;; [unrolled: 2-line block ×3, first 2 shown]
	s_clause 0x3
	global_store_b64 v[32:33], v[8:9], off
	global_store_b64 v[2:3], v[44:45], off
	;; [unrolled: 1-line block ×4, first 2 shown]
	v_dual_add_nc_u32 v30, s2, v6 :: v_dual_ashrrev_i32 v7, 31, v6
	v_lshl_add_u64 v[4:5], v[4:5], 3, v[0:1]
	v_lshl_add_u64 v[28:29], v[28:29], 3, v[0:1]
	s_wait_xcnt 0x3
	v_lshl_add_u64 v[32:33], v[58:59], 3, v[0:1]
	v_dual_add_nc_u32 v38, s2, v30 :: v_dual_ashrrev_i32 v31, 31, v30
	v_lshl_add_u64 v[6:7], v[6:7], 3, v[0:1]
	s_clause 0x3
	global_store_b64 v[4:5], v[10:11], off
	global_store_b64 v[28:29], v[50:51], off
	;; [unrolled: 1-line block ×4, first 2 shown]
	s_wait_xcnt 0x6
	v_dual_add_nc_u32 v2, s2, v38 :: v_dual_ashrrev_i32 v39, 31, v38
	s_wait_xcnt 0x3
	v_lshl_add_u64 v[10:11], v[30:31], 3, v[0:1]
	s_delay_alu instid0(VALU_DEP_2) | instskip(SKIP_2) | instid1(VALU_DEP_2)
	v_add_nc_u32_e32 v8, s2, v2
	s_wait_xcnt 0x2
	v_lshl_add_u64 v[28:29], v[38:39], 3, v[0:1]
	v_dual_add_nc_u32 v34, s2, v8 :: v_dual_ashrrev_i32 v9, 31, v8
	s_delay_alu instid0(VALU_DEP_1) | instskip(SKIP_1) | instid1(VALU_DEP_3)
	v_dual_add_nc_u32 v4, s2, v34 :: v_dual_ashrrev_i32 v35, 31, v34
	v_ashrrev_i32_e32 v3, 31, v2
	v_lshl_add_u64 v[8:9], v[8:9], 3, v[0:1]
	s_wait_xcnt 0x0
	s_delay_alu instid0(VALU_DEP_3) | instskip(NEXT) | instid1(VALU_DEP_3)
	v_dual_add_nc_u32 v6, s2, v4 :: v_dual_ashrrev_i32 v5, 31, v4
	v_lshl_add_u64 v[2:3], v[2:3], 3, v[0:1]
	s_clause 0x3
	global_store_b64 v[10:11], v[12:13], off
	global_store_b64 v[28:29], v[26:27], off
	;; [unrolled: 1-line block ×4, first 2 shown]
	v_dual_add_nc_u32 v30, s2, v6 :: v_dual_ashrrev_i32 v7, 31, v6
	s_wait_xcnt 0x0
	v_lshl_add_u64 v[8:9], v[34:35], 3, v[0:1]
	v_lshl_add_u64 v[4:5], v[4:5], 3, v[0:1]
	s_delay_alu instid0(VALU_DEP_3) | instskip(SKIP_1) | instid1(VALU_DEP_2)
	v_dual_add_nc_u32 v2, s2, v30 :: v_dual_ashrrev_i32 v31, 31, v30
	v_lshl_add_u64 v[6:7], v[6:7], 3, v[0:1]
	v_ashrrev_i32_e32 v3, 31, v2
	s_delay_alu instid0(VALU_DEP_3) | instskip(NEXT) | instid1(VALU_DEP_2)
	v_lshl_add_u64 v[10:11], v[30:31], 3, v[0:1]
	v_lshl_add_u64 v[0:1], v[2:3], 3, v[0:1]
	s_clause 0x4
	global_store_b64 v[8:9], v[14:15], off
	global_store_b64 v[4:5], v[20:21], off
	;; [unrolled: 1-line block ×5, first 2 shown]
.LBB54_589:
	s_sendmsg sendmsg(MSG_DEALLOC_VGPRS)
	s_endpgm
	.section	.rodata,"a",@progbits
	.p2align	6, 0x0
	.amdhsa_kernel _ZN9rocsolver6v33100L18getf2_small_kernelILi28E19rocblas_complex_numIfEiiPS3_EEvT1_T3_lS5_lPS5_llPT2_S5_S5_S7_l
		.amdhsa_group_segment_fixed_size 0
		.amdhsa_private_segment_fixed_size 0
		.amdhsa_kernarg_size 352
		.amdhsa_user_sgpr_count 2
		.amdhsa_user_sgpr_dispatch_ptr 0
		.amdhsa_user_sgpr_queue_ptr 0
		.amdhsa_user_sgpr_kernarg_segment_ptr 1
		.amdhsa_user_sgpr_dispatch_id 0
		.amdhsa_user_sgpr_kernarg_preload_length 0
		.amdhsa_user_sgpr_kernarg_preload_offset 0
		.amdhsa_user_sgpr_private_segment_size 0
		.amdhsa_wavefront_size32 1
		.amdhsa_uses_dynamic_stack 0
		.amdhsa_enable_private_segment 0
		.amdhsa_system_sgpr_workgroup_id_x 1
		.amdhsa_system_sgpr_workgroup_id_y 1
		.amdhsa_system_sgpr_workgroup_id_z 0
		.amdhsa_system_sgpr_workgroup_info 0
		.amdhsa_system_vgpr_workitem_id 1
		.amdhsa_next_free_vgpr 96
		.amdhsa_next_free_sgpr 19
		.amdhsa_named_barrier_count 0
		.amdhsa_reserve_vcc 1
		.amdhsa_float_round_mode_32 0
		.amdhsa_float_round_mode_16_64 0
		.amdhsa_float_denorm_mode_32 3
		.amdhsa_float_denorm_mode_16_64 3
		.amdhsa_fp16_overflow 0
		.amdhsa_memory_ordered 1
		.amdhsa_forward_progress 1
		.amdhsa_inst_pref_size 255
		.amdhsa_round_robin_scheduling 0
		.amdhsa_exception_fp_ieee_invalid_op 0
		.amdhsa_exception_fp_denorm_src 0
		.amdhsa_exception_fp_ieee_div_zero 0
		.amdhsa_exception_fp_ieee_overflow 0
		.amdhsa_exception_fp_ieee_underflow 0
		.amdhsa_exception_fp_ieee_inexact 0
		.amdhsa_exception_int_div_zero 0
	.end_amdhsa_kernel
	.section	.text._ZN9rocsolver6v33100L18getf2_small_kernelILi28E19rocblas_complex_numIfEiiPS3_EEvT1_T3_lS5_lPS5_llPT2_S5_S5_S7_l,"axG",@progbits,_ZN9rocsolver6v33100L18getf2_small_kernelILi28E19rocblas_complex_numIfEiiPS3_EEvT1_T3_lS5_lPS5_llPT2_S5_S5_S7_l,comdat
.Lfunc_end54:
	.size	_ZN9rocsolver6v33100L18getf2_small_kernelILi28E19rocblas_complex_numIfEiiPS3_EEvT1_T3_lS5_lPS5_llPT2_S5_S5_S7_l, .Lfunc_end54-_ZN9rocsolver6v33100L18getf2_small_kernelILi28E19rocblas_complex_numIfEiiPS3_EEvT1_T3_lS5_lPS5_llPT2_S5_S5_S7_l
                                        ; -- End function
	.set _ZN9rocsolver6v33100L18getf2_small_kernelILi28E19rocblas_complex_numIfEiiPS3_EEvT1_T3_lS5_lPS5_llPT2_S5_S5_S7_l.num_vgpr, 96
	.set _ZN9rocsolver6v33100L18getf2_small_kernelILi28E19rocblas_complex_numIfEiiPS3_EEvT1_T3_lS5_lPS5_llPT2_S5_S5_S7_l.num_agpr, 0
	.set _ZN9rocsolver6v33100L18getf2_small_kernelILi28E19rocblas_complex_numIfEiiPS3_EEvT1_T3_lS5_lPS5_llPT2_S5_S5_S7_l.numbered_sgpr, 19
	.set _ZN9rocsolver6v33100L18getf2_small_kernelILi28E19rocblas_complex_numIfEiiPS3_EEvT1_T3_lS5_lPS5_llPT2_S5_S5_S7_l.num_named_barrier, 0
	.set _ZN9rocsolver6v33100L18getf2_small_kernelILi28E19rocblas_complex_numIfEiiPS3_EEvT1_T3_lS5_lPS5_llPT2_S5_S5_S7_l.private_seg_size, 0
	.set _ZN9rocsolver6v33100L18getf2_small_kernelILi28E19rocblas_complex_numIfEiiPS3_EEvT1_T3_lS5_lPS5_llPT2_S5_S5_S7_l.uses_vcc, 1
	.set _ZN9rocsolver6v33100L18getf2_small_kernelILi28E19rocblas_complex_numIfEiiPS3_EEvT1_T3_lS5_lPS5_llPT2_S5_S5_S7_l.uses_flat_scratch, 0
	.set _ZN9rocsolver6v33100L18getf2_small_kernelILi28E19rocblas_complex_numIfEiiPS3_EEvT1_T3_lS5_lPS5_llPT2_S5_S5_S7_l.has_dyn_sized_stack, 0
	.set _ZN9rocsolver6v33100L18getf2_small_kernelILi28E19rocblas_complex_numIfEiiPS3_EEvT1_T3_lS5_lPS5_llPT2_S5_S5_S7_l.has_recursion, 0
	.set _ZN9rocsolver6v33100L18getf2_small_kernelILi28E19rocblas_complex_numIfEiiPS3_EEvT1_T3_lS5_lPS5_llPT2_S5_S5_S7_l.has_indirect_call, 0
	.section	.AMDGPU.csdata,"",@progbits
; Kernel info:
; codeLenInByte = 50488
; TotalNumSgprs: 21
; NumVgprs: 96
; ScratchSize: 0
; MemoryBound: 0
; FloatMode: 240
; IeeeMode: 1
; LDSByteSize: 0 bytes/workgroup (compile time only)
; SGPRBlocks: 0
; VGPRBlocks: 5
; NumSGPRsForWavesPerEU: 21
; NumVGPRsForWavesPerEU: 96
; NamedBarCnt: 0
; Occupancy: 10
; WaveLimiterHint : 0
; COMPUTE_PGM_RSRC2:SCRATCH_EN: 0
; COMPUTE_PGM_RSRC2:USER_SGPR: 2
; COMPUTE_PGM_RSRC2:TRAP_HANDLER: 0
; COMPUTE_PGM_RSRC2:TGID_X_EN: 1
; COMPUTE_PGM_RSRC2:TGID_Y_EN: 1
; COMPUTE_PGM_RSRC2:TGID_Z_EN: 0
; COMPUTE_PGM_RSRC2:TIDIG_COMP_CNT: 1
	.section	.text._ZN9rocsolver6v33100L23getf2_npvt_small_kernelILi28E19rocblas_complex_numIfEiiPS3_EEvT1_T3_lS5_lPT2_S5_S5_,"axG",@progbits,_ZN9rocsolver6v33100L23getf2_npvt_small_kernelILi28E19rocblas_complex_numIfEiiPS3_EEvT1_T3_lS5_lPT2_S5_S5_,comdat
	.globl	_ZN9rocsolver6v33100L23getf2_npvt_small_kernelILi28E19rocblas_complex_numIfEiiPS3_EEvT1_T3_lS5_lPT2_S5_S5_ ; -- Begin function _ZN9rocsolver6v33100L23getf2_npvt_small_kernelILi28E19rocblas_complex_numIfEiiPS3_EEvT1_T3_lS5_lPT2_S5_S5_
	.p2align	8
	.type	_ZN9rocsolver6v33100L23getf2_npvt_small_kernelILi28E19rocblas_complex_numIfEiiPS3_EEvT1_T3_lS5_lPT2_S5_S5_,@function
_ZN9rocsolver6v33100L23getf2_npvt_small_kernelILi28E19rocblas_complex_numIfEiiPS3_EEvT1_T3_lS5_lPT2_S5_S5_: ; @_ZN9rocsolver6v33100L23getf2_npvt_small_kernelILi28E19rocblas_complex_numIfEiiPS3_EEvT1_T3_lS5_lPT2_S5_S5_
; %bb.0:
	s_clause 0x1
	s_load_u16 s14, s[0:1], 0x46
	s_load_b64 s[2:3], s[0:1], 0x30
	s_bfe_u32 s4, ttmp6, 0x40010
	s_bfe_u32 s5, ttmp6, 0x40004
	s_add_co_i32 s4, s4, 1
	s_getreg_b32 s6, hwreg(HW_REG_IB_STS2, 6, 4)
	s_mul_i32 s4, ttmp7, s4
	v_bfe_u32 v114, v0, 10, 10
	s_add_co_i32 s5, s5, s4
	s_cmp_eq_u32 s6, 0
	s_cselect_b32 s4, ttmp7, s5
	s_wait_kmcnt 0x0
	v_mad_u32 v2, s4, s14, v114
	s_delay_alu instid0(VALU_DEP_1)
	v_cmp_gt_i32_e32 vcc_lo, s2, v2
	s_and_saveexec_b32 s2, vcc_lo
	s_cbranch_execz .LBB55_255
; %bb.1:
	s_clause 0x1
	s_load_b32 s12, s[0:1], 0x18
	s_load_b128 s[8:11], s[0:1], 0x8
	v_and_b32_e32 v170, 0x3ff, v0
	s_load_b128 s[4:7], s[0:1], 0x20
	s_mulk_i32 s14, 0xe0
	v_mad_u32_u24 v172, 0xe0, v114, 0
	v_ashrrev_i32_e32 v3, 31, v2
	s_wait_xcnt 0x0
	v_cmp_ne_u32_e64 s1, 0, v170
	v_cmp_eq_u32_e64 s0, 0, v170
	v_dual_mov_b32 v13, 0 :: v_dual_lshlrev_b32 v12, 3, v170
	v_lshlrev_b32_e32 v115, 3, v114
	s_delay_alu instid0(VALU_DEP_1) | instskip(SKIP_4) | instid1(VALU_DEP_2)
	v_add3_u32 v171, 0, s14, v115
	s_wait_kmcnt 0x0
	v_add3_u32 v0, s12, s12, v170
	s_ashr_i32 s13, s12, 31
	v_mul_u64_e32 v[6:7], s[4:5], v[2:3]
	v_add_nc_u32_e32 v4, s12, v0
	s_delay_alu instid0(VALU_DEP_1) | instskip(NEXT) | instid1(VALU_DEP_1)
	v_add_nc_u32_e32 v8, s12, v4
	v_add_nc_u32_e32 v10, s12, v8
	s_delay_alu instid0(VALU_DEP_1) | instskip(NEXT) | instid1(VALU_DEP_1)
	v_add_nc_u32_e32 v16, s12, v10
	v_add_nc_u32_e32 v20, s12, v16
	s_delay_alu instid0(VALU_DEP_1) | instskip(NEXT) | instid1(VALU_DEP_1)
	v_add_nc_u32_e32 v22, s12, v20
	v_dual_ashrrev_i32 v1, 31, v0 :: v_dual_ashrrev_i32 v23, 31, v22
	v_add_nc_u32_e32 v24, s12, v22
	v_ashrrev_i32_e32 v11, 31, v10
	v_lshl_add_u64 v[6:7], v[6:7], 3, s[8:9]
	s_delay_alu instid0(VALU_DEP_3) | instskip(SKIP_1) | instid1(VALU_DEP_3)
	v_add_nc_u32_e32 v30, s12, v24
	v_ashrrev_i32_e32 v9, 31, v8
	v_lshl_add_u64 v[86:87], s[10:11], 3, v[6:7]
	s_delay_alu instid0(VALU_DEP_3) | instskip(NEXT) | instid1(VALU_DEP_2)
	v_dual_add_nc_u32 v32, s12, v30 :: v_dual_ashrrev_i32 v31, 31, v30
	v_add_nc_u64_e32 v[18:19], v[86:87], v[12:13]
	v_lshl_add_u64 v[6:7], v[0:1], 3, v[86:87]
	v_lshl_add_u64 v[14:15], v[8:9], 3, v[86:87]
	s_delay_alu instid0(VALU_DEP_4) | instskip(SKIP_3) | instid1(VALU_DEP_4)
	v_add_nc_u32_e32 v36, s12, v32
	v_lshl_add_u64 v[0:1], v[10:11], 3, v[86:87]
	v_lshl_add_u64 v[10:11], v[22:23], 3, v[86:87]
	;; [unrolled: 1-line block ×3, first 2 shown]
	v_add_nc_u32_e32 v44, s12, v36
	s_delay_alu instid0(VALU_DEP_1) | instskip(NEXT) | instid1(VALU_DEP_1)
	v_add_nc_u32_e32 v50, s12, v44
	v_dual_ashrrev_i32 v5, 31, v4 :: v_dual_add_nc_u32 v52, s12, v50
	s_delay_alu instid0(VALU_DEP_1) | instskip(NEXT) | instid1(VALU_DEP_2)
	v_lshl_add_u64 v[12:13], v[4:5], 3, v[86:87]
	v_dual_add_nc_u32 v54, s12, v52 :: v_dual_ashrrev_i32 v53, 31, v52
	s_delay_alu instid0(VALU_DEP_1) | instskip(SKIP_3) | instid1(VALU_DEP_3)
	v_dual_ashrrev_i32 v33, 31, v32 :: v_dual_ashrrev_i32 v55, 31, v54
	v_dual_add_nc_u32 v66, s12, v54 :: v_dual_ashrrev_i32 v17, 31, v16
	v_ashrrev_i32_e32 v45, 31, v44
	v_dual_ashrrev_i32 v25, 31, v24 :: v_dual_ashrrev_i32 v51, 31, v50
	v_dual_add_nc_u32 v68, s12, v66 :: v_dual_ashrrev_i32 v67, 31, v66
	v_lshl_add_u64 v[54:55], v[54:55], 3, v[86:87]
	v_lshl_add_u64 v[4:5], v[16:17], 3, v[86:87]
	s_delay_alu instid0(VALU_DEP_4) | instskip(NEXT) | instid1(VALU_DEP_4)
	v_lshl_add_u64 v[16:17], v[24:25], 3, v[86:87]
	v_add_nc_u32_e32 v70, s12, v68
	v_ashrrev_i32_e32 v21, 31, v20
	v_lshl_add_u64 v[44:45], v[44:45], 3, v[86:87]
	v_lshl_add_u64 v[66:67], v[66:67], 3, v[86:87]
	;; [unrolled: 1-line block ×3, first 2 shown]
	v_dual_add_nc_u32 v72, s12, v70 :: v_dual_ashrrev_i32 v71, 31, v70
	v_lshl_add_u64 v[8:9], v[20:21], 3, v[86:87]
	v_lshl_add_u64 v[20:21], v[30:31], 3, v[86:87]
	;; [unrolled: 1-line block ×3, first 2 shown]
	s_delay_alu instid0(VALU_DEP_4)
	v_add_nc_u32_e32 v74, s12, v72
	v_ashrrev_i32_e32 v37, 31, v36
	v_ashrrev_i32_e32 v69, 31, v68
	v_lshl_add_u64 v[52:53], v[52:53], 3, v[86:87]
	v_lshl_add_u64 v[70:71], v[70:71], 3, v[86:87]
	v_dual_add_nc_u32 v76, s12, v74 :: v_dual_ashrrev_i32 v75, 31, v74
	v_lshl_add_u64 v[32:33], v[36:37], 3, v[86:87]
	v_lshl_add_u64 v[68:69], v[68:69], 3, v[86:87]
	s_clause 0x3
	global_load_b64 v[28:29], v[14:15], off
	global_load_b64 v[24:25], v[0:1], off
	;; [unrolled: 1-line block ×4, first 2 shown]
	v_add_nc_u32_e32 v88, s12, v76
	v_lshl_add_u64 v[74:75], v[74:75], 3, v[86:87]
	s_clause 0xb
	global_load_b64 v[56:57], v[18:19], off
	global_load_b64 v[58:59], v[34:35], off
	;; [unrolled: 1-line block ×12, first 2 shown]
	v_add_nc_u32_e32 v90, s12, v88
	s_clause 0x3
	global_load_b64 v[84:85], v[54:55], off
	global_load_b64 v[80:81], v[66:67], off
	;; [unrolled: 1-line block ×4, first 2 shown]
	v_dual_add_nc_u32 v92, s12, v90 :: v_dual_ashrrev_i32 v89, 31, v88
	s_delay_alu instid0(VALU_DEP_1) | instskip(SKIP_1) | instid1(VALU_DEP_3)
	v_dual_add_nc_u32 v94, s12, v92 :: v_dual_ashrrev_i32 v93, 31, v92
	v_ashrrev_i32_e32 v77, 31, v76
	v_lshl_add_u64 v[88:89], v[88:89], 3, v[86:87]
	s_delay_alu instid0(VALU_DEP_3) | instskip(SKIP_3) | instid1(VALU_DEP_4)
	v_dual_add_nc_u32 v96, s12, v94 :: v_dual_ashrrev_i32 v73, 31, v72
	v_ashrrev_i32_e32 v91, 31, v90
	v_ashrrev_i32_e32 v95, 31, v94
	v_lshl_add_u64 v[76:77], v[76:77], 3, v[86:87]
	v_ashrrev_i32_e32 v97, 31, v96
	v_lshl_add_u64 v[72:73], v[72:73], 3, v[86:87]
	v_lshl_add_u64 v[90:91], v[90:91], 3, v[86:87]
	v_lshl_add_u64 v[92:93], v[92:93], 3, v[86:87]
	v_lshl_add_u64 v[94:95], v[94:95], 3, v[86:87]
	v_lshl_add_u64 v[86:87], v[96:97], 3, v[86:87]
	s_clause 0x7
	global_load_b64 v[102:103], v[72:73], off
	global_load_b64 v[98:99], v[74:75], off
	;; [unrolled: 1-line block ×8, first 2 shown]
	s_wait_xcnt 0x0
	s_and_saveexec_b32 s4, s0
	s_cbranch_execz .LBB55_8
; %bb.2:
	s_wait_loadcnt 0x17
	ds_store_b64 v171, v[56:57]
	s_wait_loadcnt 0x15
	ds_store_2addr_b64 v172, v[58:59], v[48:49] offset0:1 offset1:2
	s_wait_loadcnt 0x14
	ds_store_2addr_b64 v172, v[46:47], v[28:29] offset0:3 offset1:4
	ds_store_2addr_b64 v172, v[24:25], v[26:27] offset0:5 offset1:6
	s_wait_loadcnt 0x13
	ds_store_2addr_b64 v172, v[22:23], v[42:43] offset0:7 offset1:8
	s_wait_loadcnt 0x11
	;; [unrolled: 2-line block ×11, first 2 shown]
	ds_store_b64 v172, v[112:113] offset:216
	ds_load_b64 v[114:115], v171
	s_wait_dscnt 0x0
	v_cmp_neq_f32_e32 vcc_lo, 0, v114
	v_cmp_neq_f32_e64 s2, 0, v115
	s_or_b32 s2, vcc_lo, s2
	s_delay_alu instid0(SALU_CYCLE_1)
	s_and_b32 exec_lo, exec_lo, s2
	s_cbranch_execz .LBB55_8
; %bb.3:
	v_cmp_ngt_f32_e64 s2, |v114|, |v115|
                                        ; implicit-def: $vgpr116_vgpr117
	s_and_saveexec_b32 s5, s2
	s_delay_alu instid0(SALU_CYCLE_1)
	s_xor_b32 s2, exec_lo, s5
	s_cbranch_execz .LBB55_5
; %bb.4:
	v_div_scale_f32 v116, null, v115, v115, v114
	v_div_scale_f32 v119, vcc_lo, v114, v115, v114
	s_delay_alu instid0(VALU_DEP_2) | instskip(SKIP_1) | instid1(TRANS32_DEP_1)
	v_rcp_f32_e32 v117, v116
	v_nop
	v_fma_f32 v118, -v116, v117, 1.0
	s_delay_alu instid0(VALU_DEP_1) | instskip(NEXT) | instid1(VALU_DEP_1)
	v_fmac_f32_e32 v117, v118, v117
	v_mul_f32_e32 v118, v119, v117
	s_delay_alu instid0(VALU_DEP_1) | instskip(NEXT) | instid1(VALU_DEP_1)
	v_fma_f32 v120, -v116, v118, v119
	v_fmac_f32_e32 v118, v120, v117
	s_delay_alu instid0(VALU_DEP_1) | instskip(NEXT) | instid1(VALU_DEP_1)
	v_fma_f32 v116, -v116, v118, v119
	v_div_fmas_f32 v116, v116, v117, v118
	s_delay_alu instid0(VALU_DEP_1) | instskip(NEXT) | instid1(VALU_DEP_1)
	v_div_fixup_f32 v116, v116, v115, v114
	v_fmac_f32_e32 v115, v114, v116
	s_delay_alu instid0(VALU_DEP_1) | instskip(SKIP_1) | instid1(VALU_DEP_2)
	v_div_scale_f32 v114, null, v115, v115, 1.0
	v_div_scale_f32 v119, vcc_lo, 1.0, v115, 1.0
	v_rcp_f32_e32 v117, v114
	v_nop
	s_delay_alu instid0(TRANS32_DEP_1) | instskip(NEXT) | instid1(VALU_DEP_1)
	v_fma_f32 v118, -v114, v117, 1.0
	v_fmac_f32_e32 v117, v118, v117
	s_delay_alu instid0(VALU_DEP_1) | instskip(NEXT) | instid1(VALU_DEP_1)
	v_mul_f32_e32 v118, v119, v117
	v_fma_f32 v120, -v114, v118, v119
	s_delay_alu instid0(VALU_DEP_1) | instskip(NEXT) | instid1(VALU_DEP_1)
	v_fmac_f32_e32 v118, v120, v117
	v_fma_f32 v114, -v114, v118, v119
	s_delay_alu instid0(VALU_DEP_1) | instskip(NEXT) | instid1(VALU_DEP_1)
	v_div_fmas_f32 v114, v114, v117, v118
	v_div_fixup_f32 v114, v114, v115, 1.0
	s_delay_alu instid0(VALU_DEP_1)
	v_mul_f32_e32 v116, v116, v114
	v_xor_b32_e32 v117, 0x80000000, v114
                                        ; implicit-def: $vgpr114_vgpr115
.LBB55_5:
	s_and_not1_saveexec_b32 s2, s2
	s_cbranch_execz .LBB55_7
; %bb.6:
	v_div_scale_f32 v116, null, v114, v114, v115
	v_div_scale_f32 v119, vcc_lo, v115, v114, v115
	s_delay_alu instid0(VALU_DEP_2) | instskip(SKIP_1) | instid1(TRANS32_DEP_1)
	v_rcp_f32_e32 v117, v116
	v_nop
	v_fma_f32 v118, -v116, v117, 1.0
	s_delay_alu instid0(VALU_DEP_1) | instskip(NEXT) | instid1(VALU_DEP_1)
	v_fmac_f32_e32 v117, v118, v117
	v_mul_f32_e32 v118, v119, v117
	s_delay_alu instid0(VALU_DEP_1) | instskip(NEXT) | instid1(VALU_DEP_1)
	v_fma_f32 v120, -v116, v118, v119
	v_fmac_f32_e32 v118, v120, v117
	s_delay_alu instid0(VALU_DEP_1) | instskip(NEXT) | instid1(VALU_DEP_1)
	v_fma_f32 v116, -v116, v118, v119
	v_div_fmas_f32 v116, v116, v117, v118
	s_delay_alu instid0(VALU_DEP_1) | instskip(NEXT) | instid1(VALU_DEP_1)
	v_div_fixup_f32 v117, v116, v114, v115
	v_fmac_f32_e32 v114, v115, v117
	s_delay_alu instid0(VALU_DEP_1) | instskip(NEXT) | instid1(VALU_DEP_1)
	v_div_scale_f32 v115, null, v114, v114, 1.0
	v_rcp_f32_e32 v116, v115
	v_nop
	s_delay_alu instid0(TRANS32_DEP_1) | instskip(NEXT) | instid1(VALU_DEP_1)
	v_fma_f32 v118, -v115, v116, 1.0
	v_fmac_f32_e32 v116, v118, v116
	v_div_scale_f32 v118, vcc_lo, 1.0, v114, 1.0
	s_delay_alu instid0(VALU_DEP_1) | instskip(NEXT) | instid1(VALU_DEP_1)
	v_mul_f32_e32 v119, v118, v116
	v_fma_f32 v120, -v115, v119, v118
	s_delay_alu instid0(VALU_DEP_1) | instskip(NEXT) | instid1(VALU_DEP_1)
	v_fmac_f32_e32 v119, v120, v116
	v_fma_f32 v115, -v115, v119, v118
	s_delay_alu instid0(VALU_DEP_1) | instskip(NEXT) | instid1(VALU_DEP_1)
	v_div_fmas_f32 v115, v115, v116, v119
	v_div_fixup_f32 v116, v115, v114, 1.0
	s_delay_alu instid0(VALU_DEP_1)
	v_mul_f32_e64 v117, v117, -v116
.LBB55_7:
	s_or_b32 exec_lo, exec_lo, s2
	ds_store_b64 v171, v[116:117]
.LBB55_8:
	s_or_b32 exec_lo, exec_lo, s4
	s_wait_loadcnt_dscnt 0x0
	s_barrier_signal -1
	s_barrier_wait -1
	ds_load_b64 v[114:115], v171
	s_and_saveexec_b32 s2, s1
	s_cbranch_execz .LBB55_10
; %bb.9:
	ds_load_2addr_b64 v[120:123], v172 offset0:1 offset1:2
	s_wait_dscnt 0x1
	v_pk_mul_f32 v[118:119], v[114:115], v[56:57] op_sel:[1,1] op_sel_hi:[0,1]
	s_delay_alu instid0(VALU_DEP_1) | instskip(SKIP_1) | instid1(VALU_DEP_1)
	v_pk_fma_f32 v[116:117], v[114:115], v[56:57], v[118:119] op_sel_hi:[1,0,1] neg_lo:[0,0,1] neg_hi:[0,0,1]
	v_pk_fma_f32 v[118:119], v[114:115], v[56:57], v[118:119] op_sel_hi:[1,0,1]
	v_dual_mov_b32 v56, v116 :: v_dual_mov_b32 v57, v119
	s_wait_dscnt 0x0
	s_delay_alu instid0(VALU_DEP_2) | instskip(NEXT) | instid1(VALU_DEP_1)
	v_pk_mul_f32 v[124:125], v[120:121], v[118:119] op_sel:[0,1]
	v_pk_fma_f32 v[126:127], v[120:121], v[116:117], v[124:125] op_sel:[0,0,1] op_sel_hi:[1,1,0] neg_lo:[0,0,1] neg_hi:[0,0,1]
	v_pk_fma_f32 v[120:121], v[120:121], v[116:117], v[124:125] op_sel:[0,0,1] op_sel_hi:[1,0,0]
	s_delay_alu instid0(VALU_DEP_1) | instskip(SKIP_1) | instid1(VALU_DEP_1)
	v_mov_b32_e32 v127, v121
	v_pk_mul_f32 v[120:121], v[122:123], v[118:119] op_sel:[0,1]
	v_pk_fma_f32 v[124:125], v[122:123], v[116:117], v[120:121] op_sel:[0,0,1] op_sel_hi:[1,1,0] neg_lo:[0,0,1] neg_hi:[0,0,1]
	v_pk_fma_f32 v[120:121], v[122:123], v[116:117], v[120:121] op_sel:[0,0,1] op_sel_hi:[1,0,0]
	s_delay_alu instid0(VALU_DEP_1)
	v_mov_b32_e32 v125, v121
	ds_load_2addr_b64 v[120:123], v172 offset0:3 offset1:4
	v_pk_add_f32 v[58:59], v[58:59], v[126:127] neg_lo:[0,1] neg_hi:[0,1]
	v_pk_add_f32 v[48:49], v[48:49], v[124:125] neg_lo:[0,1] neg_hi:[0,1]
	s_wait_dscnt 0x0
	v_pk_mul_f32 v[124:125], v[120:121], v[118:119] op_sel:[0,1]
	s_delay_alu instid0(VALU_DEP_1) | instskip(SKIP_2) | instid1(VALU_DEP_2)
	v_pk_fma_f32 v[126:127], v[120:121], v[116:117], v[124:125] op_sel:[0,0,1] op_sel_hi:[1,1,0] neg_lo:[0,0,1] neg_hi:[0,0,1]
	v_pk_fma_f32 v[120:121], v[120:121], v[116:117], v[124:125] op_sel:[0,0,1] op_sel_hi:[1,0,0]
	v_dual_mul_f32 v124, v123, v119 :: v_dual_mov_b32 v120, v123
	v_dual_mov_b32 v127, v121 :: v_dual_mov_b32 v121, v122
	s_delay_alu instid0(VALU_DEP_2) | instskip(SKIP_1) | instid1(VALU_DEP_3)
	v_pk_fma_f32 v[124:125], v[122:123], v[56:57], v[124:125] op_sel_hi:[1,1,0] neg_lo:[0,0,1] neg_hi:[0,0,1]
	v_mul_f32_e32 v122, v123, v116
	v_pk_add_f32 v[46:47], v[46:47], v[126:127] neg_lo:[0,1] neg_hi:[0,1]
	s_delay_alu instid0(VALU_DEP_2) | instskip(NEXT) | instid1(VALU_DEP_1)
	v_pk_fma_f32 v[120:121], v[120:121], v[56:57], v[122:123] op_sel_hi:[1,1,0]
	v_mov_b32_e32 v125, v121
	ds_load_2addr_b64 v[120:123], v172 offset0:5 offset1:6
	v_pk_add_f32 v[28:29], v[28:29], v[124:125] neg_lo:[0,1] neg_hi:[0,1]
	s_wait_dscnt 0x0
	v_pk_mul_f32 v[124:125], v[120:121], v[118:119] op_sel:[0,1]
	s_delay_alu instid0(VALU_DEP_1) | instskip(SKIP_1) | instid1(VALU_DEP_1)
	v_pk_fma_f32 v[126:127], v[120:121], v[116:117], v[124:125] op_sel:[0,0,1] op_sel_hi:[1,1,0] neg_lo:[0,0,1] neg_hi:[0,0,1]
	v_pk_fma_f32 v[120:121], v[120:121], v[116:117], v[124:125] op_sel:[0,0,1] op_sel_hi:[1,0,0]
	v_mov_b32_e32 v127, v121
	v_pk_mul_f32 v[120:121], v[122:123], v[118:119] op_sel:[0,1]
	s_delay_alu instid0(VALU_DEP_1) | instskip(SKIP_1) | instid1(VALU_DEP_1)
	v_pk_fma_f32 v[124:125], v[122:123], v[116:117], v[120:121] op_sel:[0,0,1] op_sel_hi:[1,1,0] neg_lo:[0,0,1] neg_hi:[0,0,1]
	v_pk_fma_f32 v[120:121], v[122:123], v[116:117], v[120:121] op_sel:[0,0,1] op_sel_hi:[1,0,0]
	v_mov_b32_e32 v125, v121
	ds_load_2addr_b64 v[120:123], v172 offset0:7 offset1:8
	v_pk_add_f32 v[24:25], v[24:25], v[126:127] neg_lo:[0,1] neg_hi:[0,1]
	v_pk_add_f32 v[26:27], v[26:27], v[124:125] neg_lo:[0,1] neg_hi:[0,1]
	s_wait_dscnt 0x0
	v_pk_mul_f32 v[124:125], v[120:121], v[118:119] op_sel:[0,1]
	s_delay_alu instid0(VALU_DEP_1) | instskip(SKIP_1) | instid1(VALU_DEP_1)
	v_pk_fma_f32 v[126:127], v[120:121], v[116:117], v[124:125] op_sel:[0,0,1] op_sel_hi:[1,1,0] neg_lo:[0,0,1] neg_hi:[0,0,1]
	v_pk_fma_f32 v[120:121], v[120:121], v[116:117], v[124:125] op_sel:[0,0,1] op_sel_hi:[1,0,0]
	v_mov_b32_e32 v127, v121
	v_pk_mul_f32 v[120:121], v[122:123], v[118:119] op_sel:[0,1]
	s_delay_alu instid0(VALU_DEP_1) | instskip(SKIP_1) | instid1(VALU_DEP_1)
	v_pk_fma_f32 v[124:125], v[122:123], v[116:117], v[120:121] op_sel:[0,0,1] op_sel_hi:[1,1,0] neg_lo:[0,0,1] neg_hi:[0,0,1]
	v_pk_fma_f32 v[120:121], v[122:123], v[116:117], v[120:121] op_sel:[0,0,1] op_sel_hi:[1,0,0]
	v_mov_b32_e32 v125, v121
	ds_load_2addr_b64 v[120:123], v172 offset0:9 offset1:10
	v_pk_add_f32 v[22:23], v[22:23], v[126:127] neg_lo:[0,1] neg_hi:[0,1]
	v_pk_add_f32 v[42:43], v[42:43], v[124:125] neg_lo:[0,1] neg_hi:[0,1]
	s_wait_dscnt 0x0
	v_dual_mul_f32 v124, v121, v119 :: v_dual_mul_f32 v126, v121, v116
	s_delay_alu instid0(VALU_DEP_1) | instskip(NEXT) | instid1(VALU_DEP_2)
	v_pk_fma_f32 v[124:125], v[120:121], v[56:57], v[124:125] op_sel_hi:[1,1,0] neg_lo:[0,0,1] neg_hi:[0,0,1]
	v_pk_fma_f32 v[120:121], v[120:121], v[56:57], v[126:127] op_sel:[1,0,0] op_sel_hi:[0,1,0]
	s_delay_alu instid0(VALU_DEP_1) | instskip(SKIP_1) | instid1(VALU_DEP_2)
	v_mov_b32_e32 v125, v121
	v_pk_mul_f32 v[120:121], v[122:123], v[118:119] op_sel:[0,1]
	v_pk_add_f32 v[38:39], v[38:39], v[124:125] neg_lo:[0,1] neg_hi:[0,1]
	s_delay_alu instid0(VALU_DEP_2) | instskip(SKIP_1) | instid1(VALU_DEP_1)
	v_pk_fma_f32 v[124:125], v[122:123], v[116:117], v[120:121] op_sel:[0,0,1] op_sel_hi:[1,1,0] neg_lo:[0,0,1] neg_hi:[0,0,1]
	v_pk_fma_f32 v[120:121], v[122:123], v[116:117], v[120:121] op_sel:[0,0,1] op_sel_hi:[1,0,0]
	v_mov_b32_e32 v125, v121
	ds_load_2addr_b64 v[120:123], v172 offset0:11 offset1:12
	v_pk_add_f32 v[40:41], v[40:41], v[124:125] neg_lo:[0,1] neg_hi:[0,1]
	s_wait_dscnt 0x0
	v_pk_mul_f32 v[124:125], v[120:121], v[118:119] op_sel:[0,1]
	s_delay_alu instid0(VALU_DEP_1) | instskip(SKIP_1) | instid1(VALU_DEP_1)
	v_pk_fma_f32 v[126:127], v[120:121], v[116:117], v[124:125] op_sel:[0,0,1] op_sel_hi:[1,1,0] neg_lo:[0,0,1] neg_hi:[0,0,1]
	v_pk_fma_f32 v[120:121], v[120:121], v[116:117], v[124:125] op_sel:[0,0,1] op_sel_hi:[1,0,0]
	v_mov_b32_e32 v127, v121
	v_pk_mul_f32 v[120:121], v[122:123], v[118:119] op_sel:[0,1]
	s_delay_alu instid0(VALU_DEP_2) | instskip(NEXT) | instid1(VALU_DEP_2)
	v_pk_add_f32 v[36:37], v[36:37], v[126:127] neg_lo:[0,1] neg_hi:[0,1]
	v_pk_fma_f32 v[124:125], v[122:123], v[116:117], v[120:121] op_sel:[0,0,1] op_sel_hi:[1,1,0] neg_lo:[0,0,1] neg_hi:[0,0,1]
	v_pk_fma_f32 v[120:121], v[122:123], v[116:117], v[120:121] op_sel:[0,0,1] op_sel_hi:[1,0,0]
	s_delay_alu instid0(VALU_DEP_1) | instskip(SKIP_4) | instid1(VALU_DEP_1)
	v_mov_b32_e32 v125, v121
	ds_load_2addr_b64 v[120:123], v172 offset0:13 offset1:14
	v_pk_add_f32 v[64:65], v[64:65], v[124:125] neg_lo:[0,1] neg_hi:[0,1]
	s_wait_dscnt 0x0
	v_pk_mul_f32 v[124:125], v[120:121], v[118:119] op_sel:[0,1]
	v_pk_fma_f32 v[126:127], v[120:121], v[116:117], v[124:125] op_sel:[0,0,1] op_sel_hi:[1,1,0] neg_lo:[0,0,1] neg_hi:[0,0,1]
	v_pk_fma_f32 v[120:121], v[120:121], v[116:117], v[124:125] op_sel:[0,0,1] op_sel_hi:[1,0,0]
	v_dual_mul_f32 v124, v123, v119 :: v_dual_mov_b32 v120, v123
	s_delay_alu instid0(VALU_DEP_2) | instskip(NEXT) | instid1(VALU_DEP_2)
	v_dual_mov_b32 v127, v121 :: v_dual_mov_b32 v121, v122
	v_pk_fma_f32 v[124:125], v[122:123], v[56:57], v[124:125] op_sel_hi:[1,1,0] neg_lo:[0,0,1] neg_hi:[0,0,1]
	v_mul_f32_e32 v122, v123, v116
	s_delay_alu instid0(VALU_DEP_3) | instskip(NEXT) | instid1(VALU_DEP_2)
	v_pk_add_f32 v[60:61], v[60:61], v[126:127] neg_lo:[0,1] neg_hi:[0,1]
	v_pk_fma_f32 v[120:121], v[120:121], v[56:57], v[122:123] op_sel_hi:[1,1,0]
	s_delay_alu instid0(VALU_DEP_1) | instskip(SKIP_4) | instid1(VALU_DEP_1)
	v_mov_b32_e32 v125, v121
	ds_load_2addr_b64 v[120:123], v172 offset0:15 offset1:16
	v_pk_add_f32 v[62:63], v[62:63], v[124:125] neg_lo:[0,1] neg_hi:[0,1]
	s_wait_dscnt 0x0
	v_pk_mul_f32 v[124:125], v[120:121], v[118:119] op_sel:[0,1]
	v_pk_fma_f32 v[126:127], v[120:121], v[116:117], v[124:125] op_sel:[0,0,1] op_sel_hi:[1,1,0] neg_lo:[0,0,1] neg_hi:[0,0,1]
	v_pk_fma_f32 v[120:121], v[120:121], v[116:117], v[124:125] op_sel:[0,0,1] op_sel_hi:[1,0,0]
	s_delay_alu instid0(VALU_DEP_1) | instskip(SKIP_1) | instid1(VALU_DEP_1)
	v_mov_b32_e32 v127, v121
	v_pk_mul_f32 v[120:121], v[122:123], v[118:119] op_sel:[0,1]
	v_pk_fma_f32 v[124:125], v[122:123], v[116:117], v[120:121] op_sel:[0,0,1] op_sel_hi:[1,1,0] neg_lo:[0,0,1] neg_hi:[0,0,1]
	v_pk_fma_f32 v[120:121], v[122:123], v[116:117], v[120:121] op_sel:[0,0,1] op_sel_hi:[1,0,0]
	s_delay_alu instid0(VALU_DEP_1)
	v_mov_b32_e32 v125, v121
	ds_load_2addr_b64 v[120:123], v172 offset0:17 offset1:18
	v_pk_add_f32 v[104:105], v[104:105], v[126:127] neg_lo:[0,1] neg_hi:[0,1]
	v_pk_add_f32 v[84:85], v[84:85], v[124:125] neg_lo:[0,1] neg_hi:[0,1]
	s_wait_dscnt 0x0
	v_pk_mul_f32 v[124:125], v[120:121], v[118:119] op_sel:[0,1]
	s_delay_alu instid0(VALU_DEP_1) | instskip(SKIP_1) | instid1(VALU_DEP_1)
	v_pk_fma_f32 v[126:127], v[120:121], v[116:117], v[124:125] op_sel:[0,0,1] op_sel_hi:[1,1,0] neg_lo:[0,0,1] neg_hi:[0,0,1]
	v_pk_fma_f32 v[120:121], v[120:121], v[116:117], v[124:125] op_sel:[0,0,1] op_sel_hi:[1,0,0]
	v_mov_b32_e32 v127, v121
	v_pk_mul_f32 v[120:121], v[122:123], v[118:119] op_sel:[0,1]
	s_delay_alu instid0(VALU_DEP_1) | instskip(SKIP_1) | instid1(VALU_DEP_1)
	v_pk_fma_f32 v[124:125], v[122:123], v[116:117], v[120:121] op_sel:[0,0,1] op_sel_hi:[1,1,0] neg_lo:[0,0,1] neg_hi:[0,0,1]
	v_pk_fma_f32 v[120:121], v[122:123], v[116:117], v[120:121] op_sel:[0,0,1] op_sel_hi:[1,0,0]
	v_mov_b32_e32 v125, v121
	ds_load_2addr_b64 v[120:123], v172 offset0:19 offset1:20
	v_pk_add_f32 v[80:81], v[80:81], v[126:127] neg_lo:[0,1] neg_hi:[0,1]
	v_pk_add_f32 v[82:83], v[82:83], v[124:125] neg_lo:[0,1] neg_hi:[0,1]
	s_wait_dscnt 0x0
	v_dual_mul_f32 v124, v121, v119 :: v_dual_mul_f32 v126, v121, v116
	s_delay_alu instid0(VALU_DEP_1) | instskip(NEXT) | instid1(VALU_DEP_2)
	v_pk_fma_f32 v[124:125], v[120:121], v[56:57], v[124:125] op_sel_hi:[1,1,0] neg_lo:[0,0,1] neg_hi:[0,0,1]
	v_pk_fma_f32 v[120:121], v[120:121], v[56:57], v[126:127] op_sel:[1,0,0] op_sel_hi:[0,1,0]
	s_delay_alu instid0(VALU_DEP_1) | instskip(SKIP_1) | instid1(VALU_DEP_2)
	v_mov_b32_e32 v125, v121
	v_pk_mul_f32 v[120:121], v[122:123], v[118:119] op_sel:[0,1]
	v_pk_add_f32 v[78:79], v[78:79], v[124:125] neg_lo:[0,1] neg_hi:[0,1]
	s_delay_alu instid0(VALU_DEP_2) | instskip(SKIP_1) | instid1(VALU_DEP_1)
	v_pk_fma_f32 v[124:125], v[122:123], v[116:117], v[120:121] op_sel:[0,0,1] op_sel_hi:[1,1,0] neg_lo:[0,0,1] neg_hi:[0,0,1]
	v_pk_fma_f32 v[120:121], v[122:123], v[116:117], v[120:121] op_sel:[0,0,1] op_sel_hi:[1,0,0]
	v_mov_b32_e32 v125, v121
	ds_load_2addr_b64 v[120:123], v172 offset0:21 offset1:22
	v_pk_add_f32 v[102:103], v[102:103], v[124:125] neg_lo:[0,1] neg_hi:[0,1]
	s_wait_dscnt 0x0
	v_pk_mul_f32 v[124:125], v[120:121], v[118:119] op_sel:[0,1]
	s_delay_alu instid0(VALU_DEP_1) | instskip(SKIP_1) | instid1(VALU_DEP_1)
	v_pk_fma_f32 v[126:127], v[120:121], v[116:117], v[124:125] op_sel:[0,0,1] op_sel_hi:[1,1,0] neg_lo:[0,0,1] neg_hi:[0,0,1]
	v_pk_fma_f32 v[120:121], v[120:121], v[116:117], v[124:125] op_sel:[0,0,1] op_sel_hi:[1,0,0]
	v_mov_b32_e32 v127, v121
	v_pk_mul_f32 v[120:121], v[122:123], v[118:119] op_sel:[0,1]
	s_delay_alu instid0(VALU_DEP_2) | instskip(NEXT) | instid1(VALU_DEP_2)
	v_pk_add_f32 v[98:99], v[98:99], v[126:127] neg_lo:[0,1] neg_hi:[0,1]
	v_pk_fma_f32 v[124:125], v[122:123], v[116:117], v[120:121] op_sel:[0,0,1] op_sel_hi:[1,1,0] neg_lo:[0,0,1] neg_hi:[0,0,1]
	v_pk_fma_f32 v[120:121], v[122:123], v[116:117], v[120:121] op_sel:[0,0,1] op_sel_hi:[1,0,0]
	s_delay_alu instid0(VALU_DEP_1) | instskip(SKIP_4) | instid1(VALU_DEP_1)
	v_mov_b32_e32 v125, v121
	ds_load_2addr_b64 v[120:123], v172 offset0:23 offset1:24
	v_pk_add_f32 v[100:101], v[100:101], v[124:125] neg_lo:[0,1] neg_hi:[0,1]
	s_wait_dscnt 0x0
	v_pk_mul_f32 v[124:125], v[120:121], v[118:119] op_sel:[0,1]
	v_pk_fma_f32 v[126:127], v[120:121], v[116:117], v[124:125] op_sel:[0,0,1] op_sel_hi:[1,1,0] neg_lo:[0,0,1] neg_hi:[0,0,1]
	v_pk_fma_f32 v[120:121], v[120:121], v[116:117], v[124:125] op_sel:[0,0,1] op_sel_hi:[1,0,0]
	v_dual_mul_f32 v124, v123, v119 :: v_dual_mov_b32 v120, v123
	s_delay_alu instid0(VALU_DEP_2) | instskip(NEXT) | instid1(VALU_DEP_2)
	v_dual_mov_b32 v127, v121 :: v_dual_mov_b32 v121, v122
	v_pk_fma_f32 v[124:125], v[122:123], v[56:57], v[124:125] op_sel_hi:[1,1,0] neg_lo:[0,0,1] neg_hi:[0,0,1]
	v_mul_f32_e32 v122, v123, v116
	s_delay_alu instid0(VALU_DEP_3) | instskip(NEXT) | instid1(VALU_DEP_2)
	v_pk_add_f32 v[96:97], v[96:97], v[126:127] neg_lo:[0,1] neg_hi:[0,1]
	v_pk_fma_f32 v[120:121], v[120:121], v[56:57], v[122:123] op_sel_hi:[1,1,0]
	s_delay_alu instid0(VALU_DEP_1) | instskip(SKIP_4) | instid1(VALU_DEP_1)
	v_mov_b32_e32 v125, v121
	ds_load_2addr_b64 v[120:123], v172 offset0:25 offset1:26
	v_pk_add_f32 v[110:111], v[110:111], v[124:125] neg_lo:[0,1] neg_hi:[0,1]
	s_wait_dscnt 0x0
	v_pk_mul_f32 v[124:125], v[120:121], v[118:119] op_sel:[0,1]
	v_pk_fma_f32 v[126:127], v[120:121], v[116:117], v[124:125] op_sel:[0,0,1] op_sel_hi:[1,1,0] neg_lo:[0,0,1] neg_hi:[0,0,1]
	v_pk_fma_f32 v[120:121], v[120:121], v[116:117], v[124:125] op_sel:[0,0,1] op_sel_hi:[1,0,0]
	s_delay_alu instid0(VALU_DEP_1) | instskip(SKIP_1) | instid1(VALU_DEP_1)
	v_mov_b32_e32 v127, v121
	v_pk_mul_f32 v[120:121], v[122:123], v[118:119] op_sel:[0,1]
	v_pk_fma_f32 v[124:125], v[122:123], v[116:117], v[120:121] op_sel:[0,0,1] op_sel_hi:[1,1,0] neg_lo:[0,0,1] neg_hi:[0,0,1]
	v_pk_fma_f32 v[120:121], v[122:123], v[116:117], v[120:121] op_sel:[0,0,1] op_sel_hi:[1,0,0]
	s_delay_alu instid0(VALU_DEP_1)
	v_mov_b32_e32 v125, v121
	ds_load_b64 v[120:121], v172 offset:216
	v_pk_add_f32 v[108:109], v[108:109], v[126:127] neg_lo:[0,1] neg_hi:[0,1]
	v_pk_add_f32 v[106:107], v[106:107], v[124:125] neg_lo:[0,1] neg_hi:[0,1]
	s_wait_dscnt 0x0
	v_pk_mul_f32 v[118:119], v[120:121], v[118:119] op_sel:[0,1]
	s_delay_alu instid0(VALU_DEP_1) | instskip(SKIP_1) | instid1(VALU_DEP_1)
	v_pk_fma_f32 v[122:123], v[120:121], v[116:117], v[118:119] op_sel:[0,0,1] op_sel_hi:[1,1,0] neg_lo:[0,0,1] neg_hi:[0,0,1]
	v_pk_fma_f32 v[116:117], v[120:121], v[116:117], v[118:119] op_sel:[0,0,1] op_sel_hi:[1,0,0]
	v_mov_b32_e32 v123, v117
	s_delay_alu instid0(VALU_DEP_1)
	v_pk_add_f32 v[112:113], v[112:113], v[122:123] neg_lo:[0,1] neg_hi:[0,1]
.LBB55_10:
	s_or_b32 exec_lo, exec_lo, s2
	s_delay_alu instid0(SALU_CYCLE_1)
	s_mov_b32 s2, exec_lo
	s_wait_dscnt 0x0
	s_barrier_signal -1
	s_barrier_wait -1
	v_cmpx_eq_u32_e32 1, v170
	s_cbranch_execz .LBB55_17
; %bb.11:
	v_dual_mov_b32 v116, v48 :: v_dual_mov_b32 v117, v49
	v_dual_mov_b32 v118, v46 :: v_dual_mov_b32 v119, v47
	;; [unrolled: 1-line block ×4, first 2 shown]
	ds_store_b64 v171, v[58:59]
	ds_store_2addr_b64 v172, v[116:117], v[118:119] offset0:2 offset1:3
	ds_store_2addr_b64 v172, v[120:121], v[122:123] offset0:4 offset1:5
	v_dual_mov_b32 v116, v26 :: v_dual_mov_b32 v117, v27
	v_dual_mov_b32 v118, v22 :: v_dual_mov_b32 v119, v23
	;; [unrolled: 1-line block ×12, first 2 shown]
	ds_store_2addr_b64 v172, v[116:117], v[118:119] offset0:6 offset1:7
	ds_store_2addr_b64 v172, v[120:121], v[122:123] offset0:8 offset1:9
	;; [unrolled: 1-line block ×6, first 2 shown]
	v_dual_mov_b32 v116, v82 :: v_dual_mov_b32 v117, v83
	v_dual_mov_b32 v118, v78 :: v_dual_mov_b32 v119, v79
	;; [unrolled: 1-line block ×9, first 2 shown]
	ds_store_2addr_b64 v172, v[116:117], v[118:119] offset0:18 offset1:19
	ds_store_2addr_b64 v172, v[120:121], v[122:123] offset0:20 offset1:21
	;; [unrolled: 1-line block ×5, first 2 shown]
	ds_load_b64 v[116:117], v171
	s_wait_dscnt 0x0
	v_cmp_neq_f32_e32 vcc_lo, 0, v116
	v_cmp_neq_f32_e64 s1, 0, v117
	s_or_b32 s1, vcc_lo, s1
	s_delay_alu instid0(SALU_CYCLE_1)
	s_and_b32 exec_lo, exec_lo, s1
	s_cbranch_execz .LBB55_17
; %bb.12:
	v_cmp_ngt_f32_e64 s1, |v116|, |v117|
                                        ; implicit-def: $vgpr118_vgpr119
	s_and_saveexec_b32 s4, s1
	s_delay_alu instid0(SALU_CYCLE_1)
	s_xor_b32 s1, exec_lo, s4
	s_cbranch_execz .LBB55_14
; %bb.13:
	v_div_scale_f32 v118, null, v117, v117, v116
	v_div_scale_f32 v121, vcc_lo, v116, v117, v116
	s_delay_alu instid0(VALU_DEP_2) | instskip(SKIP_1) | instid1(TRANS32_DEP_1)
	v_rcp_f32_e32 v119, v118
	v_nop
	v_fma_f32 v120, -v118, v119, 1.0
	s_delay_alu instid0(VALU_DEP_1) | instskip(NEXT) | instid1(VALU_DEP_1)
	v_fmac_f32_e32 v119, v120, v119
	v_mul_f32_e32 v120, v121, v119
	s_delay_alu instid0(VALU_DEP_1) | instskip(NEXT) | instid1(VALU_DEP_1)
	v_fma_f32 v122, -v118, v120, v121
	v_fmac_f32_e32 v120, v122, v119
	s_delay_alu instid0(VALU_DEP_1) | instskip(NEXT) | instid1(VALU_DEP_1)
	v_fma_f32 v118, -v118, v120, v121
	v_div_fmas_f32 v118, v118, v119, v120
	s_delay_alu instid0(VALU_DEP_1) | instskip(NEXT) | instid1(VALU_DEP_1)
	v_div_fixup_f32 v118, v118, v117, v116
	v_fmac_f32_e32 v117, v116, v118
	s_delay_alu instid0(VALU_DEP_1) | instskip(SKIP_1) | instid1(VALU_DEP_2)
	v_div_scale_f32 v116, null, v117, v117, 1.0
	v_div_scale_f32 v121, vcc_lo, 1.0, v117, 1.0
	v_rcp_f32_e32 v119, v116
	v_nop
	s_delay_alu instid0(TRANS32_DEP_1) | instskip(NEXT) | instid1(VALU_DEP_1)
	v_fma_f32 v120, -v116, v119, 1.0
	v_fmac_f32_e32 v119, v120, v119
	s_delay_alu instid0(VALU_DEP_1) | instskip(NEXT) | instid1(VALU_DEP_1)
	v_mul_f32_e32 v120, v121, v119
	v_fma_f32 v122, -v116, v120, v121
	s_delay_alu instid0(VALU_DEP_1) | instskip(NEXT) | instid1(VALU_DEP_1)
	v_fmac_f32_e32 v120, v122, v119
	v_fma_f32 v116, -v116, v120, v121
	s_delay_alu instid0(VALU_DEP_1) | instskip(NEXT) | instid1(VALU_DEP_1)
	v_div_fmas_f32 v116, v116, v119, v120
	v_div_fixup_f32 v116, v116, v117, 1.0
	s_delay_alu instid0(VALU_DEP_1)
	v_mul_f32_e32 v118, v118, v116
	v_xor_b32_e32 v119, 0x80000000, v116
                                        ; implicit-def: $vgpr116_vgpr117
.LBB55_14:
	s_and_not1_saveexec_b32 s1, s1
	s_cbranch_execz .LBB55_16
; %bb.15:
	v_div_scale_f32 v118, null, v116, v116, v117
	v_div_scale_f32 v121, vcc_lo, v117, v116, v117
	s_delay_alu instid0(VALU_DEP_2) | instskip(SKIP_1) | instid1(TRANS32_DEP_1)
	v_rcp_f32_e32 v119, v118
	v_nop
	v_fma_f32 v120, -v118, v119, 1.0
	s_delay_alu instid0(VALU_DEP_1) | instskip(NEXT) | instid1(VALU_DEP_1)
	v_fmac_f32_e32 v119, v120, v119
	v_mul_f32_e32 v120, v121, v119
	s_delay_alu instid0(VALU_DEP_1) | instskip(NEXT) | instid1(VALU_DEP_1)
	v_fma_f32 v122, -v118, v120, v121
	v_fmac_f32_e32 v120, v122, v119
	s_delay_alu instid0(VALU_DEP_1) | instskip(NEXT) | instid1(VALU_DEP_1)
	v_fma_f32 v118, -v118, v120, v121
	v_div_fmas_f32 v118, v118, v119, v120
	s_delay_alu instid0(VALU_DEP_1) | instskip(NEXT) | instid1(VALU_DEP_1)
	v_div_fixup_f32 v119, v118, v116, v117
	v_fmac_f32_e32 v116, v117, v119
	s_delay_alu instid0(VALU_DEP_1) | instskip(NEXT) | instid1(VALU_DEP_1)
	v_div_scale_f32 v117, null, v116, v116, 1.0
	v_rcp_f32_e32 v118, v117
	v_nop
	s_delay_alu instid0(TRANS32_DEP_1) | instskip(NEXT) | instid1(VALU_DEP_1)
	v_fma_f32 v120, -v117, v118, 1.0
	v_fmac_f32_e32 v118, v120, v118
	v_div_scale_f32 v120, vcc_lo, 1.0, v116, 1.0
	s_delay_alu instid0(VALU_DEP_1) | instskip(NEXT) | instid1(VALU_DEP_1)
	v_mul_f32_e32 v121, v120, v118
	v_fma_f32 v122, -v117, v121, v120
	s_delay_alu instid0(VALU_DEP_1) | instskip(NEXT) | instid1(VALU_DEP_1)
	v_fmac_f32_e32 v121, v122, v118
	v_fma_f32 v117, -v117, v121, v120
	s_delay_alu instid0(VALU_DEP_1) | instskip(NEXT) | instid1(VALU_DEP_1)
	v_div_fmas_f32 v117, v117, v118, v121
	v_div_fixup_f32 v118, v117, v116, 1.0
	s_delay_alu instid0(VALU_DEP_1)
	v_mul_f32_e64 v119, v119, -v118
.LBB55_16:
	s_or_b32 exec_lo, exec_lo, s1
	ds_store_b64 v171, v[118:119]
.LBB55_17:
	s_or_b32 exec_lo, exec_lo, s2
	s_wait_dscnt 0x0
	s_barrier_signal -1
	s_barrier_wait -1
	ds_load_b64 v[116:117], v171
	s_mov_b32 s1, exec_lo
	v_cmpx_lt_u32_e32 1, v170
	s_cbranch_execz .LBB55_19
; %bb.18:
	ds_load_2addr_b64 v[122:125], v172 offset0:2 offset1:3
	s_wait_dscnt 0x1
	v_pk_mul_f32 v[120:121], v[116:117], v[58:59] op_sel:[1,1] op_sel_hi:[0,1]
	s_delay_alu instid0(VALU_DEP_1) | instskip(SKIP_1) | instid1(VALU_DEP_1)
	v_pk_fma_f32 v[118:119], v[116:117], v[58:59], v[120:121] op_sel_hi:[1,0,1] neg_lo:[0,0,1] neg_hi:[0,0,1]
	v_pk_fma_f32 v[120:121], v[116:117], v[58:59], v[120:121] op_sel_hi:[1,0,1]
	v_dual_mov_b32 v58, v118 :: v_dual_mov_b32 v59, v121
	s_wait_dscnt 0x0
	s_delay_alu instid0(VALU_DEP_2) | instskip(NEXT) | instid1(VALU_DEP_1)
	v_pk_mul_f32 v[126:127], v[122:123], v[120:121] op_sel:[0,1]
	v_pk_fma_f32 v[128:129], v[122:123], v[118:119], v[126:127] op_sel:[0,0,1] op_sel_hi:[1,1,0] neg_lo:[0,0,1] neg_hi:[0,0,1]
	v_pk_fma_f32 v[122:123], v[122:123], v[118:119], v[126:127] op_sel:[0,0,1] op_sel_hi:[1,0,0]
	s_delay_alu instid0(VALU_DEP_1) | instskip(SKIP_1) | instid1(VALU_DEP_1)
	v_mov_b32_e32 v129, v123
	v_pk_mul_f32 v[122:123], v[124:125], v[120:121] op_sel:[0,1]
	v_pk_fma_f32 v[126:127], v[124:125], v[118:119], v[122:123] op_sel:[0,0,1] op_sel_hi:[1,1,0] neg_lo:[0,0,1] neg_hi:[0,0,1]
	v_pk_fma_f32 v[122:123], v[124:125], v[118:119], v[122:123] op_sel:[0,0,1] op_sel_hi:[1,0,0]
	s_delay_alu instid0(VALU_DEP_1)
	v_mov_b32_e32 v127, v123
	ds_load_2addr_b64 v[122:125], v172 offset0:4 offset1:5
	v_pk_add_f32 v[48:49], v[48:49], v[128:129] neg_lo:[0,1] neg_hi:[0,1]
	v_pk_add_f32 v[46:47], v[46:47], v[126:127] neg_lo:[0,1] neg_hi:[0,1]
	s_wait_dscnt 0x0
	v_pk_mul_f32 v[126:127], v[122:123], v[120:121] op_sel:[0,1]
	s_delay_alu instid0(VALU_DEP_1) | instskip(SKIP_2) | instid1(VALU_DEP_2)
	v_pk_fma_f32 v[128:129], v[122:123], v[118:119], v[126:127] op_sel:[0,0,1] op_sel_hi:[1,1,0] neg_lo:[0,0,1] neg_hi:[0,0,1]
	v_pk_fma_f32 v[122:123], v[122:123], v[118:119], v[126:127] op_sel:[0,0,1] op_sel_hi:[1,0,0]
	v_dual_mul_f32 v126, v125, v121 :: v_dual_mov_b32 v122, v125
	v_dual_mov_b32 v129, v123 :: v_dual_mov_b32 v123, v124
	s_delay_alu instid0(VALU_DEP_2) | instskip(SKIP_1) | instid1(VALU_DEP_3)
	v_pk_fma_f32 v[126:127], v[124:125], v[58:59], v[126:127] op_sel_hi:[1,1,0] neg_lo:[0,0,1] neg_hi:[0,0,1]
	v_mul_f32_e32 v124, v125, v118
	v_pk_add_f32 v[28:29], v[28:29], v[128:129] neg_lo:[0,1] neg_hi:[0,1]
	s_delay_alu instid0(VALU_DEP_2) | instskip(NEXT) | instid1(VALU_DEP_1)
	v_pk_fma_f32 v[122:123], v[122:123], v[58:59], v[124:125] op_sel_hi:[1,1,0]
	v_mov_b32_e32 v127, v123
	ds_load_2addr_b64 v[122:125], v172 offset0:6 offset1:7
	v_pk_add_f32 v[24:25], v[24:25], v[126:127] neg_lo:[0,1] neg_hi:[0,1]
	s_wait_dscnt 0x0
	v_pk_mul_f32 v[126:127], v[122:123], v[120:121] op_sel:[0,1]
	s_delay_alu instid0(VALU_DEP_1) | instskip(SKIP_1) | instid1(VALU_DEP_1)
	v_pk_fma_f32 v[128:129], v[122:123], v[118:119], v[126:127] op_sel:[0,0,1] op_sel_hi:[1,1,0] neg_lo:[0,0,1] neg_hi:[0,0,1]
	v_pk_fma_f32 v[122:123], v[122:123], v[118:119], v[126:127] op_sel:[0,0,1] op_sel_hi:[1,0,0]
	v_mov_b32_e32 v129, v123
	v_pk_mul_f32 v[122:123], v[124:125], v[120:121] op_sel:[0,1]
	s_delay_alu instid0(VALU_DEP_1) | instskip(SKIP_1) | instid1(VALU_DEP_1)
	v_pk_fma_f32 v[126:127], v[124:125], v[118:119], v[122:123] op_sel:[0,0,1] op_sel_hi:[1,1,0] neg_lo:[0,0,1] neg_hi:[0,0,1]
	v_pk_fma_f32 v[122:123], v[124:125], v[118:119], v[122:123] op_sel:[0,0,1] op_sel_hi:[1,0,0]
	v_mov_b32_e32 v127, v123
	ds_load_2addr_b64 v[122:125], v172 offset0:8 offset1:9
	v_pk_add_f32 v[26:27], v[26:27], v[128:129] neg_lo:[0,1] neg_hi:[0,1]
	v_pk_add_f32 v[22:23], v[22:23], v[126:127] neg_lo:[0,1] neg_hi:[0,1]
	s_wait_dscnt 0x0
	v_pk_mul_f32 v[126:127], v[122:123], v[120:121] op_sel:[0,1]
	s_delay_alu instid0(VALU_DEP_1) | instskip(SKIP_1) | instid1(VALU_DEP_1)
	v_pk_fma_f32 v[128:129], v[122:123], v[118:119], v[126:127] op_sel:[0,0,1] op_sel_hi:[1,1,0] neg_lo:[0,0,1] neg_hi:[0,0,1]
	v_pk_fma_f32 v[122:123], v[122:123], v[118:119], v[126:127] op_sel:[0,0,1] op_sel_hi:[1,0,0]
	v_mov_b32_e32 v129, v123
	v_pk_mul_f32 v[122:123], v[124:125], v[120:121] op_sel:[0,1]
	s_delay_alu instid0(VALU_DEP_1) | instskip(SKIP_1) | instid1(VALU_DEP_1)
	v_pk_fma_f32 v[126:127], v[124:125], v[118:119], v[122:123] op_sel:[0,0,1] op_sel_hi:[1,1,0] neg_lo:[0,0,1] neg_hi:[0,0,1]
	v_pk_fma_f32 v[122:123], v[124:125], v[118:119], v[122:123] op_sel:[0,0,1] op_sel_hi:[1,0,0]
	v_mov_b32_e32 v127, v123
	ds_load_2addr_b64 v[122:125], v172 offset0:10 offset1:11
	v_pk_add_f32 v[42:43], v[42:43], v[128:129] neg_lo:[0,1] neg_hi:[0,1]
	v_pk_add_f32 v[38:39], v[38:39], v[126:127] neg_lo:[0,1] neg_hi:[0,1]
	s_wait_dscnt 0x0
	v_dual_mul_f32 v126, v123, v121 :: v_dual_mul_f32 v128, v123, v118
	s_delay_alu instid0(VALU_DEP_1) | instskip(NEXT) | instid1(VALU_DEP_2)
	v_pk_fma_f32 v[126:127], v[122:123], v[58:59], v[126:127] op_sel_hi:[1,1,0] neg_lo:[0,0,1] neg_hi:[0,0,1]
	v_pk_fma_f32 v[122:123], v[122:123], v[58:59], v[128:129] op_sel:[1,0,0] op_sel_hi:[0,1,0]
	s_delay_alu instid0(VALU_DEP_1) | instskip(SKIP_1) | instid1(VALU_DEP_2)
	v_mov_b32_e32 v127, v123
	v_pk_mul_f32 v[122:123], v[124:125], v[120:121] op_sel:[0,1]
	v_pk_add_f32 v[40:41], v[40:41], v[126:127] neg_lo:[0,1] neg_hi:[0,1]
	s_delay_alu instid0(VALU_DEP_2) | instskip(SKIP_1) | instid1(VALU_DEP_1)
	v_pk_fma_f32 v[126:127], v[124:125], v[118:119], v[122:123] op_sel:[0,0,1] op_sel_hi:[1,1,0] neg_lo:[0,0,1] neg_hi:[0,0,1]
	v_pk_fma_f32 v[122:123], v[124:125], v[118:119], v[122:123] op_sel:[0,0,1] op_sel_hi:[1,0,0]
	v_mov_b32_e32 v127, v123
	ds_load_2addr_b64 v[122:125], v172 offset0:12 offset1:13
	v_pk_add_f32 v[36:37], v[36:37], v[126:127] neg_lo:[0,1] neg_hi:[0,1]
	s_wait_dscnt 0x0
	v_pk_mul_f32 v[126:127], v[122:123], v[120:121] op_sel:[0,1]
	s_delay_alu instid0(VALU_DEP_1) | instskip(SKIP_1) | instid1(VALU_DEP_1)
	v_pk_fma_f32 v[128:129], v[122:123], v[118:119], v[126:127] op_sel:[0,0,1] op_sel_hi:[1,1,0] neg_lo:[0,0,1] neg_hi:[0,0,1]
	v_pk_fma_f32 v[122:123], v[122:123], v[118:119], v[126:127] op_sel:[0,0,1] op_sel_hi:[1,0,0]
	v_mov_b32_e32 v129, v123
	v_pk_mul_f32 v[122:123], v[124:125], v[120:121] op_sel:[0,1]
	s_delay_alu instid0(VALU_DEP_2) | instskip(NEXT) | instid1(VALU_DEP_2)
	v_pk_add_f32 v[64:65], v[64:65], v[128:129] neg_lo:[0,1] neg_hi:[0,1]
	v_pk_fma_f32 v[126:127], v[124:125], v[118:119], v[122:123] op_sel:[0,0,1] op_sel_hi:[1,1,0] neg_lo:[0,0,1] neg_hi:[0,0,1]
	v_pk_fma_f32 v[122:123], v[124:125], v[118:119], v[122:123] op_sel:[0,0,1] op_sel_hi:[1,0,0]
	s_delay_alu instid0(VALU_DEP_1) | instskip(SKIP_4) | instid1(VALU_DEP_1)
	v_mov_b32_e32 v127, v123
	ds_load_2addr_b64 v[122:125], v172 offset0:14 offset1:15
	v_pk_add_f32 v[60:61], v[60:61], v[126:127] neg_lo:[0,1] neg_hi:[0,1]
	s_wait_dscnt 0x0
	v_pk_mul_f32 v[126:127], v[122:123], v[120:121] op_sel:[0,1]
	v_pk_fma_f32 v[128:129], v[122:123], v[118:119], v[126:127] op_sel:[0,0,1] op_sel_hi:[1,1,0] neg_lo:[0,0,1] neg_hi:[0,0,1]
	v_pk_fma_f32 v[122:123], v[122:123], v[118:119], v[126:127] op_sel:[0,0,1] op_sel_hi:[1,0,0]
	v_dual_mul_f32 v126, v125, v121 :: v_dual_mov_b32 v122, v125
	s_delay_alu instid0(VALU_DEP_2) | instskip(NEXT) | instid1(VALU_DEP_2)
	v_dual_mov_b32 v129, v123 :: v_dual_mov_b32 v123, v124
	v_pk_fma_f32 v[126:127], v[124:125], v[58:59], v[126:127] op_sel_hi:[1,1,0] neg_lo:[0,0,1] neg_hi:[0,0,1]
	v_mul_f32_e32 v124, v125, v118
	s_delay_alu instid0(VALU_DEP_3) | instskip(NEXT) | instid1(VALU_DEP_2)
	v_pk_add_f32 v[62:63], v[62:63], v[128:129] neg_lo:[0,1] neg_hi:[0,1]
	v_pk_fma_f32 v[122:123], v[122:123], v[58:59], v[124:125] op_sel_hi:[1,1,0]
	s_delay_alu instid0(VALU_DEP_1) | instskip(SKIP_4) | instid1(VALU_DEP_1)
	v_mov_b32_e32 v127, v123
	ds_load_2addr_b64 v[122:125], v172 offset0:16 offset1:17
	v_pk_add_f32 v[104:105], v[104:105], v[126:127] neg_lo:[0,1] neg_hi:[0,1]
	s_wait_dscnt 0x0
	v_pk_mul_f32 v[126:127], v[122:123], v[120:121] op_sel:[0,1]
	v_pk_fma_f32 v[128:129], v[122:123], v[118:119], v[126:127] op_sel:[0,0,1] op_sel_hi:[1,1,0] neg_lo:[0,0,1] neg_hi:[0,0,1]
	v_pk_fma_f32 v[122:123], v[122:123], v[118:119], v[126:127] op_sel:[0,0,1] op_sel_hi:[1,0,0]
	s_delay_alu instid0(VALU_DEP_1) | instskip(SKIP_1) | instid1(VALU_DEP_1)
	v_mov_b32_e32 v129, v123
	v_pk_mul_f32 v[122:123], v[124:125], v[120:121] op_sel:[0,1]
	v_pk_fma_f32 v[126:127], v[124:125], v[118:119], v[122:123] op_sel:[0,0,1] op_sel_hi:[1,1,0] neg_lo:[0,0,1] neg_hi:[0,0,1]
	v_pk_fma_f32 v[122:123], v[124:125], v[118:119], v[122:123] op_sel:[0,0,1] op_sel_hi:[1,0,0]
	s_delay_alu instid0(VALU_DEP_1)
	v_mov_b32_e32 v127, v123
	ds_load_2addr_b64 v[122:125], v172 offset0:18 offset1:19
	v_pk_add_f32 v[84:85], v[84:85], v[128:129] neg_lo:[0,1] neg_hi:[0,1]
	v_pk_add_f32 v[80:81], v[80:81], v[126:127] neg_lo:[0,1] neg_hi:[0,1]
	s_wait_dscnt 0x0
	v_pk_mul_f32 v[126:127], v[122:123], v[120:121] op_sel:[0,1]
	s_delay_alu instid0(VALU_DEP_1) | instskip(SKIP_1) | instid1(VALU_DEP_1)
	v_pk_fma_f32 v[128:129], v[122:123], v[118:119], v[126:127] op_sel:[0,0,1] op_sel_hi:[1,1,0] neg_lo:[0,0,1] neg_hi:[0,0,1]
	v_pk_fma_f32 v[122:123], v[122:123], v[118:119], v[126:127] op_sel:[0,0,1] op_sel_hi:[1,0,0]
	v_mov_b32_e32 v129, v123
	v_pk_mul_f32 v[122:123], v[124:125], v[120:121] op_sel:[0,1]
	s_delay_alu instid0(VALU_DEP_1) | instskip(SKIP_1) | instid1(VALU_DEP_1)
	v_pk_fma_f32 v[126:127], v[124:125], v[118:119], v[122:123] op_sel:[0,0,1] op_sel_hi:[1,1,0] neg_lo:[0,0,1] neg_hi:[0,0,1]
	v_pk_fma_f32 v[122:123], v[124:125], v[118:119], v[122:123] op_sel:[0,0,1] op_sel_hi:[1,0,0]
	v_mov_b32_e32 v127, v123
	ds_load_2addr_b64 v[122:125], v172 offset0:20 offset1:21
	v_pk_add_f32 v[82:83], v[82:83], v[128:129] neg_lo:[0,1] neg_hi:[0,1]
	v_pk_add_f32 v[78:79], v[78:79], v[126:127] neg_lo:[0,1] neg_hi:[0,1]
	s_wait_dscnt 0x0
	v_dual_mul_f32 v126, v123, v121 :: v_dual_mul_f32 v128, v123, v118
	s_delay_alu instid0(VALU_DEP_1) | instskip(NEXT) | instid1(VALU_DEP_2)
	v_pk_fma_f32 v[126:127], v[122:123], v[58:59], v[126:127] op_sel_hi:[1,1,0] neg_lo:[0,0,1] neg_hi:[0,0,1]
	v_pk_fma_f32 v[122:123], v[122:123], v[58:59], v[128:129] op_sel:[1,0,0] op_sel_hi:[0,1,0]
	s_delay_alu instid0(VALU_DEP_1) | instskip(SKIP_1) | instid1(VALU_DEP_2)
	v_mov_b32_e32 v127, v123
	v_pk_mul_f32 v[122:123], v[124:125], v[120:121] op_sel:[0,1]
	v_pk_add_f32 v[102:103], v[102:103], v[126:127] neg_lo:[0,1] neg_hi:[0,1]
	s_delay_alu instid0(VALU_DEP_2) | instskip(SKIP_1) | instid1(VALU_DEP_1)
	v_pk_fma_f32 v[126:127], v[124:125], v[118:119], v[122:123] op_sel:[0,0,1] op_sel_hi:[1,1,0] neg_lo:[0,0,1] neg_hi:[0,0,1]
	v_pk_fma_f32 v[122:123], v[124:125], v[118:119], v[122:123] op_sel:[0,0,1] op_sel_hi:[1,0,0]
	v_mov_b32_e32 v127, v123
	ds_load_2addr_b64 v[122:125], v172 offset0:22 offset1:23
	v_pk_add_f32 v[98:99], v[98:99], v[126:127] neg_lo:[0,1] neg_hi:[0,1]
	s_wait_dscnt 0x0
	v_pk_mul_f32 v[126:127], v[122:123], v[120:121] op_sel:[0,1]
	s_delay_alu instid0(VALU_DEP_1) | instskip(SKIP_1) | instid1(VALU_DEP_1)
	v_pk_fma_f32 v[128:129], v[122:123], v[118:119], v[126:127] op_sel:[0,0,1] op_sel_hi:[1,1,0] neg_lo:[0,0,1] neg_hi:[0,0,1]
	v_pk_fma_f32 v[122:123], v[122:123], v[118:119], v[126:127] op_sel:[0,0,1] op_sel_hi:[1,0,0]
	v_mov_b32_e32 v129, v123
	v_pk_mul_f32 v[122:123], v[124:125], v[120:121] op_sel:[0,1]
	s_delay_alu instid0(VALU_DEP_2) | instskip(NEXT) | instid1(VALU_DEP_2)
	v_pk_add_f32 v[100:101], v[100:101], v[128:129] neg_lo:[0,1] neg_hi:[0,1]
	v_pk_fma_f32 v[126:127], v[124:125], v[118:119], v[122:123] op_sel:[0,0,1] op_sel_hi:[1,1,0] neg_lo:[0,0,1] neg_hi:[0,0,1]
	v_pk_fma_f32 v[122:123], v[124:125], v[118:119], v[122:123] op_sel:[0,0,1] op_sel_hi:[1,0,0]
	s_delay_alu instid0(VALU_DEP_1) | instskip(SKIP_4) | instid1(VALU_DEP_1)
	v_mov_b32_e32 v127, v123
	ds_load_2addr_b64 v[122:125], v172 offset0:24 offset1:25
	v_pk_add_f32 v[96:97], v[96:97], v[126:127] neg_lo:[0,1] neg_hi:[0,1]
	s_wait_dscnt 0x0
	v_pk_mul_f32 v[126:127], v[122:123], v[120:121] op_sel:[0,1]
	v_pk_fma_f32 v[128:129], v[122:123], v[118:119], v[126:127] op_sel:[0,0,1] op_sel_hi:[1,1,0] neg_lo:[0,0,1] neg_hi:[0,0,1]
	v_pk_fma_f32 v[122:123], v[122:123], v[118:119], v[126:127] op_sel:[0,0,1] op_sel_hi:[1,0,0]
	v_dual_mul_f32 v126, v125, v121 :: v_dual_mov_b32 v122, v125
	s_delay_alu instid0(VALU_DEP_2) | instskip(NEXT) | instid1(VALU_DEP_2)
	v_dual_mov_b32 v129, v123 :: v_dual_mov_b32 v123, v124
	v_pk_fma_f32 v[126:127], v[124:125], v[58:59], v[126:127] op_sel_hi:[1,1,0] neg_lo:[0,0,1] neg_hi:[0,0,1]
	v_mul_f32_e32 v124, v125, v118
	s_delay_alu instid0(VALU_DEP_3) | instskip(NEXT) | instid1(VALU_DEP_2)
	v_pk_add_f32 v[110:111], v[110:111], v[128:129] neg_lo:[0,1] neg_hi:[0,1]
	v_pk_fma_f32 v[122:123], v[122:123], v[58:59], v[124:125] op_sel_hi:[1,1,0]
	s_delay_alu instid0(VALU_DEP_1)
	v_mov_b32_e32 v127, v123
	ds_load_2addr_b64 v[122:125], v172 offset0:26 offset1:27
	v_pk_add_f32 v[108:109], v[108:109], v[126:127] neg_lo:[0,1] neg_hi:[0,1]
	s_wait_dscnt 0x0
	v_pk_mul_f32 v[126:127], v[122:123], v[120:121] op_sel:[0,1]
	v_pk_mul_f32 v[120:121], v[124:125], v[120:121] op_sel:[0,1]
	s_delay_alu instid0(VALU_DEP_2) | instskip(SKIP_1) | instid1(VALU_DEP_1)
	v_pk_fma_f32 v[128:129], v[122:123], v[118:119], v[126:127] op_sel:[0,0,1] op_sel_hi:[1,1,0] neg_lo:[0,0,1] neg_hi:[0,0,1]
	v_pk_fma_f32 v[122:123], v[122:123], v[118:119], v[126:127] op_sel:[0,0,1] op_sel_hi:[1,0,0]
	v_mov_b32_e32 v129, v123
	s_delay_alu instid0(VALU_DEP_4) | instskip(SKIP_1) | instid1(VALU_DEP_1)
	v_pk_fma_f32 v[122:123], v[124:125], v[118:119], v[120:121] op_sel:[0,0,1] op_sel_hi:[1,1,0] neg_lo:[0,0,1] neg_hi:[0,0,1]
	v_pk_fma_f32 v[118:119], v[124:125], v[118:119], v[120:121] op_sel:[0,0,1] op_sel_hi:[1,0,0]
	v_mov_b32_e32 v123, v119
	s_delay_alu instid0(VALU_DEP_4) | instskip(NEXT) | instid1(VALU_DEP_2)
	v_pk_add_f32 v[106:107], v[106:107], v[128:129] neg_lo:[0,1] neg_hi:[0,1]
	v_pk_add_f32 v[112:113], v[112:113], v[122:123] neg_lo:[0,1] neg_hi:[0,1]
.LBB55_19:
	s_or_b32 exec_lo, exec_lo, s1
	s_delay_alu instid0(SALU_CYCLE_1)
	s_mov_b32 s2, exec_lo
	s_wait_dscnt 0x0
	s_barrier_signal -1
	s_barrier_wait -1
	v_cmpx_eq_u32_e32 2, v170
	s_cbranch_execz .LBB55_26
; %bb.20:
	ds_store_b64 v171, v[48:49]
	ds_store_2addr_b64 v172, v[46:47], v[28:29] offset0:3 offset1:4
	ds_store_2addr_b64 v172, v[24:25], v[26:27] offset0:5 offset1:6
	;; [unrolled: 1-line block ×12, first 2 shown]
	ds_store_b64 v172, v[112:113] offset:216
	ds_load_b64 v[118:119], v171
	s_wait_dscnt 0x0
	v_cmp_neq_f32_e32 vcc_lo, 0, v118
	v_cmp_neq_f32_e64 s1, 0, v119
	s_or_b32 s1, vcc_lo, s1
	s_delay_alu instid0(SALU_CYCLE_1)
	s_and_b32 exec_lo, exec_lo, s1
	s_cbranch_execz .LBB55_26
; %bb.21:
	v_cmp_ngt_f32_e64 s1, |v118|, |v119|
                                        ; implicit-def: $vgpr120_vgpr121
	s_and_saveexec_b32 s4, s1
	s_delay_alu instid0(SALU_CYCLE_1)
	s_xor_b32 s1, exec_lo, s4
	s_cbranch_execz .LBB55_23
; %bb.22:
	v_div_scale_f32 v120, null, v119, v119, v118
	v_div_scale_f32 v123, vcc_lo, v118, v119, v118
	s_delay_alu instid0(VALU_DEP_2) | instskip(SKIP_1) | instid1(TRANS32_DEP_1)
	v_rcp_f32_e32 v121, v120
	v_nop
	v_fma_f32 v122, -v120, v121, 1.0
	s_delay_alu instid0(VALU_DEP_1) | instskip(NEXT) | instid1(VALU_DEP_1)
	v_fmac_f32_e32 v121, v122, v121
	v_mul_f32_e32 v122, v123, v121
	s_delay_alu instid0(VALU_DEP_1) | instskip(NEXT) | instid1(VALU_DEP_1)
	v_fma_f32 v124, -v120, v122, v123
	v_fmac_f32_e32 v122, v124, v121
	s_delay_alu instid0(VALU_DEP_1) | instskip(NEXT) | instid1(VALU_DEP_1)
	v_fma_f32 v120, -v120, v122, v123
	v_div_fmas_f32 v120, v120, v121, v122
	s_delay_alu instid0(VALU_DEP_1) | instskip(NEXT) | instid1(VALU_DEP_1)
	v_div_fixup_f32 v120, v120, v119, v118
	v_fmac_f32_e32 v119, v118, v120
	s_delay_alu instid0(VALU_DEP_1) | instskip(SKIP_1) | instid1(VALU_DEP_2)
	v_div_scale_f32 v118, null, v119, v119, 1.0
	v_div_scale_f32 v123, vcc_lo, 1.0, v119, 1.0
	v_rcp_f32_e32 v121, v118
	v_nop
	s_delay_alu instid0(TRANS32_DEP_1) | instskip(NEXT) | instid1(VALU_DEP_1)
	v_fma_f32 v122, -v118, v121, 1.0
	v_fmac_f32_e32 v121, v122, v121
	s_delay_alu instid0(VALU_DEP_1) | instskip(NEXT) | instid1(VALU_DEP_1)
	v_mul_f32_e32 v122, v123, v121
	v_fma_f32 v124, -v118, v122, v123
	s_delay_alu instid0(VALU_DEP_1) | instskip(NEXT) | instid1(VALU_DEP_1)
	v_fmac_f32_e32 v122, v124, v121
	v_fma_f32 v118, -v118, v122, v123
	s_delay_alu instid0(VALU_DEP_1) | instskip(NEXT) | instid1(VALU_DEP_1)
	v_div_fmas_f32 v118, v118, v121, v122
	v_div_fixup_f32 v118, v118, v119, 1.0
	s_delay_alu instid0(VALU_DEP_1)
	v_mul_f32_e32 v120, v120, v118
	v_xor_b32_e32 v121, 0x80000000, v118
                                        ; implicit-def: $vgpr118_vgpr119
.LBB55_23:
	s_and_not1_saveexec_b32 s1, s1
	s_cbranch_execz .LBB55_25
; %bb.24:
	v_div_scale_f32 v120, null, v118, v118, v119
	v_div_scale_f32 v123, vcc_lo, v119, v118, v119
	s_delay_alu instid0(VALU_DEP_2) | instskip(SKIP_1) | instid1(TRANS32_DEP_1)
	v_rcp_f32_e32 v121, v120
	v_nop
	v_fma_f32 v122, -v120, v121, 1.0
	s_delay_alu instid0(VALU_DEP_1) | instskip(NEXT) | instid1(VALU_DEP_1)
	v_fmac_f32_e32 v121, v122, v121
	v_mul_f32_e32 v122, v123, v121
	s_delay_alu instid0(VALU_DEP_1) | instskip(NEXT) | instid1(VALU_DEP_1)
	v_fma_f32 v124, -v120, v122, v123
	v_fmac_f32_e32 v122, v124, v121
	s_delay_alu instid0(VALU_DEP_1) | instskip(NEXT) | instid1(VALU_DEP_1)
	v_fma_f32 v120, -v120, v122, v123
	v_div_fmas_f32 v120, v120, v121, v122
	s_delay_alu instid0(VALU_DEP_1) | instskip(NEXT) | instid1(VALU_DEP_1)
	v_div_fixup_f32 v121, v120, v118, v119
	v_fmac_f32_e32 v118, v119, v121
	s_delay_alu instid0(VALU_DEP_1) | instskip(NEXT) | instid1(VALU_DEP_1)
	v_div_scale_f32 v119, null, v118, v118, 1.0
	v_rcp_f32_e32 v120, v119
	v_nop
	s_delay_alu instid0(TRANS32_DEP_1) | instskip(NEXT) | instid1(VALU_DEP_1)
	v_fma_f32 v122, -v119, v120, 1.0
	v_fmac_f32_e32 v120, v122, v120
	v_div_scale_f32 v122, vcc_lo, 1.0, v118, 1.0
	s_delay_alu instid0(VALU_DEP_1) | instskip(NEXT) | instid1(VALU_DEP_1)
	v_mul_f32_e32 v123, v122, v120
	v_fma_f32 v124, -v119, v123, v122
	s_delay_alu instid0(VALU_DEP_1) | instskip(NEXT) | instid1(VALU_DEP_1)
	v_fmac_f32_e32 v123, v124, v120
	v_fma_f32 v119, -v119, v123, v122
	s_delay_alu instid0(VALU_DEP_1) | instskip(NEXT) | instid1(VALU_DEP_1)
	v_div_fmas_f32 v119, v119, v120, v123
	v_div_fixup_f32 v120, v119, v118, 1.0
	s_delay_alu instid0(VALU_DEP_1)
	v_mul_f32_e64 v121, v121, -v120
.LBB55_25:
	s_or_b32 exec_lo, exec_lo, s1
	ds_store_b64 v171, v[120:121]
.LBB55_26:
	s_or_b32 exec_lo, exec_lo, s2
	s_wait_dscnt 0x0
	s_barrier_signal -1
	s_barrier_wait -1
	ds_load_b64 v[118:119], v171
	s_mov_b32 s1, exec_lo
	v_cmpx_lt_u32_e32 2, v170
	s_cbranch_execz .LBB55_28
; %bb.27:
	ds_load_2addr_b64 v[124:127], v172 offset0:3 offset1:4
	s_wait_dscnt 0x1
	v_pk_mul_f32 v[122:123], v[118:119], v[48:49] op_sel:[1,1] op_sel_hi:[0,1]
	s_delay_alu instid0(VALU_DEP_1) | instskip(SKIP_1) | instid1(VALU_DEP_1)
	v_pk_fma_f32 v[120:121], v[118:119], v[48:49], v[122:123] op_sel_hi:[1,0,1] neg_lo:[0,0,1] neg_hi:[0,0,1]
	v_pk_fma_f32 v[122:123], v[118:119], v[48:49], v[122:123] op_sel_hi:[1,0,1]
	v_dual_mov_b32 v48, v120 :: v_dual_mov_b32 v49, v123
	s_wait_dscnt 0x0
	s_delay_alu instid0(VALU_DEP_2) | instskip(NEXT) | instid1(VALU_DEP_1)
	v_pk_mul_f32 v[128:129], v[124:125], v[122:123] op_sel:[0,1]
	v_pk_fma_f32 v[130:131], v[124:125], v[120:121], v[128:129] op_sel:[0,0,1] op_sel_hi:[1,1,0] neg_lo:[0,0,1] neg_hi:[0,0,1]
	v_pk_fma_f32 v[124:125], v[124:125], v[120:121], v[128:129] op_sel:[0,0,1] op_sel_hi:[1,0,0]
	s_delay_alu instid0(VALU_DEP_1) | instskip(SKIP_1) | instid1(VALU_DEP_1)
	v_mov_b32_e32 v131, v125
	v_pk_mul_f32 v[124:125], v[126:127], v[122:123] op_sel:[0,1]
	v_pk_fma_f32 v[128:129], v[126:127], v[120:121], v[124:125] op_sel:[0,0,1] op_sel_hi:[1,1,0] neg_lo:[0,0,1] neg_hi:[0,0,1]
	v_pk_fma_f32 v[124:125], v[126:127], v[120:121], v[124:125] op_sel:[0,0,1] op_sel_hi:[1,0,0]
	s_delay_alu instid0(VALU_DEP_1)
	v_mov_b32_e32 v129, v125
	ds_load_2addr_b64 v[124:127], v172 offset0:5 offset1:6
	v_pk_add_f32 v[46:47], v[46:47], v[130:131] neg_lo:[0,1] neg_hi:[0,1]
	v_pk_add_f32 v[28:29], v[28:29], v[128:129] neg_lo:[0,1] neg_hi:[0,1]
	s_wait_dscnt 0x0
	v_pk_mul_f32 v[128:129], v[124:125], v[122:123] op_sel:[0,1]
	s_delay_alu instid0(VALU_DEP_1) | instskip(SKIP_2) | instid1(VALU_DEP_2)
	v_pk_fma_f32 v[130:131], v[124:125], v[120:121], v[128:129] op_sel:[0,0,1] op_sel_hi:[1,1,0] neg_lo:[0,0,1] neg_hi:[0,0,1]
	v_pk_fma_f32 v[124:125], v[124:125], v[120:121], v[128:129] op_sel:[0,0,1] op_sel_hi:[1,0,0]
	v_dual_mul_f32 v128, v127, v123 :: v_dual_mov_b32 v124, v127
	v_dual_mov_b32 v131, v125 :: v_dual_mov_b32 v125, v126
	s_delay_alu instid0(VALU_DEP_2) | instskip(SKIP_1) | instid1(VALU_DEP_3)
	v_pk_fma_f32 v[128:129], v[126:127], v[48:49], v[128:129] op_sel_hi:[1,1,0] neg_lo:[0,0,1] neg_hi:[0,0,1]
	v_mul_f32_e32 v126, v127, v120
	v_pk_add_f32 v[24:25], v[24:25], v[130:131] neg_lo:[0,1] neg_hi:[0,1]
	s_delay_alu instid0(VALU_DEP_2) | instskip(NEXT) | instid1(VALU_DEP_1)
	v_pk_fma_f32 v[124:125], v[124:125], v[48:49], v[126:127] op_sel_hi:[1,1,0]
	v_mov_b32_e32 v129, v125
	ds_load_2addr_b64 v[124:127], v172 offset0:7 offset1:8
	v_pk_add_f32 v[26:27], v[26:27], v[128:129] neg_lo:[0,1] neg_hi:[0,1]
	s_wait_dscnt 0x0
	v_pk_mul_f32 v[128:129], v[124:125], v[122:123] op_sel:[0,1]
	s_delay_alu instid0(VALU_DEP_1) | instskip(SKIP_1) | instid1(VALU_DEP_1)
	v_pk_fma_f32 v[130:131], v[124:125], v[120:121], v[128:129] op_sel:[0,0,1] op_sel_hi:[1,1,0] neg_lo:[0,0,1] neg_hi:[0,0,1]
	v_pk_fma_f32 v[124:125], v[124:125], v[120:121], v[128:129] op_sel:[0,0,1] op_sel_hi:[1,0,0]
	v_mov_b32_e32 v131, v125
	v_pk_mul_f32 v[124:125], v[126:127], v[122:123] op_sel:[0,1]
	s_delay_alu instid0(VALU_DEP_1) | instskip(SKIP_1) | instid1(VALU_DEP_1)
	v_pk_fma_f32 v[128:129], v[126:127], v[120:121], v[124:125] op_sel:[0,0,1] op_sel_hi:[1,1,0] neg_lo:[0,0,1] neg_hi:[0,0,1]
	v_pk_fma_f32 v[124:125], v[126:127], v[120:121], v[124:125] op_sel:[0,0,1] op_sel_hi:[1,0,0]
	v_mov_b32_e32 v129, v125
	ds_load_2addr_b64 v[124:127], v172 offset0:9 offset1:10
	v_pk_add_f32 v[22:23], v[22:23], v[130:131] neg_lo:[0,1] neg_hi:[0,1]
	v_pk_add_f32 v[42:43], v[42:43], v[128:129] neg_lo:[0,1] neg_hi:[0,1]
	s_wait_dscnt 0x0
	v_pk_mul_f32 v[128:129], v[124:125], v[122:123] op_sel:[0,1]
	s_delay_alu instid0(VALU_DEP_1) | instskip(SKIP_1) | instid1(VALU_DEP_1)
	v_pk_fma_f32 v[130:131], v[124:125], v[120:121], v[128:129] op_sel:[0,0,1] op_sel_hi:[1,1,0] neg_lo:[0,0,1] neg_hi:[0,0,1]
	v_pk_fma_f32 v[124:125], v[124:125], v[120:121], v[128:129] op_sel:[0,0,1] op_sel_hi:[1,0,0]
	v_mov_b32_e32 v131, v125
	v_pk_mul_f32 v[124:125], v[126:127], v[122:123] op_sel:[0,1]
	s_delay_alu instid0(VALU_DEP_1) | instskip(SKIP_1) | instid1(VALU_DEP_1)
	v_pk_fma_f32 v[128:129], v[126:127], v[120:121], v[124:125] op_sel:[0,0,1] op_sel_hi:[1,1,0] neg_lo:[0,0,1] neg_hi:[0,0,1]
	v_pk_fma_f32 v[124:125], v[126:127], v[120:121], v[124:125] op_sel:[0,0,1] op_sel_hi:[1,0,0]
	v_mov_b32_e32 v129, v125
	ds_load_2addr_b64 v[124:127], v172 offset0:11 offset1:12
	v_pk_add_f32 v[38:39], v[38:39], v[130:131] neg_lo:[0,1] neg_hi:[0,1]
	v_pk_add_f32 v[40:41], v[40:41], v[128:129] neg_lo:[0,1] neg_hi:[0,1]
	s_wait_dscnt 0x0
	v_dual_mul_f32 v128, v125, v123 :: v_dual_mul_f32 v130, v125, v120
	s_delay_alu instid0(VALU_DEP_1) | instskip(NEXT) | instid1(VALU_DEP_2)
	v_pk_fma_f32 v[128:129], v[124:125], v[48:49], v[128:129] op_sel_hi:[1,1,0] neg_lo:[0,0,1] neg_hi:[0,0,1]
	v_pk_fma_f32 v[124:125], v[124:125], v[48:49], v[130:131] op_sel:[1,0,0] op_sel_hi:[0,1,0]
	s_delay_alu instid0(VALU_DEP_1) | instskip(SKIP_1) | instid1(VALU_DEP_2)
	v_mov_b32_e32 v129, v125
	v_pk_mul_f32 v[124:125], v[126:127], v[122:123] op_sel:[0,1]
	v_pk_add_f32 v[36:37], v[36:37], v[128:129] neg_lo:[0,1] neg_hi:[0,1]
	s_delay_alu instid0(VALU_DEP_2) | instskip(SKIP_1) | instid1(VALU_DEP_1)
	v_pk_fma_f32 v[128:129], v[126:127], v[120:121], v[124:125] op_sel:[0,0,1] op_sel_hi:[1,1,0] neg_lo:[0,0,1] neg_hi:[0,0,1]
	v_pk_fma_f32 v[124:125], v[126:127], v[120:121], v[124:125] op_sel:[0,0,1] op_sel_hi:[1,0,0]
	v_mov_b32_e32 v129, v125
	ds_load_2addr_b64 v[124:127], v172 offset0:13 offset1:14
	v_pk_add_f32 v[64:65], v[64:65], v[128:129] neg_lo:[0,1] neg_hi:[0,1]
	s_wait_dscnt 0x0
	v_pk_mul_f32 v[128:129], v[124:125], v[122:123] op_sel:[0,1]
	s_delay_alu instid0(VALU_DEP_1) | instskip(SKIP_1) | instid1(VALU_DEP_1)
	v_pk_fma_f32 v[130:131], v[124:125], v[120:121], v[128:129] op_sel:[0,0,1] op_sel_hi:[1,1,0] neg_lo:[0,0,1] neg_hi:[0,0,1]
	v_pk_fma_f32 v[124:125], v[124:125], v[120:121], v[128:129] op_sel:[0,0,1] op_sel_hi:[1,0,0]
	v_mov_b32_e32 v131, v125
	v_pk_mul_f32 v[124:125], v[126:127], v[122:123] op_sel:[0,1]
	s_delay_alu instid0(VALU_DEP_2) | instskip(NEXT) | instid1(VALU_DEP_2)
	v_pk_add_f32 v[60:61], v[60:61], v[130:131] neg_lo:[0,1] neg_hi:[0,1]
	v_pk_fma_f32 v[128:129], v[126:127], v[120:121], v[124:125] op_sel:[0,0,1] op_sel_hi:[1,1,0] neg_lo:[0,0,1] neg_hi:[0,0,1]
	v_pk_fma_f32 v[124:125], v[126:127], v[120:121], v[124:125] op_sel:[0,0,1] op_sel_hi:[1,0,0]
	s_delay_alu instid0(VALU_DEP_1) | instskip(SKIP_4) | instid1(VALU_DEP_1)
	v_mov_b32_e32 v129, v125
	ds_load_2addr_b64 v[124:127], v172 offset0:15 offset1:16
	v_pk_add_f32 v[62:63], v[62:63], v[128:129] neg_lo:[0,1] neg_hi:[0,1]
	s_wait_dscnt 0x0
	v_pk_mul_f32 v[128:129], v[124:125], v[122:123] op_sel:[0,1]
	v_pk_fma_f32 v[130:131], v[124:125], v[120:121], v[128:129] op_sel:[0,0,1] op_sel_hi:[1,1,0] neg_lo:[0,0,1] neg_hi:[0,0,1]
	v_pk_fma_f32 v[124:125], v[124:125], v[120:121], v[128:129] op_sel:[0,0,1] op_sel_hi:[1,0,0]
	v_dual_mul_f32 v128, v127, v123 :: v_dual_mov_b32 v124, v127
	s_delay_alu instid0(VALU_DEP_2) | instskip(NEXT) | instid1(VALU_DEP_2)
	v_dual_mov_b32 v131, v125 :: v_dual_mov_b32 v125, v126
	v_pk_fma_f32 v[128:129], v[126:127], v[48:49], v[128:129] op_sel_hi:[1,1,0] neg_lo:[0,0,1] neg_hi:[0,0,1]
	v_mul_f32_e32 v126, v127, v120
	s_delay_alu instid0(VALU_DEP_3) | instskip(NEXT) | instid1(VALU_DEP_2)
	v_pk_add_f32 v[104:105], v[104:105], v[130:131] neg_lo:[0,1] neg_hi:[0,1]
	v_pk_fma_f32 v[124:125], v[124:125], v[48:49], v[126:127] op_sel_hi:[1,1,0]
	s_delay_alu instid0(VALU_DEP_1) | instskip(SKIP_4) | instid1(VALU_DEP_1)
	v_mov_b32_e32 v129, v125
	ds_load_2addr_b64 v[124:127], v172 offset0:17 offset1:18
	v_pk_add_f32 v[84:85], v[84:85], v[128:129] neg_lo:[0,1] neg_hi:[0,1]
	s_wait_dscnt 0x0
	v_pk_mul_f32 v[128:129], v[124:125], v[122:123] op_sel:[0,1]
	v_pk_fma_f32 v[130:131], v[124:125], v[120:121], v[128:129] op_sel:[0,0,1] op_sel_hi:[1,1,0] neg_lo:[0,0,1] neg_hi:[0,0,1]
	v_pk_fma_f32 v[124:125], v[124:125], v[120:121], v[128:129] op_sel:[0,0,1] op_sel_hi:[1,0,0]
	s_delay_alu instid0(VALU_DEP_1) | instskip(SKIP_1) | instid1(VALU_DEP_1)
	v_mov_b32_e32 v131, v125
	v_pk_mul_f32 v[124:125], v[126:127], v[122:123] op_sel:[0,1]
	v_pk_fma_f32 v[128:129], v[126:127], v[120:121], v[124:125] op_sel:[0,0,1] op_sel_hi:[1,1,0] neg_lo:[0,0,1] neg_hi:[0,0,1]
	v_pk_fma_f32 v[124:125], v[126:127], v[120:121], v[124:125] op_sel:[0,0,1] op_sel_hi:[1,0,0]
	s_delay_alu instid0(VALU_DEP_1)
	v_mov_b32_e32 v129, v125
	ds_load_2addr_b64 v[124:127], v172 offset0:19 offset1:20
	v_pk_add_f32 v[80:81], v[80:81], v[130:131] neg_lo:[0,1] neg_hi:[0,1]
	v_pk_add_f32 v[82:83], v[82:83], v[128:129] neg_lo:[0,1] neg_hi:[0,1]
	s_wait_dscnt 0x0
	v_pk_mul_f32 v[128:129], v[124:125], v[122:123] op_sel:[0,1]
	s_delay_alu instid0(VALU_DEP_1) | instskip(SKIP_1) | instid1(VALU_DEP_1)
	v_pk_fma_f32 v[130:131], v[124:125], v[120:121], v[128:129] op_sel:[0,0,1] op_sel_hi:[1,1,0] neg_lo:[0,0,1] neg_hi:[0,0,1]
	v_pk_fma_f32 v[124:125], v[124:125], v[120:121], v[128:129] op_sel:[0,0,1] op_sel_hi:[1,0,0]
	v_mov_b32_e32 v131, v125
	v_pk_mul_f32 v[124:125], v[126:127], v[122:123] op_sel:[0,1]
	s_delay_alu instid0(VALU_DEP_1) | instskip(SKIP_1) | instid1(VALU_DEP_1)
	v_pk_fma_f32 v[128:129], v[126:127], v[120:121], v[124:125] op_sel:[0,0,1] op_sel_hi:[1,1,0] neg_lo:[0,0,1] neg_hi:[0,0,1]
	v_pk_fma_f32 v[124:125], v[126:127], v[120:121], v[124:125] op_sel:[0,0,1] op_sel_hi:[1,0,0]
	v_mov_b32_e32 v129, v125
	ds_load_2addr_b64 v[124:127], v172 offset0:21 offset1:22
	v_pk_add_f32 v[78:79], v[78:79], v[130:131] neg_lo:[0,1] neg_hi:[0,1]
	v_pk_add_f32 v[102:103], v[102:103], v[128:129] neg_lo:[0,1] neg_hi:[0,1]
	s_wait_dscnt 0x0
	v_dual_mul_f32 v128, v125, v123 :: v_dual_mul_f32 v130, v125, v120
	s_delay_alu instid0(VALU_DEP_1) | instskip(NEXT) | instid1(VALU_DEP_2)
	v_pk_fma_f32 v[128:129], v[124:125], v[48:49], v[128:129] op_sel_hi:[1,1,0] neg_lo:[0,0,1] neg_hi:[0,0,1]
	v_pk_fma_f32 v[124:125], v[124:125], v[48:49], v[130:131] op_sel:[1,0,0] op_sel_hi:[0,1,0]
	s_delay_alu instid0(VALU_DEP_1) | instskip(SKIP_1) | instid1(VALU_DEP_2)
	v_mov_b32_e32 v129, v125
	v_pk_mul_f32 v[124:125], v[126:127], v[122:123] op_sel:[0,1]
	v_pk_add_f32 v[98:99], v[98:99], v[128:129] neg_lo:[0,1] neg_hi:[0,1]
	s_delay_alu instid0(VALU_DEP_2) | instskip(SKIP_1) | instid1(VALU_DEP_1)
	v_pk_fma_f32 v[128:129], v[126:127], v[120:121], v[124:125] op_sel:[0,0,1] op_sel_hi:[1,1,0] neg_lo:[0,0,1] neg_hi:[0,0,1]
	v_pk_fma_f32 v[124:125], v[126:127], v[120:121], v[124:125] op_sel:[0,0,1] op_sel_hi:[1,0,0]
	v_mov_b32_e32 v129, v125
	ds_load_2addr_b64 v[124:127], v172 offset0:23 offset1:24
	v_pk_add_f32 v[100:101], v[100:101], v[128:129] neg_lo:[0,1] neg_hi:[0,1]
	s_wait_dscnt 0x0
	v_pk_mul_f32 v[128:129], v[124:125], v[122:123] op_sel:[0,1]
	s_delay_alu instid0(VALU_DEP_1) | instskip(SKIP_1) | instid1(VALU_DEP_1)
	v_pk_fma_f32 v[130:131], v[124:125], v[120:121], v[128:129] op_sel:[0,0,1] op_sel_hi:[1,1,0] neg_lo:[0,0,1] neg_hi:[0,0,1]
	v_pk_fma_f32 v[124:125], v[124:125], v[120:121], v[128:129] op_sel:[0,0,1] op_sel_hi:[1,0,0]
	v_mov_b32_e32 v131, v125
	v_pk_mul_f32 v[124:125], v[126:127], v[122:123] op_sel:[0,1]
	s_delay_alu instid0(VALU_DEP_2) | instskip(NEXT) | instid1(VALU_DEP_2)
	v_pk_add_f32 v[96:97], v[96:97], v[130:131] neg_lo:[0,1] neg_hi:[0,1]
	v_pk_fma_f32 v[128:129], v[126:127], v[120:121], v[124:125] op_sel:[0,0,1] op_sel_hi:[1,1,0] neg_lo:[0,0,1] neg_hi:[0,0,1]
	v_pk_fma_f32 v[124:125], v[126:127], v[120:121], v[124:125] op_sel:[0,0,1] op_sel_hi:[1,0,0]
	s_delay_alu instid0(VALU_DEP_1) | instskip(SKIP_4) | instid1(VALU_DEP_1)
	v_mov_b32_e32 v129, v125
	ds_load_2addr_b64 v[124:127], v172 offset0:25 offset1:26
	v_pk_add_f32 v[110:111], v[110:111], v[128:129] neg_lo:[0,1] neg_hi:[0,1]
	s_wait_dscnt 0x0
	v_pk_mul_f32 v[128:129], v[124:125], v[122:123] op_sel:[0,1]
	v_pk_fma_f32 v[130:131], v[124:125], v[120:121], v[128:129] op_sel:[0,0,1] op_sel_hi:[1,1,0] neg_lo:[0,0,1] neg_hi:[0,0,1]
	v_pk_fma_f32 v[124:125], v[124:125], v[120:121], v[128:129] op_sel:[0,0,1] op_sel_hi:[1,0,0]
	v_dual_mul_f32 v128, v127, v123 :: v_dual_mov_b32 v124, v127
	s_delay_alu instid0(VALU_DEP_2) | instskip(NEXT) | instid1(VALU_DEP_2)
	v_dual_mov_b32 v131, v125 :: v_dual_mov_b32 v125, v126
	v_pk_fma_f32 v[128:129], v[126:127], v[48:49], v[128:129] op_sel_hi:[1,1,0] neg_lo:[0,0,1] neg_hi:[0,0,1]
	v_mul_f32_e32 v126, v127, v120
	s_delay_alu instid0(VALU_DEP_3) | instskip(NEXT) | instid1(VALU_DEP_2)
	v_pk_add_f32 v[108:109], v[108:109], v[130:131] neg_lo:[0,1] neg_hi:[0,1]
	v_pk_fma_f32 v[124:125], v[124:125], v[48:49], v[126:127] op_sel_hi:[1,1,0]
	s_delay_alu instid0(VALU_DEP_1) | instskip(SKIP_4) | instid1(VALU_DEP_1)
	v_mov_b32_e32 v129, v125
	ds_load_b64 v[124:125], v172 offset:216
	v_pk_add_f32 v[106:107], v[106:107], v[128:129] neg_lo:[0,1] neg_hi:[0,1]
	s_wait_dscnt 0x0
	v_pk_mul_f32 v[122:123], v[124:125], v[122:123] op_sel:[0,1]
	v_pk_fma_f32 v[126:127], v[124:125], v[120:121], v[122:123] op_sel:[0,0,1] op_sel_hi:[1,1,0] neg_lo:[0,0,1] neg_hi:[0,0,1]
	v_pk_fma_f32 v[120:121], v[124:125], v[120:121], v[122:123] op_sel:[0,0,1] op_sel_hi:[1,0,0]
	s_delay_alu instid0(VALU_DEP_1) | instskip(NEXT) | instid1(VALU_DEP_1)
	v_mov_b32_e32 v127, v121
	v_pk_add_f32 v[112:113], v[112:113], v[126:127] neg_lo:[0,1] neg_hi:[0,1]
.LBB55_28:
	s_or_b32 exec_lo, exec_lo, s1
	s_delay_alu instid0(SALU_CYCLE_1)
	s_mov_b32 s2, exec_lo
	s_wait_dscnt 0x0
	s_barrier_signal -1
	s_barrier_wait -1
	v_cmpx_eq_u32_e32 3, v170
	s_cbranch_execz .LBB55_35
; %bb.29:
	v_dual_mov_b32 v120, v28 :: v_dual_mov_b32 v121, v29
	v_dual_mov_b32 v122, v24 :: v_dual_mov_b32 v123, v25
	ds_store_b64 v171, v[46:47]
	ds_store_2addr_b64 v172, v[120:121], v[122:123] offset0:4 offset1:5
	v_dual_mov_b32 v120, v26 :: v_dual_mov_b32 v121, v27
	v_dual_mov_b32 v122, v22 :: v_dual_mov_b32 v123, v23
	ds_store_2addr_b64 v172, v[120:121], v[122:123] offset0:6 offset1:7
	v_dual_mov_b32 v120, v42 :: v_dual_mov_b32 v121, v43
	v_dual_mov_b32 v122, v38 :: v_dual_mov_b32 v123, v39
	;; [unrolled: 3-line block ×10, first 2 shown]
	ds_store_2addr_b64 v172, v[120:121], v[122:123] offset0:24 offset1:25
	v_dual_mov_b32 v120, v106 :: v_dual_mov_b32 v121, v107
	ds_store_2addr_b64 v172, v[120:121], v[112:113] offset0:26 offset1:27
	ds_load_b64 v[120:121], v171
	s_wait_dscnt 0x0
	v_cmp_neq_f32_e32 vcc_lo, 0, v120
	v_cmp_neq_f32_e64 s1, 0, v121
	s_or_b32 s1, vcc_lo, s1
	s_delay_alu instid0(SALU_CYCLE_1)
	s_and_b32 exec_lo, exec_lo, s1
	s_cbranch_execz .LBB55_35
; %bb.30:
	v_cmp_ngt_f32_e64 s1, |v120|, |v121|
                                        ; implicit-def: $vgpr122_vgpr123
	s_and_saveexec_b32 s4, s1
	s_delay_alu instid0(SALU_CYCLE_1)
	s_xor_b32 s1, exec_lo, s4
	s_cbranch_execz .LBB55_32
; %bb.31:
	v_div_scale_f32 v122, null, v121, v121, v120
	v_div_scale_f32 v125, vcc_lo, v120, v121, v120
	s_delay_alu instid0(VALU_DEP_2) | instskip(SKIP_1) | instid1(TRANS32_DEP_1)
	v_rcp_f32_e32 v123, v122
	v_nop
	v_fma_f32 v124, -v122, v123, 1.0
	s_delay_alu instid0(VALU_DEP_1) | instskip(NEXT) | instid1(VALU_DEP_1)
	v_fmac_f32_e32 v123, v124, v123
	v_mul_f32_e32 v124, v125, v123
	s_delay_alu instid0(VALU_DEP_1) | instskip(NEXT) | instid1(VALU_DEP_1)
	v_fma_f32 v126, -v122, v124, v125
	v_fmac_f32_e32 v124, v126, v123
	s_delay_alu instid0(VALU_DEP_1) | instskip(NEXT) | instid1(VALU_DEP_1)
	v_fma_f32 v122, -v122, v124, v125
	v_div_fmas_f32 v122, v122, v123, v124
	s_delay_alu instid0(VALU_DEP_1) | instskip(NEXT) | instid1(VALU_DEP_1)
	v_div_fixup_f32 v122, v122, v121, v120
	v_fmac_f32_e32 v121, v120, v122
	s_delay_alu instid0(VALU_DEP_1) | instskip(SKIP_1) | instid1(VALU_DEP_2)
	v_div_scale_f32 v120, null, v121, v121, 1.0
	v_div_scale_f32 v125, vcc_lo, 1.0, v121, 1.0
	v_rcp_f32_e32 v123, v120
	v_nop
	s_delay_alu instid0(TRANS32_DEP_1) | instskip(NEXT) | instid1(VALU_DEP_1)
	v_fma_f32 v124, -v120, v123, 1.0
	v_fmac_f32_e32 v123, v124, v123
	s_delay_alu instid0(VALU_DEP_1) | instskip(NEXT) | instid1(VALU_DEP_1)
	v_mul_f32_e32 v124, v125, v123
	v_fma_f32 v126, -v120, v124, v125
	s_delay_alu instid0(VALU_DEP_1) | instskip(NEXT) | instid1(VALU_DEP_1)
	v_fmac_f32_e32 v124, v126, v123
	v_fma_f32 v120, -v120, v124, v125
	s_delay_alu instid0(VALU_DEP_1) | instskip(NEXT) | instid1(VALU_DEP_1)
	v_div_fmas_f32 v120, v120, v123, v124
	v_div_fixup_f32 v120, v120, v121, 1.0
	s_delay_alu instid0(VALU_DEP_1)
	v_mul_f32_e32 v122, v122, v120
	v_xor_b32_e32 v123, 0x80000000, v120
                                        ; implicit-def: $vgpr120_vgpr121
.LBB55_32:
	s_and_not1_saveexec_b32 s1, s1
	s_cbranch_execz .LBB55_34
; %bb.33:
	v_div_scale_f32 v122, null, v120, v120, v121
	v_div_scale_f32 v125, vcc_lo, v121, v120, v121
	s_delay_alu instid0(VALU_DEP_2) | instskip(SKIP_1) | instid1(TRANS32_DEP_1)
	v_rcp_f32_e32 v123, v122
	v_nop
	v_fma_f32 v124, -v122, v123, 1.0
	s_delay_alu instid0(VALU_DEP_1) | instskip(NEXT) | instid1(VALU_DEP_1)
	v_fmac_f32_e32 v123, v124, v123
	v_mul_f32_e32 v124, v125, v123
	s_delay_alu instid0(VALU_DEP_1) | instskip(NEXT) | instid1(VALU_DEP_1)
	v_fma_f32 v126, -v122, v124, v125
	v_fmac_f32_e32 v124, v126, v123
	s_delay_alu instid0(VALU_DEP_1) | instskip(NEXT) | instid1(VALU_DEP_1)
	v_fma_f32 v122, -v122, v124, v125
	v_div_fmas_f32 v122, v122, v123, v124
	s_delay_alu instid0(VALU_DEP_1) | instskip(NEXT) | instid1(VALU_DEP_1)
	v_div_fixup_f32 v123, v122, v120, v121
	v_fmac_f32_e32 v120, v121, v123
	s_delay_alu instid0(VALU_DEP_1) | instskip(NEXT) | instid1(VALU_DEP_1)
	v_div_scale_f32 v121, null, v120, v120, 1.0
	v_rcp_f32_e32 v122, v121
	v_nop
	s_delay_alu instid0(TRANS32_DEP_1) | instskip(NEXT) | instid1(VALU_DEP_1)
	v_fma_f32 v124, -v121, v122, 1.0
	v_fmac_f32_e32 v122, v124, v122
	v_div_scale_f32 v124, vcc_lo, 1.0, v120, 1.0
	s_delay_alu instid0(VALU_DEP_1) | instskip(NEXT) | instid1(VALU_DEP_1)
	v_mul_f32_e32 v125, v124, v122
	v_fma_f32 v126, -v121, v125, v124
	s_delay_alu instid0(VALU_DEP_1) | instskip(NEXT) | instid1(VALU_DEP_1)
	v_fmac_f32_e32 v125, v126, v122
	v_fma_f32 v121, -v121, v125, v124
	s_delay_alu instid0(VALU_DEP_1) | instskip(NEXT) | instid1(VALU_DEP_1)
	v_div_fmas_f32 v121, v121, v122, v125
	v_div_fixup_f32 v122, v121, v120, 1.0
	s_delay_alu instid0(VALU_DEP_1)
	v_mul_f32_e64 v123, v123, -v122
.LBB55_34:
	s_or_b32 exec_lo, exec_lo, s1
	ds_store_b64 v171, v[122:123]
.LBB55_35:
	s_or_b32 exec_lo, exec_lo, s2
	s_wait_dscnt 0x0
	s_barrier_signal -1
	s_barrier_wait -1
	ds_load_b64 v[120:121], v171
	s_mov_b32 s1, exec_lo
	v_cmpx_lt_u32_e32 3, v170
	s_cbranch_execz .LBB55_37
; %bb.36:
	ds_load_2addr_b64 v[126:129], v172 offset0:4 offset1:5
	s_wait_dscnt 0x1
	v_pk_mul_f32 v[124:125], v[120:121], v[46:47] op_sel:[1,1] op_sel_hi:[0,1]
	s_delay_alu instid0(VALU_DEP_1) | instskip(SKIP_1) | instid1(VALU_DEP_1)
	v_pk_fma_f32 v[122:123], v[120:121], v[46:47], v[124:125] op_sel_hi:[1,0,1] neg_lo:[0,0,1] neg_hi:[0,0,1]
	v_pk_fma_f32 v[124:125], v[120:121], v[46:47], v[124:125] op_sel_hi:[1,0,1]
	v_dual_mov_b32 v46, v122 :: v_dual_mov_b32 v47, v125
	s_wait_dscnt 0x0
	s_delay_alu instid0(VALU_DEP_2) | instskip(NEXT) | instid1(VALU_DEP_1)
	v_pk_mul_f32 v[130:131], v[126:127], v[124:125] op_sel:[0,1]
	v_pk_fma_f32 v[132:133], v[126:127], v[122:123], v[130:131] op_sel:[0,0,1] op_sel_hi:[1,1,0] neg_lo:[0,0,1] neg_hi:[0,0,1]
	v_pk_fma_f32 v[126:127], v[126:127], v[122:123], v[130:131] op_sel:[0,0,1] op_sel_hi:[1,0,0]
	s_delay_alu instid0(VALU_DEP_1) | instskip(SKIP_1) | instid1(VALU_DEP_1)
	v_mov_b32_e32 v133, v127
	v_pk_mul_f32 v[126:127], v[128:129], v[124:125] op_sel:[0,1]
	v_pk_fma_f32 v[130:131], v[128:129], v[122:123], v[126:127] op_sel:[0,0,1] op_sel_hi:[1,1,0] neg_lo:[0,0,1] neg_hi:[0,0,1]
	v_pk_fma_f32 v[126:127], v[128:129], v[122:123], v[126:127] op_sel:[0,0,1] op_sel_hi:[1,0,0]
	s_delay_alu instid0(VALU_DEP_1)
	v_mov_b32_e32 v131, v127
	ds_load_2addr_b64 v[126:129], v172 offset0:6 offset1:7
	v_pk_add_f32 v[28:29], v[28:29], v[132:133] neg_lo:[0,1] neg_hi:[0,1]
	v_pk_add_f32 v[24:25], v[24:25], v[130:131] neg_lo:[0,1] neg_hi:[0,1]
	s_wait_dscnt 0x0
	v_pk_mul_f32 v[130:131], v[126:127], v[124:125] op_sel:[0,1]
	s_delay_alu instid0(VALU_DEP_1) | instskip(SKIP_2) | instid1(VALU_DEP_2)
	v_pk_fma_f32 v[132:133], v[126:127], v[122:123], v[130:131] op_sel:[0,0,1] op_sel_hi:[1,1,0] neg_lo:[0,0,1] neg_hi:[0,0,1]
	v_pk_fma_f32 v[126:127], v[126:127], v[122:123], v[130:131] op_sel:[0,0,1] op_sel_hi:[1,0,0]
	v_dual_mul_f32 v130, v129, v125 :: v_dual_mov_b32 v126, v129
	v_dual_mov_b32 v133, v127 :: v_dual_mov_b32 v127, v128
	s_delay_alu instid0(VALU_DEP_2) | instskip(SKIP_1) | instid1(VALU_DEP_3)
	v_pk_fma_f32 v[130:131], v[128:129], v[46:47], v[130:131] op_sel_hi:[1,1,0] neg_lo:[0,0,1] neg_hi:[0,0,1]
	v_mul_f32_e32 v128, v129, v122
	v_pk_add_f32 v[26:27], v[26:27], v[132:133] neg_lo:[0,1] neg_hi:[0,1]
	s_delay_alu instid0(VALU_DEP_2) | instskip(NEXT) | instid1(VALU_DEP_1)
	v_pk_fma_f32 v[126:127], v[126:127], v[46:47], v[128:129] op_sel_hi:[1,1,0]
	v_mov_b32_e32 v131, v127
	ds_load_2addr_b64 v[126:129], v172 offset0:8 offset1:9
	v_pk_add_f32 v[22:23], v[22:23], v[130:131] neg_lo:[0,1] neg_hi:[0,1]
	s_wait_dscnt 0x0
	v_pk_mul_f32 v[130:131], v[126:127], v[124:125] op_sel:[0,1]
	s_delay_alu instid0(VALU_DEP_1) | instskip(SKIP_1) | instid1(VALU_DEP_1)
	v_pk_fma_f32 v[132:133], v[126:127], v[122:123], v[130:131] op_sel:[0,0,1] op_sel_hi:[1,1,0] neg_lo:[0,0,1] neg_hi:[0,0,1]
	v_pk_fma_f32 v[126:127], v[126:127], v[122:123], v[130:131] op_sel:[0,0,1] op_sel_hi:[1,0,0]
	v_mov_b32_e32 v133, v127
	v_pk_mul_f32 v[126:127], v[128:129], v[124:125] op_sel:[0,1]
	s_delay_alu instid0(VALU_DEP_1) | instskip(SKIP_1) | instid1(VALU_DEP_1)
	v_pk_fma_f32 v[130:131], v[128:129], v[122:123], v[126:127] op_sel:[0,0,1] op_sel_hi:[1,1,0] neg_lo:[0,0,1] neg_hi:[0,0,1]
	v_pk_fma_f32 v[126:127], v[128:129], v[122:123], v[126:127] op_sel:[0,0,1] op_sel_hi:[1,0,0]
	v_mov_b32_e32 v131, v127
	ds_load_2addr_b64 v[126:129], v172 offset0:10 offset1:11
	v_pk_add_f32 v[42:43], v[42:43], v[132:133] neg_lo:[0,1] neg_hi:[0,1]
	v_pk_add_f32 v[38:39], v[38:39], v[130:131] neg_lo:[0,1] neg_hi:[0,1]
	s_wait_dscnt 0x0
	v_pk_mul_f32 v[130:131], v[126:127], v[124:125] op_sel:[0,1]
	s_delay_alu instid0(VALU_DEP_1) | instskip(SKIP_1) | instid1(VALU_DEP_1)
	v_pk_fma_f32 v[132:133], v[126:127], v[122:123], v[130:131] op_sel:[0,0,1] op_sel_hi:[1,1,0] neg_lo:[0,0,1] neg_hi:[0,0,1]
	v_pk_fma_f32 v[126:127], v[126:127], v[122:123], v[130:131] op_sel:[0,0,1] op_sel_hi:[1,0,0]
	v_mov_b32_e32 v133, v127
	v_pk_mul_f32 v[126:127], v[128:129], v[124:125] op_sel:[0,1]
	s_delay_alu instid0(VALU_DEP_1) | instskip(SKIP_1) | instid1(VALU_DEP_1)
	v_pk_fma_f32 v[130:131], v[128:129], v[122:123], v[126:127] op_sel:[0,0,1] op_sel_hi:[1,1,0] neg_lo:[0,0,1] neg_hi:[0,0,1]
	v_pk_fma_f32 v[126:127], v[128:129], v[122:123], v[126:127] op_sel:[0,0,1] op_sel_hi:[1,0,0]
	v_mov_b32_e32 v131, v127
	ds_load_2addr_b64 v[126:129], v172 offset0:12 offset1:13
	v_pk_add_f32 v[40:41], v[40:41], v[132:133] neg_lo:[0,1] neg_hi:[0,1]
	v_pk_add_f32 v[36:37], v[36:37], v[130:131] neg_lo:[0,1] neg_hi:[0,1]
	s_wait_dscnt 0x0
	v_dual_mul_f32 v130, v127, v125 :: v_dual_mul_f32 v132, v127, v122
	s_delay_alu instid0(VALU_DEP_1) | instskip(NEXT) | instid1(VALU_DEP_2)
	v_pk_fma_f32 v[130:131], v[126:127], v[46:47], v[130:131] op_sel_hi:[1,1,0] neg_lo:[0,0,1] neg_hi:[0,0,1]
	v_pk_fma_f32 v[126:127], v[126:127], v[46:47], v[132:133] op_sel:[1,0,0] op_sel_hi:[0,1,0]
	s_delay_alu instid0(VALU_DEP_1) | instskip(SKIP_1) | instid1(VALU_DEP_2)
	v_mov_b32_e32 v131, v127
	v_pk_mul_f32 v[126:127], v[128:129], v[124:125] op_sel:[0,1]
	v_pk_add_f32 v[64:65], v[64:65], v[130:131] neg_lo:[0,1] neg_hi:[0,1]
	s_delay_alu instid0(VALU_DEP_2) | instskip(SKIP_1) | instid1(VALU_DEP_1)
	v_pk_fma_f32 v[130:131], v[128:129], v[122:123], v[126:127] op_sel:[0,0,1] op_sel_hi:[1,1,0] neg_lo:[0,0,1] neg_hi:[0,0,1]
	v_pk_fma_f32 v[126:127], v[128:129], v[122:123], v[126:127] op_sel:[0,0,1] op_sel_hi:[1,0,0]
	v_mov_b32_e32 v131, v127
	ds_load_2addr_b64 v[126:129], v172 offset0:14 offset1:15
	v_pk_add_f32 v[60:61], v[60:61], v[130:131] neg_lo:[0,1] neg_hi:[0,1]
	s_wait_dscnt 0x0
	v_pk_mul_f32 v[130:131], v[126:127], v[124:125] op_sel:[0,1]
	s_delay_alu instid0(VALU_DEP_1) | instskip(SKIP_1) | instid1(VALU_DEP_1)
	v_pk_fma_f32 v[132:133], v[126:127], v[122:123], v[130:131] op_sel:[0,0,1] op_sel_hi:[1,1,0] neg_lo:[0,0,1] neg_hi:[0,0,1]
	v_pk_fma_f32 v[126:127], v[126:127], v[122:123], v[130:131] op_sel:[0,0,1] op_sel_hi:[1,0,0]
	v_mov_b32_e32 v133, v127
	v_pk_mul_f32 v[126:127], v[128:129], v[124:125] op_sel:[0,1]
	s_delay_alu instid0(VALU_DEP_2) | instskip(NEXT) | instid1(VALU_DEP_2)
	v_pk_add_f32 v[62:63], v[62:63], v[132:133] neg_lo:[0,1] neg_hi:[0,1]
	v_pk_fma_f32 v[130:131], v[128:129], v[122:123], v[126:127] op_sel:[0,0,1] op_sel_hi:[1,1,0] neg_lo:[0,0,1] neg_hi:[0,0,1]
	v_pk_fma_f32 v[126:127], v[128:129], v[122:123], v[126:127] op_sel:[0,0,1] op_sel_hi:[1,0,0]
	s_delay_alu instid0(VALU_DEP_1) | instskip(SKIP_4) | instid1(VALU_DEP_1)
	v_mov_b32_e32 v131, v127
	ds_load_2addr_b64 v[126:129], v172 offset0:16 offset1:17
	v_pk_add_f32 v[104:105], v[104:105], v[130:131] neg_lo:[0,1] neg_hi:[0,1]
	s_wait_dscnt 0x0
	v_pk_mul_f32 v[130:131], v[126:127], v[124:125] op_sel:[0,1]
	v_pk_fma_f32 v[132:133], v[126:127], v[122:123], v[130:131] op_sel:[0,0,1] op_sel_hi:[1,1,0] neg_lo:[0,0,1] neg_hi:[0,0,1]
	v_pk_fma_f32 v[126:127], v[126:127], v[122:123], v[130:131] op_sel:[0,0,1] op_sel_hi:[1,0,0]
	v_dual_mul_f32 v130, v129, v125 :: v_dual_mov_b32 v126, v129
	s_delay_alu instid0(VALU_DEP_2) | instskip(NEXT) | instid1(VALU_DEP_2)
	v_dual_mov_b32 v133, v127 :: v_dual_mov_b32 v127, v128
	v_pk_fma_f32 v[130:131], v[128:129], v[46:47], v[130:131] op_sel_hi:[1,1,0] neg_lo:[0,0,1] neg_hi:[0,0,1]
	v_mul_f32_e32 v128, v129, v122
	s_delay_alu instid0(VALU_DEP_3) | instskip(NEXT) | instid1(VALU_DEP_2)
	v_pk_add_f32 v[84:85], v[84:85], v[132:133] neg_lo:[0,1] neg_hi:[0,1]
	v_pk_fma_f32 v[126:127], v[126:127], v[46:47], v[128:129] op_sel_hi:[1,1,0]
	s_delay_alu instid0(VALU_DEP_1) | instskip(SKIP_4) | instid1(VALU_DEP_1)
	v_mov_b32_e32 v131, v127
	ds_load_2addr_b64 v[126:129], v172 offset0:18 offset1:19
	v_pk_add_f32 v[80:81], v[80:81], v[130:131] neg_lo:[0,1] neg_hi:[0,1]
	s_wait_dscnt 0x0
	v_pk_mul_f32 v[130:131], v[126:127], v[124:125] op_sel:[0,1]
	v_pk_fma_f32 v[132:133], v[126:127], v[122:123], v[130:131] op_sel:[0,0,1] op_sel_hi:[1,1,0] neg_lo:[0,0,1] neg_hi:[0,0,1]
	v_pk_fma_f32 v[126:127], v[126:127], v[122:123], v[130:131] op_sel:[0,0,1] op_sel_hi:[1,0,0]
	s_delay_alu instid0(VALU_DEP_1) | instskip(SKIP_1) | instid1(VALU_DEP_1)
	v_mov_b32_e32 v133, v127
	v_pk_mul_f32 v[126:127], v[128:129], v[124:125] op_sel:[0,1]
	v_pk_fma_f32 v[130:131], v[128:129], v[122:123], v[126:127] op_sel:[0,0,1] op_sel_hi:[1,1,0] neg_lo:[0,0,1] neg_hi:[0,0,1]
	v_pk_fma_f32 v[126:127], v[128:129], v[122:123], v[126:127] op_sel:[0,0,1] op_sel_hi:[1,0,0]
	s_delay_alu instid0(VALU_DEP_1)
	v_mov_b32_e32 v131, v127
	ds_load_2addr_b64 v[126:129], v172 offset0:20 offset1:21
	v_pk_add_f32 v[82:83], v[82:83], v[132:133] neg_lo:[0,1] neg_hi:[0,1]
	v_pk_add_f32 v[78:79], v[78:79], v[130:131] neg_lo:[0,1] neg_hi:[0,1]
	s_wait_dscnt 0x0
	v_pk_mul_f32 v[130:131], v[126:127], v[124:125] op_sel:[0,1]
	s_delay_alu instid0(VALU_DEP_1) | instskip(SKIP_1) | instid1(VALU_DEP_1)
	v_pk_fma_f32 v[132:133], v[126:127], v[122:123], v[130:131] op_sel:[0,0,1] op_sel_hi:[1,1,0] neg_lo:[0,0,1] neg_hi:[0,0,1]
	v_pk_fma_f32 v[126:127], v[126:127], v[122:123], v[130:131] op_sel:[0,0,1] op_sel_hi:[1,0,0]
	v_mov_b32_e32 v133, v127
	v_pk_mul_f32 v[126:127], v[128:129], v[124:125] op_sel:[0,1]
	s_delay_alu instid0(VALU_DEP_1) | instskip(SKIP_1) | instid1(VALU_DEP_1)
	v_pk_fma_f32 v[130:131], v[128:129], v[122:123], v[126:127] op_sel:[0,0,1] op_sel_hi:[1,1,0] neg_lo:[0,0,1] neg_hi:[0,0,1]
	v_pk_fma_f32 v[126:127], v[128:129], v[122:123], v[126:127] op_sel:[0,0,1] op_sel_hi:[1,0,0]
	v_mov_b32_e32 v131, v127
	ds_load_2addr_b64 v[126:129], v172 offset0:22 offset1:23
	v_pk_add_f32 v[102:103], v[102:103], v[132:133] neg_lo:[0,1] neg_hi:[0,1]
	v_pk_add_f32 v[98:99], v[98:99], v[130:131] neg_lo:[0,1] neg_hi:[0,1]
	s_wait_dscnt 0x0
	v_dual_mul_f32 v130, v127, v125 :: v_dual_mul_f32 v132, v127, v122
	s_delay_alu instid0(VALU_DEP_1) | instskip(NEXT) | instid1(VALU_DEP_2)
	v_pk_fma_f32 v[130:131], v[126:127], v[46:47], v[130:131] op_sel_hi:[1,1,0] neg_lo:[0,0,1] neg_hi:[0,0,1]
	v_pk_fma_f32 v[126:127], v[126:127], v[46:47], v[132:133] op_sel:[1,0,0] op_sel_hi:[0,1,0]
	s_delay_alu instid0(VALU_DEP_1) | instskip(SKIP_1) | instid1(VALU_DEP_2)
	v_mov_b32_e32 v131, v127
	v_pk_mul_f32 v[126:127], v[128:129], v[124:125] op_sel:[0,1]
	v_pk_add_f32 v[100:101], v[100:101], v[130:131] neg_lo:[0,1] neg_hi:[0,1]
	s_delay_alu instid0(VALU_DEP_2) | instskip(SKIP_1) | instid1(VALU_DEP_1)
	v_pk_fma_f32 v[130:131], v[128:129], v[122:123], v[126:127] op_sel:[0,0,1] op_sel_hi:[1,1,0] neg_lo:[0,0,1] neg_hi:[0,0,1]
	v_pk_fma_f32 v[126:127], v[128:129], v[122:123], v[126:127] op_sel:[0,0,1] op_sel_hi:[1,0,0]
	v_mov_b32_e32 v131, v127
	ds_load_2addr_b64 v[126:129], v172 offset0:24 offset1:25
	v_pk_add_f32 v[96:97], v[96:97], v[130:131] neg_lo:[0,1] neg_hi:[0,1]
	s_wait_dscnt 0x0
	v_pk_mul_f32 v[130:131], v[126:127], v[124:125] op_sel:[0,1]
	s_delay_alu instid0(VALU_DEP_1) | instskip(SKIP_1) | instid1(VALU_DEP_1)
	v_pk_fma_f32 v[132:133], v[126:127], v[122:123], v[130:131] op_sel:[0,0,1] op_sel_hi:[1,1,0] neg_lo:[0,0,1] neg_hi:[0,0,1]
	v_pk_fma_f32 v[126:127], v[126:127], v[122:123], v[130:131] op_sel:[0,0,1] op_sel_hi:[1,0,0]
	v_mov_b32_e32 v133, v127
	v_pk_mul_f32 v[126:127], v[128:129], v[124:125] op_sel:[0,1]
	s_delay_alu instid0(VALU_DEP_2) | instskip(NEXT) | instid1(VALU_DEP_2)
	v_pk_add_f32 v[110:111], v[110:111], v[132:133] neg_lo:[0,1] neg_hi:[0,1]
	v_pk_fma_f32 v[130:131], v[128:129], v[122:123], v[126:127] op_sel:[0,0,1] op_sel_hi:[1,1,0] neg_lo:[0,0,1] neg_hi:[0,0,1]
	v_pk_fma_f32 v[126:127], v[128:129], v[122:123], v[126:127] op_sel:[0,0,1] op_sel_hi:[1,0,0]
	s_delay_alu instid0(VALU_DEP_1)
	v_mov_b32_e32 v131, v127
	ds_load_2addr_b64 v[126:129], v172 offset0:26 offset1:27
	v_pk_add_f32 v[108:109], v[108:109], v[130:131] neg_lo:[0,1] neg_hi:[0,1]
	s_wait_dscnt 0x0
	v_pk_mul_f32 v[130:131], v[126:127], v[124:125] op_sel:[0,1]
	v_mul_f32_e32 v124, v129, v125
	s_delay_alu instid0(VALU_DEP_2) | instskip(SKIP_2) | instid1(VALU_DEP_4)
	v_pk_fma_f32 v[132:133], v[126:127], v[122:123], v[130:131] op_sel:[0,0,1] op_sel_hi:[1,1,0] neg_lo:[0,0,1] neg_hi:[0,0,1]
	v_pk_fma_f32 v[126:127], v[126:127], v[122:123], v[130:131] op_sel:[0,0,1] op_sel_hi:[1,0,0]
	v_dual_mov_b32 v126, v129 :: v_dual_mul_f32 v122, v129, v122
	v_pk_fma_f32 v[124:125], v[128:129], v[46:47], v[124:125] op_sel_hi:[1,1,0] neg_lo:[0,0,1] neg_hi:[0,0,1]
	s_delay_alu instid0(VALU_DEP_3) | instskip(NEXT) | instid1(VALU_DEP_1)
	v_dual_mov_b32 v133, v127 :: v_dual_mov_b32 v127, v128
	v_pk_add_f32 v[106:107], v[106:107], v[132:133] neg_lo:[0,1] neg_hi:[0,1]
	s_delay_alu instid0(VALU_DEP_2) | instskip(NEXT) | instid1(VALU_DEP_1)
	v_pk_fma_f32 v[122:123], v[126:127], v[46:47], v[122:123] op_sel_hi:[1,1,0]
	v_mov_b32_e32 v125, v123
	s_delay_alu instid0(VALU_DEP_1)
	v_pk_add_f32 v[112:113], v[112:113], v[124:125] neg_lo:[0,1] neg_hi:[0,1]
.LBB55_37:
	s_or_b32 exec_lo, exec_lo, s1
	s_delay_alu instid0(SALU_CYCLE_1)
	s_mov_b32 s2, exec_lo
	s_wait_dscnt 0x0
	s_barrier_signal -1
	s_barrier_wait -1
	v_cmpx_eq_u32_e32 4, v170
	s_cbranch_execz .LBB55_44
; %bb.38:
	ds_store_b64 v171, v[28:29]
	ds_store_2addr_b64 v172, v[24:25], v[26:27] offset0:5 offset1:6
	ds_store_2addr_b64 v172, v[22:23], v[42:43] offset0:7 offset1:8
	;; [unrolled: 1-line block ×11, first 2 shown]
	ds_store_b64 v172, v[112:113] offset:216
	ds_load_b64 v[122:123], v171
	s_wait_dscnt 0x0
	v_cmp_neq_f32_e32 vcc_lo, 0, v122
	v_cmp_neq_f32_e64 s1, 0, v123
	s_or_b32 s1, vcc_lo, s1
	s_delay_alu instid0(SALU_CYCLE_1)
	s_and_b32 exec_lo, exec_lo, s1
	s_cbranch_execz .LBB55_44
; %bb.39:
	v_cmp_ngt_f32_e64 s1, |v122|, |v123|
                                        ; implicit-def: $vgpr124_vgpr125
	s_and_saveexec_b32 s4, s1
	s_delay_alu instid0(SALU_CYCLE_1)
	s_xor_b32 s1, exec_lo, s4
	s_cbranch_execz .LBB55_41
; %bb.40:
	v_div_scale_f32 v124, null, v123, v123, v122
	v_div_scale_f32 v127, vcc_lo, v122, v123, v122
	s_delay_alu instid0(VALU_DEP_2) | instskip(SKIP_1) | instid1(TRANS32_DEP_1)
	v_rcp_f32_e32 v125, v124
	v_nop
	v_fma_f32 v126, -v124, v125, 1.0
	s_delay_alu instid0(VALU_DEP_1) | instskip(NEXT) | instid1(VALU_DEP_1)
	v_fmac_f32_e32 v125, v126, v125
	v_mul_f32_e32 v126, v127, v125
	s_delay_alu instid0(VALU_DEP_1) | instskip(NEXT) | instid1(VALU_DEP_1)
	v_fma_f32 v128, -v124, v126, v127
	v_fmac_f32_e32 v126, v128, v125
	s_delay_alu instid0(VALU_DEP_1) | instskip(NEXT) | instid1(VALU_DEP_1)
	v_fma_f32 v124, -v124, v126, v127
	v_div_fmas_f32 v124, v124, v125, v126
	s_delay_alu instid0(VALU_DEP_1) | instskip(NEXT) | instid1(VALU_DEP_1)
	v_div_fixup_f32 v124, v124, v123, v122
	v_fmac_f32_e32 v123, v122, v124
	s_delay_alu instid0(VALU_DEP_1) | instskip(SKIP_1) | instid1(VALU_DEP_2)
	v_div_scale_f32 v122, null, v123, v123, 1.0
	v_div_scale_f32 v127, vcc_lo, 1.0, v123, 1.0
	v_rcp_f32_e32 v125, v122
	v_nop
	s_delay_alu instid0(TRANS32_DEP_1) | instskip(NEXT) | instid1(VALU_DEP_1)
	v_fma_f32 v126, -v122, v125, 1.0
	v_fmac_f32_e32 v125, v126, v125
	s_delay_alu instid0(VALU_DEP_1) | instskip(NEXT) | instid1(VALU_DEP_1)
	v_mul_f32_e32 v126, v127, v125
	v_fma_f32 v128, -v122, v126, v127
	s_delay_alu instid0(VALU_DEP_1) | instskip(NEXT) | instid1(VALU_DEP_1)
	v_fmac_f32_e32 v126, v128, v125
	v_fma_f32 v122, -v122, v126, v127
	s_delay_alu instid0(VALU_DEP_1) | instskip(NEXT) | instid1(VALU_DEP_1)
	v_div_fmas_f32 v122, v122, v125, v126
	v_div_fixup_f32 v122, v122, v123, 1.0
	s_delay_alu instid0(VALU_DEP_1)
	v_mul_f32_e32 v124, v124, v122
	v_xor_b32_e32 v125, 0x80000000, v122
                                        ; implicit-def: $vgpr122_vgpr123
.LBB55_41:
	s_and_not1_saveexec_b32 s1, s1
	s_cbranch_execz .LBB55_43
; %bb.42:
	v_div_scale_f32 v124, null, v122, v122, v123
	v_div_scale_f32 v127, vcc_lo, v123, v122, v123
	s_delay_alu instid0(VALU_DEP_2) | instskip(SKIP_1) | instid1(TRANS32_DEP_1)
	v_rcp_f32_e32 v125, v124
	v_nop
	v_fma_f32 v126, -v124, v125, 1.0
	s_delay_alu instid0(VALU_DEP_1) | instskip(NEXT) | instid1(VALU_DEP_1)
	v_fmac_f32_e32 v125, v126, v125
	v_mul_f32_e32 v126, v127, v125
	s_delay_alu instid0(VALU_DEP_1) | instskip(NEXT) | instid1(VALU_DEP_1)
	v_fma_f32 v128, -v124, v126, v127
	v_fmac_f32_e32 v126, v128, v125
	s_delay_alu instid0(VALU_DEP_1) | instskip(NEXT) | instid1(VALU_DEP_1)
	v_fma_f32 v124, -v124, v126, v127
	v_div_fmas_f32 v124, v124, v125, v126
	s_delay_alu instid0(VALU_DEP_1) | instskip(NEXT) | instid1(VALU_DEP_1)
	v_div_fixup_f32 v125, v124, v122, v123
	v_fmac_f32_e32 v122, v123, v125
	s_delay_alu instid0(VALU_DEP_1) | instskip(NEXT) | instid1(VALU_DEP_1)
	v_div_scale_f32 v123, null, v122, v122, 1.0
	v_rcp_f32_e32 v124, v123
	v_nop
	s_delay_alu instid0(TRANS32_DEP_1) | instskip(NEXT) | instid1(VALU_DEP_1)
	v_fma_f32 v126, -v123, v124, 1.0
	v_fmac_f32_e32 v124, v126, v124
	v_div_scale_f32 v126, vcc_lo, 1.0, v122, 1.0
	s_delay_alu instid0(VALU_DEP_1) | instskip(NEXT) | instid1(VALU_DEP_1)
	v_mul_f32_e32 v127, v126, v124
	v_fma_f32 v128, -v123, v127, v126
	s_delay_alu instid0(VALU_DEP_1) | instskip(NEXT) | instid1(VALU_DEP_1)
	v_fmac_f32_e32 v127, v128, v124
	v_fma_f32 v123, -v123, v127, v126
	s_delay_alu instid0(VALU_DEP_1) | instskip(NEXT) | instid1(VALU_DEP_1)
	v_div_fmas_f32 v123, v123, v124, v127
	v_div_fixup_f32 v124, v123, v122, 1.0
	s_delay_alu instid0(VALU_DEP_1)
	v_mul_f32_e64 v125, v125, -v124
.LBB55_43:
	s_or_b32 exec_lo, exec_lo, s1
	ds_store_b64 v171, v[124:125]
.LBB55_44:
	s_or_b32 exec_lo, exec_lo, s2
	s_wait_dscnt 0x0
	s_barrier_signal -1
	s_barrier_wait -1
	ds_load_b64 v[122:123], v171
	s_mov_b32 s1, exec_lo
	v_cmpx_lt_u32_e32 4, v170
	s_cbranch_execz .LBB55_46
; %bb.45:
	ds_load_2addr_b64 v[128:131], v172 offset0:5 offset1:6
	s_wait_dscnt 0x1
	v_pk_mul_f32 v[126:127], v[122:123], v[28:29] op_sel:[1,1] op_sel_hi:[0,1]
	s_delay_alu instid0(VALU_DEP_1) | instskip(SKIP_1) | instid1(VALU_DEP_1)
	v_pk_fma_f32 v[124:125], v[122:123], v[28:29], v[126:127] op_sel_hi:[1,0,1] neg_lo:[0,0,1] neg_hi:[0,0,1]
	v_pk_fma_f32 v[126:127], v[122:123], v[28:29], v[126:127] op_sel_hi:[1,0,1]
	v_dual_mov_b32 v28, v124 :: v_dual_mov_b32 v29, v127
	s_wait_dscnt 0x0
	s_delay_alu instid0(VALU_DEP_2) | instskip(NEXT) | instid1(VALU_DEP_1)
	v_pk_mul_f32 v[132:133], v[128:129], v[126:127] op_sel:[0,1]
	v_pk_fma_f32 v[134:135], v[128:129], v[124:125], v[132:133] op_sel:[0,0,1] op_sel_hi:[1,1,0] neg_lo:[0,0,1] neg_hi:[0,0,1]
	v_pk_fma_f32 v[128:129], v[128:129], v[124:125], v[132:133] op_sel:[0,0,1] op_sel_hi:[1,0,0]
	s_delay_alu instid0(VALU_DEP_1) | instskip(SKIP_1) | instid1(VALU_DEP_1)
	v_mov_b32_e32 v135, v129
	v_pk_mul_f32 v[128:129], v[130:131], v[126:127] op_sel:[0,1]
	v_pk_fma_f32 v[132:133], v[130:131], v[124:125], v[128:129] op_sel:[0,0,1] op_sel_hi:[1,1,0] neg_lo:[0,0,1] neg_hi:[0,0,1]
	v_pk_fma_f32 v[128:129], v[130:131], v[124:125], v[128:129] op_sel:[0,0,1] op_sel_hi:[1,0,0]
	s_delay_alu instid0(VALU_DEP_1)
	v_mov_b32_e32 v133, v129
	ds_load_2addr_b64 v[128:131], v172 offset0:7 offset1:8
	v_pk_add_f32 v[24:25], v[24:25], v[134:135] neg_lo:[0,1] neg_hi:[0,1]
	v_pk_add_f32 v[26:27], v[26:27], v[132:133] neg_lo:[0,1] neg_hi:[0,1]
	s_wait_dscnt 0x0
	v_pk_mul_f32 v[132:133], v[128:129], v[126:127] op_sel:[0,1]
	s_delay_alu instid0(VALU_DEP_1) | instskip(SKIP_2) | instid1(VALU_DEP_2)
	v_pk_fma_f32 v[134:135], v[128:129], v[124:125], v[132:133] op_sel:[0,0,1] op_sel_hi:[1,1,0] neg_lo:[0,0,1] neg_hi:[0,0,1]
	v_pk_fma_f32 v[128:129], v[128:129], v[124:125], v[132:133] op_sel:[0,0,1] op_sel_hi:[1,0,0]
	v_dual_mul_f32 v132, v131, v127 :: v_dual_mov_b32 v128, v131
	v_dual_mov_b32 v135, v129 :: v_dual_mov_b32 v129, v130
	s_delay_alu instid0(VALU_DEP_2) | instskip(SKIP_1) | instid1(VALU_DEP_3)
	v_pk_fma_f32 v[132:133], v[130:131], v[28:29], v[132:133] op_sel_hi:[1,1,0] neg_lo:[0,0,1] neg_hi:[0,0,1]
	v_mul_f32_e32 v130, v131, v124
	v_pk_add_f32 v[22:23], v[22:23], v[134:135] neg_lo:[0,1] neg_hi:[0,1]
	s_delay_alu instid0(VALU_DEP_2) | instskip(NEXT) | instid1(VALU_DEP_1)
	v_pk_fma_f32 v[128:129], v[128:129], v[28:29], v[130:131] op_sel_hi:[1,1,0]
	v_mov_b32_e32 v133, v129
	ds_load_2addr_b64 v[128:131], v172 offset0:9 offset1:10
	v_pk_add_f32 v[42:43], v[42:43], v[132:133] neg_lo:[0,1] neg_hi:[0,1]
	s_wait_dscnt 0x0
	v_pk_mul_f32 v[132:133], v[128:129], v[126:127] op_sel:[0,1]
	s_delay_alu instid0(VALU_DEP_1) | instskip(SKIP_1) | instid1(VALU_DEP_1)
	v_pk_fma_f32 v[134:135], v[128:129], v[124:125], v[132:133] op_sel:[0,0,1] op_sel_hi:[1,1,0] neg_lo:[0,0,1] neg_hi:[0,0,1]
	v_pk_fma_f32 v[128:129], v[128:129], v[124:125], v[132:133] op_sel:[0,0,1] op_sel_hi:[1,0,0]
	v_mov_b32_e32 v135, v129
	v_pk_mul_f32 v[128:129], v[130:131], v[126:127] op_sel:[0,1]
	s_delay_alu instid0(VALU_DEP_1) | instskip(SKIP_1) | instid1(VALU_DEP_1)
	v_pk_fma_f32 v[132:133], v[130:131], v[124:125], v[128:129] op_sel:[0,0,1] op_sel_hi:[1,1,0] neg_lo:[0,0,1] neg_hi:[0,0,1]
	v_pk_fma_f32 v[128:129], v[130:131], v[124:125], v[128:129] op_sel:[0,0,1] op_sel_hi:[1,0,0]
	v_mov_b32_e32 v133, v129
	ds_load_2addr_b64 v[128:131], v172 offset0:11 offset1:12
	v_pk_add_f32 v[38:39], v[38:39], v[134:135] neg_lo:[0,1] neg_hi:[0,1]
	v_pk_add_f32 v[40:41], v[40:41], v[132:133] neg_lo:[0,1] neg_hi:[0,1]
	s_wait_dscnt 0x0
	v_pk_mul_f32 v[132:133], v[128:129], v[126:127] op_sel:[0,1]
	s_delay_alu instid0(VALU_DEP_1) | instskip(SKIP_1) | instid1(VALU_DEP_1)
	v_pk_fma_f32 v[134:135], v[128:129], v[124:125], v[132:133] op_sel:[0,0,1] op_sel_hi:[1,1,0] neg_lo:[0,0,1] neg_hi:[0,0,1]
	v_pk_fma_f32 v[128:129], v[128:129], v[124:125], v[132:133] op_sel:[0,0,1] op_sel_hi:[1,0,0]
	v_mov_b32_e32 v135, v129
	v_pk_mul_f32 v[128:129], v[130:131], v[126:127] op_sel:[0,1]
	s_delay_alu instid0(VALU_DEP_1) | instskip(SKIP_1) | instid1(VALU_DEP_1)
	v_pk_fma_f32 v[132:133], v[130:131], v[124:125], v[128:129] op_sel:[0,0,1] op_sel_hi:[1,1,0] neg_lo:[0,0,1] neg_hi:[0,0,1]
	v_pk_fma_f32 v[128:129], v[130:131], v[124:125], v[128:129] op_sel:[0,0,1] op_sel_hi:[1,0,0]
	v_mov_b32_e32 v133, v129
	ds_load_2addr_b64 v[128:131], v172 offset0:13 offset1:14
	v_pk_add_f32 v[36:37], v[36:37], v[134:135] neg_lo:[0,1] neg_hi:[0,1]
	v_pk_add_f32 v[64:65], v[64:65], v[132:133] neg_lo:[0,1] neg_hi:[0,1]
	s_wait_dscnt 0x0
	v_dual_mul_f32 v132, v129, v127 :: v_dual_mul_f32 v134, v129, v124
	s_delay_alu instid0(VALU_DEP_1) | instskip(NEXT) | instid1(VALU_DEP_2)
	v_pk_fma_f32 v[132:133], v[128:129], v[28:29], v[132:133] op_sel_hi:[1,1,0] neg_lo:[0,0,1] neg_hi:[0,0,1]
	v_pk_fma_f32 v[128:129], v[128:129], v[28:29], v[134:135] op_sel:[1,0,0] op_sel_hi:[0,1,0]
	s_delay_alu instid0(VALU_DEP_1) | instskip(SKIP_1) | instid1(VALU_DEP_2)
	v_mov_b32_e32 v133, v129
	v_pk_mul_f32 v[128:129], v[130:131], v[126:127] op_sel:[0,1]
	v_pk_add_f32 v[60:61], v[60:61], v[132:133] neg_lo:[0,1] neg_hi:[0,1]
	s_delay_alu instid0(VALU_DEP_2) | instskip(SKIP_1) | instid1(VALU_DEP_1)
	v_pk_fma_f32 v[132:133], v[130:131], v[124:125], v[128:129] op_sel:[0,0,1] op_sel_hi:[1,1,0] neg_lo:[0,0,1] neg_hi:[0,0,1]
	v_pk_fma_f32 v[128:129], v[130:131], v[124:125], v[128:129] op_sel:[0,0,1] op_sel_hi:[1,0,0]
	v_mov_b32_e32 v133, v129
	ds_load_2addr_b64 v[128:131], v172 offset0:15 offset1:16
	v_pk_add_f32 v[62:63], v[62:63], v[132:133] neg_lo:[0,1] neg_hi:[0,1]
	s_wait_dscnt 0x0
	v_pk_mul_f32 v[132:133], v[128:129], v[126:127] op_sel:[0,1]
	s_delay_alu instid0(VALU_DEP_1) | instskip(SKIP_1) | instid1(VALU_DEP_1)
	v_pk_fma_f32 v[134:135], v[128:129], v[124:125], v[132:133] op_sel:[0,0,1] op_sel_hi:[1,1,0] neg_lo:[0,0,1] neg_hi:[0,0,1]
	v_pk_fma_f32 v[128:129], v[128:129], v[124:125], v[132:133] op_sel:[0,0,1] op_sel_hi:[1,0,0]
	v_mov_b32_e32 v135, v129
	v_pk_mul_f32 v[128:129], v[130:131], v[126:127] op_sel:[0,1]
	s_delay_alu instid0(VALU_DEP_2) | instskip(NEXT) | instid1(VALU_DEP_2)
	v_pk_add_f32 v[104:105], v[104:105], v[134:135] neg_lo:[0,1] neg_hi:[0,1]
	v_pk_fma_f32 v[132:133], v[130:131], v[124:125], v[128:129] op_sel:[0,0,1] op_sel_hi:[1,1,0] neg_lo:[0,0,1] neg_hi:[0,0,1]
	v_pk_fma_f32 v[128:129], v[130:131], v[124:125], v[128:129] op_sel:[0,0,1] op_sel_hi:[1,0,0]
	s_delay_alu instid0(VALU_DEP_1) | instskip(SKIP_4) | instid1(VALU_DEP_1)
	v_mov_b32_e32 v133, v129
	ds_load_2addr_b64 v[128:131], v172 offset0:17 offset1:18
	v_pk_add_f32 v[84:85], v[84:85], v[132:133] neg_lo:[0,1] neg_hi:[0,1]
	s_wait_dscnt 0x0
	v_pk_mul_f32 v[132:133], v[128:129], v[126:127] op_sel:[0,1]
	v_pk_fma_f32 v[134:135], v[128:129], v[124:125], v[132:133] op_sel:[0,0,1] op_sel_hi:[1,1,0] neg_lo:[0,0,1] neg_hi:[0,0,1]
	v_pk_fma_f32 v[128:129], v[128:129], v[124:125], v[132:133] op_sel:[0,0,1] op_sel_hi:[1,0,0]
	v_dual_mul_f32 v132, v131, v127 :: v_dual_mov_b32 v128, v131
	s_delay_alu instid0(VALU_DEP_2) | instskip(NEXT) | instid1(VALU_DEP_2)
	v_dual_mov_b32 v135, v129 :: v_dual_mov_b32 v129, v130
	v_pk_fma_f32 v[132:133], v[130:131], v[28:29], v[132:133] op_sel_hi:[1,1,0] neg_lo:[0,0,1] neg_hi:[0,0,1]
	v_mul_f32_e32 v130, v131, v124
	s_delay_alu instid0(VALU_DEP_3) | instskip(NEXT) | instid1(VALU_DEP_2)
	v_pk_add_f32 v[80:81], v[80:81], v[134:135] neg_lo:[0,1] neg_hi:[0,1]
	v_pk_fma_f32 v[128:129], v[128:129], v[28:29], v[130:131] op_sel_hi:[1,1,0]
	s_delay_alu instid0(VALU_DEP_1) | instskip(SKIP_4) | instid1(VALU_DEP_1)
	v_mov_b32_e32 v133, v129
	ds_load_2addr_b64 v[128:131], v172 offset0:19 offset1:20
	v_pk_add_f32 v[82:83], v[82:83], v[132:133] neg_lo:[0,1] neg_hi:[0,1]
	s_wait_dscnt 0x0
	v_pk_mul_f32 v[132:133], v[128:129], v[126:127] op_sel:[0,1]
	v_pk_fma_f32 v[134:135], v[128:129], v[124:125], v[132:133] op_sel:[0,0,1] op_sel_hi:[1,1,0] neg_lo:[0,0,1] neg_hi:[0,0,1]
	v_pk_fma_f32 v[128:129], v[128:129], v[124:125], v[132:133] op_sel:[0,0,1] op_sel_hi:[1,0,0]
	s_delay_alu instid0(VALU_DEP_1) | instskip(SKIP_1) | instid1(VALU_DEP_1)
	v_mov_b32_e32 v135, v129
	v_pk_mul_f32 v[128:129], v[130:131], v[126:127] op_sel:[0,1]
	v_pk_fma_f32 v[132:133], v[130:131], v[124:125], v[128:129] op_sel:[0,0,1] op_sel_hi:[1,1,0] neg_lo:[0,0,1] neg_hi:[0,0,1]
	v_pk_fma_f32 v[128:129], v[130:131], v[124:125], v[128:129] op_sel:[0,0,1] op_sel_hi:[1,0,0]
	s_delay_alu instid0(VALU_DEP_1)
	v_mov_b32_e32 v133, v129
	ds_load_2addr_b64 v[128:131], v172 offset0:21 offset1:22
	v_pk_add_f32 v[78:79], v[78:79], v[134:135] neg_lo:[0,1] neg_hi:[0,1]
	v_pk_add_f32 v[102:103], v[102:103], v[132:133] neg_lo:[0,1] neg_hi:[0,1]
	s_wait_dscnt 0x0
	v_pk_mul_f32 v[132:133], v[128:129], v[126:127] op_sel:[0,1]
	s_delay_alu instid0(VALU_DEP_1) | instskip(SKIP_1) | instid1(VALU_DEP_1)
	v_pk_fma_f32 v[134:135], v[128:129], v[124:125], v[132:133] op_sel:[0,0,1] op_sel_hi:[1,1,0] neg_lo:[0,0,1] neg_hi:[0,0,1]
	v_pk_fma_f32 v[128:129], v[128:129], v[124:125], v[132:133] op_sel:[0,0,1] op_sel_hi:[1,0,0]
	v_mov_b32_e32 v135, v129
	v_pk_mul_f32 v[128:129], v[130:131], v[126:127] op_sel:[0,1]
	s_delay_alu instid0(VALU_DEP_1) | instskip(SKIP_1) | instid1(VALU_DEP_1)
	v_pk_fma_f32 v[132:133], v[130:131], v[124:125], v[128:129] op_sel:[0,0,1] op_sel_hi:[1,1,0] neg_lo:[0,0,1] neg_hi:[0,0,1]
	v_pk_fma_f32 v[128:129], v[130:131], v[124:125], v[128:129] op_sel:[0,0,1] op_sel_hi:[1,0,0]
	v_mov_b32_e32 v133, v129
	ds_load_2addr_b64 v[128:131], v172 offset0:23 offset1:24
	v_pk_add_f32 v[98:99], v[98:99], v[134:135] neg_lo:[0,1] neg_hi:[0,1]
	v_pk_add_f32 v[100:101], v[100:101], v[132:133] neg_lo:[0,1] neg_hi:[0,1]
	s_wait_dscnt 0x0
	v_dual_mul_f32 v132, v129, v127 :: v_dual_mul_f32 v134, v129, v124
	s_delay_alu instid0(VALU_DEP_1) | instskip(NEXT) | instid1(VALU_DEP_2)
	v_pk_fma_f32 v[132:133], v[128:129], v[28:29], v[132:133] op_sel_hi:[1,1,0] neg_lo:[0,0,1] neg_hi:[0,0,1]
	v_pk_fma_f32 v[128:129], v[128:129], v[28:29], v[134:135] op_sel:[1,0,0] op_sel_hi:[0,1,0]
	s_delay_alu instid0(VALU_DEP_1) | instskip(SKIP_1) | instid1(VALU_DEP_2)
	v_mov_b32_e32 v133, v129
	v_pk_mul_f32 v[128:129], v[130:131], v[126:127] op_sel:[0,1]
	v_pk_add_f32 v[96:97], v[96:97], v[132:133] neg_lo:[0,1] neg_hi:[0,1]
	s_delay_alu instid0(VALU_DEP_2) | instskip(SKIP_1) | instid1(VALU_DEP_1)
	v_pk_fma_f32 v[132:133], v[130:131], v[124:125], v[128:129] op_sel:[0,0,1] op_sel_hi:[1,1,0] neg_lo:[0,0,1] neg_hi:[0,0,1]
	v_pk_fma_f32 v[128:129], v[130:131], v[124:125], v[128:129] op_sel:[0,0,1] op_sel_hi:[1,0,0]
	v_mov_b32_e32 v133, v129
	ds_load_2addr_b64 v[128:131], v172 offset0:25 offset1:26
	v_pk_add_f32 v[110:111], v[110:111], v[132:133] neg_lo:[0,1] neg_hi:[0,1]
	s_wait_dscnt 0x0
	v_pk_mul_f32 v[132:133], v[128:129], v[126:127] op_sel:[0,1]
	s_delay_alu instid0(VALU_DEP_1) | instskip(SKIP_1) | instid1(VALU_DEP_1)
	v_pk_fma_f32 v[134:135], v[128:129], v[124:125], v[132:133] op_sel:[0,0,1] op_sel_hi:[1,1,0] neg_lo:[0,0,1] neg_hi:[0,0,1]
	v_pk_fma_f32 v[128:129], v[128:129], v[124:125], v[132:133] op_sel:[0,0,1] op_sel_hi:[1,0,0]
	v_mov_b32_e32 v135, v129
	v_pk_mul_f32 v[128:129], v[130:131], v[126:127] op_sel:[0,1]
	s_delay_alu instid0(VALU_DEP_2) | instskip(NEXT) | instid1(VALU_DEP_2)
	v_pk_add_f32 v[108:109], v[108:109], v[134:135] neg_lo:[0,1] neg_hi:[0,1]
	v_pk_fma_f32 v[132:133], v[130:131], v[124:125], v[128:129] op_sel:[0,0,1] op_sel_hi:[1,1,0] neg_lo:[0,0,1] neg_hi:[0,0,1]
	v_pk_fma_f32 v[128:129], v[130:131], v[124:125], v[128:129] op_sel:[0,0,1] op_sel_hi:[1,0,0]
	s_delay_alu instid0(VALU_DEP_1) | instskip(SKIP_4) | instid1(VALU_DEP_1)
	v_mov_b32_e32 v133, v129
	ds_load_b64 v[128:129], v172 offset:216
	v_pk_add_f32 v[106:107], v[106:107], v[132:133] neg_lo:[0,1] neg_hi:[0,1]
	s_wait_dscnt 0x0
	v_pk_mul_f32 v[126:127], v[128:129], v[126:127] op_sel:[0,1]
	v_pk_fma_f32 v[130:131], v[128:129], v[124:125], v[126:127] op_sel:[0,0,1] op_sel_hi:[1,1,0] neg_lo:[0,0,1] neg_hi:[0,0,1]
	v_pk_fma_f32 v[124:125], v[128:129], v[124:125], v[126:127] op_sel:[0,0,1] op_sel_hi:[1,0,0]
	s_delay_alu instid0(VALU_DEP_1) | instskip(NEXT) | instid1(VALU_DEP_1)
	v_mov_b32_e32 v131, v125
	v_pk_add_f32 v[112:113], v[112:113], v[130:131] neg_lo:[0,1] neg_hi:[0,1]
.LBB55_46:
	s_or_b32 exec_lo, exec_lo, s1
	s_delay_alu instid0(SALU_CYCLE_1)
	s_mov_b32 s2, exec_lo
	s_wait_dscnt 0x0
	s_barrier_signal -1
	s_barrier_wait -1
	v_cmpx_eq_u32_e32 5, v170
	s_cbranch_execz .LBB55_53
; %bb.47:
	v_dual_mov_b32 v124, v26 :: v_dual_mov_b32 v125, v27
	v_dual_mov_b32 v126, v22 :: v_dual_mov_b32 v127, v23
	ds_store_b64 v171, v[24:25]
	ds_store_2addr_b64 v172, v[124:125], v[126:127] offset0:6 offset1:7
	v_dual_mov_b32 v124, v42 :: v_dual_mov_b32 v125, v43
	v_dual_mov_b32 v126, v38 :: v_dual_mov_b32 v127, v39
	ds_store_2addr_b64 v172, v[124:125], v[126:127] offset0:8 offset1:9
	v_dual_mov_b32 v124, v40 :: v_dual_mov_b32 v125, v41
	v_dual_mov_b32 v126, v36 :: v_dual_mov_b32 v127, v37
	;; [unrolled: 3-line block ×9, first 2 shown]
	ds_store_2addr_b64 v172, v[124:125], v[126:127] offset0:24 offset1:25
	v_dual_mov_b32 v124, v106 :: v_dual_mov_b32 v125, v107
	ds_store_2addr_b64 v172, v[124:125], v[112:113] offset0:26 offset1:27
	ds_load_b64 v[124:125], v171
	s_wait_dscnt 0x0
	v_cmp_neq_f32_e32 vcc_lo, 0, v124
	v_cmp_neq_f32_e64 s1, 0, v125
	s_or_b32 s1, vcc_lo, s1
	s_delay_alu instid0(SALU_CYCLE_1)
	s_and_b32 exec_lo, exec_lo, s1
	s_cbranch_execz .LBB55_53
; %bb.48:
	v_cmp_ngt_f32_e64 s1, |v124|, |v125|
                                        ; implicit-def: $vgpr126_vgpr127
	s_and_saveexec_b32 s4, s1
	s_delay_alu instid0(SALU_CYCLE_1)
	s_xor_b32 s1, exec_lo, s4
	s_cbranch_execz .LBB55_50
; %bb.49:
	v_div_scale_f32 v126, null, v125, v125, v124
	v_div_scale_f32 v129, vcc_lo, v124, v125, v124
	s_delay_alu instid0(VALU_DEP_2) | instskip(SKIP_1) | instid1(TRANS32_DEP_1)
	v_rcp_f32_e32 v127, v126
	v_nop
	v_fma_f32 v128, -v126, v127, 1.0
	s_delay_alu instid0(VALU_DEP_1) | instskip(NEXT) | instid1(VALU_DEP_1)
	v_fmac_f32_e32 v127, v128, v127
	v_mul_f32_e32 v128, v129, v127
	s_delay_alu instid0(VALU_DEP_1) | instskip(NEXT) | instid1(VALU_DEP_1)
	v_fma_f32 v130, -v126, v128, v129
	v_fmac_f32_e32 v128, v130, v127
	s_delay_alu instid0(VALU_DEP_1) | instskip(NEXT) | instid1(VALU_DEP_1)
	v_fma_f32 v126, -v126, v128, v129
	v_div_fmas_f32 v126, v126, v127, v128
	s_delay_alu instid0(VALU_DEP_1) | instskip(NEXT) | instid1(VALU_DEP_1)
	v_div_fixup_f32 v126, v126, v125, v124
	v_fmac_f32_e32 v125, v124, v126
	s_delay_alu instid0(VALU_DEP_1) | instskip(SKIP_1) | instid1(VALU_DEP_2)
	v_div_scale_f32 v124, null, v125, v125, 1.0
	v_div_scale_f32 v129, vcc_lo, 1.0, v125, 1.0
	v_rcp_f32_e32 v127, v124
	v_nop
	s_delay_alu instid0(TRANS32_DEP_1) | instskip(NEXT) | instid1(VALU_DEP_1)
	v_fma_f32 v128, -v124, v127, 1.0
	v_fmac_f32_e32 v127, v128, v127
	s_delay_alu instid0(VALU_DEP_1) | instskip(NEXT) | instid1(VALU_DEP_1)
	v_mul_f32_e32 v128, v129, v127
	v_fma_f32 v130, -v124, v128, v129
	s_delay_alu instid0(VALU_DEP_1) | instskip(NEXT) | instid1(VALU_DEP_1)
	v_fmac_f32_e32 v128, v130, v127
	v_fma_f32 v124, -v124, v128, v129
	s_delay_alu instid0(VALU_DEP_1) | instskip(NEXT) | instid1(VALU_DEP_1)
	v_div_fmas_f32 v124, v124, v127, v128
	v_div_fixup_f32 v124, v124, v125, 1.0
	s_delay_alu instid0(VALU_DEP_1)
	v_mul_f32_e32 v126, v126, v124
	v_xor_b32_e32 v127, 0x80000000, v124
                                        ; implicit-def: $vgpr124_vgpr125
.LBB55_50:
	s_and_not1_saveexec_b32 s1, s1
	s_cbranch_execz .LBB55_52
; %bb.51:
	v_div_scale_f32 v126, null, v124, v124, v125
	v_div_scale_f32 v129, vcc_lo, v125, v124, v125
	s_delay_alu instid0(VALU_DEP_2) | instskip(SKIP_1) | instid1(TRANS32_DEP_1)
	v_rcp_f32_e32 v127, v126
	v_nop
	v_fma_f32 v128, -v126, v127, 1.0
	s_delay_alu instid0(VALU_DEP_1) | instskip(NEXT) | instid1(VALU_DEP_1)
	v_fmac_f32_e32 v127, v128, v127
	v_mul_f32_e32 v128, v129, v127
	s_delay_alu instid0(VALU_DEP_1) | instskip(NEXT) | instid1(VALU_DEP_1)
	v_fma_f32 v130, -v126, v128, v129
	v_fmac_f32_e32 v128, v130, v127
	s_delay_alu instid0(VALU_DEP_1) | instskip(NEXT) | instid1(VALU_DEP_1)
	v_fma_f32 v126, -v126, v128, v129
	v_div_fmas_f32 v126, v126, v127, v128
	s_delay_alu instid0(VALU_DEP_1) | instskip(NEXT) | instid1(VALU_DEP_1)
	v_div_fixup_f32 v127, v126, v124, v125
	v_fmac_f32_e32 v124, v125, v127
	s_delay_alu instid0(VALU_DEP_1) | instskip(NEXT) | instid1(VALU_DEP_1)
	v_div_scale_f32 v125, null, v124, v124, 1.0
	v_rcp_f32_e32 v126, v125
	v_nop
	s_delay_alu instid0(TRANS32_DEP_1) | instskip(NEXT) | instid1(VALU_DEP_1)
	v_fma_f32 v128, -v125, v126, 1.0
	v_fmac_f32_e32 v126, v128, v126
	v_div_scale_f32 v128, vcc_lo, 1.0, v124, 1.0
	s_delay_alu instid0(VALU_DEP_1) | instskip(NEXT) | instid1(VALU_DEP_1)
	v_mul_f32_e32 v129, v128, v126
	v_fma_f32 v130, -v125, v129, v128
	s_delay_alu instid0(VALU_DEP_1) | instskip(NEXT) | instid1(VALU_DEP_1)
	v_fmac_f32_e32 v129, v130, v126
	v_fma_f32 v125, -v125, v129, v128
	s_delay_alu instid0(VALU_DEP_1) | instskip(NEXT) | instid1(VALU_DEP_1)
	v_div_fmas_f32 v125, v125, v126, v129
	v_div_fixup_f32 v126, v125, v124, 1.0
	s_delay_alu instid0(VALU_DEP_1)
	v_mul_f32_e64 v127, v127, -v126
.LBB55_52:
	s_or_b32 exec_lo, exec_lo, s1
	ds_store_b64 v171, v[126:127]
.LBB55_53:
	s_or_b32 exec_lo, exec_lo, s2
	s_wait_dscnt 0x0
	s_barrier_signal -1
	s_barrier_wait -1
	ds_load_b64 v[124:125], v171
	s_mov_b32 s1, exec_lo
	v_cmpx_lt_u32_e32 5, v170
	s_cbranch_execz .LBB55_55
; %bb.54:
	ds_load_2addr_b64 v[130:133], v172 offset0:6 offset1:7
	s_wait_dscnt 0x1
	v_pk_mul_f32 v[128:129], v[124:125], v[24:25] op_sel:[1,1] op_sel_hi:[0,1]
	s_delay_alu instid0(VALU_DEP_1) | instskip(SKIP_1) | instid1(VALU_DEP_1)
	v_pk_fma_f32 v[126:127], v[124:125], v[24:25], v[128:129] op_sel_hi:[1,0,1] neg_lo:[0,0,1] neg_hi:[0,0,1]
	v_pk_fma_f32 v[128:129], v[124:125], v[24:25], v[128:129] op_sel_hi:[1,0,1]
	v_dual_mov_b32 v24, v126 :: v_dual_mov_b32 v25, v129
	s_wait_dscnt 0x0
	s_delay_alu instid0(VALU_DEP_2) | instskip(NEXT) | instid1(VALU_DEP_1)
	v_pk_mul_f32 v[134:135], v[130:131], v[128:129] op_sel:[0,1]
	v_pk_fma_f32 v[136:137], v[130:131], v[126:127], v[134:135] op_sel:[0,0,1] op_sel_hi:[1,1,0] neg_lo:[0,0,1] neg_hi:[0,0,1]
	v_pk_fma_f32 v[130:131], v[130:131], v[126:127], v[134:135] op_sel:[0,0,1] op_sel_hi:[1,0,0]
	s_delay_alu instid0(VALU_DEP_1) | instskip(SKIP_1) | instid1(VALU_DEP_1)
	v_mov_b32_e32 v137, v131
	v_pk_mul_f32 v[130:131], v[132:133], v[128:129] op_sel:[0,1]
	v_pk_fma_f32 v[134:135], v[132:133], v[126:127], v[130:131] op_sel:[0,0,1] op_sel_hi:[1,1,0] neg_lo:[0,0,1] neg_hi:[0,0,1]
	v_pk_fma_f32 v[130:131], v[132:133], v[126:127], v[130:131] op_sel:[0,0,1] op_sel_hi:[1,0,0]
	s_delay_alu instid0(VALU_DEP_1)
	v_mov_b32_e32 v135, v131
	ds_load_2addr_b64 v[130:133], v172 offset0:8 offset1:9
	v_pk_add_f32 v[26:27], v[26:27], v[136:137] neg_lo:[0,1] neg_hi:[0,1]
	v_pk_add_f32 v[22:23], v[22:23], v[134:135] neg_lo:[0,1] neg_hi:[0,1]
	s_wait_dscnt 0x0
	v_pk_mul_f32 v[134:135], v[130:131], v[128:129] op_sel:[0,1]
	s_delay_alu instid0(VALU_DEP_1) | instskip(SKIP_2) | instid1(VALU_DEP_2)
	v_pk_fma_f32 v[136:137], v[130:131], v[126:127], v[134:135] op_sel:[0,0,1] op_sel_hi:[1,1,0] neg_lo:[0,0,1] neg_hi:[0,0,1]
	v_pk_fma_f32 v[130:131], v[130:131], v[126:127], v[134:135] op_sel:[0,0,1] op_sel_hi:[1,0,0]
	v_dual_mul_f32 v134, v133, v129 :: v_dual_mov_b32 v130, v133
	v_dual_mov_b32 v137, v131 :: v_dual_mov_b32 v131, v132
	s_delay_alu instid0(VALU_DEP_2) | instskip(SKIP_1) | instid1(VALU_DEP_3)
	v_pk_fma_f32 v[134:135], v[132:133], v[24:25], v[134:135] op_sel_hi:[1,1,0] neg_lo:[0,0,1] neg_hi:[0,0,1]
	v_mul_f32_e32 v132, v133, v126
	v_pk_add_f32 v[42:43], v[42:43], v[136:137] neg_lo:[0,1] neg_hi:[0,1]
	s_delay_alu instid0(VALU_DEP_2) | instskip(NEXT) | instid1(VALU_DEP_1)
	v_pk_fma_f32 v[130:131], v[130:131], v[24:25], v[132:133] op_sel_hi:[1,1,0]
	v_mov_b32_e32 v135, v131
	ds_load_2addr_b64 v[130:133], v172 offset0:10 offset1:11
	v_pk_add_f32 v[38:39], v[38:39], v[134:135] neg_lo:[0,1] neg_hi:[0,1]
	s_wait_dscnt 0x0
	v_pk_mul_f32 v[134:135], v[130:131], v[128:129] op_sel:[0,1]
	s_delay_alu instid0(VALU_DEP_1) | instskip(SKIP_1) | instid1(VALU_DEP_1)
	v_pk_fma_f32 v[136:137], v[130:131], v[126:127], v[134:135] op_sel:[0,0,1] op_sel_hi:[1,1,0] neg_lo:[0,0,1] neg_hi:[0,0,1]
	v_pk_fma_f32 v[130:131], v[130:131], v[126:127], v[134:135] op_sel:[0,0,1] op_sel_hi:[1,0,0]
	v_mov_b32_e32 v137, v131
	v_pk_mul_f32 v[130:131], v[132:133], v[128:129] op_sel:[0,1]
	s_delay_alu instid0(VALU_DEP_1) | instskip(SKIP_1) | instid1(VALU_DEP_1)
	v_pk_fma_f32 v[134:135], v[132:133], v[126:127], v[130:131] op_sel:[0,0,1] op_sel_hi:[1,1,0] neg_lo:[0,0,1] neg_hi:[0,0,1]
	v_pk_fma_f32 v[130:131], v[132:133], v[126:127], v[130:131] op_sel:[0,0,1] op_sel_hi:[1,0,0]
	v_mov_b32_e32 v135, v131
	ds_load_2addr_b64 v[130:133], v172 offset0:12 offset1:13
	v_pk_add_f32 v[40:41], v[40:41], v[136:137] neg_lo:[0,1] neg_hi:[0,1]
	v_pk_add_f32 v[36:37], v[36:37], v[134:135] neg_lo:[0,1] neg_hi:[0,1]
	s_wait_dscnt 0x0
	v_pk_mul_f32 v[134:135], v[130:131], v[128:129] op_sel:[0,1]
	s_delay_alu instid0(VALU_DEP_1) | instskip(SKIP_1) | instid1(VALU_DEP_1)
	v_pk_fma_f32 v[136:137], v[130:131], v[126:127], v[134:135] op_sel:[0,0,1] op_sel_hi:[1,1,0] neg_lo:[0,0,1] neg_hi:[0,0,1]
	v_pk_fma_f32 v[130:131], v[130:131], v[126:127], v[134:135] op_sel:[0,0,1] op_sel_hi:[1,0,0]
	v_mov_b32_e32 v137, v131
	v_pk_mul_f32 v[130:131], v[132:133], v[128:129] op_sel:[0,1]
	s_delay_alu instid0(VALU_DEP_1) | instskip(SKIP_1) | instid1(VALU_DEP_1)
	v_pk_fma_f32 v[134:135], v[132:133], v[126:127], v[130:131] op_sel:[0,0,1] op_sel_hi:[1,1,0] neg_lo:[0,0,1] neg_hi:[0,0,1]
	v_pk_fma_f32 v[130:131], v[132:133], v[126:127], v[130:131] op_sel:[0,0,1] op_sel_hi:[1,0,0]
	v_mov_b32_e32 v135, v131
	ds_load_2addr_b64 v[130:133], v172 offset0:14 offset1:15
	v_pk_add_f32 v[64:65], v[64:65], v[136:137] neg_lo:[0,1] neg_hi:[0,1]
	v_pk_add_f32 v[60:61], v[60:61], v[134:135] neg_lo:[0,1] neg_hi:[0,1]
	s_wait_dscnt 0x0
	v_dual_mul_f32 v134, v131, v129 :: v_dual_mul_f32 v136, v131, v126
	s_delay_alu instid0(VALU_DEP_1) | instskip(NEXT) | instid1(VALU_DEP_2)
	v_pk_fma_f32 v[134:135], v[130:131], v[24:25], v[134:135] op_sel_hi:[1,1,0] neg_lo:[0,0,1] neg_hi:[0,0,1]
	v_pk_fma_f32 v[130:131], v[130:131], v[24:25], v[136:137] op_sel:[1,0,0] op_sel_hi:[0,1,0]
	s_delay_alu instid0(VALU_DEP_1) | instskip(SKIP_1) | instid1(VALU_DEP_2)
	v_mov_b32_e32 v135, v131
	v_pk_mul_f32 v[130:131], v[132:133], v[128:129] op_sel:[0,1]
	v_pk_add_f32 v[62:63], v[62:63], v[134:135] neg_lo:[0,1] neg_hi:[0,1]
	s_delay_alu instid0(VALU_DEP_2) | instskip(SKIP_1) | instid1(VALU_DEP_1)
	v_pk_fma_f32 v[134:135], v[132:133], v[126:127], v[130:131] op_sel:[0,0,1] op_sel_hi:[1,1,0] neg_lo:[0,0,1] neg_hi:[0,0,1]
	v_pk_fma_f32 v[130:131], v[132:133], v[126:127], v[130:131] op_sel:[0,0,1] op_sel_hi:[1,0,0]
	v_mov_b32_e32 v135, v131
	ds_load_2addr_b64 v[130:133], v172 offset0:16 offset1:17
	v_pk_add_f32 v[104:105], v[104:105], v[134:135] neg_lo:[0,1] neg_hi:[0,1]
	s_wait_dscnt 0x0
	v_pk_mul_f32 v[134:135], v[130:131], v[128:129] op_sel:[0,1]
	s_delay_alu instid0(VALU_DEP_1) | instskip(SKIP_1) | instid1(VALU_DEP_1)
	v_pk_fma_f32 v[136:137], v[130:131], v[126:127], v[134:135] op_sel:[0,0,1] op_sel_hi:[1,1,0] neg_lo:[0,0,1] neg_hi:[0,0,1]
	v_pk_fma_f32 v[130:131], v[130:131], v[126:127], v[134:135] op_sel:[0,0,1] op_sel_hi:[1,0,0]
	v_mov_b32_e32 v137, v131
	v_pk_mul_f32 v[130:131], v[132:133], v[128:129] op_sel:[0,1]
	s_delay_alu instid0(VALU_DEP_2) | instskip(NEXT) | instid1(VALU_DEP_2)
	v_pk_add_f32 v[84:85], v[84:85], v[136:137] neg_lo:[0,1] neg_hi:[0,1]
	v_pk_fma_f32 v[134:135], v[132:133], v[126:127], v[130:131] op_sel:[0,0,1] op_sel_hi:[1,1,0] neg_lo:[0,0,1] neg_hi:[0,0,1]
	v_pk_fma_f32 v[130:131], v[132:133], v[126:127], v[130:131] op_sel:[0,0,1] op_sel_hi:[1,0,0]
	s_delay_alu instid0(VALU_DEP_1) | instskip(SKIP_4) | instid1(VALU_DEP_1)
	v_mov_b32_e32 v135, v131
	ds_load_2addr_b64 v[130:133], v172 offset0:18 offset1:19
	v_pk_add_f32 v[80:81], v[80:81], v[134:135] neg_lo:[0,1] neg_hi:[0,1]
	s_wait_dscnt 0x0
	v_pk_mul_f32 v[134:135], v[130:131], v[128:129] op_sel:[0,1]
	v_pk_fma_f32 v[136:137], v[130:131], v[126:127], v[134:135] op_sel:[0,0,1] op_sel_hi:[1,1,0] neg_lo:[0,0,1] neg_hi:[0,0,1]
	v_pk_fma_f32 v[130:131], v[130:131], v[126:127], v[134:135] op_sel:[0,0,1] op_sel_hi:[1,0,0]
	v_dual_mul_f32 v134, v133, v129 :: v_dual_mov_b32 v130, v133
	s_delay_alu instid0(VALU_DEP_2) | instskip(NEXT) | instid1(VALU_DEP_2)
	v_dual_mov_b32 v137, v131 :: v_dual_mov_b32 v131, v132
	v_pk_fma_f32 v[134:135], v[132:133], v[24:25], v[134:135] op_sel_hi:[1,1,0] neg_lo:[0,0,1] neg_hi:[0,0,1]
	v_mul_f32_e32 v132, v133, v126
	s_delay_alu instid0(VALU_DEP_3) | instskip(NEXT) | instid1(VALU_DEP_2)
	v_pk_add_f32 v[82:83], v[82:83], v[136:137] neg_lo:[0,1] neg_hi:[0,1]
	v_pk_fma_f32 v[130:131], v[130:131], v[24:25], v[132:133] op_sel_hi:[1,1,0]
	s_delay_alu instid0(VALU_DEP_1) | instskip(SKIP_4) | instid1(VALU_DEP_1)
	v_mov_b32_e32 v135, v131
	ds_load_2addr_b64 v[130:133], v172 offset0:20 offset1:21
	v_pk_add_f32 v[78:79], v[78:79], v[134:135] neg_lo:[0,1] neg_hi:[0,1]
	s_wait_dscnt 0x0
	v_pk_mul_f32 v[134:135], v[130:131], v[128:129] op_sel:[0,1]
	v_pk_fma_f32 v[136:137], v[130:131], v[126:127], v[134:135] op_sel:[0,0,1] op_sel_hi:[1,1,0] neg_lo:[0,0,1] neg_hi:[0,0,1]
	v_pk_fma_f32 v[130:131], v[130:131], v[126:127], v[134:135] op_sel:[0,0,1] op_sel_hi:[1,0,0]
	s_delay_alu instid0(VALU_DEP_1) | instskip(SKIP_1) | instid1(VALU_DEP_1)
	v_mov_b32_e32 v137, v131
	v_pk_mul_f32 v[130:131], v[132:133], v[128:129] op_sel:[0,1]
	v_pk_fma_f32 v[134:135], v[132:133], v[126:127], v[130:131] op_sel:[0,0,1] op_sel_hi:[1,1,0] neg_lo:[0,0,1] neg_hi:[0,0,1]
	v_pk_fma_f32 v[130:131], v[132:133], v[126:127], v[130:131] op_sel:[0,0,1] op_sel_hi:[1,0,0]
	s_delay_alu instid0(VALU_DEP_1)
	v_mov_b32_e32 v135, v131
	ds_load_2addr_b64 v[130:133], v172 offset0:22 offset1:23
	v_pk_add_f32 v[102:103], v[102:103], v[136:137] neg_lo:[0,1] neg_hi:[0,1]
	v_pk_add_f32 v[98:99], v[98:99], v[134:135] neg_lo:[0,1] neg_hi:[0,1]
	s_wait_dscnt 0x0
	v_pk_mul_f32 v[134:135], v[130:131], v[128:129] op_sel:[0,1]
	s_delay_alu instid0(VALU_DEP_1) | instskip(SKIP_1) | instid1(VALU_DEP_1)
	v_pk_fma_f32 v[136:137], v[130:131], v[126:127], v[134:135] op_sel:[0,0,1] op_sel_hi:[1,1,0] neg_lo:[0,0,1] neg_hi:[0,0,1]
	v_pk_fma_f32 v[130:131], v[130:131], v[126:127], v[134:135] op_sel:[0,0,1] op_sel_hi:[1,0,0]
	v_mov_b32_e32 v137, v131
	v_pk_mul_f32 v[130:131], v[132:133], v[128:129] op_sel:[0,1]
	s_delay_alu instid0(VALU_DEP_1) | instskip(SKIP_1) | instid1(VALU_DEP_1)
	v_pk_fma_f32 v[134:135], v[132:133], v[126:127], v[130:131] op_sel:[0,0,1] op_sel_hi:[1,1,0] neg_lo:[0,0,1] neg_hi:[0,0,1]
	v_pk_fma_f32 v[130:131], v[132:133], v[126:127], v[130:131] op_sel:[0,0,1] op_sel_hi:[1,0,0]
	v_mov_b32_e32 v135, v131
	ds_load_2addr_b64 v[130:133], v172 offset0:24 offset1:25
	v_pk_add_f32 v[100:101], v[100:101], v[136:137] neg_lo:[0,1] neg_hi:[0,1]
	v_pk_add_f32 v[96:97], v[96:97], v[134:135] neg_lo:[0,1] neg_hi:[0,1]
	s_wait_dscnt 0x0
	v_dual_mul_f32 v134, v131, v129 :: v_dual_mul_f32 v136, v131, v126
	s_delay_alu instid0(VALU_DEP_1) | instskip(NEXT) | instid1(VALU_DEP_2)
	v_pk_fma_f32 v[134:135], v[130:131], v[24:25], v[134:135] op_sel_hi:[1,1,0] neg_lo:[0,0,1] neg_hi:[0,0,1]
	v_pk_fma_f32 v[130:131], v[130:131], v[24:25], v[136:137] op_sel:[1,0,0] op_sel_hi:[0,1,0]
	s_delay_alu instid0(VALU_DEP_1) | instskip(SKIP_1) | instid1(VALU_DEP_2)
	v_mov_b32_e32 v135, v131
	v_pk_mul_f32 v[130:131], v[132:133], v[128:129] op_sel:[0,1]
	v_pk_add_f32 v[110:111], v[110:111], v[134:135] neg_lo:[0,1] neg_hi:[0,1]
	s_delay_alu instid0(VALU_DEP_2) | instskip(SKIP_1) | instid1(VALU_DEP_1)
	v_pk_fma_f32 v[134:135], v[132:133], v[126:127], v[130:131] op_sel:[0,0,1] op_sel_hi:[1,1,0] neg_lo:[0,0,1] neg_hi:[0,0,1]
	v_pk_fma_f32 v[130:131], v[132:133], v[126:127], v[130:131] op_sel:[0,0,1] op_sel_hi:[1,0,0]
	v_mov_b32_e32 v135, v131
	ds_load_2addr_b64 v[130:133], v172 offset0:26 offset1:27
	v_pk_add_f32 v[108:109], v[108:109], v[134:135] neg_lo:[0,1] neg_hi:[0,1]
	s_wait_dscnt 0x0
	v_pk_mul_f32 v[134:135], v[130:131], v[128:129] op_sel:[0,1]
	v_pk_mul_f32 v[128:129], v[132:133], v[128:129] op_sel:[0,1]
	s_delay_alu instid0(VALU_DEP_2) | instskip(SKIP_1) | instid1(VALU_DEP_1)
	v_pk_fma_f32 v[136:137], v[130:131], v[126:127], v[134:135] op_sel:[0,0,1] op_sel_hi:[1,1,0] neg_lo:[0,0,1] neg_hi:[0,0,1]
	v_pk_fma_f32 v[130:131], v[130:131], v[126:127], v[134:135] op_sel:[0,0,1] op_sel_hi:[1,0,0]
	v_mov_b32_e32 v137, v131
	s_delay_alu instid0(VALU_DEP_4) | instskip(SKIP_1) | instid1(VALU_DEP_3)
	v_pk_fma_f32 v[130:131], v[132:133], v[126:127], v[128:129] op_sel:[0,0,1] op_sel_hi:[1,1,0] neg_lo:[0,0,1] neg_hi:[0,0,1]
	v_pk_fma_f32 v[126:127], v[132:133], v[126:127], v[128:129] op_sel:[0,0,1] op_sel_hi:[1,0,0]
	v_pk_add_f32 v[106:107], v[106:107], v[136:137] neg_lo:[0,1] neg_hi:[0,1]
	s_delay_alu instid0(VALU_DEP_2) | instskip(NEXT) | instid1(VALU_DEP_1)
	v_mov_b32_e32 v131, v127
	v_pk_add_f32 v[112:113], v[112:113], v[130:131] neg_lo:[0,1] neg_hi:[0,1]
.LBB55_55:
	s_or_b32 exec_lo, exec_lo, s1
	s_delay_alu instid0(SALU_CYCLE_1)
	s_mov_b32 s2, exec_lo
	s_wait_dscnt 0x0
	s_barrier_signal -1
	s_barrier_wait -1
	v_cmpx_eq_u32_e32 6, v170
	s_cbranch_execz .LBB55_62
; %bb.56:
	ds_store_b64 v171, v[26:27]
	ds_store_2addr_b64 v172, v[22:23], v[42:43] offset0:7 offset1:8
	ds_store_2addr_b64 v172, v[38:39], v[40:41] offset0:9 offset1:10
	;; [unrolled: 1-line block ×10, first 2 shown]
	ds_store_b64 v172, v[112:113] offset:216
	ds_load_b64 v[126:127], v171
	s_wait_dscnt 0x0
	v_cmp_neq_f32_e32 vcc_lo, 0, v126
	v_cmp_neq_f32_e64 s1, 0, v127
	s_or_b32 s1, vcc_lo, s1
	s_delay_alu instid0(SALU_CYCLE_1)
	s_and_b32 exec_lo, exec_lo, s1
	s_cbranch_execz .LBB55_62
; %bb.57:
	v_cmp_ngt_f32_e64 s1, |v126|, |v127|
                                        ; implicit-def: $vgpr128_vgpr129
	s_and_saveexec_b32 s4, s1
	s_delay_alu instid0(SALU_CYCLE_1)
	s_xor_b32 s1, exec_lo, s4
	s_cbranch_execz .LBB55_59
; %bb.58:
	v_div_scale_f32 v128, null, v127, v127, v126
	v_div_scale_f32 v131, vcc_lo, v126, v127, v126
	s_delay_alu instid0(VALU_DEP_2) | instskip(SKIP_1) | instid1(TRANS32_DEP_1)
	v_rcp_f32_e32 v129, v128
	v_nop
	v_fma_f32 v130, -v128, v129, 1.0
	s_delay_alu instid0(VALU_DEP_1) | instskip(NEXT) | instid1(VALU_DEP_1)
	v_fmac_f32_e32 v129, v130, v129
	v_mul_f32_e32 v130, v131, v129
	s_delay_alu instid0(VALU_DEP_1) | instskip(NEXT) | instid1(VALU_DEP_1)
	v_fma_f32 v132, -v128, v130, v131
	v_fmac_f32_e32 v130, v132, v129
	s_delay_alu instid0(VALU_DEP_1) | instskip(NEXT) | instid1(VALU_DEP_1)
	v_fma_f32 v128, -v128, v130, v131
	v_div_fmas_f32 v128, v128, v129, v130
	s_delay_alu instid0(VALU_DEP_1) | instskip(NEXT) | instid1(VALU_DEP_1)
	v_div_fixup_f32 v128, v128, v127, v126
	v_fmac_f32_e32 v127, v126, v128
	s_delay_alu instid0(VALU_DEP_1) | instskip(SKIP_1) | instid1(VALU_DEP_2)
	v_div_scale_f32 v126, null, v127, v127, 1.0
	v_div_scale_f32 v131, vcc_lo, 1.0, v127, 1.0
	v_rcp_f32_e32 v129, v126
	v_nop
	s_delay_alu instid0(TRANS32_DEP_1) | instskip(NEXT) | instid1(VALU_DEP_1)
	v_fma_f32 v130, -v126, v129, 1.0
	v_fmac_f32_e32 v129, v130, v129
	s_delay_alu instid0(VALU_DEP_1) | instskip(NEXT) | instid1(VALU_DEP_1)
	v_mul_f32_e32 v130, v131, v129
	v_fma_f32 v132, -v126, v130, v131
	s_delay_alu instid0(VALU_DEP_1) | instskip(NEXT) | instid1(VALU_DEP_1)
	v_fmac_f32_e32 v130, v132, v129
	v_fma_f32 v126, -v126, v130, v131
	s_delay_alu instid0(VALU_DEP_1) | instskip(NEXT) | instid1(VALU_DEP_1)
	v_div_fmas_f32 v126, v126, v129, v130
	v_div_fixup_f32 v126, v126, v127, 1.0
	s_delay_alu instid0(VALU_DEP_1)
	v_mul_f32_e32 v128, v128, v126
	v_xor_b32_e32 v129, 0x80000000, v126
                                        ; implicit-def: $vgpr126_vgpr127
.LBB55_59:
	s_and_not1_saveexec_b32 s1, s1
	s_cbranch_execz .LBB55_61
; %bb.60:
	v_div_scale_f32 v128, null, v126, v126, v127
	v_div_scale_f32 v131, vcc_lo, v127, v126, v127
	s_delay_alu instid0(VALU_DEP_2) | instskip(SKIP_1) | instid1(TRANS32_DEP_1)
	v_rcp_f32_e32 v129, v128
	v_nop
	v_fma_f32 v130, -v128, v129, 1.0
	s_delay_alu instid0(VALU_DEP_1) | instskip(NEXT) | instid1(VALU_DEP_1)
	v_fmac_f32_e32 v129, v130, v129
	v_mul_f32_e32 v130, v131, v129
	s_delay_alu instid0(VALU_DEP_1) | instskip(NEXT) | instid1(VALU_DEP_1)
	v_fma_f32 v132, -v128, v130, v131
	v_fmac_f32_e32 v130, v132, v129
	s_delay_alu instid0(VALU_DEP_1) | instskip(NEXT) | instid1(VALU_DEP_1)
	v_fma_f32 v128, -v128, v130, v131
	v_div_fmas_f32 v128, v128, v129, v130
	s_delay_alu instid0(VALU_DEP_1) | instskip(NEXT) | instid1(VALU_DEP_1)
	v_div_fixup_f32 v129, v128, v126, v127
	v_fmac_f32_e32 v126, v127, v129
	s_delay_alu instid0(VALU_DEP_1) | instskip(NEXT) | instid1(VALU_DEP_1)
	v_div_scale_f32 v127, null, v126, v126, 1.0
	v_rcp_f32_e32 v128, v127
	v_nop
	s_delay_alu instid0(TRANS32_DEP_1) | instskip(NEXT) | instid1(VALU_DEP_1)
	v_fma_f32 v130, -v127, v128, 1.0
	v_fmac_f32_e32 v128, v130, v128
	v_div_scale_f32 v130, vcc_lo, 1.0, v126, 1.0
	s_delay_alu instid0(VALU_DEP_1) | instskip(NEXT) | instid1(VALU_DEP_1)
	v_mul_f32_e32 v131, v130, v128
	v_fma_f32 v132, -v127, v131, v130
	s_delay_alu instid0(VALU_DEP_1) | instskip(NEXT) | instid1(VALU_DEP_1)
	v_fmac_f32_e32 v131, v132, v128
	v_fma_f32 v127, -v127, v131, v130
	s_delay_alu instid0(VALU_DEP_1) | instskip(NEXT) | instid1(VALU_DEP_1)
	v_div_fmas_f32 v127, v127, v128, v131
	v_div_fixup_f32 v128, v127, v126, 1.0
	s_delay_alu instid0(VALU_DEP_1)
	v_mul_f32_e64 v129, v129, -v128
.LBB55_61:
	s_or_b32 exec_lo, exec_lo, s1
	ds_store_b64 v171, v[128:129]
.LBB55_62:
	s_or_b32 exec_lo, exec_lo, s2
	s_wait_dscnt 0x0
	s_barrier_signal -1
	s_barrier_wait -1
	ds_load_b64 v[126:127], v171
	s_mov_b32 s1, exec_lo
	v_cmpx_lt_u32_e32 6, v170
	s_cbranch_execz .LBB55_64
; %bb.63:
	ds_load_2addr_b64 v[132:135], v172 offset0:7 offset1:8
	s_wait_dscnt 0x1
	v_pk_mul_f32 v[130:131], v[126:127], v[26:27] op_sel:[1,1] op_sel_hi:[0,1]
	s_delay_alu instid0(VALU_DEP_1) | instskip(SKIP_1) | instid1(VALU_DEP_1)
	v_pk_fma_f32 v[128:129], v[126:127], v[26:27], v[130:131] op_sel_hi:[1,0,1] neg_lo:[0,0,1] neg_hi:[0,0,1]
	v_pk_fma_f32 v[130:131], v[126:127], v[26:27], v[130:131] op_sel_hi:[1,0,1]
	v_dual_mov_b32 v26, v128 :: v_dual_mov_b32 v27, v131
	s_wait_dscnt 0x0
	s_delay_alu instid0(VALU_DEP_2) | instskip(NEXT) | instid1(VALU_DEP_1)
	v_pk_mul_f32 v[136:137], v[132:133], v[130:131] op_sel:[0,1]
	v_pk_fma_f32 v[138:139], v[132:133], v[128:129], v[136:137] op_sel:[0,0,1] op_sel_hi:[1,1,0] neg_lo:[0,0,1] neg_hi:[0,0,1]
	v_pk_fma_f32 v[132:133], v[132:133], v[128:129], v[136:137] op_sel:[0,0,1] op_sel_hi:[1,0,0]
	s_delay_alu instid0(VALU_DEP_1) | instskip(SKIP_1) | instid1(VALU_DEP_1)
	v_mov_b32_e32 v139, v133
	v_pk_mul_f32 v[132:133], v[134:135], v[130:131] op_sel:[0,1]
	v_pk_fma_f32 v[136:137], v[134:135], v[128:129], v[132:133] op_sel:[0,0,1] op_sel_hi:[1,1,0] neg_lo:[0,0,1] neg_hi:[0,0,1]
	v_pk_fma_f32 v[132:133], v[134:135], v[128:129], v[132:133] op_sel:[0,0,1] op_sel_hi:[1,0,0]
	s_delay_alu instid0(VALU_DEP_1)
	v_mov_b32_e32 v137, v133
	ds_load_2addr_b64 v[132:135], v172 offset0:9 offset1:10
	v_pk_add_f32 v[22:23], v[22:23], v[138:139] neg_lo:[0,1] neg_hi:[0,1]
	v_pk_add_f32 v[42:43], v[42:43], v[136:137] neg_lo:[0,1] neg_hi:[0,1]
	s_wait_dscnt 0x0
	v_pk_mul_f32 v[136:137], v[132:133], v[130:131] op_sel:[0,1]
	s_delay_alu instid0(VALU_DEP_1) | instskip(SKIP_2) | instid1(VALU_DEP_2)
	v_pk_fma_f32 v[138:139], v[132:133], v[128:129], v[136:137] op_sel:[0,0,1] op_sel_hi:[1,1,0] neg_lo:[0,0,1] neg_hi:[0,0,1]
	v_pk_fma_f32 v[132:133], v[132:133], v[128:129], v[136:137] op_sel:[0,0,1] op_sel_hi:[1,0,0]
	v_dual_mul_f32 v136, v135, v131 :: v_dual_mov_b32 v132, v135
	v_dual_mov_b32 v139, v133 :: v_dual_mov_b32 v133, v134
	s_delay_alu instid0(VALU_DEP_2) | instskip(SKIP_1) | instid1(VALU_DEP_3)
	v_pk_fma_f32 v[136:137], v[134:135], v[26:27], v[136:137] op_sel_hi:[1,1,0] neg_lo:[0,0,1] neg_hi:[0,0,1]
	v_mul_f32_e32 v134, v135, v128
	v_pk_add_f32 v[38:39], v[38:39], v[138:139] neg_lo:[0,1] neg_hi:[0,1]
	s_delay_alu instid0(VALU_DEP_2) | instskip(NEXT) | instid1(VALU_DEP_1)
	v_pk_fma_f32 v[132:133], v[132:133], v[26:27], v[134:135] op_sel_hi:[1,1,0]
	v_mov_b32_e32 v137, v133
	ds_load_2addr_b64 v[132:135], v172 offset0:11 offset1:12
	v_pk_add_f32 v[40:41], v[40:41], v[136:137] neg_lo:[0,1] neg_hi:[0,1]
	s_wait_dscnt 0x0
	v_pk_mul_f32 v[136:137], v[132:133], v[130:131] op_sel:[0,1]
	s_delay_alu instid0(VALU_DEP_1) | instskip(SKIP_1) | instid1(VALU_DEP_1)
	v_pk_fma_f32 v[138:139], v[132:133], v[128:129], v[136:137] op_sel:[0,0,1] op_sel_hi:[1,1,0] neg_lo:[0,0,1] neg_hi:[0,0,1]
	v_pk_fma_f32 v[132:133], v[132:133], v[128:129], v[136:137] op_sel:[0,0,1] op_sel_hi:[1,0,0]
	v_mov_b32_e32 v139, v133
	v_pk_mul_f32 v[132:133], v[134:135], v[130:131] op_sel:[0,1]
	s_delay_alu instid0(VALU_DEP_1) | instskip(SKIP_1) | instid1(VALU_DEP_1)
	v_pk_fma_f32 v[136:137], v[134:135], v[128:129], v[132:133] op_sel:[0,0,1] op_sel_hi:[1,1,0] neg_lo:[0,0,1] neg_hi:[0,0,1]
	v_pk_fma_f32 v[132:133], v[134:135], v[128:129], v[132:133] op_sel:[0,0,1] op_sel_hi:[1,0,0]
	v_mov_b32_e32 v137, v133
	ds_load_2addr_b64 v[132:135], v172 offset0:13 offset1:14
	v_pk_add_f32 v[36:37], v[36:37], v[138:139] neg_lo:[0,1] neg_hi:[0,1]
	v_pk_add_f32 v[64:65], v[64:65], v[136:137] neg_lo:[0,1] neg_hi:[0,1]
	s_wait_dscnt 0x0
	v_pk_mul_f32 v[136:137], v[132:133], v[130:131] op_sel:[0,1]
	s_delay_alu instid0(VALU_DEP_1) | instskip(SKIP_1) | instid1(VALU_DEP_1)
	v_pk_fma_f32 v[138:139], v[132:133], v[128:129], v[136:137] op_sel:[0,0,1] op_sel_hi:[1,1,0] neg_lo:[0,0,1] neg_hi:[0,0,1]
	v_pk_fma_f32 v[132:133], v[132:133], v[128:129], v[136:137] op_sel:[0,0,1] op_sel_hi:[1,0,0]
	v_mov_b32_e32 v139, v133
	v_pk_mul_f32 v[132:133], v[134:135], v[130:131] op_sel:[0,1]
	s_delay_alu instid0(VALU_DEP_1) | instskip(SKIP_1) | instid1(VALU_DEP_1)
	v_pk_fma_f32 v[136:137], v[134:135], v[128:129], v[132:133] op_sel:[0,0,1] op_sel_hi:[1,1,0] neg_lo:[0,0,1] neg_hi:[0,0,1]
	v_pk_fma_f32 v[132:133], v[134:135], v[128:129], v[132:133] op_sel:[0,0,1] op_sel_hi:[1,0,0]
	v_mov_b32_e32 v137, v133
	ds_load_2addr_b64 v[132:135], v172 offset0:15 offset1:16
	v_pk_add_f32 v[60:61], v[60:61], v[138:139] neg_lo:[0,1] neg_hi:[0,1]
	v_pk_add_f32 v[62:63], v[62:63], v[136:137] neg_lo:[0,1] neg_hi:[0,1]
	s_wait_dscnt 0x0
	v_dual_mul_f32 v136, v133, v131 :: v_dual_mul_f32 v138, v133, v128
	s_delay_alu instid0(VALU_DEP_1) | instskip(NEXT) | instid1(VALU_DEP_2)
	v_pk_fma_f32 v[136:137], v[132:133], v[26:27], v[136:137] op_sel_hi:[1,1,0] neg_lo:[0,0,1] neg_hi:[0,0,1]
	v_pk_fma_f32 v[132:133], v[132:133], v[26:27], v[138:139] op_sel:[1,0,0] op_sel_hi:[0,1,0]
	s_delay_alu instid0(VALU_DEP_1) | instskip(SKIP_1) | instid1(VALU_DEP_2)
	v_mov_b32_e32 v137, v133
	v_pk_mul_f32 v[132:133], v[134:135], v[130:131] op_sel:[0,1]
	v_pk_add_f32 v[104:105], v[104:105], v[136:137] neg_lo:[0,1] neg_hi:[0,1]
	s_delay_alu instid0(VALU_DEP_2) | instskip(SKIP_1) | instid1(VALU_DEP_1)
	v_pk_fma_f32 v[136:137], v[134:135], v[128:129], v[132:133] op_sel:[0,0,1] op_sel_hi:[1,1,0] neg_lo:[0,0,1] neg_hi:[0,0,1]
	v_pk_fma_f32 v[132:133], v[134:135], v[128:129], v[132:133] op_sel:[0,0,1] op_sel_hi:[1,0,0]
	v_mov_b32_e32 v137, v133
	ds_load_2addr_b64 v[132:135], v172 offset0:17 offset1:18
	v_pk_add_f32 v[84:85], v[84:85], v[136:137] neg_lo:[0,1] neg_hi:[0,1]
	s_wait_dscnt 0x0
	v_pk_mul_f32 v[136:137], v[132:133], v[130:131] op_sel:[0,1]
	s_delay_alu instid0(VALU_DEP_1) | instskip(SKIP_1) | instid1(VALU_DEP_1)
	v_pk_fma_f32 v[138:139], v[132:133], v[128:129], v[136:137] op_sel:[0,0,1] op_sel_hi:[1,1,0] neg_lo:[0,0,1] neg_hi:[0,0,1]
	v_pk_fma_f32 v[132:133], v[132:133], v[128:129], v[136:137] op_sel:[0,0,1] op_sel_hi:[1,0,0]
	v_mov_b32_e32 v139, v133
	v_pk_mul_f32 v[132:133], v[134:135], v[130:131] op_sel:[0,1]
	s_delay_alu instid0(VALU_DEP_2) | instskip(NEXT) | instid1(VALU_DEP_2)
	v_pk_add_f32 v[80:81], v[80:81], v[138:139] neg_lo:[0,1] neg_hi:[0,1]
	v_pk_fma_f32 v[136:137], v[134:135], v[128:129], v[132:133] op_sel:[0,0,1] op_sel_hi:[1,1,0] neg_lo:[0,0,1] neg_hi:[0,0,1]
	v_pk_fma_f32 v[132:133], v[134:135], v[128:129], v[132:133] op_sel:[0,0,1] op_sel_hi:[1,0,0]
	s_delay_alu instid0(VALU_DEP_1) | instskip(SKIP_4) | instid1(VALU_DEP_1)
	v_mov_b32_e32 v137, v133
	ds_load_2addr_b64 v[132:135], v172 offset0:19 offset1:20
	v_pk_add_f32 v[82:83], v[82:83], v[136:137] neg_lo:[0,1] neg_hi:[0,1]
	s_wait_dscnt 0x0
	v_pk_mul_f32 v[136:137], v[132:133], v[130:131] op_sel:[0,1]
	v_pk_fma_f32 v[138:139], v[132:133], v[128:129], v[136:137] op_sel:[0,0,1] op_sel_hi:[1,1,0] neg_lo:[0,0,1] neg_hi:[0,0,1]
	v_pk_fma_f32 v[132:133], v[132:133], v[128:129], v[136:137] op_sel:[0,0,1] op_sel_hi:[1,0,0]
	v_dual_mul_f32 v136, v135, v131 :: v_dual_mov_b32 v132, v135
	s_delay_alu instid0(VALU_DEP_2) | instskip(NEXT) | instid1(VALU_DEP_2)
	v_dual_mov_b32 v139, v133 :: v_dual_mov_b32 v133, v134
	v_pk_fma_f32 v[136:137], v[134:135], v[26:27], v[136:137] op_sel_hi:[1,1,0] neg_lo:[0,0,1] neg_hi:[0,0,1]
	v_mul_f32_e32 v134, v135, v128
	s_delay_alu instid0(VALU_DEP_3) | instskip(NEXT) | instid1(VALU_DEP_2)
	v_pk_add_f32 v[78:79], v[78:79], v[138:139] neg_lo:[0,1] neg_hi:[0,1]
	v_pk_fma_f32 v[132:133], v[132:133], v[26:27], v[134:135] op_sel_hi:[1,1,0]
	s_delay_alu instid0(VALU_DEP_1) | instskip(SKIP_4) | instid1(VALU_DEP_1)
	v_mov_b32_e32 v137, v133
	ds_load_2addr_b64 v[132:135], v172 offset0:21 offset1:22
	v_pk_add_f32 v[102:103], v[102:103], v[136:137] neg_lo:[0,1] neg_hi:[0,1]
	s_wait_dscnt 0x0
	v_pk_mul_f32 v[136:137], v[132:133], v[130:131] op_sel:[0,1]
	v_pk_fma_f32 v[138:139], v[132:133], v[128:129], v[136:137] op_sel:[0,0,1] op_sel_hi:[1,1,0] neg_lo:[0,0,1] neg_hi:[0,0,1]
	v_pk_fma_f32 v[132:133], v[132:133], v[128:129], v[136:137] op_sel:[0,0,1] op_sel_hi:[1,0,0]
	s_delay_alu instid0(VALU_DEP_1) | instskip(SKIP_1) | instid1(VALU_DEP_1)
	v_mov_b32_e32 v139, v133
	v_pk_mul_f32 v[132:133], v[134:135], v[130:131] op_sel:[0,1]
	v_pk_fma_f32 v[136:137], v[134:135], v[128:129], v[132:133] op_sel:[0,0,1] op_sel_hi:[1,1,0] neg_lo:[0,0,1] neg_hi:[0,0,1]
	v_pk_fma_f32 v[132:133], v[134:135], v[128:129], v[132:133] op_sel:[0,0,1] op_sel_hi:[1,0,0]
	s_delay_alu instid0(VALU_DEP_1)
	v_mov_b32_e32 v137, v133
	ds_load_2addr_b64 v[132:135], v172 offset0:23 offset1:24
	v_pk_add_f32 v[98:99], v[98:99], v[138:139] neg_lo:[0,1] neg_hi:[0,1]
	v_pk_add_f32 v[100:101], v[100:101], v[136:137] neg_lo:[0,1] neg_hi:[0,1]
	s_wait_dscnt 0x0
	v_pk_mul_f32 v[136:137], v[132:133], v[130:131] op_sel:[0,1]
	s_delay_alu instid0(VALU_DEP_1) | instskip(SKIP_1) | instid1(VALU_DEP_1)
	v_pk_fma_f32 v[138:139], v[132:133], v[128:129], v[136:137] op_sel:[0,0,1] op_sel_hi:[1,1,0] neg_lo:[0,0,1] neg_hi:[0,0,1]
	v_pk_fma_f32 v[132:133], v[132:133], v[128:129], v[136:137] op_sel:[0,0,1] op_sel_hi:[1,0,0]
	v_mov_b32_e32 v139, v133
	v_pk_mul_f32 v[132:133], v[134:135], v[130:131] op_sel:[0,1]
	s_delay_alu instid0(VALU_DEP_1) | instskip(SKIP_1) | instid1(VALU_DEP_1)
	v_pk_fma_f32 v[136:137], v[134:135], v[128:129], v[132:133] op_sel:[0,0,1] op_sel_hi:[1,1,0] neg_lo:[0,0,1] neg_hi:[0,0,1]
	v_pk_fma_f32 v[132:133], v[134:135], v[128:129], v[132:133] op_sel:[0,0,1] op_sel_hi:[1,0,0]
	v_mov_b32_e32 v137, v133
	ds_load_2addr_b64 v[132:135], v172 offset0:25 offset1:26
	v_pk_add_f32 v[96:97], v[96:97], v[138:139] neg_lo:[0,1] neg_hi:[0,1]
	v_pk_add_f32 v[110:111], v[110:111], v[136:137] neg_lo:[0,1] neg_hi:[0,1]
	s_wait_dscnt 0x0
	v_dual_mul_f32 v136, v133, v131 :: v_dual_mul_f32 v138, v133, v128
	s_delay_alu instid0(VALU_DEP_1) | instskip(NEXT) | instid1(VALU_DEP_2)
	v_pk_fma_f32 v[136:137], v[132:133], v[26:27], v[136:137] op_sel_hi:[1,1,0] neg_lo:[0,0,1] neg_hi:[0,0,1]
	v_pk_fma_f32 v[132:133], v[132:133], v[26:27], v[138:139] op_sel:[1,0,0] op_sel_hi:[0,1,0]
	s_delay_alu instid0(VALU_DEP_1) | instskip(SKIP_1) | instid1(VALU_DEP_2)
	v_mov_b32_e32 v137, v133
	v_pk_mul_f32 v[132:133], v[134:135], v[130:131] op_sel:[0,1]
	v_pk_add_f32 v[108:109], v[108:109], v[136:137] neg_lo:[0,1] neg_hi:[0,1]
	s_delay_alu instid0(VALU_DEP_2) | instskip(SKIP_1) | instid1(VALU_DEP_1)
	v_pk_fma_f32 v[136:137], v[134:135], v[128:129], v[132:133] op_sel:[0,0,1] op_sel_hi:[1,1,0] neg_lo:[0,0,1] neg_hi:[0,0,1]
	v_pk_fma_f32 v[132:133], v[134:135], v[128:129], v[132:133] op_sel:[0,0,1] op_sel_hi:[1,0,0]
	v_mov_b32_e32 v137, v133
	ds_load_b64 v[132:133], v172 offset:216
	v_pk_add_f32 v[106:107], v[106:107], v[136:137] neg_lo:[0,1] neg_hi:[0,1]
	s_wait_dscnt 0x0
	v_pk_mul_f32 v[130:131], v[132:133], v[130:131] op_sel:[0,1]
	s_delay_alu instid0(VALU_DEP_1) | instskip(SKIP_1) | instid1(VALU_DEP_1)
	v_pk_fma_f32 v[134:135], v[132:133], v[128:129], v[130:131] op_sel:[0,0,1] op_sel_hi:[1,1,0] neg_lo:[0,0,1] neg_hi:[0,0,1]
	v_pk_fma_f32 v[128:129], v[132:133], v[128:129], v[130:131] op_sel:[0,0,1] op_sel_hi:[1,0,0]
	v_mov_b32_e32 v135, v129
	s_delay_alu instid0(VALU_DEP_1)
	v_pk_add_f32 v[112:113], v[112:113], v[134:135] neg_lo:[0,1] neg_hi:[0,1]
.LBB55_64:
	s_or_b32 exec_lo, exec_lo, s1
	s_delay_alu instid0(SALU_CYCLE_1)
	s_mov_b32 s2, exec_lo
	s_wait_dscnt 0x0
	s_barrier_signal -1
	s_barrier_wait -1
	v_cmpx_eq_u32_e32 7, v170
	s_cbranch_execz .LBB55_71
; %bb.65:
	v_dual_mov_b32 v128, v42 :: v_dual_mov_b32 v129, v43
	v_dual_mov_b32 v130, v38 :: v_dual_mov_b32 v131, v39
	ds_store_b64 v171, v[22:23]
	ds_store_2addr_b64 v172, v[128:129], v[130:131] offset0:8 offset1:9
	v_dual_mov_b32 v128, v40 :: v_dual_mov_b32 v129, v41
	v_dual_mov_b32 v130, v36 :: v_dual_mov_b32 v131, v37
	ds_store_2addr_b64 v172, v[128:129], v[130:131] offset0:10 offset1:11
	v_dual_mov_b32 v128, v64 :: v_dual_mov_b32 v129, v65
	v_dual_mov_b32 v130, v60 :: v_dual_mov_b32 v131, v61
	;; [unrolled: 3-line block ×8, first 2 shown]
	ds_store_2addr_b64 v172, v[128:129], v[130:131] offset0:24 offset1:25
	v_dual_mov_b32 v128, v106 :: v_dual_mov_b32 v129, v107
	ds_store_2addr_b64 v172, v[128:129], v[112:113] offset0:26 offset1:27
	ds_load_b64 v[128:129], v171
	s_wait_dscnt 0x0
	v_cmp_neq_f32_e32 vcc_lo, 0, v128
	v_cmp_neq_f32_e64 s1, 0, v129
	s_or_b32 s1, vcc_lo, s1
	s_delay_alu instid0(SALU_CYCLE_1)
	s_and_b32 exec_lo, exec_lo, s1
	s_cbranch_execz .LBB55_71
; %bb.66:
	v_cmp_ngt_f32_e64 s1, |v128|, |v129|
                                        ; implicit-def: $vgpr130_vgpr131
	s_and_saveexec_b32 s4, s1
	s_delay_alu instid0(SALU_CYCLE_1)
	s_xor_b32 s1, exec_lo, s4
	s_cbranch_execz .LBB55_68
; %bb.67:
	v_div_scale_f32 v130, null, v129, v129, v128
	v_div_scale_f32 v133, vcc_lo, v128, v129, v128
	s_delay_alu instid0(VALU_DEP_2) | instskip(SKIP_1) | instid1(TRANS32_DEP_1)
	v_rcp_f32_e32 v131, v130
	v_nop
	v_fma_f32 v132, -v130, v131, 1.0
	s_delay_alu instid0(VALU_DEP_1) | instskip(NEXT) | instid1(VALU_DEP_1)
	v_fmac_f32_e32 v131, v132, v131
	v_mul_f32_e32 v132, v133, v131
	s_delay_alu instid0(VALU_DEP_1) | instskip(NEXT) | instid1(VALU_DEP_1)
	v_fma_f32 v134, -v130, v132, v133
	v_fmac_f32_e32 v132, v134, v131
	s_delay_alu instid0(VALU_DEP_1) | instskip(NEXT) | instid1(VALU_DEP_1)
	v_fma_f32 v130, -v130, v132, v133
	v_div_fmas_f32 v130, v130, v131, v132
	s_delay_alu instid0(VALU_DEP_1) | instskip(NEXT) | instid1(VALU_DEP_1)
	v_div_fixup_f32 v130, v130, v129, v128
	v_fmac_f32_e32 v129, v128, v130
	s_delay_alu instid0(VALU_DEP_1) | instskip(SKIP_1) | instid1(VALU_DEP_2)
	v_div_scale_f32 v128, null, v129, v129, 1.0
	v_div_scale_f32 v133, vcc_lo, 1.0, v129, 1.0
	v_rcp_f32_e32 v131, v128
	v_nop
	s_delay_alu instid0(TRANS32_DEP_1) | instskip(NEXT) | instid1(VALU_DEP_1)
	v_fma_f32 v132, -v128, v131, 1.0
	v_fmac_f32_e32 v131, v132, v131
	s_delay_alu instid0(VALU_DEP_1) | instskip(NEXT) | instid1(VALU_DEP_1)
	v_mul_f32_e32 v132, v133, v131
	v_fma_f32 v134, -v128, v132, v133
	s_delay_alu instid0(VALU_DEP_1) | instskip(NEXT) | instid1(VALU_DEP_1)
	v_fmac_f32_e32 v132, v134, v131
	v_fma_f32 v128, -v128, v132, v133
	s_delay_alu instid0(VALU_DEP_1) | instskip(NEXT) | instid1(VALU_DEP_1)
	v_div_fmas_f32 v128, v128, v131, v132
	v_div_fixup_f32 v128, v128, v129, 1.0
	s_delay_alu instid0(VALU_DEP_1)
	v_mul_f32_e32 v130, v130, v128
	v_xor_b32_e32 v131, 0x80000000, v128
                                        ; implicit-def: $vgpr128_vgpr129
.LBB55_68:
	s_and_not1_saveexec_b32 s1, s1
	s_cbranch_execz .LBB55_70
; %bb.69:
	v_div_scale_f32 v130, null, v128, v128, v129
	v_div_scale_f32 v133, vcc_lo, v129, v128, v129
	s_delay_alu instid0(VALU_DEP_2) | instskip(SKIP_1) | instid1(TRANS32_DEP_1)
	v_rcp_f32_e32 v131, v130
	v_nop
	v_fma_f32 v132, -v130, v131, 1.0
	s_delay_alu instid0(VALU_DEP_1) | instskip(NEXT) | instid1(VALU_DEP_1)
	v_fmac_f32_e32 v131, v132, v131
	v_mul_f32_e32 v132, v133, v131
	s_delay_alu instid0(VALU_DEP_1) | instskip(NEXT) | instid1(VALU_DEP_1)
	v_fma_f32 v134, -v130, v132, v133
	v_fmac_f32_e32 v132, v134, v131
	s_delay_alu instid0(VALU_DEP_1) | instskip(NEXT) | instid1(VALU_DEP_1)
	v_fma_f32 v130, -v130, v132, v133
	v_div_fmas_f32 v130, v130, v131, v132
	s_delay_alu instid0(VALU_DEP_1) | instskip(NEXT) | instid1(VALU_DEP_1)
	v_div_fixup_f32 v131, v130, v128, v129
	v_fmac_f32_e32 v128, v129, v131
	s_delay_alu instid0(VALU_DEP_1) | instskip(NEXT) | instid1(VALU_DEP_1)
	v_div_scale_f32 v129, null, v128, v128, 1.0
	v_rcp_f32_e32 v130, v129
	v_nop
	s_delay_alu instid0(TRANS32_DEP_1) | instskip(NEXT) | instid1(VALU_DEP_1)
	v_fma_f32 v132, -v129, v130, 1.0
	v_fmac_f32_e32 v130, v132, v130
	v_div_scale_f32 v132, vcc_lo, 1.0, v128, 1.0
	s_delay_alu instid0(VALU_DEP_1) | instskip(NEXT) | instid1(VALU_DEP_1)
	v_mul_f32_e32 v133, v132, v130
	v_fma_f32 v134, -v129, v133, v132
	s_delay_alu instid0(VALU_DEP_1) | instskip(NEXT) | instid1(VALU_DEP_1)
	v_fmac_f32_e32 v133, v134, v130
	v_fma_f32 v129, -v129, v133, v132
	s_delay_alu instid0(VALU_DEP_1) | instskip(NEXT) | instid1(VALU_DEP_1)
	v_div_fmas_f32 v129, v129, v130, v133
	v_div_fixup_f32 v130, v129, v128, 1.0
	s_delay_alu instid0(VALU_DEP_1)
	v_mul_f32_e64 v131, v131, -v130
.LBB55_70:
	s_or_b32 exec_lo, exec_lo, s1
	ds_store_b64 v171, v[130:131]
.LBB55_71:
	s_or_b32 exec_lo, exec_lo, s2
	s_wait_dscnt 0x0
	s_barrier_signal -1
	s_barrier_wait -1
	ds_load_b64 v[128:129], v171
	s_mov_b32 s1, exec_lo
	v_cmpx_lt_u32_e32 7, v170
	s_cbranch_execz .LBB55_73
; %bb.72:
	ds_load_2addr_b64 v[134:137], v172 offset0:8 offset1:9
	s_wait_dscnt 0x1
	v_pk_mul_f32 v[132:133], v[128:129], v[22:23] op_sel:[1,1] op_sel_hi:[0,1]
	s_delay_alu instid0(VALU_DEP_1) | instskip(SKIP_1) | instid1(VALU_DEP_1)
	v_pk_fma_f32 v[130:131], v[128:129], v[22:23], v[132:133] op_sel_hi:[1,0,1] neg_lo:[0,0,1] neg_hi:[0,0,1]
	v_pk_fma_f32 v[132:133], v[128:129], v[22:23], v[132:133] op_sel_hi:[1,0,1]
	v_dual_mov_b32 v22, v130 :: v_dual_mov_b32 v23, v133
	s_wait_dscnt 0x0
	s_delay_alu instid0(VALU_DEP_2) | instskip(NEXT) | instid1(VALU_DEP_1)
	v_pk_mul_f32 v[138:139], v[134:135], v[132:133] op_sel:[0,1]
	v_pk_fma_f32 v[140:141], v[134:135], v[130:131], v[138:139] op_sel:[0,0,1] op_sel_hi:[1,1,0] neg_lo:[0,0,1] neg_hi:[0,0,1]
	v_pk_fma_f32 v[134:135], v[134:135], v[130:131], v[138:139] op_sel:[0,0,1] op_sel_hi:[1,0,0]
	s_delay_alu instid0(VALU_DEP_1) | instskip(SKIP_1) | instid1(VALU_DEP_1)
	v_mov_b32_e32 v141, v135
	v_pk_mul_f32 v[134:135], v[136:137], v[132:133] op_sel:[0,1]
	v_pk_fma_f32 v[138:139], v[136:137], v[130:131], v[134:135] op_sel:[0,0,1] op_sel_hi:[1,1,0] neg_lo:[0,0,1] neg_hi:[0,0,1]
	v_pk_fma_f32 v[134:135], v[136:137], v[130:131], v[134:135] op_sel:[0,0,1] op_sel_hi:[1,0,0]
	s_delay_alu instid0(VALU_DEP_1)
	v_mov_b32_e32 v139, v135
	ds_load_2addr_b64 v[134:137], v172 offset0:10 offset1:11
	v_pk_add_f32 v[42:43], v[42:43], v[140:141] neg_lo:[0,1] neg_hi:[0,1]
	v_pk_add_f32 v[38:39], v[38:39], v[138:139] neg_lo:[0,1] neg_hi:[0,1]
	s_wait_dscnt 0x0
	v_pk_mul_f32 v[138:139], v[134:135], v[132:133] op_sel:[0,1]
	s_delay_alu instid0(VALU_DEP_1) | instskip(SKIP_2) | instid1(VALU_DEP_2)
	v_pk_fma_f32 v[140:141], v[134:135], v[130:131], v[138:139] op_sel:[0,0,1] op_sel_hi:[1,1,0] neg_lo:[0,0,1] neg_hi:[0,0,1]
	v_pk_fma_f32 v[134:135], v[134:135], v[130:131], v[138:139] op_sel:[0,0,1] op_sel_hi:[1,0,0]
	v_dual_mul_f32 v138, v137, v133 :: v_dual_mov_b32 v134, v137
	v_dual_mov_b32 v141, v135 :: v_dual_mov_b32 v135, v136
	s_delay_alu instid0(VALU_DEP_2) | instskip(SKIP_1) | instid1(VALU_DEP_3)
	v_pk_fma_f32 v[138:139], v[136:137], v[22:23], v[138:139] op_sel_hi:[1,1,0] neg_lo:[0,0,1] neg_hi:[0,0,1]
	v_mul_f32_e32 v136, v137, v130
	v_pk_add_f32 v[40:41], v[40:41], v[140:141] neg_lo:[0,1] neg_hi:[0,1]
	s_delay_alu instid0(VALU_DEP_2) | instskip(NEXT) | instid1(VALU_DEP_1)
	v_pk_fma_f32 v[134:135], v[134:135], v[22:23], v[136:137] op_sel_hi:[1,1,0]
	v_mov_b32_e32 v139, v135
	ds_load_2addr_b64 v[134:137], v172 offset0:12 offset1:13
	v_pk_add_f32 v[36:37], v[36:37], v[138:139] neg_lo:[0,1] neg_hi:[0,1]
	s_wait_dscnt 0x0
	v_pk_mul_f32 v[138:139], v[134:135], v[132:133] op_sel:[0,1]
	s_delay_alu instid0(VALU_DEP_1) | instskip(SKIP_1) | instid1(VALU_DEP_1)
	v_pk_fma_f32 v[140:141], v[134:135], v[130:131], v[138:139] op_sel:[0,0,1] op_sel_hi:[1,1,0] neg_lo:[0,0,1] neg_hi:[0,0,1]
	v_pk_fma_f32 v[134:135], v[134:135], v[130:131], v[138:139] op_sel:[0,0,1] op_sel_hi:[1,0,0]
	v_mov_b32_e32 v141, v135
	v_pk_mul_f32 v[134:135], v[136:137], v[132:133] op_sel:[0,1]
	s_delay_alu instid0(VALU_DEP_1) | instskip(SKIP_1) | instid1(VALU_DEP_1)
	v_pk_fma_f32 v[138:139], v[136:137], v[130:131], v[134:135] op_sel:[0,0,1] op_sel_hi:[1,1,0] neg_lo:[0,0,1] neg_hi:[0,0,1]
	v_pk_fma_f32 v[134:135], v[136:137], v[130:131], v[134:135] op_sel:[0,0,1] op_sel_hi:[1,0,0]
	v_mov_b32_e32 v139, v135
	ds_load_2addr_b64 v[134:137], v172 offset0:14 offset1:15
	v_pk_add_f32 v[64:65], v[64:65], v[140:141] neg_lo:[0,1] neg_hi:[0,1]
	v_pk_add_f32 v[60:61], v[60:61], v[138:139] neg_lo:[0,1] neg_hi:[0,1]
	s_wait_dscnt 0x0
	v_pk_mul_f32 v[138:139], v[134:135], v[132:133] op_sel:[0,1]
	s_delay_alu instid0(VALU_DEP_1) | instskip(SKIP_1) | instid1(VALU_DEP_1)
	v_pk_fma_f32 v[140:141], v[134:135], v[130:131], v[138:139] op_sel:[0,0,1] op_sel_hi:[1,1,0] neg_lo:[0,0,1] neg_hi:[0,0,1]
	v_pk_fma_f32 v[134:135], v[134:135], v[130:131], v[138:139] op_sel:[0,0,1] op_sel_hi:[1,0,0]
	v_mov_b32_e32 v141, v135
	v_pk_mul_f32 v[134:135], v[136:137], v[132:133] op_sel:[0,1]
	s_delay_alu instid0(VALU_DEP_1) | instskip(SKIP_1) | instid1(VALU_DEP_1)
	v_pk_fma_f32 v[138:139], v[136:137], v[130:131], v[134:135] op_sel:[0,0,1] op_sel_hi:[1,1,0] neg_lo:[0,0,1] neg_hi:[0,0,1]
	v_pk_fma_f32 v[134:135], v[136:137], v[130:131], v[134:135] op_sel:[0,0,1] op_sel_hi:[1,0,0]
	v_mov_b32_e32 v139, v135
	ds_load_2addr_b64 v[134:137], v172 offset0:16 offset1:17
	v_pk_add_f32 v[62:63], v[62:63], v[140:141] neg_lo:[0,1] neg_hi:[0,1]
	v_pk_add_f32 v[104:105], v[104:105], v[138:139] neg_lo:[0,1] neg_hi:[0,1]
	s_wait_dscnt 0x0
	v_dual_mul_f32 v138, v135, v133 :: v_dual_mul_f32 v140, v135, v130
	s_delay_alu instid0(VALU_DEP_1) | instskip(NEXT) | instid1(VALU_DEP_2)
	v_pk_fma_f32 v[138:139], v[134:135], v[22:23], v[138:139] op_sel_hi:[1,1,0] neg_lo:[0,0,1] neg_hi:[0,0,1]
	v_pk_fma_f32 v[134:135], v[134:135], v[22:23], v[140:141] op_sel:[1,0,0] op_sel_hi:[0,1,0]
	s_delay_alu instid0(VALU_DEP_1) | instskip(SKIP_1) | instid1(VALU_DEP_2)
	v_mov_b32_e32 v139, v135
	v_pk_mul_f32 v[134:135], v[136:137], v[132:133] op_sel:[0,1]
	v_pk_add_f32 v[84:85], v[84:85], v[138:139] neg_lo:[0,1] neg_hi:[0,1]
	s_delay_alu instid0(VALU_DEP_2) | instskip(SKIP_1) | instid1(VALU_DEP_1)
	v_pk_fma_f32 v[138:139], v[136:137], v[130:131], v[134:135] op_sel:[0,0,1] op_sel_hi:[1,1,0] neg_lo:[0,0,1] neg_hi:[0,0,1]
	v_pk_fma_f32 v[134:135], v[136:137], v[130:131], v[134:135] op_sel:[0,0,1] op_sel_hi:[1,0,0]
	v_mov_b32_e32 v139, v135
	ds_load_2addr_b64 v[134:137], v172 offset0:18 offset1:19
	v_pk_add_f32 v[80:81], v[80:81], v[138:139] neg_lo:[0,1] neg_hi:[0,1]
	s_wait_dscnt 0x0
	v_pk_mul_f32 v[138:139], v[134:135], v[132:133] op_sel:[0,1]
	s_delay_alu instid0(VALU_DEP_1) | instskip(SKIP_1) | instid1(VALU_DEP_1)
	v_pk_fma_f32 v[140:141], v[134:135], v[130:131], v[138:139] op_sel:[0,0,1] op_sel_hi:[1,1,0] neg_lo:[0,0,1] neg_hi:[0,0,1]
	v_pk_fma_f32 v[134:135], v[134:135], v[130:131], v[138:139] op_sel:[0,0,1] op_sel_hi:[1,0,0]
	v_mov_b32_e32 v141, v135
	v_pk_mul_f32 v[134:135], v[136:137], v[132:133] op_sel:[0,1]
	s_delay_alu instid0(VALU_DEP_2) | instskip(NEXT) | instid1(VALU_DEP_2)
	v_pk_add_f32 v[82:83], v[82:83], v[140:141] neg_lo:[0,1] neg_hi:[0,1]
	v_pk_fma_f32 v[138:139], v[136:137], v[130:131], v[134:135] op_sel:[0,0,1] op_sel_hi:[1,1,0] neg_lo:[0,0,1] neg_hi:[0,0,1]
	v_pk_fma_f32 v[134:135], v[136:137], v[130:131], v[134:135] op_sel:[0,0,1] op_sel_hi:[1,0,0]
	s_delay_alu instid0(VALU_DEP_1) | instskip(SKIP_4) | instid1(VALU_DEP_1)
	v_mov_b32_e32 v139, v135
	ds_load_2addr_b64 v[134:137], v172 offset0:20 offset1:21
	v_pk_add_f32 v[78:79], v[78:79], v[138:139] neg_lo:[0,1] neg_hi:[0,1]
	s_wait_dscnt 0x0
	v_pk_mul_f32 v[138:139], v[134:135], v[132:133] op_sel:[0,1]
	v_pk_fma_f32 v[140:141], v[134:135], v[130:131], v[138:139] op_sel:[0,0,1] op_sel_hi:[1,1,0] neg_lo:[0,0,1] neg_hi:[0,0,1]
	v_pk_fma_f32 v[134:135], v[134:135], v[130:131], v[138:139] op_sel:[0,0,1] op_sel_hi:[1,0,0]
	v_dual_mul_f32 v138, v137, v133 :: v_dual_mov_b32 v134, v137
	s_delay_alu instid0(VALU_DEP_2) | instskip(NEXT) | instid1(VALU_DEP_2)
	v_dual_mov_b32 v141, v135 :: v_dual_mov_b32 v135, v136
	v_pk_fma_f32 v[138:139], v[136:137], v[22:23], v[138:139] op_sel_hi:[1,1,0] neg_lo:[0,0,1] neg_hi:[0,0,1]
	v_mul_f32_e32 v136, v137, v130
	s_delay_alu instid0(VALU_DEP_3) | instskip(NEXT) | instid1(VALU_DEP_2)
	v_pk_add_f32 v[102:103], v[102:103], v[140:141] neg_lo:[0,1] neg_hi:[0,1]
	v_pk_fma_f32 v[134:135], v[134:135], v[22:23], v[136:137] op_sel_hi:[1,1,0]
	s_delay_alu instid0(VALU_DEP_1) | instskip(SKIP_4) | instid1(VALU_DEP_1)
	v_mov_b32_e32 v139, v135
	ds_load_2addr_b64 v[134:137], v172 offset0:22 offset1:23
	v_pk_add_f32 v[98:99], v[98:99], v[138:139] neg_lo:[0,1] neg_hi:[0,1]
	s_wait_dscnt 0x0
	v_pk_mul_f32 v[138:139], v[134:135], v[132:133] op_sel:[0,1]
	v_pk_fma_f32 v[140:141], v[134:135], v[130:131], v[138:139] op_sel:[0,0,1] op_sel_hi:[1,1,0] neg_lo:[0,0,1] neg_hi:[0,0,1]
	v_pk_fma_f32 v[134:135], v[134:135], v[130:131], v[138:139] op_sel:[0,0,1] op_sel_hi:[1,0,0]
	s_delay_alu instid0(VALU_DEP_1) | instskip(SKIP_1) | instid1(VALU_DEP_1)
	v_mov_b32_e32 v141, v135
	v_pk_mul_f32 v[134:135], v[136:137], v[132:133] op_sel:[0,1]
	v_pk_fma_f32 v[138:139], v[136:137], v[130:131], v[134:135] op_sel:[0,0,1] op_sel_hi:[1,1,0] neg_lo:[0,0,1] neg_hi:[0,0,1]
	v_pk_fma_f32 v[134:135], v[136:137], v[130:131], v[134:135] op_sel:[0,0,1] op_sel_hi:[1,0,0]
	s_delay_alu instid0(VALU_DEP_1)
	v_mov_b32_e32 v139, v135
	ds_load_2addr_b64 v[134:137], v172 offset0:24 offset1:25
	v_pk_add_f32 v[100:101], v[100:101], v[140:141] neg_lo:[0,1] neg_hi:[0,1]
	v_pk_add_f32 v[96:97], v[96:97], v[138:139] neg_lo:[0,1] neg_hi:[0,1]
	s_wait_dscnt 0x0
	v_pk_mul_f32 v[138:139], v[134:135], v[132:133] op_sel:[0,1]
	s_delay_alu instid0(VALU_DEP_1) | instskip(SKIP_1) | instid1(VALU_DEP_1)
	v_pk_fma_f32 v[140:141], v[134:135], v[130:131], v[138:139] op_sel:[0,0,1] op_sel_hi:[1,1,0] neg_lo:[0,0,1] neg_hi:[0,0,1]
	v_pk_fma_f32 v[134:135], v[134:135], v[130:131], v[138:139] op_sel:[0,0,1] op_sel_hi:[1,0,0]
	v_mov_b32_e32 v141, v135
	v_pk_mul_f32 v[134:135], v[136:137], v[132:133] op_sel:[0,1]
	s_delay_alu instid0(VALU_DEP_1) | instskip(SKIP_1) | instid1(VALU_DEP_1)
	v_pk_fma_f32 v[138:139], v[136:137], v[130:131], v[134:135] op_sel:[0,0,1] op_sel_hi:[1,1,0] neg_lo:[0,0,1] neg_hi:[0,0,1]
	v_pk_fma_f32 v[134:135], v[136:137], v[130:131], v[134:135] op_sel:[0,0,1] op_sel_hi:[1,0,0]
	v_mov_b32_e32 v139, v135
	ds_load_2addr_b64 v[134:137], v172 offset0:26 offset1:27
	v_pk_add_f32 v[110:111], v[110:111], v[140:141] neg_lo:[0,1] neg_hi:[0,1]
	v_pk_add_f32 v[108:109], v[108:109], v[138:139] neg_lo:[0,1] neg_hi:[0,1]
	s_wait_dscnt 0x0
	v_dual_mul_f32 v138, v135, v133 :: v_dual_mul_f32 v140, v135, v130
	v_pk_mul_f32 v[132:133], v[136:137], v[132:133] op_sel:[0,1]
	s_delay_alu instid0(VALU_DEP_2) | instskip(NEXT) | instid1(VALU_DEP_3)
	v_pk_fma_f32 v[138:139], v[134:135], v[22:23], v[138:139] op_sel_hi:[1,1,0] neg_lo:[0,0,1] neg_hi:[0,0,1]
	v_pk_fma_f32 v[134:135], v[134:135], v[22:23], v[140:141] op_sel:[1,0,0] op_sel_hi:[0,1,0]
	s_delay_alu instid0(VALU_DEP_1) | instskip(NEXT) | instid1(VALU_DEP_4)
	v_mov_b32_e32 v139, v135
	v_pk_fma_f32 v[134:135], v[136:137], v[130:131], v[132:133] op_sel:[0,0,1] op_sel_hi:[1,1,0] neg_lo:[0,0,1] neg_hi:[0,0,1]
	v_pk_fma_f32 v[130:131], v[136:137], v[130:131], v[132:133] op_sel:[0,0,1] op_sel_hi:[1,0,0]
	s_delay_alu instid0(VALU_DEP_1) | instskip(NEXT) | instid1(VALU_DEP_4)
	v_mov_b32_e32 v135, v131
	v_pk_add_f32 v[106:107], v[106:107], v[138:139] neg_lo:[0,1] neg_hi:[0,1]
	s_delay_alu instid0(VALU_DEP_2)
	v_pk_add_f32 v[112:113], v[112:113], v[134:135] neg_lo:[0,1] neg_hi:[0,1]
.LBB55_73:
	s_or_b32 exec_lo, exec_lo, s1
	s_delay_alu instid0(SALU_CYCLE_1)
	s_mov_b32 s2, exec_lo
	s_wait_dscnt 0x0
	s_barrier_signal -1
	s_barrier_wait -1
	v_cmpx_eq_u32_e32 8, v170
	s_cbranch_execz .LBB55_80
; %bb.74:
	ds_store_b64 v171, v[42:43]
	ds_store_2addr_b64 v172, v[38:39], v[40:41] offset0:9 offset1:10
	ds_store_2addr_b64 v172, v[36:37], v[64:65] offset0:11 offset1:12
	;; [unrolled: 1-line block ×9, first 2 shown]
	ds_store_b64 v172, v[112:113] offset:216
	ds_load_b64 v[130:131], v171
	s_wait_dscnt 0x0
	v_cmp_neq_f32_e32 vcc_lo, 0, v130
	v_cmp_neq_f32_e64 s1, 0, v131
	s_or_b32 s1, vcc_lo, s1
	s_delay_alu instid0(SALU_CYCLE_1)
	s_and_b32 exec_lo, exec_lo, s1
	s_cbranch_execz .LBB55_80
; %bb.75:
	v_cmp_ngt_f32_e64 s1, |v130|, |v131|
                                        ; implicit-def: $vgpr132_vgpr133
	s_and_saveexec_b32 s4, s1
	s_delay_alu instid0(SALU_CYCLE_1)
	s_xor_b32 s1, exec_lo, s4
	s_cbranch_execz .LBB55_77
; %bb.76:
	v_div_scale_f32 v132, null, v131, v131, v130
	v_div_scale_f32 v135, vcc_lo, v130, v131, v130
	s_delay_alu instid0(VALU_DEP_2) | instskip(SKIP_1) | instid1(TRANS32_DEP_1)
	v_rcp_f32_e32 v133, v132
	v_nop
	v_fma_f32 v134, -v132, v133, 1.0
	s_delay_alu instid0(VALU_DEP_1) | instskip(NEXT) | instid1(VALU_DEP_1)
	v_fmac_f32_e32 v133, v134, v133
	v_mul_f32_e32 v134, v135, v133
	s_delay_alu instid0(VALU_DEP_1) | instskip(NEXT) | instid1(VALU_DEP_1)
	v_fma_f32 v136, -v132, v134, v135
	v_fmac_f32_e32 v134, v136, v133
	s_delay_alu instid0(VALU_DEP_1) | instskip(NEXT) | instid1(VALU_DEP_1)
	v_fma_f32 v132, -v132, v134, v135
	v_div_fmas_f32 v132, v132, v133, v134
	s_delay_alu instid0(VALU_DEP_1) | instskip(NEXT) | instid1(VALU_DEP_1)
	v_div_fixup_f32 v132, v132, v131, v130
	v_fmac_f32_e32 v131, v130, v132
	s_delay_alu instid0(VALU_DEP_1) | instskip(SKIP_1) | instid1(VALU_DEP_2)
	v_div_scale_f32 v130, null, v131, v131, 1.0
	v_div_scale_f32 v135, vcc_lo, 1.0, v131, 1.0
	v_rcp_f32_e32 v133, v130
	v_nop
	s_delay_alu instid0(TRANS32_DEP_1) | instskip(NEXT) | instid1(VALU_DEP_1)
	v_fma_f32 v134, -v130, v133, 1.0
	v_fmac_f32_e32 v133, v134, v133
	s_delay_alu instid0(VALU_DEP_1) | instskip(NEXT) | instid1(VALU_DEP_1)
	v_mul_f32_e32 v134, v135, v133
	v_fma_f32 v136, -v130, v134, v135
	s_delay_alu instid0(VALU_DEP_1) | instskip(NEXT) | instid1(VALU_DEP_1)
	v_fmac_f32_e32 v134, v136, v133
	v_fma_f32 v130, -v130, v134, v135
	s_delay_alu instid0(VALU_DEP_1) | instskip(NEXT) | instid1(VALU_DEP_1)
	v_div_fmas_f32 v130, v130, v133, v134
	v_div_fixup_f32 v130, v130, v131, 1.0
	s_delay_alu instid0(VALU_DEP_1)
	v_mul_f32_e32 v132, v132, v130
	v_xor_b32_e32 v133, 0x80000000, v130
                                        ; implicit-def: $vgpr130_vgpr131
.LBB55_77:
	s_and_not1_saveexec_b32 s1, s1
	s_cbranch_execz .LBB55_79
; %bb.78:
	v_div_scale_f32 v132, null, v130, v130, v131
	v_div_scale_f32 v135, vcc_lo, v131, v130, v131
	s_delay_alu instid0(VALU_DEP_2) | instskip(SKIP_1) | instid1(TRANS32_DEP_1)
	v_rcp_f32_e32 v133, v132
	v_nop
	v_fma_f32 v134, -v132, v133, 1.0
	s_delay_alu instid0(VALU_DEP_1) | instskip(NEXT) | instid1(VALU_DEP_1)
	v_fmac_f32_e32 v133, v134, v133
	v_mul_f32_e32 v134, v135, v133
	s_delay_alu instid0(VALU_DEP_1) | instskip(NEXT) | instid1(VALU_DEP_1)
	v_fma_f32 v136, -v132, v134, v135
	v_fmac_f32_e32 v134, v136, v133
	s_delay_alu instid0(VALU_DEP_1) | instskip(NEXT) | instid1(VALU_DEP_1)
	v_fma_f32 v132, -v132, v134, v135
	v_div_fmas_f32 v132, v132, v133, v134
	s_delay_alu instid0(VALU_DEP_1) | instskip(NEXT) | instid1(VALU_DEP_1)
	v_div_fixup_f32 v133, v132, v130, v131
	v_fmac_f32_e32 v130, v131, v133
	s_delay_alu instid0(VALU_DEP_1) | instskip(NEXT) | instid1(VALU_DEP_1)
	v_div_scale_f32 v131, null, v130, v130, 1.0
	v_rcp_f32_e32 v132, v131
	v_nop
	s_delay_alu instid0(TRANS32_DEP_1) | instskip(NEXT) | instid1(VALU_DEP_1)
	v_fma_f32 v134, -v131, v132, 1.0
	v_fmac_f32_e32 v132, v134, v132
	v_div_scale_f32 v134, vcc_lo, 1.0, v130, 1.0
	s_delay_alu instid0(VALU_DEP_1) | instskip(NEXT) | instid1(VALU_DEP_1)
	v_mul_f32_e32 v135, v134, v132
	v_fma_f32 v136, -v131, v135, v134
	s_delay_alu instid0(VALU_DEP_1) | instskip(NEXT) | instid1(VALU_DEP_1)
	v_fmac_f32_e32 v135, v136, v132
	v_fma_f32 v131, -v131, v135, v134
	s_delay_alu instid0(VALU_DEP_1) | instskip(NEXT) | instid1(VALU_DEP_1)
	v_div_fmas_f32 v131, v131, v132, v135
	v_div_fixup_f32 v132, v131, v130, 1.0
	s_delay_alu instid0(VALU_DEP_1)
	v_mul_f32_e64 v133, v133, -v132
.LBB55_79:
	s_or_b32 exec_lo, exec_lo, s1
	ds_store_b64 v171, v[132:133]
.LBB55_80:
	s_or_b32 exec_lo, exec_lo, s2
	s_wait_dscnt 0x0
	s_barrier_signal -1
	s_barrier_wait -1
	ds_load_b64 v[130:131], v171
	s_mov_b32 s1, exec_lo
	v_cmpx_lt_u32_e32 8, v170
	s_cbranch_execz .LBB55_82
; %bb.81:
	ds_load_2addr_b64 v[136:139], v172 offset0:9 offset1:10
	s_wait_dscnt 0x1
	v_pk_mul_f32 v[134:135], v[130:131], v[42:43] op_sel:[1,1] op_sel_hi:[0,1]
	s_delay_alu instid0(VALU_DEP_1) | instskip(SKIP_1) | instid1(VALU_DEP_1)
	v_pk_fma_f32 v[132:133], v[130:131], v[42:43], v[134:135] op_sel_hi:[1,0,1] neg_lo:[0,0,1] neg_hi:[0,0,1]
	v_pk_fma_f32 v[134:135], v[130:131], v[42:43], v[134:135] op_sel_hi:[1,0,1]
	v_dual_mov_b32 v42, v132 :: v_dual_mov_b32 v43, v135
	s_wait_dscnt 0x0
	s_delay_alu instid0(VALU_DEP_2) | instskip(NEXT) | instid1(VALU_DEP_1)
	v_pk_mul_f32 v[140:141], v[136:137], v[134:135] op_sel:[0,1]
	v_pk_fma_f32 v[142:143], v[136:137], v[132:133], v[140:141] op_sel:[0,0,1] op_sel_hi:[1,1,0] neg_lo:[0,0,1] neg_hi:[0,0,1]
	v_pk_fma_f32 v[136:137], v[136:137], v[132:133], v[140:141] op_sel:[0,0,1] op_sel_hi:[1,0,0]
	s_delay_alu instid0(VALU_DEP_1) | instskip(SKIP_1) | instid1(VALU_DEP_1)
	v_mov_b32_e32 v143, v137
	v_pk_mul_f32 v[136:137], v[138:139], v[134:135] op_sel:[0,1]
	v_pk_fma_f32 v[140:141], v[138:139], v[132:133], v[136:137] op_sel:[0,0,1] op_sel_hi:[1,1,0] neg_lo:[0,0,1] neg_hi:[0,0,1]
	v_pk_fma_f32 v[136:137], v[138:139], v[132:133], v[136:137] op_sel:[0,0,1] op_sel_hi:[1,0,0]
	s_delay_alu instid0(VALU_DEP_1)
	v_mov_b32_e32 v141, v137
	ds_load_2addr_b64 v[136:139], v172 offset0:11 offset1:12
	v_pk_add_f32 v[38:39], v[38:39], v[142:143] neg_lo:[0,1] neg_hi:[0,1]
	v_pk_add_f32 v[40:41], v[40:41], v[140:141] neg_lo:[0,1] neg_hi:[0,1]
	s_wait_dscnt 0x0
	v_pk_mul_f32 v[140:141], v[136:137], v[134:135] op_sel:[0,1]
	s_delay_alu instid0(VALU_DEP_1) | instskip(SKIP_2) | instid1(VALU_DEP_2)
	v_pk_fma_f32 v[142:143], v[136:137], v[132:133], v[140:141] op_sel:[0,0,1] op_sel_hi:[1,1,0] neg_lo:[0,0,1] neg_hi:[0,0,1]
	v_pk_fma_f32 v[136:137], v[136:137], v[132:133], v[140:141] op_sel:[0,0,1] op_sel_hi:[1,0,0]
	v_dual_mul_f32 v140, v139, v135 :: v_dual_mov_b32 v136, v139
	v_dual_mov_b32 v143, v137 :: v_dual_mov_b32 v137, v138
	s_delay_alu instid0(VALU_DEP_2) | instskip(SKIP_1) | instid1(VALU_DEP_3)
	v_pk_fma_f32 v[140:141], v[138:139], v[42:43], v[140:141] op_sel_hi:[1,1,0] neg_lo:[0,0,1] neg_hi:[0,0,1]
	v_mul_f32_e32 v138, v139, v132
	v_pk_add_f32 v[36:37], v[36:37], v[142:143] neg_lo:[0,1] neg_hi:[0,1]
	s_delay_alu instid0(VALU_DEP_2) | instskip(NEXT) | instid1(VALU_DEP_1)
	v_pk_fma_f32 v[136:137], v[136:137], v[42:43], v[138:139] op_sel_hi:[1,1,0]
	v_mov_b32_e32 v141, v137
	ds_load_2addr_b64 v[136:139], v172 offset0:13 offset1:14
	v_pk_add_f32 v[64:65], v[64:65], v[140:141] neg_lo:[0,1] neg_hi:[0,1]
	s_wait_dscnt 0x0
	v_pk_mul_f32 v[140:141], v[136:137], v[134:135] op_sel:[0,1]
	s_delay_alu instid0(VALU_DEP_1) | instskip(SKIP_1) | instid1(VALU_DEP_1)
	v_pk_fma_f32 v[142:143], v[136:137], v[132:133], v[140:141] op_sel:[0,0,1] op_sel_hi:[1,1,0] neg_lo:[0,0,1] neg_hi:[0,0,1]
	v_pk_fma_f32 v[136:137], v[136:137], v[132:133], v[140:141] op_sel:[0,0,1] op_sel_hi:[1,0,0]
	v_mov_b32_e32 v143, v137
	v_pk_mul_f32 v[136:137], v[138:139], v[134:135] op_sel:[0,1]
	s_delay_alu instid0(VALU_DEP_1) | instskip(SKIP_1) | instid1(VALU_DEP_1)
	v_pk_fma_f32 v[140:141], v[138:139], v[132:133], v[136:137] op_sel:[0,0,1] op_sel_hi:[1,1,0] neg_lo:[0,0,1] neg_hi:[0,0,1]
	v_pk_fma_f32 v[136:137], v[138:139], v[132:133], v[136:137] op_sel:[0,0,1] op_sel_hi:[1,0,0]
	v_mov_b32_e32 v141, v137
	ds_load_2addr_b64 v[136:139], v172 offset0:15 offset1:16
	v_pk_add_f32 v[60:61], v[60:61], v[142:143] neg_lo:[0,1] neg_hi:[0,1]
	v_pk_add_f32 v[62:63], v[62:63], v[140:141] neg_lo:[0,1] neg_hi:[0,1]
	s_wait_dscnt 0x0
	v_pk_mul_f32 v[140:141], v[136:137], v[134:135] op_sel:[0,1]
	s_delay_alu instid0(VALU_DEP_1) | instskip(SKIP_1) | instid1(VALU_DEP_1)
	v_pk_fma_f32 v[142:143], v[136:137], v[132:133], v[140:141] op_sel:[0,0,1] op_sel_hi:[1,1,0] neg_lo:[0,0,1] neg_hi:[0,0,1]
	v_pk_fma_f32 v[136:137], v[136:137], v[132:133], v[140:141] op_sel:[0,0,1] op_sel_hi:[1,0,0]
	v_mov_b32_e32 v143, v137
	v_pk_mul_f32 v[136:137], v[138:139], v[134:135] op_sel:[0,1]
	s_delay_alu instid0(VALU_DEP_1) | instskip(SKIP_1) | instid1(VALU_DEP_1)
	v_pk_fma_f32 v[140:141], v[138:139], v[132:133], v[136:137] op_sel:[0,0,1] op_sel_hi:[1,1,0] neg_lo:[0,0,1] neg_hi:[0,0,1]
	v_pk_fma_f32 v[136:137], v[138:139], v[132:133], v[136:137] op_sel:[0,0,1] op_sel_hi:[1,0,0]
	v_mov_b32_e32 v141, v137
	ds_load_2addr_b64 v[136:139], v172 offset0:17 offset1:18
	v_pk_add_f32 v[104:105], v[104:105], v[142:143] neg_lo:[0,1] neg_hi:[0,1]
	v_pk_add_f32 v[84:85], v[84:85], v[140:141] neg_lo:[0,1] neg_hi:[0,1]
	s_wait_dscnt 0x0
	v_dual_mul_f32 v140, v137, v135 :: v_dual_mul_f32 v142, v137, v132
	s_delay_alu instid0(VALU_DEP_1) | instskip(NEXT) | instid1(VALU_DEP_2)
	v_pk_fma_f32 v[140:141], v[136:137], v[42:43], v[140:141] op_sel_hi:[1,1,0] neg_lo:[0,0,1] neg_hi:[0,0,1]
	v_pk_fma_f32 v[136:137], v[136:137], v[42:43], v[142:143] op_sel:[1,0,0] op_sel_hi:[0,1,0]
	s_delay_alu instid0(VALU_DEP_1) | instskip(SKIP_1) | instid1(VALU_DEP_2)
	v_mov_b32_e32 v141, v137
	v_pk_mul_f32 v[136:137], v[138:139], v[134:135] op_sel:[0,1]
	v_pk_add_f32 v[80:81], v[80:81], v[140:141] neg_lo:[0,1] neg_hi:[0,1]
	s_delay_alu instid0(VALU_DEP_2) | instskip(SKIP_1) | instid1(VALU_DEP_1)
	v_pk_fma_f32 v[140:141], v[138:139], v[132:133], v[136:137] op_sel:[0,0,1] op_sel_hi:[1,1,0] neg_lo:[0,0,1] neg_hi:[0,0,1]
	v_pk_fma_f32 v[136:137], v[138:139], v[132:133], v[136:137] op_sel:[0,0,1] op_sel_hi:[1,0,0]
	v_mov_b32_e32 v141, v137
	ds_load_2addr_b64 v[136:139], v172 offset0:19 offset1:20
	v_pk_add_f32 v[82:83], v[82:83], v[140:141] neg_lo:[0,1] neg_hi:[0,1]
	s_wait_dscnt 0x0
	v_pk_mul_f32 v[140:141], v[136:137], v[134:135] op_sel:[0,1]
	s_delay_alu instid0(VALU_DEP_1) | instskip(SKIP_1) | instid1(VALU_DEP_1)
	v_pk_fma_f32 v[142:143], v[136:137], v[132:133], v[140:141] op_sel:[0,0,1] op_sel_hi:[1,1,0] neg_lo:[0,0,1] neg_hi:[0,0,1]
	v_pk_fma_f32 v[136:137], v[136:137], v[132:133], v[140:141] op_sel:[0,0,1] op_sel_hi:[1,0,0]
	v_mov_b32_e32 v143, v137
	v_pk_mul_f32 v[136:137], v[138:139], v[134:135] op_sel:[0,1]
	s_delay_alu instid0(VALU_DEP_2) | instskip(NEXT) | instid1(VALU_DEP_2)
	v_pk_add_f32 v[78:79], v[78:79], v[142:143] neg_lo:[0,1] neg_hi:[0,1]
	v_pk_fma_f32 v[140:141], v[138:139], v[132:133], v[136:137] op_sel:[0,0,1] op_sel_hi:[1,1,0] neg_lo:[0,0,1] neg_hi:[0,0,1]
	v_pk_fma_f32 v[136:137], v[138:139], v[132:133], v[136:137] op_sel:[0,0,1] op_sel_hi:[1,0,0]
	s_delay_alu instid0(VALU_DEP_1) | instskip(SKIP_4) | instid1(VALU_DEP_1)
	v_mov_b32_e32 v141, v137
	ds_load_2addr_b64 v[136:139], v172 offset0:21 offset1:22
	v_pk_add_f32 v[102:103], v[102:103], v[140:141] neg_lo:[0,1] neg_hi:[0,1]
	s_wait_dscnt 0x0
	v_pk_mul_f32 v[140:141], v[136:137], v[134:135] op_sel:[0,1]
	v_pk_fma_f32 v[142:143], v[136:137], v[132:133], v[140:141] op_sel:[0,0,1] op_sel_hi:[1,1,0] neg_lo:[0,0,1] neg_hi:[0,0,1]
	v_pk_fma_f32 v[136:137], v[136:137], v[132:133], v[140:141] op_sel:[0,0,1] op_sel_hi:[1,0,0]
	v_dual_mul_f32 v140, v139, v135 :: v_dual_mov_b32 v136, v139
	s_delay_alu instid0(VALU_DEP_2) | instskip(NEXT) | instid1(VALU_DEP_2)
	v_dual_mov_b32 v143, v137 :: v_dual_mov_b32 v137, v138
	v_pk_fma_f32 v[140:141], v[138:139], v[42:43], v[140:141] op_sel_hi:[1,1,0] neg_lo:[0,0,1] neg_hi:[0,0,1]
	v_mul_f32_e32 v138, v139, v132
	s_delay_alu instid0(VALU_DEP_3) | instskip(NEXT) | instid1(VALU_DEP_2)
	v_pk_add_f32 v[98:99], v[98:99], v[142:143] neg_lo:[0,1] neg_hi:[0,1]
	v_pk_fma_f32 v[136:137], v[136:137], v[42:43], v[138:139] op_sel_hi:[1,1,0]
	s_delay_alu instid0(VALU_DEP_1) | instskip(SKIP_4) | instid1(VALU_DEP_1)
	v_mov_b32_e32 v141, v137
	ds_load_2addr_b64 v[136:139], v172 offset0:23 offset1:24
	v_pk_add_f32 v[100:101], v[100:101], v[140:141] neg_lo:[0,1] neg_hi:[0,1]
	s_wait_dscnt 0x0
	v_pk_mul_f32 v[140:141], v[136:137], v[134:135] op_sel:[0,1]
	v_pk_fma_f32 v[142:143], v[136:137], v[132:133], v[140:141] op_sel:[0,0,1] op_sel_hi:[1,1,0] neg_lo:[0,0,1] neg_hi:[0,0,1]
	v_pk_fma_f32 v[136:137], v[136:137], v[132:133], v[140:141] op_sel:[0,0,1] op_sel_hi:[1,0,0]
	s_delay_alu instid0(VALU_DEP_1) | instskip(SKIP_1) | instid1(VALU_DEP_1)
	v_mov_b32_e32 v143, v137
	v_pk_mul_f32 v[136:137], v[138:139], v[134:135] op_sel:[0,1]
	v_pk_fma_f32 v[140:141], v[138:139], v[132:133], v[136:137] op_sel:[0,0,1] op_sel_hi:[1,1,0] neg_lo:[0,0,1] neg_hi:[0,0,1]
	v_pk_fma_f32 v[136:137], v[138:139], v[132:133], v[136:137] op_sel:[0,0,1] op_sel_hi:[1,0,0]
	s_delay_alu instid0(VALU_DEP_1)
	v_mov_b32_e32 v141, v137
	ds_load_2addr_b64 v[136:139], v172 offset0:25 offset1:26
	v_pk_add_f32 v[96:97], v[96:97], v[142:143] neg_lo:[0,1] neg_hi:[0,1]
	v_pk_add_f32 v[110:111], v[110:111], v[140:141] neg_lo:[0,1] neg_hi:[0,1]
	s_wait_dscnt 0x0
	v_pk_mul_f32 v[140:141], v[136:137], v[134:135] op_sel:[0,1]
	s_delay_alu instid0(VALU_DEP_1) | instskip(SKIP_1) | instid1(VALU_DEP_1)
	v_pk_fma_f32 v[142:143], v[136:137], v[132:133], v[140:141] op_sel:[0,0,1] op_sel_hi:[1,1,0] neg_lo:[0,0,1] neg_hi:[0,0,1]
	v_pk_fma_f32 v[136:137], v[136:137], v[132:133], v[140:141] op_sel:[0,0,1] op_sel_hi:[1,0,0]
	v_mov_b32_e32 v143, v137
	v_pk_mul_f32 v[136:137], v[138:139], v[134:135] op_sel:[0,1]
	s_delay_alu instid0(VALU_DEP_1) | instskip(SKIP_1) | instid1(VALU_DEP_1)
	v_pk_fma_f32 v[140:141], v[138:139], v[132:133], v[136:137] op_sel:[0,0,1] op_sel_hi:[1,1,0] neg_lo:[0,0,1] neg_hi:[0,0,1]
	v_pk_fma_f32 v[136:137], v[138:139], v[132:133], v[136:137] op_sel:[0,0,1] op_sel_hi:[1,0,0]
	v_mov_b32_e32 v141, v137
	ds_load_b64 v[136:137], v172 offset:216
	v_pk_add_f32 v[108:109], v[108:109], v[142:143] neg_lo:[0,1] neg_hi:[0,1]
	v_pk_add_f32 v[106:107], v[106:107], v[140:141] neg_lo:[0,1] neg_hi:[0,1]
	s_wait_dscnt 0x0
	v_pk_mul_f32 v[134:135], v[136:137], v[134:135] op_sel:[0,1]
	s_delay_alu instid0(VALU_DEP_1) | instskip(SKIP_1) | instid1(VALU_DEP_1)
	v_pk_fma_f32 v[138:139], v[136:137], v[132:133], v[134:135] op_sel:[0,0,1] op_sel_hi:[1,1,0] neg_lo:[0,0,1] neg_hi:[0,0,1]
	v_pk_fma_f32 v[132:133], v[136:137], v[132:133], v[134:135] op_sel:[0,0,1] op_sel_hi:[1,0,0]
	v_mov_b32_e32 v139, v133
	s_delay_alu instid0(VALU_DEP_1)
	v_pk_add_f32 v[112:113], v[112:113], v[138:139] neg_lo:[0,1] neg_hi:[0,1]
.LBB55_82:
	s_or_b32 exec_lo, exec_lo, s1
	s_delay_alu instid0(SALU_CYCLE_1)
	s_mov_b32 s2, exec_lo
	s_wait_dscnt 0x0
	s_barrier_signal -1
	s_barrier_wait -1
	v_cmpx_eq_u32_e32 9, v170
	s_cbranch_execz .LBB55_89
; %bb.83:
	v_dual_mov_b32 v132, v40 :: v_dual_mov_b32 v133, v41
	v_dual_mov_b32 v134, v36 :: v_dual_mov_b32 v135, v37
	;; [unrolled: 1-line block ×8, first 2 shown]
	ds_store_b64 v171, v[38:39]
	ds_store_2addr_b64 v172, v[132:133], v[134:135] offset0:10 offset1:11
	ds_store_2addr_b64 v172, v[136:137], v[138:139] offset0:12 offset1:13
	ds_store_2addr_b64 v172, v[140:141], v[142:143] offset0:14 offset1:15
	ds_store_2addr_b64 v172, v[144:145], v[146:147] offset0:16 offset1:17
	v_dual_mov_b32 v132, v82 :: v_dual_mov_b32 v133, v83
	v_dual_mov_b32 v134, v78 :: v_dual_mov_b32 v135, v79
	v_dual_mov_b32 v136, v102 :: v_dual_mov_b32 v137, v103
	v_dual_mov_b32 v138, v98 :: v_dual_mov_b32 v139, v99
	v_dual_mov_b32 v140, v100 :: v_dual_mov_b32 v141, v101
	v_dual_mov_b32 v142, v96 :: v_dual_mov_b32 v143, v97
	v_dual_mov_b32 v144, v110 :: v_dual_mov_b32 v145, v111
	v_dual_mov_b32 v146, v108 :: v_dual_mov_b32 v147, v109
	v_dual_mov_b32 v148, v106 :: v_dual_mov_b32 v149, v107
	ds_store_2addr_b64 v172, v[132:133], v[134:135] offset0:18 offset1:19
	ds_store_2addr_b64 v172, v[136:137], v[138:139] offset0:20 offset1:21
	;; [unrolled: 1-line block ×5, first 2 shown]
	ds_load_b64 v[132:133], v171
	s_wait_dscnt 0x0
	v_cmp_neq_f32_e32 vcc_lo, 0, v132
	v_cmp_neq_f32_e64 s1, 0, v133
	s_or_b32 s1, vcc_lo, s1
	s_delay_alu instid0(SALU_CYCLE_1)
	s_and_b32 exec_lo, exec_lo, s1
	s_cbranch_execz .LBB55_89
; %bb.84:
	v_cmp_ngt_f32_e64 s1, |v132|, |v133|
                                        ; implicit-def: $vgpr134_vgpr135
	s_and_saveexec_b32 s4, s1
	s_delay_alu instid0(SALU_CYCLE_1)
	s_xor_b32 s1, exec_lo, s4
	s_cbranch_execz .LBB55_86
; %bb.85:
	v_div_scale_f32 v134, null, v133, v133, v132
	v_div_scale_f32 v137, vcc_lo, v132, v133, v132
	s_delay_alu instid0(VALU_DEP_2) | instskip(SKIP_1) | instid1(TRANS32_DEP_1)
	v_rcp_f32_e32 v135, v134
	v_nop
	v_fma_f32 v136, -v134, v135, 1.0
	s_delay_alu instid0(VALU_DEP_1) | instskip(NEXT) | instid1(VALU_DEP_1)
	v_fmac_f32_e32 v135, v136, v135
	v_mul_f32_e32 v136, v137, v135
	s_delay_alu instid0(VALU_DEP_1) | instskip(NEXT) | instid1(VALU_DEP_1)
	v_fma_f32 v138, -v134, v136, v137
	v_fmac_f32_e32 v136, v138, v135
	s_delay_alu instid0(VALU_DEP_1) | instskip(NEXT) | instid1(VALU_DEP_1)
	v_fma_f32 v134, -v134, v136, v137
	v_div_fmas_f32 v134, v134, v135, v136
	s_delay_alu instid0(VALU_DEP_1) | instskip(NEXT) | instid1(VALU_DEP_1)
	v_div_fixup_f32 v134, v134, v133, v132
	v_fmac_f32_e32 v133, v132, v134
	s_delay_alu instid0(VALU_DEP_1) | instskip(SKIP_1) | instid1(VALU_DEP_2)
	v_div_scale_f32 v132, null, v133, v133, 1.0
	v_div_scale_f32 v137, vcc_lo, 1.0, v133, 1.0
	v_rcp_f32_e32 v135, v132
	v_nop
	s_delay_alu instid0(TRANS32_DEP_1) | instskip(NEXT) | instid1(VALU_DEP_1)
	v_fma_f32 v136, -v132, v135, 1.0
	v_fmac_f32_e32 v135, v136, v135
	s_delay_alu instid0(VALU_DEP_1) | instskip(NEXT) | instid1(VALU_DEP_1)
	v_mul_f32_e32 v136, v137, v135
	v_fma_f32 v138, -v132, v136, v137
	s_delay_alu instid0(VALU_DEP_1) | instskip(NEXT) | instid1(VALU_DEP_1)
	v_fmac_f32_e32 v136, v138, v135
	v_fma_f32 v132, -v132, v136, v137
	s_delay_alu instid0(VALU_DEP_1) | instskip(NEXT) | instid1(VALU_DEP_1)
	v_div_fmas_f32 v132, v132, v135, v136
	v_div_fixup_f32 v132, v132, v133, 1.0
	s_delay_alu instid0(VALU_DEP_1)
	v_mul_f32_e32 v134, v134, v132
	v_xor_b32_e32 v135, 0x80000000, v132
                                        ; implicit-def: $vgpr132_vgpr133
.LBB55_86:
	s_and_not1_saveexec_b32 s1, s1
	s_cbranch_execz .LBB55_88
; %bb.87:
	v_div_scale_f32 v134, null, v132, v132, v133
	v_div_scale_f32 v137, vcc_lo, v133, v132, v133
	s_delay_alu instid0(VALU_DEP_2) | instskip(SKIP_1) | instid1(TRANS32_DEP_1)
	v_rcp_f32_e32 v135, v134
	v_nop
	v_fma_f32 v136, -v134, v135, 1.0
	s_delay_alu instid0(VALU_DEP_1) | instskip(NEXT) | instid1(VALU_DEP_1)
	v_fmac_f32_e32 v135, v136, v135
	v_mul_f32_e32 v136, v137, v135
	s_delay_alu instid0(VALU_DEP_1) | instskip(NEXT) | instid1(VALU_DEP_1)
	v_fma_f32 v138, -v134, v136, v137
	v_fmac_f32_e32 v136, v138, v135
	s_delay_alu instid0(VALU_DEP_1) | instskip(NEXT) | instid1(VALU_DEP_1)
	v_fma_f32 v134, -v134, v136, v137
	v_div_fmas_f32 v134, v134, v135, v136
	s_delay_alu instid0(VALU_DEP_1) | instskip(NEXT) | instid1(VALU_DEP_1)
	v_div_fixup_f32 v135, v134, v132, v133
	v_fmac_f32_e32 v132, v133, v135
	s_delay_alu instid0(VALU_DEP_1) | instskip(NEXT) | instid1(VALU_DEP_1)
	v_div_scale_f32 v133, null, v132, v132, 1.0
	v_rcp_f32_e32 v134, v133
	v_nop
	s_delay_alu instid0(TRANS32_DEP_1) | instskip(NEXT) | instid1(VALU_DEP_1)
	v_fma_f32 v136, -v133, v134, 1.0
	v_fmac_f32_e32 v134, v136, v134
	v_div_scale_f32 v136, vcc_lo, 1.0, v132, 1.0
	s_delay_alu instid0(VALU_DEP_1) | instskip(NEXT) | instid1(VALU_DEP_1)
	v_mul_f32_e32 v137, v136, v134
	v_fma_f32 v138, -v133, v137, v136
	s_delay_alu instid0(VALU_DEP_1) | instskip(NEXT) | instid1(VALU_DEP_1)
	v_fmac_f32_e32 v137, v138, v134
	v_fma_f32 v133, -v133, v137, v136
	s_delay_alu instid0(VALU_DEP_1) | instskip(NEXT) | instid1(VALU_DEP_1)
	v_div_fmas_f32 v133, v133, v134, v137
	v_div_fixup_f32 v134, v133, v132, 1.0
	s_delay_alu instid0(VALU_DEP_1)
	v_mul_f32_e64 v135, v135, -v134
.LBB55_88:
	s_or_b32 exec_lo, exec_lo, s1
	ds_store_b64 v171, v[134:135]
.LBB55_89:
	s_or_b32 exec_lo, exec_lo, s2
	s_wait_dscnt 0x0
	s_barrier_signal -1
	s_barrier_wait -1
	ds_load_b64 v[132:133], v171
	s_mov_b32 s1, exec_lo
	v_cmpx_lt_u32_e32 9, v170
	s_cbranch_execz .LBB55_91
; %bb.90:
	ds_load_2addr_b64 v[138:141], v172 offset0:10 offset1:11
	s_wait_dscnt 0x1
	v_pk_mul_f32 v[136:137], v[132:133], v[38:39] op_sel:[1,1] op_sel_hi:[0,1]
	s_delay_alu instid0(VALU_DEP_1) | instskip(SKIP_1) | instid1(VALU_DEP_1)
	v_pk_fma_f32 v[134:135], v[132:133], v[38:39], v[136:137] op_sel_hi:[1,0,1] neg_lo:[0,0,1] neg_hi:[0,0,1]
	v_pk_fma_f32 v[136:137], v[132:133], v[38:39], v[136:137] op_sel_hi:[1,0,1]
	v_dual_mov_b32 v38, v134 :: v_dual_mov_b32 v39, v137
	s_wait_dscnt 0x0
	s_delay_alu instid0(VALU_DEP_2) | instskip(NEXT) | instid1(VALU_DEP_1)
	v_pk_mul_f32 v[142:143], v[138:139], v[136:137] op_sel:[0,1]
	v_pk_fma_f32 v[144:145], v[138:139], v[134:135], v[142:143] op_sel:[0,0,1] op_sel_hi:[1,1,0] neg_lo:[0,0,1] neg_hi:[0,0,1]
	v_pk_fma_f32 v[138:139], v[138:139], v[134:135], v[142:143] op_sel:[0,0,1] op_sel_hi:[1,0,0]
	s_delay_alu instid0(VALU_DEP_1) | instskip(SKIP_1) | instid1(VALU_DEP_1)
	v_mov_b32_e32 v145, v139
	v_pk_mul_f32 v[138:139], v[140:141], v[136:137] op_sel:[0,1]
	v_pk_fma_f32 v[142:143], v[140:141], v[134:135], v[138:139] op_sel:[0,0,1] op_sel_hi:[1,1,0] neg_lo:[0,0,1] neg_hi:[0,0,1]
	v_pk_fma_f32 v[138:139], v[140:141], v[134:135], v[138:139] op_sel:[0,0,1] op_sel_hi:[1,0,0]
	s_delay_alu instid0(VALU_DEP_1)
	v_mov_b32_e32 v143, v139
	ds_load_2addr_b64 v[138:141], v172 offset0:12 offset1:13
	v_pk_add_f32 v[40:41], v[40:41], v[144:145] neg_lo:[0,1] neg_hi:[0,1]
	v_pk_add_f32 v[36:37], v[36:37], v[142:143] neg_lo:[0,1] neg_hi:[0,1]
	s_wait_dscnt 0x0
	v_pk_mul_f32 v[142:143], v[138:139], v[136:137] op_sel:[0,1]
	s_delay_alu instid0(VALU_DEP_1) | instskip(SKIP_2) | instid1(VALU_DEP_2)
	v_pk_fma_f32 v[144:145], v[138:139], v[134:135], v[142:143] op_sel:[0,0,1] op_sel_hi:[1,1,0] neg_lo:[0,0,1] neg_hi:[0,0,1]
	v_pk_fma_f32 v[138:139], v[138:139], v[134:135], v[142:143] op_sel:[0,0,1] op_sel_hi:[1,0,0]
	v_dual_mul_f32 v142, v141, v137 :: v_dual_mov_b32 v138, v141
	v_dual_mov_b32 v145, v139 :: v_dual_mov_b32 v139, v140
	s_delay_alu instid0(VALU_DEP_2) | instskip(SKIP_1) | instid1(VALU_DEP_3)
	v_pk_fma_f32 v[142:143], v[140:141], v[38:39], v[142:143] op_sel_hi:[1,1,0] neg_lo:[0,0,1] neg_hi:[0,0,1]
	v_mul_f32_e32 v140, v141, v134
	v_pk_add_f32 v[64:65], v[64:65], v[144:145] neg_lo:[0,1] neg_hi:[0,1]
	s_delay_alu instid0(VALU_DEP_2) | instskip(NEXT) | instid1(VALU_DEP_1)
	v_pk_fma_f32 v[138:139], v[138:139], v[38:39], v[140:141] op_sel_hi:[1,1,0]
	v_mov_b32_e32 v143, v139
	ds_load_2addr_b64 v[138:141], v172 offset0:14 offset1:15
	v_pk_add_f32 v[60:61], v[60:61], v[142:143] neg_lo:[0,1] neg_hi:[0,1]
	s_wait_dscnt 0x0
	v_pk_mul_f32 v[142:143], v[138:139], v[136:137] op_sel:[0,1]
	s_delay_alu instid0(VALU_DEP_1) | instskip(SKIP_1) | instid1(VALU_DEP_1)
	v_pk_fma_f32 v[144:145], v[138:139], v[134:135], v[142:143] op_sel:[0,0,1] op_sel_hi:[1,1,0] neg_lo:[0,0,1] neg_hi:[0,0,1]
	v_pk_fma_f32 v[138:139], v[138:139], v[134:135], v[142:143] op_sel:[0,0,1] op_sel_hi:[1,0,0]
	v_mov_b32_e32 v145, v139
	v_pk_mul_f32 v[138:139], v[140:141], v[136:137] op_sel:[0,1]
	s_delay_alu instid0(VALU_DEP_1) | instskip(SKIP_1) | instid1(VALU_DEP_1)
	v_pk_fma_f32 v[142:143], v[140:141], v[134:135], v[138:139] op_sel:[0,0,1] op_sel_hi:[1,1,0] neg_lo:[0,0,1] neg_hi:[0,0,1]
	v_pk_fma_f32 v[138:139], v[140:141], v[134:135], v[138:139] op_sel:[0,0,1] op_sel_hi:[1,0,0]
	v_mov_b32_e32 v143, v139
	ds_load_2addr_b64 v[138:141], v172 offset0:16 offset1:17
	v_pk_add_f32 v[62:63], v[62:63], v[144:145] neg_lo:[0,1] neg_hi:[0,1]
	v_pk_add_f32 v[104:105], v[104:105], v[142:143] neg_lo:[0,1] neg_hi:[0,1]
	s_wait_dscnt 0x0
	v_pk_mul_f32 v[142:143], v[138:139], v[136:137] op_sel:[0,1]
	s_delay_alu instid0(VALU_DEP_1) | instskip(SKIP_1) | instid1(VALU_DEP_1)
	v_pk_fma_f32 v[144:145], v[138:139], v[134:135], v[142:143] op_sel:[0,0,1] op_sel_hi:[1,1,0] neg_lo:[0,0,1] neg_hi:[0,0,1]
	v_pk_fma_f32 v[138:139], v[138:139], v[134:135], v[142:143] op_sel:[0,0,1] op_sel_hi:[1,0,0]
	v_mov_b32_e32 v145, v139
	v_pk_mul_f32 v[138:139], v[140:141], v[136:137] op_sel:[0,1]
	s_delay_alu instid0(VALU_DEP_1) | instskip(SKIP_1) | instid1(VALU_DEP_1)
	v_pk_fma_f32 v[142:143], v[140:141], v[134:135], v[138:139] op_sel:[0,0,1] op_sel_hi:[1,1,0] neg_lo:[0,0,1] neg_hi:[0,0,1]
	v_pk_fma_f32 v[138:139], v[140:141], v[134:135], v[138:139] op_sel:[0,0,1] op_sel_hi:[1,0,0]
	v_mov_b32_e32 v143, v139
	ds_load_2addr_b64 v[138:141], v172 offset0:18 offset1:19
	v_pk_add_f32 v[84:85], v[84:85], v[144:145] neg_lo:[0,1] neg_hi:[0,1]
	v_pk_add_f32 v[80:81], v[80:81], v[142:143] neg_lo:[0,1] neg_hi:[0,1]
	s_wait_dscnt 0x0
	v_dual_mul_f32 v142, v139, v137 :: v_dual_mul_f32 v144, v139, v134
	s_delay_alu instid0(VALU_DEP_1) | instskip(NEXT) | instid1(VALU_DEP_2)
	v_pk_fma_f32 v[142:143], v[138:139], v[38:39], v[142:143] op_sel_hi:[1,1,0] neg_lo:[0,0,1] neg_hi:[0,0,1]
	v_pk_fma_f32 v[138:139], v[138:139], v[38:39], v[144:145] op_sel:[1,0,0] op_sel_hi:[0,1,0]
	s_delay_alu instid0(VALU_DEP_1) | instskip(SKIP_1) | instid1(VALU_DEP_2)
	v_mov_b32_e32 v143, v139
	v_pk_mul_f32 v[138:139], v[140:141], v[136:137] op_sel:[0,1]
	v_pk_add_f32 v[82:83], v[82:83], v[142:143] neg_lo:[0,1] neg_hi:[0,1]
	s_delay_alu instid0(VALU_DEP_2) | instskip(SKIP_1) | instid1(VALU_DEP_1)
	v_pk_fma_f32 v[142:143], v[140:141], v[134:135], v[138:139] op_sel:[0,0,1] op_sel_hi:[1,1,0] neg_lo:[0,0,1] neg_hi:[0,0,1]
	v_pk_fma_f32 v[138:139], v[140:141], v[134:135], v[138:139] op_sel:[0,0,1] op_sel_hi:[1,0,0]
	v_mov_b32_e32 v143, v139
	ds_load_2addr_b64 v[138:141], v172 offset0:20 offset1:21
	v_pk_add_f32 v[78:79], v[78:79], v[142:143] neg_lo:[0,1] neg_hi:[0,1]
	s_wait_dscnt 0x0
	v_pk_mul_f32 v[142:143], v[138:139], v[136:137] op_sel:[0,1]
	s_delay_alu instid0(VALU_DEP_1) | instskip(SKIP_1) | instid1(VALU_DEP_1)
	v_pk_fma_f32 v[144:145], v[138:139], v[134:135], v[142:143] op_sel:[0,0,1] op_sel_hi:[1,1,0] neg_lo:[0,0,1] neg_hi:[0,0,1]
	v_pk_fma_f32 v[138:139], v[138:139], v[134:135], v[142:143] op_sel:[0,0,1] op_sel_hi:[1,0,0]
	v_mov_b32_e32 v145, v139
	v_pk_mul_f32 v[138:139], v[140:141], v[136:137] op_sel:[0,1]
	s_delay_alu instid0(VALU_DEP_2) | instskip(NEXT) | instid1(VALU_DEP_2)
	v_pk_add_f32 v[102:103], v[102:103], v[144:145] neg_lo:[0,1] neg_hi:[0,1]
	v_pk_fma_f32 v[142:143], v[140:141], v[134:135], v[138:139] op_sel:[0,0,1] op_sel_hi:[1,1,0] neg_lo:[0,0,1] neg_hi:[0,0,1]
	v_pk_fma_f32 v[138:139], v[140:141], v[134:135], v[138:139] op_sel:[0,0,1] op_sel_hi:[1,0,0]
	s_delay_alu instid0(VALU_DEP_1) | instskip(SKIP_4) | instid1(VALU_DEP_1)
	v_mov_b32_e32 v143, v139
	ds_load_2addr_b64 v[138:141], v172 offset0:22 offset1:23
	v_pk_add_f32 v[98:99], v[98:99], v[142:143] neg_lo:[0,1] neg_hi:[0,1]
	s_wait_dscnt 0x0
	v_pk_mul_f32 v[142:143], v[138:139], v[136:137] op_sel:[0,1]
	v_pk_fma_f32 v[144:145], v[138:139], v[134:135], v[142:143] op_sel:[0,0,1] op_sel_hi:[1,1,0] neg_lo:[0,0,1] neg_hi:[0,0,1]
	v_pk_fma_f32 v[138:139], v[138:139], v[134:135], v[142:143] op_sel:[0,0,1] op_sel_hi:[1,0,0]
	v_dual_mul_f32 v142, v141, v137 :: v_dual_mov_b32 v138, v141
	s_delay_alu instid0(VALU_DEP_2) | instskip(NEXT) | instid1(VALU_DEP_2)
	v_dual_mov_b32 v145, v139 :: v_dual_mov_b32 v139, v140
	v_pk_fma_f32 v[142:143], v[140:141], v[38:39], v[142:143] op_sel_hi:[1,1,0] neg_lo:[0,0,1] neg_hi:[0,0,1]
	v_mul_f32_e32 v140, v141, v134
	s_delay_alu instid0(VALU_DEP_3) | instskip(NEXT) | instid1(VALU_DEP_2)
	v_pk_add_f32 v[100:101], v[100:101], v[144:145] neg_lo:[0,1] neg_hi:[0,1]
	v_pk_fma_f32 v[138:139], v[138:139], v[38:39], v[140:141] op_sel_hi:[1,1,0]
	s_delay_alu instid0(VALU_DEP_1) | instskip(SKIP_4) | instid1(VALU_DEP_1)
	v_mov_b32_e32 v143, v139
	ds_load_2addr_b64 v[138:141], v172 offset0:24 offset1:25
	v_pk_add_f32 v[96:97], v[96:97], v[142:143] neg_lo:[0,1] neg_hi:[0,1]
	s_wait_dscnt 0x0
	v_pk_mul_f32 v[142:143], v[138:139], v[136:137] op_sel:[0,1]
	v_pk_fma_f32 v[144:145], v[138:139], v[134:135], v[142:143] op_sel:[0,0,1] op_sel_hi:[1,1,0] neg_lo:[0,0,1] neg_hi:[0,0,1]
	v_pk_fma_f32 v[138:139], v[138:139], v[134:135], v[142:143] op_sel:[0,0,1] op_sel_hi:[1,0,0]
	s_delay_alu instid0(VALU_DEP_1) | instskip(SKIP_1) | instid1(VALU_DEP_1)
	v_mov_b32_e32 v145, v139
	v_pk_mul_f32 v[138:139], v[140:141], v[136:137] op_sel:[0,1]
	v_pk_fma_f32 v[142:143], v[140:141], v[134:135], v[138:139] op_sel:[0,0,1] op_sel_hi:[1,1,0] neg_lo:[0,0,1] neg_hi:[0,0,1]
	v_pk_fma_f32 v[138:139], v[140:141], v[134:135], v[138:139] op_sel:[0,0,1] op_sel_hi:[1,0,0]
	s_delay_alu instid0(VALU_DEP_1)
	v_mov_b32_e32 v143, v139
	ds_load_2addr_b64 v[138:141], v172 offset0:26 offset1:27
	v_pk_add_f32 v[110:111], v[110:111], v[144:145] neg_lo:[0,1] neg_hi:[0,1]
	v_pk_add_f32 v[108:109], v[108:109], v[142:143] neg_lo:[0,1] neg_hi:[0,1]
	s_wait_dscnt 0x0
	v_pk_mul_f32 v[142:143], v[138:139], v[136:137] op_sel:[0,1]
	v_mul_f32_e32 v136, v141, v137
	s_delay_alu instid0(VALU_DEP_2) | instskip(SKIP_2) | instid1(VALU_DEP_4)
	v_pk_fma_f32 v[144:145], v[138:139], v[134:135], v[142:143] op_sel:[0,0,1] op_sel_hi:[1,1,0] neg_lo:[0,0,1] neg_hi:[0,0,1]
	v_pk_fma_f32 v[138:139], v[138:139], v[134:135], v[142:143] op_sel:[0,0,1] op_sel_hi:[1,0,0]
	v_dual_mov_b32 v138, v141 :: v_dual_mul_f32 v134, v141, v134
	v_pk_fma_f32 v[136:137], v[140:141], v[38:39], v[136:137] op_sel_hi:[1,1,0] neg_lo:[0,0,1] neg_hi:[0,0,1]
	s_delay_alu instid0(VALU_DEP_3) | instskip(NEXT) | instid1(VALU_DEP_1)
	v_dual_mov_b32 v145, v139 :: v_dual_mov_b32 v139, v140
	v_pk_add_f32 v[106:107], v[106:107], v[144:145] neg_lo:[0,1] neg_hi:[0,1]
	s_delay_alu instid0(VALU_DEP_2) | instskip(NEXT) | instid1(VALU_DEP_1)
	v_pk_fma_f32 v[134:135], v[138:139], v[38:39], v[134:135] op_sel_hi:[1,1,0]
	v_mov_b32_e32 v137, v135
	s_delay_alu instid0(VALU_DEP_1)
	v_pk_add_f32 v[112:113], v[112:113], v[136:137] neg_lo:[0,1] neg_hi:[0,1]
.LBB55_91:
	s_or_b32 exec_lo, exec_lo, s1
	s_delay_alu instid0(SALU_CYCLE_1)
	s_mov_b32 s2, exec_lo
	s_wait_dscnt 0x0
	s_barrier_signal -1
	s_barrier_wait -1
	v_cmpx_eq_u32_e32 10, v170
	s_cbranch_execz .LBB55_98
; %bb.92:
	ds_store_b64 v171, v[40:41]
	ds_store_2addr_b64 v172, v[36:37], v[64:65] offset0:11 offset1:12
	ds_store_2addr_b64 v172, v[60:61], v[62:63] offset0:13 offset1:14
	;; [unrolled: 1-line block ×8, first 2 shown]
	ds_store_b64 v172, v[112:113] offset:216
	ds_load_b64 v[134:135], v171
	s_wait_dscnt 0x0
	v_cmp_neq_f32_e32 vcc_lo, 0, v134
	v_cmp_neq_f32_e64 s1, 0, v135
	s_or_b32 s1, vcc_lo, s1
	s_delay_alu instid0(SALU_CYCLE_1)
	s_and_b32 exec_lo, exec_lo, s1
	s_cbranch_execz .LBB55_98
; %bb.93:
	v_cmp_ngt_f32_e64 s1, |v134|, |v135|
                                        ; implicit-def: $vgpr136_vgpr137
	s_and_saveexec_b32 s4, s1
	s_delay_alu instid0(SALU_CYCLE_1)
	s_xor_b32 s1, exec_lo, s4
	s_cbranch_execz .LBB55_95
; %bb.94:
	v_div_scale_f32 v136, null, v135, v135, v134
	v_div_scale_f32 v139, vcc_lo, v134, v135, v134
	s_delay_alu instid0(VALU_DEP_2) | instskip(SKIP_1) | instid1(TRANS32_DEP_1)
	v_rcp_f32_e32 v137, v136
	v_nop
	v_fma_f32 v138, -v136, v137, 1.0
	s_delay_alu instid0(VALU_DEP_1) | instskip(NEXT) | instid1(VALU_DEP_1)
	v_fmac_f32_e32 v137, v138, v137
	v_mul_f32_e32 v138, v139, v137
	s_delay_alu instid0(VALU_DEP_1) | instskip(NEXT) | instid1(VALU_DEP_1)
	v_fma_f32 v140, -v136, v138, v139
	v_fmac_f32_e32 v138, v140, v137
	s_delay_alu instid0(VALU_DEP_1) | instskip(NEXT) | instid1(VALU_DEP_1)
	v_fma_f32 v136, -v136, v138, v139
	v_div_fmas_f32 v136, v136, v137, v138
	s_delay_alu instid0(VALU_DEP_1) | instskip(NEXT) | instid1(VALU_DEP_1)
	v_div_fixup_f32 v136, v136, v135, v134
	v_fmac_f32_e32 v135, v134, v136
	s_delay_alu instid0(VALU_DEP_1) | instskip(SKIP_1) | instid1(VALU_DEP_2)
	v_div_scale_f32 v134, null, v135, v135, 1.0
	v_div_scale_f32 v139, vcc_lo, 1.0, v135, 1.0
	v_rcp_f32_e32 v137, v134
	v_nop
	s_delay_alu instid0(TRANS32_DEP_1) | instskip(NEXT) | instid1(VALU_DEP_1)
	v_fma_f32 v138, -v134, v137, 1.0
	v_fmac_f32_e32 v137, v138, v137
	s_delay_alu instid0(VALU_DEP_1) | instskip(NEXT) | instid1(VALU_DEP_1)
	v_mul_f32_e32 v138, v139, v137
	v_fma_f32 v140, -v134, v138, v139
	s_delay_alu instid0(VALU_DEP_1) | instskip(NEXT) | instid1(VALU_DEP_1)
	v_fmac_f32_e32 v138, v140, v137
	v_fma_f32 v134, -v134, v138, v139
	s_delay_alu instid0(VALU_DEP_1) | instskip(NEXT) | instid1(VALU_DEP_1)
	v_div_fmas_f32 v134, v134, v137, v138
	v_div_fixup_f32 v134, v134, v135, 1.0
	s_delay_alu instid0(VALU_DEP_1)
	v_mul_f32_e32 v136, v136, v134
	v_xor_b32_e32 v137, 0x80000000, v134
                                        ; implicit-def: $vgpr134_vgpr135
.LBB55_95:
	s_and_not1_saveexec_b32 s1, s1
	s_cbranch_execz .LBB55_97
; %bb.96:
	v_div_scale_f32 v136, null, v134, v134, v135
	v_div_scale_f32 v139, vcc_lo, v135, v134, v135
	s_delay_alu instid0(VALU_DEP_2) | instskip(SKIP_1) | instid1(TRANS32_DEP_1)
	v_rcp_f32_e32 v137, v136
	v_nop
	v_fma_f32 v138, -v136, v137, 1.0
	s_delay_alu instid0(VALU_DEP_1) | instskip(NEXT) | instid1(VALU_DEP_1)
	v_fmac_f32_e32 v137, v138, v137
	v_mul_f32_e32 v138, v139, v137
	s_delay_alu instid0(VALU_DEP_1) | instskip(NEXT) | instid1(VALU_DEP_1)
	v_fma_f32 v140, -v136, v138, v139
	v_fmac_f32_e32 v138, v140, v137
	s_delay_alu instid0(VALU_DEP_1) | instskip(NEXT) | instid1(VALU_DEP_1)
	v_fma_f32 v136, -v136, v138, v139
	v_div_fmas_f32 v136, v136, v137, v138
	s_delay_alu instid0(VALU_DEP_1) | instskip(NEXT) | instid1(VALU_DEP_1)
	v_div_fixup_f32 v137, v136, v134, v135
	v_fmac_f32_e32 v134, v135, v137
	s_delay_alu instid0(VALU_DEP_1) | instskip(NEXT) | instid1(VALU_DEP_1)
	v_div_scale_f32 v135, null, v134, v134, 1.0
	v_rcp_f32_e32 v136, v135
	v_nop
	s_delay_alu instid0(TRANS32_DEP_1) | instskip(NEXT) | instid1(VALU_DEP_1)
	v_fma_f32 v138, -v135, v136, 1.0
	v_fmac_f32_e32 v136, v138, v136
	v_div_scale_f32 v138, vcc_lo, 1.0, v134, 1.0
	s_delay_alu instid0(VALU_DEP_1) | instskip(NEXT) | instid1(VALU_DEP_1)
	v_mul_f32_e32 v139, v138, v136
	v_fma_f32 v140, -v135, v139, v138
	s_delay_alu instid0(VALU_DEP_1) | instskip(NEXT) | instid1(VALU_DEP_1)
	v_fmac_f32_e32 v139, v140, v136
	v_fma_f32 v135, -v135, v139, v138
	s_delay_alu instid0(VALU_DEP_1) | instskip(NEXT) | instid1(VALU_DEP_1)
	v_div_fmas_f32 v135, v135, v136, v139
	v_div_fixup_f32 v136, v135, v134, 1.0
	s_delay_alu instid0(VALU_DEP_1)
	v_mul_f32_e64 v137, v137, -v136
.LBB55_97:
	s_or_b32 exec_lo, exec_lo, s1
	ds_store_b64 v171, v[136:137]
.LBB55_98:
	s_or_b32 exec_lo, exec_lo, s2
	s_wait_dscnt 0x0
	s_barrier_signal -1
	s_barrier_wait -1
	ds_load_b64 v[134:135], v171
	s_mov_b32 s1, exec_lo
	v_cmpx_lt_u32_e32 10, v170
	s_cbranch_execz .LBB55_100
; %bb.99:
	ds_load_2addr_b64 v[140:143], v172 offset0:11 offset1:12
	s_wait_dscnt 0x1
	v_pk_mul_f32 v[138:139], v[134:135], v[40:41] op_sel:[1,1] op_sel_hi:[0,1]
	s_delay_alu instid0(VALU_DEP_1) | instskip(SKIP_1) | instid1(VALU_DEP_1)
	v_pk_fma_f32 v[136:137], v[134:135], v[40:41], v[138:139] op_sel_hi:[1,0,1] neg_lo:[0,0,1] neg_hi:[0,0,1]
	v_pk_fma_f32 v[138:139], v[134:135], v[40:41], v[138:139] op_sel_hi:[1,0,1]
	v_dual_mov_b32 v40, v136 :: v_dual_mov_b32 v41, v139
	s_wait_dscnt 0x0
	s_delay_alu instid0(VALU_DEP_2) | instskip(NEXT) | instid1(VALU_DEP_1)
	v_pk_mul_f32 v[144:145], v[140:141], v[138:139] op_sel:[0,1]
	v_pk_fma_f32 v[146:147], v[140:141], v[136:137], v[144:145] op_sel:[0,0,1] op_sel_hi:[1,1,0] neg_lo:[0,0,1] neg_hi:[0,0,1]
	v_pk_fma_f32 v[140:141], v[140:141], v[136:137], v[144:145] op_sel:[0,0,1] op_sel_hi:[1,0,0]
	s_delay_alu instid0(VALU_DEP_1) | instskip(SKIP_1) | instid1(VALU_DEP_1)
	v_mov_b32_e32 v147, v141
	v_pk_mul_f32 v[140:141], v[142:143], v[138:139] op_sel:[0,1]
	v_pk_fma_f32 v[144:145], v[142:143], v[136:137], v[140:141] op_sel:[0,0,1] op_sel_hi:[1,1,0] neg_lo:[0,0,1] neg_hi:[0,0,1]
	v_pk_fma_f32 v[140:141], v[142:143], v[136:137], v[140:141] op_sel:[0,0,1] op_sel_hi:[1,0,0]
	s_delay_alu instid0(VALU_DEP_1)
	v_mov_b32_e32 v145, v141
	ds_load_2addr_b64 v[140:143], v172 offset0:13 offset1:14
	v_pk_add_f32 v[36:37], v[36:37], v[146:147] neg_lo:[0,1] neg_hi:[0,1]
	v_pk_add_f32 v[64:65], v[64:65], v[144:145] neg_lo:[0,1] neg_hi:[0,1]
	s_wait_dscnt 0x0
	v_pk_mul_f32 v[144:145], v[140:141], v[138:139] op_sel:[0,1]
	s_delay_alu instid0(VALU_DEP_1) | instskip(SKIP_2) | instid1(VALU_DEP_2)
	v_pk_fma_f32 v[146:147], v[140:141], v[136:137], v[144:145] op_sel:[0,0,1] op_sel_hi:[1,1,0] neg_lo:[0,0,1] neg_hi:[0,0,1]
	v_pk_fma_f32 v[140:141], v[140:141], v[136:137], v[144:145] op_sel:[0,0,1] op_sel_hi:[1,0,0]
	v_dual_mul_f32 v144, v143, v139 :: v_dual_mov_b32 v140, v143
	v_dual_mov_b32 v147, v141 :: v_dual_mov_b32 v141, v142
	s_delay_alu instid0(VALU_DEP_2) | instskip(SKIP_1) | instid1(VALU_DEP_3)
	v_pk_fma_f32 v[144:145], v[142:143], v[40:41], v[144:145] op_sel_hi:[1,1,0] neg_lo:[0,0,1] neg_hi:[0,0,1]
	v_mul_f32_e32 v142, v143, v136
	v_pk_add_f32 v[60:61], v[60:61], v[146:147] neg_lo:[0,1] neg_hi:[0,1]
	s_delay_alu instid0(VALU_DEP_2) | instskip(NEXT) | instid1(VALU_DEP_1)
	v_pk_fma_f32 v[140:141], v[140:141], v[40:41], v[142:143] op_sel_hi:[1,1,0]
	v_mov_b32_e32 v145, v141
	ds_load_2addr_b64 v[140:143], v172 offset0:15 offset1:16
	v_pk_add_f32 v[62:63], v[62:63], v[144:145] neg_lo:[0,1] neg_hi:[0,1]
	s_wait_dscnt 0x0
	v_pk_mul_f32 v[144:145], v[140:141], v[138:139] op_sel:[0,1]
	s_delay_alu instid0(VALU_DEP_1) | instskip(SKIP_1) | instid1(VALU_DEP_1)
	v_pk_fma_f32 v[146:147], v[140:141], v[136:137], v[144:145] op_sel:[0,0,1] op_sel_hi:[1,1,0] neg_lo:[0,0,1] neg_hi:[0,0,1]
	v_pk_fma_f32 v[140:141], v[140:141], v[136:137], v[144:145] op_sel:[0,0,1] op_sel_hi:[1,0,0]
	v_mov_b32_e32 v147, v141
	v_pk_mul_f32 v[140:141], v[142:143], v[138:139] op_sel:[0,1]
	s_delay_alu instid0(VALU_DEP_1) | instskip(SKIP_1) | instid1(VALU_DEP_1)
	v_pk_fma_f32 v[144:145], v[142:143], v[136:137], v[140:141] op_sel:[0,0,1] op_sel_hi:[1,1,0] neg_lo:[0,0,1] neg_hi:[0,0,1]
	v_pk_fma_f32 v[140:141], v[142:143], v[136:137], v[140:141] op_sel:[0,0,1] op_sel_hi:[1,0,0]
	v_mov_b32_e32 v145, v141
	ds_load_2addr_b64 v[140:143], v172 offset0:17 offset1:18
	v_pk_add_f32 v[104:105], v[104:105], v[146:147] neg_lo:[0,1] neg_hi:[0,1]
	v_pk_add_f32 v[84:85], v[84:85], v[144:145] neg_lo:[0,1] neg_hi:[0,1]
	s_wait_dscnt 0x0
	v_pk_mul_f32 v[144:145], v[140:141], v[138:139] op_sel:[0,1]
	s_delay_alu instid0(VALU_DEP_1) | instskip(SKIP_1) | instid1(VALU_DEP_1)
	v_pk_fma_f32 v[146:147], v[140:141], v[136:137], v[144:145] op_sel:[0,0,1] op_sel_hi:[1,1,0] neg_lo:[0,0,1] neg_hi:[0,0,1]
	v_pk_fma_f32 v[140:141], v[140:141], v[136:137], v[144:145] op_sel:[0,0,1] op_sel_hi:[1,0,0]
	v_mov_b32_e32 v147, v141
	v_pk_mul_f32 v[140:141], v[142:143], v[138:139] op_sel:[0,1]
	s_delay_alu instid0(VALU_DEP_1) | instskip(SKIP_1) | instid1(VALU_DEP_1)
	v_pk_fma_f32 v[144:145], v[142:143], v[136:137], v[140:141] op_sel:[0,0,1] op_sel_hi:[1,1,0] neg_lo:[0,0,1] neg_hi:[0,0,1]
	v_pk_fma_f32 v[140:141], v[142:143], v[136:137], v[140:141] op_sel:[0,0,1] op_sel_hi:[1,0,0]
	v_mov_b32_e32 v145, v141
	ds_load_2addr_b64 v[140:143], v172 offset0:19 offset1:20
	v_pk_add_f32 v[80:81], v[80:81], v[146:147] neg_lo:[0,1] neg_hi:[0,1]
	v_pk_add_f32 v[82:83], v[82:83], v[144:145] neg_lo:[0,1] neg_hi:[0,1]
	s_wait_dscnt 0x0
	v_dual_mul_f32 v144, v141, v139 :: v_dual_mul_f32 v146, v141, v136
	s_delay_alu instid0(VALU_DEP_1) | instskip(NEXT) | instid1(VALU_DEP_2)
	v_pk_fma_f32 v[144:145], v[140:141], v[40:41], v[144:145] op_sel_hi:[1,1,0] neg_lo:[0,0,1] neg_hi:[0,0,1]
	v_pk_fma_f32 v[140:141], v[140:141], v[40:41], v[146:147] op_sel:[1,0,0] op_sel_hi:[0,1,0]
	s_delay_alu instid0(VALU_DEP_1) | instskip(SKIP_1) | instid1(VALU_DEP_2)
	v_mov_b32_e32 v145, v141
	v_pk_mul_f32 v[140:141], v[142:143], v[138:139] op_sel:[0,1]
	v_pk_add_f32 v[78:79], v[78:79], v[144:145] neg_lo:[0,1] neg_hi:[0,1]
	s_delay_alu instid0(VALU_DEP_2) | instskip(SKIP_1) | instid1(VALU_DEP_1)
	v_pk_fma_f32 v[144:145], v[142:143], v[136:137], v[140:141] op_sel:[0,0,1] op_sel_hi:[1,1,0] neg_lo:[0,0,1] neg_hi:[0,0,1]
	v_pk_fma_f32 v[140:141], v[142:143], v[136:137], v[140:141] op_sel:[0,0,1] op_sel_hi:[1,0,0]
	v_mov_b32_e32 v145, v141
	ds_load_2addr_b64 v[140:143], v172 offset0:21 offset1:22
	v_pk_add_f32 v[102:103], v[102:103], v[144:145] neg_lo:[0,1] neg_hi:[0,1]
	s_wait_dscnt 0x0
	v_pk_mul_f32 v[144:145], v[140:141], v[138:139] op_sel:[0,1]
	s_delay_alu instid0(VALU_DEP_1) | instskip(SKIP_1) | instid1(VALU_DEP_1)
	v_pk_fma_f32 v[146:147], v[140:141], v[136:137], v[144:145] op_sel:[0,0,1] op_sel_hi:[1,1,0] neg_lo:[0,0,1] neg_hi:[0,0,1]
	v_pk_fma_f32 v[140:141], v[140:141], v[136:137], v[144:145] op_sel:[0,0,1] op_sel_hi:[1,0,0]
	v_mov_b32_e32 v147, v141
	v_pk_mul_f32 v[140:141], v[142:143], v[138:139] op_sel:[0,1]
	s_delay_alu instid0(VALU_DEP_2) | instskip(NEXT) | instid1(VALU_DEP_2)
	v_pk_add_f32 v[98:99], v[98:99], v[146:147] neg_lo:[0,1] neg_hi:[0,1]
	v_pk_fma_f32 v[144:145], v[142:143], v[136:137], v[140:141] op_sel:[0,0,1] op_sel_hi:[1,1,0] neg_lo:[0,0,1] neg_hi:[0,0,1]
	v_pk_fma_f32 v[140:141], v[142:143], v[136:137], v[140:141] op_sel:[0,0,1] op_sel_hi:[1,0,0]
	s_delay_alu instid0(VALU_DEP_1) | instskip(SKIP_4) | instid1(VALU_DEP_1)
	v_mov_b32_e32 v145, v141
	ds_load_2addr_b64 v[140:143], v172 offset0:23 offset1:24
	v_pk_add_f32 v[100:101], v[100:101], v[144:145] neg_lo:[0,1] neg_hi:[0,1]
	s_wait_dscnt 0x0
	v_pk_mul_f32 v[144:145], v[140:141], v[138:139] op_sel:[0,1]
	v_pk_fma_f32 v[146:147], v[140:141], v[136:137], v[144:145] op_sel:[0,0,1] op_sel_hi:[1,1,0] neg_lo:[0,0,1] neg_hi:[0,0,1]
	v_pk_fma_f32 v[140:141], v[140:141], v[136:137], v[144:145] op_sel:[0,0,1] op_sel_hi:[1,0,0]
	v_dual_mul_f32 v144, v143, v139 :: v_dual_mov_b32 v140, v143
	s_delay_alu instid0(VALU_DEP_2) | instskip(NEXT) | instid1(VALU_DEP_2)
	v_dual_mov_b32 v147, v141 :: v_dual_mov_b32 v141, v142
	v_pk_fma_f32 v[144:145], v[142:143], v[40:41], v[144:145] op_sel_hi:[1,1,0] neg_lo:[0,0,1] neg_hi:[0,0,1]
	v_mul_f32_e32 v142, v143, v136
	s_delay_alu instid0(VALU_DEP_3) | instskip(NEXT) | instid1(VALU_DEP_2)
	v_pk_add_f32 v[96:97], v[96:97], v[146:147] neg_lo:[0,1] neg_hi:[0,1]
	v_pk_fma_f32 v[140:141], v[140:141], v[40:41], v[142:143] op_sel_hi:[1,1,0]
	s_delay_alu instid0(VALU_DEP_1) | instskip(SKIP_4) | instid1(VALU_DEP_1)
	v_mov_b32_e32 v145, v141
	ds_load_2addr_b64 v[140:143], v172 offset0:25 offset1:26
	v_pk_add_f32 v[110:111], v[110:111], v[144:145] neg_lo:[0,1] neg_hi:[0,1]
	s_wait_dscnt 0x0
	v_pk_mul_f32 v[144:145], v[140:141], v[138:139] op_sel:[0,1]
	v_pk_fma_f32 v[146:147], v[140:141], v[136:137], v[144:145] op_sel:[0,0,1] op_sel_hi:[1,1,0] neg_lo:[0,0,1] neg_hi:[0,0,1]
	v_pk_fma_f32 v[140:141], v[140:141], v[136:137], v[144:145] op_sel:[0,0,1] op_sel_hi:[1,0,0]
	s_delay_alu instid0(VALU_DEP_1) | instskip(SKIP_1) | instid1(VALU_DEP_1)
	v_mov_b32_e32 v147, v141
	v_pk_mul_f32 v[140:141], v[142:143], v[138:139] op_sel:[0,1]
	v_pk_fma_f32 v[144:145], v[142:143], v[136:137], v[140:141] op_sel:[0,0,1] op_sel_hi:[1,1,0] neg_lo:[0,0,1] neg_hi:[0,0,1]
	v_pk_fma_f32 v[140:141], v[142:143], v[136:137], v[140:141] op_sel:[0,0,1] op_sel_hi:[1,0,0]
	s_delay_alu instid0(VALU_DEP_1)
	v_mov_b32_e32 v145, v141
	ds_load_b64 v[140:141], v172 offset:216
	v_pk_add_f32 v[108:109], v[108:109], v[146:147] neg_lo:[0,1] neg_hi:[0,1]
	v_pk_add_f32 v[106:107], v[106:107], v[144:145] neg_lo:[0,1] neg_hi:[0,1]
	s_wait_dscnt 0x0
	v_pk_mul_f32 v[138:139], v[140:141], v[138:139] op_sel:[0,1]
	s_delay_alu instid0(VALU_DEP_1) | instskip(SKIP_1) | instid1(VALU_DEP_1)
	v_pk_fma_f32 v[142:143], v[140:141], v[136:137], v[138:139] op_sel:[0,0,1] op_sel_hi:[1,1,0] neg_lo:[0,0,1] neg_hi:[0,0,1]
	v_pk_fma_f32 v[136:137], v[140:141], v[136:137], v[138:139] op_sel:[0,0,1] op_sel_hi:[1,0,0]
	v_mov_b32_e32 v143, v137
	s_delay_alu instid0(VALU_DEP_1)
	v_pk_add_f32 v[112:113], v[112:113], v[142:143] neg_lo:[0,1] neg_hi:[0,1]
.LBB55_100:
	s_or_b32 exec_lo, exec_lo, s1
	s_delay_alu instid0(SALU_CYCLE_1)
	s_mov_b32 s2, exec_lo
	s_wait_dscnt 0x0
	s_barrier_signal -1
	s_barrier_wait -1
	v_cmpx_eq_u32_e32 11, v170
	s_cbranch_execz .LBB55_107
; %bb.101:
	v_dual_mov_b32 v136, v64 :: v_dual_mov_b32 v137, v65
	v_dual_mov_b32 v138, v60 :: v_dual_mov_b32 v139, v61
	ds_store_b64 v171, v[36:37]
	ds_store_2addr_b64 v172, v[136:137], v[138:139] offset0:12 offset1:13
	v_dual_mov_b32 v136, v62 :: v_dual_mov_b32 v137, v63
	v_dual_mov_b32 v138, v104 :: v_dual_mov_b32 v139, v105
	ds_store_2addr_b64 v172, v[136:137], v[138:139] offset0:14 offset1:15
	v_dual_mov_b32 v136, v84 :: v_dual_mov_b32 v137, v85
	v_dual_mov_b32 v138, v80 :: v_dual_mov_b32 v139, v81
	;; [unrolled: 3-line block ×6, first 2 shown]
	ds_store_2addr_b64 v172, v[136:137], v[138:139] offset0:24 offset1:25
	v_dual_mov_b32 v136, v106 :: v_dual_mov_b32 v137, v107
	ds_store_2addr_b64 v172, v[136:137], v[112:113] offset0:26 offset1:27
	ds_load_b64 v[136:137], v171
	s_wait_dscnt 0x0
	v_cmp_neq_f32_e32 vcc_lo, 0, v136
	v_cmp_neq_f32_e64 s1, 0, v137
	s_or_b32 s1, vcc_lo, s1
	s_delay_alu instid0(SALU_CYCLE_1)
	s_and_b32 exec_lo, exec_lo, s1
	s_cbranch_execz .LBB55_107
; %bb.102:
	v_cmp_ngt_f32_e64 s1, |v136|, |v137|
                                        ; implicit-def: $vgpr138_vgpr139
	s_and_saveexec_b32 s4, s1
	s_delay_alu instid0(SALU_CYCLE_1)
	s_xor_b32 s1, exec_lo, s4
	s_cbranch_execz .LBB55_104
; %bb.103:
	v_div_scale_f32 v138, null, v137, v137, v136
	v_div_scale_f32 v141, vcc_lo, v136, v137, v136
	s_delay_alu instid0(VALU_DEP_2) | instskip(SKIP_1) | instid1(TRANS32_DEP_1)
	v_rcp_f32_e32 v139, v138
	v_nop
	v_fma_f32 v140, -v138, v139, 1.0
	s_delay_alu instid0(VALU_DEP_1) | instskip(NEXT) | instid1(VALU_DEP_1)
	v_fmac_f32_e32 v139, v140, v139
	v_mul_f32_e32 v140, v141, v139
	s_delay_alu instid0(VALU_DEP_1) | instskip(NEXT) | instid1(VALU_DEP_1)
	v_fma_f32 v142, -v138, v140, v141
	v_fmac_f32_e32 v140, v142, v139
	s_delay_alu instid0(VALU_DEP_1) | instskip(NEXT) | instid1(VALU_DEP_1)
	v_fma_f32 v138, -v138, v140, v141
	v_div_fmas_f32 v138, v138, v139, v140
	s_delay_alu instid0(VALU_DEP_1) | instskip(NEXT) | instid1(VALU_DEP_1)
	v_div_fixup_f32 v138, v138, v137, v136
	v_fmac_f32_e32 v137, v136, v138
	s_delay_alu instid0(VALU_DEP_1) | instskip(SKIP_1) | instid1(VALU_DEP_2)
	v_div_scale_f32 v136, null, v137, v137, 1.0
	v_div_scale_f32 v141, vcc_lo, 1.0, v137, 1.0
	v_rcp_f32_e32 v139, v136
	v_nop
	s_delay_alu instid0(TRANS32_DEP_1) | instskip(NEXT) | instid1(VALU_DEP_1)
	v_fma_f32 v140, -v136, v139, 1.0
	v_fmac_f32_e32 v139, v140, v139
	s_delay_alu instid0(VALU_DEP_1) | instskip(NEXT) | instid1(VALU_DEP_1)
	v_mul_f32_e32 v140, v141, v139
	v_fma_f32 v142, -v136, v140, v141
	s_delay_alu instid0(VALU_DEP_1) | instskip(NEXT) | instid1(VALU_DEP_1)
	v_fmac_f32_e32 v140, v142, v139
	v_fma_f32 v136, -v136, v140, v141
	s_delay_alu instid0(VALU_DEP_1) | instskip(NEXT) | instid1(VALU_DEP_1)
	v_div_fmas_f32 v136, v136, v139, v140
	v_div_fixup_f32 v136, v136, v137, 1.0
	s_delay_alu instid0(VALU_DEP_1)
	v_mul_f32_e32 v138, v138, v136
	v_xor_b32_e32 v139, 0x80000000, v136
                                        ; implicit-def: $vgpr136_vgpr137
.LBB55_104:
	s_and_not1_saveexec_b32 s1, s1
	s_cbranch_execz .LBB55_106
; %bb.105:
	v_div_scale_f32 v138, null, v136, v136, v137
	v_div_scale_f32 v141, vcc_lo, v137, v136, v137
	s_delay_alu instid0(VALU_DEP_2) | instskip(SKIP_1) | instid1(TRANS32_DEP_1)
	v_rcp_f32_e32 v139, v138
	v_nop
	v_fma_f32 v140, -v138, v139, 1.0
	s_delay_alu instid0(VALU_DEP_1) | instskip(NEXT) | instid1(VALU_DEP_1)
	v_fmac_f32_e32 v139, v140, v139
	v_mul_f32_e32 v140, v141, v139
	s_delay_alu instid0(VALU_DEP_1) | instskip(NEXT) | instid1(VALU_DEP_1)
	v_fma_f32 v142, -v138, v140, v141
	v_fmac_f32_e32 v140, v142, v139
	s_delay_alu instid0(VALU_DEP_1) | instskip(NEXT) | instid1(VALU_DEP_1)
	v_fma_f32 v138, -v138, v140, v141
	v_div_fmas_f32 v138, v138, v139, v140
	s_delay_alu instid0(VALU_DEP_1) | instskip(NEXT) | instid1(VALU_DEP_1)
	v_div_fixup_f32 v139, v138, v136, v137
	v_fmac_f32_e32 v136, v137, v139
	s_delay_alu instid0(VALU_DEP_1) | instskip(NEXT) | instid1(VALU_DEP_1)
	v_div_scale_f32 v137, null, v136, v136, 1.0
	v_rcp_f32_e32 v138, v137
	v_nop
	s_delay_alu instid0(TRANS32_DEP_1) | instskip(NEXT) | instid1(VALU_DEP_1)
	v_fma_f32 v140, -v137, v138, 1.0
	v_fmac_f32_e32 v138, v140, v138
	v_div_scale_f32 v140, vcc_lo, 1.0, v136, 1.0
	s_delay_alu instid0(VALU_DEP_1) | instskip(NEXT) | instid1(VALU_DEP_1)
	v_mul_f32_e32 v141, v140, v138
	v_fma_f32 v142, -v137, v141, v140
	s_delay_alu instid0(VALU_DEP_1) | instskip(NEXT) | instid1(VALU_DEP_1)
	v_fmac_f32_e32 v141, v142, v138
	v_fma_f32 v137, -v137, v141, v140
	s_delay_alu instid0(VALU_DEP_1) | instskip(NEXT) | instid1(VALU_DEP_1)
	v_div_fmas_f32 v137, v137, v138, v141
	v_div_fixup_f32 v138, v137, v136, 1.0
	s_delay_alu instid0(VALU_DEP_1)
	v_mul_f32_e64 v139, v139, -v138
.LBB55_106:
	s_or_b32 exec_lo, exec_lo, s1
	ds_store_b64 v171, v[138:139]
.LBB55_107:
	s_or_b32 exec_lo, exec_lo, s2
	s_wait_dscnt 0x0
	s_barrier_signal -1
	s_barrier_wait -1
	ds_load_b64 v[136:137], v171
	s_mov_b32 s1, exec_lo
	v_cmpx_lt_u32_e32 11, v170
	s_cbranch_execz .LBB55_109
; %bb.108:
	ds_load_2addr_b64 v[142:145], v172 offset0:12 offset1:13
	s_wait_dscnt 0x1
	v_pk_mul_f32 v[140:141], v[136:137], v[36:37] op_sel:[1,1] op_sel_hi:[0,1]
	s_delay_alu instid0(VALU_DEP_1) | instskip(SKIP_1) | instid1(VALU_DEP_1)
	v_pk_fma_f32 v[138:139], v[136:137], v[36:37], v[140:141] op_sel_hi:[1,0,1] neg_lo:[0,0,1] neg_hi:[0,0,1]
	v_pk_fma_f32 v[140:141], v[136:137], v[36:37], v[140:141] op_sel_hi:[1,0,1]
	v_dual_mov_b32 v36, v138 :: v_dual_mov_b32 v37, v141
	s_wait_dscnt 0x0
	s_delay_alu instid0(VALU_DEP_2) | instskip(NEXT) | instid1(VALU_DEP_1)
	v_pk_mul_f32 v[146:147], v[142:143], v[140:141] op_sel:[0,1]
	v_pk_fma_f32 v[148:149], v[142:143], v[138:139], v[146:147] op_sel:[0,0,1] op_sel_hi:[1,1,0] neg_lo:[0,0,1] neg_hi:[0,0,1]
	v_pk_fma_f32 v[142:143], v[142:143], v[138:139], v[146:147] op_sel:[0,0,1] op_sel_hi:[1,0,0]
	s_delay_alu instid0(VALU_DEP_1) | instskip(SKIP_1) | instid1(VALU_DEP_1)
	v_mov_b32_e32 v149, v143
	v_pk_mul_f32 v[142:143], v[144:145], v[140:141] op_sel:[0,1]
	v_pk_fma_f32 v[146:147], v[144:145], v[138:139], v[142:143] op_sel:[0,0,1] op_sel_hi:[1,1,0] neg_lo:[0,0,1] neg_hi:[0,0,1]
	v_pk_fma_f32 v[142:143], v[144:145], v[138:139], v[142:143] op_sel:[0,0,1] op_sel_hi:[1,0,0]
	s_delay_alu instid0(VALU_DEP_1)
	v_mov_b32_e32 v147, v143
	ds_load_2addr_b64 v[142:145], v172 offset0:14 offset1:15
	v_pk_add_f32 v[64:65], v[64:65], v[148:149] neg_lo:[0,1] neg_hi:[0,1]
	v_pk_add_f32 v[60:61], v[60:61], v[146:147] neg_lo:[0,1] neg_hi:[0,1]
	s_wait_dscnt 0x0
	v_pk_mul_f32 v[146:147], v[142:143], v[140:141] op_sel:[0,1]
	s_delay_alu instid0(VALU_DEP_1) | instskip(SKIP_2) | instid1(VALU_DEP_2)
	v_pk_fma_f32 v[148:149], v[142:143], v[138:139], v[146:147] op_sel:[0,0,1] op_sel_hi:[1,1,0] neg_lo:[0,0,1] neg_hi:[0,0,1]
	v_pk_fma_f32 v[142:143], v[142:143], v[138:139], v[146:147] op_sel:[0,0,1] op_sel_hi:[1,0,0]
	v_dual_mul_f32 v146, v145, v141 :: v_dual_mov_b32 v142, v145
	v_dual_mov_b32 v149, v143 :: v_dual_mov_b32 v143, v144
	s_delay_alu instid0(VALU_DEP_2) | instskip(SKIP_1) | instid1(VALU_DEP_3)
	v_pk_fma_f32 v[146:147], v[144:145], v[36:37], v[146:147] op_sel_hi:[1,1,0] neg_lo:[0,0,1] neg_hi:[0,0,1]
	v_mul_f32_e32 v144, v145, v138
	v_pk_add_f32 v[62:63], v[62:63], v[148:149] neg_lo:[0,1] neg_hi:[0,1]
	s_delay_alu instid0(VALU_DEP_2) | instskip(NEXT) | instid1(VALU_DEP_1)
	v_pk_fma_f32 v[142:143], v[142:143], v[36:37], v[144:145] op_sel_hi:[1,1,0]
	v_mov_b32_e32 v147, v143
	ds_load_2addr_b64 v[142:145], v172 offset0:16 offset1:17
	v_pk_add_f32 v[104:105], v[104:105], v[146:147] neg_lo:[0,1] neg_hi:[0,1]
	s_wait_dscnt 0x0
	v_pk_mul_f32 v[146:147], v[142:143], v[140:141] op_sel:[0,1]
	s_delay_alu instid0(VALU_DEP_1) | instskip(SKIP_1) | instid1(VALU_DEP_1)
	v_pk_fma_f32 v[148:149], v[142:143], v[138:139], v[146:147] op_sel:[0,0,1] op_sel_hi:[1,1,0] neg_lo:[0,0,1] neg_hi:[0,0,1]
	v_pk_fma_f32 v[142:143], v[142:143], v[138:139], v[146:147] op_sel:[0,0,1] op_sel_hi:[1,0,0]
	v_mov_b32_e32 v149, v143
	v_pk_mul_f32 v[142:143], v[144:145], v[140:141] op_sel:[0,1]
	s_delay_alu instid0(VALU_DEP_1) | instskip(SKIP_1) | instid1(VALU_DEP_1)
	v_pk_fma_f32 v[146:147], v[144:145], v[138:139], v[142:143] op_sel:[0,0,1] op_sel_hi:[1,1,0] neg_lo:[0,0,1] neg_hi:[0,0,1]
	v_pk_fma_f32 v[142:143], v[144:145], v[138:139], v[142:143] op_sel:[0,0,1] op_sel_hi:[1,0,0]
	v_mov_b32_e32 v147, v143
	ds_load_2addr_b64 v[142:145], v172 offset0:18 offset1:19
	v_pk_add_f32 v[84:85], v[84:85], v[148:149] neg_lo:[0,1] neg_hi:[0,1]
	v_pk_add_f32 v[80:81], v[80:81], v[146:147] neg_lo:[0,1] neg_hi:[0,1]
	s_wait_dscnt 0x0
	v_pk_mul_f32 v[146:147], v[142:143], v[140:141] op_sel:[0,1]
	s_delay_alu instid0(VALU_DEP_1) | instskip(SKIP_1) | instid1(VALU_DEP_1)
	v_pk_fma_f32 v[148:149], v[142:143], v[138:139], v[146:147] op_sel:[0,0,1] op_sel_hi:[1,1,0] neg_lo:[0,0,1] neg_hi:[0,0,1]
	v_pk_fma_f32 v[142:143], v[142:143], v[138:139], v[146:147] op_sel:[0,0,1] op_sel_hi:[1,0,0]
	v_mov_b32_e32 v149, v143
	v_pk_mul_f32 v[142:143], v[144:145], v[140:141] op_sel:[0,1]
	s_delay_alu instid0(VALU_DEP_1) | instskip(SKIP_1) | instid1(VALU_DEP_1)
	v_pk_fma_f32 v[146:147], v[144:145], v[138:139], v[142:143] op_sel:[0,0,1] op_sel_hi:[1,1,0] neg_lo:[0,0,1] neg_hi:[0,0,1]
	v_pk_fma_f32 v[142:143], v[144:145], v[138:139], v[142:143] op_sel:[0,0,1] op_sel_hi:[1,0,0]
	v_mov_b32_e32 v147, v143
	ds_load_2addr_b64 v[142:145], v172 offset0:20 offset1:21
	v_pk_add_f32 v[82:83], v[82:83], v[148:149] neg_lo:[0,1] neg_hi:[0,1]
	v_pk_add_f32 v[78:79], v[78:79], v[146:147] neg_lo:[0,1] neg_hi:[0,1]
	s_wait_dscnt 0x0
	v_dual_mul_f32 v146, v143, v141 :: v_dual_mul_f32 v148, v143, v138
	s_delay_alu instid0(VALU_DEP_1) | instskip(NEXT) | instid1(VALU_DEP_2)
	v_pk_fma_f32 v[146:147], v[142:143], v[36:37], v[146:147] op_sel_hi:[1,1,0] neg_lo:[0,0,1] neg_hi:[0,0,1]
	v_pk_fma_f32 v[142:143], v[142:143], v[36:37], v[148:149] op_sel:[1,0,0] op_sel_hi:[0,1,0]
	s_delay_alu instid0(VALU_DEP_1) | instskip(SKIP_1) | instid1(VALU_DEP_2)
	v_mov_b32_e32 v147, v143
	v_pk_mul_f32 v[142:143], v[144:145], v[140:141] op_sel:[0,1]
	v_pk_add_f32 v[102:103], v[102:103], v[146:147] neg_lo:[0,1] neg_hi:[0,1]
	s_delay_alu instid0(VALU_DEP_2) | instskip(SKIP_1) | instid1(VALU_DEP_1)
	v_pk_fma_f32 v[146:147], v[144:145], v[138:139], v[142:143] op_sel:[0,0,1] op_sel_hi:[1,1,0] neg_lo:[0,0,1] neg_hi:[0,0,1]
	v_pk_fma_f32 v[142:143], v[144:145], v[138:139], v[142:143] op_sel:[0,0,1] op_sel_hi:[1,0,0]
	v_mov_b32_e32 v147, v143
	ds_load_2addr_b64 v[142:145], v172 offset0:22 offset1:23
	v_pk_add_f32 v[98:99], v[98:99], v[146:147] neg_lo:[0,1] neg_hi:[0,1]
	s_wait_dscnt 0x0
	v_pk_mul_f32 v[146:147], v[142:143], v[140:141] op_sel:[0,1]
	s_delay_alu instid0(VALU_DEP_1) | instskip(SKIP_1) | instid1(VALU_DEP_1)
	v_pk_fma_f32 v[148:149], v[142:143], v[138:139], v[146:147] op_sel:[0,0,1] op_sel_hi:[1,1,0] neg_lo:[0,0,1] neg_hi:[0,0,1]
	v_pk_fma_f32 v[142:143], v[142:143], v[138:139], v[146:147] op_sel:[0,0,1] op_sel_hi:[1,0,0]
	v_mov_b32_e32 v149, v143
	v_pk_mul_f32 v[142:143], v[144:145], v[140:141] op_sel:[0,1]
	s_delay_alu instid0(VALU_DEP_2) | instskip(NEXT) | instid1(VALU_DEP_2)
	v_pk_add_f32 v[100:101], v[100:101], v[148:149] neg_lo:[0,1] neg_hi:[0,1]
	v_pk_fma_f32 v[146:147], v[144:145], v[138:139], v[142:143] op_sel:[0,0,1] op_sel_hi:[1,1,0] neg_lo:[0,0,1] neg_hi:[0,0,1]
	v_pk_fma_f32 v[142:143], v[144:145], v[138:139], v[142:143] op_sel:[0,0,1] op_sel_hi:[1,0,0]
	s_delay_alu instid0(VALU_DEP_1) | instskip(SKIP_4) | instid1(VALU_DEP_1)
	v_mov_b32_e32 v147, v143
	ds_load_2addr_b64 v[142:145], v172 offset0:24 offset1:25
	v_pk_add_f32 v[96:97], v[96:97], v[146:147] neg_lo:[0,1] neg_hi:[0,1]
	s_wait_dscnt 0x0
	v_pk_mul_f32 v[146:147], v[142:143], v[140:141] op_sel:[0,1]
	v_pk_fma_f32 v[148:149], v[142:143], v[138:139], v[146:147] op_sel:[0,0,1] op_sel_hi:[1,1,0] neg_lo:[0,0,1] neg_hi:[0,0,1]
	v_pk_fma_f32 v[142:143], v[142:143], v[138:139], v[146:147] op_sel:[0,0,1] op_sel_hi:[1,0,0]
	v_dual_mul_f32 v146, v145, v141 :: v_dual_mov_b32 v142, v145
	s_delay_alu instid0(VALU_DEP_2) | instskip(NEXT) | instid1(VALU_DEP_2)
	v_dual_mov_b32 v149, v143 :: v_dual_mov_b32 v143, v144
	v_pk_fma_f32 v[146:147], v[144:145], v[36:37], v[146:147] op_sel_hi:[1,1,0] neg_lo:[0,0,1] neg_hi:[0,0,1]
	v_mul_f32_e32 v144, v145, v138
	s_delay_alu instid0(VALU_DEP_3) | instskip(NEXT) | instid1(VALU_DEP_2)
	v_pk_add_f32 v[110:111], v[110:111], v[148:149] neg_lo:[0,1] neg_hi:[0,1]
	v_pk_fma_f32 v[142:143], v[142:143], v[36:37], v[144:145] op_sel_hi:[1,1,0]
	s_delay_alu instid0(VALU_DEP_1)
	v_mov_b32_e32 v147, v143
	ds_load_2addr_b64 v[142:145], v172 offset0:26 offset1:27
	v_pk_add_f32 v[108:109], v[108:109], v[146:147] neg_lo:[0,1] neg_hi:[0,1]
	s_wait_dscnt 0x0
	v_pk_mul_f32 v[146:147], v[142:143], v[140:141] op_sel:[0,1]
	v_pk_mul_f32 v[140:141], v[144:145], v[140:141] op_sel:[0,1]
	s_delay_alu instid0(VALU_DEP_2) | instskip(SKIP_1) | instid1(VALU_DEP_1)
	v_pk_fma_f32 v[148:149], v[142:143], v[138:139], v[146:147] op_sel:[0,0,1] op_sel_hi:[1,1,0] neg_lo:[0,0,1] neg_hi:[0,0,1]
	v_pk_fma_f32 v[142:143], v[142:143], v[138:139], v[146:147] op_sel:[0,0,1] op_sel_hi:[1,0,0]
	v_mov_b32_e32 v149, v143
	s_delay_alu instid0(VALU_DEP_4) | instskip(SKIP_1) | instid1(VALU_DEP_1)
	v_pk_fma_f32 v[142:143], v[144:145], v[138:139], v[140:141] op_sel:[0,0,1] op_sel_hi:[1,1,0] neg_lo:[0,0,1] neg_hi:[0,0,1]
	v_pk_fma_f32 v[138:139], v[144:145], v[138:139], v[140:141] op_sel:[0,0,1] op_sel_hi:[1,0,0]
	v_mov_b32_e32 v143, v139
	s_delay_alu instid0(VALU_DEP_4) | instskip(NEXT) | instid1(VALU_DEP_2)
	v_pk_add_f32 v[106:107], v[106:107], v[148:149] neg_lo:[0,1] neg_hi:[0,1]
	v_pk_add_f32 v[112:113], v[112:113], v[142:143] neg_lo:[0,1] neg_hi:[0,1]
.LBB55_109:
	s_or_b32 exec_lo, exec_lo, s1
	s_delay_alu instid0(SALU_CYCLE_1)
	s_mov_b32 s2, exec_lo
	s_wait_dscnt 0x0
	s_barrier_signal -1
	s_barrier_wait -1
	v_cmpx_eq_u32_e32 12, v170
	s_cbranch_execz .LBB55_116
; %bb.110:
	ds_store_b64 v171, v[64:65]
	ds_store_2addr_b64 v172, v[60:61], v[62:63] offset0:13 offset1:14
	ds_store_2addr_b64 v172, v[104:105], v[84:85] offset0:15 offset1:16
	;; [unrolled: 1-line block ×7, first 2 shown]
	ds_store_b64 v172, v[112:113] offset:216
	ds_load_b64 v[138:139], v171
	s_wait_dscnt 0x0
	v_cmp_neq_f32_e32 vcc_lo, 0, v138
	v_cmp_neq_f32_e64 s1, 0, v139
	s_or_b32 s1, vcc_lo, s1
	s_delay_alu instid0(SALU_CYCLE_1)
	s_and_b32 exec_lo, exec_lo, s1
	s_cbranch_execz .LBB55_116
; %bb.111:
	v_cmp_ngt_f32_e64 s1, |v138|, |v139|
                                        ; implicit-def: $vgpr140_vgpr141
	s_and_saveexec_b32 s4, s1
	s_delay_alu instid0(SALU_CYCLE_1)
	s_xor_b32 s1, exec_lo, s4
	s_cbranch_execz .LBB55_113
; %bb.112:
	v_div_scale_f32 v140, null, v139, v139, v138
	v_div_scale_f32 v143, vcc_lo, v138, v139, v138
	s_delay_alu instid0(VALU_DEP_2) | instskip(SKIP_1) | instid1(TRANS32_DEP_1)
	v_rcp_f32_e32 v141, v140
	v_nop
	v_fma_f32 v142, -v140, v141, 1.0
	s_delay_alu instid0(VALU_DEP_1) | instskip(NEXT) | instid1(VALU_DEP_1)
	v_fmac_f32_e32 v141, v142, v141
	v_mul_f32_e32 v142, v143, v141
	s_delay_alu instid0(VALU_DEP_1) | instskip(NEXT) | instid1(VALU_DEP_1)
	v_fma_f32 v144, -v140, v142, v143
	v_fmac_f32_e32 v142, v144, v141
	s_delay_alu instid0(VALU_DEP_1) | instskip(NEXT) | instid1(VALU_DEP_1)
	v_fma_f32 v140, -v140, v142, v143
	v_div_fmas_f32 v140, v140, v141, v142
	s_delay_alu instid0(VALU_DEP_1) | instskip(NEXT) | instid1(VALU_DEP_1)
	v_div_fixup_f32 v140, v140, v139, v138
	v_fmac_f32_e32 v139, v138, v140
	s_delay_alu instid0(VALU_DEP_1) | instskip(SKIP_1) | instid1(VALU_DEP_2)
	v_div_scale_f32 v138, null, v139, v139, 1.0
	v_div_scale_f32 v143, vcc_lo, 1.0, v139, 1.0
	v_rcp_f32_e32 v141, v138
	v_nop
	s_delay_alu instid0(TRANS32_DEP_1) | instskip(NEXT) | instid1(VALU_DEP_1)
	v_fma_f32 v142, -v138, v141, 1.0
	v_fmac_f32_e32 v141, v142, v141
	s_delay_alu instid0(VALU_DEP_1) | instskip(NEXT) | instid1(VALU_DEP_1)
	v_mul_f32_e32 v142, v143, v141
	v_fma_f32 v144, -v138, v142, v143
	s_delay_alu instid0(VALU_DEP_1) | instskip(NEXT) | instid1(VALU_DEP_1)
	v_fmac_f32_e32 v142, v144, v141
	v_fma_f32 v138, -v138, v142, v143
	s_delay_alu instid0(VALU_DEP_1) | instskip(NEXT) | instid1(VALU_DEP_1)
	v_div_fmas_f32 v138, v138, v141, v142
	v_div_fixup_f32 v138, v138, v139, 1.0
	s_delay_alu instid0(VALU_DEP_1)
	v_mul_f32_e32 v140, v140, v138
	v_xor_b32_e32 v141, 0x80000000, v138
                                        ; implicit-def: $vgpr138_vgpr139
.LBB55_113:
	s_and_not1_saveexec_b32 s1, s1
	s_cbranch_execz .LBB55_115
; %bb.114:
	v_div_scale_f32 v140, null, v138, v138, v139
	v_div_scale_f32 v143, vcc_lo, v139, v138, v139
	s_delay_alu instid0(VALU_DEP_2) | instskip(SKIP_1) | instid1(TRANS32_DEP_1)
	v_rcp_f32_e32 v141, v140
	v_nop
	v_fma_f32 v142, -v140, v141, 1.0
	s_delay_alu instid0(VALU_DEP_1) | instskip(NEXT) | instid1(VALU_DEP_1)
	v_fmac_f32_e32 v141, v142, v141
	v_mul_f32_e32 v142, v143, v141
	s_delay_alu instid0(VALU_DEP_1) | instskip(NEXT) | instid1(VALU_DEP_1)
	v_fma_f32 v144, -v140, v142, v143
	v_fmac_f32_e32 v142, v144, v141
	s_delay_alu instid0(VALU_DEP_1) | instskip(NEXT) | instid1(VALU_DEP_1)
	v_fma_f32 v140, -v140, v142, v143
	v_div_fmas_f32 v140, v140, v141, v142
	s_delay_alu instid0(VALU_DEP_1) | instskip(NEXT) | instid1(VALU_DEP_1)
	v_div_fixup_f32 v141, v140, v138, v139
	v_fmac_f32_e32 v138, v139, v141
	s_delay_alu instid0(VALU_DEP_1) | instskip(NEXT) | instid1(VALU_DEP_1)
	v_div_scale_f32 v139, null, v138, v138, 1.0
	v_rcp_f32_e32 v140, v139
	v_nop
	s_delay_alu instid0(TRANS32_DEP_1) | instskip(NEXT) | instid1(VALU_DEP_1)
	v_fma_f32 v142, -v139, v140, 1.0
	v_fmac_f32_e32 v140, v142, v140
	v_div_scale_f32 v142, vcc_lo, 1.0, v138, 1.0
	s_delay_alu instid0(VALU_DEP_1) | instskip(NEXT) | instid1(VALU_DEP_1)
	v_mul_f32_e32 v143, v142, v140
	v_fma_f32 v144, -v139, v143, v142
	s_delay_alu instid0(VALU_DEP_1) | instskip(NEXT) | instid1(VALU_DEP_1)
	v_fmac_f32_e32 v143, v144, v140
	v_fma_f32 v139, -v139, v143, v142
	s_delay_alu instid0(VALU_DEP_1) | instskip(NEXT) | instid1(VALU_DEP_1)
	v_div_fmas_f32 v139, v139, v140, v143
	v_div_fixup_f32 v140, v139, v138, 1.0
	s_delay_alu instid0(VALU_DEP_1)
	v_mul_f32_e64 v141, v141, -v140
.LBB55_115:
	s_or_b32 exec_lo, exec_lo, s1
	ds_store_b64 v171, v[140:141]
.LBB55_116:
	s_or_b32 exec_lo, exec_lo, s2
	s_wait_dscnt 0x0
	s_barrier_signal -1
	s_barrier_wait -1
	ds_load_b64 v[138:139], v171
	s_mov_b32 s1, exec_lo
	v_cmpx_lt_u32_e32 12, v170
	s_cbranch_execz .LBB55_118
; %bb.117:
	ds_load_2addr_b64 v[144:147], v172 offset0:13 offset1:14
	s_wait_dscnt 0x1
	v_pk_mul_f32 v[142:143], v[138:139], v[64:65] op_sel:[1,1] op_sel_hi:[0,1]
	s_delay_alu instid0(VALU_DEP_1) | instskip(SKIP_1) | instid1(VALU_DEP_1)
	v_pk_fma_f32 v[140:141], v[138:139], v[64:65], v[142:143] op_sel_hi:[1,0,1] neg_lo:[0,0,1] neg_hi:[0,0,1]
	v_pk_fma_f32 v[142:143], v[138:139], v[64:65], v[142:143] op_sel_hi:[1,0,1]
	v_dual_mov_b32 v64, v140 :: v_dual_mov_b32 v65, v143
	s_wait_dscnt 0x0
	s_delay_alu instid0(VALU_DEP_2) | instskip(NEXT) | instid1(VALU_DEP_1)
	v_pk_mul_f32 v[148:149], v[144:145], v[142:143] op_sel:[0,1]
	v_pk_fma_f32 v[150:151], v[144:145], v[140:141], v[148:149] op_sel:[0,0,1] op_sel_hi:[1,1,0] neg_lo:[0,0,1] neg_hi:[0,0,1]
	v_pk_fma_f32 v[144:145], v[144:145], v[140:141], v[148:149] op_sel:[0,0,1] op_sel_hi:[1,0,0]
	s_delay_alu instid0(VALU_DEP_1) | instskip(SKIP_1) | instid1(VALU_DEP_1)
	v_mov_b32_e32 v151, v145
	v_pk_mul_f32 v[144:145], v[146:147], v[142:143] op_sel:[0,1]
	v_pk_fma_f32 v[148:149], v[146:147], v[140:141], v[144:145] op_sel:[0,0,1] op_sel_hi:[1,1,0] neg_lo:[0,0,1] neg_hi:[0,0,1]
	v_pk_fma_f32 v[144:145], v[146:147], v[140:141], v[144:145] op_sel:[0,0,1] op_sel_hi:[1,0,0]
	s_delay_alu instid0(VALU_DEP_1)
	v_mov_b32_e32 v149, v145
	ds_load_2addr_b64 v[144:147], v172 offset0:15 offset1:16
	v_pk_add_f32 v[60:61], v[60:61], v[150:151] neg_lo:[0,1] neg_hi:[0,1]
	v_pk_add_f32 v[62:63], v[62:63], v[148:149] neg_lo:[0,1] neg_hi:[0,1]
	s_wait_dscnt 0x0
	v_pk_mul_f32 v[148:149], v[144:145], v[142:143] op_sel:[0,1]
	s_delay_alu instid0(VALU_DEP_1) | instskip(SKIP_2) | instid1(VALU_DEP_2)
	v_pk_fma_f32 v[150:151], v[144:145], v[140:141], v[148:149] op_sel:[0,0,1] op_sel_hi:[1,1,0] neg_lo:[0,0,1] neg_hi:[0,0,1]
	v_pk_fma_f32 v[144:145], v[144:145], v[140:141], v[148:149] op_sel:[0,0,1] op_sel_hi:[1,0,0]
	v_dual_mul_f32 v148, v147, v143 :: v_dual_mov_b32 v144, v147
	v_dual_mov_b32 v151, v145 :: v_dual_mov_b32 v145, v146
	s_delay_alu instid0(VALU_DEP_2) | instskip(SKIP_1) | instid1(VALU_DEP_3)
	v_pk_fma_f32 v[148:149], v[146:147], v[64:65], v[148:149] op_sel_hi:[1,1,0] neg_lo:[0,0,1] neg_hi:[0,0,1]
	v_mul_f32_e32 v146, v147, v140
	v_pk_add_f32 v[104:105], v[104:105], v[150:151] neg_lo:[0,1] neg_hi:[0,1]
	s_delay_alu instid0(VALU_DEP_2) | instskip(NEXT) | instid1(VALU_DEP_1)
	v_pk_fma_f32 v[144:145], v[144:145], v[64:65], v[146:147] op_sel_hi:[1,1,0]
	v_mov_b32_e32 v149, v145
	ds_load_2addr_b64 v[144:147], v172 offset0:17 offset1:18
	v_pk_add_f32 v[84:85], v[84:85], v[148:149] neg_lo:[0,1] neg_hi:[0,1]
	s_wait_dscnt 0x0
	v_pk_mul_f32 v[148:149], v[144:145], v[142:143] op_sel:[0,1]
	s_delay_alu instid0(VALU_DEP_1) | instskip(SKIP_1) | instid1(VALU_DEP_1)
	v_pk_fma_f32 v[150:151], v[144:145], v[140:141], v[148:149] op_sel:[0,0,1] op_sel_hi:[1,1,0] neg_lo:[0,0,1] neg_hi:[0,0,1]
	v_pk_fma_f32 v[144:145], v[144:145], v[140:141], v[148:149] op_sel:[0,0,1] op_sel_hi:[1,0,0]
	v_mov_b32_e32 v151, v145
	v_pk_mul_f32 v[144:145], v[146:147], v[142:143] op_sel:[0,1]
	s_delay_alu instid0(VALU_DEP_1) | instskip(SKIP_1) | instid1(VALU_DEP_1)
	v_pk_fma_f32 v[148:149], v[146:147], v[140:141], v[144:145] op_sel:[0,0,1] op_sel_hi:[1,1,0] neg_lo:[0,0,1] neg_hi:[0,0,1]
	v_pk_fma_f32 v[144:145], v[146:147], v[140:141], v[144:145] op_sel:[0,0,1] op_sel_hi:[1,0,0]
	v_mov_b32_e32 v149, v145
	ds_load_2addr_b64 v[144:147], v172 offset0:19 offset1:20
	v_pk_add_f32 v[80:81], v[80:81], v[150:151] neg_lo:[0,1] neg_hi:[0,1]
	v_pk_add_f32 v[82:83], v[82:83], v[148:149] neg_lo:[0,1] neg_hi:[0,1]
	s_wait_dscnt 0x0
	v_pk_mul_f32 v[148:149], v[144:145], v[142:143] op_sel:[0,1]
	s_delay_alu instid0(VALU_DEP_1) | instskip(SKIP_1) | instid1(VALU_DEP_1)
	v_pk_fma_f32 v[150:151], v[144:145], v[140:141], v[148:149] op_sel:[0,0,1] op_sel_hi:[1,1,0] neg_lo:[0,0,1] neg_hi:[0,0,1]
	v_pk_fma_f32 v[144:145], v[144:145], v[140:141], v[148:149] op_sel:[0,0,1] op_sel_hi:[1,0,0]
	v_mov_b32_e32 v151, v145
	v_pk_mul_f32 v[144:145], v[146:147], v[142:143] op_sel:[0,1]
	s_delay_alu instid0(VALU_DEP_1) | instskip(SKIP_1) | instid1(VALU_DEP_1)
	v_pk_fma_f32 v[148:149], v[146:147], v[140:141], v[144:145] op_sel:[0,0,1] op_sel_hi:[1,1,0] neg_lo:[0,0,1] neg_hi:[0,0,1]
	v_pk_fma_f32 v[144:145], v[146:147], v[140:141], v[144:145] op_sel:[0,0,1] op_sel_hi:[1,0,0]
	v_mov_b32_e32 v149, v145
	ds_load_2addr_b64 v[144:147], v172 offset0:21 offset1:22
	v_pk_add_f32 v[78:79], v[78:79], v[150:151] neg_lo:[0,1] neg_hi:[0,1]
	v_pk_add_f32 v[102:103], v[102:103], v[148:149] neg_lo:[0,1] neg_hi:[0,1]
	s_wait_dscnt 0x0
	v_dual_mul_f32 v148, v145, v143 :: v_dual_mul_f32 v150, v145, v140
	s_delay_alu instid0(VALU_DEP_1) | instskip(NEXT) | instid1(VALU_DEP_2)
	v_pk_fma_f32 v[148:149], v[144:145], v[64:65], v[148:149] op_sel_hi:[1,1,0] neg_lo:[0,0,1] neg_hi:[0,0,1]
	v_pk_fma_f32 v[144:145], v[144:145], v[64:65], v[150:151] op_sel:[1,0,0] op_sel_hi:[0,1,0]
	s_delay_alu instid0(VALU_DEP_1) | instskip(SKIP_1) | instid1(VALU_DEP_2)
	v_mov_b32_e32 v149, v145
	v_pk_mul_f32 v[144:145], v[146:147], v[142:143] op_sel:[0,1]
	v_pk_add_f32 v[98:99], v[98:99], v[148:149] neg_lo:[0,1] neg_hi:[0,1]
	s_delay_alu instid0(VALU_DEP_2) | instskip(SKIP_1) | instid1(VALU_DEP_1)
	v_pk_fma_f32 v[148:149], v[146:147], v[140:141], v[144:145] op_sel:[0,0,1] op_sel_hi:[1,1,0] neg_lo:[0,0,1] neg_hi:[0,0,1]
	v_pk_fma_f32 v[144:145], v[146:147], v[140:141], v[144:145] op_sel:[0,0,1] op_sel_hi:[1,0,0]
	v_mov_b32_e32 v149, v145
	ds_load_2addr_b64 v[144:147], v172 offset0:23 offset1:24
	v_pk_add_f32 v[100:101], v[100:101], v[148:149] neg_lo:[0,1] neg_hi:[0,1]
	s_wait_dscnt 0x0
	v_pk_mul_f32 v[148:149], v[144:145], v[142:143] op_sel:[0,1]
	s_delay_alu instid0(VALU_DEP_1) | instskip(SKIP_1) | instid1(VALU_DEP_1)
	v_pk_fma_f32 v[150:151], v[144:145], v[140:141], v[148:149] op_sel:[0,0,1] op_sel_hi:[1,1,0] neg_lo:[0,0,1] neg_hi:[0,0,1]
	v_pk_fma_f32 v[144:145], v[144:145], v[140:141], v[148:149] op_sel:[0,0,1] op_sel_hi:[1,0,0]
	v_mov_b32_e32 v151, v145
	v_pk_mul_f32 v[144:145], v[146:147], v[142:143] op_sel:[0,1]
	s_delay_alu instid0(VALU_DEP_2) | instskip(NEXT) | instid1(VALU_DEP_2)
	v_pk_add_f32 v[96:97], v[96:97], v[150:151] neg_lo:[0,1] neg_hi:[0,1]
	v_pk_fma_f32 v[148:149], v[146:147], v[140:141], v[144:145] op_sel:[0,0,1] op_sel_hi:[1,1,0] neg_lo:[0,0,1] neg_hi:[0,0,1]
	v_pk_fma_f32 v[144:145], v[146:147], v[140:141], v[144:145] op_sel:[0,0,1] op_sel_hi:[1,0,0]
	s_delay_alu instid0(VALU_DEP_1) | instskip(SKIP_4) | instid1(VALU_DEP_1)
	v_mov_b32_e32 v149, v145
	ds_load_2addr_b64 v[144:147], v172 offset0:25 offset1:26
	v_pk_add_f32 v[110:111], v[110:111], v[148:149] neg_lo:[0,1] neg_hi:[0,1]
	s_wait_dscnt 0x0
	v_pk_mul_f32 v[148:149], v[144:145], v[142:143] op_sel:[0,1]
	v_pk_fma_f32 v[150:151], v[144:145], v[140:141], v[148:149] op_sel:[0,0,1] op_sel_hi:[1,1,0] neg_lo:[0,0,1] neg_hi:[0,0,1]
	v_pk_fma_f32 v[144:145], v[144:145], v[140:141], v[148:149] op_sel:[0,0,1] op_sel_hi:[1,0,0]
	v_dual_mul_f32 v148, v147, v143 :: v_dual_mov_b32 v144, v147
	s_delay_alu instid0(VALU_DEP_2) | instskip(NEXT) | instid1(VALU_DEP_2)
	v_dual_mov_b32 v151, v145 :: v_dual_mov_b32 v145, v146
	v_pk_fma_f32 v[148:149], v[146:147], v[64:65], v[148:149] op_sel_hi:[1,1,0] neg_lo:[0,0,1] neg_hi:[0,0,1]
	v_mul_f32_e32 v146, v147, v140
	s_delay_alu instid0(VALU_DEP_3) | instskip(NEXT) | instid1(VALU_DEP_2)
	v_pk_add_f32 v[108:109], v[108:109], v[150:151] neg_lo:[0,1] neg_hi:[0,1]
	v_pk_fma_f32 v[144:145], v[144:145], v[64:65], v[146:147] op_sel_hi:[1,1,0]
	s_delay_alu instid0(VALU_DEP_1) | instskip(SKIP_4) | instid1(VALU_DEP_1)
	v_mov_b32_e32 v149, v145
	ds_load_b64 v[144:145], v172 offset:216
	v_pk_add_f32 v[106:107], v[106:107], v[148:149] neg_lo:[0,1] neg_hi:[0,1]
	s_wait_dscnt 0x0
	v_pk_mul_f32 v[142:143], v[144:145], v[142:143] op_sel:[0,1]
	v_pk_fma_f32 v[146:147], v[144:145], v[140:141], v[142:143] op_sel:[0,0,1] op_sel_hi:[1,1,0] neg_lo:[0,0,1] neg_hi:[0,0,1]
	v_pk_fma_f32 v[140:141], v[144:145], v[140:141], v[142:143] op_sel:[0,0,1] op_sel_hi:[1,0,0]
	s_delay_alu instid0(VALU_DEP_1) | instskip(NEXT) | instid1(VALU_DEP_1)
	v_mov_b32_e32 v147, v141
	v_pk_add_f32 v[112:113], v[112:113], v[146:147] neg_lo:[0,1] neg_hi:[0,1]
.LBB55_118:
	s_or_b32 exec_lo, exec_lo, s1
	s_delay_alu instid0(SALU_CYCLE_1)
	s_mov_b32 s2, exec_lo
	s_wait_dscnt 0x0
	s_barrier_signal -1
	s_barrier_wait -1
	v_cmpx_eq_u32_e32 13, v170
	s_cbranch_execz .LBB55_125
; %bb.119:
	v_dual_mov_b32 v140, v62 :: v_dual_mov_b32 v141, v63
	v_dual_mov_b32 v142, v104 :: v_dual_mov_b32 v143, v105
	ds_store_b64 v171, v[60:61]
	ds_store_2addr_b64 v172, v[140:141], v[142:143] offset0:14 offset1:15
	v_dual_mov_b32 v140, v84 :: v_dual_mov_b32 v141, v85
	v_dual_mov_b32 v142, v80 :: v_dual_mov_b32 v143, v81
	ds_store_2addr_b64 v172, v[140:141], v[142:143] offset0:16 offset1:17
	v_dual_mov_b32 v140, v82 :: v_dual_mov_b32 v141, v83
	v_dual_mov_b32 v142, v78 :: v_dual_mov_b32 v143, v79
	;; [unrolled: 3-line block ×5, first 2 shown]
	ds_store_2addr_b64 v172, v[140:141], v[142:143] offset0:24 offset1:25
	v_dual_mov_b32 v140, v106 :: v_dual_mov_b32 v141, v107
	ds_store_2addr_b64 v172, v[140:141], v[112:113] offset0:26 offset1:27
	ds_load_b64 v[140:141], v171
	s_wait_dscnt 0x0
	v_cmp_neq_f32_e32 vcc_lo, 0, v140
	v_cmp_neq_f32_e64 s1, 0, v141
	s_or_b32 s1, vcc_lo, s1
	s_delay_alu instid0(SALU_CYCLE_1)
	s_and_b32 exec_lo, exec_lo, s1
	s_cbranch_execz .LBB55_125
; %bb.120:
	v_cmp_ngt_f32_e64 s1, |v140|, |v141|
                                        ; implicit-def: $vgpr142_vgpr143
	s_and_saveexec_b32 s4, s1
	s_delay_alu instid0(SALU_CYCLE_1)
	s_xor_b32 s1, exec_lo, s4
	s_cbranch_execz .LBB55_122
; %bb.121:
	v_div_scale_f32 v142, null, v141, v141, v140
	v_div_scale_f32 v145, vcc_lo, v140, v141, v140
	s_delay_alu instid0(VALU_DEP_2) | instskip(SKIP_1) | instid1(TRANS32_DEP_1)
	v_rcp_f32_e32 v143, v142
	v_nop
	v_fma_f32 v144, -v142, v143, 1.0
	s_delay_alu instid0(VALU_DEP_1) | instskip(NEXT) | instid1(VALU_DEP_1)
	v_fmac_f32_e32 v143, v144, v143
	v_mul_f32_e32 v144, v145, v143
	s_delay_alu instid0(VALU_DEP_1) | instskip(NEXT) | instid1(VALU_DEP_1)
	v_fma_f32 v146, -v142, v144, v145
	v_fmac_f32_e32 v144, v146, v143
	s_delay_alu instid0(VALU_DEP_1) | instskip(NEXT) | instid1(VALU_DEP_1)
	v_fma_f32 v142, -v142, v144, v145
	v_div_fmas_f32 v142, v142, v143, v144
	s_delay_alu instid0(VALU_DEP_1) | instskip(NEXT) | instid1(VALU_DEP_1)
	v_div_fixup_f32 v142, v142, v141, v140
	v_fmac_f32_e32 v141, v140, v142
	s_delay_alu instid0(VALU_DEP_1) | instskip(SKIP_1) | instid1(VALU_DEP_2)
	v_div_scale_f32 v140, null, v141, v141, 1.0
	v_div_scale_f32 v145, vcc_lo, 1.0, v141, 1.0
	v_rcp_f32_e32 v143, v140
	v_nop
	s_delay_alu instid0(TRANS32_DEP_1) | instskip(NEXT) | instid1(VALU_DEP_1)
	v_fma_f32 v144, -v140, v143, 1.0
	v_fmac_f32_e32 v143, v144, v143
	s_delay_alu instid0(VALU_DEP_1) | instskip(NEXT) | instid1(VALU_DEP_1)
	v_mul_f32_e32 v144, v145, v143
	v_fma_f32 v146, -v140, v144, v145
	s_delay_alu instid0(VALU_DEP_1) | instskip(NEXT) | instid1(VALU_DEP_1)
	v_fmac_f32_e32 v144, v146, v143
	v_fma_f32 v140, -v140, v144, v145
	s_delay_alu instid0(VALU_DEP_1) | instskip(NEXT) | instid1(VALU_DEP_1)
	v_div_fmas_f32 v140, v140, v143, v144
	v_div_fixup_f32 v140, v140, v141, 1.0
	s_delay_alu instid0(VALU_DEP_1)
	v_mul_f32_e32 v142, v142, v140
	v_xor_b32_e32 v143, 0x80000000, v140
                                        ; implicit-def: $vgpr140_vgpr141
.LBB55_122:
	s_and_not1_saveexec_b32 s1, s1
	s_cbranch_execz .LBB55_124
; %bb.123:
	v_div_scale_f32 v142, null, v140, v140, v141
	v_div_scale_f32 v145, vcc_lo, v141, v140, v141
	s_delay_alu instid0(VALU_DEP_2) | instskip(SKIP_1) | instid1(TRANS32_DEP_1)
	v_rcp_f32_e32 v143, v142
	v_nop
	v_fma_f32 v144, -v142, v143, 1.0
	s_delay_alu instid0(VALU_DEP_1) | instskip(NEXT) | instid1(VALU_DEP_1)
	v_fmac_f32_e32 v143, v144, v143
	v_mul_f32_e32 v144, v145, v143
	s_delay_alu instid0(VALU_DEP_1) | instskip(NEXT) | instid1(VALU_DEP_1)
	v_fma_f32 v146, -v142, v144, v145
	v_fmac_f32_e32 v144, v146, v143
	s_delay_alu instid0(VALU_DEP_1) | instskip(NEXT) | instid1(VALU_DEP_1)
	v_fma_f32 v142, -v142, v144, v145
	v_div_fmas_f32 v142, v142, v143, v144
	s_delay_alu instid0(VALU_DEP_1) | instskip(NEXT) | instid1(VALU_DEP_1)
	v_div_fixup_f32 v143, v142, v140, v141
	v_fmac_f32_e32 v140, v141, v143
	s_delay_alu instid0(VALU_DEP_1) | instskip(NEXT) | instid1(VALU_DEP_1)
	v_div_scale_f32 v141, null, v140, v140, 1.0
	v_rcp_f32_e32 v142, v141
	v_nop
	s_delay_alu instid0(TRANS32_DEP_1) | instskip(NEXT) | instid1(VALU_DEP_1)
	v_fma_f32 v144, -v141, v142, 1.0
	v_fmac_f32_e32 v142, v144, v142
	v_div_scale_f32 v144, vcc_lo, 1.0, v140, 1.0
	s_delay_alu instid0(VALU_DEP_1) | instskip(NEXT) | instid1(VALU_DEP_1)
	v_mul_f32_e32 v145, v144, v142
	v_fma_f32 v146, -v141, v145, v144
	s_delay_alu instid0(VALU_DEP_1) | instskip(NEXT) | instid1(VALU_DEP_1)
	v_fmac_f32_e32 v145, v146, v142
	v_fma_f32 v141, -v141, v145, v144
	s_delay_alu instid0(VALU_DEP_1) | instskip(NEXT) | instid1(VALU_DEP_1)
	v_div_fmas_f32 v141, v141, v142, v145
	v_div_fixup_f32 v142, v141, v140, 1.0
	s_delay_alu instid0(VALU_DEP_1)
	v_mul_f32_e64 v143, v143, -v142
.LBB55_124:
	s_or_b32 exec_lo, exec_lo, s1
	ds_store_b64 v171, v[142:143]
.LBB55_125:
	s_or_b32 exec_lo, exec_lo, s2
	s_wait_dscnt 0x0
	s_barrier_signal -1
	s_barrier_wait -1
	ds_load_b64 v[140:141], v171
	s_mov_b32 s1, exec_lo
	v_cmpx_lt_u32_e32 13, v170
	s_cbranch_execz .LBB55_127
; %bb.126:
	s_wait_dscnt 0x0
	v_pk_mul_f32 v[142:143], v[140:141], v[60:61] op_sel:[1,1] op_sel_hi:[0,1]
	s_delay_alu instid0(VALU_DEP_1)
	v_pk_fma_f32 v[146:147], v[140:141], v[60:61], v[142:143] op_sel_hi:[1,0,1] neg_lo:[0,0,1] neg_hi:[0,0,1]
	v_pk_fma_f32 v[148:149], v[140:141], v[60:61], v[142:143] op_sel_hi:[1,0,1]
	ds_load_2addr_b64 v[142:145], v172 offset0:14 offset1:15
	v_dual_mov_b32 v60, v146 :: v_dual_mov_b32 v61, v149
	s_wait_dscnt 0x0
	v_pk_mul_f32 v[150:151], v[142:143], v[148:149] op_sel:[0,1]
	s_delay_alu instid0(VALU_DEP_1) | instskip(SKIP_1) | instid1(VALU_DEP_1)
	v_pk_fma_f32 v[152:153], v[142:143], v[146:147], v[150:151] op_sel:[0,0,1] op_sel_hi:[1,1,0] neg_lo:[0,0,1] neg_hi:[0,0,1]
	v_pk_fma_f32 v[142:143], v[142:143], v[146:147], v[150:151] op_sel:[0,0,1] op_sel_hi:[1,0,0]
	v_mov_b32_e32 v153, v143
	v_pk_mul_f32 v[142:143], v[144:145], v[148:149] op_sel:[0,1]
	s_delay_alu instid0(VALU_DEP_1) | instskip(SKIP_1) | instid1(VALU_DEP_1)
	v_pk_fma_f32 v[150:151], v[144:145], v[146:147], v[142:143] op_sel:[0,0,1] op_sel_hi:[1,1,0] neg_lo:[0,0,1] neg_hi:[0,0,1]
	v_pk_fma_f32 v[142:143], v[144:145], v[146:147], v[142:143] op_sel:[0,0,1] op_sel_hi:[1,0,0]
	v_mov_b32_e32 v151, v143
	ds_load_2addr_b64 v[142:145], v172 offset0:16 offset1:17
	v_pk_add_f32 v[62:63], v[62:63], v[152:153] neg_lo:[0,1] neg_hi:[0,1]
	v_pk_add_f32 v[104:105], v[104:105], v[150:151] neg_lo:[0,1] neg_hi:[0,1]
	s_wait_dscnt 0x0
	v_pk_mul_f32 v[150:151], v[142:143], v[148:149] op_sel:[0,1]
	s_delay_alu instid0(VALU_DEP_1) | instskip(SKIP_2) | instid1(VALU_DEP_2)
	v_pk_fma_f32 v[152:153], v[142:143], v[146:147], v[150:151] op_sel:[0,0,1] op_sel_hi:[1,1,0] neg_lo:[0,0,1] neg_hi:[0,0,1]
	v_pk_fma_f32 v[142:143], v[142:143], v[146:147], v[150:151] op_sel:[0,0,1] op_sel_hi:[1,0,0]
	v_dual_mul_f32 v150, v145, v149 :: v_dual_mov_b32 v142, v145
	v_dual_mov_b32 v153, v143 :: v_dual_mov_b32 v143, v144
	s_delay_alu instid0(VALU_DEP_2) | instskip(SKIP_1) | instid1(VALU_DEP_3)
	v_pk_fma_f32 v[150:151], v[144:145], v[60:61], v[150:151] op_sel_hi:[1,1,0] neg_lo:[0,0,1] neg_hi:[0,0,1]
	v_mul_f32_e32 v144, v145, v146
	v_pk_add_f32 v[84:85], v[84:85], v[152:153] neg_lo:[0,1] neg_hi:[0,1]
	s_delay_alu instid0(VALU_DEP_2) | instskip(NEXT) | instid1(VALU_DEP_1)
	v_pk_fma_f32 v[142:143], v[142:143], v[60:61], v[144:145] op_sel_hi:[1,1,0]
	v_mov_b32_e32 v151, v143
	ds_load_2addr_b64 v[142:145], v172 offset0:18 offset1:19
	v_pk_add_f32 v[80:81], v[80:81], v[150:151] neg_lo:[0,1] neg_hi:[0,1]
	s_wait_dscnt 0x0
	v_pk_mul_f32 v[150:151], v[142:143], v[148:149] op_sel:[0,1]
	s_delay_alu instid0(VALU_DEP_1) | instskip(SKIP_1) | instid1(VALU_DEP_1)
	v_pk_fma_f32 v[152:153], v[142:143], v[146:147], v[150:151] op_sel:[0,0,1] op_sel_hi:[1,1,0] neg_lo:[0,0,1] neg_hi:[0,0,1]
	v_pk_fma_f32 v[142:143], v[142:143], v[146:147], v[150:151] op_sel:[0,0,1] op_sel_hi:[1,0,0]
	v_mov_b32_e32 v153, v143
	v_pk_mul_f32 v[142:143], v[144:145], v[148:149] op_sel:[0,1]
	s_delay_alu instid0(VALU_DEP_1) | instskip(SKIP_1) | instid1(VALU_DEP_1)
	v_pk_fma_f32 v[150:151], v[144:145], v[146:147], v[142:143] op_sel:[0,0,1] op_sel_hi:[1,1,0] neg_lo:[0,0,1] neg_hi:[0,0,1]
	v_pk_fma_f32 v[142:143], v[144:145], v[146:147], v[142:143] op_sel:[0,0,1] op_sel_hi:[1,0,0]
	v_mov_b32_e32 v151, v143
	ds_load_2addr_b64 v[142:145], v172 offset0:20 offset1:21
	v_pk_add_f32 v[82:83], v[82:83], v[152:153] neg_lo:[0,1] neg_hi:[0,1]
	v_pk_add_f32 v[78:79], v[78:79], v[150:151] neg_lo:[0,1] neg_hi:[0,1]
	s_wait_dscnt 0x0
	v_pk_mul_f32 v[150:151], v[142:143], v[148:149] op_sel:[0,1]
	s_delay_alu instid0(VALU_DEP_1) | instskip(SKIP_1) | instid1(VALU_DEP_1)
	v_pk_fma_f32 v[152:153], v[142:143], v[146:147], v[150:151] op_sel:[0,0,1] op_sel_hi:[1,1,0] neg_lo:[0,0,1] neg_hi:[0,0,1]
	v_pk_fma_f32 v[142:143], v[142:143], v[146:147], v[150:151] op_sel:[0,0,1] op_sel_hi:[1,0,0]
	v_mov_b32_e32 v153, v143
	v_pk_mul_f32 v[142:143], v[144:145], v[148:149] op_sel:[0,1]
	s_delay_alu instid0(VALU_DEP_1) | instskip(SKIP_1) | instid1(VALU_DEP_1)
	v_pk_fma_f32 v[150:151], v[144:145], v[146:147], v[142:143] op_sel:[0,0,1] op_sel_hi:[1,1,0] neg_lo:[0,0,1] neg_hi:[0,0,1]
	v_pk_fma_f32 v[142:143], v[144:145], v[146:147], v[142:143] op_sel:[0,0,1] op_sel_hi:[1,0,0]
	v_mov_b32_e32 v151, v143
	ds_load_2addr_b64 v[142:145], v172 offset0:22 offset1:23
	v_pk_add_f32 v[102:103], v[102:103], v[152:153] neg_lo:[0,1] neg_hi:[0,1]
	v_pk_add_f32 v[98:99], v[98:99], v[150:151] neg_lo:[0,1] neg_hi:[0,1]
	s_wait_dscnt 0x0
	v_dual_mul_f32 v150, v143, v149 :: v_dual_mul_f32 v152, v143, v146
	s_delay_alu instid0(VALU_DEP_1) | instskip(NEXT) | instid1(VALU_DEP_2)
	v_pk_fma_f32 v[150:151], v[142:143], v[60:61], v[150:151] op_sel_hi:[1,1,0] neg_lo:[0,0,1] neg_hi:[0,0,1]
	v_pk_fma_f32 v[142:143], v[142:143], v[60:61], v[152:153] op_sel:[1,0,0] op_sel_hi:[0,1,0]
	s_delay_alu instid0(VALU_DEP_1) | instskip(SKIP_1) | instid1(VALU_DEP_2)
	v_mov_b32_e32 v151, v143
	v_pk_mul_f32 v[142:143], v[144:145], v[148:149] op_sel:[0,1]
	v_pk_add_f32 v[100:101], v[100:101], v[150:151] neg_lo:[0,1] neg_hi:[0,1]
	s_delay_alu instid0(VALU_DEP_2) | instskip(SKIP_1) | instid1(VALU_DEP_1)
	v_pk_fma_f32 v[150:151], v[144:145], v[146:147], v[142:143] op_sel:[0,0,1] op_sel_hi:[1,1,0] neg_lo:[0,0,1] neg_hi:[0,0,1]
	v_pk_fma_f32 v[142:143], v[144:145], v[146:147], v[142:143] op_sel:[0,0,1] op_sel_hi:[1,0,0]
	v_mov_b32_e32 v151, v143
	ds_load_2addr_b64 v[142:145], v172 offset0:24 offset1:25
	v_pk_add_f32 v[96:97], v[96:97], v[150:151] neg_lo:[0,1] neg_hi:[0,1]
	s_wait_dscnt 0x0
	v_pk_mul_f32 v[150:151], v[142:143], v[148:149] op_sel:[0,1]
	s_delay_alu instid0(VALU_DEP_1) | instskip(SKIP_1) | instid1(VALU_DEP_1)
	v_pk_fma_f32 v[152:153], v[142:143], v[146:147], v[150:151] op_sel:[0,0,1] op_sel_hi:[1,1,0] neg_lo:[0,0,1] neg_hi:[0,0,1]
	v_pk_fma_f32 v[142:143], v[142:143], v[146:147], v[150:151] op_sel:[0,0,1] op_sel_hi:[1,0,0]
	v_mov_b32_e32 v153, v143
	v_pk_mul_f32 v[142:143], v[144:145], v[148:149] op_sel:[0,1]
	s_delay_alu instid0(VALU_DEP_2) | instskip(NEXT) | instid1(VALU_DEP_2)
	v_pk_add_f32 v[110:111], v[110:111], v[152:153] neg_lo:[0,1] neg_hi:[0,1]
	v_pk_fma_f32 v[150:151], v[144:145], v[146:147], v[142:143] op_sel:[0,0,1] op_sel_hi:[1,1,0] neg_lo:[0,0,1] neg_hi:[0,0,1]
	v_pk_fma_f32 v[142:143], v[144:145], v[146:147], v[142:143] op_sel:[0,0,1] op_sel_hi:[1,0,0]
	s_delay_alu instid0(VALU_DEP_1) | instskip(SKIP_4) | instid1(VALU_DEP_1)
	v_mov_b32_e32 v151, v143
	ds_load_2addr_b64 v[142:145], v172 offset0:26 offset1:27
	v_pk_add_f32 v[108:109], v[108:109], v[150:151] neg_lo:[0,1] neg_hi:[0,1]
	s_wait_dscnt 0x0
	v_pk_mul_f32 v[150:151], v[142:143], v[148:149] op_sel:[0,1]
	v_pk_fma_f32 v[152:153], v[142:143], v[146:147], v[150:151] op_sel:[0,0,1] op_sel_hi:[1,1,0] neg_lo:[0,0,1] neg_hi:[0,0,1]
	v_pk_fma_f32 v[142:143], v[142:143], v[146:147], v[150:151] op_sel:[0,0,1] op_sel_hi:[1,0,0]
	s_delay_alu instid0(VALU_DEP_1) | instskip(SKIP_1) | instid1(VALU_DEP_2)
	v_mov_b32_e32 v153, v143
	v_pk_mul_f32 v[142:143], v[144:145], v[148:149] op_sel:[0,1]
	v_pk_add_f32 v[106:107], v[106:107], v[152:153] neg_lo:[0,1] neg_hi:[0,1]
	s_delay_alu instid0(VALU_DEP_2) | instskip(SKIP_1) | instid1(VALU_DEP_1)
	v_pk_fma_f32 v[148:149], v[144:145], v[146:147], v[142:143] op_sel:[0,0,1] op_sel_hi:[1,1,0] neg_lo:[0,0,1] neg_hi:[0,0,1]
	v_pk_fma_f32 v[142:143], v[144:145], v[146:147], v[142:143] op_sel:[0,0,1] op_sel_hi:[1,0,0]
	v_mov_b32_e32 v149, v143
	s_delay_alu instid0(VALU_DEP_1)
	v_pk_add_f32 v[112:113], v[112:113], v[148:149] neg_lo:[0,1] neg_hi:[0,1]
.LBB55_127:
	s_or_b32 exec_lo, exec_lo, s1
	s_delay_alu instid0(SALU_CYCLE_1)
	s_mov_b32 s2, exec_lo
	s_wait_dscnt 0x0
	s_barrier_signal -1
	s_barrier_wait -1
	v_cmpx_eq_u32_e32 14, v170
	s_cbranch_execz .LBB55_134
; %bb.128:
	ds_store_b64 v171, v[62:63]
	ds_store_2addr_b64 v172, v[104:105], v[84:85] offset0:15 offset1:16
	ds_store_2addr_b64 v172, v[80:81], v[82:83] offset0:17 offset1:18
	;; [unrolled: 1-line block ×6, first 2 shown]
	ds_store_b64 v172, v[112:113] offset:216
	ds_load_b64 v[142:143], v171
	s_wait_dscnt 0x0
	v_cmp_neq_f32_e32 vcc_lo, 0, v142
	v_cmp_neq_f32_e64 s1, 0, v143
	s_or_b32 s1, vcc_lo, s1
	s_delay_alu instid0(SALU_CYCLE_1)
	s_and_b32 exec_lo, exec_lo, s1
	s_cbranch_execz .LBB55_134
; %bb.129:
	v_cmp_ngt_f32_e64 s1, |v142|, |v143|
                                        ; implicit-def: $vgpr144_vgpr145
	s_and_saveexec_b32 s4, s1
	s_delay_alu instid0(SALU_CYCLE_1)
	s_xor_b32 s1, exec_lo, s4
	s_cbranch_execz .LBB55_131
; %bb.130:
	v_div_scale_f32 v144, null, v143, v143, v142
	v_div_scale_f32 v147, vcc_lo, v142, v143, v142
	s_delay_alu instid0(VALU_DEP_2) | instskip(SKIP_1) | instid1(TRANS32_DEP_1)
	v_rcp_f32_e32 v145, v144
	v_nop
	v_fma_f32 v146, -v144, v145, 1.0
	s_delay_alu instid0(VALU_DEP_1) | instskip(NEXT) | instid1(VALU_DEP_1)
	v_fmac_f32_e32 v145, v146, v145
	v_mul_f32_e32 v146, v147, v145
	s_delay_alu instid0(VALU_DEP_1) | instskip(NEXT) | instid1(VALU_DEP_1)
	v_fma_f32 v148, -v144, v146, v147
	v_fmac_f32_e32 v146, v148, v145
	s_delay_alu instid0(VALU_DEP_1) | instskip(NEXT) | instid1(VALU_DEP_1)
	v_fma_f32 v144, -v144, v146, v147
	v_div_fmas_f32 v144, v144, v145, v146
	s_delay_alu instid0(VALU_DEP_1) | instskip(NEXT) | instid1(VALU_DEP_1)
	v_div_fixup_f32 v144, v144, v143, v142
	v_fmac_f32_e32 v143, v142, v144
	s_delay_alu instid0(VALU_DEP_1) | instskip(SKIP_1) | instid1(VALU_DEP_2)
	v_div_scale_f32 v142, null, v143, v143, 1.0
	v_div_scale_f32 v147, vcc_lo, 1.0, v143, 1.0
	v_rcp_f32_e32 v145, v142
	v_nop
	s_delay_alu instid0(TRANS32_DEP_1) | instskip(NEXT) | instid1(VALU_DEP_1)
	v_fma_f32 v146, -v142, v145, 1.0
	v_fmac_f32_e32 v145, v146, v145
	s_delay_alu instid0(VALU_DEP_1) | instskip(NEXT) | instid1(VALU_DEP_1)
	v_mul_f32_e32 v146, v147, v145
	v_fma_f32 v148, -v142, v146, v147
	s_delay_alu instid0(VALU_DEP_1) | instskip(NEXT) | instid1(VALU_DEP_1)
	v_fmac_f32_e32 v146, v148, v145
	v_fma_f32 v142, -v142, v146, v147
	s_delay_alu instid0(VALU_DEP_1) | instskip(NEXT) | instid1(VALU_DEP_1)
	v_div_fmas_f32 v142, v142, v145, v146
	v_div_fixup_f32 v142, v142, v143, 1.0
	s_delay_alu instid0(VALU_DEP_1)
	v_mul_f32_e32 v144, v144, v142
	v_xor_b32_e32 v145, 0x80000000, v142
                                        ; implicit-def: $vgpr142_vgpr143
.LBB55_131:
	s_and_not1_saveexec_b32 s1, s1
	s_cbranch_execz .LBB55_133
; %bb.132:
	v_div_scale_f32 v144, null, v142, v142, v143
	v_div_scale_f32 v147, vcc_lo, v143, v142, v143
	s_delay_alu instid0(VALU_DEP_2) | instskip(SKIP_1) | instid1(TRANS32_DEP_1)
	v_rcp_f32_e32 v145, v144
	v_nop
	v_fma_f32 v146, -v144, v145, 1.0
	s_delay_alu instid0(VALU_DEP_1) | instskip(NEXT) | instid1(VALU_DEP_1)
	v_fmac_f32_e32 v145, v146, v145
	v_mul_f32_e32 v146, v147, v145
	s_delay_alu instid0(VALU_DEP_1) | instskip(NEXT) | instid1(VALU_DEP_1)
	v_fma_f32 v148, -v144, v146, v147
	v_fmac_f32_e32 v146, v148, v145
	s_delay_alu instid0(VALU_DEP_1) | instskip(NEXT) | instid1(VALU_DEP_1)
	v_fma_f32 v144, -v144, v146, v147
	v_div_fmas_f32 v144, v144, v145, v146
	s_delay_alu instid0(VALU_DEP_1) | instskip(NEXT) | instid1(VALU_DEP_1)
	v_div_fixup_f32 v145, v144, v142, v143
	v_fmac_f32_e32 v142, v143, v145
	s_delay_alu instid0(VALU_DEP_1) | instskip(NEXT) | instid1(VALU_DEP_1)
	v_div_scale_f32 v143, null, v142, v142, 1.0
	v_rcp_f32_e32 v144, v143
	v_nop
	s_delay_alu instid0(TRANS32_DEP_1) | instskip(NEXT) | instid1(VALU_DEP_1)
	v_fma_f32 v146, -v143, v144, 1.0
	v_fmac_f32_e32 v144, v146, v144
	v_div_scale_f32 v146, vcc_lo, 1.0, v142, 1.0
	s_delay_alu instid0(VALU_DEP_1) | instskip(NEXT) | instid1(VALU_DEP_1)
	v_mul_f32_e32 v147, v146, v144
	v_fma_f32 v148, -v143, v147, v146
	s_delay_alu instid0(VALU_DEP_1) | instskip(NEXT) | instid1(VALU_DEP_1)
	v_fmac_f32_e32 v147, v148, v144
	v_fma_f32 v143, -v143, v147, v146
	s_delay_alu instid0(VALU_DEP_1) | instskip(NEXT) | instid1(VALU_DEP_1)
	v_div_fmas_f32 v143, v143, v144, v147
	v_div_fixup_f32 v144, v143, v142, 1.0
	s_delay_alu instid0(VALU_DEP_1)
	v_mul_f32_e64 v145, v145, -v144
.LBB55_133:
	s_or_b32 exec_lo, exec_lo, s1
	ds_store_b64 v171, v[144:145]
.LBB55_134:
	s_or_b32 exec_lo, exec_lo, s2
	s_wait_dscnt 0x0
	s_barrier_signal -1
	s_barrier_wait -1
	ds_load_b64 v[142:143], v171
	s_mov_b32 s1, exec_lo
	v_cmpx_lt_u32_e32 14, v170
	s_cbranch_execz .LBB55_136
; %bb.135:
	s_wait_dscnt 0x0
	v_pk_mul_f32 v[144:145], v[142:143], v[62:63] op_sel:[1,1] op_sel_hi:[0,1]
	s_delay_alu instid0(VALU_DEP_1)
	v_pk_fma_f32 v[148:149], v[142:143], v[62:63], v[144:145] op_sel_hi:[1,0,1] neg_lo:[0,0,1] neg_hi:[0,0,1]
	v_pk_fma_f32 v[150:151], v[142:143], v[62:63], v[144:145] op_sel_hi:[1,0,1]
	ds_load_2addr_b64 v[144:147], v172 offset0:15 offset1:16
	v_dual_mov_b32 v62, v148 :: v_dual_mov_b32 v63, v151
	s_wait_dscnt 0x0
	v_pk_mul_f32 v[152:153], v[144:145], v[150:151] op_sel:[0,1]
	s_delay_alu instid0(VALU_DEP_1) | instskip(SKIP_1) | instid1(VALU_DEP_1)
	v_pk_fma_f32 v[154:155], v[144:145], v[148:149], v[152:153] op_sel:[0,0,1] op_sel_hi:[1,1,0] neg_lo:[0,0,1] neg_hi:[0,0,1]
	v_pk_fma_f32 v[144:145], v[144:145], v[148:149], v[152:153] op_sel:[0,0,1] op_sel_hi:[1,0,0]
	v_mov_b32_e32 v155, v145
	v_pk_mul_f32 v[144:145], v[146:147], v[150:151] op_sel:[0,1]
	s_delay_alu instid0(VALU_DEP_1) | instskip(SKIP_1) | instid1(VALU_DEP_1)
	v_pk_fma_f32 v[152:153], v[146:147], v[148:149], v[144:145] op_sel:[0,0,1] op_sel_hi:[1,1,0] neg_lo:[0,0,1] neg_hi:[0,0,1]
	v_pk_fma_f32 v[144:145], v[146:147], v[148:149], v[144:145] op_sel:[0,0,1] op_sel_hi:[1,0,0]
	v_mov_b32_e32 v153, v145
	ds_load_2addr_b64 v[144:147], v172 offset0:17 offset1:18
	v_pk_add_f32 v[104:105], v[104:105], v[154:155] neg_lo:[0,1] neg_hi:[0,1]
	v_pk_add_f32 v[84:85], v[84:85], v[152:153] neg_lo:[0,1] neg_hi:[0,1]
	s_wait_dscnt 0x0
	v_pk_mul_f32 v[152:153], v[144:145], v[150:151] op_sel:[0,1]
	s_delay_alu instid0(VALU_DEP_1) | instskip(SKIP_2) | instid1(VALU_DEP_2)
	v_pk_fma_f32 v[154:155], v[144:145], v[148:149], v[152:153] op_sel:[0,0,1] op_sel_hi:[1,1,0] neg_lo:[0,0,1] neg_hi:[0,0,1]
	v_pk_fma_f32 v[144:145], v[144:145], v[148:149], v[152:153] op_sel:[0,0,1] op_sel_hi:[1,0,0]
	v_dual_mul_f32 v152, v147, v151 :: v_dual_mov_b32 v144, v147
	v_dual_mov_b32 v155, v145 :: v_dual_mov_b32 v145, v146
	s_delay_alu instid0(VALU_DEP_2) | instskip(SKIP_1) | instid1(VALU_DEP_3)
	v_pk_fma_f32 v[152:153], v[146:147], v[62:63], v[152:153] op_sel_hi:[1,1,0] neg_lo:[0,0,1] neg_hi:[0,0,1]
	v_mul_f32_e32 v146, v147, v148
	v_pk_add_f32 v[80:81], v[80:81], v[154:155] neg_lo:[0,1] neg_hi:[0,1]
	s_delay_alu instid0(VALU_DEP_2) | instskip(NEXT) | instid1(VALU_DEP_1)
	v_pk_fma_f32 v[144:145], v[144:145], v[62:63], v[146:147] op_sel_hi:[1,1,0]
	v_mov_b32_e32 v153, v145
	ds_load_2addr_b64 v[144:147], v172 offset0:19 offset1:20
	v_pk_add_f32 v[82:83], v[82:83], v[152:153] neg_lo:[0,1] neg_hi:[0,1]
	s_wait_dscnt 0x0
	v_pk_mul_f32 v[152:153], v[144:145], v[150:151] op_sel:[0,1]
	s_delay_alu instid0(VALU_DEP_1) | instskip(SKIP_1) | instid1(VALU_DEP_1)
	v_pk_fma_f32 v[154:155], v[144:145], v[148:149], v[152:153] op_sel:[0,0,1] op_sel_hi:[1,1,0] neg_lo:[0,0,1] neg_hi:[0,0,1]
	v_pk_fma_f32 v[144:145], v[144:145], v[148:149], v[152:153] op_sel:[0,0,1] op_sel_hi:[1,0,0]
	v_mov_b32_e32 v155, v145
	v_pk_mul_f32 v[144:145], v[146:147], v[150:151] op_sel:[0,1]
	s_delay_alu instid0(VALU_DEP_1) | instskip(SKIP_1) | instid1(VALU_DEP_1)
	v_pk_fma_f32 v[152:153], v[146:147], v[148:149], v[144:145] op_sel:[0,0,1] op_sel_hi:[1,1,0] neg_lo:[0,0,1] neg_hi:[0,0,1]
	v_pk_fma_f32 v[144:145], v[146:147], v[148:149], v[144:145] op_sel:[0,0,1] op_sel_hi:[1,0,0]
	v_mov_b32_e32 v153, v145
	ds_load_2addr_b64 v[144:147], v172 offset0:21 offset1:22
	v_pk_add_f32 v[78:79], v[78:79], v[154:155] neg_lo:[0,1] neg_hi:[0,1]
	v_pk_add_f32 v[102:103], v[102:103], v[152:153] neg_lo:[0,1] neg_hi:[0,1]
	s_wait_dscnt 0x0
	v_pk_mul_f32 v[152:153], v[144:145], v[150:151] op_sel:[0,1]
	s_delay_alu instid0(VALU_DEP_1) | instskip(SKIP_1) | instid1(VALU_DEP_1)
	v_pk_fma_f32 v[154:155], v[144:145], v[148:149], v[152:153] op_sel:[0,0,1] op_sel_hi:[1,1,0] neg_lo:[0,0,1] neg_hi:[0,0,1]
	v_pk_fma_f32 v[144:145], v[144:145], v[148:149], v[152:153] op_sel:[0,0,1] op_sel_hi:[1,0,0]
	v_mov_b32_e32 v155, v145
	v_pk_mul_f32 v[144:145], v[146:147], v[150:151] op_sel:[0,1]
	s_delay_alu instid0(VALU_DEP_1) | instskip(SKIP_1) | instid1(VALU_DEP_1)
	v_pk_fma_f32 v[152:153], v[146:147], v[148:149], v[144:145] op_sel:[0,0,1] op_sel_hi:[1,1,0] neg_lo:[0,0,1] neg_hi:[0,0,1]
	v_pk_fma_f32 v[144:145], v[146:147], v[148:149], v[144:145] op_sel:[0,0,1] op_sel_hi:[1,0,0]
	v_mov_b32_e32 v153, v145
	ds_load_2addr_b64 v[144:147], v172 offset0:23 offset1:24
	v_pk_add_f32 v[98:99], v[98:99], v[154:155] neg_lo:[0,1] neg_hi:[0,1]
	v_pk_add_f32 v[100:101], v[100:101], v[152:153] neg_lo:[0,1] neg_hi:[0,1]
	s_wait_dscnt 0x0
	v_dual_mul_f32 v152, v145, v151 :: v_dual_mul_f32 v154, v145, v148
	s_delay_alu instid0(VALU_DEP_1) | instskip(NEXT) | instid1(VALU_DEP_2)
	v_pk_fma_f32 v[152:153], v[144:145], v[62:63], v[152:153] op_sel_hi:[1,1,0] neg_lo:[0,0,1] neg_hi:[0,0,1]
	v_pk_fma_f32 v[144:145], v[144:145], v[62:63], v[154:155] op_sel:[1,0,0] op_sel_hi:[0,1,0]
	s_delay_alu instid0(VALU_DEP_1) | instskip(SKIP_1) | instid1(VALU_DEP_2)
	v_mov_b32_e32 v153, v145
	v_pk_mul_f32 v[144:145], v[146:147], v[150:151] op_sel:[0,1]
	v_pk_add_f32 v[96:97], v[96:97], v[152:153] neg_lo:[0,1] neg_hi:[0,1]
	s_delay_alu instid0(VALU_DEP_2) | instskip(SKIP_1) | instid1(VALU_DEP_1)
	v_pk_fma_f32 v[152:153], v[146:147], v[148:149], v[144:145] op_sel:[0,0,1] op_sel_hi:[1,1,0] neg_lo:[0,0,1] neg_hi:[0,0,1]
	v_pk_fma_f32 v[144:145], v[146:147], v[148:149], v[144:145] op_sel:[0,0,1] op_sel_hi:[1,0,0]
	v_mov_b32_e32 v153, v145
	ds_load_2addr_b64 v[144:147], v172 offset0:25 offset1:26
	v_pk_add_f32 v[110:111], v[110:111], v[152:153] neg_lo:[0,1] neg_hi:[0,1]
	s_wait_dscnt 0x0
	v_pk_mul_f32 v[152:153], v[144:145], v[150:151] op_sel:[0,1]
	s_delay_alu instid0(VALU_DEP_1) | instskip(SKIP_1) | instid1(VALU_DEP_1)
	v_pk_fma_f32 v[154:155], v[144:145], v[148:149], v[152:153] op_sel:[0,0,1] op_sel_hi:[1,1,0] neg_lo:[0,0,1] neg_hi:[0,0,1]
	v_pk_fma_f32 v[144:145], v[144:145], v[148:149], v[152:153] op_sel:[0,0,1] op_sel_hi:[1,0,0]
	v_mov_b32_e32 v155, v145
	v_pk_mul_f32 v[144:145], v[146:147], v[150:151] op_sel:[0,1]
	s_delay_alu instid0(VALU_DEP_2) | instskip(NEXT) | instid1(VALU_DEP_2)
	v_pk_add_f32 v[108:109], v[108:109], v[154:155] neg_lo:[0,1] neg_hi:[0,1]
	v_pk_fma_f32 v[152:153], v[146:147], v[148:149], v[144:145] op_sel:[0,0,1] op_sel_hi:[1,1,0] neg_lo:[0,0,1] neg_hi:[0,0,1]
	v_pk_fma_f32 v[144:145], v[146:147], v[148:149], v[144:145] op_sel:[0,0,1] op_sel_hi:[1,0,0]
	s_delay_alu instid0(VALU_DEP_1) | instskip(SKIP_4) | instid1(VALU_DEP_1)
	v_mov_b32_e32 v153, v145
	ds_load_b64 v[144:145], v172 offset:216
	v_pk_add_f32 v[106:107], v[106:107], v[152:153] neg_lo:[0,1] neg_hi:[0,1]
	s_wait_dscnt 0x0
	v_pk_mul_f32 v[146:147], v[144:145], v[150:151] op_sel:[0,1]
	v_pk_fma_f32 v[150:151], v[144:145], v[148:149], v[146:147] op_sel:[0,0,1] op_sel_hi:[1,1,0] neg_lo:[0,0,1] neg_hi:[0,0,1]
	v_pk_fma_f32 v[144:145], v[144:145], v[148:149], v[146:147] op_sel:[0,0,1] op_sel_hi:[1,0,0]
	s_delay_alu instid0(VALU_DEP_1) | instskip(NEXT) | instid1(VALU_DEP_1)
	v_mov_b32_e32 v151, v145
	v_pk_add_f32 v[112:113], v[112:113], v[150:151] neg_lo:[0,1] neg_hi:[0,1]
.LBB55_136:
	s_or_b32 exec_lo, exec_lo, s1
	s_delay_alu instid0(SALU_CYCLE_1)
	s_mov_b32 s2, exec_lo
	s_wait_dscnt 0x0
	s_barrier_signal -1
	s_barrier_wait -1
	v_cmpx_eq_u32_e32 15, v170
	s_cbranch_execz .LBB55_143
; %bb.137:
	v_dual_mov_b32 v144, v84 :: v_dual_mov_b32 v145, v85
	v_dual_mov_b32 v146, v80 :: v_dual_mov_b32 v147, v81
	ds_store_b64 v171, v[104:105]
	ds_store_2addr_b64 v172, v[144:145], v[146:147] offset0:16 offset1:17
	v_dual_mov_b32 v144, v82 :: v_dual_mov_b32 v145, v83
	v_dual_mov_b32 v146, v78 :: v_dual_mov_b32 v147, v79
	ds_store_2addr_b64 v172, v[144:145], v[146:147] offset0:18 offset1:19
	v_dual_mov_b32 v144, v102 :: v_dual_mov_b32 v145, v103
	v_dual_mov_b32 v146, v98 :: v_dual_mov_b32 v147, v99
	;; [unrolled: 3-line block ×4, first 2 shown]
	ds_store_2addr_b64 v172, v[144:145], v[146:147] offset0:24 offset1:25
	v_dual_mov_b32 v144, v106 :: v_dual_mov_b32 v145, v107
	ds_store_2addr_b64 v172, v[144:145], v[112:113] offset0:26 offset1:27
	ds_load_b64 v[144:145], v171
	s_wait_dscnt 0x0
	v_cmp_neq_f32_e32 vcc_lo, 0, v144
	v_cmp_neq_f32_e64 s1, 0, v145
	s_or_b32 s1, vcc_lo, s1
	s_delay_alu instid0(SALU_CYCLE_1)
	s_and_b32 exec_lo, exec_lo, s1
	s_cbranch_execz .LBB55_143
; %bb.138:
	v_cmp_ngt_f32_e64 s1, |v144|, |v145|
                                        ; implicit-def: $vgpr146_vgpr147
	s_and_saveexec_b32 s4, s1
	s_delay_alu instid0(SALU_CYCLE_1)
	s_xor_b32 s1, exec_lo, s4
	s_cbranch_execz .LBB55_140
; %bb.139:
	v_div_scale_f32 v146, null, v145, v145, v144
	v_div_scale_f32 v149, vcc_lo, v144, v145, v144
	s_delay_alu instid0(VALU_DEP_2) | instskip(SKIP_1) | instid1(TRANS32_DEP_1)
	v_rcp_f32_e32 v147, v146
	v_nop
	v_fma_f32 v148, -v146, v147, 1.0
	s_delay_alu instid0(VALU_DEP_1) | instskip(NEXT) | instid1(VALU_DEP_1)
	v_fmac_f32_e32 v147, v148, v147
	v_mul_f32_e32 v148, v149, v147
	s_delay_alu instid0(VALU_DEP_1) | instskip(NEXT) | instid1(VALU_DEP_1)
	v_fma_f32 v150, -v146, v148, v149
	v_fmac_f32_e32 v148, v150, v147
	s_delay_alu instid0(VALU_DEP_1) | instskip(NEXT) | instid1(VALU_DEP_1)
	v_fma_f32 v146, -v146, v148, v149
	v_div_fmas_f32 v146, v146, v147, v148
	s_delay_alu instid0(VALU_DEP_1) | instskip(NEXT) | instid1(VALU_DEP_1)
	v_div_fixup_f32 v146, v146, v145, v144
	v_fmac_f32_e32 v145, v144, v146
	s_delay_alu instid0(VALU_DEP_1) | instskip(SKIP_1) | instid1(VALU_DEP_2)
	v_div_scale_f32 v144, null, v145, v145, 1.0
	v_div_scale_f32 v149, vcc_lo, 1.0, v145, 1.0
	v_rcp_f32_e32 v147, v144
	v_nop
	s_delay_alu instid0(TRANS32_DEP_1) | instskip(NEXT) | instid1(VALU_DEP_1)
	v_fma_f32 v148, -v144, v147, 1.0
	v_fmac_f32_e32 v147, v148, v147
	s_delay_alu instid0(VALU_DEP_1) | instskip(NEXT) | instid1(VALU_DEP_1)
	v_mul_f32_e32 v148, v149, v147
	v_fma_f32 v150, -v144, v148, v149
	s_delay_alu instid0(VALU_DEP_1) | instskip(NEXT) | instid1(VALU_DEP_1)
	v_fmac_f32_e32 v148, v150, v147
	v_fma_f32 v144, -v144, v148, v149
	s_delay_alu instid0(VALU_DEP_1) | instskip(NEXT) | instid1(VALU_DEP_1)
	v_div_fmas_f32 v144, v144, v147, v148
	v_div_fixup_f32 v144, v144, v145, 1.0
	s_delay_alu instid0(VALU_DEP_1)
	v_mul_f32_e32 v146, v146, v144
	v_xor_b32_e32 v147, 0x80000000, v144
                                        ; implicit-def: $vgpr144_vgpr145
.LBB55_140:
	s_and_not1_saveexec_b32 s1, s1
	s_cbranch_execz .LBB55_142
; %bb.141:
	v_div_scale_f32 v146, null, v144, v144, v145
	v_div_scale_f32 v149, vcc_lo, v145, v144, v145
	s_delay_alu instid0(VALU_DEP_2) | instskip(SKIP_1) | instid1(TRANS32_DEP_1)
	v_rcp_f32_e32 v147, v146
	v_nop
	v_fma_f32 v148, -v146, v147, 1.0
	s_delay_alu instid0(VALU_DEP_1) | instskip(NEXT) | instid1(VALU_DEP_1)
	v_fmac_f32_e32 v147, v148, v147
	v_mul_f32_e32 v148, v149, v147
	s_delay_alu instid0(VALU_DEP_1) | instskip(NEXT) | instid1(VALU_DEP_1)
	v_fma_f32 v150, -v146, v148, v149
	v_fmac_f32_e32 v148, v150, v147
	s_delay_alu instid0(VALU_DEP_1) | instskip(NEXT) | instid1(VALU_DEP_1)
	v_fma_f32 v146, -v146, v148, v149
	v_div_fmas_f32 v146, v146, v147, v148
	s_delay_alu instid0(VALU_DEP_1) | instskip(NEXT) | instid1(VALU_DEP_1)
	v_div_fixup_f32 v147, v146, v144, v145
	v_fmac_f32_e32 v144, v145, v147
	s_delay_alu instid0(VALU_DEP_1) | instskip(NEXT) | instid1(VALU_DEP_1)
	v_div_scale_f32 v145, null, v144, v144, 1.0
	v_rcp_f32_e32 v146, v145
	v_nop
	s_delay_alu instid0(TRANS32_DEP_1) | instskip(NEXT) | instid1(VALU_DEP_1)
	v_fma_f32 v148, -v145, v146, 1.0
	v_fmac_f32_e32 v146, v148, v146
	v_div_scale_f32 v148, vcc_lo, 1.0, v144, 1.0
	s_delay_alu instid0(VALU_DEP_1) | instskip(NEXT) | instid1(VALU_DEP_1)
	v_mul_f32_e32 v149, v148, v146
	v_fma_f32 v150, -v145, v149, v148
	s_delay_alu instid0(VALU_DEP_1) | instskip(NEXT) | instid1(VALU_DEP_1)
	v_fmac_f32_e32 v149, v150, v146
	v_fma_f32 v145, -v145, v149, v148
	s_delay_alu instid0(VALU_DEP_1) | instskip(NEXT) | instid1(VALU_DEP_1)
	v_div_fmas_f32 v145, v145, v146, v149
	v_div_fixup_f32 v146, v145, v144, 1.0
	s_delay_alu instid0(VALU_DEP_1)
	v_mul_f32_e64 v147, v147, -v146
.LBB55_142:
	s_or_b32 exec_lo, exec_lo, s1
	ds_store_b64 v171, v[146:147]
.LBB55_143:
	s_or_b32 exec_lo, exec_lo, s2
	s_wait_dscnt 0x0
	s_barrier_signal -1
	s_barrier_wait -1
	ds_load_b64 v[144:145], v171
	s_mov_b32 s1, exec_lo
	v_cmpx_lt_u32_e32 15, v170
	s_cbranch_execz .LBB55_145
; %bb.144:
	ds_load_2addr_b64 v[146:149], v172 offset0:16 offset1:17
	ds_load_2addr_b64 v[150:153], v172 offset0:18 offset1:19
	;; [unrolled: 1-line block ×3, first 2 shown]
	s_wait_dscnt 0x3
	v_pk_mul_f32 v[158:159], v[144:145], v[104:105] op_sel:[1,1] op_sel_hi:[0,1]
	s_delay_alu instid0(VALU_DEP_1)
	v_pk_fma_f32 v[168:169], v[144:145], v[104:105], v[158:159] op_sel_hi:[1,0,1]
	v_pk_fma_f32 v[166:167], v[144:145], v[104:105], v[158:159] op_sel_hi:[1,0,1] neg_lo:[0,0,1] neg_hi:[0,0,1]
	ds_load_2addr_b64 v[158:161], v172 offset0:22 offset1:23
	ds_load_2addr_b64 v[162:165], v172 offset0:24 offset1:25
	v_dual_mov_b32 v105, v169 :: v_dual_mov_b32 v104, v166
	s_wait_dscnt 0x4
	v_pk_mul_f32 v[174:175], v[146:147], v[168:169] op_sel:[0,1]
	v_pk_mul_f32 v[176:177], v[148:149], v[168:169] op_sel:[0,1]
	s_wait_dscnt 0x3
	v_pk_mul_f32 v[178:179], v[150:151], v[168:169] op_sel:[0,1]
	s_wait_dscnt 0x2
	v_pk_mul_f32 v[186:187], v[154:155], v[168:169] op_sel:[0,1]
	v_dual_mov_b32 v180, v153 :: v_dual_mov_b32 v181, v152
	v_pk_fma_f32 v[190:191], v[146:147], v[166:167], v[174:175] op_sel:[0,0,1] op_sel_hi:[1,1,0] neg_lo:[0,0,1] neg_hi:[0,0,1]
	v_pk_fma_f32 v[146:147], v[146:147], v[166:167], v[174:175] op_sel:[0,0,1] op_sel_hi:[1,0,0]
	v_dual_mul_f32 v182, v153, v169 :: v_dual_mul_f32 v184, v153, v166
	v_pk_mul_f32 v[188:189], v[156:157], v[168:169] op_sel:[0,1]
	v_pk_fma_f32 v[174:175], v[148:149], v[166:167], v[176:177] op_sel:[0,0,1] op_sel_hi:[1,1,0] neg_lo:[0,0,1] neg_hi:[0,0,1]
	v_pk_fma_f32 v[148:149], v[148:149], v[166:167], v[176:177] op_sel:[0,0,1] op_sel_hi:[1,0,0]
	v_pk_fma_f32 v[176:177], v[150:151], v[166:167], v[178:179] op_sel:[0,0,1] op_sel_hi:[1,1,0] neg_lo:[0,0,1] neg_hi:[0,0,1]
	v_pk_fma_f32 v[150:151], v[150:151], v[166:167], v[178:179] op_sel:[0,0,1] op_sel_hi:[1,0,0]
	v_mov_b32_e32 v191, v147
	v_pk_fma_f32 v[146:147], v[154:155], v[166:167], v[186:187] op_sel:[0,0,1] op_sel_hi:[1,0,0]
	v_pk_fma_f32 v[178:179], v[180:181], v[104:105], v[184:185] op_sel_hi:[1,1,0]
	v_pk_fma_f32 v[180:181], v[154:155], v[166:167], v[186:187] op_sel:[0,0,1] op_sel_hi:[1,1,0] neg_lo:[0,0,1] neg_hi:[0,0,1]
	v_dual_mov_b32 v175, v149 :: v_dual_mov_b32 v177, v151
	v_pk_fma_f32 v[150:151], v[156:157], v[166:167], v[188:189] op_sel:[0,0,1] op_sel_hi:[1,0,0]
	v_mov_b32_e32 v181, v147
	ds_load_2addr_b64 v[146:149], v172 offset0:26 offset1:27
	v_pk_fma_f32 v[152:153], v[152:153], v[104:105], v[182:183] op_sel_hi:[1,1,0] neg_lo:[0,0,1] neg_hi:[0,0,1]
	v_mov_b32_e32 v153, v179
	s_wait_dscnt 0x2
	v_pk_mul_f32 v[154:155], v[158:159], v[168:169] op_sel:[0,1]
	v_pk_add_f32 v[84:85], v[84:85], v[190:191] neg_lo:[0,1] neg_hi:[0,1]
	v_pk_add_f32 v[80:81], v[80:81], v[174:175] neg_lo:[0,1] neg_hi:[0,1]
	v_pk_add_f32 v[82:83], v[82:83], v[176:177] neg_lo:[0,1] neg_hi:[0,1]
	v_pk_add_f32 v[78:79], v[78:79], v[152:153] neg_lo:[0,1] neg_hi:[0,1]
	v_pk_fma_f32 v[152:153], v[156:157], v[166:167], v[188:189] op_sel:[0,0,1] op_sel_hi:[1,1,0] neg_lo:[0,0,1] neg_hi:[0,0,1]
	v_pk_fma_f32 v[156:157], v[158:159], v[166:167], v[154:155] op_sel:[0,0,1] op_sel_hi:[1,0,0]
	v_mov_b32_e32 v153, v151
	v_pk_mul_f32 v[150:151], v[160:161], v[168:169] op_sel:[0,1]
	s_wait_dscnt 0x1
	v_mul_f32_e32 v156, v163, v166
	v_pk_fma_f32 v[154:155], v[158:159], v[166:167], v[154:155] op_sel:[0,0,1] op_sel_hi:[1,1,0] neg_lo:[0,0,1] neg_hi:[0,0,1]
	v_mov_b32_e32 v155, v157
	v_pk_add_f32 v[98:99], v[98:99], v[152:153] neg_lo:[0,1] neg_hi:[0,1]
	v_pk_fma_f32 v[152:153], v[160:161], v[166:167], v[150:151] op_sel:[0,0,1] op_sel_hi:[1,0,0]
	v_mul_f32_e32 v152, v163, v169
	v_pk_fma_f32 v[156:157], v[162:163], v[104:105], v[156:157] op_sel:[1,0,0] op_sel_hi:[0,1,0]
	v_pk_add_f32 v[100:101], v[100:101], v[154:155] neg_lo:[0,1] neg_hi:[0,1]
	v_pk_fma_f32 v[150:151], v[160:161], v[166:167], v[150:151] op_sel:[0,0,1] op_sel_hi:[1,1,0] neg_lo:[0,0,1] neg_hi:[0,0,1]
	v_pk_mul_f32 v[154:155], v[164:165], v[168:169] op_sel:[0,1]
	v_mov_b32_e32 v151, v153
	v_pk_fma_f32 v[152:153], v[162:163], v[104:105], v[152:153] op_sel_hi:[1,1,0] neg_lo:[0,0,1] neg_hi:[0,0,1]
	s_wait_dscnt 0x0
	v_dual_mov_b32 v153, v157 :: v_dual_mov_b32 v158, v149
	v_pk_mul_f32 v[156:157], v[146:147], v[168:169] op_sel:[0,1]
	v_dual_mov_b32 v159, v148 :: v_dual_mul_f32 v160, v149, v166
	v_pk_fma_f32 v[162:163], v[164:165], v[166:167], v[154:155] op_sel:[0,0,1] op_sel_hi:[1,0,0]
	v_mul_f32_e32 v162, v149, v169
	v_pk_fma_f32 v[154:155], v[164:165], v[166:167], v[154:155] op_sel:[0,0,1] op_sel_hi:[1,1,0] neg_lo:[0,0,1] neg_hi:[0,0,1]
	v_pk_fma_f32 v[164:165], v[146:147], v[166:167], v[156:157] op_sel:[0,0,1] op_sel_hi:[1,0,0]
	v_pk_fma_f32 v[158:159], v[158:159], v[104:105], v[160:161] op_sel_hi:[1,1,0]
	v_mov_b32_e32 v155, v163
	v_pk_fma_f32 v[146:147], v[146:147], v[166:167], v[156:157] op_sel:[0,0,1] op_sel_hi:[1,1,0] neg_lo:[0,0,1] neg_hi:[0,0,1]
	v_pk_fma_f32 v[148:149], v[148:149], v[104:105], v[162:163] op_sel_hi:[1,1,0] neg_lo:[0,0,1] neg_hi:[0,0,1]
	s_delay_alu instid0(VALU_DEP_4)
	v_dual_mov_b32 v147, v165 :: v_dual_mov_b32 v149, v159
	v_pk_add_f32 v[102:103], v[102:103], v[180:181] neg_lo:[0,1] neg_hi:[0,1]
	v_pk_add_f32 v[96:97], v[96:97], v[150:151] neg_lo:[0,1] neg_hi:[0,1]
	;; [unrolled: 1-line block ×6, first 2 shown]
.LBB55_145:
	s_or_b32 exec_lo, exec_lo, s1
	s_delay_alu instid0(SALU_CYCLE_1)
	s_mov_b32 s2, exec_lo
	s_wait_dscnt 0x0
	s_barrier_signal -1
	s_barrier_wait -1
	v_cmpx_eq_u32_e32 16, v170
	s_cbranch_execz .LBB55_152
; %bb.146:
	ds_store_b64 v171, v[84:85]
	ds_store_2addr_b64 v172, v[80:81], v[82:83] offset0:17 offset1:18
	ds_store_2addr_b64 v172, v[78:79], v[102:103] offset0:19 offset1:20
	;; [unrolled: 1-line block ×5, first 2 shown]
	ds_store_b64 v172, v[112:113] offset:216
	ds_load_b64 v[146:147], v171
	s_wait_dscnt 0x0
	v_cmp_neq_f32_e32 vcc_lo, 0, v146
	v_cmp_neq_f32_e64 s1, 0, v147
	s_or_b32 s1, vcc_lo, s1
	s_delay_alu instid0(SALU_CYCLE_1)
	s_and_b32 exec_lo, exec_lo, s1
	s_cbranch_execz .LBB55_152
; %bb.147:
	v_cmp_ngt_f32_e64 s1, |v146|, |v147|
                                        ; implicit-def: $vgpr148_vgpr149
	s_and_saveexec_b32 s4, s1
	s_delay_alu instid0(SALU_CYCLE_1)
	s_xor_b32 s1, exec_lo, s4
	s_cbranch_execz .LBB55_149
; %bb.148:
	v_div_scale_f32 v148, null, v147, v147, v146
	v_div_scale_f32 v151, vcc_lo, v146, v147, v146
	s_delay_alu instid0(VALU_DEP_2) | instskip(SKIP_1) | instid1(TRANS32_DEP_1)
	v_rcp_f32_e32 v149, v148
	v_nop
	v_fma_f32 v150, -v148, v149, 1.0
	s_delay_alu instid0(VALU_DEP_1) | instskip(NEXT) | instid1(VALU_DEP_1)
	v_fmac_f32_e32 v149, v150, v149
	v_mul_f32_e32 v150, v151, v149
	s_delay_alu instid0(VALU_DEP_1) | instskip(NEXT) | instid1(VALU_DEP_1)
	v_fma_f32 v152, -v148, v150, v151
	v_fmac_f32_e32 v150, v152, v149
	s_delay_alu instid0(VALU_DEP_1) | instskip(NEXT) | instid1(VALU_DEP_1)
	v_fma_f32 v148, -v148, v150, v151
	v_div_fmas_f32 v148, v148, v149, v150
	s_delay_alu instid0(VALU_DEP_1) | instskip(NEXT) | instid1(VALU_DEP_1)
	v_div_fixup_f32 v148, v148, v147, v146
	v_fmac_f32_e32 v147, v146, v148
	s_delay_alu instid0(VALU_DEP_1) | instskip(SKIP_1) | instid1(VALU_DEP_2)
	v_div_scale_f32 v146, null, v147, v147, 1.0
	v_div_scale_f32 v151, vcc_lo, 1.0, v147, 1.0
	v_rcp_f32_e32 v149, v146
	v_nop
	s_delay_alu instid0(TRANS32_DEP_1) | instskip(NEXT) | instid1(VALU_DEP_1)
	v_fma_f32 v150, -v146, v149, 1.0
	v_fmac_f32_e32 v149, v150, v149
	s_delay_alu instid0(VALU_DEP_1) | instskip(NEXT) | instid1(VALU_DEP_1)
	v_mul_f32_e32 v150, v151, v149
	v_fma_f32 v152, -v146, v150, v151
	s_delay_alu instid0(VALU_DEP_1) | instskip(NEXT) | instid1(VALU_DEP_1)
	v_fmac_f32_e32 v150, v152, v149
	v_fma_f32 v146, -v146, v150, v151
	s_delay_alu instid0(VALU_DEP_1) | instskip(NEXT) | instid1(VALU_DEP_1)
	v_div_fmas_f32 v146, v146, v149, v150
	v_div_fixup_f32 v146, v146, v147, 1.0
	s_delay_alu instid0(VALU_DEP_1)
	v_mul_f32_e32 v148, v148, v146
	v_xor_b32_e32 v149, 0x80000000, v146
                                        ; implicit-def: $vgpr146_vgpr147
.LBB55_149:
	s_and_not1_saveexec_b32 s1, s1
	s_cbranch_execz .LBB55_151
; %bb.150:
	v_div_scale_f32 v148, null, v146, v146, v147
	v_div_scale_f32 v151, vcc_lo, v147, v146, v147
	s_delay_alu instid0(VALU_DEP_2) | instskip(SKIP_1) | instid1(TRANS32_DEP_1)
	v_rcp_f32_e32 v149, v148
	v_nop
	v_fma_f32 v150, -v148, v149, 1.0
	s_delay_alu instid0(VALU_DEP_1) | instskip(NEXT) | instid1(VALU_DEP_1)
	v_fmac_f32_e32 v149, v150, v149
	v_mul_f32_e32 v150, v151, v149
	s_delay_alu instid0(VALU_DEP_1) | instskip(NEXT) | instid1(VALU_DEP_1)
	v_fma_f32 v152, -v148, v150, v151
	v_fmac_f32_e32 v150, v152, v149
	s_delay_alu instid0(VALU_DEP_1) | instskip(NEXT) | instid1(VALU_DEP_1)
	v_fma_f32 v148, -v148, v150, v151
	v_div_fmas_f32 v148, v148, v149, v150
	s_delay_alu instid0(VALU_DEP_1) | instskip(NEXT) | instid1(VALU_DEP_1)
	v_div_fixup_f32 v149, v148, v146, v147
	v_fmac_f32_e32 v146, v147, v149
	s_delay_alu instid0(VALU_DEP_1) | instskip(NEXT) | instid1(VALU_DEP_1)
	v_div_scale_f32 v147, null, v146, v146, 1.0
	v_rcp_f32_e32 v148, v147
	v_nop
	s_delay_alu instid0(TRANS32_DEP_1) | instskip(NEXT) | instid1(VALU_DEP_1)
	v_fma_f32 v150, -v147, v148, 1.0
	v_fmac_f32_e32 v148, v150, v148
	v_div_scale_f32 v150, vcc_lo, 1.0, v146, 1.0
	s_delay_alu instid0(VALU_DEP_1) | instskip(NEXT) | instid1(VALU_DEP_1)
	v_mul_f32_e32 v151, v150, v148
	v_fma_f32 v152, -v147, v151, v150
	s_delay_alu instid0(VALU_DEP_1) | instskip(NEXT) | instid1(VALU_DEP_1)
	v_fmac_f32_e32 v151, v152, v148
	v_fma_f32 v147, -v147, v151, v150
	s_delay_alu instid0(VALU_DEP_1) | instskip(NEXT) | instid1(VALU_DEP_1)
	v_div_fmas_f32 v147, v147, v148, v151
	v_div_fixup_f32 v148, v147, v146, 1.0
	s_delay_alu instid0(VALU_DEP_1)
	v_mul_f32_e64 v149, v149, -v148
.LBB55_151:
	s_or_b32 exec_lo, exec_lo, s1
	ds_store_b64 v171, v[148:149]
.LBB55_152:
	s_or_b32 exec_lo, exec_lo, s2
	s_wait_dscnt 0x0
	s_barrier_signal -1
	s_barrier_wait -1
	ds_load_b64 v[146:147], v171
	s_mov_b32 s1, exec_lo
	v_cmpx_lt_u32_e32 16, v170
	s_cbranch_execz .LBB55_154
; %bb.153:
	s_wait_dscnt 0x0
	v_pk_mul_f32 v[148:149], v[146:147], v[84:85] op_sel:[1,1] op_sel_hi:[0,1]
	s_delay_alu instid0(VALU_DEP_1)
	v_pk_fma_f32 v[152:153], v[146:147], v[84:85], v[148:149] op_sel_hi:[1,0,1] neg_lo:[0,0,1] neg_hi:[0,0,1]
	v_pk_fma_f32 v[154:155], v[146:147], v[84:85], v[148:149] op_sel_hi:[1,0,1]
	ds_load_2addr_b64 v[148:151], v172 offset0:17 offset1:18
	v_dual_mov_b32 v84, v152 :: v_dual_mov_b32 v85, v155
	s_wait_dscnt 0x0
	v_pk_mul_f32 v[156:157], v[148:149], v[154:155] op_sel:[0,1]
	s_delay_alu instid0(VALU_DEP_1) | instskip(SKIP_1) | instid1(VALU_DEP_1)
	v_pk_fma_f32 v[158:159], v[148:149], v[152:153], v[156:157] op_sel:[0,0,1] op_sel_hi:[1,1,0] neg_lo:[0,0,1] neg_hi:[0,0,1]
	v_pk_fma_f32 v[148:149], v[148:149], v[152:153], v[156:157] op_sel:[0,0,1] op_sel_hi:[1,0,0]
	v_mov_b32_e32 v159, v149
	v_pk_mul_f32 v[148:149], v[150:151], v[154:155] op_sel:[0,1]
	s_delay_alu instid0(VALU_DEP_1) | instskip(SKIP_1) | instid1(VALU_DEP_1)
	v_pk_fma_f32 v[156:157], v[150:151], v[152:153], v[148:149] op_sel:[0,0,1] op_sel_hi:[1,1,0] neg_lo:[0,0,1] neg_hi:[0,0,1]
	v_pk_fma_f32 v[148:149], v[150:151], v[152:153], v[148:149] op_sel:[0,0,1] op_sel_hi:[1,0,0]
	v_mov_b32_e32 v157, v149
	ds_load_2addr_b64 v[148:151], v172 offset0:19 offset1:20
	v_pk_add_f32 v[80:81], v[80:81], v[158:159] neg_lo:[0,1] neg_hi:[0,1]
	v_pk_add_f32 v[82:83], v[82:83], v[156:157] neg_lo:[0,1] neg_hi:[0,1]
	s_wait_dscnt 0x0
	v_pk_mul_f32 v[156:157], v[148:149], v[154:155] op_sel:[0,1]
	s_delay_alu instid0(VALU_DEP_1) | instskip(SKIP_2) | instid1(VALU_DEP_2)
	v_pk_fma_f32 v[158:159], v[148:149], v[152:153], v[156:157] op_sel:[0,0,1] op_sel_hi:[1,1,0] neg_lo:[0,0,1] neg_hi:[0,0,1]
	v_pk_fma_f32 v[148:149], v[148:149], v[152:153], v[156:157] op_sel:[0,0,1] op_sel_hi:[1,0,0]
	v_dual_mul_f32 v156, v151, v155 :: v_dual_mov_b32 v148, v151
	v_dual_mov_b32 v159, v149 :: v_dual_mov_b32 v149, v150
	s_delay_alu instid0(VALU_DEP_2) | instskip(SKIP_1) | instid1(VALU_DEP_3)
	v_pk_fma_f32 v[156:157], v[150:151], v[84:85], v[156:157] op_sel_hi:[1,1,0] neg_lo:[0,0,1] neg_hi:[0,0,1]
	v_mul_f32_e32 v150, v151, v152
	v_pk_add_f32 v[78:79], v[78:79], v[158:159] neg_lo:[0,1] neg_hi:[0,1]
	s_delay_alu instid0(VALU_DEP_2) | instskip(NEXT) | instid1(VALU_DEP_1)
	v_pk_fma_f32 v[148:149], v[148:149], v[84:85], v[150:151] op_sel_hi:[1,1,0]
	v_mov_b32_e32 v157, v149
	ds_load_2addr_b64 v[148:151], v172 offset0:21 offset1:22
	v_pk_add_f32 v[102:103], v[102:103], v[156:157] neg_lo:[0,1] neg_hi:[0,1]
	s_wait_dscnt 0x0
	v_pk_mul_f32 v[156:157], v[148:149], v[154:155] op_sel:[0,1]
	s_delay_alu instid0(VALU_DEP_1) | instskip(SKIP_1) | instid1(VALU_DEP_1)
	v_pk_fma_f32 v[158:159], v[148:149], v[152:153], v[156:157] op_sel:[0,0,1] op_sel_hi:[1,1,0] neg_lo:[0,0,1] neg_hi:[0,0,1]
	v_pk_fma_f32 v[148:149], v[148:149], v[152:153], v[156:157] op_sel:[0,0,1] op_sel_hi:[1,0,0]
	v_mov_b32_e32 v159, v149
	v_pk_mul_f32 v[148:149], v[150:151], v[154:155] op_sel:[0,1]
	s_delay_alu instid0(VALU_DEP_1) | instskip(SKIP_1) | instid1(VALU_DEP_1)
	v_pk_fma_f32 v[156:157], v[150:151], v[152:153], v[148:149] op_sel:[0,0,1] op_sel_hi:[1,1,0] neg_lo:[0,0,1] neg_hi:[0,0,1]
	v_pk_fma_f32 v[148:149], v[150:151], v[152:153], v[148:149] op_sel:[0,0,1] op_sel_hi:[1,0,0]
	v_mov_b32_e32 v157, v149
	ds_load_2addr_b64 v[148:151], v172 offset0:23 offset1:24
	v_pk_add_f32 v[98:99], v[98:99], v[158:159] neg_lo:[0,1] neg_hi:[0,1]
	v_pk_add_f32 v[100:101], v[100:101], v[156:157] neg_lo:[0,1] neg_hi:[0,1]
	s_wait_dscnt 0x0
	v_pk_mul_f32 v[156:157], v[148:149], v[154:155] op_sel:[0,1]
	s_delay_alu instid0(VALU_DEP_1) | instskip(SKIP_1) | instid1(VALU_DEP_1)
	v_pk_fma_f32 v[158:159], v[148:149], v[152:153], v[156:157] op_sel:[0,0,1] op_sel_hi:[1,1,0] neg_lo:[0,0,1] neg_hi:[0,0,1]
	v_pk_fma_f32 v[148:149], v[148:149], v[152:153], v[156:157] op_sel:[0,0,1] op_sel_hi:[1,0,0]
	v_mov_b32_e32 v159, v149
	v_pk_mul_f32 v[148:149], v[150:151], v[154:155] op_sel:[0,1]
	s_delay_alu instid0(VALU_DEP_1) | instskip(SKIP_1) | instid1(VALU_DEP_1)
	v_pk_fma_f32 v[156:157], v[150:151], v[152:153], v[148:149] op_sel:[0,0,1] op_sel_hi:[1,1,0] neg_lo:[0,0,1] neg_hi:[0,0,1]
	v_pk_fma_f32 v[148:149], v[150:151], v[152:153], v[148:149] op_sel:[0,0,1] op_sel_hi:[1,0,0]
	v_mov_b32_e32 v157, v149
	ds_load_2addr_b64 v[148:151], v172 offset0:25 offset1:26
	v_pk_add_f32 v[96:97], v[96:97], v[158:159] neg_lo:[0,1] neg_hi:[0,1]
	v_pk_add_f32 v[110:111], v[110:111], v[156:157] neg_lo:[0,1] neg_hi:[0,1]
	s_wait_dscnt 0x0
	v_dual_mul_f32 v156, v149, v155 :: v_dual_mul_f32 v158, v149, v152
	s_delay_alu instid0(VALU_DEP_1) | instskip(NEXT) | instid1(VALU_DEP_2)
	v_pk_fma_f32 v[156:157], v[148:149], v[84:85], v[156:157] op_sel_hi:[1,1,0] neg_lo:[0,0,1] neg_hi:[0,0,1]
	v_pk_fma_f32 v[148:149], v[148:149], v[84:85], v[158:159] op_sel:[1,0,0] op_sel_hi:[0,1,0]
	s_delay_alu instid0(VALU_DEP_1) | instskip(SKIP_1) | instid1(VALU_DEP_2)
	v_mov_b32_e32 v157, v149
	v_pk_mul_f32 v[148:149], v[150:151], v[154:155] op_sel:[0,1]
	v_pk_add_f32 v[108:109], v[108:109], v[156:157] neg_lo:[0,1] neg_hi:[0,1]
	s_delay_alu instid0(VALU_DEP_2) | instskip(SKIP_1) | instid1(VALU_DEP_1)
	v_pk_fma_f32 v[156:157], v[150:151], v[152:153], v[148:149] op_sel:[0,0,1] op_sel_hi:[1,1,0] neg_lo:[0,0,1] neg_hi:[0,0,1]
	v_pk_fma_f32 v[148:149], v[150:151], v[152:153], v[148:149] op_sel:[0,0,1] op_sel_hi:[1,0,0]
	v_mov_b32_e32 v157, v149
	ds_load_b64 v[148:149], v172 offset:216
	v_pk_add_f32 v[106:107], v[106:107], v[156:157] neg_lo:[0,1] neg_hi:[0,1]
	s_wait_dscnt 0x0
	v_pk_mul_f32 v[150:151], v[148:149], v[154:155] op_sel:[0,1]
	s_delay_alu instid0(VALU_DEP_1) | instskip(SKIP_1) | instid1(VALU_DEP_1)
	v_pk_fma_f32 v[154:155], v[148:149], v[152:153], v[150:151] op_sel:[0,0,1] op_sel_hi:[1,1,0] neg_lo:[0,0,1] neg_hi:[0,0,1]
	v_pk_fma_f32 v[148:149], v[148:149], v[152:153], v[150:151] op_sel:[0,0,1] op_sel_hi:[1,0,0]
	v_mov_b32_e32 v155, v149
	s_delay_alu instid0(VALU_DEP_1)
	v_pk_add_f32 v[112:113], v[112:113], v[154:155] neg_lo:[0,1] neg_hi:[0,1]
.LBB55_154:
	s_or_b32 exec_lo, exec_lo, s1
	s_delay_alu instid0(SALU_CYCLE_1)
	s_mov_b32 s2, exec_lo
	s_wait_dscnt 0x0
	s_barrier_signal -1
	s_barrier_wait -1
	v_cmpx_eq_u32_e32 17, v170
	s_cbranch_execz .LBB55_161
; %bb.155:
	v_dual_mov_b32 v148, v82 :: v_dual_mov_b32 v149, v83
	v_dual_mov_b32 v150, v78 :: v_dual_mov_b32 v151, v79
	v_dual_mov_b32 v152, v102 :: v_dual_mov_b32 v153, v103
	v_dual_mov_b32 v154, v98 :: v_dual_mov_b32 v155, v99
	v_dual_mov_b32 v156, v100 :: v_dual_mov_b32 v157, v101
	v_dual_mov_b32 v158, v96 :: v_dual_mov_b32 v159, v97
	v_dual_mov_b32 v160, v110 :: v_dual_mov_b32 v161, v111
	v_dual_mov_b32 v162, v108 :: v_dual_mov_b32 v163, v109
	v_dual_mov_b32 v164, v106 :: v_dual_mov_b32 v165, v107
	ds_store_b64 v171, v[80:81]
	ds_store_2addr_b64 v172, v[148:149], v[150:151] offset0:18 offset1:19
	ds_store_2addr_b64 v172, v[152:153], v[154:155] offset0:20 offset1:21
	;; [unrolled: 1-line block ×5, first 2 shown]
	ds_load_b64 v[148:149], v171
	s_wait_dscnt 0x0
	v_cmp_neq_f32_e32 vcc_lo, 0, v148
	v_cmp_neq_f32_e64 s1, 0, v149
	s_or_b32 s1, vcc_lo, s1
	s_delay_alu instid0(SALU_CYCLE_1)
	s_and_b32 exec_lo, exec_lo, s1
	s_cbranch_execz .LBB55_161
; %bb.156:
	v_cmp_ngt_f32_e64 s1, |v148|, |v149|
                                        ; implicit-def: $vgpr150_vgpr151
	s_and_saveexec_b32 s4, s1
	s_delay_alu instid0(SALU_CYCLE_1)
	s_xor_b32 s1, exec_lo, s4
	s_cbranch_execz .LBB55_158
; %bb.157:
	v_div_scale_f32 v150, null, v149, v149, v148
	v_div_scale_f32 v153, vcc_lo, v148, v149, v148
	s_delay_alu instid0(VALU_DEP_2) | instskip(SKIP_1) | instid1(TRANS32_DEP_1)
	v_rcp_f32_e32 v151, v150
	v_nop
	v_fma_f32 v152, -v150, v151, 1.0
	s_delay_alu instid0(VALU_DEP_1) | instskip(NEXT) | instid1(VALU_DEP_1)
	v_fmac_f32_e32 v151, v152, v151
	v_mul_f32_e32 v152, v153, v151
	s_delay_alu instid0(VALU_DEP_1) | instskip(NEXT) | instid1(VALU_DEP_1)
	v_fma_f32 v154, -v150, v152, v153
	v_fmac_f32_e32 v152, v154, v151
	s_delay_alu instid0(VALU_DEP_1) | instskip(NEXT) | instid1(VALU_DEP_1)
	v_fma_f32 v150, -v150, v152, v153
	v_div_fmas_f32 v150, v150, v151, v152
	s_delay_alu instid0(VALU_DEP_1) | instskip(NEXT) | instid1(VALU_DEP_1)
	v_div_fixup_f32 v150, v150, v149, v148
	v_fmac_f32_e32 v149, v148, v150
	s_delay_alu instid0(VALU_DEP_1) | instskip(SKIP_1) | instid1(VALU_DEP_2)
	v_div_scale_f32 v148, null, v149, v149, 1.0
	v_div_scale_f32 v153, vcc_lo, 1.0, v149, 1.0
	v_rcp_f32_e32 v151, v148
	v_nop
	s_delay_alu instid0(TRANS32_DEP_1) | instskip(NEXT) | instid1(VALU_DEP_1)
	v_fma_f32 v152, -v148, v151, 1.0
	v_fmac_f32_e32 v151, v152, v151
	s_delay_alu instid0(VALU_DEP_1) | instskip(NEXT) | instid1(VALU_DEP_1)
	v_mul_f32_e32 v152, v153, v151
	v_fma_f32 v154, -v148, v152, v153
	s_delay_alu instid0(VALU_DEP_1) | instskip(NEXT) | instid1(VALU_DEP_1)
	v_fmac_f32_e32 v152, v154, v151
	v_fma_f32 v148, -v148, v152, v153
	s_delay_alu instid0(VALU_DEP_1) | instskip(NEXT) | instid1(VALU_DEP_1)
	v_div_fmas_f32 v148, v148, v151, v152
	v_div_fixup_f32 v148, v148, v149, 1.0
	s_delay_alu instid0(VALU_DEP_1)
	v_mul_f32_e32 v150, v150, v148
	v_xor_b32_e32 v151, 0x80000000, v148
                                        ; implicit-def: $vgpr148_vgpr149
.LBB55_158:
	s_and_not1_saveexec_b32 s1, s1
	s_cbranch_execz .LBB55_160
; %bb.159:
	v_div_scale_f32 v150, null, v148, v148, v149
	v_div_scale_f32 v153, vcc_lo, v149, v148, v149
	s_delay_alu instid0(VALU_DEP_2) | instskip(SKIP_1) | instid1(TRANS32_DEP_1)
	v_rcp_f32_e32 v151, v150
	v_nop
	v_fma_f32 v152, -v150, v151, 1.0
	s_delay_alu instid0(VALU_DEP_1) | instskip(NEXT) | instid1(VALU_DEP_1)
	v_fmac_f32_e32 v151, v152, v151
	v_mul_f32_e32 v152, v153, v151
	s_delay_alu instid0(VALU_DEP_1) | instskip(NEXT) | instid1(VALU_DEP_1)
	v_fma_f32 v154, -v150, v152, v153
	v_fmac_f32_e32 v152, v154, v151
	s_delay_alu instid0(VALU_DEP_1) | instskip(NEXT) | instid1(VALU_DEP_1)
	v_fma_f32 v150, -v150, v152, v153
	v_div_fmas_f32 v150, v150, v151, v152
	s_delay_alu instid0(VALU_DEP_1) | instskip(NEXT) | instid1(VALU_DEP_1)
	v_div_fixup_f32 v151, v150, v148, v149
	v_fmac_f32_e32 v148, v149, v151
	s_delay_alu instid0(VALU_DEP_1) | instskip(NEXT) | instid1(VALU_DEP_1)
	v_div_scale_f32 v149, null, v148, v148, 1.0
	v_rcp_f32_e32 v150, v149
	v_nop
	s_delay_alu instid0(TRANS32_DEP_1) | instskip(NEXT) | instid1(VALU_DEP_1)
	v_fma_f32 v152, -v149, v150, 1.0
	v_fmac_f32_e32 v150, v152, v150
	v_div_scale_f32 v152, vcc_lo, 1.0, v148, 1.0
	s_delay_alu instid0(VALU_DEP_1) | instskip(NEXT) | instid1(VALU_DEP_1)
	v_mul_f32_e32 v153, v152, v150
	v_fma_f32 v154, -v149, v153, v152
	s_delay_alu instid0(VALU_DEP_1) | instskip(NEXT) | instid1(VALU_DEP_1)
	v_fmac_f32_e32 v153, v154, v150
	v_fma_f32 v149, -v149, v153, v152
	s_delay_alu instid0(VALU_DEP_1) | instskip(NEXT) | instid1(VALU_DEP_1)
	v_div_fmas_f32 v149, v149, v150, v153
	v_div_fixup_f32 v150, v149, v148, 1.0
	s_delay_alu instid0(VALU_DEP_1)
	v_mul_f32_e64 v151, v151, -v150
.LBB55_160:
	s_or_b32 exec_lo, exec_lo, s1
	ds_store_b64 v171, v[150:151]
.LBB55_161:
	s_or_b32 exec_lo, exec_lo, s2
	s_wait_dscnt 0x0
	s_barrier_signal -1
	s_barrier_wait -1
	ds_load_b64 v[148:149], v171
	s_mov_b32 s1, exec_lo
	v_cmpx_lt_u32_e32 17, v170
	s_cbranch_execz .LBB55_163
; %bb.162:
	s_wait_dscnt 0x0
	v_pk_mul_f32 v[150:151], v[148:149], v[80:81] op_sel:[1,1] op_sel_hi:[0,1]
	s_delay_alu instid0(VALU_DEP_1)
	v_pk_fma_f32 v[154:155], v[148:149], v[80:81], v[150:151] op_sel_hi:[1,0,1] neg_lo:[0,0,1] neg_hi:[0,0,1]
	v_pk_fma_f32 v[156:157], v[148:149], v[80:81], v[150:151] op_sel_hi:[1,0,1]
	ds_load_2addr_b64 v[150:153], v172 offset0:18 offset1:19
	v_dual_mov_b32 v80, v154 :: v_dual_mov_b32 v81, v157
	s_wait_dscnt 0x0
	v_pk_mul_f32 v[158:159], v[150:151], v[156:157] op_sel:[0,1]
	s_delay_alu instid0(VALU_DEP_1) | instskip(SKIP_1) | instid1(VALU_DEP_1)
	v_pk_fma_f32 v[160:161], v[150:151], v[154:155], v[158:159] op_sel:[0,0,1] op_sel_hi:[1,1,0] neg_lo:[0,0,1] neg_hi:[0,0,1]
	v_pk_fma_f32 v[150:151], v[150:151], v[154:155], v[158:159] op_sel:[0,0,1] op_sel_hi:[1,0,0]
	v_mov_b32_e32 v161, v151
	v_pk_mul_f32 v[150:151], v[152:153], v[156:157] op_sel:[0,1]
	s_delay_alu instid0(VALU_DEP_1) | instskip(SKIP_1) | instid1(VALU_DEP_1)
	v_pk_fma_f32 v[158:159], v[152:153], v[154:155], v[150:151] op_sel:[0,0,1] op_sel_hi:[1,1,0] neg_lo:[0,0,1] neg_hi:[0,0,1]
	v_pk_fma_f32 v[150:151], v[152:153], v[154:155], v[150:151] op_sel:[0,0,1] op_sel_hi:[1,0,0]
	v_mov_b32_e32 v159, v151
	ds_load_2addr_b64 v[150:153], v172 offset0:20 offset1:21
	v_pk_add_f32 v[82:83], v[82:83], v[160:161] neg_lo:[0,1] neg_hi:[0,1]
	v_pk_add_f32 v[78:79], v[78:79], v[158:159] neg_lo:[0,1] neg_hi:[0,1]
	s_wait_dscnt 0x0
	v_pk_mul_f32 v[158:159], v[150:151], v[156:157] op_sel:[0,1]
	s_delay_alu instid0(VALU_DEP_1) | instskip(SKIP_2) | instid1(VALU_DEP_2)
	v_pk_fma_f32 v[160:161], v[150:151], v[154:155], v[158:159] op_sel:[0,0,1] op_sel_hi:[1,1,0] neg_lo:[0,0,1] neg_hi:[0,0,1]
	v_pk_fma_f32 v[150:151], v[150:151], v[154:155], v[158:159] op_sel:[0,0,1] op_sel_hi:[1,0,0]
	v_dual_mul_f32 v158, v153, v157 :: v_dual_mov_b32 v150, v153
	v_dual_mov_b32 v161, v151 :: v_dual_mov_b32 v151, v152
	s_delay_alu instid0(VALU_DEP_2) | instskip(SKIP_1) | instid1(VALU_DEP_3)
	v_pk_fma_f32 v[158:159], v[152:153], v[80:81], v[158:159] op_sel_hi:[1,1,0] neg_lo:[0,0,1] neg_hi:[0,0,1]
	v_mul_f32_e32 v152, v153, v154
	v_pk_add_f32 v[102:103], v[102:103], v[160:161] neg_lo:[0,1] neg_hi:[0,1]
	s_delay_alu instid0(VALU_DEP_2) | instskip(NEXT) | instid1(VALU_DEP_1)
	v_pk_fma_f32 v[150:151], v[150:151], v[80:81], v[152:153] op_sel_hi:[1,1,0]
	v_mov_b32_e32 v159, v151
	ds_load_2addr_b64 v[150:153], v172 offset0:22 offset1:23
	v_pk_add_f32 v[98:99], v[98:99], v[158:159] neg_lo:[0,1] neg_hi:[0,1]
	s_wait_dscnt 0x0
	v_pk_mul_f32 v[158:159], v[150:151], v[156:157] op_sel:[0,1]
	s_delay_alu instid0(VALU_DEP_1) | instskip(SKIP_1) | instid1(VALU_DEP_1)
	v_pk_fma_f32 v[160:161], v[150:151], v[154:155], v[158:159] op_sel:[0,0,1] op_sel_hi:[1,1,0] neg_lo:[0,0,1] neg_hi:[0,0,1]
	v_pk_fma_f32 v[150:151], v[150:151], v[154:155], v[158:159] op_sel:[0,0,1] op_sel_hi:[1,0,0]
	v_mov_b32_e32 v161, v151
	v_pk_mul_f32 v[150:151], v[152:153], v[156:157] op_sel:[0,1]
	s_delay_alu instid0(VALU_DEP_1) | instskip(SKIP_1) | instid1(VALU_DEP_1)
	v_pk_fma_f32 v[158:159], v[152:153], v[154:155], v[150:151] op_sel:[0,0,1] op_sel_hi:[1,1,0] neg_lo:[0,0,1] neg_hi:[0,0,1]
	v_pk_fma_f32 v[150:151], v[152:153], v[154:155], v[150:151] op_sel:[0,0,1] op_sel_hi:[1,0,0]
	v_mov_b32_e32 v159, v151
	ds_load_2addr_b64 v[150:153], v172 offset0:24 offset1:25
	v_pk_add_f32 v[100:101], v[100:101], v[160:161] neg_lo:[0,1] neg_hi:[0,1]
	v_pk_add_f32 v[96:97], v[96:97], v[158:159] neg_lo:[0,1] neg_hi:[0,1]
	s_wait_dscnt 0x0
	v_pk_mul_f32 v[158:159], v[150:151], v[156:157] op_sel:[0,1]
	s_delay_alu instid0(VALU_DEP_1) | instskip(SKIP_1) | instid1(VALU_DEP_1)
	v_pk_fma_f32 v[160:161], v[150:151], v[154:155], v[158:159] op_sel:[0,0,1] op_sel_hi:[1,1,0] neg_lo:[0,0,1] neg_hi:[0,0,1]
	v_pk_fma_f32 v[150:151], v[150:151], v[154:155], v[158:159] op_sel:[0,0,1] op_sel_hi:[1,0,0]
	v_mov_b32_e32 v161, v151
	v_pk_mul_f32 v[150:151], v[152:153], v[156:157] op_sel:[0,1]
	s_delay_alu instid0(VALU_DEP_1) | instskip(SKIP_1) | instid1(VALU_DEP_1)
	v_pk_fma_f32 v[158:159], v[152:153], v[154:155], v[150:151] op_sel:[0,0,1] op_sel_hi:[1,1,0] neg_lo:[0,0,1] neg_hi:[0,0,1]
	v_pk_fma_f32 v[150:151], v[152:153], v[154:155], v[150:151] op_sel:[0,0,1] op_sel_hi:[1,0,0]
	v_mov_b32_e32 v159, v151
	ds_load_2addr_b64 v[150:153], v172 offset0:26 offset1:27
	v_pk_add_f32 v[110:111], v[110:111], v[160:161] neg_lo:[0,1] neg_hi:[0,1]
	v_pk_add_f32 v[108:109], v[108:109], v[158:159] neg_lo:[0,1] neg_hi:[0,1]
	s_wait_dscnt 0x0
	v_dual_mul_f32 v158, v151, v157 :: v_dual_mul_f32 v160, v151, v154
	s_delay_alu instid0(VALU_DEP_1) | instskip(NEXT) | instid1(VALU_DEP_2)
	v_pk_fma_f32 v[158:159], v[150:151], v[80:81], v[158:159] op_sel_hi:[1,1,0] neg_lo:[0,0,1] neg_hi:[0,0,1]
	v_pk_fma_f32 v[150:151], v[150:151], v[80:81], v[160:161] op_sel:[1,0,0] op_sel_hi:[0,1,0]
	s_delay_alu instid0(VALU_DEP_1) | instskip(SKIP_1) | instid1(VALU_DEP_1)
	v_mov_b32_e32 v159, v151
	v_pk_mul_f32 v[150:151], v[152:153], v[156:157] op_sel:[0,1]
	v_pk_fma_f32 v[156:157], v[152:153], v[154:155], v[150:151] op_sel:[0,0,1] op_sel_hi:[1,1,0] neg_lo:[0,0,1] neg_hi:[0,0,1]
	v_pk_fma_f32 v[150:151], v[152:153], v[154:155], v[150:151] op_sel:[0,0,1] op_sel_hi:[1,0,0]
	s_delay_alu instid0(VALU_DEP_1) | instskip(SKIP_1) | instid1(VALU_DEP_2)
	v_mov_b32_e32 v157, v151
	v_pk_add_f32 v[106:107], v[106:107], v[158:159] neg_lo:[0,1] neg_hi:[0,1]
	v_pk_add_f32 v[112:113], v[112:113], v[156:157] neg_lo:[0,1] neg_hi:[0,1]
.LBB55_163:
	s_or_b32 exec_lo, exec_lo, s1
	s_delay_alu instid0(SALU_CYCLE_1)
	s_mov_b32 s2, exec_lo
	s_wait_dscnt 0x0
	s_barrier_signal -1
	s_barrier_wait -1
	v_cmpx_eq_u32_e32 18, v170
	s_cbranch_execz .LBB55_170
; %bb.164:
	ds_store_b64 v171, v[82:83]
	ds_store_2addr_b64 v172, v[78:79], v[102:103] offset0:19 offset1:20
	ds_store_2addr_b64 v172, v[98:99], v[100:101] offset0:21 offset1:22
	ds_store_2addr_b64 v172, v[96:97], v[110:111] offset0:23 offset1:24
	ds_store_2addr_b64 v172, v[108:109], v[106:107] offset0:25 offset1:26
	ds_store_b64 v172, v[112:113] offset:216
	ds_load_b64 v[150:151], v171
	s_wait_dscnt 0x0
	v_cmp_neq_f32_e32 vcc_lo, 0, v150
	v_cmp_neq_f32_e64 s1, 0, v151
	s_or_b32 s1, vcc_lo, s1
	s_delay_alu instid0(SALU_CYCLE_1)
	s_and_b32 exec_lo, exec_lo, s1
	s_cbranch_execz .LBB55_170
; %bb.165:
	v_cmp_ngt_f32_e64 s1, |v150|, |v151|
                                        ; implicit-def: $vgpr152_vgpr153
	s_and_saveexec_b32 s4, s1
	s_delay_alu instid0(SALU_CYCLE_1)
	s_xor_b32 s1, exec_lo, s4
	s_cbranch_execz .LBB55_167
; %bb.166:
	v_div_scale_f32 v152, null, v151, v151, v150
	v_div_scale_f32 v155, vcc_lo, v150, v151, v150
	s_delay_alu instid0(VALU_DEP_2) | instskip(SKIP_1) | instid1(TRANS32_DEP_1)
	v_rcp_f32_e32 v153, v152
	v_nop
	v_fma_f32 v154, -v152, v153, 1.0
	s_delay_alu instid0(VALU_DEP_1) | instskip(NEXT) | instid1(VALU_DEP_1)
	v_fmac_f32_e32 v153, v154, v153
	v_mul_f32_e32 v154, v155, v153
	s_delay_alu instid0(VALU_DEP_1) | instskip(NEXT) | instid1(VALU_DEP_1)
	v_fma_f32 v156, -v152, v154, v155
	v_fmac_f32_e32 v154, v156, v153
	s_delay_alu instid0(VALU_DEP_1) | instskip(NEXT) | instid1(VALU_DEP_1)
	v_fma_f32 v152, -v152, v154, v155
	v_div_fmas_f32 v152, v152, v153, v154
	s_delay_alu instid0(VALU_DEP_1) | instskip(NEXT) | instid1(VALU_DEP_1)
	v_div_fixup_f32 v152, v152, v151, v150
	v_fmac_f32_e32 v151, v150, v152
	s_delay_alu instid0(VALU_DEP_1) | instskip(SKIP_1) | instid1(VALU_DEP_2)
	v_div_scale_f32 v150, null, v151, v151, 1.0
	v_div_scale_f32 v155, vcc_lo, 1.0, v151, 1.0
	v_rcp_f32_e32 v153, v150
	v_nop
	s_delay_alu instid0(TRANS32_DEP_1) | instskip(NEXT) | instid1(VALU_DEP_1)
	v_fma_f32 v154, -v150, v153, 1.0
	v_fmac_f32_e32 v153, v154, v153
	s_delay_alu instid0(VALU_DEP_1) | instskip(NEXT) | instid1(VALU_DEP_1)
	v_mul_f32_e32 v154, v155, v153
	v_fma_f32 v156, -v150, v154, v155
	s_delay_alu instid0(VALU_DEP_1) | instskip(NEXT) | instid1(VALU_DEP_1)
	v_fmac_f32_e32 v154, v156, v153
	v_fma_f32 v150, -v150, v154, v155
	s_delay_alu instid0(VALU_DEP_1) | instskip(NEXT) | instid1(VALU_DEP_1)
	v_div_fmas_f32 v150, v150, v153, v154
	v_div_fixup_f32 v150, v150, v151, 1.0
	s_delay_alu instid0(VALU_DEP_1)
	v_mul_f32_e32 v152, v152, v150
	v_xor_b32_e32 v153, 0x80000000, v150
                                        ; implicit-def: $vgpr150_vgpr151
.LBB55_167:
	s_and_not1_saveexec_b32 s1, s1
	s_cbranch_execz .LBB55_169
; %bb.168:
	v_div_scale_f32 v152, null, v150, v150, v151
	v_div_scale_f32 v155, vcc_lo, v151, v150, v151
	s_delay_alu instid0(VALU_DEP_2) | instskip(SKIP_1) | instid1(TRANS32_DEP_1)
	v_rcp_f32_e32 v153, v152
	v_nop
	v_fma_f32 v154, -v152, v153, 1.0
	s_delay_alu instid0(VALU_DEP_1) | instskip(NEXT) | instid1(VALU_DEP_1)
	v_fmac_f32_e32 v153, v154, v153
	v_mul_f32_e32 v154, v155, v153
	s_delay_alu instid0(VALU_DEP_1) | instskip(NEXT) | instid1(VALU_DEP_1)
	v_fma_f32 v156, -v152, v154, v155
	v_fmac_f32_e32 v154, v156, v153
	s_delay_alu instid0(VALU_DEP_1) | instskip(NEXT) | instid1(VALU_DEP_1)
	v_fma_f32 v152, -v152, v154, v155
	v_div_fmas_f32 v152, v152, v153, v154
	s_delay_alu instid0(VALU_DEP_1) | instskip(NEXT) | instid1(VALU_DEP_1)
	v_div_fixup_f32 v153, v152, v150, v151
	v_fmac_f32_e32 v150, v151, v153
	s_delay_alu instid0(VALU_DEP_1) | instskip(NEXT) | instid1(VALU_DEP_1)
	v_div_scale_f32 v151, null, v150, v150, 1.0
	v_rcp_f32_e32 v152, v151
	v_nop
	s_delay_alu instid0(TRANS32_DEP_1) | instskip(NEXT) | instid1(VALU_DEP_1)
	v_fma_f32 v154, -v151, v152, 1.0
	v_fmac_f32_e32 v152, v154, v152
	v_div_scale_f32 v154, vcc_lo, 1.0, v150, 1.0
	s_delay_alu instid0(VALU_DEP_1) | instskip(NEXT) | instid1(VALU_DEP_1)
	v_mul_f32_e32 v155, v154, v152
	v_fma_f32 v156, -v151, v155, v154
	s_delay_alu instid0(VALU_DEP_1) | instskip(NEXT) | instid1(VALU_DEP_1)
	v_fmac_f32_e32 v155, v156, v152
	v_fma_f32 v151, -v151, v155, v154
	s_delay_alu instid0(VALU_DEP_1) | instskip(NEXT) | instid1(VALU_DEP_1)
	v_div_fmas_f32 v151, v151, v152, v155
	v_div_fixup_f32 v152, v151, v150, 1.0
	s_delay_alu instid0(VALU_DEP_1)
	v_mul_f32_e64 v153, v153, -v152
.LBB55_169:
	s_or_b32 exec_lo, exec_lo, s1
	ds_store_b64 v171, v[152:153]
.LBB55_170:
	s_or_b32 exec_lo, exec_lo, s2
	s_wait_dscnt 0x0
	s_barrier_signal -1
	s_barrier_wait -1
	ds_load_b64 v[150:151], v171
	s_mov_b32 s1, exec_lo
	v_cmpx_lt_u32_e32 18, v170
	s_cbranch_execz .LBB55_172
; %bb.171:
	s_wait_dscnt 0x0
	v_pk_mul_f32 v[152:153], v[150:151], v[82:83] op_sel:[1,1] op_sel_hi:[0,1]
	s_delay_alu instid0(VALU_DEP_1)
	v_pk_fma_f32 v[156:157], v[150:151], v[82:83], v[152:153] op_sel_hi:[1,0,1] neg_lo:[0,0,1] neg_hi:[0,0,1]
	v_pk_fma_f32 v[158:159], v[150:151], v[82:83], v[152:153] op_sel_hi:[1,0,1]
	ds_load_2addr_b64 v[152:155], v172 offset0:19 offset1:20
	v_dual_mov_b32 v82, v156 :: v_dual_mov_b32 v83, v159
	s_wait_dscnt 0x0
	v_pk_mul_f32 v[160:161], v[152:153], v[158:159] op_sel:[0,1]
	s_delay_alu instid0(VALU_DEP_1) | instskip(SKIP_1) | instid1(VALU_DEP_1)
	v_pk_fma_f32 v[162:163], v[152:153], v[156:157], v[160:161] op_sel:[0,0,1] op_sel_hi:[1,1,0] neg_lo:[0,0,1] neg_hi:[0,0,1]
	v_pk_fma_f32 v[152:153], v[152:153], v[156:157], v[160:161] op_sel:[0,0,1] op_sel_hi:[1,0,0]
	v_mov_b32_e32 v163, v153
	v_pk_mul_f32 v[152:153], v[154:155], v[158:159] op_sel:[0,1]
	s_delay_alu instid0(VALU_DEP_1) | instskip(SKIP_1) | instid1(VALU_DEP_1)
	v_pk_fma_f32 v[160:161], v[154:155], v[156:157], v[152:153] op_sel:[0,0,1] op_sel_hi:[1,1,0] neg_lo:[0,0,1] neg_hi:[0,0,1]
	v_pk_fma_f32 v[152:153], v[154:155], v[156:157], v[152:153] op_sel:[0,0,1] op_sel_hi:[1,0,0]
	v_mov_b32_e32 v161, v153
	ds_load_2addr_b64 v[152:155], v172 offset0:21 offset1:22
	v_pk_add_f32 v[78:79], v[78:79], v[162:163] neg_lo:[0,1] neg_hi:[0,1]
	v_pk_add_f32 v[102:103], v[102:103], v[160:161] neg_lo:[0,1] neg_hi:[0,1]
	s_wait_dscnt 0x0
	v_pk_mul_f32 v[160:161], v[152:153], v[158:159] op_sel:[0,1]
	s_delay_alu instid0(VALU_DEP_1) | instskip(SKIP_2) | instid1(VALU_DEP_2)
	v_pk_fma_f32 v[162:163], v[152:153], v[156:157], v[160:161] op_sel:[0,0,1] op_sel_hi:[1,1,0] neg_lo:[0,0,1] neg_hi:[0,0,1]
	v_pk_fma_f32 v[152:153], v[152:153], v[156:157], v[160:161] op_sel:[0,0,1] op_sel_hi:[1,0,0]
	v_dual_mul_f32 v160, v155, v159 :: v_dual_mov_b32 v152, v155
	v_dual_mov_b32 v163, v153 :: v_dual_mov_b32 v153, v154
	s_delay_alu instid0(VALU_DEP_2) | instskip(SKIP_1) | instid1(VALU_DEP_3)
	v_pk_fma_f32 v[160:161], v[154:155], v[82:83], v[160:161] op_sel_hi:[1,1,0] neg_lo:[0,0,1] neg_hi:[0,0,1]
	v_mul_f32_e32 v154, v155, v156
	v_pk_add_f32 v[98:99], v[98:99], v[162:163] neg_lo:[0,1] neg_hi:[0,1]
	s_delay_alu instid0(VALU_DEP_2) | instskip(NEXT) | instid1(VALU_DEP_1)
	v_pk_fma_f32 v[152:153], v[152:153], v[82:83], v[154:155] op_sel_hi:[1,1,0]
	v_mov_b32_e32 v161, v153
	ds_load_2addr_b64 v[152:155], v172 offset0:23 offset1:24
	v_pk_add_f32 v[100:101], v[100:101], v[160:161] neg_lo:[0,1] neg_hi:[0,1]
	s_wait_dscnt 0x0
	v_pk_mul_f32 v[160:161], v[152:153], v[158:159] op_sel:[0,1]
	s_delay_alu instid0(VALU_DEP_1) | instskip(SKIP_1) | instid1(VALU_DEP_1)
	v_pk_fma_f32 v[162:163], v[152:153], v[156:157], v[160:161] op_sel:[0,0,1] op_sel_hi:[1,1,0] neg_lo:[0,0,1] neg_hi:[0,0,1]
	v_pk_fma_f32 v[152:153], v[152:153], v[156:157], v[160:161] op_sel:[0,0,1] op_sel_hi:[1,0,0]
	v_mov_b32_e32 v163, v153
	v_pk_mul_f32 v[152:153], v[154:155], v[158:159] op_sel:[0,1]
	s_delay_alu instid0(VALU_DEP_1) | instskip(SKIP_1) | instid1(VALU_DEP_1)
	v_pk_fma_f32 v[160:161], v[154:155], v[156:157], v[152:153] op_sel:[0,0,1] op_sel_hi:[1,1,0] neg_lo:[0,0,1] neg_hi:[0,0,1]
	v_pk_fma_f32 v[152:153], v[154:155], v[156:157], v[152:153] op_sel:[0,0,1] op_sel_hi:[1,0,0]
	v_mov_b32_e32 v161, v153
	ds_load_2addr_b64 v[152:155], v172 offset0:25 offset1:26
	v_pk_add_f32 v[96:97], v[96:97], v[162:163] neg_lo:[0,1] neg_hi:[0,1]
	v_pk_add_f32 v[110:111], v[110:111], v[160:161] neg_lo:[0,1] neg_hi:[0,1]
	s_wait_dscnt 0x0
	v_pk_mul_f32 v[160:161], v[152:153], v[158:159] op_sel:[0,1]
	s_delay_alu instid0(VALU_DEP_1) | instskip(SKIP_1) | instid1(VALU_DEP_1)
	v_pk_fma_f32 v[162:163], v[152:153], v[156:157], v[160:161] op_sel:[0,0,1] op_sel_hi:[1,1,0] neg_lo:[0,0,1] neg_hi:[0,0,1]
	v_pk_fma_f32 v[152:153], v[152:153], v[156:157], v[160:161] op_sel:[0,0,1] op_sel_hi:[1,0,0]
	v_mov_b32_e32 v163, v153
	v_pk_mul_f32 v[152:153], v[154:155], v[158:159] op_sel:[0,1]
	s_delay_alu instid0(VALU_DEP_1) | instskip(SKIP_1) | instid1(VALU_DEP_1)
	v_pk_fma_f32 v[160:161], v[154:155], v[156:157], v[152:153] op_sel:[0,0,1] op_sel_hi:[1,1,0] neg_lo:[0,0,1] neg_hi:[0,0,1]
	v_pk_fma_f32 v[152:153], v[154:155], v[156:157], v[152:153] op_sel:[0,0,1] op_sel_hi:[1,0,0]
	v_mov_b32_e32 v161, v153
	ds_load_b64 v[152:153], v172 offset:216
	v_pk_add_f32 v[108:109], v[108:109], v[162:163] neg_lo:[0,1] neg_hi:[0,1]
	v_pk_add_f32 v[106:107], v[106:107], v[160:161] neg_lo:[0,1] neg_hi:[0,1]
	s_wait_dscnt 0x0
	v_pk_mul_f32 v[154:155], v[152:153], v[158:159] op_sel:[0,1]
	s_delay_alu instid0(VALU_DEP_1) | instskip(SKIP_1) | instid1(VALU_DEP_1)
	v_pk_fma_f32 v[158:159], v[152:153], v[156:157], v[154:155] op_sel:[0,0,1] op_sel_hi:[1,1,0] neg_lo:[0,0,1] neg_hi:[0,0,1]
	v_pk_fma_f32 v[152:153], v[152:153], v[156:157], v[154:155] op_sel:[0,0,1] op_sel_hi:[1,0,0]
	v_mov_b32_e32 v159, v153
	s_delay_alu instid0(VALU_DEP_1)
	v_pk_add_f32 v[112:113], v[112:113], v[158:159] neg_lo:[0,1] neg_hi:[0,1]
.LBB55_172:
	s_or_b32 exec_lo, exec_lo, s1
	s_delay_alu instid0(SALU_CYCLE_1)
	s_mov_b32 s2, exec_lo
	s_wait_dscnt 0x0
	s_barrier_signal -1
	s_barrier_wait -1
	v_cmpx_eq_u32_e32 19, v170
	s_cbranch_execz .LBB55_179
; %bb.173:
	v_dual_mov_b32 v152, v102 :: v_dual_mov_b32 v153, v103
	v_dual_mov_b32 v154, v98 :: v_dual_mov_b32 v155, v99
	;; [unrolled: 1-line block ×7, first 2 shown]
	ds_store_b64 v171, v[78:79]
	ds_store_2addr_b64 v172, v[152:153], v[154:155] offset0:20 offset1:21
	ds_store_2addr_b64 v172, v[156:157], v[158:159] offset0:22 offset1:23
	;; [unrolled: 1-line block ×4, first 2 shown]
	ds_load_b64 v[152:153], v171
	s_wait_dscnt 0x0
	v_cmp_neq_f32_e32 vcc_lo, 0, v152
	v_cmp_neq_f32_e64 s1, 0, v153
	s_or_b32 s1, vcc_lo, s1
	s_delay_alu instid0(SALU_CYCLE_1)
	s_and_b32 exec_lo, exec_lo, s1
	s_cbranch_execz .LBB55_179
; %bb.174:
	v_cmp_ngt_f32_e64 s1, |v152|, |v153|
                                        ; implicit-def: $vgpr154_vgpr155
	s_and_saveexec_b32 s4, s1
	s_delay_alu instid0(SALU_CYCLE_1)
	s_xor_b32 s1, exec_lo, s4
	s_cbranch_execz .LBB55_176
; %bb.175:
	v_div_scale_f32 v154, null, v153, v153, v152
	v_div_scale_f32 v157, vcc_lo, v152, v153, v152
	s_delay_alu instid0(VALU_DEP_2) | instskip(SKIP_1) | instid1(TRANS32_DEP_1)
	v_rcp_f32_e32 v155, v154
	v_nop
	v_fma_f32 v156, -v154, v155, 1.0
	s_delay_alu instid0(VALU_DEP_1) | instskip(NEXT) | instid1(VALU_DEP_1)
	v_fmac_f32_e32 v155, v156, v155
	v_mul_f32_e32 v156, v157, v155
	s_delay_alu instid0(VALU_DEP_1) | instskip(NEXT) | instid1(VALU_DEP_1)
	v_fma_f32 v158, -v154, v156, v157
	v_fmac_f32_e32 v156, v158, v155
	s_delay_alu instid0(VALU_DEP_1) | instskip(NEXT) | instid1(VALU_DEP_1)
	v_fma_f32 v154, -v154, v156, v157
	v_div_fmas_f32 v154, v154, v155, v156
	s_delay_alu instid0(VALU_DEP_1) | instskip(NEXT) | instid1(VALU_DEP_1)
	v_div_fixup_f32 v154, v154, v153, v152
	v_fmac_f32_e32 v153, v152, v154
	s_delay_alu instid0(VALU_DEP_1) | instskip(SKIP_1) | instid1(VALU_DEP_2)
	v_div_scale_f32 v152, null, v153, v153, 1.0
	v_div_scale_f32 v157, vcc_lo, 1.0, v153, 1.0
	v_rcp_f32_e32 v155, v152
	v_nop
	s_delay_alu instid0(TRANS32_DEP_1) | instskip(NEXT) | instid1(VALU_DEP_1)
	v_fma_f32 v156, -v152, v155, 1.0
	v_fmac_f32_e32 v155, v156, v155
	s_delay_alu instid0(VALU_DEP_1) | instskip(NEXT) | instid1(VALU_DEP_1)
	v_mul_f32_e32 v156, v157, v155
	v_fma_f32 v158, -v152, v156, v157
	s_delay_alu instid0(VALU_DEP_1) | instskip(NEXT) | instid1(VALU_DEP_1)
	v_fmac_f32_e32 v156, v158, v155
	v_fma_f32 v152, -v152, v156, v157
	s_delay_alu instid0(VALU_DEP_1) | instskip(NEXT) | instid1(VALU_DEP_1)
	v_div_fmas_f32 v152, v152, v155, v156
	v_div_fixup_f32 v152, v152, v153, 1.0
	s_delay_alu instid0(VALU_DEP_1)
	v_mul_f32_e32 v154, v154, v152
	v_xor_b32_e32 v155, 0x80000000, v152
                                        ; implicit-def: $vgpr152_vgpr153
.LBB55_176:
	s_and_not1_saveexec_b32 s1, s1
	s_cbranch_execz .LBB55_178
; %bb.177:
	v_div_scale_f32 v154, null, v152, v152, v153
	v_div_scale_f32 v157, vcc_lo, v153, v152, v153
	s_delay_alu instid0(VALU_DEP_2) | instskip(SKIP_1) | instid1(TRANS32_DEP_1)
	v_rcp_f32_e32 v155, v154
	v_nop
	v_fma_f32 v156, -v154, v155, 1.0
	s_delay_alu instid0(VALU_DEP_1) | instskip(NEXT) | instid1(VALU_DEP_1)
	v_fmac_f32_e32 v155, v156, v155
	v_mul_f32_e32 v156, v157, v155
	s_delay_alu instid0(VALU_DEP_1) | instskip(NEXT) | instid1(VALU_DEP_1)
	v_fma_f32 v158, -v154, v156, v157
	v_fmac_f32_e32 v156, v158, v155
	s_delay_alu instid0(VALU_DEP_1) | instskip(NEXT) | instid1(VALU_DEP_1)
	v_fma_f32 v154, -v154, v156, v157
	v_div_fmas_f32 v154, v154, v155, v156
	s_delay_alu instid0(VALU_DEP_1) | instskip(NEXT) | instid1(VALU_DEP_1)
	v_div_fixup_f32 v155, v154, v152, v153
	v_fmac_f32_e32 v152, v153, v155
	s_delay_alu instid0(VALU_DEP_1) | instskip(NEXT) | instid1(VALU_DEP_1)
	v_div_scale_f32 v153, null, v152, v152, 1.0
	v_rcp_f32_e32 v154, v153
	v_nop
	s_delay_alu instid0(TRANS32_DEP_1) | instskip(NEXT) | instid1(VALU_DEP_1)
	v_fma_f32 v156, -v153, v154, 1.0
	v_fmac_f32_e32 v154, v156, v154
	v_div_scale_f32 v156, vcc_lo, 1.0, v152, 1.0
	s_delay_alu instid0(VALU_DEP_1) | instskip(NEXT) | instid1(VALU_DEP_1)
	v_mul_f32_e32 v157, v156, v154
	v_fma_f32 v158, -v153, v157, v156
	s_delay_alu instid0(VALU_DEP_1) | instskip(NEXT) | instid1(VALU_DEP_1)
	v_fmac_f32_e32 v157, v158, v154
	v_fma_f32 v153, -v153, v157, v156
	s_delay_alu instid0(VALU_DEP_1) | instskip(NEXT) | instid1(VALU_DEP_1)
	v_div_fmas_f32 v153, v153, v154, v157
	v_div_fixup_f32 v154, v153, v152, 1.0
	s_delay_alu instid0(VALU_DEP_1)
	v_mul_f32_e64 v155, v155, -v154
.LBB55_178:
	s_or_b32 exec_lo, exec_lo, s1
	ds_store_b64 v171, v[154:155]
.LBB55_179:
	s_or_b32 exec_lo, exec_lo, s2
	s_wait_dscnt 0x0
	s_barrier_signal -1
	s_barrier_wait -1
	ds_load_b64 v[152:153], v171
	s_mov_b32 s1, exec_lo
	v_cmpx_lt_u32_e32 19, v170
	s_cbranch_execz .LBB55_181
; %bb.180:
	s_wait_dscnt 0x0
	v_pk_mul_f32 v[154:155], v[152:153], v[78:79] op_sel:[1,1] op_sel_hi:[0,1]
	s_delay_alu instid0(VALU_DEP_1)
	v_pk_fma_f32 v[158:159], v[152:153], v[78:79], v[154:155] op_sel_hi:[1,0,1] neg_lo:[0,0,1] neg_hi:[0,0,1]
	v_pk_fma_f32 v[160:161], v[152:153], v[78:79], v[154:155] op_sel_hi:[1,0,1]
	ds_load_2addr_b64 v[154:157], v172 offset0:20 offset1:21
	v_dual_mov_b32 v78, v158 :: v_dual_mov_b32 v79, v161
	s_wait_dscnt 0x0
	v_pk_mul_f32 v[162:163], v[154:155], v[160:161] op_sel:[0,1]
	s_delay_alu instid0(VALU_DEP_1) | instskip(SKIP_1) | instid1(VALU_DEP_1)
	v_pk_fma_f32 v[164:165], v[154:155], v[158:159], v[162:163] op_sel:[0,0,1] op_sel_hi:[1,1,0] neg_lo:[0,0,1] neg_hi:[0,0,1]
	v_pk_fma_f32 v[154:155], v[154:155], v[158:159], v[162:163] op_sel:[0,0,1] op_sel_hi:[1,0,0]
	v_mov_b32_e32 v165, v155
	v_pk_mul_f32 v[154:155], v[156:157], v[160:161] op_sel:[0,1]
	s_delay_alu instid0(VALU_DEP_1) | instskip(SKIP_1) | instid1(VALU_DEP_1)
	v_pk_fma_f32 v[162:163], v[156:157], v[158:159], v[154:155] op_sel:[0,0,1] op_sel_hi:[1,1,0] neg_lo:[0,0,1] neg_hi:[0,0,1]
	v_pk_fma_f32 v[154:155], v[156:157], v[158:159], v[154:155] op_sel:[0,0,1] op_sel_hi:[1,0,0]
	v_mov_b32_e32 v163, v155
	ds_load_2addr_b64 v[154:157], v172 offset0:22 offset1:23
	v_pk_add_f32 v[102:103], v[102:103], v[164:165] neg_lo:[0,1] neg_hi:[0,1]
	v_pk_add_f32 v[98:99], v[98:99], v[162:163] neg_lo:[0,1] neg_hi:[0,1]
	s_wait_dscnt 0x0
	v_pk_mul_f32 v[162:163], v[154:155], v[160:161] op_sel:[0,1]
	s_delay_alu instid0(VALU_DEP_1) | instskip(SKIP_2) | instid1(VALU_DEP_2)
	v_pk_fma_f32 v[164:165], v[154:155], v[158:159], v[162:163] op_sel:[0,0,1] op_sel_hi:[1,1,0] neg_lo:[0,0,1] neg_hi:[0,0,1]
	v_pk_fma_f32 v[154:155], v[154:155], v[158:159], v[162:163] op_sel:[0,0,1] op_sel_hi:[1,0,0]
	v_dual_mul_f32 v162, v157, v161 :: v_dual_mov_b32 v154, v157
	v_dual_mov_b32 v165, v155 :: v_dual_mov_b32 v155, v156
	s_delay_alu instid0(VALU_DEP_2) | instskip(SKIP_1) | instid1(VALU_DEP_3)
	v_pk_fma_f32 v[162:163], v[156:157], v[78:79], v[162:163] op_sel_hi:[1,1,0] neg_lo:[0,0,1] neg_hi:[0,0,1]
	v_mul_f32_e32 v156, v157, v158
	v_pk_add_f32 v[100:101], v[100:101], v[164:165] neg_lo:[0,1] neg_hi:[0,1]
	s_delay_alu instid0(VALU_DEP_2) | instskip(NEXT) | instid1(VALU_DEP_1)
	v_pk_fma_f32 v[154:155], v[154:155], v[78:79], v[156:157] op_sel_hi:[1,1,0]
	v_mov_b32_e32 v163, v155
	ds_load_2addr_b64 v[154:157], v172 offset0:24 offset1:25
	v_pk_add_f32 v[96:97], v[96:97], v[162:163] neg_lo:[0,1] neg_hi:[0,1]
	s_wait_dscnt 0x0
	v_pk_mul_f32 v[162:163], v[154:155], v[160:161] op_sel:[0,1]
	s_delay_alu instid0(VALU_DEP_1) | instskip(SKIP_1) | instid1(VALU_DEP_1)
	v_pk_fma_f32 v[164:165], v[154:155], v[158:159], v[162:163] op_sel:[0,0,1] op_sel_hi:[1,1,0] neg_lo:[0,0,1] neg_hi:[0,0,1]
	v_pk_fma_f32 v[154:155], v[154:155], v[158:159], v[162:163] op_sel:[0,0,1] op_sel_hi:[1,0,0]
	v_mov_b32_e32 v165, v155
	v_pk_mul_f32 v[154:155], v[156:157], v[160:161] op_sel:[0,1]
	s_delay_alu instid0(VALU_DEP_1) | instskip(SKIP_1) | instid1(VALU_DEP_1)
	v_pk_fma_f32 v[162:163], v[156:157], v[158:159], v[154:155] op_sel:[0,0,1] op_sel_hi:[1,1,0] neg_lo:[0,0,1] neg_hi:[0,0,1]
	v_pk_fma_f32 v[154:155], v[156:157], v[158:159], v[154:155] op_sel:[0,0,1] op_sel_hi:[1,0,0]
	v_mov_b32_e32 v163, v155
	ds_load_2addr_b64 v[154:157], v172 offset0:26 offset1:27
	v_pk_add_f32 v[110:111], v[110:111], v[164:165] neg_lo:[0,1] neg_hi:[0,1]
	v_pk_add_f32 v[108:109], v[108:109], v[162:163] neg_lo:[0,1] neg_hi:[0,1]
	s_wait_dscnt 0x0
	v_pk_mul_f32 v[162:163], v[154:155], v[160:161] op_sel:[0,1]
	s_delay_alu instid0(VALU_DEP_1) | instskip(SKIP_1) | instid1(VALU_DEP_1)
	v_pk_fma_f32 v[164:165], v[154:155], v[158:159], v[162:163] op_sel:[0,0,1] op_sel_hi:[1,1,0] neg_lo:[0,0,1] neg_hi:[0,0,1]
	v_pk_fma_f32 v[154:155], v[154:155], v[158:159], v[162:163] op_sel:[0,0,1] op_sel_hi:[1,0,0]
	v_mov_b32_e32 v165, v155
	v_pk_mul_f32 v[154:155], v[156:157], v[160:161] op_sel:[0,1]
	s_delay_alu instid0(VALU_DEP_1) | instskip(SKIP_1) | instid1(VALU_DEP_1)
	v_pk_fma_f32 v[160:161], v[156:157], v[158:159], v[154:155] op_sel:[0,0,1] op_sel_hi:[1,1,0] neg_lo:[0,0,1] neg_hi:[0,0,1]
	v_pk_fma_f32 v[154:155], v[156:157], v[158:159], v[154:155] op_sel:[0,0,1] op_sel_hi:[1,0,0]
	v_mov_b32_e32 v161, v155
	v_pk_add_f32 v[106:107], v[106:107], v[164:165] neg_lo:[0,1] neg_hi:[0,1]
	s_delay_alu instid0(VALU_DEP_2)
	v_pk_add_f32 v[112:113], v[112:113], v[160:161] neg_lo:[0,1] neg_hi:[0,1]
.LBB55_181:
	s_or_b32 exec_lo, exec_lo, s1
	s_delay_alu instid0(SALU_CYCLE_1)
	s_mov_b32 s2, exec_lo
	s_wait_dscnt 0x0
	s_barrier_signal -1
	s_barrier_wait -1
	v_cmpx_eq_u32_e32 20, v170
	s_cbranch_execz .LBB55_188
; %bb.182:
	ds_store_b64 v171, v[102:103]
	ds_store_2addr_b64 v172, v[98:99], v[100:101] offset0:21 offset1:22
	ds_store_2addr_b64 v172, v[96:97], v[110:111] offset0:23 offset1:24
	;; [unrolled: 1-line block ×3, first 2 shown]
	ds_store_b64 v172, v[112:113] offset:216
	ds_load_b64 v[154:155], v171
	s_wait_dscnt 0x0
	v_cmp_neq_f32_e32 vcc_lo, 0, v154
	v_cmp_neq_f32_e64 s1, 0, v155
	s_or_b32 s1, vcc_lo, s1
	s_delay_alu instid0(SALU_CYCLE_1)
	s_and_b32 exec_lo, exec_lo, s1
	s_cbranch_execz .LBB55_188
; %bb.183:
	v_cmp_ngt_f32_e64 s1, |v154|, |v155|
                                        ; implicit-def: $vgpr156_vgpr157
	s_and_saveexec_b32 s4, s1
	s_delay_alu instid0(SALU_CYCLE_1)
	s_xor_b32 s1, exec_lo, s4
	s_cbranch_execz .LBB55_185
; %bb.184:
	v_div_scale_f32 v156, null, v155, v155, v154
	v_div_scale_f32 v159, vcc_lo, v154, v155, v154
	s_delay_alu instid0(VALU_DEP_2) | instskip(SKIP_1) | instid1(TRANS32_DEP_1)
	v_rcp_f32_e32 v157, v156
	v_nop
	v_fma_f32 v158, -v156, v157, 1.0
	s_delay_alu instid0(VALU_DEP_1) | instskip(NEXT) | instid1(VALU_DEP_1)
	v_fmac_f32_e32 v157, v158, v157
	v_mul_f32_e32 v158, v159, v157
	s_delay_alu instid0(VALU_DEP_1) | instskip(NEXT) | instid1(VALU_DEP_1)
	v_fma_f32 v160, -v156, v158, v159
	v_fmac_f32_e32 v158, v160, v157
	s_delay_alu instid0(VALU_DEP_1) | instskip(NEXT) | instid1(VALU_DEP_1)
	v_fma_f32 v156, -v156, v158, v159
	v_div_fmas_f32 v156, v156, v157, v158
	s_delay_alu instid0(VALU_DEP_1) | instskip(NEXT) | instid1(VALU_DEP_1)
	v_div_fixup_f32 v156, v156, v155, v154
	v_fmac_f32_e32 v155, v154, v156
	s_delay_alu instid0(VALU_DEP_1) | instskip(SKIP_1) | instid1(VALU_DEP_2)
	v_div_scale_f32 v154, null, v155, v155, 1.0
	v_div_scale_f32 v159, vcc_lo, 1.0, v155, 1.0
	v_rcp_f32_e32 v157, v154
	v_nop
	s_delay_alu instid0(TRANS32_DEP_1) | instskip(NEXT) | instid1(VALU_DEP_1)
	v_fma_f32 v158, -v154, v157, 1.0
	v_fmac_f32_e32 v157, v158, v157
	s_delay_alu instid0(VALU_DEP_1) | instskip(NEXT) | instid1(VALU_DEP_1)
	v_mul_f32_e32 v158, v159, v157
	v_fma_f32 v160, -v154, v158, v159
	s_delay_alu instid0(VALU_DEP_1) | instskip(NEXT) | instid1(VALU_DEP_1)
	v_fmac_f32_e32 v158, v160, v157
	v_fma_f32 v154, -v154, v158, v159
	s_delay_alu instid0(VALU_DEP_1) | instskip(NEXT) | instid1(VALU_DEP_1)
	v_div_fmas_f32 v154, v154, v157, v158
	v_div_fixup_f32 v154, v154, v155, 1.0
	s_delay_alu instid0(VALU_DEP_1)
	v_mul_f32_e32 v156, v156, v154
	v_xor_b32_e32 v157, 0x80000000, v154
                                        ; implicit-def: $vgpr154_vgpr155
.LBB55_185:
	s_and_not1_saveexec_b32 s1, s1
	s_cbranch_execz .LBB55_187
; %bb.186:
	v_div_scale_f32 v156, null, v154, v154, v155
	v_div_scale_f32 v159, vcc_lo, v155, v154, v155
	s_delay_alu instid0(VALU_DEP_2) | instskip(SKIP_1) | instid1(TRANS32_DEP_1)
	v_rcp_f32_e32 v157, v156
	v_nop
	v_fma_f32 v158, -v156, v157, 1.0
	s_delay_alu instid0(VALU_DEP_1) | instskip(NEXT) | instid1(VALU_DEP_1)
	v_fmac_f32_e32 v157, v158, v157
	v_mul_f32_e32 v158, v159, v157
	s_delay_alu instid0(VALU_DEP_1) | instskip(NEXT) | instid1(VALU_DEP_1)
	v_fma_f32 v160, -v156, v158, v159
	v_fmac_f32_e32 v158, v160, v157
	s_delay_alu instid0(VALU_DEP_1) | instskip(NEXT) | instid1(VALU_DEP_1)
	v_fma_f32 v156, -v156, v158, v159
	v_div_fmas_f32 v156, v156, v157, v158
	s_delay_alu instid0(VALU_DEP_1) | instskip(NEXT) | instid1(VALU_DEP_1)
	v_div_fixup_f32 v157, v156, v154, v155
	v_fmac_f32_e32 v154, v155, v157
	s_delay_alu instid0(VALU_DEP_1) | instskip(NEXT) | instid1(VALU_DEP_1)
	v_div_scale_f32 v155, null, v154, v154, 1.0
	v_rcp_f32_e32 v156, v155
	v_nop
	s_delay_alu instid0(TRANS32_DEP_1) | instskip(NEXT) | instid1(VALU_DEP_1)
	v_fma_f32 v158, -v155, v156, 1.0
	v_fmac_f32_e32 v156, v158, v156
	v_div_scale_f32 v158, vcc_lo, 1.0, v154, 1.0
	s_delay_alu instid0(VALU_DEP_1) | instskip(NEXT) | instid1(VALU_DEP_1)
	v_mul_f32_e32 v159, v158, v156
	v_fma_f32 v160, -v155, v159, v158
	s_delay_alu instid0(VALU_DEP_1) | instskip(NEXT) | instid1(VALU_DEP_1)
	v_fmac_f32_e32 v159, v160, v156
	v_fma_f32 v155, -v155, v159, v158
	s_delay_alu instid0(VALU_DEP_1) | instskip(NEXT) | instid1(VALU_DEP_1)
	v_div_fmas_f32 v155, v155, v156, v159
	v_div_fixup_f32 v156, v155, v154, 1.0
	s_delay_alu instid0(VALU_DEP_1)
	v_mul_f32_e64 v157, v157, -v156
.LBB55_187:
	s_or_b32 exec_lo, exec_lo, s1
	ds_store_b64 v171, v[156:157]
.LBB55_188:
	s_or_b32 exec_lo, exec_lo, s2
	s_wait_dscnt 0x0
	s_barrier_signal -1
	s_barrier_wait -1
	ds_load_b64 v[154:155], v171
	s_mov_b32 s1, exec_lo
	v_cmpx_lt_u32_e32 20, v170
	s_cbranch_execz .LBB55_190
; %bb.189:
	s_wait_dscnt 0x0
	v_pk_mul_f32 v[156:157], v[154:155], v[102:103] op_sel:[1,1] op_sel_hi:[0,1]
	s_delay_alu instid0(VALU_DEP_1)
	v_pk_fma_f32 v[160:161], v[154:155], v[102:103], v[156:157] op_sel_hi:[1,0,1] neg_lo:[0,0,1] neg_hi:[0,0,1]
	v_pk_fma_f32 v[162:163], v[154:155], v[102:103], v[156:157] op_sel_hi:[1,0,1]
	ds_load_2addr_b64 v[156:159], v172 offset0:21 offset1:22
	v_dual_mov_b32 v102, v160 :: v_dual_mov_b32 v103, v163
	s_wait_dscnt 0x0
	v_pk_mul_f32 v[164:165], v[156:157], v[162:163] op_sel:[0,1]
	s_delay_alu instid0(VALU_DEP_1) | instskip(SKIP_1) | instid1(VALU_DEP_1)
	v_pk_fma_f32 v[166:167], v[156:157], v[160:161], v[164:165] op_sel:[0,0,1] op_sel_hi:[1,1,0] neg_lo:[0,0,1] neg_hi:[0,0,1]
	v_pk_fma_f32 v[156:157], v[156:157], v[160:161], v[164:165] op_sel:[0,0,1] op_sel_hi:[1,0,0]
	v_mov_b32_e32 v167, v157
	v_pk_mul_f32 v[156:157], v[158:159], v[162:163] op_sel:[0,1]
	s_delay_alu instid0(VALU_DEP_1) | instskip(SKIP_1) | instid1(VALU_DEP_1)
	v_pk_fma_f32 v[164:165], v[158:159], v[160:161], v[156:157] op_sel:[0,0,1] op_sel_hi:[1,1,0] neg_lo:[0,0,1] neg_hi:[0,0,1]
	v_pk_fma_f32 v[156:157], v[158:159], v[160:161], v[156:157] op_sel:[0,0,1] op_sel_hi:[1,0,0]
	v_mov_b32_e32 v165, v157
	ds_load_2addr_b64 v[156:159], v172 offset0:23 offset1:24
	v_pk_add_f32 v[98:99], v[98:99], v[166:167] neg_lo:[0,1] neg_hi:[0,1]
	v_pk_add_f32 v[100:101], v[100:101], v[164:165] neg_lo:[0,1] neg_hi:[0,1]
	s_wait_dscnt 0x0
	v_pk_mul_f32 v[164:165], v[156:157], v[162:163] op_sel:[0,1]
	s_delay_alu instid0(VALU_DEP_1) | instskip(SKIP_2) | instid1(VALU_DEP_2)
	v_pk_fma_f32 v[166:167], v[156:157], v[160:161], v[164:165] op_sel:[0,0,1] op_sel_hi:[1,1,0] neg_lo:[0,0,1] neg_hi:[0,0,1]
	v_pk_fma_f32 v[156:157], v[156:157], v[160:161], v[164:165] op_sel:[0,0,1] op_sel_hi:[1,0,0]
	v_dual_mul_f32 v164, v159, v163 :: v_dual_mov_b32 v156, v159
	v_dual_mov_b32 v167, v157 :: v_dual_mov_b32 v157, v158
	s_delay_alu instid0(VALU_DEP_2) | instskip(SKIP_1) | instid1(VALU_DEP_3)
	v_pk_fma_f32 v[164:165], v[158:159], v[102:103], v[164:165] op_sel_hi:[1,1,0] neg_lo:[0,0,1] neg_hi:[0,0,1]
	v_mul_f32_e32 v158, v159, v160
	v_pk_add_f32 v[96:97], v[96:97], v[166:167] neg_lo:[0,1] neg_hi:[0,1]
	s_delay_alu instid0(VALU_DEP_2) | instskip(NEXT) | instid1(VALU_DEP_1)
	v_pk_fma_f32 v[156:157], v[156:157], v[102:103], v[158:159] op_sel_hi:[1,1,0]
	v_mov_b32_e32 v165, v157
	ds_load_2addr_b64 v[156:159], v172 offset0:25 offset1:26
	v_pk_add_f32 v[110:111], v[110:111], v[164:165] neg_lo:[0,1] neg_hi:[0,1]
	s_wait_dscnt 0x0
	v_pk_mul_f32 v[164:165], v[156:157], v[162:163] op_sel:[0,1]
	s_delay_alu instid0(VALU_DEP_1) | instskip(SKIP_1) | instid1(VALU_DEP_1)
	v_pk_fma_f32 v[166:167], v[156:157], v[160:161], v[164:165] op_sel:[0,0,1] op_sel_hi:[1,1,0] neg_lo:[0,0,1] neg_hi:[0,0,1]
	v_pk_fma_f32 v[156:157], v[156:157], v[160:161], v[164:165] op_sel:[0,0,1] op_sel_hi:[1,0,0]
	v_mov_b32_e32 v167, v157
	v_pk_mul_f32 v[156:157], v[158:159], v[162:163] op_sel:[0,1]
	s_delay_alu instid0(VALU_DEP_1) | instskip(SKIP_1) | instid1(VALU_DEP_1)
	v_pk_fma_f32 v[164:165], v[158:159], v[160:161], v[156:157] op_sel:[0,0,1] op_sel_hi:[1,1,0] neg_lo:[0,0,1] neg_hi:[0,0,1]
	v_pk_fma_f32 v[156:157], v[158:159], v[160:161], v[156:157] op_sel:[0,0,1] op_sel_hi:[1,0,0]
	v_mov_b32_e32 v165, v157
	ds_load_b64 v[156:157], v172 offset:216
	v_pk_add_f32 v[108:109], v[108:109], v[166:167] neg_lo:[0,1] neg_hi:[0,1]
	v_pk_add_f32 v[106:107], v[106:107], v[164:165] neg_lo:[0,1] neg_hi:[0,1]
	s_wait_dscnt 0x0
	v_pk_mul_f32 v[158:159], v[156:157], v[162:163] op_sel:[0,1]
	s_delay_alu instid0(VALU_DEP_1) | instskip(SKIP_1) | instid1(VALU_DEP_1)
	v_pk_fma_f32 v[162:163], v[156:157], v[160:161], v[158:159] op_sel:[0,0,1] op_sel_hi:[1,1,0] neg_lo:[0,0,1] neg_hi:[0,0,1]
	v_pk_fma_f32 v[156:157], v[156:157], v[160:161], v[158:159] op_sel:[0,0,1] op_sel_hi:[1,0,0]
	v_mov_b32_e32 v163, v157
	s_delay_alu instid0(VALU_DEP_1)
	v_pk_add_f32 v[112:113], v[112:113], v[162:163] neg_lo:[0,1] neg_hi:[0,1]
.LBB55_190:
	s_or_b32 exec_lo, exec_lo, s1
	s_delay_alu instid0(SALU_CYCLE_1)
	s_mov_b32 s2, exec_lo
	s_wait_dscnt 0x0
	s_barrier_signal -1
	s_barrier_wait -1
	v_cmpx_eq_u32_e32 21, v170
	s_cbranch_execz .LBB55_197
; %bb.191:
	v_dual_mov_b32 v156, v100 :: v_dual_mov_b32 v157, v101
	v_dual_mov_b32 v158, v96 :: v_dual_mov_b32 v159, v97
	v_dual_mov_b32 v160, v110 :: v_dual_mov_b32 v161, v111
	v_dual_mov_b32 v162, v108 :: v_dual_mov_b32 v163, v109
	v_dual_mov_b32 v164, v106 :: v_dual_mov_b32 v165, v107
	ds_store_b64 v171, v[98:99]
	ds_store_2addr_b64 v172, v[156:157], v[158:159] offset0:22 offset1:23
	ds_store_2addr_b64 v172, v[160:161], v[162:163] offset0:24 offset1:25
	;; [unrolled: 1-line block ×3, first 2 shown]
	ds_load_b64 v[156:157], v171
	s_wait_dscnt 0x0
	v_cmp_neq_f32_e32 vcc_lo, 0, v156
	v_cmp_neq_f32_e64 s1, 0, v157
	s_or_b32 s1, vcc_lo, s1
	s_delay_alu instid0(SALU_CYCLE_1)
	s_and_b32 exec_lo, exec_lo, s1
	s_cbranch_execz .LBB55_197
; %bb.192:
	v_cmp_ngt_f32_e64 s1, |v156|, |v157|
                                        ; implicit-def: $vgpr158_vgpr159
	s_and_saveexec_b32 s4, s1
	s_delay_alu instid0(SALU_CYCLE_1)
	s_xor_b32 s1, exec_lo, s4
	s_cbranch_execz .LBB55_194
; %bb.193:
	v_div_scale_f32 v158, null, v157, v157, v156
	v_div_scale_f32 v161, vcc_lo, v156, v157, v156
	s_delay_alu instid0(VALU_DEP_2) | instskip(SKIP_1) | instid1(TRANS32_DEP_1)
	v_rcp_f32_e32 v159, v158
	v_nop
	v_fma_f32 v160, -v158, v159, 1.0
	s_delay_alu instid0(VALU_DEP_1) | instskip(NEXT) | instid1(VALU_DEP_1)
	v_fmac_f32_e32 v159, v160, v159
	v_mul_f32_e32 v160, v161, v159
	s_delay_alu instid0(VALU_DEP_1) | instskip(NEXT) | instid1(VALU_DEP_1)
	v_fma_f32 v162, -v158, v160, v161
	v_fmac_f32_e32 v160, v162, v159
	s_delay_alu instid0(VALU_DEP_1) | instskip(NEXT) | instid1(VALU_DEP_1)
	v_fma_f32 v158, -v158, v160, v161
	v_div_fmas_f32 v158, v158, v159, v160
	s_delay_alu instid0(VALU_DEP_1) | instskip(NEXT) | instid1(VALU_DEP_1)
	v_div_fixup_f32 v158, v158, v157, v156
	v_fmac_f32_e32 v157, v156, v158
	s_delay_alu instid0(VALU_DEP_1) | instskip(SKIP_1) | instid1(VALU_DEP_2)
	v_div_scale_f32 v156, null, v157, v157, 1.0
	v_div_scale_f32 v161, vcc_lo, 1.0, v157, 1.0
	v_rcp_f32_e32 v159, v156
	v_nop
	s_delay_alu instid0(TRANS32_DEP_1) | instskip(NEXT) | instid1(VALU_DEP_1)
	v_fma_f32 v160, -v156, v159, 1.0
	v_fmac_f32_e32 v159, v160, v159
	s_delay_alu instid0(VALU_DEP_1) | instskip(NEXT) | instid1(VALU_DEP_1)
	v_mul_f32_e32 v160, v161, v159
	v_fma_f32 v162, -v156, v160, v161
	s_delay_alu instid0(VALU_DEP_1) | instskip(NEXT) | instid1(VALU_DEP_1)
	v_fmac_f32_e32 v160, v162, v159
	v_fma_f32 v156, -v156, v160, v161
	s_delay_alu instid0(VALU_DEP_1) | instskip(NEXT) | instid1(VALU_DEP_1)
	v_div_fmas_f32 v156, v156, v159, v160
	v_div_fixup_f32 v156, v156, v157, 1.0
	s_delay_alu instid0(VALU_DEP_1)
	v_mul_f32_e32 v158, v158, v156
	v_xor_b32_e32 v159, 0x80000000, v156
                                        ; implicit-def: $vgpr156_vgpr157
.LBB55_194:
	s_and_not1_saveexec_b32 s1, s1
	s_cbranch_execz .LBB55_196
; %bb.195:
	v_div_scale_f32 v158, null, v156, v156, v157
	v_div_scale_f32 v161, vcc_lo, v157, v156, v157
	s_delay_alu instid0(VALU_DEP_2) | instskip(SKIP_1) | instid1(TRANS32_DEP_1)
	v_rcp_f32_e32 v159, v158
	v_nop
	v_fma_f32 v160, -v158, v159, 1.0
	s_delay_alu instid0(VALU_DEP_1) | instskip(NEXT) | instid1(VALU_DEP_1)
	v_fmac_f32_e32 v159, v160, v159
	v_mul_f32_e32 v160, v161, v159
	s_delay_alu instid0(VALU_DEP_1) | instskip(NEXT) | instid1(VALU_DEP_1)
	v_fma_f32 v162, -v158, v160, v161
	v_fmac_f32_e32 v160, v162, v159
	s_delay_alu instid0(VALU_DEP_1) | instskip(NEXT) | instid1(VALU_DEP_1)
	v_fma_f32 v158, -v158, v160, v161
	v_div_fmas_f32 v158, v158, v159, v160
	s_delay_alu instid0(VALU_DEP_1) | instskip(NEXT) | instid1(VALU_DEP_1)
	v_div_fixup_f32 v159, v158, v156, v157
	v_fmac_f32_e32 v156, v157, v159
	s_delay_alu instid0(VALU_DEP_1) | instskip(NEXT) | instid1(VALU_DEP_1)
	v_div_scale_f32 v157, null, v156, v156, 1.0
	v_rcp_f32_e32 v158, v157
	v_nop
	s_delay_alu instid0(TRANS32_DEP_1) | instskip(NEXT) | instid1(VALU_DEP_1)
	v_fma_f32 v160, -v157, v158, 1.0
	v_fmac_f32_e32 v158, v160, v158
	v_div_scale_f32 v160, vcc_lo, 1.0, v156, 1.0
	s_delay_alu instid0(VALU_DEP_1) | instskip(NEXT) | instid1(VALU_DEP_1)
	v_mul_f32_e32 v161, v160, v158
	v_fma_f32 v162, -v157, v161, v160
	s_delay_alu instid0(VALU_DEP_1) | instskip(NEXT) | instid1(VALU_DEP_1)
	v_fmac_f32_e32 v161, v162, v158
	v_fma_f32 v157, -v157, v161, v160
	s_delay_alu instid0(VALU_DEP_1) | instskip(NEXT) | instid1(VALU_DEP_1)
	v_div_fmas_f32 v157, v157, v158, v161
	v_div_fixup_f32 v158, v157, v156, 1.0
	s_delay_alu instid0(VALU_DEP_1)
	v_mul_f32_e64 v159, v159, -v158
.LBB55_196:
	s_or_b32 exec_lo, exec_lo, s1
	ds_store_b64 v171, v[158:159]
.LBB55_197:
	s_or_b32 exec_lo, exec_lo, s2
	s_wait_dscnt 0x0
	s_barrier_signal -1
	s_barrier_wait -1
	ds_load_b64 v[156:157], v171
	s_mov_b32 s1, exec_lo
	v_cmpx_lt_u32_e32 21, v170
	s_cbranch_execz .LBB55_199
; %bb.198:
	s_wait_dscnt 0x0
	v_pk_mul_f32 v[158:159], v[156:157], v[98:99] op_sel:[1,1] op_sel_hi:[0,1]
	s_delay_alu instid0(VALU_DEP_1)
	v_pk_fma_f32 v[162:163], v[156:157], v[98:99], v[158:159] op_sel_hi:[1,0,1] neg_lo:[0,0,1] neg_hi:[0,0,1]
	v_pk_fma_f32 v[164:165], v[156:157], v[98:99], v[158:159] op_sel_hi:[1,0,1]
	ds_load_2addr_b64 v[158:161], v172 offset0:22 offset1:23
	v_dual_mov_b32 v98, v162 :: v_dual_mov_b32 v99, v165
	s_wait_dscnt 0x0
	v_pk_mul_f32 v[166:167], v[158:159], v[164:165] op_sel:[0,1]
	s_delay_alu instid0(VALU_DEP_1) | instskip(SKIP_1) | instid1(VALU_DEP_1)
	v_pk_fma_f32 v[168:169], v[158:159], v[162:163], v[166:167] op_sel:[0,0,1] op_sel_hi:[1,1,0] neg_lo:[0,0,1] neg_hi:[0,0,1]
	v_pk_fma_f32 v[158:159], v[158:159], v[162:163], v[166:167] op_sel:[0,0,1] op_sel_hi:[1,0,0]
	v_mov_b32_e32 v169, v159
	v_pk_mul_f32 v[158:159], v[160:161], v[164:165] op_sel:[0,1]
	s_delay_alu instid0(VALU_DEP_1) | instskip(SKIP_1) | instid1(VALU_DEP_1)
	v_pk_fma_f32 v[166:167], v[160:161], v[162:163], v[158:159] op_sel:[0,0,1] op_sel_hi:[1,1,0] neg_lo:[0,0,1] neg_hi:[0,0,1]
	v_pk_fma_f32 v[158:159], v[160:161], v[162:163], v[158:159] op_sel:[0,0,1] op_sel_hi:[1,0,0]
	v_mov_b32_e32 v167, v159
	ds_load_2addr_b64 v[158:161], v172 offset0:24 offset1:25
	v_pk_add_f32 v[100:101], v[100:101], v[168:169] neg_lo:[0,1] neg_hi:[0,1]
	v_pk_add_f32 v[96:97], v[96:97], v[166:167] neg_lo:[0,1] neg_hi:[0,1]
	s_wait_dscnt 0x0
	v_pk_mul_f32 v[166:167], v[158:159], v[164:165] op_sel:[0,1]
	s_delay_alu instid0(VALU_DEP_1) | instskip(SKIP_2) | instid1(VALU_DEP_2)
	v_pk_fma_f32 v[168:169], v[158:159], v[162:163], v[166:167] op_sel:[0,0,1] op_sel_hi:[1,1,0] neg_lo:[0,0,1] neg_hi:[0,0,1]
	v_pk_fma_f32 v[158:159], v[158:159], v[162:163], v[166:167] op_sel:[0,0,1] op_sel_hi:[1,0,0]
	v_dual_mul_f32 v166, v161, v165 :: v_dual_mov_b32 v158, v161
	v_dual_mov_b32 v169, v159 :: v_dual_mov_b32 v159, v160
	s_delay_alu instid0(VALU_DEP_2) | instskip(SKIP_1) | instid1(VALU_DEP_3)
	v_pk_fma_f32 v[166:167], v[160:161], v[98:99], v[166:167] op_sel_hi:[1,1,0] neg_lo:[0,0,1] neg_hi:[0,0,1]
	v_mul_f32_e32 v160, v161, v162
	v_pk_add_f32 v[110:111], v[110:111], v[168:169] neg_lo:[0,1] neg_hi:[0,1]
	s_delay_alu instid0(VALU_DEP_2) | instskip(NEXT) | instid1(VALU_DEP_1)
	v_pk_fma_f32 v[158:159], v[158:159], v[98:99], v[160:161] op_sel_hi:[1,1,0]
	v_mov_b32_e32 v167, v159
	ds_load_2addr_b64 v[158:161], v172 offset0:26 offset1:27
	v_pk_add_f32 v[108:109], v[108:109], v[166:167] neg_lo:[0,1] neg_hi:[0,1]
	s_wait_dscnt 0x0
	v_pk_mul_f32 v[166:167], v[158:159], v[164:165] op_sel:[0,1]
	v_mul_f32_e32 v164, v161, v165
	s_delay_alu instid0(VALU_DEP_2) | instskip(SKIP_2) | instid1(VALU_DEP_4)
	v_pk_fma_f32 v[168:169], v[158:159], v[162:163], v[166:167] op_sel:[0,0,1] op_sel_hi:[1,1,0] neg_lo:[0,0,1] neg_hi:[0,0,1]
	v_pk_fma_f32 v[158:159], v[158:159], v[162:163], v[166:167] op_sel:[0,0,1] op_sel_hi:[1,0,0]
	v_mov_b32_e32 v158, v161
	v_pk_fma_f32 v[164:165], v[160:161], v[98:99], v[164:165] op_sel_hi:[1,1,0] neg_lo:[0,0,1] neg_hi:[0,0,1]
	s_delay_alu instid0(VALU_DEP_3) | instskip(SKIP_1) | instid1(VALU_DEP_2)
	v_dual_mov_b32 v169, v159 :: v_dual_mov_b32 v159, v160
	v_mul_f32_e32 v160, v161, v162
	v_pk_add_f32 v[106:107], v[106:107], v[168:169] neg_lo:[0,1] neg_hi:[0,1]
	s_delay_alu instid0(VALU_DEP_2) | instskip(NEXT) | instid1(VALU_DEP_1)
	v_pk_fma_f32 v[158:159], v[158:159], v[98:99], v[160:161] op_sel_hi:[1,1,0]
	v_mov_b32_e32 v165, v159
	s_delay_alu instid0(VALU_DEP_1)
	v_pk_add_f32 v[112:113], v[112:113], v[164:165] neg_lo:[0,1] neg_hi:[0,1]
.LBB55_199:
	s_or_b32 exec_lo, exec_lo, s1
	s_delay_alu instid0(SALU_CYCLE_1)
	s_mov_b32 s2, exec_lo
	s_wait_dscnt 0x0
	s_barrier_signal -1
	s_barrier_wait -1
	v_cmpx_eq_u32_e32 22, v170
	s_cbranch_execz .LBB55_206
; %bb.200:
	ds_store_b64 v171, v[100:101]
	ds_store_2addr_b64 v172, v[96:97], v[110:111] offset0:23 offset1:24
	ds_store_2addr_b64 v172, v[108:109], v[106:107] offset0:25 offset1:26
	ds_store_b64 v172, v[112:113] offset:216
	ds_load_b64 v[158:159], v171
	s_wait_dscnt 0x0
	v_cmp_neq_f32_e32 vcc_lo, 0, v158
	v_cmp_neq_f32_e64 s1, 0, v159
	s_or_b32 s1, vcc_lo, s1
	s_delay_alu instid0(SALU_CYCLE_1)
	s_and_b32 exec_lo, exec_lo, s1
	s_cbranch_execz .LBB55_206
; %bb.201:
	v_cmp_ngt_f32_e64 s1, |v158|, |v159|
                                        ; implicit-def: $vgpr160_vgpr161
	s_and_saveexec_b32 s4, s1
	s_delay_alu instid0(SALU_CYCLE_1)
	s_xor_b32 s1, exec_lo, s4
	s_cbranch_execz .LBB55_203
; %bb.202:
	v_div_scale_f32 v160, null, v159, v159, v158
	v_div_scale_f32 v163, vcc_lo, v158, v159, v158
	s_delay_alu instid0(VALU_DEP_2) | instskip(SKIP_1) | instid1(TRANS32_DEP_1)
	v_rcp_f32_e32 v161, v160
	v_nop
	v_fma_f32 v162, -v160, v161, 1.0
	s_delay_alu instid0(VALU_DEP_1) | instskip(NEXT) | instid1(VALU_DEP_1)
	v_fmac_f32_e32 v161, v162, v161
	v_mul_f32_e32 v162, v163, v161
	s_delay_alu instid0(VALU_DEP_1) | instskip(NEXT) | instid1(VALU_DEP_1)
	v_fma_f32 v164, -v160, v162, v163
	v_fmac_f32_e32 v162, v164, v161
	s_delay_alu instid0(VALU_DEP_1) | instskip(NEXT) | instid1(VALU_DEP_1)
	v_fma_f32 v160, -v160, v162, v163
	v_div_fmas_f32 v160, v160, v161, v162
	s_delay_alu instid0(VALU_DEP_1) | instskip(NEXT) | instid1(VALU_DEP_1)
	v_div_fixup_f32 v160, v160, v159, v158
	v_fmac_f32_e32 v159, v158, v160
	s_delay_alu instid0(VALU_DEP_1) | instskip(SKIP_1) | instid1(VALU_DEP_2)
	v_div_scale_f32 v158, null, v159, v159, 1.0
	v_div_scale_f32 v163, vcc_lo, 1.0, v159, 1.0
	v_rcp_f32_e32 v161, v158
	v_nop
	s_delay_alu instid0(TRANS32_DEP_1) | instskip(NEXT) | instid1(VALU_DEP_1)
	v_fma_f32 v162, -v158, v161, 1.0
	v_fmac_f32_e32 v161, v162, v161
	s_delay_alu instid0(VALU_DEP_1) | instskip(NEXT) | instid1(VALU_DEP_1)
	v_mul_f32_e32 v162, v163, v161
	v_fma_f32 v164, -v158, v162, v163
	s_delay_alu instid0(VALU_DEP_1) | instskip(NEXT) | instid1(VALU_DEP_1)
	v_fmac_f32_e32 v162, v164, v161
	v_fma_f32 v158, -v158, v162, v163
	s_delay_alu instid0(VALU_DEP_1) | instskip(NEXT) | instid1(VALU_DEP_1)
	v_div_fmas_f32 v158, v158, v161, v162
	v_div_fixup_f32 v158, v158, v159, 1.0
	s_delay_alu instid0(VALU_DEP_1)
	v_mul_f32_e32 v160, v160, v158
	v_xor_b32_e32 v161, 0x80000000, v158
                                        ; implicit-def: $vgpr158_vgpr159
.LBB55_203:
	s_and_not1_saveexec_b32 s1, s1
	s_cbranch_execz .LBB55_205
; %bb.204:
	v_div_scale_f32 v160, null, v158, v158, v159
	v_div_scale_f32 v163, vcc_lo, v159, v158, v159
	s_delay_alu instid0(VALU_DEP_2) | instskip(SKIP_1) | instid1(TRANS32_DEP_1)
	v_rcp_f32_e32 v161, v160
	v_nop
	v_fma_f32 v162, -v160, v161, 1.0
	s_delay_alu instid0(VALU_DEP_1) | instskip(NEXT) | instid1(VALU_DEP_1)
	v_fmac_f32_e32 v161, v162, v161
	v_mul_f32_e32 v162, v163, v161
	s_delay_alu instid0(VALU_DEP_1) | instskip(NEXT) | instid1(VALU_DEP_1)
	v_fma_f32 v164, -v160, v162, v163
	v_fmac_f32_e32 v162, v164, v161
	s_delay_alu instid0(VALU_DEP_1) | instskip(NEXT) | instid1(VALU_DEP_1)
	v_fma_f32 v160, -v160, v162, v163
	v_div_fmas_f32 v160, v160, v161, v162
	s_delay_alu instid0(VALU_DEP_1) | instskip(NEXT) | instid1(VALU_DEP_1)
	v_div_fixup_f32 v161, v160, v158, v159
	v_fmac_f32_e32 v158, v159, v161
	s_delay_alu instid0(VALU_DEP_1) | instskip(NEXT) | instid1(VALU_DEP_1)
	v_div_scale_f32 v159, null, v158, v158, 1.0
	v_rcp_f32_e32 v160, v159
	v_nop
	s_delay_alu instid0(TRANS32_DEP_1) | instskip(NEXT) | instid1(VALU_DEP_1)
	v_fma_f32 v162, -v159, v160, 1.0
	v_fmac_f32_e32 v160, v162, v160
	v_div_scale_f32 v162, vcc_lo, 1.0, v158, 1.0
	s_delay_alu instid0(VALU_DEP_1) | instskip(NEXT) | instid1(VALU_DEP_1)
	v_mul_f32_e32 v163, v162, v160
	v_fma_f32 v164, -v159, v163, v162
	s_delay_alu instid0(VALU_DEP_1) | instskip(NEXT) | instid1(VALU_DEP_1)
	v_fmac_f32_e32 v163, v164, v160
	v_fma_f32 v159, -v159, v163, v162
	s_delay_alu instid0(VALU_DEP_1) | instskip(NEXT) | instid1(VALU_DEP_1)
	v_div_fmas_f32 v159, v159, v160, v163
	v_div_fixup_f32 v160, v159, v158, 1.0
	s_delay_alu instid0(VALU_DEP_1)
	v_mul_f32_e64 v161, v161, -v160
.LBB55_205:
	s_or_b32 exec_lo, exec_lo, s1
	ds_store_b64 v171, v[160:161]
.LBB55_206:
	s_or_b32 exec_lo, exec_lo, s2
	s_wait_dscnt 0x0
	s_barrier_signal -1
	s_barrier_wait -1
	ds_load_b64 v[158:159], v171
	s_mov_b32 s1, exec_lo
	v_cmpx_lt_u32_e32 22, v170
	s_cbranch_execz .LBB55_208
; %bb.207:
	ds_load_2addr_b64 v[160:163], v172 offset0:23 offset1:24
	ds_load_2addr_b64 v[164:167], v172 offset0:25 offset1:26
	ds_load_b64 v[168:169], v172 offset:216
	s_wait_dscnt 0x3
	v_pk_mul_f32 v[174:175], v[158:159], v[100:101] op_sel:[1,1] op_sel_hi:[0,1]
	s_delay_alu instid0(VALU_DEP_1) | instskip(SKIP_1) | instid1(VALU_DEP_1)
	v_pk_fma_f32 v[176:177], v[158:159], v[100:101], v[174:175] op_sel_hi:[1,0,1] neg_lo:[0,0,1] neg_hi:[0,0,1]
	v_pk_fma_f32 v[174:175], v[158:159], v[100:101], v[174:175] op_sel_hi:[1,0,1]
	v_dual_mov_b32 v100, v176 :: v_dual_mov_b32 v101, v175
	s_wait_dscnt 0x2
	s_delay_alu instid0(VALU_DEP_2)
	v_pk_mul_f32 v[178:179], v[160:161], v[174:175] op_sel:[0,1]
	v_pk_mul_f32 v[180:181], v[162:163], v[174:175] op_sel:[0,1]
	s_wait_dscnt 0x1
	v_pk_mul_f32 v[182:183], v[164:165], v[174:175] op_sel:[0,1]
	v_dual_mov_b32 v184, v167 :: v_dual_mov_b32 v185, v166
	v_dual_mul_f32 v186, v167, v175 :: v_dual_mul_f32 v188, v167, v176
	s_wait_dscnt 0x0
	v_pk_mul_f32 v[174:175], v[168:169], v[174:175] op_sel:[0,1]
	v_pk_fma_f32 v[190:191], v[160:161], v[176:177], v[178:179] op_sel:[0,0,1] op_sel_hi:[1,1,0] neg_lo:[0,0,1] neg_hi:[0,0,1]
	v_pk_fma_f32 v[160:161], v[160:161], v[176:177], v[178:179] op_sel:[0,0,1] op_sel_hi:[1,0,0]
	v_pk_fma_f32 v[178:179], v[162:163], v[176:177], v[180:181] op_sel:[0,0,1] op_sel_hi:[1,1,0] neg_lo:[0,0,1] neg_hi:[0,0,1]
	v_pk_fma_f32 v[162:163], v[162:163], v[176:177], v[180:181] op_sel:[0,0,1] op_sel_hi:[1,0,0]
	;; [unrolled: 2-line block ×3, first 2 shown]
	v_pk_fma_f32 v[182:183], v[184:185], v[100:101], v[188:189] op_sel_hi:[1,1,0]
	v_pk_fma_f32 v[184:185], v[168:169], v[176:177], v[174:175] op_sel:[0,0,1] op_sel_hi:[1,1,0] neg_lo:[0,0,1] neg_hi:[0,0,1]
	v_pk_fma_f32 v[168:169], v[168:169], v[176:177], v[174:175] op_sel:[0,0,1] op_sel_hi:[1,0,0]
	v_pk_fma_f32 v[166:167], v[166:167], v[100:101], v[186:187] op_sel_hi:[1,1,0] neg_lo:[0,0,1] neg_hi:[0,0,1]
	v_dual_mov_b32 v191, v161 :: v_dual_mov_b32 v179, v163
	v_dual_mov_b32 v181, v165 :: v_dual_mov_b32 v167, v183
	s_delay_alu instid0(VALU_DEP_4) | instskip(NEXT) | instid1(VALU_DEP_3)
	v_mov_b32_e32 v185, v169
	v_pk_add_f32 v[96:97], v[96:97], v[190:191] neg_lo:[0,1] neg_hi:[0,1]
	s_delay_alu instid0(VALU_DEP_4) | instskip(NEXT) | instid1(VALU_DEP_4)
	v_pk_add_f32 v[110:111], v[110:111], v[178:179] neg_lo:[0,1] neg_hi:[0,1]
	v_pk_add_f32 v[108:109], v[108:109], v[180:181] neg_lo:[0,1] neg_hi:[0,1]
	;; [unrolled: 1-line block ×4, first 2 shown]
.LBB55_208:
	s_or_b32 exec_lo, exec_lo, s1
	s_delay_alu instid0(SALU_CYCLE_1)
	s_mov_b32 s2, exec_lo
	s_wait_dscnt 0x0
	s_barrier_signal -1
	s_barrier_wait -1
	v_cmpx_eq_u32_e32 23, v170
	s_cbranch_execz .LBB55_215
; %bb.209:
	v_dual_mov_b32 v160, v110 :: v_dual_mov_b32 v161, v111
	v_dual_mov_b32 v162, v108 :: v_dual_mov_b32 v163, v109
	v_dual_mov_b32 v164, v106 :: v_dual_mov_b32 v165, v107
	ds_store_b64 v171, v[96:97]
	ds_store_2addr_b64 v172, v[160:161], v[162:163] offset0:24 offset1:25
	ds_store_2addr_b64 v172, v[164:165], v[112:113] offset0:26 offset1:27
	ds_load_b64 v[160:161], v171
	s_wait_dscnt 0x0
	v_cmp_neq_f32_e32 vcc_lo, 0, v160
	v_cmp_neq_f32_e64 s1, 0, v161
	s_or_b32 s1, vcc_lo, s1
	s_delay_alu instid0(SALU_CYCLE_1)
	s_and_b32 exec_lo, exec_lo, s1
	s_cbranch_execz .LBB55_215
; %bb.210:
	v_cmp_ngt_f32_e64 s1, |v160|, |v161|
                                        ; implicit-def: $vgpr162_vgpr163
	s_and_saveexec_b32 s4, s1
	s_delay_alu instid0(SALU_CYCLE_1)
	s_xor_b32 s1, exec_lo, s4
	s_cbranch_execz .LBB55_212
; %bb.211:
	v_div_scale_f32 v162, null, v161, v161, v160
	v_div_scale_f32 v165, vcc_lo, v160, v161, v160
	s_delay_alu instid0(VALU_DEP_2) | instskip(SKIP_1) | instid1(TRANS32_DEP_1)
	v_rcp_f32_e32 v163, v162
	v_nop
	v_fma_f32 v164, -v162, v163, 1.0
	s_delay_alu instid0(VALU_DEP_1) | instskip(NEXT) | instid1(VALU_DEP_1)
	v_fmac_f32_e32 v163, v164, v163
	v_mul_f32_e32 v164, v165, v163
	s_delay_alu instid0(VALU_DEP_1) | instskip(NEXT) | instid1(VALU_DEP_1)
	v_fma_f32 v166, -v162, v164, v165
	v_fmac_f32_e32 v164, v166, v163
	s_delay_alu instid0(VALU_DEP_1) | instskip(NEXT) | instid1(VALU_DEP_1)
	v_fma_f32 v162, -v162, v164, v165
	v_div_fmas_f32 v162, v162, v163, v164
	s_delay_alu instid0(VALU_DEP_1) | instskip(NEXT) | instid1(VALU_DEP_1)
	v_div_fixup_f32 v162, v162, v161, v160
	v_fmac_f32_e32 v161, v160, v162
	s_delay_alu instid0(VALU_DEP_1) | instskip(SKIP_1) | instid1(VALU_DEP_2)
	v_div_scale_f32 v160, null, v161, v161, 1.0
	v_div_scale_f32 v165, vcc_lo, 1.0, v161, 1.0
	v_rcp_f32_e32 v163, v160
	v_nop
	s_delay_alu instid0(TRANS32_DEP_1) | instskip(NEXT) | instid1(VALU_DEP_1)
	v_fma_f32 v164, -v160, v163, 1.0
	v_fmac_f32_e32 v163, v164, v163
	s_delay_alu instid0(VALU_DEP_1) | instskip(NEXT) | instid1(VALU_DEP_1)
	v_mul_f32_e32 v164, v165, v163
	v_fma_f32 v166, -v160, v164, v165
	s_delay_alu instid0(VALU_DEP_1) | instskip(NEXT) | instid1(VALU_DEP_1)
	v_fmac_f32_e32 v164, v166, v163
	v_fma_f32 v160, -v160, v164, v165
	s_delay_alu instid0(VALU_DEP_1) | instskip(NEXT) | instid1(VALU_DEP_1)
	v_div_fmas_f32 v160, v160, v163, v164
	v_div_fixup_f32 v160, v160, v161, 1.0
	s_delay_alu instid0(VALU_DEP_1)
	v_mul_f32_e32 v162, v162, v160
	v_xor_b32_e32 v163, 0x80000000, v160
                                        ; implicit-def: $vgpr160_vgpr161
.LBB55_212:
	s_and_not1_saveexec_b32 s1, s1
	s_cbranch_execz .LBB55_214
; %bb.213:
	v_div_scale_f32 v162, null, v160, v160, v161
	v_div_scale_f32 v165, vcc_lo, v161, v160, v161
	s_delay_alu instid0(VALU_DEP_2) | instskip(SKIP_1) | instid1(TRANS32_DEP_1)
	v_rcp_f32_e32 v163, v162
	v_nop
	v_fma_f32 v164, -v162, v163, 1.0
	s_delay_alu instid0(VALU_DEP_1) | instskip(NEXT) | instid1(VALU_DEP_1)
	v_fmac_f32_e32 v163, v164, v163
	v_mul_f32_e32 v164, v165, v163
	s_delay_alu instid0(VALU_DEP_1) | instskip(NEXT) | instid1(VALU_DEP_1)
	v_fma_f32 v166, -v162, v164, v165
	v_fmac_f32_e32 v164, v166, v163
	s_delay_alu instid0(VALU_DEP_1) | instskip(NEXT) | instid1(VALU_DEP_1)
	v_fma_f32 v162, -v162, v164, v165
	v_div_fmas_f32 v162, v162, v163, v164
	s_delay_alu instid0(VALU_DEP_1) | instskip(NEXT) | instid1(VALU_DEP_1)
	v_div_fixup_f32 v163, v162, v160, v161
	v_fmac_f32_e32 v160, v161, v163
	s_delay_alu instid0(VALU_DEP_1) | instskip(NEXT) | instid1(VALU_DEP_1)
	v_div_scale_f32 v161, null, v160, v160, 1.0
	v_rcp_f32_e32 v162, v161
	v_nop
	s_delay_alu instid0(TRANS32_DEP_1) | instskip(NEXT) | instid1(VALU_DEP_1)
	v_fma_f32 v164, -v161, v162, 1.0
	v_fmac_f32_e32 v162, v164, v162
	v_div_scale_f32 v164, vcc_lo, 1.0, v160, 1.0
	s_delay_alu instid0(VALU_DEP_1) | instskip(NEXT) | instid1(VALU_DEP_1)
	v_mul_f32_e32 v165, v164, v162
	v_fma_f32 v166, -v161, v165, v164
	s_delay_alu instid0(VALU_DEP_1) | instskip(NEXT) | instid1(VALU_DEP_1)
	v_fmac_f32_e32 v165, v166, v162
	v_fma_f32 v161, -v161, v165, v164
	s_delay_alu instid0(VALU_DEP_1) | instskip(NEXT) | instid1(VALU_DEP_1)
	v_div_fmas_f32 v161, v161, v162, v165
	v_div_fixup_f32 v162, v161, v160, 1.0
	s_delay_alu instid0(VALU_DEP_1)
	v_mul_f32_e64 v163, v163, -v162
.LBB55_214:
	s_or_b32 exec_lo, exec_lo, s1
	ds_store_b64 v171, v[162:163]
.LBB55_215:
	s_or_b32 exec_lo, exec_lo, s2
	s_wait_dscnt 0x0
	s_barrier_signal -1
	s_barrier_wait -1
	ds_load_b64 v[160:161], v171
	s_mov_b32 s1, exec_lo
	v_cmpx_lt_u32_e32 23, v170
	s_cbranch_execz .LBB55_217
; %bb.216:
	ds_load_2addr_b64 v[162:165], v172 offset0:24 offset1:25
	ds_load_2addr_b64 v[166:169], v172 offset0:26 offset1:27
	s_wait_dscnt 0x2
	v_pk_mul_f32 v[174:175], v[160:161], v[96:97] op_sel:[1,1] op_sel_hi:[0,1]
	s_delay_alu instid0(VALU_DEP_1) | instskip(SKIP_1) | instid1(VALU_DEP_1)
	v_pk_fma_f32 v[176:177], v[160:161], v[96:97], v[174:175] op_sel_hi:[1,0,1] neg_lo:[0,0,1] neg_hi:[0,0,1]
	v_pk_fma_f32 v[174:175], v[160:161], v[96:97], v[174:175] op_sel_hi:[1,0,1]
	v_dual_mov_b32 v96, v176 :: v_dual_mov_b32 v97, v175
	s_wait_dscnt 0x1
	s_delay_alu instid0(VALU_DEP_2)
	v_pk_mul_f32 v[178:179], v[162:163], v[174:175] op_sel:[0,1]
	s_wait_dscnt 0x0
	v_mov_b32_e32 v180, v169
	v_pk_mul_f32 v[182:183], v[164:165], v[174:175] op_sel:[0,1]
	v_pk_mul_f32 v[184:185], v[166:167], v[174:175] op_sel:[0,1]
	v_pk_fma_f32 v[186:187], v[162:163], v[176:177], v[178:179] op_sel:[0,0,1] op_sel_hi:[1,1,0] neg_lo:[0,0,1] neg_hi:[0,0,1]
	v_pk_fma_f32 v[162:163], v[162:163], v[176:177], v[178:179] op_sel:[0,0,1] op_sel_hi:[1,0,0]
	s_delay_alu instid0(VALU_DEP_1) | instskip(NEXT) | instid1(VALU_DEP_1)
	v_dual_mov_b32 v181, v168 :: v_dual_mov_b32 v187, v163
	v_pk_mul_f32 v[178:179], v[180:181], v[174:175] op_sel:[0,1]
	v_pk_fma_f32 v[180:181], v[164:165], v[176:177], v[182:183] op_sel:[0,0,1] op_sel_hi:[1,0,0]
	v_pk_fma_f32 v[164:165], v[164:165], v[176:177], v[182:183] op_sel:[0,0,1] op_sel_hi:[1,1,0] neg_lo:[0,0,1] neg_hi:[0,0,1]
	v_pk_fma_f32 v[182:183], v[166:167], v[176:177], v[184:185] op_sel:[0,0,1] op_sel_hi:[1,0,0]
	v_pk_fma_f32 v[166:167], v[166:167], v[176:177], v[184:185] op_sel:[0,0,1] op_sel_hi:[1,1,0] neg_lo:[0,0,1] neg_hi:[0,0,1]
	v_pk_fma_f32 v[162:163], v[168:169], v[176:177], v[178:179] op_sel_hi:[1,0,1]
	v_pk_fma_f32 v[168:169], v[168:169], v[176:177], v[178:179] neg_lo:[0,0,1] neg_hi:[0,0,1]
	s_delay_alu instid0(VALU_DEP_4) | instskip(SKIP_1) | instid1(VALU_DEP_4)
	v_dual_mov_b32 v165, v181 :: v_dual_mov_b32 v167, v183
	v_pk_add_f32 v[110:111], v[110:111], v[186:187] neg_lo:[0,1] neg_hi:[0,1]
	v_mov_b32_e32 v169, v163
	s_delay_alu instid0(VALU_DEP_3) | instskip(NEXT) | instid1(VALU_DEP_4)
	v_pk_add_f32 v[108:109], v[108:109], v[164:165] neg_lo:[0,1] neg_hi:[0,1]
	v_pk_add_f32 v[106:107], v[106:107], v[166:167] neg_lo:[0,1] neg_hi:[0,1]
	s_delay_alu instid0(VALU_DEP_3)
	v_pk_add_f32 v[112:113], v[112:113], v[168:169] neg_lo:[0,1] neg_hi:[0,1]
.LBB55_217:
	s_or_b32 exec_lo, exec_lo, s1
	s_delay_alu instid0(SALU_CYCLE_1)
	s_mov_b32 s2, exec_lo
	s_wait_dscnt 0x0
	s_barrier_signal -1
	s_barrier_wait -1
	v_cmpx_eq_u32_e32 24, v170
	s_cbranch_execz .LBB55_224
; %bb.218:
	ds_store_b64 v171, v[110:111]
	ds_store_2addr_b64 v172, v[108:109], v[106:107] offset0:25 offset1:26
	ds_store_b64 v172, v[112:113] offset:216
	ds_load_b64 v[162:163], v171
	s_wait_dscnt 0x0
	v_cmp_neq_f32_e32 vcc_lo, 0, v162
	v_cmp_neq_f32_e64 s1, 0, v163
	s_or_b32 s1, vcc_lo, s1
	s_delay_alu instid0(SALU_CYCLE_1)
	s_and_b32 exec_lo, exec_lo, s1
	s_cbranch_execz .LBB55_224
; %bb.219:
	v_cmp_ngt_f32_e64 s1, |v162|, |v163|
                                        ; implicit-def: $vgpr164_vgpr165
	s_and_saveexec_b32 s4, s1
	s_delay_alu instid0(SALU_CYCLE_1)
	s_xor_b32 s1, exec_lo, s4
	s_cbranch_execz .LBB55_221
; %bb.220:
	v_div_scale_f32 v164, null, v163, v163, v162
	v_div_scale_f32 v167, vcc_lo, v162, v163, v162
	s_delay_alu instid0(VALU_DEP_2) | instskip(SKIP_1) | instid1(TRANS32_DEP_1)
	v_rcp_f32_e32 v165, v164
	v_nop
	v_fma_f32 v166, -v164, v165, 1.0
	s_delay_alu instid0(VALU_DEP_1) | instskip(NEXT) | instid1(VALU_DEP_1)
	v_fmac_f32_e32 v165, v166, v165
	v_mul_f32_e32 v166, v167, v165
	s_delay_alu instid0(VALU_DEP_1) | instskip(NEXT) | instid1(VALU_DEP_1)
	v_fma_f32 v168, -v164, v166, v167
	v_fmac_f32_e32 v166, v168, v165
	s_delay_alu instid0(VALU_DEP_1) | instskip(NEXT) | instid1(VALU_DEP_1)
	v_fma_f32 v164, -v164, v166, v167
	v_div_fmas_f32 v164, v164, v165, v166
	s_delay_alu instid0(VALU_DEP_1) | instskip(NEXT) | instid1(VALU_DEP_1)
	v_div_fixup_f32 v164, v164, v163, v162
	v_fmac_f32_e32 v163, v162, v164
	s_delay_alu instid0(VALU_DEP_1) | instskip(SKIP_1) | instid1(VALU_DEP_2)
	v_div_scale_f32 v162, null, v163, v163, 1.0
	v_div_scale_f32 v167, vcc_lo, 1.0, v163, 1.0
	v_rcp_f32_e32 v165, v162
	v_nop
	s_delay_alu instid0(TRANS32_DEP_1) | instskip(NEXT) | instid1(VALU_DEP_1)
	v_fma_f32 v166, -v162, v165, 1.0
	v_fmac_f32_e32 v165, v166, v165
	s_delay_alu instid0(VALU_DEP_1) | instskip(NEXT) | instid1(VALU_DEP_1)
	v_mul_f32_e32 v166, v167, v165
	v_fma_f32 v168, -v162, v166, v167
	s_delay_alu instid0(VALU_DEP_1) | instskip(NEXT) | instid1(VALU_DEP_1)
	v_fmac_f32_e32 v166, v168, v165
	v_fma_f32 v162, -v162, v166, v167
	s_delay_alu instid0(VALU_DEP_1) | instskip(NEXT) | instid1(VALU_DEP_1)
	v_div_fmas_f32 v162, v162, v165, v166
	v_div_fixup_f32 v162, v162, v163, 1.0
	s_delay_alu instid0(VALU_DEP_1)
	v_mul_f32_e32 v164, v164, v162
	v_xor_b32_e32 v165, 0x80000000, v162
                                        ; implicit-def: $vgpr162_vgpr163
.LBB55_221:
	s_and_not1_saveexec_b32 s1, s1
	s_cbranch_execz .LBB55_223
; %bb.222:
	v_div_scale_f32 v164, null, v162, v162, v163
	v_div_scale_f32 v167, vcc_lo, v163, v162, v163
	s_delay_alu instid0(VALU_DEP_2) | instskip(SKIP_1) | instid1(TRANS32_DEP_1)
	v_rcp_f32_e32 v165, v164
	v_nop
	v_fma_f32 v166, -v164, v165, 1.0
	s_delay_alu instid0(VALU_DEP_1) | instskip(NEXT) | instid1(VALU_DEP_1)
	v_fmac_f32_e32 v165, v166, v165
	v_mul_f32_e32 v166, v167, v165
	s_delay_alu instid0(VALU_DEP_1) | instskip(NEXT) | instid1(VALU_DEP_1)
	v_fma_f32 v168, -v164, v166, v167
	v_fmac_f32_e32 v166, v168, v165
	s_delay_alu instid0(VALU_DEP_1) | instskip(NEXT) | instid1(VALU_DEP_1)
	v_fma_f32 v164, -v164, v166, v167
	v_div_fmas_f32 v164, v164, v165, v166
	s_delay_alu instid0(VALU_DEP_1) | instskip(NEXT) | instid1(VALU_DEP_1)
	v_div_fixup_f32 v165, v164, v162, v163
	v_fmac_f32_e32 v162, v163, v165
	s_delay_alu instid0(VALU_DEP_1) | instskip(NEXT) | instid1(VALU_DEP_1)
	v_div_scale_f32 v163, null, v162, v162, 1.0
	v_rcp_f32_e32 v164, v163
	v_nop
	s_delay_alu instid0(TRANS32_DEP_1) | instskip(NEXT) | instid1(VALU_DEP_1)
	v_fma_f32 v166, -v163, v164, 1.0
	v_fmac_f32_e32 v164, v166, v164
	v_div_scale_f32 v166, vcc_lo, 1.0, v162, 1.0
	s_delay_alu instid0(VALU_DEP_1) | instskip(NEXT) | instid1(VALU_DEP_1)
	v_mul_f32_e32 v167, v166, v164
	v_fma_f32 v168, -v163, v167, v166
	s_delay_alu instid0(VALU_DEP_1) | instskip(NEXT) | instid1(VALU_DEP_1)
	v_fmac_f32_e32 v167, v168, v164
	v_fma_f32 v163, -v163, v167, v166
	s_delay_alu instid0(VALU_DEP_1) | instskip(NEXT) | instid1(VALU_DEP_1)
	v_div_fmas_f32 v163, v163, v164, v167
	v_div_fixup_f32 v164, v163, v162, 1.0
	s_delay_alu instid0(VALU_DEP_1)
	v_mul_f32_e64 v165, v165, -v164
.LBB55_223:
	s_or_b32 exec_lo, exec_lo, s1
	ds_store_b64 v171, v[164:165]
.LBB55_224:
	s_or_b32 exec_lo, exec_lo, s2
	s_wait_dscnt 0x0
	s_barrier_signal -1
	s_barrier_wait -1
	ds_load_b64 v[162:163], v171
	s_mov_b32 s1, exec_lo
	v_cmpx_lt_u32_e32 24, v170
	s_cbranch_execz .LBB55_226
; %bb.225:
	ds_load_2addr_b64 v[164:167], v172 offset0:25 offset1:26
	ds_load_b64 v[168:169], v172 offset:216
	s_wait_dscnt 0x2
	v_pk_mul_f32 v[174:175], v[162:163], v[110:111] op_sel:[1,1] op_sel_hi:[0,1]
	s_delay_alu instid0(VALU_DEP_1) | instskip(SKIP_2) | instid1(VALU_DEP_2)
	v_pk_fma_f32 v[176:177], v[162:163], v[110:111], v[174:175] op_sel_hi:[1,0,1]
	v_pk_fma_f32 v[110:111], v[162:163], v[110:111], v[174:175] op_sel_hi:[1,0,1] neg_lo:[0,0,1] neg_hi:[0,0,1]
	s_wait_dscnt 0x1
	v_pk_mul_f32 v[174:175], v[164:165], v[176:177] op_sel:[0,1]
	v_pk_mul_f32 v[178:179], v[166:167], v[176:177] op_sel:[0,1]
	s_wait_dscnt 0x0
	v_pk_mul_f32 v[180:181], v[168:169], v[176:177] op_sel:[1,1] op_sel_hi:[0,1]
	s_delay_alu instid0(VALU_DEP_3) | instskip(SKIP_2) | instid1(VALU_DEP_4)
	v_pk_fma_f32 v[182:183], v[164:165], v[110:111], v[174:175] op_sel:[0,0,1] op_sel_hi:[1,1,0] neg_lo:[0,0,1] neg_hi:[0,0,1]
	v_pk_fma_f32 v[164:165], v[164:165], v[110:111], v[174:175] op_sel:[0,0,1] op_sel_hi:[1,0,0]
	v_pk_fma_f32 v[174:175], v[166:167], v[110:111], v[178:179] op_sel:[0,0,1] op_sel_hi:[1,0,0]
	v_pk_fma_f32 v[184:185], v[168:169], v[110:111], v[180:181] op_sel_hi:[1,0,1]
	v_pk_fma_f32 v[166:167], v[166:167], v[110:111], v[178:179] op_sel:[0,0,1] op_sel_hi:[1,1,0] neg_lo:[0,0,1] neg_hi:[0,0,1]
	v_pk_fma_f32 v[168:169], v[168:169], v[110:111], v[180:181] neg_lo:[0,0,1] neg_hi:[0,0,1]
	s_delay_alu instid0(VALU_DEP_4) | instskip(NEXT) | instid1(VALU_DEP_4)
	v_dual_mov_b32 v183, v165 :: v_dual_mov_b32 v167, v175
	v_dual_mov_b32 v169, v185 :: v_dual_mov_b32 v111, v177
	s_delay_alu instid0(VALU_DEP_2) | instskip(NEXT) | instid1(VALU_DEP_3)
	v_pk_add_f32 v[108:109], v[108:109], v[182:183] neg_lo:[0,1] neg_hi:[0,1]
	v_pk_add_f32 v[106:107], v[106:107], v[166:167] neg_lo:[0,1] neg_hi:[0,1]
	s_delay_alu instid0(VALU_DEP_3)
	v_pk_add_f32 v[112:113], v[112:113], v[168:169] neg_lo:[0,1] neg_hi:[0,1]
.LBB55_226:
	s_or_b32 exec_lo, exec_lo, s1
	s_delay_alu instid0(SALU_CYCLE_1)
	s_mov_b32 s2, exec_lo
	s_wait_dscnt 0x0
	s_barrier_signal -1
	s_barrier_wait -1
	v_cmpx_eq_u32_e32 25, v170
	s_cbranch_execz .LBB55_233
; %bb.227:
	v_dual_mov_b32 v164, v106 :: v_dual_mov_b32 v165, v107
	ds_store_b64 v171, v[108:109]
	ds_store_2addr_b64 v172, v[164:165], v[112:113] offset0:26 offset1:27
	ds_load_b64 v[164:165], v171
	s_wait_dscnt 0x0
	v_cmp_neq_f32_e32 vcc_lo, 0, v164
	v_cmp_neq_f32_e64 s1, 0, v165
	s_or_b32 s1, vcc_lo, s1
	s_delay_alu instid0(SALU_CYCLE_1)
	s_and_b32 exec_lo, exec_lo, s1
	s_cbranch_execz .LBB55_233
; %bb.228:
	v_cmp_ngt_f32_e64 s1, |v164|, |v165|
                                        ; implicit-def: $vgpr166_vgpr167
	s_and_saveexec_b32 s4, s1
	s_delay_alu instid0(SALU_CYCLE_1)
	s_xor_b32 s1, exec_lo, s4
	s_cbranch_execz .LBB55_230
; %bb.229:
	v_div_scale_f32 v166, null, v165, v165, v164
	v_div_scale_f32 v169, vcc_lo, v164, v165, v164
	s_delay_alu instid0(VALU_DEP_2) | instskip(SKIP_1) | instid1(TRANS32_DEP_1)
	v_rcp_f32_e32 v167, v166
	v_nop
	v_fma_f32 v168, -v166, v167, 1.0
	s_delay_alu instid0(VALU_DEP_1) | instskip(NEXT) | instid1(VALU_DEP_1)
	v_fmac_f32_e32 v167, v168, v167
	v_mul_f32_e32 v168, v169, v167
	s_delay_alu instid0(VALU_DEP_1) | instskip(NEXT) | instid1(VALU_DEP_1)
	v_fma_f32 v173, -v166, v168, v169
	v_fmac_f32_e32 v168, v173, v167
	s_delay_alu instid0(VALU_DEP_1) | instskip(NEXT) | instid1(VALU_DEP_1)
	v_fma_f32 v166, -v166, v168, v169
	v_div_fmas_f32 v166, v166, v167, v168
	s_delay_alu instid0(VALU_DEP_1) | instskip(NEXT) | instid1(VALU_DEP_1)
	v_div_fixup_f32 v166, v166, v165, v164
	v_fmac_f32_e32 v165, v164, v166
	s_delay_alu instid0(VALU_DEP_1) | instskip(SKIP_1) | instid1(VALU_DEP_2)
	v_div_scale_f32 v164, null, v165, v165, 1.0
	v_div_scale_f32 v169, vcc_lo, 1.0, v165, 1.0
	v_rcp_f32_e32 v167, v164
	v_nop
	s_delay_alu instid0(TRANS32_DEP_1) | instskip(NEXT) | instid1(VALU_DEP_1)
	v_fma_f32 v168, -v164, v167, 1.0
	v_fmac_f32_e32 v167, v168, v167
	s_delay_alu instid0(VALU_DEP_1) | instskip(NEXT) | instid1(VALU_DEP_1)
	v_mul_f32_e32 v168, v169, v167
	v_fma_f32 v173, -v164, v168, v169
	s_delay_alu instid0(VALU_DEP_1) | instskip(NEXT) | instid1(VALU_DEP_1)
	v_fmac_f32_e32 v168, v173, v167
	v_fma_f32 v164, -v164, v168, v169
	s_delay_alu instid0(VALU_DEP_1) | instskip(NEXT) | instid1(VALU_DEP_1)
	v_div_fmas_f32 v164, v164, v167, v168
	v_div_fixup_f32 v164, v164, v165, 1.0
	s_delay_alu instid0(VALU_DEP_1)
	v_mul_f32_e32 v166, v166, v164
	v_xor_b32_e32 v167, 0x80000000, v164
                                        ; implicit-def: $vgpr164_vgpr165
.LBB55_230:
	s_and_not1_saveexec_b32 s1, s1
	s_cbranch_execz .LBB55_232
; %bb.231:
	v_div_scale_f32 v166, null, v164, v164, v165
	v_div_scale_f32 v169, vcc_lo, v165, v164, v165
	s_delay_alu instid0(VALU_DEP_2) | instskip(SKIP_1) | instid1(TRANS32_DEP_1)
	v_rcp_f32_e32 v167, v166
	v_nop
	v_fma_f32 v168, -v166, v167, 1.0
	s_delay_alu instid0(VALU_DEP_1) | instskip(NEXT) | instid1(VALU_DEP_1)
	v_fmac_f32_e32 v167, v168, v167
	v_mul_f32_e32 v168, v169, v167
	s_delay_alu instid0(VALU_DEP_1) | instskip(NEXT) | instid1(VALU_DEP_1)
	v_fma_f32 v173, -v166, v168, v169
	v_fmac_f32_e32 v168, v173, v167
	s_delay_alu instid0(VALU_DEP_1) | instskip(NEXT) | instid1(VALU_DEP_1)
	v_fma_f32 v166, -v166, v168, v169
	v_div_fmas_f32 v166, v166, v167, v168
	s_delay_alu instid0(VALU_DEP_1) | instskip(NEXT) | instid1(VALU_DEP_1)
	v_div_fixup_f32 v167, v166, v164, v165
	v_fmac_f32_e32 v164, v165, v167
	s_delay_alu instid0(VALU_DEP_1) | instskip(NEXT) | instid1(VALU_DEP_1)
	v_div_scale_f32 v165, null, v164, v164, 1.0
	v_rcp_f32_e32 v166, v165
	v_nop
	s_delay_alu instid0(TRANS32_DEP_1) | instskip(NEXT) | instid1(VALU_DEP_1)
	v_fma_f32 v168, -v165, v166, 1.0
	v_fmac_f32_e32 v166, v168, v166
	v_div_scale_f32 v168, vcc_lo, 1.0, v164, 1.0
	s_delay_alu instid0(VALU_DEP_1) | instskip(NEXT) | instid1(VALU_DEP_1)
	v_mul_f32_e32 v169, v168, v166
	v_fma_f32 v173, -v165, v169, v168
	s_delay_alu instid0(VALU_DEP_1) | instskip(NEXT) | instid1(VALU_DEP_1)
	v_fmac_f32_e32 v169, v173, v166
	v_fma_f32 v165, -v165, v169, v168
	s_delay_alu instid0(VALU_DEP_1) | instskip(NEXT) | instid1(VALU_DEP_1)
	v_div_fmas_f32 v165, v165, v166, v169
	v_div_fixup_f32 v166, v165, v164, 1.0
	s_delay_alu instid0(VALU_DEP_1)
	v_mul_f32_e64 v167, v167, -v166
.LBB55_232:
	s_or_b32 exec_lo, exec_lo, s1
	ds_store_b64 v171, v[166:167]
.LBB55_233:
	s_or_b32 exec_lo, exec_lo, s2
	s_wait_dscnt 0x0
	s_barrier_signal -1
	s_barrier_wait -1
	ds_load_b64 v[164:165], v171
	s_mov_b32 s1, exec_lo
	v_cmpx_lt_u32_e32 25, v170
	s_cbranch_execz .LBB55_235
; %bb.234:
	ds_load_2addr_b64 v[166:169], v172 offset0:26 offset1:27
	s_wait_dscnt 0x1
	v_pk_mul_f32 v[174:175], v[164:165], v[108:109] op_sel:[1,1] op_sel_hi:[0,1]
	s_delay_alu instid0(VALU_DEP_1) | instskip(SKIP_3) | instid1(VALU_DEP_3)
	v_pk_fma_f32 v[176:177], v[164:165], v[108:109], v[174:175] op_sel_hi:[1,0,1]
	v_pk_fma_f32 v[108:109], v[164:165], v[108:109], v[174:175] op_sel_hi:[1,0,1] neg_lo:[0,0,1] neg_hi:[0,0,1]
	s_wait_dscnt 0x0
	v_dual_mov_b32 v178, v169 :: v_dual_mov_b32 v179, v168
	v_pk_mul_f32 v[174:175], v[166:167], v[176:177] op_sel:[0,1]
	s_delay_alu instid0(VALU_DEP_2) | instskip(NEXT) | instid1(VALU_DEP_2)
	v_pk_mul_f32 v[178:179], v[178:179], v[176:177] op_sel:[0,1]
	v_pk_fma_f32 v[180:181], v[166:167], v[108:109], v[174:175] op_sel:[0,0,1] op_sel_hi:[1,0,0]
	v_pk_fma_f32 v[166:167], v[166:167], v[108:109], v[174:175] op_sel:[0,0,1] op_sel_hi:[1,1,0] neg_lo:[0,0,1] neg_hi:[0,0,1]
	s_delay_alu instid0(VALU_DEP_3) | instskip(SKIP_1) | instid1(VALU_DEP_4)
	v_pk_fma_f32 v[182:183], v[168:169], v[108:109], v[178:179] op_sel_hi:[1,0,1]
	v_pk_fma_f32 v[168:169], v[168:169], v[108:109], v[178:179] neg_lo:[0,0,1] neg_hi:[0,0,1]
	v_dual_mov_b32 v167, v181 :: v_dual_mov_b32 v109, v177
	s_delay_alu instid0(VALU_DEP_3) | instskip(NEXT) | instid1(VALU_DEP_2)
	v_mov_b32_e32 v169, v183
	v_pk_add_f32 v[106:107], v[106:107], v[166:167] neg_lo:[0,1] neg_hi:[0,1]
	s_delay_alu instid0(VALU_DEP_2)
	v_pk_add_f32 v[112:113], v[112:113], v[168:169] neg_lo:[0,1] neg_hi:[0,1]
.LBB55_235:
	s_or_b32 exec_lo, exec_lo, s1
	s_delay_alu instid0(SALU_CYCLE_1)
	s_mov_b32 s2, exec_lo
	s_wait_dscnt 0x0
	s_barrier_signal -1
	s_barrier_wait -1
	v_cmpx_eq_u32_e32 26, v170
	s_cbranch_execz .LBB55_242
; %bb.236:
	ds_store_b64 v171, v[106:107]
	ds_store_b64 v172, v[112:113] offset:216
	ds_load_b64 v[166:167], v171
	s_wait_dscnt 0x0
	v_cmp_neq_f32_e32 vcc_lo, 0, v166
	v_cmp_neq_f32_e64 s1, 0, v167
	s_or_b32 s1, vcc_lo, s1
	s_delay_alu instid0(SALU_CYCLE_1)
	s_and_b32 exec_lo, exec_lo, s1
	s_cbranch_execz .LBB55_242
; %bb.237:
	v_cmp_ngt_f32_e64 s1, |v166|, |v167|
                                        ; implicit-def: $vgpr168_vgpr169
	s_and_saveexec_b32 s4, s1
	s_delay_alu instid0(SALU_CYCLE_1)
	s_xor_b32 s1, exec_lo, s4
	s_cbranch_execz .LBB55_239
; %bb.238:
	v_div_scale_f32 v168, null, v167, v167, v166
	v_div_scale_f32 v174, vcc_lo, v166, v167, v166
	s_delay_alu instid0(VALU_DEP_2) | instskip(SKIP_1) | instid1(TRANS32_DEP_1)
	v_rcp_f32_e32 v169, v168
	v_nop
	v_fma_f32 v173, -v168, v169, 1.0
	s_delay_alu instid0(VALU_DEP_1) | instskip(NEXT) | instid1(VALU_DEP_1)
	v_fmac_f32_e32 v169, v173, v169
	v_mul_f32_e32 v173, v174, v169
	s_delay_alu instid0(VALU_DEP_1) | instskip(NEXT) | instid1(VALU_DEP_1)
	v_fma_f32 v175, -v168, v173, v174
	v_fmac_f32_e32 v173, v175, v169
	s_delay_alu instid0(VALU_DEP_1) | instskip(NEXT) | instid1(VALU_DEP_1)
	v_fma_f32 v168, -v168, v173, v174
	v_div_fmas_f32 v168, v168, v169, v173
	s_delay_alu instid0(VALU_DEP_1) | instskip(NEXT) | instid1(VALU_DEP_1)
	v_div_fixup_f32 v168, v168, v167, v166
	v_fmac_f32_e32 v167, v166, v168
	s_delay_alu instid0(VALU_DEP_1) | instskip(SKIP_1) | instid1(VALU_DEP_2)
	v_div_scale_f32 v166, null, v167, v167, 1.0
	v_div_scale_f32 v174, vcc_lo, 1.0, v167, 1.0
	v_rcp_f32_e32 v169, v166
	v_nop
	s_delay_alu instid0(TRANS32_DEP_1) | instskip(NEXT) | instid1(VALU_DEP_1)
	v_fma_f32 v173, -v166, v169, 1.0
	v_fmac_f32_e32 v169, v173, v169
	s_delay_alu instid0(VALU_DEP_1) | instskip(NEXT) | instid1(VALU_DEP_1)
	v_mul_f32_e32 v173, v174, v169
	v_fma_f32 v175, -v166, v173, v174
	s_delay_alu instid0(VALU_DEP_1) | instskip(NEXT) | instid1(VALU_DEP_1)
	v_fmac_f32_e32 v173, v175, v169
	v_fma_f32 v166, -v166, v173, v174
	s_delay_alu instid0(VALU_DEP_1) | instskip(NEXT) | instid1(VALU_DEP_1)
	v_div_fmas_f32 v166, v166, v169, v173
	v_div_fixup_f32 v166, v166, v167, 1.0
	s_delay_alu instid0(VALU_DEP_1)
	v_mul_f32_e32 v168, v168, v166
	v_xor_b32_e32 v169, 0x80000000, v166
                                        ; implicit-def: $vgpr166_vgpr167
.LBB55_239:
	s_and_not1_saveexec_b32 s1, s1
	s_cbranch_execz .LBB55_241
; %bb.240:
	v_div_scale_f32 v168, null, v166, v166, v167
	v_div_scale_f32 v174, vcc_lo, v167, v166, v167
	s_delay_alu instid0(VALU_DEP_2) | instskip(SKIP_1) | instid1(TRANS32_DEP_1)
	v_rcp_f32_e32 v169, v168
	v_nop
	v_fma_f32 v173, -v168, v169, 1.0
	s_delay_alu instid0(VALU_DEP_1) | instskip(NEXT) | instid1(VALU_DEP_1)
	v_fmac_f32_e32 v169, v173, v169
	v_mul_f32_e32 v173, v174, v169
	s_delay_alu instid0(VALU_DEP_1) | instskip(NEXT) | instid1(VALU_DEP_1)
	v_fma_f32 v175, -v168, v173, v174
	v_fmac_f32_e32 v173, v175, v169
	s_delay_alu instid0(VALU_DEP_1) | instskip(NEXT) | instid1(VALU_DEP_1)
	v_fma_f32 v168, -v168, v173, v174
	v_div_fmas_f32 v168, v168, v169, v173
	s_delay_alu instid0(VALU_DEP_1) | instskip(NEXT) | instid1(VALU_DEP_1)
	v_div_fixup_f32 v169, v168, v166, v167
	v_fmac_f32_e32 v166, v167, v169
	s_delay_alu instid0(VALU_DEP_1) | instskip(NEXT) | instid1(VALU_DEP_1)
	v_div_scale_f32 v167, null, v166, v166, 1.0
	v_rcp_f32_e32 v168, v167
	v_nop
	s_delay_alu instid0(TRANS32_DEP_1) | instskip(NEXT) | instid1(VALU_DEP_1)
	v_fma_f32 v173, -v167, v168, 1.0
	v_fmac_f32_e32 v168, v173, v168
	v_div_scale_f32 v173, vcc_lo, 1.0, v166, 1.0
	s_delay_alu instid0(VALU_DEP_1) | instskip(NEXT) | instid1(VALU_DEP_1)
	v_mul_f32_e32 v174, v173, v168
	v_fma_f32 v175, -v167, v174, v173
	s_delay_alu instid0(VALU_DEP_1) | instskip(NEXT) | instid1(VALU_DEP_1)
	v_fmac_f32_e32 v174, v175, v168
	v_fma_f32 v167, -v167, v174, v173
	s_delay_alu instid0(VALU_DEP_1) | instskip(NEXT) | instid1(VALU_DEP_1)
	v_div_fmas_f32 v167, v167, v168, v174
	v_div_fixup_f32 v168, v167, v166, 1.0
	s_delay_alu instid0(VALU_DEP_1)
	v_mul_f32_e64 v169, v169, -v168
.LBB55_241:
	s_or_b32 exec_lo, exec_lo, s1
	ds_store_b64 v171, v[168:169]
.LBB55_242:
	s_or_b32 exec_lo, exec_lo, s2
	s_wait_dscnt 0x0
	s_barrier_signal -1
	s_barrier_wait -1
	ds_load_b64 v[166:167], v171
	s_mov_b32 s1, exec_lo
	v_cmpx_lt_u32_e32 26, v170
	s_cbranch_execz .LBB55_244
; %bb.243:
	ds_load_b64 v[168:169], v172 offset:216
	s_wait_dscnt 0x1
	v_pk_mul_f32 v[172:173], v[166:167], v[106:107] op_sel:[1,1] op_sel_hi:[0,1]
	s_delay_alu instid0(VALU_DEP_1) | instskip(SKIP_2) | instid1(VALU_DEP_2)
	v_pk_fma_f32 v[174:175], v[166:167], v[106:107], v[172:173] op_sel_hi:[1,0,1]
	v_pk_fma_f32 v[106:107], v[166:167], v[106:107], v[172:173] op_sel_hi:[1,0,1] neg_lo:[0,0,1] neg_hi:[0,0,1]
	s_wait_dscnt 0x0
	v_pk_mul_f32 v[172:173], v[168:169], v[174:175] op_sel:[1,1] op_sel_hi:[0,1]
	s_delay_alu instid0(VALU_DEP_1) | instskip(SKIP_1) | instid1(VALU_DEP_2)
	v_pk_fma_f32 v[176:177], v[168:169], v[106:107], v[172:173] op_sel_hi:[1,0,1]
	v_pk_fma_f32 v[168:169], v[168:169], v[106:107], v[172:173] neg_lo:[0,0,1] neg_hi:[0,0,1]
	v_dual_mov_b32 v107, v175 :: v_dual_mov_b32 v169, v177
	s_delay_alu instid0(VALU_DEP_1)
	v_pk_add_f32 v[112:113], v[112:113], v[168:169] neg_lo:[0,1] neg_hi:[0,1]
.LBB55_244:
	s_or_b32 exec_lo, exec_lo, s1
	s_delay_alu instid0(SALU_CYCLE_1)
	s_mov_b32 s2, exec_lo
	s_wait_dscnt 0x0
	s_barrier_signal -1
	s_barrier_wait -1
	v_cmpx_eq_u32_e32 27, v170
	s_cbranch_execz .LBB55_251
; %bb.245:
	v_cmp_neq_f32_e32 vcc_lo, 0, v112
	v_cmp_neq_f32_e64 s1, 0, v113
	ds_store_b64 v171, v[112:113]
	s_or_b32 s1, vcc_lo, s1
	s_delay_alu instid0(SALU_CYCLE_1)
	s_and_b32 exec_lo, exec_lo, s1
	s_cbranch_execz .LBB55_251
; %bb.246:
	v_cmp_ngt_f32_e64 s1, |v112|, |v113|
                                        ; implicit-def: $vgpr168_vgpr169
	s_and_saveexec_b32 s4, s1
	s_delay_alu instid0(SALU_CYCLE_1)
	s_xor_b32 s1, exec_lo, s4
	s_cbranch_execz .LBB55_248
; %bb.247:
	v_div_scale_f32 v168, null, v113, v113, v112
	v_div_scale_f32 v173, vcc_lo, v112, v113, v112
	s_delay_alu instid0(VALU_DEP_2) | instskip(SKIP_1) | instid1(TRANS32_DEP_1)
	v_rcp_f32_e32 v169, v168
	v_nop
	v_fma_f32 v172, -v168, v169, 1.0
	s_delay_alu instid0(VALU_DEP_1) | instskip(NEXT) | instid1(VALU_DEP_1)
	v_fmac_f32_e32 v169, v172, v169
	v_mul_f32_e32 v172, v173, v169
	s_delay_alu instid0(VALU_DEP_1) | instskip(NEXT) | instid1(VALU_DEP_1)
	v_fma_f32 v174, -v168, v172, v173
	v_fmac_f32_e32 v172, v174, v169
	s_delay_alu instid0(VALU_DEP_1) | instskip(NEXT) | instid1(VALU_DEP_1)
	v_fma_f32 v168, -v168, v172, v173
	v_div_fmas_f32 v168, v168, v169, v172
	s_delay_alu instid0(VALU_DEP_1) | instskip(NEXT) | instid1(VALU_DEP_1)
	v_div_fixup_f32 v168, v168, v113, v112
	v_fma_f32 v169, v112, v168, v113
	s_delay_alu instid0(VALU_DEP_1) | instskip(SKIP_1) | instid1(VALU_DEP_2)
	v_div_scale_f32 v172, null, v169, v169, 1.0
	v_div_scale_f32 v175, vcc_lo, 1.0, v169, 1.0
	v_rcp_f32_e32 v173, v172
	v_nop
	s_delay_alu instid0(TRANS32_DEP_1) | instskip(NEXT) | instid1(VALU_DEP_1)
	v_fma_f32 v174, -v172, v173, 1.0
	v_fmac_f32_e32 v173, v174, v173
	s_delay_alu instid0(VALU_DEP_1) | instskip(NEXT) | instid1(VALU_DEP_1)
	v_mul_f32_e32 v174, v175, v173
	v_fma_f32 v176, -v172, v174, v175
	s_delay_alu instid0(VALU_DEP_1) | instskip(NEXT) | instid1(VALU_DEP_1)
	v_fmac_f32_e32 v174, v176, v173
	v_fma_f32 v172, -v172, v174, v175
	s_delay_alu instid0(VALU_DEP_1) | instskip(NEXT) | instid1(VALU_DEP_1)
	v_div_fmas_f32 v172, v172, v173, v174
	v_div_fixup_f32 v169, v172, v169, 1.0
	s_delay_alu instid0(VALU_DEP_1)
	v_mul_f32_e32 v168, v168, v169
	v_xor_b32_e32 v169, 0x80000000, v169
.LBB55_248:
	s_and_not1_saveexec_b32 s1, s1
	s_cbranch_execz .LBB55_250
; %bb.249:
	v_div_scale_f32 v168, null, v112, v112, v113
	v_div_scale_f32 v173, vcc_lo, v113, v112, v113
	s_delay_alu instid0(VALU_DEP_2) | instskip(SKIP_1) | instid1(TRANS32_DEP_1)
	v_rcp_f32_e32 v169, v168
	v_nop
	v_fma_f32 v172, -v168, v169, 1.0
	s_delay_alu instid0(VALU_DEP_1) | instskip(NEXT) | instid1(VALU_DEP_1)
	v_fmac_f32_e32 v169, v172, v169
	v_mul_f32_e32 v172, v173, v169
	s_delay_alu instid0(VALU_DEP_1) | instskip(NEXT) | instid1(VALU_DEP_1)
	v_fma_f32 v174, -v168, v172, v173
	v_fmac_f32_e32 v172, v174, v169
	s_delay_alu instid0(VALU_DEP_1) | instskip(NEXT) | instid1(VALU_DEP_1)
	v_fma_f32 v168, -v168, v172, v173
	v_div_fmas_f32 v168, v168, v169, v172
	s_delay_alu instid0(VALU_DEP_1) | instskip(NEXT) | instid1(VALU_DEP_1)
	v_div_fixup_f32 v169, v168, v112, v113
	v_fma_f32 v168, v113, v169, v112
	s_delay_alu instid0(VALU_DEP_1) | instskip(NEXT) | instid1(VALU_DEP_1)
	v_div_scale_f32 v172, null, v168, v168, 1.0
	v_rcp_f32_e32 v173, v172
	v_nop
	s_delay_alu instid0(TRANS32_DEP_1) | instskip(NEXT) | instid1(VALU_DEP_1)
	v_fma_f32 v174, -v172, v173, 1.0
	v_fmac_f32_e32 v173, v174, v173
	v_div_scale_f32 v174, vcc_lo, 1.0, v168, 1.0
	s_delay_alu instid0(VALU_DEP_1) | instskip(NEXT) | instid1(VALU_DEP_1)
	v_mul_f32_e32 v175, v174, v173
	v_fma_f32 v176, -v172, v175, v174
	s_delay_alu instid0(VALU_DEP_1) | instskip(NEXT) | instid1(VALU_DEP_1)
	v_fmac_f32_e32 v175, v176, v173
	v_fma_f32 v172, -v172, v175, v174
	s_delay_alu instid0(VALU_DEP_1) | instskip(NEXT) | instid1(VALU_DEP_1)
	v_div_fmas_f32 v172, v172, v173, v175
	v_div_fixup_f32 v168, v172, v168, 1.0
	s_delay_alu instid0(VALU_DEP_1)
	v_mul_f32_e64 v169, v169, -v168
.LBB55_250:
	s_or_b32 exec_lo, exec_lo, s1
	ds_store_b64 v171, v[168:169]
.LBB55_251:
	s_or_b32 exec_lo, exec_lo, s2
	s_wait_dscnt 0x0
	s_barrier_signal -1
	s_barrier_wait -1
	ds_load_b64 v[168:169], v171
	s_wait_dscnt 0x0
	s_barrier_signal -1
	s_barrier_wait -1
	s_and_saveexec_b32 s4, s0
	s_cbranch_execz .LBB55_254
; %bb.252:
	v_cmp_eq_f32_e32 vcc_lo, 0, v114
	v_cmp_eq_f32_e64 s0, 0, v115
	v_cmp_neq_f32_e64 s1, 0, v116
	v_cmp_neq_f32_e64 s2, 0, v117
	v_lshl_add_u64 v[2:3], v[2:3], 2, s[6:7]
	s_and_b32 s0, vcc_lo, s0
	s_delay_alu instid0(SALU_CYCLE_1)
	v_cndmask_b32_e64 v114, 0, 1, s0
	s_or_b32 s1, s1, s2
	global_load_b32 v171, v[2:3], off
	s_or_b32 vcc_lo, s1, s0
	v_cmp_eq_f32_e64 s0, 0, v119
	v_cndmask_b32_e32 v114, 2, v114, vcc_lo
	v_cmp_eq_f32_e32 vcc_lo, 0, v118
	s_delay_alu instid0(VALU_DEP_2) | instskip(SKIP_3) | instid1(SALU_CYCLE_1)
	v_cmp_eq_u32_e64 s1, 0, v114
	s_and_b32 s0, vcc_lo, s0
	v_cmp_eq_f32_e32 vcc_lo, 0, v120
	s_and_b32 s0, s0, s1
	v_cndmask_b32_e64 v114, v114, 3, s0
	v_cmp_eq_f32_e64 s0, 0, v121
	s_delay_alu instid0(VALU_DEP_2) | instskip(SKIP_3) | instid1(SALU_CYCLE_1)
	v_cmp_eq_u32_e64 s1, 0, v114
	s_and_b32 s0, vcc_lo, s0
	v_cmp_eq_f32_e32 vcc_lo, 0, v122
	s_and_b32 s0, s0, s1
	v_cndmask_b32_e64 v114, v114, 4, s0
	v_cmp_eq_f32_e64 s0, 0, v123
	;; [unrolled: 7-line block ×25, first 2 shown]
	s_delay_alu instid0(VALU_DEP_2) | instskip(SKIP_1) | instid1(SALU_CYCLE_1)
	v_cmp_eq_u32_e64 s1, 0, v114
	s_and_b32 s0, vcc_lo, s0
	s_and_b32 s0, s0, s1
	s_delay_alu instid0(SALU_CYCLE_1) | instskip(SKIP_2) | instid1(VALU_DEP_2)
	v_cndmask_b32_e64 v114, v114, 28, s0
	s_wait_loadcnt 0x0
	v_cmp_eq_u32_e32 vcc_lo, 0, v171
	v_cmp_ne_u32_e64 s0, 0, v114
	s_and_b32 s0, vcc_lo, s0
	s_delay_alu instid0(SALU_CYCLE_1)
	s_and_b32 exec_lo, exec_lo, s0
	s_cbranch_execz .LBB55_254
; %bb.253:
	v_add_nc_u32_e32 v114, s3, v114
	global_store_b32 v[2:3], v114, off
.LBB55_254:
	s_wait_xcnt 0x0
	s_or_b32 exec_lo, exec_lo, s4
	v_pk_mul_f32 v[2:3], v[168:169], v[112:113] op_sel:[1,1] op_sel_hi:[0,1]
	s_clause 0x1
	global_store_b64 v[18:19], v[56:57], off
	global_store_b64 v[34:35], v[58:59], off
	v_cmp_lt_u32_e32 vcc_lo, 27, v170
	s_clause 0x2
	global_store_b64 v[6:7], v[48:49], off
	global_store_b64 v[12:13], v[46:47], off
	;; [unrolled: 1-line block ×3, first 2 shown]
	s_wait_xcnt 0x4
	v_pk_fma_f32 v[18:19], v[168:169], v[112:113], v[2:3] op_sel_hi:[1,0,1]
	v_pk_fma_f32 v[2:3], v[168:169], v[112:113], v[2:3] neg_lo:[0,0,1] neg_hi:[0,0,1]
	s_delay_alu instid0(VALU_DEP_1)
	v_dual_cndmask_b32 v3, v113, v19 :: v_dual_cndmask_b32 v2, v112, v2
	s_clause 0x16
	global_store_b64 v[0:1], v[24:25], off
	global_store_b64 v[4:5], v[26:27], off
	;; [unrolled: 1-line block ×23, first 2 shown]
.LBB55_255:
	s_sendmsg sendmsg(MSG_DEALLOC_VGPRS)
	s_endpgm
	.section	.rodata,"a",@progbits
	.p2align	6, 0x0
	.amdhsa_kernel _ZN9rocsolver6v33100L23getf2_npvt_small_kernelILi28E19rocblas_complex_numIfEiiPS3_EEvT1_T3_lS5_lPT2_S5_S5_
		.amdhsa_group_segment_fixed_size 0
		.amdhsa_private_segment_fixed_size 0
		.amdhsa_kernarg_size 312
		.amdhsa_user_sgpr_count 2
		.amdhsa_user_sgpr_dispatch_ptr 0
		.amdhsa_user_sgpr_queue_ptr 0
		.amdhsa_user_sgpr_kernarg_segment_ptr 1
		.amdhsa_user_sgpr_dispatch_id 0
		.amdhsa_user_sgpr_kernarg_preload_length 0
		.amdhsa_user_sgpr_kernarg_preload_offset 0
		.amdhsa_user_sgpr_private_segment_size 0
		.amdhsa_wavefront_size32 1
		.amdhsa_uses_dynamic_stack 0
		.amdhsa_enable_private_segment 0
		.amdhsa_system_sgpr_workgroup_id_x 1
		.amdhsa_system_sgpr_workgroup_id_y 1
		.amdhsa_system_sgpr_workgroup_id_z 0
		.amdhsa_system_sgpr_workgroup_info 0
		.amdhsa_system_vgpr_workitem_id 1
		.amdhsa_next_free_vgpr 192
		.amdhsa_next_free_sgpr 15
		.amdhsa_named_barrier_count 0
		.amdhsa_reserve_vcc 1
		.amdhsa_float_round_mode_32 0
		.amdhsa_float_round_mode_16_64 0
		.amdhsa_float_denorm_mode_32 3
		.amdhsa_float_denorm_mode_16_64 3
		.amdhsa_fp16_overflow 0
		.amdhsa_memory_ordered 1
		.amdhsa_forward_progress 1
		.amdhsa_inst_pref_size 255
		.amdhsa_round_robin_scheduling 0
		.amdhsa_exception_fp_ieee_invalid_op 0
		.amdhsa_exception_fp_denorm_src 0
		.amdhsa_exception_fp_ieee_div_zero 0
		.amdhsa_exception_fp_ieee_overflow 0
		.amdhsa_exception_fp_ieee_underflow 0
		.amdhsa_exception_fp_ieee_inexact 0
		.amdhsa_exception_int_div_zero 0
	.end_amdhsa_kernel
	.section	.text._ZN9rocsolver6v33100L23getf2_npvt_small_kernelILi28E19rocblas_complex_numIfEiiPS3_EEvT1_T3_lS5_lPT2_S5_S5_,"axG",@progbits,_ZN9rocsolver6v33100L23getf2_npvt_small_kernelILi28E19rocblas_complex_numIfEiiPS3_EEvT1_T3_lS5_lPT2_S5_S5_,comdat
.Lfunc_end55:
	.size	_ZN9rocsolver6v33100L23getf2_npvt_small_kernelILi28E19rocblas_complex_numIfEiiPS3_EEvT1_T3_lS5_lPT2_S5_S5_, .Lfunc_end55-_ZN9rocsolver6v33100L23getf2_npvt_small_kernelILi28E19rocblas_complex_numIfEiiPS3_EEvT1_T3_lS5_lPT2_S5_S5_
                                        ; -- End function
	.set _ZN9rocsolver6v33100L23getf2_npvt_small_kernelILi28E19rocblas_complex_numIfEiiPS3_EEvT1_T3_lS5_lPT2_S5_S5_.num_vgpr, 192
	.set _ZN9rocsolver6v33100L23getf2_npvt_small_kernelILi28E19rocblas_complex_numIfEiiPS3_EEvT1_T3_lS5_lPT2_S5_S5_.num_agpr, 0
	.set _ZN9rocsolver6v33100L23getf2_npvt_small_kernelILi28E19rocblas_complex_numIfEiiPS3_EEvT1_T3_lS5_lPT2_S5_S5_.numbered_sgpr, 15
	.set _ZN9rocsolver6v33100L23getf2_npvt_small_kernelILi28E19rocblas_complex_numIfEiiPS3_EEvT1_T3_lS5_lPT2_S5_S5_.num_named_barrier, 0
	.set _ZN9rocsolver6v33100L23getf2_npvt_small_kernelILi28E19rocblas_complex_numIfEiiPS3_EEvT1_T3_lS5_lPT2_S5_S5_.private_seg_size, 0
	.set _ZN9rocsolver6v33100L23getf2_npvt_small_kernelILi28E19rocblas_complex_numIfEiiPS3_EEvT1_T3_lS5_lPT2_S5_S5_.uses_vcc, 1
	.set _ZN9rocsolver6v33100L23getf2_npvt_small_kernelILi28E19rocblas_complex_numIfEiiPS3_EEvT1_T3_lS5_lPT2_S5_S5_.uses_flat_scratch, 0
	.set _ZN9rocsolver6v33100L23getf2_npvt_small_kernelILi28E19rocblas_complex_numIfEiiPS3_EEvT1_T3_lS5_lPT2_S5_S5_.has_dyn_sized_stack, 0
	.set _ZN9rocsolver6v33100L23getf2_npvt_small_kernelILi28E19rocblas_complex_numIfEiiPS3_EEvT1_T3_lS5_lPT2_S5_S5_.has_recursion, 0
	.set _ZN9rocsolver6v33100L23getf2_npvt_small_kernelILi28E19rocblas_complex_numIfEiiPS3_EEvT1_T3_lS5_lPT2_S5_S5_.has_indirect_call, 0
	.section	.AMDGPU.csdata,"",@progbits
; Kernel info:
; codeLenInByte = 41672
; TotalNumSgprs: 17
; NumVgprs: 192
; ScratchSize: 0
; MemoryBound: 0
; FloatMode: 240
; IeeeMode: 1
; LDSByteSize: 0 bytes/workgroup (compile time only)
; SGPRBlocks: 0
; VGPRBlocks: 11
; NumSGPRsForWavesPerEU: 17
; NumVGPRsForWavesPerEU: 192
; NamedBarCnt: 0
; Occupancy: 5
; WaveLimiterHint : 0
; COMPUTE_PGM_RSRC2:SCRATCH_EN: 0
; COMPUTE_PGM_RSRC2:USER_SGPR: 2
; COMPUTE_PGM_RSRC2:TRAP_HANDLER: 0
; COMPUTE_PGM_RSRC2:TGID_X_EN: 1
; COMPUTE_PGM_RSRC2:TGID_Y_EN: 1
; COMPUTE_PGM_RSRC2:TGID_Z_EN: 0
; COMPUTE_PGM_RSRC2:TIDIG_COMP_CNT: 1
	.section	.text._ZN9rocsolver6v33100L18getf2_small_kernelILi29E19rocblas_complex_numIfEiiPS3_EEvT1_T3_lS5_lPS5_llPT2_S5_S5_S7_l,"axG",@progbits,_ZN9rocsolver6v33100L18getf2_small_kernelILi29E19rocblas_complex_numIfEiiPS3_EEvT1_T3_lS5_lPS5_llPT2_S5_S5_S7_l,comdat
	.globl	_ZN9rocsolver6v33100L18getf2_small_kernelILi29E19rocblas_complex_numIfEiiPS3_EEvT1_T3_lS5_lPS5_llPT2_S5_S5_S7_l ; -- Begin function _ZN9rocsolver6v33100L18getf2_small_kernelILi29E19rocblas_complex_numIfEiiPS3_EEvT1_T3_lS5_lPS5_llPT2_S5_S5_S7_l
	.p2align	8
	.type	_ZN9rocsolver6v33100L18getf2_small_kernelILi29E19rocblas_complex_numIfEiiPS3_EEvT1_T3_lS5_lPS5_llPT2_S5_S5_S7_l,@function
_ZN9rocsolver6v33100L18getf2_small_kernelILi29E19rocblas_complex_numIfEiiPS3_EEvT1_T3_lS5_lPS5_llPT2_S5_S5_S7_l: ; @_ZN9rocsolver6v33100L18getf2_small_kernelILi29E19rocblas_complex_numIfEiiPS3_EEvT1_T3_lS5_lPS5_llPT2_S5_S5_S7_l
; %bb.0:
	s_clause 0x1
	s_load_u16 s2, s[0:1], 0x6e
	s_load_b64 s[16:17], s[0:1], 0x48
	s_bfe_u32 s3, ttmp6, 0x40010
	s_bfe_u32 s4, ttmp6, 0x40004
	s_add_co_i32 s3, s3, 1
	s_getreg_b32 s5, hwreg(HW_REG_IB_STS2, 6, 4)
	s_mul_i32 s3, ttmp7, s3
	v_bfe_u32 v66, v0, 10, 10
	s_add_co_i32 s4, s4, s3
	s_cmp_eq_u32 s5, 0
	s_cselect_b32 s3, ttmp7, s4
	s_wait_kmcnt 0x0
	v_mad_u32 v2, s3, s2, v66
	s_mov_b32 s2, exec_lo
	s_delay_alu instid0(VALU_DEP_1)
	v_cmpx_gt_i32_e64 s16, v2
	s_cbranch_execz .LBB56_610
; %bb.1:
	s_load_b128 s[4:7], s[0:1], 0x50
	v_mov_b64_e32 v[4:5], 0
	v_ashrrev_i32_e32 v3, 31, v2
	s_wait_kmcnt 0x0
	s_cmp_eq_u64 s[4:5], 0
	s_cselect_b32 s16, -1, 0
	s_delay_alu instid0(SALU_CYCLE_1)
	s_and_b32 vcc_lo, exec_lo, s16
	s_cbranch_vccnz .LBB56_3
; %bb.2:
	v_mul_u64_e32 v[4:5], s[6:7], v[2:3]
	s_delay_alu instid0(VALU_DEP_1)
	v_lshl_add_u64 v[4:5], v[4:5], 2, s[4:5]
.LBB56_3:
	s_clause 0x2
	s_load_b32 s2, s[0:1], 0x18
	s_load_b128 s[12:15], s[0:1], 0x8
	s_load_b32 s18, s[0:1], 0x0
	v_and_b32_e32 v71, 0x3ff, v0
	s_load_b256 s[4:11], s[0:1], 0x20
	s_delay_alu instid0(VALU_DEP_1) | instskip(SKIP_4) | instid1(VALU_DEP_2)
	v_dual_mov_b32 v65, 0 :: v_dual_lshlrev_b32 v64, 3, v71
	s_wait_kmcnt 0x0
	v_add3_u32 v6, s2, s2, v71
	s_ashr_i32 s3, s2, 31
	v_mul_u64_e32 v[0:1], s[4:5], v[2:3]
	v_add_nc_u32_e32 v8, s2, v6
	s_max_i32 s4, s18, 29
	s_cmp_lt_i32 s18, 2
	s_delay_alu instid0(VALU_DEP_1) | instskip(NEXT) | instid1(VALU_DEP_1)
	v_dual_ashrrev_i32 v7, 31, v6 :: v_dual_add_nc_u32 v10, s2, v8
	v_add_nc_u32_e32 v12, s2, v10
	s_delay_alu instid0(VALU_DEP_1) | instskip(NEXT) | instid1(VALU_DEP_1)
	v_add_nc_u32_e32 v14, s2, v12
	v_dual_ashrrev_i32 v9, 31, v8 :: v_dual_add_nc_u32 v16, s2, v14
	s_delay_alu instid0(VALU_DEP_1) | instskip(SKIP_1) | instid1(VALU_DEP_2)
	v_dual_add_nc_u32 v18, s2, v16 :: v_dual_ashrrev_i32 v11, 31, v10
	v_ashrrev_i32_e32 v13, 31, v12
	v_dual_ashrrev_i32 v17, 31, v16 :: v_dual_add_nc_u32 v20, s2, v18
	v_lshl_add_u64 v[0:1], v[0:1], 3, s[12:13]
	s_delay_alu instid0(VALU_DEP_2) | instskip(SKIP_1) | instid1(VALU_DEP_3)
	v_dual_ashrrev_i32 v19, 31, v18 :: v_dual_ashrrev_i32 v21, 31, v20
	v_add_nc_u32_e32 v22, s2, v20
	v_lshl_add_u64 v[0:1], s[14:15], 3, v[0:1]
	s_delay_alu instid0(VALU_DEP_2) | instskip(NEXT) | instid1(VALU_DEP_2)
	v_add_nc_u32_e32 v24, s2, v22
	v_lshl_add_u64 v[38:39], v[10:11], 3, v[0:1]
	v_add_nc_u64_e32 v[32:33], v[0:1], v[64:65]
	v_lshl_add_u64 v[40:41], v[12:13], 3, v[0:1]
	v_lshl_add_u64 v[6:7], v[6:7], 3, v[0:1]
	v_add_nc_u32_e32 v26, s2, v24
	v_lshl_add_u64 v[36:37], v[8:9], 3, v[0:1]
	v_lshl_add_u64 v[46:47], v[18:19], 3, v[0:1]
	;; [unrolled: 1-line block ×4, first 2 shown]
	v_add_nc_u32_e32 v28, s2, v26
	v_ashrrev_i32_e32 v15, 31, v14
	v_dual_ashrrev_i32 v27, 31, v26 :: v_dual_ashrrev_i32 v25, 31, v24
	s_delay_alu instid0(VALU_DEP_3) | instskip(NEXT) | instid1(VALU_DEP_3)
	v_add_nc_u32_e32 v30, s2, v28
	v_lshl_add_u64 v[42:43], v[14:15], 3, v[0:1]
	s_clause 0x3
	global_load_b64 v[14:15], v[38:39], off
	global_load_b64 v[10:11], v[40:41], off
	;; [unrolled: 1-line block ×4, first 2 shown]
	v_add_nc_u32_e32 v34, s2, v30
	s_wait_xcnt 0x0
	v_lshl_add_u64 v[16:17], s[2:3], 3, v[32:33]
	s_clause 0x3
	global_load_b64 v[56:57], v[6:7], off
	global_load_b64 v[54:55], v[36:37], off
	;; [unrolled: 1-line block ×4, first 2 shown]
	v_dual_ashrrev_i32 v29, 31, v28 :: v_dual_add_nc_u32 v44, s2, v34
	v_ashrrev_i32_e32 v31, 31, v30
	s_wait_xcnt 0x2
	v_lshl_add_u64 v[36:37], v[26:27], 3, v[0:1]
	v_lshl_add_u64 v[6:7], v[24:25], 3, v[0:1]
	;; [unrolled: 1-line block ×3, first 2 shown]
	v_dual_add_nc_u32 v50, s2, v44 :: v_dual_ashrrev_i32 v45, 31, v44
	s_delay_alu instid0(VALU_DEP_1) | instskip(SKIP_1) | instid1(VALU_DEP_1)
	v_add_nc_u32_e32 v40, s2, v50
	s_wait_xcnt 0x1
	v_dual_ashrrev_i32 v23, 31, v22 :: v_dual_add_nc_u32 v32, s2, v40
	s_delay_alu instid0(VALU_DEP_1)
	v_lshl_add_u64 v[38:39], v[22:23], 3, v[0:1]
	s_clause 0x3
	global_load_b64 v[22:23], v[46:47], off
	global_load_b64 v[18:19], v[48:49], off
	;; [unrolled: 1-line block ×4, first 2 shown]
	s_wait_xcnt 0x0
	v_add_nc_u32_e32 v6, s2, v32
	v_lshl_add_u64 v[46:47], v[30:31], 3, v[0:1]
	v_ashrrev_i32_e32 v41, 31, v40
	s_delay_alu instid0(VALU_DEP_3) | instskip(NEXT) | instid1(VALU_DEP_2)
	v_dual_ashrrev_i32 v33, 31, v32 :: v_dual_add_nc_u32 v38, s2, v6
	v_lshl_add_u64 v[40:41], v[40:41], 3, v[0:1]
	s_delay_alu instid0(VALU_DEP_2) | instskip(NEXT) | instid1(VALU_DEP_3)
	v_lshl_add_u64 v[32:33], v[32:33], 3, v[0:1]
	v_add_nc_u32_e32 v52, s2, v38
	s_delay_alu instid0(VALU_DEP_1) | instskip(NEXT) | instid1(VALU_DEP_1)
	v_dual_ashrrev_i32 v35, 31, v34 :: v_dual_ashrrev_i32 v53, 31, v52
	v_lshl_add_u64 v[34:35], v[34:35], 3, v[0:1]
	s_clause 0x3
	global_load_b64 v[30:31], v[36:37], off
	global_load_b64 v[26:27], v[42:43], off
	;; [unrolled: 1-line block ×4, first 2 shown]
	s_wait_xcnt 0x0
	v_add_nc_u32_e32 v34, s2, v52
	v_lshl_add_u64 v[36:37], v[44:45], 3, v[0:1]
	v_lshl_add_u64 v[52:53], v[52:53], 3, v[0:1]
	s_delay_alu instid0(VALU_DEP_3) | instskip(NEXT) | instid1(VALU_DEP_1)
	v_add_nc_u32_e32 v42, s2, v34
	v_dual_add_nc_u32 v68, s2, v42 :: v_dual_ashrrev_i32 v43, 31, v42
	v_ashrrev_i32_e32 v51, 31, v50
	s_delay_alu instid0(VALU_DEP_2) | instskip(NEXT) | instid1(VALU_DEP_2)
	v_dual_ashrrev_i32 v39, 31, v38 :: v_dual_ashrrev_i32 v69, 31, v68
	v_lshl_add_u64 v[62:63], v[50:51], 3, v[0:1]
	s_clause 0x3
	global_load_b64 v[50:51], v[36:37], off
	global_load_b64 v[46:47], v[62:63], off
	;; [unrolled: 1-line block ×4, first 2 shown]
	s_wait_xcnt 0x1
	v_dual_add_nc_u32 v40, s2, v68 :: v_dual_ashrrev_i32 v7, 31, v6
	v_ashrrev_i32_e32 v35, 31, v34
	v_lshl_add_u64 v[72:73], v[38:39], 3, v[0:1]
	v_lshl_add_u64 v[68:69], v[68:69], 3, v[0:1]
	s_delay_alu instid0(VALU_DEP_4)
	v_add_nc_u32_e32 v62, s2, v40
	v_lshl_add_u64 v[6:7], v[6:7], 3, v[0:1]
	v_ashrrev_i32_e32 v41, 31, v40
	v_lshl_add_u64 v[74:75], v[34:35], 3, v[0:1]
	s_clause 0x3
	global_load_b64 v[38:39], v[6:7], off
	global_load_b64 v[34:35], v[72:73], off
	;; [unrolled: 1-line block ×4, first 2 shown]
	v_dual_add_nc_u32 v76, s2, v62 :: v_dual_ashrrev_i32 v63, 31, v62
	s_wait_xcnt 0x2
	v_lshl_add_u64 v[72:73], v[42:43], 3, v[0:1]
	s_wait_xcnt 0x0
	v_lshl_add_u64 v[74:75], v[40:41], 3, v[0:1]
	v_ashrrev_i32_e32 v77, 31, v76
	v_lshl_add_u64 v[78:79], v[62:63], 3, v[0:1]
	s_delay_alu instid0(VALU_DEP_2)
	v_lshl_add_u64 v[76:77], v[76:77], 3, v[0:1]
	s_clause 0x4
	global_load_b64 v[6:7], v[72:73], off
	global_load_b64 v[52:53], v[68:69], off
	;; [unrolled: 1-line block ×5, first 2 shown]
	s_wait_xcnt 0x3
	v_mul_lo_u32 v69, s4, v66
	s_load_b64 s[4:5], s[0:1], 0x40
	s_delay_alu instid0(VALU_DEP_1) | instskip(NEXT) | instid1(VALU_DEP_1)
	v_lshl_add_u32 v68, v69, 3, 0
	v_dual_lshlrev_b32 v69, 3, v69 :: v_dual_add_nc_u32 v64, v68, v64
	s_wait_loadcnt 0x16
	ds_store_b64 v64, v[58:59]
	s_wait_loadcnt_dscnt 0x0
	s_barrier_signal -1
	s_barrier_wait -1
	ds_load_b64 v[66:67], v68
	s_cbranch_scc1 .LBB56_6
; %bb.4:
	v_add3_u32 v64, v69, 0, 8
	v_mov_b32_e32 v65, 0
	s_wait_xcnt 0x0
	s_mov_b32 s0, 1
.LBB56_5:                               ; =>This Inner Loop Header: Depth=1
	ds_load_b64 v[72:73], v64
	s_wait_dscnt 0x1
	v_cmp_gt_f32_e32 vcc_lo, 0, v66
	v_cndmask_b32_e64 v74, v66, -v66, vcc_lo
	v_cmp_gt_f32_e32 vcc_lo, 0, v67
	v_cndmask_b32_e64 v76, v67, -v67, vcc_lo
	s_wait_dscnt 0x0
	v_cmp_gt_f32_e32 vcc_lo, 0, v72
	v_cndmask_b32_e64 v75, v72, -v72, vcc_lo
	v_cmp_gt_f32_e32 vcc_lo, 0, v73
	v_cndmask_b32_e64 v77, v73, -v73, vcc_lo
	s_delay_alu instid0(VALU_DEP_1) | instskip(NEXT) | instid1(VALU_DEP_1)
	v_pk_add_f32 v[74:75], v[74:75], v[76:77]
	v_cmp_lt_f32_e32 vcc_lo, v74, v75
	v_dual_cndmask_b32 v67, v67, v73 :: v_dual_add_nc_u32 v64, 8, v64
	v_cndmask_b32_e32 v66, v66, v72, vcc_lo
	v_cndmask_b32_e64 v65, v65, s0, vcc_lo
	s_add_co_i32 s0, s0, 1
	s_delay_alu instid0(SALU_CYCLE_1)
	s_cmp_eq_u32 s18, s0
	s_cbranch_scc0 .LBB56_5
.LBB56_6:
	s_wait_dscnt 0x0
	v_cmp_neq_f32_e32 vcc_lo, 0, v66
	s_wait_xcnt 0x0
	v_cmp_neq_f32_e64 s0, 0, v67
	v_dual_mov_b32 v70, 1 :: v_dual_mov_b32 v73, 1
	s_or_b32 s1, vcc_lo, s0
	s_delay_alu instid0(SALU_CYCLE_1)
	s_and_saveexec_b32 s0, s1
	s_cbranch_execz .LBB56_12
; %bb.7:
	v_cmp_ngt_f32_e64 s1, |v66|, |v67|
	s_and_saveexec_b32 s12, s1
	s_delay_alu instid0(SALU_CYCLE_1)
	s_xor_b32 s1, exec_lo, s12
	s_cbranch_execz .LBB56_9
; %bb.8:
	v_div_scale_f32 v64, null, v67, v67, v66
	v_div_scale_f32 v73, vcc_lo, v66, v67, v66
	s_delay_alu instid0(VALU_DEP_2) | instskip(SKIP_1) | instid1(TRANS32_DEP_1)
	v_rcp_f32_e32 v70, v64
	v_nop
	v_fma_f32 v72, -v64, v70, 1.0
	s_delay_alu instid0(VALU_DEP_1) | instskip(NEXT) | instid1(VALU_DEP_1)
	v_fmac_f32_e32 v70, v72, v70
	v_mul_f32_e32 v72, v73, v70
	s_delay_alu instid0(VALU_DEP_1) | instskip(NEXT) | instid1(VALU_DEP_1)
	v_fma_f32 v74, -v64, v72, v73
	v_fmac_f32_e32 v72, v74, v70
	s_delay_alu instid0(VALU_DEP_1) | instskip(NEXT) | instid1(VALU_DEP_1)
	v_fma_f32 v64, -v64, v72, v73
	v_div_fmas_f32 v64, v64, v70, v72
	s_delay_alu instid0(VALU_DEP_1) | instskip(NEXT) | instid1(VALU_DEP_1)
	v_div_fixup_f32 v64, v64, v67, v66
	v_fmac_f32_e32 v67, v66, v64
	s_delay_alu instid0(VALU_DEP_1) | instskip(SKIP_1) | instid1(VALU_DEP_2)
	v_div_scale_f32 v66, null, v67, v67, 1.0
	v_div_scale_f32 v73, vcc_lo, 1.0, v67, 1.0
	v_rcp_f32_e32 v70, v66
	v_nop
	s_delay_alu instid0(TRANS32_DEP_1) | instskip(NEXT) | instid1(VALU_DEP_1)
	v_fma_f32 v72, -v66, v70, 1.0
	v_fmac_f32_e32 v70, v72, v70
	s_delay_alu instid0(VALU_DEP_1) | instskip(NEXT) | instid1(VALU_DEP_1)
	v_mul_f32_e32 v72, v73, v70
	v_fma_f32 v74, -v66, v72, v73
	s_delay_alu instid0(VALU_DEP_1) | instskip(NEXT) | instid1(VALU_DEP_1)
	v_fmac_f32_e32 v72, v74, v70
	v_fma_f32 v66, -v66, v72, v73
	s_delay_alu instid0(VALU_DEP_1) | instskip(NEXT) | instid1(VALU_DEP_1)
	v_div_fmas_f32 v66, v66, v70, v72
	v_div_fixup_f32 v67, v66, v67, 1.0
	s_delay_alu instid0(VALU_DEP_1)
	v_mul_f32_e32 v66, v64, v67
	v_xor_b32_e32 v67, 0x80000000, v67
.LBB56_9:
	s_and_not1_saveexec_b32 s1, s1
	s_cbranch_execz .LBB56_11
; %bb.10:
	s_delay_alu instid0(VALU_DEP_1) | instskip(SKIP_1) | instid1(VALU_DEP_2)
	v_div_scale_f32 v64, null, v66, v66, v67
	v_div_scale_f32 v73, vcc_lo, v67, v66, v67
	v_rcp_f32_e32 v70, v64
	v_nop
	s_delay_alu instid0(TRANS32_DEP_1) | instskip(NEXT) | instid1(VALU_DEP_1)
	v_fma_f32 v72, -v64, v70, 1.0
	v_fmac_f32_e32 v70, v72, v70
	s_delay_alu instid0(VALU_DEP_1) | instskip(NEXT) | instid1(VALU_DEP_1)
	v_mul_f32_e32 v72, v73, v70
	v_fma_f32 v74, -v64, v72, v73
	s_delay_alu instid0(VALU_DEP_1) | instskip(NEXT) | instid1(VALU_DEP_1)
	v_fmac_f32_e32 v72, v74, v70
	v_fma_f32 v64, -v64, v72, v73
	s_delay_alu instid0(VALU_DEP_1) | instskip(NEXT) | instid1(VALU_DEP_1)
	v_div_fmas_f32 v64, v64, v70, v72
	v_div_fixup_f32 v64, v64, v66, v67
	s_delay_alu instid0(VALU_DEP_1) | instskip(NEXT) | instid1(VALU_DEP_1)
	v_fmac_f32_e32 v66, v67, v64
	v_div_scale_f32 v67, null, v66, v66, 1.0
	s_delay_alu instid0(VALU_DEP_1) | instskip(SKIP_1) | instid1(TRANS32_DEP_1)
	v_rcp_f32_e32 v70, v67
	v_nop
	v_fma_f32 v72, -v67, v70, 1.0
	s_delay_alu instid0(VALU_DEP_1) | instskip(SKIP_1) | instid1(VALU_DEP_1)
	v_fmac_f32_e32 v70, v72, v70
	v_div_scale_f32 v72, vcc_lo, 1.0, v66, 1.0
	v_mul_f32_e32 v73, v72, v70
	s_delay_alu instid0(VALU_DEP_1) | instskip(NEXT) | instid1(VALU_DEP_1)
	v_fma_f32 v74, -v67, v73, v72
	v_fmac_f32_e32 v73, v74, v70
	s_delay_alu instid0(VALU_DEP_1) | instskip(NEXT) | instid1(VALU_DEP_1)
	v_fma_f32 v67, -v67, v73, v72
	v_div_fmas_f32 v67, v67, v70, v73
	s_delay_alu instid0(VALU_DEP_1) | instskip(NEXT) | instid1(VALU_DEP_1)
	v_div_fixup_f32 v66, v67, v66, 1.0
	v_mul_f32_e64 v67, v64, -v66
.LBB56_11:
	s_or_b32 exec_lo, exec_lo, s1
	v_dual_mov_b32 v73, 0 :: v_dual_mov_b32 v70, 2
.LBB56_12:
	s_or_b32 exec_lo, exec_lo, s0
	s_delay_alu instid0(SALU_CYCLE_1)
	s_mov_b32 s0, exec_lo
	v_cmpx_ne_u32_e64 v71, v65
	s_xor_b32 s0, exec_lo, s0
	s_cbranch_execz .LBB56_18
; %bb.13:
	s_mov_b32 s1, exec_lo
	v_cmpx_eq_u32_e32 0, v71
	s_cbranch_execz .LBB56_17
; %bb.14:
	v_cmp_ne_u32_e32 vcc_lo, 0, v65
	s_xor_b32 s12, s16, -1
	s_delay_alu instid0(SALU_CYCLE_1) | instskip(NEXT) | instid1(SALU_CYCLE_1)
	s_and_b32 s13, s12, vcc_lo
	s_and_saveexec_b32 s12, s13
	s_cbranch_execz .LBB56_16
; %bb.15:
	v_dual_mov_b32 v74, v65 :: v_dual_ashrrev_i32 v75, 31, v65
	s_delay_alu instid0(VALU_DEP_1)
	v_lshl_add_u64 v[74:75], v[74:75], 2, v[4:5]
	s_clause 0x1
	global_load_b32 v64, v[74:75], off
	global_load_b32 v71, v[4:5], off
	s_wait_loadcnt 0x1
	global_store_b32 v[4:5], v64, off
	s_wait_loadcnt 0x0
	global_store_b32 v[74:75], v71, off
.LBB56_16:
	s_wait_xcnt 0x0
	s_or_b32 exec_lo, exec_lo, s12
	v_mov_b32_e32 v71, v65
.LBB56_17:
	s_or_b32 exec_lo, exec_lo, s1
.LBB56_18:
	s_or_saveexec_b32 s0, s0
	s_delay_alu instid0(VALU_DEP_1)
	v_mov_b32_e32 v72, v71
	s_xor_b32 exec_lo, exec_lo, s0
	s_cbranch_execz .LBB56_20
; %bb.19:
	v_mov_b32_e32 v72, 0
	ds_store_2addr_b64 v68, v[60:61], v[56:57] offset0:1 offset1:2
	ds_store_2addr_b64 v68, v[54:55], v[14:15] offset0:3 offset1:4
	;; [unrolled: 1-line block ×14, first 2 shown]
.LBB56_20:
	s_or_b32 exec_lo, exec_lo, s0
	s_delay_alu instid0(SALU_CYCLE_1)
	s_mov_b32 s0, exec_lo
	s_wait_storecnt_dscnt 0x0
	s_barrier_signal -1
	s_barrier_wait -1
	v_cmpx_lt_i32_e32 0, v72
	s_cbranch_execz .LBB56_22
; %bb.21:
	v_pk_mul_f32 v[74:75], v[66:67], v[58:59] op_sel:[1,1] op_sel_hi:[0,1]
	s_delay_alu instid0(VALU_DEP_1)
	v_pk_fma_f32 v[64:65], v[66:67], v[58:59], v[74:75] op_sel_hi:[1,0,1] neg_lo:[0,0,1] neg_hi:[0,0,1]
	v_pk_fma_f32 v[66:67], v[66:67], v[58:59], v[74:75] op_sel_hi:[1,0,1]
	ds_load_2addr_b64 v[74:77], v68 offset0:1 offset1:2
	v_dual_mov_b32 v58, v64 :: v_dual_mov_b32 v59, v67
	s_wait_dscnt 0x0
	v_pk_mul_f32 v[78:79], v[74:75], v[66:67] op_sel:[0,1]
	s_delay_alu instid0(VALU_DEP_1) | instskip(SKIP_1) | instid1(VALU_DEP_1)
	v_pk_fma_f32 v[80:81], v[74:75], v[64:65], v[78:79] op_sel:[0,0,1] op_sel_hi:[1,1,0] neg_lo:[0,0,1] neg_hi:[0,0,1]
	v_pk_fma_f32 v[74:75], v[74:75], v[64:65], v[78:79] op_sel:[0,0,1] op_sel_hi:[1,0,0]
	v_mov_b32_e32 v81, v75
	v_pk_mul_f32 v[74:75], v[76:77], v[66:67] op_sel:[0,1]
	s_delay_alu instid0(VALU_DEP_1) | instskip(SKIP_1) | instid1(VALU_DEP_1)
	v_pk_fma_f32 v[78:79], v[76:77], v[64:65], v[74:75] op_sel:[0,0,1] op_sel_hi:[1,1,0] neg_lo:[0,0,1] neg_hi:[0,0,1]
	v_pk_fma_f32 v[74:75], v[76:77], v[64:65], v[74:75] op_sel:[0,0,1] op_sel_hi:[1,0,0]
	v_mov_b32_e32 v79, v75
	ds_load_2addr_b64 v[74:77], v68 offset0:3 offset1:4
	v_pk_add_f32 v[60:61], v[60:61], v[80:81] neg_lo:[0,1] neg_hi:[0,1]
	v_pk_add_f32 v[56:57], v[56:57], v[78:79] neg_lo:[0,1] neg_hi:[0,1]
	s_wait_dscnt 0x0
	v_pk_mul_f32 v[78:79], v[74:75], v[66:67] op_sel:[0,1]
	s_delay_alu instid0(VALU_DEP_1) | instskip(SKIP_2) | instid1(VALU_DEP_2)
	v_pk_fma_f32 v[80:81], v[74:75], v[64:65], v[78:79] op_sel:[0,0,1] op_sel_hi:[1,1,0] neg_lo:[0,0,1] neg_hi:[0,0,1]
	v_pk_fma_f32 v[74:75], v[74:75], v[64:65], v[78:79] op_sel:[0,0,1] op_sel_hi:[1,0,0]
	v_dual_mul_f32 v78, v77, v67 :: v_dual_mov_b32 v74, v77
	v_dual_mov_b32 v81, v75 :: v_dual_mov_b32 v75, v76
	s_delay_alu instid0(VALU_DEP_2) | instskip(SKIP_1) | instid1(VALU_DEP_3)
	v_pk_fma_f32 v[78:79], v[76:77], v[58:59], v[78:79] op_sel_hi:[1,1,0] neg_lo:[0,0,1] neg_hi:[0,0,1]
	v_mul_f32_e32 v76, v77, v64
	v_pk_add_f32 v[54:55], v[54:55], v[80:81] neg_lo:[0,1] neg_hi:[0,1]
	s_delay_alu instid0(VALU_DEP_2) | instskip(NEXT) | instid1(VALU_DEP_1)
	v_pk_fma_f32 v[74:75], v[74:75], v[58:59], v[76:77] op_sel_hi:[1,1,0]
	v_mov_b32_e32 v79, v75
	ds_load_2addr_b64 v[74:77], v68 offset0:5 offset1:6
	v_pk_add_f32 v[14:15], v[14:15], v[78:79] neg_lo:[0,1] neg_hi:[0,1]
	s_wait_dscnt 0x0
	v_pk_mul_f32 v[78:79], v[74:75], v[66:67] op_sel:[0,1]
	s_delay_alu instid0(VALU_DEP_1) | instskip(SKIP_1) | instid1(VALU_DEP_1)
	v_pk_fma_f32 v[80:81], v[74:75], v[64:65], v[78:79] op_sel:[0,0,1] op_sel_hi:[1,1,0] neg_lo:[0,0,1] neg_hi:[0,0,1]
	v_pk_fma_f32 v[74:75], v[74:75], v[64:65], v[78:79] op_sel:[0,0,1] op_sel_hi:[1,0,0]
	v_mov_b32_e32 v81, v75
	v_pk_mul_f32 v[74:75], v[76:77], v[66:67] op_sel:[0,1]
	s_delay_alu instid0(VALU_DEP_1) | instskip(SKIP_1) | instid1(VALU_DEP_1)
	v_pk_fma_f32 v[78:79], v[76:77], v[64:65], v[74:75] op_sel:[0,0,1] op_sel_hi:[1,1,0] neg_lo:[0,0,1] neg_hi:[0,0,1]
	v_pk_fma_f32 v[74:75], v[76:77], v[64:65], v[74:75] op_sel:[0,0,1] op_sel_hi:[1,0,0]
	v_mov_b32_e32 v79, v75
	ds_load_2addr_b64 v[74:77], v68 offset0:7 offset1:8
	v_pk_add_f32 v[10:11], v[10:11], v[80:81] neg_lo:[0,1] neg_hi:[0,1]
	v_pk_add_f32 v[12:13], v[12:13], v[78:79] neg_lo:[0,1] neg_hi:[0,1]
	s_wait_dscnt 0x0
	v_pk_mul_f32 v[78:79], v[74:75], v[66:67] op_sel:[0,1]
	s_delay_alu instid0(VALU_DEP_1) | instskip(SKIP_1) | instid1(VALU_DEP_1)
	v_pk_fma_f32 v[80:81], v[74:75], v[64:65], v[78:79] op_sel:[0,0,1] op_sel_hi:[1,1,0] neg_lo:[0,0,1] neg_hi:[0,0,1]
	v_pk_fma_f32 v[74:75], v[74:75], v[64:65], v[78:79] op_sel:[0,0,1] op_sel_hi:[1,0,0]
	v_mov_b32_e32 v81, v75
	v_pk_mul_f32 v[74:75], v[76:77], v[66:67] op_sel:[0,1]
	s_delay_alu instid0(VALU_DEP_1) | instskip(SKIP_1) | instid1(VALU_DEP_1)
	v_pk_fma_f32 v[78:79], v[76:77], v[64:65], v[74:75] op_sel:[0,0,1] op_sel_hi:[1,1,0] neg_lo:[0,0,1] neg_hi:[0,0,1]
	v_pk_fma_f32 v[74:75], v[76:77], v[64:65], v[74:75] op_sel:[0,0,1] op_sel_hi:[1,0,0]
	v_mov_b32_e32 v79, v75
	ds_load_2addr_b64 v[74:77], v68 offset0:9 offset1:10
	v_pk_add_f32 v[8:9], v[8:9], v[80:81] neg_lo:[0,1] neg_hi:[0,1]
	v_pk_add_f32 v[22:23], v[22:23], v[78:79] neg_lo:[0,1] neg_hi:[0,1]
	s_wait_dscnt 0x0
	v_dual_mul_f32 v78, v75, v67 :: v_dual_mul_f32 v80, v75, v64
	s_delay_alu instid0(VALU_DEP_1) | instskip(NEXT) | instid1(VALU_DEP_2)
	v_pk_fma_f32 v[78:79], v[74:75], v[58:59], v[78:79] op_sel_hi:[1,1,0] neg_lo:[0,0,1] neg_hi:[0,0,1]
	v_pk_fma_f32 v[74:75], v[74:75], v[58:59], v[80:81] op_sel:[1,0,0] op_sel_hi:[0,1,0]
	s_delay_alu instid0(VALU_DEP_1) | instskip(SKIP_1) | instid1(VALU_DEP_2)
	v_mov_b32_e32 v79, v75
	v_pk_mul_f32 v[74:75], v[76:77], v[66:67] op_sel:[0,1]
	v_pk_add_f32 v[18:19], v[18:19], v[78:79] neg_lo:[0,1] neg_hi:[0,1]
	s_delay_alu instid0(VALU_DEP_2) | instskip(SKIP_1) | instid1(VALU_DEP_1)
	v_pk_fma_f32 v[78:79], v[76:77], v[64:65], v[74:75] op_sel:[0,0,1] op_sel_hi:[1,1,0] neg_lo:[0,0,1] neg_hi:[0,0,1]
	v_pk_fma_f32 v[74:75], v[76:77], v[64:65], v[74:75] op_sel:[0,0,1] op_sel_hi:[1,0,0]
	v_mov_b32_e32 v79, v75
	ds_load_2addr_b64 v[74:77], v68 offset0:11 offset1:12
	v_pk_add_f32 v[20:21], v[20:21], v[78:79] neg_lo:[0,1] neg_hi:[0,1]
	s_wait_dscnt 0x0
	v_pk_mul_f32 v[78:79], v[74:75], v[66:67] op_sel:[0,1]
	s_delay_alu instid0(VALU_DEP_1) | instskip(SKIP_1) | instid1(VALU_DEP_1)
	v_pk_fma_f32 v[80:81], v[74:75], v[64:65], v[78:79] op_sel:[0,0,1] op_sel_hi:[1,1,0] neg_lo:[0,0,1] neg_hi:[0,0,1]
	v_pk_fma_f32 v[74:75], v[74:75], v[64:65], v[78:79] op_sel:[0,0,1] op_sel_hi:[1,0,0]
	v_mov_b32_e32 v81, v75
	v_pk_mul_f32 v[74:75], v[76:77], v[66:67] op_sel:[0,1]
	s_delay_alu instid0(VALU_DEP_2) | instskip(NEXT) | instid1(VALU_DEP_2)
	v_pk_add_f32 v[16:17], v[16:17], v[80:81] neg_lo:[0,1] neg_hi:[0,1]
	v_pk_fma_f32 v[78:79], v[76:77], v[64:65], v[74:75] op_sel:[0,0,1] op_sel_hi:[1,1,0] neg_lo:[0,0,1] neg_hi:[0,0,1]
	v_pk_fma_f32 v[74:75], v[76:77], v[64:65], v[74:75] op_sel:[0,0,1] op_sel_hi:[1,0,0]
	s_delay_alu instid0(VALU_DEP_1) | instskip(SKIP_4) | instid1(VALU_DEP_1)
	v_mov_b32_e32 v79, v75
	ds_load_2addr_b64 v[74:77], v68 offset0:13 offset1:14
	v_pk_add_f32 v[30:31], v[30:31], v[78:79] neg_lo:[0,1] neg_hi:[0,1]
	s_wait_dscnt 0x0
	v_pk_mul_f32 v[78:79], v[74:75], v[66:67] op_sel:[0,1]
	v_pk_fma_f32 v[80:81], v[74:75], v[64:65], v[78:79] op_sel:[0,0,1] op_sel_hi:[1,1,0] neg_lo:[0,0,1] neg_hi:[0,0,1]
	v_pk_fma_f32 v[74:75], v[74:75], v[64:65], v[78:79] op_sel:[0,0,1] op_sel_hi:[1,0,0]
	v_dual_mul_f32 v78, v77, v67 :: v_dual_mov_b32 v74, v77
	s_delay_alu instid0(VALU_DEP_2) | instskip(NEXT) | instid1(VALU_DEP_2)
	v_dual_mov_b32 v81, v75 :: v_dual_mov_b32 v75, v76
	v_pk_fma_f32 v[78:79], v[76:77], v[58:59], v[78:79] op_sel_hi:[1,1,0] neg_lo:[0,0,1] neg_hi:[0,0,1]
	v_mul_f32_e32 v76, v77, v64
	s_delay_alu instid0(VALU_DEP_3) | instskip(NEXT) | instid1(VALU_DEP_2)
	v_pk_add_f32 v[26:27], v[26:27], v[80:81] neg_lo:[0,1] neg_hi:[0,1]
	v_pk_fma_f32 v[74:75], v[74:75], v[58:59], v[76:77] op_sel_hi:[1,1,0]
	s_delay_alu instid0(VALU_DEP_1) | instskip(SKIP_4) | instid1(VALU_DEP_1)
	v_mov_b32_e32 v79, v75
	ds_load_2addr_b64 v[74:77], v68 offset0:15 offset1:16
	v_pk_add_f32 v[28:29], v[28:29], v[78:79] neg_lo:[0,1] neg_hi:[0,1]
	s_wait_dscnt 0x0
	v_pk_mul_f32 v[78:79], v[74:75], v[66:67] op_sel:[0,1]
	v_pk_fma_f32 v[80:81], v[74:75], v[64:65], v[78:79] op_sel:[0,0,1] op_sel_hi:[1,1,0] neg_lo:[0,0,1] neg_hi:[0,0,1]
	v_pk_fma_f32 v[74:75], v[74:75], v[64:65], v[78:79] op_sel:[0,0,1] op_sel_hi:[1,0,0]
	s_delay_alu instid0(VALU_DEP_1) | instskip(SKIP_1) | instid1(VALU_DEP_1)
	v_mov_b32_e32 v81, v75
	v_pk_mul_f32 v[74:75], v[76:77], v[66:67] op_sel:[0,1]
	v_pk_fma_f32 v[78:79], v[76:77], v[64:65], v[74:75] op_sel:[0,0,1] op_sel_hi:[1,1,0] neg_lo:[0,0,1] neg_hi:[0,0,1]
	v_pk_fma_f32 v[74:75], v[76:77], v[64:65], v[74:75] op_sel:[0,0,1] op_sel_hi:[1,0,0]
	s_delay_alu instid0(VALU_DEP_1)
	v_mov_b32_e32 v79, v75
	ds_load_2addr_b64 v[74:77], v68 offset0:17 offset1:18
	v_pk_add_f32 v[24:25], v[24:25], v[80:81] neg_lo:[0,1] neg_hi:[0,1]
	v_pk_add_f32 v[50:51], v[50:51], v[78:79] neg_lo:[0,1] neg_hi:[0,1]
	s_wait_dscnt 0x0
	v_pk_mul_f32 v[78:79], v[74:75], v[66:67] op_sel:[0,1]
	s_delay_alu instid0(VALU_DEP_1) | instskip(SKIP_1) | instid1(VALU_DEP_1)
	v_pk_fma_f32 v[80:81], v[74:75], v[64:65], v[78:79] op_sel:[0,0,1] op_sel_hi:[1,1,0] neg_lo:[0,0,1] neg_hi:[0,0,1]
	v_pk_fma_f32 v[74:75], v[74:75], v[64:65], v[78:79] op_sel:[0,0,1] op_sel_hi:[1,0,0]
	v_mov_b32_e32 v81, v75
	v_pk_mul_f32 v[74:75], v[76:77], v[66:67] op_sel:[0,1]
	s_delay_alu instid0(VALU_DEP_1) | instskip(SKIP_1) | instid1(VALU_DEP_1)
	v_pk_fma_f32 v[78:79], v[76:77], v[64:65], v[74:75] op_sel:[0,0,1] op_sel_hi:[1,1,0] neg_lo:[0,0,1] neg_hi:[0,0,1]
	v_pk_fma_f32 v[74:75], v[76:77], v[64:65], v[74:75] op_sel:[0,0,1] op_sel_hi:[1,0,0]
	v_mov_b32_e32 v79, v75
	ds_load_2addr_b64 v[74:77], v68 offset0:19 offset1:20
	v_pk_add_f32 v[46:47], v[46:47], v[80:81] neg_lo:[0,1] neg_hi:[0,1]
	v_pk_add_f32 v[48:49], v[48:49], v[78:79] neg_lo:[0,1] neg_hi:[0,1]
	s_wait_dscnt 0x0
	v_dual_mul_f32 v78, v75, v67 :: v_dual_mul_f32 v80, v75, v64
	s_delay_alu instid0(VALU_DEP_1) | instskip(NEXT) | instid1(VALU_DEP_2)
	v_pk_fma_f32 v[78:79], v[74:75], v[58:59], v[78:79] op_sel_hi:[1,1,0] neg_lo:[0,0,1] neg_hi:[0,0,1]
	v_pk_fma_f32 v[74:75], v[74:75], v[58:59], v[80:81] op_sel:[1,0,0] op_sel_hi:[0,1,0]
	s_delay_alu instid0(VALU_DEP_1) | instskip(SKIP_1) | instid1(VALU_DEP_2)
	v_mov_b32_e32 v79, v75
	v_pk_mul_f32 v[74:75], v[76:77], v[66:67] op_sel:[0,1]
	v_pk_add_f32 v[44:45], v[44:45], v[78:79] neg_lo:[0,1] neg_hi:[0,1]
	s_delay_alu instid0(VALU_DEP_2) | instskip(SKIP_1) | instid1(VALU_DEP_1)
	v_pk_fma_f32 v[78:79], v[76:77], v[64:65], v[74:75] op_sel:[0,0,1] op_sel_hi:[1,1,0] neg_lo:[0,0,1] neg_hi:[0,0,1]
	v_pk_fma_f32 v[74:75], v[76:77], v[64:65], v[74:75] op_sel:[0,0,1] op_sel_hi:[1,0,0]
	v_mov_b32_e32 v79, v75
	ds_load_2addr_b64 v[74:77], v68 offset0:21 offset1:22
	v_pk_add_f32 v[38:39], v[38:39], v[78:79] neg_lo:[0,1] neg_hi:[0,1]
	s_wait_dscnt 0x0
	v_pk_mul_f32 v[78:79], v[74:75], v[66:67] op_sel:[0,1]
	s_delay_alu instid0(VALU_DEP_1) | instskip(SKIP_1) | instid1(VALU_DEP_1)
	v_pk_fma_f32 v[80:81], v[74:75], v[64:65], v[78:79] op_sel:[0,0,1] op_sel_hi:[1,1,0] neg_lo:[0,0,1] neg_hi:[0,0,1]
	v_pk_fma_f32 v[74:75], v[74:75], v[64:65], v[78:79] op_sel:[0,0,1] op_sel_hi:[1,0,0]
	v_mov_b32_e32 v81, v75
	v_pk_mul_f32 v[74:75], v[76:77], v[66:67] op_sel:[0,1]
	s_delay_alu instid0(VALU_DEP_2) | instskip(NEXT) | instid1(VALU_DEP_2)
	v_pk_add_f32 v[34:35], v[34:35], v[80:81] neg_lo:[0,1] neg_hi:[0,1]
	v_pk_fma_f32 v[78:79], v[76:77], v[64:65], v[74:75] op_sel:[0,0,1] op_sel_hi:[1,1,0] neg_lo:[0,0,1] neg_hi:[0,0,1]
	v_pk_fma_f32 v[74:75], v[76:77], v[64:65], v[74:75] op_sel:[0,0,1] op_sel_hi:[1,0,0]
	s_delay_alu instid0(VALU_DEP_1) | instskip(SKIP_4) | instid1(VALU_DEP_1)
	v_mov_b32_e32 v79, v75
	ds_load_2addr_b64 v[74:77], v68 offset0:23 offset1:24
	v_pk_add_f32 v[36:37], v[36:37], v[78:79] neg_lo:[0,1] neg_hi:[0,1]
	s_wait_dscnt 0x0
	v_pk_mul_f32 v[78:79], v[74:75], v[66:67] op_sel:[0,1]
	v_pk_fma_f32 v[80:81], v[74:75], v[64:65], v[78:79] op_sel:[0,0,1] op_sel_hi:[1,1,0] neg_lo:[0,0,1] neg_hi:[0,0,1]
	v_pk_fma_f32 v[74:75], v[74:75], v[64:65], v[78:79] op_sel:[0,0,1] op_sel_hi:[1,0,0]
	v_dual_mul_f32 v78, v77, v67 :: v_dual_mov_b32 v74, v77
	s_delay_alu instid0(VALU_DEP_2) | instskip(NEXT) | instid1(VALU_DEP_2)
	v_dual_mov_b32 v81, v75 :: v_dual_mov_b32 v75, v76
	v_pk_fma_f32 v[78:79], v[76:77], v[58:59], v[78:79] op_sel_hi:[1,1,0] neg_lo:[0,0,1] neg_hi:[0,0,1]
	v_mul_f32_e32 v76, v77, v64
	s_delay_alu instid0(VALU_DEP_3) | instskip(NEXT) | instid1(VALU_DEP_2)
	v_pk_add_f32 v[32:33], v[32:33], v[80:81] neg_lo:[0,1] neg_hi:[0,1]
	v_pk_fma_f32 v[74:75], v[74:75], v[58:59], v[76:77] op_sel_hi:[1,1,0]
	s_delay_alu instid0(VALU_DEP_1) | instskip(SKIP_4) | instid1(VALU_DEP_1)
	v_mov_b32_e32 v79, v75
	ds_load_2addr_b64 v[74:77], v68 offset0:25 offset1:26
	v_pk_add_f32 v[6:7], v[6:7], v[78:79] neg_lo:[0,1] neg_hi:[0,1]
	s_wait_dscnt 0x0
	v_pk_mul_f32 v[78:79], v[74:75], v[66:67] op_sel:[0,1]
	v_pk_fma_f32 v[80:81], v[74:75], v[64:65], v[78:79] op_sel:[0,0,1] op_sel_hi:[1,1,0] neg_lo:[0,0,1] neg_hi:[0,0,1]
	v_pk_fma_f32 v[74:75], v[74:75], v[64:65], v[78:79] op_sel:[0,0,1] op_sel_hi:[1,0,0]
	s_delay_alu instid0(VALU_DEP_1) | instskip(SKIP_1) | instid1(VALU_DEP_1)
	v_mov_b32_e32 v81, v75
	v_pk_mul_f32 v[74:75], v[76:77], v[66:67] op_sel:[0,1]
	v_pk_fma_f32 v[78:79], v[76:77], v[64:65], v[74:75] op_sel:[0,0,1] op_sel_hi:[1,1,0] neg_lo:[0,0,1] neg_hi:[0,0,1]
	v_pk_fma_f32 v[74:75], v[76:77], v[64:65], v[74:75] op_sel:[0,0,1] op_sel_hi:[1,0,0]
	s_delay_alu instid0(VALU_DEP_1)
	v_mov_b32_e32 v79, v75
	ds_load_2addr_b64 v[74:77], v68 offset0:27 offset1:28
	v_pk_add_f32 v[52:53], v[52:53], v[80:81] neg_lo:[0,1] neg_hi:[0,1]
	v_pk_add_f32 v[42:43], v[42:43], v[78:79] neg_lo:[0,1] neg_hi:[0,1]
	s_wait_dscnt 0x0
	v_pk_mul_f32 v[78:79], v[74:75], v[66:67] op_sel:[0,1]
	v_pk_mul_f32 v[66:67], v[76:77], v[66:67] op_sel:[0,1]
	s_delay_alu instid0(VALU_DEP_2) | instskip(SKIP_1) | instid1(VALU_DEP_1)
	v_pk_fma_f32 v[80:81], v[74:75], v[64:65], v[78:79] op_sel:[0,0,1] op_sel_hi:[1,1,0] neg_lo:[0,0,1] neg_hi:[0,0,1]
	v_pk_fma_f32 v[74:75], v[74:75], v[64:65], v[78:79] op_sel:[0,0,1] op_sel_hi:[1,0,0]
	v_mov_b32_e32 v81, v75
	s_delay_alu instid0(VALU_DEP_4) | instskip(SKIP_1) | instid1(VALU_DEP_1)
	v_pk_fma_f32 v[74:75], v[76:77], v[64:65], v[66:67] op_sel:[0,0,1] op_sel_hi:[1,1,0] neg_lo:[0,0,1] neg_hi:[0,0,1]
	v_pk_fma_f32 v[64:65], v[76:77], v[64:65], v[66:67] op_sel:[0,0,1] op_sel_hi:[1,0,0]
	v_mov_b32_e32 v75, v65
	s_delay_alu instid0(VALU_DEP_4) | instskip(NEXT) | instid1(VALU_DEP_2)
	v_pk_add_f32 v[40:41], v[40:41], v[80:81] neg_lo:[0,1] neg_hi:[0,1]
	v_pk_add_f32 v[62:63], v[62:63], v[74:75] neg_lo:[0,1] neg_hi:[0,1]
.LBB56_22:
	s_or_b32 exec_lo, exec_lo, s0
	v_lshl_add_u32 v64, v72, 3, v68
	s_barrier_signal -1
	s_barrier_wait -1
	ds_store_b64 v64, v[60:61]
	s_wait_dscnt 0x0
	s_barrier_signal -1
	s_barrier_wait -1
	ds_load_b64 v[66:67], v68 offset:8
	v_mov_b32_e32 v64, 1
	s_cmp_lt_i32 s18, 3
	s_cbranch_scc1 .LBB56_25
; %bb.23:
	v_add3_u32 v65, v69, 0, 16
	v_mov_b32_e32 v64, 1
	s_mov_b32 s0, 2
.LBB56_24:                              ; =>This Inner Loop Header: Depth=1
	ds_load_b64 v[74:75], v65
	s_wait_dscnt 0x1
	v_cmp_gt_f32_e32 vcc_lo, 0, v66
	v_cndmask_b32_e64 v76, v66, -v66, vcc_lo
	v_cmp_gt_f32_e32 vcc_lo, 0, v67
	v_cndmask_b32_e64 v78, v67, -v67, vcc_lo
	s_wait_dscnt 0x0
	v_cmp_gt_f32_e32 vcc_lo, 0, v74
	v_cndmask_b32_e64 v77, v74, -v74, vcc_lo
	v_cmp_gt_f32_e32 vcc_lo, 0, v75
	v_cndmask_b32_e64 v79, v75, -v75, vcc_lo
	s_delay_alu instid0(VALU_DEP_1) | instskip(NEXT) | instid1(VALU_DEP_1)
	v_pk_add_f32 v[76:77], v[76:77], v[78:79]
	v_cmp_lt_f32_e32 vcc_lo, v76, v77
	v_dual_add_nc_u32 v65, 8, v65 :: v_dual_cndmask_b32 v67, v67, v75, vcc_lo
	v_cndmask_b32_e32 v66, v66, v74, vcc_lo
	v_cndmask_b32_e64 v64, v64, s0, vcc_lo
	s_add_co_i32 s0, s0, 1
	s_delay_alu instid0(SALU_CYCLE_1)
	s_cmp_lg_u32 s18, s0
	s_cbranch_scc1 .LBB56_24
.LBB56_25:
	s_wait_dscnt 0x0
	v_cmp_neq_f32_e32 vcc_lo, 0, v66
	v_cmp_neq_f32_e64 s0, 0, v67
	s_or_b32 s1, vcc_lo, s0
	s_delay_alu instid0(SALU_CYCLE_1)
	s_and_saveexec_b32 s0, s1
	s_cbranch_execz .LBB56_31
; %bb.26:
	v_cmp_ngt_f32_e64 s1, |v66|, |v67|
	s_and_saveexec_b32 s12, s1
	s_delay_alu instid0(SALU_CYCLE_1)
	s_xor_b32 s1, exec_lo, s12
	s_cbranch_execz .LBB56_28
; %bb.27:
	v_div_scale_f32 v65, null, v67, v67, v66
	v_div_scale_f32 v75, vcc_lo, v66, v67, v66
	s_delay_alu instid0(VALU_DEP_2) | instskip(SKIP_1) | instid1(TRANS32_DEP_1)
	v_rcp_f32_e32 v70, v65
	v_nop
	v_fma_f32 v74, -v65, v70, 1.0
	s_delay_alu instid0(VALU_DEP_1) | instskip(NEXT) | instid1(VALU_DEP_1)
	v_fmac_f32_e32 v70, v74, v70
	v_mul_f32_e32 v74, v75, v70
	s_delay_alu instid0(VALU_DEP_1) | instskip(NEXT) | instid1(VALU_DEP_1)
	v_fma_f32 v76, -v65, v74, v75
	v_fmac_f32_e32 v74, v76, v70
	s_delay_alu instid0(VALU_DEP_1) | instskip(NEXT) | instid1(VALU_DEP_1)
	v_fma_f32 v65, -v65, v74, v75
	v_div_fmas_f32 v65, v65, v70, v74
	s_delay_alu instid0(VALU_DEP_1) | instskip(NEXT) | instid1(VALU_DEP_1)
	v_div_fixup_f32 v65, v65, v67, v66
	v_fmac_f32_e32 v67, v66, v65
	s_delay_alu instid0(VALU_DEP_1) | instskip(SKIP_1) | instid1(VALU_DEP_2)
	v_div_scale_f32 v66, null, v67, v67, 1.0
	v_div_scale_f32 v75, vcc_lo, 1.0, v67, 1.0
	v_rcp_f32_e32 v70, v66
	v_nop
	s_delay_alu instid0(TRANS32_DEP_1) | instskip(NEXT) | instid1(VALU_DEP_1)
	v_fma_f32 v74, -v66, v70, 1.0
	v_fmac_f32_e32 v70, v74, v70
	s_delay_alu instid0(VALU_DEP_1) | instskip(NEXT) | instid1(VALU_DEP_1)
	v_mul_f32_e32 v74, v75, v70
	v_fma_f32 v76, -v66, v74, v75
	s_delay_alu instid0(VALU_DEP_1) | instskip(NEXT) | instid1(VALU_DEP_1)
	v_fmac_f32_e32 v74, v76, v70
	v_fma_f32 v66, -v66, v74, v75
	s_delay_alu instid0(VALU_DEP_1) | instskip(NEXT) | instid1(VALU_DEP_1)
	v_div_fmas_f32 v66, v66, v70, v74
	v_div_fixup_f32 v67, v66, v67, 1.0
	s_delay_alu instid0(VALU_DEP_1)
	v_mul_f32_e32 v66, v65, v67
	v_xor_b32_e32 v67, 0x80000000, v67
.LBB56_28:
	s_and_not1_saveexec_b32 s1, s1
	s_cbranch_execz .LBB56_30
; %bb.29:
	s_delay_alu instid0(VALU_DEP_1) | instskip(SKIP_1) | instid1(VALU_DEP_2)
	v_div_scale_f32 v65, null, v66, v66, v67
	v_div_scale_f32 v75, vcc_lo, v67, v66, v67
	v_rcp_f32_e32 v70, v65
	v_nop
	s_delay_alu instid0(TRANS32_DEP_1) | instskip(NEXT) | instid1(VALU_DEP_1)
	v_fma_f32 v74, -v65, v70, 1.0
	v_fmac_f32_e32 v70, v74, v70
	s_delay_alu instid0(VALU_DEP_1) | instskip(NEXT) | instid1(VALU_DEP_1)
	v_mul_f32_e32 v74, v75, v70
	v_fma_f32 v76, -v65, v74, v75
	s_delay_alu instid0(VALU_DEP_1) | instskip(NEXT) | instid1(VALU_DEP_1)
	v_fmac_f32_e32 v74, v76, v70
	v_fma_f32 v65, -v65, v74, v75
	s_delay_alu instid0(VALU_DEP_1) | instskip(NEXT) | instid1(VALU_DEP_1)
	v_div_fmas_f32 v65, v65, v70, v74
	v_div_fixup_f32 v65, v65, v66, v67
	s_delay_alu instid0(VALU_DEP_1) | instskip(NEXT) | instid1(VALU_DEP_1)
	v_fmac_f32_e32 v66, v67, v65
	v_div_scale_f32 v67, null, v66, v66, 1.0
	s_delay_alu instid0(VALU_DEP_1) | instskip(SKIP_1) | instid1(TRANS32_DEP_1)
	v_rcp_f32_e32 v70, v67
	v_nop
	v_fma_f32 v74, -v67, v70, 1.0
	s_delay_alu instid0(VALU_DEP_1) | instskip(SKIP_1) | instid1(VALU_DEP_1)
	v_fmac_f32_e32 v70, v74, v70
	v_div_scale_f32 v74, vcc_lo, 1.0, v66, 1.0
	v_mul_f32_e32 v75, v74, v70
	s_delay_alu instid0(VALU_DEP_1) | instskip(NEXT) | instid1(VALU_DEP_1)
	v_fma_f32 v76, -v67, v75, v74
	v_fmac_f32_e32 v75, v76, v70
	s_delay_alu instid0(VALU_DEP_1) | instskip(NEXT) | instid1(VALU_DEP_1)
	v_fma_f32 v67, -v67, v75, v74
	v_div_fmas_f32 v67, v67, v70, v75
	s_delay_alu instid0(VALU_DEP_1) | instskip(NEXT) | instid1(VALU_DEP_1)
	v_div_fixup_f32 v66, v67, v66, 1.0
	v_mul_f32_e64 v67, v65, -v66
.LBB56_30:
	s_or_b32 exec_lo, exec_lo, s1
	v_mov_b32_e32 v70, v73
.LBB56_31:
	s_or_b32 exec_lo, exec_lo, s0
	s_delay_alu instid0(SALU_CYCLE_1)
	s_mov_b32 s0, exec_lo
	v_cmpx_ne_u32_e64 v72, v64
	s_xor_b32 s0, exec_lo, s0
	s_cbranch_execz .LBB56_37
; %bb.32:
	s_mov_b32 s1, exec_lo
	v_cmpx_eq_u32_e32 1, v72
	s_cbranch_execz .LBB56_36
; %bb.33:
	v_cmp_ne_u32_e32 vcc_lo, 1, v64
	s_xor_b32 s12, s16, -1
	s_delay_alu instid0(SALU_CYCLE_1) | instskip(NEXT) | instid1(SALU_CYCLE_1)
	s_and_b32 s13, s12, vcc_lo
	s_and_saveexec_b32 s12, s13
	s_cbranch_execz .LBB56_35
; %bb.34:
	v_ashrrev_i32_e32 v65, 31, v64
	s_delay_alu instid0(VALU_DEP_1)
	v_lshl_add_u64 v[72:73], v[64:65], 2, v[4:5]
	s_clause 0x1
	global_load_b32 v65, v[72:73], off
	global_load_b32 v71, v[4:5], off offset:4
	s_wait_loadcnt 0x1
	global_store_b32 v[4:5], v65, off offset:4
	s_wait_loadcnt 0x0
	global_store_b32 v[72:73], v71, off
.LBB56_35:
	s_wait_xcnt 0x0
	s_or_b32 exec_lo, exec_lo, s12
	v_dual_mov_b32 v72, v64 :: v_dual_mov_b32 v71, v64
.LBB56_36:
	s_or_b32 exec_lo, exec_lo, s1
.LBB56_37:
	s_and_not1_saveexec_b32 s0, s0
	s_cbranch_execz .LBB56_39
; %bb.38:
	v_dual_mov_b32 v64, v56 :: v_dual_mov_b32 v65, v57
	v_dual_mov_b32 v72, v54 :: v_dual_mov_b32 v73, v55
	;; [unrolled: 1-line block ×4, first 2 shown]
	ds_store_2addr_b64 v68, v[64:65], v[72:73] offset0:2 offset1:3
	ds_store_2addr_b64 v68, v[74:75], v[76:77] offset0:4 offset1:5
	v_dual_mov_b32 v64, v12 :: v_dual_mov_b32 v65, v13
	v_dual_mov_b32 v72, v8 :: v_dual_mov_b32 v73, v9
	v_dual_mov_b32 v74, v22 :: v_dual_mov_b32 v75, v23
	v_dual_mov_b32 v76, v18 :: v_dual_mov_b32 v77, v19
	v_dual_mov_b32 v78, v20 :: v_dual_mov_b32 v79, v21
	v_dual_mov_b32 v80, v16 :: v_dual_mov_b32 v81, v17
	v_dual_mov_b32 v82, v30 :: v_dual_mov_b32 v83, v31
	v_dual_mov_b32 v84, v26 :: v_dual_mov_b32 v85, v27
	v_dual_mov_b32 v86, v28 :: v_dual_mov_b32 v87, v29
	v_dual_mov_b32 v88, v24 :: v_dual_mov_b32 v89, v25
	v_dual_mov_b32 v90, v50 :: v_dual_mov_b32 v91, v51
	v_dual_mov_b32 v92, v46 :: v_dual_mov_b32 v93, v47
	ds_store_2addr_b64 v68, v[64:65], v[72:73] offset0:6 offset1:7
	ds_store_2addr_b64 v68, v[74:75], v[76:77] offset0:8 offset1:9
	;; [unrolled: 1-line block ×6, first 2 shown]
	v_dual_mov_b32 v64, v48 :: v_dual_mov_b32 v65, v49
	v_dual_mov_b32 v72, v44 :: v_dual_mov_b32 v73, v45
	;; [unrolled: 1-line block ×6, first 2 shown]
	ds_store_2addr_b64 v68, v[64:65], v[72:73] offset0:18 offset1:19
	ds_store_2addr_b64 v68, v[74:75], v[76:77] offset0:20 offset1:21
	v_dual_mov_b32 v72, 1 :: v_dual_mov_b32 v82, v6
	v_dual_mov_b32 v83, v7 :: v_dual_mov_b32 v84, v52
	;; [unrolled: 1-line block ×4, first 2 shown]
	v_mov_b32_e32 v89, v41
	ds_store_2addr_b64 v68, v[78:79], v[80:81] offset0:22 offset1:23
	ds_store_2addr_b64 v68, v[82:83], v[84:85] offset0:24 offset1:25
	;; [unrolled: 1-line block ×3, first 2 shown]
	ds_store_b64 v68, v[62:63] offset:224
.LBB56_39:
	s_or_b32 exec_lo, exec_lo, s0
	s_delay_alu instid0(SALU_CYCLE_1)
	s_mov_b32 s0, exec_lo
	s_wait_storecnt_dscnt 0x0
	s_barrier_signal -1
	s_barrier_wait -1
	v_cmpx_lt_i32_e32 1, v72
	s_cbranch_execz .LBB56_41
; %bb.40:
	v_pk_mul_f32 v[74:75], v[66:67], v[60:61] op_sel:[1,1] op_sel_hi:[0,1]
	s_delay_alu instid0(VALU_DEP_1)
	v_pk_fma_f32 v[64:65], v[66:67], v[60:61], v[74:75] op_sel_hi:[1,0,1] neg_lo:[0,0,1] neg_hi:[0,0,1]
	v_pk_fma_f32 v[66:67], v[66:67], v[60:61], v[74:75] op_sel_hi:[1,0,1]
	ds_load_2addr_b64 v[74:77], v68 offset0:2 offset1:3
	v_dual_mov_b32 v60, v64 :: v_dual_mov_b32 v61, v67
	s_wait_dscnt 0x0
	v_pk_mul_f32 v[78:79], v[74:75], v[66:67] op_sel:[0,1]
	s_delay_alu instid0(VALU_DEP_1) | instskip(SKIP_1) | instid1(VALU_DEP_1)
	v_pk_fma_f32 v[80:81], v[74:75], v[64:65], v[78:79] op_sel:[0,0,1] op_sel_hi:[1,1,0] neg_lo:[0,0,1] neg_hi:[0,0,1]
	v_pk_fma_f32 v[74:75], v[74:75], v[64:65], v[78:79] op_sel:[0,0,1] op_sel_hi:[1,0,0]
	v_mov_b32_e32 v81, v75
	v_pk_mul_f32 v[74:75], v[76:77], v[66:67] op_sel:[0,1]
	s_delay_alu instid0(VALU_DEP_1) | instskip(SKIP_1) | instid1(VALU_DEP_1)
	v_pk_fma_f32 v[78:79], v[76:77], v[64:65], v[74:75] op_sel:[0,0,1] op_sel_hi:[1,1,0] neg_lo:[0,0,1] neg_hi:[0,0,1]
	v_pk_fma_f32 v[74:75], v[76:77], v[64:65], v[74:75] op_sel:[0,0,1] op_sel_hi:[1,0,0]
	v_mov_b32_e32 v79, v75
	ds_load_2addr_b64 v[74:77], v68 offset0:4 offset1:5
	v_pk_add_f32 v[56:57], v[56:57], v[80:81] neg_lo:[0,1] neg_hi:[0,1]
	v_pk_add_f32 v[54:55], v[54:55], v[78:79] neg_lo:[0,1] neg_hi:[0,1]
	s_wait_dscnt 0x0
	v_pk_mul_f32 v[78:79], v[74:75], v[66:67] op_sel:[0,1]
	s_delay_alu instid0(VALU_DEP_1) | instskip(SKIP_2) | instid1(VALU_DEP_2)
	v_pk_fma_f32 v[80:81], v[74:75], v[64:65], v[78:79] op_sel:[0,0,1] op_sel_hi:[1,1,0] neg_lo:[0,0,1] neg_hi:[0,0,1]
	v_pk_fma_f32 v[74:75], v[74:75], v[64:65], v[78:79] op_sel:[0,0,1] op_sel_hi:[1,0,0]
	v_dual_mul_f32 v78, v77, v67 :: v_dual_mov_b32 v74, v77
	v_dual_mov_b32 v81, v75 :: v_dual_mov_b32 v75, v76
	s_delay_alu instid0(VALU_DEP_2) | instskip(SKIP_1) | instid1(VALU_DEP_3)
	v_pk_fma_f32 v[78:79], v[76:77], v[60:61], v[78:79] op_sel_hi:[1,1,0] neg_lo:[0,0,1] neg_hi:[0,0,1]
	v_mul_f32_e32 v76, v77, v64
	v_pk_add_f32 v[14:15], v[14:15], v[80:81] neg_lo:[0,1] neg_hi:[0,1]
	s_delay_alu instid0(VALU_DEP_2) | instskip(NEXT) | instid1(VALU_DEP_1)
	v_pk_fma_f32 v[74:75], v[74:75], v[60:61], v[76:77] op_sel_hi:[1,1,0]
	v_mov_b32_e32 v79, v75
	ds_load_2addr_b64 v[74:77], v68 offset0:6 offset1:7
	v_pk_add_f32 v[10:11], v[10:11], v[78:79] neg_lo:[0,1] neg_hi:[0,1]
	s_wait_dscnt 0x0
	v_pk_mul_f32 v[78:79], v[74:75], v[66:67] op_sel:[0,1]
	s_delay_alu instid0(VALU_DEP_1) | instskip(SKIP_1) | instid1(VALU_DEP_1)
	v_pk_fma_f32 v[80:81], v[74:75], v[64:65], v[78:79] op_sel:[0,0,1] op_sel_hi:[1,1,0] neg_lo:[0,0,1] neg_hi:[0,0,1]
	v_pk_fma_f32 v[74:75], v[74:75], v[64:65], v[78:79] op_sel:[0,0,1] op_sel_hi:[1,0,0]
	v_mov_b32_e32 v81, v75
	v_pk_mul_f32 v[74:75], v[76:77], v[66:67] op_sel:[0,1]
	s_delay_alu instid0(VALU_DEP_1) | instskip(SKIP_1) | instid1(VALU_DEP_1)
	v_pk_fma_f32 v[78:79], v[76:77], v[64:65], v[74:75] op_sel:[0,0,1] op_sel_hi:[1,1,0] neg_lo:[0,0,1] neg_hi:[0,0,1]
	v_pk_fma_f32 v[74:75], v[76:77], v[64:65], v[74:75] op_sel:[0,0,1] op_sel_hi:[1,0,0]
	v_mov_b32_e32 v79, v75
	ds_load_2addr_b64 v[74:77], v68 offset0:8 offset1:9
	v_pk_add_f32 v[12:13], v[12:13], v[80:81] neg_lo:[0,1] neg_hi:[0,1]
	v_pk_add_f32 v[8:9], v[8:9], v[78:79] neg_lo:[0,1] neg_hi:[0,1]
	s_wait_dscnt 0x0
	v_pk_mul_f32 v[78:79], v[74:75], v[66:67] op_sel:[0,1]
	s_delay_alu instid0(VALU_DEP_1) | instskip(SKIP_1) | instid1(VALU_DEP_1)
	v_pk_fma_f32 v[80:81], v[74:75], v[64:65], v[78:79] op_sel:[0,0,1] op_sel_hi:[1,1,0] neg_lo:[0,0,1] neg_hi:[0,0,1]
	v_pk_fma_f32 v[74:75], v[74:75], v[64:65], v[78:79] op_sel:[0,0,1] op_sel_hi:[1,0,0]
	v_mov_b32_e32 v81, v75
	v_pk_mul_f32 v[74:75], v[76:77], v[66:67] op_sel:[0,1]
	s_delay_alu instid0(VALU_DEP_1) | instskip(SKIP_1) | instid1(VALU_DEP_1)
	v_pk_fma_f32 v[78:79], v[76:77], v[64:65], v[74:75] op_sel:[0,0,1] op_sel_hi:[1,1,0] neg_lo:[0,0,1] neg_hi:[0,0,1]
	v_pk_fma_f32 v[74:75], v[76:77], v[64:65], v[74:75] op_sel:[0,0,1] op_sel_hi:[1,0,0]
	v_mov_b32_e32 v79, v75
	ds_load_2addr_b64 v[74:77], v68 offset0:10 offset1:11
	v_pk_add_f32 v[22:23], v[22:23], v[80:81] neg_lo:[0,1] neg_hi:[0,1]
	v_pk_add_f32 v[18:19], v[18:19], v[78:79] neg_lo:[0,1] neg_hi:[0,1]
	s_wait_dscnt 0x0
	v_dual_mul_f32 v78, v75, v67 :: v_dual_mul_f32 v80, v75, v64
	s_delay_alu instid0(VALU_DEP_1) | instskip(NEXT) | instid1(VALU_DEP_2)
	v_pk_fma_f32 v[78:79], v[74:75], v[60:61], v[78:79] op_sel_hi:[1,1,0] neg_lo:[0,0,1] neg_hi:[0,0,1]
	v_pk_fma_f32 v[74:75], v[74:75], v[60:61], v[80:81] op_sel:[1,0,0] op_sel_hi:[0,1,0]
	s_delay_alu instid0(VALU_DEP_1) | instskip(SKIP_1) | instid1(VALU_DEP_2)
	v_mov_b32_e32 v79, v75
	v_pk_mul_f32 v[74:75], v[76:77], v[66:67] op_sel:[0,1]
	v_pk_add_f32 v[20:21], v[20:21], v[78:79] neg_lo:[0,1] neg_hi:[0,1]
	s_delay_alu instid0(VALU_DEP_2) | instskip(SKIP_1) | instid1(VALU_DEP_1)
	v_pk_fma_f32 v[78:79], v[76:77], v[64:65], v[74:75] op_sel:[0,0,1] op_sel_hi:[1,1,0] neg_lo:[0,0,1] neg_hi:[0,0,1]
	v_pk_fma_f32 v[74:75], v[76:77], v[64:65], v[74:75] op_sel:[0,0,1] op_sel_hi:[1,0,0]
	v_mov_b32_e32 v79, v75
	ds_load_2addr_b64 v[74:77], v68 offset0:12 offset1:13
	v_pk_add_f32 v[16:17], v[16:17], v[78:79] neg_lo:[0,1] neg_hi:[0,1]
	s_wait_dscnt 0x0
	v_pk_mul_f32 v[78:79], v[74:75], v[66:67] op_sel:[0,1]
	s_delay_alu instid0(VALU_DEP_1) | instskip(SKIP_1) | instid1(VALU_DEP_1)
	v_pk_fma_f32 v[80:81], v[74:75], v[64:65], v[78:79] op_sel:[0,0,1] op_sel_hi:[1,1,0] neg_lo:[0,0,1] neg_hi:[0,0,1]
	v_pk_fma_f32 v[74:75], v[74:75], v[64:65], v[78:79] op_sel:[0,0,1] op_sel_hi:[1,0,0]
	v_mov_b32_e32 v81, v75
	v_pk_mul_f32 v[74:75], v[76:77], v[66:67] op_sel:[0,1]
	s_delay_alu instid0(VALU_DEP_2) | instskip(NEXT) | instid1(VALU_DEP_2)
	v_pk_add_f32 v[30:31], v[30:31], v[80:81] neg_lo:[0,1] neg_hi:[0,1]
	v_pk_fma_f32 v[78:79], v[76:77], v[64:65], v[74:75] op_sel:[0,0,1] op_sel_hi:[1,1,0] neg_lo:[0,0,1] neg_hi:[0,0,1]
	v_pk_fma_f32 v[74:75], v[76:77], v[64:65], v[74:75] op_sel:[0,0,1] op_sel_hi:[1,0,0]
	s_delay_alu instid0(VALU_DEP_1) | instskip(SKIP_4) | instid1(VALU_DEP_1)
	v_mov_b32_e32 v79, v75
	ds_load_2addr_b64 v[74:77], v68 offset0:14 offset1:15
	v_pk_add_f32 v[26:27], v[26:27], v[78:79] neg_lo:[0,1] neg_hi:[0,1]
	s_wait_dscnt 0x0
	v_pk_mul_f32 v[78:79], v[74:75], v[66:67] op_sel:[0,1]
	v_pk_fma_f32 v[80:81], v[74:75], v[64:65], v[78:79] op_sel:[0,0,1] op_sel_hi:[1,1,0] neg_lo:[0,0,1] neg_hi:[0,0,1]
	v_pk_fma_f32 v[74:75], v[74:75], v[64:65], v[78:79] op_sel:[0,0,1] op_sel_hi:[1,0,0]
	v_dual_mul_f32 v78, v77, v67 :: v_dual_mov_b32 v74, v77
	s_delay_alu instid0(VALU_DEP_2) | instskip(NEXT) | instid1(VALU_DEP_2)
	v_dual_mov_b32 v81, v75 :: v_dual_mov_b32 v75, v76
	v_pk_fma_f32 v[78:79], v[76:77], v[60:61], v[78:79] op_sel_hi:[1,1,0] neg_lo:[0,0,1] neg_hi:[0,0,1]
	v_mul_f32_e32 v76, v77, v64
	s_delay_alu instid0(VALU_DEP_3) | instskip(NEXT) | instid1(VALU_DEP_2)
	v_pk_add_f32 v[28:29], v[28:29], v[80:81] neg_lo:[0,1] neg_hi:[0,1]
	v_pk_fma_f32 v[74:75], v[74:75], v[60:61], v[76:77] op_sel_hi:[1,1,0]
	s_delay_alu instid0(VALU_DEP_1) | instskip(SKIP_4) | instid1(VALU_DEP_1)
	v_mov_b32_e32 v79, v75
	ds_load_2addr_b64 v[74:77], v68 offset0:16 offset1:17
	v_pk_add_f32 v[24:25], v[24:25], v[78:79] neg_lo:[0,1] neg_hi:[0,1]
	s_wait_dscnt 0x0
	v_pk_mul_f32 v[78:79], v[74:75], v[66:67] op_sel:[0,1]
	v_pk_fma_f32 v[80:81], v[74:75], v[64:65], v[78:79] op_sel:[0,0,1] op_sel_hi:[1,1,0] neg_lo:[0,0,1] neg_hi:[0,0,1]
	v_pk_fma_f32 v[74:75], v[74:75], v[64:65], v[78:79] op_sel:[0,0,1] op_sel_hi:[1,0,0]
	s_delay_alu instid0(VALU_DEP_1) | instskip(SKIP_1) | instid1(VALU_DEP_1)
	v_mov_b32_e32 v81, v75
	v_pk_mul_f32 v[74:75], v[76:77], v[66:67] op_sel:[0,1]
	v_pk_fma_f32 v[78:79], v[76:77], v[64:65], v[74:75] op_sel:[0,0,1] op_sel_hi:[1,1,0] neg_lo:[0,0,1] neg_hi:[0,0,1]
	v_pk_fma_f32 v[74:75], v[76:77], v[64:65], v[74:75] op_sel:[0,0,1] op_sel_hi:[1,0,0]
	s_delay_alu instid0(VALU_DEP_1)
	v_mov_b32_e32 v79, v75
	ds_load_2addr_b64 v[74:77], v68 offset0:18 offset1:19
	v_pk_add_f32 v[50:51], v[50:51], v[80:81] neg_lo:[0,1] neg_hi:[0,1]
	v_pk_add_f32 v[46:47], v[46:47], v[78:79] neg_lo:[0,1] neg_hi:[0,1]
	s_wait_dscnt 0x0
	v_pk_mul_f32 v[78:79], v[74:75], v[66:67] op_sel:[0,1]
	s_delay_alu instid0(VALU_DEP_1) | instskip(SKIP_1) | instid1(VALU_DEP_1)
	v_pk_fma_f32 v[80:81], v[74:75], v[64:65], v[78:79] op_sel:[0,0,1] op_sel_hi:[1,1,0] neg_lo:[0,0,1] neg_hi:[0,0,1]
	v_pk_fma_f32 v[74:75], v[74:75], v[64:65], v[78:79] op_sel:[0,0,1] op_sel_hi:[1,0,0]
	v_mov_b32_e32 v81, v75
	v_pk_mul_f32 v[74:75], v[76:77], v[66:67] op_sel:[0,1]
	s_delay_alu instid0(VALU_DEP_1) | instskip(SKIP_1) | instid1(VALU_DEP_1)
	v_pk_fma_f32 v[78:79], v[76:77], v[64:65], v[74:75] op_sel:[0,0,1] op_sel_hi:[1,1,0] neg_lo:[0,0,1] neg_hi:[0,0,1]
	v_pk_fma_f32 v[74:75], v[76:77], v[64:65], v[74:75] op_sel:[0,0,1] op_sel_hi:[1,0,0]
	v_mov_b32_e32 v79, v75
	ds_load_2addr_b64 v[74:77], v68 offset0:20 offset1:21
	v_pk_add_f32 v[48:49], v[48:49], v[80:81] neg_lo:[0,1] neg_hi:[0,1]
	v_pk_add_f32 v[44:45], v[44:45], v[78:79] neg_lo:[0,1] neg_hi:[0,1]
	s_wait_dscnt 0x0
	v_dual_mul_f32 v78, v75, v67 :: v_dual_mul_f32 v80, v75, v64
	s_delay_alu instid0(VALU_DEP_1) | instskip(NEXT) | instid1(VALU_DEP_2)
	v_pk_fma_f32 v[78:79], v[74:75], v[60:61], v[78:79] op_sel_hi:[1,1,0] neg_lo:[0,0,1] neg_hi:[0,0,1]
	v_pk_fma_f32 v[74:75], v[74:75], v[60:61], v[80:81] op_sel:[1,0,0] op_sel_hi:[0,1,0]
	s_delay_alu instid0(VALU_DEP_1) | instskip(SKIP_1) | instid1(VALU_DEP_2)
	v_mov_b32_e32 v79, v75
	v_pk_mul_f32 v[74:75], v[76:77], v[66:67] op_sel:[0,1]
	v_pk_add_f32 v[38:39], v[38:39], v[78:79] neg_lo:[0,1] neg_hi:[0,1]
	s_delay_alu instid0(VALU_DEP_2) | instskip(SKIP_1) | instid1(VALU_DEP_1)
	v_pk_fma_f32 v[78:79], v[76:77], v[64:65], v[74:75] op_sel:[0,0,1] op_sel_hi:[1,1,0] neg_lo:[0,0,1] neg_hi:[0,0,1]
	v_pk_fma_f32 v[74:75], v[76:77], v[64:65], v[74:75] op_sel:[0,0,1] op_sel_hi:[1,0,0]
	v_mov_b32_e32 v79, v75
	ds_load_2addr_b64 v[74:77], v68 offset0:22 offset1:23
	v_pk_add_f32 v[34:35], v[34:35], v[78:79] neg_lo:[0,1] neg_hi:[0,1]
	s_wait_dscnt 0x0
	v_pk_mul_f32 v[78:79], v[74:75], v[66:67] op_sel:[0,1]
	s_delay_alu instid0(VALU_DEP_1) | instskip(SKIP_1) | instid1(VALU_DEP_1)
	v_pk_fma_f32 v[80:81], v[74:75], v[64:65], v[78:79] op_sel:[0,0,1] op_sel_hi:[1,1,0] neg_lo:[0,0,1] neg_hi:[0,0,1]
	v_pk_fma_f32 v[74:75], v[74:75], v[64:65], v[78:79] op_sel:[0,0,1] op_sel_hi:[1,0,0]
	v_mov_b32_e32 v81, v75
	v_pk_mul_f32 v[74:75], v[76:77], v[66:67] op_sel:[0,1]
	s_delay_alu instid0(VALU_DEP_2) | instskip(NEXT) | instid1(VALU_DEP_2)
	v_pk_add_f32 v[36:37], v[36:37], v[80:81] neg_lo:[0,1] neg_hi:[0,1]
	v_pk_fma_f32 v[78:79], v[76:77], v[64:65], v[74:75] op_sel:[0,0,1] op_sel_hi:[1,1,0] neg_lo:[0,0,1] neg_hi:[0,0,1]
	v_pk_fma_f32 v[74:75], v[76:77], v[64:65], v[74:75] op_sel:[0,0,1] op_sel_hi:[1,0,0]
	s_delay_alu instid0(VALU_DEP_1) | instskip(SKIP_4) | instid1(VALU_DEP_1)
	v_mov_b32_e32 v79, v75
	ds_load_2addr_b64 v[74:77], v68 offset0:24 offset1:25
	v_pk_add_f32 v[32:33], v[32:33], v[78:79] neg_lo:[0,1] neg_hi:[0,1]
	s_wait_dscnt 0x0
	v_pk_mul_f32 v[78:79], v[74:75], v[66:67] op_sel:[0,1]
	v_pk_fma_f32 v[80:81], v[74:75], v[64:65], v[78:79] op_sel:[0,0,1] op_sel_hi:[1,1,0] neg_lo:[0,0,1] neg_hi:[0,0,1]
	v_pk_fma_f32 v[74:75], v[74:75], v[64:65], v[78:79] op_sel:[0,0,1] op_sel_hi:[1,0,0]
	v_dual_mul_f32 v78, v77, v67 :: v_dual_mov_b32 v74, v77
	s_delay_alu instid0(VALU_DEP_2) | instskip(NEXT) | instid1(VALU_DEP_2)
	v_dual_mov_b32 v81, v75 :: v_dual_mov_b32 v75, v76
	v_pk_fma_f32 v[78:79], v[76:77], v[60:61], v[78:79] op_sel_hi:[1,1,0] neg_lo:[0,0,1] neg_hi:[0,0,1]
	v_mul_f32_e32 v76, v77, v64
	s_delay_alu instid0(VALU_DEP_3) | instskip(NEXT) | instid1(VALU_DEP_2)
	v_pk_add_f32 v[6:7], v[6:7], v[80:81] neg_lo:[0,1] neg_hi:[0,1]
	v_pk_fma_f32 v[74:75], v[74:75], v[60:61], v[76:77] op_sel_hi:[1,1,0]
	s_delay_alu instid0(VALU_DEP_1) | instskip(SKIP_4) | instid1(VALU_DEP_1)
	v_mov_b32_e32 v79, v75
	ds_load_2addr_b64 v[74:77], v68 offset0:26 offset1:27
	v_pk_add_f32 v[52:53], v[52:53], v[78:79] neg_lo:[0,1] neg_hi:[0,1]
	s_wait_dscnt 0x0
	v_pk_mul_f32 v[78:79], v[74:75], v[66:67] op_sel:[0,1]
	v_pk_fma_f32 v[80:81], v[74:75], v[64:65], v[78:79] op_sel:[0,0,1] op_sel_hi:[1,1,0] neg_lo:[0,0,1] neg_hi:[0,0,1]
	v_pk_fma_f32 v[74:75], v[74:75], v[64:65], v[78:79] op_sel:[0,0,1] op_sel_hi:[1,0,0]
	s_delay_alu instid0(VALU_DEP_1) | instskip(SKIP_1) | instid1(VALU_DEP_1)
	v_mov_b32_e32 v81, v75
	v_pk_mul_f32 v[74:75], v[76:77], v[66:67] op_sel:[0,1]
	v_pk_fma_f32 v[78:79], v[76:77], v[64:65], v[74:75] op_sel:[0,0,1] op_sel_hi:[1,1,0] neg_lo:[0,0,1] neg_hi:[0,0,1]
	v_pk_fma_f32 v[74:75], v[76:77], v[64:65], v[74:75] op_sel:[0,0,1] op_sel_hi:[1,0,0]
	s_delay_alu instid0(VALU_DEP_1)
	v_mov_b32_e32 v79, v75
	ds_load_b64 v[74:75], v68 offset:224
	v_pk_add_f32 v[42:43], v[42:43], v[80:81] neg_lo:[0,1] neg_hi:[0,1]
	v_pk_add_f32 v[40:41], v[40:41], v[78:79] neg_lo:[0,1] neg_hi:[0,1]
	s_wait_dscnt 0x0
	v_pk_mul_f32 v[66:67], v[74:75], v[66:67] op_sel:[0,1]
	s_delay_alu instid0(VALU_DEP_1) | instskip(SKIP_1) | instid1(VALU_DEP_1)
	v_pk_fma_f32 v[76:77], v[74:75], v[64:65], v[66:67] op_sel:[0,0,1] op_sel_hi:[1,1,0] neg_lo:[0,0,1] neg_hi:[0,0,1]
	v_pk_fma_f32 v[64:65], v[74:75], v[64:65], v[66:67] op_sel:[0,0,1] op_sel_hi:[1,0,0]
	v_mov_b32_e32 v77, v65
	s_delay_alu instid0(VALU_DEP_1)
	v_pk_add_f32 v[62:63], v[62:63], v[76:77] neg_lo:[0,1] neg_hi:[0,1]
.LBB56_41:
	s_or_b32 exec_lo, exec_lo, s0
	v_lshl_add_u32 v64, v72, 3, v68
	s_barrier_signal -1
	s_barrier_wait -1
	ds_store_b64 v64, v[56:57]
	s_wait_dscnt 0x0
	s_barrier_signal -1
	s_barrier_wait -1
	ds_load_b64 v[66:67], v68 offset:16
	v_mov_b32_e32 v64, 2
	s_cmp_lt_i32 s18, 4
	s_mov_b32 s0, 3
	s_cbranch_scc1 .LBB56_44
; %bb.42:
	v_add3_u32 v65, v69, 0, 24
	v_mov_b32_e32 v64, 2
.LBB56_43:                              ; =>This Inner Loop Header: Depth=1
	ds_load_b64 v[74:75], v65
	s_wait_dscnt 0x1
	v_cmp_gt_f32_e32 vcc_lo, 0, v66
	v_cndmask_b32_e64 v76, v66, -v66, vcc_lo
	v_cmp_gt_f32_e32 vcc_lo, 0, v67
	v_cndmask_b32_e64 v78, v67, -v67, vcc_lo
	s_wait_dscnt 0x0
	v_cmp_gt_f32_e32 vcc_lo, 0, v74
	v_cndmask_b32_e64 v77, v74, -v74, vcc_lo
	v_cmp_gt_f32_e32 vcc_lo, 0, v75
	v_cndmask_b32_e64 v79, v75, -v75, vcc_lo
	s_delay_alu instid0(VALU_DEP_1) | instskip(NEXT) | instid1(VALU_DEP_1)
	v_pk_add_f32 v[76:77], v[76:77], v[78:79]
	v_cmp_lt_f32_e32 vcc_lo, v76, v77
	v_dual_add_nc_u32 v65, 8, v65 :: v_dual_cndmask_b32 v67, v67, v75, vcc_lo
	v_cndmask_b32_e32 v66, v66, v74, vcc_lo
	v_cndmask_b32_e64 v64, v64, s0, vcc_lo
	s_add_co_i32 s0, s0, 1
	s_delay_alu instid0(SALU_CYCLE_1)
	s_cmp_lg_u32 s18, s0
	s_cbranch_scc1 .LBB56_43
.LBB56_44:
	s_wait_dscnt 0x0
	v_cmp_eq_f32_e32 vcc_lo, 0, v66
	v_cmp_eq_f32_e64 s0, 0, v67
	s_and_b32 s0, vcc_lo, s0
	s_delay_alu instid0(SALU_CYCLE_1) | instskip(NEXT) | instid1(SALU_CYCLE_1)
	s_and_saveexec_b32 s1, s0
	s_xor_b32 s0, exec_lo, s1
; %bb.45:
	v_cmp_ne_u32_e32 vcc_lo, 0, v70
	v_cndmask_b32_e32 v70, 3, v70, vcc_lo
; %bb.46:
	s_and_not1_saveexec_b32 s0, s0
	s_cbranch_execz .LBB56_52
; %bb.47:
	v_cmp_ngt_f32_e64 s1, |v66|, |v67|
	s_and_saveexec_b32 s12, s1
	s_delay_alu instid0(SALU_CYCLE_1)
	s_xor_b32 s1, exec_lo, s12
	s_cbranch_execz .LBB56_49
; %bb.48:
	v_div_scale_f32 v65, null, v67, v67, v66
	v_div_scale_f32 v75, vcc_lo, v66, v67, v66
	s_delay_alu instid0(VALU_DEP_2) | instskip(SKIP_1) | instid1(TRANS32_DEP_1)
	v_rcp_f32_e32 v73, v65
	v_nop
	v_fma_f32 v74, -v65, v73, 1.0
	s_delay_alu instid0(VALU_DEP_1) | instskip(NEXT) | instid1(VALU_DEP_1)
	v_fmac_f32_e32 v73, v74, v73
	v_mul_f32_e32 v74, v75, v73
	s_delay_alu instid0(VALU_DEP_1) | instskip(NEXT) | instid1(VALU_DEP_1)
	v_fma_f32 v76, -v65, v74, v75
	v_fmac_f32_e32 v74, v76, v73
	s_delay_alu instid0(VALU_DEP_1) | instskip(NEXT) | instid1(VALU_DEP_1)
	v_fma_f32 v65, -v65, v74, v75
	v_div_fmas_f32 v65, v65, v73, v74
	s_delay_alu instid0(VALU_DEP_1) | instskip(NEXT) | instid1(VALU_DEP_1)
	v_div_fixup_f32 v65, v65, v67, v66
	v_fmac_f32_e32 v67, v66, v65
	s_delay_alu instid0(VALU_DEP_1) | instskip(SKIP_1) | instid1(VALU_DEP_2)
	v_div_scale_f32 v66, null, v67, v67, 1.0
	v_div_scale_f32 v75, vcc_lo, 1.0, v67, 1.0
	v_rcp_f32_e32 v73, v66
	v_nop
	s_delay_alu instid0(TRANS32_DEP_1) | instskip(NEXT) | instid1(VALU_DEP_1)
	v_fma_f32 v74, -v66, v73, 1.0
	v_fmac_f32_e32 v73, v74, v73
	s_delay_alu instid0(VALU_DEP_1) | instskip(NEXT) | instid1(VALU_DEP_1)
	v_mul_f32_e32 v74, v75, v73
	v_fma_f32 v76, -v66, v74, v75
	s_delay_alu instid0(VALU_DEP_1) | instskip(NEXT) | instid1(VALU_DEP_1)
	v_fmac_f32_e32 v74, v76, v73
	v_fma_f32 v66, -v66, v74, v75
	s_delay_alu instid0(VALU_DEP_1) | instskip(NEXT) | instid1(VALU_DEP_1)
	v_div_fmas_f32 v66, v66, v73, v74
	v_div_fixup_f32 v67, v66, v67, 1.0
	s_delay_alu instid0(VALU_DEP_1)
	v_mul_f32_e32 v66, v65, v67
	v_xor_b32_e32 v67, 0x80000000, v67
.LBB56_49:
	s_and_not1_saveexec_b32 s1, s1
	s_cbranch_execz .LBB56_51
; %bb.50:
	s_delay_alu instid0(VALU_DEP_1) | instskip(SKIP_1) | instid1(VALU_DEP_2)
	v_div_scale_f32 v65, null, v66, v66, v67
	v_div_scale_f32 v75, vcc_lo, v67, v66, v67
	v_rcp_f32_e32 v73, v65
	v_nop
	s_delay_alu instid0(TRANS32_DEP_1) | instskip(NEXT) | instid1(VALU_DEP_1)
	v_fma_f32 v74, -v65, v73, 1.0
	v_fmac_f32_e32 v73, v74, v73
	s_delay_alu instid0(VALU_DEP_1) | instskip(NEXT) | instid1(VALU_DEP_1)
	v_mul_f32_e32 v74, v75, v73
	v_fma_f32 v76, -v65, v74, v75
	s_delay_alu instid0(VALU_DEP_1) | instskip(NEXT) | instid1(VALU_DEP_1)
	v_fmac_f32_e32 v74, v76, v73
	v_fma_f32 v65, -v65, v74, v75
	s_delay_alu instid0(VALU_DEP_1) | instskip(NEXT) | instid1(VALU_DEP_1)
	v_div_fmas_f32 v65, v65, v73, v74
	v_div_fixup_f32 v65, v65, v66, v67
	s_delay_alu instid0(VALU_DEP_1) | instskip(NEXT) | instid1(VALU_DEP_1)
	v_fmac_f32_e32 v66, v67, v65
	v_div_scale_f32 v67, null, v66, v66, 1.0
	s_delay_alu instid0(VALU_DEP_1) | instskip(SKIP_1) | instid1(TRANS32_DEP_1)
	v_rcp_f32_e32 v73, v67
	v_nop
	v_fma_f32 v74, -v67, v73, 1.0
	s_delay_alu instid0(VALU_DEP_1) | instskip(SKIP_1) | instid1(VALU_DEP_1)
	v_fmac_f32_e32 v73, v74, v73
	v_div_scale_f32 v74, vcc_lo, 1.0, v66, 1.0
	v_mul_f32_e32 v75, v74, v73
	s_delay_alu instid0(VALU_DEP_1) | instskip(NEXT) | instid1(VALU_DEP_1)
	v_fma_f32 v76, -v67, v75, v74
	v_fmac_f32_e32 v75, v76, v73
	s_delay_alu instid0(VALU_DEP_1) | instskip(NEXT) | instid1(VALU_DEP_1)
	v_fma_f32 v67, -v67, v75, v74
	v_div_fmas_f32 v67, v67, v73, v75
	s_delay_alu instid0(VALU_DEP_1) | instskip(NEXT) | instid1(VALU_DEP_1)
	v_div_fixup_f32 v66, v67, v66, 1.0
	v_mul_f32_e64 v67, v65, -v66
.LBB56_51:
	s_or_b32 exec_lo, exec_lo, s1
.LBB56_52:
	s_delay_alu instid0(SALU_CYCLE_1) | instskip(NEXT) | instid1(SALU_CYCLE_1)
	s_or_b32 exec_lo, exec_lo, s0
	s_mov_b32 s0, exec_lo
	v_cmpx_ne_u32_e64 v72, v64
	s_xor_b32 s0, exec_lo, s0
	s_cbranch_execz .LBB56_58
; %bb.53:
	s_mov_b32 s1, exec_lo
	v_cmpx_eq_u32_e32 2, v72
	s_cbranch_execz .LBB56_57
; %bb.54:
	v_cmp_ne_u32_e32 vcc_lo, 2, v64
	s_xor_b32 s12, s16, -1
	s_delay_alu instid0(SALU_CYCLE_1) | instskip(NEXT) | instid1(SALU_CYCLE_1)
	s_and_b32 s13, s12, vcc_lo
	s_and_saveexec_b32 s12, s13
	s_cbranch_execz .LBB56_56
; %bb.55:
	v_ashrrev_i32_e32 v65, 31, v64
	s_delay_alu instid0(VALU_DEP_1)
	v_lshl_add_u64 v[72:73], v[64:65], 2, v[4:5]
	s_clause 0x1
	global_load_b32 v65, v[72:73], off
	global_load_b32 v71, v[4:5], off offset:8
	s_wait_loadcnt 0x1
	global_store_b32 v[4:5], v65, off offset:8
	s_wait_loadcnt 0x0
	global_store_b32 v[72:73], v71, off
.LBB56_56:
	s_wait_xcnt 0x0
	s_or_b32 exec_lo, exec_lo, s12
	v_dual_mov_b32 v72, v64 :: v_dual_mov_b32 v71, v64
.LBB56_57:
	s_or_b32 exec_lo, exec_lo, s1
.LBB56_58:
	s_and_not1_saveexec_b32 s0, s0
	s_cbranch_execz .LBB56_60
; %bb.59:
	v_mov_b32_e32 v72, 2
	ds_store_2addr_b64 v68, v[54:55], v[14:15] offset0:3 offset1:4
	ds_store_2addr_b64 v68, v[10:11], v[12:13] offset0:5 offset1:6
	;; [unrolled: 1-line block ×13, first 2 shown]
.LBB56_60:
	s_or_b32 exec_lo, exec_lo, s0
	s_delay_alu instid0(SALU_CYCLE_1)
	s_mov_b32 s0, exec_lo
	s_wait_storecnt_dscnt 0x0
	s_barrier_signal -1
	s_barrier_wait -1
	v_cmpx_lt_i32_e32 2, v72
	s_cbranch_execz .LBB56_62
; %bb.61:
	v_pk_mul_f32 v[74:75], v[66:67], v[56:57] op_sel:[1,1] op_sel_hi:[0,1]
	s_delay_alu instid0(VALU_DEP_1)
	v_pk_fma_f32 v[64:65], v[66:67], v[56:57], v[74:75] op_sel_hi:[1,0,1] neg_lo:[0,0,1] neg_hi:[0,0,1]
	v_pk_fma_f32 v[66:67], v[66:67], v[56:57], v[74:75] op_sel_hi:[1,0,1]
	ds_load_2addr_b64 v[74:77], v68 offset0:3 offset1:4
	v_dual_mov_b32 v56, v64 :: v_dual_mov_b32 v57, v67
	s_wait_dscnt 0x0
	v_pk_mul_f32 v[78:79], v[74:75], v[66:67] op_sel:[0,1]
	s_delay_alu instid0(VALU_DEP_1) | instskip(SKIP_1) | instid1(VALU_DEP_1)
	v_pk_fma_f32 v[80:81], v[74:75], v[64:65], v[78:79] op_sel:[0,0,1] op_sel_hi:[1,1,0] neg_lo:[0,0,1] neg_hi:[0,0,1]
	v_pk_fma_f32 v[74:75], v[74:75], v[64:65], v[78:79] op_sel:[0,0,1] op_sel_hi:[1,0,0]
	v_mov_b32_e32 v81, v75
	v_pk_mul_f32 v[74:75], v[76:77], v[66:67] op_sel:[0,1]
	s_delay_alu instid0(VALU_DEP_1) | instskip(SKIP_1) | instid1(VALU_DEP_1)
	v_pk_fma_f32 v[78:79], v[76:77], v[64:65], v[74:75] op_sel:[0,0,1] op_sel_hi:[1,1,0] neg_lo:[0,0,1] neg_hi:[0,0,1]
	v_pk_fma_f32 v[74:75], v[76:77], v[64:65], v[74:75] op_sel:[0,0,1] op_sel_hi:[1,0,0]
	v_mov_b32_e32 v79, v75
	ds_load_2addr_b64 v[74:77], v68 offset0:5 offset1:6
	v_pk_add_f32 v[54:55], v[54:55], v[80:81] neg_lo:[0,1] neg_hi:[0,1]
	v_pk_add_f32 v[14:15], v[14:15], v[78:79] neg_lo:[0,1] neg_hi:[0,1]
	s_wait_dscnt 0x0
	v_pk_mul_f32 v[78:79], v[74:75], v[66:67] op_sel:[0,1]
	s_delay_alu instid0(VALU_DEP_1) | instskip(SKIP_2) | instid1(VALU_DEP_2)
	v_pk_fma_f32 v[80:81], v[74:75], v[64:65], v[78:79] op_sel:[0,0,1] op_sel_hi:[1,1,0] neg_lo:[0,0,1] neg_hi:[0,0,1]
	v_pk_fma_f32 v[74:75], v[74:75], v[64:65], v[78:79] op_sel:[0,0,1] op_sel_hi:[1,0,0]
	v_dual_mul_f32 v78, v77, v67 :: v_dual_mov_b32 v74, v77
	v_dual_mov_b32 v81, v75 :: v_dual_mov_b32 v75, v76
	s_delay_alu instid0(VALU_DEP_2) | instskip(SKIP_1) | instid1(VALU_DEP_3)
	v_pk_fma_f32 v[78:79], v[76:77], v[56:57], v[78:79] op_sel_hi:[1,1,0] neg_lo:[0,0,1] neg_hi:[0,0,1]
	v_mul_f32_e32 v76, v77, v64
	v_pk_add_f32 v[10:11], v[10:11], v[80:81] neg_lo:[0,1] neg_hi:[0,1]
	s_delay_alu instid0(VALU_DEP_2) | instskip(NEXT) | instid1(VALU_DEP_1)
	v_pk_fma_f32 v[74:75], v[74:75], v[56:57], v[76:77] op_sel_hi:[1,1,0]
	v_mov_b32_e32 v79, v75
	ds_load_2addr_b64 v[74:77], v68 offset0:7 offset1:8
	v_pk_add_f32 v[12:13], v[12:13], v[78:79] neg_lo:[0,1] neg_hi:[0,1]
	s_wait_dscnt 0x0
	v_pk_mul_f32 v[78:79], v[74:75], v[66:67] op_sel:[0,1]
	s_delay_alu instid0(VALU_DEP_1) | instskip(SKIP_1) | instid1(VALU_DEP_1)
	v_pk_fma_f32 v[80:81], v[74:75], v[64:65], v[78:79] op_sel:[0,0,1] op_sel_hi:[1,1,0] neg_lo:[0,0,1] neg_hi:[0,0,1]
	v_pk_fma_f32 v[74:75], v[74:75], v[64:65], v[78:79] op_sel:[0,0,1] op_sel_hi:[1,0,0]
	v_mov_b32_e32 v81, v75
	v_pk_mul_f32 v[74:75], v[76:77], v[66:67] op_sel:[0,1]
	s_delay_alu instid0(VALU_DEP_1) | instskip(SKIP_1) | instid1(VALU_DEP_1)
	v_pk_fma_f32 v[78:79], v[76:77], v[64:65], v[74:75] op_sel:[0,0,1] op_sel_hi:[1,1,0] neg_lo:[0,0,1] neg_hi:[0,0,1]
	v_pk_fma_f32 v[74:75], v[76:77], v[64:65], v[74:75] op_sel:[0,0,1] op_sel_hi:[1,0,0]
	v_mov_b32_e32 v79, v75
	ds_load_2addr_b64 v[74:77], v68 offset0:9 offset1:10
	v_pk_add_f32 v[8:9], v[8:9], v[80:81] neg_lo:[0,1] neg_hi:[0,1]
	v_pk_add_f32 v[22:23], v[22:23], v[78:79] neg_lo:[0,1] neg_hi:[0,1]
	s_wait_dscnt 0x0
	v_pk_mul_f32 v[78:79], v[74:75], v[66:67] op_sel:[0,1]
	s_delay_alu instid0(VALU_DEP_1) | instskip(SKIP_1) | instid1(VALU_DEP_1)
	v_pk_fma_f32 v[80:81], v[74:75], v[64:65], v[78:79] op_sel:[0,0,1] op_sel_hi:[1,1,0] neg_lo:[0,0,1] neg_hi:[0,0,1]
	v_pk_fma_f32 v[74:75], v[74:75], v[64:65], v[78:79] op_sel:[0,0,1] op_sel_hi:[1,0,0]
	v_mov_b32_e32 v81, v75
	v_pk_mul_f32 v[74:75], v[76:77], v[66:67] op_sel:[0,1]
	s_delay_alu instid0(VALU_DEP_1) | instskip(SKIP_1) | instid1(VALU_DEP_1)
	v_pk_fma_f32 v[78:79], v[76:77], v[64:65], v[74:75] op_sel:[0,0,1] op_sel_hi:[1,1,0] neg_lo:[0,0,1] neg_hi:[0,0,1]
	v_pk_fma_f32 v[74:75], v[76:77], v[64:65], v[74:75] op_sel:[0,0,1] op_sel_hi:[1,0,0]
	v_mov_b32_e32 v79, v75
	ds_load_2addr_b64 v[74:77], v68 offset0:11 offset1:12
	v_pk_add_f32 v[18:19], v[18:19], v[80:81] neg_lo:[0,1] neg_hi:[0,1]
	v_pk_add_f32 v[20:21], v[20:21], v[78:79] neg_lo:[0,1] neg_hi:[0,1]
	s_wait_dscnt 0x0
	v_dual_mul_f32 v78, v75, v67 :: v_dual_mul_f32 v80, v75, v64
	s_delay_alu instid0(VALU_DEP_1) | instskip(NEXT) | instid1(VALU_DEP_2)
	v_pk_fma_f32 v[78:79], v[74:75], v[56:57], v[78:79] op_sel_hi:[1,1,0] neg_lo:[0,0,1] neg_hi:[0,0,1]
	v_pk_fma_f32 v[74:75], v[74:75], v[56:57], v[80:81] op_sel:[1,0,0] op_sel_hi:[0,1,0]
	s_delay_alu instid0(VALU_DEP_1) | instskip(SKIP_1) | instid1(VALU_DEP_2)
	v_mov_b32_e32 v79, v75
	v_pk_mul_f32 v[74:75], v[76:77], v[66:67] op_sel:[0,1]
	v_pk_add_f32 v[16:17], v[16:17], v[78:79] neg_lo:[0,1] neg_hi:[0,1]
	s_delay_alu instid0(VALU_DEP_2) | instskip(SKIP_1) | instid1(VALU_DEP_1)
	v_pk_fma_f32 v[78:79], v[76:77], v[64:65], v[74:75] op_sel:[0,0,1] op_sel_hi:[1,1,0] neg_lo:[0,0,1] neg_hi:[0,0,1]
	v_pk_fma_f32 v[74:75], v[76:77], v[64:65], v[74:75] op_sel:[0,0,1] op_sel_hi:[1,0,0]
	v_mov_b32_e32 v79, v75
	ds_load_2addr_b64 v[74:77], v68 offset0:13 offset1:14
	v_pk_add_f32 v[30:31], v[30:31], v[78:79] neg_lo:[0,1] neg_hi:[0,1]
	s_wait_dscnt 0x0
	v_pk_mul_f32 v[78:79], v[74:75], v[66:67] op_sel:[0,1]
	s_delay_alu instid0(VALU_DEP_1) | instskip(SKIP_1) | instid1(VALU_DEP_1)
	v_pk_fma_f32 v[80:81], v[74:75], v[64:65], v[78:79] op_sel:[0,0,1] op_sel_hi:[1,1,0] neg_lo:[0,0,1] neg_hi:[0,0,1]
	v_pk_fma_f32 v[74:75], v[74:75], v[64:65], v[78:79] op_sel:[0,0,1] op_sel_hi:[1,0,0]
	v_mov_b32_e32 v81, v75
	v_pk_mul_f32 v[74:75], v[76:77], v[66:67] op_sel:[0,1]
	s_delay_alu instid0(VALU_DEP_2) | instskip(NEXT) | instid1(VALU_DEP_2)
	v_pk_add_f32 v[26:27], v[26:27], v[80:81] neg_lo:[0,1] neg_hi:[0,1]
	v_pk_fma_f32 v[78:79], v[76:77], v[64:65], v[74:75] op_sel:[0,0,1] op_sel_hi:[1,1,0] neg_lo:[0,0,1] neg_hi:[0,0,1]
	v_pk_fma_f32 v[74:75], v[76:77], v[64:65], v[74:75] op_sel:[0,0,1] op_sel_hi:[1,0,0]
	s_delay_alu instid0(VALU_DEP_1) | instskip(SKIP_4) | instid1(VALU_DEP_1)
	v_mov_b32_e32 v79, v75
	ds_load_2addr_b64 v[74:77], v68 offset0:15 offset1:16
	v_pk_add_f32 v[28:29], v[28:29], v[78:79] neg_lo:[0,1] neg_hi:[0,1]
	s_wait_dscnt 0x0
	v_pk_mul_f32 v[78:79], v[74:75], v[66:67] op_sel:[0,1]
	v_pk_fma_f32 v[80:81], v[74:75], v[64:65], v[78:79] op_sel:[0,0,1] op_sel_hi:[1,1,0] neg_lo:[0,0,1] neg_hi:[0,0,1]
	v_pk_fma_f32 v[74:75], v[74:75], v[64:65], v[78:79] op_sel:[0,0,1] op_sel_hi:[1,0,0]
	v_dual_mul_f32 v78, v77, v67 :: v_dual_mov_b32 v74, v77
	s_delay_alu instid0(VALU_DEP_2) | instskip(NEXT) | instid1(VALU_DEP_2)
	v_dual_mov_b32 v81, v75 :: v_dual_mov_b32 v75, v76
	v_pk_fma_f32 v[78:79], v[76:77], v[56:57], v[78:79] op_sel_hi:[1,1,0] neg_lo:[0,0,1] neg_hi:[0,0,1]
	v_mul_f32_e32 v76, v77, v64
	s_delay_alu instid0(VALU_DEP_3) | instskip(NEXT) | instid1(VALU_DEP_2)
	v_pk_add_f32 v[24:25], v[24:25], v[80:81] neg_lo:[0,1] neg_hi:[0,1]
	v_pk_fma_f32 v[74:75], v[74:75], v[56:57], v[76:77] op_sel_hi:[1,1,0]
	s_delay_alu instid0(VALU_DEP_1) | instskip(SKIP_4) | instid1(VALU_DEP_1)
	v_mov_b32_e32 v79, v75
	ds_load_2addr_b64 v[74:77], v68 offset0:17 offset1:18
	v_pk_add_f32 v[50:51], v[50:51], v[78:79] neg_lo:[0,1] neg_hi:[0,1]
	s_wait_dscnt 0x0
	v_pk_mul_f32 v[78:79], v[74:75], v[66:67] op_sel:[0,1]
	v_pk_fma_f32 v[80:81], v[74:75], v[64:65], v[78:79] op_sel:[0,0,1] op_sel_hi:[1,1,0] neg_lo:[0,0,1] neg_hi:[0,0,1]
	v_pk_fma_f32 v[74:75], v[74:75], v[64:65], v[78:79] op_sel:[0,0,1] op_sel_hi:[1,0,0]
	s_delay_alu instid0(VALU_DEP_1) | instskip(SKIP_1) | instid1(VALU_DEP_1)
	v_mov_b32_e32 v81, v75
	v_pk_mul_f32 v[74:75], v[76:77], v[66:67] op_sel:[0,1]
	v_pk_fma_f32 v[78:79], v[76:77], v[64:65], v[74:75] op_sel:[0,0,1] op_sel_hi:[1,1,0] neg_lo:[0,0,1] neg_hi:[0,0,1]
	v_pk_fma_f32 v[74:75], v[76:77], v[64:65], v[74:75] op_sel:[0,0,1] op_sel_hi:[1,0,0]
	s_delay_alu instid0(VALU_DEP_1)
	v_mov_b32_e32 v79, v75
	ds_load_2addr_b64 v[74:77], v68 offset0:19 offset1:20
	v_pk_add_f32 v[46:47], v[46:47], v[80:81] neg_lo:[0,1] neg_hi:[0,1]
	v_pk_add_f32 v[48:49], v[48:49], v[78:79] neg_lo:[0,1] neg_hi:[0,1]
	s_wait_dscnt 0x0
	v_pk_mul_f32 v[78:79], v[74:75], v[66:67] op_sel:[0,1]
	s_delay_alu instid0(VALU_DEP_1) | instskip(SKIP_1) | instid1(VALU_DEP_1)
	v_pk_fma_f32 v[80:81], v[74:75], v[64:65], v[78:79] op_sel:[0,0,1] op_sel_hi:[1,1,0] neg_lo:[0,0,1] neg_hi:[0,0,1]
	v_pk_fma_f32 v[74:75], v[74:75], v[64:65], v[78:79] op_sel:[0,0,1] op_sel_hi:[1,0,0]
	v_mov_b32_e32 v81, v75
	v_pk_mul_f32 v[74:75], v[76:77], v[66:67] op_sel:[0,1]
	s_delay_alu instid0(VALU_DEP_1) | instskip(SKIP_1) | instid1(VALU_DEP_1)
	v_pk_fma_f32 v[78:79], v[76:77], v[64:65], v[74:75] op_sel:[0,0,1] op_sel_hi:[1,1,0] neg_lo:[0,0,1] neg_hi:[0,0,1]
	v_pk_fma_f32 v[74:75], v[76:77], v[64:65], v[74:75] op_sel:[0,0,1] op_sel_hi:[1,0,0]
	v_mov_b32_e32 v79, v75
	ds_load_2addr_b64 v[74:77], v68 offset0:21 offset1:22
	v_pk_add_f32 v[44:45], v[44:45], v[80:81] neg_lo:[0,1] neg_hi:[0,1]
	v_pk_add_f32 v[38:39], v[38:39], v[78:79] neg_lo:[0,1] neg_hi:[0,1]
	s_wait_dscnt 0x0
	v_dual_mul_f32 v78, v75, v67 :: v_dual_mul_f32 v80, v75, v64
	s_delay_alu instid0(VALU_DEP_1) | instskip(NEXT) | instid1(VALU_DEP_2)
	v_pk_fma_f32 v[78:79], v[74:75], v[56:57], v[78:79] op_sel_hi:[1,1,0] neg_lo:[0,0,1] neg_hi:[0,0,1]
	v_pk_fma_f32 v[74:75], v[74:75], v[56:57], v[80:81] op_sel:[1,0,0] op_sel_hi:[0,1,0]
	s_delay_alu instid0(VALU_DEP_1) | instskip(SKIP_1) | instid1(VALU_DEP_2)
	v_mov_b32_e32 v79, v75
	v_pk_mul_f32 v[74:75], v[76:77], v[66:67] op_sel:[0,1]
	v_pk_add_f32 v[34:35], v[34:35], v[78:79] neg_lo:[0,1] neg_hi:[0,1]
	s_delay_alu instid0(VALU_DEP_2) | instskip(SKIP_1) | instid1(VALU_DEP_1)
	v_pk_fma_f32 v[78:79], v[76:77], v[64:65], v[74:75] op_sel:[0,0,1] op_sel_hi:[1,1,0] neg_lo:[0,0,1] neg_hi:[0,0,1]
	v_pk_fma_f32 v[74:75], v[76:77], v[64:65], v[74:75] op_sel:[0,0,1] op_sel_hi:[1,0,0]
	v_mov_b32_e32 v79, v75
	ds_load_2addr_b64 v[74:77], v68 offset0:23 offset1:24
	v_pk_add_f32 v[36:37], v[36:37], v[78:79] neg_lo:[0,1] neg_hi:[0,1]
	s_wait_dscnt 0x0
	v_pk_mul_f32 v[78:79], v[74:75], v[66:67] op_sel:[0,1]
	s_delay_alu instid0(VALU_DEP_1) | instskip(SKIP_1) | instid1(VALU_DEP_1)
	v_pk_fma_f32 v[80:81], v[74:75], v[64:65], v[78:79] op_sel:[0,0,1] op_sel_hi:[1,1,0] neg_lo:[0,0,1] neg_hi:[0,0,1]
	v_pk_fma_f32 v[74:75], v[74:75], v[64:65], v[78:79] op_sel:[0,0,1] op_sel_hi:[1,0,0]
	v_mov_b32_e32 v81, v75
	v_pk_mul_f32 v[74:75], v[76:77], v[66:67] op_sel:[0,1]
	s_delay_alu instid0(VALU_DEP_2) | instskip(NEXT) | instid1(VALU_DEP_2)
	v_pk_add_f32 v[32:33], v[32:33], v[80:81] neg_lo:[0,1] neg_hi:[0,1]
	v_pk_fma_f32 v[78:79], v[76:77], v[64:65], v[74:75] op_sel:[0,0,1] op_sel_hi:[1,1,0] neg_lo:[0,0,1] neg_hi:[0,0,1]
	v_pk_fma_f32 v[74:75], v[76:77], v[64:65], v[74:75] op_sel:[0,0,1] op_sel_hi:[1,0,0]
	s_delay_alu instid0(VALU_DEP_1) | instskip(SKIP_4) | instid1(VALU_DEP_1)
	v_mov_b32_e32 v79, v75
	ds_load_2addr_b64 v[74:77], v68 offset0:25 offset1:26
	v_pk_add_f32 v[6:7], v[6:7], v[78:79] neg_lo:[0,1] neg_hi:[0,1]
	s_wait_dscnt 0x0
	v_pk_mul_f32 v[78:79], v[74:75], v[66:67] op_sel:[0,1]
	v_pk_fma_f32 v[80:81], v[74:75], v[64:65], v[78:79] op_sel:[0,0,1] op_sel_hi:[1,1,0] neg_lo:[0,0,1] neg_hi:[0,0,1]
	v_pk_fma_f32 v[74:75], v[74:75], v[64:65], v[78:79] op_sel:[0,0,1] op_sel_hi:[1,0,0]
	v_dual_mul_f32 v78, v77, v67 :: v_dual_mov_b32 v74, v77
	s_delay_alu instid0(VALU_DEP_2) | instskip(NEXT) | instid1(VALU_DEP_2)
	v_dual_mov_b32 v81, v75 :: v_dual_mov_b32 v75, v76
	v_pk_fma_f32 v[78:79], v[76:77], v[56:57], v[78:79] op_sel_hi:[1,1,0] neg_lo:[0,0,1] neg_hi:[0,0,1]
	v_mul_f32_e32 v76, v77, v64
	s_delay_alu instid0(VALU_DEP_3) | instskip(NEXT) | instid1(VALU_DEP_2)
	v_pk_add_f32 v[52:53], v[52:53], v[80:81] neg_lo:[0,1] neg_hi:[0,1]
	v_pk_fma_f32 v[74:75], v[74:75], v[56:57], v[76:77] op_sel_hi:[1,1,0]
	s_delay_alu instid0(VALU_DEP_1)
	v_mov_b32_e32 v79, v75
	ds_load_2addr_b64 v[74:77], v68 offset0:27 offset1:28
	v_pk_add_f32 v[42:43], v[42:43], v[78:79] neg_lo:[0,1] neg_hi:[0,1]
	s_wait_dscnt 0x0
	v_pk_mul_f32 v[78:79], v[74:75], v[66:67] op_sel:[0,1]
	v_pk_mul_f32 v[66:67], v[76:77], v[66:67] op_sel:[0,1]
	s_delay_alu instid0(VALU_DEP_2) | instskip(SKIP_1) | instid1(VALU_DEP_1)
	v_pk_fma_f32 v[80:81], v[74:75], v[64:65], v[78:79] op_sel:[0,0,1] op_sel_hi:[1,1,0] neg_lo:[0,0,1] neg_hi:[0,0,1]
	v_pk_fma_f32 v[74:75], v[74:75], v[64:65], v[78:79] op_sel:[0,0,1] op_sel_hi:[1,0,0]
	v_mov_b32_e32 v81, v75
	s_delay_alu instid0(VALU_DEP_4) | instskip(SKIP_1) | instid1(VALU_DEP_1)
	v_pk_fma_f32 v[74:75], v[76:77], v[64:65], v[66:67] op_sel:[0,0,1] op_sel_hi:[1,1,0] neg_lo:[0,0,1] neg_hi:[0,0,1]
	v_pk_fma_f32 v[64:65], v[76:77], v[64:65], v[66:67] op_sel:[0,0,1] op_sel_hi:[1,0,0]
	v_mov_b32_e32 v75, v65
	s_delay_alu instid0(VALU_DEP_4) | instskip(NEXT) | instid1(VALU_DEP_2)
	v_pk_add_f32 v[40:41], v[40:41], v[80:81] neg_lo:[0,1] neg_hi:[0,1]
	v_pk_add_f32 v[62:63], v[62:63], v[74:75] neg_lo:[0,1] neg_hi:[0,1]
.LBB56_62:
	s_or_b32 exec_lo, exec_lo, s0
	v_lshl_add_u32 v64, v72, 3, v68
	s_barrier_signal -1
	s_barrier_wait -1
	ds_store_b64 v64, v[54:55]
	s_wait_dscnt 0x0
	s_barrier_signal -1
	s_barrier_wait -1
	ds_load_b64 v[66:67], v68 offset:24
	v_mov_b32_e32 v64, 3
	s_cmp_lt_i32 s18, 5
	s_cbranch_scc1 .LBB56_65
; %bb.63:
	v_mov_b32_e32 v64, 3
	v_add3_u32 v65, v69, 0, 32
	s_mov_b32 s0, 4
.LBB56_64:                              ; =>This Inner Loop Header: Depth=1
	ds_load_b64 v[74:75], v65
	s_wait_dscnt 0x1
	v_cmp_gt_f32_e32 vcc_lo, 0, v66
	v_cndmask_b32_e64 v76, v66, -v66, vcc_lo
	v_cmp_gt_f32_e32 vcc_lo, 0, v67
	v_cndmask_b32_e64 v78, v67, -v67, vcc_lo
	s_wait_dscnt 0x0
	v_cmp_gt_f32_e32 vcc_lo, 0, v74
	v_cndmask_b32_e64 v77, v74, -v74, vcc_lo
	v_cmp_gt_f32_e32 vcc_lo, 0, v75
	v_cndmask_b32_e64 v79, v75, -v75, vcc_lo
	s_delay_alu instid0(VALU_DEP_1) | instskip(NEXT) | instid1(VALU_DEP_1)
	v_pk_add_f32 v[76:77], v[76:77], v[78:79]
	v_cmp_lt_f32_e32 vcc_lo, v76, v77
	v_dual_add_nc_u32 v65, 8, v65 :: v_dual_cndmask_b32 v67, v67, v75, vcc_lo
	v_cndmask_b32_e32 v66, v66, v74, vcc_lo
	v_cndmask_b32_e64 v64, v64, s0, vcc_lo
	s_add_co_i32 s0, s0, 1
	s_delay_alu instid0(SALU_CYCLE_1)
	s_cmp_lg_u32 s18, s0
	s_cbranch_scc1 .LBB56_64
.LBB56_65:
	s_wait_dscnt 0x0
	v_cmp_eq_f32_e32 vcc_lo, 0, v66
	v_cmp_eq_f32_e64 s0, 0, v67
	s_and_b32 s0, vcc_lo, s0
	s_delay_alu instid0(SALU_CYCLE_1) | instskip(NEXT) | instid1(SALU_CYCLE_1)
	s_and_saveexec_b32 s1, s0
	s_xor_b32 s0, exec_lo, s1
; %bb.66:
	v_cmp_ne_u32_e32 vcc_lo, 0, v70
	v_cndmask_b32_e32 v70, 4, v70, vcc_lo
; %bb.67:
	s_and_not1_saveexec_b32 s0, s0
	s_cbranch_execz .LBB56_73
; %bb.68:
	v_cmp_ngt_f32_e64 s1, |v66|, |v67|
	s_and_saveexec_b32 s12, s1
	s_delay_alu instid0(SALU_CYCLE_1)
	s_xor_b32 s1, exec_lo, s12
	s_cbranch_execz .LBB56_70
; %bb.69:
	v_div_scale_f32 v65, null, v67, v67, v66
	v_div_scale_f32 v75, vcc_lo, v66, v67, v66
	s_delay_alu instid0(VALU_DEP_2) | instskip(SKIP_1) | instid1(TRANS32_DEP_1)
	v_rcp_f32_e32 v73, v65
	v_nop
	v_fma_f32 v74, -v65, v73, 1.0
	s_delay_alu instid0(VALU_DEP_1) | instskip(NEXT) | instid1(VALU_DEP_1)
	v_fmac_f32_e32 v73, v74, v73
	v_mul_f32_e32 v74, v75, v73
	s_delay_alu instid0(VALU_DEP_1) | instskip(NEXT) | instid1(VALU_DEP_1)
	v_fma_f32 v76, -v65, v74, v75
	v_fmac_f32_e32 v74, v76, v73
	s_delay_alu instid0(VALU_DEP_1) | instskip(NEXT) | instid1(VALU_DEP_1)
	v_fma_f32 v65, -v65, v74, v75
	v_div_fmas_f32 v65, v65, v73, v74
	s_delay_alu instid0(VALU_DEP_1) | instskip(NEXT) | instid1(VALU_DEP_1)
	v_div_fixup_f32 v65, v65, v67, v66
	v_fmac_f32_e32 v67, v66, v65
	s_delay_alu instid0(VALU_DEP_1) | instskip(SKIP_1) | instid1(VALU_DEP_2)
	v_div_scale_f32 v66, null, v67, v67, 1.0
	v_div_scale_f32 v75, vcc_lo, 1.0, v67, 1.0
	v_rcp_f32_e32 v73, v66
	v_nop
	s_delay_alu instid0(TRANS32_DEP_1) | instskip(NEXT) | instid1(VALU_DEP_1)
	v_fma_f32 v74, -v66, v73, 1.0
	v_fmac_f32_e32 v73, v74, v73
	s_delay_alu instid0(VALU_DEP_1) | instskip(NEXT) | instid1(VALU_DEP_1)
	v_mul_f32_e32 v74, v75, v73
	v_fma_f32 v76, -v66, v74, v75
	s_delay_alu instid0(VALU_DEP_1) | instskip(NEXT) | instid1(VALU_DEP_1)
	v_fmac_f32_e32 v74, v76, v73
	v_fma_f32 v66, -v66, v74, v75
	s_delay_alu instid0(VALU_DEP_1) | instskip(NEXT) | instid1(VALU_DEP_1)
	v_div_fmas_f32 v66, v66, v73, v74
	v_div_fixup_f32 v67, v66, v67, 1.0
	s_delay_alu instid0(VALU_DEP_1)
	v_mul_f32_e32 v66, v65, v67
	v_xor_b32_e32 v67, 0x80000000, v67
.LBB56_70:
	s_and_not1_saveexec_b32 s1, s1
	s_cbranch_execz .LBB56_72
; %bb.71:
	s_delay_alu instid0(VALU_DEP_1) | instskip(SKIP_1) | instid1(VALU_DEP_2)
	v_div_scale_f32 v65, null, v66, v66, v67
	v_div_scale_f32 v75, vcc_lo, v67, v66, v67
	v_rcp_f32_e32 v73, v65
	v_nop
	s_delay_alu instid0(TRANS32_DEP_1) | instskip(NEXT) | instid1(VALU_DEP_1)
	v_fma_f32 v74, -v65, v73, 1.0
	v_fmac_f32_e32 v73, v74, v73
	s_delay_alu instid0(VALU_DEP_1) | instskip(NEXT) | instid1(VALU_DEP_1)
	v_mul_f32_e32 v74, v75, v73
	v_fma_f32 v76, -v65, v74, v75
	s_delay_alu instid0(VALU_DEP_1) | instskip(NEXT) | instid1(VALU_DEP_1)
	v_fmac_f32_e32 v74, v76, v73
	v_fma_f32 v65, -v65, v74, v75
	s_delay_alu instid0(VALU_DEP_1) | instskip(NEXT) | instid1(VALU_DEP_1)
	v_div_fmas_f32 v65, v65, v73, v74
	v_div_fixup_f32 v65, v65, v66, v67
	s_delay_alu instid0(VALU_DEP_1) | instskip(NEXT) | instid1(VALU_DEP_1)
	v_fmac_f32_e32 v66, v67, v65
	v_div_scale_f32 v67, null, v66, v66, 1.0
	s_delay_alu instid0(VALU_DEP_1) | instskip(SKIP_1) | instid1(TRANS32_DEP_1)
	v_rcp_f32_e32 v73, v67
	v_nop
	v_fma_f32 v74, -v67, v73, 1.0
	s_delay_alu instid0(VALU_DEP_1) | instskip(SKIP_1) | instid1(VALU_DEP_1)
	v_fmac_f32_e32 v73, v74, v73
	v_div_scale_f32 v74, vcc_lo, 1.0, v66, 1.0
	v_mul_f32_e32 v75, v74, v73
	s_delay_alu instid0(VALU_DEP_1) | instskip(NEXT) | instid1(VALU_DEP_1)
	v_fma_f32 v76, -v67, v75, v74
	v_fmac_f32_e32 v75, v76, v73
	s_delay_alu instid0(VALU_DEP_1) | instskip(NEXT) | instid1(VALU_DEP_1)
	v_fma_f32 v67, -v67, v75, v74
	v_div_fmas_f32 v67, v67, v73, v75
	s_delay_alu instid0(VALU_DEP_1) | instskip(NEXT) | instid1(VALU_DEP_1)
	v_div_fixup_f32 v66, v67, v66, 1.0
	v_mul_f32_e64 v67, v65, -v66
.LBB56_72:
	s_or_b32 exec_lo, exec_lo, s1
.LBB56_73:
	s_delay_alu instid0(SALU_CYCLE_1) | instskip(NEXT) | instid1(SALU_CYCLE_1)
	s_or_b32 exec_lo, exec_lo, s0
	s_mov_b32 s0, exec_lo
	v_cmpx_ne_u32_e64 v72, v64
	s_xor_b32 s0, exec_lo, s0
	s_cbranch_execz .LBB56_79
; %bb.74:
	s_mov_b32 s1, exec_lo
	v_cmpx_eq_u32_e32 3, v72
	s_cbranch_execz .LBB56_78
; %bb.75:
	v_cmp_ne_u32_e32 vcc_lo, 3, v64
	s_xor_b32 s12, s16, -1
	s_delay_alu instid0(SALU_CYCLE_1) | instskip(NEXT) | instid1(SALU_CYCLE_1)
	s_and_b32 s13, s12, vcc_lo
	s_and_saveexec_b32 s12, s13
	s_cbranch_execz .LBB56_77
; %bb.76:
	v_ashrrev_i32_e32 v65, 31, v64
	s_delay_alu instid0(VALU_DEP_1)
	v_lshl_add_u64 v[72:73], v[64:65], 2, v[4:5]
	s_clause 0x1
	global_load_b32 v65, v[72:73], off
	global_load_b32 v71, v[4:5], off offset:12
	s_wait_loadcnt 0x1
	global_store_b32 v[4:5], v65, off offset:12
	s_wait_loadcnt 0x0
	global_store_b32 v[72:73], v71, off
.LBB56_77:
	s_wait_xcnt 0x0
	s_or_b32 exec_lo, exec_lo, s12
	v_dual_mov_b32 v72, v64 :: v_dual_mov_b32 v71, v64
.LBB56_78:
	s_or_b32 exec_lo, exec_lo, s1
.LBB56_79:
	s_and_not1_saveexec_b32 s0, s0
	s_cbranch_execz .LBB56_81
; %bb.80:
	v_dual_mov_b32 v64, v14 :: v_dual_mov_b32 v65, v15
	v_dual_mov_b32 v72, v10 :: v_dual_mov_b32 v73, v11
	v_dual_mov_b32 v74, v12 :: v_dual_mov_b32 v75, v13
	v_dual_mov_b32 v76, v8 :: v_dual_mov_b32 v77, v9
	ds_store_2addr_b64 v68, v[64:65], v[72:73] offset0:4 offset1:5
	ds_store_2addr_b64 v68, v[74:75], v[76:77] offset0:6 offset1:7
	v_dual_mov_b32 v64, v22 :: v_dual_mov_b32 v65, v23
	v_dual_mov_b32 v72, v18 :: v_dual_mov_b32 v73, v19
	;; [unrolled: 1-line block ×12, first 2 shown]
	ds_store_2addr_b64 v68, v[64:65], v[72:73] offset0:8 offset1:9
	ds_store_2addr_b64 v68, v[74:75], v[76:77] offset0:10 offset1:11
	;; [unrolled: 1-line block ×6, first 2 shown]
	v_dual_mov_b32 v64, v38 :: v_dual_mov_b32 v65, v39
	v_dual_mov_b32 v74, v34 :: v_dual_mov_b32 v75, v35
	v_dual_mov_b32 v72, 3 :: v_dual_mov_b32 v76, v36
	v_dual_mov_b32 v77, v37 :: v_dual_mov_b32 v78, v32
	v_dual_mov_b32 v79, v33 :: v_dual_mov_b32 v80, v6
	v_dual_mov_b32 v81, v7 :: v_dual_mov_b32 v82, v52
	v_dual_mov_b32 v83, v53 :: v_dual_mov_b32 v84, v42
	v_dual_mov_b32 v85, v43 :: v_dual_mov_b32 v86, v40
	v_mov_b32_e32 v87, v41
	ds_store_2addr_b64 v68, v[64:65], v[74:75] offset0:20 offset1:21
	ds_store_2addr_b64 v68, v[76:77], v[78:79] offset0:22 offset1:23
	;; [unrolled: 1-line block ×4, first 2 shown]
	ds_store_b64 v68, v[62:63] offset:224
.LBB56_81:
	s_or_b32 exec_lo, exec_lo, s0
	s_delay_alu instid0(SALU_CYCLE_1)
	s_mov_b32 s0, exec_lo
	s_wait_storecnt_dscnt 0x0
	s_barrier_signal -1
	s_barrier_wait -1
	v_cmpx_lt_i32_e32 3, v72
	s_cbranch_execz .LBB56_83
; %bb.82:
	v_pk_mul_f32 v[74:75], v[66:67], v[54:55] op_sel:[1,1] op_sel_hi:[0,1]
	s_delay_alu instid0(VALU_DEP_1)
	v_pk_fma_f32 v[64:65], v[66:67], v[54:55], v[74:75] op_sel_hi:[1,0,1] neg_lo:[0,0,1] neg_hi:[0,0,1]
	v_pk_fma_f32 v[66:67], v[66:67], v[54:55], v[74:75] op_sel_hi:[1,0,1]
	ds_load_2addr_b64 v[74:77], v68 offset0:4 offset1:5
	v_dual_mov_b32 v54, v64 :: v_dual_mov_b32 v55, v67
	s_wait_dscnt 0x0
	v_pk_mul_f32 v[78:79], v[74:75], v[66:67] op_sel:[0,1]
	s_delay_alu instid0(VALU_DEP_1) | instskip(SKIP_1) | instid1(VALU_DEP_1)
	v_pk_fma_f32 v[80:81], v[74:75], v[64:65], v[78:79] op_sel:[0,0,1] op_sel_hi:[1,1,0] neg_lo:[0,0,1] neg_hi:[0,0,1]
	v_pk_fma_f32 v[74:75], v[74:75], v[64:65], v[78:79] op_sel:[0,0,1] op_sel_hi:[1,0,0]
	v_mov_b32_e32 v81, v75
	v_pk_mul_f32 v[74:75], v[76:77], v[66:67] op_sel:[0,1]
	s_delay_alu instid0(VALU_DEP_1) | instskip(SKIP_1) | instid1(VALU_DEP_1)
	v_pk_fma_f32 v[78:79], v[76:77], v[64:65], v[74:75] op_sel:[0,0,1] op_sel_hi:[1,1,0] neg_lo:[0,0,1] neg_hi:[0,0,1]
	v_pk_fma_f32 v[74:75], v[76:77], v[64:65], v[74:75] op_sel:[0,0,1] op_sel_hi:[1,0,0]
	v_mov_b32_e32 v79, v75
	ds_load_2addr_b64 v[74:77], v68 offset0:6 offset1:7
	v_pk_add_f32 v[14:15], v[14:15], v[80:81] neg_lo:[0,1] neg_hi:[0,1]
	v_pk_add_f32 v[10:11], v[10:11], v[78:79] neg_lo:[0,1] neg_hi:[0,1]
	s_wait_dscnt 0x0
	v_pk_mul_f32 v[78:79], v[74:75], v[66:67] op_sel:[0,1]
	s_delay_alu instid0(VALU_DEP_1) | instskip(SKIP_2) | instid1(VALU_DEP_2)
	v_pk_fma_f32 v[80:81], v[74:75], v[64:65], v[78:79] op_sel:[0,0,1] op_sel_hi:[1,1,0] neg_lo:[0,0,1] neg_hi:[0,0,1]
	v_pk_fma_f32 v[74:75], v[74:75], v[64:65], v[78:79] op_sel:[0,0,1] op_sel_hi:[1,0,0]
	v_dual_mul_f32 v78, v77, v67 :: v_dual_mov_b32 v74, v77
	v_dual_mov_b32 v81, v75 :: v_dual_mov_b32 v75, v76
	s_delay_alu instid0(VALU_DEP_2) | instskip(SKIP_1) | instid1(VALU_DEP_3)
	v_pk_fma_f32 v[78:79], v[76:77], v[54:55], v[78:79] op_sel_hi:[1,1,0] neg_lo:[0,0,1] neg_hi:[0,0,1]
	v_mul_f32_e32 v76, v77, v64
	v_pk_add_f32 v[12:13], v[12:13], v[80:81] neg_lo:[0,1] neg_hi:[0,1]
	s_delay_alu instid0(VALU_DEP_2) | instskip(NEXT) | instid1(VALU_DEP_1)
	v_pk_fma_f32 v[74:75], v[74:75], v[54:55], v[76:77] op_sel_hi:[1,1,0]
	v_mov_b32_e32 v79, v75
	ds_load_2addr_b64 v[74:77], v68 offset0:8 offset1:9
	v_pk_add_f32 v[8:9], v[8:9], v[78:79] neg_lo:[0,1] neg_hi:[0,1]
	s_wait_dscnt 0x0
	v_pk_mul_f32 v[78:79], v[74:75], v[66:67] op_sel:[0,1]
	s_delay_alu instid0(VALU_DEP_1) | instskip(SKIP_1) | instid1(VALU_DEP_1)
	v_pk_fma_f32 v[80:81], v[74:75], v[64:65], v[78:79] op_sel:[0,0,1] op_sel_hi:[1,1,0] neg_lo:[0,0,1] neg_hi:[0,0,1]
	v_pk_fma_f32 v[74:75], v[74:75], v[64:65], v[78:79] op_sel:[0,0,1] op_sel_hi:[1,0,0]
	v_mov_b32_e32 v81, v75
	v_pk_mul_f32 v[74:75], v[76:77], v[66:67] op_sel:[0,1]
	s_delay_alu instid0(VALU_DEP_1) | instskip(SKIP_1) | instid1(VALU_DEP_1)
	v_pk_fma_f32 v[78:79], v[76:77], v[64:65], v[74:75] op_sel:[0,0,1] op_sel_hi:[1,1,0] neg_lo:[0,0,1] neg_hi:[0,0,1]
	v_pk_fma_f32 v[74:75], v[76:77], v[64:65], v[74:75] op_sel:[0,0,1] op_sel_hi:[1,0,0]
	v_mov_b32_e32 v79, v75
	ds_load_2addr_b64 v[74:77], v68 offset0:10 offset1:11
	v_pk_add_f32 v[22:23], v[22:23], v[80:81] neg_lo:[0,1] neg_hi:[0,1]
	v_pk_add_f32 v[18:19], v[18:19], v[78:79] neg_lo:[0,1] neg_hi:[0,1]
	s_wait_dscnt 0x0
	v_pk_mul_f32 v[78:79], v[74:75], v[66:67] op_sel:[0,1]
	s_delay_alu instid0(VALU_DEP_1) | instskip(SKIP_1) | instid1(VALU_DEP_1)
	v_pk_fma_f32 v[80:81], v[74:75], v[64:65], v[78:79] op_sel:[0,0,1] op_sel_hi:[1,1,0] neg_lo:[0,0,1] neg_hi:[0,0,1]
	v_pk_fma_f32 v[74:75], v[74:75], v[64:65], v[78:79] op_sel:[0,0,1] op_sel_hi:[1,0,0]
	v_mov_b32_e32 v81, v75
	v_pk_mul_f32 v[74:75], v[76:77], v[66:67] op_sel:[0,1]
	s_delay_alu instid0(VALU_DEP_1) | instskip(SKIP_1) | instid1(VALU_DEP_1)
	v_pk_fma_f32 v[78:79], v[76:77], v[64:65], v[74:75] op_sel:[0,0,1] op_sel_hi:[1,1,0] neg_lo:[0,0,1] neg_hi:[0,0,1]
	v_pk_fma_f32 v[74:75], v[76:77], v[64:65], v[74:75] op_sel:[0,0,1] op_sel_hi:[1,0,0]
	v_mov_b32_e32 v79, v75
	ds_load_2addr_b64 v[74:77], v68 offset0:12 offset1:13
	v_pk_add_f32 v[20:21], v[20:21], v[80:81] neg_lo:[0,1] neg_hi:[0,1]
	v_pk_add_f32 v[16:17], v[16:17], v[78:79] neg_lo:[0,1] neg_hi:[0,1]
	s_wait_dscnt 0x0
	v_dual_mul_f32 v78, v75, v67 :: v_dual_mul_f32 v80, v75, v64
	s_delay_alu instid0(VALU_DEP_1) | instskip(NEXT) | instid1(VALU_DEP_2)
	v_pk_fma_f32 v[78:79], v[74:75], v[54:55], v[78:79] op_sel_hi:[1,1,0] neg_lo:[0,0,1] neg_hi:[0,0,1]
	v_pk_fma_f32 v[74:75], v[74:75], v[54:55], v[80:81] op_sel:[1,0,0] op_sel_hi:[0,1,0]
	s_delay_alu instid0(VALU_DEP_1) | instskip(SKIP_1) | instid1(VALU_DEP_2)
	v_mov_b32_e32 v79, v75
	v_pk_mul_f32 v[74:75], v[76:77], v[66:67] op_sel:[0,1]
	v_pk_add_f32 v[30:31], v[30:31], v[78:79] neg_lo:[0,1] neg_hi:[0,1]
	s_delay_alu instid0(VALU_DEP_2) | instskip(SKIP_1) | instid1(VALU_DEP_1)
	v_pk_fma_f32 v[78:79], v[76:77], v[64:65], v[74:75] op_sel:[0,0,1] op_sel_hi:[1,1,0] neg_lo:[0,0,1] neg_hi:[0,0,1]
	v_pk_fma_f32 v[74:75], v[76:77], v[64:65], v[74:75] op_sel:[0,0,1] op_sel_hi:[1,0,0]
	v_mov_b32_e32 v79, v75
	ds_load_2addr_b64 v[74:77], v68 offset0:14 offset1:15
	v_pk_add_f32 v[26:27], v[26:27], v[78:79] neg_lo:[0,1] neg_hi:[0,1]
	s_wait_dscnt 0x0
	v_pk_mul_f32 v[78:79], v[74:75], v[66:67] op_sel:[0,1]
	s_delay_alu instid0(VALU_DEP_1) | instskip(SKIP_1) | instid1(VALU_DEP_1)
	v_pk_fma_f32 v[80:81], v[74:75], v[64:65], v[78:79] op_sel:[0,0,1] op_sel_hi:[1,1,0] neg_lo:[0,0,1] neg_hi:[0,0,1]
	v_pk_fma_f32 v[74:75], v[74:75], v[64:65], v[78:79] op_sel:[0,0,1] op_sel_hi:[1,0,0]
	v_mov_b32_e32 v81, v75
	v_pk_mul_f32 v[74:75], v[76:77], v[66:67] op_sel:[0,1]
	s_delay_alu instid0(VALU_DEP_2) | instskip(NEXT) | instid1(VALU_DEP_2)
	v_pk_add_f32 v[28:29], v[28:29], v[80:81] neg_lo:[0,1] neg_hi:[0,1]
	v_pk_fma_f32 v[78:79], v[76:77], v[64:65], v[74:75] op_sel:[0,0,1] op_sel_hi:[1,1,0] neg_lo:[0,0,1] neg_hi:[0,0,1]
	v_pk_fma_f32 v[74:75], v[76:77], v[64:65], v[74:75] op_sel:[0,0,1] op_sel_hi:[1,0,0]
	s_delay_alu instid0(VALU_DEP_1) | instskip(SKIP_4) | instid1(VALU_DEP_1)
	v_mov_b32_e32 v79, v75
	ds_load_2addr_b64 v[74:77], v68 offset0:16 offset1:17
	v_pk_add_f32 v[24:25], v[24:25], v[78:79] neg_lo:[0,1] neg_hi:[0,1]
	s_wait_dscnt 0x0
	v_pk_mul_f32 v[78:79], v[74:75], v[66:67] op_sel:[0,1]
	v_pk_fma_f32 v[80:81], v[74:75], v[64:65], v[78:79] op_sel:[0,0,1] op_sel_hi:[1,1,0] neg_lo:[0,0,1] neg_hi:[0,0,1]
	v_pk_fma_f32 v[74:75], v[74:75], v[64:65], v[78:79] op_sel:[0,0,1] op_sel_hi:[1,0,0]
	v_dual_mul_f32 v78, v77, v67 :: v_dual_mov_b32 v74, v77
	s_delay_alu instid0(VALU_DEP_2) | instskip(NEXT) | instid1(VALU_DEP_2)
	v_dual_mov_b32 v81, v75 :: v_dual_mov_b32 v75, v76
	v_pk_fma_f32 v[78:79], v[76:77], v[54:55], v[78:79] op_sel_hi:[1,1,0] neg_lo:[0,0,1] neg_hi:[0,0,1]
	v_mul_f32_e32 v76, v77, v64
	s_delay_alu instid0(VALU_DEP_3) | instskip(NEXT) | instid1(VALU_DEP_2)
	v_pk_add_f32 v[50:51], v[50:51], v[80:81] neg_lo:[0,1] neg_hi:[0,1]
	v_pk_fma_f32 v[74:75], v[74:75], v[54:55], v[76:77] op_sel_hi:[1,1,0]
	s_delay_alu instid0(VALU_DEP_1) | instskip(SKIP_4) | instid1(VALU_DEP_1)
	v_mov_b32_e32 v79, v75
	ds_load_2addr_b64 v[74:77], v68 offset0:18 offset1:19
	v_pk_add_f32 v[46:47], v[46:47], v[78:79] neg_lo:[0,1] neg_hi:[0,1]
	s_wait_dscnt 0x0
	v_pk_mul_f32 v[78:79], v[74:75], v[66:67] op_sel:[0,1]
	v_pk_fma_f32 v[80:81], v[74:75], v[64:65], v[78:79] op_sel:[0,0,1] op_sel_hi:[1,1,0] neg_lo:[0,0,1] neg_hi:[0,0,1]
	v_pk_fma_f32 v[74:75], v[74:75], v[64:65], v[78:79] op_sel:[0,0,1] op_sel_hi:[1,0,0]
	s_delay_alu instid0(VALU_DEP_1) | instskip(SKIP_1) | instid1(VALU_DEP_1)
	v_mov_b32_e32 v81, v75
	v_pk_mul_f32 v[74:75], v[76:77], v[66:67] op_sel:[0,1]
	v_pk_fma_f32 v[78:79], v[76:77], v[64:65], v[74:75] op_sel:[0,0,1] op_sel_hi:[1,1,0] neg_lo:[0,0,1] neg_hi:[0,0,1]
	v_pk_fma_f32 v[74:75], v[76:77], v[64:65], v[74:75] op_sel:[0,0,1] op_sel_hi:[1,0,0]
	s_delay_alu instid0(VALU_DEP_1)
	v_mov_b32_e32 v79, v75
	ds_load_2addr_b64 v[74:77], v68 offset0:20 offset1:21
	v_pk_add_f32 v[48:49], v[48:49], v[80:81] neg_lo:[0,1] neg_hi:[0,1]
	v_pk_add_f32 v[44:45], v[44:45], v[78:79] neg_lo:[0,1] neg_hi:[0,1]
	s_wait_dscnt 0x0
	v_pk_mul_f32 v[78:79], v[74:75], v[66:67] op_sel:[0,1]
	s_delay_alu instid0(VALU_DEP_1) | instskip(SKIP_1) | instid1(VALU_DEP_1)
	v_pk_fma_f32 v[80:81], v[74:75], v[64:65], v[78:79] op_sel:[0,0,1] op_sel_hi:[1,1,0] neg_lo:[0,0,1] neg_hi:[0,0,1]
	v_pk_fma_f32 v[74:75], v[74:75], v[64:65], v[78:79] op_sel:[0,0,1] op_sel_hi:[1,0,0]
	v_mov_b32_e32 v81, v75
	v_pk_mul_f32 v[74:75], v[76:77], v[66:67] op_sel:[0,1]
	s_delay_alu instid0(VALU_DEP_1) | instskip(SKIP_1) | instid1(VALU_DEP_1)
	v_pk_fma_f32 v[78:79], v[76:77], v[64:65], v[74:75] op_sel:[0,0,1] op_sel_hi:[1,1,0] neg_lo:[0,0,1] neg_hi:[0,0,1]
	v_pk_fma_f32 v[74:75], v[76:77], v[64:65], v[74:75] op_sel:[0,0,1] op_sel_hi:[1,0,0]
	v_mov_b32_e32 v79, v75
	ds_load_2addr_b64 v[74:77], v68 offset0:22 offset1:23
	v_pk_add_f32 v[38:39], v[38:39], v[80:81] neg_lo:[0,1] neg_hi:[0,1]
	v_pk_add_f32 v[34:35], v[34:35], v[78:79] neg_lo:[0,1] neg_hi:[0,1]
	s_wait_dscnt 0x0
	v_dual_mul_f32 v78, v75, v67 :: v_dual_mul_f32 v80, v75, v64
	s_delay_alu instid0(VALU_DEP_1) | instskip(NEXT) | instid1(VALU_DEP_2)
	v_pk_fma_f32 v[78:79], v[74:75], v[54:55], v[78:79] op_sel_hi:[1,1,0] neg_lo:[0,0,1] neg_hi:[0,0,1]
	v_pk_fma_f32 v[74:75], v[74:75], v[54:55], v[80:81] op_sel:[1,0,0] op_sel_hi:[0,1,0]
	s_delay_alu instid0(VALU_DEP_1) | instskip(SKIP_1) | instid1(VALU_DEP_2)
	v_mov_b32_e32 v79, v75
	v_pk_mul_f32 v[74:75], v[76:77], v[66:67] op_sel:[0,1]
	v_pk_add_f32 v[36:37], v[36:37], v[78:79] neg_lo:[0,1] neg_hi:[0,1]
	s_delay_alu instid0(VALU_DEP_2) | instskip(SKIP_1) | instid1(VALU_DEP_1)
	v_pk_fma_f32 v[78:79], v[76:77], v[64:65], v[74:75] op_sel:[0,0,1] op_sel_hi:[1,1,0] neg_lo:[0,0,1] neg_hi:[0,0,1]
	v_pk_fma_f32 v[74:75], v[76:77], v[64:65], v[74:75] op_sel:[0,0,1] op_sel_hi:[1,0,0]
	v_mov_b32_e32 v79, v75
	ds_load_2addr_b64 v[74:77], v68 offset0:24 offset1:25
	v_pk_add_f32 v[32:33], v[32:33], v[78:79] neg_lo:[0,1] neg_hi:[0,1]
	s_wait_dscnt 0x0
	v_pk_mul_f32 v[78:79], v[74:75], v[66:67] op_sel:[0,1]
	s_delay_alu instid0(VALU_DEP_1) | instskip(SKIP_1) | instid1(VALU_DEP_1)
	v_pk_fma_f32 v[80:81], v[74:75], v[64:65], v[78:79] op_sel:[0,0,1] op_sel_hi:[1,1,0] neg_lo:[0,0,1] neg_hi:[0,0,1]
	v_pk_fma_f32 v[74:75], v[74:75], v[64:65], v[78:79] op_sel:[0,0,1] op_sel_hi:[1,0,0]
	v_mov_b32_e32 v81, v75
	v_pk_mul_f32 v[74:75], v[76:77], v[66:67] op_sel:[0,1]
	s_delay_alu instid0(VALU_DEP_2) | instskip(NEXT) | instid1(VALU_DEP_2)
	v_pk_add_f32 v[6:7], v[6:7], v[80:81] neg_lo:[0,1] neg_hi:[0,1]
	v_pk_fma_f32 v[78:79], v[76:77], v[64:65], v[74:75] op_sel:[0,0,1] op_sel_hi:[1,1,0] neg_lo:[0,0,1] neg_hi:[0,0,1]
	v_pk_fma_f32 v[74:75], v[76:77], v[64:65], v[74:75] op_sel:[0,0,1] op_sel_hi:[1,0,0]
	s_delay_alu instid0(VALU_DEP_1) | instskip(SKIP_4) | instid1(VALU_DEP_1)
	v_mov_b32_e32 v79, v75
	ds_load_2addr_b64 v[74:77], v68 offset0:26 offset1:27
	v_pk_add_f32 v[52:53], v[52:53], v[78:79] neg_lo:[0,1] neg_hi:[0,1]
	s_wait_dscnt 0x0
	v_pk_mul_f32 v[78:79], v[74:75], v[66:67] op_sel:[0,1]
	v_pk_fma_f32 v[80:81], v[74:75], v[64:65], v[78:79] op_sel:[0,0,1] op_sel_hi:[1,1,0] neg_lo:[0,0,1] neg_hi:[0,0,1]
	v_pk_fma_f32 v[74:75], v[74:75], v[64:65], v[78:79] op_sel:[0,0,1] op_sel_hi:[1,0,0]
	v_dual_mul_f32 v78, v77, v67 :: v_dual_mov_b32 v74, v77
	s_delay_alu instid0(VALU_DEP_2) | instskip(NEXT) | instid1(VALU_DEP_2)
	v_dual_mov_b32 v81, v75 :: v_dual_mov_b32 v75, v76
	v_pk_fma_f32 v[78:79], v[76:77], v[54:55], v[78:79] op_sel_hi:[1,1,0] neg_lo:[0,0,1] neg_hi:[0,0,1]
	v_mul_f32_e32 v76, v77, v64
	s_delay_alu instid0(VALU_DEP_3) | instskip(NEXT) | instid1(VALU_DEP_2)
	v_pk_add_f32 v[42:43], v[42:43], v[80:81] neg_lo:[0,1] neg_hi:[0,1]
	v_pk_fma_f32 v[74:75], v[74:75], v[54:55], v[76:77] op_sel_hi:[1,1,0]
	s_delay_alu instid0(VALU_DEP_1) | instskip(SKIP_4) | instid1(VALU_DEP_1)
	v_mov_b32_e32 v79, v75
	ds_load_b64 v[74:75], v68 offset:224
	v_pk_add_f32 v[40:41], v[40:41], v[78:79] neg_lo:[0,1] neg_hi:[0,1]
	s_wait_dscnt 0x0
	v_pk_mul_f32 v[66:67], v[74:75], v[66:67] op_sel:[0,1]
	v_pk_fma_f32 v[76:77], v[74:75], v[64:65], v[66:67] op_sel:[0,0,1] op_sel_hi:[1,1,0] neg_lo:[0,0,1] neg_hi:[0,0,1]
	v_pk_fma_f32 v[64:65], v[74:75], v[64:65], v[66:67] op_sel:[0,0,1] op_sel_hi:[1,0,0]
	s_delay_alu instid0(VALU_DEP_1) | instskip(NEXT) | instid1(VALU_DEP_1)
	v_mov_b32_e32 v77, v65
	v_pk_add_f32 v[62:63], v[62:63], v[76:77] neg_lo:[0,1] neg_hi:[0,1]
.LBB56_83:
	s_or_b32 exec_lo, exec_lo, s0
	v_lshl_add_u32 v64, v72, 3, v68
	s_barrier_signal -1
	s_barrier_wait -1
	ds_store_b64 v64, v[14:15]
	s_wait_dscnt 0x0
	s_barrier_signal -1
	s_barrier_wait -1
	ds_load_b64 v[66:67], v68 offset:32
	v_mov_b32_e32 v64, 4
	s_cmp_lt_i32 s18, 6
	s_cbranch_scc1 .LBB56_86
; %bb.84:
	v_add3_u32 v65, v69, 0, 40
	v_mov_b32_e32 v64, 4
	s_mov_b32 s0, 5
.LBB56_85:                              ; =>This Inner Loop Header: Depth=1
	ds_load_b64 v[74:75], v65
	s_wait_dscnt 0x1
	v_cmp_gt_f32_e32 vcc_lo, 0, v66
	v_cndmask_b32_e64 v76, v66, -v66, vcc_lo
	v_cmp_gt_f32_e32 vcc_lo, 0, v67
	v_cndmask_b32_e64 v78, v67, -v67, vcc_lo
	s_wait_dscnt 0x0
	v_cmp_gt_f32_e32 vcc_lo, 0, v74
	v_cndmask_b32_e64 v77, v74, -v74, vcc_lo
	v_cmp_gt_f32_e32 vcc_lo, 0, v75
	v_cndmask_b32_e64 v79, v75, -v75, vcc_lo
	s_delay_alu instid0(VALU_DEP_1) | instskip(NEXT) | instid1(VALU_DEP_1)
	v_pk_add_f32 v[76:77], v[76:77], v[78:79]
	v_cmp_lt_f32_e32 vcc_lo, v76, v77
	v_dual_add_nc_u32 v65, 8, v65 :: v_dual_cndmask_b32 v67, v67, v75, vcc_lo
	v_cndmask_b32_e32 v66, v66, v74, vcc_lo
	v_cndmask_b32_e64 v64, v64, s0, vcc_lo
	s_add_co_i32 s0, s0, 1
	s_delay_alu instid0(SALU_CYCLE_1)
	s_cmp_lg_u32 s18, s0
	s_cbranch_scc1 .LBB56_85
.LBB56_86:
	s_wait_dscnt 0x0
	v_cmp_eq_f32_e32 vcc_lo, 0, v66
	v_cmp_eq_f32_e64 s0, 0, v67
	s_and_b32 s0, vcc_lo, s0
	s_delay_alu instid0(SALU_CYCLE_1) | instskip(NEXT) | instid1(SALU_CYCLE_1)
	s_and_saveexec_b32 s1, s0
	s_xor_b32 s0, exec_lo, s1
; %bb.87:
	v_cmp_ne_u32_e32 vcc_lo, 0, v70
	v_cndmask_b32_e32 v70, 5, v70, vcc_lo
; %bb.88:
	s_and_not1_saveexec_b32 s0, s0
	s_cbranch_execz .LBB56_94
; %bb.89:
	v_cmp_ngt_f32_e64 s1, |v66|, |v67|
	s_and_saveexec_b32 s12, s1
	s_delay_alu instid0(SALU_CYCLE_1)
	s_xor_b32 s1, exec_lo, s12
	s_cbranch_execz .LBB56_91
; %bb.90:
	v_div_scale_f32 v65, null, v67, v67, v66
	v_div_scale_f32 v75, vcc_lo, v66, v67, v66
	s_delay_alu instid0(VALU_DEP_2) | instskip(SKIP_1) | instid1(TRANS32_DEP_1)
	v_rcp_f32_e32 v73, v65
	v_nop
	v_fma_f32 v74, -v65, v73, 1.0
	s_delay_alu instid0(VALU_DEP_1) | instskip(NEXT) | instid1(VALU_DEP_1)
	v_fmac_f32_e32 v73, v74, v73
	v_mul_f32_e32 v74, v75, v73
	s_delay_alu instid0(VALU_DEP_1) | instskip(NEXT) | instid1(VALU_DEP_1)
	v_fma_f32 v76, -v65, v74, v75
	v_fmac_f32_e32 v74, v76, v73
	s_delay_alu instid0(VALU_DEP_1) | instskip(NEXT) | instid1(VALU_DEP_1)
	v_fma_f32 v65, -v65, v74, v75
	v_div_fmas_f32 v65, v65, v73, v74
	s_delay_alu instid0(VALU_DEP_1) | instskip(NEXT) | instid1(VALU_DEP_1)
	v_div_fixup_f32 v65, v65, v67, v66
	v_fmac_f32_e32 v67, v66, v65
	s_delay_alu instid0(VALU_DEP_1) | instskip(SKIP_1) | instid1(VALU_DEP_2)
	v_div_scale_f32 v66, null, v67, v67, 1.0
	v_div_scale_f32 v75, vcc_lo, 1.0, v67, 1.0
	v_rcp_f32_e32 v73, v66
	v_nop
	s_delay_alu instid0(TRANS32_DEP_1) | instskip(NEXT) | instid1(VALU_DEP_1)
	v_fma_f32 v74, -v66, v73, 1.0
	v_fmac_f32_e32 v73, v74, v73
	s_delay_alu instid0(VALU_DEP_1) | instskip(NEXT) | instid1(VALU_DEP_1)
	v_mul_f32_e32 v74, v75, v73
	v_fma_f32 v76, -v66, v74, v75
	s_delay_alu instid0(VALU_DEP_1) | instskip(NEXT) | instid1(VALU_DEP_1)
	v_fmac_f32_e32 v74, v76, v73
	v_fma_f32 v66, -v66, v74, v75
	s_delay_alu instid0(VALU_DEP_1) | instskip(NEXT) | instid1(VALU_DEP_1)
	v_div_fmas_f32 v66, v66, v73, v74
	v_div_fixup_f32 v67, v66, v67, 1.0
	s_delay_alu instid0(VALU_DEP_1)
	v_mul_f32_e32 v66, v65, v67
	v_xor_b32_e32 v67, 0x80000000, v67
.LBB56_91:
	s_and_not1_saveexec_b32 s1, s1
	s_cbranch_execz .LBB56_93
; %bb.92:
	s_delay_alu instid0(VALU_DEP_1) | instskip(SKIP_1) | instid1(VALU_DEP_2)
	v_div_scale_f32 v65, null, v66, v66, v67
	v_div_scale_f32 v75, vcc_lo, v67, v66, v67
	v_rcp_f32_e32 v73, v65
	v_nop
	s_delay_alu instid0(TRANS32_DEP_1) | instskip(NEXT) | instid1(VALU_DEP_1)
	v_fma_f32 v74, -v65, v73, 1.0
	v_fmac_f32_e32 v73, v74, v73
	s_delay_alu instid0(VALU_DEP_1) | instskip(NEXT) | instid1(VALU_DEP_1)
	v_mul_f32_e32 v74, v75, v73
	v_fma_f32 v76, -v65, v74, v75
	s_delay_alu instid0(VALU_DEP_1) | instskip(NEXT) | instid1(VALU_DEP_1)
	v_fmac_f32_e32 v74, v76, v73
	v_fma_f32 v65, -v65, v74, v75
	s_delay_alu instid0(VALU_DEP_1) | instskip(NEXT) | instid1(VALU_DEP_1)
	v_div_fmas_f32 v65, v65, v73, v74
	v_div_fixup_f32 v65, v65, v66, v67
	s_delay_alu instid0(VALU_DEP_1) | instskip(NEXT) | instid1(VALU_DEP_1)
	v_fmac_f32_e32 v66, v67, v65
	v_div_scale_f32 v67, null, v66, v66, 1.0
	s_delay_alu instid0(VALU_DEP_1) | instskip(SKIP_1) | instid1(TRANS32_DEP_1)
	v_rcp_f32_e32 v73, v67
	v_nop
	v_fma_f32 v74, -v67, v73, 1.0
	s_delay_alu instid0(VALU_DEP_1) | instskip(SKIP_1) | instid1(VALU_DEP_1)
	v_fmac_f32_e32 v73, v74, v73
	v_div_scale_f32 v74, vcc_lo, 1.0, v66, 1.0
	v_mul_f32_e32 v75, v74, v73
	s_delay_alu instid0(VALU_DEP_1) | instskip(NEXT) | instid1(VALU_DEP_1)
	v_fma_f32 v76, -v67, v75, v74
	v_fmac_f32_e32 v75, v76, v73
	s_delay_alu instid0(VALU_DEP_1) | instskip(NEXT) | instid1(VALU_DEP_1)
	v_fma_f32 v67, -v67, v75, v74
	v_div_fmas_f32 v67, v67, v73, v75
	s_delay_alu instid0(VALU_DEP_1) | instskip(NEXT) | instid1(VALU_DEP_1)
	v_div_fixup_f32 v66, v67, v66, 1.0
	v_mul_f32_e64 v67, v65, -v66
.LBB56_93:
	s_or_b32 exec_lo, exec_lo, s1
.LBB56_94:
	s_delay_alu instid0(SALU_CYCLE_1) | instskip(NEXT) | instid1(SALU_CYCLE_1)
	s_or_b32 exec_lo, exec_lo, s0
	s_mov_b32 s0, exec_lo
	v_cmpx_ne_u32_e64 v72, v64
	s_xor_b32 s0, exec_lo, s0
	s_cbranch_execz .LBB56_100
; %bb.95:
	s_mov_b32 s1, exec_lo
	v_cmpx_eq_u32_e32 4, v72
	s_cbranch_execz .LBB56_99
; %bb.96:
	v_cmp_ne_u32_e32 vcc_lo, 4, v64
	s_xor_b32 s12, s16, -1
	s_delay_alu instid0(SALU_CYCLE_1) | instskip(NEXT) | instid1(SALU_CYCLE_1)
	s_and_b32 s13, s12, vcc_lo
	s_and_saveexec_b32 s12, s13
	s_cbranch_execz .LBB56_98
; %bb.97:
	v_ashrrev_i32_e32 v65, 31, v64
	s_delay_alu instid0(VALU_DEP_1)
	v_lshl_add_u64 v[72:73], v[64:65], 2, v[4:5]
	s_clause 0x1
	global_load_b32 v65, v[72:73], off
	global_load_b32 v71, v[4:5], off offset:16
	s_wait_loadcnt 0x1
	global_store_b32 v[4:5], v65, off offset:16
	s_wait_loadcnt 0x0
	global_store_b32 v[72:73], v71, off
.LBB56_98:
	s_wait_xcnt 0x0
	s_or_b32 exec_lo, exec_lo, s12
	v_dual_mov_b32 v72, v64 :: v_dual_mov_b32 v71, v64
.LBB56_99:
	s_or_b32 exec_lo, exec_lo, s1
.LBB56_100:
	s_and_not1_saveexec_b32 s0, s0
	s_cbranch_execz .LBB56_102
; %bb.101:
	v_mov_b32_e32 v72, 4
	ds_store_2addr_b64 v68, v[10:11], v[12:13] offset0:5 offset1:6
	ds_store_2addr_b64 v68, v[8:9], v[22:23] offset0:7 offset1:8
	ds_store_2addr_b64 v68, v[18:19], v[20:21] offset0:9 offset1:10
	ds_store_2addr_b64 v68, v[16:17], v[30:31] offset0:11 offset1:12
	ds_store_2addr_b64 v68, v[26:27], v[28:29] offset0:13 offset1:14
	ds_store_2addr_b64 v68, v[24:25], v[50:51] offset0:15 offset1:16
	ds_store_2addr_b64 v68, v[46:47], v[48:49] offset0:17 offset1:18
	ds_store_2addr_b64 v68, v[44:45], v[38:39] offset0:19 offset1:20
	ds_store_2addr_b64 v68, v[34:35], v[36:37] offset0:21 offset1:22
	ds_store_2addr_b64 v68, v[32:33], v[6:7] offset0:23 offset1:24
	ds_store_2addr_b64 v68, v[52:53], v[42:43] offset0:25 offset1:26
	ds_store_2addr_b64 v68, v[40:41], v[62:63] offset0:27 offset1:28
.LBB56_102:
	s_or_b32 exec_lo, exec_lo, s0
	s_delay_alu instid0(SALU_CYCLE_1)
	s_mov_b32 s0, exec_lo
	s_wait_storecnt_dscnt 0x0
	s_barrier_signal -1
	s_barrier_wait -1
	v_cmpx_lt_i32_e32 4, v72
	s_cbranch_execz .LBB56_104
; %bb.103:
	v_pk_mul_f32 v[74:75], v[66:67], v[14:15] op_sel:[1,1] op_sel_hi:[0,1]
	s_delay_alu instid0(VALU_DEP_1)
	v_pk_fma_f32 v[64:65], v[66:67], v[14:15], v[74:75] op_sel_hi:[1,0,1] neg_lo:[0,0,1] neg_hi:[0,0,1]
	v_pk_fma_f32 v[66:67], v[66:67], v[14:15], v[74:75] op_sel_hi:[1,0,1]
	ds_load_2addr_b64 v[74:77], v68 offset0:5 offset1:6
	v_dual_mov_b32 v14, v64 :: v_dual_mov_b32 v15, v67
	s_wait_dscnt 0x0
	v_pk_mul_f32 v[78:79], v[74:75], v[66:67] op_sel:[0,1]
	s_delay_alu instid0(VALU_DEP_1) | instskip(SKIP_1) | instid1(VALU_DEP_1)
	v_pk_fma_f32 v[80:81], v[74:75], v[64:65], v[78:79] op_sel:[0,0,1] op_sel_hi:[1,1,0] neg_lo:[0,0,1] neg_hi:[0,0,1]
	v_pk_fma_f32 v[74:75], v[74:75], v[64:65], v[78:79] op_sel:[0,0,1] op_sel_hi:[1,0,0]
	v_mov_b32_e32 v81, v75
	v_pk_mul_f32 v[74:75], v[76:77], v[66:67] op_sel:[0,1]
	s_delay_alu instid0(VALU_DEP_1) | instskip(SKIP_1) | instid1(VALU_DEP_1)
	v_pk_fma_f32 v[78:79], v[76:77], v[64:65], v[74:75] op_sel:[0,0,1] op_sel_hi:[1,1,0] neg_lo:[0,0,1] neg_hi:[0,0,1]
	v_pk_fma_f32 v[74:75], v[76:77], v[64:65], v[74:75] op_sel:[0,0,1] op_sel_hi:[1,0,0]
	v_mov_b32_e32 v79, v75
	ds_load_2addr_b64 v[74:77], v68 offset0:7 offset1:8
	v_pk_add_f32 v[10:11], v[10:11], v[80:81] neg_lo:[0,1] neg_hi:[0,1]
	v_pk_add_f32 v[12:13], v[12:13], v[78:79] neg_lo:[0,1] neg_hi:[0,1]
	s_wait_dscnt 0x0
	v_pk_mul_f32 v[78:79], v[74:75], v[66:67] op_sel:[0,1]
	s_delay_alu instid0(VALU_DEP_1) | instskip(SKIP_2) | instid1(VALU_DEP_2)
	v_pk_fma_f32 v[80:81], v[74:75], v[64:65], v[78:79] op_sel:[0,0,1] op_sel_hi:[1,1,0] neg_lo:[0,0,1] neg_hi:[0,0,1]
	v_pk_fma_f32 v[74:75], v[74:75], v[64:65], v[78:79] op_sel:[0,0,1] op_sel_hi:[1,0,0]
	v_dual_mul_f32 v78, v77, v67 :: v_dual_mov_b32 v74, v77
	v_dual_mov_b32 v81, v75 :: v_dual_mov_b32 v75, v76
	s_delay_alu instid0(VALU_DEP_2) | instskip(SKIP_1) | instid1(VALU_DEP_3)
	v_pk_fma_f32 v[78:79], v[76:77], v[14:15], v[78:79] op_sel_hi:[1,1,0] neg_lo:[0,0,1] neg_hi:[0,0,1]
	v_mul_f32_e32 v76, v77, v64
	v_pk_add_f32 v[8:9], v[8:9], v[80:81] neg_lo:[0,1] neg_hi:[0,1]
	s_delay_alu instid0(VALU_DEP_2) | instskip(NEXT) | instid1(VALU_DEP_1)
	v_pk_fma_f32 v[74:75], v[74:75], v[14:15], v[76:77] op_sel_hi:[1,1,0]
	v_mov_b32_e32 v79, v75
	ds_load_2addr_b64 v[74:77], v68 offset0:9 offset1:10
	v_pk_add_f32 v[22:23], v[22:23], v[78:79] neg_lo:[0,1] neg_hi:[0,1]
	s_wait_dscnt 0x0
	v_pk_mul_f32 v[78:79], v[74:75], v[66:67] op_sel:[0,1]
	s_delay_alu instid0(VALU_DEP_1) | instskip(SKIP_1) | instid1(VALU_DEP_1)
	v_pk_fma_f32 v[80:81], v[74:75], v[64:65], v[78:79] op_sel:[0,0,1] op_sel_hi:[1,1,0] neg_lo:[0,0,1] neg_hi:[0,0,1]
	v_pk_fma_f32 v[74:75], v[74:75], v[64:65], v[78:79] op_sel:[0,0,1] op_sel_hi:[1,0,0]
	v_mov_b32_e32 v81, v75
	v_pk_mul_f32 v[74:75], v[76:77], v[66:67] op_sel:[0,1]
	s_delay_alu instid0(VALU_DEP_1) | instskip(SKIP_1) | instid1(VALU_DEP_1)
	v_pk_fma_f32 v[78:79], v[76:77], v[64:65], v[74:75] op_sel:[0,0,1] op_sel_hi:[1,1,0] neg_lo:[0,0,1] neg_hi:[0,0,1]
	v_pk_fma_f32 v[74:75], v[76:77], v[64:65], v[74:75] op_sel:[0,0,1] op_sel_hi:[1,0,0]
	v_mov_b32_e32 v79, v75
	ds_load_2addr_b64 v[74:77], v68 offset0:11 offset1:12
	v_pk_add_f32 v[18:19], v[18:19], v[80:81] neg_lo:[0,1] neg_hi:[0,1]
	v_pk_add_f32 v[20:21], v[20:21], v[78:79] neg_lo:[0,1] neg_hi:[0,1]
	s_wait_dscnt 0x0
	v_pk_mul_f32 v[78:79], v[74:75], v[66:67] op_sel:[0,1]
	s_delay_alu instid0(VALU_DEP_1) | instskip(SKIP_1) | instid1(VALU_DEP_1)
	v_pk_fma_f32 v[80:81], v[74:75], v[64:65], v[78:79] op_sel:[0,0,1] op_sel_hi:[1,1,0] neg_lo:[0,0,1] neg_hi:[0,0,1]
	v_pk_fma_f32 v[74:75], v[74:75], v[64:65], v[78:79] op_sel:[0,0,1] op_sel_hi:[1,0,0]
	v_mov_b32_e32 v81, v75
	v_pk_mul_f32 v[74:75], v[76:77], v[66:67] op_sel:[0,1]
	s_delay_alu instid0(VALU_DEP_1) | instskip(SKIP_1) | instid1(VALU_DEP_1)
	v_pk_fma_f32 v[78:79], v[76:77], v[64:65], v[74:75] op_sel:[0,0,1] op_sel_hi:[1,1,0] neg_lo:[0,0,1] neg_hi:[0,0,1]
	v_pk_fma_f32 v[74:75], v[76:77], v[64:65], v[74:75] op_sel:[0,0,1] op_sel_hi:[1,0,0]
	v_mov_b32_e32 v79, v75
	ds_load_2addr_b64 v[74:77], v68 offset0:13 offset1:14
	v_pk_add_f32 v[16:17], v[16:17], v[80:81] neg_lo:[0,1] neg_hi:[0,1]
	v_pk_add_f32 v[30:31], v[30:31], v[78:79] neg_lo:[0,1] neg_hi:[0,1]
	s_wait_dscnt 0x0
	v_dual_mul_f32 v78, v75, v67 :: v_dual_mul_f32 v80, v75, v64
	s_delay_alu instid0(VALU_DEP_1) | instskip(NEXT) | instid1(VALU_DEP_2)
	v_pk_fma_f32 v[78:79], v[74:75], v[14:15], v[78:79] op_sel_hi:[1,1,0] neg_lo:[0,0,1] neg_hi:[0,0,1]
	v_pk_fma_f32 v[74:75], v[74:75], v[14:15], v[80:81] op_sel:[1,0,0] op_sel_hi:[0,1,0]
	s_delay_alu instid0(VALU_DEP_1) | instskip(SKIP_1) | instid1(VALU_DEP_2)
	v_mov_b32_e32 v79, v75
	v_pk_mul_f32 v[74:75], v[76:77], v[66:67] op_sel:[0,1]
	v_pk_add_f32 v[26:27], v[26:27], v[78:79] neg_lo:[0,1] neg_hi:[0,1]
	s_delay_alu instid0(VALU_DEP_2) | instskip(SKIP_1) | instid1(VALU_DEP_1)
	v_pk_fma_f32 v[78:79], v[76:77], v[64:65], v[74:75] op_sel:[0,0,1] op_sel_hi:[1,1,0] neg_lo:[0,0,1] neg_hi:[0,0,1]
	v_pk_fma_f32 v[74:75], v[76:77], v[64:65], v[74:75] op_sel:[0,0,1] op_sel_hi:[1,0,0]
	v_mov_b32_e32 v79, v75
	ds_load_2addr_b64 v[74:77], v68 offset0:15 offset1:16
	v_pk_add_f32 v[28:29], v[28:29], v[78:79] neg_lo:[0,1] neg_hi:[0,1]
	s_wait_dscnt 0x0
	v_pk_mul_f32 v[78:79], v[74:75], v[66:67] op_sel:[0,1]
	s_delay_alu instid0(VALU_DEP_1) | instskip(SKIP_1) | instid1(VALU_DEP_1)
	v_pk_fma_f32 v[80:81], v[74:75], v[64:65], v[78:79] op_sel:[0,0,1] op_sel_hi:[1,1,0] neg_lo:[0,0,1] neg_hi:[0,0,1]
	v_pk_fma_f32 v[74:75], v[74:75], v[64:65], v[78:79] op_sel:[0,0,1] op_sel_hi:[1,0,0]
	v_mov_b32_e32 v81, v75
	v_pk_mul_f32 v[74:75], v[76:77], v[66:67] op_sel:[0,1]
	s_delay_alu instid0(VALU_DEP_2) | instskip(NEXT) | instid1(VALU_DEP_2)
	v_pk_add_f32 v[24:25], v[24:25], v[80:81] neg_lo:[0,1] neg_hi:[0,1]
	v_pk_fma_f32 v[78:79], v[76:77], v[64:65], v[74:75] op_sel:[0,0,1] op_sel_hi:[1,1,0] neg_lo:[0,0,1] neg_hi:[0,0,1]
	v_pk_fma_f32 v[74:75], v[76:77], v[64:65], v[74:75] op_sel:[0,0,1] op_sel_hi:[1,0,0]
	s_delay_alu instid0(VALU_DEP_1) | instskip(SKIP_4) | instid1(VALU_DEP_1)
	v_mov_b32_e32 v79, v75
	ds_load_2addr_b64 v[74:77], v68 offset0:17 offset1:18
	v_pk_add_f32 v[50:51], v[50:51], v[78:79] neg_lo:[0,1] neg_hi:[0,1]
	s_wait_dscnt 0x0
	v_pk_mul_f32 v[78:79], v[74:75], v[66:67] op_sel:[0,1]
	v_pk_fma_f32 v[80:81], v[74:75], v[64:65], v[78:79] op_sel:[0,0,1] op_sel_hi:[1,1,0] neg_lo:[0,0,1] neg_hi:[0,0,1]
	v_pk_fma_f32 v[74:75], v[74:75], v[64:65], v[78:79] op_sel:[0,0,1] op_sel_hi:[1,0,0]
	v_dual_mul_f32 v78, v77, v67 :: v_dual_mov_b32 v74, v77
	s_delay_alu instid0(VALU_DEP_2) | instskip(NEXT) | instid1(VALU_DEP_2)
	v_dual_mov_b32 v81, v75 :: v_dual_mov_b32 v75, v76
	v_pk_fma_f32 v[78:79], v[76:77], v[14:15], v[78:79] op_sel_hi:[1,1,0] neg_lo:[0,0,1] neg_hi:[0,0,1]
	v_mul_f32_e32 v76, v77, v64
	s_delay_alu instid0(VALU_DEP_3) | instskip(NEXT) | instid1(VALU_DEP_2)
	v_pk_add_f32 v[46:47], v[46:47], v[80:81] neg_lo:[0,1] neg_hi:[0,1]
	v_pk_fma_f32 v[74:75], v[74:75], v[14:15], v[76:77] op_sel_hi:[1,1,0]
	s_delay_alu instid0(VALU_DEP_1) | instskip(SKIP_4) | instid1(VALU_DEP_1)
	v_mov_b32_e32 v79, v75
	ds_load_2addr_b64 v[74:77], v68 offset0:19 offset1:20
	v_pk_add_f32 v[48:49], v[48:49], v[78:79] neg_lo:[0,1] neg_hi:[0,1]
	s_wait_dscnt 0x0
	v_pk_mul_f32 v[78:79], v[74:75], v[66:67] op_sel:[0,1]
	v_pk_fma_f32 v[80:81], v[74:75], v[64:65], v[78:79] op_sel:[0,0,1] op_sel_hi:[1,1,0] neg_lo:[0,0,1] neg_hi:[0,0,1]
	v_pk_fma_f32 v[74:75], v[74:75], v[64:65], v[78:79] op_sel:[0,0,1] op_sel_hi:[1,0,0]
	s_delay_alu instid0(VALU_DEP_1) | instskip(SKIP_1) | instid1(VALU_DEP_1)
	v_mov_b32_e32 v81, v75
	v_pk_mul_f32 v[74:75], v[76:77], v[66:67] op_sel:[0,1]
	v_pk_fma_f32 v[78:79], v[76:77], v[64:65], v[74:75] op_sel:[0,0,1] op_sel_hi:[1,1,0] neg_lo:[0,0,1] neg_hi:[0,0,1]
	v_pk_fma_f32 v[74:75], v[76:77], v[64:65], v[74:75] op_sel:[0,0,1] op_sel_hi:[1,0,0]
	s_delay_alu instid0(VALU_DEP_1)
	v_mov_b32_e32 v79, v75
	ds_load_2addr_b64 v[74:77], v68 offset0:21 offset1:22
	v_pk_add_f32 v[44:45], v[44:45], v[80:81] neg_lo:[0,1] neg_hi:[0,1]
	v_pk_add_f32 v[38:39], v[38:39], v[78:79] neg_lo:[0,1] neg_hi:[0,1]
	s_wait_dscnt 0x0
	v_pk_mul_f32 v[78:79], v[74:75], v[66:67] op_sel:[0,1]
	s_delay_alu instid0(VALU_DEP_1) | instskip(SKIP_1) | instid1(VALU_DEP_1)
	v_pk_fma_f32 v[80:81], v[74:75], v[64:65], v[78:79] op_sel:[0,0,1] op_sel_hi:[1,1,0] neg_lo:[0,0,1] neg_hi:[0,0,1]
	v_pk_fma_f32 v[74:75], v[74:75], v[64:65], v[78:79] op_sel:[0,0,1] op_sel_hi:[1,0,0]
	v_mov_b32_e32 v81, v75
	v_pk_mul_f32 v[74:75], v[76:77], v[66:67] op_sel:[0,1]
	s_delay_alu instid0(VALU_DEP_1) | instskip(SKIP_1) | instid1(VALU_DEP_1)
	v_pk_fma_f32 v[78:79], v[76:77], v[64:65], v[74:75] op_sel:[0,0,1] op_sel_hi:[1,1,0] neg_lo:[0,0,1] neg_hi:[0,0,1]
	v_pk_fma_f32 v[74:75], v[76:77], v[64:65], v[74:75] op_sel:[0,0,1] op_sel_hi:[1,0,0]
	v_mov_b32_e32 v79, v75
	ds_load_2addr_b64 v[74:77], v68 offset0:23 offset1:24
	v_pk_add_f32 v[34:35], v[34:35], v[80:81] neg_lo:[0,1] neg_hi:[0,1]
	v_pk_add_f32 v[36:37], v[36:37], v[78:79] neg_lo:[0,1] neg_hi:[0,1]
	s_wait_dscnt 0x0
	v_dual_mul_f32 v78, v75, v67 :: v_dual_mul_f32 v80, v75, v64
	s_delay_alu instid0(VALU_DEP_1) | instskip(NEXT) | instid1(VALU_DEP_2)
	v_pk_fma_f32 v[78:79], v[74:75], v[14:15], v[78:79] op_sel_hi:[1,1,0] neg_lo:[0,0,1] neg_hi:[0,0,1]
	v_pk_fma_f32 v[74:75], v[74:75], v[14:15], v[80:81] op_sel:[1,0,0] op_sel_hi:[0,1,0]
	s_delay_alu instid0(VALU_DEP_1) | instskip(SKIP_1) | instid1(VALU_DEP_2)
	v_mov_b32_e32 v79, v75
	v_pk_mul_f32 v[74:75], v[76:77], v[66:67] op_sel:[0,1]
	v_pk_add_f32 v[32:33], v[32:33], v[78:79] neg_lo:[0,1] neg_hi:[0,1]
	s_delay_alu instid0(VALU_DEP_2) | instskip(SKIP_1) | instid1(VALU_DEP_1)
	v_pk_fma_f32 v[78:79], v[76:77], v[64:65], v[74:75] op_sel:[0,0,1] op_sel_hi:[1,1,0] neg_lo:[0,0,1] neg_hi:[0,0,1]
	v_pk_fma_f32 v[74:75], v[76:77], v[64:65], v[74:75] op_sel:[0,0,1] op_sel_hi:[1,0,0]
	v_mov_b32_e32 v79, v75
	ds_load_2addr_b64 v[74:77], v68 offset0:25 offset1:26
	v_pk_add_f32 v[6:7], v[6:7], v[78:79] neg_lo:[0,1] neg_hi:[0,1]
	s_wait_dscnt 0x0
	v_pk_mul_f32 v[78:79], v[74:75], v[66:67] op_sel:[0,1]
	s_delay_alu instid0(VALU_DEP_1) | instskip(SKIP_1) | instid1(VALU_DEP_1)
	v_pk_fma_f32 v[80:81], v[74:75], v[64:65], v[78:79] op_sel:[0,0,1] op_sel_hi:[1,1,0] neg_lo:[0,0,1] neg_hi:[0,0,1]
	v_pk_fma_f32 v[74:75], v[74:75], v[64:65], v[78:79] op_sel:[0,0,1] op_sel_hi:[1,0,0]
	v_mov_b32_e32 v81, v75
	v_pk_mul_f32 v[74:75], v[76:77], v[66:67] op_sel:[0,1]
	s_delay_alu instid0(VALU_DEP_2) | instskip(NEXT) | instid1(VALU_DEP_2)
	v_pk_add_f32 v[52:53], v[52:53], v[80:81] neg_lo:[0,1] neg_hi:[0,1]
	v_pk_fma_f32 v[78:79], v[76:77], v[64:65], v[74:75] op_sel:[0,0,1] op_sel_hi:[1,1,0] neg_lo:[0,0,1] neg_hi:[0,0,1]
	v_pk_fma_f32 v[74:75], v[76:77], v[64:65], v[74:75] op_sel:[0,0,1] op_sel_hi:[1,0,0]
	s_delay_alu instid0(VALU_DEP_1)
	v_mov_b32_e32 v79, v75
	ds_load_2addr_b64 v[74:77], v68 offset0:27 offset1:28
	v_pk_add_f32 v[42:43], v[42:43], v[78:79] neg_lo:[0,1] neg_hi:[0,1]
	s_wait_dscnt 0x0
	v_pk_mul_f32 v[78:79], v[74:75], v[66:67] op_sel:[0,1]
	v_mul_f32_e32 v66, v77, v67
	s_delay_alu instid0(VALU_DEP_2) | instskip(SKIP_2) | instid1(VALU_DEP_4)
	v_pk_fma_f32 v[80:81], v[74:75], v[64:65], v[78:79] op_sel:[0,0,1] op_sel_hi:[1,1,0] neg_lo:[0,0,1] neg_hi:[0,0,1]
	v_pk_fma_f32 v[74:75], v[74:75], v[64:65], v[78:79] op_sel:[0,0,1] op_sel_hi:[1,0,0]
	v_dual_mov_b32 v74, v77 :: v_dual_mul_f32 v64, v77, v64
	v_pk_fma_f32 v[66:67], v[76:77], v[14:15], v[66:67] op_sel_hi:[1,1,0] neg_lo:[0,0,1] neg_hi:[0,0,1]
	s_delay_alu instid0(VALU_DEP_3) | instskip(NEXT) | instid1(VALU_DEP_1)
	v_dual_mov_b32 v81, v75 :: v_dual_mov_b32 v75, v76
	v_pk_add_f32 v[40:41], v[40:41], v[80:81] neg_lo:[0,1] neg_hi:[0,1]
	s_delay_alu instid0(VALU_DEP_2) | instskip(NEXT) | instid1(VALU_DEP_1)
	v_pk_fma_f32 v[64:65], v[74:75], v[14:15], v[64:65] op_sel_hi:[1,1,0]
	v_mov_b32_e32 v67, v65
	s_delay_alu instid0(VALU_DEP_1)
	v_pk_add_f32 v[62:63], v[62:63], v[66:67] neg_lo:[0,1] neg_hi:[0,1]
.LBB56_104:
	s_or_b32 exec_lo, exec_lo, s0
	v_lshl_add_u32 v64, v72, 3, v68
	s_barrier_signal -1
	s_barrier_wait -1
	ds_store_b64 v64, v[10:11]
	s_wait_dscnt 0x0
	s_barrier_signal -1
	s_barrier_wait -1
	ds_load_b64 v[66:67], v68 offset:40
	v_mov_b32_e32 v64, 5
	s_cmp_lt_i32 s18, 7
	s_cbranch_scc1 .LBB56_107
; %bb.105:
	v_add3_u32 v65, v69, 0, 48
	v_mov_b32_e32 v64, 5
	s_mov_b32 s0, 6
.LBB56_106:                             ; =>This Inner Loop Header: Depth=1
	ds_load_b64 v[74:75], v65
	s_wait_dscnt 0x1
	v_cmp_gt_f32_e32 vcc_lo, 0, v66
	v_cndmask_b32_e64 v76, v66, -v66, vcc_lo
	v_cmp_gt_f32_e32 vcc_lo, 0, v67
	v_cndmask_b32_e64 v78, v67, -v67, vcc_lo
	s_wait_dscnt 0x0
	v_cmp_gt_f32_e32 vcc_lo, 0, v74
	v_cndmask_b32_e64 v77, v74, -v74, vcc_lo
	v_cmp_gt_f32_e32 vcc_lo, 0, v75
	v_cndmask_b32_e64 v79, v75, -v75, vcc_lo
	s_delay_alu instid0(VALU_DEP_1) | instskip(NEXT) | instid1(VALU_DEP_1)
	v_pk_add_f32 v[76:77], v[76:77], v[78:79]
	v_cmp_lt_f32_e32 vcc_lo, v76, v77
	v_dual_add_nc_u32 v65, 8, v65 :: v_dual_cndmask_b32 v67, v67, v75, vcc_lo
	v_cndmask_b32_e32 v66, v66, v74, vcc_lo
	v_cndmask_b32_e64 v64, v64, s0, vcc_lo
	s_add_co_i32 s0, s0, 1
	s_delay_alu instid0(SALU_CYCLE_1)
	s_cmp_lg_u32 s18, s0
	s_cbranch_scc1 .LBB56_106
.LBB56_107:
	s_wait_dscnt 0x0
	v_cmp_eq_f32_e32 vcc_lo, 0, v66
	v_cmp_eq_f32_e64 s0, 0, v67
	s_and_b32 s0, vcc_lo, s0
	s_delay_alu instid0(SALU_CYCLE_1) | instskip(NEXT) | instid1(SALU_CYCLE_1)
	s_and_saveexec_b32 s1, s0
	s_xor_b32 s0, exec_lo, s1
; %bb.108:
	v_cmp_ne_u32_e32 vcc_lo, 0, v70
	v_cndmask_b32_e32 v70, 6, v70, vcc_lo
; %bb.109:
	s_and_not1_saveexec_b32 s0, s0
	s_cbranch_execz .LBB56_115
; %bb.110:
	v_cmp_ngt_f32_e64 s1, |v66|, |v67|
	s_and_saveexec_b32 s12, s1
	s_delay_alu instid0(SALU_CYCLE_1)
	s_xor_b32 s1, exec_lo, s12
	s_cbranch_execz .LBB56_112
; %bb.111:
	v_div_scale_f32 v65, null, v67, v67, v66
	v_div_scale_f32 v75, vcc_lo, v66, v67, v66
	s_delay_alu instid0(VALU_DEP_2) | instskip(SKIP_1) | instid1(TRANS32_DEP_1)
	v_rcp_f32_e32 v73, v65
	v_nop
	v_fma_f32 v74, -v65, v73, 1.0
	s_delay_alu instid0(VALU_DEP_1) | instskip(NEXT) | instid1(VALU_DEP_1)
	v_fmac_f32_e32 v73, v74, v73
	v_mul_f32_e32 v74, v75, v73
	s_delay_alu instid0(VALU_DEP_1) | instskip(NEXT) | instid1(VALU_DEP_1)
	v_fma_f32 v76, -v65, v74, v75
	v_fmac_f32_e32 v74, v76, v73
	s_delay_alu instid0(VALU_DEP_1) | instskip(NEXT) | instid1(VALU_DEP_1)
	v_fma_f32 v65, -v65, v74, v75
	v_div_fmas_f32 v65, v65, v73, v74
	s_delay_alu instid0(VALU_DEP_1) | instskip(NEXT) | instid1(VALU_DEP_1)
	v_div_fixup_f32 v65, v65, v67, v66
	v_fmac_f32_e32 v67, v66, v65
	s_delay_alu instid0(VALU_DEP_1) | instskip(SKIP_1) | instid1(VALU_DEP_2)
	v_div_scale_f32 v66, null, v67, v67, 1.0
	v_div_scale_f32 v75, vcc_lo, 1.0, v67, 1.0
	v_rcp_f32_e32 v73, v66
	v_nop
	s_delay_alu instid0(TRANS32_DEP_1) | instskip(NEXT) | instid1(VALU_DEP_1)
	v_fma_f32 v74, -v66, v73, 1.0
	v_fmac_f32_e32 v73, v74, v73
	s_delay_alu instid0(VALU_DEP_1) | instskip(NEXT) | instid1(VALU_DEP_1)
	v_mul_f32_e32 v74, v75, v73
	v_fma_f32 v76, -v66, v74, v75
	s_delay_alu instid0(VALU_DEP_1) | instskip(NEXT) | instid1(VALU_DEP_1)
	v_fmac_f32_e32 v74, v76, v73
	v_fma_f32 v66, -v66, v74, v75
	s_delay_alu instid0(VALU_DEP_1) | instskip(NEXT) | instid1(VALU_DEP_1)
	v_div_fmas_f32 v66, v66, v73, v74
	v_div_fixup_f32 v67, v66, v67, 1.0
	s_delay_alu instid0(VALU_DEP_1)
	v_mul_f32_e32 v66, v65, v67
	v_xor_b32_e32 v67, 0x80000000, v67
.LBB56_112:
	s_and_not1_saveexec_b32 s1, s1
	s_cbranch_execz .LBB56_114
; %bb.113:
	s_delay_alu instid0(VALU_DEP_1) | instskip(SKIP_1) | instid1(VALU_DEP_2)
	v_div_scale_f32 v65, null, v66, v66, v67
	v_div_scale_f32 v75, vcc_lo, v67, v66, v67
	v_rcp_f32_e32 v73, v65
	v_nop
	s_delay_alu instid0(TRANS32_DEP_1) | instskip(NEXT) | instid1(VALU_DEP_1)
	v_fma_f32 v74, -v65, v73, 1.0
	v_fmac_f32_e32 v73, v74, v73
	s_delay_alu instid0(VALU_DEP_1) | instskip(NEXT) | instid1(VALU_DEP_1)
	v_mul_f32_e32 v74, v75, v73
	v_fma_f32 v76, -v65, v74, v75
	s_delay_alu instid0(VALU_DEP_1) | instskip(NEXT) | instid1(VALU_DEP_1)
	v_fmac_f32_e32 v74, v76, v73
	v_fma_f32 v65, -v65, v74, v75
	s_delay_alu instid0(VALU_DEP_1) | instskip(NEXT) | instid1(VALU_DEP_1)
	v_div_fmas_f32 v65, v65, v73, v74
	v_div_fixup_f32 v65, v65, v66, v67
	s_delay_alu instid0(VALU_DEP_1) | instskip(NEXT) | instid1(VALU_DEP_1)
	v_fmac_f32_e32 v66, v67, v65
	v_div_scale_f32 v67, null, v66, v66, 1.0
	s_delay_alu instid0(VALU_DEP_1) | instskip(SKIP_1) | instid1(TRANS32_DEP_1)
	v_rcp_f32_e32 v73, v67
	v_nop
	v_fma_f32 v74, -v67, v73, 1.0
	s_delay_alu instid0(VALU_DEP_1) | instskip(SKIP_1) | instid1(VALU_DEP_1)
	v_fmac_f32_e32 v73, v74, v73
	v_div_scale_f32 v74, vcc_lo, 1.0, v66, 1.0
	v_mul_f32_e32 v75, v74, v73
	s_delay_alu instid0(VALU_DEP_1) | instskip(NEXT) | instid1(VALU_DEP_1)
	v_fma_f32 v76, -v67, v75, v74
	v_fmac_f32_e32 v75, v76, v73
	s_delay_alu instid0(VALU_DEP_1) | instskip(NEXT) | instid1(VALU_DEP_1)
	v_fma_f32 v67, -v67, v75, v74
	v_div_fmas_f32 v67, v67, v73, v75
	s_delay_alu instid0(VALU_DEP_1) | instskip(NEXT) | instid1(VALU_DEP_1)
	v_div_fixup_f32 v66, v67, v66, 1.0
	v_mul_f32_e64 v67, v65, -v66
.LBB56_114:
	s_or_b32 exec_lo, exec_lo, s1
.LBB56_115:
	s_delay_alu instid0(SALU_CYCLE_1) | instskip(NEXT) | instid1(SALU_CYCLE_1)
	s_or_b32 exec_lo, exec_lo, s0
	s_mov_b32 s0, exec_lo
	v_cmpx_ne_u32_e64 v72, v64
	s_xor_b32 s0, exec_lo, s0
	s_cbranch_execz .LBB56_121
; %bb.116:
	s_mov_b32 s1, exec_lo
	v_cmpx_eq_u32_e32 5, v72
	s_cbranch_execz .LBB56_120
; %bb.117:
	v_cmp_ne_u32_e32 vcc_lo, 5, v64
	s_xor_b32 s12, s16, -1
	s_delay_alu instid0(SALU_CYCLE_1) | instskip(NEXT) | instid1(SALU_CYCLE_1)
	s_and_b32 s13, s12, vcc_lo
	s_and_saveexec_b32 s12, s13
	s_cbranch_execz .LBB56_119
; %bb.118:
	v_ashrrev_i32_e32 v65, 31, v64
	s_delay_alu instid0(VALU_DEP_1)
	v_lshl_add_u64 v[72:73], v[64:65], 2, v[4:5]
	s_clause 0x1
	global_load_b32 v65, v[72:73], off
	global_load_b32 v71, v[4:5], off offset:20
	s_wait_loadcnt 0x1
	global_store_b32 v[4:5], v65, off offset:20
	s_wait_loadcnt 0x0
	global_store_b32 v[72:73], v71, off
.LBB56_119:
	s_wait_xcnt 0x0
	s_or_b32 exec_lo, exec_lo, s12
	v_dual_mov_b32 v72, v64 :: v_dual_mov_b32 v71, v64
.LBB56_120:
	s_or_b32 exec_lo, exec_lo, s1
.LBB56_121:
	s_and_not1_saveexec_b32 s0, s0
	s_cbranch_execz .LBB56_123
; %bb.122:
	v_dual_mov_b32 v64, v12 :: v_dual_mov_b32 v65, v13
	v_dual_mov_b32 v72, v8 :: v_dual_mov_b32 v73, v9
	;; [unrolled: 1-line block ×12, first 2 shown]
	ds_store_2addr_b64 v68, v[64:65], v[72:73] offset0:6 offset1:7
	ds_store_2addr_b64 v68, v[74:75], v[76:77] offset0:8 offset1:9
	;; [unrolled: 1-line block ×6, first 2 shown]
	v_dual_mov_b32 v64, v48 :: v_dual_mov_b32 v65, v49
	v_dual_mov_b32 v72, v44 :: v_dual_mov_b32 v73, v45
	;; [unrolled: 1-line block ×6, first 2 shown]
	ds_store_2addr_b64 v68, v[64:65], v[72:73] offset0:18 offset1:19
	ds_store_2addr_b64 v68, v[74:75], v[76:77] offset0:20 offset1:21
	v_dual_mov_b32 v72, 5 :: v_dual_mov_b32 v82, v6
	v_dual_mov_b32 v83, v7 :: v_dual_mov_b32 v84, v52
	v_dual_mov_b32 v85, v53 :: v_dual_mov_b32 v86, v42
	v_dual_mov_b32 v87, v43 :: v_dual_mov_b32 v88, v40
	v_mov_b32_e32 v89, v41
	ds_store_2addr_b64 v68, v[78:79], v[80:81] offset0:22 offset1:23
	ds_store_2addr_b64 v68, v[82:83], v[84:85] offset0:24 offset1:25
	;; [unrolled: 1-line block ×3, first 2 shown]
	ds_store_b64 v68, v[62:63] offset:224
.LBB56_123:
	s_or_b32 exec_lo, exec_lo, s0
	s_delay_alu instid0(SALU_CYCLE_1)
	s_mov_b32 s0, exec_lo
	s_wait_storecnt_dscnt 0x0
	s_barrier_signal -1
	s_barrier_wait -1
	v_cmpx_lt_i32_e32 5, v72
	s_cbranch_execz .LBB56_125
; %bb.124:
	v_pk_mul_f32 v[74:75], v[66:67], v[10:11] op_sel:[1,1] op_sel_hi:[0,1]
	s_delay_alu instid0(VALU_DEP_1)
	v_pk_fma_f32 v[64:65], v[66:67], v[10:11], v[74:75] op_sel_hi:[1,0,1] neg_lo:[0,0,1] neg_hi:[0,0,1]
	v_pk_fma_f32 v[66:67], v[66:67], v[10:11], v[74:75] op_sel_hi:[1,0,1]
	ds_load_2addr_b64 v[74:77], v68 offset0:6 offset1:7
	v_dual_mov_b32 v10, v64 :: v_dual_mov_b32 v11, v67
	s_wait_dscnt 0x0
	v_pk_mul_f32 v[78:79], v[74:75], v[66:67] op_sel:[0,1]
	s_delay_alu instid0(VALU_DEP_1) | instskip(SKIP_1) | instid1(VALU_DEP_1)
	v_pk_fma_f32 v[80:81], v[74:75], v[64:65], v[78:79] op_sel:[0,0,1] op_sel_hi:[1,1,0] neg_lo:[0,0,1] neg_hi:[0,0,1]
	v_pk_fma_f32 v[74:75], v[74:75], v[64:65], v[78:79] op_sel:[0,0,1] op_sel_hi:[1,0,0]
	v_mov_b32_e32 v81, v75
	v_pk_mul_f32 v[74:75], v[76:77], v[66:67] op_sel:[0,1]
	s_delay_alu instid0(VALU_DEP_1) | instskip(SKIP_1) | instid1(VALU_DEP_1)
	v_pk_fma_f32 v[78:79], v[76:77], v[64:65], v[74:75] op_sel:[0,0,1] op_sel_hi:[1,1,0] neg_lo:[0,0,1] neg_hi:[0,0,1]
	v_pk_fma_f32 v[74:75], v[76:77], v[64:65], v[74:75] op_sel:[0,0,1] op_sel_hi:[1,0,0]
	v_mov_b32_e32 v79, v75
	ds_load_2addr_b64 v[74:77], v68 offset0:8 offset1:9
	v_pk_add_f32 v[12:13], v[12:13], v[80:81] neg_lo:[0,1] neg_hi:[0,1]
	v_pk_add_f32 v[8:9], v[8:9], v[78:79] neg_lo:[0,1] neg_hi:[0,1]
	s_wait_dscnt 0x0
	v_pk_mul_f32 v[78:79], v[74:75], v[66:67] op_sel:[0,1]
	s_delay_alu instid0(VALU_DEP_1) | instskip(SKIP_2) | instid1(VALU_DEP_2)
	v_pk_fma_f32 v[80:81], v[74:75], v[64:65], v[78:79] op_sel:[0,0,1] op_sel_hi:[1,1,0] neg_lo:[0,0,1] neg_hi:[0,0,1]
	v_pk_fma_f32 v[74:75], v[74:75], v[64:65], v[78:79] op_sel:[0,0,1] op_sel_hi:[1,0,0]
	v_dual_mul_f32 v78, v77, v67 :: v_dual_mov_b32 v74, v77
	v_dual_mov_b32 v81, v75 :: v_dual_mov_b32 v75, v76
	s_delay_alu instid0(VALU_DEP_2) | instskip(SKIP_1) | instid1(VALU_DEP_3)
	v_pk_fma_f32 v[78:79], v[76:77], v[10:11], v[78:79] op_sel_hi:[1,1,0] neg_lo:[0,0,1] neg_hi:[0,0,1]
	v_mul_f32_e32 v76, v77, v64
	v_pk_add_f32 v[22:23], v[22:23], v[80:81] neg_lo:[0,1] neg_hi:[0,1]
	s_delay_alu instid0(VALU_DEP_2) | instskip(NEXT) | instid1(VALU_DEP_1)
	v_pk_fma_f32 v[74:75], v[74:75], v[10:11], v[76:77] op_sel_hi:[1,1,0]
	v_mov_b32_e32 v79, v75
	ds_load_2addr_b64 v[74:77], v68 offset0:10 offset1:11
	v_pk_add_f32 v[18:19], v[18:19], v[78:79] neg_lo:[0,1] neg_hi:[0,1]
	s_wait_dscnt 0x0
	v_pk_mul_f32 v[78:79], v[74:75], v[66:67] op_sel:[0,1]
	s_delay_alu instid0(VALU_DEP_1) | instskip(SKIP_1) | instid1(VALU_DEP_1)
	v_pk_fma_f32 v[80:81], v[74:75], v[64:65], v[78:79] op_sel:[0,0,1] op_sel_hi:[1,1,0] neg_lo:[0,0,1] neg_hi:[0,0,1]
	v_pk_fma_f32 v[74:75], v[74:75], v[64:65], v[78:79] op_sel:[0,0,1] op_sel_hi:[1,0,0]
	v_mov_b32_e32 v81, v75
	v_pk_mul_f32 v[74:75], v[76:77], v[66:67] op_sel:[0,1]
	s_delay_alu instid0(VALU_DEP_1) | instskip(SKIP_1) | instid1(VALU_DEP_1)
	v_pk_fma_f32 v[78:79], v[76:77], v[64:65], v[74:75] op_sel:[0,0,1] op_sel_hi:[1,1,0] neg_lo:[0,0,1] neg_hi:[0,0,1]
	v_pk_fma_f32 v[74:75], v[76:77], v[64:65], v[74:75] op_sel:[0,0,1] op_sel_hi:[1,0,0]
	v_mov_b32_e32 v79, v75
	ds_load_2addr_b64 v[74:77], v68 offset0:12 offset1:13
	v_pk_add_f32 v[20:21], v[20:21], v[80:81] neg_lo:[0,1] neg_hi:[0,1]
	v_pk_add_f32 v[16:17], v[16:17], v[78:79] neg_lo:[0,1] neg_hi:[0,1]
	s_wait_dscnt 0x0
	v_pk_mul_f32 v[78:79], v[74:75], v[66:67] op_sel:[0,1]
	s_delay_alu instid0(VALU_DEP_1) | instskip(SKIP_1) | instid1(VALU_DEP_1)
	v_pk_fma_f32 v[80:81], v[74:75], v[64:65], v[78:79] op_sel:[0,0,1] op_sel_hi:[1,1,0] neg_lo:[0,0,1] neg_hi:[0,0,1]
	v_pk_fma_f32 v[74:75], v[74:75], v[64:65], v[78:79] op_sel:[0,0,1] op_sel_hi:[1,0,0]
	v_mov_b32_e32 v81, v75
	v_pk_mul_f32 v[74:75], v[76:77], v[66:67] op_sel:[0,1]
	s_delay_alu instid0(VALU_DEP_1) | instskip(SKIP_1) | instid1(VALU_DEP_1)
	v_pk_fma_f32 v[78:79], v[76:77], v[64:65], v[74:75] op_sel:[0,0,1] op_sel_hi:[1,1,0] neg_lo:[0,0,1] neg_hi:[0,0,1]
	v_pk_fma_f32 v[74:75], v[76:77], v[64:65], v[74:75] op_sel:[0,0,1] op_sel_hi:[1,0,0]
	v_mov_b32_e32 v79, v75
	ds_load_2addr_b64 v[74:77], v68 offset0:14 offset1:15
	v_pk_add_f32 v[30:31], v[30:31], v[80:81] neg_lo:[0,1] neg_hi:[0,1]
	v_pk_add_f32 v[26:27], v[26:27], v[78:79] neg_lo:[0,1] neg_hi:[0,1]
	s_wait_dscnt 0x0
	v_dual_mul_f32 v78, v75, v67 :: v_dual_mul_f32 v80, v75, v64
	s_delay_alu instid0(VALU_DEP_1) | instskip(NEXT) | instid1(VALU_DEP_2)
	v_pk_fma_f32 v[78:79], v[74:75], v[10:11], v[78:79] op_sel_hi:[1,1,0] neg_lo:[0,0,1] neg_hi:[0,0,1]
	v_pk_fma_f32 v[74:75], v[74:75], v[10:11], v[80:81] op_sel:[1,0,0] op_sel_hi:[0,1,0]
	s_delay_alu instid0(VALU_DEP_1) | instskip(SKIP_1) | instid1(VALU_DEP_2)
	v_mov_b32_e32 v79, v75
	v_pk_mul_f32 v[74:75], v[76:77], v[66:67] op_sel:[0,1]
	v_pk_add_f32 v[28:29], v[28:29], v[78:79] neg_lo:[0,1] neg_hi:[0,1]
	s_delay_alu instid0(VALU_DEP_2) | instskip(SKIP_1) | instid1(VALU_DEP_1)
	v_pk_fma_f32 v[78:79], v[76:77], v[64:65], v[74:75] op_sel:[0,0,1] op_sel_hi:[1,1,0] neg_lo:[0,0,1] neg_hi:[0,0,1]
	v_pk_fma_f32 v[74:75], v[76:77], v[64:65], v[74:75] op_sel:[0,0,1] op_sel_hi:[1,0,0]
	v_mov_b32_e32 v79, v75
	ds_load_2addr_b64 v[74:77], v68 offset0:16 offset1:17
	v_pk_add_f32 v[24:25], v[24:25], v[78:79] neg_lo:[0,1] neg_hi:[0,1]
	s_wait_dscnt 0x0
	v_pk_mul_f32 v[78:79], v[74:75], v[66:67] op_sel:[0,1]
	s_delay_alu instid0(VALU_DEP_1) | instskip(SKIP_1) | instid1(VALU_DEP_1)
	v_pk_fma_f32 v[80:81], v[74:75], v[64:65], v[78:79] op_sel:[0,0,1] op_sel_hi:[1,1,0] neg_lo:[0,0,1] neg_hi:[0,0,1]
	v_pk_fma_f32 v[74:75], v[74:75], v[64:65], v[78:79] op_sel:[0,0,1] op_sel_hi:[1,0,0]
	v_mov_b32_e32 v81, v75
	v_pk_mul_f32 v[74:75], v[76:77], v[66:67] op_sel:[0,1]
	s_delay_alu instid0(VALU_DEP_2) | instskip(NEXT) | instid1(VALU_DEP_2)
	v_pk_add_f32 v[50:51], v[50:51], v[80:81] neg_lo:[0,1] neg_hi:[0,1]
	v_pk_fma_f32 v[78:79], v[76:77], v[64:65], v[74:75] op_sel:[0,0,1] op_sel_hi:[1,1,0] neg_lo:[0,0,1] neg_hi:[0,0,1]
	v_pk_fma_f32 v[74:75], v[76:77], v[64:65], v[74:75] op_sel:[0,0,1] op_sel_hi:[1,0,0]
	s_delay_alu instid0(VALU_DEP_1) | instskip(SKIP_4) | instid1(VALU_DEP_1)
	v_mov_b32_e32 v79, v75
	ds_load_2addr_b64 v[74:77], v68 offset0:18 offset1:19
	v_pk_add_f32 v[46:47], v[46:47], v[78:79] neg_lo:[0,1] neg_hi:[0,1]
	s_wait_dscnt 0x0
	v_pk_mul_f32 v[78:79], v[74:75], v[66:67] op_sel:[0,1]
	v_pk_fma_f32 v[80:81], v[74:75], v[64:65], v[78:79] op_sel:[0,0,1] op_sel_hi:[1,1,0] neg_lo:[0,0,1] neg_hi:[0,0,1]
	v_pk_fma_f32 v[74:75], v[74:75], v[64:65], v[78:79] op_sel:[0,0,1] op_sel_hi:[1,0,0]
	v_dual_mul_f32 v78, v77, v67 :: v_dual_mov_b32 v74, v77
	s_delay_alu instid0(VALU_DEP_2) | instskip(NEXT) | instid1(VALU_DEP_2)
	v_dual_mov_b32 v81, v75 :: v_dual_mov_b32 v75, v76
	v_pk_fma_f32 v[78:79], v[76:77], v[10:11], v[78:79] op_sel_hi:[1,1,0] neg_lo:[0,0,1] neg_hi:[0,0,1]
	v_mul_f32_e32 v76, v77, v64
	s_delay_alu instid0(VALU_DEP_3) | instskip(NEXT) | instid1(VALU_DEP_2)
	v_pk_add_f32 v[48:49], v[48:49], v[80:81] neg_lo:[0,1] neg_hi:[0,1]
	v_pk_fma_f32 v[74:75], v[74:75], v[10:11], v[76:77] op_sel_hi:[1,1,0]
	s_delay_alu instid0(VALU_DEP_1) | instskip(SKIP_4) | instid1(VALU_DEP_1)
	v_mov_b32_e32 v79, v75
	ds_load_2addr_b64 v[74:77], v68 offset0:20 offset1:21
	v_pk_add_f32 v[44:45], v[44:45], v[78:79] neg_lo:[0,1] neg_hi:[0,1]
	s_wait_dscnt 0x0
	v_pk_mul_f32 v[78:79], v[74:75], v[66:67] op_sel:[0,1]
	v_pk_fma_f32 v[80:81], v[74:75], v[64:65], v[78:79] op_sel:[0,0,1] op_sel_hi:[1,1,0] neg_lo:[0,0,1] neg_hi:[0,0,1]
	v_pk_fma_f32 v[74:75], v[74:75], v[64:65], v[78:79] op_sel:[0,0,1] op_sel_hi:[1,0,0]
	s_delay_alu instid0(VALU_DEP_1) | instskip(SKIP_1) | instid1(VALU_DEP_1)
	v_mov_b32_e32 v81, v75
	v_pk_mul_f32 v[74:75], v[76:77], v[66:67] op_sel:[0,1]
	v_pk_fma_f32 v[78:79], v[76:77], v[64:65], v[74:75] op_sel:[0,0,1] op_sel_hi:[1,1,0] neg_lo:[0,0,1] neg_hi:[0,0,1]
	v_pk_fma_f32 v[74:75], v[76:77], v[64:65], v[74:75] op_sel:[0,0,1] op_sel_hi:[1,0,0]
	s_delay_alu instid0(VALU_DEP_1)
	v_mov_b32_e32 v79, v75
	ds_load_2addr_b64 v[74:77], v68 offset0:22 offset1:23
	v_pk_add_f32 v[38:39], v[38:39], v[80:81] neg_lo:[0,1] neg_hi:[0,1]
	v_pk_add_f32 v[34:35], v[34:35], v[78:79] neg_lo:[0,1] neg_hi:[0,1]
	s_wait_dscnt 0x0
	v_pk_mul_f32 v[78:79], v[74:75], v[66:67] op_sel:[0,1]
	s_delay_alu instid0(VALU_DEP_1) | instskip(SKIP_1) | instid1(VALU_DEP_1)
	v_pk_fma_f32 v[80:81], v[74:75], v[64:65], v[78:79] op_sel:[0,0,1] op_sel_hi:[1,1,0] neg_lo:[0,0,1] neg_hi:[0,0,1]
	v_pk_fma_f32 v[74:75], v[74:75], v[64:65], v[78:79] op_sel:[0,0,1] op_sel_hi:[1,0,0]
	v_mov_b32_e32 v81, v75
	v_pk_mul_f32 v[74:75], v[76:77], v[66:67] op_sel:[0,1]
	s_delay_alu instid0(VALU_DEP_1) | instskip(SKIP_1) | instid1(VALU_DEP_1)
	v_pk_fma_f32 v[78:79], v[76:77], v[64:65], v[74:75] op_sel:[0,0,1] op_sel_hi:[1,1,0] neg_lo:[0,0,1] neg_hi:[0,0,1]
	v_pk_fma_f32 v[74:75], v[76:77], v[64:65], v[74:75] op_sel:[0,0,1] op_sel_hi:[1,0,0]
	v_mov_b32_e32 v79, v75
	ds_load_2addr_b64 v[74:77], v68 offset0:24 offset1:25
	v_pk_add_f32 v[36:37], v[36:37], v[80:81] neg_lo:[0,1] neg_hi:[0,1]
	v_pk_add_f32 v[32:33], v[32:33], v[78:79] neg_lo:[0,1] neg_hi:[0,1]
	s_wait_dscnt 0x0
	v_dual_mul_f32 v78, v75, v67 :: v_dual_mul_f32 v80, v75, v64
	s_delay_alu instid0(VALU_DEP_1) | instskip(NEXT) | instid1(VALU_DEP_2)
	v_pk_fma_f32 v[78:79], v[74:75], v[10:11], v[78:79] op_sel_hi:[1,1,0] neg_lo:[0,0,1] neg_hi:[0,0,1]
	v_pk_fma_f32 v[74:75], v[74:75], v[10:11], v[80:81] op_sel:[1,0,0] op_sel_hi:[0,1,0]
	s_delay_alu instid0(VALU_DEP_1) | instskip(SKIP_1) | instid1(VALU_DEP_2)
	v_mov_b32_e32 v79, v75
	v_pk_mul_f32 v[74:75], v[76:77], v[66:67] op_sel:[0,1]
	v_pk_add_f32 v[6:7], v[6:7], v[78:79] neg_lo:[0,1] neg_hi:[0,1]
	s_delay_alu instid0(VALU_DEP_2) | instskip(SKIP_1) | instid1(VALU_DEP_1)
	v_pk_fma_f32 v[78:79], v[76:77], v[64:65], v[74:75] op_sel:[0,0,1] op_sel_hi:[1,1,0] neg_lo:[0,0,1] neg_hi:[0,0,1]
	v_pk_fma_f32 v[74:75], v[76:77], v[64:65], v[74:75] op_sel:[0,0,1] op_sel_hi:[1,0,0]
	v_mov_b32_e32 v79, v75
	ds_load_2addr_b64 v[74:77], v68 offset0:26 offset1:27
	v_pk_add_f32 v[52:53], v[52:53], v[78:79] neg_lo:[0,1] neg_hi:[0,1]
	s_wait_dscnt 0x0
	v_pk_mul_f32 v[78:79], v[74:75], v[66:67] op_sel:[0,1]
	s_delay_alu instid0(VALU_DEP_1) | instskip(SKIP_1) | instid1(VALU_DEP_1)
	v_pk_fma_f32 v[80:81], v[74:75], v[64:65], v[78:79] op_sel:[0,0,1] op_sel_hi:[1,1,0] neg_lo:[0,0,1] neg_hi:[0,0,1]
	v_pk_fma_f32 v[74:75], v[74:75], v[64:65], v[78:79] op_sel:[0,0,1] op_sel_hi:[1,0,0]
	v_mov_b32_e32 v81, v75
	v_pk_mul_f32 v[74:75], v[76:77], v[66:67] op_sel:[0,1]
	s_delay_alu instid0(VALU_DEP_2) | instskip(NEXT) | instid1(VALU_DEP_2)
	v_pk_add_f32 v[42:43], v[42:43], v[80:81] neg_lo:[0,1] neg_hi:[0,1]
	v_pk_fma_f32 v[78:79], v[76:77], v[64:65], v[74:75] op_sel:[0,0,1] op_sel_hi:[1,1,0] neg_lo:[0,0,1] neg_hi:[0,0,1]
	v_pk_fma_f32 v[74:75], v[76:77], v[64:65], v[74:75] op_sel:[0,0,1] op_sel_hi:[1,0,0]
	s_delay_alu instid0(VALU_DEP_1) | instskip(SKIP_4) | instid1(VALU_DEP_1)
	v_mov_b32_e32 v79, v75
	ds_load_b64 v[74:75], v68 offset:224
	v_pk_add_f32 v[40:41], v[40:41], v[78:79] neg_lo:[0,1] neg_hi:[0,1]
	s_wait_dscnt 0x0
	v_pk_mul_f32 v[66:67], v[74:75], v[66:67] op_sel:[0,1]
	v_pk_fma_f32 v[76:77], v[74:75], v[64:65], v[66:67] op_sel:[0,0,1] op_sel_hi:[1,1,0] neg_lo:[0,0,1] neg_hi:[0,0,1]
	v_pk_fma_f32 v[64:65], v[74:75], v[64:65], v[66:67] op_sel:[0,0,1] op_sel_hi:[1,0,0]
	s_delay_alu instid0(VALU_DEP_1) | instskip(NEXT) | instid1(VALU_DEP_1)
	v_mov_b32_e32 v77, v65
	v_pk_add_f32 v[62:63], v[62:63], v[76:77] neg_lo:[0,1] neg_hi:[0,1]
.LBB56_125:
	s_or_b32 exec_lo, exec_lo, s0
	v_lshl_add_u32 v64, v72, 3, v68
	s_barrier_signal -1
	s_barrier_wait -1
	ds_store_b64 v64, v[12:13]
	s_wait_dscnt 0x0
	s_barrier_signal -1
	s_barrier_wait -1
	ds_load_b64 v[66:67], v68 offset:48
	v_mov_b32_e32 v64, 6
	s_cmp_lt_i32 s18, 8
	s_cbranch_scc1 .LBB56_128
; %bb.126:
	v_add3_u32 v65, v69, 0, 56
	v_mov_b32_e32 v64, 6
	s_mov_b32 s0, 7
.LBB56_127:                             ; =>This Inner Loop Header: Depth=1
	ds_load_b64 v[74:75], v65
	s_wait_dscnt 0x1
	v_cmp_gt_f32_e32 vcc_lo, 0, v66
	v_cndmask_b32_e64 v76, v66, -v66, vcc_lo
	v_cmp_gt_f32_e32 vcc_lo, 0, v67
	v_cndmask_b32_e64 v78, v67, -v67, vcc_lo
	s_wait_dscnt 0x0
	v_cmp_gt_f32_e32 vcc_lo, 0, v74
	v_cndmask_b32_e64 v77, v74, -v74, vcc_lo
	v_cmp_gt_f32_e32 vcc_lo, 0, v75
	v_cndmask_b32_e64 v79, v75, -v75, vcc_lo
	s_delay_alu instid0(VALU_DEP_1) | instskip(NEXT) | instid1(VALU_DEP_1)
	v_pk_add_f32 v[76:77], v[76:77], v[78:79]
	v_cmp_lt_f32_e32 vcc_lo, v76, v77
	v_dual_add_nc_u32 v65, 8, v65 :: v_dual_cndmask_b32 v67, v67, v75, vcc_lo
	v_cndmask_b32_e32 v66, v66, v74, vcc_lo
	v_cndmask_b32_e64 v64, v64, s0, vcc_lo
	s_add_co_i32 s0, s0, 1
	s_delay_alu instid0(SALU_CYCLE_1)
	s_cmp_lg_u32 s18, s0
	s_cbranch_scc1 .LBB56_127
.LBB56_128:
	s_wait_dscnt 0x0
	v_cmp_eq_f32_e32 vcc_lo, 0, v66
	v_cmp_eq_f32_e64 s0, 0, v67
	s_and_b32 s0, vcc_lo, s0
	s_delay_alu instid0(SALU_CYCLE_1) | instskip(NEXT) | instid1(SALU_CYCLE_1)
	s_and_saveexec_b32 s1, s0
	s_xor_b32 s0, exec_lo, s1
; %bb.129:
	v_cmp_ne_u32_e32 vcc_lo, 0, v70
	v_cndmask_b32_e32 v70, 7, v70, vcc_lo
; %bb.130:
	s_and_not1_saveexec_b32 s0, s0
	s_cbranch_execz .LBB56_136
; %bb.131:
	v_cmp_ngt_f32_e64 s1, |v66|, |v67|
	s_and_saveexec_b32 s12, s1
	s_delay_alu instid0(SALU_CYCLE_1)
	s_xor_b32 s1, exec_lo, s12
	s_cbranch_execz .LBB56_133
; %bb.132:
	v_div_scale_f32 v65, null, v67, v67, v66
	v_div_scale_f32 v75, vcc_lo, v66, v67, v66
	s_delay_alu instid0(VALU_DEP_2) | instskip(SKIP_1) | instid1(TRANS32_DEP_1)
	v_rcp_f32_e32 v73, v65
	v_nop
	v_fma_f32 v74, -v65, v73, 1.0
	s_delay_alu instid0(VALU_DEP_1) | instskip(NEXT) | instid1(VALU_DEP_1)
	v_fmac_f32_e32 v73, v74, v73
	v_mul_f32_e32 v74, v75, v73
	s_delay_alu instid0(VALU_DEP_1) | instskip(NEXT) | instid1(VALU_DEP_1)
	v_fma_f32 v76, -v65, v74, v75
	v_fmac_f32_e32 v74, v76, v73
	s_delay_alu instid0(VALU_DEP_1) | instskip(NEXT) | instid1(VALU_DEP_1)
	v_fma_f32 v65, -v65, v74, v75
	v_div_fmas_f32 v65, v65, v73, v74
	s_delay_alu instid0(VALU_DEP_1) | instskip(NEXT) | instid1(VALU_DEP_1)
	v_div_fixup_f32 v65, v65, v67, v66
	v_fmac_f32_e32 v67, v66, v65
	s_delay_alu instid0(VALU_DEP_1) | instskip(SKIP_1) | instid1(VALU_DEP_2)
	v_div_scale_f32 v66, null, v67, v67, 1.0
	v_div_scale_f32 v75, vcc_lo, 1.0, v67, 1.0
	v_rcp_f32_e32 v73, v66
	v_nop
	s_delay_alu instid0(TRANS32_DEP_1) | instskip(NEXT) | instid1(VALU_DEP_1)
	v_fma_f32 v74, -v66, v73, 1.0
	v_fmac_f32_e32 v73, v74, v73
	s_delay_alu instid0(VALU_DEP_1) | instskip(NEXT) | instid1(VALU_DEP_1)
	v_mul_f32_e32 v74, v75, v73
	v_fma_f32 v76, -v66, v74, v75
	s_delay_alu instid0(VALU_DEP_1) | instskip(NEXT) | instid1(VALU_DEP_1)
	v_fmac_f32_e32 v74, v76, v73
	v_fma_f32 v66, -v66, v74, v75
	s_delay_alu instid0(VALU_DEP_1) | instskip(NEXT) | instid1(VALU_DEP_1)
	v_div_fmas_f32 v66, v66, v73, v74
	v_div_fixup_f32 v67, v66, v67, 1.0
	s_delay_alu instid0(VALU_DEP_1)
	v_mul_f32_e32 v66, v65, v67
	v_xor_b32_e32 v67, 0x80000000, v67
.LBB56_133:
	s_and_not1_saveexec_b32 s1, s1
	s_cbranch_execz .LBB56_135
; %bb.134:
	s_delay_alu instid0(VALU_DEP_1) | instskip(SKIP_1) | instid1(VALU_DEP_2)
	v_div_scale_f32 v65, null, v66, v66, v67
	v_div_scale_f32 v75, vcc_lo, v67, v66, v67
	v_rcp_f32_e32 v73, v65
	v_nop
	s_delay_alu instid0(TRANS32_DEP_1) | instskip(NEXT) | instid1(VALU_DEP_1)
	v_fma_f32 v74, -v65, v73, 1.0
	v_fmac_f32_e32 v73, v74, v73
	s_delay_alu instid0(VALU_DEP_1) | instskip(NEXT) | instid1(VALU_DEP_1)
	v_mul_f32_e32 v74, v75, v73
	v_fma_f32 v76, -v65, v74, v75
	s_delay_alu instid0(VALU_DEP_1) | instskip(NEXT) | instid1(VALU_DEP_1)
	v_fmac_f32_e32 v74, v76, v73
	v_fma_f32 v65, -v65, v74, v75
	s_delay_alu instid0(VALU_DEP_1) | instskip(NEXT) | instid1(VALU_DEP_1)
	v_div_fmas_f32 v65, v65, v73, v74
	v_div_fixup_f32 v65, v65, v66, v67
	s_delay_alu instid0(VALU_DEP_1) | instskip(NEXT) | instid1(VALU_DEP_1)
	v_fmac_f32_e32 v66, v67, v65
	v_div_scale_f32 v67, null, v66, v66, 1.0
	s_delay_alu instid0(VALU_DEP_1) | instskip(SKIP_1) | instid1(TRANS32_DEP_1)
	v_rcp_f32_e32 v73, v67
	v_nop
	v_fma_f32 v74, -v67, v73, 1.0
	s_delay_alu instid0(VALU_DEP_1) | instskip(SKIP_1) | instid1(VALU_DEP_1)
	v_fmac_f32_e32 v73, v74, v73
	v_div_scale_f32 v74, vcc_lo, 1.0, v66, 1.0
	v_mul_f32_e32 v75, v74, v73
	s_delay_alu instid0(VALU_DEP_1) | instskip(NEXT) | instid1(VALU_DEP_1)
	v_fma_f32 v76, -v67, v75, v74
	v_fmac_f32_e32 v75, v76, v73
	s_delay_alu instid0(VALU_DEP_1) | instskip(NEXT) | instid1(VALU_DEP_1)
	v_fma_f32 v67, -v67, v75, v74
	v_div_fmas_f32 v67, v67, v73, v75
	s_delay_alu instid0(VALU_DEP_1) | instskip(NEXT) | instid1(VALU_DEP_1)
	v_div_fixup_f32 v66, v67, v66, 1.0
	v_mul_f32_e64 v67, v65, -v66
.LBB56_135:
	s_or_b32 exec_lo, exec_lo, s1
.LBB56_136:
	s_delay_alu instid0(SALU_CYCLE_1) | instskip(NEXT) | instid1(SALU_CYCLE_1)
	s_or_b32 exec_lo, exec_lo, s0
	s_mov_b32 s0, exec_lo
	v_cmpx_ne_u32_e64 v72, v64
	s_xor_b32 s0, exec_lo, s0
	s_cbranch_execz .LBB56_142
; %bb.137:
	s_mov_b32 s1, exec_lo
	v_cmpx_eq_u32_e32 6, v72
	s_cbranch_execz .LBB56_141
; %bb.138:
	v_cmp_ne_u32_e32 vcc_lo, 6, v64
	s_xor_b32 s12, s16, -1
	s_delay_alu instid0(SALU_CYCLE_1) | instskip(NEXT) | instid1(SALU_CYCLE_1)
	s_and_b32 s13, s12, vcc_lo
	s_and_saveexec_b32 s12, s13
	s_cbranch_execz .LBB56_140
; %bb.139:
	v_ashrrev_i32_e32 v65, 31, v64
	s_delay_alu instid0(VALU_DEP_1)
	v_lshl_add_u64 v[72:73], v[64:65], 2, v[4:5]
	s_clause 0x1
	global_load_b32 v65, v[72:73], off
	global_load_b32 v71, v[4:5], off offset:24
	s_wait_loadcnt 0x1
	global_store_b32 v[4:5], v65, off offset:24
	s_wait_loadcnt 0x0
	global_store_b32 v[72:73], v71, off
.LBB56_140:
	s_wait_xcnt 0x0
	s_or_b32 exec_lo, exec_lo, s12
	v_dual_mov_b32 v72, v64 :: v_dual_mov_b32 v71, v64
.LBB56_141:
	s_or_b32 exec_lo, exec_lo, s1
.LBB56_142:
	s_and_not1_saveexec_b32 s0, s0
	s_cbranch_execz .LBB56_144
; %bb.143:
	v_mov_b32_e32 v72, 6
	ds_store_2addr_b64 v68, v[8:9], v[22:23] offset0:7 offset1:8
	ds_store_2addr_b64 v68, v[18:19], v[20:21] offset0:9 offset1:10
	;; [unrolled: 1-line block ×11, first 2 shown]
.LBB56_144:
	s_or_b32 exec_lo, exec_lo, s0
	s_delay_alu instid0(SALU_CYCLE_1)
	s_mov_b32 s0, exec_lo
	s_wait_storecnt_dscnt 0x0
	s_barrier_signal -1
	s_barrier_wait -1
	v_cmpx_lt_i32_e32 6, v72
	s_cbranch_execz .LBB56_146
; %bb.145:
	v_pk_mul_f32 v[74:75], v[66:67], v[12:13] op_sel:[1,1] op_sel_hi:[0,1]
	s_delay_alu instid0(VALU_DEP_1)
	v_pk_fma_f32 v[64:65], v[66:67], v[12:13], v[74:75] op_sel_hi:[1,0,1] neg_lo:[0,0,1] neg_hi:[0,0,1]
	v_pk_fma_f32 v[66:67], v[66:67], v[12:13], v[74:75] op_sel_hi:[1,0,1]
	ds_load_2addr_b64 v[74:77], v68 offset0:7 offset1:8
	v_dual_mov_b32 v12, v64 :: v_dual_mov_b32 v13, v67
	s_wait_dscnt 0x0
	v_pk_mul_f32 v[78:79], v[74:75], v[66:67] op_sel:[0,1]
	s_delay_alu instid0(VALU_DEP_1) | instskip(SKIP_1) | instid1(VALU_DEP_1)
	v_pk_fma_f32 v[80:81], v[74:75], v[64:65], v[78:79] op_sel:[0,0,1] op_sel_hi:[1,1,0] neg_lo:[0,0,1] neg_hi:[0,0,1]
	v_pk_fma_f32 v[74:75], v[74:75], v[64:65], v[78:79] op_sel:[0,0,1] op_sel_hi:[1,0,0]
	v_mov_b32_e32 v81, v75
	v_pk_mul_f32 v[74:75], v[76:77], v[66:67] op_sel:[0,1]
	s_delay_alu instid0(VALU_DEP_1) | instskip(SKIP_1) | instid1(VALU_DEP_1)
	v_pk_fma_f32 v[78:79], v[76:77], v[64:65], v[74:75] op_sel:[0,0,1] op_sel_hi:[1,1,0] neg_lo:[0,0,1] neg_hi:[0,0,1]
	v_pk_fma_f32 v[74:75], v[76:77], v[64:65], v[74:75] op_sel:[0,0,1] op_sel_hi:[1,0,0]
	v_mov_b32_e32 v79, v75
	ds_load_2addr_b64 v[74:77], v68 offset0:9 offset1:10
	v_pk_add_f32 v[8:9], v[8:9], v[80:81] neg_lo:[0,1] neg_hi:[0,1]
	v_pk_add_f32 v[22:23], v[22:23], v[78:79] neg_lo:[0,1] neg_hi:[0,1]
	s_wait_dscnt 0x0
	v_pk_mul_f32 v[78:79], v[74:75], v[66:67] op_sel:[0,1]
	s_delay_alu instid0(VALU_DEP_1) | instskip(SKIP_2) | instid1(VALU_DEP_2)
	v_pk_fma_f32 v[80:81], v[74:75], v[64:65], v[78:79] op_sel:[0,0,1] op_sel_hi:[1,1,0] neg_lo:[0,0,1] neg_hi:[0,0,1]
	v_pk_fma_f32 v[74:75], v[74:75], v[64:65], v[78:79] op_sel:[0,0,1] op_sel_hi:[1,0,0]
	v_dual_mul_f32 v78, v77, v67 :: v_dual_mov_b32 v74, v77
	v_dual_mov_b32 v81, v75 :: v_dual_mov_b32 v75, v76
	s_delay_alu instid0(VALU_DEP_2) | instskip(SKIP_1) | instid1(VALU_DEP_3)
	v_pk_fma_f32 v[78:79], v[76:77], v[12:13], v[78:79] op_sel_hi:[1,1,0] neg_lo:[0,0,1] neg_hi:[0,0,1]
	v_mul_f32_e32 v76, v77, v64
	v_pk_add_f32 v[18:19], v[18:19], v[80:81] neg_lo:[0,1] neg_hi:[0,1]
	s_delay_alu instid0(VALU_DEP_2) | instskip(NEXT) | instid1(VALU_DEP_1)
	v_pk_fma_f32 v[74:75], v[74:75], v[12:13], v[76:77] op_sel_hi:[1,1,0]
	v_mov_b32_e32 v79, v75
	ds_load_2addr_b64 v[74:77], v68 offset0:11 offset1:12
	v_pk_add_f32 v[20:21], v[20:21], v[78:79] neg_lo:[0,1] neg_hi:[0,1]
	s_wait_dscnt 0x0
	v_pk_mul_f32 v[78:79], v[74:75], v[66:67] op_sel:[0,1]
	s_delay_alu instid0(VALU_DEP_1) | instskip(SKIP_1) | instid1(VALU_DEP_1)
	v_pk_fma_f32 v[80:81], v[74:75], v[64:65], v[78:79] op_sel:[0,0,1] op_sel_hi:[1,1,0] neg_lo:[0,0,1] neg_hi:[0,0,1]
	v_pk_fma_f32 v[74:75], v[74:75], v[64:65], v[78:79] op_sel:[0,0,1] op_sel_hi:[1,0,0]
	v_mov_b32_e32 v81, v75
	v_pk_mul_f32 v[74:75], v[76:77], v[66:67] op_sel:[0,1]
	s_delay_alu instid0(VALU_DEP_1) | instskip(SKIP_1) | instid1(VALU_DEP_1)
	v_pk_fma_f32 v[78:79], v[76:77], v[64:65], v[74:75] op_sel:[0,0,1] op_sel_hi:[1,1,0] neg_lo:[0,0,1] neg_hi:[0,0,1]
	v_pk_fma_f32 v[74:75], v[76:77], v[64:65], v[74:75] op_sel:[0,0,1] op_sel_hi:[1,0,0]
	v_mov_b32_e32 v79, v75
	ds_load_2addr_b64 v[74:77], v68 offset0:13 offset1:14
	v_pk_add_f32 v[16:17], v[16:17], v[80:81] neg_lo:[0,1] neg_hi:[0,1]
	v_pk_add_f32 v[30:31], v[30:31], v[78:79] neg_lo:[0,1] neg_hi:[0,1]
	s_wait_dscnt 0x0
	v_pk_mul_f32 v[78:79], v[74:75], v[66:67] op_sel:[0,1]
	s_delay_alu instid0(VALU_DEP_1) | instskip(SKIP_1) | instid1(VALU_DEP_1)
	v_pk_fma_f32 v[80:81], v[74:75], v[64:65], v[78:79] op_sel:[0,0,1] op_sel_hi:[1,1,0] neg_lo:[0,0,1] neg_hi:[0,0,1]
	v_pk_fma_f32 v[74:75], v[74:75], v[64:65], v[78:79] op_sel:[0,0,1] op_sel_hi:[1,0,0]
	v_mov_b32_e32 v81, v75
	v_pk_mul_f32 v[74:75], v[76:77], v[66:67] op_sel:[0,1]
	s_delay_alu instid0(VALU_DEP_1) | instskip(SKIP_1) | instid1(VALU_DEP_1)
	v_pk_fma_f32 v[78:79], v[76:77], v[64:65], v[74:75] op_sel:[0,0,1] op_sel_hi:[1,1,0] neg_lo:[0,0,1] neg_hi:[0,0,1]
	v_pk_fma_f32 v[74:75], v[76:77], v[64:65], v[74:75] op_sel:[0,0,1] op_sel_hi:[1,0,0]
	v_mov_b32_e32 v79, v75
	ds_load_2addr_b64 v[74:77], v68 offset0:15 offset1:16
	v_pk_add_f32 v[26:27], v[26:27], v[80:81] neg_lo:[0,1] neg_hi:[0,1]
	v_pk_add_f32 v[28:29], v[28:29], v[78:79] neg_lo:[0,1] neg_hi:[0,1]
	s_wait_dscnt 0x0
	v_dual_mul_f32 v78, v75, v67 :: v_dual_mul_f32 v80, v75, v64
	s_delay_alu instid0(VALU_DEP_1) | instskip(NEXT) | instid1(VALU_DEP_2)
	v_pk_fma_f32 v[78:79], v[74:75], v[12:13], v[78:79] op_sel_hi:[1,1,0] neg_lo:[0,0,1] neg_hi:[0,0,1]
	v_pk_fma_f32 v[74:75], v[74:75], v[12:13], v[80:81] op_sel:[1,0,0] op_sel_hi:[0,1,0]
	s_delay_alu instid0(VALU_DEP_1) | instskip(SKIP_1) | instid1(VALU_DEP_2)
	v_mov_b32_e32 v79, v75
	v_pk_mul_f32 v[74:75], v[76:77], v[66:67] op_sel:[0,1]
	v_pk_add_f32 v[24:25], v[24:25], v[78:79] neg_lo:[0,1] neg_hi:[0,1]
	s_delay_alu instid0(VALU_DEP_2) | instskip(SKIP_1) | instid1(VALU_DEP_1)
	v_pk_fma_f32 v[78:79], v[76:77], v[64:65], v[74:75] op_sel:[0,0,1] op_sel_hi:[1,1,0] neg_lo:[0,0,1] neg_hi:[0,0,1]
	v_pk_fma_f32 v[74:75], v[76:77], v[64:65], v[74:75] op_sel:[0,0,1] op_sel_hi:[1,0,0]
	v_mov_b32_e32 v79, v75
	ds_load_2addr_b64 v[74:77], v68 offset0:17 offset1:18
	v_pk_add_f32 v[50:51], v[50:51], v[78:79] neg_lo:[0,1] neg_hi:[0,1]
	s_wait_dscnt 0x0
	v_pk_mul_f32 v[78:79], v[74:75], v[66:67] op_sel:[0,1]
	s_delay_alu instid0(VALU_DEP_1) | instskip(SKIP_1) | instid1(VALU_DEP_1)
	v_pk_fma_f32 v[80:81], v[74:75], v[64:65], v[78:79] op_sel:[0,0,1] op_sel_hi:[1,1,0] neg_lo:[0,0,1] neg_hi:[0,0,1]
	v_pk_fma_f32 v[74:75], v[74:75], v[64:65], v[78:79] op_sel:[0,0,1] op_sel_hi:[1,0,0]
	v_mov_b32_e32 v81, v75
	v_pk_mul_f32 v[74:75], v[76:77], v[66:67] op_sel:[0,1]
	s_delay_alu instid0(VALU_DEP_2) | instskip(NEXT) | instid1(VALU_DEP_2)
	v_pk_add_f32 v[46:47], v[46:47], v[80:81] neg_lo:[0,1] neg_hi:[0,1]
	v_pk_fma_f32 v[78:79], v[76:77], v[64:65], v[74:75] op_sel:[0,0,1] op_sel_hi:[1,1,0] neg_lo:[0,0,1] neg_hi:[0,0,1]
	v_pk_fma_f32 v[74:75], v[76:77], v[64:65], v[74:75] op_sel:[0,0,1] op_sel_hi:[1,0,0]
	s_delay_alu instid0(VALU_DEP_1) | instskip(SKIP_4) | instid1(VALU_DEP_1)
	v_mov_b32_e32 v79, v75
	ds_load_2addr_b64 v[74:77], v68 offset0:19 offset1:20
	v_pk_add_f32 v[48:49], v[48:49], v[78:79] neg_lo:[0,1] neg_hi:[0,1]
	s_wait_dscnt 0x0
	v_pk_mul_f32 v[78:79], v[74:75], v[66:67] op_sel:[0,1]
	v_pk_fma_f32 v[80:81], v[74:75], v[64:65], v[78:79] op_sel:[0,0,1] op_sel_hi:[1,1,0] neg_lo:[0,0,1] neg_hi:[0,0,1]
	v_pk_fma_f32 v[74:75], v[74:75], v[64:65], v[78:79] op_sel:[0,0,1] op_sel_hi:[1,0,0]
	v_dual_mul_f32 v78, v77, v67 :: v_dual_mov_b32 v74, v77
	s_delay_alu instid0(VALU_DEP_2) | instskip(NEXT) | instid1(VALU_DEP_2)
	v_dual_mov_b32 v81, v75 :: v_dual_mov_b32 v75, v76
	v_pk_fma_f32 v[78:79], v[76:77], v[12:13], v[78:79] op_sel_hi:[1,1,0] neg_lo:[0,0,1] neg_hi:[0,0,1]
	v_mul_f32_e32 v76, v77, v64
	s_delay_alu instid0(VALU_DEP_3) | instskip(NEXT) | instid1(VALU_DEP_2)
	v_pk_add_f32 v[44:45], v[44:45], v[80:81] neg_lo:[0,1] neg_hi:[0,1]
	v_pk_fma_f32 v[74:75], v[74:75], v[12:13], v[76:77] op_sel_hi:[1,1,0]
	s_delay_alu instid0(VALU_DEP_1) | instskip(SKIP_4) | instid1(VALU_DEP_1)
	v_mov_b32_e32 v79, v75
	ds_load_2addr_b64 v[74:77], v68 offset0:21 offset1:22
	v_pk_add_f32 v[38:39], v[38:39], v[78:79] neg_lo:[0,1] neg_hi:[0,1]
	s_wait_dscnt 0x0
	v_pk_mul_f32 v[78:79], v[74:75], v[66:67] op_sel:[0,1]
	v_pk_fma_f32 v[80:81], v[74:75], v[64:65], v[78:79] op_sel:[0,0,1] op_sel_hi:[1,1,0] neg_lo:[0,0,1] neg_hi:[0,0,1]
	v_pk_fma_f32 v[74:75], v[74:75], v[64:65], v[78:79] op_sel:[0,0,1] op_sel_hi:[1,0,0]
	s_delay_alu instid0(VALU_DEP_1) | instskip(SKIP_1) | instid1(VALU_DEP_1)
	v_mov_b32_e32 v81, v75
	v_pk_mul_f32 v[74:75], v[76:77], v[66:67] op_sel:[0,1]
	v_pk_fma_f32 v[78:79], v[76:77], v[64:65], v[74:75] op_sel:[0,0,1] op_sel_hi:[1,1,0] neg_lo:[0,0,1] neg_hi:[0,0,1]
	v_pk_fma_f32 v[74:75], v[76:77], v[64:65], v[74:75] op_sel:[0,0,1] op_sel_hi:[1,0,0]
	s_delay_alu instid0(VALU_DEP_1)
	v_mov_b32_e32 v79, v75
	ds_load_2addr_b64 v[74:77], v68 offset0:23 offset1:24
	v_pk_add_f32 v[34:35], v[34:35], v[80:81] neg_lo:[0,1] neg_hi:[0,1]
	v_pk_add_f32 v[36:37], v[36:37], v[78:79] neg_lo:[0,1] neg_hi:[0,1]
	s_wait_dscnt 0x0
	v_pk_mul_f32 v[78:79], v[74:75], v[66:67] op_sel:[0,1]
	s_delay_alu instid0(VALU_DEP_1) | instskip(SKIP_1) | instid1(VALU_DEP_1)
	v_pk_fma_f32 v[80:81], v[74:75], v[64:65], v[78:79] op_sel:[0,0,1] op_sel_hi:[1,1,0] neg_lo:[0,0,1] neg_hi:[0,0,1]
	v_pk_fma_f32 v[74:75], v[74:75], v[64:65], v[78:79] op_sel:[0,0,1] op_sel_hi:[1,0,0]
	v_mov_b32_e32 v81, v75
	v_pk_mul_f32 v[74:75], v[76:77], v[66:67] op_sel:[0,1]
	s_delay_alu instid0(VALU_DEP_1) | instskip(SKIP_1) | instid1(VALU_DEP_1)
	v_pk_fma_f32 v[78:79], v[76:77], v[64:65], v[74:75] op_sel:[0,0,1] op_sel_hi:[1,1,0] neg_lo:[0,0,1] neg_hi:[0,0,1]
	v_pk_fma_f32 v[74:75], v[76:77], v[64:65], v[74:75] op_sel:[0,0,1] op_sel_hi:[1,0,0]
	v_mov_b32_e32 v79, v75
	ds_load_2addr_b64 v[74:77], v68 offset0:25 offset1:26
	v_pk_add_f32 v[32:33], v[32:33], v[80:81] neg_lo:[0,1] neg_hi:[0,1]
	v_pk_add_f32 v[6:7], v[6:7], v[78:79] neg_lo:[0,1] neg_hi:[0,1]
	s_wait_dscnt 0x0
	v_dual_mul_f32 v78, v75, v67 :: v_dual_mul_f32 v80, v75, v64
	s_delay_alu instid0(VALU_DEP_1) | instskip(NEXT) | instid1(VALU_DEP_2)
	v_pk_fma_f32 v[78:79], v[74:75], v[12:13], v[78:79] op_sel_hi:[1,1,0] neg_lo:[0,0,1] neg_hi:[0,0,1]
	v_pk_fma_f32 v[74:75], v[74:75], v[12:13], v[80:81] op_sel:[1,0,0] op_sel_hi:[0,1,0]
	s_delay_alu instid0(VALU_DEP_1) | instskip(SKIP_1) | instid1(VALU_DEP_2)
	v_mov_b32_e32 v79, v75
	v_pk_mul_f32 v[74:75], v[76:77], v[66:67] op_sel:[0,1]
	v_pk_add_f32 v[52:53], v[52:53], v[78:79] neg_lo:[0,1] neg_hi:[0,1]
	s_delay_alu instid0(VALU_DEP_2) | instskip(SKIP_1) | instid1(VALU_DEP_1)
	v_pk_fma_f32 v[78:79], v[76:77], v[64:65], v[74:75] op_sel:[0,0,1] op_sel_hi:[1,1,0] neg_lo:[0,0,1] neg_hi:[0,0,1]
	v_pk_fma_f32 v[74:75], v[76:77], v[64:65], v[74:75] op_sel:[0,0,1] op_sel_hi:[1,0,0]
	v_mov_b32_e32 v79, v75
	ds_load_2addr_b64 v[74:77], v68 offset0:27 offset1:28
	v_pk_add_f32 v[42:43], v[42:43], v[78:79] neg_lo:[0,1] neg_hi:[0,1]
	s_wait_dscnt 0x0
	v_pk_mul_f32 v[78:79], v[74:75], v[66:67] op_sel:[0,1]
	v_pk_mul_f32 v[66:67], v[76:77], v[66:67] op_sel:[0,1]
	s_delay_alu instid0(VALU_DEP_2) | instskip(SKIP_1) | instid1(VALU_DEP_1)
	v_pk_fma_f32 v[80:81], v[74:75], v[64:65], v[78:79] op_sel:[0,0,1] op_sel_hi:[1,1,0] neg_lo:[0,0,1] neg_hi:[0,0,1]
	v_pk_fma_f32 v[74:75], v[74:75], v[64:65], v[78:79] op_sel:[0,0,1] op_sel_hi:[1,0,0]
	v_mov_b32_e32 v81, v75
	s_delay_alu instid0(VALU_DEP_4) | instskip(SKIP_1) | instid1(VALU_DEP_3)
	v_pk_fma_f32 v[74:75], v[76:77], v[64:65], v[66:67] op_sel:[0,0,1] op_sel_hi:[1,1,0] neg_lo:[0,0,1] neg_hi:[0,0,1]
	v_pk_fma_f32 v[64:65], v[76:77], v[64:65], v[66:67] op_sel:[0,0,1] op_sel_hi:[1,0,0]
	v_pk_add_f32 v[40:41], v[40:41], v[80:81] neg_lo:[0,1] neg_hi:[0,1]
	s_delay_alu instid0(VALU_DEP_2) | instskip(NEXT) | instid1(VALU_DEP_1)
	v_mov_b32_e32 v75, v65
	v_pk_add_f32 v[62:63], v[62:63], v[74:75] neg_lo:[0,1] neg_hi:[0,1]
.LBB56_146:
	s_or_b32 exec_lo, exec_lo, s0
	v_lshl_add_u32 v64, v72, 3, v68
	s_barrier_signal -1
	s_barrier_wait -1
	ds_store_b64 v64, v[8:9]
	s_wait_dscnt 0x0
	s_barrier_signal -1
	s_barrier_wait -1
	ds_load_b64 v[66:67], v68 offset:56
	v_mov_b32_e32 v64, 7
	s_cmp_lt_i32 s18, 9
	s_cbranch_scc1 .LBB56_149
; %bb.147:
	v_add3_u32 v65, v69, 0, 64
	v_mov_b32_e32 v64, 7
	s_mov_b32 s0, 8
.LBB56_148:                             ; =>This Inner Loop Header: Depth=1
	ds_load_b64 v[74:75], v65
	s_wait_dscnt 0x1
	v_cmp_gt_f32_e32 vcc_lo, 0, v66
	v_cndmask_b32_e64 v76, v66, -v66, vcc_lo
	v_cmp_gt_f32_e32 vcc_lo, 0, v67
	v_cndmask_b32_e64 v78, v67, -v67, vcc_lo
	s_wait_dscnt 0x0
	v_cmp_gt_f32_e32 vcc_lo, 0, v74
	v_cndmask_b32_e64 v77, v74, -v74, vcc_lo
	v_cmp_gt_f32_e32 vcc_lo, 0, v75
	v_cndmask_b32_e64 v79, v75, -v75, vcc_lo
	s_delay_alu instid0(VALU_DEP_1) | instskip(NEXT) | instid1(VALU_DEP_1)
	v_pk_add_f32 v[76:77], v[76:77], v[78:79]
	v_cmp_lt_f32_e32 vcc_lo, v76, v77
	v_dual_add_nc_u32 v65, 8, v65 :: v_dual_cndmask_b32 v67, v67, v75, vcc_lo
	v_cndmask_b32_e32 v66, v66, v74, vcc_lo
	v_cndmask_b32_e64 v64, v64, s0, vcc_lo
	s_add_co_i32 s0, s0, 1
	s_delay_alu instid0(SALU_CYCLE_1)
	s_cmp_lg_u32 s18, s0
	s_cbranch_scc1 .LBB56_148
.LBB56_149:
	s_wait_dscnt 0x0
	v_cmp_eq_f32_e32 vcc_lo, 0, v66
	v_cmp_eq_f32_e64 s0, 0, v67
	s_and_b32 s0, vcc_lo, s0
	s_delay_alu instid0(SALU_CYCLE_1) | instskip(NEXT) | instid1(SALU_CYCLE_1)
	s_and_saveexec_b32 s1, s0
	s_xor_b32 s0, exec_lo, s1
; %bb.150:
	v_cmp_ne_u32_e32 vcc_lo, 0, v70
	v_cndmask_b32_e32 v70, 8, v70, vcc_lo
; %bb.151:
	s_and_not1_saveexec_b32 s0, s0
	s_cbranch_execz .LBB56_157
; %bb.152:
	v_cmp_ngt_f32_e64 s1, |v66|, |v67|
	s_and_saveexec_b32 s12, s1
	s_delay_alu instid0(SALU_CYCLE_1)
	s_xor_b32 s1, exec_lo, s12
	s_cbranch_execz .LBB56_154
; %bb.153:
	v_div_scale_f32 v65, null, v67, v67, v66
	v_div_scale_f32 v75, vcc_lo, v66, v67, v66
	s_delay_alu instid0(VALU_DEP_2) | instskip(SKIP_1) | instid1(TRANS32_DEP_1)
	v_rcp_f32_e32 v73, v65
	v_nop
	v_fma_f32 v74, -v65, v73, 1.0
	s_delay_alu instid0(VALU_DEP_1) | instskip(NEXT) | instid1(VALU_DEP_1)
	v_fmac_f32_e32 v73, v74, v73
	v_mul_f32_e32 v74, v75, v73
	s_delay_alu instid0(VALU_DEP_1) | instskip(NEXT) | instid1(VALU_DEP_1)
	v_fma_f32 v76, -v65, v74, v75
	v_fmac_f32_e32 v74, v76, v73
	s_delay_alu instid0(VALU_DEP_1) | instskip(NEXT) | instid1(VALU_DEP_1)
	v_fma_f32 v65, -v65, v74, v75
	v_div_fmas_f32 v65, v65, v73, v74
	s_delay_alu instid0(VALU_DEP_1) | instskip(NEXT) | instid1(VALU_DEP_1)
	v_div_fixup_f32 v65, v65, v67, v66
	v_fmac_f32_e32 v67, v66, v65
	s_delay_alu instid0(VALU_DEP_1) | instskip(SKIP_1) | instid1(VALU_DEP_2)
	v_div_scale_f32 v66, null, v67, v67, 1.0
	v_div_scale_f32 v75, vcc_lo, 1.0, v67, 1.0
	v_rcp_f32_e32 v73, v66
	v_nop
	s_delay_alu instid0(TRANS32_DEP_1) | instskip(NEXT) | instid1(VALU_DEP_1)
	v_fma_f32 v74, -v66, v73, 1.0
	v_fmac_f32_e32 v73, v74, v73
	s_delay_alu instid0(VALU_DEP_1) | instskip(NEXT) | instid1(VALU_DEP_1)
	v_mul_f32_e32 v74, v75, v73
	v_fma_f32 v76, -v66, v74, v75
	s_delay_alu instid0(VALU_DEP_1) | instskip(NEXT) | instid1(VALU_DEP_1)
	v_fmac_f32_e32 v74, v76, v73
	v_fma_f32 v66, -v66, v74, v75
	s_delay_alu instid0(VALU_DEP_1) | instskip(NEXT) | instid1(VALU_DEP_1)
	v_div_fmas_f32 v66, v66, v73, v74
	v_div_fixup_f32 v67, v66, v67, 1.0
	s_delay_alu instid0(VALU_DEP_1)
	v_mul_f32_e32 v66, v65, v67
	v_xor_b32_e32 v67, 0x80000000, v67
.LBB56_154:
	s_and_not1_saveexec_b32 s1, s1
	s_cbranch_execz .LBB56_156
; %bb.155:
	s_delay_alu instid0(VALU_DEP_1) | instskip(SKIP_1) | instid1(VALU_DEP_2)
	v_div_scale_f32 v65, null, v66, v66, v67
	v_div_scale_f32 v75, vcc_lo, v67, v66, v67
	v_rcp_f32_e32 v73, v65
	v_nop
	s_delay_alu instid0(TRANS32_DEP_1) | instskip(NEXT) | instid1(VALU_DEP_1)
	v_fma_f32 v74, -v65, v73, 1.0
	v_fmac_f32_e32 v73, v74, v73
	s_delay_alu instid0(VALU_DEP_1) | instskip(NEXT) | instid1(VALU_DEP_1)
	v_mul_f32_e32 v74, v75, v73
	v_fma_f32 v76, -v65, v74, v75
	s_delay_alu instid0(VALU_DEP_1) | instskip(NEXT) | instid1(VALU_DEP_1)
	v_fmac_f32_e32 v74, v76, v73
	v_fma_f32 v65, -v65, v74, v75
	s_delay_alu instid0(VALU_DEP_1) | instskip(NEXT) | instid1(VALU_DEP_1)
	v_div_fmas_f32 v65, v65, v73, v74
	v_div_fixup_f32 v65, v65, v66, v67
	s_delay_alu instid0(VALU_DEP_1) | instskip(NEXT) | instid1(VALU_DEP_1)
	v_fmac_f32_e32 v66, v67, v65
	v_div_scale_f32 v67, null, v66, v66, 1.0
	s_delay_alu instid0(VALU_DEP_1) | instskip(SKIP_1) | instid1(TRANS32_DEP_1)
	v_rcp_f32_e32 v73, v67
	v_nop
	v_fma_f32 v74, -v67, v73, 1.0
	s_delay_alu instid0(VALU_DEP_1) | instskip(SKIP_1) | instid1(VALU_DEP_1)
	v_fmac_f32_e32 v73, v74, v73
	v_div_scale_f32 v74, vcc_lo, 1.0, v66, 1.0
	v_mul_f32_e32 v75, v74, v73
	s_delay_alu instid0(VALU_DEP_1) | instskip(NEXT) | instid1(VALU_DEP_1)
	v_fma_f32 v76, -v67, v75, v74
	v_fmac_f32_e32 v75, v76, v73
	s_delay_alu instid0(VALU_DEP_1) | instskip(NEXT) | instid1(VALU_DEP_1)
	v_fma_f32 v67, -v67, v75, v74
	v_div_fmas_f32 v67, v67, v73, v75
	s_delay_alu instid0(VALU_DEP_1) | instskip(NEXT) | instid1(VALU_DEP_1)
	v_div_fixup_f32 v66, v67, v66, 1.0
	v_mul_f32_e64 v67, v65, -v66
.LBB56_156:
	s_or_b32 exec_lo, exec_lo, s1
.LBB56_157:
	s_delay_alu instid0(SALU_CYCLE_1) | instskip(NEXT) | instid1(SALU_CYCLE_1)
	s_or_b32 exec_lo, exec_lo, s0
	s_mov_b32 s0, exec_lo
	v_cmpx_ne_u32_e64 v72, v64
	s_xor_b32 s0, exec_lo, s0
	s_cbranch_execz .LBB56_163
; %bb.158:
	s_mov_b32 s1, exec_lo
	v_cmpx_eq_u32_e32 7, v72
	s_cbranch_execz .LBB56_162
; %bb.159:
	v_cmp_ne_u32_e32 vcc_lo, 7, v64
	s_xor_b32 s12, s16, -1
	s_delay_alu instid0(SALU_CYCLE_1) | instskip(NEXT) | instid1(SALU_CYCLE_1)
	s_and_b32 s13, s12, vcc_lo
	s_and_saveexec_b32 s12, s13
	s_cbranch_execz .LBB56_161
; %bb.160:
	v_ashrrev_i32_e32 v65, 31, v64
	s_delay_alu instid0(VALU_DEP_1)
	v_lshl_add_u64 v[72:73], v[64:65], 2, v[4:5]
	s_clause 0x1
	global_load_b32 v65, v[72:73], off
	global_load_b32 v71, v[4:5], off offset:28
	s_wait_loadcnt 0x1
	global_store_b32 v[4:5], v65, off offset:28
	s_wait_loadcnt 0x0
	global_store_b32 v[72:73], v71, off
.LBB56_161:
	s_wait_xcnt 0x0
	s_or_b32 exec_lo, exec_lo, s12
	v_dual_mov_b32 v72, v64 :: v_dual_mov_b32 v71, v64
.LBB56_162:
	s_or_b32 exec_lo, exec_lo, s1
.LBB56_163:
	s_and_not1_saveexec_b32 s0, s0
	s_cbranch_execz .LBB56_165
; %bb.164:
	v_dual_mov_b32 v64, v22 :: v_dual_mov_b32 v65, v23
	v_dual_mov_b32 v72, v18 :: v_dual_mov_b32 v73, v19
	;; [unrolled: 1-line block ×12, first 2 shown]
	ds_store_2addr_b64 v68, v[64:65], v[72:73] offset0:8 offset1:9
	ds_store_2addr_b64 v68, v[74:75], v[76:77] offset0:10 offset1:11
	;; [unrolled: 1-line block ×6, first 2 shown]
	v_dual_mov_b32 v64, v38 :: v_dual_mov_b32 v65, v39
	v_dual_mov_b32 v74, v34 :: v_dual_mov_b32 v75, v35
	;; [unrolled: 1-line block ×8, first 2 shown]
	v_mov_b32_e32 v87, v41
	ds_store_2addr_b64 v68, v[64:65], v[74:75] offset0:20 offset1:21
	ds_store_2addr_b64 v68, v[76:77], v[78:79] offset0:22 offset1:23
	ds_store_2addr_b64 v68, v[80:81], v[82:83] offset0:24 offset1:25
	ds_store_2addr_b64 v68, v[84:85], v[86:87] offset0:26 offset1:27
	ds_store_b64 v68, v[62:63] offset:224
.LBB56_165:
	s_or_b32 exec_lo, exec_lo, s0
	s_delay_alu instid0(SALU_CYCLE_1)
	s_mov_b32 s0, exec_lo
	s_wait_storecnt_dscnt 0x0
	s_barrier_signal -1
	s_barrier_wait -1
	v_cmpx_lt_i32_e32 7, v72
	s_cbranch_execz .LBB56_167
; %bb.166:
	v_pk_mul_f32 v[74:75], v[66:67], v[8:9] op_sel:[1,1] op_sel_hi:[0,1]
	s_delay_alu instid0(VALU_DEP_1)
	v_pk_fma_f32 v[64:65], v[66:67], v[8:9], v[74:75] op_sel_hi:[1,0,1] neg_lo:[0,0,1] neg_hi:[0,0,1]
	v_pk_fma_f32 v[66:67], v[66:67], v[8:9], v[74:75] op_sel_hi:[1,0,1]
	ds_load_2addr_b64 v[74:77], v68 offset0:8 offset1:9
	v_dual_mov_b32 v8, v64 :: v_dual_mov_b32 v9, v67
	s_wait_dscnt 0x0
	v_pk_mul_f32 v[78:79], v[74:75], v[66:67] op_sel:[0,1]
	s_delay_alu instid0(VALU_DEP_1) | instskip(SKIP_1) | instid1(VALU_DEP_1)
	v_pk_fma_f32 v[80:81], v[74:75], v[64:65], v[78:79] op_sel:[0,0,1] op_sel_hi:[1,1,0] neg_lo:[0,0,1] neg_hi:[0,0,1]
	v_pk_fma_f32 v[74:75], v[74:75], v[64:65], v[78:79] op_sel:[0,0,1] op_sel_hi:[1,0,0]
	v_mov_b32_e32 v81, v75
	v_pk_mul_f32 v[74:75], v[76:77], v[66:67] op_sel:[0,1]
	s_delay_alu instid0(VALU_DEP_1) | instskip(SKIP_1) | instid1(VALU_DEP_1)
	v_pk_fma_f32 v[78:79], v[76:77], v[64:65], v[74:75] op_sel:[0,0,1] op_sel_hi:[1,1,0] neg_lo:[0,0,1] neg_hi:[0,0,1]
	v_pk_fma_f32 v[74:75], v[76:77], v[64:65], v[74:75] op_sel:[0,0,1] op_sel_hi:[1,0,0]
	v_mov_b32_e32 v79, v75
	ds_load_2addr_b64 v[74:77], v68 offset0:10 offset1:11
	v_pk_add_f32 v[22:23], v[22:23], v[80:81] neg_lo:[0,1] neg_hi:[0,1]
	v_pk_add_f32 v[18:19], v[18:19], v[78:79] neg_lo:[0,1] neg_hi:[0,1]
	s_wait_dscnt 0x0
	v_pk_mul_f32 v[78:79], v[74:75], v[66:67] op_sel:[0,1]
	s_delay_alu instid0(VALU_DEP_1) | instskip(SKIP_2) | instid1(VALU_DEP_2)
	v_pk_fma_f32 v[80:81], v[74:75], v[64:65], v[78:79] op_sel:[0,0,1] op_sel_hi:[1,1,0] neg_lo:[0,0,1] neg_hi:[0,0,1]
	v_pk_fma_f32 v[74:75], v[74:75], v[64:65], v[78:79] op_sel:[0,0,1] op_sel_hi:[1,0,0]
	v_dual_mul_f32 v78, v77, v67 :: v_dual_mov_b32 v74, v77
	v_dual_mov_b32 v81, v75 :: v_dual_mov_b32 v75, v76
	s_delay_alu instid0(VALU_DEP_2) | instskip(SKIP_1) | instid1(VALU_DEP_3)
	v_pk_fma_f32 v[78:79], v[76:77], v[8:9], v[78:79] op_sel_hi:[1,1,0] neg_lo:[0,0,1] neg_hi:[0,0,1]
	v_mul_f32_e32 v76, v77, v64
	v_pk_add_f32 v[20:21], v[20:21], v[80:81] neg_lo:[0,1] neg_hi:[0,1]
	s_delay_alu instid0(VALU_DEP_2) | instskip(NEXT) | instid1(VALU_DEP_1)
	v_pk_fma_f32 v[74:75], v[74:75], v[8:9], v[76:77] op_sel_hi:[1,1,0]
	v_mov_b32_e32 v79, v75
	ds_load_2addr_b64 v[74:77], v68 offset0:12 offset1:13
	v_pk_add_f32 v[16:17], v[16:17], v[78:79] neg_lo:[0,1] neg_hi:[0,1]
	s_wait_dscnt 0x0
	v_pk_mul_f32 v[78:79], v[74:75], v[66:67] op_sel:[0,1]
	s_delay_alu instid0(VALU_DEP_1) | instskip(SKIP_1) | instid1(VALU_DEP_1)
	v_pk_fma_f32 v[80:81], v[74:75], v[64:65], v[78:79] op_sel:[0,0,1] op_sel_hi:[1,1,0] neg_lo:[0,0,1] neg_hi:[0,0,1]
	v_pk_fma_f32 v[74:75], v[74:75], v[64:65], v[78:79] op_sel:[0,0,1] op_sel_hi:[1,0,0]
	v_mov_b32_e32 v81, v75
	v_pk_mul_f32 v[74:75], v[76:77], v[66:67] op_sel:[0,1]
	s_delay_alu instid0(VALU_DEP_1) | instskip(SKIP_1) | instid1(VALU_DEP_1)
	v_pk_fma_f32 v[78:79], v[76:77], v[64:65], v[74:75] op_sel:[0,0,1] op_sel_hi:[1,1,0] neg_lo:[0,0,1] neg_hi:[0,0,1]
	v_pk_fma_f32 v[74:75], v[76:77], v[64:65], v[74:75] op_sel:[0,0,1] op_sel_hi:[1,0,0]
	v_mov_b32_e32 v79, v75
	ds_load_2addr_b64 v[74:77], v68 offset0:14 offset1:15
	v_pk_add_f32 v[30:31], v[30:31], v[80:81] neg_lo:[0,1] neg_hi:[0,1]
	v_pk_add_f32 v[26:27], v[26:27], v[78:79] neg_lo:[0,1] neg_hi:[0,1]
	s_wait_dscnt 0x0
	v_pk_mul_f32 v[78:79], v[74:75], v[66:67] op_sel:[0,1]
	s_delay_alu instid0(VALU_DEP_1) | instskip(SKIP_1) | instid1(VALU_DEP_1)
	v_pk_fma_f32 v[80:81], v[74:75], v[64:65], v[78:79] op_sel:[0,0,1] op_sel_hi:[1,1,0] neg_lo:[0,0,1] neg_hi:[0,0,1]
	v_pk_fma_f32 v[74:75], v[74:75], v[64:65], v[78:79] op_sel:[0,0,1] op_sel_hi:[1,0,0]
	v_mov_b32_e32 v81, v75
	v_pk_mul_f32 v[74:75], v[76:77], v[66:67] op_sel:[0,1]
	s_delay_alu instid0(VALU_DEP_1) | instskip(SKIP_1) | instid1(VALU_DEP_1)
	v_pk_fma_f32 v[78:79], v[76:77], v[64:65], v[74:75] op_sel:[0,0,1] op_sel_hi:[1,1,0] neg_lo:[0,0,1] neg_hi:[0,0,1]
	v_pk_fma_f32 v[74:75], v[76:77], v[64:65], v[74:75] op_sel:[0,0,1] op_sel_hi:[1,0,0]
	v_mov_b32_e32 v79, v75
	ds_load_2addr_b64 v[74:77], v68 offset0:16 offset1:17
	v_pk_add_f32 v[28:29], v[28:29], v[80:81] neg_lo:[0,1] neg_hi:[0,1]
	v_pk_add_f32 v[24:25], v[24:25], v[78:79] neg_lo:[0,1] neg_hi:[0,1]
	s_wait_dscnt 0x0
	v_dual_mul_f32 v78, v75, v67 :: v_dual_mul_f32 v80, v75, v64
	s_delay_alu instid0(VALU_DEP_1) | instskip(NEXT) | instid1(VALU_DEP_2)
	v_pk_fma_f32 v[78:79], v[74:75], v[8:9], v[78:79] op_sel_hi:[1,1,0] neg_lo:[0,0,1] neg_hi:[0,0,1]
	v_pk_fma_f32 v[74:75], v[74:75], v[8:9], v[80:81] op_sel:[1,0,0] op_sel_hi:[0,1,0]
	s_delay_alu instid0(VALU_DEP_1) | instskip(SKIP_1) | instid1(VALU_DEP_2)
	v_mov_b32_e32 v79, v75
	v_pk_mul_f32 v[74:75], v[76:77], v[66:67] op_sel:[0,1]
	v_pk_add_f32 v[50:51], v[50:51], v[78:79] neg_lo:[0,1] neg_hi:[0,1]
	s_delay_alu instid0(VALU_DEP_2) | instskip(SKIP_1) | instid1(VALU_DEP_1)
	v_pk_fma_f32 v[78:79], v[76:77], v[64:65], v[74:75] op_sel:[0,0,1] op_sel_hi:[1,1,0] neg_lo:[0,0,1] neg_hi:[0,0,1]
	v_pk_fma_f32 v[74:75], v[76:77], v[64:65], v[74:75] op_sel:[0,0,1] op_sel_hi:[1,0,0]
	v_mov_b32_e32 v79, v75
	ds_load_2addr_b64 v[74:77], v68 offset0:18 offset1:19
	v_pk_add_f32 v[46:47], v[46:47], v[78:79] neg_lo:[0,1] neg_hi:[0,1]
	s_wait_dscnt 0x0
	v_pk_mul_f32 v[78:79], v[74:75], v[66:67] op_sel:[0,1]
	s_delay_alu instid0(VALU_DEP_1) | instskip(SKIP_1) | instid1(VALU_DEP_1)
	v_pk_fma_f32 v[80:81], v[74:75], v[64:65], v[78:79] op_sel:[0,0,1] op_sel_hi:[1,1,0] neg_lo:[0,0,1] neg_hi:[0,0,1]
	v_pk_fma_f32 v[74:75], v[74:75], v[64:65], v[78:79] op_sel:[0,0,1] op_sel_hi:[1,0,0]
	v_mov_b32_e32 v81, v75
	v_pk_mul_f32 v[74:75], v[76:77], v[66:67] op_sel:[0,1]
	s_delay_alu instid0(VALU_DEP_2) | instskip(NEXT) | instid1(VALU_DEP_2)
	v_pk_add_f32 v[48:49], v[48:49], v[80:81] neg_lo:[0,1] neg_hi:[0,1]
	v_pk_fma_f32 v[78:79], v[76:77], v[64:65], v[74:75] op_sel:[0,0,1] op_sel_hi:[1,1,0] neg_lo:[0,0,1] neg_hi:[0,0,1]
	v_pk_fma_f32 v[74:75], v[76:77], v[64:65], v[74:75] op_sel:[0,0,1] op_sel_hi:[1,0,0]
	s_delay_alu instid0(VALU_DEP_1) | instskip(SKIP_4) | instid1(VALU_DEP_1)
	v_mov_b32_e32 v79, v75
	ds_load_2addr_b64 v[74:77], v68 offset0:20 offset1:21
	v_pk_add_f32 v[44:45], v[44:45], v[78:79] neg_lo:[0,1] neg_hi:[0,1]
	s_wait_dscnt 0x0
	v_pk_mul_f32 v[78:79], v[74:75], v[66:67] op_sel:[0,1]
	v_pk_fma_f32 v[80:81], v[74:75], v[64:65], v[78:79] op_sel:[0,0,1] op_sel_hi:[1,1,0] neg_lo:[0,0,1] neg_hi:[0,0,1]
	v_pk_fma_f32 v[74:75], v[74:75], v[64:65], v[78:79] op_sel:[0,0,1] op_sel_hi:[1,0,0]
	v_dual_mul_f32 v78, v77, v67 :: v_dual_mov_b32 v74, v77
	s_delay_alu instid0(VALU_DEP_2) | instskip(NEXT) | instid1(VALU_DEP_2)
	v_dual_mov_b32 v81, v75 :: v_dual_mov_b32 v75, v76
	v_pk_fma_f32 v[78:79], v[76:77], v[8:9], v[78:79] op_sel_hi:[1,1,0] neg_lo:[0,0,1] neg_hi:[0,0,1]
	v_mul_f32_e32 v76, v77, v64
	s_delay_alu instid0(VALU_DEP_3) | instskip(NEXT) | instid1(VALU_DEP_2)
	v_pk_add_f32 v[38:39], v[38:39], v[80:81] neg_lo:[0,1] neg_hi:[0,1]
	v_pk_fma_f32 v[74:75], v[74:75], v[8:9], v[76:77] op_sel_hi:[1,1,0]
	s_delay_alu instid0(VALU_DEP_1) | instskip(SKIP_4) | instid1(VALU_DEP_1)
	v_mov_b32_e32 v79, v75
	ds_load_2addr_b64 v[74:77], v68 offset0:22 offset1:23
	v_pk_add_f32 v[34:35], v[34:35], v[78:79] neg_lo:[0,1] neg_hi:[0,1]
	s_wait_dscnt 0x0
	v_pk_mul_f32 v[78:79], v[74:75], v[66:67] op_sel:[0,1]
	v_pk_fma_f32 v[80:81], v[74:75], v[64:65], v[78:79] op_sel:[0,0,1] op_sel_hi:[1,1,0] neg_lo:[0,0,1] neg_hi:[0,0,1]
	v_pk_fma_f32 v[74:75], v[74:75], v[64:65], v[78:79] op_sel:[0,0,1] op_sel_hi:[1,0,0]
	s_delay_alu instid0(VALU_DEP_1) | instskip(SKIP_1) | instid1(VALU_DEP_1)
	v_mov_b32_e32 v81, v75
	v_pk_mul_f32 v[74:75], v[76:77], v[66:67] op_sel:[0,1]
	v_pk_fma_f32 v[78:79], v[76:77], v[64:65], v[74:75] op_sel:[0,0,1] op_sel_hi:[1,1,0] neg_lo:[0,0,1] neg_hi:[0,0,1]
	v_pk_fma_f32 v[74:75], v[76:77], v[64:65], v[74:75] op_sel:[0,0,1] op_sel_hi:[1,0,0]
	s_delay_alu instid0(VALU_DEP_1)
	v_mov_b32_e32 v79, v75
	ds_load_2addr_b64 v[74:77], v68 offset0:24 offset1:25
	v_pk_add_f32 v[36:37], v[36:37], v[80:81] neg_lo:[0,1] neg_hi:[0,1]
	v_pk_add_f32 v[32:33], v[32:33], v[78:79] neg_lo:[0,1] neg_hi:[0,1]
	s_wait_dscnt 0x0
	v_pk_mul_f32 v[78:79], v[74:75], v[66:67] op_sel:[0,1]
	s_delay_alu instid0(VALU_DEP_1) | instskip(SKIP_1) | instid1(VALU_DEP_1)
	v_pk_fma_f32 v[80:81], v[74:75], v[64:65], v[78:79] op_sel:[0,0,1] op_sel_hi:[1,1,0] neg_lo:[0,0,1] neg_hi:[0,0,1]
	v_pk_fma_f32 v[74:75], v[74:75], v[64:65], v[78:79] op_sel:[0,0,1] op_sel_hi:[1,0,0]
	v_mov_b32_e32 v81, v75
	v_pk_mul_f32 v[74:75], v[76:77], v[66:67] op_sel:[0,1]
	s_delay_alu instid0(VALU_DEP_1) | instskip(SKIP_1) | instid1(VALU_DEP_1)
	v_pk_fma_f32 v[78:79], v[76:77], v[64:65], v[74:75] op_sel:[0,0,1] op_sel_hi:[1,1,0] neg_lo:[0,0,1] neg_hi:[0,0,1]
	v_pk_fma_f32 v[74:75], v[76:77], v[64:65], v[74:75] op_sel:[0,0,1] op_sel_hi:[1,0,0]
	v_mov_b32_e32 v79, v75
	ds_load_2addr_b64 v[74:77], v68 offset0:26 offset1:27
	v_pk_add_f32 v[6:7], v[6:7], v[80:81] neg_lo:[0,1] neg_hi:[0,1]
	v_pk_add_f32 v[52:53], v[52:53], v[78:79] neg_lo:[0,1] neg_hi:[0,1]
	s_wait_dscnt 0x0
	v_dual_mul_f32 v78, v75, v67 :: v_dual_mul_f32 v80, v75, v64
	s_delay_alu instid0(VALU_DEP_1) | instskip(NEXT) | instid1(VALU_DEP_2)
	v_pk_fma_f32 v[78:79], v[74:75], v[8:9], v[78:79] op_sel_hi:[1,1,0] neg_lo:[0,0,1] neg_hi:[0,0,1]
	v_pk_fma_f32 v[74:75], v[74:75], v[8:9], v[80:81] op_sel:[1,0,0] op_sel_hi:[0,1,0]
	s_delay_alu instid0(VALU_DEP_1) | instskip(SKIP_1) | instid1(VALU_DEP_2)
	v_mov_b32_e32 v79, v75
	v_pk_mul_f32 v[74:75], v[76:77], v[66:67] op_sel:[0,1]
	v_pk_add_f32 v[42:43], v[42:43], v[78:79] neg_lo:[0,1] neg_hi:[0,1]
	s_delay_alu instid0(VALU_DEP_2) | instskip(SKIP_1) | instid1(VALU_DEP_1)
	v_pk_fma_f32 v[78:79], v[76:77], v[64:65], v[74:75] op_sel:[0,0,1] op_sel_hi:[1,1,0] neg_lo:[0,0,1] neg_hi:[0,0,1]
	v_pk_fma_f32 v[74:75], v[76:77], v[64:65], v[74:75] op_sel:[0,0,1] op_sel_hi:[1,0,0]
	v_mov_b32_e32 v79, v75
	ds_load_b64 v[74:75], v68 offset:224
	v_pk_add_f32 v[40:41], v[40:41], v[78:79] neg_lo:[0,1] neg_hi:[0,1]
	s_wait_dscnt 0x0
	v_pk_mul_f32 v[66:67], v[74:75], v[66:67] op_sel:[0,1]
	s_delay_alu instid0(VALU_DEP_1) | instskip(SKIP_1) | instid1(VALU_DEP_1)
	v_pk_fma_f32 v[76:77], v[74:75], v[64:65], v[66:67] op_sel:[0,0,1] op_sel_hi:[1,1,0] neg_lo:[0,0,1] neg_hi:[0,0,1]
	v_pk_fma_f32 v[64:65], v[74:75], v[64:65], v[66:67] op_sel:[0,0,1] op_sel_hi:[1,0,0]
	v_mov_b32_e32 v77, v65
	s_delay_alu instid0(VALU_DEP_1)
	v_pk_add_f32 v[62:63], v[62:63], v[76:77] neg_lo:[0,1] neg_hi:[0,1]
.LBB56_167:
	s_or_b32 exec_lo, exec_lo, s0
	v_lshl_add_u32 v64, v72, 3, v68
	s_barrier_signal -1
	s_barrier_wait -1
	ds_store_b64 v64, v[22:23]
	s_wait_dscnt 0x0
	s_barrier_signal -1
	s_barrier_wait -1
	ds_load_b64 v[66:67], v68 offset:64
	v_mov_b32_e32 v64, 8
	s_cmp_lt_i32 s18, 10
	s_cbranch_scc1 .LBB56_170
; %bb.168:
	v_add3_u32 v65, v69, 0, 0x48
	v_mov_b32_e32 v64, 8
	s_mov_b32 s0, 9
.LBB56_169:                             ; =>This Inner Loop Header: Depth=1
	ds_load_b64 v[74:75], v65
	s_wait_dscnt 0x1
	v_cmp_gt_f32_e32 vcc_lo, 0, v66
	v_cndmask_b32_e64 v76, v66, -v66, vcc_lo
	v_cmp_gt_f32_e32 vcc_lo, 0, v67
	v_cndmask_b32_e64 v78, v67, -v67, vcc_lo
	s_wait_dscnt 0x0
	v_cmp_gt_f32_e32 vcc_lo, 0, v74
	v_cndmask_b32_e64 v77, v74, -v74, vcc_lo
	v_cmp_gt_f32_e32 vcc_lo, 0, v75
	v_cndmask_b32_e64 v79, v75, -v75, vcc_lo
	s_delay_alu instid0(VALU_DEP_1) | instskip(NEXT) | instid1(VALU_DEP_1)
	v_pk_add_f32 v[76:77], v[76:77], v[78:79]
	v_cmp_lt_f32_e32 vcc_lo, v76, v77
	v_dual_add_nc_u32 v65, 8, v65 :: v_dual_cndmask_b32 v67, v67, v75, vcc_lo
	v_cndmask_b32_e32 v66, v66, v74, vcc_lo
	v_cndmask_b32_e64 v64, v64, s0, vcc_lo
	s_add_co_i32 s0, s0, 1
	s_delay_alu instid0(SALU_CYCLE_1)
	s_cmp_lg_u32 s18, s0
	s_cbranch_scc1 .LBB56_169
.LBB56_170:
	s_wait_dscnt 0x0
	v_cmp_eq_f32_e32 vcc_lo, 0, v66
	v_cmp_eq_f32_e64 s0, 0, v67
	s_and_b32 s0, vcc_lo, s0
	s_delay_alu instid0(SALU_CYCLE_1) | instskip(NEXT) | instid1(SALU_CYCLE_1)
	s_and_saveexec_b32 s1, s0
	s_xor_b32 s0, exec_lo, s1
; %bb.171:
	v_cmp_ne_u32_e32 vcc_lo, 0, v70
	v_cndmask_b32_e32 v70, 9, v70, vcc_lo
; %bb.172:
	s_and_not1_saveexec_b32 s0, s0
	s_cbranch_execz .LBB56_178
; %bb.173:
	v_cmp_ngt_f32_e64 s1, |v66|, |v67|
	s_and_saveexec_b32 s12, s1
	s_delay_alu instid0(SALU_CYCLE_1)
	s_xor_b32 s1, exec_lo, s12
	s_cbranch_execz .LBB56_175
; %bb.174:
	v_div_scale_f32 v65, null, v67, v67, v66
	v_div_scale_f32 v75, vcc_lo, v66, v67, v66
	s_delay_alu instid0(VALU_DEP_2) | instskip(SKIP_1) | instid1(TRANS32_DEP_1)
	v_rcp_f32_e32 v73, v65
	v_nop
	v_fma_f32 v74, -v65, v73, 1.0
	s_delay_alu instid0(VALU_DEP_1) | instskip(NEXT) | instid1(VALU_DEP_1)
	v_fmac_f32_e32 v73, v74, v73
	v_mul_f32_e32 v74, v75, v73
	s_delay_alu instid0(VALU_DEP_1) | instskip(NEXT) | instid1(VALU_DEP_1)
	v_fma_f32 v76, -v65, v74, v75
	v_fmac_f32_e32 v74, v76, v73
	s_delay_alu instid0(VALU_DEP_1) | instskip(NEXT) | instid1(VALU_DEP_1)
	v_fma_f32 v65, -v65, v74, v75
	v_div_fmas_f32 v65, v65, v73, v74
	s_delay_alu instid0(VALU_DEP_1) | instskip(NEXT) | instid1(VALU_DEP_1)
	v_div_fixup_f32 v65, v65, v67, v66
	v_fmac_f32_e32 v67, v66, v65
	s_delay_alu instid0(VALU_DEP_1) | instskip(SKIP_1) | instid1(VALU_DEP_2)
	v_div_scale_f32 v66, null, v67, v67, 1.0
	v_div_scale_f32 v75, vcc_lo, 1.0, v67, 1.0
	v_rcp_f32_e32 v73, v66
	v_nop
	s_delay_alu instid0(TRANS32_DEP_1) | instskip(NEXT) | instid1(VALU_DEP_1)
	v_fma_f32 v74, -v66, v73, 1.0
	v_fmac_f32_e32 v73, v74, v73
	s_delay_alu instid0(VALU_DEP_1) | instskip(NEXT) | instid1(VALU_DEP_1)
	v_mul_f32_e32 v74, v75, v73
	v_fma_f32 v76, -v66, v74, v75
	s_delay_alu instid0(VALU_DEP_1) | instskip(NEXT) | instid1(VALU_DEP_1)
	v_fmac_f32_e32 v74, v76, v73
	v_fma_f32 v66, -v66, v74, v75
	s_delay_alu instid0(VALU_DEP_1) | instskip(NEXT) | instid1(VALU_DEP_1)
	v_div_fmas_f32 v66, v66, v73, v74
	v_div_fixup_f32 v67, v66, v67, 1.0
	s_delay_alu instid0(VALU_DEP_1)
	v_mul_f32_e32 v66, v65, v67
	v_xor_b32_e32 v67, 0x80000000, v67
.LBB56_175:
	s_and_not1_saveexec_b32 s1, s1
	s_cbranch_execz .LBB56_177
; %bb.176:
	s_delay_alu instid0(VALU_DEP_1) | instskip(SKIP_1) | instid1(VALU_DEP_2)
	v_div_scale_f32 v65, null, v66, v66, v67
	v_div_scale_f32 v75, vcc_lo, v67, v66, v67
	v_rcp_f32_e32 v73, v65
	v_nop
	s_delay_alu instid0(TRANS32_DEP_1) | instskip(NEXT) | instid1(VALU_DEP_1)
	v_fma_f32 v74, -v65, v73, 1.0
	v_fmac_f32_e32 v73, v74, v73
	s_delay_alu instid0(VALU_DEP_1) | instskip(NEXT) | instid1(VALU_DEP_1)
	v_mul_f32_e32 v74, v75, v73
	v_fma_f32 v76, -v65, v74, v75
	s_delay_alu instid0(VALU_DEP_1) | instskip(NEXT) | instid1(VALU_DEP_1)
	v_fmac_f32_e32 v74, v76, v73
	v_fma_f32 v65, -v65, v74, v75
	s_delay_alu instid0(VALU_DEP_1) | instskip(NEXT) | instid1(VALU_DEP_1)
	v_div_fmas_f32 v65, v65, v73, v74
	v_div_fixup_f32 v65, v65, v66, v67
	s_delay_alu instid0(VALU_DEP_1) | instskip(NEXT) | instid1(VALU_DEP_1)
	v_fmac_f32_e32 v66, v67, v65
	v_div_scale_f32 v67, null, v66, v66, 1.0
	s_delay_alu instid0(VALU_DEP_1) | instskip(SKIP_1) | instid1(TRANS32_DEP_1)
	v_rcp_f32_e32 v73, v67
	v_nop
	v_fma_f32 v74, -v67, v73, 1.0
	s_delay_alu instid0(VALU_DEP_1) | instskip(SKIP_1) | instid1(VALU_DEP_1)
	v_fmac_f32_e32 v73, v74, v73
	v_div_scale_f32 v74, vcc_lo, 1.0, v66, 1.0
	v_mul_f32_e32 v75, v74, v73
	s_delay_alu instid0(VALU_DEP_1) | instskip(NEXT) | instid1(VALU_DEP_1)
	v_fma_f32 v76, -v67, v75, v74
	v_fmac_f32_e32 v75, v76, v73
	s_delay_alu instid0(VALU_DEP_1) | instskip(NEXT) | instid1(VALU_DEP_1)
	v_fma_f32 v67, -v67, v75, v74
	v_div_fmas_f32 v67, v67, v73, v75
	s_delay_alu instid0(VALU_DEP_1) | instskip(NEXT) | instid1(VALU_DEP_1)
	v_div_fixup_f32 v66, v67, v66, 1.0
	v_mul_f32_e64 v67, v65, -v66
.LBB56_177:
	s_or_b32 exec_lo, exec_lo, s1
.LBB56_178:
	s_delay_alu instid0(SALU_CYCLE_1) | instskip(NEXT) | instid1(SALU_CYCLE_1)
	s_or_b32 exec_lo, exec_lo, s0
	s_mov_b32 s0, exec_lo
	v_cmpx_ne_u32_e64 v72, v64
	s_xor_b32 s0, exec_lo, s0
	s_cbranch_execz .LBB56_184
; %bb.179:
	s_mov_b32 s1, exec_lo
	v_cmpx_eq_u32_e32 8, v72
	s_cbranch_execz .LBB56_183
; %bb.180:
	v_cmp_ne_u32_e32 vcc_lo, 8, v64
	s_xor_b32 s12, s16, -1
	s_delay_alu instid0(SALU_CYCLE_1) | instskip(NEXT) | instid1(SALU_CYCLE_1)
	s_and_b32 s13, s12, vcc_lo
	s_and_saveexec_b32 s12, s13
	s_cbranch_execz .LBB56_182
; %bb.181:
	v_ashrrev_i32_e32 v65, 31, v64
	s_delay_alu instid0(VALU_DEP_1)
	v_lshl_add_u64 v[72:73], v[64:65], 2, v[4:5]
	s_clause 0x1
	global_load_b32 v65, v[72:73], off
	global_load_b32 v71, v[4:5], off offset:32
	s_wait_loadcnt 0x1
	global_store_b32 v[4:5], v65, off offset:32
	s_wait_loadcnt 0x0
	global_store_b32 v[72:73], v71, off
.LBB56_182:
	s_wait_xcnt 0x0
	s_or_b32 exec_lo, exec_lo, s12
	v_dual_mov_b32 v72, v64 :: v_dual_mov_b32 v71, v64
.LBB56_183:
	s_or_b32 exec_lo, exec_lo, s1
.LBB56_184:
	s_and_not1_saveexec_b32 s0, s0
	s_cbranch_execz .LBB56_186
; %bb.185:
	v_mov_b32_e32 v72, 8
	ds_store_2addr_b64 v68, v[18:19], v[20:21] offset0:9 offset1:10
	ds_store_2addr_b64 v68, v[16:17], v[30:31] offset0:11 offset1:12
	;; [unrolled: 1-line block ×10, first 2 shown]
.LBB56_186:
	s_or_b32 exec_lo, exec_lo, s0
	s_delay_alu instid0(SALU_CYCLE_1)
	s_mov_b32 s0, exec_lo
	s_wait_storecnt_dscnt 0x0
	s_barrier_signal -1
	s_barrier_wait -1
	v_cmpx_lt_i32_e32 8, v72
	s_cbranch_execz .LBB56_188
; %bb.187:
	v_pk_mul_f32 v[74:75], v[66:67], v[22:23] op_sel:[1,1] op_sel_hi:[0,1]
	s_delay_alu instid0(VALU_DEP_1)
	v_pk_fma_f32 v[64:65], v[66:67], v[22:23], v[74:75] op_sel_hi:[1,0,1] neg_lo:[0,0,1] neg_hi:[0,0,1]
	v_pk_fma_f32 v[66:67], v[66:67], v[22:23], v[74:75] op_sel_hi:[1,0,1]
	ds_load_2addr_b64 v[74:77], v68 offset0:9 offset1:10
	v_dual_mov_b32 v22, v64 :: v_dual_mov_b32 v23, v67
	s_wait_dscnt 0x0
	v_pk_mul_f32 v[78:79], v[74:75], v[66:67] op_sel:[0,1]
	s_delay_alu instid0(VALU_DEP_1) | instskip(SKIP_1) | instid1(VALU_DEP_1)
	v_pk_fma_f32 v[80:81], v[74:75], v[64:65], v[78:79] op_sel:[0,0,1] op_sel_hi:[1,1,0] neg_lo:[0,0,1] neg_hi:[0,0,1]
	v_pk_fma_f32 v[74:75], v[74:75], v[64:65], v[78:79] op_sel:[0,0,1] op_sel_hi:[1,0,0]
	v_mov_b32_e32 v81, v75
	v_pk_mul_f32 v[74:75], v[76:77], v[66:67] op_sel:[0,1]
	s_delay_alu instid0(VALU_DEP_1) | instskip(SKIP_1) | instid1(VALU_DEP_1)
	v_pk_fma_f32 v[78:79], v[76:77], v[64:65], v[74:75] op_sel:[0,0,1] op_sel_hi:[1,1,0] neg_lo:[0,0,1] neg_hi:[0,0,1]
	v_pk_fma_f32 v[74:75], v[76:77], v[64:65], v[74:75] op_sel:[0,0,1] op_sel_hi:[1,0,0]
	v_mov_b32_e32 v79, v75
	ds_load_2addr_b64 v[74:77], v68 offset0:11 offset1:12
	v_pk_add_f32 v[18:19], v[18:19], v[80:81] neg_lo:[0,1] neg_hi:[0,1]
	v_pk_add_f32 v[20:21], v[20:21], v[78:79] neg_lo:[0,1] neg_hi:[0,1]
	s_wait_dscnt 0x0
	v_pk_mul_f32 v[78:79], v[74:75], v[66:67] op_sel:[0,1]
	s_delay_alu instid0(VALU_DEP_1) | instskip(SKIP_2) | instid1(VALU_DEP_2)
	v_pk_fma_f32 v[80:81], v[74:75], v[64:65], v[78:79] op_sel:[0,0,1] op_sel_hi:[1,1,0] neg_lo:[0,0,1] neg_hi:[0,0,1]
	v_pk_fma_f32 v[74:75], v[74:75], v[64:65], v[78:79] op_sel:[0,0,1] op_sel_hi:[1,0,0]
	v_dual_mul_f32 v78, v77, v67 :: v_dual_mov_b32 v74, v77
	v_dual_mov_b32 v81, v75 :: v_dual_mov_b32 v75, v76
	s_delay_alu instid0(VALU_DEP_2) | instskip(SKIP_1) | instid1(VALU_DEP_3)
	v_pk_fma_f32 v[78:79], v[76:77], v[22:23], v[78:79] op_sel_hi:[1,1,0] neg_lo:[0,0,1] neg_hi:[0,0,1]
	v_mul_f32_e32 v76, v77, v64
	v_pk_add_f32 v[16:17], v[16:17], v[80:81] neg_lo:[0,1] neg_hi:[0,1]
	s_delay_alu instid0(VALU_DEP_2) | instskip(NEXT) | instid1(VALU_DEP_1)
	v_pk_fma_f32 v[74:75], v[74:75], v[22:23], v[76:77] op_sel_hi:[1,1,0]
	v_mov_b32_e32 v79, v75
	ds_load_2addr_b64 v[74:77], v68 offset0:13 offset1:14
	v_pk_add_f32 v[30:31], v[30:31], v[78:79] neg_lo:[0,1] neg_hi:[0,1]
	s_wait_dscnt 0x0
	v_pk_mul_f32 v[78:79], v[74:75], v[66:67] op_sel:[0,1]
	s_delay_alu instid0(VALU_DEP_1) | instskip(SKIP_1) | instid1(VALU_DEP_1)
	v_pk_fma_f32 v[80:81], v[74:75], v[64:65], v[78:79] op_sel:[0,0,1] op_sel_hi:[1,1,0] neg_lo:[0,0,1] neg_hi:[0,0,1]
	v_pk_fma_f32 v[74:75], v[74:75], v[64:65], v[78:79] op_sel:[0,0,1] op_sel_hi:[1,0,0]
	v_mov_b32_e32 v81, v75
	v_pk_mul_f32 v[74:75], v[76:77], v[66:67] op_sel:[0,1]
	s_delay_alu instid0(VALU_DEP_1) | instskip(SKIP_1) | instid1(VALU_DEP_1)
	v_pk_fma_f32 v[78:79], v[76:77], v[64:65], v[74:75] op_sel:[0,0,1] op_sel_hi:[1,1,0] neg_lo:[0,0,1] neg_hi:[0,0,1]
	v_pk_fma_f32 v[74:75], v[76:77], v[64:65], v[74:75] op_sel:[0,0,1] op_sel_hi:[1,0,0]
	v_mov_b32_e32 v79, v75
	ds_load_2addr_b64 v[74:77], v68 offset0:15 offset1:16
	v_pk_add_f32 v[26:27], v[26:27], v[80:81] neg_lo:[0,1] neg_hi:[0,1]
	v_pk_add_f32 v[28:29], v[28:29], v[78:79] neg_lo:[0,1] neg_hi:[0,1]
	s_wait_dscnt 0x0
	v_pk_mul_f32 v[78:79], v[74:75], v[66:67] op_sel:[0,1]
	s_delay_alu instid0(VALU_DEP_1) | instskip(SKIP_1) | instid1(VALU_DEP_1)
	v_pk_fma_f32 v[80:81], v[74:75], v[64:65], v[78:79] op_sel:[0,0,1] op_sel_hi:[1,1,0] neg_lo:[0,0,1] neg_hi:[0,0,1]
	v_pk_fma_f32 v[74:75], v[74:75], v[64:65], v[78:79] op_sel:[0,0,1] op_sel_hi:[1,0,0]
	v_mov_b32_e32 v81, v75
	v_pk_mul_f32 v[74:75], v[76:77], v[66:67] op_sel:[0,1]
	s_delay_alu instid0(VALU_DEP_1) | instskip(SKIP_1) | instid1(VALU_DEP_1)
	v_pk_fma_f32 v[78:79], v[76:77], v[64:65], v[74:75] op_sel:[0,0,1] op_sel_hi:[1,1,0] neg_lo:[0,0,1] neg_hi:[0,0,1]
	v_pk_fma_f32 v[74:75], v[76:77], v[64:65], v[74:75] op_sel:[0,0,1] op_sel_hi:[1,0,0]
	v_mov_b32_e32 v79, v75
	ds_load_2addr_b64 v[74:77], v68 offset0:17 offset1:18
	v_pk_add_f32 v[24:25], v[24:25], v[80:81] neg_lo:[0,1] neg_hi:[0,1]
	v_pk_add_f32 v[50:51], v[50:51], v[78:79] neg_lo:[0,1] neg_hi:[0,1]
	s_wait_dscnt 0x0
	v_dual_mul_f32 v78, v75, v67 :: v_dual_mul_f32 v80, v75, v64
	s_delay_alu instid0(VALU_DEP_1) | instskip(NEXT) | instid1(VALU_DEP_2)
	v_pk_fma_f32 v[78:79], v[74:75], v[22:23], v[78:79] op_sel_hi:[1,1,0] neg_lo:[0,0,1] neg_hi:[0,0,1]
	v_pk_fma_f32 v[74:75], v[74:75], v[22:23], v[80:81] op_sel:[1,0,0] op_sel_hi:[0,1,0]
	s_delay_alu instid0(VALU_DEP_1) | instskip(SKIP_1) | instid1(VALU_DEP_2)
	v_mov_b32_e32 v79, v75
	v_pk_mul_f32 v[74:75], v[76:77], v[66:67] op_sel:[0,1]
	v_pk_add_f32 v[46:47], v[46:47], v[78:79] neg_lo:[0,1] neg_hi:[0,1]
	s_delay_alu instid0(VALU_DEP_2) | instskip(SKIP_1) | instid1(VALU_DEP_1)
	v_pk_fma_f32 v[78:79], v[76:77], v[64:65], v[74:75] op_sel:[0,0,1] op_sel_hi:[1,1,0] neg_lo:[0,0,1] neg_hi:[0,0,1]
	v_pk_fma_f32 v[74:75], v[76:77], v[64:65], v[74:75] op_sel:[0,0,1] op_sel_hi:[1,0,0]
	v_mov_b32_e32 v79, v75
	ds_load_2addr_b64 v[74:77], v68 offset0:19 offset1:20
	v_pk_add_f32 v[48:49], v[48:49], v[78:79] neg_lo:[0,1] neg_hi:[0,1]
	s_wait_dscnt 0x0
	v_pk_mul_f32 v[78:79], v[74:75], v[66:67] op_sel:[0,1]
	s_delay_alu instid0(VALU_DEP_1) | instskip(SKIP_1) | instid1(VALU_DEP_1)
	v_pk_fma_f32 v[80:81], v[74:75], v[64:65], v[78:79] op_sel:[0,0,1] op_sel_hi:[1,1,0] neg_lo:[0,0,1] neg_hi:[0,0,1]
	v_pk_fma_f32 v[74:75], v[74:75], v[64:65], v[78:79] op_sel:[0,0,1] op_sel_hi:[1,0,0]
	v_mov_b32_e32 v81, v75
	v_pk_mul_f32 v[74:75], v[76:77], v[66:67] op_sel:[0,1]
	s_delay_alu instid0(VALU_DEP_2) | instskip(NEXT) | instid1(VALU_DEP_2)
	v_pk_add_f32 v[44:45], v[44:45], v[80:81] neg_lo:[0,1] neg_hi:[0,1]
	v_pk_fma_f32 v[78:79], v[76:77], v[64:65], v[74:75] op_sel:[0,0,1] op_sel_hi:[1,1,0] neg_lo:[0,0,1] neg_hi:[0,0,1]
	v_pk_fma_f32 v[74:75], v[76:77], v[64:65], v[74:75] op_sel:[0,0,1] op_sel_hi:[1,0,0]
	s_delay_alu instid0(VALU_DEP_1) | instskip(SKIP_4) | instid1(VALU_DEP_1)
	v_mov_b32_e32 v79, v75
	ds_load_2addr_b64 v[74:77], v68 offset0:21 offset1:22
	v_pk_add_f32 v[38:39], v[38:39], v[78:79] neg_lo:[0,1] neg_hi:[0,1]
	s_wait_dscnt 0x0
	v_pk_mul_f32 v[78:79], v[74:75], v[66:67] op_sel:[0,1]
	v_pk_fma_f32 v[80:81], v[74:75], v[64:65], v[78:79] op_sel:[0,0,1] op_sel_hi:[1,1,0] neg_lo:[0,0,1] neg_hi:[0,0,1]
	v_pk_fma_f32 v[74:75], v[74:75], v[64:65], v[78:79] op_sel:[0,0,1] op_sel_hi:[1,0,0]
	v_dual_mul_f32 v78, v77, v67 :: v_dual_mov_b32 v74, v77
	s_delay_alu instid0(VALU_DEP_2) | instskip(NEXT) | instid1(VALU_DEP_2)
	v_dual_mov_b32 v81, v75 :: v_dual_mov_b32 v75, v76
	v_pk_fma_f32 v[78:79], v[76:77], v[22:23], v[78:79] op_sel_hi:[1,1,0] neg_lo:[0,0,1] neg_hi:[0,0,1]
	v_mul_f32_e32 v76, v77, v64
	s_delay_alu instid0(VALU_DEP_3) | instskip(NEXT) | instid1(VALU_DEP_2)
	v_pk_add_f32 v[34:35], v[34:35], v[80:81] neg_lo:[0,1] neg_hi:[0,1]
	v_pk_fma_f32 v[74:75], v[74:75], v[22:23], v[76:77] op_sel_hi:[1,1,0]
	s_delay_alu instid0(VALU_DEP_1) | instskip(SKIP_4) | instid1(VALU_DEP_1)
	v_mov_b32_e32 v79, v75
	ds_load_2addr_b64 v[74:77], v68 offset0:23 offset1:24
	v_pk_add_f32 v[36:37], v[36:37], v[78:79] neg_lo:[0,1] neg_hi:[0,1]
	s_wait_dscnt 0x0
	v_pk_mul_f32 v[78:79], v[74:75], v[66:67] op_sel:[0,1]
	v_pk_fma_f32 v[80:81], v[74:75], v[64:65], v[78:79] op_sel:[0,0,1] op_sel_hi:[1,1,0] neg_lo:[0,0,1] neg_hi:[0,0,1]
	v_pk_fma_f32 v[74:75], v[74:75], v[64:65], v[78:79] op_sel:[0,0,1] op_sel_hi:[1,0,0]
	s_delay_alu instid0(VALU_DEP_1) | instskip(SKIP_1) | instid1(VALU_DEP_1)
	v_mov_b32_e32 v81, v75
	v_pk_mul_f32 v[74:75], v[76:77], v[66:67] op_sel:[0,1]
	v_pk_fma_f32 v[78:79], v[76:77], v[64:65], v[74:75] op_sel:[0,0,1] op_sel_hi:[1,1,0] neg_lo:[0,0,1] neg_hi:[0,0,1]
	v_pk_fma_f32 v[74:75], v[76:77], v[64:65], v[74:75] op_sel:[0,0,1] op_sel_hi:[1,0,0]
	s_delay_alu instid0(VALU_DEP_1)
	v_mov_b32_e32 v79, v75
	ds_load_2addr_b64 v[74:77], v68 offset0:25 offset1:26
	v_pk_add_f32 v[32:33], v[32:33], v[80:81] neg_lo:[0,1] neg_hi:[0,1]
	v_pk_add_f32 v[6:7], v[6:7], v[78:79] neg_lo:[0,1] neg_hi:[0,1]
	s_wait_dscnt 0x0
	v_pk_mul_f32 v[78:79], v[74:75], v[66:67] op_sel:[0,1]
	s_delay_alu instid0(VALU_DEP_1) | instskip(SKIP_1) | instid1(VALU_DEP_1)
	v_pk_fma_f32 v[80:81], v[74:75], v[64:65], v[78:79] op_sel:[0,0,1] op_sel_hi:[1,1,0] neg_lo:[0,0,1] neg_hi:[0,0,1]
	v_pk_fma_f32 v[74:75], v[74:75], v[64:65], v[78:79] op_sel:[0,0,1] op_sel_hi:[1,0,0]
	v_mov_b32_e32 v81, v75
	v_pk_mul_f32 v[74:75], v[76:77], v[66:67] op_sel:[0,1]
	s_delay_alu instid0(VALU_DEP_1) | instskip(SKIP_1) | instid1(VALU_DEP_1)
	v_pk_fma_f32 v[78:79], v[76:77], v[64:65], v[74:75] op_sel:[0,0,1] op_sel_hi:[1,1,0] neg_lo:[0,0,1] neg_hi:[0,0,1]
	v_pk_fma_f32 v[74:75], v[76:77], v[64:65], v[74:75] op_sel:[0,0,1] op_sel_hi:[1,0,0]
	v_mov_b32_e32 v79, v75
	ds_load_2addr_b64 v[74:77], v68 offset0:27 offset1:28
	v_pk_add_f32 v[52:53], v[52:53], v[80:81] neg_lo:[0,1] neg_hi:[0,1]
	v_pk_add_f32 v[42:43], v[42:43], v[78:79] neg_lo:[0,1] neg_hi:[0,1]
	s_wait_dscnt 0x0
	v_dual_mul_f32 v78, v75, v67 :: v_dual_mul_f32 v80, v75, v64
	v_pk_mul_f32 v[66:67], v[76:77], v[66:67] op_sel:[0,1]
	s_delay_alu instid0(VALU_DEP_2) | instskip(NEXT) | instid1(VALU_DEP_3)
	v_pk_fma_f32 v[78:79], v[74:75], v[22:23], v[78:79] op_sel_hi:[1,1,0] neg_lo:[0,0,1] neg_hi:[0,0,1]
	v_pk_fma_f32 v[74:75], v[74:75], v[22:23], v[80:81] op_sel:[1,0,0] op_sel_hi:[0,1,0]
	s_delay_alu instid0(VALU_DEP_1) | instskip(NEXT) | instid1(VALU_DEP_4)
	v_mov_b32_e32 v79, v75
	v_pk_fma_f32 v[74:75], v[76:77], v[64:65], v[66:67] op_sel:[0,0,1] op_sel_hi:[1,1,0] neg_lo:[0,0,1] neg_hi:[0,0,1]
	v_pk_fma_f32 v[64:65], v[76:77], v[64:65], v[66:67] op_sel:[0,0,1] op_sel_hi:[1,0,0]
	s_delay_alu instid0(VALU_DEP_1) | instskip(NEXT) | instid1(VALU_DEP_4)
	v_mov_b32_e32 v75, v65
	v_pk_add_f32 v[40:41], v[40:41], v[78:79] neg_lo:[0,1] neg_hi:[0,1]
	s_delay_alu instid0(VALU_DEP_2)
	v_pk_add_f32 v[62:63], v[62:63], v[74:75] neg_lo:[0,1] neg_hi:[0,1]
.LBB56_188:
	s_or_b32 exec_lo, exec_lo, s0
	v_lshl_add_u32 v64, v72, 3, v68
	s_barrier_signal -1
	s_barrier_wait -1
	ds_store_b64 v64, v[18:19]
	s_wait_dscnt 0x0
	s_barrier_signal -1
	s_barrier_wait -1
	ds_load_b64 v[64:65], v68 offset:72
	v_mov_b32_e32 v66, 9
	s_cmp_lt_i32 s18, 11
	s_cbranch_scc1 .LBB56_191
; %bb.189:
	v_add3_u32 v67, v69, 0, 0x50
	v_mov_b32_e32 v66, 9
	s_mov_b32 s0, 10
.LBB56_190:                             ; =>This Inner Loop Header: Depth=1
	ds_load_b64 v[74:75], v67
	s_wait_dscnt 0x1
	v_cmp_gt_f32_e32 vcc_lo, 0, v64
	v_cndmask_b32_e64 v76, v64, -v64, vcc_lo
	v_cmp_gt_f32_e32 vcc_lo, 0, v65
	v_cndmask_b32_e64 v78, v65, -v65, vcc_lo
	s_wait_dscnt 0x0
	v_cmp_gt_f32_e32 vcc_lo, 0, v74
	v_cndmask_b32_e64 v77, v74, -v74, vcc_lo
	v_cmp_gt_f32_e32 vcc_lo, 0, v75
	v_cndmask_b32_e64 v79, v75, -v75, vcc_lo
	s_delay_alu instid0(VALU_DEP_1) | instskip(NEXT) | instid1(VALU_DEP_1)
	v_pk_add_f32 v[76:77], v[76:77], v[78:79]
	v_cmp_lt_f32_e32 vcc_lo, v76, v77
	v_dual_cndmask_b32 v64, v64, v74 :: v_dual_add_nc_u32 v67, 8, v67
	v_cndmask_b32_e32 v65, v65, v75, vcc_lo
	v_cndmask_b32_e64 v66, v66, s0, vcc_lo
	s_add_co_i32 s0, s0, 1
	s_delay_alu instid0(SALU_CYCLE_1)
	s_cmp_lg_u32 s18, s0
	s_cbranch_scc1 .LBB56_190
.LBB56_191:
	s_wait_dscnt 0x0
	v_cmp_eq_f32_e32 vcc_lo, 0, v64
	v_cmp_eq_f32_e64 s0, 0, v65
	s_and_b32 s0, vcc_lo, s0
	s_delay_alu instid0(SALU_CYCLE_1) | instskip(NEXT) | instid1(SALU_CYCLE_1)
	s_and_saveexec_b32 s1, s0
	s_xor_b32 s0, exec_lo, s1
; %bb.192:
	v_cmp_ne_u32_e32 vcc_lo, 0, v70
	v_cndmask_b32_e32 v70, 10, v70, vcc_lo
; %bb.193:
	s_and_not1_saveexec_b32 s0, s0
	s_cbranch_execz .LBB56_199
; %bb.194:
	v_cmp_ngt_f32_e64 s1, |v64|, |v65|
	s_and_saveexec_b32 s12, s1
	s_delay_alu instid0(SALU_CYCLE_1)
	s_xor_b32 s1, exec_lo, s12
	s_cbranch_execz .LBB56_196
; %bb.195:
	v_div_scale_f32 v67, null, v65, v65, v64
	v_div_scale_f32 v75, vcc_lo, v64, v65, v64
	s_delay_alu instid0(VALU_DEP_2) | instskip(SKIP_1) | instid1(TRANS32_DEP_1)
	v_rcp_f32_e32 v73, v67
	v_nop
	v_fma_f32 v74, -v67, v73, 1.0
	s_delay_alu instid0(VALU_DEP_1) | instskip(NEXT) | instid1(VALU_DEP_1)
	v_fmac_f32_e32 v73, v74, v73
	v_mul_f32_e32 v74, v75, v73
	s_delay_alu instid0(VALU_DEP_1) | instskip(NEXT) | instid1(VALU_DEP_1)
	v_fma_f32 v76, -v67, v74, v75
	v_fmac_f32_e32 v74, v76, v73
	s_delay_alu instid0(VALU_DEP_1) | instskip(NEXT) | instid1(VALU_DEP_1)
	v_fma_f32 v67, -v67, v74, v75
	v_div_fmas_f32 v67, v67, v73, v74
	s_delay_alu instid0(VALU_DEP_1) | instskip(NEXT) | instid1(VALU_DEP_1)
	v_div_fixup_f32 v67, v67, v65, v64
	v_fmac_f32_e32 v65, v64, v67
	s_delay_alu instid0(VALU_DEP_1) | instskip(SKIP_1) | instid1(VALU_DEP_2)
	v_div_scale_f32 v64, null, v65, v65, 1.0
	v_div_scale_f32 v75, vcc_lo, 1.0, v65, 1.0
	v_rcp_f32_e32 v73, v64
	v_nop
	s_delay_alu instid0(TRANS32_DEP_1) | instskip(NEXT) | instid1(VALU_DEP_1)
	v_fma_f32 v74, -v64, v73, 1.0
	v_fmac_f32_e32 v73, v74, v73
	s_delay_alu instid0(VALU_DEP_1) | instskip(NEXT) | instid1(VALU_DEP_1)
	v_mul_f32_e32 v74, v75, v73
	v_fma_f32 v76, -v64, v74, v75
	s_delay_alu instid0(VALU_DEP_1) | instskip(NEXT) | instid1(VALU_DEP_1)
	v_fmac_f32_e32 v74, v76, v73
	v_fma_f32 v64, -v64, v74, v75
	s_delay_alu instid0(VALU_DEP_1) | instskip(NEXT) | instid1(VALU_DEP_1)
	v_div_fmas_f32 v64, v64, v73, v74
	v_div_fixup_f32 v65, v64, v65, 1.0
	s_delay_alu instid0(VALU_DEP_1)
	v_mul_f32_e32 v64, v67, v65
	v_xor_b32_e32 v65, 0x80000000, v65
.LBB56_196:
	s_and_not1_saveexec_b32 s1, s1
	s_cbranch_execz .LBB56_198
; %bb.197:
	s_delay_alu instid0(VALU_DEP_1) | instskip(SKIP_1) | instid1(VALU_DEP_2)
	v_div_scale_f32 v67, null, v64, v64, v65
	v_div_scale_f32 v75, vcc_lo, v65, v64, v65
	v_rcp_f32_e32 v73, v67
	v_nop
	s_delay_alu instid0(TRANS32_DEP_1) | instskip(NEXT) | instid1(VALU_DEP_1)
	v_fma_f32 v74, -v67, v73, 1.0
	v_fmac_f32_e32 v73, v74, v73
	s_delay_alu instid0(VALU_DEP_1) | instskip(NEXT) | instid1(VALU_DEP_1)
	v_mul_f32_e32 v74, v75, v73
	v_fma_f32 v76, -v67, v74, v75
	s_delay_alu instid0(VALU_DEP_1) | instskip(NEXT) | instid1(VALU_DEP_1)
	v_fmac_f32_e32 v74, v76, v73
	v_fma_f32 v67, -v67, v74, v75
	s_delay_alu instid0(VALU_DEP_1) | instskip(NEXT) | instid1(VALU_DEP_1)
	v_div_fmas_f32 v67, v67, v73, v74
	v_div_fixup_f32 v67, v67, v64, v65
	s_delay_alu instid0(VALU_DEP_1) | instskip(NEXT) | instid1(VALU_DEP_1)
	v_fmac_f32_e32 v64, v65, v67
	v_div_scale_f32 v65, null, v64, v64, 1.0
	s_delay_alu instid0(VALU_DEP_1) | instskip(SKIP_1) | instid1(TRANS32_DEP_1)
	v_rcp_f32_e32 v73, v65
	v_nop
	v_fma_f32 v74, -v65, v73, 1.0
	s_delay_alu instid0(VALU_DEP_1) | instskip(SKIP_1) | instid1(VALU_DEP_1)
	v_fmac_f32_e32 v73, v74, v73
	v_div_scale_f32 v74, vcc_lo, 1.0, v64, 1.0
	v_mul_f32_e32 v75, v74, v73
	s_delay_alu instid0(VALU_DEP_1) | instskip(NEXT) | instid1(VALU_DEP_1)
	v_fma_f32 v76, -v65, v75, v74
	v_fmac_f32_e32 v75, v76, v73
	s_delay_alu instid0(VALU_DEP_1) | instskip(NEXT) | instid1(VALU_DEP_1)
	v_fma_f32 v65, -v65, v75, v74
	v_div_fmas_f32 v65, v65, v73, v75
	s_delay_alu instid0(VALU_DEP_1) | instskip(NEXT) | instid1(VALU_DEP_1)
	v_div_fixup_f32 v64, v65, v64, 1.0
	v_mul_f32_e64 v65, v67, -v64
.LBB56_198:
	s_or_b32 exec_lo, exec_lo, s1
.LBB56_199:
	s_delay_alu instid0(SALU_CYCLE_1) | instskip(NEXT) | instid1(SALU_CYCLE_1)
	s_or_b32 exec_lo, exec_lo, s0
	s_mov_b32 s0, exec_lo
	v_cmpx_ne_u32_e64 v72, v66
	s_xor_b32 s0, exec_lo, s0
	s_cbranch_execz .LBB56_205
; %bb.200:
	s_mov_b32 s1, exec_lo
	v_cmpx_eq_u32_e32 9, v72
	s_cbranch_execz .LBB56_204
; %bb.201:
	v_cmp_ne_u32_e32 vcc_lo, 9, v66
	s_xor_b32 s12, s16, -1
	s_delay_alu instid0(SALU_CYCLE_1) | instskip(NEXT) | instid1(SALU_CYCLE_1)
	s_and_b32 s13, s12, vcc_lo
	s_and_saveexec_b32 s12, s13
	s_cbranch_execz .LBB56_203
; %bb.202:
	v_ashrrev_i32_e32 v67, 31, v66
	s_delay_alu instid0(VALU_DEP_1)
	v_lshl_add_u64 v[72:73], v[66:67], 2, v[4:5]
	s_clause 0x1
	global_load_b32 v67, v[72:73], off
	global_load_b32 v71, v[4:5], off offset:36
	s_wait_loadcnt 0x1
	global_store_b32 v[4:5], v67, off offset:36
	s_wait_loadcnt 0x0
	global_store_b32 v[72:73], v71, off
.LBB56_203:
	s_wait_xcnt 0x0
	s_or_b32 exec_lo, exec_lo, s12
	v_dual_mov_b32 v72, v66 :: v_dual_mov_b32 v71, v66
.LBB56_204:
	s_or_b32 exec_lo, exec_lo, s1
.LBB56_205:
	s_and_not1_saveexec_b32 s0, s0
	s_cbranch_execz .LBB56_207
; %bb.206:
	v_dual_mov_b32 v66, v20 :: v_dual_mov_b32 v67, v21
	v_dual_mov_b32 v72, v16 :: v_dual_mov_b32 v73, v17
	;; [unrolled: 1-line block ×8, first 2 shown]
	ds_store_2addr_b64 v68, v[66:67], v[72:73] offset0:10 offset1:11
	ds_store_2addr_b64 v68, v[74:75], v[76:77] offset0:12 offset1:13
	;; [unrolled: 1-line block ×4, first 2 shown]
	v_dual_mov_b32 v66, v48 :: v_dual_mov_b32 v67, v49
	v_dual_mov_b32 v72, v44 :: v_dual_mov_b32 v73, v45
	;; [unrolled: 1-line block ×6, first 2 shown]
	ds_store_2addr_b64 v68, v[66:67], v[72:73] offset0:18 offset1:19
	ds_store_2addr_b64 v68, v[74:75], v[76:77] offset0:20 offset1:21
	v_dual_mov_b32 v72, 9 :: v_dual_mov_b32 v82, v6
	v_dual_mov_b32 v83, v7 :: v_dual_mov_b32 v84, v52
	;; [unrolled: 1-line block ×4, first 2 shown]
	v_mov_b32_e32 v89, v41
	ds_store_2addr_b64 v68, v[78:79], v[80:81] offset0:22 offset1:23
	ds_store_2addr_b64 v68, v[82:83], v[84:85] offset0:24 offset1:25
	;; [unrolled: 1-line block ×3, first 2 shown]
	ds_store_b64 v68, v[62:63] offset:224
.LBB56_207:
	s_or_b32 exec_lo, exec_lo, s0
	s_delay_alu instid0(SALU_CYCLE_1)
	s_mov_b32 s0, exec_lo
	s_wait_storecnt_dscnt 0x0
	s_barrier_signal -1
	s_barrier_wait -1
	v_cmpx_lt_i32_e32 9, v72
	s_cbranch_execz .LBB56_209
; %bb.208:
	v_pk_mul_f32 v[74:75], v[64:65], v[18:19] op_sel:[1,1] op_sel_hi:[0,1]
	s_delay_alu instid0(VALU_DEP_1)
	v_pk_fma_f32 v[66:67], v[64:65], v[18:19], v[74:75] op_sel_hi:[1,0,1] neg_lo:[0,0,1] neg_hi:[0,0,1]
	v_pk_fma_f32 v[64:65], v[64:65], v[18:19], v[74:75] op_sel_hi:[1,0,1]
	ds_load_2addr_b64 v[74:77], v68 offset0:10 offset1:11
	v_dual_mov_b32 v18, v66 :: v_dual_mov_b32 v19, v65
	s_wait_dscnt 0x0
	v_pk_mul_f32 v[78:79], v[74:75], v[64:65] op_sel:[0,1]
	s_delay_alu instid0(VALU_DEP_1) | instskip(SKIP_1) | instid1(VALU_DEP_1)
	v_pk_fma_f32 v[80:81], v[74:75], v[66:67], v[78:79] op_sel:[0,0,1] op_sel_hi:[1,1,0] neg_lo:[0,0,1] neg_hi:[0,0,1]
	v_pk_fma_f32 v[74:75], v[74:75], v[66:67], v[78:79] op_sel:[0,0,1] op_sel_hi:[1,0,0]
	v_mov_b32_e32 v81, v75
	v_pk_mul_f32 v[74:75], v[76:77], v[64:65] op_sel:[0,1]
	s_delay_alu instid0(VALU_DEP_1) | instskip(SKIP_1) | instid1(VALU_DEP_1)
	v_pk_fma_f32 v[78:79], v[76:77], v[66:67], v[74:75] op_sel:[0,0,1] op_sel_hi:[1,1,0] neg_lo:[0,0,1] neg_hi:[0,0,1]
	v_pk_fma_f32 v[74:75], v[76:77], v[66:67], v[74:75] op_sel:[0,0,1] op_sel_hi:[1,0,0]
	v_mov_b32_e32 v79, v75
	ds_load_2addr_b64 v[74:77], v68 offset0:12 offset1:13
	v_pk_add_f32 v[20:21], v[20:21], v[80:81] neg_lo:[0,1] neg_hi:[0,1]
	v_pk_add_f32 v[16:17], v[16:17], v[78:79] neg_lo:[0,1] neg_hi:[0,1]
	s_wait_dscnt 0x0
	v_pk_mul_f32 v[78:79], v[74:75], v[64:65] op_sel:[0,1]
	s_delay_alu instid0(VALU_DEP_1) | instskip(SKIP_2) | instid1(VALU_DEP_2)
	v_pk_fma_f32 v[80:81], v[74:75], v[66:67], v[78:79] op_sel:[0,0,1] op_sel_hi:[1,1,0] neg_lo:[0,0,1] neg_hi:[0,0,1]
	v_pk_fma_f32 v[74:75], v[74:75], v[66:67], v[78:79] op_sel:[0,0,1] op_sel_hi:[1,0,0]
	v_dual_mul_f32 v78, v77, v65 :: v_dual_mov_b32 v74, v77
	v_dual_mov_b32 v81, v75 :: v_dual_mov_b32 v75, v76
	s_delay_alu instid0(VALU_DEP_2) | instskip(SKIP_1) | instid1(VALU_DEP_3)
	v_pk_fma_f32 v[78:79], v[76:77], v[18:19], v[78:79] op_sel_hi:[1,1,0] neg_lo:[0,0,1] neg_hi:[0,0,1]
	v_mul_f32_e32 v76, v77, v66
	v_pk_add_f32 v[30:31], v[30:31], v[80:81] neg_lo:[0,1] neg_hi:[0,1]
	s_delay_alu instid0(VALU_DEP_2) | instskip(NEXT) | instid1(VALU_DEP_1)
	v_pk_fma_f32 v[74:75], v[74:75], v[18:19], v[76:77] op_sel_hi:[1,1,0]
	v_mov_b32_e32 v79, v75
	ds_load_2addr_b64 v[74:77], v68 offset0:14 offset1:15
	v_pk_add_f32 v[26:27], v[26:27], v[78:79] neg_lo:[0,1] neg_hi:[0,1]
	s_wait_dscnt 0x0
	v_pk_mul_f32 v[78:79], v[74:75], v[64:65] op_sel:[0,1]
	s_delay_alu instid0(VALU_DEP_1) | instskip(SKIP_1) | instid1(VALU_DEP_1)
	v_pk_fma_f32 v[80:81], v[74:75], v[66:67], v[78:79] op_sel:[0,0,1] op_sel_hi:[1,1,0] neg_lo:[0,0,1] neg_hi:[0,0,1]
	v_pk_fma_f32 v[74:75], v[74:75], v[66:67], v[78:79] op_sel:[0,0,1] op_sel_hi:[1,0,0]
	v_mov_b32_e32 v81, v75
	v_pk_mul_f32 v[74:75], v[76:77], v[64:65] op_sel:[0,1]
	s_delay_alu instid0(VALU_DEP_1) | instskip(SKIP_1) | instid1(VALU_DEP_1)
	v_pk_fma_f32 v[78:79], v[76:77], v[66:67], v[74:75] op_sel:[0,0,1] op_sel_hi:[1,1,0] neg_lo:[0,0,1] neg_hi:[0,0,1]
	v_pk_fma_f32 v[74:75], v[76:77], v[66:67], v[74:75] op_sel:[0,0,1] op_sel_hi:[1,0,0]
	v_mov_b32_e32 v79, v75
	ds_load_2addr_b64 v[74:77], v68 offset0:16 offset1:17
	v_pk_add_f32 v[28:29], v[28:29], v[80:81] neg_lo:[0,1] neg_hi:[0,1]
	v_pk_add_f32 v[24:25], v[24:25], v[78:79] neg_lo:[0,1] neg_hi:[0,1]
	s_wait_dscnt 0x0
	v_pk_mul_f32 v[78:79], v[74:75], v[64:65] op_sel:[0,1]
	s_delay_alu instid0(VALU_DEP_1) | instskip(SKIP_1) | instid1(VALU_DEP_1)
	v_pk_fma_f32 v[80:81], v[74:75], v[66:67], v[78:79] op_sel:[0,0,1] op_sel_hi:[1,1,0] neg_lo:[0,0,1] neg_hi:[0,0,1]
	v_pk_fma_f32 v[74:75], v[74:75], v[66:67], v[78:79] op_sel:[0,0,1] op_sel_hi:[1,0,0]
	v_mov_b32_e32 v81, v75
	v_pk_mul_f32 v[74:75], v[76:77], v[64:65] op_sel:[0,1]
	s_delay_alu instid0(VALU_DEP_1) | instskip(SKIP_1) | instid1(VALU_DEP_1)
	v_pk_fma_f32 v[78:79], v[76:77], v[66:67], v[74:75] op_sel:[0,0,1] op_sel_hi:[1,1,0] neg_lo:[0,0,1] neg_hi:[0,0,1]
	v_pk_fma_f32 v[74:75], v[76:77], v[66:67], v[74:75] op_sel:[0,0,1] op_sel_hi:[1,0,0]
	v_mov_b32_e32 v79, v75
	ds_load_2addr_b64 v[74:77], v68 offset0:18 offset1:19
	v_pk_add_f32 v[50:51], v[50:51], v[80:81] neg_lo:[0,1] neg_hi:[0,1]
	v_pk_add_f32 v[46:47], v[46:47], v[78:79] neg_lo:[0,1] neg_hi:[0,1]
	s_wait_dscnt 0x0
	v_dual_mul_f32 v78, v75, v65 :: v_dual_mul_f32 v80, v75, v66
	s_delay_alu instid0(VALU_DEP_1) | instskip(NEXT) | instid1(VALU_DEP_2)
	v_pk_fma_f32 v[78:79], v[74:75], v[18:19], v[78:79] op_sel_hi:[1,1,0] neg_lo:[0,0,1] neg_hi:[0,0,1]
	v_pk_fma_f32 v[74:75], v[74:75], v[18:19], v[80:81] op_sel:[1,0,0] op_sel_hi:[0,1,0]
	s_delay_alu instid0(VALU_DEP_1) | instskip(SKIP_1) | instid1(VALU_DEP_2)
	v_mov_b32_e32 v79, v75
	v_pk_mul_f32 v[74:75], v[76:77], v[64:65] op_sel:[0,1]
	v_pk_add_f32 v[48:49], v[48:49], v[78:79] neg_lo:[0,1] neg_hi:[0,1]
	s_delay_alu instid0(VALU_DEP_2) | instskip(SKIP_1) | instid1(VALU_DEP_1)
	v_pk_fma_f32 v[78:79], v[76:77], v[66:67], v[74:75] op_sel:[0,0,1] op_sel_hi:[1,1,0] neg_lo:[0,0,1] neg_hi:[0,0,1]
	v_pk_fma_f32 v[74:75], v[76:77], v[66:67], v[74:75] op_sel:[0,0,1] op_sel_hi:[1,0,0]
	v_mov_b32_e32 v79, v75
	ds_load_2addr_b64 v[74:77], v68 offset0:20 offset1:21
	v_pk_add_f32 v[44:45], v[44:45], v[78:79] neg_lo:[0,1] neg_hi:[0,1]
	s_wait_dscnt 0x0
	v_pk_mul_f32 v[78:79], v[74:75], v[64:65] op_sel:[0,1]
	s_delay_alu instid0(VALU_DEP_1) | instskip(SKIP_1) | instid1(VALU_DEP_1)
	v_pk_fma_f32 v[80:81], v[74:75], v[66:67], v[78:79] op_sel:[0,0,1] op_sel_hi:[1,1,0] neg_lo:[0,0,1] neg_hi:[0,0,1]
	v_pk_fma_f32 v[74:75], v[74:75], v[66:67], v[78:79] op_sel:[0,0,1] op_sel_hi:[1,0,0]
	v_mov_b32_e32 v81, v75
	v_pk_mul_f32 v[74:75], v[76:77], v[64:65] op_sel:[0,1]
	s_delay_alu instid0(VALU_DEP_2) | instskip(NEXT) | instid1(VALU_DEP_2)
	v_pk_add_f32 v[38:39], v[38:39], v[80:81] neg_lo:[0,1] neg_hi:[0,1]
	v_pk_fma_f32 v[78:79], v[76:77], v[66:67], v[74:75] op_sel:[0,0,1] op_sel_hi:[1,1,0] neg_lo:[0,0,1] neg_hi:[0,0,1]
	v_pk_fma_f32 v[74:75], v[76:77], v[66:67], v[74:75] op_sel:[0,0,1] op_sel_hi:[1,0,0]
	s_delay_alu instid0(VALU_DEP_1) | instskip(SKIP_4) | instid1(VALU_DEP_1)
	v_mov_b32_e32 v79, v75
	ds_load_2addr_b64 v[74:77], v68 offset0:22 offset1:23
	v_pk_add_f32 v[34:35], v[34:35], v[78:79] neg_lo:[0,1] neg_hi:[0,1]
	s_wait_dscnt 0x0
	v_pk_mul_f32 v[78:79], v[74:75], v[64:65] op_sel:[0,1]
	v_pk_fma_f32 v[80:81], v[74:75], v[66:67], v[78:79] op_sel:[0,0,1] op_sel_hi:[1,1,0] neg_lo:[0,0,1] neg_hi:[0,0,1]
	v_pk_fma_f32 v[74:75], v[74:75], v[66:67], v[78:79] op_sel:[0,0,1] op_sel_hi:[1,0,0]
	v_dual_mul_f32 v78, v77, v65 :: v_dual_mov_b32 v74, v77
	s_delay_alu instid0(VALU_DEP_2) | instskip(NEXT) | instid1(VALU_DEP_2)
	v_dual_mov_b32 v81, v75 :: v_dual_mov_b32 v75, v76
	v_pk_fma_f32 v[78:79], v[76:77], v[18:19], v[78:79] op_sel_hi:[1,1,0] neg_lo:[0,0,1] neg_hi:[0,0,1]
	v_mul_f32_e32 v76, v77, v66
	s_delay_alu instid0(VALU_DEP_3) | instskip(NEXT) | instid1(VALU_DEP_2)
	v_pk_add_f32 v[36:37], v[36:37], v[80:81] neg_lo:[0,1] neg_hi:[0,1]
	v_pk_fma_f32 v[74:75], v[74:75], v[18:19], v[76:77] op_sel_hi:[1,1,0]
	s_delay_alu instid0(VALU_DEP_1) | instskip(SKIP_4) | instid1(VALU_DEP_1)
	v_mov_b32_e32 v79, v75
	ds_load_2addr_b64 v[74:77], v68 offset0:24 offset1:25
	v_pk_add_f32 v[32:33], v[32:33], v[78:79] neg_lo:[0,1] neg_hi:[0,1]
	s_wait_dscnt 0x0
	v_pk_mul_f32 v[78:79], v[74:75], v[64:65] op_sel:[0,1]
	v_pk_fma_f32 v[80:81], v[74:75], v[66:67], v[78:79] op_sel:[0,0,1] op_sel_hi:[1,1,0] neg_lo:[0,0,1] neg_hi:[0,0,1]
	v_pk_fma_f32 v[74:75], v[74:75], v[66:67], v[78:79] op_sel:[0,0,1] op_sel_hi:[1,0,0]
	s_delay_alu instid0(VALU_DEP_1) | instskip(SKIP_1) | instid1(VALU_DEP_1)
	v_mov_b32_e32 v81, v75
	v_pk_mul_f32 v[74:75], v[76:77], v[64:65] op_sel:[0,1]
	v_pk_fma_f32 v[78:79], v[76:77], v[66:67], v[74:75] op_sel:[0,0,1] op_sel_hi:[1,1,0] neg_lo:[0,0,1] neg_hi:[0,0,1]
	v_pk_fma_f32 v[74:75], v[76:77], v[66:67], v[74:75] op_sel:[0,0,1] op_sel_hi:[1,0,0]
	s_delay_alu instid0(VALU_DEP_1)
	v_mov_b32_e32 v79, v75
	ds_load_2addr_b64 v[74:77], v68 offset0:26 offset1:27
	v_pk_add_f32 v[6:7], v[6:7], v[80:81] neg_lo:[0,1] neg_hi:[0,1]
	v_pk_add_f32 v[52:53], v[52:53], v[78:79] neg_lo:[0,1] neg_hi:[0,1]
	s_wait_dscnt 0x0
	v_pk_mul_f32 v[78:79], v[74:75], v[64:65] op_sel:[0,1]
	s_delay_alu instid0(VALU_DEP_1) | instskip(SKIP_1) | instid1(VALU_DEP_1)
	v_pk_fma_f32 v[80:81], v[74:75], v[66:67], v[78:79] op_sel:[0,0,1] op_sel_hi:[1,1,0] neg_lo:[0,0,1] neg_hi:[0,0,1]
	v_pk_fma_f32 v[74:75], v[74:75], v[66:67], v[78:79] op_sel:[0,0,1] op_sel_hi:[1,0,0]
	v_mov_b32_e32 v81, v75
	v_pk_mul_f32 v[74:75], v[76:77], v[64:65] op_sel:[0,1]
	s_delay_alu instid0(VALU_DEP_1) | instskip(SKIP_1) | instid1(VALU_DEP_1)
	v_pk_fma_f32 v[78:79], v[76:77], v[66:67], v[74:75] op_sel:[0,0,1] op_sel_hi:[1,1,0] neg_lo:[0,0,1] neg_hi:[0,0,1]
	v_pk_fma_f32 v[74:75], v[76:77], v[66:67], v[74:75] op_sel:[0,0,1] op_sel_hi:[1,0,0]
	v_mov_b32_e32 v79, v75
	ds_load_b64 v[74:75], v68 offset:224
	v_pk_add_f32 v[42:43], v[42:43], v[80:81] neg_lo:[0,1] neg_hi:[0,1]
	v_pk_add_f32 v[40:41], v[40:41], v[78:79] neg_lo:[0,1] neg_hi:[0,1]
	s_wait_dscnt 0x0
	v_pk_mul_f32 v[64:65], v[74:75], v[64:65] op_sel:[0,1]
	s_delay_alu instid0(VALU_DEP_1) | instskip(SKIP_1) | instid1(VALU_DEP_1)
	v_pk_fma_f32 v[76:77], v[74:75], v[66:67], v[64:65] op_sel:[0,0,1] op_sel_hi:[1,1,0] neg_lo:[0,0,1] neg_hi:[0,0,1]
	v_pk_fma_f32 v[64:65], v[74:75], v[66:67], v[64:65] op_sel:[0,0,1] op_sel_hi:[1,0,0]
	v_mov_b32_e32 v77, v65
	s_delay_alu instid0(VALU_DEP_1)
	v_pk_add_f32 v[62:63], v[62:63], v[76:77] neg_lo:[0,1] neg_hi:[0,1]
.LBB56_209:
	s_or_b32 exec_lo, exec_lo, s0
	v_lshl_add_u32 v64, v72, 3, v68
	s_barrier_signal -1
	s_barrier_wait -1
	ds_store_b64 v64, v[20:21]
	s_wait_dscnt 0x0
	s_barrier_signal -1
	s_barrier_wait -1
	ds_load_b64 v[64:65], v68 offset:80
	v_mov_b32_e32 v66, 10
	s_cmp_lt_i32 s18, 12
	s_cbranch_scc1 .LBB56_212
; %bb.210:
	v_add3_u32 v67, v69, 0, 0x58
	v_mov_b32_e32 v66, 10
	s_mov_b32 s0, 11
.LBB56_211:                             ; =>This Inner Loop Header: Depth=1
	ds_load_b64 v[74:75], v67
	s_wait_dscnt 0x1
	v_cmp_gt_f32_e32 vcc_lo, 0, v64
	v_cndmask_b32_e64 v76, v64, -v64, vcc_lo
	v_cmp_gt_f32_e32 vcc_lo, 0, v65
	v_cndmask_b32_e64 v78, v65, -v65, vcc_lo
	s_wait_dscnt 0x0
	v_cmp_gt_f32_e32 vcc_lo, 0, v74
	v_cndmask_b32_e64 v77, v74, -v74, vcc_lo
	v_cmp_gt_f32_e32 vcc_lo, 0, v75
	v_cndmask_b32_e64 v79, v75, -v75, vcc_lo
	s_delay_alu instid0(VALU_DEP_1) | instskip(NEXT) | instid1(VALU_DEP_1)
	v_pk_add_f32 v[76:77], v[76:77], v[78:79]
	v_cmp_lt_f32_e32 vcc_lo, v76, v77
	v_dual_cndmask_b32 v64, v64, v74 :: v_dual_add_nc_u32 v67, 8, v67
	v_cndmask_b32_e32 v65, v65, v75, vcc_lo
	v_cndmask_b32_e64 v66, v66, s0, vcc_lo
	s_add_co_i32 s0, s0, 1
	s_delay_alu instid0(SALU_CYCLE_1)
	s_cmp_lg_u32 s18, s0
	s_cbranch_scc1 .LBB56_211
.LBB56_212:
	s_wait_dscnt 0x0
	v_cmp_eq_f32_e32 vcc_lo, 0, v64
	v_cmp_eq_f32_e64 s0, 0, v65
	s_and_b32 s0, vcc_lo, s0
	s_delay_alu instid0(SALU_CYCLE_1) | instskip(NEXT) | instid1(SALU_CYCLE_1)
	s_and_saveexec_b32 s1, s0
	s_xor_b32 s0, exec_lo, s1
; %bb.213:
	v_cmp_ne_u32_e32 vcc_lo, 0, v70
	v_cndmask_b32_e32 v70, 11, v70, vcc_lo
; %bb.214:
	s_and_not1_saveexec_b32 s0, s0
	s_cbranch_execz .LBB56_220
; %bb.215:
	v_cmp_ngt_f32_e64 s1, |v64|, |v65|
	s_and_saveexec_b32 s12, s1
	s_delay_alu instid0(SALU_CYCLE_1)
	s_xor_b32 s1, exec_lo, s12
	s_cbranch_execz .LBB56_217
; %bb.216:
	v_div_scale_f32 v67, null, v65, v65, v64
	v_div_scale_f32 v75, vcc_lo, v64, v65, v64
	s_delay_alu instid0(VALU_DEP_2) | instskip(SKIP_1) | instid1(TRANS32_DEP_1)
	v_rcp_f32_e32 v73, v67
	v_nop
	v_fma_f32 v74, -v67, v73, 1.0
	s_delay_alu instid0(VALU_DEP_1) | instskip(NEXT) | instid1(VALU_DEP_1)
	v_fmac_f32_e32 v73, v74, v73
	v_mul_f32_e32 v74, v75, v73
	s_delay_alu instid0(VALU_DEP_1) | instskip(NEXT) | instid1(VALU_DEP_1)
	v_fma_f32 v76, -v67, v74, v75
	v_fmac_f32_e32 v74, v76, v73
	s_delay_alu instid0(VALU_DEP_1) | instskip(NEXT) | instid1(VALU_DEP_1)
	v_fma_f32 v67, -v67, v74, v75
	v_div_fmas_f32 v67, v67, v73, v74
	s_delay_alu instid0(VALU_DEP_1) | instskip(NEXT) | instid1(VALU_DEP_1)
	v_div_fixup_f32 v67, v67, v65, v64
	v_fmac_f32_e32 v65, v64, v67
	s_delay_alu instid0(VALU_DEP_1) | instskip(SKIP_1) | instid1(VALU_DEP_2)
	v_div_scale_f32 v64, null, v65, v65, 1.0
	v_div_scale_f32 v75, vcc_lo, 1.0, v65, 1.0
	v_rcp_f32_e32 v73, v64
	v_nop
	s_delay_alu instid0(TRANS32_DEP_1) | instskip(NEXT) | instid1(VALU_DEP_1)
	v_fma_f32 v74, -v64, v73, 1.0
	v_fmac_f32_e32 v73, v74, v73
	s_delay_alu instid0(VALU_DEP_1) | instskip(NEXT) | instid1(VALU_DEP_1)
	v_mul_f32_e32 v74, v75, v73
	v_fma_f32 v76, -v64, v74, v75
	s_delay_alu instid0(VALU_DEP_1) | instskip(NEXT) | instid1(VALU_DEP_1)
	v_fmac_f32_e32 v74, v76, v73
	v_fma_f32 v64, -v64, v74, v75
	s_delay_alu instid0(VALU_DEP_1) | instskip(NEXT) | instid1(VALU_DEP_1)
	v_div_fmas_f32 v64, v64, v73, v74
	v_div_fixup_f32 v65, v64, v65, 1.0
	s_delay_alu instid0(VALU_DEP_1)
	v_mul_f32_e32 v64, v67, v65
	v_xor_b32_e32 v65, 0x80000000, v65
.LBB56_217:
	s_and_not1_saveexec_b32 s1, s1
	s_cbranch_execz .LBB56_219
; %bb.218:
	s_delay_alu instid0(VALU_DEP_1) | instskip(SKIP_1) | instid1(VALU_DEP_2)
	v_div_scale_f32 v67, null, v64, v64, v65
	v_div_scale_f32 v75, vcc_lo, v65, v64, v65
	v_rcp_f32_e32 v73, v67
	v_nop
	s_delay_alu instid0(TRANS32_DEP_1) | instskip(NEXT) | instid1(VALU_DEP_1)
	v_fma_f32 v74, -v67, v73, 1.0
	v_fmac_f32_e32 v73, v74, v73
	s_delay_alu instid0(VALU_DEP_1) | instskip(NEXT) | instid1(VALU_DEP_1)
	v_mul_f32_e32 v74, v75, v73
	v_fma_f32 v76, -v67, v74, v75
	s_delay_alu instid0(VALU_DEP_1) | instskip(NEXT) | instid1(VALU_DEP_1)
	v_fmac_f32_e32 v74, v76, v73
	v_fma_f32 v67, -v67, v74, v75
	s_delay_alu instid0(VALU_DEP_1) | instskip(NEXT) | instid1(VALU_DEP_1)
	v_div_fmas_f32 v67, v67, v73, v74
	v_div_fixup_f32 v67, v67, v64, v65
	s_delay_alu instid0(VALU_DEP_1) | instskip(NEXT) | instid1(VALU_DEP_1)
	v_fmac_f32_e32 v64, v65, v67
	v_div_scale_f32 v65, null, v64, v64, 1.0
	s_delay_alu instid0(VALU_DEP_1) | instskip(SKIP_1) | instid1(TRANS32_DEP_1)
	v_rcp_f32_e32 v73, v65
	v_nop
	v_fma_f32 v74, -v65, v73, 1.0
	s_delay_alu instid0(VALU_DEP_1) | instskip(SKIP_1) | instid1(VALU_DEP_1)
	v_fmac_f32_e32 v73, v74, v73
	v_div_scale_f32 v74, vcc_lo, 1.0, v64, 1.0
	v_mul_f32_e32 v75, v74, v73
	s_delay_alu instid0(VALU_DEP_1) | instskip(NEXT) | instid1(VALU_DEP_1)
	v_fma_f32 v76, -v65, v75, v74
	v_fmac_f32_e32 v75, v76, v73
	s_delay_alu instid0(VALU_DEP_1) | instskip(NEXT) | instid1(VALU_DEP_1)
	v_fma_f32 v65, -v65, v75, v74
	v_div_fmas_f32 v65, v65, v73, v75
	s_delay_alu instid0(VALU_DEP_1) | instskip(NEXT) | instid1(VALU_DEP_1)
	v_div_fixup_f32 v64, v65, v64, 1.0
	v_mul_f32_e64 v65, v67, -v64
.LBB56_219:
	s_or_b32 exec_lo, exec_lo, s1
.LBB56_220:
	s_delay_alu instid0(SALU_CYCLE_1) | instskip(NEXT) | instid1(SALU_CYCLE_1)
	s_or_b32 exec_lo, exec_lo, s0
	s_mov_b32 s0, exec_lo
	v_cmpx_ne_u32_e64 v72, v66
	s_xor_b32 s0, exec_lo, s0
	s_cbranch_execz .LBB56_226
; %bb.221:
	s_mov_b32 s1, exec_lo
	v_cmpx_eq_u32_e32 10, v72
	s_cbranch_execz .LBB56_225
; %bb.222:
	v_cmp_ne_u32_e32 vcc_lo, 10, v66
	s_xor_b32 s12, s16, -1
	s_delay_alu instid0(SALU_CYCLE_1) | instskip(NEXT) | instid1(SALU_CYCLE_1)
	s_and_b32 s13, s12, vcc_lo
	s_and_saveexec_b32 s12, s13
	s_cbranch_execz .LBB56_224
; %bb.223:
	v_ashrrev_i32_e32 v67, 31, v66
	s_delay_alu instid0(VALU_DEP_1)
	v_lshl_add_u64 v[72:73], v[66:67], 2, v[4:5]
	s_clause 0x1
	global_load_b32 v67, v[72:73], off
	global_load_b32 v71, v[4:5], off offset:40
	s_wait_loadcnt 0x1
	global_store_b32 v[4:5], v67, off offset:40
	s_wait_loadcnt 0x0
	global_store_b32 v[72:73], v71, off
.LBB56_224:
	s_wait_xcnt 0x0
	s_or_b32 exec_lo, exec_lo, s12
	v_dual_mov_b32 v72, v66 :: v_dual_mov_b32 v71, v66
.LBB56_225:
	s_or_b32 exec_lo, exec_lo, s1
.LBB56_226:
	s_and_not1_saveexec_b32 s0, s0
	s_cbranch_execz .LBB56_228
; %bb.227:
	v_mov_b32_e32 v72, 10
	ds_store_2addr_b64 v68, v[16:17], v[30:31] offset0:11 offset1:12
	ds_store_2addr_b64 v68, v[26:27], v[28:29] offset0:13 offset1:14
	;; [unrolled: 1-line block ×9, first 2 shown]
.LBB56_228:
	s_or_b32 exec_lo, exec_lo, s0
	s_delay_alu instid0(SALU_CYCLE_1)
	s_mov_b32 s0, exec_lo
	s_wait_storecnt_dscnt 0x0
	s_barrier_signal -1
	s_barrier_wait -1
	v_cmpx_lt_i32_e32 10, v72
	s_cbranch_execz .LBB56_230
; %bb.229:
	v_pk_mul_f32 v[74:75], v[64:65], v[20:21] op_sel:[1,1] op_sel_hi:[0,1]
	s_delay_alu instid0(VALU_DEP_1)
	v_pk_fma_f32 v[66:67], v[64:65], v[20:21], v[74:75] op_sel_hi:[1,0,1] neg_lo:[0,0,1] neg_hi:[0,0,1]
	v_pk_fma_f32 v[64:65], v[64:65], v[20:21], v[74:75] op_sel_hi:[1,0,1]
	ds_load_2addr_b64 v[74:77], v68 offset0:11 offset1:12
	v_dual_mov_b32 v20, v66 :: v_dual_mov_b32 v21, v65
	s_wait_dscnt 0x0
	v_pk_mul_f32 v[78:79], v[74:75], v[64:65] op_sel:[0,1]
	s_delay_alu instid0(VALU_DEP_1) | instskip(SKIP_1) | instid1(VALU_DEP_1)
	v_pk_fma_f32 v[80:81], v[74:75], v[66:67], v[78:79] op_sel:[0,0,1] op_sel_hi:[1,1,0] neg_lo:[0,0,1] neg_hi:[0,0,1]
	v_pk_fma_f32 v[74:75], v[74:75], v[66:67], v[78:79] op_sel:[0,0,1] op_sel_hi:[1,0,0]
	v_mov_b32_e32 v81, v75
	v_pk_mul_f32 v[74:75], v[76:77], v[64:65] op_sel:[0,1]
	s_delay_alu instid0(VALU_DEP_1) | instskip(SKIP_1) | instid1(VALU_DEP_1)
	v_pk_fma_f32 v[78:79], v[76:77], v[66:67], v[74:75] op_sel:[0,0,1] op_sel_hi:[1,1,0] neg_lo:[0,0,1] neg_hi:[0,0,1]
	v_pk_fma_f32 v[74:75], v[76:77], v[66:67], v[74:75] op_sel:[0,0,1] op_sel_hi:[1,0,0]
	v_mov_b32_e32 v79, v75
	ds_load_2addr_b64 v[74:77], v68 offset0:13 offset1:14
	v_pk_add_f32 v[16:17], v[16:17], v[80:81] neg_lo:[0,1] neg_hi:[0,1]
	v_pk_add_f32 v[30:31], v[30:31], v[78:79] neg_lo:[0,1] neg_hi:[0,1]
	s_wait_dscnt 0x0
	v_pk_mul_f32 v[78:79], v[74:75], v[64:65] op_sel:[0,1]
	s_delay_alu instid0(VALU_DEP_1) | instskip(SKIP_2) | instid1(VALU_DEP_2)
	v_pk_fma_f32 v[80:81], v[74:75], v[66:67], v[78:79] op_sel:[0,0,1] op_sel_hi:[1,1,0] neg_lo:[0,0,1] neg_hi:[0,0,1]
	v_pk_fma_f32 v[74:75], v[74:75], v[66:67], v[78:79] op_sel:[0,0,1] op_sel_hi:[1,0,0]
	v_dual_mul_f32 v78, v77, v65 :: v_dual_mov_b32 v74, v77
	v_dual_mov_b32 v81, v75 :: v_dual_mov_b32 v75, v76
	s_delay_alu instid0(VALU_DEP_2) | instskip(SKIP_1) | instid1(VALU_DEP_3)
	v_pk_fma_f32 v[78:79], v[76:77], v[20:21], v[78:79] op_sel_hi:[1,1,0] neg_lo:[0,0,1] neg_hi:[0,0,1]
	v_mul_f32_e32 v76, v77, v66
	v_pk_add_f32 v[26:27], v[26:27], v[80:81] neg_lo:[0,1] neg_hi:[0,1]
	s_delay_alu instid0(VALU_DEP_2) | instskip(NEXT) | instid1(VALU_DEP_1)
	v_pk_fma_f32 v[74:75], v[74:75], v[20:21], v[76:77] op_sel_hi:[1,1,0]
	v_mov_b32_e32 v79, v75
	ds_load_2addr_b64 v[74:77], v68 offset0:15 offset1:16
	v_pk_add_f32 v[28:29], v[28:29], v[78:79] neg_lo:[0,1] neg_hi:[0,1]
	s_wait_dscnt 0x0
	v_pk_mul_f32 v[78:79], v[74:75], v[64:65] op_sel:[0,1]
	s_delay_alu instid0(VALU_DEP_1) | instskip(SKIP_1) | instid1(VALU_DEP_1)
	v_pk_fma_f32 v[80:81], v[74:75], v[66:67], v[78:79] op_sel:[0,0,1] op_sel_hi:[1,1,0] neg_lo:[0,0,1] neg_hi:[0,0,1]
	v_pk_fma_f32 v[74:75], v[74:75], v[66:67], v[78:79] op_sel:[0,0,1] op_sel_hi:[1,0,0]
	v_mov_b32_e32 v81, v75
	v_pk_mul_f32 v[74:75], v[76:77], v[64:65] op_sel:[0,1]
	s_delay_alu instid0(VALU_DEP_1) | instskip(SKIP_1) | instid1(VALU_DEP_1)
	v_pk_fma_f32 v[78:79], v[76:77], v[66:67], v[74:75] op_sel:[0,0,1] op_sel_hi:[1,1,0] neg_lo:[0,0,1] neg_hi:[0,0,1]
	v_pk_fma_f32 v[74:75], v[76:77], v[66:67], v[74:75] op_sel:[0,0,1] op_sel_hi:[1,0,0]
	v_mov_b32_e32 v79, v75
	ds_load_2addr_b64 v[74:77], v68 offset0:17 offset1:18
	v_pk_add_f32 v[24:25], v[24:25], v[80:81] neg_lo:[0,1] neg_hi:[0,1]
	v_pk_add_f32 v[50:51], v[50:51], v[78:79] neg_lo:[0,1] neg_hi:[0,1]
	s_wait_dscnt 0x0
	v_pk_mul_f32 v[78:79], v[74:75], v[64:65] op_sel:[0,1]
	s_delay_alu instid0(VALU_DEP_1) | instskip(SKIP_1) | instid1(VALU_DEP_1)
	v_pk_fma_f32 v[80:81], v[74:75], v[66:67], v[78:79] op_sel:[0,0,1] op_sel_hi:[1,1,0] neg_lo:[0,0,1] neg_hi:[0,0,1]
	v_pk_fma_f32 v[74:75], v[74:75], v[66:67], v[78:79] op_sel:[0,0,1] op_sel_hi:[1,0,0]
	v_mov_b32_e32 v81, v75
	v_pk_mul_f32 v[74:75], v[76:77], v[64:65] op_sel:[0,1]
	s_delay_alu instid0(VALU_DEP_1) | instskip(SKIP_1) | instid1(VALU_DEP_1)
	v_pk_fma_f32 v[78:79], v[76:77], v[66:67], v[74:75] op_sel:[0,0,1] op_sel_hi:[1,1,0] neg_lo:[0,0,1] neg_hi:[0,0,1]
	v_pk_fma_f32 v[74:75], v[76:77], v[66:67], v[74:75] op_sel:[0,0,1] op_sel_hi:[1,0,0]
	v_mov_b32_e32 v79, v75
	ds_load_2addr_b64 v[74:77], v68 offset0:19 offset1:20
	v_pk_add_f32 v[46:47], v[46:47], v[80:81] neg_lo:[0,1] neg_hi:[0,1]
	v_pk_add_f32 v[48:49], v[48:49], v[78:79] neg_lo:[0,1] neg_hi:[0,1]
	s_wait_dscnt 0x0
	v_dual_mul_f32 v78, v75, v65 :: v_dual_mul_f32 v80, v75, v66
	s_delay_alu instid0(VALU_DEP_1) | instskip(NEXT) | instid1(VALU_DEP_2)
	v_pk_fma_f32 v[78:79], v[74:75], v[20:21], v[78:79] op_sel_hi:[1,1,0] neg_lo:[0,0,1] neg_hi:[0,0,1]
	v_pk_fma_f32 v[74:75], v[74:75], v[20:21], v[80:81] op_sel:[1,0,0] op_sel_hi:[0,1,0]
	s_delay_alu instid0(VALU_DEP_1) | instskip(SKIP_1) | instid1(VALU_DEP_2)
	v_mov_b32_e32 v79, v75
	v_pk_mul_f32 v[74:75], v[76:77], v[64:65] op_sel:[0,1]
	v_pk_add_f32 v[44:45], v[44:45], v[78:79] neg_lo:[0,1] neg_hi:[0,1]
	s_delay_alu instid0(VALU_DEP_2) | instskip(SKIP_1) | instid1(VALU_DEP_1)
	v_pk_fma_f32 v[78:79], v[76:77], v[66:67], v[74:75] op_sel:[0,0,1] op_sel_hi:[1,1,0] neg_lo:[0,0,1] neg_hi:[0,0,1]
	v_pk_fma_f32 v[74:75], v[76:77], v[66:67], v[74:75] op_sel:[0,0,1] op_sel_hi:[1,0,0]
	v_mov_b32_e32 v79, v75
	ds_load_2addr_b64 v[74:77], v68 offset0:21 offset1:22
	v_pk_add_f32 v[38:39], v[38:39], v[78:79] neg_lo:[0,1] neg_hi:[0,1]
	s_wait_dscnt 0x0
	v_pk_mul_f32 v[78:79], v[74:75], v[64:65] op_sel:[0,1]
	s_delay_alu instid0(VALU_DEP_1) | instskip(SKIP_1) | instid1(VALU_DEP_1)
	v_pk_fma_f32 v[80:81], v[74:75], v[66:67], v[78:79] op_sel:[0,0,1] op_sel_hi:[1,1,0] neg_lo:[0,0,1] neg_hi:[0,0,1]
	v_pk_fma_f32 v[74:75], v[74:75], v[66:67], v[78:79] op_sel:[0,0,1] op_sel_hi:[1,0,0]
	v_mov_b32_e32 v81, v75
	v_pk_mul_f32 v[74:75], v[76:77], v[64:65] op_sel:[0,1]
	s_delay_alu instid0(VALU_DEP_2) | instskip(NEXT) | instid1(VALU_DEP_2)
	v_pk_add_f32 v[34:35], v[34:35], v[80:81] neg_lo:[0,1] neg_hi:[0,1]
	v_pk_fma_f32 v[78:79], v[76:77], v[66:67], v[74:75] op_sel:[0,0,1] op_sel_hi:[1,1,0] neg_lo:[0,0,1] neg_hi:[0,0,1]
	v_pk_fma_f32 v[74:75], v[76:77], v[66:67], v[74:75] op_sel:[0,0,1] op_sel_hi:[1,0,0]
	s_delay_alu instid0(VALU_DEP_1) | instskip(SKIP_4) | instid1(VALU_DEP_1)
	v_mov_b32_e32 v79, v75
	ds_load_2addr_b64 v[74:77], v68 offset0:23 offset1:24
	v_pk_add_f32 v[36:37], v[36:37], v[78:79] neg_lo:[0,1] neg_hi:[0,1]
	s_wait_dscnt 0x0
	v_pk_mul_f32 v[78:79], v[74:75], v[64:65] op_sel:[0,1]
	v_pk_fma_f32 v[80:81], v[74:75], v[66:67], v[78:79] op_sel:[0,0,1] op_sel_hi:[1,1,0] neg_lo:[0,0,1] neg_hi:[0,0,1]
	v_pk_fma_f32 v[74:75], v[74:75], v[66:67], v[78:79] op_sel:[0,0,1] op_sel_hi:[1,0,0]
	v_dual_mul_f32 v78, v77, v65 :: v_dual_mov_b32 v74, v77
	s_delay_alu instid0(VALU_DEP_2) | instskip(NEXT) | instid1(VALU_DEP_2)
	v_dual_mov_b32 v81, v75 :: v_dual_mov_b32 v75, v76
	v_pk_fma_f32 v[78:79], v[76:77], v[20:21], v[78:79] op_sel_hi:[1,1,0] neg_lo:[0,0,1] neg_hi:[0,0,1]
	v_mul_f32_e32 v76, v77, v66
	s_delay_alu instid0(VALU_DEP_3) | instskip(NEXT) | instid1(VALU_DEP_2)
	v_pk_add_f32 v[32:33], v[32:33], v[80:81] neg_lo:[0,1] neg_hi:[0,1]
	v_pk_fma_f32 v[74:75], v[74:75], v[20:21], v[76:77] op_sel_hi:[1,1,0]
	s_delay_alu instid0(VALU_DEP_1) | instskip(SKIP_4) | instid1(VALU_DEP_1)
	v_mov_b32_e32 v79, v75
	ds_load_2addr_b64 v[74:77], v68 offset0:25 offset1:26
	v_pk_add_f32 v[6:7], v[6:7], v[78:79] neg_lo:[0,1] neg_hi:[0,1]
	s_wait_dscnt 0x0
	v_pk_mul_f32 v[78:79], v[74:75], v[64:65] op_sel:[0,1]
	v_pk_fma_f32 v[80:81], v[74:75], v[66:67], v[78:79] op_sel:[0,0,1] op_sel_hi:[1,1,0] neg_lo:[0,0,1] neg_hi:[0,0,1]
	v_pk_fma_f32 v[74:75], v[74:75], v[66:67], v[78:79] op_sel:[0,0,1] op_sel_hi:[1,0,0]
	s_delay_alu instid0(VALU_DEP_1) | instskip(SKIP_1) | instid1(VALU_DEP_1)
	v_mov_b32_e32 v81, v75
	v_pk_mul_f32 v[74:75], v[76:77], v[64:65] op_sel:[0,1]
	v_pk_fma_f32 v[78:79], v[76:77], v[66:67], v[74:75] op_sel:[0,0,1] op_sel_hi:[1,1,0] neg_lo:[0,0,1] neg_hi:[0,0,1]
	v_pk_fma_f32 v[74:75], v[76:77], v[66:67], v[74:75] op_sel:[0,0,1] op_sel_hi:[1,0,0]
	s_delay_alu instid0(VALU_DEP_1)
	v_mov_b32_e32 v79, v75
	ds_load_2addr_b64 v[74:77], v68 offset0:27 offset1:28
	v_pk_add_f32 v[52:53], v[52:53], v[80:81] neg_lo:[0,1] neg_hi:[0,1]
	v_pk_add_f32 v[42:43], v[42:43], v[78:79] neg_lo:[0,1] neg_hi:[0,1]
	s_wait_dscnt 0x0
	v_pk_mul_f32 v[78:79], v[74:75], v[64:65] op_sel:[0,1]
	v_mul_f32_e32 v64, v77, v65
	s_delay_alu instid0(VALU_DEP_2) | instskip(SKIP_2) | instid1(VALU_DEP_4)
	v_pk_fma_f32 v[80:81], v[74:75], v[66:67], v[78:79] op_sel:[0,0,1] op_sel_hi:[1,1,0] neg_lo:[0,0,1] neg_hi:[0,0,1]
	v_pk_fma_f32 v[74:75], v[74:75], v[66:67], v[78:79] op_sel:[0,0,1] op_sel_hi:[1,0,0]
	v_dual_mov_b32 v74, v77 :: v_dual_mul_f32 v66, v77, v66
	v_pk_fma_f32 v[64:65], v[76:77], v[20:21], v[64:65] op_sel_hi:[1,1,0] neg_lo:[0,0,1] neg_hi:[0,0,1]
	s_delay_alu instid0(VALU_DEP_3) | instskip(NEXT) | instid1(VALU_DEP_1)
	v_dual_mov_b32 v81, v75 :: v_dual_mov_b32 v75, v76
	v_pk_add_f32 v[40:41], v[40:41], v[80:81] neg_lo:[0,1] neg_hi:[0,1]
	s_delay_alu instid0(VALU_DEP_2) | instskip(NEXT) | instid1(VALU_DEP_1)
	v_pk_fma_f32 v[66:67], v[74:75], v[20:21], v[66:67] op_sel_hi:[1,1,0]
	v_mov_b32_e32 v65, v67
	s_delay_alu instid0(VALU_DEP_1)
	v_pk_add_f32 v[62:63], v[62:63], v[64:65] neg_lo:[0,1] neg_hi:[0,1]
.LBB56_230:
	s_or_b32 exec_lo, exec_lo, s0
	v_lshl_add_u32 v64, v72, 3, v68
	s_barrier_signal -1
	s_barrier_wait -1
	ds_store_b64 v64, v[16:17]
	s_wait_dscnt 0x0
	s_barrier_signal -1
	s_barrier_wait -1
	ds_load_b64 v[64:65], v68 offset:88
	v_mov_b32_e32 v66, 11
	s_cmp_lt_i32 s18, 13
	s_cbranch_scc1 .LBB56_233
; %bb.231:
	v_add3_u32 v67, v69, 0, 0x60
	v_mov_b32_e32 v66, 11
	s_mov_b32 s0, 12
.LBB56_232:                             ; =>This Inner Loop Header: Depth=1
	ds_load_b64 v[74:75], v67
	s_wait_dscnt 0x1
	v_cmp_gt_f32_e32 vcc_lo, 0, v64
	v_cndmask_b32_e64 v76, v64, -v64, vcc_lo
	v_cmp_gt_f32_e32 vcc_lo, 0, v65
	v_cndmask_b32_e64 v78, v65, -v65, vcc_lo
	s_wait_dscnt 0x0
	v_cmp_gt_f32_e32 vcc_lo, 0, v74
	v_cndmask_b32_e64 v77, v74, -v74, vcc_lo
	v_cmp_gt_f32_e32 vcc_lo, 0, v75
	v_cndmask_b32_e64 v79, v75, -v75, vcc_lo
	s_delay_alu instid0(VALU_DEP_1) | instskip(NEXT) | instid1(VALU_DEP_1)
	v_pk_add_f32 v[76:77], v[76:77], v[78:79]
	v_cmp_lt_f32_e32 vcc_lo, v76, v77
	v_dual_cndmask_b32 v64, v64, v74 :: v_dual_add_nc_u32 v67, 8, v67
	v_cndmask_b32_e32 v65, v65, v75, vcc_lo
	v_cndmask_b32_e64 v66, v66, s0, vcc_lo
	s_add_co_i32 s0, s0, 1
	s_delay_alu instid0(SALU_CYCLE_1)
	s_cmp_lg_u32 s18, s0
	s_cbranch_scc1 .LBB56_232
.LBB56_233:
	s_wait_dscnt 0x0
	v_cmp_eq_f32_e32 vcc_lo, 0, v64
	v_cmp_eq_f32_e64 s0, 0, v65
	s_and_b32 s0, vcc_lo, s0
	s_delay_alu instid0(SALU_CYCLE_1) | instskip(NEXT) | instid1(SALU_CYCLE_1)
	s_and_saveexec_b32 s1, s0
	s_xor_b32 s0, exec_lo, s1
; %bb.234:
	v_cmp_ne_u32_e32 vcc_lo, 0, v70
	v_cndmask_b32_e32 v70, 12, v70, vcc_lo
; %bb.235:
	s_and_not1_saveexec_b32 s0, s0
	s_cbranch_execz .LBB56_241
; %bb.236:
	v_cmp_ngt_f32_e64 s1, |v64|, |v65|
	s_and_saveexec_b32 s12, s1
	s_delay_alu instid0(SALU_CYCLE_1)
	s_xor_b32 s1, exec_lo, s12
	s_cbranch_execz .LBB56_238
; %bb.237:
	v_div_scale_f32 v67, null, v65, v65, v64
	v_div_scale_f32 v75, vcc_lo, v64, v65, v64
	s_delay_alu instid0(VALU_DEP_2) | instskip(SKIP_1) | instid1(TRANS32_DEP_1)
	v_rcp_f32_e32 v73, v67
	v_nop
	v_fma_f32 v74, -v67, v73, 1.0
	s_delay_alu instid0(VALU_DEP_1) | instskip(NEXT) | instid1(VALU_DEP_1)
	v_fmac_f32_e32 v73, v74, v73
	v_mul_f32_e32 v74, v75, v73
	s_delay_alu instid0(VALU_DEP_1) | instskip(NEXT) | instid1(VALU_DEP_1)
	v_fma_f32 v76, -v67, v74, v75
	v_fmac_f32_e32 v74, v76, v73
	s_delay_alu instid0(VALU_DEP_1) | instskip(NEXT) | instid1(VALU_DEP_1)
	v_fma_f32 v67, -v67, v74, v75
	v_div_fmas_f32 v67, v67, v73, v74
	s_delay_alu instid0(VALU_DEP_1) | instskip(NEXT) | instid1(VALU_DEP_1)
	v_div_fixup_f32 v67, v67, v65, v64
	v_fmac_f32_e32 v65, v64, v67
	s_delay_alu instid0(VALU_DEP_1) | instskip(SKIP_1) | instid1(VALU_DEP_2)
	v_div_scale_f32 v64, null, v65, v65, 1.0
	v_div_scale_f32 v75, vcc_lo, 1.0, v65, 1.0
	v_rcp_f32_e32 v73, v64
	v_nop
	s_delay_alu instid0(TRANS32_DEP_1) | instskip(NEXT) | instid1(VALU_DEP_1)
	v_fma_f32 v74, -v64, v73, 1.0
	v_fmac_f32_e32 v73, v74, v73
	s_delay_alu instid0(VALU_DEP_1) | instskip(NEXT) | instid1(VALU_DEP_1)
	v_mul_f32_e32 v74, v75, v73
	v_fma_f32 v76, -v64, v74, v75
	s_delay_alu instid0(VALU_DEP_1) | instskip(NEXT) | instid1(VALU_DEP_1)
	v_fmac_f32_e32 v74, v76, v73
	v_fma_f32 v64, -v64, v74, v75
	s_delay_alu instid0(VALU_DEP_1) | instskip(NEXT) | instid1(VALU_DEP_1)
	v_div_fmas_f32 v64, v64, v73, v74
	v_div_fixup_f32 v65, v64, v65, 1.0
	s_delay_alu instid0(VALU_DEP_1)
	v_mul_f32_e32 v64, v67, v65
	v_xor_b32_e32 v65, 0x80000000, v65
.LBB56_238:
	s_and_not1_saveexec_b32 s1, s1
	s_cbranch_execz .LBB56_240
; %bb.239:
	s_delay_alu instid0(VALU_DEP_1) | instskip(SKIP_1) | instid1(VALU_DEP_2)
	v_div_scale_f32 v67, null, v64, v64, v65
	v_div_scale_f32 v75, vcc_lo, v65, v64, v65
	v_rcp_f32_e32 v73, v67
	v_nop
	s_delay_alu instid0(TRANS32_DEP_1) | instskip(NEXT) | instid1(VALU_DEP_1)
	v_fma_f32 v74, -v67, v73, 1.0
	v_fmac_f32_e32 v73, v74, v73
	s_delay_alu instid0(VALU_DEP_1) | instskip(NEXT) | instid1(VALU_DEP_1)
	v_mul_f32_e32 v74, v75, v73
	v_fma_f32 v76, -v67, v74, v75
	s_delay_alu instid0(VALU_DEP_1) | instskip(NEXT) | instid1(VALU_DEP_1)
	v_fmac_f32_e32 v74, v76, v73
	v_fma_f32 v67, -v67, v74, v75
	s_delay_alu instid0(VALU_DEP_1) | instskip(NEXT) | instid1(VALU_DEP_1)
	v_div_fmas_f32 v67, v67, v73, v74
	v_div_fixup_f32 v67, v67, v64, v65
	s_delay_alu instid0(VALU_DEP_1) | instskip(NEXT) | instid1(VALU_DEP_1)
	v_fmac_f32_e32 v64, v65, v67
	v_div_scale_f32 v65, null, v64, v64, 1.0
	s_delay_alu instid0(VALU_DEP_1) | instskip(SKIP_1) | instid1(TRANS32_DEP_1)
	v_rcp_f32_e32 v73, v65
	v_nop
	v_fma_f32 v74, -v65, v73, 1.0
	s_delay_alu instid0(VALU_DEP_1) | instskip(SKIP_1) | instid1(VALU_DEP_1)
	v_fmac_f32_e32 v73, v74, v73
	v_div_scale_f32 v74, vcc_lo, 1.0, v64, 1.0
	v_mul_f32_e32 v75, v74, v73
	s_delay_alu instid0(VALU_DEP_1) | instskip(NEXT) | instid1(VALU_DEP_1)
	v_fma_f32 v76, -v65, v75, v74
	v_fmac_f32_e32 v75, v76, v73
	s_delay_alu instid0(VALU_DEP_1) | instskip(NEXT) | instid1(VALU_DEP_1)
	v_fma_f32 v65, -v65, v75, v74
	v_div_fmas_f32 v65, v65, v73, v75
	s_delay_alu instid0(VALU_DEP_1) | instskip(NEXT) | instid1(VALU_DEP_1)
	v_div_fixup_f32 v64, v65, v64, 1.0
	v_mul_f32_e64 v65, v67, -v64
.LBB56_240:
	s_or_b32 exec_lo, exec_lo, s1
.LBB56_241:
	s_delay_alu instid0(SALU_CYCLE_1) | instskip(NEXT) | instid1(SALU_CYCLE_1)
	s_or_b32 exec_lo, exec_lo, s0
	s_mov_b32 s0, exec_lo
	v_cmpx_ne_u32_e64 v72, v66
	s_xor_b32 s0, exec_lo, s0
	s_cbranch_execz .LBB56_247
; %bb.242:
	s_mov_b32 s1, exec_lo
	v_cmpx_eq_u32_e32 11, v72
	s_cbranch_execz .LBB56_246
; %bb.243:
	v_cmp_ne_u32_e32 vcc_lo, 11, v66
	s_xor_b32 s12, s16, -1
	s_delay_alu instid0(SALU_CYCLE_1) | instskip(NEXT) | instid1(SALU_CYCLE_1)
	s_and_b32 s13, s12, vcc_lo
	s_and_saveexec_b32 s12, s13
	s_cbranch_execz .LBB56_245
; %bb.244:
	v_ashrrev_i32_e32 v67, 31, v66
	s_delay_alu instid0(VALU_DEP_1)
	v_lshl_add_u64 v[72:73], v[66:67], 2, v[4:5]
	s_clause 0x1
	global_load_b32 v67, v[72:73], off
	global_load_b32 v71, v[4:5], off offset:44
	s_wait_loadcnt 0x1
	global_store_b32 v[4:5], v67, off offset:44
	s_wait_loadcnt 0x0
	global_store_b32 v[72:73], v71, off
.LBB56_245:
	s_wait_xcnt 0x0
	s_or_b32 exec_lo, exec_lo, s12
	v_dual_mov_b32 v72, v66 :: v_dual_mov_b32 v71, v66
.LBB56_246:
	s_or_b32 exec_lo, exec_lo, s1
.LBB56_247:
	s_and_not1_saveexec_b32 s0, s0
	s_cbranch_execz .LBB56_249
; %bb.248:
	v_dual_mov_b32 v66, v30 :: v_dual_mov_b32 v67, v31
	v_dual_mov_b32 v72, v26 :: v_dual_mov_b32 v73, v27
	;; [unrolled: 1-line block ×8, first 2 shown]
	ds_store_2addr_b64 v68, v[66:67], v[72:73] offset0:12 offset1:13
	ds_store_2addr_b64 v68, v[74:75], v[76:77] offset0:14 offset1:15
	;; [unrolled: 1-line block ×4, first 2 shown]
	v_dual_mov_b32 v66, v38 :: v_dual_mov_b32 v67, v39
	v_dual_mov_b32 v74, v34 :: v_dual_mov_b32 v75, v35
	;; [unrolled: 1-line block ×8, first 2 shown]
	v_mov_b32_e32 v87, v41
	ds_store_2addr_b64 v68, v[66:67], v[74:75] offset0:20 offset1:21
	ds_store_2addr_b64 v68, v[76:77], v[78:79] offset0:22 offset1:23
	;; [unrolled: 1-line block ×4, first 2 shown]
	ds_store_b64 v68, v[62:63] offset:224
.LBB56_249:
	s_or_b32 exec_lo, exec_lo, s0
	s_delay_alu instid0(SALU_CYCLE_1)
	s_mov_b32 s0, exec_lo
	s_wait_storecnt_dscnt 0x0
	s_barrier_signal -1
	s_barrier_wait -1
	v_cmpx_lt_i32_e32 11, v72
	s_cbranch_execz .LBB56_251
; %bb.250:
	v_pk_mul_f32 v[74:75], v[64:65], v[16:17] op_sel:[1,1] op_sel_hi:[0,1]
	s_delay_alu instid0(VALU_DEP_1)
	v_pk_fma_f32 v[66:67], v[64:65], v[16:17], v[74:75] op_sel_hi:[1,0,1] neg_lo:[0,0,1] neg_hi:[0,0,1]
	v_pk_fma_f32 v[64:65], v[64:65], v[16:17], v[74:75] op_sel_hi:[1,0,1]
	ds_load_2addr_b64 v[74:77], v68 offset0:12 offset1:13
	v_dual_mov_b32 v16, v66 :: v_dual_mov_b32 v17, v65
	s_wait_dscnt 0x0
	v_pk_mul_f32 v[78:79], v[74:75], v[64:65] op_sel:[0,1]
	s_delay_alu instid0(VALU_DEP_1) | instskip(SKIP_1) | instid1(VALU_DEP_1)
	v_pk_fma_f32 v[80:81], v[74:75], v[66:67], v[78:79] op_sel:[0,0,1] op_sel_hi:[1,1,0] neg_lo:[0,0,1] neg_hi:[0,0,1]
	v_pk_fma_f32 v[74:75], v[74:75], v[66:67], v[78:79] op_sel:[0,0,1] op_sel_hi:[1,0,0]
	v_mov_b32_e32 v81, v75
	v_pk_mul_f32 v[74:75], v[76:77], v[64:65] op_sel:[0,1]
	s_delay_alu instid0(VALU_DEP_1) | instskip(SKIP_1) | instid1(VALU_DEP_1)
	v_pk_fma_f32 v[78:79], v[76:77], v[66:67], v[74:75] op_sel:[0,0,1] op_sel_hi:[1,1,0] neg_lo:[0,0,1] neg_hi:[0,0,1]
	v_pk_fma_f32 v[74:75], v[76:77], v[66:67], v[74:75] op_sel:[0,0,1] op_sel_hi:[1,0,0]
	v_mov_b32_e32 v79, v75
	ds_load_2addr_b64 v[74:77], v68 offset0:14 offset1:15
	v_pk_add_f32 v[30:31], v[30:31], v[80:81] neg_lo:[0,1] neg_hi:[0,1]
	v_pk_add_f32 v[26:27], v[26:27], v[78:79] neg_lo:[0,1] neg_hi:[0,1]
	s_wait_dscnt 0x0
	v_pk_mul_f32 v[78:79], v[74:75], v[64:65] op_sel:[0,1]
	s_delay_alu instid0(VALU_DEP_1) | instskip(SKIP_2) | instid1(VALU_DEP_2)
	v_pk_fma_f32 v[80:81], v[74:75], v[66:67], v[78:79] op_sel:[0,0,1] op_sel_hi:[1,1,0] neg_lo:[0,0,1] neg_hi:[0,0,1]
	v_pk_fma_f32 v[74:75], v[74:75], v[66:67], v[78:79] op_sel:[0,0,1] op_sel_hi:[1,0,0]
	v_dual_mul_f32 v78, v77, v65 :: v_dual_mov_b32 v74, v77
	v_dual_mov_b32 v81, v75 :: v_dual_mov_b32 v75, v76
	s_delay_alu instid0(VALU_DEP_2) | instskip(SKIP_1) | instid1(VALU_DEP_3)
	v_pk_fma_f32 v[78:79], v[76:77], v[16:17], v[78:79] op_sel_hi:[1,1,0] neg_lo:[0,0,1] neg_hi:[0,0,1]
	v_mul_f32_e32 v76, v77, v66
	v_pk_add_f32 v[28:29], v[28:29], v[80:81] neg_lo:[0,1] neg_hi:[0,1]
	s_delay_alu instid0(VALU_DEP_2) | instskip(NEXT) | instid1(VALU_DEP_1)
	v_pk_fma_f32 v[74:75], v[74:75], v[16:17], v[76:77] op_sel_hi:[1,1,0]
	v_mov_b32_e32 v79, v75
	ds_load_2addr_b64 v[74:77], v68 offset0:16 offset1:17
	v_pk_add_f32 v[24:25], v[24:25], v[78:79] neg_lo:[0,1] neg_hi:[0,1]
	s_wait_dscnt 0x0
	v_pk_mul_f32 v[78:79], v[74:75], v[64:65] op_sel:[0,1]
	s_delay_alu instid0(VALU_DEP_1) | instskip(SKIP_1) | instid1(VALU_DEP_1)
	v_pk_fma_f32 v[80:81], v[74:75], v[66:67], v[78:79] op_sel:[0,0,1] op_sel_hi:[1,1,0] neg_lo:[0,0,1] neg_hi:[0,0,1]
	v_pk_fma_f32 v[74:75], v[74:75], v[66:67], v[78:79] op_sel:[0,0,1] op_sel_hi:[1,0,0]
	v_mov_b32_e32 v81, v75
	v_pk_mul_f32 v[74:75], v[76:77], v[64:65] op_sel:[0,1]
	s_delay_alu instid0(VALU_DEP_1) | instskip(SKIP_1) | instid1(VALU_DEP_1)
	v_pk_fma_f32 v[78:79], v[76:77], v[66:67], v[74:75] op_sel:[0,0,1] op_sel_hi:[1,1,0] neg_lo:[0,0,1] neg_hi:[0,0,1]
	v_pk_fma_f32 v[74:75], v[76:77], v[66:67], v[74:75] op_sel:[0,0,1] op_sel_hi:[1,0,0]
	v_mov_b32_e32 v79, v75
	ds_load_2addr_b64 v[74:77], v68 offset0:18 offset1:19
	v_pk_add_f32 v[50:51], v[50:51], v[80:81] neg_lo:[0,1] neg_hi:[0,1]
	v_pk_add_f32 v[46:47], v[46:47], v[78:79] neg_lo:[0,1] neg_hi:[0,1]
	s_wait_dscnt 0x0
	v_pk_mul_f32 v[78:79], v[74:75], v[64:65] op_sel:[0,1]
	s_delay_alu instid0(VALU_DEP_1) | instskip(SKIP_1) | instid1(VALU_DEP_1)
	v_pk_fma_f32 v[80:81], v[74:75], v[66:67], v[78:79] op_sel:[0,0,1] op_sel_hi:[1,1,0] neg_lo:[0,0,1] neg_hi:[0,0,1]
	v_pk_fma_f32 v[74:75], v[74:75], v[66:67], v[78:79] op_sel:[0,0,1] op_sel_hi:[1,0,0]
	v_mov_b32_e32 v81, v75
	v_pk_mul_f32 v[74:75], v[76:77], v[64:65] op_sel:[0,1]
	s_delay_alu instid0(VALU_DEP_1) | instskip(SKIP_1) | instid1(VALU_DEP_1)
	v_pk_fma_f32 v[78:79], v[76:77], v[66:67], v[74:75] op_sel:[0,0,1] op_sel_hi:[1,1,0] neg_lo:[0,0,1] neg_hi:[0,0,1]
	v_pk_fma_f32 v[74:75], v[76:77], v[66:67], v[74:75] op_sel:[0,0,1] op_sel_hi:[1,0,0]
	v_mov_b32_e32 v79, v75
	ds_load_2addr_b64 v[74:77], v68 offset0:20 offset1:21
	v_pk_add_f32 v[48:49], v[48:49], v[80:81] neg_lo:[0,1] neg_hi:[0,1]
	v_pk_add_f32 v[44:45], v[44:45], v[78:79] neg_lo:[0,1] neg_hi:[0,1]
	s_wait_dscnt 0x0
	v_dual_mul_f32 v78, v75, v65 :: v_dual_mul_f32 v80, v75, v66
	s_delay_alu instid0(VALU_DEP_1) | instskip(NEXT) | instid1(VALU_DEP_2)
	v_pk_fma_f32 v[78:79], v[74:75], v[16:17], v[78:79] op_sel_hi:[1,1,0] neg_lo:[0,0,1] neg_hi:[0,0,1]
	v_pk_fma_f32 v[74:75], v[74:75], v[16:17], v[80:81] op_sel:[1,0,0] op_sel_hi:[0,1,0]
	s_delay_alu instid0(VALU_DEP_1) | instskip(SKIP_1) | instid1(VALU_DEP_2)
	v_mov_b32_e32 v79, v75
	v_pk_mul_f32 v[74:75], v[76:77], v[64:65] op_sel:[0,1]
	v_pk_add_f32 v[38:39], v[38:39], v[78:79] neg_lo:[0,1] neg_hi:[0,1]
	s_delay_alu instid0(VALU_DEP_2) | instskip(SKIP_1) | instid1(VALU_DEP_1)
	v_pk_fma_f32 v[78:79], v[76:77], v[66:67], v[74:75] op_sel:[0,0,1] op_sel_hi:[1,1,0] neg_lo:[0,0,1] neg_hi:[0,0,1]
	v_pk_fma_f32 v[74:75], v[76:77], v[66:67], v[74:75] op_sel:[0,0,1] op_sel_hi:[1,0,0]
	v_mov_b32_e32 v79, v75
	ds_load_2addr_b64 v[74:77], v68 offset0:22 offset1:23
	v_pk_add_f32 v[34:35], v[34:35], v[78:79] neg_lo:[0,1] neg_hi:[0,1]
	s_wait_dscnt 0x0
	v_pk_mul_f32 v[78:79], v[74:75], v[64:65] op_sel:[0,1]
	s_delay_alu instid0(VALU_DEP_1) | instskip(SKIP_1) | instid1(VALU_DEP_1)
	v_pk_fma_f32 v[80:81], v[74:75], v[66:67], v[78:79] op_sel:[0,0,1] op_sel_hi:[1,1,0] neg_lo:[0,0,1] neg_hi:[0,0,1]
	v_pk_fma_f32 v[74:75], v[74:75], v[66:67], v[78:79] op_sel:[0,0,1] op_sel_hi:[1,0,0]
	v_mov_b32_e32 v81, v75
	v_pk_mul_f32 v[74:75], v[76:77], v[64:65] op_sel:[0,1]
	s_delay_alu instid0(VALU_DEP_2) | instskip(NEXT) | instid1(VALU_DEP_2)
	v_pk_add_f32 v[36:37], v[36:37], v[80:81] neg_lo:[0,1] neg_hi:[0,1]
	v_pk_fma_f32 v[78:79], v[76:77], v[66:67], v[74:75] op_sel:[0,0,1] op_sel_hi:[1,1,0] neg_lo:[0,0,1] neg_hi:[0,0,1]
	v_pk_fma_f32 v[74:75], v[76:77], v[66:67], v[74:75] op_sel:[0,0,1] op_sel_hi:[1,0,0]
	s_delay_alu instid0(VALU_DEP_1) | instskip(SKIP_4) | instid1(VALU_DEP_1)
	v_mov_b32_e32 v79, v75
	ds_load_2addr_b64 v[74:77], v68 offset0:24 offset1:25
	v_pk_add_f32 v[32:33], v[32:33], v[78:79] neg_lo:[0,1] neg_hi:[0,1]
	s_wait_dscnt 0x0
	v_pk_mul_f32 v[78:79], v[74:75], v[64:65] op_sel:[0,1]
	v_pk_fma_f32 v[80:81], v[74:75], v[66:67], v[78:79] op_sel:[0,0,1] op_sel_hi:[1,1,0] neg_lo:[0,0,1] neg_hi:[0,0,1]
	v_pk_fma_f32 v[74:75], v[74:75], v[66:67], v[78:79] op_sel:[0,0,1] op_sel_hi:[1,0,0]
	v_dual_mul_f32 v78, v77, v65 :: v_dual_mov_b32 v74, v77
	s_delay_alu instid0(VALU_DEP_2) | instskip(NEXT) | instid1(VALU_DEP_2)
	v_dual_mov_b32 v81, v75 :: v_dual_mov_b32 v75, v76
	v_pk_fma_f32 v[78:79], v[76:77], v[16:17], v[78:79] op_sel_hi:[1,1,0] neg_lo:[0,0,1] neg_hi:[0,0,1]
	v_mul_f32_e32 v76, v77, v66
	s_delay_alu instid0(VALU_DEP_3) | instskip(NEXT) | instid1(VALU_DEP_2)
	v_pk_add_f32 v[6:7], v[6:7], v[80:81] neg_lo:[0,1] neg_hi:[0,1]
	v_pk_fma_f32 v[74:75], v[74:75], v[16:17], v[76:77] op_sel_hi:[1,1,0]
	s_delay_alu instid0(VALU_DEP_1) | instskip(SKIP_4) | instid1(VALU_DEP_1)
	v_mov_b32_e32 v79, v75
	ds_load_2addr_b64 v[74:77], v68 offset0:26 offset1:27
	v_pk_add_f32 v[52:53], v[52:53], v[78:79] neg_lo:[0,1] neg_hi:[0,1]
	s_wait_dscnt 0x0
	v_pk_mul_f32 v[78:79], v[74:75], v[64:65] op_sel:[0,1]
	v_pk_fma_f32 v[80:81], v[74:75], v[66:67], v[78:79] op_sel:[0,0,1] op_sel_hi:[1,1,0] neg_lo:[0,0,1] neg_hi:[0,0,1]
	v_pk_fma_f32 v[74:75], v[74:75], v[66:67], v[78:79] op_sel:[0,0,1] op_sel_hi:[1,0,0]
	s_delay_alu instid0(VALU_DEP_1) | instskip(SKIP_1) | instid1(VALU_DEP_1)
	v_mov_b32_e32 v81, v75
	v_pk_mul_f32 v[74:75], v[76:77], v[64:65] op_sel:[0,1]
	v_pk_fma_f32 v[78:79], v[76:77], v[66:67], v[74:75] op_sel:[0,0,1] op_sel_hi:[1,1,0] neg_lo:[0,0,1] neg_hi:[0,0,1]
	v_pk_fma_f32 v[74:75], v[76:77], v[66:67], v[74:75] op_sel:[0,0,1] op_sel_hi:[1,0,0]
	s_delay_alu instid0(VALU_DEP_1)
	v_mov_b32_e32 v79, v75
	ds_load_b64 v[74:75], v68 offset:224
	v_pk_add_f32 v[42:43], v[42:43], v[80:81] neg_lo:[0,1] neg_hi:[0,1]
	v_pk_add_f32 v[40:41], v[40:41], v[78:79] neg_lo:[0,1] neg_hi:[0,1]
	s_wait_dscnt 0x0
	v_pk_mul_f32 v[64:65], v[74:75], v[64:65] op_sel:[0,1]
	s_delay_alu instid0(VALU_DEP_1) | instskip(SKIP_1) | instid1(VALU_DEP_1)
	v_pk_fma_f32 v[76:77], v[74:75], v[66:67], v[64:65] op_sel:[0,0,1] op_sel_hi:[1,1,0] neg_lo:[0,0,1] neg_hi:[0,0,1]
	v_pk_fma_f32 v[64:65], v[74:75], v[66:67], v[64:65] op_sel:[0,0,1] op_sel_hi:[1,0,0]
	v_mov_b32_e32 v77, v65
	s_delay_alu instid0(VALU_DEP_1)
	v_pk_add_f32 v[62:63], v[62:63], v[76:77] neg_lo:[0,1] neg_hi:[0,1]
.LBB56_251:
	s_or_b32 exec_lo, exec_lo, s0
	v_lshl_add_u32 v64, v72, 3, v68
	s_barrier_signal -1
	s_barrier_wait -1
	ds_store_b64 v64, v[30:31]
	s_wait_dscnt 0x0
	s_barrier_signal -1
	s_barrier_wait -1
	ds_load_b64 v[64:65], v68 offset:96
	v_mov_b32_e32 v66, 12
	s_cmp_lt_i32 s18, 14
	s_cbranch_scc1 .LBB56_254
; %bb.252:
	v_add3_u32 v67, v69, 0, 0x68
	v_mov_b32_e32 v66, 12
	s_mov_b32 s0, 13
.LBB56_253:                             ; =>This Inner Loop Header: Depth=1
	ds_load_b64 v[74:75], v67
	s_wait_dscnt 0x1
	v_cmp_gt_f32_e32 vcc_lo, 0, v64
	v_cndmask_b32_e64 v76, v64, -v64, vcc_lo
	v_cmp_gt_f32_e32 vcc_lo, 0, v65
	v_cndmask_b32_e64 v78, v65, -v65, vcc_lo
	s_wait_dscnt 0x0
	v_cmp_gt_f32_e32 vcc_lo, 0, v74
	v_cndmask_b32_e64 v77, v74, -v74, vcc_lo
	v_cmp_gt_f32_e32 vcc_lo, 0, v75
	v_cndmask_b32_e64 v79, v75, -v75, vcc_lo
	s_delay_alu instid0(VALU_DEP_1) | instskip(NEXT) | instid1(VALU_DEP_1)
	v_pk_add_f32 v[76:77], v[76:77], v[78:79]
	v_cmp_lt_f32_e32 vcc_lo, v76, v77
	v_dual_cndmask_b32 v64, v64, v74 :: v_dual_add_nc_u32 v67, 8, v67
	v_cndmask_b32_e32 v65, v65, v75, vcc_lo
	v_cndmask_b32_e64 v66, v66, s0, vcc_lo
	s_add_co_i32 s0, s0, 1
	s_delay_alu instid0(SALU_CYCLE_1)
	s_cmp_lg_u32 s18, s0
	s_cbranch_scc1 .LBB56_253
.LBB56_254:
	s_wait_dscnt 0x0
	v_cmp_eq_f32_e32 vcc_lo, 0, v64
	v_cmp_eq_f32_e64 s0, 0, v65
	s_and_b32 s0, vcc_lo, s0
	s_delay_alu instid0(SALU_CYCLE_1) | instskip(NEXT) | instid1(SALU_CYCLE_1)
	s_and_saveexec_b32 s1, s0
	s_xor_b32 s0, exec_lo, s1
; %bb.255:
	v_cmp_ne_u32_e32 vcc_lo, 0, v70
	v_cndmask_b32_e32 v70, 13, v70, vcc_lo
; %bb.256:
	s_and_not1_saveexec_b32 s0, s0
	s_cbranch_execz .LBB56_262
; %bb.257:
	v_cmp_ngt_f32_e64 s1, |v64|, |v65|
	s_and_saveexec_b32 s12, s1
	s_delay_alu instid0(SALU_CYCLE_1)
	s_xor_b32 s1, exec_lo, s12
	s_cbranch_execz .LBB56_259
; %bb.258:
	v_div_scale_f32 v67, null, v65, v65, v64
	v_div_scale_f32 v75, vcc_lo, v64, v65, v64
	s_delay_alu instid0(VALU_DEP_2) | instskip(SKIP_1) | instid1(TRANS32_DEP_1)
	v_rcp_f32_e32 v73, v67
	v_nop
	v_fma_f32 v74, -v67, v73, 1.0
	s_delay_alu instid0(VALU_DEP_1) | instskip(NEXT) | instid1(VALU_DEP_1)
	v_fmac_f32_e32 v73, v74, v73
	v_mul_f32_e32 v74, v75, v73
	s_delay_alu instid0(VALU_DEP_1) | instskip(NEXT) | instid1(VALU_DEP_1)
	v_fma_f32 v76, -v67, v74, v75
	v_fmac_f32_e32 v74, v76, v73
	s_delay_alu instid0(VALU_DEP_1) | instskip(NEXT) | instid1(VALU_DEP_1)
	v_fma_f32 v67, -v67, v74, v75
	v_div_fmas_f32 v67, v67, v73, v74
	s_delay_alu instid0(VALU_DEP_1) | instskip(NEXT) | instid1(VALU_DEP_1)
	v_div_fixup_f32 v67, v67, v65, v64
	v_fmac_f32_e32 v65, v64, v67
	s_delay_alu instid0(VALU_DEP_1) | instskip(SKIP_1) | instid1(VALU_DEP_2)
	v_div_scale_f32 v64, null, v65, v65, 1.0
	v_div_scale_f32 v75, vcc_lo, 1.0, v65, 1.0
	v_rcp_f32_e32 v73, v64
	v_nop
	s_delay_alu instid0(TRANS32_DEP_1) | instskip(NEXT) | instid1(VALU_DEP_1)
	v_fma_f32 v74, -v64, v73, 1.0
	v_fmac_f32_e32 v73, v74, v73
	s_delay_alu instid0(VALU_DEP_1) | instskip(NEXT) | instid1(VALU_DEP_1)
	v_mul_f32_e32 v74, v75, v73
	v_fma_f32 v76, -v64, v74, v75
	s_delay_alu instid0(VALU_DEP_1) | instskip(NEXT) | instid1(VALU_DEP_1)
	v_fmac_f32_e32 v74, v76, v73
	v_fma_f32 v64, -v64, v74, v75
	s_delay_alu instid0(VALU_DEP_1) | instskip(NEXT) | instid1(VALU_DEP_1)
	v_div_fmas_f32 v64, v64, v73, v74
	v_div_fixup_f32 v65, v64, v65, 1.0
	s_delay_alu instid0(VALU_DEP_1)
	v_mul_f32_e32 v64, v67, v65
	v_xor_b32_e32 v65, 0x80000000, v65
.LBB56_259:
	s_and_not1_saveexec_b32 s1, s1
	s_cbranch_execz .LBB56_261
; %bb.260:
	s_delay_alu instid0(VALU_DEP_1) | instskip(SKIP_1) | instid1(VALU_DEP_2)
	v_div_scale_f32 v67, null, v64, v64, v65
	v_div_scale_f32 v75, vcc_lo, v65, v64, v65
	v_rcp_f32_e32 v73, v67
	v_nop
	s_delay_alu instid0(TRANS32_DEP_1) | instskip(NEXT) | instid1(VALU_DEP_1)
	v_fma_f32 v74, -v67, v73, 1.0
	v_fmac_f32_e32 v73, v74, v73
	s_delay_alu instid0(VALU_DEP_1) | instskip(NEXT) | instid1(VALU_DEP_1)
	v_mul_f32_e32 v74, v75, v73
	v_fma_f32 v76, -v67, v74, v75
	s_delay_alu instid0(VALU_DEP_1) | instskip(NEXT) | instid1(VALU_DEP_1)
	v_fmac_f32_e32 v74, v76, v73
	v_fma_f32 v67, -v67, v74, v75
	s_delay_alu instid0(VALU_DEP_1) | instskip(NEXT) | instid1(VALU_DEP_1)
	v_div_fmas_f32 v67, v67, v73, v74
	v_div_fixup_f32 v67, v67, v64, v65
	s_delay_alu instid0(VALU_DEP_1) | instskip(NEXT) | instid1(VALU_DEP_1)
	v_fmac_f32_e32 v64, v65, v67
	v_div_scale_f32 v65, null, v64, v64, 1.0
	s_delay_alu instid0(VALU_DEP_1) | instskip(SKIP_1) | instid1(TRANS32_DEP_1)
	v_rcp_f32_e32 v73, v65
	v_nop
	v_fma_f32 v74, -v65, v73, 1.0
	s_delay_alu instid0(VALU_DEP_1) | instskip(SKIP_1) | instid1(VALU_DEP_1)
	v_fmac_f32_e32 v73, v74, v73
	v_div_scale_f32 v74, vcc_lo, 1.0, v64, 1.0
	v_mul_f32_e32 v75, v74, v73
	s_delay_alu instid0(VALU_DEP_1) | instskip(NEXT) | instid1(VALU_DEP_1)
	v_fma_f32 v76, -v65, v75, v74
	v_fmac_f32_e32 v75, v76, v73
	s_delay_alu instid0(VALU_DEP_1) | instskip(NEXT) | instid1(VALU_DEP_1)
	v_fma_f32 v65, -v65, v75, v74
	v_div_fmas_f32 v65, v65, v73, v75
	s_delay_alu instid0(VALU_DEP_1) | instskip(NEXT) | instid1(VALU_DEP_1)
	v_div_fixup_f32 v64, v65, v64, 1.0
	v_mul_f32_e64 v65, v67, -v64
.LBB56_261:
	s_or_b32 exec_lo, exec_lo, s1
.LBB56_262:
	s_delay_alu instid0(SALU_CYCLE_1) | instskip(NEXT) | instid1(SALU_CYCLE_1)
	s_or_b32 exec_lo, exec_lo, s0
	s_mov_b32 s0, exec_lo
	v_cmpx_ne_u32_e64 v72, v66
	s_xor_b32 s0, exec_lo, s0
	s_cbranch_execz .LBB56_268
; %bb.263:
	s_mov_b32 s1, exec_lo
	v_cmpx_eq_u32_e32 12, v72
	s_cbranch_execz .LBB56_267
; %bb.264:
	v_cmp_ne_u32_e32 vcc_lo, 12, v66
	s_xor_b32 s12, s16, -1
	s_delay_alu instid0(SALU_CYCLE_1) | instskip(NEXT) | instid1(SALU_CYCLE_1)
	s_and_b32 s13, s12, vcc_lo
	s_and_saveexec_b32 s12, s13
	s_cbranch_execz .LBB56_266
; %bb.265:
	v_ashrrev_i32_e32 v67, 31, v66
	s_delay_alu instid0(VALU_DEP_1)
	v_lshl_add_u64 v[72:73], v[66:67], 2, v[4:5]
	s_clause 0x1
	global_load_b32 v67, v[72:73], off
	global_load_b32 v71, v[4:5], off offset:48
	s_wait_loadcnt 0x1
	global_store_b32 v[4:5], v67, off offset:48
	s_wait_loadcnt 0x0
	global_store_b32 v[72:73], v71, off
.LBB56_266:
	s_wait_xcnt 0x0
	s_or_b32 exec_lo, exec_lo, s12
	v_dual_mov_b32 v72, v66 :: v_dual_mov_b32 v71, v66
.LBB56_267:
	s_or_b32 exec_lo, exec_lo, s1
.LBB56_268:
	s_and_not1_saveexec_b32 s0, s0
	s_cbranch_execz .LBB56_270
; %bb.269:
	v_mov_b32_e32 v72, 12
	ds_store_2addr_b64 v68, v[26:27], v[28:29] offset0:13 offset1:14
	ds_store_2addr_b64 v68, v[24:25], v[50:51] offset0:15 offset1:16
	;; [unrolled: 1-line block ×8, first 2 shown]
.LBB56_270:
	s_or_b32 exec_lo, exec_lo, s0
	s_delay_alu instid0(SALU_CYCLE_1)
	s_mov_b32 s0, exec_lo
	s_wait_storecnt_dscnt 0x0
	s_barrier_signal -1
	s_barrier_wait -1
	v_cmpx_lt_i32_e32 12, v72
	s_cbranch_execz .LBB56_272
; %bb.271:
	v_pk_mul_f32 v[74:75], v[64:65], v[30:31] op_sel:[1,1] op_sel_hi:[0,1]
	s_delay_alu instid0(VALU_DEP_1)
	v_pk_fma_f32 v[66:67], v[64:65], v[30:31], v[74:75] op_sel_hi:[1,0,1] neg_lo:[0,0,1] neg_hi:[0,0,1]
	v_pk_fma_f32 v[64:65], v[64:65], v[30:31], v[74:75] op_sel_hi:[1,0,1]
	ds_load_2addr_b64 v[74:77], v68 offset0:13 offset1:14
	v_dual_mov_b32 v30, v66 :: v_dual_mov_b32 v31, v65
	s_wait_dscnt 0x0
	v_pk_mul_f32 v[78:79], v[74:75], v[64:65] op_sel:[0,1]
	s_delay_alu instid0(VALU_DEP_1) | instskip(SKIP_1) | instid1(VALU_DEP_1)
	v_pk_fma_f32 v[80:81], v[74:75], v[66:67], v[78:79] op_sel:[0,0,1] op_sel_hi:[1,1,0] neg_lo:[0,0,1] neg_hi:[0,0,1]
	v_pk_fma_f32 v[74:75], v[74:75], v[66:67], v[78:79] op_sel:[0,0,1] op_sel_hi:[1,0,0]
	v_mov_b32_e32 v81, v75
	v_pk_mul_f32 v[74:75], v[76:77], v[64:65] op_sel:[0,1]
	s_delay_alu instid0(VALU_DEP_1) | instskip(SKIP_1) | instid1(VALU_DEP_1)
	v_pk_fma_f32 v[78:79], v[76:77], v[66:67], v[74:75] op_sel:[0,0,1] op_sel_hi:[1,1,0] neg_lo:[0,0,1] neg_hi:[0,0,1]
	v_pk_fma_f32 v[74:75], v[76:77], v[66:67], v[74:75] op_sel:[0,0,1] op_sel_hi:[1,0,0]
	v_mov_b32_e32 v79, v75
	ds_load_2addr_b64 v[74:77], v68 offset0:15 offset1:16
	v_pk_add_f32 v[26:27], v[26:27], v[80:81] neg_lo:[0,1] neg_hi:[0,1]
	v_pk_add_f32 v[28:29], v[28:29], v[78:79] neg_lo:[0,1] neg_hi:[0,1]
	s_wait_dscnt 0x0
	v_pk_mul_f32 v[78:79], v[74:75], v[64:65] op_sel:[0,1]
	s_delay_alu instid0(VALU_DEP_1) | instskip(SKIP_2) | instid1(VALU_DEP_2)
	v_pk_fma_f32 v[80:81], v[74:75], v[66:67], v[78:79] op_sel:[0,0,1] op_sel_hi:[1,1,0] neg_lo:[0,0,1] neg_hi:[0,0,1]
	v_pk_fma_f32 v[74:75], v[74:75], v[66:67], v[78:79] op_sel:[0,0,1] op_sel_hi:[1,0,0]
	v_dual_mul_f32 v78, v77, v65 :: v_dual_mov_b32 v74, v77
	v_dual_mov_b32 v81, v75 :: v_dual_mov_b32 v75, v76
	s_delay_alu instid0(VALU_DEP_2) | instskip(SKIP_1) | instid1(VALU_DEP_3)
	v_pk_fma_f32 v[78:79], v[76:77], v[30:31], v[78:79] op_sel_hi:[1,1,0] neg_lo:[0,0,1] neg_hi:[0,0,1]
	v_mul_f32_e32 v76, v77, v66
	v_pk_add_f32 v[24:25], v[24:25], v[80:81] neg_lo:[0,1] neg_hi:[0,1]
	s_delay_alu instid0(VALU_DEP_2) | instskip(NEXT) | instid1(VALU_DEP_1)
	v_pk_fma_f32 v[74:75], v[74:75], v[30:31], v[76:77] op_sel_hi:[1,1,0]
	v_mov_b32_e32 v79, v75
	ds_load_2addr_b64 v[74:77], v68 offset0:17 offset1:18
	v_pk_add_f32 v[50:51], v[50:51], v[78:79] neg_lo:[0,1] neg_hi:[0,1]
	s_wait_dscnt 0x0
	v_pk_mul_f32 v[78:79], v[74:75], v[64:65] op_sel:[0,1]
	s_delay_alu instid0(VALU_DEP_1) | instskip(SKIP_1) | instid1(VALU_DEP_1)
	v_pk_fma_f32 v[80:81], v[74:75], v[66:67], v[78:79] op_sel:[0,0,1] op_sel_hi:[1,1,0] neg_lo:[0,0,1] neg_hi:[0,0,1]
	v_pk_fma_f32 v[74:75], v[74:75], v[66:67], v[78:79] op_sel:[0,0,1] op_sel_hi:[1,0,0]
	v_mov_b32_e32 v81, v75
	v_pk_mul_f32 v[74:75], v[76:77], v[64:65] op_sel:[0,1]
	s_delay_alu instid0(VALU_DEP_1) | instskip(SKIP_1) | instid1(VALU_DEP_1)
	v_pk_fma_f32 v[78:79], v[76:77], v[66:67], v[74:75] op_sel:[0,0,1] op_sel_hi:[1,1,0] neg_lo:[0,0,1] neg_hi:[0,0,1]
	v_pk_fma_f32 v[74:75], v[76:77], v[66:67], v[74:75] op_sel:[0,0,1] op_sel_hi:[1,0,0]
	v_mov_b32_e32 v79, v75
	ds_load_2addr_b64 v[74:77], v68 offset0:19 offset1:20
	v_pk_add_f32 v[46:47], v[46:47], v[80:81] neg_lo:[0,1] neg_hi:[0,1]
	v_pk_add_f32 v[48:49], v[48:49], v[78:79] neg_lo:[0,1] neg_hi:[0,1]
	s_wait_dscnt 0x0
	v_pk_mul_f32 v[78:79], v[74:75], v[64:65] op_sel:[0,1]
	s_delay_alu instid0(VALU_DEP_1) | instskip(SKIP_1) | instid1(VALU_DEP_1)
	v_pk_fma_f32 v[80:81], v[74:75], v[66:67], v[78:79] op_sel:[0,0,1] op_sel_hi:[1,1,0] neg_lo:[0,0,1] neg_hi:[0,0,1]
	v_pk_fma_f32 v[74:75], v[74:75], v[66:67], v[78:79] op_sel:[0,0,1] op_sel_hi:[1,0,0]
	v_mov_b32_e32 v81, v75
	v_pk_mul_f32 v[74:75], v[76:77], v[64:65] op_sel:[0,1]
	s_delay_alu instid0(VALU_DEP_1) | instskip(SKIP_1) | instid1(VALU_DEP_1)
	v_pk_fma_f32 v[78:79], v[76:77], v[66:67], v[74:75] op_sel:[0,0,1] op_sel_hi:[1,1,0] neg_lo:[0,0,1] neg_hi:[0,0,1]
	v_pk_fma_f32 v[74:75], v[76:77], v[66:67], v[74:75] op_sel:[0,0,1] op_sel_hi:[1,0,0]
	v_mov_b32_e32 v79, v75
	ds_load_2addr_b64 v[74:77], v68 offset0:21 offset1:22
	v_pk_add_f32 v[44:45], v[44:45], v[80:81] neg_lo:[0,1] neg_hi:[0,1]
	v_pk_add_f32 v[38:39], v[38:39], v[78:79] neg_lo:[0,1] neg_hi:[0,1]
	s_wait_dscnt 0x0
	v_dual_mul_f32 v78, v75, v65 :: v_dual_mul_f32 v80, v75, v66
	s_delay_alu instid0(VALU_DEP_1) | instskip(NEXT) | instid1(VALU_DEP_2)
	v_pk_fma_f32 v[78:79], v[74:75], v[30:31], v[78:79] op_sel_hi:[1,1,0] neg_lo:[0,0,1] neg_hi:[0,0,1]
	v_pk_fma_f32 v[74:75], v[74:75], v[30:31], v[80:81] op_sel:[1,0,0] op_sel_hi:[0,1,0]
	s_delay_alu instid0(VALU_DEP_1) | instskip(SKIP_1) | instid1(VALU_DEP_2)
	v_mov_b32_e32 v79, v75
	v_pk_mul_f32 v[74:75], v[76:77], v[64:65] op_sel:[0,1]
	v_pk_add_f32 v[34:35], v[34:35], v[78:79] neg_lo:[0,1] neg_hi:[0,1]
	s_delay_alu instid0(VALU_DEP_2) | instskip(SKIP_1) | instid1(VALU_DEP_1)
	v_pk_fma_f32 v[78:79], v[76:77], v[66:67], v[74:75] op_sel:[0,0,1] op_sel_hi:[1,1,0] neg_lo:[0,0,1] neg_hi:[0,0,1]
	v_pk_fma_f32 v[74:75], v[76:77], v[66:67], v[74:75] op_sel:[0,0,1] op_sel_hi:[1,0,0]
	v_mov_b32_e32 v79, v75
	ds_load_2addr_b64 v[74:77], v68 offset0:23 offset1:24
	v_pk_add_f32 v[36:37], v[36:37], v[78:79] neg_lo:[0,1] neg_hi:[0,1]
	s_wait_dscnt 0x0
	v_pk_mul_f32 v[78:79], v[74:75], v[64:65] op_sel:[0,1]
	s_delay_alu instid0(VALU_DEP_1) | instskip(SKIP_1) | instid1(VALU_DEP_1)
	v_pk_fma_f32 v[80:81], v[74:75], v[66:67], v[78:79] op_sel:[0,0,1] op_sel_hi:[1,1,0] neg_lo:[0,0,1] neg_hi:[0,0,1]
	v_pk_fma_f32 v[74:75], v[74:75], v[66:67], v[78:79] op_sel:[0,0,1] op_sel_hi:[1,0,0]
	v_mov_b32_e32 v81, v75
	v_pk_mul_f32 v[74:75], v[76:77], v[64:65] op_sel:[0,1]
	s_delay_alu instid0(VALU_DEP_2) | instskip(NEXT) | instid1(VALU_DEP_2)
	v_pk_add_f32 v[32:33], v[32:33], v[80:81] neg_lo:[0,1] neg_hi:[0,1]
	v_pk_fma_f32 v[78:79], v[76:77], v[66:67], v[74:75] op_sel:[0,0,1] op_sel_hi:[1,1,0] neg_lo:[0,0,1] neg_hi:[0,0,1]
	v_pk_fma_f32 v[74:75], v[76:77], v[66:67], v[74:75] op_sel:[0,0,1] op_sel_hi:[1,0,0]
	s_delay_alu instid0(VALU_DEP_1) | instskip(SKIP_4) | instid1(VALU_DEP_1)
	v_mov_b32_e32 v79, v75
	ds_load_2addr_b64 v[74:77], v68 offset0:25 offset1:26
	v_pk_add_f32 v[6:7], v[6:7], v[78:79] neg_lo:[0,1] neg_hi:[0,1]
	s_wait_dscnt 0x0
	v_pk_mul_f32 v[78:79], v[74:75], v[64:65] op_sel:[0,1]
	v_pk_fma_f32 v[80:81], v[74:75], v[66:67], v[78:79] op_sel:[0,0,1] op_sel_hi:[1,1,0] neg_lo:[0,0,1] neg_hi:[0,0,1]
	v_pk_fma_f32 v[74:75], v[74:75], v[66:67], v[78:79] op_sel:[0,0,1] op_sel_hi:[1,0,0]
	v_dual_mul_f32 v78, v77, v65 :: v_dual_mov_b32 v74, v77
	s_delay_alu instid0(VALU_DEP_2) | instskip(NEXT) | instid1(VALU_DEP_2)
	v_dual_mov_b32 v81, v75 :: v_dual_mov_b32 v75, v76
	v_pk_fma_f32 v[78:79], v[76:77], v[30:31], v[78:79] op_sel_hi:[1,1,0] neg_lo:[0,0,1] neg_hi:[0,0,1]
	v_mul_f32_e32 v76, v77, v66
	s_delay_alu instid0(VALU_DEP_3) | instskip(NEXT) | instid1(VALU_DEP_2)
	v_pk_add_f32 v[52:53], v[52:53], v[80:81] neg_lo:[0,1] neg_hi:[0,1]
	v_pk_fma_f32 v[74:75], v[74:75], v[30:31], v[76:77] op_sel_hi:[1,1,0]
	s_delay_alu instid0(VALU_DEP_1)
	v_mov_b32_e32 v79, v75
	ds_load_2addr_b64 v[74:77], v68 offset0:27 offset1:28
	v_pk_add_f32 v[42:43], v[42:43], v[78:79] neg_lo:[0,1] neg_hi:[0,1]
	s_wait_dscnt 0x0
	v_pk_mul_f32 v[78:79], v[74:75], v[64:65] op_sel:[0,1]
	v_pk_mul_f32 v[64:65], v[76:77], v[64:65] op_sel:[0,1]
	s_delay_alu instid0(VALU_DEP_2) | instskip(SKIP_1) | instid1(VALU_DEP_1)
	v_pk_fma_f32 v[80:81], v[74:75], v[66:67], v[78:79] op_sel:[0,0,1] op_sel_hi:[1,1,0] neg_lo:[0,0,1] neg_hi:[0,0,1]
	v_pk_fma_f32 v[74:75], v[74:75], v[66:67], v[78:79] op_sel:[0,0,1] op_sel_hi:[1,0,0]
	v_mov_b32_e32 v81, v75
	s_delay_alu instid0(VALU_DEP_4) | instskip(SKIP_1) | instid1(VALU_DEP_1)
	v_pk_fma_f32 v[74:75], v[76:77], v[66:67], v[64:65] op_sel:[0,0,1] op_sel_hi:[1,1,0] neg_lo:[0,0,1] neg_hi:[0,0,1]
	v_pk_fma_f32 v[64:65], v[76:77], v[66:67], v[64:65] op_sel:[0,0,1] op_sel_hi:[1,0,0]
	v_mov_b32_e32 v75, v65
	s_delay_alu instid0(VALU_DEP_4) | instskip(NEXT) | instid1(VALU_DEP_2)
	v_pk_add_f32 v[40:41], v[40:41], v[80:81] neg_lo:[0,1] neg_hi:[0,1]
	v_pk_add_f32 v[62:63], v[62:63], v[74:75] neg_lo:[0,1] neg_hi:[0,1]
.LBB56_272:
	s_or_b32 exec_lo, exec_lo, s0
	v_lshl_add_u32 v64, v72, 3, v68
	s_barrier_signal -1
	s_barrier_wait -1
	ds_store_b64 v64, v[26:27]
	s_wait_dscnt 0x0
	s_barrier_signal -1
	s_barrier_wait -1
	ds_load_b64 v[64:65], v68 offset:104
	v_mov_b32_e32 v66, 13
	s_cmp_lt_i32 s18, 15
	s_cbranch_scc1 .LBB56_275
; %bb.273:
	v_add3_u32 v67, v69, 0, 0x70
	v_mov_b32_e32 v66, 13
	s_mov_b32 s0, 14
.LBB56_274:                             ; =>This Inner Loop Header: Depth=1
	ds_load_b64 v[74:75], v67
	s_wait_dscnt 0x1
	v_cmp_gt_f32_e32 vcc_lo, 0, v64
	v_cndmask_b32_e64 v76, v64, -v64, vcc_lo
	v_cmp_gt_f32_e32 vcc_lo, 0, v65
	v_cndmask_b32_e64 v78, v65, -v65, vcc_lo
	s_wait_dscnt 0x0
	v_cmp_gt_f32_e32 vcc_lo, 0, v74
	v_cndmask_b32_e64 v77, v74, -v74, vcc_lo
	v_cmp_gt_f32_e32 vcc_lo, 0, v75
	v_cndmask_b32_e64 v79, v75, -v75, vcc_lo
	s_delay_alu instid0(VALU_DEP_1) | instskip(NEXT) | instid1(VALU_DEP_1)
	v_pk_add_f32 v[76:77], v[76:77], v[78:79]
	v_cmp_lt_f32_e32 vcc_lo, v76, v77
	v_dual_cndmask_b32 v64, v64, v74 :: v_dual_add_nc_u32 v67, 8, v67
	v_cndmask_b32_e32 v65, v65, v75, vcc_lo
	v_cndmask_b32_e64 v66, v66, s0, vcc_lo
	s_add_co_i32 s0, s0, 1
	s_delay_alu instid0(SALU_CYCLE_1)
	s_cmp_lg_u32 s18, s0
	s_cbranch_scc1 .LBB56_274
.LBB56_275:
	s_wait_dscnt 0x0
	v_cmp_eq_f32_e32 vcc_lo, 0, v64
	v_cmp_eq_f32_e64 s0, 0, v65
	s_and_b32 s0, vcc_lo, s0
	s_delay_alu instid0(SALU_CYCLE_1) | instskip(NEXT) | instid1(SALU_CYCLE_1)
	s_and_saveexec_b32 s1, s0
	s_xor_b32 s0, exec_lo, s1
; %bb.276:
	v_cmp_ne_u32_e32 vcc_lo, 0, v70
	v_cndmask_b32_e32 v70, 14, v70, vcc_lo
; %bb.277:
	s_and_not1_saveexec_b32 s0, s0
	s_cbranch_execz .LBB56_283
; %bb.278:
	v_cmp_ngt_f32_e64 s1, |v64|, |v65|
	s_and_saveexec_b32 s12, s1
	s_delay_alu instid0(SALU_CYCLE_1)
	s_xor_b32 s1, exec_lo, s12
	s_cbranch_execz .LBB56_280
; %bb.279:
	v_div_scale_f32 v67, null, v65, v65, v64
	v_div_scale_f32 v75, vcc_lo, v64, v65, v64
	s_delay_alu instid0(VALU_DEP_2) | instskip(SKIP_1) | instid1(TRANS32_DEP_1)
	v_rcp_f32_e32 v73, v67
	v_nop
	v_fma_f32 v74, -v67, v73, 1.0
	s_delay_alu instid0(VALU_DEP_1) | instskip(NEXT) | instid1(VALU_DEP_1)
	v_fmac_f32_e32 v73, v74, v73
	v_mul_f32_e32 v74, v75, v73
	s_delay_alu instid0(VALU_DEP_1) | instskip(NEXT) | instid1(VALU_DEP_1)
	v_fma_f32 v76, -v67, v74, v75
	v_fmac_f32_e32 v74, v76, v73
	s_delay_alu instid0(VALU_DEP_1) | instskip(NEXT) | instid1(VALU_DEP_1)
	v_fma_f32 v67, -v67, v74, v75
	v_div_fmas_f32 v67, v67, v73, v74
	s_delay_alu instid0(VALU_DEP_1) | instskip(NEXT) | instid1(VALU_DEP_1)
	v_div_fixup_f32 v67, v67, v65, v64
	v_fmac_f32_e32 v65, v64, v67
	s_delay_alu instid0(VALU_DEP_1) | instskip(SKIP_1) | instid1(VALU_DEP_2)
	v_div_scale_f32 v64, null, v65, v65, 1.0
	v_div_scale_f32 v75, vcc_lo, 1.0, v65, 1.0
	v_rcp_f32_e32 v73, v64
	v_nop
	s_delay_alu instid0(TRANS32_DEP_1) | instskip(NEXT) | instid1(VALU_DEP_1)
	v_fma_f32 v74, -v64, v73, 1.0
	v_fmac_f32_e32 v73, v74, v73
	s_delay_alu instid0(VALU_DEP_1) | instskip(NEXT) | instid1(VALU_DEP_1)
	v_mul_f32_e32 v74, v75, v73
	v_fma_f32 v76, -v64, v74, v75
	s_delay_alu instid0(VALU_DEP_1) | instskip(NEXT) | instid1(VALU_DEP_1)
	v_fmac_f32_e32 v74, v76, v73
	v_fma_f32 v64, -v64, v74, v75
	s_delay_alu instid0(VALU_DEP_1) | instskip(NEXT) | instid1(VALU_DEP_1)
	v_div_fmas_f32 v64, v64, v73, v74
	v_div_fixup_f32 v65, v64, v65, 1.0
	s_delay_alu instid0(VALU_DEP_1)
	v_mul_f32_e32 v64, v67, v65
	v_xor_b32_e32 v65, 0x80000000, v65
.LBB56_280:
	s_and_not1_saveexec_b32 s1, s1
	s_cbranch_execz .LBB56_282
; %bb.281:
	s_delay_alu instid0(VALU_DEP_1) | instskip(SKIP_1) | instid1(VALU_DEP_2)
	v_div_scale_f32 v67, null, v64, v64, v65
	v_div_scale_f32 v75, vcc_lo, v65, v64, v65
	v_rcp_f32_e32 v73, v67
	v_nop
	s_delay_alu instid0(TRANS32_DEP_1) | instskip(NEXT) | instid1(VALU_DEP_1)
	v_fma_f32 v74, -v67, v73, 1.0
	v_fmac_f32_e32 v73, v74, v73
	s_delay_alu instid0(VALU_DEP_1) | instskip(NEXT) | instid1(VALU_DEP_1)
	v_mul_f32_e32 v74, v75, v73
	v_fma_f32 v76, -v67, v74, v75
	s_delay_alu instid0(VALU_DEP_1) | instskip(NEXT) | instid1(VALU_DEP_1)
	v_fmac_f32_e32 v74, v76, v73
	v_fma_f32 v67, -v67, v74, v75
	s_delay_alu instid0(VALU_DEP_1) | instskip(NEXT) | instid1(VALU_DEP_1)
	v_div_fmas_f32 v67, v67, v73, v74
	v_div_fixup_f32 v67, v67, v64, v65
	s_delay_alu instid0(VALU_DEP_1) | instskip(NEXT) | instid1(VALU_DEP_1)
	v_fmac_f32_e32 v64, v65, v67
	v_div_scale_f32 v65, null, v64, v64, 1.0
	s_delay_alu instid0(VALU_DEP_1) | instskip(SKIP_1) | instid1(TRANS32_DEP_1)
	v_rcp_f32_e32 v73, v65
	v_nop
	v_fma_f32 v74, -v65, v73, 1.0
	s_delay_alu instid0(VALU_DEP_1) | instskip(SKIP_1) | instid1(VALU_DEP_1)
	v_fmac_f32_e32 v73, v74, v73
	v_div_scale_f32 v74, vcc_lo, 1.0, v64, 1.0
	v_mul_f32_e32 v75, v74, v73
	s_delay_alu instid0(VALU_DEP_1) | instskip(NEXT) | instid1(VALU_DEP_1)
	v_fma_f32 v76, -v65, v75, v74
	v_fmac_f32_e32 v75, v76, v73
	s_delay_alu instid0(VALU_DEP_1) | instskip(NEXT) | instid1(VALU_DEP_1)
	v_fma_f32 v65, -v65, v75, v74
	v_div_fmas_f32 v65, v65, v73, v75
	s_delay_alu instid0(VALU_DEP_1) | instskip(NEXT) | instid1(VALU_DEP_1)
	v_div_fixup_f32 v64, v65, v64, 1.0
	v_mul_f32_e64 v65, v67, -v64
.LBB56_282:
	s_or_b32 exec_lo, exec_lo, s1
.LBB56_283:
	s_delay_alu instid0(SALU_CYCLE_1) | instskip(NEXT) | instid1(SALU_CYCLE_1)
	s_or_b32 exec_lo, exec_lo, s0
	s_mov_b32 s0, exec_lo
	v_cmpx_ne_u32_e64 v72, v66
	s_xor_b32 s0, exec_lo, s0
	s_cbranch_execz .LBB56_289
; %bb.284:
	s_mov_b32 s1, exec_lo
	v_cmpx_eq_u32_e32 13, v72
	s_cbranch_execz .LBB56_288
; %bb.285:
	v_cmp_ne_u32_e32 vcc_lo, 13, v66
	s_xor_b32 s12, s16, -1
	s_delay_alu instid0(SALU_CYCLE_1) | instskip(NEXT) | instid1(SALU_CYCLE_1)
	s_and_b32 s13, s12, vcc_lo
	s_and_saveexec_b32 s12, s13
	s_cbranch_execz .LBB56_287
; %bb.286:
	v_ashrrev_i32_e32 v67, 31, v66
	s_delay_alu instid0(VALU_DEP_1)
	v_lshl_add_u64 v[72:73], v[66:67], 2, v[4:5]
	s_clause 0x1
	global_load_b32 v67, v[72:73], off
	global_load_b32 v71, v[4:5], off offset:52
	s_wait_loadcnt 0x1
	global_store_b32 v[4:5], v67, off offset:52
	s_wait_loadcnt 0x0
	global_store_b32 v[72:73], v71, off
.LBB56_287:
	s_wait_xcnt 0x0
	s_or_b32 exec_lo, exec_lo, s12
	v_dual_mov_b32 v72, v66 :: v_dual_mov_b32 v71, v66
.LBB56_288:
	s_or_b32 exec_lo, exec_lo, s1
.LBB56_289:
	s_and_not1_saveexec_b32 s0, s0
	s_cbranch_execz .LBB56_291
; %bb.290:
	v_dual_mov_b32 v66, v28 :: v_dual_mov_b32 v67, v29
	v_dual_mov_b32 v72, v24 :: v_dual_mov_b32 v73, v25
	;; [unrolled: 1-line block ×4, first 2 shown]
	ds_store_2addr_b64 v68, v[66:67], v[72:73] offset0:14 offset1:15
	ds_store_2addr_b64 v68, v[74:75], v[76:77] offset0:16 offset1:17
	v_dual_mov_b32 v66, v48 :: v_dual_mov_b32 v67, v49
	v_dual_mov_b32 v72, v44 :: v_dual_mov_b32 v73, v45
	;; [unrolled: 1-line block ×6, first 2 shown]
	ds_store_2addr_b64 v68, v[66:67], v[72:73] offset0:18 offset1:19
	ds_store_2addr_b64 v68, v[74:75], v[76:77] offset0:20 offset1:21
	v_dual_mov_b32 v72, 13 :: v_dual_mov_b32 v82, v6
	v_dual_mov_b32 v83, v7 :: v_dual_mov_b32 v84, v52
	;; [unrolled: 1-line block ×4, first 2 shown]
	v_mov_b32_e32 v89, v41
	ds_store_2addr_b64 v68, v[78:79], v[80:81] offset0:22 offset1:23
	ds_store_2addr_b64 v68, v[82:83], v[84:85] offset0:24 offset1:25
	;; [unrolled: 1-line block ×3, first 2 shown]
	ds_store_b64 v68, v[62:63] offset:224
.LBB56_291:
	s_or_b32 exec_lo, exec_lo, s0
	s_delay_alu instid0(SALU_CYCLE_1)
	s_mov_b32 s0, exec_lo
	s_wait_storecnt_dscnt 0x0
	s_barrier_signal -1
	s_barrier_wait -1
	v_cmpx_lt_i32_e32 13, v72
	s_cbranch_execz .LBB56_293
; %bb.292:
	v_pk_mul_f32 v[74:75], v[64:65], v[26:27] op_sel:[1,1] op_sel_hi:[0,1]
	s_delay_alu instid0(VALU_DEP_1)
	v_pk_fma_f32 v[66:67], v[64:65], v[26:27], v[74:75] op_sel_hi:[1,0,1] neg_lo:[0,0,1] neg_hi:[0,0,1]
	v_pk_fma_f32 v[64:65], v[64:65], v[26:27], v[74:75] op_sel_hi:[1,0,1]
	ds_load_2addr_b64 v[74:77], v68 offset0:14 offset1:15
	v_dual_mov_b32 v26, v66 :: v_dual_mov_b32 v27, v65
	s_wait_dscnt 0x0
	v_pk_mul_f32 v[78:79], v[74:75], v[64:65] op_sel:[0,1]
	s_delay_alu instid0(VALU_DEP_1) | instskip(SKIP_1) | instid1(VALU_DEP_1)
	v_pk_fma_f32 v[80:81], v[74:75], v[66:67], v[78:79] op_sel:[0,0,1] op_sel_hi:[1,1,0] neg_lo:[0,0,1] neg_hi:[0,0,1]
	v_pk_fma_f32 v[74:75], v[74:75], v[66:67], v[78:79] op_sel:[0,0,1] op_sel_hi:[1,0,0]
	v_mov_b32_e32 v81, v75
	v_pk_mul_f32 v[74:75], v[76:77], v[64:65] op_sel:[0,1]
	s_delay_alu instid0(VALU_DEP_1) | instskip(SKIP_1) | instid1(VALU_DEP_1)
	v_pk_fma_f32 v[78:79], v[76:77], v[66:67], v[74:75] op_sel:[0,0,1] op_sel_hi:[1,1,0] neg_lo:[0,0,1] neg_hi:[0,0,1]
	v_pk_fma_f32 v[74:75], v[76:77], v[66:67], v[74:75] op_sel:[0,0,1] op_sel_hi:[1,0,0]
	v_mov_b32_e32 v79, v75
	ds_load_2addr_b64 v[74:77], v68 offset0:16 offset1:17
	v_pk_add_f32 v[28:29], v[28:29], v[80:81] neg_lo:[0,1] neg_hi:[0,1]
	v_pk_add_f32 v[24:25], v[24:25], v[78:79] neg_lo:[0,1] neg_hi:[0,1]
	s_wait_dscnt 0x0
	v_pk_mul_f32 v[78:79], v[74:75], v[64:65] op_sel:[0,1]
	s_delay_alu instid0(VALU_DEP_1) | instskip(SKIP_2) | instid1(VALU_DEP_2)
	v_pk_fma_f32 v[80:81], v[74:75], v[66:67], v[78:79] op_sel:[0,0,1] op_sel_hi:[1,1,0] neg_lo:[0,0,1] neg_hi:[0,0,1]
	v_pk_fma_f32 v[74:75], v[74:75], v[66:67], v[78:79] op_sel:[0,0,1] op_sel_hi:[1,0,0]
	v_dual_mul_f32 v78, v77, v65 :: v_dual_mov_b32 v74, v77
	v_dual_mov_b32 v81, v75 :: v_dual_mov_b32 v75, v76
	s_delay_alu instid0(VALU_DEP_2) | instskip(SKIP_1) | instid1(VALU_DEP_3)
	v_pk_fma_f32 v[78:79], v[76:77], v[26:27], v[78:79] op_sel_hi:[1,1,0] neg_lo:[0,0,1] neg_hi:[0,0,1]
	v_mul_f32_e32 v76, v77, v66
	v_pk_add_f32 v[50:51], v[50:51], v[80:81] neg_lo:[0,1] neg_hi:[0,1]
	s_delay_alu instid0(VALU_DEP_2) | instskip(NEXT) | instid1(VALU_DEP_1)
	v_pk_fma_f32 v[74:75], v[74:75], v[26:27], v[76:77] op_sel_hi:[1,1,0]
	v_mov_b32_e32 v79, v75
	ds_load_2addr_b64 v[74:77], v68 offset0:18 offset1:19
	v_pk_add_f32 v[46:47], v[46:47], v[78:79] neg_lo:[0,1] neg_hi:[0,1]
	s_wait_dscnt 0x0
	v_pk_mul_f32 v[78:79], v[74:75], v[64:65] op_sel:[0,1]
	s_delay_alu instid0(VALU_DEP_1) | instskip(SKIP_1) | instid1(VALU_DEP_1)
	v_pk_fma_f32 v[80:81], v[74:75], v[66:67], v[78:79] op_sel:[0,0,1] op_sel_hi:[1,1,0] neg_lo:[0,0,1] neg_hi:[0,0,1]
	v_pk_fma_f32 v[74:75], v[74:75], v[66:67], v[78:79] op_sel:[0,0,1] op_sel_hi:[1,0,0]
	v_mov_b32_e32 v81, v75
	v_pk_mul_f32 v[74:75], v[76:77], v[64:65] op_sel:[0,1]
	s_delay_alu instid0(VALU_DEP_1) | instskip(SKIP_1) | instid1(VALU_DEP_1)
	v_pk_fma_f32 v[78:79], v[76:77], v[66:67], v[74:75] op_sel:[0,0,1] op_sel_hi:[1,1,0] neg_lo:[0,0,1] neg_hi:[0,0,1]
	v_pk_fma_f32 v[74:75], v[76:77], v[66:67], v[74:75] op_sel:[0,0,1] op_sel_hi:[1,0,0]
	v_mov_b32_e32 v79, v75
	ds_load_2addr_b64 v[74:77], v68 offset0:20 offset1:21
	v_pk_add_f32 v[48:49], v[48:49], v[80:81] neg_lo:[0,1] neg_hi:[0,1]
	v_pk_add_f32 v[44:45], v[44:45], v[78:79] neg_lo:[0,1] neg_hi:[0,1]
	s_wait_dscnt 0x0
	v_pk_mul_f32 v[78:79], v[74:75], v[64:65] op_sel:[0,1]
	s_delay_alu instid0(VALU_DEP_1) | instskip(SKIP_1) | instid1(VALU_DEP_1)
	v_pk_fma_f32 v[80:81], v[74:75], v[66:67], v[78:79] op_sel:[0,0,1] op_sel_hi:[1,1,0] neg_lo:[0,0,1] neg_hi:[0,0,1]
	v_pk_fma_f32 v[74:75], v[74:75], v[66:67], v[78:79] op_sel:[0,0,1] op_sel_hi:[1,0,0]
	v_mov_b32_e32 v81, v75
	v_pk_mul_f32 v[74:75], v[76:77], v[64:65] op_sel:[0,1]
	s_delay_alu instid0(VALU_DEP_1) | instskip(SKIP_1) | instid1(VALU_DEP_1)
	v_pk_fma_f32 v[78:79], v[76:77], v[66:67], v[74:75] op_sel:[0,0,1] op_sel_hi:[1,1,0] neg_lo:[0,0,1] neg_hi:[0,0,1]
	v_pk_fma_f32 v[74:75], v[76:77], v[66:67], v[74:75] op_sel:[0,0,1] op_sel_hi:[1,0,0]
	v_mov_b32_e32 v79, v75
	ds_load_2addr_b64 v[74:77], v68 offset0:22 offset1:23
	v_pk_add_f32 v[38:39], v[38:39], v[80:81] neg_lo:[0,1] neg_hi:[0,1]
	v_pk_add_f32 v[34:35], v[34:35], v[78:79] neg_lo:[0,1] neg_hi:[0,1]
	s_wait_dscnt 0x0
	v_dual_mul_f32 v78, v75, v65 :: v_dual_mul_f32 v80, v75, v66
	s_delay_alu instid0(VALU_DEP_1) | instskip(NEXT) | instid1(VALU_DEP_2)
	v_pk_fma_f32 v[78:79], v[74:75], v[26:27], v[78:79] op_sel_hi:[1,1,0] neg_lo:[0,0,1] neg_hi:[0,0,1]
	v_pk_fma_f32 v[74:75], v[74:75], v[26:27], v[80:81] op_sel:[1,0,0] op_sel_hi:[0,1,0]
	s_delay_alu instid0(VALU_DEP_1) | instskip(SKIP_1) | instid1(VALU_DEP_2)
	v_mov_b32_e32 v79, v75
	v_pk_mul_f32 v[74:75], v[76:77], v[64:65] op_sel:[0,1]
	v_pk_add_f32 v[36:37], v[36:37], v[78:79] neg_lo:[0,1] neg_hi:[0,1]
	s_delay_alu instid0(VALU_DEP_2) | instskip(SKIP_1) | instid1(VALU_DEP_1)
	v_pk_fma_f32 v[78:79], v[76:77], v[66:67], v[74:75] op_sel:[0,0,1] op_sel_hi:[1,1,0] neg_lo:[0,0,1] neg_hi:[0,0,1]
	v_pk_fma_f32 v[74:75], v[76:77], v[66:67], v[74:75] op_sel:[0,0,1] op_sel_hi:[1,0,0]
	v_mov_b32_e32 v79, v75
	ds_load_2addr_b64 v[74:77], v68 offset0:24 offset1:25
	v_pk_add_f32 v[32:33], v[32:33], v[78:79] neg_lo:[0,1] neg_hi:[0,1]
	s_wait_dscnt 0x0
	v_pk_mul_f32 v[78:79], v[74:75], v[64:65] op_sel:[0,1]
	s_delay_alu instid0(VALU_DEP_1) | instskip(SKIP_1) | instid1(VALU_DEP_1)
	v_pk_fma_f32 v[80:81], v[74:75], v[66:67], v[78:79] op_sel:[0,0,1] op_sel_hi:[1,1,0] neg_lo:[0,0,1] neg_hi:[0,0,1]
	v_pk_fma_f32 v[74:75], v[74:75], v[66:67], v[78:79] op_sel:[0,0,1] op_sel_hi:[1,0,0]
	v_mov_b32_e32 v81, v75
	v_pk_mul_f32 v[74:75], v[76:77], v[64:65] op_sel:[0,1]
	s_delay_alu instid0(VALU_DEP_2) | instskip(NEXT) | instid1(VALU_DEP_2)
	v_pk_add_f32 v[6:7], v[6:7], v[80:81] neg_lo:[0,1] neg_hi:[0,1]
	v_pk_fma_f32 v[78:79], v[76:77], v[66:67], v[74:75] op_sel:[0,0,1] op_sel_hi:[1,1,0] neg_lo:[0,0,1] neg_hi:[0,0,1]
	v_pk_fma_f32 v[74:75], v[76:77], v[66:67], v[74:75] op_sel:[0,0,1] op_sel_hi:[1,0,0]
	s_delay_alu instid0(VALU_DEP_1) | instskip(SKIP_4) | instid1(VALU_DEP_1)
	v_mov_b32_e32 v79, v75
	ds_load_2addr_b64 v[74:77], v68 offset0:26 offset1:27
	v_pk_add_f32 v[52:53], v[52:53], v[78:79] neg_lo:[0,1] neg_hi:[0,1]
	s_wait_dscnt 0x0
	v_pk_mul_f32 v[78:79], v[74:75], v[64:65] op_sel:[0,1]
	v_pk_fma_f32 v[80:81], v[74:75], v[66:67], v[78:79] op_sel:[0,0,1] op_sel_hi:[1,1,0] neg_lo:[0,0,1] neg_hi:[0,0,1]
	v_pk_fma_f32 v[74:75], v[74:75], v[66:67], v[78:79] op_sel:[0,0,1] op_sel_hi:[1,0,0]
	v_dual_mul_f32 v78, v77, v65 :: v_dual_mov_b32 v74, v77
	s_delay_alu instid0(VALU_DEP_2) | instskip(NEXT) | instid1(VALU_DEP_2)
	v_dual_mov_b32 v81, v75 :: v_dual_mov_b32 v75, v76
	v_pk_fma_f32 v[78:79], v[76:77], v[26:27], v[78:79] op_sel_hi:[1,1,0] neg_lo:[0,0,1] neg_hi:[0,0,1]
	v_mul_f32_e32 v76, v77, v66
	s_delay_alu instid0(VALU_DEP_3) | instskip(NEXT) | instid1(VALU_DEP_2)
	v_pk_add_f32 v[42:43], v[42:43], v[80:81] neg_lo:[0,1] neg_hi:[0,1]
	v_pk_fma_f32 v[74:75], v[74:75], v[26:27], v[76:77] op_sel_hi:[1,1,0]
	s_delay_alu instid0(VALU_DEP_1) | instskip(SKIP_4) | instid1(VALU_DEP_1)
	v_mov_b32_e32 v79, v75
	ds_load_b64 v[74:75], v68 offset:224
	v_pk_add_f32 v[40:41], v[40:41], v[78:79] neg_lo:[0,1] neg_hi:[0,1]
	s_wait_dscnt 0x0
	v_pk_mul_f32 v[64:65], v[74:75], v[64:65] op_sel:[0,1]
	v_pk_fma_f32 v[76:77], v[74:75], v[66:67], v[64:65] op_sel:[0,0,1] op_sel_hi:[1,1,0] neg_lo:[0,0,1] neg_hi:[0,0,1]
	v_pk_fma_f32 v[64:65], v[74:75], v[66:67], v[64:65] op_sel:[0,0,1] op_sel_hi:[1,0,0]
	s_delay_alu instid0(VALU_DEP_1) | instskip(NEXT) | instid1(VALU_DEP_1)
	v_mov_b32_e32 v77, v65
	v_pk_add_f32 v[62:63], v[62:63], v[76:77] neg_lo:[0,1] neg_hi:[0,1]
.LBB56_293:
	s_or_b32 exec_lo, exec_lo, s0
	v_lshl_add_u32 v64, v72, 3, v68
	s_barrier_signal -1
	s_barrier_wait -1
	ds_store_b64 v64, v[28:29]
	s_wait_dscnt 0x0
	s_barrier_signal -1
	s_barrier_wait -1
	ds_load_b64 v[64:65], v68 offset:112
	v_mov_b32_e32 v66, 14
	s_cmp_lt_i32 s18, 16
	s_cbranch_scc1 .LBB56_296
; %bb.294:
	v_add3_u32 v67, v69, 0, 0x78
	v_mov_b32_e32 v66, 14
	s_mov_b32 s0, 15
.LBB56_295:                             ; =>This Inner Loop Header: Depth=1
	ds_load_b64 v[74:75], v67
	s_wait_dscnt 0x1
	v_cmp_gt_f32_e32 vcc_lo, 0, v64
	v_cndmask_b32_e64 v76, v64, -v64, vcc_lo
	v_cmp_gt_f32_e32 vcc_lo, 0, v65
	v_cndmask_b32_e64 v78, v65, -v65, vcc_lo
	s_wait_dscnt 0x0
	v_cmp_gt_f32_e32 vcc_lo, 0, v74
	v_cndmask_b32_e64 v77, v74, -v74, vcc_lo
	v_cmp_gt_f32_e32 vcc_lo, 0, v75
	v_cndmask_b32_e64 v79, v75, -v75, vcc_lo
	s_delay_alu instid0(VALU_DEP_1) | instskip(NEXT) | instid1(VALU_DEP_1)
	v_pk_add_f32 v[76:77], v[76:77], v[78:79]
	v_cmp_lt_f32_e32 vcc_lo, v76, v77
	v_dual_cndmask_b32 v64, v64, v74 :: v_dual_add_nc_u32 v67, 8, v67
	v_cndmask_b32_e32 v65, v65, v75, vcc_lo
	v_cndmask_b32_e64 v66, v66, s0, vcc_lo
	s_add_co_i32 s0, s0, 1
	s_delay_alu instid0(SALU_CYCLE_1)
	s_cmp_lg_u32 s18, s0
	s_cbranch_scc1 .LBB56_295
.LBB56_296:
	s_wait_dscnt 0x0
	v_cmp_eq_f32_e32 vcc_lo, 0, v64
	v_cmp_eq_f32_e64 s0, 0, v65
	s_and_b32 s0, vcc_lo, s0
	s_delay_alu instid0(SALU_CYCLE_1) | instskip(NEXT) | instid1(SALU_CYCLE_1)
	s_and_saveexec_b32 s1, s0
	s_xor_b32 s0, exec_lo, s1
; %bb.297:
	v_cmp_ne_u32_e32 vcc_lo, 0, v70
	v_cndmask_b32_e32 v70, 15, v70, vcc_lo
; %bb.298:
	s_and_not1_saveexec_b32 s0, s0
	s_cbranch_execz .LBB56_304
; %bb.299:
	v_cmp_ngt_f32_e64 s1, |v64|, |v65|
	s_and_saveexec_b32 s12, s1
	s_delay_alu instid0(SALU_CYCLE_1)
	s_xor_b32 s1, exec_lo, s12
	s_cbranch_execz .LBB56_301
; %bb.300:
	v_div_scale_f32 v67, null, v65, v65, v64
	v_div_scale_f32 v75, vcc_lo, v64, v65, v64
	s_delay_alu instid0(VALU_DEP_2) | instskip(SKIP_1) | instid1(TRANS32_DEP_1)
	v_rcp_f32_e32 v73, v67
	v_nop
	v_fma_f32 v74, -v67, v73, 1.0
	s_delay_alu instid0(VALU_DEP_1) | instskip(NEXT) | instid1(VALU_DEP_1)
	v_fmac_f32_e32 v73, v74, v73
	v_mul_f32_e32 v74, v75, v73
	s_delay_alu instid0(VALU_DEP_1) | instskip(NEXT) | instid1(VALU_DEP_1)
	v_fma_f32 v76, -v67, v74, v75
	v_fmac_f32_e32 v74, v76, v73
	s_delay_alu instid0(VALU_DEP_1) | instskip(NEXT) | instid1(VALU_DEP_1)
	v_fma_f32 v67, -v67, v74, v75
	v_div_fmas_f32 v67, v67, v73, v74
	s_delay_alu instid0(VALU_DEP_1) | instskip(NEXT) | instid1(VALU_DEP_1)
	v_div_fixup_f32 v67, v67, v65, v64
	v_fmac_f32_e32 v65, v64, v67
	s_delay_alu instid0(VALU_DEP_1) | instskip(SKIP_1) | instid1(VALU_DEP_2)
	v_div_scale_f32 v64, null, v65, v65, 1.0
	v_div_scale_f32 v75, vcc_lo, 1.0, v65, 1.0
	v_rcp_f32_e32 v73, v64
	v_nop
	s_delay_alu instid0(TRANS32_DEP_1) | instskip(NEXT) | instid1(VALU_DEP_1)
	v_fma_f32 v74, -v64, v73, 1.0
	v_fmac_f32_e32 v73, v74, v73
	s_delay_alu instid0(VALU_DEP_1) | instskip(NEXT) | instid1(VALU_DEP_1)
	v_mul_f32_e32 v74, v75, v73
	v_fma_f32 v76, -v64, v74, v75
	s_delay_alu instid0(VALU_DEP_1) | instskip(NEXT) | instid1(VALU_DEP_1)
	v_fmac_f32_e32 v74, v76, v73
	v_fma_f32 v64, -v64, v74, v75
	s_delay_alu instid0(VALU_DEP_1) | instskip(NEXT) | instid1(VALU_DEP_1)
	v_div_fmas_f32 v64, v64, v73, v74
	v_div_fixup_f32 v65, v64, v65, 1.0
	s_delay_alu instid0(VALU_DEP_1)
	v_mul_f32_e32 v64, v67, v65
	v_xor_b32_e32 v65, 0x80000000, v65
.LBB56_301:
	s_and_not1_saveexec_b32 s1, s1
	s_cbranch_execz .LBB56_303
; %bb.302:
	s_delay_alu instid0(VALU_DEP_1) | instskip(SKIP_1) | instid1(VALU_DEP_2)
	v_div_scale_f32 v67, null, v64, v64, v65
	v_div_scale_f32 v75, vcc_lo, v65, v64, v65
	v_rcp_f32_e32 v73, v67
	v_nop
	s_delay_alu instid0(TRANS32_DEP_1) | instskip(NEXT) | instid1(VALU_DEP_1)
	v_fma_f32 v74, -v67, v73, 1.0
	v_fmac_f32_e32 v73, v74, v73
	s_delay_alu instid0(VALU_DEP_1) | instskip(NEXT) | instid1(VALU_DEP_1)
	v_mul_f32_e32 v74, v75, v73
	v_fma_f32 v76, -v67, v74, v75
	s_delay_alu instid0(VALU_DEP_1) | instskip(NEXT) | instid1(VALU_DEP_1)
	v_fmac_f32_e32 v74, v76, v73
	v_fma_f32 v67, -v67, v74, v75
	s_delay_alu instid0(VALU_DEP_1) | instskip(NEXT) | instid1(VALU_DEP_1)
	v_div_fmas_f32 v67, v67, v73, v74
	v_div_fixup_f32 v67, v67, v64, v65
	s_delay_alu instid0(VALU_DEP_1) | instskip(NEXT) | instid1(VALU_DEP_1)
	v_fmac_f32_e32 v64, v65, v67
	v_div_scale_f32 v65, null, v64, v64, 1.0
	s_delay_alu instid0(VALU_DEP_1) | instskip(SKIP_1) | instid1(TRANS32_DEP_1)
	v_rcp_f32_e32 v73, v65
	v_nop
	v_fma_f32 v74, -v65, v73, 1.0
	s_delay_alu instid0(VALU_DEP_1) | instskip(SKIP_1) | instid1(VALU_DEP_1)
	v_fmac_f32_e32 v73, v74, v73
	v_div_scale_f32 v74, vcc_lo, 1.0, v64, 1.0
	v_mul_f32_e32 v75, v74, v73
	s_delay_alu instid0(VALU_DEP_1) | instskip(NEXT) | instid1(VALU_DEP_1)
	v_fma_f32 v76, -v65, v75, v74
	v_fmac_f32_e32 v75, v76, v73
	s_delay_alu instid0(VALU_DEP_1) | instskip(NEXT) | instid1(VALU_DEP_1)
	v_fma_f32 v65, -v65, v75, v74
	v_div_fmas_f32 v65, v65, v73, v75
	s_delay_alu instid0(VALU_DEP_1) | instskip(NEXT) | instid1(VALU_DEP_1)
	v_div_fixup_f32 v64, v65, v64, 1.0
	v_mul_f32_e64 v65, v67, -v64
.LBB56_303:
	s_or_b32 exec_lo, exec_lo, s1
.LBB56_304:
	s_delay_alu instid0(SALU_CYCLE_1) | instskip(NEXT) | instid1(SALU_CYCLE_1)
	s_or_b32 exec_lo, exec_lo, s0
	s_mov_b32 s0, exec_lo
	v_cmpx_ne_u32_e64 v72, v66
	s_xor_b32 s0, exec_lo, s0
	s_cbranch_execz .LBB56_310
; %bb.305:
	s_mov_b32 s1, exec_lo
	v_cmpx_eq_u32_e32 14, v72
	s_cbranch_execz .LBB56_309
; %bb.306:
	v_cmp_ne_u32_e32 vcc_lo, 14, v66
	s_xor_b32 s12, s16, -1
	s_delay_alu instid0(SALU_CYCLE_1) | instskip(NEXT) | instid1(SALU_CYCLE_1)
	s_and_b32 s13, s12, vcc_lo
	s_and_saveexec_b32 s12, s13
	s_cbranch_execz .LBB56_308
; %bb.307:
	v_ashrrev_i32_e32 v67, 31, v66
	s_delay_alu instid0(VALU_DEP_1)
	v_lshl_add_u64 v[72:73], v[66:67], 2, v[4:5]
	s_clause 0x1
	global_load_b32 v67, v[72:73], off
	global_load_b32 v71, v[4:5], off offset:56
	s_wait_loadcnt 0x1
	global_store_b32 v[4:5], v67, off offset:56
	s_wait_loadcnt 0x0
	global_store_b32 v[72:73], v71, off
.LBB56_308:
	s_wait_xcnt 0x0
	s_or_b32 exec_lo, exec_lo, s12
	v_dual_mov_b32 v72, v66 :: v_dual_mov_b32 v71, v66
.LBB56_309:
	s_or_b32 exec_lo, exec_lo, s1
.LBB56_310:
	s_and_not1_saveexec_b32 s0, s0
	s_cbranch_execz .LBB56_312
; %bb.311:
	v_mov_b32_e32 v72, 14
	ds_store_2addr_b64 v68, v[24:25], v[50:51] offset0:15 offset1:16
	ds_store_2addr_b64 v68, v[46:47], v[48:49] offset0:17 offset1:18
	;; [unrolled: 1-line block ×7, first 2 shown]
.LBB56_312:
	s_or_b32 exec_lo, exec_lo, s0
	s_delay_alu instid0(SALU_CYCLE_1)
	s_mov_b32 s0, exec_lo
	s_wait_storecnt_dscnt 0x0
	s_barrier_signal -1
	s_barrier_wait -1
	v_cmpx_lt_i32_e32 14, v72
	s_cbranch_execz .LBB56_314
; %bb.313:
	v_pk_mul_f32 v[66:67], v[64:65], v[28:29] op_sel:[1,1] op_sel_hi:[0,1]
	s_delay_alu instid0(VALU_DEP_1)
	v_pk_fma_f32 v[74:75], v[64:65], v[28:29], v[66:67] op_sel_hi:[1,0,1] neg_lo:[0,0,1] neg_hi:[0,0,1]
	v_pk_fma_f32 v[76:77], v[64:65], v[28:29], v[66:67] op_sel_hi:[1,0,1]
	ds_load_2addr_b64 v[64:67], v68 offset0:15 offset1:16
	v_dual_mov_b32 v28, v74 :: v_dual_mov_b32 v29, v77
	s_wait_dscnt 0x0
	v_pk_mul_f32 v[78:79], v[64:65], v[76:77] op_sel:[0,1]
	s_delay_alu instid0(VALU_DEP_1) | instskip(SKIP_1) | instid1(VALU_DEP_1)
	v_pk_fma_f32 v[80:81], v[64:65], v[74:75], v[78:79] op_sel:[0,0,1] op_sel_hi:[1,1,0] neg_lo:[0,0,1] neg_hi:[0,0,1]
	v_pk_fma_f32 v[64:65], v[64:65], v[74:75], v[78:79] op_sel:[0,0,1] op_sel_hi:[1,0,0]
	v_mov_b32_e32 v81, v65
	v_pk_mul_f32 v[64:65], v[66:67], v[76:77] op_sel:[0,1]
	s_delay_alu instid0(VALU_DEP_1) | instskip(SKIP_1) | instid1(VALU_DEP_1)
	v_pk_fma_f32 v[78:79], v[66:67], v[74:75], v[64:65] op_sel:[0,0,1] op_sel_hi:[1,1,0] neg_lo:[0,0,1] neg_hi:[0,0,1]
	v_pk_fma_f32 v[64:65], v[66:67], v[74:75], v[64:65] op_sel:[0,0,1] op_sel_hi:[1,0,0]
	v_mov_b32_e32 v79, v65
	ds_load_2addr_b64 v[64:67], v68 offset0:17 offset1:18
	v_pk_add_f32 v[24:25], v[24:25], v[80:81] neg_lo:[0,1] neg_hi:[0,1]
	v_pk_add_f32 v[50:51], v[50:51], v[78:79] neg_lo:[0,1] neg_hi:[0,1]
	s_wait_dscnt 0x0
	v_pk_mul_f32 v[78:79], v[64:65], v[76:77] op_sel:[0,1]
	s_delay_alu instid0(VALU_DEP_1) | instskip(SKIP_2) | instid1(VALU_DEP_2)
	v_pk_fma_f32 v[80:81], v[64:65], v[74:75], v[78:79] op_sel:[0,0,1] op_sel_hi:[1,1,0] neg_lo:[0,0,1] neg_hi:[0,0,1]
	v_pk_fma_f32 v[64:65], v[64:65], v[74:75], v[78:79] op_sel:[0,0,1] op_sel_hi:[1,0,0]
	v_dual_mul_f32 v78, v67, v77 :: v_dual_mov_b32 v64, v67
	v_dual_mov_b32 v81, v65 :: v_dual_mov_b32 v65, v66
	s_delay_alu instid0(VALU_DEP_2) | instskip(SKIP_1) | instid1(VALU_DEP_3)
	v_pk_fma_f32 v[78:79], v[66:67], v[28:29], v[78:79] op_sel_hi:[1,1,0] neg_lo:[0,0,1] neg_hi:[0,0,1]
	v_mul_f32_e32 v66, v67, v74
	v_pk_add_f32 v[46:47], v[46:47], v[80:81] neg_lo:[0,1] neg_hi:[0,1]
	s_delay_alu instid0(VALU_DEP_2) | instskip(NEXT) | instid1(VALU_DEP_1)
	v_pk_fma_f32 v[64:65], v[64:65], v[28:29], v[66:67] op_sel_hi:[1,1,0]
	v_mov_b32_e32 v79, v65
	ds_load_2addr_b64 v[64:67], v68 offset0:19 offset1:20
	v_pk_add_f32 v[48:49], v[48:49], v[78:79] neg_lo:[0,1] neg_hi:[0,1]
	s_wait_dscnt 0x0
	v_pk_mul_f32 v[78:79], v[64:65], v[76:77] op_sel:[0,1]
	s_delay_alu instid0(VALU_DEP_1) | instskip(SKIP_1) | instid1(VALU_DEP_1)
	v_pk_fma_f32 v[80:81], v[64:65], v[74:75], v[78:79] op_sel:[0,0,1] op_sel_hi:[1,1,0] neg_lo:[0,0,1] neg_hi:[0,0,1]
	v_pk_fma_f32 v[64:65], v[64:65], v[74:75], v[78:79] op_sel:[0,0,1] op_sel_hi:[1,0,0]
	v_mov_b32_e32 v81, v65
	v_pk_mul_f32 v[64:65], v[66:67], v[76:77] op_sel:[0,1]
	s_delay_alu instid0(VALU_DEP_1) | instskip(SKIP_1) | instid1(VALU_DEP_1)
	v_pk_fma_f32 v[78:79], v[66:67], v[74:75], v[64:65] op_sel:[0,0,1] op_sel_hi:[1,1,0] neg_lo:[0,0,1] neg_hi:[0,0,1]
	v_pk_fma_f32 v[64:65], v[66:67], v[74:75], v[64:65] op_sel:[0,0,1] op_sel_hi:[1,0,0]
	v_mov_b32_e32 v79, v65
	ds_load_2addr_b64 v[64:67], v68 offset0:21 offset1:22
	v_pk_add_f32 v[44:45], v[44:45], v[80:81] neg_lo:[0,1] neg_hi:[0,1]
	v_pk_add_f32 v[38:39], v[38:39], v[78:79] neg_lo:[0,1] neg_hi:[0,1]
	s_wait_dscnt 0x0
	v_pk_mul_f32 v[78:79], v[64:65], v[76:77] op_sel:[0,1]
	s_delay_alu instid0(VALU_DEP_1) | instskip(SKIP_1) | instid1(VALU_DEP_1)
	v_pk_fma_f32 v[80:81], v[64:65], v[74:75], v[78:79] op_sel:[0,0,1] op_sel_hi:[1,1,0] neg_lo:[0,0,1] neg_hi:[0,0,1]
	v_pk_fma_f32 v[64:65], v[64:65], v[74:75], v[78:79] op_sel:[0,0,1] op_sel_hi:[1,0,0]
	v_mov_b32_e32 v81, v65
	v_pk_mul_f32 v[64:65], v[66:67], v[76:77] op_sel:[0,1]
	s_delay_alu instid0(VALU_DEP_1) | instskip(SKIP_1) | instid1(VALU_DEP_1)
	v_pk_fma_f32 v[78:79], v[66:67], v[74:75], v[64:65] op_sel:[0,0,1] op_sel_hi:[1,1,0] neg_lo:[0,0,1] neg_hi:[0,0,1]
	v_pk_fma_f32 v[64:65], v[66:67], v[74:75], v[64:65] op_sel:[0,0,1] op_sel_hi:[1,0,0]
	v_mov_b32_e32 v79, v65
	ds_load_2addr_b64 v[64:67], v68 offset0:23 offset1:24
	v_pk_add_f32 v[34:35], v[34:35], v[80:81] neg_lo:[0,1] neg_hi:[0,1]
	v_pk_add_f32 v[36:37], v[36:37], v[78:79] neg_lo:[0,1] neg_hi:[0,1]
	s_wait_dscnt 0x0
	v_dual_mul_f32 v78, v65, v77 :: v_dual_mul_f32 v80, v65, v74
	s_delay_alu instid0(VALU_DEP_1) | instskip(NEXT) | instid1(VALU_DEP_2)
	v_pk_fma_f32 v[78:79], v[64:65], v[28:29], v[78:79] op_sel_hi:[1,1,0] neg_lo:[0,0,1] neg_hi:[0,0,1]
	v_pk_fma_f32 v[64:65], v[64:65], v[28:29], v[80:81] op_sel:[1,0,0] op_sel_hi:[0,1,0]
	s_delay_alu instid0(VALU_DEP_1) | instskip(SKIP_1) | instid1(VALU_DEP_2)
	v_mov_b32_e32 v79, v65
	v_pk_mul_f32 v[64:65], v[66:67], v[76:77] op_sel:[0,1]
	v_pk_add_f32 v[32:33], v[32:33], v[78:79] neg_lo:[0,1] neg_hi:[0,1]
	s_delay_alu instid0(VALU_DEP_2) | instskip(SKIP_1) | instid1(VALU_DEP_1)
	v_pk_fma_f32 v[78:79], v[66:67], v[74:75], v[64:65] op_sel:[0,0,1] op_sel_hi:[1,1,0] neg_lo:[0,0,1] neg_hi:[0,0,1]
	v_pk_fma_f32 v[64:65], v[66:67], v[74:75], v[64:65] op_sel:[0,0,1] op_sel_hi:[1,0,0]
	v_mov_b32_e32 v79, v65
	ds_load_2addr_b64 v[64:67], v68 offset0:25 offset1:26
	v_pk_add_f32 v[6:7], v[6:7], v[78:79] neg_lo:[0,1] neg_hi:[0,1]
	s_wait_dscnt 0x0
	v_pk_mul_f32 v[78:79], v[64:65], v[76:77] op_sel:[0,1]
	s_delay_alu instid0(VALU_DEP_1) | instskip(SKIP_1) | instid1(VALU_DEP_1)
	v_pk_fma_f32 v[80:81], v[64:65], v[74:75], v[78:79] op_sel:[0,0,1] op_sel_hi:[1,1,0] neg_lo:[0,0,1] neg_hi:[0,0,1]
	v_pk_fma_f32 v[64:65], v[64:65], v[74:75], v[78:79] op_sel:[0,0,1] op_sel_hi:[1,0,0]
	v_mov_b32_e32 v81, v65
	v_pk_mul_f32 v[64:65], v[66:67], v[76:77] op_sel:[0,1]
	s_delay_alu instid0(VALU_DEP_2) | instskip(NEXT) | instid1(VALU_DEP_2)
	v_pk_add_f32 v[52:53], v[52:53], v[80:81] neg_lo:[0,1] neg_hi:[0,1]
	v_pk_fma_f32 v[78:79], v[66:67], v[74:75], v[64:65] op_sel:[0,0,1] op_sel_hi:[1,1,0] neg_lo:[0,0,1] neg_hi:[0,0,1]
	v_pk_fma_f32 v[64:65], v[66:67], v[74:75], v[64:65] op_sel:[0,0,1] op_sel_hi:[1,0,0]
	s_delay_alu instid0(VALU_DEP_1) | instskip(SKIP_4) | instid1(VALU_DEP_1)
	v_mov_b32_e32 v79, v65
	ds_load_2addr_b64 v[64:67], v68 offset0:27 offset1:28
	v_pk_add_f32 v[42:43], v[42:43], v[78:79] neg_lo:[0,1] neg_hi:[0,1]
	s_wait_dscnt 0x0
	v_pk_mul_f32 v[78:79], v[64:65], v[76:77] op_sel:[0,1]
	v_pk_fma_f32 v[80:81], v[64:65], v[74:75], v[78:79] op_sel:[0,0,1] op_sel_hi:[1,1,0] neg_lo:[0,0,1] neg_hi:[0,0,1]
	v_pk_fma_f32 v[64:65], v[64:65], v[74:75], v[78:79] op_sel:[0,0,1] op_sel_hi:[1,0,0]
	s_delay_alu instid0(VALU_DEP_1) | instskip(SKIP_1) | instid1(VALU_DEP_2)
	v_mov_b32_e32 v81, v65
	v_pk_mul_f32 v[64:65], v[66:67], v[76:77] op_sel:[0,1]
	v_pk_add_f32 v[40:41], v[40:41], v[80:81] neg_lo:[0,1] neg_hi:[0,1]
	s_delay_alu instid0(VALU_DEP_2) | instskip(SKIP_1) | instid1(VALU_DEP_1)
	v_pk_fma_f32 v[76:77], v[66:67], v[74:75], v[64:65] op_sel:[0,0,1] op_sel_hi:[1,1,0] neg_lo:[0,0,1] neg_hi:[0,0,1]
	v_pk_fma_f32 v[64:65], v[66:67], v[74:75], v[64:65] op_sel:[0,0,1] op_sel_hi:[1,0,0]
	v_mov_b32_e32 v77, v65
	s_delay_alu instid0(VALU_DEP_1)
	v_pk_add_f32 v[62:63], v[62:63], v[76:77] neg_lo:[0,1] neg_hi:[0,1]
.LBB56_314:
	s_or_b32 exec_lo, exec_lo, s0
	v_lshl_add_u32 v64, v72, 3, v68
	s_barrier_signal -1
	s_barrier_wait -1
	ds_store_b64 v64, v[24:25]
	s_wait_dscnt 0x0
	s_barrier_signal -1
	s_barrier_wait -1
	ds_load_b64 v[64:65], v68 offset:120
	v_mov_b32_e32 v66, 15
	s_cmp_lt_i32 s18, 17
	s_cbranch_scc1 .LBB56_317
; %bb.315:
	v_add3_u32 v67, v69, 0, 0x80
	v_mov_b32_e32 v66, 15
	s_mov_b32 s0, 16
.LBB56_316:                             ; =>This Inner Loop Header: Depth=1
	ds_load_b64 v[74:75], v67
	s_wait_dscnt 0x1
	v_cmp_gt_f32_e32 vcc_lo, 0, v64
	v_cndmask_b32_e64 v76, v64, -v64, vcc_lo
	v_cmp_gt_f32_e32 vcc_lo, 0, v65
	v_cndmask_b32_e64 v78, v65, -v65, vcc_lo
	s_wait_dscnt 0x0
	v_cmp_gt_f32_e32 vcc_lo, 0, v74
	v_cndmask_b32_e64 v77, v74, -v74, vcc_lo
	v_cmp_gt_f32_e32 vcc_lo, 0, v75
	v_cndmask_b32_e64 v79, v75, -v75, vcc_lo
	s_delay_alu instid0(VALU_DEP_1) | instskip(NEXT) | instid1(VALU_DEP_1)
	v_pk_add_f32 v[76:77], v[76:77], v[78:79]
	v_cmp_lt_f32_e32 vcc_lo, v76, v77
	v_dual_cndmask_b32 v64, v64, v74 :: v_dual_add_nc_u32 v67, 8, v67
	v_cndmask_b32_e32 v65, v65, v75, vcc_lo
	v_cndmask_b32_e64 v66, v66, s0, vcc_lo
	s_add_co_i32 s0, s0, 1
	s_delay_alu instid0(SALU_CYCLE_1)
	s_cmp_lg_u32 s18, s0
	s_cbranch_scc1 .LBB56_316
.LBB56_317:
	s_wait_dscnt 0x0
	v_cmp_eq_f32_e32 vcc_lo, 0, v64
	v_cmp_eq_f32_e64 s0, 0, v65
	s_and_b32 s0, vcc_lo, s0
	s_delay_alu instid0(SALU_CYCLE_1) | instskip(NEXT) | instid1(SALU_CYCLE_1)
	s_and_saveexec_b32 s1, s0
	s_xor_b32 s0, exec_lo, s1
; %bb.318:
	v_cmp_ne_u32_e32 vcc_lo, 0, v70
	v_cndmask_b32_e32 v70, 16, v70, vcc_lo
; %bb.319:
	s_and_not1_saveexec_b32 s0, s0
	s_cbranch_execz .LBB56_325
; %bb.320:
	v_cmp_ngt_f32_e64 s1, |v64|, |v65|
	s_and_saveexec_b32 s12, s1
	s_delay_alu instid0(SALU_CYCLE_1)
	s_xor_b32 s1, exec_lo, s12
	s_cbranch_execz .LBB56_322
; %bb.321:
	v_div_scale_f32 v67, null, v65, v65, v64
	v_div_scale_f32 v75, vcc_lo, v64, v65, v64
	s_delay_alu instid0(VALU_DEP_2) | instskip(SKIP_1) | instid1(TRANS32_DEP_1)
	v_rcp_f32_e32 v73, v67
	v_nop
	v_fma_f32 v74, -v67, v73, 1.0
	s_delay_alu instid0(VALU_DEP_1) | instskip(NEXT) | instid1(VALU_DEP_1)
	v_fmac_f32_e32 v73, v74, v73
	v_mul_f32_e32 v74, v75, v73
	s_delay_alu instid0(VALU_DEP_1) | instskip(NEXT) | instid1(VALU_DEP_1)
	v_fma_f32 v76, -v67, v74, v75
	v_fmac_f32_e32 v74, v76, v73
	s_delay_alu instid0(VALU_DEP_1) | instskip(NEXT) | instid1(VALU_DEP_1)
	v_fma_f32 v67, -v67, v74, v75
	v_div_fmas_f32 v67, v67, v73, v74
	s_delay_alu instid0(VALU_DEP_1) | instskip(NEXT) | instid1(VALU_DEP_1)
	v_div_fixup_f32 v67, v67, v65, v64
	v_fmac_f32_e32 v65, v64, v67
	s_delay_alu instid0(VALU_DEP_1) | instskip(SKIP_1) | instid1(VALU_DEP_2)
	v_div_scale_f32 v64, null, v65, v65, 1.0
	v_div_scale_f32 v75, vcc_lo, 1.0, v65, 1.0
	v_rcp_f32_e32 v73, v64
	v_nop
	s_delay_alu instid0(TRANS32_DEP_1) | instskip(NEXT) | instid1(VALU_DEP_1)
	v_fma_f32 v74, -v64, v73, 1.0
	v_fmac_f32_e32 v73, v74, v73
	s_delay_alu instid0(VALU_DEP_1) | instskip(NEXT) | instid1(VALU_DEP_1)
	v_mul_f32_e32 v74, v75, v73
	v_fma_f32 v76, -v64, v74, v75
	s_delay_alu instid0(VALU_DEP_1) | instskip(NEXT) | instid1(VALU_DEP_1)
	v_fmac_f32_e32 v74, v76, v73
	v_fma_f32 v64, -v64, v74, v75
	s_delay_alu instid0(VALU_DEP_1) | instskip(NEXT) | instid1(VALU_DEP_1)
	v_div_fmas_f32 v64, v64, v73, v74
	v_div_fixup_f32 v65, v64, v65, 1.0
	s_delay_alu instid0(VALU_DEP_1)
	v_mul_f32_e32 v64, v67, v65
	v_xor_b32_e32 v65, 0x80000000, v65
.LBB56_322:
	s_and_not1_saveexec_b32 s1, s1
	s_cbranch_execz .LBB56_324
; %bb.323:
	s_delay_alu instid0(VALU_DEP_1) | instskip(SKIP_1) | instid1(VALU_DEP_2)
	v_div_scale_f32 v67, null, v64, v64, v65
	v_div_scale_f32 v75, vcc_lo, v65, v64, v65
	v_rcp_f32_e32 v73, v67
	v_nop
	s_delay_alu instid0(TRANS32_DEP_1) | instskip(NEXT) | instid1(VALU_DEP_1)
	v_fma_f32 v74, -v67, v73, 1.0
	v_fmac_f32_e32 v73, v74, v73
	s_delay_alu instid0(VALU_DEP_1) | instskip(NEXT) | instid1(VALU_DEP_1)
	v_mul_f32_e32 v74, v75, v73
	v_fma_f32 v76, -v67, v74, v75
	s_delay_alu instid0(VALU_DEP_1) | instskip(NEXT) | instid1(VALU_DEP_1)
	v_fmac_f32_e32 v74, v76, v73
	v_fma_f32 v67, -v67, v74, v75
	s_delay_alu instid0(VALU_DEP_1) | instskip(NEXT) | instid1(VALU_DEP_1)
	v_div_fmas_f32 v67, v67, v73, v74
	v_div_fixup_f32 v67, v67, v64, v65
	s_delay_alu instid0(VALU_DEP_1) | instskip(NEXT) | instid1(VALU_DEP_1)
	v_fmac_f32_e32 v64, v65, v67
	v_div_scale_f32 v65, null, v64, v64, 1.0
	s_delay_alu instid0(VALU_DEP_1) | instskip(SKIP_1) | instid1(TRANS32_DEP_1)
	v_rcp_f32_e32 v73, v65
	v_nop
	v_fma_f32 v74, -v65, v73, 1.0
	s_delay_alu instid0(VALU_DEP_1) | instskip(SKIP_1) | instid1(VALU_DEP_1)
	v_fmac_f32_e32 v73, v74, v73
	v_div_scale_f32 v74, vcc_lo, 1.0, v64, 1.0
	v_mul_f32_e32 v75, v74, v73
	s_delay_alu instid0(VALU_DEP_1) | instskip(NEXT) | instid1(VALU_DEP_1)
	v_fma_f32 v76, -v65, v75, v74
	v_fmac_f32_e32 v75, v76, v73
	s_delay_alu instid0(VALU_DEP_1) | instskip(NEXT) | instid1(VALU_DEP_1)
	v_fma_f32 v65, -v65, v75, v74
	v_div_fmas_f32 v65, v65, v73, v75
	s_delay_alu instid0(VALU_DEP_1) | instskip(NEXT) | instid1(VALU_DEP_1)
	v_div_fixup_f32 v64, v65, v64, 1.0
	v_mul_f32_e64 v65, v67, -v64
.LBB56_324:
	s_or_b32 exec_lo, exec_lo, s1
.LBB56_325:
	s_delay_alu instid0(SALU_CYCLE_1) | instskip(NEXT) | instid1(SALU_CYCLE_1)
	s_or_b32 exec_lo, exec_lo, s0
	s_mov_b32 s0, exec_lo
	v_cmpx_ne_u32_e64 v72, v66
	s_xor_b32 s0, exec_lo, s0
	s_cbranch_execz .LBB56_331
; %bb.326:
	s_mov_b32 s1, exec_lo
	v_cmpx_eq_u32_e32 15, v72
	s_cbranch_execz .LBB56_330
; %bb.327:
	v_cmp_ne_u32_e32 vcc_lo, 15, v66
	s_xor_b32 s12, s16, -1
	s_delay_alu instid0(SALU_CYCLE_1) | instskip(NEXT) | instid1(SALU_CYCLE_1)
	s_and_b32 s13, s12, vcc_lo
	s_and_saveexec_b32 s12, s13
	s_cbranch_execz .LBB56_329
; %bb.328:
	v_ashrrev_i32_e32 v67, 31, v66
	s_delay_alu instid0(VALU_DEP_1)
	v_lshl_add_u64 v[72:73], v[66:67], 2, v[4:5]
	s_clause 0x1
	global_load_b32 v67, v[72:73], off
	global_load_b32 v71, v[4:5], off offset:60
	s_wait_loadcnt 0x1
	global_store_b32 v[4:5], v67, off offset:60
	s_wait_loadcnt 0x0
	global_store_b32 v[72:73], v71, off
.LBB56_329:
	s_wait_xcnt 0x0
	s_or_b32 exec_lo, exec_lo, s12
	v_dual_mov_b32 v72, v66 :: v_dual_mov_b32 v71, v66
.LBB56_330:
	s_or_b32 exec_lo, exec_lo, s1
.LBB56_331:
	s_and_not1_saveexec_b32 s0, s0
	s_cbranch_execz .LBB56_333
; %bb.332:
	v_dual_mov_b32 v66, v50 :: v_dual_mov_b32 v67, v51
	v_dual_mov_b32 v72, v46 :: v_dual_mov_b32 v73, v47
	;; [unrolled: 1-line block ×4, first 2 shown]
	ds_store_2addr_b64 v68, v[66:67], v[72:73] offset0:16 offset1:17
	ds_store_2addr_b64 v68, v[74:75], v[76:77] offset0:18 offset1:19
	v_dual_mov_b32 v66, v38 :: v_dual_mov_b32 v67, v39
	v_dual_mov_b32 v74, v34 :: v_dual_mov_b32 v75, v35
	;; [unrolled: 1-line block ×8, first 2 shown]
	v_mov_b32_e32 v87, v41
	ds_store_2addr_b64 v68, v[66:67], v[74:75] offset0:20 offset1:21
	ds_store_2addr_b64 v68, v[76:77], v[78:79] offset0:22 offset1:23
	;; [unrolled: 1-line block ×4, first 2 shown]
	ds_store_b64 v68, v[62:63] offset:224
.LBB56_333:
	s_or_b32 exec_lo, exec_lo, s0
	s_delay_alu instid0(SALU_CYCLE_1)
	s_mov_b32 s0, exec_lo
	s_wait_storecnt_dscnt 0x0
	s_barrier_signal -1
	s_barrier_wait -1
	v_cmpx_lt_i32_e32 15, v72
	s_cbranch_execz .LBB56_335
; %bb.334:
	v_pk_mul_f32 v[66:67], v[64:65], v[24:25] op_sel:[1,1] op_sel_hi:[0,1]
	s_delay_alu instid0(VALU_DEP_1)
	v_pk_fma_f32 v[74:75], v[64:65], v[24:25], v[66:67] op_sel_hi:[1,0,1] neg_lo:[0,0,1] neg_hi:[0,0,1]
	v_pk_fma_f32 v[76:77], v[64:65], v[24:25], v[66:67] op_sel_hi:[1,0,1]
	ds_load_2addr_b64 v[64:67], v68 offset0:16 offset1:17
	v_dual_mov_b32 v24, v74 :: v_dual_mov_b32 v25, v77
	s_wait_dscnt 0x0
	v_pk_mul_f32 v[78:79], v[64:65], v[76:77] op_sel:[0,1]
	s_delay_alu instid0(VALU_DEP_1) | instskip(SKIP_1) | instid1(VALU_DEP_1)
	v_pk_fma_f32 v[80:81], v[64:65], v[74:75], v[78:79] op_sel:[0,0,1] op_sel_hi:[1,1,0] neg_lo:[0,0,1] neg_hi:[0,0,1]
	v_pk_fma_f32 v[64:65], v[64:65], v[74:75], v[78:79] op_sel:[0,0,1] op_sel_hi:[1,0,0]
	v_mov_b32_e32 v81, v65
	v_pk_mul_f32 v[64:65], v[66:67], v[76:77] op_sel:[0,1]
	s_delay_alu instid0(VALU_DEP_1) | instskip(SKIP_1) | instid1(VALU_DEP_1)
	v_pk_fma_f32 v[78:79], v[66:67], v[74:75], v[64:65] op_sel:[0,0,1] op_sel_hi:[1,1,0] neg_lo:[0,0,1] neg_hi:[0,0,1]
	v_pk_fma_f32 v[64:65], v[66:67], v[74:75], v[64:65] op_sel:[0,0,1] op_sel_hi:[1,0,0]
	v_mov_b32_e32 v79, v65
	ds_load_2addr_b64 v[64:67], v68 offset0:18 offset1:19
	v_pk_add_f32 v[50:51], v[50:51], v[80:81] neg_lo:[0,1] neg_hi:[0,1]
	v_pk_add_f32 v[46:47], v[46:47], v[78:79] neg_lo:[0,1] neg_hi:[0,1]
	s_wait_dscnt 0x0
	v_pk_mul_f32 v[78:79], v[64:65], v[76:77] op_sel:[0,1]
	s_delay_alu instid0(VALU_DEP_1) | instskip(SKIP_2) | instid1(VALU_DEP_2)
	v_pk_fma_f32 v[80:81], v[64:65], v[74:75], v[78:79] op_sel:[0,0,1] op_sel_hi:[1,1,0] neg_lo:[0,0,1] neg_hi:[0,0,1]
	v_pk_fma_f32 v[64:65], v[64:65], v[74:75], v[78:79] op_sel:[0,0,1] op_sel_hi:[1,0,0]
	v_dual_mul_f32 v78, v67, v77 :: v_dual_mov_b32 v64, v67
	v_dual_mov_b32 v81, v65 :: v_dual_mov_b32 v65, v66
	s_delay_alu instid0(VALU_DEP_2) | instskip(SKIP_1) | instid1(VALU_DEP_3)
	v_pk_fma_f32 v[78:79], v[66:67], v[24:25], v[78:79] op_sel_hi:[1,1,0] neg_lo:[0,0,1] neg_hi:[0,0,1]
	v_mul_f32_e32 v66, v67, v74
	v_pk_add_f32 v[48:49], v[48:49], v[80:81] neg_lo:[0,1] neg_hi:[0,1]
	s_delay_alu instid0(VALU_DEP_2) | instskip(NEXT) | instid1(VALU_DEP_1)
	v_pk_fma_f32 v[64:65], v[64:65], v[24:25], v[66:67] op_sel_hi:[1,1,0]
	v_mov_b32_e32 v79, v65
	ds_load_2addr_b64 v[64:67], v68 offset0:20 offset1:21
	v_pk_add_f32 v[44:45], v[44:45], v[78:79] neg_lo:[0,1] neg_hi:[0,1]
	s_wait_dscnt 0x0
	v_pk_mul_f32 v[78:79], v[64:65], v[76:77] op_sel:[0,1]
	s_delay_alu instid0(VALU_DEP_1) | instskip(SKIP_1) | instid1(VALU_DEP_1)
	v_pk_fma_f32 v[80:81], v[64:65], v[74:75], v[78:79] op_sel:[0,0,1] op_sel_hi:[1,1,0] neg_lo:[0,0,1] neg_hi:[0,0,1]
	v_pk_fma_f32 v[64:65], v[64:65], v[74:75], v[78:79] op_sel:[0,0,1] op_sel_hi:[1,0,0]
	v_mov_b32_e32 v81, v65
	v_pk_mul_f32 v[64:65], v[66:67], v[76:77] op_sel:[0,1]
	s_delay_alu instid0(VALU_DEP_1) | instskip(SKIP_1) | instid1(VALU_DEP_1)
	v_pk_fma_f32 v[78:79], v[66:67], v[74:75], v[64:65] op_sel:[0,0,1] op_sel_hi:[1,1,0] neg_lo:[0,0,1] neg_hi:[0,0,1]
	v_pk_fma_f32 v[64:65], v[66:67], v[74:75], v[64:65] op_sel:[0,0,1] op_sel_hi:[1,0,0]
	v_mov_b32_e32 v79, v65
	ds_load_2addr_b64 v[64:67], v68 offset0:22 offset1:23
	v_pk_add_f32 v[38:39], v[38:39], v[80:81] neg_lo:[0,1] neg_hi:[0,1]
	v_pk_add_f32 v[34:35], v[34:35], v[78:79] neg_lo:[0,1] neg_hi:[0,1]
	s_wait_dscnt 0x0
	v_pk_mul_f32 v[78:79], v[64:65], v[76:77] op_sel:[0,1]
	s_delay_alu instid0(VALU_DEP_1) | instskip(SKIP_1) | instid1(VALU_DEP_1)
	v_pk_fma_f32 v[80:81], v[64:65], v[74:75], v[78:79] op_sel:[0,0,1] op_sel_hi:[1,1,0] neg_lo:[0,0,1] neg_hi:[0,0,1]
	v_pk_fma_f32 v[64:65], v[64:65], v[74:75], v[78:79] op_sel:[0,0,1] op_sel_hi:[1,0,0]
	v_mov_b32_e32 v81, v65
	v_pk_mul_f32 v[64:65], v[66:67], v[76:77] op_sel:[0,1]
	s_delay_alu instid0(VALU_DEP_1) | instskip(SKIP_1) | instid1(VALU_DEP_1)
	v_pk_fma_f32 v[78:79], v[66:67], v[74:75], v[64:65] op_sel:[0,0,1] op_sel_hi:[1,1,0] neg_lo:[0,0,1] neg_hi:[0,0,1]
	v_pk_fma_f32 v[64:65], v[66:67], v[74:75], v[64:65] op_sel:[0,0,1] op_sel_hi:[1,0,0]
	v_mov_b32_e32 v79, v65
	ds_load_2addr_b64 v[64:67], v68 offset0:24 offset1:25
	v_pk_add_f32 v[36:37], v[36:37], v[80:81] neg_lo:[0,1] neg_hi:[0,1]
	v_pk_add_f32 v[32:33], v[32:33], v[78:79] neg_lo:[0,1] neg_hi:[0,1]
	s_wait_dscnt 0x0
	v_dual_mul_f32 v78, v65, v77 :: v_dual_mul_f32 v80, v65, v74
	s_delay_alu instid0(VALU_DEP_1) | instskip(NEXT) | instid1(VALU_DEP_2)
	v_pk_fma_f32 v[78:79], v[64:65], v[24:25], v[78:79] op_sel_hi:[1,1,0] neg_lo:[0,0,1] neg_hi:[0,0,1]
	v_pk_fma_f32 v[64:65], v[64:65], v[24:25], v[80:81] op_sel:[1,0,0] op_sel_hi:[0,1,0]
	s_delay_alu instid0(VALU_DEP_1) | instskip(SKIP_1) | instid1(VALU_DEP_2)
	v_mov_b32_e32 v79, v65
	v_pk_mul_f32 v[64:65], v[66:67], v[76:77] op_sel:[0,1]
	v_pk_add_f32 v[6:7], v[6:7], v[78:79] neg_lo:[0,1] neg_hi:[0,1]
	s_delay_alu instid0(VALU_DEP_2) | instskip(SKIP_1) | instid1(VALU_DEP_1)
	v_pk_fma_f32 v[78:79], v[66:67], v[74:75], v[64:65] op_sel:[0,0,1] op_sel_hi:[1,1,0] neg_lo:[0,0,1] neg_hi:[0,0,1]
	v_pk_fma_f32 v[64:65], v[66:67], v[74:75], v[64:65] op_sel:[0,0,1] op_sel_hi:[1,0,0]
	v_mov_b32_e32 v79, v65
	ds_load_2addr_b64 v[64:67], v68 offset0:26 offset1:27
	v_pk_add_f32 v[52:53], v[52:53], v[78:79] neg_lo:[0,1] neg_hi:[0,1]
	s_wait_dscnt 0x0
	v_pk_mul_f32 v[78:79], v[64:65], v[76:77] op_sel:[0,1]
	s_delay_alu instid0(VALU_DEP_1) | instskip(SKIP_1) | instid1(VALU_DEP_1)
	v_pk_fma_f32 v[80:81], v[64:65], v[74:75], v[78:79] op_sel:[0,0,1] op_sel_hi:[1,1,0] neg_lo:[0,0,1] neg_hi:[0,0,1]
	v_pk_fma_f32 v[64:65], v[64:65], v[74:75], v[78:79] op_sel:[0,0,1] op_sel_hi:[1,0,0]
	v_mov_b32_e32 v81, v65
	v_pk_mul_f32 v[64:65], v[66:67], v[76:77] op_sel:[0,1]
	s_delay_alu instid0(VALU_DEP_2) | instskip(NEXT) | instid1(VALU_DEP_2)
	v_pk_add_f32 v[42:43], v[42:43], v[80:81] neg_lo:[0,1] neg_hi:[0,1]
	v_pk_fma_f32 v[78:79], v[66:67], v[74:75], v[64:65] op_sel:[0,0,1] op_sel_hi:[1,1,0] neg_lo:[0,0,1] neg_hi:[0,0,1]
	v_pk_fma_f32 v[64:65], v[66:67], v[74:75], v[64:65] op_sel:[0,0,1] op_sel_hi:[1,0,0]
	s_delay_alu instid0(VALU_DEP_1) | instskip(SKIP_4) | instid1(VALU_DEP_1)
	v_mov_b32_e32 v79, v65
	ds_load_b64 v[64:65], v68 offset:224
	v_pk_add_f32 v[40:41], v[40:41], v[78:79] neg_lo:[0,1] neg_hi:[0,1]
	s_wait_dscnt 0x0
	v_pk_mul_f32 v[66:67], v[64:65], v[76:77] op_sel:[0,1]
	v_pk_fma_f32 v[76:77], v[64:65], v[74:75], v[66:67] op_sel:[0,0,1] op_sel_hi:[1,1,0] neg_lo:[0,0,1] neg_hi:[0,0,1]
	v_pk_fma_f32 v[64:65], v[64:65], v[74:75], v[66:67] op_sel:[0,0,1] op_sel_hi:[1,0,0]
	s_delay_alu instid0(VALU_DEP_1) | instskip(NEXT) | instid1(VALU_DEP_1)
	v_mov_b32_e32 v77, v65
	v_pk_add_f32 v[62:63], v[62:63], v[76:77] neg_lo:[0,1] neg_hi:[0,1]
.LBB56_335:
	s_or_b32 exec_lo, exec_lo, s0
	v_lshl_add_u32 v64, v72, 3, v68
	s_barrier_signal -1
	s_barrier_wait -1
	ds_store_b64 v64, v[50:51]
	s_wait_dscnt 0x0
	s_barrier_signal -1
	s_barrier_wait -1
	ds_load_b64 v[64:65], v68 offset:128
	v_mov_b32_e32 v66, 16
	s_cmp_lt_i32 s18, 18
	s_cbranch_scc1 .LBB56_338
; %bb.336:
	v_add3_u32 v67, v69, 0, 0x88
	v_mov_b32_e32 v66, 16
	s_mov_b32 s0, 17
.LBB56_337:                             ; =>This Inner Loop Header: Depth=1
	ds_load_b64 v[74:75], v67
	s_wait_dscnt 0x1
	v_cmp_gt_f32_e32 vcc_lo, 0, v64
	v_cndmask_b32_e64 v76, v64, -v64, vcc_lo
	v_cmp_gt_f32_e32 vcc_lo, 0, v65
	v_cndmask_b32_e64 v78, v65, -v65, vcc_lo
	s_wait_dscnt 0x0
	v_cmp_gt_f32_e32 vcc_lo, 0, v74
	v_cndmask_b32_e64 v77, v74, -v74, vcc_lo
	v_cmp_gt_f32_e32 vcc_lo, 0, v75
	v_cndmask_b32_e64 v79, v75, -v75, vcc_lo
	s_delay_alu instid0(VALU_DEP_1) | instskip(NEXT) | instid1(VALU_DEP_1)
	v_pk_add_f32 v[76:77], v[76:77], v[78:79]
	v_cmp_lt_f32_e32 vcc_lo, v76, v77
	v_dual_cndmask_b32 v64, v64, v74 :: v_dual_add_nc_u32 v67, 8, v67
	v_cndmask_b32_e32 v65, v65, v75, vcc_lo
	v_cndmask_b32_e64 v66, v66, s0, vcc_lo
	s_add_co_i32 s0, s0, 1
	s_delay_alu instid0(SALU_CYCLE_1)
	s_cmp_lg_u32 s18, s0
	s_cbranch_scc1 .LBB56_337
.LBB56_338:
	s_wait_dscnt 0x0
	v_cmp_eq_f32_e32 vcc_lo, 0, v64
	v_cmp_eq_f32_e64 s0, 0, v65
	s_and_b32 s0, vcc_lo, s0
	s_delay_alu instid0(SALU_CYCLE_1) | instskip(NEXT) | instid1(SALU_CYCLE_1)
	s_and_saveexec_b32 s1, s0
	s_xor_b32 s0, exec_lo, s1
; %bb.339:
	v_cmp_ne_u32_e32 vcc_lo, 0, v70
	v_cndmask_b32_e32 v70, 17, v70, vcc_lo
; %bb.340:
	s_and_not1_saveexec_b32 s0, s0
	s_cbranch_execz .LBB56_346
; %bb.341:
	v_cmp_ngt_f32_e64 s1, |v64|, |v65|
	s_and_saveexec_b32 s12, s1
	s_delay_alu instid0(SALU_CYCLE_1)
	s_xor_b32 s1, exec_lo, s12
	s_cbranch_execz .LBB56_343
; %bb.342:
	v_div_scale_f32 v67, null, v65, v65, v64
	v_div_scale_f32 v75, vcc_lo, v64, v65, v64
	s_delay_alu instid0(VALU_DEP_2) | instskip(SKIP_1) | instid1(TRANS32_DEP_1)
	v_rcp_f32_e32 v73, v67
	v_nop
	v_fma_f32 v74, -v67, v73, 1.0
	s_delay_alu instid0(VALU_DEP_1) | instskip(NEXT) | instid1(VALU_DEP_1)
	v_fmac_f32_e32 v73, v74, v73
	v_mul_f32_e32 v74, v75, v73
	s_delay_alu instid0(VALU_DEP_1) | instskip(NEXT) | instid1(VALU_DEP_1)
	v_fma_f32 v76, -v67, v74, v75
	v_fmac_f32_e32 v74, v76, v73
	s_delay_alu instid0(VALU_DEP_1) | instskip(NEXT) | instid1(VALU_DEP_1)
	v_fma_f32 v67, -v67, v74, v75
	v_div_fmas_f32 v67, v67, v73, v74
	s_delay_alu instid0(VALU_DEP_1) | instskip(NEXT) | instid1(VALU_DEP_1)
	v_div_fixup_f32 v67, v67, v65, v64
	v_fmac_f32_e32 v65, v64, v67
	s_delay_alu instid0(VALU_DEP_1) | instskip(SKIP_1) | instid1(VALU_DEP_2)
	v_div_scale_f32 v64, null, v65, v65, 1.0
	v_div_scale_f32 v75, vcc_lo, 1.0, v65, 1.0
	v_rcp_f32_e32 v73, v64
	v_nop
	s_delay_alu instid0(TRANS32_DEP_1) | instskip(NEXT) | instid1(VALU_DEP_1)
	v_fma_f32 v74, -v64, v73, 1.0
	v_fmac_f32_e32 v73, v74, v73
	s_delay_alu instid0(VALU_DEP_1) | instskip(NEXT) | instid1(VALU_DEP_1)
	v_mul_f32_e32 v74, v75, v73
	v_fma_f32 v76, -v64, v74, v75
	s_delay_alu instid0(VALU_DEP_1) | instskip(NEXT) | instid1(VALU_DEP_1)
	v_fmac_f32_e32 v74, v76, v73
	v_fma_f32 v64, -v64, v74, v75
	s_delay_alu instid0(VALU_DEP_1) | instskip(NEXT) | instid1(VALU_DEP_1)
	v_div_fmas_f32 v64, v64, v73, v74
	v_div_fixup_f32 v65, v64, v65, 1.0
	s_delay_alu instid0(VALU_DEP_1)
	v_mul_f32_e32 v64, v67, v65
	v_xor_b32_e32 v65, 0x80000000, v65
.LBB56_343:
	s_and_not1_saveexec_b32 s1, s1
	s_cbranch_execz .LBB56_345
; %bb.344:
	s_delay_alu instid0(VALU_DEP_1) | instskip(SKIP_1) | instid1(VALU_DEP_2)
	v_div_scale_f32 v67, null, v64, v64, v65
	v_div_scale_f32 v75, vcc_lo, v65, v64, v65
	v_rcp_f32_e32 v73, v67
	v_nop
	s_delay_alu instid0(TRANS32_DEP_1) | instskip(NEXT) | instid1(VALU_DEP_1)
	v_fma_f32 v74, -v67, v73, 1.0
	v_fmac_f32_e32 v73, v74, v73
	s_delay_alu instid0(VALU_DEP_1) | instskip(NEXT) | instid1(VALU_DEP_1)
	v_mul_f32_e32 v74, v75, v73
	v_fma_f32 v76, -v67, v74, v75
	s_delay_alu instid0(VALU_DEP_1) | instskip(NEXT) | instid1(VALU_DEP_1)
	v_fmac_f32_e32 v74, v76, v73
	v_fma_f32 v67, -v67, v74, v75
	s_delay_alu instid0(VALU_DEP_1) | instskip(NEXT) | instid1(VALU_DEP_1)
	v_div_fmas_f32 v67, v67, v73, v74
	v_div_fixup_f32 v67, v67, v64, v65
	s_delay_alu instid0(VALU_DEP_1) | instskip(NEXT) | instid1(VALU_DEP_1)
	v_fmac_f32_e32 v64, v65, v67
	v_div_scale_f32 v65, null, v64, v64, 1.0
	s_delay_alu instid0(VALU_DEP_1) | instskip(SKIP_1) | instid1(TRANS32_DEP_1)
	v_rcp_f32_e32 v73, v65
	v_nop
	v_fma_f32 v74, -v65, v73, 1.0
	s_delay_alu instid0(VALU_DEP_1) | instskip(SKIP_1) | instid1(VALU_DEP_1)
	v_fmac_f32_e32 v73, v74, v73
	v_div_scale_f32 v74, vcc_lo, 1.0, v64, 1.0
	v_mul_f32_e32 v75, v74, v73
	s_delay_alu instid0(VALU_DEP_1) | instskip(NEXT) | instid1(VALU_DEP_1)
	v_fma_f32 v76, -v65, v75, v74
	v_fmac_f32_e32 v75, v76, v73
	s_delay_alu instid0(VALU_DEP_1) | instskip(NEXT) | instid1(VALU_DEP_1)
	v_fma_f32 v65, -v65, v75, v74
	v_div_fmas_f32 v65, v65, v73, v75
	s_delay_alu instid0(VALU_DEP_1) | instskip(NEXT) | instid1(VALU_DEP_1)
	v_div_fixup_f32 v64, v65, v64, 1.0
	v_mul_f32_e64 v65, v67, -v64
.LBB56_345:
	s_or_b32 exec_lo, exec_lo, s1
.LBB56_346:
	s_delay_alu instid0(SALU_CYCLE_1) | instskip(NEXT) | instid1(SALU_CYCLE_1)
	s_or_b32 exec_lo, exec_lo, s0
	s_mov_b32 s0, exec_lo
	v_cmpx_ne_u32_e64 v72, v66
	s_xor_b32 s0, exec_lo, s0
	s_cbranch_execz .LBB56_352
; %bb.347:
	s_mov_b32 s1, exec_lo
	v_cmpx_eq_u32_e32 16, v72
	s_cbranch_execz .LBB56_351
; %bb.348:
	v_cmp_ne_u32_e32 vcc_lo, 16, v66
	s_xor_b32 s12, s16, -1
	s_delay_alu instid0(SALU_CYCLE_1) | instskip(NEXT) | instid1(SALU_CYCLE_1)
	s_and_b32 s13, s12, vcc_lo
	s_and_saveexec_b32 s12, s13
	s_cbranch_execz .LBB56_350
; %bb.349:
	v_ashrrev_i32_e32 v67, 31, v66
	s_delay_alu instid0(VALU_DEP_1)
	v_lshl_add_u64 v[72:73], v[66:67], 2, v[4:5]
	s_clause 0x1
	global_load_b32 v67, v[72:73], off
	global_load_b32 v71, v[4:5], off offset:64
	s_wait_loadcnt 0x1
	global_store_b32 v[4:5], v67, off offset:64
	s_wait_loadcnt 0x0
	global_store_b32 v[72:73], v71, off
.LBB56_350:
	s_wait_xcnt 0x0
	s_or_b32 exec_lo, exec_lo, s12
	v_dual_mov_b32 v72, v66 :: v_dual_mov_b32 v71, v66
.LBB56_351:
	s_or_b32 exec_lo, exec_lo, s1
.LBB56_352:
	s_and_not1_saveexec_b32 s0, s0
	s_cbranch_execz .LBB56_354
; %bb.353:
	v_mov_b32_e32 v72, 16
	ds_store_2addr_b64 v68, v[46:47], v[48:49] offset0:17 offset1:18
	ds_store_2addr_b64 v68, v[44:45], v[38:39] offset0:19 offset1:20
	;; [unrolled: 1-line block ×6, first 2 shown]
.LBB56_354:
	s_or_b32 exec_lo, exec_lo, s0
	s_delay_alu instid0(SALU_CYCLE_1)
	s_mov_b32 s0, exec_lo
	s_wait_storecnt_dscnt 0x0
	s_barrier_signal -1
	s_barrier_wait -1
	v_cmpx_lt_i32_e32 16, v72
	s_cbranch_execz .LBB56_356
; %bb.355:
	v_pk_mul_f32 v[66:67], v[64:65], v[50:51] op_sel:[1,1] op_sel_hi:[0,1]
	s_delay_alu instid0(VALU_DEP_1)
	v_pk_fma_f32 v[74:75], v[64:65], v[50:51], v[66:67] op_sel_hi:[1,0,1] neg_lo:[0,0,1] neg_hi:[0,0,1]
	v_pk_fma_f32 v[76:77], v[64:65], v[50:51], v[66:67] op_sel_hi:[1,0,1]
	ds_load_2addr_b64 v[64:67], v68 offset0:17 offset1:18
	v_dual_mov_b32 v50, v74 :: v_dual_mov_b32 v51, v77
	s_wait_dscnt 0x0
	v_pk_mul_f32 v[78:79], v[64:65], v[76:77] op_sel:[0,1]
	s_delay_alu instid0(VALU_DEP_1) | instskip(SKIP_1) | instid1(VALU_DEP_1)
	v_pk_fma_f32 v[80:81], v[64:65], v[74:75], v[78:79] op_sel:[0,0,1] op_sel_hi:[1,1,0] neg_lo:[0,0,1] neg_hi:[0,0,1]
	v_pk_fma_f32 v[64:65], v[64:65], v[74:75], v[78:79] op_sel:[0,0,1] op_sel_hi:[1,0,0]
	v_mov_b32_e32 v81, v65
	v_pk_mul_f32 v[64:65], v[66:67], v[76:77] op_sel:[0,1]
	s_delay_alu instid0(VALU_DEP_1) | instskip(SKIP_1) | instid1(VALU_DEP_1)
	v_pk_fma_f32 v[78:79], v[66:67], v[74:75], v[64:65] op_sel:[0,0,1] op_sel_hi:[1,1,0] neg_lo:[0,0,1] neg_hi:[0,0,1]
	v_pk_fma_f32 v[64:65], v[66:67], v[74:75], v[64:65] op_sel:[0,0,1] op_sel_hi:[1,0,0]
	v_mov_b32_e32 v79, v65
	ds_load_2addr_b64 v[64:67], v68 offset0:19 offset1:20
	v_pk_add_f32 v[46:47], v[46:47], v[80:81] neg_lo:[0,1] neg_hi:[0,1]
	v_pk_add_f32 v[48:49], v[48:49], v[78:79] neg_lo:[0,1] neg_hi:[0,1]
	s_wait_dscnt 0x0
	v_pk_mul_f32 v[78:79], v[64:65], v[76:77] op_sel:[0,1]
	s_delay_alu instid0(VALU_DEP_1) | instskip(SKIP_2) | instid1(VALU_DEP_2)
	v_pk_fma_f32 v[80:81], v[64:65], v[74:75], v[78:79] op_sel:[0,0,1] op_sel_hi:[1,1,0] neg_lo:[0,0,1] neg_hi:[0,0,1]
	v_pk_fma_f32 v[64:65], v[64:65], v[74:75], v[78:79] op_sel:[0,0,1] op_sel_hi:[1,0,0]
	v_dual_mul_f32 v78, v67, v77 :: v_dual_mov_b32 v64, v67
	v_dual_mov_b32 v81, v65 :: v_dual_mov_b32 v65, v66
	s_delay_alu instid0(VALU_DEP_2) | instskip(SKIP_1) | instid1(VALU_DEP_3)
	v_pk_fma_f32 v[78:79], v[66:67], v[50:51], v[78:79] op_sel_hi:[1,1,0] neg_lo:[0,0,1] neg_hi:[0,0,1]
	v_mul_f32_e32 v66, v67, v74
	v_pk_add_f32 v[44:45], v[44:45], v[80:81] neg_lo:[0,1] neg_hi:[0,1]
	s_delay_alu instid0(VALU_DEP_2) | instskip(NEXT) | instid1(VALU_DEP_1)
	v_pk_fma_f32 v[64:65], v[64:65], v[50:51], v[66:67] op_sel_hi:[1,1,0]
	v_mov_b32_e32 v79, v65
	ds_load_2addr_b64 v[64:67], v68 offset0:21 offset1:22
	v_pk_add_f32 v[38:39], v[38:39], v[78:79] neg_lo:[0,1] neg_hi:[0,1]
	s_wait_dscnt 0x0
	v_pk_mul_f32 v[78:79], v[64:65], v[76:77] op_sel:[0,1]
	s_delay_alu instid0(VALU_DEP_1) | instskip(SKIP_1) | instid1(VALU_DEP_1)
	v_pk_fma_f32 v[80:81], v[64:65], v[74:75], v[78:79] op_sel:[0,0,1] op_sel_hi:[1,1,0] neg_lo:[0,0,1] neg_hi:[0,0,1]
	v_pk_fma_f32 v[64:65], v[64:65], v[74:75], v[78:79] op_sel:[0,0,1] op_sel_hi:[1,0,0]
	v_mov_b32_e32 v81, v65
	v_pk_mul_f32 v[64:65], v[66:67], v[76:77] op_sel:[0,1]
	s_delay_alu instid0(VALU_DEP_1) | instskip(SKIP_1) | instid1(VALU_DEP_1)
	v_pk_fma_f32 v[78:79], v[66:67], v[74:75], v[64:65] op_sel:[0,0,1] op_sel_hi:[1,1,0] neg_lo:[0,0,1] neg_hi:[0,0,1]
	v_pk_fma_f32 v[64:65], v[66:67], v[74:75], v[64:65] op_sel:[0,0,1] op_sel_hi:[1,0,0]
	v_mov_b32_e32 v79, v65
	ds_load_2addr_b64 v[64:67], v68 offset0:23 offset1:24
	v_pk_add_f32 v[34:35], v[34:35], v[80:81] neg_lo:[0,1] neg_hi:[0,1]
	v_pk_add_f32 v[36:37], v[36:37], v[78:79] neg_lo:[0,1] neg_hi:[0,1]
	s_wait_dscnt 0x0
	v_pk_mul_f32 v[78:79], v[64:65], v[76:77] op_sel:[0,1]
	s_delay_alu instid0(VALU_DEP_1) | instskip(SKIP_1) | instid1(VALU_DEP_1)
	v_pk_fma_f32 v[80:81], v[64:65], v[74:75], v[78:79] op_sel:[0,0,1] op_sel_hi:[1,1,0] neg_lo:[0,0,1] neg_hi:[0,0,1]
	v_pk_fma_f32 v[64:65], v[64:65], v[74:75], v[78:79] op_sel:[0,0,1] op_sel_hi:[1,0,0]
	v_mov_b32_e32 v81, v65
	v_pk_mul_f32 v[64:65], v[66:67], v[76:77] op_sel:[0,1]
	s_delay_alu instid0(VALU_DEP_1) | instskip(SKIP_1) | instid1(VALU_DEP_1)
	v_pk_fma_f32 v[78:79], v[66:67], v[74:75], v[64:65] op_sel:[0,0,1] op_sel_hi:[1,1,0] neg_lo:[0,0,1] neg_hi:[0,0,1]
	v_pk_fma_f32 v[64:65], v[66:67], v[74:75], v[64:65] op_sel:[0,0,1] op_sel_hi:[1,0,0]
	v_mov_b32_e32 v79, v65
	ds_load_2addr_b64 v[64:67], v68 offset0:25 offset1:26
	v_pk_add_f32 v[32:33], v[32:33], v[80:81] neg_lo:[0,1] neg_hi:[0,1]
	v_pk_add_f32 v[6:7], v[6:7], v[78:79] neg_lo:[0,1] neg_hi:[0,1]
	s_wait_dscnt 0x0
	v_dual_mul_f32 v78, v65, v77 :: v_dual_mul_f32 v80, v65, v74
	s_delay_alu instid0(VALU_DEP_1) | instskip(NEXT) | instid1(VALU_DEP_2)
	v_pk_fma_f32 v[78:79], v[64:65], v[50:51], v[78:79] op_sel_hi:[1,1,0] neg_lo:[0,0,1] neg_hi:[0,0,1]
	v_pk_fma_f32 v[64:65], v[64:65], v[50:51], v[80:81] op_sel:[1,0,0] op_sel_hi:[0,1,0]
	s_delay_alu instid0(VALU_DEP_1) | instskip(SKIP_1) | instid1(VALU_DEP_2)
	v_mov_b32_e32 v79, v65
	v_pk_mul_f32 v[64:65], v[66:67], v[76:77] op_sel:[0,1]
	v_pk_add_f32 v[52:53], v[52:53], v[78:79] neg_lo:[0,1] neg_hi:[0,1]
	s_delay_alu instid0(VALU_DEP_2) | instskip(SKIP_1) | instid1(VALU_DEP_1)
	v_pk_fma_f32 v[78:79], v[66:67], v[74:75], v[64:65] op_sel:[0,0,1] op_sel_hi:[1,1,0] neg_lo:[0,0,1] neg_hi:[0,0,1]
	v_pk_fma_f32 v[64:65], v[66:67], v[74:75], v[64:65] op_sel:[0,0,1] op_sel_hi:[1,0,0]
	v_mov_b32_e32 v79, v65
	ds_load_2addr_b64 v[64:67], v68 offset0:27 offset1:28
	v_pk_add_f32 v[42:43], v[42:43], v[78:79] neg_lo:[0,1] neg_hi:[0,1]
	s_wait_dscnt 0x0
	v_pk_mul_f32 v[78:79], v[64:65], v[76:77] op_sel:[0,1]
	v_mul_f32_e32 v76, v67, v77
	s_delay_alu instid0(VALU_DEP_2) | instskip(SKIP_2) | instid1(VALU_DEP_4)
	v_pk_fma_f32 v[80:81], v[64:65], v[74:75], v[78:79] op_sel:[0,0,1] op_sel_hi:[1,1,0] neg_lo:[0,0,1] neg_hi:[0,0,1]
	v_pk_fma_f32 v[64:65], v[64:65], v[74:75], v[78:79] op_sel:[0,0,1] op_sel_hi:[1,0,0]
	v_mov_b32_e32 v64, v67
	v_pk_fma_f32 v[76:77], v[66:67], v[50:51], v[76:77] op_sel_hi:[1,1,0] neg_lo:[0,0,1] neg_hi:[0,0,1]
	s_delay_alu instid0(VALU_DEP_3) | instskip(SKIP_1) | instid1(VALU_DEP_2)
	v_dual_mov_b32 v81, v65 :: v_dual_mov_b32 v65, v66
	v_mul_f32_e32 v66, v67, v74
	v_pk_add_f32 v[40:41], v[40:41], v[80:81] neg_lo:[0,1] neg_hi:[0,1]
	s_delay_alu instid0(VALU_DEP_2) | instskip(NEXT) | instid1(VALU_DEP_1)
	v_pk_fma_f32 v[64:65], v[64:65], v[50:51], v[66:67] op_sel_hi:[1,1,0]
	v_mov_b32_e32 v77, v65
	s_delay_alu instid0(VALU_DEP_1)
	v_pk_add_f32 v[62:63], v[62:63], v[76:77] neg_lo:[0,1] neg_hi:[0,1]
.LBB56_356:
	s_or_b32 exec_lo, exec_lo, s0
	v_lshl_add_u32 v64, v72, 3, v68
	s_barrier_signal -1
	s_barrier_wait -1
	ds_store_b64 v64, v[46:47]
	s_wait_dscnt 0x0
	s_barrier_signal -1
	s_barrier_wait -1
	ds_load_b64 v[64:65], v68 offset:136
	v_mov_b32_e32 v66, 17
	s_cmp_lt_i32 s18, 19
	s_cbranch_scc1 .LBB56_359
; %bb.357:
	v_add3_u32 v67, v69, 0, 0x90
	v_mov_b32_e32 v66, 17
	s_mov_b32 s0, 18
.LBB56_358:                             ; =>This Inner Loop Header: Depth=1
	ds_load_b64 v[74:75], v67
	s_wait_dscnt 0x1
	v_cmp_gt_f32_e32 vcc_lo, 0, v64
	v_cndmask_b32_e64 v76, v64, -v64, vcc_lo
	v_cmp_gt_f32_e32 vcc_lo, 0, v65
	v_cndmask_b32_e64 v78, v65, -v65, vcc_lo
	s_wait_dscnt 0x0
	v_cmp_gt_f32_e32 vcc_lo, 0, v74
	v_cndmask_b32_e64 v77, v74, -v74, vcc_lo
	v_cmp_gt_f32_e32 vcc_lo, 0, v75
	v_cndmask_b32_e64 v79, v75, -v75, vcc_lo
	s_delay_alu instid0(VALU_DEP_1) | instskip(NEXT) | instid1(VALU_DEP_1)
	v_pk_add_f32 v[76:77], v[76:77], v[78:79]
	v_cmp_lt_f32_e32 vcc_lo, v76, v77
	v_dual_cndmask_b32 v64, v64, v74 :: v_dual_add_nc_u32 v67, 8, v67
	v_cndmask_b32_e32 v65, v65, v75, vcc_lo
	v_cndmask_b32_e64 v66, v66, s0, vcc_lo
	s_add_co_i32 s0, s0, 1
	s_delay_alu instid0(SALU_CYCLE_1)
	s_cmp_lg_u32 s18, s0
	s_cbranch_scc1 .LBB56_358
.LBB56_359:
	s_wait_dscnt 0x0
	v_cmp_eq_f32_e32 vcc_lo, 0, v64
	v_cmp_eq_f32_e64 s0, 0, v65
	s_and_b32 s0, vcc_lo, s0
	s_delay_alu instid0(SALU_CYCLE_1) | instskip(NEXT) | instid1(SALU_CYCLE_1)
	s_and_saveexec_b32 s1, s0
	s_xor_b32 s0, exec_lo, s1
; %bb.360:
	v_cmp_ne_u32_e32 vcc_lo, 0, v70
	v_cndmask_b32_e32 v70, 18, v70, vcc_lo
; %bb.361:
	s_and_not1_saveexec_b32 s0, s0
	s_cbranch_execz .LBB56_367
; %bb.362:
	v_cmp_ngt_f32_e64 s1, |v64|, |v65|
	s_and_saveexec_b32 s12, s1
	s_delay_alu instid0(SALU_CYCLE_1)
	s_xor_b32 s1, exec_lo, s12
	s_cbranch_execz .LBB56_364
; %bb.363:
	v_div_scale_f32 v67, null, v65, v65, v64
	v_div_scale_f32 v75, vcc_lo, v64, v65, v64
	s_delay_alu instid0(VALU_DEP_2) | instskip(SKIP_1) | instid1(TRANS32_DEP_1)
	v_rcp_f32_e32 v73, v67
	v_nop
	v_fma_f32 v74, -v67, v73, 1.0
	s_delay_alu instid0(VALU_DEP_1) | instskip(NEXT) | instid1(VALU_DEP_1)
	v_fmac_f32_e32 v73, v74, v73
	v_mul_f32_e32 v74, v75, v73
	s_delay_alu instid0(VALU_DEP_1) | instskip(NEXT) | instid1(VALU_DEP_1)
	v_fma_f32 v76, -v67, v74, v75
	v_fmac_f32_e32 v74, v76, v73
	s_delay_alu instid0(VALU_DEP_1) | instskip(NEXT) | instid1(VALU_DEP_1)
	v_fma_f32 v67, -v67, v74, v75
	v_div_fmas_f32 v67, v67, v73, v74
	s_delay_alu instid0(VALU_DEP_1) | instskip(NEXT) | instid1(VALU_DEP_1)
	v_div_fixup_f32 v67, v67, v65, v64
	v_fmac_f32_e32 v65, v64, v67
	s_delay_alu instid0(VALU_DEP_1) | instskip(SKIP_1) | instid1(VALU_DEP_2)
	v_div_scale_f32 v64, null, v65, v65, 1.0
	v_div_scale_f32 v75, vcc_lo, 1.0, v65, 1.0
	v_rcp_f32_e32 v73, v64
	v_nop
	s_delay_alu instid0(TRANS32_DEP_1) | instskip(NEXT) | instid1(VALU_DEP_1)
	v_fma_f32 v74, -v64, v73, 1.0
	v_fmac_f32_e32 v73, v74, v73
	s_delay_alu instid0(VALU_DEP_1) | instskip(NEXT) | instid1(VALU_DEP_1)
	v_mul_f32_e32 v74, v75, v73
	v_fma_f32 v76, -v64, v74, v75
	s_delay_alu instid0(VALU_DEP_1) | instskip(NEXT) | instid1(VALU_DEP_1)
	v_fmac_f32_e32 v74, v76, v73
	v_fma_f32 v64, -v64, v74, v75
	s_delay_alu instid0(VALU_DEP_1) | instskip(NEXT) | instid1(VALU_DEP_1)
	v_div_fmas_f32 v64, v64, v73, v74
	v_div_fixup_f32 v65, v64, v65, 1.0
	s_delay_alu instid0(VALU_DEP_1)
	v_mul_f32_e32 v64, v67, v65
	v_xor_b32_e32 v65, 0x80000000, v65
.LBB56_364:
	s_and_not1_saveexec_b32 s1, s1
	s_cbranch_execz .LBB56_366
; %bb.365:
	s_delay_alu instid0(VALU_DEP_1) | instskip(SKIP_1) | instid1(VALU_DEP_2)
	v_div_scale_f32 v67, null, v64, v64, v65
	v_div_scale_f32 v75, vcc_lo, v65, v64, v65
	v_rcp_f32_e32 v73, v67
	v_nop
	s_delay_alu instid0(TRANS32_DEP_1) | instskip(NEXT) | instid1(VALU_DEP_1)
	v_fma_f32 v74, -v67, v73, 1.0
	v_fmac_f32_e32 v73, v74, v73
	s_delay_alu instid0(VALU_DEP_1) | instskip(NEXT) | instid1(VALU_DEP_1)
	v_mul_f32_e32 v74, v75, v73
	v_fma_f32 v76, -v67, v74, v75
	s_delay_alu instid0(VALU_DEP_1) | instskip(NEXT) | instid1(VALU_DEP_1)
	v_fmac_f32_e32 v74, v76, v73
	v_fma_f32 v67, -v67, v74, v75
	s_delay_alu instid0(VALU_DEP_1) | instskip(NEXT) | instid1(VALU_DEP_1)
	v_div_fmas_f32 v67, v67, v73, v74
	v_div_fixup_f32 v67, v67, v64, v65
	s_delay_alu instid0(VALU_DEP_1) | instskip(NEXT) | instid1(VALU_DEP_1)
	v_fmac_f32_e32 v64, v65, v67
	v_div_scale_f32 v65, null, v64, v64, 1.0
	s_delay_alu instid0(VALU_DEP_1) | instskip(SKIP_1) | instid1(TRANS32_DEP_1)
	v_rcp_f32_e32 v73, v65
	v_nop
	v_fma_f32 v74, -v65, v73, 1.0
	s_delay_alu instid0(VALU_DEP_1) | instskip(SKIP_1) | instid1(VALU_DEP_1)
	v_fmac_f32_e32 v73, v74, v73
	v_div_scale_f32 v74, vcc_lo, 1.0, v64, 1.0
	v_mul_f32_e32 v75, v74, v73
	s_delay_alu instid0(VALU_DEP_1) | instskip(NEXT) | instid1(VALU_DEP_1)
	v_fma_f32 v76, -v65, v75, v74
	v_fmac_f32_e32 v75, v76, v73
	s_delay_alu instid0(VALU_DEP_1) | instskip(NEXT) | instid1(VALU_DEP_1)
	v_fma_f32 v65, -v65, v75, v74
	v_div_fmas_f32 v65, v65, v73, v75
	s_delay_alu instid0(VALU_DEP_1) | instskip(NEXT) | instid1(VALU_DEP_1)
	v_div_fixup_f32 v64, v65, v64, 1.0
	v_mul_f32_e64 v65, v67, -v64
.LBB56_366:
	s_or_b32 exec_lo, exec_lo, s1
.LBB56_367:
	s_delay_alu instid0(SALU_CYCLE_1) | instskip(NEXT) | instid1(SALU_CYCLE_1)
	s_or_b32 exec_lo, exec_lo, s0
	s_mov_b32 s0, exec_lo
	v_cmpx_ne_u32_e64 v72, v66
	s_xor_b32 s0, exec_lo, s0
	s_cbranch_execz .LBB56_373
; %bb.368:
	s_mov_b32 s1, exec_lo
	v_cmpx_eq_u32_e32 17, v72
	s_cbranch_execz .LBB56_372
; %bb.369:
	v_cmp_ne_u32_e32 vcc_lo, 17, v66
	s_xor_b32 s12, s16, -1
	s_delay_alu instid0(SALU_CYCLE_1) | instskip(NEXT) | instid1(SALU_CYCLE_1)
	s_and_b32 s13, s12, vcc_lo
	s_and_saveexec_b32 s12, s13
	s_cbranch_execz .LBB56_371
; %bb.370:
	v_ashrrev_i32_e32 v67, 31, v66
	s_delay_alu instid0(VALU_DEP_1)
	v_lshl_add_u64 v[72:73], v[66:67], 2, v[4:5]
	s_clause 0x1
	global_load_b32 v67, v[72:73], off
	global_load_b32 v71, v[4:5], off offset:68
	s_wait_loadcnt 0x1
	global_store_b32 v[4:5], v67, off offset:68
	s_wait_loadcnt 0x0
	global_store_b32 v[72:73], v71, off
.LBB56_371:
	s_wait_xcnt 0x0
	s_or_b32 exec_lo, exec_lo, s12
	v_dual_mov_b32 v72, v66 :: v_dual_mov_b32 v71, v66
.LBB56_372:
	s_or_b32 exec_lo, exec_lo, s1
.LBB56_373:
	s_and_not1_saveexec_b32 s0, s0
	s_cbranch_execz .LBB56_375
; %bb.374:
	v_dual_mov_b32 v66, v48 :: v_dual_mov_b32 v67, v49
	v_dual_mov_b32 v72, v44 :: v_dual_mov_b32 v73, v45
	;; [unrolled: 1-line block ×6, first 2 shown]
	ds_store_2addr_b64 v68, v[66:67], v[72:73] offset0:18 offset1:19
	ds_store_2addr_b64 v68, v[74:75], v[76:77] offset0:20 offset1:21
	v_dual_mov_b32 v72, 17 :: v_dual_mov_b32 v82, v6
	v_dual_mov_b32 v83, v7 :: v_dual_mov_b32 v84, v52
	;; [unrolled: 1-line block ×4, first 2 shown]
	v_mov_b32_e32 v89, v41
	ds_store_2addr_b64 v68, v[78:79], v[80:81] offset0:22 offset1:23
	ds_store_2addr_b64 v68, v[82:83], v[84:85] offset0:24 offset1:25
	;; [unrolled: 1-line block ×3, first 2 shown]
	ds_store_b64 v68, v[62:63] offset:224
.LBB56_375:
	s_or_b32 exec_lo, exec_lo, s0
	s_delay_alu instid0(SALU_CYCLE_1)
	s_mov_b32 s0, exec_lo
	s_wait_storecnt_dscnt 0x0
	s_barrier_signal -1
	s_barrier_wait -1
	v_cmpx_lt_i32_e32 17, v72
	s_cbranch_execz .LBB56_377
; %bb.376:
	v_pk_mul_f32 v[66:67], v[64:65], v[46:47] op_sel:[1,1] op_sel_hi:[0,1]
	s_delay_alu instid0(VALU_DEP_1)
	v_pk_fma_f32 v[74:75], v[64:65], v[46:47], v[66:67] op_sel_hi:[1,0,1] neg_lo:[0,0,1] neg_hi:[0,0,1]
	v_pk_fma_f32 v[76:77], v[64:65], v[46:47], v[66:67] op_sel_hi:[1,0,1]
	ds_load_2addr_b64 v[64:67], v68 offset0:18 offset1:19
	v_dual_mov_b32 v46, v74 :: v_dual_mov_b32 v47, v77
	s_wait_dscnt 0x0
	v_pk_mul_f32 v[78:79], v[64:65], v[76:77] op_sel:[0,1]
	s_delay_alu instid0(VALU_DEP_1) | instskip(SKIP_1) | instid1(VALU_DEP_1)
	v_pk_fma_f32 v[80:81], v[64:65], v[74:75], v[78:79] op_sel:[0,0,1] op_sel_hi:[1,1,0] neg_lo:[0,0,1] neg_hi:[0,0,1]
	v_pk_fma_f32 v[64:65], v[64:65], v[74:75], v[78:79] op_sel:[0,0,1] op_sel_hi:[1,0,0]
	v_mov_b32_e32 v81, v65
	v_pk_mul_f32 v[64:65], v[66:67], v[76:77] op_sel:[0,1]
	s_delay_alu instid0(VALU_DEP_1) | instskip(SKIP_1) | instid1(VALU_DEP_1)
	v_pk_fma_f32 v[78:79], v[66:67], v[74:75], v[64:65] op_sel:[0,0,1] op_sel_hi:[1,1,0] neg_lo:[0,0,1] neg_hi:[0,0,1]
	v_pk_fma_f32 v[64:65], v[66:67], v[74:75], v[64:65] op_sel:[0,0,1] op_sel_hi:[1,0,0]
	v_mov_b32_e32 v79, v65
	ds_load_2addr_b64 v[64:67], v68 offset0:20 offset1:21
	v_pk_add_f32 v[48:49], v[48:49], v[80:81] neg_lo:[0,1] neg_hi:[0,1]
	v_pk_add_f32 v[44:45], v[44:45], v[78:79] neg_lo:[0,1] neg_hi:[0,1]
	s_wait_dscnt 0x0
	v_pk_mul_f32 v[78:79], v[64:65], v[76:77] op_sel:[0,1]
	s_delay_alu instid0(VALU_DEP_1) | instskip(SKIP_2) | instid1(VALU_DEP_2)
	v_pk_fma_f32 v[80:81], v[64:65], v[74:75], v[78:79] op_sel:[0,0,1] op_sel_hi:[1,1,0] neg_lo:[0,0,1] neg_hi:[0,0,1]
	v_pk_fma_f32 v[64:65], v[64:65], v[74:75], v[78:79] op_sel:[0,0,1] op_sel_hi:[1,0,0]
	v_dual_mul_f32 v78, v67, v77 :: v_dual_mov_b32 v64, v67
	v_dual_mov_b32 v81, v65 :: v_dual_mov_b32 v65, v66
	s_delay_alu instid0(VALU_DEP_2) | instskip(SKIP_1) | instid1(VALU_DEP_3)
	v_pk_fma_f32 v[78:79], v[66:67], v[46:47], v[78:79] op_sel_hi:[1,1,0] neg_lo:[0,0,1] neg_hi:[0,0,1]
	v_mul_f32_e32 v66, v67, v74
	v_pk_add_f32 v[38:39], v[38:39], v[80:81] neg_lo:[0,1] neg_hi:[0,1]
	s_delay_alu instid0(VALU_DEP_2) | instskip(NEXT) | instid1(VALU_DEP_1)
	v_pk_fma_f32 v[64:65], v[64:65], v[46:47], v[66:67] op_sel_hi:[1,1,0]
	v_mov_b32_e32 v79, v65
	ds_load_2addr_b64 v[64:67], v68 offset0:22 offset1:23
	v_pk_add_f32 v[34:35], v[34:35], v[78:79] neg_lo:[0,1] neg_hi:[0,1]
	s_wait_dscnt 0x0
	v_pk_mul_f32 v[78:79], v[64:65], v[76:77] op_sel:[0,1]
	s_delay_alu instid0(VALU_DEP_1) | instskip(SKIP_1) | instid1(VALU_DEP_1)
	v_pk_fma_f32 v[80:81], v[64:65], v[74:75], v[78:79] op_sel:[0,0,1] op_sel_hi:[1,1,0] neg_lo:[0,0,1] neg_hi:[0,0,1]
	v_pk_fma_f32 v[64:65], v[64:65], v[74:75], v[78:79] op_sel:[0,0,1] op_sel_hi:[1,0,0]
	v_mov_b32_e32 v81, v65
	v_pk_mul_f32 v[64:65], v[66:67], v[76:77] op_sel:[0,1]
	s_delay_alu instid0(VALU_DEP_1) | instskip(SKIP_1) | instid1(VALU_DEP_1)
	v_pk_fma_f32 v[78:79], v[66:67], v[74:75], v[64:65] op_sel:[0,0,1] op_sel_hi:[1,1,0] neg_lo:[0,0,1] neg_hi:[0,0,1]
	v_pk_fma_f32 v[64:65], v[66:67], v[74:75], v[64:65] op_sel:[0,0,1] op_sel_hi:[1,0,0]
	v_mov_b32_e32 v79, v65
	ds_load_2addr_b64 v[64:67], v68 offset0:24 offset1:25
	v_pk_add_f32 v[36:37], v[36:37], v[80:81] neg_lo:[0,1] neg_hi:[0,1]
	v_pk_add_f32 v[32:33], v[32:33], v[78:79] neg_lo:[0,1] neg_hi:[0,1]
	s_wait_dscnt 0x0
	v_pk_mul_f32 v[78:79], v[64:65], v[76:77] op_sel:[0,1]
	s_delay_alu instid0(VALU_DEP_1) | instskip(SKIP_1) | instid1(VALU_DEP_1)
	v_pk_fma_f32 v[80:81], v[64:65], v[74:75], v[78:79] op_sel:[0,0,1] op_sel_hi:[1,1,0] neg_lo:[0,0,1] neg_hi:[0,0,1]
	v_pk_fma_f32 v[64:65], v[64:65], v[74:75], v[78:79] op_sel:[0,0,1] op_sel_hi:[1,0,0]
	v_mov_b32_e32 v81, v65
	v_pk_mul_f32 v[64:65], v[66:67], v[76:77] op_sel:[0,1]
	s_delay_alu instid0(VALU_DEP_1) | instskip(SKIP_1) | instid1(VALU_DEP_1)
	v_pk_fma_f32 v[78:79], v[66:67], v[74:75], v[64:65] op_sel:[0,0,1] op_sel_hi:[1,1,0] neg_lo:[0,0,1] neg_hi:[0,0,1]
	v_pk_fma_f32 v[64:65], v[66:67], v[74:75], v[64:65] op_sel:[0,0,1] op_sel_hi:[1,0,0]
	v_mov_b32_e32 v79, v65
	ds_load_2addr_b64 v[64:67], v68 offset0:26 offset1:27
	v_pk_add_f32 v[6:7], v[6:7], v[80:81] neg_lo:[0,1] neg_hi:[0,1]
	v_pk_add_f32 v[52:53], v[52:53], v[78:79] neg_lo:[0,1] neg_hi:[0,1]
	s_wait_dscnt 0x0
	v_dual_mul_f32 v78, v65, v77 :: v_dual_mul_f32 v80, v65, v74
	s_delay_alu instid0(VALU_DEP_1) | instskip(NEXT) | instid1(VALU_DEP_2)
	v_pk_fma_f32 v[78:79], v[64:65], v[46:47], v[78:79] op_sel_hi:[1,1,0] neg_lo:[0,0,1] neg_hi:[0,0,1]
	v_pk_fma_f32 v[64:65], v[64:65], v[46:47], v[80:81] op_sel:[1,0,0] op_sel_hi:[0,1,0]
	s_delay_alu instid0(VALU_DEP_1) | instskip(SKIP_1) | instid1(VALU_DEP_2)
	v_mov_b32_e32 v79, v65
	v_pk_mul_f32 v[64:65], v[66:67], v[76:77] op_sel:[0,1]
	v_pk_add_f32 v[42:43], v[42:43], v[78:79] neg_lo:[0,1] neg_hi:[0,1]
	s_delay_alu instid0(VALU_DEP_2) | instskip(SKIP_1) | instid1(VALU_DEP_1)
	v_pk_fma_f32 v[78:79], v[66:67], v[74:75], v[64:65] op_sel:[0,0,1] op_sel_hi:[1,1,0] neg_lo:[0,0,1] neg_hi:[0,0,1]
	v_pk_fma_f32 v[64:65], v[66:67], v[74:75], v[64:65] op_sel:[0,0,1] op_sel_hi:[1,0,0]
	v_mov_b32_e32 v79, v65
	ds_load_b64 v[64:65], v68 offset:224
	v_pk_add_f32 v[40:41], v[40:41], v[78:79] neg_lo:[0,1] neg_hi:[0,1]
	s_wait_dscnt 0x0
	v_pk_mul_f32 v[66:67], v[64:65], v[76:77] op_sel:[0,1]
	s_delay_alu instid0(VALU_DEP_1) | instskip(SKIP_1) | instid1(VALU_DEP_1)
	v_pk_fma_f32 v[76:77], v[64:65], v[74:75], v[66:67] op_sel:[0,0,1] op_sel_hi:[1,1,0] neg_lo:[0,0,1] neg_hi:[0,0,1]
	v_pk_fma_f32 v[64:65], v[64:65], v[74:75], v[66:67] op_sel:[0,0,1] op_sel_hi:[1,0,0]
	v_mov_b32_e32 v77, v65
	s_delay_alu instid0(VALU_DEP_1)
	v_pk_add_f32 v[62:63], v[62:63], v[76:77] neg_lo:[0,1] neg_hi:[0,1]
.LBB56_377:
	s_or_b32 exec_lo, exec_lo, s0
	v_lshl_add_u32 v64, v72, 3, v68
	s_barrier_signal -1
	s_barrier_wait -1
	ds_store_b64 v64, v[48:49]
	s_wait_dscnt 0x0
	s_barrier_signal -1
	s_barrier_wait -1
	ds_load_b64 v[64:65], v68 offset:144
	v_mov_b32_e32 v66, 18
	s_cmp_lt_i32 s18, 20
	s_cbranch_scc1 .LBB56_380
; %bb.378:
	v_add3_u32 v67, v69, 0, 0x98
	v_mov_b32_e32 v66, 18
	s_mov_b32 s0, 19
.LBB56_379:                             ; =>This Inner Loop Header: Depth=1
	ds_load_b64 v[74:75], v67
	s_wait_dscnt 0x1
	v_cmp_gt_f32_e32 vcc_lo, 0, v64
	v_cndmask_b32_e64 v76, v64, -v64, vcc_lo
	v_cmp_gt_f32_e32 vcc_lo, 0, v65
	v_cndmask_b32_e64 v78, v65, -v65, vcc_lo
	s_wait_dscnt 0x0
	v_cmp_gt_f32_e32 vcc_lo, 0, v74
	v_cndmask_b32_e64 v77, v74, -v74, vcc_lo
	v_cmp_gt_f32_e32 vcc_lo, 0, v75
	v_cndmask_b32_e64 v79, v75, -v75, vcc_lo
	s_delay_alu instid0(VALU_DEP_1) | instskip(NEXT) | instid1(VALU_DEP_1)
	v_pk_add_f32 v[76:77], v[76:77], v[78:79]
	v_cmp_lt_f32_e32 vcc_lo, v76, v77
	v_dual_cndmask_b32 v64, v64, v74 :: v_dual_add_nc_u32 v67, 8, v67
	v_cndmask_b32_e32 v65, v65, v75, vcc_lo
	v_cndmask_b32_e64 v66, v66, s0, vcc_lo
	s_add_co_i32 s0, s0, 1
	s_delay_alu instid0(SALU_CYCLE_1)
	s_cmp_lg_u32 s18, s0
	s_cbranch_scc1 .LBB56_379
.LBB56_380:
	s_wait_dscnt 0x0
	v_cmp_eq_f32_e32 vcc_lo, 0, v64
	v_cmp_eq_f32_e64 s0, 0, v65
	s_and_b32 s0, vcc_lo, s0
	s_delay_alu instid0(SALU_CYCLE_1) | instskip(NEXT) | instid1(SALU_CYCLE_1)
	s_and_saveexec_b32 s1, s0
	s_xor_b32 s0, exec_lo, s1
; %bb.381:
	v_cmp_ne_u32_e32 vcc_lo, 0, v70
	v_cndmask_b32_e32 v70, 19, v70, vcc_lo
; %bb.382:
	s_and_not1_saveexec_b32 s0, s0
	s_cbranch_execz .LBB56_388
; %bb.383:
	v_cmp_ngt_f32_e64 s1, |v64|, |v65|
	s_and_saveexec_b32 s12, s1
	s_delay_alu instid0(SALU_CYCLE_1)
	s_xor_b32 s1, exec_lo, s12
	s_cbranch_execz .LBB56_385
; %bb.384:
	v_div_scale_f32 v67, null, v65, v65, v64
	v_div_scale_f32 v75, vcc_lo, v64, v65, v64
	s_delay_alu instid0(VALU_DEP_2) | instskip(SKIP_1) | instid1(TRANS32_DEP_1)
	v_rcp_f32_e32 v73, v67
	v_nop
	v_fma_f32 v74, -v67, v73, 1.0
	s_delay_alu instid0(VALU_DEP_1) | instskip(NEXT) | instid1(VALU_DEP_1)
	v_fmac_f32_e32 v73, v74, v73
	v_mul_f32_e32 v74, v75, v73
	s_delay_alu instid0(VALU_DEP_1) | instskip(NEXT) | instid1(VALU_DEP_1)
	v_fma_f32 v76, -v67, v74, v75
	v_fmac_f32_e32 v74, v76, v73
	s_delay_alu instid0(VALU_DEP_1) | instskip(NEXT) | instid1(VALU_DEP_1)
	v_fma_f32 v67, -v67, v74, v75
	v_div_fmas_f32 v67, v67, v73, v74
	s_delay_alu instid0(VALU_DEP_1) | instskip(NEXT) | instid1(VALU_DEP_1)
	v_div_fixup_f32 v67, v67, v65, v64
	v_fmac_f32_e32 v65, v64, v67
	s_delay_alu instid0(VALU_DEP_1) | instskip(SKIP_1) | instid1(VALU_DEP_2)
	v_div_scale_f32 v64, null, v65, v65, 1.0
	v_div_scale_f32 v75, vcc_lo, 1.0, v65, 1.0
	v_rcp_f32_e32 v73, v64
	v_nop
	s_delay_alu instid0(TRANS32_DEP_1) | instskip(NEXT) | instid1(VALU_DEP_1)
	v_fma_f32 v74, -v64, v73, 1.0
	v_fmac_f32_e32 v73, v74, v73
	s_delay_alu instid0(VALU_DEP_1) | instskip(NEXT) | instid1(VALU_DEP_1)
	v_mul_f32_e32 v74, v75, v73
	v_fma_f32 v76, -v64, v74, v75
	s_delay_alu instid0(VALU_DEP_1) | instskip(NEXT) | instid1(VALU_DEP_1)
	v_fmac_f32_e32 v74, v76, v73
	v_fma_f32 v64, -v64, v74, v75
	s_delay_alu instid0(VALU_DEP_1) | instskip(NEXT) | instid1(VALU_DEP_1)
	v_div_fmas_f32 v64, v64, v73, v74
	v_div_fixup_f32 v65, v64, v65, 1.0
	s_delay_alu instid0(VALU_DEP_1)
	v_mul_f32_e32 v64, v67, v65
	v_xor_b32_e32 v65, 0x80000000, v65
.LBB56_385:
	s_and_not1_saveexec_b32 s1, s1
	s_cbranch_execz .LBB56_387
; %bb.386:
	s_delay_alu instid0(VALU_DEP_1) | instskip(SKIP_1) | instid1(VALU_DEP_2)
	v_div_scale_f32 v67, null, v64, v64, v65
	v_div_scale_f32 v75, vcc_lo, v65, v64, v65
	v_rcp_f32_e32 v73, v67
	v_nop
	s_delay_alu instid0(TRANS32_DEP_1) | instskip(NEXT) | instid1(VALU_DEP_1)
	v_fma_f32 v74, -v67, v73, 1.0
	v_fmac_f32_e32 v73, v74, v73
	s_delay_alu instid0(VALU_DEP_1) | instskip(NEXT) | instid1(VALU_DEP_1)
	v_mul_f32_e32 v74, v75, v73
	v_fma_f32 v76, -v67, v74, v75
	s_delay_alu instid0(VALU_DEP_1) | instskip(NEXT) | instid1(VALU_DEP_1)
	v_fmac_f32_e32 v74, v76, v73
	v_fma_f32 v67, -v67, v74, v75
	s_delay_alu instid0(VALU_DEP_1) | instskip(NEXT) | instid1(VALU_DEP_1)
	v_div_fmas_f32 v67, v67, v73, v74
	v_div_fixup_f32 v67, v67, v64, v65
	s_delay_alu instid0(VALU_DEP_1) | instskip(NEXT) | instid1(VALU_DEP_1)
	v_fmac_f32_e32 v64, v65, v67
	v_div_scale_f32 v65, null, v64, v64, 1.0
	s_delay_alu instid0(VALU_DEP_1) | instskip(SKIP_1) | instid1(TRANS32_DEP_1)
	v_rcp_f32_e32 v73, v65
	v_nop
	v_fma_f32 v74, -v65, v73, 1.0
	s_delay_alu instid0(VALU_DEP_1) | instskip(SKIP_1) | instid1(VALU_DEP_1)
	v_fmac_f32_e32 v73, v74, v73
	v_div_scale_f32 v74, vcc_lo, 1.0, v64, 1.0
	v_mul_f32_e32 v75, v74, v73
	s_delay_alu instid0(VALU_DEP_1) | instskip(NEXT) | instid1(VALU_DEP_1)
	v_fma_f32 v76, -v65, v75, v74
	v_fmac_f32_e32 v75, v76, v73
	s_delay_alu instid0(VALU_DEP_1) | instskip(NEXT) | instid1(VALU_DEP_1)
	v_fma_f32 v65, -v65, v75, v74
	v_div_fmas_f32 v65, v65, v73, v75
	s_delay_alu instid0(VALU_DEP_1) | instskip(NEXT) | instid1(VALU_DEP_1)
	v_div_fixup_f32 v64, v65, v64, 1.0
	v_mul_f32_e64 v65, v67, -v64
.LBB56_387:
	s_or_b32 exec_lo, exec_lo, s1
.LBB56_388:
	s_delay_alu instid0(SALU_CYCLE_1) | instskip(NEXT) | instid1(SALU_CYCLE_1)
	s_or_b32 exec_lo, exec_lo, s0
	s_mov_b32 s0, exec_lo
	v_cmpx_ne_u32_e64 v72, v66
	s_xor_b32 s0, exec_lo, s0
	s_cbranch_execz .LBB56_394
; %bb.389:
	s_mov_b32 s1, exec_lo
	v_cmpx_eq_u32_e32 18, v72
	s_cbranch_execz .LBB56_393
; %bb.390:
	v_cmp_ne_u32_e32 vcc_lo, 18, v66
	s_xor_b32 s12, s16, -1
	s_delay_alu instid0(SALU_CYCLE_1) | instskip(NEXT) | instid1(SALU_CYCLE_1)
	s_and_b32 s13, s12, vcc_lo
	s_and_saveexec_b32 s12, s13
	s_cbranch_execz .LBB56_392
; %bb.391:
	v_ashrrev_i32_e32 v67, 31, v66
	s_delay_alu instid0(VALU_DEP_1)
	v_lshl_add_u64 v[72:73], v[66:67], 2, v[4:5]
	s_clause 0x1
	global_load_b32 v67, v[72:73], off
	global_load_b32 v71, v[4:5], off offset:72
	s_wait_loadcnt 0x1
	global_store_b32 v[4:5], v67, off offset:72
	s_wait_loadcnt 0x0
	global_store_b32 v[72:73], v71, off
.LBB56_392:
	s_wait_xcnt 0x0
	s_or_b32 exec_lo, exec_lo, s12
	v_dual_mov_b32 v72, v66 :: v_dual_mov_b32 v71, v66
.LBB56_393:
	s_or_b32 exec_lo, exec_lo, s1
.LBB56_394:
	s_and_not1_saveexec_b32 s0, s0
	s_cbranch_execz .LBB56_396
; %bb.395:
	v_mov_b32_e32 v72, 18
	ds_store_2addr_b64 v68, v[44:45], v[38:39] offset0:19 offset1:20
	ds_store_2addr_b64 v68, v[34:35], v[36:37] offset0:21 offset1:22
	;; [unrolled: 1-line block ×5, first 2 shown]
.LBB56_396:
	s_or_b32 exec_lo, exec_lo, s0
	s_delay_alu instid0(SALU_CYCLE_1)
	s_mov_b32 s0, exec_lo
	s_wait_storecnt_dscnt 0x0
	s_barrier_signal -1
	s_barrier_wait -1
	v_cmpx_lt_i32_e32 18, v72
	s_cbranch_execz .LBB56_398
; %bb.397:
	v_pk_mul_f32 v[66:67], v[64:65], v[48:49] op_sel:[1,1] op_sel_hi:[0,1]
	s_delay_alu instid0(VALU_DEP_1)
	v_pk_fma_f32 v[74:75], v[64:65], v[48:49], v[66:67] op_sel_hi:[1,0,1] neg_lo:[0,0,1] neg_hi:[0,0,1]
	v_pk_fma_f32 v[76:77], v[64:65], v[48:49], v[66:67] op_sel_hi:[1,0,1]
	ds_load_2addr_b64 v[64:67], v68 offset0:19 offset1:20
	v_dual_mov_b32 v48, v74 :: v_dual_mov_b32 v49, v77
	s_wait_dscnt 0x0
	v_pk_mul_f32 v[78:79], v[64:65], v[76:77] op_sel:[0,1]
	s_delay_alu instid0(VALU_DEP_1) | instskip(SKIP_1) | instid1(VALU_DEP_1)
	v_pk_fma_f32 v[80:81], v[64:65], v[74:75], v[78:79] op_sel:[0,0,1] op_sel_hi:[1,1,0] neg_lo:[0,0,1] neg_hi:[0,0,1]
	v_pk_fma_f32 v[64:65], v[64:65], v[74:75], v[78:79] op_sel:[0,0,1] op_sel_hi:[1,0,0]
	v_mov_b32_e32 v81, v65
	v_pk_mul_f32 v[64:65], v[66:67], v[76:77] op_sel:[0,1]
	s_delay_alu instid0(VALU_DEP_1) | instskip(SKIP_1) | instid1(VALU_DEP_1)
	v_pk_fma_f32 v[78:79], v[66:67], v[74:75], v[64:65] op_sel:[0,0,1] op_sel_hi:[1,1,0] neg_lo:[0,0,1] neg_hi:[0,0,1]
	v_pk_fma_f32 v[64:65], v[66:67], v[74:75], v[64:65] op_sel:[0,0,1] op_sel_hi:[1,0,0]
	v_mov_b32_e32 v79, v65
	ds_load_2addr_b64 v[64:67], v68 offset0:21 offset1:22
	v_pk_add_f32 v[44:45], v[44:45], v[80:81] neg_lo:[0,1] neg_hi:[0,1]
	v_pk_add_f32 v[38:39], v[38:39], v[78:79] neg_lo:[0,1] neg_hi:[0,1]
	s_wait_dscnt 0x0
	v_pk_mul_f32 v[78:79], v[64:65], v[76:77] op_sel:[0,1]
	s_delay_alu instid0(VALU_DEP_1) | instskip(SKIP_2) | instid1(VALU_DEP_2)
	v_pk_fma_f32 v[80:81], v[64:65], v[74:75], v[78:79] op_sel:[0,0,1] op_sel_hi:[1,1,0] neg_lo:[0,0,1] neg_hi:[0,0,1]
	v_pk_fma_f32 v[64:65], v[64:65], v[74:75], v[78:79] op_sel:[0,0,1] op_sel_hi:[1,0,0]
	v_dual_mul_f32 v78, v67, v77 :: v_dual_mov_b32 v64, v67
	v_dual_mov_b32 v81, v65 :: v_dual_mov_b32 v65, v66
	s_delay_alu instid0(VALU_DEP_2) | instskip(SKIP_1) | instid1(VALU_DEP_3)
	v_pk_fma_f32 v[78:79], v[66:67], v[48:49], v[78:79] op_sel_hi:[1,1,0] neg_lo:[0,0,1] neg_hi:[0,0,1]
	v_mul_f32_e32 v66, v67, v74
	v_pk_add_f32 v[34:35], v[34:35], v[80:81] neg_lo:[0,1] neg_hi:[0,1]
	s_delay_alu instid0(VALU_DEP_2) | instskip(NEXT) | instid1(VALU_DEP_1)
	v_pk_fma_f32 v[64:65], v[64:65], v[48:49], v[66:67] op_sel_hi:[1,1,0]
	v_mov_b32_e32 v79, v65
	ds_load_2addr_b64 v[64:67], v68 offset0:23 offset1:24
	v_pk_add_f32 v[36:37], v[36:37], v[78:79] neg_lo:[0,1] neg_hi:[0,1]
	s_wait_dscnt 0x0
	v_pk_mul_f32 v[78:79], v[64:65], v[76:77] op_sel:[0,1]
	s_delay_alu instid0(VALU_DEP_1) | instskip(SKIP_1) | instid1(VALU_DEP_1)
	v_pk_fma_f32 v[80:81], v[64:65], v[74:75], v[78:79] op_sel:[0,0,1] op_sel_hi:[1,1,0] neg_lo:[0,0,1] neg_hi:[0,0,1]
	v_pk_fma_f32 v[64:65], v[64:65], v[74:75], v[78:79] op_sel:[0,0,1] op_sel_hi:[1,0,0]
	v_mov_b32_e32 v81, v65
	v_pk_mul_f32 v[64:65], v[66:67], v[76:77] op_sel:[0,1]
	s_delay_alu instid0(VALU_DEP_1) | instskip(SKIP_1) | instid1(VALU_DEP_1)
	v_pk_fma_f32 v[78:79], v[66:67], v[74:75], v[64:65] op_sel:[0,0,1] op_sel_hi:[1,1,0] neg_lo:[0,0,1] neg_hi:[0,0,1]
	v_pk_fma_f32 v[64:65], v[66:67], v[74:75], v[64:65] op_sel:[0,0,1] op_sel_hi:[1,0,0]
	v_mov_b32_e32 v79, v65
	ds_load_2addr_b64 v[64:67], v68 offset0:25 offset1:26
	v_pk_add_f32 v[32:33], v[32:33], v[80:81] neg_lo:[0,1] neg_hi:[0,1]
	v_pk_add_f32 v[6:7], v[6:7], v[78:79] neg_lo:[0,1] neg_hi:[0,1]
	s_wait_dscnt 0x0
	v_pk_mul_f32 v[78:79], v[64:65], v[76:77] op_sel:[0,1]
	s_delay_alu instid0(VALU_DEP_1) | instskip(SKIP_1) | instid1(VALU_DEP_1)
	v_pk_fma_f32 v[80:81], v[64:65], v[74:75], v[78:79] op_sel:[0,0,1] op_sel_hi:[1,1,0] neg_lo:[0,0,1] neg_hi:[0,0,1]
	v_pk_fma_f32 v[64:65], v[64:65], v[74:75], v[78:79] op_sel:[0,0,1] op_sel_hi:[1,0,0]
	v_mov_b32_e32 v81, v65
	v_pk_mul_f32 v[64:65], v[66:67], v[76:77] op_sel:[0,1]
	s_delay_alu instid0(VALU_DEP_1) | instskip(SKIP_1) | instid1(VALU_DEP_1)
	v_pk_fma_f32 v[78:79], v[66:67], v[74:75], v[64:65] op_sel:[0,0,1] op_sel_hi:[1,1,0] neg_lo:[0,0,1] neg_hi:[0,0,1]
	v_pk_fma_f32 v[64:65], v[66:67], v[74:75], v[64:65] op_sel:[0,0,1] op_sel_hi:[1,0,0]
	v_mov_b32_e32 v79, v65
	ds_load_2addr_b64 v[64:67], v68 offset0:27 offset1:28
	v_pk_add_f32 v[52:53], v[52:53], v[80:81] neg_lo:[0,1] neg_hi:[0,1]
	v_pk_add_f32 v[42:43], v[42:43], v[78:79] neg_lo:[0,1] neg_hi:[0,1]
	s_wait_dscnt 0x0
	v_dual_mul_f32 v78, v65, v77 :: v_dual_mul_f32 v80, v65, v74
	s_delay_alu instid0(VALU_DEP_1) | instskip(NEXT) | instid1(VALU_DEP_2)
	v_pk_fma_f32 v[78:79], v[64:65], v[48:49], v[78:79] op_sel_hi:[1,1,0] neg_lo:[0,0,1] neg_hi:[0,0,1]
	v_pk_fma_f32 v[64:65], v[64:65], v[48:49], v[80:81] op_sel:[1,0,0] op_sel_hi:[0,1,0]
	s_delay_alu instid0(VALU_DEP_1) | instskip(SKIP_1) | instid1(VALU_DEP_1)
	v_mov_b32_e32 v79, v65
	v_pk_mul_f32 v[64:65], v[66:67], v[76:77] op_sel:[0,1]
	v_pk_fma_f32 v[76:77], v[66:67], v[74:75], v[64:65] op_sel:[0,0,1] op_sel_hi:[1,1,0] neg_lo:[0,0,1] neg_hi:[0,0,1]
	v_pk_fma_f32 v[64:65], v[66:67], v[74:75], v[64:65] op_sel:[0,0,1] op_sel_hi:[1,0,0]
	s_delay_alu instid0(VALU_DEP_1) | instskip(SKIP_1) | instid1(VALU_DEP_2)
	v_mov_b32_e32 v77, v65
	v_pk_add_f32 v[40:41], v[40:41], v[78:79] neg_lo:[0,1] neg_hi:[0,1]
	v_pk_add_f32 v[62:63], v[62:63], v[76:77] neg_lo:[0,1] neg_hi:[0,1]
.LBB56_398:
	s_or_b32 exec_lo, exec_lo, s0
	v_lshl_add_u32 v64, v72, 3, v68
	s_barrier_signal -1
	s_barrier_wait -1
	ds_store_b64 v64, v[44:45]
	s_wait_dscnt 0x0
	s_barrier_signal -1
	s_barrier_wait -1
	ds_load_b64 v[64:65], v68 offset:152
	v_mov_b32_e32 v66, 19
	s_cmp_lt_i32 s18, 21
	s_cbranch_scc1 .LBB56_401
; %bb.399:
	v_add3_u32 v67, v69, 0, 0xa0
	v_mov_b32_e32 v66, 19
	s_mov_b32 s0, 20
.LBB56_400:                             ; =>This Inner Loop Header: Depth=1
	ds_load_b64 v[74:75], v67
	s_wait_dscnt 0x1
	v_cmp_gt_f32_e32 vcc_lo, 0, v64
	v_cndmask_b32_e64 v76, v64, -v64, vcc_lo
	v_cmp_gt_f32_e32 vcc_lo, 0, v65
	v_cndmask_b32_e64 v78, v65, -v65, vcc_lo
	s_wait_dscnt 0x0
	v_cmp_gt_f32_e32 vcc_lo, 0, v74
	v_cndmask_b32_e64 v77, v74, -v74, vcc_lo
	v_cmp_gt_f32_e32 vcc_lo, 0, v75
	v_cndmask_b32_e64 v79, v75, -v75, vcc_lo
	s_delay_alu instid0(VALU_DEP_1) | instskip(NEXT) | instid1(VALU_DEP_1)
	v_pk_add_f32 v[76:77], v[76:77], v[78:79]
	v_cmp_lt_f32_e32 vcc_lo, v76, v77
	v_dual_cndmask_b32 v64, v64, v74 :: v_dual_add_nc_u32 v67, 8, v67
	v_cndmask_b32_e32 v65, v65, v75, vcc_lo
	v_cndmask_b32_e64 v66, v66, s0, vcc_lo
	s_add_co_i32 s0, s0, 1
	s_delay_alu instid0(SALU_CYCLE_1)
	s_cmp_lg_u32 s18, s0
	s_cbranch_scc1 .LBB56_400
.LBB56_401:
	s_wait_dscnt 0x0
	v_cmp_eq_f32_e32 vcc_lo, 0, v64
	v_cmp_eq_f32_e64 s0, 0, v65
	s_and_b32 s0, vcc_lo, s0
	s_delay_alu instid0(SALU_CYCLE_1) | instskip(NEXT) | instid1(SALU_CYCLE_1)
	s_and_saveexec_b32 s1, s0
	s_xor_b32 s0, exec_lo, s1
; %bb.402:
	v_cmp_ne_u32_e32 vcc_lo, 0, v70
	v_cndmask_b32_e32 v70, 20, v70, vcc_lo
; %bb.403:
	s_and_not1_saveexec_b32 s0, s0
	s_cbranch_execz .LBB56_409
; %bb.404:
	v_cmp_ngt_f32_e64 s1, |v64|, |v65|
	s_and_saveexec_b32 s12, s1
	s_delay_alu instid0(SALU_CYCLE_1)
	s_xor_b32 s1, exec_lo, s12
	s_cbranch_execz .LBB56_406
; %bb.405:
	v_div_scale_f32 v67, null, v65, v65, v64
	v_div_scale_f32 v75, vcc_lo, v64, v65, v64
	s_delay_alu instid0(VALU_DEP_2) | instskip(SKIP_1) | instid1(TRANS32_DEP_1)
	v_rcp_f32_e32 v73, v67
	v_nop
	v_fma_f32 v74, -v67, v73, 1.0
	s_delay_alu instid0(VALU_DEP_1) | instskip(NEXT) | instid1(VALU_DEP_1)
	v_fmac_f32_e32 v73, v74, v73
	v_mul_f32_e32 v74, v75, v73
	s_delay_alu instid0(VALU_DEP_1) | instskip(NEXT) | instid1(VALU_DEP_1)
	v_fma_f32 v76, -v67, v74, v75
	v_fmac_f32_e32 v74, v76, v73
	s_delay_alu instid0(VALU_DEP_1) | instskip(NEXT) | instid1(VALU_DEP_1)
	v_fma_f32 v67, -v67, v74, v75
	v_div_fmas_f32 v67, v67, v73, v74
	s_delay_alu instid0(VALU_DEP_1) | instskip(NEXT) | instid1(VALU_DEP_1)
	v_div_fixup_f32 v67, v67, v65, v64
	v_fmac_f32_e32 v65, v64, v67
	s_delay_alu instid0(VALU_DEP_1) | instskip(SKIP_1) | instid1(VALU_DEP_2)
	v_div_scale_f32 v64, null, v65, v65, 1.0
	v_div_scale_f32 v75, vcc_lo, 1.0, v65, 1.0
	v_rcp_f32_e32 v73, v64
	v_nop
	s_delay_alu instid0(TRANS32_DEP_1) | instskip(NEXT) | instid1(VALU_DEP_1)
	v_fma_f32 v74, -v64, v73, 1.0
	v_fmac_f32_e32 v73, v74, v73
	s_delay_alu instid0(VALU_DEP_1) | instskip(NEXT) | instid1(VALU_DEP_1)
	v_mul_f32_e32 v74, v75, v73
	v_fma_f32 v76, -v64, v74, v75
	s_delay_alu instid0(VALU_DEP_1) | instskip(NEXT) | instid1(VALU_DEP_1)
	v_fmac_f32_e32 v74, v76, v73
	v_fma_f32 v64, -v64, v74, v75
	s_delay_alu instid0(VALU_DEP_1) | instskip(NEXT) | instid1(VALU_DEP_1)
	v_div_fmas_f32 v64, v64, v73, v74
	v_div_fixup_f32 v65, v64, v65, 1.0
	s_delay_alu instid0(VALU_DEP_1)
	v_mul_f32_e32 v64, v67, v65
	v_xor_b32_e32 v65, 0x80000000, v65
.LBB56_406:
	s_and_not1_saveexec_b32 s1, s1
	s_cbranch_execz .LBB56_408
; %bb.407:
	s_delay_alu instid0(VALU_DEP_1) | instskip(SKIP_1) | instid1(VALU_DEP_2)
	v_div_scale_f32 v67, null, v64, v64, v65
	v_div_scale_f32 v75, vcc_lo, v65, v64, v65
	v_rcp_f32_e32 v73, v67
	v_nop
	s_delay_alu instid0(TRANS32_DEP_1) | instskip(NEXT) | instid1(VALU_DEP_1)
	v_fma_f32 v74, -v67, v73, 1.0
	v_fmac_f32_e32 v73, v74, v73
	s_delay_alu instid0(VALU_DEP_1) | instskip(NEXT) | instid1(VALU_DEP_1)
	v_mul_f32_e32 v74, v75, v73
	v_fma_f32 v76, -v67, v74, v75
	s_delay_alu instid0(VALU_DEP_1) | instskip(NEXT) | instid1(VALU_DEP_1)
	v_fmac_f32_e32 v74, v76, v73
	v_fma_f32 v67, -v67, v74, v75
	s_delay_alu instid0(VALU_DEP_1) | instskip(NEXT) | instid1(VALU_DEP_1)
	v_div_fmas_f32 v67, v67, v73, v74
	v_div_fixup_f32 v67, v67, v64, v65
	s_delay_alu instid0(VALU_DEP_1) | instskip(NEXT) | instid1(VALU_DEP_1)
	v_fmac_f32_e32 v64, v65, v67
	v_div_scale_f32 v65, null, v64, v64, 1.0
	s_delay_alu instid0(VALU_DEP_1) | instskip(SKIP_1) | instid1(TRANS32_DEP_1)
	v_rcp_f32_e32 v73, v65
	v_nop
	v_fma_f32 v74, -v65, v73, 1.0
	s_delay_alu instid0(VALU_DEP_1) | instskip(SKIP_1) | instid1(VALU_DEP_1)
	v_fmac_f32_e32 v73, v74, v73
	v_div_scale_f32 v74, vcc_lo, 1.0, v64, 1.0
	v_mul_f32_e32 v75, v74, v73
	s_delay_alu instid0(VALU_DEP_1) | instskip(NEXT) | instid1(VALU_DEP_1)
	v_fma_f32 v76, -v65, v75, v74
	v_fmac_f32_e32 v75, v76, v73
	s_delay_alu instid0(VALU_DEP_1) | instskip(NEXT) | instid1(VALU_DEP_1)
	v_fma_f32 v65, -v65, v75, v74
	v_div_fmas_f32 v65, v65, v73, v75
	s_delay_alu instid0(VALU_DEP_1) | instskip(NEXT) | instid1(VALU_DEP_1)
	v_div_fixup_f32 v64, v65, v64, 1.0
	v_mul_f32_e64 v65, v67, -v64
.LBB56_408:
	s_or_b32 exec_lo, exec_lo, s1
.LBB56_409:
	s_delay_alu instid0(SALU_CYCLE_1) | instskip(NEXT) | instid1(SALU_CYCLE_1)
	s_or_b32 exec_lo, exec_lo, s0
	s_mov_b32 s0, exec_lo
	v_cmpx_ne_u32_e64 v72, v66
	s_xor_b32 s0, exec_lo, s0
	s_cbranch_execz .LBB56_415
; %bb.410:
	s_mov_b32 s1, exec_lo
	v_cmpx_eq_u32_e32 19, v72
	s_cbranch_execz .LBB56_414
; %bb.411:
	v_cmp_ne_u32_e32 vcc_lo, 19, v66
	s_xor_b32 s12, s16, -1
	s_delay_alu instid0(SALU_CYCLE_1) | instskip(NEXT) | instid1(SALU_CYCLE_1)
	s_and_b32 s13, s12, vcc_lo
	s_and_saveexec_b32 s12, s13
	s_cbranch_execz .LBB56_413
; %bb.412:
	v_ashrrev_i32_e32 v67, 31, v66
	s_delay_alu instid0(VALU_DEP_1)
	v_lshl_add_u64 v[72:73], v[66:67], 2, v[4:5]
	s_clause 0x1
	global_load_b32 v67, v[72:73], off
	global_load_b32 v71, v[4:5], off offset:76
	s_wait_loadcnt 0x1
	global_store_b32 v[4:5], v67, off offset:76
	s_wait_loadcnt 0x0
	global_store_b32 v[72:73], v71, off
.LBB56_413:
	s_wait_xcnt 0x0
	s_or_b32 exec_lo, exec_lo, s12
	v_dual_mov_b32 v72, v66 :: v_dual_mov_b32 v71, v66
.LBB56_414:
	s_or_b32 exec_lo, exec_lo, s1
.LBB56_415:
	s_and_not1_saveexec_b32 s0, s0
	s_cbranch_execz .LBB56_417
; %bb.416:
	v_dual_mov_b32 v66, v38 :: v_dual_mov_b32 v67, v39
	v_dual_mov_b32 v74, v34 :: v_dual_mov_b32 v75, v35
	;; [unrolled: 1-line block ×8, first 2 shown]
	v_mov_b32_e32 v87, v41
	ds_store_2addr_b64 v68, v[66:67], v[74:75] offset0:20 offset1:21
	ds_store_2addr_b64 v68, v[76:77], v[78:79] offset0:22 offset1:23
	;; [unrolled: 1-line block ×4, first 2 shown]
	ds_store_b64 v68, v[62:63] offset:224
.LBB56_417:
	s_or_b32 exec_lo, exec_lo, s0
	s_delay_alu instid0(SALU_CYCLE_1)
	s_mov_b32 s0, exec_lo
	s_wait_storecnt_dscnt 0x0
	s_barrier_signal -1
	s_barrier_wait -1
	v_cmpx_lt_i32_e32 19, v72
	s_cbranch_execz .LBB56_419
; %bb.418:
	v_pk_mul_f32 v[66:67], v[64:65], v[44:45] op_sel:[1,1] op_sel_hi:[0,1]
	s_delay_alu instid0(VALU_DEP_1)
	v_pk_fma_f32 v[74:75], v[64:65], v[44:45], v[66:67] op_sel_hi:[1,0,1] neg_lo:[0,0,1] neg_hi:[0,0,1]
	v_pk_fma_f32 v[76:77], v[64:65], v[44:45], v[66:67] op_sel_hi:[1,0,1]
	ds_load_2addr_b64 v[64:67], v68 offset0:20 offset1:21
	v_dual_mov_b32 v44, v74 :: v_dual_mov_b32 v45, v77
	s_wait_dscnt 0x0
	v_pk_mul_f32 v[78:79], v[64:65], v[76:77] op_sel:[0,1]
	s_delay_alu instid0(VALU_DEP_1) | instskip(SKIP_1) | instid1(VALU_DEP_1)
	v_pk_fma_f32 v[80:81], v[64:65], v[74:75], v[78:79] op_sel:[0,0,1] op_sel_hi:[1,1,0] neg_lo:[0,0,1] neg_hi:[0,0,1]
	v_pk_fma_f32 v[64:65], v[64:65], v[74:75], v[78:79] op_sel:[0,0,1] op_sel_hi:[1,0,0]
	v_mov_b32_e32 v81, v65
	v_pk_mul_f32 v[64:65], v[66:67], v[76:77] op_sel:[0,1]
	s_delay_alu instid0(VALU_DEP_1) | instskip(SKIP_1) | instid1(VALU_DEP_1)
	v_pk_fma_f32 v[78:79], v[66:67], v[74:75], v[64:65] op_sel:[0,0,1] op_sel_hi:[1,1,0] neg_lo:[0,0,1] neg_hi:[0,0,1]
	v_pk_fma_f32 v[64:65], v[66:67], v[74:75], v[64:65] op_sel:[0,0,1] op_sel_hi:[1,0,0]
	v_mov_b32_e32 v79, v65
	ds_load_2addr_b64 v[64:67], v68 offset0:22 offset1:23
	v_pk_add_f32 v[38:39], v[38:39], v[80:81] neg_lo:[0,1] neg_hi:[0,1]
	v_pk_add_f32 v[34:35], v[34:35], v[78:79] neg_lo:[0,1] neg_hi:[0,1]
	s_wait_dscnt 0x0
	v_pk_mul_f32 v[78:79], v[64:65], v[76:77] op_sel:[0,1]
	s_delay_alu instid0(VALU_DEP_1) | instskip(SKIP_2) | instid1(VALU_DEP_2)
	v_pk_fma_f32 v[80:81], v[64:65], v[74:75], v[78:79] op_sel:[0,0,1] op_sel_hi:[1,1,0] neg_lo:[0,0,1] neg_hi:[0,0,1]
	v_pk_fma_f32 v[64:65], v[64:65], v[74:75], v[78:79] op_sel:[0,0,1] op_sel_hi:[1,0,0]
	v_dual_mul_f32 v78, v67, v77 :: v_dual_mov_b32 v64, v67
	v_dual_mov_b32 v81, v65 :: v_dual_mov_b32 v65, v66
	s_delay_alu instid0(VALU_DEP_2) | instskip(SKIP_1) | instid1(VALU_DEP_3)
	v_pk_fma_f32 v[78:79], v[66:67], v[44:45], v[78:79] op_sel_hi:[1,1,0] neg_lo:[0,0,1] neg_hi:[0,0,1]
	v_mul_f32_e32 v66, v67, v74
	v_pk_add_f32 v[36:37], v[36:37], v[80:81] neg_lo:[0,1] neg_hi:[0,1]
	s_delay_alu instid0(VALU_DEP_2) | instskip(NEXT) | instid1(VALU_DEP_1)
	v_pk_fma_f32 v[64:65], v[64:65], v[44:45], v[66:67] op_sel_hi:[1,1,0]
	v_mov_b32_e32 v79, v65
	ds_load_2addr_b64 v[64:67], v68 offset0:24 offset1:25
	v_pk_add_f32 v[32:33], v[32:33], v[78:79] neg_lo:[0,1] neg_hi:[0,1]
	s_wait_dscnt 0x0
	v_pk_mul_f32 v[78:79], v[64:65], v[76:77] op_sel:[0,1]
	s_delay_alu instid0(VALU_DEP_1) | instskip(SKIP_1) | instid1(VALU_DEP_1)
	v_pk_fma_f32 v[80:81], v[64:65], v[74:75], v[78:79] op_sel:[0,0,1] op_sel_hi:[1,1,0] neg_lo:[0,0,1] neg_hi:[0,0,1]
	v_pk_fma_f32 v[64:65], v[64:65], v[74:75], v[78:79] op_sel:[0,0,1] op_sel_hi:[1,0,0]
	v_mov_b32_e32 v81, v65
	v_pk_mul_f32 v[64:65], v[66:67], v[76:77] op_sel:[0,1]
	s_delay_alu instid0(VALU_DEP_1) | instskip(SKIP_1) | instid1(VALU_DEP_1)
	v_pk_fma_f32 v[78:79], v[66:67], v[74:75], v[64:65] op_sel:[0,0,1] op_sel_hi:[1,1,0] neg_lo:[0,0,1] neg_hi:[0,0,1]
	v_pk_fma_f32 v[64:65], v[66:67], v[74:75], v[64:65] op_sel:[0,0,1] op_sel_hi:[1,0,0]
	v_mov_b32_e32 v79, v65
	ds_load_2addr_b64 v[64:67], v68 offset0:26 offset1:27
	v_pk_add_f32 v[6:7], v[6:7], v[80:81] neg_lo:[0,1] neg_hi:[0,1]
	v_pk_add_f32 v[52:53], v[52:53], v[78:79] neg_lo:[0,1] neg_hi:[0,1]
	s_wait_dscnt 0x0
	v_pk_mul_f32 v[78:79], v[64:65], v[76:77] op_sel:[0,1]
	s_delay_alu instid0(VALU_DEP_1) | instskip(SKIP_1) | instid1(VALU_DEP_1)
	v_pk_fma_f32 v[80:81], v[64:65], v[74:75], v[78:79] op_sel:[0,0,1] op_sel_hi:[1,1,0] neg_lo:[0,0,1] neg_hi:[0,0,1]
	v_pk_fma_f32 v[64:65], v[64:65], v[74:75], v[78:79] op_sel:[0,0,1] op_sel_hi:[1,0,0]
	v_mov_b32_e32 v81, v65
	v_pk_mul_f32 v[64:65], v[66:67], v[76:77] op_sel:[0,1]
	s_delay_alu instid0(VALU_DEP_1) | instskip(SKIP_1) | instid1(VALU_DEP_1)
	v_pk_fma_f32 v[78:79], v[66:67], v[74:75], v[64:65] op_sel:[0,0,1] op_sel_hi:[1,1,0] neg_lo:[0,0,1] neg_hi:[0,0,1]
	v_pk_fma_f32 v[64:65], v[66:67], v[74:75], v[64:65] op_sel:[0,0,1] op_sel_hi:[1,0,0]
	v_mov_b32_e32 v79, v65
	ds_load_b64 v[64:65], v68 offset:224
	v_pk_add_f32 v[42:43], v[42:43], v[80:81] neg_lo:[0,1] neg_hi:[0,1]
	v_pk_add_f32 v[40:41], v[40:41], v[78:79] neg_lo:[0,1] neg_hi:[0,1]
	s_wait_dscnt 0x0
	v_pk_mul_f32 v[66:67], v[64:65], v[76:77] op_sel:[0,1]
	s_delay_alu instid0(VALU_DEP_1) | instskip(SKIP_1) | instid1(VALU_DEP_1)
	v_pk_fma_f32 v[76:77], v[64:65], v[74:75], v[66:67] op_sel:[0,0,1] op_sel_hi:[1,1,0] neg_lo:[0,0,1] neg_hi:[0,0,1]
	v_pk_fma_f32 v[64:65], v[64:65], v[74:75], v[66:67] op_sel:[0,0,1] op_sel_hi:[1,0,0]
	v_mov_b32_e32 v77, v65
	s_delay_alu instid0(VALU_DEP_1)
	v_pk_add_f32 v[62:63], v[62:63], v[76:77] neg_lo:[0,1] neg_hi:[0,1]
.LBB56_419:
	s_or_b32 exec_lo, exec_lo, s0
	v_lshl_add_u32 v64, v72, 3, v68
	s_barrier_signal -1
	s_barrier_wait -1
	ds_store_b64 v64, v[38:39]
	s_wait_dscnt 0x0
	s_barrier_signal -1
	s_barrier_wait -1
	ds_load_b64 v[64:65], v68 offset:160
	v_mov_b32_e32 v66, 20
	s_cmp_lt_i32 s18, 22
	s_cbranch_scc1 .LBB56_422
; %bb.420:
	v_add3_u32 v67, v69, 0, 0xa8
	v_mov_b32_e32 v66, 20
	s_mov_b32 s0, 21
.LBB56_421:                             ; =>This Inner Loop Header: Depth=1
	ds_load_b64 v[74:75], v67
	s_wait_dscnt 0x1
	v_cmp_gt_f32_e32 vcc_lo, 0, v64
	v_cndmask_b32_e64 v76, v64, -v64, vcc_lo
	v_cmp_gt_f32_e32 vcc_lo, 0, v65
	v_cndmask_b32_e64 v78, v65, -v65, vcc_lo
	s_wait_dscnt 0x0
	v_cmp_gt_f32_e32 vcc_lo, 0, v74
	v_cndmask_b32_e64 v77, v74, -v74, vcc_lo
	v_cmp_gt_f32_e32 vcc_lo, 0, v75
	v_cndmask_b32_e64 v79, v75, -v75, vcc_lo
	s_delay_alu instid0(VALU_DEP_1) | instskip(NEXT) | instid1(VALU_DEP_1)
	v_pk_add_f32 v[76:77], v[76:77], v[78:79]
	v_cmp_lt_f32_e32 vcc_lo, v76, v77
	v_dual_cndmask_b32 v64, v64, v74 :: v_dual_add_nc_u32 v67, 8, v67
	v_cndmask_b32_e32 v65, v65, v75, vcc_lo
	v_cndmask_b32_e64 v66, v66, s0, vcc_lo
	s_add_co_i32 s0, s0, 1
	s_delay_alu instid0(SALU_CYCLE_1)
	s_cmp_lg_u32 s18, s0
	s_cbranch_scc1 .LBB56_421
.LBB56_422:
	s_wait_dscnt 0x0
	v_cmp_eq_f32_e32 vcc_lo, 0, v64
	v_cmp_eq_f32_e64 s0, 0, v65
	s_and_b32 s0, vcc_lo, s0
	s_delay_alu instid0(SALU_CYCLE_1) | instskip(NEXT) | instid1(SALU_CYCLE_1)
	s_and_saveexec_b32 s1, s0
	s_xor_b32 s0, exec_lo, s1
; %bb.423:
	v_cmp_ne_u32_e32 vcc_lo, 0, v70
	v_cndmask_b32_e32 v70, 21, v70, vcc_lo
; %bb.424:
	s_and_not1_saveexec_b32 s0, s0
	s_cbranch_execz .LBB56_430
; %bb.425:
	v_cmp_ngt_f32_e64 s1, |v64|, |v65|
	s_and_saveexec_b32 s12, s1
	s_delay_alu instid0(SALU_CYCLE_1)
	s_xor_b32 s1, exec_lo, s12
	s_cbranch_execz .LBB56_427
; %bb.426:
	v_div_scale_f32 v67, null, v65, v65, v64
	v_div_scale_f32 v75, vcc_lo, v64, v65, v64
	s_delay_alu instid0(VALU_DEP_2) | instskip(SKIP_1) | instid1(TRANS32_DEP_1)
	v_rcp_f32_e32 v73, v67
	v_nop
	v_fma_f32 v74, -v67, v73, 1.0
	s_delay_alu instid0(VALU_DEP_1) | instskip(NEXT) | instid1(VALU_DEP_1)
	v_fmac_f32_e32 v73, v74, v73
	v_mul_f32_e32 v74, v75, v73
	s_delay_alu instid0(VALU_DEP_1) | instskip(NEXT) | instid1(VALU_DEP_1)
	v_fma_f32 v76, -v67, v74, v75
	v_fmac_f32_e32 v74, v76, v73
	s_delay_alu instid0(VALU_DEP_1) | instskip(NEXT) | instid1(VALU_DEP_1)
	v_fma_f32 v67, -v67, v74, v75
	v_div_fmas_f32 v67, v67, v73, v74
	s_delay_alu instid0(VALU_DEP_1) | instskip(NEXT) | instid1(VALU_DEP_1)
	v_div_fixup_f32 v67, v67, v65, v64
	v_fmac_f32_e32 v65, v64, v67
	s_delay_alu instid0(VALU_DEP_1) | instskip(SKIP_1) | instid1(VALU_DEP_2)
	v_div_scale_f32 v64, null, v65, v65, 1.0
	v_div_scale_f32 v75, vcc_lo, 1.0, v65, 1.0
	v_rcp_f32_e32 v73, v64
	v_nop
	s_delay_alu instid0(TRANS32_DEP_1) | instskip(NEXT) | instid1(VALU_DEP_1)
	v_fma_f32 v74, -v64, v73, 1.0
	v_fmac_f32_e32 v73, v74, v73
	s_delay_alu instid0(VALU_DEP_1) | instskip(NEXT) | instid1(VALU_DEP_1)
	v_mul_f32_e32 v74, v75, v73
	v_fma_f32 v76, -v64, v74, v75
	s_delay_alu instid0(VALU_DEP_1) | instskip(NEXT) | instid1(VALU_DEP_1)
	v_fmac_f32_e32 v74, v76, v73
	v_fma_f32 v64, -v64, v74, v75
	s_delay_alu instid0(VALU_DEP_1) | instskip(NEXT) | instid1(VALU_DEP_1)
	v_div_fmas_f32 v64, v64, v73, v74
	v_div_fixup_f32 v65, v64, v65, 1.0
	s_delay_alu instid0(VALU_DEP_1)
	v_mul_f32_e32 v64, v67, v65
	v_xor_b32_e32 v65, 0x80000000, v65
.LBB56_427:
	s_and_not1_saveexec_b32 s1, s1
	s_cbranch_execz .LBB56_429
; %bb.428:
	s_delay_alu instid0(VALU_DEP_1) | instskip(SKIP_1) | instid1(VALU_DEP_2)
	v_div_scale_f32 v67, null, v64, v64, v65
	v_div_scale_f32 v75, vcc_lo, v65, v64, v65
	v_rcp_f32_e32 v73, v67
	v_nop
	s_delay_alu instid0(TRANS32_DEP_1) | instskip(NEXT) | instid1(VALU_DEP_1)
	v_fma_f32 v74, -v67, v73, 1.0
	v_fmac_f32_e32 v73, v74, v73
	s_delay_alu instid0(VALU_DEP_1) | instskip(NEXT) | instid1(VALU_DEP_1)
	v_mul_f32_e32 v74, v75, v73
	v_fma_f32 v76, -v67, v74, v75
	s_delay_alu instid0(VALU_DEP_1) | instskip(NEXT) | instid1(VALU_DEP_1)
	v_fmac_f32_e32 v74, v76, v73
	v_fma_f32 v67, -v67, v74, v75
	s_delay_alu instid0(VALU_DEP_1) | instskip(NEXT) | instid1(VALU_DEP_1)
	v_div_fmas_f32 v67, v67, v73, v74
	v_div_fixup_f32 v67, v67, v64, v65
	s_delay_alu instid0(VALU_DEP_1) | instskip(NEXT) | instid1(VALU_DEP_1)
	v_fmac_f32_e32 v64, v65, v67
	v_div_scale_f32 v65, null, v64, v64, 1.0
	s_delay_alu instid0(VALU_DEP_1) | instskip(SKIP_1) | instid1(TRANS32_DEP_1)
	v_rcp_f32_e32 v73, v65
	v_nop
	v_fma_f32 v74, -v65, v73, 1.0
	s_delay_alu instid0(VALU_DEP_1) | instskip(SKIP_1) | instid1(VALU_DEP_1)
	v_fmac_f32_e32 v73, v74, v73
	v_div_scale_f32 v74, vcc_lo, 1.0, v64, 1.0
	v_mul_f32_e32 v75, v74, v73
	s_delay_alu instid0(VALU_DEP_1) | instskip(NEXT) | instid1(VALU_DEP_1)
	v_fma_f32 v76, -v65, v75, v74
	v_fmac_f32_e32 v75, v76, v73
	s_delay_alu instid0(VALU_DEP_1) | instskip(NEXT) | instid1(VALU_DEP_1)
	v_fma_f32 v65, -v65, v75, v74
	v_div_fmas_f32 v65, v65, v73, v75
	s_delay_alu instid0(VALU_DEP_1) | instskip(NEXT) | instid1(VALU_DEP_1)
	v_div_fixup_f32 v64, v65, v64, 1.0
	v_mul_f32_e64 v65, v67, -v64
.LBB56_429:
	s_or_b32 exec_lo, exec_lo, s1
.LBB56_430:
	s_delay_alu instid0(SALU_CYCLE_1) | instskip(NEXT) | instid1(SALU_CYCLE_1)
	s_or_b32 exec_lo, exec_lo, s0
	s_mov_b32 s0, exec_lo
	v_cmpx_ne_u32_e64 v72, v66
	s_xor_b32 s0, exec_lo, s0
	s_cbranch_execz .LBB56_436
; %bb.431:
	s_mov_b32 s1, exec_lo
	v_cmpx_eq_u32_e32 20, v72
	s_cbranch_execz .LBB56_435
; %bb.432:
	v_cmp_ne_u32_e32 vcc_lo, 20, v66
	s_xor_b32 s12, s16, -1
	s_delay_alu instid0(SALU_CYCLE_1) | instskip(NEXT) | instid1(SALU_CYCLE_1)
	s_and_b32 s13, s12, vcc_lo
	s_and_saveexec_b32 s12, s13
	s_cbranch_execz .LBB56_434
; %bb.433:
	v_ashrrev_i32_e32 v67, 31, v66
	s_delay_alu instid0(VALU_DEP_1)
	v_lshl_add_u64 v[72:73], v[66:67], 2, v[4:5]
	s_clause 0x1
	global_load_b32 v67, v[72:73], off
	global_load_b32 v71, v[4:5], off offset:80
	s_wait_loadcnt 0x1
	global_store_b32 v[4:5], v67, off offset:80
	s_wait_loadcnt 0x0
	global_store_b32 v[72:73], v71, off
.LBB56_434:
	s_wait_xcnt 0x0
	s_or_b32 exec_lo, exec_lo, s12
	v_dual_mov_b32 v72, v66 :: v_dual_mov_b32 v71, v66
.LBB56_435:
	s_or_b32 exec_lo, exec_lo, s1
.LBB56_436:
	s_and_not1_saveexec_b32 s0, s0
	s_cbranch_execz .LBB56_438
; %bb.437:
	v_mov_b32_e32 v72, 20
	ds_store_2addr_b64 v68, v[34:35], v[36:37] offset0:21 offset1:22
	ds_store_2addr_b64 v68, v[32:33], v[6:7] offset0:23 offset1:24
	;; [unrolled: 1-line block ×4, first 2 shown]
.LBB56_438:
	s_or_b32 exec_lo, exec_lo, s0
	s_delay_alu instid0(SALU_CYCLE_1)
	s_mov_b32 s0, exec_lo
	s_wait_storecnt_dscnt 0x0
	s_barrier_signal -1
	s_barrier_wait -1
	v_cmpx_lt_i32_e32 20, v72
	s_cbranch_execz .LBB56_440
; %bb.439:
	v_pk_mul_f32 v[66:67], v[64:65], v[38:39] op_sel:[1,1] op_sel_hi:[0,1]
	s_delay_alu instid0(VALU_DEP_1)
	v_pk_fma_f32 v[74:75], v[64:65], v[38:39], v[66:67] op_sel_hi:[1,0,1] neg_lo:[0,0,1] neg_hi:[0,0,1]
	v_pk_fma_f32 v[76:77], v[64:65], v[38:39], v[66:67] op_sel_hi:[1,0,1]
	ds_load_2addr_b64 v[64:67], v68 offset0:21 offset1:22
	v_dual_mov_b32 v38, v74 :: v_dual_mov_b32 v39, v77
	s_wait_dscnt 0x0
	v_pk_mul_f32 v[78:79], v[64:65], v[76:77] op_sel:[0,1]
	s_delay_alu instid0(VALU_DEP_1) | instskip(SKIP_1) | instid1(VALU_DEP_1)
	v_pk_fma_f32 v[80:81], v[64:65], v[74:75], v[78:79] op_sel:[0,0,1] op_sel_hi:[1,1,0] neg_lo:[0,0,1] neg_hi:[0,0,1]
	v_pk_fma_f32 v[64:65], v[64:65], v[74:75], v[78:79] op_sel:[0,0,1] op_sel_hi:[1,0,0]
	v_mov_b32_e32 v81, v65
	v_pk_mul_f32 v[64:65], v[66:67], v[76:77] op_sel:[0,1]
	s_delay_alu instid0(VALU_DEP_1) | instskip(SKIP_1) | instid1(VALU_DEP_1)
	v_pk_fma_f32 v[78:79], v[66:67], v[74:75], v[64:65] op_sel:[0,0,1] op_sel_hi:[1,1,0] neg_lo:[0,0,1] neg_hi:[0,0,1]
	v_pk_fma_f32 v[64:65], v[66:67], v[74:75], v[64:65] op_sel:[0,0,1] op_sel_hi:[1,0,0]
	v_mov_b32_e32 v79, v65
	ds_load_2addr_b64 v[64:67], v68 offset0:23 offset1:24
	v_pk_add_f32 v[34:35], v[34:35], v[80:81] neg_lo:[0,1] neg_hi:[0,1]
	v_pk_add_f32 v[36:37], v[36:37], v[78:79] neg_lo:[0,1] neg_hi:[0,1]
	s_wait_dscnt 0x0
	v_pk_mul_f32 v[78:79], v[64:65], v[76:77] op_sel:[0,1]
	s_delay_alu instid0(VALU_DEP_1) | instskip(SKIP_2) | instid1(VALU_DEP_2)
	v_pk_fma_f32 v[80:81], v[64:65], v[74:75], v[78:79] op_sel:[0,0,1] op_sel_hi:[1,1,0] neg_lo:[0,0,1] neg_hi:[0,0,1]
	v_pk_fma_f32 v[64:65], v[64:65], v[74:75], v[78:79] op_sel:[0,0,1] op_sel_hi:[1,0,0]
	v_dual_mul_f32 v78, v67, v77 :: v_dual_mov_b32 v64, v67
	v_dual_mov_b32 v81, v65 :: v_dual_mov_b32 v65, v66
	s_delay_alu instid0(VALU_DEP_2) | instskip(SKIP_1) | instid1(VALU_DEP_3)
	v_pk_fma_f32 v[78:79], v[66:67], v[38:39], v[78:79] op_sel_hi:[1,1,0] neg_lo:[0,0,1] neg_hi:[0,0,1]
	v_mul_f32_e32 v66, v67, v74
	v_pk_add_f32 v[32:33], v[32:33], v[80:81] neg_lo:[0,1] neg_hi:[0,1]
	s_delay_alu instid0(VALU_DEP_2) | instskip(NEXT) | instid1(VALU_DEP_1)
	v_pk_fma_f32 v[64:65], v[64:65], v[38:39], v[66:67] op_sel_hi:[1,1,0]
	v_mov_b32_e32 v79, v65
	ds_load_2addr_b64 v[64:67], v68 offset0:25 offset1:26
	v_pk_add_f32 v[6:7], v[6:7], v[78:79] neg_lo:[0,1] neg_hi:[0,1]
	s_wait_dscnt 0x0
	v_pk_mul_f32 v[78:79], v[64:65], v[76:77] op_sel:[0,1]
	s_delay_alu instid0(VALU_DEP_1) | instskip(SKIP_1) | instid1(VALU_DEP_1)
	v_pk_fma_f32 v[80:81], v[64:65], v[74:75], v[78:79] op_sel:[0,0,1] op_sel_hi:[1,1,0] neg_lo:[0,0,1] neg_hi:[0,0,1]
	v_pk_fma_f32 v[64:65], v[64:65], v[74:75], v[78:79] op_sel:[0,0,1] op_sel_hi:[1,0,0]
	v_mov_b32_e32 v81, v65
	v_pk_mul_f32 v[64:65], v[66:67], v[76:77] op_sel:[0,1]
	s_delay_alu instid0(VALU_DEP_1) | instskip(SKIP_1) | instid1(VALU_DEP_1)
	v_pk_fma_f32 v[78:79], v[66:67], v[74:75], v[64:65] op_sel:[0,0,1] op_sel_hi:[1,1,0] neg_lo:[0,0,1] neg_hi:[0,0,1]
	v_pk_fma_f32 v[64:65], v[66:67], v[74:75], v[64:65] op_sel:[0,0,1] op_sel_hi:[1,0,0]
	v_mov_b32_e32 v79, v65
	ds_load_2addr_b64 v[64:67], v68 offset0:27 offset1:28
	v_pk_add_f32 v[52:53], v[52:53], v[80:81] neg_lo:[0,1] neg_hi:[0,1]
	v_pk_add_f32 v[42:43], v[42:43], v[78:79] neg_lo:[0,1] neg_hi:[0,1]
	s_wait_dscnt 0x0
	v_pk_mul_f32 v[78:79], v[64:65], v[76:77] op_sel:[0,1]
	s_delay_alu instid0(VALU_DEP_1) | instskip(SKIP_1) | instid1(VALU_DEP_1)
	v_pk_fma_f32 v[80:81], v[64:65], v[74:75], v[78:79] op_sel:[0,0,1] op_sel_hi:[1,1,0] neg_lo:[0,0,1] neg_hi:[0,0,1]
	v_pk_fma_f32 v[64:65], v[64:65], v[74:75], v[78:79] op_sel:[0,0,1] op_sel_hi:[1,0,0]
	v_mov_b32_e32 v81, v65
	v_pk_mul_f32 v[64:65], v[66:67], v[76:77] op_sel:[0,1]
	s_delay_alu instid0(VALU_DEP_1) | instskip(SKIP_1) | instid1(VALU_DEP_1)
	v_pk_fma_f32 v[76:77], v[66:67], v[74:75], v[64:65] op_sel:[0,0,1] op_sel_hi:[1,1,0] neg_lo:[0,0,1] neg_hi:[0,0,1]
	v_pk_fma_f32 v[64:65], v[66:67], v[74:75], v[64:65] op_sel:[0,0,1] op_sel_hi:[1,0,0]
	v_mov_b32_e32 v77, v65
	v_pk_add_f32 v[40:41], v[40:41], v[80:81] neg_lo:[0,1] neg_hi:[0,1]
	s_delay_alu instid0(VALU_DEP_2)
	v_pk_add_f32 v[62:63], v[62:63], v[76:77] neg_lo:[0,1] neg_hi:[0,1]
.LBB56_440:
	s_or_b32 exec_lo, exec_lo, s0
	v_lshl_add_u32 v64, v72, 3, v68
	s_barrier_signal -1
	s_barrier_wait -1
	ds_store_b64 v64, v[34:35]
	s_wait_dscnt 0x0
	s_barrier_signal -1
	s_barrier_wait -1
	ds_load_b64 v[64:65], v68 offset:168
	v_mov_b32_e32 v66, 21
	s_cmp_lt_i32 s18, 23
	s_cbranch_scc1 .LBB56_443
; %bb.441:
	v_add3_u32 v67, v69, 0, 0xb0
	v_mov_b32_e32 v66, 21
	s_mov_b32 s0, 22
.LBB56_442:                             ; =>This Inner Loop Header: Depth=1
	ds_load_b64 v[74:75], v67
	s_wait_dscnt 0x1
	v_cmp_gt_f32_e32 vcc_lo, 0, v64
	v_cndmask_b32_e64 v76, v64, -v64, vcc_lo
	v_cmp_gt_f32_e32 vcc_lo, 0, v65
	v_cndmask_b32_e64 v78, v65, -v65, vcc_lo
	s_wait_dscnt 0x0
	v_cmp_gt_f32_e32 vcc_lo, 0, v74
	v_cndmask_b32_e64 v77, v74, -v74, vcc_lo
	v_cmp_gt_f32_e32 vcc_lo, 0, v75
	v_cndmask_b32_e64 v79, v75, -v75, vcc_lo
	s_delay_alu instid0(VALU_DEP_1) | instskip(NEXT) | instid1(VALU_DEP_1)
	v_pk_add_f32 v[76:77], v[76:77], v[78:79]
	v_cmp_lt_f32_e32 vcc_lo, v76, v77
	v_dual_cndmask_b32 v64, v64, v74 :: v_dual_add_nc_u32 v67, 8, v67
	v_cndmask_b32_e32 v65, v65, v75, vcc_lo
	v_cndmask_b32_e64 v66, v66, s0, vcc_lo
	s_add_co_i32 s0, s0, 1
	s_delay_alu instid0(SALU_CYCLE_1)
	s_cmp_lg_u32 s18, s0
	s_cbranch_scc1 .LBB56_442
.LBB56_443:
	s_wait_dscnt 0x0
	v_cmp_eq_f32_e32 vcc_lo, 0, v64
	v_cmp_eq_f32_e64 s0, 0, v65
	s_and_b32 s0, vcc_lo, s0
	s_delay_alu instid0(SALU_CYCLE_1) | instskip(NEXT) | instid1(SALU_CYCLE_1)
	s_and_saveexec_b32 s1, s0
	s_xor_b32 s0, exec_lo, s1
; %bb.444:
	v_cmp_ne_u32_e32 vcc_lo, 0, v70
	v_cndmask_b32_e32 v70, 22, v70, vcc_lo
; %bb.445:
	s_and_not1_saveexec_b32 s0, s0
	s_cbranch_execz .LBB56_451
; %bb.446:
	v_cmp_ngt_f32_e64 s1, |v64|, |v65|
	s_and_saveexec_b32 s12, s1
	s_delay_alu instid0(SALU_CYCLE_1)
	s_xor_b32 s1, exec_lo, s12
	s_cbranch_execz .LBB56_448
; %bb.447:
	v_div_scale_f32 v67, null, v65, v65, v64
	v_div_scale_f32 v75, vcc_lo, v64, v65, v64
	s_delay_alu instid0(VALU_DEP_2) | instskip(SKIP_1) | instid1(TRANS32_DEP_1)
	v_rcp_f32_e32 v73, v67
	v_nop
	v_fma_f32 v74, -v67, v73, 1.0
	s_delay_alu instid0(VALU_DEP_1) | instskip(NEXT) | instid1(VALU_DEP_1)
	v_fmac_f32_e32 v73, v74, v73
	v_mul_f32_e32 v74, v75, v73
	s_delay_alu instid0(VALU_DEP_1) | instskip(NEXT) | instid1(VALU_DEP_1)
	v_fma_f32 v76, -v67, v74, v75
	v_fmac_f32_e32 v74, v76, v73
	s_delay_alu instid0(VALU_DEP_1) | instskip(NEXT) | instid1(VALU_DEP_1)
	v_fma_f32 v67, -v67, v74, v75
	v_div_fmas_f32 v67, v67, v73, v74
	s_delay_alu instid0(VALU_DEP_1) | instskip(NEXT) | instid1(VALU_DEP_1)
	v_div_fixup_f32 v67, v67, v65, v64
	v_fmac_f32_e32 v65, v64, v67
	s_delay_alu instid0(VALU_DEP_1) | instskip(SKIP_1) | instid1(VALU_DEP_2)
	v_div_scale_f32 v64, null, v65, v65, 1.0
	v_div_scale_f32 v75, vcc_lo, 1.0, v65, 1.0
	v_rcp_f32_e32 v73, v64
	v_nop
	s_delay_alu instid0(TRANS32_DEP_1) | instskip(NEXT) | instid1(VALU_DEP_1)
	v_fma_f32 v74, -v64, v73, 1.0
	v_fmac_f32_e32 v73, v74, v73
	s_delay_alu instid0(VALU_DEP_1) | instskip(NEXT) | instid1(VALU_DEP_1)
	v_mul_f32_e32 v74, v75, v73
	v_fma_f32 v76, -v64, v74, v75
	s_delay_alu instid0(VALU_DEP_1) | instskip(NEXT) | instid1(VALU_DEP_1)
	v_fmac_f32_e32 v74, v76, v73
	v_fma_f32 v64, -v64, v74, v75
	s_delay_alu instid0(VALU_DEP_1) | instskip(NEXT) | instid1(VALU_DEP_1)
	v_div_fmas_f32 v64, v64, v73, v74
	v_div_fixup_f32 v65, v64, v65, 1.0
	s_delay_alu instid0(VALU_DEP_1)
	v_mul_f32_e32 v64, v67, v65
	v_xor_b32_e32 v65, 0x80000000, v65
.LBB56_448:
	s_and_not1_saveexec_b32 s1, s1
	s_cbranch_execz .LBB56_450
; %bb.449:
	s_delay_alu instid0(VALU_DEP_1) | instskip(SKIP_1) | instid1(VALU_DEP_2)
	v_div_scale_f32 v67, null, v64, v64, v65
	v_div_scale_f32 v75, vcc_lo, v65, v64, v65
	v_rcp_f32_e32 v73, v67
	v_nop
	s_delay_alu instid0(TRANS32_DEP_1) | instskip(NEXT) | instid1(VALU_DEP_1)
	v_fma_f32 v74, -v67, v73, 1.0
	v_fmac_f32_e32 v73, v74, v73
	s_delay_alu instid0(VALU_DEP_1) | instskip(NEXT) | instid1(VALU_DEP_1)
	v_mul_f32_e32 v74, v75, v73
	v_fma_f32 v76, -v67, v74, v75
	s_delay_alu instid0(VALU_DEP_1) | instskip(NEXT) | instid1(VALU_DEP_1)
	v_fmac_f32_e32 v74, v76, v73
	v_fma_f32 v67, -v67, v74, v75
	s_delay_alu instid0(VALU_DEP_1) | instskip(NEXT) | instid1(VALU_DEP_1)
	v_div_fmas_f32 v67, v67, v73, v74
	v_div_fixup_f32 v67, v67, v64, v65
	s_delay_alu instid0(VALU_DEP_1) | instskip(NEXT) | instid1(VALU_DEP_1)
	v_fmac_f32_e32 v64, v65, v67
	v_div_scale_f32 v65, null, v64, v64, 1.0
	s_delay_alu instid0(VALU_DEP_1) | instskip(SKIP_1) | instid1(TRANS32_DEP_1)
	v_rcp_f32_e32 v73, v65
	v_nop
	v_fma_f32 v74, -v65, v73, 1.0
	s_delay_alu instid0(VALU_DEP_1) | instskip(SKIP_1) | instid1(VALU_DEP_1)
	v_fmac_f32_e32 v73, v74, v73
	v_div_scale_f32 v74, vcc_lo, 1.0, v64, 1.0
	v_mul_f32_e32 v75, v74, v73
	s_delay_alu instid0(VALU_DEP_1) | instskip(NEXT) | instid1(VALU_DEP_1)
	v_fma_f32 v76, -v65, v75, v74
	v_fmac_f32_e32 v75, v76, v73
	s_delay_alu instid0(VALU_DEP_1) | instskip(NEXT) | instid1(VALU_DEP_1)
	v_fma_f32 v65, -v65, v75, v74
	v_div_fmas_f32 v65, v65, v73, v75
	s_delay_alu instid0(VALU_DEP_1) | instskip(NEXT) | instid1(VALU_DEP_1)
	v_div_fixup_f32 v64, v65, v64, 1.0
	v_mul_f32_e64 v65, v67, -v64
.LBB56_450:
	s_or_b32 exec_lo, exec_lo, s1
.LBB56_451:
	s_delay_alu instid0(SALU_CYCLE_1) | instskip(NEXT) | instid1(SALU_CYCLE_1)
	s_or_b32 exec_lo, exec_lo, s0
	s_mov_b32 s0, exec_lo
	v_cmpx_ne_u32_e64 v72, v66
	s_xor_b32 s0, exec_lo, s0
	s_cbranch_execz .LBB56_457
; %bb.452:
	s_mov_b32 s1, exec_lo
	v_cmpx_eq_u32_e32 21, v72
	s_cbranch_execz .LBB56_456
; %bb.453:
	v_cmp_ne_u32_e32 vcc_lo, 21, v66
	s_xor_b32 s12, s16, -1
	s_delay_alu instid0(SALU_CYCLE_1) | instskip(NEXT) | instid1(SALU_CYCLE_1)
	s_and_b32 s13, s12, vcc_lo
	s_and_saveexec_b32 s12, s13
	s_cbranch_execz .LBB56_455
; %bb.454:
	v_ashrrev_i32_e32 v67, 31, v66
	s_delay_alu instid0(VALU_DEP_1)
	v_lshl_add_u64 v[72:73], v[66:67], 2, v[4:5]
	s_clause 0x1
	global_load_b32 v67, v[72:73], off
	global_load_b32 v71, v[4:5], off offset:84
	s_wait_loadcnt 0x1
	global_store_b32 v[4:5], v67, off offset:84
	s_wait_loadcnt 0x0
	global_store_b32 v[72:73], v71, off
.LBB56_455:
	s_wait_xcnt 0x0
	s_or_b32 exec_lo, exec_lo, s12
	v_dual_mov_b32 v72, v66 :: v_dual_mov_b32 v71, v66
.LBB56_456:
	s_or_b32 exec_lo, exec_lo, s1
.LBB56_457:
	s_and_not1_saveexec_b32 s0, s0
	s_cbranch_execz .LBB56_459
; %bb.458:
	v_dual_mov_b32 v66, v36 :: v_dual_mov_b32 v67, v37
	v_dual_mov_b32 v74, v32 :: v_dual_mov_b32 v75, v33
	;; [unrolled: 1-line block ×6, first 2 shown]
	v_mov_b32_e32 v83, v41
	ds_store_2addr_b64 v68, v[66:67], v[74:75] offset0:22 offset1:23
	ds_store_2addr_b64 v68, v[76:77], v[78:79] offset0:24 offset1:25
	;; [unrolled: 1-line block ×3, first 2 shown]
	ds_store_b64 v68, v[62:63] offset:224
.LBB56_459:
	s_or_b32 exec_lo, exec_lo, s0
	s_delay_alu instid0(SALU_CYCLE_1)
	s_mov_b32 s0, exec_lo
	s_wait_storecnt_dscnt 0x0
	s_barrier_signal -1
	s_barrier_wait -1
	v_cmpx_lt_i32_e32 21, v72
	s_cbranch_execz .LBB56_461
; %bb.460:
	v_pk_mul_f32 v[66:67], v[64:65], v[34:35] op_sel:[1,1] op_sel_hi:[0,1]
	s_delay_alu instid0(VALU_DEP_1)
	v_pk_fma_f32 v[74:75], v[64:65], v[34:35], v[66:67] op_sel_hi:[1,0,1] neg_lo:[0,0,1] neg_hi:[0,0,1]
	v_pk_fma_f32 v[76:77], v[64:65], v[34:35], v[66:67] op_sel_hi:[1,0,1]
	ds_load_2addr_b64 v[64:67], v68 offset0:22 offset1:23
	v_dual_mov_b32 v34, v74 :: v_dual_mov_b32 v35, v77
	s_wait_dscnt 0x0
	v_pk_mul_f32 v[78:79], v[64:65], v[76:77] op_sel:[0,1]
	s_delay_alu instid0(VALU_DEP_1) | instskip(SKIP_1) | instid1(VALU_DEP_1)
	v_pk_fma_f32 v[80:81], v[64:65], v[74:75], v[78:79] op_sel:[0,0,1] op_sel_hi:[1,1,0] neg_lo:[0,0,1] neg_hi:[0,0,1]
	v_pk_fma_f32 v[64:65], v[64:65], v[74:75], v[78:79] op_sel:[0,0,1] op_sel_hi:[1,0,0]
	v_mov_b32_e32 v81, v65
	v_pk_mul_f32 v[64:65], v[66:67], v[76:77] op_sel:[0,1]
	s_delay_alu instid0(VALU_DEP_1) | instskip(SKIP_1) | instid1(VALU_DEP_1)
	v_pk_fma_f32 v[78:79], v[66:67], v[74:75], v[64:65] op_sel:[0,0,1] op_sel_hi:[1,1,0] neg_lo:[0,0,1] neg_hi:[0,0,1]
	v_pk_fma_f32 v[64:65], v[66:67], v[74:75], v[64:65] op_sel:[0,0,1] op_sel_hi:[1,0,0]
	v_mov_b32_e32 v79, v65
	ds_load_2addr_b64 v[64:67], v68 offset0:24 offset1:25
	v_pk_add_f32 v[36:37], v[36:37], v[80:81] neg_lo:[0,1] neg_hi:[0,1]
	v_pk_add_f32 v[32:33], v[32:33], v[78:79] neg_lo:[0,1] neg_hi:[0,1]
	s_wait_dscnt 0x0
	v_pk_mul_f32 v[78:79], v[64:65], v[76:77] op_sel:[0,1]
	s_delay_alu instid0(VALU_DEP_1) | instskip(SKIP_2) | instid1(VALU_DEP_2)
	v_pk_fma_f32 v[80:81], v[64:65], v[74:75], v[78:79] op_sel:[0,0,1] op_sel_hi:[1,1,0] neg_lo:[0,0,1] neg_hi:[0,0,1]
	v_pk_fma_f32 v[64:65], v[64:65], v[74:75], v[78:79] op_sel:[0,0,1] op_sel_hi:[1,0,0]
	v_dual_mul_f32 v78, v67, v77 :: v_dual_mov_b32 v64, v67
	v_dual_mov_b32 v81, v65 :: v_dual_mov_b32 v65, v66
	s_delay_alu instid0(VALU_DEP_2) | instskip(SKIP_1) | instid1(VALU_DEP_3)
	v_pk_fma_f32 v[78:79], v[66:67], v[34:35], v[78:79] op_sel_hi:[1,1,0] neg_lo:[0,0,1] neg_hi:[0,0,1]
	v_mul_f32_e32 v66, v67, v74
	v_pk_add_f32 v[6:7], v[6:7], v[80:81] neg_lo:[0,1] neg_hi:[0,1]
	s_delay_alu instid0(VALU_DEP_2) | instskip(NEXT) | instid1(VALU_DEP_1)
	v_pk_fma_f32 v[64:65], v[64:65], v[34:35], v[66:67] op_sel_hi:[1,1,0]
	v_mov_b32_e32 v79, v65
	ds_load_2addr_b64 v[64:67], v68 offset0:26 offset1:27
	v_pk_add_f32 v[52:53], v[52:53], v[78:79] neg_lo:[0,1] neg_hi:[0,1]
	s_wait_dscnt 0x0
	v_pk_mul_f32 v[78:79], v[64:65], v[76:77] op_sel:[0,1]
	s_delay_alu instid0(VALU_DEP_1) | instskip(SKIP_1) | instid1(VALU_DEP_1)
	v_pk_fma_f32 v[80:81], v[64:65], v[74:75], v[78:79] op_sel:[0,0,1] op_sel_hi:[1,1,0] neg_lo:[0,0,1] neg_hi:[0,0,1]
	v_pk_fma_f32 v[64:65], v[64:65], v[74:75], v[78:79] op_sel:[0,0,1] op_sel_hi:[1,0,0]
	v_mov_b32_e32 v81, v65
	v_pk_mul_f32 v[64:65], v[66:67], v[76:77] op_sel:[0,1]
	s_delay_alu instid0(VALU_DEP_1) | instskip(SKIP_1) | instid1(VALU_DEP_1)
	v_pk_fma_f32 v[78:79], v[66:67], v[74:75], v[64:65] op_sel:[0,0,1] op_sel_hi:[1,1,0] neg_lo:[0,0,1] neg_hi:[0,0,1]
	v_pk_fma_f32 v[64:65], v[66:67], v[74:75], v[64:65] op_sel:[0,0,1] op_sel_hi:[1,0,0]
	v_mov_b32_e32 v79, v65
	ds_load_b64 v[64:65], v68 offset:224
	v_pk_add_f32 v[42:43], v[42:43], v[80:81] neg_lo:[0,1] neg_hi:[0,1]
	v_pk_add_f32 v[40:41], v[40:41], v[78:79] neg_lo:[0,1] neg_hi:[0,1]
	s_wait_dscnt 0x0
	v_pk_mul_f32 v[66:67], v[64:65], v[76:77] op_sel:[0,1]
	s_delay_alu instid0(VALU_DEP_1) | instskip(SKIP_1) | instid1(VALU_DEP_1)
	v_pk_fma_f32 v[76:77], v[64:65], v[74:75], v[66:67] op_sel:[0,0,1] op_sel_hi:[1,1,0] neg_lo:[0,0,1] neg_hi:[0,0,1]
	v_pk_fma_f32 v[64:65], v[64:65], v[74:75], v[66:67] op_sel:[0,0,1] op_sel_hi:[1,0,0]
	v_mov_b32_e32 v77, v65
	s_delay_alu instid0(VALU_DEP_1)
	v_pk_add_f32 v[62:63], v[62:63], v[76:77] neg_lo:[0,1] neg_hi:[0,1]
.LBB56_461:
	s_or_b32 exec_lo, exec_lo, s0
	v_lshl_add_u32 v64, v72, 3, v68
	s_barrier_signal -1
	s_barrier_wait -1
	ds_store_b64 v64, v[36:37]
	s_wait_dscnt 0x0
	s_barrier_signal -1
	s_barrier_wait -1
	ds_load_b64 v[64:65], v68 offset:176
	v_mov_b32_e32 v66, 22
	s_cmp_lt_i32 s18, 24
	s_cbranch_scc1 .LBB56_464
; %bb.462:
	v_add3_u32 v67, v69, 0, 0xb8
	v_mov_b32_e32 v66, 22
	s_mov_b32 s0, 23
.LBB56_463:                             ; =>This Inner Loop Header: Depth=1
	ds_load_b64 v[74:75], v67
	s_wait_dscnt 0x1
	v_cmp_gt_f32_e32 vcc_lo, 0, v64
	v_cndmask_b32_e64 v76, v64, -v64, vcc_lo
	v_cmp_gt_f32_e32 vcc_lo, 0, v65
	v_cndmask_b32_e64 v78, v65, -v65, vcc_lo
	s_wait_dscnt 0x0
	v_cmp_gt_f32_e32 vcc_lo, 0, v74
	v_cndmask_b32_e64 v77, v74, -v74, vcc_lo
	v_cmp_gt_f32_e32 vcc_lo, 0, v75
	v_cndmask_b32_e64 v79, v75, -v75, vcc_lo
	s_delay_alu instid0(VALU_DEP_1) | instskip(NEXT) | instid1(VALU_DEP_1)
	v_pk_add_f32 v[76:77], v[76:77], v[78:79]
	v_cmp_lt_f32_e32 vcc_lo, v76, v77
	v_dual_cndmask_b32 v64, v64, v74 :: v_dual_add_nc_u32 v67, 8, v67
	v_cndmask_b32_e32 v65, v65, v75, vcc_lo
	v_cndmask_b32_e64 v66, v66, s0, vcc_lo
	s_add_co_i32 s0, s0, 1
	s_delay_alu instid0(SALU_CYCLE_1)
	s_cmp_lg_u32 s18, s0
	s_cbranch_scc1 .LBB56_463
.LBB56_464:
	s_wait_dscnt 0x0
	v_cmp_eq_f32_e32 vcc_lo, 0, v64
	v_cmp_eq_f32_e64 s0, 0, v65
	s_and_b32 s0, vcc_lo, s0
	s_delay_alu instid0(SALU_CYCLE_1) | instskip(NEXT) | instid1(SALU_CYCLE_1)
	s_and_saveexec_b32 s1, s0
	s_xor_b32 s0, exec_lo, s1
; %bb.465:
	v_cmp_ne_u32_e32 vcc_lo, 0, v70
	v_cndmask_b32_e32 v70, 23, v70, vcc_lo
; %bb.466:
	s_and_not1_saveexec_b32 s0, s0
	s_cbranch_execz .LBB56_472
; %bb.467:
	v_cmp_ngt_f32_e64 s1, |v64|, |v65|
	s_and_saveexec_b32 s12, s1
	s_delay_alu instid0(SALU_CYCLE_1)
	s_xor_b32 s1, exec_lo, s12
	s_cbranch_execz .LBB56_469
; %bb.468:
	v_div_scale_f32 v67, null, v65, v65, v64
	v_div_scale_f32 v75, vcc_lo, v64, v65, v64
	s_delay_alu instid0(VALU_DEP_2) | instskip(SKIP_1) | instid1(TRANS32_DEP_1)
	v_rcp_f32_e32 v73, v67
	v_nop
	v_fma_f32 v74, -v67, v73, 1.0
	s_delay_alu instid0(VALU_DEP_1) | instskip(NEXT) | instid1(VALU_DEP_1)
	v_fmac_f32_e32 v73, v74, v73
	v_mul_f32_e32 v74, v75, v73
	s_delay_alu instid0(VALU_DEP_1) | instskip(NEXT) | instid1(VALU_DEP_1)
	v_fma_f32 v76, -v67, v74, v75
	v_fmac_f32_e32 v74, v76, v73
	s_delay_alu instid0(VALU_DEP_1) | instskip(NEXT) | instid1(VALU_DEP_1)
	v_fma_f32 v67, -v67, v74, v75
	v_div_fmas_f32 v67, v67, v73, v74
	s_delay_alu instid0(VALU_DEP_1) | instskip(NEXT) | instid1(VALU_DEP_1)
	v_div_fixup_f32 v67, v67, v65, v64
	v_fmac_f32_e32 v65, v64, v67
	s_delay_alu instid0(VALU_DEP_1) | instskip(SKIP_1) | instid1(VALU_DEP_2)
	v_div_scale_f32 v64, null, v65, v65, 1.0
	v_div_scale_f32 v75, vcc_lo, 1.0, v65, 1.0
	v_rcp_f32_e32 v73, v64
	v_nop
	s_delay_alu instid0(TRANS32_DEP_1) | instskip(NEXT) | instid1(VALU_DEP_1)
	v_fma_f32 v74, -v64, v73, 1.0
	v_fmac_f32_e32 v73, v74, v73
	s_delay_alu instid0(VALU_DEP_1) | instskip(NEXT) | instid1(VALU_DEP_1)
	v_mul_f32_e32 v74, v75, v73
	v_fma_f32 v76, -v64, v74, v75
	s_delay_alu instid0(VALU_DEP_1) | instskip(NEXT) | instid1(VALU_DEP_1)
	v_fmac_f32_e32 v74, v76, v73
	v_fma_f32 v64, -v64, v74, v75
	s_delay_alu instid0(VALU_DEP_1) | instskip(NEXT) | instid1(VALU_DEP_1)
	v_div_fmas_f32 v64, v64, v73, v74
	v_div_fixup_f32 v65, v64, v65, 1.0
	s_delay_alu instid0(VALU_DEP_1)
	v_mul_f32_e32 v64, v67, v65
	v_xor_b32_e32 v65, 0x80000000, v65
.LBB56_469:
	s_and_not1_saveexec_b32 s1, s1
	s_cbranch_execz .LBB56_471
; %bb.470:
	s_delay_alu instid0(VALU_DEP_1) | instskip(SKIP_1) | instid1(VALU_DEP_2)
	v_div_scale_f32 v67, null, v64, v64, v65
	v_div_scale_f32 v75, vcc_lo, v65, v64, v65
	v_rcp_f32_e32 v73, v67
	v_nop
	s_delay_alu instid0(TRANS32_DEP_1) | instskip(NEXT) | instid1(VALU_DEP_1)
	v_fma_f32 v74, -v67, v73, 1.0
	v_fmac_f32_e32 v73, v74, v73
	s_delay_alu instid0(VALU_DEP_1) | instskip(NEXT) | instid1(VALU_DEP_1)
	v_mul_f32_e32 v74, v75, v73
	v_fma_f32 v76, -v67, v74, v75
	s_delay_alu instid0(VALU_DEP_1) | instskip(NEXT) | instid1(VALU_DEP_1)
	v_fmac_f32_e32 v74, v76, v73
	v_fma_f32 v67, -v67, v74, v75
	s_delay_alu instid0(VALU_DEP_1) | instskip(NEXT) | instid1(VALU_DEP_1)
	v_div_fmas_f32 v67, v67, v73, v74
	v_div_fixup_f32 v67, v67, v64, v65
	s_delay_alu instid0(VALU_DEP_1) | instskip(NEXT) | instid1(VALU_DEP_1)
	v_fmac_f32_e32 v64, v65, v67
	v_div_scale_f32 v65, null, v64, v64, 1.0
	s_delay_alu instid0(VALU_DEP_1) | instskip(SKIP_1) | instid1(TRANS32_DEP_1)
	v_rcp_f32_e32 v73, v65
	v_nop
	v_fma_f32 v74, -v65, v73, 1.0
	s_delay_alu instid0(VALU_DEP_1) | instskip(SKIP_1) | instid1(VALU_DEP_1)
	v_fmac_f32_e32 v73, v74, v73
	v_div_scale_f32 v74, vcc_lo, 1.0, v64, 1.0
	v_mul_f32_e32 v75, v74, v73
	s_delay_alu instid0(VALU_DEP_1) | instskip(NEXT) | instid1(VALU_DEP_1)
	v_fma_f32 v76, -v65, v75, v74
	v_fmac_f32_e32 v75, v76, v73
	s_delay_alu instid0(VALU_DEP_1) | instskip(NEXT) | instid1(VALU_DEP_1)
	v_fma_f32 v65, -v65, v75, v74
	v_div_fmas_f32 v65, v65, v73, v75
	s_delay_alu instid0(VALU_DEP_1) | instskip(NEXT) | instid1(VALU_DEP_1)
	v_div_fixup_f32 v64, v65, v64, 1.0
	v_mul_f32_e64 v65, v67, -v64
.LBB56_471:
	s_or_b32 exec_lo, exec_lo, s1
.LBB56_472:
	s_delay_alu instid0(SALU_CYCLE_1) | instskip(NEXT) | instid1(SALU_CYCLE_1)
	s_or_b32 exec_lo, exec_lo, s0
	s_mov_b32 s0, exec_lo
	v_cmpx_ne_u32_e64 v72, v66
	s_xor_b32 s0, exec_lo, s0
	s_cbranch_execz .LBB56_478
; %bb.473:
	s_mov_b32 s1, exec_lo
	v_cmpx_eq_u32_e32 22, v72
	s_cbranch_execz .LBB56_477
; %bb.474:
	v_cmp_ne_u32_e32 vcc_lo, 22, v66
	s_xor_b32 s12, s16, -1
	s_delay_alu instid0(SALU_CYCLE_1) | instskip(NEXT) | instid1(SALU_CYCLE_1)
	s_and_b32 s13, s12, vcc_lo
	s_and_saveexec_b32 s12, s13
	s_cbranch_execz .LBB56_476
; %bb.475:
	v_ashrrev_i32_e32 v67, 31, v66
	s_delay_alu instid0(VALU_DEP_1)
	v_lshl_add_u64 v[72:73], v[66:67], 2, v[4:5]
	s_clause 0x1
	global_load_b32 v67, v[72:73], off
	global_load_b32 v71, v[4:5], off offset:88
	s_wait_loadcnt 0x1
	global_store_b32 v[4:5], v67, off offset:88
	s_wait_loadcnt 0x0
	global_store_b32 v[72:73], v71, off
.LBB56_476:
	s_wait_xcnt 0x0
	s_or_b32 exec_lo, exec_lo, s12
	v_dual_mov_b32 v72, v66 :: v_dual_mov_b32 v71, v66
.LBB56_477:
	s_or_b32 exec_lo, exec_lo, s1
.LBB56_478:
	s_and_not1_saveexec_b32 s0, s0
	s_cbranch_execz .LBB56_480
; %bb.479:
	v_mov_b32_e32 v72, 22
	ds_store_2addr_b64 v68, v[32:33], v[6:7] offset0:23 offset1:24
	ds_store_2addr_b64 v68, v[52:53], v[42:43] offset0:25 offset1:26
	;; [unrolled: 1-line block ×3, first 2 shown]
.LBB56_480:
	s_or_b32 exec_lo, exec_lo, s0
	s_delay_alu instid0(SALU_CYCLE_1)
	s_mov_b32 s0, exec_lo
	s_wait_storecnt_dscnt 0x0
	s_barrier_signal -1
	s_barrier_wait -1
	v_cmpx_lt_i32_e32 22, v72
	s_cbranch_execz .LBB56_482
; %bb.481:
	v_pk_mul_f32 v[66:67], v[64:65], v[36:37] op_sel:[1,1] op_sel_hi:[0,1]
	s_delay_alu instid0(VALU_DEP_1)
	v_pk_fma_f32 v[74:75], v[64:65], v[36:37], v[66:67] op_sel_hi:[1,0,1] neg_lo:[0,0,1] neg_hi:[0,0,1]
	v_pk_fma_f32 v[76:77], v[64:65], v[36:37], v[66:67] op_sel_hi:[1,0,1]
	ds_load_2addr_b64 v[64:67], v68 offset0:23 offset1:24
	v_dual_mov_b32 v36, v74 :: v_dual_mov_b32 v37, v77
	s_wait_dscnt 0x0
	v_pk_mul_f32 v[78:79], v[64:65], v[76:77] op_sel:[0,1]
	s_delay_alu instid0(VALU_DEP_1) | instskip(SKIP_1) | instid1(VALU_DEP_1)
	v_pk_fma_f32 v[80:81], v[64:65], v[74:75], v[78:79] op_sel:[0,0,1] op_sel_hi:[1,1,0] neg_lo:[0,0,1] neg_hi:[0,0,1]
	v_pk_fma_f32 v[64:65], v[64:65], v[74:75], v[78:79] op_sel:[0,0,1] op_sel_hi:[1,0,0]
	v_mov_b32_e32 v81, v65
	v_pk_mul_f32 v[64:65], v[66:67], v[76:77] op_sel:[0,1]
	s_delay_alu instid0(VALU_DEP_1) | instskip(SKIP_1) | instid1(VALU_DEP_1)
	v_pk_fma_f32 v[78:79], v[66:67], v[74:75], v[64:65] op_sel:[0,0,1] op_sel_hi:[1,1,0] neg_lo:[0,0,1] neg_hi:[0,0,1]
	v_pk_fma_f32 v[64:65], v[66:67], v[74:75], v[64:65] op_sel:[0,0,1] op_sel_hi:[1,0,0]
	v_mov_b32_e32 v79, v65
	ds_load_2addr_b64 v[64:67], v68 offset0:25 offset1:26
	v_pk_add_f32 v[32:33], v[32:33], v[80:81] neg_lo:[0,1] neg_hi:[0,1]
	v_pk_add_f32 v[6:7], v[6:7], v[78:79] neg_lo:[0,1] neg_hi:[0,1]
	s_wait_dscnt 0x0
	v_pk_mul_f32 v[78:79], v[64:65], v[76:77] op_sel:[0,1]
	s_delay_alu instid0(VALU_DEP_1) | instskip(SKIP_2) | instid1(VALU_DEP_2)
	v_pk_fma_f32 v[80:81], v[64:65], v[74:75], v[78:79] op_sel:[0,0,1] op_sel_hi:[1,1,0] neg_lo:[0,0,1] neg_hi:[0,0,1]
	v_pk_fma_f32 v[64:65], v[64:65], v[74:75], v[78:79] op_sel:[0,0,1] op_sel_hi:[1,0,0]
	v_dual_mul_f32 v78, v67, v77 :: v_dual_mov_b32 v64, v67
	v_dual_mov_b32 v81, v65 :: v_dual_mov_b32 v65, v66
	s_delay_alu instid0(VALU_DEP_2) | instskip(SKIP_1) | instid1(VALU_DEP_3)
	v_pk_fma_f32 v[78:79], v[66:67], v[36:37], v[78:79] op_sel_hi:[1,1,0] neg_lo:[0,0,1] neg_hi:[0,0,1]
	v_mul_f32_e32 v66, v67, v74
	v_pk_add_f32 v[52:53], v[52:53], v[80:81] neg_lo:[0,1] neg_hi:[0,1]
	s_delay_alu instid0(VALU_DEP_2) | instskip(NEXT) | instid1(VALU_DEP_1)
	v_pk_fma_f32 v[64:65], v[64:65], v[36:37], v[66:67] op_sel_hi:[1,1,0]
	v_mov_b32_e32 v79, v65
	ds_load_2addr_b64 v[64:67], v68 offset0:27 offset1:28
	v_pk_add_f32 v[42:43], v[42:43], v[78:79] neg_lo:[0,1] neg_hi:[0,1]
	s_wait_dscnt 0x0
	v_pk_mul_f32 v[78:79], v[64:65], v[76:77] op_sel:[0,1]
	v_mul_f32_e32 v76, v67, v77
	s_delay_alu instid0(VALU_DEP_2) | instskip(SKIP_2) | instid1(VALU_DEP_4)
	v_pk_fma_f32 v[80:81], v[64:65], v[74:75], v[78:79] op_sel:[0,0,1] op_sel_hi:[1,1,0] neg_lo:[0,0,1] neg_hi:[0,0,1]
	v_pk_fma_f32 v[64:65], v[64:65], v[74:75], v[78:79] op_sel:[0,0,1] op_sel_hi:[1,0,0]
	v_mov_b32_e32 v64, v67
	v_pk_fma_f32 v[76:77], v[66:67], v[36:37], v[76:77] op_sel_hi:[1,1,0] neg_lo:[0,0,1] neg_hi:[0,0,1]
	s_delay_alu instid0(VALU_DEP_3) | instskip(SKIP_1) | instid1(VALU_DEP_2)
	v_dual_mov_b32 v81, v65 :: v_dual_mov_b32 v65, v66
	v_mul_f32_e32 v66, v67, v74
	v_pk_add_f32 v[40:41], v[40:41], v[80:81] neg_lo:[0,1] neg_hi:[0,1]
	s_delay_alu instid0(VALU_DEP_2) | instskip(NEXT) | instid1(VALU_DEP_1)
	v_pk_fma_f32 v[64:65], v[64:65], v[36:37], v[66:67] op_sel_hi:[1,1,0]
	v_mov_b32_e32 v77, v65
	s_delay_alu instid0(VALU_DEP_1)
	v_pk_add_f32 v[62:63], v[62:63], v[76:77] neg_lo:[0,1] neg_hi:[0,1]
.LBB56_482:
	s_or_b32 exec_lo, exec_lo, s0
	v_lshl_add_u32 v64, v72, 3, v68
	s_barrier_signal -1
	s_barrier_wait -1
	ds_store_b64 v64, v[32:33]
	s_wait_dscnt 0x0
	s_barrier_signal -1
	s_barrier_wait -1
	ds_load_b64 v[64:65], v68 offset:184
	v_mov_b32_e32 v66, 23
	s_cmp_lt_i32 s18, 25
	s_cbranch_scc1 .LBB56_485
; %bb.483:
	v_add3_u32 v67, v69, 0, 0xc0
	v_mov_b32_e32 v66, 23
	s_mov_b32 s0, 24
.LBB56_484:                             ; =>This Inner Loop Header: Depth=1
	ds_load_b64 v[74:75], v67
	s_wait_dscnt 0x1
	v_cmp_gt_f32_e32 vcc_lo, 0, v64
	v_cndmask_b32_e64 v76, v64, -v64, vcc_lo
	v_cmp_gt_f32_e32 vcc_lo, 0, v65
	v_cndmask_b32_e64 v78, v65, -v65, vcc_lo
	s_wait_dscnt 0x0
	v_cmp_gt_f32_e32 vcc_lo, 0, v74
	v_cndmask_b32_e64 v77, v74, -v74, vcc_lo
	v_cmp_gt_f32_e32 vcc_lo, 0, v75
	v_cndmask_b32_e64 v79, v75, -v75, vcc_lo
	s_delay_alu instid0(VALU_DEP_1) | instskip(NEXT) | instid1(VALU_DEP_1)
	v_pk_add_f32 v[76:77], v[76:77], v[78:79]
	v_cmp_lt_f32_e32 vcc_lo, v76, v77
	v_dual_cndmask_b32 v64, v64, v74 :: v_dual_add_nc_u32 v67, 8, v67
	v_cndmask_b32_e32 v65, v65, v75, vcc_lo
	v_cndmask_b32_e64 v66, v66, s0, vcc_lo
	s_add_co_i32 s0, s0, 1
	s_delay_alu instid0(SALU_CYCLE_1)
	s_cmp_lg_u32 s18, s0
	s_cbranch_scc1 .LBB56_484
.LBB56_485:
	s_wait_dscnt 0x0
	v_cmp_eq_f32_e32 vcc_lo, 0, v64
	v_cmp_eq_f32_e64 s0, 0, v65
	s_and_b32 s0, vcc_lo, s0
	s_delay_alu instid0(SALU_CYCLE_1) | instskip(NEXT) | instid1(SALU_CYCLE_1)
	s_and_saveexec_b32 s1, s0
	s_xor_b32 s0, exec_lo, s1
; %bb.486:
	v_cmp_ne_u32_e32 vcc_lo, 0, v70
	v_cndmask_b32_e32 v70, 24, v70, vcc_lo
; %bb.487:
	s_and_not1_saveexec_b32 s0, s0
	s_cbranch_execz .LBB56_493
; %bb.488:
	v_cmp_ngt_f32_e64 s1, |v64|, |v65|
	s_and_saveexec_b32 s12, s1
	s_delay_alu instid0(SALU_CYCLE_1)
	s_xor_b32 s1, exec_lo, s12
	s_cbranch_execz .LBB56_490
; %bb.489:
	v_div_scale_f32 v67, null, v65, v65, v64
	v_div_scale_f32 v75, vcc_lo, v64, v65, v64
	s_delay_alu instid0(VALU_DEP_2) | instskip(SKIP_1) | instid1(TRANS32_DEP_1)
	v_rcp_f32_e32 v73, v67
	v_nop
	v_fma_f32 v74, -v67, v73, 1.0
	s_delay_alu instid0(VALU_DEP_1) | instskip(NEXT) | instid1(VALU_DEP_1)
	v_fmac_f32_e32 v73, v74, v73
	v_mul_f32_e32 v74, v75, v73
	s_delay_alu instid0(VALU_DEP_1) | instskip(NEXT) | instid1(VALU_DEP_1)
	v_fma_f32 v76, -v67, v74, v75
	v_fmac_f32_e32 v74, v76, v73
	s_delay_alu instid0(VALU_DEP_1) | instskip(NEXT) | instid1(VALU_DEP_1)
	v_fma_f32 v67, -v67, v74, v75
	v_div_fmas_f32 v67, v67, v73, v74
	s_delay_alu instid0(VALU_DEP_1) | instskip(NEXT) | instid1(VALU_DEP_1)
	v_div_fixup_f32 v67, v67, v65, v64
	v_fmac_f32_e32 v65, v64, v67
	s_delay_alu instid0(VALU_DEP_1) | instskip(SKIP_1) | instid1(VALU_DEP_2)
	v_div_scale_f32 v64, null, v65, v65, 1.0
	v_div_scale_f32 v75, vcc_lo, 1.0, v65, 1.0
	v_rcp_f32_e32 v73, v64
	v_nop
	s_delay_alu instid0(TRANS32_DEP_1) | instskip(NEXT) | instid1(VALU_DEP_1)
	v_fma_f32 v74, -v64, v73, 1.0
	v_fmac_f32_e32 v73, v74, v73
	s_delay_alu instid0(VALU_DEP_1) | instskip(NEXT) | instid1(VALU_DEP_1)
	v_mul_f32_e32 v74, v75, v73
	v_fma_f32 v76, -v64, v74, v75
	s_delay_alu instid0(VALU_DEP_1) | instskip(NEXT) | instid1(VALU_DEP_1)
	v_fmac_f32_e32 v74, v76, v73
	v_fma_f32 v64, -v64, v74, v75
	s_delay_alu instid0(VALU_DEP_1) | instskip(NEXT) | instid1(VALU_DEP_1)
	v_div_fmas_f32 v64, v64, v73, v74
	v_div_fixup_f32 v65, v64, v65, 1.0
	s_delay_alu instid0(VALU_DEP_1)
	v_mul_f32_e32 v64, v67, v65
	v_xor_b32_e32 v65, 0x80000000, v65
.LBB56_490:
	s_and_not1_saveexec_b32 s1, s1
	s_cbranch_execz .LBB56_492
; %bb.491:
	s_delay_alu instid0(VALU_DEP_1) | instskip(SKIP_1) | instid1(VALU_DEP_2)
	v_div_scale_f32 v67, null, v64, v64, v65
	v_div_scale_f32 v75, vcc_lo, v65, v64, v65
	v_rcp_f32_e32 v73, v67
	v_nop
	s_delay_alu instid0(TRANS32_DEP_1) | instskip(NEXT) | instid1(VALU_DEP_1)
	v_fma_f32 v74, -v67, v73, 1.0
	v_fmac_f32_e32 v73, v74, v73
	s_delay_alu instid0(VALU_DEP_1) | instskip(NEXT) | instid1(VALU_DEP_1)
	v_mul_f32_e32 v74, v75, v73
	v_fma_f32 v76, -v67, v74, v75
	s_delay_alu instid0(VALU_DEP_1) | instskip(NEXT) | instid1(VALU_DEP_1)
	v_fmac_f32_e32 v74, v76, v73
	v_fma_f32 v67, -v67, v74, v75
	s_delay_alu instid0(VALU_DEP_1) | instskip(NEXT) | instid1(VALU_DEP_1)
	v_div_fmas_f32 v67, v67, v73, v74
	v_div_fixup_f32 v67, v67, v64, v65
	s_delay_alu instid0(VALU_DEP_1) | instskip(NEXT) | instid1(VALU_DEP_1)
	v_fmac_f32_e32 v64, v65, v67
	v_div_scale_f32 v65, null, v64, v64, 1.0
	s_delay_alu instid0(VALU_DEP_1) | instskip(SKIP_1) | instid1(TRANS32_DEP_1)
	v_rcp_f32_e32 v73, v65
	v_nop
	v_fma_f32 v74, -v65, v73, 1.0
	s_delay_alu instid0(VALU_DEP_1) | instskip(SKIP_1) | instid1(VALU_DEP_1)
	v_fmac_f32_e32 v73, v74, v73
	v_div_scale_f32 v74, vcc_lo, 1.0, v64, 1.0
	v_mul_f32_e32 v75, v74, v73
	s_delay_alu instid0(VALU_DEP_1) | instskip(NEXT) | instid1(VALU_DEP_1)
	v_fma_f32 v76, -v65, v75, v74
	v_fmac_f32_e32 v75, v76, v73
	s_delay_alu instid0(VALU_DEP_1) | instskip(NEXT) | instid1(VALU_DEP_1)
	v_fma_f32 v65, -v65, v75, v74
	v_div_fmas_f32 v65, v65, v73, v75
	s_delay_alu instid0(VALU_DEP_1) | instskip(NEXT) | instid1(VALU_DEP_1)
	v_div_fixup_f32 v64, v65, v64, 1.0
	v_mul_f32_e64 v65, v67, -v64
.LBB56_492:
	s_or_b32 exec_lo, exec_lo, s1
.LBB56_493:
	s_delay_alu instid0(SALU_CYCLE_1) | instskip(NEXT) | instid1(SALU_CYCLE_1)
	s_or_b32 exec_lo, exec_lo, s0
	s_mov_b32 s0, exec_lo
	v_cmpx_ne_u32_e64 v72, v66
	s_xor_b32 s0, exec_lo, s0
	s_cbranch_execz .LBB56_499
; %bb.494:
	s_mov_b32 s1, exec_lo
	v_cmpx_eq_u32_e32 23, v72
	s_cbranch_execz .LBB56_498
; %bb.495:
	v_cmp_ne_u32_e32 vcc_lo, 23, v66
	s_xor_b32 s12, s16, -1
	s_delay_alu instid0(SALU_CYCLE_1) | instskip(NEXT) | instid1(SALU_CYCLE_1)
	s_and_b32 s13, s12, vcc_lo
	s_and_saveexec_b32 s12, s13
	s_cbranch_execz .LBB56_497
; %bb.496:
	v_ashrrev_i32_e32 v67, 31, v66
	s_delay_alu instid0(VALU_DEP_1)
	v_lshl_add_u64 v[72:73], v[66:67], 2, v[4:5]
	s_clause 0x1
	global_load_b32 v67, v[72:73], off
	global_load_b32 v71, v[4:5], off offset:92
	s_wait_loadcnt 0x1
	global_store_b32 v[4:5], v67, off offset:92
	s_wait_loadcnt 0x0
	global_store_b32 v[72:73], v71, off
.LBB56_497:
	s_wait_xcnt 0x0
	s_or_b32 exec_lo, exec_lo, s12
	v_dual_mov_b32 v72, v66 :: v_dual_mov_b32 v71, v66
.LBB56_498:
	s_or_b32 exec_lo, exec_lo, s1
.LBB56_499:
	s_and_not1_saveexec_b32 s0, s0
	s_cbranch_execz .LBB56_501
; %bb.500:
	v_dual_mov_b32 v66, v6 :: v_dual_mov_b32 v67, v7
	v_dual_mov_b32 v74, v52 :: v_dual_mov_b32 v75, v53
	;; [unrolled: 1-line block ×4, first 2 shown]
	v_mov_b32_e32 v79, v41
	ds_store_2addr_b64 v68, v[66:67], v[74:75] offset0:24 offset1:25
	ds_store_2addr_b64 v68, v[76:77], v[78:79] offset0:26 offset1:27
	ds_store_b64 v68, v[62:63] offset:224
.LBB56_501:
	s_or_b32 exec_lo, exec_lo, s0
	s_delay_alu instid0(SALU_CYCLE_1)
	s_mov_b32 s0, exec_lo
	s_wait_storecnt_dscnt 0x0
	s_barrier_signal -1
	s_barrier_wait -1
	v_cmpx_lt_i32_e32 23, v72
	s_cbranch_execz .LBB56_503
; %bb.502:
	ds_load_2addr_b64 v[74:77], v68 offset0:24 offset1:25
	ds_load_2addr_b64 v[78:81], v68 offset0:26 offset1:27
	ds_load_b64 v[66:67], v68 offset:224
	v_pk_mul_f32 v[82:83], v[64:65], v[32:33] op_sel:[1,1] op_sel_hi:[0,1]
	s_delay_alu instid0(VALU_DEP_1) | instskip(SKIP_1) | instid1(VALU_DEP_1)
	v_pk_fma_f32 v[84:85], v[64:65], v[32:33], v[82:83] op_sel_hi:[1,0,1] neg_lo:[0,0,1] neg_hi:[0,0,1]
	v_pk_fma_f32 v[64:65], v[64:65], v[32:33], v[82:83] op_sel_hi:[1,0,1]
	v_dual_mov_b32 v32, v84 :: v_dual_mov_b32 v33, v65
	s_wait_dscnt 0x2
	s_delay_alu instid0(VALU_DEP_2)
	v_pk_mul_f32 v[82:83], v[74:75], v[64:65] op_sel:[0,1]
	v_pk_mul_f32 v[86:87], v[76:77], v[64:65] op_sel:[0,1]
	s_wait_dscnt 0x1
	v_pk_mul_f32 v[88:89], v[78:79], v[64:65] op_sel:[0,1]
	v_dual_mov_b32 v90, v81 :: v_dual_mov_b32 v91, v80
	v_dual_mul_f32 v92, v81, v65 :: v_dual_mul_f32 v94, v81, v84
	s_wait_dscnt 0x0
	v_pk_mul_f32 v[64:65], v[66:67], v[64:65] op_sel:[0,1]
	v_pk_fma_f32 v[96:97], v[74:75], v[84:85], v[82:83] op_sel:[0,0,1] op_sel_hi:[1,1,0] neg_lo:[0,0,1] neg_hi:[0,0,1]
	v_pk_fma_f32 v[74:75], v[74:75], v[84:85], v[82:83] op_sel:[0,0,1] op_sel_hi:[1,0,0]
	v_pk_fma_f32 v[82:83], v[76:77], v[84:85], v[86:87] op_sel:[0,0,1] op_sel_hi:[1,1,0] neg_lo:[0,0,1] neg_hi:[0,0,1]
	v_pk_fma_f32 v[76:77], v[76:77], v[84:85], v[86:87] op_sel:[0,0,1] op_sel_hi:[1,0,0]
	;; [unrolled: 2-line block ×3, first 2 shown]
	v_pk_fma_f32 v[88:89], v[90:91], v[32:33], v[94:95] op_sel_hi:[1,1,0]
	v_pk_fma_f32 v[90:91], v[66:67], v[84:85], v[64:65] op_sel:[0,0,1] op_sel_hi:[1,1,0] neg_lo:[0,0,1] neg_hi:[0,0,1]
	v_pk_fma_f32 v[64:65], v[66:67], v[84:85], v[64:65] op_sel:[0,0,1] op_sel_hi:[1,0,0]
	v_pk_fma_f32 v[80:81], v[80:81], v[32:33], v[92:93] op_sel_hi:[1,1,0] neg_lo:[0,0,1] neg_hi:[0,0,1]
	v_dual_mov_b32 v97, v75 :: v_dual_mov_b32 v83, v77
	v_dual_mov_b32 v87, v79 :: v_dual_mov_b32 v81, v89
	s_delay_alu instid0(VALU_DEP_4) | instskip(NEXT) | instid1(VALU_DEP_3)
	v_mov_b32_e32 v91, v65
	v_pk_add_f32 v[6:7], v[6:7], v[96:97] neg_lo:[0,1] neg_hi:[0,1]
	s_delay_alu instid0(VALU_DEP_4) | instskip(NEXT) | instid1(VALU_DEP_4)
	v_pk_add_f32 v[52:53], v[52:53], v[82:83] neg_lo:[0,1] neg_hi:[0,1]
	v_pk_add_f32 v[42:43], v[42:43], v[86:87] neg_lo:[0,1] neg_hi:[0,1]
	;; [unrolled: 1-line block ×4, first 2 shown]
.LBB56_503:
	s_or_b32 exec_lo, exec_lo, s0
	v_lshl_add_u32 v64, v72, 3, v68
	s_barrier_signal -1
	s_barrier_wait -1
	ds_store_b64 v64, v[6:7]
	s_wait_dscnt 0x0
	s_barrier_signal -1
	s_barrier_wait -1
	ds_load_b64 v[64:65], v68 offset:192
	v_mov_b32_e32 v66, 24
	s_cmp_lt_i32 s18, 26
	s_cbranch_scc1 .LBB56_506
; %bb.504:
	v_add3_u32 v67, v69, 0, 0xc8
	v_mov_b32_e32 v66, 24
	s_mov_b32 s0, 25
.LBB56_505:                             ; =>This Inner Loop Header: Depth=1
	ds_load_b64 v[74:75], v67
	s_wait_dscnt 0x1
	v_cmp_gt_f32_e32 vcc_lo, 0, v64
	v_cndmask_b32_e64 v76, v64, -v64, vcc_lo
	v_cmp_gt_f32_e32 vcc_lo, 0, v65
	v_cndmask_b32_e64 v78, v65, -v65, vcc_lo
	s_wait_dscnt 0x0
	v_cmp_gt_f32_e32 vcc_lo, 0, v74
	v_cndmask_b32_e64 v77, v74, -v74, vcc_lo
	v_cmp_gt_f32_e32 vcc_lo, 0, v75
	v_cndmask_b32_e64 v79, v75, -v75, vcc_lo
	s_delay_alu instid0(VALU_DEP_1) | instskip(NEXT) | instid1(VALU_DEP_1)
	v_pk_add_f32 v[76:77], v[76:77], v[78:79]
	v_cmp_lt_f32_e32 vcc_lo, v76, v77
	v_dual_cndmask_b32 v64, v64, v74 :: v_dual_add_nc_u32 v67, 8, v67
	v_cndmask_b32_e32 v65, v65, v75, vcc_lo
	v_cndmask_b32_e64 v66, v66, s0, vcc_lo
	s_add_co_i32 s0, s0, 1
	s_delay_alu instid0(SALU_CYCLE_1)
	s_cmp_lg_u32 s18, s0
	s_cbranch_scc1 .LBB56_505
.LBB56_506:
	s_wait_dscnt 0x0
	v_cmp_eq_f32_e32 vcc_lo, 0, v64
	v_cmp_eq_f32_e64 s0, 0, v65
	s_and_b32 s0, vcc_lo, s0
	s_delay_alu instid0(SALU_CYCLE_1) | instskip(NEXT) | instid1(SALU_CYCLE_1)
	s_and_saveexec_b32 s1, s0
	s_xor_b32 s0, exec_lo, s1
; %bb.507:
	v_cmp_ne_u32_e32 vcc_lo, 0, v70
	v_cndmask_b32_e32 v70, 25, v70, vcc_lo
; %bb.508:
	s_and_not1_saveexec_b32 s0, s0
	s_cbranch_execz .LBB56_514
; %bb.509:
	v_cmp_ngt_f32_e64 s1, |v64|, |v65|
	s_and_saveexec_b32 s12, s1
	s_delay_alu instid0(SALU_CYCLE_1)
	s_xor_b32 s1, exec_lo, s12
	s_cbranch_execz .LBB56_511
; %bb.510:
	v_div_scale_f32 v67, null, v65, v65, v64
	v_div_scale_f32 v75, vcc_lo, v64, v65, v64
	s_delay_alu instid0(VALU_DEP_2) | instskip(SKIP_1) | instid1(TRANS32_DEP_1)
	v_rcp_f32_e32 v73, v67
	v_nop
	v_fma_f32 v74, -v67, v73, 1.0
	s_delay_alu instid0(VALU_DEP_1) | instskip(NEXT) | instid1(VALU_DEP_1)
	v_fmac_f32_e32 v73, v74, v73
	v_mul_f32_e32 v74, v75, v73
	s_delay_alu instid0(VALU_DEP_1) | instskip(NEXT) | instid1(VALU_DEP_1)
	v_fma_f32 v76, -v67, v74, v75
	v_fmac_f32_e32 v74, v76, v73
	s_delay_alu instid0(VALU_DEP_1) | instskip(NEXT) | instid1(VALU_DEP_1)
	v_fma_f32 v67, -v67, v74, v75
	v_div_fmas_f32 v67, v67, v73, v74
	s_delay_alu instid0(VALU_DEP_1) | instskip(NEXT) | instid1(VALU_DEP_1)
	v_div_fixup_f32 v67, v67, v65, v64
	v_fmac_f32_e32 v65, v64, v67
	s_delay_alu instid0(VALU_DEP_1) | instskip(SKIP_1) | instid1(VALU_DEP_2)
	v_div_scale_f32 v64, null, v65, v65, 1.0
	v_div_scale_f32 v75, vcc_lo, 1.0, v65, 1.0
	v_rcp_f32_e32 v73, v64
	v_nop
	s_delay_alu instid0(TRANS32_DEP_1) | instskip(NEXT) | instid1(VALU_DEP_1)
	v_fma_f32 v74, -v64, v73, 1.0
	v_fmac_f32_e32 v73, v74, v73
	s_delay_alu instid0(VALU_DEP_1) | instskip(NEXT) | instid1(VALU_DEP_1)
	v_mul_f32_e32 v74, v75, v73
	v_fma_f32 v76, -v64, v74, v75
	s_delay_alu instid0(VALU_DEP_1) | instskip(NEXT) | instid1(VALU_DEP_1)
	v_fmac_f32_e32 v74, v76, v73
	v_fma_f32 v64, -v64, v74, v75
	s_delay_alu instid0(VALU_DEP_1) | instskip(NEXT) | instid1(VALU_DEP_1)
	v_div_fmas_f32 v64, v64, v73, v74
	v_div_fixup_f32 v65, v64, v65, 1.0
	s_delay_alu instid0(VALU_DEP_1)
	v_mul_f32_e32 v64, v67, v65
	v_xor_b32_e32 v65, 0x80000000, v65
.LBB56_511:
	s_and_not1_saveexec_b32 s1, s1
	s_cbranch_execz .LBB56_513
; %bb.512:
	s_delay_alu instid0(VALU_DEP_1) | instskip(SKIP_1) | instid1(VALU_DEP_2)
	v_div_scale_f32 v67, null, v64, v64, v65
	v_div_scale_f32 v75, vcc_lo, v65, v64, v65
	v_rcp_f32_e32 v73, v67
	v_nop
	s_delay_alu instid0(TRANS32_DEP_1) | instskip(NEXT) | instid1(VALU_DEP_1)
	v_fma_f32 v74, -v67, v73, 1.0
	v_fmac_f32_e32 v73, v74, v73
	s_delay_alu instid0(VALU_DEP_1) | instskip(NEXT) | instid1(VALU_DEP_1)
	v_mul_f32_e32 v74, v75, v73
	v_fma_f32 v76, -v67, v74, v75
	s_delay_alu instid0(VALU_DEP_1) | instskip(NEXT) | instid1(VALU_DEP_1)
	v_fmac_f32_e32 v74, v76, v73
	v_fma_f32 v67, -v67, v74, v75
	s_delay_alu instid0(VALU_DEP_1) | instskip(NEXT) | instid1(VALU_DEP_1)
	v_div_fmas_f32 v67, v67, v73, v74
	v_div_fixup_f32 v67, v67, v64, v65
	s_delay_alu instid0(VALU_DEP_1) | instskip(NEXT) | instid1(VALU_DEP_1)
	v_fmac_f32_e32 v64, v65, v67
	v_div_scale_f32 v65, null, v64, v64, 1.0
	s_delay_alu instid0(VALU_DEP_1) | instskip(SKIP_1) | instid1(TRANS32_DEP_1)
	v_rcp_f32_e32 v73, v65
	v_nop
	v_fma_f32 v74, -v65, v73, 1.0
	s_delay_alu instid0(VALU_DEP_1) | instskip(SKIP_1) | instid1(VALU_DEP_1)
	v_fmac_f32_e32 v73, v74, v73
	v_div_scale_f32 v74, vcc_lo, 1.0, v64, 1.0
	v_mul_f32_e32 v75, v74, v73
	s_delay_alu instid0(VALU_DEP_1) | instskip(NEXT) | instid1(VALU_DEP_1)
	v_fma_f32 v76, -v65, v75, v74
	v_fmac_f32_e32 v75, v76, v73
	s_delay_alu instid0(VALU_DEP_1) | instskip(NEXT) | instid1(VALU_DEP_1)
	v_fma_f32 v65, -v65, v75, v74
	v_div_fmas_f32 v65, v65, v73, v75
	s_delay_alu instid0(VALU_DEP_1) | instskip(NEXT) | instid1(VALU_DEP_1)
	v_div_fixup_f32 v64, v65, v64, 1.0
	v_mul_f32_e64 v65, v67, -v64
.LBB56_513:
	s_or_b32 exec_lo, exec_lo, s1
.LBB56_514:
	s_delay_alu instid0(SALU_CYCLE_1) | instskip(NEXT) | instid1(SALU_CYCLE_1)
	s_or_b32 exec_lo, exec_lo, s0
	s_mov_b32 s0, exec_lo
	v_cmpx_ne_u32_e64 v72, v66
	s_xor_b32 s0, exec_lo, s0
	s_cbranch_execz .LBB56_520
; %bb.515:
	s_mov_b32 s1, exec_lo
	v_cmpx_eq_u32_e32 24, v72
	s_cbranch_execz .LBB56_519
; %bb.516:
	v_cmp_ne_u32_e32 vcc_lo, 24, v66
	s_xor_b32 s12, s16, -1
	s_delay_alu instid0(SALU_CYCLE_1) | instskip(NEXT) | instid1(SALU_CYCLE_1)
	s_and_b32 s13, s12, vcc_lo
	s_and_saveexec_b32 s12, s13
	s_cbranch_execz .LBB56_518
; %bb.517:
	v_ashrrev_i32_e32 v67, 31, v66
	s_delay_alu instid0(VALU_DEP_1)
	v_lshl_add_u64 v[72:73], v[66:67], 2, v[4:5]
	s_clause 0x1
	global_load_b32 v67, v[72:73], off
	global_load_b32 v71, v[4:5], off offset:96
	s_wait_loadcnt 0x1
	global_store_b32 v[4:5], v67, off offset:96
	s_wait_loadcnt 0x0
	global_store_b32 v[72:73], v71, off
.LBB56_518:
	s_wait_xcnt 0x0
	s_or_b32 exec_lo, exec_lo, s12
	v_dual_mov_b32 v72, v66 :: v_dual_mov_b32 v71, v66
.LBB56_519:
	s_or_b32 exec_lo, exec_lo, s1
.LBB56_520:
	s_and_not1_saveexec_b32 s0, s0
	s_cbranch_execz .LBB56_522
; %bb.521:
	v_mov_b32_e32 v72, 24
	ds_store_2addr_b64 v68, v[52:53], v[42:43] offset0:25 offset1:26
	ds_store_2addr_b64 v68, v[40:41], v[62:63] offset0:27 offset1:28
.LBB56_522:
	s_or_b32 exec_lo, exec_lo, s0
	s_delay_alu instid0(SALU_CYCLE_1)
	s_mov_b32 s0, exec_lo
	s_wait_storecnt_dscnt 0x0
	s_barrier_signal -1
	s_barrier_wait -1
	v_cmpx_lt_i32_e32 24, v72
	s_cbranch_execz .LBB56_524
; %bb.523:
	ds_load_2addr_b64 v[74:77], v68 offset0:25 offset1:26
	ds_load_2addr_b64 v[78:81], v68 offset0:27 offset1:28
	v_pk_mul_f32 v[66:67], v[64:65], v[6:7] op_sel:[1,1] op_sel_hi:[0,1]
	s_delay_alu instid0(VALU_DEP_1) | instskip(SKIP_1) | instid1(VALU_DEP_1)
	v_pk_fma_f32 v[82:83], v[64:65], v[6:7], v[66:67] op_sel_hi:[1,0,1] neg_lo:[0,0,1] neg_hi:[0,0,1]
	v_pk_fma_f32 v[64:65], v[64:65], v[6:7], v[66:67] op_sel_hi:[1,0,1]
	v_dual_mov_b32 v6, v82 :: v_dual_mov_b32 v7, v65
	s_wait_dscnt 0x1
	s_delay_alu instid0(VALU_DEP_2)
	v_pk_mul_f32 v[66:67], v[74:75], v[64:65] op_sel:[0,1]
	s_wait_dscnt 0x0
	v_mov_b32_e32 v84, v81
	v_pk_mul_f32 v[86:87], v[76:77], v[64:65] op_sel:[0,1]
	v_pk_mul_f32 v[88:89], v[78:79], v[64:65] op_sel:[0,1]
	v_pk_fma_f32 v[90:91], v[74:75], v[82:83], v[66:67] op_sel:[0,0,1] op_sel_hi:[1,1,0] neg_lo:[0,0,1] neg_hi:[0,0,1]
	v_pk_fma_f32 v[66:67], v[74:75], v[82:83], v[66:67] op_sel:[0,0,1] op_sel_hi:[1,0,0]
	s_delay_alu instid0(VALU_DEP_1) | instskip(NEXT) | instid1(VALU_DEP_1)
	v_dual_mov_b32 v85, v80 :: v_dual_mov_b32 v91, v67
	v_pk_mul_f32 v[74:75], v[84:85], v[64:65] op_sel:[0,1]
	v_pk_fma_f32 v[84:85], v[76:77], v[82:83], v[86:87] op_sel:[0,0,1] op_sel_hi:[1,0,0]
	v_pk_fma_f32 v[76:77], v[76:77], v[82:83], v[86:87] op_sel:[0,0,1] op_sel_hi:[1,1,0] neg_lo:[0,0,1] neg_hi:[0,0,1]
	v_pk_fma_f32 v[86:87], v[78:79], v[82:83], v[88:89] op_sel:[0,0,1] op_sel_hi:[1,0,0]
	v_pk_fma_f32 v[78:79], v[78:79], v[82:83], v[88:89] op_sel:[0,0,1] op_sel_hi:[1,1,0] neg_lo:[0,0,1] neg_hi:[0,0,1]
	v_pk_fma_f32 v[66:67], v[80:81], v[82:83], v[74:75] op_sel_hi:[1,0,1]
	v_pk_fma_f32 v[74:75], v[80:81], v[82:83], v[74:75] neg_lo:[0,0,1] neg_hi:[0,0,1]
	s_delay_alu instid0(VALU_DEP_4) | instskip(SKIP_1) | instid1(VALU_DEP_4)
	v_dual_mov_b32 v77, v85 :: v_dual_mov_b32 v79, v87
	v_pk_add_f32 v[52:53], v[52:53], v[90:91] neg_lo:[0,1] neg_hi:[0,1]
	v_mov_b32_e32 v75, v67
	s_delay_alu instid0(VALU_DEP_3) | instskip(NEXT) | instid1(VALU_DEP_4)
	v_pk_add_f32 v[42:43], v[42:43], v[76:77] neg_lo:[0,1] neg_hi:[0,1]
	v_pk_add_f32 v[40:41], v[40:41], v[78:79] neg_lo:[0,1] neg_hi:[0,1]
	s_delay_alu instid0(VALU_DEP_3)
	v_pk_add_f32 v[62:63], v[62:63], v[74:75] neg_lo:[0,1] neg_hi:[0,1]
.LBB56_524:
	s_or_b32 exec_lo, exec_lo, s0
	v_lshl_add_u32 v64, v72, 3, v68
	s_barrier_signal -1
	s_barrier_wait -1
	ds_store_b64 v64, v[52:53]
	s_wait_dscnt 0x0
	s_barrier_signal -1
	s_barrier_wait -1
	ds_load_b64 v[64:65], v68 offset:200
	v_mov_b32_e32 v66, 25
	s_cmp_lt_i32 s18, 27
	s_cbranch_scc1 .LBB56_527
; %bb.525:
	v_add3_u32 v67, v69, 0, 0xd0
	v_mov_b32_e32 v66, 25
	s_mov_b32 s0, 26
.LBB56_526:                             ; =>This Inner Loop Header: Depth=1
	ds_load_b64 v[74:75], v67
	s_wait_dscnt 0x1
	v_cmp_gt_f32_e32 vcc_lo, 0, v64
	v_cndmask_b32_e64 v76, v64, -v64, vcc_lo
	v_cmp_gt_f32_e32 vcc_lo, 0, v65
	v_cndmask_b32_e64 v78, v65, -v65, vcc_lo
	s_wait_dscnt 0x0
	v_cmp_gt_f32_e32 vcc_lo, 0, v74
	v_cndmask_b32_e64 v77, v74, -v74, vcc_lo
	v_cmp_gt_f32_e32 vcc_lo, 0, v75
	v_cndmask_b32_e64 v79, v75, -v75, vcc_lo
	s_delay_alu instid0(VALU_DEP_1) | instskip(NEXT) | instid1(VALU_DEP_1)
	v_pk_add_f32 v[76:77], v[76:77], v[78:79]
	v_cmp_lt_f32_e32 vcc_lo, v76, v77
	v_dual_cndmask_b32 v64, v64, v74 :: v_dual_add_nc_u32 v67, 8, v67
	v_cndmask_b32_e32 v65, v65, v75, vcc_lo
	v_cndmask_b32_e64 v66, v66, s0, vcc_lo
	s_add_co_i32 s0, s0, 1
	s_delay_alu instid0(SALU_CYCLE_1)
	s_cmp_lg_u32 s18, s0
	s_cbranch_scc1 .LBB56_526
.LBB56_527:
	s_wait_dscnt 0x0
	v_cmp_eq_f32_e32 vcc_lo, 0, v64
	v_cmp_eq_f32_e64 s0, 0, v65
	s_and_b32 s0, vcc_lo, s0
	s_delay_alu instid0(SALU_CYCLE_1) | instskip(NEXT) | instid1(SALU_CYCLE_1)
	s_and_saveexec_b32 s1, s0
	s_xor_b32 s0, exec_lo, s1
; %bb.528:
	v_cmp_ne_u32_e32 vcc_lo, 0, v70
	v_cndmask_b32_e32 v70, 26, v70, vcc_lo
; %bb.529:
	s_and_not1_saveexec_b32 s0, s0
	s_cbranch_execz .LBB56_535
; %bb.530:
	v_cmp_ngt_f32_e64 s1, |v64|, |v65|
	s_and_saveexec_b32 s12, s1
	s_delay_alu instid0(SALU_CYCLE_1)
	s_xor_b32 s1, exec_lo, s12
	s_cbranch_execz .LBB56_532
; %bb.531:
	v_div_scale_f32 v67, null, v65, v65, v64
	v_div_scale_f32 v75, vcc_lo, v64, v65, v64
	s_delay_alu instid0(VALU_DEP_2) | instskip(SKIP_1) | instid1(TRANS32_DEP_1)
	v_rcp_f32_e32 v73, v67
	v_nop
	v_fma_f32 v74, -v67, v73, 1.0
	s_delay_alu instid0(VALU_DEP_1) | instskip(NEXT) | instid1(VALU_DEP_1)
	v_fmac_f32_e32 v73, v74, v73
	v_mul_f32_e32 v74, v75, v73
	s_delay_alu instid0(VALU_DEP_1) | instskip(NEXT) | instid1(VALU_DEP_1)
	v_fma_f32 v76, -v67, v74, v75
	v_fmac_f32_e32 v74, v76, v73
	s_delay_alu instid0(VALU_DEP_1) | instskip(NEXT) | instid1(VALU_DEP_1)
	v_fma_f32 v67, -v67, v74, v75
	v_div_fmas_f32 v67, v67, v73, v74
	s_delay_alu instid0(VALU_DEP_1) | instskip(NEXT) | instid1(VALU_DEP_1)
	v_div_fixup_f32 v67, v67, v65, v64
	v_fmac_f32_e32 v65, v64, v67
	s_delay_alu instid0(VALU_DEP_1) | instskip(SKIP_1) | instid1(VALU_DEP_2)
	v_div_scale_f32 v64, null, v65, v65, 1.0
	v_div_scale_f32 v75, vcc_lo, 1.0, v65, 1.0
	v_rcp_f32_e32 v73, v64
	v_nop
	s_delay_alu instid0(TRANS32_DEP_1) | instskip(NEXT) | instid1(VALU_DEP_1)
	v_fma_f32 v74, -v64, v73, 1.0
	v_fmac_f32_e32 v73, v74, v73
	s_delay_alu instid0(VALU_DEP_1) | instskip(NEXT) | instid1(VALU_DEP_1)
	v_mul_f32_e32 v74, v75, v73
	v_fma_f32 v76, -v64, v74, v75
	s_delay_alu instid0(VALU_DEP_1) | instskip(NEXT) | instid1(VALU_DEP_1)
	v_fmac_f32_e32 v74, v76, v73
	v_fma_f32 v64, -v64, v74, v75
	s_delay_alu instid0(VALU_DEP_1) | instskip(NEXT) | instid1(VALU_DEP_1)
	v_div_fmas_f32 v64, v64, v73, v74
	v_div_fixup_f32 v65, v64, v65, 1.0
	s_delay_alu instid0(VALU_DEP_1)
	v_mul_f32_e32 v64, v67, v65
	v_xor_b32_e32 v65, 0x80000000, v65
.LBB56_532:
	s_and_not1_saveexec_b32 s1, s1
	s_cbranch_execz .LBB56_534
; %bb.533:
	s_delay_alu instid0(VALU_DEP_1) | instskip(SKIP_1) | instid1(VALU_DEP_2)
	v_div_scale_f32 v67, null, v64, v64, v65
	v_div_scale_f32 v75, vcc_lo, v65, v64, v65
	v_rcp_f32_e32 v73, v67
	v_nop
	s_delay_alu instid0(TRANS32_DEP_1) | instskip(NEXT) | instid1(VALU_DEP_1)
	v_fma_f32 v74, -v67, v73, 1.0
	v_fmac_f32_e32 v73, v74, v73
	s_delay_alu instid0(VALU_DEP_1) | instskip(NEXT) | instid1(VALU_DEP_1)
	v_mul_f32_e32 v74, v75, v73
	v_fma_f32 v76, -v67, v74, v75
	s_delay_alu instid0(VALU_DEP_1) | instskip(NEXT) | instid1(VALU_DEP_1)
	v_fmac_f32_e32 v74, v76, v73
	v_fma_f32 v67, -v67, v74, v75
	s_delay_alu instid0(VALU_DEP_1) | instskip(NEXT) | instid1(VALU_DEP_1)
	v_div_fmas_f32 v67, v67, v73, v74
	v_div_fixup_f32 v67, v67, v64, v65
	s_delay_alu instid0(VALU_DEP_1) | instskip(NEXT) | instid1(VALU_DEP_1)
	v_fmac_f32_e32 v64, v65, v67
	v_div_scale_f32 v65, null, v64, v64, 1.0
	s_delay_alu instid0(VALU_DEP_1) | instskip(SKIP_1) | instid1(TRANS32_DEP_1)
	v_rcp_f32_e32 v73, v65
	v_nop
	v_fma_f32 v74, -v65, v73, 1.0
	s_delay_alu instid0(VALU_DEP_1) | instskip(SKIP_1) | instid1(VALU_DEP_1)
	v_fmac_f32_e32 v73, v74, v73
	v_div_scale_f32 v74, vcc_lo, 1.0, v64, 1.0
	v_mul_f32_e32 v75, v74, v73
	s_delay_alu instid0(VALU_DEP_1) | instskip(NEXT) | instid1(VALU_DEP_1)
	v_fma_f32 v76, -v65, v75, v74
	v_fmac_f32_e32 v75, v76, v73
	s_delay_alu instid0(VALU_DEP_1) | instskip(NEXT) | instid1(VALU_DEP_1)
	v_fma_f32 v65, -v65, v75, v74
	v_div_fmas_f32 v65, v65, v73, v75
	s_delay_alu instid0(VALU_DEP_1) | instskip(NEXT) | instid1(VALU_DEP_1)
	v_div_fixup_f32 v64, v65, v64, 1.0
	v_mul_f32_e64 v65, v67, -v64
.LBB56_534:
	s_or_b32 exec_lo, exec_lo, s1
.LBB56_535:
	s_delay_alu instid0(SALU_CYCLE_1) | instskip(NEXT) | instid1(SALU_CYCLE_1)
	s_or_b32 exec_lo, exec_lo, s0
	s_mov_b32 s0, exec_lo
	v_cmpx_ne_u32_e64 v72, v66
	s_xor_b32 s0, exec_lo, s0
	s_cbranch_execz .LBB56_541
; %bb.536:
	s_mov_b32 s1, exec_lo
	v_cmpx_eq_u32_e32 25, v72
	s_cbranch_execz .LBB56_540
; %bb.537:
	v_cmp_ne_u32_e32 vcc_lo, 25, v66
	s_xor_b32 s12, s16, -1
	s_delay_alu instid0(SALU_CYCLE_1) | instskip(NEXT) | instid1(SALU_CYCLE_1)
	s_and_b32 s13, s12, vcc_lo
	s_and_saveexec_b32 s12, s13
	s_cbranch_execz .LBB56_539
; %bb.538:
	v_ashrrev_i32_e32 v67, 31, v66
	s_delay_alu instid0(VALU_DEP_1)
	v_lshl_add_u64 v[72:73], v[66:67], 2, v[4:5]
	s_clause 0x1
	global_load_b32 v67, v[72:73], off
	global_load_b32 v71, v[4:5], off offset:100
	s_wait_loadcnt 0x1
	global_store_b32 v[4:5], v67, off offset:100
	s_wait_loadcnt 0x0
	global_store_b32 v[72:73], v71, off
.LBB56_539:
	s_wait_xcnt 0x0
	s_or_b32 exec_lo, exec_lo, s12
	v_dual_mov_b32 v72, v66 :: v_dual_mov_b32 v71, v66
.LBB56_540:
	s_or_b32 exec_lo, exec_lo, s1
.LBB56_541:
	s_and_not1_saveexec_b32 s0, s0
	s_cbranch_execz .LBB56_543
; %bb.542:
	v_dual_mov_b32 v66, v42 :: v_dual_mov_b32 v67, v43
	v_dual_mov_b32 v74, v40 :: v_dual_mov_b32 v75, v41
	v_mov_b32_e32 v72, 25
	ds_store_2addr_b64 v68, v[66:67], v[74:75] offset0:26 offset1:27
	ds_store_b64 v68, v[62:63] offset:224
.LBB56_543:
	s_or_b32 exec_lo, exec_lo, s0
	s_delay_alu instid0(SALU_CYCLE_1)
	s_mov_b32 s0, exec_lo
	s_wait_storecnt_dscnt 0x0
	s_barrier_signal -1
	s_barrier_wait -1
	v_cmpx_lt_i32_e32 25, v72
	s_cbranch_execz .LBB56_545
; %bb.544:
	ds_load_2addr_b64 v[74:77], v68 offset0:26 offset1:27
	ds_load_b64 v[66:67], v68 offset:224
	v_pk_mul_f32 v[78:79], v[64:65], v[52:53] op_sel:[1,1] op_sel_hi:[0,1]
	s_delay_alu instid0(VALU_DEP_1) | instskip(SKIP_2) | instid1(VALU_DEP_2)
	v_pk_fma_f32 v[80:81], v[64:65], v[52:53], v[78:79] op_sel_hi:[1,0,1]
	v_pk_fma_f32 v[52:53], v[64:65], v[52:53], v[78:79] op_sel_hi:[1,0,1] neg_lo:[0,0,1] neg_hi:[0,0,1]
	s_wait_dscnt 0x1
	v_pk_mul_f32 v[64:65], v[74:75], v[80:81] op_sel:[0,1]
	v_pk_mul_f32 v[78:79], v[76:77], v[80:81] op_sel:[0,1]
	s_wait_dscnt 0x0
	v_pk_mul_f32 v[82:83], v[66:67], v[80:81] op_sel:[1,1] op_sel_hi:[0,1]
	s_delay_alu instid0(VALU_DEP_3) | instskip(SKIP_2) | instid1(VALU_DEP_4)
	v_pk_fma_f32 v[84:85], v[74:75], v[52:53], v[64:65] op_sel:[0,0,1] op_sel_hi:[1,1,0] neg_lo:[0,0,1] neg_hi:[0,0,1]
	v_pk_fma_f32 v[64:65], v[74:75], v[52:53], v[64:65] op_sel:[0,0,1] op_sel_hi:[1,0,0]
	v_pk_fma_f32 v[74:75], v[76:77], v[52:53], v[78:79] op_sel:[0,0,1] op_sel_hi:[1,0,0]
	v_pk_fma_f32 v[86:87], v[66:67], v[52:53], v[82:83] op_sel_hi:[1,0,1]
	v_pk_fma_f32 v[76:77], v[76:77], v[52:53], v[78:79] op_sel:[0,0,1] op_sel_hi:[1,1,0] neg_lo:[0,0,1] neg_hi:[0,0,1]
	v_pk_fma_f32 v[66:67], v[66:67], v[52:53], v[82:83] neg_lo:[0,0,1] neg_hi:[0,0,1]
	s_delay_alu instid0(VALU_DEP_4) | instskip(NEXT) | instid1(VALU_DEP_4)
	v_dual_mov_b32 v85, v65 :: v_dual_mov_b32 v77, v75
	v_dual_mov_b32 v67, v87 :: v_dual_mov_b32 v53, v81
	s_delay_alu instid0(VALU_DEP_2) | instskip(NEXT) | instid1(VALU_DEP_3)
	v_pk_add_f32 v[42:43], v[42:43], v[84:85] neg_lo:[0,1] neg_hi:[0,1]
	v_pk_add_f32 v[40:41], v[40:41], v[76:77] neg_lo:[0,1] neg_hi:[0,1]
	s_delay_alu instid0(VALU_DEP_3)
	v_pk_add_f32 v[62:63], v[62:63], v[66:67] neg_lo:[0,1] neg_hi:[0,1]
.LBB56_545:
	s_or_b32 exec_lo, exec_lo, s0
	v_lshl_add_u32 v64, v72, 3, v68
	s_barrier_signal -1
	s_barrier_wait -1
	ds_store_b64 v64, v[42:43]
	s_wait_dscnt 0x0
	s_barrier_signal -1
	s_barrier_wait -1
	ds_load_b64 v[64:65], v68 offset:208
	v_mov_b32_e32 v66, 26
	s_cmp_lt_i32 s18, 28
	s_cbranch_scc1 .LBB56_548
; %bb.546:
	v_add3_u32 v67, v69, 0, 0xd8
	v_mov_b32_e32 v66, 26
	s_mov_b32 s0, 27
.LBB56_547:                             ; =>This Inner Loop Header: Depth=1
	ds_load_b64 v[74:75], v67
	s_wait_dscnt 0x1
	v_cmp_gt_f32_e32 vcc_lo, 0, v64
	v_cndmask_b32_e64 v76, v64, -v64, vcc_lo
	v_cmp_gt_f32_e32 vcc_lo, 0, v65
	v_cndmask_b32_e64 v78, v65, -v65, vcc_lo
	s_wait_dscnt 0x0
	v_cmp_gt_f32_e32 vcc_lo, 0, v74
	v_cndmask_b32_e64 v77, v74, -v74, vcc_lo
	v_cmp_gt_f32_e32 vcc_lo, 0, v75
	v_cndmask_b32_e64 v79, v75, -v75, vcc_lo
	s_delay_alu instid0(VALU_DEP_1) | instskip(NEXT) | instid1(VALU_DEP_1)
	v_pk_add_f32 v[76:77], v[76:77], v[78:79]
	v_cmp_lt_f32_e32 vcc_lo, v76, v77
	v_dual_cndmask_b32 v64, v64, v74 :: v_dual_add_nc_u32 v67, 8, v67
	v_cndmask_b32_e32 v65, v65, v75, vcc_lo
	v_cndmask_b32_e64 v66, v66, s0, vcc_lo
	s_add_co_i32 s0, s0, 1
	s_delay_alu instid0(SALU_CYCLE_1)
	s_cmp_lg_u32 s18, s0
	s_cbranch_scc1 .LBB56_547
.LBB56_548:
	s_wait_dscnt 0x0
	v_cmp_eq_f32_e32 vcc_lo, 0, v64
	v_cmp_eq_f32_e64 s0, 0, v65
	s_and_b32 s0, vcc_lo, s0
	s_delay_alu instid0(SALU_CYCLE_1) | instskip(NEXT) | instid1(SALU_CYCLE_1)
	s_and_saveexec_b32 s1, s0
	s_xor_b32 s0, exec_lo, s1
; %bb.549:
	v_cmp_ne_u32_e32 vcc_lo, 0, v70
	v_cndmask_b32_e32 v70, 27, v70, vcc_lo
; %bb.550:
	s_and_not1_saveexec_b32 s0, s0
	s_cbranch_execz .LBB56_556
; %bb.551:
	v_cmp_ngt_f32_e64 s1, |v64|, |v65|
	s_and_saveexec_b32 s12, s1
	s_delay_alu instid0(SALU_CYCLE_1)
	s_xor_b32 s1, exec_lo, s12
	s_cbranch_execz .LBB56_553
; %bb.552:
	v_div_scale_f32 v67, null, v65, v65, v64
	v_div_scale_f32 v75, vcc_lo, v64, v65, v64
	s_delay_alu instid0(VALU_DEP_2) | instskip(SKIP_1) | instid1(TRANS32_DEP_1)
	v_rcp_f32_e32 v73, v67
	v_nop
	v_fma_f32 v74, -v67, v73, 1.0
	s_delay_alu instid0(VALU_DEP_1) | instskip(NEXT) | instid1(VALU_DEP_1)
	v_fmac_f32_e32 v73, v74, v73
	v_mul_f32_e32 v74, v75, v73
	s_delay_alu instid0(VALU_DEP_1) | instskip(NEXT) | instid1(VALU_DEP_1)
	v_fma_f32 v76, -v67, v74, v75
	v_fmac_f32_e32 v74, v76, v73
	s_delay_alu instid0(VALU_DEP_1) | instskip(NEXT) | instid1(VALU_DEP_1)
	v_fma_f32 v67, -v67, v74, v75
	v_div_fmas_f32 v67, v67, v73, v74
	s_delay_alu instid0(VALU_DEP_1) | instskip(NEXT) | instid1(VALU_DEP_1)
	v_div_fixup_f32 v67, v67, v65, v64
	v_fmac_f32_e32 v65, v64, v67
	s_delay_alu instid0(VALU_DEP_1) | instskip(SKIP_1) | instid1(VALU_DEP_2)
	v_div_scale_f32 v64, null, v65, v65, 1.0
	v_div_scale_f32 v75, vcc_lo, 1.0, v65, 1.0
	v_rcp_f32_e32 v73, v64
	v_nop
	s_delay_alu instid0(TRANS32_DEP_1) | instskip(NEXT) | instid1(VALU_DEP_1)
	v_fma_f32 v74, -v64, v73, 1.0
	v_fmac_f32_e32 v73, v74, v73
	s_delay_alu instid0(VALU_DEP_1) | instskip(NEXT) | instid1(VALU_DEP_1)
	v_mul_f32_e32 v74, v75, v73
	v_fma_f32 v76, -v64, v74, v75
	s_delay_alu instid0(VALU_DEP_1) | instskip(NEXT) | instid1(VALU_DEP_1)
	v_fmac_f32_e32 v74, v76, v73
	v_fma_f32 v64, -v64, v74, v75
	s_delay_alu instid0(VALU_DEP_1) | instskip(NEXT) | instid1(VALU_DEP_1)
	v_div_fmas_f32 v64, v64, v73, v74
	v_div_fixup_f32 v65, v64, v65, 1.0
	s_delay_alu instid0(VALU_DEP_1)
	v_mul_f32_e32 v64, v67, v65
	v_xor_b32_e32 v65, 0x80000000, v65
.LBB56_553:
	s_and_not1_saveexec_b32 s1, s1
	s_cbranch_execz .LBB56_555
; %bb.554:
	s_delay_alu instid0(VALU_DEP_1) | instskip(SKIP_1) | instid1(VALU_DEP_2)
	v_div_scale_f32 v67, null, v64, v64, v65
	v_div_scale_f32 v75, vcc_lo, v65, v64, v65
	v_rcp_f32_e32 v73, v67
	v_nop
	s_delay_alu instid0(TRANS32_DEP_1) | instskip(NEXT) | instid1(VALU_DEP_1)
	v_fma_f32 v74, -v67, v73, 1.0
	v_fmac_f32_e32 v73, v74, v73
	s_delay_alu instid0(VALU_DEP_1) | instskip(NEXT) | instid1(VALU_DEP_1)
	v_mul_f32_e32 v74, v75, v73
	v_fma_f32 v76, -v67, v74, v75
	s_delay_alu instid0(VALU_DEP_1) | instskip(NEXT) | instid1(VALU_DEP_1)
	v_fmac_f32_e32 v74, v76, v73
	v_fma_f32 v67, -v67, v74, v75
	s_delay_alu instid0(VALU_DEP_1) | instskip(NEXT) | instid1(VALU_DEP_1)
	v_div_fmas_f32 v67, v67, v73, v74
	v_div_fixup_f32 v67, v67, v64, v65
	s_delay_alu instid0(VALU_DEP_1) | instskip(NEXT) | instid1(VALU_DEP_1)
	v_fmac_f32_e32 v64, v65, v67
	v_div_scale_f32 v65, null, v64, v64, 1.0
	s_delay_alu instid0(VALU_DEP_1) | instskip(SKIP_1) | instid1(TRANS32_DEP_1)
	v_rcp_f32_e32 v73, v65
	v_nop
	v_fma_f32 v74, -v65, v73, 1.0
	s_delay_alu instid0(VALU_DEP_1) | instskip(SKIP_1) | instid1(VALU_DEP_1)
	v_fmac_f32_e32 v73, v74, v73
	v_div_scale_f32 v74, vcc_lo, 1.0, v64, 1.0
	v_mul_f32_e32 v75, v74, v73
	s_delay_alu instid0(VALU_DEP_1) | instskip(NEXT) | instid1(VALU_DEP_1)
	v_fma_f32 v76, -v65, v75, v74
	v_fmac_f32_e32 v75, v76, v73
	s_delay_alu instid0(VALU_DEP_1) | instskip(NEXT) | instid1(VALU_DEP_1)
	v_fma_f32 v65, -v65, v75, v74
	v_div_fmas_f32 v65, v65, v73, v75
	s_delay_alu instid0(VALU_DEP_1) | instskip(NEXT) | instid1(VALU_DEP_1)
	v_div_fixup_f32 v64, v65, v64, 1.0
	v_mul_f32_e64 v65, v67, -v64
.LBB56_555:
	s_or_b32 exec_lo, exec_lo, s1
.LBB56_556:
	s_delay_alu instid0(SALU_CYCLE_1) | instskip(NEXT) | instid1(SALU_CYCLE_1)
	s_or_b32 exec_lo, exec_lo, s0
	s_mov_b32 s0, exec_lo
	v_cmpx_ne_u32_e64 v72, v66
	s_xor_b32 s0, exec_lo, s0
	s_cbranch_execz .LBB56_562
; %bb.557:
	s_mov_b32 s1, exec_lo
	v_cmpx_eq_u32_e32 26, v72
	s_cbranch_execz .LBB56_561
; %bb.558:
	v_cmp_ne_u32_e32 vcc_lo, 26, v66
	s_xor_b32 s12, s16, -1
	s_delay_alu instid0(SALU_CYCLE_1) | instskip(NEXT) | instid1(SALU_CYCLE_1)
	s_and_b32 s13, s12, vcc_lo
	s_and_saveexec_b32 s12, s13
	s_cbranch_execz .LBB56_560
; %bb.559:
	v_ashrrev_i32_e32 v67, 31, v66
	s_delay_alu instid0(VALU_DEP_1)
	v_lshl_add_u64 v[72:73], v[66:67], 2, v[4:5]
	s_clause 0x1
	global_load_b32 v67, v[72:73], off
	global_load_b32 v71, v[4:5], off offset:104
	s_wait_loadcnt 0x1
	global_store_b32 v[4:5], v67, off offset:104
	s_wait_loadcnt 0x0
	global_store_b32 v[72:73], v71, off
.LBB56_560:
	s_wait_xcnt 0x0
	s_or_b32 exec_lo, exec_lo, s12
	v_dual_mov_b32 v72, v66 :: v_dual_mov_b32 v71, v66
.LBB56_561:
	s_or_b32 exec_lo, exec_lo, s1
.LBB56_562:
	s_and_not1_saveexec_b32 s0, s0
; %bb.563:
	v_mov_b32_e32 v72, 26
	ds_store_2addr_b64 v68, v[40:41], v[62:63] offset0:27 offset1:28
; %bb.564:
	s_or_b32 exec_lo, exec_lo, s0
	s_delay_alu instid0(SALU_CYCLE_1)
	s_mov_b32 s0, exec_lo
	s_wait_storecnt_dscnt 0x0
	s_barrier_signal -1
	s_barrier_wait -1
	v_cmpx_lt_i32_e32 26, v72
	s_cbranch_execz .LBB56_566
; %bb.565:
	ds_load_2addr_b64 v[74:77], v68 offset0:27 offset1:28
	v_pk_mul_f32 v[66:67], v[64:65], v[42:43] op_sel:[1,1] op_sel_hi:[0,1]
	s_delay_alu instid0(VALU_DEP_1) | instskip(SKIP_3) | instid1(VALU_DEP_3)
	v_pk_fma_f32 v[78:79], v[64:65], v[42:43], v[66:67] op_sel_hi:[1,0,1]
	v_pk_fma_f32 v[42:43], v[64:65], v[42:43], v[66:67] op_sel_hi:[1,0,1] neg_lo:[0,0,1] neg_hi:[0,0,1]
	s_wait_dscnt 0x0
	v_dual_mov_b32 v80, v77 :: v_dual_mov_b32 v81, v76
	v_pk_mul_f32 v[64:65], v[74:75], v[78:79] op_sel:[0,1]
	s_delay_alu instid0(VALU_DEP_2) | instskip(NEXT) | instid1(VALU_DEP_2)
	v_pk_mul_f32 v[66:67], v[80:81], v[78:79] op_sel:[0,1]
	v_pk_fma_f32 v[80:81], v[74:75], v[42:43], v[64:65] op_sel:[0,0,1] op_sel_hi:[1,0,0]
	v_pk_fma_f32 v[64:65], v[74:75], v[42:43], v[64:65] op_sel:[0,0,1] op_sel_hi:[1,1,0] neg_lo:[0,0,1] neg_hi:[0,0,1]
	s_delay_alu instid0(VALU_DEP_3) | instskip(SKIP_1) | instid1(VALU_DEP_4)
	v_pk_fma_f32 v[82:83], v[76:77], v[42:43], v[66:67] op_sel_hi:[1,0,1]
	v_pk_fma_f32 v[66:67], v[76:77], v[42:43], v[66:67] neg_lo:[0,0,1] neg_hi:[0,0,1]
	v_dual_mov_b32 v65, v81 :: v_dual_mov_b32 v43, v79
	s_delay_alu instid0(VALU_DEP_3) | instskip(NEXT) | instid1(VALU_DEP_2)
	v_mov_b32_e32 v67, v83
	v_pk_add_f32 v[40:41], v[40:41], v[64:65] neg_lo:[0,1] neg_hi:[0,1]
	s_delay_alu instid0(VALU_DEP_2)
	v_pk_add_f32 v[62:63], v[62:63], v[66:67] neg_lo:[0,1] neg_hi:[0,1]
.LBB56_566:
	s_or_b32 exec_lo, exec_lo, s0
	v_lshl_add_u32 v64, v72, 3, v68
	s_barrier_signal -1
	s_barrier_wait -1
	ds_store_b64 v64, v[40:41]
	s_wait_dscnt 0x0
	s_barrier_signal -1
	s_barrier_wait -1
	ds_load_b64 v[64:65], v68 offset:216
	v_mov_b32_e32 v66, 27
	s_cmp_lt_i32 s18, 29
	s_cbranch_scc1 .LBB56_569
; %bb.567:
	v_add3_u32 v67, v69, 0, 0xe0
	v_mov_b32_e32 v66, 27
	s_mov_b32 s0, 28
.LBB56_568:                             ; =>This Inner Loop Header: Depth=1
	ds_load_b64 v[74:75], v67
	s_wait_dscnt 0x1
	v_cmp_gt_f32_e32 vcc_lo, 0, v64
	v_cndmask_b32_e64 v76, v64, -v64, vcc_lo
	v_cmp_gt_f32_e32 vcc_lo, 0, v65
	v_cndmask_b32_e64 v78, v65, -v65, vcc_lo
	s_wait_dscnt 0x0
	v_cmp_gt_f32_e32 vcc_lo, 0, v74
	v_cndmask_b32_e64 v77, v74, -v74, vcc_lo
	v_cmp_gt_f32_e32 vcc_lo, 0, v75
	v_cndmask_b32_e64 v79, v75, -v75, vcc_lo
	s_delay_alu instid0(VALU_DEP_1) | instskip(NEXT) | instid1(VALU_DEP_1)
	v_pk_add_f32 v[76:77], v[76:77], v[78:79]
	v_cmp_lt_f32_e32 vcc_lo, v76, v77
	v_dual_cndmask_b32 v64, v64, v74 :: v_dual_add_nc_u32 v67, 8, v67
	v_cndmask_b32_e32 v65, v65, v75, vcc_lo
	v_cndmask_b32_e64 v66, v66, s0, vcc_lo
	s_add_co_i32 s0, s0, 1
	s_delay_alu instid0(SALU_CYCLE_1)
	s_cmp_lg_u32 s18, s0
	s_cbranch_scc1 .LBB56_568
.LBB56_569:
	s_wait_dscnt 0x0
	v_cmp_eq_f32_e32 vcc_lo, 0, v64
	v_cmp_eq_f32_e64 s0, 0, v65
	s_and_b32 s0, vcc_lo, s0
	s_delay_alu instid0(SALU_CYCLE_1) | instskip(NEXT) | instid1(SALU_CYCLE_1)
	s_and_saveexec_b32 s1, s0
	s_xor_b32 s0, exec_lo, s1
; %bb.570:
	v_cmp_ne_u32_e32 vcc_lo, 0, v70
	v_cndmask_b32_e32 v70, 28, v70, vcc_lo
; %bb.571:
	s_and_not1_saveexec_b32 s0, s0
	s_cbranch_execz .LBB56_577
; %bb.572:
	v_cmp_ngt_f32_e64 s1, |v64|, |v65|
	s_and_saveexec_b32 s12, s1
	s_delay_alu instid0(SALU_CYCLE_1)
	s_xor_b32 s1, exec_lo, s12
	s_cbranch_execz .LBB56_574
; %bb.573:
	v_div_scale_f32 v67, null, v65, v65, v64
	v_div_scale_f32 v75, vcc_lo, v64, v65, v64
	s_delay_alu instid0(VALU_DEP_2) | instskip(SKIP_1) | instid1(TRANS32_DEP_1)
	v_rcp_f32_e32 v73, v67
	v_nop
	v_fma_f32 v74, -v67, v73, 1.0
	s_delay_alu instid0(VALU_DEP_1) | instskip(NEXT) | instid1(VALU_DEP_1)
	v_fmac_f32_e32 v73, v74, v73
	v_mul_f32_e32 v74, v75, v73
	s_delay_alu instid0(VALU_DEP_1) | instskip(NEXT) | instid1(VALU_DEP_1)
	v_fma_f32 v76, -v67, v74, v75
	v_fmac_f32_e32 v74, v76, v73
	s_delay_alu instid0(VALU_DEP_1) | instskip(NEXT) | instid1(VALU_DEP_1)
	v_fma_f32 v67, -v67, v74, v75
	v_div_fmas_f32 v67, v67, v73, v74
	s_delay_alu instid0(VALU_DEP_1) | instskip(NEXT) | instid1(VALU_DEP_1)
	v_div_fixup_f32 v67, v67, v65, v64
	v_fmac_f32_e32 v65, v64, v67
	s_delay_alu instid0(VALU_DEP_1) | instskip(SKIP_1) | instid1(VALU_DEP_2)
	v_div_scale_f32 v64, null, v65, v65, 1.0
	v_div_scale_f32 v75, vcc_lo, 1.0, v65, 1.0
	v_rcp_f32_e32 v73, v64
	v_nop
	s_delay_alu instid0(TRANS32_DEP_1) | instskip(NEXT) | instid1(VALU_DEP_1)
	v_fma_f32 v74, -v64, v73, 1.0
	v_fmac_f32_e32 v73, v74, v73
	s_delay_alu instid0(VALU_DEP_1) | instskip(NEXT) | instid1(VALU_DEP_1)
	v_mul_f32_e32 v74, v75, v73
	v_fma_f32 v76, -v64, v74, v75
	s_delay_alu instid0(VALU_DEP_1) | instskip(NEXT) | instid1(VALU_DEP_1)
	v_fmac_f32_e32 v74, v76, v73
	v_fma_f32 v64, -v64, v74, v75
	s_delay_alu instid0(VALU_DEP_1) | instskip(NEXT) | instid1(VALU_DEP_1)
	v_div_fmas_f32 v64, v64, v73, v74
	v_div_fixup_f32 v65, v64, v65, 1.0
	s_delay_alu instid0(VALU_DEP_1)
	v_mul_f32_e32 v64, v67, v65
	v_xor_b32_e32 v65, 0x80000000, v65
.LBB56_574:
	s_and_not1_saveexec_b32 s1, s1
	s_cbranch_execz .LBB56_576
; %bb.575:
	s_delay_alu instid0(VALU_DEP_1) | instskip(SKIP_1) | instid1(VALU_DEP_2)
	v_div_scale_f32 v67, null, v64, v64, v65
	v_div_scale_f32 v75, vcc_lo, v65, v64, v65
	v_rcp_f32_e32 v73, v67
	v_nop
	s_delay_alu instid0(TRANS32_DEP_1) | instskip(NEXT) | instid1(VALU_DEP_1)
	v_fma_f32 v74, -v67, v73, 1.0
	v_fmac_f32_e32 v73, v74, v73
	s_delay_alu instid0(VALU_DEP_1) | instskip(NEXT) | instid1(VALU_DEP_1)
	v_mul_f32_e32 v74, v75, v73
	v_fma_f32 v76, -v67, v74, v75
	s_delay_alu instid0(VALU_DEP_1) | instskip(NEXT) | instid1(VALU_DEP_1)
	v_fmac_f32_e32 v74, v76, v73
	v_fma_f32 v67, -v67, v74, v75
	s_delay_alu instid0(VALU_DEP_1) | instskip(NEXT) | instid1(VALU_DEP_1)
	v_div_fmas_f32 v67, v67, v73, v74
	v_div_fixup_f32 v67, v67, v64, v65
	s_delay_alu instid0(VALU_DEP_1) | instskip(NEXT) | instid1(VALU_DEP_1)
	v_fmac_f32_e32 v64, v65, v67
	v_div_scale_f32 v65, null, v64, v64, 1.0
	s_delay_alu instid0(VALU_DEP_1) | instskip(SKIP_1) | instid1(TRANS32_DEP_1)
	v_rcp_f32_e32 v73, v65
	v_nop
	v_fma_f32 v74, -v65, v73, 1.0
	s_delay_alu instid0(VALU_DEP_1) | instskip(SKIP_1) | instid1(VALU_DEP_1)
	v_fmac_f32_e32 v73, v74, v73
	v_div_scale_f32 v74, vcc_lo, 1.0, v64, 1.0
	v_mul_f32_e32 v75, v74, v73
	s_delay_alu instid0(VALU_DEP_1) | instskip(NEXT) | instid1(VALU_DEP_1)
	v_fma_f32 v76, -v65, v75, v74
	v_fmac_f32_e32 v75, v76, v73
	s_delay_alu instid0(VALU_DEP_1) | instskip(NEXT) | instid1(VALU_DEP_1)
	v_fma_f32 v65, -v65, v75, v74
	v_div_fmas_f32 v65, v65, v73, v75
	s_delay_alu instid0(VALU_DEP_1) | instskip(NEXT) | instid1(VALU_DEP_1)
	v_div_fixup_f32 v64, v65, v64, 1.0
	v_mul_f32_e64 v65, v67, -v64
.LBB56_576:
	s_or_b32 exec_lo, exec_lo, s1
.LBB56_577:
	s_delay_alu instid0(SALU_CYCLE_1) | instskip(NEXT) | instid1(SALU_CYCLE_1)
	s_or_b32 exec_lo, exec_lo, s0
	s_mov_b32 s0, exec_lo
	v_cmpx_ne_u32_e64 v72, v66
	s_xor_b32 s0, exec_lo, s0
	s_cbranch_execz .LBB56_583
; %bb.578:
	s_mov_b32 s1, exec_lo
	v_cmpx_eq_u32_e32 27, v72
	s_cbranch_execz .LBB56_582
; %bb.579:
	v_cmp_ne_u32_e32 vcc_lo, 27, v66
	s_xor_b32 s12, s16, -1
	s_delay_alu instid0(SALU_CYCLE_1) | instskip(NEXT) | instid1(SALU_CYCLE_1)
	s_and_b32 s13, s12, vcc_lo
	s_and_saveexec_b32 s12, s13
	s_cbranch_execz .LBB56_581
; %bb.580:
	v_ashrrev_i32_e32 v67, 31, v66
	s_delay_alu instid0(VALU_DEP_1)
	v_lshl_add_u64 v[72:73], v[66:67], 2, v[4:5]
	s_clause 0x1
	global_load_b32 v67, v[72:73], off
	global_load_b32 v71, v[4:5], off offset:108
	s_wait_loadcnt 0x1
	global_store_b32 v[4:5], v67, off offset:108
	s_wait_loadcnt 0x0
	global_store_b32 v[72:73], v71, off
.LBB56_581:
	s_wait_xcnt 0x0
	s_or_b32 exec_lo, exec_lo, s12
	v_dual_mov_b32 v72, v66 :: v_dual_mov_b32 v71, v66
.LBB56_582:
	s_or_b32 exec_lo, exec_lo, s1
.LBB56_583:
	s_and_not1_saveexec_b32 s0, s0
; %bb.584:
	v_mov_b32_e32 v72, 27
	ds_store_b64 v68, v[62:63] offset:224
; %bb.585:
	s_or_b32 exec_lo, exec_lo, s0
	s_delay_alu instid0(SALU_CYCLE_1)
	s_mov_b32 s0, exec_lo
	s_wait_storecnt_dscnt 0x0
	s_barrier_signal -1
	s_barrier_wait -1
	v_cmpx_lt_i32_e32 27, v72
	s_cbranch_execz .LBB56_587
; %bb.586:
	ds_load_b64 v[66:67], v68 offset:224
	v_pk_mul_f32 v[74:75], v[64:65], v[40:41] op_sel:[1,1] op_sel_hi:[0,1]
	s_delay_alu instid0(VALU_DEP_1) | instskip(SKIP_2) | instid1(VALU_DEP_2)
	v_pk_fma_f32 v[76:77], v[64:65], v[40:41], v[74:75] op_sel_hi:[1,0,1]
	v_pk_fma_f32 v[40:41], v[64:65], v[40:41], v[74:75] op_sel_hi:[1,0,1] neg_lo:[0,0,1] neg_hi:[0,0,1]
	s_wait_dscnt 0x0
	v_pk_mul_f32 v[64:65], v[66:67], v[76:77] op_sel:[1,1] op_sel_hi:[0,1]
	s_delay_alu instid0(VALU_DEP_1) | instskip(SKIP_1) | instid1(VALU_DEP_2)
	v_pk_fma_f32 v[74:75], v[66:67], v[40:41], v[64:65] op_sel_hi:[1,0,1]
	v_pk_fma_f32 v[64:65], v[66:67], v[40:41], v[64:65] neg_lo:[0,0,1] neg_hi:[0,0,1]
	v_dual_mov_b32 v41, v77 :: v_dual_mov_b32 v65, v75
	s_delay_alu instid0(VALU_DEP_1)
	v_pk_add_f32 v[62:63], v[62:63], v[64:65] neg_lo:[0,1] neg_hi:[0,1]
.LBB56_587:
	s_or_b32 exec_lo, exec_lo, s0
	v_lshl_add_u32 v64, v72, 3, v68
	s_barrier_signal -1
	s_barrier_wait -1
	ds_store_b64 v64, v[62:63]
	s_wait_dscnt 0x0
	s_barrier_signal -1
	s_barrier_wait -1
	ds_load_b64 v[64:65], v68 offset:224
	v_mov_b32_e32 v66, 28
	s_cmp_lt_i32 s18, 30
	s_cbranch_scc1 .LBB56_590
; %bb.588:
	v_add3_u32 v67, v69, 0, 0xe8
	v_mov_b32_e32 v66, 28
	s_mov_b32 s0, 29
.LBB56_589:                             ; =>This Inner Loop Header: Depth=1
	ds_load_b64 v[68:69], v67
	s_wait_dscnt 0x1
	v_cmp_gt_f32_e32 vcc_lo, 0, v64
	v_cndmask_b32_e64 v74, v64, -v64, vcc_lo
	v_cmp_gt_f32_e32 vcc_lo, 0, v65
	v_cndmask_b32_e64 v76, v65, -v65, vcc_lo
	s_wait_dscnt 0x0
	v_cmp_gt_f32_e32 vcc_lo, 0, v68
	v_cndmask_b32_e64 v75, v68, -v68, vcc_lo
	v_cmp_gt_f32_e32 vcc_lo, 0, v69
	v_cndmask_b32_e64 v77, v69, -v69, vcc_lo
	s_delay_alu instid0(VALU_DEP_1) | instskip(NEXT) | instid1(VALU_DEP_1)
	v_pk_add_f32 v[74:75], v[74:75], v[76:77]
	v_cmp_lt_f32_e32 vcc_lo, v74, v75
	v_dual_add_nc_u32 v67, 8, v67 :: v_dual_cndmask_b32 v65, v65, v69, vcc_lo
	v_cndmask_b32_e32 v64, v64, v68, vcc_lo
	v_cndmask_b32_e64 v66, v66, s0, vcc_lo
	s_add_co_i32 s0, s0, 1
	s_delay_alu instid0(SALU_CYCLE_1)
	s_cmp_lg_u32 s18, s0
	s_cbranch_scc1 .LBB56_589
.LBB56_590:
	s_wait_dscnt 0x0
	v_cmp_eq_f32_e32 vcc_lo, 0, v64
	v_cmp_eq_f32_e64 s0, 0, v65
	s_and_b32 s0, vcc_lo, s0
	s_delay_alu instid0(SALU_CYCLE_1) | instskip(NEXT) | instid1(SALU_CYCLE_1)
	s_and_saveexec_b32 s1, s0
	s_xor_b32 s0, exec_lo, s1
; %bb.591:
	v_cmp_ne_u32_e32 vcc_lo, 0, v70
	v_cndmask_b32_e32 v70, 29, v70, vcc_lo
; %bb.592:
	s_and_not1_saveexec_b32 s0, s0
	s_cbranch_execz .LBB56_598
; %bb.593:
	v_cmp_ngt_f32_e64 s1, |v64|, |v65|
	s_and_saveexec_b32 s12, s1
	s_delay_alu instid0(SALU_CYCLE_1)
	s_xor_b32 s1, exec_lo, s12
	s_cbranch_execz .LBB56_595
; %bb.594:
	v_div_scale_f32 v67, null, v65, v65, v64
	v_div_scale_f32 v73, vcc_lo, v64, v65, v64
	s_delay_alu instid0(VALU_DEP_2) | instskip(SKIP_1) | instid1(TRANS32_DEP_1)
	v_rcp_f32_e32 v68, v67
	v_nop
	v_fma_f32 v69, -v67, v68, 1.0
	s_delay_alu instid0(VALU_DEP_1) | instskip(NEXT) | instid1(VALU_DEP_1)
	v_fmac_f32_e32 v68, v69, v68
	v_mul_f32_e32 v69, v73, v68
	s_delay_alu instid0(VALU_DEP_1) | instskip(NEXT) | instid1(VALU_DEP_1)
	v_fma_f32 v74, -v67, v69, v73
	v_fmac_f32_e32 v69, v74, v68
	s_delay_alu instid0(VALU_DEP_1) | instskip(NEXT) | instid1(VALU_DEP_1)
	v_fma_f32 v67, -v67, v69, v73
	v_div_fmas_f32 v67, v67, v68, v69
	s_delay_alu instid0(VALU_DEP_1) | instskip(NEXT) | instid1(VALU_DEP_1)
	v_div_fixup_f32 v67, v67, v65, v64
	v_fmac_f32_e32 v65, v64, v67
	s_delay_alu instid0(VALU_DEP_1) | instskip(SKIP_1) | instid1(VALU_DEP_2)
	v_div_scale_f32 v64, null, v65, v65, 1.0
	v_div_scale_f32 v73, vcc_lo, 1.0, v65, 1.0
	v_rcp_f32_e32 v68, v64
	v_nop
	s_delay_alu instid0(TRANS32_DEP_1) | instskip(NEXT) | instid1(VALU_DEP_1)
	v_fma_f32 v69, -v64, v68, 1.0
	v_fmac_f32_e32 v68, v69, v68
	s_delay_alu instid0(VALU_DEP_1) | instskip(NEXT) | instid1(VALU_DEP_1)
	v_mul_f32_e32 v69, v73, v68
	v_fma_f32 v74, -v64, v69, v73
	s_delay_alu instid0(VALU_DEP_1) | instskip(NEXT) | instid1(VALU_DEP_1)
	v_fmac_f32_e32 v69, v74, v68
	v_fma_f32 v64, -v64, v69, v73
	s_delay_alu instid0(VALU_DEP_1) | instskip(NEXT) | instid1(VALU_DEP_1)
	v_div_fmas_f32 v64, v64, v68, v69
	v_div_fixup_f32 v65, v64, v65, 1.0
	s_delay_alu instid0(VALU_DEP_1)
	v_mul_f32_e32 v64, v67, v65
	v_xor_b32_e32 v65, 0x80000000, v65
.LBB56_595:
	s_and_not1_saveexec_b32 s1, s1
	s_cbranch_execz .LBB56_597
; %bb.596:
	s_delay_alu instid0(VALU_DEP_1) | instskip(SKIP_1) | instid1(VALU_DEP_2)
	v_div_scale_f32 v67, null, v64, v64, v65
	v_div_scale_f32 v73, vcc_lo, v65, v64, v65
	v_rcp_f32_e32 v68, v67
	v_nop
	s_delay_alu instid0(TRANS32_DEP_1) | instskip(NEXT) | instid1(VALU_DEP_1)
	v_fma_f32 v69, -v67, v68, 1.0
	v_fmac_f32_e32 v68, v69, v68
	s_delay_alu instid0(VALU_DEP_1) | instskip(NEXT) | instid1(VALU_DEP_1)
	v_mul_f32_e32 v69, v73, v68
	v_fma_f32 v74, -v67, v69, v73
	s_delay_alu instid0(VALU_DEP_1) | instskip(NEXT) | instid1(VALU_DEP_1)
	v_fmac_f32_e32 v69, v74, v68
	v_fma_f32 v67, -v67, v69, v73
	s_delay_alu instid0(VALU_DEP_1) | instskip(NEXT) | instid1(VALU_DEP_1)
	v_div_fmas_f32 v67, v67, v68, v69
	v_div_fixup_f32 v67, v67, v64, v65
	s_delay_alu instid0(VALU_DEP_1) | instskip(NEXT) | instid1(VALU_DEP_1)
	v_fmac_f32_e32 v64, v65, v67
	v_div_scale_f32 v65, null, v64, v64, 1.0
	s_delay_alu instid0(VALU_DEP_1) | instskip(SKIP_1) | instid1(TRANS32_DEP_1)
	v_rcp_f32_e32 v68, v65
	v_nop
	v_fma_f32 v69, -v65, v68, 1.0
	s_delay_alu instid0(VALU_DEP_1) | instskip(SKIP_1) | instid1(VALU_DEP_1)
	v_fmac_f32_e32 v68, v69, v68
	v_div_scale_f32 v69, vcc_lo, 1.0, v64, 1.0
	v_mul_f32_e32 v73, v69, v68
	s_delay_alu instid0(VALU_DEP_1) | instskip(NEXT) | instid1(VALU_DEP_1)
	v_fma_f32 v74, -v65, v73, v69
	v_fmac_f32_e32 v73, v74, v68
	s_delay_alu instid0(VALU_DEP_1) | instskip(NEXT) | instid1(VALU_DEP_1)
	v_fma_f32 v65, -v65, v73, v69
	v_div_fmas_f32 v65, v65, v68, v73
	s_delay_alu instid0(VALU_DEP_1) | instskip(NEXT) | instid1(VALU_DEP_1)
	v_div_fixup_f32 v64, v65, v64, 1.0
	v_mul_f32_e64 v65, v67, -v64
.LBB56_597:
	s_or_b32 exec_lo, exec_lo, s1
.LBB56_598:
	s_delay_alu instid0(SALU_CYCLE_1)
	s_or_b32 exec_lo, exec_lo, s0
	v_mov_b32_e32 v68, 28
	s_mov_b32 s0, exec_lo
	v_cmpx_ne_u32_e64 v72, v66
	s_cbranch_execz .LBB56_604
; %bb.599:
	s_mov_b32 s1, exec_lo
	v_cmpx_eq_u32_e32 28, v72
	s_cbranch_execz .LBB56_603
; %bb.600:
	v_cmp_ne_u32_e32 vcc_lo, 28, v66
	s_xor_b32 s12, s16, -1
	s_delay_alu instid0(SALU_CYCLE_1) | instskip(NEXT) | instid1(SALU_CYCLE_1)
	s_and_b32 s13, s12, vcc_lo
	s_and_saveexec_b32 s12, s13
	s_cbranch_execz .LBB56_602
; %bb.601:
	v_ashrrev_i32_e32 v67, 31, v66
	s_delay_alu instid0(VALU_DEP_1)
	v_lshl_add_u64 v[68:69], v[66:67], 2, v[4:5]
	s_clause 0x1
	global_load_b32 v67, v[68:69], off
	global_load_b32 v71, v[4:5], off offset:112
	s_wait_loadcnt 0x1
	global_store_b32 v[4:5], v67, off offset:112
	s_wait_loadcnt 0x0
	global_store_b32 v[68:69], v71, off
.LBB56_602:
	s_wait_xcnt 0x0
	s_or_b32 exec_lo, exec_lo, s12
	v_dual_mov_b32 v72, v66 :: v_dual_mov_b32 v71, v66
.LBB56_603:
	s_or_b32 exec_lo, exec_lo, s1
	s_delay_alu instid0(VALU_DEP_1)
	v_mov_b32_e32 v68, v72
.LBB56_604:
	s_or_b32 exec_lo, exec_lo, s0
	s_delay_alu instid0(VALU_DEP_1)
	v_ashrrev_i32_e32 v69, 31, v68
	s_mov_b32 s0, exec_lo
	s_wait_storecnt 0x0
	s_barrier_signal -1
	s_barrier_wait -1
	s_barrier_signal -1
	s_barrier_wait -1
	v_cmpx_gt_i32_e32 29, v68
	s_cbranch_execz .LBB56_606
; %bb.605:
	v_mul_u64_e32 v[4:5], s[10:11], v[2:3]
	v_add3_u32 v66, v71, s17, 1
	s_delay_alu instid0(VALU_DEP_2) | instskip(NEXT) | instid1(VALU_DEP_1)
	v_lshl_add_u64 v[4:5], v[4:5], 2, s[6:7]
	v_lshl_add_u64 v[4:5], s[8:9], 2, v[4:5]
	s_delay_alu instid0(VALU_DEP_1)
	v_lshl_add_u64 v[4:5], v[68:69], 2, v[4:5]
	global_store_b32 v[4:5], v66, off
.LBB56_606:
	s_wait_xcnt 0x0
	s_or_b32 exec_lo, exec_lo, s0
	s_delay_alu instid0(SALU_CYCLE_1)
	s_mov_b32 s1, exec_lo
	v_cmpx_eq_u32_e32 0, v68
	s_cbranch_execz .LBB56_609
; %bb.607:
	s_wait_kmcnt 0x0
	v_lshl_add_u64 v[2:3], v[2:3], 2, s[4:5]
	v_cmp_ne_u32_e64 s0, 0, v70
	global_load_b32 v4, v[2:3], off
	s_wait_loadcnt 0x0
	v_cmp_eq_u32_e32 vcc_lo, 0, v4
	s_and_b32 s0, vcc_lo, s0
	s_wait_xcnt 0x0
	s_and_b32 exec_lo, exec_lo, s0
	s_cbranch_execz .LBB56_609
; %bb.608:
	v_add_nc_u32_e32 v4, s17, v70
	global_store_b32 v[2:3], v4, off
.LBB56_609:
	s_wait_xcnt 0x0
	s_or_b32 exec_lo, exec_lo, s1
	v_add3_u32 v2, s2, s2, v68
	v_pk_mul_f32 v[78:79], v[64:65], v[62:63] op_sel:[1,1] op_sel_hi:[0,1]
	v_cmp_lt_i32_e32 vcc_lo, 28, v68
	v_lshl_add_u64 v[68:69], v[68:69], 3, v[0:1]
	s_delay_alu instid0(VALU_DEP_4) | instskip(NEXT) | instid1(VALU_DEP_4)
	v_add_nc_u32_e32 v4, s2, v2
	v_pk_fma_f32 v[82:83], v[64:65], v[62:63], v[78:79] op_sel_hi:[1,0,1]
	v_pk_fma_f32 v[64:65], v[64:65], v[62:63], v[78:79] neg_lo:[0,0,1] neg_hi:[0,0,1]
	s_delay_alu instid0(VALU_DEP_3) | instskip(NEXT) | instid1(VALU_DEP_3)
	v_dual_ashrrev_i32 v3, 31, v2 :: v_dual_add_nc_u32 v66, s2, v4
	v_cndmask_b32_e32 v63, v63, v83, vcc_lo
	s_delay_alu instid0(VALU_DEP_2) | instskip(NEXT) | instid1(VALU_DEP_3)
	v_lshl_add_u64 v[2:3], v[2:3], 3, v[0:1]
	v_add_nc_u32_e32 v70, s2, v66
	s_delay_alu instid0(VALU_DEP_1) | instskip(NEXT) | instid1(VALU_DEP_1)
	v_add_nc_u32_e32 v72, s2, v70
	v_dual_ashrrev_i32 v67, 31, v66 :: v_dual_add_nc_u32 v74, s2, v72
	s_delay_alu instid0(VALU_DEP_1) | instskip(NEXT) | instid1(VALU_DEP_1)
	v_dual_ashrrev_i32 v73, 31, v72 :: v_dual_add_nc_u32 v76, s2, v74
	v_dual_add_nc_u32 v80, s2, v76 :: v_dual_ashrrev_i32 v71, 31, v70
	s_delay_alu instid0(VALU_DEP_1) | instskip(SKIP_1) | instid1(VALU_DEP_2)
	v_add_nc_u32_e32 v78, s2, v80
	v_ashrrev_i32_e32 v5, 31, v4
	v_dual_ashrrev_i32 v77, 31, v76 :: v_dual_ashrrev_i32 v79, 31, v78
	v_dual_add_nc_u32 v82, s2, v78 :: v_dual_cndmask_b32 v62, v62, v64, vcc_lo
	v_lshl_add_u64 v[64:65], s[2:3], 3, v[68:69]
	s_delay_alu instid0(VALU_DEP_4)
	v_lshl_add_u64 v[4:5], v[4:5], 3, v[0:1]
	s_clause 0x3
	global_store_b64 v[68:69], v[58:59], off
	global_store_b64 v[64:65], v[60:61], off
	;; [unrolled: 1-line block ×4, first 2 shown]
	v_add_nc_u32_e32 v84, s2, v82
	s_wait_xcnt 0x1
	v_lshl_add_u64 v[56:57], v[70:71], 3, v[0:1]
	v_lshl_add_u64 v[58:59], v[72:73], 3, v[0:1]
	v_dual_ashrrev_i32 v81, 31, v80 :: v_dual_ashrrev_i32 v83, 31, v82
	v_add_nc_u32_e32 v2, s2, v84
	s_wait_xcnt 0x0
	v_lshl_add_u64 v[54:55], v[66:67], 3, v[0:1]
	s_delay_alu instid0(VALU_DEP_2) | instskip(NEXT) | instid1(VALU_DEP_1)
	v_dual_ashrrev_i32 v85, 31, v84 :: v_dual_add_nc_u32 v4, s2, v2
	v_dual_ashrrev_i32 v75, 31, v74 :: v_dual_add_nc_u32 v64, s2, v4
	s_delay_alu instid0(VALU_DEP_1)
	v_lshl_add_u64 v[60:61], v[74:75], 3, v[0:1]
	s_clause 0x3
	global_store_b64 v[54:55], v[14:15], off
	global_store_b64 v[56:57], v[10:11], off
	;; [unrolled: 1-line block ×4, first 2 shown]
	s_wait_xcnt 0x1
	v_lshl_add_u64 v[12:13], v[76:77], 3, v[0:1]
	s_wait_xcnt 0x0
	v_add_nc_u32_e32 v8, s2, v64
	v_lshl_add_u64 v[14:15], v[80:81], 3, v[0:1]
	v_lshl_add_u64 v[54:55], v[78:79], 3, v[0:1]
	;; [unrolled: 1-line block ×3, first 2 shown]
	s_clause 0x3
	global_store_b64 v[12:13], v[22:23], off
	global_store_b64 v[14:15], v[18:19], off
	;; [unrolled: 1-line block ×4, first 2 shown]
	v_dual_add_nc_u32 v10, s2, v8 :: v_dual_ashrrev_i32 v3, 31, v2
	v_ashrrev_i32_e32 v5, 31, v4
	s_wait_xcnt 0x0
	v_lshl_add_u64 v[16:17], v[84:85], 3, v[0:1]
	s_delay_alu instid0(VALU_DEP_3) | instskip(SKIP_2) | instid1(VALU_DEP_3)
	v_add_nc_u32_e32 v58, s2, v10
	v_lshl_add_u64 v[2:3], v[2:3], 3, v[0:1]
	v_lshl_add_u64 v[4:5], v[4:5], 3, v[0:1]
	v_add_nc_u32_e32 v12, s2, v58
	v_ashrrev_i32_e32 v11, 31, v10
	s_delay_alu instid0(VALU_DEP_2) | instskip(SKIP_1) | instid1(VALU_DEP_3)
	v_dual_ashrrev_i32 v59, 31, v58 :: v_dual_add_nc_u32 v14, s2, v12
	v_ashrrev_i32_e32 v65, 31, v64
	v_lshl_add_u64 v[10:11], v[10:11], 3, v[0:1]
	s_delay_alu instid0(VALU_DEP_3) | instskip(NEXT) | instid1(VALU_DEP_3)
	v_add_nc_u32_e32 v20, s2, v14
	v_lshl_add_u64 v[18:19], v[64:65], 3, v[0:1]
	s_clause 0x3
	global_store_b64 v[16:17], v[30:31], off
	global_store_b64 v[2:3], v[26:27], off
	;; [unrolled: 1-line block ×4, first 2 shown]
	s_wait_xcnt 0x3
	v_lshl_add_u64 v[16:17], v[58:59], 3, v[0:1]
	s_wait_xcnt 0x2
	v_add_nc_u32_e32 v2, s2, v20
	v_ashrrev_i32_e32 v9, 31, v8
	v_dual_ashrrev_i32 v21, 31, v20 :: v_dual_ashrrev_i32 v15, 31, v14
	s_wait_xcnt 0x1
	s_delay_alu instid0(VALU_DEP_3) | instskip(NEXT) | instid1(VALU_DEP_3)
	v_add_nc_u32_e32 v4, s2, v2
	v_lshl_add_u64 v[8:9], v[8:9], 3, v[0:1]
	s_wait_xcnt 0x0
	s_delay_alu instid0(VALU_DEP_2) | instskip(SKIP_1) | instid1(VALU_DEP_2)
	v_dual_ashrrev_i32 v3, 31, v2 :: v_dual_add_nc_u32 v18, s2, v4
	v_ashrrev_i32_e32 v13, 31, v12
	v_lshl_add_u64 v[2:3], v[2:3], 3, v[0:1]
	s_delay_alu instid0(VALU_DEP_3) | instskip(NEXT) | instid1(VALU_DEP_3)
	v_ashrrev_i32_e32 v19, 31, v18
	v_lshl_add_u64 v[12:13], v[12:13], 3, v[0:1]
	s_clause 0x3
	global_store_b64 v[8:9], v[50:51], off
	global_store_b64 v[10:11], v[46:47], off
	global_store_b64 v[16:17], v[48:49], off
	global_store_b64 v[12:13], v[44:45], off
	s_wait_xcnt 0x3
	v_add_nc_u32_e32 v8, s2, v18
	s_wait_xcnt 0x0
	v_lshl_add_u64 v[12:13], v[14:15], 3, v[0:1]
	v_lshl_add_u64 v[14:15], v[20:21], 3, v[0:1]
	s_delay_alu instid0(VALU_DEP_3) | instskip(NEXT) | instid1(VALU_DEP_1)
	v_add_nc_u32_e32 v10, s2, v8
	v_dual_ashrrev_i32 v5, 31, v4 :: v_dual_add_nc_u32 v16, s2, v10
	s_delay_alu instid0(VALU_DEP_1)
	v_lshl_add_u64 v[4:5], v[4:5], 3, v[0:1]
	s_clause 0x3
	global_store_b64 v[12:13], v[38:39], off
	global_store_b64 v[14:15], v[34:35], off
	;; [unrolled: 1-line block ×4, first 2 shown]
	s_wait_xcnt 0x1
	v_dual_ashrrev_i32 v11, 31, v10 :: v_dual_add_nc_u32 v2, s2, v16
	v_ashrrev_i32_e32 v9, 31, v8
	v_ashrrev_i32_e32 v17, 31, v16
	s_wait_xcnt 0x0
	v_lshl_add_u64 v[4:5], v[18:19], 3, v[0:1]
	v_lshl_add_u64 v[10:11], v[10:11], 3, v[0:1]
	v_ashrrev_i32_e32 v3, 31, v2
	v_lshl_add_u64 v[8:9], v[8:9], 3, v[0:1]
	v_lshl_add_u64 v[12:13], v[16:17], 3, v[0:1]
	s_delay_alu instid0(VALU_DEP_3)
	v_lshl_add_u64 v[0:1], v[2:3], 3, v[0:1]
	s_clause 0x4
	global_store_b64 v[4:5], v[6:7], off
	global_store_b64 v[8:9], v[52:53], off
	;; [unrolled: 1-line block ×5, first 2 shown]
.LBB56_610:
	s_sendmsg sendmsg(MSG_DEALLOC_VGPRS)
	s_endpgm
	.section	.rodata,"a",@progbits
	.p2align	6, 0x0
	.amdhsa_kernel _ZN9rocsolver6v33100L18getf2_small_kernelILi29E19rocblas_complex_numIfEiiPS3_EEvT1_T3_lS5_lPS5_llPT2_S5_S5_S7_l
		.amdhsa_group_segment_fixed_size 0
		.amdhsa_private_segment_fixed_size 0
		.amdhsa_kernarg_size 352
		.amdhsa_user_sgpr_count 2
		.amdhsa_user_sgpr_dispatch_ptr 0
		.amdhsa_user_sgpr_queue_ptr 0
		.amdhsa_user_sgpr_kernarg_segment_ptr 1
		.amdhsa_user_sgpr_dispatch_id 0
		.amdhsa_user_sgpr_kernarg_preload_length 0
		.amdhsa_user_sgpr_kernarg_preload_offset 0
		.amdhsa_user_sgpr_private_segment_size 0
		.amdhsa_wavefront_size32 1
		.amdhsa_uses_dynamic_stack 0
		.amdhsa_enable_private_segment 0
		.amdhsa_system_sgpr_workgroup_id_x 1
		.amdhsa_system_sgpr_workgroup_id_y 1
		.amdhsa_system_sgpr_workgroup_id_z 0
		.amdhsa_system_sgpr_workgroup_info 0
		.amdhsa_system_vgpr_workitem_id 1
		.amdhsa_next_free_vgpr 98
		.amdhsa_next_free_sgpr 19
		.amdhsa_named_barrier_count 0
		.amdhsa_reserve_vcc 1
		.amdhsa_float_round_mode_32 0
		.amdhsa_float_round_mode_16_64 0
		.amdhsa_float_denorm_mode_32 3
		.amdhsa_float_denorm_mode_16_64 3
		.amdhsa_fp16_overflow 0
		.amdhsa_memory_ordered 1
		.amdhsa_forward_progress 1
		.amdhsa_inst_pref_size 255
		.amdhsa_round_robin_scheduling 0
		.amdhsa_exception_fp_ieee_invalid_op 0
		.amdhsa_exception_fp_denorm_src 0
		.amdhsa_exception_fp_ieee_div_zero 0
		.amdhsa_exception_fp_ieee_overflow 0
		.amdhsa_exception_fp_ieee_underflow 0
		.amdhsa_exception_fp_ieee_inexact 0
		.amdhsa_exception_int_div_zero 0
	.end_amdhsa_kernel
	.section	.text._ZN9rocsolver6v33100L18getf2_small_kernelILi29E19rocblas_complex_numIfEiiPS3_EEvT1_T3_lS5_lPS5_llPT2_S5_S5_S7_l,"axG",@progbits,_ZN9rocsolver6v33100L18getf2_small_kernelILi29E19rocblas_complex_numIfEiiPS3_EEvT1_T3_lS5_lPS5_llPT2_S5_S5_S7_l,comdat
.Lfunc_end56:
	.size	_ZN9rocsolver6v33100L18getf2_small_kernelILi29E19rocblas_complex_numIfEiiPS3_EEvT1_T3_lS5_lPS5_llPT2_S5_S5_S7_l, .Lfunc_end56-_ZN9rocsolver6v33100L18getf2_small_kernelILi29E19rocblas_complex_numIfEiiPS3_EEvT1_T3_lS5_lPS5_llPT2_S5_S5_S7_l
                                        ; -- End function
	.set _ZN9rocsolver6v33100L18getf2_small_kernelILi29E19rocblas_complex_numIfEiiPS3_EEvT1_T3_lS5_lPS5_llPT2_S5_S5_S7_l.num_vgpr, 98
	.set _ZN9rocsolver6v33100L18getf2_small_kernelILi29E19rocblas_complex_numIfEiiPS3_EEvT1_T3_lS5_lPS5_llPT2_S5_S5_S7_l.num_agpr, 0
	.set _ZN9rocsolver6v33100L18getf2_small_kernelILi29E19rocblas_complex_numIfEiiPS3_EEvT1_T3_lS5_lPS5_llPT2_S5_S5_S7_l.numbered_sgpr, 19
	.set _ZN9rocsolver6v33100L18getf2_small_kernelILi29E19rocblas_complex_numIfEiiPS3_EEvT1_T3_lS5_lPS5_llPT2_S5_S5_S7_l.num_named_barrier, 0
	.set _ZN9rocsolver6v33100L18getf2_small_kernelILi29E19rocblas_complex_numIfEiiPS3_EEvT1_T3_lS5_lPS5_llPT2_S5_S5_S7_l.private_seg_size, 0
	.set _ZN9rocsolver6v33100L18getf2_small_kernelILi29E19rocblas_complex_numIfEiiPS3_EEvT1_T3_lS5_lPS5_llPT2_S5_S5_S7_l.uses_vcc, 1
	.set _ZN9rocsolver6v33100L18getf2_small_kernelILi29E19rocblas_complex_numIfEiiPS3_EEvT1_T3_lS5_lPS5_llPT2_S5_S5_S7_l.uses_flat_scratch, 0
	.set _ZN9rocsolver6v33100L18getf2_small_kernelILi29E19rocblas_complex_numIfEiiPS3_EEvT1_T3_lS5_lPS5_llPT2_S5_S5_S7_l.has_dyn_sized_stack, 0
	.set _ZN9rocsolver6v33100L18getf2_small_kernelILi29E19rocblas_complex_numIfEiiPS3_EEvT1_T3_lS5_lPS5_llPT2_S5_S5_S7_l.has_recursion, 0
	.set _ZN9rocsolver6v33100L18getf2_small_kernelILi29E19rocblas_complex_numIfEiiPS3_EEvT1_T3_lS5_lPS5_llPT2_S5_S5_S7_l.has_indirect_call, 0
	.section	.AMDGPU.csdata,"",@progbits
; Kernel info:
; codeLenInByte = 52976
; TotalNumSgprs: 21
; NumVgprs: 98
; ScratchSize: 0
; MemoryBound: 0
; FloatMode: 240
; IeeeMode: 1
; LDSByteSize: 0 bytes/workgroup (compile time only)
; SGPRBlocks: 0
; VGPRBlocks: 6
; NumSGPRsForWavesPerEU: 21
; NumVGPRsForWavesPerEU: 98
; NamedBarCnt: 0
; Occupancy: 9
; WaveLimiterHint : 0
; COMPUTE_PGM_RSRC2:SCRATCH_EN: 0
; COMPUTE_PGM_RSRC2:USER_SGPR: 2
; COMPUTE_PGM_RSRC2:TRAP_HANDLER: 0
; COMPUTE_PGM_RSRC2:TGID_X_EN: 1
; COMPUTE_PGM_RSRC2:TGID_Y_EN: 1
; COMPUTE_PGM_RSRC2:TGID_Z_EN: 0
; COMPUTE_PGM_RSRC2:TIDIG_COMP_CNT: 1
	.section	.text._ZN9rocsolver6v33100L23getf2_npvt_small_kernelILi29E19rocblas_complex_numIfEiiPS3_EEvT1_T3_lS5_lPT2_S5_S5_,"axG",@progbits,_ZN9rocsolver6v33100L23getf2_npvt_small_kernelILi29E19rocblas_complex_numIfEiiPS3_EEvT1_T3_lS5_lPT2_S5_S5_,comdat
	.globl	_ZN9rocsolver6v33100L23getf2_npvt_small_kernelILi29E19rocblas_complex_numIfEiiPS3_EEvT1_T3_lS5_lPT2_S5_S5_ ; -- Begin function _ZN9rocsolver6v33100L23getf2_npvt_small_kernelILi29E19rocblas_complex_numIfEiiPS3_EEvT1_T3_lS5_lPT2_S5_S5_
	.p2align	8
	.type	_ZN9rocsolver6v33100L23getf2_npvt_small_kernelILi29E19rocblas_complex_numIfEiiPS3_EEvT1_T3_lS5_lPT2_S5_S5_,@function
_ZN9rocsolver6v33100L23getf2_npvt_small_kernelILi29E19rocblas_complex_numIfEiiPS3_EEvT1_T3_lS5_lPT2_S5_S5_: ; @_ZN9rocsolver6v33100L23getf2_npvt_small_kernelILi29E19rocblas_complex_numIfEiiPS3_EEvT1_T3_lS5_lPT2_S5_S5_
; %bb.0:
	s_clause 0x1
	s_load_u16 s14, s[0:1], 0x46
	s_load_b64 s[2:3], s[0:1], 0x30
	s_bfe_u32 s4, ttmp6, 0x40010
	s_bfe_u32 s5, ttmp6, 0x40004
	s_add_co_i32 s4, s4, 1
	s_getreg_b32 s6, hwreg(HW_REG_IB_STS2, 6, 4)
	s_mul_i32 s4, ttmp7, s4
	v_bfe_u32 v118, v0, 10, 10
	s_add_co_i32 s5, s5, s4
	s_cmp_eq_u32 s6, 0
	s_cselect_b32 s4, ttmp7, s5
	s_wait_kmcnt 0x0
	v_mad_u32 v2, s4, s14, v118
	s_delay_alu instid0(VALU_DEP_1)
	v_cmp_gt_i32_e32 vcc_lo, s2, v2
	s_and_saveexec_b32 s2, vcc_lo
	s_cbranch_execz .LBB57_264
; %bb.1:
	s_clause 0x1
	s_load_b32 s12, s[0:1], 0x18
	s_load_b128 s[8:11], s[0:1], 0x8
	v_and_b32_e32 v176, 0x3ff, v0
	s_load_b128 s[4:7], s[0:1], 0x20
	v_lshlrev_b32_e32 v119, 3, v118
	s_mulk_i32 s14, 0xe8
	v_mad_u32_u24 v178, 0xe8, v118, 0
	s_wait_xcnt 0x0
	v_cmp_ne_u32_e64 s1, 0, v176
	v_cmp_eq_u32_e64 s0, 0, v176
	v_add3_u32 v177, 0, s14, v119
	v_dual_ashrrev_i32 v3, 31, v2 :: v_dual_mov_b32 v13, 0
	s_wait_kmcnt 0x0
	v_add3_u32 v0, s12, s12, v176
	s_ashr_i32 s13, s12, 31
	s_delay_alu instid0(VALU_DEP_2) | instskip(NEXT) | instid1(VALU_DEP_2)
	v_mul_u64_e32 v[6:7], s[4:5], v[2:3]
	v_add_nc_u32_e32 v4, s12, v0
	s_delay_alu instid0(VALU_DEP_1) | instskip(NEXT) | instid1(VALU_DEP_1)
	v_add_nc_u32_e32 v8, s12, v4
	v_add_nc_u32_e32 v10, s12, v8
	s_delay_alu instid0(VALU_DEP_1) | instskip(NEXT) | instid1(VALU_DEP_1)
	v_add_nc_u32_e32 v16, s12, v10
	;; [unrolled: 3-line block ×3, first 2 shown]
	v_dual_lshlrev_b32 v12, 3, v176 :: v_dual_ashrrev_i32 v23, 31, v22
	v_add_nc_u32_e32 v24, s12, v22
	v_ashrrev_i32_e32 v11, 31, v10
	v_lshl_add_u64 v[6:7], v[6:7], 3, s[8:9]
	s_delay_alu instid0(VALU_DEP_3) | instskip(SKIP_1) | instid1(VALU_DEP_3)
	v_add_nc_u32_e32 v30, s12, v24
	v_ashrrev_i32_e32 v1, 31, v0
	v_lshl_add_u64 v[86:87], s[10:11], 3, v[6:7]
	s_delay_alu instid0(VALU_DEP_3) | instskip(NEXT) | instid1(VALU_DEP_2)
	v_dual_add_nc_u32 v32, s12, v30 :: v_dual_ashrrev_i32 v31, 31, v30
	v_add_nc_u64_e32 v[18:19], v[86:87], v[12:13]
	s_delay_alu instid0(VALU_DEP_4) | instskip(SKIP_1) | instid1(VALU_DEP_4)
	v_lshl_add_u64 v[6:7], v[0:1], 3, v[86:87]
	v_lshl_add_u64 v[0:1], v[10:11], 3, v[86:87]
	v_add_nc_u32_e32 v36, s12, v32
	v_lshl_add_u64 v[10:11], v[22:23], 3, v[86:87]
	v_lshl_add_u64 v[34:35], s[12:13], 3, v[18:19]
	s_delay_alu instid0(VALU_DEP_3) | instskip(NEXT) | instid1(VALU_DEP_1)
	v_add_nc_u32_e32 v44, s12, v36
	v_add_nc_u32_e32 v50, s12, v44
	s_delay_alu instid0(VALU_DEP_1) | instskip(NEXT) | instid1(VALU_DEP_1)
	v_add_nc_u32_e32 v52, s12, v50
	v_dual_add_nc_u32 v54, s12, v52 :: v_dual_ashrrev_i32 v53, 31, v52
	s_delay_alu instid0(VALU_DEP_1) | instskip(SKIP_2) | instid1(VALU_DEP_3)
	v_dual_ashrrev_i32 v21, 31, v20 :: v_dual_ashrrev_i32 v55, 31, v54
	v_dual_add_nc_u32 v64, s12, v54 :: v_dual_ashrrev_i32 v45, 31, v44
	v_dual_ashrrev_i32 v17, 31, v16 :: v_dual_ashrrev_i32 v51, 31, v50
	v_lshl_add_u64 v[54:55], v[54:55], 3, v[86:87]
	s_delay_alu instid0(VALU_DEP_3) | instskip(SKIP_3) | instid1(VALU_DEP_4)
	v_dual_add_nc_u32 v66, s12, v64 :: v_dual_ashrrev_i32 v65, 31, v64
	v_ashrrev_i32_e32 v5, 31, v4
	v_ashrrev_i32_e32 v33, 31, v32
	v_lshl_add_u64 v[44:45], v[44:45], 3, v[86:87]
	v_dual_add_nc_u32 v68, s12, v66 :: v_dual_ashrrev_i32 v67, 31, v66
	s_delay_alu instid0(VALU_DEP_4) | instskip(SKIP_2) | instid1(VALU_DEP_4)
	v_lshl_add_u64 v[12:13], v[4:5], 3, v[86:87]
	v_lshl_add_u64 v[4:5], v[16:17], 3, v[86:87]
	;; [unrolled: 1-line block ×3, first 2 shown]
	v_dual_add_nc_u32 v70, s12, v68 :: v_dual_ashrrev_i32 v69, 31, v68
	v_ashrrev_i32_e32 v9, 31, v8
	v_lshl_add_u64 v[50:51], v[50:51], 3, v[86:87]
	v_lshl_add_u64 v[66:67], v[66:67], 3, v[86:87]
	s_delay_alu instid0(VALU_DEP_4)
	v_add_nc_u32_e32 v72, s12, v70
	v_lshl_add_u64 v[52:53], v[52:53], 3, v[86:87]
	v_lshl_add_u64 v[14:15], v[8:9], 3, v[86:87]
	v_ashrrev_i32_e32 v71, 31, v70
	v_lshl_add_u64 v[8:9], v[20:21], 3, v[86:87]
	v_add_nc_u32_e32 v74, s12, v72
	v_ashrrev_i32_e32 v25, 31, v24
	v_lshl_add_u64 v[20:21], v[30:31], 3, v[86:87]
	v_lshl_add_u64 v[30:31], v[32:33], 3, v[86:87]
	;; [unrolled: 1-line block ×3, first 2 shown]
	v_add_nc_u32_e32 v76, s12, v74
	v_lshl_add_u64 v[16:17], v[24:25], 3, v[86:87]
	v_lshl_add_u64 v[68:69], v[68:69], 3, v[86:87]
	v_ashrrev_i32_e32 v75, 31, v74
	s_clause 0x3
	global_load_b64 v[28:29], v[14:15], off
	global_load_b64 v[24:25], v[0:1], off
	;; [unrolled: 1-line block ×4, first 2 shown]
	v_add_nc_u32_e32 v90, s12, v76
	v_ashrrev_i32_e32 v37, 31, v36
	s_clause 0x3
	global_load_b64 v[56:57], v[18:19], off
	global_load_b64 v[58:59], v[34:35], off
	;; [unrolled: 1-line block ×4, first 2 shown]
	v_lshl_add_u64 v[74:75], v[74:75], 3, v[86:87]
	v_add_nc_u32_e32 v92, s12, v90
	v_lshl_add_u64 v[32:33], v[36:37], 3, v[86:87]
	s_clause 0x3
	global_load_b64 v[42:43], v[10:11], off
	global_load_b64 v[38:39], v[16:17], off
	;; [unrolled: 1-line block ×4, first 2 shown]
	v_ashrrev_i32_e32 v91, 31, v90
	s_clause 0x3
	global_load_b64 v[62:63], v[32:33], off
	global_load_b64 v[88:89], v[44:45], off
	;; [unrolled: 1-line block ×4, first 2 shown]
	v_add_nc_u32_e32 v94, s12, v92
	v_ashrrev_i32_e32 v73, 31, v72
	v_ashrrev_i32_e32 v77, 31, v76
	v_lshl_add_u64 v[90:91], v[90:91], 3, v[86:87]
	s_clause 0x3
	global_load_b64 v[84:85], v[54:55], off
	global_load_b64 v[80:81], v[64:65], off
	;; [unrolled: 1-line block ×4, first 2 shown]
	v_dual_add_nc_u32 v96, s12, v94 :: v_dual_ashrrev_i32 v95, 31, v94
	v_lshl_add_u64 v[72:73], v[72:73], 3, v[86:87]
	v_lshl_add_u64 v[76:77], v[76:77], 3, v[86:87]
	s_delay_alu instid0(VALU_DEP_3) | instskip(SKIP_2) | instid1(VALU_DEP_3)
	v_dual_add_nc_u32 v98, s12, v96 :: v_dual_ashrrev_i32 v97, 31, v96
	v_ashrrev_i32_e32 v93, 31, v92
	v_lshl_add_u64 v[94:95], v[94:95], 3, v[86:87]
	v_ashrrev_i32_e32 v99, 31, v98
	s_delay_alu instid0(VALU_DEP_4) | instskip(NEXT) | instid1(VALU_DEP_4)
	v_lshl_add_u64 v[96:97], v[96:97], 3, v[86:87]
	v_lshl_add_u64 v[92:93], v[92:93], 3, v[86:87]
	s_delay_alu instid0(VALU_DEP_3)
	v_lshl_add_u64 v[86:87], v[98:99], 3, v[86:87]
	s_clause 0x8
	global_load_b64 v[106:107], v[70:71], off
	global_load_b64 v[100:101], v[72:73], off
	;; [unrolled: 1-line block ×9, first 2 shown]
	s_wait_xcnt 0x0
	s_and_saveexec_b32 s4, s0
	s_cbranch_execz .LBB57_8
; %bb.2:
	s_wait_loadcnt 0x18
	ds_store_b64 v177, v[56:57]
	s_wait_loadcnt 0x16
	ds_store_2addr_b64 v178, v[58:59], v[48:49] offset0:1 offset1:2
	s_wait_loadcnt 0x15
	ds_store_2addr_b64 v178, v[46:47], v[28:29] offset0:3 offset1:4
	ds_store_2addr_b64 v178, v[24:25], v[26:27] offset0:5 offset1:6
	s_wait_loadcnt 0x14
	ds_store_2addr_b64 v178, v[22:23], v[42:43] offset0:7 offset1:8
	s_wait_loadcnt 0x12
	;; [unrolled: 2-line block ×11, first 2 shown]
	ds_store_2addr_b64 v178, v[110:111], v[116:117] offset0:27 offset1:28
	ds_load_b64 v[118:119], v177
	s_wait_dscnt 0x0
	v_cmp_neq_f32_e32 vcc_lo, 0, v118
	v_cmp_neq_f32_e64 s2, 0, v119
	s_or_b32 s2, vcc_lo, s2
	s_delay_alu instid0(SALU_CYCLE_1)
	s_and_b32 exec_lo, exec_lo, s2
	s_cbranch_execz .LBB57_8
; %bb.3:
	v_cmp_ngt_f32_e64 s2, |v118|, |v119|
                                        ; implicit-def: $vgpr120_vgpr121
	s_and_saveexec_b32 s5, s2
	s_delay_alu instid0(SALU_CYCLE_1)
	s_xor_b32 s2, exec_lo, s5
	s_cbranch_execz .LBB57_5
; %bb.4:
	v_div_scale_f32 v120, null, v119, v119, v118
	v_div_scale_f32 v123, vcc_lo, v118, v119, v118
	s_delay_alu instid0(VALU_DEP_2) | instskip(SKIP_1) | instid1(TRANS32_DEP_1)
	v_rcp_f32_e32 v121, v120
	v_nop
	v_fma_f32 v122, -v120, v121, 1.0
	s_delay_alu instid0(VALU_DEP_1) | instskip(NEXT) | instid1(VALU_DEP_1)
	v_fmac_f32_e32 v121, v122, v121
	v_mul_f32_e32 v122, v123, v121
	s_delay_alu instid0(VALU_DEP_1) | instskip(NEXT) | instid1(VALU_DEP_1)
	v_fma_f32 v124, -v120, v122, v123
	v_fmac_f32_e32 v122, v124, v121
	s_delay_alu instid0(VALU_DEP_1) | instskip(NEXT) | instid1(VALU_DEP_1)
	v_fma_f32 v120, -v120, v122, v123
	v_div_fmas_f32 v120, v120, v121, v122
	s_delay_alu instid0(VALU_DEP_1) | instskip(NEXT) | instid1(VALU_DEP_1)
	v_div_fixup_f32 v120, v120, v119, v118
	v_fmac_f32_e32 v119, v118, v120
	s_delay_alu instid0(VALU_DEP_1) | instskip(SKIP_1) | instid1(VALU_DEP_2)
	v_div_scale_f32 v118, null, v119, v119, 1.0
	v_div_scale_f32 v123, vcc_lo, 1.0, v119, 1.0
	v_rcp_f32_e32 v121, v118
	v_nop
	s_delay_alu instid0(TRANS32_DEP_1) | instskip(NEXT) | instid1(VALU_DEP_1)
	v_fma_f32 v122, -v118, v121, 1.0
	v_fmac_f32_e32 v121, v122, v121
	s_delay_alu instid0(VALU_DEP_1) | instskip(NEXT) | instid1(VALU_DEP_1)
	v_mul_f32_e32 v122, v123, v121
	v_fma_f32 v124, -v118, v122, v123
	s_delay_alu instid0(VALU_DEP_1) | instskip(NEXT) | instid1(VALU_DEP_1)
	v_fmac_f32_e32 v122, v124, v121
	v_fma_f32 v118, -v118, v122, v123
	s_delay_alu instid0(VALU_DEP_1) | instskip(NEXT) | instid1(VALU_DEP_1)
	v_div_fmas_f32 v118, v118, v121, v122
	v_div_fixup_f32 v118, v118, v119, 1.0
	s_delay_alu instid0(VALU_DEP_1)
	v_mul_f32_e32 v120, v120, v118
	v_xor_b32_e32 v121, 0x80000000, v118
                                        ; implicit-def: $vgpr118_vgpr119
.LBB57_5:
	s_and_not1_saveexec_b32 s2, s2
	s_cbranch_execz .LBB57_7
; %bb.6:
	v_div_scale_f32 v120, null, v118, v118, v119
	v_div_scale_f32 v123, vcc_lo, v119, v118, v119
	s_delay_alu instid0(VALU_DEP_2) | instskip(SKIP_1) | instid1(TRANS32_DEP_1)
	v_rcp_f32_e32 v121, v120
	v_nop
	v_fma_f32 v122, -v120, v121, 1.0
	s_delay_alu instid0(VALU_DEP_1) | instskip(NEXT) | instid1(VALU_DEP_1)
	v_fmac_f32_e32 v121, v122, v121
	v_mul_f32_e32 v122, v123, v121
	s_delay_alu instid0(VALU_DEP_1) | instskip(NEXT) | instid1(VALU_DEP_1)
	v_fma_f32 v124, -v120, v122, v123
	v_fmac_f32_e32 v122, v124, v121
	s_delay_alu instid0(VALU_DEP_1) | instskip(NEXT) | instid1(VALU_DEP_1)
	v_fma_f32 v120, -v120, v122, v123
	v_div_fmas_f32 v120, v120, v121, v122
	s_delay_alu instid0(VALU_DEP_1) | instskip(NEXT) | instid1(VALU_DEP_1)
	v_div_fixup_f32 v121, v120, v118, v119
	v_fmac_f32_e32 v118, v119, v121
	s_delay_alu instid0(VALU_DEP_1) | instskip(NEXT) | instid1(VALU_DEP_1)
	v_div_scale_f32 v119, null, v118, v118, 1.0
	v_rcp_f32_e32 v120, v119
	v_nop
	s_delay_alu instid0(TRANS32_DEP_1) | instskip(NEXT) | instid1(VALU_DEP_1)
	v_fma_f32 v122, -v119, v120, 1.0
	v_fmac_f32_e32 v120, v122, v120
	v_div_scale_f32 v122, vcc_lo, 1.0, v118, 1.0
	s_delay_alu instid0(VALU_DEP_1) | instskip(NEXT) | instid1(VALU_DEP_1)
	v_mul_f32_e32 v123, v122, v120
	v_fma_f32 v124, -v119, v123, v122
	s_delay_alu instid0(VALU_DEP_1) | instskip(NEXT) | instid1(VALU_DEP_1)
	v_fmac_f32_e32 v123, v124, v120
	v_fma_f32 v119, -v119, v123, v122
	s_delay_alu instid0(VALU_DEP_1) | instskip(NEXT) | instid1(VALU_DEP_1)
	v_div_fmas_f32 v119, v119, v120, v123
	v_div_fixup_f32 v120, v119, v118, 1.0
	s_delay_alu instid0(VALU_DEP_1)
	v_mul_f32_e64 v121, v121, -v120
.LBB57_7:
	s_or_b32 exec_lo, exec_lo, s2
	ds_store_b64 v177, v[120:121]
.LBB57_8:
	s_or_b32 exec_lo, exec_lo, s4
	s_wait_loadcnt_dscnt 0x0
	s_barrier_signal -1
	s_barrier_wait -1
	ds_load_b64 v[118:119], v177
	s_and_saveexec_b32 s2, s1
	s_cbranch_execz .LBB57_10
; %bb.9:
	ds_load_2addr_b64 v[124:127], v178 offset0:1 offset1:2
	s_wait_dscnt 0x1
	v_pk_mul_f32 v[122:123], v[118:119], v[56:57] op_sel:[1,1] op_sel_hi:[0,1]
	s_delay_alu instid0(VALU_DEP_1) | instskip(SKIP_1) | instid1(VALU_DEP_1)
	v_pk_fma_f32 v[120:121], v[118:119], v[56:57], v[122:123] op_sel_hi:[1,0,1] neg_lo:[0,0,1] neg_hi:[0,0,1]
	v_pk_fma_f32 v[122:123], v[118:119], v[56:57], v[122:123] op_sel_hi:[1,0,1]
	v_dual_mov_b32 v56, v120 :: v_dual_mov_b32 v57, v123
	s_wait_dscnt 0x0
	s_delay_alu instid0(VALU_DEP_2) | instskip(NEXT) | instid1(VALU_DEP_1)
	v_pk_mul_f32 v[128:129], v[124:125], v[122:123] op_sel:[0,1]
	v_pk_fma_f32 v[130:131], v[124:125], v[120:121], v[128:129] op_sel:[0,0,1] op_sel_hi:[1,1,0] neg_lo:[0,0,1] neg_hi:[0,0,1]
	v_pk_fma_f32 v[124:125], v[124:125], v[120:121], v[128:129] op_sel:[0,0,1] op_sel_hi:[1,0,0]
	s_delay_alu instid0(VALU_DEP_1) | instskip(SKIP_1) | instid1(VALU_DEP_1)
	v_mov_b32_e32 v131, v125
	v_pk_mul_f32 v[124:125], v[126:127], v[122:123] op_sel:[0,1]
	v_pk_fma_f32 v[128:129], v[126:127], v[120:121], v[124:125] op_sel:[0,0,1] op_sel_hi:[1,1,0] neg_lo:[0,0,1] neg_hi:[0,0,1]
	v_pk_fma_f32 v[124:125], v[126:127], v[120:121], v[124:125] op_sel:[0,0,1] op_sel_hi:[1,0,0]
	s_delay_alu instid0(VALU_DEP_1)
	v_mov_b32_e32 v129, v125
	ds_load_2addr_b64 v[124:127], v178 offset0:3 offset1:4
	v_pk_add_f32 v[58:59], v[58:59], v[130:131] neg_lo:[0,1] neg_hi:[0,1]
	v_pk_add_f32 v[48:49], v[48:49], v[128:129] neg_lo:[0,1] neg_hi:[0,1]
	s_wait_dscnt 0x0
	v_pk_mul_f32 v[128:129], v[124:125], v[122:123] op_sel:[0,1]
	s_delay_alu instid0(VALU_DEP_1) | instskip(SKIP_2) | instid1(VALU_DEP_2)
	v_pk_fma_f32 v[130:131], v[124:125], v[120:121], v[128:129] op_sel:[0,0,1] op_sel_hi:[1,1,0] neg_lo:[0,0,1] neg_hi:[0,0,1]
	v_pk_fma_f32 v[124:125], v[124:125], v[120:121], v[128:129] op_sel:[0,0,1] op_sel_hi:[1,0,0]
	v_dual_mul_f32 v128, v127, v123 :: v_dual_mov_b32 v124, v127
	v_dual_mov_b32 v131, v125 :: v_dual_mov_b32 v125, v126
	s_delay_alu instid0(VALU_DEP_2) | instskip(SKIP_1) | instid1(VALU_DEP_3)
	v_pk_fma_f32 v[128:129], v[126:127], v[56:57], v[128:129] op_sel_hi:[1,1,0] neg_lo:[0,0,1] neg_hi:[0,0,1]
	v_mul_f32_e32 v126, v127, v120
	v_pk_add_f32 v[46:47], v[46:47], v[130:131] neg_lo:[0,1] neg_hi:[0,1]
	s_delay_alu instid0(VALU_DEP_2) | instskip(NEXT) | instid1(VALU_DEP_1)
	v_pk_fma_f32 v[124:125], v[124:125], v[56:57], v[126:127] op_sel_hi:[1,1,0]
	v_mov_b32_e32 v129, v125
	ds_load_2addr_b64 v[124:127], v178 offset0:5 offset1:6
	v_pk_add_f32 v[28:29], v[28:29], v[128:129] neg_lo:[0,1] neg_hi:[0,1]
	s_wait_dscnt 0x0
	v_pk_mul_f32 v[128:129], v[124:125], v[122:123] op_sel:[0,1]
	s_delay_alu instid0(VALU_DEP_1) | instskip(SKIP_1) | instid1(VALU_DEP_1)
	v_pk_fma_f32 v[130:131], v[124:125], v[120:121], v[128:129] op_sel:[0,0,1] op_sel_hi:[1,1,0] neg_lo:[0,0,1] neg_hi:[0,0,1]
	v_pk_fma_f32 v[124:125], v[124:125], v[120:121], v[128:129] op_sel:[0,0,1] op_sel_hi:[1,0,0]
	v_mov_b32_e32 v131, v125
	v_pk_mul_f32 v[124:125], v[126:127], v[122:123] op_sel:[0,1]
	s_delay_alu instid0(VALU_DEP_1) | instskip(SKIP_1) | instid1(VALU_DEP_1)
	v_pk_fma_f32 v[128:129], v[126:127], v[120:121], v[124:125] op_sel:[0,0,1] op_sel_hi:[1,1,0] neg_lo:[0,0,1] neg_hi:[0,0,1]
	v_pk_fma_f32 v[124:125], v[126:127], v[120:121], v[124:125] op_sel:[0,0,1] op_sel_hi:[1,0,0]
	v_mov_b32_e32 v129, v125
	ds_load_2addr_b64 v[124:127], v178 offset0:7 offset1:8
	v_pk_add_f32 v[24:25], v[24:25], v[130:131] neg_lo:[0,1] neg_hi:[0,1]
	v_pk_add_f32 v[26:27], v[26:27], v[128:129] neg_lo:[0,1] neg_hi:[0,1]
	s_wait_dscnt 0x0
	v_pk_mul_f32 v[128:129], v[124:125], v[122:123] op_sel:[0,1]
	s_delay_alu instid0(VALU_DEP_1) | instskip(SKIP_1) | instid1(VALU_DEP_1)
	v_pk_fma_f32 v[130:131], v[124:125], v[120:121], v[128:129] op_sel:[0,0,1] op_sel_hi:[1,1,0] neg_lo:[0,0,1] neg_hi:[0,0,1]
	v_pk_fma_f32 v[124:125], v[124:125], v[120:121], v[128:129] op_sel:[0,0,1] op_sel_hi:[1,0,0]
	v_mov_b32_e32 v131, v125
	v_pk_mul_f32 v[124:125], v[126:127], v[122:123] op_sel:[0,1]
	s_delay_alu instid0(VALU_DEP_1) | instskip(SKIP_1) | instid1(VALU_DEP_1)
	v_pk_fma_f32 v[128:129], v[126:127], v[120:121], v[124:125] op_sel:[0,0,1] op_sel_hi:[1,1,0] neg_lo:[0,0,1] neg_hi:[0,0,1]
	v_pk_fma_f32 v[124:125], v[126:127], v[120:121], v[124:125] op_sel:[0,0,1] op_sel_hi:[1,0,0]
	v_mov_b32_e32 v129, v125
	ds_load_2addr_b64 v[124:127], v178 offset0:9 offset1:10
	v_pk_add_f32 v[22:23], v[22:23], v[130:131] neg_lo:[0,1] neg_hi:[0,1]
	v_pk_add_f32 v[42:43], v[42:43], v[128:129] neg_lo:[0,1] neg_hi:[0,1]
	s_wait_dscnt 0x0
	v_dual_mul_f32 v128, v125, v123 :: v_dual_mul_f32 v130, v125, v120
	s_delay_alu instid0(VALU_DEP_1) | instskip(NEXT) | instid1(VALU_DEP_2)
	v_pk_fma_f32 v[128:129], v[124:125], v[56:57], v[128:129] op_sel_hi:[1,1,0] neg_lo:[0,0,1] neg_hi:[0,0,1]
	v_pk_fma_f32 v[124:125], v[124:125], v[56:57], v[130:131] op_sel:[1,0,0] op_sel_hi:[0,1,0]
	s_delay_alu instid0(VALU_DEP_1) | instskip(SKIP_1) | instid1(VALU_DEP_2)
	v_mov_b32_e32 v129, v125
	v_pk_mul_f32 v[124:125], v[126:127], v[122:123] op_sel:[0,1]
	v_pk_add_f32 v[38:39], v[38:39], v[128:129] neg_lo:[0,1] neg_hi:[0,1]
	s_delay_alu instid0(VALU_DEP_2) | instskip(SKIP_1) | instid1(VALU_DEP_1)
	v_pk_fma_f32 v[128:129], v[126:127], v[120:121], v[124:125] op_sel:[0,0,1] op_sel_hi:[1,1,0] neg_lo:[0,0,1] neg_hi:[0,0,1]
	v_pk_fma_f32 v[124:125], v[126:127], v[120:121], v[124:125] op_sel:[0,0,1] op_sel_hi:[1,0,0]
	v_mov_b32_e32 v129, v125
	ds_load_2addr_b64 v[124:127], v178 offset0:11 offset1:12
	v_pk_add_f32 v[40:41], v[40:41], v[128:129] neg_lo:[0,1] neg_hi:[0,1]
	s_wait_dscnt 0x0
	v_pk_mul_f32 v[128:129], v[124:125], v[122:123] op_sel:[0,1]
	s_delay_alu instid0(VALU_DEP_1) | instskip(SKIP_1) | instid1(VALU_DEP_1)
	v_pk_fma_f32 v[130:131], v[124:125], v[120:121], v[128:129] op_sel:[0,0,1] op_sel_hi:[1,1,0] neg_lo:[0,0,1] neg_hi:[0,0,1]
	v_pk_fma_f32 v[124:125], v[124:125], v[120:121], v[128:129] op_sel:[0,0,1] op_sel_hi:[1,0,0]
	v_mov_b32_e32 v131, v125
	v_pk_mul_f32 v[124:125], v[126:127], v[122:123] op_sel:[0,1]
	s_delay_alu instid0(VALU_DEP_2) | instskip(NEXT) | instid1(VALU_DEP_2)
	v_pk_add_f32 v[36:37], v[36:37], v[130:131] neg_lo:[0,1] neg_hi:[0,1]
	v_pk_fma_f32 v[128:129], v[126:127], v[120:121], v[124:125] op_sel:[0,0,1] op_sel_hi:[1,1,0] neg_lo:[0,0,1] neg_hi:[0,0,1]
	v_pk_fma_f32 v[124:125], v[126:127], v[120:121], v[124:125] op_sel:[0,0,1] op_sel_hi:[1,0,0]
	s_delay_alu instid0(VALU_DEP_1) | instskip(SKIP_4) | instid1(VALU_DEP_1)
	v_mov_b32_e32 v129, v125
	ds_load_2addr_b64 v[124:127], v178 offset0:13 offset1:14
	v_pk_add_f32 v[62:63], v[62:63], v[128:129] neg_lo:[0,1] neg_hi:[0,1]
	s_wait_dscnt 0x0
	v_pk_mul_f32 v[128:129], v[124:125], v[122:123] op_sel:[0,1]
	v_pk_fma_f32 v[130:131], v[124:125], v[120:121], v[128:129] op_sel:[0,0,1] op_sel_hi:[1,1,0] neg_lo:[0,0,1] neg_hi:[0,0,1]
	v_pk_fma_f32 v[124:125], v[124:125], v[120:121], v[128:129] op_sel:[0,0,1] op_sel_hi:[1,0,0]
	v_dual_mul_f32 v128, v127, v123 :: v_dual_mov_b32 v124, v127
	s_delay_alu instid0(VALU_DEP_2) | instskip(NEXT) | instid1(VALU_DEP_2)
	v_dual_mov_b32 v131, v125 :: v_dual_mov_b32 v125, v126
	v_pk_fma_f32 v[128:129], v[126:127], v[56:57], v[128:129] op_sel_hi:[1,1,0] neg_lo:[0,0,1] neg_hi:[0,0,1]
	v_mul_f32_e32 v126, v127, v120
	s_delay_alu instid0(VALU_DEP_3) | instskip(NEXT) | instid1(VALU_DEP_2)
	v_pk_add_f32 v[88:89], v[88:89], v[130:131] neg_lo:[0,1] neg_hi:[0,1]
	v_pk_fma_f32 v[124:125], v[124:125], v[56:57], v[126:127] op_sel_hi:[1,1,0]
	s_delay_alu instid0(VALU_DEP_1) | instskip(SKIP_4) | instid1(VALU_DEP_1)
	v_mov_b32_e32 v129, v125
	ds_load_2addr_b64 v[124:127], v178 offset0:15 offset1:16
	v_pk_add_f32 v[108:109], v[108:109], v[128:129] neg_lo:[0,1] neg_hi:[0,1]
	s_wait_dscnt 0x0
	v_pk_mul_f32 v[128:129], v[124:125], v[122:123] op_sel:[0,1]
	v_pk_fma_f32 v[130:131], v[124:125], v[120:121], v[128:129] op_sel:[0,0,1] op_sel_hi:[1,1,0] neg_lo:[0,0,1] neg_hi:[0,0,1]
	v_pk_fma_f32 v[124:125], v[124:125], v[120:121], v[128:129] op_sel:[0,0,1] op_sel_hi:[1,0,0]
	s_delay_alu instid0(VALU_DEP_1) | instskip(SKIP_1) | instid1(VALU_DEP_1)
	v_mov_b32_e32 v131, v125
	v_pk_mul_f32 v[124:125], v[126:127], v[122:123] op_sel:[0,1]
	v_pk_fma_f32 v[128:129], v[126:127], v[120:121], v[124:125] op_sel:[0,0,1] op_sel_hi:[1,1,0] neg_lo:[0,0,1] neg_hi:[0,0,1]
	v_pk_fma_f32 v[124:125], v[126:127], v[120:121], v[124:125] op_sel:[0,0,1] op_sel_hi:[1,0,0]
	s_delay_alu instid0(VALU_DEP_1)
	v_mov_b32_e32 v129, v125
	ds_load_2addr_b64 v[124:127], v178 offset0:17 offset1:18
	v_pk_add_f32 v[60:61], v[60:61], v[130:131] neg_lo:[0,1] neg_hi:[0,1]
	v_pk_add_f32 v[84:85], v[84:85], v[128:129] neg_lo:[0,1] neg_hi:[0,1]
	s_wait_dscnt 0x0
	v_pk_mul_f32 v[128:129], v[124:125], v[122:123] op_sel:[0,1]
	s_delay_alu instid0(VALU_DEP_1) | instskip(SKIP_1) | instid1(VALU_DEP_1)
	v_pk_fma_f32 v[130:131], v[124:125], v[120:121], v[128:129] op_sel:[0,0,1] op_sel_hi:[1,1,0] neg_lo:[0,0,1] neg_hi:[0,0,1]
	v_pk_fma_f32 v[124:125], v[124:125], v[120:121], v[128:129] op_sel:[0,0,1] op_sel_hi:[1,0,0]
	v_mov_b32_e32 v131, v125
	v_pk_mul_f32 v[124:125], v[126:127], v[122:123] op_sel:[0,1]
	s_delay_alu instid0(VALU_DEP_1) | instskip(SKIP_1) | instid1(VALU_DEP_1)
	v_pk_fma_f32 v[128:129], v[126:127], v[120:121], v[124:125] op_sel:[0,0,1] op_sel_hi:[1,1,0] neg_lo:[0,0,1] neg_hi:[0,0,1]
	v_pk_fma_f32 v[124:125], v[126:127], v[120:121], v[124:125] op_sel:[0,0,1] op_sel_hi:[1,0,0]
	v_mov_b32_e32 v129, v125
	ds_load_2addr_b64 v[124:127], v178 offset0:19 offset1:20
	v_pk_add_f32 v[80:81], v[80:81], v[130:131] neg_lo:[0,1] neg_hi:[0,1]
	v_pk_add_f32 v[82:83], v[82:83], v[128:129] neg_lo:[0,1] neg_hi:[0,1]
	s_wait_dscnt 0x0
	v_dual_mul_f32 v128, v125, v123 :: v_dual_mul_f32 v130, v125, v120
	s_delay_alu instid0(VALU_DEP_1) | instskip(NEXT) | instid1(VALU_DEP_2)
	v_pk_fma_f32 v[128:129], v[124:125], v[56:57], v[128:129] op_sel_hi:[1,1,0] neg_lo:[0,0,1] neg_hi:[0,0,1]
	v_pk_fma_f32 v[124:125], v[124:125], v[56:57], v[130:131] op_sel:[1,0,0] op_sel_hi:[0,1,0]
	s_delay_alu instid0(VALU_DEP_1) | instskip(SKIP_1) | instid1(VALU_DEP_2)
	v_mov_b32_e32 v129, v125
	v_pk_mul_f32 v[124:125], v[126:127], v[122:123] op_sel:[0,1]
	v_pk_add_f32 v[78:79], v[78:79], v[128:129] neg_lo:[0,1] neg_hi:[0,1]
	s_delay_alu instid0(VALU_DEP_2) | instskip(SKIP_1) | instid1(VALU_DEP_1)
	v_pk_fma_f32 v[128:129], v[126:127], v[120:121], v[124:125] op_sel:[0,0,1] op_sel_hi:[1,1,0] neg_lo:[0,0,1] neg_hi:[0,0,1]
	v_pk_fma_f32 v[124:125], v[126:127], v[120:121], v[124:125] op_sel:[0,0,1] op_sel_hi:[1,0,0]
	v_mov_b32_e32 v129, v125
	ds_load_2addr_b64 v[124:127], v178 offset0:21 offset1:22
	v_pk_add_f32 v[106:107], v[106:107], v[128:129] neg_lo:[0,1] neg_hi:[0,1]
	s_wait_dscnt 0x0
	v_pk_mul_f32 v[128:129], v[124:125], v[122:123] op_sel:[0,1]
	s_delay_alu instid0(VALU_DEP_1) | instskip(SKIP_1) | instid1(VALU_DEP_1)
	v_pk_fma_f32 v[130:131], v[124:125], v[120:121], v[128:129] op_sel:[0,0,1] op_sel_hi:[1,1,0] neg_lo:[0,0,1] neg_hi:[0,0,1]
	v_pk_fma_f32 v[124:125], v[124:125], v[120:121], v[128:129] op_sel:[0,0,1] op_sel_hi:[1,0,0]
	v_mov_b32_e32 v131, v125
	v_pk_mul_f32 v[124:125], v[126:127], v[122:123] op_sel:[0,1]
	s_delay_alu instid0(VALU_DEP_2) | instskip(NEXT) | instid1(VALU_DEP_2)
	v_pk_add_f32 v[100:101], v[100:101], v[130:131] neg_lo:[0,1] neg_hi:[0,1]
	v_pk_fma_f32 v[128:129], v[126:127], v[120:121], v[124:125] op_sel:[0,0,1] op_sel_hi:[1,1,0] neg_lo:[0,0,1] neg_hi:[0,0,1]
	v_pk_fma_f32 v[124:125], v[126:127], v[120:121], v[124:125] op_sel:[0,0,1] op_sel_hi:[1,0,0]
	s_delay_alu instid0(VALU_DEP_1) | instskip(SKIP_4) | instid1(VALU_DEP_1)
	v_mov_b32_e32 v129, v125
	ds_load_2addr_b64 v[124:127], v178 offset0:23 offset1:24
	v_pk_add_f32 v[104:105], v[104:105], v[128:129] neg_lo:[0,1] neg_hi:[0,1]
	s_wait_dscnt 0x0
	v_pk_mul_f32 v[128:129], v[124:125], v[122:123] op_sel:[0,1]
	v_pk_fma_f32 v[130:131], v[124:125], v[120:121], v[128:129] op_sel:[0,0,1] op_sel_hi:[1,1,0] neg_lo:[0,0,1] neg_hi:[0,0,1]
	v_pk_fma_f32 v[124:125], v[124:125], v[120:121], v[128:129] op_sel:[0,0,1] op_sel_hi:[1,0,0]
	v_dual_mul_f32 v128, v127, v123 :: v_dual_mov_b32 v124, v127
	s_delay_alu instid0(VALU_DEP_2) | instskip(NEXT) | instid1(VALU_DEP_2)
	v_dual_mov_b32 v131, v125 :: v_dual_mov_b32 v125, v126
	v_pk_fma_f32 v[128:129], v[126:127], v[56:57], v[128:129] op_sel_hi:[1,1,0] neg_lo:[0,0,1] neg_hi:[0,0,1]
	v_mul_f32_e32 v126, v127, v120
	s_delay_alu instid0(VALU_DEP_3) | instskip(NEXT) | instid1(VALU_DEP_2)
	v_pk_add_f32 v[98:99], v[98:99], v[130:131] neg_lo:[0,1] neg_hi:[0,1]
	v_pk_fma_f32 v[124:125], v[124:125], v[56:57], v[126:127] op_sel_hi:[1,1,0]
	s_delay_alu instid0(VALU_DEP_1) | instskip(SKIP_4) | instid1(VALU_DEP_1)
	v_mov_b32_e32 v129, v125
	ds_load_2addr_b64 v[124:127], v178 offset0:25 offset1:26
	v_pk_add_f32 v[102:103], v[102:103], v[128:129] neg_lo:[0,1] neg_hi:[0,1]
	s_wait_dscnt 0x0
	v_pk_mul_f32 v[128:129], v[124:125], v[122:123] op_sel:[0,1]
	v_pk_fma_f32 v[130:131], v[124:125], v[120:121], v[128:129] op_sel:[0,0,1] op_sel_hi:[1,1,0] neg_lo:[0,0,1] neg_hi:[0,0,1]
	v_pk_fma_f32 v[124:125], v[124:125], v[120:121], v[128:129] op_sel:[0,0,1] op_sel_hi:[1,0,0]
	s_delay_alu instid0(VALU_DEP_1) | instskip(SKIP_1) | instid1(VALU_DEP_1)
	v_mov_b32_e32 v131, v125
	v_pk_mul_f32 v[124:125], v[126:127], v[122:123] op_sel:[0,1]
	v_pk_fma_f32 v[128:129], v[126:127], v[120:121], v[124:125] op_sel:[0,0,1] op_sel_hi:[1,1,0] neg_lo:[0,0,1] neg_hi:[0,0,1]
	v_pk_fma_f32 v[124:125], v[126:127], v[120:121], v[124:125] op_sel:[0,0,1] op_sel_hi:[1,0,0]
	s_delay_alu instid0(VALU_DEP_1)
	v_mov_b32_e32 v129, v125
	ds_load_2addr_b64 v[124:127], v178 offset0:27 offset1:28
	v_pk_add_f32 v[114:115], v[114:115], v[130:131] neg_lo:[0,1] neg_hi:[0,1]
	v_pk_add_f32 v[112:113], v[112:113], v[128:129] neg_lo:[0,1] neg_hi:[0,1]
	s_wait_dscnt 0x0
	v_pk_mul_f32 v[128:129], v[124:125], v[122:123] op_sel:[0,1]
	v_pk_mul_f32 v[122:123], v[126:127], v[122:123] op_sel:[0,1]
	s_delay_alu instid0(VALU_DEP_2) | instskip(SKIP_1) | instid1(VALU_DEP_1)
	v_pk_fma_f32 v[130:131], v[124:125], v[120:121], v[128:129] op_sel:[0,0,1] op_sel_hi:[1,1,0] neg_lo:[0,0,1] neg_hi:[0,0,1]
	v_pk_fma_f32 v[124:125], v[124:125], v[120:121], v[128:129] op_sel:[0,0,1] op_sel_hi:[1,0,0]
	v_mov_b32_e32 v131, v125
	s_delay_alu instid0(VALU_DEP_4) | instskip(SKIP_1) | instid1(VALU_DEP_1)
	v_pk_fma_f32 v[124:125], v[126:127], v[120:121], v[122:123] op_sel:[0,0,1] op_sel_hi:[1,1,0] neg_lo:[0,0,1] neg_hi:[0,0,1]
	v_pk_fma_f32 v[120:121], v[126:127], v[120:121], v[122:123] op_sel:[0,0,1] op_sel_hi:[1,0,0]
	v_mov_b32_e32 v125, v121
	s_delay_alu instid0(VALU_DEP_4) | instskip(NEXT) | instid1(VALU_DEP_2)
	v_pk_add_f32 v[110:111], v[110:111], v[130:131] neg_lo:[0,1] neg_hi:[0,1]
	v_pk_add_f32 v[116:117], v[116:117], v[124:125] neg_lo:[0,1] neg_hi:[0,1]
.LBB57_10:
	s_or_b32 exec_lo, exec_lo, s2
	s_delay_alu instid0(SALU_CYCLE_1)
	s_mov_b32 s2, exec_lo
	s_wait_dscnt 0x0
	s_barrier_signal -1
	s_barrier_wait -1
	v_cmpx_eq_u32_e32 1, v176
	s_cbranch_execz .LBB57_17
; %bb.11:
	v_dual_mov_b32 v120, v48 :: v_dual_mov_b32 v121, v49
	v_dual_mov_b32 v122, v46 :: v_dual_mov_b32 v123, v47
	ds_store_b64 v177, v[58:59]
	ds_store_2addr_b64 v178, v[120:121], v[122:123] offset0:2 offset1:3
	v_dual_mov_b32 v120, v28 :: v_dual_mov_b32 v121, v29
	v_dual_mov_b32 v122, v24 :: v_dual_mov_b32 v123, v25
	ds_store_2addr_b64 v178, v[120:121], v[122:123] offset0:4 offset1:5
	v_dual_mov_b32 v120, v26 :: v_dual_mov_b32 v121, v27
	v_dual_mov_b32 v122, v22 :: v_dual_mov_b32 v123, v23
	;; [unrolled: 3-line block ×12, first 2 shown]
	ds_store_2addr_b64 v178, v[120:121], v[122:123] offset0:26 offset1:27
	ds_store_b64 v178, v[116:117] offset:224
	ds_load_b64 v[120:121], v177
	s_wait_dscnt 0x0
	v_cmp_neq_f32_e32 vcc_lo, 0, v120
	v_cmp_neq_f32_e64 s1, 0, v121
	s_or_b32 s1, vcc_lo, s1
	s_delay_alu instid0(SALU_CYCLE_1)
	s_and_b32 exec_lo, exec_lo, s1
	s_cbranch_execz .LBB57_17
; %bb.12:
	v_cmp_ngt_f32_e64 s1, |v120|, |v121|
                                        ; implicit-def: $vgpr122_vgpr123
	s_and_saveexec_b32 s4, s1
	s_delay_alu instid0(SALU_CYCLE_1)
	s_xor_b32 s1, exec_lo, s4
	s_cbranch_execz .LBB57_14
; %bb.13:
	v_div_scale_f32 v122, null, v121, v121, v120
	v_div_scale_f32 v125, vcc_lo, v120, v121, v120
	s_delay_alu instid0(VALU_DEP_2) | instskip(SKIP_1) | instid1(TRANS32_DEP_1)
	v_rcp_f32_e32 v123, v122
	v_nop
	v_fma_f32 v124, -v122, v123, 1.0
	s_delay_alu instid0(VALU_DEP_1) | instskip(NEXT) | instid1(VALU_DEP_1)
	v_fmac_f32_e32 v123, v124, v123
	v_mul_f32_e32 v124, v125, v123
	s_delay_alu instid0(VALU_DEP_1) | instskip(NEXT) | instid1(VALU_DEP_1)
	v_fma_f32 v126, -v122, v124, v125
	v_fmac_f32_e32 v124, v126, v123
	s_delay_alu instid0(VALU_DEP_1) | instskip(NEXT) | instid1(VALU_DEP_1)
	v_fma_f32 v122, -v122, v124, v125
	v_div_fmas_f32 v122, v122, v123, v124
	s_delay_alu instid0(VALU_DEP_1) | instskip(NEXT) | instid1(VALU_DEP_1)
	v_div_fixup_f32 v122, v122, v121, v120
	v_fmac_f32_e32 v121, v120, v122
	s_delay_alu instid0(VALU_DEP_1) | instskip(SKIP_1) | instid1(VALU_DEP_2)
	v_div_scale_f32 v120, null, v121, v121, 1.0
	v_div_scale_f32 v125, vcc_lo, 1.0, v121, 1.0
	v_rcp_f32_e32 v123, v120
	v_nop
	s_delay_alu instid0(TRANS32_DEP_1) | instskip(NEXT) | instid1(VALU_DEP_1)
	v_fma_f32 v124, -v120, v123, 1.0
	v_fmac_f32_e32 v123, v124, v123
	s_delay_alu instid0(VALU_DEP_1) | instskip(NEXT) | instid1(VALU_DEP_1)
	v_mul_f32_e32 v124, v125, v123
	v_fma_f32 v126, -v120, v124, v125
	s_delay_alu instid0(VALU_DEP_1) | instskip(NEXT) | instid1(VALU_DEP_1)
	v_fmac_f32_e32 v124, v126, v123
	v_fma_f32 v120, -v120, v124, v125
	s_delay_alu instid0(VALU_DEP_1) | instskip(NEXT) | instid1(VALU_DEP_1)
	v_div_fmas_f32 v120, v120, v123, v124
	v_div_fixup_f32 v120, v120, v121, 1.0
	s_delay_alu instid0(VALU_DEP_1)
	v_mul_f32_e32 v122, v122, v120
	v_xor_b32_e32 v123, 0x80000000, v120
                                        ; implicit-def: $vgpr120_vgpr121
.LBB57_14:
	s_and_not1_saveexec_b32 s1, s1
	s_cbranch_execz .LBB57_16
; %bb.15:
	v_div_scale_f32 v122, null, v120, v120, v121
	v_div_scale_f32 v125, vcc_lo, v121, v120, v121
	s_delay_alu instid0(VALU_DEP_2) | instskip(SKIP_1) | instid1(TRANS32_DEP_1)
	v_rcp_f32_e32 v123, v122
	v_nop
	v_fma_f32 v124, -v122, v123, 1.0
	s_delay_alu instid0(VALU_DEP_1) | instskip(NEXT) | instid1(VALU_DEP_1)
	v_fmac_f32_e32 v123, v124, v123
	v_mul_f32_e32 v124, v125, v123
	s_delay_alu instid0(VALU_DEP_1) | instskip(NEXT) | instid1(VALU_DEP_1)
	v_fma_f32 v126, -v122, v124, v125
	v_fmac_f32_e32 v124, v126, v123
	s_delay_alu instid0(VALU_DEP_1) | instskip(NEXT) | instid1(VALU_DEP_1)
	v_fma_f32 v122, -v122, v124, v125
	v_div_fmas_f32 v122, v122, v123, v124
	s_delay_alu instid0(VALU_DEP_1) | instskip(NEXT) | instid1(VALU_DEP_1)
	v_div_fixup_f32 v123, v122, v120, v121
	v_fmac_f32_e32 v120, v121, v123
	s_delay_alu instid0(VALU_DEP_1) | instskip(NEXT) | instid1(VALU_DEP_1)
	v_div_scale_f32 v121, null, v120, v120, 1.0
	v_rcp_f32_e32 v122, v121
	v_nop
	s_delay_alu instid0(TRANS32_DEP_1) | instskip(NEXT) | instid1(VALU_DEP_1)
	v_fma_f32 v124, -v121, v122, 1.0
	v_fmac_f32_e32 v122, v124, v122
	v_div_scale_f32 v124, vcc_lo, 1.0, v120, 1.0
	s_delay_alu instid0(VALU_DEP_1) | instskip(NEXT) | instid1(VALU_DEP_1)
	v_mul_f32_e32 v125, v124, v122
	v_fma_f32 v126, -v121, v125, v124
	s_delay_alu instid0(VALU_DEP_1) | instskip(NEXT) | instid1(VALU_DEP_1)
	v_fmac_f32_e32 v125, v126, v122
	v_fma_f32 v121, -v121, v125, v124
	s_delay_alu instid0(VALU_DEP_1) | instskip(NEXT) | instid1(VALU_DEP_1)
	v_div_fmas_f32 v121, v121, v122, v125
	v_div_fixup_f32 v122, v121, v120, 1.0
	s_delay_alu instid0(VALU_DEP_1)
	v_mul_f32_e64 v123, v123, -v122
.LBB57_16:
	s_or_b32 exec_lo, exec_lo, s1
	ds_store_b64 v177, v[122:123]
.LBB57_17:
	s_or_b32 exec_lo, exec_lo, s2
	s_wait_dscnt 0x0
	s_barrier_signal -1
	s_barrier_wait -1
	ds_load_b64 v[120:121], v177
	s_mov_b32 s1, exec_lo
	v_cmpx_lt_u32_e32 1, v176
	s_cbranch_execz .LBB57_19
; %bb.18:
	ds_load_2addr_b64 v[126:129], v178 offset0:2 offset1:3
	s_wait_dscnt 0x1
	v_pk_mul_f32 v[124:125], v[120:121], v[58:59] op_sel:[1,1] op_sel_hi:[0,1]
	s_delay_alu instid0(VALU_DEP_1) | instskip(SKIP_1) | instid1(VALU_DEP_1)
	v_pk_fma_f32 v[122:123], v[120:121], v[58:59], v[124:125] op_sel_hi:[1,0,1] neg_lo:[0,0,1] neg_hi:[0,0,1]
	v_pk_fma_f32 v[124:125], v[120:121], v[58:59], v[124:125] op_sel_hi:[1,0,1]
	v_dual_mov_b32 v58, v122 :: v_dual_mov_b32 v59, v125
	s_wait_dscnt 0x0
	s_delay_alu instid0(VALU_DEP_2) | instskip(NEXT) | instid1(VALU_DEP_1)
	v_pk_mul_f32 v[130:131], v[126:127], v[124:125] op_sel:[0,1]
	v_pk_fma_f32 v[132:133], v[126:127], v[122:123], v[130:131] op_sel:[0,0,1] op_sel_hi:[1,1,0] neg_lo:[0,0,1] neg_hi:[0,0,1]
	v_pk_fma_f32 v[126:127], v[126:127], v[122:123], v[130:131] op_sel:[0,0,1] op_sel_hi:[1,0,0]
	s_delay_alu instid0(VALU_DEP_1) | instskip(SKIP_1) | instid1(VALU_DEP_1)
	v_mov_b32_e32 v133, v127
	v_pk_mul_f32 v[126:127], v[128:129], v[124:125] op_sel:[0,1]
	v_pk_fma_f32 v[130:131], v[128:129], v[122:123], v[126:127] op_sel:[0,0,1] op_sel_hi:[1,1,0] neg_lo:[0,0,1] neg_hi:[0,0,1]
	v_pk_fma_f32 v[126:127], v[128:129], v[122:123], v[126:127] op_sel:[0,0,1] op_sel_hi:[1,0,0]
	s_delay_alu instid0(VALU_DEP_1)
	v_mov_b32_e32 v131, v127
	ds_load_2addr_b64 v[126:129], v178 offset0:4 offset1:5
	v_pk_add_f32 v[48:49], v[48:49], v[132:133] neg_lo:[0,1] neg_hi:[0,1]
	v_pk_add_f32 v[46:47], v[46:47], v[130:131] neg_lo:[0,1] neg_hi:[0,1]
	s_wait_dscnt 0x0
	v_pk_mul_f32 v[130:131], v[126:127], v[124:125] op_sel:[0,1]
	s_delay_alu instid0(VALU_DEP_1) | instskip(SKIP_2) | instid1(VALU_DEP_2)
	v_pk_fma_f32 v[132:133], v[126:127], v[122:123], v[130:131] op_sel:[0,0,1] op_sel_hi:[1,1,0] neg_lo:[0,0,1] neg_hi:[0,0,1]
	v_pk_fma_f32 v[126:127], v[126:127], v[122:123], v[130:131] op_sel:[0,0,1] op_sel_hi:[1,0,0]
	v_dual_mul_f32 v130, v129, v125 :: v_dual_mov_b32 v126, v129
	v_dual_mov_b32 v133, v127 :: v_dual_mov_b32 v127, v128
	s_delay_alu instid0(VALU_DEP_2) | instskip(SKIP_1) | instid1(VALU_DEP_3)
	v_pk_fma_f32 v[130:131], v[128:129], v[58:59], v[130:131] op_sel_hi:[1,1,0] neg_lo:[0,0,1] neg_hi:[0,0,1]
	v_mul_f32_e32 v128, v129, v122
	v_pk_add_f32 v[28:29], v[28:29], v[132:133] neg_lo:[0,1] neg_hi:[0,1]
	s_delay_alu instid0(VALU_DEP_2) | instskip(NEXT) | instid1(VALU_DEP_1)
	v_pk_fma_f32 v[126:127], v[126:127], v[58:59], v[128:129] op_sel_hi:[1,1,0]
	v_mov_b32_e32 v131, v127
	ds_load_2addr_b64 v[126:129], v178 offset0:6 offset1:7
	v_pk_add_f32 v[24:25], v[24:25], v[130:131] neg_lo:[0,1] neg_hi:[0,1]
	s_wait_dscnt 0x0
	v_pk_mul_f32 v[130:131], v[126:127], v[124:125] op_sel:[0,1]
	s_delay_alu instid0(VALU_DEP_1) | instskip(SKIP_1) | instid1(VALU_DEP_1)
	v_pk_fma_f32 v[132:133], v[126:127], v[122:123], v[130:131] op_sel:[0,0,1] op_sel_hi:[1,1,0] neg_lo:[0,0,1] neg_hi:[0,0,1]
	v_pk_fma_f32 v[126:127], v[126:127], v[122:123], v[130:131] op_sel:[0,0,1] op_sel_hi:[1,0,0]
	v_mov_b32_e32 v133, v127
	v_pk_mul_f32 v[126:127], v[128:129], v[124:125] op_sel:[0,1]
	s_delay_alu instid0(VALU_DEP_1) | instskip(SKIP_1) | instid1(VALU_DEP_1)
	v_pk_fma_f32 v[130:131], v[128:129], v[122:123], v[126:127] op_sel:[0,0,1] op_sel_hi:[1,1,0] neg_lo:[0,0,1] neg_hi:[0,0,1]
	v_pk_fma_f32 v[126:127], v[128:129], v[122:123], v[126:127] op_sel:[0,0,1] op_sel_hi:[1,0,0]
	v_mov_b32_e32 v131, v127
	ds_load_2addr_b64 v[126:129], v178 offset0:8 offset1:9
	v_pk_add_f32 v[26:27], v[26:27], v[132:133] neg_lo:[0,1] neg_hi:[0,1]
	v_pk_add_f32 v[22:23], v[22:23], v[130:131] neg_lo:[0,1] neg_hi:[0,1]
	s_wait_dscnt 0x0
	v_pk_mul_f32 v[130:131], v[126:127], v[124:125] op_sel:[0,1]
	s_delay_alu instid0(VALU_DEP_1) | instskip(SKIP_1) | instid1(VALU_DEP_1)
	v_pk_fma_f32 v[132:133], v[126:127], v[122:123], v[130:131] op_sel:[0,0,1] op_sel_hi:[1,1,0] neg_lo:[0,0,1] neg_hi:[0,0,1]
	v_pk_fma_f32 v[126:127], v[126:127], v[122:123], v[130:131] op_sel:[0,0,1] op_sel_hi:[1,0,0]
	v_mov_b32_e32 v133, v127
	v_pk_mul_f32 v[126:127], v[128:129], v[124:125] op_sel:[0,1]
	s_delay_alu instid0(VALU_DEP_1) | instskip(SKIP_1) | instid1(VALU_DEP_1)
	v_pk_fma_f32 v[130:131], v[128:129], v[122:123], v[126:127] op_sel:[0,0,1] op_sel_hi:[1,1,0] neg_lo:[0,0,1] neg_hi:[0,0,1]
	v_pk_fma_f32 v[126:127], v[128:129], v[122:123], v[126:127] op_sel:[0,0,1] op_sel_hi:[1,0,0]
	v_mov_b32_e32 v131, v127
	ds_load_2addr_b64 v[126:129], v178 offset0:10 offset1:11
	v_pk_add_f32 v[42:43], v[42:43], v[132:133] neg_lo:[0,1] neg_hi:[0,1]
	v_pk_add_f32 v[38:39], v[38:39], v[130:131] neg_lo:[0,1] neg_hi:[0,1]
	s_wait_dscnt 0x0
	v_dual_mul_f32 v130, v127, v125 :: v_dual_mul_f32 v132, v127, v122
	s_delay_alu instid0(VALU_DEP_1) | instskip(NEXT) | instid1(VALU_DEP_2)
	v_pk_fma_f32 v[130:131], v[126:127], v[58:59], v[130:131] op_sel_hi:[1,1,0] neg_lo:[0,0,1] neg_hi:[0,0,1]
	v_pk_fma_f32 v[126:127], v[126:127], v[58:59], v[132:133] op_sel:[1,0,0] op_sel_hi:[0,1,0]
	s_delay_alu instid0(VALU_DEP_1) | instskip(SKIP_1) | instid1(VALU_DEP_2)
	v_mov_b32_e32 v131, v127
	v_pk_mul_f32 v[126:127], v[128:129], v[124:125] op_sel:[0,1]
	v_pk_add_f32 v[40:41], v[40:41], v[130:131] neg_lo:[0,1] neg_hi:[0,1]
	s_delay_alu instid0(VALU_DEP_2) | instskip(SKIP_1) | instid1(VALU_DEP_1)
	v_pk_fma_f32 v[130:131], v[128:129], v[122:123], v[126:127] op_sel:[0,0,1] op_sel_hi:[1,1,0] neg_lo:[0,0,1] neg_hi:[0,0,1]
	v_pk_fma_f32 v[126:127], v[128:129], v[122:123], v[126:127] op_sel:[0,0,1] op_sel_hi:[1,0,0]
	v_mov_b32_e32 v131, v127
	ds_load_2addr_b64 v[126:129], v178 offset0:12 offset1:13
	v_pk_add_f32 v[36:37], v[36:37], v[130:131] neg_lo:[0,1] neg_hi:[0,1]
	s_wait_dscnt 0x0
	v_pk_mul_f32 v[130:131], v[126:127], v[124:125] op_sel:[0,1]
	s_delay_alu instid0(VALU_DEP_1) | instskip(SKIP_1) | instid1(VALU_DEP_1)
	v_pk_fma_f32 v[132:133], v[126:127], v[122:123], v[130:131] op_sel:[0,0,1] op_sel_hi:[1,1,0] neg_lo:[0,0,1] neg_hi:[0,0,1]
	v_pk_fma_f32 v[126:127], v[126:127], v[122:123], v[130:131] op_sel:[0,0,1] op_sel_hi:[1,0,0]
	v_mov_b32_e32 v133, v127
	v_pk_mul_f32 v[126:127], v[128:129], v[124:125] op_sel:[0,1]
	s_delay_alu instid0(VALU_DEP_2) | instskip(NEXT) | instid1(VALU_DEP_2)
	v_pk_add_f32 v[62:63], v[62:63], v[132:133] neg_lo:[0,1] neg_hi:[0,1]
	v_pk_fma_f32 v[130:131], v[128:129], v[122:123], v[126:127] op_sel:[0,0,1] op_sel_hi:[1,1,0] neg_lo:[0,0,1] neg_hi:[0,0,1]
	v_pk_fma_f32 v[126:127], v[128:129], v[122:123], v[126:127] op_sel:[0,0,1] op_sel_hi:[1,0,0]
	s_delay_alu instid0(VALU_DEP_1) | instskip(SKIP_4) | instid1(VALU_DEP_1)
	v_mov_b32_e32 v131, v127
	ds_load_2addr_b64 v[126:129], v178 offset0:14 offset1:15
	v_pk_add_f32 v[88:89], v[88:89], v[130:131] neg_lo:[0,1] neg_hi:[0,1]
	s_wait_dscnt 0x0
	v_pk_mul_f32 v[130:131], v[126:127], v[124:125] op_sel:[0,1]
	v_pk_fma_f32 v[132:133], v[126:127], v[122:123], v[130:131] op_sel:[0,0,1] op_sel_hi:[1,1,0] neg_lo:[0,0,1] neg_hi:[0,0,1]
	v_pk_fma_f32 v[126:127], v[126:127], v[122:123], v[130:131] op_sel:[0,0,1] op_sel_hi:[1,0,0]
	v_dual_mul_f32 v130, v129, v125 :: v_dual_mov_b32 v126, v129
	s_delay_alu instid0(VALU_DEP_2) | instskip(NEXT) | instid1(VALU_DEP_2)
	v_dual_mov_b32 v133, v127 :: v_dual_mov_b32 v127, v128
	v_pk_fma_f32 v[130:131], v[128:129], v[58:59], v[130:131] op_sel_hi:[1,1,0] neg_lo:[0,0,1] neg_hi:[0,0,1]
	v_mul_f32_e32 v128, v129, v122
	s_delay_alu instid0(VALU_DEP_3) | instskip(NEXT) | instid1(VALU_DEP_2)
	v_pk_add_f32 v[108:109], v[108:109], v[132:133] neg_lo:[0,1] neg_hi:[0,1]
	v_pk_fma_f32 v[126:127], v[126:127], v[58:59], v[128:129] op_sel_hi:[1,1,0]
	s_delay_alu instid0(VALU_DEP_1) | instskip(SKIP_4) | instid1(VALU_DEP_1)
	v_mov_b32_e32 v131, v127
	ds_load_2addr_b64 v[126:129], v178 offset0:16 offset1:17
	v_pk_add_f32 v[60:61], v[60:61], v[130:131] neg_lo:[0,1] neg_hi:[0,1]
	s_wait_dscnt 0x0
	v_pk_mul_f32 v[130:131], v[126:127], v[124:125] op_sel:[0,1]
	v_pk_fma_f32 v[132:133], v[126:127], v[122:123], v[130:131] op_sel:[0,0,1] op_sel_hi:[1,1,0] neg_lo:[0,0,1] neg_hi:[0,0,1]
	v_pk_fma_f32 v[126:127], v[126:127], v[122:123], v[130:131] op_sel:[0,0,1] op_sel_hi:[1,0,0]
	s_delay_alu instid0(VALU_DEP_1) | instskip(SKIP_1) | instid1(VALU_DEP_1)
	v_mov_b32_e32 v133, v127
	v_pk_mul_f32 v[126:127], v[128:129], v[124:125] op_sel:[0,1]
	v_pk_fma_f32 v[130:131], v[128:129], v[122:123], v[126:127] op_sel:[0,0,1] op_sel_hi:[1,1,0] neg_lo:[0,0,1] neg_hi:[0,0,1]
	v_pk_fma_f32 v[126:127], v[128:129], v[122:123], v[126:127] op_sel:[0,0,1] op_sel_hi:[1,0,0]
	s_delay_alu instid0(VALU_DEP_1)
	v_mov_b32_e32 v131, v127
	ds_load_2addr_b64 v[126:129], v178 offset0:18 offset1:19
	v_pk_add_f32 v[84:85], v[84:85], v[132:133] neg_lo:[0,1] neg_hi:[0,1]
	v_pk_add_f32 v[80:81], v[80:81], v[130:131] neg_lo:[0,1] neg_hi:[0,1]
	s_wait_dscnt 0x0
	v_pk_mul_f32 v[130:131], v[126:127], v[124:125] op_sel:[0,1]
	s_delay_alu instid0(VALU_DEP_1) | instskip(SKIP_1) | instid1(VALU_DEP_1)
	v_pk_fma_f32 v[132:133], v[126:127], v[122:123], v[130:131] op_sel:[0,0,1] op_sel_hi:[1,1,0] neg_lo:[0,0,1] neg_hi:[0,0,1]
	v_pk_fma_f32 v[126:127], v[126:127], v[122:123], v[130:131] op_sel:[0,0,1] op_sel_hi:[1,0,0]
	v_mov_b32_e32 v133, v127
	v_pk_mul_f32 v[126:127], v[128:129], v[124:125] op_sel:[0,1]
	s_delay_alu instid0(VALU_DEP_1) | instskip(SKIP_1) | instid1(VALU_DEP_1)
	v_pk_fma_f32 v[130:131], v[128:129], v[122:123], v[126:127] op_sel:[0,0,1] op_sel_hi:[1,1,0] neg_lo:[0,0,1] neg_hi:[0,0,1]
	v_pk_fma_f32 v[126:127], v[128:129], v[122:123], v[126:127] op_sel:[0,0,1] op_sel_hi:[1,0,0]
	v_mov_b32_e32 v131, v127
	ds_load_2addr_b64 v[126:129], v178 offset0:20 offset1:21
	v_pk_add_f32 v[82:83], v[82:83], v[132:133] neg_lo:[0,1] neg_hi:[0,1]
	v_pk_add_f32 v[78:79], v[78:79], v[130:131] neg_lo:[0,1] neg_hi:[0,1]
	s_wait_dscnt 0x0
	v_dual_mul_f32 v130, v127, v125 :: v_dual_mul_f32 v132, v127, v122
	s_delay_alu instid0(VALU_DEP_1) | instskip(NEXT) | instid1(VALU_DEP_2)
	v_pk_fma_f32 v[130:131], v[126:127], v[58:59], v[130:131] op_sel_hi:[1,1,0] neg_lo:[0,0,1] neg_hi:[0,0,1]
	v_pk_fma_f32 v[126:127], v[126:127], v[58:59], v[132:133] op_sel:[1,0,0] op_sel_hi:[0,1,0]
	s_delay_alu instid0(VALU_DEP_1) | instskip(SKIP_1) | instid1(VALU_DEP_2)
	v_mov_b32_e32 v131, v127
	v_pk_mul_f32 v[126:127], v[128:129], v[124:125] op_sel:[0,1]
	v_pk_add_f32 v[106:107], v[106:107], v[130:131] neg_lo:[0,1] neg_hi:[0,1]
	s_delay_alu instid0(VALU_DEP_2) | instskip(SKIP_1) | instid1(VALU_DEP_1)
	v_pk_fma_f32 v[130:131], v[128:129], v[122:123], v[126:127] op_sel:[0,0,1] op_sel_hi:[1,1,0] neg_lo:[0,0,1] neg_hi:[0,0,1]
	v_pk_fma_f32 v[126:127], v[128:129], v[122:123], v[126:127] op_sel:[0,0,1] op_sel_hi:[1,0,0]
	v_mov_b32_e32 v131, v127
	ds_load_2addr_b64 v[126:129], v178 offset0:22 offset1:23
	v_pk_add_f32 v[100:101], v[100:101], v[130:131] neg_lo:[0,1] neg_hi:[0,1]
	s_wait_dscnt 0x0
	v_pk_mul_f32 v[130:131], v[126:127], v[124:125] op_sel:[0,1]
	s_delay_alu instid0(VALU_DEP_1) | instskip(SKIP_1) | instid1(VALU_DEP_1)
	v_pk_fma_f32 v[132:133], v[126:127], v[122:123], v[130:131] op_sel:[0,0,1] op_sel_hi:[1,1,0] neg_lo:[0,0,1] neg_hi:[0,0,1]
	v_pk_fma_f32 v[126:127], v[126:127], v[122:123], v[130:131] op_sel:[0,0,1] op_sel_hi:[1,0,0]
	v_mov_b32_e32 v133, v127
	v_pk_mul_f32 v[126:127], v[128:129], v[124:125] op_sel:[0,1]
	s_delay_alu instid0(VALU_DEP_2) | instskip(NEXT) | instid1(VALU_DEP_2)
	v_pk_add_f32 v[104:105], v[104:105], v[132:133] neg_lo:[0,1] neg_hi:[0,1]
	v_pk_fma_f32 v[130:131], v[128:129], v[122:123], v[126:127] op_sel:[0,0,1] op_sel_hi:[1,1,0] neg_lo:[0,0,1] neg_hi:[0,0,1]
	v_pk_fma_f32 v[126:127], v[128:129], v[122:123], v[126:127] op_sel:[0,0,1] op_sel_hi:[1,0,0]
	s_delay_alu instid0(VALU_DEP_1) | instskip(SKIP_4) | instid1(VALU_DEP_1)
	v_mov_b32_e32 v131, v127
	ds_load_2addr_b64 v[126:129], v178 offset0:24 offset1:25
	v_pk_add_f32 v[98:99], v[98:99], v[130:131] neg_lo:[0,1] neg_hi:[0,1]
	s_wait_dscnt 0x0
	v_pk_mul_f32 v[130:131], v[126:127], v[124:125] op_sel:[0,1]
	v_pk_fma_f32 v[132:133], v[126:127], v[122:123], v[130:131] op_sel:[0,0,1] op_sel_hi:[1,1,0] neg_lo:[0,0,1] neg_hi:[0,0,1]
	v_pk_fma_f32 v[126:127], v[126:127], v[122:123], v[130:131] op_sel:[0,0,1] op_sel_hi:[1,0,0]
	v_dual_mul_f32 v130, v129, v125 :: v_dual_mov_b32 v126, v129
	s_delay_alu instid0(VALU_DEP_2) | instskip(NEXT) | instid1(VALU_DEP_2)
	v_dual_mov_b32 v133, v127 :: v_dual_mov_b32 v127, v128
	v_pk_fma_f32 v[130:131], v[128:129], v[58:59], v[130:131] op_sel_hi:[1,1,0] neg_lo:[0,0,1] neg_hi:[0,0,1]
	v_mul_f32_e32 v128, v129, v122
	s_delay_alu instid0(VALU_DEP_3) | instskip(NEXT) | instid1(VALU_DEP_2)
	v_pk_add_f32 v[102:103], v[102:103], v[132:133] neg_lo:[0,1] neg_hi:[0,1]
	v_pk_fma_f32 v[126:127], v[126:127], v[58:59], v[128:129] op_sel_hi:[1,1,0]
	s_delay_alu instid0(VALU_DEP_1) | instskip(SKIP_4) | instid1(VALU_DEP_1)
	v_mov_b32_e32 v131, v127
	ds_load_2addr_b64 v[126:129], v178 offset0:26 offset1:27
	v_pk_add_f32 v[114:115], v[114:115], v[130:131] neg_lo:[0,1] neg_hi:[0,1]
	s_wait_dscnt 0x0
	v_pk_mul_f32 v[130:131], v[126:127], v[124:125] op_sel:[0,1]
	v_pk_fma_f32 v[132:133], v[126:127], v[122:123], v[130:131] op_sel:[0,0,1] op_sel_hi:[1,1,0] neg_lo:[0,0,1] neg_hi:[0,0,1]
	v_pk_fma_f32 v[126:127], v[126:127], v[122:123], v[130:131] op_sel:[0,0,1] op_sel_hi:[1,0,0]
	s_delay_alu instid0(VALU_DEP_1) | instskip(SKIP_1) | instid1(VALU_DEP_1)
	v_mov_b32_e32 v133, v127
	v_pk_mul_f32 v[126:127], v[128:129], v[124:125] op_sel:[0,1]
	v_pk_fma_f32 v[130:131], v[128:129], v[122:123], v[126:127] op_sel:[0,0,1] op_sel_hi:[1,1,0] neg_lo:[0,0,1] neg_hi:[0,0,1]
	v_pk_fma_f32 v[126:127], v[128:129], v[122:123], v[126:127] op_sel:[0,0,1] op_sel_hi:[1,0,0]
	s_delay_alu instid0(VALU_DEP_1)
	v_mov_b32_e32 v131, v127
	ds_load_b64 v[126:127], v178 offset:224
	v_pk_add_f32 v[112:113], v[112:113], v[132:133] neg_lo:[0,1] neg_hi:[0,1]
	v_pk_add_f32 v[110:111], v[110:111], v[130:131] neg_lo:[0,1] neg_hi:[0,1]
	s_wait_dscnt 0x0
	v_pk_mul_f32 v[124:125], v[126:127], v[124:125] op_sel:[0,1]
	s_delay_alu instid0(VALU_DEP_1) | instskip(SKIP_1) | instid1(VALU_DEP_1)
	v_pk_fma_f32 v[128:129], v[126:127], v[122:123], v[124:125] op_sel:[0,0,1] op_sel_hi:[1,1,0] neg_lo:[0,0,1] neg_hi:[0,0,1]
	v_pk_fma_f32 v[122:123], v[126:127], v[122:123], v[124:125] op_sel:[0,0,1] op_sel_hi:[1,0,0]
	v_mov_b32_e32 v129, v123
	s_delay_alu instid0(VALU_DEP_1)
	v_pk_add_f32 v[116:117], v[116:117], v[128:129] neg_lo:[0,1] neg_hi:[0,1]
.LBB57_19:
	s_or_b32 exec_lo, exec_lo, s1
	s_delay_alu instid0(SALU_CYCLE_1)
	s_mov_b32 s2, exec_lo
	s_wait_dscnt 0x0
	s_barrier_signal -1
	s_barrier_wait -1
	v_cmpx_eq_u32_e32 2, v176
	s_cbranch_execz .LBB57_26
; %bb.20:
	ds_store_b64 v177, v[48:49]
	ds_store_2addr_b64 v178, v[46:47], v[28:29] offset0:3 offset1:4
	ds_store_2addr_b64 v178, v[24:25], v[26:27] offset0:5 offset1:6
	;; [unrolled: 1-line block ×13, first 2 shown]
	ds_load_b64 v[122:123], v177
	s_wait_dscnt 0x0
	v_cmp_neq_f32_e32 vcc_lo, 0, v122
	v_cmp_neq_f32_e64 s1, 0, v123
	s_or_b32 s1, vcc_lo, s1
	s_delay_alu instid0(SALU_CYCLE_1)
	s_and_b32 exec_lo, exec_lo, s1
	s_cbranch_execz .LBB57_26
; %bb.21:
	v_cmp_ngt_f32_e64 s1, |v122|, |v123|
                                        ; implicit-def: $vgpr124_vgpr125
	s_and_saveexec_b32 s4, s1
	s_delay_alu instid0(SALU_CYCLE_1)
	s_xor_b32 s1, exec_lo, s4
	s_cbranch_execz .LBB57_23
; %bb.22:
	v_div_scale_f32 v124, null, v123, v123, v122
	v_div_scale_f32 v127, vcc_lo, v122, v123, v122
	s_delay_alu instid0(VALU_DEP_2) | instskip(SKIP_1) | instid1(TRANS32_DEP_1)
	v_rcp_f32_e32 v125, v124
	v_nop
	v_fma_f32 v126, -v124, v125, 1.0
	s_delay_alu instid0(VALU_DEP_1) | instskip(NEXT) | instid1(VALU_DEP_1)
	v_fmac_f32_e32 v125, v126, v125
	v_mul_f32_e32 v126, v127, v125
	s_delay_alu instid0(VALU_DEP_1) | instskip(NEXT) | instid1(VALU_DEP_1)
	v_fma_f32 v128, -v124, v126, v127
	v_fmac_f32_e32 v126, v128, v125
	s_delay_alu instid0(VALU_DEP_1) | instskip(NEXT) | instid1(VALU_DEP_1)
	v_fma_f32 v124, -v124, v126, v127
	v_div_fmas_f32 v124, v124, v125, v126
	s_delay_alu instid0(VALU_DEP_1) | instskip(NEXT) | instid1(VALU_DEP_1)
	v_div_fixup_f32 v124, v124, v123, v122
	v_fmac_f32_e32 v123, v122, v124
	s_delay_alu instid0(VALU_DEP_1) | instskip(SKIP_1) | instid1(VALU_DEP_2)
	v_div_scale_f32 v122, null, v123, v123, 1.0
	v_div_scale_f32 v127, vcc_lo, 1.0, v123, 1.0
	v_rcp_f32_e32 v125, v122
	v_nop
	s_delay_alu instid0(TRANS32_DEP_1) | instskip(NEXT) | instid1(VALU_DEP_1)
	v_fma_f32 v126, -v122, v125, 1.0
	v_fmac_f32_e32 v125, v126, v125
	s_delay_alu instid0(VALU_DEP_1) | instskip(NEXT) | instid1(VALU_DEP_1)
	v_mul_f32_e32 v126, v127, v125
	v_fma_f32 v128, -v122, v126, v127
	s_delay_alu instid0(VALU_DEP_1) | instskip(NEXT) | instid1(VALU_DEP_1)
	v_fmac_f32_e32 v126, v128, v125
	v_fma_f32 v122, -v122, v126, v127
	s_delay_alu instid0(VALU_DEP_1) | instskip(NEXT) | instid1(VALU_DEP_1)
	v_div_fmas_f32 v122, v122, v125, v126
	v_div_fixup_f32 v122, v122, v123, 1.0
	s_delay_alu instid0(VALU_DEP_1)
	v_mul_f32_e32 v124, v124, v122
	v_xor_b32_e32 v125, 0x80000000, v122
                                        ; implicit-def: $vgpr122_vgpr123
.LBB57_23:
	s_and_not1_saveexec_b32 s1, s1
	s_cbranch_execz .LBB57_25
; %bb.24:
	v_div_scale_f32 v124, null, v122, v122, v123
	v_div_scale_f32 v127, vcc_lo, v123, v122, v123
	s_delay_alu instid0(VALU_DEP_2) | instskip(SKIP_1) | instid1(TRANS32_DEP_1)
	v_rcp_f32_e32 v125, v124
	v_nop
	v_fma_f32 v126, -v124, v125, 1.0
	s_delay_alu instid0(VALU_DEP_1) | instskip(NEXT) | instid1(VALU_DEP_1)
	v_fmac_f32_e32 v125, v126, v125
	v_mul_f32_e32 v126, v127, v125
	s_delay_alu instid0(VALU_DEP_1) | instskip(NEXT) | instid1(VALU_DEP_1)
	v_fma_f32 v128, -v124, v126, v127
	v_fmac_f32_e32 v126, v128, v125
	s_delay_alu instid0(VALU_DEP_1) | instskip(NEXT) | instid1(VALU_DEP_1)
	v_fma_f32 v124, -v124, v126, v127
	v_div_fmas_f32 v124, v124, v125, v126
	s_delay_alu instid0(VALU_DEP_1) | instskip(NEXT) | instid1(VALU_DEP_1)
	v_div_fixup_f32 v125, v124, v122, v123
	v_fmac_f32_e32 v122, v123, v125
	s_delay_alu instid0(VALU_DEP_1) | instskip(NEXT) | instid1(VALU_DEP_1)
	v_div_scale_f32 v123, null, v122, v122, 1.0
	v_rcp_f32_e32 v124, v123
	v_nop
	s_delay_alu instid0(TRANS32_DEP_1) | instskip(NEXT) | instid1(VALU_DEP_1)
	v_fma_f32 v126, -v123, v124, 1.0
	v_fmac_f32_e32 v124, v126, v124
	v_div_scale_f32 v126, vcc_lo, 1.0, v122, 1.0
	s_delay_alu instid0(VALU_DEP_1) | instskip(NEXT) | instid1(VALU_DEP_1)
	v_mul_f32_e32 v127, v126, v124
	v_fma_f32 v128, -v123, v127, v126
	s_delay_alu instid0(VALU_DEP_1) | instskip(NEXT) | instid1(VALU_DEP_1)
	v_fmac_f32_e32 v127, v128, v124
	v_fma_f32 v123, -v123, v127, v126
	s_delay_alu instid0(VALU_DEP_1) | instskip(NEXT) | instid1(VALU_DEP_1)
	v_div_fmas_f32 v123, v123, v124, v127
	v_div_fixup_f32 v124, v123, v122, 1.0
	s_delay_alu instid0(VALU_DEP_1)
	v_mul_f32_e64 v125, v125, -v124
.LBB57_25:
	s_or_b32 exec_lo, exec_lo, s1
	ds_store_b64 v177, v[124:125]
.LBB57_26:
	s_or_b32 exec_lo, exec_lo, s2
	s_wait_dscnt 0x0
	s_barrier_signal -1
	s_barrier_wait -1
	ds_load_b64 v[122:123], v177
	s_mov_b32 s1, exec_lo
	v_cmpx_lt_u32_e32 2, v176
	s_cbranch_execz .LBB57_28
; %bb.27:
	ds_load_2addr_b64 v[128:131], v178 offset0:3 offset1:4
	s_wait_dscnt 0x1
	v_pk_mul_f32 v[126:127], v[122:123], v[48:49] op_sel:[1,1] op_sel_hi:[0,1]
	s_delay_alu instid0(VALU_DEP_1) | instskip(SKIP_1) | instid1(VALU_DEP_1)
	v_pk_fma_f32 v[124:125], v[122:123], v[48:49], v[126:127] op_sel_hi:[1,0,1] neg_lo:[0,0,1] neg_hi:[0,0,1]
	v_pk_fma_f32 v[126:127], v[122:123], v[48:49], v[126:127] op_sel_hi:[1,0,1]
	v_dual_mov_b32 v48, v124 :: v_dual_mov_b32 v49, v127
	s_wait_dscnt 0x0
	s_delay_alu instid0(VALU_DEP_2) | instskip(NEXT) | instid1(VALU_DEP_1)
	v_pk_mul_f32 v[132:133], v[128:129], v[126:127] op_sel:[0,1]
	v_pk_fma_f32 v[134:135], v[128:129], v[124:125], v[132:133] op_sel:[0,0,1] op_sel_hi:[1,1,0] neg_lo:[0,0,1] neg_hi:[0,0,1]
	v_pk_fma_f32 v[128:129], v[128:129], v[124:125], v[132:133] op_sel:[0,0,1] op_sel_hi:[1,0,0]
	s_delay_alu instid0(VALU_DEP_1) | instskip(SKIP_1) | instid1(VALU_DEP_1)
	v_mov_b32_e32 v135, v129
	v_pk_mul_f32 v[128:129], v[130:131], v[126:127] op_sel:[0,1]
	v_pk_fma_f32 v[132:133], v[130:131], v[124:125], v[128:129] op_sel:[0,0,1] op_sel_hi:[1,1,0] neg_lo:[0,0,1] neg_hi:[0,0,1]
	v_pk_fma_f32 v[128:129], v[130:131], v[124:125], v[128:129] op_sel:[0,0,1] op_sel_hi:[1,0,0]
	s_delay_alu instid0(VALU_DEP_1)
	v_mov_b32_e32 v133, v129
	ds_load_2addr_b64 v[128:131], v178 offset0:5 offset1:6
	v_pk_add_f32 v[46:47], v[46:47], v[134:135] neg_lo:[0,1] neg_hi:[0,1]
	v_pk_add_f32 v[28:29], v[28:29], v[132:133] neg_lo:[0,1] neg_hi:[0,1]
	s_wait_dscnt 0x0
	v_pk_mul_f32 v[132:133], v[128:129], v[126:127] op_sel:[0,1]
	s_delay_alu instid0(VALU_DEP_1) | instskip(SKIP_2) | instid1(VALU_DEP_2)
	v_pk_fma_f32 v[134:135], v[128:129], v[124:125], v[132:133] op_sel:[0,0,1] op_sel_hi:[1,1,0] neg_lo:[0,0,1] neg_hi:[0,0,1]
	v_pk_fma_f32 v[128:129], v[128:129], v[124:125], v[132:133] op_sel:[0,0,1] op_sel_hi:[1,0,0]
	v_dual_mul_f32 v132, v131, v127 :: v_dual_mov_b32 v128, v131
	v_dual_mov_b32 v135, v129 :: v_dual_mov_b32 v129, v130
	s_delay_alu instid0(VALU_DEP_2) | instskip(SKIP_1) | instid1(VALU_DEP_3)
	v_pk_fma_f32 v[132:133], v[130:131], v[48:49], v[132:133] op_sel_hi:[1,1,0] neg_lo:[0,0,1] neg_hi:[0,0,1]
	v_mul_f32_e32 v130, v131, v124
	v_pk_add_f32 v[24:25], v[24:25], v[134:135] neg_lo:[0,1] neg_hi:[0,1]
	s_delay_alu instid0(VALU_DEP_2) | instskip(NEXT) | instid1(VALU_DEP_1)
	v_pk_fma_f32 v[128:129], v[128:129], v[48:49], v[130:131] op_sel_hi:[1,1,0]
	v_mov_b32_e32 v133, v129
	ds_load_2addr_b64 v[128:131], v178 offset0:7 offset1:8
	v_pk_add_f32 v[26:27], v[26:27], v[132:133] neg_lo:[0,1] neg_hi:[0,1]
	s_wait_dscnt 0x0
	v_pk_mul_f32 v[132:133], v[128:129], v[126:127] op_sel:[0,1]
	s_delay_alu instid0(VALU_DEP_1) | instskip(SKIP_1) | instid1(VALU_DEP_1)
	v_pk_fma_f32 v[134:135], v[128:129], v[124:125], v[132:133] op_sel:[0,0,1] op_sel_hi:[1,1,0] neg_lo:[0,0,1] neg_hi:[0,0,1]
	v_pk_fma_f32 v[128:129], v[128:129], v[124:125], v[132:133] op_sel:[0,0,1] op_sel_hi:[1,0,0]
	v_mov_b32_e32 v135, v129
	v_pk_mul_f32 v[128:129], v[130:131], v[126:127] op_sel:[0,1]
	s_delay_alu instid0(VALU_DEP_1) | instskip(SKIP_1) | instid1(VALU_DEP_1)
	v_pk_fma_f32 v[132:133], v[130:131], v[124:125], v[128:129] op_sel:[0,0,1] op_sel_hi:[1,1,0] neg_lo:[0,0,1] neg_hi:[0,0,1]
	v_pk_fma_f32 v[128:129], v[130:131], v[124:125], v[128:129] op_sel:[0,0,1] op_sel_hi:[1,0,0]
	v_mov_b32_e32 v133, v129
	ds_load_2addr_b64 v[128:131], v178 offset0:9 offset1:10
	v_pk_add_f32 v[22:23], v[22:23], v[134:135] neg_lo:[0,1] neg_hi:[0,1]
	v_pk_add_f32 v[42:43], v[42:43], v[132:133] neg_lo:[0,1] neg_hi:[0,1]
	s_wait_dscnt 0x0
	v_pk_mul_f32 v[132:133], v[128:129], v[126:127] op_sel:[0,1]
	s_delay_alu instid0(VALU_DEP_1) | instskip(SKIP_1) | instid1(VALU_DEP_1)
	v_pk_fma_f32 v[134:135], v[128:129], v[124:125], v[132:133] op_sel:[0,0,1] op_sel_hi:[1,1,0] neg_lo:[0,0,1] neg_hi:[0,0,1]
	v_pk_fma_f32 v[128:129], v[128:129], v[124:125], v[132:133] op_sel:[0,0,1] op_sel_hi:[1,0,0]
	v_mov_b32_e32 v135, v129
	v_pk_mul_f32 v[128:129], v[130:131], v[126:127] op_sel:[0,1]
	s_delay_alu instid0(VALU_DEP_1) | instskip(SKIP_1) | instid1(VALU_DEP_1)
	v_pk_fma_f32 v[132:133], v[130:131], v[124:125], v[128:129] op_sel:[0,0,1] op_sel_hi:[1,1,0] neg_lo:[0,0,1] neg_hi:[0,0,1]
	v_pk_fma_f32 v[128:129], v[130:131], v[124:125], v[128:129] op_sel:[0,0,1] op_sel_hi:[1,0,0]
	v_mov_b32_e32 v133, v129
	ds_load_2addr_b64 v[128:131], v178 offset0:11 offset1:12
	v_pk_add_f32 v[38:39], v[38:39], v[134:135] neg_lo:[0,1] neg_hi:[0,1]
	v_pk_add_f32 v[40:41], v[40:41], v[132:133] neg_lo:[0,1] neg_hi:[0,1]
	s_wait_dscnt 0x0
	v_dual_mul_f32 v132, v129, v127 :: v_dual_mul_f32 v134, v129, v124
	s_delay_alu instid0(VALU_DEP_1) | instskip(NEXT) | instid1(VALU_DEP_2)
	v_pk_fma_f32 v[132:133], v[128:129], v[48:49], v[132:133] op_sel_hi:[1,1,0] neg_lo:[0,0,1] neg_hi:[0,0,1]
	v_pk_fma_f32 v[128:129], v[128:129], v[48:49], v[134:135] op_sel:[1,0,0] op_sel_hi:[0,1,0]
	s_delay_alu instid0(VALU_DEP_1) | instskip(SKIP_1) | instid1(VALU_DEP_2)
	v_mov_b32_e32 v133, v129
	v_pk_mul_f32 v[128:129], v[130:131], v[126:127] op_sel:[0,1]
	v_pk_add_f32 v[36:37], v[36:37], v[132:133] neg_lo:[0,1] neg_hi:[0,1]
	s_delay_alu instid0(VALU_DEP_2) | instskip(SKIP_1) | instid1(VALU_DEP_1)
	v_pk_fma_f32 v[132:133], v[130:131], v[124:125], v[128:129] op_sel:[0,0,1] op_sel_hi:[1,1,0] neg_lo:[0,0,1] neg_hi:[0,0,1]
	v_pk_fma_f32 v[128:129], v[130:131], v[124:125], v[128:129] op_sel:[0,0,1] op_sel_hi:[1,0,0]
	v_mov_b32_e32 v133, v129
	ds_load_2addr_b64 v[128:131], v178 offset0:13 offset1:14
	v_pk_add_f32 v[62:63], v[62:63], v[132:133] neg_lo:[0,1] neg_hi:[0,1]
	s_wait_dscnt 0x0
	v_pk_mul_f32 v[132:133], v[128:129], v[126:127] op_sel:[0,1]
	s_delay_alu instid0(VALU_DEP_1) | instskip(SKIP_1) | instid1(VALU_DEP_1)
	v_pk_fma_f32 v[134:135], v[128:129], v[124:125], v[132:133] op_sel:[0,0,1] op_sel_hi:[1,1,0] neg_lo:[0,0,1] neg_hi:[0,0,1]
	v_pk_fma_f32 v[128:129], v[128:129], v[124:125], v[132:133] op_sel:[0,0,1] op_sel_hi:[1,0,0]
	v_mov_b32_e32 v135, v129
	v_pk_mul_f32 v[128:129], v[130:131], v[126:127] op_sel:[0,1]
	s_delay_alu instid0(VALU_DEP_2) | instskip(NEXT) | instid1(VALU_DEP_2)
	v_pk_add_f32 v[88:89], v[88:89], v[134:135] neg_lo:[0,1] neg_hi:[0,1]
	v_pk_fma_f32 v[132:133], v[130:131], v[124:125], v[128:129] op_sel:[0,0,1] op_sel_hi:[1,1,0] neg_lo:[0,0,1] neg_hi:[0,0,1]
	v_pk_fma_f32 v[128:129], v[130:131], v[124:125], v[128:129] op_sel:[0,0,1] op_sel_hi:[1,0,0]
	s_delay_alu instid0(VALU_DEP_1) | instskip(SKIP_4) | instid1(VALU_DEP_1)
	v_mov_b32_e32 v133, v129
	ds_load_2addr_b64 v[128:131], v178 offset0:15 offset1:16
	v_pk_add_f32 v[108:109], v[108:109], v[132:133] neg_lo:[0,1] neg_hi:[0,1]
	s_wait_dscnt 0x0
	v_pk_mul_f32 v[132:133], v[128:129], v[126:127] op_sel:[0,1]
	v_pk_fma_f32 v[134:135], v[128:129], v[124:125], v[132:133] op_sel:[0,0,1] op_sel_hi:[1,1,0] neg_lo:[0,0,1] neg_hi:[0,0,1]
	v_pk_fma_f32 v[128:129], v[128:129], v[124:125], v[132:133] op_sel:[0,0,1] op_sel_hi:[1,0,0]
	v_dual_mul_f32 v132, v131, v127 :: v_dual_mov_b32 v128, v131
	s_delay_alu instid0(VALU_DEP_2) | instskip(NEXT) | instid1(VALU_DEP_2)
	v_dual_mov_b32 v135, v129 :: v_dual_mov_b32 v129, v130
	v_pk_fma_f32 v[132:133], v[130:131], v[48:49], v[132:133] op_sel_hi:[1,1,0] neg_lo:[0,0,1] neg_hi:[0,0,1]
	v_mul_f32_e32 v130, v131, v124
	s_delay_alu instid0(VALU_DEP_3) | instskip(NEXT) | instid1(VALU_DEP_2)
	v_pk_add_f32 v[60:61], v[60:61], v[134:135] neg_lo:[0,1] neg_hi:[0,1]
	v_pk_fma_f32 v[128:129], v[128:129], v[48:49], v[130:131] op_sel_hi:[1,1,0]
	s_delay_alu instid0(VALU_DEP_1) | instskip(SKIP_4) | instid1(VALU_DEP_1)
	v_mov_b32_e32 v133, v129
	ds_load_2addr_b64 v[128:131], v178 offset0:17 offset1:18
	v_pk_add_f32 v[84:85], v[84:85], v[132:133] neg_lo:[0,1] neg_hi:[0,1]
	s_wait_dscnt 0x0
	v_pk_mul_f32 v[132:133], v[128:129], v[126:127] op_sel:[0,1]
	v_pk_fma_f32 v[134:135], v[128:129], v[124:125], v[132:133] op_sel:[0,0,1] op_sel_hi:[1,1,0] neg_lo:[0,0,1] neg_hi:[0,0,1]
	v_pk_fma_f32 v[128:129], v[128:129], v[124:125], v[132:133] op_sel:[0,0,1] op_sel_hi:[1,0,0]
	s_delay_alu instid0(VALU_DEP_1) | instskip(SKIP_1) | instid1(VALU_DEP_1)
	v_mov_b32_e32 v135, v129
	v_pk_mul_f32 v[128:129], v[130:131], v[126:127] op_sel:[0,1]
	v_pk_fma_f32 v[132:133], v[130:131], v[124:125], v[128:129] op_sel:[0,0,1] op_sel_hi:[1,1,0] neg_lo:[0,0,1] neg_hi:[0,0,1]
	v_pk_fma_f32 v[128:129], v[130:131], v[124:125], v[128:129] op_sel:[0,0,1] op_sel_hi:[1,0,0]
	s_delay_alu instid0(VALU_DEP_1)
	v_mov_b32_e32 v133, v129
	ds_load_2addr_b64 v[128:131], v178 offset0:19 offset1:20
	v_pk_add_f32 v[80:81], v[80:81], v[134:135] neg_lo:[0,1] neg_hi:[0,1]
	v_pk_add_f32 v[82:83], v[82:83], v[132:133] neg_lo:[0,1] neg_hi:[0,1]
	s_wait_dscnt 0x0
	v_pk_mul_f32 v[132:133], v[128:129], v[126:127] op_sel:[0,1]
	s_delay_alu instid0(VALU_DEP_1) | instskip(SKIP_1) | instid1(VALU_DEP_1)
	v_pk_fma_f32 v[134:135], v[128:129], v[124:125], v[132:133] op_sel:[0,0,1] op_sel_hi:[1,1,0] neg_lo:[0,0,1] neg_hi:[0,0,1]
	v_pk_fma_f32 v[128:129], v[128:129], v[124:125], v[132:133] op_sel:[0,0,1] op_sel_hi:[1,0,0]
	v_mov_b32_e32 v135, v129
	v_pk_mul_f32 v[128:129], v[130:131], v[126:127] op_sel:[0,1]
	s_delay_alu instid0(VALU_DEP_1) | instskip(SKIP_1) | instid1(VALU_DEP_1)
	v_pk_fma_f32 v[132:133], v[130:131], v[124:125], v[128:129] op_sel:[0,0,1] op_sel_hi:[1,1,0] neg_lo:[0,0,1] neg_hi:[0,0,1]
	v_pk_fma_f32 v[128:129], v[130:131], v[124:125], v[128:129] op_sel:[0,0,1] op_sel_hi:[1,0,0]
	v_mov_b32_e32 v133, v129
	ds_load_2addr_b64 v[128:131], v178 offset0:21 offset1:22
	v_pk_add_f32 v[78:79], v[78:79], v[134:135] neg_lo:[0,1] neg_hi:[0,1]
	v_pk_add_f32 v[106:107], v[106:107], v[132:133] neg_lo:[0,1] neg_hi:[0,1]
	s_wait_dscnt 0x0
	v_dual_mul_f32 v132, v129, v127 :: v_dual_mul_f32 v134, v129, v124
	s_delay_alu instid0(VALU_DEP_1) | instskip(NEXT) | instid1(VALU_DEP_2)
	v_pk_fma_f32 v[132:133], v[128:129], v[48:49], v[132:133] op_sel_hi:[1,1,0] neg_lo:[0,0,1] neg_hi:[0,0,1]
	v_pk_fma_f32 v[128:129], v[128:129], v[48:49], v[134:135] op_sel:[1,0,0] op_sel_hi:[0,1,0]
	s_delay_alu instid0(VALU_DEP_1) | instskip(SKIP_1) | instid1(VALU_DEP_2)
	v_mov_b32_e32 v133, v129
	v_pk_mul_f32 v[128:129], v[130:131], v[126:127] op_sel:[0,1]
	v_pk_add_f32 v[100:101], v[100:101], v[132:133] neg_lo:[0,1] neg_hi:[0,1]
	s_delay_alu instid0(VALU_DEP_2) | instskip(SKIP_1) | instid1(VALU_DEP_1)
	v_pk_fma_f32 v[132:133], v[130:131], v[124:125], v[128:129] op_sel:[0,0,1] op_sel_hi:[1,1,0] neg_lo:[0,0,1] neg_hi:[0,0,1]
	v_pk_fma_f32 v[128:129], v[130:131], v[124:125], v[128:129] op_sel:[0,0,1] op_sel_hi:[1,0,0]
	v_mov_b32_e32 v133, v129
	ds_load_2addr_b64 v[128:131], v178 offset0:23 offset1:24
	v_pk_add_f32 v[104:105], v[104:105], v[132:133] neg_lo:[0,1] neg_hi:[0,1]
	s_wait_dscnt 0x0
	v_pk_mul_f32 v[132:133], v[128:129], v[126:127] op_sel:[0,1]
	s_delay_alu instid0(VALU_DEP_1) | instskip(SKIP_1) | instid1(VALU_DEP_1)
	v_pk_fma_f32 v[134:135], v[128:129], v[124:125], v[132:133] op_sel:[0,0,1] op_sel_hi:[1,1,0] neg_lo:[0,0,1] neg_hi:[0,0,1]
	v_pk_fma_f32 v[128:129], v[128:129], v[124:125], v[132:133] op_sel:[0,0,1] op_sel_hi:[1,0,0]
	v_mov_b32_e32 v135, v129
	v_pk_mul_f32 v[128:129], v[130:131], v[126:127] op_sel:[0,1]
	s_delay_alu instid0(VALU_DEP_2) | instskip(NEXT) | instid1(VALU_DEP_2)
	v_pk_add_f32 v[98:99], v[98:99], v[134:135] neg_lo:[0,1] neg_hi:[0,1]
	v_pk_fma_f32 v[132:133], v[130:131], v[124:125], v[128:129] op_sel:[0,0,1] op_sel_hi:[1,1,0] neg_lo:[0,0,1] neg_hi:[0,0,1]
	v_pk_fma_f32 v[128:129], v[130:131], v[124:125], v[128:129] op_sel:[0,0,1] op_sel_hi:[1,0,0]
	s_delay_alu instid0(VALU_DEP_1) | instskip(SKIP_4) | instid1(VALU_DEP_1)
	v_mov_b32_e32 v133, v129
	ds_load_2addr_b64 v[128:131], v178 offset0:25 offset1:26
	v_pk_add_f32 v[102:103], v[102:103], v[132:133] neg_lo:[0,1] neg_hi:[0,1]
	s_wait_dscnt 0x0
	v_pk_mul_f32 v[132:133], v[128:129], v[126:127] op_sel:[0,1]
	v_pk_fma_f32 v[134:135], v[128:129], v[124:125], v[132:133] op_sel:[0,0,1] op_sel_hi:[1,1,0] neg_lo:[0,0,1] neg_hi:[0,0,1]
	v_pk_fma_f32 v[128:129], v[128:129], v[124:125], v[132:133] op_sel:[0,0,1] op_sel_hi:[1,0,0]
	v_dual_mul_f32 v132, v131, v127 :: v_dual_mov_b32 v128, v131
	s_delay_alu instid0(VALU_DEP_2) | instskip(NEXT) | instid1(VALU_DEP_2)
	v_dual_mov_b32 v135, v129 :: v_dual_mov_b32 v129, v130
	v_pk_fma_f32 v[132:133], v[130:131], v[48:49], v[132:133] op_sel_hi:[1,1,0] neg_lo:[0,0,1] neg_hi:[0,0,1]
	v_mul_f32_e32 v130, v131, v124
	s_delay_alu instid0(VALU_DEP_3) | instskip(NEXT) | instid1(VALU_DEP_2)
	v_pk_add_f32 v[114:115], v[114:115], v[134:135] neg_lo:[0,1] neg_hi:[0,1]
	v_pk_fma_f32 v[128:129], v[128:129], v[48:49], v[130:131] op_sel_hi:[1,1,0]
	s_delay_alu instid0(VALU_DEP_1)
	v_mov_b32_e32 v133, v129
	ds_load_2addr_b64 v[128:131], v178 offset0:27 offset1:28
	v_pk_add_f32 v[112:113], v[112:113], v[132:133] neg_lo:[0,1] neg_hi:[0,1]
	s_wait_dscnt 0x0
	v_pk_mul_f32 v[132:133], v[128:129], v[126:127] op_sel:[0,1]
	v_pk_mul_f32 v[126:127], v[130:131], v[126:127] op_sel:[0,1]
	s_delay_alu instid0(VALU_DEP_2) | instskip(SKIP_1) | instid1(VALU_DEP_1)
	v_pk_fma_f32 v[134:135], v[128:129], v[124:125], v[132:133] op_sel:[0,0,1] op_sel_hi:[1,1,0] neg_lo:[0,0,1] neg_hi:[0,0,1]
	v_pk_fma_f32 v[128:129], v[128:129], v[124:125], v[132:133] op_sel:[0,0,1] op_sel_hi:[1,0,0]
	v_mov_b32_e32 v135, v129
	s_delay_alu instid0(VALU_DEP_4) | instskip(SKIP_1) | instid1(VALU_DEP_1)
	v_pk_fma_f32 v[128:129], v[130:131], v[124:125], v[126:127] op_sel:[0,0,1] op_sel_hi:[1,1,0] neg_lo:[0,0,1] neg_hi:[0,0,1]
	v_pk_fma_f32 v[124:125], v[130:131], v[124:125], v[126:127] op_sel:[0,0,1] op_sel_hi:[1,0,0]
	v_mov_b32_e32 v129, v125
	s_delay_alu instid0(VALU_DEP_4) | instskip(NEXT) | instid1(VALU_DEP_2)
	v_pk_add_f32 v[110:111], v[110:111], v[134:135] neg_lo:[0,1] neg_hi:[0,1]
	v_pk_add_f32 v[116:117], v[116:117], v[128:129] neg_lo:[0,1] neg_hi:[0,1]
.LBB57_28:
	s_or_b32 exec_lo, exec_lo, s1
	s_delay_alu instid0(SALU_CYCLE_1)
	s_mov_b32 s2, exec_lo
	s_wait_dscnt 0x0
	s_barrier_signal -1
	s_barrier_wait -1
	v_cmpx_eq_u32_e32 3, v176
	s_cbranch_execz .LBB57_35
; %bb.29:
	v_dual_mov_b32 v124, v28 :: v_dual_mov_b32 v125, v29
	v_dual_mov_b32 v126, v24 :: v_dual_mov_b32 v127, v25
	ds_store_b64 v177, v[46:47]
	ds_store_2addr_b64 v178, v[124:125], v[126:127] offset0:4 offset1:5
	v_dual_mov_b32 v124, v26 :: v_dual_mov_b32 v125, v27
	v_dual_mov_b32 v126, v22 :: v_dual_mov_b32 v127, v23
	ds_store_2addr_b64 v178, v[124:125], v[126:127] offset0:6 offset1:7
	v_dual_mov_b32 v124, v42 :: v_dual_mov_b32 v125, v43
	v_dual_mov_b32 v126, v38 :: v_dual_mov_b32 v127, v39
	;; [unrolled: 3-line block ×11, first 2 shown]
	ds_store_2addr_b64 v178, v[124:125], v[126:127] offset0:26 offset1:27
	ds_store_b64 v178, v[116:117] offset:224
	ds_load_b64 v[124:125], v177
	s_wait_dscnt 0x0
	v_cmp_neq_f32_e32 vcc_lo, 0, v124
	v_cmp_neq_f32_e64 s1, 0, v125
	s_or_b32 s1, vcc_lo, s1
	s_delay_alu instid0(SALU_CYCLE_1)
	s_and_b32 exec_lo, exec_lo, s1
	s_cbranch_execz .LBB57_35
; %bb.30:
	v_cmp_ngt_f32_e64 s1, |v124|, |v125|
                                        ; implicit-def: $vgpr126_vgpr127
	s_and_saveexec_b32 s4, s1
	s_delay_alu instid0(SALU_CYCLE_1)
	s_xor_b32 s1, exec_lo, s4
	s_cbranch_execz .LBB57_32
; %bb.31:
	v_div_scale_f32 v126, null, v125, v125, v124
	v_div_scale_f32 v129, vcc_lo, v124, v125, v124
	s_delay_alu instid0(VALU_DEP_2) | instskip(SKIP_1) | instid1(TRANS32_DEP_1)
	v_rcp_f32_e32 v127, v126
	v_nop
	v_fma_f32 v128, -v126, v127, 1.0
	s_delay_alu instid0(VALU_DEP_1) | instskip(NEXT) | instid1(VALU_DEP_1)
	v_fmac_f32_e32 v127, v128, v127
	v_mul_f32_e32 v128, v129, v127
	s_delay_alu instid0(VALU_DEP_1) | instskip(NEXT) | instid1(VALU_DEP_1)
	v_fma_f32 v130, -v126, v128, v129
	v_fmac_f32_e32 v128, v130, v127
	s_delay_alu instid0(VALU_DEP_1) | instskip(NEXT) | instid1(VALU_DEP_1)
	v_fma_f32 v126, -v126, v128, v129
	v_div_fmas_f32 v126, v126, v127, v128
	s_delay_alu instid0(VALU_DEP_1) | instskip(NEXT) | instid1(VALU_DEP_1)
	v_div_fixup_f32 v126, v126, v125, v124
	v_fmac_f32_e32 v125, v124, v126
	s_delay_alu instid0(VALU_DEP_1) | instskip(SKIP_1) | instid1(VALU_DEP_2)
	v_div_scale_f32 v124, null, v125, v125, 1.0
	v_div_scale_f32 v129, vcc_lo, 1.0, v125, 1.0
	v_rcp_f32_e32 v127, v124
	v_nop
	s_delay_alu instid0(TRANS32_DEP_1) | instskip(NEXT) | instid1(VALU_DEP_1)
	v_fma_f32 v128, -v124, v127, 1.0
	v_fmac_f32_e32 v127, v128, v127
	s_delay_alu instid0(VALU_DEP_1) | instskip(NEXT) | instid1(VALU_DEP_1)
	v_mul_f32_e32 v128, v129, v127
	v_fma_f32 v130, -v124, v128, v129
	s_delay_alu instid0(VALU_DEP_1) | instskip(NEXT) | instid1(VALU_DEP_1)
	v_fmac_f32_e32 v128, v130, v127
	v_fma_f32 v124, -v124, v128, v129
	s_delay_alu instid0(VALU_DEP_1) | instskip(NEXT) | instid1(VALU_DEP_1)
	v_div_fmas_f32 v124, v124, v127, v128
	v_div_fixup_f32 v124, v124, v125, 1.0
	s_delay_alu instid0(VALU_DEP_1)
	v_mul_f32_e32 v126, v126, v124
	v_xor_b32_e32 v127, 0x80000000, v124
                                        ; implicit-def: $vgpr124_vgpr125
.LBB57_32:
	s_and_not1_saveexec_b32 s1, s1
	s_cbranch_execz .LBB57_34
; %bb.33:
	v_div_scale_f32 v126, null, v124, v124, v125
	v_div_scale_f32 v129, vcc_lo, v125, v124, v125
	s_delay_alu instid0(VALU_DEP_2) | instskip(SKIP_1) | instid1(TRANS32_DEP_1)
	v_rcp_f32_e32 v127, v126
	v_nop
	v_fma_f32 v128, -v126, v127, 1.0
	s_delay_alu instid0(VALU_DEP_1) | instskip(NEXT) | instid1(VALU_DEP_1)
	v_fmac_f32_e32 v127, v128, v127
	v_mul_f32_e32 v128, v129, v127
	s_delay_alu instid0(VALU_DEP_1) | instskip(NEXT) | instid1(VALU_DEP_1)
	v_fma_f32 v130, -v126, v128, v129
	v_fmac_f32_e32 v128, v130, v127
	s_delay_alu instid0(VALU_DEP_1) | instskip(NEXT) | instid1(VALU_DEP_1)
	v_fma_f32 v126, -v126, v128, v129
	v_div_fmas_f32 v126, v126, v127, v128
	s_delay_alu instid0(VALU_DEP_1) | instskip(NEXT) | instid1(VALU_DEP_1)
	v_div_fixup_f32 v127, v126, v124, v125
	v_fmac_f32_e32 v124, v125, v127
	s_delay_alu instid0(VALU_DEP_1) | instskip(NEXT) | instid1(VALU_DEP_1)
	v_div_scale_f32 v125, null, v124, v124, 1.0
	v_rcp_f32_e32 v126, v125
	v_nop
	s_delay_alu instid0(TRANS32_DEP_1) | instskip(NEXT) | instid1(VALU_DEP_1)
	v_fma_f32 v128, -v125, v126, 1.0
	v_fmac_f32_e32 v126, v128, v126
	v_div_scale_f32 v128, vcc_lo, 1.0, v124, 1.0
	s_delay_alu instid0(VALU_DEP_1) | instskip(NEXT) | instid1(VALU_DEP_1)
	v_mul_f32_e32 v129, v128, v126
	v_fma_f32 v130, -v125, v129, v128
	s_delay_alu instid0(VALU_DEP_1) | instskip(NEXT) | instid1(VALU_DEP_1)
	v_fmac_f32_e32 v129, v130, v126
	v_fma_f32 v125, -v125, v129, v128
	s_delay_alu instid0(VALU_DEP_1) | instskip(NEXT) | instid1(VALU_DEP_1)
	v_div_fmas_f32 v125, v125, v126, v129
	v_div_fixup_f32 v126, v125, v124, 1.0
	s_delay_alu instid0(VALU_DEP_1)
	v_mul_f32_e64 v127, v127, -v126
.LBB57_34:
	s_or_b32 exec_lo, exec_lo, s1
	ds_store_b64 v177, v[126:127]
.LBB57_35:
	s_or_b32 exec_lo, exec_lo, s2
	s_wait_dscnt 0x0
	s_barrier_signal -1
	s_barrier_wait -1
	ds_load_b64 v[124:125], v177
	s_mov_b32 s1, exec_lo
	v_cmpx_lt_u32_e32 3, v176
	s_cbranch_execz .LBB57_37
; %bb.36:
	ds_load_2addr_b64 v[130:133], v178 offset0:4 offset1:5
	s_wait_dscnt 0x1
	v_pk_mul_f32 v[128:129], v[124:125], v[46:47] op_sel:[1,1] op_sel_hi:[0,1]
	s_delay_alu instid0(VALU_DEP_1) | instskip(SKIP_1) | instid1(VALU_DEP_1)
	v_pk_fma_f32 v[126:127], v[124:125], v[46:47], v[128:129] op_sel_hi:[1,0,1] neg_lo:[0,0,1] neg_hi:[0,0,1]
	v_pk_fma_f32 v[128:129], v[124:125], v[46:47], v[128:129] op_sel_hi:[1,0,1]
	v_dual_mov_b32 v46, v126 :: v_dual_mov_b32 v47, v129
	s_wait_dscnt 0x0
	s_delay_alu instid0(VALU_DEP_2) | instskip(NEXT) | instid1(VALU_DEP_1)
	v_pk_mul_f32 v[134:135], v[130:131], v[128:129] op_sel:[0,1]
	v_pk_fma_f32 v[136:137], v[130:131], v[126:127], v[134:135] op_sel:[0,0,1] op_sel_hi:[1,1,0] neg_lo:[0,0,1] neg_hi:[0,0,1]
	v_pk_fma_f32 v[130:131], v[130:131], v[126:127], v[134:135] op_sel:[0,0,1] op_sel_hi:[1,0,0]
	s_delay_alu instid0(VALU_DEP_1) | instskip(SKIP_1) | instid1(VALU_DEP_1)
	v_mov_b32_e32 v137, v131
	v_pk_mul_f32 v[130:131], v[132:133], v[128:129] op_sel:[0,1]
	v_pk_fma_f32 v[134:135], v[132:133], v[126:127], v[130:131] op_sel:[0,0,1] op_sel_hi:[1,1,0] neg_lo:[0,0,1] neg_hi:[0,0,1]
	v_pk_fma_f32 v[130:131], v[132:133], v[126:127], v[130:131] op_sel:[0,0,1] op_sel_hi:[1,0,0]
	s_delay_alu instid0(VALU_DEP_1)
	v_mov_b32_e32 v135, v131
	ds_load_2addr_b64 v[130:133], v178 offset0:6 offset1:7
	v_pk_add_f32 v[28:29], v[28:29], v[136:137] neg_lo:[0,1] neg_hi:[0,1]
	v_pk_add_f32 v[24:25], v[24:25], v[134:135] neg_lo:[0,1] neg_hi:[0,1]
	s_wait_dscnt 0x0
	v_pk_mul_f32 v[134:135], v[130:131], v[128:129] op_sel:[0,1]
	s_delay_alu instid0(VALU_DEP_1) | instskip(SKIP_2) | instid1(VALU_DEP_2)
	v_pk_fma_f32 v[136:137], v[130:131], v[126:127], v[134:135] op_sel:[0,0,1] op_sel_hi:[1,1,0] neg_lo:[0,0,1] neg_hi:[0,0,1]
	v_pk_fma_f32 v[130:131], v[130:131], v[126:127], v[134:135] op_sel:[0,0,1] op_sel_hi:[1,0,0]
	v_dual_mul_f32 v134, v133, v129 :: v_dual_mov_b32 v130, v133
	v_dual_mov_b32 v137, v131 :: v_dual_mov_b32 v131, v132
	s_delay_alu instid0(VALU_DEP_2) | instskip(SKIP_1) | instid1(VALU_DEP_3)
	v_pk_fma_f32 v[134:135], v[132:133], v[46:47], v[134:135] op_sel_hi:[1,1,0] neg_lo:[0,0,1] neg_hi:[0,0,1]
	v_mul_f32_e32 v132, v133, v126
	v_pk_add_f32 v[26:27], v[26:27], v[136:137] neg_lo:[0,1] neg_hi:[0,1]
	s_delay_alu instid0(VALU_DEP_2) | instskip(NEXT) | instid1(VALU_DEP_1)
	v_pk_fma_f32 v[130:131], v[130:131], v[46:47], v[132:133] op_sel_hi:[1,1,0]
	v_mov_b32_e32 v135, v131
	ds_load_2addr_b64 v[130:133], v178 offset0:8 offset1:9
	v_pk_add_f32 v[22:23], v[22:23], v[134:135] neg_lo:[0,1] neg_hi:[0,1]
	s_wait_dscnt 0x0
	v_pk_mul_f32 v[134:135], v[130:131], v[128:129] op_sel:[0,1]
	s_delay_alu instid0(VALU_DEP_1) | instskip(SKIP_1) | instid1(VALU_DEP_1)
	v_pk_fma_f32 v[136:137], v[130:131], v[126:127], v[134:135] op_sel:[0,0,1] op_sel_hi:[1,1,0] neg_lo:[0,0,1] neg_hi:[0,0,1]
	v_pk_fma_f32 v[130:131], v[130:131], v[126:127], v[134:135] op_sel:[0,0,1] op_sel_hi:[1,0,0]
	v_mov_b32_e32 v137, v131
	v_pk_mul_f32 v[130:131], v[132:133], v[128:129] op_sel:[0,1]
	s_delay_alu instid0(VALU_DEP_1) | instskip(SKIP_1) | instid1(VALU_DEP_1)
	v_pk_fma_f32 v[134:135], v[132:133], v[126:127], v[130:131] op_sel:[0,0,1] op_sel_hi:[1,1,0] neg_lo:[0,0,1] neg_hi:[0,0,1]
	v_pk_fma_f32 v[130:131], v[132:133], v[126:127], v[130:131] op_sel:[0,0,1] op_sel_hi:[1,0,0]
	v_mov_b32_e32 v135, v131
	ds_load_2addr_b64 v[130:133], v178 offset0:10 offset1:11
	v_pk_add_f32 v[42:43], v[42:43], v[136:137] neg_lo:[0,1] neg_hi:[0,1]
	v_pk_add_f32 v[38:39], v[38:39], v[134:135] neg_lo:[0,1] neg_hi:[0,1]
	s_wait_dscnt 0x0
	v_pk_mul_f32 v[134:135], v[130:131], v[128:129] op_sel:[0,1]
	s_delay_alu instid0(VALU_DEP_1) | instskip(SKIP_1) | instid1(VALU_DEP_1)
	v_pk_fma_f32 v[136:137], v[130:131], v[126:127], v[134:135] op_sel:[0,0,1] op_sel_hi:[1,1,0] neg_lo:[0,0,1] neg_hi:[0,0,1]
	v_pk_fma_f32 v[130:131], v[130:131], v[126:127], v[134:135] op_sel:[0,0,1] op_sel_hi:[1,0,0]
	v_mov_b32_e32 v137, v131
	v_pk_mul_f32 v[130:131], v[132:133], v[128:129] op_sel:[0,1]
	s_delay_alu instid0(VALU_DEP_1) | instskip(SKIP_1) | instid1(VALU_DEP_1)
	v_pk_fma_f32 v[134:135], v[132:133], v[126:127], v[130:131] op_sel:[0,0,1] op_sel_hi:[1,1,0] neg_lo:[0,0,1] neg_hi:[0,0,1]
	v_pk_fma_f32 v[130:131], v[132:133], v[126:127], v[130:131] op_sel:[0,0,1] op_sel_hi:[1,0,0]
	v_mov_b32_e32 v135, v131
	ds_load_2addr_b64 v[130:133], v178 offset0:12 offset1:13
	v_pk_add_f32 v[40:41], v[40:41], v[136:137] neg_lo:[0,1] neg_hi:[0,1]
	v_pk_add_f32 v[36:37], v[36:37], v[134:135] neg_lo:[0,1] neg_hi:[0,1]
	s_wait_dscnt 0x0
	v_dual_mul_f32 v134, v131, v129 :: v_dual_mul_f32 v136, v131, v126
	s_delay_alu instid0(VALU_DEP_1) | instskip(NEXT) | instid1(VALU_DEP_2)
	v_pk_fma_f32 v[134:135], v[130:131], v[46:47], v[134:135] op_sel_hi:[1,1,0] neg_lo:[0,0,1] neg_hi:[0,0,1]
	v_pk_fma_f32 v[130:131], v[130:131], v[46:47], v[136:137] op_sel:[1,0,0] op_sel_hi:[0,1,0]
	s_delay_alu instid0(VALU_DEP_1) | instskip(SKIP_1) | instid1(VALU_DEP_2)
	v_mov_b32_e32 v135, v131
	v_pk_mul_f32 v[130:131], v[132:133], v[128:129] op_sel:[0,1]
	v_pk_add_f32 v[62:63], v[62:63], v[134:135] neg_lo:[0,1] neg_hi:[0,1]
	s_delay_alu instid0(VALU_DEP_2) | instskip(SKIP_1) | instid1(VALU_DEP_1)
	v_pk_fma_f32 v[134:135], v[132:133], v[126:127], v[130:131] op_sel:[0,0,1] op_sel_hi:[1,1,0] neg_lo:[0,0,1] neg_hi:[0,0,1]
	v_pk_fma_f32 v[130:131], v[132:133], v[126:127], v[130:131] op_sel:[0,0,1] op_sel_hi:[1,0,0]
	v_mov_b32_e32 v135, v131
	ds_load_2addr_b64 v[130:133], v178 offset0:14 offset1:15
	v_pk_add_f32 v[88:89], v[88:89], v[134:135] neg_lo:[0,1] neg_hi:[0,1]
	s_wait_dscnt 0x0
	v_pk_mul_f32 v[134:135], v[130:131], v[128:129] op_sel:[0,1]
	s_delay_alu instid0(VALU_DEP_1) | instskip(SKIP_1) | instid1(VALU_DEP_1)
	v_pk_fma_f32 v[136:137], v[130:131], v[126:127], v[134:135] op_sel:[0,0,1] op_sel_hi:[1,1,0] neg_lo:[0,0,1] neg_hi:[0,0,1]
	v_pk_fma_f32 v[130:131], v[130:131], v[126:127], v[134:135] op_sel:[0,0,1] op_sel_hi:[1,0,0]
	v_mov_b32_e32 v137, v131
	v_pk_mul_f32 v[130:131], v[132:133], v[128:129] op_sel:[0,1]
	s_delay_alu instid0(VALU_DEP_2) | instskip(NEXT) | instid1(VALU_DEP_2)
	v_pk_add_f32 v[108:109], v[108:109], v[136:137] neg_lo:[0,1] neg_hi:[0,1]
	v_pk_fma_f32 v[134:135], v[132:133], v[126:127], v[130:131] op_sel:[0,0,1] op_sel_hi:[1,1,0] neg_lo:[0,0,1] neg_hi:[0,0,1]
	v_pk_fma_f32 v[130:131], v[132:133], v[126:127], v[130:131] op_sel:[0,0,1] op_sel_hi:[1,0,0]
	s_delay_alu instid0(VALU_DEP_1) | instskip(SKIP_4) | instid1(VALU_DEP_1)
	v_mov_b32_e32 v135, v131
	ds_load_2addr_b64 v[130:133], v178 offset0:16 offset1:17
	v_pk_add_f32 v[60:61], v[60:61], v[134:135] neg_lo:[0,1] neg_hi:[0,1]
	s_wait_dscnt 0x0
	v_pk_mul_f32 v[134:135], v[130:131], v[128:129] op_sel:[0,1]
	v_pk_fma_f32 v[136:137], v[130:131], v[126:127], v[134:135] op_sel:[0,0,1] op_sel_hi:[1,1,0] neg_lo:[0,0,1] neg_hi:[0,0,1]
	v_pk_fma_f32 v[130:131], v[130:131], v[126:127], v[134:135] op_sel:[0,0,1] op_sel_hi:[1,0,0]
	v_dual_mul_f32 v134, v133, v129 :: v_dual_mov_b32 v130, v133
	s_delay_alu instid0(VALU_DEP_2) | instskip(NEXT) | instid1(VALU_DEP_2)
	v_dual_mov_b32 v137, v131 :: v_dual_mov_b32 v131, v132
	v_pk_fma_f32 v[134:135], v[132:133], v[46:47], v[134:135] op_sel_hi:[1,1,0] neg_lo:[0,0,1] neg_hi:[0,0,1]
	v_mul_f32_e32 v132, v133, v126
	s_delay_alu instid0(VALU_DEP_3) | instskip(NEXT) | instid1(VALU_DEP_2)
	v_pk_add_f32 v[84:85], v[84:85], v[136:137] neg_lo:[0,1] neg_hi:[0,1]
	v_pk_fma_f32 v[130:131], v[130:131], v[46:47], v[132:133] op_sel_hi:[1,1,0]
	s_delay_alu instid0(VALU_DEP_1) | instskip(SKIP_4) | instid1(VALU_DEP_1)
	v_mov_b32_e32 v135, v131
	ds_load_2addr_b64 v[130:133], v178 offset0:18 offset1:19
	v_pk_add_f32 v[80:81], v[80:81], v[134:135] neg_lo:[0,1] neg_hi:[0,1]
	s_wait_dscnt 0x0
	v_pk_mul_f32 v[134:135], v[130:131], v[128:129] op_sel:[0,1]
	v_pk_fma_f32 v[136:137], v[130:131], v[126:127], v[134:135] op_sel:[0,0,1] op_sel_hi:[1,1,0] neg_lo:[0,0,1] neg_hi:[0,0,1]
	v_pk_fma_f32 v[130:131], v[130:131], v[126:127], v[134:135] op_sel:[0,0,1] op_sel_hi:[1,0,0]
	s_delay_alu instid0(VALU_DEP_1) | instskip(SKIP_1) | instid1(VALU_DEP_1)
	v_mov_b32_e32 v137, v131
	v_pk_mul_f32 v[130:131], v[132:133], v[128:129] op_sel:[0,1]
	v_pk_fma_f32 v[134:135], v[132:133], v[126:127], v[130:131] op_sel:[0,0,1] op_sel_hi:[1,1,0] neg_lo:[0,0,1] neg_hi:[0,0,1]
	v_pk_fma_f32 v[130:131], v[132:133], v[126:127], v[130:131] op_sel:[0,0,1] op_sel_hi:[1,0,0]
	s_delay_alu instid0(VALU_DEP_1)
	v_mov_b32_e32 v135, v131
	ds_load_2addr_b64 v[130:133], v178 offset0:20 offset1:21
	v_pk_add_f32 v[82:83], v[82:83], v[136:137] neg_lo:[0,1] neg_hi:[0,1]
	v_pk_add_f32 v[78:79], v[78:79], v[134:135] neg_lo:[0,1] neg_hi:[0,1]
	s_wait_dscnt 0x0
	v_pk_mul_f32 v[134:135], v[130:131], v[128:129] op_sel:[0,1]
	s_delay_alu instid0(VALU_DEP_1) | instskip(SKIP_1) | instid1(VALU_DEP_1)
	v_pk_fma_f32 v[136:137], v[130:131], v[126:127], v[134:135] op_sel:[0,0,1] op_sel_hi:[1,1,0] neg_lo:[0,0,1] neg_hi:[0,0,1]
	v_pk_fma_f32 v[130:131], v[130:131], v[126:127], v[134:135] op_sel:[0,0,1] op_sel_hi:[1,0,0]
	v_mov_b32_e32 v137, v131
	v_pk_mul_f32 v[130:131], v[132:133], v[128:129] op_sel:[0,1]
	s_delay_alu instid0(VALU_DEP_1) | instskip(SKIP_1) | instid1(VALU_DEP_1)
	v_pk_fma_f32 v[134:135], v[132:133], v[126:127], v[130:131] op_sel:[0,0,1] op_sel_hi:[1,1,0] neg_lo:[0,0,1] neg_hi:[0,0,1]
	v_pk_fma_f32 v[130:131], v[132:133], v[126:127], v[130:131] op_sel:[0,0,1] op_sel_hi:[1,0,0]
	v_mov_b32_e32 v135, v131
	ds_load_2addr_b64 v[130:133], v178 offset0:22 offset1:23
	v_pk_add_f32 v[106:107], v[106:107], v[136:137] neg_lo:[0,1] neg_hi:[0,1]
	v_pk_add_f32 v[100:101], v[100:101], v[134:135] neg_lo:[0,1] neg_hi:[0,1]
	s_wait_dscnt 0x0
	v_dual_mul_f32 v134, v131, v129 :: v_dual_mul_f32 v136, v131, v126
	s_delay_alu instid0(VALU_DEP_1) | instskip(NEXT) | instid1(VALU_DEP_2)
	v_pk_fma_f32 v[134:135], v[130:131], v[46:47], v[134:135] op_sel_hi:[1,1,0] neg_lo:[0,0,1] neg_hi:[0,0,1]
	v_pk_fma_f32 v[130:131], v[130:131], v[46:47], v[136:137] op_sel:[1,0,0] op_sel_hi:[0,1,0]
	s_delay_alu instid0(VALU_DEP_1) | instskip(SKIP_1) | instid1(VALU_DEP_2)
	v_mov_b32_e32 v135, v131
	v_pk_mul_f32 v[130:131], v[132:133], v[128:129] op_sel:[0,1]
	v_pk_add_f32 v[104:105], v[104:105], v[134:135] neg_lo:[0,1] neg_hi:[0,1]
	s_delay_alu instid0(VALU_DEP_2) | instskip(SKIP_1) | instid1(VALU_DEP_1)
	v_pk_fma_f32 v[134:135], v[132:133], v[126:127], v[130:131] op_sel:[0,0,1] op_sel_hi:[1,1,0] neg_lo:[0,0,1] neg_hi:[0,0,1]
	v_pk_fma_f32 v[130:131], v[132:133], v[126:127], v[130:131] op_sel:[0,0,1] op_sel_hi:[1,0,0]
	v_mov_b32_e32 v135, v131
	ds_load_2addr_b64 v[130:133], v178 offset0:24 offset1:25
	v_pk_add_f32 v[98:99], v[98:99], v[134:135] neg_lo:[0,1] neg_hi:[0,1]
	s_wait_dscnt 0x0
	v_pk_mul_f32 v[134:135], v[130:131], v[128:129] op_sel:[0,1]
	s_delay_alu instid0(VALU_DEP_1) | instskip(SKIP_1) | instid1(VALU_DEP_1)
	v_pk_fma_f32 v[136:137], v[130:131], v[126:127], v[134:135] op_sel:[0,0,1] op_sel_hi:[1,1,0] neg_lo:[0,0,1] neg_hi:[0,0,1]
	v_pk_fma_f32 v[130:131], v[130:131], v[126:127], v[134:135] op_sel:[0,0,1] op_sel_hi:[1,0,0]
	v_mov_b32_e32 v137, v131
	v_pk_mul_f32 v[130:131], v[132:133], v[128:129] op_sel:[0,1]
	s_delay_alu instid0(VALU_DEP_2) | instskip(NEXT) | instid1(VALU_DEP_2)
	v_pk_add_f32 v[102:103], v[102:103], v[136:137] neg_lo:[0,1] neg_hi:[0,1]
	v_pk_fma_f32 v[134:135], v[132:133], v[126:127], v[130:131] op_sel:[0,0,1] op_sel_hi:[1,1,0] neg_lo:[0,0,1] neg_hi:[0,0,1]
	v_pk_fma_f32 v[130:131], v[132:133], v[126:127], v[130:131] op_sel:[0,0,1] op_sel_hi:[1,0,0]
	s_delay_alu instid0(VALU_DEP_1) | instskip(SKIP_4) | instid1(VALU_DEP_1)
	v_mov_b32_e32 v135, v131
	ds_load_2addr_b64 v[130:133], v178 offset0:26 offset1:27
	v_pk_add_f32 v[114:115], v[114:115], v[134:135] neg_lo:[0,1] neg_hi:[0,1]
	s_wait_dscnt 0x0
	v_pk_mul_f32 v[134:135], v[130:131], v[128:129] op_sel:[0,1]
	v_pk_fma_f32 v[136:137], v[130:131], v[126:127], v[134:135] op_sel:[0,0,1] op_sel_hi:[1,1,0] neg_lo:[0,0,1] neg_hi:[0,0,1]
	v_pk_fma_f32 v[130:131], v[130:131], v[126:127], v[134:135] op_sel:[0,0,1] op_sel_hi:[1,0,0]
	v_dual_mul_f32 v134, v133, v129 :: v_dual_mov_b32 v130, v133
	s_delay_alu instid0(VALU_DEP_2) | instskip(NEXT) | instid1(VALU_DEP_2)
	v_dual_mov_b32 v137, v131 :: v_dual_mov_b32 v131, v132
	v_pk_fma_f32 v[134:135], v[132:133], v[46:47], v[134:135] op_sel_hi:[1,1,0] neg_lo:[0,0,1] neg_hi:[0,0,1]
	v_mul_f32_e32 v132, v133, v126
	s_delay_alu instid0(VALU_DEP_3) | instskip(NEXT) | instid1(VALU_DEP_2)
	v_pk_add_f32 v[112:113], v[112:113], v[136:137] neg_lo:[0,1] neg_hi:[0,1]
	v_pk_fma_f32 v[130:131], v[130:131], v[46:47], v[132:133] op_sel_hi:[1,1,0]
	s_delay_alu instid0(VALU_DEP_1) | instskip(SKIP_4) | instid1(VALU_DEP_1)
	v_mov_b32_e32 v135, v131
	ds_load_b64 v[130:131], v178 offset:224
	v_pk_add_f32 v[110:111], v[110:111], v[134:135] neg_lo:[0,1] neg_hi:[0,1]
	s_wait_dscnt 0x0
	v_pk_mul_f32 v[128:129], v[130:131], v[128:129] op_sel:[0,1]
	v_pk_fma_f32 v[132:133], v[130:131], v[126:127], v[128:129] op_sel:[0,0,1] op_sel_hi:[1,1,0] neg_lo:[0,0,1] neg_hi:[0,0,1]
	v_pk_fma_f32 v[126:127], v[130:131], v[126:127], v[128:129] op_sel:[0,0,1] op_sel_hi:[1,0,0]
	s_delay_alu instid0(VALU_DEP_1) | instskip(NEXT) | instid1(VALU_DEP_1)
	v_mov_b32_e32 v133, v127
	v_pk_add_f32 v[116:117], v[116:117], v[132:133] neg_lo:[0,1] neg_hi:[0,1]
.LBB57_37:
	s_or_b32 exec_lo, exec_lo, s1
	s_delay_alu instid0(SALU_CYCLE_1)
	s_mov_b32 s2, exec_lo
	s_wait_dscnt 0x0
	s_barrier_signal -1
	s_barrier_wait -1
	v_cmpx_eq_u32_e32 4, v176
	s_cbranch_execz .LBB57_44
; %bb.38:
	ds_store_b64 v177, v[28:29]
	ds_store_2addr_b64 v178, v[24:25], v[26:27] offset0:5 offset1:6
	ds_store_2addr_b64 v178, v[22:23], v[42:43] offset0:7 offset1:8
	;; [unrolled: 1-line block ×12, first 2 shown]
	ds_load_b64 v[126:127], v177
	s_wait_dscnt 0x0
	v_cmp_neq_f32_e32 vcc_lo, 0, v126
	v_cmp_neq_f32_e64 s1, 0, v127
	s_or_b32 s1, vcc_lo, s1
	s_delay_alu instid0(SALU_CYCLE_1)
	s_and_b32 exec_lo, exec_lo, s1
	s_cbranch_execz .LBB57_44
; %bb.39:
	v_cmp_ngt_f32_e64 s1, |v126|, |v127|
                                        ; implicit-def: $vgpr128_vgpr129
	s_and_saveexec_b32 s4, s1
	s_delay_alu instid0(SALU_CYCLE_1)
	s_xor_b32 s1, exec_lo, s4
	s_cbranch_execz .LBB57_41
; %bb.40:
	v_div_scale_f32 v128, null, v127, v127, v126
	v_div_scale_f32 v131, vcc_lo, v126, v127, v126
	s_delay_alu instid0(VALU_DEP_2) | instskip(SKIP_1) | instid1(TRANS32_DEP_1)
	v_rcp_f32_e32 v129, v128
	v_nop
	v_fma_f32 v130, -v128, v129, 1.0
	s_delay_alu instid0(VALU_DEP_1) | instskip(NEXT) | instid1(VALU_DEP_1)
	v_fmac_f32_e32 v129, v130, v129
	v_mul_f32_e32 v130, v131, v129
	s_delay_alu instid0(VALU_DEP_1) | instskip(NEXT) | instid1(VALU_DEP_1)
	v_fma_f32 v132, -v128, v130, v131
	v_fmac_f32_e32 v130, v132, v129
	s_delay_alu instid0(VALU_DEP_1) | instskip(NEXT) | instid1(VALU_DEP_1)
	v_fma_f32 v128, -v128, v130, v131
	v_div_fmas_f32 v128, v128, v129, v130
	s_delay_alu instid0(VALU_DEP_1) | instskip(NEXT) | instid1(VALU_DEP_1)
	v_div_fixup_f32 v128, v128, v127, v126
	v_fmac_f32_e32 v127, v126, v128
	s_delay_alu instid0(VALU_DEP_1) | instskip(SKIP_1) | instid1(VALU_DEP_2)
	v_div_scale_f32 v126, null, v127, v127, 1.0
	v_div_scale_f32 v131, vcc_lo, 1.0, v127, 1.0
	v_rcp_f32_e32 v129, v126
	v_nop
	s_delay_alu instid0(TRANS32_DEP_1) | instskip(NEXT) | instid1(VALU_DEP_1)
	v_fma_f32 v130, -v126, v129, 1.0
	v_fmac_f32_e32 v129, v130, v129
	s_delay_alu instid0(VALU_DEP_1) | instskip(NEXT) | instid1(VALU_DEP_1)
	v_mul_f32_e32 v130, v131, v129
	v_fma_f32 v132, -v126, v130, v131
	s_delay_alu instid0(VALU_DEP_1) | instskip(NEXT) | instid1(VALU_DEP_1)
	v_fmac_f32_e32 v130, v132, v129
	v_fma_f32 v126, -v126, v130, v131
	s_delay_alu instid0(VALU_DEP_1) | instskip(NEXT) | instid1(VALU_DEP_1)
	v_div_fmas_f32 v126, v126, v129, v130
	v_div_fixup_f32 v126, v126, v127, 1.0
	s_delay_alu instid0(VALU_DEP_1)
	v_mul_f32_e32 v128, v128, v126
	v_xor_b32_e32 v129, 0x80000000, v126
                                        ; implicit-def: $vgpr126_vgpr127
.LBB57_41:
	s_and_not1_saveexec_b32 s1, s1
	s_cbranch_execz .LBB57_43
; %bb.42:
	v_div_scale_f32 v128, null, v126, v126, v127
	v_div_scale_f32 v131, vcc_lo, v127, v126, v127
	s_delay_alu instid0(VALU_DEP_2) | instskip(SKIP_1) | instid1(TRANS32_DEP_1)
	v_rcp_f32_e32 v129, v128
	v_nop
	v_fma_f32 v130, -v128, v129, 1.0
	s_delay_alu instid0(VALU_DEP_1) | instskip(NEXT) | instid1(VALU_DEP_1)
	v_fmac_f32_e32 v129, v130, v129
	v_mul_f32_e32 v130, v131, v129
	s_delay_alu instid0(VALU_DEP_1) | instskip(NEXT) | instid1(VALU_DEP_1)
	v_fma_f32 v132, -v128, v130, v131
	v_fmac_f32_e32 v130, v132, v129
	s_delay_alu instid0(VALU_DEP_1) | instskip(NEXT) | instid1(VALU_DEP_1)
	v_fma_f32 v128, -v128, v130, v131
	v_div_fmas_f32 v128, v128, v129, v130
	s_delay_alu instid0(VALU_DEP_1) | instskip(NEXT) | instid1(VALU_DEP_1)
	v_div_fixup_f32 v129, v128, v126, v127
	v_fmac_f32_e32 v126, v127, v129
	s_delay_alu instid0(VALU_DEP_1) | instskip(NEXT) | instid1(VALU_DEP_1)
	v_div_scale_f32 v127, null, v126, v126, 1.0
	v_rcp_f32_e32 v128, v127
	v_nop
	s_delay_alu instid0(TRANS32_DEP_1) | instskip(NEXT) | instid1(VALU_DEP_1)
	v_fma_f32 v130, -v127, v128, 1.0
	v_fmac_f32_e32 v128, v130, v128
	v_div_scale_f32 v130, vcc_lo, 1.0, v126, 1.0
	s_delay_alu instid0(VALU_DEP_1) | instskip(NEXT) | instid1(VALU_DEP_1)
	v_mul_f32_e32 v131, v130, v128
	v_fma_f32 v132, -v127, v131, v130
	s_delay_alu instid0(VALU_DEP_1) | instskip(NEXT) | instid1(VALU_DEP_1)
	v_fmac_f32_e32 v131, v132, v128
	v_fma_f32 v127, -v127, v131, v130
	s_delay_alu instid0(VALU_DEP_1) | instskip(NEXT) | instid1(VALU_DEP_1)
	v_div_fmas_f32 v127, v127, v128, v131
	v_div_fixup_f32 v128, v127, v126, 1.0
	s_delay_alu instid0(VALU_DEP_1)
	v_mul_f32_e64 v129, v129, -v128
.LBB57_43:
	s_or_b32 exec_lo, exec_lo, s1
	ds_store_b64 v177, v[128:129]
.LBB57_44:
	s_or_b32 exec_lo, exec_lo, s2
	s_wait_dscnt 0x0
	s_barrier_signal -1
	s_barrier_wait -1
	ds_load_b64 v[126:127], v177
	s_mov_b32 s1, exec_lo
	v_cmpx_lt_u32_e32 4, v176
	s_cbranch_execz .LBB57_46
; %bb.45:
	ds_load_2addr_b64 v[132:135], v178 offset0:5 offset1:6
	s_wait_dscnt 0x1
	v_pk_mul_f32 v[130:131], v[126:127], v[28:29] op_sel:[1,1] op_sel_hi:[0,1]
	s_delay_alu instid0(VALU_DEP_1) | instskip(SKIP_1) | instid1(VALU_DEP_1)
	v_pk_fma_f32 v[128:129], v[126:127], v[28:29], v[130:131] op_sel_hi:[1,0,1] neg_lo:[0,0,1] neg_hi:[0,0,1]
	v_pk_fma_f32 v[130:131], v[126:127], v[28:29], v[130:131] op_sel_hi:[1,0,1]
	v_dual_mov_b32 v28, v128 :: v_dual_mov_b32 v29, v131
	s_wait_dscnt 0x0
	s_delay_alu instid0(VALU_DEP_2) | instskip(NEXT) | instid1(VALU_DEP_1)
	v_pk_mul_f32 v[136:137], v[132:133], v[130:131] op_sel:[0,1]
	v_pk_fma_f32 v[138:139], v[132:133], v[128:129], v[136:137] op_sel:[0,0,1] op_sel_hi:[1,1,0] neg_lo:[0,0,1] neg_hi:[0,0,1]
	v_pk_fma_f32 v[132:133], v[132:133], v[128:129], v[136:137] op_sel:[0,0,1] op_sel_hi:[1,0,0]
	s_delay_alu instid0(VALU_DEP_1) | instskip(SKIP_1) | instid1(VALU_DEP_1)
	v_mov_b32_e32 v139, v133
	v_pk_mul_f32 v[132:133], v[134:135], v[130:131] op_sel:[0,1]
	v_pk_fma_f32 v[136:137], v[134:135], v[128:129], v[132:133] op_sel:[0,0,1] op_sel_hi:[1,1,0] neg_lo:[0,0,1] neg_hi:[0,0,1]
	v_pk_fma_f32 v[132:133], v[134:135], v[128:129], v[132:133] op_sel:[0,0,1] op_sel_hi:[1,0,0]
	s_delay_alu instid0(VALU_DEP_1)
	v_mov_b32_e32 v137, v133
	ds_load_2addr_b64 v[132:135], v178 offset0:7 offset1:8
	v_pk_add_f32 v[24:25], v[24:25], v[138:139] neg_lo:[0,1] neg_hi:[0,1]
	v_pk_add_f32 v[26:27], v[26:27], v[136:137] neg_lo:[0,1] neg_hi:[0,1]
	s_wait_dscnt 0x0
	v_pk_mul_f32 v[136:137], v[132:133], v[130:131] op_sel:[0,1]
	s_delay_alu instid0(VALU_DEP_1) | instskip(SKIP_2) | instid1(VALU_DEP_2)
	v_pk_fma_f32 v[138:139], v[132:133], v[128:129], v[136:137] op_sel:[0,0,1] op_sel_hi:[1,1,0] neg_lo:[0,0,1] neg_hi:[0,0,1]
	v_pk_fma_f32 v[132:133], v[132:133], v[128:129], v[136:137] op_sel:[0,0,1] op_sel_hi:[1,0,0]
	v_dual_mul_f32 v136, v135, v131 :: v_dual_mov_b32 v132, v135
	v_dual_mov_b32 v139, v133 :: v_dual_mov_b32 v133, v134
	s_delay_alu instid0(VALU_DEP_2) | instskip(SKIP_1) | instid1(VALU_DEP_3)
	v_pk_fma_f32 v[136:137], v[134:135], v[28:29], v[136:137] op_sel_hi:[1,1,0] neg_lo:[0,0,1] neg_hi:[0,0,1]
	v_mul_f32_e32 v134, v135, v128
	v_pk_add_f32 v[22:23], v[22:23], v[138:139] neg_lo:[0,1] neg_hi:[0,1]
	s_delay_alu instid0(VALU_DEP_2) | instskip(NEXT) | instid1(VALU_DEP_1)
	v_pk_fma_f32 v[132:133], v[132:133], v[28:29], v[134:135] op_sel_hi:[1,1,0]
	v_mov_b32_e32 v137, v133
	ds_load_2addr_b64 v[132:135], v178 offset0:9 offset1:10
	v_pk_add_f32 v[42:43], v[42:43], v[136:137] neg_lo:[0,1] neg_hi:[0,1]
	s_wait_dscnt 0x0
	v_pk_mul_f32 v[136:137], v[132:133], v[130:131] op_sel:[0,1]
	s_delay_alu instid0(VALU_DEP_1) | instskip(SKIP_1) | instid1(VALU_DEP_1)
	v_pk_fma_f32 v[138:139], v[132:133], v[128:129], v[136:137] op_sel:[0,0,1] op_sel_hi:[1,1,0] neg_lo:[0,0,1] neg_hi:[0,0,1]
	v_pk_fma_f32 v[132:133], v[132:133], v[128:129], v[136:137] op_sel:[0,0,1] op_sel_hi:[1,0,0]
	v_mov_b32_e32 v139, v133
	v_pk_mul_f32 v[132:133], v[134:135], v[130:131] op_sel:[0,1]
	s_delay_alu instid0(VALU_DEP_1) | instskip(SKIP_1) | instid1(VALU_DEP_1)
	v_pk_fma_f32 v[136:137], v[134:135], v[128:129], v[132:133] op_sel:[0,0,1] op_sel_hi:[1,1,0] neg_lo:[0,0,1] neg_hi:[0,0,1]
	v_pk_fma_f32 v[132:133], v[134:135], v[128:129], v[132:133] op_sel:[0,0,1] op_sel_hi:[1,0,0]
	v_mov_b32_e32 v137, v133
	ds_load_2addr_b64 v[132:135], v178 offset0:11 offset1:12
	v_pk_add_f32 v[38:39], v[38:39], v[138:139] neg_lo:[0,1] neg_hi:[0,1]
	v_pk_add_f32 v[40:41], v[40:41], v[136:137] neg_lo:[0,1] neg_hi:[0,1]
	s_wait_dscnt 0x0
	v_pk_mul_f32 v[136:137], v[132:133], v[130:131] op_sel:[0,1]
	s_delay_alu instid0(VALU_DEP_1) | instskip(SKIP_1) | instid1(VALU_DEP_1)
	v_pk_fma_f32 v[138:139], v[132:133], v[128:129], v[136:137] op_sel:[0,0,1] op_sel_hi:[1,1,0] neg_lo:[0,0,1] neg_hi:[0,0,1]
	v_pk_fma_f32 v[132:133], v[132:133], v[128:129], v[136:137] op_sel:[0,0,1] op_sel_hi:[1,0,0]
	v_mov_b32_e32 v139, v133
	v_pk_mul_f32 v[132:133], v[134:135], v[130:131] op_sel:[0,1]
	s_delay_alu instid0(VALU_DEP_1) | instskip(SKIP_1) | instid1(VALU_DEP_1)
	v_pk_fma_f32 v[136:137], v[134:135], v[128:129], v[132:133] op_sel:[0,0,1] op_sel_hi:[1,1,0] neg_lo:[0,0,1] neg_hi:[0,0,1]
	v_pk_fma_f32 v[132:133], v[134:135], v[128:129], v[132:133] op_sel:[0,0,1] op_sel_hi:[1,0,0]
	v_mov_b32_e32 v137, v133
	ds_load_2addr_b64 v[132:135], v178 offset0:13 offset1:14
	v_pk_add_f32 v[36:37], v[36:37], v[138:139] neg_lo:[0,1] neg_hi:[0,1]
	v_pk_add_f32 v[62:63], v[62:63], v[136:137] neg_lo:[0,1] neg_hi:[0,1]
	s_wait_dscnt 0x0
	v_dual_mul_f32 v136, v133, v131 :: v_dual_mul_f32 v138, v133, v128
	s_delay_alu instid0(VALU_DEP_1) | instskip(NEXT) | instid1(VALU_DEP_2)
	v_pk_fma_f32 v[136:137], v[132:133], v[28:29], v[136:137] op_sel_hi:[1,1,0] neg_lo:[0,0,1] neg_hi:[0,0,1]
	v_pk_fma_f32 v[132:133], v[132:133], v[28:29], v[138:139] op_sel:[1,0,0] op_sel_hi:[0,1,0]
	s_delay_alu instid0(VALU_DEP_1) | instskip(SKIP_1) | instid1(VALU_DEP_2)
	v_mov_b32_e32 v137, v133
	v_pk_mul_f32 v[132:133], v[134:135], v[130:131] op_sel:[0,1]
	v_pk_add_f32 v[88:89], v[88:89], v[136:137] neg_lo:[0,1] neg_hi:[0,1]
	s_delay_alu instid0(VALU_DEP_2) | instskip(SKIP_1) | instid1(VALU_DEP_1)
	v_pk_fma_f32 v[136:137], v[134:135], v[128:129], v[132:133] op_sel:[0,0,1] op_sel_hi:[1,1,0] neg_lo:[0,0,1] neg_hi:[0,0,1]
	v_pk_fma_f32 v[132:133], v[134:135], v[128:129], v[132:133] op_sel:[0,0,1] op_sel_hi:[1,0,0]
	v_mov_b32_e32 v137, v133
	ds_load_2addr_b64 v[132:135], v178 offset0:15 offset1:16
	v_pk_add_f32 v[108:109], v[108:109], v[136:137] neg_lo:[0,1] neg_hi:[0,1]
	s_wait_dscnt 0x0
	v_pk_mul_f32 v[136:137], v[132:133], v[130:131] op_sel:[0,1]
	s_delay_alu instid0(VALU_DEP_1) | instskip(SKIP_1) | instid1(VALU_DEP_1)
	v_pk_fma_f32 v[138:139], v[132:133], v[128:129], v[136:137] op_sel:[0,0,1] op_sel_hi:[1,1,0] neg_lo:[0,0,1] neg_hi:[0,0,1]
	v_pk_fma_f32 v[132:133], v[132:133], v[128:129], v[136:137] op_sel:[0,0,1] op_sel_hi:[1,0,0]
	v_mov_b32_e32 v139, v133
	v_pk_mul_f32 v[132:133], v[134:135], v[130:131] op_sel:[0,1]
	s_delay_alu instid0(VALU_DEP_2) | instskip(NEXT) | instid1(VALU_DEP_2)
	v_pk_add_f32 v[60:61], v[60:61], v[138:139] neg_lo:[0,1] neg_hi:[0,1]
	v_pk_fma_f32 v[136:137], v[134:135], v[128:129], v[132:133] op_sel:[0,0,1] op_sel_hi:[1,1,0] neg_lo:[0,0,1] neg_hi:[0,0,1]
	v_pk_fma_f32 v[132:133], v[134:135], v[128:129], v[132:133] op_sel:[0,0,1] op_sel_hi:[1,0,0]
	s_delay_alu instid0(VALU_DEP_1) | instskip(SKIP_4) | instid1(VALU_DEP_1)
	v_mov_b32_e32 v137, v133
	ds_load_2addr_b64 v[132:135], v178 offset0:17 offset1:18
	v_pk_add_f32 v[84:85], v[84:85], v[136:137] neg_lo:[0,1] neg_hi:[0,1]
	s_wait_dscnt 0x0
	v_pk_mul_f32 v[136:137], v[132:133], v[130:131] op_sel:[0,1]
	v_pk_fma_f32 v[138:139], v[132:133], v[128:129], v[136:137] op_sel:[0,0,1] op_sel_hi:[1,1,0] neg_lo:[0,0,1] neg_hi:[0,0,1]
	v_pk_fma_f32 v[132:133], v[132:133], v[128:129], v[136:137] op_sel:[0,0,1] op_sel_hi:[1,0,0]
	v_dual_mul_f32 v136, v135, v131 :: v_dual_mov_b32 v132, v135
	s_delay_alu instid0(VALU_DEP_2) | instskip(NEXT) | instid1(VALU_DEP_2)
	v_dual_mov_b32 v139, v133 :: v_dual_mov_b32 v133, v134
	v_pk_fma_f32 v[136:137], v[134:135], v[28:29], v[136:137] op_sel_hi:[1,1,0] neg_lo:[0,0,1] neg_hi:[0,0,1]
	v_mul_f32_e32 v134, v135, v128
	s_delay_alu instid0(VALU_DEP_3) | instskip(NEXT) | instid1(VALU_DEP_2)
	v_pk_add_f32 v[80:81], v[80:81], v[138:139] neg_lo:[0,1] neg_hi:[0,1]
	v_pk_fma_f32 v[132:133], v[132:133], v[28:29], v[134:135] op_sel_hi:[1,1,0]
	s_delay_alu instid0(VALU_DEP_1) | instskip(SKIP_4) | instid1(VALU_DEP_1)
	v_mov_b32_e32 v137, v133
	ds_load_2addr_b64 v[132:135], v178 offset0:19 offset1:20
	v_pk_add_f32 v[82:83], v[82:83], v[136:137] neg_lo:[0,1] neg_hi:[0,1]
	s_wait_dscnt 0x0
	v_pk_mul_f32 v[136:137], v[132:133], v[130:131] op_sel:[0,1]
	v_pk_fma_f32 v[138:139], v[132:133], v[128:129], v[136:137] op_sel:[0,0,1] op_sel_hi:[1,1,0] neg_lo:[0,0,1] neg_hi:[0,0,1]
	v_pk_fma_f32 v[132:133], v[132:133], v[128:129], v[136:137] op_sel:[0,0,1] op_sel_hi:[1,0,0]
	s_delay_alu instid0(VALU_DEP_1) | instskip(SKIP_1) | instid1(VALU_DEP_1)
	v_mov_b32_e32 v139, v133
	v_pk_mul_f32 v[132:133], v[134:135], v[130:131] op_sel:[0,1]
	v_pk_fma_f32 v[136:137], v[134:135], v[128:129], v[132:133] op_sel:[0,0,1] op_sel_hi:[1,1,0] neg_lo:[0,0,1] neg_hi:[0,0,1]
	v_pk_fma_f32 v[132:133], v[134:135], v[128:129], v[132:133] op_sel:[0,0,1] op_sel_hi:[1,0,0]
	s_delay_alu instid0(VALU_DEP_1)
	v_mov_b32_e32 v137, v133
	ds_load_2addr_b64 v[132:135], v178 offset0:21 offset1:22
	v_pk_add_f32 v[78:79], v[78:79], v[138:139] neg_lo:[0,1] neg_hi:[0,1]
	v_pk_add_f32 v[106:107], v[106:107], v[136:137] neg_lo:[0,1] neg_hi:[0,1]
	s_wait_dscnt 0x0
	v_pk_mul_f32 v[136:137], v[132:133], v[130:131] op_sel:[0,1]
	s_delay_alu instid0(VALU_DEP_1) | instskip(SKIP_1) | instid1(VALU_DEP_1)
	v_pk_fma_f32 v[138:139], v[132:133], v[128:129], v[136:137] op_sel:[0,0,1] op_sel_hi:[1,1,0] neg_lo:[0,0,1] neg_hi:[0,0,1]
	v_pk_fma_f32 v[132:133], v[132:133], v[128:129], v[136:137] op_sel:[0,0,1] op_sel_hi:[1,0,0]
	v_mov_b32_e32 v139, v133
	v_pk_mul_f32 v[132:133], v[134:135], v[130:131] op_sel:[0,1]
	s_delay_alu instid0(VALU_DEP_1) | instskip(SKIP_1) | instid1(VALU_DEP_1)
	v_pk_fma_f32 v[136:137], v[134:135], v[128:129], v[132:133] op_sel:[0,0,1] op_sel_hi:[1,1,0] neg_lo:[0,0,1] neg_hi:[0,0,1]
	v_pk_fma_f32 v[132:133], v[134:135], v[128:129], v[132:133] op_sel:[0,0,1] op_sel_hi:[1,0,0]
	v_mov_b32_e32 v137, v133
	ds_load_2addr_b64 v[132:135], v178 offset0:23 offset1:24
	v_pk_add_f32 v[100:101], v[100:101], v[138:139] neg_lo:[0,1] neg_hi:[0,1]
	v_pk_add_f32 v[104:105], v[104:105], v[136:137] neg_lo:[0,1] neg_hi:[0,1]
	s_wait_dscnt 0x0
	v_dual_mul_f32 v136, v133, v131 :: v_dual_mul_f32 v138, v133, v128
	s_delay_alu instid0(VALU_DEP_1) | instskip(NEXT) | instid1(VALU_DEP_2)
	v_pk_fma_f32 v[136:137], v[132:133], v[28:29], v[136:137] op_sel_hi:[1,1,0] neg_lo:[0,0,1] neg_hi:[0,0,1]
	v_pk_fma_f32 v[132:133], v[132:133], v[28:29], v[138:139] op_sel:[1,0,0] op_sel_hi:[0,1,0]
	s_delay_alu instid0(VALU_DEP_1) | instskip(SKIP_1) | instid1(VALU_DEP_2)
	v_mov_b32_e32 v137, v133
	v_pk_mul_f32 v[132:133], v[134:135], v[130:131] op_sel:[0,1]
	v_pk_add_f32 v[98:99], v[98:99], v[136:137] neg_lo:[0,1] neg_hi:[0,1]
	s_delay_alu instid0(VALU_DEP_2) | instskip(SKIP_1) | instid1(VALU_DEP_1)
	v_pk_fma_f32 v[136:137], v[134:135], v[128:129], v[132:133] op_sel:[0,0,1] op_sel_hi:[1,1,0] neg_lo:[0,0,1] neg_hi:[0,0,1]
	v_pk_fma_f32 v[132:133], v[134:135], v[128:129], v[132:133] op_sel:[0,0,1] op_sel_hi:[1,0,0]
	v_mov_b32_e32 v137, v133
	ds_load_2addr_b64 v[132:135], v178 offset0:25 offset1:26
	v_pk_add_f32 v[102:103], v[102:103], v[136:137] neg_lo:[0,1] neg_hi:[0,1]
	s_wait_dscnt 0x0
	v_pk_mul_f32 v[136:137], v[132:133], v[130:131] op_sel:[0,1]
	s_delay_alu instid0(VALU_DEP_1) | instskip(SKIP_1) | instid1(VALU_DEP_1)
	v_pk_fma_f32 v[138:139], v[132:133], v[128:129], v[136:137] op_sel:[0,0,1] op_sel_hi:[1,1,0] neg_lo:[0,0,1] neg_hi:[0,0,1]
	v_pk_fma_f32 v[132:133], v[132:133], v[128:129], v[136:137] op_sel:[0,0,1] op_sel_hi:[1,0,0]
	v_mov_b32_e32 v139, v133
	v_pk_mul_f32 v[132:133], v[134:135], v[130:131] op_sel:[0,1]
	s_delay_alu instid0(VALU_DEP_2) | instskip(NEXT) | instid1(VALU_DEP_2)
	v_pk_add_f32 v[114:115], v[114:115], v[138:139] neg_lo:[0,1] neg_hi:[0,1]
	v_pk_fma_f32 v[136:137], v[134:135], v[128:129], v[132:133] op_sel:[0,0,1] op_sel_hi:[1,1,0] neg_lo:[0,0,1] neg_hi:[0,0,1]
	v_pk_fma_f32 v[132:133], v[134:135], v[128:129], v[132:133] op_sel:[0,0,1] op_sel_hi:[1,0,0]
	s_delay_alu instid0(VALU_DEP_1)
	v_mov_b32_e32 v137, v133
	ds_load_2addr_b64 v[132:135], v178 offset0:27 offset1:28
	v_pk_add_f32 v[112:113], v[112:113], v[136:137] neg_lo:[0,1] neg_hi:[0,1]
	s_wait_dscnt 0x0
	v_pk_mul_f32 v[136:137], v[132:133], v[130:131] op_sel:[0,1]
	v_mul_f32_e32 v130, v135, v131
	s_delay_alu instid0(VALU_DEP_2) | instskip(SKIP_2) | instid1(VALU_DEP_4)
	v_pk_fma_f32 v[138:139], v[132:133], v[128:129], v[136:137] op_sel:[0,0,1] op_sel_hi:[1,1,0] neg_lo:[0,0,1] neg_hi:[0,0,1]
	v_pk_fma_f32 v[132:133], v[132:133], v[128:129], v[136:137] op_sel:[0,0,1] op_sel_hi:[1,0,0]
	v_dual_mov_b32 v132, v135 :: v_dual_mul_f32 v128, v135, v128
	v_pk_fma_f32 v[130:131], v[134:135], v[28:29], v[130:131] op_sel_hi:[1,1,0] neg_lo:[0,0,1] neg_hi:[0,0,1]
	s_delay_alu instid0(VALU_DEP_3) | instskip(NEXT) | instid1(VALU_DEP_1)
	v_dual_mov_b32 v139, v133 :: v_dual_mov_b32 v133, v134
	v_pk_add_f32 v[110:111], v[110:111], v[138:139] neg_lo:[0,1] neg_hi:[0,1]
	s_delay_alu instid0(VALU_DEP_2) | instskip(NEXT) | instid1(VALU_DEP_1)
	v_pk_fma_f32 v[128:129], v[132:133], v[28:29], v[128:129] op_sel_hi:[1,1,0]
	v_mov_b32_e32 v131, v129
	s_delay_alu instid0(VALU_DEP_1)
	v_pk_add_f32 v[116:117], v[116:117], v[130:131] neg_lo:[0,1] neg_hi:[0,1]
.LBB57_46:
	s_or_b32 exec_lo, exec_lo, s1
	s_delay_alu instid0(SALU_CYCLE_1)
	s_mov_b32 s2, exec_lo
	s_wait_dscnt 0x0
	s_barrier_signal -1
	s_barrier_wait -1
	v_cmpx_eq_u32_e32 5, v176
	s_cbranch_execz .LBB57_53
; %bb.47:
	v_dual_mov_b32 v128, v26 :: v_dual_mov_b32 v129, v27
	v_dual_mov_b32 v130, v22 :: v_dual_mov_b32 v131, v23
	ds_store_b64 v177, v[24:25]
	ds_store_2addr_b64 v178, v[128:129], v[130:131] offset0:6 offset1:7
	v_dual_mov_b32 v128, v42 :: v_dual_mov_b32 v129, v43
	v_dual_mov_b32 v130, v38 :: v_dual_mov_b32 v131, v39
	ds_store_2addr_b64 v178, v[128:129], v[130:131] offset0:8 offset1:9
	v_dual_mov_b32 v128, v40 :: v_dual_mov_b32 v129, v41
	v_dual_mov_b32 v130, v36 :: v_dual_mov_b32 v131, v37
	;; [unrolled: 3-line block ×10, first 2 shown]
	ds_store_2addr_b64 v178, v[128:129], v[130:131] offset0:26 offset1:27
	ds_store_b64 v178, v[116:117] offset:224
	ds_load_b64 v[128:129], v177
	s_wait_dscnt 0x0
	v_cmp_neq_f32_e32 vcc_lo, 0, v128
	v_cmp_neq_f32_e64 s1, 0, v129
	s_or_b32 s1, vcc_lo, s1
	s_delay_alu instid0(SALU_CYCLE_1)
	s_and_b32 exec_lo, exec_lo, s1
	s_cbranch_execz .LBB57_53
; %bb.48:
	v_cmp_ngt_f32_e64 s1, |v128|, |v129|
                                        ; implicit-def: $vgpr130_vgpr131
	s_and_saveexec_b32 s4, s1
	s_delay_alu instid0(SALU_CYCLE_1)
	s_xor_b32 s1, exec_lo, s4
	s_cbranch_execz .LBB57_50
; %bb.49:
	v_div_scale_f32 v130, null, v129, v129, v128
	v_div_scale_f32 v133, vcc_lo, v128, v129, v128
	s_delay_alu instid0(VALU_DEP_2) | instskip(SKIP_1) | instid1(TRANS32_DEP_1)
	v_rcp_f32_e32 v131, v130
	v_nop
	v_fma_f32 v132, -v130, v131, 1.0
	s_delay_alu instid0(VALU_DEP_1) | instskip(NEXT) | instid1(VALU_DEP_1)
	v_fmac_f32_e32 v131, v132, v131
	v_mul_f32_e32 v132, v133, v131
	s_delay_alu instid0(VALU_DEP_1) | instskip(NEXT) | instid1(VALU_DEP_1)
	v_fma_f32 v134, -v130, v132, v133
	v_fmac_f32_e32 v132, v134, v131
	s_delay_alu instid0(VALU_DEP_1) | instskip(NEXT) | instid1(VALU_DEP_1)
	v_fma_f32 v130, -v130, v132, v133
	v_div_fmas_f32 v130, v130, v131, v132
	s_delay_alu instid0(VALU_DEP_1) | instskip(NEXT) | instid1(VALU_DEP_1)
	v_div_fixup_f32 v130, v130, v129, v128
	v_fmac_f32_e32 v129, v128, v130
	s_delay_alu instid0(VALU_DEP_1) | instskip(SKIP_1) | instid1(VALU_DEP_2)
	v_div_scale_f32 v128, null, v129, v129, 1.0
	v_div_scale_f32 v133, vcc_lo, 1.0, v129, 1.0
	v_rcp_f32_e32 v131, v128
	v_nop
	s_delay_alu instid0(TRANS32_DEP_1) | instskip(NEXT) | instid1(VALU_DEP_1)
	v_fma_f32 v132, -v128, v131, 1.0
	v_fmac_f32_e32 v131, v132, v131
	s_delay_alu instid0(VALU_DEP_1) | instskip(NEXT) | instid1(VALU_DEP_1)
	v_mul_f32_e32 v132, v133, v131
	v_fma_f32 v134, -v128, v132, v133
	s_delay_alu instid0(VALU_DEP_1) | instskip(NEXT) | instid1(VALU_DEP_1)
	v_fmac_f32_e32 v132, v134, v131
	v_fma_f32 v128, -v128, v132, v133
	s_delay_alu instid0(VALU_DEP_1) | instskip(NEXT) | instid1(VALU_DEP_1)
	v_div_fmas_f32 v128, v128, v131, v132
	v_div_fixup_f32 v128, v128, v129, 1.0
	s_delay_alu instid0(VALU_DEP_1)
	v_mul_f32_e32 v130, v130, v128
	v_xor_b32_e32 v131, 0x80000000, v128
                                        ; implicit-def: $vgpr128_vgpr129
.LBB57_50:
	s_and_not1_saveexec_b32 s1, s1
	s_cbranch_execz .LBB57_52
; %bb.51:
	v_div_scale_f32 v130, null, v128, v128, v129
	v_div_scale_f32 v133, vcc_lo, v129, v128, v129
	s_delay_alu instid0(VALU_DEP_2) | instskip(SKIP_1) | instid1(TRANS32_DEP_1)
	v_rcp_f32_e32 v131, v130
	v_nop
	v_fma_f32 v132, -v130, v131, 1.0
	s_delay_alu instid0(VALU_DEP_1) | instskip(NEXT) | instid1(VALU_DEP_1)
	v_fmac_f32_e32 v131, v132, v131
	v_mul_f32_e32 v132, v133, v131
	s_delay_alu instid0(VALU_DEP_1) | instskip(NEXT) | instid1(VALU_DEP_1)
	v_fma_f32 v134, -v130, v132, v133
	v_fmac_f32_e32 v132, v134, v131
	s_delay_alu instid0(VALU_DEP_1) | instskip(NEXT) | instid1(VALU_DEP_1)
	v_fma_f32 v130, -v130, v132, v133
	v_div_fmas_f32 v130, v130, v131, v132
	s_delay_alu instid0(VALU_DEP_1) | instskip(NEXT) | instid1(VALU_DEP_1)
	v_div_fixup_f32 v131, v130, v128, v129
	v_fmac_f32_e32 v128, v129, v131
	s_delay_alu instid0(VALU_DEP_1) | instskip(NEXT) | instid1(VALU_DEP_1)
	v_div_scale_f32 v129, null, v128, v128, 1.0
	v_rcp_f32_e32 v130, v129
	v_nop
	s_delay_alu instid0(TRANS32_DEP_1) | instskip(NEXT) | instid1(VALU_DEP_1)
	v_fma_f32 v132, -v129, v130, 1.0
	v_fmac_f32_e32 v130, v132, v130
	v_div_scale_f32 v132, vcc_lo, 1.0, v128, 1.0
	s_delay_alu instid0(VALU_DEP_1) | instskip(NEXT) | instid1(VALU_DEP_1)
	v_mul_f32_e32 v133, v132, v130
	v_fma_f32 v134, -v129, v133, v132
	s_delay_alu instid0(VALU_DEP_1) | instskip(NEXT) | instid1(VALU_DEP_1)
	v_fmac_f32_e32 v133, v134, v130
	v_fma_f32 v129, -v129, v133, v132
	s_delay_alu instid0(VALU_DEP_1) | instskip(NEXT) | instid1(VALU_DEP_1)
	v_div_fmas_f32 v129, v129, v130, v133
	v_div_fixup_f32 v130, v129, v128, 1.0
	s_delay_alu instid0(VALU_DEP_1)
	v_mul_f32_e64 v131, v131, -v130
.LBB57_52:
	s_or_b32 exec_lo, exec_lo, s1
	ds_store_b64 v177, v[130:131]
.LBB57_53:
	s_or_b32 exec_lo, exec_lo, s2
	s_wait_dscnt 0x0
	s_barrier_signal -1
	s_barrier_wait -1
	ds_load_b64 v[128:129], v177
	s_mov_b32 s1, exec_lo
	v_cmpx_lt_u32_e32 5, v176
	s_cbranch_execz .LBB57_55
; %bb.54:
	ds_load_2addr_b64 v[134:137], v178 offset0:6 offset1:7
	s_wait_dscnt 0x1
	v_pk_mul_f32 v[132:133], v[128:129], v[24:25] op_sel:[1,1] op_sel_hi:[0,1]
	s_delay_alu instid0(VALU_DEP_1) | instskip(SKIP_1) | instid1(VALU_DEP_1)
	v_pk_fma_f32 v[130:131], v[128:129], v[24:25], v[132:133] op_sel_hi:[1,0,1] neg_lo:[0,0,1] neg_hi:[0,0,1]
	v_pk_fma_f32 v[132:133], v[128:129], v[24:25], v[132:133] op_sel_hi:[1,0,1]
	v_dual_mov_b32 v24, v130 :: v_dual_mov_b32 v25, v133
	s_wait_dscnt 0x0
	s_delay_alu instid0(VALU_DEP_2) | instskip(NEXT) | instid1(VALU_DEP_1)
	v_pk_mul_f32 v[138:139], v[134:135], v[132:133] op_sel:[0,1]
	v_pk_fma_f32 v[140:141], v[134:135], v[130:131], v[138:139] op_sel:[0,0,1] op_sel_hi:[1,1,0] neg_lo:[0,0,1] neg_hi:[0,0,1]
	v_pk_fma_f32 v[134:135], v[134:135], v[130:131], v[138:139] op_sel:[0,0,1] op_sel_hi:[1,0,0]
	s_delay_alu instid0(VALU_DEP_1) | instskip(SKIP_1) | instid1(VALU_DEP_1)
	v_mov_b32_e32 v141, v135
	v_pk_mul_f32 v[134:135], v[136:137], v[132:133] op_sel:[0,1]
	v_pk_fma_f32 v[138:139], v[136:137], v[130:131], v[134:135] op_sel:[0,0,1] op_sel_hi:[1,1,0] neg_lo:[0,0,1] neg_hi:[0,0,1]
	v_pk_fma_f32 v[134:135], v[136:137], v[130:131], v[134:135] op_sel:[0,0,1] op_sel_hi:[1,0,0]
	s_delay_alu instid0(VALU_DEP_1)
	v_mov_b32_e32 v139, v135
	ds_load_2addr_b64 v[134:137], v178 offset0:8 offset1:9
	v_pk_add_f32 v[26:27], v[26:27], v[140:141] neg_lo:[0,1] neg_hi:[0,1]
	v_pk_add_f32 v[22:23], v[22:23], v[138:139] neg_lo:[0,1] neg_hi:[0,1]
	s_wait_dscnt 0x0
	v_pk_mul_f32 v[138:139], v[134:135], v[132:133] op_sel:[0,1]
	s_delay_alu instid0(VALU_DEP_1) | instskip(SKIP_2) | instid1(VALU_DEP_2)
	v_pk_fma_f32 v[140:141], v[134:135], v[130:131], v[138:139] op_sel:[0,0,1] op_sel_hi:[1,1,0] neg_lo:[0,0,1] neg_hi:[0,0,1]
	v_pk_fma_f32 v[134:135], v[134:135], v[130:131], v[138:139] op_sel:[0,0,1] op_sel_hi:[1,0,0]
	v_dual_mul_f32 v138, v137, v133 :: v_dual_mov_b32 v134, v137
	v_dual_mov_b32 v141, v135 :: v_dual_mov_b32 v135, v136
	s_delay_alu instid0(VALU_DEP_2) | instskip(SKIP_1) | instid1(VALU_DEP_3)
	v_pk_fma_f32 v[138:139], v[136:137], v[24:25], v[138:139] op_sel_hi:[1,1,0] neg_lo:[0,0,1] neg_hi:[0,0,1]
	v_mul_f32_e32 v136, v137, v130
	v_pk_add_f32 v[42:43], v[42:43], v[140:141] neg_lo:[0,1] neg_hi:[0,1]
	s_delay_alu instid0(VALU_DEP_2) | instskip(NEXT) | instid1(VALU_DEP_1)
	v_pk_fma_f32 v[134:135], v[134:135], v[24:25], v[136:137] op_sel_hi:[1,1,0]
	v_mov_b32_e32 v139, v135
	ds_load_2addr_b64 v[134:137], v178 offset0:10 offset1:11
	v_pk_add_f32 v[38:39], v[38:39], v[138:139] neg_lo:[0,1] neg_hi:[0,1]
	s_wait_dscnt 0x0
	v_pk_mul_f32 v[138:139], v[134:135], v[132:133] op_sel:[0,1]
	s_delay_alu instid0(VALU_DEP_1) | instskip(SKIP_1) | instid1(VALU_DEP_1)
	v_pk_fma_f32 v[140:141], v[134:135], v[130:131], v[138:139] op_sel:[0,0,1] op_sel_hi:[1,1,0] neg_lo:[0,0,1] neg_hi:[0,0,1]
	v_pk_fma_f32 v[134:135], v[134:135], v[130:131], v[138:139] op_sel:[0,0,1] op_sel_hi:[1,0,0]
	v_mov_b32_e32 v141, v135
	v_pk_mul_f32 v[134:135], v[136:137], v[132:133] op_sel:[0,1]
	s_delay_alu instid0(VALU_DEP_1) | instskip(SKIP_1) | instid1(VALU_DEP_1)
	v_pk_fma_f32 v[138:139], v[136:137], v[130:131], v[134:135] op_sel:[0,0,1] op_sel_hi:[1,1,0] neg_lo:[0,0,1] neg_hi:[0,0,1]
	v_pk_fma_f32 v[134:135], v[136:137], v[130:131], v[134:135] op_sel:[0,0,1] op_sel_hi:[1,0,0]
	v_mov_b32_e32 v139, v135
	ds_load_2addr_b64 v[134:137], v178 offset0:12 offset1:13
	v_pk_add_f32 v[40:41], v[40:41], v[140:141] neg_lo:[0,1] neg_hi:[0,1]
	v_pk_add_f32 v[36:37], v[36:37], v[138:139] neg_lo:[0,1] neg_hi:[0,1]
	s_wait_dscnt 0x0
	v_pk_mul_f32 v[138:139], v[134:135], v[132:133] op_sel:[0,1]
	s_delay_alu instid0(VALU_DEP_1) | instskip(SKIP_1) | instid1(VALU_DEP_1)
	v_pk_fma_f32 v[140:141], v[134:135], v[130:131], v[138:139] op_sel:[0,0,1] op_sel_hi:[1,1,0] neg_lo:[0,0,1] neg_hi:[0,0,1]
	v_pk_fma_f32 v[134:135], v[134:135], v[130:131], v[138:139] op_sel:[0,0,1] op_sel_hi:[1,0,0]
	v_mov_b32_e32 v141, v135
	v_pk_mul_f32 v[134:135], v[136:137], v[132:133] op_sel:[0,1]
	s_delay_alu instid0(VALU_DEP_1) | instskip(SKIP_1) | instid1(VALU_DEP_1)
	v_pk_fma_f32 v[138:139], v[136:137], v[130:131], v[134:135] op_sel:[0,0,1] op_sel_hi:[1,1,0] neg_lo:[0,0,1] neg_hi:[0,0,1]
	v_pk_fma_f32 v[134:135], v[136:137], v[130:131], v[134:135] op_sel:[0,0,1] op_sel_hi:[1,0,0]
	v_mov_b32_e32 v139, v135
	ds_load_2addr_b64 v[134:137], v178 offset0:14 offset1:15
	v_pk_add_f32 v[62:63], v[62:63], v[140:141] neg_lo:[0,1] neg_hi:[0,1]
	v_pk_add_f32 v[88:89], v[88:89], v[138:139] neg_lo:[0,1] neg_hi:[0,1]
	s_wait_dscnt 0x0
	v_dual_mul_f32 v138, v135, v133 :: v_dual_mul_f32 v140, v135, v130
	s_delay_alu instid0(VALU_DEP_1) | instskip(NEXT) | instid1(VALU_DEP_2)
	v_pk_fma_f32 v[138:139], v[134:135], v[24:25], v[138:139] op_sel_hi:[1,1,0] neg_lo:[0,0,1] neg_hi:[0,0,1]
	v_pk_fma_f32 v[134:135], v[134:135], v[24:25], v[140:141] op_sel:[1,0,0] op_sel_hi:[0,1,0]
	s_delay_alu instid0(VALU_DEP_1) | instskip(SKIP_1) | instid1(VALU_DEP_2)
	v_mov_b32_e32 v139, v135
	v_pk_mul_f32 v[134:135], v[136:137], v[132:133] op_sel:[0,1]
	v_pk_add_f32 v[108:109], v[108:109], v[138:139] neg_lo:[0,1] neg_hi:[0,1]
	s_delay_alu instid0(VALU_DEP_2) | instskip(SKIP_1) | instid1(VALU_DEP_1)
	v_pk_fma_f32 v[138:139], v[136:137], v[130:131], v[134:135] op_sel:[0,0,1] op_sel_hi:[1,1,0] neg_lo:[0,0,1] neg_hi:[0,0,1]
	v_pk_fma_f32 v[134:135], v[136:137], v[130:131], v[134:135] op_sel:[0,0,1] op_sel_hi:[1,0,0]
	v_mov_b32_e32 v139, v135
	ds_load_2addr_b64 v[134:137], v178 offset0:16 offset1:17
	v_pk_add_f32 v[60:61], v[60:61], v[138:139] neg_lo:[0,1] neg_hi:[0,1]
	s_wait_dscnt 0x0
	v_pk_mul_f32 v[138:139], v[134:135], v[132:133] op_sel:[0,1]
	s_delay_alu instid0(VALU_DEP_1) | instskip(SKIP_1) | instid1(VALU_DEP_1)
	v_pk_fma_f32 v[140:141], v[134:135], v[130:131], v[138:139] op_sel:[0,0,1] op_sel_hi:[1,1,0] neg_lo:[0,0,1] neg_hi:[0,0,1]
	v_pk_fma_f32 v[134:135], v[134:135], v[130:131], v[138:139] op_sel:[0,0,1] op_sel_hi:[1,0,0]
	v_mov_b32_e32 v141, v135
	v_pk_mul_f32 v[134:135], v[136:137], v[132:133] op_sel:[0,1]
	s_delay_alu instid0(VALU_DEP_2) | instskip(NEXT) | instid1(VALU_DEP_2)
	v_pk_add_f32 v[84:85], v[84:85], v[140:141] neg_lo:[0,1] neg_hi:[0,1]
	v_pk_fma_f32 v[138:139], v[136:137], v[130:131], v[134:135] op_sel:[0,0,1] op_sel_hi:[1,1,0] neg_lo:[0,0,1] neg_hi:[0,0,1]
	v_pk_fma_f32 v[134:135], v[136:137], v[130:131], v[134:135] op_sel:[0,0,1] op_sel_hi:[1,0,0]
	s_delay_alu instid0(VALU_DEP_1) | instskip(SKIP_4) | instid1(VALU_DEP_1)
	v_mov_b32_e32 v139, v135
	ds_load_2addr_b64 v[134:137], v178 offset0:18 offset1:19
	v_pk_add_f32 v[80:81], v[80:81], v[138:139] neg_lo:[0,1] neg_hi:[0,1]
	s_wait_dscnt 0x0
	v_pk_mul_f32 v[138:139], v[134:135], v[132:133] op_sel:[0,1]
	v_pk_fma_f32 v[140:141], v[134:135], v[130:131], v[138:139] op_sel:[0,0,1] op_sel_hi:[1,1,0] neg_lo:[0,0,1] neg_hi:[0,0,1]
	v_pk_fma_f32 v[134:135], v[134:135], v[130:131], v[138:139] op_sel:[0,0,1] op_sel_hi:[1,0,0]
	v_dual_mul_f32 v138, v137, v133 :: v_dual_mov_b32 v134, v137
	s_delay_alu instid0(VALU_DEP_2) | instskip(NEXT) | instid1(VALU_DEP_2)
	v_dual_mov_b32 v141, v135 :: v_dual_mov_b32 v135, v136
	v_pk_fma_f32 v[138:139], v[136:137], v[24:25], v[138:139] op_sel_hi:[1,1,0] neg_lo:[0,0,1] neg_hi:[0,0,1]
	v_mul_f32_e32 v136, v137, v130
	s_delay_alu instid0(VALU_DEP_3) | instskip(NEXT) | instid1(VALU_DEP_2)
	v_pk_add_f32 v[82:83], v[82:83], v[140:141] neg_lo:[0,1] neg_hi:[0,1]
	v_pk_fma_f32 v[134:135], v[134:135], v[24:25], v[136:137] op_sel_hi:[1,1,0]
	s_delay_alu instid0(VALU_DEP_1) | instskip(SKIP_4) | instid1(VALU_DEP_1)
	v_mov_b32_e32 v139, v135
	ds_load_2addr_b64 v[134:137], v178 offset0:20 offset1:21
	v_pk_add_f32 v[78:79], v[78:79], v[138:139] neg_lo:[0,1] neg_hi:[0,1]
	s_wait_dscnt 0x0
	v_pk_mul_f32 v[138:139], v[134:135], v[132:133] op_sel:[0,1]
	v_pk_fma_f32 v[140:141], v[134:135], v[130:131], v[138:139] op_sel:[0,0,1] op_sel_hi:[1,1,0] neg_lo:[0,0,1] neg_hi:[0,0,1]
	v_pk_fma_f32 v[134:135], v[134:135], v[130:131], v[138:139] op_sel:[0,0,1] op_sel_hi:[1,0,0]
	s_delay_alu instid0(VALU_DEP_1) | instskip(SKIP_1) | instid1(VALU_DEP_1)
	v_mov_b32_e32 v141, v135
	v_pk_mul_f32 v[134:135], v[136:137], v[132:133] op_sel:[0,1]
	v_pk_fma_f32 v[138:139], v[136:137], v[130:131], v[134:135] op_sel:[0,0,1] op_sel_hi:[1,1,0] neg_lo:[0,0,1] neg_hi:[0,0,1]
	v_pk_fma_f32 v[134:135], v[136:137], v[130:131], v[134:135] op_sel:[0,0,1] op_sel_hi:[1,0,0]
	s_delay_alu instid0(VALU_DEP_1)
	v_mov_b32_e32 v139, v135
	ds_load_2addr_b64 v[134:137], v178 offset0:22 offset1:23
	v_pk_add_f32 v[106:107], v[106:107], v[140:141] neg_lo:[0,1] neg_hi:[0,1]
	v_pk_add_f32 v[100:101], v[100:101], v[138:139] neg_lo:[0,1] neg_hi:[0,1]
	s_wait_dscnt 0x0
	v_pk_mul_f32 v[138:139], v[134:135], v[132:133] op_sel:[0,1]
	s_delay_alu instid0(VALU_DEP_1) | instskip(SKIP_1) | instid1(VALU_DEP_1)
	v_pk_fma_f32 v[140:141], v[134:135], v[130:131], v[138:139] op_sel:[0,0,1] op_sel_hi:[1,1,0] neg_lo:[0,0,1] neg_hi:[0,0,1]
	v_pk_fma_f32 v[134:135], v[134:135], v[130:131], v[138:139] op_sel:[0,0,1] op_sel_hi:[1,0,0]
	v_mov_b32_e32 v141, v135
	v_pk_mul_f32 v[134:135], v[136:137], v[132:133] op_sel:[0,1]
	s_delay_alu instid0(VALU_DEP_1) | instskip(SKIP_1) | instid1(VALU_DEP_1)
	v_pk_fma_f32 v[138:139], v[136:137], v[130:131], v[134:135] op_sel:[0,0,1] op_sel_hi:[1,1,0] neg_lo:[0,0,1] neg_hi:[0,0,1]
	v_pk_fma_f32 v[134:135], v[136:137], v[130:131], v[134:135] op_sel:[0,0,1] op_sel_hi:[1,0,0]
	v_mov_b32_e32 v139, v135
	ds_load_2addr_b64 v[134:137], v178 offset0:24 offset1:25
	v_pk_add_f32 v[104:105], v[104:105], v[140:141] neg_lo:[0,1] neg_hi:[0,1]
	v_pk_add_f32 v[98:99], v[98:99], v[138:139] neg_lo:[0,1] neg_hi:[0,1]
	s_wait_dscnt 0x0
	v_dual_mul_f32 v138, v135, v133 :: v_dual_mul_f32 v140, v135, v130
	s_delay_alu instid0(VALU_DEP_1) | instskip(NEXT) | instid1(VALU_DEP_2)
	v_pk_fma_f32 v[138:139], v[134:135], v[24:25], v[138:139] op_sel_hi:[1,1,0] neg_lo:[0,0,1] neg_hi:[0,0,1]
	v_pk_fma_f32 v[134:135], v[134:135], v[24:25], v[140:141] op_sel:[1,0,0] op_sel_hi:[0,1,0]
	s_delay_alu instid0(VALU_DEP_1) | instskip(SKIP_1) | instid1(VALU_DEP_2)
	v_mov_b32_e32 v139, v135
	v_pk_mul_f32 v[134:135], v[136:137], v[132:133] op_sel:[0,1]
	v_pk_add_f32 v[102:103], v[102:103], v[138:139] neg_lo:[0,1] neg_hi:[0,1]
	s_delay_alu instid0(VALU_DEP_2) | instskip(SKIP_1) | instid1(VALU_DEP_1)
	v_pk_fma_f32 v[138:139], v[136:137], v[130:131], v[134:135] op_sel:[0,0,1] op_sel_hi:[1,1,0] neg_lo:[0,0,1] neg_hi:[0,0,1]
	v_pk_fma_f32 v[134:135], v[136:137], v[130:131], v[134:135] op_sel:[0,0,1] op_sel_hi:[1,0,0]
	v_mov_b32_e32 v139, v135
	ds_load_2addr_b64 v[134:137], v178 offset0:26 offset1:27
	v_pk_add_f32 v[114:115], v[114:115], v[138:139] neg_lo:[0,1] neg_hi:[0,1]
	s_wait_dscnt 0x0
	v_pk_mul_f32 v[138:139], v[134:135], v[132:133] op_sel:[0,1]
	s_delay_alu instid0(VALU_DEP_1) | instskip(SKIP_1) | instid1(VALU_DEP_1)
	v_pk_fma_f32 v[140:141], v[134:135], v[130:131], v[138:139] op_sel:[0,0,1] op_sel_hi:[1,1,0] neg_lo:[0,0,1] neg_hi:[0,0,1]
	v_pk_fma_f32 v[134:135], v[134:135], v[130:131], v[138:139] op_sel:[0,0,1] op_sel_hi:[1,0,0]
	v_mov_b32_e32 v141, v135
	v_pk_mul_f32 v[134:135], v[136:137], v[132:133] op_sel:[0,1]
	s_delay_alu instid0(VALU_DEP_2) | instskip(NEXT) | instid1(VALU_DEP_2)
	v_pk_add_f32 v[112:113], v[112:113], v[140:141] neg_lo:[0,1] neg_hi:[0,1]
	v_pk_fma_f32 v[138:139], v[136:137], v[130:131], v[134:135] op_sel:[0,0,1] op_sel_hi:[1,1,0] neg_lo:[0,0,1] neg_hi:[0,0,1]
	v_pk_fma_f32 v[134:135], v[136:137], v[130:131], v[134:135] op_sel:[0,0,1] op_sel_hi:[1,0,0]
	s_delay_alu instid0(VALU_DEP_1) | instskip(SKIP_4) | instid1(VALU_DEP_1)
	v_mov_b32_e32 v139, v135
	ds_load_b64 v[134:135], v178 offset:224
	v_pk_add_f32 v[110:111], v[110:111], v[138:139] neg_lo:[0,1] neg_hi:[0,1]
	s_wait_dscnt 0x0
	v_pk_mul_f32 v[132:133], v[134:135], v[132:133] op_sel:[0,1]
	v_pk_fma_f32 v[136:137], v[134:135], v[130:131], v[132:133] op_sel:[0,0,1] op_sel_hi:[1,1,0] neg_lo:[0,0,1] neg_hi:[0,0,1]
	v_pk_fma_f32 v[130:131], v[134:135], v[130:131], v[132:133] op_sel:[0,0,1] op_sel_hi:[1,0,0]
	s_delay_alu instid0(VALU_DEP_1) | instskip(NEXT) | instid1(VALU_DEP_1)
	v_mov_b32_e32 v137, v131
	v_pk_add_f32 v[116:117], v[116:117], v[136:137] neg_lo:[0,1] neg_hi:[0,1]
.LBB57_55:
	s_or_b32 exec_lo, exec_lo, s1
	s_delay_alu instid0(SALU_CYCLE_1)
	s_mov_b32 s2, exec_lo
	s_wait_dscnt 0x0
	s_barrier_signal -1
	s_barrier_wait -1
	v_cmpx_eq_u32_e32 6, v176
	s_cbranch_execz .LBB57_62
; %bb.56:
	ds_store_b64 v177, v[26:27]
	ds_store_2addr_b64 v178, v[22:23], v[42:43] offset0:7 offset1:8
	ds_store_2addr_b64 v178, v[38:39], v[40:41] offset0:9 offset1:10
	;; [unrolled: 1-line block ×11, first 2 shown]
	ds_load_b64 v[130:131], v177
	s_wait_dscnt 0x0
	v_cmp_neq_f32_e32 vcc_lo, 0, v130
	v_cmp_neq_f32_e64 s1, 0, v131
	s_or_b32 s1, vcc_lo, s1
	s_delay_alu instid0(SALU_CYCLE_1)
	s_and_b32 exec_lo, exec_lo, s1
	s_cbranch_execz .LBB57_62
; %bb.57:
	v_cmp_ngt_f32_e64 s1, |v130|, |v131|
                                        ; implicit-def: $vgpr132_vgpr133
	s_and_saveexec_b32 s4, s1
	s_delay_alu instid0(SALU_CYCLE_1)
	s_xor_b32 s1, exec_lo, s4
	s_cbranch_execz .LBB57_59
; %bb.58:
	v_div_scale_f32 v132, null, v131, v131, v130
	v_div_scale_f32 v135, vcc_lo, v130, v131, v130
	s_delay_alu instid0(VALU_DEP_2) | instskip(SKIP_1) | instid1(TRANS32_DEP_1)
	v_rcp_f32_e32 v133, v132
	v_nop
	v_fma_f32 v134, -v132, v133, 1.0
	s_delay_alu instid0(VALU_DEP_1) | instskip(NEXT) | instid1(VALU_DEP_1)
	v_fmac_f32_e32 v133, v134, v133
	v_mul_f32_e32 v134, v135, v133
	s_delay_alu instid0(VALU_DEP_1) | instskip(NEXT) | instid1(VALU_DEP_1)
	v_fma_f32 v136, -v132, v134, v135
	v_fmac_f32_e32 v134, v136, v133
	s_delay_alu instid0(VALU_DEP_1) | instskip(NEXT) | instid1(VALU_DEP_1)
	v_fma_f32 v132, -v132, v134, v135
	v_div_fmas_f32 v132, v132, v133, v134
	s_delay_alu instid0(VALU_DEP_1) | instskip(NEXT) | instid1(VALU_DEP_1)
	v_div_fixup_f32 v132, v132, v131, v130
	v_fmac_f32_e32 v131, v130, v132
	s_delay_alu instid0(VALU_DEP_1) | instskip(SKIP_1) | instid1(VALU_DEP_2)
	v_div_scale_f32 v130, null, v131, v131, 1.0
	v_div_scale_f32 v135, vcc_lo, 1.0, v131, 1.0
	v_rcp_f32_e32 v133, v130
	v_nop
	s_delay_alu instid0(TRANS32_DEP_1) | instskip(NEXT) | instid1(VALU_DEP_1)
	v_fma_f32 v134, -v130, v133, 1.0
	v_fmac_f32_e32 v133, v134, v133
	s_delay_alu instid0(VALU_DEP_1) | instskip(NEXT) | instid1(VALU_DEP_1)
	v_mul_f32_e32 v134, v135, v133
	v_fma_f32 v136, -v130, v134, v135
	s_delay_alu instid0(VALU_DEP_1) | instskip(NEXT) | instid1(VALU_DEP_1)
	v_fmac_f32_e32 v134, v136, v133
	v_fma_f32 v130, -v130, v134, v135
	s_delay_alu instid0(VALU_DEP_1) | instskip(NEXT) | instid1(VALU_DEP_1)
	v_div_fmas_f32 v130, v130, v133, v134
	v_div_fixup_f32 v130, v130, v131, 1.0
	s_delay_alu instid0(VALU_DEP_1)
	v_mul_f32_e32 v132, v132, v130
	v_xor_b32_e32 v133, 0x80000000, v130
                                        ; implicit-def: $vgpr130_vgpr131
.LBB57_59:
	s_and_not1_saveexec_b32 s1, s1
	s_cbranch_execz .LBB57_61
; %bb.60:
	v_div_scale_f32 v132, null, v130, v130, v131
	v_div_scale_f32 v135, vcc_lo, v131, v130, v131
	s_delay_alu instid0(VALU_DEP_2) | instskip(SKIP_1) | instid1(TRANS32_DEP_1)
	v_rcp_f32_e32 v133, v132
	v_nop
	v_fma_f32 v134, -v132, v133, 1.0
	s_delay_alu instid0(VALU_DEP_1) | instskip(NEXT) | instid1(VALU_DEP_1)
	v_fmac_f32_e32 v133, v134, v133
	v_mul_f32_e32 v134, v135, v133
	s_delay_alu instid0(VALU_DEP_1) | instskip(NEXT) | instid1(VALU_DEP_1)
	v_fma_f32 v136, -v132, v134, v135
	v_fmac_f32_e32 v134, v136, v133
	s_delay_alu instid0(VALU_DEP_1) | instskip(NEXT) | instid1(VALU_DEP_1)
	v_fma_f32 v132, -v132, v134, v135
	v_div_fmas_f32 v132, v132, v133, v134
	s_delay_alu instid0(VALU_DEP_1) | instskip(NEXT) | instid1(VALU_DEP_1)
	v_div_fixup_f32 v133, v132, v130, v131
	v_fmac_f32_e32 v130, v131, v133
	s_delay_alu instid0(VALU_DEP_1) | instskip(NEXT) | instid1(VALU_DEP_1)
	v_div_scale_f32 v131, null, v130, v130, 1.0
	v_rcp_f32_e32 v132, v131
	v_nop
	s_delay_alu instid0(TRANS32_DEP_1) | instskip(NEXT) | instid1(VALU_DEP_1)
	v_fma_f32 v134, -v131, v132, 1.0
	v_fmac_f32_e32 v132, v134, v132
	v_div_scale_f32 v134, vcc_lo, 1.0, v130, 1.0
	s_delay_alu instid0(VALU_DEP_1) | instskip(NEXT) | instid1(VALU_DEP_1)
	v_mul_f32_e32 v135, v134, v132
	v_fma_f32 v136, -v131, v135, v134
	s_delay_alu instid0(VALU_DEP_1) | instskip(NEXT) | instid1(VALU_DEP_1)
	v_fmac_f32_e32 v135, v136, v132
	v_fma_f32 v131, -v131, v135, v134
	s_delay_alu instid0(VALU_DEP_1) | instskip(NEXT) | instid1(VALU_DEP_1)
	v_div_fmas_f32 v131, v131, v132, v135
	v_div_fixup_f32 v132, v131, v130, 1.0
	s_delay_alu instid0(VALU_DEP_1)
	v_mul_f32_e64 v133, v133, -v132
.LBB57_61:
	s_or_b32 exec_lo, exec_lo, s1
	ds_store_b64 v177, v[132:133]
.LBB57_62:
	s_or_b32 exec_lo, exec_lo, s2
	s_wait_dscnt 0x0
	s_barrier_signal -1
	s_barrier_wait -1
	ds_load_b64 v[130:131], v177
	s_mov_b32 s1, exec_lo
	v_cmpx_lt_u32_e32 6, v176
	s_cbranch_execz .LBB57_64
; %bb.63:
	ds_load_2addr_b64 v[136:139], v178 offset0:7 offset1:8
	s_wait_dscnt 0x1
	v_pk_mul_f32 v[134:135], v[130:131], v[26:27] op_sel:[1,1] op_sel_hi:[0,1]
	s_delay_alu instid0(VALU_DEP_1) | instskip(SKIP_1) | instid1(VALU_DEP_1)
	v_pk_fma_f32 v[132:133], v[130:131], v[26:27], v[134:135] op_sel_hi:[1,0,1] neg_lo:[0,0,1] neg_hi:[0,0,1]
	v_pk_fma_f32 v[134:135], v[130:131], v[26:27], v[134:135] op_sel_hi:[1,0,1]
	v_dual_mov_b32 v26, v132 :: v_dual_mov_b32 v27, v135
	s_wait_dscnt 0x0
	s_delay_alu instid0(VALU_DEP_2) | instskip(NEXT) | instid1(VALU_DEP_1)
	v_pk_mul_f32 v[140:141], v[136:137], v[134:135] op_sel:[0,1]
	v_pk_fma_f32 v[142:143], v[136:137], v[132:133], v[140:141] op_sel:[0,0,1] op_sel_hi:[1,1,0] neg_lo:[0,0,1] neg_hi:[0,0,1]
	v_pk_fma_f32 v[136:137], v[136:137], v[132:133], v[140:141] op_sel:[0,0,1] op_sel_hi:[1,0,0]
	s_delay_alu instid0(VALU_DEP_1) | instskip(SKIP_1) | instid1(VALU_DEP_1)
	v_mov_b32_e32 v143, v137
	v_pk_mul_f32 v[136:137], v[138:139], v[134:135] op_sel:[0,1]
	v_pk_fma_f32 v[140:141], v[138:139], v[132:133], v[136:137] op_sel:[0,0,1] op_sel_hi:[1,1,0] neg_lo:[0,0,1] neg_hi:[0,0,1]
	v_pk_fma_f32 v[136:137], v[138:139], v[132:133], v[136:137] op_sel:[0,0,1] op_sel_hi:[1,0,0]
	s_delay_alu instid0(VALU_DEP_1)
	v_mov_b32_e32 v141, v137
	ds_load_2addr_b64 v[136:139], v178 offset0:9 offset1:10
	v_pk_add_f32 v[22:23], v[22:23], v[142:143] neg_lo:[0,1] neg_hi:[0,1]
	v_pk_add_f32 v[42:43], v[42:43], v[140:141] neg_lo:[0,1] neg_hi:[0,1]
	s_wait_dscnt 0x0
	v_pk_mul_f32 v[140:141], v[136:137], v[134:135] op_sel:[0,1]
	s_delay_alu instid0(VALU_DEP_1) | instskip(SKIP_2) | instid1(VALU_DEP_2)
	v_pk_fma_f32 v[142:143], v[136:137], v[132:133], v[140:141] op_sel:[0,0,1] op_sel_hi:[1,1,0] neg_lo:[0,0,1] neg_hi:[0,0,1]
	v_pk_fma_f32 v[136:137], v[136:137], v[132:133], v[140:141] op_sel:[0,0,1] op_sel_hi:[1,0,0]
	v_dual_mul_f32 v140, v139, v135 :: v_dual_mov_b32 v136, v139
	v_dual_mov_b32 v143, v137 :: v_dual_mov_b32 v137, v138
	s_delay_alu instid0(VALU_DEP_2) | instskip(SKIP_1) | instid1(VALU_DEP_3)
	v_pk_fma_f32 v[140:141], v[138:139], v[26:27], v[140:141] op_sel_hi:[1,1,0] neg_lo:[0,0,1] neg_hi:[0,0,1]
	v_mul_f32_e32 v138, v139, v132
	v_pk_add_f32 v[38:39], v[38:39], v[142:143] neg_lo:[0,1] neg_hi:[0,1]
	s_delay_alu instid0(VALU_DEP_2) | instskip(NEXT) | instid1(VALU_DEP_1)
	v_pk_fma_f32 v[136:137], v[136:137], v[26:27], v[138:139] op_sel_hi:[1,1,0]
	v_mov_b32_e32 v141, v137
	ds_load_2addr_b64 v[136:139], v178 offset0:11 offset1:12
	v_pk_add_f32 v[40:41], v[40:41], v[140:141] neg_lo:[0,1] neg_hi:[0,1]
	s_wait_dscnt 0x0
	v_pk_mul_f32 v[140:141], v[136:137], v[134:135] op_sel:[0,1]
	s_delay_alu instid0(VALU_DEP_1) | instskip(SKIP_1) | instid1(VALU_DEP_1)
	v_pk_fma_f32 v[142:143], v[136:137], v[132:133], v[140:141] op_sel:[0,0,1] op_sel_hi:[1,1,0] neg_lo:[0,0,1] neg_hi:[0,0,1]
	v_pk_fma_f32 v[136:137], v[136:137], v[132:133], v[140:141] op_sel:[0,0,1] op_sel_hi:[1,0,0]
	v_mov_b32_e32 v143, v137
	v_pk_mul_f32 v[136:137], v[138:139], v[134:135] op_sel:[0,1]
	s_delay_alu instid0(VALU_DEP_1) | instskip(SKIP_1) | instid1(VALU_DEP_1)
	v_pk_fma_f32 v[140:141], v[138:139], v[132:133], v[136:137] op_sel:[0,0,1] op_sel_hi:[1,1,0] neg_lo:[0,0,1] neg_hi:[0,0,1]
	v_pk_fma_f32 v[136:137], v[138:139], v[132:133], v[136:137] op_sel:[0,0,1] op_sel_hi:[1,0,0]
	v_mov_b32_e32 v141, v137
	ds_load_2addr_b64 v[136:139], v178 offset0:13 offset1:14
	v_pk_add_f32 v[36:37], v[36:37], v[142:143] neg_lo:[0,1] neg_hi:[0,1]
	v_pk_add_f32 v[62:63], v[62:63], v[140:141] neg_lo:[0,1] neg_hi:[0,1]
	s_wait_dscnt 0x0
	v_pk_mul_f32 v[140:141], v[136:137], v[134:135] op_sel:[0,1]
	s_delay_alu instid0(VALU_DEP_1) | instskip(SKIP_1) | instid1(VALU_DEP_1)
	v_pk_fma_f32 v[142:143], v[136:137], v[132:133], v[140:141] op_sel:[0,0,1] op_sel_hi:[1,1,0] neg_lo:[0,0,1] neg_hi:[0,0,1]
	v_pk_fma_f32 v[136:137], v[136:137], v[132:133], v[140:141] op_sel:[0,0,1] op_sel_hi:[1,0,0]
	v_mov_b32_e32 v143, v137
	v_pk_mul_f32 v[136:137], v[138:139], v[134:135] op_sel:[0,1]
	s_delay_alu instid0(VALU_DEP_1) | instskip(SKIP_1) | instid1(VALU_DEP_1)
	v_pk_fma_f32 v[140:141], v[138:139], v[132:133], v[136:137] op_sel:[0,0,1] op_sel_hi:[1,1,0] neg_lo:[0,0,1] neg_hi:[0,0,1]
	v_pk_fma_f32 v[136:137], v[138:139], v[132:133], v[136:137] op_sel:[0,0,1] op_sel_hi:[1,0,0]
	v_mov_b32_e32 v141, v137
	ds_load_2addr_b64 v[136:139], v178 offset0:15 offset1:16
	v_pk_add_f32 v[88:89], v[88:89], v[142:143] neg_lo:[0,1] neg_hi:[0,1]
	v_pk_add_f32 v[108:109], v[108:109], v[140:141] neg_lo:[0,1] neg_hi:[0,1]
	s_wait_dscnt 0x0
	v_dual_mul_f32 v140, v137, v135 :: v_dual_mul_f32 v142, v137, v132
	s_delay_alu instid0(VALU_DEP_1) | instskip(NEXT) | instid1(VALU_DEP_2)
	v_pk_fma_f32 v[140:141], v[136:137], v[26:27], v[140:141] op_sel_hi:[1,1,0] neg_lo:[0,0,1] neg_hi:[0,0,1]
	v_pk_fma_f32 v[136:137], v[136:137], v[26:27], v[142:143] op_sel:[1,0,0] op_sel_hi:[0,1,0]
	s_delay_alu instid0(VALU_DEP_1) | instskip(SKIP_1) | instid1(VALU_DEP_2)
	v_mov_b32_e32 v141, v137
	v_pk_mul_f32 v[136:137], v[138:139], v[134:135] op_sel:[0,1]
	v_pk_add_f32 v[60:61], v[60:61], v[140:141] neg_lo:[0,1] neg_hi:[0,1]
	s_delay_alu instid0(VALU_DEP_2) | instskip(SKIP_1) | instid1(VALU_DEP_1)
	v_pk_fma_f32 v[140:141], v[138:139], v[132:133], v[136:137] op_sel:[0,0,1] op_sel_hi:[1,1,0] neg_lo:[0,0,1] neg_hi:[0,0,1]
	v_pk_fma_f32 v[136:137], v[138:139], v[132:133], v[136:137] op_sel:[0,0,1] op_sel_hi:[1,0,0]
	v_mov_b32_e32 v141, v137
	ds_load_2addr_b64 v[136:139], v178 offset0:17 offset1:18
	v_pk_add_f32 v[84:85], v[84:85], v[140:141] neg_lo:[0,1] neg_hi:[0,1]
	s_wait_dscnt 0x0
	v_pk_mul_f32 v[140:141], v[136:137], v[134:135] op_sel:[0,1]
	s_delay_alu instid0(VALU_DEP_1) | instskip(SKIP_1) | instid1(VALU_DEP_1)
	v_pk_fma_f32 v[142:143], v[136:137], v[132:133], v[140:141] op_sel:[0,0,1] op_sel_hi:[1,1,0] neg_lo:[0,0,1] neg_hi:[0,0,1]
	v_pk_fma_f32 v[136:137], v[136:137], v[132:133], v[140:141] op_sel:[0,0,1] op_sel_hi:[1,0,0]
	v_mov_b32_e32 v143, v137
	v_pk_mul_f32 v[136:137], v[138:139], v[134:135] op_sel:[0,1]
	s_delay_alu instid0(VALU_DEP_2) | instskip(NEXT) | instid1(VALU_DEP_2)
	v_pk_add_f32 v[80:81], v[80:81], v[142:143] neg_lo:[0,1] neg_hi:[0,1]
	v_pk_fma_f32 v[140:141], v[138:139], v[132:133], v[136:137] op_sel:[0,0,1] op_sel_hi:[1,1,0] neg_lo:[0,0,1] neg_hi:[0,0,1]
	v_pk_fma_f32 v[136:137], v[138:139], v[132:133], v[136:137] op_sel:[0,0,1] op_sel_hi:[1,0,0]
	s_delay_alu instid0(VALU_DEP_1) | instskip(SKIP_4) | instid1(VALU_DEP_1)
	v_mov_b32_e32 v141, v137
	ds_load_2addr_b64 v[136:139], v178 offset0:19 offset1:20
	v_pk_add_f32 v[82:83], v[82:83], v[140:141] neg_lo:[0,1] neg_hi:[0,1]
	s_wait_dscnt 0x0
	v_pk_mul_f32 v[140:141], v[136:137], v[134:135] op_sel:[0,1]
	v_pk_fma_f32 v[142:143], v[136:137], v[132:133], v[140:141] op_sel:[0,0,1] op_sel_hi:[1,1,0] neg_lo:[0,0,1] neg_hi:[0,0,1]
	v_pk_fma_f32 v[136:137], v[136:137], v[132:133], v[140:141] op_sel:[0,0,1] op_sel_hi:[1,0,0]
	v_dual_mul_f32 v140, v139, v135 :: v_dual_mov_b32 v136, v139
	s_delay_alu instid0(VALU_DEP_2) | instskip(NEXT) | instid1(VALU_DEP_2)
	v_dual_mov_b32 v143, v137 :: v_dual_mov_b32 v137, v138
	v_pk_fma_f32 v[140:141], v[138:139], v[26:27], v[140:141] op_sel_hi:[1,1,0] neg_lo:[0,0,1] neg_hi:[0,0,1]
	v_mul_f32_e32 v138, v139, v132
	s_delay_alu instid0(VALU_DEP_3) | instskip(NEXT) | instid1(VALU_DEP_2)
	v_pk_add_f32 v[78:79], v[78:79], v[142:143] neg_lo:[0,1] neg_hi:[0,1]
	v_pk_fma_f32 v[136:137], v[136:137], v[26:27], v[138:139] op_sel_hi:[1,1,0]
	s_delay_alu instid0(VALU_DEP_1) | instskip(SKIP_4) | instid1(VALU_DEP_1)
	v_mov_b32_e32 v141, v137
	ds_load_2addr_b64 v[136:139], v178 offset0:21 offset1:22
	v_pk_add_f32 v[106:107], v[106:107], v[140:141] neg_lo:[0,1] neg_hi:[0,1]
	s_wait_dscnt 0x0
	v_pk_mul_f32 v[140:141], v[136:137], v[134:135] op_sel:[0,1]
	v_pk_fma_f32 v[142:143], v[136:137], v[132:133], v[140:141] op_sel:[0,0,1] op_sel_hi:[1,1,0] neg_lo:[0,0,1] neg_hi:[0,0,1]
	v_pk_fma_f32 v[136:137], v[136:137], v[132:133], v[140:141] op_sel:[0,0,1] op_sel_hi:[1,0,0]
	s_delay_alu instid0(VALU_DEP_1) | instskip(SKIP_1) | instid1(VALU_DEP_1)
	v_mov_b32_e32 v143, v137
	v_pk_mul_f32 v[136:137], v[138:139], v[134:135] op_sel:[0,1]
	v_pk_fma_f32 v[140:141], v[138:139], v[132:133], v[136:137] op_sel:[0,0,1] op_sel_hi:[1,1,0] neg_lo:[0,0,1] neg_hi:[0,0,1]
	v_pk_fma_f32 v[136:137], v[138:139], v[132:133], v[136:137] op_sel:[0,0,1] op_sel_hi:[1,0,0]
	s_delay_alu instid0(VALU_DEP_1)
	v_mov_b32_e32 v141, v137
	ds_load_2addr_b64 v[136:139], v178 offset0:23 offset1:24
	v_pk_add_f32 v[100:101], v[100:101], v[142:143] neg_lo:[0,1] neg_hi:[0,1]
	v_pk_add_f32 v[104:105], v[104:105], v[140:141] neg_lo:[0,1] neg_hi:[0,1]
	s_wait_dscnt 0x0
	v_pk_mul_f32 v[140:141], v[136:137], v[134:135] op_sel:[0,1]
	s_delay_alu instid0(VALU_DEP_1) | instskip(SKIP_1) | instid1(VALU_DEP_1)
	v_pk_fma_f32 v[142:143], v[136:137], v[132:133], v[140:141] op_sel:[0,0,1] op_sel_hi:[1,1,0] neg_lo:[0,0,1] neg_hi:[0,0,1]
	v_pk_fma_f32 v[136:137], v[136:137], v[132:133], v[140:141] op_sel:[0,0,1] op_sel_hi:[1,0,0]
	v_mov_b32_e32 v143, v137
	v_pk_mul_f32 v[136:137], v[138:139], v[134:135] op_sel:[0,1]
	s_delay_alu instid0(VALU_DEP_1) | instskip(SKIP_1) | instid1(VALU_DEP_1)
	v_pk_fma_f32 v[140:141], v[138:139], v[132:133], v[136:137] op_sel:[0,0,1] op_sel_hi:[1,1,0] neg_lo:[0,0,1] neg_hi:[0,0,1]
	v_pk_fma_f32 v[136:137], v[138:139], v[132:133], v[136:137] op_sel:[0,0,1] op_sel_hi:[1,0,0]
	v_mov_b32_e32 v141, v137
	ds_load_2addr_b64 v[136:139], v178 offset0:25 offset1:26
	v_pk_add_f32 v[98:99], v[98:99], v[142:143] neg_lo:[0,1] neg_hi:[0,1]
	v_pk_add_f32 v[102:103], v[102:103], v[140:141] neg_lo:[0,1] neg_hi:[0,1]
	s_wait_dscnt 0x0
	v_dual_mul_f32 v140, v137, v135 :: v_dual_mul_f32 v142, v137, v132
	s_delay_alu instid0(VALU_DEP_1) | instskip(NEXT) | instid1(VALU_DEP_2)
	v_pk_fma_f32 v[140:141], v[136:137], v[26:27], v[140:141] op_sel_hi:[1,1,0] neg_lo:[0,0,1] neg_hi:[0,0,1]
	v_pk_fma_f32 v[136:137], v[136:137], v[26:27], v[142:143] op_sel:[1,0,0] op_sel_hi:[0,1,0]
	s_delay_alu instid0(VALU_DEP_1) | instskip(SKIP_1) | instid1(VALU_DEP_2)
	v_mov_b32_e32 v141, v137
	v_pk_mul_f32 v[136:137], v[138:139], v[134:135] op_sel:[0,1]
	v_pk_add_f32 v[114:115], v[114:115], v[140:141] neg_lo:[0,1] neg_hi:[0,1]
	s_delay_alu instid0(VALU_DEP_2) | instskip(SKIP_1) | instid1(VALU_DEP_1)
	v_pk_fma_f32 v[140:141], v[138:139], v[132:133], v[136:137] op_sel:[0,0,1] op_sel_hi:[1,1,0] neg_lo:[0,0,1] neg_hi:[0,0,1]
	v_pk_fma_f32 v[136:137], v[138:139], v[132:133], v[136:137] op_sel:[0,0,1] op_sel_hi:[1,0,0]
	v_mov_b32_e32 v141, v137
	ds_load_2addr_b64 v[136:139], v178 offset0:27 offset1:28
	v_pk_add_f32 v[112:113], v[112:113], v[140:141] neg_lo:[0,1] neg_hi:[0,1]
	s_wait_dscnt 0x0
	v_pk_mul_f32 v[140:141], v[136:137], v[134:135] op_sel:[0,1]
	v_pk_mul_f32 v[134:135], v[138:139], v[134:135] op_sel:[0,1]
	s_delay_alu instid0(VALU_DEP_2) | instskip(SKIP_1) | instid1(VALU_DEP_1)
	v_pk_fma_f32 v[142:143], v[136:137], v[132:133], v[140:141] op_sel:[0,0,1] op_sel_hi:[1,1,0] neg_lo:[0,0,1] neg_hi:[0,0,1]
	v_pk_fma_f32 v[136:137], v[136:137], v[132:133], v[140:141] op_sel:[0,0,1] op_sel_hi:[1,0,0]
	v_mov_b32_e32 v143, v137
	s_delay_alu instid0(VALU_DEP_4) | instskip(SKIP_1) | instid1(VALU_DEP_3)
	v_pk_fma_f32 v[136:137], v[138:139], v[132:133], v[134:135] op_sel:[0,0,1] op_sel_hi:[1,1,0] neg_lo:[0,0,1] neg_hi:[0,0,1]
	v_pk_fma_f32 v[132:133], v[138:139], v[132:133], v[134:135] op_sel:[0,0,1] op_sel_hi:[1,0,0]
	v_pk_add_f32 v[110:111], v[110:111], v[142:143] neg_lo:[0,1] neg_hi:[0,1]
	s_delay_alu instid0(VALU_DEP_2) | instskip(NEXT) | instid1(VALU_DEP_1)
	v_mov_b32_e32 v137, v133
	v_pk_add_f32 v[116:117], v[116:117], v[136:137] neg_lo:[0,1] neg_hi:[0,1]
.LBB57_64:
	s_or_b32 exec_lo, exec_lo, s1
	s_delay_alu instid0(SALU_CYCLE_1)
	s_mov_b32 s2, exec_lo
	s_wait_dscnt 0x0
	s_barrier_signal -1
	s_barrier_wait -1
	v_cmpx_eq_u32_e32 7, v176
	s_cbranch_execz .LBB57_71
; %bb.65:
	v_dual_mov_b32 v132, v42 :: v_dual_mov_b32 v133, v43
	v_dual_mov_b32 v134, v38 :: v_dual_mov_b32 v135, v39
	v_dual_mov_b32 v136, v40 :: v_dual_mov_b32 v137, v41
	v_dual_mov_b32 v138, v36 :: v_dual_mov_b32 v139, v37
	v_dual_mov_b32 v140, v62 :: v_dual_mov_b32 v141, v63
	v_dual_mov_b32 v142, v88 :: v_dual_mov_b32 v143, v89
	v_dual_mov_b32 v144, v108 :: v_dual_mov_b32 v145, v109
	v_dual_mov_b32 v146, v60 :: v_dual_mov_b32 v147, v61
	ds_store_b64 v177, v[22:23]
	ds_store_2addr_b64 v178, v[132:133], v[134:135] offset0:8 offset1:9
	ds_store_2addr_b64 v178, v[136:137], v[138:139] offset0:10 offset1:11
	;; [unrolled: 1-line block ×4, first 2 shown]
	v_dual_mov_b32 v132, v84 :: v_dual_mov_b32 v133, v85
	v_dual_mov_b32 v134, v80 :: v_dual_mov_b32 v135, v81
	;; [unrolled: 1-line block ×12, first 2 shown]
	ds_store_2addr_b64 v178, v[132:133], v[134:135] offset0:16 offset1:17
	ds_store_2addr_b64 v178, v[136:137], v[138:139] offset0:18 offset1:19
	;; [unrolled: 1-line block ×6, first 2 shown]
	ds_store_b64 v178, v[116:117] offset:224
	ds_load_b64 v[132:133], v177
	s_wait_dscnt 0x0
	v_cmp_neq_f32_e32 vcc_lo, 0, v132
	v_cmp_neq_f32_e64 s1, 0, v133
	s_or_b32 s1, vcc_lo, s1
	s_delay_alu instid0(SALU_CYCLE_1)
	s_and_b32 exec_lo, exec_lo, s1
	s_cbranch_execz .LBB57_71
; %bb.66:
	v_cmp_ngt_f32_e64 s1, |v132|, |v133|
                                        ; implicit-def: $vgpr134_vgpr135
	s_and_saveexec_b32 s4, s1
	s_delay_alu instid0(SALU_CYCLE_1)
	s_xor_b32 s1, exec_lo, s4
	s_cbranch_execz .LBB57_68
; %bb.67:
	v_div_scale_f32 v134, null, v133, v133, v132
	v_div_scale_f32 v137, vcc_lo, v132, v133, v132
	s_delay_alu instid0(VALU_DEP_2) | instskip(SKIP_1) | instid1(TRANS32_DEP_1)
	v_rcp_f32_e32 v135, v134
	v_nop
	v_fma_f32 v136, -v134, v135, 1.0
	s_delay_alu instid0(VALU_DEP_1) | instskip(NEXT) | instid1(VALU_DEP_1)
	v_fmac_f32_e32 v135, v136, v135
	v_mul_f32_e32 v136, v137, v135
	s_delay_alu instid0(VALU_DEP_1) | instskip(NEXT) | instid1(VALU_DEP_1)
	v_fma_f32 v138, -v134, v136, v137
	v_fmac_f32_e32 v136, v138, v135
	s_delay_alu instid0(VALU_DEP_1) | instskip(NEXT) | instid1(VALU_DEP_1)
	v_fma_f32 v134, -v134, v136, v137
	v_div_fmas_f32 v134, v134, v135, v136
	s_delay_alu instid0(VALU_DEP_1) | instskip(NEXT) | instid1(VALU_DEP_1)
	v_div_fixup_f32 v134, v134, v133, v132
	v_fmac_f32_e32 v133, v132, v134
	s_delay_alu instid0(VALU_DEP_1) | instskip(SKIP_1) | instid1(VALU_DEP_2)
	v_div_scale_f32 v132, null, v133, v133, 1.0
	v_div_scale_f32 v137, vcc_lo, 1.0, v133, 1.0
	v_rcp_f32_e32 v135, v132
	v_nop
	s_delay_alu instid0(TRANS32_DEP_1) | instskip(NEXT) | instid1(VALU_DEP_1)
	v_fma_f32 v136, -v132, v135, 1.0
	v_fmac_f32_e32 v135, v136, v135
	s_delay_alu instid0(VALU_DEP_1) | instskip(NEXT) | instid1(VALU_DEP_1)
	v_mul_f32_e32 v136, v137, v135
	v_fma_f32 v138, -v132, v136, v137
	s_delay_alu instid0(VALU_DEP_1) | instskip(NEXT) | instid1(VALU_DEP_1)
	v_fmac_f32_e32 v136, v138, v135
	v_fma_f32 v132, -v132, v136, v137
	s_delay_alu instid0(VALU_DEP_1) | instskip(NEXT) | instid1(VALU_DEP_1)
	v_div_fmas_f32 v132, v132, v135, v136
	v_div_fixup_f32 v132, v132, v133, 1.0
	s_delay_alu instid0(VALU_DEP_1)
	v_mul_f32_e32 v134, v134, v132
	v_xor_b32_e32 v135, 0x80000000, v132
                                        ; implicit-def: $vgpr132_vgpr133
.LBB57_68:
	s_and_not1_saveexec_b32 s1, s1
	s_cbranch_execz .LBB57_70
; %bb.69:
	v_div_scale_f32 v134, null, v132, v132, v133
	v_div_scale_f32 v137, vcc_lo, v133, v132, v133
	s_delay_alu instid0(VALU_DEP_2) | instskip(SKIP_1) | instid1(TRANS32_DEP_1)
	v_rcp_f32_e32 v135, v134
	v_nop
	v_fma_f32 v136, -v134, v135, 1.0
	s_delay_alu instid0(VALU_DEP_1) | instskip(NEXT) | instid1(VALU_DEP_1)
	v_fmac_f32_e32 v135, v136, v135
	v_mul_f32_e32 v136, v137, v135
	s_delay_alu instid0(VALU_DEP_1) | instskip(NEXT) | instid1(VALU_DEP_1)
	v_fma_f32 v138, -v134, v136, v137
	v_fmac_f32_e32 v136, v138, v135
	s_delay_alu instid0(VALU_DEP_1) | instskip(NEXT) | instid1(VALU_DEP_1)
	v_fma_f32 v134, -v134, v136, v137
	v_div_fmas_f32 v134, v134, v135, v136
	s_delay_alu instid0(VALU_DEP_1) | instskip(NEXT) | instid1(VALU_DEP_1)
	v_div_fixup_f32 v135, v134, v132, v133
	v_fmac_f32_e32 v132, v133, v135
	s_delay_alu instid0(VALU_DEP_1) | instskip(NEXT) | instid1(VALU_DEP_1)
	v_div_scale_f32 v133, null, v132, v132, 1.0
	v_rcp_f32_e32 v134, v133
	v_nop
	s_delay_alu instid0(TRANS32_DEP_1) | instskip(NEXT) | instid1(VALU_DEP_1)
	v_fma_f32 v136, -v133, v134, 1.0
	v_fmac_f32_e32 v134, v136, v134
	v_div_scale_f32 v136, vcc_lo, 1.0, v132, 1.0
	s_delay_alu instid0(VALU_DEP_1) | instskip(NEXT) | instid1(VALU_DEP_1)
	v_mul_f32_e32 v137, v136, v134
	v_fma_f32 v138, -v133, v137, v136
	s_delay_alu instid0(VALU_DEP_1) | instskip(NEXT) | instid1(VALU_DEP_1)
	v_fmac_f32_e32 v137, v138, v134
	v_fma_f32 v133, -v133, v137, v136
	s_delay_alu instid0(VALU_DEP_1) | instskip(NEXT) | instid1(VALU_DEP_1)
	v_div_fmas_f32 v133, v133, v134, v137
	v_div_fixup_f32 v134, v133, v132, 1.0
	s_delay_alu instid0(VALU_DEP_1)
	v_mul_f32_e64 v135, v135, -v134
.LBB57_70:
	s_or_b32 exec_lo, exec_lo, s1
	ds_store_b64 v177, v[134:135]
.LBB57_71:
	s_or_b32 exec_lo, exec_lo, s2
	s_wait_dscnt 0x0
	s_barrier_signal -1
	s_barrier_wait -1
	ds_load_b64 v[132:133], v177
	s_mov_b32 s1, exec_lo
	v_cmpx_lt_u32_e32 7, v176
	s_cbranch_execz .LBB57_73
; %bb.72:
	ds_load_2addr_b64 v[138:141], v178 offset0:8 offset1:9
	s_wait_dscnt 0x1
	v_pk_mul_f32 v[136:137], v[132:133], v[22:23] op_sel:[1,1] op_sel_hi:[0,1]
	s_delay_alu instid0(VALU_DEP_1) | instskip(SKIP_1) | instid1(VALU_DEP_1)
	v_pk_fma_f32 v[134:135], v[132:133], v[22:23], v[136:137] op_sel_hi:[1,0,1] neg_lo:[0,0,1] neg_hi:[0,0,1]
	v_pk_fma_f32 v[136:137], v[132:133], v[22:23], v[136:137] op_sel_hi:[1,0,1]
	v_dual_mov_b32 v22, v134 :: v_dual_mov_b32 v23, v137
	s_wait_dscnt 0x0
	s_delay_alu instid0(VALU_DEP_2) | instskip(NEXT) | instid1(VALU_DEP_1)
	v_pk_mul_f32 v[142:143], v[138:139], v[136:137] op_sel:[0,1]
	v_pk_fma_f32 v[144:145], v[138:139], v[134:135], v[142:143] op_sel:[0,0,1] op_sel_hi:[1,1,0] neg_lo:[0,0,1] neg_hi:[0,0,1]
	v_pk_fma_f32 v[138:139], v[138:139], v[134:135], v[142:143] op_sel:[0,0,1] op_sel_hi:[1,0,0]
	s_delay_alu instid0(VALU_DEP_1) | instskip(SKIP_1) | instid1(VALU_DEP_1)
	v_mov_b32_e32 v145, v139
	v_pk_mul_f32 v[138:139], v[140:141], v[136:137] op_sel:[0,1]
	v_pk_fma_f32 v[142:143], v[140:141], v[134:135], v[138:139] op_sel:[0,0,1] op_sel_hi:[1,1,0] neg_lo:[0,0,1] neg_hi:[0,0,1]
	v_pk_fma_f32 v[138:139], v[140:141], v[134:135], v[138:139] op_sel:[0,0,1] op_sel_hi:[1,0,0]
	s_delay_alu instid0(VALU_DEP_1)
	v_mov_b32_e32 v143, v139
	ds_load_2addr_b64 v[138:141], v178 offset0:10 offset1:11
	v_pk_add_f32 v[42:43], v[42:43], v[144:145] neg_lo:[0,1] neg_hi:[0,1]
	v_pk_add_f32 v[38:39], v[38:39], v[142:143] neg_lo:[0,1] neg_hi:[0,1]
	s_wait_dscnt 0x0
	v_pk_mul_f32 v[142:143], v[138:139], v[136:137] op_sel:[0,1]
	s_delay_alu instid0(VALU_DEP_1) | instskip(SKIP_2) | instid1(VALU_DEP_2)
	v_pk_fma_f32 v[144:145], v[138:139], v[134:135], v[142:143] op_sel:[0,0,1] op_sel_hi:[1,1,0] neg_lo:[0,0,1] neg_hi:[0,0,1]
	v_pk_fma_f32 v[138:139], v[138:139], v[134:135], v[142:143] op_sel:[0,0,1] op_sel_hi:[1,0,0]
	v_dual_mul_f32 v142, v141, v137 :: v_dual_mov_b32 v138, v141
	v_dual_mov_b32 v145, v139 :: v_dual_mov_b32 v139, v140
	s_delay_alu instid0(VALU_DEP_2) | instskip(SKIP_1) | instid1(VALU_DEP_3)
	v_pk_fma_f32 v[142:143], v[140:141], v[22:23], v[142:143] op_sel_hi:[1,1,0] neg_lo:[0,0,1] neg_hi:[0,0,1]
	v_mul_f32_e32 v140, v141, v134
	v_pk_add_f32 v[40:41], v[40:41], v[144:145] neg_lo:[0,1] neg_hi:[0,1]
	s_delay_alu instid0(VALU_DEP_2) | instskip(NEXT) | instid1(VALU_DEP_1)
	v_pk_fma_f32 v[138:139], v[138:139], v[22:23], v[140:141] op_sel_hi:[1,1,0]
	v_mov_b32_e32 v143, v139
	ds_load_2addr_b64 v[138:141], v178 offset0:12 offset1:13
	v_pk_add_f32 v[36:37], v[36:37], v[142:143] neg_lo:[0,1] neg_hi:[0,1]
	s_wait_dscnt 0x0
	v_pk_mul_f32 v[142:143], v[138:139], v[136:137] op_sel:[0,1]
	s_delay_alu instid0(VALU_DEP_1) | instskip(SKIP_1) | instid1(VALU_DEP_1)
	v_pk_fma_f32 v[144:145], v[138:139], v[134:135], v[142:143] op_sel:[0,0,1] op_sel_hi:[1,1,0] neg_lo:[0,0,1] neg_hi:[0,0,1]
	v_pk_fma_f32 v[138:139], v[138:139], v[134:135], v[142:143] op_sel:[0,0,1] op_sel_hi:[1,0,0]
	v_mov_b32_e32 v145, v139
	v_pk_mul_f32 v[138:139], v[140:141], v[136:137] op_sel:[0,1]
	s_delay_alu instid0(VALU_DEP_1) | instskip(SKIP_1) | instid1(VALU_DEP_1)
	v_pk_fma_f32 v[142:143], v[140:141], v[134:135], v[138:139] op_sel:[0,0,1] op_sel_hi:[1,1,0] neg_lo:[0,0,1] neg_hi:[0,0,1]
	v_pk_fma_f32 v[138:139], v[140:141], v[134:135], v[138:139] op_sel:[0,0,1] op_sel_hi:[1,0,0]
	v_mov_b32_e32 v143, v139
	ds_load_2addr_b64 v[138:141], v178 offset0:14 offset1:15
	v_pk_add_f32 v[62:63], v[62:63], v[144:145] neg_lo:[0,1] neg_hi:[0,1]
	v_pk_add_f32 v[88:89], v[88:89], v[142:143] neg_lo:[0,1] neg_hi:[0,1]
	s_wait_dscnt 0x0
	v_pk_mul_f32 v[142:143], v[138:139], v[136:137] op_sel:[0,1]
	s_delay_alu instid0(VALU_DEP_1) | instskip(SKIP_1) | instid1(VALU_DEP_1)
	v_pk_fma_f32 v[144:145], v[138:139], v[134:135], v[142:143] op_sel:[0,0,1] op_sel_hi:[1,1,0] neg_lo:[0,0,1] neg_hi:[0,0,1]
	v_pk_fma_f32 v[138:139], v[138:139], v[134:135], v[142:143] op_sel:[0,0,1] op_sel_hi:[1,0,0]
	v_mov_b32_e32 v145, v139
	v_pk_mul_f32 v[138:139], v[140:141], v[136:137] op_sel:[0,1]
	s_delay_alu instid0(VALU_DEP_1) | instskip(SKIP_1) | instid1(VALU_DEP_1)
	v_pk_fma_f32 v[142:143], v[140:141], v[134:135], v[138:139] op_sel:[0,0,1] op_sel_hi:[1,1,0] neg_lo:[0,0,1] neg_hi:[0,0,1]
	v_pk_fma_f32 v[138:139], v[140:141], v[134:135], v[138:139] op_sel:[0,0,1] op_sel_hi:[1,0,0]
	v_mov_b32_e32 v143, v139
	ds_load_2addr_b64 v[138:141], v178 offset0:16 offset1:17
	v_pk_add_f32 v[108:109], v[108:109], v[144:145] neg_lo:[0,1] neg_hi:[0,1]
	v_pk_add_f32 v[60:61], v[60:61], v[142:143] neg_lo:[0,1] neg_hi:[0,1]
	s_wait_dscnt 0x0
	v_dual_mul_f32 v142, v139, v137 :: v_dual_mul_f32 v144, v139, v134
	s_delay_alu instid0(VALU_DEP_1) | instskip(NEXT) | instid1(VALU_DEP_2)
	v_pk_fma_f32 v[142:143], v[138:139], v[22:23], v[142:143] op_sel_hi:[1,1,0] neg_lo:[0,0,1] neg_hi:[0,0,1]
	v_pk_fma_f32 v[138:139], v[138:139], v[22:23], v[144:145] op_sel:[1,0,0] op_sel_hi:[0,1,0]
	s_delay_alu instid0(VALU_DEP_1) | instskip(SKIP_1) | instid1(VALU_DEP_2)
	v_mov_b32_e32 v143, v139
	v_pk_mul_f32 v[138:139], v[140:141], v[136:137] op_sel:[0,1]
	v_pk_add_f32 v[84:85], v[84:85], v[142:143] neg_lo:[0,1] neg_hi:[0,1]
	s_delay_alu instid0(VALU_DEP_2) | instskip(SKIP_1) | instid1(VALU_DEP_1)
	v_pk_fma_f32 v[142:143], v[140:141], v[134:135], v[138:139] op_sel:[0,0,1] op_sel_hi:[1,1,0] neg_lo:[0,0,1] neg_hi:[0,0,1]
	v_pk_fma_f32 v[138:139], v[140:141], v[134:135], v[138:139] op_sel:[0,0,1] op_sel_hi:[1,0,0]
	v_mov_b32_e32 v143, v139
	ds_load_2addr_b64 v[138:141], v178 offset0:18 offset1:19
	v_pk_add_f32 v[80:81], v[80:81], v[142:143] neg_lo:[0,1] neg_hi:[0,1]
	s_wait_dscnt 0x0
	v_pk_mul_f32 v[142:143], v[138:139], v[136:137] op_sel:[0,1]
	s_delay_alu instid0(VALU_DEP_1) | instskip(SKIP_1) | instid1(VALU_DEP_1)
	v_pk_fma_f32 v[144:145], v[138:139], v[134:135], v[142:143] op_sel:[0,0,1] op_sel_hi:[1,1,0] neg_lo:[0,0,1] neg_hi:[0,0,1]
	v_pk_fma_f32 v[138:139], v[138:139], v[134:135], v[142:143] op_sel:[0,0,1] op_sel_hi:[1,0,0]
	v_mov_b32_e32 v145, v139
	v_pk_mul_f32 v[138:139], v[140:141], v[136:137] op_sel:[0,1]
	s_delay_alu instid0(VALU_DEP_2) | instskip(NEXT) | instid1(VALU_DEP_2)
	v_pk_add_f32 v[82:83], v[82:83], v[144:145] neg_lo:[0,1] neg_hi:[0,1]
	v_pk_fma_f32 v[142:143], v[140:141], v[134:135], v[138:139] op_sel:[0,0,1] op_sel_hi:[1,1,0] neg_lo:[0,0,1] neg_hi:[0,0,1]
	v_pk_fma_f32 v[138:139], v[140:141], v[134:135], v[138:139] op_sel:[0,0,1] op_sel_hi:[1,0,0]
	s_delay_alu instid0(VALU_DEP_1) | instskip(SKIP_4) | instid1(VALU_DEP_1)
	v_mov_b32_e32 v143, v139
	ds_load_2addr_b64 v[138:141], v178 offset0:20 offset1:21
	v_pk_add_f32 v[78:79], v[78:79], v[142:143] neg_lo:[0,1] neg_hi:[0,1]
	s_wait_dscnt 0x0
	v_pk_mul_f32 v[142:143], v[138:139], v[136:137] op_sel:[0,1]
	v_pk_fma_f32 v[144:145], v[138:139], v[134:135], v[142:143] op_sel:[0,0,1] op_sel_hi:[1,1,0] neg_lo:[0,0,1] neg_hi:[0,0,1]
	v_pk_fma_f32 v[138:139], v[138:139], v[134:135], v[142:143] op_sel:[0,0,1] op_sel_hi:[1,0,0]
	v_dual_mul_f32 v142, v141, v137 :: v_dual_mov_b32 v138, v141
	s_delay_alu instid0(VALU_DEP_2) | instskip(NEXT) | instid1(VALU_DEP_2)
	v_dual_mov_b32 v145, v139 :: v_dual_mov_b32 v139, v140
	v_pk_fma_f32 v[142:143], v[140:141], v[22:23], v[142:143] op_sel_hi:[1,1,0] neg_lo:[0,0,1] neg_hi:[0,0,1]
	v_mul_f32_e32 v140, v141, v134
	s_delay_alu instid0(VALU_DEP_3) | instskip(NEXT) | instid1(VALU_DEP_2)
	v_pk_add_f32 v[106:107], v[106:107], v[144:145] neg_lo:[0,1] neg_hi:[0,1]
	v_pk_fma_f32 v[138:139], v[138:139], v[22:23], v[140:141] op_sel_hi:[1,1,0]
	s_delay_alu instid0(VALU_DEP_1) | instskip(SKIP_4) | instid1(VALU_DEP_1)
	v_mov_b32_e32 v143, v139
	ds_load_2addr_b64 v[138:141], v178 offset0:22 offset1:23
	v_pk_add_f32 v[100:101], v[100:101], v[142:143] neg_lo:[0,1] neg_hi:[0,1]
	s_wait_dscnt 0x0
	v_pk_mul_f32 v[142:143], v[138:139], v[136:137] op_sel:[0,1]
	v_pk_fma_f32 v[144:145], v[138:139], v[134:135], v[142:143] op_sel:[0,0,1] op_sel_hi:[1,1,0] neg_lo:[0,0,1] neg_hi:[0,0,1]
	v_pk_fma_f32 v[138:139], v[138:139], v[134:135], v[142:143] op_sel:[0,0,1] op_sel_hi:[1,0,0]
	s_delay_alu instid0(VALU_DEP_1) | instskip(SKIP_1) | instid1(VALU_DEP_1)
	v_mov_b32_e32 v145, v139
	v_pk_mul_f32 v[138:139], v[140:141], v[136:137] op_sel:[0,1]
	v_pk_fma_f32 v[142:143], v[140:141], v[134:135], v[138:139] op_sel:[0,0,1] op_sel_hi:[1,1,0] neg_lo:[0,0,1] neg_hi:[0,0,1]
	v_pk_fma_f32 v[138:139], v[140:141], v[134:135], v[138:139] op_sel:[0,0,1] op_sel_hi:[1,0,0]
	s_delay_alu instid0(VALU_DEP_1)
	v_mov_b32_e32 v143, v139
	ds_load_2addr_b64 v[138:141], v178 offset0:24 offset1:25
	v_pk_add_f32 v[104:105], v[104:105], v[144:145] neg_lo:[0,1] neg_hi:[0,1]
	v_pk_add_f32 v[98:99], v[98:99], v[142:143] neg_lo:[0,1] neg_hi:[0,1]
	s_wait_dscnt 0x0
	v_pk_mul_f32 v[142:143], v[138:139], v[136:137] op_sel:[0,1]
	s_delay_alu instid0(VALU_DEP_1) | instskip(SKIP_1) | instid1(VALU_DEP_1)
	v_pk_fma_f32 v[144:145], v[138:139], v[134:135], v[142:143] op_sel:[0,0,1] op_sel_hi:[1,1,0] neg_lo:[0,0,1] neg_hi:[0,0,1]
	v_pk_fma_f32 v[138:139], v[138:139], v[134:135], v[142:143] op_sel:[0,0,1] op_sel_hi:[1,0,0]
	v_mov_b32_e32 v145, v139
	v_pk_mul_f32 v[138:139], v[140:141], v[136:137] op_sel:[0,1]
	s_delay_alu instid0(VALU_DEP_1) | instskip(SKIP_1) | instid1(VALU_DEP_1)
	v_pk_fma_f32 v[142:143], v[140:141], v[134:135], v[138:139] op_sel:[0,0,1] op_sel_hi:[1,1,0] neg_lo:[0,0,1] neg_hi:[0,0,1]
	v_pk_fma_f32 v[138:139], v[140:141], v[134:135], v[138:139] op_sel:[0,0,1] op_sel_hi:[1,0,0]
	v_mov_b32_e32 v143, v139
	ds_load_2addr_b64 v[138:141], v178 offset0:26 offset1:27
	v_pk_add_f32 v[102:103], v[102:103], v[144:145] neg_lo:[0,1] neg_hi:[0,1]
	v_pk_add_f32 v[114:115], v[114:115], v[142:143] neg_lo:[0,1] neg_hi:[0,1]
	s_wait_dscnt 0x0
	v_dual_mul_f32 v142, v139, v137 :: v_dual_mul_f32 v144, v139, v134
	s_delay_alu instid0(VALU_DEP_1) | instskip(NEXT) | instid1(VALU_DEP_2)
	v_pk_fma_f32 v[142:143], v[138:139], v[22:23], v[142:143] op_sel_hi:[1,1,0] neg_lo:[0,0,1] neg_hi:[0,0,1]
	v_pk_fma_f32 v[138:139], v[138:139], v[22:23], v[144:145] op_sel:[1,0,0] op_sel_hi:[0,1,0]
	s_delay_alu instid0(VALU_DEP_1) | instskip(SKIP_1) | instid1(VALU_DEP_2)
	v_mov_b32_e32 v143, v139
	v_pk_mul_f32 v[138:139], v[140:141], v[136:137] op_sel:[0,1]
	v_pk_add_f32 v[112:113], v[112:113], v[142:143] neg_lo:[0,1] neg_hi:[0,1]
	s_delay_alu instid0(VALU_DEP_2) | instskip(SKIP_1) | instid1(VALU_DEP_1)
	v_pk_fma_f32 v[142:143], v[140:141], v[134:135], v[138:139] op_sel:[0,0,1] op_sel_hi:[1,1,0] neg_lo:[0,0,1] neg_hi:[0,0,1]
	v_pk_fma_f32 v[138:139], v[140:141], v[134:135], v[138:139] op_sel:[0,0,1] op_sel_hi:[1,0,0]
	v_mov_b32_e32 v143, v139
	ds_load_b64 v[138:139], v178 offset:224
	v_pk_add_f32 v[110:111], v[110:111], v[142:143] neg_lo:[0,1] neg_hi:[0,1]
	s_wait_dscnt 0x0
	v_pk_mul_f32 v[136:137], v[138:139], v[136:137] op_sel:[0,1]
	s_delay_alu instid0(VALU_DEP_1) | instskip(SKIP_1) | instid1(VALU_DEP_1)
	v_pk_fma_f32 v[140:141], v[138:139], v[134:135], v[136:137] op_sel:[0,0,1] op_sel_hi:[1,1,0] neg_lo:[0,0,1] neg_hi:[0,0,1]
	v_pk_fma_f32 v[134:135], v[138:139], v[134:135], v[136:137] op_sel:[0,0,1] op_sel_hi:[1,0,0]
	v_mov_b32_e32 v141, v135
	s_delay_alu instid0(VALU_DEP_1)
	v_pk_add_f32 v[116:117], v[116:117], v[140:141] neg_lo:[0,1] neg_hi:[0,1]
.LBB57_73:
	s_or_b32 exec_lo, exec_lo, s1
	s_delay_alu instid0(SALU_CYCLE_1)
	s_mov_b32 s2, exec_lo
	s_wait_dscnt 0x0
	s_barrier_signal -1
	s_barrier_wait -1
	v_cmpx_eq_u32_e32 8, v176
	s_cbranch_execz .LBB57_80
; %bb.74:
	ds_store_b64 v177, v[42:43]
	ds_store_2addr_b64 v178, v[38:39], v[40:41] offset0:9 offset1:10
	ds_store_2addr_b64 v178, v[36:37], v[62:63] offset0:11 offset1:12
	;; [unrolled: 1-line block ×10, first 2 shown]
	ds_load_b64 v[134:135], v177
	s_wait_dscnt 0x0
	v_cmp_neq_f32_e32 vcc_lo, 0, v134
	v_cmp_neq_f32_e64 s1, 0, v135
	s_or_b32 s1, vcc_lo, s1
	s_delay_alu instid0(SALU_CYCLE_1)
	s_and_b32 exec_lo, exec_lo, s1
	s_cbranch_execz .LBB57_80
; %bb.75:
	v_cmp_ngt_f32_e64 s1, |v134|, |v135|
                                        ; implicit-def: $vgpr136_vgpr137
	s_and_saveexec_b32 s4, s1
	s_delay_alu instid0(SALU_CYCLE_1)
	s_xor_b32 s1, exec_lo, s4
	s_cbranch_execz .LBB57_77
; %bb.76:
	v_div_scale_f32 v136, null, v135, v135, v134
	v_div_scale_f32 v139, vcc_lo, v134, v135, v134
	s_delay_alu instid0(VALU_DEP_2) | instskip(SKIP_1) | instid1(TRANS32_DEP_1)
	v_rcp_f32_e32 v137, v136
	v_nop
	v_fma_f32 v138, -v136, v137, 1.0
	s_delay_alu instid0(VALU_DEP_1) | instskip(NEXT) | instid1(VALU_DEP_1)
	v_fmac_f32_e32 v137, v138, v137
	v_mul_f32_e32 v138, v139, v137
	s_delay_alu instid0(VALU_DEP_1) | instskip(NEXT) | instid1(VALU_DEP_1)
	v_fma_f32 v140, -v136, v138, v139
	v_fmac_f32_e32 v138, v140, v137
	s_delay_alu instid0(VALU_DEP_1) | instskip(NEXT) | instid1(VALU_DEP_1)
	v_fma_f32 v136, -v136, v138, v139
	v_div_fmas_f32 v136, v136, v137, v138
	s_delay_alu instid0(VALU_DEP_1) | instskip(NEXT) | instid1(VALU_DEP_1)
	v_div_fixup_f32 v136, v136, v135, v134
	v_fmac_f32_e32 v135, v134, v136
	s_delay_alu instid0(VALU_DEP_1) | instskip(SKIP_1) | instid1(VALU_DEP_2)
	v_div_scale_f32 v134, null, v135, v135, 1.0
	v_div_scale_f32 v139, vcc_lo, 1.0, v135, 1.0
	v_rcp_f32_e32 v137, v134
	v_nop
	s_delay_alu instid0(TRANS32_DEP_1) | instskip(NEXT) | instid1(VALU_DEP_1)
	v_fma_f32 v138, -v134, v137, 1.0
	v_fmac_f32_e32 v137, v138, v137
	s_delay_alu instid0(VALU_DEP_1) | instskip(NEXT) | instid1(VALU_DEP_1)
	v_mul_f32_e32 v138, v139, v137
	v_fma_f32 v140, -v134, v138, v139
	s_delay_alu instid0(VALU_DEP_1) | instskip(NEXT) | instid1(VALU_DEP_1)
	v_fmac_f32_e32 v138, v140, v137
	v_fma_f32 v134, -v134, v138, v139
	s_delay_alu instid0(VALU_DEP_1) | instskip(NEXT) | instid1(VALU_DEP_1)
	v_div_fmas_f32 v134, v134, v137, v138
	v_div_fixup_f32 v134, v134, v135, 1.0
	s_delay_alu instid0(VALU_DEP_1)
	v_mul_f32_e32 v136, v136, v134
	v_xor_b32_e32 v137, 0x80000000, v134
                                        ; implicit-def: $vgpr134_vgpr135
.LBB57_77:
	s_and_not1_saveexec_b32 s1, s1
	s_cbranch_execz .LBB57_79
; %bb.78:
	v_div_scale_f32 v136, null, v134, v134, v135
	v_div_scale_f32 v139, vcc_lo, v135, v134, v135
	s_delay_alu instid0(VALU_DEP_2) | instskip(SKIP_1) | instid1(TRANS32_DEP_1)
	v_rcp_f32_e32 v137, v136
	v_nop
	v_fma_f32 v138, -v136, v137, 1.0
	s_delay_alu instid0(VALU_DEP_1) | instskip(NEXT) | instid1(VALU_DEP_1)
	v_fmac_f32_e32 v137, v138, v137
	v_mul_f32_e32 v138, v139, v137
	s_delay_alu instid0(VALU_DEP_1) | instskip(NEXT) | instid1(VALU_DEP_1)
	v_fma_f32 v140, -v136, v138, v139
	v_fmac_f32_e32 v138, v140, v137
	s_delay_alu instid0(VALU_DEP_1) | instskip(NEXT) | instid1(VALU_DEP_1)
	v_fma_f32 v136, -v136, v138, v139
	v_div_fmas_f32 v136, v136, v137, v138
	s_delay_alu instid0(VALU_DEP_1) | instskip(NEXT) | instid1(VALU_DEP_1)
	v_div_fixup_f32 v137, v136, v134, v135
	v_fmac_f32_e32 v134, v135, v137
	s_delay_alu instid0(VALU_DEP_1) | instskip(NEXT) | instid1(VALU_DEP_1)
	v_div_scale_f32 v135, null, v134, v134, 1.0
	v_rcp_f32_e32 v136, v135
	v_nop
	s_delay_alu instid0(TRANS32_DEP_1) | instskip(NEXT) | instid1(VALU_DEP_1)
	v_fma_f32 v138, -v135, v136, 1.0
	v_fmac_f32_e32 v136, v138, v136
	v_div_scale_f32 v138, vcc_lo, 1.0, v134, 1.0
	s_delay_alu instid0(VALU_DEP_1) | instskip(NEXT) | instid1(VALU_DEP_1)
	v_mul_f32_e32 v139, v138, v136
	v_fma_f32 v140, -v135, v139, v138
	s_delay_alu instid0(VALU_DEP_1) | instskip(NEXT) | instid1(VALU_DEP_1)
	v_fmac_f32_e32 v139, v140, v136
	v_fma_f32 v135, -v135, v139, v138
	s_delay_alu instid0(VALU_DEP_1) | instskip(NEXT) | instid1(VALU_DEP_1)
	v_div_fmas_f32 v135, v135, v136, v139
	v_div_fixup_f32 v136, v135, v134, 1.0
	s_delay_alu instid0(VALU_DEP_1)
	v_mul_f32_e64 v137, v137, -v136
.LBB57_79:
	s_or_b32 exec_lo, exec_lo, s1
	ds_store_b64 v177, v[136:137]
.LBB57_80:
	s_or_b32 exec_lo, exec_lo, s2
	s_wait_dscnt 0x0
	s_barrier_signal -1
	s_barrier_wait -1
	ds_load_b64 v[134:135], v177
	s_mov_b32 s1, exec_lo
	v_cmpx_lt_u32_e32 8, v176
	s_cbranch_execz .LBB57_82
; %bb.81:
	ds_load_2addr_b64 v[140:143], v178 offset0:9 offset1:10
	s_wait_dscnt 0x1
	v_pk_mul_f32 v[138:139], v[134:135], v[42:43] op_sel:[1,1] op_sel_hi:[0,1]
	s_delay_alu instid0(VALU_DEP_1) | instskip(SKIP_1) | instid1(VALU_DEP_1)
	v_pk_fma_f32 v[136:137], v[134:135], v[42:43], v[138:139] op_sel_hi:[1,0,1] neg_lo:[0,0,1] neg_hi:[0,0,1]
	v_pk_fma_f32 v[138:139], v[134:135], v[42:43], v[138:139] op_sel_hi:[1,0,1]
	v_dual_mov_b32 v42, v136 :: v_dual_mov_b32 v43, v139
	s_wait_dscnt 0x0
	s_delay_alu instid0(VALU_DEP_2) | instskip(NEXT) | instid1(VALU_DEP_1)
	v_pk_mul_f32 v[144:145], v[140:141], v[138:139] op_sel:[0,1]
	v_pk_fma_f32 v[146:147], v[140:141], v[136:137], v[144:145] op_sel:[0,0,1] op_sel_hi:[1,1,0] neg_lo:[0,0,1] neg_hi:[0,0,1]
	v_pk_fma_f32 v[140:141], v[140:141], v[136:137], v[144:145] op_sel:[0,0,1] op_sel_hi:[1,0,0]
	s_delay_alu instid0(VALU_DEP_1) | instskip(SKIP_1) | instid1(VALU_DEP_1)
	v_mov_b32_e32 v147, v141
	v_pk_mul_f32 v[140:141], v[142:143], v[138:139] op_sel:[0,1]
	v_pk_fma_f32 v[144:145], v[142:143], v[136:137], v[140:141] op_sel:[0,0,1] op_sel_hi:[1,1,0] neg_lo:[0,0,1] neg_hi:[0,0,1]
	v_pk_fma_f32 v[140:141], v[142:143], v[136:137], v[140:141] op_sel:[0,0,1] op_sel_hi:[1,0,0]
	s_delay_alu instid0(VALU_DEP_1)
	v_mov_b32_e32 v145, v141
	ds_load_2addr_b64 v[140:143], v178 offset0:11 offset1:12
	v_pk_add_f32 v[38:39], v[38:39], v[146:147] neg_lo:[0,1] neg_hi:[0,1]
	v_pk_add_f32 v[40:41], v[40:41], v[144:145] neg_lo:[0,1] neg_hi:[0,1]
	s_wait_dscnt 0x0
	v_pk_mul_f32 v[144:145], v[140:141], v[138:139] op_sel:[0,1]
	s_delay_alu instid0(VALU_DEP_1) | instskip(SKIP_2) | instid1(VALU_DEP_2)
	v_pk_fma_f32 v[146:147], v[140:141], v[136:137], v[144:145] op_sel:[0,0,1] op_sel_hi:[1,1,0] neg_lo:[0,0,1] neg_hi:[0,0,1]
	v_pk_fma_f32 v[140:141], v[140:141], v[136:137], v[144:145] op_sel:[0,0,1] op_sel_hi:[1,0,0]
	v_dual_mul_f32 v144, v143, v139 :: v_dual_mov_b32 v140, v143
	v_dual_mov_b32 v147, v141 :: v_dual_mov_b32 v141, v142
	s_delay_alu instid0(VALU_DEP_2) | instskip(SKIP_1) | instid1(VALU_DEP_3)
	v_pk_fma_f32 v[144:145], v[142:143], v[42:43], v[144:145] op_sel_hi:[1,1,0] neg_lo:[0,0,1] neg_hi:[0,0,1]
	v_mul_f32_e32 v142, v143, v136
	v_pk_add_f32 v[36:37], v[36:37], v[146:147] neg_lo:[0,1] neg_hi:[0,1]
	s_delay_alu instid0(VALU_DEP_2) | instskip(NEXT) | instid1(VALU_DEP_1)
	v_pk_fma_f32 v[140:141], v[140:141], v[42:43], v[142:143] op_sel_hi:[1,1,0]
	v_mov_b32_e32 v145, v141
	ds_load_2addr_b64 v[140:143], v178 offset0:13 offset1:14
	v_pk_add_f32 v[62:63], v[62:63], v[144:145] neg_lo:[0,1] neg_hi:[0,1]
	s_wait_dscnt 0x0
	v_pk_mul_f32 v[144:145], v[140:141], v[138:139] op_sel:[0,1]
	s_delay_alu instid0(VALU_DEP_1) | instskip(SKIP_1) | instid1(VALU_DEP_1)
	v_pk_fma_f32 v[146:147], v[140:141], v[136:137], v[144:145] op_sel:[0,0,1] op_sel_hi:[1,1,0] neg_lo:[0,0,1] neg_hi:[0,0,1]
	v_pk_fma_f32 v[140:141], v[140:141], v[136:137], v[144:145] op_sel:[0,0,1] op_sel_hi:[1,0,0]
	v_mov_b32_e32 v147, v141
	v_pk_mul_f32 v[140:141], v[142:143], v[138:139] op_sel:[0,1]
	s_delay_alu instid0(VALU_DEP_1) | instskip(SKIP_1) | instid1(VALU_DEP_1)
	v_pk_fma_f32 v[144:145], v[142:143], v[136:137], v[140:141] op_sel:[0,0,1] op_sel_hi:[1,1,0] neg_lo:[0,0,1] neg_hi:[0,0,1]
	v_pk_fma_f32 v[140:141], v[142:143], v[136:137], v[140:141] op_sel:[0,0,1] op_sel_hi:[1,0,0]
	v_mov_b32_e32 v145, v141
	ds_load_2addr_b64 v[140:143], v178 offset0:15 offset1:16
	v_pk_add_f32 v[88:89], v[88:89], v[146:147] neg_lo:[0,1] neg_hi:[0,1]
	v_pk_add_f32 v[108:109], v[108:109], v[144:145] neg_lo:[0,1] neg_hi:[0,1]
	s_wait_dscnt 0x0
	v_pk_mul_f32 v[144:145], v[140:141], v[138:139] op_sel:[0,1]
	s_delay_alu instid0(VALU_DEP_1) | instskip(SKIP_1) | instid1(VALU_DEP_1)
	v_pk_fma_f32 v[146:147], v[140:141], v[136:137], v[144:145] op_sel:[0,0,1] op_sel_hi:[1,1,0] neg_lo:[0,0,1] neg_hi:[0,0,1]
	v_pk_fma_f32 v[140:141], v[140:141], v[136:137], v[144:145] op_sel:[0,0,1] op_sel_hi:[1,0,0]
	v_mov_b32_e32 v147, v141
	v_pk_mul_f32 v[140:141], v[142:143], v[138:139] op_sel:[0,1]
	s_delay_alu instid0(VALU_DEP_1) | instskip(SKIP_1) | instid1(VALU_DEP_1)
	v_pk_fma_f32 v[144:145], v[142:143], v[136:137], v[140:141] op_sel:[0,0,1] op_sel_hi:[1,1,0] neg_lo:[0,0,1] neg_hi:[0,0,1]
	v_pk_fma_f32 v[140:141], v[142:143], v[136:137], v[140:141] op_sel:[0,0,1] op_sel_hi:[1,0,0]
	v_mov_b32_e32 v145, v141
	ds_load_2addr_b64 v[140:143], v178 offset0:17 offset1:18
	v_pk_add_f32 v[60:61], v[60:61], v[146:147] neg_lo:[0,1] neg_hi:[0,1]
	v_pk_add_f32 v[84:85], v[84:85], v[144:145] neg_lo:[0,1] neg_hi:[0,1]
	s_wait_dscnt 0x0
	v_dual_mul_f32 v144, v141, v139 :: v_dual_mul_f32 v146, v141, v136
	s_delay_alu instid0(VALU_DEP_1) | instskip(NEXT) | instid1(VALU_DEP_2)
	v_pk_fma_f32 v[144:145], v[140:141], v[42:43], v[144:145] op_sel_hi:[1,1,0] neg_lo:[0,0,1] neg_hi:[0,0,1]
	v_pk_fma_f32 v[140:141], v[140:141], v[42:43], v[146:147] op_sel:[1,0,0] op_sel_hi:[0,1,0]
	s_delay_alu instid0(VALU_DEP_1) | instskip(SKIP_1) | instid1(VALU_DEP_2)
	v_mov_b32_e32 v145, v141
	v_pk_mul_f32 v[140:141], v[142:143], v[138:139] op_sel:[0,1]
	v_pk_add_f32 v[80:81], v[80:81], v[144:145] neg_lo:[0,1] neg_hi:[0,1]
	s_delay_alu instid0(VALU_DEP_2) | instskip(SKIP_1) | instid1(VALU_DEP_1)
	v_pk_fma_f32 v[144:145], v[142:143], v[136:137], v[140:141] op_sel:[0,0,1] op_sel_hi:[1,1,0] neg_lo:[0,0,1] neg_hi:[0,0,1]
	v_pk_fma_f32 v[140:141], v[142:143], v[136:137], v[140:141] op_sel:[0,0,1] op_sel_hi:[1,0,0]
	v_mov_b32_e32 v145, v141
	ds_load_2addr_b64 v[140:143], v178 offset0:19 offset1:20
	v_pk_add_f32 v[82:83], v[82:83], v[144:145] neg_lo:[0,1] neg_hi:[0,1]
	s_wait_dscnt 0x0
	v_pk_mul_f32 v[144:145], v[140:141], v[138:139] op_sel:[0,1]
	s_delay_alu instid0(VALU_DEP_1) | instskip(SKIP_1) | instid1(VALU_DEP_1)
	v_pk_fma_f32 v[146:147], v[140:141], v[136:137], v[144:145] op_sel:[0,0,1] op_sel_hi:[1,1,0] neg_lo:[0,0,1] neg_hi:[0,0,1]
	v_pk_fma_f32 v[140:141], v[140:141], v[136:137], v[144:145] op_sel:[0,0,1] op_sel_hi:[1,0,0]
	v_mov_b32_e32 v147, v141
	v_pk_mul_f32 v[140:141], v[142:143], v[138:139] op_sel:[0,1]
	s_delay_alu instid0(VALU_DEP_2) | instskip(NEXT) | instid1(VALU_DEP_2)
	v_pk_add_f32 v[78:79], v[78:79], v[146:147] neg_lo:[0,1] neg_hi:[0,1]
	v_pk_fma_f32 v[144:145], v[142:143], v[136:137], v[140:141] op_sel:[0,0,1] op_sel_hi:[1,1,0] neg_lo:[0,0,1] neg_hi:[0,0,1]
	v_pk_fma_f32 v[140:141], v[142:143], v[136:137], v[140:141] op_sel:[0,0,1] op_sel_hi:[1,0,0]
	s_delay_alu instid0(VALU_DEP_1) | instskip(SKIP_4) | instid1(VALU_DEP_1)
	v_mov_b32_e32 v145, v141
	ds_load_2addr_b64 v[140:143], v178 offset0:21 offset1:22
	v_pk_add_f32 v[106:107], v[106:107], v[144:145] neg_lo:[0,1] neg_hi:[0,1]
	s_wait_dscnt 0x0
	v_pk_mul_f32 v[144:145], v[140:141], v[138:139] op_sel:[0,1]
	v_pk_fma_f32 v[146:147], v[140:141], v[136:137], v[144:145] op_sel:[0,0,1] op_sel_hi:[1,1,0] neg_lo:[0,0,1] neg_hi:[0,0,1]
	v_pk_fma_f32 v[140:141], v[140:141], v[136:137], v[144:145] op_sel:[0,0,1] op_sel_hi:[1,0,0]
	v_dual_mul_f32 v144, v143, v139 :: v_dual_mov_b32 v140, v143
	s_delay_alu instid0(VALU_DEP_2) | instskip(NEXT) | instid1(VALU_DEP_2)
	v_dual_mov_b32 v147, v141 :: v_dual_mov_b32 v141, v142
	v_pk_fma_f32 v[144:145], v[142:143], v[42:43], v[144:145] op_sel_hi:[1,1,0] neg_lo:[0,0,1] neg_hi:[0,0,1]
	v_mul_f32_e32 v142, v143, v136
	s_delay_alu instid0(VALU_DEP_3) | instskip(NEXT) | instid1(VALU_DEP_2)
	v_pk_add_f32 v[100:101], v[100:101], v[146:147] neg_lo:[0,1] neg_hi:[0,1]
	v_pk_fma_f32 v[140:141], v[140:141], v[42:43], v[142:143] op_sel_hi:[1,1,0]
	s_delay_alu instid0(VALU_DEP_1) | instskip(SKIP_4) | instid1(VALU_DEP_1)
	v_mov_b32_e32 v145, v141
	ds_load_2addr_b64 v[140:143], v178 offset0:23 offset1:24
	v_pk_add_f32 v[104:105], v[104:105], v[144:145] neg_lo:[0,1] neg_hi:[0,1]
	s_wait_dscnt 0x0
	v_pk_mul_f32 v[144:145], v[140:141], v[138:139] op_sel:[0,1]
	v_pk_fma_f32 v[146:147], v[140:141], v[136:137], v[144:145] op_sel:[0,0,1] op_sel_hi:[1,1,0] neg_lo:[0,0,1] neg_hi:[0,0,1]
	v_pk_fma_f32 v[140:141], v[140:141], v[136:137], v[144:145] op_sel:[0,0,1] op_sel_hi:[1,0,0]
	s_delay_alu instid0(VALU_DEP_1) | instskip(SKIP_1) | instid1(VALU_DEP_1)
	v_mov_b32_e32 v147, v141
	v_pk_mul_f32 v[140:141], v[142:143], v[138:139] op_sel:[0,1]
	v_pk_fma_f32 v[144:145], v[142:143], v[136:137], v[140:141] op_sel:[0,0,1] op_sel_hi:[1,1,0] neg_lo:[0,0,1] neg_hi:[0,0,1]
	v_pk_fma_f32 v[140:141], v[142:143], v[136:137], v[140:141] op_sel:[0,0,1] op_sel_hi:[1,0,0]
	s_delay_alu instid0(VALU_DEP_1)
	v_mov_b32_e32 v145, v141
	ds_load_2addr_b64 v[140:143], v178 offset0:25 offset1:26
	v_pk_add_f32 v[98:99], v[98:99], v[146:147] neg_lo:[0,1] neg_hi:[0,1]
	v_pk_add_f32 v[102:103], v[102:103], v[144:145] neg_lo:[0,1] neg_hi:[0,1]
	s_wait_dscnt 0x0
	v_pk_mul_f32 v[144:145], v[140:141], v[138:139] op_sel:[0,1]
	s_delay_alu instid0(VALU_DEP_1) | instskip(SKIP_1) | instid1(VALU_DEP_1)
	v_pk_fma_f32 v[146:147], v[140:141], v[136:137], v[144:145] op_sel:[0,0,1] op_sel_hi:[1,1,0] neg_lo:[0,0,1] neg_hi:[0,0,1]
	v_pk_fma_f32 v[140:141], v[140:141], v[136:137], v[144:145] op_sel:[0,0,1] op_sel_hi:[1,0,0]
	v_mov_b32_e32 v147, v141
	v_pk_mul_f32 v[140:141], v[142:143], v[138:139] op_sel:[0,1]
	s_delay_alu instid0(VALU_DEP_1) | instskip(SKIP_1) | instid1(VALU_DEP_1)
	v_pk_fma_f32 v[144:145], v[142:143], v[136:137], v[140:141] op_sel:[0,0,1] op_sel_hi:[1,1,0] neg_lo:[0,0,1] neg_hi:[0,0,1]
	v_pk_fma_f32 v[140:141], v[142:143], v[136:137], v[140:141] op_sel:[0,0,1] op_sel_hi:[1,0,0]
	v_mov_b32_e32 v145, v141
	ds_load_2addr_b64 v[140:143], v178 offset0:27 offset1:28
	v_pk_add_f32 v[114:115], v[114:115], v[146:147] neg_lo:[0,1] neg_hi:[0,1]
	v_pk_add_f32 v[112:113], v[112:113], v[144:145] neg_lo:[0,1] neg_hi:[0,1]
	s_wait_dscnt 0x0
	v_dual_mul_f32 v144, v141, v139 :: v_dual_mul_f32 v146, v141, v136
	v_pk_mul_f32 v[138:139], v[142:143], v[138:139] op_sel:[0,1]
	s_delay_alu instid0(VALU_DEP_2) | instskip(NEXT) | instid1(VALU_DEP_3)
	v_pk_fma_f32 v[144:145], v[140:141], v[42:43], v[144:145] op_sel_hi:[1,1,0] neg_lo:[0,0,1] neg_hi:[0,0,1]
	v_pk_fma_f32 v[140:141], v[140:141], v[42:43], v[146:147] op_sel:[1,0,0] op_sel_hi:[0,1,0]
	s_delay_alu instid0(VALU_DEP_1) | instskip(NEXT) | instid1(VALU_DEP_4)
	v_mov_b32_e32 v145, v141
	v_pk_fma_f32 v[140:141], v[142:143], v[136:137], v[138:139] op_sel:[0,0,1] op_sel_hi:[1,1,0] neg_lo:[0,0,1] neg_hi:[0,0,1]
	v_pk_fma_f32 v[136:137], v[142:143], v[136:137], v[138:139] op_sel:[0,0,1] op_sel_hi:[1,0,0]
	s_delay_alu instid0(VALU_DEP_1) | instskip(NEXT) | instid1(VALU_DEP_4)
	v_mov_b32_e32 v141, v137
	v_pk_add_f32 v[110:111], v[110:111], v[144:145] neg_lo:[0,1] neg_hi:[0,1]
	s_delay_alu instid0(VALU_DEP_2)
	v_pk_add_f32 v[116:117], v[116:117], v[140:141] neg_lo:[0,1] neg_hi:[0,1]
.LBB57_82:
	s_or_b32 exec_lo, exec_lo, s1
	s_delay_alu instid0(SALU_CYCLE_1)
	s_mov_b32 s2, exec_lo
	s_wait_dscnt 0x0
	s_barrier_signal -1
	s_barrier_wait -1
	v_cmpx_eq_u32_e32 9, v176
	s_cbranch_execz .LBB57_89
; %bb.83:
	v_dual_mov_b32 v136, v40 :: v_dual_mov_b32 v137, v41
	v_dual_mov_b32 v138, v36 :: v_dual_mov_b32 v139, v37
	;; [unrolled: 1-line block ×8, first 2 shown]
	ds_store_b64 v177, v[38:39]
	ds_store_2addr_b64 v178, v[136:137], v[138:139] offset0:10 offset1:11
	ds_store_2addr_b64 v178, v[140:141], v[142:143] offset0:12 offset1:13
	;; [unrolled: 1-line block ×4, first 2 shown]
	v_dual_mov_b32 v136, v82 :: v_dual_mov_b32 v137, v83
	v_dual_mov_b32 v138, v78 :: v_dual_mov_b32 v139, v79
	;; [unrolled: 1-line block ×10, first 2 shown]
	ds_store_2addr_b64 v178, v[136:137], v[138:139] offset0:18 offset1:19
	ds_store_2addr_b64 v178, v[140:141], v[142:143] offset0:20 offset1:21
	;; [unrolled: 1-line block ×5, first 2 shown]
	ds_store_b64 v178, v[116:117] offset:224
	ds_load_b64 v[136:137], v177
	s_wait_dscnt 0x0
	v_cmp_neq_f32_e32 vcc_lo, 0, v136
	v_cmp_neq_f32_e64 s1, 0, v137
	s_or_b32 s1, vcc_lo, s1
	s_delay_alu instid0(SALU_CYCLE_1)
	s_and_b32 exec_lo, exec_lo, s1
	s_cbranch_execz .LBB57_89
; %bb.84:
	v_cmp_ngt_f32_e64 s1, |v136|, |v137|
                                        ; implicit-def: $vgpr138_vgpr139
	s_and_saveexec_b32 s4, s1
	s_delay_alu instid0(SALU_CYCLE_1)
	s_xor_b32 s1, exec_lo, s4
	s_cbranch_execz .LBB57_86
; %bb.85:
	v_div_scale_f32 v138, null, v137, v137, v136
	v_div_scale_f32 v141, vcc_lo, v136, v137, v136
	s_delay_alu instid0(VALU_DEP_2) | instskip(SKIP_1) | instid1(TRANS32_DEP_1)
	v_rcp_f32_e32 v139, v138
	v_nop
	v_fma_f32 v140, -v138, v139, 1.0
	s_delay_alu instid0(VALU_DEP_1) | instskip(NEXT) | instid1(VALU_DEP_1)
	v_fmac_f32_e32 v139, v140, v139
	v_mul_f32_e32 v140, v141, v139
	s_delay_alu instid0(VALU_DEP_1) | instskip(NEXT) | instid1(VALU_DEP_1)
	v_fma_f32 v142, -v138, v140, v141
	v_fmac_f32_e32 v140, v142, v139
	s_delay_alu instid0(VALU_DEP_1) | instskip(NEXT) | instid1(VALU_DEP_1)
	v_fma_f32 v138, -v138, v140, v141
	v_div_fmas_f32 v138, v138, v139, v140
	s_delay_alu instid0(VALU_DEP_1) | instskip(NEXT) | instid1(VALU_DEP_1)
	v_div_fixup_f32 v138, v138, v137, v136
	v_fmac_f32_e32 v137, v136, v138
	s_delay_alu instid0(VALU_DEP_1) | instskip(SKIP_1) | instid1(VALU_DEP_2)
	v_div_scale_f32 v136, null, v137, v137, 1.0
	v_div_scale_f32 v141, vcc_lo, 1.0, v137, 1.0
	v_rcp_f32_e32 v139, v136
	v_nop
	s_delay_alu instid0(TRANS32_DEP_1) | instskip(NEXT) | instid1(VALU_DEP_1)
	v_fma_f32 v140, -v136, v139, 1.0
	v_fmac_f32_e32 v139, v140, v139
	s_delay_alu instid0(VALU_DEP_1) | instskip(NEXT) | instid1(VALU_DEP_1)
	v_mul_f32_e32 v140, v141, v139
	v_fma_f32 v142, -v136, v140, v141
	s_delay_alu instid0(VALU_DEP_1) | instskip(NEXT) | instid1(VALU_DEP_1)
	v_fmac_f32_e32 v140, v142, v139
	v_fma_f32 v136, -v136, v140, v141
	s_delay_alu instid0(VALU_DEP_1) | instskip(NEXT) | instid1(VALU_DEP_1)
	v_div_fmas_f32 v136, v136, v139, v140
	v_div_fixup_f32 v136, v136, v137, 1.0
	s_delay_alu instid0(VALU_DEP_1)
	v_mul_f32_e32 v138, v138, v136
	v_xor_b32_e32 v139, 0x80000000, v136
                                        ; implicit-def: $vgpr136_vgpr137
.LBB57_86:
	s_and_not1_saveexec_b32 s1, s1
	s_cbranch_execz .LBB57_88
; %bb.87:
	v_div_scale_f32 v138, null, v136, v136, v137
	v_div_scale_f32 v141, vcc_lo, v137, v136, v137
	s_delay_alu instid0(VALU_DEP_2) | instskip(SKIP_1) | instid1(TRANS32_DEP_1)
	v_rcp_f32_e32 v139, v138
	v_nop
	v_fma_f32 v140, -v138, v139, 1.0
	s_delay_alu instid0(VALU_DEP_1) | instskip(NEXT) | instid1(VALU_DEP_1)
	v_fmac_f32_e32 v139, v140, v139
	v_mul_f32_e32 v140, v141, v139
	s_delay_alu instid0(VALU_DEP_1) | instskip(NEXT) | instid1(VALU_DEP_1)
	v_fma_f32 v142, -v138, v140, v141
	v_fmac_f32_e32 v140, v142, v139
	s_delay_alu instid0(VALU_DEP_1) | instskip(NEXT) | instid1(VALU_DEP_1)
	v_fma_f32 v138, -v138, v140, v141
	v_div_fmas_f32 v138, v138, v139, v140
	s_delay_alu instid0(VALU_DEP_1) | instskip(NEXT) | instid1(VALU_DEP_1)
	v_div_fixup_f32 v139, v138, v136, v137
	v_fmac_f32_e32 v136, v137, v139
	s_delay_alu instid0(VALU_DEP_1) | instskip(NEXT) | instid1(VALU_DEP_1)
	v_div_scale_f32 v137, null, v136, v136, 1.0
	v_rcp_f32_e32 v138, v137
	v_nop
	s_delay_alu instid0(TRANS32_DEP_1) | instskip(NEXT) | instid1(VALU_DEP_1)
	v_fma_f32 v140, -v137, v138, 1.0
	v_fmac_f32_e32 v138, v140, v138
	v_div_scale_f32 v140, vcc_lo, 1.0, v136, 1.0
	s_delay_alu instid0(VALU_DEP_1) | instskip(NEXT) | instid1(VALU_DEP_1)
	v_mul_f32_e32 v141, v140, v138
	v_fma_f32 v142, -v137, v141, v140
	s_delay_alu instid0(VALU_DEP_1) | instskip(NEXT) | instid1(VALU_DEP_1)
	v_fmac_f32_e32 v141, v142, v138
	v_fma_f32 v137, -v137, v141, v140
	s_delay_alu instid0(VALU_DEP_1) | instskip(NEXT) | instid1(VALU_DEP_1)
	v_div_fmas_f32 v137, v137, v138, v141
	v_div_fixup_f32 v138, v137, v136, 1.0
	s_delay_alu instid0(VALU_DEP_1)
	v_mul_f32_e64 v139, v139, -v138
.LBB57_88:
	s_or_b32 exec_lo, exec_lo, s1
	ds_store_b64 v177, v[138:139]
.LBB57_89:
	s_or_b32 exec_lo, exec_lo, s2
	s_wait_dscnt 0x0
	s_barrier_signal -1
	s_barrier_wait -1
	ds_load_b64 v[136:137], v177
	s_mov_b32 s1, exec_lo
	v_cmpx_lt_u32_e32 9, v176
	s_cbranch_execz .LBB57_91
; %bb.90:
	ds_load_2addr_b64 v[142:145], v178 offset0:10 offset1:11
	s_wait_dscnt 0x1
	v_pk_mul_f32 v[140:141], v[136:137], v[38:39] op_sel:[1,1] op_sel_hi:[0,1]
	s_delay_alu instid0(VALU_DEP_1) | instskip(SKIP_1) | instid1(VALU_DEP_1)
	v_pk_fma_f32 v[138:139], v[136:137], v[38:39], v[140:141] op_sel_hi:[1,0,1] neg_lo:[0,0,1] neg_hi:[0,0,1]
	v_pk_fma_f32 v[140:141], v[136:137], v[38:39], v[140:141] op_sel_hi:[1,0,1]
	v_dual_mov_b32 v38, v138 :: v_dual_mov_b32 v39, v141
	s_wait_dscnt 0x0
	s_delay_alu instid0(VALU_DEP_2) | instskip(NEXT) | instid1(VALU_DEP_1)
	v_pk_mul_f32 v[146:147], v[142:143], v[140:141] op_sel:[0,1]
	v_pk_fma_f32 v[148:149], v[142:143], v[138:139], v[146:147] op_sel:[0,0,1] op_sel_hi:[1,1,0] neg_lo:[0,0,1] neg_hi:[0,0,1]
	v_pk_fma_f32 v[142:143], v[142:143], v[138:139], v[146:147] op_sel:[0,0,1] op_sel_hi:[1,0,0]
	s_delay_alu instid0(VALU_DEP_1) | instskip(SKIP_1) | instid1(VALU_DEP_1)
	v_mov_b32_e32 v149, v143
	v_pk_mul_f32 v[142:143], v[144:145], v[140:141] op_sel:[0,1]
	v_pk_fma_f32 v[146:147], v[144:145], v[138:139], v[142:143] op_sel:[0,0,1] op_sel_hi:[1,1,0] neg_lo:[0,0,1] neg_hi:[0,0,1]
	v_pk_fma_f32 v[142:143], v[144:145], v[138:139], v[142:143] op_sel:[0,0,1] op_sel_hi:[1,0,0]
	s_delay_alu instid0(VALU_DEP_1)
	v_mov_b32_e32 v147, v143
	ds_load_2addr_b64 v[142:145], v178 offset0:12 offset1:13
	v_pk_add_f32 v[40:41], v[40:41], v[148:149] neg_lo:[0,1] neg_hi:[0,1]
	v_pk_add_f32 v[36:37], v[36:37], v[146:147] neg_lo:[0,1] neg_hi:[0,1]
	s_wait_dscnt 0x0
	v_pk_mul_f32 v[146:147], v[142:143], v[140:141] op_sel:[0,1]
	s_delay_alu instid0(VALU_DEP_1) | instskip(SKIP_2) | instid1(VALU_DEP_2)
	v_pk_fma_f32 v[148:149], v[142:143], v[138:139], v[146:147] op_sel:[0,0,1] op_sel_hi:[1,1,0] neg_lo:[0,0,1] neg_hi:[0,0,1]
	v_pk_fma_f32 v[142:143], v[142:143], v[138:139], v[146:147] op_sel:[0,0,1] op_sel_hi:[1,0,0]
	v_dual_mul_f32 v146, v145, v141 :: v_dual_mov_b32 v142, v145
	v_dual_mov_b32 v149, v143 :: v_dual_mov_b32 v143, v144
	s_delay_alu instid0(VALU_DEP_2) | instskip(SKIP_1) | instid1(VALU_DEP_3)
	v_pk_fma_f32 v[146:147], v[144:145], v[38:39], v[146:147] op_sel_hi:[1,1,0] neg_lo:[0,0,1] neg_hi:[0,0,1]
	v_mul_f32_e32 v144, v145, v138
	v_pk_add_f32 v[62:63], v[62:63], v[148:149] neg_lo:[0,1] neg_hi:[0,1]
	s_delay_alu instid0(VALU_DEP_2) | instskip(NEXT) | instid1(VALU_DEP_1)
	v_pk_fma_f32 v[142:143], v[142:143], v[38:39], v[144:145] op_sel_hi:[1,1,0]
	v_mov_b32_e32 v147, v143
	ds_load_2addr_b64 v[142:145], v178 offset0:14 offset1:15
	v_pk_add_f32 v[88:89], v[88:89], v[146:147] neg_lo:[0,1] neg_hi:[0,1]
	s_wait_dscnt 0x0
	v_pk_mul_f32 v[146:147], v[142:143], v[140:141] op_sel:[0,1]
	s_delay_alu instid0(VALU_DEP_1) | instskip(SKIP_1) | instid1(VALU_DEP_1)
	v_pk_fma_f32 v[148:149], v[142:143], v[138:139], v[146:147] op_sel:[0,0,1] op_sel_hi:[1,1,0] neg_lo:[0,0,1] neg_hi:[0,0,1]
	v_pk_fma_f32 v[142:143], v[142:143], v[138:139], v[146:147] op_sel:[0,0,1] op_sel_hi:[1,0,0]
	v_mov_b32_e32 v149, v143
	v_pk_mul_f32 v[142:143], v[144:145], v[140:141] op_sel:[0,1]
	s_delay_alu instid0(VALU_DEP_1) | instskip(SKIP_1) | instid1(VALU_DEP_1)
	v_pk_fma_f32 v[146:147], v[144:145], v[138:139], v[142:143] op_sel:[0,0,1] op_sel_hi:[1,1,0] neg_lo:[0,0,1] neg_hi:[0,0,1]
	v_pk_fma_f32 v[142:143], v[144:145], v[138:139], v[142:143] op_sel:[0,0,1] op_sel_hi:[1,0,0]
	v_mov_b32_e32 v147, v143
	ds_load_2addr_b64 v[142:145], v178 offset0:16 offset1:17
	v_pk_add_f32 v[108:109], v[108:109], v[148:149] neg_lo:[0,1] neg_hi:[0,1]
	v_pk_add_f32 v[60:61], v[60:61], v[146:147] neg_lo:[0,1] neg_hi:[0,1]
	s_wait_dscnt 0x0
	v_pk_mul_f32 v[146:147], v[142:143], v[140:141] op_sel:[0,1]
	s_delay_alu instid0(VALU_DEP_1) | instskip(SKIP_1) | instid1(VALU_DEP_1)
	v_pk_fma_f32 v[148:149], v[142:143], v[138:139], v[146:147] op_sel:[0,0,1] op_sel_hi:[1,1,0] neg_lo:[0,0,1] neg_hi:[0,0,1]
	v_pk_fma_f32 v[142:143], v[142:143], v[138:139], v[146:147] op_sel:[0,0,1] op_sel_hi:[1,0,0]
	v_mov_b32_e32 v149, v143
	v_pk_mul_f32 v[142:143], v[144:145], v[140:141] op_sel:[0,1]
	s_delay_alu instid0(VALU_DEP_1) | instskip(SKIP_1) | instid1(VALU_DEP_1)
	v_pk_fma_f32 v[146:147], v[144:145], v[138:139], v[142:143] op_sel:[0,0,1] op_sel_hi:[1,1,0] neg_lo:[0,0,1] neg_hi:[0,0,1]
	v_pk_fma_f32 v[142:143], v[144:145], v[138:139], v[142:143] op_sel:[0,0,1] op_sel_hi:[1,0,0]
	v_mov_b32_e32 v147, v143
	ds_load_2addr_b64 v[142:145], v178 offset0:18 offset1:19
	v_pk_add_f32 v[84:85], v[84:85], v[148:149] neg_lo:[0,1] neg_hi:[0,1]
	v_pk_add_f32 v[80:81], v[80:81], v[146:147] neg_lo:[0,1] neg_hi:[0,1]
	s_wait_dscnt 0x0
	v_dual_mul_f32 v146, v143, v141 :: v_dual_mul_f32 v148, v143, v138
	s_delay_alu instid0(VALU_DEP_1) | instskip(NEXT) | instid1(VALU_DEP_2)
	v_pk_fma_f32 v[146:147], v[142:143], v[38:39], v[146:147] op_sel_hi:[1,1,0] neg_lo:[0,0,1] neg_hi:[0,0,1]
	v_pk_fma_f32 v[142:143], v[142:143], v[38:39], v[148:149] op_sel:[1,0,0] op_sel_hi:[0,1,0]
	s_delay_alu instid0(VALU_DEP_1) | instskip(SKIP_1) | instid1(VALU_DEP_2)
	v_mov_b32_e32 v147, v143
	v_pk_mul_f32 v[142:143], v[144:145], v[140:141] op_sel:[0,1]
	v_pk_add_f32 v[82:83], v[82:83], v[146:147] neg_lo:[0,1] neg_hi:[0,1]
	s_delay_alu instid0(VALU_DEP_2) | instskip(SKIP_1) | instid1(VALU_DEP_1)
	v_pk_fma_f32 v[146:147], v[144:145], v[138:139], v[142:143] op_sel:[0,0,1] op_sel_hi:[1,1,0] neg_lo:[0,0,1] neg_hi:[0,0,1]
	v_pk_fma_f32 v[142:143], v[144:145], v[138:139], v[142:143] op_sel:[0,0,1] op_sel_hi:[1,0,0]
	v_mov_b32_e32 v147, v143
	ds_load_2addr_b64 v[142:145], v178 offset0:20 offset1:21
	v_pk_add_f32 v[78:79], v[78:79], v[146:147] neg_lo:[0,1] neg_hi:[0,1]
	s_wait_dscnt 0x0
	v_pk_mul_f32 v[146:147], v[142:143], v[140:141] op_sel:[0,1]
	s_delay_alu instid0(VALU_DEP_1) | instskip(SKIP_1) | instid1(VALU_DEP_1)
	v_pk_fma_f32 v[148:149], v[142:143], v[138:139], v[146:147] op_sel:[0,0,1] op_sel_hi:[1,1,0] neg_lo:[0,0,1] neg_hi:[0,0,1]
	v_pk_fma_f32 v[142:143], v[142:143], v[138:139], v[146:147] op_sel:[0,0,1] op_sel_hi:[1,0,0]
	v_mov_b32_e32 v149, v143
	v_pk_mul_f32 v[142:143], v[144:145], v[140:141] op_sel:[0,1]
	s_delay_alu instid0(VALU_DEP_2) | instskip(NEXT) | instid1(VALU_DEP_2)
	v_pk_add_f32 v[106:107], v[106:107], v[148:149] neg_lo:[0,1] neg_hi:[0,1]
	v_pk_fma_f32 v[146:147], v[144:145], v[138:139], v[142:143] op_sel:[0,0,1] op_sel_hi:[1,1,0] neg_lo:[0,0,1] neg_hi:[0,0,1]
	v_pk_fma_f32 v[142:143], v[144:145], v[138:139], v[142:143] op_sel:[0,0,1] op_sel_hi:[1,0,0]
	s_delay_alu instid0(VALU_DEP_1) | instskip(SKIP_4) | instid1(VALU_DEP_1)
	v_mov_b32_e32 v147, v143
	ds_load_2addr_b64 v[142:145], v178 offset0:22 offset1:23
	v_pk_add_f32 v[100:101], v[100:101], v[146:147] neg_lo:[0,1] neg_hi:[0,1]
	s_wait_dscnt 0x0
	v_pk_mul_f32 v[146:147], v[142:143], v[140:141] op_sel:[0,1]
	v_pk_fma_f32 v[148:149], v[142:143], v[138:139], v[146:147] op_sel:[0,0,1] op_sel_hi:[1,1,0] neg_lo:[0,0,1] neg_hi:[0,0,1]
	v_pk_fma_f32 v[142:143], v[142:143], v[138:139], v[146:147] op_sel:[0,0,1] op_sel_hi:[1,0,0]
	v_dual_mul_f32 v146, v145, v141 :: v_dual_mov_b32 v142, v145
	s_delay_alu instid0(VALU_DEP_2) | instskip(NEXT) | instid1(VALU_DEP_2)
	v_dual_mov_b32 v149, v143 :: v_dual_mov_b32 v143, v144
	v_pk_fma_f32 v[146:147], v[144:145], v[38:39], v[146:147] op_sel_hi:[1,1,0] neg_lo:[0,0,1] neg_hi:[0,0,1]
	v_mul_f32_e32 v144, v145, v138
	s_delay_alu instid0(VALU_DEP_3) | instskip(NEXT) | instid1(VALU_DEP_2)
	v_pk_add_f32 v[104:105], v[104:105], v[148:149] neg_lo:[0,1] neg_hi:[0,1]
	v_pk_fma_f32 v[142:143], v[142:143], v[38:39], v[144:145] op_sel_hi:[1,1,0]
	s_delay_alu instid0(VALU_DEP_1) | instskip(SKIP_4) | instid1(VALU_DEP_1)
	v_mov_b32_e32 v147, v143
	ds_load_2addr_b64 v[142:145], v178 offset0:24 offset1:25
	v_pk_add_f32 v[98:99], v[98:99], v[146:147] neg_lo:[0,1] neg_hi:[0,1]
	s_wait_dscnt 0x0
	v_pk_mul_f32 v[146:147], v[142:143], v[140:141] op_sel:[0,1]
	v_pk_fma_f32 v[148:149], v[142:143], v[138:139], v[146:147] op_sel:[0,0,1] op_sel_hi:[1,1,0] neg_lo:[0,0,1] neg_hi:[0,0,1]
	v_pk_fma_f32 v[142:143], v[142:143], v[138:139], v[146:147] op_sel:[0,0,1] op_sel_hi:[1,0,0]
	s_delay_alu instid0(VALU_DEP_1) | instskip(SKIP_1) | instid1(VALU_DEP_1)
	v_mov_b32_e32 v149, v143
	v_pk_mul_f32 v[142:143], v[144:145], v[140:141] op_sel:[0,1]
	v_pk_fma_f32 v[146:147], v[144:145], v[138:139], v[142:143] op_sel:[0,0,1] op_sel_hi:[1,1,0] neg_lo:[0,0,1] neg_hi:[0,0,1]
	v_pk_fma_f32 v[142:143], v[144:145], v[138:139], v[142:143] op_sel:[0,0,1] op_sel_hi:[1,0,0]
	s_delay_alu instid0(VALU_DEP_1)
	v_mov_b32_e32 v147, v143
	ds_load_2addr_b64 v[142:145], v178 offset0:26 offset1:27
	v_pk_add_f32 v[102:103], v[102:103], v[148:149] neg_lo:[0,1] neg_hi:[0,1]
	v_pk_add_f32 v[114:115], v[114:115], v[146:147] neg_lo:[0,1] neg_hi:[0,1]
	s_wait_dscnt 0x0
	v_pk_mul_f32 v[146:147], v[142:143], v[140:141] op_sel:[0,1]
	s_delay_alu instid0(VALU_DEP_1) | instskip(SKIP_1) | instid1(VALU_DEP_1)
	v_pk_fma_f32 v[148:149], v[142:143], v[138:139], v[146:147] op_sel:[0,0,1] op_sel_hi:[1,1,0] neg_lo:[0,0,1] neg_hi:[0,0,1]
	v_pk_fma_f32 v[142:143], v[142:143], v[138:139], v[146:147] op_sel:[0,0,1] op_sel_hi:[1,0,0]
	v_mov_b32_e32 v149, v143
	v_pk_mul_f32 v[142:143], v[144:145], v[140:141] op_sel:[0,1]
	s_delay_alu instid0(VALU_DEP_1) | instskip(SKIP_1) | instid1(VALU_DEP_1)
	v_pk_fma_f32 v[146:147], v[144:145], v[138:139], v[142:143] op_sel:[0,0,1] op_sel_hi:[1,1,0] neg_lo:[0,0,1] neg_hi:[0,0,1]
	v_pk_fma_f32 v[142:143], v[144:145], v[138:139], v[142:143] op_sel:[0,0,1] op_sel_hi:[1,0,0]
	v_mov_b32_e32 v147, v143
	ds_load_b64 v[142:143], v178 offset:224
	v_pk_add_f32 v[112:113], v[112:113], v[148:149] neg_lo:[0,1] neg_hi:[0,1]
	v_pk_add_f32 v[110:111], v[110:111], v[146:147] neg_lo:[0,1] neg_hi:[0,1]
	s_wait_dscnt 0x0
	v_pk_mul_f32 v[140:141], v[142:143], v[140:141] op_sel:[0,1]
	s_delay_alu instid0(VALU_DEP_1) | instskip(SKIP_1) | instid1(VALU_DEP_1)
	v_pk_fma_f32 v[144:145], v[142:143], v[138:139], v[140:141] op_sel:[0,0,1] op_sel_hi:[1,1,0] neg_lo:[0,0,1] neg_hi:[0,0,1]
	v_pk_fma_f32 v[138:139], v[142:143], v[138:139], v[140:141] op_sel:[0,0,1] op_sel_hi:[1,0,0]
	v_mov_b32_e32 v145, v139
	s_delay_alu instid0(VALU_DEP_1)
	v_pk_add_f32 v[116:117], v[116:117], v[144:145] neg_lo:[0,1] neg_hi:[0,1]
.LBB57_91:
	s_or_b32 exec_lo, exec_lo, s1
	s_delay_alu instid0(SALU_CYCLE_1)
	s_mov_b32 s2, exec_lo
	s_wait_dscnt 0x0
	s_barrier_signal -1
	s_barrier_wait -1
	v_cmpx_eq_u32_e32 10, v176
	s_cbranch_execz .LBB57_98
; %bb.92:
	ds_store_b64 v177, v[40:41]
	ds_store_2addr_b64 v178, v[36:37], v[62:63] offset0:11 offset1:12
	ds_store_2addr_b64 v178, v[88:89], v[108:109] offset0:13 offset1:14
	;; [unrolled: 1-line block ×9, first 2 shown]
	ds_load_b64 v[138:139], v177
	s_wait_dscnt 0x0
	v_cmp_neq_f32_e32 vcc_lo, 0, v138
	v_cmp_neq_f32_e64 s1, 0, v139
	s_or_b32 s1, vcc_lo, s1
	s_delay_alu instid0(SALU_CYCLE_1)
	s_and_b32 exec_lo, exec_lo, s1
	s_cbranch_execz .LBB57_98
; %bb.93:
	v_cmp_ngt_f32_e64 s1, |v138|, |v139|
                                        ; implicit-def: $vgpr140_vgpr141
	s_and_saveexec_b32 s4, s1
	s_delay_alu instid0(SALU_CYCLE_1)
	s_xor_b32 s1, exec_lo, s4
	s_cbranch_execz .LBB57_95
; %bb.94:
	v_div_scale_f32 v140, null, v139, v139, v138
	v_div_scale_f32 v143, vcc_lo, v138, v139, v138
	s_delay_alu instid0(VALU_DEP_2) | instskip(SKIP_1) | instid1(TRANS32_DEP_1)
	v_rcp_f32_e32 v141, v140
	v_nop
	v_fma_f32 v142, -v140, v141, 1.0
	s_delay_alu instid0(VALU_DEP_1) | instskip(NEXT) | instid1(VALU_DEP_1)
	v_fmac_f32_e32 v141, v142, v141
	v_mul_f32_e32 v142, v143, v141
	s_delay_alu instid0(VALU_DEP_1) | instskip(NEXT) | instid1(VALU_DEP_1)
	v_fma_f32 v144, -v140, v142, v143
	v_fmac_f32_e32 v142, v144, v141
	s_delay_alu instid0(VALU_DEP_1) | instskip(NEXT) | instid1(VALU_DEP_1)
	v_fma_f32 v140, -v140, v142, v143
	v_div_fmas_f32 v140, v140, v141, v142
	s_delay_alu instid0(VALU_DEP_1) | instskip(NEXT) | instid1(VALU_DEP_1)
	v_div_fixup_f32 v140, v140, v139, v138
	v_fmac_f32_e32 v139, v138, v140
	s_delay_alu instid0(VALU_DEP_1) | instskip(SKIP_1) | instid1(VALU_DEP_2)
	v_div_scale_f32 v138, null, v139, v139, 1.0
	v_div_scale_f32 v143, vcc_lo, 1.0, v139, 1.0
	v_rcp_f32_e32 v141, v138
	v_nop
	s_delay_alu instid0(TRANS32_DEP_1) | instskip(NEXT) | instid1(VALU_DEP_1)
	v_fma_f32 v142, -v138, v141, 1.0
	v_fmac_f32_e32 v141, v142, v141
	s_delay_alu instid0(VALU_DEP_1) | instskip(NEXT) | instid1(VALU_DEP_1)
	v_mul_f32_e32 v142, v143, v141
	v_fma_f32 v144, -v138, v142, v143
	s_delay_alu instid0(VALU_DEP_1) | instskip(NEXT) | instid1(VALU_DEP_1)
	v_fmac_f32_e32 v142, v144, v141
	v_fma_f32 v138, -v138, v142, v143
	s_delay_alu instid0(VALU_DEP_1) | instskip(NEXT) | instid1(VALU_DEP_1)
	v_div_fmas_f32 v138, v138, v141, v142
	v_div_fixup_f32 v138, v138, v139, 1.0
	s_delay_alu instid0(VALU_DEP_1)
	v_mul_f32_e32 v140, v140, v138
	v_xor_b32_e32 v141, 0x80000000, v138
                                        ; implicit-def: $vgpr138_vgpr139
.LBB57_95:
	s_and_not1_saveexec_b32 s1, s1
	s_cbranch_execz .LBB57_97
; %bb.96:
	v_div_scale_f32 v140, null, v138, v138, v139
	v_div_scale_f32 v143, vcc_lo, v139, v138, v139
	s_delay_alu instid0(VALU_DEP_2) | instskip(SKIP_1) | instid1(TRANS32_DEP_1)
	v_rcp_f32_e32 v141, v140
	v_nop
	v_fma_f32 v142, -v140, v141, 1.0
	s_delay_alu instid0(VALU_DEP_1) | instskip(NEXT) | instid1(VALU_DEP_1)
	v_fmac_f32_e32 v141, v142, v141
	v_mul_f32_e32 v142, v143, v141
	s_delay_alu instid0(VALU_DEP_1) | instskip(NEXT) | instid1(VALU_DEP_1)
	v_fma_f32 v144, -v140, v142, v143
	v_fmac_f32_e32 v142, v144, v141
	s_delay_alu instid0(VALU_DEP_1) | instskip(NEXT) | instid1(VALU_DEP_1)
	v_fma_f32 v140, -v140, v142, v143
	v_div_fmas_f32 v140, v140, v141, v142
	s_delay_alu instid0(VALU_DEP_1) | instskip(NEXT) | instid1(VALU_DEP_1)
	v_div_fixup_f32 v141, v140, v138, v139
	v_fmac_f32_e32 v138, v139, v141
	s_delay_alu instid0(VALU_DEP_1) | instskip(NEXT) | instid1(VALU_DEP_1)
	v_div_scale_f32 v139, null, v138, v138, 1.0
	v_rcp_f32_e32 v140, v139
	v_nop
	s_delay_alu instid0(TRANS32_DEP_1) | instskip(NEXT) | instid1(VALU_DEP_1)
	v_fma_f32 v142, -v139, v140, 1.0
	v_fmac_f32_e32 v140, v142, v140
	v_div_scale_f32 v142, vcc_lo, 1.0, v138, 1.0
	s_delay_alu instid0(VALU_DEP_1) | instskip(NEXT) | instid1(VALU_DEP_1)
	v_mul_f32_e32 v143, v142, v140
	v_fma_f32 v144, -v139, v143, v142
	s_delay_alu instid0(VALU_DEP_1) | instskip(NEXT) | instid1(VALU_DEP_1)
	v_fmac_f32_e32 v143, v144, v140
	v_fma_f32 v139, -v139, v143, v142
	s_delay_alu instid0(VALU_DEP_1) | instskip(NEXT) | instid1(VALU_DEP_1)
	v_div_fmas_f32 v139, v139, v140, v143
	v_div_fixup_f32 v140, v139, v138, 1.0
	s_delay_alu instid0(VALU_DEP_1)
	v_mul_f32_e64 v141, v141, -v140
.LBB57_97:
	s_or_b32 exec_lo, exec_lo, s1
	ds_store_b64 v177, v[140:141]
.LBB57_98:
	s_or_b32 exec_lo, exec_lo, s2
	s_wait_dscnt 0x0
	s_barrier_signal -1
	s_barrier_wait -1
	ds_load_b64 v[138:139], v177
	s_mov_b32 s1, exec_lo
	v_cmpx_lt_u32_e32 10, v176
	s_cbranch_execz .LBB57_100
; %bb.99:
	ds_load_2addr_b64 v[144:147], v178 offset0:11 offset1:12
	s_wait_dscnt 0x1
	v_pk_mul_f32 v[142:143], v[138:139], v[40:41] op_sel:[1,1] op_sel_hi:[0,1]
	s_delay_alu instid0(VALU_DEP_1) | instskip(SKIP_1) | instid1(VALU_DEP_1)
	v_pk_fma_f32 v[140:141], v[138:139], v[40:41], v[142:143] op_sel_hi:[1,0,1] neg_lo:[0,0,1] neg_hi:[0,0,1]
	v_pk_fma_f32 v[142:143], v[138:139], v[40:41], v[142:143] op_sel_hi:[1,0,1]
	v_dual_mov_b32 v40, v140 :: v_dual_mov_b32 v41, v143
	s_wait_dscnt 0x0
	s_delay_alu instid0(VALU_DEP_2) | instskip(NEXT) | instid1(VALU_DEP_1)
	v_pk_mul_f32 v[148:149], v[144:145], v[142:143] op_sel:[0,1]
	v_pk_fma_f32 v[150:151], v[144:145], v[140:141], v[148:149] op_sel:[0,0,1] op_sel_hi:[1,1,0] neg_lo:[0,0,1] neg_hi:[0,0,1]
	v_pk_fma_f32 v[144:145], v[144:145], v[140:141], v[148:149] op_sel:[0,0,1] op_sel_hi:[1,0,0]
	s_delay_alu instid0(VALU_DEP_1) | instskip(SKIP_1) | instid1(VALU_DEP_1)
	v_mov_b32_e32 v151, v145
	v_pk_mul_f32 v[144:145], v[146:147], v[142:143] op_sel:[0,1]
	v_pk_fma_f32 v[148:149], v[146:147], v[140:141], v[144:145] op_sel:[0,0,1] op_sel_hi:[1,1,0] neg_lo:[0,0,1] neg_hi:[0,0,1]
	v_pk_fma_f32 v[144:145], v[146:147], v[140:141], v[144:145] op_sel:[0,0,1] op_sel_hi:[1,0,0]
	s_delay_alu instid0(VALU_DEP_1)
	v_mov_b32_e32 v149, v145
	ds_load_2addr_b64 v[144:147], v178 offset0:13 offset1:14
	v_pk_add_f32 v[36:37], v[36:37], v[150:151] neg_lo:[0,1] neg_hi:[0,1]
	v_pk_add_f32 v[62:63], v[62:63], v[148:149] neg_lo:[0,1] neg_hi:[0,1]
	s_wait_dscnt 0x0
	v_pk_mul_f32 v[148:149], v[144:145], v[142:143] op_sel:[0,1]
	s_delay_alu instid0(VALU_DEP_1) | instskip(SKIP_2) | instid1(VALU_DEP_2)
	v_pk_fma_f32 v[150:151], v[144:145], v[140:141], v[148:149] op_sel:[0,0,1] op_sel_hi:[1,1,0] neg_lo:[0,0,1] neg_hi:[0,0,1]
	v_pk_fma_f32 v[144:145], v[144:145], v[140:141], v[148:149] op_sel:[0,0,1] op_sel_hi:[1,0,0]
	v_dual_mul_f32 v148, v147, v143 :: v_dual_mov_b32 v144, v147
	v_dual_mov_b32 v151, v145 :: v_dual_mov_b32 v145, v146
	s_delay_alu instid0(VALU_DEP_2) | instskip(SKIP_1) | instid1(VALU_DEP_3)
	v_pk_fma_f32 v[148:149], v[146:147], v[40:41], v[148:149] op_sel_hi:[1,1,0] neg_lo:[0,0,1] neg_hi:[0,0,1]
	v_mul_f32_e32 v146, v147, v140
	v_pk_add_f32 v[88:89], v[88:89], v[150:151] neg_lo:[0,1] neg_hi:[0,1]
	s_delay_alu instid0(VALU_DEP_2) | instskip(NEXT) | instid1(VALU_DEP_1)
	v_pk_fma_f32 v[144:145], v[144:145], v[40:41], v[146:147] op_sel_hi:[1,1,0]
	v_mov_b32_e32 v149, v145
	ds_load_2addr_b64 v[144:147], v178 offset0:15 offset1:16
	v_pk_add_f32 v[108:109], v[108:109], v[148:149] neg_lo:[0,1] neg_hi:[0,1]
	s_wait_dscnt 0x0
	v_pk_mul_f32 v[148:149], v[144:145], v[142:143] op_sel:[0,1]
	s_delay_alu instid0(VALU_DEP_1) | instskip(SKIP_1) | instid1(VALU_DEP_1)
	v_pk_fma_f32 v[150:151], v[144:145], v[140:141], v[148:149] op_sel:[0,0,1] op_sel_hi:[1,1,0] neg_lo:[0,0,1] neg_hi:[0,0,1]
	v_pk_fma_f32 v[144:145], v[144:145], v[140:141], v[148:149] op_sel:[0,0,1] op_sel_hi:[1,0,0]
	v_mov_b32_e32 v151, v145
	v_pk_mul_f32 v[144:145], v[146:147], v[142:143] op_sel:[0,1]
	s_delay_alu instid0(VALU_DEP_1) | instskip(SKIP_1) | instid1(VALU_DEP_1)
	v_pk_fma_f32 v[148:149], v[146:147], v[140:141], v[144:145] op_sel:[0,0,1] op_sel_hi:[1,1,0] neg_lo:[0,0,1] neg_hi:[0,0,1]
	v_pk_fma_f32 v[144:145], v[146:147], v[140:141], v[144:145] op_sel:[0,0,1] op_sel_hi:[1,0,0]
	v_mov_b32_e32 v149, v145
	ds_load_2addr_b64 v[144:147], v178 offset0:17 offset1:18
	v_pk_add_f32 v[60:61], v[60:61], v[150:151] neg_lo:[0,1] neg_hi:[0,1]
	v_pk_add_f32 v[84:85], v[84:85], v[148:149] neg_lo:[0,1] neg_hi:[0,1]
	s_wait_dscnt 0x0
	v_pk_mul_f32 v[148:149], v[144:145], v[142:143] op_sel:[0,1]
	s_delay_alu instid0(VALU_DEP_1) | instskip(SKIP_1) | instid1(VALU_DEP_1)
	v_pk_fma_f32 v[150:151], v[144:145], v[140:141], v[148:149] op_sel:[0,0,1] op_sel_hi:[1,1,0] neg_lo:[0,0,1] neg_hi:[0,0,1]
	v_pk_fma_f32 v[144:145], v[144:145], v[140:141], v[148:149] op_sel:[0,0,1] op_sel_hi:[1,0,0]
	v_mov_b32_e32 v151, v145
	v_pk_mul_f32 v[144:145], v[146:147], v[142:143] op_sel:[0,1]
	s_delay_alu instid0(VALU_DEP_1) | instskip(SKIP_1) | instid1(VALU_DEP_1)
	v_pk_fma_f32 v[148:149], v[146:147], v[140:141], v[144:145] op_sel:[0,0,1] op_sel_hi:[1,1,0] neg_lo:[0,0,1] neg_hi:[0,0,1]
	v_pk_fma_f32 v[144:145], v[146:147], v[140:141], v[144:145] op_sel:[0,0,1] op_sel_hi:[1,0,0]
	v_mov_b32_e32 v149, v145
	ds_load_2addr_b64 v[144:147], v178 offset0:19 offset1:20
	v_pk_add_f32 v[80:81], v[80:81], v[150:151] neg_lo:[0,1] neg_hi:[0,1]
	v_pk_add_f32 v[82:83], v[82:83], v[148:149] neg_lo:[0,1] neg_hi:[0,1]
	s_wait_dscnt 0x0
	v_dual_mul_f32 v148, v145, v143 :: v_dual_mul_f32 v150, v145, v140
	s_delay_alu instid0(VALU_DEP_1) | instskip(NEXT) | instid1(VALU_DEP_2)
	v_pk_fma_f32 v[148:149], v[144:145], v[40:41], v[148:149] op_sel_hi:[1,1,0] neg_lo:[0,0,1] neg_hi:[0,0,1]
	v_pk_fma_f32 v[144:145], v[144:145], v[40:41], v[150:151] op_sel:[1,0,0] op_sel_hi:[0,1,0]
	s_delay_alu instid0(VALU_DEP_1) | instskip(SKIP_1) | instid1(VALU_DEP_2)
	v_mov_b32_e32 v149, v145
	v_pk_mul_f32 v[144:145], v[146:147], v[142:143] op_sel:[0,1]
	v_pk_add_f32 v[78:79], v[78:79], v[148:149] neg_lo:[0,1] neg_hi:[0,1]
	s_delay_alu instid0(VALU_DEP_2) | instskip(SKIP_1) | instid1(VALU_DEP_1)
	v_pk_fma_f32 v[148:149], v[146:147], v[140:141], v[144:145] op_sel:[0,0,1] op_sel_hi:[1,1,0] neg_lo:[0,0,1] neg_hi:[0,0,1]
	v_pk_fma_f32 v[144:145], v[146:147], v[140:141], v[144:145] op_sel:[0,0,1] op_sel_hi:[1,0,0]
	v_mov_b32_e32 v149, v145
	ds_load_2addr_b64 v[144:147], v178 offset0:21 offset1:22
	v_pk_add_f32 v[106:107], v[106:107], v[148:149] neg_lo:[0,1] neg_hi:[0,1]
	s_wait_dscnt 0x0
	v_pk_mul_f32 v[148:149], v[144:145], v[142:143] op_sel:[0,1]
	s_delay_alu instid0(VALU_DEP_1) | instskip(SKIP_1) | instid1(VALU_DEP_1)
	v_pk_fma_f32 v[150:151], v[144:145], v[140:141], v[148:149] op_sel:[0,0,1] op_sel_hi:[1,1,0] neg_lo:[0,0,1] neg_hi:[0,0,1]
	v_pk_fma_f32 v[144:145], v[144:145], v[140:141], v[148:149] op_sel:[0,0,1] op_sel_hi:[1,0,0]
	v_mov_b32_e32 v151, v145
	v_pk_mul_f32 v[144:145], v[146:147], v[142:143] op_sel:[0,1]
	s_delay_alu instid0(VALU_DEP_2) | instskip(NEXT) | instid1(VALU_DEP_2)
	v_pk_add_f32 v[100:101], v[100:101], v[150:151] neg_lo:[0,1] neg_hi:[0,1]
	v_pk_fma_f32 v[148:149], v[146:147], v[140:141], v[144:145] op_sel:[0,0,1] op_sel_hi:[1,1,0] neg_lo:[0,0,1] neg_hi:[0,0,1]
	v_pk_fma_f32 v[144:145], v[146:147], v[140:141], v[144:145] op_sel:[0,0,1] op_sel_hi:[1,0,0]
	s_delay_alu instid0(VALU_DEP_1) | instskip(SKIP_4) | instid1(VALU_DEP_1)
	v_mov_b32_e32 v149, v145
	ds_load_2addr_b64 v[144:147], v178 offset0:23 offset1:24
	v_pk_add_f32 v[104:105], v[104:105], v[148:149] neg_lo:[0,1] neg_hi:[0,1]
	s_wait_dscnt 0x0
	v_pk_mul_f32 v[148:149], v[144:145], v[142:143] op_sel:[0,1]
	v_pk_fma_f32 v[150:151], v[144:145], v[140:141], v[148:149] op_sel:[0,0,1] op_sel_hi:[1,1,0] neg_lo:[0,0,1] neg_hi:[0,0,1]
	v_pk_fma_f32 v[144:145], v[144:145], v[140:141], v[148:149] op_sel:[0,0,1] op_sel_hi:[1,0,0]
	v_dual_mul_f32 v148, v147, v143 :: v_dual_mov_b32 v144, v147
	s_delay_alu instid0(VALU_DEP_2) | instskip(NEXT) | instid1(VALU_DEP_2)
	v_dual_mov_b32 v151, v145 :: v_dual_mov_b32 v145, v146
	v_pk_fma_f32 v[148:149], v[146:147], v[40:41], v[148:149] op_sel_hi:[1,1,0] neg_lo:[0,0,1] neg_hi:[0,0,1]
	v_mul_f32_e32 v146, v147, v140
	s_delay_alu instid0(VALU_DEP_3) | instskip(NEXT) | instid1(VALU_DEP_2)
	v_pk_add_f32 v[98:99], v[98:99], v[150:151] neg_lo:[0,1] neg_hi:[0,1]
	v_pk_fma_f32 v[144:145], v[144:145], v[40:41], v[146:147] op_sel_hi:[1,1,0]
	s_delay_alu instid0(VALU_DEP_1) | instskip(SKIP_4) | instid1(VALU_DEP_1)
	v_mov_b32_e32 v149, v145
	ds_load_2addr_b64 v[144:147], v178 offset0:25 offset1:26
	v_pk_add_f32 v[102:103], v[102:103], v[148:149] neg_lo:[0,1] neg_hi:[0,1]
	s_wait_dscnt 0x0
	v_pk_mul_f32 v[148:149], v[144:145], v[142:143] op_sel:[0,1]
	v_pk_fma_f32 v[150:151], v[144:145], v[140:141], v[148:149] op_sel:[0,0,1] op_sel_hi:[1,1,0] neg_lo:[0,0,1] neg_hi:[0,0,1]
	v_pk_fma_f32 v[144:145], v[144:145], v[140:141], v[148:149] op_sel:[0,0,1] op_sel_hi:[1,0,0]
	s_delay_alu instid0(VALU_DEP_1) | instskip(SKIP_1) | instid1(VALU_DEP_1)
	v_mov_b32_e32 v151, v145
	v_pk_mul_f32 v[144:145], v[146:147], v[142:143] op_sel:[0,1]
	v_pk_fma_f32 v[148:149], v[146:147], v[140:141], v[144:145] op_sel:[0,0,1] op_sel_hi:[1,1,0] neg_lo:[0,0,1] neg_hi:[0,0,1]
	v_pk_fma_f32 v[144:145], v[146:147], v[140:141], v[144:145] op_sel:[0,0,1] op_sel_hi:[1,0,0]
	s_delay_alu instid0(VALU_DEP_1)
	v_mov_b32_e32 v149, v145
	ds_load_2addr_b64 v[144:147], v178 offset0:27 offset1:28
	v_pk_add_f32 v[114:115], v[114:115], v[150:151] neg_lo:[0,1] neg_hi:[0,1]
	v_pk_add_f32 v[112:113], v[112:113], v[148:149] neg_lo:[0,1] neg_hi:[0,1]
	s_wait_dscnt 0x0
	v_pk_mul_f32 v[148:149], v[144:145], v[142:143] op_sel:[0,1]
	v_mul_f32_e32 v142, v147, v143
	s_delay_alu instid0(VALU_DEP_2) | instskip(SKIP_2) | instid1(VALU_DEP_4)
	v_pk_fma_f32 v[150:151], v[144:145], v[140:141], v[148:149] op_sel:[0,0,1] op_sel_hi:[1,1,0] neg_lo:[0,0,1] neg_hi:[0,0,1]
	v_pk_fma_f32 v[144:145], v[144:145], v[140:141], v[148:149] op_sel:[0,0,1] op_sel_hi:[1,0,0]
	v_dual_mov_b32 v144, v147 :: v_dual_mul_f32 v140, v147, v140
	v_pk_fma_f32 v[142:143], v[146:147], v[40:41], v[142:143] op_sel_hi:[1,1,0] neg_lo:[0,0,1] neg_hi:[0,0,1]
	s_delay_alu instid0(VALU_DEP_3) | instskip(NEXT) | instid1(VALU_DEP_1)
	v_dual_mov_b32 v151, v145 :: v_dual_mov_b32 v145, v146
	v_pk_add_f32 v[110:111], v[110:111], v[150:151] neg_lo:[0,1] neg_hi:[0,1]
	s_delay_alu instid0(VALU_DEP_2) | instskip(NEXT) | instid1(VALU_DEP_1)
	v_pk_fma_f32 v[140:141], v[144:145], v[40:41], v[140:141] op_sel_hi:[1,1,0]
	v_mov_b32_e32 v143, v141
	s_delay_alu instid0(VALU_DEP_1)
	v_pk_add_f32 v[116:117], v[116:117], v[142:143] neg_lo:[0,1] neg_hi:[0,1]
.LBB57_100:
	s_or_b32 exec_lo, exec_lo, s1
	s_delay_alu instid0(SALU_CYCLE_1)
	s_mov_b32 s2, exec_lo
	s_wait_dscnt 0x0
	s_barrier_signal -1
	s_barrier_wait -1
	v_cmpx_eq_u32_e32 11, v176
	s_cbranch_execz .LBB57_107
; %bb.101:
	v_dual_mov_b32 v140, v62 :: v_dual_mov_b32 v141, v63
	v_dual_mov_b32 v142, v88 :: v_dual_mov_b32 v143, v89
	ds_store_b64 v177, v[36:37]
	ds_store_2addr_b64 v178, v[140:141], v[142:143] offset0:12 offset1:13
	v_dual_mov_b32 v140, v108 :: v_dual_mov_b32 v141, v109
	v_dual_mov_b32 v142, v60 :: v_dual_mov_b32 v143, v61
	ds_store_2addr_b64 v178, v[140:141], v[142:143] offset0:14 offset1:15
	v_dual_mov_b32 v140, v84 :: v_dual_mov_b32 v141, v85
	v_dual_mov_b32 v142, v80 :: v_dual_mov_b32 v143, v81
	;; [unrolled: 3-line block ×7, first 2 shown]
	ds_store_2addr_b64 v178, v[140:141], v[142:143] offset0:26 offset1:27
	ds_store_b64 v178, v[116:117] offset:224
	ds_load_b64 v[140:141], v177
	s_wait_dscnt 0x0
	v_cmp_neq_f32_e32 vcc_lo, 0, v140
	v_cmp_neq_f32_e64 s1, 0, v141
	s_or_b32 s1, vcc_lo, s1
	s_delay_alu instid0(SALU_CYCLE_1)
	s_and_b32 exec_lo, exec_lo, s1
	s_cbranch_execz .LBB57_107
; %bb.102:
	v_cmp_ngt_f32_e64 s1, |v140|, |v141|
                                        ; implicit-def: $vgpr142_vgpr143
	s_and_saveexec_b32 s4, s1
	s_delay_alu instid0(SALU_CYCLE_1)
	s_xor_b32 s1, exec_lo, s4
	s_cbranch_execz .LBB57_104
; %bb.103:
	v_div_scale_f32 v142, null, v141, v141, v140
	v_div_scale_f32 v145, vcc_lo, v140, v141, v140
	s_delay_alu instid0(VALU_DEP_2) | instskip(SKIP_1) | instid1(TRANS32_DEP_1)
	v_rcp_f32_e32 v143, v142
	v_nop
	v_fma_f32 v144, -v142, v143, 1.0
	s_delay_alu instid0(VALU_DEP_1) | instskip(NEXT) | instid1(VALU_DEP_1)
	v_fmac_f32_e32 v143, v144, v143
	v_mul_f32_e32 v144, v145, v143
	s_delay_alu instid0(VALU_DEP_1) | instskip(NEXT) | instid1(VALU_DEP_1)
	v_fma_f32 v146, -v142, v144, v145
	v_fmac_f32_e32 v144, v146, v143
	s_delay_alu instid0(VALU_DEP_1) | instskip(NEXT) | instid1(VALU_DEP_1)
	v_fma_f32 v142, -v142, v144, v145
	v_div_fmas_f32 v142, v142, v143, v144
	s_delay_alu instid0(VALU_DEP_1) | instskip(NEXT) | instid1(VALU_DEP_1)
	v_div_fixup_f32 v142, v142, v141, v140
	v_fmac_f32_e32 v141, v140, v142
	s_delay_alu instid0(VALU_DEP_1) | instskip(SKIP_1) | instid1(VALU_DEP_2)
	v_div_scale_f32 v140, null, v141, v141, 1.0
	v_div_scale_f32 v145, vcc_lo, 1.0, v141, 1.0
	v_rcp_f32_e32 v143, v140
	v_nop
	s_delay_alu instid0(TRANS32_DEP_1) | instskip(NEXT) | instid1(VALU_DEP_1)
	v_fma_f32 v144, -v140, v143, 1.0
	v_fmac_f32_e32 v143, v144, v143
	s_delay_alu instid0(VALU_DEP_1) | instskip(NEXT) | instid1(VALU_DEP_1)
	v_mul_f32_e32 v144, v145, v143
	v_fma_f32 v146, -v140, v144, v145
	s_delay_alu instid0(VALU_DEP_1) | instskip(NEXT) | instid1(VALU_DEP_1)
	v_fmac_f32_e32 v144, v146, v143
	v_fma_f32 v140, -v140, v144, v145
	s_delay_alu instid0(VALU_DEP_1) | instskip(NEXT) | instid1(VALU_DEP_1)
	v_div_fmas_f32 v140, v140, v143, v144
	v_div_fixup_f32 v140, v140, v141, 1.0
	s_delay_alu instid0(VALU_DEP_1)
	v_mul_f32_e32 v142, v142, v140
	v_xor_b32_e32 v143, 0x80000000, v140
                                        ; implicit-def: $vgpr140_vgpr141
.LBB57_104:
	s_and_not1_saveexec_b32 s1, s1
	s_cbranch_execz .LBB57_106
; %bb.105:
	v_div_scale_f32 v142, null, v140, v140, v141
	v_div_scale_f32 v145, vcc_lo, v141, v140, v141
	s_delay_alu instid0(VALU_DEP_2) | instskip(SKIP_1) | instid1(TRANS32_DEP_1)
	v_rcp_f32_e32 v143, v142
	v_nop
	v_fma_f32 v144, -v142, v143, 1.0
	s_delay_alu instid0(VALU_DEP_1) | instskip(NEXT) | instid1(VALU_DEP_1)
	v_fmac_f32_e32 v143, v144, v143
	v_mul_f32_e32 v144, v145, v143
	s_delay_alu instid0(VALU_DEP_1) | instskip(NEXT) | instid1(VALU_DEP_1)
	v_fma_f32 v146, -v142, v144, v145
	v_fmac_f32_e32 v144, v146, v143
	s_delay_alu instid0(VALU_DEP_1) | instskip(NEXT) | instid1(VALU_DEP_1)
	v_fma_f32 v142, -v142, v144, v145
	v_div_fmas_f32 v142, v142, v143, v144
	s_delay_alu instid0(VALU_DEP_1) | instskip(NEXT) | instid1(VALU_DEP_1)
	v_div_fixup_f32 v143, v142, v140, v141
	v_fmac_f32_e32 v140, v141, v143
	s_delay_alu instid0(VALU_DEP_1) | instskip(NEXT) | instid1(VALU_DEP_1)
	v_div_scale_f32 v141, null, v140, v140, 1.0
	v_rcp_f32_e32 v142, v141
	v_nop
	s_delay_alu instid0(TRANS32_DEP_1) | instskip(NEXT) | instid1(VALU_DEP_1)
	v_fma_f32 v144, -v141, v142, 1.0
	v_fmac_f32_e32 v142, v144, v142
	v_div_scale_f32 v144, vcc_lo, 1.0, v140, 1.0
	s_delay_alu instid0(VALU_DEP_1) | instskip(NEXT) | instid1(VALU_DEP_1)
	v_mul_f32_e32 v145, v144, v142
	v_fma_f32 v146, -v141, v145, v144
	s_delay_alu instid0(VALU_DEP_1) | instskip(NEXT) | instid1(VALU_DEP_1)
	v_fmac_f32_e32 v145, v146, v142
	v_fma_f32 v141, -v141, v145, v144
	s_delay_alu instid0(VALU_DEP_1) | instskip(NEXT) | instid1(VALU_DEP_1)
	v_div_fmas_f32 v141, v141, v142, v145
	v_div_fixup_f32 v142, v141, v140, 1.0
	s_delay_alu instid0(VALU_DEP_1)
	v_mul_f32_e64 v143, v143, -v142
.LBB57_106:
	s_or_b32 exec_lo, exec_lo, s1
	ds_store_b64 v177, v[142:143]
.LBB57_107:
	s_or_b32 exec_lo, exec_lo, s2
	s_wait_dscnt 0x0
	s_barrier_signal -1
	s_barrier_wait -1
	ds_load_b64 v[140:141], v177
	s_mov_b32 s1, exec_lo
	v_cmpx_lt_u32_e32 11, v176
	s_cbranch_execz .LBB57_109
; %bb.108:
	ds_load_2addr_b64 v[146:149], v178 offset0:12 offset1:13
	s_wait_dscnt 0x1
	v_pk_mul_f32 v[144:145], v[140:141], v[36:37] op_sel:[1,1] op_sel_hi:[0,1]
	s_delay_alu instid0(VALU_DEP_1) | instskip(SKIP_1) | instid1(VALU_DEP_1)
	v_pk_fma_f32 v[142:143], v[140:141], v[36:37], v[144:145] op_sel_hi:[1,0,1] neg_lo:[0,0,1] neg_hi:[0,0,1]
	v_pk_fma_f32 v[144:145], v[140:141], v[36:37], v[144:145] op_sel_hi:[1,0,1]
	v_dual_mov_b32 v36, v142 :: v_dual_mov_b32 v37, v145
	s_wait_dscnt 0x0
	s_delay_alu instid0(VALU_DEP_2) | instskip(NEXT) | instid1(VALU_DEP_1)
	v_pk_mul_f32 v[150:151], v[146:147], v[144:145] op_sel:[0,1]
	v_pk_fma_f32 v[152:153], v[146:147], v[142:143], v[150:151] op_sel:[0,0,1] op_sel_hi:[1,1,0] neg_lo:[0,0,1] neg_hi:[0,0,1]
	v_pk_fma_f32 v[146:147], v[146:147], v[142:143], v[150:151] op_sel:[0,0,1] op_sel_hi:[1,0,0]
	s_delay_alu instid0(VALU_DEP_1) | instskip(SKIP_1) | instid1(VALU_DEP_1)
	v_mov_b32_e32 v153, v147
	v_pk_mul_f32 v[146:147], v[148:149], v[144:145] op_sel:[0,1]
	v_pk_fma_f32 v[150:151], v[148:149], v[142:143], v[146:147] op_sel:[0,0,1] op_sel_hi:[1,1,0] neg_lo:[0,0,1] neg_hi:[0,0,1]
	v_pk_fma_f32 v[146:147], v[148:149], v[142:143], v[146:147] op_sel:[0,0,1] op_sel_hi:[1,0,0]
	s_delay_alu instid0(VALU_DEP_1)
	v_mov_b32_e32 v151, v147
	ds_load_2addr_b64 v[146:149], v178 offset0:14 offset1:15
	v_pk_add_f32 v[62:63], v[62:63], v[152:153] neg_lo:[0,1] neg_hi:[0,1]
	v_pk_add_f32 v[88:89], v[88:89], v[150:151] neg_lo:[0,1] neg_hi:[0,1]
	s_wait_dscnt 0x0
	v_pk_mul_f32 v[150:151], v[146:147], v[144:145] op_sel:[0,1]
	s_delay_alu instid0(VALU_DEP_1) | instskip(SKIP_2) | instid1(VALU_DEP_2)
	v_pk_fma_f32 v[152:153], v[146:147], v[142:143], v[150:151] op_sel:[0,0,1] op_sel_hi:[1,1,0] neg_lo:[0,0,1] neg_hi:[0,0,1]
	v_pk_fma_f32 v[146:147], v[146:147], v[142:143], v[150:151] op_sel:[0,0,1] op_sel_hi:[1,0,0]
	v_dual_mul_f32 v150, v149, v145 :: v_dual_mov_b32 v146, v149
	v_dual_mov_b32 v153, v147 :: v_dual_mov_b32 v147, v148
	s_delay_alu instid0(VALU_DEP_2) | instskip(SKIP_1) | instid1(VALU_DEP_3)
	v_pk_fma_f32 v[150:151], v[148:149], v[36:37], v[150:151] op_sel_hi:[1,1,0] neg_lo:[0,0,1] neg_hi:[0,0,1]
	v_mul_f32_e32 v148, v149, v142
	v_pk_add_f32 v[108:109], v[108:109], v[152:153] neg_lo:[0,1] neg_hi:[0,1]
	s_delay_alu instid0(VALU_DEP_2) | instskip(NEXT) | instid1(VALU_DEP_1)
	v_pk_fma_f32 v[146:147], v[146:147], v[36:37], v[148:149] op_sel_hi:[1,1,0]
	v_mov_b32_e32 v151, v147
	ds_load_2addr_b64 v[146:149], v178 offset0:16 offset1:17
	v_pk_add_f32 v[60:61], v[60:61], v[150:151] neg_lo:[0,1] neg_hi:[0,1]
	s_wait_dscnt 0x0
	v_pk_mul_f32 v[150:151], v[146:147], v[144:145] op_sel:[0,1]
	s_delay_alu instid0(VALU_DEP_1) | instskip(SKIP_1) | instid1(VALU_DEP_1)
	v_pk_fma_f32 v[152:153], v[146:147], v[142:143], v[150:151] op_sel:[0,0,1] op_sel_hi:[1,1,0] neg_lo:[0,0,1] neg_hi:[0,0,1]
	v_pk_fma_f32 v[146:147], v[146:147], v[142:143], v[150:151] op_sel:[0,0,1] op_sel_hi:[1,0,0]
	v_mov_b32_e32 v153, v147
	v_pk_mul_f32 v[146:147], v[148:149], v[144:145] op_sel:[0,1]
	s_delay_alu instid0(VALU_DEP_1) | instskip(SKIP_1) | instid1(VALU_DEP_1)
	v_pk_fma_f32 v[150:151], v[148:149], v[142:143], v[146:147] op_sel:[0,0,1] op_sel_hi:[1,1,0] neg_lo:[0,0,1] neg_hi:[0,0,1]
	v_pk_fma_f32 v[146:147], v[148:149], v[142:143], v[146:147] op_sel:[0,0,1] op_sel_hi:[1,0,0]
	v_mov_b32_e32 v151, v147
	ds_load_2addr_b64 v[146:149], v178 offset0:18 offset1:19
	v_pk_add_f32 v[84:85], v[84:85], v[152:153] neg_lo:[0,1] neg_hi:[0,1]
	v_pk_add_f32 v[80:81], v[80:81], v[150:151] neg_lo:[0,1] neg_hi:[0,1]
	s_wait_dscnt 0x0
	v_pk_mul_f32 v[150:151], v[146:147], v[144:145] op_sel:[0,1]
	s_delay_alu instid0(VALU_DEP_1) | instskip(SKIP_1) | instid1(VALU_DEP_1)
	v_pk_fma_f32 v[152:153], v[146:147], v[142:143], v[150:151] op_sel:[0,0,1] op_sel_hi:[1,1,0] neg_lo:[0,0,1] neg_hi:[0,0,1]
	v_pk_fma_f32 v[146:147], v[146:147], v[142:143], v[150:151] op_sel:[0,0,1] op_sel_hi:[1,0,0]
	v_mov_b32_e32 v153, v147
	v_pk_mul_f32 v[146:147], v[148:149], v[144:145] op_sel:[0,1]
	s_delay_alu instid0(VALU_DEP_1) | instskip(SKIP_1) | instid1(VALU_DEP_1)
	v_pk_fma_f32 v[150:151], v[148:149], v[142:143], v[146:147] op_sel:[0,0,1] op_sel_hi:[1,1,0] neg_lo:[0,0,1] neg_hi:[0,0,1]
	v_pk_fma_f32 v[146:147], v[148:149], v[142:143], v[146:147] op_sel:[0,0,1] op_sel_hi:[1,0,0]
	v_mov_b32_e32 v151, v147
	ds_load_2addr_b64 v[146:149], v178 offset0:20 offset1:21
	v_pk_add_f32 v[82:83], v[82:83], v[152:153] neg_lo:[0,1] neg_hi:[0,1]
	v_pk_add_f32 v[78:79], v[78:79], v[150:151] neg_lo:[0,1] neg_hi:[0,1]
	s_wait_dscnt 0x0
	v_dual_mul_f32 v150, v147, v145 :: v_dual_mul_f32 v152, v147, v142
	s_delay_alu instid0(VALU_DEP_1) | instskip(NEXT) | instid1(VALU_DEP_2)
	v_pk_fma_f32 v[150:151], v[146:147], v[36:37], v[150:151] op_sel_hi:[1,1,0] neg_lo:[0,0,1] neg_hi:[0,0,1]
	v_pk_fma_f32 v[146:147], v[146:147], v[36:37], v[152:153] op_sel:[1,0,0] op_sel_hi:[0,1,0]
	s_delay_alu instid0(VALU_DEP_1) | instskip(SKIP_1) | instid1(VALU_DEP_2)
	v_mov_b32_e32 v151, v147
	v_pk_mul_f32 v[146:147], v[148:149], v[144:145] op_sel:[0,1]
	v_pk_add_f32 v[106:107], v[106:107], v[150:151] neg_lo:[0,1] neg_hi:[0,1]
	s_delay_alu instid0(VALU_DEP_2) | instskip(SKIP_1) | instid1(VALU_DEP_1)
	v_pk_fma_f32 v[150:151], v[148:149], v[142:143], v[146:147] op_sel:[0,0,1] op_sel_hi:[1,1,0] neg_lo:[0,0,1] neg_hi:[0,0,1]
	v_pk_fma_f32 v[146:147], v[148:149], v[142:143], v[146:147] op_sel:[0,0,1] op_sel_hi:[1,0,0]
	v_mov_b32_e32 v151, v147
	ds_load_2addr_b64 v[146:149], v178 offset0:22 offset1:23
	v_pk_add_f32 v[100:101], v[100:101], v[150:151] neg_lo:[0,1] neg_hi:[0,1]
	s_wait_dscnt 0x0
	v_pk_mul_f32 v[150:151], v[146:147], v[144:145] op_sel:[0,1]
	s_delay_alu instid0(VALU_DEP_1) | instskip(SKIP_1) | instid1(VALU_DEP_1)
	v_pk_fma_f32 v[152:153], v[146:147], v[142:143], v[150:151] op_sel:[0,0,1] op_sel_hi:[1,1,0] neg_lo:[0,0,1] neg_hi:[0,0,1]
	v_pk_fma_f32 v[146:147], v[146:147], v[142:143], v[150:151] op_sel:[0,0,1] op_sel_hi:[1,0,0]
	v_mov_b32_e32 v153, v147
	v_pk_mul_f32 v[146:147], v[148:149], v[144:145] op_sel:[0,1]
	s_delay_alu instid0(VALU_DEP_2) | instskip(NEXT) | instid1(VALU_DEP_2)
	v_pk_add_f32 v[104:105], v[104:105], v[152:153] neg_lo:[0,1] neg_hi:[0,1]
	v_pk_fma_f32 v[150:151], v[148:149], v[142:143], v[146:147] op_sel:[0,0,1] op_sel_hi:[1,1,0] neg_lo:[0,0,1] neg_hi:[0,0,1]
	v_pk_fma_f32 v[146:147], v[148:149], v[142:143], v[146:147] op_sel:[0,0,1] op_sel_hi:[1,0,0]
	s_delay_alu instid0(VALU_DEP_1) | instskip(SKIP_4) | instid1(VALU_DEP_1)
	v_mov_b32_e32 v151, v147
	ds_load_2addr_b64 v[146:149], v178 offset0:24 offset1:25
	v_pk_add_f32 v[98:99], v[98:99], v[150:151] neg_lo:[0,1] neg_hi:[0,1]
	s_wait_dscnt 0x0
	v_pk_mul_f32 v[150:151], v[146:147], v[144:145] op_sel:[0,1]
	v_pk_fma_f32 v[152:153], v[146:147], v[142:143], v[150:151] op_sel:[0,0,1] op_sel_hi:[1,1,0] neg_lo:[0,0,1] neg_hi:[0,0,1]
	v_pk_fma_f32 v[146:147], v[146:147], v[142:143], v[150:151] op_sel:[0,0,1] op_sel_hi:[1,0,0]
	v_dual_mul_f32 v150, v149, v145 :: v_dual_mov_b32 v146, v149
	s_delay_alu instid0(VALU_DEP_2) | instskip(NEXT) | instid1(VALU_DEP_2)
	v_dual_mov_b32 v153, v147 :: v_dual_mov_b32 v147, v148
	v_pk_fma_f32 v[150:151], v[148:149], v[36:37], v[150:151] op_sel_hi:[1,1,0] neg_lo:[0,0,1] neg_hi:[0,0,1]
	v_mul_f32_e32 v148, v149, v142
	s_delay_alu instid0(VALU_DEP_3) | instskip(NEXT) | instid1(VALU_DEP_2)
	v_pk_add_f32 v[102:103], v[102:103], v[152:153] neg_lo:[0,1] neg_hi:[0,1]
	v_pk_fma_f32 v[146:147], v[146:147], v[36:37], v[148:149] op_sel_hi:[1,1,0]
	s_delay_alu instid0(VALU_DEP_1) | instskip(SKIP_4) | instid1(VALU_DEP_1)
	v_mov_b32_e32 v151, v147
	ds_load_2addr_b64 v[146:149], v178 offset0:26 offset1:27
	v_pk_add_f32 v[114:115], v[114:115], v[150:151] neg_lo:[0,1] neg_hi:[0,1]
	s_wait_dscnt 0x0
	v_pk_mul_f32 v[150:151], v[146:147], v[144:145] op_sel:[0,1]
	v_pk_fma_f32 v[152:153], v[146:147], v[142:143], v[150:151] op_sel:[0,0,1] op_sel_hi:[1,1,0] neg_lo:[0,0,1] neg_hi:[0,0,1]
	v_pk_fma_f32 v[146:147], v[146:147], v[142:143], v[150:151] op_sel:[0,0,1] op_sel_hi:[1,0,0]
	s_delay_alu instid0(VALU_DEP_1) | instskip(SKIP_1) | instid1(VALU_DEP_1)
	v_mov_b32_e32 v153, v147
	v_pk_mul_f32 v[146:147], v[148:149], v[144:145] op_sel:[0,1]
	v_pk_fma_f32 v[150:151], v[148:149], v[142:143], v[146:147] op_sel:[0,0,1] op_sel_hi:[1,1,0] neg_lo:[0,0,1] neg_hi:[0,0,1]
	v_pk_fma_f32 v[146:147], v[148:149], v[142:143], v[146:147] op_sel:[0,0,1] op_sel_hi:[1,0,0]
	s_delay_alu instid0(VALU_DEP_1)
	v_mov_b32_e32 v151, v147
	ds_load_b64 v[146:147], v178 offset:224
	v_pk_add_f32 v[112:113], v[112:113], v[152:153] neg_lo:[0,1] neg_hi:[0,1]
	v_pk_add_f32 v[110:111], v[110:111], v[150:151] neg_lo:[0,1] neg_hi:[0,1]
	s_wait_dscnt 0x0
	v_pk_mul_f32 v[144:145], v[146:147], v[144:145] op_sel:[0,1]
	s_delay_alu instid0(VALU_DEP_1) | instskip(SKIP_1) | instid1(VALU_DEP_1)
	v_pk_fma_f32 v[148:149], v[146:147], v[142:143], v[144:145] op_sel:[0,0,1] op_sel_hi:[1,1,0] neg_lo:[0,0,1] neg_hi:[0,0,1]
	v_pk_fma_f32 v[142:143], v[146:147], v[142:143], v[144:145] op_sel:[0,0,1] op_sel_hi:[1,0,0]
	v_mov_b32_e32 v149, v143
	s_delay_alu instid0(VALU_DEP_1)
	v_pk_add_f32 v[116:117], v[116:117], v[148:149] neg_lo:[0,1] neg_hi:[0,1]
.LBB57_109:
	s_or_b32 exec_lo, exec_lo, s1
	s_delay_alu instid0(SALU_CYCLE_1)
	s_mov_b32 s2, exec_lo
	s_wait_dscnt 0x0
	s_barrier_signal -1
	s_barrier_wait -1
	v_cmpx_eq_u32_e32 12, v176
	s_cbranch_execz .LBB57_116
; %bb.110:
	ds_store_b64 v177, v[62:63]
	ds_store_2addr_b64 v178, v[88:89], v[108:109] offset0:13 offset1:14
	ds_store_2addr_b64 v178, v[60:61], v[84:85] offset0:15 offset1:16
	;; [unrolled: 1-line block ×8, first 2 shown]
	ds_load_b64 v[142:143], v177
	s_wait_dscnt 0x0
	v_cmp_neq_f32_e32 vcc_lo, 0, v142
	v_cmp_neq_f32_e64 s1, 0, v143
	s_or_b32 s1, vcc_lo, s1
	s_delay_alu instid0(SALU_CYCLE_1)
	s_and_b32 exec_lo, exec_lo, s1
	s_cbranch_execz .LBB57_116
; %bb.111:
	v_cmp_ngt_f32_e64 s1, |v142|, |v143|
                                        ; implicit-def: $vgpr144_vgpr145
	s_and_saveexec_b32 s4, s1
	s_delay_alu instid0(SALU_CYCLE_1)
	s_xor_b32 s1, exec_lo, s4
	s_cbranch_execz .LBB57_113
; %bb.112:
	v_div_scale_f32 v144, null, v143, v143, v142
	v_div_scale_f32 v147, vcc_lo, v142, v143, v142
	s_delay_alu instid0(VALU_DEP_2) | instskip(SKIP_1) | instid1(TRANS32_DEP_1)
	v_rcp_f32_e32 v145, v144
	v_nop
	v_fma_f32 v146, -v144, v145, 1.0
	s_delay_alu instid0(VALU_DEP_1) | instskip(NEXT) | instid1(VALU_DEP_1)
	v_fmac_f32_e32 v145, v146, v145
	v_mul_f32_e32 v146, v147, v145
	s_delay_alu instid0(VALU_DEP_1) | instskip(NEXT) | instid1(VALU_DEP_1)
	v_fma_f32 v148, -v144, v146, v147
	v_fmac_f32_e32 v146, v148, v145
	s_delay_alu instid0(VALU_DEP_1) | instskip(NEXT) | instid1(VALU_DEP_1)
	v_fma_f32 v144, -v144, v146, v147
	v_div_fmas_f32 v144, v144, v145, v146
	s_delay_alu instid0(VALU_DEP_1) | instskip(NEXT) | instid1(VALU_DEP_1)
	v_div_fixup_f32 v144, v144, v143, v142
	v_fmac_f32_e32 v143, v142, v144
	s_delay_alu instid0(VALU_DEP_1) | instskip(SKIP_1) | instid1(VALU_DEP_2)
	v_div_scale_f32 v142, null, v143, v143, 1.0
	v_div_scale_f32 v147, vcc_lo, 1.0, v143, 1.0
	v_rcp_f32_e32 v145, v142
	v_nop
	s_delay_alu instid0(TRANS32_DEP_1) | instskip(NEXT) | instid1(VALU_DEP_1)
	v_fma_f32 v146, -v142, v145, 1.0
	v_fmac_f32_e32 v145, v146, v145
	s_delay_alu instid0(VALU_DEP_1) | instskip(NEXT) | instid1(VALU_DEP_1)
	v_mul_f32_e32 v146, v147, v145
	v_fma_f32 v148, -v142, v146, v147
	s_delay_alu instid0(VALU_DEP_1) | instskip(NEXT) | instid1(VALU_DEP_1)
	v_fmac_f32_e32 v146, v148, v145
	v_fma_f32 v142, -v142, v146, v147
	s_delay_alu instid0(VALU_DEP_1) | instskip(NEXT) | instid1(VALU_DEP_1)
	v_div_fmas_f32 v142, v142, v145, v146
	v_div_fixup_f32 v142, v142, v143, 1.0
	s_delay_alu instid0(VALU_DEP_1)
	v_mul_f32_e32 v144, v144, v142
	v_xor_b32_e32 v145, 0x80000000, v142
                                        ; implicit-def: $vgpr142_vgpr143
.LBB57_113:
	s_and_not1_saveexec_b32 s1, s1
	s_cbranch_execz .LBB57_115
; %bb.114:
	v_div_scale_f32 v144, null, v142, v142, v143
	v_div_scale_f32 v147, vcc_lo, v143, v142, v143
	s_delay_alu instid0(VALU_DEP_2) | instskip(SKIP_1) | instid1(TRANS32_DEP_1)
	v_rcp_f32_e32 v145, v144
	v_nop
	v_fma_f32 v146, -v144, v145, 1.0
	s_delay_alu instid0(VALU_DEP_1) | instskip(NEXT) | instid1(VALU_DEP_1)
	v_fmac_f32_e32 v145, v146, v145
	v_mul_f32_e32 v146, v147, v145
	s_delay_alu instid0(VALU_DEP_1) | instskip(NEXT) | instid1(VALU_DEP_1)
	v_fma_f32 v148, -v144, v146, v147
	v_fmac_f32_e32 v146, v148, v145
	s_delay_alu instid0(VALU_DEP_1) | instskip(NEXT) | instid1(VALU_DEP_1)
	v_fma_f32 v144, -v144, v146, v147
	v_div_fmas_f32 v144, v144, v145, v146
	s_delay_alu instid0(VALU_DEP_1) | instskip(NEXT) | instid1(VALU_DEP_1)
	v_div_fixup_f32 v145, v144, v142, v143
	v_fmac_f32_e32 v142, v143, v145
	s_delay_alu instid0(VALU_DEP_1) | instskip(NEXT) | instid1(VALU_DEP_1)
	v_div_scale_f32 v143, null, v142, v142, 1.0
	v_rcp_f32_e32 v144, v143
	v_nop
	s_delay_alu instid0(TRANS32_DEP_1) | instskip(NEXT) | instid1(VALU_DEP_1)
	v_fma_f32 v146, -v143, v144, 1.0
	v_fmac_f32_e32 v144, v146, v144
	v_div_scale_f32 v146, vcc_lo, 1.0, v142, 1.0
	s_delay_alu instid0(VALU_DEP_1) | instskip(NEXT) | instid1(VALU_DEP_1)
	v_mul_f32_e32 v147, v146, v144
	v_fma_f32 v148, -v143, v147, v146
	s_delay_alu instid0(VALU_DEP_1) | instskip(NEXT) | instid1(VALU_DEP_1)
	v_fmac_f32_e32 v147, v148, v144
	v_fma_f32 v143, -v143, v147, v146
	s_delay_alu instid0(VALU_DEP_1) | instskip(NEXT) | instid1(VALU_DEP_1)
	v_div_fmas_f32 v143, v143, v144, v147
	v_div_fixup_f32 v144, v143, v142, 1.0
	s_delay_alu instid0(VALU_DEP_1)
	v_mul_f32_e64 v145, v145, -v144
.LBB57_115:
	s_or_b32 exec_lo, exec_lo, s1
	ds_store_b64 v177, v[144:145]
.LBB57_116:
	s_or_b32 exec_lo, exec_lo, s2
	s_wait_dscnt 0x0
	s_barrier_signal -1
	s_barrier_wait -1
	ds_load_b64 v[142:143], v177
	s_mov_b32 s1, exec_lo
	v_cmpx_lt_u32_e32 12, v176
	s_cbranch_execz .LBB57_118
; %bb.117:
	ds_load_2addr_b64 v[148:151], v178 offset0:13 offset1:14
	s_wait_dscnt 0x1
	v_pk_mul_f32 v[146:147], v[142:143], v[62:63] op_sel:[1,1] op_sel_hi:[0,1]
	s_delay_alu instid0(VALU_DEP_1) | instskip(SKIP_1) | instid1(VALU_DEP_1)
	v_pk_fma_f32 v[144:145], v[142:143], v[62:63], v[146:147] op_sel_hi:[1,0,1] neg_lo:[0,0,1] neg_hi:[0,0,1]
	v_pk_fma_f32 v[146:147], v[142:143], v[62:63], v[146:147] op_sel_hi:[1,0,1]
	v_dual_mov_b32 v62, v144 :: v_dual_mov_b32 v63, v147
	s_wait_dscnt 0x0
	s_delay_alu instid0(VALU_DEP_2) | instskip(NEXT) | instid1(VALU_DEP_1)
	v_pk_mul_f32 v[152:153], v[148:149], v[146:147] op_sel:[0,1]
	v_pk_fma_f32 v[154:155], v[148:149], v[144:145], v[152:153] op_sel:[0,0,1] op_sel_hi:[1,1,0] neg_lo:[0,0,1] neg_hi:[0,0,1]
	v_pk_fma_f32 v[148:149], v[148:149], v[144:145], v[152:153] op_sel:[0,0,1] op_sel_hi:[1,0,0]
	s_delay_alu instid0(VALU_DEP_1) | instskip(SKIP_1) | instid1(VALU_DEP_1)
	v_mov_b32_e32 v155, v149
	v_pk_mul_f32 v[148:149], v[150:151], v[146:147] op_sel:[0,1]
	v_pk_fma_f32 v[152:153], v[150:151], v[144:145], v[148:149] op_sel:[0,0,1] op_sel_hi:[1,1,0] neg_lo:[0,0,1] neg_hi:[0,0,1]
	v_pk_fma_f32 v[148:149], v[150:151], v[144:145], v[148:149] op_sel:[0,0,1] op_sel_hi:[1,0,0]
	s_delay_alu instid0(VALU_DEP_1)
	v_mov_b32_e32 v153, v149
	ds_load_2addr_b64 v[148:151], v178 offset0:15 offset1:16
	v_pk_add_f32 v[88:89], v[88:89], v[154:155] neg_lo:[0,1] neg_hi:[0,1]
	v_pk_add_f32 v[108:109], v[108:109], v[152:153] neg_lo:[0,1] neg_hi:[0,1]
	s_wait_dscnt 0x0
	v_pk_mul_f32 v[152:153], v[148:149], v[146:147] op_sel:[0,1]
	s_delay_alu instid0(VALU_DEP_1) | instskip(SKIP_2) | instid1(VALU_DEP_2)
	v_pk_fma_f32 v[154:155], v[148:149], v[144:145], v[152:153] op_sel:[0,0,1] op_sel_hi:[1,1,0] neg_lo:[0,0,1] neg_hi:[0,0,1]
	v_pk_fma_f32 v[148:149], v[148:149], v[144:145], v[152:153] op_sel:[0,0,1] op_sel_hi:[1,0,0]
	v_dual_mul_f32 v152, v151, v147 :: v_dual_mov_b32 v148, v151
	v_dual_mov_b32 v155, v149 :: v_dual_mov_b32 v149, v150
	s_delay_alu instid0(VALU_DEP_2) | instskip(SKIP_1) | instid1(VALU_DEP_3)
	v_pk_fma_f32 v[152:153], v[150:151], v[62:63], v[152:153] op_sel_hi:[1,1,0] neg_lo:[0,0,1] neg_hi:[0,0,1]
	v_mul_f32_e32 v150, v151, v144
	v_pk_add_f32 v[60:61], v[60:61], v[154:155] neg_lo:[0,1] neg_hi:[0,1]
	s_delay_alu instid0(VALU_DEP_2) | instskip(NEXT) | instid1(VALU_DEP_1)
	v_pk_fma_f32 v[148:149], v[148:149], v[62:63], v[150:151] op_sel_hi:[1,1,0]
	v_mov_b32_e32 v153, v149
	ds_load_2addr_b64 v[148:151], v178 offset0:17 offset1:18
	v_pk_add_f32 v[84:85], v[84:85], v[152:153] neg_lo:[0,1] neg_hi:[0,1]
	s_wait_dscnt 0x0
	v_pk_mul_f32 v[152:153], v[148:149], v[146:147] op_sel:[0,1]
	s_delay_alu instid0(VALU_DEP_1) | instskip(SKIP_1) | instid1(VALU_DEP_1)
	v_pk_fma_f32 v[154:155], v[148:149], v[144:145], v[152:153] op_sel:[0,0,1] op_sel_hi:[1,1,0] neg_lo:[0,0,1] neg_hi:[0,0,1]
	v_pk_fma_f32 v[148:149], v[148:149], v[144:145], v[152:153] op_sel:[0,0,1] op_sel_hi:[1,0,0]
	v_mov_b32_e32 v155, v149
	v_pk_mul_f32 v[148:149], v[150:151], v[146:147] op_sel:[0,1]
	s_delay_alu instid0(VALU_DEP_1) | instskip(SKIP_1) | instid1(VALU_DEP_1)
	v_pk_fma_f32 v[152:153], v[150:151], v[144:145], v[148:149] op_sel:[0,0,1] op_sel_hi:[1,1,0] neg_lo:[0,0,1] neg_hi:[0,0,1]
	v_pk_fma_f32 v[148:149], v[150:151], v[144:145], v[148:149] op_sel:[0,0,1] op_sel_hi:[1,0,0]
	v_mov_b32_e32 v153, v149
	ds_load_2addr_b64 v[148:151], v178 offset0:19 offset1:20
	v_pk_add_f32 v[80:81], v[80:81], v[154:155] neg_lo:[0,1] neg_hi:[0,1]
	v_pk_add_f32 v[82:83], v[82:83], v[152:153] neg_lo:[0,1] neg_hi:[0,1]
	s_wait_dscnt 0x0
	v_pk_mul_f32 v[152:153], v[148:149], v[146:147] op_sel:[0,1]
	s_delay_alu instid0(VALU_DEP_1) | instskip(SKIP_1) | instid1(VALU_DEP_1)
	v_pk_fma_f32 v[154:155], v[148:149], v[144:145], v[152:153] op_sel:[0,0,1] op_sel_hi:[1,1,0] neg_lo:[0,0,1] neg_hi:[0,0,1]
	v_pk_fma_f32 v[148:149], v[148:149], v[144:145], v[152:153] op_sel:[0,0,1] op_sel_hi:[1,0,0]
	v_mov_b32_e32 v155, v149
	v_pk_mul_f32 v[148:149], v[150:151], v[146:147] op_sel:[0,1]
	s_delay_alu instid0(VALU_DEP_1) | instskip(SKIP_1) | instid1(VALU_DEP_1)
	v_pk_fma_f32 v[152:153], v[150:151], v[144:145], v[148:149] op_sel:[0,0,1] op_sel_hi:[1,1,0] neg_lo:[0,0,1] neg_hi:[0,0,1]
	v_pk_fma_f32 v[148:149], v[150:151], v[144:145], v[148:149] op_sel:[0,0,1] op_sel_hi:[1,0,0]
	v_mov_b32_e32 v153, v149
	ds_load_2addr_b64 v[148:151], v178 offset0:21 offset1:22
	v_pk_add_f32 v[78:79], v[78:79], v[154:155] neg_lo:[0,1] neg_hi:[0,1]
	v_pk_add_f32 v[106:107], v[106:107], v[152:153] neg_lo:[0,1] neg_hi:[0,1]
	s_wait_dscnt 0x0
	v_dual_mul_f32 v152, v149, v147 :: v_dual_mul_f32 v154, v149, v144
	s_delay_alu instid0(VALU_DEP_1) | instskip(NEXT) | instid1(VALU_DEP_2)
	v_pk_fma_f32 v[152:153], v[148:149], v[62:63], v[152:153] op_sel_hi:[1,1,0] neg_lo:[0,0,1] neg_hi:[0,0,1]
	v_pk_fma_f32 v[148:149], v[148:149], v[62:63], v[154:155] op_sel:[1,0,0] op_sel_hi:[0,1,0]
	s_delay_alu instid0(VALU_DEP_1) | instskip(SKIP_1) | instid1(VALU_DEP_2)
	v_mov_b32_e32 v153, v149
	v_pk_mul_f32 v[148:149], v[150:151], v[146:147] op_sel:[0,1]
	v_pk_add_f32 v[100:101], v[100:101], v[152:153] neg_lo:[0,1] neg_hi:[0,1]
	s_delay_alu instid0(VALU_DEP_2) | instskip(SKIP_1) | instid1(VALU_DEP_1)
	v_pk_fma_f32 v[152:153], v[150:151], v[144:145], v[148:149] op_sel:[0,0,1] op_sel_hi:[1,1,0] neg_lo:[0,0,1] neg_hi:[0,0,1]
	v_pk_fma_f32 v[148:149], v[150:151], v[144:145], v[148:149] op_sel:[0,0,1] op_sel_hi:[1,0,0]
	v_mov_b32_e32 v153, v149
	ds_load_2addr_b64 v[148:151], v178 offset0:23 offset1:24
	v_pk_add_f32 v[104:105], v[104:105], v[152:153] neg_lo:[0,1] neg_hi:[0,1]
	s_wait_dscnt 0x0
	v_pk_mul_f32 v[152:153], v[148:149], v[146:147] op_sel:[0,1]
	s_delay_alu instid0(VALU_DEP_1) | instskip(SKIP_1) | instid1(VALU_DEP_1)
	v_pk_fma_f32 v[154:155], v[148:149], v[144:145], v[152:153] op_sel:[0,0,1] op_sel_hi:[1,1,0] neg_lo:[0,0,1] neg_hi:[0,0,1]
	v_pk_fma_f32 v[148:149], v[148:149], v[144:145], v[152:153] op_sel:[0,0,1] op_sel_hi:[1,0,0]
	v_mov_b32_e32 v155, v149
	v_pk_mul_f32 v[148:149], v[150:151], v[146:147] op_sel:[0,1]
	s_delay_alu instid0(VALU_DEP_2) | instskip(NEXT) | instid1(VALU_DEP_2)
	v_pk_add_f32 v[98:99], v[98:99], v[154:155] neg_lo:[0,1] neg_hi:[0,1]
	v_pk_fma_f32 v[152:153], v[150:151], v[144:145], v[148:149] op_sel:[0,0,1] op_sel_hi:[1,1,0] neg_lo:[0,0,1] neg_hi:[0,0,1]
	v_pk_fma_f32 v[148:149], v[150:151], v[144:145], v[148:149] op_sel:[0,0,1] op_sel_hi:[1,0,0]
	s_delay_alu instid0(VALU_DEP_1) | instskip(SKIP_4) | instid1(VALU_DEP_1)
	v_mov_b32_e32 v153, v149
	ds_load_2addr_b64 v[148:151], v178 offset0:25 offset1:26
	v_pk_add_f32 v[102:103], v[102:103], v[152:153] neg_lo:[0,1] neg_hi:[0,1]
	s_wait_dscnt 0x0
	v_pk_mul_f32 v[152:153], v[148:149], v[146:147] op_sel:[0,1]
	v_pk_fma_f32 v[154:155], v[148:149], v[144:145], v[152:153] op_sel:[0,0,1] op_sel_hi:[1,1,0] neg_lo:[0,0,1] neg_hi:[0,0,1]
	v_pk_fma_f32 v[148:149], v[148:149], v[144:145], v[152:153] op_sel:[0,0,1] op_sel_hi:[1,0,0]
	v_dual_mul_f32 v152, v151, v147 :: v_dual_mov_b32 v148, v151
	s_delay_alu instid0(VALU_DEP_2) | instskip(NEXT) | instid1(VALU_DEP_2)
	v_dual_mov_b32 v155, v149 :: v_dual_mov_b32 v149, v150
	v_pk_fma_f32 v[152:153], v[150:151], v[62:63], v[152:153] op_sel_hi:[1,1,0] neg_lo:[0,0,1] neg_hi:[0,0,1]
	v_mul_f32_e32 v150, v151, v144
	s_delay_alu instid0(VALU_DEP_3) | instskip(NEXT) | instid1(VALU_DEP_2)
	v_pk_add_f32 v[114:115], v[114:115], v[154:155] neg_lo:[0,1] neg_hi:[0,1]
	v_pk_fma_f32 v[148:149], v[148:149], v[62:63], v[150:151] op_sel_hi:[1,1,0]
	s_delay_alu instid0(VALU_DEP_1)
	v_mov_b32_e32 v153, v149
	ds_load_2addr_b64 v[148:151], v178 offset0:27 offset1:28
	v_pk_add_f32 v[112:113], v[112:113], v[152:153] neg_lo:[0,1] neg_hi:[0,1]
	s_wait_dscnt 0x0
	v_pk_mul_f32 v[152:153], v[148:149], v[146:147] op_sel:[0,1]
	v_pk_mul_f32 v[146:147], v[150:151], v[146:147] op_sel:[0,1]
	s_delay_alu instid0(VALU_DEP_2) | instskip(SKIP_1) | instid1(VALU_DEP_1)
	v_pk_fma_f32 v[154:155], v[148:149], v[144:145], v[152:153] op_sel:[0,0,1] op_sel_hi:[1,1,0] neg_lo:[0,0,1] neg_hi:[0,0,1]
	v_pk_fma_f32 v[148:149], v[148:149], v[144:145], v[152:153] op_sel:[0,0,1] op_sel_hi:[1,0,0]
	v_mov_b32_e32 v155, v149
	s_delay_alu instid0(VALU_DEP_4) | instskip(SKIP_1) | instid1(VALU_DEP_1)
	v_pk_fma_f32 v[148:149], v[150:151], v[144:145], v[146:147] op_sel:[0,0,1] op_sel_hi:[1,1,0] neg_lo:[0,0,1] neg_hi:[0,0,1]
	v_pk_fma_f32 v[144:145], v[150:151], v[144:145], v[146:147] op_sel:[0,0,1] op_sel_hi:[1,0,0]
	v_mov_b32_e32 v149, v145
	s_delay_alu instid0(VALU_DEP_4) | instskip(NEXT) | instid1(VALU_DEP_2)
	v_pk_add_f32 v[110:111], v[110:111], v[154:155] neg_lo:[0,1] neg_hi:[0,1]
	v_pk_add_f32 v[116:117], v[116:117], v[148:149] neg_lo:[0,1] neg_hi:[0,1]
.LBB57_118:
	s_or_b32 exec_lo, exec_lo, s1
	s_delay_alu instid0(SALU_CYCLE_1)
	s_mov_b32 s2, exec_lo
	s_wait_dscnt 0x0
	s_barrier_signal -1
	s_barrier_wait -1
	v_cmpx_eq_u32_e32 13, v176
	s_cbranch_execz .LBB57_125
; %bb.119:
	v_dual_mov_b32 v144, v108 :: v_dual_mov_b32 v145, v109
	v_dual_mov_b32 v146, v60 :: v_dual_mov_b32 v147, v61
	ds_store_b64 v177, v[88:89]
	ds_store_2addr_b64 v178, v[144:145], v[146:147] offset0:14 offset1:15
	v_dual_mov_b32 v144, v84 :: v_dual_mov_b32 v145, v85
	v_dual_mov_b32 v146, v80 :: v_dual_mov_b32 v147, v81
	ds_store_2addr_b64 v178, v[144:145], v[146:147] offset0:16 offset1:17
	v_dual_mov_b32 v144, v82 :: v_dual_mov_b32 v145, v83
	v_dual_mov_b32 v146, v78 :: v_dual_mov_b32 v147, v79
	;; [unrolled: 3-line block ×6, first 2 shown]
	ds_store_2addr_b64 v178, v[144:145], v[146:147] offset0:26 offset1:27
	ds_store_b64 v178, v[116:117] offset:224
	ds_load_b64 v[144:145], v177
	s_wait_dscnt 0x0
	v_cmp_neq_f32_e32 vcc_lo, 0, v144
	v_cmp_neq_f32_e64 s1, 0, v145
	s_or_b32 s1, vcc_lo, s1
	s_delay_alu instid0(SALU_CYCLE_1)
	s_and_b32 exec_lo, exec_lo, s1
	s_cbranch_execz .LBB57_125
; %bb.120:
	v_cmp_ngt_f32_e64 s1, |v144|, |v145|
                                        ; implicit-def: $vgpr146_vgpr147
	s_and_saveexec_b32 s4, s1
	s_delay_alu instid0(SALU_CYCLE_1)
	s_xor_b32 s1, exec_lo, s4
	s_cbranch_execz .LBB57_122
; %bb.121:
	v_div_scale_f32 v146, null, v145, v145, v144
	v_div_scale_f32 v149, vcc_lo, v144, v145, v144
	s_delay_alu instid0(VALU_DEP_2) | instskip(SKIP_1) | instid1(TRANS32_DEP_1)
	v_rcp_f32_e32 v147, v146
	v_nop
	v_fma_f32 v148, -v146, v147, 1.0
	s_delay_alu instid0(VALU_DEP_1) | instskip(NEXT) | instid1(VALU_DEP_1)
	v_fmac_f32_e32 v147, v148, v147
	v_mul_f32_e32 v148, v149, v147
	s_delay_alu instid0(VALU_DEP_1) | instskip(NEXT) | instid1(VALU_DEP_1)
	v_fma_f32 v150, -v146, v148, v149
	v_fmac_f32_e32 v148, v150, v147
	s_delay_alu instid0(VALU_DEP_1) | instskip(NEXT) | instid1(VALU_DEP_1)
	v_fma_f32 v146, -v146, v148, v149
	v_div_fmas_f32 v146, v146, v147, v148
	s_delay_alu instid0(VALU_DEP_1) | instskip(NEXT) | instid1(VALU_DEP_1)
	v_div_fixup_f32 v146, v146, v145, v144
	v_fmac_f32_e32 v145, v144, v146
	s_delay_alu instid0(VALU_DEP_1) | instskip(SKIP_1) | instid1(VALU_DEP_2)
	v_div_scale_f32 v144, null, v145, v145, 1.0
	v_div_scale_f32 v149, vcc_lo, 1.0, v145, 1.0
	v_rcp_f32_e32 v147, v144
	v_nop
	s_delay_alu instid0(TRANS32_DEP_1) | instskip(NEXT) | instid1(VALU_DEP_1)
	v_fma_f32 v148, -v144, v147, 1.0
	v_fmac_f32_e32 v147, v148, v147
	s_delay_alu instid0(VALU_DEP_1) | instskip(NEXT) | instid1(VALU_DEP_1)
	v_mul_f32_e32 v148, v149, v147
	v_fma_f32 v150, -v144, v148, v149
	s_delay_alu instid0(VALU_DEP_1) | instskip(NEXT) | instid1(VALU_DEP_1)
	v_fmac_f32_e32 v148, v150, v147
	v_fma_f32 v144, -v144, v148, v149
	s_delay_alu instid0(VALU_DEP_1) | instskip(NEXT) | instid1(VALU_DEP_1)
	v_div_fmas_f32 v144, v144, v147, v148
	v_div_fixup_f32 v144, v144, v145, 1.0
	s_delay_alu instid0(VALU_DEP_1)
	v_mul_f32_e32 v146, v146, v144
	v_xor_b32_e32 v147, 0x80000000, v144
                                        ; implicit-def: $vgpr144_vgpr145
.LBB57_122:
	s_and_not1_saveexec_b32 s1, s1
	s_cbranch_execz .LBB57_124
; %bb.123:
	v_div_scale_f32 v146, null, v144, v144, v145
	v_div_scale_f32 v149, vcc_lo, v145, v144, v145
	s_delay_alu instid0(VALU_DEP_2) | instskip(SKIP_1) | instid1(TRANS32_DEP_1)
	v_rcp_f32_e32 v147, v146
	v_nop
	v_fma_f32 v148, -v146, v147, 1.0
	s_delay_alu instid0(VALU_DEP_1) | instskip(NEXT) | instid1(VALU_DEP_1)
	v_fmac_f32_e32 v147, v148, v147
	v_mul_f32_e32 v148, v149, v147
	s_delay_alu instid0(VALU_DEP_1) | instskip(NEXT) | instid1(VALU_DEP_1)
	v_fma_f32 v150, -v146, v148, v149
	v_fmac_f32_e32 v148, v150, v147
	s_delay_alu instid0(VALU_DEP_1) | instskip(NEXT) | instid1(VALU_DEP_1)
	v_fma_f32 v146, -v146, v148, v149
	v_div_fmas_f32 v146, v146, v147, v148
	s_delay_alu instid0(VALU_DEP_1) | instskip(NEXT) | instid1(VALU_DEP_1)
	v_div_fixup_f32 v147, v146, v144, v145
	v_fmac_f32_e32 v144, v145, v147
	s_delay_alu instid0(VALU_DEP_1) | instskip(NEXT) | instid1(VALU_DEP_1)
	v_div_scale_f32 v145, null, v144, v144, 1.0
	v_rcp_f32_e32 v146, v145
	v_nop
	s_delay_alu instid0(TRANS32_DEP_1) | instskip(NEXT) | instid1(VALU_DEP_1)
	v_fma_f32 v148, -v145, v146, 1.0
	v_fmac_f32_e32 v146, v148, v146
	v_div_scale_f32 v148, vcc_lo, 1.0, v144, 1.0
	s_delay_alu instid0(VALU_DEP_1) | instskip(NEXT) | instid1(VALU_DEP_1)
	v_mul_f32_e32 v149, v148, v146
	v_fma_f32 v150, -v145, v149, v148
	s_delay_alu instid0(VALU_DEP_1) | instskip(NEXT) | instid1(VALU_DEP_1)
	v_fmac_f32_e32 v149, v150, v146
	v_fma_f32 v145, -v145, v149, v148
	s_delay_alu instid0(VALU_DEP_1) | instskip(NEXT) | instid1(VALU_DEP_1)
	v_div_fmas_f32 v145, v145, v146, v149
	v_div_fixup_f32 v146, v145, v144, 1.0
	s_delay_alu instid0(VALU_DEP_1)
	v_mul_f32_e64 v147, v147, -v146
.LBB57_124:
	s_or_b32 exec_lo, exec_lo, s1
	ds_store_b64 v177, v[146:147]
.LBB57_125:
	s_or_b32 exec_lo, exec_lo, s2
	s_wait_dscnt 0x0
	s_barrier_signal -1
	s_barrier_wait -1
	ds_load_b64 v[144:145], v177
	s_mov_b32 s1, exec_lo
	v_cmpx_lt_u32_e32 13, v176
	s_cbranch_execz .LBB57_127
; %bb.126:
	ds_load_2addr_b64 v[146:149], v178 offset0:14 offset1:15
	ds_load_2addr_b64 v[150:153], v178 offset0:16 offset1:17
	;; [unrolled: 1-line block ×3, first 2 shown]
	s_wait_dscnt 0x3
	v_pk_mul_f32 v[162:163], v[144:145], v[88:89] op_sel:[1,1] op_sel_hi:[0,1]
	ds_load_2addr_b64 v[158:161], v178 offset0:20 offset1:21
	v_pk_fma_f32 v[168:169], v[144:145], v[88:89], v[162:163] op_sel_hi:[1,0,1]
	v_pk_fma_f32 v[166:167], v[144:145], v[88:89], v[162:163] op_sel_hi:[1,0,1] neg_lo:[0,0,1] neg_hi:[0,0,1]
	ds_load_2addr_b64 v[162:165], v178 offset0:22 offset1:23
	v_dual_mov_b32 v89, v169 :: v_dual_mov_b32 v88, v166
	s_wait_dscnt 0x4
	v_pk_mul_f32 v[170:171], v[146:147], v[168:169] op_sel:[0,1]
	v_pk_mul_f32 v[172:173], v[148:149], v[168:169] op_sel:[0,1]
	s_wait_dscnt 0x3
	v_pk_mul_f32 v[174:175], v[150:151], v[168:169] op_sel:[0,1]
	s_wait_dscnt 0x2
	v_pk_mul_f32 v[186:187], v[154:155], v[168:169] op_sel:[0,1]
	v_dual_mov_b32 v180, v153 :: v_dual_mov_b32 v181, v152
	v_pk_fma_f32 v[192:193], v[146:147], v[166:167], v[170:171] op_sel:[0,0,1] op_sel_hi:[1,1,0] neg_lo:[0,0,1] neg_hi:[0,0,1]
	v_pk_fma_f32 v[146:147], v[146:147], v[166:167], v[170:171] op_sel:[0,0,1] op_sel_hi:[1,0,0]
	v_pk_fma_f32 v[170:171], v[148:149], v[166:167], v[172:173] op_sel:[0,0,1] op_sel_hi:[1,1,0] neg_lo:[0,0,1] neg_hi:[0,0,1]
	v_pk_fma_f32 v[148:149], v[148:149], v[166:167], v[172:173] op_sel:[0,0,1] op_sel_hi:[1,0,0]
	v_dual_mul_f32 v182, v153, v169 :: v_dual_mul_f32 v184, v153, v166
	v_pk_fma_f32 v[172:173], v[150:151], v[166:167], v[174:175] op_sel:[0,0,1] op_sel_hi:[1,1,0] neg_lo:[0,0,1] neg_hi:[0,0,1]
	v_pk_fma_f32 v[150:151], v[150:151], v[166:167], v[174:175] op_sel:[0,0,1] op_sel_hi:[1,0,0]
	v_pk_mul_f32 v[188:189], v[156:157], v[168:169] op_sel:[0,1]
	v_dual_mov_b32 v193, v147 :: v_dual_mov_b32 v171, v149
	v_pk_fma_f32 v[146:147], v[154:155], v[166:167], v[186:187] op_sel:[0,0,1] op_sel_hi:[1,0,0]
	s_wait_dscnt 0x1
	v_pk_mul_f32 v[190:191], v[158:159], v[168:169] op_sel:[0,1]
	v_pk_fma_f32 v[174:175], v[180:181], v[88:89], v[184:185] op_sel_hi:[1,1,0]
	v_mov_b32_e32 v173, v151
	v_pk_fma_f32 v[150:151], v[154:155], v[166:167], v[186:187] op_sel:[0,0,1] op_sel_hi:[1,1,0] neg_lo:[0,0,1] neg_hi:[0,0,1]
	v_pk_fma_f32 v[154:155], v[156:157], v[166:167], v[188:189] op_sel:[0,0,1] op_sel_hi:[1,0,0]
	v_mov_b32_e32 v151, v147
	ds_load_2addr_b64 v[146:149], v178 offset0:24 offset1:25
	v_pk_fma_f32 v[152:153], v[152:153], v[88:89], v[182:183] op_sel_hi:[1,1,0] neg_lo:[0,0,1] neg_hi:[0,0,1]
	v_pk_add_f32 v[60:61], v[60:61], v[170:171] neg_lo:[0,1] neg_hi:[0,1]
	v_pk_fma_f32 v[170:171], v[158:159], v[166:167], v[190:191] op_sel:[0,0,1] op_sel_hi:[1,0,0]
	v_mov_b32_e32 v153, v175
	v_pk_fma_f32 v[156:157], v[156:157], v[166:167], v[188:189] op_sel:[0,0,1] op_sel_hi:[1,1,0] neg_lo:[0,0,1] neg_hi:[0,0,1]
	v_mov_b32_e32 v157, v155
	v_pk_fma_f32 v[154:155], v[158:159], v[166:167], v[190:191] op_sel:[0,0,1] op_sel_hi:[1,1,0] neg_lo:[0,0,1] neg_hi:[0,0,1]
	v_pk_mul_f32 v[158:159], v[160:161], v[168:169] op_sel:[0,1]
	v_mov_b32_e32 v155, v171
	v_pk_add_f32 v[80:81], v[80:81], v[152:153] neg_lo:[0,1] neg_hi:[0,1]
	v_pk_add_f32 v[82:83], v[82:83], v[150:151] neg_lo:[0,1] neg_hi:[0,1]
	ds_load_2addr_b64 v[150:153], v178 offset0:26 offset1:27
	v_pk_add_f32 v[84:85], v[84:85], v[172:173] neg_lo:[0,1] neg_hi:[0,1]
	v_pk_add_f32 v[78:79], v[78:79], v[156:157] neg_lo:[0,1] neg_hi:[0,1]
	v_pk_fma_f32 v[156:157], v[160:161], v[166:167], v[158:159] op_sel:[0,0,1] op_sel_hi:[1,0,0]
	ds_load_b64 v[172:173], v178 offset:224
	v_pk_add_f32 v[106:107], v[106:107], v[154:155] neg_lo:[0,1] neg_hi:[0,1]
	v_pk_fma_f32 v[154:155], v[160:161], v[166:167], v[158:159] op_sel:[0,0,1] op_sel_hi:[1,1,0] neg_lo:[0,0,1] neg_hi:[0,0,1]
	s_wait_dscnt 0x3
	v_dual_mul_f32 v156, v163, v166 :: v_dual_mul_f32 v160, v163, v169
	v_pk_mul_f32 v[158:159], v[164:165], v[168:169] op_sel:[0,1]
	v_pk_add_f32 v[108:109], v[108:109], v[192:193] neg_lo:[0,1] neg_hi:[0,1]
	s_delay_alu instid0(VALU_DEP_3) | instskip(NEXT) | instid1(VALU_DEP_3)
	v_pk_fma_f32 v[160:161], v[162:163], v[88:89], v[160:161] op_sel_hi:[1,1,0] neg_lo:[0,0,1] neg_hi:[0,0,1]
	v_pk_fma_f32 v[170:171], v[164:165], v[166:167], v[158:159] op_sel:[0,0,1] op_sel_hi:[1,0,0]
	v_mov_b32_e32 v155, v157
	v_pk_fma_f32 v[156:157], v[162:163], v[88:89], v[156:157] op_sel:[1,0,0] op_sel_hi:[0,1,0]
	s_wait_dscnt 0x2
	v_pk_mul_f32 v[162:163], v[146:147], v[168:169] op_sel:[0,1]
	s_delay_alu instid0(VALU_DEP_2)
	v_mov_b32_e32 v161, v157
	v_pk_fma_f32 v[156:157], v[164:165], v[166:167], v[158:159] op_sel:[0,0,1] op_sel_hi:[1,1,0] neg_lo:[0,0,1] neg_hi:[0,0,1]
	v_mov_b32_e32 v157, v171
	v_pk_add_f32 v[100:101], v[100:101], v[154:155] neg_lo:[0,1] neg_hi:[0,1]
	v_pk_fma_f32 v[154:155], v[146:147], v[166:167], v[162:163] op_sel:[0,0,1] op_sel_hi:[1,0,0]
	v_pk_mul_f32 v[158:159], v[148:149], v[168:169] op_sel:[0,1]
	v_pk_fma_f32 v[146:147], v[146:147], v[166:167], v[162:163] op_sel:[0,0,1] op_sel_hi:[1,1,0] neg_lo:[0,0,1] neg_hi:[0,0,1]
	v_pk_add_f32 v[98:99], v[98:99], v[156:157] neg_lo:[0,1] neg_hi:[0,1]
	s_wait_dscnt 0x1
	v_pk_mul_f32 v[156:157], v[150:151], v[168:169] op_sel:[0,1]
	v_mov_b32_e32 v147, v155
	v_pk_fma_f32 v[154:155], v[148:149], v[166:167], v[158:159] op_sel:[0,0,1] op_sel_hi:[1,1,0] neg_lo:[0,0,1] neg_hi:[0,0,1]
	v_pk_fma_f32 v[148:149], v[148:149], v[166:167], v[158:159] op_sel:[0,0,1] op_sel_hi:[1,0,0]
	v_dual_mov_b32 v158, v153 :: v_dual_mov_b32 v159, v152
	v_mul_f32_e32 v148, v153, v166
	v_pk_add_f32 v[104:105], v[104:105], v[160:161] neg_lo:[0,1] neg_hi:[0,1]
	s_wait_dscnt 0x0
	v_pk_mul_f32 v[160:161], v[172:173], v[168:169] op_sel:[0,1]
	v_pk_fma_f32 v[162:163], v[150:151], v[166:167], v[156:157] op_sel:[0,0,1] op_sel_hi:[1,0,0]
	v_mul_f32_e32 v162, v153, v169
	v_mov_b32_e32 v155, v149
	v_pk_fma_f32 v[148:149], v[158:159], v[88:89], v[148:149] op_sel_hi:[1,1,0]
	v_pk_fma_f32 v[150:151], v[150:151], v[166:167], v[156:157] op_sel:[0,0,1] op_sel_hi:[1,1,0] neg_lo:[0,0,1] neg_hi:[0,0,1]
	v_pk_fma_f32 v[156:157], v[172:173], v[166:167], v[160:161] op_sel:[0,0,1] op_sel_hi:[1,0,0]
	v_pk_fma_f32 v[152:153], v[152:153], v[88:89], v[162:163] op_sel_hi:[1,1,0] neg_lo:[0,0,1] neg_hi:[0,0,1]
	s_delay_alu instid0(VALU_DEP_4) | instskip(SKIP_1) | instid1(VALU_DEP_4)
	v_dual_mov_b32 v151, v163 :: v_dual_mov_b32 v153, v149
	v_pk_fma_f32 v[148:149], v[172:173], v[166:167], v[160:161] op_sel:[0,0,1] op_sel_hi:[1,1,0] neg_lo:[0,0,1] neg_hi:[0,0,1]
	v_mov_b32_e32 v149, v157
	v_pk_add_f32 v[102:103], v[102:103], v[146:147] neg_lo:[0,1] neg_hi:[0,1]
	v_pk_add_f32 v[114:115], v[114:115], v[154:155] neg_lo:[0,1] neg_hi:[0,1]
	v_pk_add_f32 v[112:113], v[112:113], v[150:151] neg_lo:[0,1] neg_hi:[0,1]
	v_pk_add_f32 v[110:111], v[110:111], v[152:153] neg_lo:[0,1] neg_hi:[0,1]
	v_pk_add_f32 v[116:117], v[116:117], v[148:149] neg_lo:[0,1] neg_hi:[0,1]
.LBB57_127:
	s_or_b32 exec_lo, exec_lo, s1
	s_delay_alu instid0(SALU_CYCLE_1)
	s_mov_b32 s2, exec_lo
	s_wait_dscnt 0x0
	s_barrier_signal -1
	s_barrier_wait -1
	v_cmpx_eq_u32_e32 14, v176
	s_cbranch_execz .LBB57_134
; %bb.128:
	ds_store_b64 v177, v[108:109]
	ds_store_2addr_b64 v178, v[60:61], v[84:85] offset0:15 offset1:16
	ds_store_2addr_b64 v178, v[80:81], v[82:83] offset0:17 offset1:18
	;; [unrolled: 1-line block ×7, first 2 shown]
	ds_load_b64 v[146:147], v177
	s_wait_dscnt 0x0
	v_cmp_neq_f32_e32 vcc_lo, 0, v146
	v_cmp_neq_f32_e64 s1, 0, v147
	s_or_b32 s1, vcc_lo, s1
	s_delay_alu instid0(SALU_CYCLE_1)
	s_and_b32 exec_lo, exec_lo, s1
	s_cbranch_execz .LBB57_134
; %bb.129:
	v_cmp_ngt_f32_e64 s1, |v146|, |v147|
                                        ; implicit-def: $vgpr148_vgpr149
	s_and_saveexec_b32 s4, s1
	s_delay_alu instid0(SALU_CYCLE_1)
	s_xor_b32 s1, exec_lo, s4
	s_cbranch_execz .LBB57_131
; %bb.130:
	v_div_scale_f32 v148, null, v147, v147, v146
	v_div_scale_f32 v151, vcc_lo, v146, v147, v146
	s_delay_alu instid0(VALU_DEP_2) | instskip(SKIP_1) | instid1(TRANS32_DEP_1)
	v_rcp_f32_e32 v149, v148
	v_nop
	v_fma_f32 v150, -v148, v149, 1.0
	s_delay_alu instid0(VALU_DEP_1) | instskip(NEXT) | instid1(VALU_DEP_1)
	v_fmac_f32_e32 v149, v150, v149
	v_mul_f32_e32 v150, v151, v149
	s_delay_alu instid0(VALU_DEP_1) | instskip(NEXT) | instid1(VALU_DEP_1)
	v_fma_f32 v152, -v148, v150, v151
	v_fmac_f32_e32 v150, v152, v149
	s_delay_alu instid0(VALU_DEP_1) | instskip(NEXT) | instid1(VALU_DEP_1)
	v_fma_f32 v148, -v148, v150, v151
	v_div_fmas_f32 v148, v148, v149, v150
	s_delay_alu instid0(VALU_DEP_1) | instskip(NEXT) | instid1(VALU_DEP_1)
	v_div_fixup_f32 v148, v148, v147, v146
	v_fmac_f32_e32 v147, v146, v148
	s_delay_alu instid0(VALU_DEP_1) | instskip(SKIP_1) | instid1(VALU_DEP_2)
	v_div_scale_f32 v146, null, v147, v147, 1.0
	v_div_scale_f32 v151, vcc_lo, 1.0, v147, 1.0
	v_rcp_f32_e32 v149, v146
	v_nop
	s_delay_alu instid0(TRANS32_DEP_1) | instskip(NEXT) | instid1(VALU_DEP_1)
	v_fma_f32 v150, -v146, v149, 1.0
	v_fmac_f32_e32 v149, v150, v149
	s_delay_alu instid0(VALU_DEP_1) | instskip(NEXT) | instid1(VALU_DEP_1)
	v_mul_f32_e32 v150, v151, v149
	v_fma_f32 v152, -v146, v150, v151
	s_delay_alu instid0(VALU_DEP_1) | instskip(NEXT) | instid1(VALU_DEP_1)
	v_fmac_f32_e32 v150, v152, v149
	v_fma_f32 v146, -v146, v150, v151
	s_delay_alu instid0(VALU_DEP_1) | instskip(NEXT) | instid1(VALU_DEP_1)
	v_div_fmas_f32 v146, v146, v149, v150
	v_div_fixup_f32 v146, v146, v147, 1.0
	s_delay_alu instid0(VALU_DEP_1)
	v_mul_f32_e32 v148, v148, v146
	v_xor_b32_e32 v149, 0x80000000, v146
                                        ; implicit-def: $vgpr146_vgpr147
.LBB57_131:
	s_and_not1_saveexec_b32 s1, s1
	s_cbranch_execz .LBB57_133
; %bb.132:
	v_div_scale_f32 v148, null, v146, v146, v147
	v_div_scale_f32 v151, vcc_lo, v147, v146, v147
	s_delay_alu instid0(VALU_DEP_2) | instskip(SKIP_1) | instid1(TRANS32_DEP_1)
	v_rcp_f32_e32 v149, v148
	v_nop
	v_fma_f32 v150, -v148, v149, 1.0
	s_delay_alu instid0(VALU_DEP_1) | instskip(NEXT) | instid1(VALU_DEP_1)
	v_fmac_f32_e32 v149, v150, v149
	v_mul_f32_e32 v150, v151, v149
	s_delay_alu instid0(VALU_DEP_1) | instskip(NEXT) | instid1(VALU_DEP_1)
	v_fma_f32 v152, -v148, v150, v151
	v_fmac_f32_e32 v150, v152, v149
	s_delay_alu instid0(VALU_DEP_1) | instskip(NEXT) | instid1(VALU_DEP_1)
	v_fma_f32 v148, -v148, v150, v151
	v_div_fmas_f32 v148, v148, v149, v150
	s_delay_alu instid0(VALU_DEP_1) | instskip(NEXT) | instid1(VALU_DEP_1)
	v_div_fixup_f32 v149, v148, v146, v147
	v_fmac_f32_e32 v146, v147, v149
	s_delay_alu instid0(VALU_DEP_1) | instskip(NEXT) | instid1(VALU_DEP_1)
	v_div_scale_f32 v147, null, v146, v146, 1.0
	v_rcp_f32_e32 v148, v147
	v_nop
	s_delay_alu instid0(TRANS32_DEP_1) | instskip(NEXT) | instid1(VALU_DEP_1)
	v_fma_f32 v150, -v147, v148, 1.0
	v_fmac_f32_e32 v148, v150, v148
	v_div_scale_f32 v150, vcc_lo, 1.0, v146, 1.0
	s_delay_alu instid0(VALU_DEP_1) | instskip(NEXT) | instid1(VALU_DEP_1)
	v_mul_f32_e32 v151, v150, v148
	v_fma_f32 v152, -v147, v151, v150
	s_delay_alu instid0(VALU_DEP_1) | instskip(NEXT) | instid1(VALU_DEP_1)
	v_fmac_f32_e32 v151, v152, v148
	v_fma_f32 v147, -v147, v151, v150
	s_delay_alu instid0(VALU_DEP_1) | instskip(NEXT) | instid1(VALU_DEP_1)
	v_div_fmas_f32 v147, v147, v148, v151
	v_div_fixup_f32 v148, v147, v146, 1.0
	s_delay_alu instid0(VALU_DEP_1)
	v_mul_f32_e64 v149, v149, -v148
.LBB57_133:
	s_or_b32 exec_lo, exec_lo, s1
	ds_store_b64 v177, v[148:149]
.LBB57_134:
	s_or_b32 exec_lo, exec_lo, s2
	s_wait_dscnt 0x0
	s_barrier_signal -1
	s_barrier_wait -1
	ds_load_b64 v[146:147], v177
	s_mov_b32 s1, exec_lo
	v_cmpx_lt_u32_e32 14, v176
	s_cbranch_execz .LBB57_136
; %bb.135:
	ds_load_2addr_b64 v[148:151], v178 offset0:15 offset1:16
	ds_load_2addr_b64 v[152:155], v178 offset0:17 offset1:18
	;; [unrolled: 1-line block ×3, first 2 shown]
	s_wait_dscnt 0x3
	v_pk_mul_f32 v[160:161], v[146:147], v[108:109] op_sel:[1,1] op_sel_hi:[0,1]
	s_delay_alu instid0(VALU_DEP_1)
	v_pk_fma_f32 v[170:171], v[146:147], v[108:109], v[160:161] op_sel_hi:[1,0,1]
	v_pk_fma_f32 v[168:169], v[146:147], v[108:109], v[160:161] op_sel_hi:[1,0,1] neg_lo:[0,0,1] neg_hi:[0,0,1]
	ds_load_2addr_b64 v[160:163], v178 offset0:21 offset1:22
	ds_load_2addr_b64 v[164:167], v178 offset0:23 offset1:24
	v_dual_mov_b32 v109, v171 :: v_dual_mov_b32 v108, v168
	s_wait_dscnt 0x4
	v_pk_mul_f32 v[172:173], v[148:149], v[170:171] op_sel:[0,1]
	v_pk_mul_f32 v[174:175], v[150:151], v[170:171] op_sel:[0,1]
	s_wait_dscnt 0x3
	v_pk_mul_f32 v[180:181], v[152:153], v[170:171] op_sel:[0,1]
	v_dual_mov_b32 v182, v155 :: v_dual_mov_b32 v183, v154
	v_dual_mul_f32 v184, v155, v171 :: v_dual_mul_f32 v186, v155, v168
	s_wait_dscnt 0x2
	v_pk_mul_f32 v[188:189], v[156:157], v[170:171] op_sel:[0,1]
	v_pk_mul_f32 v[190:191], v[158:159], v[170:171] op_sel:[0,1]
	v_pk_fma_f32 v[192:193], v[148:149], v[168:169], v[172:173] op_sel:[0,0,1] op_sel_hi:[1,1,0] neg_lo:[0,0,1] neg_hi:[0,0,1]
	v_pk_fma_f32 v[148:149], v[148:149], v[168:169], v[172:173] op_sel:[0,0,1] op_sel_hi:[1,0,0]
	v_pk_fma_f32 v[172:173], v[150:151], v[168:169], v[174:175] op_sel:[0,0,1] op_sel_hi:[1,1,0] neg_lo:[0,0,1] neg_hi:[0,0,1]
	v_pk_fma_f32 v[150:151], v[150:151], v[168:169], v[174:175] op_sel:[0,0,1] op_sel_hi:[1,0,0]
	;; [unrolled: 2-line block ×3, first 2 shown]
	v_pk_fma_f32 v[180:181], v[182:183], v[108:109], v[186:187] op_sel_hi:[1,1,0]
	v_pk_fma_f32 v[182:183], v[156:157], v[168:169], v[188:189] op_sel:[0,0,1] op_sel_hi:[1,0,0]
	v_dual_mov_b32 v193, v149 :: v_dual_mov_b32 v173, v151
	v_pk_fma_f32 v[148:149], v[158:159], v[168:169], v[190:191] op_sel:[0,0,1] op_sel_hi:[1,0,0]
	v_mov_b32_e32 v175, v153
	v_pk_fma_f32 v[152:153], v[156:157], v[168:169], v[188:189] op_sel:[0,0,1] op_sel_hi:[1,1,0] neg_lo:[0,0,1] neg_hi:[0,0,1]
	v_pk_fma_f32 v[156:157], v[158:159], v[168:169], v[190:191] op_sel:[0,0,1] op_sel_hi:[1,1,0] neg_lo:[0,0,1] neg_hi:[0,0,1]
	s_delay_alu instid0(VALU_DEP_4)
	v_dual_mov_b32 v153, v183 :: v_dual_mov_b32 v157, v149
	ds_load_2addr_b64 v[148:151], v178 offset0:25 offset1:26
	v_pk_fma_f32 v[154:155], v[154:155], v[108:109], v[184:185] op_sel_hi:[1,1,0] neg_lo:[0,0,1] neg_hi:[0,0,1]
	s_wait_dscnt 0x2
	v_pk_mul_f32 v[158:159], v[160:161], v[170:171] op_sel:[0,1]
	v_mov_b32_e32 v155, v181
	v_pk_add_f32 v[84:85], v[84:85], v[172:173] neg_lo:[0,1] neg_hi:[0,1]
	v_pk_add_f32 v[106:107], v[106:107], v[156:157] neg_lo:[0,1] neg_hi:[0,1]
	v_pk_mul_f32 v[172:173], v[162:163], v[170:171] op_sel:[0,1]
	v_pk_fma_f32 v[156:157], v[160:161], v[168:169], v[158:159] op_sel:[0,0,1] op_sel_hi:[1,0,0]
	v_pk_add_f32 v[82:83], v[82:83], v[154:155] neg_lo:[0,1] neg_hi:[0,1]
	v_pk_add_f32 v[78:79], v[78:79], v[152:153] neg_lo:[0,1] neg_hi:[0,1]
	ds_load_2addr_b64 v[152:155], v178 offset0:27 offset1:28
	v_pk_fma_f32 v[158:159], v[160:161], v[168:169], v[158:159] op_sel:[0,0,1] op_sel_hi:[1,1,0] neg_lo:[0,0,1] neg_hi:[0,0,1]
	s_wait_dscnt 0x2
	v_mul_f32_e32 v156, v165, v168
	v_pk_fma_f32 v[160:161], v[162:163], v[168:169], v[172:173] op_sel:[0,0,1] op_sel_hi:[1,0,0]
	v_mov_b32_e32 v159, v157
	v_mul_f32_e32 v160, v165, v171
	v_pk_fma_f32 v[162:163], v[162:163], v[168:169], v[172:173] op_sel:[0,0,1] op_sel_hi:[1,1,0] neg_lo:[0,0,1] neg_hi:[0,0,1]
	v_pk_fma_f32 v[156:157], v[164:165], v[108:109], v[156:157] op_sel:[1,0,0] op_sel_hi:[0,1,0]
	v_mov_b32_e32 v163, v161
	v_pk_add_f32 v[100:101], v[100:101], v[158:159] neg_lo:[0,1] neg_hi:[0,1]
	s_wait_dscnt 0x1
	v_pk_mul_f32 v[158:159], v[148:149], v[170:171] op_sel:[0,1]
	v_pk_mul_f32 v[172:173], v[166:167], v[170:171] op_sel:[0,1]
	v_pk_fma_f32 v[160:161], v[164:165], v[108:109], v[160:161] op_sel_hi:[1,1,0] neg_lo:[0,0,1] neg_hi:[0,0,1]
	v_pk_add_f32 v[104:105], v[104:105], v[162:163] neg_lo:[0,1] neg_hi:[0,1]
	v_pk_add_f32 v[60:61], v[60:61], v[192:193] neg_lo:[0,1] neg_hi:[0,1]
	v_pk_fma_f32 v[162:163], v[148:149], v[168:169], v[158:159] op_sel:[0,0,1] op_sel_hi:[1,0,0]
	v_mov_b32_e32 v161, v157
	v_pk_fma_f32 v[156:157], v[166:167], v[168:169], v[172:173] op_sel:[0,0,1] op_sel_hi:[1,0,0]
	v_pk_fma_f32 v[148:149], v[148:149], v[168:169], v[158:159] op_sel:[0,0,1] op_sel_hi:[1,1,0] neg_lo:[0,0,1] neg_hi:[0,0,1]
	v_pk_add_f32 v[80:81], v[80:81], v[174:175] neg_lo:[0,1] neg_hi:[0,1]
	v_mov_b32_e32 v149, v163
	v_pk_add_f32 v[98:99], v[98:99], v[160:161] neg_lo:[0,1] neg_hi:[0,1]
	v_pk_fma_f32 v[160:161], v[166:167], v[168:169], v[172:173] op_sel:[0,0,1] op_sel_hi:[1,1,0] neg_lo:[0,0,1] neg_hi:[0,0,1]
	v_mov_b32_e32 v161, v157
	v_pk_mul_f32 v[156:157], v[150:151], v[170:171] op_sel:[0,1]
	s_wait_dscnt 0x0
	v_pk_mul_f32 v[164:165], v[152:153], v[170:171] op_sel:[0,1]
	v_pk_mul_f32 v[158:159], v[154:155], v[170:171] op_sel:[0,1]
	v_pk_add_f32 v[114:115], v[114:115], v[148:149] neg_lo:[0,1] neg_hi:[0,1]
	v_pk_fma_f32 v[166:167], v[150:151], v[168:169], v[156:157] op_sel:[0,0,1] op_sel_hi:[1,0,0]
	s_delay_alu instid0(VALU_DEP_4)
	v_pk_fma_f32 v[162:163], v[152:153], v[168:169], v[164:165] op_sel:[0,0,1] op_sel_hi:[1,0,0]
	v_pk_fma_f32 v[150:151], v[150:151], v[168:169], v[156:157] op_sel:[0,0,1] op_sel_hi:[1,1,0] neg_lo:[0,0,1] neg_hi:[0,0,1]
	v_pk_fma_f32 v[156:157], v[154:155], v[168:169], v[158:159] op_sel:[0,0,1] op_sel_hi:[1,0,0]
	v_pk_fma_f32 v[152:153], v[152:153], v[168:169], v[164:165] op_sel:[0,0,1] op_sel_hi:[1,1,0] neg_lo:[0,0,1] neg_hi:[0,0,1]
	v_pk_fma_f32 v[154:155], v[154:155], v[168:169], v[158:159] op_sel:[0,0,1] op_sel_hi:[1,1,0] neg_lo:[0,0,1] neg_hi:[0,0,1]
	v_dual_mov_b32 v151, v167 :: v_dual_mov_b32 v153, v163
	s_delay_alu instid0(VALU_DEP_4) | instskip(SKIP_1) | instid1(VALU_DEP_3)
	v_mov_b32_e32 v155, v157
	v_pk_add_f32 v[102:103], v[102:103], v[160:161] neg_lo:[0,1] neg_hi:[0,1]
	v_pk_add_f32 v[112:113], v[112:113], v[150:151] neg_lo:[0,1] neg_hi:[0,1]
	s_delay_alu instid0(VALU_DEP_4) | instskip(NEXT) | instid1(VALU_DEP_4)
	v_pk_add_f32 v[110:111], v[110:111], v[152:153] neg_lo:[0,1] neg_hi:[0,1]
	v_pk_add_f32 v[116:117], v[116:117], v[154:155] neg_lo:[0,1] neg_hi:[0,1]
.LBB57_136:
	s_or_b32 exec_lo, exec_lo, s1
	s_delay_alu instid0(SALU_CYCLE_1)
	s_mov_b32 s2, exec_lo
	s_wait_dscnt 0x0
	s_barrier_signal -1
	s_barrier_wait -1
	v_cmpx_eq_u32_e32 15, v176
	s_cbranch_execz .LBB57_143
; %bb.137:
	v_dual_mov_b32 v148, v84 :: v_dual_mov_b32 v149, v85
	v_dual_mov_b32 v150, v80 :: v_dual_mov_b32 v151, v81
	;; [unrolled: 1-line block ×10, first 2 shown]
	ds_store_b64 v177, v[60:61]
	v_dual_mov_b32 v168, v112 :: v_dual_mov_b32 v169, v113
	v_dual_mov_b32 v170, v110 :: v_dual_mov_b32 v171, v111
	ds_store_2addr_b64 v178, v[148:149], v[150:151] offset0:16 offset1:17
	ds_store_2addr_b64 v178, v[152:153], v[154:155] offset0:18 offset1:19
	ds_store_2addr_b64 v178, v[156:157], v[158:159] offset0:20 offset1:21
	ds_store_2addr_b64 v178, v[160:161], v[162:163] offset0:22 offset1:23
	ds_store_2addr_b64 v178, v[164:165], v[166:167] offset0:24 offset1:25
	ds_store_2addr_b64 v178, v[168:169], v[170:171] offset0:26 offset1:27
	ds_store_b64 v178, v[116:117] offset:224
	ds_load_b64 v[148:149], v177
	s_wait_dscnt 0x0
	v_cmp_neq_f32_e32 vcc_lo, 0, v148
	v_cmp_neq_f32_e64 s1, 0, v149
	s_or_b32 s1, vcc_lo, s1
	s_delay_alu instid0(SALU_CYCLE_1)
	s_and_b32 exec_lo, exec_lo, s1
	s_cbranch_execz .LBB57_143
; %bb.138:
	v_cmp_ngt_f32_e64 s1, |v148|, |v149|
                                        ; implicit-def: $vgpr150_vgpr151
	s_and_saveexec_b32 s4, s1
	s_delay_alu instid0(SALU_CYCLE_1)
	s_xor_b32 s1, exec_lo, s4
	s_cbranch_execz .LBB57_140
; %bb.139:
	v_div_scale_f32 v150, null, v149, v149, v148
	v_div_scale_f32 v153, vcc_lo, v148, v149, v148
	s_delay_alu instid0(VALU_DEP_2) | instskip(SKIP_1) | instid1(TRANS32_DEP_1)
	v_rcp_f32_e32 v151, v150
	v_nop
	v_fma_f32 v152, -v150, v151, 1.0
	s_delay_alu instid0(VALU_DEP_1) | instskip(NEXT) | instid1(VALU_DEP_1)
	v_fmac_f32_e32 v151, v152, v151
	v_mul_f32_e32 v152, v153, v151
	s_delay_alu instid0(VALU_DEP_1) | instskip(NEXT) | instid1(VALU_DEP_1)
	v_fma_f32 v154, -v150, v152, v153
	v_fmac_f32_e32 v152, v154, v151
	s_delay_alu instid0(VALU_DEP_1) | instskip(NEXT) | instid1(VALU_DEP_1)
	v_fma_f32 v150, -v150, v152, v153
	v_div_fmas_f32 v150, v150, v151, v152
	s_delay_alu instid0(VALU_DEP_1) | instskip(NEXT) | instid1(VALU_DEP_1)
	v_div_fixup_f32 v150, v150, v149, v148
	v_fmac_f32_e32 v149, v148, v150
	s_delay_alu instid0(VALU_DEP_1) | instskip(SKIP_1) | instid1(VALU_DEP_2)
	v_div_scale_f32 v148, null, v149, v149, 1.0
	v_div_scale_f32 v153, vcc_lo, 1.0, v149, 1.0
	v_rcp_f32_e32 v151, v148
	v_nop
	s_delay_alu instid0(TRANS32_DEP_1) | instskip(NEXT) | instid1(VALU_DEP_1)
	v_fma_f32 v152, -v148, v151, 1.0
	v_fmac_f32_e32 v151, v152, v151
	s_delay_alu instid0(VALU_DEP_1) | instskip(NEXT) | instid1(VALU_DEP_1)
	v_mul_f32_e32 v152, v153, v151
	v_fma_f32 v154, -v148, v152, v153
	s_delay_alu instid0(VALU_DEP_1) | instskip(NEXT) | instid1(VALU_DEP_1)
	v_fmac_f32_e32 v152, v154, v151
	v_fma_f32 v148, -v148, v152, v153
	s_delay_alu instid0(VALU_DEP_1) | instskip(NEXT) | instid1(VALU_DEP_1)
	v_div_fmas_f32 v148, v148, v151, v152
	v_div_fixup_f32 v148, v148, v149, 1.0
	s_delay_alu instid0(VALU_DEP_1)
	v_mul_f32_e32 v150, v150, v148
	v_xor_b32_e32 v151, 0x80000000, v148
                                        ; implicit-def: $vgpr148_vgpr149
.LBB57_140:
	s_and_not1_saveexec_b32 s1, s1
	s_cbranch_execz .LBB57_142
; %bb.141:
	v_div_scale_f32 v150, null, v148, v148, v149
	v_div_scale_f32 v153, vcc_lo, v149, v148, v149
	s_delay_alu instid0(VALU_DEP_2) | instskip(SKIP_1) | instid1(TRANS32_DEP_1)
	v_rcp_f32_e32 v151, v150
	v_nop
	v_fma_f32 v152, -v150, v151, 1.0
	s_delay_alu instid0(VALU_DEP_1) | instskip(NEXT) | instid1(VALU_DEP_1)
	v_fmac_f32_e32 v151, v152, v151
	v_mul_f32_e32 v152, v153, v151
	s_delay_alu instid0(VALU_DEP_1) | instskip(NEXT) | instid1(VALU_DEP_1)
	v_fma_f32 v154, -v150, v152, v153
	v_fmac_f32_e32 v152, v154, v151
	s_delay_alu instid0(VALU_DEP_1) | instskip(NEXT) | instid1(VALU_DEP_1)
	v_fma_f32 v150, -v150, v152, v153
	v_div_fmas_f32 v150, v150, v151, v152
	s_delay_alu instid0(VALU_DEP_1) | instskip(NEXT) | instid1(VALU_DEP_1)
	v_div_fixup_f32 v151, v150, v148, v149
	v_fmac_f32_e32 v148, v149, v151
	s_delay_alu instid0(VALU_DEP_1) | instskip(NEXT) | instid1(VALU_DEP_1)
	v_div_scale_f32 v149, null, v148, v148, 1.0
	v_rcp_f32_e32 v150, v149
	v_nop
	s_delay_alu instid0(TRANS32_DEP_1) | instskip(NEXT) | instid1(VALU_DEP_1)
	v_fma_f32 v152, -v149, v150, 1.0
	v_fmac_f32_e32 v150, v152, v150
	v_div_scale_f32 v152, vcc_lo, 1.0, v148, 1.0
	s_delay_alu instid0(VALU_DEP_1) | instskip(NEXT) | instid1(VALU_DEP_1)
	v_mul_f32_e32 v153, v152, v150
	v_fma_f32 v154, -v149, v153, v152
	s_delay_alu instid0(VALU_DEP_1) | instskip(NEXT) | instid1(VALU_DEP_1)
	v_fmac_f32_e32 v153, v154, v150
	v_fma_f32 v149, -v149, v153, v152
	s_delay_alu instid0(VALU_DEP_1) | instskip(NEXT) | instid1(VALU_DEP_1)
	v_div_fmas_f32 v149, v149, v150, v153
	v_div_fixup_f32 v150, v149, v148, 1.0
	s_delay_alu instid0(VALU_DEP_1)
	v_mul_f32_e64 v151, v151, -v150
.LBB57_142:
	s_or_b32 exec_lo, exec_lo, s1
	ds_store_b64 v177, v[150:151]
.LBB57_143:
	s_or_b32 exec_lo, exec_lo, s2
	s_wait_dscnt 0x0
	s_barrier_signal -1
	s_barrier_wait -1
	ds_load_b64 v[148:149], v177
	s_mov_b32 s1, exec_lo
	v_cmpx_lt_u32_e32 15, v176
	s_cbranch_execz .LBB57_145
; %bb.144:
	s_wait_dscnt 0x0
	v_pk_mul_f32 v[150:151], v[148:149], v[60:61] op_sel:[1,1] op_sel_hi:[0,1]
	s_delay_alu instid0(VALU_DEP_1)
	v_pk_fma_f32 v[154:155], v[148:149], v[60:61], v[150:151] op_sel_hi:[1,0,1] neg_lo:[0,0,1] neg_hi:[0,0,1]
	v_pk_fma_f32 v[156:157], v[148:149], v[60:61], v[150:151] op_sel_hi:[1,0,1]
	ds_load_2addr_b64 v[150:153], v178 offset0:16 offset1:17
	v_dual_mov_b32 v60, v154 :: v_dual_mov_b32 v61, v157
	s_wait_dscnt 0x0
	v_pk_mul_f32 v[158:159], v[150:151], v[156:157] op_sel:[0,1]
	s_delay_alu instid0(VALU_DEP_1) | instskip(SKIP_1) | instid1(VALU_DEP_1)
	v_pk_fma_f32 v[160:161], v[150:151], v[154:155], v[158:159] op_sel:[0,0,1] op_sel_hi:[1,1,0] neg_lo:[0,0,1] neg_hi:[0,0,1]
	v_pk_fma_f32 v[150:151], v[150:151], v[154:155], v[158:159] op_sel:[0,0,1] op_sel_hi:[1,0,0]
	v_mov_b32_e32 v161, v151
	v_pk_mul_f32 v[150:151], v[152:153], v[156:157] op_sel:[0,1]
	s_delay_alu instid0(VALU_DEP_1) | instskip(SKIP_1) | instid1(VALU_DEP_1)
	v_pk_fma_f32 v[158:159], v[152:153], v[154:155], v[150:151] op_sel:[0,0,1] op_sel_hi:[1,1,0] neg_lo:[0,0,1] neg_hi:[0,0,1]
	v_pk_fma_f32 v[150:151], v[152:153], v[154:155], v[150:151] op_sel:[0,0,1] op_sel_hi:[1,0,0]
	v_mov_b32_e32 v159, v151
	ds_load_2addr_b64 v[150:153], v178 offset0:18 offset1:19
	v_pk_add_f32 v[84:85], v[84:85], v[160:161] neg_lo:[0,1] neg_hi:[0,1]
	v_pk_add_f32 v[80:81], v[80:81], v[158:159] neg_lo:[0,1] neg_hi:[0,1]
	s_wait_dscnt 0x0
	v_pk_mul_f32 v[158:159], v[150:151], v[156:157] op_sel:[0,1]
	s_delay_alu instid0(VALU_DEP_1) | instskip(SKIP_2) | instid1(VALU_DEP_2)
	v_pk_fma_f32 v[160:161], v[150:151], v[154:155], v[158:159] op_sel:[0,0,1] op_sel_hi:[1,1,0] neg_lo:[0,0,1] neg_hi:[0,0,1]
	v_pk_fma_f32 v[150:151], v[150:151], v[154:155], v[158:159] op_sel:[0,0,1] op_sel_hi:[1,0,0]
	v_dual_mul_f32 v158, v153, v157 :: v_dual_mov_b32 v150, v153
	v_dual_mov_b32 v161, v151 :: v_dual_mov_b32 v151, v152
	s_delay_alu instid0(VALU_DEP_2) | instskip(SKIP_1) | instid1(VALU_DEP_3)
	v_pk_fma_f32 v[158:159], v[152:153], v[60:61], v[158:159] op_sel_hi:[1,1,0] neg_lo:[0,0,1] neg_hi:[0,0,1]
	v_mul_f32_e32 v152, v153, v154
	v_pk_add_f32 v[82:83], v[82:83], v[160:161] neg_lo:[0,1] neg_hi:[0,1]
	s_delay_alu instid0(VALU_DEP_2) | instskip(NEXT) | instid1(VALU_DEP_1)
	v_pk_fma_f32 v[150:151], v[150:151], v[60:61], v[152:153] op_sel_hi:[1,1,0]
	v_mov_b32_e32 v159, v151
	ds_load_2addr_b64 v[150:153], v178 offset0:20 offset1:21
	v_pk_add_f32 v[78:79], v[78:79], v[158:159] neg_lo:[0,1] neg_hi:[0,1]
	s_wait_dscnt 0x0
	v_pk_mul_f32 v[158:159], v[150:151], v[156:157] op_sel:[0,1]
	s_delay_alu instid0(VALU_DEP_1) | instskip(SKIP_1) | instid1(VALU_DEP_1)
	v_pk_fma_f32 v[160:161], v[150:151], v[154:155], v[158:159] op_sel:[0,0,1] op_sel_hi:[1,1,0] neg_lo:[0,0,1] neg_hi:[0,0,1]
	v_pk_fma_f32 v[150:151], v[150:151], v[154:155], v[158:159] op_sel:[0,0,1] op_sel_hi:[1,0,0]
	v_mov_b32_e32 v161, v151
	v_pk_mul_f32 v[150:151], v[152:153], v[156:157] op_sel:[0,1]
	s_delay_alu instid0(VALU_DEP_1) | instskip(SKIP_1) | instid1(VALU_DEP_1)
	v_pk_fma_f32 v[158:159], v[152:153], v[154:155], v[150:151] op_sel:[0,0,1] op_sel_hi:[1,1,0] neg_lo:[0,0,1] neg_hi:[0,0,1]
	v_pk_fma_f32 v[150:151], v[152:153], v[154:155], v[150:151] op_sel:[0,0,1] op_sel_hi:[1,0,0]
	v_mov_b32_e32 v159, v151
	ds_load_2addr_b64 v[150:153], v178 offset0:22 offset1:23
	v_pk_add_f32 v[106:107], v[106:107], v[160:161] neg_lo:[0,1] neg_hi:[0,1]
	v_pk_add_f32 v[100:101], v[100:101], v[158:159] neg_lo:[0,1] neg_hi:[0,1]
	s_wait_dscnt 0x0
	v_pk_mul_f32 v[158:159], v[150:151], v[156:157] op_sel:[0,1]
	s_delay_alu instid0(VALU_DEP_1) | instskip(SKIP_1) | instid1(VALU_DEP_1)
	v_pk_fma_f32 v[160:161], v[150:151], v[154:155], v[158:159] op_sel:[0,0,1] op_sel_hi:[1,1,0] neg_lo:[0,0,1] neg_hi:[0,0,1]
	v_pk_fma_f32 v[150:151], v[150:151], v[154:155], v[158:159] op_sel:[0,0,1] op_sel_hi:[1,0,0]
	v_mov_b32_e32 v161, v151
	v_pk_mul_f32 v[150:151], v[152:153], v[156:157] op_sel:[0,1]
	s_delay_alu instid0(VALU_DEP_1) | instskip(SKIP_1) | instid1(VALU_DEP_1)
	v_pk_fma_f32 v[158:159], v[152:153], v[154:155], v[150:151] op_sel:[0,0,1] op_sel_hi:[1,1,0] neg_lo:[0,0,1] neg_hi:[0,0,1]
	v_pk_fma_f32 v[150:151], v[152:153], v[154:155], v[150:151] op_sel:[0,0,1] op_sel_hi:[1,0,0]
	v_mov_b32_e32 v159, v151
	ds_load_2addr_b64 v[150:153], v178 offset0:24 offset1:25
	v_pk_add_f32 v[104:105], v[104:105], v[160:161] neg_lo:[0,1] neg_hi:[0,1]
	v_pk_add_f32 v[98:99], v[98:99], v[158:159] neg_lo:[0,1] neg_hi:[0,1]
	s_wait_dscnt 0x0
	v_dual_mul_f32 v158, v151, v157 :: v_dual_mul_f32 v160, v151, v154
	s_delay_alu instid0(VALU_DEP_1) | instskip(NEXT) | instid1(VALU_DEP_2)
	v_pk_fma_f32 v[158:159], v[150:151], v[60:61], v[158:159] op_sel_hi:[1,1,0] neg_lo:[0,0,1] neg_hi:[0,0,1]
	v_pk_fma_f32 v[150:151], v[150:151], v[60:61], v[160:161] op_sel:[1,0,0] op_sel_hi:[0,1,0]
	s_delay_alu instid0(VALU_DEP_1) | instskip(SKIP_1) | instid1(VALU_DEP_2)
	v_mov_b32_e32 v159, v151
	v_pk_mul_f32 v[150:151], v[152:153], v[156:157] op_sel:[0,1]
	v_pk_add_f32 v[102:103], v[102:103], v[158:159] neg_lo:[0,1] neg_hi:[0,1]
	s_delay_alu instid0(VALU_DEP_2) | instskip(SKIP_1) | instid1(VALU_DEP_1)
	v_pk_fma_f32 v[158:159], v[152:153], v[154:155], v[150:151] op_sel:[0,0,1] op_sel_hi:[1,1,0] neg_lo:[0,0,1] neg_hi:[0,0,1]
	v_pk_fma_f32 v[150:151], v[152:153], v[154:155], v[150:151] op_sel:[0,0,1] op_sel_hi:[1,0,0]
	v_mov_b32_e32 v159, v151
	ds_load_2addr_b64 v[150:153], v178 offset0:26 offset1:27
	v_pk_add_f32 v[114:115], v[114:115], v[158:159] neg_lo:[0,1] neg_hi:[0,1]
	s_wait_dscnt 0x0
	v_pk_mul_f32 v[158:159], v[150:151], v[156:157] op_sel:[0,1]
	s_delay_alu instid0(VALU_DEP_1) | instskip(SKIP_1) | instid1(VALU_DEP_1)
	v_pk_fma_f32 v[160:161], v[150:151], v[154:155], v[158:159] op_sel:[0,0,1] op_sel_hi:[1,1,0] neg_lo:[0,0,1] neg_hi:[0,0,1]
	v_pk_fma_f32 v[150:151], v[150:151], v[154:155], v[158:159] op_sel:[0,0,1] op_sel_hi:[1,0,0]
	v_mov_b32_e32 v161, v151
	v_pk_mul_f32 v[150:151], v[152:153], v[156:157] op_sel:[0,1]
	s_delay_alu instid0(VALU_DEP_2) | instskip(NEXT) | instid1(VALU_DEP_2)
	v_pk_add_f32 v[112:113], v[112:113], v[160:161] neg_lo:[0,1] neg_hi:[0,1]
	v_pk_fma_f32 v[158:159], v[152:153], v[154:155], v[150:151] op_sel:[0,0,1] op_sel_hi:[1,1,0] neg_lo:[0,0,1] neg_hi:[0,0,1]
	v_pk_fma_f32 v[150:151], v[152:153], v[154:155], v[150:151] op_sel:[0,0,1] op_sel_hi:[1,0,0]
	s_delay_alu instid0(VALU_DEP_1) | instskip(SKIP_4) | instid1(VALU_DEP_1)
	v_mov_b32_e32 v159, v151
	ds_load_b64 v[150:151], v178 offset:224
	v_pk_add_f32 v[110:111], v[110:111], v[158:159] neg_lo:[0,1] neg_hi:[0,1]
	s_wait_dscnt 0x0
	v_pk_mul_f32 v[152:153], v[150:151], v[156:157] op_sel:[0,1]
	v_pk_fma_f32 v[156:157], v[150:151], v[154:155], v[152:153] op_sel:[0,0,1] op_sel_hi:[1,1,0] neg_lo:[0,0,1] neg_hi:[0,0,1]
	v_pk_fma_f32 v[150:151], v[150:151], v[154:155], v[152:153] op_sel:[0,0,1] op_sel_hi:[1,0,0]
	s_delay_alu instid0(VALU_DEP_1) | instskip(NEXT) | instid1(VALU_DEP_1)
	v_mov_b32_e32 v157, v151
	v_pk_add_f32 v[116:117], v[116:117], v[156:157] neg_lo:[0,1] neg_hi:[0,1]
.LBB57_145:
	s_or_b32 exec_lo, exec_lo, s1
	s_delay_alu instid0(SALU_CYCLE_1)
	s_mov_b32 s2, exec_lo
	s_wait_dscnt 0x0
	s_barrier_signal -1
	s_barrier_wait -1
	v_cmpx_eq_u32_e32 16, v176
	s_cbranch_execz .LBB57_152
; %bb.146:
	ds_store_b64 v177, v[84:85]
	ds_store_2addr_b64 v178, v[80:81], v[82:83] offset0:17 offset1:18
	ds_store_2addr_b64 v178, v[78:79], v[106:107] offset0:19 offset1:20
	;; [unrolled: 1-line block ×6, first 2 shown]
	ds_load_b64 v[150:151], v177
	s_wait_dscnt 0x0
	v_cmp_neq_f32_e32 vcc_lo, 0, v150
	v_cmp_neq_f32_e64 s1, 0, v151
	s_or_b32 s1, vcc_lo, s1
	s_delay_alu instid0(SALU_CYCLE_1)
	s_and_b32 exec_lo, exec_lo, s1
	s_cbranch_execz .LBB57_152
; %bb.147:
	v_cmp_ngt_f32_e64 s1, |v150|, |v151|
                                        ; implicit-def: $vgpr152_vgpr153
	s_and_saveexec_b32 s4, s1
	s_delay_alu instid0(SALU_CYCLE_1)
	s_xor_b32 s1, exec_lo, s4
	s_cbranch_execz .LBB57_149
; %bb.148:
	v_div_scale_f32 v152, null, v151, v151, v150
	v_div_scale_f32 v155, vcc_lo, v150, v151, v150
	s_delay_alu instid0(VALU_DEP_2) | instskip(SKIP_1) | instid1(TRANS32_DEP_1)
	v_rcp_f32_e32 v153, v152
	v_nop
	v_fma_f32 v154, -v152, v153, 1.0
	s_delay_alu instid0(VALU_DEP_1) | instskip(NEXT) | instid1(VALU_DEP_1)
	v_fmac_f32_e32 v153, v154, v153
	v_mul_f32_e32 v154, v155, v153
	s_delay_alu instid0(VALU_DEP_1) | instskip(NEXT) | instid1(VALU_DEP_1)
	v_fma_f32 v156, -v152, v154, v155
	v_fmac_f32_e32 v154, v156, v153
	s_delay_alu instid0(VALU_DEP_1) | instskip(NEXT) | instid1(VALU_DEP_1)
	v_fma_f32 v152, -v152, v154, v155
	v_div_fmas_f32 v152, v152, v153, v154
	s_delay_alu instid0(VALU_DEP_1) | instskip(NEXT) | instid1(VALU_DEP_1)
	v_div_fixup_f32 v152, v152, v151, v150
	v_fmac_f32_e32 v151, v150, v152
	s_delay_alu instid0(VALU_DEP_1) | instskip(SKIP_1) | instid1(VALU_DEP_2)
	v_div_scale_f32 v150, null, v151, v151, 1.0
	v_div_scale_f32 v155, vcc_lo, 1.0, v151, 1.0
	v_rcp_f32_e32 v153, v150
	v_nop
	s_delay_alu instid0(TRANS32_DEP_1) | instskip(NEXT) | instid1(VALU_DEP_1)
	v_fma_f32 v154, -v150, v153, 1.0
	v_fmac_f32_e32 v153, v154, v153
	s_delay_alu instid0(VALU_DEP_1) | instskip(NEXT) | instid1(VALU_DEP_1)
	v_mul_f32_e32 v154, v155, v153
	v_fma_f32 v156, -v150, v154, v155
	s_delay_alu instid0(VALU_DEP_1) | instskip(NEXT) | instid1(VALU_DEP_1)
	v_fmac_f32_e32 v154, v156, v153
	v_fma_f32 v150, -v150, v154, v155
	s_delay_alu instid0(VALU_DEP_1) | instskip(NEXT) | instid1(VALU_DEP_1)
	v_div_fmas_f32 v150, v150, v153, v154
	v_div_fixup_f32 v150, v150, v151, 1.0
	s_delay_alu instid0(VALU_DEP_1)
	v_mul_f32_e32 v152, v152, v150
	v_xor_b32_e32 v153, 0x80000000, v150
                                        ; implicit-def: $vgpr150_vgpr151
.LBB57_149:
	s_and_not1_saveexec_b32 s1, s1
	s_cbranch_execz .LBB57_151
; %bb.150:
	v_div_scale_f32 v152, null, v150, v150, v151
	v_div_scale_f32 v155, vcc_lo, v151, v150, v151
	s_delay_alu instid0(VALU_DEP_2) | instskip(SKIP_1) | instid1(TRANS32_DEP_1)
	v_rcp_f32_e32 v153, v152
	v_nop
	v_fma_f32 v154, -v152, v153, 1.0
	s_delay_alu instid0(VALU_DEP_1) | instskip(NEXT) | instid1(VALU_DEP_1)
	v_fmac_f32_e32 v153, v154, v153
	v_mul_f32_e32 v154, v155, v153
	s_delay_alu instid0(VALU_DEP_1) | instskip(NEXT) | instid1(VALU_DEP_1)
	v_fma_f32 v156, -v152, v154, v155
	v_fmac_f32_e32 v154, v156, v153
	s_delay_alu instid0(VALU_DEP_1) | instskip(NEXT) | instid1(VALU_DEP_1)
	v_fma_f32 v152, -v152, v154, v155
	v_div_fmas_f32 v152, v152, v153, v154
	s_delay_alu instid0(VALU_DEP_1) | instskip(NEXT) | instid1(VALU_DEP_1)
	v_div_fixup_f32 v153, v152, v150, v151
	v_fmac_f32_e32 v150, v151, v153
	s_delay_alu instid0(VALU_DEP_1) | instskip(NEXT) | instid1(VALU_DEP_1)
	v_div_scale_f32 v151, null, v150, v150, 1.0
	v_rcp_f32_e32 v152, v151
	v_nop
	s_delay_alu instid0(TRANS32_DEP_1) | instskip(NEXT) | instid1(VALU_DEP_1)
	v_fma_f32 v154, -v151, v152, 1.0
	v_fmac_f32_e32 v152, v154, v152
	v_div_scale_f32 v154, vcc_lo, 1.0, v150, 1.0
	s_delay_alu instid0(VALU_DEP_1) | instskip(NEXT) | instid1(VALU_DEP_1)
	v_mul_f32_e32 v155, v154, v152
	v_fma_f32 v156, -v151, v155, v154
	s_delay_alu instid0(VALU_DEP_1) | instskip(NEXT) | instid1(VALU_DEP_1)
	v_fmac_f32_e32 v155, v156, v152
	v_fma_f32 v151, -v151, v155, v154
	s_delay_alu instid0(VALU_DEP_1) | instskip(NEXT) | instid1(VALU_DEP_1)
	v_div_fmas_f32 v151, v151, v152, v155
	v_div_fixup_f32 v152, v151, v150, 1.0
	s_delay_alu instid0(VALU_DEP_1)
	v_mul_f32_e64 v153, v153, -v152
.LBB57_151:
	s_or_b32 exec_lo, exec_lo, s1
	ds_store_b64 v177, v[152:153]
.LBB57_152:
	s_or_b32 exec_lo, exec_lo, s2
	s_wait_dscnt 0x0
	s_barrier_signal -1
	s_barrier_wait -1
	ds_load_b64 v[150:151], v177
	s_mov_b32 s1, exec_lo
	v_cmpx_lt_u32_e32 16, v176
	s_cbranch_execz .LBB57_154
; %bb.153:
	s_wait_dscnt 0x0
	v_pk_mul_f32 v[152:153], v[150:151], v[84:85] op_sel:[1,1] op_sel_hi:[0,1]
	s_delay_alu instid0(VALU_DEP_1)
	v_pk_fma_f32 v[156:157], v[150:151], v[84:85], v[152:153] op_sel_hi:[1,0,1] neg_lo:[0,0,1] neg_hi:[0,0,1]
	v_pk_fma_f32 v[158:159], v[150:151], v[84:85], v[152:153] op_sel_hi:[1,0,1]
	ds_load_2addr_b64 v[152:155], v178 offset0:17 offset1:18
	v_dual_mov_b32 v84, v156 :: v_dual_mov_b32 v85, v159
	s_wait_dscnt 0x0
	v_pk_mul_f32 v[160:161], v[152:153], v[158:159] op_sel:[0,1]
	s_delay_alu instid0(VALU_DEP_1) | instskip(SKIP_1) | instid1(VALU_DEP_1)
	v_pk_fma_f32 v[162:163], v[152:153], v[156:157], v[160:161] op_sel:[0,0,1] op_sel_hi:[1,1,0] neg_lo:[0,0,1] neg_hi:[0,0,1]
	v_pk_fma_f32 v[152:153], v[152:153], v[156:157], v[160:161] op_sel:[0,0,1] op_sel_hi:[1,0,0]
	v_mov_b32_e32 v163, v153
	v_pk_mul_f32 v[152:153], v[154:155], v[158:159] op_sel:[0,1]
	s_delay_alu instid0(VALU_DEP_1) | instskip(SKIP_1) | instid1(VALU_DEP_1)
	v_pk_fma_f32 v[160:161], v[154:155], v[156:157], v[152:153] op_sel:[0,0,1] op_sel_hi:[1,1,0] neg_lo:[0,0,1] neg_hi:[0,0,1]
	v_pk_fma_f32 v[152:153], v[154:155], v[156:157], v[152:153] op_sel:[0,0,1] op_sel_hi:[1,0,0]
	v_mov_b32_e32 v161, v153
	ds_load_2addr_b64 v[152:155], v178 offset0:19 offset1:20
	v_pk_add_f32 v[80:81], v[80:81], v[162:163] neg_lo:[0,1] neg_hi:[0,1]
	v_pk_add_f32 v[82:83], v[82:83], v[160:161] neg_lo:[0,1] neg_hi:[0,1]
	s_wait_dscnt 0x0
	v_pk_mul_f32 v[160:161], v[152:153], v[158:159] op_sel:[0,1]
	s_delay_alu instid0(VALU_DEP_1) | instskip(SKIP_2) | instid1(VALU_DEP_2)
	v_pk_fma_f32 v[162:163], v[152:153], v[156:157], v[160:161] op_sel:[0,0,1] op_sel_hi:[1,1,0] neg_lo:[0,0,1] neg_hi:[0,0,1]
	v_pk_fma_f32 v[152:153], v[152:153], v[156:157], v[160:161] op_sel:[0,0,1] op_sel_hi:[1,0,0]
	v_dual_mul_f32 v160, v155, v159 :: v_dual_mov_b32 v152, v155
	v_dual_mov_b32 v163, v153 :: v_dual_mov_b32 v153, v154
	s_delay_alu instid0(VALU_DEP_2) | instskip(SKIP_1) | instid1(VALU_DEP_3)
	v_pk_fma_f32 v[160:161], v[154:155], v[84:85], v[160:161] op_sel_hi:[1,1,0] neg_lo:[0,0,1] neg_hi:[0,0,1]
	v_mul_f32_e32 v154, v155, v156
	v_pk_add_f32 v[78:79], v[78:79], v[162:163] neg_lo:[0,1] neg_hi:[0,1]
	s_delay_alu instid0(VALU_DEP_2) | instskip(NEXT) | instid1(VALU_DEP_1)
	v_pk_fma_f32 v[152:153], v[152:153], v[84:85], v[154:155] op_sel_hi:[1,1,0]
	v_mov_b32_e32 v161, v153
	ds_load_2addr_b64 v[152:155], v178 offset0:21 offset1:22
	v_pk_add_f32 v[106:107], v[106:107], v[160:161] neg_lo:[0,1] neg_hi:[0,1]
	s_wait_dscnt 0x0
	v_pk_mul_f32 v[160:161], v[152:153], v[158:159] op_sel:[0,1]
	s_delay_alu instid0(VALU_DEP_1) | instskip(SKIP_1) | instid1(VALU_DEP_1)
	v_pk_fma_f32 v[162:163], v[152:153], v[156:157], v[160:161] op_sel:[0,0,1] op_sel_hi:[1,1,0] neg_lo:[0,0,1] neg_hi:[0,0,1]
	v_pk_fma_f32 v[152:153], v[152:153], v[156:157], v[160:161] op_sel:[0,0,1] op_sel_hi:[1,0,0]
	v_mov_b32_e32 v163, v153
	v_pk_mul_f32 v[152:153], v[154:155], v[158:159] op_sel:[0,1]
	s_delay_alu instid0(VALU_DEP_1) | instskip(SKIP_1) | instid1(VALU_DEP_1)
	v_pk_fma_f32 v[160:161], v[154:155], v[156:157], v[152:153] op_sel:[0,0,1] op_sel_hi:[1,1,0] neg_lo:[0,0,1] neg_hi:[0,0,1]
	v_pk_fma_f32 v[152:153], v[154:155], v[156:157], v[152:153] op_sel:[0,0,1] op_sel_hi:[1,0,0]
	v_mov_b32_e32 v161, v153
	ds_load_2addr_b64 v[152:155], v178 offset0:23 offset1:24
	v_pk_add_f32 v[100:101], v[100:101], v[162:163] neg_lo:[0,1] neg_hi:[0,1]
	v_pk_add_f32 v[104:105], v[104:105], v[160:161] neg_lo:[0,1] neg_hi:[0,1]
	s_wait_dscnt 0x0
	v_pk_mul_f32 v[160:161], v[152:153], v[158:159] op_sel:[0,1]
	s_delay_alu instid0(VALU_DEP_1) | instskip(SKIP_1) | instid1(VALU_DEP_1)
	v_pk_fma_f32 v[162:163], v[152:153], v[156:157], v[160:161] op_sel:[0,0,1] op_sel_hi:[1,1,0] neg_lo:[0,0,1] neg_hi:[0,0,1]
	v_pk_fma_f32 v[152:153], v[152:153], v[156:157], v[160:161] op_sel:[0,0,1] op_sel_hi:[1,0,0]
	v_mov_b32_e32 v163, v153
	v_pk_mul_f32 v[152:153], v[154:155], v[158:159] op_sel:[0,1]
	s_delay_alu instid0(VALU_DEP_1) | instskip(SKIP_1) | instid1(VALU_DEP_1)
	v_pk_fma_f32 v[160:161], v[154:155], v[156:157], v[152:153] op_sel:[0,0,1] op_sel_hi:[1,1,0] neg_lo:[0,0,1] neg_hi:[0,0,1]
	v_pk_fma_f32 v[152:153], v[154:155], v[156:157], v[152:153] op_sel:[0,0,1] op_sel_hi:[1,0,0]
	v_mov_b32_e32 v161, v153
	ds_load_2addr_b64 v[152:155], v178 offset0:25 offset1:26
	v_pk_add_f32 v[98:99], v[98:99], v[162:163] neg_lo:[0,1] neg_hi:[0,1]
	v_pk_add_f32 v[102:103], v[102:103], v[160:161] neg_lo:[0,1] neg_hi:[0,1]
	s_wait_dscnt 0x0
	v_dual_mul_f32 v160, v153, v159 :: v_dual_mul_f32 v162, v153, v156
	s_delay_alu instid0(VALU_DEP_1) | instskip(NEXT) | instid1(VALU_DEP_2)
	v_pk_fma_f32 v[160:161], v[152:153], v[84:85], v[160:161] op_sel_hi:[1,1,0] neg_lo:[0,0,1] neg_hi:[0,0,1]
	v_pk_fma_f32 v[152:153], v[152:153], v[84:85], v[162:163] op_sel:[1,0,0] op_sel_hi:[0,1,0]
	s_delay_alu instid0(VALU_DEP_1) | instskip(SKIP_1) | instid1(VALU_DEP_2)
	v_mov_b32_e32 v161, v153
	v_pk_mul_f32 v[152:153], v[154:155], v[158:159] op_sel:[0,1]
	v_pk_add_f32 v[114:115], v[114:115], v[160:161] neg_lo:[0,1] neg_hi:[0,1]
	s_delay_alu instid0(VALU_DEP_2) | instskip(SKIP_1) | instid1(VALU_DEP_1)
	v_pk_fma_f32 v[160:161], v[154:155], v[156:157], v[152:153] op_sel:[0,0,1] op_sel_hi:[1,1,0] neg_lo:[0,0,1] neg_hi:[0,0,1]
	v_pk_fma_f32 v[152:153], v[154:155], v[156:157], v[152:153] op_sel:[0,0,1] op_sel_hi:[1,0,0]
	v_mov_b32_e32 v161, v153
	ds_load_2addr_b64 v[152:155], v178 offset0:27 offset1:28
	v_pk_add_f32 v[112:113], v[112:113], v[160:161] neg_lo:[0,1] neg_hi:[0,1]
	s_wait_dscnt 0x0
	v_pk_mul_f32 v[160:161], v[152:153], v[158:159] op_sel:[0,1]
	v_mul_f32_e32 v158, v155, v159
	s_delay_alu instid0(VALU_DEP_2) | instskip(SKIP_2) | instid1(VALU_DEP_4)
	v_pk_fma_f32 v[162:163], v[152:153], v[156:157], v[160:161] op_sel:[0,0,1] op_sel_hi:[1,1,0] neg_lo:[0,0,1] neg_hi:[0,0,1]
	v_pk_fma_f32 v[152:153], v[152:153], v[156:157], v[160:161] op_sel:[0,0,1] op_sel_hi:[1,0,0]
	v_mov_b32_e32 v152, v155
	v_pk_fma_f32 v[158:159], v[154:155], v[84:85], v[158:159] op_sel_hi:[1,1,0] neg_lo:[0,0,1] neg_hi:[0,0,1]
	s_delay_alu instid0(VALU_DEP_3) | instskip(SKIP_1) | instid1(VALU_DEP_2)
	v_dual_mov_b32 v163, v153 :: v_dual_mov_b32 v153, v154
	v_mul_f32_e32 v154, v155, v156
	v_pk_add_f32 v[110:111], v[110:111], v[162:163] neg_lo:[0,1] neg_hi:[0,1]
	s_delay_alu instid0(VALU_DEP_2) | instskip(NEXT) | instid1(VALU_DEP_1)
	v_pk_fma_f32 v[152:153], v[152:153], v[84:85], v[154:155] op_sel_hi:[1,1,0]
	v_mov_b32_e32 v159, v153
	s_delay_alu instid0(VALU_DEP_1)
	v_pk_add_f32 v[116:117], v[116:117], v[158:159] neg_lo:[0,1] neg_hi:[0,1]
.LBB57_154:
	s_or_b32 exec_lo, exec_lo, s1
	s_delay_alu instid0(SALU_CYCLE_1)
	s_mov_b32 s2, exec_lo
	s_wait_dscnt 0x0
	s_barrier_signal -1
	s_barrier_wait -1
	v_cmpx_eq_u32_e32 17, v176
	s_cbranch_execz .LBB57_161
; %bb.155:
	v_dual_mov_b32 v152, v82 :: v_dual_mov_b32 v153, v83
	v_dual_mov_b32 v154, v78 :: v_dual_mov_b32 v155, v79
	;; [unrolled: 1-line block ×10, first 2 shown]
	ds_store_b64 v177, v[80:81]
	ds_store_2addr_b64 v178, v[152:153], v[154:155] offset0:18 offset1:19
	ds_store_2addr_b64 v178, v[156:157], v[158:159] offset0:20 offset1:21
	ds_store_2addr_b64 v178, v[160:161], v[162:163] offset0:22 offset1:23
	ds_store_2addr_b64 v178, v[164:165], v[166:167] offset0:24 offset1:25
	ds_store_2addr_b64 v178, v[168:169], v[170:171] offset0:26 offset1:27
	ds_store_b64 v178, v[116:117] offset:224
	ds_load_b64 v[152:153], v177
	s_wait_dscnt 0x0
	v_cmp_neq_f32_e32 vcc_lo, 0, v152
	v_cmp_neq_f32_e64 s1, 0, v153
	s_or_b32 s1, vcc_lo, s1
	s_delay_alu instid0(SALU_CYCLE_1)
	s_and_b32 exec_lo, exec_lo, s1
	s_cbranch_execz .LBB57_161
; %bb.156:
	v_cmp_ngt_f32_e64 s1, |v152|, |v153|
                                        ; implicit-def: $vgpr154_vgpr155
	s_and_saveexec_b32 s4, s1
	s_delay_alu instid0(SALU_CYCLE_1)
	s_xor_b32 s1, exec_lo, s4
	s_cbranch_execz .LBB57_158
; %bb.157:
	v_div_scale_f32 v154, null, v153, v153, v152
	v_div_scale_f32 v157, vcc_lo, v152, v153, v152
	s_delay_alu instid0(VALU_DEP_2) | instskip(SKIP_1) | instid1(TRANS32_DEP_1)
	v_rcp_f32_e32 v155, v154
	v_nop
	v_fma_f32 v156, -v154, v155, 1.0
	s_delay_alu instid0(VALU_DEP_1) | instskip(NEXT) | instid1(VALU_DEP_1)
	v_fmac_f32_e32 v155, v156, v155
	v_mul_f32_e32 v156, v157, v155
	s_delay_alu instid0(VALU_DEP_1) | instskip(NEXT) | instid1(VALU_DEP_1)
	v_fma_f32 v158, -v154, v156, v157
	v_fmac_f32_e32 v156, v158, v155
	s_delay_alu instid0(VALU_DEP_1) | instskip(NEXT) | instid1(VALU_DEP_1)
	v_fma_f32 v154, -v154, v156, v157
	v_div_fmas_f32 v154, v154, v155, v156
	s_delay_alu instid0(VALU_DEP_1) | instskip(NEXT) | instid1(VALU_DEP_1)
	v_div_fixup_f32 v154, v154, v153, v152
	v_fmac_f32_e32 v153, v152, v154
	s_delay_alu instid0(VALU_DEP_1) | instskip(SKIP_1) | instid1(VALU_DEP_2)
	v_div_scale_f32 v152, null, v153, v153, 1.0
	v_div_scale_f32 v157, vcc_lo, 1.0, v153, 1.0
	v_rcp_f32_e32 v155, v152
	v_nop
	s_delay_alu instid0(TRANS32_DEP_1) | instskip(NEXT) | instid1(VALU_DEP_1)
	v_fma_f32 v156, -v152, v155, 1.0
	v_fmac_f32_e32 v155, v156, v155
	s_delay_alu instid0(VALU_DEP_1) | instskip(NEXT) | instid1(VALU_DEP_1)
	v_mul_f32_e32 v156, v157, v155
	v_fma_f32 v158, -v152, v156, v157
	s_delay_alu instid0(VALU_DEP_1) | instskip(NEXT) | instid1(VALU_DEP_1)
	v_fmac_f32_e32 v156, v158, v155
	v_fma_f32 v152, -v152, v156, v157
	s_delay_alu instid0(VALU_DEP_1) | instskip(NEXT) | instid1(VALU_DEP_1)
	v_div_fmas_f32 v152, v152, v155, v156
	v_div_fixup_f32 v152, v152, v153, 1.0
	s_delay_alu instid0(VALU_DEP_1)
	v_mul_f32_e32 v154, v154, v152
	v_xor_b32_e32 v155, 0x80000000, v152
                                        ; implicit-def: $vgpr152_vgpr153
.LBB57_158:
	s_and_not1_saveexec_b32 s1, s1
	s_cbranch_execz .LBB57_160
; %bb.159:
	v_div_scale_f32 v154, null, v152, v152, v153
	v_div_scale_f32 v157, vcc_lo, v153, v152, v153
	s_delay_alu instid0(VALU_DEP_2) | instskip(SKIP_1) | instid1(TRANS32_DEP_1)
	v_rcp_f32_e32 v155, v154
	v_nop
	v_fma_f32 v156, -v154, v155, 1.0
	s_delay_alu instid0(VALU_DEP_1) | instskip(NEXT) | instid1(VALU_DEP_1)
	v_fmac_f32_e32 v155, v156, v155
	v_mul_f32_e32 v156, v157, v155
	s_delay_alu instid0(VALU_DEP_1) | instskip(NEXT) | instid1(VALU_DEP_1)
	v_fma_f32 v158, -v154, v156, v157
	v_fmac_f32_e32 v156, v158, v155
	s_delay_alu instid0(VALU_DEP_1) | instskip(NEXT) | instid1(VALU_DEP_1)
	v_fma_f32 v154, -v154, v156, v157
	v_div_fmas_f32 v154, v154, v155, v156
	s_delay_alu instid0(VALU_DEP_1) | instskip(NEXT) | instid1(VALU_DEP_1)
	v_div_fixup_f32 v155, v154, v152, v153
	v_fmac_f32_e32 v152, v153, v155
	s_delay_alu instid0(VALU_DEP_1) | instskip(NEXT) | instid1(VALU_DEP_1)
	v_div_scale_f32 v153, null, v152, v152, 1.0
	v_rcp_f32_e32 v154, v153
	v_nop
	s_delay_alu instid0(TRANS32_DEP_1) | instskip(NEXT) | instid1(VALU_DEP_1)
	v_fma_f32 v156, -v153, v154, 1.0
	v_fmac_f32_e32 v154, v156, v154
	v_div_scale_f32 v156, vcc_lo, 1.0, v152, 1.0
	s_delay_alu instid0(VALU_DEP_1) | instskip(NEXT) | instid1(VALU_DEP_1)
	v_mul_f32_e32 v157, v156, v154
	v_fma_f32 v158, -v153, v157, v156
	s_delay_alu instid0(VALU_DEP_1) | instskip(NEXT) | instid1(VALU_DEP_1)
	v_fmac_f32_e32 v157, v158, v154
	v_fma_f32 v153, -v153, v157, v156
	s_delay_alu instid0(VALU_DEP_1) | instskip(NEXT) | instid1(VALU_DEP_1)
	v_div_fmas_f32 v153, v153, v154, v157
	v_div_fixup_f32 v154, v153, v152, 1.0
	s_delay_alu instid0(VALU_DEP_1)
	v_mul_f32_e64 v155, v155, -v154
.LBB57_160:
	s_or_b32 exec_lo, exec_lo, s1
	ds_store_b64 v177, v[154:155]
.LBB57_161:
	s_or_b32 exec_lo, exec_lo, s2
	s_wait_dscnt 0x0
	s_barrier_signal -1
	s_barrier_wait -1
	ds_load_b64 v[152:153], v177
	s_mov_b32 s1, exec_lo
	v_cmpx_lt_u32_e32 17, v176
	s_cbranch_execz .LBB57_163
; %bb.162:
	s_wait_dscnt 0x0
	v_pk_mul_f32 v[154:155], v[152:153], v[80:81] op_sel:[1,1] op_sel_hi:[0,1]
	s_delay_alu instid0(VALU_DEP_1)
	v_pk_fma_f32 v[158:159], v[152:153], v[80:81], v[154:155] op_sel_hi:[1,0,1] neg_lo:[0,0,1] neg_hi:[0,0,1]
	v_pk_fma_f32 v[160:161], v[152:153], v[80:81], v[154:155] op_sel_hi:[1,0,1]
	ds_load_2addr_b64 v[154:157], v178 offset0:18 offset1:19
	v_dual_mov_b32 v80, v158 :: v_dual_mov_b32 v81, v161
	s_wait_dscnt 0x0
	v_pk_mul_f32 v[162:163], v[154:155], v[160:161] op_sel:[0,1]
	s_delay_alu instid0(VALU_DEP_1) | instskip(SKIP_1) | instid1(VALU_DEP_1)
	v_pk_fma_f32 v[164:165], v[154:155], v[158:159], v[162:163] op_sel:[0,0,1] op_sel_hi:[1,1,0] neg_lo:[0,0,1] neg_hi:[0,0,1]
	v_pk_fma_f32 v[154:155], v[154:155], v[158:159], v[162:163] op_sel:[0,0,1] op_sel_hi:[1,0,0]
	v_mov_b32_e32 v165, v155
	v_pk_mul_f32 v[154:155], v[156:157], v[160:161] op_sel:[0,1]
	s_delay_alu instid0(VALU_DEP_1) | instskip(SKIP_1) | instid1(VALU_DEP_1)
	v_pk_fma_f32 v[162:163], v[156:157], v[158:159], v[154:155] op_sel:[0,0,1] op_sel_hi:[1,1,0] neg_lo:[0,0,1] neg_hi:[0,0,1]
	v_pk_fma_f32 v[154:155], v[156:157], v[158:159], v[154:155] op_sel:[0,0,1] op_sel_hi:[1,0,0]
	v_mov_b32_e32 v163, v155
	ds_load_2addr_b64 v[154:157], v178 offset0:20 offset1:21
	v_pk_add_f32 v[82:83], v[82:83], v[164:165] neg_lo:[0,1] neg_hi:[0,1]
	v_pk_add_f32 v[78:79], v[78:79], v[162:163] neg_lo:[0,1] neg_hi:[0,1]
	s_wait_dscnt 0x0
	v_pk_mul_f32 v[162:163], v[154:155], v[160:161] op_sel:[0,1]
	s_delay_alu instid0(VALU_DEP_1) | instskip(SKIP_2) | instid1(VALU_DEP_2)
	v_pk_fma_f32 v[164:165], v[154:155], v[158:159], v[162:163] op_sel:[0,0,1] op_sel_hi:[1,1,0] neg_lo:[0,0,1] neg_hi:[0,0,1]
	v_pk_fma_f32 v[154:155], v[154:155], v[158:159], v[162:163] op_sel:[0,0,1] op_sel_hi:[1,0,0]
	v_dual_mul_f32 v162, v157, v161 :: v_dual_mov_b32 v154, v157
	v_dual_mov_b32 v165, v155 :: v_dual_mov_b32 v155, v156
	s_delay_alu instid0(VALU_DEP_2) | instskip(SKIP_1) | instid1(VALU_DEP_3)
	v_pk_fma_f32 v[162:163], v[156:157], v[80:81], v[162:163] op_sel_hi:[1,1,0] neg_lo:[0,0,1] neg_hi:[0,0,1]
	v_mul_f32_e32 v156, v157, v158
	v_pk_add_f32 v[106:107], v[106:107], v[164:165] neg_lo:[0,1] neg_hi:[0,1]
	s_delay_alu instid0(VALU_DEP_2) | instskip(NEXT) | instid1(VALU_DEP_1)
	v_pk_fma_f32 v[154:155], v[154:155], v[80:81], v[156:157] op_sel_hi:[1,1,0]
	v_mov_b32_e32 v163, v155
	ds_load_2addr_b64 v[154:157], v178 offset0:22 offset1:23
	v_pk_add_f32 v[100:101], v[100:101], v[162:163] neg_lo:[0,1] neg_hi:[0,1]
	s_wait_dscnt 0x0
	v_pk_mul_f32 v[162:163], v[154:155], v[160:161] op_sel:[0,1]
	s_delay_alu instid0(VALU_DEP_1) | instskip(SKIP_1) | instid1(VALU_DEP_1)
	v_pk_fma_f32 v[164:165], v[154:155], v[158:159], v[162:163] op_sel:[0,0,1] op_sel_hi:[1,1,0] neg_lo:[0,0,1] neg_hi:[0,0,1]
	v_pk_fma_f32 v[154:155], v[154:155], v[158:159], v[162:163] op_sel:[0,0,1] op_sel_hi:[1,0,0]
	v_mov_b32_e32 v165, v155
	v_pk_mul_f32 v[154:155], v[156:157], v[160:161] op_sel:[0,1]
	s_delay_alu instid0(VALU_DEP_1) | instskip(SKIP_1) | instid1(VALU_DEP_1)
	v_pk_fma_f32 v[162:163], v[156:157], v[158:159], v[154:155] op_sel:[0,0,1] op_sel_hi:[1,1,0] neg_lo:[0,0,1] neg_hi:[0,0,1]
	v_pk_fma_f32 v[154:155], v[156:157], v[158:159], v[154:155] op_sel:[0,0,1] op_sel_hi:[1,0,0]
	v_mov_b32_e32 v163, v155
	ds_load_2addr_b64 v[154:157], v178 offset0:24 offset1:25
	v_pk_add_f32 v[104:105], v[104:105], v[164:165] neg_lo:[0,1] neg_hi:[0,1]
	v_pk_add_f32 v[98:99], v[98:99], v[162:163] neg_lo:[0,1] neg_hi:[0,1]
	s_wait_dscnt 0x0
	v_pk_mul_f32 v[162:163], v[154:155], v[160:161] op_sel:[0,1]
	s_delay_alu instid0(VALU_DEP_1) | instskip(SKIP_1) | instid1(VALU_DEP_1)
	v_pk_fma_f32 v[164:165], v[154:155], v[158:159], v[162:163] op_sel:[0,0,1] op_sel_hi:[1,1,0] neg_lo:[0,0,1] neg_hi:[0,0,1]
	v_pk_fma_f32 v[154:155], v[154:155], v[158:159], v[162:163] op_sel:[0,0,1] op_sel_hi:[1,0,0]
	v_mov_b32_e32 v165, v155
	v_pk_mul_f32 v[154:155], v[156:157], v[160:161] op_sel:[0,1]
	s_delay_alu instid0(VALU_DEP_1) | instskip(SKIP_1) | instid1(VALU_DEP_1)
	v_pk_fma_f32 v[162:163], v[156:157], v[158:159], v[154:155] op_sel:[0,0,1] op_sel_hi:[1,1,0] neg_lo:[0,0,1] neg_hi:[0,0,1]
	v_pk_fma_f32 v[154:155], v[156:157], v[158:159], v[154:155] op_sel:[0,0,1] op_sel_hi:[1,0,0]
	v_mov_b32_e32 v163, v155
	ds_load_2addr_b64 v[154:157], v178 offset0:26 offset1:27
	v_pk_add_f32 v[102:103], v[102:103], v[164:165] neg_lo:[0,1] neg_hi:[0,1]
	v_pk_add_f32 v[114:115], v[114:115], v[162:163] neg_lo:[0,1] neg_hi:[0,1]
	s_wait_dscnt 0x0
	v_dual_mul_f32 v162, v155, v161 :: v_dual_mul_f32 v164, v155, v158
	s_delay_alu instid0(VALU_DEP_1) | instskip(NEXT) | instid1(VALU_DEP_2)
	v_pk_fma_f32 v[162:163], v[154:155], v[80:81], v[162:163] op_sel_hi:[1,1,0] neg_lo:[0,0,1] neg_hi:[0,0,1]
	v_pk_fma_f32 v[154:155], v[154:155], v[80:81], v[164:165] op_sel:[1,0,0] op_sel_hi:[0,1,0]
	s_delay_alu instid0(VALU_DEP_1) | instskip(SKIP_1) | instid1(VALU_DEP_2)
	v_mov_b32_e32 v163, v155
	v_pk_mul_f32 v[154:155], v[156:157], v[160:161] op_sel:[0,1]
	v_pk_add_f32 v[112:113], v[112:113], v[162:163] neg_lo:[0,1] neg_hi:[0,1]
	s_delay_alu instid0(VALU_DEP_2) | instskip(SKIP_1) | instid1(VALU_DEP_1)
	v_pk_fma_f32 v[162:163], v[156:157], v[158:159], v[154:155] op_sel:[0,0,1] op_sel_hi:[1,1,0] neg_lo:[0,0,1] neg_hi:[0,0,1]
	v_pk_fma_f32 v[154:155], v[156:157], v[158:159], v[154:155] op_sel:[0,0,1] op_sel_hi:[1,0,0]
	v_mov_b32_e32 v163, v155
	ds_load_b64 v[154:155], v178 offset:224
	v_pk_add_f32 v[110:111], v[110:111], v[162:163] neg_lo:[0,1] neg_hi:[0,1]
	s_wait_dscnt 0x0
	v_pk_mul_f32 v[156:157], v[154:155], v[160:161] op_sel:[0,1]
	s_delay_alu instid0(VALU_DEP_1) | instskip(SKIP_1) | instid1(VALU_DEP_1)
	v_pk_fma_f32 v[160:161], v[154:155], v[158:159], v[156:157] op_sel:[0,0,1] op_sel_hi:[1,1,0] neg_lo:[0,0,1] neg_hi:[0,0,1]
	v_pk_fma_f32 v[154:155], v[154:155], v[158:159], v[156:157] op_sel:[0,0,1] op_sel_hi:[1,0,0]
	v_mov_b32_e32 v161, v155
	s_delay_alu instid0(VALU_DEP_1)
	v_pk_add_f32 v[116:117], v[116:117], v[160:161] neg_lo:[0,1] neg_hi:[0,1]
.LBB57_163:
	s_or_b32 exec_lo, exec_lo, s1
	s_delay_alu instid0(SALU_CYCLE_1)
	s_mov_b32 s2, exec_lo
	s_wait_dscnt 0x0
	s_barrier_signal -1
	s_barrier_wait -1
	v_cmpx_eq_u32_e32 18, v176
	s_cbranch_execz .LBB57_170
; %bb.164:
	ds_store_b64 v177, v[82:83]
	ds_store_2addr_b64 v178, v[78:79], v[106:107] offset0:19 offset1:20
	ds_store_2addr_b64 v178, v[100:101], v[104:105] offset0:21 offset1:22
	;; [unrolled: 1-line block ×5, first 2 shown]
	ds_load_b64 v[154:155], v177
	s_wait_dscnt 0x0
	v_cmp_neq_f32_e32 vcc_lo, 0, v154
	v_cmp_neq_f32_e64 s1, 0, v155
	s_or_b32 s1, vcc_lo, s1
	s_delay_alu instid0(SALU_CYCLE_1)
	s_and_b32 exec_lo, exec_lo, s1
	s_cbranch_execz .LBB57_170
; %bb.165:
	v_cmp_ngt_f32_e64 s1, |v154|, |v155|
                                        ; implicit-def: $vgpr156_vgpr157
	s_and_saveexec_b32 s4, s1
	s_delay_alu instid0(SALU_CYCLE_1)
	s_xor_b32 s1, exec_lo, s4
	s_cbranch_execz .LBB57_167
; %bb.166:
	v_div_scale_f32 v156, null, v155, v155, v154
	v_div_scale_f32 v159, vcc_lo, v154, v155, v154
	s_delay_alu instid0(VALU_DEP_2) | instskip(SKIP_1) | instid1(TRANS32_DEP_1)
	v_rcp_f32_e32 v157, v156
	v_nop
	v_fma_f32 v158, -v156, v157, 1.0
	s_delay_alu instid0(VALU_DEP_1) | instskip(NEXT) | instid1(VALU_DEP_1)
	v_fmac_f32_e32 v157, v158, v157
	v_mul_f32_e32 v158, v159, v157
	s_delay_alu instid0(VALU_DEP_1) | instskip(NEXT) | instid1(VALU_DEP_1)
	v_fma_f32 v160, -v156, v158, v159
	v_fmac_f32_e32 v158, v160, v157
	s_delay_alu instid0(VALU_DEP_1) | instskip(NEXT) | instid1(VALU_DEP_1)
	v_fma_f32 v156, -v156, v158, v159
	v_div_fmas_f32 v156, v156, v157, v158
	s_delay_alu instid0(VALU_DEP_1) | instskip(NEXT) | instid1(VALU_DEP_1)
	v_div_fixup_f32 v156, v156, v155, v154
	v_fmac_f32_e32 v155, v154, v156
	s_delay_alu instid0(VALU_DEP_1) | instskip(SKIP_1) | instid1(VALU_DEP_2)
	v_div_scale_f32 v154, null, v155, v155, 1.0
	v_div_scale_f32 v159, vcc_lo, 1.0, v155, 1.0
	v_rcp_f32_e32 v157, v154
	v_nop
	s_delay_alu instid0(TRANS32_DEP_1) | instskip(NEXT) | instid1(VALU_DEP_1)
	v_fma_f32 v158, -v154, v157, 1.0
	v_fmac_f32_e32 v157, v158, v157
	s_delay_alu instid0(VALU_DEP_1) | instskip(NEXT) | instid1(VALU_DEP_1)
	v_mul_f32_e32 v158, v159, v157
	v_fma_f32 v160, -v154, v158, v159
	s_delay_alu instid0(VALU_DEP_1) | instskip(NEXT) | instid1(VALU_DEP_1)
	v_fmac_f32_e32 v158, v160, v157
	v_fma_f32 v154, -v154, v158, v159
	s_delay_alu instid0(VALU_DEP_1) | instskip(NEXT) | instid1(VALU_DEP_1)
	v_div_fmas_f32 v154, v154, v157, v158
	v_div_fixup_f32 v154, v154, v155, 1.0
	s_delay_alu instid0(VALU_DEP_1)
	v_mul_f32_e32 v156, v156, v154
	v_xor_b32_e32 v157, 0x80000000, v154
                                        ; implicit-def: $vgpr154_vgpr155
.LBB57_167:
	s_and_not1_saveexec_b32 s1, s1
	s_cbranch_execz .LBB57_169
; %bb.168:
	v_div_scale_f32 v156, null, v154, v154, v155
	v_div_scale_f32 v159, vcc_lo, v155, v154, v155
	s_delay_alu instid0(VALU_DEP_2) | instskip(SKIP_1) | instid1(TRANS32_DEP_1)
	v_rcp_f32_e32 v157, v156
	v_nop
	v_fma_f32 v158, -v156, v157, 1.0
	s_delay_alu instid0(VALU_DEP_1) | instskip(NEXT) | instid1(VALU_DEP_1)
	v_fmac_f32_e32 v157, v158, v157
	v_mul_f32_e32 v158, v159, v157
	s_delay_alu instid0(VALU_DEP_1) | instskip(NEXT) | instid1(VALU_DEP_1)
	v_fma_f32 v160, -v156, v158, v159
	v_fmac_f32_e32 v158, v160, v157
	s_delay_alu instid0(VALU_DEP_1) | instskip(NEXT) | instid1(VALU_DEP_1)
	v_fma_f32 v156, -v156, v158, v159
	v_div_fmas_f32 v156, v156, v157, v158
	s_delay_alu instid0(VALU_DEP_1) | instskip(NEXT) | instid1(VALU_DEP_1)
	v_div_fixup_f32 v157, v156, v154, v155
	v_fmac_f32_e32 v154, v155, v157
	s_delay_alu instid0(VALU_DEP_1) | instskip(NEXT) | instid1(VALU_DEP_1)
	v_div_scale_f32 v155, null, v154, v154, 1.0
	v_rcp_f32_e32 v156, v155
	v_nop
	s_delay_alu instid0(TRANS32_DEP_1) | instskip(NEXT) | instid1(VALU_DEP_1)
	v_fma_f32 v158, -v155, v156, 1.0
	v_fmac_f32_e32 v156, v158, v156
	v_div_scale_f32 v158, vcc_lo, 1.0, v154, 1.0
	s_delay_alu instid0(VALU_DEP_1) | instskip(NEXT) | instid1(VALU_DEP_1)
	v_mul_f32_e32 v159, v158, v156
	v_fma_f32 v160, -v155, v159, v158
	s_delay_alu instid0(VALU_DEP_1) | instskip(NEXT) | instid1(VALU_DEP_1)
	v_fmac_f32_e32 v159, v160, v156
	v_fma_f32 v155, -v155, v159, v158
	s_delay_alu instid0(VALU_DEP_1) | instskip(NEXT) | instid1(VALU_DEP_1)
	v_div_fmas_f32 v155, v155, v156, v159
	v_div_fixup_f32 v156, v155, v154, 1.0
	s_delay_alu instid0(VALU_DEP_1)
	v_mul_f32_e64 v157, v157, -v156
.LBB57_169:
	s_or_b32 exec_lo, exec_lo, s1
	ds_store_b64 v177, v[156:157]
.LBB57_170:
	s_or_b32 exec_lo, exec_lo, s2
	s_wait_dscnt 0x0
	s_barrier_signal -1
	s_barrier_wait -1
	ds_load_b64 v[154:155], v177
	s_mov_b32 s1, exec_lo
	v_cmpx_lt_u32_e32 18, v176
	s_cbranch_execz .LBB57_172
; %bb.171:
	s_wait_dscnt 0x0
	v_pk_mul_f32 v[156:157], v[154:155], v[82:83] op_sel:[1,1] op_sel_hi:[0,1]
	s_delay_alu instid0(VALU_DEP_1)
	v_pk_fma_f32 v[160:161], v[154:155], v[82:83], v[156:157] op_sel_hi:[1,0,1] neg_lo:[0,0,1] neg_hi:[0,0,1]
	v_pk_fma_f32 v[162:163], v[154:155], v[82:83], v[156:157] op_sel_hi:[1,0,1]
	ds_load_2addr_b64 v[156:159], v178 offset0:19 offset1:20
	v_dual_mov_b32 v82, v160 :: v_dual_mov_b32 v83, v163
	s_wait_dscnt 0x0
	v_pk_mul_f32 v[164:165], v[156:157], v[162:163] op_sel:[0,1]
	s_delay_alu instid0(VALU_DEP_1) | instskip(SKIP_1) | instid1(VALU_DEP_1)
	v_pk_fma_f32 v[166:167], v[156:157], v[160:161], v[164:165] op_sel:[0,0,1] op_sel_hi:[1,1,0] neg_lo:[0,0,1] neg_hi:[0,0,1]
	v_pk_fma_f32 v[156:157], v[156:157], v[160:161], v[164:165] op_sel:[0,0,1] op_sel_hi:[1,0,0]
	v_mov_b32_e32 v167, v157
	v_pk_mul_f32 v[156:157], v[158:159], v[162:163] op_sel:[0,1]
	s_delay_alu instid0(VALU_DEP_1) | instskip(SKIP_1) | instid1(VALU_DEP_1)
	v_pk_fma_f32 v[164:165], v[158:159], v[160:161], v[156:157] op_sel:[0,0,1] op_sel_hi:[1,1,0] neg_lo:[0,0,1] neg_hi:[0,0,1]
	v_pk_fma_f32 v[156:157], v[158:159], v[160:161], v[156:157] op_sel:[0,0,1] op_sel_hi:[1,0,0]
	v_mov_b32_e32 v165, v157
	ds_load_2addr_b64 v[156:159], v178 offset0:21 offset1:22
	v_pk_add_f32 v[78:79], v[78:79], v[166:167] neg_lo:[0,1] neg_hi:[0,1]
	v_pk_add_f32 v[106:107], v[106:107], v[164:165] neg_lo:[0,1] neg_hi:[0,1]
	s_wait_dscnt 0x0
	v_pk_mul_f32 v[164:165], v[156:157], v[162:163] op_sel:[0,1]
	s_delay_alu instid0(VALU_DEP_1) | instskip(SKIP_2) | instid1(VALU_DEP_2)
	v_pk_fma_f32 v[166:167], v[156:157], v[160:161], v[164:165] op_sel:[0,0,1] op_sel_hi:[1,1,0] neg_lo:[0,0,1] neg_hi:[0,0,1]
	v_pk_fma_f32 v[156:157], v[156:157], v[160:161], v[164:165] op_sel:[0,0,1] op_sel_hi:[1,0,0]
	v_dual_mul_f32 v164, v159, v163 :: v_dual_mov_b32 v156, v159
	v_dual_mov_b32 v167, v157 :: v_dual_mov_b32 v157, v158
	s_delay_alu instid0(VALU_DEP_2) | instskip(SKIP_1) | instid1(VALU_DEP_3)
	v_pk_fma_f32 v[164:165], v[158:159], v[82:83], v[164:165] op_sel_hi:[1,1,0] neg_lo:[0,0,1] neg_hi:[0,0,1]
	v_mul_f32_e32 v158, v159, v160
	v_pk_add_f32 v[100:101], v[100:101], v[166:167] neg_lo:[0,1] neg_hi:[0,1]
	s_delay_alu instid0(VALU_DEP_2) | instskip(NEXT) | instid1(VALU_DEP_1)
	v_pk_fma_f32 v[156:157], v[156:157], v[82:83], v[158:159] op_sel_hi:[1,1,0]
	v_mov_b32_e32 v165, v157
	ds_load_2addr_b64 v[156:159], v178 offset0:23 offset1:24
	v_pk_add_f32 v[104:105], v[104:105], v[164:165] neg_lo:[0,1] neg_hi:[0,1]
	s_wait_dscnt 0x0
	v_pk_mul_f32 v[164:165], v[156:157], v[162:163] op_sel:[0,1]
	s_delay_alu instid0(VALU_DEP_1) | instskip(SKIP_1) | instid1(VALU_DEP_1)
	v_pk_fma_f32 v[166:167], v[156:157], v[160:161], v[164:165] op_sel:[0,0,1] op_sel_hi:[1,1,0] neg_lo:[0,0,1] neg_hi:[0,0,1]
	v_pk_fma_f32 v[156:157], v[156:157], v[160:161], v[164:165] op_sel:[0,0,1] op_sel_hi:[1,0,0]
	v_mov_b32_e32 v167, v157
	v_pk_mul_f32 v[156:157], v[158:159], v[162:163] op_sel:[0,1]
	s_delay_alu instid0(VALU_DEP_1) | instskip(SKIP_1) | instid1(VALU_DEP_1)
	v_pk_fma_f32 v[164:165], v[158:159], v[160:161], v[156:157] op_sel:[0,0,1] op_sel_hi:[1,1,0] neg_lo:[0,0,1] neg_hi:[0,0,1]
	v_pk_fma_f32 v[156:157], v[158:159], v[160:161], v[156:157] op_sel:[0,0,1] op_sel_hi:[1,0,0]
	v_mov_b32_e32 v165, v157
	ds_load_2addr_b64 v[156:159], v178 offset0:25 offset1:26
	v_pk_add_f32 v[98:99], v[98:99], v[166:167] neg_lo:[0,1] neg_hi:[0,1]
	v_pk_add_f32 v[102:103], v[102:103], v[164:165] neg_lo:[0,1] neg_hi:[0,1]
	s_wait_dscnt 0x0
	v_pk_mul_f32 v[164:165], v[156:157], v[162:163] op_sel:[0,1]
	s_delay_alu instid0(VALU_DEP_1) | instskip(SKIP_1) | instid1(VALU_DEP_1)
	v_pk_fma_f32 v[166:167], v[156:157], v[160:161], v[164:165] op_sel:[0,0,1] op_sel_hi:[1,1,0] neg_lo:[0,0,1] neg_hi:[0,0,1]
	v_pk_fma_f32 v[156:157], v[156:157], v[160:161], v[164:165] op_sel:[0,0,1] op_sel_hi:[1,0,0]
	v_mov_b32_e32 v167, v157
	v_pk_mul_f32 v[156:157], v[158:159], v[162:163] op_sel:[0,1]
	s_delay_alu instid0(VALU_DEP_1) | instskip(SKIP_1) | instid1(VALU_DEP_1)
	v_pk_fma_f32 v[164:165], v[158:159], v[160:161], v[156:157] op_sel:[0,0,1] op_sel_hi:[1,1,0] neg_lo:[0,0,1] neg_hi:[0,0,1]
	v_pk_fma_f32 v[156:157], v[158:159], v[160:161], v[156:157] op_sel:[0,0,1] op_sel_hi:[1,0,0]
	v_mov_b32_e32 v165, v157
	ds_load_2addr_b64 v[156:159], v178 offset0:27 offset1:28
	v_pk_add_f32 v[114:115], v[114:115], v[166:167] neg_lo:[0,1] neg_hi:[0,1]
	v_pk_add_f32 v[112:113], v[112:113], v[164:165] neg_lo:[0,1] neg_hi:[0,1]
	s_wait_dscnt 0x0
	v_dual_mul_f32 v164, v157, v163 :: v_dual_mul_f32 v166, v157, v160
	s_delay_alu instid0(VALU_DEP_1) | instskip(NEXT) | instid1(VALU_DEP_2)
	v_pk_fma_f32 v[164:165], v[156:157], v[82:83], v[164:165] op_sel_hi:[1,1,0] neg_lo:[0,0,1] neg_hi:[0,0,1]
	v_pk_fma_f32 v[156:157], v[156:157], v[82:83], v[166:167] op_sel:[1,0,0] op_sel_hi:[0,1,0]
	s_delay_alu instid0(VALU_DEP_1) | instskip(SKIP_1) | instid1(VALU_DEP_1)
	v_mov_b32_e32 v165, v157
	v_pk_mul_f32 v[156:157], v[158:159], v[162:163] op_sel:[0,1]
	v_pk_fma_f32 v[162:163], v[158:159], v[160:161], v[156:157] op_sel:[0,0,1] op_sel_hi:[1,1,0] neg_lo:[0,0,1] neg_hi:[0,0,1]
	v_pk_fma_f32 v[156:157], v[158:159], v[160:161], v[156:157] op_sel:[0,0,1] op_sel_hi:[1,0,0]
	s_delay_alu instid0(VALU_DEP_1) | instskip(SKIP_1) | instid1(VALU_DEP_2)
	v_mov_b32_e32 v163, v157
	v_pk_add_f32 v[110:111], v[110:111], v[164:165] neg_lo:[0,1] neg_hi:[0,1]
	v_pk_add_f32 v[116:117], v[116:117], v[162:163] neg_lo:[0,1] neg_hi:[0,1]
.LBB57_172:
	s_or_b32 exec_lo, exec_lo, s1
	s_delay_alu instid0(SALU_CYCLE_1)
	s_mov_b32 s2, exec_lo
	s_wait_dscnt 0x0
	s_barrier_signal -1
	s_barrier_wait -1
	v_cmpx_eq_u32_e32 19, v176
	s_cbranch_execz .LBB57_179
; %bb.173:
	v_dual_mov_b32 v156, v106 :: v_dual_mov_b32 v157, v107
	v_dual_mov_b32 v158, v100 :: v_dual_mov_b32 v159, v101
	;; [unrolled: 1-line block ×8, first 2 shown]
	ds_store_b64 v177, v[78:79]
	ds_store_2addr_b64 v178, v[156:157], v[158:159] offset0:20 offset1:21
	ds_store_2addr_b64 v178, v[160:161], v[162:163] offset0:22 offset1:23
	;; [unrolled: 1-line block ×4, first 2 shown]
	ds_store_b64 v178, v[116:117] offset:224
	ds_load_b64 v[156:157], v177
	s_wait_dscnt 0x0
	v_cmp_neq_f32_e32 vcc_lo, 0, v156
	v_cmp_neq_f32_e64 s1, 0, v157
	s_or_b32 s1, vcc_lo, s1
	s_delay_alu instid0(SALU_CYCLE_1)
	s_and_b32 exec_lo, exec_lo, s1
	s_cbranch_execz .LBB57_179
; %bb.174:
	v_cmp_ngt_f32_e64 s1, |v156|, |v157|
                                        ; implicit-def: $vgpr158_vgpr159
	s_and_saveexec_b32 s4, s1
	s_delay_alu instid0(SALU_CYCLE_1)
	s_xor_b32 s1, exec_lo, s4
	s_cbranch_execz .LBB57_176
; %bb.175:
	v_div_scale_f32 v158, null, v157, v157, v156
	v_div_scale_f32 v161, vcc_lo, v156, v157, v156
	s_delay_alu instid0(VALU_DEP_2) | instskip(SKIP_1) | instid1(TRANS32_DEP_1)
	v_rcp_f32_e32 v159, v158
	v_nop
	v_fma_f32 v160, -v158, v159, 1.0
	s_delay_alu instid0(VALU_DEP_1) | instskip(NEXT) | instid1(VALU_DEP_1)
	v_fmac_f32_e32 v159, v160, v159
	v_mul_f32_e32 v160, v161, v159
	s_delay_alu instid0(VALU_DEP_1) | instskip(NEXT) | instid1(VALU_DEP_1)
	v_fma_f32 v162, -v158, v160, v161
	v_fmac_f32_e32 v160, v162, v159
	s_delay_alu instid0(VALU_DEP_1) | instskip(NEXT) | instid1(VALU_DEP_1)
	v_fma_f32 v158, -v158, v160, v161
	v_div_fmas_f32 v158, v158, v159, v160
	s_delay_alu instid0(VALU_DEP_1) | instskip(NEXT) | instid1(VALU_DEP_1)
	v_div_fixup_f32 v158, v158, v157, v156
	v_fmac_f32_e32 v157, v156, v158
	s_delay_alu instid0(VALU_DEP_1) | instskip(SKIP_1) | instid1(VALU_DEP_2)
	v_div_scale_f32 v156, null, v157, v157, 1.0
	v_div_scale_f32 v161, vcc_lo, 1.0, v157, 1.0
	v_rcp_f32_e32 v159, v156
	v_nop
	s_delay_alu instid0(TRANS32_DEP_1) | instskip(NEXT) | instid1(VALU_DEP_1)
	v_fma_f32 v160, -v156, v159, 1.0
	v_fmac_f32_e32 v159, v160, v159
	s_delay_alu instid0(VALU_DEP_1) | instskip(NEXT) | instid1(VALU_DEP_1)
	v_mul_f32_e32 v160, v161, v159
	v_fma_f32 v162, -v156, v160, v161
	s_delay_alu instid0(VALU_DEP_1) | instskip(NEXT) | instid1(VALU_DEP_1)
	v_fmac_f32_e32 v160, v162, v159
	v_fma_f32 v156, -v156, v160, v161
	s_delay_alu instid0(VALU_DEP_1) | instskip(NEXT) | instid1(VALU_DEP_1)
	v_div_fmas_f32 v156, v156, v159, v160
	v_div_fixup_f32 v156, v156, v157, 1.0
	s_delay_alu instid0(VALU_DEP_1)
	v_mul_f32_e32 v158, v158, v156
	v_xor_b32_e32 v159, 0x80000000, v156
                                        ; implicit-def: $vgpr156_vgpr157
.LBB57_176:
	s_and_not1_saveexec_b32 s1, s1
	s_cbranch_execz .LBB57_178
; %bb.177:
	v_div_scale_f32 v158, null, v156, v156, v157
	v_div_scale_f32 v161, vcc_lo, v157, v156, v157
	s_delay_alu instid0(VALU_DEP_2) | instskip(SKIP_1) | instid1(TRANS32_DEP_1)
	v_rcp_f32_e32 v159, v158
	v_nop
	v_fma_f32 v160, -v158, v159, 1.0
	s_delay_alu instid0(VALU_DEP_1) | instskip(NEXT) | instid1(VALU_DEP_1)
	v_fmac_f32_e32 v159, v160, v159
	v_mul_f32_e32 v160, v161, v159
	s_delay_alu instid0(VALU_DEP_1) | instskip(NEXT) | instid1(VALU_DEP_1)
	v_fma_f32 v162, -v158, v160, v161
	v_fmac_f32_e32 v160, v162, v159
	s_delay_alu instid0(VALU_DEP_1) | instskip(NEXT) | instid1(VALU_DEP_1)
	v_fma_f32 v158, -v158, v160, v161
	v_div_fmas_f32 v158, v158, v159, v160
	s_delay_alu instid0(VALU_DEP_1) | instskip(NEXT) | instid1(VALU_DEP_1)
	v_div_fixup_f32 v159, v158, v156, v157
	v_fmac_f32_e32 v156, v157, v159
	s_delay_alu instid0(VALU_DEP_1) | instskip(NEXT) | instid1(VALU_DEP_1)
	v_div_scale_f32 v157, null, v156, v156, 1.0
	v_rcp_f32_e32 v158, v157
	v_nop
	s_delay_alu instid0(TRANS32_DEP_1) | instskip(NEXT) | instid1(VALU_DEP_1)
	v_fma_f32 v160, -v157, v158, 1.0
	v_fmac_f32_e32 v158, v160, v158
	v_div_scale_f32 v160, vcc_lo, 1.0, v156, 1.0
	s_delay_alu instid0(VALU_DEP_1) | instskip(NEXT) | instid1(VALU_DEP_1)
	v_mul_f32_e32 v161, v160, v158
	v_fma_f32 v162, -v157, v161, v160
	s_delay_alu instid0(VALU_DEP_1) | instskip(NEXT) | instid1(VALU_DEP_1)
	v_fmac_f32_e32 v161, v162, v158
	v_fma_f32 v157, -v157, v161, v160
	s_delay_alu instid0(VALU_DEP_1) | instskip(NEXT) | instid1(VALU_DEP_1)
	v_div_fmas_f32 v157, v157, v158, v161
	v_div_fixup_f32 v158, v157, v156, 1.0
	s_delay_alu instid0(VALU_DEP_1)
	v_mul_f32_e64 v159, v159, -v158
.LBB57_178:
	s_or_b32 exec_lo, exec_lo, s1
	ds_store_b64 v177, v[158:159]
.LBB57_179:
	s_or_b32 exec_lo, exec_lo, s2
	s_wait_dscnt 0x0
	s_barrier_signal -1
	s_barrier_wait -1
	ds_load_b64 v[156:157], v177
	s_mov_b32 s1, exec_lo
	v_cmpx_lt_u32_e32 19, v176
	s_cbranch_execz .LBB57_181
; %bb.180:
	s_wait_dscnt 0x0
	v_pk_mul_f32 v[158:159], v[156:157], v[78:79] op_sel:[1,1] op_sel_hi:[0,1]
	s_delay_alu instid0(VALU_DEP_1)
	v_pk_fma_f32 v[162:163], v[156:157], v[78:79], v[158:159] op_sel_hi:[1,0,1] neg_lo:[0,0,1] neg_hi:[0,0,1]
	v_pk_fma_f32 v[164:165], v[156:157], v[78:79], v[158:159] op_sel_hi:[1,0,1]
	ds_load_2addr_b64 v[158:161], v178 offset0:20 offset1:21
	v_dual_mov_b32 v78, v162 :: v_dual_mov_b32 v79, v165
	s_wait_dscnt 0x0
	v_pk_mul_f32 v[166:167], v[158:159], v[164:165] op_sel:[0,1]
	s_delay_alu instid0(VALU_DEP_1) | instskip(SKIP_1) | instid1(VALU_DEP_1)
	v_pk_fma_f32 v[168:169], v[158:159], v[162:163], v[166:167] op_sel:[0,0,1] op_sel_hi:[1,1,0] neg_lo:[0,0,1] neg_hi:[0,0,1]
	v_pk_fma_f32 v[158:159], v[158:159], v[162:163], v[166:167] op_sel:[0,0,1] op_sel_hi:[1,0,0]
	v_mov_b32_e32 v169, v159
	v_pk_mul_f32 v[158:159], v[160:161], v[164:165] op_sel:[0,1]
	s_delay_alu instid0(VALU_DEP_1) | instskip(SKIP_1) | instid1(VALU_DEP_1)
	v_pk_fma_f32 v[166:167], v[160:161], v[162:163], v[158:159] op_sel:[0,0,1] op_sel_hi:[1,1,0] neg_lo:[0,0,1] neg_hi:[0,0,1]
	v_pk_fma_f32 v[158:159], v[160:161], v[162:163], v[158:159] op_sel:[0,0,1] op_sel_hi:[1,0,0]
	v_mov_b32_e32 v167, v159
	ds_load_2addr_b64 v[158:161], v178 offset0:22 offset1:23
	v_pk_add_f32 v[106:107], v[106:107], v[168:169] neg_lo:[0,1] neg_hi:[0,1]
	v_pk_add_f32 v[100:101], v[100:101], v[166:167] neg_lo:[0,1] neg_hi:[0,1]
	s_wait_dscnt 0x0
	v_pk_mul_f32 v[166:167], v[158:159], v[164:165] op_sel:[0,1]
	s_delay_alu instid0(VALU_DEP_1) | instskip(SKIP_2) | instid1(VALU_DEP_2)
	v_pk_fma_f32 v[168:169], v[158:159], v[162:163], v[166:167] op_sel:[0,0,1] op_sel_hi:[1,1,0] neg_lo:[0,0,1] neg_hi:[0,0,1]
	v_pk_fma_f32 v[158:159], v[158:159], v[162:163], v[166:167] op_sel:[0,0,1] op_sel_hi:[1,0,0]
	v_dual_mul_f32 v166, v161, v165 :: v_dual_mov_b32 v158, v161
	v_dual_mov_b32 v169, v159 :: v_dual_mov_b32 v159, v160
	s_delay_alu instid0(VALU_DEP_2) | instskip(SKIP_1) | instid1(VALU_DEP_3)
	v_pk_fma_f32 v[166:167], v[160:161], v[78:79], v[166:167] op_sel_hi:[1,1,0] neg_lo:[0,0,1] neg_hi:[0,0,1]
	v_mul_f32_e32 v160, v161, v162
	v_pk_add_f32 v[104:105], v[104:105], v[168:169] neg_lo:[0,1] neg_hi:[0,1]
	s_delay_alu instid0(VALU_DEP_2) | instskip(NEXT) | instid1(VALU_DEP_1)
	v_pk_fma_f32 v[158:159], v[158:159], v[78:79], v[160:161] op_sel_hi:[1,1,0]
	v_mov_b32_e32 v167, v159
	ds_load_2addr_b64 v[158:161], v178 offset0:24 offset1:25
	v_pk_add_f32 v[98:99], v[98:99], v[166:167] neg_lo:[0,1] neg_hi:[0,1]
	s_wait_dscnt 0x0
	v_pk_mul_f32 v[166:167], v[158:159], v[164:165] op_sel:[0,1]
	s_delay_alu instid0(VALU_DEP_1) | instskip(SKIP_1) | instid1(VALU_DEP_1)
	v_pk_fma_f32 v[168:169], v[158:159], v[162:163], v[166:167] op_sel:[0,0,1] op_sel_hi:[1,1,0] neg_lo:[0,0,1] neg_hi:[0,0,1]
	v_pk_fma_f32 v[158:159], v[158:159], v[162:163], v[166:167] op_sel:[0,0,1] op_sel_hi:[1,0,0]
	v_mov_b32_e32 v169, v159
	v_pk_mul_f32 v[158:159], v[160:161], v[164:165] op_sel:[0,1]
	s_delay_alu instid0(VALU_DEP_1) | instskip(SKIP_1) | instid1(VALU_DEP_1)
	v_pk_fma_f32 v[166:167], v[160:161], v[162:163], v[158:159] op_sel:[0,0,1] op_sel_hi:[1,1,0] neg_lo:[0,0,1] neg_hi:[0,0,1]
	v_pk_fma_f32 v[158:159], v[160:161], v[162:163], v[158:159] op_sel:[0,0,1] op_sel_hi:[1,0,0]
	v_mov_b32_e32 v167, v159
	ds_load_2addr_b64 v[158:161], v178 offset0:26 offset1:27
	v_pk_add_f32 v[102:103], v[102:103], v[168:169] neg_lo:[0,1] neg_hi:[0,1]
	v_pk_add_f32 v[114:115], v[114:115], v[166:167] neg_lo:[0,1] neg_hi:[0,1]
	s_wait_dscnt 0x0
	v_pk_mul_f32 v[166:167], v[158:159], v[164:165] op_sel:[0,1]
	s_delay_alu instid0(VALU_DEP_1) | instskip(SKIP_1) | instid1(VALU_DEP_1)
	v_pk_fma_f32 v[168:169], v[158:159], v[162:163], v[166:167] op_sel:[0,0,1] op_sel_hi:[1,1,0] neg_lo:[0,0,1] neg_hi:[0,0,1]
	v_pk_fma_f32 v[158:159], v[158:159], v[162:163], v[166:167] op_sel:[0,0,1] op_sel_hi:[1,0,0]
	v_mov_b32_e32 v169, v159
	v_pk_mul_f32 v[158:159], v[160:161], v[164:165] op_sel:[0,1]
	s_delay_alu instid0(VALU_DEP_1) | instskip(SKIP_1) | instid1(VALU_DEP_1)
	v_pk_fma_f32 v[166:167], v[160:161], v[162:163], v[158:159] op_sel:[0,0,1] op_sel_hi:[1,1,0] neg_lo:[0,0,1] neg_hi:[0,0,1]
	v_pk_fma_f32 v[158:159], v[160:161], v[162:163], v[158:159] op_sel:[0,0,1] op_sel_hi:[1,0,0]
	v_mov_b32_e32 v167, v159
	ds_load_b64 v[158:159], v178 offset:224
	v_pk_add_f32 v[112:113], v[112:113], v[168:169] neg_lo:[0,1] neg_hi:[0,1]
	v_pk_add_f32 v[110:111], v[110:111], v[166:167] neg_lo:[0,1] neg_hi:[0,1]
	s_wait_dscnt 0x0
	v_pk_mul_f32 v[160:161], v[158:159], v[164:165] op_sel:[0,1]
	s_delay_alu instid0(VALU_DEP_1) | instskip(SKIP_1) | instid1(VALU_DEP_1)
	v_pk_fma_f32 v[164:165], v[158:159], v[162:163], v[160:161] op_sel:[0,0,1] op_sel_hi:[1,1,0] neg_lo:[0,0,1] neg_hi:[0,0,1]
	v_pk_fma_f32 v[158:159], v[158:159], v[162:163], v[160:161] op_sel:[0,0,1] op_sel_hi:[1,0,0]
	v_mov_b32_e32 v165, v159
	s_delay_alu instid0(VALU_DEP_1)
	v_pk_add_f32 v[116:117], v[116:117], v[164:165] neg_lo:[0,1] neg_hi:[0,1]
.LBB57_181:
	s_or_b32 exec_lo, exec_lo, s1
	s_delay_alu instid0(SALU_CYCLE_1)
	s_mov_b32 s2, exec_lo
	s_wait_dscnt 0x0
	s_barrier_signal -1
	s_barrier_wait -1
	v_cmpx_eq_u32_e32 20, v176
	s_cbranch_execz .LBB57_188
; %bb.182:
	ds_store_b64 v177, v[106:107]
	ds_store_2addr_b64 v178, v[100:101], v[104:105] offset0:21 offset1:22
	ds_store_2addr_b64 v178, v[98:99], v[102:103] offset0:23 offset1:24
	;; [unrolled: 1-line block ×4, first 2 shown]
	ds_load_b64 v[158:159], v177
	s_wait_dscnt 0x0
	v_cmp_neq_f32_e32 vcc_lo, 0, v158
	v_cmp_neq_f32_e64 s1, 0, v159
	s_or_b32 s1, vcc_lo, s1
	s_delay_alu instid0(SALU_CYCLE_1)
	s_and_b32 exec_lo, exec_lo, s1
	s_cbranch_execz .LBB57_188
; %bb.183:
	v_cmp_ngt_f32_e64 s1, |v158|, |v159|
                                        ; implicit-def: $vgpr160_vgpr161
	s_and_saveexec_b32 s4, s1
	s_delay_alu instid0(SALU_CYCLE_1)
	s_xor_b32 s1, exec_lo, s4
	s_cbranch_execz .LBB57_185
; %bb.184:
	v_div_scale_f32 v160, null, v159, v159, v158
	v_div_scale_f32 v163, vcc_lo, v158, v159, v158
	s_delay_alu instid0(VALU_DEP_2) | instskip(SKIP_1) | instid1(TRANS32_DEP_1)
	v_rcp_f32_e32 v161, v160
	v_nop
	v_fma_f32 v162, -v160, v161, 1.0
	s_delay_alu instid0(VALU_DEP_1) | instskip(NEXT) | instid1(VALU_DEP_1)
	v_fmac_f32_e32 v161, v162, v161
	v_mul_f32_e32 v162, v163, v161
	s_delay_alu instid0(VALU_DEP_1) | instskip(NEXT) | instid1(VALU_DEP_1)
	v_fma_f32 v164, -v160, v162, v163
	v_fmac_f32_e32 v162, v164, v161
	s_delay_alu instid0(VALU_DEP_1) | instskip(NEXT) | instid1(VALU_DEP_1)
	v_fma_f32 v160, -v160, v162, v163
	v_div_fmas_f32 v160, v160, v161, v162
	s_delay_alu instid0(VALU_DEP_1) | instskip(NEXT) | instid1(VALU_DEP_1)
	v_div_fixup_f32 v160, v160, v159, v158
	v_fmac_f32_e32 v159, v158, v160
	s_delay_alu instid0(VALU_DEP_1) | instskip(SKIP_1) | instid1(VALU_DEP_2)
	v_div_scale_f32 v158, null, v159, v159, 1.0
	v_div_scale_f32 v163, vcc_lo, 1.0, v159, 1.0
	v_rcp_f32_e32 v161, v158
	v_nop
	s_delay_alu instid0(TRANS32_DEP_1) | instskip(NEXT) | instid1(VALU_DEP_1)
	v_fma_f32 v162, -v158, v161, 1.0
	v_fmac_f32_e32 v161, v162, v161
	s_delay_alu instid0(VALU_DEP_1) | instskip(NEXT) | instid1(VALU_DEP_1)
	v_mul_f32_e32 v162, v163, v161
	v_fma_f32 v164, -v158, v162, v163
	s_delay_alu instid0(VALU_DEP_1) | instskip(NEXT) | instid1(VALU_DEP_1)
	v_fmac_f32_e32 v162, v164, v161
	v_fma_f32 v158, -v158, v162, v163
	s_delay_alu instid0(VALU_DEP_1) | instskip(NEXT) | instid1(VALU_DEP_1)
	v_div_fmas_f32 v158, v158, v161, v162
	v_div_fixup_f32 v158, v158, v159, 1.0
	s_delay_alu instid0(VALU_DEP_1)
	v_mul_f32_e32 v160, v160, v158
	v_xor_b32_e32 v161, 0x80000000, v158
                                        ; implicit-def: $vgpr158_vgpr159
.LBB57_185:
	s_and_not1_saveexec_b32 s1, s1
	s_cbranch_execz .LBB57_187
; %bb.186:
	v_div_scale_f32 v160, null, v158, v158, v159
	v_div_scale_f32 v163, vcc_lo, v159, v158, v159
	s_delay_alu instid0(VALU_DEP_2) | instskip(SKIP_1) | instid1(TRANS32_DEP_1)
	v_rcp_f32_e32 v161, v160
	v_nop
	v_fma_f32 v162, -v160, v161, 1.0
	s_delay_alu instid0(VALU_DEP_1) | instskip(NEXT) | instid1(VALU_DEP_1)
	v_fmac_f32_e32 v161, v162, v161
	v_mul_f32_e32 v162, v163, v161
	s_delay_alu instid0(VALU_DEP_1) | instskip(NEXT) | instid1(VALU_DEP_1)
	v_fma_f32 v164, -v160, v162, v163
	v_fmac_f32_e32 v162, v164, v161
	s_delay_alu instid0(VALU_DEP_1) | instskip(NEXT) | instid1(VALU_DEP_1)
	v_fma_f32 v160, -v160, v162, v163
	v_div_fmas_f32 v160, v160, v161, v162
	s_delay_alu instid0(VALU_DEP_1) | instskip(NEXT) | instid1(VALU_DEP_1)
	v_div_fixup_f32 v161, v160, v158, v159
	v_fmac_f32_e32 v158, v159, v161
	s_delay_alu instid0(VALU_DEP_1) | instskip(NEXT) | instid1(VALU_DEP_1)
	v_div_scale_f32 v159, null, v158, v158, 1.0
	v_rcp_f32_e32 v160, v159
	v_nop
	s_delay_alu instid0(TRANS32_DEP_1) | instskip(NEXT) | instid1(VALU_DEP_1)
	v_fma_f32 v162, -v159, v160, 1.0
	v_fmac_f32_e32 v160, v162, v160
	v_div_scale_f32 v162, vcc_lo, 1.0, v158, 1.0
	s_delay_alu instid0(VALU_DEP_1) | instskip(NEXT) | instid1(VALU_DEP_1)
	v_mul_f32_e32 v163, v162, v160
	v_fma_f32 v164, -v159, v163, v162
	s_delay_alu instid0(VALU_DEP_1) | instskip(NEXT) | instid1(VALU_DEP_1)
	v_fmac_f32_e32 v163, v164, v160
	v_fma_f32 v159, -v159, v163, v162
	s_delay_alu instid0(VALU_DEP_1) | instskip(NEXT) | instid1(VALU_DEP_1)
	v_div_fmas_f32 v159, v159, v160, v163
	v_div_fixup_f32 v160, v159, v158, 1.0
	s_delay_alu instid0(VALU_DEP_1)
	v_mul_f32_e64 v161, v161, -v160
.LBB57_187:
	s_or_b32 exec_lo, exec_lo, s1
	ds_store_b64 v177, v[160:161]
.LBB57_188:
	s_or_b32 exec_lo, exec_lo, s2
	s_wait_dscnt 0x0
	s_barrier_signal -1
	s_barrier_wait -1
	ds_load_b64 v[158:159], v177
	s_mov_b32 s1, exec_lo
	v_cmpx_lt_u32_e32 20, v176
	s_cbranch_execz .LBB57_190
; %bb.189:
	s_wait_dscnt 0x0
	v_pk_mul_f32 v[160:161], v[158:159], v[106:107] op_sel:[1,1] op_sel_hi:[0,1]
	s_delay_alu instid0(VALU_DEP_1)
	v_pk_fma_f32 v[164:165], v[158:159], v[106:107], v[160:161] op_sel_hi:[1,0,1] neg_lo:[0,0,1] neg_hi:[0,0,1]
	v_pk_fma_f32 v[166:167], v[158:159], v[106:107], v[160:161] op_sel_hi:[1,0,1]
	ds_load_2addr_b64 v[160:163], v178 offset0:21 offset1:22
	v_dual_mov_b32 v106, v164 :: v_dual_mov_b32 v107, v167
	s_wait_dscnt 0x0
	v_pk_mul_f32 v[168:169], v[160:161], v[166:167] op_sel:[0,1]
	s_delay_alu instid0(VALU_DEP_1) | instskip(SKIP_1) | instid1(VALU_DEP_1)
	v_pk_fma_f32 v[170:171], v[160:161], v[164:165], v[168:169] op_sel:[0,0,1] op_sel_hi:[1,1,0] neg_lo:[0,0,1] neg_hi:[0,0,1]
	v_pk_fma_f32 v[160:161], v[160:161], v[164:165], v[168:169] op_sel:[0,0,1] op_sel_hi:[1,0,0]
	v_mov_b32_e32 v171, v161
	v_pk_mul_f32 v[160:161], v[162:163], v[166:167] op_sel:[0,1]
	s_delay_alu instid0(VALU_DEP_1) | instskip(SKIP_1) | instid1(VALU_DEP_1)
	v_pk_fma_f32 v[168:169], v[162:163], v[164:165], v[160:161] op_sel:[0,0,1] op_sel_hi:[1,1,0] neg_lo:[0,0,1] neg_hi:[0,0,1]
	v_pk_fma_f32 v[160:161], v[162:163], v[164:165], v[160:161] op_sel:[0,0,1] op_sel_hi:[1,0,0]
	v_mov_b32_e32 v169, v161
	ds_load_2addr_b64 v[160:163], v178 offset0:23 offset1:24
	v_pk_add_f32 v[100:101], v[100:101], v[170:171] neg_lo:[0,1] neg_hi:[0,1]
	v_pk_add_f32 v[104:105], v[104:105], v[168:169] neg_lo:[0,1] neg_hi:[0,1]
	s_wait_dscnt 0x0
	v_pk_mul_f32 v[168:169], v[160:161], v[166:167] op_sel:[0,1]
	s_delay_alu instid0(VALU_DEP_1) | instskip(SKIP_2) | instid1(VALU_DEP_2)
	v_pk_fma_f32 v[170:171], v[160:161], v[164:165], v[168:169] op_sel:[0,0,1] op_sel_hi:[1,1,0] neg_lo:[0,0,1] neg_hi:[0,0,1]
	v_pk_fma_f32 v[160:161], v[160:161], v[164:165], v[168:169] op_sel:[0,0,1] op_sel_hi:[1,0,0]
	v_dual_mul_f32 v168, v163, v167 :: v_dual_mov_b32 v160, v163
	v_dual_mov_b32 v171, v161 :: v_dual_mov_b32 v161, v162
	s_delay_alu instid0(VALU_DEP_2) | instskip(SKIP_1) | instid1(VALU_DEP_3)
	v_pk_fma_f32 v[168:169], v[162:163], v[106:107], v[168:169] op_sel_hi:[1,1,0] neg_lo:[0,0,1] neg_hi:[0,0,1]
	v_mul_f32_e32 v162, v163, v164
	v_pk_add_f32 v[98:99], v[98:99], v[170:171] neg_lo:[0,1] neg_hi:[0,1]
	s_delay_alu instid0(VALU_DEP_2) | instskip(NEXT) | instid1(VALU_DEP_1)
	v_pk_fma_f32 v[160:161], v[160:161], v[106:107], v[162:163] op_sel_hi:[1,1,0]
	v_mov_b32_e32 v169, v161
	ds_load_2addr_b64 v[160:163], v178 offset0:25 offset1:26
	v_pk_add_f32 v[102:103], v[102:103], v[168:169] neg_lo:[0,1] neg_hi:[0,1]
	s_wait_dscnt 0x0
	v_pk_mul_f32 v[168:169], v[160:161], v[166:167] op_sel:[0,1]
	s_delay_alu instid0(VALU_DEP_1) | instskip(SKIP_1) | instid1(VALU_DEP_1)
	v_pk_fma_f32 v[170:171], v[160:161], v[164:165], v[168:169] op_sel:[0,0,1] op_sel_hi:[1,1,0] neg_lo:[0,0,1] neg_hi:[0,0,1]
	v_pk_fma_f32 v[160:161], v[160:161], v[164:165], v[168:169] op_sel:[0,0,1] op_sel_hi:[1,0,0]
	v_mov_b32_e32 v171, v161
	v_pk_mul_f32 v[160:161], v[162:163], v[166:167] op_sel:[0,1]
	s_delay_alu instid0(VALU_DEP_1) | instskip(SKIP_1) | instid1(VALU_DEP_1)
	v_pk_fma_f32 v[168:169], v[162:163], v[164:165], v[160:161] op_sel:[0,0,1] op_sel_hi:[1,1,0] neg_lo:[0,0,1] neg_hi:[0,0,1]
	v_pk_fma_f32 v[160:161], v[162:163], v[164:165], v[160:161] op_sel:[0,0,1] op_sel_hi:[1,0,0]
	v_mov_b32_e32 v169, v161
	ds_load_2addr_b64 v[160:163], v178 offset0:27 offset1:28
	v_pk_add_f32 v[114:115], v[114:115], v[170:171] neg_lo:[0,1] neg_hi:[0,1]
	v_pk_add_f32 v[112:113], v[112:113], v[168:169] neg_lo:[0,1] neg_hi:[0,1]
	s_wait_dscnt 0x0
	v_pk_mul_f32 v[168:169], v[160:161], v[166:167] op_sel:[0,1]
	s_delay_alu instid0(VALU_DEP_1) | instskip(SKIP_1) | instid1(VALU_DEP_1)
	v_pk_fma_f32 v[170:171], v[160:161], v[164:165], v[168:169] op_sel:[0,0,1] op_sel_hi:[1,1,0] neg_lo:[0,0,1] neg_hi:[0,0,1]
	v_pk_fma_f32 v[160:161], v[160:161], v[164:165], v[168:169] op_sel:[0,0,1] op_sel_hi:[1,0,0]
	v_mov_b32_e32 v171, v161
	v_pk_mul_f32 v[160:161], v[162:163], v[166:167] op_sel:[0,1]
	s_delay_alu instid0(VALU_DEP_1) | instskip(SKIP_1) | instid1(VALU_DEP_1)
	v_pk_fma_f32 v[166:167], v[162:163], v[164:165], v[160:161] op_sel:[0,0,1] op_sel_hi:[1,1,0] neg_lo:[0,0,1] neg_hi:[0,0,1]
	v_pk_fma_f32 v[160:161], v[162:163], v[164:165], v[160:161] op_sel:[0,0,1] op_sel_hi:[1,0,0]
	v_mov_b32_e32 v167, v161
	v_pk_add_f32 v[110:111], v[110:111], v[170:171] neg_lo:[0,1] neg_hi:[0,1]
	s_delay_alu instid0(VALU_DEP_2)
	v_pk_add_f32 v[116:117], v[116:117], v[166:167] neg_lo:[0,1] neg_hi:[0,1]
.LBB57_190:
	s_or_b32 exec_lo, exec_lo, s1
	s_delay_alu instid0(SALU_CYCLE_1)
	s_mov_b32 s2, exec_lo
	s_wait_dscnt 0x0
	s_barrier_signal -1
	s_barrier_wait -1
	v_cmpx_eq_u32_e32 21, v176
	s_cbranch_execz .LBB57_197
; %bb.191:
	v_dual_mov_b32 v160, v104 :: v_dual_mov_b32 v161, v105
	v_dual_mov_b32 v162, v98 :: v_dual_mov_b32 v163, v99
	;; [unrolled: 1-line block ×6, first 2 shown]
	ds_store_b64 v177, v[100:101]
	ds_store_2addr_b64 v178, v[160:161], v[162:163] offset0:22 offset1:23
	ds_store_2addr_b64 v178, v[164:165], v[166:167] offset0:24 offset1:25
	;; [unrolled: 1-line block ×3, first 2 shown]
	ds_store_b64 v178, v[116:117] offset:224
	ds_load_b64 v[160:161], v177
	s_wait_dscnt 0x0
	v_cmp_neq_f32_e32 vcc_lo, 0, v160
	v_cmp_neq_f32_e64 s1, 0, v161
	s_or_b32 s1, vcc_lo, s1
	s_delay_alu instid0(SALU_CYCLE_1)
	s_and_b32 exec_lo, exec_lo, s1
	s_cbranch_execz .LBB57_197
; %bb.192:
	v_cmp_ngt_f32_e64 s1, |v160|, |v161|
                                        ; implicit-def: $vgpr162_vgpr163
	s_and_saveexec_b32 s4, s1
	s_delay_alu instid0(SALU_CYCLE_1)
	s_xor_b32 s1, exec_lo, s4
	s_cbranch_execz .LBB57_194
; %bb.193:
	v_div_scale_f32 v162, null, v161, v161, v160
	v_div_scale_f32 v165, vcc_lo, v160, v161, v160
	s_delay_alu instid0(VALU_DEP_2) | instskip(SKIP_1) | instid1(TRANS32_DEP_1)
	v_rcp_f32_e32 v163, v162
	v_nop
	v_fma_f32 v164, -v162, v163, 1.0
	s_delay_alu instid0(VALU_DEP_1) | instskip(NEXT) | instid1(VALU_DEP_1)
	v_fmac_f32_e32 v163, v164, v163
	v_mul_f32_e32 v164, v165, v163
	s_delay_alu instid0(VALU_DEP_1) | instskip(NEXT) | instid1(VALU_DEP_1)
	v_fma_f32 v166, -v162, v164, v165
	v_fmac_f32_e32 v164, v166, v163
	s_delay_alu instid0(VALU_DEP_1) | instskip(NEXT) | instid1(VALU_DEP_1)
	v_fma_f32 v162, -v162, v164, v165
	v_div_fmas_f32 v162, v162, v163, v164
	s_delay_alu instid0(VALU_DEP_1) | instskip(NEXT) | instid1(VALU_DEP_1)
	v_div_fixup_f32 v162, v162, v161, v160
	v_fmac_f32_e32 v161, v160, v162
	s_delay_alu instid0(VALU_DEP_1) | instskip(SKIP_1) | instid1(VALU_DEP_2)
	v_div_scale_f32 v160, null, v161, v161, 1.0
	v_div_scale_f32 v165, vcc_lo, 1.0, v161, 1.0
	v_rcp_f32_e32 v163, v160
	v_nop
	s_delay_alu instid0(TRANS32_DEP_1) | instskip(NEXT) | instid1(VALU_DEP_1)
	v_fma_f32 v164, -v160, v163, 1.0
	v_fmac_f32_e32 v163, v164, v163
	s_delay_alu instid0(VALU_DEP_1) | instskip(NEXT) | instid1(VALU_DEP_1)
	v_mul_f32_e32 v164, v165, v163
	v_fma_f32 v166, -v160, v164, v165
	s_delay_alu instid0(VALU_DEP_1) | instskip(NEXT) | instid1(VALU_DEP_1)
	v_fmac_f32_e32 v164, v166, v163
	v_fma_f32 v160, -v160, v164, v165
	s_delay_alu instid0(VALU_DEP_1) | instskip(NEXT) | instid1(VALU_DEP_1)
	v_div_fmas_f32 v160, v160, v163, v164
	v_div_fixup_f32 v160, v160, v161, 1.0
	s_delay_alu instid0(VALU_DEP_1)
	v_mul_f32_e32 v162, v162, v160
	v_xor_b32_e32 v163, 0x80000000, v160
                                        ; implicit-def: $vgpr160_vgpr161
.LBB57_194:
	s_and_not1_saveexec_b32 s1, s1
	s_cbranch_execz .LBB57_196
; %bb.195:
	v_div_scale_f32 v162, null, v160, v160, v161
	v_div_scale_f32 v165, vcc_lo, v161, v160, v161
	s_delay_alu instid0(VALU_DEP_2) | instskip(SKIP_1) | instid1(TRANS32_DEP_1)
	v_rcp_f32_e32 v163, v162
	v_nop
	v_fma_f32 v164, -v162, v163, 1.0
	s_delay_alu instid0(VALU_DEP_1) | instskip(NEXT) | instid1(VALU_DEP_1)
	v_fmac_f32_e32 v163, v164, v163
	v_mul_f32_e32 v164, v165, v163
	s_delay_alu instid0(VALU_DEP_1) | instskip(NEXT) | instid1(VALU_DEP_1)
	v_fma_f32 v166, -v162, v164, v165
	v_fmac_f32_e32 v164, v166, v163
	s_delay_alu instid0(VALU_DEP_1) | instskip(NEXT) | instid1(VALU_DEP_1)
	v_fma_f32 v162, -v162, v164, v165
	v_div_fmas_f32 v162, v162, v163, v164
	s_delay_alu instid0(VALU_DEP_1) | instskip(NEXT) | instid1(VALU_DEP_1)
	v_div_fixup_f32 v163, v162, v160, v161
	v_fmac_f32_e32 v160, v161, v163
	s_delay_alu instid0(VALU_DEP_1) | instskip(NEXT) | instid1(VALU_DEP_1)
	v_div_scale_f32 v161, null, v160, v160, 1.0
	v_rcp_f32_e32 v162, v161
	v_nop
	s_delay_alu instid0(TRANS32_DEP_1) | instskip(NEXT) | instid1(VALU_DEP_1)
	v_fma_f32 v164, -v161, v162, 1.0
	v_fmac_f32_e32 v162, v164, v162
	v_div_scale_f32 v164, vcc_lo, 1.0, v160, 1.0
	s_delay_alu instid0(VALU_DEP_1) | instskip(NEXT) | instid1(VALU_DEP_1)
	v_mul_f32_e32 v165, v164, v162
	v_fma_f32 v166, -v161, v165, v164
	s_delay_alu instid0(VALU_DEP_1) | instskip(NEXT) | instid1(VALU_DEP_1)
	v_fmac_f32_e32 v165, v166, v162
	v_fma_f32 v161, -v161, v165, v164
	s_delay_alu instid0(VALU_DEP_1) | instskip(NEXT) | instid1(VALU_DEP_1)
	v_div_fmas_f32 v161, v161, v162, v165
	v_div_fixup_f32 v162, v161, v160, 1.0
	s_delay_alu instid0(VALU_DEP_1)
	v_mul_f32_e64 v163, v163, -v162
.LBB57_196:
	s_or_b32 exec_lo, exec_lo, s1
	ds_store_b64 v177, v[162:163]
.LBB57_197:
	s_or_b32 exec_lo, exec_lo, s2
	s_wait_dscnt 0x0
	s_barrier_signal -1
	s_barrier_wait -1
	ds_load_b64 v[160:161], v177
	s_mov_b32 s1, exec_lo
	v_cmpx_lt_u32_e32 21, v176
	s_cbranch_execz .LBB57_199
; %bb.198:
	s_wait_dscnt 0x0
	v_pk_mul_f32 v[162:163], v[160:161], v[100:101] op_sel:[1,1] op_sel_hi:[0,1]
	s_delay_alu instid0(VALU_DEP_1)
	v_pk_fma_f32 v[166:167], v[160:161], v[100:101], v[162:163] op_sel_hi:[1,0,1] neg_lo:[0,0,1] neg_hi:[0,0,1]
	v_pk_fma_f32 v[168:169], v[160:161], v[100:101], v[162:163] op_sel_hi:[1,0,1]
	ds_load_2addr_b64 v[162:165], v178 offset0:22 offset1:23
	v_dual_mov_b32 v100, v166 :: v_dual_mov_b32 v101, v169
	s_wait_dscnt 0x0
	v_pk_mul_f32 v[170:171], v[162:163], v[168:169] op_sel:[0,1]
	s_delay_alu instid0(VALU_DEP_1) | instskip(SKIP_1) | instid1(VALU_DEP_1)
	v_pk_fma_f32 v[172:173], v[162:163], v[166:167], v[170:171] op_sel:[0,0,1] op_sel_hi:[1,1,0] neg_lo:[0,0,1] neg_hi:[0,0,1]
	v_pk_fma_f32 v[162:163], v[162:163], v[166:167], v[170:171] op_sel:[0,0,1] op_sel_hi:[1,0,0]
	v_mov_b32_e32 v173, v163
	v_pk_mul_f32 v[162:163], v[164:165], v[168:169] op_sel:[0,1]
	s_delay_alu instid0(VALU_DEP_1) | instskip(SKIP_1) | instid1(VALU_DEP_1)
	v_pk_fma_f32 v[170:171], v[164:165], v[166:167], v[162:163] op_sel:[0,0,1] op_sel_hi:[1,1,0] neg_lo:[0,0,1] neg_hi:[0,0,1]
	v_pk_fma_f32 v[162:163], v[164:165], v[166:167], v[162:163] op_sel:[0,0,1] op_sel_hi:[1,0,0]
	v_mov_b32_e32 v171, v163
	ds_load_2addr_b64 v[162:165], v178 offset0:24 offset1:25
	v_pk_add_f32 v[104:105], v[104:105], v[172:173] neg_lo:[0,1] neg_hi:[0,1]
	v_pk_add_f32 v[98:99], v[98:99], v[170:171] neg_lo:[0,1] neg_hi:[0,1]
	s_wait_dscnt 0x0
	v_pk_mul_f32 v[170:171], v[162:163], v[168:169] op_sel:[0,1]
	s_delay_alu instid0(VALU_DEP_1) | instskip(SKIP_2) | instid1(VALU_DEP_2)
	v_pk_fma_f32 v[172:173], v[162:163], v[166:167], v[170:171] op_sel:[0,0,1] op_sel_hi:[1,1,0] neg_lo:[0,0,1] neg_hi:[0,0,1]
	v_pk_fma_f32 v[162:163], v[162:163], v[166:167], v[170:171] op_sel:[0,0,1] op_sel_hi:[1,0,0]
	v_dual_mul_f32 v170, v165, v169 :: v_dual_mov_b32 v162, v165
	v_dual_mov_b32 v173, v163 :: v_dual_mov_b32 v163, v164
	s_delay_alu instid0(VALU_DEP_2) | instskip(SKIP_1) | instid1(VALU_DEP_3)
	v_pk_fma_f32 v[170:171], v[164:165], v[100:101], v[170:171] op_sel_hi:[1,1,0] neg_lo:[0,0,1] neg_hi:[0,0,1]
	v_mul_f32_e32 v164, v165, v166
	v_pk_add_f32 v[102:103], v[102:103], v[172:173] neg_lo:[0,1] neg_hi:[0,1]
	s_delay_alu instid0(VALU_DEP_2) | instskip(NEXT) | instid1(VALU_DEP_1)
	v_pk_fma_f32 v[162:163], v[162:163], v[100:101], v[164:165] op_sel_hi:[1,1,0]
	v_mov_b32_e32 v171, v163
	ds_load_2addr_b64 v[162:165], v178 offset0:26 offset1:27
	v_pk_add_f32 v[114:115], v[114:115], v[170:171] neg_lo:[0,1] neg_hi:[0,1]
	s_wait_dscnt 0x0
	v_pk_mul_f32 v[170:171], v[162:163], v[168:169] op_sel:[0,1]
	s_delay_alu instid0(VALU_DEP_1) | instskip(SKIP_1) | instid1(VALU_DEP_1)
	v_pk_fma_f32 v[172:173], v[162:163], v[166:167], v[170:171] op_sel:[0,0,1] op_sel_hi:[1,1,0] neg_lo:[0,0,1] neg_hi:[0,0,1]
	v_pk_fma_f32 v[162:163], v[162:163], v[166:167], v[170:171] op_sel:[0,0,1] op_sel_hi:[1,0,0]
	v_mov_b32_e32 v173, v163
	v_pk_mul_f32 v[162:163], v[164:165], v[168:169] op_sel:[0,1]
	s_delay_alu instid0(VALU_DEP_1) | instskip(SKIP_1) | instid1(VALU_DEP_1)
	v_pk_fma_f32 v[170:171], v[164:165], v[166:167], v[162:163] op_sel:[0,0,1] op_sel_hi:[1,1,0] neg_lo:[0,0,1] neg_hi:[0,0,1]
	v_pk_fma_f32 v[162:163], v[164:165], v[166:167], v[162:163] op_sel:[0,0,1] op_sel_hi:[1,0,0]
	v_mov_b32_e32 v171, v163
	ds_load_b64 v[162:163], v178 offset:224
	v_pk_add_f32 v[112:113], v[112:113], v[172:173] neg_lo:[0,1] neg_hi:[0,1]
	v_pk_add_f32 v[110:111], v[110:111], v[170:171] neg_lo:[0,1] neg_hi:[0,1]
	s_wait_dscnt 0x0
	v_pk_mul_f32 v[164:165], v[162:163], v[168:169] op_sel:[0,1]
	s_delay_alu instid0(VALU_DEP_1) | instskip(SKIP_1) | instid1(VALU_DEP_1)
	v_pk_fma_f32 v[168:169], v[162:163], v[166:167], v[164:165] op_sel:[0,0,1] op_sel_hi:[1,1,0] neg_lo:[0,0,1] neg_hi:[0,0,1]
	v_pk_fma_f32 v[162:163], v[162:163], v[166:167], v[164:165] op_sel:[0,0,1] op_sel_hi:[1,0,0]
	v_mov_b32_e32 v169, v163
	s_delay_alu instid0(VALU_DEP_1)
	v_pk_add_f32 v[116:117], v[116:117], v[168:169] neg_lo:[0,1] neg_hi:[0,1]
.LBB57_199:
	s_or_b32 exec_lo, exec_lo, s1
	s_delay_alu instid0(SALU_CYCLE_1)
	s_mov_b32 s2, exec_lo
	s_wait_dscnt 0x0
	s_barrier_signal -1
	s_barrier_wait -1
	v_cmpx_eq_u32_e32 22, v176
	s_cbranch_execz .LBB57_206
; %bb.200:
	ds_store_b64 v177, v[104:105]
	ds_store_2addr_b64 v178, v[98:99], v[102:103] offset0:23 offset1:24
	ds_store_2addr_b64 v178, v[114:115], v[112:113] offset0:25 offset1:26
	ds_store_2addr_b64 v178, v[110:111], v[116:117] offset0:27 offset1:28
	ds_load_b64 v[162:163], v177
	s_wait_dscnt 0x0
	v_cmp_neq_f32_e32 vcc_lo, 0, v162
	v_cmp_neq_f32_e64 s1, 0, v163
	s_or_b32 s1, vcc_lo, s1
	s_delay_alu instid0(SALU_CYCLE_1)
	s_and_b32 exec_lo, exec_lo, s1
	s_cbranch_execz .LBB57_206
; %bb.201:
	v_cmp_ngt_f32_e64 s1, |v162|, |v163|
                                        ; implicit-def: $vgpr164_vgpr165
	s_and_saveexec_b32 s4, s1
	s_delay_alu instid0(SALU_CYCLE_1)
	s_xor_b32 s1, exec_lo, s4
	s_cbranch_execz .LBB57_203
; %bb.202:
	v_div_scale_f32 v164, null, v163, v163, v162
	v_div_scale_f32 v167, vcc_lo, v162, v163, v162
	s_delay_alu instid0(VALU_DEP_2) | instskip(SKIP_1) | instid1(TRANS32_DEP_1)
	v_rcp_f32_e32 v165, v164
	v_nop
	v_fma_f32 v166, -v164, v165, 1.0
	s_delay_alu instid0(VALU_DEP_1) | instskip(NEXT) | instid1(VALU_DEP_1)
	v_fmac_f32_e32 v165, v166, v165
	v_mul_f32_e32 v166, v167, v165
	s_delay_alu instid0(VALU_DEP_1) | instskip(NEXT) | instid1(VALU_DEP_1)
	v_fma_f32 v168, -v164, v166, v167
	v_fmac_f32_e32 v166, v168, v165
	s_delay_alu instid0(VALU_DEP_1) | instskip(NEXT) | instid1(VALU_DEP_1)
	v_fma_f32 v164, -v164, v166, v167
	v_div_fmas_f32 v164, v164, v165, v166
	s_delay_alu instid0(VALU_DEP_1) | instskip(NEXT) | instid1(VALU_DEP_1)
	v_div_fixup_f32 v164, v164, v163, v162
	v_fmac_f32_e32 v163, v162, v164
	s_delay_alu instid0(VALU_DEP_1) | instskip(SKIP_1) | instid1(VALU_DEP_2)
	v_div_scale_f32 v162, null, v163, v163, 1.0
	v_div_scale_f32 v167, vcc_lo, 1.0, v163, 1.0
	v_rcp_f32_e32 v165, v162
	v_nop
	s_delay_alu instid0(TRANS32_DEP_1) | instskip(NEXT) | instid1(VALU_DEP_1)
	v_fma_f32 v166, -v162, v165, 1.0
	v_fmac_f32_e32 v165, v166, v165
	s_delay_alu instid0(VALU_DEP_1) | instskip(NEXT) | instid1(VALU_DEP_1)
	v_mul_f32_e32 v166, v167, v165
	v_fma_f32 v168, -v162, v166, v167
	s_delay_alu instid0(VALU_DEP_1) | instskip(NEXT) | instid1(VALU_DEP_1)
	v_fmac_f32_e32 v166, v168, v165
	v_fma_f32 v162, -v162, v166, v167
	s_delay_alu instid0(VALU_DEP_1) | instskip(NEXT) | instid1(VALU_DEP_1)
	v_div_fmas_f32 v162, v162, v165, v166
	v_div_fixup_f32 v162, v162, v163, 1.0
	s_delay_alu instid0(VALU_DEP_1)
	v_mul_f32_e32 v164, v164, v162
	v_xor_b32_e32 v165, 0x80000000, v162
                                        ; implicit-def: $vgpr162_vgpr163
.LBB57_203:
	s_and_not1_saveexec_b32 s1, s1
	s_cbranch_execz .LBB57_205
; %bb.204:
	v_div_scale_f32 v164, null, v162, v162, v163
	v_div_scale_f32 v167, vcc_lo, v163, v162, v163
	s_delay_alu instid0(VALU_DEP_2) | instskip(SKIP_1) | instid1(TRANS32_DEP_1)
	v_rcp_f32_e32 v165, v164
	v_nop
	v_fma_f32 v166, -v164, v165, 1.0
	s_delay_alu instid0(VALU_DEP_1) | instskip(NEXT) | instid1(VALU_DEP_1)
	v_fmac_f32_e32 v165, v166, v165
	v_mul_f32_e32 v166, v167, v165
	s_delay_alu instid0(VALU_DEP_1) | instskip(NEXT) | instid1(VALU_DEP_1)
	v_fma_f32 v168, -v164, v166, v167
	v_fmac_f32_e32 v166, v168, v165
	s_delay_alu instid0(VALU_DEP_1) | instskip(NEXT) | instid1(VALU_DEP_1)
	v_fma_f32 v164, -v164, v166, v167
	v_div_fmas_f32 v164, v164, v165, v166
	s_delay_alu instid0(VALU_DEP_1) | instskip(NEXT) | instid1(VALU_DEP_1)
	v_div_fixup_f32 v165, v164, v162, v163
	v_fmac_f32_e32 v162, v163, v165
	s_delay_alu instid0(VALU_DEP_1) | instskip(NEXT) | instid1(VALU_DEP_1)
	v_div_scale_f32 v163, null, v162, v162, 1.0
	v_rcp_f32_e32 v164, v163
	v_nop
	s_delay_alu instid0(TRANS32_DEP_1) | instskip(NEXT) | instid1(VALU_DEP_1)
	v_fma_f32 v166, -v163, v164, 1.0
	v_fmac_f32_e32 v164, v166, v164
	v_div_scale_f32 v166, vcc_lo, 1.0, v162, 1.0
	s_delay_alu instid0(VALU_DEP_1) | instskip(NEXT) | instid1(VALU_DEP_1)
	v_mul_f32_e32 v167, v166, v164
	v_fma_f32 v168, -v163, v167, v166
	s_delay_alu instid0(VALU_DEP_1) | instskip(NEXT) | instid1(VALU_DEP_1)
	v_fmac_f32_e32 v167, v168, v164
	v_fma_f32 v163, -v163, v167, v166
	s_delay_alu instid0(VALU_DEP_1) | instskip(NEXT) | instid1(VALU_DEP_1)
	v_div_fmas_f32 v163, v163, v164, v167
	v_div_fixup_f32 v164, v163, v162, 1.0
	s_delay_alu instid0(VALU_DEP_1)
	v_mul_f32_e64 v165, v165, -v164
.LBB57_205:
	s_or_b32 exec_lo, exec_lo, s1
	ds_store_b64 v177, v[164:165]
.LBB57_206:
	s_or_b32 exec_lo, exec_lo, s2
	s_wait_dscnt 0x0
	s_barrier_signal -1
	s_barrier_wait -1
	ds_load_b64 v[162:163], v177
	s_mov_b32 s1, exec_lo
	v_cmpx_lt_u32_e32 22, v176
	s_cbranch_execz .LBB57_208
; %bb.207:
	s_wait_dscnt 0x0
	v_pk_mul_f32 v[164:165], v[162:163], v[104:105] op_sel:[1,1] op_sel_hi:[0,1]
	s_delay_alu instid0(VALU_DEP_1)
	v_pk_fma_f32 v[168:169], v[162:163], v[104:105], v[164:165] op_sel_hi:[1,0,1] neg_lo:[0,0,1] neg_hi:[0,0,1]
	v_pk_fma_f32 v[170:171], v[162:163], v[104:105], v[164:165] op_sel_hi:[1,0,1]
	ds_load_2addr_b64 v[164:167], v178 offset0:23 offset1:24
	v_dual_mov_b32 v104, v168 :: v_dual_mov_b32 v105, v171
	s_wait_dscnt 0x0
	v_pk_mul_f32 v[172:173], v[164:165], v[170:171] op_sel:[0,1]
	s_delay_alu instid0(VALU_DEP_1) | instskip(SKIP_1) | instid1(VALU_DEP_1)
	v_pk_fma_f32 v[174:175], v[164:165], v[168:169], v[172:173] op_sel:[0,0,1] op_sel_hi:[1,1,0] neg_lo:[0,0,1] neg_hi:[0,0,1]
	v_pk_fma_f32 v[164:165], v[164:165], v[168:169], v[172:173] op_sel:[0,0,1] op_sel_hi:[1,0,0]
	v_mov_b32_e32 v175, v165
	v_pk_mul_f32 v[164:165], v[166:167], v[170:171] op_sel:[0,1]
	s_delay_alu instid0(VALU_DEP_1) | instskip(SKIP_1) | instid1(VALU_DEP_1)
	v_pk_fma_f32 v[172:173], v[166:167], v[168:169], v[164:165] op_sel:[0,0,1] op_sel_hi:[1,1,0] neg_lo:[0,0,1] neg_hi:[0,0,1]
	v_pk_fma_f32 v[164:165], v[166:167], v[168:169], v[164:165] op_sel:[0,0,1] op_sel_hi:[1,0,0]
	v_mov_b32_e32 v173, v165
	ds_load_2addr_b64 v[164:167], v178 offset0:25 offset1:26
	v_pk_add_f32 v[98:99], v[98:99], v[174:175] neg_lo:[0,1] neg_hi:[0,1]
	v_pk_add_f32 v[102:103], v[102:103], v[172:173] neg_lo:[0,1] neg_hi:[0,1]
	s_wait_dscnt 0x0
	v_pk_mul_f32 v[172:173], v[164:165], v[170:171] op_sel:[0,1]
	s_delay_alu instid0(VALU_DEP_1) | instskip(SKIP_2) | instid1(VALU_DEP_2)
	v_pk_fma_f32 v[174:175], v[164:165], v[168:169], v[172:173] op_sel:[0,0,1] op_sel_hi:[1,1,0] neg_lo:[0,0,1] neg_hi:[0,0,1]
	v_pk_fma_f32 v[164:165], v[164:165], v[168:169], v[172:173] op_sel:[0,0,1] op_sel_hi:[1,0,0]
	v_dual_mul_f32 v172, v167, v171 :: v_dual_mov_b32 v164, v167
	v_dual_mov_b32 v175, v165 :: v_dual_mov_b32 v165, v166
	s_delay_alu instid0(VALU_DEP_2) | instskip(SKIP_1) | instid1(VALU_DEP_3)
	v_pk_fma_f32 v[172:173], v[166:167], v[104:105], v[172:173] op_sel_hi:[1,1,0] neg_lo:[0,0,1] neg_hi:[0,0,1]
	v_mul_f32_e32 v166, v167, v168
	v_pk_add_f32 v[114:115], v[114:115], v[174:175] neg_lo:[0,1] neg_hi:[0,1]
	s_delay_alu instid0(VALU_DEP_2) | instskip(NEXT) | instid1(VALU_DEP_1)
	v_pk_fma_f32 v[164:165], v[164:165], v[104:105], v[166:167] op_sel_hi:[1,1,0]
	v_mov_b32_e32 v173, v165
	ds_load_2addr_b64 v[164:167], v178 offset0:27 offset1:28
	v_pk_add_f32 v[112:113], v[112:113], v[172:173] neg_lo:[0,1] neg_hi:[0,1]
	s_wait_dscnt 0x0
	v_pk_mul_f32 v[172:173], v[164:165], v[170:171] op_sel:[0,1]
	v_mul_f32_e32 v170, v167, v171
	s_delay_alu instid0(VALU_DEP_2) | instskip(SKIP_2) | instid1(VALU_DEP_4)
	v_pk_fma_f32 v[174:175], v[164:165], v[168:169], v[172:173] op_sel:[0,0,1] op_sel_hi:[1,1,0] neg_lo:[0,0,1] neg_hi:[0,0,1]
	v_pk_fma_f32 v[164:165], v[164:165], v[168:169], v[172:173] op_sel:[0,0,1] op_sel_hi:[1,0,0]
	v_mov_b32_e32 v164, v167
	v_pk_fma_f32 v[170:171], v[166:167], v[104:105], v[170:171] op_sel_hi:[1,1,0] neg_lo:[0,0,1] neg_hi:[0,0,1]
	s_delay_alu instid0(VALU_DEP_3) | instskip(SKIP_1) | instid1(VALU_DEP_2)
	v_dual_mov_b32 v175, v165 :: v_dual_mov_b32 v165, v166
	v_mul_f32_e32 v166, v167, v168
	v_pk_add_f32 v[110:111], v[110:111], v[174:175] neg_lo:[0,1] neg_hi:[0,1]
	s_delay_alu instid0(VALU_DEP_2) | instskip(NEXT) | instid1(VALU_DEP_1)
	v_pk_fma_f32 v[164:165], v[164:165], v[104:105], v[166:167] op_sel_hi:[1,1,0]
	v_mov_b32_e32 v171, v165
	s_delay_alu instid0(VALU_DEP_1)
	v_pk_add_f32 v[116:117], v[116:117], v[170:171] neg_lo:[0,1] neg_hi:[0,1]
.LBB57_208:
	s_or_b32 exec_lo, exec_lo, s1
	s_delay_alu instid0(SALU_CYCLE_1)
	s_mov_b32 s2, exec_lo
	s_wait_dscnt 0x0
	s_barrier_signal -1
	s_barrier_wait -1
	v_cmpx_eq_u32_e32 23, v176
	s_cbranch_execz .LBB57_215
; %bb.209:
	v_dual_mov_b32 v164, v102 :: v_dual_mov_b32 v165, v103
	v_dual_mov_b32 v166, v114 :: v_dual_mov_b32 v167, v115
	;; [unrolled: 1-line block ×4, first 2 shown]
	ds_store_b64 v177, v[98:99]
	ds_store_2addr_b64 v178, v[164:165], v[166:167] offset0:24 offset1:25
	ds_store_2addr_b64 v178, v[168:169], v[170:171] offset0:26 offset1:27
	ds_store_b64 v178, v[116:117] offset:224
	ds_load_b64 v[164:165], v177
	s_wait_dscnt 0x0
	v_cmp_neq_f32_e32 vcc_lo, 0, v164
	v_cmp_neq_f32_e64 s1, 0, v165
	s_or_b32 s1, vcc_lo, s1
	s_delay_alu instid0(SALU_CYCLE_1)
	s_and_b32 exec_lo, exec_lo, s1
	s_cbranch_execz .LBB57_215
; %bb.210:
	v_cmp_ngt_f32_e64 s1, |v164|, |v165|
                                        ; implicit-def: $vgpr166_vgpr167
	s_and_saveexec_b32 s4, s1
	s_delay_alu instid0(SALU_CYCLE_1)
	s_xor_b32 s1, exec_lo, s4
	s_cbranch_execz .LBB57_212
; %bb.211:
	v_div_scale_f32 v166, null, v165, v165, v164
	v_div_scale_f32 v169, vcc_lo, v164, v165, v164
	s_delay_alu instid0(VALU_DEP_2) | instskip(SKIP_1) | instid1(TRANS32_DEP_1)
	v_rcp_f32_e32 v167, v166
	v_nop
	v_fma_f32 v168, -v166, v167, 1.0
	s_delay_alu instid0(VALU_DEP_1) | instskip(NEXT) | instid1(VALU_DEP_1)
	v_fmac_f32_e32 v167, v168, v167
	v_mul_f32_e32 v168, v169, v167
	s_delay_alu instid0(VALU_DEP_1) | instskip(NEXT) | instid1(VALU_DEP_1)
	v_fma_f32 v170, -v166, v168, v169
	v_fmac_f32_e32 v168, v170, v167
	s_delay_alu instid0(VALU_DEP_1) | instskip(NEXT) | instid1(VALU_DEP_1)
	v_fma_f32 v166, -v166, v168, v169
	v_div_fmas_f32 v166, v166, v167, v168
	s_delay_alu instid0(VALU_DEP_1) | instskip(NEXT) | instid1(VALU_DEP_1)
	v_div_fixup_f32 v166, v166, v165, v164
	v_fmac_f32_e32 v165, v164, v166
	s_delay_alu instid0(VALU_DEP_1) | instskip(SKIP_1) | instid1(VALU_DEP_2)
	v_div_scale_f32 v164, null, v165, v165, 1.0
	v_div_scale_f32 v169, vcc_lo, 1.0, v165, 1.0
	v_rcp_f32_e32 v167, v164
	v_nop
	s_delay_alu instid0(TRANS32_DEP_1) | instskip(NEXT) | instid1(VALU_DEP_1)
	v_fma_f32 v168, -v164, v167, 1.0
	v_fmac_f32_e32 v167, v168, v167
	s_delay_alu instid0(VALU_DEP_1) | instskip(NEXT) | instid1(VALU_DEP_1)
	v_mul_f32_e32 v168, v169, v167
	v_fma_f32 v170, -v164, v168, v169
	s_delay_alu instid0(VALU_DEP_1) | instskip(NEXT) | instid1(VALU_DEP_1)
	v_fmac_f32_e32 v168, v170, v167
	v_fma_f32 v164, -v164, v168, v169
	s_delay_alu instid0(VALU_DEP_1) | instskip(NEXT) | instid1(VALU_DEP_1)
	v_div_fmas_f32 v164, v164, v167, v168
	v_div_fixup_f32 v164, v164, v165, 1.0
	s_delay_alu instid0(VALU_DEP_1)
	v_mul_f32_e32 v166, v166, v164
	v_xor_b32_e32 v167, 0x80000000, v164
                                        ; implicit-def: $vgpr164_vgpr165
.LBB57_212:
	s_and_not1_saveexec_b32 s1, s1
	s_cbranch_execz .LBB57_214
; %bb.213:
	v_div_scale_f32 v166, null, v164, v164, v165
	v_div_scale_f32 v169, vcc_lo, v165, v164, v165
	s_delay_alu instid0(VALU_DEP_2) | instskip(SKIP_1) | instid1(TRANS32_DEP_1)
	v_rcp_f32_e32 v167, v166
	v_nop
	v_fma_f32 v168, -v166, v167, 1.0
	s_delay_alu instid0(VALU_DEP_1) | instskip(NEXT) | instid1(VALU_DEP_1)
	v_fmac_f32_e32 v167, v168, v167
	v_mul_f32_e32 v168, v169, v167
	s_delay_alu instid0(VALU_DEP_1) | instskip(NEXT) | instid1(VALU_DEP_1)
	v_fma_f32 v170, -v166, v168, v169
	v_fmac_f32_e32 v168, v170, v167
	s_delay_alu instid0(VALU_DEP_1) | instskip(NEXT) | instid1(VALU_DEP_1)
	v_fma_f32 v166, -v166, v168, v169
	v_div_fmas_f32 v166, v166, v167, v168
	s_delay_alu instid0(VALU_DEP_1) | instskip(NEXT) | instid1(VALU_DEP_1)
	v_div_fixup_f32 v167, v166, v164, v165
	v_fmac_f32_e32 v164, v165, v167
	s_delay_alu instid0(VALU_DEP_1) | instskip(NEXT) | instid1(VALU_DEP_1)
	v_div_scale_f32 v165, null, v164, v164, 1.0
	v_rcp_f32_e32 v166, v165
	v_nop
	s_delay_alu instid0(TRANS32_DEP_1) | instskip(NEXT) | instid1(VALU_DEP_1)
	v_fma_f32 v168, -v165, v166, 1.0
	v_fmac_f32_e32 v166, v168, v166
	v_div_scale_f32 v168, vcc_lo, 1.0, v164, 1.0
	s_delay_alu instid0(VALU_DEP_1) | instskip(NEXT) | instid1(VALU_DEP_1)
	v_mul_f32_e32 v169, v168, v166
	v_fma_f32 v170, -v165, v169, v168
	s_delay_alu instid0(VALU_DEP_1) | instskip(NEXT) | instid1(VALU_DEP_1)
	v_fmac_f32_e32 v169, v170, v166
	v_fma_f32 v165, -v165, v169, v168
	s_delay_alu instid0(VALU_DEP_1) | instskip(NEXT) | instid1(VALU_DEP_1)
	v_div_fmas_f32 v165, v165, v166, v169
	v_div_fixup_f32 v166, v165, v164, 1.0
	s_delay_alu instid0(VALU_DEP_1)
	v_mul_f32_e64 v167, v167, -v166
.LBB57_214:
	s_or_b32 exec_lo, exec_lo, s1
	ds_store_b64 v177, v[166:167]
.LBB57_215:
	s_or_b32 exec_lo, exec_lo, s2
	s_wait_dscnt 0x0
	s_barrier_signal -1
	s_barrier_wait -1
	ds_load_b64 v[164:165], v177
	s_mov_b32 s1, exec_lo
	v_cmpx_lt_u32_e32 23, v176
	s_cbranch_execz .LBB57_217
; %bb.216:
	s_wait_dscnt 0x0
	v_pk_mul_f32 v[166:167], v[164:165], v[98:99] op_sel:[1,1] op_sel_hi:[0,1]
	s_delay_alu instid0(VALU_DEP_1)
	v_pk_fma_f32 v[170:171], v[164:165], v[98:99], v[166:167] op_sel_hi:[1,0,1] neg_lo:[0,0,1] neg_hi:[0,0,1]
	v_pk_fma_f32 v[172:173], v[164:165], v[98:99], v[166:167] op_sel_hi:[1,0,1]
	ds_load_2addr_b64 v[166:169], v178 offset0:24 offset1:25
	v_dual_mov_b32 v98, v170 :: v_dual_mov_b32 v99, v173
	s_wait_dscnt 0x0
	v_pk_mul_f32 v[174:175], v[166:167], v[172:173] op_sel:[0,1]
	s_delay_alu instid0(VALU_DEP_1) | instskip(SKIP_1) | instid1(VALU_DEP_1)
	v_pk_fma_f32 v[180:181], v[166:167], v[170:171], v[174:175] op_sel:[0,0,1] op_sel_hi:[1,1,0] neg_lo:[0,0,1] neg_hi:[0,0,1]
	v_pk_fma_f32 v[166:167], v[166:167], v[170:171], v[174:175] op_sel:[0,0,1] op_sel_hi:[1,0,0]
	v_mov_b32_e32 v181, v167
	v_pk_mul_f32 v[166:167], v[168:169], v[172:173] op_sel:[0,1]
	s_delay_alu instid0(VALU_DEP_1) | instskip(SKIP_1) | instid1(VALU_DEP_1)
	v_pk_fma_f32 v[174:175], v[168:169], v[170:171], v[166:167] op_sel:[0,0,1] op_sel_hi:[1,1,0] neg_lo:[0,0,1] neg_hi:[0,0,1]
	v_pk_fma_f32 v[166:167], v[168:169], v[170:171], v[166:167] op_sel:[0,0,1] op_sel_hi:[1,0,0]
	v_mov_b32_e32 v175, v167
	ds_load_2addr_b64 v[166:169], v178 offset0:26 offset1:27
	v_pk_add_f32 v[102:103], v[102:103], v[180:181] neg_lo:[0,1] neg_hi:[0,1]
	v_pk_add_f32 v[114:115], v[114:115], v[174:175] neg_lo:[0,1] neg_hi:[0,1]
	s_wait_dscnt 0x0
	v_pk_mul_f32 v[174:175], v[166:167], v[172:173] op_sel:[0,1]
	s_delay_alu instid0(VALU_DEP_1) | instskip(SKIP_2) | instid1(VALU_DEP_2)
	v_pk_fma_f32 v[180:181], v[166:167], v[170:171], v[174:175] op_sel:[0,0,1] op_sel_hi:[1,1,0] neg_lo:[0,0,1] neg_hi:[0,0,1]
	v_pk_fma_f32 v[166:167], v[166:167], v[170:171], v[174:175] op_sel:[0,0,1] op_sel_hi:[1,0,0]
	v_dual_mul_f32 v174, v169, v173 :: v_dual_mov_b32 v166, v169
	v_dual_mov_b32 v181, v167 :: v_dual_mov_b32 v167, v168
	s_delay_alu instid0(VALU_DEP_2) | instskip(SKIP_1) | instid1(VALU_DEP_3)
	v_pk_fma_f32 v[174:175], v[168:169], v[98:99], v[174:175] op_sel_hi:[1,1,0] neg_lo:[0,0,1] neg_hi:[0,0,1]
	v_mul_f32_e32 v168, v169, v170
	v_pk_add_f32 v[112:113], v[112:113], v[180:181] neg_lo:[0,1] neg_hi:[0,1]
	s_delay_alu instid0(VALU_DEP_2) | instskip(NEXT) | instid1(VALU_DEP_1)
	v_pk_fma_f32 v[166:167], v[166:167], v[98:99], v[168:169] op_sel_hi:[1,1,0]
	v_mov_b32_e32 v175, v167
	ds_load_b64 v[166:167], v178 offset:224
	v_pk_add_f32 v[110:111], v[110:111], v[174:175] neg_lo:[0,1] neg_hi:[0,1]
	s_wait_dscnt 0x0
	v_pk_mul_f32 v[168:169], v[166:167], v[172:173] op_sel:[0,1]
	s_delay_alu instid0(VALU_DEP_1) | instskip(SKIP_1) | instid1(VALU_DEP_1)
	v_pk_fma_f32 v[172:173], v[166:167], v[170:171], v[168:169] op_sel:[0,0,1] op_sel_hi:[1,1,0] neg_lo:[0,0,1] neg_hi:[0,0,1]
	v_pk_fma_f32 v[166:167], v[166:167], v[170:171], v[168:169] op_sel:[0,0,1] op_sel_hi:[1,0,0]
	v_mov_b32_e32 v173, v167
	s_delay_alu instid0(VALU_DEP_1)
	v_pk_add_f32 v[116:117], v[116:117], v[172:173] neg_lo:[0,1] neg_hi:[0,1]
.LBB57_217:
	s_or_b32 exec_lo, exec_lo, s1
	s_delay_alu instid0(SALU_CYCLE_1)
	s_mov_b32 s2, exec_lo
	s_wait_dscnt 0x0
	s_barrier_signal -1
	s_barrier_wait -1
	v_cmpx_eq_u32_e32 24, v176
	s_cbranch_execz .LBB57_224
; %bb.218:
	ds_store_b64 v177, v[102:103]
	ds_store_2addr_b64 v178, v[114:115], v[112:113] offset0:25 offset1:26
	ds_store_2addr_b64 v178, v[110:111], v[116:117] offset0:27 offset1:28
	ds_load_b64 v[166:167], v177
	s_wait_dscnt 0x0
	v_cmp_neq_f32_e32 vcc_lo, 0, v166
	v_cmp_neq_f32_e64 s1, 0, v167
	s_or_b32 s1, vcc_lo, s1
	s_delay_alu instid0(SALU_CYCLE_1)
	s_and_b32 exec_lo, exec_lo, s1
	s_cbranch_execz .LBB57_224
; %bb.219:
	v_cmp_ngt_f32_e64 s1, |v166|, |v167|
                                        ; implicit-def: $vgpr168_vgpr169
	s_and_saveexec_b32 s4, s1
	s_delay_alu instid0(SALU_CYCLE_1)
	s_xor_b32 s1, exec_lo, s4
	s_cbranch_execz .LBB57_221
; %bb.220:
	v_div_scale_f32 v168, null, v167, v167, v166
	v_div_scale_f32 v171, vcc_lo, v166, v167, v166
	s_delay_alu instid0(VALU_DEP_2) | instskip(SKIP_1) | instid1(TRANS32_DEP_1)
	v_rcp_f32_e32 v169, v168
	v_nop
	v_fma_f32 v170, -v168, v169, 1.0
	s_delay_alu instid0(VALU_DEP_1) | instskip(NEXT) | instid1(VALU_DEP_1)
	v_fmac_f32_e32 v169, v170, v169
	v_mul_f32_e32 v170, v171, v169
	s_delay_alu instid0(VALU_DEP_1) | instskip(NEXT) | instid1(VALU_DEP_1)
	v_fma_f32 v172, -v168, v170, v171
	v_fmac_f32_e32 v170, v172, v169
	s_delay_alu instid0(VALU_DEP_1) | instskip(NEXT) | instid1(VALU_DEP_1)
	v_fma_f32 v168, -v168, v170, v171
	v_div_fmas_f32 v168, v168, v169, v170
	s_delay_alu instid0(VALU_DEP_1) | instskip(NEXT) | instid1(VALU_DEP_1)
	v_div_fixup_f32 v168, v168, v167, v166
	v_fmac_f32_e32 v167, v166, v168
	s_delay_alu instid0(VALU_DEP_1) | instskip(SKIP_1) | instid1(VALU_DEP_2)
	v_div_scale_f32 v166, null, v167, v167, 1.0
	v_div_scale_f32 v171, vcc_lo, 1.0, v167, 1.0
	v_rcp_f32_e32 v169, v166
	v_nop
	s_delay_alu instid0(TRANS32_DEP_1) | instskip(NEXT) | instid1(VALU_DEP_1)
	v_fma_f32 v170, -v166, v169, 1.0
	v_fmac_f32_e32 v169, v170, v169
	s_delay_alu instid0(VALU_DEP_1) | instskip(NEXT) | instid1(VALU_DEP_1)
	v_mul_f32_e32 v170, v171, v169
	v_fma_f32 v172, -v166, v170, v171
	s_delay_alu instid0(VALU_DEP_1) | instskip(NEXT) | instid1(VALU_DEP_1)
	v_fmac_f32_e32 v170, v172, v169
	v_fma_f32 v166, -v166, v170, v171
	s_delay_alu instid0(VALU_DEP_1) | instskip(NEXT) | instid1(VALU_DEP_1)
	v_div_fmas_f32 v166, v166, v169, v170
	v_div_fixup_f32 v166, v166, v167, 1.0
	s_delay_alu instid0(VALU_DEP_1)
	v_mul_f32_e32 v168, v168, v166
	v_xor_b32_e32 v169, 0x80000000, v166
                                        ; implicit-def: $vgpr166_vgpr167
.LBB57_221:
	s_and_not1_saveexec_b32 s1, s1
	s_cbranch_execz .LBB57_223
; %bb.222:
	v_div_scale_f32 v168, null, v166, v166, v167
	v_div_scale_f32 v171, vcc_lo, v167, v166, v167
	s_delay_alu instid0(VALU_DEP_2) | instskip(SKIP_1) | instid1(TRANS32_DEP_1)
	v_rcp_f32_e32 v169, v168
	v_nop
	v_fma_f32 v170, -v168, v169, 1.0
	s_delay_alu instid0(VALU_DEP_1) | instskip(NEXT) | instid1(VALU_DEP_1)
	v_fmac_f32_e32 v169, v170, v169
	v_mul_f32_e32 v170, v171, v169
	s_delay_alu instid0(VALU_DEP_1) | instskip(NEXT) | instid1(VALU_DEP_1)
	v_fma_f32 v172, -v168, v170, v171
	v_fmac_f32_e32 v170, v172, v169
	s_delay_alu instid0(VALU_DEP_1) | instskip(NEXT) | instid1(VALU_DEP_1)
	v_fma_f32 v168, -v168, v170, v171
	v_div_fmas_f32 v168, v168, v169, v170
	s_delay_alu instid0(VALU_DEP_1) | instskip(NEXT) | instid1(VALU_DEP_1)
	v_div_fixup_f32 v169, v168, v166, v167
	v_fmac_f32_e32 v166, v167, v169
	s_delay_alu instid0(VALU_DEP_1) | instskip(NEXT) | instid1(VALU_DEP_1)
	v_div_scale_f32 v167, null, v166, v166, 1.0
	v_rcp_f32_e32 v168, v167
	v_nop
	s_delay_alu instid0(TRANS32_DEP_1) | instskip(NEXT) | instid1(VALU_DEP_1)
	v_fma_f32 v170, -v167, v168, 1.0
	v_fmac_f32_e32 v168, v170, v168
	v_div_scale_f32 v170, vcc_lo, 1.0, v166, 1.0
	s_delay_alu instid0(VALU_DEP_1) | instskip(NEXT) | instid1(VALU_DEP_1)
	v_mul_f32_e32 v171, v170, v168
	v_fma_f32 v172, -v167, v171, v170
	s_delay_alu instid0(VALU_DEP_1) | instskip(NEXT) | instid1(VALU_DEP_1)
	v_fmac_f32_e32 v171, v172, v168
	v_fma_f32 v167, -v167, v171, v170
	s_delay_alu instid0(VALU_DEP_1) | instskip(NEXT) | instid1(VALU_DEP_1)
	v_div_fmas_f32 v167, v167, v168, v171
	v_div_fixup_f32 v168, v167, v166, 1.0
	s_delay_alu instid0(VALU_DEP_1)
	v_mul_f32_e64 v169, v169, -v168
.LBB57_223:
	s_or_b32 exec_lo, exec_lo, s1
	ds_store_b64 v177, v[168:169]
.LBB57_224:
	s_or_b32 exec_lo, exec_lo, s2
	s_wait_dscnt 0x0
	s_barrier_signal -1
	s_barrier_wait -1
	ds_load_b64 v[166:167], v177
	s_mov_b32 s1, exec_lo
	v_cmpx_lt_u32_e32 24, v176
	s_cbranch_execz .LBB57_226
; %bb.225:
	s_wait_dscnt 0x0
	v_pk_mul_f32 v[168:169], v[166:167], v[102:103] op_sel:[1,1] op_sel_hi:[0,1]
	s_delay_alu instid0(VALU_DEP_1)
	v_pk_fma_f32 v[172:173], v[166:167], v[102:103], v[168:169] op_sel_hi:[1,0,1] neg_lo:[0,0,1] neg_hi:[0,0,1]
	v_pk_fma_f32 v[174:175], v[166:167], v[102:103], v[168:169] op_sel_hi:[1,0,1]
	ds_load_2addr_b64 v[168:171], v178 offset0:25 offset1:26
	v_dual_mov_b32 v102, v172 :: v_dual_mov_b32 v103, v175
	s_wait_dscnt 0x0
	v_pk_mul_f32 v[180:181], v[168:169], v[174:175] op_sel:[0,1]
	s_delay_alu instid0(VALU_DEP_1) | instskip(SKIP_1) | instid1(VALU_DEP_1)
	v_pk_fma_f32 v[182:183], v[168:169], v[172:173], v[180:181] op_sel:[0,0,1] op_sel_hi:[1,1,0] neg_lo:[0,0,1] neg_hi:[0,0,1]
	v_pk_fma_f32 v[168:169], v[168:169], v[172:173], v[180:181] op_sel:[0,0,1] op_sel_hi:[1,0,0]
	v_mov_b32_e32 v183, v169
	v_pk_mul_f32 v[168:169], v[170:171], v[174:175] op_sel:[0,1]
	s_delay_alu instid0(VALU_DEP_1) | instskip(SKIP_1) | instid1(VALU_DEP_1)
	v_pk_fma_f32 v[180:181], v[170:171], v[172:173], v[168:169] op_sel:[0,0,1] op_sel_hi:[1,1,0] neg_lo:[0,0,1] neg_hi:[0,0,1]
	v_pk_fma_f32 v[168:169], v[170:171], v[172:173], v[168:169] op_sel:[0,0,1] op_sel_hi:[1,0,0]
	v_mov_b32_e32 v181, v169
	ds_load_2addr_b64 v[168:171], v178 offset0:27 offset1:28
	v_pk_add_f32 v[114:115], v[114:115], v[182:183] neg_lo:[0,1] neg_hi:[0,1]
	v_pk_add_f32 v[112:113], v[112:113], v[180:181] neg_lo:[0,1] neg_hi:[0,1]
	s_wait_dscnt 0x0
	v_pk_mul_f32 v[180:181], v[168:169], v[174:175] op_sel:[0,1]
	s_delay_alu instid0(VALU_DEP_1) | instskip(SKIP_1) | instid1(VALU_DEP_1)
	v_pk_fma_f32 v[182:183], v[168:169], v[172:173], v[180:181] op_sel:[0,0,1] op_sel_hi:[1,1,0] neg_lo:[0,0,1] neg_hi:[0,0,1]
	v_pk_fma_f32 v[168:169], v[168:169], v[172:173], v[180:181] op_sel:[0,0,1] op_sel_hi:[1,0,0]
	v_dual_mov_b32 v168, v171 :: v_dual_mov_b32 v183, v169
	v_mov_b32_e32 v169, v170
	s_delay_alu instid0(VALU_DEP_2) | instskip(NEXT) | instid1(VALU_DEP_2)
	v_pk_add_f32 v[110:111], v[110:111], v[182:183] neg_lo:[0,1] neg_hi:[0,1]
	v_pk_mul_f32 v[168:169], v[168:169], v[174:175] op_sel:[0,1]
	s_delay_alu instid0(VALU_DEP_1) | instskip(SKIP_1) | instid1(VALU_DEP_1)
	v_pk_fma_f32 v[174:175], v[170:171], v[172:173], v[168:169] neg_lo:[0,0,1] neg_hi:[0,0,1]
	v_pk_fma_f32 v[168:169], v[170:171], v[172:173], v[168:169] op_sel_hi:[1,0,1]
	v_mov_b32_e32 v175, v169
	s_delay_alu instid0(VALU_DEP_1)
	v_pk_add_f32 v[116:117], v[116:117], v[174:175] neg_lo:[0,1] neg_hi:[0,1]
.LBB57_226:
	s_or_b32 exec_lo, exec_lo, s1
	s_delay_alu instid0(SALU_CYCLE_1)
	s_mov_b32 s2, exec_lo
	s_wait_dscnt 0x0
	s_barrier_signal -1
	s_barrier_wait -1
	v_cmpx_eq_u32_e32 25, v176
	s_cbranch_execz .LBB57_233
; %bb.227:
	v_dual_mov_b32 v168, v112 :: v_dual_mov_b32 v169, v113
	v_dual_mov_b32 v170, v110 :: v_dual_mov_b32 v171, v111
	ds_store_b64 v177, v[114:115]
	ds_store_2addr_b64 v178, v[168:169], v[170:171] offset0:26 offset1:27
	ds_store_b64 v178, v[116:117] offset:224
	ds_load_b64 v[168:169], v177
	s_wait_dscnt 0x0
	v_cmp_neq_f32_e32 vcc_lo, 0, v168
	v_cmp_neq_f32_e64 s1, 0, v169
	s_or_b32 s1, vcc_lo, s1
	s_delay_alu instid0(SALU_CYCLE_1)
	s_and_b32 exec_lo, exec_lo, s1
	s_cbranch_execz .LBB57_233
; %bb.228:
	v_cmp_ngt_f32_e64 s1, |v168|, |v169|
                                        ; implicit-def: $vgpr170_vgpr171
	s_and_saveexec_b32 s4, s1
	s_delay_alu instid0(SALU_CYCLE_1)
	s_xor_b32 s1, exec_lo, s4
	s_cbranch_execz .LBB57_230
; %bb.229:
	v_div_scale_f32 v170, null, v169, v169, v168
	v_div_scale_f32 v173, vcc_lo, v168, v169, v168
	s_delay_alu instid0(VALU_DEP_2) | instskip(SKIP_1) | instid1(TRANS32_DEP_1)
	v_rcp_f32_e32 v171, v170
	v_nop
	v_fma_f32 v172, -v170, v171, 1.0
	s_delay_alu instid0(VALU_DEP_1) | instskip(NEXT) | instid1(VALU_DEP_1)
	v_fmac_f32_e32 v171, v172, v171
	v_mul_f32_e32 v172, v173, v171
	s_delay_alu instid0(VALU_DEP_1) | instskip(NEXT) | instid1(VALU_DEP_1)
	v_fma_f32 v174, -v170, v172, v173
	v_fmac_f32_e32 v172, v174, v171
	s_delay_alu instid0(VALU_DEP_1) | instskip(NEXT) | instid1(VALU_DEP_1)
	v_fma_f32 v170, -v170, v172, v173
	v_div_fmas_f32 v170, v170, v171, v172
	s_delay_alu instid0(VALU_DEP_1) | instskip(NEXT) | instid1(VALU_DEP_1)
	v_div_fixup_f32 v170, v170, v169, v168
	v_fmac_f32_e32 v169, v168, v170
	s_delay_alu instid0(VALU_DEP_1) | instskip(SKIP_1) | instid1(VALU_DEP_2)
	v_div_scale_f32 v168, null, v169, v169, 1.0
	v_div_scale_f32 v173, vcc_lo, 1.0, v169, 1.0
	v_rcp_f32_e32 v171, v168
	v_nop
	s_delay_alu instid0(TRANS32_DEP_1) | instskip(NEXT) | instid1(VALU_DEP_1)
	v_fma_f32 v172, -v168, v171, 1.0
	v_fmac_f32_e32 v171, v172, v171
	s_delay_alu instid0(VALU_DEP_1) | instskip(NEXT) | instid1(VALU_DEP_1)
	v_mul_f32_e32 v172, v173, v171
	v_fma_f32 v174, -v168, v172, v173
	s_delay_alu instid0(VALU_DEP_1) | instskip(NEXT) | instid1(VALU_DEP_1)
	v_fmac_f32_e32 v172, v174, v171
	v_fma_f32 v168, -v168, v172, v173
	s_delay_alu instid0(VALU_DEP_1) | instskip(NEXT) | instid1(VALU_DEP_1)
	v_div_fmas_f32 v168, v168, v171, v172
	v_div_fixup_f32 v168, v168, v169, 1.0
	s_delay_alu instid0(VALU_DEP_1)
	v_mul_f32_e32 v170, v170, v168
	v_xor_b32_e32 v171, 0x80000000, v168
                                        ; implicit-def: $vgpr168_vgpr169
.LBB57_230:
	s_and_not1_saveexec_b32 s1, s1
	s_cbranch_execz .LBB57_232
; %bb.231:
	v_div_scale_f32 v170, null, v168, v168, v169
	v_div_scale_f32 v173, vcc_lo, v169, v168, v169
	s_delay_alu instid0(VALU_DEP_2) | instskip(SKIP_1) | instid1(TRANS32_DEP_1)
	v_rcp_f32_e32 v171, v170
	v_nop
	v_fma_f32 v172, -v170, v171, 1.0
	s_delay_alu instid0(VALU_DEP_1) | instskip(NEXT) | instid1(VALU_DEP_1)
	v_fmac_f32_e32 v171, v172, v171
	v_mul_f32_e32 v172, v173, v171
	s_delay_alu instid0(VALU_DEP_1) | instskip(NEXT) | instid1(VALU_DEP_1)
	v_fma_f32 v174, -v170, v172, v173
	v_fmac_f32_e32 v172, v174, v171
	s_delay_alu instid0(VALU_DEP_1) | instskip(NEXT) | instid1(VALU_DEP_1)
	v_fma_f32 v170, -v170, v172, v173
	v_div_fmas_f32 v170, v170, v171, v172
	s_delay_alu instid0(VALU_DEP_1) | instskip(NEXT) | instid1(VALU_DEP_1)
	v_div_fixup_f32 v171, v170, v168, v169
	v_fmac_f32_e32 v168, v169, v171
	s_delay_alu instid0(VALU_DEP_1) | instskip(NEXT) | instid1(VALU_DEP_1)
	v_div_scale_f32 v169, null, v168, v168, 1.0
	v_rcp_f32_e32 v170, v169
	v_nop
	s_delay_alu instid0(TRANS32_DEP_1) | instskip(NEXT) | instid1(VALU_DEP_1)
	v_fma_f32 v172, -v169, v170, 1.0
	v_fmac_f32_e32 v170, v172, v170
	v_div_scale_f32 v172, vcc_lo, 1.0, v168, 1.0
	s_delay_alu instid0(VALU_DEP_1) | instskip(NEXT) | instid1(VALU_DEP_1)
	v_mul_f32_e32 v173, v172, v170
	v_fma_f32 v174, -v169, v173, v172
	s_delay_alu instid0(VALU_DEP_1) | instskip(NEXT) | instid1(VALU_DEP_1)
	v_fmac_f32_e32 v173, v174, v170
	v_fma_f32 v169, -v169, v173, v172
	s_delay_alu instid0(VALU_DEP_1) | instskip(NEXT) | instid1(VALU_DEP_1)
	v_div_fmas_f32 v169, v169, v170, v173
	v_div_fixup_f32 v170, v169, v168, 1.0
	s_delay_alu instid0(VALU_DEP_1)
	v_mul_f32_e64 v171, v171, -v170
.LBB57_232:
	s_or_b32 exec_lo, exec_lo, s1
	ds_store_b64 v177, v[170:171]
.LBB57_233:
	s_or_b32 exec_lo, exec_lo, s2
	s_wait_dscnt 0x0
	s_barrier_signal -1
	s_barrier_wait -1
	ds_load_b64 v[168:169], v177
	s_mov_b32 s1, exec_lo
	v_cmpx_lt_u32_e32 25, v176
	s_cbranch_execz .LBB57_235
; %bb.234:
	ds_load_2addr_b64 v[170:173], v178 offset0:26 offset1:27
	ds_load_b64 v[174:175], v178 offset:224
	s_wait_dscnt 0x2
	v_pk_mul_f32 v[180:181], v[168:169], v[114:115] op_sel:[1,1] op_sel_hi:[0,1]
	s_delay_alu instid0(VALU_DEP_1) | instskip(SKIP_2) | instid1(VALU_DEP_2)
	v_pk_fma_f32 v[182:183], v[168:169], v[114:115], v[180:181] op_sel_hi:[1,0,1]
	v_pk_fma_f32 v[114:115], v[168:169], v[114:115], v[180:181] op_sel_hi:[1,0,1] neg_lo:[0,0,1] neg_hi:[0,0,1]
	s_wait_dscnt 0x1
	v_pk_mul_f32 v[180:181], v[170:171], v[182:183] op_sel:[0,1]
	v_pk_mul_f32 v[184:185], v[172:173], v[182:183] op_sel:[0,1]
	s_wait_dscnt 0x0
	v_pk_mul_f32 v[186:187], v[174:175], v[182:183] op_sel:[1,1] op_sel_hi:[0,1]
	s_delay_alu instid0(VALU_DEP_3) | instskip(SKIP_2) | instid1(VALU_DEP_4)
	v_pk_fma_f32 v[188:189], v[170:171], v[114:115], v[180:181] op_sel:[0,0,1] op_sel_hi:[1,1,0] neg_lo:[0,0,1] neg_hi:[0,0,1]
	v_pk_fma_f32 v[170:171], v[170:171], v[114:115], v[180:181] op_sel:[0,0,1] op_sel_hi:[1,0,0]
	v_pk_fma_f32 v[180:181], v[172:173], v[114:115], v[184:185] op_sel:[0,0,1] op_sel_hi:[1,0,0]
	v_pk_fma_f32 v[190:191], v[174:175], v[114:115], v[186:187] op_sel_hi:[1,0,1]
	v_pk_fma_f32 v[172:173], v[172:173], v[114:115], v[184:185] op_sel:[0,0,1] op_sel_hi:[1,1,0] neg_lo:[0,0,1] neg_hi:[0,0,1]
	v_pk_fma_f32 v[174:175], v[174:175], v[114:115], v[186:187] neg_lo:[0,0,1] neg_hi:[0,0,1]
	s_delay_alu instid0(VALU_DEP_4) | instskip(NEXT) | instid1(VALU_DEP_4)
	v_dual_mov_b32 v189, v171 :: v_dual_mov_b32 v173, v181
	v_dual_mov_b32 v175, v191 :: v_dual_mov_b32 v115, v183
	s_delay_alu instid0(VALU_DEP_2) | instskip(NEXT) | instid1(VALU_DEP_3)
	v_pk_add_f32 v[112:113], v[112:113], v[188:189] neg_lo:[0,1] neg_hi:[0,1]
	v_pk_add_f32 v[110:111], v[110:111], v[172:173] neg_lo:[0,1] neg_hi:[0,1]
	s_delay_alu instid0(VALU_DEP_3)
	v_pk_add_f32 v[116:117], v[116:117], v[174:175] neg_lo:[0,1] neg_hi:[0,1]
.LBB57_235:
	s_or_b32 exec_lo, exec_lo, s1
	s_delay_alu instid0(SALU_CYCLE_1)
	s_mov_b32 s2, exec_lo
	s_wait_dscnt 0x0
	s_barrier_signal -1
	s_barrier_wait -1
	v_cmpx_eq_u32_e32 26, v176
	s_cbranch_execz .LBB57_242
; %bb.236:
	ds_store_b64 v177, v[112:113]
	ds_store_2addr_b64 v178, v[110:111], v[116:117] offset0:27 offset1:28
	ds_load_b64 v[170:171], v177
	s_wait_dscnt 0x0
	v_cmp_neq_f32_e32 vcc_lo, 0, v170
	v_cmp_neq_f32_e64 s1, 0, v171
	s_or_b32 s1, vcc_lo, s1
	s_delay_alu instid0(SALU_CYCLE_1)
	s_and_b32 exec_lo, exec_lo, s1
	s_cbranch_execz .LBB57_242
; %bb.237:
	v_cmp_ngt_f32_e64 s1, |v170|, |v171|
                                        ; implicit-def: $vgpr172_vgpr173
	s_and_saveexec_b32 s4, s1
	s_delay_alu instid0(SALU_CYCLE_1)
	s_xor_b32 s1, exec_lo, s4
	s_cbranch_execz .LBB57_239
; %bb.238:
	v_div_scale_f32 v172, null, v171, v171, v170
	v_div_scale_f32 v175, vcc_lo, v170, v171, v170
	s_delay_alu instid0(VALU_DEP_2) | instskip(SKIP_1) | instid1(TRANS32_DEP_1)
	v_rcp_f32_e32 v173, v172
	v_nop
	v_fma_f32 v174, -v172, v173, 1.0
	s_delay_alu instid0(VALU_DEP_1) | instskip(NEXT) | instid1(VALU_DEP_1)
	v_fmac_f32_e32 v173, v174, v173
	v_mul_f32_e32 v174, v175, v173
	s_delay_alu instid0(VALU_DEP_1) | instskip(NEXT) | instid1(VALU_DEP_1)
	v_fma_f32 v179, -v172, v174, v175
	v_fmac_f32_e32 v174, v179, v173
	s_delay_alu instid0(VALU_DEP_1) | instskip(NEXT) | instid1(VALU_DEP_1)
	v_fma_f32 v172, -v172, v174, v175
	v_div_fmas_f32 v172, v172, v173, v174
	s_delay_alu instid0(VALU_DEP_1) | instskip(NEXT) | instid1(VALU_DEP_1)
	v_div_fixup_f32 v172, v172, v171, v170
	v_fmac_f32_e32 v171, v170, v172
	s_delay_alu instid0(VALU_DEP_1) | instskip(SKIP_1) | instid1(VALU_DEP_2)
	v_div_scale_f32 v170, null, v171, v171, 1.0
	v_div_scale_f32 v175, vcc_lo, 1.0, v171, 1.0
	v_rcp_f32_e32 v173, v170
	v_nop
	s_delay_alu instid0(TRANS32_DEP_1) | instskip(NEXT) | instid1(VALU_DEP_1)
	v_fma_f32 v174, -v170, v173, 1.0
	v_fmac_f32_e32 v173, v174, v173
	s_delay_alu instid0(VALU_DEP_1) | instskip(NEXT) | instid1(VALU_DEP_1)
	v_mul_f32_e32 v174, v175, v173
	v_fma_f32 v179, -v170, v174, v175
	s_delay_alu instid0(VALU_DEP_1) | instskip(NEXT) | instid1(VALU_DEP_1)
	v_fmac_f32_e32 v174, v179, v173
	v_fma_f32 v170, -v170, v174, v175
	s_delay_alu instid0(VALU_DEP_1) | instskip(NEXT) | instid1(VALU_DEP_1)
	v_div_fmas_f32 v170, v170, v173, v174
	v_div_fixup_f32 v170, v170, v171, 1.0
	s_delay_alu instid0(VALU_DEP_1)
	v_mul_f32_e32 v172, v172, v170
	v_xor_b32_e32 v173, 0x80000000, v170
                                        ; implicit-def: $vgpr170_vgpr171
.LBB57_239:
	s_and_not1_saveexec_b32 s1, s1
	s_cbranch_execz .LBB57_241
; %bb.240:
	v_div_scale_f32 v172, null, v170, v170, v171
	v_div_scale_f32 v175, vcc_lo, v171, v170, v171
	s_delay_alu instid0(VALU_DEP_2) | instskip(SKIP_1) | instid1(TRANS32_DEP_1)
	v_rcp_f32_e32 v173, v172
	v_nop
	v_fma_f32 v174, -v172, v173, 1.0
	s_delay_alu instid0(VALU_DEP_1) | instskip(NEXT) | instid1(VALU_DEP_1)
	v_fmac_f32_e32 v173, v174, v173
	v_mul_f32_e32 v174, v175, v173
	s_delay_alu instid0(VALU_DEP_1) | instskip(NEXT) | instid1(VALU_DEP_1)
	v_fma_f32 v179, -v172, v174, v175
	v_fmac_f32_e32 v174, v179, v173
	s_delay_alu instid0(VALU_DEP_1) | instskip(NEXT) | instid1(VALU_DEP_1)
	v_fma_f32 v172, -v172, v174, v175
	v_div_fmas_f32 v172, v172, v173, v174
	s_delay_alu instid0(VALU_DEP_1) | instskip(NEXT) | instid1(VALU_DEP_1)
	v_div_fixup_f32 v173, v172, v170, v171
	v_fmac_f32_e32 v170, v171, v173
	s_delay_alu instid0(VALU_DEP_1) | instskip(NEXT) | instid1(VALU_DEP_1)
	v_div_scale_f32 v171, null, v170, v170, 1.0
	v_rcp_f32_e32 v172, v171
	v_nop
	s_delay_alu instid0(TRANS32_DEP_1) | instskip(NEXT) | instid1(VALU_DEP_1)
	v_fma_f32 v174, -v171, v172, 1.0
	v_fmac_f32_e32 v172, v174, v172
	v_div_scale_f32 v174, vcc_lo, 1.0, v170, 1.0
	s_delay_alu instid0(VALU_DEP_1) | instskip(NEXT) | instid1(VALU_DEP_1)
	v_mul_f32_e32 v175, v174, v172
	v_fma_f32 v179, -v171, v175, v174
	s_delay_alu instid0(VALU_DEP_1) | instskip(NEXT) | instid1(VALU_DEP_1)
	v_fmac_f32_e32 v175, v179, v172
	v_fma_f32 v171, -v171, v175, v174
	s_delay_alu instid0(VALU_DEP_1) | instskip(NEXT) | instid1(VALU_DEP_1)
	v_div_fmas_f32 v171, v171, v172, v175
	v_div_fixup_f32 v172, v171, v170, 1.0
	s_delay_alu instid0(VALU_DEP_1)
	v_mul_f32_e64 v173, v173, -v172
.LBB57_241:
	s_or_b32 exec_lo, exec_lo, s1
	ds_store_b64 v177, v[172:173]
.LBB57_242:
	s_or_b32 exec_lo, exec_lo, s2
	s_wait_dscnt 0x0
	s_barrier_signal -1
	s_barrier_wait -1
	ds_load_b64 v[170:171], v177
	s_mov_b32 s1, exec_lo
	v_cmpx_lt_u32_e32 26, v176
	s_cbranch_execz .LBB57_244
; %bb.243:
	ds_load_2addr_b64 v[172:175], v178 offset0:27 offset1:28
	s_wait_dscnt 0x1
	v_pk_mul_f32 v[180:181], v[170:171], v[112:113] op_sel:[1,1] op_sel_hi:[0,1]
	s_delay_alu instid0(VALU_DEP_1) | instskip(SKIP_3) | instid1(VALU_DEP_3)
	v_pk_fma_f32 v[182:183], v[170:171], v[112:113], v[180:181] op_sel_hi:[1,0,1]
	v_pk_fma_f32 v[112:113], v[170:171], v[112:113], v[180:181] op_sel_hi:[1,0,1] neg_lo:[0,0,1] neg_hi:[0,0,1]
	s_wait_dscnt 0x0
	v_dual_mov_b32 v184, v175 :: v_dual_mov_b32 v185, v174
	v_pk_mul_f32 v[180:181], v[172:173], v[182:183] op_sel:[0,1]
	s_delay_alu instid0(VALU_DEP_2) | instskip(NEXT) | instid1(VALU_DEP_2)
	v_pk_mul_f32 v[184:185], v[184:185], v[182:183] op_sel:[0,1]
	v_pk_fma_f32 v[186:187], v[172:173], v[112:113], v[180:181] op_sel:[0,0,1] op_sel_hi:[1,0,0]
	v_pk_fma_f32 v[172:173], v[172:173], v[112:113], v[180:181] op_sel:[0,0,1] op_sel_hi:[1,1,0] neg_lo:[0,0,1] neg_hi:[0,0,1]
	s_delay_alu instid0(VALU_DEP_3) | instskip(SKIP_1) | instid1(VALU_DEP_4)
	v_pk_fma_f32 v[188:189], v[174:175], v[112:113], v[184:185] op_sel_hi:[1,0,1]
	v_pk_fma_f32 v[174:175], v[174:175], v[112:113], v[184:185] neg_lo:[0,0,1] neg_hi:[0,0,1]
	v_dual_mov_b32 v173, v187 :: v_dual_mov_b32 v113, v183
	s_delay_alu instid0(VALU_DEP_3) | instskip(NEXT) | instid1(VALU_DEP_2)
	v_mov_b32_e32 v175, v189
	v_pk_add_f32 v[110:111], v[110:111], v[172:173] neg_lo:[0,1] neg_hi:[0,1]
	s_delay_alu instid0(VALU_DEP_2)
	v_pk_add_f32 v[116:117], v[116:117], v[174:175] neg_lo:[0,1] neg_hi:[0,1]
.LBB57_244:
	s_or_b32 exec_lo, exec_lo, s1
	s_delay_alu instid0(SALU_CYCLE_1)
	s_mov_b32 s2, exec_lo
	s_wait_dscnt 0x0
	s_barrier_signal -1
	s_barrier_wait -1
	v_cmpx_eq_u32_e32 27, v176
	s_cbranch_execz .LBB57_251
; %bb.245:
	ds_store_b64 v177, v[110:111]
	ds_store_b64 v178, v[116:117] offset:224
	ds_load_b64 v[172:173], v177
	s_wait_dscnt 0x0
	v_cmp_neq_f32_e32 vcc_lo, 0, v172
	v_cmp_neq_f32_e64 s1, 0, v173
	s_or_b32 s1, vcc_lo, s1
	s_delay_alu instid0(SALU_CYCLE_1)
	s_and_b32 exec_lo, exec_lo, s1
	s_cbranch_execz .LBB57_251
; %bb.246:
	v_cmp_ngt_f32_e64 s1, |v172|, |v173|
                                        ; implicit-def: $vgpr174_vgpr175
	s_and_saveexec_b32 s4, s1
	s_delay_alu instid0(SALU_CYCLE_1)
	s_xor_b32 s1, exec_lo, s4
	s_cbranch_execz .LBB57_248
; %bb.247:
	v_div_scale_f32 v174, null, v173, v173, v172
	v_div_scale_f32 v180, vcc_lo, v172, v173, v172
	s_delay_alu instid0(VALU_DEP_2) | instskip(SKIP_1) | instid1(TRANS32_DEP_1)
	v_rcp_f32_e32 v175, v174
	v_nop
	v_fma_f32 v179, -v174, v175, 1.0
	s_delay_alu instid0(VALU_DEP_1) | instskip(NEXT) | instid1(VALU_DEP_1)
	v_fmac_f32_e32 v175, v179, v175
	v_mul_f32_e32 v179, v180, v175
	s_delay_alu instid0(VALU_DEP_1) | instskip(NEXT) | instid1(VALU_DEP_1)
	v_fma_f32 v181, -v174, v179, v180
	v_fmac_f32_e32 v179, v181, v175
	s_delay_alu instid0(VALU_DEP_1) | instskip(NEXT) | instid1(VALU_DEP_1)
	v_fma_f32 v174, -v174, v179, v180
	v_div_fmas_f32 v174, v174, v175, v179
	s_delay_alu instid0(VALU_DEP_1) | instskip(NEXT) | instid1(VALU_DEP_1)
	v_div_fixup_f32 v174, v174, v173, v172
	v_fmac_f32_e32 v173, v172, v174
	s_delay_alu instid0(VALU_DEP_1) | instskip(SKIP_1) | instid1(VALU_DEP_2)
	v_div_scale_f32 v172, null, v173, v173, 1.0
	v_div_scale_f32 v180, vcc_lo, 1.0, v173, 1.0
	v_rcp_f32_e32 v175, v172
	v_nop
	s_delay_alu instid0(TRANS32_DEP_1) | instskip(NEXT) | instid1(VALU_DEP_1)
	v_fma_f32 v179, -v172, v175, 1.0
	v_fmac_f32_e32 v175, v179, v175
	s_delay_alu instid0(VALU_DEP_1) | instskip(NEXT) | instid1(VALU_DEP_1)
	v_mul_f32_e32 v179, v180, v175
	v_fma_f32 v181, -v172, v179, v180
	s_delay_alu instid0(VALU_DEP_1) | instskip(NEXT) | instid1(VALU_DEP_1)
	v_fmac_f32_e32 v179, v181, v175
	v_fma_f32 v172, -v172, v179, v180
	s_delay_alu instid0(VALU_DEP_1) | instskip(NEXT) | instid1(VALU_DEP_1)
	v_div_fmas_f32 v172, v172, v175, v179
	v_div_fixup_f32 v172, v172, v173, 1.0
	s_delay_alu instid0(VALU_DEP_1)
	v_mul_f32_e32 v174, v174, v172
	v_xor_b32_e32 v175, 0x80000000, v172
                                        ; implicit-def: $vgpr172_vgpr173
.LBB57_248:
	s_and_not1_saveexec_b32 s1, s1
	s_cbranch_execz .LBB57_250
; %bb.249:
	v_div_scale_f32 v174, null, v172, v172, v173
	v_div_scale_f32 v180, vcc_lo, v173, v172, v173
	s_delay_alu instid0(VALU_DEP_2) | instskip(SKIP_1) | instid1(TRANS32_DEP_1)
	v_rcp_f32_e32 v175, v174
	v_nop
	v_fma_f32 v179, -v174, v175, 1.0
	s_delay_alu instid0(VALU_DEP_1) | instskip(NEXT) | instid1(VALU_DEP_1)
	v_fmac_f32_e32 v175, v179, v175
	v_mul_f32_e32 v179, v180, v175
	s_delay_alu instid0(VALU_DEP_1) | instskip(NEXT) | instid1(VALU_DEP_1)
	v_fma_f32 v181, -v174, v179, v180
	v_fmac_f32_e32 v179, v181, v175
	s_delay_alu instid0(VALU_DEP_1) | instskip(NEXT) | instid1(VALU_DEP_1)
	v_fma_f32 v174, -v174, v179, v180
	v_div_fmas_f32 v174, v174, v175, v179
	s_delay_alu instid0(VALU_DEP_1) | instskip(NEXT) | instid1(VALU_DEP_1)
	v_div_fixup_f32 v175, v174, v172, v173
	v_fmac_f32_e32 v172, v173, v175
	s_delay_alu instid0(VALU_DEP_1) | instskip(NEXT) | instid1(VALU_DEP_1)
	v_div_scale_f32 v173, null, v172, v172, 1.0
	v_rcp_f32_e32 v174, v173
	v_nop
	s_delay_alu instid0(TRANS32_DEP_1) | instskip(NEXT) | instid1(VALU_DEP_1)
	v_fma_f32 v179, -v173, v174, 1.0
	v_fmac_f32_e32 v174, v179, v174
	v_div_scale_f32 v179, vcc_lo, 1.0, v172, 1.0
	s_delay_alu instid0(VALU_DEP_1) | instskip(NEXT) | instid1(VALU_DEP_1)
	v_mul_f32_e32 v180, v179, v174
	v_fma_f32 v181, -v173, v180, v179
	s_delay_alu instid0(VALU_DEP_1) | instskip(NEXT) | instid1(VALU_DEP_1)
	v_fmac_f32_e32 v180, v181, v174
	v_fma_f32 v173, -v173, v180, v179
	s_delay_alu instid0(VALU_DEP_1) | instskip(NEXT) | instid1(VALU_DEP_1)
	v_div_fmas_f32 v173, v173, v174, v180
	v_div_fixup_f32 v174, v173, v172, 1.0
	s_delay_alu instid0(VALU_DEP_1)
	v_mul_f32_e64 v175, v175, -v174
.LBB57_250:
	s_or_b32 exec_lo, exec_lo, s1
	ds_store_b64 v177, v[174:175]
.LBB57_251:
	s_or_b32 exec_lo, exec_lo, s2
	s_wait_dscnt 0x0
	s_barrier_signal -1
	s_barrier_wait -1
	ds_load_b64 v[172:173], v177
	s_mov_b32 s1, exec_lo
	v_cmpx_lt_u32_e32 27, v176
	s_cbranch_execz .LBB57_253
; %bb.252:
	ds_load_b64 v[174:175], v178 offset:224
	s_wait_dscnt 0x1
	v_pk_mul_f32 v[178:179], v[172:173], v[110:111] op_sel:[1,1] op_sel_hi:[0,1]
	s_delay_alu instid0(VALU_DEP_1) | instskip(SKIP_2) | instid1(VALU_DEP_2)
	v_pk_fma_f32 v[180:181], v[172:173], v[110:111], v[178:179] op_sel_hi:[1,0,1]
	v_pk_fma_f32 v[110:111], v[172:173], v[110:111], v[178:179] op_sel_hi:[1,0,1] neg_lo:[0,0,1] neg_hi:[0,0,1]
	s_wait_dscnt 0x0
	v_pk_mul_f32 v[178:179], v[174:175], v[180:181] op_sel:[1,1] op_sel_hi:[0,1]
	s_delay_alu instid0(VALU_DEP_1) | instskip(SKIP_1) | instid1(VALU_DEP_2)
	v_pk_fma_f32 v[182:183], v[174:175], v[110:111], v[178:179] op_sel_hi:[1,0,1]
	v_pk_fma_f32 v[174:175], v[174:175], v[110:111], v[178:179] neg_lo:[0,0,1] neg_hi:[0,0,1]
	v_dual_mov_b32 v111, v181 :: v_dual_mov_b32 v175, v183
	s_delay_alu instid0(VALU_DEP_1)
	v_pk_add_f32 v[116:117], v[116:117], v[174:175] neg_lo:[0,1] neg_hi:[0,1]
.LBB57_253:
	s_or_b32 exec_lo, exec_lo, s1
	s_delay_alu instid0(SALU_CYCLE_1)
	s_mov_b32 s2, exec_lo
	s_wait_dscnt 0x0
	s_barrier_signal -1
	s_barrier_wait -1
	v_cmpx_eq_u32_e32 28, v176
	s_cbranch_execz .LBB57_260
; %bb.254:
	v_cmp_neq_f32_e32 vcc_lo, 0, v116
	v_cmp_neq_f32_e64 s1, 0, v117
	ds_store_b64 v177, v[116:117]
	s_or_b32 s1, vcc_lo, s1
	s_delay_alu instid0(SALU_CYCLE_1)
	s_and_b32 exec_lo, exec_lo, s1
	s_cbranch_execz .LBB57_260
; %bb.255:
	v_cmp_ngt_f32_e64 s1, |v116|, |v117|
                                        ; implicit-def: $vgpr174_vgpr175
	s_and_saveexec_b32 s4, s1
	s_delay_alu instid0(SALU_CYCLE_1)
	s_xor_b32 s1, exec_lo, s4
	s_cbranch_execz .LBB57_257
; %bb.256:
	v_div_scale_f32 v174, null, v117, v117, v116
	v_div_scale_f32 v179, vcc_lo, v116, v117, v116
	s_delay_alu instid0(VALU_DEP_2) | instskip(SKIP_1) | instid1(TRANS32_DEP_1)
	v_rcp_f32_e32 v175, v174
	v_nop
	v_fma_f32 v178, -v174, v175, 1.0
	s_delay_alu instid0(VALU_DEP_1) | instskip(NEXT) | instid1(VALU_DEP_1)
	v_fmac_f32_e32 v175, v178, v175
	v_mul_f32_e32 v178, v179, v175
	s_delay_alu instid0(VALU_DEP_1) | instskip(NEXT) | instid1(VALU_DEP_1)
	v_fma_f32 v180, -v174, v178, v179
	v_fmac_f32_e32 v178, v180, v175
	s_delay_alu instid0(VALU_DEP_1) | instskip(NEXT) | instid1(VALU_DEP_1)
	v_fma_f32 v174, -v174, v178, v179
	v_div_fmas_f32 v174, v174, v175, v178
	s_delay_alu instid0(VALU_DEP_1) | instskip(NEXT) | instid1(VALU_DEP_1)
	v_div_fixup_f32 v174, v174, v117, v116
	v_fma_f32 v175, v116, v174, v117
	s_delay_alu instid0(VALU_DEP_1) | instskip(SKIP_1) | instid1(VALU_DEP_2)
	v_div_scale_f32 v178, null, v175, v175, 1.0
	v_div_scale_f32 v181, vcc_lo, 1.0, v175, 1.0
	v_rcp_f32_e32 v179, v178
	v_nop
	s_delay_alu instid0(TRANS32_DEP_1) | instskip(NEXT) | instid1(VALU_DEP_1)
	v_fma_f32 v180, -v178, v179, 1.0
	v_fmac_f32_e32 v179, v180, v179
	s_delay_alu instid0(VALU_DEP_1) | instskip(NEXT) | instid1(VALU_DEP_1)
	v_mul_f32_e32 v180, v181, v179
	v_fma_f32 v182, -v178, v180, v181
	s_delay_alu instid0(VALU_DEP_1) | instskip(NEXT) | instid1(VALU_DEP_1)
	v_fmac_f32_e32 v180, v182, v179
	v_fma_f32 v178, -v178, v180, v181
	s_delay_alu instid0(VALU_DEP_1) | instskip(NEXT) | instid1(VALU_DEP_1)
	v_div_fmas_f32 v178, v178, v179, v180
	v_div_fixup_f32 v175, v178, v175, 1.0
	s_delay_alu instid0(VALU_DEP_1)
	v_mul_f32_e32 v174, v174, v175
	v_xor_b32_e32 v175, 0x80000000, v175
.LBB57_257:
	s_and_not1_saveexec_b32 s1, s1
	s_cbranch_execz .LBB57_259
; %bb.258:
	v_div_scale_f32 v174, null, v116, v116, v117
	v_div_scale_f32 v179, vcc_lo, v117, v116, v117
	s_delay_alu instid0(VALU_DEP_2) | instskip(SKIP_1) | instid1(TRANS32_DEP_1)
	v_rcp_f32_e32 v175, v174
	v_nop
	v_fma_f32 v178, -v174, v175, 1.0
	s_delay_alu instid0(VALU_DEP_1) | instskip(NEXT) | instid1(VALU_DEP_1)
	v_fmac_f32_e32 v175, v178, v175
	v_mul_f32_e32 v178, v179, v175
	s_delay_alu instid0(VALU_DEP_1) | instskip(NEXT) | instid1(VALU_DEP_1)
	v_fma_f32 v180, -v174, v178, v179
	v_fmac_f32_e32 v178, v180, v175
	s_delay_alu instid0(VALU_DEP_1) | instskip(NEXT) | instid1(VALU_DEP_1)
	v_fma_f32 v174, -v174, v178, v179
	v_div_fmas_f32 v174, v174, v175, v178
	s_delay_alu instid0(VALU_DEP_1) | instskip(NEXT) | instid1(VALU_DEP_1)
	v_div_fixup_f32 v175, v174, v116, v117
	v_fma_f32 v174, v117, v175, v116
	s_delay_alu instid0(VALU_DEP_1) | instskip(NEXT) | instid1(VALU_DEP_1)
	v_div_scale_f32 v178, null, v174, v174, 1.0
	v_rcp_f32_e32 v179, v178
	v_nop
	s_delay_alu instid0(TRANS32_DEP_1) | instskip(NEXT) | instid1(VALU_DEP_1)
	v_fma_f32 v180, -v178, v179, 1.0
	v_fmac_f32_e32 v179, v180, v179
	v_div_scale_f32 v180, vcc_lo, 1.0, v174, 1.0
	s_delay_alu instid0(VALU_DEP_1) | instskip(NEXT) | instid1(VALU_DEP_1)
	v_mul_f32_e32 v181, v180, v179
	v_fma_f32 v182, -v178, v181, v180
	s_delay_alu instid0(VALU_DEP_1) | instskip(NEXT) | instid1(VALU_DEP_1)
	v_fmac_f32_e32 v181, v182, v179
	v_fma_f32 v178, -v178, v181, v180
	s_delay_alu instid0(VALU_DEP_1) | instskip(NEXT) | instid1(VALU_DEP_1)
	v_div_fmas_f32 v178, v178, v179, v181
	v_div_fixup_f32 v174, v178, v174, 1.0
	s_delay_alu instid0(VALU_DEP_1)
	v_mul_f32_e64 v175, v175, -v174
.LBB57_259:
	s_or_b32 exec_lo, exec_lo, s1
	ds_store_b64 v177, v[174:175]
.LBB57_260:
	s_or_b32 exec_lo, exec_lo, s2
	s_wait_dscnt 0x0
	s_barrier_signal -1
	s_barrier_wait -1
	ds_load_b64 v[174:175], v177
	s_wait_dscnt 0x0
	s_barrier_signal -1
	s_barrier_wait -1
	s_and_saveexec_b32 s4, s0
	s_cbranch_execz .LBB57_263
; %bb.261:
	v_cmp_eq_f32_e32 vcc_lo, 0, v118
	v_cmp_eq_f32_e64 s0, 0, v119
	v_cmp_neq_f32_e64 s1, 0, v120
	v_cmp_neq_f32_e64 s2, 0, v121
	v_lshl_add_u64 v[2:3], v[2:3], 2, s[6:7]
	s_and_b32 s0, vcc_lo, s0
	s_delay_alu instid0(SALU_CYCLE_1)
	v_cndmask_b32_e64 v118, 0, 1, s0
	s_or_b32 s1, s1, s2
	global_load_b32 v177, v[2:3], off
	s_or_b32 vcc_lo, s1, s0
	v_cmp_eq_f32_e64 s0, 0, v123
	v_cndmask_b32_e32 v118, 2, v118, vcc_lo
	v_cmp_eq_f32_e32 vcc_lo, 0, v122
	s_delay_alu instid0(VALU_DEP_2) | instskip(SKIP_3) | instid1(SALU_CYCLE_1)
	v_cmp_eq_u32_e64 s1, 0, v118
	s_and_b32 s0, vcc_lo, s0
	v_cmp_eq_f32_e32 vcc_lo, 0, v124
	s_and_b32 s0, s0, s1
	v_cndmask_b32_e64 v118, v118, 3, s0
	v_cmp_eq_f32_e64 s0, 0, v125
	s_delay_alu instid0(VALU_DEP_2) | instskip(SKIP_3) | instid1(SALU_CYCLE_1)
	v_cmp_eq_u32_e64 s1, 0, v118
	s_and_b32 s0, vcc_lo, s0
	v_cmp_eq_f32_e32 vcc_lo, 0, v126
	s_and_b32 s0, s0, s1
	v_cndmask_b32_e64 v118, v118, 4, s0
	v_cmp_eq_f32_e64 s0, 0, v127
	s_delay_alu instid0(VALU_DEP_2) | instskip(SKIP_3) | instid1(SALU_CYCLE_1)
	v_cmp_eq_u32_e64 s1, 0, v118
	s_and_b32 s0, vcc_lo, s0
	v_cmp_eq_f32_e32 vcc_lo, 0, v128
	s_and_b32 s0, s0, s1
	v_cndmask_b32_e64 v118, v118, 5, s0
	v_cmp_eq_f32_e64 s0, 0, v129
	s_delay_alu instid0(VALU_DEP_2) | instskip(SKIP_3) | instid1(SALU_CYCLE_1)
	v_cmp_eq_u32_e64 s1, 0, v118
	s_and_b32 s0, vcc_lo, s0
	v_cmp_eq_f32_e32 vcc_lo, 0, v130
	s_and_b32 s0, s0, s1
	v_cndmask_b32_e64 v118, v118, 6, s0
	v_cmp_eq_f32_e64 s0, 0, v131
	s_delay_alu instid0(VALU_DEP_2) | instskip(SKIP_3) | instid1(SALU_CYCLE_1)
	v_cmp_eq_u32_e64 s1, 0, v118
	s_and_b32 s0, vcc_lo, s0
	v_cmp_eq_f32_e32 vcc_lo, 0, v132
	s_and_b32 s0, s0, s1
	v_cndmask_b32_e64 v118, v118, 7, s0
	v_cmp_eq_f32_e64 s0, 0, v133
	s_delay_alu instid0(VALU_DEP_2) | instskip(SKIP_3) | instid1(SALU_CYCLE_1)
	v_cmp_eq_u32_e64 s1, 0, v118
	s_and_b32 s0, vcc_lo, s0
	v_cmp_eq_f32_e32 vcc_lo, 0, v134
	s_and_b32 s0, s0, s1
	v_cndmask_b32_e64 v118, v118, 8, s0
	v_cmp_eq_f32_e64 s0, 0, v135
	s_delay_alu instid0(VALU_DEP_2) | instskip(SKIP_3) | instid1(SALU_CYCLE_1)
	v_cmp_eq_u32_e64 s1, 0, v118
	s_and_b32 s0, vcc_lo, s0
	v_cmp_eq_f32_e32 vcc_lo, 0, v136
	s_and_b32 s0, s0, s1
	v_cndmask_b32_e64 v118, v118, 9, s0
	v_cmp_eq_f32_e64 s0, 0, v137
	s_delay_alu instid0(VALU_DEP_2) | instskip(SKIP_3) | instid1(SALU_CYCLE_1)
	v_cmp_eq_u32_e64 s1, 0, v118
	s_and_b32 s0, vcc_lo, s0
	v_cmp_eq_f32_e32 vcc_lo, 0, v138
	s_and_b32 s0, s0, s1
	v_cndmask_b32_e64 v118, v118, 10, s0
	v_cmp_eq_f32_e64 s0, 0, v139
	s_delay_alu instid0(VALU_DEP_2) | instskip(SKIP_3) | instid1(SALU_CYCLE_1)
	v_cmp_eq_u32_e64 s1, 0, v118
	s_and_b32 s0, vcc_lo, s0
	v_cmp_eq_f32_e32 vcc_lo, 0, v140
	s_and_b32 s0, s0, s1
	v_cndmask_b32_e64 v118, v118, 11, s0
	v_cmp_eq_f32_e64 s0, 0, v141
	s_delay_alu instid0(VALU_DEP_2) | instskip(SKIP_3) | instid1(SALU_CYCLE_1)
	v_cmp_eq_u32_e64 s1, 0, v118
	s_and_b32 s0, vcc_lo, s0
	v_cmp_eq_f32_e32 vcc_lo, 0, v142
	s_and_b32 s0, s0, s1
	v_cndmask_b32_e64 v118, v118, 12, s0
	v_cmp_eq_f32_e64 s0, 0, v143
	s_delay_alu instid0(VALU_DEP_2) | instskip(SKIP_3) | instid1(SALU_CYCLE_1)
	v_cmp_eq_u32_e64 s1, 0, v118
	s_and_b32 s0, vcc_lo, s0
	v_cmp_eq_f32_e32 vcc_lo, 0, v144
	s_and_b32 s0, s0, s1
	v_cndmask_b32_e64 v118, v118, 13, s0
	v_cmp_eq_f32_e64 s0, 0, v145
	s_delay_alu instid0(VALU_DEP_2) | instskip(SKIP_3) | instid1(SALU_CYCLE_1)
	v_cmp_eq_u32_e64 s1, 0, v118
	s_and_b32 s0, vcc_lo, s0
	v_cmp_eq_f32_e32 vcc_lo, 0, v146
	s_and_b32 s0, s0, s1
	v_cndmask_b32_e64 v118, v118, 14, s0
	v_cmp_eq_f32_e64 s0, 0, v147
	s_delay_alu instid0(VALU_DEP_2) | instskip(SKIP_3) | instid1(SALU_CYCLE_1)
	v_cmp_eq_u32_e64 s1, 0, v118
	s_and_b32 s0, vcc_lo, s0
	v_cmp_eq_f32_e32 vcc_lo, 0, v148
	s_and_b32 s0, s0, s1
	v_cndmask_b32_e64 v118, v118, 15, s0
	v_cmp_eq_f32_e64 s0, 0, v149
	s_delay_alu instid0(VALU_DEP_2) | instskip(SKIP_3) | instid1(SALU_CYCLE_1)
	v_cmp_eq_u32_e64 s1, 0, v118
	s_and_b32 s0, vcc_lo, s0
	v_cmp_eq_f32_e32 vcc_lo, 0, v150
	s_and_b32 s0, s0, s1
	v_cndmask_b32_e64 v118, v118, 16, s0
	v_cmp_eq_f32_e64 s0, 0, v151
	s_delay_alu instid0(VALU_DEP_2) | instskip(SKIP_3) | instid1(SALU_CYCLE_1)
	v_cmp_eq_u32_e64 s1, 0, v118
	s_and_b32 s0, vcc_lo, s0
	v_cmp_eq_f32_e32 vcc_lo, 0, v152
	s_and_b32 s0, s0, s1
	v_cndmask_b32_e64 v118, v118, 17, s0
	v_cmp_eq_f32_e64 s0, 0, v153
	s_delay_alu instid0(VALU_DEP_2) | instskip(SKIP_3) | instid1(SALU_CYCLE_1)
	v_cmp_eq_u32_e64 s1, 0, v118
	s_and_b32 s0, vcc_lo, s0
	v_cmp_eq_f32_e32 vcc_lo, 0, v154
	s_and_b32 s0, s0, s1
	v_cndmask_b32_e64 v118, v118, 18, s0
	v_cmp_eq_f32_e64 s0, 0, v155
	s_delay_alu instid0(VALU_DEP_2) | instskip(SKIP_3) | instid1(SALU_CYCLE_1)
	v_cmp_eq_u32_e64 s1, 0, v118
	s_and_b32 s0, vcc_lo, s0
	v_cmp_eq_f32_e32 vcc_lo, 0, v156
	s_and_b32 s0, s0, s1
	v_cndmask_b32_e64 v118, v118, 19, s0
	v_cmp_eq_f32_e64 s0, 0, v157
	s_delay_alu instid0(VALU_DEP_2) | instskip(SKIP_3) | instid1(SALU_CYCLE_1)
	v_cmp_eq_u32_e64 s1, 0, v118
	s_and_b32 s0, vcc_lo, s0
	v_cmp_eq_f32_e32 vcc_lo, 0, v158
	s_and_b32 s0, s0, s1
	v_cndmask_b32_e64 v118, v118, 20, s0
	v_cmp_eq_f32_e64 s0, 0, v159
	s_delay_alu instid0(VALU_DEP_2) | instskip(SKIP_3) | instid1(SALU_CYCLE_1)
	v_cmp_eq_u32_e64 s1, 0, v118
	s_and_b32 s0, vcc_lo, s0
	v_cmp_eq_f32_e32 vcc_lo, 0, v160
	s_and_b32 s0, s0, s1
	v_cndmask_b32_e64 v118, v118, 21, s0
	v_cmp_eq_f32_e64 s0, 0, v161
	s_delay_alu instid0(VALU_DEP_2) | instskip(SKIP_3) | instid1(SALU_CYCLE_1)
	v_cmp_eq_u32_e64 s1, 0, v118
	s_and_b32 s0, vcc_lo, s0
	v_cmp_eq_f32_e32 vcc_lo, 0, v162
	s_and_b32 s0, s0, s1
	v_cndmask_b32_e64 v118, v118, 22, s0
	v_cmp_eq_f32_e64 s0, 0, v163
	s_delay_alu instid0(VALU_DEP_2) | instskip(SKIP_3) | instid1(SALU_CYCLE_1)
	v_cmp_eq_u32_e64 s1, 0, v118
	s_and_b32 s0, vcc_lo, s0
	v_cmp_eq_f32_e32 vcc_lo, 0, v164
	s_and_b32 s0, s0, s1
	v_cndmask_b32_e64 v118, v118, 23, s0
	v_cmp_eq_f32_e64 s0, 0, v165
	s_delay_alu instid0(VALU_DEP_2) | instskip(SKIP_3) | instid1(SALU_CYCLE_1)
	v_cmp_eq_u32_e64 s1, 0, v118
	s_and_b32 s0, vcc_lo, s0
	v_cmp_eq_f32_e32 vcc_lo, 0, v166
	s_and_b32 s0, s0, s1
	v_cndmask_b32_e64 v118, v118, 24, s0
	v_cmp_eq_f32_e64 s0, 0, v167
	s_delay_alu instid0(VALU_DEP_2) | instskip(SKIP_3) | instid1(SALU_CYCLE_1)
	v_cmp_eq_u32_e64 s1, 0, v118
	s_and_b32 s0, vcc_lo, s0
	v_cmp_eq_f32_e32 vcc_lo, 0, v168
	s_and_b32 s0, s0, s1
	v_cndmask_b32_e64 v118, v118, 25, s0
	v_cmp_eq_f32_e64 s0, 0, v169
	s_delay_alu instid0(VALU_DEP_2) | instskip(SKIP_3) | instid1(SALU_CYCLE_1)
	v_cmp_eq_u32_e64 s1, 0, v118
	s_and_b32 s0, vcc_lo, s0
	v_cmp_eq_f32_e32 vcc_lo, 0, v170
	s_and_b32 s0, s0, s1
	v_cndmask_b32_e64 v118, v118, 26, s0
	v_cmp_eq_f32_e64 s0, 0, v171
	s_delay_alu instid0(VALU_DEP_2) | instskip(SKIP_3) | instid1(SALU_CYCLE_1)
	v_cmp_eq_u32_e64 s1, 0, v118
	s_and_b32 s0, vcc_lo, s0
	v_cmp_eq_f32_e32 vcc_lo, 0, v172
	s_and_b32 s0, s0, s1
	v_cndmask_b32_e64 v118, v118, 27, s0
	v_cmp_eq_f32_e64 s0, 0, v173
	s_delay_alu instid0(VALU_DEP_2) | instskip(SKIP_3) | instid1(SALU_CYCLE_1)
	v_cmp_eq_u32_e64 s1, 0, v118
	s_and_b32 s0, vcc_lo, s0
	v_cmp_eq_f32_e32 vcc_lo, 0, v174
	s_and_b32 s0, s0, s1
	v_cndmask_b32_e64 v118, v118, 28, s0
	v_cmp_eq_f32_e64 s0, 0, v175
	s_delay_alu instid0(VALU_DEP_2) | instskip(SKIP_4) | instid1(SALU_CYCLE_1)
	v_cmp_eq_u32_e64 s1, 0, v118
	s_and_b32 s0, vcc_lo, s0
	s_wait_loadcnt 0x0
	v_cmp_eq_u32_e32 vcc_lo, 0, v177
	s_and_b32 s0, s0, s1
	v_cndmask_b32_e64 v118, v118, 29, s0
	s_delay_alu instid0(VALU_DEP_1) | instskip(SKIP_1) | instid1(SALU_CYCLE_1)
	v_cmp_ne_u32_e64 s0, 0, v118
	s_and_b32 s0, vcc_lo, s0
	s_and_b32 exec_lo, exec_lo, s0
	s_cbranch_execz .LBB57_263
; %bb.262:
	v_add_nc_u32_e32 v118, s3, v118
	global_store_b32 v[2:3], v118, off
.LBB57_263:
	s_wait_xcnt 0x0
	s_or_b32 exec_lo, exec_lo, s4
	v_pk_mul_f32 v[2:3], v[174:175], v[116:117] op_sel:[1,1] op_sel_hi:[0,1]
	s_clause 0x1
	global_store_b64 v[18:19], v[56:57], off
	global_store_b64 v[34:35], v[58:59], off
	v_cmp_lt_u32_e32 vcc_lo, 28, v176
	s_clause 0x2
	global_store_b64 v[6:7], v[48:49], off
	global_store_b64 v[12:13], v[46:47], off
	;; [unrolled: 1-line block ×3, first 2 shown]
	s_wait_xcnt 0x4
	v_pk_fma_f32 v[18:19], v[174:175], v[116:117], v[2:3] op_sel_hi:[1,0,1]
	v_pk_fma_f32 v[2:3], v[174:175], v[116:117], v[2:3] neg_lo:[0,0,1] neg_hi:[0,0,1]
	s_delay_alu instid0(VALU_DEP_1)
	v_dual_cndmask_b32 v3, v117, v19 :: v_dual_cndmask_b32 v2, v116, v2
	s_clause 0x17
	global_store_b64 v[0:1], v[24:25], off
	global_store_b64 v[4:5], v[26:27], off
	;; [unrolled: 1-line block ×24, first 2 shown]
.LBB57_264:
	s_sendmsg sendmsg(MSG_DEALLOC_VGPRS)
	s_endpgm
	.section	.rodata,"a",@progbits
	.p2align	6, 0x0
	.amdhsa_kernel _ZN9rocsolver6v33100L23getf2_npvt_small_kernelILi29E19rocblas_complex_numIfEiiPS3_EEvT1_T3_lS5_lPT2_S5_S5_
		.amdhsa_group_segment_fixed_size 0
		.amdhsa_private_segment_fixed_size 0
		.amdhsa_kernarg_size 312
		.amdhsa_user_sgpr_count 2
		.amdhsa_user_sgpr_dispatch_ptr 0
		.amdhsa_user_sgpr_queue_ptr 0
		.amdhsa_user_sgpr_kernarg_segment_ptr 1
		.amdhsa_user_sgpr_dispatch_id 0
		.amdhsa_user_sgpr_kernarg_preload_length 0
		.amdhsa_user_sgpr_kernarg_preload_offset 0
		.amdhsa_user_sgpr_private_segment_size 0
		.amdhsa_wavefront_size32 1
		.amdhsa_uses_dynamic_stack 0
		.amdhsa_enable_private_segment 0
		.amdhsa_system_sgpr_workgroup_id_x 1
		.amdhsa_system_sgpr_workgroup_id_y 1
		.amdhsa_system_sgpr_workgroup_id_z 0
		.amdhsa_system_sgpr_workgroup_info 0
		.amdhsa_system_vgpr_workitem_id 1
		.amdhsa_next_free_vgpr 194
		.amdhsa_next_free_sgpr 15
		.amdhsa_named_barrier_count 0
		.amdhsa_reserve_vcc 1
		.amdhsa_float_round_mode_32 0
		.amdhsa_float_round_mode_16_64 0
		.amdhsa_float_denorm_mode_32 3
		.amdhsa_float_denorm_mode_16_64 3
		.amdhsa_fp16_overflow 0
		.amdhsa_memory_ordered 1
		.amdhsa_forward_progress 1
		.amdhsa_inst_pref_size 255
		.amdhsa_round_robin_scheduling 0
		.amdhsa_exception_fp_ieee_invalid_op 0
		.amdhsa_exception_fp_denorm_src 0
		.amdhsa_exception_fp_ieee_div_zero 0
		.amdhsa_exception_fp_ieee_overflow 0
		.amdhsa_exception_fp_ieee_underflow 0
		.amdhsa_exception_fp_ieee_inexact 0
		.amdhsa_exception_int_div_zero 0
	.end_amdhsa_kernel
	.section	.text._ZN9rocsolver6v33100L23getf2_npvt_small_kernelILi29E19rocblas_complex_numIfEiiPS3_EEvT1_T3_lS5_lPT2_S5_S5_,"axG",@progbits,_ZN9rocsolver6v33100L23getf2_npvt_small_kernelILi29E19rocblas_complex_numIfEiiPS3_EEvT1_T3_lS5_lPT2_S5_S5_,comdat
.Lfunc_end57:
	.size	_ZN9rocsolver6v33100L23getf2_npvt_small_kernelILi29E19rocblas_complex_numIfEiiPS3_EEvT1_T3_lS5_lPT2_S5_S5_, .Lfunc_end57-_ZN9rocsolver6v33100L23getf2_npvt_small_kernelILi29E19rocblas_complex_numIfEiiPS3_EEvT1_T3_lS5_lPT2_S5_S5_
                                        ; -- End function
	.set _ZN9rocsolver6v33100L23getf2_npvt_small_kernelILi29E19rocblas_complex_numIfEiiPS3_EEvT1_T3_lS5_lPT2_S5_S5_.num_vgpr, 194
	.set _ZN9rocsolver6v33100L23getf2_npvt_small_kernelILi29E19rocblas_complex_numIfEiiPS3_EEvT1_T3_lS5_lPT2_S5_S5_.num_agpr, 0
	.set _ZN9rocsolver6v33100L23getf2_npvt_small_kernelILi29E19rocblas_complex_numIfEiiPS3_EEvT1_T3_lS5_lPT2_S5_S5_.numbered_sgpr, 15
	.set _ZN9rocsolver6v33100L23getf2_npvt_small_kernelILi29E19rocblas_complex_numIfEiiPS3_EEvT1_T3_lS5_lPT2_S5_S5_.num_named_barrier, 0
	.set _ZN9rocsolver6v33100L23getf2_npvt_small_kernelILi29E19rocblas_complex_numIfEiiPS3_EEvT1_T3_lS5_lPT2_S5_S5_.private_seg_size, 0
	.set _ZN9rocsolver6v33100L23getf2_npvt_small_kernelILi29E19rocblas_complex_numIfEiiPS3_EEvT1_T3_lS5_lPT2_S5_S5_.uses_vcc, 1
	.set _ZN9rocsolver6v33100L23getf2_npvt_small_kernelILi29E19rocblas_complex_numIfEiiPS3_EEvT1_T3_lS5_lPT2_S5_S5_.uses_flat_scratch, 0
	.set _ZN9rocsolver6v33100L23getf2_npvt_small_kernelILi29E19rocblas_complex_numIfEiiPS3_EEvT1_T3_lS5_lPT2_S5_S5_.has_dyn_sized_stack, 0
	.set _ZN9rocsolver6v33100L23getf2_npvt_small_kernelILi29E19rocblas_complex_numIfEiiPS3_EEvT1_T3_lS5_lPT2_S5_S5_.has_recursion, 0
	.set _ZN9rocsolver6v33100L23getf2_npvt_small_kernelILi29E19rocblas_complex_numIfEiiPS3_EEvT1_T3_lS5_lPT2_S5_S5_.has_indirect_call, 0
	.section	.AMDGPU.csdata,"",@progbits
; Kernel info:
; codeLenInByte = 43920
; TotalNumSgprs: 17
; NumVgprs: 194
; ScratchSize: 0
; MemoryBound: 0
; FloatMode: 240
; IeeeMode: 1
; LDSByteSize: 0 bytes/workgroup (compile time only)
; SGPRBlocks: 0
; VGPRBlocks: 12
; NumSGPRsForWavesPerEU: 17
; NumVGPRsForWavesPerEU: 194
; NamedBarCnt: 0
; Occupancy: 4
; WaveLimiterHint : 0
; COMPUTE_PGM_RSRC2:SCRATCH_EN: 0
; COMPUTE_PGM_RSRC2:USER_SGPR: 2
; COMPUTE_PGM_RSRC2:TRAP_HANDLER: 0
; COMPUTE_PGM_RSRC2:TGID_X_EN: 1
; COMPUTE_PGM_RSRC2:TGID_Y_EN: 1
; COMPUTE_PGM_RSRC2:TGID_Z_EN: 0
; COMPUTE_PGM_RSRC2:TIDIG_COMP_CNT: 1
	.section	.text._ZN9rocsolver6v33100L18getf2_small_kernelILi30E19rocblas_complex_numIfEiiPS3_EEvT1_T3_lS5_lPS5_llPT2_S5_S5_S7_l,"axG",@progbits,_ZN9rocsolver6v33100L18getf2_small_kernelILi30E19rocblas_complex_numIfEiiPS3_EEvT1_T3_lS5_lPS5_llPT2_S5_S5_S7_l,comdat
	.globl	_ZN9rocsolver6v33100L18getf2_small_kernelILi30E19rocblas_complex_numIfEiiPS3_EEvT1_T3_lS5_lPS5_llPT2_S5_S5_S7_l ; -- Begin function _ZN9rocsolver6v33100L18getf2_small_kernelILi30E19rocblas_complex_numIfEiiPS3_EEvT1_T3_lS5_lPS5_llPT2_S5_S5_S7_l
	.p2align	8
	.type	_ZN9rocsolver6v33100L18getf2_small_kernelILi30E19rocblas_complex_numIfEiiPS3_EEvT1_T3_lS5_lPS5_llPT2_S5_S5_S7_l,@function
_ZN9rocsolver6v33100L18getf2_small_kernelILi30E19rocblas_complex_numIfEiiPS3_EEvT1_T3_lS5_lPS5_llPT2_S5_S5_S7_l: ; @_ZN9rocsolver6v33100L18getf2_small_kernelILi30E19rocblas_complex_numIfEiiPS3_EEvT1_T3_lS5_lPS5_llPT2_S5_S5_S7_l
; %bb.0:
	s_clause 0x1
	s_load_u16 s2, s[0:1], 0x6e
	s_load_b64 s[16:17], s[0:1], 0x48
	s_bfe_u32 s3, ttmp6, 0x40010
	s_bfe_u32 s4, ttmp6, 0x40004
	s_add_co_i32 s3, s3, 1
	s_getreg_b32 s5, hwreg(HW_REG_IB_STS2, 6, 4)
	s_mul_i32 s3, ttmp7, s3
	v_bfe_u32 v68, v0, 10, 10
	s_add_co_i32 s4, s4, s3
	s_cmp_eq_u32 s5, 0
	s_cselect_b32 s3, ttmp7, s4
	s_wait_kmcnt 0x0
	v_mad_u32 v2, s3, s2, v68
	s_mov_b32 s2, exec_lo
	s_delay_alu instid0(VALU_DEP_1)
	v_cmpx_gt_i32_e64 s16, v2
	s_cbranch_execz .LBB58_631
; %bb.1:
	s_load_b128 s[4:7], s[0:1], 0x50
	v_mov_b64_e32 v[4:5], 0
	v_ashrrev_i32_e32 v3, 31, v2
	s_wait_kmcnt 0x0
	s_cmp_eq_u64 s[4:5], 0
	s_cselect_b32 s16, -1, 0
	s_delay_alu instid0(SALU_CYCLE_1)
	s_and_b32 vcc_lo, exec_lo, s16
	s_cbranch_vccnz .LBB58_3
; %bb.2:
	v_mul_u64_e32 v[4:5], s[6:7], v[2:3]
	s_delay_alu instid0(VALU_DEP_1)
	v_lshl_add_u64 v[4:5], v[4:5], 2, s[4:5]
.LBB58_3:
	s_clause 0x2
	s_load_b32 s2, s[0:1], 0x18
	s_load_b128 s[12:15], s[0:1], 0x8
	s_load_b32 s18, s[0:1], 0x0
	v_and_b32_e32 v73, 0x3ff, v0
	s_load_b256 s[4:11], s[0:1], 0x20
	s_delay_alu instid0(VALU_DEP_1) | instskip(SKIP_4) | instid1(VALU_DEP_2)
	v_dual_mov_b32 v67, 0 :: v_dual_lshlrev_b32 v66, 3, v73
	s_wait_kmcnt 0x0
	v_add3_u32 v6, s2, s2, v73
	s_ashr_i32 s3, s2, 31
	v_mul_u64_e32 v[0:1], s[4:5], v[2:3]
	v_add_nc_u32_e32 v8, s2, v6
	s_max_i32 s4, s18, 30
	s_cmp_lt_i32 s18, 2
	s_delay_alu instid0(VALU_DEP_1) | instskip(NEXT) | instid1(VALU_DEP_1)
	v_dual_ashrrev_i32 v7, 31, v6 :: v_dual_add_nc_u32 v10, s2, v8
	v_add_nc_u32_e32 v12, s2, v10
	s_delay_alu instid0(VALU_DEP_1) | instskip(NEXT) | instid1(VALU_DEP_1)
	v_add_nc_u32_e32 v14, s2, v12
	v_dual_ashrrev_i32 v9, 31, v8 :: v_dual_add_nc_u32 v16, s2, v14
	s_delay_alu instid0(VALU_DEP_1) | instskip(SKIP_1) | instid1(VALU_DEP_2)
	v_dual_add_nc_u32 v18, s2, v16 :: v_dual_ashrrev_i32 v11, 31, v10
	v_ashrrev_i32_e32 v13, 31, v12
	v_dual_ashrrev_i32 v17, 31, v16 :: v_dual_add_nc_u32 v20, s2, v18
	v_lshl_add_u64 v[0:1], v[0:1], 3, s[12:13]
	s_delay_alu instid0(VALU_DEP_2) | instskip(SKIP_1) | instid1(VALU_DEP_3)
	v_dual_ashrrev_i32 v19, 31, v18 :: v_dual_ashrrev_i32 v21, 31, v20
	v_add_nc_u32_e32 v22, s2, v20
	v_lshl_add_u64 v[0:1], s[14:15], 3, v[0:1]
	s_delay_alu instid0(VALU_DEP_2) | instskip(NEXT) | instid1(VALU_DEP_2)
	v_add_nc_u32_e32 v24, s2, v22
	v_lshl_add_u64 v[40:41], v[10:11], 3, v[0:1]
	v_add_nc_u64_e32 v[32:33], v[0:1], v[66:67]
	v_lshl_add_u64 v[12:13], v[12:13], 3, v[0:1]
	v_lshl_add_u64 v[34:35], v[6:7], 3, v[0:1]
	v_add_nc_u32_e32 v26, s2, v24
	v_lshl_add_u64 v[38:39], v[8:9], 3, v[0:1]
	v_lshl_add_u64 v[18:19], v[18:19], 3, v[0:1]
	;; [unrolled: 1-line block ×4, first 2 shown]
	v_add_nc_u32_e32 v28, s2, v26
	v_dual_ashrrev_i32 v15, 31, v14 :: v_dual_ashrrev_i32 v25, 31, v24
	v_ashrrev_i32_e32 v23, 31, v22
	s_delay_alu instid0(VALU_DEP_3) | instskip(NEXT) | instid1(VALU_DEP_3)
	v_dual_ashrrev_i32 v27, 31, v26 :: v_dual_add_nc_u32 v30, s2, v28
	v_lshl_add_u64 v[14:15], v[14:15], 3, v[0:1]
	s_clause 0x3
	global_load_b64 v[46:47], v[40:41], off
	global_load_b64 v[8:9], v[12:13], off
	;; [unrolled: 1-line block ×4, first 2 shown]
	v_add_nc_u32_e32 v36, s2, v30
	s_wait_xcnt 0x2
	v_lshl_add_u64 v[12:13], s[2:3], 3, v[32:33]
	s_clause 0x3
	global_load_b64 v[58:59], v[34:35], off
	global_load_b64 v[56:57], v[38:39], off
	;; [unrolled: 1-line block ×4, first 2 shown]
	v_lshl_add_u64 v[22:23], v[22:23], 3, v[0:1]
	v_add_nc_u32_e32 v42, s2, v36
	v_lshl_add_u64 v[24:25], v[24:25], 3, v[0:1]
	s_clause 0x3
	global_load_b64 v[48:49], v[18:19], off
	global_load_b64 v[14:15], v[20:21], off
	;; [unrolled: 1-line block ×4, first 2 shown]
	v_dual_ashrrev_i32 v29, 31, v28 :: v_dual_ashrrev_i32 v43, 31, v42
	v_dual_add_nc_u32 v44, s2, v42 :: v_dual_ashrrev_i32 v37, 31, v36
	v_lshl_add_u64 v[26:27], v[26:27], 3, v[0:1]
	s_delay_alu instid0(VALU_DEP_3) | instskip(NEXT) | instid1(VALU_DEP_3)
	v_lshl_add_u64 v[28:29], v[28:29], 3, v[0:1]
	v_dual_ashrrev_i32 v31, 31, v30 :: v_dual_add_nc_u32 v40, s2, v44
	s_delay_alu instid0(VALU_DEP_4) | instskip(NEXT) | instid1(VALU_DEP_2)
	v_lshl_add_u64 v[34:35], v[36:37], 3, v[0:1]
	v_lshl_add_u64 v[30:31], v[30:31], 3, v[0:1]
	s_delay_alu instid0(VALU_DEP_3)
	v_add_nc_u32_e32 v32, s2, v40
	v_ashrrev_i32_e32 v45, 31, v44
	s_clause 0x3
	global_load_b64 v[50:51], v[26:27], off
	global_load_b64 v[20:21], v[28:29], off
	;; [unrolled: 1-line block ×4, first 2 shown]
	s_wait_xcnt 0x2
	v_lshl_add_u64 v[28:29], v[42:43], 3, v[0:1]
	v_add_nc_u32_e32 v24, s2, v32
	s_wait_xcnt 0x1
	v_lshl_add_u64 v[30:31], v[44:45], 3, v[0:1]
	v_ashrrev_i32_e32 v33, 31, v32
	s_delay_alu instid0(VALU_DEP_3) | instskip(NEXT) | instid1(VALU_DEP_2)
	v_dual_add_nc_u32 v52, s2, v24 :: v_dual_ashrrev_i32 v25, 31, v24
	v_lshl_add_u64 v[32:33], v[32:33], 3, v[0:1]
	s_delay_alu instid0(VALU_DEP_2) | instskip(NEXT) | instid1(VALU_DEP_3)
	v_add_nc_u32_e32 v64, s2, v52
	v_lshl_add_u64 v[24:25], v[24:25], 3, v[0:1]
	s_delay_alu instid0(VALU_DEP_2) | instskip(NEXT) | instid1(VALU_DEP_1)
	v_add_nc_u32_e32 v26, s2, v64
	v_dual_add_nc_u32 v42, s2, v26 :: v_dual_ashrrev_i32 v53, 31, v52
	s_delay_alu instid0(VALU_DEP_1) | instskip(SKIP_2) | instid1(VALU_DEP_4)
	v_dual_ashrrev_i32 v43, 31, v42 :: v_dual_add_nc_u32 v44, s2, v42
	v_ashrrev_i32_e32 v65, 31, v64
	v_dual_ashrrev_i32 v41, 31, v40 :: v_dual_ashrrev_i32 v27, 31, v26
	v_lshl_add_u64 v[70:71], v[52:53], 3, v[0:1]
	s_delay_alu instid0(VALU_DEP_4) | instskip(NEXT) | instid1(VALU_DEP_4)
	v_ashrrev_i32_e32 v45, 31, v44
	v_lshl_add_u64 v[64:65], v[64:65], 3, v[0:1]
	s_delay_alu instid0(VALU_DEP_4)
	v_lshl_add_u64 v[40:41], v[40:41], 3, v[0:1]
	s_clause 0x3
	global_load_b64 v[54:55], v[28:29], off
	global_load_b64 v[36:37], v[30:31], off
	;; [unrolled: 1-line block ×4, first 2 shown]
	s_wait_xcnt 0x0
	v_add_nc_u32_e32 v32, s2, v44
	v_lshl_add_u64 v[74:75], v[26:27], 3, v[0:1]
	s_clause 0x3
	global_load_b64 v[52:53], v[24:25], off
	global_load_b64 v[28:29], v[70:71], off
	global_load_b64 v[30:31], v[64:65], off
	global_load_b64 v[26:27], v[74:75], off
	s_wait_xcnt 0x2
	v_lshl_add_u64 v[70:71], v[42:43], 3, v[0:1]
	v_dual_add_nc_u32 v40, s2, v32 :: v_dual_ashrrev_i32 v33, 31, v32
	s_wait_xcnt 0x0
	v_lshl_add_u64 v[74:75], v[44:45], 3, v[0:1]
	s_delay_alu instid0(VALU_DEP_2) | instskip(NEXT) | instid1(VALU_DEP_3)
	v_dual_add_nc_u32 v76, s2, v40 :: v_dual_ashrrev_i32 v41, 31, v40
	v_lshl_add_u64 v[78:79], v[32:33], 3, v[0:1]
	s_delay_alu instid0(VALU_DEP_2) | instskip(NEXT) | instid1(VALU_DEP_3)
	v_dual_add_nc_u32 v24, s2, v76 :: v_dual_ashrrev_i32 v77, 31, v76
	v_lshl_add_u64 v[80:81], v[40:41], 3, v[0:1]
	s_delay_alu instid0(VALU_DEP_2) | instskip(NEXT) | instid1(VALU_DEP_3)
	v_ashrrev_i32_e32 v25, 31, v24
	v_lshl_add_u64 v[76:77], v[76:77], 3, v[0:1]
	s_delay_alu instid0(VALU_DEP_2)
	v_lshl_add_u64 v[82:83], v[24:25], 3, v[0:1]
	s_clause 0x5
	global_load_b64 v[44:45], v[70:71], off
	global_load_b64 v[24:25], v[74:75], off
	;; [unrolled: 1-line block ×6, first 2 shown]
	s_wait_xcnt 0x5
	v_mul_lo_u32 v71, s4, v68
	s_load_b64 s[4:5], s[0:1], 0x40
	s_delay_alu instid0(VALU_DEP_1) | instskip(NEXT) | instid1(VALU_DEP_1)
	v_lshl_add_u32 v70, v71, 3, 0
	v_dual_lshlrev_b32 v71, 3, v71 :: v_dual_add_nc_u32 v66, v70, v66
	s_wait_loadcnt 0x17
	ds_store_b64 v66, v[62:63]
	s_wait_loadcnt_dscnt 0x0
	s_barrier_signal -1
	s_barrier_wait -1
	ds_load_b64 v[68:69], v70
	s_cbranch_scc1 .LBB58_6
; %bb.4:
	v_add3_u32 v66, v71, 0, 8
	v_mov_b32_e32 v67, 0
	s_wait_xcnt 0x0
	s_mov_b32 s1, 1
.LBB58_5:                               ; =>This Inner Loop Header: Depth=1
	ds_load_b64 v[74:75], v66
	s_wait_dscnt 0x1
	v_cmp_gt_f32_e32 vcc_lo, 0, v68
	v_cmp_gt_f32_e64 s0, 0, v69
	s_delay_alu instid0(VALU_DEP_1) | instskip(SKIP_3) | instid1(VALU_DEP_1)
	v_dual_cndmask_b32 v76, v68, -v68, vcc_lo :: v_dual_cndmask_b32 v78, v69, -v69, s0
	s_wait_dscnt 0x0
	v_cmp_gt_f32_e32 vcc_lo, 0, v74
	v_cmp_gt_f32_e64 s0, 0, v75
	v_dual_cndmask_b32 v77, v74, -v74, vcc_lo :: v_dual_cndmask_b32 v79, v75, -v75, s0
	s_delay_alu instid0(VALU_DEP_1) | instskip(NEXT) | instid1(VALU_DEP_1)
	v_pk_add_f32 v[76:77], v[76:77], v[78:79]
	v_cmp_lt_f32_e32 vcc_lo, v76, v77
	v_dual_cndmask_b32 v69, v69, v75 :: v_dual_add_nc_u32 v66, 8, v66
	v_cndmask_b32_e32 v68, v68, v74, vcc_lo
	v_cndmask_b32_e64 v67, v67, s1, vcc_lo
	s_add_co_i32 s1, s1, 1
	s_delay_alu instid0(SALU_CYCLE_1)
	s_cmp_eq_u32 s18, s1
	s_cbranch_scc0 .LBB58_5
.LBB58_6:
	s_wait_dscnt 0x0
	v_cmp_neq_f32_e32 vcc_lo, 0, v68
	s_wait_xcnt 0x0
	v_cmp_neq_f32_e64 s0, 0, v69
	v_dual_mov_b32 v72, 1 :: v_dual_mov_b32 v75, 1
	s_or_b32 s1, vcc_lo, s0
	s_delay_alu instid0(SALU_CYCLE_1)
	s_and_saveexec_b32 s0, s1
	s_cbranch_execz .LBB58_12
; %bb.7:
	v_cmp_ngt_f32_e64 s1, |v68|, |v69|
	s_and_saveexec_b32 s12, s1
	s_delay_alu instid0(SALU_CYCLE_1)
	s_xor_b32 s1, exec_lo, s12
	s_cbranch_execz .LBB58_9
; %bb.8:
	v_div_scale_f32 v66, null, v69, v69, v68
	v_div_scale_f32 v75, vcc_lo, v68, v69, v68
	s_delay_alu instid0(VALU_DEP_2) | instskip(SKIP_1) | instid1(TRANS32_DEP_1)
	v_rcp_f32_e32 v72, v66
	v_nop
	v_fma_f32 v74, -v66, v72, 1.0
	s_delay_alu instid0(VALU_DEP_1) | instskip(NEXT) | instid1(VALU_DEP_1)
	v_fmac_f32_e32 v72, v74, v72
	v_mul_f32_e32 v74, v75, v72
	s_delay_alu instid0(VALU_DEP_1) | instskip(NEXT) | instid1(VALU_DEP_1)
	v_fma_f32 v76, -v66, v74, v75
	v_fmac_f32_e32 v74, v76, v72
	s_delay_alu instid0(VALU_DEP_1) | instskip(NEXT) | instid1(VALU_DEP_1)
	v_fma_f32 v66, -v66, v74, v75
	v_div_fmas_f32 v66, v66, v72, v74
	s_delay_alu instid0(VALU_DEP_1) | instskip(NEXT) | instid1(VALU_DEP_1)
	v_div_fixup_f32 v66, v66, v69, v68
	v_fmac_f32_e32 v69, v68, v66
	s_delay_alu instid0(VALU_DEP_1) | instskip(SKIP_1) | instid1(VALU_DEP_2)
	v_div_scale_f32 v68, null, v69, v69, 1.0
	v_div_scale_f32 v75, vcc_lo, 1.0, v69, 1.0
	v_rcp_f32_e32 v72, v68
	v_nop
	s_delay_alu instid0(TRANS32_DEP_1) | instskip(NEXT) | instid1(VALU_DEP_1)
	v_fma_f32 v74, -v68, v72, 1.0
	v_fmac_f32_e32 v72, v74, v72
	s_delay_alu instid0(VALU_DEP_1) | instskip(NEXT) | instid1(VALU_DEP_1)
	v_mul_f32_e32 v74, v75, v72
	v_fma_f32 v76, -v68, v74, v75
	s_delay_alu instid0(VALU_DEP_1) | instskip(NEXT) | instid1(VALU_DEP_1)
	v_fmac_f32_e32 v74, v76, v72
	v_fma_f32 v68, -v68, v74, v75
	s_delay_alu instid0(VALU_DEP_1) | instskip(NEXT) | instid1(VALU_DEP_1)
	v_div_fmas_f32 v68, v68, v72, v74
	v_div_fixup_f32 v69, v68, v69, 1.0
	s_delay_alu instid0(VALU_DEP_1)
	v_mul_f32_e32 v68, v66, v69
	v_xor_b32_e32 v69, 0x80000000, v69
.LBB58_9:
	s_and_not1_saveexec_b32 s1, s1
	s_cbranch_execz .LBB58_11
; %bb.10:
	s_delay_alu instid0(VALU_DEP_1) | instskip(SKIP_1) | instid1(VALU_DEP_2)
	v_div_scale_f32 v66, null, v68, v68, v69
	v_div_scale_f32 v75, vcc_lo, v69, v68, v69
	v_rcp_f32_e32 v72, v66
	v_nop
	s_delay_alu instid0(TRANS32_DEP_1) | instskip(NEXT) | instid1(VALU_DEP_1)
	v_fma_f32 v74, -v66, v72, 1.0
	v_fmac_f32_e32 v72, v74, v72
	s_delay_alu instid0(VALU_DEP_1) | instskip(NEXT) | instid1(VALU_DEP_1)
	v_mul_f32_e32 v74, v75, v72
	v_fma_f32 v76, -v66, v74, v75
	s_delay_alu instid0(VALU_DEP_1) | instskip(NEXT) | instid1(VALU_DEP_1)
	v_fmac_f32_e32 v74, v76, v72
	v_fma_f32 v66, -v66, v74, v75
	s_delay_alu instid0(VALU_DEP_1) | instskip(NEXT) | instid1(VALU_DEP_1)
	v_div_fmas_f32 v66, v66, v72, v74
	v_div_fixup_f32 v66, v66, v68, v69
	s_delay_alu instid0(VALU_DEP_1) | instskip(NEXT) | instid1(VALU_DEP_1)
	v_fmac_f32_e32 v68, v69, v66
	v_div_scale_f32 v69, null, v68, v68, 1.0
	s_delay_alu instid0(VALU_DEP_1) | instskip(SKIP_1) | instid1(TRANS32_DEP_1)
	v_rcp_f32_e32 v72, v69
	v_nop
	v_fma_f32 v74, -v69, v72, 1.0
	s_delay_alu instid0(VALU_DEP_1) | instskip(SKIP_1) | instid1(VALU_DEP_1)
	v_fmac_f32_e32 v72, v74, v72
	v_div_scale_f32 v74, vcc_lo, 1.0, v68, 1.0
	v_mul_f32_e32 v75, v74, v72
	s_delay_alu instid0(VALU_DEP_1) | instskip(NEXT) | instid1(VALU_DEP_1)
	v_fma_f32 v76, -v69, v75, v74
	v_fmac_f32_e32 v75, v76, v72
	s_delay_alu instid0(VALU_DEP_1) | instskip(NEXT) | instid1(VALU_DEP_1)
	v_fma_f32 v69, -v69, v75, v74
	v_div_fmas_f32 v69, v69, v72, v75
	s_delay_alu instid0(VALU_DEP_1) | instskip(NEXT) | instid1(VALU_DEP_1)
	v_div_fixup_f32 v68, v69, v68, 1.0
	v_mul_f32_e64 v69, v66, -v68
.LBB58_11:
	s_or_b32 exec_lo, exec_lo, s1
	v_dual_mov_b32 v75, 0 :: v_dual_mov_b32 v72, 2
.LBB58_12:
	s_or_b32 exec_lo, exec_lo, s0
	s_delay_alu instid0(SALU_CYCLE_1)
	s_mov_b32 s0, exec_lo
	v_cmpx_ne_u32_e64 v73, v67
	s_xor_b32 s0, exec_lo, s0
	s_cbranch_execz .LBB58_18
; %bb.13:
	s_mov_b32 s1, exec_lo
	v_cmpx_eq_u32_e32 0, v73
	s_cbranch_execz .LBB58_17
; %bb.14:
	v_cmp_ne_u32_e32 vcc_lo, 0, v67
	s_xor_b32 s12, s16, -1
	s_delay_alu instid0(SALU_CYCLE_1) | instskip(NEXT) | instid1(SALU_CYCLE_1)
	s_and_b32 s13, s12, vcc_lo
	s_and_saveexec_b32 s12, s13
	s_cbranch_execz .LBB58_16
; %bb.15:
	v_dual_mov_b32 v76, v67 :: v_dual_ashrrev_i32 v77, 31, v67
	s_delay_alu instid0(VALU_DEP_1)
	v_lshl_add_u64 v[76:77], v[76:77], 2, v[4:5]
	s_clause 0x1
	global_load_b32 v66, v[76:77], off
	global_load_b32 v73, v[4:5], off
	s_wait_loadcnt 0x1
	global_store_b32 v[4:5], v66, off
	s_wait_loadcnt 0x0
	global_store_b32 v[76:77], v73, off
.LBB58_16:
	s_wait_xcnt 0x0
	s_or_b32 exec_lo, exec_lo, s12
	v_mov_b32_e32 v73, v67
.LBB58_17:
	s_or_b32 exec_lo, exec_lo, s1
.LBB58_18:
	s_or_saveexec_b32 s0, s0
	s_delay_alu instid0(VALU_DEP_1)
	v_mov_b32_e32 v74, v73
	s_xor_b32 exec_lo, exec_lo, s0
	s_cbranch_execz .LBB58_20
; %bb.19:
	v_mov_b32_e32 v74, 0
	ds_store_2addr_b64 v70, v[60:61], v[58:59] offset0:1 offset1:2
	ds_store_2addr_b64 v70, v[56:57], v[46:47] offset0:3 offset1:4
	;; [unrolled: 1-line block ×14, first 2 shown]
	ds_store_b64 v70, v[64:65] offset:232
.LBB58_20:
	s_or_b32 exec_lo, exec_lo, s0
	s_delay_alu instid0(SALU_CYCLE_1)
	s_mov_b32 s0, exec_lo
	s_wait_storecnt_dscnt 0x0
	s_barrier_signal -1
	s_barrier_wait -1
	v_cmpx_lt_i32_e32 0, v74
	s_cbranch_execz .LBB58_22
; %bb.21:
	v_pk_mul_f32 v[76:77], v[68:69], v[62:63] op_sel:[1,1] op_sel_hi:[0,1]
	s_delay_alu instid0(VALU_DEP_1)
	v_pk_fma_f32 v[66:67], v[68:69], v[62:63], v[76:77] op_sel_hi:[1,0,1] neg_lo:[0,0,1] neg_hi:[0,0,1]
	v_pk_fma_f32 v[68:69], v[68:69], v[62:63], v[76:77] op_sel_hi:[1,0,1]
	ds_load_2addr_b64 v[76:79], v70 offset0:1 offset1:2
	v_dual_mov_b32 v62, v66 :: v_dual_mov_b32 v63, v69
	s_wait_dscnt 0x0
	v_pk_mul_f32 v[80:81], v[76:77], v[68:69] op_sel:[0,1]
	s_delay_alu instid0(VALU_DEP_1) | instskip(SKIP_1) | instid1(VALU_DEP_1)
	v_pk_fma_f32 v[82:83], v[76:77], v[66:67], v[80:81] op_sel:[0,0,1] op_sel_hi:[1,1,0] neg_lo:[0,0,1] neg_hi:[0,0,1]
	v_pk_fma_f32 v[76:77], v[76:77], v[66:67], v[80:81] op_sel:[0,0,1] op_sel_hi:[1,0,0]
	v_mov_b32_e32 v83, v77
	v_pk_mul_f32 v[76:77], v[78:79], v[68:69] op_sel:[0,1]
	s_delay_alu instid0(VALU_DEP_1) | instskip(SKIP_1) | instid1(VALU_DEP_1)
	v_pk_fma_f32 v[80:81], v[78:79], v[66:67], v[76:77] op_sel:[0,0,1] op_sel_hi:[1,1,0] neg_lo:[0,0,1] neg_hi:[0,0,1]
	v_pk_fma_f32 v[76:77], v[78:79], v[66:67], v[76:77] op_sel:[0,0,1] op_sel_hi:[1,0,0]
	v_mov_b32_e32 v81, v77
	ds_load_2addr_b64 v[76:79], v70 offset0:3 offset1:4
	v_pk_add_f32 v[60:61], v[60:61], v[82:83] neg_lo:[0,1] neg_hi:[0,1]
	v_pk_add_f32 v[58:59], v[58:59], v[80:81] neg_lo:[0,1] neg_hi:[0,1]
	s_wait_dscnt 0x0
	v_pk_mul_f32 v[80:81], v[76:77], v[68:69] op_sel:[0,1]
	s_delay_alu instid0(VALU_DEP_1) | instskip(SKIP_2) | instid1(VALU_DEP_2)
	v_pk_fma_f32 v[82:83], v[76:77], v[66:67], v[80:81] op_sel:[0,0,1] op_sel_hi:[1,1,0] neg_lo:[0,0,1] neg_hi:[0,0,1]
	v_pk_fma_f32 v[76:77], v[76:77], v[66:67], v[80:81] op_sel:[0,0,1] op_sel_hi:[1,0,0]
	v_dual_mul_f32 v80, v79, v69 :: v_dual_mov_b32 v76, v79
	v_dual_mov_b32 v83, v77 :: v_dual_mov_b32 v77, v78
	s_delay_alu instid0(VALU_DEP_2) | instskip(SKIP_1) | instid1(VALU_DEP_3)
	v_pk_fma_f32 v[80:81], v[78:79], v[62:63], v[80:81] op_sel_hi:[1,1,0] neg_lo:[0,0,1] neg_hi:[0,0,1]
	v_mul_f32_e32 v78, v79, v66
	v_pk_add_f32 v[56:57], v[56:57], v[82:83] neg_lo:[0,1] neg_hi:[0,1]
	s_delay_alu instid0(VALU_DEP_2) | instskip(NEXT) | instid1(VALU_DEP_1)
	v_pk_fma_f32 v[76:77], v[76:77], v[62:63], v[78:79] op_sel_hi:[1,1,0]
	v_mov_b32_e32 v81, v77
	ds_load_2addr_b64 v[76:79], v70 offset0:5 offset1:6
	v_pk_add_f32 v[46:47], v[46:47], v[80:81] neg_lo:[0,1] neg_hi:[0,1]
	s_wait_dscnt 0x0
	v_pk_mul_f32 v[80:81], v[76:77], v[68:69] op_sel:[0,1]
	s_delay_alu instid0(VALU_DEP_1) | instskip(SKIP_1) | instid1(VALU_DEP_1)
	v_pk_fma_f32 v[82:83], v[76:77], v[66:67], v[80:81] op_sel:[0,0,1] op_sel_hi:[1,1,0] neg_lo:[0,0,1] neg_hi:[0,0,1]
	v_pk_fma_f32 v[76:77], v[76:77], v[66:67], v[80:81] op_sel:[0,0,1] op_sel_hi:[1,0,0]
	v_mov_b32_e32 v83, v77
	v_pk_mul_f32 v[76:77], v[78:79], v[68:69] op_sel:[0,1]
	s_delay_alu instid0(VALU_DEP_1) | instskip(SKIP_1) | instid1(VALU_DEP_1)
	v_pk_fma_f32 v[80:81], v[78:79], v[66:67], v[76:77] op_sel:[0,0,1] op_sel_hi:[1,1,0] neg_lo:[0,0,1] neg_hi:[0,0,1]
	v_pk_fma_f32 v[76:77], v[78:79], v[66:67], v[76:77] op_sel:[0,0,1] op_sel_hi:[1,0,0]
	v_mov_b32_e32 v81, v77
	ds_load_2addr_b64 v[76:79], v70 offset0:7 offset1:8
	v_pk_add_f32 v[8:9], v[8:9], v[82:83] neg_lo:[0,1] neg_hi:[0,1]
	v_pk_add_f32 v[10:11], v[10:11], v[80:81] neg_lo:[0,1] neg_hi:[0,1]
	s_wait_dscnt 0x0
	v_pk_mul_f32 v[80:81], v[76:77], v[68:69] op_sel:[0,1]
	s_delay_alu instid0(VALU_DEP_1) | instskip(SKIP_1) | instid1(VALU_DEP_1)
	v_pk_fma_f32 v[82:83], v[76:77], v[66:67], v[80:81] op_sel:[0,0,1] op_sel_hi:[1,1,0] neg_lo:[0,0,1] neg_hi:[0,0,1]
	v_pk_fma_f32 v[76:77], v[76:77], v[66:67], v[80:81] op_sel:[0,0,1] op_sel_hi:[1,0,0]
	v_mov_b32_e32 v83, v77
	v_pk_mul_f32 v[76:77], v[78:79], v[68:69] op_sel:[0,1]
	s_delay_alu instid0(VALU_DEP_1) | instskip(SKIP_1) | instid1(VALU_DEP_1)
	v_pk_fma_f32 v[80:81], v[78:79], v[66:67], v[76:77] op_sel:[0,0,1] op_sel_hi:[1,1,0] neg_lo:[0,0,1] neg_hi:[0,0,1]
	v_pk_fma_f32 v[76:77], v[78:79], v[66:67], v[76:77] op_sel:[0,0,1] op_sel_hi:[1,0,0]
	v_mov_b32_e32 v81, v77
	ds_load_2addr_b64 v[76:79], v70 offset0:9 offset1:10
	v_pk_add_f32 v[6:7], v[6:7], v[82:83] neg_lo:[0,1] neg_hi:[0,1]
	v_pk_add_f32 v[48:49], v[48:49], v[80:81] neg_lo:[0,1] neg_hi:[0,1]
	s_wait_dscnt 0x0
	v_dual_mul_f32 v80, v77, v69 :: v_dual_mul_f32 v82, v77, v66
	s_delay_alu instid0(VALU_DEP_1) | instskip(NEXT) | instid1(VALU_DEP_2)
	v_pk_fma_f32 v[80:81], v[76:77], v[62:63], v[80:81] op_sel_hi:[1,1,0] neg_lo:[0,0,1] neg_hi:[0,0,1]
	v_pk_fma_f32 v[76:77], v[76:77], v[62:63], v[82:83] op_sel:[1,0,0] op_sel_hi:[0,1,0]
	s_delay_alu instid0(VALU_DEP_1) | instskip(SKIP_1) | instid1(VALU_DEP_2)
	v_mov_b32_e32 v81, v77
	v_pk_mul_f32 v[76:77], v[78:79], v[68:69] op_sel:[0,1]
	v_pk_add_f32 v[14:15], v[14:15], v[80:81] neg_lo:[0,1] neg_hi:[0,1]
	s_delay_alu instid0(VALU_DEP_2) | instskip(SKIP_1) | instid1(VALU_DEP_1)
	v_pk_fma_f32 v[80:81], v[78:79], v[66:67], v[76:77] op_sel:[0,0,1] op_sel_hi:[1,1,0] neg_lo:[0,0,1] neg_hi:[0,0,1]
	v_pk_fma_f32 v[76:77], v[78:79], v[66:67], v[76:77] op_sel:[0,0,1] op_sel_hi:[1,0,0]
	v_mov_b32_e32 v81, v77
	ds_load_2addr_b64 v[76:79], v70 offset0:11 offset1:12
	v_pk_add_f32 v[16:17], v[16:17], v[80:81] neg_lo:[0,1] neg_hi:[0,1]
	s_wait_dscnt 0x0
	v_pk_mul_f32 v[80:81], v[76:77], v[68:69] op_sel:[0,1]
	s_delay_alu instid0(VALU_DEP_1) | instskip(SKIP_1) | instid1(VALU_DEP_1)
	v_pk_fma_f32 v[82:83], v[76:77], v[66:67], v[80:81] op_sel:[0,0,1] op_sel_hi:[1,1,0] neg_lo:[0,0,1] neg_hi:[0,0,1]
	v_pk_fma_f32 v[76:77], v[76:77], v[66:67], v[80:81] op_sel:[0,0,1] op_sel_hi:[1,0,0]
	v_mov_b32_e32 v83, v77
	v_pk_mul_f32 v[76:77], v[78:79], v[68:69] op_sel:[0,1]
	s_delay_alu instid0(VALU_DEP_2) | instskip(NEXT) | instid1(VALU_DEP_2)
	v_pk_add_f32 v[12:13], v[12:13], v[82:83] neg_lo:[0,1] neg_hi:[0,1]
	v_pk_fma_f32 v[80:81], v[78:79], v[66:67], v[76:77] op_sel:[0,0,1] op_sel_hi:[1,1,0] neg_lo:[0,0,1] neg_hi:[0,0,1]
	v_pk_fma_f32 v[76:77], v[78:79], v[66:67], v[76:77] op_sel:[0,0,1] op_sel_hi:[1,0,0]
	s_delay_alu instid0(VALU_DEP_1) | instskip(SKIP_4) | instid1(VALU_DEP_1)
	v_mov_b32_e32 v81, v77
	ds_load_2addr_b64 v[76:79], v70 offset0:13 offset1:14
	v_pk_add_f32 v[50:51], v[50:51], v[80:81] neg_lo:[0,1] neg_hi:[0,1]
	s_wait_dscnt 0x0
	v_pk_mul_f32 v[80:81], v[76:77], v[68:69] op_sel:[0,1]
	v_pk_fma_f32 v[82:83], v[76:77], v[66:67], v[80:81] op_sel:[0,0,1] op_sel_hi:[1,1,0] neg_lo:[0,0,1] neg_hi:[0,0,1]
	v_pk_fma_f32 v[76:77], v[76:77], v[66:67], v[80:81] op_sel:[0,0,1] op_sel_hi:[1,0,0]
	v_dual_mul_f32 v80, v79, v69 :: v_dual_mov_b32 v76, v79
	s_delay_alu instid0(VALU_DEP_2) | instskip(NEXT) | instid1(VALU_DEP_2)
	v_dual_mov_b32 v83, v77 :: v_dual_mov_b32 v77, v78
	v_pk_fma_f32 v[80:81], v[78:79], v[62:63], v[80:81] op_sel_hi:[1,1,0] neg_lo:[0,0,1] neg_hi:[0,0,1]
	v_mul_f32_e32 v78, v79, v66
	s_delay_alu instid0(VALU_DEP_3) | instskip(NEXT) | instid1(VALU_DEP_2)
	v_pk_add_f32 v[20:21], v[20:21], v[82:83] neg_lo:[0,1] neg_hi:[0,1]
	v_pk_fma_f32 v[76:77], v[76:77], v[62:63], v[78:79] op_sel_hi:[1,1,0]
	s_delay_alu instid0(VALU_DEP_1) | instskip(SKIP_4) | instid1(VALU_DEP_1)
	v_mov_b32_e32 v81, v77
	ds_load_2addr_b64 v[76:79], v70 offset0:15 offset1:16
	v_pk_add_f32 v[22:23], v[22:23], v[80:81] neg_lo:[0,1] neg_hi:[0,1]
	s_wait_dscnt 0x0
	v_pk_mul_f32 v[80:81], v[76:77], v[68:69] op_sel:[0,1]
	v_pk_fma_f32 v[82:83], v[76:77], v[66:67], v[80:81] op_sel:[0,0,1] op_sel_hi:[1,1,0] neg_lo:[0,0,1] neg_hi:[0,0,1]
	v_pk_fma_f32 v[76:77], v[76:77], v[66:67], v[80:81] op_sel:[0,0,1] op_sel_hi:[1,0,0]
	s_delay_alu instid0(VALU_DEP_1) | instskip(SKIP_1) | instid1(VALU_DEP_1)
	v_mov_b32_e32 v83, v77
	v_pk_mul_f32 v[76:77], v[78:79], v[68:69] op_sel:[0,1]
	v_pk_fma_f32 v[80:81], v[78:79], v[66:67], v[76:77] op_sel:[0,0,1] op_sel_hi:[1,1,0] neg_lo:[0,0,1] neg_hi:[0,0,1]
	v_pk_fma_f32 v[76:77], v[78:79], v[66:67], v[76:77] op_sel:[0,0,1] op_sel_hi:[1,0,0]
	s_delay_alu instid0(VALU_DEP_1)
	v_mov_b32_e32 v81, v77
	ds_load_2addr_b64 v[76:79], v70 offset0:17 offset1:18
	v_pk_add_f32 v[18:19], v[18:19], v[82:83] neg_lo:[0,1] neg_hi:[0,1]
	v_pk_add_f32 v[54:55], v[54:55], v[80:81] neg_lo:[0,1] neg_hi:[0,1]
	s_wait_dscnt 0x0
	v_pk_mul_f32 v[80:81], v[76:77], v[68:69] op_sel:[0,1]
	s_delay_alu instid0(VALU_DEP_1) | instskip(SKIP_1) | instid1(VALU_DEP_1)
	v_pk_fma_f32 v[82:83], v[76:77], v[66:67], v[80:81] op_sel:[0,0,1] op_sel_hi:[1,1,0] neg_lo:[0,0,1] neg_hi:[0,0,1]
	v_pk_fma_f32 v[76:77], v[76:77], v[66:67], v[80:81] op_sel:[0,0,1] op_sel_hi:[1,0,0]
	v_mov_b32_e32 v83, v77
	v_pk_mul_f32 v[76:77], v[78:79], v[68:69] op_sel:[0,1]
	s_delay_alu instid0(VALU_DEP_1) | instskip(SKIP_1) | instid1(VALU_DEP_1)
	v_pk_fma_f32 v[80:81], v[78:79], v[66:67], v[76:77] op_sel:[0,0,1] op_sel_hi:[1,1,0] neg_lo:[0,0,1] neg_hi:[0,0,1]
	v_pk_fma_f32 v[76:77], v[78:79], v[66:67], v[76:77] op_sel:[0,0,1] op_sel_hi:[1,0,0]
	v_mov_b32_e32 v81, v77
	ds_load_2addr_b64 v[76:79], v70 offset0:19 offset1:20
	v_pk_add_f32 v[36:37], v[36:37], v[82:83] neg_lo:[0,1] neg_hi:[0,1]
	v_pk_add_f32 v[38:39], v[38:39], v[80:81] neg_lo:[0,1] neg_hi:[0,1]
	s_wait_dscnt 0x0
	v_dual_mul_f32 v80, v77, v69 :: v_dual_mul_f32 v82, v77, v66
	s_delay_alu instid0(VALU_DEP_1) | instskip(NEXT) | instid1(VALU_DEP_2)
	v_pk_fma_f32 v[80:81], v[76:77], v[62:63], v[80:81] op_sel_hi:[1,1,0] neg_lo:[0,0,1] neg_hi:[0,0,1]
	v_pk_fma_f32 v[76:77], v[76:77], v[62:63], v[82:83] op_sel:[1,0,0] op_sel_hi:[0,1,0]
	s_delay_alu instid0(VALU_DEP_1) | instskip(SKIP_1) | instid1(VALU_DEP_2)
	v_mov_b32_e32 v81, v77
	v_pk_mul_f32 v[76:77], v[78:79], v[68:69] op_sel:[0,1]
	v_pk_add_f32 v[34:35], v[34:35], v[80:81] neg_lo:[0,1] neg_hi:[0,1]
	s_delay_alu instid0(VALU_DEP_2) | instskip(SKIP_1) | instid1(VALU_DEP_1)
	v_pk_fma_f32 v[80:81], v[78:79], v[66:67], v[76:77] op_sel:[0,0,1] op_sel_hi:[1,1,0] neg_lo:[0,0,1] neg_hi:[0,0,1]
	v_pk_fma_f32 v[76:77], v[78:79], v[66:67], v[76:77] op_sel:[0,0,1] op_sel_hi:[1,0,0]
	v_mov_b32_e32 v81, v77
	ds_load_2addr_b64 v[76:79], v70 offset0:21 offset1:22
	v_pk_add_f32 v[52:53], v[52:53], v[80:81] neg_lo:[0,1] neg_hi:[0,1]
	s_wait_dscnt 0x0
	v_pk_mul_f32 v[80:81], v[76:77], v[68:69] op_sel:[0,1]
	s_delay_alu instid0(VALU_DEP_1) | instskip(SKIP_1) | instid1(VALU_DEP_1)
	v_pk_fma_f32 v[82:83], v[76:77], v[66:67], v[80:81] op_sel:[0,0,1] op_sel_hi:[1,1,0] neg_lo:[0,0,1] neg_hi:[0,0,1]
	v_pk_fma_f32 v[76:77], v[76:77], v[66:67], v[80:81] op_sel:[0,0,1] op_sel_hi:[1,0,0]
	v_mov_b32_e32 v83, v77
	v_pk_mul_f32 v[76:77], v[78:79], v[68:69] op_sel:[0,1]
	s_delay_alu instid0(VALU_DEP_2) | instskip(NEXT) | instid1(VALU_DEP_2)
	v_pk_add_f32 v[28:29], v[28:29], v[82:83] neg_lo:[0,1] neg_hi:[0,1]
	v_pk_fma_f32 v[80:81], v[78:79], v[66:67], v[76:77] op_sel:[0,0,1] op_sel_hi:[1,1,0] neg_lo:[0,0,1] neg_hi:[0,0,1]
	v_pk_fma_f32 v[76:77], v[78:79], v[66:67], v[76:77] op_sel:[0,0,1] op_sel_hi:[1,0,0]
	s_delay_alu instid0(VALU_DEP_1) | instskip(SKIP_4) | instid1(VALU_DEP_1)
	v_mov_b32_e32 v81, v77
	ds_load_2addr_b64 v[76:79], v70 offset0:23 offset1:24
	v_pk_add_f32 v[30:31], v[30:31], v[80:81] neg_lo:[0,1] neg_hi:[0,1]
	s_wait_dscnt 0x0
	v_pk_mul_f32 v[80:81], v[76:77], v[68:69] op_sel:[0,1]
	v_pk_fma_f32 v[82:83], v[76:77], v[66:67], v[80:81] op_sel:[0,0,1] op_sel_hi:[1,1,0] neg_lo:[0,0,1] neg_hi:[0,0,1]
	v_pk_fma_f32 v[76:77], v[76:77], v[66:67], v[80:81] op_sel:[0,0,1] op_sel_hi:[1,0,0]
	v_dual_mul_f32 v80, v79, v69 :: v_dual_mov_b32 v76, v79
	s_delay_alu instid0(VALU_DEP_2) | instskip(NEXT) | instid1(VALU_DEP_2)
	v_dual_mov_b32 v83, v77 :: v_dual_mov_b32 v77, v78
	v_pk_fma_f32 v[80:81], v[78:79], v[62:63], v[80:81] op_sel_hi:[1,1,0] neg_lo:[0,0,1] neg_hi:[0,0,1]
	v_mul_f32_e32 v78, v79, v66
	s_delay_alu instid0(VALU_DEP_3) | instskip(NEXT) | instid1(VALU_DEP_2)
	v_pk_add_f32 v[26:27], v[26:27], v[82:83] neg_lo:[0,1] neg_hi:[0,1]
	v_pk_fma_f32 v[76:77], v[76:77], v[62:63], v[78:79] op_sel_hi:[1,1,0]
	s_delay_alu instid0(VALU_DEP_1) | instskip(SKIP_4) | instid1(VALU_DEP_1)
	v_mov_b32_e32 v81, v77
	ds_load_2addr_b64 v[76:79], v70 offset0:25 offset1:26
	v_pk_add_f32 v[44:45], v[44:45], v[80:81] neg_lo:[0,1] neg_hi:[0,1]
	s_wait_dscnt 0x0
	v_pk_mul_f32 v[80:81], v[76:77], v[68:69] op_sel:[0,1]
	v_pk_fma_f32 v[82:83], v[76:77], v[66:67], v[80:81] op_sel:[0,0,1] op_sel_hi:[1,1,0] neg_lo:[0,0,1] neg_hi:[0,0,1]
	v_pk_fma_f32 v[76:77], v[76:77], v[66:67], v[80:81] op_sel:[0,0,1] op_sel_hi:[1,0,0]
	s_delay_alu instid0(VALU_DEP_1) | instskip(SKIP_1) | instid1(VALU_DEP_1)
	v_mov_b32_e32 v83, v77
	v_pk_mul_f32 v[76:77], v[78:79], v[68:69] op_sel:[0,1]
	v_pk_fma_f32 v[80:81], v[78:79], v[66:67], v[76:77] op_sel:[0,0,1] op_sel_hi:[1,1,0] neg_lo:[0,0,1] neg_hi:[0,0,1]
	v_pk_fma_f32 v[76:77], v[78:79], v[66:67], v[76:77] op_sel:[0,0,1] op_sel_hi:[1,0,0]
	s_delay_alu instid0(VALU_DEP_1)
	v_mov_b32_e32 v81, v77
	ds_load_2addr_b64 v[76:79], v70 offset0:27 offset1:28
	v_pk_add_f32 v[24:25], v[24:25], v[82:83] neg_lo:[0,1] neg_hi:[0,1]
	v_pk_add_f32 v[42:43], v[42:43], v[80:81] neg_lo:[0,1] neg_hi:[0,1]
	s_wait_dscnt 0x0
	v_pk_mul_f32 v[80:81], v[76:77], v[68:69] op_sel:[0,1]
	s_delay_alu instid0(VALU_DEP_1) | instskip(SKIP_1) | instid1(VALU_DEP_1)
	v_pk_fma_f32 v[82:83], v[76:77], v[66:67], v[80:81] op_sel:[0,0,1] op_sel_hi:[1,1,0] neg_lo:[0,0,1] neg_hi:[0,0,1]
	v_pk_fma_f32 v[76:77], v[76:77], v[66:67], v[80:81] op_sel:[0,0,1] op_sel_hi:[1,0,0]
	v_mov_b32_e32 v83, v77
	v_pk_mul_f32 v[76:77], v[78:79], v[68:69] op_sel:[0,1]
	s_delay_alu instid0(VALU_DEP_1) | instskip(SKIP_1) | instid1(VALU_DEP_1)
	v_pk_fma_f32 v[80:81], v[78:79], v[66:67], v[76:77] op_sel:[0,0,1] op_sel_hi:[1,1,0] neg_lo:[0,0,1] neg_hi:[0,0,1]
	v_pk_fma_f32 v[76:77], v[78:79], v[66:67], v[76:77] op_sel:[0,0,1] op_sel_hi:[1,0,0]
	v_mov_b32_e32 v81, v77
	ds_load_b64 v[76:77], v70 offset:232
	v_pk_add_f32 v[40:41], v[40:41], v[82:83] neg_lo:[0,1] neg_hi:[0,1]
	v_pk_add_f32 v[32:33], v[32:33], v[80:81] neg_lo:[0,1] neg_hi:[0,1]
	s_wait_dscnt 0x0
	v_pk_mul_f32 v[68:69], v[76:77], v[68:69] op_sel:[0,1]
	s_delay_alu instid0(VALU_DEP_1) | instskip(SKIP_1) | instid1(VALU_DEP_1)
	v_pk_fma_f32 v[78:79], v[76:77], v[66:67], v[68:69] op_sel:[0,0,1] op_sel_hi:[1,1,0] neg_lo:[0,0,1] neg_hi:[0,0,1]
	v_pk_fma_f32 v[66:67], v[76:77], v[66:67], v[68:69] op_sel:[0,0,1] op_sel_hi:[1,0,0]
	v_mov_b32_e32 v79, v67
	s_delay_alu instid0(VALU_DEP_1)
	v_pk_add_f32 v[64:65], v[64:65], v[78:79] neg_lo:[0,1] neg_hi:[0,1]
.LBB58_22:
	s_or_b32 exec_lo, exec_lo, s0
	v_lshl_add_u32 v66, v74, 3, v70
	s_barrier_signal -1
	s_barrier_wait -1
	ds_store_b64 v66, v[60:61]
	s_wait_dscnt 0x0
	s_barrier_signal -1
	s_barrier_wait -1
	ds_load_b64 v[68:69], v70 offset:8
	v_mov_b32_e32 v66, 1
	s_cmp_lt_i32 s18, 3
	s_cbranch_scc1 .LBB58_25
; %bb.23:
	v_add3_u32 v67, v71, 0, 16
	v_mov_b32_e32 v66, 1
	s_mov_b32 s0, 2
.LBB58_24:                              ; =>This Inner Loop Header: Depth=1
	ds_load_b64 v[76:77], v67
	s_wait_dscnt 0x1
	v_cmp_gt_f32_e32 vcc_lo, 0, v68
	v_cndmask_b32_e64 v78, v68, -v68, vcc_lo
	v_cmp_gt_f32_e32 vcc_lo, 0, v69
	v_cndmask_b32_e64 v80, v69, -v69, vcc_lo
	s_wait_dscnt 0x0
	v_cmp_gt_f32_e32 vcc_lo, 0, v76
	v_cndmask_b32_e64 v79, v76, -v76, vcc_lo
	v_cmp_gt_f32_e32 vcc_lo, 0, v77
	v_cndmask_b32_e64 v81, v77, -v77, vcc_lo
	s_delay_alu instid0(VALU_DEP_1) | instskip(NEXT) | instid1(VALU_DEP_1)
	v_pk_add_f32 v[78:79], v[78:79], v[80:81]
	v_cmp_lt_f32_e32 vcc_lo, v78, v79
	v_dual_add_nc_u32 v67, 8, v67 :: v_dual_cndmask_b32 v69, v69, v77, vcc_lo
	v_cndmask_b32_e32 v68, v68, v76, vcc_lo
	v_cndmask_b32_e64 v66, v66, s0, vcc_lo
	s_add_co_i32 s0, s0, 1
	s_delay_alu instid0(SALU_CYCLE_1)
	s_cmp_lg_u32 s18, s0
	s_cbranch_scc1 .LBB58_24
.LBB58_25:
	s_wait_dscnt 0x0
	v_cmp_neq_f32_e32 vcc_lo, 0, v68
	v_cmp_neq_f32_e64 s0, 0, v69
	s_or_b32 s1, vcc_lo, s0
	s_delay_alu instid0(SALU_CYCLE_1)
	s_and_saveexec_b32 s0, s1
	s_cbranch_execz .LBB58_31
; %bb.26:
	v_cmp_ngt_f32_e64 s1, |v68|, |v69|
	s_and_saveexec_b32 s12, s1
	s_delay_alu instid0(SALU_CYCLE_1)
	s_xor_b32 s1, exec_lo, s12
	s_cbranch_execz .LBB58_28
; %bb.27:
	v_div_scale_f32 v67, null, v69, v69, v68
	v_div_scale_f32 v77, vcc_lo, v68, v69, v68
	s_delay_alu instid0(VALU_DEP_2) | instskip(SKIP_1) | instid1(TRANS32_DEP_1)
	v_rcp_f32_e32 v72, v67
	v_nop
	v_fma_f32 v76, -v67, v72, 1.0
	s_delay_alu instid0(VALU_DEP_1) | instskip(NEXT) | instid1(VALU_DEP_1)
	v_fmac_f32_e32 v72, v76, v72
	v_mul_f32_e32 v76, v77, v72
	s_delay_alu instid0(VALU_DEP_1) | instskip(NEXT) | instid1(VALU_DEP_1)
	v_fma_f32 v78, -v67, v76, v77
	v_fmac_f32_e32 v76, v78, v72
	s_delay_alu instid0(VALU_DEP_1) | instskip(NEXT) | instid1(VALU_DEP_1)
	v_fma_f32 v67, -v67, v76, v77
	v_div_fmas_f32 v67, v67, v72, v76
	s_delay_alu instid0(VALU_DEP_1) | instskip(NEXT) | instid1(VALU_DEP_1)
	v_div_fixup_f32 v67, v67, v69, v68
	v_fmac_f32_e32 v69, v68, v67
	s_delay_alu instid0(VALU_DEP_1) | instskip(SKIP_1) | instid1(VALU_DEP_2)
	v_div_scale_f32 v68, null, v69, v69, 1.0
	v_div_scale_f32 v77, vcc_lo, 1.0, v69, 1.0
	v_rcp_f32_e32 v72, v68
	v_nop
	s_delay_alu instid0(TRANS32_DEP_1) | instskip(NEXT) | instid1(VALU_DEP_1)
	v_fma_f32 v76, -v68, v72, 1.0
	v_fmac_f32_e32 v72, v76, v72
	s_delay_alu instid0(VALU_DEP_1) | instskip(NEXT) | instid1(VALU_DEP_1)
	v_mul_f32_e32 v76, v77, v72
	v_fma_f32 v78, -v68, v76, v77
	s_delay_alu instid0(VALU_DEP_1) | instskip(NEXT) | instid1(VALU_DEP_1)
	v_fmac_f32_e32 v76, v78, v72
	v_fma_f32 v68, -v68, v76, v77
	s_delay_alu instid0(VALU_DEP_1) | instskip(NEXT) | instid1(VALU_DEP_1)
	v_div_fmas_f32 v68, v68, v72, v76
	v_div_fixup_f32 v69, v68, v69, 1.0
	s_delay_alu instid0(VALU_DEP_1)
	v_mul_f32_e32 v68, v67, v69
	v_xor_b32_e32 v69, 0x80000000, v69
.LBB58_28:
	s_and_not1_saveexec_b32 s1, s1
	s_cbranch_execz .LBB58_30
; %bb.29:
	s_delay_alu instid0(VALU_DEP_1) | instskip(SKIP_1) | instid1(VALU_DEP_2)
	v_div_scale_f32 v67, null, v68, v68, v69
	v_div_scale_f32 v77, vcc_lo, v69, v68, v69
	v_rcp_f32_e32 v72, v67
	v_nop
	s_delay_alu instid0(TRANS32_DEP_1) | instskip(NEXT) | instid1(VALU_DEP_1)
	v_fma_f32 v76, -v67, v72, 1.0
	v_fmac_f32_e32 v72, v76, v72
	s_delay_alu instid0(VALU_DEP_1) | instskip(NEXT) | instid1(VALU_DEP_1)
	v_mul_f32_e32 v76, v77, v72
	v_fma_f32 v78, -v67, v76, v77
	s_delay_alu instid0(VALU_DEP_1) | instskip(NEXT) | instid1(VALU_DEP_1)
	v_fmac_f32_e32 v76, v78, v72
	v_fma_f32 v67, -v67, v76, v77
	s_delay_alu instid0(VALU_DEP_1) | instskip(NEXT) | instid1(VALU_DEP_1)
	v_div_fmas_f32 v67, v67, v72, v76
	v_div_fixup_f32 v67, v67, v68, v69
	s_delay_alu instid0(VALU_DEP_1) | instskip(NEXT) | instid1(VALU_DEP_1)
	v_fmac_f32_e32 v68, v69, v67
	v_div_scale_f32 v69, null, v68, v68, 1.0
	s_delay_alu instid0(VALU_DEP_1) | instskip(SKIP_1) | instid1(TRANS32_DEP_1)
	v_rcp_f32_e32 v72, v69
	v_nop
	v_fma_f32 v76, -v69, v72, 1.0
	s_delay_alu instid0(VALU_DEP_1) | instskip(SKIP_1) | instid1(VALU_DEP_1)
	v_fmac_f32_e32 v72, v76, v72
	v_div_scale_f32 v76, vcc_lo, 1.0, v68, 1.0
	v_mul_f32_e32 v77, v76, v72
	s_delay_alu instid0(VALU_DEP_1) | instskip(NEXT) | instid1(VALU_DEP_1)
	v_fma_f32 v78, -v69, v77, v76
	v_fmac_f32_e32 v77, v78, v72
	s_delay_alu instid0(VALU_DEP_1) | instskip(NEXT) | instid1(VALU_DEP_1)
	v_fma_f32 v69, -v69, v77, v76
	v_div_fmas_f32 v69, v69, v72, v77
	s_delay_alu instid0(VALU_DEP_1) | instskip(NEXT) | instid1(VALU_DEP_1)
	v_div_fixup_f32 v68, v69, v68, 1.0
	v_mul_f32_e64 v69, v67, -v68
.LBB58_30:
	s_or_b32 exec_lo, exec_lo, s1
	v_mov_b32_e32 v72, v75
.LBB58_31:
	s_or_b32 exec_lo, exec_lo, s0
	s_delay_alu instid0(SALU_CYCLE_1)
	s_mov_b32 s0, exec_lo
	v_cmpx_ne_u32_e64 v74, v66
	s_xor_b32 s0, exec_lo, s0
	s_cbranch_execz .LBB58_37
; %bb.32:
	s_mov_b32 s1, exec_lo
	v_cmpx_eq_u32_e32 1, v74
	s_cbranch_execz .LBB58_36
; %bb.33:
	v_cmp_ne_u32_e32 vcc_lo, 1, v66
	s_xor_b32 s12, s16, -1
	s_delay_alu instid0(SALU_CYCLE_1) | instskip(NEXT) | instid1(SALU_CYCLE_1)
	s_and_b32 s13, s12, vcc_lo
	s_and_saveexec_b32 s12, s13
	s_cbranch_execz .LBB58_35
; %bb.34:
	v_ashrrev_i32_e32 v67, 31, v66
	s_delay_alu instid0(VALU_DEP_1)
	v_lshl_add_u64 v[74:75], v[66:67], 2, v[4:5]
	s_clause 0x1
	global_load_b32 v67, v[74:75], off
	global_load_b32 v73, v[4:5], off offset:4
	s_wait_loadcnt 0x1
	global_store_b32 v[4:5], v67, off offset:4
	s_wait_loadcnt 0x0
	global_store_b32 v[74:75], v73, off
.LBB58_35:
	s_wait_xcnt 0x0
	s_or_b32 exec_lo, exec_lo, s12
	v_dual_mov_b32 v74, v66 :: v_dual_mov_b32 v73, v66
.LBB58_36:
	s_or_b32 exec_lo, exec_lo, s1
.LBB58_37:
	s_and_not1_saveexec_b32 s0, s0
	s_cbranch_execz .LBB58_39
; %bb.38:
	v_dual_mov_b32 v66, v58 :: v_dual_mov_b32 v67, v59
	v_dual_mov_b32 v74, v56 :: v_dual_mov_b32 v75, v57
	;; [unrolled: 1-line block ×8, first 2 shown]
	ds_store_2addr_b64 v70, v[66:67], v[74:75] offset0:2 offset1:3
	ds_store_2addr_b64 v70, v[76:77], v[78:79] offset0:4 offset1:5
	;; [unrolled: 1-line block ×4, first 2 shown]
	v_dual_mov_b32 v66, v16 :: v_dual_mov_b32 v67, v17
	v_dual_mov_b32 v74, v12 :: v_dual_mov_b32 v75, v13
	;; [unrolled: 1-line block ×12, first 2 shown]
	ds_store_2addr_b64 v70, v[66:67], v[74:75] offset0:10 offset1:11
	ds_store_2addr_b64 v70, v[76:77], v[78:79] offset0:12 offset1:13
	;; [unrolled: 1-line block ×6, first 2 shown]
	v_dual_mov_b32 v66, v30 :: v_dual_mov_b32 v67, v31
	v_dual_mov_b32 v76, v26 :: v_dual_mov_b32 v77, v27
	;; [unrolled: 1-line block ×7, first 2 shown]
	v_mov_b32_e32 v87, v33
	ds_store_2addr_b64 v70, v[66:67], v[76:77] offset0:22 offset1:23
	ds_store_2addr_b64 v70, v[78:79], v[80:81] offset0:24 offset1:25
	;; [unrolled: 1-line block ×4, first 2 shown]
.LBB58_39:
	s_or_b32 exec_lo, exec_lo, s0
	s_delay_alu instid0(SALU_CYCLE_1)
	s_mov_b32 s0, exec_lo
	s_wait_storecnt_dscnt 0x0
	s_barrier_signal -1
	s_barrier_wait -1
	v_cmpx_lt_i32_e32 1, v74
	s_cbranch_execz .LBB58_41
; %bb.40:
	v_pk_mul_f32 v[76:77], v[68:69], v[60:61] op_sel:[1,1] op_sel_hi:[0,1]
	s_delay_alu instid0(VALU_DEP_1)
	v_pk_fma_f32 v[66:67], v[68:69], v[60:61], v[76:77] op_sel_hi:[1,0,1] neg_lo:[0,0,1] neg_hi:[0,0,1]
	v_pk_fma_f32 v[68:69], v[68:69], v[60:61], v[76:77] op_sel_hi:[1,0,1]
	ds_load_2addr_b64 v[76:79], v70 offset0:2 offset1:3
	v_dual_mov_b32 v60, v66 :: v_dual_mov_b32 v61, v69
	s_wait_dscnt 0x0
	v_pk_mul_f32 v[80:81], v[76:77], v[68:69] op_sel:[0,1]
	s_delay_alu instid0(VALU_DEP_1) | instskip(SKIP_1) | instid1(VALU_DEP_1)
	v_pk_fma_f32 v[82:83], v[76:77], v[66:67], v[80:81] op_sel:[0,0,1] op_sel_hi:[1,1,0] neg_lo:[0,0,1] neg_hi:[0,0,1]
	v_pk_fma_f32 v[76:77], v[76:77], v[66:67], v[80:81] op_sel:[0,0,1] op_sel_hi:[1,0,0]
	v_mov_b32_e32 v83, v77
	v_pk_mul_f32 v[76:77], v[78:79], v[68:69] op_sel:[0,1]
	s_delay_alu instid0(VALU_DEP_1) | instskip(SKIP_1) | instid1(VALU_DEP_1)
	v_pk_fma_f32 v[80:81], v[78:79], v[66:67], v[76:77] op_sel:[0,0,1] op_sel_hi:[1,1,0] neg_lo:[0,0,1] neg_hi:[0,0,1]
	v_pk_fma_f32 v[76:77], v[78:79], v[66:67], v[76:77] op_sel:[0,0,1] op_sel_hi:[1,0,0]
	v_mov_b32_e32 v81, v77
	ds_load_2addr_b64 v[76:79], v70 offset0:4 offset1:5
	v_pk_add_f32 v[58:59], v[58:59], v[82:83] neg_lo:[0,1] neg_hi:[0,1]
	v_pk_add_f32 v[56:57], v[56:57], v[80:81] neg_lo:[0,1] neg_hi:[0,1]
	s_wait_dscnt 0x0
	v_pk_mul_f32 v[80:81], v[76:77], v[68:69] op_sel:[0,1]
	s_delay_alu instid0(VALU_DEP_1) | instskip(SKIP_2) | instid1(VALU_DEP_2)
	v_pk_fma_f32 v[82:83], v[76:77], v[66:67], v[80:81] op_sel:[0,0,1] op_sel_hi:[1,1,0] neg_lo:[0,0,1] neg_hi:[0,0,1]
	v_pk_fma_f32 v[76:77], v[76:77], v[66:67], v[80:81] op_sel:[0,0,1] op_sel_hi:[1,0,0]
	v_dual_mul_f32 v80, v79, v69 :: v_dual_mov_b32 v76, v79
	v_dual_mov_b32 v83, v77 :: v_dual_mov_b32 v77, v78
	s_delay_alu instid0(VALU_DEP_2) | instskip(SKIP_1) | instid1(VALU_DEP_3)
	v_pk_fma_f32 v[80:81], v[78:79], v[60:61], v[80:81] op_sel_hi:[1,1,0] neg_lo:[0,0,1] neg_hi:[0,0,1]
	v_mul_f32_e32 v78, v79, v66
	v_pk_add_f32 v[46:47], v[46:47], v[82:83] neg_lo:[0,1] neg_hi:[0,1]
	s_delay_alu instid0(VALU_DEP_2) | instskip(NEXT) | instid1(VALU_DEP_1)
	v_pk_fma_f32 v[76:77], v[76:77], v[60:61], v[78:79] op_sel_hi:[1,1,0]
	v_mov_b32_e32 v81, v77
	ds_load_2addr_b64 v[76:79], v70 offset0:6 offset1:7
	v_pk_add_f32 v[8:9], v[8:9], v[80:81] neg_lo:[0,1] neg_hi:[0,1]
	s_wait_dscnt 0x0
	v_pk_mul_f32 v[80:81], v[76:77], v[68:69] op_sel:[0,1]
	s_delay_alu instid0(VALU_DEP_1) | instskip(SKIP_1) | instid1(VALU_DEP_1)
	v_pk_fma_f32 v[82:83], v[76:77], v[66:67], v[80:81] op_sel:[0,0,1] op_sel_hi:[1,1,0] neg_lo:[0,0,1] neg_hi:[0,0,1]
	v_pk_fma_f32 v[76:77], v[76:77], v[66:67], v[80:81] op_sel:[0,0,1] op_sel_hi:[1,0,0]
	v_mov_b32_e32 v83, v77
	v_pk_mul_f32 v[76:77], v[78:79], v[68:69] op_sel:[0,1]
	s_delay_alu instid0(VALU_DEP_1) | instskip(SKIP_1) | instid1(VALU_DEP_1)
	v_pk_fma_f32 v[80:81], v[78:79], v[66:67], v[76:77] op_sel:[0,0,1] op_sel_hi:[1,1,0] neg_lo:[0,0,1] neg_hi:[0,0,1]
	v_pk_fma_f32 v[76:77], v[78:79], v[66:67], v[76:77] op_sel:[0,0,1] op_sel_hi:[1,0,0]
	v_mov_b32_e32 v81, v77
	ds_load_2addr_b64 v[76:79], v70 offset0:8 offset1:9
	v_pk_add_f32 v[10:11], v[10:11], v[82:83] neg_lo:[0,1] neg_hi:[0,1]
	v_pk_add_f32 v[6:7], v[6:7], v[80:81] neg_lo:[0,1] neg_hi:[0,1]
	s_wait_dscnt 0x0
	v_pk_mul_f32 v[80:81], v[76:77], v[68:69] op_sel:[0,1]
	s_delay_alu instid0(VALU_DEP_1) | instskip(SKIP_1) | instid1(VALU_DEP_1)
	v_pk_fma_f32 v[82:83], v[76:77], v[66:67], v[80:81] op_sel:[0,0,1] op_sel_hi:[1,1,0] neg_lo:[0,0,1] neg_hi:[0,0,1]
	v_pk_fma_f32 v[76:77], v[76:77], v[66:67], v[80:81] op_sel:[0,0,1] op_sel_hi:[1,0,0]
	v_mov_b32_e32 v83, v77
	v_pk_mul_f32 v[76:77], v[78:79], v[68:69] op_sel:[0,1]
	s_delay_alu instid0(VALU_DEP_1) | instskip(SKIP_1) | instid1(VALU_DEP_1)
	v_pk_fma_f32 v[80:81], v[78:79], v[66:67], v[76:77] op_sel:[0,0,1] op_sel_hi:[1,1,0] neg_lo:[0,0,1] neg_hi:[0,0,1]
	v_pk_fma_f32 v[76:77], v[78:79], v[66:67], v[76:77] op_sel:[0,0,1] op_sel_hi:[1,0,0]
	v_mov_b32_e32 v81, v77
	ds_load_2addr_b64 v[76:79], v70 offset0:10 offset1:11
	v_pk_add_f32 v[48:49], v[48:49], v[82:83] neg_lo:[0,1] neg_hi:[0,1]
	v_pk_add_f32 v[14:15], v[14:15], v[80:81] neg_lo:[0,1] neg_hi:[0,1]
	s_wait_dscnt 0x0
	v_dual_mul_f32 v80, v77, v69 :: v_dual_mul_f32 v82, v77, v66
	s_delay_alu instid0(VALU_DEP_1) | instskip(NEXT) | instid1(VALU_DEP_2)
	v_pk_fma_f32 v[80:81], v[76:77], v[60:61], v[80:81] op_sel_hi:[1,1,0] neg_lo:[0,0,1] neg_hi:[0,0,1]
	v_pk_fma_f32 v[76:77], v[76:77], v[60:61], v[82:83] op_sel:[1,0,0] op_sel_hi:[0,1,0]
	s_delay_alu instid0(VALU_DEP_1) | instskip(SKIP_1) | instid1(VALU_DEP_2)
	v_mov_b32_e32 v81, v77
	v_pk_mul_f32 v[76:77], v[78:79], v[68:69] op_sel:[0,1]
	v_pk_add_f32 v[16:17], v[16:17], v[80:81] neg_lo:[0,1] neg_hi:[0,1]
	s_delay_alu instid0(VALU_DEP_2) | instskip(SKIP_1) | instid1(VALU_DEP_1)
	v_pk_fma_f32 v[80:81], v[78:79], v[66:67], v[76:77] op_sel:[0,0,1] op_sel_hi:[1,1,0] neg_lo:[0,0,1] neg_hi:[0,0,1]
	v_pk_fma_f32 v[76:77], v[78:79], v[66:67], v[76:77] op_sel:[0,0,1] op_sel_hi:[1,0,0]
	v_mov_b32_e32 v81, v77
	ds_load_2addr_b64 v[76:79], v70 offset0:12 offset1:13
	v_pk_add_f32 v[12:13], v[12:13], v[80:81] neg_lo:[0,1] neg_hi:[0,1]
	s_wait_dscnt 0x0
	v_pk_mul_f32 v[80:81], v[76:77], v[68:69] op_sel:[0,1]
	s_delay_alu instid0(VALU_DEP_1) | instskip(SKIP_1) | instid1(VALU_DEP_1)
	v_pk_fma_f32 v[82:83], v[76:77], v[66:67], v[80:81] op_sel:[0,0,1] op_sel_hi:[1,1,0] neg_lo:[0,0,1] neg_hi:[0,0,1]
	v_pk_fma_f32 v[76:77], v[76:77], v[66:67], v[80:81] op_sel:[0,0,1] op_sel_hi:[1,0,0]
	v_mov_b32_e32 v83, v77
	v_pk_mul_f32 v[76:77], v[78:79], v[68:69] op_sel:[0,1]
	s_delay_alu instid0(VALU_DEP_2) | instskip(NEXT) | instid1(VALU_DEP_2)
	v_pk_add_f32 v[50:51], v[50:51], v[82:83] neg_lo:[0,1] neg_hi:[0,1]
	v_pk_fma_f32 v[80:81], v[78:79], v[66:67], v[76:77] op_sel:[0,0,1] op_sel_hi:[1,1,0] neg_lo:[0,0,1] neg_hi:[0,0,1]
	v_pk_fma_f32 v[76:77], v[78:79], v[66:67], v[76:77] op_sel:[0,0,1] op_sel_hi:[1,0,0]
	s_delay_alu instid0(VALU_DEP_1) | instskip(SKIP_4) | instid1(VALU_DEP_1)
	v_mov_b32_e32 v81, v77
	ds_load_2addr_b64 v[76:79], v70 offset0:14 offset1:15
	v_pk_add_f32 v[20:21], v[20:21], v[80:81] neg_lo:[0,1] neg_hi:[0,1]
	s_wait_dscnt 0x0
	v_pk_mul_f32 v[80:81], v[76:77], v[68:69] op_sel:[0,1]
	v_pk_fma_f32 v[82:83], v[76:77], v[66:67], v[80:81] op_sel:[0,0,1] op_sel_hi:[1,1,0] neg_lo:[0,0,1] neg_hi:[0,0,1]
	v_pk_fma_f32 v[76:77], v[76:77], v[66:67], v[80:81] op_sel:[0,0,1] op_sel_hi:[1,0,0]
	v_dual_mul_f32 v80, v79, v69 :: v_dual_mov_b32 v76, v79
	s_delay_alu instid0(VALU_DEP_2) | instskip(NEXT) | instid1(VALU_DEP_2)
	v_dual_mov_b32 v83, v77 :: v_dual_mov_b32 v77, v78
	v_pk_fma_f32 v[80:81], v[78:79], v[60:61], v[80:81] op_sel_hi:[1,1,0] neg_lo:[0,0,1] neg_hi:[0,0,1]
	v_mul_f32_e32 v78, v79, v66
	s_delay_alu instid0(VALU_DEP_3) | instskip(NEXT) | instid1(VALU_DEP_2)
	v_pk_add_f32 v[22:23], v[22:23], v[82:83] neg_lo:[0,1] neg_hi:[0,1]
	v_pk_fma_f32 v[76:77], v[76:77], v[60:61], v[78:79] op_sel_hi:[1,1,0]
	s_delay_alu instid0(VALU_DEP_1) | instskip(SKIP_4) | instid1(VALU_DEP_1)
	v_mov_b32_e32 v81, v77
	ds_load_2addr_b64 v[76:79], v70 offset0:16 offset1:17
	v_pk_add_f32 v[18:19], v[18:19], v[80:81] neg_lo:[0,1] neg_hi:[0,1]
	s_wait_dscnt 0x0
	v_pk_mul_f32 v[80:81], v[76:77], v[68:69] op_sel:[0,1]
	v_pk_fma_f32 v[82:83], v[76:77], v[66:67], v[80:81] op_sel:[0,0,1] op_sel_hi:[1,1,0] neg_lo:[0,0,1] neg_hi:[0,0,1]
	v_pk_fma_f32 v[76:77], v[76:77], v[66:67], v[80:81] op_sel:[0,0,1] op_sel_hi:[1,0,0]
	s_delay_alu instid0(VALU_DEP_1) | instskip(SKIP_1) | instid1(VALU_DEP_1)
	v_mov_b32_e32 v83, v77
	v_pk_mul_f32 v[76:77], v[78:79], v[68:69] op_sel:[0,1]
	v_pk_fma_f32 v[80:81], v[78:79], v[66:67], v[76:77] op_sel:[0,0,1] op_sel_hi:[1,1,0] neg_lo:[0,0,1] neg_hi:[0,0,1]
	v_pk_fma_f32 v[76:77], v[78:79], v[66:67], v[76:77] op_sel:[0,0,1] op_sel_hi:[1,0,0]
	s_delay_alu instid0(VALU_DEP_1)
	v_mov_b32_e32 v81, v77
	ds_load_2addr_b64 v[76:79], v70 offset0:18 offset1:19
	v_pk_add_f32 v[54:55], v[54:55], v[82:83] neg_lo:[0,1] neg_hi:[0,1]
	v_pk_add_f32 v[36:37], v[36:37], v[80:81] neg_lo:[0,1] neg_hi:[0,1]
	s_wait_dscnt 0x0
	v_pk_mul_f32 v[80:81], v[76:77], v[68:69] op_sel:[0,1]
	s_delay_alu instid0(VALU_DEP_1) | instskip(SKIP_1) | instid1(VALU_DEP_1)
	v_pk_fma_f32 v[82:83], v[76:77], v[66:67], v[80:81] op_sel:[0,0,1] op_sel_hi:[1,1,0] neg_lo:[0,0,1] neg_hi:[0,0,1]
	v_pk_fma_f32 v[76:77], v[76:77], v[66:67], v[80:81] op_sel:[0,0,1] op_sel_hi:[1,0,0]
	v_mov_b32_e32 v83, v77
	v_pk_mul_f32 v[76:77], v[78:79], v[68:69] op_sel:[0,1]
	s_delay_alu instid0(VALU_DEP_1) | instskip(SKIP_1) | instid1(VALU_DEP_1)
	v_pk_fma_f32 v[80:81], v[78:79], v[66:67], v[76:77] op_sel:[0,0,1] op_sel_hi:[1,1,0] neg_lo:[0,0,1] neg_hi:[0,0,1]
	v_pk_fma_f32 v[76:77], v[78:79], v[66:67], v[76:77] op_sel:[0,0,1] op_sel_hi:[1,0,0]
	v_mov_b32_e32 v81, v77
	ds_load_2addr_b64 v[76:79], v70 offset0:20 offset1:21
	v_pk_add_f32 v[38:39], v[38:39], v[82:83] neg_lo:[0,1] neg_hi:[0,1]
	v_pk_add_f32 v[34:35], v[34:35], v[80:81] neg_lo:[0,1] neg_hi:[0,1]
	s_wait_dscnt 0x0
	v_dual_mul_f32 v80, v77, v69 :: v_dual_mul_f32 v82, v77, v66
	s_delay_alu instid0(VALU_DEP_1) | instskip(NEXT) | instid1(VALU_DEP_2)
	v_pk_fma_f32 v[80:81], v[76:77], v[60:61], v[80:81] op_sel_hi:[1,1,0] neg_lo:[0,0,1] neg_hi:[0,0,1]
	v_pk_fma_f32 v[76:77], v[76:77], v[60:61], v[82:83] op_sel:[1,0,0] op_sel_hi:[0,1,0]
	s_delay_alu instid0(VALU_DEP_1) | instskip(SKIP_1) | instid1(VALU_DEP_2)
	v_mov_b32_e32 v81, v77
	v_pk_mul_f32 v[76:77], v[78:79], v[68:69] op_sel:[0,1]
	v_pk_add_f32 v[52:53], v[52:53], v[80:81] neg_lo:[0,1] neg_hi:[0,1]
	s_delay_alu instid0(VALU_DEP_2) | instskip(SKIP_1) | instid1(VALU_DEP_1)
	v_pk_fma_f32 v[80:81], v[78:79], v[66:67], v[76:77] op_sel:[0,0,1] op_sel_hi:[1,1,0] neg_lo:[0,0,1] neg_hi:[0,0,1]
	v_pk_fma_f32 v[76:77], v[78:79], v[66:67], v[76:77] op_sel:[0,0,1] op_sel_hi:[1,0,0]
	v_mov_b32_e32 v81, v77
	ds_load_2addr_b64 v[76:79], v70 offset0:22 offset1:23
	v_pk_add_f32 v[28:29], v[28:29], v[80:81] neg_lo:[0,1] neg_hi:[0,1]
	s_wait_dscnt 0x0
	v_pk_mul_f32 v[80:81], v[76:77], v[68:69] op_sel:[0,1]
	s_delay_alu instid0(VALU_DEP_1) | instskip(SKIP_1) | instid1(VALU_DEP_1)
	v_pk_fma_f32 v[82:83], v[76:77], v[66:67], v[80:81] op_sel:[0,0,1] op_sel_hi:[1,1,0] neg_lo:[0,0,1] neg_hi:[0,0,1]
	v_pk_fma_f32 v[76:77], v[76:77], v[66:67], v[80:81] op_sel:[0,0,1] op_sel_hi:[1,0,0]
	v_mov_b32_e32 v83, v77
	v_pk_mul_f32 v[76:77], v[78:79], v[68:69] op_sel:[0,1]
	s_delay_alu instid0(VALU_DEP_2) | instskip(NEXT) | instid1(VALU_DEP_2)
	v_pk_add_f32 v[30:31], v[30:31], v[82:83] neg_lo:[0,1] neg_hi:[0,1]
	v_pk_fma_f32 v[80:81], v[78:79], v[66:67], v[76:77] op_sel:[0,0,1] op_sel_hi:[1,1,0] neg_lo:[0,0,1] neg_hi:[0,0,1]
	v_pk_fma_f32 v[76:77], v[78:79], v[66:67], v[76:77] op_sel:[0,0,1] op_sel_hi:[1,0,0]
	s_delay_alu instid0(VALU_DEP_1) | instskip(SKIP_4) | instid1(VALU_DEP_1)
	v_mov_b32_e32 v81, v77
	ds_load_2addr_b64 v[76:79], v70 offset0:24 offset1:25
	v_pk_add_f32 v[26:27], v[26:27], v[80:81] neg_lo:[0,1] neg_hi:[0,1]
	s_wait_dscnt 0x0
	v_pk_mul_f32 v[80:81], v[76:77], v[68:69] op_sel:[0,1]
	v_pk_fma_f32 v[82:83], v[76:77], v[66:67], v[80:81] op_sel:[0,0,1] op_sel_hi:[1,1,0] neg_lo:[0,0,1] neg_hi:[0,0,1]
	v_pk_fma_f32 v[76:77], v[76:77], v[66:67], v[80:81] op_sel:[0,0,1] op_sel_hi:[1,0,0]
	v_dual_mul_f32 v80, v79, v69 :: v_dual_mov_b32 v76, v79
	s_delay_alu instid0(VALU_DEP_2) | instskip(NEXT) | instid1(VALU_DEP_2)
	v_dual_mov_b32 v83, v77 :: v_dual_mov_b32 v77, v78
	v_pk_fma_f32 v[80:81], v[78:79], v[60:61], v[80:81] op_sel_hi:[1,1,0] neg_lo:[0,0,1] neg_hi:[0,0,1]
	v_mul_f32_e32 v78, v79, v66
	s_delay_alu instid0(VALU_DEP_3) | instskip(NEXT) | instid1(VALU_DEP_2)
	v_pk_add_f32 v[44:45], v[44:45], v[82:83] neg_lo:[0,1] neg_hi:[0,1]
	v_pk_fma_f32 v[76:77], v[76:77], v[60:61], v[78:79] op_sel_hi:[1,1,0]
	s_delay_alu instid0(VALU_DEP_1) | instskip(SKIP_4) | instid1(VALU_DEP_1)
	v_mov_b32_e32 v81, v77
	ds_load_2addr_b64 v[76:79], v70 offset0:26 offset1:27
	v_pk_add_f32 v[24:25], v[24:25], v[80:81] neg_lo:[0,1] neg_hi:[0,1]
	s_wait_dscnt 0x0
	v_pk_mul_f32 v[80:81], v[76:77], v[68:69] op_sel:[0,1]
	v_pk_fma_f32 v[82:83], v[76:77], v[66:67], v[80:81] op_sel:[0,0,1] op_sel_hi:[1,1,0] neg_lo:[0,0,1] neg_hi:[0,0,1]
	v_pk_fma_f32 v[76:77], v[76:77], v[66:67], v[80:81] op_sel:[0,0,1] op_sel_hi:[1,0,0]
	s_delay_alu instid0(VALU_DEP_1) | instskip(SKIP_1) | instid1(VALU_DEP_1)
	v_mov_b32_e32 v83, v77
	v_pk_mul_f32 v[76:77], v[78:79], v[68:69] op_sel:[0,1]
	v_pk_fma_f32 v[80:81], v[78:79], v[66:67], v[76:77] op_sel:[0,0,1] op_sel_hi:[1,1,0] neg_lo:[0,0,1] neg_hi:[0,0,1]
	v_pk_fma_f32 v[76:77], v[78:79], v[66:67], v[76:77] op_sel:[0,0,1] op_sel_hi:[1,0,0]
	s_delay_alu instid0(VALU_DEP_1)
	v_mov_b32_e32 v81, v77
	ds_load_2addr_b64 v[76:79], v70 offset0:28 offset1:29
	v_pk_add_f32 v[42:43], v[42:43], v[82:83] neg_lo:[0,1] neg_hi:[0,1]
	v_pk_add_f32 v[40:41], v[40:41], v[80:81] neg_lo:[0,1] neg_hi:[0,1]
	s_wait_dscnt 0x0
	v_pk_mul_f32 v[80:81], v[76:77], v[68:69] op_sel:[0,1]
	v_pk_mul_f32 v[68:69], v[78:79], v[68:69] op_sel:[0,1]
	s_delay_alu instid0(VALU_DEP_2) | instskip(SKIP_1) | instid1(VALU_DEP_1)
	v_pk_fma_f32 v[82:83], v[76:77], v[66:67], v[80:81] op_sel:[0,0,1] op_sel_hi:[1,1,0] neg_lo:[0,0,1] neg_hi:[0,0,1]
	v_pk_fma_f32 v[76:77], v[76:77], v[66:67], v[80:81] op_sel:[0,0,1] op_sel_hi:[1,0,0]
	v_mov_b32_e32 v83, v77
	s_delay_alu instid0(VALU_DEP_4) | instskip(SKIP_1) | instid1(VALU_DEP_1)
	v_pk_fma_f32 v[76:77], v[78:79], v[66:67], v[68:69] op_sel:[0,0,1] op_sel_hi:[1,1,0] neg_lo:[0,0,1] neg_hi:[0,0,1]
	v_pk_fma_f32 v[66:67], v[78:79], v[66:67], v[68:69] op_sel:[0,0,1] op_sel_hi:[1,0,0]
	v_mov_b32_e32 v77, v67
	s_delay_alu instid0(VALU_DEP_4) | instskip(NEXT) | instid1(VALU_DEP_2)
	v_pk_add_f32 v[32:33], v[32:33], v[82:83] neg_lo:[0,1] neg_hi:[0,1]
	v_pk_add_f32 v[64:65], v[64:65], v[76:77] neg_lo:[0,1] neg_hi:[0,1]
.LBB58_41:
	s_or_b32 exec_lo, exec_lo, s0
	v_lshl_add_u32 v66, v74, 3, v70
	s_barrier_signal -1
	s_barrier_wait -1
	ds_store_b64 v66, v[58:59]
	s_wait_dscnt 0x0
	s_barrier_signal -1
	s_barrier_wait -1
	ds_load_b64 v[68:69], v70 offset:16
	v_mov_b32_e32 v66, 2
	s_cmp_lt_i32 s18, 4
	s_mov_b32 s0, 3
	s_cbranch_scc1 .LBB58_44
; %bb.42:
	v_add3_u32 v67, v71, 0, 24
	v_mov_b32_e32 v66, 2
.LBB58_43:                              ; =>This Inner Loop Header: Depth=1
	ds_load_b64 v[76:77], v67
	s_wait_dscnt 0x1
	v_cmp_gt_f32_e32 vcc_lo, 0, v68
	v_cndmask_b32_e64 v78, v68, -v68, vcc_lo
	v_cmp_gt_f32_e32 vcc_lo, 0, v69
	v_cndmask_b32_e64 v80, v69, -v69, vcc_lo
	s_wait_dscnt 0x0
	v_cmp_gt_f32_e32 vcc_lo, 0, v76
	v_cndmask_b32_e64 v79, v76, -v76, vcc_lo
	v_cmp_gt_f32_e32 vcc_lo, 0, v77
	v_cndmask_b32_e64 v81, v77, -v77, vcc_lo
	s_delay_alu instid0(VALU_DEP_1) | instskip(NEXT) | instid1(VALU_DEP_1)
	v_pk_add_f32 v[78:79], v[78:79], v[80:81]
	v_cmp_lt_f32_e32 vcc_lo, v78, v79
	v_dual_add_nc_u32 v67, 8, v67 :: v_dual_cndmask_b32 v69, v69, v77, vcc_lo
	v_cndmask_b32_e32 v68, v68, v76, vcc_lo
	v_cndmask_b32_e64 v66, v66, s0, vcc_lo
	s_add_co_i32 s0, s0, 1
	s_delay_alu instid0(SALU_CYCLE_1)
	s_cmp_lg_u32 s18, s0
	s_cbranch_scc1 .LBB58_43
.LBB58_44:
	s_wait_dscnt 0x0
	v_cmp_eq_f32_e32 vcc_lo, 0, v68
	v_cmp_eq_f32_e64 s0, 0, v69
	s_and_b32 s0, vcc_lo, s0
	s_delay_alu instid0(SALU_CYCLE_1) | instskip(NEXT) | instid1(SALU_CYCLE_1)
	s_and_saveexec_b32 s1, s0
	s_xor_b32 s0, exec_lo, s1
; %bb.45:
	v_cmp_ne_u32_e32 vcc_lo, 0, v72
	v_cndmask_b32_e32 v72, 3, v72, vcc_lo
; %bb.46:
	s_and_not1_saveexec_b32 s0, s0
	s_cbranch_execz .LBB58_52
; %bb.47:
	v_cmp_ngt_f32_e64 s1, |v68|, |v69|
	s_and_saveexec_b32 s12, s1
	s_delay_alu instid0(SALU_CYCLE_1)
	s_xor_b32 s1, exec_lo, s12
	s_cbranch_execz .LBB58_49
; %bb.48:
	v_div_scale_f32 v67, null, v69, v69, v68
	v_div_scale_f32 v77, vcc_lo, v68, v69, v68
	s_delay_alu instid0(VALU_DEP_2) | instskip(SKIP_1) | instid1(TRANS32_DEP_1)
	v_rcp_f32_e32 v75, v67
	v_nop
	v_fma_f32 v76, -v67, v75, 1.0
	s_delay_alu instid0(VALU_DEP_1) | instskip(NEXT) | instid1(VALU_DEP_1)
	v_fmac_f32_e32 v75, v76, v75
	v_mul_f32_e32 v76, v77, v75
	s_delay_alu instid0(VALU_DEP_1) | instskip(NEXT) | instid1(VALU_DEP_1)
	v_fma_f32 v78, -v67, v76, v77
	v_fmac_f32_e32 v76, v78, v75
	s_delay_alu instid0(VALU_DEP_1) | instskip(NEXT) | instid1(VALU_DEP_1)
	v_fma_f32 v67, -v67, v76, v77
	v_div_fmas_f32 v67, v67, v75, v76
	s_delay_alu instid0(VALU_DEP_1) | instskip(NEXT) | instid1(VALU_DEP_1)
	v_div_fixup_f32 v67, v67, v69, v68
	v_fmac_f32_e32 v69, v68, v67
	s_delay_alu instid0(VALU_DEP_1) | instskip(SKIP_1) | instid1(VALU_DEP_2)
	v_div_scale_f32 v68, null, v69, v69, 1.0
	v_div_scale_f32 v77, vcc_lo, 1.0, v69, 1.0
	v_rcp_f32_e32 v75, v68
	v_nop
	s_delay_alu instid0(TRANS32_DEP_1) | instskip(NEXT) | instid1(VALU_DEP_1)
	v_fma_f32 v76, -v68, v75, 1.0
	v_fmac_f32_e32 v75, v76, v75
	s_delay_alu instid0(VALU_DEP_1) | instskip(NEXT) | instid1(VALU_DEP_1)
	v_mul_f32_e32 v76, v77, v75
	v_fma_f32 v78, -v68, v76, v77
	s_delay_alu instid0(VALU_DEP_1) | instskip(NEXT) | instid1(VALU_DEP_1)
	v_fmac_f32_e32 v76, v78, v75
	v_fma_f32 v68, -v68, v76, v77
	s_delay_alu instid0(VALU_DEP_1) | instskip(NEXT) | instid1(VALU_DEP_1)
	v_div_fmas_f32 v68, v68, v75, v76
	v_div_fixup_f32 v69, v68, v69, 1.0
	s_delay_alu instid0(VALU_DEP_1)
	v_mul_f32_e32 v68, v67, v69
	v_xor_b32_e32 v69, 0x80000000, v69
.LBB58_49:
	s_and_not1_saveexec_b32 s1, s1
	s_cbranch_execz .LBB58_51
; %bb.50:
	s_delay_alu instid0(VALU_DEP_1) | instskip(SKIP_1) | instid1(VALU_DEP_2)
	v_div_scale_f32 v67, null, v68, v68, v69
	v_div_scale_f32 v77, vcc_lo, v69, v68, v69
	v_rcp_f32_e32 v75, v67
	v_nop
	s_delay_alu instid0(TRANS32_DEP_1) | instskip(NEXT) | instid1(VALU_DEP_1)
	v_fma_f32 v76, -v67, v75, 1.0
	v_fmac_f32_e32 v75, v76, v75
	s_delay_alu instid0(VALU_DEP_1) | instskip(NEXT) | instid1(VALU_DEP_1)
	v_mul_f32_e32 v76, v77, v75
	v_fma_f32 v78, -v67, v76, v77
	s_delay_alu instid0(VALU_DEP_1) | instskip(NEXT) | instid1(VALU_DEP_1)
	v_fmac_f32_e32 v76, v78, v75
	v_fma_f32 v67, -v67, v76, v77
	s_delay_alu instid0(VALU_DEP_1) | instskip(NEXT) | instid1(VALU_DEP_1)
	v_div_fmas_f32 v67, v67, v75, v76
	v_div_fixup_f32 v67, v67, v68, v69
	s_delay_alu instid0(VALU_DEP_1) | instskip(NEXT) | instid1(VALU_DEP_1)
	v_fmac_f32_e32 v68, v69, v67
	v_div_scale_f32 v69, null, v68, v68, 1.0
	s_delay_alu instid0(VALU_DEP_1) | instskip(SKIP_1) | instid1(TRANS32_DEP_1)
	v_rcp_f32_e32 v75, v69
	v_nop
	v_fma_f32 v76, -v69, v75, 1.0
	s_delay_alu instid0(VALU_DEP_1) | instskip(SKIP_1) | instid1(VALU_DEP_1)
	v_fmac_f32_e32 v75, v76, v75
	v_div_scale_f32 v76, vcc_lo, 1.0, v68, 1.0
	v_mul_f32_e32 v77, v76, v75
	s_delay_alu instid0(VALU_DEP_1) | instskip(NEXT) | instid1(VALU_DEP_1)
	v_fma_f32 v78, -v69, v77, v76
	v_fmac_f32_e32 v77, v78, v75
	s_delay_alu instid0(VALU_DEP_1) | instskip(NEXT) | instid1(VALU_DEP_1)
	v_fma_f32 v69, -v69, v77, v76
	v_div_fmas_f32 v69, v69, v75, v77
	s_delay_alu instid0(VALU_DEP_1) | instskip(NEXT) | instid1(VALU_DEP_1)
	v_div_fixup_f32 v68, v69, v68, 1.0
	v_mul_f32_e64 v69, v67, -v68
.LBB58_51:
	s_or_b32 exec_lo, exec_lo, s1
.LBB58_52:
	s_delay_alu instid0(SALU_CYCLE_1) | instskip(NEXT) | instid1(SALU_CYCLE_1)
	s_or_b32 exec_lo, exec_lo, s0
	s_mov_b32 s0, exec_lo
	v_cmpx_ne_u32_e64 v74, v66
	s_xor_b32 s0, exec_lo, s0
	s_cbranch_execz .LBB58_58
; %bb.53:
	s_mov_b32 s1, exec_lo
	v_cmpx_eq_u32_e32 2, v74
	s_cbranch_execz .LBB58_57
; %bb.54:
	v_cmp_ne_u32_e32 vcc_lo, 2, v66
	s_xor_b32 s12, s16, -1
	s_delay_alu instid0(SALU_CYCLE_1) | instskip(NEXT) | instid1(SALU_CYCLE_1)
	s_and_b32 s13, s12, vcc_lo
	s_and_saveexec_b32 s12, s13
	s_cbranch_execz .LBB58_56
; %bb.55:
	v_ashrrev_i32_e32 v67, 31, v66
	s_delay_alu instid0(VALU_DEP_1)
	v_lshl_add_u64 v[74:75], v[66:67], 2, v[4:5]
	s_clause 0x1
	global_load_b32 v67, v[74:75], off
	global_load_b32 v73, v[4:5], off offset:8
	s_wait_loadcnt 0x1
	global_store_b32 v[4:5], v67, off offset:8
	s_wait_loadcnt 0x0
	global_store_b32 v[74:75], v73, off
.LBB58_56:
	s_wait_xcnt 0x0
	s_or_b32 exec_lo, exec_lo, s12
	v_dual_mov_b32 v74, v66 :: v_dual_mov_b32 v73, v66
.LBB58_57:
	s_or_b32 exec_lo, exec_lo, s1
.LBB58_58:
	s_and_not1_saveexec_b32 s0, s0
	s_cbranch_execz .LBB58_60
; %bb.59:
	v_mov_b32_e32 v74, 2
	ds_store_2addr_b64 v70, v[56:57], v[46:47] offset0:3 offset1:4
	ds_store_2addr_b64 v70, v[8:9], v[10:11] offset0:5 offset1:6
	;; [unrolled: 1-line block ×13, first 2 shown]
	ds_store_b64 v70, v[64:65] offset:232
.LBB58_60:
	s_or_b32 exec_lo, exec_lo, s0
	s_delay_alu instid0(SALU_CYCLE_1)
	s_mov_b32 s0, exec_lo
	s_wait_storecnt_dscnt 0x0
	s_barrier_signal -1
	s_barrier_wait -1
	v_cmpx_lt_i32_e32 2, v74
	s_cbranch_execz .LBB58_62
; %bb.61:
	v_pk_mul_f32 v[76:77], v[68:69], v[58:59] op_sel:[1,1] op_sel_hi:[0,1]
	s_delay_alu instid0(VALU_DEP_1)
	v_pk_fma_f32 v[66:67], v[68:69], v[58:59], v[76:77] op_sel_hi:[1,0,1] neg_lo:[0,0,1] neg_hi:[0,0,1]
	v_pk_fma_f32 v[68:69], v[68:69], v[58:59], v[76:77] op_sel_hi:[1,0,1]
	ds_load_2addr_b64 v[76:79], v70 offset0:3 offset1:4
	v_dual_mov_b32 v58, v66 :: v_dual_mov_b32 v59, v69
	s_wait_dscnt 0x0
	v_pk_mul_f32 v[80:81], v[76:77], v[68:69] op_sel:[0,1]
	s_delay_alu instid0(VALU_DEP_1) | instskip(SKIP_1) | instid1(VALU_DEP_1)
	v_pk_fma_f32 v[82:83], v[76:77], v[66:67], v[80:81] op_sel:[0,0,1] op_sel_hi:[1,1,0] neg_lo:[0,0,1] neg_hi:[0,0,1]
	v_pk_fma_f32 v[76:77], v[76:77], v[66:67], v[80:81] op_sel:[0,0,1] op_sel_hi:[1,0,0]
	v_mov_b32_e32 v83, v77
	v_pk_mul_f32 v[76:77], v[78:79], v[68:69] op_sel:[0,1]
	s_delay_alu instid0(VALU_DEP_1) | instskip(SKIP_1) | instid1(VALU_DEP_1)
	v_pk_fma_f32 v[80:81], v[78:79], v[66:67], v[76:77] op_sel:[0,0,1] op_sel_hi:[1,1,0] neg_lo:[0,0,1] neg_hi:[0,0,1]
	v_pk_fma_f32 v[76:77], v[78:79], v[66:67], v[76:77] op_sel:[0,0,1] op_sel_hi:[1,0,0]
	v_mov_b32_e32 v81, v77
	ds_load_2addr_b64 v[76:79], v70 offset0:5 offset1:6
	v_pk_add_f32 v[56:57], v[56:57], v[82:83] neg_lo:[0,1] neg_hi:[0,1]
	v_pk_add_f32 v[46:47], v[46:47], v[80:81] neg_lo:[0,1] neg_hi:[0,1]
	s_wait_dscnt 0x0
	v_pk_mul_f32 v[80:81], v[76:77], v[68:69] op_sel:[0,1]
	s_delay_alu instid0(VALU_DEP_1) | instskip(SKIP_2) | instid1(VALU_DEP_2)
	v_pk_fma_f32 v[82:83], v[76:77], v[66:67], v[80:81] op_sel:[0,0,1] op_sel_hi:[1,1,0] neg_lo:[0,0,1] neg_hi:[0,0,1]
	v_pk_fma_f32 v[76:77], v[76:77], v[66:67], v[80:81] op_sel:[0,0,1] op_sel_hi:[1,0,0]
	v_dual_mul_f32 v80, v79, v69 :: v_dual_mov_b32 v76, v79
	v_dual_mov_b32 v83, v77 :: v_dual_mov_b32 v77, v78
	s_delay_alu instid0(VALU_DEP_2) | instskip(SKIP_1) | instid1(VALU_DEP_3)
	v_pk_fma_f32 v[80:81], v[78:79], v[58:59], v[80:81] op_sel_hi:[1,1,0] neg_lo:[0,0,1] neg_hi:[0,0,1]
	v_mul_f32_e32 v78, v79, v66
	v_pk_add_f32 v[8:9], v[8:9], v[82:83] neg_lo:[0,1] neg_hi:[0,1]
	s_delay_alu instid0(VALU_DEP_2) | instskip(NEXT) | instid1(VALU_DEP_1)
	v_pk_fma_f32 v[76:77], v[76:77], v[58:59], v[78:79] op_sel_hi:[1,1,0]
	v_mov_b32_e32 v81, v77
	ds_load_2addr_b64 v[76:79], v70 offset0:7 offset1:8
	v_pk_add_f32 v[10:11], v[10:11], v[80:81] neg_lo:[0,1] neg_hi:[0,1]
	s_wait_dscnt 0x0
	v_pk_mul_f32 v[80:81], v[76:77], v[68:69] op_sel:[0,1]
	s_delay_alu instid0(VALU_DEP_1) | instskip(SKIP_1) | instid1(VALU_DEP_1)
	v_pk_fma_f32 v[82:83], v[76:77], v[66:67], v[80:81] op_sel:[0,0,1] op_sel_hi:[1,1,0] neg_lo:[0,0,1] neg_hi:[0,0,1]
	v_pk_fma_f32 v[76:77], v[76:77], v[66:67], v[80:81] op_sel:[0,0,1] op_sel_hi:[1,0,0]
	v_mov_b32_e32 v83, v77
	v_pk_mul_f32 v[76:77], v[78:79], v[68:69] op_sel:[0,1]
	s_delay_alu instid0(VALU_DEP_1) | instskip(SKIP_1) | instid1(VALU_DEP_1)
	v_pk_fma_f32 v[80:81], v[78:79], v[66:67], v[76:77] op_sel:[0,0,1] op_sel_hi:[1,1,0] neg_lo:[0,0,1] neg_hi:[0,0,1]
	v_pk_fma_f32 v[76:77], v[78:79], v[66:67], v[76:77] op_sel:[0,0,1] op_sel_hi:[1,0,0]
	v_mov_b32_e32 v81, v77
	ds_load_2addr_b64 v[76:79], v70 offset0:9 offset1:10
	v_pk_add_f32 v[6:7], v[6:7], v[82:83] neg_lo:[0,1] neg_hi:[0,1]
	v_pk_add_f32 v[48:49], v[48:49], v[80:81] neg_lo:[0,1] neg_hi:[0,1]
	s_wait_dscnt 0x0
	v_pk_mul_f32 v[80:81], v[76:77], v[68:69] op_sel:[0,1]
	s_delay_alu instid0(VALU_DEP_1) | instskip(SKIP_1) | instid1(VALU_DEP_1)
	v_pk_fma_f32 v[82:83], v[76:77], v[66:67], v[80:81] op_sel:[0,0,1] op_sel_hi:[1,1,0] neg_lo:[0,0,1] neg_hi:[0,0,1]
	v_pk_fma_f32 v[76:77], v[76:77], v[66:67], v[80:81] op_sel:[0,0,1] op_sel_hi:[1,0,0]
	v_mov_b32_e32 v83, v77
	v_pk_mul_f32 v[76:77], v[78:79], v[68:69] op_sel:[0,1]
	s_delay_alu instid0(VALU_DEP_1) | instskip(SKIP_1) | instid1(VALU_DEP_1)
	v_pk_fma_f32 v[80:81], v[78:79], v[66:67], v[76:77] op_sel:[0,0,1] op_sel_hi:[1,1,0] neg_lo:[0,0,1] neg_hi:[0,0,1]
	v_pk_fma_f32 v[76:77], v[78:79], v[66:67], v[76:77] op_sel:[0,0,1] op_sel_hi:[1,0,0]
	v_mov_b32_e32 v81, v77
	ds_load_2addr_b64 v[76:79], v70 offset0:11 offset1:12
	v_pk_add_f32 v[14:15], v[14:15], v[82:83] neg_lo:[0,1] neg_hi:[0,1]
	v_pk_add_f32 v[16:17], v[16:17], v[80:81] neg_lo:[0,1] neg_hi:[0,1]
	s_wait_dscnt 0x0
	v_dual_mul_f32 v80, v77, v69 :: v_dual_mul_f32 v82, v77, v66
	s_delay_alu instid0(VALU_DEP_1) | instskip(NEXT) | instid1(VALU_DEP_2)
	v_pk_fma_f32 v[80:81], v[76:77], v[58:59], v[80:81] op_sel_hi:[1,1,0] neg_lo:[0,0,1] neg_hi:[0,0,1]
	v_pk_fma_f32 v[76:77], v[76:77], v[58:59], v[82:83] op_sel:[1,0,0] op_sel_hi:[0,1,0]
	s_delay_alu instid0(VALU_DEP_1) | instskip(SKIP_1) | instid1(VALU_DEP_2)
	v_mov_b32_e32 v81, v77
	v_pk_mul_f32 v[76:77], v[78:79], v[68:69] op_sel:[0,1]
	v_pk_add_f32 v[12:13], v[12:13], v[80:81] neg_lo:[0,1] neg_hi:[0,1]
	s_delay_alu instid0(VALU_DEP_2) | instskip(SKIP_1) | instid1(VALU_DEP_1)
	v_pk_fma_f32 v[80:81], v[78:79], v[66:67], v[76:77] op_sel:[0,0,1] op_sel_hi:[1,1,0] neg_lo:[0,0,1] neg_hi:[0,0,1]
	v_pk_fma_f32 v[76:77], v[78:79], v[66:67], v[76:77] op_sel:[0,0,1] op_sel_hi:[1,0,0]
	v_mov_b32_e32 v81, v77
	ds_load_2addr_b64 v[76:79], v70 offset0:13 offset1:14
	v_pk_add_f32 v[50:51], v[50:51], v[80:81] neg_lo:[0,1] neg_hi:[0,1]
	s_wait_dscnt 0x0
	v_pk_mul_f32 v[80:81], v[76:77], v[68:69] op_sel:[0,1]
	s_delay_alu instid0(VALU_DEP_1) | instskip(SKIP_1) | instid1(VALU_DEP_1)
	v_pk_fma_f32 v[82:83], v[76:77], v[66:67], v[80:81] op_sel:[0,0,1] op_sel_hi:[1,1,0] neg_lo:[0,0,1] neg_hi:[0,0,1]
	v_pk_fma_f32 v[76:77], v[76:77], v[66:67], v[80:81] op_sel:[0,0,1] op_sel_hi:[1,0,0]
	v_mov_b32_e32 v83, v77
	v_pk_mul_f32 v[76:77], v[78:79], v[68:69] op_sel:[0,1]
	s_delay_alu instid0(VALU_DEP_2) | instskip(NEXT) | instid1(VALU_DEP_2)
	v_pk_add_f32 v[20:21], v[20:21], v[82:83] neg_lo:[0,1] neg_hi:[0,1]
	v_pk_fma_f32 v[80:81], v[78:79], v[66:67], v[76:77] op_sel:[0,0,1] op_sel_hi:[1,1,0] neg_lo:[0,0,1] neg_hi:[0,0,1]
	v_pk_fma_f32 v[76:77], v[78:79], v[66:67], v[76:77] op_sel:[0,0,1] op_sel_hi:[1,0,0]
	s_delay_alu instid0(VALU_DEP_1) | instskip(SKIP_4) | instid1(VALU_DEP_1)
	v_mov_b32_e32 v81, v77
	ds_load_2addr_b64 v[76:79], v70 offset0:15 offset1:16
	v_pk_add_f32 v[22:23], v[22:23], v[80:81] neg_lo:[0,1] neg_hi:[0,1]
	s_wait_dscnt 0x0
	v_pk_mul_f32 v[80:81], v[76:77], v[68:69] op_sel:[0,1]
	v_pk_fma_f32 v[82:83], v[76:77], v[66:67], v[80:81] op_sel:[0,0,1] op_sel_hi:[1,1,0] neg_lo:[0,0,1] neg_hi:[0,0,1]
	v_pk_fma_f32 v[76:77], v[76:77], v[66:67], v[80:81] op_sel:[0,0,1] op_sel_hi:[1,0,0]
	v_dual_mul_f32 v80, v79, v69 :: v_dual_mov_b32 v76, v79
	s_delay_alu instid0(VALU_DEP_2) | instskip(NEXT) | instid1(VALU_DEP_2)
	v_dual_mov_b32 v83, v77 :: v_dual_mov_b32 v77, v78
	v_pk_fma_f32 v[80:81], v[78:79], v[58:59], v[80:81] op_sel_hi:[1,1,0] neg_lo:[0,0,1] neg_hi:[0,0,1]
	v_mul_f32_e32 v78, v79, v66
	s_delay_alu instid0(VALU_DEP_3) | instskip(NEXT) | instid1(VALU_DEP_2)
	v_pk_add_f32 v[18:19], v[18:19], v[82:83] neg_lo:[0,1] neg_hi:[0,1]
	v_pk_fma_f32 v[76:77], v[76:77], v[58:59], v[78:79] op_sel_hi:[1,1,0]
	s_delay_alu instid0(VALU_DEP_1) | instskip(SKIP_4) | instid1(VALU_DEP_1)
	v_mov_b32_e32 v81, v77
	ds_load_2addr_b64 v[76:79], v70 offset0:17 offset1:18
	v_pk_add_f32 v[54:55], v[54:55], v[80:81] neg_lo:[0,1] neg_hi:[0,1]
	s_wait_dscnt 0x0
	v_pk_mul_f32 v[80:81], v[76:77], v[68:69] op_sel:[0,1]
	v_pk_fma_f32 v[82:83], v[76:77], v[66:67], v[80:81] op_sel:[0,0,1] op_sel_hi:[1,1,0] neg_lo:[0,0,1] neg_hi:[0,0,1]
	v_pk_fma_f32 v[76:77], v[76:77], v[66:67], v[80:81] op_sel:[0,0,1] op_sel_hi:[1,0,0]
	s_delay_alu instid0(VALU_DEP_1) | instskip(SKIP_1) | instid1(VALU_DEP_1)
	v_mov_b32_e32 v83, v77
	v_pk_mul_f32 v[76:77], v[78:79], v[68:69] op_sel:[0,1]
	v_pk_fma_f32 v[80:81], v[78:79], v[66:67], v[76:77] op_sel:[0,0,1] op_sel_hi:[1,1,0] neg_lo:[0,0,1] neg_hi:[0,0,1]
	v_pk_fma_f32 v[76:77], v[78:79], v[66:67], v[76:77] op_sel:[0,0,1] op_sel_hi:[1,0,0]
	s_delay_alu instid0(VALU_DEP_1)
	v_mov_b32_e32 v81, v77
	ds_load_2addr_b64 v[76:79], v70 offset0:19 offset1:20
	v_pk_add_f32 v[36:37], v[36:37], v[82:83] neg_lo:[0,1] neg_hi:[0,1]
	v_pk_add_f32 v[38:39], v[38:39], v[80:81] neg_lo:[0,1] neg_hi:[0,1]
	s_wait_dscnt 0x0
	v_pk_mul_f32 v[80:81], v[76:77], v[68:69] op_sel:[0,1]
	s_delay_alu instid0(VALU_DEP_1) | instskip(SKIP_1) | instid1(VALU_DEP_1)
	v_pk_fma_f32 v[82:83], v[76:77], v[66:67], v[80:81] op_sel:[0,0,1] op_sel_hi:[1,1,0] neg_lo:[0,0,1] neg_hi:[0,0,1]
	v_pk_fma_f32 v[76:77], v[76:77], v[66:67], v[80:81] op_sel:[0,0,1] op_sel_hi:[1,0,0]
	v_mov_b32_e32 v83, v77
	v_pk_mul_f32 v[76:77], v[78:79], v[68:69] op_sel:[0,1]
	s_delay_alu instid0(VALU_DEP_1) | instskip(SKIP_1) | instid1(VALU_DEP_1)
	v_pk_fma_f32 v[80:81], v[78:79], v[66:67], v[76:77] op_sel:[0,0,1] op_sel_hi:[1,1,0] neg_lo:[0,0,1] neg_hi:[0,0,1]
	v_pk_fma_f32 v[76:77], v[78:79], v[66:67], v[76:77] op_sel:[0,0,1] op_sel_hi:[1,0,0]
	v_mov_b32_e32 v81, v77
	ds_load_2addr_b64 v[76:79], v70 offset0:21 offset1:22
	v_pk_add_f32 v[34:35], v[34:35], v[82:83] neg_lo:[0,1] neg_hi:[0,1]
	v_pk_add_f32 v[52:53], v[52:53], v[80:81] neg_lo:[0,1] neg_hi:[0,1]
	s_wait_dscnt 0x0
	v_dual_mul_f32 v80, v77, v69 :: v_dual_mul_f32 v82, v77, v66
	s_delay_alu instid0(VALU_DEP_1) | instskip(NEXT) | instid1(VALU_DEP_2)
	v_pk_fma_f32 v[80:81], v[76:77], v[58:59], v[80:81] op_sel_hi:[1,1,0] neg_lo:[0,0,1] neg_hi:[0,0,1]
	v_pk_fma_f32 v[76:77], v[76:77], v[58:59], v[82:83] op_sel:[1,0,0] op_sel_hi:[0,1,0]
	s_delay_alu instid0(VALU_DEP_1) | instskip(SKIP_1) | instid1(VALU_DEP_2)
	v_mov_b32_e32 v81, v77
	v_pk_mul_f32 v[76:77], v[78:79], v[68:69] op_sel:[0,1]
	v_pk_add_f32 v[28:29], v[28:29], v[80:81] neg_lo:[0,1] neg_hi:[0,1]
	s_delay_alu instid0(VALU_DEP_2) | instskip(SKIP_1) | instid1(VALU_DEP_1)
	v_pk_fma_f32 v[80:81], v[78:79], v[66:67], v[76:77] op_sel:[0,0,1] op_sel_hi:[1,1,0] neg_lo:[0,0,1] neg_hi:[0,0,1]
	v_pk_fma_f32 v[76:77], v[78:79], v[66:67], v[76:77] op_sel:[0,0,1] op_sel_hi:[1,0,0]
	v_mov_b32_e32 v81, v77
	ds_load_2addr_b64 v[76:79], v70 offset0:23 offset1:24
	v_pk_add_f32 v[30:31], v[30:31], v[80:81] neg_lo:[0,1] neg_hi:[0,1]
	s_wait_dscnt 0x0
	v_pk_mul_f32 v[80:81], v[76:77], v[68:69] op_sel:[0,1]
	s_delay_alu instid0(VALU_DEP_1) | instskip(SKIP_1) | instid1(VALU_DEP_1)
	v_pk_fma_f32 v[82:83], v[76:77], v[66:67], v[80:81] op_sel:[0,0,1] op_sel_hi:[1,1,0] neg_lo:[0,0,1] neg_hi:[0,0,1]
	v_pk_fma_f32 v[76:77], v[76:77], v[66:67], v[80:81] op_sel:[0,0,1] op_sel_hi:[1,0,0]
	v_mov_b32_e32 v83, v77
	v_pk_mul_f32 v[76:77], v[78:79], v[68:69] op_sel:[0,1]
	s_delay_alu instid0(VALU_DEP_2) | instskip(NEXT) | instid1(VALU_DEP_2)
	v_pk_add_f32 v[26:27], v[26:27], v[82:83] neg_lo:[0,1] neg_hi:[0,1]
	v_pk_fma_f32 v[80:81], v[78:79], v[66:67], v[76:77] op_sel:[0,0,1] op_sel_hi:[1,1,0] neg_lo:[0,0,1] neg_hi:[0,0,1]
	v_pk_fma_f32 v[76:77], v[78:79], v[66:67], v[76:77] op_sel:[0,0,1] op_sel_hi:[1,0,0]
	s_delay_alu instid0(VALU_DEP_1) | instskip(SKIP_4) | instid1(VALU_DEP_1)
	v_mov_b32_e32 v81, v77
	ds_load_2addr_b64 v[76:79], v70 offset0:25 offset1:26
	v_pk_add_f32 v[44:45], v[44:45], v[80:81] neg_lo:[0,1] neg_hi:[0,1]
	s_wait_dscnt 0x0
	v_pk_mul_f32 v[80:81], v[76:77], v[68:69] op_sel:[0,1]
	v_pk_fma_f32 v[82:83], v[76:77], v[66:67], v[80:81] op_sel:[0,0,1] op_sel_hi:[1,1,0] neg_lo:[0,0,1] neg_hi:[0,0,1]
	v_pk_fma_f32 v[76:77], v[76:77], v[66:67], v[80:81] op_sel:[0,0,1] op_sel_hi:[1,0,0]
	v_dual_mul_f32 v80, v79, v69 :: v_dual_mov_b32 v76, v79
	s_delay_alu instid0(VALU_DEP_2) | instskip(NEXT) | instid1(VALU_DEP_2)
	v_dual_mov_b32 v83, v77 :: v_dual_mov_b32 v77, v78
	v_pk_fma_f32 v[80:81], v[78:79], v[58:59], v[80:81] op_sel_hi:[1,1,0] neg_lo:[0,0,1] neg_hi:[0,0,1]
	v_mul_f32_e32 v78, v79, v66
	s_delay_alu instid0(VALU_DEP_3) | instskip(NEXT) | instid1(VALU_DEP_2)
	v_pk_add_f32 v[24:25], v[24:25], v[82:83] neg_lo:[0,1] neg_hi:[0,1]
	v_pk_fma_f32 v[76:77], v[76:77], v[58:59], v[78:79] op_sel_hi:[1,1,0]
	s_delay_alu instid0(VALU_DEP_1) | instskip(SKIP_4) | instid1(VALU_DEP_1)
	v_mov_b32_e32 v81, v77
	ds_load_2addr_b64 v[76:79], v70 offset0:27 offset1:28
	v_pk_add_f32 v[42:43], v[42:43], v[80:81] neg_lo:[0,1] neg_hi:[0,1]
	s_wait_dscnt 0x0
	v_pk_mul_f32 v[80:81], v[76:77], v[68:69] op_sel:[0,1]
	v_pk_fma_f32 v[82:83], v[76:77], v[66:67], v[80:81] op_sel:[0,0,1] op_sel_hi:[1,1,0] neg_lo:[0,0,1] neg_hi:[0,0,1]
	v_pk_fma_f32 v[76:77], v[76:77], v[66:67], v[80:81] op_sel:[0,0,1] op_sel_hi:[1,0,0]
	s_delay_alu instid0(VALU_DEP_1) | instskip(SKIP_1) | instid1(VALU_DEP_1)
	v_mov_b32_e32 v83, v77
	v_pk_mul_f32 v[76:77], v[78:79], v[68:69] op_sel:[0,1]
	v_pk_fma_f32 v[80:81], v[78:79], v[66:67], v[76:77] op_sel:[0,0,1] op_sel_hi:[1,1,0] neg_lo:[0,0,1] neg_hi:[0,0,1]
	v_pk_fma_f32 v[76:77], v[78:79], v[66:67], v[76:77] op_sel:[0,0,1] op_sel_hi:[1,0,0]
	s_delay_alu instid0(VALU_DEP_1)
	v_mov_b32_e32 v81, v77
	ds_load_b64 v[76:77], v70 offset:232
	v_pk_add_f32 v[40:41], v[40:41], v[82:83] neg_lo:[0,1] neg_hi:[0,1]
	v_pk_add_f32 v[32:33], v[32:33], v[80:81] neg_lo:[0,1] neg_hi:[0,1]
	s_wait_dscnt 0x0
	v_pk_mul_f32 v[68:69], v[76:77], v[68:69] op_sel:[0,1]
	s_delay_alu instid0(VALU_DEP_1) | instskip(SKIP_1) | instid1(VALU_DEP_1)
	v_pk_fma_f32 v[78:79], v[76:77], v[66:67], v[68:69] op_sel:[0,0,1] op_sel_hi:[1,1,0] neg_lo:[0,0,1] neg_hi:[0,0,1]
	v_pk_fma_f32 v[66:67], v[76:77], v[66:67], v[68:69] op_sel:[0,0,1] op_sel_hi:[1,0,0]
	v_mov_b32_e32 v79, v67
	s_delay_alu instid0(VALU_DEP_1)
	v_pk_add_f32 v[64:65], v[64:65], v[78:79] neg_lo:[0,1] neg_hi:[0,1]
.LBB58_62:
	s_or_b32 exec_lo, exec_lo, s0
	v_lshl_add_u32 v66, v74, 3, v70
	s_barrier_signal -1
	s_barrier_wait -1
	ds_store_b64 v66, v[56:57]
	s_wait_dscnt 0x0
	s_barrier_signal -1
	s_barrier_wait -1
	ds_load_b64 v[68:69], v70 offset:24
	v_mov_b32_e32 v66, 3
	s_cmp_lt_i32 s18, 5
	s_cbranch_scc1 .LBB58_65
; %bb.63:
	v_mov_b32_e32 v66, 3
	v_add3_u32 v67, v71, 0, 32
	s_mov_b32 s0, 4
.LBB58_64:                              ; =>This Inner Loop Header: Depth=1
	ds_load_b64 v[76:77], v67
	s_wait_dscnt 0x1
	v_cmp_gt_f32_e32 vcc_lo, 0, v68
	v_cndmask_b32_e64 v78, v68, -v68, vcc_lo
	v_cmp_gt_f32_e32 vcc_lo, 0, v69
	v_cndmask_b32_e64 v80, v69, -v69, vcc_lo
	s_wait_dscnt 0x0
	v_cmp_gt_f32_e32 vcc_lo, 0, v76
	v_cndmask_b32_e64 v79, v76, -v76, vcc_lo
	v_cmp_gt_f32_e32 vcc_lo, 0, v77
	v_cndmask_b32_e64 v81, v77, -v77, vcc_lo
	s_delay_alu instid0(VALU_DEP_1) | instskip(NEXT) | instid1(VALU_DEP_1)
	v_pk_add_f32 v[78:79], v[78:79], v[80:81]
	v_cmp_lt_f32_e32 vcc_lo, v78, v79
	v_dual_add_nc_u32 v67, 8, v67 :: v_dual_cndmask_b32 v69, v69, v77, vcc_lo
	v_cndmask_b32_e32 v68, v68, v76, vcc_lo
	v_cndmask_b32_e64 v66, v66, s0, vcc_lo
	s_add_co_i32 s0, s0, 1
	s_delay_alu instid0(SALU_CYCLE_1)
	s_cmp_lg_u32 s18, s0
	s_cbranch_scc1 .LBB58_64
.LBB58_65:
	s_wait_dscnt 0x0
	v_cmp_eq_f32_e32 vcc_lo, 0, v68
	v_cmp_eq_f32_e64 s0, 0, v69
	s_and_b32 s0, vcc_lo, s0
	s_delay_alu instid0(SALU_CYCLE_1) | instskip(NEXT) | instid1(SALU_CYCLE_1)
	s_and_saveexec_b32 s1, s0
	s_xor_b32 s0, exec_lo, s1
; %bb.66:
	v_cmp_ne_u32_e32 vcc_lo, 0, v72
	v_cndmask_b32_e32 v72, 4, v72, vcc_lo
; %bb.67:
	s_and_not1_saveexec_b32 s0, s0
	s_cbranch_execz .LBB58_73
; %bb.68:
	v_cmp_ngt_f32_e64 s1, |v68|, |v69|
	s_and_saveexec_b32 s12, s1
	s_delay_alu instid0(SALU_CYCLE_1)
	s_xor_b32 s1, exec_lo, s12
	s_cbranch_execz .LBB58_70
; %bb.69:
	v_div_scale_f32 v67, null, v69, v69, v68
	v_div_scale_f32 v77, vcc_lo, v68, v69, v68
	s_delay_alu instid0(VALU_DEP_2) | instskip(SKIP_1) | instid1(TRANS32_DEP_1)
	v_rcp_f32_e32 v75, v67
	v_nop
	v_fma_f32 v76, -v67, v75, 1.0
	s_delay_alu instid0(VALU_DEP_1) | instskip(NEXT) | instid1(VALU_DEP_1)
	v_fmac_f32_e32 v75, v76, v75
	v_mul_f32_e32 v76, v77, v75
	s_delay_alu instid0(VALU_DEP_1) | instskip(NEXT) | instid1(VALU_DEP_1)
	v_fma_f32 v78, -v67, v76, v77
	v_fmac_f32_e32 v76, v78, v75
	s_delay_alu instid0(VALU_DEP_1) | instskip(NEXT) | instid1(VALU_DEP_1)
	v_fma_f32 v67, -v67, v76, v77
	v_div_fmas_f32 v67, v67, v75, v76
	s_delay_alu instid0(VALU_DEP_1) | instskip(NEXT) | instid1(VALU_DEP_1)
	v_div_fixup_f32 v67, v67, v69, v68
	v_fmac_f32_e32 v69, v68, v67
	s_delay_alu instid0(VALU_DEP_1) | instskip(SKIP_1) | instid1(VALU_DEP_2)
	v_div_scale_f32 v68, null, v69, v69, 1.0
	v_div_scale_f32 v77, vcc_lo, 1.0, v69, 1.0
	v_rcp_f32_e32 v75, v68
	v_nop
	s_delay_alu instid0(TRANS32_DEP_1) | instskip(NEXT) | instid1(VALU_DEP_1)
	v_fma_f32 v76, -v68, v75, 1.0
	v_fmac_f32_e32 v75, v76, v75
	s_delay_alu instid0(VALU_DEP_1) | instskip(NEXT) | instid1(VALU_DEP_1)
	v_mul_f32_e32 v76, v77, v75
	v_fma_f32 v78, -v68, v76, v77
	s_delay_alu instid0(VALU_DEP_1) | instskip(NEXT) | instid1(VALU_DEP_1)
	v_fmac_f32_e32 v76, v78, v75
	v_fma_f32 v68, -v68, v76, v77
	s_delay_alu instid0(VALU_DEP_1) | instskip(NEXT) | instid1(VALU_DEP_1)
	v_div_fmas_f32 v68, v68, v75, v76
	v_div_fixup_f32 v69, v68, v69, 1.0
	s_delay_alu instid0(VALU_DEP_1)
	v_mul_f32_e32 v68, v67, v69
	v_xor_b32_e32 v69, 0x80000000, v69
.LBB58_70:
	s_and_not1_saveexec_b32 s1, s1
	s_cbranch_execz .LBB58_72
; %bb.71:
	s_delay_alu instid0(VALU_DEP_1) | instskip(SKIP_1) | instid1(VALU_DEP_2)
	v_div_scale_f32 v67, null, v68, v68, v69
	v_div_scale_f32 v77, vcc_lo, v69, v68, v69
	v_rcp_f32_e32 v75, v67
	v_nop
	s_delay_alu instid0(TRANS32_DEP_1) | instskip(NEXT) | instid1(VALU_DEP_1)
	v_fma_f32 v76, -v67, v75, 1.0
	v_fmac_f32_e32 v75, v76, v75
	s_delay_alu instid0(VALU_DEP_1) | instskip(NEXT) | instid1(VALU_DEP_1)
	v_mul_f32_e32 v76, v77, v75
	v_fma_f32 v78, -v67, v76, v77
	s_delay_alu instid0(VALU_DEP_1) | instskip(NEXT) | instid1(VALU_DEP_1)
	v_fmac_f32_e32 v76, v78, v75
	v_fma_f32 v67, -v67, v76, v77
	s_delay_alu instid0(VALU_DEP_1) | instskip(NEXT) | instid1(VALU_DEP_1)
	v_div_fmas_f32 v67, v67, v75, v76
	v_div_fixup_f32 v67, v67, v68, v69
	s_delay_alu instid0(VALU_DEP_1) | instskip(NEXT) | instid1(VALU_DEP_1)
	v_fmac_f32_e32 v68, v69, v67
	v_div_scale_f32 v69, null, v68, v68, 1.0
	s_delay_alu instid0(VALU_DEP_1) | instskip(SKIP_1) | instid1(TRANS32_DEP_1)
	v_rcp_f32_e32 v75, v69
	v_nop
	v_fma_f32 v76, -v69, v75, 1.0
	s_delay_alu instid0(VALU_DEP_1) | instskip(SKIP_1) | instid1(VALU_DEP_1)
	v_fmac_f32_e32 v75, v76, v75
	v_div_scale_f32 v76, vcc_lo, 1.0, v68, 1.0
	v_mul_f32_e32 v77, v76, v75
	s_delay_alu instid0(VALU_DEP_1) | instskip(NEXT) | instid1(VALU_DEP_1)
	v_fma_f32 v78, -v69, v77, v76
	v_fmac_f32_e32 v77, v78, v75
	s_delay_alu instid0(VALU_DEP_1) | instskip(NEXT) | instid1(VALU_DEP_1)
	v_fma_f32 v69, -v69, v77, v76
	v_div_fmas_f32 v69, v69, v75, v77
	s_delay_alu instid0(VALU_DEP_1) | instskip(NEXT) | instid1(VALU_DEP_1)
	v_div_fixup_f32 v68, v69, v68, 1.0
	v_mul_f32_e64 v69, v67, -v68
.LBB58_72:
	s_or_b32 exec_lo, exec_lo, s1
.LBB58_73:
	s_delay_alu instid0(SALU_CYCLE_1) | instskip(NEXT) | instid1(SALU_CYCLE_1)
	s_or_b32 exec_lo, exec_lo, s0
	s_mov_b32 s0, exec_lo
	v_cmpx_ne_u32_e64 v74, v66
	s_xor_b32 s0, exec_lo, s0
	s_cbranch_execz .LBB58_79
; %bb.74:
	s_mov_b32 s1, exec_lo
	v_cmpx_eq_u32_e32 3, v74
	s_cbranch_execz .LBB58_78
; %bb.75:
	v_cmp_ne_u32_e32 vcc_lo, 3, v66
	s_xor_b32 s12, s16, -1
	s_delay_alu instid0(SALU_CYCLE_1) | instskip(NEXT) | instid1(SALU_CYCLE_1)
	s_and_b32 s13, s12, vcc_lo
	s_and_saveexec_b32 s12, s13
	s_cbranch_execz .LBB58_77
; %bb.76:
	v_ashrrev_i32_e32 v67, 31, v66
	s_delay_alu instid0(VALU_DEP_1)
	v_lshl_add_u64 v[74:75], v[66:67], 2, v[4:5]
	s_clause 0x1
	global_load_b32 v67, v[74:75], off
	global_load_b32 v73, v[4:5], off offset:12
	s_wait_loadcnt 0x1
	global_store_b32 v[4:5], v67, off offset:12
	s_wait_loadcnt 0x0
	global_store_b32 v[74:75], v73, off
.LBB58_77:
	s_wait_xcnt 0x0
	s_or_b32 exec_lo, exec_lo, s12
	v_dual_mov_b32 v74, v66 :: v_dual_mov_b32 v73, v66
.LBB58_78:
	s_or_b32 exec_lo, exec_lo, s1
.LBB58_79:
	s_and_not1_saveexec_b32 s0, s0
	s_cbranch_execz .LBB58_81
; %bb.80:
	v_dual_mov_b32 v66, v46 :: v_dual_mov_b32 v67, v47
	v_dual_mov_b32 v74, v8 :: v_dual_mov_b32 v75, v9
	;; [unrolled: 1-line block ×4, first 2 shown]
	ds_store_2addr_b64 v70, v[66:67], v[74:75] offset0:4 offset1:5
	ds_store_2addr_b64 v70, v[76:77], v[78:79] offset0:6 offset1:7
	v_dual_mov_b32 v66, v48 :: v_dual_mov_b32 v67, v49
	v_dual_mov_b32 v74, v14 :: v_dual_mov_b32 v75, v15
	;; [unrolled: 1-line block ×12, first 2 shown]
	ds_store_2addr_b64 v70, v[66:67], v[74:75] offset0:8 offset1:9
	ds_store_2addr_b64 v70, v[76:77], v[78:79] offset0:10 offset1:11
	;; [unrolled: 1-line block ×6, first 2 shown]
	v_dual_mov_b32 v66, v52 :: v_dual_mov_b32 v67, v53
	v_dual_mov_b32 v76, v28 :: v_dual_mov_b32 v77, v29
	;; [unrolled: 1-line block ×9, first 2 shown]
	v_mov_b32_e32 v91, v33
	ds_store_2addr_b64 v70, v[66:67], v[76:77] offset0:20 offset1:21
	ds_store_2addr_b64 v70, v[78:79], v[80:81] offset0:22 offset1:23
	;; [unrolled: 1-line block ×5, first 2 shown]
.LBB58_81:
	s_or_b32 exec_lo, exec_lo, s0
	s_delay_alu instid0(SALU_CYCLE_1)
	s_mov_b32 s0, exec_lo
	s_wait_storecnt_dscnt 0x0
	s_barrier_signal -1
	s_barrier_wait -1
	v_cmpx_lt_i32_e32 3, v74
	s_cbranch_execz .LBB58_83
; %bb.82:
	v_pk_mul_f32 v[76:77], v[68:69], v[56:57] op_sel:[1,1] op_sel_hi:[0,1]
	s_delay_alu instid0(VALU_DEP_1)
	v_pk_fma_f32 v[66:67], v[68:69], v[56:57], v[76:77] op_sel_hi:[1,0,1] neg_lo:[0,0,1] neg_hi:[0,0,1]
	v_pk_fma_f32 v[68:69], v[68:69], v[56:57], v[76:77] op_sel_hi:[1,0,1]
	ds_load_2addr_b64 v[76:79], v70 offset0:4 offset1:5
	v_dual_mov_b32 v56, v66 :: v_dual_mov_b32 v57, v69
	s_wait_dscnt 0x0
	v_pk_mul_f32 v[80:81], v[76:77], v[68:69] op_sel:[0,1]
	s_delay_alu instid0(VALU_DEP_1) | instskip(SKIP_1) | instid1(VALU_DEP_1)
	v_pk_fma_f32 v[82:83], v[76:77], v[66:67], v[80:81] op_sel:[0,0,1] op_sel_hi:[1,1,0] neg_lo:[0,0,1] neg_hi:[0,0,1]
	v_pk_fma_f32 v[76:77], v[76:77], v[66:67], v[80:81] op_sel:[0,0,1] op_sel_hi:[1,0,0]
	v_mov_b32_e32 v83, v77
	v_pk_mul_f32 v[76:77], v[78:79], v[68:69] op_sel:[0,1]
	s_delay_alu instid0(VALU_DEP_1) | instskip(SKIP_1) | instid1(VALU_DEP_1)
	v_pk_fma_f32 v[80:81], v[78:79], v[66:67], v[76:77] op_sel:[0,0,1] op_sel_hi:[1,1,0] neg_lo:[0,0,1] neg_hi:[0,0,1]
	v_pk_fma_f32 v[76:77], v[78:79], v[66:67], v[76:77] op_sel:[0,0,1] op_sel_hi:[1,0,0]
	v_mov_b32_e32 v81, v77
	ds_load_2addr_b64 v[76:79], v70 offset0:6 offset1:7
	v_pk_add_f32 v[46:47], v[46:47], v[82:83] neg_lo:[0,1] neg_hi:[0,1]
	v_pk_add_f32 v[8:9], v[8:9], v[80:81] neg_lo:[0,1] neg_hi:[0,1]
	s_wait_dscnt 0x0
	v_pk_mul_f32 v[80:81], v[76:77], v[68:69] op_sel:[0,1]
	s_delay_alu instid0(VALU_DEP_1) | instskip(SKIP_2) | instid1(VALU_DEP_2)
	v_pk_fma_f32 v[82:83], v[76:77], v[66:67], v[80:81] op_sel:[0,0,1] op_sel_hi:[1,1,0] neg_lo:[0,0,1] neg_hi:[0,0,1]
	v_pk_fma_f32 v[76:77], v[76:77], v[66:67], v[80:81] op_sel:[0,0,1] op_sel_hi:[1,0,0]
	v_dual_mul_f32 v80, v79, v69 :: v_dual_mov_b32 v76, v79
	v_dual_mov_b32 v83, v77 :: v_dual_mov_b32 v77, v78
	s_delay_alu instid0(VALU_DEP_2) | instskip(SKIP_1) | instid1(VALU_DEP_3)
	v_pk_fma_f32 v[80:81], v[78:79], v[56:57], v[80:81] op_sel_hi:[1,1,0] neg_lo:[0,0,1] neg_hi:[0,0,1]
	v_mul_f32_e32 v78, v79, v66
	v_pk_add_f32 v[10:11], v[10:11], v[82:83] neg_lo:[0,1] neg_hi:[0,1]
	s_delay_alu instid0(VALU_DEP_2) | instskip(NEXT) | instid1(VALU_DEP_1)
	v_pk_fma_f32 v[76:77], v[76:77], v[56:57], v[78:79] op_sel_hi:[1,1,0]
	v_mov_b32_e32 v81, v77
	ds_load_2addr_b64 v[76:79], v70 offset0:8 offset1:9
	v_pk_add_f32 v[6:7], v[6:7], v[80:81] neg_lo:[0,1] neg_hi:[0,1]
	s_wait_dscnt 0x0
	v_pk_mul_f32 v[80:81], v[76:77], v[68:69] op_sel:[0,1]
	s_delay_alu instid0(VALU_DEP_1) | instskip(SKIP_1) | instid1(VALU_DEP_1)
	v_pk_fma_f32 v[82:83], v[76:77], v[66:67], v[80:81] op_sel:[0,0,1] op_sel_hi:[1,1,0] neg_lo:[0,0,1] neg_hi:[0,0,1]
	v_pk_fma_f32 v[76:77], v[76:77], v[66:67], v[80:81] op_sel:[0,0,1] op_sel_hi:[1,0,0]
	v_mov_b32_e32 v83, v77
	v_pk_mul_f32 v[76:77], v[78:79], v[68:69] op_sel:[0,1]
	s_delay_alu instid0(VALU_DEP_1) | instskip(SKIP_1) | instid1(VALU_DEP_1)
	v_pk_fma_f32 v[80:81], v[78:79], v[66:67], v[76:77] op_sel:[0,0,1] op_sel_hi:[1,1,0] neg_lo:[0,0,1] neg_hi:[0,0,1]
	v_pk_fma_f32 v[76:77], v[78:79], v[66:67], v[76:77] op_sel:[0,0,1] op_sel_hi:[1,0,0]
	v_mov_b32_e32 v81, v77
	ds_load_2addr_b64 v[76:79], v70 offset0:10 offset1:11
	v_pk_add_f32 v[48:49], v[48:49], v[82:83] neg_lo:[0,1] neg_hi:[0,1]
	v_pk_add_f32 v[14:15], v[14:15], v[80:81] neg_lo:[0,1] neg_hi:[0,1]
	s_wait_dscnt 0x0
	v_pk_mul_f32 v[80:81], v[76:77], v[68:69] op_sel:[0,1]
	s_delay_alu instid0(VALU_DEP_1) | instskip(SKIP_1) | instid1(VALU_DEP_1)
	v_pk_fma_f32 v[82:83], v[76:77], v[66:67], v[80:81] op_sel:[0,0,1] op_sel_hi:[1,1,0] neg_lo:[0,0,1] neg_hi:[0,0,1]
	v_pk_fma_f32 v[76:77], v[76:77], v[66:67], v[80:81] op_sel:[0,0,1] op_sel_hi:[1,0,0]
	v_mov_b32_e32 v83, v77
	v_pk_mul_f32 v[76:77], v[78:79], v[68:69] op_sel:[0,1]
	s_delay_alu instid0(VALU_DEP_1) | instskip(SKIP_1) | instid1(VALU_DEP_1)
	v_pk_fma_f32 v[80:81], v[78:79], v[66:67], v[76:77] op_sel:[0,0,1] op_sel_hi:[1,1,0] neg_lo:[0,0,1] neg_hi:[0,0,1]
	v_pk_fma_f32 v[76:77], v[78:79], v[66:67], v[76:77] op_sel:[0,0,1] op_sel_hi:[1,0,0]
	v_mov_b32_e32 v81, v77
	ds_load_2addr_b64 v[76:79], v70 offset0:12 offset1:13
	v_pk_add_f32 v[16:17], v[16:17], v[82:83] neg_lo:[0,1] neg_hi:[0,1]
	v_pk_add_f32 v[12:13], v[12:13], v[80:81] neg_lo:[0,1] neg_hi:[0,1]
	s_wait_dscnt 0x0
	v_dual_mul_f32 v80, v77, v69 :: v_dual_mul_f32 v82, v77, v66
	s_delay_alu instid0(VALU_DEP_1) | instskip(NEXT) | instid1(VALU_DEP_2)
	v_pk_fma_f32 v[80:81], v[76:77], v[56:57], v[80:81] op_sel_hi:[1,1,0] neg_lo:[0,0,1] neg_hi:[0,0,1]
	v_pk_fma_f32 v[76:77], v[76:77], v[56:57], v[82:83] op_sel:[1,0,0] op_sel_hi:[0,1,0]
	s_delay_alu instid0(VALU_DEP_1) | instskip(SKIP_1) | instid1(VALU_DEP_2)
	v_mov_b32_e32 v81, v77
	v_pk_mul_f32 v[76:77], v[78:79], v[68:69] op_sel:[0,1]
	v_pk_add_f32 v[50:51], v[50:51], v[80:81] neg_lo:[0,1] neg_hi:[0,1]
	s_delay_alu instid0(VALU_DEP_2) | instskip(SKIP_1) | instid1(VALU_DEP_1)
	v_pk_fma_f32 v[80:81], v[78:79], v[66:67], v[76:77] op_sel:[0,0,1] op_sel_hi:[1,1,0] neg_lo:[0,0,1] neg_hi:[0,0,1]
	v_pk_fma_f32 v[76:77], v[78:79], v[66:67], v[76:77] op_sel:[0,0,1] op_sel_hi:[1,0,0]
	v_mov_b32_e32 v81, v77
	ds_load_2addr_b64 v[76:79], v70 offset0:14 offset1:15
	v_pk_add_f32 v[20:21], v[20:21], v[80:81] neg_lo:[0,1] neg_hi:[0,1]
	s_wait_dscnt 0x0
	v_pk_mul_f32 v[80:81], v[76:77], v[68:69] op_sel:[0,1]
	s_delay_alu instid0(VALU_DEP_1) | instskip(SKIP_1) | instid1(VALU_DEP_1)
	v_pk_fma_f32 v[82:83], v[76:77], v[66:67], v[80:81] op_sel:[0,0,1] op_sel_hi:[1,1,0] neg_lo:[0,0,1] neg_hi:[0,0,1]
	v_pk_fma_f32 v[76:77], v[76:77], v[66:67], v[80:81] op_sel:[0,0,1] op_sel_hi:[1,0,0]
	v_mov_b32_e32 v83, v77
	v_pk_mul_f32 v[76:77], v[78:79], v[68:69] op_sel:[0,1]
	s_delay_alu instid0(VALU_DEP_2) | instskip(NEXT) | instid1(VALU_DEP_2)
	v_pk_add_f32 v[22:23], v[22:23], v[82:83] neg_lo:[0,1] neg_hi:[0,1]
	v_pk_fma_f32 v[80:81], v[78:79], v[66:67], v[76:77] op_sel:[0,0,1] op_sel_hi:[1,1,0] neg_lo:[0,0,1] neg_hi:[0,0,1]
	v_pk_fma_f32 v[76:77], v[78:79], v[66:67], v[76:77] op_sel:[0,0,1] op_sel_hi:[1,0,0]
	s_delay_alu instid0(VALU_DEP_1) | instskip(SKIP_4) | instid1(VALU_DEP_1)
	v_mov_b32_e32 v81, v77
	ds_load_2addr_b64 v[76:79], v70 offset0:16 offset1:17
	v_pk_add_f32 v[18:19], v[18:19], v[80:81] neg_lo:[0,1] neg_hi:[0,1]
	s_wait_dscnt 0x0
	v_pk_mul_f32 v[80:81], v[76:77], v[68:69] op_sel:[0,1]
	v_pk_fma_f32 v[82:83], v[76:77], v[66:67], v[80:81] op_sel:[0,0,1] op_sel_hi:[1,1,0] neg_lo:[0,0,1] neg_hi:[0,0,1]
	v_pk_fma_f32 v[76:77], v[76:77], v[66:67], v[80:81] op_sel:[0,0,1] op_sel_hi:[1,0,0]
	v_dual_mul_f32 v80, v79, v69 :: v_dual_mov_b32 v76, v79
	s_delay_alu instid0(VALU_DEP_2) | instskip(NEXT) | instid1(VALU_DEP_2)
	v_dual_mov_b32 v83, v77 :: v_dual_mov_b32 v77, v78
	v_pk_fma_f32 v[80:81], v[78:79], v[56:57], v[80:81] op_sel_hi:[1,1,0] neg_lo:[0,0,1] neg_hi:[0,0,1]
	v_mul_f32_e32 v78, v79, v66
	s_delay_alu instid0(VALU_DEP_3) | instskip(NEXT) | instid1(VALU_DEP_2)
	v_pk_add_f32 v[54:55], v[54:55], v[82:83] neg_lo:[0,1] neg_hi:[0,1]
	v_pk_fma_f32 v[76:77], v[76:77], v[56:57], v[78:79] op_sel_hi:[1,1,0]
	s_delay_alu instid0(VALU_DEP_1) | instskip(SKIP_4) | instid1(VALU_DEP_1)
	v_mov_b32_e32 v81, v77
	ds_load_2addr_b64 v[76:79], v70 offset0:18 offset1:19
	v_pk_add_f32 v[36:37], v[36:37], v[80:81] neg_lo:[0,1] neg_hi:[0,1]
	s_wait_dscnt 0x0
	v_pk_mul_f32 v[80:81], v[76:77], v[68:69] op_sel:[0,1]
	v_pk_fma_f32 v[82:83], v[76:77], v[66:67], v[80:81] op_sel:[0,0,1] op_sel_hi:[1,1,0] neg_lo:[0,0,1] neg_hi:[0,0,1]
	v_pk_fma_f32 v[76:77], v[76:77], v[66:67], v[80:81] op_sel:[0,0,1] op_sel_hi:[1,0,0]
	s_delay_alu instid0(VALU_DEP_1) | instskip(SKIP_1) | instid1(VALU_DEP_1)
	v_mov_b32_e32 v83, v77
	v_pk_mul_f32 v[76:77], v[78:79], v[68:69] op_sel:[0,1]
	v_pk_fma_f32 v[80:81], v[78:79], v[66:67], v[76:77] op_sel:[0,0,1] op_sel_hi:[1,1,0] neg_lo:[0,0,1] neg_hi:[0,0,1]
	v_pk_fma_f32 v[76:77], v[78:79], v[66:67], v[76:77] op_sel:[0,0,1] op_sel_hi:[1,0,0]
	s_delay_alu instid0(VALU_DEP_1)
	v_mov_b32_e32 v81, v77
	ds_load_2addr_b64 v[76:79], v70 offset0:20 offset1:21
	v_pk_add_f32 v[38:39], v[38:39], v[82:83] neg_lo:[0,1] neg_hi:[0,1]
	v_pk_add_f32 v[34:35], v[34:35], v[80:81] neg_lo:[0,1] neg_hi:[0,1]
	s_wait_dscnt 0x0
	v_pk_mul_f32 v[80:81], v[76:77], v[68:69] op_sel:[0,1]
	s_delay_alu instid0(VALU_DEP_1) | instskip(SKIP_1) | instid1(VALU_DEP_1)
	v_pk_fma_f32 v[82:83], v[76:77], v[66:67], v[80:81] op_sel:[0,0,1] op_sel_hi:[1,1,0] neg_lo:[0,0,1] neg_hi:[0,0,1]
	v_pk_fma_f32 v[76:77], v[76:77], v[66:67], v[80:81] op_sel:[0,0,1] op_sel_hi:[1,0,0]
	v_mov_b32_e32 v83, v77
	v_pk_mul_f32 v[76:77], v[78:79], v[68:69] op_sel:[0,1]
	s_delay_alu instid0(VALU_DEP_1) | instskip(SKIP_1) | instid1(VALU_DEP_1)
	v_pk_fma_f32 v[80:81], v[78:79], v[66:67], v[76:77] op_sel:[0,0,1] op_sel_hi:[1,1,0] neg_lo:[0,0,1] neg_hi:[0,0,1]
	v_pk_fma_f32 v[76:77], v[78:79], v[66:67], v[76:77] op_sel:[0,0,1] op_sel_hi:[1,0,0]
	v_mov_b32_e32 v81, v77
	ds_load_2addr_b64 v[76:79], v70 offset0:22 offset1:23
	v_pk_add_f32 v[52:53], v[52:53], v[82:83] neg_lo:[0,1] neg_hi:[0,1]
	v_pk_add_f32 v[28:29], v[28:29], v[80:81] neg_lo:[0,1] neg_hi:[0,1]
	s_wait_dscnt 0x0
	v_dual_mul_f32 v80, v77, v69 :: v_dual_mul_f32 v82, v77, v66
	s_delay_alu instid0(VALU_DEP_1) | instskip(NEXT) | instid1(VALU_DEP_2)
	v_pk_fma_f32 v[80:81], v[76:77], v[56:57], v[80:81] op_sel_hi:[1,1,0] neg_lo:[0,0,1] neg_hi:[0,0,1]
	v_pk_fma_f32 v[76:77], v[76:77], v[56:57], v[82:83] op_sel:[1,0,0] op_sel_hi:[0,1,0]
	s_delay_alu instid0(VALU_DEP_1) | instskip(SKIP_1) | instid1(VALU_DEP_2)
	v_mov_b32_e32 v81, v77
	v_pk_mul_f32 v[76:77], v[78:79], v[68:69] op_sel:[0,1]
	v_pk_add_f32 v[30:31], v[30:31], v[80:81] neg_lo:[0,1] neg_hi:[0,1]
	s_delay_alu instid0(VALU_DEP_2) | instskip(SKIP_1) | instid1(VALU_DEP_1)
	v_pk_fma_f32 v[80:81], v[78:79], v[66:67], v[76:77] op_sel:[0,0,1] op_sel_hi:[1,1,0] neg_lo:[0,0,1] neg_hi:[0,0,1]
	v_pk_fma_f32 v[76:77], v[78:79], v[66:67], v[76:77] op_sel:[0,0,1] op_sel_hi:[1,0,0]
	v_mov_b32_e32 v81, v77
	ds_load_2addr_b64 v[76:79], v70 offset0:24 offset1:25
	v_pk_add_f32 v[26:27], v[26:27], v[80:81] neg_lo:[0,1] neg_hi:[0,1]
	s_wait_dscnt 0x0
	v_pk_mul_f32 v[80:81], v[76:77], v[68:69] op_sel:[0,1]
	s_delay_alu instid0(VALU_DEP_1) | instskip(SKIP_1) | instid1(VALU_DEP_1)
	v_pk_fma_f32 v[82:83], v[76:77], v[66:67], v[80:81] op_sel:[0,0,1] op_sel_hi:[1,1,0] neg_lo:[0,0,1] neg_hi:[0,0,1]
	v_pk_fma_f32 v[76:77], v[76:77], v[66:67], v[80:81] op_sel:[0,0,1] op_sel_hi:[1,0,0]
	v_mov_b32_e32 v83, v77
	v_pk_mul_f32 v[76:77], v[78:79], v[68:69] op_sel:[0,1]
	s_delay_alu instid0(VALU_DEP_2) | instskip(NEXT) | instid1(VALU_DEP_2)
	v_pk_add_f32 v[44:45], v[44:45], v[82:83] neg_lo:[0,1] neg_hi:[0,1]
	v_pk_fma_f32 v[80:81], v[78:79], v[66:67], v[76:77] op_sel:[0,0,1] op_sel_hi:[1,1,0] neg_lo:[0,0,1] neg_hi:[0,0,1]
	v_pk_fma_f32 v[76:77], v[78:79], v[66:67], v[76:77] op_sel:[0,0,1] op_sel_hi:[1,0,0]
	s_delay_alu instid0(VALU_DEP_1) | instskip(SKIP_4) | instid1(VALU_DEP_1)
	v_mov_b32_e32 v81, v77
	ds_load_2addr_b64 v[76:79], v70 offset0:26 offset1:27
	v_pk_add_f32 v[24:25], v[24:25], v[80:81] neg_lo:[0,1] neg_hi:[0,1]
	s_wait_dscnt 0x0
	v_pk_mul_f32 v[80:81], v[76:77], v[68:69] op_sel:[0,1]
	v_pk_fma_f32 v[82:83], v[76:77], v[66:67], v[80:81] op_sel:[0,0,1] op_sel_hi:[1,1,0] neg_lo:[0,0,1] neg_hi:[0,0,1]
	v_pk_fma_f32 v[76:77], v[76:77], v[66:67], v[80:81] op_sel:[0,0,1] op_sel_hi:[1,0,0]
	v_dual_mul_f32 v80, v79, v69 :: v_dual_mov_b32 v76, v79
	s_delay_alu instid0(VALU_DEP_2) | instskip(NEXT) | instid1(VALU_DEP_2)
	v_dual_mov_b32 v83, v77 :: v_dual_mov_b32 v77, v78
	v_pk_fma_f32 v[80:81], v[78:79], v[56:57], v[80:81] op_sel_hi:[1,1,0] neg_lo:[0,0,1] neg_hi:[0,0,1]
	v_mul_f32_e32 v78, v79, v66
	s_delay_alu instid0(VALU_DEP_3) | instskip(NEXT) | instid1(VALU_DEP_2)
	v_pk_add_f32 v[42:43], v[42:43], v[82:83] neg_lo:[0,1] neg_hi:[0,1]
	v_pk_fma_f32 v[76:77], v[76:77], v[56:57], v[78:79] op_sel_hi:[1,1,0]
	s_delay_alu instid0(VALU_DEP_1)
	v_mov_b32_e32 v81, v77
	ds_load_2addr_b64 v[76:79], v70 offset0:28 offset1:29
	v_pk_add_f32 v[40:41], v[40:41], v[80:81] neg_lo:[0,1] neg_hi:[0,1]
	s_wait_dscnt 0x0
	v_pk_mul_f32 v[80:81], v[76:77], v[68:69] op_sel:[0,1]
	v_pk_mul_f32 v[68:69], v[78:79], v[68:69] op_sel:[0,1]
	s_delay_alu instid0(VALU_DEP_2) | instskip(SKIP_1) | instid1(VALU_DEP_1)
	v_pk_fma_f32 v[82:83], v[76:77], v[66:67], v[80:81] op_sel:[0,0,1] op_sel_hi:[1,1,0] neg_lo:[0,0,1] neg_hi:[0,0,1]
	v_pk_fma_f32 v[76:77], v[76:77], v[66:67], v[80:81] op_sel:[0,0,1] op_sel_hi:[1,0,0]
	v_mov_b32_e32 v83, v77
	s_delay_alu instid0(VALU_DEP_4) | instskip(SKIP_1) | instid1(VALU_DEP_1)
	v_pk_fma_f32 v[76:77], v[78:79], v[66:67], v[68:69] op_sel:[0,0,1] op_sel_hi:[1,1,0] neg_lo:[0,0,1] neg_hi:[0,0,1]
	v_pk_fma_f32 v[66:67], v[78:79], v[66:67], v[68:69] op_sel:[0,0,1] op_sel_hi:[1,0,0]
	v_mov_b32_e32 v77, v67
	s_delay_alu instid0(VALU_DEP_4) | instskip(NEXT) | instid1(VALU_DEP_2)
	v_pk_add_f32 v[32:33], v[32:33], v[82:83] neg_lo:[0,1] neg_hi:[0,1]
	v_pk_add_f32 v[64:65], v[64:65], v[76:77] neg_lo:[0,1] neg_hi:[0,1]
.LBB58_83:
	s_or_b32 exec_lo, exec_lo, s0
	v_lshl_add_u32 v66, v74, 3, v70
	s_barrier_signal -1
	s_barrier_wait -1
	ds_store_b64 v66, v[46:47]
	s_wait_dscnt 0x0
	s_barrier_signal -1
	s_barrier_wait -1
	ds_load_b64 v[68:69], v70 offset:32
	v_mov_b32_e32 v66, 4
	s_cmp_lt_i32 s18, 6
	s_cbranch_scc1 .LBB58_86
; %bb.84:
	v_add3_u32 v67, v71, 0, 40
	v_mov_b32_e32 v66, 4
	s_mov_b32 s0, 5
.LBB58_85:                              ; =>This Inner Loop Header: Depth=1
	ds_load_b64 v[76:77], v67
	s_wait_dscnt 0x1
	v_cmp_gt_f32_e32 vcc_lo, 0, v68
	v_cndmask_b32_e64 v78, v68, -v68, vcc_lo
	v_cmp_gt_f32_e32 vcc_lo, 0, v69
	v_cndmask_b32_e64 v80, v69, -v69, vcc_lo
	s_wait_dscnt 0x0
	v_cmp_gt_f32_e32 vcc_lo, 0, v76
	v_cndmask_b32_e64 v79, v76, -v76, vcc_lo
	v_cmp_gt_f32_e32 vcc_lo, 0, v77
	v_cndmask_b32_e64 v81, v77, -v77, vcc_lo
	s_delay_alu instid0(VALU_DEP_1) | instskip(NEXT) | instid1(VALU_DEP_1)
	v_pk_add_f32 v[78:79], v[78:79], v[80:81]
	v_cmp_lt_f32_e32 vcc_lo, v78, v79
	v_dual_add_nc_u32 v67, 8, v67 :: v_dual_cndmask_b32 v69, v69, v77, vcc_lo
	v_cndmask_b32_e32 v68, v68, v76, vcc_lo
	v_cndmask_b32_e64 v66, v66, s0, vcc_lo
	s_add_co_i32 s0, s0, 1
	s_delay_alu instid0(SALU_CYCLE_1)
	s_cmp_lg_u32 s18, s0
	s_cbranch_scc1 .LBB58_85
.LBB58_86:
	s_wait_dscnt 0x0
	v_cmp_eq_f32_e32 vcc_lo, 0, v68
	v_cmp_eq_f32_e64 s0, 0, v69
	s_and_b32 s0, vcc_lo, s0
	s_delay_alu instid0(SALU_CYCLE_1) | instskip(NEXT) | instid1(SALU_CYCLE_1)
	s_and_saveexec_b32 s1, s0
	s_xor_b32 s0, exec_lo, s1
; %bb.87:
	v_cmp_ne_u32_e32 vcc_lo, 0, v72
	v_cndmask_b32_e32 v72, 5, v72, vcc_lo
; %bb.88:
	s_and_not1_saveexec_b32 s0, s0
	s_cbranch_execz .LBB58_94
; %bb.89:
	v_cmp_ngt_f32_e64 s1, |v68|, |v69|
	s_and_saveexec_b32 s12, s1
	s_delay_alu instid0(SALU_CYCLE_1)
	s_xor_b32 s1, exec_lo, s12
	s_cbranch_execz .LBB58_91
; %bb.90:
	v_div_scale_f32 v67, null, v69, v69, v68
	v_div_scale_f32 v77, vcc_lo, v68, v69, v68
	s_delay_alu instid0(VALU_DEP_2) | instskip(SKIP_1) | instid1(TRANS32_DEP_1)
	v_rcp_f32_e32 v75, v67
	v_nop
	v_fma_f32 v76, -v67, v75, 1.0
	s_delay_alu instid0(VALU_DEP_1) | instskip(NEXT) | instid1(VALU_DEP_1)
	v_fmac_f32_e32 v75, v76, v75
	v_mul_f32_e32 v76, v77, v75
	s_delay_alu instid0(VALU_DEP_1) | instskip(NEXT) | instid1(VALU_DEP_1)
	v_fma_f32 v78, -v67, v76, v77
	v_fmac_f32_e32 v76, v78, v75
	s_delay_alu instid0(VALU_DEP_1) | instskip(NEXT) | instid1(VALU_DEP_1)
	v_fma_f32 v67, -v67, v76, v77
	v_div_fmas_f32 v67, v67, v75, v76
	s_delay_alu instid0(VALU_DEP_1) | instskip(NEXT) | instid1(VALU_DEP_1)
	v_div_fixup_f32 v67, v67, v69, v68
	v_fmac_f32_e32 v69, v68, v67
	s_delay_alu instid0(VALU_DEP_1) | instskip(SKIP_1) | instid1(VALU_DEP_2)
	v_div_scale_f32 v68, null, v69, v69, 1.0
	v_div_scale_f32 v77, vcc_lo, 1.0, v69, 1.0
	v_rcp_f32_e32 v75, v68
	v_nop
	s_delay_alu instid0(TRANS32_DEP_1) | instskip(NEXT) | instid1(VALU_DEP_1)
	v_fma_f32 v76, -v68, v75, 1.0
	v_fmac_f32_e32 v75, v76, v75
	s_delay_alu instid0(VALU_DEP_1) | instskip(NEXT) | instid1(VALU_DEP_1)
	v_mul_f32_e32 v76, v77, v75
	v_fma_f32 v78, -v68, v76, v77
	s_delay_alu instid0(VALU_DEP_1) | instskip(NEXT) | instid1(VALU_DEP_1)
	v_fmac_f32_e32 v76, v78, v75
	v_fma_f32 v68, -v68, v76, v77
	s_delay_alu instid0(VALU_DEP_1) | instskip(NEXT) | instid1(VALU_DEP_1)
	v_div_fmas_f32 v68, v68, v75, v76
	v_div_fixup_f32 v69, v68, v69, 1.0
	s_delay_alu instid0(VALU_DEP_1)
	v_mul_f32_e32 v68, v67, v69
	v_xor_b32_e32 v69, 0x80000000, v69
.LBB58_91:
	s_and_not1_saveexec_b32 s1, s1
	s_cbranch_execz .LBB58_93
; %bb.92:
	s_delay_alu instid0(VALU_DEP_1) | instskip(SKIP_1) | instid1(VALU_DEP_2)
	v_div_scale_f32 v67, null, v68, v68, v69
	v_div_scale_f32 v77, vcc_lo, v69, v68, v69
	v_rcp_f32_e32 v75, v67
	v_nop
	s_delay_alu instid0(TRANS32_DEP_1) | instskip(NEXT) | instid1(VALU_DEP_1)
	v_fma_f32 v76, -v67, v75, 1.0
	v_fmac_f32_e32 v75, v76, v75
	s_delay_alu instid0(VALU_DEP_1) | instskip(NEXT) | instid1(VALU_DEP_1)
	v_mul_f32_e32 v76, v77, v75
	v_fma_f32 v78, -v67, v76, v77
	s_delay_alu instid0(VALU_DEP_1) | instskip(NEXT) | instid1(VALU_DEP_1)
	v_fmac_f32_e32 v76, v78, v75
	v_fma_f32 v67, -v67, v76, v77
	s_delay_alu instid0(VALU_DEP_1) | instskip(NEXT) | instid1(VALU_DEP_1)
	v_div_fmas_f32 v67, v67, v75, v76
	v_div_fixup_f32 v67, v67, v68, v69
	s_delay_alu instid0(VALU_DEP_1) | instskip(NEXT) | instid1(VALU_DEP_1)
	v_fmac_f32_e32 v68, v69, v67
	v_div_scale_f32 v69, null, v68, v68, 1.0
	s_delay_alu instid0(VALU_DEP_1) | instskip(SKIP_1) | instid1(TRANS32_DEP_1)
	v_rcp_f32_e32 v75, v69
	v_nop
	v_fma_f32 v76, -v69, v75, 1.0
	s_delay_alu instid0(VALU_DEP_1) | instskip(SKIP_1) | instid1(VALU_DEP_1)
	v_fmac_f32_e32 v75, v76, v75
	v_div_scale_f32 v76, vcc_lo, 1.0, v68, 1.0
	v_mul_f32_e32 v77, v76, v75
	s_delay_alu instid0(VALU_DEP_1) | instskip(NEXT) | instid1(VALU_DEP_1)
	v_fma_f32 v78, -v69, v77, v76
	v_fmac_f32_e32 v77, v78, v75
	s_delay_alu instid0(VALU_DEP_1) | instskip(NEXT) | instid1(VALU_DEP_1)
	v_fma_f32 v69, -v69, v77, v76
	v_div_fmas_f32 v69, v69, v75, v77
	s_delay_alu instid0(VALU_DEP_1) | instskip(NEXT) | instid1(VALU_DEP_1)
	v_div_fixup_f32 v68, v69, v68, 1.0
	v_mul_f32_e64 v69, v67, -v68
.LBB58_93:
	s_or_b32 exec_lo, exec_lo, s1
.LBB58_94:
	s_delay_alu instid0(SALU_CYCLE_1) | instskip(NEXT) | instid1(SALU_CYCLE_1)
	s_or_b32 exec_lo, exec_lo, s0
	s_mov_b32 s0, exec_lo
	v_cmpx_ne_u32_e64 v74, v66
	s_xor_b32 s0, exec_lo, s0
	s_cbranch_execz .LBB58_100
; %bb.95:
	s_mov_b32 s1, exec_lo
	v_cmpx_eq_u32_e32 4, v74
	s_cbranch_execz .LBB58_99
; %bb.96:
	v_cmp_ne_u32_e32 vcc_lo, 4, v66
	s_xor_b32 s12, s16, -1
	s_delay_alu instid0(SALU_CYCLE_1) | instskip(NEXT) | instid1(SALU_CYCLE_1)
	s_and_b32 s13, s12, vcc_lo
	s_and_saveexec_b32 s12, s13
	s_cbranch_execz .LBB58_98
; %bb.97:
	v_ashrrev_i32_e32 v67, 31, v66
	s_delay_alu instid0(VALU_DEP_1)
	v_lshl_add_u64 v[74:75], v[66:67], 2, v[4:5]
	s_clause 0x1
	global_load_b32 v67, v[74:75], off
	global_load_b32 v73, v[4:5], off offset:16
	s_wait_loadcnt 0x1
	global_store_b32 v[4:5], v67, off offset:16
	s_wait_loadcnt 0x0
	global_store_b32 v[74:75], v73, off
.LBB58_98:
	s_wait_xcnt 0x0
	s_or_b32 exec_lo, exec_lo, s12
	v_dual_mov_b32 v74, v66 :: v_dual_mov_b32 v73, v66
.LBB58_99:
	s_or_b32 exec_lo, exec_lo, s1
.LBB58_100:
	s_and_not1_saveexec_b32 s0, s0
	s_cbranch_execz .LBB58_102
; %bb.101:
	v_mov_b32_e32 v74, 4
	ds_store_2addr_b64 v70, v[8:9], v[10:11] offset0:5 offset1:6
	ds_store_2addr_b64 v70, v[6:7], v[48:49] offset0:7 offset1:8
	ds_store_2addr_b64 v70, v[14:15], v[16:17] offset0:9 offset1:10
	ds_store_2addr_b64 v70, v[12:13], v[50:51] offset0:11 offset1:12
	ds_store_2addr_b64 v70, v[20:21], v[22:23] offset0:13 offset1:14
	ds_store_2addr_b64 v70, v[18:19], v[54:55] offset0:15 offset1:16
	ds_store_2addr_b64 v70, v[36:37], v[38:39] offset0:17 offset1:18
	ds_store_2addr_b64 v70, v[34:35], v[52:53] offset0:19 offset1:20
	ds_store_2addr_b64 v70, v[28:29], v[30:31] offset0:21 offset1:22
	ds_store_2addr_b64 v70, v[26:27], v[44:45] offset0:23 offset1:24
	ds_store_2addr_b64 v70, v[24:25], v[42:43] offset0:25 offset1:26
	ds_store_2addr_b64 v70, v[40:41], v[32:33] offset0:27 offset1:28
	ds_store_b64 v70, v[64:65] offset:232
.LBB58_102:
	s_or_b32 exec_lo, exec_lo, s0
	s_delay_alu instid0(SALU_CYCLE_1)
	s_mov_b32 s0, exec_lo
	s_wait_storecnt_dscnt 0x0
	s_barrier_signal -1
	s_barrier_wait -1
	v_cmpx_lt_i32_e32 4, v74
	s_cbranch_execz .LBB58_104
; %bb.103:
	v_pk_mul_f32 v[76:77], v[68:69], v[46:47] op_sel:[1,1] op_sel_hi:[0,1]
	s_delay_alu instid0(VALU_DEP_1)
	v_pk_fma_f32 v[66:67], v[68:69], v[46:47], v[76:77] op_sel_hi:[1,0,1] neg_lo:[0,0,1] neg_hi:[0,0,1]
	v_pk_fma_f32 v[68:69], v[68:69], v[46:47], v[76:77] op_sel_hi:[1,0,1]
	ds_load_2addr_b64 v[76:79], v70 offset0:5 offset1:6
	v_dual_mov_b32 v46, v66 :: v_dual_mov_b32 v47, v69
	s_wait_dscnt 0x0
	v_pk_mul_f32 v[80:81], v[76:77], v[68:69] op_sel:[0,1]
	s_delay_alu instid0(VALU_DEP_1) | instskip(SKIP_1) | instid1(VALU_DEP_1)
	v_pk_fma_f32 v[82:83], v[76:77], v[66:67], v[80:81] op_sel:[0,0,1] op_sel_hi:[1,1,0] neg_lo:[0,0,1] neg_hi:[0,0,1]
	v_pk_fma_f32 v[76:77], v[76:77], v[66:67], v[80:81] op_sel:[0,0,1] op_sel_hi:[1,0,0]
	v_mov_b32_e32 v83, v77
	v_pk_mul_f32 v[76:77], v[78:79], v[68:69] op_sel:[0,1]
	s_delay_alu instid0(VALU_DEP_1) | instskip(SKIP_1) | instid1(VALU_DEP_1)
	v_pk_fma_f32 v[80:81], v[78:79], v[66:67], v[76:77] op_sel:[0,0,1] op_sel_hi:[1,1,0] neg_lo:[0,0,1] neg_hi:[0,0,1]
	v_pk_fma_f32 v[76:77], v[78:79], v[66:67], v[76:77] op_sel:[0,0,1] op_sel_hi:[1,0,0]
	v_mov_b32_e32 v81, v77
	ds_load_2addr_b64 v[76:79], v70 offset0:7 offset1:8
	v_pk_add_f32 v[8:9], v[8:9], v[82:83] neg_lo:[0,1] neg_hi:[0,1]
	v_pk_add_f32 v[10:11], v[10:11], v[80:81] neg_lo:[0,1] neg_hi:[0,1]
	s_wait_dscnt 0x0
	v_pk_mul_f32 v[80:81], v[76:77], v[68:69] op_sel:[0,1]
	s_delay_alu instid0(VALU_DEP_1) | instskip(SKIP_2) | instid1(VALU_DEP_2)
	v_pk_fma_f32 v[82:83], v[76:77], v[66:67], v[80:81] op_sel:[0,0,1] op_sel_hi:[1,1,0] neg_lo:[0,0,1] neg_hi:[0,0,1]
	v_pk_fma_f32 v[76:77], v[76:77], v[66:67], v[80:81] op_sel:[0,0,1] op_sel_hi:[1,0,0]
	v_dual_mul_f32 v80, v79, v69 :: v_dual_mov_b32 v76, v79
	v_dual_mov_b32 v83, v77 :: v_dual_mov_b32 v77, v78
	s_delay_alu instid0(VALU_DEP_2) | instskip(SKIP_1) | instid1(VALU_DEP_3)
	v_pk_fma_f32 v[80:81], v[78:79], v[46:47], v[80:81] op_sel_hi:[1,1,0] neg_lo:[0,0,1] neg_hi:[0,0,1]
	v_mul_f32_e32 v78, v79, v66
	v_pk_add_f32 v[6:7], v[6:7], v[82:83] neg_lo:[0,1] neg_hi:[0,1]
	s_delay_alu instid0(VALU_DEP_2) | instskip(NEXT) | instid1(VALU_DEP_1)
	v_pk_fma_f32 v[76:77], v[76:77], v[46:47], v[78:79] op_sel_hi:[1,1,0]
	v_mov_b32_e32 v81, v77
	ds_load_2addr_b64 v[76:79], v70 offset0:9 offset1:10
	v_pk_add_f32 v[48:49], v[48:49], v[80:81] neg_lo:[0,1] neg_hi:[0,1]
	s_wait_dscnt 0x0
	v_pk_mul_f32 v[80:81], v[76:77], v[68:69] op_sel:[0,1]
	s_delay_alu instid0(VALU_DEP_1) | instskip(SKIP_1) | instid1(VALU_DEP_1)
	v_pk_fma_f32 v[82:83], v[76:77], v[66:67], v[80:81] op_sel:[0,0,1] op_sel_hi:[1,1,0] neg_lo:[0,0,1] neg_hi:[0,0,1]
	v_pk_fma_f32 v[76:77], v[76:77], v[66:67], v[80:81] op_sel:[0,0,1] op_sel_hi:[1,0,0]
	v_mov_b32_e32 v83, v77
	v_pk_mul_f32 v[76:77], v[78:79], v[68:69] op_sel:[0,1]
	s_delay_alu instid0(VALU_DEP_1) | instskip(SKIP_1) | instid1(VALU_DEP_1)
	v_pk_fma_f32 v[80:81], v[78:79], v[66:67], v[76:77] op_sel:[0,0,1] op_sel_hi:[1,1,0] neg_lo:[0,0,1] neg_hi:[0,0,1]
	v_pk_fma_f32 v[76:77], v[78:79], v[66:67], v[76:77] op_sel:[0,0,1] op_sel_hi:[1,0,0]
	v_mov_b32_e32 v81, v77
	ds_load_2addr_b64 v[76:79], v70 offset0:11 offset1:12
	v_pk_add_f32 v[14:15], v[14:15], v[82:83] neg_lo:[0,1] neg_hi:[0,1]
	v_pk_add_f32 v[16:17], v[16:17], v[80:81] neg_lo:[0,1] neg_hi:[0,1]
	s_wait_dscnt 0x0
	v_pk_mul_f32 v[80:81], v[76:77], v[68:69] op_sel:[0,1]
	s_delay_alu instid0(VALU_DEP_1) | instskip(SKIP_1) | instid1(VALU_DEP_1)
	v_pk_fma_f32 v[82:83], v[76:77], v[66:67], v[80:81] op_sel:[0,0,1] op_sel_hi:[1,1,0] neg_lo:[0,0,1] neg_hi:[0,0,1]
	v_pk_fma_f32 v[76:77], v[76:77], v[66:67], v[80:81] op_sel:[0,0,1] op_sel_hi:[1,0,0]
	v_mov_b32_e32 v83, v77
	v_pk_mul_f32 v[76:77], v[78:79], v[68:69] op_sel:[0,1]
	s_delay_alu instid0(VALU_DEP_1) | instskip(SKIP_1) | instid1(VALU_DEP_1)
	v_pk_fma_f32 v[80:81], v[78:79], v[66:67], v[76:77] op_sel:[0,0,1] op_sel_hi:[1,1,0] neg_lo:[0,0,1] neg_hi:[0,0,1]
	v_pk_fma_f32 v[76:77], v[78:79], v[66:67], v[76:77] op_sel:[0,0,1] op_sel_hi:[1,0,0]
	v_mov_b32_e32 v81, v77
	ds_load_2addr_b64 v[76:79], v70 offset0:13 offset1:14
	v_pk_add_f32 v[12:13], v[12:13], v[82:83] neg_lo:[0,1] neg_hi:[0,1]
	v_pk_add_f32 v[50:51], v[50:51], v[80:81] neg_lo:[0,1] neg_hi:[0,1]
	s_wait_dscnt 0x0
	v_dual_mul_f32 v80, v77, v69 :: v_dual_mul_f32 v82, v77, v66
	s_delay_alu instid0(VALU_DEP_1) | instskip(NEXT) | instid1(VALU_DEP_2)
	v_pk_fma_f32 v[80:81], v[76:77], v[46:47], v[80:81] op_sel_hi:[1,1,0] neg_lo:[0,0,1] neg_hi:[0,0,1]
	v_pk_fma_f32 v[76:77], v[76:77], v[46:47], v[82:83] op_sel:[1,0,0] op_sel_hi:[0,1,0]
	s_delay_alu instid0(VALU_DEP_1) | instskip(SKIP_1) | instid1(VALU_DEP_2)
	v_mov_b32_e32 v81, v77
	v_pk_mul_f32 v[76:77], v[78:79], v[68:69] op_sel:[0,1]
	v_pk_add_f32 v[20:21], v[20:21], v[80:81] neg_lo:[0,1] neg_hi:[0,1]
	s_delay_alu instid0(VALU_DEP_2) | instskip(SKIP_1) | instid1(VALU_DEP_1)
	v_pk_fma_f32 v[80:81], v[78:79], v[66:67], v[76:77] op_sel:[0,0,1] op_sel_hi:[1,1,0] neg_lo:[0,0,1] neg_hi:[0,0,1]
	v_pk_fma_f32 v[76:77], v[78:79], v[66:67], v[76:77] op_sel:[0,0,1] op_sel_hi:[1,0,0]
	v_mov_b32_e32 v81, v77
	ds_load_2addr_b64 v[76:79], v70 offset0:15 offset1:16
	v_pk_add_f32 v[22:23], v[22:23], v[80:81] neg_lo:[0,1] neg_hi:[0,1]
	s_wait_dscnt 0x0
	v_pk_mul_f32 v[80:81], v[76:77], v[68:69] op_sel:[0,1]
	s_delay_alu instid0(VALU_DEP_1) | instskip(SKIP_1) | instid1(VALU_DEP_1)
	v_pk_fma_f32 v[82:83], v[76:77], v[66:67], v[80:81] op_sel:[0,0,1] op_sel_hi:[1,1,0] neg_lo:[0,0,1] neg_hi:[0,0,1]
	v_pk_fma_f32 v[76:77], v[76:77], v[66:67], v[80:81] op_sel:[0,0,1] op_sel_hi:[1,0,0]
	v_mov_b32_e32 v83, v77
	v_pk_mul_f32 v[76:77], v[78:79], v[68:69] op_sel:[0,1]
	s_delay_alu instid0(VALU_DEP_2) | instskip(NEXT) | instid1(VALU_DEP_2)
	v_pk_add_f32 v[18:19], v[18:19], v[82:83] neg_lo:[0,1] neg_hi:[0,1]
	v_pk_fma_f32 v[80:81], v[78:79], v[66:67], v[76:77] op_sel:[0,0,1] op_sel_hi:[1,1,0] neg_lo:[0,0,1] neg_hi:[0,0,1]
	v_pk_fma_f32 v[76:77], v[78:79], v[66:67], v[76:77] op_sel:[0,0,1] op_sel_hi:[1,0,0]
	s_delay_alu instid0(VALU_DEP_1) | instskip(SKIP_4) | instid1(VALU_DEP_1)
	v_mov_b32_e32 v81, v77
	ds_load_2addr_b64 v[76:79], v70 offset0:17 offset1:18
	v_pk_add_f32 v[54:55], v[54:55], v[80:81] neg_lo:[0,1] neg_hi:[0,1]
	s_wait_dscnt 0x0
	v_pk_mul_f32 v[80:81], v[76:77], v[68:69] op_sel:[0,1]
	v_pk_fma_f32 v[82:83], v[76:77], v[66:67], v[80:81] op_sel:[0,0,1] op_sel_hi:[1,1,0] neg_lo:[0,0,1] neg_hi:[0,0,1]
	v_pk_fma_f32 v[76:77], v[76:77], v[66:67], v[80:81] op_sel:[0,0,1] op_sel_hi:[1,0,0]
	v_dual_mul_f32 v80, v79, v69 :: v_dual_mov_b32 v76, v79
	s_delay_alu instid0(VALU_DEP_2) | instskip(NEXT) | instid1(VALU_DEP_2)
	v_dual_mov_b32 v83, v77 :: v_dual_mov_b32 v77, v78
	v_pk_fma_f32 v[80:81], v[78:79], v[46:47], v[80:81] op_sel_hi:[1,1,0] neg_lo:[0,0,1] neg_hi:[0,0,1]
	v_mul_f32_e32 v78, v79, v66
	s_delay_alu instid0(VALU_DEP_3) | instskip(NEXT) | instid1(VALU_DEP_2)
	v_pk_add_f32 v[36:37], v[36:37], v[82:83] neg_lo:[0,1] neg_hi:[0,1]
	v_pk_fma_f32 v[76:77], v[76:77], v[46:47], v[78:79] op_sel_hi:[1,1,0]
	s_delay_alu instid0(VALU_DEP_1) | instskip(SKIP_4) | instid1(VALU_DEP_1)
	v_mov_b32_e32 v81, v77
	ds_load_2addr_b64 v[76:79], v70 offset0:19 offset1:20
	v_pk_add_f32 v[38:39], v[38:39], v[80:81] neg_lo:[0,1] neg_hi:[0,1]
	s_wait_dscnt 0x0
	v_pk_mul_f32 v[80:81], v[76:77], v[68:69] op_sel:[0,1]
	v_pk_fma_f32 v[82:83], v[76:77], v[66:67], v[80:81] op_sel:[0,0,1] op_sel_hi:[1,1,0] neg_lo:[0,0,1] neg_hi:[0,0,1]
	v_pk_fma_f32 v[76:77], v[76:77], v[66:67], v[80:81] op_sel:[0,0,1] op_sel_hi:[1,0,0]
	s_delay_alu instid0(VALU_DEP_1) | instskip(SKIP_1) | instid1(VALU_DEP_1)
	v_mov_b32_e32 v83, v77
	v_pk_mul_f32 v[76:77], v[78:79], v[68:69] op_sel:[0,1]
	v_pk_fma_f32 v[80:81], v[78:79], v[66:67], v[76:77] op_sel:[0,0,1] op_sel_hi:[1,1,0] neg_lo:[0,0,1] neg_hi:[0,0,1]
	v_pk_fma_f32 v[76:77], v[78:79], v[66:67], v[76:77] op_sel:[0,0,1] op_sel_hi:[1,0,0]
	s_delay_alu instid0(VALU_DEP_1)
	v_mov_b32_e32 v81, v77
	ds_load_2addr_b64 v[76:79], v70 offset0:21 offset1:22
	v_pk_add_f32 v[34:35], v[34:35], v[82:83] neg_lo:[0,1] neg_hi:[0,1]
	v_pk_add_f32 v[52:53], v[52:53], v[80:81] neg_lo:[0,1] neg_hi:[0,1]
	s_wait_dscnt 0x0
	v_pk_mul_f32 v[80:81], v[76:77], v[68:69] op_sel:[0,1]
	s_delay_alu instid0(VALU_DEP_1) | instskip(SKIP_1) | instid1(VALU_DEP_1)
	v_pk_fma_f32 v[82:83], v[76:77], v[66:67], v[80:81] op_sel:[0,0,1] op_sel_hi:[1,1,0] neg_lo:[0,0,1] neg_hi:[0,0,1]
	v_pk_fma_f32 v[76:77], v[76:77], v[66:67], v[80:81] op_sel:[0,0,1] op_sel_hi:[1,0,0]
	v_mov_b32_e32 v83, v77
	v_pk_mul_f32 v[76:77], v[78:79], v[68:69] op_sel:[0,1]
	s_delay_alu instid0(VALU_DEP_1) | instskip(SKIP_1) | instid1(VALU_DEP_1)
	v_pk_fma_f32 v[80:81], v[78:79], v[66:67], v[76:77] op_sel:[0,0,1] op_sel_hi:[1,1,0] neg_lo:[0,0,1] neg_hi:[0,0,1]
	v_pk_fma_f32 v[76:77], v[78:79], v[66:67], v[76:77] op_sel:[0,0,1] op_sel_hi:[1,0,0]
	v_mov_b32_e32 v81, v77
	ds_load_2addr_b64 v[76:79], v70 offset0:23 offset1:24
	v_pk_add_f32 v[28:29], v[28:29], v[82:83] neg_lo:[0,1] neg_hi:[0,1]
	v_pk_add_f32 v[30:31], v[30:31], v[80:81] neg_lo:[0,1] neg_hi:[0,1]
	s_wait_dscnt 0x0
	v_dual_mul_f32 v80, v77, v69 :: v_dual_mul_f32 v82, v77, v66
	s_delay_alu instid0(VALU_DEP_1) | instskip(NEXT) | instid1(VALU_DEP_2)
	v_pk_fma_f32 v[80:81], v[76:77], v[46:47], v[80:81] op_sel_hi:[1,1,0] neg_lo:[0,0,1] neg_hi:[0,0,1]
	v_pk_fma_f32 v[76:77], v[76:77], v[46:47], v[82:83] op_sel:[1,0,0] op_sel_hi:[0,1,0]
	s_delay_alu instid0(VALU_DEP_1) | instskip(SKIP_1) | instid1(VALU_DEP_2)
	v_mov_b32_e32 v81, v77
	v_pk_mul_f32 v[76:77], v[78:79], v[68:69] op_sel:[0,1]
	v_pk_add_f32 v[26:27], v[26:27], v[80:81] neg_lo:[0,1] neg_hi:[0,1]
	s_delay_alu instid0(VALU_DEP_2) | instskip(SKIP_1) | instid1(VALU_DEP_1)
	v_pk_fma_f32 v[80:81], v[78:79], v[66:67], v[76:77] op_sel:[0,0,1] op_sel_hi:[1,1,0] neg_lo:[0,0,1] neg_hi:[0,0,1]
	v_pk_fma_f32 v[76:77], v[78:79], v[66:67], v[76:77] op_sel:[0,0,1] op_sel_hi:[1,0,0]
	v_mov_b32_e32 v81, v77
	ds_load_2addr_b64 v[76:79], v70 offset0:25 offset1:26
	v_pk_add_f32 v[44:45], v[44:45], v[80:81] neg_lo:[0,1] neg_hi:[0,1]
	s_wait_dscnt 0x0
	v_pk_mul_f32 v[80:81], v[76:77], v[68:69] op_sel:[0,1]
	s_delay_alu instid0(VALU_DEP_1) | instskip(SKIP_1) | instid1(VALU_DEP_1)
	v_pk_fma_f32 v[82:83], v[76:77], v[66:67], v[80:81] op_sel:[0,0,1] op_sel_hi:[1,1,0] neg_lo:[0,0,1] neg_hi:[0,0,1]
	v_pk_fma_f32 v[76:77], v[76:77], v[66:67], v[80:81] op_sel:[0,0,1] op_sel_hi:[1,0,0]
	v_mov_b32_e32 v83, v77
	v_pk_mul_f32 v[76:77], v[78:79], v[68:69] op_sel:[0,1]
	s_delay_alu instid0(VALU_DEP_2) | instskip(NEXT) | instid1(VALU_DEP_2)
	v_pk_add_f32 v[24:25], v[24:25], v[82:83] neg_lo:[0,1] neg_hi:[0,1]
	v_pk_fma_f32 v[80:81], v[78:79], v[66:67], v[76:77] op_sel:[0,0,1] op_sel_hi:[1,1,0] neg_lo:[0,0,1] neg_hi:[0,0,1]
	v_pk_fma_f32 v[76:77], v[78:79], v[66:67], v[76:77] op_sel:[0,0,1] op_sel_hi:[1,0,0]
	s_delay_alu instid0(VALU_DEP_1) | instskip(SKIP_4) | instid1(VALU_DEP_1)
	v_mov_b32_e32 v81, v77
	ds_load_2addr_b64 v[76:79], v70 offset0:27 offset1:28
	v_pk_add_f32 v[42:43], v[42:43], v[80:81] neg_lo:[0,1] neg_hi:[0,1]
	s_wait_dscnt 0x0
	v_pk_mul_f32 v[80:81], v[76:77], v[68:69] op_sel:[0,1]
	v_pk_fma_f32 v[82:83], v[76:77], v[66:67], v[80:81] op_sel:[0,0,1] op_sel_hi:[1,1,0] neg_lo:[0,0,1] neg_hi:[0,0,1]
	v_pk_fma_f32 v[76:77], v[76:77], v[66:67], v[80:81] op_sel:[0,0,1] op_sel_hi:[1,0,0]
	v_dual_mul_f32 v80, v79, v69 :: v_dual_mov_b32 v76, v79
	s_delay_alu instid0(VALU_DEP_2) | instskip(NEXT) | instid1(VALU_DEP_2)
	v_dual_mov_b32 v83, v77 :: v_dual_mov_b32 v77, v78
	v_pk_fma_f32 v[80:81], v[78:79], v[46:47], v[80:81] op_sel_hi:[1,1,0] neg_lo:[0,0,1] neg_hi:[0,0,1]
	v_mul_f32_e32 v78, v79, v66
	s_delay_alu instid0(VALU_DEP_3) | instskip(NEXT) | instid1(VALU_DEP_2)
	v_pk_add_f32 v[40:41], v[40:41], v[82:83] neg_lo:[0,1] neg_hi:[0,1]
	v_pk_fma_f32 v[76:77], v[76:77], v[46:47], v[78:79] op_sel_hi:[1,1,0]
	s_delay_alu instid0(VALU_DEP_1) | instskip(SKIP_4) | instid1(VALU_DEP_1)
	v_mov_b32_e32 v81, v77
	ds_load_b64 v[76:77], v70 offset:232
	v_pk_add_f32 v[32:33], v[32:33], v[80:81] neg_lo:[0,1] neg_hi:[0,1]
	s_wait_dscnt 0x0
	v_pk_mul_f32 v[68:69], v[76:77], v[68:69] op_sel:[0,1]
	v_pk_fma_f32 v[78:79], v[76:77], v[66:67], v[68:69] op_sel:[0,0,1] op_sel_hi:[1,1,0] neg_lo:[0,0,1] neg_hi:[0,0,1]
	v_pk_fma_f32 v[66:67], v[76:77], v[66:67], v[68:69] op_sel:[0,0,1] op_sel_hi:[1,0,0]
	s_delay_alu instid0(VALU_DEP_1) | instskip(NEXT) | instid1(VALU_DEP_1)
	v_mov_b32_e32 v79, v67
	v_pk_add_f32 v[64:65], v[64:65], v[78:79] neg_lo:[0,1] neg_hi:[0,1]
.LBB58_104:
	s_or_b32 exec_lo, exec_lo, s0
	v_lshl_add_u32 v66, v74, 3, v70
	s_barrier_signal -1
	s_barrier_wait -1
	ds_store_b64 v66, v[8:9]
	s_wait_dscnt 0x0
	s_barrier_signal -1
	s_barrier_wait -1
	ds_load_b64 v[68:69], v70 offset:40
	v_mov_b32_e32 v66, 5
	s_cmp_lt_i32 s18, 7
	s_cbranch_scc1 .LBB58_107
; %bb.105:
	v_add3_u32 v67, v71, 0, 48
	v_mov_b32_e32 v66, 5
	s_mov_b32 s0, 6
.LBB58_106:                             ; =>This Inner Loop Header: Depth=1
	ds_load_b64 v[76:77], v67
	s_wait_dscnt 0x1
	v_cmp_gt_f32_e32 vcc_lo, 0, v68
	v_cndmask_b32_e64 v78, v68, -v68, vcc_lo
	v_cmp_gt_f32_e32 vcc_lo, 0, v69
	v_cndmask_b32_e64 v80, v69, -v69, vcc_lo
	s_wait_dscnt 0x0
	v_cmp_gt_f32_e32 vcc_lo, 0, v76
	v_cndmask_b32_e64 v79, v76, -v76, vcc_lo
	v_cmp_gt_f32_e32 vcc_lo, 0, v77
	v_cndmask_b32_e64 v81, v77, -v77, vcc_lo
	s_delay_alu instid0(VALU_DEP_1) | instskip(NEXT) | instid1(VALU_DEP_1)
	v_pk_add_f32 v[78:79], v[78:79], v[80:81]
	v_cmp_lt_f32_e32 vcc_lo, v78, v79
	v_dual_add_nc_u32 v67, 8, v67 :: v_dual_cndmask_b32 v69, v69, v77, vcc_lo
	v_cndmask_b32_e32 v68, v68, v76, vcc_lo
	v_cndmask_b32_e64 v66, v66, s0, vcc_lo
	s_add_co_i32 s0, s0, 1
	s_delay_alu instid0(SALU_CYCLE_1)
	s_cmp_lg_u32 s18, s0
	s_cbranch_scc1 .LBB58_106
.LBB58_107:
	s_wait_dscnt 0x0
	v_cmp_eq_f32_e32 vcc_lo, 0, v68
	v_cmp_eq_f32_e64 s0, 0, v69
	s_and_b32 s0, vcc_lo, s0
	s_delay_alu instid0(SALU_CYCLE_1) | instskip(NEXT) | instid1(SALU_CYCLE_1)
	s_and_saveexec_b32 s1, s0
	s_xor_b32 s0, exec_lo, s1
; %bb.108:
	v_cmp_ne_u32_e32 vcc_lo, 0, v72
	v_cndmask_b32_e32 v72, 6, v72, vcc_lo
; %bb.109:
	s_and_not1_saveexec_b32 s0, s0
	s_cbranch_execz .LBB58_115
; %bb.110:
	v_cmp_ngt_f32_e64 s1, |v68|, |v69|
	s_and_saveexec_b32 s12, s1
	s_delay_alu instid0(SALU_CYCLE_1)
	s_xor_b32 s1, exec_lo, s12
	s_cbranch_execz .LBB58_112
; %bb.111:
	v_div_scale_f32 v67, null, v69, v69, v68
	v_div_scale_f32 v77, vcc_lo, v68, v69, v68
	s_delay_alu instid0(VALU_DEP_2) | instskip(SKIP_1) | instid1(TRANS32_DEP_1)
	v_rcp_f32_e32 v75, v67
	v_nop
	v_fma_f32 v76, -v67, v75, 1.0
	s_delay_alu instid0(VALU_DEP_1) | instskip(NEXT) | instid1(VALU_DEP_1)
	v_fmac_f32_e32 v75, v76, v75
	v_mul_f32_e32 v76, v77, v75
	s_delay_alu instid0(VALU_DEP_1) | instskip(NEXT) | instid1(VALU_DEP_1)
	v_fma_f32 v78, -v67, v76, v77
	v_fmac_f32_e32 v76, v78, v75
	s_delay_alu instid0(VALU_DEP_1) | instskip(NEXT) | instid1(VALU_DEP_1)
	v_fma_f32 v67, -v67, v76, v77
	v_div_fmas_f32 v67, v67, v75, v76
	s_delay_alu instid0(VALU_DEP_1) | instskip(NEXT) | instid1(VALU_DEP_1)
	v_div_fixup_f32 v67, v67, v69, v68
	v_fmac_f32_e32 v69, v68, v67
	s_delay_alu instid0(VALU_DEP_1) | instskip(SKIP_1) | instid1(VALU_DEP_2)
	v_div_scale_f32 v68, null, v69, v69, 1.0
	v_div_scale_f32 v77, vcc_lo, 1.0, v69, 1.0
	v_rcp_f32_e32 v75, v68
	v_nop
	s_delay_alu instid0(TRANS32_DEP_1) | instskip(NEXT) | instid1(VALU_DEP_1)
	v_fma_f32 v76, -v68, v75, 1.0
	v_fmac_f32_e32 v75, v76, v75
	s_delay_alu instid0(VALU_DEP_1) | instskip(NEXT) | instid1(VALU_DEP_1)
	v_mul_f32_e32 v76, v77, v75
	v_fma_f32 v78, -v68, v76, v77
	s_delay_alu instid0(VALU_DEP_1) | instskip(NEXT) | instid1(VALU_DEP_1)
	v_fmac_f32_e32 v76, v78, v75
	v_fma_f32 v68, -v68, v76, v77
	s_delay_alu instid0(VALU_DEP_1) | instskip(NEXT) | instid1(VALU_DEP_1)
	v_div_fmas_f32 v68, v68, v75, v76
	v_div_fixup_f32 v69, v68, v69, 1.0
	s_delay_alu instid0(VALU_DEP_1)
	v_mul_f32_e32 v68, v67, v69
	v_xor_b32_e32 v69, 0x80000000, v69
.LBB58_112:
	s_and_not1_saveexec_b32 s1, s1
	s_cbranch_execz .LBB58_114
; %bb.113:
	s_delay_alu instid0(VALU_DEP_1) | instskip(SKIP_1) | instid1(VALU_DEP_2)
	v_div_scale_f32 v67, null, v68, v68, v69
	v_div_scale_f32 v77, vcc_lo, v69, v68, v69
	v_rcp_f32_e32 v75, v67
	v_nop
	s_delay_alu instid0(TRANS32_DEP_1) | instskip(NEXT) | instid1(VALU_DEP_1)
	v_fma_f32 v76, -v67, v75, 1.0
	v_fmac_f32_e32 v75, v76, v75
	s_delay_alu instid0(VALU_DEP_1) | instskip(NEXT) | instid1(VALU_DEP_1)
	v_mul_f32_e32 v76, v77, v75
	v_fma_f32 v78, -v67, v76, v77
	s_delay_alu instid0(VALU_DEP_1) | instskip(NEXT) | instid1(VALU_DEP_1)
	v_fmac_f32_e32 v76, v78, v75
	v_fma_f32 v67, -v67, v76, v77
	s_delay_alu instid0(VALU_DEP_1) | instskip(NEXT) | instid1(VALU_DEP_1)
	v_div_fmas_f32 v67, v67, v75, v76
	v_div_fixup_f32 v67, v67, v68, v69
	s_delay_alu instid0(VALU_DEP_1) | instskip(NEXT) | instid1(VALU_DEP_1)
	v_fmac_f32_e32 v68, v69, v67
	v_div_scale_f32 v69, null, v68, v68, 1.0
	s_delay_alu instid0(VALU_DEP_1) | instskip(SKIP_1) | instid1(TRANS32_DEP_1)
	v_rcp_f32_e32 v75, v69
	v_nop
	v_fma_f32 v76, -v69, v75, 1.0
	s_delay_alu instid0(VALU_DEP_1) | instskip(SKIP_1) | instid1(VALU_DEP_1)
	v_fmac_f32_e32 v75, v76, v75
	v_div_scale_f32 v76, vcc_lo, 1.0, v68, 1.0
	v_mul_f32_e32 v77, v76, v75
	s_delay_alu instid0(VALU_DEP_1) | instskip(NEXT) | instid1(VALU_DEP_1)
	v_fma_f32 v78, -v69, v77, v76
	v_fmac_f32_e32 v77, v78, v75
	s_delay_alu instid0(VALU_DEP_1) | instskip(NEXT) | instid1(VALU_DEP_1)
	v_fma_f32 v69, -v69, v77, v76
	v_div_fmas_f32 v69, v69, v75, v77
	s_delay_alu instid0(VALU_DEP_1) | instskip(NEXT) | instid1(VALU_DEP_1)
	v_div_fixup_f32 v68, v69, v68, 1.0
	v_mul_f32_e64 v69, v67, -v68
.LBB58_114:
	s_or_b32 exec_lo, exec_lo, s1
.LBB58_115:
	s_delay_alu instid0(SALU_CYCLE_1) | instskip(NEXT) | instid1(SALU_CYCLE_1)
	s_or_b32 exec_lo, exec_lo, s0
	s_mov_b32 s0, exec_lo
	v_cmpx_ne_u32_e64 v74, v66
	s_xor_b32 s0, exec_lo, s0
	s_cbranch_execz .LBB58_121
; %bb.116:
	s_mov_b32 s1, exec_lo
	v_cmpx_eq_u32_e32 5, v74
	s_cbranch_execz .LBB58_120
; %bb.117:
	v_cmp_ne_u32_e32 vcc_lo, 5, v66
	s_xor_b32 s12, s16, -1
	s_delay_alu instid0(SALU_CYCLE_1) | instskip(NEXT) | instid1(SALU_CYCLE_1)
	s_and_b32 s13, s12, vcc_lo
	s_and_saveexec_b32 s12, s13
	s_cbranch_execz .LBB58_119
; %bb.118:
	v_ashrrev_i32_e32 v67, 31, v66
	s_delay_alu instid0(VALU_DEP_1)
	v_lshl_add_u64 v[74:75], v[66:67], 2, v[4:5]
	s_clause 0x1
	global_load_b32 v67, v[74:75], off
	global_load_b32 v73, v[4:5], off offset:20
	s_wait_loadcnt 0x1
	global_store_b32 v[4:5], v67, off offset:20
	s_wait_loadcnt 0x0
	global_store_b32 v[74:75], v73, off
.LBB58_119:
	s_wait_xcnt 0x0
	s_or_b32 exec_lo, exec_lo, s12
	v_dual_mov_b32 v74, v66 :: v_dual_mov_b32 v73, v66
.LBB58_120:
	s_or_b32 exec_lo, exec_lo, s1
.LBB58_121:
	s_and_not1_saveexec_b32 s0, s0
	s_cbranch_execz .LBB58_123
; %bb.122:
	v_dual_mov_b32 v66, v10 :: v_dual_mov_b32 v67, v11
	v_dual_mov_b32 v74, v6 :: v_dual_mov_b32 v75, v7
	;; [unrolled: 1-line block ×4, first 2 shown]
	ds_store_2addr_b64 v70, v[66:67], v[74:75] offset0:6 offset1:7
	ds_store_2addr_b64 v70, v[76:77], v[78:79] offset0:8 offset1:9
	v_dual_mov_b32 v66, v16 :: v_dual_mov_b32 v67, v17
	v_dual_mov_b32 v74, v12 :: v_dual_mov_b32 v75, v13
	;; [unrolled: 1-line block ×12, first 2 shown]
	ds_store_2addr_b64 v70, v[66:67], v[74:75] offset0:10 offset1:11
	ds_store_2addr_b64 v70, v[76:77], v[78:79] offset0:12 offset1:13
	;; [unrolled: 1-line block ×6, first 2 shown]
	v_dual_mov_b32 v66, v30 :: v_dual_mov_b32 v67, v31
	v_dual_mov_b32 v76, v26 :: v_dual_mov_b32 v77, v27
	;; [unrolled: 1-line block ×7, first 2 shown]
	v_mov_b32_e32 v87, v33
	ds_store_2addr_b64 v70, v[66:67], v[76:77] offset0:22 offset1:23
	ds_store_2addr_b64 v70, v[78:79], v[80:81] offset0:24 offset1:25
	;; [unrolled: 1-line block ×4, first 2 shown]
.LBB58_123:
	s_or_b32 exec_lo, exec_lo, s0
	s_delay_alu instid0(SALU_CYCLE_1)
	s_mov_b32 s0, exec_lo
	s_wait_storecnt_dscnt 0x0
	s_barrier_signal -1
	s_barrier_wait -1
	v_cmpx_lt_i32_e32 5, v74
	s_cbranch_execz .LBB58_125
; %bb.124:
	v_pk_mul_f32 v[76:77], v[68:69], v[8:9] op_sel:[1,1] op_sel_hi:[0,1]
	s_delay_alu instid0(VALU_DEP_1)
	v_pk_fma_f32 v[66:67], v[68:69], v[8:9], v[76:77] op_sel_hi:[1,0,1] neg_lo:[0,0,1] neg_hi:[0,0,1]
	v_pk_fma_f32 v[68:69], v[68:69], v[8:9], v[76:77] op_sel_hi:[1,0,1]
	ds_load_2addr_b64 v[76:79], v70 offset0:6 offset1:7
	v_dual_mov_b32 v8, v66 :: v_dual_mov_b32 v9, v69
	s_wait_dscnt 0x0
	v_pk_mul_f32 v[80:81], v[76:77], v[68:69] op_sel:[0,1]
	s_delay_alu instid0(VALU_DEP_1) | instskip(SKIP_1) | instid1(VALU_DEP_1)
	v_pk_fma_f32 v[82:83], v[76:77], v[66:67], v[80:81] op_sel:[0,0,1] op_sel_hi:[1,1,0] neg_lo:[0,0,1] neg_hi:[0,0,1]
	v_pk_fma_f32 v[76:77], v[76:77], v[66:67], v[80:81] op_sel:[0,0,1] op_sel_hi:[1,0,0]
	v_mov_b32_e32 v83, v77
	v_pk_mul_f32 v[76:77], v[78:79], v[68:69] op_sel:[0,1]
	s_delay_alu instid0(VALU_DEP_1) | instskip(SKIP_1) | instid1(VALU_DEP_1)
	v_pk_fma_f32 v[80:81], v[78:79], v[66:67], v[76:77] op_sel:[0,0,1] op_sel_hi:[1,1,0] neg_lo:[0,0,1] neg_hi:[0,0,1]
	v_pk_fma_f32 v[76:77], v[78:79], v[66:67], v[76:77] op_sel:[0,0,1] op_sel_hi:[1,0,0]
	v_mov_b32_e32 v81, v77
	ds_load_2addr_b64 v[76:79], v70 offset0:8 offset1:9
	v_pk_add_f32 v[10:11], v[10:11], v[82:83] neg_lo:[0,1] neg_hi:[0,1]
	v_pk_add_f32 v[6:7], v[6:7], v[80:81] neg_lo:[0,1] neg_hi:[0,1]
	s_wait_dscnt 0x0
	v_pk_mul_f32 v[80:81], v[76:77], v[68:69] op_sel:[0,1]
	s_delay_alu instid0(VALU_DEP_1) | instskip(SKIP_2) | instid1(VALU_DEP_2)
	v_pk_fma_f32 v[82:83], v[76:77], v[66:67], v[80:81] op_sel:[0,0,1] op_sel_hi:[1,1,0] neg_lo:[0,0,1] neg_hi:[0,0,1]
	v_pk_fma_f32 v[76:77], v[76:77], v[66:67], v[80:81] op_sel:[0,0,1] op_sel_hi:[1,0,0]
	v_dual_mul_f32 v80, v79, v69 :: v_dual_mov_b32 v76, v79
	v_dual_mov_b32 v83, v77 :: v_dual_mov_b32 v77, v78
	s_delay_alu instid0(VALU_DEP_2) | instskip(SKIP_1) | instid1(VALU_DEP_3)
	v_pk_fma_f32 v[80:81], v[78:79], v[8:9], v[80:81] op_sel_hi:[1,1,0] neg_lo:[0,0,1] neg_hi:[0,0,1]
	v_mul_f32_e32 v78, v79, v66
	v_pk_add_f32 v[48:49], v[48:49], v[82:83] neg_lo:[0,1] neg_hi:[0,1]
	s_delay_alu instid0(VALU_DEP_2) | instskip(NEXT) | instid1(VALU_DEP_1)
	v_pk_fma_f32 v[76:77], v[76:77], v[8:9], v[78:79] op_sel_hi:[1,1,0]
	v_mov_b32_e32 v81, v77
	ds_load_2addr_b64 v[76:79], v70 offset0:10 offset1:11
	v_pk_add_f32 v[14:15], v[14:15], v[80:81] neg_lo:[0,1] neg_hi:[0,1]
	s_wait_dscnt 0x0
	v_pk_mul_f32 v[80:81], v[76:77], v[68:69] op_sel:[0,1]
	s_delay_alu instid0(VALU_DEP_1) | instskip(SKIP_1) | instid1(VALU_DEP_1)
	v_pk_fma_f32 v[82:83], v[76:77], v[66:67], v[80:81] op_sel:[0,0,1] op_sel_hi:[1,1,0] neg_lo:[0,0,1] neg_hi:[0,0,1]
	v_pk_fma_f32 v[76:77], v[76:77], v[66:67], v[80:81] op_sel:[0,0,1] op_sel_hi:[1,0,0]
	v_mov_b32_e32 v83, v77
	v_pk_mul_f32 v[76:77], v[78:79], v[68:69] op_sel:[0,1]
	s_delay_alu instid0(VALU_DEP_1) | instskip(SKIP_1) | instid1(VALU_DEP_1)
	v_pk_fma_f32 v[80:81], v[78:79], v[66:67], v[76:77] op_sel:[0,0,1] op_sel_hi:[1,1,0] neg_lo:[0,0,1] neg_hi:[0,0,1]
	v_pk_fma_f32 v[76:77], v[78:79], v[66:67], v[76:77] op_sel:[0,0,1] op_sel_hi:[1,0,0]
	v_mov_b32_e32 v81, v77
	ds_load_2addr_b64 v[76:79], v70 offset0:12 offset1:13
	v_pk_add_f32 v[16:17], v[16:17], v[82:83] neg_lo:[0,1] neg_hi:[0,1]
	v_pk_add_f32 v[12:13], v[12:13], v[80:81] neg_lo:[0,1] neg_hi:[0,1]
	s_wait_dscnt 0x0
	v_pk_mul_f32 v[80:81], v[76:77], v[68:69] op_sel:[0,1]
	s_delay_alu instid0(VALU_DEP_1) | instskip(SKIP_1) | instid1(VALU_DEP_1)
	v_pk_fma_f32 v[82:83], v[76:77], v[66:67], v[80:81] op_sel:[0,0,1] op_sel_hi:[1,1,0] neg_lo:[0,0,1] neg_hi:[0,0,1]
	v_pk_fma_f32 v[76:77], v[76:77], v[66:67], v[80:81] op_sel:[0,0,1] op_sel_hi:[1,0,0]
	v_mov_b32_e32 v83, v77
	v_pk_mul_f32 v[76:77], v[78:79], v[68:69] op_sel:[0,1]
	s_delay_alu instid0(VALU_DEP_1) | instskip(SKIP_1) | instid1(VALU_DEP_1)
	v_pk_fma_f32 v[80:81], v[78:79], v[66:67], v[76:77] op_sel:[0,0,1] op_sel_hi:[1,1,0] neg_lo:[0,0,1] neg_hi:[0,0,1]
	v_pk_fma_f32 v[76:77], v[78:79], v[66:67], v[76:77] op_sel:[0,0,1] op_sel_hi:[1,0,0]
	v_mov_b32_e32 v81, v77
	ds_load_2addr_b64 v[76:79], v70 offset0:14 offset1:15
	v_pk_add_f32 v[50:51], v[50:51], v[82:83] neg_lo:[0,1] neg_hi:[0,1]
	v_pk_add_f32 v[20:21], v[20:21], v[80:81] neg_lo:[0,1] neg_hi:[0,1]
	s_wait_dscnt 0x0
	v_dual_mul_f32 v80, v77, v69 :: v_dual_mul_f32 v82, v77, v66
	s_delay_alu instid0(VALU_DEP_1) | instskip(NEXT) | instid1(VALU_DEP_2)
	v_pk_fma_f32 v[80:81], v[76:77], v[8:9], v[80:81] op_sel_hi:[1,1,0] neg_lo:[0,0,1] neg_hi:[0,0,1]
	v_pk_fma_f32 v[76:77], v[76:77], v[8:9], v[82:83] op_sel:[1,0,0] op_sel_hi:[0,1,0]
	s_delay_alu instid0(VALU_DEP_1) | instskip(SKIP_1) | instid1(VALU_DEP_2)
	v_mov_b32_e32 v81, v77
	v_pk_mul_f32 v[76:77], v[78:79], v[68:69] op_sel:[0,1]
	v_pk_add_f32 v[22:23], v[22:23], v[80:81] neg_lo:[0,1] neg_hi:[0,1]
	s_delay_alu instid0(VALU_DEP_2) | instskip(SKIP_1) | instid1(VALU_DEP_1)
	v_pk_fma_f32 v[80:81], v[78:79], v[66:67], v[76:77] op_sel:[0,0,1] op_sel_hi:[1,1,0] neg_lo:[0,0,1] neg_hi:[0,0,1]
	v_pk_fma_f32 v[76:77], v[78:79], v[66:67], v[76:77] op_sel:[0,0,1] op_sel_hi:[1,0,0]
	v_mov_b32_e32 v81, v77
	ds_load_2addr_b64 v[76:79], v70 offset0:16 offset1:17
	v_pk_add_f32 v[18:19], v[18:19], v[80:81] neg_lo:[0,1] neg_hi:[0,1]
	s_wait_dscnt 0x0
	v_pk_mul_f32 v[80:81], v[76:77], v[68:69] op_sel:[0,1]
	s_delay_alu instid0(VALU_DEP_1) | instskip(SKIP_1) | instid1(VALU_DEP_1)
	v_pk_fma_f32 v[82:83], v[76:77], v[66:67], v[80:81] op_sel:[0,0,1] op_sel_hi:[1,1,0] neg_lo:[0,0,1] neg_hi:[0,0,1]
	v_pk_fma_f32 v[76:77], v[76:77], v[66:67], v[80:81] op_sel:[0,0,1] op_sel_hi:[1,0,0]
	v_mov_b32_e32 v83, v77
	v_pk_mul_f32 v[76:77], v[78:79], v[68:69] op_sel:[0,1]
	s_delay_alu instid0(VALU_DEP_2) | instskip(NEXT) | instid1(VALU_DEP_2)
	v_pk_add_f32 v[54:55], v[54:55], v[82:83] neg_lo:[0,1] neg_hi:[0,1]
	v_pk_fma_f32 v[80:81], v[78:79], v[66:67], v[76:77] op_sel:[0,0,1] op_sel_hi:[1,1,0] neg_lo:[0,0,1] neg_hi:[0,0,1]
	v_pk_fma_f32 v[76:77], v[78:79], v[66:67], v[76:77] op_sel:[0,0,1] op_sel_hi:[1,0,0]
	s_delay_alu instid0(VALU_DEP_1) | instskip(SKIP_4) | instid1(VALU_DEP_1)
	v_mov_b32_e32 v81, v77
	ds_load_2addr_b64 v[76:79], v70 offset0:18 offset1:19
	v_pk_add_f32 v[36:37], v[36:37], v[80:81] neg_lo:[0,1] neg_hi:[0,1]
	s_wait_dscnt 0x0
	v_pk_mul_f32 v[80:81], v[76:77], v[68:69] op_sel:[0,1]
	v_pk_fma_f32 v[82:83], v[76:77], v[66:67], v[80:81] op_sel:[0,0,1] op_sel_hi:[1,1,0] neg_lo:[0,0,1] neg_hi:[0,0,1]
	v_pk_fma_f32 v[76:77], v[76:77], v[66:67], v[80:81] op_sel:[0,0,1] op_sel_hi:[1,0,0]
	v_dual_mul_f32 v80, v79, v69 :: v_dual_mov_b32 v76, v79
	s_delay_alu instid0(VALU_DEP_2) | instskip(NEXT) | instid1(VALU_DEP_2)
	v_dual_mov_b32 v83, v77 :: v_dual_mov_b32 v77, v78
	v_pk_fma_f32 v[80:81], v[78:79], v[8:9], v[80:81] op_sel_hi:[1,1,0] neg_lo:[0,0,1] neg_hi:[0,0,1]
	v_mul_f32_e32 v78, v79, v66
	s_delay_alu instid0(VALU_DEP_3) | instskip(NEXT) | instid1(VALU_DEP_2)
	v_pk_add_f32 v[38:39], v[38:39], v[82:83] neg_lo:[0,1] neg_hi:[0,1]
	v_pk_fma_f32 v[76:77], v[76:77], v[8:9], v[78:79] op_sel_hi:[1,1,0]
	s_delay_alu instid0(VALU_DEP_1) | instskip(SKIP_4) | instid1(VALU_DEP_1)
	v_mov_b32_e32 v81, v77
	ds_load_2addr_b64 v[76:79], v70 offset0:20 offset1:21
	v_pk_add_f32 v[34:35], v[34:35], v[80:81] neg_lo:[0,1] neg_hi:[0,1]
	s_wait_dscnt 0x0
	v_pk_mul_f32 v[80:81], v[76:77], v[68:69] op_sel:[0,1]
	v_pk_fma_f32 v[82:83], v[76:77], v[66:67], v[80:81] op_sel:[0,0,1] op_sel_hi:[1,1,0] neg_lo:[0,0,1] neg_hi:[0,0,1]
	v_pk_fma_f32 v[76:77], v[76:77], v[66:67], v[80:81] op_sel:[0,0,1] op_sel_hi:[1,0,0]
	s_delay_alu instid0(VALU_DEP_1) | instskip(SKIP_1) | instid1(VALU_DEP_1)
	v_mov_b32_e32 v83, v77
	v_pk_mul_f32 v[76:77], v[78:79], v[68:69] op_sel:[0,1]
	v_pk_fma_f32 v[80:81], v[78:79], v[66:67], v[76:77] op_sel:[0,0,1] op_sel_hi:[1,1,0] neg_lo:[0,0,1] neg_hi:[0,0,1]
	v_pk_fma_f32 v[76:77], v[78:79], v[66:67], v[76:77] op_sel:[0,0,1] op_sel_hi:[1,0,0]
	s_delay_alu instid0(VALU_DEP_1)
	v_mov_b32_e32 v81, v77
	ds_load_2addr_b64 v[76:79], v70 offset0:22 offset1:23
	v_pk_add_f32 v[52:53], v[52:53], v[82:83] neg_lo:[0,1] neg_hi:[0,1]
	v_pk_add_f32 v[28:29], v[28:29], v[80:81] neg_lo:[0,1] neg_hi:[0,1]
	s_wait_dscnt 0x0
	v_pk_mul_f32 v[80:81], v[76:77], v[68:69] op_sel:[0,1]
	s_delay_alu instid0(VALU_DEP_1) | instskip(SKIP_1) | instid1(VALU_DEP_1)
	v_pk_fma_f32 v[82:83], v[76:77], v[66:67], v[80:81] op_sel:[0,0,1] op_sel_hi:[1,1,0] neg_lo:[0,0,1] neg_hi:[0,0,1]
	v_pk_fma_f32 v[76:77], v[76:77], v[66:67], v[80:81] op_sel:[0,0,1] op_sel_hi:[1,0,0]
	v_mov_b32_e32 v83, v77
	v_pk_mul_f32 v[76:77], v[78:79], v[68:69] op_sel:[0,1]
	s_delay_alu instid0(VALU_DEP_1) | instskip(SKIP_1) | instid1(VALU_DEP_1)
	v_pk_fma_f32 v[80:81], v[78:79], v[66:67], v[76:77] op_sel:[0,0,1] op_sel_hi:[1,1,0] neg_lo:[0,0,1] neg_hi:[0,0,1]
	v_pk_fma_f32 v[76:77], v[78:79], v[66:67], v[76:77] op_sel:[0,0,1] op_sel_hi:[1,0,0]
	v_mov_b32_e32 v81, v77
	ds_load_2addr_b64 v[76:79], v70 offset0:24 offset1:25
	v_pk_add_f32 v[30:31], v[30:31], v[82:83] neg_lo:[0,1] neg_hi:[0,1]
	v_pk_add_f32 v[26:27], v[26:27], v[80:81] neg_lo:[0,1] neg_hi:[0,1]
	s_wait_dscnt 0x0
	v_dual_mul_f32 v80, v77, v69 :: v_dual_mul_f32 v82, v77, v66
	s_delay_alu instid0(VALU_DEP_1) | instskip(NEXT) | instid1(VALU_DEP_2)
	v_pk_fma_f32 v[80:81], v[76:77], v[8:9], v[80:81] op_sel_hi:[1,1,0] neg_lo:[0,0,1] neg_hi:[0,0,1]
	v_pk_fma_f32 v[76:77], v[76:77], v[8:9], v[82:83] op_sel:[1,0,0] op_sel_hi:[0,1,0]
	s_delay_alu instid0(VALU_DEP_1) | instskip(SKIP_1) | instid1(VALU_DEP_2)
	v_mov_b32_e32 v81, v77
	v_pk_mul_f32 v[76:77], v[78:79], v[68:69] op_sel:[0,1]
	v_pk_add_f32 v[44:45], v[44:45], v[80:81] neg_lo:[0,1] neg_hi:[0,1]
	s_delay_alu instid0(VALU_DEP_2) | instskip(SKIP_1) | instid1(VALU_DEP_1)
	v_pk_fma_f32 v[80:81], v[78:79], v[66:67], v[76:77] op_sel:[0,0,1] op_sel_hi:[1,1,0] neg_lo:[0,0,1] neg_hi:[0,0,1]
	v_pk_fma_f32 v[76:77], v[78:79], v[66:67], v[76:77] op_sel:[0,0,1] op_sel_hi:[1,0,0]
	v_mov_b32_e32 v81, v77
	ds_load_2addr_b64 v[76:79], v70 offset0:26 offset1:27
	v_pk_add_f32 v[24:25], v[24:25], v[80:81] neg_lo:[0,1] neg_hi:[0,1]
	s_wait_dscnt 0x0
	v_pk_mul_f32 v[80:81], v[76:77], v[68:69] op_sel:[0,1]
	s_delay_alu instid0(VALU_DEP_1) | instskip(SKIP_1) | instid1(VALU_DEP_1)
	v_pk_fma_f32 v[82:83], v[76:77], v[66:67], v[80:81] op_sel:[0,0,1] op_sel_hi:[1,1,0] neg_lo:[0,0,1] neg_hi:[0,0,1]
	v_pk_fma_f32 v[76:77], v[76:77], v[66:67], v[80:81] op_sel:[0,0,1] op_sel_hi:[1,0,0]
	v_mov_b32_e32 v83, v77
	v_pk_mul_f32 v[76:77], v[78:79], v[68:69] op_sel:[0,1]
	s_delay_alu instid0(VALU_DEP_2) | instskip(NEXT) | instid1(VALU_DEP_2)
	v_pk_add_f32 v[42:43], v[42:43], v[82:83] neg_lo:[0,1] neg_hi:[0,1]
	v_pk_fma_f32 v[80:81], v[78:79], v[66:67], v[76:77] op_sel:[0,0,1] op_sel_hi:[1,1,0] neg_lo:[0,0,1] neg_hi:[0,0,1]
	v_pk_fma_f32 v[76:77], v[78:79], v[66:67], v[76:77] op_sel:[0,0,1] op_sel_hi:[1,0,0]
	s_delay_alu instid0(VALU_DEP_1)
	v_mov_b32_e32 v81, v77
	ds_load_2addr_b64 v[76:79], v70 offset0:28 offset1:29
	v_pk_add_f32 v[40:41], v[40:41], v[80:81] neg_lo:[0,1] neg_hi:[0,1]
	s_wait_dscnt 0x0
	v_pk_mul_f32 v[80:81], v[76:77], v[68:69] op_sel:[0,1]
	v_mul_f32_e32 v68, v79, v69
	s_delay_alu instid0(VALU_DEP_2) | instskip(SKIP_2) | instid1(VALU_DEP_4)
	v_pk_fma_f32 v[82:83], v[76:77], v[66:67], v[80:81] op_sel:[0,0,1] op_sel_hi:[1,1,0] neg_lo:[0,0,1] neg_hi:[0,0,1]
	v_pk_fma_f32 v[76:77], v[76:77], v[66:67], v[80:81] op_sel:[0,0,1] op_sel_hi:[1,0,0]
	v_dual_mov_b32 v76, v79 :: v_dual_mul_f32 v66, v79, v66
	v_pk_fma_f32 v[68:69], v[78:79], v[8:9], v[68:69] op_sel_hi:[1,1,0] neg_lo:[0,0,1] neg_hi:[0,0,1]
	s_delay_alu instid0(VALU_DEP_3) | instskip(NEXT) | instid1(VALU_DEP_1)
	v_dual_mov_b32 v83, v77 :: v_dual_mov_b32 v77, v78
	v_pk_add_f32 v[32:33], v[32:33], v[82:83] neg_lo:[0,1] neg_hi:[0,1]
	s_delay_alu instid0(VALU_DEP_2) | instskip(NEXT) | instid1(VALU_DEP_1)
	v_pk_fma_f32 v[66:67], v[76:77], v[8:9], v[66:67] op_sel_hi:[1,1,0]
	v_mov_b32_e32 v69, v67
	s_delay_alu instid0(VALU_DEP_1)
	v_pk_add_f32 v[64:65], v[64:65], v[68:69] neg_lo:[0,1] neg_hi:[0,1]
.LBB58_125:
	s_or_b32 exec_lo, exec_lo, s0
	v_lshl_add_u32 v66, v74, 3, v70
	s_barrier_signal -1
	s_barrier_wait -1
	ds_store_b64 v66, v[10:11]
	s_wait_dscnt 0x0
	s_barrier_signal -1
	s_barrier_wait -1
	ds_load_b64 v[68:69], v70 offset:48
	v_mov_b32_e32 v66, 6
	s_cmp_lt_i32 s18, 8
	s_cbranch_scc1 .LBB58_128
; %bb.126:
	v_add3_u32 v67, v71, 0, 56
	v_mov_b32_e32 v66, 6
	s_mov_b32 s0, 7
.LBB58_127:                             ; =>This Inner Loop Header: Depth=1
	ds_load_b64 v[76:77], v67
	s_wait_dscnt 0x1
	v_cmp_gt_f32_e32 vcc_lo, 0, v68
	v_cndmask_b32_e64 v78, v68, -v68, vcc_lo
	v_cmp_gt_f32_e32 vcc_lo, 0, v69
	v_cndmask_b32_e64 v80, v69, -v69, vcc_lo
	s_wait_dscnt 0x0
	v_cmp_gt_f32_e32 vcc_lo, 0, v76
	v_cndmask_b32_e64 v79, v76, -v76, vcc_lo
	v_cmp_gt_f32_e32 vcc_lo, 0, v77
	v_cndmask_b32_e64 v81, v77, -v77, vcc_lo
	s_delay_alu instid0(VALU_DEP_1) | instskip(NEXT) | instid1(VALU_DEP_1)
	v_pk_add_f32 v[78:79], v[78:79], v[80:81]
	v_cmp_lt_f32_e32 vcc_lo, v78, v79
	v_dual_add_nc_u32 v67, 8, v67 :: v_dual_cndmask_b32 v69, v69, v77, vcc_lo
	v_cndmask_b32_e32 v68, v68, v76, vcc_lo
	v_cndmask_b32_e64 v66, v66, s0, vcc_lo
	s_add_co_i32 s0, s0, 1
	s_delay_alu instid0(SALU_CYCLE_1)
	s_cmp_lg_u32 s18, s0
	s_cbranch_scc1 .LBB58_127
.LBB58_128:
	s_wait_dscnt 0x0
	v_cmp_eq_f32_e32 vcc_lo, 0, v68
	v_cmp_eq_f32_e64 s0, 0, v69
	s_and_b32 s0, vcc_lo, s0
	s_delay_alu instid0(SALU_CYCLE_1) | instskip(NEXT) | instid1(SALU_CYCLE_1)
	s_and_saveexec_b32 s1, s0
	s_xor_b32 s0, exec_lo, s1
; %bb.129:
	v_cmp_ne_u32_e32 vcc_lo, 0, v72
	v_cndmask_b32_e32 v72, 7, v72, vcc_lo
; %bb.130:
	s_and_not1_saveexec_b32 s0, s0
	s_cbranch_execz .LBB58_136
; %bb.131:
	v_cmp_ngt_f32_e64 s1, |v68|, |v69|
	s_and_saveexec_b32 s12, s1
	s_delay_alu instid0(SALU_CYCLE_1)
	s_xor_b32 s1, exec_lo, s12
	s_cbranch_execz .LBB58_133
; %bb.132:
	v_div_scale_f32 v67, null, v69, v69, v68
	v_div_scale_f32 v77, vcc_lo, v68, v69, v68
	s_delay_alu instid0(VALU_DEP_2) | instskip(SKIP_1) | instid1(TRANS32_DEP_1)
	v_rcp_f32_e32 v75, v67
	v_nop
	v_fma_f32 v76, -v67, v75, 1.0
	s_delay_alu instid0(VALU_DEP_1) | instskip(NEXT) | instid1(VALU_DEP_1)
	v_fmac_f32_e32 v75, v76, v75
	v_mul_f32_e32 v76, v77, v75
	s_delay_alu instid0(VALU_DEP_1) | instskip(NEXT) | instid1(VALU_DEP_1)
	v_fma_f32 v78, -v67, v76, v77
	v_fmac_f32_e32 v76, v78, v75
	s_delay_alu instid0(VALU_DEP_1) | instskip(NEXT) | instid1(VALU_DEP_1)
	v_fma_f32 v67, -v67, v76, v77
	v_div_fmas_f32 v67, v67, v75, v76
	s_delay_alu instid0(VALU_DEP_1) | instskip(NEXT) | instid1(VALU_DEP_1)
	v_div_fixup_f32 v67, v67, v69, v68
	v_fmac_f32_e32 v69, v68, v67
	s_delay_alu instid0(VALU_DEP_1) | instskip(SKIP_1) | instid1(VALU_DEP_2)
	v_div_scale_f32 v68, null, v69, v69, 1.0
	v_div_scale_f32 v77, vcc_lo, 1.0, v69, 1.0
	v_rcp_f32_e32 v75, v68
	v_nop
	s_delay_alu instid0(TRANS32_DEP_1) | instskip(NEXT) | instid1(VALU_DEP_1)
	v_fma_f32 v76, -v68, v75, 1.0
	v_fmac_f32_e32 v75, v76, v75
	s_delay_alu instid0(VALU_DEP_1) | instskip(NEXT) | instid1(VALU_DEP_1)
	v_mul_f32_e32 v76, v77, v75
	v_fma_f32 v78, -v68, v76, v77
	s_delay_alu instid0(VALU_DEP_1) | instskip(NEXT) | instid1(VALU_DEP_1)
	v_fmac_f32_e32 v76, v78, v75
	v_fma_f32 v68, -v68, v76, v77
	s_delay_alu instid0(VALU_DEP_1) | instskip(NEXT) | instid1(VALU_DEP_1)
	v_div_fmas_f32 v68, v68, v75, v76
	v_div_fixup_f32 v69, v68, v69, 1.0
	s_delay_alu instid0(VALU_DEP_1)
	v_mul_f32_e32 v68, v67, v69
	v_xor_b32_e32 v69, 0x80000000, v69
.LBB58_133:
	s_and_not1_saveexec_b32 s1, s1
	s_cbranch_execz .LBB58_135
; %bb.134:
	s_delay_alu instid0(VALU_DEP_1) | instskip(SKIP_1) | instid1(VALU_DEP_2)
	v_div_scale_f32 v67, null, v68, v68, v69
	v_div_scale_f32 v77, vcc_lo, v69, v68, v69
	v_rcp_f32_e32 v75, v67
	v_nop
	s_delay_alu instid0(TRANS32_DEP_1) | instskip(NEXT) | instid1(VALU_DEP_1)
	v_fma_f32 v76, -v67, v75, 1.0
	v_fmac_f32_e32 v75, v76, v75
	s_delay_alu instid0(VALU_DEP_1) | instskip(NEXT) | instid1(VALU_DEP_1)
	v_mul_f32_e32 v76, v77, v75
	v_fma_f32 v78, -v67, v76, v77
	s_delay_alu instid0(VALU_DEP_1) | instskip(NEXT) | instid1(VALU_DEP_1)
	v_fmac_f32_e32 v76, v78, v75
	v_fma_f32 v67, -v67, v76, v77
	s_delay_alu instid0(VALU_DEP_1) | instskip(NEXT) | instid1(VALU_DEP_1)
	v_div_fmas_f32 v67, v67, v75, v76
	v_div_fixup_f32 v67, v67, v68, v69
	s_delay_alu instid0(VALU_DEP_1) | instskip(NEXT) | instid1(VALU_DEP_1)
	v_fmac_f32_e32 v68, v69, v67
	v_div_scale_f32 v69, null, v68, v68, 1.0
	s_delay_alu instid0(VALU_DEP_1) | instskip(SKIP_1) | instid1(TRANS32_DEP_1)
	v_rcp_f32_e32 v75, v69
	v_nop
	v_fma_f32 v76, -v69, v75, 1.0
	s_delay_alu instid0(VALU_DEP_1) | instskip(SKIP_1) | instid1(VALU_DEP_1)
	v_fmac_f32_e32 v75, v76, v75
	v_div_scale_f32 v76, vcc_lo, 1.0, v68, 1.0
	v_mul_f32_e32 v77, v76, v75
	s_delay_alu instid0(VALU_DEP_1) | instskip(NEXT) | instid1(VALU_DEP_1)
	v_fma_f32 v78, -v69, v77, v76
	v_fmac_f32_e32 v77, v78, v75
	s_delay_alu instid0(VALU_DEP_1) | instskip(NEXT) | instid1(VALU_DEP_1)
	v_fma_f32 v69, -v69, v77, v76
	v_div_fmas_f32 v69, v69, v75, v77
	s_delay_alu instid0(VALU_DEP_1) | instskip(NEXT) | instid1(VALU_DEP_1)
	v_div_fixup_f32 v68, v69, v68, 1.0
	v_mul_f32_e64 v69, v67, -v68
.LBB58_135:
	s_or_b32 exec_lo, exec_lo, s1
.LBB58_136:
	s_delay_alu instid0(SALU_CYCLE_1) | instskip(NEXT) | instid1(SALU_CYCLE_1)
	s_or_b32 exec_lo, exec_lo, s0
	s_mov_b32 s0, exec_lo
	v_cmpx_ne_u32_e64 v74, v66
	s_xor_b32 s0, exec_lo, s0
	s_cbranch_execz .LBB58_142
; %bb.137:
	s_mov_b32 s1, exec_lo
	v_cmpx_eq_u32_e32 6, v74
	s_cbranch_execz .LBB58_141
; %bb.138:
	v_cmp_ne_u32_e32 vcc_lo, 6, v66
	s_xor_b32 s12, s16, -1
	s_delay_alu instid0(SALU_CYCLE_1) | instskip(NEXT) | instid1(SALU_CYCLE_1)
	s_and_b32 s13, s12, vcc_lo
	s_and_saveexec_b32 s12, s13
	s_cbranch_execz .LBB58_140
; %bb.139:
	v_ashrrev_i32_e32 v67, 31, v66
	s_delay_alu instid0(VALU_DEP_1)
	v_lshl_add_u64 v[74:75], v[66:67], 2, v[4:5]
	s_clause 0x1
	global_load_b32 v67, v[74:75], off
	global_load_b32 v73, v[4:5], off offset:24
	s_wait_loadcnt 0x1
	global_store_b32 v[4:5], v67, off offset:24
	s_wait_loadcnt 0x0
	global_store_b32 v[74:75], v73, off
.LBB58_140:
	s_wait_xcnt 0x0
	s_or_b32 exec_lo, exec_lo, s12
	v_dual_mov_b32 v74, v66 :: v_dual_mov_b32 v73, v66
.LBB58_141:
	s_or_b32 exec_lo, exec_lo, s1
.LBB58_142:
	s_and_not1_saveexec_b32 s0, s0
	s_cbranch_execz .LBB58_144
; %bb.143:
	v_mov_b32_e32 v74, 6
	ds_store_2addr_b64 v70, v[6:7], v[48:49] offset0:7 offset1:8
	ds_store_2addr_b64 v70, v[14:15], v[16:17] offset0:9 offset1:10
	;; [unrolled: 1-line block ×11, first 2 shown]
	ds_store_b64 v70, v[64:65] offset:232
.LBB58_144:
	s_or_b32 exec_lo, exec_lo, s0
	s_delay_alu instid0(SALU_CYCLE_1)
	s_mov_b32 s0, exec_lo
	s_wait_storecnt_dscnt 0x0
	s_barrier_signal -1
	s_barrier_wait -1
	v_cmpx_lt_i32_e32 6, v74
	s_cbranch_execz .LBB58_146
; %bb.145:
	v_pk_mul_f32 v[76:77], v[68:69], v[10:11] op_sel:[1,1] op_sel_hi:[0,1]
	s_delay_alu instid0(VALU_DEP_1)
	v_pk_fma_f32 v[66:67], v[68:69], v[10:11], v[76:77] op_sel_hi:[1,0,1] neg_lo:[0,0,1] neg_hi:[0,0,1]
	v_pk_fma_f32 v[68:69], v[68:69], v[10:11], v[76:77] op_sel_hi:[1,0,1]
	ds_load_2addr_b64 v[76:79], v70 offset0:7 offset1:8
	v_dual_mov_b32 v10, v66 :: v_dual_mov_b32 v11, v69
	s_wait_dscnt 0x0
	v_pk_mul_f32 v[80:81], v[76:77], v[68:69] op_sel:[0,1]
	s_delay_alu instid0(VALU_DEP_1) | instskip(SKIP_1) | instid1(VALU_DEP_1)
	v_pk_fma_f32 v[82:83], v[76:77], v[66:67], v[80:81] op_sel:[0,0,1] op_sel_hi:[1,1,0] neg_lo:[0,0,1] neg_hi:[0,0,1]
	v_pk_fma_f32 v[76:77], v[76:77], v[66:67], v[80:81] op_sel:[0,0,1] op_sel_hi:[1,0,0]
	v_mov_b32_e32 v83, v77
	v_pk_mul_f32 v[76:77], v[78:79], v[68:69] op_sel:[0,1]
	s_delay_alu instid0(VALU_DEP_1) | instskip(SKIP_1) | instid1(VALU_DEP_1)
	v_pk_fma_f32 v[80:81], v[78:79], v[66:67], v[76:77] op_sel:[0,0,1] op_sel_hi:[1,1,0] neg_lo:[0,0,1] neg_hi:[0,0,1]
	v_pk_fma_f32 v[76:77], v[78:79], v[66:67], v[76:77] op_sel:[0,0,1] op_sel_hi:[1,0,0]
	v_mov_b32_e32 v81, v77
	ds_load_2addr_b64 v[76:79], v70 offset0:9 offset1:10
	v_pk_add_f32 v[6:7], v[6:7], v[82:83] neg_lo:[0,1] neg_hi:[0,1]
	v_pk_add_f32 v[48:49], v[48:49], v[80:81] neg_lo:[0,1] neg_hi:[0,1]
	s_wait_dscnt 0x0
	v_pk_mul_f32 v[80:81], v[76:77], v[68:69] op_sel:[0,1]
	s_delay_alu instid0(VALU_DEP_1) | instskip(SKIP_2) | instid1(VALU_DEP_2)
	v_pk_fma_f32 v[82:83], v[76:77], v[66:67], v[80:81] op_sel:[0,0,1] op_sel_hi:[1,1,0] neg_lo:[0,0,1] neg_hi:[0,0,1]
	v_pk_fma_f32 v[76:77], v[76:77], v[66:67], v[80:81] op_sel:[0,0,1] op_sel_hi:[1,0,0]
	v_dual_mul_f32 v80, v79, v69 :: v_dual_mov_b32 v76, v79
	v_dual_mov_b32 v83, v77 :: v_dual_mov_b32 v77, v78
	s_delay_alu instid0(VALU_DEP_2) | instskip(SKIP_1) | instid1(VALU_DEP_3)
	v_pk_fma_f32 v[80:81], v[78:79], v[10:11], v[80:81] op_sel_hi:[1,1,0] neg_lo:[0,0,1] neg_hi:[0,0,1]
	v_mul_f32_e32 v78, v79, v66
	v_pk_add_f32 v[14:15], v[14:15], v[82:83] neg_lo:[0,1] neg_hi:[0,1]
	s_delay_alu instid0(VALU_DEP_2) | instskip(NEXT) | instid1(VALU_DEP_1)
	v_pk_fma_f32 v[76:77], v[76:77], v[10:11], v[78:79] op_sel_hi:[1,1,0]
	v_mov_b32_e32 v81, v77
	ds_load_2addr_b64 v[76:79], v70 offset0:11 offset1:12
	v_pk_add_f32 v[16:17], v[16:17], v[80:81] neg_lo:[0,1] neg_hi:[0,1]
	s_wait_dscnt 0x0
	v_pk_mul_f32 v[80:81], v[76:77], v[68:69] op_sel:[0,1]
	s_delay_alu instid0(VALU_DEP_1) | instskip(SKIP_1) | instid1(VALU_DEP_1)
	v_pk_fma_f32 v[82:83], v[76:77], v[66:67], v[80:81] op_sel:[0,0,1] op_sel_hi:[1,1,0] neg_lo:[0,0,1] neg_hi:[0,0,1]
	v_pk_fma_f32 v[76:77], v[76:77], v[66:67], v[80:81] op_sel:[0,0,1] op_sel_hi:[1,0,0]
	v_mov_b32_e32 v83, v77
	v_pk_mul_f32 v[76:77], v[78:79], v[68:69] op_sel:[0,1]
	s_delay_alu instid0(VALU_DEP_1) | instskip(SKIP_1) | instid1(VALU_DEP_1)
	v_pk_fma_f32 v[80:81], v[78:79], v[66:67], v[76:77] op_sel:[0,0,1] op_sel_hi:[1,1,0] neg_lo:[0,0,1] neg_hi:[0,0,1]
	v_pk_fma_f32 v[76:77], v[78:79], v[66:67], v[76:77] op_sel:[0,0,1] op_sel_hi:[1,0,0]
	v_mov_b32_e32 v81, v77
	ds_load_2addr_b64 v[76:79], v70 offset0:13 offset1:14
	v_pk_add_f32 v[12:13], v[12:13], v[82:83] neg_lo:[0,1] neg_hi:[0,1]
	v_pk_add_f32 v[50:51], v[50:51], v[80:81] neg_lo:[0,1] neg_hi:[0,1]
	s_wait_dscnt 0x0
	v_pk_mul_f32 v[80:81], v[76:77], v[68:69] op_sel:[0,1]
	s_delay_alu instid0(VALU_DEP_1) | instskip(SKIP_1) | instid1(VALU_DEP_1)
	v_pk_fma_f32 v[82:83], v[76:77], v[66:67], v[80:81] op_sel:[0,0,1] op_sel_hi:[1,1,0] neg_lo:[0,0,1] neg_hi:[0,0,1]
	v_pk_fma_f32 v[76:77], v[76:77], v[66:67], v[80:81] op_sel:[0,0,1] op_sel_hi:[1,0,0]
	v_mov_b32_e32 v83, v77
	v_pk_mul_f32 v[76:77], v[78:79], v[68:69] op_sel:[0,1]
	s_delay_alu instid0(VALU_DEP_1) | instskip(SKIP_1) | instid1(VALU_DEP_1)
	v_pk_fma_f32 v[80:81], v[78:79], v[66:67], v[76:77] op_sel:[0,0,1] op_sel_hi:[1,1,0] neg_lo:[0,0,1] neg_hi:[0,0,1]
	v_pk_fma_f32 v[76:77], v[78:79], v[66:67], v[76:77] op_sel:[0,0,1] op_sel_hi:[1,0,0]
	v_mov_b32_e32 v81, v77
	ds_load_2addr_b64 v[76:79], v70 offset0:15 offset1:16
	v_pk_add_f32 v[20:21], v[20:21], v[82:83] neg_lo:[0,1] neg_hi:[0,1]
	v_pk_add_f32 v[22:23], v[22:23], v[80:81] neg_lo:[0,1] neg_hi:[0,1]
	s_wait_dscnt 0x0
	v_dual_mul_f32 v80, v77, v69 :: v_dual_mul_f32 v82, v77, v66
	s_delay_alu instid0(VALU_DEP_1) | instskip(NEXT) | instid1(VALU_DEP_2)
	v_pk_fma_f32 v[80:81], v[76:77], v[10:11], v[80:81] op_sel_hi:[1,1,0] neg_lo:[0,0,1] neg_hi:[0,0,1]
	v_pk_fma_f32 v[76:77], v[76:77], v[10:11], v[82:83] op_sel:[1,0,0] op_sel_hi:[0,1,0]
	s_delay_alu instid0(VALU_DEP_1) | instskip(SKIP_1) | instid1(VALU_DEP_2)
	v_mov_b32_e32 v81, v77
	v_pk_mul_f32 v[76:77], v[78:79], v[68:69] op_sel:[0,1]
	v_pk_add_f32 v[18:19], v[18:19], v[80:81] neg_lo:[0,1] neg_hi:[0,1]
	s_delay_alu instid0(VALU_DEP_2) | instskip(SKIP_1) | instid1(VALU_DEP_1)
	v_pk_fma_f32 v[80:81], v[78:79], v[66:67], v[76:77] op_sel:[0,0,1] op_sel_hi:[1,1,0] neg_lo:[0,0,1] neg_hi:[0,0,1]
	v_pk_fma_f32 v[76:77], v[78:79], v[66:67], v[76:77] op_sel:[0,0,1] op_sel_hi:[1,0,0]
	v_mov_b32_e32 v81, v77
	ds_load_2addr_b64 v[76:79], v70 offset0:17 offset1:18
	v_pk_add_f32 v[54:55], v[54:55], v[80:81] neg_lo:[0,1] neg_hi:[0,1]
	s_wait_dscnt 0x0
	v_pk_mul_f32 v[80:81], v[76:77], v[68:69] op_sel:[0,1]
	s_delay_alu instid0(VALU_DEP_1) | instskip(SKIP_1) | instid1(VALU_DEP_1)
	v_pk_fma_f32 v[82:83], v[76:77], v[66:67], v[80:81] op_sel:[0,0,1] op_sel_hi:[1,1,0] neg_lo:[0,0,1] neg_hi:[0,0,1]
	v_pk_fma_f32 v[76:77], v[76:77], v[66:67], v[80:81] op_sel:[0,0,1] op_sel_hi:[1,0,0]
	v_mov_b32_e32 v83, v77
	v_pk_mul_f32 v[76:77], v[78:79], v[68:69] op_sel:[0,1]
	s_delay_alu instid0(VALU_DEP_2) | instskip(NEXT) | instid1(VALU_DEP_2)
	v_pk_add_f32 v[36:37], v[36:37], v[82:83] neg_lo:[0,1] neg_hi:[0,1]
	v_pk_fma_f32 v[80:81], v[78:79], v[66:67], v[76:77] op_sel:[0,0,1] op_sel_hi:[1,1,0] neg_lo:[0,0,1] neg_hi:[0,0,1]
	v_pk_fma_f32 v[76:77], v[78:79], v[66:67], v[76:77] op_sel:[0,0,1] op_sel_hi:[1,0,0]
	s_delay_alu instid0(VALU_DEP_1) | instskip(SKIP_4) | instid1(VALU_DEP_1)
	v_mov_b32_e32 v81, v77
	ds_load_2addr_b64 v[76:79], v70 offset0:19 offset1:20
	v_pk_add_f32 v[38:39], v[38:39], v[80:81] neg_lo:[0,1] neg_hi:[0,1]
	s_wait_dscnt 0x0
	v_pk_mul_f32 v[80:81], v[76:77], v[68:69] op_sel:[0,1]
	v_pk_fma_f32 v[82:83], v[76:77], v[66:67], v[80:81] op_sel:[0,0,1] op_sel_hi:[1,1,0] neg_lo:[0,0,1] neg_hi:[0,0,1]
	v_pk_fma_f32 v[76:77], v[76:77], v[66:67], v[80:81] op_sel:[0,0,1] op_sel_hi:[1,0,0]
	v_dual_mul_f32 v80, v79, v69 :: v_dual_mov_b32 v76, v79
	s_delay_alu instid0(VALU_DEP_2) | instskip(NEXT) | instid1(VALU_DEP_2)
	v_dual_mov_b32 v83, v77 :: v_dual_mov_b32 v77, v78
	v_pk_fma_f32 v[80:81], v[78:79], v[10:11], v[80:81] op_sel_hi:[1,1,0] neg_lo:[0,0,1] neg_hi:[0,0,1]
	v_mul_f32_e32 v78, v79, v66
	s_delay_alu instid0(VALU_DEP_3) | instskip(NEXT) | instid1(VALU_DEP_2)
	v_pk_add_f32 v[34:35], v[34:35], v[82:83] neg_lo:[0,1] neg_hi:[0,1]
	v_pk_fma_f32 v[76:77], v[76:77], v[10:11], v[78:79] op_sel_hi:[1,1,0]
	s_delay_alu instid0(VALU_DEP_1) | instskip(SKIP_4) | instid1(VALU_DEP_1)
	v_mov_b32_e32 v81, v77
	ds_load_2addr_b64 v[76:79], v70 offset0:21 offset1:22
	v_pk_add_f32 v[52:53], v[52:53], v[80:81] neg_lo:[0,1] neg_hi:[0,1]
	s_wait_dscnt 0x0
	v_pk_mul_f32 v[80:81], v[76:77], v[68:69] op_sel:[0,1]
	v_pk_fma_f32 v[82:83], v[76:77], v[66:67], v[80:81] op_sel:[0,0,1] op_sel_hi:[1,1,0] neg_lo:[0,0,1] neg_hi:[0,0,1]
	v_pk_fma_f32 v[76:77], v[76:77], v[66:67], v[80:81] op_sel:[0,0,1] op_sel_hi:[1,0,0]
	s_delay_alu instid0(VALU_DEP_1) | instskip(SKIP_1) | instid1(VALU_DEP_1)
	v_mov_b32_e32 v83, v77
	v_pk_mul_f32 v[76:77], v[78:79], v[68:69] op_sel:[0,1]
	v_pk_fma_f32 v[80:81], v[78:79], v[66:67], v[76:77] op_sel:[0,0,1] op_sel_hi:[1,1,0] neg_lo:[0,0,1] neg_hi:[0,0,1]
	v_pk_fma_f32 v[76:77], v[78:79], v[66:67], v[76:77] op_sel:[0,0,1] op_sel_hi:[1,0,0]
	s_delay_alu instid0(VALU_DEP_1)
	v_mov_b32_e32 v81, v77
	ds_load_2addr_b64 v[76:79], v70 offset0:23 offset1:24
	v_pk_add_f32 v[28:29], v[28:29], v[82:83] neg_lo:[0,1] neg_hi:[0,1]
	v_pk_add_f32 v[30:31], v[30:31], v[80:81] neg_lo:[0,1] neg_hi:[0,1]
	s_wait_dscnt 0x0
	v_pk_mul_f32 v[80:81], v[76:77], v[68:69] op_sel:[0,1]
	s_delay_alu instid0(VALU_DEP_1) | instskip(SKIP_1) | instid1(VALU_DEP_1)
	v_pk_fma_f32 v[82:83], v[76:77], v[66:67], v[80:81] op_sel:[0,0,1] op_sel_hi:[1,1,0] neg_lo:[0,0,1] neg_hi:[0,0,1]
	v_pk_fma_f32 v[76:77], v[76:77], v[66:67], v[80:81] op_sel:[0,0,1] op_sel_hi:[1,0,0]
	v_mov_b32_e32 v83, v77
	v_pk_mul_f32 v[76:77], v[78:79], v[68:69] op_sel:[0,1]
	s_delay_alu instid0(VALU_DEP_1) | instskip(SKIP_1) | instid1(VALU_DEP_1)
	v_pk_fma_f32 v[80:81], v[78:79], v[66:67], v[76:77] op_sel:[0,0,1] op_sel_hi:[1,1,0] neg_lo:[0,0,1] neg_hi:[0,0,1]
	v_pk_fma_f32 v[76:77], v[78:79], v[66:67], v[76:77] op_sel:[0,0,1] op_sel_hi:[1,0,0]
	v_mov_b32_e32 v81, v77
	ds_load_2addr_b64 v[76:79], v70 offset0:25 offset1:26
	v_pk_add_f32 v[26:27], v[26:27], v[82:83] neg_lo:[0,1] neg_hi:[0,1]
	v_pk_add_f32 v[44:45], v[44:45], v[80:81] neg_lo:[0,1] neg_hi:[0,1]
	s_wait_dscnt 0x0
	v_dual_mul_f32 v80, v77, v69 :: v_dual_mul_f32 v82, v77, v66
	s_delay_alu instid0(VALU_DEP_1) | instskip(NEXT) | instid1(VALU_DEP_2)
	v_pk_fma_f32 v[80:81], v[76:77], v[10:11], v[80:81] op_sel_hi:[1,1,0] neg_lo:[0,0,1] neg_hi:[0,0,1]
	v_pk_fma_f32 v[76:77], v[76:77], v[10:11], v[82:83] op_sel:[1,0,0] op_sel_hi:[0,1,0]
	s_delay_alu instid0(VALU_DEP_1) | instskip(SKIP_1) | instid1(VALU_DEP_2)
	v_mov_b32_e32 v81, v77
	v_pk_mul_f32 v[76:77], v[78:79], v[68:69] op_sel:[0,1]
	v_pk_add_f32 v[24:25], v[24:25], v[80:81] neg_lo:[0,1] neg_hi:[0,1]
	s_delay_alu instid0(VALU_DEP_2) | instskip(SKIP_1) | instid1(VALU_DEP_1)
	v_pk_fma_f32 v[80:81], v[78:79], v[66:67], v[76:77] op_sel:[0,0,1] op_sel_hi:[1,1,0] neg_lo:[0,0,1] neg_hi:[0,0,1]
	v_pk_fma_f32 v[76:77], v[78:79], v[66:67], v[76:77] op_sel:[0,0,1] op_sel_hi:[1,0,0]
	v_mov_b32_e32 v81, v77
	ds_load_2addr_b64 v[76:79], v70 offset0:27 offset1:28
	v_pk_add_f32 v[42:43], v[42:43], v[80:81] neg_lo:[0,1] neg_hi:[0,1]
	s_wait_dscnt 0x0
	v_pk_mul_f32 v[80:81], v[76:77], v[68:69] op_sel:[0,1]
	s_delay_alu instid0(VALU_DEP_1) | instskip(SKIP_1) | instid1(VALU_DEP_1)
	v_pk_fma_f32 v[82:83], v[76:77], v[66:67], v[80:81] op_sel:[0,0,1] op_sel_hi:[1,1,0] neg_lo:[0,0,1] neg_hi:[0,0,1]
	v_pk_fma_f32 v[76:77], v[76:77], v[66:67], v[80:81] op_sel:[0,0,1] op_sel_hi:[1,0,0]
	v_mov_b32_e32 v83, v77
	v_pk_mul_f32 v[76:77], v[78:79], v[68:69] op_sel:[0,1]
	s_delay_alu instid0(VALU_DEP_2) | instskip(NEXT) | instid1(VALU_DEP_2)
	v_pk_add_f32 v[40:41], v[40:41], v[82:83] neg_lo:[0,1] neg_hi:[0,1]
	v_pk_fma_f32 v[80:81], v[78:79], v[66:67], v[76:77] op_sel:[0,0,1] op_sel_hi:[1,1,0] neg_lo:[0,0,1] neg_hi:[0,0,1]
	v_pk_fma_f32 v[76:77], v[78:79], v[66:67], v[76:77] op_sel:[0,0,1] op_sel_hi:[1,0,0]
	s_delay_alu instid0(VALU_DEP_1) | instskip(SKIP_4) | instid1(VALU_DEP_1)
	v_mov_b32_e32 v81, v77
	ds_load_b64 v[76:77], v70 offset:232
	v_pk_add_f32 v[32:33], v[32:33], v[80:81] neg_lo:[0,1] neg_hi:[0,1]
	s_wait_dscnt 0x0
	v_pk_mul_f32 v[68:69], v[76:77], v[68:69] op_sel:[0,1]
	v_pk_fma_f32 v[78:79], v[76:77], v[66:67], v[68:69] op_sel:[0,0,1] op_sel_hi:[1,1,0] neg_lo:[0,0,1] neg_hi:[0,0,1]
	v_pk_fma_f32 v[66:67], v[76:77], v[66:67], v[68:69] op_sel:[0,0,1] op_sel_hi:[1,0,0]
	s_delay_alu instid0(VALU_DEP_1) | instskip(NEXT) | instid1(VALU_DEP_1)
	v_mov_b32_e32 v79, v67
	v_pk_add_f32 v[64:65], v[64:65], v[78:79] neg_lo:[0,1] neg_hi:[0,1]
.LBB58_146:
	s_or_b32 exec_lo, exec_lo, s0
	v_lshl_add_u32 v66, v74, 3, v70
	s_barrier_signal -1
	s_barrier_wait -1
	ds_store_b64 v66, v[6:7]
	s_wait_dscnt 0x0
	s_barrier_signal -1
	s_barrier_wait -1
	ds_load_b64 v[68:69], v70 offset:56
	v_mov_b32_e32 v66, 7
	s_cmp_lt_i32 s18, 9
	s_cbranch_scc1 .LBB58_149
; %bb.147:
	v_add3_u32 v67, v71, 0, 64
	v_mov_b32_e32 v66, 7
	s_mov_b32 s0, 8
.LBB58_148:                             ; =>This Inner Loop Header: Depth=1
	ds_load_b64 v[76:77], v67
	s_wait_dscnt 0x1
	v_cmp_gt_f32_e32 vcc_lo, 0, v68
	v_cndmask_b32_e64 v78, v68, -v68, vcc_lo
	v_cmp_gt_f32_e32 vcc_lo, 0, v69
	v_cndmask_b32_e64 v80, v69, -v69, vcc_lo
	s_wait_dscnt 0x0
	v_cmp_gt_f32_e32 vcc_lo, 0, v76
	v_cndmask_b32_e64 v79, v76, -v76, vcc_lo
	v_cmp_gt_f32_e32 vcc_lo, 0, v77
	v_cndmask_b32_e64 v81, v77, -v77, vcc_lo
	s_delay_alu instid0(VALU_DEP_1) | instskip(NEXT) | instid1(VALU_DEP_1)
	v_pk_add_f32 v[78:79], v[78:79], v[80:81]
	v_cmp_lt_f32_e32 vcc_lo, v78, v79
	v_dual_add_nc_u32 v67, 8, v67 :: v_dual_cndmask_b32 v69, v69, v77, vcc_lo
	v_cndmask_b32_e32 v68, v68, v76, vcc_lo
	v_cndmask_b32_e64 v66, v66, s0, vcc_lo
	s_add_co_i32 s0, s0, 1
	s_delay_alu instid0(SALU_CYCLE_1)
	s_cmp_lg_u32 s18, s0
	s_cbranch_scc1 .LBB58_148
.LBB58_149:
	s_wait_dscnt 0x0
	v_cmp_eq_f32_e32 vcc_lo, 0, v68
	v_cmp_eq_f32_e64 s0, 0, v69
	s_and_b32 s0, vcc_lo, s0
	s_delay_alu instid0(SALU_CYCLE_1) | instskip(NEXT) | instid1(SALU_CYCLE_1)
	s_and_saveexec_b32 s1, s0
	s_xor_b32 s0, exec_lo, s1
; %bb.150:
	v_cmp_ne_u32_e32 vcc_lo, 0, v72
	v_cndmask_b32_e32 v72, 8, v72, vcc_lo
; %bb.151:
	s_and_not1_saveexec_b32 s0, s0
	s_cbranch_execz .LBB58_157
; %bb.152:
	v_cmp_ngt_f32_e64 s1, |v68|, |v69|
	s_and_saveexec_b32 s12, s1
	s_delay_alu instid0(SALU_CYCLE_1)
	s_xor_b32 s1, exec_lo, s12
	s_cbranch_execz .LBB58_154
; %bb.153:
	v_div_scale_f32 v67, null, v69, v69, v68
	v_div_scale_f32 v77, vcc_lo, v68, v69, v68
	s_delay_alu instid0(VALU_DEP_2) | instskip(SKIP_1) | instid1(TRANS32_DEP_1)
	v_rcp_f32_e32 v75, v67
	v_nop
	v_fma_f32 v76, -v67, v75, 1.0
	s_delay_alu instid0(VALU_DEP_1) | instskip(NEXT) | instid1(VALU_DEP_1)
	v_fmac_f32_e32 v75, v76, v75
	v_mul_f32_e32 v76, v77, v75
	s_delay_alu instid0(VALU_DEP_1) | instskip(NEXT) | instid1(VALU_DEP_1)
	v_fma_f32 v78, -v67, v76, v77
	v_fmac_f32_e32 v76, v78, v75
	s_delay_alu instid0(VALU_DEP_1) | instskip(NEXT) | instid1(VALU_DEP_1)
	v_fma_f32 v67, -v67, v76, v77
	v_div_fmas_f32 v67, v67, v75, v76
	s_delay_alu instid0(VALU_DEP_1) | instskip(NEXT) | instid1(VALU_DEP_1)
	v_div_fixup_f32 v67, v67, v69, v68
	v_fmac_f32_e32 v69, v68, v67
	s_delay_alu instid0(VALU_DEP_1) | instskip(SKIP_1) | instid1(VALU_DEP_2)
	v_div_scale_f32 v68, null, v69, v69, 1.0
	v_div_scale_f32 v77, vcc_lo, 1.0, v69, 1.0
	v_rcp_f32_e32 v75, v68
	v_nop
	s_delay_alu instid0(TRANS32_DEP_1) | instskip(NEXT) | instid1(VALU_DEP_1)
	v_fma_f32 v76, -v68, v75, 1.0
	v_fmac_f32_e32 v75, v76, v75
	s_delay_alu instid0(VALU_DEP_1) | instskip(NEXT) | instid1(VALU_DEP_1)
	v_mul_f32_e32 v76, v77, v75
	v_fma_f32 v78, -v68, v76, v77
	s_delay_alu instid0(VALU_DEP_1) | instskip(NEXT) | instid1(VALU_DEP_1)
	v_fmac_f32_e32 v76, v78, v75
	v_fma_f32 v68, -v68, v76, v77
	s_delay_alu instid0(VALU_DEP_1) | instskip(NEXT) | instid1(VALU_DEP_1)
	v_div_fmas_f32 v68, v68, v75, v76
	v_div_fixup_f32 v69, v68, v69, 1.0
	s_delay_alu instid0(VALU_DEP_1)
	v_mul_f32_e32 v68, v67, v69
	v_xor_b32_e32 v69, 0x80000000, v69
.LBB58_154:
	s_and_not1_saveexec_b32 s1, s1
	s_cbranch_execz .LBB58_156
; %bb.155:
	s_delay_alu instid0(VALU_DEP_1) | instskip(SKIP_1) | instid1(VALU_DEP_2)
	v_div_scale_f32 v67, null, v68, v68, v69
	v_div_scale_f32 v77, vcc_lo, v69, v68, v69
	v_rcp_f32_e32 v75, v67
	v_nop
	s_delay_alu instid0(TRANS32_DEP_1) | instskip(NEXT) | instid1(VALU_DEP_1)
	v_fma_f32 v76, -v67, v75, 1.0
	v_fmac_f32_e32 v75, v76, v75
	s_delay_alu instid0(VALU_DEP_1) | instskip(NEXT) | instid1(VALU_DEP_1)
	v_mul_f32_e32 v76, v77, v75
	v_fma_f32 v78, -v67, v76, v77
	s_delay_alu instid0(VALU_DEP_1) | instskip(NEXT) | instid1(VALU_DEP_1)
	v_fmac_f32_e32 v76, v78, v75
	v_fma_f32 v67, -v67, v76, v77
	s_delay_alu instid0(VALU_DEP_1) | instskip(NEXT) | instid1(VALU_DEP_1)
	v_div_fmas_f32 v67, v67, v75, v76
	v_div_fixup_f32 v67, v67, v68, v69
	s_delay_alu instid0(VALU_DEP_1) | instskip(NEXT) | instid1(VALU_DEP_1)
	v_fmac_f32_e32 v68, v69, v67
	v_div_scale_f32 v69, null, v68, v68, 1.0
	s_delay_alu instid0(VALU_DEP_1) | instskip(SKIP_1) | instid1(TRANS32_DEP_1)
	v_rcp_f32_e32 v75, v69
	v_nop
	v_fma_f32 v76, -v69, v75, 1.0
	s_delay_alu instid0(VALU_DEP_1) | instskip(SKIP_1) | instid1(VALU_DEP_1)
	v_fmac_f32_e32 v75, v76, v75
	v_div_scale_f32 v76, vcc_lo, 1.0, v68, 1.0
	v_mul_f32_e32 v77, v76, v75
	s_delay_alu instid0(VALU_DEP_1) | instskip(NEXT) | instid1(VALU_DEP_1)
	v_fma_f32 v78, -v69, v77, v76
	v_fmac_f32_e32 v77, v78, v75
	s_delay_alu instid0(VALU_DEP_1) | instskip(NEXT) | instid1(VALU_DEP_1)
	v_fma_f32 v69, -v69, v77, v76
	v_div_fmas_f32 v69, v69, v75, v77
	s_delay_alu instid0(VALU_DEP_1) | instskip(NEXT) | instid1(VALU_DEP_1)
	v_div_fixup_f32 v68, v69, v68, 1.0
	v_mul_f32_e64 v69, v67, -v68
.LBB58_156:
	s_or_b32 exec_lo, exec_lo, s1
.LBB58_157:
	s_delay_alu instid0(SALU_CYCLE_1) | instskip(NEXT) | instid1(SALU_CYCLE_1)
	s_or_b32 exec_lo, exec_lo, s0
	s_mov_b32 s0, exec_lo
	v_cmpx_ne_u32_e64 v74, v66
	s_xor_b32 s0, exec_lo, s0
	s_cbranch_execz .LBB58_163
; %bb.158:
	s_mov_b32 s1, exec_lo
	v_cmpx_eq_u32_e32 7, v74
	s_cbranch_execz .LBB58_162
; %bb.159:
	v_cmp_ne_u32_e32 vcc_lo, 7, v66
	s_xor_b32 s12, s16, -1
	s_delay_alu instid0(SALU_CYCLE_1) | instskip(NEXT) | instid1(SALU_CYCLE_1)
	s_and_b32 s13, s12, vcc_lo
	s_and_saveexec_b32 s12, s13
	s_cbranch_execz .LBB58_161
; %bb.160:
	v_ashrrev_i32_e32 v67, 31, v66
	s_delay_alu instid0(VALU_DEP_1)
	v_lshl_add_u64 v[74:75], v[66:67], 2, v[4:5]
	s_clause 0x1
	global_load_b32 v67, v[74:75], off
	global_load_b32 v73, v[4:5], off offset:28
	s_wait_loadcnt 0x1
	global_store_b32 v[4:5], v67, off offset:28
	s_wait_loadcnt 0x0
	global_store_b32 v[74:75], v73, off
.LBB58_161:
	s_wait_xcnt 0x0
	s_or_b32 exec_lo, exec_lo, s12
	v_dual_mov_b32 v74, v66 :: v_dual_mov_b32 v73, v66
.LBB58_162:
	s_or_b32 exec_lo, exec_lo, s1
.LBB58_163:
	s_and_not1_saveexec_b32 s0, s0
	s_cbranch_execz .LBB58_165
; %bb.164:
	v_dual_mov_b32 v66, v48 :: v_dual_mov_b32 v67, v49
	v_dual_mov_b32 v74, v14 :: v_dual_mov_b32 v75, v15
	v_dual_mov_b32 v76, v16 :: v_dual_mov_b32 v77, v17
	v_dual_mov_b32 v78, v12 :: v_dual_mov_b32 v79, v13
	v_dual_mov_b32 v80, v50 :: v_dual_mov_b32 v81, v51
	v_dual_mov_b32 v82, v20 :: v_dual_mov_b32 v83, v21
	v_dual_mov_b32 v84, v22 :: v_dual_mov_b32 v85, v23
	v_dual_mov_b32 v86, v18 :: v_dual_mov_b32 v87, v19
	v_dual_mov_b32 v88, v54 :: v_dual_mov_b32 v89, v55
	v_dual_mov_b32 v90, v36 :: v_dual_mov_b32 v91, v37
	v_dual_mov_b32 v92, v38 :: v_dual_mov_b32 v93, v39
	v_dual_mov_b32 v94, v34 :: v_dual_mov_b32 v95, v35
	ds_store_2addr_b64 v70, v[66:67], v[74:75] offset0:8 offset1:9
	ds_store_2addr_b64 v70, v[76:77], v[78:79] offset0:10 offset1:11
	;; [unrolled: 1-line block ×6, first 2 shown]
	v_dual_mov_b32 v66, v52 :: v_dual_mov_b32 v67, v53
	v_dual_mov_b32 v76, v28 :: v_dual_mov_b32 v77, v29
	;; [unrolled: 1-line block ×9, first 2 shown]
	v_mov_b32_e32 v91, v33
	ds_store_2addr_b64 v70, v[66:67], v[76:77] offset0:20 offset1:21
	ds_store_2addr_b64 v70, v[78:79], v[80:81] offset0:22 offset1:23
	;; [unrolled: 1-line block ×5, first 2 shown]
.LBB58_165:
	s_or_b32 exec_lo, exec_lo, s0
	s_delay_alu instid0(SALU_CYCLE_1)
	s_mov_b32 s0, exec_lo
	s_wait_storecnt_dscnt 0x0
	s_barrier_signal -1
	s_barrier_wait -1
	v_cmpx_lt_i32_e32 7, v74
	s_cbranch_execz .LBB58_167
; %bb.166:
	v_pk_mul_f32 v[76:77], v[68:69], v[6:7] op_sel:[1,1] op_sel_hi:[0,1]
	s_delay_alu instid0(VALU_DEP_1)
	v_pk_fma_f32 v[66:67], v[68:69], v[6:7], v[76:77] op_sel_hi:[1,0,1] neg_lo:[0,0,1] neg_hi:[0,0,1]
	v_pk_fma_f32 v[68:69], v[68:69], v[6:7], v[76:77] op_sel_hi:[1,0,1]
	ds_load_2addr_b64 v[76:79], v70 offset0:8 offset1:9
	v_dual_mov_b32 v6, v66 :: v_dual_mov_b32 v7, v69
	s_wait_dscnt 0x0
	v_pk_mul_f32 v[80:81], v[76:77], v[68:69] op_sel:[0,1]
	s_delay_alu instid0(VALU_DEP_1) | instskip(SKIP_1) | instid1(VALU_DEP_1)
	v_pk_fma_f32 v[82:83], v[76:77], v[66:67], v[80:81] op_sel:[0,0,1] op_sel_hi:[1,1,0] neg_lo:[0,0,1] neg_hi:[0,0,1]
	v_pk_fma_f32 v[76:77], v[76:77], v[66:67], v[80:81] op_sel:[0,0,1] op_sel_hi:[1,0,0]
	v_mov_b32_e32 v83, v77
	v_pk_mul_f32 v[76:77], v[78:79], v[68:69] op_sel:[0,1]
	s_delay_alu instid0(VALU_DEP_1) | instskip(SKIP_1) | instid1(VALU_DEP_1)
	v_pk_fma_f32 v[80:81], v[78:79], v[66:67], v[76:77] op_sel:[0,0,1] op_sel_hi:[1,1,0] neg_lo:[0,0,1] neg_hi:[0,0,1]
	v_pk_fma_f32 v[76:77], v[78:79], v[66:67], v[76:77] op_sel:[0,0,1] op_sel_hi:[1,0,0]
	v_mov_b32_e32 v81, v77
	ds_load_2addr_b64 v[76:79], v70 offset0:10 offset1:11
	v_pk_add_f32 v[48:49], v[48:49], v[82:83] neg_lo:[0,1] neg_hi:[0,1]
	v_pk_add_f32 v[14:15], v[14:15], v[80:81] neg_lo:[0,1] neg_hi:[0,1]
	s_wait_dscnt 0x0
	v_pk_mul_f32 v[80:81], v[76:77], v[68:69] op_sel:[0,1]
	s_delay_alu instid0(VALU_DEP_1) | instskip(SKIP_2) | instid1(VALU_DEP_2)
	v_pk_fma_f32 v[82:83], v[76:77], v[66:67], v[80:81] op_sel:[0,0,1] op_sel_hi:[1,1,0] neg_lo:[0,0,1] neg_hi:[0,0,1]
	v_pk_fma_f32 v[76:77], v[76:77], v[66:67], v[80:81] op_sel:[0,0,1] op_sel_hi:[1,0,0]
	v_dual_mul_f32 v80, v79, v69 :: v_dual_mov_b32 v76, v79
	v_dual_mov_b32 v83, v77 :: v_dual_mov_b32 v77, v78
	s_delay_alu instid0(VALU_DEP_2) | instskip(SKIP_1) | instid1(VALU_DEP_3)
	v_pk_fma_f32 v[80:81], v[78:79], v[6:7], v[80:81] op_sel_hi:[1,1,0] neg_lo:[0,0,1] neg_hi:[0,0,1]
	v_mul_f32_e32 v78, v79, v66
	v_pk_add_f32 v[16:17], v[16:17], v[82:83] neg_lo:[0,1] neg_hi:[0,1]
	s_delay_alu instid0(VALU_DEP_2) | instskip(NEXT) | instid1(VALU_DEP_1)
	v_pk_fma_f32 v[76:77], v[76:77], v[6:7], v[78:79] op_sel_hi:[1,1,0]
	v_mov_b32_e32 v81, v77
	ds_load_2addr_b64 v[76:79], v70 offset0:12 offset1:13
	v_pk_add_f32 v[12:13], v[12:13], v[80:81] neg_lo:[0,1] neg_hi:[0,1]
	s_wait_dscnt 0x0
	v_pk_mul_f32 v[80:81], v[76:77], v[68:69] op_sel:[0,1]
	s_delay_alu instid0(VALU_DEP_1) | instskip(SKIP_1) | instid1(VALU_DEP_1)
	v_pk_fma_f32 v[82:83], v[76:77], v[66:67], v[80:81] op_sel:[0,0,1] op_sel_hi:[1,1,0] neg_lo:[0,0,1] neg_hi:[0,0,1]
	v_pk_fma_f32 v[76:77], v[76:77], v[66:67], v[80:81] op_sel:[0,0,1] op_sel_hi:[1,0,0]
	v_mov_b32_e32 v83, v77
	v_pk_mul_f32 v[76:77], v[78:79], v[68:69] op_sel:[0,1]
	s_delay_alu instid0(VALU_DEP_1) | instskip(SKIP_1) | instid1(VALU_DEP_1)
	v_pk_fma_f32 v[80:81], v[78:79], v[66:67], v[76:77] op_sel:[0,0,1] op_sel_hi:[1,1,0] neg_lo:[0,0,1] neg_hi:[0,0,1]
	v_pk_fma_f32 v[76:77], v[78:79], v[66:67], v[76:77] op_sel:[0,0,1] op_sel_hi:[1,0,0]
	v_mov_b32_e32 v81, v77
	ds_load_2addr_b64 v[76:79], v70 offset0:14 offset1:15
	v_pk_add_f32 v[50:51], v[50:51], v[82:83] neg_lo:[0,1] neg_hi:[0,1]
	v_pk_add_f32 v[20:21], v[20:21], v[80:81] neg_lo:[0,1] neg_hi:[0,1]
	s_wait_dscnt 0x0
	v_pk_mul_f32 v[80:81], v[76:77], v[68:69] op_sel:[0,1]
	s_delay_alu instid0(VALU_DEP_1) | instskip(SKIP_1) | instid1(VALU_DEP_1)
	v_pk_fma_f32 v[82:83], v[76:77], v[66:67], v[80:81] op_sel:[0,0,1] op_sel_hi:[1,1,0] neg_lo:[0,0,1] neg_hi:[0,0,1]
	v_pk_fma_f32 v[76:77], v[76:77], v[66:67], v[80:81] op_sel:[0,0,1] op_sel_hi:[1,0,0]
	v_mov_b32_e32 v83, v77
	v_pk_mul_f32 v[76:77], v[78:79], v[68:69] op_sel:[0,1]
	s_delay_alu instid0(VALU_DEP_1) | instskip(SKIP_1) | instid1(VALU_DEP_1)
	v_pk_fma_f32 v[80:81], v[78:79], v[66:67], v[76:77] op_sel:[0,0,1] op_sel_hi:[1,1,0] neg_lo:[0,0,1] neg_hi:[0,0,1]
	v_pk_fma_f32 v[76:77], v[78:79], v[66:67], v[76:77] op_sel:[0,0,1] op_sel_hi:[1,0,0]
	v_mov_b32_e32 v81, v77
	ds_load_2addr_b64 v[76:79], v70 offset0:16 offset1:17
	v_pk_add_f32 v[22:23], v[22:23], v[82:83] neg_lo:[0,1] neg_hi:[0,1]
	v_pk_add_f32 v[18:19], v[18:19], v[80:81] neg_lo:[0,1] neg_hi:[0,1]
	s_wait_dscnt 0x0
	v_dual_mul_f32 v80, v77, v69 :: v_dual_mul_f32 v82, v77, v66
	s_delay_alu instid0(VALU_DEP_1) | instskip(NEXT) | instid1(VALU_DEP_2)
	v_pk_fma_f32 v[80:81], v[76:77], v[6:7], v[80:81] op_sel_hi:[1,1,0] neg_lo:[0,0,1] neg_hi:[0,0,1]
	v_pk_fma_f32 v[76:77], v[76:77], v[6:7], v[82:83] op_sel:[1,0,0] op_sel_hi:[0,1,0]
	s_delay_alu instid0(VALU_DEP_1) | instskip(SKIP_1) | instid1(VALU_DEP_2)
	v_mov_b32_e32 v81, v77
	v_pk_mul_f32 v[76:77], v[78:79], v[68:69] op_sel:[0,1]
	v_pk_add_f32 v[54:55], v[54:55], v[80:81] neg_lo:[0,1] neg_hi:[0,1]
	s_delay_alu instid0(VALU_DEP_2) | instskip(SKIP_1) | instid1(VALU_DEP_1)
	v_pk_fma_f32 v[80:81], v[78:79], v[66:67], v[76:77] op_sel:[0,0,1] op_sel_hi:[1,1,0] neg_lo:[0,0,1] neg_hi:[0,0,1]
	v_pk_fma_f32 v[76:77], v[78:79], v[66:67], v[76:77] op_sel:[0,0,1] op_sel_hi:[1,0,0]
	v_mov_b32_e32 v81, v77
	ds_load_2addr_b64 v[76:79], v70 offset0:18 offset1:19
	v_pk_add_f32 v[36:37], v[36:37], v[80:81] neg_lo:[0,1] neg_hi:[0,1]
	s_wait_dscnt 0x0
	v_pk_mul_f32 v[80:81], v[76:77], v[68:69] op_sel:[0,1]
	s_delay_alu instid0(VALU_DEP_1) | instskip(SKIP_1) | instid1(VALU_DEP_1)
	v_pk_fma_f32 v[82:83], v[76:77], v[66:67], v[80:81] op_sel:[0,0,1] op_sel_hi:[1,1,0] neg_lo:[0,0,1] neg_hi:[0,0,1]
	v_pk_fma_f32 v[76:77], v[76:77], v[66:67], v[80:81] op_sel:[0,0,1] op_sel_hi:[1,0,0]
	v_mov_b32_e32 v83, v77
	v_pk_mul_f32 v[76:77], v[78:79], v[68:69] op_sel:[0,1]
	s_delay_alu instid0(VALU_DEP_2) | instskip(NEXT) | instid1(VALU_DEP_2)
	v_pk_add_f32 v[38:39], v[38:39], v[82:83] neg_lo:[0,1] neg_hi:[0,1]
	v_pk_fma_f32 v[80:81], v[78:79], v[66:67], v[76:77] op_sel:[0,0,1] op_sel_hi:[1,1,0] neg_lo:[0,0,1] neg_hi:[0,0,1]
	v_pk_fma_f32 v[76:77], v[78:79], v[66:67], v[76:77] op_sel:[0,0,1] op_sel_hi:[1,0,0]
	s_delay_alu instid0(VALU_DEP_1) | instskip(SKIP_4) | instid1(VALU_DEP_1)
	v_mov_b32_e32 v81, v77
	ds_load_2addr_b64 v[76:79], v70 offset0:20 offset1:21
	v_pk_add_f32 v[34:35], v[34:35], v[80:81] neg_lo:[0,1] neg_hi:[0,1]
	s_wait_dscnt 0x0
	v_pk_mul_f32 v[80:81], v[76:77], v[68:69] op_sel:[0,1]
	v_pk_fma_f32 v[82:83], v[76:77], v[66:67], v[80:81] op_sel:[0,0,1] op_sel_hi:[1,1,0] neg_lo:[0,0,1] neg_hi:[0,0,1]
	v_pk_fma_f32 v[76:77], v[76:77], v[66:67], v[80:81] op_sel:[0,0,1] op_sel_hi:[1,0,0]
	v_dual_mul_f32 v80, v79, v69 :: v_dual_mov_b32 v76, v79
	s_delay_alu instid0(VALU_DEP_2) | instskip(NEXT) | instid1(VALU_DEP_2)
	v_dual_mov_b32 v83, v77 :: v_dual_mov_b32 v77, v78
	v_pk_fma_f32 v[80:81], v[78:79], v[6:7], v[80:81] op_sel_hi:[1,1,0] neg_lo:[0,0,1] neg_hi:[0,0,1]
	v_mul_f32_e32 v78, v79, v66
	s_delay_alu instid0(VALU_DEP_3) | instskip(NEXT) | instid1(VALU_DEP_2)
	v_pk_add_f32 v[52:53], v[52:53], v[82:83] neg_lo:[0,1] neg_hi:[0,1]
	v_pk_fma_f32 v[76:77], v[76:77], v[6:7], v[78:79] op_sel_hi:[1,1,0]
	s_delay_alu instid0(VALU_DEP_1) | instskip(SKIP_4) | instid1(VALU_DEP_1)
	v_mov_b32_e32 v81, v77
	ds_load_2addr_b64 v[76:79], v70 offset0:22 offset1:23
	v_pk_add_f32 v[28:29], v[28:29], v[80:81] neg_lo:[0,1] neg_hi:[0,1]
	s_wait_dscnt 0x0
	v_pk_mul_f32 v[80:81], v[76:77], v[68:69] op_sel:[0,1]
	v_pk_fma_f32 v[82:83], v[76:77], v[66:67], v[80:81] op_sel:[0,0,1] op_sel_hi:[1,1,0] neg_lo:[0,0,1] neg_hi:[0,0,1]
	v_pk_fma_f32 v[76:77], v[76:77], v[66:67], v[80:81] op_sel:[0,0,1] op_sel_hi:[1,0,0]
	s_delay_alu instid0(VALU_DEP_1) | instskip(SKIP_1) | instid1(VALU_DEP_1)
	v_mov_b32_e32 v83, v77
	v_pk_mul_f32 v[76:77], v[78:79], v[68:69] op_sel:[0,1]
	v_pk_fma_f32 v[80:81], v[78:79], v[66:67], v[76:77] op_sel:[0,0,1] op_sel_hi:[1,1,0] neg_lo:[0,0,1] neg_hi:[0,0,1]
	v_pk_fma_f32 v[76:77], v[78:79], v[66:67], v[76:77] op_sel:[0,0,1] op_sel_hi:[1,0,0]
	s_delay_alu instid0(VALU_DEP_1)
	v_mov_b32_e32 v81, v77
	ds_load_2addr_b64 v[76:79], v70 offset0:24 offset1:25
	v_pk_add_f32 v[30:31], v[30:31], v[82:83] neg_lo:[0,1] neg_hi:[0,1]
	v_pk_add_f32 v[26:27], v[26:27], v[80:81] neg_lo:[0,1] neg_hi:[0,1]
	s_wait_dscnt 0x0
	v_pk_mul_f32 v[80:81], v[76:77], v[68:69] op_sel:[0,1]
	s_delay_alu instid0(VALU_DEP_1) | instskip(SKIP_1) | instid1(VALU_DEP_1)
	v_pk_fma_f32 v[82:83], v[76:77], v[66:67], v[80:81] op_sel:[0,0,1] op_sel_hi:[1,1,0] neg_lo:[0,0,1] neg_hi:[0,0,1]
	v_pk_fma_f32 v[76:77], v[76:77], v[66:67], v[80:81] op_sel:[0,0,1] op_sel_hi:[1,0,0]
	v_mov_b32_e32 v83, v77
	v_pk_mul_f32 v[76:77], v[78:79], v[68:69] op_sel:[0,1]
	s_delay_alu instid0(VALU_DEP_1) | instskip(SKIP_1) | instid1(VALU_DEP_1)
	v_pk_fma_f32 v[80:81], v[78:79], v[66:67], v[76:77] op_sel:[0,0,1] op_sel_hi:[1,1,0] neg_lo:[0,0,1] neg_hi:[0,0,1]
	v_pk_fma_f32 v[76:77], v[78:79], v[66:67], v[76:77] op_sel:[0,0,1] op_sel_hi:[1,0,0]
	v_mov_b32_e32 v81, v77
	ds_load_2addr_b64 v[76:79], v70 offset0:26 offset1:27
	v_pk_add_f32 v[44:45], v[44:45], v[82:83] neg_lo:[0,1] neg_hi:[0,1]
	v_pk_add_f32 v[24:25], v[24:25], v[80:81] neg_lo:[0,1] neg_hi:[0,1]
	s_wait_dscnt 0x0
	v_dual_mul_f32 v80, v77, v69 :: v_dual_mul_f32 v82, v77, v66
	s_delay_alu instid0(VALU_DEP_1) | instskip(NEXT) | instid1(VALU_DEP_2)
	v_pk_fma_f32 v[80:81], v[76:77], v[6:7], v[80:81] op_sel_hi:[1,1,0] neg_lo:[0,0,1] neg_hi:[0,0,1]
	v_pk_fma_f32 v[76:77], v[76:77], v[6:7], v[82:83] op_sel:[1,0,0] op_sel_hi:[0,1,0]
	s_delay_alu instid0(VALU_DEP_1) | instskip(SKIP_1) | instid1(VALU_DEP_2)
	v_mov_b32_e32 v81, v77
	v_pk_mul_f32 v[76:77], v[78:79], v[68:69] op_sel:[0,1]
	v_pk_add_f32 v[42:43], v[42:43], v[80:81] neg_lo:[0,1] neg_hi:[0,1]
	s_delay_alu instid0(VALU_DEP_2) | instskip(SKIP_1) | instid1(VALU_DEP_1)
	v_pk_fma_f32 v[80:81], v[78:79], v[66:67], v[76:77] op_sel:[0,0,1] op_sel_hi:[1,1,0] neg_lo:[0,0,1] neg_hi:[0,0,1]
	v_pk_fma_f32 v[76:77], v[78:79], v[66:67], v[76:77] op_sel:[0,0,1] op_sel_hi:[1,0,0]
	v_mov_b32_e32 v81, v77
	ds_load_2addr_b64 v[76:79], v70 offset0:28 offset1:29
	v_pk_add_f32 v[40:41], v[40:41], v[80:81] neg_lo:[0,1] neg_hi:[0,1]
	s_wait_dscnt 0x0
	v_pk_mul_f32 v[80:81], v[76:77], v[68:69] op_sel:[0,1]
	v_pk_mul_f32 v[68:69], v[78:79], v[68:69] op_sel:[0,1]
	s_delay_alu instid0(VALU_DEP_2) | instskip(SKIP_1) | instid1(VALU_DEP_1)
	v_pk_fma_f32 v[82:83], v[76:77], v[66:67], v[80:81] op_sel:[0,0,1] op_sel_hi:[1,1,0] neg_lo:[0,0,1] neg_hi:[0,0,1]
	v_pk_fma_f32 v[76:77], v[76:77], v[66:67], v[80:81] op_sel:[0,0,1] op_sel_hi:[1,0,0]
	v_mov_b32_e32 v83, v77
	s_delay_alu instid0(VALU_DEP_4) | instskip(SKIP_1) | instid1(VALU_DEP_3)
	v_pk_fma_f32 v[76:77], v[78:79], v[66:67], v[68:69] op_sel:[0,0,1] op_sel_hi:[1,1,0] neg_lo:[0,0,1] neg_hi:[0,0,1]
	v_pk_fma_f32 v[66:67], v[78:79], v[66:67], v[68:69] op_sel:[0,0,1] op_sel_hi:[1,0,0]
	v_pk_add_f32 v[32:33], v[32:33], v[82:83] neg_lo:[0,1] neg_hi:[0,1]
	s_delay_alu instid0(VALU_DEP_2) | instskip(NEXT) | instid1(VALU_DEP_1)
	v_mov_b32_e32 v77, v67
	v_pk_add_f32 v[64:65], v[64:65], v[76:77] neg_lo:[0,1] neg_hi:[0,1]
.LBB58_167:
	s_or_b32 exec_lo, exec_lo, s0
	v_lshl_add_u32 v66, v74, 3, v70
	s_barrier_signal -1
	s_barrier_wait -1
	ds_store_b64 v66, v[48:49]
	s_wait_dscnt 0x0
	s_barrier_signal -1
	s_barrier_wait -1
	ds_load_b64 v[68:69], v70 offset:64
	v_mov_b32_e32 v66, 8
	s_cmp_lt_i32 s18, 10
	s_cbranch_scc1 .LBB58_170
; %bb.168:
	v_add3_u32 v67, v71, 0, 0x48
	v_mov_b32_e32 v66, 8
	s_mov_b32 s0, 9
.LBB58_169:                             ; =>This Inner Loop Header: Depth=1
	ds_load_b64 v[76:77], v67
	s_wait_dscnt 0x1
	v_cmp_gt_f32_e32 vcc_lo, 0, v68
	v_cndmask_b32_e64 v78, v68, -v68, vcc_lo
	v_cmp_gt_f32_e32 vcc_lo, 0, v69
	v_cndmask_b32_e64 v80, v69, -v69, vcc_lo
	s_wait_dscnt 0x0
	v_cmp_gt_f32_e32 vcc_lo, 0, v76
	v_cndmask_b32_e64 v79, v76, -v76, vcc_lo
	v_cmp_gt_f32_e32 vcc_lo, 0, v77
	v_cndmask_b32_e64 v81, v77, -v77, vcc_lo
	s_delay_alu instid0(VALU_DEP_1) | instskip(NEXT) | instid1(VALU_DEP_1)
	v_pk_add_f32 v[78:79], v[78:79], v[80:81]
	v_cmp_lt_f32_e32 vcc_lo, v78, v79
	v_dual_add_nc_u32 v67, 8, v67 :: v_dual_cndmask_b32 v69, v69, v77, vcc_lo
	v_cndmask_b32_e32 v68, v68, v76, vcc_lo
	v_cndmask_b32_e64 v66, v66, s0, vcc_lo
	s_add_co_i32 s0, s0, 1
	s_delay_alu instid0(SALU_CYCLE_1)
	s_cmp_lg_u32 s18, s0
	s_cbranch_scc1 .LBB58_169
.LBB58_170:
	s_wait_dscnt 0x0
	v_cmp_eq_f32_e32 vcc_lo, 0, v68
	v_cmp_eq_f32_e64 s0, 0, v69
	s_and_b32 s0, vcc_lo, s0
	s_delay_alu instid0(SALU_CYCLE_1) | instskip(NEXT) | instid1(SALU_CYCLE_1)
	s_and_saveexec_b32 s1, s0
	s_xor_b32 s0, exec_lo, s1
; %bb.171:
	v_cmp_ne_u32_e32 vcc_lo, 0, v72
	v_cndmask_b32_e32 v72, 9, v72, vcc_lo
; %bb.172:
	s_and_not1_saveexec_b32 s0, s0
	s_cbranch_execz .LBB58_178
; %bb.173:
	v_cmp_ngt_f32_e64 s1, |v68|, |v69|
	s_and_saveexec_b32 s12, s1
	s_delay_alu instid0(SALU_CYCLE_1)
	s_xor_b32 s1, exec_lo, s12
	s_cbranch_execz .LBB58_175
; %bb.174:
	v_div_scale_f32 v67, null, v69, v69, v68
	v_div_scale_f32 v77, vcc_lo, v68, v69, v68
	s_delay_alu instid0(VALU_DEP_2) | instskip(SKIP_1) | instid1(TRANS32_DEP_1)
	v_rcp_f32_e32 v75, v67
	v_nop
	v_fma_f32 v76, -v67, v75, 1.0
	s_delay_alu instid0(VALU_DEP_1) | instskip(NEXT) | instid1(VALU_DEP_1)
	v_fmac_f32_e32 v75, v76, v75
	v_mul_f32_e32 v76, v77, v75
	s_delay_alu instid0(VALU_DEP_1) | instskip(NEXT) | instid1(VALU_DEP_1)
	v_fma_f32 v78, -v67, v76, v77
	v_fmac_f32_e32 v76, v78, v75
	s_delay_alu instid0(VALU_DEP_1) | instskip(NEXT) | instid1(VALU_DEP_1)
	v_fma_f32 v67, -v67, v76, v77
	v_div_fmas_f32 v67, v67, v75, v76
	s_delay_alu instid0(VALU_DEP_1) | instskip(NEXT) | instid1(VALU_DEP_1)
	v_div_fixup_f32 v67, v67, v69, v68
	v_fmac_f32_e32 v69, v68, v67
	s_delay_alu instid0(VALU_DEP_1) | instskip(SKIP_1) | instid1(VALU_DEP_2)
	v_div_scale_f32 v68, null, v69, v69, 1.0
	v_div_scale_f32 v77, vcc_lo, 1.0, v69, 1.0
	v_rcp_f32_e32 v75, v68
	v_nop
	s_delay_alu instid0(TRANS32_DEP_1) | instskip(NEXT) | instid1(VALU_DEP_1)
	v_fma_f32 v76, -v68, v75, 1.0
	v_fmac_f32_e32 v75, v76, v75
	s_delay_alu instid0(VALU_DEP_1) | instskip(NEXT) | instid1(VALU_DEP_1)
	v_mul_f32_e32 v76, v77, v75
	v_fma_f32 v78, -v68, v76, v77
	s_delay_alu instid0(VALU_DEP_1) | instskip(NEXT) | instid1(VALU_DEP_1)
	v_fmac_f32_e32 v76, v78, v75
	v_fma_f32 v68, -v68, v76, v77
	s_delay_alu instid0(VALU_DEP_1) | instskip(NEXT) | instid1(VALU_DEP_1)
	v_div_fmas_f32 v68, v68, v75, v76
	v_div_fixup_f32 v69, v68, v69, 1.0
	s_delay_alu instid0(VALU_DEP_1)
	v_mul_f32_e32 v68, v67, v69
	v_xor_b32_e32 v69, 0x80000000, v69
.LBB58_175:
	s_and_not1_saveexec_b32 s1, s1
	s_cbranch_execz .LBB58_177
; %bb.176:
	s_delay_alu instid0(VALU_DEP_1) | instskip(SKIP_1) | instid1(VALU_DEP_2)
	v_div_scale_f32 v67, null, v68, v68, v69
	v_div_scale_f32 v77, vcc_lo, v69, v68, v69
	v_rcp_f32_e32 v75, v67
	v_nop
	s_delay_alu instid0(TRANS32_DEP_1) | instskip(NEXT) | instid1(VALU_DEP_1)
	v_fma_f32 v76, -v67, v75, 1.0
	v_fmac_f32_e32 v75, v76, v75
	s_delay_alu instid0(VALU_DEP_1) | instskip(NEXT) | instid1(VALU_DEP_1)
	v_mul_f32_e32 v76, v77, v75
	v_fma_f32 v78, -v67, v76, v77
	s_delay_alu instid0(VALU_DEP_1) | instskip(NEXT) | instid1(VALU_DEP_1)
	v_fmac_f32_e32 v76, v78, v75
	v_fma_f32 v67, -v67, v76, v77
	s_delay_alu instid0(VALU_DEP_1) | instskip(NEXT) | instid1(VALU_DEP_1)
	v_div_fmas_f32 v67, v67, v75, v76
	v_div_fixup_f32 v67, v67, v68, v69
	s_delay_alu instid0(VALU_DEP_1) | instskip(NEXT) | instid1(VALU_DEP_1)
	v_fmac_f32_e32 v68, v69, v67
	v_div_scale_f32 v69, null, v68, v68, 1.0
	s_delay_alu instid0(VALU_DEP_1) | instskip(SKIP_1) | instid1(TRANS32_DEP_1)
	v_rcp_f32_e32 v75, v69
	v_nop
	v_fma_f32 v76, -v69, v75, 1.0
	s_delay_alu instid0(VALU_DEP_1) | instskip(SKIP_1) | instid1(VALU_DEP_1)
	v_fmac_f32_e32 v75, v76, v75
	v_div_scale_f32 v76, vcc_lo, 1.0, v68, 1.0
	v_mul_f32_e32 v77, v76, v75
	s_delay_alu instid0(VALU_DEP_1) | instskip(NEXT) | instid1(VALU_DEP_1)
	v_fma_f32 v78, -v69, v77, v76
	v_fmac_f32_e32 v77, v78, v75
	s_delay_alu instid0(VALU_DEP_1) | instskip(NEXT) | instid1(VALU_DEP_1)
	v_fma_f32 v69, -v69, v77, v76
	v_div_fmas_f32 v69, v69, v75, v77
	s_delay_alu instid0(VALU_DEP_1) | instskip(NEXT) | instid1(VALU_DEP_1)
	v_div_fixup_f32 v68, v69, v68, 1.0
	v_mul_f32_e64 v69, v67, -v68
.LBB58_177:
	s_or_b32 exec_lo, exec_lo, s1
.LBB58_178:
	s_delay_alu instid0(SALU_CYCLE_1) | instskip(NEXT) | instid1(SALU_CYCLE_1)
	s_or_b32 exec_lo, exec_lo, s0
	s_mov_b32 s0, exec_lo
	v_cmpx_ne_u32_e64 v74, v66
	s_xor_b32 s0, exec_lo, s0
	s_cbranch_execz .LBB58_184
; %bb.179:
	s_mov_b32 s1, exec_lo
	v_cmpx_eq_u32_e32 8, v74
	s_cbranch_execz .LBB58_183
; %bb.180:
	v_cmp_ne_u32_e32 vcc_lo, 8, v66
	s_xor_b32 s12, s16, -1
	s_delay_alu instid0(SALU_CYCLE_1) | instskip(NEXT) | instid1(SALU_CYCLE_1)
	s_and_b32 s13, s12, vcc_lo
	s_and_saveexec_b32 s12, s13
	s_cbranch_execz .LBB58_182
; %bb.181:
	v_ashrrev_i32_e32 v67, 31, v66
	s_delay_alu instid0(VALU_DEP_1)
	v_lshl_add_u64 v[74:75], v[66:67], 2, v[4:5]
	s_clause 0x1
	global_load_b32 v67, v[74:75], off
	global_load_b32 v73, v[4:5], off offset:32
	s_wait_loadcnt 0x1
	global_store_b32 v[4:5], v67, off offset:32
	s_wait_loadcnt 0x0
	global_store_b32 v[74:75], v73, off
.LBB58_182:
	s_wait_xcnt 0x0
	s_or_b32 exec_lo, exec_lo, s12
	v_dual_mov_b32 v74, v66 :: v_dual_mov_b32 v73, v66
.LBB58_183:
	s_or_b32 exec_lo, exec_lo, s1
.LBB58_184:
	s_and_not1_saveexec_b32 s0, s0
	s_cbranch_execz .LBB58_186
; %bb.185:
	v_mov_b32_e32 v74, 8
	ds_store_2addr_b64 v70, v[14:15], v[16:17] offset0:9 offset1:10
	ds_store_2addr_b64 v70, v[12:13], v[50:51] offset0:11 offset1:12
	;; [unrolled: 1-line block ×10, first 2 shown]
	ds_store_b64 v70, v[64:65] offset:232
.LBB58_186:
	s_or_b32 exec_lo, exec_lo, s0
	s_delay_alu instid0(SALU_CYCLE_1)
	s_mov_b32 s0, exec_lo
	s_wait_storecnt_dscnt 0x0
	s_barrier_signal -1
	s_barrier_wait -1
	v_cmpx_lt_i32_e32 8, v74
	s_cbranch_execz .LBB58_188
; %bb.187:
	v_pk_mul_f32 v[76:77], v[68:69], v[48:49] op_sel:[1,1] op_sel_hi:[0,1]
	s_delay_alu instid0(VALU_DEP_1)
	v_pk_fma_f32 v[66:67], v[68:69], v[48:49], v[76:77] op_sel_hi:[1,0,1] neg_lo:[0,0,1] neg_hi:[0,0,1]
	v_pk_fma_f32 v[68:69], v[68:69], v[48:49], v[76:77] op_sel_hi:[1,0,1]
	ds_load_2addr_b64 v[76:79], v70 offset0:9 offset1:10
	v_dual_mov_b32 v48, v66 :: v_dual_mov_b32 v49, v69
	s_wait_dscnt 0x0
	v_pk_mul_f32 v[80:81], v[76:77], v[68:69] op_sel:[0,1]
	s_delay_alu instid0(VALU_DEP_1) | instskip(SKIP_1) | instid1(VALU_DEP_1)
	v_pk_fma_f32 v[82:83], v[76:77], v[66:67], v[80:81] op_sel:[0,0,1] op_sel_hi:[1,1,0] neg_lo:[0,0,1] neg_hi:[0,0,1]
	v_pk_fma_f32 v[76:77], v[76:77], v[66:67], v[80:81] op_sel:[0,0,1] op_sel_hi:[1,0,0]
	v_mov_b32_e32 v83, v77
	v_pk_mul_f32 v[76:77], v[78:79], v[68:69] op_sel:[0,1]
	s_delay_alu instid0(VALU_DEP_1) | instskip(SKIP_1) | instid1(VALU_DEP_1)
	v_pk_fma_f32 v[80:81], v[78:79], v[66:67], v[76:77] op_sel:[0,0,1] op_sel_hi:[1,1,0] neg_lo:[0,0,1] neg_hi:[0,0,1]
	v_pk_fma_f32 v[76:77], v[78:79], v[66:67], v[76:77] op_sel:[0,0,1] op_sel_hi:[1,0,0]
	v_mov_b32_e32 v81, v77
	ds_load_2addr_b64 v[76:79], v70 offset0:11 offset1:12
	v_pk_add_f32 v[14:15], v[14:15], v[82:83] neg_lo:[0,1] neg_hi:[0,1]
	v_pk_add_f32 v[16:17], v[16:17], v[80:81] neg_lo:[0,1] neg_hi:[0,1]
	s_wait_dscnt 0x0
	v_pk_mul_f32 v[80:81], v[76:77], v[68:69] op_sel:[0,1]
	s_delay_alu instid0(VALU_DEP_1) | instskip(SKIP_2) | instid1(VALU_DEP_2)
	v_pk_fma_f32 v[82:83], v[76:77], v[66:67], v[80:81] op_sel:[0,0,1] op_sel_hi:[1,1,0] neg_lo:[0,0,1] neg_hi:[0,0,1]
	v_pk_fma_f32 v[76:77], v[76:77], v[66:67], v[80:81] op_sel:[0,0,1] op_sel_hi:[1,0,0]
	v_dual_mul_f32 v80, v79, v69 :: v_dual_mov_b32 v76, v79
	v_dual_mov_b32 v83, v77 :: v_dual_mov_b32 v77, v78
	s_delay_alu instid0(VALU_DEP_2) | instskip(SKIP_1) | instid1(VALU_DEP_3)
	v_pk_fma_f32 v[80:81], v[78:79], v[48:49], v[80:81] op_sel_hi:[1,1,0] neg_lo:[0,0,1] neg_hi:[0,0,1]
	v_mul_f32_e32 v78, v79, v66
	v_pk_add_f32 v[12:13], v[12:13], v[82:83] neg_lo:[0,1] neg_hi:[0,1]
	s_delay_alu instid0(VALU_DEP_2) | instskip(NEXT) | instid1(VALU_DEP_1)
	v_pk_fma_f32 v[76:77], v[76:77], v[48:49], v[78:79] op_sel_hi:[1,1,0]
	v_mov_b32_e32 v81, v77
	ds_load_2addr_b64 v[76:79], v70 offset0:13 offset1:14
	v_pk_add_f32 v[50:51], v[50:51], v[80:81] neg_lo:[0,1] neg_hi:[0,1]
	s_wait_dscnt 0x0
	v_pk_mul_f32 v[80:81], v[76:77], v[68:69] op_sel:[0,1]
	s_delay_alu instid0(VALU_DEP_1) | instskip(SKIP_1) | instid1(VALU_DEP_1)
	v_pk_fma_f32 v[82:83], v[76:77], v[66:67], v[80:81] op_sel:[0,0,1] op_sel_hi:[1,1,0] neg_lo:[0,0,1] neg_hi:[0,0,1]
	v_pk_fma_f32 v[76:77], v[76:77], v[66:67], v[80:81] op_sel:[0,0,1] op_sel_hi:[1,0,0]
	v_mov_b32_e32 v83, v77
	v_pk_mul_f32 v[76:77], v[78:79], v[68:69] op_sel:[0,1]
	s_delay_alu instid0(VALU_DEP_1) | instskip(SKIP_1) | instid1(VALU_DEP_1)
	v_pk_fma_f32 v[80:81], v[78:79], v[66:67], v[76:77] op_sel:[0,0,1] op_sel_hi:[1,1,0] neg_lo:[0,0,1] neg_hi:[0,0,1]
	v_pk_fma_f32 v[76:77], v[78:79], v[66:67], v[76:77] op_sel:[0,0,1] op_sel_hi:[1,0,0]
	v_mov_b32_e32 v81, v77
	ds_load_2addr_b64 v[76:79], v70 offset0:15 offset1:16
	v_pk_add_f32 v[20:21], v[20:21], v[82:83] neg_lo:[0,1] neg_hi:[0,1]
	v_pk_add_f32 v[22:23], v[22:23], v[80:81] neg_lo:[0,1] neg_hi:[0,1]
	s_wait_dscnt 0x0
	v_pk_mul_f32 v[80:81], v[76:77], v[68:69] op_sel:[0,1]
	s_delay_alu instid0(VALU_DEP_1) | instskip(SKIP_1) | instid1(VALU_DEP_1)
	v_pk_fma_f32 v[82:83], v[76:77], v[66:67], v[80:81] op_sel:[0,0,1] op_sel_hi:[1,1,0] neg_lo:[0,0,1] neg_hi:[0,0,1]
	v_pk_fma_f32 v[76:77], v[76:77], v[66:67], v[80:81] op_sel:[0,0,1] op_sel_hi:[1,0,0]
	v_mov_b32_e32 v83, v77
	v_pk_mul_f32 v[76:77], v[78:79], v[68:69] op_sel:[0,1]
	s_delay_alu instid0(VALU_DEP_1) | instskip(SKIP_1) | instid1(VALU_DEP_1)
	v_pk_fma_f32 v[80:81], v[78:79], v[66:67], v[76:77] op_sel:[0,0,1] op_sel_hi:[1,1,0] neg_lo:[0,0,1] neg_hi:[0,0,1]
	v_pk_fma_f32 v[76:77], v[78:79], v[66:67], v[76:77] op_sel:[0,0,1] op_sel_hi:[1,0,0]
	v_mov_b32_e32 v81, v77
	ds_load_2addr_b64 v[76:79], v70 offset0:17 offset1:18
	v_pk_add_f32 v[18:19], v[18:19], v[82:83] neg_lo:[0,1] neg_hi:[0,1]
	v_pk_add_f32 v[54:55], v[54:55], v[80:81] neg_lo:[0,1] neg_hi:[0,1]
	s_wait_dscnt 0x0
	v_dual_mul_f32 v80, v77, v69 :: v_dual_mul_f32 v82, v77, v66
	s_delay_alu instid0(VALU_DEP_1) | instskip(NEXT) | instid1(VALU_DEP_2)
	v_pk_fma_f32 v[80:81], v[76:77], v[48:49], v[80:81] op_sel_hi:[1,1,0] neg_lo:[0,0,1] neg_hi:[0,0,1]
	v_pk_fma_f32 v[76:77], v[76:77], v[48:49], v[82:83] op_sel:[1,0,0] op_sel_hi:[0,1,0]
	s_delay_alu instid0(VALU_DEP_1) | instskip(SKIP_1) | instid1(VALU_DEP_2)
	v_mov_b32_e32 v81, v77
	v_pk_mul_f32 v[76:77], v[78:79], v[68:69] op_sel:[0,1]
	v_pk_add_f32 v[36:37], v[36:37], v[80:81] neg_lo:[0,1] neg_hi:[0,1]
	s_delay_alu instid0(VALU_DEP_2) | instskip(SKIP_1) | instid1(VALU_DEP_1)
	v_pk_fma_f32 v[80:81], v[78:79], v[66:67], v[76:77] op_sel:[0,0,1] op_sel_hi:[1,1,0] neg_lo:[0,0,1] neg_hi:[0,0,1]
	v_pk_fma_f32 v[76:77], v[78:79], v[66:67], v[76:77] op_sel:[0,0,1] op_sel_hi:[1,0,0]
	v_mov_b32_e32 v81, v77
	ds_load_2addr_b64 v[76:79], v70 offset0:19 offset1:20
	v_pk_add_f32 v[38:39], v[38:39], v[80:81] neg_lo:[0,1] neg_hi:[0,1]
	s_wait_dscnt 0x0
	v_pk_mul_f32 v[80:81], v[76:77], v[68:69] op_sel:[0,1]
	s_delay_alu instid0(VALU_DEP_1) | instskip(SKIP_1) | instid1(VALU_DEP_1)
	v_pk_fma_f32 v[82:83], v[76:77], v[66:67], v[80:81] op_sel:[0,0,1] op_sel_hi:[1,1,0] neg_lo:[0,0,1] neg_hi:[0,0,1]
	v_pk_fma_f32 v[76:77], v[76:77], v[66:67], v[80:81] op_sel:[0,0,1] op_sel_hi:[1,0,0]
	v_mov_b32_e32 v83, v77
	v_pk_mul_f32 v[76:77], v[78:79], v[68:69] op_sel:[0,1]
	s_delay_alu instid0(VALU_DEP_2) | instskip(NEXT) | instid1(VALU_DEP_2)
	v_pk_add_f32 v[34:35], v[34:35], v[82:83] neg_lo:[0,1] neg_hi:[0,1]
	v_pk_fma_f32 v[80:81], v[78:79], v[66:67], v[76:77] op_sel:[0,0,1] op_sel_hi:[1,1,0] neg_lo:[0,0,1] neg_hi:[0,0,1]
	v_pk_fma_f32 v[76:77], v[78:79], v[66:67], v[76:77] op_sel:[0,0,1] op_sel_hi:[1,0,0]
	s_delay_alu instid0(VALU_DEP_1) | instskip(SKIP_4) | instid1(VALU_DEP_1)
	v_mov_b32_e32 v81, v77
	ds_load_2addr_b64 v[76:79], v70 offset0:21 offset1:22
	v_pk_add_f32 v[52:53], v[52:53], v[80:81] neg_lo:[0,1] neg_hi:[0,1]
	s_wait_dscnt 0x0
	v_pk_mul_f32 v[80:81], v[76:77], v[68:69] op_sel:[0,1]
	v_pk_fma_f32 v[82:83], v[76:77], v[66:67], v[80:81] op_sel:[0,0,1] op_sel_hi:[1,1,0] neg_lo:[0,0,1] neg_hi:[0,0,1]
	v_pk_fma_f32 v[76:77], v[76:77], v[66:67], v[80:81] op_sel:[0,0,1] op_sel_hi:[1,0,0]
	v_dual_mul_f32 v80, v79, v69 :: v_dual_mov_b32 v76, v79
	s_delay_alu instid0(VALU_DEP_2) | instskip(NEXT) | instid1(VALU_DEP_2)
	v_dual_mov_b32 v83, v77 :: v_dual_mov_b32 v77, v78
	v_pk_fma_f32 v[80:81], v[78:79], v[48:49], v[80:81] op_sel_hi:[1,1,0] neg_lo:[0,0,1] neg_hi:[0,0,1]
	v_mul_f32_e32 v78, v79, v66
	s_delay_alu instid0(VALU_DEP_3) | instskip(NEXT) | instid1(VALU_DEP_2)
	v_pk_add_f32 v[28:29], v[28:29], v[82:83] neg_lo:[0,1] neg_hi:[0,1]
	v_pk_fma_f32 v[76:77], v[76:77], v[48:49], v[78:79] op_sel_hi:[1,1,0]
	s_delay_alu instid0(VALU_DEP_1) | instskip(SKIP_4) | instid1(VALU_DEP_1)
	v_mov_b32_e32 v81, v77
	ds_load_2addr_b64 v[76:79], v70 offset0:23 offset1:24
	v_pk_add_f32 v[30:31], v[30:31], v[80:81] neg_lo:[0,1] neg_hi:[0,1]
	s_wait_dscnt 0x0
	v_pk_mul_f32 v[80:81], v[76:77], v[68:69] op_sel:[0,1]
	v_pk_fma_f32 v[82:83], v[76:77], v[66:67], v[80:81] op_sel:[0,0,1] op_sel_hi:[1,1,0] neg_lo:[0,0,1] neg_hi:[0,0,1]
	v_pk_fma_f32 v[76:77], v[76:77], v[66:67], v[80:81] op_sel:[0,0,1] op_sel_hi:[1,0,0]
	s_delay_alu instid0(VALU_DEP_1) | instskip(SKIP_1) | instid1(VALU_DEP_1)
	v_mov_b32_e32 v83, v77
	v_pk_mul_f32 v[76:77], v[78:79], v[68:69] op_sel:[0,1]
	v_pk_fma_f32 v[80:81], v[78:79], v[66:67], v[76:77] op_sel:[0,0,1] op_sel_hi:[1,1,0] neg_lo:[0,0,1] neg_hi:[0,0,1]
	v_pk_fma_f32 v[76:77], v[78:79], v[66:67], v[76:77] op_sel:[0,0,1] op_sel_hi:[1,0,0]
	s_delay_alu instid0(VALU_DEP_1)
	v_mov_b32_e32 v81, v77
	ds_load_2addr_b64 v[76:79], v70 offset0:25 offset1:26
	v_pk_add_f32 v[26:27], v[26:27], v[82:83] neg_lo:[0,1] neg_hi:[0,1]
	v_pk_add_f32 v[44:45], v[44:45], v[80:81] neg_lo:[0,1] neg_hi:[0,1]
	s_wait_dscnt 0x0
	v_pk_mul_f32 v[80:81], v[76:77], v[68:69] op_sel:[0,1]
	s_delay_alu instid0(VALU_DEP_1) | instskip(SKIP_1) | instid1(VALU_DEP_1)
	v_pk_fma_f32 v[82:83], v[76:77], v[66:67], v[80:81] op_sel:[0,0,1] op_sel_hi:[1,1,0] neg_lo:[0,0,1] neg_hi:[0,0,1]
	v_pk_fma_f32 v[76:77], v[76:77], v[66:67], v[80:81] op_sel:[0,0,1] op_sel_hi:[1,0,0]
	v_mov_b32_e32 v83, v77
	v_pk_mul_f32 v[76:77], v[78:79], v[68:69] op_sel:[0,1]
	s_delay_alu instid0(VALU_DEP_1) | instskip(SKIP_1) | instid1(VALU_DEP_1)
	v_pk_fma_f32 v[80:81], v[78:79], v[66:67], v[76:77] op_sel:[0,0,1] op_sel_hi:[1,1,0] neg_lo:[0,0,1] neg_hi:[0,0,1]
	v_pk_fma_f32 v[76:77], v[78:79], v[66:67], v[76:77] op_sel:[0,0,1] op_sel_hi:[1,0,0]
	v_mov_b32_e32 v81, v77
	ds_load_2addr_b64 v[76:79], v70 offset0:27 offset1:28
	v_pk_add_f32 v[24:25], v[24:25], v[82:83] neg_lo:[0,1] neg_hi:[0,1]
	v_pk_add_f32 v[42:43], v[42:43], v[80:81] neg_lo:[0,1] neg_hi:[0,1]
	s_wait_dscnt 0x0
	v_dual_mul_f32 v80, v77, v69 :: v_dual_mul_f32 v82, v77, v66
	s_delay_alu instid0(VALU_DEP_1) | instskip(NEXT) | instid1(VALU_DEP_2)
	v_pk_fma_f32 v[80:81], v[76:77], v[48:49], v[80:81] op_sel_hi:[1,1,0] neg_lo:[0,0,1] neg_hi:[0,0,1]
	v_pk_fma_f32 v[76:77], v[76:77], v[48:49], v[82:83] op_sel:[1,0,0] op_sel_hi:[0,1,0]
	s_delay_alu instid0(VALU_DEP_1) | instskip(SKIP_1) | instid1(VALU_DEP_2)
	v_mov_b32_e32 v81, v77
	v_pk_mul_f32 v[76:77], v[78:79], v[68:69] op_sel:[0,1]
	v_pk_add_f32 v[40:41], v[40:41], v[80:81] neg_lo:[0,1] neg_hi:[0,1]
	s_delay_alu instid0(VALU_DEP_2) | instskip(SKIP_1) | instid1(VALU_DEP_1)
	v_pk_fma_f32 v[80:81], v[78:79], v[66:67], v[76:77] op_sel:[0,0,1] op_sel_hi:[1,1,0] neg_lo:[0,0,1] neg_hi:[0,0,1]
	v_pk_fma_f32 v[76:77], v[78:79], v[66:67], v[76:77] op_sel:[0,0,1] op_sel_hi:[1,0,0]
	v_mov_b32_e32 v81, v77
	ds_load_b64 v[76:77], v70 offset:232
	v_pk_add_f32 v[32:33], v[32:33], v[80:81] neg_lo:[0,1] neg_hi:[0,1]
	s_wait_dscnt 0x0
	v_pk_mul_f32 v[68:69], v[76:77], v[68:69] op_sel:[0,1]
	s_delay_alu instid0(VALU_DEP_1) | instskip(SKIP_1) | instid1(VALU_DEP_1)
	v_pk_fma_f32 v[78:79], v[76:77], v[66:67], v[68:69] op_sel:[0,0,1] op_sel_hi:[1,1,0] neg_lo:[0,0,1] neg_hi:[0,0,1]
	v_pk_fma_f32 v[66:67], v[76:77], v[66:67], v[68:69] op_sel:[0,0,1] op_sel_hi:[1,0,0]
	v_mov_b32_e32 v79, v67
	s_delay_alu instid0(VALU_DEP_1)
	v_pk_add_f32 v[64:65], v[64:65], v[78:79] neg_lo:[0,1] neg_hi:[0,1]
.LBB58_188:
	s_or_b32 exec_lo, exec_lo, s0
	v_lshl_add_u32 v66, v74, 3, v70
	s_barrier_signal -1
	s_barrier_wait -1
	ds_store_b64 v66, v[14:15]
	s_wait_dscnt 0x0
	s_barrier_signal -1
	s_barrier_wait -1
	ds_load_b64 v[68:69], v70 offset:72
	v_mov_b32_e32 v66, 9
	s_cmp_lt_i32 s18, 11
	s_cbranch_scc1 .LBB58_191
; %bb.189:
	v_add3_u32 v67, v71, 0, 0x50
	v_mov_b32_e32 v66, 9
	s_mov_b32 s0, 10
.LBB58_190:                             ; =>This Inner Loop Header: Depth=1
	ds_load_b64 v[76:77], v67
	s_wait_dscnt 0x1
	v_cmp_gt_f32_e32 vcc_lo, 0, v68
	v_cndmask_b32_e64 v78, v68, -v68, vcc_lo
	v_cmp_gt_f32_e32 vcc_lo, 0, v69
	v_cndmask_b32_e64 v80, v69, -v69, vcc_lo
	s_wait_dscnt 0x0
	v_cmp_gt_f32_e32 vcc_lo, 0, v76
	v_cndmask_b32_e64 v79, v76, -v76, vcc_lo
	v_cmp_gt_f32_e32 vcc_lo, 0, v77
	v_cndmask_b32_e64 v81, v77, -v77, vcc_lo
	s_delay_alu instid0(VALU_DEP_1) | instskip(NEXT) | instid1(VALU_DEP_1)
	v_pk_add_f32 v[78:79], v[78:79], v[80:81]
	v_cmp_lt_f32_e32 vcc_lo, v78, v79
	v_dual_add_nc_u32 v67, 8, v67 :: v_dual_cndmask_b32 v69, v69, v77, vcc_lo
	v_cndmask_b32_e32 v68, v68, v76, vcc_lo
	v_cndmask_b32_e64 v66, v66, s0, vcc_lo
	s_add_co_i32 s0, s0, 1
	s_delay_alu instid0(SALU_CYCLE_1)
	s_cmp_lg_u32 s18, s0
	s_cbranch_scc1 .LBB58_190
.LBB58_191:
	s_wait_dscnt 0x0
	v_cmp_eq_f32_e32 vcc_lo, 0, v68
	v_cmp_eq_f32_e64 s0, 0, v69
	s_and_b32 s0, vcc_lo, s0
	s_delay_alu instid0(SALU_CYCLE_1) | instskip(NEXT) | instid1(SALU_CYCLE_1)
	s_and_saveexec_b32 s1, s0
	s_xor_b32 s0, exec_lo, s1
; %bb.192:
	v_cmp_ne_u32_e32 vcc_lo, 0, v72
	v_cndmask_b32_e32 v72, 10, v72, vcc_lo
; %bb.193:
	s_and_not1_saveexec_b32 s0, s0
	s_cbranch_execz .LBB58_199
; %bb.194:
	v_cmp_ngt_f32_e64 s1, |v68|, |v69|
	s_and_saveexec_b32 s12, s1
	s_delay_alu instid0(SALU_CYCLE_1)
	s_xor_b32 s1, exec_lo, s12
	s_cbranch_execz .LBB58_196
; %bb.195:
	v_div_scale_f32 v67, null, v69, v69, v68
	v_div_scale_f32 v77, vcc_lo, v68, v69, v68
	s_delay_alu instid0(VALU_DEP_2) | instskip(SKIP_1) | instid1(TRANS32_DEP_1)
	v_rcp_f32_e32 v75, v67
	v_nop
	v_fma_f32 v76, -v67, v75, 1.0
	s_delay_alu instid0(VALU_DEP_1) | instskip(NEXT) | instid1(VALU_DEP_1)
	v_fmac_f32_e32 v75, v76, v75
	v_mul_f32_e32 v76, v77, v75
	s_delay_alu instid0(VALU_DEP_1) | instskip(NEXT) | instid1(VALU_DEP_1)
	v_fma_f32 v78, -v67, v76, v77
	v_fmac_f32_e32 v76, v78, v75
	s_delay_alu instid0(VALU_DEP_1) | instskip(NEXT) | instid1(VALU_DEP_1)
	v_fma_f32 v67, -v67, v76, v77
	v_div_fmas_f32 v67, v67, v75, v76
	s_delay_alu instid0(VALU_DEP_1) | instskip(NEXT) | instid1(VALU_DEP_1)
	v_div_fixup_f32 v67, v67, v69, v68
	v_fmac_f32_e32 v69, v68, v67
	s_delay_alu instid0(VALU_DEP_1) | instskip(SKIP_1) | instid1(VALU_DEP_2)
	v_div_scale_f32 v68, null, v69, v69, 1.0
	v_div_scale_f32 v77, vcc_lo, 1.0, v69, 1.0
	v_rcp_f32_e32 v75, v68
	v_nop
	s_delay_alu instid0(TRANS32_DEP_1) | instskip(NEXT) | instid1(VALU_DEP_1)
	v_fma_f32 v76, -v68, v75, 1.0
	v_fmac_f32_e32 v75, v76, v75
	s_delay_alu instid0(VALU_DEP_1) | instskip(NEXT) | instid1(VALU_DEP_1)
	v_mul_f32_e32 v76, v77, v75
	v_fma_f32 v78, -v68, v76, v77
	s_delay_alu instid0(VALU_DEP_1) | instskip(NEXT) | instid1(VALU_DEP_1)
	v_fmac_f32_e32 v76, v78, v75
	v_fma_f32 v68, -v68, v76, v77
	s_delay_alu instid0(VALU_DEP_1) | instskip(NEXT) | instid1(VALU_DEP_1)
	v_div_fmas_f32 v68, v68, v75, v76
	v_div_fixup_f32 v69, v68, v69, 1.0
	s_delay_alu instid0(VALU_DEP_1)
	v_mul_f32_e32 v68, v67, v69
	v_xor_b32_e32 v69, 0x80000000, v69
.LBB58_196:
	s_and_not1_saveexec_b32 s1, s1
	s_cbranch_execz .LBB58_198
; %bb.197:
	s_delay_alu instid0(VALU_DEP_1) | instskip(SKIP_1) | instid1(VALU_DEP_2)
	v_div_scale_f32 v67, null, v68, v68, v69
	v_div_scale_f32 v77, vcc_lo, v69, v68, v69
	v_rcp_f32_e32 v75, v67
	v_nop
	s_delay_alu instid0(TRANS32_DEP_1) | instskip(NEXT) | instid1(VALU_DEP_1)
	v_fma_f32 v76, -v67, v75, 1.0
	v_fmac_f32_e32 v75, v76, v75
	s_delay_alu instid0(VALU_DEP_1) | instskip(NEXT) | instid1(VALU_DEP_1)
	v_mul_f32_e32 v76, v77, v75
	v_fma_f32 v78, -v67, v76, v77
	s_delay_alu instid0(VALU_DEP_1) | instskip(NEXT) | instid1(VALU_DEP_1)
	v_fmac_f32_e32 v76, v78, v75
	v_fma_f32 v67, -v67, v76, v77
	s_delay_alu instid0(VALU_DEP_1) | instskip(NEXT) | instid1(VALU_DEP_1)
	v_div_fmas_f32 v67, v67, v75, v76
	v_div_fixup_f32 v67, v67, v68, v69
	s_delay_alu instid0(VALU_DEP_1) | instskip(NEXT) | instid1(VALU_DEP_1)
	v_fmac_f32_e32 v68, v69, v67
	v_div_scale_f32 v69, null, v68, v68, 1.0
	s_delay_alu instid0(VALU_DEP_1) | instskip(SKIP_1) | instid1(TRANS32_DEP_1)
	v_rcp_f32_e32 v75, v69
	v_nop
	v_fma_f32 v76, -v69, v75, 1.0
	s_delay_alu instid0(VALU_DEP_1) | instskip(SKIP_1) | instid1(VALU_DEP_1)
	v_fmac_f32_e32 v75, v76, v75
	v_div_scale_f32 v76, vcc_lo, 1.0, v68, 1.0
	v_mul_f32_e32 v77, v76, v75
	s_delay_alu instid0(VALU_DEP_1) | instskip(NEXT) | instid1(VALU_DEP_1)
	v_fma_f32 v78, -v69, v77, v76
	v_fmac_f32_e32 v77, v78, v75
	s_delay_alu instid0(VALU_DEP_1) | instskip(NEXT) | instid1(VALU_DEP_1)
	v_fma_f32 v69, -v69, v77, v76
	v_div_fmas_f32 v69, v69, v75, v77
	s_delay_alu instid0(VALU_DEP_1) | instskip(NEXT) | instid1(VALU_DEP_1)
	v_div_fixup_f32 v68, v69, v68, 1.0
	v_mul_f32_e64 v69, v67, -v68
.LBB58_198:
	s_or_b32 exec_lo, exec_lo, s1
.LBB58_199:
	s_delay_alu instid0(SALU_CYCLE_1) | instskip(NEXT) | instid1(SALU_CYCLE_1)
	s_or_b32 exec_lo, exec_lo, s0
	s_mov_b32 s0, exec_lo
	v_cmpx_ne_u32_e64 v74, v66
	s_xor_b32 s0, exec_lo, s0
	s_cbranch_execz .LBB58_205
; %bb.200:
	s_mov_b32 s1, exec_lo
	v_cmpx_eq_u32_e32 9, v74
	s_cbranch_execz .LBB58_204
; %bb.201:
	v_cmp_ne_u32_e32 vcc_lo, 9, v66
	s_xor_b32 s12, s16, -1
	s_delay_alu instid0(SALU_CYCLE_1) | instskip(NEXT) | instid1(SALU_CYCLE_1)
	s_and_b32 s13, s12, vcc_lo
	s_and_saveexec_b32 s12, s13
	s_cbranch_execz .LBB58_203
; %bb.202:
	v_ashrrev_i32_e32 v67, 31, v66
	s_delay_alu instid0(VALU_DEP_1)
	v_lshl_add_u64 v[74:75], v[66:67], 2, v[4:5]
	s_clause 0x1
	global_load_b32 v67, v[74:75], off
	global_load_b32 v73, v[4:5], off offset:36
	s_wait_loadcnt 0x1
	global_store_b32 v[4:5], v67, off offset:36
	s_wait_loadcnt 0x0
	global_store_b32 v[74:75], v73, off
.LBB58_203:
	s_wait_xcnt 0x0
	s_or_b32 exec_lo, exec_lo, s12
	v_dual_mov_b32 v74, v66 :: v_dual_mov_b32 v73, v66
.LBB58_204:
	s_or_b32 exec_lo, exec_lo, s1
.LBB58_205:
	s_and_not1_saveexec_b32 s0, s0
	s_cbranch_execz .LBB58_207
; %bb.206:
	v_dual_mov_b32 v66, v16 :: v_dual_mov_b32 v67, v17
	v_dual_mov_b32 v74, v12 :: v_dual_mov_b32 v75, v13
	;; [unrolled: 1-line block ×12, first 2 shown]
	ds_store_2addr_b64 v70, v[66:67], v[74:75] offset0:10 offset1:11
	ds_store_2addr_b64 v70, v[76:77], v[78:79] offset0:12 offset1:13
	;; [unrolled: 1-line block ×6, first 2 shown]
	v_dual_mov_b32 v66, v30 :: v_dual_mov_b32 v67, v31
	v_dual_mov_b32 v76, v26 :: v_dual_mov_b32 v77, v27
	;; [unrolled: 1-line block ×7, first 2 shown]
	v_mov_b32_e32 v87, v33
	ds_store_2addr_b64 v70, v[66:67], v[76:77] offset0:22 offset1:23
	ds_store_2addr_b64 v70, v[78:79], v[80:81] offset0:24 offset1:25
	;; [unrolled: 1-line block ×4, first 2 shown]
.LBB58_207:
	s_or_b32 exec_lo, exec_lo, s0
	s_delay_alu instid0(SALU_CYCLE_1)
	s_mov_b32 s0, exec_lo
	s_wait_storecnt_dscnt 0x0
	s_barrier_signal -1
	s_barrier_wait -1
	v_cmpx_lt_i32_e32 9, v74
	s_cbranch_execz .LBB58_209
; %bb.208:
	v_pk_mul_f32 v[76:77], v[68:69], v[14:15] op_sel:[1,1] op_sel_hi:[0,1]
	s_delay_alu instid0(VALU_DEP_1)
	v_pk_fma_f32 v[66:67], v[68:69], v[14:15], v[76:77] op_sel_hi:[1,0,1] neg_lo:[0,0,1] neg_hi:[0,0,1]
	v_pk_fma_f32 v[68:69], v[68:69], v[14:15], v[76:77] op_sel_hi:[1,0,1]
	ds_load_2addr_b64 v[76:79], v70 offset0:10 offset1:11
	v_dual_mov_b32 v14, v66 :: v_dual_mov_b32 v15, v69
	s_wait_dscnt 0x0
	v_pk_mul_f32 v[80:81], v[76:77], v[68:69] op_sel:[0,1]
	s_delay_alu instid0(VALU_DEP_1) | instskip(SKIP_1) | instid1(VALU_DEP_1)
	v_pk_fma_f32 v[82:83], v[76:77], v[66:67], v[80:81] op_sel:[0,0,1] op_sel_hi:[1,1,0] neg_lo:[0,0,1] neg_hi:[0,0,1]
	v_pk_fma_f32 v[76:77], v[76:77], v[66:67], v[80:81] op_sel:[0,0,1] op_sel_hi:[1,0,0]
	v_mov_b32_e32 v83, v77
	v_pk_mul_f32 v[76:77], v[78:79], v[68:69] op_sel:[0,1]
	s_delay_alu instid0(VALU_DEP_1) | instskip(SKIP_1) | instid1(VALU_DEP_1)
	v_pk_fma_f32 v[80:81], v[78:79], v[66:67], v[76:77] op_sel:[0,0,1] op_sel_hi:[1,1,0] neg_lo:[0,0,1] neg_hi:[0,0,1]
	v_pk_fma_f32 v[76:77], v[78:79], v[66:67], v[76:77] op_sel:[0,0,1] op_sel_hi:[1,0,0]
	v_mov_b32_e32 v81, v77
	ds_load_2addr_b64 v[76:79], v70 offset0:12 offset1:13
	v_pk_add_f32 v[16:17], v[16:17], v[82:83] neg_lo:[0,1] neg_hi:[0,1]
	v_pk_add_f32 v[12:13], v[12:13], v[80:81] neg_lo:[0,1] neg_hi:[0,1]
	s_wait_dscnt 0x0
	v_pk_mul_f32 v[80:81], v[76:77], v[68:69] op_sel:[0,1]
	s_delay_alu instid0(VALU_DEP_1) | instskip(SKIP_2) | instid1(VALU_DEP_2)
	v_pk_fma_f32 v[82:83], v[76:77], v[66:67], v[80:81] op_sel:[0,0,1] op_sel_hi:[1,1,0] neg_lo:[0,0,1] neg_hi:[0,0,1]
	v_pk_fma_f32 v[76:77], v[76:77], v[66:67], v[80:81] op_sel:[0,0,1] op_sel_hi:[1,0,0]
	v_dual_mul_f32 v80, v79, v69 :: v_dual_mov_b32 v76, v79
	v_dual_mov_b32 v83, v77 :: v_dual_mov_b32 v77, v78
	s_delay_alu instid0(VALU_DEP_2) | instskip(SKIP_1) | instid1(VALU_DEP_3)
	v_pk_fma_f32 v[80:81], v[78:79], v[14:15], v[80:81] op_sel_hi:[1,1,0] neg_lo:[0,0,1] neg_hi:[0,0,1]
	v_mul_f32_e32 v78, v79, v66
	v_pk_add_f32 v[50:51], v[50:51], v[82:83] neg_lo:[0,1] neg_hi:[0,1]
	s_delay_alu instid0(VALU_DEP_2) | instskip(NEXT) | instid1(VALU_DEP_1)
	v_pk_fma_f32 v[76:77], v[76:77], v[14:15], v[78:79] op_sel_hi:[1,1,0]
	v_mov_b32_e32 v81, v77
	ds_load_2addr_b64 v[76:79], v70 offset0:14 offset1:15
	v_pk_add_f32 v[20:21], v[20:21], v[80:81] neg_lo:[0,1] neg_hi:[0,1]
	s_wait_dscnt 0x0
	v_pk_mul_f32 v[80:81], v[76:77], v[68:69] op_sel:[0,1]
	s_delay_alu instid0(VALU_DEP_1) | instskip(SKIP_1) | instid1(VALU_DEP_1)
	v_pk_fma_f32 v[82:83], v[76:77], v[66:67], v[80:81] op_sel:[0,0,1] op_sel_hi:[1,1,0] neg_lo:[0,0,1] neg_hi:[0,0,1]
	v_pk_fma_f32 v[76:77], v[76:77], v[66:67], v[80:81] op_sel:[0,0,1] op_sel_hi:[1,0,0]
	v_mov_b32_e32 v83, v77
	v_pk_mul_f32 v[76:77], v[78:79], v[68:69] op_sel:[0,1]
	s_delay_alu instid0(VALU_DEP_1) | instskip(SKIP_1) | instid1(VALU_DEP_1)
	v_pk_fma_f32 v[80:81], v[78:79], v[66:67], v[76:77] op_sel:[0,0,1] op_sel_hi:[1,1,0] neg_lo:[0,0,1] neg_hi:[0,0,1]
	v_pk_fma_f32 v[76:77], v[78:79], v[66:67], v[76:77] op_sel:[0,0,1] op_sel_hi:[1,0,0]
	v_mov_b32_e32 v81, v77
	ds_load_2addr_b64 v[76:79], v70 offset0:16 offset1:17
	v_pk_add_f32 v[22:23], v[22:23], v[82:83] neg_lo:[0,1] neg_hi:[0,1]
	v_pk_add_f32 v[18:19], v[18:19], v[80:81] neg_lo:[0,1] neg_hi:[0,1]
	s_wait_dscnt 0x0
	v_pk_mul_f32 v[80:81], v[76:77], v[68:69] op_sel:[0,1]
	s_delay_alu instid0(VALU_DEP_1) | instskip(SKIP_1) | instid1(VALU_DEP_1)
	v_pk_fma_f32 v[82:83], v[76:77], v[66:67], v[80:81] op_sel:[0,0,1] op_sel_hi:[1,1,0] neg_lo:[0,0,1] neg_hi:[0,0,1]
	v_pk_fma_f32 v[76:77], v[76:77], v[66:67], v[80:81] op_sel:[0,0,1] op_sel_hi:[1,0,0]
	v_mov_b32_e32 v83, v77
	v_pk_mul_f32 v[76:77], v[78:79], v[68:69] op_sel:[0,1]
	s_delay_alu instid0(VALU_DEP_1) | instskip(SKIP_1) | instid1(VALU_DEP_1)
	v_pk_fma_f32 v[80:81], v[78:79], v[66:67], v[76:77] op_sel:[0,0,1] op_sel_hi:[1,1,0] neg_lo:[0,0,1] neg_hi:[0,0,1]
	v_pk_fma_f32 v[76:77], v[78:79], v[66:67], v[76:77] op_sel:[0,0,1] op_sel_hi:[1,0,0]
	v_mov_b32_e32 v81, v77
	ds_load_2addr_b64 v[76:79], v70 offset0:18 offset1:19
	v_pk_add_f32 v[54:55], v[54:55], v[82:83] neg_lo:[0,1] neg_hi:[0,1]
	v_pk_add_f32 v[36:37], v[36:37], v[80:81] neg_lo:[0,1] neg_hi:[0,1]
	s_wait_dscnt 0x0
	v_dual_mul_f32 v80, v77, v69 :: v_dual_mul_f32 v82, v77, v66
	s_delay_alu instid0(VALU_DEP_1) | instskip(NEXT) | instid1(VALU_DEP_2)
	v_pk_fma_f32 v[80:81], v[76:77], v[14:15], v[80:81] op_sel_hi:[1,1,0] neg_lo:[0,0,1] neg_hi:[0,0,1]
	v_pk_fma_f32 v[76:77], v[76:77], v[14:15], v[82:83] op_sel:[1,0,0] op_sel_hi:[0,1,0]
	s_delay_alu instid0(VALU_DEP_1) | instskip(SKIP_1) | instid1(VALU_DEP_2)
	v_mov_b32_e32 v81, v77
	v_pk_mul_f32 v[76:77], v[78:79], v[68:69] op_sel:[0,1]
	v_pk_add_f32 v[38:39], v[38:39], v[80:81] neg_lo:[0,1] neg_hi:[0,1]
	s_delay_alu instid0(VALU_DEP_2) | instskip(SKIP_1) | instid1(VALU_DEP_1)
	v_pk_fma_f32 v[80:81], v[78:79], v[66:67], v[76:77] op_sel:[0,0,1] op_sel_hi:[1,1,0] neg_lo:[0,0,1] neg_hi:[0,0,1]
	v_pk_fma_f32 v[76:77], v[78:79], v[66:67], v[76:77] op_sel:[0,0,1] op_sel_hi:[1,0,0]
	v_mov_b32_e32 v81, v77
	ds_load_2addr_b64 v[76:79], v70 offset0:20 offset1:21
	v_pk_add_f32 v[34:35], v[34:35], v[80:81] neg_lo:[0,1] neg_hi:[0,1]
	s_wait_dscnt 0x0
	v_pk_mul_f32 v[80:81], v[76:77], v[68:69] op_sel:[0,1]
	s_delay_alu instid0(VALU_DEP_1) | instskip(SKIP_1) | instid1(VALU_DEP_1)
	v_pk_fma_f32 v[82:83], v[76:77], v[66:67], v[80:81] op_sel:[0,0,1] op_sel_hi:[1,1,0] neg_lo:[0,0,1] neg_hi:[0,0,1]
	v_pk_fma_f32 v[76:77], v[76:77], v[66:67], v[80:81] op_sel:[0,0,1] op_sel_hi:[1,0,0]
	v_mov_b32_e32 v83, v77
	v_pk_mul_f32 v[76:77], v[78:79], v[68:69] op_sel:[0,1]
	s_delay_alu instid0(VALU_DEP_2) | instskip(NEXT) | instid1(VALU_DEP_2)
	v_pk_add_f32 v[52:53], v[52:53], v[82:83] neg_lo:[0,1] neg_hi:[0,1]
	v_pk_fma_f32 v[80:81], v[78:79], v[66:67], v[76:77] op_sel:[0,0,1] op_sel_hi:[1,1,0] neg_lo:[0,0,1] neg_hi:[0,0,1]
	v_pk_fma_f32 v[76:77], v[78:79], v[66:67], v[76:77] op_sel:[0,0,1] op_sel_hi:[1,0,0]
	s_delay_alu instid0(VALU_DEP_1) | instskip(SKIP_4) | instid1(VALU_DEP_1)
	v_mov_b32_e32 v81, v77
	ds_load_2addr_b64 v[76:79], v70 offset0:22 offset1:23
	v_pk_add_f32 v[28:29], v[28:29], v[80:81] neg_lo:[0,1] neg_hi:[0,1]
	s_wait_dscnt 0x0
	v_pk_mul_f32 v[80:81], v[76:77], v[68:69] op_sel:[0,1]
	v_pk_fma_f32 v[82:83], v[76:77], v[66:67], v[80:81] op_sel:[0,0,1] op_sel_hi:[1,1,0] neg_lo:[0,0,1] neg_hi:[0,0,1]
	v_pk_fma_f32 v[76:77], v[76:77], v[66:67], v[80:81] op_sel:[0,0,1] op_sel_hi:[1,0,0]
	v_dual_mul_f32 v80, v79, v69 :: v_dual_mov_b32 v76, v79
	s_delay_alu instid0(VALU_DEP_2) | instskip(NEXT) | instid1(VALU_DEP_2)
	v_dual_mov_b32 v83, v77 :: v_dual_mov_b32 v77, v78
	v_pk_fma_f32 v[80:81], v[78:79], v[14:15], v[80:81] op_sel_hi:[1,1,0] neg_lo:[0,0,1] neg_hi:[0,0,1]
	v_mul_f32_e32 v78, v79, v66
	s_delay_alu instid0(VALU_DEP_3) | instskip(NEXT) | instid1(VALU_DEP_2)
	v_pk_add_f32 v[30:31], v[30:31], v[82:83] neg_lo:[0,1] neg_hi:[0,1]
	v_pk_fma_f32 v[76:77], v[76:77], v[14:15], v[78:79] op_sel_hi:[1,1,0]
	s_delay_alu instid0(VALU_DEP_1) | instskip(SKIP_4) | instid1(VALU_DEP_1)
	v_mov_b32_e32 v81, v77
	ds_load_2addr_b64 v[76:79], v70 offset0:24 offset1:25
	v_pk_add_f32 v[26:27], v[26:27], v[80:81] neg_lo:[0,1] neg_hi:[0,1]
	s_wait_dscnt 0x0
	v_pk_mul_f32 v[80:81], v[76:77], v[68:69] op_sel:[0,1]
	v_pk_fma_f32 v[82:83], v[76:77], v[66:67], v[80:81] op_sel:[0,0,1] op_sel_hi:[1,1,0] neg_lo:[0,0,1] neg_hi:[0,0,1]
	v_pk_fma_f32 v[76:77], v[76:77], v[66:67], v[80:81] op_sel:[0,0,1] op_sel_hi:[1,0,0]
	s_delay_alu instid0(VALU_DEP_1) | instskip(SKIP_1) | instid1(VALU_DEP_1)
	v_mov_b32_e32 v83, v77
	v_pk_mul_f32 v[76:77], v[78:79], v[68:69] op_sel:[0,1]
	v_pk_fma_f32 v[80:81], v[78:79], v[66:67], v[76:77] op_sel:[0,0,1] op_sel_hi:[1,1,0] neg_lo:[0,0,1] neg_hi:[0,0,1]
	v_pk_fma_f32 v[76:77], v[78:79], v[66:67], v[76:77] op_sel:[0,0,1] op_sel_hi:[1,0,0]
	s_delay_alu instid0(VALU_DEP_1)
	v_mov_b32_e32 v81, v77
	ds_load_2addr_b64 v[76:79], v70 offset0:26 offset1:27
	v_pk_add_f32 v[44:45], v[44:45], v[82:83] neg_lo:[0,1] neg_hi:[0,1]
	v_pk_add_f32 v[24:25], v[24:25], v[80:81] neg_lo:[0,1] neg_hi:[0,1]
	s_wait_dscnt 0x0
	v_pk_mul_f32 v[80:81], v[76:77], v[68:69] op_sel:[0,1]
	s_delay_alu instid0(VALU_DEP_1) | instskip(SKIP_1) | instid1(VALU_DEP_1)
	v_pk_fma_f32 v[82:83], v[76:77], v[66:67], v[80:81] op_sel:[0,0,1] op_sel_hi:[1,1,0] neg_lo:[0,0,1] neg_hi:[0,0,1]
	v_pk_fma_f32 v[76:77], v[76:77], v[66:67], v[80:81] op_sel:[0,0,1] op_sel_hi:[1,0,0]
	v_mov_b32_e32 v83, v77
	v_pk_mul_f32 v[76:77], v[78:79], v[68:69] op_sel:[0,1]
	s_delay_alu instid0(VALU_DEP_1) | instskip(SKIP_1) | instid1(VALU_DEP_1)
	v_pk_fma_f32 v[80:81], v[78:79], v[66:67], v[76:77] op_sel:[0,0,1] op_sel_hi:[1,1,0] neg_lo:[0,0,1] neg_hi:[0,0,1]
	v_pk_fma_f32 v[76:77], v[78:79], v[66:67], v[76:77] op_sel:[0,0,1] op_sel_hi:[1,0,0]
	v_mov_b32_e32 v81, v77
	ds_load_2addr_b64 v[76:79], v70 offset0:28 offset1:29
	v_pk_add_f32 v[42:43], v[42:43], v[82:83] neg_lo:[0,1] neg_hi:[0,1]
	v_pk_add_f32 v[40:41], v[40:41], v[80:81] neg_lo:[0,1] neg_hi:[0,1]
	s_wait_dscnt 0x0
	v_dual_mul_f32 v80, v77, v69 :: v_dual_mul_f32 v82, v77, v66
	v_pk_mul_f32 v[68:69], v[78:79], v[68:69] op_sel:[0,1]
	s_delay_alu instid0(VALU_DEP_2) | instskip(NEXT) | instid1(VALU_DEP_3)
	v_pk_fma_f32 v[80:81], v[76:77], v[14:15], v[80:81] op_sel_hi:[1,1,0] neg_lo:[0,0,1] neg_hi:[0,0,1]
	v_pk_fma_f32 v[76:77], v[76:77], v[14:15], v[82:83] op_sel:[1,0,0] op_sel_hi:[0,1,0]
	s_delay_alu instid0(VALU_DEP_1) | instskip(NEXT) | instid1(VALU_DEP_4)
	v_mov_b32_e32 v81, v77
	v_pk_fma_f32 v[76:77], v[78:79], v[66:67], v[68:69] op_sel:[0,0,1] op_sel_hi:[1,1,0] neg_lo:[0,0,1] neg_hi:[0,0,1]
	v_pk_fma_f32 v[66:67], v[78:79], v[66:67], v[68:69] op_sel:[0,0,1] op_sel_hi:[1,0,0]
	s_delay_alu instid0(VALU_DEP_1) | instskip(NEXT) | instid1(VALU_DEP_4)
	v_mov_b32_e32 v77, v67
	v_pk_add_f32 v[32:33], v[32:33], v[80:81] neg_lo:[0,1] neg_hi:[0,1]
	s_delay_alu instid0(VALU_DEP_2)
	v_pk_add_f32 v[64:65], v[64:65], v[76:77] neg_lo:[0,1] neg_hi:[0,1]
.LBB58_209:
	s_or_b32 exec_lo, exec_lo, s0
	v_lshl_add_u32 v66, v74, 3, v70
	s_barrier_signal -1
	s_barrier_wait -1
	ds_store_b64 v66, v[16:17]
	s_wait_dscnt 0x0
	s_barrier_signal -1
	s_barrier_wait -1
	ds_load_b64 v[68:69], v70 offset:80
	v_mov_b32_e32 v66, 10
	s_cmp_lt_i32 s18, 12
	s_cbranch_scc1 .LBB58_212
; %bb.210:
	v_add3_u32 v67, v71, 0, 0x58
	v_mov_b32_e32 v66, 10
	s_mov_b32 s0, 11
.LBB58_211:                             ; =>This Inner Loop Header: Depth=1
	ds_load_b64 v[76:77], v67
	s_wait_dscnt 0x1
	v_cmp_gt_f32_e32 vcc_lo, 0, v68
	v_cndmask_b32_e64 v78, v68, -v68, vcc_lo
	v_cmp_gt_f32_e32 vcc_lo, 0, v69
	v_cndmask_b32_e64 v80, v69, -v69, vcc_lo
	s_wait_dscnt 0x0
	v_cmp_gt_f32_e32 vcc_lo, 0, v76
	v_cndmask_b32_e64 v79, v76, -v76, vcc_lo
	v_cmp_gt_f32_e32 vcc_lo, 0, v77
	v_cndmask_b32_e64 v81, v77, -v77, vcc_lo
	s_delay_alu instid0(VALU_DEP_1) | instskip(NEXT) | instid1(VALU_DEP_1)
	v_pk_add_f32 v[78:79], v[78:79], v[80:81]
	v_cmp_lt_f32_e32 vcc_lo, v78, v79
	v_dual_add_nc_u32 v67, 8, v67 :: v_dual_cndmask_b32 v69, v69, v77, vcc_lo
	v_cndmask_b32_e32 v68, v68, v76, vcc_lo
	v_cndmask_b32_e64 v66, v66, s0, vcc_lo
	s_add_co_i32 s0, s0, 1
	s_delay_alu instid0(SALU_CYCLE_1)
	s_cmp_lg_u32 s18, s0
	s_cbranch_scc1 .LBB58_211
.LBB58_212:
	s_wait_dscnt 0x0
	v_cmp_eq_f32_e32 vcc_lo, 0, v68
	v_cmp_eq_f32_e64 s0, 0, v69
	s_and_b32 s0, vcc_lo, s0
	s_delay_alu instid0(SALU_CYCLE_1) | instskip(NEXT) | instid1(SALU_CYCLE_1)
	s_and_saveexec_b32 s1, s0
	s_xor_b32 s0, exec_lo, s1
; %bb.213:
	v_cmp_ne_u32_e32 vcc_lo, 0, v72
	v_cndmask_b32_e32 v72, 11, v72, vcc_lo
; %bb.214:
	s_and_not1_saveexec_b32 s0, s0
	s_cbranch_execz .LBB58_220
; %bb.215:
	v_cmp_ngt_f32_e64 s1, |v68|, |v69|
	s_and_saveexec_b32 s12, s1
	s_delay_alu instid0(SALU_CYCLE_1)
	s_xor_b32 s1, exec_lo, s12
	s_cbranch_execz .LBB58_217
; %bb.216:
	v_div_scale_f32 v67, null, v69, v69, v68
	v_div_scale_f32 v77, vcc_lo, v68, v69, v68
	s_delay_alu instid0(VALU_DEP_2) | instskip(SKIP_1) | instid1(TRANS32_DEP_1)
	v_rcp_f32_e32 v75, v67
	v_nop
	v_fma_f32 v76, -v67, v75, 1.0
	s_delay_alu instid0(VALU_DEP_1) | instskip(NEXT) | instid1(VALU_DEP_1)
	v_fmac_f32_e32 v75, v76, v75
	v_mul_f32_e32 v76, v77, v75
	s_delay_alu instid0(VALU_DEP_1) | instskip(NEXT) | instid1(VALU_DEP_1)
	v_fma_f32 v78, -v67, v76, v77
	v_fmac_f32_e32 v76, v78, v75
	s_delay_alu instid0(VALU_DEP_1) | instskip(NEXT) | instid1(VALU_DEP_1)
	v_fma_f32 v67, -v67, v76, v77
	v_div_fmas_f32 v67, v67, v75, v76
	s_delay_alu instid0(VALU_DEP_1) | instskip(NEXT) | instid1(VALU_DEP_1)
	v_div_fixup_f32 v67, v67, v69, v68
	v_fmac_f32_e32 v69, v68, v67
	s_delay_alu instid0(VALU_DEP_1) | instskip(SKIP_1) | instid1(VALU_DEP_2)
	v_div_scale_f32 v68, null, v69, v69, 1.0
	v_div_scale_f32 v77, vcc_lo, 1.0, v69, 1.0
	v_rcp_f32_e32 v75, v68
	v_nop
	s_delay_alu instid0(TRANS32_DEP_1) | instskip(NEXT) | instid1(VALU_DEP_1)
	v_fma_f32 v76, -v68, v75, 1.0
	v_fmac_f32_e32 v75, v76, v75
	s_delay_alu instid0(VALU_DEP_1) | instskip(NEXT) | instid1(VALU_DEP_1)
	v_mul_f32_e32 v76, v77, v75
	v_fma_f32 v78, -v68, v76, v77
	s_delay_alu instid0(VALU_DEP_1) | instskip(NEXT) | instid1(VALU_DEP_1)
	v_fmac_f32_e32 v76, v78, v75
	v_fma_f32 v68, -v68, v76, v77
	s_delay_alu instid0(VALU_DEP_1) | instskip(NEXT) | instid1(VALU_DEP_1)
	v_div_fmas_f32 v68, v68, v75, v76
	v_div_fixup_f32 v69, v68, v69, 1.0
	s_delay_alu instid0(VALU_DEP_1)
	v_mul_f32_e32 v68, v67, v69
	v_xor_b32_e32 v69, 0x80000000, v69
.LBB58_217:
	s_and_not1_saveexec_b32 s1, s1
	s_cbranch_execz .LBB58_219
; %bb.218:
	s_delay_alu instid0(VALU_DEP_1) | instskip(SKIP_1) | instid1(VALU_DEP_2)
	v_div_scale_f32 v67, null, v68, v68, v69
	v_div_scale_f32 v77, vcc_lo, v69, v68, v69
	v_rcp_f32_e32 v75, v67
	v_nop
	s_delay_alu instid0(TRANS32_DEP_1) | instskip(NEXT) | instid1(VALU_DEP_1)
	v_fma_f32 v76, -v67, v75, 1.0
	v_fmac_f32_e32 v75, v76, v75
	s_delay_alu instid0(VALU_DEP_1) | instskip(NEXT) | instid1(VALU_DEP_1)
	v_mul_f32_e32 v76, v77, v75
	v_fma_f32 v78, -v67, v76, v77
	s_delay_alu instid0(VALU_DEP_1) | instskip(NEXT) | instid1(VALU_DEP_1)
	v_fmac_f32_e32 v76, v78, v75
	v_fma_f32 v67, -v67, v76, v77
	s_delay_alu instid0(VALU_DEP_1) | instskip(NEXT) | instid1(VALU_DEP_1)
	v_div_fmas_f32 v67, v67, v75, v76
	v_div_fixup_f32 v67, v67, v68, v69
	s_delay_alu instid0(VALU_DEP_1) | instskip(NEXT) | instid1(VALU_DEP_1)
	v_fmac_f32_e32 v68, v69, v67
	v_div_scale_f32 v69, null, v68, v68, 1.0
	s_delay_alu instid0(VALU_DEP_1) | instskip(SKIP_1) | instid1(TRANS32_DEP_1)
	v_rcp_f32_e32 v75, v69
	v_nop
	v_fma_f32 v76, -v69, v75, 1.0
	s_delay_alu instid0(VALU_DEP_1) | instskip(SKIP_1) | instid1(VALU_DEP_1)
	v_fmac_f32_e32 v75, v76, v75
	v_div_scale_f32 v76, vcc_lo, 1.0, v68, 1.0
	v_mul_f32_e32 v77, v76, v75
	s_delay_alu instid0(VALU_DEP_1) | instskip(NEXT) | instid1(VALU_DEP_1)
	v_fma_f32 v78, -v69, v77, v76
	v_fmac_f32_e32 v77, v78, v75
	s_delay_alu instid0(VALU_DEP_1) | instskip(NEXT) | instid1(VALU_DEP_1)
	v_fma_f32 v69, -v69, v77, v76
	v_div_fmas_f32 v69, v69, v75, v77
	s_delay_alu instid0(VALU_DEP_1) | instskip(NEXT) | instid1(VALU_DEP_1)
	v_div_fixup_f32 v68, v69, v68, 1.0
	v_mul_f32_e64 v69, v67, -v68
.LBB58_219:
	s_or_b32 exec_lo, exec_lo, s1
.LBB58_220:
	s_delay_alu instid0(SALU_CYCLE_1) | instskip(NEXT) | instid1(SALU_CYCLE_1)
	s_or_b32 exec_lo, exec_lo, s0
	s_mov_b32 s0, exec_lo
	v_cmpx_ne_u32_e64 v74, v66
	s_xor_b32 s0, exec_lo, s0
	s_cbranch_execz .LBB58_226
; %bb.221:
	s_mov_b32 s1, exec_lo
	v_cmpx_eq_u32_e32 10, v74
	s_cbranch_execz .LBB58_225
; %bb.222:
	v_cmp_ne_u32_e32 vcc_lo, 10, v66
	s_xor_b32 s12, s16, -1
	s_delay_alu instid0(SALU_CYCLE_1) | instskip(NEXT) | instid1(SALU_CYCLE_1)
	s_and_b32 s13, s12, vcc_lo
	s_and_saveexec_b32 s12, s13
	s_cbranch_execz .LBB58_224
; %bb.223:
	v_ashrrev_i32_e32 v67, 31, v66
	s_delay_alu instid0(VALU_DEP_1)
	v_lshl_add_u64 v[74:75], v[66:67], 2, v[4:5]
	s_clause 0x1
	global_load_b32 v67, v[74:75], off
	global_load_b32 v73, v[4:5], off offset:40
	s_wait_loadcnt 0x1
	global_store_b32 v[4:5], v67, off offset:40
	s_wait_loadcnt 0x0
	global_store_b32 v[74:75], v73, off
.LBB58_224:
	s_wait_xcnt 0x0
	s_or_b32 exec_lo, exec_lo, s12
	v_dual_mov_b32 v74, v66 :: v_dual_mov_b32 v73, v66
.LBB58_225:
	s_or_b32 exec_lo, exec_lo, s1
.LBB58_226:
	s_and_not1_saveexec_b32 s0, s0
	s_cbranch_execz .LBB58_228
; %bb.227:
	v_mov_b32_e32 v74, 10
	ds_store_2addr_b64 v70, v[12:13], v[50:51] offset0:11 offset1:12
	ds_store_2addr_b64 v70, v[20:21], v[22:23] offset0:13 offset1:14
	;; [unrolled: 1-line block ×9, first 2 shown]
	ds_store_b64 v70, v[64:65] offset:232
.LBB58_228:
	s_or_b32 exec_lo, exec_lo, s0
	s_delay_alu instid0(SALU_CYCLE_1)
	s_mov_b32 s0, exec_lo
	s_wait_storecnt_dscnt 0x0
	s_barrier_signal -1
	s_barrier_wait -1
	v_cmpx_lt_i32_e32 10, v74
	s_cbranch_execz .LBB58_230
; %bb.229:
	v_pk_mul_f32 v[76:77], v[68:69], v[16:17] op_sel:[1,1] op_sel_hi:[0,1]
	s_delay_alu instid0(VALU_DEP_1)
	v_pk_fma_f32 v[66:67], v[68:69], v[16:17], v[76:77] op_sel_hi:[1,0,1] neg_lo:[0,0,1] neg_hi:[0,0,1]
	v_pk_fma_f32 v[68:69], v[68:69], v[16:17], v[76:77] op_sel_hi:[1,0,1]
	ds_load_2addr_b64 v[76:79], v70 offset0:11 offset1:12
	v_dual_mov_b32 v16, v66 :: v_dual_mov_b32 v17, v69
	s_wait_dscnt 0x0
	v_pk_mul_f32 v[80:81], v[76:77], v[68:69] op_sel:[0,1]
	s_delay_alu instid0(VALU_DEP_1) | instskip(SKIP_1) | instid1(VALU_DEP_1)
	v_pk_fma_f32 v[82:83], v[76:77], v[66:67], v[80:81] op_sel:[0,0,1] op_sel_hi:[1,1,0] neg_lo:[0,0,1] neg_hi:[0,0,1]
	v_pk_fma_f32 v[76:77], v[76:77], v[66:67], v[80:81] op_sel:[0,0,1] op_sel_hi:[1,0,0]
	v_mov_b32_e32 v83, v77
	v_pk_mul_f32 v[76:77], v[78:79], v[68:69] op_sel:[0,1]
	s_delay_alu instid0(VALU_DEP_1) | instskip(SKIP_1) | instid1(VALU_DEP_1)
	v_pk_fma_f32 v[80:81], v[78:79], v[66:67], v[76:77] op_sel:[0,0,1] op_sel_hi:[1,1,0] neg_lo:[0,0,1] neg_hi:[0,0,1]
	v_pk_fma_f32 v[76:77], v[78:79], v[66:67], v[76:77] op_sel:[0,0,1] op_sel_hi:[1,0,0]
	v_mov_b32_e32 v81, v77
	ds_load_2addr_b64 v[76:79], v70 offset0:13 offset1:14
	v_pk_add_f32 v[12:13], v[12:13], v[82:83] neg_lo:[0,1] neg_hi:[0,1]
	v_pk_add_f32 v[50:51], v[50:51], v[80:81] neg_lo:[0,1] neg_hi:[0,1]
	s_wait_dscnt 0x0
	v_pk_mul_f32 v[80:81], v[76:77], v[68:69] op_sel:[0,1]
	s_delay_alu instid0(VALU_DEP_1) | instskip(SKIP_2) | instid1(VALU_DEP_2)
	v_pk_fma_f32 v[82:83], v[76:77], v[66:67], v[80:81] op_sel:[0,0,1] op_sel_hi:[1,1,0] neg_lo:[0,0,1] neg_hi:[0,0,1]
	v_pk_fma_f32 v[76:77], v[76:77], v[66:67], v[80:81] op_sel:[0,0,1] op_sel_hi:[1,0,0]
	v_dual_mul_f32 v80, v79, v69 :: v_dual_mov_b32 v76, v79
	v_dual_mov_b32 v83, v77 :: v_dual_mov_b32 v77, v78
	s_delay_alu instid0(VALU_DEP_2) | instskip(SKIP_1) | instid1(VALU_DEP_3)
	v_pk_fma_f32 v[80:81], v[78:79], v[16:17], v[80:81] op_sel_hi:[1,1,0] neg_lo:[0,0,1] neg_hi:[0,0,1]
	v_mul_f32_e32 v78, v79, v66
	v_pk_add_f32 v[20:21], v[20:21], v[82:83] neg_lo:[0,1] neg_hi:[0,1]
	s_delay_alu instid0(VALU_DEP_2) | instskip(NEXT) | instid1(VALU_DEP_1)
	v_pk_fma_f32 v[76:77], v[76:77], v[16:17], v[78:79] op_sel_hi:[1,1,0]
	v_mov_b32_e32 v81, v77
	ds_load_2addr_b64 v[76:79], v70 offset0:15 offset1:16
	v_pk_add_f32 v[22:23], v[22:23], v[80:81] neg_lo:[0,1] neg_hi:[0,1]
	s_wait_dscnt 0x0
	v_pk_mul_f32 v[80:81], v[76:77], v[68:69] op_sel:[0,1]
	s_delay_alu instid0(VALU_DEP_1) | instskip(SKIP_1) | instid1(VALU_DEP_1)
	v_pk_fma_f32 v[82:83], v[76:77], v[66:67], v[80:81] op_sel:[0,0,1] op_sel_hi:[1,1,0] neg_lo:[0,0,1] neg_hi:[0,0,1]
	v_pk_fma_f32 v[76:77], v[76:77], v[66:67], v[80:81] op_sel:[0,0,1] op_sel_hi:[1,0,0]
	v_mov_b32_e32 v83, v77
	v_pk_mul_f32 v[76:77], v[78:79], v[68:69] op_sel:[0,1]
	s_delay_alu instid0(VALU_DEP_1) | instskip(SKIP_1) | instid1(VALU_DEP_1)
	v_pk_fma_f32 v[80:81], v[78:79], v[66:67], v[76:77] op_sel:[0,0,1] op_sel_hi:[1,1,0] neg_lo:[0,0,1] neg_hi:[0,0,1]
	v_pk_fma_f32 v[76:77], v[78:79], v[66:67], v[76:77] op_sel:[0,0,1] op_sel_hi:[1,0,0]
	v_mov_b32_e32 v81, v77
	ds_load_2addr_b64 v[76:79], v70 offset0:17 offset1:18
	v_pk_add_f32 v[18:19], v[18:19], v[82:83] neg_lo:[0,1] neg_hi:[0,1]
	v_pk_add_f32 v[54:55], v[54:55], v[80:81] neg_lo:[0,1] neg_hi:[0,1]
	s_wait_dscnt 0x0
	v_pk_mul_f32 v[80:81], v[76:77], v[68:69] op_sel:[0,1]
	s_delay_alu instid0(VALU_DEP_1) | instskip(SKIP_1) | instid1(VALU_DEP_1)
	v_pk_fma_f32 v[82:83], v[76:77], v[66:67], v[80:81] op_sel:[0,0,1] op_sel_hi:[1,1,0] neg_lo:[0,0,1] neg_hi:[0,0,1]
	v_pk_fma_f32 v[76:77], v[76:77], v[66:67], v[80:81] op_sel:[0,0,1] op_sel_hi:[1,0,0]
	v_mov_b32_e32 v83, v77
	v_pk_mul_f32 v[76:77], v[78:79], v[68:69] op_sel:[0,1]
	s_delay_alu instid0(VALU_DEP_1) | instskip(SKIP_1) | instid1(VALU_DEP_1)
	v_pk_fma_f32 v[80:81], v[78:79], v[66:67], v[76:77] op_sel:[0,0,1] op_sel_hi:[1,1,0] neg_lo:[0,0,1] neg_hi:[0,0,1]
	v_pk_fma_f32 v[76:77], v[78:79], v[66:67], v[76:77] op_sel:[0,0,1] op_sel_hi:[1,0,0]
	v_mov_b32_e32 v81, v77
	ds_load_2addr_b64 v[76:79], v70 offset0:19 offset1:20
	v_pk_add_f32 v[36:37], v[36:37], v[82:83] neg_lo:[0,1] neg_hi:[0,1]
	v_pk_add_f32 v[38:39], v[38:39], v[80:81] neg_lo:[0,1] neg_hi:[0,1]
	s_wait_dscnt 0x0
	v_dual_mul_f32 v80, v77, v69 :: v_dual_mul_f32 v82, v77, v66
	s_delay_alu instid0(VALU_DEP_1) | instskip(NEXT) | instid1(VALU_DEP_2)
	v_pk_fma_f32 v[80:81], v[76:77], v[16:17], v[80:81] op_sel_hi:[1,1,0] neg_lo:[0,0,1] neg_hi:[0,0,1]
	v_pk_fma_f32 v[76:77], v[76:77], v[16:17], v[82:83] op_sel:[1,0,0] op_sel_hi:[0,1,0]
	s_delay_alu instid0(VALU_DEP_1) | instskip(SKIP_1) | instid1(VALU_DEP_2)
	v_mov_b32_e32 v81, v77
	v_pk_mul_f32 v[76:77], v[78:79], v[68:69] op_sel:[0,1]
	v_pk_add_f32 v[34:35], v[34:35], v[80:81] neg_lo:[0,1] neg_hi:[0,1]
	s_delay_alu instid0(VALU_DEP_2) | instskip(SKIP_1) | instid1(VALU_DEP_1)
	v_pk_fma_f32 v[80:81], v[78:79], v[66:67], v[76:77] op_sel:[0,0,1] op_sel_hi:[1,1,0] neg_lo:[0,0,1] neg_hi:[0,0,1]
	v_pk_fma_f32 v[76:77], v[78:79], v[66:67], v[76:77] op_sel:[0,0,1] op_sel_hi:[1,0,0]
	v_mov_b32_e32 v81, v77
	ds_load_2addr_b64 v[76:79], v70 offset0:21 offset1:22
	v_pk_add_f32 v[52:53], v[52:53], v[80:81] neg_lo:[0,1] neg_hi:[0,1]
	s_wait_dscnt 0x0
	v_pk_mul_f32 v[80:81], v[76:77], v[68:69] op_sel:[0,1]
	s_delay_alu instid0(VALU_DEP_1) | instskip(SKIP_1) | instid1(VALU_DEP_1)
	v_pk_fma_f32 v[82:83], v[76:77], v[66:67], v[80:81] op_sel:[0,0,1] op_sel_hi:[1,1,0] neg_lo:[0,0,1] neg_hi:[0,0,1]
	v_pk_fma_f32 v[76:77], v[76:77], v[66:67], v[80:81] op_sel:[0,0,1] op_sel_hi:[1,0,0]
	v_mov_b32_e32 v83, v77
	v_pk_mul_f32 v[76:77], v[78:79], v[68:69] op_sel:[0,1]
	s_delay_alu instid0(VALU_DEP_2) | instskip(NEXT) | instid1(VALU_DEP_2)
	v_pk_add_f32 v[28:29], v[28:29], v[82:83] neg_lo:[0,1] neg_hi:[0,1]
	v_pk_fma_f32 v[80:81], v[78:79], v[66:67], v[76:77] op_sel:[0,0,1] op_sel_hi:[1,1,0] neg_lo:[0,0,1] neg_hi:[0,0,1]
	v_pk_fma_f32 v[76:77], v[78:79], v[66:67], v[76:77] op_sel:[0,0,1] op_sel_hi:[1,0,0]
	s_delay_alu instid0(VALU_DEP_1) | instskip(SKIP_4) | instid1(VALU_DEP_1)
	v_mov_b32_e32 v81, v77
	ds_load_2addr_b64 v[76:79], v70 offset0:23 offset1:24
	v_pk_add_f32 v[30:31], v[30:31], v[80:81] neg_lo:[0,1] neg_hi:[0,1]
	s_wait_dscnt 0x0
	v_pk_mul_f32 v[80:81], v[76:77], v[68:69] op_sel:[0,1]
	v_pk_fma_f32 v[82:83], v[76:77], v[66:67], v[80:81] op_sel:[0,0,1] op_sel_hi:[1,1,0] neg_lo:[0,0,1] neg_hi:[0,0,1]
	v_pk_fma_f32 v[76:77], v[76:77], v[66:67], v[80:81] op_sel:[0,0,1] op_sel_hi:[1,0,0]
	v_dual_mul_f32 v80, v79, v69 :: v_dual_mov_b32 v76, v79
	s_delay_alu instid0(VALU_DEP_2) | instskip(NEXT) | instid1(VALU_DEP_2)
	v_dual_mov_b32 v83, v77 :: v_dual_mov_b32 v77, v78
	v_pk_fma_f32 v[80:81], v[78:79], v[16:17], v[80:81] op_sel_hi:[1,1,0] neg_lo:[0,0,1] neg_hi:[0,0,1]
	v_mul_f32_e32 v78, v79, v66
	s_delay_alu instid0(VALU_DEP_3) | instskip(NEXT) | instid1(VALU_DEP_2)
	v_pk_add_f32 v[26:27], v[26:27], v[82:83] neg_lo:[0,1] neg_hi:[0,1]
	v_pk_fma_f32 v[76:77], v[76:77], v[16:17], v[78:79] op_sel_hi:[1,1,0]
	s_delay_alu instid0(VALU_DEP_1) | instskip(SKIP_4) | instid1(VALU_DEP_1)
	v_mov_b32_e32 v81, v77
	ds_load_2addr_b64 v[76:79], v70 offset0:25 offset1:26
	v_pk_add_f32 v[44:45], v[44:45], v[80:81] neg_lo:[0,1] neg_hi:[0,1]
	s_wait_dscnt 0x0
	v_pk_mul_f32 v[80:81], v[76:77], v[68:69] op_sel:[0,1]
	v_pk_fma_f32 v[82:83], v[76:77], v[66:67], v[80:81] op_sel:[0,0,1] op_sel_hi:[1,1,0] neg_lo:[0,0,1] neg_hi:[0,0,1]
	v_pk_fma_f32 v[76:77], v[76:77], v[66:67], v[80:81] op_sel:[0,0,1] op_sel_hi:[1,0,0]
	s_delay_alu instid0(VALU_DEP_1) | instskip(SKIP_1) | instid1(VALU_DEP_1)
	v_mov_b32_e32 v83, v77
	v_pk_mul_f32 v[76:77], v[78:79], v[68:69] op_sel:[0,1]
	v_pk_fma_f32 v[80:81], v[78:79], v[66:67], v[76:77] op_sel:[0,0,1] op_sel_hi:[1,1,0] neg_lo:[0,0,1] neg_hi:[0,0,1]
	v_pk_fma_f32 v[76:77], v[78:79], v[66:67], v[76:77] op_sel:[0,0,1] op_sel_hi:[1,0,0]
	s_delay_alu instid0(VALU_DEP_1)
	v_mov_b32_e32 v81, v77
	ds_load_2addr_b64 v[76:79], v70 offset0:27 offset1:28
	v_pk_add_f32 v[24:25], v[24:25], v[82:83] neg_lo:[0,1] neg_hi:[0,1]
	v_pk_add_f32 v[42:43], v[42:43], v[80:81] neg_lo:[0,1] neg_hi:[0,1]
	s_wait_dscnt 0x0
	v_pk_mul_f32 v[80:81], v[76:77], v[68:69] op_sel:[0,1]
	s_delay_alu instid0(VALU_DEP_1) | instskip(SKIP_1) | instid1(VALU_DEP_1)
	v_pk_fma_f32 v[82:83], v[76:77], v[66:67], v[80:81] op_sel:[0,0,1] op_sel_hi:[1,1,0] neg_lo:[0,0,1] neg_hi:[0,0,1]
	v_pk_fma_f32 v[76:77], v[76:77], v[66:67], v[80:81] op_sel:[0,0,1] op_sel_hi:[1,0,0]
	v_mov_b32_e32 v83, v77
	v_pk_mul_f32 v[76:77], v[78:79], v[68:69] op_sel:[0,1]
	s_delay_alu instid0(VALU_DEP_1) | instskip(SKIP_1) | instid1(VALU_DEP_1)
	v_pk_fma_f32 v[80:81], v[78:79], v[66:67], v[76:77] op_sel:[0,0,1] op_sel_hi:[1,1,0] neg_lo:[0,0,1] neg_hi:[0,0,1]
	v_pk_fma_f32 v[76:77], v[78:79], v[66:67], v[76:77] op_sel:[0,0,1] op_sel_hi:[1,0,0]
	v_mov_b32_e32 v81, v77
	ds_load_b64 v[76:77], v70 offset:232
	v_pk_add_f32 v[40:41], v[40:41], v[82:83] neg_lo:[0,1] neg_hi:[0,1]
	v_pk_add_f32 v[32:33], v[32:33], v[80:81] neg_lo:[0,1] neg_hi:[0,1]
	s_wait_dscnt 0x0
	v_pk_mul_f32 v[68:69], v[76:77], v[68:69] op_sel:[0,1]
	s_delay_alu instid0(VALU_DEP_1) | instskip(SKIP_1) | instid1(VALU_DEP_1)
	v_pk_fma_f32 v[78:79], v[76:77], v[66:67], v[68:69] op_sel:[0,0,1] op_sel_hi:[1,1,0] neg_lo:[0,0,1] neg_hi:[0,0,1]
	v_pk_fma_f32 v[66:67], v[76:77], v[66:67], v[68:69] op_sel:[0,0,1] op_sel_hi:[1,0,0]
	v_mov_b32_e32 v79, v67
	s_delay_alu instid0(VALU_DEP_1)
	v_pk_add_f32 v[64:65], v[64:65], v[78:79] neg_lo:[0,1] neg_hi:[0,1]
.LBB58_230:
	s_or_b32 exec_lo, exec_lo, s0
	v_lshl_add_u32 v66, v74, 3, v70
	s_barrier_signal -1
	s_barrier_wait -1
	ds_store_b64 v66, v[12:13]
	s_wait_dscnt 0x0
	s_barrier_signal -1
	s_barrier_wait -1
	ds_load_b64 v[66:67], v70 offset:88
	v_mov_b32_e32 v68, 11
	s_cmp_lt_i32 s18, 13
	s_cbranch_scc1 .LBB58_233
; %bb.231:
	v_add3_u32 v69, v71, 0, 0x60
	v_mov_b32_e32 v68, 11
	s_mov_b32 s0, 12
.LBB58_232:                             ; =>This Inner Loop Header: Depth=1
	ds_load_b64 v[76:77], v69
	s_wait_dscnt 0x1
	v_cmp_gt_f32_e32 vcc_lo, 0, v66
	v_cndmask_b32_e64 v78, v66, -v66, vcc_lo
	v_cmp_gt_f32_e32 vcc_lo, 0, v67
	v_cndmask_b32_e64 v80, v67, -v67, vcc_lo
	s_wait_dscnt 0x0
	v_cmp_gt_f32_e32 vcc_lo, 0, v76
	v_cndmask_b32_e64 v79, v76, -v76, vcc_lo
	v_cmp_gt_f32_e32 vcc_lo, 0, v77
	v_cndmask_b32_e64 v81, v77, -v77, vcc_lo
	s_delay_alu instid0(VALU_DEP_1) | instskip(NEXT) | instid1(VALU_DEP_1)
	v_pk_add_f32 v[78:79], v[78:79], v[80:81]
	v_cmp_lt_f32_e32 vcc_lo, v78, v79
	v_dual_cndmask_b32 v66, v66, v76 :: v_dual_add_nc_u32 v69, 8, v69
	v_cndmask_b32_e32 v67, v67, v77, vcc_lo
	v_cndmask_b32_e64 v68, v68, s0, vcc_lo
	s_add_co_i32 s0, s0, 1
	s_delay_alu instid0(SALU_CYCLE_1)
	s_cmp_lg_u32 s18, s0
	s_cbranch_scc1 .LBB58_232
.LBB58_233:
	s_wait_dscnt 0x0
	v_cmp_eq_f32_e32 vcc_lo, 0, v66
	v_cmp_eq_f32_e64 s0, 0, v67
	s_and_b32 s0, vcc_lo, s0
	s_delay_alu instid0(SALU_CYCLE_1) | instskip(NEXT) | instid1(SALU_CYCLE_1)
	s_and_saveexec_b32 s1, s0
	s_xor_b32 s0, exec_lo, s1
; %bb.234:
	v_cmp_ne_u32_e32 vcc_lo, 0, v72
	v_cndmask_b32_e32 v72, 12, v72, vcc_lo
; %bb.235:
	s_and_not1_saveexec_b32 s0, s0
	s_cbranch_execz .LBB58_241
; %bb.236:
	v_cmp_ngt_f32_e64 s1, |v66|, |v67|
	s_and_saveexec_b32 s12, s1
	s_delay_alu instid0(SALU_CYCLE_1)
	s_xor_b32 s1, exec_lo, s12
	s_cbranch_execz .LBB58_238
; %bb.237:
	v_div_scale_f32 v69, null, v67, v67, v66
	v_div_scale_f32 v77, vcc_lo, v66, v67, v66
	s_delay_alu instid0(VALU_DEP_2) | instskip(SKIP_1) | instid1(TRANS32_DEP_1)
	v_rcp_f32_e32 v75, v69
	v_nop
	v_fma_f32 v76, -v69, v75, 1.0
	s_delay_alu instid0(VALU_DEP_1) | instskip(NEXT) | instid1(VALU_DEP_1)
	v_fmac_f32_e32 v75, v76, v75
	v_mul_f32_e32 v76, v77, v75
	s_delay_alu instid0(VALU_DEP_1) | instskip(NEXT) | instid1(VALU_DEP_1)
	v_fma_f32 v78, -v69, v76, v77
	v_fmac_f32_e32 v76, v78, v75
	s_delay_alu instid0(VALU_DEP_1) | instskip(NEXT) | instid1(VALU_DEP_1)
	v_fma_f32 v69, -v69, v76, v77
	v_div_fmas_f32 v69, v69, v75, v76
	s_delay_alu instid0(VALU_DEP_1) | instskip(NEXT) | instid1(VALU_DEP_1)
	v_div_fixup_f32 v69, v69, v67, v66
	v_fmac_f32_e32 v67, v66, v69
	s_delay_alu instid0(VALU_DEP_1) | instskip(SKIP_1) | instid1(VALU_DEP_2)
	v_div_scale_f32 v66, null, v67, v67, 1.0
	v_div_scale_f32 v77, vcc_lo, 1.0, v67, 1.0
	v_rcp_f32_e32 v75, v66
	v_nop
	s_delay_alu instid0(TRANS32_DEP_1) | instskip(NEXT) | instid1(VALU_DEP_1)
	v_fma_f32 v76, -v66, v75, 1.0
	v_fmac_f32_e32 v75, v76, v75
	s_delay_alu instid0(VALU_DEP_1) | instskip(NEXT) | instid1(VALU_DEP_1)
	v_mul_f32_e32 v76, v77, v75
	v_fma_f32 v78, -v66, v76, v77
	s_delay_alu instid0(VALU_DEP_1) | instskip(NEXT) | instid1(VALU_DEP_1)
	v_fmac_f32_e32 v76, v78, v75
	v_fma_f32 v66, -v66, v76, v77
	s_delay_alu instid0(VALU_DEP_1) | instskip(NEXT) | instid1(VALU_DEP_1)
	v_div_fmas_f32 v66, v66, v75, v76
	v_div_fixup_f32 v67, v66, v67, 1.0
	s_delay_alu instid0(VALU_DEP_1)
	v_mul_f32_e32 v66, v69, v67
	v_xor_b32_e32 v67, 0x80000000, v67
.LBB58_238:
	s_and_not1_saveexec_b32 s1, s1
	s_cbranch_execz .LBB58_240
; %bb.239:
	s_delay_alu instid0(VALU_DEP_1) | instskip(SKIP_1) | instid1(VALU_DEP_2)
	v_div_scale_f32 v69, null, v66, v66, v67
	v_div_scale_f32 v77, vcc_lo, v67, v66, v67
	v_rcp_f32_e32 v75, v69
	v_nop
	s_delay_alu instid0(TRANS32_DEP_1) | instskip(NEXT) | instid1(VALU_DEP_1)
	v_fma_f32 v76, -v69, v75, 1.0
	v_fmac_f32_e32 v75, v76, v75
	s_delay_alu instid0(VALU_DEP_1) | instskip(NEXT) | instid1(VALU_DEP_1)
	v_mul_f32_e32 v76, v77, v75
	v_fma_f32 v78, -v69, v76, v77
	s_delay_alu instid0(VALU_DEP_1) | instskip(NEXT) | instid1(VALU_DEP_1)
	v_fmac_f32_e32 v76, v78, v75
	v_fma_f32 v69, -v69, v76, v77
	s_delay_alu instid0(VALU_DEP_1) | instskip(NEXT) | instid1(VALU_DEP_1)
	v_div_fmas_f32 v69, v69, v75, v76
	v_div_fixup_f32 v69, v69, v66, v67
	s_delay_alu instid0(VALU_DEP_1) | instskip(NEXT) | instid1(VALU_DEP_1)
	v_fmac_f32_e32 v66, v67, v69
	v_div_scale_f32 v67, null, v66, v66, 1.0
	s_delay_alu instid0(VALU_DEP_1) | instskip(SKIP_1) | instid1(TRANS32_DEP_1)
	v_rcp_f32_e32 v75, v67
	v_nop
	v_fma_f32 v76, -v67, v75, 1.0
	s_delay_alu instid0(VALU_DEP_1) | instskip(SKIP_1) | instid1(VALU_DEP_1)
	v_fmac_f32_e32 v75, v76, v75
	v_div_scale_f32 v76, vcc_lo, 1.0, v66, 1.0
	v_mul_f32_e32 v77, v76, v75
	s_delay_alu instid0(VALU_DEP_1) | instskip(NEXT) | instid1(VALU_DEP_1)
	v_fma_f32 v78, -v67, v77, v76
	v_fmac_f32_e32 v77, v78, v75
	s_delay_alu instid0(VALU_DEP_1) | instskip(NEXT) | instid1(VALU_DEP_1)
	v_fma_f32 v67, -v67, v77, v76
	v_div_fmas_f32 v67, v67, v75, v77
	s_delay_alu instid0(VALU_DEP_1) | instskip(NEXT) | instid1(VALU_DEP_1)
	v_div_fixup_f32 v66, v67, v66, 1.0
	v_mul_f32_e64 v67, v69, -v66
.LBB58_240:
	s_or_b32 exec_lo, exec_lo, s1
.LBB58_241:
	s_delay_alu instid0(SALU_CYCLE_1) | instskip(NEXT) | instid1(SALU_CYCLE_1)
	s_or_b32 exec_lo, exec_lo, s0
	s_mov_b32 s0, exec_lo
	v_cmpx_ne_u32_e64 v74, v68
	s_xor_b32 s0, exec_lo, s0
	s_cbranch_execz .LBB58_247
; %bb.242:
	s_mov_b32 s1, exec_lo
	v_cmpx_eq_u32_e32 11, v74
	s_cbranch_execz .LBB58_246
; %bb.243:
	v_cmp_ne_u32_e32 vcc_lo, 11, v68
	s_xor_b32 s12, s16, -1
	s_delay_alu instid0(SALU_CYCLE_1) | instskip(NEXT) | instid1(SALU_CYCLE_1)
	s_and_b32 s13, s12, vcc_lo
	s_and_saveexec_b32 s12, s13
	s_cbranch_execz .LBB58_245
; %bb.244:
	v_ashrrev_i32_e32 v69, 31, v68
	s_delay_alu instid0(VALU_DEP_1)
	v_lshl_add_u64 v[74:75], v[68:69], 2, v[4:5]
	s_clause 0x1
	global_load_b32 v69, v[74:75], off
	global_load_b32 v73, v[4:5], off offset:44
	s_wait_loadcnt 0x1
	global_store_b32 v[4:5], v69, off offset:44
	s_wait_loadcnt 0x0
	global_store_b32 v[74:75], v73, off
.LBB58_245:
	s_wait_xcnt 0x0
	s_or_b32 exec_lo, exec_lo, s12
	v_dual_mov_b32 v74, v68 :: v_dual_mov_b32 v73, v68
.LBB58_246:
	s_or_b32 exec_lo, exec_lo, s1
.LBB58_247:
	s_and_not1_saveexec_b32 s0, s0
	s_cbranch_execz .LBB58_249
; %bb.248:
	v_dual_mov_b32 v68, v50 :: v_dual_mov_b32 v69, v51
	v_dual_mov_b32 v74, v20 :: v_dual_mov_b32 v75, v21
	;; [unrolled: 1-line block ×8, first 2 shown]
	ds_store_2addr_b64 v70, v[68:69], v[74:75] offset0:12 offset1:13
	ds_store_2addr_b64 v70, v[76:77], v[78:79] offset0:14 offset1:15
	;; [unrolled: 1-line block ×4, first 2 shown]
	v_dual_mov_b32 v68, v52 :: v_dual_mov_b32 v69, v53
	v_dual_mov_b32 v76, v28 :: v_dual_mov_b32 v77, v29
	;; [unrolled: 1-line block ×9, first 2 shown]
	v_mov_b32_e32 v91, v33
	ds_store_2addr_b64 v70, v[68:69], v[76:77] offset0:20 offset1:21
	ds_store_2addr_b64 v70, v[78:79], v[80:81] offset0:22 offset1:23
	;; [unrolled: 1-line block ×5, first 2 shown]
.LBB58_249:
	s_or_b32 exec_lo, exec_lo, s0
	s_delay_alu instid0(SALU_CYCLE_1)
	s_mov_b32 s0, exec_lo
	s_wait_storecnt_dscnt 0x0
	s_barrier_signal -1
	s_barrier_wait -1
	v_cmpx_lt_i32_e32 11, v74
	s_cbranch_execz .LBB58_251
; %bb.250:
	v_pk_mul_f32 v[76:77], v[66:67], v[12:13] op_sel:[1,1] op_sel_hi:[0,1]
	s_delay_alu instid0(VALU_DEP_1)
	v_pk_fma_f32 v[68:69], v[66:67], v[12:13], v[76:77] op_sel_hi:[1,0,1] neg_lo:[0,0,1] neg_hi:[0,0,1]
	v_pk_fma_f32 v[66:67], v[66:67], v[12:13], v[76:77] op_sel_hi:[1,0,1]
	ds_load_2addr_b64 v[76:79], v70 offset0:12 offset1:13
	v_dual_mov_b32 v12, v68 :: v_dual_mov_b32 v13, v67
	s_wait_dscnt 0x0
	v_pk_mul_f32 v[80:81], v[76:77], v[66:67] op_sel:[0,1]
	s_delay_alu instid0(VALU_DEP_1) | instskip(SKIP_1) | instid1(VALU_DEP_1)
	v_pk_fma_f32 v[82:83], v[76:77], v[68:69], v[80:81] op_sel:[0,0,1] op_sel_hi:[1,1,0] neg_lo:[0,0,1] neg_hi:[0,0,1]
	v_pk_fma_f32 v[76:77], v[76:77], v[68:69], v[80:81] op_sel:[0,0,1] op_sel_hi:[1,0,0]
	v_mov_b32_e32 v83, v77
	v_pk_mul_f32 v[76:77], v[78:79], v[66:67] op_sel:[0,1]
	s_delay_alu instid0(VALU_DEP_1) | instskip(SKIP_1) | instid1(VALU_DEP_1)
	v_pk_fma_f32 v[80:81], v[78:79], v[68:69], v[76:77] op_sel:[0,0,1] op_sel_hi:[1,1,0] neg_lo:[0,0,1] neg_hi:[0,0,1]
	v_pk_fma_f32 v[76:77], v[78:79], v[68:69], v[76:77] op_sel:[0,0,1] op_sel_hi:[1,0,0]
	v_mov_b32_e32 v81, v77
	ds_load_2addr_b64 v[76:79], v70 offset0:14 offset1:15
	v_pk_add_f32 v[50:51], v[50:51], v[82:83] neg_lo:[0,1] neg_hi:[0,1]
	v_pk_add_f32 v[20:21], v[20:21], v[80:81] neg_lo:[0,1] neg_hi:[0,1]
	s_wait_dscnt 0x0
	v_pk_mul_f32 v[80:81], v[76:77], v[66:67] op_sel:[0,1]
	s_delay_alu instid0(VALU_DEP_1) | instskip(SKIP_2) | instid1(VALU_DEP_2)
	v_pk_fma_f32 v[82:83], v[76:77], v[68:69], v[80:81] op_sel:[0,0,1] op_sel_hi:[1,1,0] neg_lo:[0,0,1] neg_hi:[0,0,1]
	v_pk_fma_f32 v[76:77], v[76:77], v[68:69], v[80:81] op_sel:[0,0,1] op_sel_hi:[1,0,0]
	v_dual_mul_f32 v80, v79, v67 :: v_dual_mov_b32 v76, v79
	v_dual_mov_b32 v83, v77 :: v_dual_mov_b32 v77, v78
	s_delay_alu instid0(VALU_DEP_2) | instskip(SKIP_1) | instid1(VALU_DEP_3)
	v_pk_fma_f32 v[80:81], v[78:79], v[12:13], v[80:81] op_sel_hi:[1,1,0] neg_lo:[0,0,1] neg_hi:[0,0,1]
	v_mul_f32_e32 v78, v79, v68
	v_pk_add_f32 v[22:23], v[22:23], v[82:83] neg_lo:[0,1] neg_hi:[0,1]
	s_delay_alu instid0(VALU_DEP_2) | instskip(NEXT) | instid1(VALU_DEP_1)
	v_pk_fma_f32 v[76:77], v[76:77], v[12:13], v[78:79] op_sel_hi:[1,1,0]
	v_mov_b32_e32 v81, v77
	ds_load_2addr_b64 v[76:79], v70 offset0:16 offset1:17
	v_pk_add_f32 v[18:19], v[18:19], v[80:81] neg_lo:[0,1] neg_hi:[0,1]
	s_wait_dscnt 0x0
	v_pk_mul_f32 v[80:81], v[76:77], v[66:67] op_sel:[0,1]
	s_delay_alu instid0(VALU_DEP_1) | instskip(SKIP_1) | instid1(VALU_DEP_1)
	v_pk_fma_f32 v[82:83], v[76:77], v[68:69], v[80:81] op_sel:[0,0,1] op_sel_hi:[1,1,0] neg_lo:[0,0,1] neg_hi:[0,0,1]
	v_pk_fma_f32 v[76:77], v[76:77], v[68:69], v[80:81] op_sel:[0,0,1] op_sel_hi:[1,0,0]
	v_mov_b32_e32 v83, v77
	v_pk_mul_f32 v[76:77], v[78:79], v[66:67] op_sel:[0,1]
	s_delay_alu instid0(VALU_DEP_1) | instskip(SKIP_1) | instid1(VALU_DEP_1)
	v_pk_fma_f32 v[80:81], v[78:79], v[68:69], v[76:77] op_sel:[0,0,1] op_sel_hi:[1,1,0] neg_lo:[0,0,1] neg_hi:[0,0,1]
	v_pk_fma_f32 v[76:77], v[78:79], v[68:69], v[76:77] op_sel:[0,0,1] op_sel_hi:[1,0,0]
	v_mov_b32_e32 v81, v77
	ds_load_2addr_b64 v[76:79], v70 offset0:18 offset1:19
	v_pk_add_f32 v[54:55], v[54:55], v[82:83] neg_lo:[0,1] neg_hi:[0,1]
	v_pk_add_f32 v[36:37], v[36:37], v[80:81] neg_lo:[0,1] neg_hi:[0,1]
	s_wait_dscnt 0x0
	v_pk_mul_f32 v[80:81], v[76:77], v[66:67] op_sel:[0,1]
	s_delay_alu instid0(VALU_DEP_1) | instskip(SKIP_1) | instid1(VALU_DEP_1)
	v_pk_fma_f32 v[82:83], v[76:77], v[68:69], v[80:81] op_sel:[0,0,1] op_sel_hi:[1,1,0] neg_lo:[0,0,1] neg_hi:[0,0,1]
	v_pk_fma_f32 v[76:77], v[76:77], v[68:69], v[80:81] op_sel:[0,0,1] op_sel_hi:[1,0,0]
	v_mov_b32_e32 v83, v77
	v_pk_mul_f32 v[76:77], v[78:79], v[66:67] op_sel:[0,1]
	s_delay_alu instid0(VALU_DEP_1) | instskip(SKIP_1) | instid1(VALU_DEP_1)
	v_pk_fma_f32 v[80:81], v[78:79], v[68:69], v[76:77] op_sel:[0,0,1] op_sel_hi:[1,1,0] neg_lo:[0,0,1] neg_hi:[0,0,1]
	v_pk_fma_f32 v[76:77], v[78:79], v[68:69], v[76:77] op_sel:[0,0,1] op_sel_hi:[1,0,0]
	v_mov_b32_e32 v81, v77
	ds_load_2addr_b64 v[76:79], v70 offset0:20 offset1:21
	v_pk_add_f32 v[38:39], v[38:39], v[82:83] neg_lo:[0,1] neg_hi:[0,1]
	v_pk_add_f32 v[34:35], v[34:35], v[80:81] neg_lo:[0,1] neg_hi:[0,1]
	s_wait_dscnt 0x0
	v_dual_mul_f32 v80, v77, v67 :: v_dual_mul_f32 v82, v77, v68
	s_delay_alu instid0(VALU_DEP_1) | instskip(NEXT) | instid1(VALU_DEP_2)
	v_pk_fma_f32 v[80:81], v[76:77], v[12:13], v[80:81] op_sel_hi:[1,1,0] neg_lo:[0,0,1] neg_hi:[0,0,1]
	v_pk_fma_f32 v[76:77], v[76:77], v[12:13], v[82:83] op_sel:[1,0,0] op_sel_hi:[0,1,0]
	s_delay_alu instid0(VALU_DEP_1) | instskip(SKIP_1) | instid1(VALU_DEP_2)
	v_mov_b32_e32 v81, v77
	v_pk_mul_f32 v[76:77], v[78:79], v[66:67] op_sel:[0,1]
	v_pk_add_f32 v[52:53], v[52:53], v[80:81] neg_lo:[0,1] neg_hi:[0,1]
	s_delay_alu instid0(VALU_DEP_2) | instskip(SKIP_1) | instid1(VALU_DEP_1)
	v_pk_fma_f32 v[80:81], v[78:79], v[68:69], v[76:77] op_sel:[0,0,1] op_sel_hi:[1,1,0] neg_lo:[0,0,1] neg_hi:[0,0,1]
	v_pk_fma_f32 v[76:77], v[78:79], v[68:69], v[76:77] op_sel:[0,0,1] op_sel_hi:[1,0,0]
	v_mov_b32_e32 v81, v77
	ds_load_2addr_b64 v[76:79], v70 offset0:22 offset1:23
	v_pk_add_f32 v[28:29], v[28:29], v[80:81] neg_lo:[0,1] neg_hi:[0,1]
	s_wait_dscnt 0x0
	v_pk_mul_f32 v[80:81], v[76:77], v[66:67] op_sel:[0,1]
	s_delay_alu instid0(VALU_DEP_1) | instskip(SKIP_1) | instid1(VALU_DEP_1)
	v_pk_fma_f32 v[82:83], v[76:77], v[68:69], v[80:81] op_sel:[0,0,1] op_sel_hi:[1,1,0] neg_lo:[0,0,1] neg_hi:[0,0,1]
	v_pk_fma_f32 v[76:77], v[76:77], v[68:69], v[80:81] op_sel:[0,0,1] op_sel_hi:[1,0,0]
	v_mov_b32_e32 v83, v77
	v_pk_mul_f32 v[76:77], v[78:79], v[66:67] op_sel:[0,1]
	s_delay_alu instid0(VALU_DEP_2) | instskip(NEXT) | instid1(VALU_DEP_2)
	v_pk_add_f32 v[30:31], v[30:31], v[82:83] neg_lo:[0,1] neg_hi:[0,1]
	v_pk_fma_f32 v[80:81], v[78:79], v[68:69], v[76:77] op_sel:[0,0,1] op_sel_hi:[1,1,0] neg_lo:[0,0,1] neg_hi:[0,0,1]
	v_pk_fma_f32 v[76:77], v[78:79], v[68:69], v[76:77] op_sel:[0,0,1] op_sel_hi:[1,0,0]
	s_delay_alu instid0(VALU_DEP_1) | instskip(SKIP_4) | instid1(VALU_DEP_1)
	v_mov_b32_e32 v81, v77
	ds_load_2addr_b64 v[76:79], v70 offset0:24 offset1:25
	v_pk_add_f32 v[26:27], v[26:27], v[80:81] neg_lo:[0,1] neg_hi:[0,1]
	s_wait_dscnt 0x0
	v_pk_mul_f32 v[80:81], v[76:77], v[66:67] op_sel:[0,1]
	v_pk_fma_f32 v[82:83], v[76:77], v[68:69], v[80:81] op_sel:[0,0,1] op_sel_hi:[1,1,0] neg_lo:[0,0,1] neg_hi:[0,0,1]
	v_pk_fma_f32 v[76:77], v[76:77], v[68:69], v[80:81] op_sel:[0,0,1] op_sel_hi:[1,0,0]
	v_dual_mul_f32 v80, v79, v67 :: v_dual_mov_b32 v76, v79
	s_delay_alu instid0(VALU_DEP_2) | instskip(NEXT) | instid1(VALU_DEP_2)
	v_dual_mov_b32 v83, v77 :: v_dual_mov_b32 v77, v78
	v_pk_fma_f32 v[80:81], v[78:79], v[12:13], v[80:81] op_sel_hi:[1,1,0] neg_lo:[0,0,1] neg_hi:[0,0,1]
	v_mul_f32_e32 v78, v79, v68
	s_delay_alu instid0(VALU_DEP_3) | instskip(NEXT) | instid1(VALU_DEP_2)
	v_pk_add_f32 v[44:45], v[44:45], v[82:83] neg_lo:[0,1] neg_hi:[0,1]
	v_pk_fma_f32 v[76:77], v[76:77], v[12:13], v[78:79] op_sel_hi:[1,1,0]
	s_delay_alu instid0(VALU_DEP_1) | instskip(SKIP_4) | instid1(VALU_DEP_1)
	v_mov_b32_e32 v81, v77
	ds_load_2addr_b64 v[76:79], v70 offset0:26 offset1:27
	v_pk_add_f32 v[24:25], v[24:25], v[80:81] neg_lo:[0,1] neg_hi:[0,1]
	s_wait_dscnt 0x0
	v_pk_mul_f32 v[80:81], v[76:77], v[66:67] op_sel:[0,1]
	v_pk_fma_f32 v[82:83], v[76:77], v[68:69], v[80:81] op_sel:[0,0,1] op_sel_hi:[1,1,0] neg_lo:[0,0,1] neg_hi:[0,0,1]
	v_pk_fma_f32 v[76:77], v[76:77], v[68:69], v[80:81] op_sel:[0,0,1] op_sel_hi:[1,0,0]
	s_delay_alu instid0(VALU_DEP_1) | instskip(SKIP_1) | instid1(VALU_DEP_1)
	v_mov_b32_e32 v83, v77
	v_pk_mul_f32 v[76:77], v[78:79], v[66:67] op_sel:[0,1]
	v_pk_fma_f32 v[80:81], v[78:79], v[68:69], v[76:77] op_sel:[0,0,1] op_sel_hi:[1,1,0] neg_lo:[0,0,1] neg_hi:[0,0,1]
	v_pk_fma_f32 v[76:77], v[78:79], v[68:69], v[76:77] op_sel:[0,0,1] op_sel_hi:[1,0,0]
	s_delay_alu instid0(VALU_DEP_1)
	v_mov_b32_e32 v81, v77
	ds_load_2addr_b64 v[76:79], v70 offset0:28 offset1:29
	v_pk_add_f32 v[42:43], v[42:43], v[82:83] neg_lo:[0,1] neg_hi:[0,1]
	v_pk_add_f32 v[40:41], v[40:41], v[80:81] neg_lo:[0,1] neg_hi:[0,1]
	s_wait_dscnt 0x0
	v_pk_mul_f32 v[80:81], v[76:77], v[66:67] op_sel:[0,1]
	v_mul_f32_e32 v66, v79, v67
	s_delay_alu instid0(VALU_DEP_2) | instskip(SKIP_2) | instid1(VALU_DEP_4)
	v_pk_fma_f32 v[82:83], v[76:77], v[68:69], v[80:81] op_sel:[0,0,1] op_sel_hi:[1,1,0] neg_lo:[0,0,1] neg_hi:[0,0,1]
	v_pk_fma_f32 v[76:77], v[76:77], v[68:69], v[80:81] op_sel:[0,0,1] op_sel_hi:[1,0,0]
	v_dual_mov_b32 v76, v79 :: v_dual_mul_f32 v68, v79, v68
	v_pk_fma_f32 v[66:67], v[78:79], v[12:13], v[66:67] op_sel_hi:[1,1,0] neg_lo:[0,0,1] neg_hi:[0,0,1]
	s_delay_alu instid0(VALU_DEP_3) | instskip(NEXT) | instid1(VALU_DEP_1)
	v_dual_mov_b32 v83, v77 :: v_dual_mov_b32 v77, v78
	v_pk_add_f32 v[32:33], v[32:33], v[82:83] neg_lo:[0,1] neg_hi:[0,1]
	s_delay_alu instid0(VALU_DEP_2) | instskip(NEXT) | instid1(VALU_DEP_1)
	v_pk_fma_f32 v[68:69], v[76:77], v[12:13], v[68:69] op_sel_hi:[1,1,0]
	v_mov_b32_e32 v67, v69
	s_delay_alu instid0(VALU_DEP_1)
	v_pk_add_f32 v[64:65], v[64:65], v[66:67] neg_lo:[0,1] neg_hi:[0,1]
.LBB58_251:
	s_or_b32 exec_lo, exec_lo, s0
	v_lshl_add_u32 v66, v74, 3, v70
	s_barrier_signal -1
	s_barrier_wait -1
	ds_store_b64 v66, v[50:51]
	s_wait_dscnt 0x0
	s_barrier_signal -1
	s_barrier_wait -1
	ds_load_b64 v[66:67], v70 offset:96
	v_mov_b32_e32 v68, 12
	s_cmp_lt_i32 s18, 14
	s_cbranch_scc1 .LBB58_254
; %bb.252:
	v_add3_u32 v69, v71, 0, 0x68
	v_mov_b32_e32 v68, 12
	s_mov_b32 s0, 13
.LBB58_253:                             ; =>This Inner Loop Header: Depth=1
	ds_load_b64 v[76:77], v69
	s_wait_dscnt 0x1
	v_cmp_gt_f32_e32 vcc_lo, 0, v66
	v_cndmask_b32_e64 v78, v66, -v66, vcc_lo
	v_cmp_gt_f32_e32 vcc_lo, 0, v67
	v_cndmask_b32_e64 v80, v67, -v67, vcc_lo
	s_wait_dscnt 0x0
	v_cmp_gt_f32_e32 vcc_lo, 0, v76
	v_cndmask_b32_e64 v79, v76, -v76, vcc_lo
	v_cmp_gt_f32_e32 vcc_lo, 0, v77
	v_cndmask_b32_e64 v81, v77, -v77, vcc_lo
	s_delay_alu instid0(VALU_DEP_1) | instskip(NEXT) | instid1(VALU_DEP_1)
	v_pk_add_f32 v[78:79], v[78:79], v[80:81]
	v_cmp_lt_f32_e32 vcc_lo, v78, v79
	v_dual_cndmask_b32 v66, v66, v76 :: v_dual_add_nc_u32 v69, 8, v69
	v_cndmask_b32_e32 v67, v67, v77, vcc_lo
	v_cndmask_b32_e64 v68, v68, s0, vcc_lo
	s_add_co_i32 s0, s0, 1
	s_delay_alu instid0(SALU_CYCLE_1)
	s_cmp_lg_u32 s18, s0
	s_cbranch_scc1 .LBB58_253
.LBB58_254:
	s_wait_dscnt 0x0
	v_cmp_eq_f32_e32 vcc_lo, 0, v66
	v_cmp_eq_f32_e64 s0, 0, v67
	s_and_b32 s0, vcc_lo, s0
	s_delay_alu instid0(SALU_CYCLE_1) | instskip(NEXT) | instid1(SALU_CYCLE_1)
	s_and_saveexec_b32 s1, s0
	s_xor_b32 s0, exec_lo, s1
; %bb.255:
	v_cmp_ne_u32_e32 vcc_lo, 0, v72
	v_cndmask_b32_e32 v72, 13, v72, vcc_lo
; %bb.256:
	s_and_not1_saveexec_b32 s0, s0
	s_cbranch_execz .LBB58_262
; %bb.257:
	v_cmp_ngt_f32_e64 s1, |v66|, |v67|
	s_and_saveexec_b32 s12, s1
	s_delay_alu instid0(SALU_CYCLE_1)
	s_xor_b32 s1, exec_lo, s12
	s_cbranch_execz .LBB58_259
; %bb.258:
	v_div_scale_f32 v69, null, v67, v67, v66
	v_div_scale_f32 v77, vcc_lo, v66, v67, v66
	s_delay_alu instid0(VALU_DEP_2) | instskip(SKIP_1) | instid1(TRANS32_DEP_1)
	v_rcp_f32_e32 v75, v69
	v_nop
	v_fma_f32 v76, -v69, v75, 1.0
	s_delay_alu instid0(VALU_DEP_1) | instskip(NEXT) | instid1(VALU_DEP_1)
	v_fmac_f32_e32 v75, v76, v75
	v_mul_f32_e32 v76, v77, v75
	s_delay_alu instid0(VALU_DEP_1) | instskip(NEXT) | instid1(VALU_DEP_1)
	v_fma_f32 v78, -v69, v76, v77
	v_fmac_f32_e32 v76, v78, v75
	s_delay_alu instid0(VALU_DEP_1) | instskip(NEXT) | instid1(VALU_DEP_1)
	v_fma_f32 v69, -v69, v76, v77
	v_div_fmas_f32 v69, v69, v75, v76
	s_delay_alu instid0(VALU_DEP_1) | instskip(NEXT) | instid1(VALU_DEP_1)
	v_div_fixup_f32 v69, v69, v67, v66
	v_fmac_f32_e32 v67, v66, v69
	s_delay_alu instid0(VALU_DEP_1) | instskip(SKIP_1) | instid1(VALU_DEP_2)
	v_div_scale_f32 v66, null, v67, v67, 1.0
	v_div_scale_f32 v77, vcc_lo, 1.0, v67, 1.0
	v_rcp_f32_e32 v75, v66
	v_nop
	s_delay_alu instid0(TRANS32_DEP_1) | instskip(NEXT) | instid1(VALU_DEP_1)
	v_fma_f32 v76, -v66, v75, 1.0
	v_fmac_f32_e32 v75, v76, v75
	s_delay_alu instid0(VALU_DEP_1) | instskip(NEXT) | instid1(VALU_DEP_1)
	v_mul_f32_e32 v76, v77, v75
	v_fma_f32 v78, -v66, v76, v77
	s_delay_alu instid0(VALU_DEP_1) | instskip(NEXT) | instid1(VALU_DEP_1)
	v_fmac_f32_e32 v76, v78, v75
	v_fma_f32 v66, -v66, v76, v77
	s_delay_alu instid0(VALU_DEP_1) | instskip(NEXT) | instid1(VALU_DEP_1)
	v_div_fmas_f32 v66, v66, v75, v76
	v_div_fixup_f32 v67, v66, v67, 1.0
	s_delay_alu instid0(VALU_DEP_1)
	v_mul_f32_e32 v66, v69, v67
	v_xor_b32_e32 v67, 0x80000000, v67
.LBB58_259:
	s_and_not1_saveexec_b32 s1, s1
	s_cbranch_execz .LBB58_261
; %bb.260:
	s_delay_alu instid0(VALU_DEP_1) | instskip(SKIP_1) | instid1(VALU_DEP_2)
	v_div_scale_f32 v69, null, v66, v66, v67
	v_div_scale_f32 v77, vcc_lo, v67, v66, v67
	v_rcp_f32_e32 v75, v69
	v_nop
	s_delay_alu instid0(TRANS32_DEP_1) | instskip(NEXT) | instid1(VALU_DEP_1)
	v_fma_f32 v76, -v69, v75, 1.0
	v_fmac_f32_e32 v75, v76, v75
	s_delay_alu instid0(VALU_DEP_1) | instskip(NEXT) | instid1(VALU_DEP_1)
	v_mul_f32_e32 v76, v77, v75
	v_fma_f32 v78, -v69, v76, v77
	s_delay_alu instid0(VALU_DEP_1) | instskip(NEXT) | instid1(VALU_DEP_1)
	v_fmac_f32_e32 v76, v78, v75
	v_fma_f32 v69, -v69, v76, v77
	s_delay_alu instid0(VALU_DEP_1) | instskip(NEXT) | instid1(VALU_DEP_1)
	v_div_fmas_f32 v69, v69, v75, v76
	v_div_fixup_f32 v69, v69, v66, v67
	s_delay_alu instid0(VALU_DEP_1) | instskip(NEXT) | instid1(VALU_DEP_1)
	v_fmac_f32_e32 v66, v67, v69
	v_div_scale_f32 v67, null, v66, v66, 1.0
	s_delay_alu instid0(VALU_DEP_1) | instskip(SKIP_1) | instid1(TRANS32_DEP_1)
	v_rcp_f32_e32 v75, v67
	v_nop
	v_fma_f32 v76, -v67, v75, 1.0
	s_delay_alu instid0(VALU_DEP_1) | instskip(SKIP_1) | instid1(VALU_DEP_1)
	v_fmac_f32_e32 v75, v76, v75
	v_div_scale_f32 v76, vcc_lo, 1.0, v66, 1.0
	v_mul_f32_e32 v77, v76, v75
	s_delay_alu instid0(VALU_DEP_1) | instskip(NEXT) | instid1(VALU_DEP_1)
	v_fma_f32 v78, -v67, v77, v76
	v_fmac_f32_e32 v77, v78, v75
	s_delay_alu instid0(VALU_DEP_1) | instskip(NEXT) | instid1(VALU_DEP_1)
	v_fma_f32 v67, -v67, v77, v76
	v_div_fmas_f32 v67, v67, v75, v77
	s_delay_alu instid0(VALU_DEP_1) | instskip(NEXT) | instid1(VALU_DEP_1)
	v_div_fixup_f32 v66, v67, v66, 1.0
	v_mul_f32_e64 v67, v69, -v66
.LBB58_261:
	s_or_b32 exec_lo, exec_lo, s1
.LBB58_262:
	s_delay_alu instid0(SALU_CYCLE_1) | instskip(NEXT) | instid1(SALU_CYCLE_1)
	s_or_b32 exec_lo, exec_lo, s0
	s_mov_b32 s0, exec_lo
	v_cmpx_ne_u32_e64 v74, v68
	s_xor_b32 s0, exec_lo, s0
	s_cbranch_execz .LBB58_268
; %bb.263:
	s_mov_b32 s1, exec_lo
	v_cmpx_eq_u32_e32 12, v74
	s_cbranch_execz .LBB58_267
; %bb.264:
	v_cmp_ne_u32_e32 vcc_lo, 12, v68
	s_xor_b32 s12, s16, -1
	s_delay_alu instid0(SALU_CYCLE_1) | instskip(NEXT) | instid1(SALU_CYCLE_1)
	s_and_b32 s13, s12, vcc_lo
	s_and_saveexec_b32 s12, s13
	s_cbranch_execz .LBB58_266
; %bb.265:
	v_ashrrev_i32_e32 v69, 31, v68
	s_delay_alu instid0(VALU_DEP_1)
	v_lshl_add_u64 v[74:75], v[68:69], 2, v[4:5]
	s_clause 0x1
	global_load_b32 v69, v[74:75], off
	global_load_b32 v73, v[4:5], off offset:48
	s_wait_loadcnt 0x1
	global_store_b32 v[4:5], v69, off offset:48
	s_wait_loadcnt 0x0
	global_store_b32 v[74:75], v73, off
.LBB58_266:
	s_wait_xcnt 0x0
	s_or_b32 exec_lo, exec_lo, s12
	v_dual_mov_b32 v74, v68 :: v_dual_mov_b32 v73, v68
.LBB58_267:
	s_or_b32 exec_lo, exec_lo, s1
.LBB58_268:
	s_and_not1_saveexec_b32 s0, s0
	s_cbranch_execz .LBB58_270
; %bb.269:
	v_mov_b32_e32 v74, 12
	ds_store_2addr_b64 v70, v[20:21], v[22:23] offset0:13 offset1:14
	ds_store_2addr_b64 v70, v[18:19], v[54:55] offset0:15 offset1:16
	;; [unrolled: 1-line block ×8, first 2 shown]
	ds_store_b64 v70, v[64:65] offset:232
.LBB58_270:
	s_or_b32 exec_lo, exec_lo, s0
	s_delay_alu instid0(SALU_CYCLE_1)
	s_mov_b32 s0, exec_lo
	s_wait_storecnt_dscnt 0x0
	s_barrier_signal -1
	s_barrier_wait -1
	v_cmpx_lt_i32_e32 12, v74
	s_cbranch_execz .LBB58_272
; %bb.271:
	v_pk_mul_f32 v[76:77], v[66:67], v[50:51] op_sel:[1,1] op_sel_hi:[0,1]
	s_delay_alu instid0(VALU_DEP_1)
	v_pk_fma_f32 v[68:69], v[66:67], v[50:51], v[76:77] op_sel_hi:[1,0,1] neg_lo:[0,0,1] neg_hi:[0,0,1]
	v_pk_fma_f32 v[66:67], v[66:67], v[50:51], v[76:77] op_sel_hi:[1,0,1]
	ds_load_2addr_b64 v[76:79], v70 offset0:13 offset1:14
	v_dual_mov_b32 v50, v68 :: v_dual_mov_b32 v51, v67
	s_wait_dscnt 0x0
	v_pk_mul_f32 v[80:81], v[76:77], v[66:67] op_sel:[0,1]
	s_delay_alu instid0(VALU_DEP_1) | instskip(SKIP_1) | instid1(VALU_DEP_1)
	v_pk_fma_f32 v[82:83], v[76:77], v[68:69], v[80:81] op_sel:[0,0,1] op_sel_hi:[1,1,0] neg_lo:[0,0,1] neg_hi:[0,0,1]
	v_pk_fma_f32 v[76:77], v[76:77], v[68:69], v[80:81] op_sel:[0,0,1] op_sel_hi:[1,0,0]
	v_mov_b32_e32 v83, v77
	v_pk_mul_f32 v[76:77], v[78:79], v[66:67] op_sel:[0,1]
	s_delay_alu instid0(VALU_DEP_1) | instskip(SKIP_1) | instid1(VALU_DEP_1)
	v_pk_fma_f32 v[80:81], v[78:79], v[68:69], v[76:77] op_sel:[0,0,1] op_sel_hi:[1,1,0] neg_lo:[0,0,1] neg_hi:[0,0,1]
	v_pk_fma_f32 v[76:77], v[78:79], v[68:69], v[76:77] op_sel:[0,0,1] op_sel_hi:[1,0,0]
	v_mov_b32_e32 v81, v77
	ds_load_2addr_b64 v[76:79], v70 offset0:15 offset1:16
	v_pk_add_f32 v[20:21], v[20:21], v[82:83] neg_lo:[0,1] neg_hi:[0,1]
	v_pk_add_f32 v[22:23], v[22:23], v[80:81] neg_lo:[0,1] neg_hi:[0,1]
	s_wait_dscnt 0x0
	v_pk_mul_f32 v[80:81], v[76:77], v[66:67] op_sel:[0,1]
	s_delay_alu instid0(VALU_DEP_1) | instskip(SKIP_2) | instid1(VALU_DEP_2)
	v_pk_fma_f32 v[82:83], v[76:77], v[68:69], v[80:81] op_sel:[0,0,1] op_sel_hi:[1,1,0] neg_lo:[0,0,1] neg_hi:[0,0,1]
	v_pk_fma_f32 v[76:77], v[76:77], v[68:69], v[80:81] op_sel:[0,0,1] op_sel_hi:[1,0,0]
	v_dual_mul_f32 v80, v79, v67 :: v_dual_mov_b32 v76, v79
	v_dual_mov_b32 v83, v77 :: v_dual_mov_b32 v77, v78
	s_delay_alu instid0(VALU_DEP_2) | instskip(SKIP_1) | instid1(VALU_DEP_3)
	v_pk_fma_f32 v[80:81], v[78:79], v[50:51], v[80:81] op_sel_hi:[1,1,0] neg_lo:[0,0,1] neg_hi:[0,0,1]
	v_mul_f32_e32 v78, v79, v68
	v_pk_add_f32 v[18:19], v[18:19], v[82:83] neg_lo:[0,1] neg_hi:[0,1]
	s_delay_alu instid0(VALU_DEP_2) | instskip(NEXT) | instid1(VALU_DEP_1)
	v_pk_fma_f32 v[76:77], v[76:77], v[50:51], v[78:79] op_sel_hi:[1,1,0]
	v_mov_b32_e32 v81, v77
	ds_load_2addr_b64 v[76:79], v70 offset0:17 offset1:18
	v_pk_add_f32 v[54:55], v[54:55], v[80:81] neg_lo:[0,1] neg_hi:[0,1]
	s_wait_dscnt 0x0
	v_pk_mul_f32 v[80:81], v[76:77], v[66:67] op_sel:[0,1]
	s_delay_alu instid0(VALU_DEP_1) | instskip(SKIP_1) | instid1(VALU_DEP_1)
	v_pk_fma_f32 v[82:83], v[76:77], v[68:69], v[80:81] op_sel:[0,0,1] op_sel_hi:[1,1,0] neg_lo:[0,0,1] neg_hi:[0,0,1]
	v_pk_fma_f32 v[76:77], v[76:77], v[68:69], v[80:81] op_sel:[0,0,1] op_sel_hi:[1,0,0]
	v_mov_b32_e32 v83, v77
	v_pk_mul_f32 v[76:77], v[78:79], v[66:67] op_sel:[0,1]
	s_delay_alu instid0(VALU_DEP_1) | instskip(SKIP_1) | instid1(VALU_DEP_1)
	v_pk_fma_f32 v[80:81], v[78:79], v[68:69], v[76:77] op_sel:[0,0,1] op_sel_hi:[1,1,0] neg_lo:[0,0,1] neg_hi:[0,0,1]
	v_pk_fma_f32 v[76:77], v[78:79], v[68:69], v[76:77] op_sel:[0,0,1] op_sel_hi:[1,0,0]
	v_mov_b32_e32 v81, v77
	ds_load_2addr_b64 v[76:79], v70 offset0:19 offset1:20
	v_pk_add_f32 v[36:37], v[36:37], v[82:83] neg_lo:[0,1] neg_hi:[0,1]
	v_pk_add_f32 v[38:39], v[38:39], v[80:81] neg_lo:[0,1] neg_hi:[0,1]
	s_wait_dscnt 0x0
	v_pk_mul_f32 v[80:81], v[76:77], v[66:67] op_sel:[0,1]
	s_delay_alu instid0(VALU_DEP_1) | instskip(SKIP_1) | instid1(VALU_DEP_1)
	v_pk_fma_f32 v[82:83], v[76:77], v[68:69], v[80:81] op_sel:[0,0,1] op_sel_hi:[1,1,0] neg_lo:[0,0,1] neg_hi:[0,0,1]
	v_pk_fma_f32 v[76:77], v[76:77], v[68:69], v[80:81] op_sel:[0,0,1] op_sel_hi:[1,0,0]
	v_mov_b32_e32 v83, v77
	v_pk_mul_f32 v[76:77], v[78:79], v[66:67] op_sel:[0,1]
	s_delay_alu instid0(VALU_DEP_1) | instskip(SKIP_1) | instid1(VALU_DEP_1)
	v_pk_fma_f32 v[80:81], v[78:79], v[68:69], v[76:77] op_sel:[0,0,1] op_sel_hi:[1,1,0] neg_lo:[0,0,1] neg_hi:[0,0,1]
	v_pk_fma_f32 v[76:77], v[78:79], v[68:69], v[76:77] op_sel:[0,0,1] op_sel_hi:[1,0,0]
	v_mov_b32_e32 v81, v77
	ds_load_2addr_b64 v[76:79], v70 offset0:21 offset1:22
	v_pk_add_f32 v[34:35], v[34:35], v[82:83] neg_lo:[0,1] neg_hi:[0,1]
	v_pk_add_f32 v[52:53], v[52:53], v[80:81] neg_lo:[0,1] neg_hi:[0,1]
	s_wait_dscnt 0x0
	v_dual_mul_f32 v80, v77, v67 :: v_dual_mul_f32 v82, v77, v68
	s_delay_alu instid0(VALU_DEP_1) | instskip(NEXT) | instid1(VALU_DEP_2)
	v_pk_fma_f32 v[80:81], v[76:77], v[50:51], v[80:81] op_sel_hi:[1,1,0] neg_lo:[0,0,1] neg_hi:[0,0,1]
	v_pk_fma_f32 v[76:77], v[76:77], v[50:51], v[82:83] op_sel:[1,0,0] op_sel_hi:[0,1,0]
	s_delay_alu instid0(VALU_DEP_1) | instskip(SKIP_1) | instid1(VALU_DEP_2)
	v_mov_b32_e32 v81, v77
	v_pk_mul_f32 v[76:77], v[78:79], v[66:67] op_sel:[0,1]
	v_pk_add_f32 v[28:29], v[28:29], v[80:81] neg_lo:[0,1] neg_hi:[0,1]
	s_delay_alu instid0(VALU_DEP_2) | instskip(SKIP_1) | instid1(VALU_DEP_1)
	v_pk_fma_f32 v[80:81], v[78:79], v[68:69], v[76:77] op_sel:[0,0,1] op_sel_hi:[1,1,0] neg_lo:[0,0,1] neg_hi:[0,0,1]
	v_pk_fma_f32 v[76:77], v[78:79], v[68:69], v[76:77] op_sel:[0,0,1] op_sel_hi:[1,0,0]
	v_mov_b32_e32 v81, v77
	ds_load_2addr_b64 v[76:79], v70 offset0:23 offset1:24
	v_pk_add_f32 v[30:31], v[30:31], v[80:81] neg_lo:[0,1] neg_hi:[0,1]
	s_wait_dscnt 0x0
	v_pk_mul_f32 v[80:81], v[76:77], v[66:67] op_sel:[0,1]
	s_delay_alu instid0(VALU_DEP_1) | instskip(SKIP_1) | instid1(VALU_DEP_1)
	v_pk_fma_f32 v[82:83], v[76:77], v[68:69], v[80:81] op_sel:[0,0,1] op_sel_hi:[1,1,0] neg_lo:[0,0,1] neg_hi:[0,0,1]
	v_pk_fma_f32 v[76:77], v[76:77], v[68:69], v[80:81] op_sel:[0,0,1] op_sel_hi:[1,0,0]
	v_mov_b32_e32 v83, v77
	v_pk_mul_f32 v[76:77], v[78:79], v[66:67] op_sel:[0,1]
	s_delay_alu instid0(VALU_DEP_2) | instskip(NEXT) | instid1(VALU_DEP_2)
	v_pk_add_f32 v[26:27], v[26:27], v[82:83] neg_lo:[0,1] neg_hi:[0,1]
	v_pk_fma_f32 v[80:81], v[78:79], v[68:69], v[76:77] op_sel:[0,0,1] op_sel_hi:[1,1,0] neg_lo:[0,0,1] neg_hi:[0,0,1]
	v_pk_fma_f32 v[76:77], v[78:79], v[68:69], v[76:77] op_sel:[0,0,1] op_sel_hi:[1,0,0]
	s_delay_alu instid0(VALU_DEP_1) | instskip(SKIP_4) | instid1(VALU_DEP_1)
	v_mov_b32_e32 v81, v77
	ds_load_2addr_b64 v[76:79], v70 offset0:25 offset1:26
	v_pk_add_f32 v[44:45], v[44:45], v[80:81] neg_lo:[0,1] neg_hi:[0,1]
	s_wait_dscnt 0x0
	v_pk_mul_f32 v[80:81], v[76:77], v[66:67] op_sel:[0,1]
	v_pk_fma_f32 v[82:83], v[76:77], v[68:69], v[80:81] op_sel:[0,0,1] op_sel_hi:[1,1,0] neg_lo:[0,0,1] neg_hi:[0,0,1]
	v_pk_fma_f32 v[76:77], v[76:77], v[68:69], v[80:81] op_sel:[0,0,1] op_sel_hi:[1,0,0]
	v_dual_mul_f32 v80, v79, v67 :: v_dual_mov_b32 v76, v79
	s_delay_alu instid0(VALU_DEP_2) | instskip(NEXT) | instid1(VALU_DEP_2)
	v_dual_mov_b32 v83, v77 :: v_dual_mov_b32 v77, v78
	v_pk_fma_f32 v[80:81], v[78:79], v[50:51], v[80:81] op_sel_hi:[1,1,0] neg_lo:[0,0,1] neg_hi:[0,0,1]
	v_mul_f32_e32 v78, v79, v68
	s_delay_alu instid0(VALU_DEP_3) | instskip(NEXT) | instid1(VALU_DEP_2)
	v_pk_add_f32 v[24:25], v[24:25], v[82:83] neg_lo:[0,1] neg_hi:[0,1]
	v_pk_fma_f32 v[76:77], v[76:77], v[50:51], v[78:79] op_sel_hi:[1,1,0]
	s_delay_alu instid0(VALU_DEP_1) | instskip(SKIP_4) | instid1(VALU_DEP_1)
	v_mov_b32_e32 v81, v77
	ds_load_2addr_b64 v[76:79], v70 offset0:27 offset1:28
	v_pk_add_f32 v[42:43], v[42:43], v[80:81] neg_lo:[0,1] neg_hi:[0,1]
	s_wait_dscnt 0x0
	v_pk_mul_f32 v[80:81], v[76:77], v[66:67] op_sel:[0,1]
	v_pk_fma_f32 v[82:83], v[76:77], v[68:69], v[80:81] op_sel:[0,0,1] op_sel_hi:[1,1,0] neg_lo:[0,0,1] neg_hi:[0,0,1]
	v_pk_fma_f32 v[76:77], v[76:77], v[68:69], v[80:81] op_sel:[0,0,1] op_sel_hi:[1,0,0]
	s_delay_alu instid0(VALU_DEP_1) | instskip(SKIP_1) | instid1(VALU_DEP_1)
	v_mov_b32_e32 v83, v77
	v_pk_mul_f32 v[76:77], v[78:79], v[66:67] op_sel:[0,1]
	v_pk_fma_f32 v[80:81], v[78:79], v[68:69], v[76:77] op_sel:[0,0,1] op_sel_hi:[1,1,0] neg_lo:[0,0,1] neg_hi:[0,0,1]
	v_pk_fma_f32 v[76:77], v[78:79], v[68:69], v[76:77] op_sel:[0,0,1] op_sel_hi:[1,0,0]
	s_delay_alu instid0(VALU_DEP_1)
	v_mov_b32_e32 v81, v77
	ds_load_b64 v[76:77], v70 offset:232
	v_pk_add_f32 v[40:41], v[40:41], v[82:83] neg_lo:[0,1] neg_hi:[0,1]
	v_pk_add_f32 v[32:33], v[32:33], v[80:81] neg_lo:[0,1] neg_hi:[0,1]
	s_wait_dscnt 0x0
	v_pk_mul_f32 v[66:67], v[76:77], v[66:67] op_sel:[0,1]
	s_delay_alu instid0(VALU_DEP_1) | instskip(SKIP_1) | instid1(VALU_DEP_1)
	v_pk_fma_f32 v[78:79], v[76:77], v[68:69], v[66:67] op_sel:[0,0,1] op_sel_hi:[1,1,0] neg_lo:[0,0,1] neg_hi:[0,0,1]
	v_pk_fma_f32 v[66:67], v[76:77], v[68:69], v[66:67] op_sel:[0,0,1] op_sel_hi:[1,0,0]
	v_mov_b32_e32 v79, v67
	s_delay_alu instid0(VALU_DEP_1)
	v_pk_add_f32 v[64:65], v[64:65], v[78:79] neg_lo:[0,1] neg_hi:[0,1]
.LBB58_272:
	s_or_b32 exec_lo, exec_lo, s0
	v_lshl_add_u32 v66, v74, 3, v70
	s_barrier_signal -1
	s_barrier_wait -1
	ds_store_b64 v66, v[20:21]
	s_wait_dscnt 0x0
	s_barrier_signal -1
	s_barrier_wait -1
	ds_load_b64 v[66:67], v70 offset:104
	v_mov_b32_e32 v68, 13
	s_cmp_lt_i32 s18, 15
	s_cbranch_scc1 .LBB58_275
; %bb.273:
	v_add3_u32 v69, v71, 0, 0x70
	v_mov_b32_e32 v68, 13
	s_mov_b32 s0, 14
.LBB58_274:                             ; =>This Inner Loop Header: Depth=1
	ds_load_b64 v[76:77], v69
	s_wait_dscnt 0x1
	v_cmp_gt_f32_e32 vcc_lo, 0, v66
	v_cndmask_b32_e64 v78, v66, -v66, vcc_lo
	v_cmp_gt_f32_e32 vcc_lo, 0, v67
	v_cndmask_b32_e64 v80, v67, -v67, vcc_lo
	s_wait_dscnt 0x0
	v_cmp_gt_f32_e32 vcc_lo, 0, v76
	v_cndmask_b32_e64 v79, v76, -v76, vcc_lo
	v_cmp_gt_f32_e32 vcc_lo, 0, v77
	v_cndmask_b32_e64 v81, v77, -v77, vcc_lo
	s_delay_alu instid0(VALU_DEP_1) | instskip(NEXT) | instid1(VALU_DEP_1)
	v_pk_add_f32 v[78:79], v[78:79], v[80:81]
	v_cmp_lt_f32_e32 vcc_lo, v78, v79
	v_dual_cndmask_b32 v66, v66, v76 :: v_dual_add_nc_u32 v69, 8, v69
	v_cndmask_b32_e32 v67, v67, v77, vcc_lo
	v_cndmask_b32_e64 v68, v68, s0, vcc_lo
	s_add_co_i32 s0, s0, 1
	s_delay_alu instid0(SALU_CYCLE_1)
	s_cmp_lg_u32 s18, s0
	s_cbranch_scc1 .LBB58_274
.LBB58_275:
	s_wait_dscnt 0x0
	v_cmp_eq_f32_e32 vcc_lo, 0, v66
	v_cmp_eq_f32_e64 s0, 0, v67
	s_and_b32 s0, vcc_lo, s0
	s_delay_alu instid0(SALU_CYCLE_1) | instskip(NEXT) | instid1(SALU_CYCLE_1)
	s_and_saveexec_b32 s1, s0
	s_xor_b32 s0, exec_lo, s1
; %bb.276:
	v_cmp_ne_u32_e32 vcc_lo, 0, v72
	v_cndmask_b32_e32 v72, 14, v72, vcc_lo
; %bb.277:
	s_and_not1_saveexec_b32 s0, s0
	s_cbranch_execz .LBB58_283
; %bb.278:
	v_cmp_ngt_f32_e64 s1, |v66|, |v67|
	s_and_saveexec_b32 s12, s1
	s_delay_alu instid0(SALU_CYCLE_1)
	s_xor_b32 s1, exec_lo, s12
	s_cbranch_execz .LBB58_280
; %bb.279:
	v_div_scale_f32 v69, null, v67, v67, v66
	v_div_scale_f32 v77, vcc_lo, v66, v67, v66
	s_delay_alu instid0(VALU_DEP_2) | instskip(SKIP_1) | instid1(TRANS32_DEP_1)
	v_rcp_f32_e32 v75, v69
	v_nop
	v_fma_f32 v76, -v69, v75, 1.0
	s_delay_alu instid0(VALU_DEP_1) | instskip(NEXT) | instid1(VALU_DEP_1)
	v_fmac_f32_e32 v75, v76, v75
	v_mul_f32_e32 v76, v77, v75
	s_delay_alu instid0(VALU_DEP_1) | instskip(NEXT) | instid1(VALU_DEP_1)
	v_fma_f32 v78, -v69, v76, v77
	v_fmac_f32_e32 v76, v78, v75
	s_delay_alu instid0(VALU_DEP_1) | instskip(NEXT) | instid1(VALU_DEP_1)
	v_fma_f32 v69, -v69, v76, v77
	v_div_fmas_f32 v69, v69, v75, v76
	s_delay_alu instid0(VALU_DEP_1) | instskip(NEXT) | instid1(VALU_DEP_1)
	v_div_fixup_f32 v69, v69, v67, v66
	v_fmac_f32_e32 v67, v66, v69
	s_delay_alu instid0(VALU_DEP_1) | instskip(SKIP_1) | instid1(VALU_DEP_2)
	v_div_scale_f32 v66, null, v67, v67, 1.0
	v_div_scale_f32 v77, vcc_lo, 1.0, v67, 1.0
	v_rcp_f32_e32 v75, v66
	v_nop
	s_delay_alu instid0(TRANS32_DEP_1) | instskip(NEXT) | instid1(VALU_DEP_1)
	v_fma_f32 v76, -v66, v75, 1.0
	v_fmac_f32_e32 v75, v76, v75
	s_delay_alu instid0(VALU_DEP_1) | instskip(NEXT) | instid1(VALU_DEP_1)
	v_mul_f32_e32 v76, v77, v75
	v_fma_f32 v78, -v66, v76, v77
	s_delay_alu instid0(VALU_DEP_1) | instskip(NEXT) | instid1(VALU_DEP_1)
	v_fmac_f32_e32 v76, v78, v75
	v_fma_f32 v66, -v66, v76, v77
	s_delay_alu instid0(VALU_DEP_1) | instskip(NEXT) | instid1(VALU_DEP_1)
	v_div_fmas_f32 v66, v66, v75, v76
	v_div_fixup_f32 v67, v66, v67, 1.0
	s_delay_alu instid0(VALU_DEP_1)
	v_mul_f32_e32 v66, v69, v67
	v_xor_b32_e32 v67, 0x80000000, v67
.LBB58_280:
	s_and_not1_saveexec_b32 s1, s1
	s_cbranch_execz .LBB58_282
; %bb.281:
	s_delay_alu instid0(VALU_DEP_1) | instskip(SKIP_1) | instid1(VALU_DEP_2)
	v_div_scale_f32 v69, null, v66, v66, v67
	v_div_scale_f32 v77, vcc_lo, v67, v66, v67
	v_rcp_f32_e32 v75, v69
	v_nop
	s_delay_alu instid0(TRANS32_DEP_1) | instskip(NEXT) | instid1(VALU_DEP_1)
	v_fma_f32 v76, -v69, v75, 1.0
	v_fmac_f32_e32 v75, v76, v75
	s_delay_alu instid0(VALU_DEP_1) | instskip(NEXT) | instid1(VALU_DEP_1)
	v_mul_f32_e32 v76, v77, v75
	v_fma_f32 v78, -v69, v76, v77
	s_delay_alu instid0(VALU_DEP_1) | instskip(NEXT) | instid1(VALU_DEP_1)
	v_fmac_f32_e32 v76, v78, v75
	v_fma_f32 v69, -v69, v76, v77
	s_delay_alu instid0(VALU_DEP_1) | instskip(NEXT) | instid1(VALU_DEP_1)
	v_div_fmas_f32 v69, v69, v75, v76
	v_div_fixup_f32 v69, v69, v66, v67
	s_delay_alu instid0(VALU_DEP_1) | instskip(NEXT) | instid1(VALU_DEP_1)
	v_fmac_f32_e32 v66, v67, v69
	v_div_scale_f32 v67, null, v66, v66, 1.0
	s_delay_alu instid0(VALU_DEP_1) | instskip(SKIP_1) | instid1(TRANS32_DEP_1)
	v_rcp_f32_e32 v75, v67
	v_nop
	v_fma_f32 v76, -v67, v75, 1.0
	s_delay_alu instid0(VALU_DEP_1) | instskip(SKIP_1) | instid1(VALU_DEP_1)
	v_fmac_f32_e32 v75, v76, v75
	v_div_scale_f32 v76, vcc_lo, 1.0, v66, 1.0
	v_mul_f32_e32 v77, v76, v75
	s_delay_alu instid0(VALU_DEP_1) | instskip(NEXT) | instid1(VALU_DEP_1)
	v_fma_f32 v78, -v67, v77, v76
	v_fmac_f32_e32 v77, v78, v75
	s_delay_alu instid0(VALU_DEP_1) | instskip(NEXT) | instid1(VALU_DEP_1)
	v_fma_f32 v67, -v67, v77, v76
	v_div_fmas_f32 v67, v67, v75, v77
	s_delay_alu instid0(VALU_DEP_1) | instskip(NEXT) | instid1(VALU_DEP_1)
	v_div_fixup_f32 v66, v67, v66, 1.0
	v_mul_f32_e64 v67, v69, -v66
.LBB58_282:
	s_or_b32 exec_lo, exec_lo, s1
.LBB58_283:
	s_delay_alu instid0(SALU_CYCLE_1) | instskip(NEXT) | instid1(SALU_CYCLE_1)
	s_or_b32 exec_lo, exec_lo, s0
	s_mov_b32 s0, exec_lo
	v_cmpx_ne_u32_e64 v74, v68
	s_xor_b32 s0, exec_lo, s0
	s_cbranch_execz .LBB58_289
; %bb.284:
	s_mov_b32 s1, exec_lo
	v_cmpx_eq_u32_e32 13, v74
	s_cbranch_execz .LBB58_288
; %bb.285:
	v_cmp_ne_u32_e32 vcc_lo, 13, v68
	s_xor_b32 s12, s16, -1
	s_delay_alu instid0(SALU_CYCLE_1) | instskip(NEXT) | instid1(SALU_CYCLE_1)
	s_and_b32 s13, s12, vcc_lo
	s_and_saveexec_b32 s12, s13
	s_cbranch_execz .LBB58_287
; %bb.286:
	v_ashrrev_i32_e32 v69, 31, v68
	s_delay_alu instid0(VALU_DEP_1)
	v_lshl_add_u64 v[74:75], v[68:69], 2, v[4:5]
	s_clause 0x1
	global_load_b32 v69, v[74:75], off
	global_load_b32 v73, v[4:5], off offset:52
	s_wait_loadcnt 0x1
	global_store_b32 v[4:5], v69, off offset:52
	s_wait_loadcnt 0x0
	global_store_b32 v[74:75], v73, off
.LBB58_287:
	s_wait_xcnt 0x0
	s_or_b32 exec_lo, exec_lo, s12
	v_dual_mov_b32 v74, v68 :: v_dual_mov_b32 v73, v68
.LBB58_288:
	s_or_b32 exec_lo, exec_lo, s1
.LBB58_289:
	s_and_not1_saveexec_b32 s0, s0
	s_cbranch_execz .LBB58_291
; %bb.290:
	v_dual_mov_b32 v68, v22 :: v_dual_mov_b32 v69, v23
	v_dual_mov_b32 v74, v18 :: v_dual_mov_b32 v75, v19
	;; [unrolled: 1-line block ×8, first 2 shown]
	ds_store_2addr_b64 v70, v[68:69], v[74:75] offset0:14 offset1:15
	ds_store_2addr_b64 v70, v[76:77], v[78:79] offset0:16 offset1:17
	;; [unrolled: 1-line block ×4, first 2 shown]
	v_dual_mov_b32 v68, v30 :: v_dual_mov_b32 v69, v31
	v_dual_mov_b32 v76, v26 :: v_dual_mov_b32 v77, v27
	;; [unrolled: 1-line block ×7, first 2 shown]
	v_mov_b32_e32 v87, v33
	ds_store_2addr_b64 v70, v[68:69], v[76:77] offset0:22 offset1:23
	ds_store_2addr_b64 v70, v[78:79], v[80:81] offset0:24 offset1:25
	;; [unrolled: 1-line block ×4, first 2 shown]
.LBB58_291:
	s_or_b32 exec_lo, exec_lo, s0
	s_delay_alu instid0(SALU_CYCLE_1)
	s_mov_b32 s0, exec_lo
	s_wait_storecnt_dscnt 0x0
	s_barrier_signal -1
	s_barrier_wait -1
	v_cmpx_lt_i32_e32 13, v74
	s_cbranch_execz .LBB58_293
; %bb.292:
	v_pk_mul_f32 v[76:77], v[66:67], v[20:21] op_sel:[1,1] op_sel_hi:[0,1]
	s_delay_alu instid0(VALU_DEP_1)
	v_pk_fma_f32 v[68:69], v[66:67], v[20:21], v[76:77] op_sel_hi:[1,0,1] neg_lo:[0,0,1] neg_hi:[0,0,1]
	v_pk_fma_f32 v[66:67], v[66:67], v[20:21], v[76:77] op_sel_hi:[1,0,1]
	ds_load_2addr_b64 v[76:79], v70 offset0:14 offset1:15
	v_dual_mov_b32 v20, v68 :: v_dual_mov_b32 v21, v67
	s_wait_dscnt 0x0
	v_pk_mul_f32 v[80:81], v[76:77], v[66:67] op_sel:[0,1]
	s_delay_alu instid0(VALU_DEP_1) | instskip(SKIP_1) | instid1(VALU_DEP_1)
	v_pk_fma_f32 v[82:83], v[76:77], v[68:69], v[80:81] op_sel:[0,0,1] op_sel_hi:[1,1,0] neg_lo:[0,0,1] neg_hi:[0,0,1]
	v_pk_fma_f32 v[76:77], v[76:77], v[68:69], v[80:81] op_sel:[0,0,1] op_sel_hi:[1,0,0]
	v_mov_b32_e32 v83, v77
	v_pk_mul_f32 v[76:77], v[78:79], v[66:67] op_sel:[0,1]
	s_delay_alu instid0(VALU_DEP_1) | instskip(SKIP_1) | instid1(VALU_DEP_1)
	v_pk_fma_f32 v[80:81], v[78:79], v[68:69], v[76:77] op_sel:[0,0,1] op_sel_hi:[1,1,0] neg_lo:[0,0,1] neg_hi:[0,0,1]
	v_pk_fma_f32 v[76:77], v[78:79], v[68:69], v[76:77] op_sel:[0,0,1] op_sel_hi:[1,0,0]
	v_mov_b32_e32 v81, v77
	ds_load_2addr_b64 v[76:79], v70 offset0:16 offset1:17
	v_pk_add_f32 v[22:23], v[22:23], v[82:83] neg_lo:[0,1] neg_hi:[0,1]
	v_pk_add_f32 v[18:19], v[18:19], v[80:81] neg_lo:[0,1] neg_hi:[0,1]
	s_wait_dscnt 0x0
	v_pk_mul_f32 v[80:81], v[76:77], v[66:67] op_sel:[0,1]
	s_delay_alu instid0(VALU_DEP_1) | instskip(SKIP_2) | instid1(VALU_DEP_2)
	v_pk_fma_f32 v[82:83], v[76:77], v[68:69], v[80:81] op_sel:[0,0,1] op_sel_hi:[1,1,0] neg_lo:[0,0,1] neg_hi:[0,0,1]
	v_pk_fma_f32 v[76:77], v[76:77], v[68:69], v[80:81] op_sel:[0,0,1] op_sel_hi:[1,0,0]
	v_dual_mul_f32 v80, v79, v67 :: v_dual_mov_b32 v76, v79
	v_dual_mov_b32 v83, v77 :: v_dual_mov_b32 v77, v78
	s_delay_alu instid0(VALU_DEP_2) | instskip(SKIP_1) | instid1(VALU_DEP_3)
	v_pk_fma_f32 v[80:81], v[78:79], v[20:21], v[80:81] op_sel_hi:[1,1,0] neg_lo:[0,0,1] neg_hi:[0,0,1]
	v_mul_f32_e32 v78, v79, v68
	v_pk_add_f32 v[54:55], v[54:55], v[82:83] neg_lo:[0,1] neg_hi:[0,1]
	s_delay_alu instid0(VALU_DEP_2) | instskip(NEXT) | instid1(VALU_DEP_1)
	v_pk_fma_f32 v[76:77], v[76:77], v[20:21], v[78:79] op_sel_hi:[1,1,0]
	v_mov_b32_e32 v81, v77
	ds_load_2addr_b64 v[76:79], v70 offset0:18 offset1:19
	v_pk_add_f32 v[36:37], v[36:37], v[80:81] neg_lo:[0,1] neg_hi:[0,1]
	s_wait_dscnt 0x0
	v_pk_mul_f32 v[80:81], v[76:77], v[66:67] op_sel:[0,1]
	s_delay_alu instid0(VALU_DEP_1) | instskip(SKIP_1) | instid1(VALU_DEP_1)
	v_pk_fma_f32 v[82:83], v[76:77], v[68:69], v[80:81] op_sel:[0,0,1] op_sel_hi:[1,1,0] neg_lo:[0,0,1] neg_hi:[0,0,1]
	v_pk_fma_f32 v[76:77], v[76:77], v[68:69], v[80:81] op_sel:[0,0,1] op_sel_hi:[1,0,0]
	v_mov_b32_e32 v83, v77
	v_pk_mul_f32 v[76:77], v[78:79], v[66:67] op_sel:[0,1]
	s_delay_alu instid0(VALU_DEP_1) | instskip(SKIP_1) | instid1(VALU_DEP_1)
	v_pk_fma_f32 v[80:81], v[78:79], v[68:69], v[76:77] op_sel:[0,0,1] op_sel_hi:[1,1,0] neg_lo:[0,0,1] neg_hi:[0,0,1]
	v_pk_fma_f32 v[76:77], v[78:79], v[68:69], v[76:77] op_sel:[0,0,1] op_sel_hi:[1,0,0]
	v_mov_b32_e32 v81, v77
	ds_load_2addr_b64 v[76:79], v70 offset0:20 offset1:21
	v_pk_add_f32 v[38:39], v[38:39], v[82:83] neg_lo:[0,1] neg_hi:[0,1]
	v_pk_add_f32 v[34:35], v[34:35], v[80:81] neg_lo:[0,1] neg_hi:[0,1]
	s_wait_dscnt 0x0
	v_pk_mul_f32 v[80:81], v[76:77], v[66:67] op_sel:[0,1]
	s_delay_alu instid0(VALU_DEP_1) | instskip(SKIP_1) | instid1(VALU_DEP_1)
	v_pk_fma_f32 v[82:83], v[76:77], v[68:69], v[80:81] op_sel:[0,0,1] op_sel_hi:[1,1,0] neg_lo:[0,0,1] neg_hi:[0,0,1]
	v_pk_fma_f32 v[76:77], v[76:77], v[68:69], v[80:81] op_sel:[0,0,1] op_sel_hi:[1,0,0]
	v_mov_b32_e32 v83, v77
	v_pk_mul_f32 v[76:77], v[78:79], v[66:67] op_sel:[0,1]
	s_delay_alu instid0(VALU_DEP_1) | instskip(SKIP_1) | instid1(VALU_DEP_1)
	v_pk_fma_f32 v[80:81], v[78:79], v[68:69], v[76:77] op_sel:[0,0,1] op_sel_hi:[1,1,0] neg_lo:[0,0,1] neg_hi:[0,0,1]
	v_pk_fma_f32 v[76:77], v[78:79], v[68:69], v[76:77] op_sel:[0,0,1] op_sel_hi:[1,0,0]
	v_mov_b32_e32 v81, v77
	ds_load_2addr_b64 v[76:79], v70 offset0:22 offset1:23
	v_pk_add_f32 v[52:53], v[52:53], v[82:83] neg_lo:[0,1] neg_hi:[0,1]
	v_pk_add_f32 v[28:29], v[28:29], v[80:81] neg_lo:[0,1] neg_hi:[0,1]
	s_wait_dscnt 0x0
	v_dual_mul_f32 v80, v77, v67 :: v_dual_mul_f32 v82, v77, v68
	s_delay_alu instid0(VALU_DEP_1) | instskip(NEXT) | instid1(VALU_DEP_2)
	v_pk_fma_f32 v[80:81], v[76:77], v[20:21], v[80:81] op_sel_hi:[1,1,0] neg_lo:[0,0,1] neg_hi:[0,0,1]
	v_pk_fma_f32 v[76:77], v[76:77], v[20:21], v[82:83] op_sel:[1,0,0] op_sel_hi:[0,1,0]
	s_delay_alu instid0(VALU_DEP_1) | instskip(SKIP_1) | instid1(VALU_DEP_2)
	v_mov_b32_e32 v81, v77
	v_pk_mul_f32 v[76:77], v[78:79], v[66:67] op_sel:[0,1]
	v_pk_add_f32 v[30:31], v[30:31], v[80:81] neg_lo:[0,1] neg_hi:[0,1]
	s_delay_alu instid0(VALU_DEP_2) | instskip(SKIP_1) | instid1(VALU_DEP_1)
	v_pk_fma_f32 v[80:81], v[78:79], v[68:69], v[76:77] op_sel:[0,0,1] op_sel_hi:[1,1,0] neg_lo:[0,0,1] neg_hi:[0,0,1]
	v_pk_fma_f32 v[76:77], v[78:79], v[68:69], v[76:77] op_sel:[0,0,1] op_sel_hi:[1,0,0]
	v_mov_b32_e32 v81, v77
	ds_load_2addr_b64 v[76:79], v70 offset0:24 offset1:25
	v_pk_add_f32 v[26:27], v[26:27], v[80:81] neg_lo:[0,1] neg_hi:[0,1]
	s_wait_dscnt 0x0
	v_pk_mul_f32 v[80:81], v[76:77], v[66:67] op_sel:[0,1]
	s_delay_alu instid0(VALU_DEP_1) | instskip(SKIP_1) | instid1(VALU_DEP_1)
	v_pk_fma_f32 v[82:83], v[76:77], v[68:69], v[80:81] op_sel:[0,0,1] op_sel_hi:[1,1,0] neg_lo:[0,0,1] neg_hi:[0,0,1]
	v_pk_fma_f32 v[76:77], v[76:77], v[68:69], v[80:81] op_sel:[0,0,1] op_sel_hi:[1,0,0]
	v_mov_b32_e32 v83, v77
	v_pk_mul_f32 v[76:77], v[78:79], v[66:67] op_sel:[0,1]
	s_delay_alu instid0(VALU_DEP_2) | instskip(NEXT) | instid1(VALU_DEP_2)
	v_pk_add_f32 v[44:45], v[44:45], v[82:83] neg_lo:[0,1] neg_hi:[0,1]
	v_pk_fma_f32 v[80:81], v[78:79], v[68:69], v[76:77] op_sel:[0,0,1] op_sel_hi:[1,1,0] neg_lo:[0,0,1] neg_hi:[0,0,1]
	v_pk_fma_f32 v[76:77], v[78:79], v[68:69], v[76:77] op_sel:[0,0,1] op_sel_hi:[1,0,0]
	s_delay_alu instid0(VALU_DEP_1) | instskip(SKIP_4) | instid1(VALU_DEP_1)
	v_mov_b32_e32 v81, v77
	ds_load_2addr_b64 v[76:79], v70 offset0:26 offset1:27
	v_pk_add_f32 v[24:25], v[24:25], v[80:81] neg_lo:[0,1] neg_hi:[0,1]
	s_wait_dscnt 0x0
	v_pk_mul_f32 v[80:81], v[76:77], v[66:67] op_sel:[0,1]
	v_pk_fma_f32 v[82:83], v[76:77], v[68:69], v[80:81] op_sel:[0,0,1] op_sel_hi:[1,1,0] neg_lo:[0,0,1] neg_hi:[0,0,1]
	v_pk_fma_f32 v[76:77], v[76:77], v[68:69], v[80:81] op_sel:[0,0,1] op_sel_hi:[1,0,0]
	v_dual_mul_f32 v80, v79, v67 :: v_dual_mov_b32 v76, v79
	s_delay_alu instid0(VALU_DEP_2) | instskip(NEXT) | instid1(VALU_DEP_2)
	v_dual_mov_b32 v83, v77 :: v_dual_mov_b32 v77, v78
	v_pk_fma_f32 v[80:81], v[78:79], v[20:21], v[80:81] op_sel_hi:[1,1,0] neg_lo:[0,0,1] neg_hi:[0,0,1]
	v_mul_f32_e32 v78, v79, v68
	s_delay_alu instid0(VALU_DEP_3) | instskip(NEXT) | instid1(VALU_DEP_2)
	v_pk_add_f32 v[42:43], v[42:43], v[82:83] neg_lo:[0,1] neg_hi:[0,1]
	v_pk_fma_f32 v[76:77], v[76:77], v[20:21], v[78:79] op_sel_hi:[1,1,0]
	s_delay_alu instid0(VALU_DEP_1)
	v_mov_b32_e32 v81, v77
	ds_load_2addr_b64 v[76:79], v70 offset0:28 offset1:29
	v_pk_add_f32 v[40:41], v[40:41], v[80:81] neg_lo:[0,1] neg_hi:[0,1]
	s_wait_dscnt 0x0
	v_pk_mul_f32 v[80:81], v[76:77], v[66:67] op_sel:[0,1]
	v_pk_mul_f32 v[66:67], v[78:79], v[66:67] op_sel:[0,1]
	s_delay_alu instid0(VALU_DEP_2) | instskip(SKIP_1) | instid1(VALU_DEP_1)
	v_pk_fma_f32 v[82:83], v[76:77], v[68:69], v[80:81] op_sel:[0,0,1] op_sel_hi:[1,1,0] neg_lo:[0,0,1] neg_hi:[0,0,1]
	v_pk_fma_f32 v[76:77], v[76:77], v[68:69], v[80:81] op_sel:[0,0,1] op_sel_hi:[1,0,0]
	v_mov_b32_e32 v83, v77
	s_delay_alu instid0(VALU_DEP_4) | instskip(SKIP_1) | instid1(VALU_DEP_1)
	v_pk_fma_f32 v[76:77], v[78:79], v[68:69], v[66:67] op_sel:[0,0,1] op_sel_hi:[1,1,0] neg_lo:[0,0,1] neg_hi:[0,0,1]
	v_pk_fma_f32 v[66:67], v[78:79], v[68:69], v[66:67] op_sel:[0,0,1] op_sel_hi:[1,0,0]
	v_mov_b32_e32 v77, v67
	s_delay_alu instid0(VALU_DEP_4) | instskip(NEXT) | instid1(VALU_DEP_2)
	v_pk_add_f32 v[32:33], v[32:33], v[82:83] neg_lo:[0,1] neg_hi:[0,1]
	v_pk_add_f32 v[64:65], v[64:65], v[76:77] neg_lo:[0,1] neg_hi:[0,1]
.LBB58_293:
	s_or_b32 exec_lo, exec_lo, s0
	v_lshl_add_u32 v66, v74, 3, v70
	s_barrier_signal -1
	s_barrier_wait -1
	ds_store_b64 v66, v[22:23]
	s_wait_dscnt 0x0
	s_barrier_signal -1
	s_barrier_wait -1
	ds_load_b64 v[66:67], v70 offset:112
	v_mov_b32_e32 v68, 14
	s_cmp_lt_i32 s18, 16
	s_cbranch_scc1 .LBB58_296
; %bb.294:
	v_add3_u32 v69, v71, 0, 0x78
	v_mov_b32_e32 v68, 14
	s_mov_b32 s0, 15
.LBB58_295:                             ; =>This Inner Loop Header: Depth=1
	ds_load_b64 v[76:77], v69
	s_wait_dscnt 0x1
	v_cmp_gt_f32_e32 vcc_lo, 0, v66
	v_cndmask_b32_e64 v78, v66, -v66, vcc_lo
	v_cmp_gt_f32_e32 vcc_lo, 0, v67
	v_cndmask_b32_e64 v80, v67, -v67, vcc_lo
	s_wait_dscnt 0x0
	v_cmp_gt_f32_e32 vcc_lo, 0, v76
	v_cndmask_b32_e64 v79, v76, -v76, vcc_lo
	v_cmp_gt_f32_e32 vcc_lo, 0, v77
	v_cndmask_b32_e64 v81, v77, -v77, vcc_lo
	s_delay_alu instid0(VALU_DEP_1) | instskip(NEXT) | instid1(VALU_DEP_1)
	v_pk_add_f32 v[78:79], v[78:79], v[80:81]
	v_cmp_lt_f32_e32 vcc_lo, v78, v79
	v_dual_cndmask_b32 v66, v66, v76 :: v_dual_add_nc_u32 v69, 8, v69
	v_cndmask_b32_e32 v67, v67, v77, vcc_lo
	v_cndmask_b32_e64 v68, v68, s0, vcc_lo
	s_add_co_i32 s0, s0, 1
	s_delay_alu instid0(SALU_CYCLE_1)
	s_cmp_lg_u32 s18, s0
	s_cbranch_scc1 .LBB58_295
.LBB58_296:
	s_wait_dscnt 0x0
	v_cmp_eq_f32_e32 vcc_lo, 0, v66
	v_cmp_eq_f32_e64 s0, 0, v67
	s_and_b32 s0, vcc_lo, s0
	s_delay_alu instid0(SALU_CYCLE_1) | instskip(NEXT) | instid1(SALU_CYCLE_1)
	s_and_saveexec_b32 s1, s0
	s_xor_b32 s0, exec_lo, s1
; %bb.297:
	v_cmp_ne_u32_e32 vcc_lo, 0, v72
	v_cndmask_b32_e32 v72, 15, v72, vcc_lo
; %bb.298:
	s_and_not1_saveexec_b32 s0, s0
	s_cbranch_execz .LBB58_304
; %bb.299:
	v_cmp_ngt_f32_e64 s1, |v66|, |v67|
	s_and_saveexec_b32 s12, s1
	s_delay_alu instid0(SALU_CYCLE_1)
	s_xor_b32 s1, exec_lo, s12
	s_cbranch_execz .LBB58_301
; %bb.300:
	v_div_scale_f32 v69, null, v67, v67, v66
	v_div_scale_f32 v77, vcc_lo, v66, v67, v66
	s_delay_alu instid0(VALU_DEP_2) | instskip(SKIP_1) | instid1(TRANS32_DEP_1)
	v_rcp_f32_e32 v75, v69
	v_nop
	v_fma_f32 v76, -v69, v75, 1.0
	s_delay_alu instid0(VALU_DEP_1) | instskip(NEXT) | instid1(VALU_DEP_1)
	v_fmac_f32_e32 v75, v76, v75
	v_mul_f32_e32 v76, v77, v75
	s_delay_alu instid0(VALU_DEP_1) | instskip(NEXT) | instid1(VALU_DEP_1)
	v_fma_f32 v78, -v69, v76, v77
	v_fmac_f32_e32 v76, v78, v75
	s_delay_alu instid0(VALU_DEP_1) | instskip(NEXT) | instid1(VALU_DEP_1)
	v_fma_f32 v69, -v69, v76, v77
	v_div_fmas_f32 v69, v69, v75, v76
	s_delay_alu instid0(VALU_DEP_1) | instskip(NEXT) | instid1(VALU_DEP_1)
	v_div_fixup_f32 v69, v69, v67, v66
	v_fmac_f32_e32 v67, v66, v69
	s_delay_alu instid0(VALU_DEP_1) | instskip(SKIP_1) | instid1(VALU_DEP_2)
	v_div_scale_f32 v66, null, v67, v67, 1.0
	v_div_scale_f32 v77, vcc_lo, 1.0, v67, 1.0
	v_rcp_f32_e32 v75, v66
	v_nop
	s_delay_alu instid0(TRANS32_DEP_1) | instskip(NEXT) | instid1(VALU_DEP_1)
	v_fma_f32 v76, -v66, v75, 1.0
	v_fmac_f32_e32 v75, v76, v75
	s_delay_alu instid0(VALU_DEP_1) | instskip(NEXT) | instid1(VALU_DEP_1)
	v_mul_f32_e32 v76, v77, v75
	v_fma_f32 v78, -v66, v76, v77
	s_delay_alu instid0(VALU_DEP_1) | instskip(NEXT) | instid1(VALU_DEP_1)
	v_fmac_f32_e32 v76, v78, v75
	v_fma_f32 v66, -v66, v76, v77
	s_delay_alu instid0(VALU_DEP_1) | instskip(NEXT) | instid1(VALU_DEP_1)
	v_div_fmas_f32 v66, v66, v75, v76
	v_div_fixup_f32 v67, v66, v67, 1.0
	s_delay_alu instid0(VALU_DEP_1)
	v_mul_f32_e32 v66, v69, v67
	v_xor_b32_e32 v67, 0x80000000, v67
.LBB58_301:
	s_and_not1_saveexec_b32 s1, s1
	s_cbranch_execz .LBB58_303
; %bb.302:
	s_delay_alu instid0(VALU_DEP_1) | instskip(SKIP_1) | instid1(VALU_DEP_2)
	v_div_scale_f32 v69, null, v66, v66, v67
	v_div_scale_f32 v77, vcc_lo, v67, v66, v67
	v_rcp_f32_e32 v75, v69
	v_nop
	s_delay_alu instid0(TRANS32_DEP_1) | instskip(NEXT) | instid1(VALU_DEP_1)
	v_fma_f32 v76, -v69, v75, 1.0
	v_fmac_f32_e32 v75, v76, v75
	s_delay_alu instid0(VALU_DEP_1) | instskip(NEXT) | instid1(VALU_DEP_1)
	v_mul_f32_e32 v76, v77, v75
	v_fma_f32 v78, -v69, v76, v77
	s_delay_alu instid0(VALU_DEP_1) | instskip(NEXT) | instid1(VALU_DEP_1)
	v_fmac_f32_e32 v76, v78, v75
	v_fma_f32 v69, -v69, v76, v77
	s_delay_alu instid0(VALU_DEP_1) | instskip(NEXT) | instid1(VALU_DEP_1)
	v_div_fmas_f32 v69, v69, v75, v76
	v_div_fixup_f32 v69, v69, v66, v67
	s_delay_alu instid0(VALU_DEP_1) | instskip(NEXT) | instid1(VALU_DEP_1)
	v_fmac_f32_e32 v66, v67, v69
	v_div_scale_f32 v67, null, v66, v66, 1.0
	s_delay_alu instid0(VALU_DEP_1) | instskip(SKIP_1) | instid1(TRANS32_DEP_1)
	v_rcp_f32_e32 v75, v67
	v_nop
	v_fma_f32 v76, -v67, v75, 1.0
	s_delay_alu instid0(VALU_DEP_1) | instskip(SKIP_1) | instid1(VALU_DEP_1)
	v_fmac_f32_e32 v75, v76, v75
	v_div_scale_f32 v76, vcc_lo, 1.0, v66, 1.0
	v_mul_f32_e32 v77, v76, v75
	s_delay_alu instid0(VALU_DEP_1) | instskip(NEXT) | instid1(VALU_DEP_1)
	v_fma_f32 v78, -v67, v77, v76
	v_fmac_f32_e32 v77, v78, v75
	s_delay_alu instid0(VALU_DEP_1) | instskip(NEXT) | instid1(VALU_DEP_1)
	v_fma_f32 v67, -v67, v77, v76
	v_div_fmas_f32 v67, v67, v75, v77
	s_delay_alu instid0(VALU_DEP_1) | instskip(NEXT) | instid1(VALU_DEP_1)
	v_div_fixup_f32 v66, v67, v66, 1.0
	v_mul_f32_e64 v67, v69, -v66
.LBB58_303:
	s_or_b32 exec_lo, exec_lo, s1
.LBB58_304:
	s_delay_alu instid0(SALU_CYCLE_1) | instskip(NEXT) | instid1(SALU_CYCLE_1)
	s_or_b32 exec_lo, exec_lo, s0
	s_mov_b32 s0, exec_lo
	v_cmpx_ne_u32_e64 v74, v68
	s_xor_b32 s0, exec_lo, s0
	s_cbranch_execz .LBB58_310
; %bb.305:
	s_mov_b32 s1, exec_lo
	v_cmpx_eq_u32_e32 14, v74
	s_cbranch_execz .LBB58_309
; %bb.306:
	v_cmp_ne_u32_e32 vcc_lo, 14, v68
	s_xor_b32 s12, s16, -1
	s_delay_alu instid0(SALU_CYCLE_1) | instskip(NEXT) | instid1(SALU_CYCLE_1)
	s_and_b32 s13, s12, vcc_lo
	s_and_saveexec_b32 s12, s13
	s_cbranch_execz .LBB58_308
; %bb.307:
	v_ashrrev_i32_e32 v69, 31, v68
	s_delay_alu instid0(VALU_DEP_1)
	v_lshl_add_u64 v[74:75], v[68:69], 2, v[4:5]
	s_clause 0x1
	global_load_b32 v69, v[74:75], off
	global_load_b32 v73, v[4:5], off offset:56
	s_wait_loadcnt 0x1
	global_store_b32 v[4:5], v69, off offset:56
	s_wait_loadcnt 0x0
	global_store_b32 v[74:75], v73, off
.LBB58_308:
	s_wait_xcnt 0x0
	s_or_b32 exec_lo, exec_lo, s12
	v_dual_mov_b32 v74, v68 :: v_dual_mov_b32 v73, v68
.LBB58_309:
	s_or_b32 exec_lo, exec_lo, s1
.LBB58_310:
	s_and_not1_saveexec_b32 s0, s0
	s_cbranch_execz .LBB58_312
; %bb.311:
	v_mov_b32_e32 v74, 14
	ds_store_2addr_b64 v70, v[18:19], v[54:55] offset0:15 offset1:16
	ds_store_2addr_b64 v70, v[36:37], v[38:39] offset0:17 offset1:18
	;; [unrolled: 1-line block ×7, first 2 shown]
	ds_store_b64 v70, v[64:65] offset:232
.LBB58_312:
	s_or_b32 exec_lo, exec_lo, s0
	s_delay_alu instid0(SALU_CYCLE_1)
	s_mov_b32 s0, exec_lo
	s_wait_storecnt_dscnt 0x0
	s_barrier_signal -1
	s_barrier_wait -1
	v_cmpx_lt_i32_e32 14, v74
	s_cbranch_execz .LBB58_314
; %bb.313:
	v_pk_mul_f32 v[76:77], v[66:67], v[22:23] op_sel:[1,1] op_sel_hi:[0,1]
	s_delay_alu instid0(VALU_DEP_1)
	v_pk_fma_f32 v[68:69], v[66:67], v[22:23], v[76:77] op_sel_hi:[1,0,1] neg_lo:[0,0,1] neg_hi:[0,0,1]
	v_pk_fma_f32 v[66:67], v[66:67], v[22:23], v[76:77] op_sel_hi:[1,0,1]
	ds_load_2addr_b64 v[76:79], v70 offset0:15 offset1:16
	v_dual_mov_b32 v22, v68 :: v_dual_mov_b32 v23, v67
	s_wait_dscnt 0x0
	v_pk_mul_f32 v[80:81], v[76:77], v[66:67] op_sel:[0,1]
	s_delay_alu instid0(VALU_DEP_1) | instskip(SKIP_1) | instid1(VALU_DEP_1)
	v_pk_fma_f32 v[82:83], v[76:77], v[68:69], v[80:81] op_sel:[0,0,1] op_sel_hi:[1,1,0] neg_lo:[0,0,1] neg_hi:[0,0,1]
	v_pk_fma_f32 v[76:77], v[76:77], v[68:69], v[80:81] op_sel:[0,0,1] op_sel_hi:[1,0,0]
	v_mov_b32_e32 v83, v77
	v_pk_mul_f32 v[76:77], v[78:79], v[66:67] op_sel:[0,1]
	s_delay_alu instid0(VALU_DEP_1) | instskip(SKIP_1) | instid1(VALU_DEP_1)
	v_pk_fma_f32 v[80:81], v[78:79], v[68:69], v[76:77] op_sel:[0,0,1] op_sel_hi:[1,1,0] neg_lo:[0,0,1] neg_hi:[0,0,1]
	v_pk_fma_f32 v[76:77], v[78:79], v[68:69], v[76:77] op_sel:[0,0,1] op_sel_hi:[1,0,0]
	v_mov_b32_e32 v81, v77
	ds_load_2addr_b64 v[76:79], v70 offset0:17 offset1:18
	v_pk_add_f32 v[18:19], v[18:19], v[82:83] neg_lo:[0,1] neg_hi:[0,1]
	v_pk_add_f32 v[54:55], v[54:55], v[80:81] neg_lo:[0,1] neg_hi:[0,1]
	s_wait_dscnt 0x0
	v_pk_mul_f32 v[80:81], v[76:77], v[66:67] op_sel:[0,1]
	s_delay_alu instid0(VALU_DEP_1) | instskip(SKIP_2) | instid1(VALU_DEP_2)
	v_pk_fma_f32 v[82:83], v[76:77], v[68:69], v[80:81] op_sel:[0,0,1] op_sel_hi:[1,1,0] neg_lo:[0,0,1] neg_hi:[0,0,1]
	v_pk_fma_f32 v[76:77], v[76:77], v[68:69], v[80:81] op_sel:[0,0,1] op_sel_hi:[1,0,0]
	v_dual_mul_f32 v80, v79, v67 :: v_dual_mov_b32 v76, v79
	v_dual_mov_b32 v83, v77 :: v_dual_mov_b32 v77, v78
	s_delay_alu instid0(VALU_DEP_2) | instskip(SKIP_1) | instid1(VALU_DEP_3)
	v_pk_fma_f32 v[80:81], v[78:79], v[22:23], v[80:81] op_sel_hi:[1,1,0] neg_lo:[0,0,1] neg_hi:[0,0,1]
	v_mul_f32_e32 v78, v79, v68
	v_pk_add_f32 v[36:37], v[36:37], v[82:83] neg_lo:[0,1] neg_hi:[0,1]
	s_delay_alu instid0(VALU_DEP_2) | instskip(NEXT) | instid1(VALU_DEP_1)
	v_pk_fma_f32 v[76:77], v[76:77], v[22:23], v[78:79] op_sel_hi:[1,1,0]
	v_mov_b32_e32 v81, v77
	ds_load_2addr_b64 v[76:79], v70 offset0:19 offset1:20
	v_pk_add_f32 v[38:39], v[38:39], v[80:81] neg_lo:[0,1] neg_hi:[0,1]
	s_wait_dscnt 0x0
	v_pk_mul_f32 v[80:81], v[76:77], v[66:67] op_sel:[0,1]
	s_delay_alu instid0(VALU_DEP_1) | instskip(SKIP_1) | instid1(VALU_DEP_1)
	v_pk_fma_f32 v[82:83], v[76:77], v[68:69], v[80:81] op_sel:[0,0,1] op_sel_hi:[1,1,0] neg_lo:[0,0,1] neg_hi:[0,0,1]
	v_pk_fma_f32 v[76:77], v[76:77], v[68:69], v[80:81] op_sel:[0,0,1] op_sel_hi:[1,0,0]
	v_mov_b32_e32 v83, v77
	v_pk_mul_f32 v[76:77], v[78:79], v[66:67] op_sel:[0,1]
	s_delay_alu instid0(VALU_DEP_1) | instskip(SKIP_1) | instid1(VALU_DEP_1)
	v_pk_fma_f32 v[80:81], v[78:79], v[68:69], v[76:77] op_sel:[0,0,1] op_sel_hi:[1,1,0] neg_lo:[0,0,1] neg_hi:[0,0,1]
	v_pk_fma_f32 v[76:77], v[78:79], v[68:69], v[76:77] op_sel:[0,0,1] op_sel_hi:[1,0,0]
	v_mov_b32_e32 v81, v77
	ds_load_2addr_b64 v[76:79], v70 offset0:21 offset1:22
	v_pk_add_f32 v[34:35], v[34:35], v[82:83] neg_lo:[0,1] neg_hi:[0,1]
	v_pk_add_f32 v[52:53], v[52:53], v[80:81] neg_lo:[0,1] neg_hi:[0,1]
	s_wait_dscnt 0x0
	v_pk_mul_f32 v[80:81], v[76:77], v[66:67] op_sel:[0,1]
	s_delay_alu instid0(VALU_DEP_1) | instskip(SKIP_1) | instid1(VALU_DEP_1)
	v_pk_fma_f32 v[82:83], v[76:77], v[68:69], v[80:81] op_sel:[0,0,1] op_sel_hi:[1,1,0] neg_lo:[0,0,1] neg_hi:[0,0,1]
	v_pk_fma_f32 v[76:77], v[76:77], v[68:69], v[80:81] op_sel:[0,0,1] op_sel_hi:[1,0,0]
	v_mov_b32_e32 v83, v77
	v_pk_mul_f32 v[76:77], v[78:79], v[66:67] op_sel:[0,1]
	s_delay_alu instid0(VALU_DEP_1) | instskip(SKIP_1) | instid1(VALU_DEP_1)
	v_pk_fma_f32 v[80:81], v[78:79], v[68:69], v[76:77] op_sel:[0,0,1] op_sel_hi:[1,1,0] neg_lo:[0,0,1] neg_hi:[0,0,1]
	v_pk_fma_f32 v[76:77], v[78:79], v[68:69], v[76:77] op_sel:[0,0,1] op_sel_hi:[1,0,0]
	v_mov_b32_e32 v81, v77
	ds_load_2addr_b64 v[76:79], v70 offset0:23 offset1:24
	v_pk_add_f32 v[28:29], v[28:29], v[82:83] neg_lo:[0,1] neg_hi:[0,1]
	v_pk_add_f32 v[30:31], v[30:31], v[80:81] neg_lo:[0,1] neg_hi:[0,1]
	s_wait_dscnt 0x0
	v_dual_mul_f32 v80, v77, v67 :: v_dual_mul_f32 v82, v77, v68
	s_delay_alu instid0(VALU_DEP_1) | instskip(NEXT) | instid1(VALU_DEP_2)
	v_pk_fma_f32 v[80:81], v[76:77], v[22:23], v[80:81] op_sel_hi:[1,1,0] neg_lo:[0,0,1] neg_hi:[0,0,1]
	v_pk_fma_f32 v[76:77], v[76:77], v[22:23], v[82:83] op_sel:[1,0,0] op_sel_hi:[0,1,0]
	s_delay_alu instid0(VALU_DEP_1) | instskip(SKIP_1) | instid1(VALU_DEP_2)
	v_mov_b32_e32 v81, v77
	v_pk_mul_f32 v[76:77], v[78:79], v[66:67] op_sel:[0,1]
	v_pk_add_f32 v[26:27], v[26:27], v[80:81] neg_lo:[0,1] neg_hi:[0,1]
	s_delay_alu instid0(VALU_DEP_2) | instskip(SKIP_1) | instid1(VALU_DEP_1)
	v_pk_fma_f32 v[80:81], v[78:79], v[68:69], v[76:77] op_sel:[0,0,1] op_sel_hi:[1,1,0] neg_lo:[0,0,1] neg_hi:[0,0,1]
	v_pk_fma_f32 v[76:77], v[78:79], v[68:69], v[76:77] op_sel:[0,0,1] op_sel_hi:[1,0,0]
	v_mov_b32_e32 v81, v77
	ds_load_2addr_b64 v[76:79], v70 offset0:25 offset1:26
	v_pk_add_f32 v[44:45], v[44:45], v[80:81] neg_lo:[0,1] neg_hi:[0,1]
	s_wait_dscnt 0x0
	v_pk_mul_f32 v[80:81], v[76:77], v[66:67] op_sel:[0,1]
	s_delay_alu instid0(VALU_DEP_1) | instskip(SKIP_1) | instid1(VALU_DEP_1)
	v_pk_fma_f32 v[82:83], v[76:77], v[68:69], v[80:81] op_sel:[0,0,1] op_sel_hi:[1,1,0] neg_lo:[0,0,1] neg_hi:[0,0,1]
	v_pk_fma_f32 v[76:77], v[76:77], v[68:69], v[80:81] op_sel:[0,0,1] op_sel_hi:[1,0,0]
	v_mov_b32_e32 v83, v77
	v_pk_mul_f32 v[76:77], v[78:79], v[66:67] op_sel:[0,1]
	s_delay_alu instid0(VALU_DEP_2) | instskip(NEXT) | instid1(VALU_DEP_2)
	v_pk_add_f32 v[24:25], v[24:25], v[82:83] neg_lo:[0,1] neg_hi:[0,1]
	v_pk_fma_f32 v[80:81], v[78:79], v[68:69], v[76:77] op_sel:[0,0,1] op_sel_hi:[1,1,0] neg_lo:[0,0,1] neg_hi:[0,0,1]
	v_pk_fma_f32 v[76:77], v[78:79], v[68:69], v[76:77] op_sel:[0,0,1] op_sel_hi:[1,0,0]
	s_delay_alu instid0(VALU_DEP_1) | instskip(SKIP_4) | instid1(VALU_DEP_1)
	v_mov_b32_e32 v81, v77
	ds_load_2addr_b64 v[76:79], v70 offset0:27 offset1:28
	v_pk_add_f32 v[42:43], v[42:43], v[80:81] neg_lo:[0,1] neg_hi:[0,1]
	s_wait_dscnt 0x0
	v_pk_mul_f32 v[80:81], v[76:77], v[66:67] op_sel:[0,1]
	v_pk_fma_f32 v[82:83], v[76:77], v[68:69], v[80:81] op_sel:[0,0,1] op_sel_hi:[1,1,0] neg_lo:[0,0,1] neg_hi:[0,0,1]
	v_pk_fma_f32 v[76:77], v[76:77], v[68:69], v[80:81] op_sel:[0,0,1] op_sel_hi:[1,0,0]
	v_dual_mul_f32 v80, v79, v67 :: v_dual_mov_b32 v76, v79
	s_delay_alu instid0(VALU_DEP_2) | instskip(NEXT) | instid1(VALU_DEP_2)
	v_dual_mov_b32 v83, v77 :: v_dual_mov_b32 v77, v78
	v_pk_fma_f32 v[80:81], v[78:79], v[22:23], v[80:81] op_sel_hi:[1,1,0] neg_lo:[0,0,1] neg_hi:[0,0,1]
	v_mul_f32_e32 v78, v79, v68
	s_delay_alu instid0(VALU_DEP_3) | instskip(NEXT) | instid1(VALU_DEP_2)
	v_pk_add_f32 v[40:41], v[40:41], v[82:83] neg_lo:[0,1] neg_hi:[0,1]
	v_pk_fma_f32 v[76:77], v[76:77], v[22:23], v[78:79] op_sel_hi:[1,1,0]
	s_delay_alu instid0(VALU_DEP_1) | instskip(SKIP_4) | instid1(VALU_DEP_1)
	v_mov_b32_e32 v81, v77
	ds_load_b64 v[76:77], v70 offset:232
	v_pk_add_f32 v[32:33], v[32:33], v[80:81] neg_lo:[0,1] neg_hi:[0,1]
	s_wait_dscnt 0x0
	v_pk_mul_f32 v[66:67], v[76:77], v[66:67] op_sel:[0,1]
	v_pk_fma_f32 v[78:79], v[76:77], v[68:69], v[66:67] op_sel:[0,0,1] op_sel_hi:[1,1,0] neg_lo:[0,0,1] neg_hi:[0,0,1]
	v_pk_fma_f32 v[66:67], v[76:77], v[68:69], v[66:67] op_sel:[0,0,1] op_sel_hi:[1,0,0]
	s_delay_alu instid0(VALU_DEP_1) | instskip(NEXT) | instid1(VALU_DEP_1)
	v_mov_b32_e32 v79, v67
	v_pk_add_f32 v[64:65], v[64:65], v[78:79] neg_lo:[0,1] neg_hi:[0,1]
.LBB58_314:
	s_or_b32 exec_lo, exec_lo, s0
	v_lshl_add_u32 v66, v74, 3, v70
	s_barrier_signal -1
	s_barrier_wait -1
	ds_store_b64 v66, v[18:19]
	s_wait_dscnt 0x0
	s_barrier_signal -1
	s_barrier_wait -1
	ds_load_b64 v[66:67], v70 offset:120
	v_mov_b32_e32 v68, 15
	s_cmp_lt_i32 s18, 17
	s_cbranch_scc1 .LBB58_317
; %bb.315:
	v_add3_u32 v69, v71, 0, 0x80
	v_mov_b32_e32 v68, 15
	s_mov_b32 s0, 16
.LBB58_316:                             ; =>This Inner Loop Header: Depth=1
	ds_load_b64 v[76:77], v69
	s_wait_dscnt 0x1
	v_cmp_gt_f32_e32 vcc_lo, 0, v66
	v_cndmask_b32_e64 v78, v66, -v66, vcc_lo
	v_cmp_gt_f32_e32 vcc_lo, 0, v67
	v_cndmask_b32_e64 v80, v67, -v67, vcc_lo
	s_wait_dscnt 0x0
	v_cmp_gt_f32_e32 vcc_lo, 0, v76
	v_cndmask_b32_e64 v79, v76, -v76, vcc_lo
	v_cmp_gt_f32_e32 vcc_lo, 0, v77
	v_cndmask_b32_e64 v81, v77, -v77, vcc_lo
	s_delay_alu instid0(VALU_DEP_1) | instskip(NEXT) | instid1(VALU_DEP_1)
	v_pk_add_f32 v[78:79], v[78:79], v[80:81]
	v_cmp_lt_f32_e32 vcc_lo, v78, v79
	v_dual_cndmask_b32 v66, v66, v76 :: v_dual_add_nc_u32 v69, 8, v69
	v_cndmask_b32_e32 v67, v67, v77, vcc_lo
	v_cndmask_b32_e64 v68, v68, s0, vcc_lo
	s_add_co_i32 s0, s0, 1
	s_delay_alu instid0(SALU_CYCLE_1)
	s_cmp_lg_u32 s18, s0
	s_cbranch_scc1 .LBB58_316
.LBB58_317:
	s_wait_dscnt 0x0
	v_cmp_eq_f32_e32 vcc_lo, 0, v66
	v_cmp_eq_f32_e64 s0, 0, v67
	s_and_b32 s0, vcc_lo, s0
	s_delay_alu instid0(SALU_CYCLE_1) | instskip(NEXT) | instid1(SALU_CYCLE_1)
	s_and_saveexec_b32 s1, s0
	s_xor_b32 s0, exec_lo, s1
; %bb.318:
	v_cmp_ne_u32_e32 vcc_lo, 0, v72
	v_cndmask_b32_e32 v72, 16, v72, vcc_lo
; %bb.319:
	s_and_not1_saveexec_b32 s0, s0
	s_cbranch_execz .LBB58_325
; %bb.320:
	v_cmp_ngt_f32_e64 s1, |v66|, |v67|
	s_and_saveexec_b32 s12, s1
	s_delay_alu instid0(SALU_CYCLE_1)
	s_xor_b32 s1, exec_lo, s12
	s_cbranch_execz .LBB58_322
; %bb.321:
	v_div_scale_f32 v69, null, v67, v67, v66
	v_div_scale_f32 v77, vcc_lo, v66, v67, v66
	s_delay_alu instid0(VALU_DEP_2) | instskip(SKIP_1) | instid1(TRANS32_DEP_1)
	v_rcp_f32_e32 v75, v69
	v_nop
	v_fma_f32 v76, -v69, v75, 1.0
	s_delay_alu instid0(VALU_DEP_1) | instskip(NEXT) | instid1(VALU_DEP_1)
	v_fmac_f32_e32 v75, v76, v75
	v_mul_f32_e32 v76, v77, v75
	s_delay_alu instid0(VALU_DEP_1) | instskip(NEXT) | instid1(VALU_DEP_1)
	v_fma_f32 v78, -v69, v76, v77
	v_fmac_f32_e32 v76, v78, v75
	s_delay_alu instid0(VALU_DEP_1) | instskip(NEXT) | instid1(VALU_DEP_1)
	v_fma_f32 v69, -v69, v76, v77
	v_div_fmas_f32 v69, v69, v75, v76
	s_delay_alu instid0(VALU_DEP_1) | instskip(NEXT) | instid1(VALU_DEP_1)
	v_div_fixup_f32 v69, v69, v67, v66
	v_fmac_f32_e32 v67, v66, v69
	s_delay_alu instid0(VALU_DEP_1) | instskip(SKIP_1) | instid1(VALU_DEP_2)
	v_div_scale_f32 v66, null, v67, v67, 1.0
	v_div_scale_f32 v77, vcc_lo, 1.0, v67, 1.0
	v_rcp_f32_e32 v75, v66
	v_nop
	s_delay_alu instid0(TRANS32_DEP_1) | instskip(NEXT) | instid1(VALU_DEP_1)
	v_fma_f32 v76, -v66, v75, 1.0
	v_fmac_f32_e32 v75, v76, v75
	s_delay_alu instid0(VALU_DEP_1) | instskip(NEXT) | instid1(VALU_DEP_1)
	v_mul_f32_e32 v76, v77, v75
	v_fma_f32 v78, -v66, v76, v77
	s_delay_alu instid0(VALU_DEP_1) | instskip(NEXT) | instid1(VALU_DEP_1)
	v_fmac_f32_e32 v76, v78, v75
	v_fma_f32 v66, -v66, v76, v77
	s_delay_alu instid0(VALU_DEP_1) | instskip(NEXT) | instid1(VALU_DEP_1)
	v_div_fmas_f32 v66, v66, v75, v76
	v_div_fixup_f32 v67, v66, v67, 1.0
	s_delay_alu instid0(VALU_DEP_1)
	v_mul_f32_e32 v66, v69, v67
	v_xor_b32_e32 v67, 0x80000000, v67
.LBB58_322:
	s_and_not1_saveexec_b32 s1, s1
	s_cbranch_execz .LBB58_324
; %bb.323:
	s_delay_alu instid0(VALU_DEP_1) | instskip(SKIP_1) | instid1(VALU_DEP_2)
	v_div_scale_f32 v69, null, v66, v66, v67
	v_div_scale_f32 v77, vcc_lo, v67, v66, v67
	v_rcp_f32_e32 v75, v69
	v_nop
	s_delay_alu instid0(TRANS32_DEP_1) | instskip(NEXT) | instid1(VALU_DEP_1)
	v_fma_f32 v76, -v69, v75, 1.0
	v_fmac_f32_e32 v75, v76, v75
	s_delay_alu instid0(VALU_DEP_1) | instskip(NEXT) | instid1(VALU_DEP_1)
	v_mul_f32_e32 v76, v77, v75
	v_fma_f32 v78, -v69, v76, v77
	s_delay_alu instid0(VALU_DEP_1) | instskip(NEXT) | instid1(VALU_DEP_1)
	v_fmac_f32_e32 v76, v78, v75
	v_fma_f32 v69, -v69, v76, v77
	s_delay_alu instid0(VALU_DEP_1) | instskip(NEXT) | instid1(VALU_DEP_1)
	v_div_fmas_f32 v69, v69, v75, v76
	v_div_fixup_f32 v69, v69, v66, v67
	s_delay_alu instid0(VALU_DEP_1) | instskip(NEXT) | instid1(VALU_DEP_1)
	v_fmac_f32_e32 v66, v67, v69
	v_div_scale_f32 v67, null, v66, v66, 1.0
	s_delay_alu instid0(VALU_DEP_1) | instskip(SKIP_1) | instid1(TRANS32_DEP_1)
	v_rcp_f32_e32 v75, v67
	v_nop
	v_fma_f32 v76, -v67, v75, 1.0
	s_delay_alu instid0(VALU_DEP_1) | instskip(SKIP_1) | instid1(VALU_DEP_1)
	v_fmac_f32_e32 v75, v76, v75
	v_div_scale_f32 v76, vcc_lo, 1.0, v66, 1.0
	v_mul_f32_e32 v77, v76, v75
	s_delay_alu instid0(VALU_DEP_1) | instskip(NEXT) | instid1(VALU_DEP_1)
	v_fma_f32 v78, -v67, v77, v76
	v_fmac_f32_e32 v77, v78, v75
	s_delay_alu instid0(VALU_DEP_1) | instskip(NEXT) | instid1(VALU_DEP_1)
	v_fma_f32 v67, -v67, v77, v76
	v_div_fmas_f32 v67, v67, v75, v77
	s_delay_alu instid0(VALU_DEP_1) | instskip(NEXT) | instid1(VALU_DEP_1)
	v_div_fixup_f32 v66, v67, v66, 1.0
	v_mul_f32_e64 v67, v69, -v66
.LBB58_324:
	s_or_b32 exec_lo, exec_lo, s1
.LBB58_325:
	s_delay_alu instid0(SALU_CYCLE_1) | instskip(NEXT) | instid1(SALU_CYCLE_1)
	s_or_b32 exec_lo, exec_lo, s0
	s_mov_b32 s0, exec_lo
	v_cmpx_ne_u32_e64 v74, v68
	s_xor_b32 s0, exec_lo, s0
	s_cbranch_execz .LBB58_331
; %bb.326:
	s_mov_b32 s1, exec_lo
	v_cmpx_eq_u32_e32 15, v74
	s_cbranch_execz .LBB58_330
; %bb.327:
	v_cmp_ne_u32_e32 vcc_lo, 15, v68
	s_xor_b32 s12, s16, -1
	s_delay_alu instid0(SALU_CYCLE_1) | instskip(NEXT) | instid1(SALU_CYCLE_1)
	s_and_b32 s13, s12, vcc_lo
	s_and_saveexec_b32 s12, s13
	s_cbranch_execz .LBB58_329
; %bb.328:
	v_ashrrev_i32_e32 v69, 31, v68
	s_delay_alu instid0(VALU_DEP_1)
	v_lshl_add_u64 v[74:75], v[68:69], 2, v[4:5]
	s_clause 0x1
	global_load_b32 v69, v[74:75], off
	global_load_b32 v73, v[4:5], off offset:60
	s_wait_loadcnt 0x1
	global_store_b32 v[4:5], v69, off offset:60
	s_wait_loadcnt 0x0
	global_store_b32 v[74:75], v73, off
.LBB58_329:
	s_wait_xcnt 0x0
	s_or_b32 exec_lo, exec_lo, s12
	v_dual_mov_b32 v74, v68 :: v_dual_mov_b32 v73, v68
.LBB58_330:
	s_or_b32 exec_lo, exec_lo, s1
.LBB58_331:
	s_and_not1_saveexec_b32 s0, s0
	s_cbranch_execz .LBB58_333
; %bb.332:
	v_dual_mov_b32 v68, v54 :: v_dual_mov_b32 v69, v55
	v_dual_mov_b32 v74, v36 :: v_dual_mov_b32 v75, v37
	;; [unrolled: 1-line block ×4, first 2 shown]
	ds_store_2addr_b64 v70, v[68:69], v[74:75] offset0:16 offset1:17
	ds_store_2addr_b64 v70, v[76:77], v[78:79] offset0:18 offset1:19
	v_dual_mov_b32 v68, v52 :: v_dual_mov_b32 v69, v53
	v_dual_mov_b32 v76, v28 :: v_dual_mov_b32 v77, v29
	;; [unrolled: 1-line block ×9, first 2 shown]
	v_mov_b32_e32 v91, v33
	ds_store_2addr_b64 v70, v[68:69], v[76:77] offset0:20 offset1:21
	ds_store_2addr_b64 v70, v[78:79], v[80:81] offset0:22 offset1:23
	;; [unrolled: 1-line block ×5, first 2 shown]
.LBB58_333:
	s_or_b32 exec_lo, exec_lo, s0
	s_delay_alu instid0(SALU_CYCLE_1)
	s_mov_b32 s0, exec_lo
	s_wait_storecnt_dscnt 0x0
	s_barrier_signal -1
	s_barrier_wait -1
	v_cmpx_lt_i32_e32 15, v74
	s_cbranch_execz .LBB58_335
; %bb.334:
	v_pk_mul_f32 v[68:69], v[66:67], v[18:19] op_sel:[1,1] op_sel_hi:[0,1]
	s_delay_alu instid0(VALU_DEP_1)
	v_pk_fma_f32 v[76:77], v[66:67], v[18:19], v[68:69] op_sel_hi:[1,0,1] neg_lo:[0,0,1] neg_hi:[0,0,1]
	v_pk_fma_f32 v[78:79], v[66:67], v[18:19], v[68:69] op_sel_hi:[1,0,1]
	ds_load_2addr_b64 v[66:69], v70 offset0:16 offset1:17
	v_dual_mov_b32 v18, v76 :: v_dual_mov_b32 v19, v79
	s_wait_dscnt 0x0
	v_pk_mul_f32 v[80:81], v[66:67], v[78:79] op_sel:[0,1]
	s_delay_alu instid0(VALU_DEP_1) | instskip(SKIP_1) | instid1(VALU_DEP_1)
	v_pk_fma_f32 v[82:83], v[66:67], v[76:77], v[80:81] op_sel:[0,0,1] op_sel_hi:[1,1,0] neg_lo:[0,0,1] neg_hi:[0,0,1]
	v_pk_fma_f32 v[66:67], v[66:67], v[76:77], v[80:81] op_sel:[0,0,1] op_sel_hi:[1,0,0]
	v_mov_b32_e32 v83, v67
	v_pk_mul_f32 v[66:67], v[68:69], v[78:79] op_sel:[0,1]
	s_delay_alu instid0(VALU_DEP_1) | instskip(SKIP_1) | instid1(VALU_DEP_1)
	v_pk_fma_f32 v[80:81], v[68:69], v[76:77], v[66:67] op_sel:[0,0,1] op_sel_hi:[1,1,0] neg_lo:[0,0,1] neg_hi:[0,0,1]
	v_pk_fma_f32 v[66:67], v[68:69], v[76:77], v[66:67] op_sel:[0,0,1] op_sel_hi:[1,0,0]
	v_mov_b32_e32 v81, v67
	ds_load_2addr_b64 v[66:69], v70 offset0:18 offset1:19
	v_pk_add_f32 v[54:55], v[54:55], v[82:83] neg_lo:[0,1] neg_hi:[0,1]
	v_pk_add_f32 v[36:37], v[36:37], v[80:81] neg_lo:[0,1] neg_hi:[0,1]
	s_wait_dscnt 0x0
	v_pk_mul_f32 v[80:81], v[66:67], v[78:79] op_sel:[0,1]
	s_delay_alu instid0(VALU_DEP_1) | instskip(SKIP_2) | instid1(VALU_DEP_2)
	v_pk_fma_f32 v[82:83], v[66:67], v[76:77], v[80:81] op_sel:[0,0,1] op_sel_hi:[1,1,0] neg_lo:[0,0,1] neg_hi:[0,0,1]
	v_pk_fma_f32 v[66:67], v[66:67], v[76:77], v[80:81] op_sel:[0,0,1] op_sel_hi:[1,0,0]
	v_dual_mul_f32 v80, v69, v79 :: v_dual_mov_b32 v66, v69
	v_dual_mov_b32 v83, v67 :: v_dual_mov_b32 v67, v68
	s_delay_alu instid0(VALU_DEP_2) | instskip(SKIP_1) | instid1(VALU_DEP_3)
	v_pk_fma_f32 v[80:81], v[68:69], v[18:19], v[80:81] op_sel_hi:[1,1,0] neg_lo:[0,0,1] neg_hi:[0,0,1]
	v_mul_f32_e32 v68, v69, v76
	v_pk_add_f32 v[38:39], v[38:39], v[82:83] neg_lo:[0,1] neg_hi:[0,1]
	s_delay_alu instid0(VALU_DEP_2) | instskip(NEXT) | instid1(VALU_DEP_1)
	v_pk_fma_f32 v[66:67], v[66:67], v[18:19], v[68:69] op_sel_hi:[1,1,0]
	v_mov_b32_e32 v81, v67
	ds_load_2addr_b64 v[66:69], v70 offset0:20 offset1:21
	v_pk_add_f32 v[34:35], v[34:35], v[80:81] neg_lo:[0,1] neg_hi:[0,1]
	s_wait_dscnt 0x0
	v_pk_mul_f32 v[80:81], v[66:67], v[78:79] op_sel:[0,1]
	s_delay_alu instid0(VALU_DEP_1) | instskip(SKIP_1) | instid1(VALU_DEP_1)
	v_pk_fma_f32 v[82:83], v[66:67], v[76:77], v[80:81] op_sel:[0,0,1] op_sel_hi:[1,1,0] neg_lo:[0,0,1] neg_hi:[0,0,1]
	v_pk_fma_f32 v[66:67], v[66:67], v[76:77], v[80:81] op_sel:[0,0,1] op_sel_hi:[1,0,0]
	v_mov_b32_e32 v83, v67
	v_pk_mul_f32 v[66:67], v[68:69], v[78:79] op_sel:[0,1]
	s_delay_alu instid0(VALU_DEP_1) | instskip(SKIP_1) | instid1(VALU_DEP_1)
	v_pk_fma_f32 v[80:81], v[68:69], v[76:77], v[66:67] op_sel:[0,0,1] op_sel_hi:[1,1,0] neg_lo:[0,0,1] neg_hi:[0,0,1]
	v_pk_fma_f32 v[66:67], v[68:69], v[76:77], v[66:67] op_sel:[0,0,1] op_sel_hi:[1,0,0]
	v_mov_b32_e32 v81, v67
	ds_load_2addr_b64 v[66:69], v70 offset0:22 offset1:23
	v_pk_add_f32 v[52:53], v[52:53], v[82:83] neg_lo:[0,1] neg_hi:[0,1]
	v_pk_add_f32 v[28:29], v[28:29], v[80:81] neg_lo:[0,1] neg_hi:[0,1]
	s_wait_dscnt 0x0
	v_pk_mul_f32 v[80:81], v[66:67], v[78:79] op_sel:[0,1]
	s_delay_alu instid0(VALU_DEP_1) | instskip(SKIP_1) | instid1(VALU_DEP_1)
	v_pk_fma_f32 v[82:83], v[66:67], v[76:77], v[80:81] op_sel:[0,0,1] op_sel_hi:[1,1,0] neg_lo:[0,0,1] neg_hi:[0,0,1]
	v_pk_fma_f32 v[66:67], v[66:67], v[76:77], v[80:81] op_sel:[0,0,1] op_sel_hi:[1,0,0]
	v_mov_b32_e32 v83, v67
	v_pk_mul_f32 v[66:67], v[68:69], v[78:79] op_sel:[0,1]
	s_delay_alu instid0(VALU_DEP_1) | instskip(SKIP_1) | instid1(VALU_DEP_1)
	v_pk_fma_f32 v[80:81], v[68:69], v[76:77], v[66:67] op_sel:[0,0,1] op_sel_hi:[1,1,0] neg_lo:[0,0,1] neg_hi:[0,0,1]
	v_pk_fma_f32 v[66:67], v[68:69], v[76:77], v[66:67] op_sel:[0,0,1] op_sel_hi:[1,0,0]
	v_mov_b32_e32 v81, v67
	ds_load_2addr_b64 v[66:69], v70 offset0:24 offset1:25
	v_pk_add_f32 v[30:31], v[30:31], v[82:83] neg_lo:[0,1] neg_hi:[0,1]
	v_pk_add_f32 v[26:27], v[26:27], v[80:81] neg_lo:[0,1] neg_hi:[0,1]
	s_wait_dscnt 0x0
	v_dual_mul_f32 v80, v67, v79 :: v_dual_mul_f32 v82, v67, v76
	s_delay_alu instid0(VALU_DEP_1) | instskip(NEXT) | instid1(VALU_DEP_2)
	v_pk_fma_f32 v[80:81], v[66:67], v[18:19], v[80:81] op_sel_hi:[1,1,0] neg_lo:[0,0,1] neg_hi:[0,0,1]
	v_pk_fma_f32 v[66:67], v[66:67], v[18:19], v[82:83] op_sel:[1,0,0] op_sel_hi:[0,1,0]
	s_delay_alu instid0(VALU_DEP_1) | instskip(SKIP_1) | instid1(VALU_DEP_2)
	v_mov_b32_e32 v81, v67
	v_pk_mul_f32 v[66:67], v[68:69], v[78:79] op_sel:[0,1]
	v_pk_add_f32 v[44:45], v[44:45], v[80:81] neg_lo:[0,1] neg_hi:[0,1]
	s_delay_alu instid0(VALU_DEP_2) | instskip(SKIP_1) | instid1(VALU_DEP_1)
	v_pk_fma_f32 v[80:81], v[68:69], v[76:77], v[66:67] op_sel:[0,0,1] op_sel_hi:[1,1,0] neg_lo:[0,0,1] neg_hi:[0,0,1]
	v_pk_fma_f32 v[66:67], v[68:69], v[76:77], v[66:67] op_sel:[0,0,1] op_sel_hi:[1,0,0]
	v_mov_b32_e32 v81, v67
	ds_load_2addr_b64 v[66:69], v70 offset0:26 offset1:27
	v_pk_add_f32 v[24:25], v[24:25], v[80:81] neg_lo:[0,1] neg_hi:[0,1]
	s_wait_dscnt 0x0
	v_pk_mul_f32 v[80:81], v[66:67], v[78:79] op_sel:[0,1]
	s_delay_alu instid0(VALU_DEP_1) | instskip(SKIP_1) | instid1(VALU_DEP_1)
	v_pk_fma_f32 v[82:83], v[66:67], v[76:77], v[80:81] op_sel:[0,0,1] op_sel_hi:[1,1,0] neg_lo:[0,0,1] neg_hi:[0,0,1]
	v_pk_fma_f32 v[66:67], v[66:67], v[76:77], v[80:81] op_sel:[0,0,1] op_sel_hi:[1,0,0]
	v_mov_b32_e32 v83, v67
	v_pk_mul_f32 v[66:67], v[68:69], v[78:79] op_sel:[0,1]
	s_delay_alu instid0(VALU_DEP_2) | instskip(NEXT) | instid1(VALU_DEP_2)
	v_pk_add_f32 v[42:43], v[42:43], v[82:83] neg_lo:[0,1] neg_hi:[0,1]
	v_pk_fma_f32 v[80:81], v[68:69], v[76:77], v[66:67] op_sel:[0,0,1] op_sel_hi:[1,1,0] neg_lo:[0,0,1] neg_hi:[0,0,1]
	v_pk_fma_f32 v[66:67], v[68:69], v[76:77], v[66:67] op_sel:[0,0,1] op_sel_hi:[1,0,0]
	s_delay_alu instid0(VALU_DEP_1) | instskip(SKIP_4) | instid1(VALU_DEP_1)
	v_mov_b32_e32 v81, v67
	ds_load_2addr_b64 v[66:69], v70 offset0:28 offset1:29
	v_pk_add_f32 v[40:41], v[40:41], v[80:81] neg_lo:[0,1] neg_hi:[0,1]
	s_wait_dscnt 0x0
	v_pk_mul_f32 v[80:81], v[66:67], v[78:79] op_sel:[0,1]
	v_pk_fma_f32 v[82:83], v[66:67], v[76:77], v[80:81] op_sel:[0,0,1] op_sel_hi:[1,1,0] neg_lo:[0,0,1] neg_hi:[0,0,1]
	v_pk_fma_f32 v[66:67], v[66:67], v[76:77], v[80:81] op_sel:[0,0,1] op_sel_hi:[1,0,0]
	s_delay_alu instid0(VALU_DEP_1) | instskip(SKIP_1) | instid1(VALU_DEP_2)
	v_mov_b32_e32 v83, v67
	v_pk_mul_f32 v[66:67], v[68:69], v[78:79] op_sel:[0,1]
	v_pk_add_f32 v[32:33], v[32:33], v[82:83] neg_lo:[0,1] neg_hi:[0,1]
	s_delay_alu instid0(VALU_DEP_2) | instskip(SKIP_1) | instid1(VALU_DEP_1)
	v_pk_fma_f32 v[78:79], v[68:69], v[76:77], v[66:67] op_sel:[0,0,1] op_sel_hi:[1,1,0] neg_lo:[0,0,1] neg_hi:[0,0,1]
	v_pk_fma_f32 v[66:67], v[68:69], v[76:77], v[66:67] op_sel:[0,0,1] op_sel_hi:[1,0,0]
	v_mov_b32_e32 v79, v67
	s_delay_alu instid0(VALU_DEP_1)
	v_pk_add_f32 v[64:65], v[64:65], v[78:79] neg_lo:[0,1] neg_hi:[0,1]
.LBB58_335:
	s_or_b32 exec_lo, exec_lo, s0
	v_lshl_add_u32 v66, v74, 3, v70
	s_barrier_signal -1
	s_barrier_wait -1
	ds_store_b64 v66, v[54:55]
	s_wait_dscnt 0x0
	s_barrier_signal -1
	s_barrier_wait -1
	ds_load_b64 v[66:67], v70 offset:128
	v_mov_b32_e32 v68, 16
	s_cmp_lt_i32 s18, 18
	s_cbranch_scc1 .LBB58_338
; %bb.336:
	v_add3_u32 v69, v71, 0, 0x88
	v_mov_b32_e32 v68, 16
	s_mov_b32 s0, 17
.LBB58_337:                             ; =>This Inner Loop Header: Depth=1
	ds_load_b64 v[76:77], v69
	s_wait_dscnt 0x1
	v_cmp_gt_f32_e32 vcc_lo, 0, v66
	v_cndmask_b32_e64 v78, v66, -v66, vcc_lo
	v_cmp_gt_f32_e32 vcc_lo, 0, v67
	v_cndmask_b32_e64 v80, v67, -v67, vcc_lo
	s_wait_dscnt 0x0
	v_cmp_gt_f32_e32 vcc_lo, 0, v76
	v_cndmask_b32_e64 v79, v76, -v76, vcc_lo
	v_cmp_gt_f32_e32 vcc_lo, 0, v77
	v_cndmask_b32_e64 v81, v77, -v77, vcc_lo
	s_delay_alu instid0(VALU_DEP_1) | instskip(NEXT) | instid1(VALU_DEP_1)
	v_pk_add_f32 v[78:79], v[78:79], v[80:81]
	v_cmp_lt_f32_e32 vcc_lo, v78, v79
	v_dual_cndmask_b32 v66, v66, v76 :: v_dual_add_nc_u32 v69, 8, v69
	v_cndmask_b32_e32 v67, v67, v77, vcc_lo
	v_cndmask_b32_e64 v68, v68, s0, vcc_lo
	s_add_co_i32 s0, s0, 1
	s_delay_alu instid0(SALU_CYCLE_1)
	s_cmp_lg_u32 s18, s0
	s_cbranch_scc1 .LBB58_337
.LBB58_338:
	s_wait_dscnt 0x0
	v_cmp_eq_f32_e32 vcc_lo, 0, v66
	v_cmp_eq_f32_e64 s0, 0, v67
	s_and_b32 s0, vcc_lo, s0
	s_delay_alu instid0(SALU_CYCLE_1) | instskip(NEXT) | instid1(SALU_CYCLE_1)
	s_and_saveexec_b32 s1, s0
	s_xor_b32 s0, exec_lo, s1
; %bb.339:
	v_cmp_ne_u32_e32 vcc_lo, 0, v72
	v_cndmask_b32_e32 v72, 17, v72, vcc_lo
; %bb.340:
	s_and_not1_saveexec_b32 s0, s0
	s_cbranch_execz .LBB58_346
; %bb.341:
	v_cmp_ngt_f32_e64 s1, |v66|, |v67|
	s_and_saveexec_b32 s12, s1
	s_delay_alu instid0(SALU_CYCLE_1)
	s_xor_b32 s1, exec_lo, s12
	s_cbranch_execz .LBB58_343
; %bb.342:
	v_div_scale_f32 v69, null, v67, v67, v66
	v_div_scale_f32 v77, vcc_lo, v66, v67, v66
	s_delay_alu instid0(VALU_DEP_2) | instskip(SKIP_1) | instid1(TRANS32_DEP_1)
	v_rcp_f32_e32 v75, v69
	v_nop
	v_fma_f32 v76, -v69, v75, 1.0
	s_delay_alu instid0(VALU_DEP_1) | instskip(NEXT) | instid1(VALU_DEP_1)
	v_fmac_f32_e32 v75, v76, v75
	v_mul_f32_e32 v76, v77, v75
	s_delay_alu instid0(VALU_DEP_1) | instskip(NEXT) | instid1(VALU_DEP_1)
	v_fma_f32 v78, -v69, v76, v77
	v_fmac_f32_e32 v76, v78, v75
	s_delay_alu instid0(VALU_DEP_1) | instskip(NEXT) | instid1(VALU_DEP_1)
	v_fma_f32 v69, -v69, v76, v77
	v_div_fmas_f32 v69, v69, v75, v76
	s_delay_alu instid0(VALU_DEP_1) | instskip(NEXT) | instid1(VALU_DEP_1)
	v_div_fixup_f32 v69, v69, v67, v66
	v_fmac_f32_e32 v67, v66, v69
	s_delay_alu instid0(VALU_DEP_1) | instskip(SKIP_1) | instid1(VALU_DEP_2)
	v_div_scale_f32 v66, null, v67, v67, 1.0
	v_div_scale_f32 v77, vcc_lo, 1.0, v67, 1.0
	v_rcp_f32_e32 v75, v66
	v_nop
	s_delay_alu instid0(TRANS32_DEP_1) | instskip(NEXT) | instid1(VALU_DEP_1)
	v_fma_f32 v76, -v66, v75, 1.0
	v_fmac_f32_e32 v75, v76, v75
	s_delay_alu instid0(VALU_DEP_1) | instskip(NEXT) | instid1(VALU_DEP_1)
	v_mul_f32_e32 v76, v77, v75
	v_fma_f32 v78, -v66, v76, v77
	s_delay_alu instid0(VALU_DEP_1) | instskip(NEXT) | instid1(VALU_DEP_1)
	v_fmac_f32_e32 v76, v78, v75
	v_fma_f32 v66, -v66, v76, v77
	s_delay_alu instid0(VALU_DEP_1) | instskip(NEXT) | instid1(VALU_DEP_1)
	v_div_fmas_f32 v66, v66, v75, v76
	v_div_fixup_f32 v67, v66, v67, 1.0
	s_delay_alu instid0(VALU_DEP_1)
	v_mul_f32_e32 v66, v69, v67
	v_xor_b32_e32 v67, 0x80000000, v67
.LBB58_343:
	s_and_not1_saveexec_b32 s1, s1
	s_cbranch_execz .LBB58_345
; %bb.344:
	s_delay_alu instid0(VALU_DEP_1) | instskip(SKIP_1) | instid1(VALU_DEP_2)
	v_div_scale_f32 v69, null, v66, v66, v67
	v_div_scale_f32 v77, vcc_lo, v67, v66, v67
	v_rcp_f32_e32 v75, v69
	v_nop
	s_delay_alu instid0(TRANS32_DEP_1) | instskip(NEXT) | instid1(VALU_DEP_1)
	v_fma_f32 v76, -v69, v75, 1.0
	v_fmac_f32_e32 v75, v76, v75
	s_delay_alu instid0(VALU_DEP_1) | instskip(NEXT) | instid1(VALU_DEP_1)
	v_mul_f32_e32 v76, v77, v75
	v_fma_f32 v78, -v69, v76, v77
	s_delay_alu instid0(VALU_DEP_1) | instskip(NEXT) | instid1(VALU_DEP_1)
	v_fmac_f32_e32 v76, v78, v75
	v_fma_f32 v69, -v69, v76, v77
	s_delay_alu instid0(VALU_DEP_1) | instskip(NEXT) | instid1(VALU_DEP_1)
	v_div_fmas_f32 v69, v69, v75, v76
	v_div_fixup_f32 v69, v69, v66, v67
	s_delay_alu instid0(VALU_DEP_1) | instskip(NEXT) | instid1(VALU_DEP_1)
	v_fmac_f32_e32 v66, v67, v69
	v_div_scale_f32 v67, null, v66, v66, 1.0
	s_delay_alu instid0(VALU_DEP_1) | instskip(SKIP_1) | instid1(TRANS32_DEP_1)
	v_rcp_f32_e32 v75, v67
	v_nop
	v_fma_f32 v76, -v67, v75, 1.0
	s_delay_alu instid0(VALU_DEP_1) | instskip(SKIP_1) | instid1(VALU_DEP_1)
	v_fmac_f32_e32 v75, v76, v75
	v_div_scale_f32 v76, vcc_lo, 1.0, v66, 1.0
	v_mul_f32_e32 v77, v76, v75
	s_delay_alu instid0(VALU_DEP_1) | instskip(NEXT) | instid1(VALU_DEP_1)
	v_fma_f32 v78, -v67, v77, v76
	v_fmac_f32_e32 v77, v78, v75
	s_delay_alu instid0(VALU_DEP_1) | instskip(NEXT) | instid1(VALU_DEP_1)
	v_fma_f32 v67, -v67, v77, v76
	v_div_fmas_f32 v67, v67, v75, v77
	s_delay_alu instid0(VALU_DEP_1) | instskip(NEXT) | instid1(VALU_DEP_1)
	v_div_fixup_f32 v66, v67, v66, 1.0
	v_mul_f32_e64 v67, v69, -v66
.LBB58_345:
	s_or_b32 exec_lo, exec_lo, s1
.LBB58_346:
	s_delay_alu instid0(SALU_CYCLE_1) | instskip(NEXT) | instid1(SALU_CYCLE_1)
	s_or_b32 exec_lo, exec_lo, s0
	s_mov_b32 s0, exec_lo
	v_cmpx_ne_u32_e64 v74, v68
	s_xor_b32 s0, exec_lo, s0
	s_cbranch_execz .LBB58_352
; %bb.347:
	s_mov_b32 s1, exec_lo
	v_cmpx_eq_u32_e32 16, v74
	s_cbranch_execz .LBB58_351
; %bb.348:
	v_cmp_ne_u32_e32 vcc_lo, 16, v68
	s_xor_b32 s12, s16, -1
	s_delay_alu instid0(SALU_CYCLE_1) | instskip(NEXT) | instid1(SALU_CYCLE_1)
	s_and_b32 s13, s12, vcc_lo
	s_and_saveexec_b32 s12, s13
	s_cbranch_execz .LBB58_350
; %bb.349:
	v_ashrrev_i32_e32 v69, 31, v68
	s_delay_alu instid0(VALU_DEP_1)
	v_lshl_add_u64 v[74:75], v[68:69], 2, v[4:5]
	s_clause 0x1
	global_load_b32 v69, v[74:75], off
	global_load_b32 v73, v[4:5], off offset:64
	s_wait_loadcnt 0x1
	global_store_b32 v[4:5], v69, off offset:64
	s_wait_loadcnt 0x0
	global_store_b32 v[74:75], v73, off
.LBB58_350:
	s_wait_xcnt 0x0
	s_or_b32 exec_lo, exec_lo, s12
	v_dual_mov_b32 v74, v68 :: v_dual_mov_b32 v73, v68
.LBB58_351:
	s_or_b32 exec_lo, exec_lo, s1
.LBB58_352:
	s_and_not1_saveexec_b32 s0, s0
	s_cbranch_execz .LBB58_354
; %bb.353:
	v_mov_b32_e32 v74, 16
	ds_store_2addr_b64 v70, v[36:37], v[38:39] offset0:17 offset1:18
	ds_store_2addr_b64 v70, v[34:35], v[52:53] offset0:19 offset1:20
	;; [unrolled: 1-line block ×6, first 2 shown]
	ds_store_b64 v70, v[64:65] offset:232
.LBB58_354:
	s_or_b32 exec_lo, exec_lo, s0
	s_delay_alu instid0(SALU_CYCLE_1)
	s_mov_b32 s0, exec_lo
	s_wait_storecnt_dscnt 0x0
	s_barrier_signal -1
	s_barrier_wait -1
	v_cmpx_lt_i32_e32 16, v74
	s_cbranch_execz .LBB58_356
; %bb.355:
	v_pk_mul_f32 v[68:69], v[66:67], v[54:55] op_sel:[1,1] op_sel_hi:[0,1]
	s_delay_alu instid0(VALU_DEP_1)
	v_pk_fma_f32 v[76:77], v[66:67], v[54:55], v[68:69] op_sel_hi:[1,0,1] neg_lo:[0,0,1] neg_hi:[0,0,1]
	v_pk_fma_f32 v[78:79], v[66:67], v[54:55], v[68:69] op_sel_hi:[1,0,1]
	ds_load_2addr_b64 v[66:69], v70 offset0:17 offset1:18
	v_dual_mov_b32 v54, v76 :: v_dual_mov_b32 v55, v79
	s_wait_dscnt 0x0
	v_pk_mul_f32 v[80:81], v[66:67], v[78:79] op_sel:[0,1]
	s_delay_alu instid0(VALU_DEP_1) | instskip(SKIP_1) | instid1(VALU_DEP_1)
	v_pk_fma_f32 v[82:83], v[66:67], v[76:77], v[80:81] op_sel:[0,0,1] op_sel_hi:[1,1,0] neg_lo:[0,0,1] neg_hi:[0,0,1]
	v_pk_fma_f32 v[66:67], v[66:67], v[76:77], v[80:81] op_sel:[0,0,1] op_sel_hi:[1,0,0]
	v_mov_b32_e32 v83, v67
	v_pk_mul_f32 v[66:67], v[68:69], v[78:79] op_sel:[0,1]
	s_delay_alu instid0(VALU_DEP_1) | instskip(SKIP_1) | instid1(VALU_DEP_1)
	v_pk_fma_f32 v[80:81], v[68:69], v[76:77], v[66:67] op_sel:[0,0,1] op_sel_hi:[1,1,0] neg_lo:[0,0,1] neg_hi:[0,0,1]
	v_pk_fma_f32 v[66:67], v[68:69], v[76:77], v[66:67] op_sel:[0,0,1] op_sel_hi:[1,0,0]
	v_mov_b32_e32 v81, v67
	ds_load_2addr_b64 v[66:69], v70 offset0:19 offset1:20
	v_pk_add_f32 v[36:37], v[36:37], v[82:83] neg_lo:[0,1] neg_hi:[0,1]
	v_pk_add_f32 v[38:39], v[38:39], v[80:81] neg_lo:[0,1] neg_hi:[0,1]
	s_wait_dscnt 0x0
	v_pk_mul_f32 v[80:81], v[66:67], v[78:79] op_sel:[0,1]
	s_delay_alu instid0(VALU_DEP_1) | instskip(SKIP_2) | instid1(VALU_DEP_2)
	v_pk_fma_f32 v[82:83], v[66:67], v[76:77], v[80:81] op_sel:[0,0,1] op_sel_hi:[1,1,0] neg_lo:[0,0,1] neg_hi:[0,0,1]
	v_pk_fma_f32 v[66:67], v[66:67], v[76:77], v[80:81] op_sel:[0,0,1] op_sel_hi:[1,0,0]
	v_dual_mul_f32 v80, v69, v79 :: v_dual_mov_b32 v66, v69
	v_dual_mov_b32 v83, v67 :: v_dual_mov_b32 v67, v68
	s_delay_alu instid0(VALU_DEP_2) | instskip(SKIP_1) | instid1(VALU_DEP_3)
	v_pk_fma_f32 v[80:81], v[68:69], v[54:55], v[80:81] op_sel_hi:[1,1,0] neg_lo:[0,0,1] neg_hi:[0,0,1]
	v_mul_f32_e32 v68, v69, v76
	v_pk_add_f32 v[34:35], v[34:35], v[82:83] neg_lo:[0,1] neg_hi:[0,1]
	s_delay_alu instid0(VALU_DEP_2) | instskip(NEXT) | instid1(VALU_DEP_1)
	v_pk_fma_f32 v[66:67], v[66:67], v[54:55], v[68:69] op_sel_hi:[1,1,0]
	v_mov_b32_e32 v81, v67
	ds_load_2addr_b64 v[66:69], v70 offset0:21 offset1:22
	v_pk_add_f32 v[52:53], v[52:53], v[80:81] neg_lo:[0,1] neg_hi:[0,1]
	s_wait_dscnt 0x0
	v_pk_mul_f32 v[80:81], v[66:67], v[78:79] op_sel:[0,1]
	s_delay_alu instid0(VALU_DEP_1) | instskip(SKIP_1) | instid1(VALU_DEP_1)
	v_pk_fma_f32 v[82:83], v[66:67], v[76:77], v[80:81] op_sel:[0,0,1] op_sel_hi:[1,1,0] neg_lo:[0,0,1] neg_hi:[0,0,1]
	v_pk_fma_f32 v[66:67], v[66:67], v[76:77], v[80:81] op_sel:[0,0,1] op_sel_hi:[1,0,0]
	v_mov_b32_e32 v83, v67
	v_pk_mul_f32 v[66:67], v[68:69], v[78:79] op_sel:[0,1]
	s_delay_alu instid0(VALU_DEP_1) | instskip(SKIP_1) | instid1(VALU_DEP_1)
	v_pk_fma_f32 v[80:81], v[68:69], v[76:77], v[66:67] op_sel:[0,0,1] op_sel_hi:[1,1,0] neg_lo:[0,0,1] neg_hi:[0,0,1]
	v_pk_fma_f32 v[66:67], v[68:69], v[76:77], v[66:67] op_sel:[0,0,1] op_sel_hi:[1,0,0]
	v_mov_b32_e32 v81, v67
	ds_load_2addr_b64 v[66:69], v70 offset0:23 offset1:24
	v_pk_add_f32 v[28:29], v[28:29], v[82:83] neg_lo:[0,1] neg_hi:[0,1]
	v_pk_add_f32 v[30:31], v[30:31], v[80:81] neg_lo:[0,1] neg_hi:[0,1]
	s_wait_dscnt 0x0
	v_pk_mul_f32 v[80:81], v[66:67], v[78:79] op_sel:[0,1]
	s_delay_alu instid0(VALU_DEP_1) | instskip(SKIP_1) | instid1(VALU_DEP_1)
	v_pk_fma_f32 v[82:83], v[66:67], v[76:77], v[80:81] op_sel:[0,0,1] op_sel_hi:[1,1,0] neg_lo:[0,0,1] neg_hi:[0,0,1]
	v_pk_fma_f32 v[66:67], v[66:67], v[76:77], v[80:81] op_sel:[0,0,1] op_sel_hi:[1,0,0]
	v_mov_b32_e32 v83, v67
	v_pk_mul_f32 v[66:67], v[68:69], v[78:79] op_sel:[0,1]
	s_delay_alu instid0(VALU_DEP_1) | instskip(SKIP_1) | instid1(VALU_DEP_1)
	v_pk_fma_f32 v[80:81], v[68:69], v[76:77], v[66:67] op_sel:[0,0,1] op_sel_hi:[1,1,0] neg_lo:[0,0,1] neg_hi:[0,0,1]
	v_pk_fma_f32 v[66:67], v[68:69], v[76:77], v[66:67] op_sel:[0,0,1] op_sel_hi:[1,0,0]
	v_mov_b32_e32 v81, v67
	ds_load_2addr_b64 v[66:69], v70 offset0:25 offset1:26
	v_pk_add_f32 v[26:27], v[26:27], v[82:83] neg_lo:[0,1] neg_hi:[0,1]
	v_pk_add_f32 v[44:45], v[44:45], v[80:81] neg_lo:[0,1] neg_hi:[0,1]
	s_wait_dscnt 0x0
	v_dual_mul_f32 v80, v67, v79 :: v_dual_mul_f32 v82, v67, v76
	s_delay_alu instid0(VALU_DEP_1) | instskip(NEXT) | instid1(VALU_DEP_2)
	v_pk_fma_f32 v[80:81], v[66:67], v[54:55], v[80:81] op_sel_hi:[1,1,0] neg_lo:[0,0,1] neg_hi:[0,0,1]
	v_pk_fma_f32 v[66:67], v[66:67], v[54:55], v[82:83] op_sel:[1,0,0] op_sel_hi:[0,1,0]
	s_delay_alu instid0(VALU_DEP_1) | instskip(SKIP_1) | instid1(VALU_DEP_2)
	v_mov_b32_e32 v81, v67
	v_pk_mul_f32 v[66:67], v[68:69], v[78:79] op_sel:[0,1]
	v_pk_add_f32 v[24:25], v[24:25], v[80:81] neg_lo:[0,1] neg_hi:[0,1]
	s_delay_alu instid0(VALU_DEP_2) | instskip(SKIP_1) | instid1(VALU_DEP_1)
	v_pk_fma_f32 v[80:81], v[68:69], v[76:77], v[66:67] op_sel:[0,0,1] op_sel_hi:[1,1,0] neg_lo:[0,0,1] neg_hi:[0,0,1]
	v_pk_fma_f32 v[66:67], v[68:69], v[76:77], v[66:67] op_sel:[0,0,1] op_sel_hi:[1,0,0]
	v_mov_b32_e32 v81, v67
	ds_load_2addr_b64 v[66:69], v70 offset0:27 offset1:28
	v_pk_add_f32 v[42:43], v[42:43], v[80:81] neg_lo:[0,1] neg_hi:[0,1]
	s_wait_dscnt 0x0
	v_pk_mul_f32 v[80:81], v[66:67], v[78:79] op_sel:[0,1]
	s_delay_alu instid0(VALU_DEP_1) | instskip(SKIP_1) | instid1(VALU_DEP_1)
	v_pk_fma_f32 v[82:83], v[66:67], v[76:77], v[80:81] op_sel:[0,0,1] op_sel_hi:[1,1,0] neg_lo:[0,0,1] neg_hi:[0,0,1]
	v_pk_fma_f32 v[66:67], v[66:67], v[76:77], v[80:81] op_sel:[0,0,1] op_sel_hi:[1,0,0]
	v_mov_b32_e32 v83, v67
	v_pk_mul_f32 v[66:67], v[68:69], v[78:79] op_sel:[0,1]
	s_delay_alu instid0(VALU_DEP_2) | instskip(NEXT) | instid1(VALU_DEP_2)
	v_pk_add_f32 v[40:41], v[40:41], v[82:83] neg_lo:[0,1] neg_hi:[0,1]
	v_pk_fma_f32 v[80:81], v[68:69], v[76:77], v[66:67] op_sel:[0,0,1] op_sel_hi:[1,1,0] neg_lo:[0,0,1] neg_hi:[0,0,1]
	v_pk_fma_f32 v[66:67], v[68:69], v[76:77], v[66:67] op_sel:[0,0,1] op_sel_hi:[1,0,0]
	s_delay_alu instid0(VALU_DEP_1) | instskip(SKIP_4) | instid1(VALU_DEP_1)
	v_mov_b32_e32 v81, v67
	ds_load_b64 v[66:67], v70 offset:232
	v_pk_add_f32 v[32:33], v[32:33], v[80:81] neg_lo:[0,1] neg_hi:[0,1]
	s_wait_dscnt 0x0
	v_pk_mul_f32 v[68:69], v[66:67], v[78:79] op_sel:[0,1]
	v_pk_fma_f32 v[78:79], v[66:67], v[76:77], v[68:69] op_sel:[0,0,1] op_sel_hi:[1,1,0] neg_lo:[0,0,1] neg_hi:[0,0,1]
	v_pk_fma_f32 v[66:67], v[66:67], v[76:77], v[68:69] op_sel:[0,0,1] op_sel_hi:[1,0,0]
	s_delay_alu instid0(VALU_DEP_1) | instskip(NEXT) | instid1(VALU_DEP_1)
	v_mov_b32_e32 v79, v67
	v_pk_add_f32 v[64:65], v[64:65], v[78:79] neg_lo:[0,1] neg_hi:[0,1]
.LBB58_356:
	s_or_b32 exec_lo, exec_lo, s0
	v_lshl_add_u32 v66, v74, 3, v70
	s_barrier_signal -1
	s_barrier_wait -1
	ds_store_b64 v66, v[36:37]
	s_wait_dscnt 0x0
	s_barrier_signal -1
	s_barrier_wait -1
	ds_load_b64 v[66:67], v70 offset:136
	v_mov_b32_e32 v68, 17
	s_cmp_lt_i32 s18, 19
	s_cbranch_scc1 .LBB58_359
; %bb.357:
	v_add3_u32 v69, v71, 0, 0x90
	v_mov_b32_e32 v68, 17
	s_mov_b32 s0, 18
.LBB58_358:                             ; =>This Inner Loop Header: Depth=1
	ds_load_b64 v[76:77], v69
	s_wait_dscnt 0x1
	v_cmp_gt_f32_e32 vcc_lo, 0, v66
	v_cndmask_b32_e64 v78, v66, -v66, vcc_lo
	v_cmp_gt_f32_e32 vcc_lo, 0, v67
	v_cndmask_b32_e64 v80, v67, -v67, vcc_lo
	s_wait_dscnt 0x0
	v_cmp_gt_f32_e32 vcc_lo, 0, v76
	v_cndmask_b32_e64 v79, v76, -v76, vcc_lo
	v_cmp_gt_f32_e32 vcc_lo, 0, v77
	v_cndmask_b32_e64 v81, v77, -v77, vcc_lo
	s_delay_alu instid0(VALU_DEP_1) | instskip(NEXT) | instid1(VALU_DEP_1)
	v_pk_add_f32 v[78:79], v[78:79], v[80:81]
	v_cmp_lt_f32_e32 vcc_lo, v78, v79
	v_dual_cndmask_b32 v66, v66, v76 :: v_dual_add_nc_u32 v69, 8, v69
	v_cndmask_b32_e32 v67, v67, v77, vcc_lo
	v_cndmask_b32_e64 v68, v68, s0, vcc_lo
	s_add_co_i32 s0, s0, 1
	s_delay_alu instid0(SALU_CYCLE_1)
	s_cmp_lg_u32 s18, s0
	s_cbranch_scc1 .LBB58_358
.LBB58_359:
	s_wait_dscnt 0x0
	v_cmp_eq_f32_e32 vcc_lo, 0, v66
	v_cmp_eq_f32_e64 s0, 0, v67
	s_and_b32 s0, vcc_lo, s0
	s_delay_alu instid0(SALU_CYCLE_1) | instskip(NEXT) | instid1(SALU_CYCLE_1)
	s_and_saveexec_b32 s1, s0
	s_xor_b32 s0, exec_lo, s1
; %bb.360:
	v_cmp_ne_u32_e32 vcc_lo, 0, v72
	v_cndmask_b32_e32 v72, 18, v72, vcc_lo
; %bb.361:
	s_and_not1_saveexec_b32 s0, s0
	s_cbranch_execz .LBB58_367
; %bb.362:
	v_cmp_ngt_f32_e64 s1, |v66|, |v67|
	s_and_saveexec_b32 s12, s1
	s_delay_alu instid0(SALU_CYCLE_1)
	s_xor_b32 s1, exec_lo, s12
	s_cbranch_execz .LBB58_364
; %bb.363:
	v_div_scale_f32 v69, null, v67, v67, v66
	v_div_scale_f32 v77, vcc_lo, v66, v67, v66
	s_delay_alu instid0(VALU_DEP_2) | instskip(SKIP_1) | instid1(TRANS32_DEP_1)
	v_rcp_f32_e32 v75, v69
	v_nop
	v_fma_f32 v76, -v69, v75, 1.0
	s_delay_alu instid0(VALU_DEP_1) | instskip(NEXT) | instid1(VALU_DEP_1)
	v_fmac_f32_e32 v75, v76, v75
	v_mul_f32_e32 v76, v77, v75
	s_delay_alu instid0(VALU_DEP_1) | instskip(NEXT) | instid1(VALU_DEP_1)
	v_fma_f32 v78, -v69, v76, v77
	v_fmac_f32_e32 v76, v78, v75
	s_delay_alu instid0(VALU_DEP_1) | instskip(NEXT) | instid1(VALU_DEP_1)
	v_fma_f32 v69, -v69, v76, v77
	v_div_fmas_f32 v69, v69, v75, v76
	s_delay_alu instid0(VALU_DEP_1) | instskip(NEXT) | instid1(VALU_DEP_1)
	v_div_fixup_f32 v69, v69, v67, v66
	v_fmac_f32_e32 v67, v66, v69
	s_delay_alu instid0(VALU_DEP_1) | instskip(SKIP_1) | instid1(VALU_DEP_2)
	v_div_scale_f32 v66, null, v67, v67, 1.0
	v_div_scale_f32 v77, vcc_lo, 1.0, v67, 1.0
	v_rcp_f32_e32 v75, v66
	v_nop
	s_delay_alu instid0(TRANS32_DEP_1) | instskip(NEXT) | instid1(VALU_DEP_1)
	v_fma_f32 v76, -v66, v75, 1.0
	v_fmac_f32_e32 v75, v76, v75
	s_delay_alu instid0(VALU_DEP_1) | instskip(NEXT) | instid1(VALU_DEP_1)
	v_mul_f32_e32 v76, v77, v75
	v_fma_f32 v78, -v66, v76, v77
	s_delay_alu instid0(VALU_DEP_1) | instskip(NEXT) | instid1(VALU_DEP_1)
	v_fmac_f32_e32 v76, v78, v75
	v_fma_f32 v66, -v66, v76, v77
	s_delay_alu instid0(VALU_DEP_1) | instskip(NEXT) | instid1(VALU_DEP_1)
	v_div_fmas_f32 v66, v66, v75, v76
	v_div_fixup_f32 v67, v66, v67, 1.0
	s_delay_alu instid0(VALU_DEP_1)
	v_mul_f32_e32 v66, v69, v67
	v_xor_b32_e32 v67, 0x80000000, v67
.LBB58_364:
	s_and_not1_saveexec_b32 s1, s1
	s_cbranch_execz .LBB58_366
; %bb.365:
	s_delay_alu instid0(VALU_DEP_1) | instskip(SKIP_1) | instid1(VALU_DEP_2)
	v_div_scale_f32 v69, null, v66, v66, v67
	v_div_scale_f32 v77, vcc_lo, v67, v66, v67
	v_rcp_f32_e32 v75, v69
	v_nop
	s_delay_alu instid0(TRANS32_DEP_1) | instskip(NEXT) | instid1(VALU_DEP_1)
	v_fma_f32 v76, -v69, v75, 1.0
	v_fmac_f32_e32 v75, v76, v75
	s_delay_alu instid0(VALU_DEP_1) | instskip(NEXT) | instid1(VALU_DEP_1)
	v_mul_f32_e32 v76, v77, v75
	v_fma_f32 v78, -v69, v76, v77
	s_delay_alu instid0(VALU_DEP_1) | instskip(NEXT) | instid1(VALU_DEP_1)
	v_fmac_f32_e32 v76, v78, v75
	v_fma_f32 v69, -v69, v76, v77
	s_delay_alu instid0(VALU_DEP_1) | instskip(NEXT) | instid1(VALU_DEP_1)
	v_div_fmas_f32 v69, v69, v75, v76
	v_div_fixup_f32 v69, v69, v66, v67
	s_delay_alu instid0(VALU_DEP_1) | instskip(NEXT) | instid1(VALU_DEP_1)
	v_fmac_f32_e32 v66, v67, v69
	v_div_scale_f32 v67, null, v66, v66, 1.0
	s_delay_alu instid0(VALU_DEP_1) | instskip(SKIP_1) | instid1(TRANS32_DEP_1)
	v_rcp_f32_e32 v75, v67
	v_nop
	v_fma_f32 v76, -v67, v75, 1.0
	s_delay_alu instid0(VALU_DEP_1) | instskip(SKIP_1) | instid1(VALU_DEP_1)
	v_fmac_f32_e32 v75, v76, v75
	v_div_scale_f32 v76, vcc_lo, 1.0, v66, 1.0
	v_mul_f32_e32 v77, v76, v75
	s_delay_alu instid0(VALU_DEP_1) | instskip(NEXT) | instid1(VALU_DEP_1)
	v_fma_f32 v78, -v67, v77, v76
	v_fmac_f32_e32 v77, v78, v75
	s_delay_alu instid0(VALU_DEP_1) | instskip(NEXT) | instid1(VALU_DEP_1)
	v_fma_f32 v67, -v67, v77, v76
	v_div_fmas_f32 v67, v67, v75, v77
	s_delay_alu instid0(VALU_DEP_1) | instskip(NEXT) | instid1(VALU_DEP_1)
	v_div_fixup_f32 v66, v67, v66, 1.0
	v_mul_f32_e64 v67, v69, -v66
.LBB58_366:
	s_or_b32 exec_lo, exec_lo, s1
.LBB58_367:
	s_delay_alu instid0(SALU_CYCLE_1) | instskip(NEXT) | instid1(SALU_CYCLE_1)
	s_or_b32 exec_lo, exec_lo, s0
	s_mov_b32 s0, exec_lo
	v_cmpx_ne_u32_e64 v74, v68
	s_xor_b32 s0, exec_lo, s0
	s_cbranch_execz .LBB58_373
; %bb.368:
	s_mov_b32 s1, exec_lo
	v_cmpx_eq_u32_e32 17, v74
	s_cbranch_execz .LBB58_372
; %bb.369:
	v_cmp_ne_u32_e32 vcc_lo, 17, v68
	s_xor_b32 s12, s16, -1
	s_delay_alu instid0(SALU_CYCLE_1) | instskip(NEXT) | instid1(SALU_CYCLE_1)
	s_and_b32 s13, s12, vcc_lo
	s_and_saveexec_b32 s12, s13
	s_cbranch_execz .LBB58_371
; %bb.370:
	v_ashrrev_i32_e32 v69, 31, v68
	s_delay_alu instid0(VALU_DEP_1)
	v_lshl_add_u64 v[74:75], v[68:69], 2, v[4:5]
	s_clause 0x1
	global_load_b32 v69, v[74:75], off
	global_load_b32 v73, v[4:5], off offset:68
	s_wait_loadcnt 0x1
	global_store_b32 v[4:5], v69, off offset:68
	s_wait_loadcnt 0x0
	global_store_b32 v[74:75], v73, off
.LBB58_371:
	s_wait_xcnt 0x0
	s_or_b32 exec_lo, exec_lo, s12
	v_dual_mov_b32 v74, v68 :: v_dual_mov_b32 v73, v68
.LBB58_372:
	s_or_b32 exec_lo, exec_lo, s1
.LBB58_373:
	s_and_not1_saveexec_b32 s0, s0
	s_cbranch_execz .LBB58_375
; %bb.374:
	v_dual_mov_b32 v68, v38 :: v_dual_mov_b32 v69, v39
	v_dual_mov_b32 v74, v34 :: v_dual_mov_b32 v75, v35
	;; [unrolled: 1-line block ×4, first 2 shown]
	ds_store_2addr_b64 v70, v[68:69], v[74:75] offset0:18 offset1:19
	ds_store_2addr_b64 v70, v[76:77], v[78:79] offset0:20 offset1:21
	v_dual_mov_b32 v68, v30 :: v_dual_mov_b32 v69, v31
	v_dual_mov_b32 v76, v26 :: v_dual_mov_b32 v77, v27
	v_dual_mov_b32 v74, 17 :: v_dual_mov_b32 v78, v44
	v_dual_mov_b32 v79, v45 :: v_dual_mov_b32 v80, v24
	v_dual_mov_b32 v81, v25 :: v_dual_mov_b32 v82, v42
	v_dual_mov_b32 v83, v43 :: v_dual_mov_b32 v84, v40
	v_dual_mov_b32 v85, v41 :: v_dual_mov_b32 v86, v32
	v_mov_b32_e32 v87, v33
	ds_store_2addr_b64 v70, v[68:69], v[76:77] offset0:22 offset1:23
	ds_store_2addr_b64 v70, v[78:79], v[80:81] offset0:24 offset1:25
	;; [unrolled: 1-line block ×4, first 2 shown]
.LBB58_375:
	s_or_b32 exec_lo, exec_lo, s0
	s_delay_alu instid0(SALU_CYCLE_1)
	s_mov_b32 s0, exec_lo
	s_wait_storecnt_dscnt 0x0
	s_barrier_signal -1
	s_barrier_wait -1
	v_cmpx_lt_i32_e32 17, v74
	s_cbranch_execz .LBB58_377
; %bb.376:
	v_pk_mul_f32 v[68:69], v[66:67], v[36:37] op_sel:[1,1] op_sel_hi:[0,1]
	s_delay_alu instid0(VALU_DEP_1)
	v_pk_fma_f32 v[76:77], v[66:67], v[36:37], v[68:69] op_sel_hi:[1,0,1] neg_lo:[0,0,1] neg_hi:[0,0,1]
	v_pk_fma_f32 v[78:79], v[66:67], v[36:37], v[68:69] op_sel_hi:[1,0,1]
	ds_load_2addr_b64 v[66:69], v70 offset0:18 offset1:19
	v_dual_mov_b32 v36, v76 :: v_dual_mov_b32 v37, v79
	s_wait_dscnt 0x0
	v_pk_mul_f32 v[80:81], v[66:67], v[78:79] op_sel:[0,1]
	s_delay_alu instid0(VALU_DEP_1) | instskip(SKIP_1) | instid1(VALU_DEP_1)
	v_pk_fma_f32 v[82:83], v[66:67], v[76:77], v[80:81] op_sel:[0,0,1] op_sel_hi:[1,1,0] neg_lo:[0,0,1] neg_hi:[0,0,1]
	v_pk_fma_f32 v[66:67], v[66:67], v[76:77], v[80:81] op_sel:[0,0,1] op_sel_hi:[1,0,0]
	v_mov_b32_e32 v83, v67
	v_pk_mul_f32 v[66:67], v[68:69], v[78:79] op_sel:[0,1]
	s_delay_alu instid0(VALU_DEP_1) | instskip(SKIP_1) | instid1(VALU_DEP_1)
	v_pk_fma_f32 v[80:81], v[68:69], v[76:77], v[66:67] op_sel:[0,0,1] op_sel_hi:[1,1,0] neg_lo:[0,0,1] neg_hi:[0,0,1]
	v_pk_fma_f32 v[66:67], v[68:69], v[76:77], v[66:67] op_sel:[0,0,1] op_sel_hi:[1,0,0]
	v_mov_b32_e32 v81, v67
	ds_load_2addr_b64 v[66:69], v70 offset0:20 offset1:21
	v_pk_add_f32 v[38:39], v[38:39], v[82:83] neg_lo:[0,1] neg_hi:[0,1]
	v_pk_add_f32 v[34:35], v[34:35], v[80:81] neg_lo:[0,1] neg_hi:[0,1]
	s_wait_dscnt 0x0
	v_pk_mul_f32 v[80:81], v[66:67], v[78:79] op_sel:[0,1]
	s_delay_alu instid0(VALU_DEP_1) | instskip(SKIP_2) | instid1(VALU_DEP_2)
	v_pk_fma_f32 v[82:83], v[66:67], v[76:77], v[80:81] op_sel:[0,0,1] op_sel_hi:[1,1,0] neg_lo:[0,0,1] neg_hi:[0,0,1]
	v_pk_fma_f32 v[66:67], v[66:67], v[76:77], v[80:81] op_sel:[0,0,1] op_sel_hi:[1,0,0]
	v_dual_mul_f32 v80, v69, v79 :: v_dual_mov_b32 v66, v69
	v_dual_mov_b32 v83, v67 :: v_dual_mov_b32 v67, v68
	s_delay_alu instid0(VALU_DEP_2) | instskip(SKIP_1) | instid1(VALU_DEP_3)
	v_pk_fma_f32 v[80:81], v[68:69], v[36:37], v[80:81] op_sel_hi:[1,1,0] neg_lo:[0,0,1] neg_hi:[0,0,1]
	v_mul_f32_e32 v68, v69, v76
	v_pk_add_f32 v[52:53], v[52:53], v[82:83] neg_lo:[0,1] neg_hi:[0,1]
	s_delay_alu instid0(VALU_DEP_2) | instskip(NEXT) | instid1(VALU_DEP_1)
	v_pk_fma_f32 v[66:67], v[66:67], v[36:37], v[68:69] op_sel_hi:[1,1,0]
	v_mov_b32_e32 v81, v67
	ds_load_2addr_b64 v[66:69], v70 offset0:22 offset1:23
	v_pk_add_f32 v[28:29], v[28:29], v[80:81] neg_lo:[0,1] neg_hi:[0,1]
	s_wait_dscnt 0x0
	v_pk_mul_f32 v[80:81], v[66:67], v[78:79] op_sel:[0,1]
	s_delay_alu instid0(VALU_DEP_1) | instskip(SKIP_1) | instid1(VALU_DEP_1)
	v_pk_fma_f32 v[82:83], v[66:67], v[76:77], v[80:81] op_sel:[0,0,1] op_sel_hi:[1,1,0] neg_lo:[0,0,1] neg_hi:[0,0,1]
	v_pk_fma_f32 v[66:67], v[66:67], v[76:77], v[80:81] op_sel:[0,0,1] op_sel_hi:[1,0,0]
	v_mov_b32_e32 v83, v67
	v_pk_mul_f32 v[66:67], v[68:69], v[78:79] op_sel:[0,1]
	s_delay_alu instid0(VALU_DEP_1) | instskip(SKIP_1) | instid1(VALU_DEP_1)
	v_pk_fma_f32 v[80:81], v[68:69], v[76:77], v[66:67] op_sel:[0,0,1] op_sel_hi:[1,1,0] neg_lo:[0,0,1] neg_hi:[0,0,1]
	v_pk_fma_f32 v[66:67], v[68:69], v[76:77], v[66:67] op_sel:[0,0,1] op_sel_hi:[1,0,0]
	v_mov_b32_e32 v81, v67
	ds_load_2addr_b64 v[66:69], v70 offset0:24 offset1:25
	v_pk_add_f32 v[30:31], v[30:31], v[82:83] neg_lo:[0,1] neg_hi:[0,1]
	v_pk_add_f32 v[26:27], v[26:27], v[80:81] neg_lo:[0,1] neg_hi:[0,1]
	s_wait_dscnt 0x0
	v_pk_mul_f32 v[80:81], v[66:67], v[78:79] op_sel:[0,1]
	s_delay_alu instid0(VALU_DEP_1) | instskip(SKIP_1) | instid1(VALU_DEP_1)
	v_pk_fma_f32 v[82:83], v[66:67], v[76:77], v[80:81] op_sel:[0,0,1] op_sel_hi:[1,1,0] neg_lo:[0,0,1] neg_hi:[0,0,1]
	v_pk_fma_f32 v[66:67], v[66:67], v[76:77], v[80:81] op_sel:[0,0,1] op_sel_hi:[1,0,0]
	v_mov_b32_e32 v83, v67
	v_pk_mul_f32 v[66:67], v[68:69], v[78:79] op_sel:[0,1]
	s_delay_alu instid0(VALU_DEP_1) | instskip(SKIP_1) | instid1(VALU_DEP_1)
	v_pk_fma_f32 v[80:81], v[68:69], v[76:77], v[66:67] op_sel:[0,0,1] op_sel_hi:[1,1,0] neg_lo:[0,0,1] neg_hi:[0,0,1]
	v_pk_fma_f32 v[66:67], v[68:69], v[76:77], v[66:67] op_sel:[0,0,1] op_sel_hi:[1,0,0]
	v_mov_b32_e32 v81, v67
	ds_load_2addr_b64 v[66:69], v70 offset0:26 offset1:27
	v_pk_add_f32 v[44:45], v[44:45], v[82:83] neg_lo:[0,1] neg_hi:[0,1]
	v_pk_add_f32 v[24:25], v[24:25], v[80:81] neg_lo:[0,1] neg_hi:[0,1]
	s_wait_dscnt 0x0
	v_dual_mul_f32 v80, v67, v79 :: v_dual_mul_f32 v82, v67, v76
	s_delay_alu instid0(VALU_DEP_1) | instskip(NEXT) | instid1(VALU_DEP_2)
	v_pk_fma_f32 v[80:81], v[66:67], v[36:37], v[80:81] op_sel_hi:[1,1,0] neg_lo:[0,0,1] neg_hi:[0,0,1]
	v_pk_fma_f32 v[66:67], v[66:67], v[36:37], v[82:83] op_sel:[1,0,0] op_sel_hi:[0,1,0]
	s_delay_alu instid0(VALU_DEP_1) | instskip(SKIP_1) | instid1(VALU_DEP_2)
	v_mov_b32_e32 v81, v67
	v_pk_mul_f32 v[66:67], v[68:69], v[78:79] op_sel:[0,1]
	v_pk_add_f32 v[42:43], v[42:43], v[80:81] neg_lo:[0,1] neg_hi:[0,1]
	s_delay_alu instid0(VALU_DEP_2) | instskip(SKIP_1) | instid1(VALU_DEP_1)
	v_pk_fma_f32 v[80:81], v[68:69], v[76:77], v[66:67] op_sel:[0,0,1] op_sel_hi:[1,1,0] neg_lo:[0,0,1] neg_hi:[0,0,1]
	v_pk_fma_f32 v[66:67], v[68:69], v[76:77], v[66:67] op_sel:[0,0,1] op_sel_hi:[1,0,0]
	v_mov_b32_e32 v81, v67
	ds_load_2addr_b64 v[66:69], v70 offset0:28 offset1:29
	v_pk_add_f32 v[40:41], v[40:41], v[80:81] neg_lo:[0,1] neg_hi:[0,1]
	s_wait_dscnt 0x0
	v_pk_mul_f32 v[80:81], v[66:67], v[78:79] op_sel:[0,1]
	v_mul_f32_e32 v78, v69, v79
	s_delay_alu instid0(VALU_DEP_2) | instskip(SKIP_2) | instid1(VALU_DEP_4)
	v_pk_fma_f32 v[82:83], v[66:67], v[76:77], v[80:81] op_sel:[0,0,1] op_sel_hi:[1,1,0] neg_lo:[0,0,1] neg_hi:[0,0,1]
	v_pk_fma_f32 v[66:67], v[66:67], v[76:77], v[80:81] op_sel:[0,0,1] op_sel_hi:[1,0,0]
	v_mov_b32_e32 v66, v69
	v_pk_fma_f32 v[78:79], v[68:69], v[36:37], v[78:79] op_sel_hi:[1,1,0] neg_lo:[0,0,1] neg_hi:[0,0,1]
	s_delay_alu instid0(VALU_DEP_3) | instskip(SKIP_1) | instid1(VALU_DEP_2)
	v_dual_mov_b32 v83, v67 :: v_dual_mov_b32 v67, v68
	v_mul_f32_e32 v68, v69, v76
	v_pk_add_f32 v[32:33], v[32:33], v[82:83] neg_lo:[0,1] neg_hi:[0,1]
	s_delay_alu instid0(VALU_DEP_2) | instskip(NEXT) | instid1(VALU_DEP_1)
	v_pk_fma_f32 v[66:67], v[66:67], v[36:37], v[68:69] op_sel_hi:[1,1,0]
	v_mov_b32_e32 v79, v67
	s_delay_alu instid0(VALU_DEP_1)
	v_pk_add_f32 v[64:65], v[64:65], v[78:79] neg_lo:[0,1] neg_hi:[0,1]
.LBB58_377:
	s_or_b32 exec_lo, exec_lo, s0
	v_lshl_add_u32 v66, v74, 3, v70
	s_barrier_signal -1
	s_barrier_wait -1
	ds_store_b64 v66, v[38:39]
	s_wait_dscnt 0x0
	s_barrier_signal -1
	s_barrier_wait -1
	ds_load_b64 v[66:67], v70 offset:144
	v_mov_b32_e32 v68, 18
	s_cmp_lt_i32 s18, 20
	s_cbranch_scc1 .LBB58_380
; %bb.378:
	v_add3_u32 v69, v71, 0, 0x98
	v_mov_b32_e32 v68, 18
	s_mov_b32 s0, 19
.LBB58_379:                             ; =>This Inner Loop Header: Depth=1
	ds_load_b64 v[76:77], v69
	s_wait_dscnt 0x1
	v_cmp_gt_f32_e32 vcc_lo, 0, v66
	v_cndmask_b32_e64 v78, v66, -v66, vcc_lo
	v_cmp_gt_f32_e32 vcc_lo, 0, v67
	v_cndmask_b32_e64 v80, v67, -v67, vcc_lo
	s_wait_dscnt 0x0
	v_cmp_gt_f32_e32 vcc_lo, 0, v76
	v_cndmask_b32_e64 v79, v76, -v76, vcc_lo
	v_cmp_gt_f32_e32 vcc_lo, 0, v77
	v_cndmask_b32_e64 v81, v77, -v77, vcc_lo
	s_delay_alu instid0(VALU_DEP_1) | instskip(NEXT) | instid1(VALU_DEP_1)
	v_pk_add_f32 v[78:79], v[78:79], v[80:81]
	v_cmp_lt_f32_e32 vcc_lo, v78, v79
	v_dual_cndmask_b32 v66, v66, v76 :: v_dual_add_nc_u32 v69, 8, v69
	v_cndmask_b32_e32 v67, v67, v77, vcc_lo
	v_cndmask_b32_e64 v68, v68, s0, vcc_lo
	s_add_co_i32 s0, s0, 1
	s_delay_alu instid0(SALU_CYCLE_1)
	s_cmp_lg_u32 s18, s0
	s_cbranch_scc1 .LBB58_379
.LBB58_380:
	s_wait_dscnt 0x0
	v_cmp_eq_f32_e32 vcc_lo, 0, v66
	v_cmp_eq_f32_e64 s0, 0, v67
	s_and_b32 s0, vcc_lo, s0
	s_delay_alu instid0(SALU_CYCLE_1) | instskip(NEXT) | instid1(SALU_CYCLE_1)
	s_and_saveexec_b32 s1, s0
	s_xor_b32 s0, exec_lo, s1
; %bb.381:
	v_cmp_ne_u32_e32 vcc_lo, 0, v72
	v_cndmask_b32_e32 v72, 19, v72, vcc_lo
; %bb.382:
	s_and_not1_saveexec_b32 s0, s0
	s_cbranch_execz .LBB58_388
; %bb.383:
	v_cmp_ngt_f32_e64 s1, |v66|, |v67|
	s_and_saveexec_b32 s12, s1
	s_delay_alu instid0(SALU_CYCLE_1)
	s_xor_b32 s1, exec_lo, s12
	s_cbranch_execz .LBB58_385
; %bb.384:
	v_div_scale_f32 v69, null, v67, v67, v66
	v_div_scale_f32 v77, vcc_lo, v66, v67, v66
	s_delay_alu instid0(VALU_DEP_2) | instskip(SKIP_1) | instid1(TRANS32_DEP_1)
	v_rcp_f32_e32 v75, v69
	v_nop
	v_fma_f32 v76, -v69, v75, 1.0
	s_delay_alu instid0(VALU_DEP_1) | instskip(NEXT) | instid1(VALU_DEP_1)
	v_fmac_f32_e32 v75, v76, v75
	v_mul_f32_e32 v76, v77, v75
	s_delay_alu instid0(VALU_DEP_1) | instskip(NEXT) | instid1(VALU_DEP_1)
	v_fma_f32 v78, -v69, v76, v77
	v_fmac_f32_e32 v76, v78, v75
	s_delay_alu instid0(VALU_DEP_1) | instskip(NEXT) | instid1(VALU_DEP_1)
	v_fma_f32 v69, -v69, v76, v77
	v_div_fmas_f32 v69, v69, v75, v76
	s_delay_alu instid0(VALU_DEP_1) | instskip(NEXT) | instid1(VALU_DEP_1)
	v_div_fixup_f32 v69, v69, v67, v66
	v_fmac_f32_e32 v67, v66, v69
	s_delay_alu instid0(VALU_DEP_1) | instskip(SKIP_1) | instid1(VALU_DEP_2)
	v_div_scale_f32 v66, null, v67, v67, 1.0
	v_div_scale_f32 v77, vcc_lo, 1.0, v67, 1.0
	v_rcp_f32_e32 v75, v66
	v_nop
	s_delay_alu instid0(TRANS32_DEP_1) | instskip(NEXT) | instid1(VALU_DEP_1)
	v_fma_f32 v76, -v66, v75, 1.0
	v_fmac_f32_e32 v75, v76, v75
	s_delay_alu instid0(VALU_DEP_1) | instskip(NEXT) | instid1(VALU_DEP_1)
	v_mul_f32_e32 v76, v77, v75
	v_fma_f32 v78, -v66, v76, v77
	s_delay_alu instid0(VALU_DEP_1) | instskip(NEXT) | instid1(VALU_DEP_1)
	v_fmac_f32_e32 v76, v78, v75
	v_fma_f32 v66, -v66, v76, v77
	s_delay_alu instid0(VALU_DEP_1) | instskip(NEXT) | instid1(VALU_DEP_1)
	v_div_fmas_f32 v66, v66, v75, v76
	v_div_fixup_f32 v67, v66, v67, 1.0
	s_delay_alu instid0(VALU_DEP_1)
	v_mul_f32_e32 v66, v69, v67
	v_xor_b32_e32 v67, 0x80000000, v67
.LBB58_385:
	s_and_not1_saveexec_b32 s1, s1
	s_cbranch_execz .LBB58_387
; %bb.386:
	s_delay_alu instid0(VALU_DEP_1) | instskip(SKIP_1) | instid1(VALU_DEP_2)
	v_div_scale_f32 v69, null, v66, v66, v67
	v_div_scale_f32 v77, vcc_lo, v67, v66, v67
	v_rcp_f32_e32 v75, v69
	v_nop
	s_delay_alu instid0(TRANS32_DEP_1) | instskip(NEXT) | instid1(VALU_DEP_1)
	v_fma_f32 v76, -v69, v75, 1.0
	v_fmac_f32_e32 v75, v76, v75
	s_delay_alu instid0(VALU_DEP_1) | instskip(NEXT) | instid1(VALU_DEP_1)
	v_mul_f32_e32 v76, v77, v75
	v_fma_f32 v78, -v69, v76, v77
	s_delay_alu instid0(VALU_DEP_1) | instskip(NEXT) | instid1(VALU_DEP_1)
	v_fmac_f32_e32 v76, v78, v75
	v_fma_f32 v69, -v69, v76, v77
	s_delay_alu instid0(VALU_DEP_1) | instskip(NEXT) | instid1(VALU_DEP_1)
	v_div_fmas_f32 v69, v69, v75, v76
	v_div_fixup_f32 v69, v69, v66, v67
	s_delay_alu instid0(VALU_DEP_1) | instskip(NEXT) | instid1(VALU_DEP_1)
	v_fmac_f32_e32 v66, v67, v69
	v_div_scale_f32 v67, null, v66, v66, 1.0
	s_delay_alu instid0(VALU_DEP_1) | instskip(SKIP_1) | instid1(TRANS32_DEP_1)
	v_rcp_f32_e32 v75, v67
	v_nop
	v_fma_f32 v76, -v67, v75, 1.0
	s_delay_alu instid0(VALU_DEP_1) | instskip(SKIP_1) | instid1(VALU_DEP_1)
	v_fmac_f32_e32 v75, v76, v75
	v_div_scale_f32 v76, vcc_lo, 1.0, v66, 1.0
	v_mul_f32_e32 v77, v76, v75
	s_delay_alu instid0(VALU_DEP_1) | instskip(NEXT) | instid1(VALU_DEP_1)
	v_fma_f32 v78, -v67, v77, v76
	v_fmac_f32_e32 v77, v78, v75
	s_delay_alu instid0(VALU_DEP_1) | instskip(NEXT) | instid1(VALU_DEP_1)
	v_fma_f32 v67, -v67, v77, v76
	v_div_fmas_f32 v67, v67, v75, v77
	s_delay_alu instid0(VALU_DEP_1) | instskip(NEXT) | instid1(VALU_DEP_1)
	v_div_fixup_f32 v66, v67, v66, 1.0
	v_mul_f32_e64 v67, v69, -v66
.LBB58_387:
	s_or_b32 exec_lo, exec_lo, s1
.LBB58_388:
	s_delay_alu instid0(SALU_CYCLE_1) | instskip(NEXT) | instid1(SALU_CYCLE_1)
	s_or_b32 exec_lo, exec_lo, s0
	s_mov_b32 s0, exec_lo
	v_cmpx_ne_u32_e64 v74, v68
	s_xor_b32 s0, exec_lo, s0
	s_cbranch_execz .LBB58_394
; %bb.389:
	s_mov_b32 s1, exec_lo
	v_cmpx_eq_u32_e32 18, v74
	s_cbranch_execz .LBB58_393
; %bb.390:
	v_cmp_ne_u32_e32 vcc_lo, 18, v68
	s_xor_b32 s12, s16, -1
	s_delay_alu instid0(SALU_CYCLE_1) | instskip(NEXT) | instid1(SALU_CYCLE_1)
	s_and_b32 s13, s12, vcc_lo
	s_and_saveexec_b32 s12, s13
	s_cbranch_execz .LBB58_392
; %bb.391:
	v_ashrrev_i32_e32 v69, 31, v68
	s_delay_alu instid0(VALU_DEP_1)
	v_lshl_add_u64 v[74:75], v[68:69], 2, v[4:5]
	s_clause 0x1
	global_load_b32 v69, v[74:75], off
	global_load_b32 v73, v[4:5], off offset:72
	s_wait_loadcnt 0x1
	global_store_b32 v[4:5], v69, off offset:72
	s_wait_loadcnt 0x0
	global_store_b32 v[74:75], v73, off
.LBB58_392:
	s_wait_xcnt 0x0
	s_or_b32 exec_lo, exec_lo, s12
	v_dual_mov_b32 v74, v68 :: v_dual_mov_b32 v73, v68
.LBB58_393:
	s_or_b32 exec_lo, exec_lo, s1
.LBB58_394:
	s_and_not1_saveexec_b32 s0, s0
	s_cbranch_execz .LBB58_396
; %bb.395:
	v_mov_b32_e32 v74, 18
	ds_store_2addr_b64 v70, v[34:35], v[52:53] offset0:19 offset1:20
	ds_store_2addr_b64 v70, v[28:29], v[30:31] offset0:21 offset1:22
	;; [unrolled: 1-line block ×5, first 2 shown]
	ds_store_b64 v70, v[64:65] offset:232
.LBB58_396:
	s_or_b32 exec_lo, exec_lo, s0
	s_delay_alu instid0(SALU_CYCLE_1)
	s_mov_b32 s0, exec_lo
	s_wait_storecnt_dscnt 0x0
	s_barrier_signal -1
	s_barrier_wait -1
	v_cmpx_lt_i32_e32 18, v74
	s_cbranch_execz .LBB58_398
; %bb.397:
	v_pk_mul_f32 v[68:69], v[66:67], v[38:39] op_sel:[1,1] op_sel_hi:[0,1]
	s_delay_alu instid0(VALU_DEP_1)
	v_pk_fma_f32 v[76:77], v[66:67], v[38:39], v[68:69] op_sel_hi:[1,0,1] neg_lo:[0,0,1] neg_hi:[0,0,1]
	v_pk_fma_f32 v[78:79], v[66:67], v[38:39], v[68:69] op_sel_hi:[1,0,1]
	ds_load_2addr_b64 v[66:69], v70 offset0:19 offset1:20
	v_dual_mov_b32 v38, v76 :: v_dual_mov_b32 v39, v79
	s_wait_dscnt 0x0
	v_pk_mul_f32 v[80:81], v[66:67], v[78:79] op_sel:[0,1]
	s_delay_alu instid0(VALU_DEP_1) | instskip(SKIP_1) | instid1(VALU_DEP_1)
	v_pk_fma_f32 v[82:83], v[66:67], v[76:77], v[80:81] op_sel:[0,0,1] op_sel_hi:[1,1,0] neg_lo:[0,0,1] neg_hi:[0,0,1]
	v_pk_fma_f32 v[66:67], v[66:67], v[76:77], v[80:81] op_sel:[0,0,1] op_sel_hi:[1,0,0]
	v_mov_b32_e32 v83, v67
	v_pk_mul_f32 v[66:67], v[68:69], v[78:79] op_sel:[0,1]
	s_delay_alu instid0(VALU_DEP_1) | instskip(SKIP_1) | instid1(VALU_DEP_1)
	v_pk_fma_f32 v[80:81], v[68:69], v[76:77], v[66:67] op_sel:[0,0,1] op_sel_hi:[1,1,0] neg_lo:[0,0,1] neg_hi:[0,0,1]
	v_pk_fma_f32 v[66:67], v[68:69], v[76:77], v[66:67] op_sel:[0,0,1] op_sel_hi:[1,0,0]
	v_mov_b32_e32 v81, v67
	ds_load_2addr_b64 v[66:69], v70 offset0:21 offset1:22
	v_pk_add_f32 v[34:35], v[34:35], v[82:83] neg_lo:[0,1] neg_hi:[0,1]
	v_pk_add_f32 v[52:53], v[52:53], v[80:81] neg_lo:[0,1] neg_hi:[0,1]
	s_wait_dscnt 0x0
	v_pk_mul_f32 v[80:81], v[66:67], v[78:79] op_sel:[0,1]
	s_delay_alu instid0(VALU_DEP_1) | instskip(SKIP_2) | instid1(VALU_DEP_2)
	v_pk_fma_f32 v[82:83], v[66:67], v[76:77], v[80:81] op_sel:[0,0,1] op_sel_hi:[1,1,0] neg_lo:[0,0,1] neg_hi:[0,0,1]
	v_pk_fma_f32 v[66:67], v[66:67], v[76:77], v[80:81] op_sel:[0,0,1] op_sel_hi:[1,0,0]
	v_dual_mul_f32 v80, v69, v79 :: v_dual_mov_b32 v66, v69
	v_dual_mov_b32 v83, v67 :: v_dual_mov_b32 v67, v68
	s_delay_alu instid0(VALU_DEP_2) | instskip(SKIP_1) | instid1(VALU_DEP_3)
	v_pk_fma_f32 v[80:81], v[68:69], v[38:39], v[80:81] op_sel_hi:[1,1,0] neg_lo:[0,0,1] neg_hi:[0,0,1]
	v_mul_f32_e32 v68, v69, v76
	v_pk_add_f32 v[28:29], v[28:29], v[82:83] neg_lo:[0,1] neg_hi:[0,1]
	s_delay_alu instid0(VALU_DEP_2) | instskip(NEXT) | instid1(VALU_DEP_1)
	v_pk_fma_f32 v[66:67], v[66:67], v[38:39], v[68:69] op_sel_hi:[1,1,0]
	v_mov_b32_e32 v81, v67
	ds_load_2addr_b64 v[66:69], v70 offset0:23 offset1:24
	v_pk_add_f32 v[30:31], v[30:31], v[80:81] neg_lo:[0,1] neg_hi:[0,1]
	s_wait_dscnt 0x0
	v_pk_mul_f32 v[80:81], v[66:67], v[78:79] op_sel:[0,1]
	s_delay_alu instid0(VALU_DEP_1) | instskip(SKIP_1) | instid1(VALU_DEP_1)
	v_pk_fma_f32 v[82:83], v[66:67], v[76:77], v[80:81] op_sel:[0,0,1] op_sel_hi:[1,1,0] neg_lo:[0,0,1] neg_hi:[0,0,1]
	v_pk_fma_f32 v[66:67], v[66:67], v[76:77], v[80:81] op_sel:[0,0,1] op_sel_hi:[1,0,0]
	v_mov_b32_e32 v83, v67
	v_pk_mul_f32 v[66:67], v[68:69], v[78:79] op_sel:[0,1]
	s_delay_alu instid0(VALU_DEP_1) | instskip(SKIP_1) | instid1(VALU_DEP_1)
	v_pk_fma_f32 v[80:81], v[68:69], v[76:77], v[66:67] op_sel:[0,0,1] op_sel_hi:[1,1,0] neg_lo:[0,0,1] neg_hi:[0,0,1]
	v_pk_fma_f32 v[66:67], v[68:69], v[76:77], v[66:67] op_sel:[0,0,1] op_sel_hi:[1,0,0]
	v_mov_b32_e32 v81, v67
	ds_load_2addr_b64 v[66:69], v70 offset0:25 offset1:26
	v_pk_add_f32 v[26:27], v[26:27], v[82:83] neg_lo:[0,1] neg_hi:[0,1]
	v_pk_add_f32 v[44:45], v[44:45], v[80:81] neg_lo:[0,1] neg_hi:[0,1]
	s_wait_dscnt 0x0
	v_pk_mul_f32 v[80:81], v[66:67], v[78:79] op_sel:[0,1]
	s_delay_alu instid0(VALU_DEP_1) | instskip(SKIP_1) | instid1(VALU_DEP_1)
	v_pk_fma_f32 v[82:83], v[66:67], v[76:77], v[80:81] op_sel:[0,0,1] op_sel_hi:[1,1,0] neg_lo:[0,0,1] neg_hi:[0,0,1]
	v_pk_fma_f32 v[66:67], v[66:67], v[76:77], v[80:81] op_sel:[0,0,1] op_sel_hi:[1,0,0]
	v_mov_b32_e32 v83, v67
	v_pk_mul_f32 v[66:67], v[68:69], v[78:79] op_sel:[0,1]
	s_delay_alu instid0(VALU_DEP_1) | instskip(SKIP_1) | instid1(VALU_DEP_1)
	v_pk_fma_f32 v[80:81], v[68:69], v[76:77], v[66:67] op_sel:[0,0,1] op_sel_hi:[1,1,0] neg_lo:[0,0,1] neg_hi:[0,0,1]
	v_pk_fma_f32 v[66:67], v[68:69], v[76:77], v[66:67] op_sel:[0,0,1] op_sel_hi:[1,0,0]
	v_mov_b32_e32 v81, v67
	ds_load_2addr_b64 v[66:69], v70 offset0:27 offset1:28
	v_pk_add_f32 v[24:25], v[24:25], v[82:83] neg_lo:[0,1] neg_hi:[0,1]
	v_pk_add_f32 v[42:43], v[42:43], v[80:81] neg_lo:[0,1] neg_hi:[0,1]
	s_wait_dscnt 0x0
	v_dual_mul_f32 v80, v67, v79 :: v_dual_mul_f32 v82, v67, v76
	s_delay_alu instid0(VALU_DEP_1) | instskip(NEXT) | instid1(VALU_DEP_2)
	v_pk_fma_f32 v[80:81], v[66:67], v[38:39], v[80:81] op_sel_hi:[1,1,0] neg_lo:[0,0,1] neg_hi:[0,0,1]
	v_pk_fma_f32 v[66:67], v[66:67], v[38:39], v[82:83] op_sel:[1,0,0] op_sel_hi:[0,1,0]
	s_delay_alu instid0(VALU_DEP_1) | instskip(SKIP_1) | instid1(VALU_DEP_2)
	v_mov_b32_e32 v81, v67
	v_pk_mul_f32 v[66:67], v[68:69], v[78:79] op_sel:[0,1]
	v_pk_add_f32 v[40:41], v[40:41], v[80:81] neg_lo:[0,1] neg_hi:[0,1]
	s_delay_alu instid0(VALU_DEP_2) | instskip(SKIP_1) | instid1(VALU_DEP_1)
	v_pk_fma_f32 v[80:81], v[68:69], v[76:77], v[66:67] op_sel:[0,0,1] op_sel_hi:[1,1,0] neg_lo:[0,0,1] neg_hi:[0,0,1]
	v_pk_fma_f32 v[66:67], v[68:69], v[76:77], v[66:67] op_sel:[0,0,1] op_sel_hi:[1,0,0]
	v_mov_b32_e32 v81, v67
	ds_load_b64 v[66:67], v70 offset:232
	v_pk_add_f32 v[32:33], v[32:33], v[80:81] neg_lo:[0,1] neg_hi:[0,1]
	s_wait_dscnt 0x0
	v_pk_mul_f32 v[68:69], v[66:67], v[78:79] op_sel:[0,1]
	s_delay_alu instid0(VALU_DEP_1) | instskip(SKIP_1) | instid1(VALU_DEP_1)
	v_pk_fma_f32 v[78:79], v[66:67], v[76:77], v[68:69] op_sel:[0,0,1] op_sel_hi:[1,1,0] neg_lo:[0,0,1] neg_hi:[0,0,1]
	v_pk_fma_f32 v[66:67], v[66:67], v[76:77], v[68:69] op_sel:[0,0,1] op_sel_hi:[1,0,0]
	v_mov_b32_e32 v79, v67
	s_delay_alu instid0(VALU_DEP_1)
	v_pk_add_f32 v[64:65], v[64:65], v[78:79] neg_lo:[0,1] neg_hi:[0,1]
.LBB58_398:
	s_or_b32 exec_lo, exec_lo, s0
	v_lshl_add_u32 v66, v74, 3, v70
	s_barrier_signal -1
	s_barrier_wait -1
	ds_store_b64 v66, v[34:35]
	s_wait_dscnt 0x0
	s_barrier_signal -1
	s_barrier_wait -1
	ds_load_b64 v[66:67], v70 offset:152
	v_mov_b32_e32 v68, 19
	s_cmp_lt_i32 s18, 21
	s_cbranch_scc1 .LBB58_401
; %bb.399:
	v_add3_u32 v69, v71, 0, 0xa0
	v_mov_b32_e32 v68, 19
	s_mov_b32 s0, 20
.LBB58_400:                             ; =>This Inner Loop Header: Depth=1
	ds_load_b64 v[76:77], v69
	s_wait_dscnt 0x1
	v_cmp_gt_f32_e32 vcc_lo, 0, v66
	v_cndmask_b32_e64 v78, v66, -v66, vcc_lo
	v_cmp_gt_f32_e32 vcc_lo, 0, v67
	v_cndmask_b32_e64 v80, v67, -v67, vcc_lo
	s_wait_dscnt 0x0
	v_cmp_gt_f32_e32 vcc_lo, 0, v76
	v_cndmask_b32_e64 v79, v76, -v76, vcc_lo
	v_cmp_gt_f32_e32 vcc_lo, 0, v77
	v_cndmask_b32_e64 v81, v77, -v77, vcc_lo
	s_delay_alu instid0(VALU_DEP_1) | instskip(NEXT) | instid1(VALU_DEP_1)
	v_pk_add_f32 v[78:79], v[78:79], v[80:81]
	v_cmp_lt_f32_e32 vcc_lo, v78, v79
	v_dual_cndmask_b32 v66, v66, v76 :: v_dual_add_nc_u32 v69, 8, v69
	v_cndmask_b32_e32 v67, v67, v77, vcc_lo
	v_cndmask_b32_e64 v68, v68, s0, vcc_lo
	s_add_co_i32 s0, s0, 1
	s_delay_alu instid0(SALU_CYCLE_1)
	s_cmp_lg_u32 s18, s0
	s_cbranch_scc1 .LBB58_400
.LBB58_401:
	s_wait_dscnt 0x0
	v_cmp_eq_f32_e32 vcc_lo, 0, v66
	v_cmp_eq_f32_e64 s0, 0, v67
	s_and_b32 s0, vcc_lo, s0
	s_delay_alu instid0(SALU_CYCLE_1) | instskip(NEXT) | instid1(SALU_CYCLE_1)
	s_and_saveexec_b32 s1, s0
	s_xor_b32 s0, exec_lo, s1
; %bb.402:
	v_cmp_ne_u32_e32 vcc_lo, 0, v72
	v_cndmask_b32_e32 v72, 20, v72, vcc_lo
; %bb.403:
	s_and_not1_saveexec_b32 s0, s0
	s_cbranch_execz .LBB58_409
; %bb.404:
	v_cmp_ngt_f32_e64 s1, |v66|, |v67|
	s_and_saveexec_b32 s12, s1
	s_delay_alu instid0(SALU_CYCLE_1)
	s_xor_b32 s1, exec_lo, s12
	s_cbranch_execz .LBB58_406
; %bb.405:
	v_div_scale_f32 v69, null, v67, v67, v66
	v_div_scale_f32 v77, vcc_lo, v66, v67, v66
	s_delay_alu instid0(VALU_DEP_2) | instskip(SKIP_1) | instid1(TRANS32_DEP_1)
	v_rcp_f32_e32 v75, v69
	v_nop
	v_fma_f32 v76, -v69, v75, 1.0
	s_delay_alu instid0(VALU_DEP_1) | instskip(NEXT) | instid1(VALU_DEP_1)
	v_fmac_f32_e32 v75, v76, v75
	v_mul_f32_e32 v76, v77, v75
	s_delay_alu instid0(VALU_DEP_1) | instskip(NEXT) | instid1(VALU_DEP_1)
	v_fma_f32 v78, -v69, v76, v77
	v_fmac_f32_e32 v76, v78, v75
	s_delay_alu instid0(VALU_DEP_1) | instskip(NEXT) | instid1(VALU_DEP_1)
	v_fma_f32 v69, -v69, v76, v77
	v_div_fmas_f32 v69, v69, v75, v76
	s_delay_alu instid0(VALU_DEP_1) | instskip(NEXT) | instid1(VALU_DEP_1)
	v_div_fixup_f32 v69, v69, v67, v66
	v_fmac_f32_e32 v67, v66, v69
	s_delay_alu instid0(VALU_DEP_1) | instskip(SKIP_1) | instid1(VALU_DEP_2)
	v_div_scale_f32 v66, null, v67, v67, 1.0
	v_div_scale_f32 v77, vcc_lo, 1.0, v67, 1.0
	v_rcp_f32_e32 v75, v66
	v_nop
	s_delay_alu instid0(TRANS32_DEP_1) | instskip(NEXT) | instid1(VALU_DEP_1)
	v_fma_f32 v76, -v66, v75, 1.0
	v_fmac_f32_e32 v75, v76, v75
	s_delay_alu instid0(VALU_DEP_1) | instskip(NEXT) | instid1(VALU_DEP_1)
	v_mul_f32_e32 v76, v77, v75
	v_fma_f32 v78, -v66, v76, v77
	s_delay_alu instid0(VALU_DEP_1) | instskip(NEXT) | instid1(VALU_DEP_1)
	v_fmac_f32_e32 v76, v78, v75
	v_fma_f32 v66, -v66, v76, v77
	s_delay_alu instid0(VALU_DEP_1) | instskip(NEXT) | instid1(VALU_DEP_1)
	v_div_fmas_f32 v66, v66, v75, v76
	v_div_fixup_f32 v67, v66, v67, 1.0
	s_delay_alu instid0(VALU_DEP_1)
	v_mul_f32_e32 v66, v69, v67
	v_xor_b32_e32 v67, 0x80000000, v67
.LBB58_406:
	s_and_not1_saveexec_b32 s1, s1
	s_cbranch_execz .LBB58_408
; %bb.407:
	s_delay_alu instid0(VALU_DEP_1) | instskip(SKIP_1) | instid1(VALU_DEP_2)
	v_div_scale_f32 v69, null, v66, v66, v67
	v_div_scale_f32 v77, vcc_lo, v67, v66, v67
	v_rcp_f32_e32 v75, v69
	v_nop
	s_delay_alu instid0(TRANS32_DEP_1) | instskip(NEXT) | instid1(VALU_DEP_1)
	v_fma_f32 v76, -v69, v75, 1.0
	v_fmac_f32_e32 v75, v76, v75
	s_delay_alu instid0(VALU_DEP_1) | instskip(NEXT) | instid1(VALU_DEP_1)
	v_mul_f32_e32 v76, v77, v75
	v_fma_f32 v78, -v69, v76, v77
	s_delay_alu instid0(VALU_DEP_1) | instskip(NEXT) | instid1(VALU_DEP_1)
	v_fmac_f32_e32 v76, v78, v75
	v_fma_f32 v69, -v69, v76, v77
	s_delay_alu instid0(VALU_DEP_1) | instskip(NEXT) | instid1(VALU_DEP_1)
	v_div_fmas_f32 v69, v69, v75, v76
	v_div_fixup_f32 v69, v69, v66, v67
	s_delay_alu instid0(VALU_DEP_1) | instskip(NEXT) | instid1(VALU_DEP_1)
	v_fmac_f32_e32 v66, v67, v69
	v_div_scale_f32 v67, null, v66, v66, 1.0
	s_delay_alu instid0(VALU_DEP_1) | instskip(SKIP_1) | instid1(TRANS32_DEP_1)
	v_rcp_f32_e32 v75, v67
	v_nop
	v_fma_f32 v76, -v67, v75, 1.0
	s_delay_alu instid0(VALU_DEP_1) | instskip(SKIP_1) | instid1(VALU_DEP_1)
	v_fmac_f32_e32 v75, v76, v75
	v_div_scale_f32 v76, vcc_lo, 1.0, v66, 1.0
	v_mul_f32_e32 v77, v76, v75
	s_delay_alu instid0(VALU_DEP_1) | instskip(NEXT) | instid1(VALU_DEP_1)
	v_fma_f32 v78, -v67, v77, v76
	v_fmac_f32_e32 v77, v78, v75
	s_delay_alu instid0(VALU_DEP_1) | instskip(NEXT) | instid1(VALU_DEP_1)
	v_fma_f32 v67, -v67, v77, v76
	v_div_fmas_f32 v67, v67, v75, v77
	s_delay_alu instid0(VALU_DEP_1) | instskip(NEXT) | instid1(VALU_DEP_1)
	v_div_fixup_f32 v66, v67, v66, 1.0
	v_mul_f32_e64 v67, v69, -v66
.LBB58_408:
	s_or_b32 exec_lo, exec_lo, s1
.LBB58_409:
	s_delay_alu instid0(SALU_CYCLE_1) | instskip(NEXT) | instid1(SALU_CYCLE_1)
	s_or_b32 exec_lo, exec_lo, s0
	s_mov_b32 s0, exec_lo
	v_cmpx_ne_u32_e64 v74, v68
	s_xor_b32 s0, exec_lo, s0
	s_cbranch_execz .LBB58_415
; %bb.410:
	s_mov_b32 s1, exec_lo
	v_cmpx_eq_u32_e32 19, v74
	s_cbranch_execz .LBB58_414
; %bb.411:
	v_cmp_ne_u32_e32 vcc_lo, 19, v68
	s_xor_b32 s12, s16, -1
	s_delay_alu instid0(SALU_CYCLE_1) | instskip(NEXT) | instid1(SALU_CYCLE_1)
	s_and_b32 s13, s12, vcc_lo
	s_and_saveexec_b32 s12, s13
	s_cbranch_execz .LBB58_413
; %bb.412:
	v_ashrrev_i32_e32 v69, 31, v68
	s_delay_alu instid0(VALU_DEP_1)
	v_lshl_add_u64 v[74:75], v[68:69], 2, v[4:5]
	s_clause 0x1
	global_load_b32 v69, v[74:75], off
	global_load_b32 v73, v[4:5], off offset:76
	s_wait_loadcnt 0x1
	global_store_b32 v[4:5], v69, off offset:76
	s_wait_loadcnt 0x0
	global_store_b32 v[74:75], v73, off
.LBB58_413:
	s_wait_xcnt 0x0
	s_or_b32 exec_lo, exec_lo, s12
	v_dual_mov_b32 v74, v68 :: v_dual_mov_b32 v73, v68
.LBB58_414:
	s_or_b32 exec_lo, exec_lo, s1
.LBB58_415:
	s_and_not1_saveexec_b32 s0, s0
	s_cbranch_execz .LBB58_417
; %bb.416:
	v_dual_mov_b32 v68, v52 :: v_dual_mov_b32 v69, v53
	v_dual_mov_b32 v76, v28 :: v_dual_mov_b32 v77, v29
	;; [unrolled: 1-line block ×9, first 2 shown]
	v_mov_b32_e32 v91, v33
	ds_store_2addr_b64 v70, v[68:69], v[76:77] offset0:20 offset1:21
	ds_store_2addr_b64 v70, v[78:79], v[80:81] offset0:22 offset1:23
	;; [unrolled: 1-line block ×5, first 2 shown]
.LBB58_417:
	s_or_b32 exec_lo, exec_lo, s0
	s_delay_alu instid0(SALU_CYCLE_1)
	s_mov_b32 s0, exec_lo
	s_wait_storecnt_dscnt 0x0
	s_barrier_signal -1
	s_barrier_wait -1
	v_cmpx_lt_i32_e32 19, v74
	s_cbranch_execz .LBB58_419
; %bb.418:
	v_pk_mul_f32 v[68:69], v[66:67], v[34:35] op_sel:[1,1] op_sel_hi:[0,1]
	s_delay_alu instid0(VALU_DEP_1)
	v_pk_fma_f32 v[76:77], v[66:67], v[34:35], v[68:69] op_sel_hi:[1,0,1] neg_lo:[0,0,1] neg_hi:[0,0,1]
	v_pk_fma_f32 v[78:79], v[66:67], v[34:35], v[68:69] op_sel_hi:[1,0,1]
	ds_load_2addr_b64 v[66:69], v70 offset0:20 offset1:21
	v_dual_mov_b32 v34, v76 :: v_dual_mov_b32 v35, v79
	s_wait_dscnt 0x0
	v_pk_mul_f32 v[80:81], v[66:67], v[78:79] op_sel:[0,1]
	s_delay_alu instid0(VALU_DEP_1) | instskip(SKIP_1) | instid1(VALU_DEP_1)
	v_pk_fma_f32 v[82:83], v[66:67], v[76:77], v[80:81] op_sel:[0,0,1] op_sel_hi:[1,1,0] neg_lo:[0,0,1] neg_hi:[0,0,1]
	v_pk_fma_f32 v[66:67], v[66:67], v[76:77], v[80:81] op_sel:[0,0,1] op_sel_hi:[1,0,0]
	v_mov_b32_e32 v83, v67
	v_pk_mul_f32 v[66:67], v[68:69], v[78:79] op_sel:[0,1]
	s_delay_alu instid0(VALU_DEP_1) | instskip(SKIP_1) | instid1(VALU_DEP_1)
	v_pk_fma_f32 v[80:81], v[68:69], v[76:77], v[66:67] op_sel:[0,0,1] op_sel_hi:[1,1,0] neg_lo:[0,0,1] neg_hi:[0,0,1]
	v_pk_fma_f32 v[66:67], v[68:69], v[76:77], v[66:67] op_sel:[0,0,1] op_sel_hi:[1,0,0]
	v_mov_b32_e32 v81, v67
	ds_load_2addr_b64 v[66:69], v70 offset0:22 offset1:23
	v_pk_add_f32 v[52:53], v[52:53], v[82:83] neg_lo:[0,1] neg_hi:[0,1]
	v_pk_add_f32 v[28:29], v[28:29], v[80:81] neg_lo:[0,1] neg_hi:[0,1]
	s_wait_dscnt 0x0
	v_pk_mul_f32 v[80:81], v[66:67], v[78:79] op_sel:[0,1]
	s_delay_alu instid0(VALU_DEP_1) | instskip(SKIP_2) | instid1(VALU_DEP_2)
	v_pk_fma_f32 v[82:83], v[66:67], v[76:77], v[80:81] op_sel:[0,0,1] op_sel_hi:[1,1,0] neg_lo:[0,0,1] neg_hi:[0,0,1]
	v_pk_fma_f32 v[66:67], v[66:67], v[76:77], v[80:81] op_sel:[0,0,1] op_sel_hi:[1,0,0]
	v_dual_mul_f32 v80, v69, v79 :: v_dual_mov_b32 v66, v69
	v_dual_mov_b32 v83, v67 :: v_dual_mov_b32 v67, v68
	s_delay_alu instid0(VALU_DEP_2) | instskip(SKIP_1) | instid1(VALU_DEP_3)
	v_pk_fma_f32 v[80:81], v[68:69], v[34:35], v[80:81] op_sel_hi:[1,1,0] neg_lo:[0,0,1] neg_hi:[0,0,1]
	v_mul_f32_e32 v68, v69, v76
	v_pk_add_f32 v[30:31], v[30:31], v[82:83] neg_lo:[0,1] neg_hi:[0,1]
	s_delay_alu instid0(VALU_DEP_2) | instskip(NEXT) | instid1(VALU_DEP_1)
	v_pk_fma_f32 v[66:67], v[66:67], v[34:35], v[68:69] op_sel_hi:[1,1,0]
	v_mov_b32_e32 v81, v67
	ds_load_2addr_b64 v[66:69], v70 offset0:24 offset1:25
	v_pk_add_f32 v[26:27], v[26:27], v[80:81] neg_lo:[0,1] neg_hi:[0,1]
	s_wait_dscnt 0x0
	v_pk_mul_f32 v[80:81], v[66:67], v[78:79] op_sel:[0,1]
	s_delay_alu instid0(VALU_DEP_1) | instskip(SKIP_1) | instid1(VALU_DEP_1)
	v_pk_fma_f32 v[82:83], v[66:67], v[76:77], v[80:81] op_sel:[0,0,1] op_sel_hi:[1,1,0] neg_lo:[0,0,1] neg_hi:[0,0,1]
	v_pk_fma_f32 v[66:67], v[66:67], v[76:77], v[80:81] op_sel:[0,0,1] op_sel_hi:[1,0,0]
	v_mov_b32_e32 v83, v67
	v_pk_mul_f32 v[66:67], v[68:69], v[78:79] op_sel:[0,1]
	s_delay_alu instid0(VALU_DEP_1) | instskip(SKIP_1) | instid1(VALU_DEP_1)
	v_pk_fma_f32 v[80:81], v[68:69], v[76:77], v[66:67] op_sel:[0,0,1] op_sel_hi:[1,1,0] neg_lo:[0,0,1] neg_hi:[0,0,1]
	v_pk_fma_f32 v[66:67], v[68:69], v[76:77], v[66:67] op_sel:[0,0,1] op_sel_hi:[1,0,0]
	v_mov_b32_e32 v81, v67
	ds_load_2addr_b64 v[66:69], v70 offset0:26 offset1:27
	v_pk_add_f32 v[44:45], v[44:45], v[82:83] neg_lo:[0,1] neg_hi:[0,1]
	v_pk_add_f32 v[24:25], v[24:25], v[80:81] neg_lo:[0,1] neg_hi:[0,1]
	s_wait_dscnt 0x0
	v_pk_mul_f32 v[80:81], v[66:67], v[78:79] op_sel:[0,1]
	s_delay_alu instid0(VALU_DEP_1) | instskip(SKIP_1) | instid1(VALU_DEP_1)
	v_pk_fma_f32 v[82:83], v[66:67], v[76:77], v[80:81] op_sel:[0,0,1] op_sel_hi:[1,1,0] neg_lo:[0,0,1] neg_hi:[0,0,1]
	v_pk_fma_f32 v[66:67], v[66:67], v[76:77], v[80:81] op_sel:[0,0,1] op_sel_hi:[1,0,0]
	v_mov_b32_e32 v83, v67
	v_pk_mul_f32 v[66:67], v[68:69], v[78:79] op_sel:[0,1]
	s_delay_alu instid0(VALU_DEP_1) | instskip(SKIP_1) | instid1(VALU_DEP_1)
	v_pk_fma_f32 v[80:81], v[68:69], v[76:77], v[66:67] op_sel:[0,0,1] op_sel_hi:[1,1,0] neg_lo:[0,0,1] neg_hi:[0,0,1]
	v_pk_fma_f32 v[66:67], v[68:69], v[76:77], v[66:67] op_sel:[0,0,1] op_sel_hi:[1,0,0]
	v_mov_b32_e32 v81, v67
	ds_load_2addr_b64 v[66:69], v70 offset0:28 offset1:29
	v_pk_add_f32 v[42:43], v[42:43], v[82:83] neg_lo:[0,1] neg_hi:[0,1]
	v_pk_add_f32 v[40:41], v[40:41], v[80:81] neg_lo:[0,1] neg_hi:[0,1]
	s_wait_dscnt 0x0
	v_dual_mul_f32 v80, v67, v79 :: v_dual_mul_f32 v82, v67, v76
	s_delay_alu instid0(VALU_DEP_1) | instskip(NEXT) | instid1(VALU_DEP_2)
	v_pk_fma_f32 v[80:81], v[66:67], v[34:35], v[80:81] op_sel_hi:[1,1,0] neg_lo:[0,0,1] neg_hi:[0,0,1]
	v_pk_fma_f32 v[66:67], v[66:67], v[34:35], v[82:83] op_sel:[1,0,0] op_sel_hi:[0,1,0]
	s_delay_alu instid0(VALU_DEP_1) | instskip(SKIP_1) | instid1(VALU_DEP_1)
	v_mov_b32_e32 v81, v67
	v_pk_mul_f32 v[66:67], v[68:69], v[78:79] op_sel:[0,1]
	v_pk_fma_f32 v[78:79], v[68:69], v[76:77], v[66:67] op_sel:[0,0,1] op_sel_hi:[1,1,0] neg_lo:[0,0,1] neg_hi:[0,0,1]
	v_pk_fma_f32 v[66:67], v[68:69], v[76:77], v[66:67] op_sel:[0,0,1] op_sel_hi:[1,0,0]
	s_delay_alu instid0(VALU_DEP_1) | instskip(SKIP_1) | instid1(VALU_DEP_2)
	v_mov_b32_e32 v79, v67
	v_pk_add_f32 v[32:33], v[32:33], v[80:81] neg_lo:[0,1] neg_hi:[0,1]
	v_pk_add_f32 v[64:65], v[64:65], v[78:79] neg_lo:[0,1] neg_hi:[0,1]
.LBB58_419:
	s_or_b32 exec_lo, exec_lo, s0
	v_lshl_add_u32 v66, v74, 3, v70
	s_barrier_signal -1
	s_barrier_wait -1
	ds_store_b64 v66, v[52:53]
	s_wait_dscnt 0x0
	s_barrier_signal -1
	s_barrier_wait -1
	ds_load_b64 v[66:67], v70 offset:160
	v_mov_b32_e32 v68, 20
	s_cmp_lt_i32 s18, 22
	s_cbranch_scc1 .LBB58_422
; %bb.420:
	v_add3_u32 v69, v71, 0, 0xa8
	v_mov_b32_e32 v68, 20
	s_mov_b32 s0, 21
.LBB58_421:                             ; =>This Inner Loop Header: Depth=1
	ds_load_b64 v[76:77], v69
	s_wait_dscnt 0x1
	v_cmp_gt_f32_e32 vcc_lo, 0, v66
	v_cndmask_b32_e64 v78, v66, -v66, vcc_lo
	v_cmp_gt_f32_e32 vcc_lo, 0, v67
	v_cndmask_b32_e64 v80, v67, -v67, vcc_lo
	s_wait_dscnt 0x0
	v_cmp_gt_f32_e32 vcc_lo, 0, v76
	v_cndmask_b32_e64 v79, v76, -v76, vcc_lo
	v_cmp_gt_f32_e32 vcc_lo, 0, v77
	v_cndmask_b32_e64 v81, v77, -v77, vcc_lo
	s_delay_alu instid0(VALU_DEP_1) | instskip(NEXT) | instid1(VALU_DEP_1)
	v_pk_add_f32 v[78:79], v[78:79], v[80:81]
	v_cmp_lt_f32_e32 vcc_lo, v78, v79
	v_dual_cndmask_b32 v66, v66, v76 :: v_dual_add_nc_u32 v69, 8, v69
	v_cndmask_b32_e32 v67, v67, v77, vcc_lo
	v_cndmask_b32_e64 v68, v68, s0, vcc_lo
	s_add_co_i32 s0, s0, 1
	s_delay_alu instid0(SALU_CYCLE_1)
	s_cmp_lg_u32 s18, s0
	s_cbranch_scc1 .LBB58_421
.LBB58_422:
	s_wait_dscnt 0x0
	v_cmp_eq_f32_e32 vcc_lo, 0, v66
	v_cmp_eq_f32_e64 s0, 0, v67
	s_and_b32 s0, vcc_lo, s0
	s_delay_alu instid0(SALU_CYCLE_1) | instskip(NEXT) | instid1(SALU_CYCLE_1)
	s_and_saveexec_b32 s1, s0
	s_xor_b32 s0, exec_lo, s1
; %bb.423:
	v_cmp_ne_u32_e32 vcc_lo, 0, v72
	v_cndmask_b32_e32 v72, 21, v72, vcc_lo
; %bb.424:
	s_and_not1_saveexec_b32 s0, s0
	s_cbranch_execz .LBB58_430
; %bb.425:
	v_cmp_ngt_f32_e64 s1, |v66|, |v67|
	s_and_saveexec_b32 s12, s1
	s_delay_alu instid0(SALU_CYCLE_1)
	s_xor_b32 s1, exec_lo, s12
	s_cbranch_execz .LBB58_427
; %bb.426:
	v_div_scale_f32 v69, null, v67, v67, v66
	v_div_scale_f32 v77, vcc_lo, v66, v67, v66
	s_delay_alu instid0(VALU_DEP_2) | instskip(SKIP_1) | instid1(TRANS32_DEP_1)
	v_rcp_f32_e32 v75, v69
	v_nop
	v_fma_f32 v76, -v69, v75, 1.0
	s_delay_alu instid0(VALU_DEP_1) | instskip(NEXT) | instid1(VALU_DEP_1)
	v_fmac_f32_e32 v75, v76, v75
	v_mul_f32_e32 v76, v77, v75
	s_delay_alu instid0(VALU_DEP_1) | instskip(NEXT) | instid1(VALU_DEP_1)
	v_fma_f32 v78, -v69, v76, v77
	v_fmac_f32_e32 v76, v78, v75
	s_delay_alu instid0(VALU_DEP_1) | instskip(NEXT) | instid1(VALU_DEP_1)
	v_fma_f32 v69, -v69, v76, v77
	v_div_fmas_f32 v69, v69, v75, v76
	s_delay_alu instid0(VALU_DEP_1) | instskip(NEXT) | instid1(VALU_DEP_1)
	v_div_fixup_f32 v69, v69, v67, v66
	v_fmac_f32_e32 v67, v66, v69
	s_delay_alu instid0(VALU_DEP_1) | instskip(SKIP_1) | instid1(VALU_DEP_2)
	v_div_scale_f32 v66, null, v67, v67, 1.0
	v_div_scale_f32 v77, vcc_lo, 1.0, v67, 1.0
	v_rcp_f32_e32 v75, v66
	v_nop
	s_delay_alu instid0(TRANS32_DEP_1) | instskip(NEXT) | instid1(VALU_DEP_1)
	v_fma_f32 v76, -v66, v75, 1.0
	v_fmac_f32_e32 v75, v76, v75
	s_delay_alu instid0(VALU_DEP_1) | instskip(NEXT) | instid1(VALU_DEP_1)
	v_mul_f32_e32 v76, v77, v75
	v_fma_f32 v78, -v66, v76, v77
	s_delay_alu instid0(VALU_DEP_1) | instskip(NEXT) | instid1(VALU_DEP_1)
	v_fmac_f32_e32 v76, v78, v75
	v_fma_f32 v66, -v66, v76, v77
	s_delay_alu instid0(VALU_DEP_1) | instskip(NEXT) | instid1(VALU_DEP_1)
	v_div_fmas_f32 v66, v66, v75, v76
	v_div_fixup_f32 v67, v66, v67, 1.0
	s_delay_alu instid0(VALU_DEP_1)
	v_mul_f32_e32 v66, v69, v67
	v_xor_b32_e32 v67, 0x80000000, v67
.LBB58_427:
	s_and_not1_saveexec_b32 s1, s1
	s_cbranch_execz .LBB58_429
; %bb.428:
	s_delay_alu instid0(VALU_DEP_1) | instskip(SKIP_1) | instid1(VALU_DEP_2)
	v_div_scale_f32 v69, null, v66, v66, v67
	v_div_scale_f32 v77, vcc_lo, v67, v66, v67
	v_rcp_f32_e32 v75, v69
	v_nop
	s_delay_alu instid0(TRANS32_DEP_1) | instskip(NEXT) | instid1(VALU_DEP_1)
	v_fma_f32 v76, -v69, v75, 1.0
	v_fmac_f32_e32 v75, v76, v75
	s_delay_alu instid0(VALU_DEP_1) | instskip(NEXT) | instid1(VALU_DEP_1)
	v_mul_f32_e32 v76, v77, v75
	v_fma_f32 v78, -v69, v76, v77
	s_delay_alu instid0(VALU_DEP_1) | instskip(NEXT) | instid1(VALU_DEP_1)
	v_fmac_f32_e32 v76, v78, v75
	v_fma_f32 v69, -v69, v76, v77
	s_delay_alu instid0(VALU_DEP_1) | instskip(NEXT) | instid1(VALU_DEP_1)
	v_div_fmas_f32 v69, v69, v75, v76
	v_div_fixup_f32 v69, v69, v66, v67
	s_delay_alu instid0(VALU_DEP_1) | instskip(NEXT) | instid1(VALU_DEP_1)
	v_fmac_f32_e32 v66, v67, v69
	v_div_scale_f32 v67, null, v66, v66, 1.0
	s_delay_alu instid0(VALU_DEP_1) | instskip(SKIP_1) | instid1(TRANS32_DEP_1)
	v_rcp_f32_e32 v75, v67
	v_nop
	v_fma_f32 v76, -v67, v75, 1.0
	s_delay_alu instid0(VALU_DEP_1) | instskip(SKIP_1) | instid1(VALU_DEP_1)
	v_fmac_f32_e32 v75, v76, v75
	v_div_scale_f32 v76, vcc_lo, 1.0, v66, 1.0
	v_mul_f32_e32 v77, v76, v75
	s_delay_alu instid0(VALU_DEP_1) | instskip(NEXT) | instid1(VALU_DEP_1)
	v_fma_f32 v78, -v67, v77, v76
	v_fmac_f32_e32 v77, v78, v75
	s_delay_alu instid0(VALU_DEP_1) | instskip(NEXT) | instid1(VALU_DEP_1)
	v_fma_f32 v67, -v67, v77, v76
	v_div_fmas_f32 v67, v67, v75, v77
	s_delay_alu instid0(VALU_DEP_1) | instskip(NEXT) | instid1(VALU_DEP_1)
	v_div_fixup_f32 v66, v67, v66, 1.0
	v_mul_f32_e64 v67, v69, -v66
.LBB58_429:
	s_or_b32 exec_lo, exec_lo, s1
.LBB58_430:
	s_delay_alu instid0(SALU_CYCLE_1) | instskip(NEXT) | instid1(SALU_CYCLE_1)
	s_or_b32 exec_lo, exec_lo, s0
	s_mov_b32 s0, exec_lo
	v_cmpx_ne_u32_e64 v74, v68
	s_xor_b32 s0, exec_lo, s0
	s_cbranch_execz .LBB58_436
; %bb.431:
	s_mov_b32 s1, exec_lo
	v_cmpx_eq_u32_e32 20, v74
	s_cbranch_execz .LBB58_435
; %bb.432:
	v_cmp_ne_u32_e32 vcc_lo, 20, v68
	s_xor_b32 s12, s16, -1
	s_delay_alu instid0(SALU_CYCLE_1) | instskip(NEXT) | instid1(SALU_CYCLE_1)
	s_and_b32 s13, s12, vcc_lo
	s_and_saveexec_b32 s12, s13
	s_cbranch_execz .LBB58_434
; %bb.433:
	v_ashrrev_i32_e32 v69, 31, v68
	s_delay_alu instid0(VALU_DEP_1)
	v_lshl_add_u64 v[74:75], v[68:69], 2, v[4:5]
	s_clause 0x1
	global_load_b32 v69, v[74:75], off
	global_load_b32 v73, v[4:5], off offset:80
	s_wait_loadcnt 0x1
	global_store_b32 v[4:5], v69, off offset:80
	s_wait_loadcnt 0x0
	global_store_b32 v[74:75], v73, off
.LBB58_434:
	s_wait_xcnt 0x0
	s_or_b32 exec_lo, exec_lo, s12
	v_dual_mov_b32 v74, v68 :: v_dual_mov_b32 v73, v68
.LBB58_435:
	s_or_b32 exec_lo, exec_lo, s1
.LBB58_436:
	s_and_not1_saveexec_b32 s0, s0
	s_cbranch_execz .LBB58_438
; %bb.437:
	v_mov_b32_e32 v74, 20
	ds_store_2addr_b64 v70, v[28:29], v[30:31] offset0:21 offset1:22
	ds_store_2addr_b64 v70, v[26:27], v[44:45] offset0:23 offset1:24
	;; [unrolled: 1-line block ×4, first 2 shown]
	ds_store_b64 v70, v[64:65] offset:232
.LBB58_438:
	s_or_b32 exec_lo, exec_lo, s0
	s_delay_alu instid0(SALU_CYCLE_1)
	s_mov_b32 s0, exec_lo
	s_wait_storecnt_dscnt 0x0
	s_barrier_signal -1
	s_barrier_wait -1
	v_cmpx_lt_i32_e32 20, v74
	s_cbranch_execz .LBB58_440
; %bb.439:
	v_pk_mul_f32 v[68:69], v[66:67], v[52:53] op_sel:[1,1] op_sel_hi:[0,1]
	s_delay_alu instid0(VALU_DEP_1)
	v_pk_fma_f32 v[76:77], v[66:67], v[52:53], v[68:69] op_sel_hi:[1,0,1] neg_lo:[0,0,1] neg_hi:[0,0,1]
	v_pk_fma_f32 v[78:79], v[66:67], v[52:53], v[68:69] op_sel_hi:[1,0,1]
	ds_load_2addr_b64 v[66:69], v70 offset0:21 offset1:22
	v_dual_mov_b32 v52, v76 :: v_dual_mov_b32 v53, v79
	s_wait_dscnt 0x0
	v_pk_mul_f32 v[80:81], v[66:67], v[78:79] op_sel:[0,1]
	s_delay_alu instid0(VALU_DEP_1) | instskip(SKIP_1) | instid1(VALU_DEP_1)
	v_pk_fma_f32 v[82:83], v[66:67], v[76:77], v[80:81] op_sel:[0,0,1] op_sel_hi:[1,1,0] neg_lo:[0,0,1] neg_hi:[0,0,1]
	v_pk_fma_f32 v[66:67], v[66:67], v[76:77], v[80:81] op_sel:[0,0,1] op_sel_hi:[1,0,0]
	v_mov_b32_e32 v83, v67
	v_pk_mul_f32 v[66:67], v[68:69], v[78:79] op_sel:[0,1]
	s_delay_alu instid0(VALU_DEP_1) | instskip(SKIP_1) | instid1(VALU_DEP_1)
	v_pk_fma_f32 v[80:81], v[68:69], v[76:77], v[66:67] op_sel:[0,0,1] op_sel_hi:[1,1,0] neg_lo:[0,0,1] neg_hi:[0,0,1]
	v_pk_fma_f32 v[66:67], v[68:69], v[76:77], v[66:67] op_sel:[0,0,1] op_sel_hi:[1,0,0]
	v_mov_b32_e32 v81, v67
	ds_load_2addr_b64 v[66:69], v70 offset0:23 offset1:24
	v_pk_add_f32 v[28:29], v[28:29], v[82:83] neg_lo:[0,1] neg_hi:[0,1]
	v_pk_add_f32 v[30:31], v[30:31], v[80:81] neg_lo:[0,1] neg_hi:[0,1]
	s_wait_dscnt 0x0
	v_pk_mul_f32 v[80:81], v[66:67], v[78:79] op_sel:[0,1]
	s_delay_alu instid0(VALU_DEP_1) | instskip(SKIP_2) | instid1(VALU_DEP_2)
	v_pk_fma_f32 v[82:83], v[66:67], v[76:77], v[80:81] op_sel:[0,0,1] op_sel_hi:[1,1,0] neg_lo:[0,0,1] neg_hi:[0,0,1]
	v_pk_fma_f32 v[66:67], v[66:67], v[76:77], v[80:81] op_sel:[0,0,1] op_sel_hi:[1,0,0]
	v_dual_mul_f32 v80, v69, v79 :: v_dual_mov_b32 v66, v69
	v_dual_mov_b32 v83, v67 :: v_dual_mov_b32 v67, v68
	s_delay_alu instid0(VALU_DEP_2) | instskip(SKIP_1) | instid1(VALU_DEP_3)
	v_pk_fma_f32 v[80:81], v[68:69], v[52:53], v[80:81] op_sel_hi:[1,1,0] neg_lo:[0,0,1] neg_hi:[0,0,1]
	v_mul_f32_e32 v68, v69, v76
	v_pk_add_f32 v[26:27], v[26:27], v[82:83] neg_lo:[0,1] neg_hi:[0,1]
	s_delay_alu instid0(VALU_DEP_2) | instskip(NEXT) | instid1(VALU_DEP_1)
	v_pk_fma_f32 v[66:67], v[66:67], v[52:53], v[68:69] op_sel_hi:[1,1,0]
	v_mov_b32_e32 v81, v67
	ds_load_2addr_b64 v[66:69], v70 offset0:25 offset1:26
	v_pk_add_f32 v[44:45], v[44:45], v[80:81] neg_lo:[0,1] neg_hi:[0,1]
	s_wait_dscnt 0x0
	v_pk_mul_f32 v[80:81], v[66:67], v[78:79] op_sel:[0,1]
	s_delay_alu instid0(VALU_DEP_1) | instskip(SKIP_1) | instid1(VALU_DEP_1)
	v_pk_fma_f32 v[82:83], v[66:67], v[76:77], v[80:81] op_sel:[0,0,1] op_sel_hi:[1,1,0] neg_lo:[0,0,1] neg_hi:[0,0,1]
	v_pk_fma_f32 v[66:67], v[66:67], v[76:77], v[80:81] op_sel:[0,0,1] op_sel_hi:[1,0,0]
	v_mov_b32_e32 v83, v67
	v_pk_mul_f32 v[66:67], v[68:69], v[78:79] op_sel:[0,1]
	s_delay_alu instid0(VALU_DEP_1) | instskip(SKIP_1) | instid1(VALU_DEP_1)
	v_pk_fma_f32 v[80:81], v[68:69], v[76:77], v[66:67] op_sel:[0,0,1] op_sel_hi:[1,1,0] neg_lo:[0,0,1] neg_hi:[0,0,1]
	v_pk_fma_f32 v[66:67], v[68:69], v[76:77], v[66:67] op_sel:[0,0,1] op_sel_hi:[1,0,0]
	v_mov_b32_e32 v81, v67
	ds_load_2addr_b64 v[66:69], v70 offset0:27 offset1:28
	v_pk_add_f32 v[24:25], v[24:25], v[82:83] neg_lo:[0,1] neg_hi:[0,1]
	v_pk_add_f32 v[42:43], v[42:43], v[80:81] neg_lo:[0,1] neg_hi:[0,1]
	s_wait_dscnt 0x0
	v_pk_mul_f32 v[80:81], v[66:67], v[78:79] op_sel:[0,1]
	s_delay_alu instid0(VALU_DEP_1) | instskip(SKIP_1) | instid1(VALU_DEP_1)
	v_pk_fma_f32 v[82:83], v[66:67], v[76:77], v[80:81] op_sel:[0,0,1] op_sel_hi:[1,1,0] neg_lo:[0,0,1] neg_hi:[0,0,1]
	v_pk_fma_f32 v[66:67], v[66:67], v[76:77], v[80:81] op_sel:[0,0,1] op_sel_hi:[1,0,0]
	v_mov_b32_e32 v83, v67
	v_pk_mul_f32 v[66:67], v[68:69], v[78:79] op_sel:[0,1]
	s_delay_alu instid0(VALU_DEP_1) | instskip(SKIP_1) | instid1(VALU_DEP_1)
	v_pk_fma_f32 v[80:81], v[68:69], v[76:77], v[66:67] op_sel:[0,0,1] op_sel_hi:[1,1,0] neg_lo:[0,0,1] neg_hi:[0,0,1]
	v_pk_fma_f32 v[66:67], v[68:69], v[76:77], v[66:67] op_sel:[0,0,1] op_sel_hi:[1,0,0]
	v_mov_b32_e32 v81, v67
	ds_load_b64 v[66:67], v70 offset:232
	v_pk_add_f32 v[40:41], v[40:41], v[82:83] neg_lo:[0,1] neg_hi:[0,1]
	v_pk_add_f32 v[32:33], v[32:33], v[80:81] neg_lo:[0,1] neg_hi:[0,1]
	s_wait_dscnt 0x0
	v_pk_mul_f32 v[68:69], v[66:67], v[78:79] op_sel:[0,1]
	s_delay_alu instid0(VALU_DEP_1) | instskip(SKIP_1) | instid1(VALU_DEP_1)
	v_pk_fma_f32 v[78:79], v[66:67], v[76:77], v[68:69] op_sel:[0,0,1] op_sel_hi:[1,1,0] neg_lo:[0,0,1] neg_hi:[0,0,1]
	v_pk_fma_f32 v[66:67], v[66:67], v[76:77], v[68:69] op_sel:[0,0,1] op_sel_hi:[1,0,0]
	v_mov_b32_e32 v79, v67
	s_delay_alu instid0(VALU_DEP_1)
	v_pk_add_f32 v[64:65], v[64:65], v[78:79] neg_lo:[0,1] neg_hi:[0,1]
.LBB58_440:
	s_or_b32 exec_lo, exec_lo, s0
	v_lshl_add_u32 v66, v74, 3, v70
	s_barrier_signal -1
	s_barrier_wait -1
	ds_store_b64 v66, v[28:29]
	s_wait_dscnt 0x0
	s_barrier_signal -1
	s_barrier_wait -1
	ds_load_b64 v[66:67], v70 offset:168
	v_mov_b32_e32 v68, 21
	s_cmp_lt_i32 s18, 23
	s_cbranch_scc1 .LBB58_443
; %bb.441:
	v_add3_u32 v69, v71, 0, 0xb0
	v_mov_b32_e32 v68, 21
	s_mov_b32 s0, 22
.LBB58_442:                             ; =>This Inner Loop Header: Depth=1
	ds_load_b64 v[76:77], v69
	s_wait_dscnt 0x1
	v_cmp_gt_f32_e32 vcc_lo, 0, v66
	v_cndmask_b32_e64 v78, v66, -v66, vcc_lo
	v_cmp_gt_f32_e32 vcc_lo, 0, v67
	v_cndmask_b32_e64 v80, v67, -v67, vcc_lo
	s_wait_dscnt 0x0
	v_cmp_gt_f32_e32 vcc_lo, 0, v76
	v_cndmask_b32_e64 v79, v76, -v76, vcc_lo
	v_cmp_gt_f32_e32 vcc_lo, 0, v77
	v_cndmask_b32_e64 v81, v77, -v77, vcc_lo
	s_delay_alu instid0(VALU_DEP_1) | instskip(NEXT) | instid1(VALU_DEP_1)
	v_pk_add_f32 v[78:79], v[78:79], v[80:81]
	v_cmp_lt_f32_e32 vcc_lo, v78, v79
	v_dual_cndmask_b32 v66, v66, v76 :: v_dual_add_nc_u32 v69, 8, v69
	v_cndmask_b32_e32 v67, v67, v77, vcc_lo
	v_cndmask_b32_e64 v68, v68, s0, vcc_lo
	s_add_co_i32 s0, s0, 1
	s_delay_alu instid0(SALU_CYCLE_1)
	s_cmp_lg_u32 s18, s0
	s_cbranch_scc1 .LBB58_442
.LBB58_443:
	s_wait_dscnt 0x0
	v_cmp_eq_f32_e32 vcc_lo, 0, v66
	v_cmp_eq_f32_e64 s0, 0, v67
	s_and_b32 s0, vcc_lo, s0
	s_delay_alu instid0(SALU_CYCLE_1) | instskip(NEXT) | instid1(SALU_CYCLE_1)
	s_and_saveexec_b32 s1, s0
	s_xor_b32 s0, exec_lo, s1
; %bb.444:
	v_cmp_ne_u32_e32 vcc_lo, 0, v72
	v_cndmask_b32_e32 v72, 22, v72, vcc_lo
; %bb.445:
	s_and_not1_saveexec_b32 s0, s0
	s_cbranch_execz .LBB58_451
; %bb.446:
	v_cmp_ngt_f32_e64 s1, |v66|, |v67|
	s_and_saveexec_b32 s12, s1
	s_delay_alu instid0(SALU_CYCLE_1)
	s_xor_b32 s1, exec_lo, s12
	s_cbranch_execz .LBB58_448
; %bb.447:
	v_div_scale_f32 v69, null, v67, v67, v66
	v_div_scale_f32 v77, vcc_lo, v66, v67, v66
	s_delay_alu instid0(VALU_DEP_2) | instskip(SKIP_1) | instid1(TRANS32_DEP_1)
	v_rcp_f32_e32 v75, v69
	v_nop
	v_fma_f32 v76, -v69, v75, 1.0
	s_delay_alu instid0(VALU_DEP_1) | instskip(NEXT) | instid1(VALU_DEP_1)
	v_fmac_f32_e32 v75, v76, v75
	v_mul_f32_e32 v76, v77, v75
	s_delay_alu instid0(VALU_DEP_1) | instskip(NEXT) | instid1(VALU_DEP_1)
	v_fma_f32 v78, -v69, v76, v77
	v_fmac_f32_e32 v76, v78, v75
	s_delay_alu instid0(VALU_DEP_1) | instskip(NEXT) | instid1(VALU_DEP_1)
	v_fma_f32 v69, -v69, v76, v77
	v_div_fmas_f32 v69, v69, v75, v76
	s_delay_alu instid0(VALU_DEP_1) | instskip(NEXT) | instid1(VALU_DEP_1)
	v_div_fixup_f32 v69, v69, v67, v66
	v_fmac_f32_e32 v67, v66, v69
	s_delay_alu instid0(VALU_DEP_1) | instskip(SKIP_1) | instid1(VALU_DEP_2)
	v_div_scale_f32 v66, null, v67, v67, 1.0
	v_div_scale_f32 v77, vcc_lo, 1.0, v67, 1.0
	v_rcp_f32_e32 v75, v66
	v_nop
	s_delay_alu instid0(TRANS32_DEP_1) | instskip(NEXT) | instid1(VALU_DEP_1)
	v_fma_f32 v76, -v66, v75, 1.0
	v_fmac_f32_e32 v75, v76, v75
	s_delay_alu instid0(VALU_DEP_1) | instskip(NEXT) | instid1(VALU_DEP_1)
	v_mul_f32_e32 v76, v77, v75
	v_fma_f32 v78, -v66, v76, v77
	s_delay_alu instid0(VALU_DEP_1) | instskip(NEXT) | instid1(VALU_DEP_1)
	v_fmac_f32_e32 v76, v78, v75
	v_fma_f32 v66, -v66, v76, v77
	s_delay_alu instid0(VALU_DEP_1) | instskip(NEXT) | instid1(VALU_DEP_1)
	v_div_fmas_f32 v66, v66, v75, v76
	v_div_fixup_f32 v67, v66, v67, 1.0
	s_delay_alu instid0(VALU_DEP_1)
	v_mul_f32_e32 v66, v69, v67
	v_xor_b32_e32 v67, 0x80000000, v67
.LBB58_448:
	s_and_not1_saveexec_b32 s1, s1
	s_cbranch_execz .LBB58_450
; %bb.449:
	s_delay_alu instid0(VALU_DEP_1) | instskip(SKIP_1) | instid1(VALU_DEP_2)
	v_div_scale_f32 v69, null, v66, v66, v67
	v_div_scale_f32 v77, vcc_lo, v67, v66, v67
	v_rcp_f32_e32 v75, v69
	v_nop
	s_delay_alu instid0(TRANS32_DEP_1) | instskip(NEXT) | instid1(VALU_DEP_1)
	v_fma_f32 v76, -v69, v75, 1.0
	v_fmac_f32_e32 v75, v76, v75
	s_delay_alu instid0(VALU_DEP_1) | instskip(NEXT) | instid1(VALU_DEP_1)
	v_mul_f32_e32 v76, v77, v75
	v_fma_f32 v78, -v69, v76, v77
	s_delay_alu instid0(VALU_DEP_1) | instskip(NEXT) | instid1(VALU_DEP_1)
	v_fmac_f32_e32 v76, v78, v75
	v_fma_f32 v69, -v69, v76, v77
	s_delay_alu instid0(VALU_DEP_1) | instskip(NEXT) | instid1(VALU_DEP_1)
	v_div_fmas_f32 v69, v69, v75, v76
	v_div_fixup_f32 v69, v69, v66, v67
	s_delay_alu instid0(VALU_DEP_1) | instskip(NEXT) | instid1(VALU_DEP_1)
	v_fmac_f32_e32 v66, v67, v69
	v_div_scale_f32 v67, null, v66, v66, 1.0
	s_delay_alu instid0(VALU_DEP_1) | instskip(SKIP_1) | instid1(TRANS32_DEP_1)
	v_rcp_f32_e32 v75, v67
	v_nop
	v_fma_f32 v76, -v67, v75, 1.0
	s_delay_alu instid0(VALU_DEP_1) | instskip(SKIP_1) | instid1(VALU_DEP_1)
	v_fmac_f32_e32 v75, v76, v75
	v_div_scale_f32 v76, vcc_lo, 1.0, v66, 1.0
	v_mul_f32_e32 v77, v76, v75
	s_delay_alu instid0(VALU_DEP_1) | instskip(NEXT) | instid1(VALU_DEP_1)
	v_fma_f32 v78, -v67, v77, v76
	v_fmac_f32_e32 v77, v78, v75
	s_delay_alu instid0(VALU_DEP_1) | instskip(NEXT) | instid1(VALU_DEP_1)
	v_fma_f32 v67, -v67, v77, v76
	v_div_fmas_f32 v67, v67, v75, v77
	s_delay_alu instid0(VALU_DEP_1) | instskip(NEXT) | instid1(VALU_DEP_1)
	v_div_fixup_f32 v66, v67, v66, 1.0
	v_mul_f32_e64 v67, v69, -v66
.LBB58_450:
	s_or_b32 exec_lo, exec_lo, s1
.LBB58_451:
	s_delay_alu instid0(SALU_CYCLE_1) | instskip(NEXT) | instid1(SALU_CYCLE_1)
	s_or_b32 exec_lo, exec_lo, s0
	s_mov_b32 s0, exec_lo
	v_cmpx_ne_u32_e64 v74, v68
	s_xor_b32 s0, exec_lo, s0
	s_cbranch_execz .LBB58_457
; %bb.452:
	s_mov_b32 s1, exec_lo
	v_cmpx_eq_u32_e32 21, v74
	s_cbranch_execz .LBB58_456
; %bb.453:
	v_cmp_ne_u32_e32 vcc_lo, 21, v68
	s_xor_b32 s12, s16, -1
	s_delay_alu instid0(SALU_CYCLE_1) | instskip(NEXT) | instid1(SALU_CYCLE_1)
	s_and_b32 s13, s12, vcc_lo
	s_and_saveexec_b32 s12, s13
	s_cbranch_execz .LBB58_455
; %bb.454:
	v_ashrrev_i32_e32 v69, 31, v68
	s_delay_alu instid0(VALU_DEP_1)
	v_lshl_add_u64 v[74:75], v[68:69], 2, v[4:5]
	s_clause 0x1
	global_load_b32 v69, v[74:75], off
	global_load_b32 v73, v[4:5], off offset:84
	s_wait_loadcnt 0x1
	global_store_b32 v[4:5], v69, off offset:84
	s_wait_loadcnt 0x0
	global_store_b32 v[74:75], v73, off
.LBB58_455:
	s_wait_xcnt 0x0
	s_or_b32 exec_lo, exec_lo, s12
	v_dual_mov_b32 v74, v68 :: v_dual_mov_b32 v73, v68
.LBB58_456:
	s_or_b32 exec_lo, exec_lo, s1
.LBB58_457:
	s_and_not1_saveexec_b32 s0, s0
	s_cbranch_execz .LBB58_459
; %bb.458:
	v_dual_mov_b32 v68, v30 :: v_dual_mov_b32 v69, v31
	v_dual_mov_b32 v76, v26 :: v_dual_mov_b32 v77, v27
	v_dual_mov_b32 v74, 21 :: v_dual_mov_b32 v78, v44
	v_dual_mov_b32 v79, v45 :: v_dual_mov_b32 v80, v24
	v_dual_mov_b32 v81, v25 :: v_dual_mov_b32 v82, v42
	v_dual_mov_b32 v83, v43 :: v_dual_mov_b32 v84, v40
	v_dual_mov_b32 v85, v41 :: v_dual_mov_b32 v86, v32
	v_mov_b32_e32 v87, v33
	ds_store_2addr_b64 v70, v[68:69], v[76:77] offset0:22 offset1:23
	ds_store_2addr_b64 v70, v[78:79], v[80:81] offset0:24 offset1:25
	;; [unrolled: 1-line block ×4, first 2 shown]
.LBB58_459:
	s_or_b32 exec_lo, exec_lo, s0
	s_delay_alu instid0(SALU_CYCLE_1)
	s_mov_b32 s0, exec_lo
	s_wait_storecnt_dscnt 0x0
	s_barrier_signal -1
	s_barrier_wait -1
	v_cmpx_lt_i32_e32 21, v74
	s_cbranch_execz .LBB58_461
; %bb.460:
	v_pk_mul_f32 v[68:69], v[66:67], v[28:29] op_sel:[1,1] op_sel_hi:[0,1]
	s_delay_alu instid0(VALU_DEP_1)
	v_pk_fma_f32 v[76:77], v[66:67], v[28:29], v[68:69] op_sel_hi:[1,0,1] neg_lo:[0,0,1] neg_hi:[0,0,1]
	v_pk_fma_f32 v[78:79], v[66:67], v[28:29], v[68:69] op_sel_hi:[1,0,1]
	ds_load_2addr_b64 v[66:69], v70 offset0:22 offset1:23
	v_dual_mov_b32 v28, v76 :: v_dual_mov_b32 v29, v79
	s_wait_dscnt 0x0
	v_pk_mul_f32 v[80:81], v[66:67], v[78:79] op_sel:[0,1]
	s_delay_alu instid0(VALU_DEP_1) | instskip(SKIP_1) | instid1(VALU_DEP_1)
	v_pk_fma_f32 v[82:83], v[66:67], v[76:77], v[80:81] op_sel:[0,0,1] op_sel_hi:[1,1,0] neg_lo:[0,0,1] neg_hi:[0,0,1]
	v_pk_fma_f32 v[66:67], v[66:67], v[76:77], v[80:81] op_sel:[0,0,1] op_sel_hi:[1,0,0]
	v_mov_b32_e32 v83, v67
	v_pk_mul_f32 v[66:67], v[68:69], v[78:79] op_sel:[0,1]
	s_delay_alu instid0(VALU_DEP_1) | instskip(SKIP_1) | instid1(VALU_DEP_1)
	v_pk_fma_f32 v[80:81], v[68:69], v[76:77], v[66:67] op_sel:[0,0,1] op_sel_hi:[1,1,0] neg_lo:[0,0,1] neg_hi:[0,0,1]
	v_pk_fma_f32 v[66:67], v[68:69], v[76:77], v[66:67] op_sel:[0,0,1] op_sel_hi:[1,0,0]
	v_mov_b32_e32 v81, v67
	ds_load_2addr_b64 v[66:69], v70 offset0:24 offset1:25
	v_pk_add_f32 v[30:31], v[30:31], v[82:83] neg_lo:[0,1] neg_hi:[0,1]
	v_pk_add_f32 v[26:27], v[26:27], v[80:81] neg_lo:[0,1] neg_hi:[0,1]
	s_wait_dscnt 0x0
	v_pk_mul_f32 v[80:81], v[66:67], v[78:79] op_sel:[0,1]
	s_delay_alu instid0(VALU_DEP_1) | instskip(SKIP_2) | instid1(VALU_DEP_2)
	v_pk_fma_f32 v[82:83], v[66:67], v[76:77], v[80:81] op_sel:[0,0,1] op_sel_hi:[1,1,0] neg_lo:[0,0,1] neg_hi:[0,0,1]
	v_pk_fma_f32 v[66:67], v[66:67], v[76:77], v[80:81] op_sel:[0,0,1] op_sel_hi:[1,0,0]
	v_dual_mul_f32 v80, v69, v79 :: v_dual_mov_b32 v66, v69
	v_dual_mov_b32 v83, v67 :: v_dual_mov_b32 v67, v68
	s_delay_alu instid0(VALU_DEP_2) | instskip(SKIP_1) | instid1(VALU_DEP_3)
	v_pk_fma_f32 v[80:81], v[68:69], v[28:29], v[80:81] op_sel_hi:[1,1,0] neg_lo:[0,0,1] neg_hi:[0,0,1]
	v_mul_f32_e32 v68, v69, v76
	v_pk_add_f32 v[44:45], v[44:45], v[82:83] neg_lo:[0,1] neg_hi:[0,1]
	s_delay_alu instid0(VALU_DEP_2) | instskip(NEXT) | instid1(VALU_DEP_1)
	v_pk_fma_f32 v[66:67], v[66:67], v[28:29], v[68:69] op_sel_hi:[1,1,0]
	v_mov_b32_e32 v81, v67
	ds_load_2addr_b64 v[66:69], v70 offset0:26 offset1:27
	v_pk_add_f32 v[24:25], v[24:25], v[80:81] neg_lo:[0,1] neg_hi:[0,1]
	s_wait_dscnt 0x0
	v_pk_mul_f32 v[80:81], v[66:67], v[78:79] op_sel:[0,1]
	s_delay_alu instid0(VALU_DEP_1) | instskip(SKIP_1) | instid1(VALU_DEP_1)
	v_pk_fma_f32 v[82:83], v[66:67], v[76:77], v[80:81] op_sel:[0,0,1] op_sel_hi:[1,1,0] neg_lo:[0,0,1] neg_hi:[0,0,1]
	v_pk_fma_f32 v[66:67], v[66:67], v[76:77], v[80:81] op_sel:[0,0,1] op_sel_hi:[1,0,0]
	v_mov_b32_e32 v83, v67
	v_pk_mul_f32 v[66:67], v[68:69], v[78:79] op_sel:[0,1]
	s_delay_alu instid0(VALU_DEP_1) | instskip(SKIP_1) | instid1(VALU_DEP_1)
	v_pk_fma_f32 v[80:81], v[68:69], v[76:77], v[66:67] op_sel:[0,0,1] op_sel_hi:[1,1,0] neg_lo:[0,0,1] neg_hi:[0,0,1]
	v_pk_fma_f32 v[66:67], v[68:69], v[76:77], v[66:67] op_sel:[0,0,1] op_sel_hi:[1,0,0]
	v_mov_b32_e32 v81, v67
	ds_load_2addr_b64 v[66:69], v70 offset0:28 offset1:29
	v_pk_add_f32 v[42:43], v[42:43], v[82:83] neg_lo:[0,1] neg_hi:[0,1]
	v_pk_add_f32 v[40:41], v[40:41], v[80:81] neg_lo:[0,1] neg_hi:[0,1]
	s_wait_dscnt 0x0
	v_pk_mul_f32 v[80:81], v[66:67], v[78:79] op_sel:[0,1]
	s_delay_alu instid0(VALU_DEP_1) | instskip(SKIP_1) | instid1(VALU_DEP_1)
	v_pk_fma_f32 v[82:83], v[66:67], v[76:77], v[80:81] op_sel:[0,0,1] op_sel_hi:[1,1,0] neg_lo:[0,0,1] neg_hi:[0,0,1]
	v_pk_fma_f32 v[66:67], v[66:67], v[76:77], v[80:81] op_sel:[0,0,1] op_sel_hi:[1,0,0]
	v_mov_b32_e32 v83, v67
	v_pk_mul_f32 v[66:67], v[68:69], v[78:79] op_sel:[0,1]
	s_delay_alu instid0(VALU_DEP_1) | instskip(SKIP_1) | instid1(VALU_DEP_1)
	v_pk_fma_f32 v[78:79], v[68:69], v[76:77], v[66:67] op_sel:[0,0,1] op_sel_hi:[1,1,0] neg_lo:[0,0,1] neg_hi:[0,0,1]
	v_pk_fma_f32 v[66:67], v[68:69], v[76:77], v[66:67] op_sel:[0,0,1] op_sel_hi:[1,0,0]
	v_mov_b32_e32 v79, v67
	v_pk_add_f32 v[32:33], v[32:33], v[82:83] neg_lo:[0,1] neg_hi:[0,1]
	s_delay_alu instid0(VALU_DEP_2)
	v_pk_add_f32 v[64:65], v[64:65], v[78:79] neg_lo:[0,1] neg_hi:[0,1]
.LBB58_461:
	s_or_b32 exec_lo, exec_lo, s0
	v_lshl_add_u32 v66, v74, 3, v70
	s_barrier_signal -1
	s_barrier_wait -1
	ds_store_b64 v66, v[30:31]
	s_wait_dscnt 0x0
	s_barrier_signal -1
	s_barrier_wait -1
	ds_load_b64 v[66:67], v70 offset:176
	v_mov_b32_e32 v68, 22
	s_cmp_lt_i32 s18, 24
	s_cbranch_scc1 .LBB58_464
; %bb.462:
	v_add3_u32 v69, v71, 0, 0xb8
	v_mov_b32_e32 v68, 22
	s_mov_b32 s0, 23
.LBB58_463:                             ; =>This Inner Loop Header: Depth=1
	ds_load_b64 v[76:77], v69
	s_wait_dscnt 0x1
	v_cmp_gt_f32_e32 vcc_lo, 0, v66
	v_cndmask_b32_e64 v78, v66, -v66, vcc_lo
	v_cmp_gt_f32_e32 vcc_lo, 0, v67
	v_cndmask_b32_e64 v80, v67, -v67, vcc_lo
	s_wait_dscnt 0x0
	v_cmp_gt_f32_e32 vcc_lo, 0, v76
	v_cndmask_b32_e64 v79, v76, -v76, vcc_lo
	v_cmp_gt_f32_e32 vcc_lo, 0, v77
	v_cndmask_b32_e64 v81, v77, -v77, vcc_lo
	s_delay_alu instid0(VALU_DEP_1) | instskip(NEXT) | instid1(VALU_DEP_1)
	v_pk_add_f32 v[78:79], v[78:79], v[80:81]
	v_cmp_lt_f32_e32 vcc_lo, v78, v79
	v_dual_cndmask_b32 v66, v66, v76 :: v_dual_add_nc_u32 v69, 8, v69
	v_cndmask_b32_e32 v67, v67, v77, vcc_lo
	v_cndmask_b32_e64 v68, v68, s0, vcc_lo
	s_add_co_i32 s0, s0, 1
	s_delay_alu instid0(SALU_CYCLE_1)
	s_cmp_lg_u32 s18, s0
	s_cbranch_scc1 .LBB58_463
.LBB58_464:
	s_wait_dscnt 0x0
	v_cmp_eq_f32_e32 vcc_lo, 0, v66
	v_cmp_eq_f32_e64 s0, 0, v67
	s_and_b32 s0, vcc_lo, s0
	s_delay_alu instid0(SALU_CYCLE_1) | instskip(NEXT) | instid1(SALU_CYCLE_1)
	s_and_saveexec_b32 s1, s0
	s_xor_b32 s0, exec_lo, s1
; %bb.465:
	v_cmp_ne_u32_e32 vcc_lo, 0, v72
	v_cndmask_b32_e32 v72, 23, v72, vcc_lo
; %bb.466:
	s_and_not1_saveexec_b32 s0, s0
	s_cbranch_execz .LBB58_472
; %bb.467:
	v_cmp_ngt_f32_e64 s1, |v66|, |v67|
	s_and_saveexec_b32 s12, s1
	s_delay_alu instid0(SALU_CYCLE_1)
	s_xor_b32 s1, exec_lo, s12
	s_cbranch_execz .LBB58_469
; %bb.468:
	v_div_scale_f32 v69, null, v67, v67, v66
	v_div_scale_f32 v77, vcc_lo, v66, v67, v66
	s_delay_alu instid0(VALU_DEP_2) | instskip(SKIP_1) | instid1(TRANS32_DEP_1)
	v_rcp_f32_e32 v75, v69
	v_nop
	v_fma_f32 v76, -v69, v75, 1.0
	s_delay_alu instid0(VALU_DEP_1) | instskip(NEXT) | instid1(VALU_DEP_1)
	v_fmac_f32_e32 v75, v76, v75
	v_mul_f32_e32 v76, v77, v75
	s_delay_alu instid0(VALU_DEP_1) | instskip(NEXT) | instid1(VALU_DEP_1)
	v_fma_f32 v78, -v69, v76, v77
	v_fmac_f32_e32 v76, v78, v75
	s_delay_alu instid0(VALU_DEP_1) | instskip(NEXT) | instid1(VALU_DEP_1)
	v_fma_f32 v69, -v69, v76, v77
	v_div_fmas_f32 v69, v69, v75, v76
	s_delay_alu instid0(VALU_DEP_1) | instskip(NEXT) | instid1(VALU_DEP_1)
	v_div_fixup_f32 v69, v69, v67, v66
	v_fmac_f32_e32 v67, v66, v69
	s_delay_alu instid0(VALU_DEP_1) | instskip(SKIP_1) | instid1(VALU_DEP_2)
	v_div_scale_f32 v66, null, v67, v67, 1.0
	v_div_scale_f32 v77, vcc_lo, 1.0, v67, 1.0
	v_rcp_f32_e32 v75, v66
	v_nop
	s_delay_alu instid0(TRANS32_DEP_1) | instskip(NEXT) | instid1(VALU_DEP_1)
	v_fma_f32 v76, -v66, v75, 1.0
	v_fmac_f32_e32 v75, v76, v75
	s_delay_alu instid0(VALU_DEP_1) | instskip(NEXT) | instid1(VALU_DEP_1)
	v_mul_f32_e32 v76, v77, v75
	v_fma_f32 v78, -v66, v76, v77
	s_delay_alu instid0(VALU_DEP_1) | instskip(NEXT) | instid1(VALU_DEP_1)
	v_fmac_f32_e32 v76, v78, v75
	v_fma_f32 v66, -v66, v76, v77
	s_delay_alu instid0(VALU_DEP_1) | instskip(NEXT) | instid1(VALU_DEP_1)
	v_div_fmas_f32 v66, v66, v75, v76
	v_div_fixup_f32 v67, v66, v67, 1.0
	s_delay_alu instid0(VALU_DEP_1)
	v_mul_f32_e32 v66, v69, v67
	v_xor_b32_e32 v67, 0x80000000, v67
.LBB58_469:
	s_and_not1_saveexec_b32 s1, s1
	s_cbranch_execz .LBB58_471
; %bb.470:
	s_delay_alu instid0(VALU_DEP_1) | instskip(SKIP_1) | instid1(VALU_DEP_2)
	v_div_scale_f32 v69, null, v66, v66, v67
	v_div_scale_f32 v77, vcc_lo, v67, v66, v67
	v_rcp_f32_e32 v75, v69
	v_nop
	s_delay_alu instid0(TRANS32_DEP_1) | instskip(NEXT) | instid1(VALU_DEP_1)
	v_fma_f32 v76, -v69, v75, 1.0
	v_fmac_f32_e32 v75, v76, v75
	s_delay_alu instid0(VALU_DEP_1) | instskip(NEXT) | instid1(VALU_DEP_1)
	v_mul_f32_e32 v76, v77, v75
	v_fma_f32 v78, -v69, v76, v77
	s_delay_alu instid0(VALU_DEP_1) | instskip(NEXT) | instid1(VALU_DEP_1)
	v_fmac_f32_e32 v76, v78, v75
	v_fma_f32 v69, -v69, v76, v77
	s_delay_alu instid0(VALU_DEP_1) | instskip(NEXT) | instid1(VALU_DEP_1)
	v_div_fmas_f32 v69, v69, v75, v76
	v_div_fixup_f32 v69, v69, v66, v67
	s_delay_alu instid0(VALU_DEP_1) | instskip(NEXT) | instid1(VALU_DEP_1)
	v_fmac_f32_e32 v66, v67, v69
	v_div_scale_f32 v67, null, v66, v66, 1.0
	s_delay_alu instid0(VALU_DEP_1) | instskip(SKIP_1) | instid1(TRANS32_DEP_1)
	v_rcp_f32_e32 v75, v67
	v_nop
	v_fma_f32 v76, -v67, v75, 1.0
	s_delay_alu instid0(VALU_DEP_1) | instskip(SKIP_1) | instid1(VALU_DEP_1)
	v_fmac_f32_e32 v75, v76, v75
	v_div_scale_f32 v76, vcc_lo, 1.0, v66, 1.0
	v_mul_f32_e32 v77, v76, v75
	s_delay_alu instid0(VALU_DEP_1) | instskip(NEXT) | instid1(VALU_DEP_1)
	v_fma_f32 v78, -v67, v77, v76
	v_fmac_f32_e32 v77, v78, v75
	s_delay_alu instid0(VALU_DEP_1) | instskip(NEXT) | instid1(VALU_DEP_1)
	v_fma_f32 v67, -v67, v77, v76
	v_div_fmas_f32 v67, v67, v75, v77
	s_delay_alu instid0(VALU_DEP_1) | instskip(NEXT) | instid1(VALU_DEP_1)
	v_div_fixup_f32 v66, v67, v66, 1.0
	v_mul_f32_e64 v67, v69, -v66
.LBB58_471:
	s_or_b32 exec_lo, exec_lo, s1
.LBB58_472:
	s_delay_alu instid0(SALU_CYCLE_1) | instskip(NEXT) | instid1(SALU_CYCLE_1)
	s_or_b32 exec_lo, exec_lo, s0
	s_mov_b32 s0, exec_lo
	v_cmpx_ne_u32_e64 v74, v68
	s_xor_b32 s0, exec_lo, s0
	s_cbranch_execz .LBB58_478
; %bb.473:
	s_mov_b32 s1, exec_lo
	v_cmpx_eq_u32_e32 22, v74
	s_cbranch_execz .LBB58_477
; %bb.474:
	v_cmp_ne_u32_e32 vcc_lo, 22, v68
	s_xor_b32 s12, s16, -1
	s_delay_alu instid0(SALU_CYCLE_1) | instskip(NEXT) | instid1(SALU_CYCLE_1)
	s_and_b32 s13, s12, vcc_lo
	s_and_saveexec_b32 s12, s13
	s_cbranch_execz .LBB58_476
; %bb.475:
	v_ashrrev_i32_e32 v69, 31, v68
	s_delay_alu instid0(VALU_DEP_1)
	v_lshl_add_u64 v[74:75], v[68:69], 2, v[4:5]
	s_clause 0x1
	global_load_b32 v69, v[74:75], off
	global_load_b32 v73, v[4:5], off offset:88
	s_wait_loadcnt 0x1
	global_store_b32 v[4:5], v69, off offset:88
	s_wait_loadcnt 0x0
	global_store_b32 v[74:75], v73, off
.LBB58_476:
	s_wait_xcnt 0x0
	s_or_b32 exec_lo, exec_lo, s12
	v_dual_mov_b32 v74, v68 :: v_dual_mov_b32 v73, v68
.LBB58_477:
	s_or_b32 exec_lo, exec_lo, s1
.LBB58_478:
	s_and_not1_saveexec_b32 s0, s0
	s_cbranch_execz .LBB58_480
; %bb.479:
	v_mov_b32_e32 v74, 22
	ds_store_2addr_b64 v70, v[26:27], v[44:45] offset0:23 offset1:24
	ds_store_2addr_b64 v70, v[24:25], v[42:43] offset0:25 offset1:26
	;; [unrolled: 1-line block ×3, first 2 shown]
	ds_store_b64 v70, v[64:65] offset:232
.LBB58_480:
	s_or_b32 exec_lo, exec_lo, s0
	s_delay_alu instid0(SALU_CYCLE_1)
	s_mov_b32 s0, exec_lo
	s_wait_storecnt_dscnt 0x0
	s_barrier_signal -1
	s_barrier_wait -1
	v_cmpx_lt_i32_e32 22, v74
	s_cbranch_execz .LBB58_482
; %bb.481:
	v_pk_mul_f32 v[68:69], v[66:67], v[30:31] op_sel:[1,1] op_sel_hi:[0,1]
	s_delay_alu instid0(VALU_DEP_1)
	v_pk_fma_f32 v[76:77], v[66:67], v[30:31], v[68:69] op_sel_hi:[1,0,1] neg_lo:[0,0,1] neg_hi:[0,0,1]
	v_pk_fma_f32 v[78:79], v[66:67], v[30:31], v[68:69] op_sel_hi:[1,0,1]
	ds_load_2addr_b64 v[66:69], v70 offset0:23 offset1:24
	v_dual_mov_b32 v30, v76 :: v_dual_mov_b32 v31, v79
	s_wait_dscnt 0x0
	v_pk_mul_f32 v[80:81], v[66:67], v[78:79] op_sel:[0,1]
	s_delay_alu instid0(VALU_DEP_1) | instskip(SKIP_1) | instid1(VALU_DEP_1)
	v_pk_fma_f32 v[82:83], v[66:67], v[76:77], v[80:81] op_sel:[0,0,1] op_sel_hi:[1,1,0] neg_lo:[0,0,1] neg_hi:[0,0,1]
	v_pk_fma_f32 v[66:67], v[66:67], v[76:77], v[80:81] op_sel:[0,0,1] op_sel_hi:[1,0,0]
	v_mov_b32_e32 v83, v67
	v_pk_mul_f32 v[66:67], v[68:69], v[78:79] op_sel:[0,1]
	s_delay_alu instid0(VALU_DEP_1) | instskip(SKIP_1) | instid1(VALU_DEP_1)
	v_pk_fma_f32 v[80:81], v[68:69], v[76:77], v[66:67] op_sel:[0,0,1] op_sel_hi:[1,1,0] neg_lo:[0,0,1] neg_hi:[0,0,1]
	v_pk_fma_f32 v[66:67], v[68:69], v[76:77], v[66:67] op_sel:[0,0,1] op_sel_hi:[1,0,0]
	v_mov_b32_e32 v81, v67
	ds_load_2addr_b64 v[66:69], v70 offset0:25 offset1:26
	v_pk_add_f32 v[26:27], v[26:27], v[82:83] neg_lo:[0,1] neg_hi:[0,1]
	v_pk_add_f32 v[44:45], v[44:45], v[80:81] neg_lo:[0,1] neg_hi:[0,1]
	s_wait_dscnt 0x0
	v_pk_mul_f32 v[80:81], v[66:67], v[78:79] op_sel:[0,1]
	s_delay_alu instid0(VALU_DEP_1) | instskip(SKIP_2) | instid1(VALU_DEP_2)
	v_pk_fma_f32 v[82:83], v[66:67], v[76:77], v[80:81] op_sel:[0,0,1] op_sel_hi:[1,1,0] neg_lo:[0,0,1] neg_hi:[0,0,1]
	v_pk_fma_f32 v[66:67], v[66:67], v[76:77], v[80:81] op_sel:[0,0,1] op_sel_hi:[1,0,0]
	v_dual_mul_f32 v80, v69, v79 :: v_dual_mov_b32 v66, v69
	v_dual_mov_b32 v83, v67 :: v_dual_mov_b32 v67, v68
	s_delay_alu instid0(VALU_DEP_2) | instskip(SKIP_1) | instid1(VALU_DEP_3)
	v_pk_fma_f32 v[80:81], v[68:69], v[30:31], v[80:81] op_sel_hi:[1,1,0] neg_lo:[0,0,1] neg_hi:[0,0,1]
	v_mul_f32_e32 v68, v69, v76
	v_pk_add_f32 v[24:25], v[24:25], v[82:83] neg_lo:[0,1] neg_hi:[0,1]
	s_delay_alu instid0(VALU_DEP_2) | instskip(NEXT) | instid1(VALU_DEP_1)
	v_pk_fma_f32 v[66:67], v[66:67], v[30:31], v[68:69] op_sel_hi:[1,1,0]
	v_mov_b32_e32 v81, v67
	ds_load_2addr_b64 v[66:69], v70 offset0:27 offset1:28
	v_pk_add_f32 v[42:43], v[42:43], v[80:81] neg_lo:[0,1] neg_hi:[0,1]
	s_wait_dscnt 0x0
	v_pk_mul_f32 v[80:81], v[66:67], v[78:79] op_sel:[0,1]
	s_delay_alu instid0(VALU_DEP_1) | instskip(SKIP_1) | instid1(VALU_DEP_1)
	v_pk_fma_f32 v[82:83], v[66:67], v[76:77], v[80:81] op_sel:[0,0,1] op_sel_hi:[1,1,0] neg_lo:[0,0,1] neg_hi:[0,0,1]
	v_pk_fma_f32 v[66:67], v[66:67], v[76:77], v[80:81] op_sel:[0,0,1] op_sel_hi:[1,0,0]
	v_mov_b32_e32 v83, v67
	v_pk_mul_f32 v[66:67], v[68:69], v[78:79] op_sel:[0,1]
	s_delay_alu instid0(VALU_DEP_1) | instskip(SKIP_1) | instid1(VALU_DEP_1)
	v_pk_fma_f32 v[80:81], v[68:69], v[76:77], v[66:67] op_sel:[0,0,1] op_sel_hi:[1,1,0] neg_lo:[0,0,1] neg_hi:[0,0,1]
	v_pk_fma_f32 v[66:67], v[68:69], v[76:77], v[66:67] op_sel:[0,0,1] op_sel_hi:[1,0,0]
	v_mov_b32_e32 v81, v67
	ds_load_b64 v[66:67], v70 offset:232
	v_pk_add_f32 v[40:41], v[40:41], v[82:83] neg_lo:[0,1] neg_hi:[0,1]
	v_pk_add_f32 v[32:33], v[32:33], v[80:81] neg_lo:[0,1] neg_hi:[0,1]
	s_wait_dscnt 0x0
	v_pk_mul_f32 v[68:69], v[66:67], v[78:79] op_sel:[0,1]
	s_delay_alu instid0(VALU_DEP_1) | instskip(SKIP_1) | instid1(VALU_DEP_1)
	v_pk_fma_f32 v[78:79], v[66:67], v[76:77], v[68:69] op_sel:[0,0,1] op_sel_hi:[1,1,0] neg_lo:[0,0,1] neg_hi:[0,0,1]
	v_pk_fma_f32 v[66:67], v[66:67], v[76:77], v[68:69] op_sel:[0,0,1] op_sel_hi:[1,0,0]
	v_mov_b32_e32 v79, v67
	s_delay_alu instid0(VALU_DEP_1)
	v_pk_add_f32 v[64:65], v[64:65], v[78:79] neg_lo:[0,1] neg_hi:[0,1]
.LBB58_482:
	s_or_b32 exec_lo, exec_lo, s0
	v_lshl_add_u32 v66, v74, 3, v70
	s_barrier_signal -1
	s_barrier_wait -1
	ds_store_b64 v66, v[26:27]
	s_wait_dscnt 0x0
	s_barrier_signal -1
	s_barrier_wait -1
	ds_load_b64 v[66:67], v70 offset:184
	v_mov_b32_e32 v68, 23
	s_cmp_lt_i32 s18, 25
	s_cbranch_scc1 .LBB58_485
; %bb.483:
	v_add3_u32 v69, v71, 0, 0xc0
	v_mov_b32_e32 v68, 23
	s_mov_b32 s0, 24
.LBB58_484:                             ; =>This Inner Loop Header: Depth=1
	ds_load_b64 v[76:77], v69
	s_wait_dscnt 0x1
	v_cmp_gt_f32_e32 vcc_lo, 0, v66
	v_cndmask_b32_e64 v78, v66, -v66, vcc_lo
	v_cmp_gt_f32_e32 vcc_lo, 0, v67
	v_cndmask_b32_e64 v80, v67, -v67, vcc_lo
	s_wait_dscnt 0x0
	v_cmp_gt_f32_e32 vcc_lo, 0, v76
	v_cndmask_b32_e64 v79, v76, -v76, vcc_lo
	v_cmp_gt_f32_e32 vcc_lo, 0, v77
	v_cndmask_b32_e64 v81, v77, -v77, vcc_lo
	s_delay_alu instid0(VALU_DEP_1) | instskip(NEXT) | instid1(VALU_DEP_1)
	v_pk_add_f32 v[78:79], v[78:79], v[80:81]
	v_cmp_lt_f32_e32 vcc_lo, v78, v79
	v_dual_cndmask_b32 v66, v66, v76 :: v_dual_add_nc_u32 v69, 8, v69
	v_cndmask_b32_e32 v67, v67, v77, vcc_lo
	v_cndmask_b32_e64 v68, v68, s0, vcc_lo
	s_add_co_i32 s0, s0, 1
	s_delay_alu instid0(SALU_CYCLE_1)
	s_cmp_lg_u32 s18, s0
	s_cbranch_scc1 .LBB58_484
.LBB58_485:
	s_wait_dscnt 0x0
	v_cmp_eq_f32_e32 vcc_lo, 0, v66
	v_cmp_eq_f32_e64 s0, 0, v67
	s_and_b32 s0, vcc_lo, s0
	s_delay_alu instid0(SALU_CYCLE_1) | instskip(NEXT) | instid1(SALU_CYCLE_1)
	s_and_saveexec_b32 s1, s0
	s_xor_b32 s0, exec_lo, s1
; %bb.486:
	v_cmp_ne_u32_e32 vcc_lo, 0, v72
	v_cndmask_b32_e32 v72, 24, v72, vcc_lo
; %bb.487:
	s_and_not1_saveexec_b32 s0, s0
	s_cbranch_execz .LBB58_493
; %bb.488:
	v_cmp_ngt_f32_e64 s1, |v66|, |v67|
	s_and_saveexec_b32 s12, s1
	s_delay_alu instid0(SALU_CYCLE_1)
	s_xor_b32 s1, exec_lo, s12
	s_cbranch_execz .LBB58_490
; %bb.489:
	v_div_scale_f32 v69, null, v67, v67, v66
	v_div_scale_f32 v77, vcc_lo, v66, v67, v66
	s_delay_alu instid0(VALU_DEP_2) | instskip(SKIP_1) | instid1(TRANS32_DEP_1)
	v_rcp_f32_e32 v75, v69
	v_nop
	v_fma_f32 v76, -v69, v75, 1.0
	s_delay_alu instid0(VALU_DEP_1) | instskip(NEXT) | instid1(VALU_DEP_1)
	v_fmac_f32_e32 v75, v76, v75
	v_mul_f32_e32 v76, v77, v75
	s_delay_alu instid0(VALU_DEP_1) | instskip(NEXT) | instid1(VALU_DEP_1)
	v_fma_f32 v78, -v69, v76, v77
	v_fmac_f32_e32 v76, v78, v75
	s_delay_alu instid0(VALU_DEP_1) | instskip(NEXT) | instid1(VALU_DEP_1)
	v_fma_f32 v69, -v69, v76, v77
	v_div_fmas_f32 v69, v69, v75, v76
	s_delay_alu instid0(VALU_DEP_1) | instskip(NEXT) | instid1(VALU_DEP_1)
	v_div_fixup_f32 v69, v69, v67, v66
	v_fmac_f32_e32 v67, v66, v69
	s_delay_alu instid0(VALU_DEP_1) | instskip(SKIP_1) | instid1(VALU_DEP_2)
	v_div_scale_f32 v66, null, v67, v67, 1.0
	v_div_scale_f32 v77, vcc_lo, 1.0, v67, 1.0
	v_rcp_f32_e32 v75, v66
	v_nop
	s_delay_alu instid0(TRANS32_DEP_1) | instskip(NEXT) | instid1(VALU_DEP_1)
	v_fma_f32 v76, -v66, v75, 1.0
	v_fmac_f32_e32 v75, v76, v75
	s_delay_alu instid0(VALU_DEP_1) | instskip(NEXT) | instid1(VALU_DEP_1)
	v_mul_f32_e32 v76, v77, v75
	v_fma_f32 v78, -v66, v76, v77
	s_delay_alu instid0(VALU_DEP_1) | instskip(NEXT) | instid1(VALU_DEP_1)
	v_fmac_f32_e32 v76, v78, v75
	v_fma_f32 v66, -v66, v76, v77
	s_delay_alu instid0(VALU_DEP_1) | instskip(NEXT) | instid1(VALU_DEP_1)
	v_div_fmas_f32 v66, v66, v75, v76
	v_div_fixup_f32 v67, v66, v67, 1.0
	s_delay_alu instid0(VALU_DEP_1)
	v_mul_f32_e32 v66, v69, v67
	v_xor_b32_e32 v67, 0x80000000, v67
.LBB58_490:
	s_and_not1_saveexec_b32 s1, s1
	s_cbranch_execz .LBB58_492
; %bb.491:
	s_delay_alu instid0(VALU_DEP_1) | instskip(SKIP_1) | instid1(VALU_DEP_2)
	v_div_scale_f32 v69, null, v66, v66, v67
	v_div_scale_f32 v77, vcc_lo, v67, v66, v67
	v_rcp_f32_e32 v75, v69
	v_nop
	s_delay_alu instid0(TRANS32_DEP_1) | instskip(NEXT) | instid1(VALU_DEP_1)
	v_fma_f32 v76, -v69, v75, 1.0
	v_fmac_f32_e32 v75, v76, v75
	s_delay_alu instid0(VALU_DEP_1) | instskip(NEXT) | instid1(VALU_DEP_1)
	v_mul_f32_e32 v76, v77, v75
	v_fma_f32 v78, -v69, v76, v77
	s_delay_alu instid0(VALU_DEP_1) | instskip(NEXT) | instid1(VALU_DEP_1)
	v_fmac_f32_e32 v76, v78, v75
	v_fma_f32 v69, -v69, v76, v77
	s_delay_alu instid0(VALU_DEP_1) | instskip(NEXT) | instid1(VALU_DEP_1)
	v_div_fmas_f32 v69, v69, v75, v76
	v_div_fixup_f32 v69, v69, v66, v67
	s_delay_alu instid0(VALU_DEP_1) | instskip(NEXT) | instid1(VALU_DEP_1)
	v_fmac_f32_e32 v66, v67, v69
	v_div_scale_f32 v67, null, v66, v66, 1.0
	s_delay_alu instid0(VALU_DEP_1) | instskip(SKIP_1) | instid1(TRANS32_DEP_1)
	v_rcp_f32_e32 v75, v67
	v_nop
	v_fma_f32 v76, -v67, v75, 1.0
	s_delay_alu instid0(VALU_DEP_1) | instskip(SKIP_1) | instid1(VALU_DEP_1)
	v_fmac_f32_e32 v75, v76, v75
	v_div_scale_f32 v76, vcc_lo, 1.0, v66, 1.0
	v_mul_f32_e32 v77, v76, v75
	s_delay_alu instid0(VALU_DEP_1) | instskip(NEXT) | instid1(VALU_DEP_1)
	v_fma_f32 v78, -v67, v77, v76
	v_fmac_f32_e32 v77, v78, v75
	s_delay_alu instid0(VALU_DEP_1) | instskip(NEXT) | instid1(VALU_DEP_1)
	v_fma_f32 v67, -v67, v77, v76
	v_div_fmas_f32 v67, v67, v75, v77
	s_delay_alu instid0(VALU_DEP_1) | instskip(NEXT) | instid1(VALU_DEP_1)
	v_div_fixup_f32 v66, v67, v66, 1.0
	v_mul_f32_e64 v67, v69, -v66
.LBB58_492:
	s_or_b32 exec_lo, exec_lo, s1
.LBB58_493:
	s_delay_alu instid0(SALU_CYCLE_1) | instskip(NEXT) | instid1(SALU_CYCLE_1)
	s_or_b32 exec_lo, exec_lo, s0
	s_mov_b32 s0, exec_lo
	v_cmpx_ne_u32_e64 v74, v68
	s_xor_b32 s0, exec_lo, s0
	s_cbranch_execz .LBB58_499
; %bb.494:
	s_mov_b32 s1, exec_lo
	v_cmpx_eq_u32_e32 23, v74
	s_cbranch_execz .LBB58_498
; %bb.495:
	v_cmp_ne_u32_e32 vcc_lo, 23, v68
	s_xor_b32 s12, s16, -1
	s_delay_alu instid0(SALU_CYCLE_1) | instskip(NEXT) | instid1(SALU_CYCLE_1)
	s_and_b32 s13, s12, vcc_lo
	s_and_saveexec_b32 s12, s13
	s_cbranch_execz .LBB58_497
; %bb.496:
	v_ashrrev_i32_e32 v69, 31, v68
	s_delay_alu instid0(VALU_DEP_1)
	v_lshl_add_u64 v[74:75], v[68:69], 2, v[4:5]
	s_clause 0x1
	global_load_b32 v69, v[74:75], off
	global_load_b32 v73, v[4:5], off offset:92
	s_wait_loadcnt 0x1
	global_store_b32 v[4:5], v69, off offset:92
	s_wait_loadcnt 0x0
	global_store_b32 v[74:75], v73, off
.LBB58_497:
	s_wait_xcnt 0x0
	s_or_b32 exec_lo, exec_lo, s12
	v_dual_mov_b32 v74, v68 :: v_dual_mov_b32 v73, v68
.LBB58_498:
	s_or_b32 exec_lo, exec_lo, s1
.LBB58_499:
	s_and_not1_saveexec_b32 s0, s0
	s_cbranch_execz .LBB58_501
; %bb.500:
	v_dual_mov_b32 v68, v44 :: v_dual_mov_b32 v69, v45
	v_dual_mov_b32 v76, v24 :: v_dual_mov_b32 v77, v25
	;; [unrolled: 1-line block ×5, first 2 shown]
	v_mov_b32_e32 v83, v33
	ds_store_2addr_b64 v70, v[68:69], v[76:77] offset0:24 offset1:25
	ds_store_2addr_b64 v70, v[78:79], v[80:81] offset0:26 offset1:27
	;; [unrolled: 1-line block ×3, first 2 shown]
.LBB58_501:
	s_or_b32 exec_lo, exec_lo, s0
	s_delay_alu instid0(SALU_CYCLE_1)
	s_mov_b32 s0, exec_lo
	s_wait_storecnt_dscnt 0x0
	s_barrier_signal -1
	s_barrier_wait -1
	v_cmpx_lt_i32_e32 23, v74
	s_cbranch_execz .LBB58_503
; %bb.502:
	v_pk_mul_f32 v[68:69], v[66:67], v[26:27] op_sel:[1,1] op_sel_hi:[0,1]
	s_delay_alu instid0(VALU_DEP_1)
	v_pk_fma_f32 v[76:77], v[66:67], v[26:27], v[68:69] op_sel_hi:[1,0,1] neg_lo:[0,0,1] neg_hi:[0,0,1]
	v_pk_fma_f32 v[78:79], v[66:67], v[26:27], v[68:69] op_sel_hi:[1,0,1]
	ds_load_2addr_b64 v[66:69], v70 offset0:24 offset1:25
	v_dual_mov_b32 v26, v76 :: v_dual_mov_b32 v27, v79
	s_wait_dscnt 0x0
	v_pk_mul_f32 v[80:81], v[66:67], v[78:79] op_sel:[0,1]
	s_delay_alu instid0(VALU_DEP_1) | instskip(SKIP_1) | instid1(VALU_DEP_1)
	v_pk_fma_f32 v[82:83], v[66:67], v[76:77], v[80:81] op_sel:[0,0,1] op_sel_hi:[1,1,0] neg_lo:[0,0,1] neg_hi:[0,0,1]
	v_pk_fma_f32 v[66:67], v[66:67], v[76:77], v[80:81] op_sel:[0,0,1] op_sel_hi:[1,0,0]
	v_mov_b32_e32 v83, v67
	v_pk_mul_f32 v[66:67], v[68:69], v[78:79] op_sel:[0,1]
	s_delay_alu instid0(VALU_DEP_1) | instskip(SKIP_1) | instid1(VALU_DEP_1)
	v_pk_fma_f32 v[80:81], v[68:69], v[76:77], v[66:67] op_sel:[0,0,1] op_sel_hi:[1,1,0] neg_lo:[0,0,1] neg_hi:[0,0,1]
	v_pk_fma_f32 v[66:67], v[68:69], v[76:77], v[66:67] op_sel:[0,0,1] op_sel_hi:[1,0,0]
	v_mov_b32_e32 v81, v67
	ds_load_2addr_b64 v[66:69], v70 offset0:26 offset1:27
	v_pk_add_f32 v[44:45], v[44:45], v[82:83] neg_lo:[0,1] neg_hi:[0,1]
	v_pk_add_f32 v[24:25], v[24:25], v[80:81] neg_lo:[0,1] neg_hi:[0,1]
	s_wait_dscnt 0x0
	v_pk_mul_f32 v[80:81], v[66:67], v[78:79] op_sel:[0,1]
	s_delay_alu instid0(VALU_DEP_1) | instskip(SKIP_2) | instid1(VALU_DEP_2)
	v_pk_fma_f32 v[82:83], v[66:67], v[76:77], v[80:81] op_sel:[0,0,1] op_sel_hi:[1,1,0] neg_lo:[0,0,1] neg_hi:[0,0,1]
	v_pk_fma_f32 v[66:67], v[66:67], v[76:77], v[80:81] op_sel:[0,0,1] op_sel_hi:[1,0,0]
	v_dual_mul_f32 v80, v69, v79 :: v_dual_mov_b32 v66, v69
	v_dual_mov_b32 v83, v67 :: v_dual_mov_b32 v67, v68
	s_delay_alu instid0(VALU_DEP_2) | instskip(SKIP_1) | instid1(VALU_DEP_3)
	v_pk_fma_f32 v[80:81], v[68:69], v[26:27], v[80:81] op_sel_hi:[1,1,0] neg_lo:[0,0,1] neg_hi:[0,0,1]
	v_mul_f32_e32 v68, v69, v76
	v_pk_add_f32 v[42:43], v[42:43], v[82:83] neg_lo:[0,1] neg_hi:[0,1]
	s_delay_alu instid0(VALU_DEP_2) | instskip(NEXT) | instid1(VALU_DEP_1)
	v_pk_fma_f32 v[66:67], v[66:67], v[26:27], v[68:69] op_sel_hi:[1,1,0]
	v_mov_b32_e32 v81, v67
	ds_load_2addr_b64 v[66:69], v70 offset0:28 offset1:29
	v_pk_add_f32 v[40:41], v[40:41], v[80:81] neg_lo:[0,1] neg_hi:[0,1]
	s_wait_dscnt 0x0
	v_pk_mul_f32 v[80:81], v[66:67], v[78:79] op_sel:[0,1]
	v_mul_f32_e32 v78, v69, v79
	s_delay_alu instid0(VALU_DEP_2) | instskip(SKIP_2) | instid1(VALU_DEP_4)
	v_pk_fma_f32 v[82:83], v[66:67], v[76:77], v[80:81] op_sel:[0,0,1] op_sel_hi:[1,1,0] neg_lo:[0,0,1] neg_hi:[0,0,1]
	v_pk_fma_f32 v[66:67], v[66:67], v[76:77], v[80:81] op_sel:[0,0,1] op_sel_hi:[1,0,0]
	v_mov_b32_e32 v66, v69
	v_pk_fma_f32 v[78:79], v[68:69], v[26:27], v[78:79] op_sel_hi:[1,1,0] neg_lo:[0,0,1] neg_hi:[0,0,1]
	s_delay_alu instid0(VALU_DEP_3) | instskip(SKIP_1) | instid1(VALU_DEP_2)
	v_dual_mov_b32 v83, v67 :: v_dual_mov_b32 v67, v68
	v_mul_f32_e32 v68, v69, v76
	v_pk_add_f32 v[32:33], v[32:33], v[82:83] neg_lo:[0,1] neg_hi:[0,1]
	s_delay_alu instid0(VALU_DEP_2) | instskip(NEXT) | instid1(VALU_DEP_1)
	v_pk_fma_f32 v[66:67], v[66:67], v[26:27], v[68:69] op_sel_hi:[1,1,0]
	v_mov_b32_e32 v79, v67
	s_delay_alu instid0(VALU_DEP_1)
	v_pk_add_f32 v[64:65], v[64:65], v[78:79] neg_lo:[0,1] neg_hi:[0,1]
.LBB58_503:
	s_or_b32 exec_lo, exec_lo, s0
	v_lshl_add_u32 v66, v74, 3, v70
	s_barrier_signal -1
	s_barrier_wait -1
	ds_store_b64 v66, v[44:45]
	s_wait_dscnt 0x0
	s_barrier_signal -1
	s_barrier_wait -1
	ds_load_b64 v[66:67], v70 offset:192
	v_mov_b32_e32 v68, 24
	s_cmp_lt_i32 s18, 26
	s_cbranch_scc1 .LBB58_506
; %bb.504:
	v_add3_u32 v69, v71, 0, 0xc8
	v_mov_b32_e32 v68, 24
	s_mov_b32 s0, 25
.LBB58_505:                             ; =>This Inner Loop Header: Depth=1
	ds_load_b64 v[76:77], v69
	s_wait_dscnt 0x1
	v_cmp_gt_f32_e32 vcc_lo, 0, v66
	v_cndmask_b32_e64 v78, v66, -v66, vcc_lo
	v_cmp_gt_f32_e32 vcc_lo, 0, v67
	v_cndmask_b32_e64 v80, v67, -v67, vcc_lo
	s_wait_dscnt 0x0
	v_cmp_gt_f32_e32 vcc_lo, 0, v76
	v_cndmask_b32_e64 v79, v76, -v76, vcc_lo
	v_cmp_gt_f32_e32 vcc_lo, 0, v77
	v_cndmask_b32_e64 v81, v77, -v77, vcc_lo
	s_delay_alu instid0(VALU_DEP_1) | instskip(NEXT) | instid1(VALU_DEP_1)
	v_pk_add_f32 v[78:79], v[78:79], v[80:81]
	v_cmp_lt_f32_e32 vcc_lo, v78, v79
	v_dual_cndmask_b32 v66, v66, v76 :: v_dual_add_nc_u32 v69, 8, v69
	v_cndmask_b32_e32 v67, v67, v77, vcc_lo
	v_cndmask_b32_e64 v68, v68, s0, vcc_lo
	s_add_co_i32 s0, s0, 1
	s_delay_alu instid0(SALU_CYCLE_1)
	s_cmp_lg_u32 s18, s0
	s_cbranch_scc1 .LBB58_505
.LBB58_506:
	s_wait_dscnt 0x0
	v_cmp_eq_f32_e32 vcc_lo, 0, v66
	v_cmp_eq_f32_e64 s0, 0, v67
	s_and_b32 s0, vcc_lo, s0
	s_delay_alu instid0(SALU_CYCLE_1) | instskip(NEXT) | instid1(SALU_CYCLE_1)
	s_and_saveexec_b32 s1, s0
	s_xor_b32 s0, exec_lo, s1
; %bb.507:
	v_cmp_ne_u32_e32 vcc_lo, 0, v72
	v_cndmask_b32_e32 v72, 25, v72, vcc_lo
; %bb.508:
	s_and_not1_saveexec_b32 s0, s0
	s_cbranch_execz .LBB58_514
; %bb.509:
	v_cmp_ngt_f32_e64 s1, |v66|, |v67|
	s_and_saveexec_b32 s12, s1
	s_delay_alu instid0(SALU_CYCLE_1)
	s_xor_b32 s1, exec_lo, s12
	s_cbranch_execz .LBB58_511
; %bb.510:
	v_div_scale_f32 v69, null, v67, v67, v66
	v_div_scale_f32 v77, vcc_lo, v66, v67, v66
	s_delay_alu instid0(VALU_DEP_2) | instskip(SKIP_1) | instid1(TRANS32_DEP_1)
	v_rcp_f32_e32 v75, v69
	v_nop
	v_fma_f32 v76, -v69, v75, 1.0
	s_delay_alu instid0(VALU_DEP_1) | instskip(NEXT) | instid1(VALU_DEP_1)
	v_fmac_f32_e32 v75, v76, v75
	v_mul_f32_e32 v76, v77, v75
	s_delay_alu instid0(VALU_DEP_1) | instskip(NEXT) | instid1(VALU_DEP_1)
	v_fma_f32 v78, -v69, v76, v77
	v_fmac_f32_e32 v76, v78, v75
	s_delay_alu instid0(VALU_DEP_1) | instskip(NEXT) | instid1(VALU_DEP_1)
	v_fma_f32 v69, -v69, v76, v77
	v_div_fmas_f32 v69, v69, v75, v76
	s_delay_alu instid0(VALU_DEP_1) | instskip(NEXT) | instid1(VALU_DEP_1)
	v_div_fixup_f32 v69, v69, v67, v66
	v_fmac_f32_e32 v67, v66, v69
	s_delay_alu instid0(VALU_DEP_1) | instskip(SKIP_1) | instid1(VALU_DEP_2)
	v_div_scale_f32 v66, null, v67, v67, 1.0
	v_div_scale_f32 v77, vcc_lo, 1.0, v67, 1.0
	v_rcp_f32_e32 v75, v66
	v_nop
	s_delay_alu instid0(TRANS32_DEP_1) | instskip(NEXT) | instid1(VALU_DEP_1)
	v_fma_f32 v76, -v66, v75, 1.0
	v_fmac_f32_e32 v75, v76, v75
	s_delay_alu instid0(VALU_DEP_1) | instskip(NEXT) | instid1(VALU_DEP_1)
	v_mul_f32_e32 v76, v77, v75
	v_fma_f32 v78, -v66, v76, v77
	s_delay_alu instid0(VALU_DEP_1) | instskip(NEXT) | instid1(VALU_DEP_1)
	v_fmac_f32_e32 v76, v78, v75
	v_fma_f32 v66, -v66, v76, v77
	s_delay_alu instid0(VALU_DEP_1) | instskip(NEXT) | instid1(VALU_DEP_1)
	v_div_fmas_f32 v66, v66, v75, v76
	v_div_fixup_f32 v67, v66, v67, 1.0
	s_delay_alu instid0(VALU_DEP_1)
	v_mul_f32_e32 v66, v69, v67
	v_xor_b32_e32 v67, 0x80000000, v67
.LBB58_511:
	s_and_not1_saveexec_b32 s1, s1
	s_cbranch_execz .LBB58_513
; %bb.512:
	s_delay_alu instid0(VALU_DEP_1) | instskip(SKIP_1) | instid1(VALU_DEP_2)
	v_div_scale_f32 v69, null, v66, v66, v67
	v_div_scale_f32 v77, vcc_lo, v67, v66, v67
	v_rcp_f32_e32 v75, v69
	v_nop
	s_delay_alu instid0(TRANS32_DEP_1) | instskip(NEXT) | instid1(VALU_DEP_1)
	v_fma_f32 v76, -v69, v75, 1.0
	v_fmac_f32_e32 v75, v76, v75
	s_delay_alu instid0(VALU_DEP_1) | instskip(NEXT) | instid1(VALU_DEP_1)
	v_mul_f32_e32 v76, v77, v75
	v_fma_f32 v78, -v69, v76, v77
	s_delay_alu instid0(VALU_DEP_1) | instskip(NEXT) | instid1(VALU_DEP_1)
	v_fmac_f32_e32 v76, v78, v75
	v_fma_f32 v69, -v69, v76, v77
	s_delay_alu instid0(VALU_DEP_1) | instskip(NEXT) | instid1(VALU_DEP_1)
	v_div_fmas_f32 v69, v69, v75, v76
	v_div_fixup_f32 v69, v69, v66, v67
	s_delay_alu instid0(VALU_DEP_1) | instskip(NEXT) | instid1(VALU_DEP_1)
	v_fmac_f32_e32 v66, v67, v69
	v_div_scale_f32 v67, null, v66, v66, 1.0
	s_delay_alu instid0(VALU_DEP_1) | instskip(SKIP_1) | instid1(TRANS32_DEP_1)
	v_rcp_f32_e32 v75, v67
	v_nop
	v_fma_f32 v76, -v67, v75, 1.0
	s_delay_alu instid0(VALU_DEP_1) | instskip(SKIP_1) | instid1(VALU_DEP_1)
	v_fmac_f32_e32 v75, v76, v75
	v_div_scale_f32 v76, vcc_lo, 1.0, v66, 1.0
	v_mul_f32_e32 v77, v76, v75
	s_delay_alu instid0(VALU_DEP_1) | instskip(NEXT) | instid1(VALU_DEP_1)
	v_fma_f32 v78, -v67, v77, v76
	v_fmac_f32_e32 v77, v78, v75
	s_delay_alu instid0(VALU_DEP_1) | instskip(NEXT) | instid1(VALU_DEP_1)
	v_fma_f32 v67, -v67, v77, v76
	v_div_fmas_f32 v67, v67, v75, v77
	s_delay_alu instid0(VALU_DEP_1) | instskip(NEXT) | instid1(VALU_DEP_1)
	v_div_fixup_f32 v66, v67, v66, 1.0
	v_mul_f32_e64 v67, v69, -v66
.LBB58_513:
	s_or_b32 exec_lo, exec_lo, s1
.LBB58_514:
	s_delay_alu instid0(SALU_CYCLE_1) | instskip(NEXT) | instid1(SALU_CYCLE_1)
	s_or_b32 exec_lo, exec_lo, s0
	s_mov_b32 s0, exec_lo
	v_cmpx_ne_u32_e64 v74, v68
	s_xor_b32 s0, exec_lo, s0
	s_cbranch_execz .LBB58_520
; %bb.515:
	s_mov_b32 s1, exec_lo
	v_cmpx_eq_u32_e32 24, v74
	s_cbranch_execz .LBB58_519
; %bb.516:
	v_cmp_ne_u32_e32 vcc_lo, 24, v68
	s_xor_b32 s12, s16, -1
	s_delay_alu instid0(SALU_CYCLE_1) | instskip(NEXT) | instid1(SALU_CYCLE_1)
	s_and_b32 s13, s12, vcc_lo
	s_and_saveexec_b32 s12, s13
	s_cbranch_execz .LBB58_518
; %bb.517:
	v_ashrrev_i32_e32 v69, 31, v68
	s_delay_alu instid0(VALU_DEP_1)
	v_lshl_add_u64 v[74:75], v[68:69], 2, v[4:5]
	s_clause 0x1
	global_load_b32 v69, v[74:75], off
	global_load_b32 v73, v[4:5], off offset:96
	s_wait_loadcnt 0x1
	global_store_b32 v[4:5], v69, off offset:96
	s_wait_loadcnt 0x0
	global_store_b32 v[74:75], v73, off
.LBB58_518:
	s_wait_xcnt 0x0
	s_or_b32 exec_lo, exec_lo, s12
	v_dual_mov_b32 v74, v68 :: v_dual_mov_b32 v73, v68
.LBB58_519:
	s_or_b32 exec_lo, exec_lo, s1
.LBB58_520:
	s_and_not1_saveexec_b32 s0, s0
	s_cbranch_execz .LBB58_522
; %bb.521:
	v_mov_b32_e32 v74, 24
	ds_store_2addr_b64 v70, v[24:25], v[42:43] offset0:25 offset1:26
	ds_store_2addr_b64 v70, v[40:41], v[32:33] offset0:27 offset1:28
	ds_store_b64 v70, v[64:65] offset:232
.LBB58_522:
	s_or_b32 exec_lo, exec_lo, s0
	s_delay_alu instid0(SALU_CYCLE_1)
	s_mov_b32 s0, exec_lo
	s_wait_storecnt_dscnt 0x0
	s_barrier_signal -1
	s_barrier_wait -1
	v_cmpx_lt_i32_e32 24, v74
	s_cbranch_execz .LBB58_524
; %bb.523:
	v_pk_mul_f32 v[68:69], v[66:67], v[44:45] op_sel:[1,1] op_sel_hi:[0,1]
	s_delay_alu instid0(VALU_DEP_1)
	v_pk_fma_f32 v[76:77], v[66:67], v[44:45], v[68:69] op_sel_hi:[1,0,1] neg_lo:[0,0,1] neg_hi:[0,0,1]
	v_pk_fma_f32 v[78:79], v[66:67], v[44:45], v[68:69] op_sel_hi:[1,0,1]
	ds_load_2addr_b64 v[66:69], v70 offset0:25 offset1:26
	v_dual_mov_b32 v44, v76 :: v_dual_mov_b32 v45, v79
	s_wait_dscnt 0x0
	v_pk_mul_f32 v[80:81], v[66:67], v[78:79] op_sel:[0,1]
	s_delay_alu instid0(VALU_DEP_1) | instskip(SKIP_1) | instid1(VALU_DEP_1)
	v_pk_fma_f32 v[82:83], v[66:67], v[76:77], v[80:81] op_sel:[0,0,1] op_sel_hi:[1,1,0] neg_lo:[0,0,1] neg_hi:[0,0,1]
	v_pk_fma_f32 v[66:67], v[66:67], v[76:77], v[80:81] op_sel:[0,0,1] op_sel_hi:[1,0,0]
	v_mov_b32_e32 v83, v67
	v_pk_mul_f32 v[66:67], v[68:69], v[78:79] op_sel:[0,1]
	s_delay_alu instid0(VALU_DEP_1) | instskip(SKIP_1) | instid1(VALU_DEP_1)
	v_pk_fma_f32 v[80:81], v[68:69], v[76:77], v[66:67] op_sel:[0,0,1] op_sel_hi:[1,1,0] neg_lo:[0,0,1] neg_hi:[0,0,1]
	v_pk_fma_f32 v[66:67], v[68:69], v[76:77], v[66:67] op_sel:[0,0,1] op_sel_hi:[1,0,0]
	v_mov_b32_e32 v81, v67
	ds_load_2addr_b64 v[66:69], v70 offset0:27 offset1:28
	v_pk_add_f32 v[24:25], v[24:25], v[82:83] neg_lo:[0,1] neg_hi:[0,1]
	v_pk_add_f32 v[42:43], v[42:43], v[80:81] neg_lo:[0,1] neg_hi:[0,1]
	s_wait_dscnt 0x0
	v_pk_mul_f32 v[80:81], v[66:67], v[78:79] op_sel:[0,1]
	s_delay_alu instid0(VALU_DEP_1) | instskip(SKIP_2) | instid1(VALU_DEP_2)
	v_pk_fma_f32 v[82:83], v[66:67], v[76:77], v[80:81] op_sel:[0,0,1] op_sel_hi:[1,1,0] neg_lo:[0,0,1] neg_hi:[0,0,1]
	v_pk_fma_f32 v[66:67], v[66:67], v[76:77], v[80:81] op_sel:[0,0,1] op_sel_hi:[1,0,0]
	v_dual_mul_f32 v80, v69, v79 :: v_dual_mov_b32 v66, v69
	v_dual_mov_b32 v83, v67 :: v_dual_mov_b32 v67, v68
	s_delay_alu instid0(VALU_DEP_2) | instskip(SKIP_1) | instid1(VALU_DEP_3)
	v_pk_fma_f32 v[80:81], v[68:69], v[44:45], v[80:81] op_sel_hi:[1,1,0] neg_lo:[0,0,1] neg_hi:[0,0,1]
	v_mul_f32_e32 v68, v69, v76
	v_pk_add_f32 v[40:41], v[40:41], v[82:83] neg_lo:[0,1] neg_hi:[0,1]
	s_delay_alu instid0(VALU_DEP_2) | instskip(NEXT) | instid1(VALU_DEP_1)
	v_pk_fma_f32 v[66:67], v[66:67], v[44:45], v[68:69] op_sel_hi:[1,1,0]
	v_mov_b32_e32 v81, v67
	ds_load_b64 v[66:67], v70 offset:232
	v_pk_add_f32 v[32:33], v[32:33], v[80:81] neg_lo:[0,1] neg_hi:[0,1]
	s_wait_dscnt 0x0
	v_pk_mul_f32 v[68:69], v[66:67], v[78:79] op_sel:[0,1]
	s_delay_alu instid0(VALU_DEP_1) | instskip(SKIP_1) | instid1(VALU_DEP_1)
	v_pk_fma_f32 v[78:79], v[66:67], v[76:77], v[68:69] op_sel:[0,0,1] op_sel_hi:[1,1,0] neg_lo:[0,0,1] neg_hi:[0,0,1]
	v_pk_fma_f32 v[66:67], v[66:67], v[76:77], v[68:69] op_sel:[0,0,1] op_sel_hi:[1,0,0]
	v_mov_b32_e32 v79, v67
	s_delay_alu instid0(VALU_DEP_1)
	v_pk_add_f32 v[64:65], v[64:65], v[78:79] neg_lo:[0,1] neg_hi:[0,1]
.LBB58_524:
	s_or_b32 exec_lo, exec_lo, s0
	v_lshl_add_u32 v66, v74, 3, v70
	s_barrier_signal -1
	s_barrier_wait -1
	ds_store_b64 v66, v[24:25]
	s_wait_dscnt 0x0
	s_barrier_signal -1
	s_barrier_wait -1
	ds_load_b64 v[66:67], v70 offset:200
	v_mov_b32_e32 v68, 25
	s_cmp_lt_i32 s18, 27
	s_cbranch_scc1 .LBB58_527
; %bb.525:
	v_add3_u32 v69, v71, 0, 0xd0
	v_mov_b32_e32 v68, 25
	s_mov_b32 s0, 26
.LBB58_526:                             ; =>This Inner Loop Header: Depth=1
	ds_load_b64 v[76:77], v69
	s_wait_dscnt 0x1
	v_cmp_gt_f32_e32 vcc_lo, 0, v66
	v_cndmask_b32_e64 v78, v66, -v66, vcc_lo
	v_cmp_gt_f32_e32 vcc_lo, 0, v67
	v_cndmask_b32_e64 v80, v67, -v67, vcc_lo
	s_wait_dscnt 0x0
	v_cmp_gt_f32_e32 vcc_lo, 0, v76
	v_cndmask_b32_e64 v79, v76, -v76, vcc_lo
	v_cmp_gt_f32_e32 vcc_lo, 0, v77
	v_cndmask_b32_e64 v81, v77, -v77, vcc_lo
	s_delay_alu instid0(VALU_DEP_1) | instskip(NEXT) | instid1(VALU_DEP_1)
	v_pk_add_f32 v[78:79], v[78:79], v[80:81]
	v_cmp_lt_f32_e32 vcc_lo, v78, v79
	v_dual_cndmask_b32 v66, v66, v76 :: v_dual_add_nc_u32 v69, 8, v69
	v_cndmask_b32_e32 v67, v67, v77, vcc_lo
	v_cndmask_b32_e64 v68, v68, s0, vcc_lo
	s_add_co_i32 s0, s0, 1
	s_delay_alu instid0(SALU_CYCLE_1)
	s_cmp_lg_u32 s18, s0
	s_cbranch_scc1 .LBB58_526
.LBB58_527:
	s_wait_dscnt 0x0
	v_cmp_eq_f32_e32 vcc_lo, 0, v66
	v_cmp_eq_f32_e64 s0, 0, v67
	s_and_b32 s0, vcc_lo, s0
	s_delay_alu instid0(SALU_CYCLE_1) | instskip(NEXT) | instid1(SALU_CYCLE_1)
	s_and_saveexec_b32 s1, s0
	s_xor_b32 s0, exec_lo, s1
; %bb.528:
	v_cmp_ne_u32_e32 vcc_lo, 0, v72
	v_cndmask_b32_e32 v72, 26, v72, vcc_lo
; %bb.529:
	s_and_not1_saveexec_b32 s0, s0
	s_cbranch_execz .LBB58_535
; %bb.530:
	v_cmp_ngt_f32_e64 s1, |v66|, |v67|
	s_and_saveexec_b32 s12, s1
	s_delay_alu instid0(SALU_CYCLE_1)
	s_xor_b32 s1, exec_lo, s12
	s_cbranch_execz .LBB58_532
; %bb.531:
	v_div_scale_f32 v69, null, v67, v67, v66
	v_div_scale_f32 v77, vcc_lo, v66, v67, v66
	s_delay_alu instid0(VALU_DEP_2) | instskip(SKIP_1) | instid1(TRANS32_DEP_1)
	v_rcp_f32_e32 v75, v69
	v_nop
	v_fma_f32 v76, -v69, v75, 1.0
	s_delay_alu instid0(VALU_DEP_1) | instskip(NEXT) | instid1(VALU_DEP_1)
	v_fmac_f32_e32 v75, v76, v75
	v_mul_f32_e32 v76, v77, v75
	s_delay_alu instid0(VALU_DEP_1) | instskip(NEXT) | instid1(VALU_DEP_1)
	v_fma_f32 v78, -v69, v76, v77
	v_fmac_f32_e32 v76, v78, v75
	s_delay_alu instid0(VALU_DEP_1) | instskip(NEXT) | instid1(VALU_DEP_1)
	v_fma_f32 v69, -v69, v76, v77
	v_div_fmas_f32 v69, v69, v75, v76
	s_delay_alu instid0(VALU_DEP_1) | instskip(NEXT) | instid1(VALU_DEP_1)
	v_div_fixup_f32 v69, v69, v67, v66
	v_fmac_f32_e32 v67, v66, v69
	s_delay_alu instid0(VALU_DEP_1) | instskip(SKIP_1) | instid1(VALU_DEP_2)
	v_div_scale_f32 v66, null, v67, v67, 1.0
	v_div_scale_f32 v77, vcc_lo, 1.0, v67, 1.0
	v_rcp_f32_e32 v75, v66
	v_nop
	s_delay_alu instid0(TRANS32_DEP_1) | instskip(NEXT) | instid1(VALU_DEP_1)
	v_fma_f32 v76, -v66, v75, 1.0
	v_fmac_f32_e32 v75, v76, v75
	s_delay_alu instid0(VALU_DEP_1) | instskip(NEXT) | instid1(VALU_DEP_1)
	v_mul_f32_e32 v76, v77, v75
	v_fma_f32 v78, -v66, v76, v77
	s_delay_alu instid0(VALU_DEP_1) | instskip(NEXT) | instid1(VALU_DEP_1)
	v_fmac_f32_e32 v76, v78, v75
	v_fma_f32 v66, -v66, v76, v77
	s_delay_alu instid0(VALU_DEP_1) | instskip(NEXT) | instid1(VALU_DEP_1)
	v_div_fmas_f32 v66, v66, v75, v76
	v_div_fixup_f32 v67, v66, v67, 1.0
	s_delay_alu instid0(VALU_DEP_1)
	v_mul_f32_e32 v66, v69, v67
	v_xor_b32_e32 v67, 0x80000000, v67
.LBB58_532:
	s_and_not1_saveexec_b32 s1, s1
	s_cbranch_execz .LBB58_534
; %bb.533:
	s_delay_alu instid0(VALU_DEP_1) | instskip(SKIP_1) | instid1(VALU_DEP_2)
	v_div_scale_f32 v69, null, v66, v66, v67
	v_div_scale_f32 v77, vcc_lo, v67, v66, v67
	v_rcp_f32_e32 v75, v69
	v_nop
	s_delay_alu instid0(TRANS32_DEP_1) | instskip(NEXT) | instid1(VALU_DEP_1)
	v_fma_f32 v76, -v69, v75, 1.0
	v_fmac_f32_e32 v75, v76, v75
	s_delay_alu instid0(VALU_DEP_1) | instskip(NEXT) | instid1(VALU_DEP_1)
	v_mul_f32_e32 v76, v77, v75
	v_fma_f32 v78, -v69, v76, v77
	s_delay_alu instid0(VALU_DEP_1) | instskip(NEXT) | instid1(VALU_DEP_1)
	v_fmac_f32_e32 v76, v78, v75
	v_fma_f32 v69, -v69, v76, v77
	s_delay_alu instid0(VALU_DEP_1) | instskip(NEXT) | instid1(VALU_DEP_1)
	v_div_fmas_f32 v69, v69, v75, v76
	v_div_fixup_f32 v69, v69, v66, v67
	s_delay_alu instid0(VALU_DEP_1) | instskip(NEXT) | instid1(VALU_DEP_1)
	v_fmac_f32_e32 v66, v67, v69
	v_div_scale_f32 v67, null, v66, v66, 1.0
	s_delay_alu instid0(VALU_DEP_1) | instskip(SKIP_1) | instid1(TRANS32_DEP_1)
	v_rcp_f32_e32 v75, v67
	v_nop
	v_fma_f32 v76, -v67, v75, 1.0
	s_delay_alu instid0(VALU_DEP_1) | instskip(SKIP_1) | instid1(VALU_DEP_1)
	v_fmac_f32_e32 v75, v76, v75
	v_div_scale_f32 v76, vcc_lo, 1.0, v66, 1.0
	v_mul_f32_e32 v77, v76, v75
	s_delay_alu instid0(VALU_DEP_1) | instskip(NEXT) | instid1(VALU_DEP_1)
	v_fma_f32 v78, -v67, v77, v76
	v_fmac_f32_e32 v77, v78, v75
	s_delay_alu instid0(VALU_DEP_1) | instskip(NEXT) | instid1(VALU_DEP_1)
	v_fma_f32 v67, -v67, v77, v76
	v_div_fmas_f32 v67, v67, v75, v77
	s_delay_alu instid0(VALU_DEP_1) | instskip(NEXT) | instid1(VALU_DEP_1)
	v_div_fixup_f32 v66, v67, v66, 1.0
	v_mul_f32_e64 v67, v69, -v66
.LBB58_534:
	s_or_b32 exec_lo, exec_lo, s1
.LBB58_535:
	s_delay_alu instid0(SALU_CYCLE_1) | instskip(NEXT) | instid1(SALU_CYCLE_1)
	s_or_b32 exec_lo, exec_lo, s0
	s_mov_b32 s0, exec_lo
	v_cmpx_ne_u32_e64 v74, v68
	s_xor_b32 s0, exec_lo, s0
	s_cbranch_execz .LBB58_541
; %bb.536:
	s_mov_b32 s1, exec_lo
	v_cmpx_eq_u32_e32 25, v74
	s_cbranch_execz .LBB58_540
; %bb.537:
	v_cmp_ne_u32_e32 vcc_lo, 25, v68
	s_xor_b32 s12, s16, -1
	s_delay_alu instid0(SALU_CYCLE_1) | instskip(NEXT) | instid1(SALU_CYCLE_1)
	s_and_b32 s13, s12, vcc_lo
	s_and_saveexec_b32 s12, s13
	s_cbranch_execz .LBB58_539
; %bb.538:
	v_ashrrev_i32_e32 v69, 31, v68
	s_delay_alu instid0(VALU_DEP_1)
	v_lshl_add_u64 v[74:75], v[68:69], 2, v[4:5]
	s_clause 0x1
	global_load_b32 v69, v[74:75], off
	global_load_b32 v73, v[4:5], off offset:100
	s_wait_loadcnt 0x1
	global_store_b32 v[4:5], v69, off offset:100
	s_wait_loadcnt 0x0
	global_store_b32 v[74:75], v73, off
.LBB58_539:
	s_wait_xcnt 0x0
	s_or_b32 exec_lo, exec_lo, s12
	v_dual_mov_b32 v74, v68 :: v_dual_mov_b32 v73, v68
.LBB58_540:
	s_or_b32 exec_lo, exec_lo, s1
.LBB58_541:
	s_and_not1_saveexec_b32 s0, s0
	s_cbranch_execz .LBB58_543
; %bb.542:
	v_dual_mov_b32 v68, v42 :: v_dual_mov_b32 v69, v43
	v_dual_mov_b32 v76, v40 :: v_dual_mov_b32 v77, v41
	;; [unrolled: 1-line block ×3, first 2 shown]
	v_mov_b32_e32 v79, v33
	ds_store_2addr_b64 v70, v[68:69], v[76:77] offset0:26 offset1:27
	ds_store_2addr_b64 v70, v[78:79], v[64:65] offset0:28 offset1:29
.LBB58_543:
	s_or_b32 exec_lo, exec_lo, s0
	s_delay_alu instid0(SALU_CYCLE_1)
	s_mov_b32 s0, exec_lo
	s_wait_storecnt_dscnt 0x0
	s_barrier_signal -1
	s_barrier_wait -1
	v_cmpx_lt_i32_e32 25, v74
	s_cbranch_execz .LBB58_545
; %bb.544:
	ds_load_2addr_b64 v[76:79], v70 offset0:26 offset1:27
	ds_load_2addr_b64 v[80:83], v70 offset0:28 offset1:29
	v_pk_mul_f32 v[68:69], v[66:67], v[24:25] op_sel:[1,1] op_sel_hi:[0,1]
	s_delay_alu instid0(VALU_DEP_1) | instskip(SKIP_1) | instid1(VALU_DEP_1)
	v_pk_fma_f32 v[84:85], v[66:67], v[24:25], v[68:69] op_sel_hi:[1,0,1] neg_lo:[0,0,1] neg_hi:[0,0,1]
	v_pk_fma_f32 v[66:67], v[66:67], v[24:25], v[68:69] op_sel_hi:[1,0,1]
	v_dual_mov_b32 v24, v84 :: v_dual_mov_b32 v25, v67
	s_wait_dscnt 0x1
	s_delay_alu instid0(VALU_DEP_2)
	v_pk_mul_f32 v[68:69], v[76:77], v[66:67] op_sel:[0,1]
	s_wait_dscnt 0x0
	v_mov_b32_e32 v86, v83
	v_pk_mul_f32 v[88:89], v[78:79], v[66:67] op_sel:[0,1]
	v_pk_mul_f32 v[90:91], v[80:81], v[66:67] op_sel:[0,1]
	v_pk_fma_f32 v[92:93], v[76:77], v[84:85], v[68:69] op_sel:[0,0,1] op_sel_hi:[1,1,0] neg_lo:[0,0,1] neg_hi:[0,0,1]
	v_pk_fma_f32 v[68:69], v[76:77], v[84:85], v[68:69] op_sel:[0,0,1] op_sel_hi:[1,0,0]
	s_delay_alu instid0(VALU_DEP_1) | instskip(NEXT) | instid1(VALU_DEP_1)
	v_dual_mov_b32 v87, v82 :: v_dual_mov_b32 v93, v69
	v_pk_mul_f32 v[76:77], v[86:87], v[66:67] op_sel:[0,1]
	v_pk_fma_f32 v[86:87], v[78:79], v[84:85], v[88:89] op_sel:[0,0,1] op_sel_hi:[1,0,0]
	v_pk_fma_f32 v[78:79], v[78:79], v[84:85], v[88:89] op_sel:[0,0,1] op_sel_hi:[1,1,0] neg_lo:[0,0,1] neg_hi:[0,0,1]
	v_pk_fma_f32 v[88:89], v[80:81], v[84:85], v[90:91] op_sel:[0,0,1] op_sel_hi:[1,0,0]
	v_pk_fma_f32 v[80:81], v[80:81], v[84:85], v[90:91] op_sel:[0,0,1] op_sel_hi:[1,1,0] neg_lo:[0,0,1] neg_hi:[0,0,1]
	v_pk_fma_f32 v[68:69], v[82:83], v[84:85], v[76:77] op_sel_hi:[1,0,1]
	v_pk_fma_f32 v[76:77], v[82:83], v[84:85], v[76:77] neg_lo:[0,0,1] neg_hi:[0,0,1]
	s_delay_alu instid0(VALU_DEP_4) | instskip(SKIP_1) | instid1(VALU_DEP_4)
	v_dual_mov_b32 v79, v87 :: v_dual_mov_b32 v81, v89
	v_pk_add_f32 v[42:43], v[42:43], v[92:93] neg_lo:[0,1] neg_hi:[0,1]
	v_mov_b32_e32 v77, v69
	s_delay_alu instid0(VALU_DEP_3) | instskip(NEXT) | instid1(VALU_DEP_4)
	v_pk_add_f32 v[40:41], v[40:41], v[78:79] neg_lo:[0,1] neg_hi:[0,1]
	v_pk_add_f32 v[32:33], v[32:33], v[80:81] neg_lo:[0,1] neg_hi:[0,1]
	s_delay_alu instid0(VALU_DEP_3)
	v_pk_add_f32 v[64:65], v[64:65], v[76:77] neg_lo:[0,1] neg_hi:[0,1]
.LBB58_545:
	s_or_b32 exec_lo, exec_lo, s0
	v_lshl_add_u32 v66, v74, 3, v70
	s_barrier_signal -1
	s_barrier_wait -1
	ds_store_b64 v66, v[42:43]
	s_wait_dscnt 0x0
	s_barrier_signal -1
	s_barrier_wait -1
	ds_load_b64 v[66:67], v70 offset:208
	v_mov_b32_e32 v68, 26
	s_cmp_lt_i32 s18, 28
	s_cbranch_scc1 .LBB58_548
; %bb.546:
	v_add3_u32 v69, v71, 0, 0xd8
	v_mov_b32_e32 v68, 26
	s_mov_b32 s0, 27
.LBB58_547:                             ; =>This Inner Loop Header: Depth=1
	ds_load_b64 v[76:77], v69
	s_wait_dscnt 0x1
	v_cmp_gt_f32_e32 vcc_lo, 0, v66
	v_cndmask_b32_e64 v78, v66, -v66, vcc_lo
	v_cmp_gt_f32_e32 vcc_lo, 0, v67
	v_cndmask_b32_e64 v80, v67, -v67, vcc_lo
	s_wait_dscnt 0x0
	v_cmp_gt_f32_e32 vcc_lo, 0, v76
	v_cndmask_b32_e64 v79, v76, -v76, vcc_lo
	v_cmp_gt_f32_e32 vcc_lo, 0, v77
	v_cndmask_b32_e64 v81, v77, -v77, vcc_lo
	s_delay_alu instid0(VALU_DEP_1) | instskip(NEXT) | instid1(VALU_DEP_1)
	v_pk_add_f32 v[78:79], v[78:79], v[80:81]
	v_cmp_lt_f32_e32 vcc_lo, v78, v79
	v_dual_cndmask_b32 v66, v66, v76 :: v_dual_add_nc_u32 v69, 8, v69
	v_cndmask_b32_e32 v67, v67, v77, vcc_lo
	v_cndmask_b32_e64 v68, v68, s0, vcc_lo
	s_add_co_i32 s0, s0, 1
	s_delay_alu instid0(SALU_CYCLE_1)
	s_cmp_lg_u32 s18, s0
	s_cbranch_scc1 .LBB58_547
.LBB58_548:
	s_wait_dscnt 0x0
	v_cmp_eq_f32_e32 vcc_lo, 0, v66
	v_cmp_eq_f32_e64 s0, 0, v67
	s_and_b32 s0, vcc_lo, s0
	s_delay_alu instid0(SALU_CYCLE_1) | instskip(NEXT) | instid1(SALU_CYCLE_1)
	s_and_saveexec_b32 s1, s0
	s_xor_b32 s0, exec_lo, s1
; %bb.549:
	v_cmp_ne_u32_e32 vcc_lo, 0, v72
	v_cndmask_b32_e32 v72, 27, v72, vcc_lo
; %bb.550:
	s_and_not1_saveexec_b32 s0, s0
	s_cbranch_execz .LBB58_556
; %bb.551:
	v_cmp_ngt_f32_e64 s1, |v66|, |v67|
	s_and_saveexec_b32 s12, s1
	s_delay_alu instid0(SALU_CYCLE_1)
	s_xor_b32 s1, exec_lo, s12
	s_cbranch_execz .LBB58_553
; %bb.552:
	v_div_scale_f32 v69, null, v67, v67, v66
	v_div_scale_f32 v77, vcc_lo, v66, v67, v66
	s_delay_alu instid0(VALU_DEP_2) | instskip(SKIP_1) | instid1(TRANS32_DEP_1)
	v_rcp_f32_e32 v75, v69
	v_nop
	v_fma_f32 v76, -v69, v75, 1.0
	s_delay_alu instid0(VALU_DEP_1) | instskip(NEXT) | instid1(VALU_DEP_1)
	v_fmac_f32_e32 v75, v76, v75
	v_mul_f32_e32 v76, v77, v75
	s_delay_alu instid0(VALU_DEP_1) | instskip(NEXT) | instid1(VALU_DEP_1)
	v_fma_f32 v78, -v69, v76, v77
	v_fmac_f32_e32 v76, v78, v75
	s_delay_alu instid0(VALU_DEP_1) | instskip(NEXT) | instid1(VALU_DEP_1)
	v_fma_f32 v69, -v69, v76, v77
	v_div_fmas_f32 v69, v69, v75, v76
	s_delay_alu instid0(VALU_DEP_1) | instskip(NEXT) | instid1(VALU_DEP_1)
	v_div_fixup_f32 v69, v69, v67, v66
	v_fmac_f32_e32 v67, v66, v69
	s_delay_alu instid0(VALU_DEP_1) | instskip(SKIP_1) | instid1(VALU_DEP_2)
	v_div_scale_f32 v66, null, v67, v67, 1.0
	v_div_scale_f32 v77, vcc_lo, 1.0, v67, 1.0
	v_rcp_f32_e32 v75, v66
	v_nop
	s_delay_alu instid0(TRANS32_DEP_1) | instskip(NEXT) | instid1(VALU_DEP_1)
	v_fma_f32 v76, -v66, v75, 1.0
	v_fmac_f32_e32 v75, v76, v75
	s_delay_alu instid0(VALU_DEP_1) | instskip(NEXT) | instid1(VALU_DEP_1)
	v_mul_f32_e32 v76, v77, v75
	v_fma_f32 v78, -v66, v76, v77
	s_delay_alu instid0(VALU_DEP_1) | instskip(NEXT) | instid1(VALU_DEP_1)
	v_fmac_f32_e32 v76, v78, v75
	v_fma_f32 v66, -v66, v76, v77
	s_delay_alu instid0(VALU_DEP_1) | instskip(NEXT) | instid1(VALU_DEP_1)
	v_div_fmas_f32 v66, v66, v75, v76
	v_div_fixup_f32 v67, v66, v67, 1.0
	s_delay_alu instid0(VALU_DEP_1)
	v_mul_f32_e32 v66, v69, v67
	v_xor_b32_e32 v67, 0x80000000, v67
.LBB58_553:
	s_and_not1_saveexec_b32 s1, s1
	s_cbranch_execz .LBB58_555
; %bb.554:
	s_delay_alu instid0(VALU_DEP_1) | instskip(SKIP_1) | instid1(VALU_DEP_2)
	v_div_scale_f32 v69, null, v66, v66, v67
	v_div_scale_f32 v77, vcc_lo, v67, v66, v67
	v_rcp_f32_e32 v75, v69
	v_nop
	s_delay_alu instid0(TRANS32_DEP_1) | instskip(NEXT) | instid1(VALU_DEP_1)
	v_fma_f32 v76, -v69, v75, 1.0
	v_fmac_f32_e32 v75, v76, v75
	s_delay_alu instid0(VALU_DEP_1) | instskip(NEXT) | instid1(VALU_DEP_1)
	v_mul_f32_e32 v76, v77, v75
	v_fma_f32 v78, -v69, v76, v77
	s_delay_alu instid0(VALU_DEP_1) | instskip(NEXT) | instid1(VALU_DEP_1)
	v_fmac_f32_e32 v76, v78, v75
	v_fma_f32 v69, -v69, v76, v77
	s_delay_alu instid0(VALU_DEP_1) | instskip(NEXT) | instid1(VALU_DEP_1)
	v_div_fmas_f32 v69, v69, v75, v76
	v_div_fixup_f32 v69, v69, v66, v67
	s_delay_alu instid0(VALU_DEP_1) | instskip(NEXT) | instid1(VALU_DEP_1)
	v_fmac_f32_e32 v66, v67, v69
	v_div_scale_f32 v67, null, v66, v66, 1.0
	s_delay_alu instid0(VALU_DEP_1) | instskip(SKIP_1) | instid1(TRANS32_DEP_1)
	v_rcp_f32_e32 v75, v67
	v_nop
	v_fma_f32 v76, -v67, v75, 1.0
	s_delay_alu instid0(VALU_DEP_1) | instskip(SKIP_1) | instid1(VALU_DEP_1)
	v_fmac_f32_e32 v75, v76, v75
	v_div_scale_f32 v76, vcc_lo, 1.0, v66, 1.0
	v_mul_f32_e32 v77, v76, v75
	s_delay_alu instid0(VALU_DEP_1) | instskip(NEXT) | instid1(VALU_DEP_1)
	v_fma_f32 v78, -v67, v77, v76
	v_fmac_f32_e32 v77, v78, v75
	s_delay_alu instid0(VALU_DEP_1) | instskip(NEXT) | instid1(VALU_DEP_1)
	v_fma_f32 v67, -v67, v77, v76
	v_div_fmas_f32 v67, v67, v75, v77
	s_delay_alu instid0(VALU_DEP_1) | instskip(NEXT) | instid1(VALU_DEP_1)
	v_div_fixup_f32 v66, v67, v66, 1.0
	v_mul_f32_e64 v67, v69, -v66
.LBB58_555:
	s_or_b32 exec_lo, exec_lo, s1
.LBB58_556:
	s_delay_alu instid0(SALU_CYCLE_1) | instskip(NEXT) | instid1(SALU_CYCLE_1)
	s_or_b32 exec_lo, exec_lo, s0
	s_mov_b32 s0, exec_lo
	v_cmpx_ne_u32_e64 v74, v68
	s_xor_b32 s0, exec_lo, s0
	s_cbranch_execz .LBB58_562
; %bb.557:
	s_mov_b32 s1, exec_lo
	v_cmpx_eq_u32_e32 26, v74
	s_cbranch_execz .LBB58_561
; %bb.558:
	v_cmp_ne_u32_e32 vcc_lo, 26, v68
	s_xor_b32 s12, s16, -1
	s_delay_alu instid0(SALU_CYCLE_1) | instskip(NEXT) | instid1(SALU_CYCLE_1)
	s_and_b32 s13, s12, vcc_lo
	s_and_saveexec_b32 s12, s13
	s_cbranch_execz .LBB58_560
; %bb.559:
	v_ashrrev_i32_e32 v69, 31, v68
	s_delay_alu instid0(VALU_DEP_1)
	v_lshl_add_u64 v[74:75], v[68:69], 2, v[4:5]
	s_clause 0x1
	global_load_b32 v69, v[74:75], off
	global_load_b32 v73, v[4:5], off offset:104
	s_wait_loadcnt 0x1
	global_store_b32 v[4:5], v69, off offset:104
	s_wait_loadcnt 0x0
	global_store_b32 v[74:75], v73, off
.LBB58_560:
	s_wait_xcnt 0x0
	s_or_b32 exec_lo, exec_lo, s12
	v_dual_mov_b32 v74, v68 :: v_dual_mov_b32 v73, v68
.LBB58_561:
	s_or_b32 exec_lo, exec_lo, s1
.LBB58_562:
	s_and_not1_saveexec_b32 s0, s0
	s_cbranch_execz .LBB58_564
; %bb.563:
	v_mov_b32_e32 v74, 26
	ds_store_2addr_b64 v70, v[40:41], v[32:33] offset0:27 offset1:28
	ds_store_b64 v70, v[64:65] offset:232
.LBB58_564:
	s_or_b32 exec_lo, exec_lo, s0
	s_delay_alu instid0(SALU_CYCLE_1)
	s_mov_b32 s0, exec_lo
	s_wait_storecnt_dscnt 0x0
	s_barrier_signal -1
	s_barrier_wait -1
	v_cmpx_lt_i32_e32 26, v74
	s_cbranch_execz .LBB58_566
; %bb.565:
	ds_load_2addr_b64 v[76:79], v70 offset0:27 offset1:28
	ds_load_b64 v[68:69], v70 offset:232
	v_pk_mul_f32 v[80:81], v[66:67], v[42:43] op_sel:[1,1] op_sel_hi:[0,1]
	s_delay_alu instid0(VALU_DEP_1) | instskip(SKIP_2) | instid1(VALU_DEP_2)
	v_pk_fma_f32 v[82:83], v[66:67], v[42:43], v[80:81] op_sel_hi:[1,0,1]
	v_pk_fma_f32 v[42:43], v[66:67], v[42:43], v[80:81] op_sel_hi:[1,0,1] neg_lo:[0,0,1] neg_hi:[0,0,1]
	s_wait_dscnt 0x1
	v_pk_mul_f32 v[66:67], v[76:77], v[82:83] op_sel:[0,1]
	v_pk_mul_f32 v[80:81], v[78:79], v[82:83] op_sel:[0,1]
	s_wait_dscnt 0x0
	v_pk_mul_f32 v[84:85], v[68:69], v[82:83] op_sel:[1,1] op_sel_hi:[0,1]
	s_delay_alu instid0(VALU_DEP_3) | instskip(SKIP_2) | instid1(VALU_DEP_4)
	v_pk_fma_f32 v[86:87], v[76:77], v[42:43], v[66:67] op_sel:[0,0,1] op_sel_hi:[1,1,0] neg_lo:[0,0,1] neg_hi:[0,0,1]
	v_pk_fma_f32 v[66:67], v[76:77], v[42:43], v[66:67] op_sel:[0,0,1] op_sel_hi:[1,0,0]
	v_pk_fma_f32 v[76:77], v[78:79], v[42:43], v[80:81] op_sel:[0,0,1] op_sel_hi:[1,0,0]
	v_pk_fma_f32 v[88:89], v[68:69], v[42:43], v[84:85] op_sel_hi:[1,0,1]
	v_pk_fma_f32 v[78:79], v[78:79], v[42:43], v[80:81] op_sel:[0,0,1] op_sel_hi:[1,1,0] neg_lo:[0,0,1] neg_hi:[0,0,1]
	v_pk_fma_f32 v[68:69], v[68:69], v[42:43], v[84:85] neg_lo:[0,0,1] neg_hi:[0,0,1]
	s_delay_alu instid0(VALU_DEP_4) | instskip(NEXT) | instid1(VALU_DEP_4)
	v_dual_mov_b32 v87, v67 :: v_dual_mov_b32 v79, v77
	v_dual_mov_b32 v69, v89 :: v_dual_mov_b32 v43, v83
	s_delay_alu instid0(VALU_DEP_2) | instskip(NEXT) | instid1(VALU_DEP_3)
	v_pk_add_f32 v[40:41], v[40:41], v[86:87] neg_lo:[0,1] neg_hi:[0,1]
	v_pk_add_f32 v[32:33], v[32:33], v[78:79] neg_lo:[0,1] neg_hi:[0,1]
	s_delay_alu instid0(VALU_DEP_3)
	v_pk_add_f32 v[64:65], v[64:65], v[68:69] neg_lo:[0,1] neg_hi:[0,1]
.LBB58_566:
	s_or_b32 exec_lo, exec_lo, s0
	v_lshl_add_u32 v66, v74, 3, v70
	s_barrier_signal -1
	s_barrier_wait -1
	ds_store_b64 v66, v[40:41]
	s_wait_dscnt 0x0
	s_barrier_signal -1
	s_barrier_wait -1
	ds_load_b64 v[66:67], v70 offset:216
	v_mov_b32_e32 v68, 27
	s_cmp_lt_i32 s18, 29
	s_cbranch_scc1 .LBB58_569
; %bb.567:
	v_add3_u32 v69, v71, 0, 0xe0
	v_mov_b32_e32 v68, 27
	s_mov_b32 s0, 28
.LBB58_568:                             ; =>This Inner Loop Header: Depth=1
	ds_load_b64 v[76:77], v69
	s_wait_dscnt 0x1
	v_cmp_gt_f32_e32 vcc_lo, 0, v66
	v_cndmask_b32_e64 v78, v66, -v66, vcc_lo
	v_cmp_gt_f32_e32 vcc_lo, 0, v67
	v_cndmask_b32_e64 v80, v67, -v67, vcc_lo
	s_wait_dscnt 0x0
	v_cmp_gt_f32_e32 vcc_lo, 0, v76
	v_cndmask_b32_e64 v79, v76, -v76, vcc_lo
	v_cmp_gt_f32_e32 vcc_lo, 0, v77
	v_cndmask_b32_e64 v81, v77, -v77, vcc_lo
	s_delay_alu instid0(VALU_DEP_1) | instskip(NEXT) | instid1(VALU_DEP_1)
	v_pk_add_f32 v[78:79], v[78:79], v[80:81]
	v_cmp_lt_f32_e32 vcc_lo, v78, v79
	v_dual_cndmask_b32 v66, v66, v76 :: v_dual_add_nc_u32 v69, 8, v69
	v_cndmask_b32_e32 v67, v67, v77, vcc_lo
	v_cndmask_b32_e64 v68, v68, s0, vcc_lo
	s_add_co_i32 s0, s0, 1
	s_delay_alu instid0(SALU_CYCLE_1)
	s_cmp_lg_u32 s18, s0
	s_cbranch_scc1 .LBB58_568
.LBB58_569:
	s_wait_dscnt 0x0
	v_cmp_eq_f32_e32 vcc_lo, 0, v66
	v_cmp_eq_f32_e64 s0, 0, v67
	s_and_b32 s0, vcc_lo, s0
	s_delay_alu instid0(SALU_CYCLE_1) | instskip(NEXT) | instid1(SALU_CYCLE_1)
	s_and_saveexec_b32 s1, s0
	s_xor_b32 s0, exec_lo, s1
; %bb.570:
	v_cmp_ne_u32_e32 vcc_lo, 0, v72
	v_cndmask_b32_e32 v72, 28, v72, vcc_lo
; %bb.571:
	s_and_not1_saveexec_b32 s0, s0
	s_cbranch_execz .LBB58_577
; %bb.572:
	v_cmp_ngt_f32_e64 s1, |v66|, |v67|
	s_and_saveexec_b32 s12, s1
	s_delay_alu instid0(SALU_CYCLE_1)
	s_xor_b32 s1, exec_lo, s12
	s_cbranch_execz .LBB58_574
; %bb.573:
	v_div_scale_f32 v69, null, v67, v67, v66
	v_div_scale_f32 v77, vcc_lo, v66, v67, v66
	s_delay_alu instid0(VALU_DEP_2) | instskip(SKIP_1) | instid1(TRANS32_DEP_1)
	v_rcp_f32_e32 v75, v69
	v_nop
	v_fma_f32 v76, -v69, v75, 1.0
	s_delay_alu instid0(VALU_DEP_1) | instskip(NEXT) | instid1(VALU_DEP_1)
	v_fmac_f32_e32 v75, v76, v75
	v_mul_f32_e32 v76, v77, v75
	s_delay_alu instid0(VALU_DEP_1) | instskip(NEXT) | instid1(VALU_DEP_1)
	v_fma_f32 v78, -v69, v76, v77
	v_fmac_f32_e32 v76, v78, v75
	s_delay_alu instid0(VALU_DEP_1) | instskip(NEXT) | instid1(VALU_DEP_1)
	v_fma_f32 v69, -v69, v76, v77
	v_div_fmas_f32 v69, v69, v75, v76
	s_delay_alu instid0(VALU_DEP_1) | instskip(NEXT) | instid1(VALU_DEP_1)
	v_div_fixup_f32 v69, v69, v67, v66
	v_fmac_f32_e32 v67, v66, v69
	s_delay_alu instid0(VALU_DEP_1) | instskip(SKIP_1) | instid1(VALU_DEP_2)
	v_div_scale_f32 v66, null, v67, v67, 1.0
	v_div_scale_f32 v77, vcc_lo, 1.0, v67, 1.0
	v_rcp_f32_e32 v75, v66
	v_nop
	s_delay_alu instid0(TRANS32_DEP_1) | instskip(NEXT) | instid1(VALU_DEP_1)
	v_fma_f32 v76, -v66, v75, 1.0
	v_fmac_f32_e32 v75, v76, v75
	s_delay_alu instid0(VALU_DEP_1) | instskip(NEXT) | instid1(VALU_DEP_1)
	v_mul_f32_e32 v76, v77, v75
	v_fma_f32 v78, -v66, v76, v77
	s_delay_alu instid0(VALU_DEP_1) | instskip(NEXT) | instid1(VALU_DEP_1)
	v_fmac_f32_e32 v76, v78, v75
	v_fma_f32 v66, -v66, v76, v77
	s_delay_alu instid0(VALU_DEP_1) | instskip(NEXT) | instid1(VALU_DEP_1)
	v_div_fmas_f32 v66, v66, v75, v76
	v_div_fixup_f32 v67, v66, v67, 1.0
	s_delay_alu instid0(VALU_DEP_1)
	v_mul_f32_e32 v66, v69, v67
	v_xor_b32_e32 v67, 0x80000000, v67
.LBB58_574:
	s_and_not1_saveexec_b32 s1, s1
	s_cbranch_execz .LBB58_576
; %bb.575:
	s_delay_alu instid0(VALU_DEP_1) | instskip(SKIP_1) | instid1(VALU_DEP_2)
	v_div_scale_f32 v69, null, v66, v66, v67
	v_div_scale_f32 v77, vcc_lo, v67, v66, v67
	v_rcp_f32_e32 v75, v69
	v_nop
	s_delay_alu instid0(TRANS32_DEP_1) | instskip(NEXT) | instid1(VALU_DEP_1)
	v_fma_f32 v76, -v69, v75, 1.0
	v_fmac_f32_e32 v75, v76, v75
	s_delay_alu instid0(VALU_DEP_1) | instskip(NEXT) | instid1(VALU_DEP_1)
	v_mul_f32_e32 v76, v77, v75
	v_fma_f32 v78, -v69, v76, v77
	s_delay_alu instid0(VALU_DEP_1) | instskip(NEXT) | instid1(VALU_DEP_1)
	v_fmac_f32_e32 v76, v78, v75
	v_fma_f32 v69, -v69, v76, v77
	s_delay_alu instid0(VALU_DEP_1) | instskip(NEXT) | instid1(VALU_DEP_1)
	v_div_fmas_f32 v69, v69, v75, v76
	v_div_fixup_f32 v69, v69, v66, v67
	s_delay_alu instid0(VALU_DEP_1) | instskip(NEXT) | instid1(VALU_DEP_1)
	v_fmac_f32_e32 v66, v67, v69
	v_div_scale_f32 v67, null, v66, v66, 1.0
	s_delay_alu instid0(VALU_DEP_1) | instskip(SKIP_1) | instid1(TRANS32_DEP_1)
	v_rcp_f32_e32 v75, v67
	v_nop
	v_fma_f32 v76, -v67, v75, 1.0
	s_delay_alu instid0(VALU_DEP_1) | instskip(SKIP_1) | instid1(VALU_DEP_1)
	v_fmac_f32_e32 v75, v76, v75
	v_div_scale_f32 v76, vcc_lo, 1.0, v66, 1.0
	v_mul_f32_e32 v77, v76, v75
	s_delay_alu instid0(VALU_DEP_1) | instskip(NEXT) | instid1(VALU_DEP_1)
	v_fma_f32 v78, -v67, v77, v76
	v_fmac_f32_e32 v77, v78, v75
	s_delay_alu instid0(VALU_DEP_1) | instskip(NEXT) | instid1(VALU_DEP_1)
	v_fma_f32 v67, -v67, v77, v76
	v_div_fmas_f32 v67, v67, v75, v77
	s_delay_alu instid0(VALU_DEP_1) | instskip(NEXT) | instid1(VALU_DEP_1)
	v_div_fixup_f32 v66, v67, v66, 1.0
	v_mul_f32_e64 v67, v69, -v66
.LBB58_576:
	s_or_b32 exec_lo, exec_lo, s1
.LBB58_577:
	s_delay_alu instid0(SALU_CYCLE_1) | instskip(NEXT) | instid1(SALU_CYCLE_1)
	s_or_b32 exec_lo, exec_lo, s0
	s_mov_b32 s0, exec_lo
	v_cmpx_ne_u32_e64 v74, v68
	s_xor_b32 s0, exec_lo, s0
	s_cbranch_execz .LBB58_583
; %bb.578:
	s_mov_b32 s1, exec_lo
	v_cmpx_eq_u32_e32 27, v74
	s_cbranch_execz .LBB58_582
; %bb.579:
	v_cmp_ne_u32_e32 vcc_lo, 27, v68
	s_xor_b32 s12, s16, -1
	s_delay_alu instid0(SALU_CYCLE_1) | instskip(NEXT) | instid1(SALU_CYCLE_1)
	s_and_b32 s13, s12, vcc_lo
	s_and_saveexec_b32 s12, s13
	s_cbranch_execz .LBB58_581
; %bb.580:
	v_ashrrev_i32_e32 v69, 31, v68
	s_delay_alu instid0(VALU_DEP_1)
	v_lshl_add_u64 v[74:75], v[68:69], 2, v[4:5]
	s_clause 0x1
	global_load_b32 v69, v[74:75], off
	global_load_b32 v73, v[4:5], off offset:108
	s_wait_loadcnt 0x1
	global_store_b32 v[4:5], v69, off offset:108
	s_wait_loadcnt 0x0
	global_store_b32 v[74:75], v73, off
.LBB58_581:
	s_wait_xcnt 0x0
	s_or_b32 exec_lo, exec_lo, s12
	v_dual_mov_b32 v74, v68 :: v_dual_mov_b32 v73, v68
.LBB58_582:
	s_or_b32 exec_lo, exec_lo, s1
.LBB58_583:
	s_and_not1_saveexec_b32 s0, s0
; %bb.584:
	v_dual_mov_b32 v68, v32 :: v_dual_mov_b32 v69, v33
	v_mov_b32_e32 v74, 27
	ds_store_2addr_b64 v70, v[68:69], v[64:65] offset0:28 offset1:29
; %bb.585:
	s_or_b32 exec_lo, exec_lo, s0
	s_delay_alu instid0(SALU_CYCLE_1)
	s_mov_b32 s0, exec_lo
	s_wait_storecnt_dscnt 0x0
	s_barrier_signal -1
	s_barrier_wait -1
	v_cmpx_lt_i32_e32 27, v74
	s_cbranch_execz .LBB58_587
; %bb.586:
	ds_load_2addr_b64 v[76:79], v70 offset0:28 offset1:29
	v_pk_mul_f32 v[68:69], v[66:67], v[40:41] op_sel:[1,1] op_sel_hi:[0,1]
	s_delay_alu instid0(VALU_DEP_1) | instskip(SKIP_3) | instid1(VALU_DEP_3)
	v_pk_fma_f32 v[80:81], v[66:67], v[40:41], v[68:69] op_sel_hi:[1,0,1]
	v_pk_fma_f32 v[40:41], v[66:67], v[40:41], v[68:69] op_sel_hi:[1,0,1] neg_lo:[0,0,1] neg_hi:[0,0,1]
	s_wait_dscnt 0x0
	v_dual_mov_b32 v82, v79 :: v_dual_mov_b32 v83, v78
	v_pk_mul_f32 v[66:67], v[76:77], v[80:81] op_sel:[0,1]
	s_delay_alu instid0(VALU_DEP_2) | instskip(NEXT) | instid1(VALU_DEP_2)
	v_pk_mul_f32 v[68:69], v[82:83], v[80:81] op_sel:[0,1]
	v_pk_fma_f32 v[82:83], v[76:77], v[40:41], v[66:67] op_sel:[0,0,1] op_sel_hi:[1,0,0]
	v_pk_fma_f32 v[66:67], v[76:77], v[40:41], v[66:67] op_sel:[0,0,1] op_sel_hi:[1,1,0] neg_lo:[0,0,1] neg_hi:[0,0,1]
	s_delay_alu instid0(VALU_DEP_3) | instskip(SKIP_1) | instid1(VALU_DEP_4)
	v_pk_fma_f32 v[84:85], v[78:79], v[40:41], v[68:69] op_sel_hi:[1,0,1]
	v_pk_fma_f32 v[68:69], v[78:79], v[40:41], v[68:69] neg_lo:[0,0,1] neg_hi:[0,0,1]
	v_dual_mov_b32 v67, v83 :: v_dual_mov_b32 v41, v81
	s_delay_alu instid0(VALU_DEP_3) | instskip(NEXT) | instid1(VALU_DEP_2)
	v_mov_b32_e32 v69, v85
	v_pk_add_f32 v[32:33], v[32:33], v[66:67] neg_lo:[0,1] neg_hi:[0,1]
	s_delay_alu instid0(VALU_DEP_2)
	v_pk_add_f32 v[64:65], v[64:65], v[68:69] neg_lo:[0,1] neg_hi:[0,1]
.LBB58_587:
	s_or_b32 exec_lo, exec_lo, s0
	v_lshl_add_u32 v66, v74, 3, v70
	s_barrier_signal -1
	s_barrier_wait -1
	ds_store_b64 v66, v[32:33]
	s_wait_dscnt 0x0
	s_barrier_signal -1
	s_barrier_wait -1
	ds_load_b64 v[66:67], v70 offset:224
	v_mov_b32_e32 v68, 28
	s_cmp_lt_i32 s18, 30
	s_cbranch_scc1 .LBB58_590
; %bb.588:
	v_add3_u32 v69, v71, 0, 0xe8
	v_mov_b32_e32 v68, 28
	s_mov_b32 s0, 29
.LBB58_589:                             ; =>This Inner Loop Header: Depth=1
	ds_load_b64 v[76:77], v69
	s_wait_dscnt 0x1
	v_cmp_gt_f32_e32 vcc_lo, 0, v66
	v_cndmask_b32_e64 v78, v66, -v66, vcc_lo
	v_cmp_gt_f32_e32 vcc_lo, 0, v67
	v_cndmask_b32_e64 v80, v67, -v67, vcc_lo
	s_wait_dscnt 0x0
	v_cmp_gt_f32_e32 vcc_lo, 0, v76
	v_cndmask_b32_e64 v79, v76, -v76, vcc_lo
	v_cmp_gt_f32_e32 vcc_lo, 0, v77
	v_cndmask_b32_e64 v81, v77, -v77, vcc_lo
	s_delay_alu instid0(VALU_DEP_1) | instskip(NEXT) | instid1(VALU_DEP_1)
	v_pk_add_f32 v[78:79], v[78:79], v[80:81]
	v_cmp_lt_f32_e32 vcc_lo, v78, v79
	v_dual_cndmask_b32 v66, v66, v76 :: v_dual_add_nc_u32 v69, 8, v69
	v_cndmask_b32_e32 v67, v67, v77, vcc_lo
	v_cndmask_b32_e64 v68, v68, s0, vcc_lo
	s_add_co_i32 s0, s0, 1
	s_delay_alu instid0(SALU_CYCLE_1)
	s_cmp_lg_u32 s18, s0
	s_cbranch_scc1 .LBB58_589
.LBB58_590:
	s_wait_dscnt 0x0
	v_cmp_eq_f32_e32 vcc_lo, 0, v66
	v_cmp_eq_f32_e64 s0, 0, v67
	s_and_b32 s0, vcc_lo, s0
	s_delay_alu instid0(SALU_CYCLE_1) | instskip(NEXT) | instid1(SALU_CYCLE_1)
	s_and_saveexec_b32 s1, s0
	s_xor_b32 s0, exec_lo, s1
; %bb.591:
	v_cmp_ne_u32_e32 vcc_lo, 0, v72
	v_cndmask_b32_e32 v72, 29, v72, vcc_lo
; %bb.592:
	s_and_not1_saveexec_b32 s0, s0
	s_cbranch_execz .LBB58_598
; %bb.593:
	v_cmp_ngt_f32_e64 s1, |v66|, |v67|
	s_and_saveexec_b32 s12, s1
	s_delay_alu instid0(SALU_CYCLE_1)
	s_xor_b32 s1, exec_lo, s12
	s_cbranch_execz .LBB58_595
; %bb.594:
	v_div_scale_f32 v69, null, v67, v67, v66
	v_div_scale_f32 v77, vcc_lo, v66, v67, v66
	s_delay_alu instid0(VALU_DEP_2) | instskip(SKIP_1) | instid1(TRANS32_DEP_1)
	v_rcp_f32_e32 v75, v69
	v_nop
	v_fma_f32 v76, -v69, v75, 1.0
	s_delay_alu instid0(VALU_DEP_1) | instskip(NEXT) | instid1(VALU_DEP_1)
	v_fmac_f32_e32 v75, v76, v75
	v_mul_f32_e32 v76, v77, v75
	s_delay_alu instid0(VALU_DEP_1) | instskip(NEXT) | instid1(VALU_DEP_1)
	v_fma_f32 v78, -v69, v76, v77
	v_fmac_f32_e32 v76, v78, v75
	s_delay_alu instid0(VALU_DEP_1) | instskip(NEXT) | instid1(VALU_DEP_1)
	v_fma_f32 v69, -v69, v76, v77
	v_div_fmas_f32 v69, v69, v75, v76
	s_delay_alu instid0(VALU_DEP_1) | instskip(NEXT) | instid1(VALU_DEP_1)
	v_div_fixup_f32 v69, v69, v67, v66
	v_fmac_f32_e32 v67, v66, v69
	s_delay_alu instid0(VALU_DEP_1) | instskip(SKIP_1) | instid1(VALU_DEP_2)
	v_div_scale_f32 v66, null, v67, v67, 1.0
	v_div_scale_f32 v77, vcc_lo, 1.0, v67, 1.0
	v_rcp_f32_e32 v75, v66
	v_nop
	s_delay_alu instid0(TRANS32_DEP_1) | instskip(NEXT) | instid1(VALU_DEP_1)
	v_fma_f32 v76, -v66, v75, 1.0
	v_fmac_f32_e32 v75, v76, v75
	s_delay_alu instid0(VALU_DEP_1) | instskip(NEXT) | instid1(VALU_DEP_1)
	v_mul_f32_e32 v76, v77, v75
	v_fma_f32 v78, -v66, v76, v77
	s_delay_alu instid0(VALU_DEP_1) | instskip(NEXT) | instid1(VALU_DEP_1)
	v_fmac_f32_e32 v76, v78, v75
	v_fma_f32 v66, -v66, v76, v77
	s_delay_alu instid0(VALU_DEP_1) | instskip(NEXT) | instid1(VALU_DEP_1)
	v_div_fmas_f32 v66, v66, v75, v76
	v_div_fixup_f32 v67, v66, v67, 1.0
	s_delay_alu instid0(VALU_DEP_1)
	v_mul_f32_e32 v66, v69, v67
	v_xor_b32_e32 v67, 0x80000000, v67
.LBB58_595:
	s_and_not1_saveexec_b32 s1, s1
	s_cbranch_execz .LBB58_597
; %bb.596:
	s_delay_alu instid0(VALU_DEP_1) | instskip(SKIP_1) | instid1(VALU_DEP_2)
	v_div_scale_f32 v69, null, v66, v66, v67
	v_div_scale_f32 v77, vcc_lo, v67, v66, v67
	v_rcp_f32_e32 v75, v69
	v_nop
	s_delay_alu instid0(TRANS32_DEP_1) | instskip(NEXT) | instid1(VALU_DEP_1)
	v_fma_f32 v76, -v69, v75, 1.0
	v_fmac_f32_e32 v75, v76, v75
	s_delay_alu instid0(VALU_DEP_1) | instskip(NEXT) | instid1(VALU_DEP_1)
	v_mul_f32_e32 v76, v77, v75
	v_fma_f32 v78, -v69, v76, v77
	s_delay_alu instid0(VALU_DEP_1) | instskip(NEXT) | instid1(VALU_DEP_1)
	v_fmac_f32_e32 v76, v78, v75
	v_fma_f32 v69, -v69, v76, v77
	s_delay_alu instid0(VALU_DEP_1) | instskip(NEXT) | instid1(VALU_DEP_1)
	v_div_fmas_f32 v69, v69, v75, v76
	v_div_fixup_f32 v69, v69, v66, v67
	s_delay_alu instid0(VALU_DEP_1) | instskip(NEXT) | instid1(VALU_DEP_1)
	v_fmac_f32_e32 v66, v67, v69
	v_div_scale_f32 v67, null, v66, v66, 1.0
	s_delay_alu instid0(VALU_DEP_1) | instskip(SKIP_1) | instid1(TRANS32_DEP_1)
	v_rcp_f32_e32 v75, v67
	v_nop
	v_fma_f32 v76, -v67, v75, 1.0
	s_delay_alu instid0(VALU_DEP_1) | instskip(SKIP_1) | instid1(VALU_DEP_1)
	v_fmac_f32_e32 v75, v76, v75
	v_div_scale_f32 v76, vcc_lo, 1.0, v66, 1.0
	v_mul_f32_e32 v77, v76, v75
	s_delay_alu instid0(VALU_DEP_1) | instskip(NEXT) | instid1(VALU_DEP_1)
	v_fma_f32 v78, -v67, v77, v76
	v_fmac_f32_e32 v77, v78, v75
	s_delay_alu instid0(VALU_DEP_1) | instskip(NEXT) | instid1(VALU_DEP_1)
	v_fma_f32 v67, -v67, v77, v76
	v_div_fmas_f32 v67, v67, v75, v77
	s_delay_alu instid0(VALU_DEP_1) | instskip(NEXT) | instid1(VALU_DEP_1)
	v_div_fixup_f32 v66, v67, v66, 1.0
	v_mul_f32_e64 v67, v69, -v66
.LBB58_597:
	s_or_b32 exec_lo, exec_lo, s1
.LBB58_598:
	s_delay_alu instid0(SALU_CYCLE_1) | instskip(NEXT) | instid1(SALU_CYCLE_1)
	s_or_b32 exec_lo, exec_lo, s0
	s_mov_b32 s0, exec_lo
	v_cmpx_ne_u32_e64 v74, v68
	s_xor_b32 s0, exec_lo, s0
	s_cbranch_execz .LBB58_604
; %bb.599:
	s_mov_b32 s1, exec_lo
	v_cmpx_eq_u32_e32 28, v74
	s_cbranch_execz .LBB58_603
; %bb.600:
	v_cmp_ne_u32_e32 vcc_lo, 28, v68
	s_xor_b32 s12, s16, -1
	s_delay_alu instid0(SALU_CYCLE_1) | instskip(NEXT) | instid1(SALU_CYCLE_1)
	s_and_b32 s13, s12, vcc_lo
	s_and_saveexec_b32 s12, s13
	s_cbranch_execz .LBB58_602
; %bb.601:
	v_ashrrev_i32_e32 v69, 31, v68
	s_delay_alu instid0(VALU_DEP_1)
	v_lshl_add_u64 v[74:75], v[68:69], 2, v[4:5]
	s_clause 0x1
	global_load_b32 v69, v[74:75], off
	global_load_b32 v73, v[4:5], off offset:112
	s_wait_loadcnt 0x1
	global_store_b32 v[4:5], v69, off offset:112
	s_wait_loadcnt 0x0
	global_store_b32 v[74:75], v73, off
.LBB58_602:
	s_wait_xcnt 0x0
	s_or_b32 exec_lo, exec_lo, s12
	v_dual_mov_b32 v74, v68 :: v_dual_mov_b32 v73, v68
.LBB58_603:
	s_or_b32 exec_lo, exec_lo, s1
.LBB58_604:
	s_and_not1_saveexec_b32 s0, s0
; %bb.605:
	v_mov_b32_e32 v74, 28
	ds_store_b64 v70, v[64:65] offset:232
; %bb.606:
	s_or_b32 exec_lo, exec_lo, s0
	s_delay_alu instid0(SALU_CYCLE_1)
	s_mov_b32 s0, exec_lo
	s_wait_storecnt_dscnt 0x0
	s_barrier_signal -1
	s_barrier_wait -1
	v_cmpx_lt_i32_e32 28, v74
	s_cbranch_execz .LBB58_608
; %bb.607:
	ds_load_b64 v[68:69], v70 offset:232
	v_pk_mul_f32 v[76:77], v[66:67], v[32:33] op_sel:[1,1] op_sel_hi:[0,1]
	s_delay_alu instid0(VALU_DEP_1) | instskip(SKIP_2) | instid1(VALU_DEP_2)
	v_pk_fma_f32 v[78:79], v[66:67], v[32:33], v[76:77] op_sel_hi:[1,0,1]
	v_pk_fma_f32 v[32:33], v[66:67], v[32:33], v[76:77] op_sel_hi:[1,0,1] neg_lo:[0,0,1] neg_hi:[0,0,1]
	s_wait_dscnt 0x0
	v_pk_mul_f32 v[66:67], v[68:69], v[78:79] op_sel:[1,1] op_sel_hi:[0,1]
	s_delay_alu instid0(VALU_DEP_1) | instskip(SKIP_1) | instid1(VALU_DEP_2)
	v_pk_fma_f32 v[76:77], v[68:69], v[32:33], v[66:67] op_sel_hi:[1,0,1]
	v_pk_fma_f32 v[66:67], v[68:69], v[32:33], v[66:67] neg_lo:[0,0,1] neg_hi:[0,0,1]
	v_dual_mov_b32 v33, v79 :: v_dual_mov_b32 v67, v77
	s_delay_alu instid0(VALU_DEP_1)
	v_pk_add_f32 v[64:65], v[64:65], v[66:67] neg_lo:[0,1] neg_hi:[0,1]
.LBB58_608:
	s_or_b32 exec_lo, exec_lo, s0
	v_lshl_add_u32 v66, v74, 3, v70
	s_barrier_signal -1
	s_barrier_wait -1
	ds_store_b64 v66, v[64:65]
	s_wait_dscnt 0x0
	s_barrier_signal -1
	s_barrier_wait -1
	ds_load_b64 v[66:67], v70 offset:232
	v_mov_b32_e32 v68, 29
	s_cmp_lt_i32 s18, 31
	s_cbranch_scc1 .LBB58_611
; %bb.609:
	v_add3_u32 v69, v71, 0, 0xf0
	v_mov_b32_e32 v68, 29
	s_mov_b32 s0, 30
.LBB58_610:                             ; =>This Inner Loop Header: Depth=1
	ds_load_b64 v[70:71], v69
	s_wait_dscnt 0x1
	v_cmp_gt_f32_e32 vcc_lo, 0, v66
	v_cndmask_b32_e64 v76, v66, -v66, vcc_lo
	v_cmp_gt_f32_e32 vcc_lo, 0, v67
	v_cndmask_b32_e64 v78, v67, -v67, vcc_lo
	s_wait_dscnt 0x0
	v_cmp_gt_f32_e32 vcc_lo, 0, v70
	v_cndmask_b32_e64 v77, v70, -v70, vcc_lo
	v_cmp_gt_f32_e32 vcc_lo, 0, v71
	v_cndmask_b32_e64 v79, v71, -v71, vcc_lo
	s_delay_alu instid0(VALU_DEP_1) | instskip(NEXT) | instid1(VALU_DEP_1)
	v_pk_add_f32 v[76:77], v[76:77], v[78:79]
	v_cmp_lt_f32_e32 vcc_lo, v76, v77
	v_dual_add_nc_u32 v69, 8, v69 :: v_dual_cndmask_b32 v67, v67, v71, vcc_lo
	v_cndmask_b32_e32 v66, v66, v70, vcc_lo
	v_cndmask_b32_e64 v68, v68, s0, vcc_lo
	s_add_co_i32 s0, s0, 1
	s_delay_alu instid0(SALU_CYCLE_1)
	s_cmp_lg_u32 s18, s0
	s_cbranch_scc1 .LBB58_610
.LBB58_611:
	s_wait_dscnt 0x0
	v_cmp_eq_f32_e32 vcc_lo, 0, v66
	v_cmp_eq_f32_e64 s0, 0, v67
	s_and_b32 s0, vcc_lo, s0
	s_delay_alu instid0(SALU_CYCLE_1) | instskip(NEXT) | instid1(SALU_CYCLE_1)
	s_and_saveexec_b32 s1, s0
	s_xor_b32 s0, exec_lo, s1
; %bb.612:
	v_cmp_ne_u32_e32 vcc_lo, 0, v72
	v_cndmask_b32_e32 v72, 30, v72, vcc_lo
; %bb.613:
	s_and_not1_saveexec_b32 s0, s0
	s_cbranch_execz .LBB58_619
; %bb.614:
	v_cmp_ngt_f32_e64 s1, |v66|, |v67|
	s_and_saveexec_b32 s12, s1
	s_delay_alu instid0(SALU_CYCLE_1)
	s_xor_b32 s1, exec_lo, s12
	s_cbranch_execz .LBB58_616
; %bb.615:
	v_div_scale_f32 v69, null, v67, v67, v66
	v_div_scale_f32 v75, vcc_lo, v66, v67, v66
	s_delay_alu instid0(VALU_DEP_2) | instskip(SKIP_1) | instid1(TRANS32_DEP_1)
	v_rcp_f32_e32 v70, v69
	v_nop
	v_fma_f32 v71, -v69, v70, 1.0
	s_delay_alu instid0(VALU_DEP_1) | instskip(NEXT) | instid1(VALU_DEP_1)
	v_fmac_f32_e32 v70, v71, v70
	v_mul_f32_e32 v71, v75, v70
	s_delay_alu instid0(VALU_DEP_1) | instskip(NEXT) | instid1(VALU_DEP_1)
	v_fma_f32 v76, -v69, v71, v75
	v_fmac_f32_e32 v71, v76, v70
	s_delay_alu instid0(VALU_DEP_1) | instskip(NEXT) | instid1(VALU_DEP_1)
	v_fma_f32 v69, -v69, v71, v75
	v_div_fmas_f32 v69, v69, v70, v71
	s_delay_alu instid0(VALU_DEP_1) | instskip(NEXT) | instid1(VALU_DEP_1)
	v_div_fixup_f32 v69, v69, v67, v66
	v_fmac_f32_e32 v67, v66, v69
	s_delay_alu instid0(VALU_DEP_1) | instskip(SKIP_1) | instid1(VALU_DEP_2)
	v_div_scale_f32 v66, null, v67, v67, 1.0
	v_div_scale_f32 v75, vcc_lo, 1.0, v67, 1.0
	v_rcp_f32_e32 v70, v66
	v_nop
	s_delay_alu instid0(TRANS32_DEP_1) | instskip(NEXT) | instid1(VALU_DEP_1)
	v_fma_f32 v71, -v66, v70, 1.0
	v_fmac_f32_e32 v70, v71, v70
	s_delay_alu instid0(VALU_DEP_1) | instskip(NEXT) | instid1(VALU_DEP_1)
	v_mul_f32_e32 v71, v75, v70
	v_fma_f32 v76, -v66, v71, v75
	s_delay_alu instid0(VALU_DEP_1) | instskip(NEXT) | instid1(VALU_DEP_1)
	v_fmac_f32_e32 v71, v76, v70
	v_fma_f32 v66, -v66, v71, v75
	s_delay_alu instid0(VALU_DEP_1) | instskip(NEXT) | instid1(VALU_DEP_1)
	v_div_fmas_f32 v66, v66, v70, v71
	v_div_fixup_f32 v67, v66, v67, 1.0
	s_delay_alu instid0(VALU_DEP_1)
	v_mul_f32_e32 v66, v69, v67
	v_xor_b32_e32 v67, 0x80000000, v67
.LBB58_616:
	s_and_not1_saveexec_b32 s1, s1
	s_cbranch_execz .LBB58_618
; %bb.617:
	s_delay_alu instid0(VALU_DEP_1) | instskip(SKIP_1) | instid1(VALU_DEP_2)
	v_div_scale_f32 v69, null, v66, v66, v67
	v_div_scale_f32 v75, vcc_lo, v67, v66, v67
	v_rcp_f32_e32 v70, v69
	v_nop
	s_delay_alu instid0(TRANS32_DEP_1) | instskip(NEXT) | instid1(VALU_DEP_1)
	v_fma_f32 v71, -v69, v70, 1.0
	v_fmac_f32_e32 v70, v71, v70
	s_delay_alu instid0(VALU_DEP_1) | instskip(NEXT) | instid1(VALU_DEP_1)
	v_mul_f32_e32 v71, v75, v70
	v_fma_f32 v76, -v69, v71, v75
	s_delay_alu instid0(VALU_DEP_1) | instskip(NEXT) | instid1(VALU_DEP_1)
	v_fmac_f32_e32 v71, v76, v70
	v_fma_f32 v69, -v69, v71, v75
	s_delay_alu instid0(VALU_DEP_1) | instskip(NEXT) | instid1(VALU_DEP_1)
	v_div_fmas_f32 v69, v69, v70, v71
	v_div_fixup_f32 v69, v69, v66, v67
	s_delay_alu instid0(VALU_DEP_1) | instskip(NEXT) | instid1(VALU_DEP_1)
	v_fmac_f32_e32 v66, v67, v69
	v_div_scale_f32 v67, null, v66, v66, 1.0
	s_delay_alu instid0(VALU_DEP_1) | instskip(SKIP_1) | instid1(TRANS32_DEP_1)
	v_rcp_f32_e32 v70, v67
	v_nop
	v_fma_f32 v71, -v67, v70, 1.0
	s_delay_alu instid0(VALU_DEP_1) | instskip(SKIP_1) | instid1(VALU_DEP_1)
	v_fmac_f32_e32 v70, v71, v70
	v_div_scale_f32 v71, vcc_lo, 1.0, v66, 1.0
	v_mul_f32_e32 v75, v71, v70
	s_delay_alu instid0(VALU_DEP_1) | instskip(NEXT) | instid1(VALU_DEP_1)
	v_fma_f32 v76, -v67, v75, v71
	v_fmac_f32_e32 v75, v76, v70
	s_delay_alu instid0(VALU_DEP_1) | instskip(NEXT) | instid1(VALU_DEP_1)
	v_fma_f32 v67, -v67, v75, v71
	v_div_fmas_f32 v67, v67, v70, v75
	s_delay_alu instid0(VALU_DEP_1) | instskip(NEXT) | instid1(VALU_DEP_1)
	v_div_fixup_f32 v66, v67, v66, 1.0
	v_mul_f32_e64 v67, v69, -v66
.LBB58_618:
	s_or_b32 exec_lo, exec_lo, s1
.LBB58_619:
	s_delay_alu instid0(SALU_CYCLE_1)
	s_or_b32 exec_lo, exec_lo, s0
	v_mov_b32_e32 v70, 29
	s_mov_b32 s0, exec_lo
	v_cmpx_ne_u32_e64 v74, v68
	s_cbranch_execz .LBB58_625
; %bb.620:
	s_mov_b32 s1, exec_lo
	v_cmpx_eq_u32_e32 29, v74
	s_cbranch_execz .LBB58_624
; %bb.621:
	v_cmp_ne_u32_e32 vcc_lo, 29, v68
	s_xor_b32 s12, s16, -1
	s_delay_alu instid0(SALU_CYCLE_1) | instskip(NEXT) | instid1(SALU_CYCLE_1)
	s_and_b32 s13, s12, vcc_lo
	s_and_saveexec_b32 s12, s13
	s_cbranch_execz .LBB58_623
; %bb.622:
	v_ashrrev_i32_e32 v69, 31, v68
	s_delay_alu instid0(VALU_DEP_1)
	v_lshl_add_u64 v[70:71], v[68:69], 2, v[4:5]
	s_clause 0x1
	global_load_b32 v69, v[70:71], off
	global_load_b32 v73, v[4:5], off offset:116
	s_wait_loadcnt 0x1
	global_store_b32 v[4:5], v69, off offset:116
	s_wait_loadcnt 0x0
	global_store_b32 v[70:71], v73, off
.LBB58_623:
	s_wait_xcnt 0x0
	s_or_b32 exec_lo, exec_lo, s12
	v_dual_mov_b32 v74, v68 :: v_dual_mov_b32 v73, v68
.LBB58_624:
	s_or_b32 exec_lo, exec_lo, s1
	s_delay_alu instid0(VALU_DEP_1)
	v_mov_b32_e32 v70, v74
.LBB58_625:
	s_or_b32 exec_lo, exec_lo, s0
	s_delay_alu instid0(VALU_DEP_1)
	v_ashrrev_i32_e32 v71, 31, v70
	s_mov_b32 s0, exec_lo
	s_wait_storecnt 0x0
	s_barrier_signal -1
	s_barrier_wait -1
	s_barrier_signal -1
	s_barrier_wait -1
	v_cmpx_gt_i32_e32 30, v70
	s_cbranch_execz .LBB58_627
; %bb.626:
	v_mul_u64_e32 v[4:5], s[10:11], v[2:3]
	v_add3_u32 v68, v73, s17, 1
	s_delay_alu instid0(VALU_DEP_2) | instskip(NEXT) | instid1(VALU_DEP_1)
	v_lshl_add_u64 v[4:5], v[4:5], 2, s[6:7]
	v_lshl_add_u64 v[4:5], s[8:9], 2, v[4:5]
	s_delay_alu instid0(VALU_DEP_1)
	v_lshl_add_u64 v[4:5], v[70:71], 2, v[4:5]
	global_store_b32 v[4:5], v68, off
.LBB58_627:
	s_wait_xcnt 0x0
	s_or_b32 exec_lo, exec_lo, s0
	s_delay_alu instid0(SALU_CYCLE_1)
	s_mov_b32 s1, exec_lo
	v_cmpx_eq_u32_e32 0, v70
	s_cbranch_execz .LBB58_630
; %bb.628:
	s_wait_kmcnt 0x0
	v_lshl_add_u64 v[2:3], v[2:3], 2, s[4:5]
	v_cmp_ne_u32_e64 s0, 0, v72
	global_load_b32 v4, v[2:3], off
	s_wait_loadcnt 0x0
	v_cmp_eq_u32_e32 vcc_lo, 0, v4
	s_and_b32 s0, vcc_lo, s0
	s_wait_xcnt 0x0
	s_and_b32 exec_lo, exec_lo, s0
	s_cbranch_execz .LBB58_630
; %bb.629:
	v_add_nc_u32_e32 v4, s17, v72
	global_store_b32 v[2:3], v4, off
.LBB58_630:
	s_wait_xcnt 0x0
	s_or_b32 exec_lo, exec_lo, s1
	v_add3_u32 v2, s2, s2, v70
	v_pk_mul_f32 v[80:81], v[66:67], v[64:65] op_sel:[1,1] op_sel_hi:[0,1]
	v_cmp_lt_i32_e32 vcc_lo, 29, v70
	v_lshl_add_u64 v[70:71], v[70:71], 3, v[0:1]
	s_delay_alu instid0(VALU_DEP_4) | instskip(NEXT) | instid1(VALU_DEP_4)
	v_add_nc_u32_e32 v4, s2, v2
	v_pk_fma_f32 v[84:85], v[66:67], v[64:65], v[80:81] op_sel_hi:[1,0,1]
	v_pk_fma_f32 v[66:67], v[66:67], v[64:65], v[80:81] neg_lo:[0,0,1] neg_hi:[0,0,1]
	global_store_b64 v[70:71], v[62:63], off
	s_wait_xcnt 0x0
	v_lshl_add_u64 v[70:71], s[2:3], 3, v[70:71]
	v_dual_cndmask_b32 v65, v65, v85 :: v_dual_add_nc_u32 v68, s2, v4
	v_cndmask_b32_e32 v64, v64, v66, vcc_lo
	s_delay_alu instid0(VALU_DEP_2) | instskip(NEXT) | instid1(VALU_DEP_1)
	v_dual_ashrrev_i32 v3, 31, v2 :: v_dual_add_nc_u32 v72, s2, v68
	v_lshl_add_u64 v[2:3], v[2:3], 3, v[0:1]
	s_delay_alu instid0(VALU_DEP_2) | instskip(NEXT) | instid1(VALU_DEP_1)
	v_add_nc_u32_e32 v74, s2, v72
	v_add_nc_u32_e32 v76, s2, v74
	s_delay_alu instid0(VALU_DEP_1) | instskip(NEXT) | instid1(VALU_DEP_1)
	v_add_nc_u32_e32 v78, s2, v76
	v_add_nc_u32_e32 v82, s2, v78
	v_ashrrev_i32_e32 v75, 31, v74
	s_delay_alu instid0(VALU_DEP_2) | instskip(SKIP_1) | instid1(VALU_DEP_2)
	v_dual_add_nc_u32 v80, s2, v82 :: v_dual_ashrrev_i32 v73, 31, v72
	v_ashrrev_i32_e32 v79, 31, v78
	v_dual_ashrrev_i32 v83, 31, v82 :: v_dual_add_nc_u32 v66, s2, v80
	s_delay_alu instid0(VALU_DEP_1) | instskip(SKIP_1) | instid1(VALU_DEP_2)
	v_dual_ashrrev_i32 v5, 31, v4 :: v_dual_add_nc_u32 v62, s2, v66
	v_ashrrev_i32_e32 v69, 31, v68
	v_lshl_add_u64 v[4:5], v[4:5], 3, v[0:1]
	v_dual_ashrrev_i32 v81, 31, v80 :: v_dual_ashrrev_i32 v67, 31, v66
	s_delay_alu instid0(VALU_DEP_4) | instskip(NEXT) | instid1(VALU_DEP_4)
	v_add_nc_u32_e32 v84, s2, v62
	v_lshl_add_u64 v[68:69], v[68:69], 3, v[0:1]
	s_clause 0x3
	global_store_b64 v[70:71], v[60:61], off
	global_store_b64 v[2:3], v[58:59], off
	;; [unrolled: 1-line block ×4, first 2 shown]
	s_wait_xcnt 0x0
	v_lshl_add_u64 v[46:47], v[72:73], 3, v[0:1]
	v_add_nc_u32_e32 v2, s2, v84
	v_ashrrev_i32_e32 v77, 31, v76
	v_lshl_add_u64 v[56:57], v[74:75], 3, v[0:1]
	v_lshl_add_u64 v[60:61], v[78:79], 3, v[0:1]
	v_ashrrev_i32_e32 v63, 31, v62
	v_add_nc_u32_e32 v4, s2, v2
	v_lshl_add_u64 v[58:59], v[76:77], 3, v[0:1]
	s_clause 0x3
	global_store_b64 v[46:47], v[8:9], off
	global_store_b64 v[56:57], v[10:11], off
	;; [unrolled: 1-line block ×4, first 2 shown]
	v_add_nc_u32_e32 v68, s2, v4
	s_wait_xcnt 0x2
	v_lshl_add_u64 v[10:11], v[82:83], 3, v[0:1]
	v_lshl_add_u64 v[46:47], v[80:81], 3, v[0:1]
	;; [unrolled: 1-line block ×3, first 2 shown]
	v_ashrrev_i32_e32 v85, 31, v84
	s_wait_xcnt 0x1
	v_add_nc_u32_e32 v6, s2, v68
	s_wait_xcnt 0x0
	v_lshl_add_u64 v[48:49], v[66:67], 3, v[0:1]
	s_clause 0x3
	global_store_b64 v[10:11], v[14:15], off
	global_store_b64 v[46:47], v[16:17], off
	;; [unrolled: 1-line block ×4, first 2 shown]
	v_add_nc_u32_e32 v8, s2, v6
	v_ashrrev_i32_e32 v3, 31, v2
	s_wait_xcnt 0x3
	v_lshl_add_u64 v[14:15], v[84:85], 3, v[0:1]
	v_dual_ashrrev_i32 v5, 31, v4 :: v_dual_ashrrev_i32 v7, 31, v6
	v_add_nc_u32_e32 v58, s2, v8
	v_lshl_add_u64 v[2:3], v[2:3], 3, v[0:1]
	v_ashrrev_i32_e32 v9, 31, v8
	s_delay_alu instid0(VALU_DEP_4) | instskip(SKIP_2) | instid1(VALU_DEP_4)
	v_lshl_add_u64 v[4:5], v[4:5], 3, v[0:1]
	v_lshl_add_u64 v[6:7], v[6:7], 3, v[0:1]
	v_dual_add_nc_u32 v10, s2, v58 :: v_dual_ashrrev_i32 v69, 31, v68
	v_lshl_add_u64 v[8:9], v[8:9], 3, v[0:1]
	s_wait_xcnt 0x1
	s_delay_alu instid0(VALU_DEP_2) | instskip(NEXT) | instid1(VALU_DEP_3)
	v_add_nc_u32_e32 v12, s2, v10
	v_lshl_add_u64 v[16:17], v[68:69], 3, v[0:1]
	s_clause 0x3
	global_store_b64 v[14:15], v[20:21], off
	global_store_b64 v[2:3], v[22:23], off
	;; [unrolled: 1-line block ×4, first 2 shown]
	v_dual_add_nc_u32 v46, s2, v12 :: v_dual_ashrrev_i32 v13, 31, v12
	s_wait_xcnt 0x2
	s_delay_alu instid0(VALU_DEP_1) | instskip(SKIP_1) | instid1(VALU_DEP_1)
	v_add_nc_u32_e32 v2, s2, v46
	s_wait_xcnt 0x1
	v_add_nc_u32_e32 v4, s2, v2
	v_ashrrev_i32_e32 v59, 31, v58
	s_delay_alu instid0(VALU_DEP_2) | instskip(SKIP_2) | instid1(VALU_DEP_3)
	v_dual_ashrrev_i32 v47, 31, v46 :: v_dual_ashrrev_i32 v5, 31, v4
	s_wait_xcnt 0x0
	v_dual_add_nc_u32 v16, s2, v4 :: v_dual_ashrrev_i32 v11, 31, v10
	v_lshl_add_u64 v[14:15], v[58:59], 3, v[0:1]
	s_delay_alu instid0(VALU_DEP_3) | instskip(NEXT) | instid1(VALU_DEP_3)
	v_lshl_add_u64 v[4:5], v[4:5], 3, v[0:1]
	v_ashrrev_i32_e32 v17, 31, v16
	s_delay_alu instid0(VALU_DEP_4)
	v_lshl_add_u64 v[10:11], v[10:11], 3, v[0:1]
	s_clause 0x3
	global_store_b64 v[6:7], v[36:37], off
	global_store_b64 v[8:9], v[38:39], off
	;; [unrolled: 1-line block ×4, first 2 shown]
	s_wait_xcnt 0x3
	v_add_nc_u32_e32 v6, s2, v16
	s_wait_xcnt 0x0
	v_lshl_add_u64 v[10:11], v[12:13], 3, v[0:1]
	v_lshl_add_u64 v[12:13], v[46:47], 3, v[0:1]
	s_delay_alu instid0(VALU_DEP_3) | instskip(SKIP_1) | instid1(VALU_DEP_2)
	v_add_nc_u32_e32 v8, s2, v6
	v_ashrrev_i32_e32 v3, 31, v2
	v_dual_ashrrev_i32 v7, 31, v6 :: v_dual_add_nc_u32 v14, s2, v8
	s_delay_alu instid0(VALU_DEP_2)
	v_lshl_add_u64 v[2:3], v[2:3], 3, v[0:1]
	s_clause 0x3
	global_store_b64 v[10:11], v[28:29], off
	global_store_b64 v[12:13], v[30:31], off
	;; [unrolled: 1-line block ×4, first 2 shown]
	s_wait_xcnt 0x1
	v_dual_add_nc_u32 v2, s2, v14 :: v_dual_ashrrev_i32 v9, 31, v8
	v_ashrrev_i32_e32 v15, 31, v14
	s_wait_xcnt 0x0
	v_lshl_add_u64 v[4:5], v[16:17], 3, v[0:1]
	v_lshl_add_u64 v[6:7], v[6:7], 3, v[0:1]
	v_ashrrev_i32_e32 v3, 31, v2
	v_lshl_add_u64 v[8:9], v[8:9], 3, v[0:1]
	v_lshl_add_u64 v[10:11], v[14:15], 3, v[0:1]
	s_delay_alu instid0(VALU_DEP_3)
	v_lshl_add_u64 v[0:1], v[2:3], 3, v[0:1]
	s_clause 0x4
	global_store_b64 v[4:5], v[24:25], off
	global_store_b64 v[6:7], v[42:43], off
	;; [unrolled: 1-line block ×5, first 2 shown]
.LBB58_631:
	s_sendmsg sendmsg(MSG_DEALLOC_VGPRS)
	s_endpgm
	.section	.rodata,"a",@progbits
	.p2align	6, 0x0
	.amdhsa_kernel _ZN9rocsolver6v33100L18getf2_small_kernelILi30E19rocblas_complex_numIfEiiPS3_EEvT1_T3_lS5_lPS5_llPT2_S5_S5_S7_l
		.amdhsa_group_segment_fixed_size 0
		.amdhsa_private_segment_fixed_size 0
		.amdhsa_kernarg_size 352
		.amdhsa_user_sgpr_count 2
		.amdhsa_user_sgpr_dispatch_ptr 0
		.amdhsa_user_sgpr_queue_ptr 0
		.amdhsa_user_sgpr_kernarg_segment_ptr 1
		.amdhsa_user_sgpr_dispatch_id 0
		.amdhsa_user_sgpr_kernarg_preload_length 0
		.amdhsa_user_sgpr_kernarg_preload_offset 0
		.amdhsa_user_sgpr_private_segment_size 0
		.amdhsa_wavefront_size32 1
		.amdhsa_uses_dynamic_stack 0
		.amdhsa_enable_private_segment 0
		.amdhsa_system_sgpr_workgroup_id_x 1
		.amdhsa_system_sgpr_workgroup_id_y 1
		.amdhsa_system_sgpr_workgroup_id_z 0
		.amdhsa_system_sgpr_workgroup_info 0
		.amdhsa_system_vgpr_workitem_id 1
		.amdhsa_next_free_vgpr 96
		.amdhsa_next_free_sgpr 19
		.amdhsa_named_barrier_count 0
		.amdhsa_reserve_vcc 1
		.amdhsa_float_round_mode_32 0
		.amdhsa_float_round_mode_16_64 0
		.amdhsa_float_denorm_mode_32 3
		.amdhsa_float_denorm_mode_16_64 3
		.amdhsa_fp16_overflow 0
		.amdhsa_memory_ordered 1
		.amdhsa_forward_progress 1
		.amdhsa_inst_pref_size 255
		.amdhsa_round_robin_scheduling 0
		.amdhsa_exception_fp_ieee_invalid_op 0
		.amdhsa_exception_fp_denorm_src 0
		.amdhsa_exception_fp_ieee_div_zero 0
		.amdhsa_exception_fp_ieee_overflow 0
		.amdhsa_exception_fp_ieee_underflow 0
		.amdhsa_exception_fp_ieee_inexact 0
		.amdhsa_exception_int_div_zero 0
	.end_amdhsa_kernel
	.section	.text._ZN9rocsolver6v33100L18getf2_small_kernelILi30E19rocblas_complex_numIfEiiPS3_EEvT1_T3_lS5_lPS5_llPT2_S5_S5_S7_l,"axG",@progbits,_ZN9rocsolver6v33100L18getf2_small_kernelILi30E19rocblas_complex_numIfEiiPS3_EEvT1_T3_lS5_lPS5_llPT2_S5_S5_S7_l,comdat
.Lfunc_end58:
	.size	_ZN9rocsolver6v33100L18getf2_small_kernelILi30E19rocblas_complex_numIfEiiPS3_EEvT1_T3_lS5_lPS5_llPT2_S5_S5_S7_l, .Lfunc_end58-_ZN9rocsolver6v33100L18getf2_small_kernelILi30E19rocblas_complex_numIfEiiPS3_EEvT1_T3_lS5_lPS5_llPT2_S5_S5_S7_l
                                        ; -- End function
	.set _ZN9rocsolver6v33100L18getf2_small_kernelILi30E19rocblas_complex_numIfEiiPS3_EEvT1_T3_lS5_lPS5_llPT2_S5_S5_S7_l.num_vgpr, 96
	.set _ZN9rocsolver6v33100L18getf2_small_kernelILi30E19rocblas_complex_numIfEiiPS3_EEvT1_T3_lS5_lPS5_llPT2_S5_S5_S7_l.num_agpr, 0
	.set _ZN9rocsolver6v33100L18getf2_small_kernelILi30E19rocblas_complex_numIfEiiPS3_EEvT1_T3_lS5_lPS5_llPT2_S5_S5_S7_l.numbered_sgpr, 19
	.set _ZN9rocsolver6v33100L18getf2_small_kernelILi30E19rocblas_complex_numIfEiiPS3_EEvT1_T3_lS5_lPS5_llPT2_S5_S5_S7_l.num_named_barrier, 0
	.set _ZN9rocsolver6v33100L18getf2_small_kernelILi30E19rocblas_complex_numIfEiiPS3_EEvT1_T3_lS5_lPS5_llPT2_S5_S5_S7_l.private_seg_size, 0
	.set _ZN9rocsolver6v33100L18getf2_small_kernelILi30E19rocblas_complex_numIfEiiPS3_EEvT1_T3_lS5_lPS5_llPT2_S5_S5_S7_l.uses_vcc, 1
	.set _ZN9rocsolver6v33100L18getf2_small_kernelILi30E19rocblas_complex_numIfEiiPS3_EEvT1_T3_lS5_lPS5_llPT2_S5_S5_S7_l.uses_flat_scratch, 0
	.set _ZN9rocsolver6v33100L18getf2_small_kernelILi30E19rocblas_complex_numIfEiiPS3_EEvT1_T3_lS5_lPS5_llPT2_S5_S5_S7_l.has_dyn_sized_stack, 0
	.set _ZN9rocsolver6v33100L18getf2_small_kernelILi30E19rocblas_complex_numIfEiiPS3_EEvT1_T3_lS5_lPS5_llPT2_S5_S5_S7_l.has_recursion, 0
	.set _ZN9rocsolver6v33100L18getf2_small_kernelILi30E19rocblas_complex_numIfEiiPS3_EEvT1_T3_lS5_lPS5_llPT2_S5_S5_S7_l.has_indirect_call, 0
	.section	.AMDGPU.csdata,"",@progbits
; Kernel info:
; codeLenInByte = 55660
; TotalNumSgprs: 21
; NumVgprs: 96
; ScratchSize: 0
; MemoryBound: 0
; FloatMode: 240
; IeeeMode: 1
; LDSByteSize: 0 bytes/workgroup (compile time only)
; SGPRBlocks: 0
; VGPRBlocks: 5
; NumSGPRsForWavesPerEU: 21
; NumVGPRsForWavesPerEU: 96
; NamedBarCnt: 0
; Occupancy: 10
; WaveLimiterHint : 0
; COMPUTE_PGM_RSRC2:SCRATCH_EN: 0
; COMPUTE_PGM_RSRC2:USER_SGPR: 2
; COMPUTE_PGM_RSRC2:TRAP_HANDLER: 0
; COMPUTE_PGM_RSRC2:TGID_X_EN: 1
; COMPUTE_PGM_RSRC2:TGID_Y_EN: 1
; COMPUTE_PGM_RSRC2:TGID_Z_EN: 0
; COMPUTE_PGM_RSRC2:TIDIG_COMP_CNT: 1
	.section	.text._ZN9rocsolver6v33100L23getf2_npvt_small_kernelILi30E19rocblas_complex_numIfEiiPS3_EEvT1_T3_lS5_lPT2_S5_S5_,"axG",@progbits,_ZN9rocsolver6v33100L23getf2_npvt_small_kernelILi30E19rocblas_complex_numIfEiiPS3_EEvT1_T3_lS5_lPT2_S5_S5_,comdat
	.globl	_ZN9rocsolver6v33100L23getf2_npvt_small_kernelILi30E19rocblas_complex_numIfEiiPS3_EEvT1_T3_lS5_lPT2_S5_S5_ ; -- Begin function _ZN9rocsolver6v33100L23getf2_npvt_small_kernelILi30E19rocblas_complex_numIfEiiPS3_EEvT1_T3_lS5_lPT2_S5_S5_
	.p2align	8
	.type	_ZN9rocsolver6v33100L23getf2_npvt_small_kernelILi30E19rocblas_complex_numIfEiiPS3_EEvT1_T3_lS5_lPT2_S5_S5_,@function
_ZN9rocsolver6v33100L23getf2_npvt_small_kernelILi30E19rocblas_complex_numIfEiiPS3_EEvT1_T3_lS5_lPT2_S5_S5_: ; @_ZN9rocsolver6v33100L23getf2_npvt_small_kernelILi30E19rocblas_complex_numIfEiiPS3_EEvT1_T3_lS5_lPT2_S5_S5_
; %bb.0:
	s_clause 0x1
	s_load_u16 s14, s[0:1], 0x46
	s_load_b64 s[2:3], s[0:1], 0x30
	s_bfe_u32 s4, ttmp6, 0x40010
	s_bfe_u32 s5, ttmp6, 0x40004
	s_add_co_i32 s4, s4, 1
	s_getreg_b32 s6, hwreg(HW_REG_IB_STS2, 6, 4)
	s_mul_i32 s4, ttmp7, s4
	v_bfe_u32 v122, v0, 10, 10
	s_add_co_i32 s5, s5, s4
	s_cmp_eq_u32 s6, 0
	s_cselect_b32 s4, ttmp7, s5
	s_wait_kmcnt 0x0
	v_mad_u32 v2, s4, s14, v122
	s_delay_alu instid0(VALU_DEP_1)
	v_cmp_gt_i32_e32 vcc_lo, s2, v2
	s_and_saveexec_b32 s2, vcc_lo
	s_cbranch_execz .LBB59_273
; %bb.1:
	s_clause 0x1
	s_load_b32 s12, s[0:1], 0x18
	s_load_b128 s[8:11], s[0:1], 0x8
	v_and_b32_e32 v182, 0x3ff, v0
	s_load_b128 s[4:7], s[0:1], 0x20
	v_lshlrev_b32_e32 v123, 3, v122
	s_mulk_i32 s14, 0xf0
	v_mad_u32_u24 v184, 0xf0, v122, 0
	s_wait_xcnt 0x0
	v_cmp_ne_u32_e64 s1, 0, v182
	v_cmp_eq_u32_e64 s0, 0, v182
	v_add3_u32 v183, 0, s14, v123
	v_dual_ashrrev_i32 v3, 31, v2 :: v_dual_mov_b32 v13, 0
	v_lshlrev_b32_e32 v12, 3, v182
	s_wait_kmcnt 0x0
	v_add3_u32 v0, s12, s12, v182
	s_ashr_i32 s13, s12, 31
	v_mul_u64_e32 v[6:7], s[4:5], v[2:3]
	s_delay_alu instid0(VALU_DEP_2) | instskip(NEXT) | instid1(VALU_DEP_1)
	v_add_nc_u32_e32 v4, s12, v0
	v_add_nc_u32_e32 v8, s12, v4
	s_delay_alu instid0(VALU_DEP_1) | instskip(NEXT) | instid1(VALU_DEP_1)
	v_add_nc_u32_e32 v10, s12, v8
	v_add_nc_u32_e32 v16, s12, v10
	s_delay_alu instid0(VALU_DEP_1) | instskip(NEXT) | instid1(VALU_DEP_1)
	v_add_nc_u32_e32 v20, s12, v16
	v_add_nc_u32_e32 v22, s12, v20
	s_delay_alu instid0(VALU_DEP_1) | instskip(SKIP_2) | instid1(VALU_DEP_2)
	v_dual_ashrrev_i32 v5, 31, v4 :: v_dual_ashrrev_i32 v23, 31, v22
	v_add_nc_u32_e32 v24, s12, v22
	v_lshl_add_u64 v[6:7], v[6:7], 3, s[8:9]
	v_dual_ashrrev_i32 v11, 31, v10 :: v_dual_add_nc_u32 v30, s12, v24
	s_delay_alu instid0(VALU_DEP_2) | instskip(NEXT) | instid1(VALU_DEP_2)
	v_lshl_add_u64 v[90:91], s[10:11], 3, v[6:7]
	v_add_nc_u32_e32 v32, s12, v30
	s_delay_alu instid0(VALU_DEP_2) | instskip(SKIP_1) | instid1(VALU_DEP_3)
	v_add_nc_u64_e32 v[18:19], v[90:91], v[12:13]
	v_lshl_add_u64 v[12:13], v[4:5], 3, v[90:91]
	v_dual_ashrrev_i32 v31, 31, v30 :: v_dual_add_nc_u32 v36, s12, v32
	s_delay_alu instid0(VALU_DEP_3) | instskip(NEXT) | instid1(VALU_DEP_2)
	v_lshl_add_u64 v[34:35], s[12:13], 3, v[18:19]
	v_add_nc_u32_e32 v42, s12, v36
	v_ashrrev_i32_e32 v1, 31, v0
	s_delay_alu instid0(VALU_DEP_2) | instskip(SKIP_1) | instid1(VALU_DEP_3)
	v_dual_ashrrev_i32 v21, 31, v20 :: v_dual_ashrrev_i32 v43, 31, v42
	v_add_nc_u32_e32 v48, s12, v42
	v_lshl_add_u64 v[6:7], v[0:1], 3, v[90:91]
	v_lshl_add_u64 v[0:1], v[10:11], 3, v[90:91]
	;; [unrolled: 1-line block ×4, first 2 shown]
	v_dual_add_nc_u32 v50, s12, v48 :: v_dual_ashrrev_i32 v49, 31, v48
	s_delay_alu instid0(VALU_DEP_1) | instskip(NEXT) | instid1(VALU_DEP_2)
	v_dual_ashrrev_i32 v9, 31, v8 :: v_dual_add_nc_u32 v52, s12, v50
	v_lshl_add_u64 v[48:49], v[48:49], 3, v[90:91]
	s_delay_alu instid0(VALU_DEP_2) | instskip(SKIP_4) | instid1(VALU_DEP_4)
	v_lshl_add_u64 v[14:15], v[8:9], 3, v[90:91]
	v_ashrrev_i32_e32 v51, 31, v50
	v_lshl_add_u64 v[8:9], v[20:21], 3, v[90:91]
	v_add_nc_u32_e32 v64, s12, v52
	v_lshl_add_u64 v[20:21], v[30:31], 3, v[90:91]
	v_lshl_add_u64 v[50:51], v[50:51], 3, v[90:91]
	s_delay_alu instid0(VALU_DEP_3) | instskip(SKIP_1) | instid1(VALU_DEP_2)
	v_dual_add_nc_u32 v66, s12, v64 :: v_dual_ashrrev_i32 v65, 31, v64
	v_ashrrev_i32_e32 v17, 31, v16
	v_dual_ashrrev_i32 v37, 31, v36 :: v_dual_ashrrev_i32 v67, 31, v66
	v_add_nc_u32_e32 v68, s12, v66
	s_delay_alu instid0(VALU_DEP_3) | instskip(SKIP_1) | instid1(VALU_DEP_4)
	v_lshl_add_u64 v[4:5], v[16:17], 3, v[90:91]
	v_lshl_add_u64 v[64:65], v[64:65], 3, v[90:91]
	;; [unrolled: 1-line block ×3, first 2 shown]
	s_delay_alu instid0(VALU_DEP_4) | instskip(SKIP_1) | instid1(VALU_DEP_2)
	v_dual_add_nc_u32 v70, s12, v68 :: v_dual_ashrrev_i32 v69, 31, v68
	v_ashrrev_i32_e32 v25, 31, v24
	v_dual_ashrrev_i32 v53, 31, v52 :: v_dual_ashrrev_i32 v71, 31, v70
	v_add_nc_u32_e32 v80, s12, v70
	s_delay_alu instid0(VALU_DEP_3) | instskip(NEXT) | instid1(VALU_DEP_3)
	v_lshl_add_u64 v[16:17], v[24:25], 3, v[90:91]
	v_lshl_add_u64 v[52:53], v[52:53], 3, v[90:91]
	;; [unrolled: 1-line block ×4, first 2 shown]
	v_add_nc_u32_e32 v82, s12, v80
	v_ashrrev_i32_e32 v33, 31, v32
	s_clause 0x7
	global_load_b64 v[28:29], v[14:15], off
	global_load_b64 v[24:25], v[0:1], off
	global_load_b64 v[26:27], v[4:5], off
	global_load_b64 v[22:23], v[8:9], off
	global_load_b64 v[54:55], v[18:19], off
	global_load_b64 v[56:57], v[34:35], off
	global_load_b64 v[46:47], v[6:7], off
	global_load_b64 v[44:45], v[12:13], off
	v_add_nc_u32_e32 v84, s12, v82
	v_lshl_add_u64 v[30:31], v[32:33], 3, v[90:91]
	v_lshl_add_u64 v[32:33], v[36:37], 3, v[90:91]
	s_clause 0x7
	global_load_b64 v[40:41], v[10:11], off
	global_load_b64 v[36:37], v[16:17], off
	;; [unrolled: 1-line block ×8, first 2 shown]
	v_add_nc_u32_e32 v86, s12, v84
	s_clause 0x3
	global_load_b64 v[78:79], v[52:53], off
	global_load_b64 v[74:75], v[64:65], off
	;; [unrolled: 1-line block ×4, first 2 shown]
	v_dual_add_nc_u32 v100, s12, v86 :: v_dual_ashrrev_i32 v81, 31, v80
	s_delay_alu instid0(VALU_DEP_1) | instskip(NEXT) | instid1(VALU_DEP_2)
	v_dual_ashrrev_i32 v83, 31, v82 :: v_dual_add_nc_u32 v102, s12, v100
	v_lshl_add_u64 v[80:81], v[80:81], 3, v[90:91]
	s_delay_alu instid0(VALU_DEP_2) | instskip(NEXT) | instid1(VALU_DEP_3)
	v_lshl_add_u64 v[82:83], v[82:83], 3, v[90:91]
	v_add_nc_u32_e32 v104, s12, v102
	v_ashrrev_i32_e32 v87, 31, v86
	s_delay_alu instid0(VALU_DEP_2) | instskip(SKIP_2) | instid1(VALU_DEP_4)
	v_dual_ashrrev_i32 v103, 31, v102 :: v_dual_add_nc_u32 v106, s12, v104
	v_ashrrev_i32_e32 v85, 31, v84
	v_ashrrev_i32_e32 v101, 31, v100
	v_lshl_add_u64 v[86:87], v[86:87], 3, v[90:91]
	s_delay_alu instid0(VALU_DEP_4) | instskip(SKIP_4) | instid1(VALU_DEP_4)
	v_lshl_add_u64 v[102:103], v[102:103], 3, v[90:91]
	v_dual_add_nc_u32 v110, s12, v106 :: v_dual_ashrrev_i32 v105, 31, v104
	v_ashrrev_i32_e32 v107, 31, v106
	v_lshl_add_u64 v[100:101], v[100:101], 3, v[90:91]
	v_lshl_add_u64 v[84:85], v[84:85], 3, v[90:91]
	v_ashrrev_i32_e32 v111, 31, v110
	v_lshl_add_u64 v[104:105], v[104:105], 3, v[90:91]
	v_lshl_add_u64 v[106:107], v[106:107], 3, v[90:91]
	s_clause 0x3
	global_load_b64 v[98:99], v[70:71], off
	global_load_b64 v[94:95], v[80:81], off
	;; [unrolled: 1-line block ×4, first 2 shown]
	v_lshl_add_u64 v[90:91], v[110:111], 3, v[90:91]
	s_clause 0x5
	global_load_b64 v[114:115], v[86:87], off
	global_load_b64 v[110:111], v[100:101], off
	;; [unrolled: 1-line block ×6, first 2 shown]
	s_wait_xcnt 0x0
	s_and_saveexec_b32 s4, s0
	s_cbranch_execz .LBB59_8
; %bb.2:
	s_wait_loadcnt 0x19
	ds_store_b64 v183, v[54:55]
	s_wait_loadcnt 0x17
	ds_store_2addr_b64 v184, v[56:57], v[46:47] offset0:1 offset1:2
	s_wait_loadcnt 0x16
	ds_store_2addr_b64 v184, v[44:45], v[28:29] offset0:3 offset1:4
	ds_store_2addr_b64 v184, v[24:25], v[26:27] offset0:5 offset1:6
	s_wait_loadcnt 0x15
	ds_store_2addr_b64 v184, v[22:23], v[40:41] offset0:7 offset1:8
	s_wait_loadcnt 0x13
	;; [unrolled: 2-line block ×12, first 2 shown]
	ds_store_b64 v184, v[120:121] offset:232
	ds_load_b64 v[122:123], v183
	s_wait_dscnt 0x0
	v_cmp_neq_f32_e32 vcc_lo, 0, v122
	v_cmp_neq_f32_e64 s2, 0, v123
	s_or_b32 s2, vcc_lo, s2
	s_delay_alu instid0(SALU_CYCLE_1)
	s_and_b32 exec_lo, exec_lo, s2
	s_cbranch_execz .LBB59_8
; %bb.3:
	v_cmp_ngt_f32_e64 s2, |v122|, |v123|
                                        ; implicit-def: $vgpr124_vgpr125
	s_and_saveexec_b32 s5, s2
	s_delay_alu instid0(SALU_CYCLE_1)
	s_xor_b32 s2, exec_lo, s5
	s_cbranch_execz .LBB59_5
; %bb.4:
	v_div_scale_f32 v124, null, v123, v123, v122
	v_div_scale_f32 v127, vcc_lo, v122, v123, v122
	s_delay_alu instid0(VALU_DEP_2) | instskip(SKIP_1) | instid1(TRANS32_DEP_1)
	v_rcp_f32_e32 v125, v124
	v_nop
	v_fma_f32 v126, -v124, v125, 1.0
	s_delay_alu instid0(VALU_DEP_1) | instskip(NEXT) | instid1(VALU_DEP_1)
	v_fmac_f32_e32 v125, v126, v125
	v_mul_f32_e32 v126, v127, v125
	s_delay_alu instid0(VALU_DEP_1) | instskip(NEXT) | instid1(VALU_DEP_1)
	v_fma_f32 v128, -v124, v126, v127
	v_fmac_f32_e32 v126, v128, v125
	s_delay_alu instid0(VALU_DEP_1) | instskip(NEXT) | instid1(VALU_DEP_1)
	v_fma_f32 v124, -v124, v126, v127
	v_div_fmas_f32 v124, v124, v125, v126
	s_delay_alu instid0(VALU_DEP_1) | instskip(NEXT) | instid1(VALU_DEP_1)
	v_div_fixup_f32 v124, v124, v123, v122
	v_fmac_f32_e32 v123, v122, v124
	s_delay_alu instid0(VALU_DEP_1) | instskip(SKIP_1) | instid1(VALU_DEP_2)
	v_div_scale_f32 v122, null, v123, v123, 1.0
	v_div_scale_f32 v127, vcc_lo, 1.0, v123, 1.0
	v_rcp_f32_e32 v125, v122
	v_nop
	s_delay_alu instid0(TRANS32_DEP_1) | instskip(NEXT) | instid1(VALU_DEP_1)
	v_fma_f32 v126, -v122, v125, 1.0
	v_fmac_f32_e32 v125, v126, v125
	s_delay_alu instid0(VALU_DEP_1) | instskip(NEXT) | instid1(VALU_DEP_1)
	v_mul_f32_e32 v126, v127, v125
	v_fma_f32 v128, -v122, v126, v127
	s_delay_alu instid0(VALU_DEP_1) | instskip(NEXT) | instid1(VALU_DEP_1)
	v_fmac_f32_e32 v126, v128, v125
	v_fma_f32 v122, -v122, v126, v127
	s_delay_alu instid0(VALU_DEP_1) | instskip(NEXT) | instid1(VALU_DEP_1)
	v_div_fmas_f32 v122, v122, v125, v126
	v_div_fixup_f32 v122, v122, v123, 1.0
	s_delay_alu instid0(VALU_DEP_1)
	v_mul_f32_e32 v124, v124, v122
	v_xor_b32_e32 v125, 0x80000000, v122
                                        ; implicit-def: $vgpr122_vgpr123
.LBB59_5:
	s_and_not1_saveexec_b32 s2, s2
	s_cbranch_execz .LBB59_7
; %bb.6:
	v_div_scale_f32 v124, null, v122, v122, v123
	v_div_scale_f32 v127, vcc_lo, v123, v122, v123
	s_delay_alu instid0(VALU_DEP_2) | instskip(SKIP_1) | instid1(TRANS32_DEP_1)
	v_rcp_f32_e32 v125, v124
	v_nop
	v_fma_f32 v126, -v124, v125, 1.0
	s_delay_alu instid0(VALU_DEP_1) | instskip(NEXT) | instid1(VALU_DEP_1)
	v_fmac_f32_e32 v125, v126, v125
	v_mul_f32_e32 v126, v127, v125
	s_delay_alu instid0(VALU_DEP_1) | instskip(NEXT) | instid1(VALU_DEP_1)
	v_fma_f32 v128, -v124, v126, v127
	v_fmac_f32_e32 v126, v128, v125
	s_delay_alu instid0(VALU_DEP_1) | instskip(NEXT) | instid1(VALU_DEP_1)
	v_fma_f32 v124, -v124, v126, v127
	v_div_fmas_f32 v124, v124, v125, v126
	s_delay_alu instid0(VALU_DEP_1) | instskip(NEXT) | instid1(VALU_DEP_1)
	v_div_fixup_f32 v125, v124, v122, v123
	v_fmac_f32_e32 v122, v123, v125
	s_delay_alu instid0(VALU_DEP_1) | instskip(NEXT) | instid1(VALU_DEP_1)
	v_div_scale_f32 v123, null, v122, v122, 1.0
	v_rcp_f32_e32 v124, v123
	v_nop
	s_delay_alu instid0(TRANS32_DEP_1) | instskip(NEXT) | instid1(VALU_DEP_1)
	v_fma_f32 v126, -v123, v124, 1.0
	v_fmac_f32_e32 v124, v126, v124
	v_div_scale_f32 v126, vcc_lo, 1.0, v122, 1.0
	s_delay_alu instid0(VALU_DEP_1) | instskip(NEXT) | instid1(VALU_DEP_1)
	v_mul_f32_e32 v127, v126, v124
	v_fma_f32 v128, -v123, v127, v126
	s_delay_alu instid0(VALU_DEP_1) | instskip(NEXT) | instid1(VALU_DEP_1)
	v_fmac_f32_e32 v127, v128, v124
	v_fma_f32 v123, -v123, v127, v126
	s_delay_alu instid0(VALU_DEP_1) | instskip(NEXT) | instid1(VALU_DEP_1)
	v_div_fmas_f32 v123, v123, v124, v127
	v_div_fixup_f32 v124, v123, v122, 1.0
	s_delay_alu instid0(VALU_DEP_1)
	v_mul_f32_e64 v125, v125, -v124
.LBB59_7:
	s_or_b32 exec_lo, exec_lo, s2
	ds_store_b64 v183, v[124:125]
.LBB59_8:
	s_or_b32 exec_lo, exec_lo, s4
	s_wait_loadcnt_dscnt 0x0
	s_barrier_signal -1
	s_barrier_wait -1
	ds_load_b64 v[122:123], v183
	s_and_saveexec_b32 s2, s1
	s_cbranch_execz .LBB59_10
; %bb.9:
	ds_load_2addr_b64 v[128:131], v184 offset0:1 offset1:2
	s_wait_dscnt 0x1
	v_pk_mul_f32 v[126:127], v[122:123], v[54:55] op_sel:[1,1] op_sel_hi:[0,1]
	s_delay_alu instid0(VALU_DEP_1) | instskip(SKIP_1) | instid1(VALU_DEP_1)
	v_pk_fma_f32 v[124:125], v[122:123], v[54:55], v[126:127] op_sel_hi:[1,0,1] neg_lo:[0,0,1] neg_hi:[0,0,1]
	v_pk_fma_f32 v[126:127], v[122:123], v[54:55], v[126:127] op_sel_hi:[1,0,1]
	v_dual_mov_b32 v54, v124 :: v_dual_mov_b32 v55, v127
	s_wait_dscnt 0x0
	s_delay_alu instid0(VALU_DEP_2) | instskip(NEXT) | instid1(VALU_DEP_1)
	v_pk_mul_f32 v[132:133], v[128:129], v[126:127] op_sel:[0,1]
	v_pk_fma_f32 v[134:135], v[128:129], v[124:125], v[132:133] op_sel:[0,0,1] op_sel_hi:[1,1,0] neg_lo:[0,0,1] neg_hi:[0,0,1]
	v_pk_fma_f32 v[128:129], v[128:129], v[124:125], v[132:133] op_sel:[0,0,1] op_sel_hi:[1,0,0]
	s_delay_alu instid0(VALU_DEP_1) | instskip(SKIP_1) | instid1(VALU_DEP_1)
	v_mov_b32_e32 v135, v129
	v_pk_mul_f32 v[128:129], v[130:131], v[126:127] op_sel:[0,1]
	v_pk_fma_f32 v[132:133], v[130:131], v[124:125], v[128:129] op_sel:[0,0,1] op_sel_hi:[1,1,0] neg_lo:[0,0,1] neg_hi:[0,0,1]
	v_pk_fma_f32 v[128:129], v[130:131], v[124:125], v[128:129] op_sel:[0,0,1] op_sel_hi:[1,0,0]
	s_delay_alu instid0(VALU_DEP_1)
	v_mov_b32_e32 v133, v129
	ds_load_2addr_b64 v[128:131], v184 offset0:3 offset1:4
	v_pk_add_f32 v[56:57], v[56:57], v[134:135] neg_lo:[0,1] neg_hi:[0,1]
	v_pk_add_f32 v[46:47], v[46:47], v[132:133] neg_lo:[0,1] neg_hi:[0,1]
	s_wait_dscnt 0x0
	v_pk_mul_f32 v[132:133], v[128:129], v[126:127] op_sel:[0,1]
	s_delay_alu instid0(VALU_DEP_1) | instskip(SKIP_2) | instid1(VALU_DEP_2)
	v_pk_fma_f32 v[134:135], v[128:129], v[124:125], v[132:133] op_sel:[0,0,1] op_sel_hi:[1,1,0] neg_lo:[0,0,1] neg_hi:[0,0,1]
	v_pk_fma_f32 v[128:129], v[128:129], v[124:125], v[132:133] op_sel:[0,0,1] op_sel_hi:[1,0,0]
	v_dual_mul_f32 v132, v131, v127 :: v_dual_mov_b32 v128, v131
	v_dual_mov_b32 v135, v129 :: v_dual_mov_b32 v129, v130
	s_delay_alu instid0(VALU_DEP_2) | instskip(SKIP_1) | instid1(VALU_DEP_3)
	v_pk_fma_f32 v[132:133], v[130:131], v[54:55], v[132:133] op_sel_hi:[1,1,0] neg_lo:[0,0,1] neg_hi:[0,0,1]
	v_mul_f32_e32 v130, v131, v124
	v_pk_add_f32 v[44:45], v[44:45], v[134:135] neg_lo:[0,1] neg_hi:[0,1]
	s_delay_alu instid0(VALU_DEP_2) | instskip(NEXT) | instid1(VALU_DEP_1)
	v_pk_fma_f32 v[128:129], v[128:129], v[54:55], v[130:131] op_sel_hi:[1,1,0]
	v_mov_b32_e32 v133, v129
	ds_load_2addr_b64 v[128:131], v184 offset0:5 offset1:6
	v_pk_add_f32 v[28:29], v[28:29], v[132:133] neg_lo:[0,1] neg_hi:[0,1]
	s_wait_dscnt 0x0
	v_pk_mul_f32 v[132:133], v[128:129], v[126:127] op_sel:[0,1]
	s_delay_alu instid0(VALU_DEP_1) | instskip(SKIP_1) | instid1(VALU_DEP_1)
	v_pk_fma_f32 v[134:135], v[128:129], v[124:125], v[132:133] op_sel:[0,0,1] op_sel_hi:[1,1,0] neg_lo:[0,0,1] neg_hi:[0,0,1]
	v_pk_fma_f32 v[128:129], v[128:129], v[124:125], v[132:133] op_sel:[0,0,1] op_sel_hi:[1,0,0]
	v_mov_b32_e32 v135, v129
	v_pk_mul_f32 v[128:129], v[130:131], v[126:127] op_sel:[0,1]
	s_delay_alu instid0(VALU_DEP_1) | instskip(SKIP_1) | instid1(VALU_DEP_1)
	v_pk_fma_f32 v[132:133], v[130:131], v[124:125], v[128:129] op_sel:[0,0,1] op_sel_hi:[1,1,0] neg_lo:[0,0,1] neg_hi:[0,0,1]
	v_pk_fma_f32 v[128:129], v[130:131], v[124:125], v[128:129] op_sel:[0,0,1] op_sel_hi:[1,0,0]
	v_mov_b32_e32 v133, v129
	ds_load_2addr_b64 v[128:131], v184 offset0:7 offset1:8
	v_pk_add_f32 v[24:25], v[24:25], v[134:135] neg_lo:[0,1] neg_hi:[0,1]
	v_pk_add_f32 v[26:27], v[26:27], v[132:133] neg_lo:[0,1] neg_hi:[0,1]
	s_wait_dscnt 0x0
	v_pk_mul_f32 v[132:133], v[128:129], v[126:127] op_sel:[0,1]
	s_delay_alu instid0(VALU_DEP_1) | instskip(SKIP_1) | instid1(VALU_DEP_1)
	v_pk_fma_f32 v[134:135], v[128:129], v[124:125], v[132:133] op_sel:[0,0,1] op_sel_hi:[1,1,0] neg_lo:[0,0,1] neg_hi:[0,0,1]
	v_pk_fma_f32 v[128:129], v[128:129], v[124:125], v[132:133] op_sel:[0,0,1] op_sel_hi:[1,0,0]
	v_mov_b32_e32 v135, v129
	v_pk_mul_f32 v[128:129], v[130:131], v[126:127] op_sel:[0,1]
	s_delay_alu instid0(VALU_DEP_1) | instskip(SKIP_1) | instid1(VALU_DEP_1)
	v_pk_fma_f32 v[132:133], v[130:131], v[124:125], v[128:129] op_sel:[0,0,1] op_sel_hi:[1,1,0] neg_lo:[0,0,1] neg_hi:[0,0,1]
	v_pk_fma_f32 v[128:129], v[130:131], v[124:125], v[128:129] op_sel:[0,0,1] op_sel_hi:[1,0,0]
	v_mov_b32_e32 v133, v129
	ds_load_2addr_b64 v[128:131], v184 offset0:9 offset1:10
	v_pk_add_f32 v[22:23], v[22:23], v[134:135] neg_lo:[0,1] neg_hi:[0,1]
	v_pk_add_f32 v[40:41], v[40:41], v[132:133] neg_lo:[0,1] neg_hi:[0,1]
	s_wait_dscnt 0x0
	v_dual_mul_f32 v132, v129, v127 :: v_dual_mul_f32 v134, v129, v124
	s_delay_alu instid0(VALU_DEP_1) | instskip(NEXT) | instid1(VALU_DEP_2)
	v_pk_fma_f32 v[132:133], v[128:129], v[54:55], v[132:133] op_sel_hi:[1,1,0] neg_lo:[0,0,1] neg_hi:[0,0,1]
	v_pk_fma_f32 v[128:129], v[128:129], v[54:55], v[134:135] op_sel:[1,0,0] op_sel_hi:[0,1,0]
	s_delay_alu instid0(VALU_DEP_1) | instskip(SKIP_1) | instid1(VALU_DEP_2)
	v_mov_b32_e32 v133, v129
	v_pk_mul_f32 v[128:129], v[130:131], v[126:127] op_sel:[0,1]
	v_pk_add_f32 v[36:37], v[36:37], v[132:133] neg_lo:[0,1] neg_hi:[0,1]
	s_delay_alu instid0(VALU_DEP_2) | instskip(SKIP_1) | instid1(VALU_DEP_1)
	v_pk_fma_f32 v[132:133], v[130:131], v[124:125], v[128:129] op_sel:[0,0,1] op_sel_hi:[1,1,0] neg_lo:[0,0,1] neg_hi:[0,0,1]
	v_pk_fma_f32 v[128:129], v[130:131], v[124:125], v[128:129] op_sel:[0,0,1] op_sel_hi:[1,0,0]
	v_mov_b32_e32 v133, v129
	ds_load_2addr_b64 v[128:131], v184 offset0:11 offset1:12
	v_pk_add_f32 v[38:39], v[38:39], v[132:133] neg_lo:[0,1] neg_hi:[0,1]
	s_wait_dscnt 0x0
	v_pk_mul_f32 v[132:133], v[128:129], v[126:127] op_sel:[0,1]
	s_delay_alu instid0(VALU_DEP_1) | instskip(SKIP_1) | instid1(VALU_DEP_1)
	v_pk_fma_f32 v[134:135], v[128:129], v[124:125], v[132:133] op_sel:[0,0,1] op_sel_hi:[1,1,0] neg_lo:[0,0,1] neg_hi:[0,0,1]
	v_pk_fma_f32 v[128:129], v[128:129], v[124:125], v[132:133] op_sel:[0,0,1] op_sel_hi:[1,0,0]
	v_mov_b32_e32 v135, v129
	v_pk_mul_f32 v[128:129], v[130:131], v[126:127] op_sel:[0,1]
	s_delay_alu instid0(VALU_DEP_2) | instskip(NEXT) | instid1(VALU_DEP_2)
	v_pk_add_f32 v[88:89], v[88:89], v[134:135] neg_lo:[0,1] neg_hi:[0,1]
	v_pk_fma_f32 v[132:133], v[130:131], v[124:125], v[128:129] op_sel:[0,0,1] op_sel_hi:[1,1,0] neg_lo:[0,0,1] neg_hi:[0,0,1]
	v_pk_fma_f32 v[128:129], v[130:131], v[124:125], v[128:129] op_sel:[0,0,1] op_sel_hi:[1,0,0]
	s_delay_alu instid0(VALU_DEP_1) | instskip(SKIP_4) | instid1(VALU_DEP_1)
	v_mov_b32_e32 v133, v129
	ds_load_2addr_b64 v[128:131], v184 offset0:13 offset1:14
	v_pk_add_f32 v[108:109], v[108:109], v[132:133] neg_lo:[0,1] neg_hi:[0,1]
	s_wait_dscnt 0x0
	v_pk_mul_f32 v[132:133], v[128:129], v[126:127] op_sel:[0,1]
	v_pk_fma_f32 v[134:135], v[128:129], v[124:125], v[132:133] op_sel:[0,0,1] op_sel_hi:[1,1,0] neg_lo:[0,0,1] neg_hi:[0,0,1]
	v_pk_fma_f32 v[128:129], v[128:129], v[124:125], v[132:133] op_sel:[0,0,1] op_sel_hi:[1,0,0]
	v_dual_mul_f32 v132, v131, v127 :: v_dual_mov_b32 v128, v131
	s_delay_alu instid0(VALU_DEP_2) | instskip(NEXT) | instid1(VALU_DEP_2)
	v_dual_mov_b32 v135, v129 :: v_dual_mov_b32 v129, v130
	v_pk_fma_f32 v[132:133], v[130:131], v[54:55], v[132:133] op_sel_hi:[1,1,0] neg_lo:[0,0,1] neg_hi:[0,0,1]
	v_mul_f32_e32 v130, v131, v124
	s_delay_alu instid0(VALU_DEP_3) | instskip(NEXT) | instid1(VALU_DEP_2)
	v_pk_add_f32 v[60:61], v[60:61], v[134:135] neg_lo:[0,1] neg_hi:[0,1]
	v_pk_fma_f32 v[128:129], v[128:129], v[54:55], v[130:131] op_sel_hi:[1,1,0]
	s_delay_alu instid0(VALU_DEP_1) | instskip(SKIP_4) | instid1(VALU_DEP_1)
	v_mov_b32_e32 v133, v129
	ds_load_2addr_b64 v[128:131], v184 offset0:15 offset1:16
	v_pk_add_f32 v[62:63], v[62:63], v[132:133] neg_lo:[0,1] neg_hi:[0,1]
	s_wait_dscnt 0x0
	v_pk_mul_f32 v[132:133], v[128:129], v[126:127] op_sel:[0,1]
	v_pk_fma_f32 v[134:135], v[128:129], v[124:125], v[132:133] op_sel:[0,0,1] op_sel_hi:[1,1,0] neg_lo:[0,0,1] neg_hi:[0,0,1]
	v_pk_fma_f32 v[128:129], v[128:129], v[124:125], v[132:133] op_sel:[0,0,1] op_sel_hi:[1,0,0]
	s_delay_alu instid0(VALU_DEP_1) | instskip(SKIP_1) | instid1(VALU_DEP_1)
	v_mov_b32_e32 v135, v129
	v_pk_mul_f32 v[128:129], v[130:131], v[126:127] op_sel:[0,1]
	v_pk_fma_f32 v[132:133], v[130:131], v[124:125], v[128:129] op_sel:[0,0,1] op_sel_hi:[1,1,0] neg_lo:[0,0,1] neg_hi:[0,0,1]
	v_pk_fma_f32 v[128:129], v[130:131], v[124:125], v[128:129] op_sel:[0,0,1] op_sel_hi:[1,0,0]
	s_delay_alu instid0(VALU_DEP_1)
	v_mov_b32_e32 v133, v129
	ds_load_2addr_b64 v[128:131], v184 offset0:17 offset1:18
	v_pk_add_f32 v[58:59], v[58:59], v[134:135] neg_lo:[0,1] neg_hi:[0,1]
	v_pk_add_f32 v[78:79], v[78:79], v[132:133] neg_lo:[0,1] neg_hi:[0,1]
	s_wait_dscnt 0x0
	v_pk_mul_f32 v[132:133], v[128:129], v[126:127] op_sel:[0,1]
	s_delay_alu instid0(VALU_DEP_1) | instskip(SKIP_1) | instid1(VALU_DEP_1)
	v_pk_fma_f32 v[134:135], v[128:129], v[124:125], v[132:133] op_sel:[0,0,1] op_sel_hi:[1,1,0] neg_lo:[0,0,1] neg_hi:[0,0,1]
	v_pk_fma_f32 v[128:129], v[128:129], v[124:125], v[132:133] op_sel:[0,0,1] op_sel_hi:[1,0,0]
	v_mov_b32_e32 v135, v129
	v_pk_mul_f32 v[128:129], v[130:131], v[126:127] op_sel:[0,1]
	s_delay_alu instid0(VALU_DEP_1) | instskip(SKIP_1) | instid1(VALU_DEP_1)
	v_pk_fma_f32 v[132:133], v[130:131], v[124:125], v[128:129] op_sel:[0,0,1] op_sel_hi:[1,1,0] neg_lo:[0,0,1] neg_hi:[0,0,1]
	v_pk_fma_f32 v[128:129], v[130:131], v[124:125], v[128:129] op_sel:[0,0,1] op_sel_hi:[1,0,0]
	v_mov_b32_e32 v133, v129
	ds_load_2addr_b64 v[128:131], v184 offset0:19 offset1:20
	v_pk_add_f32 v[74:75], v[74:75], v[134:135] neg_lo:[0,1] neg_hi:[0,1]
	v_pk_add_f32 v[76:77], v[76:77], v[132:133] neg_lo:[0,1] neg_hi:[0,1]
	s_wait_dscnt 0x0
	v_dual_mul_f32 v132, v129, v127 :: v_dual_mul_f32 v134, v129, v124
	s_delay_alu instid0(VALU_DEP_1) | instskip(NEXT) | instid1(VALU_DEP_2)
	v_pk_fma_f32 v[132:133], v[128:129], v[54:55], v[132:133] op_sel_hi:[1,1,0] neg_lo:[0,0,1] neg_hi:[0,0,1]
	v_pk_fma_f32 v[128:129], v[128:129], v[54:55], v[134:135] op_sel:[1,0,0] op_sel_hi:[0,1,0]
	s_delay_alu instid0(VALU_DEP_1) | instskip(SKIP_1) | instid1(VALU_DEP_2)
	v_mov_b32_e32 v133, v129
	v_pk_mul_f32 v[128:129], v[130:131], v[126:127] op_sel:[0,1]
	v_pk_add_f32 v[72:73], v[72:73], v[132:133] neg_lo:[0,1] neg_hi:[0,1]
	s_delay_alu instid0(VALU_DEP_2) | instskip(SKIP_1) | instid1(VALU_DEP_1)
	v_pk_fma_f32 v[132:133], v[130:131], v[124:125], v[128:129] op_sel:[0,0,1] op_sel_hi:[1,1,0] neg_lo:[0,0,1] neg_hi:[0,0,1]
	v_pk_fma_f32 v[128:129], v[130:131], v[124:125], v[128:129] op_sel:[0,0,1] op_sel_hi:[1,0,0]
	v_mov_b32_e32 v133, v129
	ds_load_2addr_b64 v[128:131], v184 offset0:21 offset1:22
	v_pk_add_f32 v[98:99], v[98:99], v[132:133] neg_lo:[0,1] neg_hi:[0,1]
	s_wait_dscnt 0x0
	v_pk_mul_f32 v[132:133], v[128:129], v[126:127] op_sel:[0,1]
	s_delay_alu instid0(VALU_DEP_1) | instskip(SKIP_1) | instid1(VALU_DEP_1)
	v_pk_fma_f32 v[134:135], v[128:129], v[124:125], v[132:133] op_sel:[0,0,1] op_sel_hi:[1,1,0] neg_lo:[0,0,1] neg_hi:[0,0,1]
	v_pk_fma_f32 v[128:129], v[128:129], v[124:125], v[132:133] op_sel:[0,0,1] op_sel_hi:[1,0,0]
	v_mov_b32_e32 v135, v129
	v_pk_mul_f32 v[128:129], v[130:131], v[126:127] op_sel:[0,1]
	s_delay_alu instid0(VALU_DEP_2) | instskip(NEXT) | instid1(VALU_DEP_2)
	v_pk_add_f32 v[94:95], v[94:95], v[134:135] neg_lo:[0,1] neg_hi:[0,1]
	v_pk_fma_f32 v[132:133], v[130:131], v[124:125], v[128:129] op_sel:[0,0,1] op_sel_hi:[1,1,0] neg_lo:[0,0,1] neg_hi:[0,0,1]
	v_pk_fma_f32 v[128:129], v[130:131], v[124:125], v[128:129] op_sel:[0,0,1] op_sel_hi:[1,0,0]
	s_delay_alu instid0(VALU_DEP_1) | instskip(SKIP_4) | instid1(VALU_DEP_1)
	v_mov_b32_e32 v133, v129
	ds_load_2addr_b64 v[128:131], v184 offset0:23 offset1:24
	v_pk_add_f32 v[96:97], v[96:97], v[132:133] neg_lo:[0,1] neg_hi:[0,1]
	s_wait_dscnt 0x0
	v_pk_mul_f32 v[132:133], v[128:129], v[126:127] op_sel:[0,1]
	v_pk_fma_f32 v[134:135], v[128:129], v[124:125], v[132:133] op_sel:[0,0,1] op_sel_hi:[1,1,0] neg_lo:[0,0,1] neg_hi:[0,0,1]
	v_pk_fma_f32 v[128:129], v[128:129], v[124:125], v[132:133] op_sel:[0,0,1] op_sel_hi:[1,0,0]
	v_dual_mul_f32 v132, v131, v127 :: v_dual_mov_b32 v128, v131
	s_delay_alu instid0(VALU_DEP_2) | instskip(NEXT) | instid1(VALU_DEP_2)
	v_dual_mov_b32 v135, v129 :: v_dual_mov_b32 v129, v130
	v_pk_fma_f32 v[132:133], v[130:131], v[54:55], v[132:133] op_sel_hi:[1,1,0] neg_lo:[0,0,1] neg_hi:[0,0,1]
	v_mul_f32_e32 v130, v131, v124
	s_delay_alu instid0(VALU_DEP_3) | instskip(NEXT) | instid1(VALU_DEP_2)
	v_pk_add_f32 v[92:93], v[92:93], v[134:135] neg_lo:[0,1] neg_hi:[0,1]
	v_pk_fma_f32 v[128:129], v[128:129], v[54:55], v[130:131] op_sel_hi:[1,1,0]
	s_delay_alu instid0(VALU_DEP_1) | instskip(SKIP_4) | instid1(VALU_DEP_1)
	v_mov_b32_e32 v133, v129
	ds_load_2addr_b64 v[128:131], v184 offset0:25 offset1:26
	v_pk_add_f32 v[114:115], v[114:115], v[132:133] neg_lo:[0,1] neg_hi:[0,1]
	s_wait_dscnt 0x0
	v_pk_mul_f32 v[132:133], v[128:129], v[126:127] op_sel:[0,1]
	v_pk_fma_f32 v[134:135], v[128:129], v[124:125], v[132:133] op_sel:[0,0,1] op_sel_hi:[1,1,0] neg_lo:[0,0,1] neg_hi:[0,0,1]
	v_pk_fma_f32 v[128:129], v[128:129], v[124:125], v[132:133] op_sel:[0,0,1] op_sel_hi:[1,0,0]
	s_delay_alu instid0(VALU_DEP_1) | instskip(SKIP_1) | instid1(VALU_DEP_1)
	v_mov_b32_e32 v135, v129
	v_pk_mul_f32 v[128:129], v[130:131], v[126:127] op_sel:[0,1]
	v_pk_fma_f32 v[132:133], v[130:131], v[124:125], v[128:129] op_sel:[0,0,1] op_sel_hi:[1,1,0] neg_lo:[0,0,1] neg_hi:[0,0,1]
	v_pk_fma_f32 v[128:129], v[130:131], v[124:125], v[128:129] op_sel:[0,0,1] op_sel_hi:[1,0,0]
	s_delay_alu instid0(VALU_DEP_1)
	v_mov_b32_e32 v133, v129
	ds_load_2addr_b64 v[128:131], v184 offset0:27 offset1:28
	v_pk_add_f32 v[110:111], v[110:111], v[134:135] neg_lo:[0,1] neg_hi:[0,1]
	v_pk_add_f32 v[112:113], v[112:113], v[132:133] neg_lo:[0,1] neg_hi:[0,1]
	s_wait_dscnt 0x0
	v_pk_mul_f32 v[132:133], v[128:129], v[126:127] op_sel:[0,1]
	s_delay_alu instid0(VALU_DEP_1) | instskip(SKIP_1) | instid1(VALU_DEP_1)
	v_pk_fma_f32 v[134:135], v[128:129], v[124:125], v[132:133] op_sel:[0,0,1] op_sel_hi:[1,1,0] neg_lo:[0,0,1] neg_hi:[0,0,1]
	v_pk_fma_f32 v[128:129], v[128:129], v[124:125], v[132:133] op_sel:[0,0,1] op_sel_hi:[1,0,0]
	v_mov_b32_e32 v135, v129
	v_pk_mul_f32 v[128:129], v[130:131], v[126:127] op_sel:[0,1]
	s_delay_alu instid0(VALU_DEP_1) | instskip(SKIP_1) | instid1(VALU_DEP_1)
	v_pk_fma_f32 v[132:133], v[130:131], v[124:125], v[128:129] op_sel:[0,0,1] op_sel_hi:[1,1,0] neg_lo:[0,0,1] neg_hi:[0,0,1]
	v_pk_fma_f32 v[128:129], v[130:131], v[124:125], v[128:129] op_sel:[0,0,1] op_sel_hi:[1,0,0]
	v_mov_b32_e32 v133, v129
	ds_load_b64 v[128:129], v184 offset:232
	v_pk_add_f32 v[118:119], v[118:119], v[134:135] neg_lo:[0,1] neg_hi:[0,1]
	v_pk_add_f32 v[116:117], v[116:117], v[132:133] neg_lo:[0,1] neg_hi:[0,1]
	s_wait_dscnt 0x0
	v_pk_mul_f32 v[126:127], v[128:129], v[126:127] op_sel:[0,1]
	s_delay_alu instid0(VALU_DEP_1) | instskip(SKIP_1) | instid1(VALU_DEP_1)
	v_pk_fma_f32 v[130:131], v[128:129], v[124:125], v[126:127] op_sel:[0,0,1] op_sel_hi:[1,1,0] neg_lo:[0,0,1] neg_hi:[0,0,1]
	v_pk_fma_f32 v[124:125], v[128:129], v[124:125], v[126:127] op_sel:[0,0,1] op_sel_hi:[1,0,0]
	v_mov_b32_e32 v131, v125
	s_delay_alu instid0(VALU_DEP_1)
	v_pk_add_f32 v[120:121], v[120:121], v[130:131] neg_lo:[0,1] neg_hi:[0,1]
.LBB59_10:
	s_or_b32 exec_lo, exec_lo, s2
	s_delay_alu instid0(SALU_CYCLE_1)
	s_mov_b32 s2, exec_lo
	s_wait_dscnt 0x0
	s_barrier_signal -1
	s_barrier_wait -1
	v_cmpx_eq_u32_e32 1, v182
	s_cbranch_execz .LBB59_17
; %bb.11:
	v_dual_mov_b32 v124, v46 :: v_dual_mov_b32 v125, v47
	v_dual_mov_b32 v126, v44 :: v_dual_mov_b32 v127, v45
	ds_store_b64 v183, v[56:57]
	ds_store_2addr_b64 v184, v[124:125], v[126:127] offset0:2 offset1:3
	v_dual_mov_b32 v124, v28 :: v_dual_mov_b32 v125, v29
	v_dual_mov_b32 v126, v24 :: v_dual_mov_b32 v127, v25
	ds_store_2addr_b64 v184, v[124:125], v[126:127] offset0:4 offset1:5
	v_dual_mov_b32 v124, v26 :: v_dual_mov_b32 v125, v27
	v_dual_mov_b32 v126, v22 :: v_dual_mov_b32 v127, v23
	;; [unrolled: 3-line block ×12, first 2 shown]
	ds_store_2addr_b64 v184, v[124:125], v[126:127] offset0:26 offset1:27
	v_dual_mov_b32 v124, v116 :: v_dual_mov_b32 v125, v117
	ds_store_2addr_b64 v184, v[124:125], v[120:121] offset0:28 offset1:29
	ds_load_b64 v[124:125], v183
	s_wait_dscnt 0x0
	v_cmp_neq_f32_e32 vcc_lo, 0, v124
	v_cmp_neq_f32_e64 s1, 0, v125
	s_or_b32 s1, vcc_lo, s1
	s_delay_alu instid0(SALU_CYCLE_1)
	s_and_b32 exec_lo, exec_lo, s1
	s_cbranch_execz .LBB59_17
; %bb.12:
	v_cmp_ngt_f32_e64 s1, |v124|, |v125|
                                        ; implicit-def: $vgpr126_vgpr127
	s_and_saveexec_b32 s4, s1
	s_delay_alu instid0(SALU_CYCLE_1)
	s_xor_b32 s1, exec_lo, s4
	s_cbranch_execz .LBB59_14
; %bb.13:
	v_div_scale_f32 v126, null, v125, v125, v124
	v_div_scale_f32 v129, vcc_lo, v124, v125, v124
	s_delay_alu instid0(VALU_DEP_2) | instskip(SKIP_1) | instid1(TRANS32_DEP_1)
	v_rcp_f32_e32 v127, v126
	v_nop
	v_fma_f32 v128, -v126, v127, 1.0
	s_delay_alu instid0(VALU_DEP_1) | instskip(NEXT) | instid1(VALU_DEP_1)
	v_fmac_f32_e32 v127, v128, v127
	v_mul_f32_e32 v128, v129, v127
	s_delay_alu instid0(VALU_DEP_1) | instskip(NEXT) | instid1(VALU_DEP_1)
	v_fma_f32 v130, -v126, v128, v129
	v_fmac_f32_e32 v128, v130, v127
	s_delay_alu instid0(VALU_DEP_1) | instskip(NEXT) | instid1(VALU_DEP_1)
	v_fma_f32 v126, -v126, v128, v129
	v_div_fmas_f32 v126, v126, v127, v128
	s_delay_alu instid0(VALU_DEP_1) | instskip(NEXT) | instid1(VALU_DEP_1)
	v_div_fixup_f32 v126, v126, v125, v124
	v_fmac_f32_e32 v125, v124, v126
	s_delay_alu instid0(VALU_DEP_1) | instskip(SKIP_1) | instid1(VALU_DEP_2)
	v_div_scale_f32 v124, null, v125, v125, 1.0
	v_div_scale_f32 v129, vcc_lo, 1.0, v125, 1.0
	v_rcp_f32_e32 v127, v124
	v_nop
	s_delay_alu instid0(TRANS32_DEP_1) | instskip(NEXT) | instid1(VALU_DEP_1)
	v_fma_f32 v128, -v124, v127, 1.0
	v_fmac_f32_e32 v127, v128, v127
	s_delay_alu instid0(VALU_DEP_1) | instskip(NEXT) | instid1(VALU_DEP_1)
	v_mul_f32_e32 v128, v129, v127
	v_fma_f32 v130, -v124, v128, v129
	s_delay_alu instid0(VALU_DEP_1) | instskip(NEXT) | instid1(VALU_DEP_1)
	v_fmac_f32_e32 v128, v130, v127
	v_fma_f32 v124, -v124, v128, v129
	s_delay_alu instid0(VALU_DEP_1) | instskip(NEXT) | instid1(VALU_DEP_1)
	v_div_fmas_f32 v124, v124, v127, v128
	v_div_fixup_f32 v124, v124, v125, 1.0
	s_delay_alu instid0(VALU_DEP_1)
	v_mul_f32_e32 v126, v126, v124
	v_xor_b32_e32 v127, 0x80000000, v124
                                        ; implicit-def: $vgpr124_vgpr125
.LBB59_14:
	s_and_not1_saveexec_b32 s1, s1
	s_cbranch_execz .LBB59_16
; %bb.15:
	v_div_scale_f32 v126, null, v124, v124, v125
	v_div_scale_f32 v129, vcc_lo, v125, v124, v125
	s_delay_alu instid0(VALU_DEP_2) | instskip(SKIP_1) | instid1(TRANS32_DEP_1)
	v_rcp_f32_e32 v127, v126
	v_nop
	v_fma_f32 v128, -v126, v127, 1.0
	s_delay_alu instid0(VALU_DEP_1) | instskip(NEXT) | instid1(VALU_DEP_1)
	v_fmac_f32_e32 v127, v128, v127
	v_mul_f32_e32 v128, v129, v127
	s_delay_alu instid0(VALU_DEP_1) | instskip(NEXT) | instid1(VALU_DEP_1)
	v_fma_f32 v130, -v126, v128, v129
	v_fmac_f32_e32 v128, v130, v127
	s_delay_alu instid0(VALU_DEP_1) | instskip(NEXT) | instid1(VALU_DEP_1)
	v_fma_f32 v126, -v126, v128, v129
	v_div_fmas_f32 v126, v126, v127, v128
	s_delay_alu instid0(VALU_DEP_1) | instskip(NEXT) | instid1(VALU_DEP_1)
	v_div_fixup_f32 v127, v126, v124, v125
	v_fmac_f32_e32 v124, v125, v127
	s_delay_alu instid0(VALU_DEP_1) | instskip(NEXT) | instid1(VALU_DEP_1)
	v_div_scale_f32 v125, null, v124, v124, 1.0
	v_rcp_f32_e32 v126, v125
	v_nop
	s_delay_alu instid0(TRANS32_DEP_1) | instskip(NEXT) | instid1(VALU_DEP_1)
	v_fma_f32 v128, -v125, v126, 1.0
	v_fmac_f32_e32 v126, v128, v126
	v_div_scale_f32 v128, vcc_lo, 1.0, v124, 1.0
	s_delay_alu instid0(VALU_DEP_1) | instskip(NEXT) | instid1(VALU_DEP_1)
	v_mul_f32_e32 v129, v128, v126
	v_fma_f32 v130, -v125, v129, v128
	s_delay_alu instid0(VALU_DEP_1) | instskip(NEXT) | instid1(VALU_DEP_1)
	v_fmac_f32_e32 v129, v130, v126
	v_fma_f32 v125, -v125, v129, v128
	s_delay_alu instid0(VALU_DEP_1) | instskip(NEXT) | instid1(VALU_DEP_1)
	v_div_fmas_f32 v125, v125, v126, v129
	v_div_fixup_f32 v126, v125, v124, 1.0
	s_delay_alu instid0(VALU_DEP_1)
	v_mul_f32_e64 v127, v127, -v126
.LBB59_16:
	s_or_b32 exec_lo, exec_lo, s1
	ds_store_b64 v183, v[126:127]
.LBB59_17:
	s_or_b32 exec_lo, exec_lo, s2
	s_wait_dscnt 0x0
	s_barrier_signal -1
	s_barrier_wait -1
	ds_load_b64 v[124:125], v183
	s_mov_b32 s1, exec_lo
	v_cmpx_lt_u32_e32 1, v182
	s_cbranch_execz .LBB59_19
; %bb.18:
	ds_load_2addr_b64 v[130:133], v184 offset0:2 offset1:3
	s_wait_dscnt 0x1
	v_pk_mul_f32 v[128:129], v[124:125], v[56:57] op_sel:[1,1] op_sel_hi:[0,1]
	s_delay_alu instid0(VALU_DEP_1) | instskip(SKIP_1) | instid1(VALU_DEP_1)
	v_pk_fma_f32 v[126:127], v[124:125], v[56:57], v[128:129] op_sel_hi:[1,0,1] neg_lo:[0,0,1] neg_hi:[0,0,1]
	v_pk_fma_f32 v[128:129], v[124:125], v[56:57], v[128:129] op_sel_hi:[1,0,1]
	v_dual_mov_b32 v56, v126 :: v_dual_mov_b32 v57, v129
	s_wait_dscnt 0x0
	s_delay_alu instid0(VALU_DEP_2) | instskip(NEXT) | instid1(VALU_DEP_1)
	v_pk_mul_f32 v[134:135], v[130:131], v[128:129] op_sel:[0,1]
	v_pk_fma_f32 v[136:137], v[130:131], v[126:127], v[134:135] op_sel:[0,0,1] op_sel_hi:[1,1,0] neg_lo:[0,0,1] neg_hi:[0,0,1]
	v_pk_fma_f32 v[130:131], v[130:131], v[126:127], v[134:135] op_sel:[0,0,1] op_sel_hi:[1,0,0]
	s_delay_alu instid0(VALU_DEP_1) | instskip(SKIP_1) | instid1(VALU_DEP_1)
	v_mov_b32_e32 v137, v131
	v_pk_mul_f32 v[130:131], v[132:133], v[128:129] op_sel:[0,1]
	v_pk_fma_f32 v[134:135], v[132:133], v[126:127], v[130:131] op_sel:[0,0,1] op_sel_hi:[1,1,0] neg_lo:[0,0,1] neg_hi:[0,0,1]
	v_pk_fma_f32 v[130:131], v[132:133], v[126:127], v[130:131] op_sel:[0,0,1] op_sel_hi:[1,0,0]
	s_delay_alu instid0(VALU_DEP_1)
	v_mov_b32_e32 v135, v131
	ds_load_2addr_b64 v[130:133], v184 offset0:4 offset1:5
	v_pk_add_f32 v[46:47], v[46:47], v[136:137] neg_lo:[0,1] neg_hi:[0,1]
	v_pk_add_f32 v[44:45], v[44:45], v[134:135] neg_lo:[0,1] neg_hi:[0,1]
	s_wait_dscnt 0x0
	v_pk_mul_f32 v[134:135], v[130:131], v[128:129] op_sel:[0,1]
	s_delay_alu instid0(VALU_DEP_1) | instskip(SKIP_2) | instid1(VALU_DEP_2)
	v_pk_fma_f32 v[136:137], v[130:131], v[126:127], v[134:135] op_sel:[0,0,1] op_sel_hi:[1,1,0] neg_lo:[0,0,1] neg_hi:[0,0,1]
	v_pk_fma_f32 v[130:131], v[130:131], v[126:127], v[134:135] op_sel:[0,0,1] op_sel_hi:[1,0,0]
	v_dual_mul_f32 v134, v133, v129 :: v_dual_mov_b32 v130, v133
	v_dual_mov_b32 v137, v131 :: v_dual_mov_b32 v131, v132
	s_delay_alu instid0(VALU_DEP_2) | instskip(SKIP_1) | instid1(VALU_DEP_3)
	v_pk_fma_f32 v[134:135], v[132:133], v[56:57], v[134:135] op_sel_hi:[1,1,0] neg_lo:[0,0,1] neg_hi:[0,0,1]
	v_mul_f32_e32 v132, v133, v126
	v_pk_add_f32 v[28:29], v[28:29], v[136:137] neg_lo:[0,1] neg_hi:[0,1]
	s_delay_alu instid0(VALU_DEP_2) | instskip(NEXT) | instid1(VALU_DEP_1)
	v_pk_fma_f32 v[130:131], v[130:131], v[56:57], v[132:133] op_sel_hi:[1,1,0]
	v_mov_b32_e32 v135, v131
	ds_load_2addr_b64 v[130:133], v184 offset0:6 offset1:7
	v_pk_add_f32 v[24:25], v[24:25], v[134:135] neg_lo:[0,1] neg_hi:[0,1]
	s_wait_dscnt 0x0
	v_pk_mul_f32 v[134:135], v[130:131], v[128:129] op_sel:[0,1]
	s_delay_alu instid0(VALU_DEP_1) | instskip(SKIP_1) | instid1(VALU_DEP_1)
	v_pk_fma_f32 v[136:137], v[130:131], v[126:127], v[134:135] op_sel:[0,0,1] op_sel_hi:[1,1,0] neg_lo:[0,0,1] neg_hi:[0,0,1]
	v_pk_fma_f32 v[130:131], v[130:131], v[126:127], v[134:135] op_sel:[0,0,1] op_sel_hi:[1,0,0]
	v_mov_b32_e32 v137, v131
	v_pk_mul_f32 v[130:131], v[132:133], v[128:129] op_sel:[0,1]
	s_delay_alu instid0(VALU_DEP_1) | instskip(SKIP_1) | instid1(VALU_DEP_1)
	v_pk_fma_f32 v[134:135], v[132:133], v[126:127], v[130:131] op_sel:[0,0,1] op_sel_hi:[1,1,0] neg_lo:[0,0,1] neg_hi:[0,0,1]
	v_pk_fma_f32 v[130:131], v[132:133], v[126:127], v[130:131] op_sel:[0,0,1] op_sel_hi:[1,0,0]
	v_mov_b32_e32 v135, v131
	ds_load_2addr_b64 v[130:133], v184 offset0:8 offset1:9
	v_pk_add_f32 v[26:27], v[26:27], v[136:137] neg_lo:[0,1] neg_hi:[0,1]
	v_pk_add_f32 v[22:23], v[22:23], v[134:135] neg_lo:[0,1] neg_hi:[0,1]
	s_wait_dscnt 0x0
	v_pk_mul_f32 v[134:135], v[130:131], v[128:129] op_sel:[0,1]
	s_delay_alu instid0(VALU_DEP_1) | instskip(SKIP_1) | instid1(VALU_DEP_1)
	v_pk_fma_f32 v[136:137], v[130:131], v[126:127], v[134:135] op_sel:[0,0,1] op_sel_hi:[1,1,0] neg_lo:[0,0,1] neg_hi:[0,0,1]
	v_pk_fma_f32 v[130:131], v[130:131], v[126:127], v[134:135] op_sel:[0,0,1] op_sel_hi:[1,0,0]
	v_mov_b32_e32 v137, v131
	v_pk_mul_f32 v[130:131], v[132:133], v[128:129] op_sel:[0,1]
	s_delay_alu instid0(VALU_DEP_1) | instskip(SKIP_1) | instid1(VALU_DEP_1)
	v_pk_fma_f32 v[134:135], v[132:133], v[126:127], v[130:131] op_sel:[0,0,1] op_sel_hi:[1,1,0] neg_lo:[0,0,1] neg_hi:[0,0,1]
	v_pk_fma_f32 v[130:131], v[132:133], v[126:127], v[130:131] op_sel:[0,0,1] op_sel_hi:[1,0,0]
	v_mov_b32_e32 v135, v131
	ds_load_2addr_b64 v[130:133], v184 offset0:10 offset1:11
	v_pk_add_f32 v[40:41], v[40:41], v[136:137] neg_lo:[0,1] neg_hi:[0,1]
	v_pk_add_f32 v[36:37], v[36:37], v[134:135] neg_lo:[0,1] neg_hi:[0,1]
	s_wait_dscnt 0x0
	v_dual_mul_f32 v134, v131, v129 :: v_dual_mul_f32 v136, v131, v126
	s_delay_alu instid0(VALU_DEP_1) | instskip(NEXT) | instid1(VALU_DEP_2)
	v_pk_fma_f32 v[134:135], v[130:131], v[56:57], v[134:135] op_sel_hi:[1,1,0] neg_lo:[0,0,1] neg_hi:[0,0,1]
	v_pk_fma_f32 v[130:131], v[130:131], v[56:57], v[136:137] op_sel:[1,0,0] op_sel_hi:[0,1,0]
	s_delay_alu instid0(VALU_DEP_1) | instskip(SKIP_1) | instid1(VALU_DEP_2)
	v_mov_b32_e32 v135, v131
	v_pk_mul_f32 v[130:131], v[132:133], v[128:129] op_sel:[0,1]
	v_pk_add_f32 v[38:39], v[38:39], v[134:135] neg_lo:[0,1] neg_hi:[0,1]
	s_delay_alu instid0(VALU_DEP_2) | instskip(SKIP_1) | instid1(VALU_DEP_1)
	v_pk_fma_f32 v[134:135], v[132:133], v[126:127], v[130:131] op_sel:[0,0,1] op_sel_hi:[1,1,0] neg_lo:[0,0,1] neg_hi:[0,0,1]
	v_pk_fma_f32 v[130:131], v[132:133], v[126:127], v[130:131] op_sel:[0,0,1] op_sel_hi:[1,0,0]
	v_mov_b32_e32 v135, v131
	ds_load_2addr_b64 v[130:133], v184 offset0:12 offset1:13
	v_pk_add_f32 v[88:89], v[88:89], v[134:135] neg_lo:[0,1] neg_hi:[0,1]
	s_wait_dscnt 0x0
	v_pk_mul_f32 v[134:135], v[130:131], v[128:129] op_sel:[0,1]
	s_delay_alu instid0(VALU_DEP_1) | instskip(SKIP_1) | instid1(VALU_DEP_1)
	v_pk_fma_f32 v[136:137], v[130:131], v[126:127], v[134:135] op_sel:[0,0,1] op_sel_hi:[1,1,0] neg_lo:[0,0,1] neg_hi:[0,0,1]
	v_pk_fma_f32 v[130:131], v[130:131], v[126:127], v[134:135] op_sel:[0,0,1] op_sel_hi:[1,0,0]
	v_mov_b32_e32 v137, v131
	v_pk_mul_f32 v[130:131], v[132:133], v[128:129] op_sel:[0,1]
	s_delay_alu instid0(VALU_DEP_2) | instskip(NEXT) | instid1(VALU_DEP_2)
	v_pk_add_f32 v[108:109], v[108:109], v[136:137] neg_lo:[0,1] neg_hi:[0,1]
	v_pk_fma_f32 v[134:135], v[132:133], v[126:127], v[130:131] op_sel:[0,0,1] op_sel_hi:[1,1,0] neg_lo:[0,0,1] neg_hi:[0,0,1]
	v_pk_fma_f32 v[130:131], v[132:133], v[126:127], v[130:131] op_sel:[0,0,1] op_sel_hi:[1,0,0]
	s_delay_alu instid0(VALU_DEP_1) | instskip(SKIP_4) | instid1(VALU_DEP_1)
	v_mov_b32_e32 v135, v131
	ds_load_2addr_b64 v[130:133], v184 offset0:14 offset1:15
	v_pk_add_f32 v[60:61], v[60:61], v[134:135] neg_lo:[0,1] neg_hi:[0,1]
	s_wait_dscnt 0x0
	v_pk_mul_f32 v[134:135], v[130:131], v[128:129] op_sel:[0,1]
	v_pk_fma_f32 v[136:137], v[130:131], v[126:127], v[134:135] op_sel:[0,0,1] op_sel_hi:[1,1,0] neg_lo:[0,0,1] neg_hi:[0,0,1]
	v_pk_fma_f32 v[130:131], v[130:131], v[126:127], v[134:135] op_sel:[0,0,1] op_sel_hi:[1,0,0]
	v_dual_mul_f32 v134, v133, v129 :: v_dual_mov_b32 v130, v133
	s_delay_alu instid0(VALU_DEP_2) | instskip(NEXT) | instid1(VALU_DEP_2)
	v_dual_mov_b32 v137, v131 :: v_dual_mov_b32 v131, v132
	v_pk_fma_f32 v[134:135], v[132:133], v[56:57], v[134:135] op_sel_hi:[1,1,0] neg_lo:[0,0,1] neg_hi:[0,0,1]
	v_mul_f32_e32 v132, v133, v126
	s_delay_alu instid0(VALU_DEP_3) | instskip(NEXT) | instid1(VALU_DEP_2)
	v_pk_add_f32 v[62:63], v[62:63], v[136:137] neg_lo:[0,1] neg_hi:[0,1]
	v_pk_fma_f32 v[130:131], v[130:131], v[56:57], v[132:133] op_sel_hi:[1,1,0]
	s_delay_alu instid0(VALU_DEP_1) | instskip(SKIP_4) | instid1(VALU_DEP_1)
	v_mov_b32_e32 v135, v131
	ds_load_2addr_b64 v[130:133], v184 offset0:16 offset1:17
	v_pk_add_f32 v[58:59], v[58:59], v[134:135] neg_lo:[0,1] neg_hi:[0,1]
	s_wait_dscnt 0x0
	v_pk_mul_f32 v[134:135], v[130:131], v[128:129] op_sel:[0,1]
	v_pk_fma_f32 v[136:137], v[130:131], v[126:127], v[134:135] op_sel:[0,0,1] op_sel_hi:[1,1,0] neg_lo:[0,0,1] neg_hi:[0,0,1]
	v_pk_fma_f32 v[130:131], v[130:131], v[126:127], v[134:135] op_sel:[0,0,1] op_sel_hi:[1,0,0]
	s_delay_alu instid0(VALU_DEP_1) | instskip(SKIP_1) | instid1(VALU_DEP_1)
	v_mov_b32_e32 v137, v131
	v_pk_mul_f32 v[130:131], v[132:133], v[128:129] op_sel:[0,1]
	v_pk_fma_f32 v[134:135], v[132:133], v[126:127], v[130:131] op_sel:[0,0,1] op_sel_hi:[1,1,0] neg_lo:[0,0,1] neg_hi:[0,0,1]
	v_pk_fma_f32 v[130:131], v[132:133], v[126:127], v[130:131] op_sel:[0,0,1] op_sel_hi:[1,0,0]
	s_delay_alu instid0(VALU_DEP_1)
	v_mov_b32_e32 v135, v131
	ds_load_2addr_b64 v[130:133], v184 offset0:18 offset1:19
	v_pk_add_f32 v[78:79], v[78:79], v[136:137] neg_lo:[0,1] neg_hi:[0,1]
	v_pk_add_f32 v[74:75], v[74:75], v[134:135] neg_lo:[0,1] neg_hi:[0,1]
	s_wait_dscnt 0x0
	v_pk_mul_f32 v[134:135], v[130:131], v[128:129] op_sel:[0,1]
	s_delay_alu instid0(VALU_DEP_1) | instskip(SKIP_1) | instid1(VALU_DEP_1)
	v_pk_fma_f32 v[136:137], v[130:131], v[126:127], v[134:135] op_sel:[0,0,1] op_sel_hi:[1,1,0] neg_lo:[0,0,1] neg_hi:[0,0,1]
	v_pk_fma_f32 v[130:131], v[130:131], v[126:127], v[134:135] op_sel:[0,0,1] op_sel_hi:[1,0,0]
	v_mov_b32_e32 v137, v131
	v_pk_mul_f32 v[130:131], v[132:133], v[128:129] op_sel:[0,1]
	s_delay_alu instid0(VALU_DEP_1) | instskip(SKIP_1) | instid1(VALU_DEP_1)
	v_pk_fma_f32 v[134:135], v[132:133], v[126:127], v[130:131] op_sel:[0,0,1] op_sel_hi:[1,1,0] neg_lo:[0,0,1] neg_hi:[0,0,1]
	v_pk_fma_f32 v[130:131], v[132:133], v[126:127], v[130:131] op_sel:[0,0,1] op_sel_hi:[1,0,0]
	v_mov_b32_e32 v135, v131
	ds_load_2addr_b64 v[130:133], v184 offset0:20 offset1:21
	v_pk_add_f32 v[76:77], v[76:77], v[136:137] neg_lo:[0,1] neg_hi:[0,1]
	v_pk_add_f32 v[72:73], v[72:73], v[134:135] neg_lo:[0,1] neg_hi:[0,1]
	s_wait_dscnt 0x0
	v_dual_mul_f32 v134, v131, v129 :: v_dual_mul_f32 v136, v131, v126
	s_delay_alu instid0(VALU_DEP_1) | instskip(NEXT) | instid1(VALU_DEP_2)
	v_pk_fma_f32 v[134:135], v[130:131], v[56:57], v[134:135] op_sel_hi:[1,1,0] neg_lo:[0,0,1] neg_hi:[0,0,1]
	v_pk_fma_f32 v[130:131], v[130:131], v[56:57], v[136:137] op_sel:[1,0,0] op_sel_hi:[0,1,0]
	s_delay_alu instid0(VALU_DEP_1) | instskip(SKIP_1) | instid1(VALU_DEP_2)
	v_mov_b32_e32 v135, v131
	v_pk_mul_f32 v[130:131], v[132:133], v[128:129] op_sel:[0,1]
	v_pk_add_f32 v[98:99], v[98:99], v[134:135] neg_lo:[0,1] neg_hi:[0,1]
	s_delay_alu instid0(VALU_DEP_2) | instskip(SKIP_1) | instid1(VALU_DEP_1)
	v_pk_fma_f32 v[134:135], v[132:133], v[126:127], v[130:131] op_sel:[0,0,1] op_sel_hi:[1,1,0] neg_lo:[0,0,1] neg_hi:[0,0,1]
	v_pk_fma_f32 v[130:131], v[132:133], v[126:127], v[130:131] op_sel:[0,0,1] op_sel_hi:[1,0,0]
	v_mov_b32_e32 v135, v131
	ds_load_2addr_b64 v[130:133], v184 offset0:22 offset1:23
	v_pk_add_f32 v[94:95], v[94:95], v[134:135] neg_lo:[0,1] neg_hi:[0,1]
	s_wait_dscnt 0x0
	v_pk_mul_f32 v[134:135], v[130:131], v[128:129] op_sel:[0,1]
	s_delay_alu instid0(VALU_DEP_1) | instskip(SKIP_1) | instid1(VALU_DEP_1)
	v_pk_fma_f32 v[136:137], v[130:131], v[126:127], v[134:135] op_sel:[0,0,1] op_sel_hi:[1,1,0] neg_lo:[0,0,1] neg_hi:[0,0,1]
	v_pk_fma_f32 v[130:131], v[130:131], v[126:127], v[134:135] op_sel:[0,0,1] op_sel_hi:[1,0,0]
	v_mov_b32_e32 v137, v131
	v_pk_mul_f32 v[130:131], v[132:133], v[128:129] op_sel:[0,1]
	s_delay_alu instid0(VALU_DEP_2) | instskip(NEXT) | instid1(VALU_DEP_2)
	v_pk_add_f32 v[96:97], v[96:97], v[136:137] neg_lo:[0,1] neg_hi:[0,1]
	v_pk_fma_f32 v[134:135], v[132:133], v[126:127], v[130:131] op_sel:[0,0,1] op_sel_hi:[1,1,0] neg_lo:[0,0,1] neg_hi:[0,0,1]
	v_pk_fma_f32 v[130:131], v[132:133], v[126:127], v[130:131] op_sel:[0,0,1] op_sel_hi:[1,0,0]
	s_delay_alu instid0(VALU_DEP_1) | instskip(SKIP_4) | instid1(VALU_DEP_1)
	v_mov_b32_e32 v135, v131
	ds_load_2addr_b64 v[130:133], v184 offset0:24 offset1:25
	v_pk_add_f32 v[92:93], v[92:93], v[134:135] neg_lo:[0,1] neg_hi:[0,1]
	s_wait_dscnt 0x0
	v_pk_mul_f32 v[134:135], v[130:131], v[128:129] op_sel:[0,1]
	v_pk_fma_f32 v[136:137], v[130:131], v[126:127], v[134:135] op_sel:[0,0,1] op_sel_hi:[1,1,0] neg_lo:[0,0,1] neg_hi:[0,0,1]
	v_pk_fma_f32 v[130:131], v[130:131], v[126:127], v[134:135] op_sel:[0,0,1] op_sel_hi:[1,0,0]
	v_dual_mul_f32 v134, v133, v129 :: v_dual_mov_b32 v130, v133
	s_delay_alu instid0(VALU_DEP_2) | instskip(NEXT) | instid1(VALU_DEP_2)
	v_dual_mov_b32 v137, v131 :: v_dual_mov_b32 v131, v132
	v_pk_fma_f32 v[134:135], v[132:133], v[56:57], v[134:135] op_sel_hi:[1,1,0] neg_lo:[0,0,1] neg_hi:[0,0,1]
	v_mul_f32_e32 v132, v133, v126
	s_delay_alu instid0(VALU_DEP_3) | instskip(NEXT) | instid1(VALU_DEP_2)
	v_pk_add_f32 v[114:115], v[114:115], v[136:137] neg_lo:[0,1] neg_hi:[0,1]
	v_pk_fma_f32 v[130:131], v[130:131], v[56:57], v[132:133] op_sel_hi:[1,1,0]
	s_delay_alu instid0(VALU_DEP_1) | instskip(SKIP_4) | instid1(VALU_DEP_1)
	v_mov_b32_e32 v135, v131
	ds_load_2addr_b64 v[130:133], v184 offset0:26 offset1:27
	v_pk_add_f32 v[110:111], v[110:111], v[134:135] neg_lo:[0,1] neg_hi:[0,1]
	s_wait_dscnt 0x0
	v_pk_mul_f32 v[134:135], v[130:131], v[128:129] op_sel:[0,1]
	v_pk_fma_f32 v[136:137], v[130:131], v[126:127], v[134:135] op_sel:[0,0,1] op_sel_hi:[1,1,0] neg_lo:[0,0,1] neg_hi:[0,0,1]
	v_pk_fma_f32 v[130:131], v[130:131], v[126:127], v[134:135] op_sel:[0,0,1] op_sel_hi:[1,0,0]
	s_delay_alu instid0(VALU_DEP_1) | instskip(SKIP_1) | instid1(VALU_DEP_1)
	v_mov_b32_e32 v137, v131
	v_pk_mul_f32 v[130:131], v[132:133], v[128:129] op_sel:[0,1]
	v_pk_fma_f32 v[134:135], v[132:133], v[126:127], v[130:131] op_sel:[0,0,1] op_sel_hi:[1,1,0] neg_lo:[0,0,1] neg_hi:[0,0,1]
	v_pk_fma_f32 v[130:131], v[132:133], v[126:127], v[130:131] op_sel:[0,0,1] op_sel_hi:[1,0,0]
	s_delay_alu instid0(VALU_DEP_1)
	v_mov_b32_e32 v135, v131
	ds_load_2addr_b64 v[130:133], v184 offset0:28 offset1:29
	v_pk_add_f32 v[112:113], v[112:113], v[136:137] neg_lo:[0,1] neg_hi:[0,1]
	v_pk_add_f32 v[118:119], v[118:119], v[134:135] neg_lo:[0,1] neg_hi:[0,1]
	s_wait_dscnt 0x0
	v_pk_mul_f32 v[134:135], v[130:131], v[128:129] op_sel:[0,1]
	v_pk_mul_f32 v[128:129], v[132:133], v[128:129] op_sel:[0,1]
	s_delay_alu instid0(VALU_DEP_2) | instskip(SKIP_1) | instid1(VALU_DEP_1)
	v_pk_fma_f32 v[136:137], v[130:131], v[126:127], v[134:135] op_sel:[0,0,1] op_sel_hi:[1,1,0] neg_lo:[0,0,1] neg_hi:[0,0,1]
	v_pk_fma_f32 v[130:131], v[130:131], v[126:127], v[134:135] op_sel:[0,0,1] op_sel_hi:[1,0,0]
	v_mov_b32_e32 v137, v131
	s_delay_alu instid0(VALU_DEP_4) | instskip(SKIP_1) | instid1(VALU_DEP_1)
	v_pk_fma_f32 v[130:131], v[132:133], v[126:127], v[128:129] op_sel:[0,0,1] op_sel_hi:[1,1,0] neg_lo:[0,0,1] neg_hi:[0,0,1]
	v_pk_fma_f32 v[126:127], v[132:133], v[126:127], v[128:129] op_sel:[0,0,1] op_sel_hi:[1,0,0]
	v_mov_b32_e32 v131, v127
	s_delay_alu instid0(VALU_DEP_4) | instskip(NEXT) | instid1(VALU_DEP_2)
	v_pk_add_f32 v[116:117], v[116:117], v[136:137] neg_lo:[0,1] neg_hi:[0,1]
	v_pk_add_f32 v[120:121], v[120:121], v[130:131] neg_lo:[0,1] neg_hi:[0,1]
.LBB59_19:
	s_or_b32 exec_lo, exec_lo, s1
	s_delay_alu instid0(SALU_CYCLE_1)
	s_mov_b32 s2, exec_lo
	s_wait_dscnt 0x0
	s_barrier_signal -1
	s_barrier_wait -1
	v_cmpx_eq_u32_e32 2, v182
	s_cbranch_execz .LBB59_26
; %bb.20:
	ds_store_b64 v183, v[46:47]
	ds_store_2addr_b64 v184, v[44:45], v[28:29] offset0:3 offset1:4
	ds_store_2addr_b64 v184, v[24:25], v[26:27] offset0:5 offset1:6
	;; [unrolled: 1-line block ×13, first 2 shown]
	ds_store_b64 v184, v[120:121] offset:232
	ds_load_b64 v[126:127], v183
	s_wait_dscnt 0x0
	v_cmp_neq_f32_e32 vcc_lo, 0, v126
	v_cmp_neq_f32_e64 s1, 0, v127
	s_or_b32 s1, vcc_lo, s1
	s_delay_alu instid0(SALU_CYCLE_1)
	s_and_b32 exec_lo, exec_lo, s1
	s_cbranch_execz .LBB59_26
; %bb.21:
	v_cmp_ngt_f32_e64 s1, |v126|, |v127|
                                        ; implicit-def: $vgpr128_vgpr129
	s_and_saveexec_b32 s4, s1
	s_delay_alu instid0(SALU_CYCLE_1)
	s_xor_b32 s1, exec_lo, s4
	s_cbranch_execz .LBB59_23
; %bb.22:
	v_div_scale_f32 v128, null, v127, v127, v126
	v_div_scale_f32 v131, vcc_lo, v126, v127, v126
	s_delay_alu instid0(VALU_DEP_2) | instskip(SKIP_1) | instid1(TRANS32_DEP_1)
	v_rcp_f32_e32 v129, v128
	v_nop
	v_fma_f32 v130, -v128, v129, 1.0
	s_delay_alu instid0(VALU_DEP_1) | instskip(NEXT) | instid1(VALU_DEP_1)
	v_fmac_f32_e32 v129, v130, v129
	v_mul_f32_e32 v130, v131, v129
	s_delay_alu instid0(VALU_DEP_1) | instskip(NEXT) | instid1(VALU_DEP_1)
	v_fma_f32 v132, -v128, v130, v131
	v_fmac_f32_e32 v130, v132, v129
	s_delay_alu instid0(VALU_DEP_1) | instskip(NEXT) | instid1(VALU_DEP_1)
	v_fma_f32 v128, -v128, v130, v131
	v_div_fmas_f32 v128, v128, v129, v130
	s_delay_alu instid0(VALU_DEP_1) | instskip(NEXT) | instid1(VALU_DEP_1)
	v_div_fixup_f32 v128, v128, v127, v126
	v_fmac_f32_e32 v127, v126, v128
	s_delay_alu instid0(VALU_DEP_1) | instskip(SKIP_1) | instid1(VALU_DEP_2)
	v_div_scale_f32 v126, null, v127, v127, 1.0
	v_div_scale_f32 v131, vcc_lo, 1.0, v127, 1.0
	v_rcp_f32_e32 v129, v126
	v_nop
	s_delay_alu instid0(TRANS32_DEP_1) | instskip(NEXT) | instid1(VALU_DEP_1)
	v_fma_f32 v130, -v126, v129, 1.0
	v_fmac_f32_e32 v129, v130, v129
	s_delay_alu instid0(VALU_DEP_1) | instskip(NEXT) | instid1(VALU_DEP_1)
	v_mul_f32_e32 v130, v131, v129
	v_fma_f32 v132, -v126, v130, v131
	s_delay_alu instid0(VALU_DEP_1) | instskip(NEXT) | instid1(VALU_DEP_1)
	v_fmac_f32_e32 v130, v132, v129
	v_fma_f32 v126, -v126, v130, v131
	s_delay_alu instid0(VALU_DEP_1) | instskip(NEXT) | instid1(VALU_DEP_1)
	v_div_fmas_f32 v126, v126, v129, v130
	v_div_fixup_f32 v126, v126, v127, 1.0
	s_delay_alu instid0(VALU_DEP_1)
	v_mul_f32_e32 v128, v128, v126
	v_xor_b32_e32 v129, 0x80000000, v126
                                        ; implicit-def: $vgpr126_vgpr127
.LBB59_23:
	s_and_not1_saveexec_b32 s1, s1
	s_cbranch_execz .LBB59_25
; %bb.24:
	v_div_scale_f32 v128, null, v126, v126, v127
	v_div_scale_f32 v131, vcc_lo, v127, v126, v127
	s_delay_alu instid0(VALU_DEP_2) | instskip(SKIP_1) | instid1(TRANS32_DEP_1)
	v_rcp_f32_e32 v129, v128
	v_nop
	v_fma_f32 v130, -v128, v129, 1.0
	s_delay_alu instid0(VALU_DEP_1) | instskip(NEXT) | instid1(VALU_DEP_1)
	v_fmac_f32_e32 v129, v130, v129
	v_mul_f32_e32 v130, v131, v129
	s_delay_alu instid0(VALU_DEP_1) | instskip(NEXT) | instid1(VALU_DEP_1)
	v_fma_f32 v132, -v128, v130, v131
	v_fmac_f32_e32 v130, v132, v129
	s_delay_alu instid0(VALU_DEP_1) | instskip(NEXT) | instid1(VALU_DEP_1)
	v_fma_f32 v128, -v128, v130, v131
	v_div_fmas_f32 v128, v128, v129, v130
	s_delay_alu instid0(VALU_DEP_1) | instskip(NEXT) | instid1(VALU_DEP_1)
	v_div_fixup_f32 v129, v128, v126, v127
	v_fmac_f32_e32 v126, v127, v129
	s_delay_alu instid0(VALU_DEP_1) | instskip(NEXT) | instid1(VALU_DEP_1)
	v_div_scale_f32 v127, null, v126, v126, 1.0
	v_rcp_f32_e32 v128, v127
	v_nop
	s_delay_alu instid0(TRANS32_DEP_1) | instskip(NEXT) | instid1(VALU_DEP_1)
	v_fma_f32 v130, -v127, v128, 1.0
	v_fmac_f32_e32 v128, v130, v128
	v_div_scale_f32 v130, vcc_lo, 1.0, v126, 1.0
	s_delay_alu instid0(VALU_DEP_1) | instskip(NEXT) | instid1(VALU_DEP_1)
	v_mul_f32_e32 v131, v130, v128
	v_fma_f32 v132, -v127, v131, v130
	s_delay_alu instid0(VALU_DEP_1) | instskip(NEXT) | instid1(VALU_DEP_1)
	v_fmac_f32_e32 v131, v132, v128
	v_fma_f32 v127, -v127, v131, v130
	s_delay_alu instid0(VALU_DEP_1) | instskip(NEXT) | instid1(VALU_DEP_1)
	v_div_fmas_f32 v127, v127, v128, v131
	v_div_fixup_f32 v128, v127, v126, 1.0
	s_delay_alu instid0(VALU_DEP_1)
	v_mul_f32_e64 v129, v129, -v128
.LBB59_25:
	s_or_b32 exec_lo, exec_lo, s1
	ds_store_b64 v183, v[128:129]
.LBB59_26:
	s_or_b32 exec_lo, exec_lo, s2
	s_wait_dscnt 0x0
	s_barrier_signal -1
	s_barrier_wait -1
	ds_load_b64 v[126:127], v183
	s_mov_b32 s1, exec_lo
	v_cmpx_lt_u32_e32 2, v182
	s_cbranch_execz .LBB59_28
; %bb.27:
	ds_load_2addr_b64 v[132:135], v184 offset0:3 offset1:4
	s_wait_dscnt 0x1
	v_pk_mul_f32 v[130:131], v[126:127], v[46:47] op_sel:[1,1] op_sel_hi:[0,1]
	s_delay_alu instid0(VALU_DEP_1) | instskip(SKIP_1) | instid1(VALU_DEP_1)
	v_pk_fma_f32 v[128:129], v[126:127], v[46:47], v[130:131] op_sel_hi:[1,0,1] neg_lo:[0,0,1] neg_hi:[0,0,1]
	v_pk_fma_f32 v[130:131], v[126:127], v[46:47], v[130:131] op_sel_hi:[1,0,1]
	v_dual_mov_b32 v46, v128 :: v_dual_mov_b32 v47, v131
	s_wait_dscnt 0x0
	s_delay_alu instid0(VALU_DEP_2) | instskip(NEXT) | instid1(VALU_DEP_1)
	v_pk_mul_f32 v[136:137], v[132:133], v[130:131] op_sel:[0,1]
	v_pk_fma_f32 v[138:139], v[132:133], v[128:129], v[136:137] op_sel:[0,0,1] op_sel_hi:[1,1,0] neg_lo:[0,0,1] neg_hi:[0,0,1]
	v_pk_fma_f32 v[132:133], v[132:133], v[128:129], v[136:137] op_sel:[0,0,1] op_sel_hi:[1,0,0]
	s_delay_alu instid0(VALU_DEP_1) | instskip(SKIP_1) | instid1(VALU_DEP_1)
	v_mov_b32_e32 v139, v133
	v_pk_mul_f32 v[132:133], v[134:135], v[130:131] op_sel:[0,1]
	v_pk_fma_f32 v[136:137], v[134:135], v[128:129], v[132:133] op_sel:[0,0,1] op_sel_hi:[1,1,0] neg_lo:[0,0,1] neg_hi:[0,0,1]
	v_pk_fma_f32 v[132:133], v[134:135], v[128:129], v[132:133] op_sel:[0,0,1] op_sel_hi:[1,0,0]
	s_delay_alu instid0(VALU_DEP_1)
	v_mov_b32_e32 v137, v133
	ds_load_2addr_b64 v[132:135], v184 offset0:5 offset1:6
	v_pk_add_f32 v[44:45], v[44:45], v[138:139] neg_lo:[0,1] neg_hi:[0,1]
	v_pk_add_f32 v[28:29], v[28:29], v[136:137] neg_lo:[0,1] neg_hi:[0,1]
	s_wait_dscnt 0x0
	v_pk_mul_f32 v[136:137], v[132:133], v[130:131] op_sel:[0,1]
	s_delay_alu instid0(VALU_DEP_1) | instskip(SKIP_2) | instid1(VALU_DEP_2)
	v_pk_fma_f32 v[138:139], v[132:133], v[128:129], v[136:137] op_sel:[0,0,1] op_sel_hi:[1,1,0] neg_lo:[0,0,1] neg_hi:[0,0,1]
	v_pk_fma_f32 v[132:133], v[132:133], v[128:129], v[136:137] op_sel:[0,0,1] op_sel_hi:[1,0,0]
	v_dual_mul_f32 v136, v135, v131 :: v_dual_mov_b32 v132, v135
	v_dual_mov_b32 v139, v133 :: v_dual_mov_b32 v133, v134
	s_delay_alu instid0(VALU_DEP_2) | instskip(SKIP_1) | instid1(VALU_DEP_3)
	v_pk_fma_f32 v[136:137], v[134:135], v[46:47], v[136:137] op_sel_hi:[1,1,0] neg_lo:[0,0,1] neg_hi:[0,0,1]
	v_mul_f32_e32 v134, v135, v128
	v_pk_add_f32 v[24:25], v[24:25], v[138:139] neg_lo:[0,1] neg_hi:[0,1]
	s_delay_alu instid0(VALU_DEP_2) | instskip(NEXT) | instid1(VALU_DEP_1)
	v_pk_fma_f32 v[132:133], v[132:133], v[46:47], v[134:135] op_sel_hi:[1,1,0]
	v_mov_b32_e32 v137, v133
	ds_load_2addr_b64 v[132:135], v184 offset0:7 offset1:8
	v_pk_add_f32 v[26:27], v[26:27], v[136:137] neg_lo:[0,1] neg_hi:[0,1]
	s_wait_dscnt 0x0
	v_pk_mul_f32 v[136:137], v[132:133], v[130:131] op_sel:[0,1]
	s_delay_alu instid0(VALU_DEP_1) | instskip(SKIP_1) | instid1(VALU_DEP_1)
	v_pk_fma_f32 v[138:139], v[132:133], v[128:129], v[136:137] op_sel:[0,0,1] op_sel_hi:[1,1,0] neg_lo:[0,0,1] neg_hi:[0,0,1]
	v_pk_fma_f32 v[132:133], v[132:133], v[128:129], v[136:137] op_sel:[0,0,1] op_sel_hi:[1,0,0]
	v_mov_b32_e32 v139, v133
	v_pk_mul_f32 v[132:133], v[134:135], v[130:131] op_sel:[0,1]
	s_delay_alu instid0(VALU_DEP_1) | instskip(SKIP_1) | instid1(VALU_DEP_1)
	v_pk_fma_f32 v[136:137], v[134:135], v[128:129], v[132:133] op_sel:[0,0,1] op_sel_hi:[1,1,0] neg_lo:[0,0,1] neg_hi:[0,0,1]
	v_pk_fma_f32 v[132:133], v[134:135], v[128:129], v[132:133] op_sel:[0,0,1] op_sel_hi:[1,0,0]
	v_mov_b32_e32 v137, v133
	ds_load_2addr_b64 v[132:135], v184 offset0:9 offset1:10
	v_pk_add_f32 v[22:23], v[22:23], v[138:139] neg_lo:[0,1] neg_hi:[0,1]
	v_pk_add_f32 v[40:41], v[40:41], v[136:137] neg_lo:[0,1] neg_hi:[0,1]
	s_wait_dscnt 0x0
	v_pk_mul_f32 v[136:137], v[132:133], v[130:131] op_sel:[0,1]
	s_delay_alu instid0(VALU_DEP_1) | instskip(SKIP_1) | instid1(VALU_DEP_1)
	v_pk_fma_f32 v[138:139], v[132:133], v[128:129], v[136:137] op_sel:[0,0,1] op_sel_hi:[1,1,0] neg_lo:[0,0,1] neg_hi:[0,0,1]
	v_pk_fma_f32 v[132:133], v[132:133], v[128:129], v[136:137] op_sel:[0,0,1] op_sel_hi:[1,0,0]
	v_mov_b32_e32 v139, v133
	v_pk_mul_f32 v[132:133], v[134:135], v[130:131] op_sel:[0,1]
	s_delay_alu instid0(VALU_DEP_1) | instskip(SKIP_1) | instid1(VALU_DEP_1)
	v_pk_fma_f32 v[136:137], v[134:135], v[128:129], v[132:133] op_sel:[0,0,1] op_sel_hi:[1,1,0] neg_lo:[0,0,1] neg_hi:[0,0,1]
	v_pk_fma_f32 v[132:133], v[134:135], v[128:129], v[132:133] op_sel:[0,0,1] op_sel_hi:[1,0,0]
	v_mov_b32_e32 v137, v133
	ds_load_2addr_b64 v[132:135], v184 offset0:11 offset1:12
	v_pk_add_f32 v[36:37], v[36:37], v[138:139] neg_lo:[0,1] neg_hi:[0,1]
	v_pk_add_f32 v[38:39], v[38:39], v[136:137] neg_lo:[0,1] neg_hi:[0,1]
	s_wait_dscnt 0x0
	v_dual_mul_f32 v136, v133, v131 :: v_dual_mul_f32 v138, v133, v128
	s_delay_alu instid0(VALU_DEP_1) | instskip(NEXT) | instid1(VALU_DEP_2)
	v_pk_fma_f32 v[136:137], v[132:133], v[46:47], v[136:137] op_sel_hi:[1,1,0] neg_lo:[0,0,1] neg_hi:[0,0,1]
	v_pk_fma_f32 v[132:133], v[132:133], v[46:47], v[138:139] op_sel:[1,0,0] op_sel_hi:[0,1,0]
	s_delay_alu instid0(VALU_DEP_1) | instskip(SKIP_1) | instid1(VALU_DEP_2)
	v_mov_b32_e32 v137, v133
	v_pk_mul_f32 v[132:133], v[134:135], v[130:131] op_sel:[0,1]
	v_pk_add_f32 v[88:89], v[88:89], v[136:137] neg_lo:[0,1] neg_hi:[0,1]
	s_delay_alu instid0(VALU_DEP_2) | instskip(SKIP_1) | instid1(VALU_DEP_1)
	v_pk_fma_f32 v[136:137], v[134:135], v[128:129], v[132:133] op_sel:[0,0,1] op_sel_hi:[1,1,0] neg_lo:[0,0,1] neg_hi:[0,0,1]
	v_pk_fma_f32 v[132:133], v[134:135], v[128:129], v[132:133] op_sel:[0,0,1] op_sel_hi:[1,0,0]
	v_mov_b32_e32 v137, v133
	ds_load_2addr_b64 v[132:135], v184 offset0:13 offset1:14
	v_pk_add_f32 v[108:109], v[108:109], v[136:137] neg_lo:[0,1] neg_hi:[0,1]
	s_wait_dscnt 0x0
	v_pk_mul_f32 v[136:137], v[132:133], v[130:131] op_sel:[0,1]
	s_delay_alu instid0(VALU_DEP_1) | instskip(SKIP_1) | instid1(VALU_DEP_1)
	v_pk_fma_f32 v[138:139], v[132:133], v[128:129], v[136:137] op_sel:[0,0,1] op_sel_hi:[1,1,0] neg_lo:[0,0,1] neg_hi:[0,0,1]
	v_pk_fma_f32 v[132:133], v[132:133], v[128:129], v[136:137] op_sel:[0,0,1] op_sel_hi:[1,0,0]
	v_mov_b32_e32 v139, v133
	v_pk_mul_f32 v[132:133], v[134:135], v[130:131] op_sel:[0,1]
	s_delay_alu instid0(VALU_DEP_2) | instskip(NEXT) | instid1(VALU_DEP_2)
	v_pk_add_f32 v[60:61], v[60:61], v[138:139] neg_lo:[0,1] neg_hi:[0,1]
	v_pk_fma_f32 v[136:137], v[134:135], v[128:129], v[132:133] op_sel:[0,0,1] op_sel_hi:[1,1,0] neg_lo:[0,0,1] neg_hi:[0,0,1]
	v_pk_fma_f32 v[132:133], v[134:135], v[128:129], v[132:133] op_sel:[0,0,1] op_sel_hi:[1,0,0]
	s_delay_alu instid0(VALU_DEP_1) | instskip(SKIP_4) | instid1(VALU_DEP_1)
	v_mov_b32_e32 v137, v133
	ds_load_2addr_b64 v[132:135], v184 offset0:15 offset1:16
	v_pk_add_f32 v[62:63], v[62:63], v[136:137] neg_lo:[0,1] neg_hi:[0,1]
	s_wait_dscnt 0x0
	v_pk_mul_f32 v[136:137], v[132:133], v[130:131] op_sel:[0,1]
	v_pk_fma_f32 v[138:139], v[132:133], v[128:129], v[136:137] op_sel:[0,0,1] op_sel_hi:[1,1,0] neg_lo:[0,0,1] neg_hi:[0,0,1]
	v_pk_fma_f32 v[132:133], v[132:133], v[128:129], v[136:137] op_sel:[0,0,1] op_sel_hi:[1,0,0]
	v_dual_mul_f32 v136, v135, v131 :: v_dual_mov_b32 v132, v135
	s_delay_alu instid0(VALU_DEP_2) | instskip(NEXT) | instid1(VALU_DEP_2)
	v_dual_mov_b32 v139, v133 :: v_dual_mov_b32 v133, v134
	v_pk_fma_f32 v[136:137], v[134:135], v[46:47], v[136:137] op_sel_hi:[1,1,0] neg_lo:[0,0,1] neg_hi:[0,0,1]
	v_mul_f32_e32 v134, v135, v128
	s_delay_alu instid0(VALU_DEP_3) | instskip(NEXT) | instid1(VALU_DEP_2)
	v_pk_add_f32 v[58:59], v[58:59], v[138:139] neg_lo:[0,1] neg_hi:[0,1]
	v_pk_fma_f32 v[132:133], v[132:133], v[46:47], v[134:135] op_sel_hi:[1,1,0]
	s_delay_alu instid0(VALU_DEP_1) | instskip(SKIP_4) | instid1(VALU_DEP_1)
	v_mov_b32_e32 v137, v133
	ds_load_2addr_b64 v[132:135], v184 offset0:17 offset1:18
	v_pk_add_f32 v[78:79], v[78:79], v[136:137] neg_lo:[0,1] neg_hi:[0,1]
	s_wait_dscnt 0x0
	v_pk_mul_f32 v[136:137], v[132:133], v[130:131] op_sel:[0,1]
	v_pk_fma_f32 v[138:139], v[132:133], v[128:129], v[136:137] op_sel:[0,0,1] op_sel_hi:[1,1,0] neg_lo:[0,0,1] neg_hi:[0,0,1]
	v_pk_fma_f32 v[132:133], v[132:133], v[128:129], v[136:137] op_sel:[0,0,1] op_sel_hi:[1,0,0]
	s_delay_alu instid0(VALU_DEP_1) | instskip(SKIP_1) | instid1(VALU_DEP_1)
	v_mov_b32_e32 v139, v133
	v_pk_mul_f32 v[132:133], v[134:135], v[130:131] op_sel:[0,1]
	v_pk_fma_f32 v[136:137], v[134:135], v[128:129], v[132:133] op_sel:[0,0,1] op_sel_hi:[1,1,0] neg_lo:[0,0,1] neg_hi:[0,0,1]
	v_pk_fma_f32 v[132:133], v[134:135], v[128:129], v[132:133] op_sel:[0,0,1] op_sel_hi:[1,0,0]
	s_delay_alu instid0(VALU_DEP_1)
	v_mov_b32_e32 v137, v133
	ds_load_2addr_b64 v[132:135], v184 offset0:19 offset1:20
	v_pk_add_f32 v[74:75], v[74:75], v[138:139] neg_lo:[0,1] neg_hi:[0,1]
	v_pk_add_f32 v[76:77], v[76:77], v[136:137] neg_lo:[0,1] neg_hi:[0,1]
	s_wait_dscnt 0x0
	v_pk_mul_f32 v[136:137], v[132:133], v[130:131] op_sel:[0,1]
	s_delay_alu instid0(VALU_DEP_1) | instskip(SKIP_1) | instid1(VALU_DEP_1)
	v_pk_fma_f32 v[138:139], v[132:133], v[128:129], v[136:137] op_sel:[0,0,1] op_sel_hi:[1,1,0] neg_lo:[0,0,1] neg_hi:[0,0,1]
	v_pk_fma_f32 v[132:133], v[132:133], v[128:129], v[136:137] op_sel:[0,0,1] op_sel_hi:[1,0,0]
	v_mov_b32_e32 v139, v133
	v_pk_mul_f32 v[132:133], v[134:135], v[130:131] op_sel:[0,1]
	s_delay_alu instid0(VALU_DEP_1) | instskip(SKIP_1) | instid1(VALU_DEP_1)
	v_pk_fma_f32 v[136:137], v[134:135], v[128:129], v[132:133] op_sel:[0,0,1] op_sel_hi:[1,1,0] neg_lo:[0,0,1] neg_hi:[0,0,1]
	v_pk_fma_f32 v[132:133], v[134:135], v[128:129], v[132:133] op_sel:[0,0,1] op_sel_hi:[1,0,0]
	v_mov_b32_e32 v137, v133
	ds_load_2addr_b64 v[132:135], v184 offset0:21 offset1:22
	v_pk_add_f32 v[72:73], v[72:73], v[138:139] neg_lo:[0,1] neg_hi:[0,1]
	v_pk_add_f32 v[98:99], v[98:99], v[136:137] neg_lo:[0,1] neg_hi:[0,1]
	s_wait_dscnt 0x0
	v_dual_mul_f32 v136, v133, v131 :: v_dual_mul_f32 v138, v133, v128
	s_delay_alu instid0(VALU_DEP_1) | instskip(NEXT) | instid1(VALU_DEP_2)
	v_pk_fma_f32 v[136:137], v[132:133], v[46:47], v[136:137] op_sel_hi:[1,1,0] neg_lo:[0,0,1] neg_hi:[0,0,1]
	v_pk_fma_f32 v[132:133], v[132:133], v[46:47], v[138:139] op_sel:[1,0,0] op_sel_hi:[0,1,0]
	s_delay_alu instid0(VALU_DEP_1) | instskip(SKIP_1) | instid1(VALU_DEP_2)
	v_mov_b32_e32 v137, v133
	v_pk_mul_f32 v[132:133], v[134:135], v[130:131] op_sel:[0,1]
	v_pk_add_f32 v[94:95], v[94:95], v[136:137] neg_lo:[0,1] neg_hi:[0,1]
	s_delay_alu instid0(VALU_DEP_2) | instskip(SKIP_1) | instid1(VALU_DEP_1)
	v_pk_fma_f32 v[136:137], v[134:135], v[128:129], v[132:133] op_sel:[0,0,1] op_sel_hi:[1,1,0] neg_lo:[0,0,1] neg_hi:[0,0,1]
	v_pk_fma_f32 v[132:133], v[134:135], v[128:129], v[132:133] op_sel:[0,0,1] op_sel_hi:[1,0,0]
	v_mov_b32_e32 v137, v133
	ds_load_2addr_b64 v[132:135], v184 offset0:23 offset1:24
	v_pk_add_f32 v[96:97], v[96:97], v[136:137] neg_lo:[0,1] neg_hi:[0,1]
	s_wait_dscnt 0x0
	v_pk_mul_f32 v[136:137], v[132:133], v[130:131] op_sel:[0,1]
	s_delay_alu instid0(VALU_DEP_1) | instskip(SKIP_1) | instid1(VALU_DEP_1)
	v_pk_fma_f32 v[138:139], v[132:133], v[128:129], v[136:137] op_sel:[0,0,1] op_sel_hi:[1,1,0] neg_lo:[0,0,1] neg_hi:[0,0,1]
	v_pk_fma_f32 v[132:133], v[132:133], v[128:129], v[136:137] op_sel:[0,0,1] op_sel_hi:[1,0,0]
	v_mov_b32_e32 v139, v133
	v_pk_mul_f32 v[132:133], v[134:135], v[130:131] op_sel:[0,1]
	s_delay_alu instid0(VALU_DEP_2) | instskip(NEXT) | instid1(VALU_DEP_2)
	v_pk_add_f32 v[92:93], v[92:93], v[138:139] neg_lo:[0,1] neg_hi:[0,1]
	v_pk_fma_f32 v[136:137], v[134:135], v[128:129], v[132:133] op_sel:[0,0,1] op_sel_hi:[1,1,0] neg_lo:[0,0,1] neg_hi:[0,0,1]
	v_pk_fma_f32 v[132:133], v[134:135], v[128:129], v[132:133] op_sel:[0,0,1] op_sel_hi:[1,0,0]
	s_delay_alu instid0(VALU_DEP_1) | instskip(SKIP_4) | instid1(VALU_DEP_1)
	v_mov_b32_e32 v137, v133
	ds_load_2addr_b64 v[132:135], v184 offset0:25 offset1:26
	v_pk_add_f32 v[114:115], v[114:115], v[136:137] neg_lo:[0,1] neg_hi:[0,1]
	s_wait_dscnt 0x0
	v_pk_mul_f32 v[136:137], v[132:133], v[130:131] op_sel:[0,1]
	v_pk_fma_f32 v[138:139], v[132:133], v[128:129], v[136:137] op_sel:[0,0,1] op_sel_hi:[1,1,0] neg_lo:[0,0,1] neg_hi:[0,0,1]
	v_pk_fma_f32 v[132:133], v[132:133], v[128:129], v[136:137] op_sel:[0,0,1] op_sel_hi:[1,0,0]
	v_dual_mul_f32 v136, v135, v131 :: v_dual_mov_b32 v132, v135
	s_delay_alu instid0(VALU_DEP_2) | instskip(NEXT) | instid1(VALU_DEP_2)
	v_dual_mov_b32 v139, v133 :: v_dual_mov_b32 v133, v134
	v_pk_fma_f32 v[136:137], v[134:135], v[46:47], v[136:137] op_sel_hi:[1,1,0] neg_lo:[0,0,1] neg_hi:[0,0,1]
	v_mul_f32_e32 v134, v135, v128
	s_delay_alu instid0(VALU_DEP_3) | instskip(NEXT) | instid1(VALU_DEP_2)
	v_pk_add_f32 v[110:111], v[110:111], v[138:139] neg_lo:[0,1] neg_hi:[0,1]
	v_pk_fma_f32 v[132:133], v[132:133], v[46:47], v[134:135] op_sel_hi:[1,1,0]
	s_delay_alu instid0(VALU_DEP_1) | instskip(SKIP_4) | instid1(VALU_DEP_1)
	v_mov_b32_e32 v137, v133
	ds_load_2addr_b64 v[132:135], v184 offset0:27 offset1:28
	v_pk_add_f32 v[112:113], v[112:113], v[136:137] neg_lo:[0,1] neg_hi:[0,1]
	s_wait_dscnt 0x0
	v_pk_mul_f32 v[136:137], v[132:133], v[130:131] op_sel:[0,1]
	v_pk_fma_f32 v[138:139], v[132:133], v[128:129], v[136:137] op_sel:[0,0,1] op_sel_hi:[1,1,0] neg_lo:[0,0,1] neg_hi:[0,0,1]
	v_pk_fma_f32 v[132:133], v[132:133], v[128:129], v[136:137] op_sel:[0,0,1] op_sel_hi:[1,0,0]
	s_delay_alu instid0(VALU_DEP_1) | instskip(SKIP_1) | instid1(VALU_DEP_1)
	v_mov_b32_e32 v139, v133
	v_pk_mul_f32 v[132:133], v[134:135], v[130:131] op_sel:[0,1]
	v_pk_fma_f32 v[136:137], v[134:135], v[128:129], v[132:133] op_sel:[0,0,1] op_sel_hi:[1,1,0] neg_lo:[0,0,1] neg_hi:[0,0,1]
	v_pk_fma_f32 v[132:133], v[134:135], v[128:129], v[132:133] op_sel:[0,0,1] op_sel_hi:[1,0,0]
	s_delay_alu instid0(VALU_DEP_1)
	v_mov_b32_e32 v137, v133
	ds_load_b64 v[132:133], v184 offset:232
	v_pk_add_f32 v[118:119], v[118:119], v[138:139] neg_lo:[0,1] neg_hi:[0,1]
	v_pk_add_f32 v[116:117], v[116:117], v[136:137] neg_lo:[0,1] neg_hi:[0,1]
	s_wait_dscnt 0x0
	v_pk_mul_f32 v[130:131], v[132:133], v[130:131] op_sel:[0,1]
	s_delay_alu instid0(VALU_DEP_1) | instskip(SKIP_1) | instid1(VALU_DEP_1)
	v_pk_fma_f32 v[134:135], v[132:133], v[128:129], v[130:131] op_sel:[0,0,1] op_sel_hi:[1,1,0] neg_lo:[0,0,1] neg_hi:[0,0,1]
	v_pk_fma_f32 v[128:129], v[132:133], v[128:129], v[130:131] op_sel:[0,0,1] op_sel_hi:[1,0,0]
	v_mov_b32_e32 v135, v129
	s_delay_alu instid0(VALU_DEP_1)
	v_pk_add_f32 v[120:121], v[120:121], v[134:135] neg_lo:[0,1] neg_hi:[0,1]
.LBB59_28:
	s_or_b32 exec_lo, exec_lo, s1
	s_delay_alu instid0(SALU_CYCLE_1)
	s_mov_b32 s2, exec_lo
	s_wait_dscnt 0x0
	s_barrier_signal -1
	s_barrier_wait -1
	v_cmpx_eq_u32_e32 3, v182
	s_cbranch_execz .LBB59_35
; %bb.29:
	v_dual_mov_b32 v128, v28 :: v_dual_mov_b32 v129, v29
	v_dual_mov_b32 v130, v24 :: v_dual_mov_b32 v131, v25
	ds_store_b64 v183, v[44:45]
	ds_store_2addr_b64 v184, v[128:129], v[130:131] offset0:4 offset1:5
	v_dual_mov_b32 v128, v26 :: v_dual_mov_b32 v129, v27
	v_dual_mov_b32 v130, v22 :: v_dual_mov_b32 v131, v23
	ds_store_2addr_b64 v184, v[128:129], v[130:131] offset0:6 offset1:7
	v_dual_mov_b32 v128, v40 :: v_dual_mov_b32 v129, v41
	v_dual_mov_b32 v130, v36 :: v_dual_mov_b32 v131, v37
	;; [unrolled: 3-line block ×11, first 2 shown]
	ds_store_2addr_b64 v184, v[128:129], v[130:131] offset0:26 offset1:27
	v_dual_mov_b32 v128, v116 :: v_dual_mov_b32 v129, v117
	ds_store_2addr_b64 v184, v[128:129], v[120:121] offset0:28 offset1:29
	ds_load_b64 v[128:129], v183
	s_wait_dscnt 0x0
	v_cmp_neq_f32_e32 vcc_lo, 0, v128
	v_cmp_neq_f32_e64 s1, 0, v129
	s_or_b32 s1, vcc_lo, s1
	s_delay_alu instid0(SALU_CYCLE_1)
	s_and_b32 exec_lo, exec_lo, s1
	s_cbranch_execz .LBB59_35
; %bb.30:
	v_cmp_ngt_f32_e64 s1, |v128|, |v129|
                                        ; implicit-def: $vgpr130_vgpr131
	s_and_saveexec_b32 s4, s1
	s_delay_alu instid0(SALU_CYCLE_1)
	s_xor_b32 s1, exec_lo, s4
	s_cbranch_execz .LBB59_32
; %bb.31:
	v_div_scale_f32 v130, null, v129, v129, v128
	v_div_scale_f32 v133, vcc_lo, v128, v129, v128
	s_delay_alu instid0(VALU_DEP_2) | instskip(SKIP_1) | instid1(TRANS32_DEP_1)
	v_rcp_f32_e32 v131, v130
	v_nop
	v_fma_f32 v132, -v130, v131, 1.0
	s_delay_alu instid0(VALU_DEP_1) | instskip(NEXT) | instid1(VALU_DEP_1)
	v_fmac_f32_e32 v131, v132, v131
	v_mul_f32_e32 v132, v133, v131
	s_delay_alu instid0(VALU_DEP_1) | instskip(NEXT) | instid1(VALU_DEP_1)
	v_fma_f32 v134, -v130, v132, v133
	v_fmac_f32_e32 v132, v134, v131
	s_delay_alu instid0(VALU_DEP_1) | instskip(NEXT) | instid1(VALU_DEP_1)
	v_fma_f32 v130, -v130, v132, v133
	v_div_fmas_f32 v130, v130, v131, v132
	s_delay_alu instid0(VALU_DEP_1) | instskip(NEXT) | instid1(VALU_DEP_1)
	v_div_fixup_f32 v130, v130, v129, v128
	v_fmac_f32_e32 v129, v128, v130
	s_delay_alu instid0(VALU_DEP_1) | instskip(SKIP_1) | instid1(VALU_DEP_2)
	v_div_scale_f32 v128, null, v129, v129, 1.0
	v_div_scale_f32 v133, vcc_lo, 1.0, v129, 1.0
	v_rcp_f32_e32 v131, v128
	v_nop
	s_delay_alu instid0(TRANS32_DEP_1) | instskip(NEXT) | instid1(VALU_DEP_1)
	v_fma_f32 v132, -v128, v131, 1.0
	v_fmac_f32_e32 v131, v132, v131
	s_delay_alu instid0(VALU_DEP_1) | instskip(NEXT) | instid1(VALU_DEP_1)
	v_mul_f32_e32 v132, v133, v131
	v_fma_f32 v134, -v128, v132, v133
	s_delay_alu instid0(VALU_DEP_1) | instskip(NEXT) | instid1(VALU_DEP_1)
	v_fmac_f32_e32 v132, v134, v131
	v_fma_f32 v128, -v128, v132, v133
	s_delay_alu instid0(VALU_DEP_1) | instskip(NEXT) | instid1(VALU_DEP_1)
	v_div_fmas_f32 v128, v128, v131, v132
	v_div_fixup_f32 v128, v128, v129, 1.0
	s_delay_alu instid0(VALU_DEP_1)
	v_mul_f32_e32 v130, v130, v128
	v_xor_b32_e32 v131, 0x80000000, v128
                                        ; implicit-def: $vgpr128_vgpr129
.LBB59_32:
	s_and_not1_saveexec_b32 s1, s1
	s_cbranch_execz .LBB59_34
; %bb.33:
	v_div_scale_f32 v130, null, v128, v128, v129
	v_div_scale_f32 v133, vcc_lo, v129, v128, v129
	s_delay_alu instid0(VALU_DEP_2) | instskip(SKIP_1) | instid1(TRANS32_DEP_1)
	v_rcp_f32_e32 v131, v130
	v_nop
	v_fma_f32 v132, -v130, v131, 1.0
	s_delay_alu instid0(VALU_DEP_1) | instskip(NEXT) | instid1(VALU_DEP_1)
	v_fmac_f32_e32 v131, v132, v131
	v_mul_f32_e32 v132, v133, v131
	s_delay_alu instid0(VALU_DEP_1) | instskip(NEXT) | instid1(VALU_DEP_1)
	v_fma_f32 v134, -v130, v132, v133
	v_fmac_f32_e32 v132, v134, v131
	s_delay_alu instid0(VALU_DEP_1) | instskip(NEXT) | instid1(VALU_DEP_1)
	v_fma_f32 v130, -v130, v132, v133
	v_div_fmas_f32 v130, v130, v131, v132
	s_delay_alu instid0(VALU_DEP_1) | instskip(NEXT) | instid1(VALU_DEP_1)
	v_div_fixup_f32 v131, v130, v128, v129
	v_fmac_f32_e32 v128, v129, v131
	s_delay_alu instid0(VALU_DEP_1) | instskip(NEXT) | instid1(VALU_DEP_1)
	v_div_scale_f32 v129, null, v128, v128, 1.0
	v_rcp_f32_e32 v130, v129
	v_nop
	s_delay_alu instid0(TRANS32_DEP_1) | instskip(NEXT) | instid1(VALU_DEP_1)
	v_fma_f32 v132, -v129, v130, 1.0
	v_fmac_f32_e32 v130, v132, v130
	v_div_scale_f32 v132, vcc_lo, 1.0, v128, 1.0
	s_delay_alu instid0(VALU_DEP_1) | instskip(NEXT) | instid1(VALU_DEP_1)
	v_mul_f32_e32 v133, v132, v130
	v_fma_f32 v134, -v129, v133, v132
	s_delay_alu instid0(VALU_DEP_1) | instskip(NEXT) | instid1(VALU_DEP_1)
	v_fmac_f32_e32 v133, v134, v130
	v_fma_f32 v129, -v129, v133, v132
	s_delay_alu instid0(VALU_DEP_1) | instskip(NEXT) | instid1(VALU_DEP_1)
	v_div_fmas_f32 v129, v129, v130, v133
	v_div_fixup_f32 v130, v129, v128, 1.0
	s_delay_alu instid0(VALU_DEP_1)
	v_mul_f32_e64 v131, v131, -v130
.LBB59_34:
	s_or_b32 exec_lo, exec_lo, s1
	ds_store_b64 v183, v[130:131]
.LBB59_35:
	s_or_b32 exec_lo, exec_lo, s2
	s_wait_dscnt 0x0
	s_barrier_signal -1
	s_barrier_wait -1
	ds_load_b64 v[128:129], v183
	s_mov_b32 s1, exec_lo
	v_cmpx_lt_u32_e32 3, v182
	s_cbranch_execz .LBB59_37
; %bb.36:
	ds_load_2addr_b64 v[134:137], v184 offset0:4 offset1:5
	s_wait_dscnt 0x1
	v_pk_mul_f32 v[132:133], v[128:129], v[44:45] op_sel:[1,1] op_sel_hi:[0,1]
	s_delay_alu instid0(VALU_DEP_1) | instskip(SKIP_1) | instid1(VALU_DEP_1)
	v_pk_fma_f32 v[130:131], v[128:129], v[44:45], v[132:133] op_sel_hi:[1,0,1] neg_lo:[0,0,1] neg_hi:[0,0,1]
	v_pk_fma_f32 v[132:133], v[128:129], v[44:45], v[132:133] op_sel_hi:[1,0,1]
	v_dual_mov_b32 v44, v130 :: v_dual_mov_b32 v45, v133
	s_wait_dscnt 0x0
	s_delay_alu instid0(VALU_DEP_2) | instskip(NEXT) | instid1(VALU_DEP_1)
	v_pk_mul_f32 v[138:139], v[134:135], v[132:133] op_sel:[0,1]
	v_pk_fma_f32 v[140:141], v[134:135], v[130:131], v[138:139] op_sel:[0,0,1] op_sel_hi:[1,1,0] neg_lo:[0,0,1] neg_hi:[0,0,1]
	v_pk_fma_f32 v[134:135], v[134:135], v[130:131], v[138:139] op_sel:[0,0,1] op_sel_hi:[1,0,0]
	s_delay_alu instid0(VALU_DEP_1) | instskip(SKIP_1) | instid1(VALU_DEP_1)
	v_mov_b32_e32 v141, v135
	v_pk_mul_f32 v[134:135], v[136:137], v[132:133] op_sel:[0,1]
	v_pk_fma_f32 v[138:139], v[136:137], v[130:131], v[134:135] op_sel:[0,0,1] op_sel_hi:[1,1,0] neg_lo:[0,0,1] neg_hi:[0,0,1]
	v_pk_fma_f32 v[134:135], v[136:137], v[130:131], v[134:135] op_sel:[0,0,1] op_sel_hi:[1,0,0]
	s_delay_alu instid0(VALU_DEP_1)
	v_mov_b32_e32 v139, v135
	ds_load_2addr_b64 v[134:137], v184 offset0:6 offset1:7
	v_pk_add_f32 v[28:29], v[28:29], v[140:141] neg_lo:[0,1] neg_hi:[0,1]
	v_pk_add_f32 v[24:25], v[24:25], v[138:139] neg_lo:[0,1] neg_hi:[0,1]
	s_wait_dscnt 0x0
	v_pk_mul_f32 v[138:139], v[134:135], v[132:133] op_sel:[0,1]
	s_delay_alu instid0(VALU_DEP_1) | instskip(SKIP_2) | instid1(VALU_DEP_2)
	v_pk_fma_f32 v[140:141], v[134:135], v[130:131], v[138:139] op_sel:[0,0,1] op_sel_hi:[1,1,0] neg_lo:[0,0,1] neg_hi:[0,0,1]
	v_pk_fma_f32 v[134:135], v[134:135], v[130:131], v[138:139] op_sel:[0,0,1] op_sel_hi:[1,0,0]
	v_dual_mul_f32 v138, v137, v133 :: v_dual_mov_b32 v134, v137
	v_dual_mov_b32 v141, v135 :: v_dual_mov_b32 v135, v136
	s_delay_alu instid0(VALU_DEP_2) | instskip(SKIP_1) | instid1(VALU_DEP_3)
	v_pk_fma_f32 v[138:139], v[136:137], v[44:45], v[138:139] op_sel_hi:[1,1,0] neg_lo:[0,0,1] neg_hi:[0,0,1]
	v_mul_f32_e32 v136, v137, v130
	v_pk_add_f32 v[26:27], v[26:27], v[140:141] neg_lo:[0,1] neg_hi:[0,1]
	s_delay_alu instid0(VALU_DEP_2) | instskip(NEXT) | instid1(VALU_DEP_1)
	v_pk_fma_f32 v[134:135], v[134:135], v[44:45], v[136:137] op_sel_hi:[1,1,0]
	v_mov_b32_e32 v139, v135
	ds_load_2addr_b64 v[134:137], v184 offset0:8 offset1:9
	v_pk_add_f32 v[22:23], v[22:23], v[138:139] neg_lo:[0,1] neg_hi:[0,1]
	s_wait_dscnt 0x0
	v_pk_mul_f32 v[138:139], v[134:135], v[132:133] op_sel:[0,1]
	s_delay_alu instid0(VALU_DEP_1) | instskip(SKIP_1) | instid1(VALU_DEP_1)
	v_pk_fma_f32 v[140:141], v[134:135], v[130:131], v[138:139] op_sel:[0,0,1] op_sel_hi:[1,1,0] neg_lo:[0,0,1] neg_hi:[0,0,1]
	v_pk_fma_f32 v[134:135], v[134:135], v[130:131], v[138:139] op_sel:[0,0,1] op_sel_hi:[1,0,0]
	v_mov_b32_e32 v141, v135
	v_pk_mul_f32 v[134:135], v[136:137], v[132:133] op_sel:[0,1]
	s_delay_alu instid0(VALU_DEP_1) | instskip(SKIP_1) | instid1(VALU_DEP_1)
	v_pk_fma_f32 v[138:139], v[136:137], v[130:131], v[134:135] op_sel:[0,0,1] op_sel_hi:[1,1,0] neg_lo:[0,0,1] neg_hi:[0,0,1]
	v_pk_fma_f32 v[134:135], v[136:137], v[130:131], v[134:135] op_sel:[0,0,1] op_sel_hi:[1,0,0]
	v_mov_b32_e32 v139, v135
	ds_load_2addr_b64 v[134:137], v184 offset0:10 offset1:11
	v_pk_add_f32 v[40:41], v[40:41], v[140:141] neg_lo:[0,1] neg_hi:[0,1]
	v_pk_add_f32 v[36:37], v[36:37], v[138:139] neg_lo:[0,1] neg_hi:[0,1]
	s_wait_dscnt 0x0
	v_pk_mul_f32 v[138:139], v[134:135], v[132:133] op_sel:[0,1]
	s_delay_alu instid0(VALU_DEP_1) | instskip(SKIP_1) | instid1(VALU_DEP_1)
	v_pk_fma_f32 v[140:141], v[134:135], v[130:131], v[138:139] op_sel:[0,0,1] op_sel_hi:[1,1,0] neg_lo:[0,0,1] neg_hi:[0,0,1]
	v_pk_fma_f32 v[134:135], v[134:135], v[130:131], v[138:139] op_sel:[0,0,1] op_sel_hi:[1,0,0]
	v_mov_b32_e32 v141, v135
	v_pk_mul_f32 v[134:135], v[136:137], v[132:133] op_sel:[0,1]
	s_delay_alu instid0(VALU_DEP_1) | instskip(SKIP_1) | instid1(VALU_DEP_1)
	v_pk_fma_f32 v[138:139], v[136:137], v[130:131], v[134:135] op_sel:[0,0,1] op_sel_hi:[1,1,0] neg_lo:[0,0,1] neg_hi:[0,0,1]
	v_pk_fma_f32 v[134:135], v[136:137], v[130:131], v[134:135] op_sel:[0,0,1] op_sel_hi:[1,0,0]
	v_mov_b32_e32 v139, v135
	ds_load_2addr_b64 v[134:137], v184 offset0:12 offset1:13
	v_pk_add_f32 v[38:39], v[38:39], v[140:141] neg_lo:[0,1] neg_hi:[0,1]
	v_pk_add_f32 v[88:89], v[88:89], v[138:139] neg_lo:[0,1] neg_hi:[0,1]
	s_wait_dscnt 0x0
	v_dual_mul_f32 v138, v135, v133 :: v_dual_mul_f32 v140, v135, v130
	s_delay_alu instid0(VALU_DEP_1) | instskip(NEXT) | instid1(VALU_DEP_2)
	v_pk_fma_f32 v[138:139], v[134:135], v[44:45], v[138:139] op_sel_hi:[1,1,0] neg_lo:[0,0,1] neg_hi:[0,0,1]
	v_pk_fma_f32 v[134:135], v[134:135], v[44:45], v[140:141] op_sel:[1,0,0] op_sel_hi:[0,1,0]
	s_delay_alu instid0(VALU_DEP_1) | instskip(SKIP_1) | instid1(VALU_DEP_2)
	v_mov_b32_e32 v139, v135
	v_pk_mul_f32 v[134:135], v[136:137], v[132:133] op_sel:[0,1]
	v_pk_add_f32 v[108:109], v[108:109], v[138:139] neg_lo:[0,1] neg_hi:[0,1]
	s_delay_alu instid0(VALU_DEP_2) | instskip(SKIP_1) | instid1(VALU_DEP_1)
	v_pk_fma_f32 v[138:139], v[136:137], v[130:131], v[134:135] op_sel:[0,0,1] op_sel_hi:[1,1,0] neg_lo:[0,0,1] neg_hi:[0,0,1]
	v_pk_fma_f32 v[134:135], v[136:137], v[130:131], v[134:135] op_sel:[0,0,1] op_sel_hi:[1,0,0]
	v_mov_b32_e32 v139, v135
	ds_load_2addr_b64 v[134:137], v184 offset0:14 offset1:15
	v_pk_add_f32 v[60:61], v[60:61], v[138:139] neg_lo:[0,1] neg_hi:[0,1]
	s_wait_dscnt 0x0
	v_pk_mul_f32 v[138:139], v[134:135], v[132:133] op_sel:[0,1]
	s_delay_alu instid0(VALU_DEP_1) | instskip(SKIP_1) | instid1(VALU_DEP_1)
	v_pk_fma_f32 v[140:141], v[134:135], v[130:131], v[138:139] op_sel:[0,0,1] op_sel_hi:[1,1,0] neg_lo:[0,0,1] neg_hi:[0,0,1]
	v_pk_fma_f32 v[134:135], v[134:135], v[130:131], v[138:139] op_sel:[0,0,1] op_sel_hi:[1,0,0]
	v_mov_b32_e32 v141, v135
	v_pk_mul_f32 v[134:135], v[136:137], v[132:133] op_sel:[0,1]
	s_delay_alu instid0(VALU_DEP_2) | instskip(NEXT) | instid1(VALU_DEP_2)
	v_pk_add_f32 v[62:63], v[62:63], v[140:141] neg_lo:[0,1] neg_hi:[0,1]
	v_pk_fma_f32 v[138:139], v[136:137], v[130:131], v[134:135] op_sel:[0,0,1] op_sel_hi:[1,1,0] neg_lo:[0,0,1] neg_hi:[0,0,1]
	v_pk_fma_f32 v[134:135], v[136:137], v[130:131], v[134:135] op_sel:[0,0,1] op_sel_hi:[1,0,0]
	s_delay_alu instid0(VALU_DEP_1) | instskip(SKIP_4) | instid1(VALU_DEP_1)
	v_mov_b32_e32 v139, v135
	ds_load_2addr_b64 v[134:137], v184 offset0:16 offset1:17
	v_pk_add_f32 v[58:59], v[58:59], v[138:139] neg_lo:[0,1] neg_hi:[0,1]
	s_wait_dscnt 0x0
	v_pk_mul_f32 v[138:139], v[134:135], v[132:133] op_sel:[0,1]
	v_pk_fma_f32 v[140:141], v[134:135], v[130:131], v[138:139] op_sel:[0,0,1] op_sel_hi:[1,1,0] neg_lo:[0,0,1] neg_hi:[0,0,1]
	v_pk_fma_f32 v[134:135], v[134:135], v[130:131], v[138:139] op_sel:[0,0,1] op_sel_hi:[1,0,0]
	v_dual_mul_f32 v138, v137, v133 :: v_dual_mov_b32 v134, v137
	s_delay_alu instid0(VALU_DEP_2) | instskip(NEXT) | instid1(VALU_DEP_2)
	v_dual_mov_b32 v141, v135 :: v_dual_mov_b32 v135, v136
	v_pk_fma_f32 v[138:139], v[136:137], v[44:45], v[138:139] op_sel_hi:[1,1,0] neg_lo:[0,0,1] neg_hi:[0,0,1]
	v_mul_f32_e32 v136, v137, v130
	s_delay_alu instid0(VALU_DEP_3) | instskip(NEXT) | instid1(VALU_DEP_2)
	v_pk_add_f32 v[78:79], v[78:79], v[140:141] neg_lo:[0,1] neg_hi:[0,1]
	v_pk_fma_f32 v[134:135], v[134:135], v[44:45], v[136:137] op_sel_hi:[1,1,0]
	s_delay_alu instid0(VALU_DEP_1) | instskip(SKIP_4) | instid1(VALU_DEP_1)
	v_mov_b32_e32 v139, v135
	ds_load_2addr_b64 v[134:137], v184 offset0:18 offset1:19
	v_pk_add_f32 v[74:75], v[74:75], v[138:139] neg_lo:[0,1] neg_hi:[0,1]
	s_wait_dscnt 0x0
	v_pk_mul_f32 v[138:139], v[134:135], v[132:133] op_sel:[0,1]
	v_pk_fma_f32 v[140:141], v[134:135], v[130:131], v[138:139] op_sel:[0,0,1] op_sel_hi:[1,1,0] neg_lo:[0,0,1] neg_hi:[0,0,1]
	v_pk_fma_f32 v[134:135], v[134:135], v[130:131], v[138:139] op_sel:[0,0,1] op_sel_hi:[1,0,0]
	s_delay_alu instid0(VALU_DEP_1) | instskip(SKIP_1) | instid1(VALU_DEP_1)
	v_mov_b32_e32 v141, v135
	v_pk_mul_f32 v[134:135], v[136:137], v[132:133] op_sel:[0,1]
	v_pk_fma_f32 v[138:139], v[136:137], v[130:131], v[134:135] op_sel:[0,0,1] op_sel_hi:[1,1,0] neg_lo:[0,0,1] neg_hi:[0,0,1]
	v_pk_fma_f32 v[134:135], v[136:137], v[130:131], v[134:135] op_sel:[0,0,1] op_sel_hi:[1,0,0]
	s_delay_alu instid0(VALU_DEP_1)
	v_mov_b32_e32 v139, v135
	ds_load_2addr_b64 v[134:137], v184 offset0:20 offset1:21
	v_pk_add_f32 v[76:77], v[76:77], v[140:141] neg_lo:[0,1] neg_hi:[0,1]
	v_pk_add_f32 v[72:73], v[72:73], v[138:139] neg_lo:[0,1] neg_hi:[0,1]
	s_wait_dscnt 0x0
	v_pk_mul_f32 v[138:139], v[134:135], v[132:133] op_sel:[0,1]
	s_delay_alu instid0(VALU_DEP_1) | instskip(SKIP_1) | instid1(VALU_DEP_1)
	v_pk_fma_f32 v[140:141], v[134:135], v[130:131], v[138:139] op_sel:[0,0,1] op_sel_hi:[1,1,0] neg_lo:[0,0,1] neg_hi:[0,0,1]
	v_pk_fma_f32 v[134:135], v[134:135], v[130:131], v[138:139] op_sel:[0,0,1] op_sel_hi:[1,0,0]
	v_mov_b32_e32 v141, v135
	v_pk_mul_f32 v[134:135], v[136:137], v[132:133] op_sel:[0,1]
	s_delay_alu instid0(VALU_DEP_1) | instskip(SKIP_1) | instid1(VALU_DEP_1)
	v_pk_fma_f32 v[138:139], v[136:137], v[130:131], v[134:135] op_sel:[0,0,1] op_sel_hi:[1,1,0] neg_lo:[0,0,1] neg_hi:[0,0,1]
	v_pk_fma_f32 v[134:135], v[136:137], v[130:131], v[134:135] op_sel:[0,0,1] op_sel_hi:[1,0,0]
	v_mov_b32_e32 v139, v135
	ds_load_2addr_b64 v[134:137], v184 offset0:22 offset1:23
	v_pk_add_f32 v[98:99], v[98:99], v[140:141] neg_lo:[0,1] neg_hi:[0,1]
	v_pk_add_f32 v[94:95], v[94:95], v[138:139] neg_lo:[0,1] neg_hi:[0,1]
	s_wait_dscnt 0x0
	v_dual_mul_f32 v138, v135, v133 :: v_dual_mul_f32 v140, v135, v130
	s_delay_alu instid0(VALU_DEP_1) | instskip(NEXT) | instid1(VALU_DEP_2)
	v_pk_fma_f32 v[138:139], v[134:135], v[44:45], v[138:139] op_sel_hi:[1,1,0] neg_lo:[0,0,1] neg_hi:[0,0,1]
	v_pk_fma_f32 v[134:135], v[134:135], v[44:45], v[140:141] op_sel:[1,0,0] op_sel_hi:[0,1,0]
	s_delay_alu instid0(VALU_DEP_1) | instskip(SKIP_1) | instid1(VALU_DEP_2)
	v_mov_b32_e32 v139, v135
	v_pk_mul_f32 v[134:135], v[136:137], v[132:133] op_sel:[0,1]
	v_pk_add_f32 v[96:97], v[96:97], v[138:139] neg_lo:[0,1] neg_hi:[0,1]
	s_delay_alu instid0(VALU_DEP_2) | instskip(SKIP_1) | instid1(VALU_DEP_1)
	v_pk_fma_f32 v[138:139], v[136:137], v[130:131], v[134:135] op_sel:[0,0,1] op_sel_hi:[1,1,0] neg_lo:[0,0,1] neg_hi:[0,0,1]
	v_pk_fma_f32 v[134:135], v[136:137], v[130:131], v[134:135] op_sel:[0,0,1] op_sel_hi:[1,0,0]
	v_mov_b32_e32 v139, v135
	ds_load_2addr_b64 v[134:137], v184 offset0:24 offset1:25
	v_pk_add_f32 v[92:93], v[92:93], v[138:139] neg_lo:[0,1] neg_hi:[0,1]
	s_wait_dscnt 0x0
	v_pk_mul_f32 v[138:139], v[134:135], v[132:133] op_sel:[0,1]
	s_delay_alu instid0(VALU_DEP_1) | instskip(SKIP_1) | instid1(VALU_DEP_1)
	v_pk_fma_f32 v[140:141], v[134:135], v[130:131], v[138:139] op_sel:[0,0,1] op_sel_hi:[1,1,0] neg_lo:[0,0,1] neg_hi:[0,0,1]
	v_pk_fma_f32 v[134:135], v[134:135], v[130:131], v[138:139] op_sel:[0,0,1] op_sel_hi:[1,0,0]
	v_mov_b32_e32 v141, v135
	v_pk_mul_f32 v[134:135], v[136:137], v[132:133] op_sel:[0,1]
	s_delay_alu instid0(VALU_DEP_2) | instskip(NEXT) | instid1(VALU_DEP_2)
	v_pk_add_f32 v[114:115], v[114:115], v[140:141] neg_lo:[0,1] neg_hi:[0,1]
	v_pk_fma_f32 v[138:139], v[136:137], v[130:131], v[134:135] op_sel:[0,0,1] op_sel_hi:[1,1,0] neg_lo:[0,0,1] neg_hi:[0,0,1]
	v_pk_fma_f32 v[134:135], v[136:137], v[130:131], v[134:135] op_sel:[0,0,1] op_sel_hi:[1,0,0]
	s_delay_alu instid0(VALU_DEP_1) | instskip(SKIP_4) | instid1(VALU_DEP_1)
	v_mov_b32_e32 v139, v135
	ds_load_2addr_b64 v[134:137], v184 offset0:26 offset1:27
	v_pk_add_f32 v[110:111], v[110:111], v[138:139] neg_lo:[0,1] neg_hi:[0,1]
	s_wait_dscnt 0x0
	v_pk_mul_f32 v[138:139], v[134:135], v[132:133] op_sel:[0,1]
	v_pk_fma_f32 v[140:141], v[134:135], v[130:131], v[138:139] op_sel:[0,0,1] op_sel_hi:[1,1,0] neg_lo:[0,0,1] neg_hi:[0,0,1]
	v_pk_fma_f32 v[134:135], v[134:135], v[130:131], v[138:139] op_sel:[0,0,1] op_sel_hi:[1,0,0]
	v_dual_mul_f32 v138, v137, v133 :: v_dual_mov_b32 v134, v137
	s_delay_alu instid0(VALU_DEP_2) | instskip(NEXT) | instid1(VALU_DEP_2)
	v_dual_mov_b32 v141, v135 :: v_dual_mov_b32 v135, v136
	v_pk_fma_f32 v[138:139], v[136:137], v[44:45], v[138:139] op_sel_hi:[1,1,0] neg_lo:[0,0,1] neg_hi:[0,0,1]
	v_mul_f32_e32 v136, v137, v130
	s_delay_alu instid0(VALU_DEP_3) | instskip(NEXT) | instid1(VALU_DEP_2)
	v_pk_add_f32 v[112:113], v[112:113], v[140:141] neg_lo:[0,1] neg_hi:[0,1]
	v_pk_fma_f32 v[134:135], v[134:135], v[44:45], v[136:137] op_sel_hi:[1,1,0]
	s_delay_alu instid0(VALU_DEP_1)
	v_mov_b32_e32 v139, v135
	ds_load_2addr_b64 v[134:137], v184 offset0:28 offset1:29
	v_pk_add_f32 v[118:119], v[118:119], v[138:139] neg_lo:[0,1] neg_hi:[0,1]
	s_wait_dscnt 0x0
	v_pk_mul_f32 v[138:139], v[134:135], v[132:133] op_sel:[0,1]
	v_pk_mul_f32 v[132:133], v[136:137], v[132:133] op_sel:[0,1]
	s_delay_alu instid0(VALU_DEP_2) | instskip(SKIP_1) | instid1(VALU_DEP_1)
	v_pk_fma_f32 v[140:141], v[134:135], v[130:131], v[138:139] op_sel:[0,0,1] op_sel_hi:[1,1,0] neg_lo:[0,0,1] neg_hi:[0,0,1]
	v_pk_fma_f32 v[134:135], v[134:135], v[130:131], v[138:139] op_sel:[0,0,1] op_sel_hi:[1,0,0]
	v_mov_b32_e32 v141, v135
	s_delay_alu instid0(VALU_DEP_4) | instskip(SKIP_1) | instid1(VALU_DEP_1)
	v_pk_fma_f32 v[134:135], v[136:137], v[130:131], v[132:133] op_sel:[0,0,1] op_sel_hi:[1,1,0] neg_lo:[0,0,1] neg_hi:[0,0,1]
	v_pk_fma_f32 v[130:131], v[136:137], v[130:131], v[132:133] op_sel:[0,0,1] op_sel_hi:[1,0,0]
	v_mov_b32_e32 v135, v131
	s_delay_alu instid0(VALU_DEP_4) | instskip(NEXT) | instid1(VALU_DEP_2)
	v_pk_add_f32 v[116:117], v[116:117], v[140:141] neg_lo:[0,1] neg_hi:[0,1]
	v_pk_add_f32 v[120:121], v[120:121], v[134:135] neg_lo:[0,1] neg_hi:[0,1]
.LBB59_37:
	s_or_b32 exec_lo, exec_lo, s1
	s_delay_alu instid0(SALU_CYCLE_1)
	s_mov_b32 s2, exec_lo
	s_wait_dscnt 0x0
	s_barrier_signal -1
	s_barrier_wait -1
	v_cmpx_eq_u32_e32 4, v182
	s_cbranch_execz .LBB59_44
; %bb.38:
	ds_store_b64 v183, v[28:29]
	ds_store_2addr_b64 v184, v[24:25], v[26:27] offset0:5 offset1:6
	ds_store_2addr_b64 v184, v[22:23], v[40:41] offset0:7 offset1:8
	;; [unrolled: 1-line block ×12, first 2 shown]
	ds_store_b64 v184, v[120:121] offset:232
	ds_load_b64 v[130:131], v183
	s_wait_dscnt 0x0
	v_cmp_neq_f32_e32 vcc_lo, 0, v130
	v_cmp_neq_f32_e64 s1, 0, v131
	s_or_b32 s1, vcc_lo, s1
	s_delay_alu instid0(SALU_CYCLE_1)
	s_and_b32 exec_lo, exec_lo, s1
	s_cbranch_execz .LBB59_44
; %bb.39:
	v_cmp_ngt_f32_e64 s1, |v130|, |v131|
                                        ; implicit-def: $vgpr132_vgpr133
	s_and_saveexec_b32 s4, s1
	s_delay_alu instid0(SALU_CYCLE_1)
	s_xor_b32 s1, exec_lo, s4
	s_cbranch_execz .LBB59_41
; %bb.40:
	v_div_scale_f32 v132, null, v131, v131, v130
	v_div_scale_f32 v135, vcc_lo, v130, v131, v130
	s_delay_alu instid0(VALU_DEP_2) | instskip(SKIP_1) | instid1(TRANS32_DEP_1)
	v_rcp_f32_e32 v133, v132
	v_nop
	v_fma_f32 v134, -v132, v133, 1.0
	s_delay_alu instid0(VALU_DEP_1) | instskip(NEXT) | instid1(VALU_DEP_1)
	v_fmac_f32_e32 v133, v134, v133
	v_mul_f32_e32 v134, v135, v133
	s_delay_alu instid0(VALU_DEP_1) | instskip(NEXT) | instid1(VALU_DEP_1)
	v_fma_f32 v136, -v132, v134, v135
	v_fmac_f32_e32 v134, v136, v133
	s_delay_alu instid0(VALU_DEP_1) | instskip(NEXT) | instid1(VALU_DEP_1)
	v_fma_f32 v132, -v132, v134, v135
	v_div_fmas_f32 v132, v132, v133, v134
	s_delay_alu instid0(VALU_DEP_1) | instskip(NEXT) | instid1(VALU_DEP_1)
	v_div_fixup_f32 v132, v132, v131, v130
	v_fmac_f32_e32 v131, v130, v132
	s_delay_alu instid0(VALU_DEP_1) | instskip(SKIP_1) | instid1(VALU_DEP_2)
	v_div_scale_f32 v130, null, v131, v131, 1.0
	v_div_scale_f32 v135, vcc_lo, 1.0, v131, 1.0
	v_rcp_f32_e32 v133, v130
	v_nop
	s_delay_alu instid0(TRANS32_DEP_1) | instskip(NEXT) | instid1(VALU_DEP_1)
	v_fma_f32 v134, -v130, v133, 1.0
	v_fmac_f32_e32 v133, v134, v133
	s_delay_alu instid0(VALU_DEP_1) | instskip(NEXT) | instid1(VALU_DEP_1)
	v_mul_f32_e32 v134, v135, v133
	v_fma_f32 v136, -v130, v134, v135
	s_delay_alu instid0(VALU_DEP_1) | instskip(NEXT) | instid1(VALU_DEP_1)
	v_fmac_f32_e32 v134, v136, v133
	v_fma_f32 v130, -v130, v134, v135
	s_delay_alu instid0(VALU_DEP_1) | instskip(NEXT) | instid1(VALU_DEP_1)
	v_div_fmas_f32 v130, v130, v133, v134
	v_div_fixup_f32 v130, v130, v131, 1.0
	s_delay_alu instid0(VALU_DEP_1)
	v_mul_f32_e32 v132, v132, v130
	v_xor_b32_e32 v133, 0x80000000, v130
                                        ; implicit-def: $vgpr130_vgpr131
.LBB59_41:
	s_and_not1_saveexec_b32 s1, s1
	s_cbranch_execz .LBB59_43
; %bb.42:
	v_div_scale_f32 v132, null, v130, v130, v131
	v_div_scale_f32 v135, vcc_lo, v131, v130, v131
	s_delay_alu instid0(VALU_DEP_2) | instskip(SKIP_1) | instid1(TRANS32_DEP_1)
	v_rcp_f32_e32 v133, v132
	v_nop
	v_fma_f32 v134, -v132, v133, 1.0
	s_delay_alu instid0(VALU_DEP_1) | instskip(NEXT) | instid1(VALU_DEP_1)
	v_fmac_f32_e32 v133, v134, v133
	v_mul_f32_e32 v134, v135, v133
	s_delay_alu instid0(VALU_DEP_1) | instskip(NEXT) | instid1(VALU_DEP_1)
	v_fma_f32 v136, -v132, v134, v135
	v_fmac_f32_e32 v134, v136, v133
	s_delay_alu instid0(VALU_DEP_1) | instskip(NEXT) | instid1(VALU_DEP_1)
	v_fma_f32 v132, -v132, v134, v135
	v_div_fmas_f32 v132, v132, v133, v134
	s_delay_alu instid0(VALU_DEP_1) | instskip(NEXT) | instid1(VALU_DEP_1)
	v_div_fixup_f32 v133, v132, v130, v131
	v_fmac_f32_e32 v130, v131, v133
	s_delay_alu instid0(VALU_DEP_1) | instskip(NEXT) | instid1(VALU_DEP_1)
	v_div_scale_f32 v131, null, v130, v130, 1.0
	v_rcp_f32_e32 v132, v131
	v_nop
	s_delay_alu instid0(TRANS32_DEP_1) | instskip(NEXT) | instid1(VALU_DEP_1)
	v_fma_f32 v134, -v131, v132, 1.0
	v_fmac_f32_e32 v132, v134, v132
	v_div_scale_f32 v134, vcc_lo, 1.0, v130, 1.0
	s_delay_alu instid0(VALU_DEP_1) | instskip(NEXT) | instid1(VALU_DEP_1)
	v_mul_f32_e32 v135, v134, v132
	v_fma_f32 v136, -v131, v135, v134
	s_delay_alu instid0(VALU_DEP_1) | instskip(NEXT) | instid1(VALU_DEP_1)
	v_fmac_f32_e32 v135, v136, v132
	v_fma_f32 v131, -v131, v135, v134
	s_delay_alu instid0(VALU_DEP_1) | instskip(NEXT) | instid1(VALU_DEP_1)
	v_div_fmas_f32 v131, v131, v132, v135
	v_div_fixup_f32 v132, v131, v130, 1.0
	s_delay_alu instid0(VALU_DEP_1)
	v_mul_f32_e64 v133, v133, -v132
.LBB59_43:
	s_or_b32 exec_lo, exec_lo, s1
	ds_store_b64 v183, v[132:133]
.LBB59_44:
	s_or_b32 exec_lo, exec_lo, s2
	s_wait_dscnt 0x0
	s_barrier_signal -1
	s_barrier_wait -1
	ds_load_b64 v[130:131], v183
	s_mov_b32 s1, exec_lo
	v_cmpx_lt_u32_e32 4, v182
	s_cbranch_execz .LBB59_46
; %bb.45:
	ds_load_2addr_b64 v[136:139], v184 offset0:5 offset1:6
	s_wait_dscnt 0x1
	v_pk_mul_f32 v[134:135], v[130:131], v[28:29] op_sel:[1,1] op_sel_hi:[0,1]
	s_delay_alu instid0(VALU_DEP_1) | instskip(SKIP_1) | instid1(VALU_DEP_1)
	v_pk_fma_f32 v[132:133], v[130:131], v[28:29], v[134:135] op_sel_hi:[1,0,1] neg_lo:[0,0,1] neg_hi:[0,0,1]
	v_pk_fma_f32 v[134:135], v[130:131], v[28:29], v[134:135] op_sel_hi:[1,0,1]
	v_dual_mov_b32 v28, v132 :: v_dual_mov_b32 v29, v135
	s_wait_dscnt 0x0
	s_delay_alu instid0(VALU_DEP_2) | instskip(NEXT) | instid1(VALU_DEP_1)
	v_pk_mul_f32 v[140:141], v[136:137], v[134:135] op_sel:[0,1]
	v_pk_fma_f32 v[142:143], v[136:137], v[132:133], v[140:141] op_sel:[0,0,1] op_sel_hi:[1,1,0] neg_lo:[0,0,1] neg_hi:[0,0,1]
	v_pk_fma_f32 v[136:137], v[136:137], v[132:133], v[140:141] op_sel:[0,0,1] op_sel_hi:[1,0,0]
	s_delay_alu instid0(VALU_DEP_1) | instskip(SKIP_1) | instid1(VALU_DEP_1)
	v_mov_b32_e32 v143, v137
	v_pk_mul_f32 v[136:137], v[138:139], v[134:135] op_sel:[0,1]
	v_pk_fma_f32 v[140:141], v[138:139], v[132:133], v[136:137] op_sel:[0,0,1] op_sel_hi:[1,1,0] neg_lo:[0,0,1] neg_hi:[0,0,1]
	v_pk_fma_f32 v[136:137], v[138:139], v[132:133], v[136:137] op_sel:[0,0,1] op_sel_hi:[1,0,0]
	s_delay_alu instid0(VALU_DEP_1)
	v_mov_b32_e32 v141, v137
	ds_load_2addr_b64 v[136:139], v184 offset0:7 offset1:8
	v_pk_add_f32 v[24:25], v[24:25], v[142:143] neg_lo:[0,1] neg_hi:[0,1]
	v_pk_add_f32 v[26:27], v[26:27], v[140:141] neg_lo:[0,1] neg_hi:[0,1]
	s_wait_dscnt 0x0
	v_pk_mul_f32 v[140:141], v[136:137], v[134:135] op_sel:[0,1]
	s_delay_alu instid0(VALU_DEP_1) | instskip(SKIP_2) | instid1(VALU_DEP_2)
	v_pk_fma_f32 v[142:143], v[136:137], v[132:133], v[140:141] op_sel:[0,0,1] op_sel_hi:[1,1,0] neg_lo:[0,0,1] neg_hi:[0,0,1]
	v_pk_fma_f32 v[136:137], v[136:137], v[132:133], v[140:141] op_sel:[0,0,1] op_sel_hi:[1,0,0]
	v_dual_mul_f32 v140, v139, v135 :: v_dual_mov_b32 v136, v139
	v_dual_mov_b32 v143, v137 :: v_dual_mov_b32 v137, v138
	s_delay_alu instid0(VALU_DEP_2) | instskip(SKIP_1) | instid1(VALU_DEP_3)
	v_pk_fma_f32 v[140:141], v[138:139], v[28:29], v[140:141] op_sel_hi:[1,1,0] neg_lo:[0,0,1] neg_hi:[0,0,1]
	v_mul_f32_e32 v138, v139, v132
	v_pk_add_f32 v[22:23], v[22:23], v[142:143] neg_lo:[0,1] neg_hi:[0,1]
	s_delay_alu instid0(VALU_DEP_2) | instskip(NEXT) | instid1(VALU_DEP_1)
	v_pk_fma_f32 v[136:137], v[136:137], v[28:29], v[138:139] op_sel_hi:[1,1,0]
	v_mov_b32_e32 v141, v137
	ds_load_2addr_b64 v[136:139], v184 offset0:9 offset1:10
	v_pk_add_f32 v[40:41], v[40:41], v[140:141] neg_lo:[0,1] neg_hi:[0,1]
	s_wait_dscnt 0x0
	v_pk_mul_f32 v[140:141], v[136:137], v[134:135] op_sel:[0,1]
	s_delay_alu instid0(VALU_DEP_1) | instskip(SKIP_1) | instid1(VALU_DEP_1)
	v_pk_fma_f32 v[142:143], v[136:137], v[132:133], v[140:141] op_sel:[0,0,1] op_sel_hi:[1,1,0] neg_lo:[0,0,1] neg_hi:[0,0,1]
	v_pk_fma_f32 v[136:137], v[136:137], v[132:133], v[140:141] op_sel:[0,0,1] op_sel_hi:[1,0,0]
	v_mov_b32_e32 v143, v137
	v_pk_mul_f32 v[136:137], v[138:139], v[134:135] op_sel:[0,1]
	s_delay_alu instid0(VALU_DEP_1) | instskip(SKIP_1) | instid1(VALU_DEP_1)
	v_pk_fma_f32 v[140:141], v[138:139], v[132:133], v[136:137] op_sel:[0,0,1] op_sel_hi:[1,1,0] neg_lo:[0,0,1] neg_hi:[0,0,1]
	v_pk_fma_f32 v[136:137], v[138:139], v[132:133], v[136:137] op_sel:[0,0,1] op_sel_hi:[1,0,0]
	v_mov_b32_e32 v141, v137
	ds_load_2addr_b64 v[136:139], v184 offset0:11 offset1:12
	v_pk_add_f32 v[36:37], v[36:37], v[142:143] neg_lo:[0,1] neg_hi:[0,1]
	v_pk_add_f32 v[38:39], v[38:39], v[140:141] neg_lo:[0,1] neg_hi:[0,1]
	s_wait_dscnt 0x0
	v_pk_mul_f32 v[140:141], v[136:137], v[134:135] op_sel:[0,1]
	s_delay_alu instid0(VALU_DEP_1) | instskip(SKIP_1) | instid1(VALU_DEP_1)
	v_pk_fma_f32 v[142:143], v[136:137], v[132:133], v[140:141] op_sel:[0,0,1] op_sel_hi:[1,1,0] neg_lo:[0,0,1] neg_hi:[0,0,1]
	v_pk_fma_f32 v[136:137], v[136:137], v[132:133], v[140:141] op_sel:[0,0,1] op_sel_hi:[1,0,0]
	v_mov_b32_e32 v143, v137
	v_pk_mul_f32 v[136:137], v[138:139], v[134:135] op_sel:[0,1]
	s_delay_alu instid0(VALU_DEP_1) | instskip(SKIP_1) | instid1(VALU_DEP_1)
	v_pk_fma_f32 v[140:141], v[138:139], v[132:133], v[136:137] op_sel:[0,0,1] op_sel_hi:[1,1,0] neg_lo:[0,0,1] neg_hi:[0,0,1]
	v_pk_fma_f32 v[136:137], v[138:139], v[132:133], v[136:137] op_sel:[0,0,1] op_sel_hi:[1,0,0]
	v_mov_b32_e32 v141, v137
	ds_load_2addr_b64 v[136:139], v184 offset0:13 offset1:14
	v_pk_add_f32 v[88:89], v[88:89], v[142:143] neg_lo:[0,1] neg_hi:[0,1]
	v_pk_add_f32 v[108:109], v[108:109], v[140:141] neg_lo:[0,1] neg_hi:[0,1]
	s_wait_dscnt 0x0
	v_dual_mul_f32 v140, v137, v135 :: v_dual_mul_f32 v142, v137, v132
	s_delay_alu instid0(VALU_DEP_1) | instskip(NEXT) | instid1(VALU_DEP_2)
	v_pk_fma_f32 v[140:141], v[136:137], v[28:29], v[140:141] op_sel_hi:[1,1,0] neg_lo:[0,0,1] neg_hi:[0,0,1]
	v_pk_fma_f32 v[136:137], v[136:137], v[28:29], v[142:143] op_sel:[1,0,0] op_sel_hi:[0,1,0]
	s_delay_alu instid0(VALU_DEP_1) | instskip(SKIP_1) | instid1(VALU_DEP_2)
	v_mov_b32_e32 v141, v137
	v_pk_mul_f32 v[136:137], v[138:139], v[134:135] op_sel:[0,1]
	v_pk_add_f32 v[60:61], v[60:61], v[140:141] neg_lo:[0,1] neg_hi:[0,1]
	s_delay_alu instid0(VALU_DEP_2) | instskip(SKIP_1) | instid1(VALU_DEP_1)
	v_pk_fma_f32 v[140:141], v[138:139], v[132:133], v[136:137] op_sel:[0,0,1] op_sel_hi:[1,1,0] neg_lo:[0,0,1] neg_hi:[0,0,1]
	v_pk_fma_f32 v[136:137], v[138:139], v[132:133], v[136:137] op_sel:[0,0,1] op_sel_hi:[1,0,0]
	v_mov_b32_e32 v141, v137
	ds_load_2addr_b64 v[136:139], v184 offset0:15 offset1:16
	v_pk_add_f32 v[62:63], v[62:63], v[140:141] neg_lo:[0,1] neg_hi:[0,1]
	s_wait_dscnt 0x0
	v_pk_mul_f32 v[140:141], v[136:137], v[134:135] op_sel:[0,1]
	s_delay_alu instid0(VALU_DEP_1) | instskip(SKIP_1) | instid1(VALU_DEP_1)
	v_pk_fma_f32 v[142:143], v[136:137], v[132:133], v[140:141] op_sel:[0,0,1] op_sel_hi:[1,1,0] neg_lo:[0,0,1] neg_hi:[0,0,1]
	v_pk_fma_f32 v[136:137], v[136:137], v[132:133], v[140:141] op_sel:[0,0,1] op_sel_hi:[1,0,0]
	v_mov_b32_e32 v143, v137
	v_pk_mul_f32 v[136:137], v[138:139], v[134:135] op_sel:[0,1]
	s_delay_alu instid0(VALU_DEP_2) | instskip(NEXT) | instid1(VALU_DEP_2)
	v_pk_add_f32 v[58:59], v[58:59], v[142:143] neg_lo:[0,1] neg_hi:[0,1]
	v_pk_fma_f32 v[140:141], v[138:139], v[132:133], v[136:137] op_sel:[0,0,1] op_sel_hi:[1,1,0] neg_lo:[0,0,1] neg_hi:[0,0,1]
	v_pk_fma_f32 v[136:137], v[138:139], v[132:133], v[136:137] op_sel:[0,0,1] op_sel_hi:[1,0,0]
	s_delay_alu instid0(VALU_DEP_1) | instskip(SKIP_4) | instid1(VALU_DEP_1)
	v_mov_b32_e32 v141, v137
	ds_load_2addr_b64 v[136:139], v184 offset0:17 offset1:18
	v_pk_add_f32 v[78:79], v[78:79], v[140:141] neg_lo:[0,1] neg_hi:[0,1]
	s_wait_dscnt 0x0
	v_pk_mul_f32 v[140:141], v[136:137], v[134:135] op_sel:[0,1]
	v_pk_fma_f32 v[142:143], v[136:137], v[132:133], v[140:141] op_sel:[0,0,1] op_sel_hi:[1,1,0] neg_lo:[0,0,1] neg_hi:[0,0,1]
	v_pk_fma_f32 v[136:137], v[136:137], v[132:133], v[140:141] op_sel:[0,0,1] op_sel_hi:[1,0,0]
	v_dual_mul_f32 v140, v139, v135 :: v_dual_mov_b32 v136, v139
	s_delay_alu instid0(VALU_DEP_2) | instskip(NEXT) | instid1(VALU_DEP_2)
	v_dual_mov_b32 v143, v137 :: v_dual_mov_b32 v137, v138
	v_pk_fma_f32 v[140:141], v[138:139], v[28:29], v[140:141] op_sel_hi:[1,1,0] neg_lo:[0,0,1] neg_hi:[0,0,1]
	v_mul_f32_e32 v138, v139, v132
	s_delay_alu instid0(VALU_DEP_3) | instskip(NEXT) | instid1(VALU_DEP_2)
	v_pk_add_f32 v[74:75], v[74:75], v[142:143] neg_lo:[0,1] neg_hi:[0,1]
	v_pk_fma_f32 v[136:137], v[136:137], v[28:29], v[138:139] op_sel_hi:[1,1,0]
	s_delay_alu instid0(VALU_DEP_1) | instskip(SKIP_4) | instid1(VALU_DEP_1)
	v_mov_b32_e32 v141, v137
	ds_load_2addr_b64 v[136:139], v184 offset0:19 offset1:20
	v_pk_add_f32 v[76:77], v[76:77], v[140:141] neg_lo:[0,1] neg_hi:[0,1]
	s_wait_dscnt 0x0
	v_pk_mul_f32 v[140:141], v[136:137], v[134:135] op_sel:[0,1]
	v_pk_fma_f32 v[142:143], v[136:137], v[132:133], v[140:141] op_sel:[0,0,1] op_sel_hi:[1,1,0] neg_lo:[0,0,1] neg_hi:[0,0,1]
	v_pk_fma_f32 v[136:137], v[136:137], v[132:133], v[140:141] op_sel:[0,0,1] op_sel_hi:[1,0,0]
	s_delay_alu instid0(VALU_DEP_1) | instskip(SKIP_1) | instid1(VALU_DEP_1)
	v_mov_b32_e32 v143, v137
	v_pk_mul_f32 v[136:137], v[138:139], v[134:135] op_sel:[0,1]
	v_pk_fma_f32 v[140:141], v[138:139], v[132:133], v[136:137] op_sel:[0,0,1] op_sel_hi:[1,1,0] neg_lo:[0,0,1] neg_hi:[0,0,1]
	v_pk_fma_f32 v[136:137], v[138:139], v[132:133], v[136:137] op_sel:[0,0,1] op_sel_hi:[1,0,0]
	s_delay_alu instid0(VALU_DEP_1)
	v_mov_b32_e32 v141, v137
	ds_load_2addr_b64 v[136:139], v184 offset0:21 offset1:22
	v_pk_add_f32 v[72:73], v[72:73], v[142:143] neg_lo:[0,1] neg_hi:[0,1]
	v_pk_add_f32 v[98:99], v[98:99], v[140:141] neg_lo:[0,1] neg_hi:[0,1]
	s_wait_dscnt 0x0
	v_pk_mul_f32 v[140:141], v[136:137], v[134:135] op_sel:[0,1]
	s_delay_alu instid0(VALU_DEP_1) | instskip(SKIP_1) | instid1(VALU_DEP_1)
	v_pk_fma_f32 v[142:143], v[136:137], v[132:133], v[140:141] op_sel:[0,0,1] op_sel_hi:[1,1,0] neg_lo:[0,0,1] neg_hi:[0,0,1]
	v_pk_fma_f32 v[136:137], v[136:137], v[132:133], v[140:141] op_sel:[0,0,1] op_sel_hi:[1,0,0]
	v_mov_b32_e32 v143, v137
	v_pk_mul_f32 v[136:137], v[138:139], v[134:135] op_sel:[0,1]
	s_delay_alu instid0(VALU_DEP_1) | instskip(SKIP_1) | instid1(VALU_DEP_1)
	v_pk_fma_f32 v[140:141], v[138:139], v[132:133], v[136:137] op_sel:[0,0,1] op_sel_hi:[1,1,0] neg_lo:[0,0,1] neg_hi:[0,0,1]
	v_pk_fma_f32 v[136:137], v[138:139], v[132:133], v[136:137] op_sel:[0,0,1] op_sel_hi:[1,0,0]
	v_mov_b32_e32 v141, v137
	ds_load_2addr_b64 v[136:139], v184 offset0:23 offset1:24
	v_pk_add_f32 v[94:95], v[94:95], v[142:143] neg_lo:[0,1] neg_hi:[0,1]
	v_pk_add_f32 v[96:97], v[96:97], v[140:141] neg_lo:[0,1] neg_hi:[0,1]
	s_wait_dscnt 0x0
	v_dual_mul_f32 v140, v137, v135 :: v_dual_mul_f32 v142, v137, v132
	s_delay_alu instid0(VALU_DEP_1) | instskip(NEXT) | instid1(VALU_DEP_2)
	v_pk_fma_f32 v[140:141], v[136:137], v[28:29], v[140:141] op_sel_hi:[1,1,0] neg_lo:[0,0,1] neg_hi:[0,0,1]
	v_pk_fma_f32 v[136:137], v[136:137], v[28:29], v[142:143] op_sel:[1,0,0] op_sel_hi:[0,1,0]
	s_delay_alu instid0(VALU_DEP_1) | instskip(SKIP_1) | instid1(VALU_DEP_2)
	v_mov_b32_e32 v141, v137
	v_pk_mul_f32 v[136:137], v[138:139], v[134:135] op_sel:[0,1]
	v_pk_add_f32 v[92:93], v[92:93], v[140:141] neg_lo:[0,1] neg_hi:[0,1]
	s_delay_alu instid0(VALU_DEP_2) | instskip(SKIP_1) | instid1(VALU_DEP_1)
	v_pk_fma_f32 v[140:141], v[138:139], v[132:133], v[136:137] op_sel:[0,0,1] op_sel_hi:[1,1,0] neg_lo:[0,0,1] neg_hi:[0,0,1]
	v_pk_fma_f32 v[136:137], v[138:139], v[132:133], v[136:137] op_sel:[0,0,1] op_sel_hi:[1,0,0]
	v_mov_b32_e32 v141, v137
	ds_load_2addr_b64 v[136:139], v184 offset0:25 offset1:26
	v_pk_add_f32 v[114:115], v[114:115], v[140:141] neg_lo:[0,1] neg_hi:[0,1]
	s_wait_dscnt 0x0
	v_pk_mul_f32 v[140:141], v[136:137], v[134:135] op_sel:[0,1]
	s_delay_alu instid0(VALU_DEP_1) | instskip(SKIP_1) | instid1(VALU_DEP_1)
	v_pk_fma_f32 v[142:143], v[136:137], v[132:133], v[140:141] op_sel:[0,0,1] op_sel_hi:[1,1,0] neg_lo:[0,0,1] neg_hi:[0,0,1]
	v_pk_fma_f32 v[136:137], v[136:137], v[132:133], v[140:141] op_sel:[0,0,1] op_sel_hi:[1,0,0]
	v_mov_b32_e32 v143, v137
	v_pk_mul_f32 v[136:137], v[138:139], v[134:135] op_sel:[0,1]
	s_delay_alu instid0(VALU_DEP_2) | instskip(NEXT) | instid1(VALU_DEP_2)
	v_pk_add_f32 v[110:111], v[110:111], v[142:143] neg_lo:[0,1] neg_hi:[0,1]
	v_pk_fma_f32 v[140:141], v[138:139], v[132:133], v[136:137] op_sel:[0,0,1] op_sel_hi:[1,1,0] neg_lo:[0,0,1] neg_hi:[0,0,1]
	v_pk_fma_f32 v[136:137], v[138:139], v[132:133], v[136:137] op_sel:[0,0,1] op_sel_hi:[1,0,0]
	s_delay_alu instid0(VALU_DEP_1) | instskip(SKIP_4) | instid1(VALU_DEP_1)
	v_mov_b32_e32 v141, v137
	ds_load_2addr_b64 v[136:139], v184 offset0:27 offset1:28
	v_pk_add_f32 v[112:113], v[112:113], v[140:141] neg_lo:[0,1] neg_hi:[0,1]
	s_wait_dscnt 0x0
	v_pk_mul_f32 v[140:141], v[136:137], v[134:135] op_sel:[0,1]
	v_pk_fma_f32 v[142:143], v[136:137], v[132:133], v[140:141] op_sel:[0,0,1] op_sel_hi:[1,1,0] neg_lo:[0,0,1] neg_hi:[0,0,1]
	v_pk_fma_f32 v[136:137], v[136:137], v[132:133], v[140:141] op_sel:[0,0,1] op_sel_hi:[1,0,0]
	v_dual_mul_f32 v140, v139, v135 :: v_dual_mov_b32 v136, v139
	s_delay_alu instid0(VALU_DEP_2) | instskip(NEXT) | instid1(VALU_DEP_2)
	v_dual_mov_b32 v143, v137 :: v_dual_mov_b32 v137, v138
	v_pk_fma_f32 v[140:141], v[138:139], v[28:29], v[140:141] op_sel_hi:[1,1,0] neg_lo:[0,0,1] neg_hi:[0,0,1]
	v_mul_f32_e32 v138, v139, v132
	s_delay_alu instid0(VALU_DEP_3) | instskip(NEXT) | instid1(VALU_DEP_2)
	v_pk_add_f32 v[118:119], v[118:119], v[142:143] neg_lo:[0,1] neg_hi:[0,1]
	v_pk_fma_f32 v[136:137], v[136:137], v[28:29], v[138:139] op_sel_hi:[1,1,0]
	s_delay_alu instid0(VALU_DEP_1) | instskip(SKIP_4) | instid1(VALU_DEP_1)
	v_mov_b32_e32 v141, v137
	ds_load_b64 v[136:137], v184 offset:232
	v_pk_add_f32 v[116:117], v[116:117], v[140:141] neg_lo:[0,1] neg_hi:[0,1]
	s_wait_dscnt 0x0
	v_pk_mul_f32 v[134:135], v[136:137], v[134:135] op_sel:[0,1]
	v_pk_fma_f32 v[138:139], v[136:137], v[132:133], v[134:135] op_sel:[0,0,1] op_sel_hi:[1,1,0] neg_lo:[0,0,1] neg_hi:[0,0,1]
	v_pk_fma_f32 v[132:133], v[136:137], v[132:133], v[134:135] op_sel:[0,0,1] op_sel_hi:[1,0,0]
	s_delay_alu instid0(VALU_DEP_1) | instskip(NEXT) | instid1(VALU_DEP_1)
	v_mov_b32_e32 v139, v133
	v_pk_add_f32 v[120:121], v[120:121], v[138:139] neg_lo:[0,1] neg_hi:[0,1]
.LBB59_46:
	s_or_b32 exec_lo, exec_lo, s1
	s_delay_alu instid0(SALU_CYCLE_1)
	s_mov_b32 s2, exec_lo
	s_wait_dscnt 0x0
	s_barrier_signal -1
	s_barrier_wait -1
	v_cmpx_eq_u32_e32 5, v182
	s_cbranch_execz .LBB59_53
; %bb.47:
	v_dual_mov_b32 v132, v26 :: v_dual_mov_b32 v133, v27
	v_dual_mov_b32 v134, v22 :: v_dual_mov_b32 v135, v23
	;; [unrolled: 1-line block ×10, first 2 shown]
	ds_store_b64 v183, v[24:25]
	v_dual_mov_b32 v152, v78 :: v_dual_mov_b32 v153, v79
	v_dual_mov_b32 v154, v74 :: v_dual_mov_b32 v155, v75
	ds_store_2addr_b64 v184, v[132:133], v[134:135] offset0:6 offset1:7
	ds_store_2addr_b64 v184, v[136:137], v[138:139] offset0:8 offset1:9
	;; [unrolled: 1-line block ×6, first 2 shown]
	v_dual_mov_b32 v132, v76 :: v_dual_mov_b32 v133, v77
	v_dual_mov_b32 v134, v72 :: v_dual_mov_b32 v135, v73
	;; [unrolled: 1-line block ×11, first 2 shown]
	ds_store_2addr_b64 v184, v[132:133], v[134:135] offset0:18 offset1:19
	ds_store_2addr_b64 v184, v[136:137], v[138:139] offset0:20 offset1:21
	;; [unrolled: 1-line block ×6, first 2 shown]
	ds_load_b64 v[132:133], v183
	s_wait_dscnt 0x0
	v_cmp_neq_f32_e32 vcc_lo, 0, v132
	v_cmp_neq_f32_e64 s1, 0, v133
	s_or_b32 s1, vcc_lo, s1
	s_delay_alu instid0(SALU_CYCLE_1)
	s_and_b32 exec_lo, exec_lo, s1
	s_cbranch_execz .LBB59_53
; %bb.48:
	v_cmp_ngt_f32_e64 s1, |v132|, |v133|
                                        ; implicit-def: $vgpr134_vgpr135
	s_and_saveexec_b32 s4, s1
	s_delay_alu instid0(SALU_CYCLE_1)
	s_xor_b32 s1, exec_lo, s4
	s_cbranch_execz .LBB59_50
; %bb.49:
	v_div_scale_f32 v134, null, v133, v133, v132
	v_div_scale_f32 v137, vcc_lo, v132, v133, v132
	s_delay_alu instid0(VALU_DEP_2) | instskip(SKIP_1) | instid1(TRANS32_DEP_1)
	v_rcp_f32_e32 v135, v134
	v_nop
	v_fma_f32 v136, -v134, v135, 1.0
	s_delay_alu instid0(VALU_DEP_1) | instskip(NEXT) | instid1(VALU_DEP_1)
	v_fmac_f32_e32 v135, v136, v135
	v_mul_f32_e32 v136, v137, v135
	s_delay_alu instid0(VALU_DEP_1) | instskip(NEXT) | instid1(VALU_DEP_1)
	v_fma_f32 v138, -v134, v136, v137
	v_fmac_f32_e32 v136, v138, v135
	s_delay_alu instid0(VALU_DEP_1) | instskip(NEXT) | instid1(VALU_DEP_1)
	v_fma_f32 v134, -v134, v136, v137
	v_div_fmas_f32 v134, v134, v135, v136
	s_delay_alu instid0(VALU_DEP_1) | instskip(NEXT) | instid1(VALU_DEP_1)
	v_div_fixup_f32 v134, v134, v133, v132
	v_fmac_f32_e32 v133, v132, v134
	s_delay_alu instid0(VALU_DEP_1) | instskip(SKIP_1) | instid1(VALU_DEP_2)
	v_div_scale_f32 v132, null, v133, v133, 1.0
	v_div_scale_f32 v137, vcc_lo, 1.0, v133, 1.0
	v_rcp_f32_e32 v135, v132
	v_nop
	s_delay_alu instid0(TRANS32_DEP_1) | instskip(NEXT) | instid1(VALU_DEP_1)
	v_fma_f32 v136, -v132, v135, 1.0
	v_fmac_f32_e32 v135, v136, v135
	s_delay_alu instid0(VALU_DEP_1) | instskip(NEXT) | instid1(VALU_DEP_1)
	v_mul_f32_e32 v136, v137, v135
	v_fma_f32 v138, -v132, v136, v137
	s_delay_alu instid0(VALU_DEP_1) | instskip(NEXT) | instid1(VALU_DEP_1)
	v_fmac_f32_e32 v136, v138, v135
	v_fma_f32 v132, -v132, v136, v137
	s_delay_alu instid0(VALU_DEP_1) | instskip(NEXT) | instid1(VALU_DEP_1)
	v_div_fmas_f32 v132, v132, v135, v136
	v_div_fixup_f32 v132, v132, v133, 1.0
	s_delay_alu instid0(VALU_DEP_1)
	v_mul_f32_e32 v134, v134, v132
	v_xor_b32_e32 v135, 0x80000000, v132
                                        ; implicit-def: $vgpr132_vgpr133
.LBB59_50:
	s_and_not1_saveexec_b32 s1, s1
	s_cbranch_execz .LBB59_52
; %bb.51:
	v_div_scale_f32 v134, null, v132, v132, v133
	v_div_scale_f32 v137, vcc_lo, v133, v132, v133
	s_delay_alu instid0(VALU_DEP_2) | instskip(SKIP_1) | instid1(TRANS32_DEP_1)
	v_rcp_f32_e32 v135, v134
	v_nop
	v_fma_f32 v136, -v134, v135, 1.0
	s_delay_alu instid0(VALU_DEP_1) | instskip(NEXT) | instid1(VALU_DEP_1)
	v_fmac_f32_e32 v135, v136, v135
	v_mul_f32_e32 v136, v137, v135
	s_delay_alu instid0(VALU_DEP_1) | instskip(NEXT) | instid1(VALU_DEP_1)
	v_fma_f32 v138, -v134, v136, v137
	v_fmac_f32_e32 v136, v138, v135
	s_delay_alu instid0(VALU_DEP_1) | instskip(NEXT) | instid1(VALU_DEP_1)
	v_fma_f32 v134, -v134, v136, v137
	v_div_fmas_f32 v134, v134, v135, v136
	s_delay_alu instid0(VALU_DEP_1) | instskip(NEXT) | instid1(VALU_DEP_1)
	v_div_fixup_f32 v135, v134, v132, v133
	v_fmac_f32_e32 v132, v133, v135
	s_delay_alu instid0(VALU_DEP_1) | instskip(NEXT) | instid1(VALU_DEP_1)
	v_div_scale_f32 v133, null, v132, v132, 1.0
	v_rcp_f32_e32 v134, v133
	v_nop
	s_delay_alu instid0(TRANS32_DEP_1) | instskip(NEXT) | instid1(VALU_DEP_1)
	v_fma_f32 v136, -v133, v134, 1.0
	v_fmac_f32_e32 v134, v136, v134
	v_div_scale_f32 v136, vcc_lo, 1.0, v132, 1.0
	s_delay_alu instid0(VALU_DEP_1) | instskip(NEXT) | instid1(VALU_DEP_1)
	v_mul_f32_e32 v137, v136, v134
	v_fma_f32 v138, -v133, v137, v136
	s_delay_alu instid0(VALU_DEP_1) | instskip(NEXT) | instid1(VALU_DEP_1)
	v_fmac_f32_e32 v137, v138, v134
	v_fma_f32 v133, -v133, v137, v136
	s_delay_alu instid0(VALU_DEP_1) | instskip(NEXT) | instid1(VALU_DEP_1)
	v_div_fmas_f32 v133, v133, v134, v137
	v_div_fixup_f32 v134, v133, v132, 1.0
	s_delay_alu instid0(VALU_DEP_1)
	v_mul_f32_e64 v135, v135, -v134
.LBB59_52:
	s_or_b32 exec_lo, exec_lo, s1
	ds_store_b64 v183, v[134:135]
.LBB59_53:
	s_or_b32 exec_lo, exec_lo, s2
	s_wait_dscnt 0x0
	s_barrier_signal -1
	s_barrier_wait -1
	ds_load_b64 v[132:133], v183
	s_mov_b32 s1, exec_lo
	v_cmpx_lt_u32_e32 5, v182
	s_cbranch_execz .LBB59_55
; %bb.54:
	ds_load_2addr_b64 v[138:141], v184 offset0:6 offset1:7
	s_wait_dscnt 0x1
	v_pk_mul_f32 v[136:137], v[132:133], v[24:25] op_sel:[1,1] op_sel_hi:[0,1]
	s_delay_alu instid0(VALU_DEP_1) | instskip(SKIP_1) | instid1(VALU_DEP_1)
	v_pk_fma_f32 v[134:135], v[132:133], v[24:25], v[136:137] op_sel_hi:[1,0,1] neg_lo:[0,0,1] neg_hi:[0,0,1]
	v_pk_fma_f32 v[136:137], v[132:133], v[24:25], v[136:137] op_sel_hi:[1,0,1]
	v_dual_mov_b32 v24, v134 :: v_dual_mov_b32 v25, v137
	s_wait_dscnt 0x0
	s_delay_alu instid0(VALU_DEP_2) | instskip(NEXT) | instid1(VALU_DEP_1)
	v_pk_mul_f32 v[142:143], v[138:139], v[136:137] op_sel:[0,1]
	v_pk_fma_f32 v[144:145], v[138:139], v[134:135], v[142:143] op_sel:[0,0,1] op_sel_hi:[1,1,0] neg_lo:[0,0,1] neg_hi:[0,0,1]
	v_pk_fma_f32 v[138:139], v[138:139], v[134:135], v[142:143] op_sel:[0,0,1] op_sel_hi:[1,0,0]
	s_delay_alu instid0(VALU_DEP_1) | instskip(SKIP_1) | instid1(VALU_DEP_1)
	v_mov_b32_e32 v145, v139
	v_pk_mul_f32 v[138:139], v[140:141], v[136:137] op_sel:[0,1]
	v_pk_fma_f32 v[142:143], v[140:141], v[134:135], v[138:139] op_sel:[0,0,1] op_sel_hi:[1,1,0] neg_lo:[0,0,1] neg_hi:[0,0,1]
	v_pk_fma_f32 v[138:139], v[140:141], v[134:135], v[138:139] op_sel:[0,0,1] op_sel_hi:[1,0,0]
	s_delay_alu instid0(VALU_DEP_1)
	v_mov_b32_e32 v143, v139
	ds_load_2addr_b64 v[138:141], v184 offset0:8 offset1:9
	v_pk_add_f32 v[26:27], v[26:27], v[144:145] neg_lo:[0,1] neg_hi:[0,1]
	v_pk_add_f32 v[22:23], v[22:23], v[142:143] neg_lo:[0,1] neg_hi:[0,1]
	s_wait_dscnt 0x0
	v_pk_mul_f32 v[142:143], v[138:139], v[136:137] op_sel:[0,1]
	s_delay_alu instid0(VALU_DEP_1) | instskip(SKIP_2) | instid1(VALU_DEP_2)
	v_pk_fma_f32 v[144:145], v[138:139], v[134:135], v[142:143] op_sel:[0,0,1] op_sel_hi:[1,1,0] neg_lo:[0,0,1] neg_hi:[0,0,1]
	v_pk_fma_f32 v[138:139], v[138:139], v[134:135], v[142:143] op_sel:[0,0,1] op_sel_hi:[1,0,0]
	v_dual_mul_f32 v142, v141, v137 :: v_dual_mov_b32 v138, v141
	v_dual_mov_b32 v145, v139 :: v_dual_mov_b32 v139, v140
	s_delay_alu instid0(VALU_DEP_2) | instskip(SKIP_1) | instid1(VALU_DEP_3)
	v_pk_fma_f32 v[142:143], v[140:141], v[24:25], v[142:143] op_sel_hi:[1,1,0] neg_lo:[0,0,1] neg_hi:[0,0,1]
	v_mul_f32_e32 v140, v141, v134
	v_pk_add_f32 v[40:41], v[40:41], v[144:145] neg_lo:[0,1] neg_hi:[0,1]
	s_delay_alu instid0(VALU_DEP_2) | instskip(NEXT) | instid1(VALU_DEP_1)
	v_pk_fma_f32 v[138:139], v[138:139], v[24:25], v[140:141] op_sel_hi:[1,1,0]
	v_mov_b32_e32 v143, v139
	ds_load_2addr_b64 v[138:141], v184 offset0:10 offset1:11
	v_pk_add_f32 v[36:37], v[36:37], v[142:143] neg_lo:[0,1] neg_hi:[0,1]
	s_wait_dscnt 0x0
	v_pk_mul_f32 v[142:143], v[138:139], v[136:137] op_sel:[0,1]
	s_delay_alu instid0(VALU_DEP_1) | instskip(SKIP_1) | instid1(VALU_DEP_1)
	v_pk_fma_f32 v[144:145], v[138:139], v[134:135], v[142:143] op_sel:[0,0,1] op_sel_hi:[1,1,0] neg_lo:[0,0,1] neg_hi:[0,0,1]
	v_pk_fma_f32 v[138:139], v[138:139], v[134:135], v[142:143] op_sel:[0,0,1] op_sel_hi:[1,0,0]
	v_mov_b32_e32 v145, v139
	v_pk_mul_f32 v[138:139], v[140:141], v[136:137] op_sel:[0,1]
	s_delay_alu instid0(VALU_DEP_1) | instskip(SKIP_1) | instid1(VALU_DEP_1)
	v_pk_fma_f32 v[142:143], v[140:141], v[134:135], v[138:139] op_sel:[0,0,1] op_sel_hi:[1,1,0] neg_lo:[0,0,1] neg_hi:[0,0,1]
	v_pk_fma_f32 v[138:139], v[140:141], v[134:135], v[138:139] op_sel:[0,0,1] op_sel_hi:[1,0,0]
	v_mov_b32_e32 v143, v139
	ds_load_2addr_b64 v[138:141], v184 offset0:12 offset1:13
	v_pk_add_f32 v[38:39], v[38:39], v[144:145] neg_lo:[0,1] neg_hi:[0,1]
	v_pk_add_f32 v[88:89], v[88:89], v[142:143] neg_lo:[0,1] neg_hi:[0,1]
	s_wait_dscnt 0x0
	v_pk_mul_f32 v[142:143], v[138:139], v[136:137] op_sel:[0,1]
	s_delay_alu instid0(VALU_DEP_1) | instskip(SKIP_1) | instid1(VALU_DEP_1)
	v_pk_fma_f32 v[144:145], v[138:139], v[134:135], v[142:143] op_sel:[0,0,1] op_sel_hi:[1,1,0] neg_lo:[0,0,1] neg_hi:[0,0,1]
	v_pk_fma_f32 v[138:139], v[138:139], v[134:135], v[142:143] op_sel:[0,0,1] op_sel_hi:[1,0,0]
	v_mov_b32_e32 v145, v139
	v_pk_mul_f32 v[138:139], v[140:141], v[136:137] op_sel:[0,1]
	s_delay_alu instid0(VALU_DEP_1) | instskip(SKIP_1) | instid1(VALU_DEP_1)
	v_pk_fma_f32 v[142:143], v[140:141], v[134:135], v[138:139] op_sel:[0,0,1] op_sel_hi:[1,1,0] neg_lo:[0,0,1] neg_hi:[0,0,1]
	v_pk_fma_f32 v[138:139], v[140:141], v[134:135], v[138:139] op_sel:[0,0,1] op_sel_hi:[1,0,0]
	v_mov_b32_e32 v143, v139
	ds_load_2addr_b64 v[138:141], v184 offset0:14 offset1:15
	v_pk_add_f32 v[108:109], v[108:109], v[144:145] neg_lo:[0,1] neg_hi:[0,1]
	v_pk_add_f32 v[60:61], v[60:61], v[142:143] neg_lo:[0,1] neg_hi:[0,1]
	s_wait_dscnt 0x0
	v_dual_mul_f32 v142, v139, v137 :: v_dual_mul_f32 v144, v139, v134
	s_delay_alu instid0(VALU_DEP_1) | instskip(NEXT) | instid1(VALU_DEP_2)
	v_pk_fma_f32 v[142:143], v[138:139], v[24:25], v[142:143] op_sel_hi:[1,1,0] neg_lo:[0,0,1] neg_hi:[0,0,1]
	v_pk_fma_f32 v[138:139], v[138:139], v[24:25], v[144:145] op_sel:[1,0,0] op_sel_hi:[0,1,0]
	s_delay_alu instid0(VALU_DEP_1) | instskip(SKIP_1) | instid1(VALU_DEP_2)
	v_mov_b32_e32 v143, v139
	v_pk_mul_f32 v[138:139], v[140:141], v[136:137] op_sel:[0,1]
	v_pk_add_f32 v[62:63], v[62:63], v[142:143] neg_lo:[0,1] neg_hi:[0,1]
	s_delay_alu instid0(VALU_DEP_2) | instskip(SKIP_1) | instid1(VALU_DEP_1)
	v_pk_fma_f32 v[142:143], v[140:141], v[134:135], v[138:139] op_sel:[0,0,1] op_sel_hi:[1,1,0] neg_lo:[0,0,1] neg_hi:[0,0,1]
	v_pk_fma_f32 v[138:139], v[140:141], v[134:135], v[138:139] op_sel:[0,0,1] op_sel_hi:[1,0,0]
	v_mov_b32_e32 v143, v139
	ds_load_2addr_b64 v[138:141], v184 offset0:16 offset1:17
	v_pk_add_f32 v[58:59], v[58:59], v[142:143] neg_lo:[0,1] neg_hi:[0,1]
	s_wait_dscnt 0x0
	v_pk_mul_f32 v[142:143], v[138:139], v[136:137] op_sel:[0,1]
	s_delay_alu instid0(VALU_DEP_1) | instskip(SKIP_1) | instid1(VALU_DEP_1)
	v_pk_fma_f32 v[144:145], v[138:139], v[134:135], v[142:143] op_sel:[0,0,1] op_sel_hi:[1,1,0] neg_lo:[0,0,1] neg_hi:[0,0,1]
	v_pk_fma_f32 v[138:139], v[138:139], v[134:135], v[142:143] op_sel:[0,0,1] op_sel_hi:[1,0,0]
	v_mov_b32_e32 v145, v139
	v_pk_mul_f32 v[138:139], v[140:141], v[136:137] op_sel:[0,1]
	s_delay_alu instid0(VALU_DEP_2) | instskip(NEXT) | instid1(VALU_DEP_2)
	v_pk_add_f32 v[78:79], v[78:79], v[144:145] neg_lo:[0,1] neg_hi:[0,1]
	v_pk_fma_f32 v[142:143], v[140:141], v[134:135], v[138:139] op_sel:[0,0,1] op_sel_hi:[1,1,0] neg_lo:[0,0,1] neg_hi:[0,0,1]
	v_pk_fma_f32 v[138:139], v[140:141], v[134:135], v[138:139] op_sel:[0,0,1] op_sel_hi:[1,0,0]
	s_delay_alu instid0(VALU_DEP_1) | instskip(SKIP_4) | instid1(VALU_DEP_1)
	v_mov_b32_e32 v143, v139
	ds_load_2addr_b64 v[138:141], v184 offset0:18 offset1:19
	v_pk_add_f32 v[74:75], v[74:75], v[142:143] neg_lo:[0,1] neg_hi:[0,1]
	s_wait_dscnt 0x0
	v_pk_mul_f32 v[142:143], v[138:139], v[136:137] op_sel:[0,1]
	v_pk_fma_f32 v[144:145], v[138:139], v[134:135], v[142:143] op_sel:[0,0,1] op_sel_hi:[1,1,0] neg_lo:[0,0,1] neg_hi:[0,0,1]
	v_pk_fma_f32 v[138:139], v[138:139], v[134:135], v[142:143] op_sel:[0,0,1] op_sel_hi:[1,0,0]
	v_dual_mul_f32 v142, v141, v137 :: v_dual_mov_b32 v138, v141
	s_delay_alu instid0(VALU_DEP_2) | instskip(NEXT) | instid1(VALU_DEP_2)
	v_dual_mov_b32 v145, v139 :: v_dual_mov_b32 v139, v140
	v_pk_fma_f32 v[142:143], v[140:141], v[24:25], v[142:143] op_sel_hi:[1,1,0] neg_lo:[0,0,1] neg_hi:[0,0,1]
	v_mul_f32_e32 v140, v141, v134
	s_delay_alu instid0(VALU_DEP_3) | instskip(NEXT) | instid1(VALU_DEP_2)
	v_pk_add_f32 v[76:77], v[76:77], v[144:145] neg_lo:[0,1] neg_hi:[0,1]
	v_pk_fma_f32 v[138:139], v[138:139], v[24:25], v[140:141] op_sel_hi:[1,1,0]
	s_delay_alu instid0(VALU_DEP_1) | instskip(SKIP_4) | instid1(VALU_DEP_1)
	v_mov_b32_e32 v143, v139
	ds_load_2addr_b64 v[138:141], v184 offset0:20 offset1:21
	v_pk_add_f32 v[72:73], v[72:73], v[142:143] neg_lo:[0,1] neg_hi:[0,1]
	s_wait_dscnt 0x0
	v_pk_mul_f32 v[142:143], v[138:139], v[136:137] op_sel:[0,1]
	v_pk_fma_f32 v[144:145], v[138:139], v[134:135], v[142:143] op_sel:[0,0,1] op_sel_hi:[1,1,0] neg_lo:[0,0,1] neg_hi:[0,0,1]
	v_pk_fma_f32 v[138:139], v[138:139], v[134:135], v[142:143] op_sel:[0,0,1] op_sel_hi:[1,0,0]
	s_delay_alu instid0(VALU_DEP_1) | instskip(SKIP_1) | instid1(VALU_DEP_1)
	v_mov_b32_e32 v145, v139
	v_pk_mul_f32 v[138:139], v[140:141], v[136:137] op_sel:[0,1]
	v_pk_fma_f32 v[142:143], v[140:141], v[134:135], v[138:139] op_sel:[0,0,1] op_sel_hi:[1,1,0] neg_lo:[0,0,1] neg_hi:[0,0,1]
	v_pk_fma_f32 v[138:139], v[140:141], v[134:135], v[138:139] op_sel:[0,0,1] op_sel_hi:[1,0,0]
	s_delay_alu instid0(VALU_DEP_1)
	v_mov_b32_e32 v143, v139
	ds_load_2addr_b64 v[138:141], v184 offset0:22 offset1:23
	v_pk_add_f32 v[98:99], v[98:99], v[144:145] neg_lo:[0,1] neg_hi:[0,1]
	v_pk_add_f32 v[94:95], v[94:95], v[142:143] neg_lo:[0,1] neg_hi:[0,1]
	s_wait_dscnt 0x0
	v_pk_mul_f32 v[142:143], v[138:139], v[136:137] op_sel:[0,1]
	s_delay_alu instid0(VALU_DEP_1) | instskip(SKIP_1) | instid1(VALU_DEP_1)
	v_pk_fma_f32 v[144:145], v[138:139], v[134:135], v[142:143] op_sel:[0,0,1] op_sel_hi:[1,1,0] neg_lo:[0,0,1] neg_hi:[0,0,1]
	v_pk_fma_f32 v[138:139], v[138:139], v[134:135], v[142:143] op_sel:[0,0,1] op_sel_hi:[1,0,0]
	v_mov_b32_e32 v145, v139
	v_pk_mul_f32 v[138:139], v[140:141], v[136:137] op_sel:[0,1]
	s_delay_alu instid0(VALU_DEP_1) | instskip(SKIP_1) | instid1(VALU_DEP_1)
	v_pk_fma_f32 v[142:143], v[140:141], v[134:135], v[138:139] op_sel:[0,0,1] op_sel_hi:[1,1,0] neg_lo:[0,0,1] neg_hi:[0,0,1]
	v_pk_fma_f32 v[138:139], v[140:141], v[134:135], v[138:139] op_sel:[0,0,1] op_sel_hi:[1,0,0]
	v_mov_b32_e32 v143, v139
	ds_load_2addr_b64 v[138:141], v184 offset0:24 offset1:25
	v_pk_add_f32 v[96:97], v[96:97], v[144:145] neg_lo:[0,1] neg_hi:[0,1]
	v_pk_add_f32 v[92:93], v[92:93], v[142:143] neg_lo:[0,1] neg_hi:[0,1]
	s_wait_dscnt 0x0
	v_dual_mul_f32 v142, v139, v137 :: v_dual_mul_f32 v144, v139, v134
	s_delay_alu instid0(VALU_DEP_1) | instskip(NEXT) | instid1(VALU_DEP_2)
	v_pk_fma_f32 v[142:143], v[138:139], v[24:25], v[142:143] op_sel_hi:[1,1,0] neg_lo:[0,0,1] neg_hi:[0,0,1]
	v_pk_fma_f32 v[138:139], v[138:139], v[24:25], v[144:145] op_sel:[1,0,0] op_sel_hi:[0,1,0]
	s_delay_alu instid0(VALU_DEP_1) | instskip(SKIP_1) | instid1(VALU_DEP_2)
	v_mov_b32_e32 v143, v139
	v_pk_mul_f32 v[138:139], v[140:141], v[136:137] op_sel:[0,1]
	v_pk_add_f32 v[114:115], v[114:115], v[142:143] neg_lo:[0,1] neg_hi:[0,1]
	s_delay_alu instid0(VALU_DEP_2) | instskip(SKIP_1) | instid1(VALU_DEP_1)
	v_pk_fma_f32 v[142:143], v[140:141], v[134:135], v[138:139] op_sel:[0,0,1] op_sel_hi:[1,1,0] neg_lo:[0,0,1] neg_hi:[0,0,1]
	v_pk_fma_f32 v[138:139], v[140:141], v[134:135], v[138:139] op_sel:[0,0,1] op_sel_hi:[1,0,0]
	v_mov_b32_e32 v143, v139
	ds_load_2addr_b64 v[138:141], v184 offset0:26 offset1:27
	v_pk_add_f32 v[110:111], v[110:111], v[142:143] neg_lo:[0,1] neg_hi:[0,1]
	s_wait_dscnt 0x0
	v_pk_mul_f32 v[142:143], v[138:139], v[136:137] op_sel:[0,1]
	s_delay_alu instid0(VALU_DEP_1) | instskip(SKIP_1) | instid1(VALU_DEP_1)
	v_pk_fma_f32 v[144:145], v[138:139], v[134:135], v[142:143] op_sel:[0,0,1] op_sel_hi:[1,1,0] neg_lo:[0,0,1] neg_hi:[0,0,1]
	v_pk_fma_f32 v[138:139], v[138:139], v[134:135], v[142:143] op_sel:[0,0,1] op_sel_hi:[1,0,0]
	v_mov_b32_e32 v145, v139
	v_pk_mul_f32 v[138:139], v[140:141], v[136:137] op_sel:[0,1]
	s_delay_alu instid0(VALU_DEP_2) | instskip(NEXT) | instid1(VALU_DEP_2)
	v_pk_add_f32 v[112:113], v[112:113], v[144:145] neg_lo:[0,1] neg_hi:[0,1]
	v_pk_fma_f32 v[142:143], v[140:141], v[134:135], v[138:139] op_sel:[0,0,1] op_sel_hi:[1,1,0] neg_lo:[0,0,1] neg_hi:[0,0,1]
	v_pk_fma_f32 v[138:139], v[140:141], v[134:135], v[138:139] op_sel:[0,0,1] op_sel_hi:[1,0,0]
	s_delay_alu instid0(VALU_DEP_1)
	v_mov_b32_e32 v143, v139
	ds_load_2addr_b64 v[138:141], v184 offset0:28 offset1:29
	v_pk_add_f32 v[118:119], v[118:119], v[142:143] neg_lo:[0,1] neg_hi:[0,1]
	s_wait_dscnt 0x0
	v_pk_mul_f32 v[142:143], v[138:139], v[136:137] op_sel:[0,1]
	v_mul_f32_e32 v136, v141, v137
	s_delay_alu instid0(VALU_DEP_2) | instskip(SKIP_2) | instid1(VALU_DEP_4)
	v_pk_fma_f32 v[144:145], v[138:139], v[134:135], v[142:143] op_sel:[0,0,1] op_sel_hi:[1,1,0] neg_lo:[0,0,1] neg_hi:[0,0,1]
	v_pk_fma_f32 v[138:139], v[138:139], v[134:135], v[142:143] op_sel:[0,0,1] op_sel_hi:[1,0,0]
	v_dual_mov_b32 v138, v141 :: v_dual_mul_f32 v134, v141, v134
	v_pk_fma_f32 v[136:137], v[140:141], v[24:25], v[136:137] op_sel_hi:[1,1,0] neg_lo:[0,0,1] neg_hi:[0,0,1]
	s_delay_alu instid0(VALU_DEP_3) | instskip(NEXT) | instid1(VALU_DEP_1)
	v_dual_mov_b32 v145, v139 :: v_dual_mov_b32 v139, v140
	v_pk_add_f32 v[116:117], v[116:117], v[144:145] neg_lo:[0,1] neg_hi:[0,1]
	s_delay_alu instid0(VALU_DEP_2) | instskip(NEXT) | instid1(VALU_DEP_1)
	v_pk_fma_f32 v[134:135], v[138:139], v[24:25], v[134:135] op_sel_hi:[1,1,0]
	v_mov_b32_e32 v137, v135
	s_delay_alu instid0(VALU_DEP_1)
	v_pk_add_f32 v[120:121], v[120:121], v[136:137] neg_lo:[0,1] neg_hi:[0,1]
.LBB59_55:
	s_or_b32 exec_lo, exec_lo, s1
	s_delay_alu instid0(SALU_CYCLE_1)
	s_mov_b32 s2, exec_lo
	s_wait_dscnt 0x0
	s_barrier_signal -1
	s_barrier_wait -1
	v_cmpx_eq_u32_e32 6, v182
	s_cbranch_execz .LBB59_62
; %bb.56:
	ds_store_b64 v183, v[26:27]
	ds_store_2addr_b64 v184, v[22:23], v[40:41] offset0:7 offset1:8
	ds_store_2addr_b64 v184, v[36:37], v[38:39] offset0:9 offset1:10
	;; [unrolled: 1-line block ×11, first 2 shown]
	ds_store_b64 v184, v[120:121] offset:232
	ds_load_b64 v[134:135], v183
	s_wait_dscnt 0x0
	v_cmp_neq_f32_e32 vcc_lo, 0, v134
	v_cmp_neq_f32_e64 s1, 0, v135
	s_or_b32 s1, vcc_lo, s1
	s_delay_alu instid0(SALU_CYCLE_1)
	s_and_b32 exec_lo, exec_lo, s1
	s_cbranch_execz .LBB59_62
; %bb.57:
	v_cmp_ngt_f32_e64 s1, |v134|, |v135|
                                        ; implicit-def: $vgpr136_vgpr137
	s_and_saveexec_b32 s4, s1
	s_delay_alu instid0(SALU_CYCLE_1)
	s_xor_b32 s1, exec_lo, s4
	s_cbranch_execz .LBB59_59
; %bb.58:
	v_div_scale_f32 v136, null, v135, v135, v134
	v_div_scale_f32 v139, vcc_lo, v134, v135, v134
	s_delay_alu instid0(VALU_DEP_2) | instskip(SKIP_1) | instid1(TRANS32_DEP_1)
	v_rcp_f32_e32 v137, v136
	v_nop
	v_fma_f32 v138, -v136, v137, 1.0
	s_delay_alu instid0(VALU_DEP_1) | instskip(NEXT) | instid1(VALU_DEP_1)
	v_fmac_f32_e32 v137, v138, v137
	v_mul_f32_e32 v138, v139, v137
	s_delay_alu instid0(VALU_DEP_1) | instskip(NEXT) | instid1(VALU_DEP_1)
	v_fma_f32 v140, -v136, v138, v139
	v_fmac_f32_e32 v138, v140, v137
	s_delay_alu instid0(VALU_DEP_1) | instskip(NEXT) | instid1(VALU_DEP_1)
	v_fma_f32 v136, -v136, v138, v139
	v_div_fmas_f32 v136, v136, v137, v138
	s_delay_alu instid0(VALU_DEP_1) | instskip(NEXT) | instid1(VALU_DEP_1)
	v_div_fixup_f32 v136, v136, v135, v134
	v_fmac_f32_e32 v135, v134, v136
	s_delay_alu instid0(VALU_DEP_1) | instskip(SKIP_1) | instid1(VALU_DEP_2)
	v_div_scale_f32 v134, null, v135, v135, 1.0
	v_div_scale_f32 v139, vcc_lo, 1.0, v135, 1.0
	v_rcp_f32_e32 v137, v134
	v_nop
	s_delay_alu instid0(TRANS32_DEP_1) | instskip(NEXT) | instid1(VALU_DEP_1)
	v_fma_f32 v138, -v134, v137, 1.0
	v_fmac_f32_e32 v137, v138, v137
	s_delay_alu instid0(VALU_DEP_1) | instskip(NEXT) | instid1(VALU_DEP_1)
	v_mul_f32_e32 v138, v139, v137
	v_fma_f32 v140, -v134, v138, v139
	s_delay_alu instid0(VALU_DEP_1) | instskip(NEXT) | instid1(VALU_DEP_1)
	v_fmac_f32_e32 v138, v140, v137
	v_fma_f32 v134, -v134, v138, v139
	s_delay_alu instid0(VALU_DEP_1) | instskip(NEXT) | instid1(VALU_DEP_1)
	v_div_fmas_f32 v134, v134, v137, v138
	v_div_fixup_f32 v134, v134, v135, 1.0
	s_delay_alu instid0(VALU_DEP_1)
	v_mul_f32_e32 v136, v136, v134
	v_xor_b32_e32 v137, 0x80000000, v134
                                        ; implicit-def: $vgpr134_vgpr135
.LBB59_59:
	s_and_not1_saveexec_b32 s1, s1
	s_cbranch_execz .LBB59_61
; %bb.60:
	v_div_scale_f32 v136, null, v134, v134, v135
	v_div_scale_f32 v139, vcc_lo, v135, v134, v135
	s_delay_alu instid0(VALU_DEP_2) | instskip(SKIP_1) | instid1(TRANS32_DEP_1)
	v_rcp_f32_e32 v137, v136
	v_nop
	v_fma_f32 v138, -v136, v137, 1.0
	s_delay_alu instid0(VALU_DEP_1) | instskip(NEXT) | instid1(VALU_DEP_1)
	v_fmac_f32_e32 v137, v138, v137
	v_mul_f32_e32 v138, v139, v137
	s_delay_alu instid0(VALU_DEP_1) | instskip(NEXT) | instid1(VALU_DEP_1)
	v_fma_f32 v140, -v136, v138, v139
	v_fmac_f32_e32 v138, v140, v137
	s_delay_alu instid0(VALU_DEP_1) | instskip(NEXT) | instid1(VALU_DEP_1)
	v_fma_f32 v136, -v136, v138, v139
	v_div_fmas_f32 v136, v136, v137, v138
	s_delay_alu instid0(VALU_DEP_1) | instskip(NEXT) | instid1(VALU_DEP_1)
	v_div_fixup_f32 v137, v136, v134, v135
	v_fmac_f32_e32 v134, v135, v137
	s_delay_alu instid0(VALU_DEP_1) | instskip(NEXT) | instid1(VALU_DEP_1)
	v_div_scale_f32 v135, null, v134, v134, 1.0
	v_rcp_f32_e32 v136, v135
	v_nop
	s_delay_alu instid0(TRANS32_DEP_1) | instskip(NEXT) | instid1(VALU_DEP_1)
	v_fma_f32 v138, -v135, v136, 1.0
	v_fmac_f32_e32 v136, v138, v136
	v_div_scale_f32 v138, vcc_lo, 1.0, v134, 1.0
	s_delay_alu instid0(VALU_DEP_1) | instskip(NEXT) | instid1(VALU_DEP_1)
	v_mul_f32_e32 v139, v138, v136
	v_fma_f32 v140, -v135, v139, v138
	s_delay_alu instid0(VALU_DEP_1) | instskip(NEXT) | instid1(VALU_DEP_1)
	v_fmac_f32_e32 v139, v140, v136
	v_fma_f32 v135, -v135, v139, v138
	s_delay_alu instid0(VALU_DEP_1) | instskip(NEXT) | instid1(VALU_DEP_1)
	v_div_fmas_f32 v135, v135, v136, v139
	v_div_fixup_f32 v136, v135, v134, 1.0
	s_delay_alu instid0(VALU_DEP_1)
	v_mul_f32_e64 v137, v137, -v136
.LBB59_61:
	s_or_b32 exec_lo, exec_lo, s1
	ds_store_b64 v183, v[136:137]
.LBB59_62:
	s_or_b32 exec_lo, exec_lo, s2
	s_wait_dscnt 0x0
	s_barrier_signal -1
	s_barrier_wait -1
	ds_load_b64 v[134:135], v183
	s_mov_b32 s1, exec_lo
	v_cmpx_lt_u32_e32 6, v182
	s_cbranch_execz .LBB59_64
; %bb.63:
	ds_load_2addr_b64 v[140:143], v184 offset0:7 offset1:8
	s_wait_dscnt 0x1
	v_pk_mul_f32 v[138:139], v[134:135], v[26:27] op_sel:[1,1] op_sel_hi:[0,1]
	s_delay_alu instid0(VALU_DEP_1) | instskip(SKIP_1) | instid1(VALU_DEP_1)
	v_pk_fma_f32 v[136:137], v[134:135], v[26:27], v[138:139] op_sel_hi:[1,0,1] neg_lo:[0,0,1] neg_hi:[0,0,1]
	v_pk_fma_f32 v[138:139], v[134:135], v[26:27], v[138:139] op_sel_hi:[1,0,1]
	v_dual_mov_b32 v26, v136 :: v_dual_mov_b32 v27, v139
	s_wait_dscnt 0x0
	s_delay_alu instid0(VALU_DEP_2) | instskip(NEXT) | instid1(VALU_DEP_1)
	v_pk_mul_f32 v[144:145], v[140:141], v[138:139] op_sel:[0,1]
	v_pk_fma_f32 v[146:147], v[140:141], v[136:137], v[144:145] op_sel:[0,0,1] op_sel_hi:[1,1,0] neg_lo:[0,0,1] neg_hi:[0,0,1]
	v_pk_fma_f32 v[140:141], v[140:141], v[136:137], v[144:145] op_sel:[0,0,1] op_sel_hi:[1,0,0]
	s_delay_alu instid0(VALU_DEP_1) | instskip(SKIP_1) | instid1(VALU_DEP_1)
	v_mov_b32_e32 v147, v141
	v_pk_mul_f32 v[140:141], v[142:143], v[138:139] op_sel:[0,1]
	v_pk_fma_f32 v[144:145], v[142:143], v[136:137], v[140:141] op_sel:[0,0,1] op_sel_hi:[1,1,0] neg_lo:[0,0,1] neg_hi:[0,0,1]
	v_pk_fma_f32 v[140:141], v[142:143], v[136:137], v[140:141] op_sel:[0,0,1] op_sel_hi:[1,0,0]
	s_delay_alu instid0(VALU_DEP_1)
	v_mov_b32_e32 v145, v141
	ds_load_2addr_b64 v[140:143], v184 offset0:9 offset1:10
	v_pk_add_f32 v[22:23], v[22:23], v[146:147] neg_lo:[0,1] neg_hi:[0,1]
	v_pk_add_f32 v[40:41], v[40:41], v[144:145] neg_lo:[0,1] neg_hi:[0,1]
	s_wait_dscnt 0x0
	v_pk_mul_f32 v[144:145], v[140:141], v[138:139] op_sel:[0,1]
	s_delay_alu instid0(VALU_DEP_1) | instskip(SKIP_2) | instid1(VALU_DEP_2)
	v_pk_fma_f32 v[146:147], v[140:141], v[136:137], v[144:145] op_sel:[0,0,1] op_sel_hi:[1,1,0] neg_lo:[0,0,1] neg_hi:[0,0,1]
	v_pk_fma_f32 v[140:141], v[140:141], v[136:137], v[144:145] op_sel:[0,0,1] op_sel_hi:[1,0,0]
	v_dual_mul_f32 v144, v143, v139 :: v_dual_mov_b32 v140, v143
	v_dual_mov_b32 v147, v141 :: v_dual_mov_b32 v141, v142
	s_delay_alu instid0(VALU_DEP_2) | instskip(SKIP_1) | instid1(VALU_DEP_3)
	v_pk_fma_f32 v[144:145], v[142:143], v[26:27], v[144:145] op_sel_hi:[1,1,0] neg_lo:[0,0,1] neg_hi:[0,0,1]
	v_mul_f32_e32 v142, v143, v136
	v_pk_add_f32 v[36:37], v[36:37], v[146:147] neg_lo:[0,1] neg_hi:[0,1]
	s_delay_alu instid0(VALU_DEP_2) | instskip(NEXT) | instid1(VALU_DEP_1)
	v_pk_fma_f32 v[140:141], v[140:141], v[26:27], v[142:143] op_sel_hi:[1,1,0]
	v_mov_b32_e32 v145, v141
	ds_load_2addr_b64 v[140:143], v184 offset0:11 offset1:12
	v_pk_add_f32 v[38:39], v[38:39], v[144:145] neg_lo:[0,1] neg_hi:[0,1]
	s_wait_dscnt 0x0
	v_pk_mul_f32 v[144:145], v[140:141], v[138:139] op_sel:[0,1]
	s_delay_alu instid0(VALU_DEP_1) | instskip(SKIP_1) | instid1(VALU_DEP_1)
	v_pk_fma_f32 v[146:147], v[140:141], v[136:137], v[144:145] op_sel:[0,0,1] op_sel_hi:[1,1,0] neg_lo:[0,0,1] neg_hi:[0,0,1]
	v_pk_fma_f32 v[140:141], v[140:141], v[136:137], v[144:145] op_sel:[0,0,1] op_sel_hi:[1,0,0]
	v_mov_b32_e32 v147, v141
	v_pk_mul_f32 v[140:141], v[142:143], v[138:139] op_sel:[0,1]
	s_delay_alu instid0(VALU_DEP_1) | instskip(SKIP_1) | instid1(VALU_DEP_1)
	v_pk_fma_f32 v[144:145], v[142:143], v[136:137], v[140:141] op_sel:[0,0,1] op_sel_hi:[1,1,0] neg_lo:[0,0,1] neg_hi:[0,0,1]
	v_pk_fma_f32 v[140:141], v[142:143], v[136:137], v[140:141] op_sel:[0,0,1] op_sel_hi:[1,0,0]
	v_mov_b32_e32 v145, v141
	ds_load_2addr_b64 v[140:143], v184 offset0:13 offset1:14
	v_pk_add_f32 v[88:89], v[88:89], v[146:147] neg_lo:[0,1] neg_hi:[0,1]
	v_pk_add_f32 v[108:109], v[108:109], v[144:145] neg_lo:[0,1] neg_hi:[0,1]
	s_wait_dscnt 0x0
	v_pk_mul_f32 v[144:145], v[140:141], v[138:139] op_sel:[0,1]
	s_delay_alu instid0(VALU_DEP_1) | instskip(SKIP_1) | instid1(VALU_DEP_1)
	v_pk_fma_f32 v[146:147], v[140:141], v[136:137], v[144:145] op_sel:[0,0,1] op_sel_hi:[1,1,0] neg_lo:[0,0,1] neg_hi:[0,0,1]
	v_pk_fma_f32 v[140:141], v[140:141], v[136:137], v[144:145] op_sel:[0,0,1] op_sel_hi:[1,0,0]
	v_mov_b32_e32 v147, v141
	v_pk_mul_f32 v[140:141], v[142:143], v[138:139] op_sel:[0,1]
	s_delay_alu instid0(VALU_DEP_1) | instskip(SKIP_1) | instid1(VALU_DEP_1)
	v_pk_fma_f32 v[144:145], v[142:143], v[136:137], v[140:141] op_sel:[0,0,1] op_sel_hi:[1,1,0] neg_lo:[0,0,1] neg_hi:[0,0,1]
	v_pk_fma_f32 v[140:141], v[142:143], v[136:137], v[140:141] op_sel:[0,0,1] op_sel_hi:[1,0,0]
	v_mov_b32_e32 v145, v141
	ds_load_2addr_b64 v[140:143], v184 offset0:15 offset1:16
	v_pk_add_f32 v[60:61], v[60:61], v[146:147] neg_lo:[0,1] neg_hi:[0,1]
	v_pk_add_f32 v[62:63], v[62:63], v[144:145] neg_lo:[0,1] neg_hi:[0,1]
	s_wait_dscnt 0x0
	v_dual_mul_f32 v144, v141, v139 :: v_dual_mul_f32 v146, v141, v136
	s_delay_alu instid0(VALU_DEP_1) | instskip(NEXT) | instid1(VALU_DEP_2)
	v_pk_fma_f32 v[144:145], v[140:141], v[26:27], v[144:145] op_sel_hi:[1,1,0] neg_lo:[0,0,1] neg_hi:[0,0,1]
	v_pk_fma_f32 v[140:141], v[140:141], v[26:27], v[146:147] op_sel:[1,0,0] op_sel_hi:[0,1,0]
	s_delay_alu instid0(VALU_DEP_1) | instskip(SKIP_1) | instid1(VALU_DEP_2)
	v_mov_b32_e32 v145, v141
	v_pk_mul_f32 v[140:141], v[142:143], v[138:139] op_sel:[0,1]
	v_pk_add_f32 v[58:59], v[58:59], v[144:145] neg_lo:[0,1] neg_hi:[0,1]
	s_delay_alu instid0(VALU_DEP_2) | instskip(SKIP_1) | instid1(VALU_DEP_1)
	v_pk_fma_f32 v[144:145], v[142:143], v[136:137], v[140:141] op_sel:[0,0,1] op_sel_hi:[1,1,0] neg_lo:[0,0,1] neg_hi:[0,0,1]
	v_pk_fma_f32 v[140:141], v[142:143], v[136:137], v[140:141] op_sel:[0,0,1] op_sel_hi:[1,0,0]
	v_mov_b32_e32 v145, v141
	ds_load_2addr_b64 v[140:143], v184 offset0:17 offset1:18
	v_pk_add_f32 v[78:79], v[78:79], v[144:145] neg_lo:[0,1] neg_hi:[0,1]
	s_wait_dscnt 0x0
	v_pk_mul_f32 v[144:145], v[140:141], v[138:139] op_sel:[0,1]
	s_delay_alu instid0(VALU_DEP_1) | instskip(SKIP_1) | instid1(VALU_DEP_1)
	v_pk_fma_f32 v[146:147], v[140:141], v[136:137], v[144:145] op_sel:[0,0,1] op_sel_hi:[1,1,0] neg_lo:[0,0,1] neg_hi:[0,0,1]
	v_pk_fma_f32 v[140:141], v[140:141], v[136:137], v[144:145] op_sel:[0,0,1] op_sel_hi:[1,0,0]
	v_mov_b32_e32 v147, v141
	v_pk_mul_f32 v[140:141], v[142:143], v[138:139] op_sel:[0,1]
	s_delay_alu instid0(VALU_DEP_2) | instskip(NEXT) | instid1(VALU_DEP_2)
	v_pk_add_f32 v[74:75], v[74:75], v[146:147] neg_lo:[0,1] neg_hi:[0,1]
	v_pk_fma_f32 v[144:145], v[142:143], v[136:137], v[140:141] op_sel:[0,0,1] op_sel_hi:[1,1,0] neg_lo:[0,0,1] neg_hi:[0,0,1]
	v_pk_fma_f32 v[140:141], v[142:143], v[136:137], v[140:141] op_sel:[0,0,1] op_sel_hi:[1,0,0]
	s_delay_alu instid0(VALU_DEP_1) | instskip(SKIP_4) | instid1(VALU_DEP_1)
	v_mov_b32_e32 v145, v141
	ds_load_2addr_b64 v[140:143], v184 offset0:19 offset1:20
	v_pk_add_f32 v[76:77], v[76:77], v[144:145] neg_lo:[0,1] neg_hi:[0,1]
	s_wait_dscnt 0x0
	v_pk_mul_f32 v[144:145], v[140:141], v[138:139] op_sel:[0,1]
	v_pk_fma_f32 v[146:147], v[140:141], v[136:137], v[144:145] op_sel:[0,0,1] op_sel_hi:[1,1,0] neg_lo:[0,0,1] neg_hi:[0,0,1]
	v_pk_fma_f32 v[140:141], v[140:141], v[136:137], v[144:145] op_sel:[0,0,1] op_sel_hi:[1,0,0]
	v_dual_mul_f32 v144, v143, v139 :: v_dual_mov_b32 v140, v143
	s_delay_alu instid0(VALU_DEP_2) | instskip(NEXT) | instid1(VALU_DEP_2)
	v_dual_mov_b32 v147, v141 :: v_dual_mov_b32 v141, v142
	v_pk_fma_f32 v[144:145], v[142:143], v[26:27], v[144:145] op_sel_hi:[1,1,0] neg_lo:[0,0,1] neg_hi:[0,0,1]
	v_mul_f32_e32 v142, v143, v136
	s_delay_alu instid0(VALU_DEP_3) | instskip(NEXT) | instid1(VALU_DEP_2)
	v_pk_add_f32 v[72:73], v[72:73], v[146:147] neg_lo:[0,1] neg_hi:[0,1]
	v_pk_fma_f32 v[140:141], v[140:141], v[26:27], v[142:143] op_sel_hi:[1,1,0]
	s_delay_alu instid0(VALU_DEP_1) | instskip(SKIP_4) | instid1(VALU_DEP_1)
	v_mov_b32_e32 v145, v141
	ds_load_2addr_b64 v[140:143], v184 offset0:21 offset1:22
	v_pk_add_f32 v[98:99], v[98:99], v[144:145] neg_lo:[0,1] neg_hi:[0,1]
	s_wait_dscnt 0x0
	v_pk_mul_f32 v[144:145], v[140:141], v[138:139] op_sel:[0,1]
	v_pk_fma_f32 v[146:147], v[140:141], v[136:137], v[144:145] op_sel:[0,0,1] op_sel_hi:[1,1,0] neg_lo:[0,0,1] neg_hi:[0,0,1]
	v_pk_fma_f32 v[140:141], v[140:141], v[136:137], v[144:145] op_sel:[0,0,1] op_sel_hi:[1,0,0]
	s_delay_alu instid0(VALU_DEP_1) | instskip(SKIP_1) | instid1(VALU_DEP_1)
	v_mov_b32_e32 v147, v141
	v_pk_mul_f32 v[140:141], v[142:143], v[138:139] op_sel:[0,1]
	v_pk_fma_f32 v[144:145], v[142:143], v[136:137], v[140:141] op_sel:[0,0,1] op_sel_hi:[1,1,0] neg_lo:[0,0,1] neg_hi:[0,0,1]
	v_pk_fma_f32 v[140:141], v[142:143], v[136:137], v[140:141] op_sel:[0,0,1] op_sel_hi:[1,0,0]
	s_delay_alu instid0(VALU_DEP_1)
	v_mov_b32_e32 v145, v141
	ds_load_2addr_b64 v[140:143], v184 offset0:23 offset1:24
	v_pk_add_f32 v[94:95], v[94:95], v[146:147] neg_lo:[0,1] neg_hi:[0,1]
	v_pk_add_f32 v[96:97], v[96:97], v[144:145] neg_lo:[0,1] neg_hi:[0,1]
	s_wait_dscnt 0x0
	v_pk_mul_f32 v[144:145], v[140:141], v[138:139] op_sel:[0,1]
	s_delay_alu instid0(VALU_DEP_1) | instskip(SKIP_1) | instid1(VALU_DEP_1)
	v_pk_fma_f32 v[146:147], v[140:141], v[136:137], v[144:145] op_sel:[0,0,1] op_sel_hi:[1,1,0] neg_lo:[0,0,1] neg_hi:[0,0,1]
	v_pk_fma_f32 v[140:141], v[140:141], v[136:137], v[144:145] op_sel:[0,0,1] op_sel_hi:[1,0,0]
	v_mov_b32_e32 v147, v141
	v_pk_mul_f32 v[140:141], v[142:143], v[138:139] op_sel:[0,1]
	s_delay_alu instid0(VALU_DEP_1) | instskip(SKIP_1) | instid1(VALU_DEP_1)
	v_pk_fma_f32 v[144:145], v[142:143], v[136:137], v[140:141] op_sel:[0,0,1] op_sel_hi:[1,1,0] neg_lo:[0,0,1] neg_hi:[0,0,1]
	v_pk_fma_f32 v[140:141], v[142:143], v[136:137], v[140:141] op_sel:[0,0,1] op_sel_hi:[1,0,0]
	v_mov_b32_e32 v145, v141
	ds_load_2addr_b64 v[140:143], v184 offset0:25 offset1:26
	v_pk_add_f32 v[92:93], v[92:93], v[146:147] neg_lo:[0,1] neg_hi:[0,1]
	v_pk_add_f32 v[114:115], v[114:115], v[144:145] neg_lo:[0,1] neg_hi:[0,1]
	s_wait_dscnt 0x0
	v_dual_mul_f32 v144, v141, v139 :: v_dual_mul_f32 v146, v141, v136
	s_delay_alu instid0(VALU_DEP_1) | instskip(NEXT) | instid1(VALU_DEP_2)
	v_pk_fma_f32 v[144:145], v[140:141], v[26:27], v[144:145] op_sel_hi:[1,1,0] neg_lo:[0,0,1] neg_hi:[0,0,1]
	v_pk_fma_f32 v[140:141], v[140:141], v[26:27], v[146:147] op_sel:[1,0,0] op_sel_hi:[0,1,0]
	s_delay_alu instid0(VALU_DEP_1) | instskip(SKIP_1) | instid1(VALU_DEP_2)
	v_mov_b32_e32 v145, v141
	v_pk_mul_f32 v[140:141], v[142:143], v[138:139] op_sel:[0,1]
	v_pk_add_f32 v[110:111], v[110:111], v[144:145] neg_lo:[0,1] neg_hi:[0,1]
	s_delay_alu instid0(VALU_DEP_2) | instskip(SKIP_1) | instid1(VALU_DEP_1)
	v_pk_fma_f32 v[144:145], v[142:143], v[136:137], v[140:141] op_sel:[0,0,1] op_sel_hi:[1,1,0] neg_lo:[0,0,1] neg_hi:[0,0,1]
	v_pk_fma_f32 v[140:141], v[142:143], v[136:137], v[140:141] op_sel:[0,0,1] op_sel_hi:[1,0,0]
	v_mov_b32_e32 v145, v141
	ds_load_2addr_b64 v[140:143], v184 offset0:27 offset1:28
	v_pk_add_f32 v[112:113], v[112:113], v[144:145] neg_lo:[0,1] neg_hi:[0,1]
	s_wait_dscnt 0x0
	v_pk_mul_f32 v[144:145], v[140:141], v[138:139] op_sel:[0,1]
	s_delay_alu instid0(VALU_DEP_1) | instskip(SKIP_1) | instid1(VALU_DEP_1)
	v_pk_fma_f32 v[146:147], v[140:141], v[136:137], v[144:145] op_sel:[0,0,1] op_sel_hi:[1,1,0] neg_lo:[0,0,1] neg_hi:[0,0,1]
	v_pk_fma_f32 v[140:141], v[140:141], v[136:137], v[144:145] op_sel:[0,0,1] op_sel_hi:[1,0,0]
	v_mov_b32_e32 v147, v141
	v_pk_mul_f32 v[140:141], v[142:143], v[138:139] op_sel:[0,1]
	s_delay_alu instid0(VALU_DEP_2) | instskip(NEXT) | instid1(VALU_DEP_2)
	v_pk_add_f32 v[118:119], v[118:119], v[146:147] neg_lo:[0,1] neg_hi:[0,1]
	v_pk_fma_f32 v[144:145], v[142:143], v[136:137], v[140:141] op_sel:[0,0,1] op_sel_hi:[1,1,0] neg_lo:[0,0,1] neg_hi:[0,0,1]
	v_pk_fma_f32 v[140:141], v[142:143], v[136:137], v[140:141] op_sel:[0,0,1] op_sel_hi:[1,0,0]
	s_delay_alu instid0(VALU_DEP_1) | instskip(SKIP_4) | instid1(VALU_DEP_1)
	v_mov_b32_e32 v145, v141
	ds_load_b64 v[140:141], v184 offset:232
	v_pk_add_f32 v[116:117], v[116:117], v[144:145] neg_lo:[0,1] neg_hi:[0,1]
	s_wait_dscnt 0x0
	v_pk_mul_f32 v[138:139], v[140:141], v[138:139] op_sel:[0,1]
	v_pk_fma_f32 v[142:143], v[140:141], v[136:137], v[138:139] op_sel:[0,0,1] op_sel_hi:[1,1,0] neg_lo:[0,0,1] neg_hi:[0,0,1]
	v_pk_fma_f32 v[136:137], v[140:141], v[136:137], v[138:139] op_sel:[0,0,1] op_sel_hi:[1,0,0]
	s_delay_alu instid0(VALU_DEP_1) | instskip(NEXT) | instid1(VALU_DEP_1)
	v_mov_b32_e32 v143, v137
	v_pk_add_f32 v[120:121], v[120:121], v[142:143] neg_lo:[0,1] neg_hi:[0,1]
.LBB59_64:
	s_or_b32 exec_lo, exec_lo, s1
	s_delay_alu instid0(SALU_CYCLE_1)
	s_mov_b32 s2, exec_lo
	s_wait_dscnt 0x0
	s_barrier_signal -1
	s_barrier_wait -1
	v_cmpx_eq_u32_e32 7, v182
	s_cbranch_execz .LBB59_71
; %bb.65:
	v_dual_mov_b32 v136, v40 :: v_dual_mov_b32 v137, v41
	v_dual_mov_b32 v138, v36 :: v_dual_mov_b32 v139, v37
	ds_store_b64 v183, v[22:23]
	ds_store_2addr_b64 v184, v[136:137], v[138:139] offset0:8 offset1:9
	v_dual_mov_b32 v136, v38 :: v_dual_mov_b32 v137, v39
	v_dual_mov_b32 v138, v88 :: v_dual_mov_b32 v139, v89
	ds_store_2addr_b64 v184, v[136:137], v[138:139] offset0:10 offset1:11
	v_dual_mov_b32 v136, v108 :: v_dual_mov_b32 v137, v109
	v_dual_mov_b32 v138, v60 :: v_dual_mov_b32 v139, v61
	;; [unrolled: 3-line block ×9, first 2 shown]
	ds_store_2addr_b64 v184, v[136:137], v[138:139] offset0:26 offset1:27
	v_dual_mov_b32 v136, v116 :: v_dual_mov_b32 v137, v117
	ds_store_2addr_b64 v184, v[136:137], v[120:121] offset0:28 offset1:29
	ds_load_b64 v[136:137], v183
	s_wait_dscnt 0x0
	v_cmp_neq_f32_e32 vcc_lo, 0, v136
	v_cmp_neq_f32_e64 s1, 0, v137
	s_or_b32 s1, vcc_lo, s1
	s_delay_alu instid0(SALU_CYCLE_1)
	s_and_b32 exec_lo, exec_lo, s1
	s_cbranch_execz .LBB59_71
; %bb.66:
	v_cmp_ngt_f32_e64 s1, |v136|, |v137|
                                        ; implicit-def: $vgpr138_vgpr139
	s_and_saveexec_b32 s4, s1
	s_delay_alu instid0(SALU_CYCLE_1)
	s_xor_b32 s1, exec_lo, s4
	s_cbranch_execz .LBB59_68
; %bb.67:
	v_div_scale_f32 v138, null, v137, v137, v136
	v_div_scale_f32 v141, vcc_lo, v136, v137, v136
	s_delay_alu instid0(VALU_DEP_2) | instskip(SKIP_1) | instid1(TRANS32_DEP_1)
	v_rcp_f32_e32 v139, v138
	v_nop
	v_fma_f32 v140, -v138, v139, 1.0
	s_delay_alu instid0(VALU_DEP_1) | instskip(NEXT) | instid1(VALU_DEP_1)
	v_fmac_f32_e32 v139, v140, v139
	v_mul_f32_e32 v140, v141, v139
	s_delay_alu instid0(VALU_DEP_1) | instskip(NEXT) | instid1(VALU_DEP_1)
	v_fma_f32 v142, -v138, v140, v141
	v_fmac_f32_e32 v140, v142, v139
	s_delay_alu instid0(VALU_DEP_1) | instskip(NEXT) | instid1(VALU_DEP_1)
	v_fma_f32 v138, -v138, v140, v141
	v_div_fmas_f32 v138, v138, v139, v140
	s_delay_alu instid0(VALU_DEP_1) | instskip(NEXT) | instid1(VALU_DEP_1)
	v_div_fixup_f32 v138, v138, v137, v136
	v_fmac_f32_e32 v137, v136, v138
	s_delay_alu instid0(VALU_DEP_1) | instskip(SKIP_1) | instid1(VALU_DEP_2)
	v_div_scale_f32 v136, null, v137, v137, 1.0
	v_div_scale_f32 v141, vcc_lo, 1.0, v137, 1.0
	v_rcp_f32_e32 v139, v136
	v_nop
	s_delay_alu instid0(TRANS32_DEP_1) | instskip(NEXT) | instid1(VALU_DEP_1)
	v_fma_f32 v140, -v136, v139, 1.0
	v_fmac_f32_e32 v139, v140, v139
	s_delay_alu instid0(VALU_DEP_1) | instskip(NEXT) | instid1(VALU_DEP_1)
	v_mul_f32_e32 v140, v141, v139
	v_fma_f32 v142, -v136, v140, v141
	s_delay_alu instid0(VALU_DEP_1) | instskip(NEXT) | instid1(VALU_DEP_1)
	v_fmac_f32_e32 v140, v142, v139
	v_fma_f32 v136, -v136, v140, v141
	s_delay_alu instid0(VALU_DEP_1) | instskip(NEXT) | instid1(VALU_DEP_1)
	v_div_fmas_f32 v136, v136, v139, v140
	v_div_fixup_f32 v136, v136, v137, 1.0
	s_delay_alu instid0(VALU_DEP_1)
	v_mul_f32_e32 v138, v138, v136
	v_xor_b32_e32 v139, 0x80000000, v136
                                        ; implicit-def: $vgpr136_vgpr137
.LBB59_68:
	s_and_not1_saveexec_b32 s1, s1
	s_cbranch_execz .LBB59_70
; %bb.69:
	v_div_scale_f32 v138, null, v136, v136, v137
	v_div_scale_f32 v141, vcc_lo, v137, v136, v137
	s_delay_alu instid0(VALU_DEP_2) | instskip(SKIP_1) | instid1(TRANS32_DEP_1)
	v_rcp_f32_e32 v139, v138
	v_nop
	v_fma_f32 v140, -v138, v139, 1.0
	s_delay_alu instid0(VALU_DEP_1) | instskip(NEXT) | instid1(VALU_DEP_1)
	v_fmac_f32_e32 v139, v140, v139
	v_mul_f32_e32 v140, v141, v139
	s_delay_alu instid0(VALU_DEP_1) | instskip(NEXT) | instid1(VALU_DEP_1)
	v_fma_f32 v142, -v138, v140, v141
	v_fmac_f32_e32 v140, v142, v139
	s_delay_alu instid0(VALU_DEP_1) | instskip(NEXT) | instid1(VALU_DEP_1)
	v_fma_f32 v138, -v138, v140, v141
	v_div_fmas_f32 v138, v138, v139, v140
	s_delay_alu instid0(VALU_DEP_1) | instskip(NEXT) | instid1(VALU_DEP_1)
	v_div_fixup_f32 v139, v138, v136, v137
	v_fmac_f32_e32 v136, v137, v139
	s_delay_alu instid0(VALU_DEP_1) | instskip(NEXT) | instid1(VALU_DEP_1)
	v_div_scale_f32 v137, null, v136, v136, 1.0
	v_rcp_f32_e32 v138, v137
	v_nop
	s_delay_alu instid0(TRANS32_DEP_1) | instskip(NEXT) | instid1(VALU_DEP_1)
	v_fma_f32 v140, -v137, v138, 1.0
	v_fmac_f32_e32 v138, v140, v138
	v_div_scale_f32 v140, vcc_lo, 1.0, v136, 1.0
	s_delay_alu instid0(VALU_DEP_1) | instskip(NEXT) | instid1(VALU_DEP_1)
	v_mul_f32_e32 v141, v140, v138
	v_fma_f32 v142, -v137, v141, v140
	s_delay_alu instid0(VALU_DEP_1) | instskip(NEXT) | instid1(VALU_DEP_1)
	v_fmac_f32_e32 v141, v142, v138
	v_fma_f32 v137, -v137, v141, v140
	s_delay_alu instid0(VALU_DEP_1) | instskip(NEXT) | instid1(VALU_DEP_1)
	v_div_fmas_f32 v137, v137, v138, v141
	v_div_fixup_f32 v138, v137, v136, 1.0
	s_delay_alu instid0(VALU_DEP_1)
	v_mul_f32_e64 v139, v139, -v138
.LBB59_70:
	s_or_b32 exec_lo, exec_lo, s1
	ds_store_b64 v183, v[138:139]
.LBB59_71:
	s_or_b32 exec_lo, exec_lo, s2
	s_wait_dscnt 0x0
	s_barrier_signal -1
	s_barrier_wait -1
	ds_load_b64 v[136:137], v183
	s_mov_b32 s1, exec_lo
	v_cmpx_lt_u32_e32 7, v182
	s_cbranch_execz .LBB59_73
; %bb.72:
	ds_load_2addr_b64 v[142:145], v184 offset0:8 offset1:9
	s_wait_dscnt 0x1
	v_pk_mul_f32 v[140:141], v[136:137], v[22:23] op_sel:[1,1] op_sel_hi:[0,1]
	s_delay_alu instid0(VALU_DEP_1) | instskip(SKIP_1) | instid1(VALU_DEP_1)
	v_pk_fma_f32 v[138:139], v[136:137], v[22:23], v[140:141] op_sel_hi:[1,0,1] neg_lo:[0,0,1] neg_hi:[0,0,1]
	v_pk_fma_f32 v[140:141], v[136:137], v[22:23], v[140:141] op_sel_hi:[1,0,1]
	v_dual_mov_b32 v22, v138 :: v_dual_mov_b32 v23, v141
	s_wait_dscnt 0x0
	s_delay_alu instid0(VALU_DEP_2) | instskip(NEXT) | instid1(VALU_DEP_1)
	v_pk_mul_f32 v[146:147], v[142:143], v[140:141] op_sel:[0,1]
	v_pk_fma_f32 v[148:149], v[142:143], v[138:139], v[146:147] op_sel:[0,0,1] op_sel_hi:[1,1,0] neg_lo:[0,0,1] neg_hi:[0,0,1]
	v_pk_fma_f32 v[142:143], v[142:143], v[138:139], v[146:147] op_sel:[0,0,1] op_sel_hi:[1,0,0]
	s_delay_alu instid0(VALU_DEP_1) | instskip(SKIP_1) | instid1(VALU_DEP_1)
	v_mov_b32_e32 v149, v143
	v_pk_mul_f32 v[142:143], v[144:145], v[140:141] op_sel:[0,1]
	v_pk_fma_f32 v[146:147], v[144:145], v[138:139], v[142:143] op_sel:[0,0,1] op_sel_hi:[1,1,0] neg_lo:[0,0,1] neg_hi:[0,0,1]
	v_pk_fma_f32 v[142:143], v[144:145], v[138:139], v[142:143] op_sel:[0,0,1] op_sel_hi:[1,0,0]
	s_delay_alu instid0(VALU_DEP_1)
	v_mov_b32_e32 v147, v143
	ds_load_2addr_b64 v[142:145], v184 offset0:10 offset1:11
	v_pk_add_f32 v[40:41], v[40:41], v[148:149] neg_lo:[0,1] neg_hi:[0,1]
	v_pk_add_f32 v[36:37], v[36:37], v[146:147] neg_lo:[0,1] neg_hi:[0,1]
	s_wait_dscnt 0x0
	v_pk_mul_f32 v[146:147], v[142:143], v[140:141] op_sel:[0,1]
	s_delay_alu instid0(VALU_DEP_1) | instskip(SKIP_2) | instid1(VALU_DEP_2)
	v_pk_fma_f32 v[148:149], v[142:143], v[138:139], v[146:147] op_sel:[0,0,1] op_sel_hi:[1,1,0] neg_lo:[0,0,1] neg_hi:[0,0,1]
	v_pk_fma_f32 v[142:143], v[142:143], v[138:139], v[146:147] op_sel:[0,0,1] op_sel_hi:[1,0,0]
	v_dual_mul_f32 v146, v145, v141 :: v_dual_mov_b32 v142, v145
	v_dual_mov_b32 v149, v143 :: v_dual_mov_b32 v143, v144
	s_delay_alu instid0(VALU_DEP_2) | instskip(SKIP_1) | instid1(VALU_DEP_3)
	v_pk_fma_f32 v[146:147], v[144:145], v[22:23], v[146:147] op_sel_hi:[1,1,0] neg_lo:[0,0,1] neg_hi:[0,0,1]
	v_mul_f32_e32 v144, v145, v138
	v_pk_add_f32 v[38:39], v[38:39], v[148:149] neg_lo:[0,1] neg_hi:[0,1]
	s_delay_alu instid0(VALU_DEP_2) | instskip(NEXT) | instid1(VALU_DEP_1)
	v_pk_fma_f32 v[142:143], v[142:143], v[22:23], v[144:145] op_sel_hi:[1,1,0]
	v_mov_b32_e32 v147, v143
	ds_load_2addr_b64 v[142:145], v184 offset0:12 offset1:13
	v_pk_add_f32 v[88:89], v[88:89], v[146:147] neg_lo:[0,1] neg_hi:[0,1]
	s_wait_dscnt 0x0
	v_pk_mul_f32 v[146:147], v[142:143], v[140:141] op_sel:[0,1]
	s_delay_alu instid0(VALU_DEP_1) | instskip(SKIP_1) | instid1(VALU_DEP_1)
	v_pk_fma_f32 v[148:149], v[142:143], v[138:139], v[146:147] op_sel:[0,0,1] op_sel_hi:[1,1,0] neg_lo:[0,0,1] neg_hi:[0,0,1]
	v_pk_fma_f32 v[142:143], v[142:143], v[138:139], v[146:147] op_sel:[0,0,1] op_sel_hi:[1,0,0]
	v_mov_b32_e32 v149, v143
	v_pk_mul_f32 v[142:143], v[144:145], v[140:141] op_sel:[0,1]
	s_delay_alu instid0(VALU_DEP_1) | instskip(SKIP_1) | instid1(VALU_DEP_1)
	v_pk_fma_f32 v[146:147], v[144:145], v[138:139], v[142:143] op_sel:[0,0,1] op_sel_hi:[1,1,0] neg_lo:[0,0,1] neg_hi:[0,0,1]
	v_pk_fma_f32 v[142:143], v[144:145], v[138:139], v[142:143] op_sel:[0,0,1] op_sel_hi:[1,0,0]
	v_mov_b32_e32 v147, v143
	ds_load_2addr_b64 v[142:145], v184 offset0:14 offset1:15
	v_pk_add_f32 v[108:109], v[108:109], v[148:149] neg_lo:[0,1] neg_hi:[0,1]
	v_pk_add_f32 v[60:61], v[60:61], v[146:147] neg_lo:[0,1] neg_hi:[0,1]
	s_wait_dscnt 0x0
	v_pk_mul_f32 v[146:147], v[142:143], v[140:141] op_sel:[0,1]
	s_delay_alu instid0(VALU_DEP_1) | instskip(SKIP_1) | instid1(VALU_DEP_1)
	v_pk_fma_f32 v[148:149], v[142:143], v[138:139], v[146:147] op_sel:[0,0,1] op_sel_hi:[1,1,0] neg_lo:[0,0,1] neg_hi:[0,0,1]
	v_pk_fma_f32 v[142:143], v[142:143], v[138:139], v[146:147] op_sel:[0,0,1] op_sel_hi:[1,0,0]
	v_mov_b32_e32 v149, v143
	v_pk_mul_f32 v[142:143], v[144:145], v[140:141] op_sel:[0,1]
	s_delay_alu instid0(VALU_DEP_1) | instskip(SKIP_1) | instid1(VALU_DEP_1)
	v_pk_fma_f32 v[146:147], v[144:145], v[138:139], v[142:143] op_sel:[0,0,1] op_sel_hi:[1,1,0] neg_lo:[0,0,1] neg_hi:[0,0,1]
	v_pk_fma_f32 v[142:143], v[144:145], v[138:139], v[142:143] op_sel:[0,0,1] op_sel_hi:[1,0,0]
	v_mov_b32_e32 v147, v143
	ds_load_2addr_b64 v[142:145], v184 offset0:16 offset1:17
	v_pk_add_f32 v[62:63], v[62:63], v[148:149] neg_lo:[0,1] neg_hi:[0,1]
	v_pk_add_f32 v[58:59], v[58:59], v[146:147] neg_lo:[0,1] neg_hi:[0,1]
	s_wait_dscnt 0x0
	v_dual_mul_f32 v146, v143, v141 :: v_dual_mul_f32 v148, v143, v138
	s_delay_alu instid0(VALU_DEP_1) | instskip(NEXT) | instid1(VALU_DEP_2)
	v_pk_fma_f32 v[146:147], v[142:143], v[22:23], v[146:147] op_sel_hi:[1,1,0] neg_lo:[0,0,1] neg_hi:[0,0,1]
	v_pk_fma_f32 v[142:143], v[142:143], v[22:23], v[148:149] op_sel:[1,0,0] op_sel_hi:[0,1,0]
	s_delay_alu instid0(VALU_DEP_1) | instskip(SKIP_1) | instid1(VALU_DEP_2)
	v_mov_b32_e32 v147, v143
	v_pk_mul_f32 v[142:143], v[144:145], v[140:141] op_sel:[0,1]
	v_pk_add_f32 v[78:79], v[78:79], v[146:147] neg_lo:[0,1] neg_hi:[0,1]
	s_delay_alu instid0(VALU_DEP_2) | instskip(SKIP_1) | instid1(VALU_DEP_1)
	v_pk_fma_f32 v[146:147], v[144:145], v[138:139], v[142:143] op_sel:[0,0,1] op_sel_hi:[1,1,0] neg_lo:[0,0,1] neg_hi:[0,0,1]
	v_pk_fma_f32 v[142:143], v[144:145], v[138:139], v[142:143] op_sel:[0,0,1] op_sel_hi:[1,0,0]
	v_mov_b32_e32 v147, v143
	ds_load_2addr_b64 v[142:145], v184 offset0:18 offset1:19
	v_pk_add_f32 v[74:75], v[74:75], v[146:147] neg_lo:[0,1] neg_hi:[0,1]
	s_wait_dscnt 0x0
	v_pk_mul_f32 v[146:147], v[142:143], v[140:141] op_sel:[0,1]
	s_delay_alu instid0(VALU_DEP_1) | instskip(SKIP_1) | instid1(VALU_DEP_1)
	v_pk_fma_f32 v[148:149], v[142:143], v[138:139], v[146:147] op_sel:[0,0,1] op_sel_hi:[1,1,0] neg_lo:[0,0,1] neg_hi:[0,0,1]
	v_pk_fma_f32 v[142:143], v[142:143], v[138:139], v[146:147] op_sel:[0,0,1] op_sel_hi:[1,0,0]
	v_mov_b32_e32 v149, v143
	v_pk_mul_f32 v[142:143], v[144:145], v[140:141] op_sel:[0,1]
	s_delay_alu instid0(VALU_DEP_2) | instskip(NEXT) | instid1(VALU_DEP_2)
	v_pk_add_f32 v[76:77], v[76:77], v[148:149] neg_lo:[0,1] neg_hi:[0,1]
	v_pk_fma_f32 v[146:147], v[144:145], v[138:139], v[142:143] op_sel:[0,0,1] op_sel_hi:[1,1,0] neg_lo:[0,0,1] neg_hi:[0,0,1]
	v_pk_fma_f32 v[142:143], v[144:145], v[138:139], v[142:143] op_sel:[0,0,1] op_sel_hi:[1,0,0]
	s_delay_alu instid0(VALU_DEP_1) | instskip(SKIP_4) | instid1(VALU_DEP_1)
	v_mov_b32_e32 v147, v143
	ds_load_2addr_b64 v[142:145], v184 offset0:20 offset1:21
	v_pk_add_f32 v[72:73], v[72:73], v[146:147] neg_lo:[0,1] neg_hi:[0,1]
	s_wait_dscnt 0x0
	v_pk_mul_f32 v[146:147], v[142:143], v[140:141] op_sel:[0,1]
	v_pk_fma_f32 v[148:149], v[142:143], v[138:139], v[146:147] op_sel:[0,0,1] op_sel_hi:[1,1,0] neg_lo:[0,0,1] neg_hi:[0,0,1]
	v_pk_fma_f32 v[142:143], v[142:143], v[138:139], v[146:147] op_sel:[0,0,1] op_sel_hi:[1,0,0]
	v_dual_mul_f32 v146, v145, v141 :: v_dual_mov_b32 v142, v145
	s_delay_alu instid0(VALU_DEP_2) | instskip(NEXT) | instid1(VALU_DEP_2)
	v_dual_mov_b32 v149, v143 :: v_dual_mov_b32 v143, v144
	v_pk_fma_f32 v[146:147], v[144:145], v[22:23], v[146:147] op_sel_hi:[1,1,0] neg_lo:[0,0,1] neg_hi:[0,0,1]
	v_mul_f32_e32 v144, v145, v138
	s_delay_alu instid0(VALU_DEP_3) | instskip(NEXT) | instid1(VALU_DEP_2)
	v_pk_add_f32 v[98:99], v[98:99], v[148:149] neg_lo:[0,1] neg_hi:[0,1]
	v_pk_fma_f32 v[142:143], v[142:143], v[22:23], v[144:145] op_sel_hi:[1,1,0]
	s_delay_alu instid0(VALU_DEP_1) | instskip(SKIP_4) | instid1(VALU_DEP_1)
	v_mov_b32_e32 v147, v143
	ds_load_2addr_b64 v[142:145], v184 offset0:22 offset1:23
	v_pk_add_f32 v[94:95], v[94:95], v[146:147] neg_lo:[0,1] neg_hi:[0,1]
	s_wait_dscnt 0x0
	v_pk_mul_f32 v[146:147], v[142:143], v[140:141] op_sel:[0,1]
	v_pk_fma_f32 v[148:149], v[142:143], v[138:139], v[146:147] op_sel:[0,0,1] op_sel_hi:[1,1,0] neg_lo:[0,0,1] neg_hi:[0,0,1]
	v_pk_fma_f32 v[142:143], v[142:143], v[138:139], v[146:147] op_sel:[0,0,1] op_sel_hi:[1,0,0]
	s_delay_alu instid0(VALU_DEP_1) | instskip(SKIP_1) | instid1(VALU_DEP_1)
	v_mov_b32_e32 v149, v143
	v_pk_mul_f32 v[142:143], v[144:145], v[140:141] op_sel:[0,1]
	v_pk_fma_f32 v[146:147], v[144:145], v[138:139], v[142:143] op_sel:[0,0,1] op_sel_hi:[1,1,0] neg_lo:[0,0,1] neg_hi:[0,0,1]
	v_pk_fma_f32 v[142:143], v[144:145], v[138:139], v[142:143] op_sel:[0,0,1] op_sel_hi:[1,0,0]
	s_delay_alu instid0(VALU_DEP_1)
	v_mov_b32_e32 v147, v143
	ds_load_2addr_b64 v[142:145], v184 offset0:24 offset1:25
	v_pk_add_f32 v[96:97], v[96:97], v[148:149] neg_lo:[0,1] neg_hi:[0,1]
	v_pk_add_f32 v[92:93], v[92:93], v[146:147] neg_lo:[0,1] neg_hi:[0,1]
	s_wait_dscnt 0x0
	v_pk_mul_f32 v[146:147], v[142:143], v[140:141] op_sel:[0,1]
	s_delay_alu instid0(VALU_DEP_1) | instskip(SKIP_1) | instid1(VALU_DEP_1)
	v_pk_fma_f32 v[148:149], v[142:143], v[138:139], v[146:147] op_sel:[0,0,1] op_sel_hi:[1,1,0] neg_lo:[0,0,1] neg_hi:[0,0,1]
	v_pk_fma_f32 v[142:143], v[142:143], v[138:139], v[146:147] op_sel:[0,0,1] op_sel_hi:[1,0,0]
	v_mov_b32_e32 v149, v143
	v_pk_mul_f32 v[142:143], v[144:145], v[140:141] op_sel:[0,1]
	s_delay_alu instid0(VALU_DEP_1) | instskip(SKIP_1) | instid1(VALU_DEP_1)
	v_pk_fma_f32 v[146:147], v[144:145], v[138:139], v[142:143] op_sel:[0,0,1] op_sel_hi:[1,1,0] neg_lo:[0,0,1] neg_hi:[0,0,1]
	v_pk_fma_f32 v[142:143], v[144:145], v[138:139], v[142:143] op_sel:[0,0,1] op_sel_hi:[1,0,0]
	v_mov_b32_e32 v147, v143
	ds_load_2addr_b64 v[142:145], v184 offset0:26 offset1:27
	v_pk_add_f32 v[114:115], v[114:115], v[148:149] neg_lo:[0,1] neg_hi:[0,1]
	v_pk_add_f32 v[110:111], v[110:111], v[146:147] neg_lo:[0,1] neg_hi:[0,1]
	s_wait_dscnt 0x0
	v_dual_mul_f32 v146, v143, v141 :: v_dual_mul_f32 v148, v143, v138
	s_delay_alu instid0(VALU_DEP_1) | instskip(NEXT) | instid1(VALU_DEP_2)
	v_pk_fma_f32 v[146:147], v[142:143], v[22:23], v[146:147] op_sel_hi:[1,1,0] neg_lo:[0,0,1] neg_hi:[0,0,1]
	v_pk_fma_f32 v[142:143], v[142:143], v[22:23], v[148:149] op_sel:[1,0,0] op_sel_hi:[0,1,0]
	s_delay_alu instid0(VALU_DEP_1) | instskip(SKIP_1) | instid1(VALU_DEP_2)
	v_mov_b32_e32 v147, v143
	v_pk_mul_f32 v[142:143], v[144:145], v[140:141] op_sel:[0,1]
	v_pk_add_f32 v[112:113], v[112:113], v[146:147] neg_lo:[0,1] neg_hi:[0,1]
	s_delay_alu instid0(VALU_DEP_2) | instskip(SKIP_1) | instid1(VALU_DEP_1)
	v_pk_fma_f32 v[146:147], v[144:145], v[138:139], v[142:143] op_sel:[0,0,1] op_sel_hi:[1,1,0] neg_lo:[0,0,1] neg_hi:[0,0,1]
	v_pk_fma_f32 v[142:143], v[144:145], v[138:139], v[142:143] op_sel:[0,0,1] op_sel_hi:[1,0,0]
	v_mov_b32_e32 v147, v143
	ds_load_2addr_b64 v[142:145], v184 offset0:28 offset1:29
	v_pk_add_f32 v[118:119], v[118:119], v[146:147] neg_lo:[0,1] neg_hi:[0,1]
	s_wait_dscnt 0x0
	v_pk_mul_f32 v[146:147], v[142:143], v[140:141] op_sel:[0,1]
	v_pk_mul_f32 v[140:141], v[144:145], v[140:141] op_sel:[0,1]
	s_delay_alu instid0(VALU_DEP_2) | instskip(SKIP_1) | instid1(VALU_DEP_1)
	v_pk_fma_f32 v[148:149], v[142:143], v[138:139], v[146:147] op_sel:[0,0,1] op_sel_hi:[1,1,0] neg_lo:[0,0,1] neg_hi:[0,0,1]
	v_pk_fma_f32 v[142:143], v[142:143], v[138:139], v[146:147] op_sel:[0,0,1] op_sel_hi:[1,0,0]
	v_mov_b32_e32 v149, v143
	s_delay_alu instid0(VALU_DEP_4) | instskip(SKIP_1) | instid1(VALU_DEP_3)
	v_pk_fma_f32 v[142:143], v[144:145], v[138:139], v[140:141] op_sel:[0,0,1] op_sel_hi:[1,1,0] neg_lo:[0,0,1] neg_hi:[0,0,1]
	v_pk_fma_f32 v[138:139], v[144:145], v[138:139], v[140:141] op_sel:[0,0,1] op_sel_hi:[1,0,0]
	v_pk_add_f32 v[116:117], v[116:117], v[148:149] neg_lo:[0,1] neg_hi:[0,1]
	s_delay_alu instid0(VALU_DEP_2) | instskip(NEXT) | instid1(VALU_DEP_1)
	v_mov_b32_e32 v143, v139
	v_pk_add_f32 v[120:121], v[120:121], v[142:143] neg_lo:[0,1] neg_hi:[0,1]
.LBB59_73:
	s_or_b32 exec_lo, exec_lo, s1
	s_delay_alu instid0(SALU_CYCLE_1)
	s_mov_b32 s2, exec_lo
	s_wait_dscnt 0x0
	s_barrier_signal -1
	s_barrier_wait -1
	v_cmpx_eq_u32_e32 8, v182
	s_cbranch_execz .LBB59_80
; %bb.74:
	ds_store_b64 v183, v[40:41]
	ds_store_2addr_b64 v184, v[36:37], v[38:39] offset0:9 offset1:10
	ds_store_2addr_b64 v184, v[88:89], v[108:109] offset0:11 offset1:12
	;; [unrolled: 1-line block ×10, first 2 shown]
	ds_store_b64 v184, v[120:121] offset:232
	ds_load_b64 v[138:139], v183
	s_wait_dscnt 0x0
	v_cmp_neq_f32_e32 vcc_lo, 0, v138
	v_cmp_neq_f32_e64 s1, 0, v139
	s_or_b32 s1, vcc_lo, s1
	s_delay_alu instid0(SALU_CYCLE_1)
	s_and_b32 exec_lo, exec_lo, s1
	s_cbranch_execz .LBB59_80
; %bb.75:
	v_cmp_ngt_f32_e64 s1, |v138|, |v139|
                                        ; implicit-def: $vgpr140_vgpr141
	s_and_saveexec_b32 s4, s1
	s_delay_alu instid0(SALU_CYCLE_1)
	s_xor_b32 s1, exec_lo, s4
	s_cbranch_execz .LBB59_77
; %bb.76:
	v_div_scale_f32 v140, null, v139, v139, v138
	v_div_scale_f32 v143, vcc_lo, v138, v139, v138
	s_delay_alu instid0(VALU_DEP_2) | instskip(SKIP_1) | instid1(TRANS32_DEP_1)
	v_rcp_f32_e32 v141, v140
	v_nop
	v_fma_f32 v142, -v140, v141, 1.0
	s_delay_alu instid0(VALU_DEP_1) | instskip(NEXT) | instid1(VALU_DEP_1)
	v_fmac_f32_e32 v141, v142, v141
	v_mul_f32_e32 v142, v143, v141
	s_delay_alu instid0(VALU_DEP_1) | instskip(NEXT) | instid1(VALU_DEP_1)
	v_fma_f32 v144, -v140, v142, v143
	v_fmac_f32_e32 v142, v144, v141
	s_delay_alu instid0(VALU_DEP_1) | instskip(NEXT) | instid1(VALU_DEP_1)
	v_fma_f32 v140, -v140, v142, v143
	v_div_fmas_f32 v140, v140, v141, v142
	s_delay_alu instid0(VALU_DEP_1) | instskip(NEXT) | instid1(VALU_DEP_1)
	v_div_fixup_f32 v140, v140, v139, v138
	v_fmac_f32_e32 v139, v138, v140
	s_delay_alu instid0(VALU_DEP_1) | instskip(SKIP_1) | instid1(VALU_DEP_2)
	v_div_scale_f32 v138, null, v139, v139, 1.0
	v_div_scale_f32 v143, vcc_lo, 1.0, v139, 1.0
	v_rcp_f32_e32 v141, v138
	v_nop
	s_delay_alu instid0(TRANS32_DEP_1) | instskip(NEXT) | instid1(VALU_DEP_1)
	v_fma_f32 v142, -v138, v141, 1.0
	v_fmac_f32_e32 v141, v142, v141
	s_delay_alu instid0(VALU_DEP_1) | instskip(NEXT) | instid1(VALU_DEP_1)
	v_mul_f32_e32 v142, v143, v141
	v_fma_f32 v144, -v138, v142, v143
	s_delay_alu instid0(VALU_DEP_1) | instskip(NEXT) | instid1(VALU_DEP_1)
	v_fmac_f32_e32 v142, v144, v141
	v_fma_f32 v138, -v138, v142, v143
	s_delay_alu instid0(VALU_DEP_1) | instskip(NEXT) | instid1(VALU_DEP_1)
	v_div_fmas_f32 v138, v138, v141, v142
	v_div_fixup_f32 v138, v138, v139, 1.0
	s_delay_alu instid0(VALU_DEP_1)
	v_mul_f32_e32 v140, v140, v138
	v_xor_b32_e32 v141, 0x80000000, v138
                                        ; implicit-def: $vgpr138_vgpr139
.LBB59_77:
	s_and_not1_saveexec_b32 s1, s1
	s_cbranch_execz .LBB59_79
; %bb.78:
	v_div_scale_f32 v140, null, v138, v138, v139
	v_div_scale_f32 v143, vcc_lo, v139, v138, v139
	s_delay_alu instid0(VALU_DEP_2) | instskip(SKIP_1) | instid1(TRANS32_DEP_1)
	v_rcp_f32_e32 v141, v140
	v_nop
	v_fma_f32 v142, -v140, v141, 1.0
	s_delay_alu instid0(VALU_DEP_1) | instskip(NEXT) | instid1(VALU_DEP_1)
	v_fmac_f32_e32 v141, v142, v141
	v_mul_f32_e32 v142, v143, v141
	s_delay_alu instid0(VALU_DEP_1) | instskip(NEXT) | instid1(VALU_DEP_1)
	v_fma_f32 v144, -v140, v142, v143
	v_fmac_f32_e32 v142, v144, v141
	s_delay_alu instid0(VALU_DEP_1) | instskip(NEXT) | instid1(VALU_DEP_1)
	v_fma_f32 v140, -v140, v142, v143
	v_div_fmas_f32 v140, v140, v141, v142
	s_delay_alu instid0(VALU_DEP_1) | instskip(NEXT) | instid1(VALU_DEP_1)
	v_div_fixup_f32 v141, v140, v138, v139
	v_fmac_f32_e32 v138, v139, v141
	s_delay_alu instid0(VALU_DEP_1) | instskip(NEXT) | instid1(VALU_DEP_1)
	v_div_scale_f32 v139, null, v138, v138, 1.0
	v_rcp_f32_e32 v140, v139
	v_nop
	s_delay_alu instid0(TRANS32_DEP_1) | instskip(NEXT) | instid1(VALU_DEP_1)
	v_fma_f32 v142, -v139, v140, 1.0
	v_fmac_f32_e32 v140, v142, v140
	v_div_scale_f32 v142, vcc_lo, 1.0, v138, 1.0
	s_delay_alu instid0(VALU_DEP_1) | instskip(NEXT) | instid1(VALU_DEP_1)
	v_mul_f32_e32 v143, v142, v140
	v_fma_f32 v144, -v139, v143, v142
	s_delay_alu instid0(VALU_DEP_1) | instskip(NEXT) | instid1(VALU_DEP_1)
	v_fmac_f32_e32 v143, v144, v140
	v_fma_f32 v139, -v139, v143, v142
	s_delay_alu instid0(VALU_DEP_1) | instskip(NEXT) | instid1(VALU_DEP_1)
	v_div_fmas_f32 v139, v139, v140, v143
	v_div_fixup_f32 v140, v139, v138, 1.0
	s_delay_alu instid0(VALU_DEP_1)
	v_mul_f32_e64 v141, v141, -v140
.LBB59_79:
	s_or_b32 exec_lo, exec_lo, s1
	ds_store_b64 v183, v[140:141]
.LBB59_80:
	s_or_b32 exec_lo, exec_lo, s2
	s_wait_dscnt 0x0
	s_barrier_signal -1
	s_barrier_wait -1
	ds_load_b64 v[138:139], v183
	s_mov_b32 s1, exec_lo
	v_cmpx_lt_u32_e32 8, v182
	s_cbranch_execz .LBB59_82
; %bb.81:
	ds_load_2addr_b64 v[144:147], v184 offset0:9 offset1:10
	s_wait_dscnt 0x1
	v_pk_mul_f32 v[142:143], v[138:139], v[40:41] op_sel:[1,1] op_sel_hi:[0,1]
	s_delay_alu instid0(VALU_DEP_1) | instskip(SKIP_1) | instid1(VALU_DEP_1)
	v_pk_fma_f32 v[140:141], v[138:139], v[40:41], v[142:143] op_sel_hi:[1,0,1] neg_lo:[0,0,1] neg_hi:[0,0,1]
	v_pk_fma_f32 v[142:143], v[138:139], v[40:41], v[142:143] op_sel_hi:[1,0,1]
	v_dual_mov_b32 v40, v140 :: v_dual_mov_b32 v41, v143
	s_wait_dscnt 0x0
	s_delay_alu instid0(VALU_DEP_2) | instskip(NEXT) | instid1(VALU_DEP_1)
	v_pk_mul_f32 v[148:149], v[144:145], v[142:143] op_sel:[0,1]
	v_pk_fma_f32 v[150:151], v[144:145], v[140:141], v[148:149] op_sel:[0,0,1] op_sel_hi:[1,1,0] neg_lo:[0,0,1] neg_hi:[0,0,1]
	v_pk_fma_f32 v[144:145], v[144:145], v[140:141], v[148:149] op_sel:[0,0,1] op_sel_hi:[1,0,0]
	s_delay_alu instid0(VALU_DEP_1) | instskip(SKIP_1) | instid1(VALU_DEP_1)
	v_mov_b32_e32 v151, v145
	v_pk_mul_f32 v[144:145], v[146:147], v[142:143] op_sel:[0,1]
	v_pk_fma_f32 v[148:149], v[146:147], v[140:141], v[144:145] op_sel:[0,0,1] op_sel_hi:[1,1,0] neg_lo:[0,0,1] neg_hi:[0,0,1]
	v_pk_fma_f32 v[144:145], v[146:147], v[140:141], v[144:145] op_sel:[0,0,1] op_sel_hi:[1,0,0]
	s_delay_alu instid0(VALU_DEP_1)
	v_mov_b32_e32 v149, v145
	ds_load_2addr_b64 v[144:147], v184 offset0:11 offset1:12
	v_pk_add_f32 v[36:37], v[36:37], v[150:151] neg_lo:[0,1] neg_hi:[0,1]
	v_pk_add_f32 v[38:39], v[38:39], v[148:149] neg_lo:[0,1] neg_hi:[0,1]
	s_wait_dscnt 0x0
	v_pk_mul_f32 v[148:149], v[144:145], v[142:143] op_sel:[0,1]
	s_delay_alu instid0(VALU_DEP_1) | instskip(SKIP_2) | instid1(VALU_DEP_2)
	v_pk_fma_f32 v[150:151], v[144:145], v[140:141], v[148:149] op_sel:[0,0,1] op_sel_hi:[1,1,0] neg_lo:[0,0,1] neg_hi:[0,0,1]
	v_pk_fma_f32 v[144:145], v[144:145], v[140:141], v[148:149] op_sel:[0,0,1] op_sel_hi:[1,0,0]
	v_dual_mul_f32 v148, v147, v143 :: v_dual_mov_b32 v144, v147
	v_dual_mov_b32 v151, v145 :: v_dual_mov_b32 v145, v146
	s_delay_alu instid0(VALU_DEP_2) | instskip(SKIP_1) | instid1(VALU_DEP_3)
	v_pk_fma_f32 v[148:149], v[146:147], v[40:41], v[148:149] op_sel_hi:[1,1,0] neg_lo:[0,0,1] neg_hi:[0,0,1]
	v_mul_f32_e32 v146, v147, v140
	v_pk_add_f32 v[88:89], v[88:89], v[150:151] neg_lo:[0,1] neg_hi:[0,1]
	s_delay_alu instid0(VALU_DEP_2) | instskip(NEXT) | instid1(VALU_DEP_1)
	v_pk_fma_f32 v[144:145], v[144:145], v[40:41], v[146:147] op_sel_hi:[1,1,0]
	v_mov_b32_e32 v149, v145
	ds_load_2addr_b64 v[144:147], v184 offset0:13 offset1:14
	v_pk_add_f32 v[108:109], v[108:109], v[148:149] neg_lo:[0,1] neg_hi:[0,1]
	s_wait_dscnt 0x0
	v_pk_mul_f32 v[148:149], v[144:145], v[142:143] op_sel:[0,1]
	s_delay_alu instid0(VALU_DEP_1) | instskip(SKIP_1) | instid1(VALU_DEP_1)
	v_pk_fma_f32 v[150:151], v[144:145], v[140:141], v[148:149] op_sel:[0,0,1] op_sel_hi:[1,1,0] neg_lo:[0,0,1] neg_hi:[0,0,1]
	v_pk_fma_f32 v[144:145], v[144:145], v[140:141], v[148:149] op_sel:[0,0,1] op_sel_hi:[1,0,0]
	v_mov_b32_e32 v151, v145
	v_pk_mul_f32 v[144:145], v[146:147], v[142:143] op_sel:[0,1]
	s_delay_alu instid0(VALU_DEP_1) | instskip(SKIP_1) | instid1(VALU_DEP_1)
	v_pk_fma_f32 v[148:149], v[146:147], v[140:141], v[144:145] op_sel:[0,0,1] op_sel_hi:[1,1,0] neg_lo:[0,0,1] neg_hi:[0,0,1]
	v_pk_fma_f32 v[144:145], v[146:147], v[140:141], v[144:145] op_sel:[0,0,1] op_sel_hi:[1,0,0]
	v_mov_b32_e32 v149, v145
	ds_load_2addr_b64 v[144:147], v184 offset0:15 offset1:16
	v_pk_add_f32 v[60:61], v[60:61], v[150:151] neg_lo:[0,1] neg_hi:[0,1]
	v_pk_add_f32 v[62:63], v[62:63], v[148:149] neg_lo:[0,1] neg_hi:[0,1]
	s_wait_dscnt 0x0
	v_pk_mul_f32 v[148:149], v[144:145], v[142:143] op_sel:[0,1]
	s_delay_alu instid0(VALU_DEP_1) | instskip(SKIP_1) | instid1(VALU_DEP_1)
	v_pk_fma_f32 v[150:151], v[144:145], v[140:141], v[148:149] op_sel:[0,0,1] op_sel_hi:[1,1,0] neg_lo:[0,0,1] neg_hi:[0,0,1]
	v_pk_fma_f32 v[144:145], v[144:145], v[140:141], v[148:149] op_sel:[0,0,1] op_sel_hi:[1,0,0]
	v_mov_b32_e32 v151, v145
	v_pk_mul_f32 v[144:145], v[146:147], v[142:143] op_sel:[0,1]
	s_delay_alu instid0(VALU_DEP_1) | instskip(SKIP_1) | instid1(VALU_DEP_1)
	v_pk_fma_f32 v[148:149], v[146:147], v[140:141], v[144:145] op_sel:[0,0,1] op_sel_hi:[1,1,0] neg_lo:[0,0,1] neg_hi:[0,0,1]
	v_pk_fma_f32 v[144:145], v[146:147], v[140:141], v[144:145] op_sel:[0,0,1] op_sel_hi:[1,0,0]
	v_mov_b32_e32 v149, v145
	ds_load_2addr_b64 v[144:147], v184 offset0:17 offset1:18
	v_pk_add_f32 v[58:59], v[58:59], v[150:151] neg_lo:[0,1] neg_hi:[0,1]
	v_pk_add_f32 v[78:79], v[78:79], v[148:149] neg_lo:[0,1] neg_hi:[0,1]
	s_wait_dscnt 0x0
	v_dual_mul_f32 v148, v145, v143 :: v_dual_mul_f32 v150, v145, v140
	s_delay_alu instid0(VALU_DEP_1) | instskip(NEXT) | instid1(VALU_DEP_2)
	v_pk_fma_f32 v[148:149], v[144:145], v[40:41], v[148:149] op_sel_hi:[1,1,0] neg_lo:[0,0,1] neg_hi:[0,0,1]
	v_pk_fma_f32 v[144:145], v[144:145], v[40:41], v[150:151] op_sel:[1,0,0] op_sel_hi:[0,1,0]
	s_delay_alu instid0(VALU_DEP_1) | instskip(SKIP_1) | instid1(VALU_DEP_2)
	v_mov_b32_e32 v149, v145
	v_pk_mul_f32 v[144:145], v[146:147], v[142:143] op_sel:[0,1]
	v_pk_add_f32 v[74:75], v[74:75], v[148:149] neg_lo:[0,1] neg_hi:[0,1]
	s_delay_alu instid0(VALU_DEP_2) | instskip(SKIP_1) | instid1(VALU_DEP_1)
	v_pk_fma_f32 v[148:149], v[146:147], v[140:141], v[144:145] op_sel:[0,0,1] op_sel_hi:[1,1,0] neg_lo:[0,0,1] neg_hi:[0,0,1]
	v_pk_fma_f32 v[144:145], v[146:147], v[140:141], v[144:145] op_sel:[0,0,1] op_sel_hi:[1,0,0]
	v_mov_b32_e32 v149, v145
	ds_load_2addr_b64 v[144:147], v184 offset0:19 offset1:20
	v_pk_add_f32 v[76:77], v[76:77], v[148:149] neg_lo:[0,1] neg_hi:[0,1]
	s_wait_dscnt 0x0
	v_pk_mul_f32 v[148:149], v[144:145], v[142:143] op_sel:[0,1]
	s_delay_alu instid0(VALU_DEP_1) | instskip(SKIP_1) | instid1(VALU_DEP_1)
	v_pk_fma_f32 v[150:151], v[144:145], v[140:141], v[148:149] op_sel:[0,0,1] op_sel_hi:[1,1,0] neg_lo:[0,0,1] neg_hi:[0,0,1]
	v_pk_fma_f32 v[144:145], v[144:145], v[140:141], v[148:149] op_sel:[0,0,1] op_sel_hi:[1,0,0]
	v_mov_b32_e32 v151, v145
	v_pk_mul_f32 v[144:145], v[146:147], v[142:143] op_sel:[0,1]
	s_delay_alu instid0(VALU_DEP_2) | instskip(NEXT) | instid1(VALU_DEP_2)
	v_pk_add_f32 v[72:73], v[72:73], v[150:151] neg_lo:[0,1] neg_hi:[0,1]
	v_pk_fma_f32 v[148:149], v[146:147], v[140:141], v[144:145] op_sel:[0,0,1] op_sel_hi:[1,1,0] neg_lo:[0,0,1] neg_hi:[0,0,1]
	v_pk_fma_f32 v[144:145], v[146:147], v[140:141], v[144:145] op_sel:[0,0,1] op_sel_hi:[1,0,0]
	s_delay_alu instid0(VALU_DEP_1) | instskip(SKIP_4) | instid1(VALU_DEP_1)
	v_mov_b32_e32 v149, v145
	ds_load_2addr_b64 v[144:147], v184 offset0:21 offset1:22
	v_pk_add_f32 v[98:99], v[98:99], v[148:149] neg_lo:[0,1] neg_hi:[0,1]
	s_wait_dscnt 0x0
	v_pk_mul_f32 v[148:149], v[144:145], v[142:143] op_sel:[0,1]
	v_pk_fma_f32 v[150:151], v[144:145], v[140:141], v[148:149] op_sel:[0,0,1] op_sel_hi:[1,1,0] neg_lo:[0,0,1] neg_hi:[0,0,1]
	v_pk_fma_f32 v[144:145], v[144:145], v[140:141], v[148:149] op_sel:[0,0,1] op_sel_hi:[1,0,0]
	v_dual_mul_f32 v148, v147, v143 :: v_dual_mov_b32 v144, v147
	s_delay_alu instid0(VALU_DEP_2) | instskip(NEXT) | instid1(VALU_DEP_2)
	v_dual_mov_b32 v151, v145 :: v_dual_mov_b32 v145, v146
	v_pk_fma_f32 v[148:149], v[146:147], v[40:41], v[148:149] op_sel_hi:[1,1,0] neg_lo:[0,0,1] neg_hi:[0,0,1]
	v_mul_f32_e32 v146, v147, v140
	s_delay_alu instid0(VALU_DEP_3) | instskip(NEXT) | instid1(VALU_DEP_2)
	v_pk_add_f32 v[94:95], v[94:95], v[150:151] neg_lo:[0,1] neg_hi:[0,1]
	v_pk_fma_f32 v[144:145], v[144:145], v[40:41], v[146:147] op_sel_hi:[1,1,0]
	s_delay_alu instid0(VALU_DEP_1) | instskip(SKIP_4) | instid1(VALU_DEP_1)
	v_mov_b32_e32 v149, v145
	ds_load_2addr_b64 v[144:147], v184 offset0:23 offset1:24
	v_pk_add_f32 v[96:97], v[96:97], v[148:149] neg_lo:[0,1] neg_hi:[0,1]
	s_wait_dscnt 0x0
	v_pk_mul_f32 v[148:149], v[144:145], v[142:143] op_sel:[0,1]
	v_pk_fma_f32 v[150:151], v[144:145], v[140:141], v[148:149] op_sel:[0,0,1] op_sel_hi:[1,1,0] neg_lo:[0,0,1] neg_hi:[0,0,1]
	v_pk_fma_f32 v[144:145], v[144:145], v[140:141], v[148:149] op_sel:[0,0,1] op_sel_hi:[1,0,0]
	s_delay_alu instid0(VALU_DEP_1) | instskip(SKIP_1) | instid1(VALU_DEP_1)
	v_mov_b32_e32 v151, v145
	v_pk_mul_f32 v[144:145], v[146:147], v[142:143] op_sel:[0,1]
	v_pk_fma_f32 v[148:149], v[146:147], v[140:141], v[144:145] op_sel:[0,0,1] op_sel_hi:[1,1,0] neg_lo:[0,0,1] neg_hi:[0,0,1]
	v_pk_fma_f32 v[144:145], v[146:147], v[140:141], v[144:145] op_sel:[0,0,1] op_sel_hi:[1,0,0]
	s_delay_alu instid0(VALU_DEP_1)
	v_mov_b32_e32 v149, v145
	ds_load_2addr_b64 v[144:147], v184 offset0:25 offset1:26
	v_pk_add_f32 v[92:93], v[92:93], v[150:151] neg_lo:[0,1] neg_hi:[0,1]
	v_pk_add_f32 v[114:115], v[114:115], v[148:149] neg_lo:[0,1] neg_hi:[0,1]
	s_wait_dscnt 0x0
	v_pk_mul_f32 v[148:149], v[144:145], v[142:143] op_sel:[0,1]
	s_delay_alu instid0(VALU_DEP_1) | instskip(SKIP_1) | instid1(VALU_DEP_1)
	v_pk_fma_f32 v[150:151], v[144:145], v[140:141], v[148:149] op_sel:[0,0,1] op_sel_hi:[1,1,0] neg_lo:[0,0,1] neg_hi:[0,0,1]
	v_pk_fma_f32 v[144:145], v[144:145], v[140:141], v[148:149] op_sel:[0,0,1] op_sel_hi:[1,0,0]
	v_mov_b32_e32 v151, v145
	v_pk_mul_f32 v[144:145], v[146:147], v[142:143] op_sel:[0,1]
	s_delay_alu instid0(VALU_DEP_1) | instskip(SKIP_1) | instid1(VALU_DEP_1)
	v_pk_fma_f32 v[148:149], v[146:147], v[140:141], v[144:145] op_sel:[0,0,1] op_sel_hi:[1,1,0] neg_lo:[0,0,1] neg_hi:[0,0,1]
	v_pk_fma_f32 v[144:145], v[146:147], v[140:141], v[144:145] op_sel:[0,0,1] op_sel_hi:[1,0,0]
	v_mov_b32_e32 v149, v145
	ds_load_2addr_b64 v[144:147], v184 offset0:27 offset1:28
	v_pk_add_f32 v[110:111], v[110:111], v[150:151] neg_lo:[0,1] neg_hi:[0,1]
	v_pk_add_f32 v[112:113], v[112:113], v[148:149] neg_lo:[0,1] neg_hi:[0,1]
	s_wait_dscnt 0x0
	v_dual_mul_f32 v148, v145, v143 :: v_dual_mul_f32 v150, v145, v140
	s_delay_alu instid0(VALU_DEP_1) | instskip(NEXT) | instid1(VALU_DEP_2)
	v_pk_fma_f32 v[148:149], v[144:145], v[40:41], v[148:149] op_sel_hi:[1,1,0] neg_lo:[0,0,1] neg_hi:[0,0,1]
	v_pk_fma_f32 v[144:145], v[144:145], v[40:41], v[150:151] op_sel:[1,0,0] op_sel_hi:[0,1,0]
	s_delay_alu instid0(VALU_DEP_1) | instskip(SKIP_1) | instid1(VALU_DEP_2)
	v_mov_b32_e32 v149, v145
	v_pk_mul_f32 v[144:145], v[146:147], v[142:143] op_sel:[0,1]
	v_pk_add_f32 v[118:119], v[118:119], v[148:149] neg_lo:[0,1] neg_hi:[0,1]
	s_delay_alu instid0(VALU_DEP_2) | instskip(SKIP_1) | instid1(VALU_DEP_1)
	v_pk_fma_f32 v[148:149], v[146:147], v[140:141], v[144:145] op_sel:[0,0,1] op_sel_hi:[1,1,0] neg_lo:[0,0,1] neg_hi:[0,0,1]
	v_pk_fma_f32 v[144:145], v[146:147], v[140:141], v[144:145] op_sel:[0,0,1] op_sel_hi:[1,0,0]
	v_mov_b32_e32 v149, v145
	ds_load_b64 v[144:145], v184 offset:232
	v_pk_add_f32 v[116:117], v[116:117], v[148:149] neg_lo:[0,1] neg_hi:[0,1]
	s_wait_dscnt 0x0
	v_pk_mul_f32 v[142:143], v[144:145], v[142:143] op_sel:[0,1]
	s_delay_alu instid0(VALU_DEP_1) | instskip(SKIP_1) | instid1(VALU_DEP_1)
	v_pk_fma_f32 v[146:147], v[144:145], v[140:141], v[142:143] op_sel:[0,0,1] op_sel_hi:[1,1,0] neg_lo:[0,0,1] neg_hi:[0,0,1]
	v_pk_fma_f32 v[140:141], v[144:145], v[140:141], v[142:143] op_sel:[0,0,1] op_sel_hi:[1,0,0]
	v_mov_b32_e32 v147, v141
	s_delay_alu instid0(VALU_DEP_1)
	v_pk_add_f32 v[120:121], v[120:121], v[146:147] neg_lo:[0,1] neg_hi:[0,1]
.LBB59_82:
	s_or_b32 exec_lo, exec_lo, s1
	s_delay_alu instid0(SALU_CYCLE_1)
	s_mov_b32 s2, exec_lo
	s_wait_dscnt 0x0
	s_barrier_signal -1
	s_barrier_wait -1
	v_cmpx_eq_u32_e32 9, v182
	s_cbranch_execz .LBB59_89
; %bb.83:
	v_dual_mov_b32 v140, v38 :: v_dual_mov_b32 v141, v39
	v_dual_mov_b32 v142, v88 :: v_dual_mov_b32 v143, v89
	ds_store_b64 v183, v[36:37]
	ds_store_2addr_b64 v184, v[140:141], v[142:143] offset0:10 offset1:11
	v_dual_mov_b32 v140, v108 :: v_dual_mov_b32 v141, v109
	v_dual_mov_b32 v142, v60 :: v_dual_mov_b32 v143, v61
	ds_store_2addr_b64 v184, v[140:141], v[142:143] offset0:12 offset1:13
	v_dual_mov_b32 v140, v62 :: v_dual_mov_b32 v141, v63
	v_dual_mov_b32 v142, v58 :: v_dual_mov_b32 v143, v59
	;; [unrolled: 3-line block ×8, first 2 shown]
	ds_store_2addr_b64 v184, v[140:141], v[142:143] offset0:26 offset1:27
	v_dual_mov_b32 v140, v116 :: v_dual_mov_b32 v141, v117
	ds_store_2addr_b64 v184, v[140:141], v[120:121] offset0:28 offset1:29
	ds_load_b64 v[140:141], v183
	s_wait_dscnt 0x0
	v_cmp_neq_f32_e32 vcc_lo, 0, v140
	v_cmp_neq_f32_e64 s1, 0, v141
	s_or_b32 s1, vcc_lo, s1
	s_delay_alu instid0(SALU_CYCLE_1)
	s_and_b32 exec_lo, exec_lo, s1
	s_cbranch_execz .LBB59_89
; %bb.84:
	v_cmp_ngt_f32_e64 s1, |v140|, |v141|
                                        ; implicit-def: $vgpr142_vgpr143
	s_and_saveexec_b32 s4, s1
	s_delay_alu instid0(SALU_CYCLE_1)
	s_xor_b32 s1, exec_lo, s4
	s_cbranch_execz .LBB59_86
; %bb.85:
	v_div_scale_f32 v142, null, v141, v141, v140
	v_div_scale_f32 v145, vcc_lo, v140, v141, v140
	s_delay_alu instid0(VALU_DEP_2) | instskip(SKIP_1) | instid1(TRANS32_DEP_1)
	v_rcp_f32_e32 v143, v142
	v_nop
	v_fma_f32 v144, -v142, v143, 1.0
	s_delay_alu instid0(VALU_DEP_1) | instskip(NEXT) | instid1(VALU_DEP_1)
	v_fmac_f32_e32 v143, v144, v143
	v_mul_f32_e32 v144, v145, v143
	s_delay_alu instid0(VALU_DEP_1) | instskip(NEXT) | instid1(VALU_DEP_1)
	v_fma_f32 v146, -v142, v144, v145
	v_fmac_f32_e32 v144, v146, v143
	s_delay_alu instid0(VALU_DEP_1) | instskip(NEXT) | instid1(VALU_DEP_1)
	v_fma_f32 v142, -v142, v144, v145
	v_div_fmas_f32 v142, v142, v143, v144
	s_delay_alu instid0(VALU_DEP_1) | instskip(NEXT) | instid1(VALU_DEP_1)
	v_div_fixup_f32 v142, v142, v141, v140
	v_fmac_f32_e32 v141, v140, v142
	s_delay_alu instid0(VALU_DEP_1) | instskip(SKIP_1) | instid1(VALU_DEP_2)
	v_div_scale_f32 v140, null, v141, v141, 1.0
	v_div_scale_f32 v145, vcc_lo, 1.0, v141, 1.0
	v_rcp_f32_e32 v143, v140
	v_nop
	s_delay_alu instid0(TRANS32_DEP_1) | instskip(NEXT) | instid1(VALU_DEP_1)
	v_fma_f32 v144, -v140, v143, 1.0
	v_fmac_f32_e32 v143, v144, v143
	s_delay_alu instid0(VALU_DEP_1) | instskip(NEXT) | instid1(VALU_DEP_1)
	v_mul_f32_e32 v144, v145, v143
	v_fma_f32 v146, -v140, v144, v145
	s_delay_alu instid0(VALU_DEP_1) | instskip(NEXT) | instid1(VALU_DEP_1)
	v_fmac_f32_e32 v144, v146, v143
	v_fma_f32 v140, -v140, v144, v145
	s_delay_alu instid0(VALU_DEP_1) | instskip(NEXT) | instid1(VALU_DEP_1)
	v_div_fmas_f32 v140, v140, v143, v144
	v_div_fixup_f32 v140, v140, v141, 1.0
	s_delay_alu instid0(VALU_DEP_1)
	v_mul_f32_e32 v142, v142, v140
	v_xor_b32_e32 v143, 0x80000000, v140
                                        ; implicit-def: $vgpr140_vgpr141
.LBB59_86:
	s_and_not1_saveexec_b32 s1, s1
	s_cbranch_execz .LBB59_88
; %bb.87:
	v_div_scale_f32 v142, null, v140, v140, v141
	v_div_scale_f32 v145, vcc_lo, v141, v140, v141
	s_delay_alu instid0(VALU_DEP_2) | instskip(SKIP_1) | instid1(TRANS32_DEP_1)
	v_rcp_f32_e32 v143, v142
	v_nop
	v_fma_f32 v144, -v142, v143, 1.0
	s_delay_alu instid0(VALU_DEP_1) | instskip(NEXT) | instid1(VALU_DEP_1)
	v_fmac_f32_e32 v143, v144, v143
	v_mul_f32_e32 v144, v145, v143
	s_delay_alu instid0(VALU_DEP_1) | instskip(NEXT) | instid1(VALU_DEP_1)
	v_fma_f32 v146, -v142, v144, v145
	v_fmac_f32_e32 v144, v146, v143
	s_delay_alu instid0(VALU_DEP_1) | instskip(NEXT) | instid1(VALU_DEP_1)
	v_fma_f32 v142, -v142, v144, v145
	v_div_fmas_f32 v142, v142, v143, v144
	s_delay_alu instid0(VALU_DEP_1) | instskip(NEXT) | instid1(VALU_DEP_1)
	v_div_fixup_f32 v143, v142, v140, v141
	v_fmac_f32_e32 v140, v141, v143
	s_delay_alu instid0(VALU_DEP_1) | instskip(NEXT) | instid1(VALU_DEP_1)
	v_div_scale_f32 v141, null, v140, v140, 1.0
	v_rcp_f32_e32 v142, v141
	v_nop
	s_delay_alu instid0(TRANS32_DEP_1) | instskip(NEXT) | instid1(VALU_DEP_1)
	v_fma_f32 v144, -v141, v142, 1.0
	v_fmac_f32_e32 v142, v144, v142
	v_div_scale_f32 v144, vcc_lo, 1.0, v140, 1.0
	s_delay_alu instid0(VALU_DEP_1) | instskip(NEXT) | instid1(VALU_DEP_1)
	v_mul_f32_e32 v145, v144, v142
	v_fma_f32 v146, -v141, v145, v144
	s_delay_alu instid0(VALU_DEP_1) | instskip(NEXT) | instid1(VALU_DEP_1)
	v_fmac_f32_e32 v145, v146, v142
	v_fma_f32 v141, -v141, v145, v144
	s_delay_alu instid0(VALU_DEP_1) | instskip(NEXT) | instid1(VALU_DEP_1)
	v_div_fmas_f32 v141, v141, v142, v145
	v_div_fixup_f32 v142, v141, v140, 1.0
	s_delay_alu instid0(VALU_DEP_1)
	v_mul_f32_e64 v143, v143, -v142
.LBB59_88:
	s_or_b32 exec_lo, exec_lo, s1
	ds_store_b64 v183, v[142:143]
.LBB59_89:
	s_or_b32 exec_lo, exec_lo, s2
	s_wait_dscnt 0x0
	s_barrier_signal -1
	s_barrier_wait -1
	ds_load_b64 v[140:141], v183
	s_mov_b32 s1, exec_lo
	v_cmpx_lt_u32_e32 9, v182
	s_cbranch_execz .LBB59_91
; %bb.90:
	ds_load_2addr_b64 v[146:149], v184 offset0:10 offset1:11
	s_wait_dscnt 0x1
	v_pk_mul_f32 v[144:145], v[140:141], v[36:37] op_sel:[1,1] op_sel_hi:[0,1]
	s_delay_alu instid0(VALU_DEP_1) | instskip(SKIP_1) | instid1(VALU_DEP_1)
	v_pk_fma_f32 v[142:143], v[140:141], v[36:37], v[144:145] op_sel_hi:[1,0,1] neg_lo:[0,0,1] neg_hi:[0,0,1]
	v_pk_fma_f32 v[144:145], v[140:141], v[36:37], v[144:145] op_sel_hi:[1,0,1]
	v_dual_mov_b32 v36, v142 :: v_dual_mov_b32 v37, v145
	s_wait_dscnt 0x0
	s_delay_alu instid0(VALU_DEP_2) | instskip(NEXT) | instid1(VALU_DEP_1)
	v_pk_mul_f32 v[150:151], v[146:147], v[144:145] op_sel:[0,1]
	v_pk_fma_f32 v[152:153], v[146:147], v[142:143], v[150:151] op_sel:[0,0,1] op_sel_hi:[1,1,0] neg_lo:[0,0,1] neg_hi:[0,0,1]
	v_pk_fma_f32 v[146:147], v[146:147], v[142:143], v[150:151] op_sel:[0,0,1] op_sel_hi:[1,0,0]
	s_delay_alu instid0(VALU_DEP_1) | instskip(SKIP_1) | instid1(VALU_DEP_1)
	v_mov_b32_e32 v153, v147
	v_pk_mul_f32 v[146:147], v[148:149], v[144:145] op_sel:[0,1]
	v_pk_fma_f32 v[150:151], v[148:149], v[142:143], v[146:147] op_sel:[0,0,1] op_sel_hi:[1,1,0] neg_lo:[0,0,1] neg_hi:[0,0,1]
	v_pk_fma_f32 v[146:147], v[148:149], v[142:143], v[146:147] op_sel:[0,0,1] op_sel_hi:[1,0,0]
	s_delay_alu instid0(VALU_DEP_1)
	v_mov_b32_e32 v151, v147
	ds_load_2addr_b64 v[146:149], v184 offset0:12 offset1:13
	v_pk_add_f32 v[38:39], v[38:39], v[152:153] neg_lo:[0,1] neg_hi:[0,1]
	v_pk_add_f32 v[88:89], v[88:89], v[150:151] neg_lo:[0,1] neg_hi:[0,1]
	s_wait_dscnt 0x0
	v_pk_mul_f32 v[150:151], v[146:147], v[144:145] op_sel:[0,1]
	s_delay_alu instid0(VALU_DEP_1) | instskip(SKIP_2) | instid1(VALU_DEP_2)
	v_pk_fma_f32 v[152:153], v[146:147], v[142:143], v[150:151] op_sel:[0,0,1] op_sel_hi:[1,1,0] neg_lo:[0,0,1] neg_hi:[0,0,1]
	v_pk_fma_f32 v[146:147], v[146:147], v[142:143], v[150:151] op_sel:[0,0,1] op_sel_hi:[1,0,0]
	v_dual_mul_f32 v150, v149, v145 :: v_dual_mov_b32 v146, v149
	v_dual_mov_b32 v153, v147 :: v_dual_mov_b32 v147, v148
	s_delay_alu instid0(VALU_DEP_2) | instskip(SKIP_1) | instid1(VALU_DEP_3)
	v_pk_fma_f32 v[150:151], v[148:149], v[36:37], v[150:151] op_sel_hi:[1,1,0] neg_lo:[0,0,1] neg_hi:[0,0,1]
	v_mul_f32_e32 v148, v149, v142
	v_pk_add_f32 v[108:109], v[108:109], v[152:153] neg_lo:[0,1] neg_hi:[0,1]
	s_delay_alu instid0(VALU_DEP_2) | instskip(NEXT) | instid1(VALU_DEP_1)
	v_pk_fma_f32 v[146:147], v[146:147], v[36:37], v[148:149] op_sel_hi:[1,1,0]
	v_mov_b32_e32 v151, v147
	ds_load_2addr_b64 v[146:149], v184 offset0:14 offset1:15
	v_pk_add_f32 v[60:61], v[60:61], v[150:151] neg_lo:[0,1] neg_hi:[0,1]
	s_wait_dscnt 0x0
	v_pk_mul_f32 v[150:151], v[146:147], v[144:145] op_sel:[0,1]
	s_delay_alu instid0(VALU_DEP_1) | instskip(SKIP_1) | instid1(VALU_DEP_1)
	v_pk_fma_f32 v[152:153], v[146:147], v[142:143], v[150:151] op_sel:[0,0,1] op_sel_hi:[1,1,0] neg_lo:[0,0,1] neg_hi:[0,0,1]
	v_pk_fma_f32 v[146:147], v[146:147], v[142:143], v[150:151] op_sel:[0,0,1] op_sel_hi:[1,0,0]
	v_mov_b32_e32 v153, v147
	v_pk_mul_f32 v[146:147], v[148:149], v[144:145] op_sel:[0,1]
	s_delay_alu instid0(VALU_DEP_1) | instskip(SKIP_1) | instid1(VALU_DEP_1)
	v_pk_fma_f32 v[150:151], v[148:149], v[142:143], v[146:147] op_sel:[0,0,1] op_sel_hi:[1,1,0] neg_lo:[0,0,1] neg_hi:[0,0,1]
	v_pk_fma_f32 v[146:147], v[148:149], v[142:143], v[146:147] op_sel:[0,0,1] op_sel_hi:[1,0,0]
	v_mov_b32_e32 v151, v147
	ds_load_2addr_b64 v[146:149], v184 offset0:16 offset1:17
	v_pk_add_f32 v[62:63], v[62:63], v[152:153] neg_lo:[0,1] neg_hi:[0,1]
	v_pk_add_f32 v[58:59], v[58:59], v[150:151] neg_lo:[0,1] neg_hi:[0,1]
	s_wait_dscnt 0x0
	v_pk_mul_f32 v[150:151], v[146:147], v[144:145] op_sel:[0,1]
	s_delay_alu instid0(VALU_DEP_1) | instskip(SKIP_1) | instid1(VALU_DEP_1)
	v_pk_fma_f32 v[152:153], v[146:147], v[142:143], v[150:151] op_sel:[0,0,1] op_sel_hi:[1,1,0] neg_lo:[0,0,1] neg_hi:[0,0,1]
	v_pk_fma_f32 v[146:147], v[146:147], v[142:143], v[150:151] op_sel:[0,0,1] op_sel_hi:[1,0,0]
	v_mov_b32_e32 v153, v147
	v_pk_mul_f32 v[146:147], v[148:149], v[144:145] op_sel:[0,1]
	s_delay_alu instid0(VALU_DEP_1) | instskip(SKIP_1) | instid1(VALU_DEP_1)
	v_pk_fma_f32 v[150:151], v[148:149], v[142:143], v[146:147] op_sel:[0,0,1] op_sel_hi:[1,1,0] neg_lo:[0,0,1] neg_hi:[0,0,1]
	v_pk_fma_f32 v[146:147], v[148:149], v[142:143], v[146:147] op_sel:[0,0,1] op_sel_hi:[1,0,0]
	v_mov_b32_e32 v151, v147
	ds_load_2addr_b64 v[146:149], v184 offset0:18 offset1:19
	v_pk_add_f32 v[78:79], v[78:79], v[152:153] neg_lo:[0,1] neg_hi:[0,1]
	v_pk_add_f32 v[74:75], v[74:75], v[150:151] neg_lo:[0,1] neg_hi:[0,1]
	s_wait_dscnt 0x0
	v_dual_mul_f32 v150, v147, v145 :: v_dual_mul_f32 v152, v147, v142
	s_delay_alu instid0(VALU_DEP_1) | instskip(NEXT) | instid1(VALU_DEP_2)
	v_pk_fma_f32 v[150:151], v[146:147], v[36:37], v[150:151] op_sel_hi:[1,1,0] neg_lo:[0,0,1] neg_hi:[0,0,1]
	v_pk_fma_f32 v[146:147], v[146:147], v[36:37], v[152:153] op_sel:[1,0,0] op_sel_hi:[0,1,0]
	s_delay_alu instid0(VALU_DEP_1) | instskip(SKIP_1) | instid1(VALU_DEP_2)
	v_mov_b32_e32 v151, v147
	v_pk_mul_f32 v[146:147], v[148:149], v[144:145] op_sel:[0,1]
	v_pk_add_f32 v[76:77], v[76:77], v[150:151] neg_lo:[0,1] neg_hi:[0,1]
	s_delay_alu instid0(VALU_DEP_2) | instskip(SKIP_1) | instid1(VALU_DEP_1)
	v_pk_fma_f32 v[150:151], v[148:149], v[142:143], v[146:147] op_sel:[0,0,1] op_sel_hi:[1,1,0] neg_lo:[0,0,1] neg_hi:[0,0,1]
	v_pk_fma_f32 v[146:147], v[148:149], v[142:143], v[146:147] op_sel:[0,0,1] op_sel_hi:[1,0,0]
	v_mov_b32_e32 v151, v147
	ds_load_2addr_b64 v[146:149], v184 offset0:20 offset1:21
	v_pk_add_f32 v[72:73], v[72:73], v[150:151] neg_lo:[0,1] neg_hi:[0,1]
	s_wait_dscnt 0x0
	v_pk_mul_f32 v[150:151], v[146:147], v[144:145] op_sel:[0,1]
	s_delay_alu instid0(VALU_DEP_1) | instskip(SKIP_1) | instid1(VALU_DEP_1)
	v_pk_fma_f32 v[152:153], v[146:147], v[142:143], v[150:151] op_sel:[0,0,1] op_sel_hi:[1,1,0] neg_lo:[0,0,1] neg_hi:[0,0,1]
	v_pk_fma_f32 v[146:147], v[146:147], v[142:143], v[150:151] op_sel:[0,0,1] op_sel_hi:[1,0,0]
	v_mov_b32_e32 v153, v147
	v_pk_mul_f32 v[146:147], v[148:149], v[144:145] op_sel:[0,1]
	s_delay_alu instid0(VALU_DEP_2) | instskip(NEXT) | instid1(VALU_DEP_2)
	v_pk_add_f32 v[98:99], v[98:99], v[152:153] neg_lo:[0,1] neg_hi:[0,1]
	v_pk_fma_f32 v[150:151], v[148:149], v[142:143], v[146:147] op_sel:[0,0,1] op_sel_hi:[1,1,0] neg_lo:[0,0,1] neg_hi:[0,0,1]
	v_pk_fma_f32 v[146:147], v[148:149], v[142:143], v[146:147] op_sel:[0,0,1] op_sel_hi:[1,0,0]
	s_delay_alu instid0(VALU_DEP_1) | instskip(SKIP_4) | instid1(VALU_DEP_1)
	v_mov_b32_e32 v151, v147
	ds_load_2addr_b64 v[146:149], v184 offset0:22 offset1:23
	v_pk_add_f32 v[94:95], v[94:95], v[150:151] neg_lo:[0,1] neg_hi:[0,1]
	s_wait_dscnt 0x0
	v_pk_mul_f32 v[150:151], v[146:147], v[144:145] op_sel:[0,1]
	v_pk_fma_f32 v[152:153], v[146:147], v[142:143], v[150:151] op_sel:[0,0,1] op_sel_hi:[1,1,0] neg_lo:[0,0,1] neg_hi:[0,0,1]
	v_pk_fma_f32 v[146:147], v[146:147], v[142:143], v[150:151] op_sel:[0,0,1] op_sel_hi:[1,0,0]
	v_dual_mul_f32 v150, v149, v145 :: v_dual_mov_b32 v146, v149
	s_delay_alu instid0(VALU_DEP_2) | instskip(NEXT) | instid1(VALU_DEP_2)
	v_dual_mov_b32 v153, v147 :: v_dual_mov_b32 v147, v148
	v_pk_fma_f32 v[150:151], v[148:149], v[36:37], v[150:151] op_sel_hi:[1,1,0] neg_lo:[0,0,1] neg_hi:[0,0,1]
	v_mul_f32_e32 v148, v149, v142
	s_delay_alu instid0(VALU_DEP_3) | instskip(NEXT) | instid1(VALU_DEP_2)
	v_pk_add_f32 v[96:97], v[96:97], v[152:153] neg_lo:[0,1] neg_hi:[0,1]
	v_pk_fma_f32 v[146:147], v[146:147], v[36:37], v[148:149] op_sel_hi:[1,1,0]
	s_delay_alu instid0(VALU_DEP_1) | instskip(SKIP_4) | instid1(VALU_DEP_1)
	v_mov_b32_e32 v151, v147
	ds_load_2addr_b64 v[146:149], v184 offset0:24 offset1:25
	v_pk_add_f32 v[92:93], v[92:93], v[150:151] neg_lo:[0,1] neg_hi:[0,1]
	s_wait_dscnt 0x0
	v_pk_mul_f32 v[150:151], v[146:147], v[144:145] op_sel:[0,1]
	v_pk_fma_f32 v[152:153], v[146:147], v[142:143], v[150:151] op_sel:[0,0,1] op_sel_hi:[1,1,0] neg_lo:[0,0,1] neg_hi:[0,0,1]
	v_pk_fma_f32 v[146:147], v[146:147], v[142:143], v[150:151] op_sel:[0,0,1] op_sel_hi:[1,0,0]
	s_delay_alu instid0(VALU_DEP_1) | instskip(SKIP_1) | instid1(VALU_DEP_1)
	v_mov_b32_e32 v153, v147
	v_pk_mul_f32 v[146:147], v[148:149], v[144:145] op_sel:[0,1]
	v_pk_fma_f32 v[150:151], v[148:149], v[142:143], v[146:147] op_sel:[0,0,1] op_sel_hi:[1,1,0] neg_lo:[0,0,1] neg_hi:[0,0,1]
	v_pk_fma_f32 v[146:147], v[148:149], v[142:143], v[146:147] op_sel:[0,0,1] op_sel_hi:[1,0,0]
	s_delay_alu instid0(VALU_DEP_1)
	v_mov_b32_e32 v151, v147
	ds_load_2addr_b64 v[146:149], v184 offset0:26 offset1:27
	v_pk_add_f32 v[114:115], v[114:115], v[152:153] neg_lo:[0,1] neg_hi:[0,1]
	v_pk_add_f32 v[110:111], v[110:111], v[150:151] neg_lo:[0,1] neg_hi:[0,1]
	s_wait_dscnt 0x0
	v_pk_mul_f32 v[150:151], v[146:147], v[144:145] op_sel:[0,1]
	s_delay_alu instid0(VALU_DEP_1) | instskip(SKIP_1) | instid1(VALU_DEP_1)
	v_pk_fma_f32 v[152:153], v[146:147], v[142:143], v[150:151] op_sel:[0,0,1] op_sel_hi:[1,1,0] neg_lo:[0,0,1] neg_hi:[0,0,1]
	v_pk_fma_f32 v[146:147], v[146:147], v[142:143], v[150:151] op_sel:[0,0,1] op_sel_hi:[1,0,0]
	v_mov_b32_e32 v153, v147
	v_pk_mul_f32 v[146:147], v[148:149], v[144:145] op_sel:[0,1]
	s_delay_alu instid0(VALU_DEP_1) | instskip(SKIP_1) | instid1(VALU_DEP_1)
	v_pk_fma_f32 v[150:151], v[148:149], v[142:143], v[146:147] op_sel:[0,0,1] op_sel_hi:[1,1,0] neg_lo:[0,0,1] neg_hi:[0,0,1]
	v_pk_fma_f32 v[146:147], v[148:149], v[142:143], v[146:147] op_sel:[0,0,1] op_sel_hi:[1,0,0]
	v_mov_b32_e32 v151, v147
	ds_load_2addr_b64 v[146:149], v184 offset0:28 offset1:29
	v_pk_add_f32 v[112:113], v[112:113], v[152:153] neg_lo:[0,1] neg_hi:[0,1]
	v_pk_add_f32 v[118:119], v[118:119], v[150:151] neg_lo:[0,1] neg_hi:[0,1]
	s_wait_dscnt 0x0
	v_dual_mul_f32 v150, v147, v145 :: v_dual_mul_f32 v152, v147, v142
	v_pk_mul_f32 v[144:145], v[148:149], v[144:145] op_sel:[0,1]
	s_delay_alu instid0(VALU_DEP_2) | instskip(NEXT) | instid1(VALU_DEP_3)
	v_pk_fma_f32 v[150:151], v[146:147], v[36:37], v[150:151] op_sel_hi:[1,1,0] neg_lo:[0,0,1] neg_hi:[0,0,1]
	v_pk_fma_f32 v[146:147], v[146:147], v[36:37], v[152:153] op_sel:[1,0,0] op_sel_hi:[0,1,0]
	s_delay_alu instid0(VALU_DEP_1) | instskip(NEXT) | instid1(VALU_DEP_4)
	v_mov_b32_e32 v151, v147
	v_pk_fma_f32 v[146:147], v[148:149], v[142:143], v[144:145] op_sel:[0,0,1] op_sel_hi:[1,1,0] neg_lo:[0,0,1] neg_hi:[0,0,1]
	v_pk_fma_f32 v[142:143], v[148:149], v[142:143], v[144:145] op_sel:[0,0,1] op_sel_hi:[1,0,0]
	s_delay_alu instid0(VALU_DEP_1) | instskip(NEXT) | instid1(VALU_DEP_4)
	v_mov_b32_e32 v147, v143
	v_pk_add_f32 v[116:117], v[116:117], v[150:151] neg_lo:[0,1] neg_hi:[0,1]
	s_delay_alu instid0(VALU_DEP_2)
	v_pk_add_f32 v[120:121], v[120:121], v[146:147] neg_lo:[0,1] neg_hi:[0,1]
.LBB59_91:
	s_or_b32 exec_lo, exec_lo, s1
	s_delay_alu instid0(SALU_CYCLE_1)
	s_mov_b32 s2, exec_lo
	s_wait_dscnt 0x0
	s_barrier_signal -1
	s_barrier_wait -1
	v_cmpx_eq_u32_e32 10, v182
	s_cbranch_execz .LBB59_98
; %bb.92:
	ds_store_b64 v183, v[38:39]
	ds_store_2addr_b64 v184, v[88:89], v[108:109] offset0:11 offset1:12
	ds_store_2addr_b64 v184, v[60:61], v[62:63] offset0:13 offset1:14
	;; [unrolled: 1-line block ×9, first 2 shown]
	ds_store_b64 v184, v[120:121] offset:232
	ds_load_b64 v[142:143], v183
	s_wait_dscnt 0x0
	v_cmp_neq_f32_e32 vcc_lo, 0, v142
	v_cmp_neq_f32_e64 s1, 0, v143
	s_or_b32 s1, vcc_lo, s1
	s_delay_alu instid0(SALU_CYCLE_1)
	s_and_b32 exec_lo, exec_lo, s1
	s_cbranch_execz .LBB59_98
; %bb.93:
	v_cmp_ngt_f32_e64 s1, |v142|, |v143|
                                        ; implicit-def: $vgpr144_vgpr145
	s_and_saveexec_b32 s4, s1
	s_delay_alu instid0(SALU_CYCLE_1)
	s_xor_b32 s1, exec_lo, s4
	s_cbranch_execz .LBB59_95
; %bb.94:
	v_div_scale_f32 v144, null, v143, v143, v142
	v_div_scale_f32 v147, vcc_lo, v142, v143, v142
	s_delay_alu instid0(VALU_DEP_2) | instskip(SKIP_1) | instid1(TRANS32_DEP_1)
	v_rcp_f32_e32 v145, v144
	v_nop
	v_fma_f32 v146, -v144, v145, 1.0
	s_delay_alu instid0(VALU_DEP_1) | instskip(NEXT) | instid1(VALU_DEP_1)
	v_fmac_f32_e32 v145, v146, v145
	v_mul_f32_e32 v146, v147, v145
	s_delay_alu instid0(VALU_DEP_1) | instskip(NEXT) | instid1(VALU_DEP_1)
	v_fma_f32 v148, -v144, v146, v147
	v_fmac_f32_e32 v146, v148, v145
	s_delay_alu instid0(VALU_DEP_1) | instskip(NEXT) | instid1(VALU_DEP_1)
	v_fma_f32 v144, -v144, v146, v147
	v_div_fmas_f32 v144, v144, v145, v146
	s_delay_alu instid0(VALU_DEP_1) | instskip(NEXT) | instid1(VALU_DEP_1)
	v_div_fixup_f32 v144, v144, v143, v142
	v_fmac_f32_e32 v143, v142, v144
	s_delay_alu instid0(VALU_DEP_1) | instskip(SKIP_1) | instid1(VALU_DEP_2)
	v_div_scale_f32 v142, null, v143, v143, 1.0
	v_div_scale_f32 v147, vcc_lo, 1.0, v143, 1.0
	v_rcp_f32_e32 v145, v142
	v_nop
	s_delay_alu instid0(TRANS32_DEP_1) | instskip(NEXT) | instid1(VALU_DEP_1)
	v_fma_f32 v146, -v142, v145, 1.0
	v_fmac_f32_e32 v145, v146, v145
	s_delay_alu instid0(VALU_DEP_1) | instskip(NEXT) | instid1(VALU_DEP_1)
	v_mul_f32_e32 v146, v147, v145
	v_fma_f32 v148, -v142, v146, v147
	s_delay_alu instid0(VALU_DEP_1) | instskip(NEXT) | instid1(VALU_DEP_1)
	v_fmac_f32_e32 v146, v148, v145
	v_fma_f32 v142, -v142, v146, v147
	s_delay_alu instid0(VALU_DEP_1) | instskip(NEXT) | instid1(VALU_DEP_1)
	v_div_fmas_f32 v142, v142, v145, v146
	v_div_fixup_f32 v142, v142, v143, 1.0
	s_delay_alu instid0(VALU_DEP_1)
	v_mul_f32_e32 v144, v144, v142
	v_xor_b32_e32 v145, 0x80000000, v142
                                        ; implicit-def: $vgpr142_vgpr143
.LBB59_95:
	s_and_not1_saveexec_b32 s1, s1
	s_cbranch_execz .LBB59_97
; %bb.96:
	v_div_scale_f32 v144, null, v142, v142, v143
	v_div_scale_f32 v147, vcc_lo, v143, v142, v143
	s_delay_alu instid0(VALU_DEP_2) | instskip(SKIP_1) | instid1(TRANS32_DEP_1)
	v_rcp_f32_e32 v145, v144
	v_nop
	v_fma_f32 v146, -v144, v145, 1.0
	s_delay_alu instid0(VALU_DEP_1) | instskip(NEXT) | instid1(VALU_DEP_1)
	v_fmac_f32_e32 v145, v146, v145
	v_mul_f32_e32 v146, v147, v145
	s_delay_alu instid0(VALU_DEP_1) | instskip(NEXT) | instid1(VALU_DEP_1)
	v_fma_f32 v148, -v144, v146, v147
	v_fmac_f32_e32 v146, v148, v145
	s_delay_alu instid0(VALU_DEP_1) | instskip(NEXT) | instid1(VALU_DEP_1)
	v_fma_f32 v144, -v144, v146, v147
	v_div_fmas_f32 v144, v144, v145, v146
	s_delay_alu instid0(VALU_DEP_1) | instskip(NEXT) | instid1(VALU_DEP_1)
	v_div_fixup_f32 v145, v144, v142, v143
	v_fmac_f32_e32 v142, v143, v145
	s_delay_alu instid0(VALU_DEP_1) | instskip(NEXT) | instid1(VALU_DEP_1)
	v_div_scale_f32 v143, null, v142, v142, 1.0
	v_rcp_f32_e32 v144, v143
	v_nop
	s_delay_alu instid0(TRANS32_DEP_1) | instskip(NEXT) | instid1(VALU_DEP_1)
	v_fma_f32 v146, -v143, v144, 1.0
	v_fmac_f32_e32 v144, v146, v144
	v_div_scale_f32 v146, vcc_lo, 1.0, v142, 1.0
	s_delay_alu instid0(VALU_DEP_1) | instskip(NEXT) | instid1(VALU_DEP_1)
	v_mul_f32_e32 v147, v146, v144
	v_fma_f32 v148, -v143, v147, v146
	s_delay_alu instid0(VALU_DEP_1) | instskip(NEXT) | instid1(VALU_DEP_1)
	v_fmac_f32_e32 v147, v148, v144
	v_fma_f32 v143, -v143, v147, v146
	s_delay_alu instid0(VALU_DEP_1) | instskip(NEXT) | instid1(VALU_DEP_1)
	v_div_fmas_f32 v143, v143, v144, v147
	v_div_fixup_f32 v144, v143, v142, 1.0
	s_delay_alu instid0(VALU_DEP_1)
	v_mul_f32_e64 v145, v145, -v144
.LBB59_97:
	s_or_b32 exec_lo, exec_lo, s1
	ds_store_b64 v183, v[144:145]
.LBB59_98:
	s_or_b32 exec_lo, exec_lo, s2
	s_wait_dscnt 0x0
	s_barrier_signal -1
	s_barrier_wait -1
	ds_load_b64 v[142:143], v183
	s_mov_b32 s1, exec_lo
	v_cmpx_lt_u32_e32 10, v182
	s_cbranch_execz .LBB59_100
; %bb.99:
	ds_load_2addr_b64 v[148:151], v184 offset0:11 offset1:12
	s_wait_dscnt 0x1
	v_pk_mul_f32 v[146:147], v[142:143], v[38:39] op_sel:[1,1] op_sel_hi:[0,1]
	s_delay_alu instid0(VALU_DEP_1) | instskip(SKIP_1) | instid1(VALU_DEP_1)
	v_pk_fma_f32 v[144:145], v[142:143], v[38:39], v[146:147] op_sel_hi:[1,0,1] neg_lo:[0,0,1] neg_hi:[0,0,1]
	v_pk_fma_f32 v[146:147], v[142:143], v[38:39], v[146:147] op_sel_hi:[1,0,1]
	v_dual_mov_b32 v38, v144 :: v_dual_mov_b32 v39, v147
	s_wait_dscnt 0x0
	s_delay_alu instid0(VALU_DEP_2) | instskip(NEXT) | instid1(VALU_DEP_1)
	v_pk_mul_f32 v[152:153], v[148:149], v[146:147] op_sel:[0,1]
	v_pk_fma_f32 v[154:155], v[148:149], v[144:145], v[152:153] op_sel:[0,0,1] op_sel_hi:[1,1,0] neg_lo:[0,0,1] neg_hi:[0,0,1]
	v_pk_fma_f32 v[148:149], v[148:149], v[144:145], v[152:153] op_sel:[0,0,1] op_sel_hi:[1,0,0]
	s_delay_alu instid0(VALU_DEP_1) | instskip(SKIP_1) | instid1(VALU_DEP_1)
	v_mov_b32_e32 v155, v149
	v_pk_mul_f32 v[148:149], v[150:151], v[146:147] op_sel:[0,1]
	v_pk_fma_f32 v[152:153], v[150:151], v[144:145], v[148:149] op_sel:[0,0,1] op_sel_hi:[1,1,0] neg_lo:[0,0,1] neg_hi:[0,0,1]
	v_pk_fma_f32 v[148:149], v[150:151], v[144:145], v[148:149] op_sel:[0,0,1] op_sel_hi:[1,0,0]
	s_delay_alu instid0(VALU_DEP_1)
	v_mov_b32_e32 v153, v149
	ds_load_2addr_b64 v[148:151], v184 offset0:13 offset1:14
	v_pk_add_f32 v[88:89], v[88:89], v[154:155] neg_lo:[0,1] neg_hi:[0,1]
	v_pk_add_f32 v[108:109], v[108:109], v[152:153] neg_lo:[0,1] neg_hi:[0,1]
	s_wait_dscnt 0x0
	v_pk_mul_f32 v[152:153], v[148:149], v[146:147] op_sel:[0,1]
	s_delay_alu instid0(VALU_DEP_1) | instskip(SKIP_2) | instid1(VALU_DEP_2)
	v_pk_fma_f32 v[154:155], v[148:149], v[144:145], v[152:153] op_sel:[0,0,1] op_sel_hi:[1,1,0] neg_lo:[0,0,1] neg_hi:[0,0,1]
	v_pk_fma_f32 v[148:149], v[148:149], v[144:145], v[152:153] op_sel:[0,0,1] op_sel_hi:[1,0,0]
	v_dual_mul_f32 v152, v151, v147 :: v_dual_mov_b32 v148, v151
	v_dual_mov_b32 v155, v149 :: v_dual_mov_b32 v149, v150
	s_delay_alu instid0(VALU_DEP_2) | instskip(SKIP_1) | instid1(VALU_DEP_3)
	v_pk_fma_f32 v[152:153], v[150:151], v[38:39], v[152:153] op_sel_hi:[1,1,0] neg_lo:[0,0,1] neg_hi:[0,0,1]
	v_mul_f32_e32 v150, v151, v144
	v_pk_add_f32 v[60:61], v[60:61], v[154:155] neg_lo:[0,1] neg_hi:[0,1]
	s_delay_alu instid0(VALU_DEP_2) | instskip(NEXT) | instid1(VALU_DEP_1)
	v_pk_fma_f32 v[148:149], v[148:149], v[38:39], v[150:151] op_sel_hi:[1,1,0]
	v_mov_b32_e32 v153, v149
	ds_load_2addr_b64 v[148:151], v184 offset0:15 offset1:16
	v_pk_add_f32 v[62:63], v[62:63], v[152:153] neg_lo:[0,1] neg_hi:[0,1]
	s_wait_dscnt 0x0
	v_pk_mul_f32 v[152:153], v[148:149], v[146:147] op_sel:[0,1]
	s_delay_alu instid0(VALU_DEP_1) | instskip(SKIP_1) | instid1(VALU_DEP_1)
	v_pk_fma_f32 v[154:155], v[148:149], v[144:145], v[152:153] op_sel:[0,0,1] op_sel_hi:[1,1,0] neg_lo:[0,0,1] neg_hi:[0,0,1]
	v_pk_fma_f32 v[148:149], v[148:149], v[144:145], v[152:153] op_sel:[0,0,1] op_sel_hi:[1,0,0]
	v_mov_b32_e32 v155, v149
	v_pk_mul_f32 v[148:149], v[150:151], v[146:147] op_sel:[0,1]
	s_delay_alu instid0(VALU_DEP_1) | instskip(SKIP_1) | instid1(VALU_DEP_1)
	v_pk_fma_f32 v[152:153], v[150:151], v[144:145], v[148:149] op_sel:[0,0,1] op_sel_hi:[1,1,0] neg_lo:[0,0,1] neg_hi:[0,0,1]
	v_pk_fma_f32 v[148:149], v[150:151], v[144:145], v[148:149] op_sel:[0,0,1] op_sel_hi:[1,0,0]
	v_mov_b32_e32 v153, v149
	ds_load_2addr_b64 v[148:151], v184 offset0:17 offset1:18
	v_pk_add_f32 v[58:59], v[58:59], v[154:155] neg_lo:[0,1] neg_hi:[0,1]
	v_pk_add_f32 v[78:79], v[78:79], v[152:153] neg_lo:[0,1] neg_hi:[0,1]
	s_wait_dscnt 0x0
	v_pk_mul_f32 v[152:153], v[148:149], v[146:147] op_sel:[0,1]
	s_delay_alu instid0(VALU_DEP_1) | instskip(SKIP_1) | instid1(VALU_DEP_1)
	v_pk_fma_f32 v[154:155], v[148:149], v[144:145], v[152:153] op_sel:[0,0,1] op_sel_hi:[1,1,0] neg_lo:[0,0,1] neg_hi:[0,0,1]
	v_pk_fma_f32 v[148:149], v[148:149], v[144:145], v[152:153] op_sel:[0,0,1] op_sel_hi:[1,0,0]
	v_mov_b32_e32 v155, v149
	v_pk_mul_f32 v[148:149], v[150:151], v[146:147] op_sel:[0,1]
	s_delay_alu instid0(VALU_DEP_1) | instskip(SKIP_1) | instid1(VALU_DEP_1)
	v_pk_fma_f32 v[152:153], v[150:151], v[144:145], v[148:149] op_sel:[0,0,1] op_sel_hi:[1,1,0] neg_lo:[0,0,1] neg_hi:[0,0,1]
	v_pk_fma_f32 v[148:149], v[150:151], v[144:145], v[148:149] op_sel:[0,0,1] op_sel_hi:[1,0,0]
	v_mov_b32_e32 v153, v149
	ds_load_2addr_b64 v[148:151], v184 offset0:19 offset1:20
	v_pk_add_f32 v[74:75], v[74:75], v[154:155] neg_lo:[0,1] neg_hi:[0,1]
	v_pk_add_f32 v[76:77], v[76:77], v[152:153] neg_lo:[0,1] neg_hi:[0,1]
	s_wait_dscnt 0x0
	v_dual_mul_f32 v152, v149, v147 :: v_dual_mul_f32 v154, v149, v144
	s_delay_alu instid0(VALU_DEP_1) | instskip(NEXT) | instid1(VALU_DEP_2)
	v_pk_fma_f32 v[152:153], v[148:149], v[38:39], v[152:153] op_sel_hi:[1,1,0] neg_lo:[0,0,1] neg_hi:[0,0,1]
	v_pk_fma_f32 v[148:149], v[148:149], v[38:39], v[154:155] op_sel:[1,0,0] op_sel_hi:[0,1,0]
	s_delay_alu instid0(VALU_DEP_1) | instskip(SKIP_1) | instid1(VALU_DEP_2)
	v_mov_b32_e32 v153, v149
	v_pk_mul_f32 v[148:149], v[150:151], v[146:147] op_sel:[0,1]
	v_pk_add_f32 v[72:73], v[72:73], v[152:153] neg_lo:[0,1] neg_hi:[0,1]
	s_delay_alu instid0(VALU_DEP_2) | instskip(SKIP_1) | instid1(VALU_DEP_1)
	v_pk_fma_f32 v[152:153], v[150:151], v[144:145], v[148:149] op_sel:[0,0,1] op_sel_hi:[1,1,0] neg_lo:[0,0,1] neg_hi:[0,0,1]
	v_pk_fma_f32 v[148:149], v[150:151], v[144:145], v[148:149] op_sel:[0,0,1] op_sel_hi:[1,0,0]
	v_mov_b32_e32 v153, v149
	ds_load_2addr_b64 v[148:151], v184 offset0:21 offset1:22
	v_pk_add_f32 v[98:99], v[98:99], v[152:153] neg_lo:[0,1] neg_hi:[0,1]
	s_wait_dscnt 0x0
	v_pk_mul_f32 v[152:153], v[148:149], v[146:147] op_sel:[0,1]
	s_delay_alu instid0(VALU_DEP_1) | instskip(SKIP_1) | instid1(VALU_DEP_1)
	v_pk_fma_f32 v[154:155], v[148:149], v[144:145], v[152:153] op_sel:[0,0,1] op_sel_hi:[1,1,0] neg_lo:[0,0,1] neg_hi:[0,0,1]
	v_pk_fma_f32 v[148:149], v[148:149], v[144:145], v[152:153] op_sel:[0,0,1] op_sel_hi:[1,0,0]
	v_mov_b32_e32 v155, v149
	v_pk_mul_f32 v[148:149], v[150:151], v[146:147] op_sel:[0,1]
	s_delay_alu instid0(VALU_DEP_2) | instskip(NEXT) | instid1(VALU_DEP_2)
	v_pk_add_f32 v[94:95], v[94:95], v[154:155] neg_lo:[0,1] neg_hi:[0,1]
	v_pk_fma_f32 v[152:153], v[150:151], v[144:145], v[148:149] op_sel:[0,0,1] op_sel_hi:[1,1,0] neg_lo:[0,0,1] neg_hi:[0,0,1]
	v_pk_fma_f32 v[148:149], v[150:151], v[144:145], v[148:149] op_sel:[0,0,1] op_sel_hi:[1,0,0]
	s_delay_alu instid0(VALU_DEP_1) | instskip(SKIP_4) | instid1(VALU_DEP_1)
	v_mov_b32_e32 v153, v149
	ds_load_2addr_b64 v[148:151], v184 offset0:23 offset1:24
	v_pk_add_f32 v[96:97], v[96:97], v[152:153] neg_lo:[0,1] neg_hi:[0,1]
	s_wait_dscnt 0x0
	v_pk_mul_f32 v[152:153], v[148:149], v[146:147] op_sel:[0,1]
	v_pk_fma_f32 v[154:155], v[148:149], v[144:145], v[152:153] op_sel:[0,0,1] op_sel_hi:[1,1,0] neg_lo:[0,0,1] neg_hi:[0,0,1]
	v_pk_fma_f32 v[148:149], v[148:149], v[144:145], v[152:153] op_sel:[0,0,1] op_sel_hi:[1,0,0]
	v_dual_mul_f32 v152, v151, v147 :: v_dual_mov_b32 v148, v151
	s_delay_alu instid0(VALU_DEP_2) | instskip(NEXT) | instid1(VALU_DEP_2)
	v_dual_mov_b32 v155, v149 :: v_dual_mov_b32 v149, v150
	v_pk_fma_f32 v[152:153], v[150:151], v[38:39], v[152:153] op_sel_hi:[1,1,0] neg_lo:[0,0,1] neg_hi:[0,0,1]
	v_mul_f32_e32 v150, v151, v144
	s_delay_alu instid0(VALU_DEP_3) | instskip(NEXT) | instid1(VALU_DEP_2)
	v_pk_add_f32 v[92:93], v[92:93], v[154:155] neg_lo:[0,1] neg_hi:[0,1]
	v_pk_fma_f32 v[148:149], v[148:149], v[38:39], v[150:151] op_sel_hi:[1,1,0]
	s_delay_alu instid0(VALU_DEP_1) | instskip(SKIP_4) | instid1(VALU_DEP_1)
	v_mov_b32_e32 v153, v149
	ds_load_2addr_b64 v[148:151], v184 offset0:25 offset1:26
	v_pk_add_f32 v[114:115], v[114:115], v[152:153] neg_lo:[0,1] neg_hi:[0,1]
	s_wait_dscnt 0x0
	v_pk_mul_f32 v[152:153], v[148:149], v[146:147] op_sel:[0,1]
	v_pk_fma_f32 v[154:155], v[148:149], v[144:145], v[152:153] op_sel:[0,0,1] op_sel_hi:[1,1,0] neg_lo:[0,0,1] neg_hi:[0,0,1]
	v_pk_fma_f32 v[148:149], v[148:149], v[144:145], v[152:153] op_sel:[0,0,1] op_sel_hi:[1,0,0]
	s_delay_alu instid0(VALU_DEP_1) | instskip(SKIP_1) | instid1(VALU_DEP_1)
	v_mov_b32_e32 v155, v149
	v_pk_mul_f32 v[148:149], v[150:151], v[146:147] op_sel:[0,1]
	v_pk_fma_f32 v[152:153], v[150:151], v[144:145], v[148:149] op_sel:[0,0,1] op_sel_hi:[1,1,0] neg_lo:[0,0,1] neg_hi:[0,0,1]
	v_pk_fma_f32 v[148:149], v[150:151], v[144:145], v[148:149] op_sel:[0,0,1] op_sel_hi:[1,0,0]
	s_delay_alu instid0(VALU_DEP_1)
	v_mov_b32_e32 v153, v149
	ds_load_2addr_b64 v[148:151], v184 offset0:27 offset1:28
	v_pk_add_f32 v[110:111], v[110:111], v[154:155] neg_lo:[0,1] neg_hi:[0,1]
	v_pk_add_f32 v[112:113], v[112:113], v[152:153] neg_lo:[0,1] neg_hi:[0,1]
	s_wait_dscnt 0x0
	v_pk_mul_f32 v[152:153], v[148:149], v[146:147] op_sel:[0,1]
	s_delay_alu instid0(VALU_DEP_1) | instskip(SKIP_1) | instid1(VALU_DEP_1)
	v_pk_fma_f32 v[154:155], v[148:149], v[144:145], v[152:153] op_sel:[0,0,1] op_sel_hi:[1,1,0] neg_lo:[0,0,1] neg_hi:[0,0,1]
	v_pk_fma_f32 v[148:149], v[148:149], v[144:145], v[152:153] op_sel:[0,0,1] op_sel_hi:[1,0,0]
	v_mov_b32_e32 v155, v149
	v_pk_mul_f32 v[148:149], v[150:151], v[146:147] op_sel:[0,1]
	s_delay_alu instid0(VALU_DEP_1) | instskip(SKIP_1) | instid1(VALU_DEP_1)
	v_pk_fma_f32 v[152:153], v[150:151], v[144:145], v[148:149] op_sel:[0,0,1] op_sel_hi:[1,1,0] neg_lo:[0,0,1] neg_hi:[0,0,1]
	v_pk_fma_f32 v[148:149], v[150:151], v[144:145], v[148:149] op_sel:[0,0,1] op_sel_hi:[1,0,0]
	v_mov_b32_e32 v153, v149
	ds_load_b64 v[148:149], v184 offset:232
	v_pk_add_f32 v[118:119], v[118:119], v[154:155] neg_lo:[0,1] neg_hi:[0,1]
	v_pk_add_f32 v[116:117], v[116:117], v[152:153] neg_lo:[0,1] neg_hi:[0,1]
	s_wait_dscnt 0x0
	v_pk_mul_f32 v[146:147], v[148:149], v[146:147] op_sel:[0,1]
	s_delay_alu instid0(VALU_DEP_1) | instskip(SKIP_1) | instid1(VALU_DEP_1)
	v_pk_fma_f32 v[150:151], v[148:149], v[144:145], v[146:147] op_sel:[0,0,1] op_sel_hi:[1,1,0] neg_lo:[0,0,1] neg_hi:[0,0,1]
	v_pk_fma_f32 v[144:145], v[148:149], v[144:145], v[146:147] op_sel:[0,0,1] op_sel_hi:[1,0,0]
	v_mov_b32_e32 v151, v145
	s_delay_alu instid0(VALU_DEP_1)
	v_pk_add_f32 v[120:121], v[120:121], v[150:151] neg_lo:[0,1] neg_hi:[0,1]
.LBB59_100:
	s_or_b32 exec_lo, exec_lo, s1
	s_delay_alu instid0(SALU_CYCLE_1)
	s_mov_b32 s2, exec_lo
	s_wait_dscnt 0x0
	s_barrier_signal -1
	s_barrier_wait -1
	v_cmpx_eq_u32_e32 11, v182
	s_cbranch_execz .LBB59_107
; %bb.101:
	v_dual_mov_b32 v144, v108 :: v_dual_mov_b32 v145, v109
	v_dual_mov_b32 v146, v60 :: v_dual_mov_b32 v147, v61
	ds_store_b64 v183, v[88:89]
	ds_store_2addr_b64 v184, v[144:145], v[146:147] offset0:12 offset1:13
	v_dual_mov_b32 v144, v62 :: v_dual_mov_b32 v145, v63
	v_dual_mov_b32 v146, v58 :: v_dual_mov_b32 v147, v59
	ds_store_2addr_b64 v184, v[144:145], v[146:147] offset0:14 offset1:15
	v_dual_mov_b32 v144, v78 :: v_dual_mov_b32 v145, v79
	v_dual_mov_b32 v146, v74 :: v_dual_mov_b32 v147, v75
	;; [unrolled: 3-line block ×7, first 2 shown]
	ds_store_2addr_b64 v184, v[144:145], v[146:147] offset0:26 offset1:27
	v_dual_mov_b32 v144, v116 :: v_dual_mov_b32 v145, v117
	ds_store_2addr_b64 v184, v[144:145], v[120:121] offset0:28 offset1:29
	ds_load_b64 v[144:145], v183
	s_wait_dscnt 0x0
	v_cmp_neq_f32_e32 vcc_lo, 0, v144
	v_cmp_neq_f32_e64 s1, 0, v145
	s_or_b32 s1, vcc_lo, s1
	s_delay_alu instid0(SALU_CYCLE_1)
	s_and_b32 exec_lo, exec_lo, s1
	s_cbranch_execz .LBB59_107
; %bb.102:
	v_cmp_ngt_f32_e64 s1, |v144|, |v145|
                                        ; implicit-def: $vgpr146_vgpr147
	s_and_saveexec_b32 s4, s1
	s_delay_alu instid0(SALU_CYCLE_1)
	s_xor_b32 s1, exec_lo, s4
	s_cbranch_execz .LBB59_104
; %bb.103:
	v_div_scale_f32 v146, null, v145, v145, v144
	v_div_scale_f32 v149, vcc_lo, v144, v145, v144
	s_delay_alu instid0(VALU_DEP_2) | instskip(SKIP_1) | instid1(TRANS32_DEP_1)
	v_rcp_f32_e32 v147, v146
	v_nop
	v_fma_f32 v148, -v146, v147, 1.0
	s_delay_alu instid0(VALU_DEP_1) | instskip(NEXT) | instid1(VALU_DEP_1)
	v_fmac_f32_e32 v147, v148, v147
	v_mul_f32_e32 v148, v149, v147
	s_delay_alu instid0(VALU_DEP_1) | instskip(NEXT) | instid1(VALU_DEP_1)
	v_fma_f32 v150, -v146, v148, v149
	v_fmac_f32_e32 v148, v150, v147
	s_delay_alu instid0(VALU_DEP_1) | instskip(NEXT) | instid1(VALU_DEP_1)
	v_fma_f32 v146, -v146, v148, v149
	v_div_fmas_f32 v146, v146, v147, v148
	s_delay_alu instid0(VALU_DEP_1) | instskip(NEXT) | instid1(VALU_DEP_1)
	v_div_fixup_f32 v146, v146, v145, v144
	v_fmac_f32_e32 v145, v144, v146
	s_delay_alu instid0(VALU_DEP_1) | instskip(SKIP_1) | instid1(VALU_DEP_2)
	v_div_scale_f32 v144, null, v145, v145, 1.0
	v_div_scale_f32 v149, vcc_lo, 1.0, v145, 1.0
	v_rcp_f32_e32 v147, v144
	v_nop
	s_delay_alu instid0(TRANS32_DEP_1) | instskip(NEXT) | instid1(VALU_DEP_1)
	v_fma_f32 v148, -v144, v147, 1.0
	v_fmac_f32_e32 v147, v148, v147
	s_delay_alu instid0(VALU_DEP_1) | instskip(NEXT) | instid1(VALU_DEP_1)
	v_mul_f32_e32 v148, v149, v147
	v_fma_f32 v150, -v144, v148, v149
	s_delay_alu instid0(VALU_DEP_1) | instskip(NEXT) | instid1(VALU_DEP_1)
	v_fmac_f32_e32 v148, v150, v147
	v_fma_f32 v144, -v144, v148, v149
	s_delay_alu instid0(VALU_DEP_1) | instskip(NEXT) | instid1(VALU_DEP_1)
	v_div_fmas_f32 v144, v144, v147, v148
	v_div_fixup_f32 v144, v144, v145, 1.0
	s_delay_alu instid0(VALU_DEP_1)
	v_mul_f32_e32 v146, v146, v144
	v_xor_b32_e32 v147, 0x80000000, v144
                                        ; implicit-def: $vgpr144_vgpr145
.LBB59_104:
	s_and_not1_saveexec_b32 s1, s1
	s_cbranch_execz .LBB59_106
; %bb.105:
	v_div_scale_f32 v146, null, v144, v144, v145
	v_div_scale_f32 v149, vcc_lo, v145, v144, v145
	s_delay_alu instid0(VALU_DEP_2) | instskip(SKIP_1) | instid1(TRANS32_DEP_1)
	v_rcp_f32_e32 v147, v146
	v_nop
	v_fma_f32 v148, -v146, v147, 1.0
	s_delay_alu instid0(VALU_DEP_1) | instskip(NEXT) | instid1(VALU_DEP_1)
	v_fmac_f32_e32 v147, v148, v147
	v_mul_f32_e32 v148, v149, v147
	s_delay_alu instid0(VALU_DEP_1) | instskip(NEXT) | instid1(VALU_DEP_1)
	v_fma_f32 v150, -v146, v148, v149
	v_fmac_f32_e32 v148, v150, v147
	s_delay_alu instid0(VALU_DEP_1) | instskip(NEXT) | instid1(VALU_DEP_1)
	v_fma_f32 v146, -v146, v148, v149
	v_div_fmas_f32 v146, v146, v147, v148
	s_delay_alu instid0(VALU_DEP_1) | instskip(NEXT) | instid1(VALU_DEP_1)
	v_div_fixup_f32 v147, v146, v144, v145
	v_fmac_f32_e32 v144, v145, v147
	s_delay_alu instid0(VALU_DEP_1) | instskip(NEXT) | instid1(VALU_DEP_1)
	v_div_scale_f32 v145, null, v144, v144, 1.0
	v_rcp_f32_e32 v146, v145
	v_nop
	s_delay_alu instid0(TRANS32_DEP_1) | instskip(NEXT) | instid1(VALU_DEP_1)
	v_fma_f32 v148, -v145, v146, 1.0
	v_fmac_f32_e32 v146, v148, v146
	v_div_scale_f32 v148, vcc_lo, 1.0, v144, 1.0
	s_delay_alu instid0(VALU_DEP_1) | instskip(NEXT) | instid1(VALU_DEP_1)
	v_mul_f32_e32 v149, v148, v146
	v_fma_f32 v150, -v145, v149, v148
	s_delay_alu instid0(VALU_DEP_1) | instskip(NEXT) | instid1(VALU_DEP_1)
	v_fmac_f32_e32 v149, v150, v146
	v_fma_f32 v145, -v145, v149, v148
	s_delay_alu instid0(VALU_DEP_1) | instskip(NEXT) | instid1(VALU_DEP_1)
	v_div_fmas_f32 v145, v145, v146, v149
	v_div_fixup_f32 v146, v145, v144, 1.0
	s_delay_alu instid0(VALU_DEP_1)
	v_mul_f32_e64 v147, v147, -v146
.LBB59_106:
	s_or_b32 exec_lo, exec_lo, s1
	ds_store_b64 v183, v[146:147]
.LBB59_107:
	s_or_b32 exec_lo, exec_lo, s2
	s_wait_dscnt 0x0
	s_barrier_signal -1
	s_barrier_wait -1
	ds_load_b64 v[144:145], v183
	s_mov_b32 s1, exec_lo
	v_cmpx_lt_u32_e32 11, v182
	s_cbranch_execz .LBB59_109
; %bb.108:
	ds_load_2addr_b64 v[146:149], v184 offset0:12 offset1:13
	ds_load_2addr_b64 v[150:153], v184 offset0:14 offset1:15
	;; [unrolled: 1-line block ×3, first 2 shown]
	s_wait_dscnt 0x3
	v_pk_mul_f32 v[158:159], v[144:145], v[88:89] op_sel:[1,1] op_sel_hi:[0,1]
	s_delay_alu instid0(VALU_DEP_1)
	v_pk_fma_f32 v[166:167], v[144:145], v[88:89], v[158:159] op_sel_hi:[1,0,1] neg_lo:[0,0,1] neg_hi:[0,0,1]
	v_pk_fma_f32 v[168:169], v[144:145], v[88:89], v[158:159] op_sel_hi:[1,0,1]
	ds_load_2addr_b64 v[158:161], v184 offset0:18 offset1:19
	ds_load_2addr_b64 v[162:165], v184 offset0:20 offset1:21
	v_dual_mov_b32 v88, v166 :: v_dual_mov_b32 v89, v169
	s_wait_dscnt 0x4
	v_pk_mul_f32 v[170:171], v[146:147], v[168:169] op_sel:[0,1]
	v_pk_mul_f32 v[172:173], v[148:149], v[168:169] op_sel:[0,1]
	s_wait_dscnt 0x3
	v_pk_mul_f32 v[174:175], v[150:151], v[168:169] op_sel:[0,1]
	s_wait_dscnt 0x2
	v_pk_mul_f32 v[186:187], v[154:155], v[168:169] op_sel:[0,1]
	v_dual_mov_b32 v176, v153 :: v_dual_mov_b32 v177, v152
	v_pk_fma_f32 v[190:191], v[146:147], v[166:167], v[170:171] op_sel:[0,0,1] op_sel_hi:[1,1,0] neg_lo:[0,0,1] neg_hi:[0,0,1]
	v_pk_fma_f32 v[146:147], v[146:147], v[166:167], v[170:171] op_sel:[0,0,1] op_sel_hi:[1,0,0]
	v_dual_mul_f32 v178, v153, v169 :: v_dual_mul_f32 v180, v153, v166
	v_pk_mul_f32 v[188:189], v[156:157], v[168:169] op_sel:[0,1]
	v_pk_fma_f32 v[170:171], v[148:149], v[166:167], v[172:173] op_sel:[0,0,1] op_sel_hi:[1,1,0] neg_lo:[0,0,1] neg_hi:[0,0,1]
	v_pk_fma_f32 v[148:149], v[148:149], v[166:167], v[172:173] op_sel:[0,0,1] op_sel_hi:[1,0,0]
	v_pk_fma_f32 v[172:173], v[150:151], v[166:167], v[174:175] op_sel:[0,0,1] op_sel_hi:[1,1,0] neg_lo:[0,0,1] neg_hi:[0,0,1]
	v_pk_fma_f32 v[150:151], v[150:151], v[166:167], v[174:175] op_sel:[0,0,1] op_sel_hi:[1,0,0]
	v_mov_b32_e32 v191, v147
	v_pk_fma_f32 v[146:147], v[154:155], v[166:167], v[186:187] op_sel:[0,0,1] op_sel_hi:[1,0,0]
	v_pk_fma_f32 v[174:175], v[176:177], v[88:89], v[180:181] op_sel_hi:[1,1,0]
	v_pk_fma_f32 v[176:177], v[154:155], v[166:167], v[186:187] op_sel:[0,0,1] op_sel_hi:[1,1,0] neg_lo:[0,0,1] neg_hi:[0,0,1]
	v_dual_mov_b32 v171, v149 :: v_dual_mov_b32 v173, v151
	v_pk_fma_f32 v[150:151], v[156:157], v[166:167], v[188:189] op_sel:[0,0,1] op_sel_hi:[1,0,0]
	s_wait_dscnt 0x1
	v_pk_mul_f32 v[154:155], v[158:159], v[168:169] op_sel:[0,1]
	v_mov_b32_e32 v177, v147
	ds_load_2addr_b64 v[146:149], v184 offset0:22 offset1:23
	v_pk_fma_f32 v[152:153], v[152:153], v[88:89], v[178:179] op_sel_hi:[1,1,0] neg_lo:[0,0,1] neg_hi:[0,0,1]
	v_pk_fma_f32 v[156:157], v[156:157], v[166:167], v[188:189] op_sel:[0,0,1] op_sel_hi:[1,1,0] neg_lo:[0,0,1] neg_hi:[0,0,1]
	v_mov_b32_e32 v153, v175
	v_pk_add_f32 v[60:61], v[60:61], v[170:171] neg_lo:[0,1] neg_hi:[0,1]
	v_pk_mul_f32 v[170:171], v[160:161], v[168:169] op_sel:[0,1]
	v_mov_b32_e32 v157, v151
	v_pk_fma_f32 v[150:151], v[158:159], v[166:167], v[154:155] op_sel:[0,0,1] op_sel_hi:[1,0,0]
	v_pk_fma_f32 v[154:155], v[158:159], v[166:167], v[154:155] op_sel:[0,0,1] op_sel_hi:[1,1,0] neg_lo:[0,0,1] neg_hi:[0,0,1]
	v_pk_add_f32 v[58:59], v[58:59], v[152:153] neg_lo:[0,1] neg_hi:[0,1]
	v_pk_fma_f32 v[152:153], v[160:161], v[166:167], v[170:171] op_sel:[0,0,1] op_sel_hi:[1,0,0]
	v_pk_add_f32 v[74:75], v[74:75], v[156:157] neg_lo:[0,1] neg_hi:[0,1]
	v_mov_b32_e32 v155, v151
	v_pk_fma_f32 v[156:157], v[160:161], v[166:167], v[170:171] op_sel:[0,0,1] op_sel_hi:[1,1,0] neg_lo:[0,0,1] neg_hi:[0,0,1]
	s_wait_dscnt 0x1
	v_dual_mul_f32 v158, v163, v166 :: v_dual_mov_b32 v157, v153
	ds_load_2addr_b64 v[150:153], v184 offset0:24 offset1:25
	v_pk_add_f32 v[76:77], v[76:77], v[154:155] neg_lo:[0,1] neg_hi:[0,1]
	v_mul_f32_e32 v154, v163, v169
	v_pk_mul_f32 v[160:161], v[164:165], v[168:169] op_sel:[0,1]
	v_pk_fma_f32 v[158:159], v[162:163], v[88:89], v[158:159] op_sel:[1,0,0] op_sel_hi:[0,1,0]
	v_pk_add_f32 v[72:73], v[72:73], v[156:157] neg_lo:[0,1] neg_hi:[0,1]
	v_pk_add_f32 v[62:63], v[62:63], v[172:173] neg_lo:[0,1] neg_hi:[0,1]
	v_pk_fma_f32 v[162:163], v[162:163], v[88:89], v[154:155] op_sel_hi:[1,1,0] neg_lo:[0,0,1] neg_hi:[0,0,1]
	ds_load_2addr_b64 v[154:157], v184 offset0:26 offset1:27
	s_wait_dscnt 0x2
	v_pk_mul_f32 v[170:171], v[146:147], v[168:169] op_sel:[0,1]
	v_pk_fma_f32 v[172:173], v[164:165], v[166:167], v[160:161] op_sel:[0,0,1] op_sel_hi:[1,0,0]
	v_pk_fma_f32 v[160:161], v[164:165], v[166:167], v[160:161] op_sel:[0,0,1] op_sel_hi:[1,1,0] neg_lo:[0,0,1] neg_hi:[0,0,1]
	v_mov_b32_e32 v163, v159
	v_pk_mul_f32 v[164:165], v[148:149], v[168:169] op_sel:[0,1]
	v_pk_fma_f32 v[158:159], v[146:147], v[166:167], v[170:171] op_sel:[0,0,1] op_sel_hi:[1,0,0]
	v_mov_b32_e32 v161, v173
	v_pk_fma_f32 v[146:147], v[146:147], v[166:167], v[170:171] op_sel:[0,0,1] op_sel_hi:[1,1,0] neg_lo:[0,0,1] neg_hi:[0,0,1]
	v_pk_add_f32 v[98:99], v[98:99], v[162:163] neg_lo:[0,1] neg_hi:[0,1]
	v_pk_fma_f32 v[162:163], v[148:149], v[166:167], v[164:165] op_sel:[0,0,1] op_sel_hi:[1,0,0]
	s_wait_dscnt 0x1
	v_dual_mov_b32 v147, v159 :: v_dual_mov_b32 v162, v153
	v_pk_add_f32 v[94:95], v[94:95], v[160:161] neg_lo:[0,1] neg_hi:[0,1]
	ds_load_2addr_b64 v[158:161], v184 offset0:28 offset1:29
	v_pk_mul_f32 v[170:171], v[150:151], v[168:169] op_sel:[0,1]
	v_pk_add_f32 v[96:97], v[96:97], v[146:147] neg_lo:[0,1] neg_hi:[0,1]
	v_pk_fma_f32 v[146:147], v[148:149], v[166:167], v[164:165] op_sel:[0,0,1] op_sel_hi:[1,1,0] neg_lo:[0,0,1] neg_hi:[0,0,1]
	v_dual_mov_b32 v147, v163 :: v_dual_mov_b32 v163, v152
	s_delay_alu instid0(VALU_DEP_4)
	v_pk_fma_f32 v[148:149], v[150:151], v[166:167], v[170:171] op_sel:[0,0,1] op_sel_hi:[1,0,0]
	s_wait_dscnt 0x1
	v_pk_mul_f32 v[164:165], v[154:155], v[168:169] op_sel:[0,1]
	v_mul_f32_e32 v148, v153, v166
	v_pk_fma_f32 v[150:151], v[150:151], v[166:167], v[170:171] op_sel:[0,0,1] op_sel_hi:[1,1,0] neg_lo:[0,0,1] neg_hi:[0,0,1]
	v_mul_f32_e32 v170, v153, v169
	v_pk_add_f32 v[92:93], v[92:93], v[146:147] neg_lo:[0,1] neg_hi:[0,1]
	v_pk_fma_f32 v[146:147], v[154:155], v[166:167], v[164:165] op_sel:[0,0,1] op_sel_hi:[1,0,0]
	v_mov_b32_e32 v151, v149
	v_pk_fma_f32 v[148:149], v[162:163], v[88:89], v[148:149] op_sel_hi:[1,1,0]
	v_pk_add_f32 v[108:109], v[108:109], v[190:191] neg_lo:[0,1] neg_hi:[0,1]
	v_pk_add_f32 v[78:79], v[78:79], v[176:177] neg_lo:[0,1] neg_hi:[0,1]
	s_delay_alu instid0(VALU_DEP_4)
	v_pk_add_f32 v[114:115], v[114:115], v[150:151] neg_lo:[0,1] neg_hi:[0,1]
	v_pk_fma_f32 v[150:151], v[152:153], v[88:89], v[170:171] op_sel_hi:[1,1,0] neg_lo:[0,0,1] neg_hi:[0,0,1]
	v_mov_b32_e32 v151, v149
	v_pk_fma_f32 v[148:149], v[154:155], v[166:167], v[164:165] op_sel:[0,0,1] op_sel_hi:[1,1,0] neg_lo:[0,0,1] neg_hi:[0,0,1]
	v_mov_b32_e32 v149, v147
	v_pk_mul_f32 v[146:147], v[156:157], v[168:169] op_sel:[0,1]
	s_wait_dscnt 0x0
	v_pk_mul_f32 v[152:153], v[158:159], v[168:169] op_sel:[0,1]
	v_dual_mov_b32 v154, v161 :: v_dual_mov_b32 v155, v160
	v_mul_f32_e32 v162, v161, v166
	v_pk_fma_f32 v[164:165], v[156:157], v[166:167], v[146:147] op_sel:[0,0,1] op_sel_hi:[1,0,0]
	v_pk_fma_f32 v[146:147], v[156:157], v[166:167], v[146:147] op_sel:[0,0,1] op_sel_hi:[1,1,0] neg_lo:[0,0,1] neg_hi:[0,0,1]
	v_pk_fma_f32 v[156:157], v[158:159], v[166:167], v[152:153] op_sel:[0,0,1] op_sel_hi:[1,0,0]
	v_pk_fma_f32 v[152:153], v[158:159], v[166:167], v[152:153] op_sel:[0,0,1] op_sel_hi:[1,1,0] neg_lo:[0,0,1] neg_hi:[0,0,1]
	v_pk_fma_f32 v[154:155], v[154:155], v[88:89], v[162:163] op_sel_hi:[1,1,0]
	v_mul_f32_e32 v156, v161, v169
	s_delay_alu instid0(VALU_DEP_4) | instskip(SKIP_2) | instid1(VALU_DEP_4)
	v_dual_mov_b32 v147, v165 :: v_dual_mov_b32 v153, v157
	v_pk_add_f32 v[110:111], v[110:111], v[150:151] neg_lo:[0,1] neg_hi:[0,1]
	v_pk_add_f32 v[112:113], v[112:113], v[148:149] neg_lo:[0,1] neg_hi:[0,1]
	v_pk_fma_f32 v[156:157], v[160:161], v[88:89], v[156:157] op_sel_hi:[1,1,0] neg_lo:[0,0,1] neg_hi:[0,0,1]
	v_mov_b32_e32 v157, v155
	v_pk_add_f32 v[118:119], v[118:119], v[146:147] neg_lo:[0,1] neg_hi:[0,1]
	v_pk_add_f32 v[116:117], v[116:117], v[152:153] neg_lo:[0,1] neg_hi:[0,1]
	s_delay_alu instid0(VALU_DEP_3)
	v_pk_add_f32 v[120:121], v[120:121], v[156:157] neg_lo:[0,1] neg_hi:[0,1]
.LBB59_109:
	s_or_b32 exec_lo, exec_lo, s1
	s_delay_alu instid0(SALU_CYCLE_1)
	s_mov_b32 s2, exec_lo
	s_wait_dscnt 0x0
	s_barrier_signal -1
	s_barrier_wait -1
	v_cmpx_eq_u32_e32 12, v182
	s_cbranch_execz .LBB59_116
; %bb.110:
	ds_store_b64 v183, v[108:109]
	ds_store_2addr_b64 v184, v[60:61], v[62:63] offset0:13 offset1:14
	ds_store_2addr_b64 v184, v[58:59], v[78:79] offset0:15 offset1:16
	;; [unrolled: 1-line block ×8, first 2 shown]
	ds_store_b64 v184, v[120:121] offset:232
	ds_load_b64 v[146:147], v183
	s_wait_dscnt 0x0
	v_cmp_neq_f32_e32 vcc_lo, 0, v146
	v_cmp_neq_f32_e64 s1, 0, v147
	s_or_b32 s1, vcc_lo, s1
	s_delay_alu instid0(SALU_CYCLE_1)
	s_and_b32 exec_lo, exec_lo, s1
	s_cbranch_execz .LBB59_116
; %bb.111:
	v_cmp_ngt_f32_e64 s1, |v146|, |v147|
                                        ; implicit-def: $vgpr148_vgpr149
	s_and_saveexec_b32 s4, s1
	s_delay_alu instid0(SALU_CYCLE_1)
	s_xor_b32 s1, exec_lo, s4
	s_cbranch_execz .LBB59_113
; %bb.112:
	v_div_scale_f32 v148, null, v147, v147, v146
	v_div_scale_f32 v151, vcc_lo, v146, v147, v146
	s_delay_alu instid0(VALU_DEP_2) | instskip(SKIP_1) | instid1(TRANS32_DEP_1)
	v_rcp_f32_e32 v149, v148
	v_nop
	v_fma_f32 v150, -v148, v149, 1.0
	s_delay_alu instid0(VALU_DEP_1) | instskip(NEXT) | instid1(VALU_DEP_1)
	v_fmac_f32_e32 v149, v150, v149
	v_mul_f32_e32 v150, v151, v149
	s_delay_alu instid0(VALU_DEP_1) | instskip(NEXT) | instid1(VALU_DEP_1)
	v_fma_f32 v152, -v148, v150, v151
	v_fmac_f32_e32 v150, v152, v149
	s_delay_alu instid0(VALU_DEP_1) | instskip(NEXT) | instid1(VALU_DEP_1)
	v_fma_f32 v148, -v148, v150, v151
	v_div_fmas_f32 v148, v148, v149, v150
	s_delay_alu instid0(VALU_DEP_1) | instskip(NEXT) | instid1(VALU_DEP_1)
	v_div_fixup_f32 v148, v148, v147, v146
	v_fmac_f32_e32 v147, v146, v148
	s_delay_alu instid0(VALU_DEP_1) | instskip(SKIP_1) | instid1(VALU_DEP_2)
	v_div_scale_f32 v146, null, v147, v147, 1.0
	v_div_scale_f32 v151, vcc_lo, 1.0, v147, 1.0
	v_rcp_f32_e32 v149, v146
	v_nop
	s_delay_alu instid0(TRANS32_DEP_1) | instskip(NEXT) | instid1(VALU_DEP_1)
	v_fma_f32 v150, -v146, v149, 1.0
	v_fmac_f32_e32 v149, v150, v149
	s_delay_alu instid0(VALU_DEP_1) | instskip(NEXT) | instid1(VALU_DEP_1)
	v_mul_f32_e32 v150, v151, v149
	v_fma_f32 v152, -v146, v150, v151
	s_delay_alu instid0(VALU_DEP_1) | instskip(NEXT) | instid1(VALU_DEP_1)
	v_fmac_f32_e32 v150, v152, v149
	v_fma_f32 v146, -v146, v150, v151
	s_delay_alu instid0(VALU_DEP_1) | instskip(NEXT) | instid1(VALU_DEP_1)
	v_div_fmas_f32 v146, v146, v149, v150
	v_div_fixup_f32 v146, v146, v147, 1.0
	s_delay_alu instid0(VALU_DEP_1)
	v_mul_f32_e32 v148, v148, v146
	v_xor_b32_e32 v149, 0x80000000, v146
                                        ; implicit-def: $vgpr146_vgpr147
.LBB59_113:
	s_and_not1_saveexec_b32 s1, s1
	s_cbranch_execz .LBB59_115
; %bb.114:
	v_div_scale_f32 v148, null, v146, v146, v147
	v_div_scale_f32 v151, vcc_lo, v147, v146, v147
	s_delay_alu instid0(VALU_DEP_2) | instskip(SKIP_1) | instid1(TRANS32_DEP_1)
	v_rcp_f32_e32 v149, v148
	v_nop
	v_fma_f32 v150, -v148, v149, 1.0
	s_delay_alu instid0(VALU_DEP_1) | instskip(NEXT) | instid1(VALU_DEP_1)
	v_fmac_f32_e32 v149, v150, v149
	v_mul_f32_e32 v150, v151, v149
	s_delay_alu instid0(VALU_DEP_1) | instskip(NEXT) | instid1(VALU_DEP_1)
	v_fma_f32 v152, -v148, v150, v151
	v_fmac_f32_e32 v150, v152, v149
	s_delay_alu instid0(VALU_DEP_1) | instskip(NEXT) | instid1(VALU_DEP_1)
	v_fma_f32 v148, -v148, v150, v151
	v_div_fmas_f32 v148, v148, v149, v150
	s_delay_alu instid0(VALU_DEP_1) | instskip(NEXT) | instid1(VALU_DEP_1)
	v_div_fixup_f32 v149, v148, v146, v147
	v_fmac_f32_e32 v146, v147, v149
	s_delay_alu instid0(VALU_DEP_1) | instskip(NEXT) | instid1(VALU_DEP_1)
	v_div_scale_f32 v147, null, v146, v146, 1.0
	v_rcp_f32_e32 v148, v147
	v_nop
	s_delay_alu instid0(TRANS32_DEP_1) | instskip(NEXT) | instid1(VALU_DEP_1)
	v_fma_f32 v150, -v147, v148, 1.0
	v_fmac_f32_e32 v148, v150, v148
	v_div_scale_f32 v150, vcc_lo, 1.0, v146, 1.0
	s_delay_alu instid0(VALU_DEP_1) | instskip(NEXT) | instid1(VALU_DEP_1)
	v_mul_f32_e32 v151, v150, v148
	v_fma_f32 v152, -v147, v151, v150
	s_delay_alu instid0(VALU_DEP_1) | instskip(NEXT) | instid1(VALU_DEP_1)
	v_fmac_f32_e32 v151, v152, v148
	v_fma_f32 v147, -v147, v151, v150
	s_delay_alu instid0(VALU_DEP_1) | instskip(NEXT) | instid1(VALU_DEP_1)
	v_div_fmas_f32 v147, v147, v148, v151
	v_div_fixup_f32 v148, v147, v146, 1.0
	s_delay_alu instid0(VALU_DEP_1)
	v_mul_f32_e64 v149, v149, -v148
.LBB59_115:
	s_or_b32 exec_lo, exec_lo, s1
	ds_store_b64 v183, v[148:149]
.LBB59_116:
	s_or_b32 exec_lo, exec_lo, s2
	s_wait_dscnt 0x0
	s_barrier_signal -1
	s_barrier_wait -1
	ds_load_b64 v[146:147], v183
	s_mov_b32 s1, exec_lo
	v_cmpx_lt_u32_e32 12, v182
	s_cbranch_execz .LBB59_118
; %bb.117:
	ds_load_2addr_b64 v[148:151], v184 offset0:13 offset1:14
	ds_load_2addr_b64 v[152:155], v184 offset0:15 offset1:16
	;; [unrolled: 1-line block ×3, first 2 shown]
	s_wait_dscnt 0x3
	v_pk_mul_f32 v[160:161], v[146:147], v[108:109] op_sel:[1,1] op_sel_hi:[0,1]
	s_delay_alu instid0(VALU_DEP_1)
	v_pk_fma_f32 v[170:171], v[146:147], v[108:109], v[160:161] op_sel_hi:[1,0,1]
	v_pk_fma_f32 v[168:169], v[146:147], v[108:109], v[160:161] op_sel_hi:[1,0,1] neg_lo:[0,0,1] neg_hi:[0,0,1]
	ds_load_2addr_b64 v[160:163], v184 offset0:19 offset1:20
	ds_load_2addr_b64 v[164:167], v184 offset0:21 offset1:22
	v_dual_mov_b32 v109, v171 :: v_dual_mov_b32 v108, v168
	s_wait_dscnt 0x4
	v_pk_mul_f32 v[172:173], v[148:149], v[170:171] op_sel:[0,1]
	v_pk_mul_f32 v[174:175], v[150:151], v[170:171] op_sel:[0,1]
	s_wait_dscnt 0x3
	v_pk_mul_f32 v[176:177], v[152:153], v[170:171] op_sel:[0,1]
	v_dual_mov_b32 v178, v155 :: v_dual_mov_b32 v179, v154
	v_dual_mul_f32 v180, v155, v171 :: v_dual_mul_f32 v186, v155, v168
	s_wait_dscnt 0x2
	v_pk_mul_f32 v[188:189], v[156:157], v[170:171] op_sel:[0,1]
	v_pk_fma_f32 v[192:193], v[148:149], v[168:169], v[172:173] op_sel:[0,0,1] op_sel_hi:[1,1,0] neg_lo:[0,0,1] neg_hi:[0,0,1]
	v_pk_fma_f32 v[148:149], v[148:149], v[168:169], v[172:173] op_sel:[0,0,1] op_sel_hi:[1,0,0]
	v_pk_mul_f32 v[190:191], v[158:159], v[170:171] op_sel:[0,1]
	v_pk_fma_f32 v[172:173], v[150:151], v[168:169], v[174:175] op_sel:[0,0,1] op_sel_hi:[1,1,0] neg_lo:[0,0,1] neg_hi:[0,0,1]
	v_pk_fma_f32 v[150:151], v[150:151], v[168:169], v[174:175] op_sel:[0,0,1] op_sel_hi:[1,0,0]
	v_pk_fma_f32 v[174:175], v[152:153], v[168:169], v[176:177] op_sel:[0,0,1] op_sel_hi:[1,1,0] neg_lo:[0,0,1] neg_hi:[0,0,1]
	v_pk_fma_f32 v[152:153], v[152:153], v[168:169], v[176:177] op_sel:[0,0,1] op_sel_hi:[1,0,0]
	v_pk_fma_f32 v[176:177], v[178:179], v[108:109], v[186:187] op_sel_hi:[1,1,0]
	s_delay_alu instid0(VALU_DEP_4)
	v_dual_mov_b32 v193, v149 :: v_dual_mov_b32 v173, v151
	v_pk_fma_f32 v[148:149], v[156:157], v[168:169], v[188:189] op_sel:[0,0,1] op_sel_hi:[1,0,0]
	v_pk_fma_f32 v[154:155], v[154:155], v[108:109], v[180:181] op_sel_hi:[1,1,0] neg_lo:[0,0,1] neg_hi:[0,0,1]
	v_pk_fma_f32 v[178:179], v[156:157], v[168:169], v[188:189] op_sel:[0,0,1] op_sel_hi:[1,1,0] neg_lo:[0,0,1] neg_hi:[0,0,1]
	v_dual_mov_b32 v175, v153 :: v_dual_mov_b32 v155, v177
	v_pk_fma_f32 v[152:153], v[158:159], v[168:169], v[190:191] op_sel:[0,0,1] op_sel_hi:[1,0,0]
	v_mov_b32_e32 v179, v149
	v_pk_fma_f32 v[156:157], v[158:159], v[168:169], v[190:191] op_sel:[0,0,1] op_sel_hi:[1,1,0] neg_lo:[0,0,1] neg_hi:[0,0,1]
	s_wait_dscnt 0x1
	v_pk_mul_f32 v[158:159], v[160:161], v[170:171] op_sel:[0,1]
	ds_load_2addr_b64 v[148:151], v184 offset0:23 offset1:24
	v_mov_b32_e32 v157, v153
	v_pk_mul_f32 v[152:153], v[162:163], v[170:171] op_sel:[0,1]
	v_pk_add_f32 v[78:79], v[78:79], v[154:155] neg_lo:[0,1] neg_hi:[0,1]
	v_pk_fma_f32 v[154:155], v[160:161], v[168:169], v[158:159] op_sel:[0,0,1] op_sel_hi:[1,0,0]
	v_pk_fma_f32 v[158:159], v[160:161], v[168:169], v[158:159] op_sel:[0,0,1] op_sel_hi:[1,1,0] neg_lo:[0,0,1] neg_hi:[0,0,1]
	v_pk_add_f32 v[76:77], v[76:77], v[156:157] neg_lo:[0,1] neg_hi:[0,1]
	v_pk_fma_f32 v[156:157], v[162:163], v[168:169], v[152:153] op_sel:[0,0,1] op_sel_hi:[1,0,0]
	v_pk_fma_f32 v[160:161], v[162:163], v[168:169], v[152:153] op_sel:[0,0,1] op_sel_hi:[1,1,0] neg_lo:[0,0,1] neg_hi:[0,0,1]
	s_wait_dscnt 0x1
	v_dual_mov_b32 v159, v155 :: v_dual_mul_f32 v156, v165, v168
	ds_load_2addr_b64 v[152:155], v184 offset0:25 offset1:26
	v_mov_b32_e32 v161, v157
	v_mul_f32_e32 v162, v165, v171
	v_pk_add_f32 v[72:73], v[72:73], v[158:159] neg_lo:[0,1] neg_hi:[0,1]
	v_pk_mul_f32 v[158:159], v[166:167], v[170:171] op_sel:[0,1]
	v_pk_add_f32 v[62:63], v[62:63], v[172:173] neg_lo:[0,1] neg_hi:[0,1]
	v_pk_fma_f32 v[156:157], v[164:165], v[108:109], v[156:157] op_sel:[1,0,0] op_sel_hi:[0,1,0]
	v_pk_add_f32 v[98:99], v[98:99], v[160:161] neg_lo:[0,1] neg_hi:[0,1]
	v_pk_fma_f32 v[160:161], v[164:165], v[108:109], v[162:163] op_sel_hi:[1,1,0] neg_lo:[0,0,1] neg_hi:[0,0,1]
	v_pk_fma_f32 v[164:165], v[166:167], v[168:169], v[158:159] op_sel:[0,0,1] op_sel_hi:[1,0,0]
	s_wait_dscnt 0x1
	v_pk_mul_f32 v[172:173], v[150:151], v[170:171] op_sel:[0,1]
	v_pk_mul_f32 v[162:163], v[148:149], v[170:171] op_sel:[0,1]
	v_pk_fma_f32 v[166:167], v[166:167], v[168:169], v[158:159] op_sel:[0,0,1] op_sel_hi:[1,1,0] neg_lo:[0,0,1] neg_hi:[0,0,1]
	v_pk_add_f32 v[58:59], v[58:59], v[174:175] neg_lo:[0,1] neg_hi:[0,1]
	v_mov_b32_e32 v167, v165
	v_pk_fma_f32 v[164:165], v[150:151], v[168:169], v[172:173] op_sel:[0,0,1] op_sel_hi:[1,0,0]
	v_mov_b32_e32 v161, v157
	ds_load_2addr_b64 v[156:159], v184 offset0:27 offset1:28
	v_pk_fma_f32 v[174:175], v[148:149], v[168:169], v[162:163] op_sel:[0,0,1] op_sel_hi:[1,0,0]
	v_pk_fma_f32 v[148:149], v[148:149], v[168:169], v[162:163] op_sel:[0,0,1] op_sel_hi:[1,1,0] neg_lo:[0,0,1] neg_hi:[0,0,1]
	ds_load_b64 v[162:163], v184 offset:232
	v_pk_fma_f32 v[150:151], v[150:151], v[168:169], v[172:173] op_sel:[0,0,1] op_sel_hi:[1,1,0] neg_lo:[0,0,1] neg_hi:[0,0,1]
	v_dual_mov_b32 v151, v165 :: v_dual_mov_b32 v149, v175
	s_wait_dscnt 0x2
	v_pk_mul_f32 v[164:165], v[152:153], v[170:171] op_sel:[0,1]
	v_pk_add_f32 v[94:95], v[94:95], v[160:161] neg_lo:[0,1] neg_hi:[0,1]
	v_mul_f32_e32 v160, v155, v171
	v_pk_add_f32 v[114:115], v[114:115], v[150:151] neg_lo:[0,1] neg_hi:[0,1]
	v_pk_add_f32 v[92:93], v[92:93], v[148:149] neg_lo:[0,1] neg_hi:[0,1]
	v_pk_fma_f32 v[148:149], v[152:153], v[168:169], v[164:165] op_sel:[0,0,1] op_sel_hi:[1,0,0]
	v_dual_mov_b32 v150, v155 :: v_dual_mov_b32 v151, v154
	v_mul_f32_e32 v148, v155, v168
	v_pk_fma_f32 v[152:153], v[152:153], v[168:169], v[164:165] op_sel:[0,0,1] op_sel_hi:[1,1,0] neg_lo:[0,0,1] neg_hi:[0,0,1]
	s_delay_alu instid0(VALU_DEP_4)
	v_mov_b32_e32 v153, v149
	v_pk_fma_f32 v[154:155], v[154:155], v[108:109], v[160:161] op_sel_hi:[1,1,0] neg_lo:[0,0,1] neg_hi:[0,0,1]
	v_pk_add_f32 v[96:97], v[96:97], v[166:167] neg_lo:[0,1] neg_hi:[0,1]
	s_wait_dscnt 0x1
	v_pk_mul_f32 v[164:165], v[156:157], v[170:171] op_sel:[0,1]
	v_pk_fma_f32 v[148:149], v[150:151], v[108:109], v[148:149] op_sel_hi:[1,1,0]
	v_pk_mul_f32 v[150:151], v[158:159], v[170:171] op_sel:[0,1]
	s_wait_dscnt 0x0
	v_pk_mul_f32 v[160:161], v[162:163], v[170:171] op_sel:[0,1]
	v_pk_add_f32 v[60:61], v[60:61], v[192:193] neg_lo:[0,1] neg_hi:[0,1]
	v_pk_fma_f32 v[166:167], v[156:157], v[168:169], v[164:165] op_sel:[0,0,1] op_sel_hi:[1,0,0]
	v_mov_b32_e32 v155, v149
	v_pk_fma_f32 v[148:149], v[158:159], v[168:169], v[150:151] op_sel:[0,0,1] op_sel_hi:[1,0,0]
	v_pk_fma_f32 v[156:157], v[156:157], v[168:169], v[164:165] op_sel:[0,0,1] op_sel_hi:[1,1,0] neg_lo:[0,0,1] neg_hi:[0,0,1]
	v_pk_fma_f32 v[164:165], v[162:163], v[168:169], v[160:161] op_sel:[0,0,1] op_sel_hi:[1,0,0]
	v_pk_fma_f32 v[150:151], v[158:159], v[168:169], v[150:151] op_sel:[0,0,1] op_sel_hi:[1,1,0] neg_lo:[0,0,1] neg_hi:[0,0,1]
	s_delay_alu instid0(VALU_DEP_4) | instskip(SKIP_1) | instid1(VALU_DEP_4)
	v_dual_mov_b32 v157, v167 :: v_dual_mov_b32 v151, v149
	v_pk_fma_f32 v[148:149], v[162:163], v[168:169], v[160:161] op_sel:[0,0,1] op_sel_hi:[1,1,0] neg_lo:[0,0,1] neg_hi:[0,0,1]
	v_mov_b32_e32 v149, v165
	v_pk_add_f32 v[74:75], v[74:75], v[178:179] neg_lo:[0,1] neg_hi:[0,1]
	v_pk_add_f32 v[110:111], v[110:111], v[152:153] neg_lo:[0,1] neg_hi:[0,1]
	;; [unrolled: 1-line block ×6, first 2 shown]
.LBB59_118:
	s_or_b32 exec_lo, exec_lo, s1
	s_delay_alu instid0(SALU_CYCLE_1)
	s_mov_b32 s2, exec_lo
	s_wait_dscnt 0x0
	s_barrier_signal -1
	s_barrier_wait -1
	v_cmpx_eq_u32_e32 13, v182
	s_cbranch_execz .LBB59_125
; %bb.119:
	v_dual_mov_b32 v148, v62 :: v_dual_mov_b32 v149, v63
	v_dual_mov_b32 v150, v58 :: v_dual_mov_b32 v151, v59
	;; [unrolled: 1-line block ×4, first 2 shown]
	ds_store_b64 v183, v[60:61]
	ds_store_2addr_b64 v184, v[148:149], v[150:151] offset0:14 offset1:15
	ds_store_2addr_b64 v184, v[152:153], v[154:155] offset0:16 offset1:17
	v_dual_mov_b32 v148, v76 :: v_dual_mov_b32 v149, v77
	v_dual_mov_b32 v150, v72 :: v_dual_mov_b32 v151, v73
	v_dual_mov_b32 v152, v98 :: v_dual_mov_b32 v153, v99
	v_dual_mov_b32 v154, v94 :: v_dual_mov_b32 v155, v95
	v_dual_mov_b32 v156, v96 :: v_dual_mov_b32 v157, v97
	v_dual_mov_b32 v158, v92 :: v_dual_mov_b32 v159, v93
	v_dual_mov_b32 v160, v114 :: v_dual_mov_b32 v161, v115
	v_dual_mov_b32 v162, v110 :: v_dual_mov_b32 v163, v111
	v_dual_mov_b32 v164, v112 :: v_dual_mov_b32 v165, v113
	v_dual_mov_b32 v166, v118 :: v_dual_mov_b32 v167, v119
	v_dual_mov_b32 v168, v116 :: v_dual_mov_b32 v169, v117
	ds_store_2addr_b64 v184, v[148:149], v[150:151] offset0:18 offset1:19
	ds_store_2addr_b64 v184, v[152:153], v[154:155] offset0:20 offset1:21
	ds_store_2addr_b64 v184, v[156:157], v[158:159] offset0:22 offset1:23
	ds_store_2addr_b64 v184, v[160:161], v[162:163] offset0:24 offset1:25
	ds_store_2addr_b64 v184, v[164:165], v[166:167] offset0:26 offset1:27
	ds_store_2addr_b64 v184, v[168:169], v[120:121] offset0:28 offset1:29
	ds_load_b64 v[148:149], v183
	s_wait_dscnt 0x0
	v_cmp_neq_f32_e32 vcc_lo, 0, v148
	v_cmp_neq_f32_e64 s1, 0, v149
	s_or_b32 s1, vcc_lo, s1
	s_delay_alu instid0(SALU_CYCLE_1)
	s_and_b32 exec_lo, exec_lo, s1
	s_cbranch_execz .LBB59_125
; %bb.120:
	v_cmp_ngt_f32_e64 s1, |v148|, |v149|
                                        ; implicit-def: $vgpr150_vgpr151
	s_and_saveexec_b32 s4, s1
	s_delay_alu instid0(SALU_CYCLE_1)
	s_xor_b32 s1, exec_lo, s4
	s_cbranch_execz .LBB59_122
; %bb.121:
	v_div_scale_f32 v150, null, v149, v149, v148
	v_div_scale_f32 v153, vcc_lo, v148, v149, v148
	s_delay_alu instid0(VALU_DEP_2) | instskip(SKIP_1) | instid1(TRANS32_DEP_1)
	v_rcp_f32_e32 v151, v150
	v_nop
	v_fma_f32 v152, -v150, v151, 1.0
	s_delay_alu instid0(VALU_DEP_1) | instskip(NEXT) | instid1(VALU_DEP_1)
	v_fmac_f32_e32 v151, v152, v151
	v_mul_f32_e32 v152, v153, v151
	s_delay_alu instid0(VALU_DEP_1) | instskip(NEXT) | instid1(VALU_DEP_1)
	v_fma_f32 v154, -v150, v152, v153
	v_fmac_f32_e32 v152, v154, v151
	s_delay_alu instid0(VALU_DEP_1) | instskip(NEXT) | instid1(VALU_DEP_1)
	v_fma_f32 v150, -v150, v152, v153
	v_div_fmas_f32 v150, v150, v151, v152
	s_delay_alu instid0(VALU_DEP_1) | instskip(NEXT) | instid1(VALU_DEP_1)
	v_div_fixup_f32 v150, v150, v149, v148
	v_fmac_f32_e32 v149, v148, v150
	s_delay_alu instid0(VALU_DEP_1) | instskip(SKIP_1) | instid1(VALU_DEP_2)
	v_div_scale_f32 v148, null, v149, v149, 1.0
	v_div_scale_f32 v153, vcc_lo, 1.0, v149, 1.0
	v_rcp_f32_e32 v151, v148
	v_nop
	s_delay_alu instid0(TRANS32_DEP_1) | instskip(NEXT) | instid1(VALU_DEP_1)
	v_fma_f32 v152, -v148, v151, 1.0
	v_fmac_f32_e32 v151, v152, v151
	s_delay_alu instid0(VALU_DEP_1) | instskip(NEXT) | instid1(VALU_DEP_1)
	v_mul_f32_e32 v152, v153, v151
	v_fma_f32 v154, -v148, v152, v153
	s_delay_alu instid0(VALU_DEP_1) | instskip(NEXT) | instid1(VALU_DEP_1)
	v_fmac_f32_e32 v152, v154, v151
	v_fma_f32 v148, -v148, v152, v153
	s_delay_alu instid0(VALU_DEP_1) | instskip(NEXT) | instid1(VALU_DEP_1)
	v_div_fmas_f32 v148, v148, v151, v152
	v_div_fixup_f32 v148, v148, v149, 1.0
	s_delay_alu instid0(VALU_DEP_1)
	v_mul_f32_e32 v150, v150, v148
	v_xor_b32_e32 v151, 0x80000000, v148
                                        ; implicit-def: $vgpr148_vgpr149
.LBB59_122:
	s_and_not1_saveexec_b32 s1, s1
	s_cbranch_execz .LBB59_124
; %bb.123:
	v_div_scale_f32 v150, null, v148, v148, v149
	v_div_scale_f32 v153, vcc_lo, v149, v148, v149
	s_delay_alu instid0(VALU_DEP_2) | instskip(SKIP_1) | instid1(TRANS32_DEP_1)
	v_rcp_f32_e32 v151, v150
	v_nop
	v_fma_f32 v152, -v150, v151, 1.0
	s_delay_alu instid0(VALU_DEP_1) | instskip(NEXT) | instid1(VALU_DEP_1)
	v_fmac_f32_e32 v151, v152, v151
	v_mul_f32_e32 v152, v153, v151
	s_delay_alu instid0(VALU_DEP_1) | instskip(NEXT) | instid1(VALU_DEP_1)
	v_fma_f32 v154, -v150, v152, v153
	v_fmac_f32_e32 v152, v154, v151
	s_delay_alu instid0(VALU_DEP_1) | instskip(NEXT) | instid1(VALU_DEP_1)
	v_fma_f32 v150, -v150, v152, v153
	v_div_fmas_f32 v150, v150, v151, v152
	s_delay_alu instid0(VALU_DEP_1) | instskip(NEXT) | instid1(VALU_DEP_1)
	v_div_fixup_f32 v151, v150, v148, v149
	v_fmac_f32_e32 v148, v149, v151
	s_delay_alu instid0(VALU_DEP_1) | instskip(NEXT) | instid1(VALU_DEP_1)
	v_div_scale_f32 v149, null, v148, v148, 1.0
	v_rcp_f32_e32 v150, v149
	v_nop
	s_delay_alu instid0(TRANS32_DEP_1) | instskip(NEXT) | instid1(VALU_DEP_1)
	v_fma_f32 v152, -v149, v150, 1.0
	v_fmac_f32_e32 v150, v152, v150
	v_div_scale_f32 v152, vcc_lo, 1.0, v148, 1.0
	s_delay_alu instid0(VALU_DEP_1) | instskip(NEXT) | instid1(VALU_DEP_1)
	v_mul_f32_e32 v153, v152, v150
	v_fma_f32 v154, -v149, v153, v152
	s_delay_alu instid0(VALU_DEP_1) | instskip(NEXT) | instid1(VALU_DEP_1)
	v_fmac_f32_e32 v153, v154, v150
	v_fma_f32 v149, -v149, v153, v152
	s_delay_alu instid0(VALU_DEP_1) | instskip(NEXT) | instid1(VALU_DEP_1)
	v_div_fmas_f32 v149, v149, v150, v153
	v_div_fixup_f32 v150, v149, v148, 1.0
	s_delay_alu instid0(VALU_DEP_1)
	v_mul_f32_e64 v151, v151, -v150
.LBB59_124:
	s_or_b32 exec_lo, exec_lo, s1
	ds_store_b64 v183, v[150:151]
.LBB59_125:
	s_or_b32 exec_lo, exec_lo, s2
	s_wait_dscnt 0x0
	s_barrier_signal -1
	s_barrier_wait -1
	ds_load_b64 v[148:149], v183
	s_mov_b32 s1, exec_lo
	v_cmpx_lt_u32_e32 13, v182
	s_cbranch_execz .LBB59_127
; %bb.126:
	ds_load_2addr_b64 v[154:157], v184 offset0:14 offset1:15
	s_wait_dscnt 0x1
	v_pk_mul_f32 v[152:153], v[148:149], v[60:61] op_sel:[1,1] op_sel_hi:[0,1]
	s_delay_alu instid0(VALU_DEP_1) | instskip(SKIP_1) | instid1(VALU_DEP_1)
	v_pk_fma_f32 v[150:151], v[148:149], v[60:61], v[152:153] op_sel_hi:[1,0,1] neg_lo:[0,0,1] neg_hi:[0,0,1]
	v_pk_fma_f32 v[152:153], v[148:149], v[60:61], v[152:153] op_sel_hi:[1,0,1]
	v_dual_mov_b32 v60, v150 :: v_dual_mov_b32 v61, v153
	s_wait_dscnt 0x0
	s_delay_alu instid0(VALU_DEP_2) | instskip(NEXT) | instid1(VALU_DEP_1)
	v_pk_mul_f32 v[158:159], v[154:155], v[152:153] op_sel:[0,1]
	v_pk_fma_f32 v[160:161], v[154:155], v[150:151], v[158:159] op_sel:[0,0,1] op_sel_hi:[1,1,0] neg_lo:[0,0,1] neg_hi:[0,0,1]
	v_pk_fma_f32 v[154:155], v[154:155], v[150:151], v[158:159] op_sel:[0,0,1] op_sel_hi:[1,0,0]
	s_delay_alu instid0(VALU_DEP_1) | instskip(SKIP_1) | instid1(VALU_DEP_1)
	v_mov_b32_e32 v161, v155
	v_pk_mul_f32 v[154:155], v[156:157], v[152:153] op_sel:[0,1]
	v_pk_fma_f32 v[158:159], v[156:157], v[150:151], v[154:155] op_sel:[0,0,1] op_sel_hi:[1,1,0] neg_lo:[0,0,1] neg_hi:[0,0,1]
	v_pk_fma_f32 v[154:155], v[156:157], v[150:151], v[154:155] op_sel:[0,0,1] op_sel_hi:[1,0,0]
	s_delay_alu instid0(VALU_DEP_1)
	v_mov_b32_e32 v159, v155
	ds_load_2addr_b64 v[154:157], v184 offset0:16 offset1:17
	v_pk_add_f32 v[62:63], v[62:63], v[160:161] neg_lo:[0,1] neg_hi:[0,1]
	v_pk_add_f32 v[58:59], v[58:59], v[158:159] neg_lo:[0,1] neg_hi:[0,1]
	s_wait_dscnt 0x0
	v_pk_mul_f32 v[158:159], v[154:155], v[152:153] op_sel:[0,1]
	s_delay_alu instid0(VALU_DEP_1) | instskip(SKIP_2) | instid1(VALU_DEP_2)
	v_pk_fma_f32 v[160:161], v[154:155], v[150:151], v[158:159] op_sel:[0,0,1] op_sel_hi:[1,1,0] neg_lo:[0,0,1] neg_hi:[0,0,1]
	v_pk_fma_f32 v[154:155], v[154:155], v[150:151], v[158:159] op_sel:[0,0,1] op_sel_hi:[1,0,0]
	v_dual_mul_f32 v158, v157, v153 :: v_dual_mov_b32 v154, v157
	v_dual_mov_b32 v161, v155 :: v_dual_mov_b32 v155, v156
	s_delay_alu instid0(VALU_DEP_2) | instskip(SKIP_1) | instid1(VALU_DEP_3)
	v_pk_fma_f32 v[158:159], v[156:157], v[60:61], v[158:159] op_sel_hi:[1,1,0] neg_lo:[0,0,1] neg_hi:[0,0,1]
	v_mul_f32_e32 v156, v157, v150
	v_pk_add_f32 v[78:79], v[78:79], v[160:161] neg_lo:[0,1] neg_hi:[0,1]
	s_delay_alu instid0(VALU_DEP_2) | instskip(NEXT) | instid1(VALU_DEP_1)
	v_pk_fma_f32 v[154:155], v[154:155], v[60:61], v[156:157] op_sel_hi:[1,1,0]
	v_mov_b32_e32 v159, v155
	ds_load_2addr_b64 v[154:157], v184 offset0:18 offset1:19
	v_pk_add_f32 v[74:75], v[74:75], v[158:159] neg_lo:[0,1] neg_hi:[0,1]
	s_wait_dscnt 0x0
	v_pk_mul_f32 v[158:159], v[154:155], v[152:153] op_sel:[0,1]
	s_delay_alu instid0(VALU_DEP_1) | instskip(SKIP_1) | instid1(VALU_DEP_1)
	v_pk_fma_f32 v[160:161], v[154:155], v[150:151], v[158:159] op_sel:[0,0,1] op_sel_hi:[1,1,0] neg_lo:[0,0,1] neg_hi:[0,0,1]
	v_pk_fma_f32 v[154:155], v[154:155], v[150:151], v[158:159] op_sel:[0,0,1] op_sel_hi:[1,0,0]
	v_mov_b32_e32 v161, v155
	v_pk_mul_f32 v[154:155], v[156:157], v[152:153] op_sel:[0,1]
	s_delay_alu instid0(VALU_DEP_1) | instskip(SKIP_1) | instid1(VALU_DEP_1)
	v_pk_fma_f32 v[158:159], v[156:157], v[150:151], v[154:155] op_sel:[0,0,1] op_sel_hi:[1,1,0] neg_lo:[0,0,1] neg_hi:[0,0,1]
	v_pk_fma_f32 v[154:155], v[156:157], v[150:151], v[154:155] op_sel:[0,0,1] op_sel_hi:[1,0,0]
	v_mov_b32_e32 v159, v155
	ds_load_2addr_b64 v[154:157], v184 offset0:20 offset1:21
	v_pk_add_f32 v[76:77], v[76:77], v[160:161] neg_lo:[0,1] neg_hi:[0,1]
	v_pk_add_f32 v[72:73], v[72:73], v[158:159] neg_lo:[0,1] neg_hi:[0,1]
	s_wait_dscnt 0x0
	v_pk_mul_f32 v[158:159], v[154:155], v[152:153] op_sel:[0,1]
	s_delay_alu instid0(VALU_DEP_1) | instskip(SKIP_1) | instid1(VALU_DEP_1)
	v_pk_fma_f32 v[160:161], v[154:155], v[150:151], v[158:159] op_sel:[0,0,1] op_sel_hi:[1,1,0] neg_lo:[0,0,1] neg_hi:[0,0,1]
	v_pk_fma_f32 v[154:155], v[154:155], v[150:151], v[158:159] op_sel:[0,0,1] op_sel_hi:[1,0,0]
	v_mov_b32_e32 v161, v155
	v_pk_mul_f32 v[154:155], v[156:157], v[152:153] op_sel:[0,1]
	s_delay_alu instid0(VALU_DEP_1) | instskip(SKIP_1) | instid1(VALU_DEP_1)
	v_pk_fma_f32 v[158:159], v[156:157], v[150:151], v[154:155] op_sel:[0,0,1] op_sel_hi:[1,1,0] neg_lo:[0,0,1] neg_hi:[0,0,1]
	v_pk_fma_f32 v[154:155], v[156:157], v[150:151], v[154:155] op_sel:[0,0,1] op_sel_hi:[1,0,0]
	v_mov_b32_e32 v159, v155
	ds_load_2addr_b64 v[154:157], v184 offset0:22 offset1:23
	v_pk_add_f32 v[98:99], v[98:99], v[160:161] neg_lo:[0,1] neg_hi:[0,1]
	v_pk_add_f32 v[94:95], v[94:95], v[158:159] neg_lo:[0,1] neg_hi:[0,1]
	s_wait_dscnt 0x0
	v_dual_mul_f32 v158, v155, v153 :: v_dual_mul_f32 v160, v155, v150
	s_delay_alu instid0(VALU_DEP_1) | instskip(NEXT) | instid1(VALU_DEP_2)
	v_pk_fma_f32 v[158:159], v[154:155], v[60:61], v[158:159] op_sel_hi:[1,1,0] neg_lo:[0,0,1] neg_hi:[0,0,1]
	v_pk_fma_f32 v[154:155], v[154:155], v[60:61], v[160:161] op_sel:[1,0,0] op_sel_hi:[0,1,0]
	s_delay_alu instid0(VALU_DEP_1) | instskip(SKIP_1) | instid1(VALU_DEP_2)
	v_mov_b32_e32 v159, v155
	v_pk_mul_f32 v[154:155], v[156:157], v[152:153] op_sel:[0,1]
	v_pk_add_f32 v[96:97], v[96:97], v[158:159] neg_lo:[0,1] neg_hi:[0,1]
	s_delay_alu instid0(VALU_DEP_2) | instskip(SKIP_1) | instid1(VALU_DEP_1)
	v_pk_fma_f32 v[158:159], v[156:157], v[150:151], v[154:155] op_sel:[0,0,1] op_sel_hi:[1,1,0] neg_lo:[0,0,1] neg_hi:[0,0,1]
	v_pk_fma_f32 v[154:155], v[156:157], v[150:151], v[154:155] op_sel:[0,0,1] op_sel_hi:[1,0,0]
	v_mov_b32_e32 v159, v155
	ds_load_2addr_b64 v[154:157], v184 offset0:24 offset1:25
	v_pk_add_f32 v[92:93], v[92:93], v[158:159] neg_lo:[0,1] neg_hi:[0,1]
	s_wait_dscnt 0x0
	v_pk_mul_f32 v[158:159], v[154:155], v[152:153] op_sel:[0,1]
	s_delay_alu instid0(VALU_DEP_1) | instskip(SKIP_1) | instid1(VALU_DEP_1)
	v_pk_fma_f32 v[160:161], v[154:155], v[150:151], v[158:159] op_sel:[0,0,1] op_sel_hi:[1,1,0] neg_lo:[0,0,1] neg_hi:[0,0,1]
	v_pk_fma_f32 v[154:155], v[154:155], v[150:151], v[158:159] op_sel:[0,0,1] op_sel_hi:[1,0,0]
	v_mov_b32_e32 v161, v155
	v_pk_mul_f32 v[154:155], v[156:157], v[152:153] op_sel:[0,1]
	s_delay_alu instid0(VALU_DEP_2) | instskip(NEXT) | instid1(VALU_DEP_2)
	v_pk_add_f32 v[114:115], v[114:115], v[160:161] neg_lo:[0,1] neg_hi:[0,1]
	v_pk_fma_f32 v[158:159], v[156:157], v[150:151], v[154:155] op_sel:[0,0,1] op_sel_hi:[1,1,0] neg_lo:[0,0,1] neg_hi:[0,0,1]
	v_pk_fma_f32 v[154:155], v[156:157], v[150:151], v[154:155] op_sel:[0,0,1] op_sel_hi:[1,0,0]
	s_delay_alu instid0(VALU_DEP_1) | instskip(SKIP_4) | instid1(VALU_DEP_1)
	v_mov_b32_e32 v159, v155
	ds_load_2addr_b64 v[154:157], v184 offset0:26 offset1:27
	v_pk_add_f32 v[110:111], v[110:111], v[158:159] neg_lo:[0,1] neg_hi:[0,1]
	s_wait_dscnt 0x0
	v_pk_mul_f32 v[158:159], v[154:155], v[152:153] op_sel:[0,1]
	v_pk_fma_f32 v[160:161], v[154:155], v[150:151], v[158:159] op_sel:[0,0,1] op_sel_hi:[1,1,0] neg_lo:[0,0,1] neg_hi:[0,0,1]
	v_pk_fma_f32 v[154:155], v[154:155], v[150:151], v[158:159] op_sel:[0,0,1] op_sel_hi:[1,0,0]
	v_dual_mul_f32 v158, v157, v153 :: v_dual_mov_b32 v154, v157
	s_delay_alu instid0(VALU_DEP_2) | instskip(NEXT) | instid1(VALU_DEP_2)
	v_dual_mov_b32 v161, v155 :: v_dual_mov_b32 v155, v156
	v_pk_fma_f32 v[158:159], v[156:157], v[60:61], v[158:159] op_sel_hi:[1,1,0] neg_lo:[0,0,1] neg_hi:[0,0,1]
	v_mul_f32_e32 v156, v157, v150
	s_delay_alu instid0(VALU_DEP_3) | instskip(NEXT) | instid1(VALU_DEP_2)
	v_pk_add_f32 v[112:113], v[112:113], v[160:161] neg_lo:[0,1] neg_hi:[0,1]
	v_pk_fma_f32 v[154:155], v[154:155], v[60:61], v[156:157] op_sel_hi:[1,1,0]
	s_delay_alu instid0(VALU_DEP_1)
	v_mov_b32_e32 v159, v155
	ds_load_2addr_b64 v[154:157], v184 offset0:28 offset1:29
	v_pk_add_f32 v[118:119], v[118:119], v[158:159] neg_lo:[0,1] neg_hi:[0,1]
	s_wait_dscnt 0x0
	v_pk_mul_f32 v[158:159], v[154:155], v[152:153] op_sel:[0,1]
	v_pk_mul_f32 v[152:153], v[156:157], v[152:153] op_sel:[0,1]
	s_delay_alu instid0(VALU_DEP_2) | instskip(SKIP_1) | instid1(VALU_DEP_1)
	v_pk_fma_f32 v[160:161], v[154:155], v[150:151], v[158:159] op_sel:[0,0,1] op_sel_hi:[1,1,0] neg_lo:[0,0,1] neg_hi:[0,0,1]
	v_pk_fma_f32 v[154:155], v[154:155], v[150:151], v[158:159] op_sel:[0,0,1] op_sel_hi:[1,0,0]
	v_mov_b32_e32 v161, v155
	s_delay_alu instid0(VALU_DEP_4) | instskip(SKIP_1) | instid1(VALU_DEP_1)
	v_pk_fma_f32 v[154:155], v[156:157], v[150:151], v[152:153] op_sel:[0,0,1] op_sel_hi:[1,1,0] neg_lo:[0,0,1] neg_hi:[0,0,1]
	v_pk_fma_f32 v[150:151], v[156:157], v[150:151], v[152:153] op_sel:[0,0,1] op_sel_hi:[1,0,0]
	v_mov_b32_e32 v155, v151
	s_delay_alu instid0(VALU_DEP_4) | instskip(NEXT) | instid1(VALU_DEP_2)
	v_pk_add_f32 v[116:117], v[116:117], v[160:161] neg_lo:[0,1] neg_hi:[0,1]
	v_pk_add_f32 v[120:121], v[120:121], v[154:155] neg_lo:[0,1] neg_hi:[0,1]
.LBB59_127:
	s_or_b32 exec_lo, exec_lo, s1
	s_delay_alu instid0(SALU_CYCLE_1)
	s_mov_b32 s2, exec_lo
	s_wait_dscnt 0x0
	s_barrier_signal -1
	s_barrier_wait -1
	v_cmpx_eq_u32_e32 14, v182
	s_cbranch_execz .LBB59_134
; %bb.128:
	ds_store_b64 v183, v[62:63]
	ds_store_2addr_b64 v184, v[58:59], v[78:79] offset0:15 offset1:16
	ds_store_2addr_b64 v184, v[74:75], v[76:77] offset0:17 offset1:18
	ds_store_2addr_b64 v184, v[72:73], v[98:99] offset0:19 offset1:20
	ds_store_2addr_b64 v184, v[94:95], v[96:97] offset0:21 offset1:22
	ds_store_2addr_b64 v184, v[92:93], v[114:115] offset0:23 offset1:24
	ds_store_2addr_b64 v184, v[110:111], v[112:113] offset0:25 offset1:26
	ds_store_2addr_b64 v184, v[118:119], v[116:117] offset0:27 offset1:28
	ds_store_b64 v184, v[120:121] offset:232
	ds_load_b64 v[150:151], v183
	s_wait_dscnt 0x0
	v_cmp_neq_f32_e32 vcc_lo, 0, v150
	v_cmp_neq_f32_e64 s1, 0, v151
	s_or_b32 s1, vcc_lo, s1
	s_delay_alu instid0(SALU_CYCLE_1)
	s_and_b32 exec_lo, exec_lo, s1
	s_cbranch_execz .LBB59_134
; %bb.129:
	v_cmp_ngt_f32_e64 s1, |v150|, |v151|
                                        ; implicit-def: $vgpr152_vgpr153
	s_and_saveexec_b32 s4, s1
	s_delay_alu instid0(SALU_CYCLE_1)
	s_xor_b32 s1, exec_lo, s4
	s_cbranch_execz .LBB59_131
; %bb.130:
	v_div_scale_f32 v152, null, v151, v151, v150
	v_div_scale_f32 v155, vcc_lo, v150, v151, v150
	s_delay_alu instid0(VALU_DEP_2) | instskip(SKIP_1) | instid1(TRANS32_DEP_1)
	v_rcp_f32_e32 v153, v152
	v_nop
	v_fma_f32 v154, -v152, v153, 1.0
	s_delay_alu instid0(VALU_DEP_1) | instskip(NEXT) | instid1(VALU_DEP_1)
	v_fmac_f32_e32 v153, v154, v153
	v_mul_f32_e32 v154, v155, v153
	s_delay_alu instid0(VALU_DEP_1) | instskip(NEXT) | instid1(VALU_DEP_1)
	v_fma_f32 v156, -v152, v154, v155
	v_fmac_f32_e32 v154, v156, v153
	s_delay_alu instid0(VALU_DEP_1) | instskip(NEXT) | instid1(VALU_DEP_1)
	v_fma_f32 v152, -v152, v154, v155
	v_div_fmas_f32 v152, v152, v153, v154
	s_delay_alu instid0(VALU_DEP_1) | instskip(NEXT) | instid1(VALU_DEP_1)
	v_div_fixup_f32 v152, v152, v151, v150
	v_fmac_f32_e32 v151, v150, v152
	s_delay_alu instid0(VALU_DEP_1) | instskip(SKIP_1) | instid1(VALU_DEP_2)
	v_div_scale_f32 v150, null, v151, v151, 1.0
	v_div_scale_f32 v155, vcc_lo, 1.0, v151, 1.0
	v_rcp_f32_e32 v153, v150
	v_nop
	s_delay_alu instid0(TRANS32_DEP_1) | instskip(NEXT) | instid1(VALU_DEP_1)
	v_fma_f32 v154, -v150, v153, 1.0
	v_fmac_f32_e32 v153, v154, v153
	s_delay_alu instid0(VALU_DEP_1) | instskip(NEXT) | instid1(VALU_DEP_1)
	v_mul_f32_e32 v154, v155, v153
	v_fma_f32 v156, -v150, v154, v155
	s_delay_alu instid0(VALU_DEP_1) | instskip(NEXT) | instid1(VALU_DEP_1)
	v_fmac_f32_e32 v154, v156, v153
	v_fma_f32 v150, -v150, v154, v155
	s_delay_alu instid0(VALU_DEP_1) | instskip(NEXT) | instid1(VALU_DEP_1)
	v_div_fmas_f32 v150, v150, v153, v154
	v_div_fixup_f32 v150, v150, v151, 1.0
	s_delay_alu instid0(VALU_DEP_1)
	v_mul_f32_e32 v152, v152, v150
	v_xor_b32_e32 v153, 0x80000000, v150
                                        ; implicit-def: $vgpr150_vgpr151
.LBB59_131:
	s_and_not1_saveexec_b32 s1, s1
	s_cbranch_execz .LBB59_133
; %bb.132:
	v_div_scale_f32 v152, null, v150, v150, v151
	v_div_scale_f32 v155, vcc_lo, v151, v150, v151
	s_delay_alu instid0(VALU_DEP_2) | instskip(SKIP_1) | instid1(TRANS32_DEP_1)
	v_rcp_f32_e32 v153, v152
	v_nop
	v_fma_f32 v154, -v152, v153, 1.0
	s_delay_alu instid0(VALU_DEP_1) | instskip(NEXT) | instid1(VALU_DEP_1)
	v_fmac_f32_e32 v153, v154, v153
	v_mul_f32_e32 v154, v155, v153
	s_delay_alu instid0(VALU_DEP_1) | instskip(NEXT) | instid1(VALU_DEP_1)
	v_fma_f32 v156, -v152, v154, v155
	v_fmac_f32_e32 v154, v156, v153
	s_delay_alu instid0(VALU_DEP_1) | instskip(NEXT) | instid1(VALU_DEP_1)
	v_fma_f32 v152, -v152, v154, v155
	v_div_fmas_f32 v152, v152, v153, v154
	s_delay_alu instid0(VALU_DEP_1) | instskip(NEXT) | instid1(VALU_DEP_1)
	v_div_fixup_f32 v153, v152, v150, v151
	v_fmac_f32_e32 v150, v151, v153
	s_delay_alu instid0(VALU_DEP_1) | instskip(NEXT) | instid1(VALU_DEP_1)
	v_div_scale_f32 v151, null, v150, v150, 1.0
	v_rcp_f32_e32 v152, v151
	v_nop
	s_delay_alu instid0(TRANS32_DEP_1) | instskip(NEXT) | instid1(VALU_DEP_1)
	v_fma_f32 v154, -v151, v152, 1.0
	v_fmac_f32_e32 v152, v154, v152
	v_div_scale_f32 v154, vcc_lo, 1.0, v150, 1.0
	s_delay_alu instid0(VALU_DEP_1) | instskip(NEXT) | instid1(VALU_DEP_1)
	v_mul_f32_e32 v155, v154, v152
	v_fma_f32 v156, -v151, v155, v154
	s_delay_alu instid0(VALU_DEP_1) | instskip(NEXT) | instid1(VALU_DEP_1)
	v_fmac_f32_e32 v155, v156, v152
	v_fma_f32 v151, -v151, v155, v154
	s_delay_alu instid0(VALU_DEP_1) | instskip(NEXT) | instid1(VALU_DEP_1)
	v_div_fmas_f32 v151, v151, v152, v155
	v_div_fixup_f32 v152, v151, v150, 1.0
	s_delay_alu instid0(VALU_DEP_1)
	v_mul_f32_e64 v153, v153, -v152
.LBB59_133:
	s_or_b32 exec_lo, exec_lo, s1
	ds_store_b64 v183, v[152:153]
.LBB59_134:
	s_or_b32 exec_lo, exec_lo, s2
	s_wait_dscnt 0x0
	s_barrier_signal -1
	s_barrier_wait -1
	ds_load_b64 v[150:151], v183
	s_mov_b32 s1, exec_lo
	v_cmpx_lt_u32_e32 14, v182
	s_cbranch_execz .LBB59_136
; %bb.135:
	ds_load_2addr_b64 v[156:159], v184 offset0:15 offset1:16
	s_wait_dscnt 0x1
	v_pk_mul_f32 v[154:155], v[150:151], v[62:63] op_sel:[1,1] op_sel_hi:[0,1]
	s_delay_alu instid0(VALU_DEP_1) | instskip(SKIP_1) | instid1(VALU_DEP_1)
	v_pk_fma_f32 v[152:153], v[150:151], v[62:63], v[154:155] op_sel_hi:[1,0,1] neg_lo:[0,0,1] neg_hi:[0,0,1]
	v_pk_fma_f32 v[154:155], v[150:151], v[62:63], v[154:155] op_sel_hi:[1,0,1]
	v_dual_mov_b32 v62, v152 :: v_dual_mov_b32 v63, v155
	s_wait_dscnt 0x0
	s_delay_alu instid0(VALU_DEP_2) | instskip(NEXT) | instid1(VALU_DEP_1)
	v_pk_mul_f32 v[160:161], v[156:157], v[154:155] op_sel:[0,1]
	v_pk_fma_f32 v[162:163], v[156:157], v[152:153], v[160:161] op_sel:[0,0,1] op_sel_hi:[1,1,0] neg_lo:[0,0,1] neg_hi:[0,0,1]
	v_pk_fma_f32 v[156:157], v[156:157], v[152:153], v[160:161] op_sel:[0,0,1] op_sel_hi:[1,0,0]
	s_delay_alu instid0(VALU_DEP_1) | instskip(SKIP_1) | instid1(VALU_DEP_1)
	v_mov_b32_e32 v163, v157
	v_pk_mul_f32 v[156:157], v[158:159], v[154:155] op_sel:[0,1]
	v_pk_fma_f32 v[160:161], v[158:159], v[152:153], v[156:157] op_sel:[0,0,1] op_sel_hi:[1,1,0] neg_lo:[0,0,1] neg_hi:[0,0,1]
	v_pk_fma_f32 v[156:157], v[158:159], v[152:153], v[156:157] op_sel:[0,0,1] op_sel_hi:[1,0,0]
	s_delay_alu instid0(VALU_DEP_1)
	v_mov_b32_e32 v161, v157
	ds_load_2addr_b64 v[156:159], v184 offset0:17 offset1:18
	v_pk_add_f32 v[58:59], v[58:59], v[162:163] neg_lo:[0,1] neg_hi:[0,1]
	v_pk_add_f32 v[78:79], v[78:79], v[160:161] neg_lo:[0,1] neg_hi:[0,1]
	s_wait_dscnt 0x0
	v_pk_mul_f32 v[160:161], v[156:157], v[154:155] op_sel:[0,1]
	s_delay_alu instid0(VALU_DEP_1) | instskip(SKIP_2) | instid1(VALU_DEP_2)
	v_pk_fma_f32 v[162:163], v[156:157], v[152:153], v[160:161] op_sel:[0,0,1] op_sel_hi:[1,1,0] neg_lo:[0,0,1] neg_hi:[0,0,1]
	v_pk_fma_f32 v[156:157], v[156:157], v[152:153], v[160:161] op_sel:[0,0,1] op_sel_hi:[1,0,0]
	v_dual_mul_f32 v160, v159, v155 :: v_dual_mov_b32 v156, v159
	v_dual_mov_b32 v163, v157 :: v_dual_mov_b32 v157, v158
	s_delay_alu instid0(VALU_DEP_2) | instskip(SKIP_1) | instid1(VALU_DEP_3)
	v_pk_fma_f32 v[160:161], v[158:159], v[62:63], v[160:161] op_sel_hi:[1,1,0] neg_lo:[0,0,1] neg_hi:[0,0,1]
	v_mul_f32_e32 v158, v159, v152
	v_pk_add_f32 v[74:75], v[74:75], v[162:163] neg_lo:[0,1] neg_hi:[0,1]
	s_delay_alu instid0(VALU_DEP_2) | instskip(NEXT) | instid1(VALU_DEP_1)
	v_pk_fma_f32 v[156:157], v[156:157], v[62:63], v[158:159] op_sel_hi:[1,1,0]
	v_mov_b32_e32 v161, v157
	ds_load_2addr_b64 v[156:159], v184 offset0:19 offset1:20
	v_pk_add_f32 v[76:77], v[76:77], v[160:161] neg_lo:[0,1] neg_hi:[0,1]
	s_wait_dscnt 0x0
	v_pk_mul_f32 v[160:161], v[156:157], v[154:155] op_sel:[0,1]
	s_delay_alu instid0(VALU_DEP_1) | instskip(SKIP_1) | instid1(VALU_DEP_1)
	v_pk_fma_f32 v[162:163], v[156:157], v[152:153], v[160:161] op_sel:[0,0,1] op_sel_hi:[1,1,0] neg_lo:[0,0,1] neg_hi:[0,0,1]
	v_pk_fma_f32 v[156:157], v[156:157], v[152:153], v[160:161] op_sel:[0,0,1] op_sel_hi:[1,0,0]
	v_mov_b32_e32 v163, v157
	v_pk_mul_f32 v[156:157], v[158:159], v[154:155] op_sel:[0,1]
	s_delay_alu instid0(VALU_DEP_1) | instskip(SKIP_1) | instid1(VALU_DEP_1)
	v_pk_fma_f32 v[160:161], v[158:159], v[152:153], v[156:157] op_sel:[0,0,1] op_sel_hi:[1,1,0] neg_lo:[0,0,1] neg_hi:[0,0,1]
	v_pk_fma_f32 v[156:157], v[158:159], v[152:153], v[156:157] op_sel:[0,0,1] op_sel_hi:[1,0,0]
	v_mov_b32_e32 v161, v157
	ds_load_2addr_b64 v[156:159], v184 offset0:21 offset1:22
	v_pk_add_f32 v[72:73], v[72:73], v[162:163] neg_lo:[0,1] neg_hi:[0,1]
	v_pk_add_f32 v[98:99], v[98:99], v[160:161] neg_lo:[0,1] neg_hi:[0,1]
	s_wait_dscnt 0x0
	v_pk_mul_f32 v[160:161], v[156:157], v[154:155] op_sel:[0,1]
	s_delay_alu instid0(VALU_DEP_1) | instskip(SKIP_1) | instid1(VALU_DEP_1)
	v_pk_fma_f32 v[162:163], v[156:157], v[152:153], v[160:161] op_sel:[0,0,1] op_sel_hi:[1,1,0] neg_lo:[0,0,1] neg_hi:[0,0,1]
	v_pk_fma_f32 v[156:157], v[156:157], v[152:153], v[160:161] op_sel:[0,0,1] op_sel_hi:[1,0,0]
	v_mov_b32_e32 v163, v157
	v_pk_mul_f32 v[156:157], v[158:159], v[154:155] op_sel:[0,1]
	s_delay_alu instid0(VALU_DEP_1) | instskip(SKIP_1) | instid1(VALU_DEP_1)
	v_pk_fma_f32 v[160:161], v[158:159], v[152:153], v[156:157] op_sel:[0,0,1] op_sel_hi:[1,1,0] neg_lo:[0,0,1] neg_hi:[0,0,1]
	v_pk_fma_f32 v[156:157], v[158:159], v[152:153], v[156:157] op_sel:[0,0,1] op_sel_hi:[1,0,0]
	v_mov_b32_e32 v161, v157
	ds_load_2addr_b64 v[156:159], v184 offset0:23 offset1:24
	v_pk_add_f32 v[94:95], v[94:95], v[162:163] neg_lo:[0,1] neg_hi:[0,1]
	v_pk_add_f32 v[96:97], v[96:97], v[160:161] neg_lo:[0,1] neg_hi:[0,1]
	s_wait_dscnt 0x0
	v_dual_mul_f32 v160, v157, v155 :: v_dual_mul_f32 v162, v157, v152
	s_delay_alu instid0(VALU_DEP_1) | instskip(NEXT) | instid1(VALU_DEP_2)
	v_pk_fma_f32 v[160:161], v[156:157], v[62:63], v[160:161] op_sel_hi:[1,1,0] neg_lo:[0,0,1] neg_hi:[0,0,1]
	v_pk_fma_f32 v[156:157], v[156:157], v[62:63], v[162:163] op_sel:[1,0,0] op_sel_hi:[0,1,0]
	s_delay_alu instid0(VALU_DEP_1) | instskip(SKIP_1) | instid1(VALU_DEP_2)
	v_mov_b32_e32 v161, v157
	v_pk_mul_f32 v[156:157], v[158:159], v[154:155] op_sel:[0,1]
	v_pk_add_f32 v[92:93], v[92:93], v[160:161] neg_lo:[0,1] neg_hi:[0,1]
	s_delay_alu instid0(VALU_DEP_2) | instskip(SKIP_1) | instid1(VALU_DEP_1)
	v_pk_fma_f32 v[160:161], v[158:159], v[152:153], v[156:157] op_sel:[0,0,1] op_sel_hi:[1,1,0] neg_lo:[0,0,1] neg_hi:[0,0,1]
	v_pk_fma_f32 v[156:157], v[158:159], v[152:153], v[156:157] op_sel:[0,0,1] op_sel_hi:[1,0,0]
	v_mov_b32_e32 v161, v157
	ds_load_2addr_b64 v[156:159], v184 offset0:25 offset1:26
	v_pk_add_f32 v[114:115], v[114:115], v[160:161] neg_lo:[0,1] neg_hi:[0,1]
	s_wait_dscnt 0x0
	v_pk_mul_f32 v[160:161], v[156:157], v[154:155] op_sel:[0,1]
	s_delay_alu instid0(VALU_DEP_1) | instskip(SKIP_1) | instid1(VALU_DEP_1)
	v_pk_fma_f32 v[162:163], v[156:157], v[152:153], v[160:161] op_sel:[0,0,1] op_sel_hi:[1,1,0] neg_lo:[0,0,1] neg_hi:[0,0,1]
	v_pk_fma_f32 v[156:157], v[156:157], v[152:153], v[160:161] op_sel:[0,0,1] op_sel_hi:[1,0,0]
	v_mov_b32_e32 v163, v157
	v_pk_mul_f32 v[156:157], v[158:159], v[154:155] op_sel:[0,1]
	s_delay_alu instid0(VALU_DEP_2) | instskip(NEXT) | instid1(VALU_DEP_2)
	v_pk_add_f32 v[110:111], v[110:111], v[162:163] neg_lo:[0,1] neg_hi:[0,1]
	v_pk_fma_f32 v[160:161], v[158:159], v[152:153], v[156:157] op_sel:[0,0,1] op_sel_hi:[1,1,0] neg_lo:[0,0,1] neg_hi:[0,0,1]
	v_pk_fma_f32 v[156:157], v[158:159], v[152:153], v[156:157] op_sel:[0,0,1] op_sel_hi:[1,0,0]
	s_delay_alu instid0(VALU_DEP_1) | instskip(SKIP_4) | instid1(VALU_DEP_1)
	v_mov_b32_e32 v161, v157
	ds_load_2addr_b64 v[156:159], v184 offset0:27 offset1:28
	v_pk_add_f32 v[112:113], v[112:113], v[160:161] neg_lo:[0,1] neg_hi:[0,1]
	s_wait_dscnt 0x0
	v_pk_mul_f32 v[160:161], v[156:157], v[154:155] op_sel:[0,1]
	v_pk_fma_f32 v[162:163], v[156:157], v[152:153], v[160:161] op_sel:[0,0,1] op_sel_hi:[1,1,0] neg_lo:[0,0,1] neg_hi:[0,0,1]
	v_pk_fma_f32 v[156:157], v[156:157], v[152:153], v[160:161] op_sel:[0,0,1] op_sel_hi:[1,0,0]
	v_dual_mul_f32 v160, v159, v155 :: v_dual_mov_b32 v156, v159
	s_delay_alu instid0(VALU_DEP_2) | instskip(NEXT) | instid1(VALU_DEP_2)
	v_dual_mov_b32 v163, v157 :: v_dual_mov_b32 v157, v158
	v_pk_fma_f32 v[160:161], v[158:159], v[62:63], v[160:161] op_sel_hi:[1,1,0] neg_lo:[0,0,1] neg_hi:[0,0,1]
	v_mul_f32_e32 v158, v159, v152
	s_delay_alu instid0(VALU_DEP_3) | instskip(NEXT) | instid1(VALU_DEP_2)
	v_pk_add_f32 v[118:119], v[118:119], v[162:163] neg_lo:[0,1] neg_hi:[0,1]
	v_pk_fma_f32 v[156:157], v[156:157], v[62:63], v[158:159] op_sel_hi:[1,1,0]
	s_delay_alu instid0(VALU_DEP_1) | instskip(SKIP_4) | instid1(VALU_DEP_1)
	v_mov_b32_e32 v161, v157
	ds_load_b64 v[156:157], v184 offset:232
	v_pk_add_f32 v[116:117], v[116:117], v[160:161] neg_lo:[0,1] neg_hi:[0,1]
	s_wait_dscnt 0x0
	v_pk_mul_f32 v[154:155], v[156:157], v[154:155] op_sel:[0,1]
	v_pk_fma_f32 v[158:159], v[156:157], v[152:153], v[154:155] op_sel:[0,0,1] op_sel_hi:[1,1,0] neg_lo:[0,0,1] neg_hi:[0,0,1]
	v_pk_fma_f32 v[152:153], v[156:157], v[152:153], v[154:155] op_sel:[0,0,1] op_sel_hi:[1,0,0]
	s_delay_alu instid0(VALU_DEP_1) | instskip(NEXT) | instid1(VALU_DEP_1)
	v_mov_b32_e32 v159, v153
	v_pk_add_f32 v[120:121], v[120:121], v[158:159] neg_lo:[0,1] neg_hi:[0,1]
.LBB59_136:
	s_or_b32 exec_lo, exec_lo, s1
	s_delay_alu instid0(SALU_CYCLE_1)
	s_mov_b32 s2, exec_lo
	s_wait_dscnt 0x0
	s_barrier_signal -1
	s_barrier_wait -1
	v_cmpx_eq_u32_e32 15, v182
	s_cbranch_execz .LBB59_143
; %bb.137:
	v_dual_mov_b32 v152, v78 :: v_dual_mov_b32 v153, v79
	v_dual_mov_b32 v154, v74 :: v_dual_mov_b32 v155, v75
	;; [unrolled: 1-line block ×4, first 2 shown]
	ds_store_b64 v183, v[58:59]
	ds_store_2addr_b64 v184, v[152:153], v[154:155] offset0:16 offset1:17
	ds_store_2addr_b64 v184, v[156:157], v[158:159] offset0:18 offset1:19
	v_dual_mov_b32 v152, v98 :: v_dual_mov_b32 v153, v99
	v_dual_mov_b32 v154, v94 :: v_dual_mov_b32 v155, v95
	;; [unrolled: 1-line block ×9, first 2 shown]
	ds_store_2addr_b64 v184, v[152:153], v[154:155] offset0:20 offset1:21
	ds_store_2addr_b64 v184, v[156:157], v[158:159] offset0:22 offset1:23
	;; [unrolled: 1-line block ×5, first 2 shown]
	ds_load_b64 v[152:153], v183
	s_wait_dscnt 0x0
	v_cmp_neq_f32_e32 vcc_lo, 0, v152
	v_cmp_neq_f32_e64 s1, 0, v153
	s_or_b32 s1, vcc_lo, s1
	s_delay_alu instid0(SALU_CYCLE_1)
	s_and_b32 exec_lo, exec_lo, s1
	s_cbranch_execz .LBB59_143
; %bb.138:
	v_cmp_ngt_f32_e64 s1, |v152|, |v153|
                                        ; implicit-def: $vgpr154_vgpr155
	s_and_saveexec_b32 s4, s1
	s_delay_alu instid0(SALU_CYCLE_1)
	s_xor_b32 s1, exec_lo, s4
	s_cbranch_execz .LBB59_140
; %bb.139:
	v_div_scale_f32 v154, null, v153, v153, v152
	v_div_scale_f32 v157, vcc_lo, v152, v153, v152
	s_delay_alu instid0(VALU_DEP_2) | instskip(SKIP_1) | instid1(TRANS32_DEP_1)
	v_rcp_f32_e32 v155, v154
	v_nop
	v_fma_f32 v156, -v154, v155, 1.0
	s_delay_alu instid0(VALU_DEP_1) | instskip(NEXT) | instid1(VALU_DEP_1)
	v_fmac_f32_e32 v155, v156, v155
	v_mul_f32_e32 v156, v157, v155
	s_delay_alu instid0(VALU_DEP_1) | instskip(NEXT) | instid1(VALU_DEP_1)
	v_fma_f32 v158, -v154, v156, v157
	v_fmac_f32_e32 v156, v158, v155
	s_delay_alu instid0(VALU_DEP_1) | instskip(NEXT) | instid1(VALU_DEP_1)
	v_fma_f32 v154, -v154, v156, v157
	v_div_fmas_f32 v154, v154, v155, v156
	s_delay_alu instid0(VALU_DEP_1) | instskip(NEXT) | instid1(VALU_DEP_1)
	v_div_fixup_f32 v154, v154, v153, v152
	v_fmac_f32_e32 v153, v152, v154
	s_delay_alu instid0(VALU_DEP_1) | instskip(SKIP_1) | instid1(VALU_DEP_2)
	v_div_scale_f32 v152, null, v153, v153, 1.0
	v_div_scale_f32 v157, vcc_lo, 1.0, v153, 1.0
	v_rcp_f32_e32 v155, v152
	v_nop
	s_delay_alu instid0(TRANS32_DEP_1) | instskip(NEXT) | instid1(VALU_DEP_1)
	v_fma_f32 v156, -v152, v155, 1.0
	v_fmac_f32_e32 v155, v156, v155
	s_delay_alu instid0(VALU_DEP_1) | instskip(NEXT) | instid1(VALU_DEP_1)
	v_mul_f32_e32 v156, v157, v155
	v_fma_f32 v158, -v152, v156, v157
	s_delay_alu instid0(VALU_DEP_1) | instskip(NEXT) | instid1(VALU_DEP_1)
	v_fmac_f32_e32 v156, v158, v155
	v_fma_f32 v152, -v152, v156, v157
	s_delay_alu instid0(VALU_DEP_1) | instskip(NEXT) | instid1(VALU_DEP_1)
	v_div_fmas_f32 v152, v152, v155, v156
	v_div_fixup_f32 v152, v152, v153, 1.0
	s_delay_alu instid0(VALU_DEP_1)
	v_mul_f32_e32 v154, v154, v152
	v_xor_b32_e32 v155, 0x80000000, v152
                                        ; implicit-def: $vgpr152_vgpr153
.LBB59_140:
	s_and_not1_saveexec_b32 s1, s1
	s_cbranch_execz .LBB59_142
; %bb.141:
	v_div_scale_f32 v154, null, v152, v152, v153
	v_div_scale_f32 v157, vcc_lo, v153, v152, v153
	s_delay_alu instid0(VALU_DEP_2) | instskip(SKIP_1) | instid1(TRANS32_DEP_1)
	v_rcp_f32_e32 v155, v154
	v_nop
	v_fma_f32 v156, -v154, v155, 1.0
	s_delay_alu instid0(VALU_DEP_1) | instskip(NEXT) | instid1(VALU_DEP_1)
	v_fmac_f32_e32 v155, v156, v155
	v_mul_f32_e32 v156, v157, v155
	s_delay_alu instid0(VALU_DEP_1) | instskip(NEXT) | instid1(VALU_DEP_1)
	v_fma_f32 v158, -v154, v156, v157
	v_fmac_f32_e32 v156, v158, v155
	s_delay_alu instid0(VALU_DEP_1) | instskip(NEXT) | instid1(VALU_DEP_1)
	v_fma_f32 v154, -v154, v156, v157
	v_div_fmas_f32 v154, v154, v155, v156
	s_delay_alu instid0(VALU_DEP_1) | instskip(NEXT) | instid1(VALU_DEP_1)
	v_div_fixup_f32 v155, v154, v152, v153
	v_fmac_f32_e32 v152, v153, v155
	s_delay_alu instid0(VALU_DEP_1) | instskip(NEXT) | instid1(VALU_DEP_1)
	v_div_scale_f32 v153, null, v152, v152, 1.0
	v_rcp_f32_e32 v154, v153
	v_nop
	s_delay_alu instid0(TRANS32_DEP_1) | instskip(NEXT) | instid1(VALU_DEP_1)
	v_fma_f32 v156, -v153, v154, 1.0
	v_fmac_f32_e32 v154, v156, v154
	v_div_scale_f32 v156, vcc_lo, 1.0, v152, 1.0
	s_delay_alu instid0(VALU_DEP_1) | instskip(NEXT) | instid1(VALU_DEP_1)
	v_mul_f32_e32 v157, v156, v154
	v_fma_f32 v158, -v153, v157, v156
	s_delay_alu instid0(VALU_DEP_1) | instskip(NEXT) | instid1(VALU_DEP_1)
	v_fmac_f32_e32 v157, v158, v154
	v_fma_f32 v153, -v153, v157, v156
	s_delay_alu instid0(VALU_DEP_1) | instskip(NEXT) | instid1(VALU_DEP_1)
	v_div_fmas_f32 v153, v153, v154, v157
	v_div_fixup_f32 v154, v153, v152, 1.0
	s_delay_alu instid0(VALU_DEP_1)
	v_mul_f32_e64 v155, v155, -v154
.LBB59_142:
	s_or_b32 exec_lo, exec_lo, s1
	ds_store_b64 v183, v[154:155]
.LBB59_143:
	s_or_b32 exec_lo, exec_lo, s2
	s_wait_dscnt 0x0
	s_barrier_signal -1
	s_barrier_wait -1
	ds_load_b64 v[152:153], v183
	s_mov_b32 s1, exec_lo
	v_cmpx_lt_u32_e32 15, v182
	s_cbranch_execz .LBB59_145
; %bb.144:
	s_wait_dscnt 0x0
	v_pk_mul_f32 v[154:155], v[152:153], v[58:59] op_sel:[1,1] op_sel_hi:[0,1]
	s_delay_alu instid0(VALU_DEP_1)
	v_pk_fma_f32 v[158:159], v[152:153], v[58:59], v[154:155] op_sel_hi:[1,0,1] neg_lo:[0,0,1] neg_hi:[0,0,1]
	v_pk_fma_f32 v[160:161], v[152:153], v[58:59], v[154:155] op_sel_hi:[1,0,1]
	ds_load_2addr_b64 v[154:157], v184 offset0:16 offset1:17
	v_dual_mov_b32 v58, v158 :: v_dual_mov_b32 v59, v161
	s_wait_dscnt 0x0
	v_pk_mul_f32 v[162:163], v[154:155], v[160:161] op_sel:[0,1]
	s_delay_alu instid0(VALU_DEP_1) | instskip(SKIP_1) | instid1(VALU_DEP_1)
	v_pk_fma_f32 v[164:165], v[154:155], v[158:159], v[162:163] op_sel:[0,0,1] op_sel_hi:[1,1,0] neg_lo:[0,0,1] neg_hi:[0,0,1]
	v_pk_fma_f32 v[154:155], v[154:155], v[158:159], v[162:163] op_sel:[0,0,1] op_sel_hi:[1,0,0]
	v_mov_b32_e32 v165, v155
	v_pk_mul_f32 v[154:155], v[156:157], v[160:161] op_sel:[0,1]
	s_delay_alu instid0(VALU_DEP_1) | instskip(SKIP_1) | instid1(VALU_DEP_1)
	v_pk_fma_f32 v[162:163], v[156:157], v[158:159], v[154:155] op_sel:[0,0,1] op_sel_hi:[1,1,0] neg_lo:[0,0,1] neg_hi:[0,0,1]
	v_pk_fma_f32 v[154:155], v[156:157], v[158:159], v[154:155] op_sel:[0,0,1] op_sel_hi:[1,0,0]
	v_mov_b32_e32 v163, v155
	ds_load_2addr_b64 v[154:157], v184 offset0:18 offset1:19
	v_pk_add_f32 v[78:79], v[78:79], v[164:165] neg_lo:[0,1] neg_hi:[0,1]
	v_pk_add_f32 v[74:75], v[74:75], v[162:163] neg_lo:[0,1] neg_hi:[0,1]
	s_wait_dscnt 0x0
	v_pk_mul_f32 v[162:163], v[154:155], v[160:161] op_sel:[0,1]
	s_delay_alu instid0(VALU_DEP_1) | instskip(SKIP_2) | instid1(VALU_DEP_2)
	v_pk_fma_f32 v[164:165], v[154:155], v[158:159], v[162:163] op_sel:[0,0,1] op_sel_hi:[1,1,0] neg_lo:[0,0,1] neg_hi:[0,0,1]
	v_pk_fma_f32 v[154:155], v[154:155], v[158:159], v[162:163] op_sel:[0,0,1] op_sel_hi:[1,0,0]
	v_dual_mul_f32 v162, v157, v161 :: v_dual_mov_b32 v154, v157
	v_dual_mov_b32 v165, v155 :: v_dual_mov_b32 v155, v156
	s_delay_alu instid0(VALU_DEP_2) | instskip(SKIP_1) | instid1(VALU_DEP_3)
	v_pk_fma_f32 v[162:163], v[156:157], v[58:59], v[162:163] op_sel_hi:[1,1,0] neg_lo:[0,0,1] neg_hi:[0,0,1]
	v_mul_f32_e32 v156, v157, v158
	v_pk_add_f32 v[76:77], v[76:77], v[164:165] neg_lo:[0,1] neg_hi:[0,1]
	s_delay_alu instid0(VALU_DEP_2) | instskip(NEXT) | instid1(VALU_DEP_1)
	v_pk_fma_f32 v[154:155], v[154:155], v[58:59], v[156:157] op_sel_hi:[1,1,0]
	v_mov_b32_e32 v163, v155
	ds_load_2addr_b64 v[154:157], v184 offset0:20 offset1:21
	v_pk_add_f32 v[72:73], v[72:73], v[162:163] neg_lo:[0,1] neg_hi:[0,1]
	s_wait_dscnt 0x0
	v_pk_mul_f32 v[162:163], v[154:155], v[160:161] op_sel:[0,1]
	s_delay_alu instid0(VALU_DEP_1) | instskip(SKIP_1) | instid1(VALU_DEP_1)
	v_pk_fma_f32 v[164:165], v[154:155], v[158:159], v[162:163] op_sel:[0,0,1] op_sel_hi:[1,1,0] neg_lo:[0,0,1] neg_hi:[0,0,1]
	v_pk_fma_f32 v[154:155], v[154:155], v[158:159], v[162:163] op_sel:[0,0,1] op_sel_hi:[1,0,0]
	v_mov_b32_e32 v165, v155
	v_pk_mul_f32 v[154:155], v[156:157], v[160:161] op_sel:[0,1]
	s_delay_alu instid0(VALU_DEP_1) | instskip(SKIP_1) | instid1(VALU_DEP_1)
	v_pk_fma_f32 v[162:163], v[156:157], v[158:159], v[154:155] op_sel:[0,0,1] op_sel_hi:[1,1,0] neg_lo:[0,0,1] neg_hi:[0,0,1]
	v_pk_fma_f32 v[154:155], v[156:157], v[158:159], v[154:155] op_sel:[0,0,1] op_sel_hi:[1,0,0]
	v_mov_b32_e32 v163, v155
	ds_load_2addr_b64 v[154:157], v184 offset0:22 offset1:23
	v_pk_add_f32 v[98:99], v[98:99], v[164:165] neg_lo:[0,1] neg_hi:[0,1]
	v_pk_add_f32 v[94:95], v[94:95], v[162:163] neg_lo:[0,1] neg_hi:[0,1]
	s_wait_dscnt 0x0
	v_pk_mul_f32 v[162:163], v[154:155], v[160:161] op_sel:[0,1]
	s_delay_alu instid0(VALU_DEP_1) | instskip(SKIP_1) | instid1(VALU_DEP_1)
	v_pk_fma_f32 v[164:165], v[154:155], v[158:159], v[162:163] op_sel:[0,0,1] op_sel_hi:[1,1,0] neg_lo:[0,0,1] neg_hi:[0,0,1]
	v_pk_fma_f32 v[154:155], v[154:155], v[158:159], v[162:163] op_sel:[0,0,1] op_sel_hi:[1,0,0]
	v_mov_b32_e32 v165, v155
	v_pk_mul_f32 v[154:155], v[156:157], v[160:161] op_sel:[0,1]
	s_delay_alu instid0(VALU_DEP_1) | instskip(SKIP_1) | instid1(VALU_DEP_1)
	v_pk_fma_f32 v[162:163], v[156:157], v[158:159], v[154:155] op_sel:[0,0,1] op_sel_hi:[1,1,0] neg_lo:[0,0,1] neg_hi:[0,0,1]
	v_pk_fma_f32 v[154:155], v[156:157], v[158:159], v[154:155] op_sel:[0,0,1] op_sel_hi:[1,0,0]
	v_mov_b32_e32 v163, v155
	ds_load_2addr_b64 v[154:157], v184 offset0:24 offset1:25
	v_pk_add_f32 v[96:97], v[96:97], v[164:165] neg_lo:[0,1] neg_hi:[0,1]
	v_pk_add_f32 v[92:93], v[92:93], v[162:163] neg_lo:[0,1] neg_hi:[0,1]
	s_wait_dscnt 0x0
	v_dual_mul_f32 v162, v155, v161 :: v_dual_mul_f32 v164, v155, v158
	s_delay_alu instid0(VALU_DEP_1) | instskip(NEXT) | instid1(VALU_DEP_2)
	v_pk_fma_f32 v[162:163], v[154:155], v[58:59], v[162:163] op_sel_hi:[1,1,0] neg_lo:[0,0,1] neg_hi:[0,0,1]
	v_pk_fma_f32 v[154:155], v[154:155], v[58:59], v[164:165] op_sel:[1,0,0] op_sel_hi:[0,1,0]
	s_delay_alu instid0(VALU_DEP_1) | instskip(SKIP_1) | instid1(VALU_DEP_2)
	v_mov_b32_e32 v163, v155
	v_pk_mul_f32 v[154:155], v[156:157], v[160:161] op_sel:[0,1]
	v_pk_add_f32 v[114:115], v[114:115], v[162:163] neg_lo:[0,1] neg_hi:[0,1]
	s_delay_alu instid0(VALU_DEP_2) | instskip(SKIP_1) | instid1(VALU_DEP_1)
	v_pk_fma_f32 v[162:163], v[156:157], v[158:159], v[154:155] op_sel:[0,0,1] op_sel_hi:[1,1,0] neg_lo:[0,0,1] neg_hi:[0,0,1]
	v_pk_fma_f32 v[154:155], v[156:157], v[158:159], v[154:155] op_sel:[0,0,1] op_sel_hi:[1,0,0]
	v_mov_b32_e32 v163, v155
	ds_load_2addr_b64 v[154:157], v184 offset0:26 offset1:27
	v_pk_add_f32 v[110:111], v[110:111], v[162:163] neg_lo:[0,1] neg_hi:[0,1]
	s_wait_dscnt 0x0
	v_pk_mul_f32 v[162:163], v[154:155], v[160:161] op_sel:[0,1]
	s_delay_alu instid0(VALU_DEP_1) | instskip(SKIP_1) | instid1(VALU_DEP_1)
	v_pk_fma_f32 v[164:165], v[154:155], v[158:159], v[162:163] op_sel:[0,0,1] op_sel_hi:[1,1,0] neg_lo:[0,0,1] neg_hi:[0,0,1]
	v_pk_fma_f32 v[154:155], v[154:155], v[158:159], v[162:163] op_sel:[0,0,1] op_sel_hi:[1,0,0]
	v_mov_b32_e32 v165, v155
	v_pk_mul_f32 v[154:155], v[156:157], v[160:161] op_sel:[0,1]
	s_delay_alu instid0(VALU_DEP_2) | instskip(NEXT) | instid1(VALU_DEP_2)
	v_pk_add_f32 v[112:113], v[112:113], v[164:165] neg_lo:[0,1] neg_hi:[0,1]
	v_pk_fma_f32 v[162:163], v[156:157], v[158:159], v[154:155] op_sel:[0,0,1] op_sel_hi:[1,1,0] neg_lo:[0,0,1] neg_hi:[0,0,1]
	v_pk_fma_f32 v[154:155], v[156:157], v[158:159], v[154:155] op_sel:[0,0,1] op_sel_hi:[1,0,0]
	s_delay_alu instid0(VALU_DEP_1) | instskip(SKIP_4) | instid1(VALU_DEP_1)
	v_mov_b32_e32 v163, v155
	ds_load_2addr_b64 v[154:157], v184 offset0:28 offset1:29
	v_pk_add_f32 v[118:119], v[118:119], v[162:163] neg_lo:[0,1] neg_hi:[0,1]
	s_wait_dscnt 0x0
	v_pk_mul_f32 v[162:163], v[154:155], v[160:161] op_sel:[0,1]
	v_pk_fma_f32 v[164:165], v[154:155], v[158:159], v[162:163] op_sel:[0,0,1] op_sel_hi:[1,1,0] neg_lo:[0,0,1] neg_hi:[0,0,1]
	v_pk_fma_f32 v[154:155], v[154:155], v[158:159], v[162:163] op_sel:[0,0,1] op_sel_hi:[1,0,0]
	s_delay_alu instid0(VALU_DEP_1) | instskip(SKIP_1) | instid1(VALU_DEP_2)
	v_mov_b32_e32 v165, v155
	v_pk_mul_f32 v[154:155], v[156:157], v[160:161] op_sel:[0,1]
	v_pk_add_f32 v[116:117], v[116:117], v[164:165] neg_lo:[0,1] neg_hi:[0,1]
	s_delay_alu instid0(VALU_DEP_2) | instskip(SKIP_1) | instid1(VALU_DEP_1)
	v_pk_fma_f32 v[160:161], v[156:157], v[158:159], v[154:155] op_sel:[0,0,1] op_sel_hi:[1,1,0] neg_lo:[0,0,1] neg_hi:[0,0,1]
	v_pk_fma_f32 v[154:155], v[156:157], v[158:159], v[154:155] op_sel:[0,0,1] op_sel_hi:[1,0,0]
	v_mov_b32_e32 v161, v155
	s_delay_alu instid0(VALU_DEP_1)
	v_pk_add_f32 v[120:121], v[120:121], v[160:161] neg_lo:[0,1] neg_hi:[0,1]
.LBB59_145:
	s_or_b32 exec_lo, exec_lo, s1
	s_delay_alu instid0(SALU_CYCLE_1)
	s_mov_b32 s2, exec_lo
	s_wait_dscnt 0x0
	s_barrier_signal -1
	s_barrier_wait -1
	v_cmpx_eq_u32_e32 16, v182
	s_cbranch_execz .LBB59_152
; %bb.146:
	ds_store_b64 v183, v[78:79]
	ds_store_2addr_b64 v184, v[74:75], v[76:77] offset0:17 offset1:18
	ds_store_2addr_b64 v184, v[72:73], v[98:99] offset0:19 offset1:20
	ds_store_2addr_b64 v184, v[94:95], v[96:97] offset0:21 offset1:22
	ds_store_2addr_b64 v184, v[92:93], v[114:115] offset0:23 offset1:24
	ds_store_2addr_b64 v184, v[110:111], v[112:113] offset0:25 offset1:26
	ds_store_2addr_b64 v184, v[118:119], v[116:117] offset0:27 offset1:28
	ds_store_b64 v184, v[120:121] offset:232
	ds_load_b64 v[154:155], v183
	s_wait_dscnt 0x0
	v_cmp_neq_f32_e32 vcc_lo, 0, v154
	v_cmp_neq_f32_e64 s1, 0, v155
	s_or_b32 s1, vcc_lo, s1
	s_delay_alu instid0(SALU_CYCLE_1)
	s_and_b32 exec_lo, exec_lo, s1
	s_cbranch_execz .LBB59_152
; %bb.147:
	v_cmp_ngt_f32_e64 s1, |v154|, |v155|
                                        ; implicit-def: $vgpr156_vgpr157
	s_and_saveexec_b32 s4, s1
	s_delay_alu instid0(SALU_CYCLE_1)
	s_xor_b32 s1, exec_lo, s4
	s_cbranch_execz .LBB59_149
; %bb.148:
	v_div_scale_f32 v156, null, v155, v155, v154
	v_div_scale_f32 v159, vcc_lo, v154, v155, v154
	s_delay_alu instid0(VALU_DEP_2) | instskip(SKIP_1) | instid1(TRANS32_DEP_1)
	v_rcp_f32_e32 v157, v156
	v_nop
	v_fma_f32 v158, -v156, v157, 1.0
	s_delay_alu instid0(VALU_DEP_1) | instskip(NEXT) | instid1(VALU_DEP_1)
	v_fmac_f32_e32 v157, v158, v157
	v_mul_f32_e32 v158, v159, v157
	s_delay_alu instid0(VALU_DEP_1) | instskip(NEXT) | instid1(VALU_DEP_1)
	v_fma_f32 v160, -v156, v158, v159
	v_fmac_f32_e32 v158, v160, v157
	s_delay_alu instid0(VALU_DEP_1) | instskip(NEXT) | instid1(VALU_DEP_1)
	v_fma_f32 v156, -v156, v158, v159
	v_div_fmas_f32 v156, v156, v157, v158
	s_delay_alu instid0(VALU_DEP_1) | instskip(NEXT) | instid1(VALU_DEP_1)
	v_div_fixup_f32 v156, v156, v155, v154
	v_fmac_f32_e32 v155, v154, v156
	s_delay_alu instid0(VALU_DEP_1) | instskip(SKIP_1) | instid1(VALU_DEP_2)
	v_div_scale_f32 v154, null, v155, v155, 1.0
	v_div_scale_f32 v159, vcc_lo, 1.0, v155, 1.0
	v_rcp_f32_e32 v157, v154
	v_nop
	s_delay_alu instid0(TRANS32_DEP_1) | instskip(NEXT) | instid1(VALU_DEP_1)
	v_fma_f32 v158, -v154, v157, 1.0
	v_fmac_f32_e32 v157, v158, v157
	s_delay_alu instid0(VALU_DEP_1) | instskip(NEXT) | instid1(VALU_DEP_1)
	v_mul_f32_e32 v158, v159, v157
	v_fma_f32 v160, -v154, v158, v159
	s_delay_alu instid0(VALU_DEP_1) | instskip(NEXT) | instid1(VALU_DEP_1)
	v_fmac_f32_e32 v158, v160, v157
	v_fma_f32 v154, -v154, v158, v159
	s_delay_alu instid0(VALU_DEP_1) | instskip(NEXT) | instid1(VALU_DEP_1)
	v_div_fmas_f32 v154, v154, v157, v158
	v_div_fixup_f32 v154, v154, v155, 1.0
	s_delay_alu instid0(VALU_DEP_1)
	v_mul_f32_e32 v156, v156, v154
	v_xor_b32_e32 v157, 0x80000000, v154
                                        ; implicit-def: $vgpr154_vgpr155
.LBB59_149:
	s_and_not1_saveexec_b32 s1, s1
	s_cbranch_execz .LBB59_151
; %bb.150:
	v_div_scale_f32 v156, null, v154, v154, v155
	v_div_scale_f32 v159, vcc_lo, v155, v154, v155
	s_delay_alu instid0(VALU_DEP_2) | instskip(SKIP_1) | instid1(TRANS32_DEP_1)
	v_rcp_f32_e32 v157, v156
	v_nop
	v_fma_f32 v158, -v156, v157, 1.0
	s_delay_alu instid0(VALU_DEP_1) | instskip(NEXT) | instid1(VALU_DEP_1)
	v_fmac_f32_e32 v157, v158, v157
	v_mul_f32_e32 v158, v159, v157
	s_delay_alu instid0(VALU_DEP_1) | instskip(NEXT) | instid1(VALU_DEP_1)
	v_fma_f32 v160, -v156, v158, v159
	v_fmac_f32_e32 v158, v160, v157
	s_delay_alu instid0(VALU_DEP_1) | instskip(NEXT) | instid1(VALU_DEP_1)
	v_fma_f32 v156, -v156, v158, v159
	v_div_fmas_f32 v156, v156, v157, v158
	s_delay_alu instid0(VALU_DEP_1) | instskip(NEXT) | instid1(VALU_DEP_1)
	v_div_fixup_f32 v157, v156, v154, v155
	v_fmac_f32_e32 v154, v155, v157
	s_delay_alu instid0(VALU_DEP_1) | instskip(NEXT) | instid1(VALU_DEP_1)
	v_div_scale_f32 v155, null, v154, v154, 1.0
	v_rcp_f32_e32 v156, v155
	v_nop
	s_delay_alu instid0(TRANS32_DEP_1) | instskip(NEXT) | instid1(VALU_DEP_1)
	v_fma_f32 v158, -v155, v156, 1.0
	v_fmac_f32_e32 v156, v158, v156
	v_div_scale_f32 v158, vcc_lo, 1.0, v154, 1.0
	s_delay_alu instid0(VALU_DEP_1) | instskip(NEXT) | instid1(VALU_DEP_1)
	v_mul_f32_e32 v159, v158, v156
	v_fma_f32 v160, -v155, v159, v158
	s_delay_alu instid0(VALU_DEP_1) | instskip(NEXT) | instid1(VALU_DEP_1)
	v_fmac_f32_e32 v159, v160, v156
	v_fma_f32 v155, -v155, v159, v158
	s_delay_alu instid0(VALU_DEP_1) | instskip(NEXT) | instid1(VALU_DEP_1)
	v_div_fmas_f32 v155, v155, v156, v159
	v_div_fixup_f32 v156, v155, v154, 1.0
	s_delay_alu instid0(VALU_DEP_1)
	v_mul_f32_e64 v157, v157, -v156
.LBB59_151:
	s_or_b32 exec_lo, exec_lo, s1
	ds_store_b64 v183, v[156:157]
.LBB59_152:
	s_or_b32 exec_lo, exec_lo, s2
	s_wait_dscnt 0x0
	s_barrier_signal -1
	s_barrier_wait -1
	ds_load_b64 v[154:155], v183
	s_mov_b32 s1, exec_lo
	v_cmpx_lt_u32_e32 16, v182
	s_cbranch_execz .LBB59_154
; %bb.153:
	s_wait_dscnt 0x0
	v_pk_mul_f32 v[156:157], v[154:155], v[78:79] op_sel:[1,1] op_sel_hi:[0,1]
	s_delay_alu instid0(VALU_DEP_1)
	v_pk_fma_f32 v[160:161], v[154:155], v[78:79], v[156:157] op_sel_hi:[1,0,1] neg_lo:[0,0,1] neg_hi:[0,0,1]
	v_pk_fma_f32 v[162:163], v[154:155], v[78:79], v[156:157] op_sel_hi:[1,0,1]
	ds_load_2addr_b64 v[156:159], v184 offset0:17 offset1:18
	v_dual_mov_b32 v78, v160 :: v_dual_mov_b32 v79, v163
	s_wait_dscnt 0x0
	v_pk_mul_f32 v[164:165], v[156:157], v[162:163] op_sel:[0,1]
	s_delay_alu instid0(VALU_DEP_1) | instskip(SKIP_1) | instid1(VALU_DEP_1)
	v_pk_fma_f32 v[166:167], v[156:157], v[160:161], v[164:165] op_sel:[0,0,1] op_sel_hi:[1,1,0] neg_lo:[0,0,1] neg_hi:[0,0,1]
	v_pk_fma_f32 v[156:157], v[156:157], v[160:161], v[164:165] op_sel:[0,0,1] op_sel_hi:[1,0,0]
	v_mov_b32_e32 v167, v157
	v_pk_mul_f32 v[156:157], v[158:159], v[162:163] op_sel:[0,1]
	s_delay_alu instid0(VALU_DEP_1) | instskip(SKIP_1) | instid1(VALU_DEP_1)
	v_pk_fma_f32 v[164:165], v[158:159], v[160:161], v[156:157] op_sel:[0,0,1] op_sel_hi:[1,1,0] neg_lo:[0,0,1] neg_hi:[0,0,1]
	v_pk_fma_f32 v[156:157], v[158:159], v[160:161], v[156:157] op_sel:[0,0,1] op_sel_hi:[1,0,0]
	v_mov_b32_e32 v165, v157
	ds_load_2addr_b64 v[156:159], v184 offset0:19 offset1:20
	v_pk_add_f32 v[74:75], v[74:75], v[166:167] neg_lo:[0,1] neg_hi:[0,1]
	v_pk_add_f32 v[76:77], v[76:77], v[164:165] neg_lo:[0,1] neg_hi:[0,1]
	s_wait_dscnt 0x0
	v_pk_mul_f32 v[164:165], v[156:157], v[162:163] op_sel:[0,1]
	s_delay_alu instid0(VALU_DEP_1) | instskip(SKIP_2) | instid1(VALU_DEP_2)
	v_pk_fma_f32 v[166:167], v[156:157], v[160:161], v[164:165] op_sel:[0,0,1] op_sel_hi:[1,1,0] neg_lo:[0,0,1] neg_hi:[0,0,1]
	v_pk_fma_f32 v[156:157], v[156:157], v[160:161], v[164:165] op_sel:[0,0,1] op_sel_hi:[1,0,0]
	v_dual_mul_f32 v164, v159, v163 :: v_dual_mov_b32 v156, v159
	v_dual_mov_b32 v167, v157 :: v_dual_mov_b32 v157, v158
	s_delay_alu instid0(VALU_DEP_2) | instskip(SKIP_1) | instid1(VALU_DEP_3)
	v_pk_fma_f32 v[164:165], v[158:159], v[78:79], v[164:165] op_sel_hi:[1,1,0] neg_lo:[0,0,1] neg_hi:[0,0,1]
	v_mul_f32_e32 v158, v159, v160
	v_pk_add_f32 v[72:73], v[72:73], v[166:167] neg_lo:[0,1] neg_hi:[0,1]
	s_delay_alu instid0(VALU_DEP_2) | instskip(NEXT) | instid1(VALU_DEP_1)
	v_pk_fma_f32 v[156:157], v[156:157], v[78:79], v[158:159] op_sel_hi:[1,1,0]
	v_mov_b32_e32 v165, v157
	ds_load_2addr_b64 v[156:159], v184 offset0:21 offset1:22
	v_pk_add_f32 v[98:99], v[98:99], v[164:165] neg_lo:[0,1] neg_hi:[0,1]
	s_wait_dscnt 0x0
	v_pk_mul_f32 v[164:165], v[156:157], v[162:163] op_sel:[0,1]
	s_delay_alu instid0(VALU_DEP_1) | instskip(SKIP_1) | instid1(VALU_DEP_1)
	v_pk_fma_f32 v[166:167], v[156:157], v[160:161], v[164:165] op_sel:[0,0,1] op_sel_hi:[1,1,0] neg_lo:[0,0,1] neg_hi:[0,0,1]
	v_pk_fma_f32 v[156:157], v[156:157], v[160:161], v[164:165] op_sel:[0,0,1] op_sel_hi:[1,0,0]
	v_mov_b32_e32 v167, v157
	v_pk_mul_f32 v[156:157], v[158:159], v[162:163] op_sel:[0,1]
	s_delay_alu instid0(VALU_DEP_1) | instskip(SKIP_1) | instid1(VALU_DEP_1)
	v_pk_fma_f32 v[164:165], v[158:159], v[160:161], v[156:157] op_sel:[0,0,1] op_sel_hi:[1,1,0] neg_lo:[0,0,1] neg_hi:[0,0,1]
	v_pk_fma_f32 v[156:157], v[158:159], v[160:161], v[156:157] op_sel:[0,0,1] op_sel_hi:[1,0,0]
	v_mov_b32_e32 v165, v157
	ds_load_2addr_b64 v[156:159], v184 offset0:23 offset1:24
	v_pk_add_f32 v[94:95], v[94:95], v[166:167] neg_lo:[0,1] neg_hi:[0,1]
	v_pk_add_f32 v[96:97], v[96:97], v[164:165] neg_lo:[0,1] neg_hi:[0,1]
	s_wait_dscnt 0x0
	v_pk_mul_f32 v[164:165], v[156:157], v[162:163] op_sel:[0,1]
	s_delay_alu instid0(VALU_DEP_1) | instskip(SKIP_1) | instid1(VALU_DEP_1)
	v_pk_fma_f32 v[166:167], v[156:157], v[160:161], v[164:165] op_sel:[0,0,1] op_sel_hi:[1,1,0] neg_lo:[0,0,1] neg_hi:[0,0,1]
	v_pk_fma_f32 v[156:157], v[156:157], v[160:161], v[164:165] op_sel:[0,0,1] op_sel_hi:[1,0,0]
	v_mov_b32_e32 v167, v157
	v_pk_mul_f32 v[156:157], v[158:159], v[162:163] op_sel:[0,1]
	s_delay_alu instid0(VALU_DEP_1) | instskip(SKIP_1) | instid1(VALU_DEP_1)
	v_pk_fma_f32 v[164:165], v[158:159], v[160:161], v[156:157] op_sel:[0,0,1] op_sel_hi:[1,1,0] neg_lo:[0,0,1] neg_hi:[0,0,1]
	v_pk_fma_f32 v[156:157], v[158:159], v[160:161], v[156:157] op_sel:[0,0,1] op_sel_hi:[1,0,0]
	v_mov_b32_e32 v165, v157
	ds_load_2addr_b64 v[156:159], v184 offset0:25 offset1:26
	v_pk_add_f32 v[92:93], v[92:93], v[166:167] neg_lo:[0,1] neg_hi:[0,1]
	v_pk_add_f32 v[114:115], v[114:115], v[164:165] neg_lo:[0,1] neg_hi:[0,1]
	s_wait_dscnt 0x0
	v_dual_mul_f32 v164, v157, v163 :: v_dual_mul_f32 v166, v157, v160
	s_delay_alu instid0(VALU_DEP_1) | instskip(NEXT) | instid1(VALU_DEP_2)
	v_pk_fma_f32 v[164:165], v[156:157], v[78:79], v[164:165] op_sel_hi:[1,1,0] neg_lo:[0,0,1] neg_hi:[0,0,1]
	v_pk_fma_f32 v[156:157], v[156:157], v[78:79], v[166:167] op_sel:[1,0,0] op_sel_hi:[0,1,0]
	s_delay_alu instid0(VALU_DEP_1) | instskip(SKIP_1) | instid1(VALU_DEP_2)
	v_mov_b32_e32 v165, v157
	v_pk_mul_f32 v[156:157], v[158:159], v[162:163] op_sel:[0,1]
	v_pk_add_f32 v[110:111], v[110:111], v[164:165] neg_lo:[0,1] neg_hi:[0,1]
	s_delay_alu instid0(VALU_DEP_2) | instskip(SKIP_1) | instid1(VALU_DEP_1)
	v_pk_fma_f32 v[164:165], v[158:159], v[160:161], v[156:157] op_sel:[0,0,1] op_sel_hi:[1,1,0] neg_lo:[0,0,1] neg_hi:[0,0,1]
	v_pk_fma_f32 v[156:157], v[158:159], v[160:161], v[156:157] op_sel:[0,0,1] op_sel_hi:[1,0,0]
	v_mov_b32_e32 v165, v157
	ds_load_2addr_b64 v[156:159], v184 offset0:27 offset1:28
	v_pk_add_f32 v[112:113], v[112:113], v[164:165] neg_lo:[0,1] neg_hi:[0,1]
	s_wait_dscnt 0x0
	v_pk_mul_f32 v[164:165], v[156:157], v[162:163] op_sel:[0,1]
	s_delay_alu instid0(VALU_DEP_1) | instskip(SKIP_1) | instid1(VALU_DEP_1)
	v_pk_fma_f32 v[166:167], v[156:157], v[160:161], v[164:165] op_sel:[0,0,1] op_sel_hi:[1,1,0] neg_lo:[0,0,1] neg_hi:[0,0,1]
	v_pk_fma_f32 v[156:157], v[156:157], v[160:161], v[164:165] op_sel:[0,0,1] op_sel_hi:[1,0,0]
	v_mov_b32_e32 v167, v157
	v_pk_mul_f32 v[156:157], v[158:159], v[162:163] op_sel:[0,1]
	s_delay_alu instid0(VALU_DEP_2) | instskip(NEXT) | instid1(VALU_DEP_2)
	v_pk_add_f32 v[118:119], v[118:119], v[166:167] neg_lo:[0,1] neg_hi:[0,1]
	v_pk_fma_f32 v[164:165], v[158:159], v[160:161], v[156:157] op_sel:[0,0,1] op_sel_hi:[1,1,0] neg_lo:[0,0,1] neg_hi:[0,0,1]
	v_pk_fma_f32 v[156:157], v[158:159], v[160:161], v[156:157] op_sel:[0,0,1] op_sel_hi:[1,0,0]
	s_delay_alu instid0(VALU_DEP_1) | instskip(SKIP_4) | instid1(VALU_DEP_1)
	v_mov_b32_e32 v165, v157
	ds_load_b64 v[156:157], v184 offset:232
	v_pk_add_f32 v[116:117], v[116:117], v[164:165] neg_lo:[0,1] neg_hi:[0,1]
	s_wait_dscnt 0x0
	v_pk_mul_f32 v[158:159], v[156:157], v[162:163] op_sel:[0,1]
	v_pk_fma_f32 v[162:163], v[156:157], v[160:161], v[158:159] op_sel:[0,0,1] op_sel_hi:[1,1,0] neg_lo:[0,0,1] neg_hi:[0,0,1]
	v_pk_fma_f32 v[156:157], v[156:157], v[160:161], v[158:159] op_sel:[0,0,1] op_sel_hi:[1,0,0]
	s_delay_alu instid0(VALU_DEP_1) | instskip(NEXT) | instid1(VALU_DEP_1)
	v_mov_b32_e32 v163, v157
	v_pk_add_f32 v[120:121], v[120:121], v[162:163] neg_lo:[0,1] neg_hi:[0,1]
.LBB59_154:
	s_or_b32 exec_lo, exec_lo, s1
	s_delay_alu instid0(SALU_CYCLE_1)
	s_mov_b32 s2, exec_lo
	s_wait_dscnt 0x0
	s_barrier_signal -1
	s_barrier_wait -1
	v_cmpx_eq_u32_e32 17, v182
	s_cbranch_execz .LBB59_161
; %bb.155:
	v_dual_mov_b32 v156, v76 :: v_dual_mov_b32 v157, v77
	v_dual_mov_b32 v158, v72 :: v_dual_mov_b32 v159, v73
	;; [unrolled: 1-line block ×10, first 2 shown]
	ds_store_b64 v183, v[74:75]
	v_dual_mov_b32 v176, v116 :: v_dual_mov_b32 v177, v117
	ds_store_2addr_b64 v184, v[156:157], v[158:159] offset0:18 offset1:19
	ds_store_2addr_b64 v184, v[160:161], v[162:163] offset0:20 offset1:21
	;; [unrolled: 1-line block ×6, first 2 shown]
	ds_load_b64 v[156:157], v183
	s_wait_dscnt 0x0
	v_cmp_neq_f32_e32 vcc_lo, 0, v156
	v_cmp_neq_f32_e64 s1, 0, v157
	s_or_b32 s1, vcc_lo, s1
	s_delay_alu instid0(SALU_CYCLE_1)
	s_and_b32 exec_lo, exec_lo, s1
	s_cbranch_execz .LBB59_161
; %bb.156:
	v_cmp_ngt_f32_e64 s1, |v156|, |v157|
                                        ; implicit-def: $vgpr158_vgpr159
	s_and_saveexec_b32 s4, s1
	s_delay_alu instid0(SALU_CYCLE_1)
	s_xor_b32 s1, exec_lo, s4
	s_cbranch_execz .LBB59_158
; %bb.157:
	v_div_scale_f32 v158, null, v157, v157, v156
	v_div_scale_f32 v161, vcc_lo, v156, v157, v156
	s_delay_alu instid0(VALU_DEP_2) | instskip(SKIP_1) | instid1(TRANS32_DEP_1)
	v_rcp_f32_e32 v159, v158
	v_nop
	v_fma_f32 v160, -v158, v159, 1.0
	s_delay_alu instid0(VALU_DEP_1) | instskip(NEXT) | instid1(VALU_DEP_1)
	v_fmac_f32_e32 v159, v160, v159
	v_mul_f32_e32 v160, v161, v159
	s_delay_alu instid0(VALU_DEP_1) | instskip(NEXT) | instid1(VALU_DEP_1)
	v_fma_f32 v162, -v158, v160, v161
	v_fmac_f32_e32 v160, v162, v159
	s_delay_alu instid0(VALU_DEP_1) | instskip(NEXT) | instid1(VALU_DEP_1)
	v_fma_f32 v158, -v158, v160, v161
	v_div_fmas_f32 v158, v158, v159, v160
	s_delay_alu instid0(VALU_DEP_1) | instskip(NEXT) | instid1(VALU_DEP_1)
	v_div_fixup_f32 v158, v158, v157, v156
	v_fmac_f32_e32 v157, v156, v158
	s_delay_alu instid0(VALU_DEP_1) | instskip(SKIP_1) | instid1(VALU_DEP_2)
	v_div_scale_f32 v156, null, v157, v157, 1.0
	v_div_scale_f32 v161, vcc_lo, 1.0, v157, 1.0
	v_rcp_f32_e32 v159, v156
	v_nop
	s_delay_alu instid0(TRANS32_DEP_1) | instskip(NEXT) | instid1(VALU_DEP_1)
	v_fma_f32 v160, -v156, v159, 1.0
	v_fmac_f32_e32 v159, v160, v159
	s_delay_alu instid0(VALU_DEP_1) | instskip(NEXT) | instid1(VALU_DEP_1)
	v_mul_f32_e32 v160, v161, v159
	v_fma_f32 v162, -v156, v160, v161
	s_delay_alu instid0(VALU_DEP_1) | instskip(NEXT) | instid1(VALU_DEP_1)
	v_fmac_f32_e32 v160, v162, v159
	v_fma_f32 v156, -v156, v160, v161
	s_delay_alu instid0(VALU_DEP_1) | instskip(NEXT) | instid1(VALU_DEP_1)
	v_div_fmas_f32 v156, v156, v159, v160
	v_div_fixup_f32 v156, v156, v157, 1.0
	s_delay_alu instid0(VALU_DEP_1)
	v_mul_f32_e32 v158, v158, v156
	v_xor_b32_e32 v159, 0x80000000, v156
                                        ; implicit-def: $vgpr156_vgpr157
.LBB59_158:
	s_and_not1_saveexec_b32 s1, s1
	s_cbranch_execz .LBB59_160
; %bb.159:
	v_div_scale_f32 v158, null, v156, v156, v157
	v_div_scale_f32 v161, vcc_lo, v157, v156, v157
	s_delay_alu instid0(VALU_DEP_2) | instskip(SKIP_1) | instid1(TRANS32_DEP_1)
	v_rcp_f32_e32 v159, v158
	v_nop
	v_fma_f32 v160, -v158, v159, 1.0
	s_delay_alu instid0(VALU_DEP_1) | instskip(NEXT) | instid1(VALU_DEP_1)
	v_fmac_f32_e32 v159, v160, v159
	v_mul_f32_e32 v160, v161, v159
	s_delay_alu instid0(VALU_DEP_1) | instskip(NEXT) | instid1(VALU_DEP_1)
	v_fma_f32 v162, -v158, v160, v161
	v_fmac_f32_e32 v160, v162, v159
	s_delay_alu instid0(VALU_DEP_1) | instskip(NEXT) | instid1(VALU_DEP_1)
	v_fma_f32 v158, -v158, v160, v161
	v_div_fmas_f32 v158, v158, v159, v160
	s_delay_alu instid0(VALU_DEP_1) | instskip(NEXT) | instid1(VALU_DEP_1)
	v_div_fixup_f32 v159, v158, v156, v157
	v_fmac_f32_e32 v156, v157, v159
	s_delay_alu instid0(VALU_DEP_1) | instskip(NEXT) | instid1(VALU_DEP_1)
	v_div_scale_f32 v157, null, v156, v156, 1.0
	v_rcp_f32_e32 v158, v157
	v_nop
	s_delay_alu instid0(TRANS32_DEP_1) | instskip(NEXT) | instid1(VALU_DEP_1)
	v_fma_f32 v160, -v157, v158, 1.0
	v_fmac_f32_e32 v158, v160, v158
	v_div_scale_f32 v160, vcc_lo, 1.0, v156, 1.0
	s_delay_alu instid0(VALU_DEP_1) | instskip(NEXT) | instid1(VALU_DEP_1)
	v_mul_f32_e32 v161, v160, v158
	v_fma_f32 v162, -v157, v161, v160
	s_delay_alu instid0(VALU_DEP_1) | instskip(NEXT) | instid1(VALU_DEP_1)
	v_fmac_f32_e32 v161, v162, v158
	v_fma_f32 v157, -v157, v161, v160
	s_delay_alu instid0(VALU_DEP_1) | instskip(NEXT) | instid1(VALU_DEP_1)
	v_div_fmas_f32 v157, v157, v158, v161
	v_div_fixup_f32 v158, v157, v156, 1.0
	s_delay_alu instid0(VALU_DEP_1)
	v_mul_f32_e64 v159, v159, -v158
.LBB59_160:
	s_or_b32 exec_lo, exec_lo, s1
	ds_store_b64 v183, v[158:159]
.LBB59_161:
	s_or_b32 exec_lo, exec_lo, s2
	s_wait_dscnt 0x0
	s_barrier_signal -1
	s_barrier_wait -1
	ds_load_b64 v[156:157], v183
	s_mov_b32 s1, exec_lo
	v_cmpx_lt_u32_e32 17, v182
	s_cbranch_execz .LBB59_163
; %bb.162:
	s_wait_dscnt 0x0
	v_pk_mul_f32 v[158:159], v[156:157], v[74:75] op_sel:[1,1] op_sel_hi:[0,1]
	s_delay_alu instid0(VALU_DEP_1)
	v_pk_fma_f32 v[162:163], v[156:157], v[74:75], v[158:159] op_sel_hi:[1,0,1] neg_lo:[0,0,1] neg_hi:[0,0,1]
	v_pk_fma_f32 v[164:165], v[156:157], v[74:75], v[158:159] op_sel_hi:[1,0,1]
	ds_load_2addr_b64 v[158:161], v184 offset0:18 offset1:19
	v_dual_mov_b32 v74, v162 :: v_dual_mov_b32 v75, v165
	s_wait_dscnt 0x0
	v_pk_mul_f32 v[166:167], v[158:159], v[164:165] op_sel:[0,1]
	s_delay_alu instid0(VALU_DEP_1) | instskip(SKIP_1) | instid1(VALU_DEP_1)
	v_pk_fma_f32 v[168:169], v[158:159], v[162:163], v[166:167] op_sel:[0,0,1] op_sel_hi:[1,1,0] neg_lo:[0,0,1] neg_hi:[0,0,1]
	v_pk_fma_f32 v[158:159], v[158:159], v[162:163], v[166:167] op_sel:[0,0,1] op_sel_hi:[1,0,0]
	v_mov_b32_e32 v169, v159
	v_pk_mul_f32 v[158:159], v[160:161], v[164:165] op_sel:[0,1]
	s_delay_alu instid0(VALU_DEP_1) | instskip(SKIP_1) | instid1(VALU_DEP_1)
	v_pk_fma_f32 v[166:167], v[160:161], v[162:163], v[158:159] op_sel:[0,0,1] op_sel_hi:[1,1,0] neg_lo:[0,0,1] neg_hi:[0,0,1]
	v_pk_fma_f32 v[158:159], v[160:161], v[162:163], v[158:159] op_sel:[0,0,1] op_sel_hi:[1,0,0]
	v_mov_b32_e32 v167, v159
	ds_load_2addr_b64 v[158:161], v184 offset0:20 offset1:21
	v_pk_add_f32 v[76:77], v[76:77], v[168:169] neg_lo:[0,1] neg_hi:[0,1]
	v_pk_add_f32 v[72:73], v[72:73], v[166:167] neg_lo:[0,1] neg_hi:[0,1]
	s_wait_dscnt 0x0
	v_pk_mul_f32 v[166:167], v[158:159], v[164:165] op_sel:[0,1]
	s_delay_alu instid0(VALU_DEP_1) | instskip(SKIP_2) | instid1(VALU_DEP_2)
	v_pk_fma_f32 v[168:169], v[158:159], v[162:163], v[166:167] op_sel:[0,0,1] op_sel_hi:[1,1,0] neg_lo:[0,0,1] neg_hi:[0,0,1]
	v_pk_fma_f32 v[158:159], v[158:159], v[162:163], v[166:167] op_sel:[0,0,1] op_sel_hi:[1,0,0]
	v_dual_mul_f32 v166, v161, v165 :: v_dual_mov_b32 v158, v161
	v_dual_mov_b32 v169, v159 :: v_dual_mov_b32 v159, v160
	s_delay_alu instid0(VALU_DEP_2) | instskip(SKIP_1) | instid1(VALU_DEP_3)
	v_pk_fma_f32 v[166:167], v[160:161], v[74:75], v[166:167] op_sel_hi:[1,1,0] neg_lo:[0,0,1] neg_hi:[0,0,1]
	v_mul_f32_e32 v160, v161, v162
	v_pk_add_f32 v[98:99], v[98:99], v[168:169] neg_lo:[0,1] neg_hi:[0,1]
	s_delay_alu instid0(VALU_DEP_2) | instskip(NEXT) | instid1(VALU_DEP_1)
	v_pk_fma_f32 v[158:159], v[158:159], v[74:75], v[160:161] op_sel_hi:[1,1,0]
	v_mov_b32_e32 v167, v159
	ds_load_2addr_b64 v[158:161], v184 offset0:22 offset1:23
	v_pk_add_f32 v[94:95], v[94:95], v[166:167] neg_lo:[0,1] neg_hi:[0,1]
	s_wait_dscnt 0x0
	v_pk_mul_f32 v[166:167], v[158:159], v[164:165] op_sel:[0,1]
	s_delay_alu instid0(VALU_DEP_1) | instskip(SKIP_1) | instid1(VALU_DEP_1)
	v_pk_fma_f32 v[168:169], v[158:159], v[162:163], v[166:167] op_sel:[0,0,1] op_sel_hi:[1,1,0] neg_lo:[0,0,1] neg_hi:[0,0,1]
	v_pk_fma_f32 v[158:159], v[158:159], v[162:163], v[166:167] op_sel:[0,0,1] op_sel_hi:[1,0,0]
	v_mov_b32_e32 v169, v159
	v_pk_mul_f32 v[158:159], v[160:161], v[164:165] op_sel:[0,1]
	s_delay_alu instid0(VALU_DEP_1) | instskip(SKIP_1) | instid1(VALU_DEP_1)
	v_pk_fma_f32 v[166:167], v[160:161], v[162:163], v[158:159] op_sel:[0,0,1] op_sel_hi:[1,1,0] neg_lo:[0,0,1] neg_hi:[0,0,1]
	v_pk_fma_f32 v[158:159], v[160:161], v[162:163], v[158:159] op_sel:[0,0,1] op_sel_hi:[1,0,0]
	v_mov_b32_e32 v167, v159
	ds_load_2addr_b64 v[158:161], v184 offset0:24 offset1:25
	v_pk_add_f32 v[96:97], v[96:97], v[168:169] neg_lo:[0,1] neg_hi:[0,1]
	v_pk_add_f32 v[92:93], v[92:93], v[166:167] neg_lo:[0,1] neg_hi:[0,1]
	s_wait_dscnt 0x0
	v_pk_mul_f32 v[166:167], v[158:159], v[164:165] op_sel:[0,1]
	s_delay_alu instid0(VALU_DEP_1) | instskip(SKIP_1) | instid1(VALU_DEP_1)
	v_pk_fma_f32 v[168:169], v[158:159], v[162:163], v[166:167] op_sel:[0,0,1] op_sel_hi:[1,1,0] neg_lo:[0,0,1] neg_hi:[0,0,1]
	v_pk_fma_f32 v[158:159], v[158:159], v[162:163], v[166:167] op_sel:[0,0,1] op_sel_hi:[1,0,0]
	v_mov_b32_e32 v169, v159
	v_pk_mul_f32 v[158:159], v[160:161], v[164:165] op_sel:[0,1]
	s_delay_alu instid0(VALU_DEP_1) | instskip(SKIP_1) | instid1(VALU_DEP_1)
	v_pk_fma_f32 v[166:167], v[160:161], v[162:163], v[158:159] op_sel:[0,0,1] op_sel_hi:[1,1,0] neg_lo:[0,0,1] neg_hi:[0,0,1]
	v_pk_fma_f32 v[158:159], v[160:161], v[162:163], v[158:159] op_sel:[0,0,1] op_sel_hi:[1,0,0]
	v_mov_b32_e32 v167, v159
	ds_load_2addr_b64 v[158:161], v184 offset0:26 offset1:27
	v_pk_add_f32 v[114:115], v[114:115], v[168:169] neg_lo:[0,1] neg_hi:[0,1]
	v_pk_add_f32 v[110:111], v[110:111], v[166:167] neg_lo:[0,1] neg_hi:[0,1]
	s_wait_dscnt 0x0
	v_dual_mul_f32 v166, v159, v165 :: v_dual_mul_f32 v168, v159, v162
	s_delay_alu instid0(VALU_DEP_1) | instskip(NEXT) | instid1(VALU_DEP_2)
	v_pk_fma_f32 v[166:167], v[158:159], v[74:75], v[166:167] op_sel_hi:[1,1,0] neg_lo:[0,0,1] neg_hi:[0,0,1]
	v_pk_fma_f32 v[158:159], v[158:159], v[74:75], v[168:169] op_sel:[1,0,0] op_sel_hi:[0,1,0]
	s_delay_alu instid0(VALU_DEP_1) | instskip(SKIP_1) | instid1(VALU_DEP_2)
	v_mov_b32_e32 v167, v159
	v_pk_mul_f32 v[158:159], v[160:161], v[164:165] op_sel:[0,1]
	v_pk_add_f32 v[112:113], v[112:113], v[166:167] neg_lo:[0,1] neg_hi:[0,1]
	s_delay_alu instid0(VALU_DEP_2) | instskip(SKIP_1) | instid1(VALU_DEP_1)
	v_pk_fma_f32 v[166:167], v[160:161], v[162:163], v[158:159] op_sel:[0,0,1] op_sel_hi:[1,1,0] neg_lo:[0,0,1] neg_hi:[0,0,1]
	v_pk_fma_f32 v[158:159], v[160:161], v[162:163], v[158:159] op_sel:[0,0,1] op_sel_hi:[1,0,0]
	v_mov_b32_e32 v167, v159
	ds_load_2addr_b64 v[158:161], v184 offset0:28 offset1:29
	v_pk_add_f32 v[118:119], v[118:119], v[166:167] neg_lo:[0,1] neg_hi:[0,1]
	s_wait_dscnt 0x0
	v_pk_mul_f32 v[166:167], v[158:159], v[164:165] op_sel:[0,1]
	v_mul_f32_e32 v164, v161, v165
	s_delay_alu instid0(VALU_DEP_2) | instskip(SKIP_2) | instid1(VALU_DEP_4)
	v_pk_fma_f32 v[168:169], v[158:159], v[162:163], v[166:167] op_sel:[0,0,1] op_sel_hi:[1,1,0] neg_lo:[0,0,1] neg_hi:[0,0,1]
	v_pk_fma_f32 v[158:159], v[158:159], v[162:163], v[166:167] op_sel:[0,0,1] op_sel_hi:[1,0,0]
	v_mov_b32_e32 v158, v161
	v_pk_fma_f32 v[164:165], v[160:161], v[74:75], v[164:165] op_sel_hi:[1,1,0] neg_lo:[0,0,1] neg_hi:[0,0,1]
	s_delay_alu instid0(VALU_DEP_3) | instskip(SKIP_1) | instid1(VALU_DEP_2)
	v_dual_mov_b32 v169, v159 :: v_dual_mov_b32 v159, v160
	v_mul_f32_e32 v160, v161, v162
	v_pk_add_f32 v[116:117], v[116:117], v[168:169] neg_lo:[0,1] neg_hi:[0,1]
	s_delay_alu instid0(VALU_DEP_2) | instskip(NEXT) | instid1(VALU_DEP_1)
	v_pk_fma_f32 v[158:159], v[158:159], v[74:75], v[160:161] op_sel_hi:[1,1,0]
	v_mov_b32_e32 v165, v159
	s_delay_alu instid0(VALU_DEP_1)
	v_pk_add_f32 v[120:121], v[120:121], v[164:165] neg_lo:[0,1] neg_hi:[0,1]
.LBB59_163:
	s_or_b32 exec_lo, exec_lo, s1
	s_delay_alu instid0(SALU_CYCLE_1)
	s_mov_b32 s2, exec_lo
	s_wait_dscnt 0x0
	s_barrier_signal -1
	s_barrier_wait -1
	v_cmpx_eq_u32_e32 18, v182
	s_cbranch_execz .LBB59_170
; %bb.164:
	ds_store_b64 v183, v[76:77]
	ds_store_2addr_b64 v184, v[72:73], v[98:99] offset0:19 offset1:20
	ds_store_2addr_b64 v184, v[94:95], v[96:97] offset0:21 offset1:22
	;; [unrolled: 1-line block ×5, first 2 shown]
	ds_store_b64 v184, v[120:121] offset:232
	ds_load_b64 v[158:159], v183
	s_wait_dscnt 0x0
	v_cmp_neq_f32_e32 vcc_lo, 0, v158
	v_cmp_neq_f32_e64 s1, 0, v159
	s_or_b32 s1, vcc_lo, s1
	s_delay_alu instid0(SALU_CYCLE_1)
	s_and_b32 exec_lo, exec_lo, s1
	s_cbranch_execz .LBB59_170
; %bb.165:
	v_cmp_ngt_f32_e64 s1, |v158|, |v159|
                                        ; implicit-def: $vgpr160_vgpr161
	s_and_saveexec_b32 s4, s1
	s_delay_alu instid0(SALU_CYCLE_1)
	s_xor_b32 s1, exec_lo, s4
	s_cbranch_execz .LBB59_167
; %bb.166:
	v_div_scale_f32 v160, null, v159, v159, v158
	v_div_scale_f32 v163, vcc_lo, v158, v159, v158
	s_delay_alu instid0(VALU_DEP_2) | instskip(SKIP_1) | instid1(TRANS32_DEP_1)
	v_rcp_f32_e32 v161, v160
	v_nop
	v_fma_f32 v162, -v160, v161, 1.0
	s_delay_alu instid0(VALU_DEP_1) | instskip(NEXT) | instid1(VALU_DEP_1)
	v_fmac_f32_e32 v161, v162, v161
	v_mul_f32_e32 v162, v163, v161
	s_delay_alu instid0(VALU_DEP_1) | instskip(NEXT) | instid1(VALU_DEP_1)
	v_fma_f32 v164, -v160, v162, v163
	v_fmac_f32_e32 v162, v164, v161
	s_delay_alu instid0(VALU_DEP_1) | instskip(NEXT) | instid1(VALU_DEP_1)
	v_fma_f32 v160, -v160, v162, v163
	v_div_fmas_f32 v160, v160, v161, v162
	s_delay_alu instid0(VALU_DEP_1) | instskip(NEXT) | instid1(VALU_DEP_1)
	v_div_fixup_f32 v160, v160, v159, v158
	v_fmac_f32_e32 v159, v158, v160
	s_delay_alu instid0(VALU_DEP_1) | instskip(SKIP_1) | instid1(VALU_DEP_2)
	v_div_scale_f32 v158, null, v159, v159, 1.0
	v_div_scale_f32 v163, vcc_lo, 1.0, v159, 1.0
	v_rcp_f32_e32 v161, v158
	v_nop
	s_delay_alu instid0(TRANS32_DEP_1) | instskip(NEXT) | instid1(VALU_DEP_1)
	v_fma_f32 v162, -v158, v161, 1.0
	v_fmac_f32_e32 v161, v162, v161
	s_delay_alu instid0(VALU_DEP_1) | instskip(NEXT) | instid1(VALU_DEP_1)
	v_mul_f32_e32 v162, v163, v161
	v_fma_f32 v164, -v158, v162, v163
	s_delay_alu instid0(VALU_DEP_1) | instskip(NEXT) | instid1(VALU_DEP_1)
	v_fmac_f32_e32 v162, v164, v161
	v_fma_f32 v158, -v158, v162, v163
	s_delay_alu instid0(VALU_DEP_1) | instskip(NEXT) | instid1(VALU_DEP_1)
	v_div_fmas_f32 v158, v158, v161, v162
	v_div_fixup_f32 v158, v158, v159, 1.0
	s_delay_alu instid0(VALU_DEP_1)
	v_mul_f32_e32 v160, v160, v158
	v_xor_b32_e32 v161, 0x80000000, v158
                                        ; implicit-def: $vgpr158_vgpr159
.LBB59_167:
	s_and_not1_saveexec_b32 s1, s1
	s_cbranch_execz .LBB59_169
; %bb.168:
	v_div_scale_f32 v160, null, v158, v158, v159
	v_div_scale_f32 v163, vcc_lo, v159, v158, v159
	s_delay_alu instid0(VALU_DEP_2) | instskip(SKIP_1) | instid1(TRANS32_DEP_1)
	v_rcp_f32_e32 v161, v160
	v_nop
	v_fma_f32 v162, -v160, v161, 1.0
	s_delay_alu instid0(VALU_DEP_1) | instskip(NEXT) | instid1(VALU_DEP_1)
	v_fmac_f32_e32 v161, v162, v161
	v_mul_f32_e32 v162, v163, v161
	s_delay_alu instid0(VALU_DEP_1) | instskip(NEXT) | instid1(VALU_DEP_1)
	v_fma_f32 v164, -v160, v162, v163
	v_fmac_f32_e32 v162, v164, v161
	s_delay_alu instid0(VALU_DEP_1) | instskip(NEXT) | instid1(VALU_DEP_1)
	v_fma_f32 v160, -v160, v162, v163
	v_div_fmas_f32 v160, v160, v161, v162
	s_delay_alu instid0(VALU_DEP_1) | instskip(NEXT) | instid1(VALU_DEP_1)
	v_div_fixup_f32 v161, v160, v158, v159
	v_fmac_f32_e32 v158, v159, v161
	s_delay_alu instid0(VALU_DEP_1) | instskip(NEXT) | instid1(VALU_DEP_1)
	v_div_scale_f32 v159, null, v158, v158, 1.0
	v_rcp_f32_e32 v160, v159
	v_nop
	s_delay_alu instid0(TRANS32_DEP_1) | instskip(NEXT) | instid1(VALU_DEP_1)
	v_fma_f32 v162, -v159, v160, 1.0
	v_fmac_f32_e32 v160, v162, v160
	v_div_scale_f32 v162, vcc_lo, 1.0, v158, 1.0
	s_delay_alu instid0(VALU_DEP_1) | instskip(NEXT) | instid1(VALU_DEP_1)
	v_mul_f32_e32 v163, v162, v160
	v_fma_f32 v164, -v159, v163, v162
	s_delay_alu instid0(VALU_DEP_1) | instskip(NEXT) | instid1(VALU_DEP_1)
	v_fmac_f32_e32 v163, v164, v160
	v_fma_f32 v159, -v159, v163, v162
	s_delay_alu instid0(VALU_DEP_1) | instskip(NEXT) | instid1(VALU_DEP_1)
	v_div_fmas_f32 v159, v159, v160, v163
	v_div_fixup_f32 v160, v159, v158, 1.0
	s_delay_alu instid0(VALU_DEP_1)
	v_mul_f32_e64 v161, v161, -v160
.LBB59_169:
	s_or_b32 exec_lo, exec_lo, s1
	ds_store_b64 v183, v[160:161]
.LBB59_170:
	s_or_b32 exec_lo, exec_lo, s2
	s_wait_dscnt 0x0
	s_barrier_signal -1
	s_barrier_wait -1
	ds_load_b64 v[158:159], v183
	s_mov_b32 s1, exec_lo
	v_cmpx_lt_u32_e32 18, v182
	s_cbranch_execz .LBB59_172
; %bb.171:
	s_wait_dscnt 0x0
	v_pk_mul_f32 v[160:161], v[158:159], v[76:77] op_sel:[1,1] op_sel_hi:[0,1]
	s_delay_alu instid0(VALU_DEP_1)
	v_pk_fma_f32 v[164:165], v[158:159], v[76:77], v[160:161] op_sel_hi:[1,0,1] neg_lo:[0,0,1] neg_hi:[0,0,1]
	v_pk_fma_f32 v[166:167], v[158:159], v[76:77], v[160:161] op_sel_hi:[1,0,1]
	ds_load_2addr_b64 v[160:163], v184 offset0:19 offset1:20
	v_dual_mov_b32 v76, v164 :: v_dual_mov_b32 v77, v167
	s_wait_dscnt 0x0
	v_pk_mul_f32 v[168:169], v[160:161], v[166:167] op_sel:[0,1]
	s_delay_alu instid0(VALU_DEP_1) | instskip(SKIP_1) | instid1(VALU_DEP_1)
	v_pk_fma_f32 v[170:171], v[160:161], v[164:165], v[168:169] op_sel:[0,0,1] op_sel_hi:[1,1,0] neg_lo:[0,0,1] neg_hi:[0,0,1]
	v_pk_fma_f32 v[160:161], v[160:161], v[164:165], v[168:169] op_sel:[0,0,1] op_sel_hi:[1,0,0]
	v_mov_b32_e32 v171, v161
	v_pk_mul_f32 v[160:161], v[162:163], v[166:167] op_sel:[0,1]
	s_delay_alu instid0(VALU_DEP_1) | instskip(SKIP_1) | instid1(VALU_DEP_1)
	v_pk_fma_f32 v[168:169], v[162:163], v[164:165], v[160:161] op_sel:[0,0,1] op_sel_hi:[1,1,0] neg_lo:[0,0,1] neg_hi:[0,0,1]
	v_pk_fma_f32 v[160:161], v[162:163], v[164:165], v[160:161] op_sel:[0,0,1] op_sel_hi:[1,0,0]
	v_mov_b32_e32 v169, v161
	ds_load_2addr_b64 v[160:163], v184 offset0:21 offset1:22
	v_pk_add_f32 v[72:73], v[72:73], v[170:171] neg_lo:[0,1] neg_hi:[0,1]
	v_pk_add_f32 v[98:99], v[98:99], v[168:169] neg_lo:[0,1] neg_hi:[0,1]
	s_wait_dscnt 0x0
	v_pk_mul_f32 v[168:169], v[160:161], v[166:167] op_sel:[0,1]
	s_delay_alu instid0(VALU_DEP_1) | instskip(SKIP_2) | instid1(VALU_DEP_2)
	v_pk_fma_f32 v[170:171], v[160:161], v[164:165], v[168:169] op_sel:[0,0,1] op_sel_hi:[1,1,0] neg_lo:[0,0,1] neg_hi:[0,0,1]
	v_pk_fma_f32 v[160:161], v[160:161], v[164:165], v[168:169] op_sel:[0,0,1] op_sel_hi:[1,0,0]
	v_dual_mul_f32 v168, v163, v167 :: v_dual_mov_b32 v160, v163
	v_dual_mov_b32 v171, v161 :: v_dual_mov_b32 v161, v162
	s_delay_alu instid0(VALU_DEP_2) | instskip(SKIP_1) | instid1(VALU_DEP_3)
	v_pk_fma_f32 v[168:169], v[162:163], v[76:77], v[168:169] op_sel_hi:[1,1,0] neg_lo:[0,0,1] neg_hi:[0,0,1]
	v_mul_f32_e32 v162, v163, v164
	v_pk_add_f32 v[94:95], v[94:95], v[170:171] neg_lo:[0,1] neg_hi:[0,1]
	s_delay_alu instid0(VALU_DEP_2) | instskip(NEXT) | instid1(VALU_DEP_1)
	v_pk_fma_f32 v[160:161], v[160:161], v[76:77], v[162:163] op_sel_hi:[1,1,0]
	v_mov_b32_e32 v169, v161
	ds_load_2addr_b64 v[160:163], v184 offset0:23 offset1:24
	v_pk_add_f32 v[96:97], v[96:97], v[168:169] neg_lo:[0,1] neg_hi:[0,1]
	s_wait_dscnt 0x0
	v_pk_mul_f32 v[168:169], v[160:161], v[166:167] op_sel:[0,1]
	s_delay_alu instid0(VALU_DEP_1) | instskip(SKIP_1) | instid1(VALU_DEP_1)
	v_pk_fma_f32 v[170:171], v[160:161], v[164:165], v[168:169] op_sel:[0,0,1] op_sel_hi:[1,1,0] neg_lo:[0,0,1] neg_hi:[0,0,1]
	v_pk_fma_f32 v[160:161], v[160:161], v[164:165], v[168:169] op_sel:[0,0,1] op_sel_hi:[1,0,0]
	v_mov_b32_e32 v171, v161
	v_pk_mul_f32 v[160:161], v[162:163], v[166:167] op_sel:[0,1]
	s_delay_alu instid0(VALU_DEP_1) | instskip(SKIP_1) | instid1(VALU_DEP_1)
	v_pk_fma_f32 v[168:169], v[162:163], v[164:165], v[160:161] op_sel:[0,0,1] op_sel_hi:[1,1,0] neg_lo:[0,0,1] neg_hi:[0,0,1]
	v_pk_fma_f32 v[160:161], v[162:163], v[164:165], v[160:161] op_sel:[0,0,1] op_sel_hi:[1,0,0]
	v_mov_b32_e32 v169, v161
	ds_load_2addr_b64 v[160:163], v184 offset0:25 offset1:26
	v_pk_add_f32 v[92:93], v[92:93], v[170:171] neg_lo:[0,1] neg_hi:[0,1]
	v_pk_add_f32 v[114:115], v[114:115], v[168:169] neg_lo:[0,1] neg_hi:[0,1]
	s_wait_dscnt 0x0
	v_pk_mul_f32 v[168:169], v[160:161], v[166:167] op_sel:[0,1]
	s_delay_alu instid0(VALU_DEP_1) | instskip(SKIP_1) | instid1(VALU_DEP_1)
	v_pk_fma_f32 v[170:171], v[160:161], v[164:165], v[168:169] op_sel:[0,0,1] op_sel_hi:[1,1,0] neg_lo:[0,0,1] neg_hi:[0,0,1]
	v_pk_fma_f32 v[160:161], v[160:161], v[164:165], v[168:169] op_sel:[0,0,1] op_sel_hi:[1,0,0]
	v_mov_b32_e32 v171, v161
	v_pk_mul_f32 v[160:161], v[162:163], v[166:167] op_sel:[0,1]
	s_delay_alu instid0(VALU_DEP_1) | instskip(SKIP_1) | instid1(VALU_DEP_1)
	v_pk_fma_f32 v[168:169], v[162:163], v[164:165], v[160:161] op_sel:[0,0,1] op_sel_hi:[1,1,0] neg_lo:[0,0,1] neg_hi:[0,0,1]
	v_pk_fma_f32 v[160:161], v[162:163], v[164:165], v[160:161] op_sel:[0,0,1] op_sel_hi:[1,0,0]
	v_mov_b32_e32 v169, v161
	ds_load_2addr_b64 v[160:163], v184 offset0:27 offset1:28
	v_pk_add_f32 v[110:111], v[110:111], v[170:171] neg_lo:[0,1] neg_hi:[0,1]
	v_pk_add_f32 v[112:113], v[112:113], v[168:169] neg_lo:[0,1] neg_hi:[0,1]
	s_wait_dscnt 0x0
	v_dual_mul_f32 v168, v161, v167 :: v_dual_mul_f32 v170, v161, v164
	s_delay_alu instid0(VALU_DEP_1) | instskip(NEXT) | instid1(VALU_DEP_2)
	v_pk_fma_f32 v[168:169], v[160:161], v[76:77], v[168:169] op_sel_hi:[1,1,0] neg_lo:[0,0,1] neg_hi:[0,0,1]
	v_pk_fma_f32 v[160:161], v[160:161], v[76:77], v[170:171] op_sel:[1,0,0] op_sel_hi:[0,1,0]
	s_delay_alu instid0(VALU_DEP_1) | instskip(SKIP_1) | instid1(VALU_DEP_2)
	v_mov_b32_e32 v169, v161
	v_pk_mul_f32 v[160:161], v[162:163], v[166:167] op_sel:[0,1]
	v_pk_add_f32 v[118:119], v[118:119], v[168:169] neg_lo:[0,1] neg_hi:[0,1]
	s_delay_alu instid0(VALU_DEP_2) | instskip(SKIP_1) | instid1(VALU_DEP_1)
	v_pk_fma_f32 v[168:169], v[162:163], v[164:165], v[160:161] op_sel:[0,0,1] op_sel_hi:[1,1,0] neg_lo:[0,0,1] neg_hi:[0,0,1]
	v_pk_fma_f32 v[160:161], v[162:163], v[164:165], v[160:161] op_sel:[0,0,1] op_sel_hi:[1,0,0]
	v_mov_b32_e32 v169, v161
	ds_load_b64 v[160:161], v184 offset:232
	v_pk_add_f32 v[116:117], v[116:117], v[168:169] neg_lo:[0,1] neg_hi:[0,1]
	s_wait_dscnt 0x0
	v_pk_mul_f32 v[162:163], v[160:161], v[166:167] op_sel:[0,1]
	s_delay_alu instid0(VALU_DEP_1) | instskip(SKIP_1) | instid1(VALU_DEP_1)
	v_pk_fma_f32 v[166:167], v[160:161], v[164:165], v[162:163] op_sel:[0,0,1] op_sel_hi:[1,1,0] neg_lo:[0,0,1] neg_hi:[0,0,1]
	v_pk_fma_f32 v[160:161], v[160:161], v[164:165], v[162:163] op_sel:[0,0,1] op_sel_hi:[1,0,0]
	v_mov_b32_e32 v167, v161
	s_delay_alu instid0(VALU_DEP_1)
	v_pk_add_f32 v[120:121], v[120:121], v[166:167] neg_lo:[0,1] neg_hi:[0,1]
.LBB59_172:
	s_or_b32 exec_lo, exec_lo, s1
	s_delay_alu instid0(SALU_CYCLE_1)
	s_mov_b32 s2, exec_lo
	s_wait_dscnt 0x0
	s_barrier_signal -1
	s_barrier_wait -1
	v_cmpx_eq_u32_e32 19, v182
	s_cbranch_execz .LBB59_179
; %bb.173:
	v_dual_mov_b32 v160, v98 :: v_dual_mov_b32 v161, v99
	v_dual_mov_b32 v162, v94 :: v_dual_mov_b32 v163, v95
	;; [unrolled: 1-line block ×9, first 2 shown]
	ds_store_b64 v183, v[72:73]
	ds_store_2addr_b64 v184, v[160:161], v[162:163] offset0:20 offset1:21
	ds_store_2addr_b64 v184, v[164:165], v[166:167] offset0:22 offset1:23
	;; [unrolled: 1-line block ×5, first 2 shown]
	ds_load_b64 v[160:161], v183
	s_wait_dscnt 0x0
	v_cmp_neq_f32_e32 vcc_lo, 0, v160
	v_cmp_neq_f32_e64 s1, 0, v161
	s_or_b32 s1, vcc_lo, s1
	s_delay_alu instid0(SALU_CYCLE_1)
	s_and_b32 exec_lo, exec_lo, s1
	s_cbranch_execz .LBB59_179
; %bb.174:
	v_cmp_ngt_f32_e64 s1, |v160|, |v161|
                                        ; implicit-def: $vgpr162_vgpr163
	s_and_saveexec_b32 s4, s1
	s_delay_alu instid0(SALU_CYCLE_1)
	s_xor_b32 s1, exec_lo, s4
	s_cbranch_execz .LBB59_176
; %bb.175:
	v_div_scale_f32 v162, null, v161, v161, v160
	v_div_scale_f32 v165, vcc_lo, v160, v161, v160
	s_delay_alu instid0(VALU_DEP_2) | instskip(SKIP_1) | instid1(TRANS32_DEP_1)
	v_rcp_f32_e32 v163, v162
	v_nop
	v_fma_f32 v164, -v162, v163, 1.0
	s_delay_alu instid0(VALU_DEP_1) | instskip(NEXT) | instid1(VALU_DEP_1)
	v_fmac_f32_e32 v163, v164, v163
	v_mul_f32_e32 v164, v165, v163
	s_delay_alu instid0(VALU_DEP_1) | instskip(NEXT) | instid1(VALU_DEP_1)
	v_fma_f32 v166, -v162, v164, v165
	v_fmac_f32_e32 v164, v166, v163
	s_delay_alu instid0(VALU_DEP_1) | instskip(NEXT) | instid1(VALU_DEP_1)
	v_fma_f32 v162, -v162, v164, v165
	v_div_fmas_f32 v162, v162, v163, v164
	s_delay_alu instid0(VALU_DEP_1) | instskip(NEXT) | instid1(VALU_DEP_1)
	v_div_fixup_f32 v162, v162, v161, v160
	v_fmac_f32_e32 v161, v160, v162
	s_delay_alu instid0(VALU_DEP_1) | instskip(SKIP_1) | instid1(VALU_DEP_2)
	v_div_scale_f32 v160, null, v161, v161, 1.0
	v_div_scale_f32 v165, vcc_lo, 1.0, v161, 1.0
	v_rcp_f32_e32 v163, v160
	v_nop
	s_delay_alu instid0(TRANS32_DEP_1) | instskip(NEXT) | instid1(VALU_DEP_1)
	v_fma_f32 v164, -v160, v163, 1.0
	v_fmac_f32_e32 v163, v164, v163
	s_delay_alu instid0(VALU_DEP_1) | instskip(NEXT) | instid1(VALU_DEP_1)
	v_mul_f32_e32 v164, v165, v163
	v_fma_f32 v166, -v160, v164, v165
	s_delay_alu instid0(VALU_DEP_1) | instskip(NEXT) | instid1(VALU_DEP_1)
	v_fmac_f32_e32 v164, v166, v163
	v_fma_f32 v160, -v160, v164, v165
	s_delay_alu instid0(VALU_DEP_1) | instskip(NEXT) | instid1(VALU_DEP_1)
	v_div_fmas_f32 v160, v160, v163, v164
	v_div_fixup_f32 v160, v160, v161, 1.0
	s_delay_alu instid0(VALU_DEP_1)
	v_mul_f32_e32 v162, v162, v160
	v_xor_b32_e32 v163, 0x80000000, v160
                                        ; implicit-def: $vgpr160_vgpr161
.LBB59_176:
	s_and_not1_saveexec_b32 s1, s1
	s_cbranch_execz .LBB59_178
; %bb.177:
	v_div_scale_f32 v162, null, v160, v160, v161
	v_div_scale_f32 v165, vcc_lo, v161, v160, v161
	s_delay_alu instid0(VALU_DEP_2) | instskip(SKIP_1) | instid1(TRANS32_DEP_1)
	v_rcp_f32_e32 v163, v162
	v_nop
	v_fma_f32 v164, -v162, v163, 1.0
	s_delay_alu instid0(VALU_DEP_1) | instskip(NEXT) | instid1(VALU_DEP_1)
	v_fmac_f32_e32 v163, v164, v163
	v_mul_f32_e32 v164, v165, v163
	s_delay_alu instid0(VALU_DEP_1) | instskip(NEXT) | instid1(VALU_DEP_1)
	v_fma_f32 v166, -v162, v164, v165
	v_fmac_f32_e32 v164, v166, v163
	s_delay_alu instid0(VALU_DEP_1) | instskip(NEXT) | instid1(VALU_DEP_1)
	v_fma_f32 v162, -v162, v164, v165
	v_div_fmas_f32 v162, v162, v163, v164
	s_delay_alu instid0(VALU_DEP_1) | instskip(NEXT) | instid1(VALU_DEP_1)
	v_div_fixup_f32 v163, v162, v160, v161
	v_fmac_f32_e32 v160, v161, v163
	s_delay_alu instid0(VALU_DEP_1) | instskip(NEXT) | instid1(VALU_DEP_1)
	v_div_scale_f32 v161, null, v160, v160, 1.0
	v_rcp_f32_e32 v162, v161
	v_nop
	s_delay_alu instid0(TRANS32_DEP_1) | instskip(NEXT) | instid1(VALU_DEP_1)
	v_fma_f32 v164, -v161, v162, 1.0
	v_fmac_f32_e32 v162, v164, v162
	v_div_scale_f32 v164, vcc_lo, 1.0, v160, 1.0
	s_delay_alu instid0(VALU_DEP_1) | instskip(NEXT) | instid1(VALU_DEP_1)
	v_mul_f32_e32 v165, v164, v162
	v_fma_f32 v166, -v161, v165, v164
	s_delay_alu instid0(VALU_DEP_1) | instskip(NEXT) | instid1(VALU_DEP_1)
	v_fmac_f32_e32 v165, v166, v162
	v_fma_f32 v161, -v161, v165, v164
	s_delay_alu instid0(VALU_DEP_1) | instskip(NEXT) | instid1(VALU_DEP_1)
	v_div_fmas_f32 v161, v161, v162, v165
	v_div_fixup_f32 v162, v161, v160, 1.0
	s_delay_alu instid0(VALU_DEP_1)
	v_mul_f32_e64 v163, v163, -v162
.LBB59_178:
	s_or_b32 exec_lo, exec_lo, s1
	ds_store_b64 v183, v[162:163]
.LBB59_179:
	s_or_b32 exec_lo, exec_lo, s2
	s_wait_dscnt 0x0
	s_barrier_signal -1
	s_barrier_wait -1
	ds_load_b64 v[160:161], v183
	s_mov_b32 s1, exec_lo
	v_cmpx_lt_u32_e32 19, v182
	s_cbranch_execz .LBB59_181
; %bb.180:
	s_wait_dscnt 0x0
	v_pk_mul_f32 v[162:163], v[160:161], v[72:73] op_sel:[1,1] op_sel_hi:[0,1]
	s_delay_alu instid0(VALU_DEP_1)
	v_pk_fma_f32 v[166:167], v[160:161], v[72:73], v[162:163] op_sel_hi:[1,0,1] neg_lo:[0,0,1] neg_hi:[0,0,1]
	v_pk_fma_f32 v[168:169], v[160:161], v[72:73], v[162:163] op_sel_hi:[1,0,1]
	ds_load_2addr_b64 v[162:165], v184 offset0:20 offset1:21
	v_dual_mov_b32 v72, v166 :: v_dual_mov_b32 v73, v169
	s_wait_dscnt 0x0
	v_pk_mul_f32 v[170:171], v[162:163], v[168:169] op_sel:[0,1]
	s_delay_alu instid0(VALU_DEP_1) | instskip(SKIP_1) | instid1(VALU_DEP_1)
	v_pk_fma_f32 v[172:173], v[162:163], v[166:167], v[170:171] op_sel:[0,0,1] op_sel_hi:[1,1,0] neg_lo:[0,0,1] neg_hi:[0,0,1]
	v_pk_fma_f32 v[162:163], v[162:163], v[166:167], v[170:171] op_sel:[0,0,1] op_sel_hi:[1,0,0]
	v_mov_b32_e32 v173, v163
	v_pk_mul_f32 v[162:163], v[164:165], v[168:169] op_sel:[0,1]
	s_delay_alu instid0(VALU_DEP_1) | instskip(SKIP_1) | instid1(VALU_DEP_1)
	v_pk_fma_f32 v[170:171], v[164:165], v[166:167], v[162:163] op_sel:[0,0,1] op_sel_hi:[1,1,0] neg_lo:[0,0,1] neg_hi:[0,0,1]
	v_pk_fma_f32 v[162:163], v[164:165], v[166:167], v[162:163] op_sel:[0,0,1] op_sel_hi:[1,0,0]
	v_mov_b32_e32 v171, v163
	ds_load_2addr_b64 v[162:165], v184 offset0:22 offset1:23
	v_pk_add_f32 v[98:99], v[98:99], v[172:173] neg_lo:[0,1] neg_hi:[0,1]
	v_pk_add_f32 v[94:95], v[94:95], v[170:171] neg_lo:[0,1] neg_hi:[0,1]
	s_wait_dscnt 0x0
	v_pk_mul_f32 v[170:171], v[162:163], v[168:169] op_sel:[0,1]
	s_delay_alu instid0(VALU_DEP_1) | instskip(SKIP_2) | instid1(VALU_DEP_2)
	v_pk_fma_f32 v[172:173], v[162:163], v[166:167], v[170:171] op_sel:[0,0,1] op_sel_hi:[1,1,0] neg_lo:[0,0,1] neg_hi:[0,0,1]
	v_pk_fma_f32 v[162:163], v[162:163], v[166:167], v[170:171] op_sel:[0,0,1] op_sel_hi:[1,0,0]
	v_dual_mul_f32 v170, v165, v169 :: v_dual_mov_b32 v162, v165
	v_dual_mov_b32 v173, v163 :: v_dual_mov_b32 v163, v164
	s_delay_alu instid0(VALU_DEP_2) | instskip(SKIP_1) | instid1(VALU_DEP_3)
	v_pk_fma_f32 v[170:171], v[164:165], v[72:73], v[170:171] op_sel_hi:[1,1,0] neg_lo:[0,0,1] neg_hi:[0,0,1]
	v_mul_f32_e32 v164, v165, v166
	v_pk_add_f32 v[96:97], v[96:97], v[172:173] neg_lo:[0,1] neg_hi:[0,1]
	s_delay_alu instid0(VALU_DEP_2) | instskip(NEXT) | instid1(VALU_DEP_1)
	v_pk_fma_f32 v[162:163], v[162:163], v[72:73], v[164:165] op_sel_hi:[1,1,0]
	v_mov_b32_e32 v171, v163
	ds_load_2addr_b64 v[162:165], v184 offset0:24 offset1:25
	v_pk_add_f32 v[92:93], v[92:93], v[170:171] neg_lo:[0,1] neg_hi:[0,1]
	s_wait_dscnt 0x0
	v_pk_mul_f32 v[170:171], v[162:163], v[168:169] op_sel:[0,1]
	s_delay_alu instid0(VALU_DEP_1) | instskip(SKIP_1) | instid1(VALU_DEP_1)
	v_pk_fma_f32 v[172:173], v[162:163], v[166:167], v[170:171] op_sel:[0,0,1] op_sel_hi:[1,1,0] neg_lo:[0,0,1] neg_hi:[0,0,1]
	v_pk_fma_f32 v[162:163], v[162:163], v[166:167], v[170:171] op_sel:[0,0,1] op_sel_hi:[1,0,0]
	v_mov_b32_e32 v173, v163
	v_pk_mul_f32 v[162:163], v[164:165], v[168:169] op_sel:[0,1]
	s_delay_alu instid0(VALU_DEP_1) | instskip(SKIP_1) | instid1(VALU_DEP_1)
	v_pk_fma_f32 v[170:171], v[164:165], v[166:167], v[162:163] op_sel:[0,0,1] op_sel_hi:[1,1,0] neg_lo:[0,0,1] neg_hi:[0,0,1]
	v_pk_fma_f32 v[162:163], v[164:165], v[166:167], v[162:163] op_sel:[0,0,1] op_sel_hi:[1,0,0]
	v_mov_b32_e32 v171, v163
	ds_load_2addr_b64 v[162:165], v184 offset0:26 offset1:27
	v_pk_add_f32 v[114:115], v[114:115], v[172:173] neg_lo:[0,1] neg_hi:[0,1]
	v_pk_add_f32 v[110:111], v[110:111], v[170:171] neg_lo:[0,1] neg_hi:[0,1]
	s_wait_dscnt 0x0
	v_pk_mul_f32 v[170:171], v[162:163], v[168:169] op_sel:[0,1]
	s_delay_alu instid0(VALU_DEP_1) | instskip(SKIP_1) | instid1(VALU_DEP_1)
	v_pk_fma_f32 v[172:173], v[162:163], v[166:167], v[170:171] op_sel:[0,0,1] op_sel_hi:[1,1,0] neg_lo:[0,0,1] neg_hi:[0,0,1]
	v_pk_fma_f32 v[162:163], v[162:163], v[166:167], v[170:171] op_sel:[0,0,1] op_sel_hi:[1,0,0]
	v_mov_b32_e32 v173, v163
	v_pk_mul_f32 v[162:163], v[164:165], v[168:169] op_sel:[0,1]
	s_delay_alu instid0(VALU_DEP_1) | instskip(SKIP_1) | instid1(VALU_DEP_1)
	v_pk_fma_f32 v[170:171], v[164:165], v[166:167], v[162:163] op_sel:[0,0,1] op_sel_hi:[1,1,0] neg_lo:[0,0,1] neg_hi:[0,0,1]
	v_pk_fma_f32 v[162:163], v[164:165], v[166:167], v[162:163] op_sel:[0,0,1] op_sel_hi:[1,0,0]
	v_mov_b32_e32 v171, v163
	ds_load_2addr_b64 v[162:165], v184 offset0:28 offset1:29
	v_pk_add_f32 v[112:113], v[112:113], v[172:173] neg_lo:[0,1] neg_hi:[0,1]
	v_pk_add_f32 v[118:119], v[118:119], v[170:171] neg_lo:[0,1] neg_hi:[0,1]
	s_wait_dscnt 0x0
	v_dual_mul_f32 v170, v163, v169 :: v_dual_mul_f32 v172, v163, v166
	s_delay_alu instid0(VALU_DEP_1) | instskip(NEXT) | instid1(VALU_DEP_2)
	v_pk_fma_f32 v[170:171], v[162:163], v[72:73], v[170:171] op_sel_hi:[1,1,0] neg_lo:[0,0,1] neg_hi:[0,0,1]
	v_pk_fma_f32 v[162:163], v[162:163], v[72:73], v[172:173] op_sel:[1,0,0] op_sel_hi:[0,1,0]
	s_delay_alu instid0(VALU_DEP_1) | instskip(SKIP_1) | instid1(VALU_DEP_1)
	v_mov_b32_e32 v171, v163
	v_pk_mul_f32 v[162:163], v[164:165], v[168:169] op_sel:[0,1]
	v_pk_fma_f32 v[168:169], v[164:165], v[166:167], v[162:163] op_sel:[0,0,1] op_sel_hi:[1,1,0] neg_lo:[0,0,1] neg_hi:[0,0,1]
	v_pk_fma_f32 v[162:163], v[164:165], v[166:167], v[162:163] op_sel:[0,0,1] op_sel_hi:[1,0,0]
	s_delay_alu instid0(VALU_DEP_1) | instskip(SKIP_1) | instid1(VALU_DEP_2)
	v_mov_b32_e32 v169, v163
	v_pk_add_f32 v[116:117], v[116:117], v[170:171] neg_lo:[0,1] neg_hi:[0,1]
	v_pk_add_f32 v[120:121], v[120:121], v[168:169] neg_lo:[0,1] neg_hi:[0,1]
.LBB59_181:
	s_or_b32 exec_lo, exec_lo, s1
	s_delay_alu instid0(SALU_CYCLE_1)
	s_mov_b32 s2, exec_lo
	s_wait_dscnt 0x0
	s_barrier_signal -1
	s_barrier_wait -1
	v_cmpx_eq_u32_e32 20, v182
	s_cbranch_execz .LBB59_188
; %bb.182:
	ds_store_b64 v183, v[98:99]
	ds_store_2addr_b64 v184, v[94:95], v[96:97] offset0:21 offset1:22
	ds_store_2addr_b64 v184, v[92:93], v[114:115] offset0:23 offset1:24
	;; [unrolled: 1-line block ×4, first 2 shown]
	ds_store_b64 v184, v[120:121] offset:232
	ds_load_b64 v[162:163], v183
	s_wait_dscnt 0x0
	v_cmp_neq_f32_e32 vcc_lo, 0, v162
	v_cmp_neq_f32_e64 s1, 0, v163
	s_or_b32 s1, vcc_lo, s1
	s_delay_alu instid0(SALU_CYCLE_1)
	s_and_b32 exec_lo, exec_lo, s1
	s_cbranch_execz .LBB59_188
; %bb.183:
	v_cmp_ngt_f32_e64 s1, |v162|, |v163|
                                        ; implicit-def: $vgpr164_vgpr165
	s_and_saveexec_b32 s4, s1
	s_delay_alu instid0(SALU_CYCLE_1)
	s_xor_b32 s1, exec_lo, s4
	s_cbranch_execz .LBB59_185
; %bb.184:
	v_div_scale_f32 v164, null, v163, v163, v162
	v_div_scale_f32 v167, vcc_lo, v162, v163, v162
	s_delay_alu instid0(VALU_DEP_2) | instskip(SKIP_1) | instid1(TRANS32_DEP_1)
	v_rcp_f32_e32 v165, v164
	v_nop
	v_fma_f32 v166, -v164, v165, 1.0
	s_delay_alu instid0(VALU_DEP_1) | instskip(NEXT) | instid1(VALU_DEP_1)
	v_fmac_f32_e32 v165, v166, v165
	v_mul_f32_e32 v166, v167, v165
	s_delay_alu instid0(VALU_DEP_1) | instskip(NEXT) | instid1(VALU_DEP_1)
	v_fma_f32 v168, -v164, v166, v167
	v_fmac_f32_e32 v166, v168, v165
	s_delay_alu instid0(VALU_DEP_1) | instskip(NEXT) | instid1(VALU_DEP_1)
	v_fma_f32 v164, -v164, v166, v167
	v_div_fmas_f32 v164, v164, v165, v166
	s_delay_alu instid0(VALU_DEP_1) | instskip(NEXT) | instid1(VALU_DEP_1)
	v_div_fixup_f32 v164, v164, v163, v162
	v_fmac_f32_e32 v163, v162, v164
	s_delay_alu instid0(VALU_DEP_1) | instskip(SKIP_1) | instid1(VALU_DEP_2)
	v_div_scale_f32 v162, null, v163, v163, 1.0
	v_div_scale_f32 v167, vcc_lo, 1.0, v163, 1.0
	v_rcp_f32_e32 v165, v162
	v_nop
	s_delay_alu instid0(TRANS32_DEP_1) | instskip(NEXT) | instid1(VALU_DEP_1)
	v_fma_f32 v166, -v162, v165, 1.0
	v_fmac_f32_e32 v165, v166, v165
	s_delay_alu instid0(VALU_DEP_1) | instskip(NEXT) | instid1(VALU_DEP_1)
	v_mul_f32_e32 v166, v167, v165
	v_fma_f32 v168, -v162, v166, v167
	s_delay_alu instid0(VALU_DEP_1) | instskip(NEXT) | instid1(VALU_DEP_1)
	v_fmac_f32_e32 v166, v168, v165
	v_fma_f32 v162, -v162, v166, v167
	s_delay_alu instid0(VALU_DEP_1) | instskip(NEXT) | instid1(VALU_DEP_1)
	v_div_fmas_f32 v162, v162, v165, v166
	v_div_fixup_f32 v162, v162, v163, 1.0
	s_delay_alu instid0(VALU_DEP_1)
	v_mul_f32_e32 v164, v164, v162
	v_xor_b32_e32 v165, 0x80000000, v162
                                        ; implicit-def: $vgpr162_vgpr163
.LBB59_185:
	s_and_not1_saveexec_b32 s1, s1
	s_cbranch_execz .LBB59_187
; %bb.186:
	v_div_scale_f32 v164, null, v162, v162, v163
	v_div_scale_f32 v167, vcc_lo, v163, v162, v163
	s_delay_alu instid0(VALU_DEP_2) | instskip(SKIP_1) | instid1(TRANS32_DEP_1)
	v_rcp_f32_e32 v165, v164
	v_nop
	v_fma_f32 v166, -v164, v165, 1.0
	s_delay_alu instid0(VALU_DEP_1) | instskip(NEXT) | instid1(VALU_DEP_1)
	v_fmac_f32_e32 v165, v166, v165
	v_mul_f32_e32 v166, v167, v165
	s_delay_alu instid0(VALU_DEP_1) | instskip(NEXT) | instid1(VALU_DEP_1)
	v_fma_f32 v168, -v164, v166, v167
	v_fmac_f32_e32 v166, v168, v165
	s_delay_alu instid0(VALU_DEP_1) | instskip(NEXT) | instid1(VALU_DEP_1)
	v_fma_f32 v164, -v164, v166, v167
	v_div_fmas_f32 v164, v164, v165, v166
	s_delay_alu instid0(VALU_DEP_1) | instskip(NEXT) | instid1(VALU_DEP_1)
	v_div_fixup_f32 v165, v164, v162, v163
	v_fmac_f32_e32 v162, v163, v165
	s_delay_alu instid0(VALU_DEP_1) | instskip(NEXT) | instid1(VALU_DEP_1)
	v_div_scale_f32 v163, null, v162, v162, 1.0
	v_rcp_f32_e32 v164, v163
	v_nop
	s_delay_alu instid0(TRANS32_DEP_1) | instskip(NEXT) | instid1(VALU_DEP_1)
	v_fma_f32 v166, -v163, v164, 1.0
	v_fmac_f32_e32 v164, v166, v164
	v_div_scale_f32 v166, vcc_lo, 1.0, v162, 1.0
	s_delay_alu instid0(VALU_DEP_1) | instskip(NEXT) | instid1(VALU_DEP_1)
	v_mul_f32_e32 v167, v166, v164
	v_fma_f32 v168, -v163, v167, v166
	s_delay_alu instid0(VALU_DEP_1) | instskip(NEXT) | instid1(VALU_DEP_1)
	v_fmac_f32_e32 v167, v168, v164
	v_fma_f32 v163, -v163, v167, v166
	s_delay_alu instid0(VALU_DEP_1) | instskip(NEXT) | instid1(VALU_DEP_1)
	v_div_fmas_f32 v163, v163, v164, v167
	v_div_fixup_f32 v164, v163, v162, 1.0
	s_delay_alu instid0(VALU_DEP_1)
	v_mul_f32_e64 v165, v165, -v164
.LBB59_187:
	s_or_b32 exec_lo, exec_lo, s1
	ds_store_b64 v183, v[164:165]
.LBB59_188:
	s_or_b32 exec_lo, exec_lo, s2
	s_wait_dscnt 0x0
	s_barrier_signal -1
	s_barrier_wait -1
	ds_load_b64 v[162:163], v183
	s_mov_b32 s1, exec_lo
	v_cmpx_lt_u32_e32 20, v182
	s_cbranch_execz .LBB59_190
; %bb.189:
	s_wait_dscnt 0x0
	v_pk_mul_f32 v[164:165], v[162:163], v[98:99] op_sel:[1,1] op_sel_hi:[0,1]
	s_delay_alu instid0(VALU_DEP_1)
	v_pk_fma_f32 v[168:169], v[162:163], v[98:99], v[164:165] op_sel_hi:[1,0,1] neg_lo:[0,0,1] neg_hi:[0,0,1]
	v_pk_fma_f32 v[170:171], v[162:163], v[98:99], v[164:165] op_sel_hi:[1,0,1]
	ds_load_2addr_b64 v[164:167], v184 offset0:21 offset1:22
	v_dual_mov_b32 v98, v168 :: v_dual_mov_b32 v99, v171
	s_wait_dscnt 0x0
	v_pk_mul_f32 v[172:173], v[164:165], v[170:171] op_sel:[0,1]
	s_delay_alu instid0(VALU_DEP_1) | instskip(SKIP_1) | instid1(VALU_DEP_1)
	v_pk_fma_f32 v[174:175], v[164:165], v[168:169], v[172:173] op_sel:[0,0,1] op_sel_hi:[1,1,0] neg_lo:[0,0,1] neg_hi:[0,0,1]
	v_pk_fma_f32 v[164:165], v[164:165], v[168:169], v[172:173] op_sel:[0,0,1] op_sel_hi:[1,0,0]
	v_mov_b32_e32 v175, v165
	v_pk_mul_f32 v[164:165], v[166:167], v[170:171] op_sel:[0,1]
	s_delay_alu instid0(VALU_DEP_1) | instskip(SKIP_1) | instid1(VALU_DEP_1)
	v_pk_fma_f32 v[172:173], v[166:167], v[168:169], v[164:165] op_sel:[0,0,1] op_sel_hi:[1,1,0] neg_lo:[0,0,1] neg_hi:[0,0,1]
	v_pk_fma_f32 v[164:165], v[166:167], v[168:169], v[164:165] op_sel:[0,0,1] op_sel_hi:[1,0,0]
	v_mov_b32_e32 v173, v165
	ds_load_2addr_b64 v[164:167], v184 offset0:23 offset1:24
	v_pk_add_f32 v[94:95], v[94:95], v[174:175] neg_lo:[0,1] neg_hi:[0,1]
	v_pk_add_f32 v[96:97], v[96:97], v[172:173] neg_lo:[0,1] neg_hi:[0,1]
	s_wait_dscnt 0x0
	v_pk_mul_f32 v[172:173], v[164:165], v[170:171] op_sel:[0,1]
	s_delay_alu instid0(VALU_DEP_1) | instskip(SKIP_2) | instid1(VALU_DEP_2)
	v_pk_fma_f32 v[174:175], v[164:165], v[168:169], v[172:173] op_sel:[0,0,1] op_sel_hi:[1,1,0] neg_lo:[0,0,1] neg_hi:[0,0,1]
	v_pk_fma_f32 v[164:165], v[164:165], v[168:169], v[172:173] op_sel:[0,0,1] op_sel_hi:[1,0,0]
	v_dual_mul_f32 v172, v167, v171 :: v_dual_mov_b32 v164, v167
	v_dual_mov_b32 v175, v165 :: v_dual_mov_b32 v165, v166
	s_delay_alu instid0(VALU_DEP_2) | instskip(SKIP_1) | instid1(VALU_DEP_3)
	v_pk_fma_f32 v[172:173], v[166:167], v[98:99], v[172:173] op_sel_hi:[1,1,0] neg_lo:[0,0,1] neg_hi:[0,0,1]
	v_mul_f32_e32 v166, v167, v168
	v_pk_add_f32 v[92:93], v[92:93], v[174:175] neg_lo:[0,1] neg_hi:[0,1]
	s_delay_alu instid0(VALU_DEP_2) | instskip(NEXT) | instid1(VALU_DEP_1)
	v_pk_fma_f32 v[164:165], v[164:165], v[98:99], v[166:167] op_sel_hi:[1,1,0]
	v_mov_b32_e32 v173, v165
	ds_load_2addr_b64 v[164:167], v184 offset0:25 offset1:26
	v_pk_add_f32 v[114:115], v[114:115], v[172:173] neg_lo:[0,1] neg_hi:[0,1]
	s_wait_dscnt 0x0
	v_pk_mul_f32 v[172:173], v[164:165], v[170:171] op_sel:[0,1]
	s_delay_alu instid0(VALU_DEP_1) | instskip(SKIP_1) | instid1(VALU_DEP_1)
	v_pk_fma_f32 v[174:175], v[164:165], v[168:169], v[172:173] op_sel:[0,0,1] op_sel_hi:[1,1,0] neg_lo:[0,0,1] neg_hi:[0,0,1]
	v_pk_fma_f32 v[164:165], v[164:165], v[168:169], v[172:173] op_sel:[0,0,1] op_sel_hi:[1,0,0]
	v_mov_b32_e32 v175, v165
	v_pk_mul_f32 v[164:165], v[166:167], v[170:171] op_sel:[0,1]
	s_delay_alu instid0(VALU_DEP_1) | instskip(SKIP_1) | instid1(VALU_DEP_1)
	v_pk_fma_f32 v[172:173], v[166:167], v[168:169], v[164:165] op_sel:[0,0,1] op_sel_hi:[1,1,0] neg_lo:[0,0,1] neg_hi:[0,0,1]
	v_pk_fma_f32 v[164:165], v[166:167], v[168:169], v[164:165] op_sel:[0,0,1] op_sel_hi:[1,0,0]
	v_mov_b32_e32 v173, v165
	ds_load_2addr_b64 v[164:167], v184 offset0:27 offset1:28
	v_pk_add_f32 v[110:111], v[110:111], v[174:175] neg_lo:[0,1] neg_hi:[0,1]
	v_pk_add_f32 v[112:113], v[112:113], v[172:173] neg_lo:[0,1] neg_hi:[0,1]
	s_wait_dscnt 0x0
	v_pk_mul_f32 v[172:173], v[164:165], v[170:171] op_sel:[0,1]
	s_delay_alu instid0(VALU_DEP_1) | instskip(SKIP_1) | instid1(VALU_DEP_1)
	v_pk_fma_f32 v[174:175], v[164:165], v[168:169], v[172:173] op_sel:[0,0,1] op_sel_hi:[1,1,0] neg_lo:[0,0,1] neg_hi:[0,0,1]
	v_pk_fma_f32 v[164:165], v[164:165], v[168:169], v[172:173] op_sel:[0,0,1] op_sel_hi:[1,0,0]
	v_mov_b32_e32 v175, v165
	v_pk_mul_f32 v[164:165], v[166:167], v[170:171] op_sel:[0,1]
	s_delay_alu instid0(VALU_DEP_1) | instskip(SKIP_1) | instid1(VALU_DEP_1)
	v_pk_fma_f32 v[172:173], v[166:167], v[168:169], v[164:165] op_sel:[0,0,1] op_sel_hi:[1,1,0] neg_lo:[0,0,1] neg_hi:[0,0,1]
	v_pk_fma_f32 v[164:165], v[166:167], v[168:169], v[164:165] op_sel:[0,0,1] op_sel_hi:[1,0,0]
	v_mov_b32_e32 v173, v165
	ds_load_b64 v[164:165], v184 offset:232
	v_pk_add_f32 v[118:119], v[118:119], v[174:175] neg_lo:[0,1] neg_hi:[0,1]
	v_pk_add_f32 v[116:117], v[116:117], v[172:173] neg_lo:[0,1] neg_hi:[0,1]
	s_wait_dscnt 0x0
	v_pk_mul_f32 v[166:167], v[164:165], v[170:171] op_sel:[0,1]
	s_delay_alu instid0(VALU_DEP_1) | instskip(SKIP_1) | instid1(VALU_DEP_1)
	v_pk_fma_f32 v[170:171], v[164:165], v[168:169], v[166:167] op_sel:[0,0,1] op_sel_hi:[1,1,0] neg_lo:[0,0,1] neg_hi:[0,0,1]
	v_pk_fma_f32 v[164:165], v[164:165], v[168:169], v[166:167] op_sel:[0,0,1] op_sel_hi:[1,0,0]
	v_mov_b32_e32 v171, v165
	s_delay_alu instid0(VALU_DEP_1)
	v_pk_add_f32 v[120:121], v[120:121], v[170:171] neg_lo:[0,1] neg_hi:[0,1]
.LBB59_190:
	s_or_b32 exec_lo, exec_lo, s1
	s_delay_alu instid0(SALU_CYCLE_1)
	s_mov_b32 s2, exec_lo
	s_wait_dscnt 0x0
	s_barrier_signal -1
	s_barrier_wait -1
	v_cmpx_eq_u32_e32 21, v182
	s_cbranch_execz .LBB59_197
; %bb.191:
	v_dual_mov_b32 v164, v96 :: v_dual_mov_b32 v165, v97
	v_dual_mov_b32 v166, v92 :: v_dual_mov_b32 v167, v93
	;; [unrolled: 1-line block ×7, first 2 shown]
	ds_store_b64 v183, v[94:95]
	ds_store_2addr_b64 v184, v[164:165], v[166:167] offset0:22 offset1:23
	ds_store_2addr_b64 v184, v[168:169], v[170:171] offset0:24 offset1:25
	;; [unrolled: 1-line block ×4, first 2 shown]
	ds_load_b64 v[164:165], v183
	s_wait_dscnt 0x0
	v_cmp_neq_f32_e32 vcc_lo, 0, v164
	v_cmp_neq_f32_e64 s1, 0, v165
	s_or_b32 s1, vcc_lo, s1
	s_delay_alu instid0(SALU_CYCLE_1)
	s_and_b32 exec_lo, exec_lo, s1
	s_cbranch_execz .LBB59_197
; %bb.192:
	v_cmp_ngt_f32_e64 s1, |v164|, |v165|
                                        ; implicit-def: $vgpr166_vgpr167
	s_and_saveexec_b32 s4, s1
	s_delay_alu instid0(SALU_CYCLE_1)
	s_xor_b32 s1, exec_lo, s4
	s_cbranch_execz .LBB59_194
; %bb.193:
	v_div_scale_f32 v166, null, v165, v165, v164
	v_div_scale_f32 v169, vcc_lo, v164, v165, v164
	s_delay_alu instid0(VALU_DEP_2) | instskip(SKIP_1) | instid1(TRANS32_DEP_1)
	v_rcp_f32_e32 v167, v166
	v_nop
	v_fma_f32 v168, -v166, v167, 1.0
	s_delay_alu instid0(VALU_DEP_1) | instskip(NEXT) | instid1(VALU_DEP_1)
	v_fmac_f32_e32 v167, v168, v167
	v_mul_f32_e32 v168, v169, v167
	s_delay_alu instid0(VALU_DEP_1) | instskip(NEXT) | instid1(VALU_DEP_1)
	v_fma_f32 v170, -v166, v168, v169
	v_fmac_f32_e32 v168, v170, v167
	s_delay_alu instid0(VALU_DEP_1) | instskip(NEXT) | instid1(VALU_DEP_1)
	v_fma_f32 v166, -v166, v168, v169
	v_div_fmas_f32 v166, v166, v167, v168
	s_delay_alu instid0(VALU_DEP_1) | instskip(NEXT) | instid1(VALU_DEP_1)
	v_div_fixup_f32 v166, v166, v165, v164
	v_fmac_f32_e32 v165, v164, v166
	s_delay_alu instid0(VALU_DEP_1) | instskip(SKIP_1) | instid1(VALU_DEP_2)
	v_div_scale_f32 v164, null, v165, v165, 1.0
	v_div_scale_f32 v169, vcc_lo, 1.0, v165, 1.0
	v_rcp_f32_e32 v167, v164
	v_nop
	s_delay_alu instid0(TRANS32_DEP_1) | instskip(NEXT) | instid1(VALU_DEP_1)
	v_fma_f32 v168, -v164, v167, 1.0
	v_fmac_f32_e32 v167, v168, v167
	s_delay_alu instid0(VALU_DEP_1) | instskip(NEXT) | instid1(VALU_DEP_1)
	v_mul_f32_e32 v168, v169, v167
	v_fma_f32 v170, -v164, v168, v169
	s_delay_alu instid0(VALU_DEP_1) | instskip(NEXT) | instid1(VALU_DEP_1)
	v_fmac_f32_e32 v168, v170, v167
	v_fma_f32 v164, -v164, v168, v169
	s_delay_alu instid0(VALU_DEP_1) | instskip(NEXT) | instid1(VALU_DEP_1)
	v_div_fmas_f32 v164, v164, v167, v168
	v_div_fixup_f32 v164, v164, v165, 1.0
	s_delay_alu instid0(VALU_DEP_1)
	v_mul_f32_e32 v166, v166, v164
	v_xor_b32_e32 v167, 0x80000000, v164
                                        ; implicit-def: $vgpr164_vgpr165
.LBB59_194:
	s_and_not1_saveexec_b32 s1, s1
	s_cbranch_execz .LBB59_196
; %bb.195:
	v_div_scale_f32 v166, null, v164, v164, v165
	v_div_scale_f32 v169, vcc_lo, v165, v164, v165
	s_delay_alu instid0(VALU_DEP_2) | instskip(SKIP_1) | instid1(TRANS32_DEP_1)
	v_rcp_f32_e32 v167, v166
	v_nop
	v_fma_f32 v168, -v166, v167, 1.0
	s_delay_alu instid0(VALU_DEP_1) | instskip(NEXT) | instid1(VALU_DEP_1)
	v_fmac_f32_e32 v167, v168, v167
	v_mul_f32_e32 v168, v169, v167
	s_delay_alu instid0(VALU_DEP_1) | instskip(NEXT) | instid1(VALU_DEP_1)
	v_fma_f32 v170, -v166, v168, v169
	v_fmac_f32_e32 v168, v170, v167
	s_delay_alu instid0(VALU_DEP_1) | instskip(NEXT) | instid1(VALU_DEP_1)
	v_fma_f32 v166, -v166, v168, v169
	v_div_fmas_f32 v166, v166, v167, v168
	s_delay_alu instid0(VALU_DEP_1) | instskip(NEXT) | instid1(VALU_DEP_1)
	v_div_fixup_f32 v167, v166, v164, v165
	v_fmac_f32_e32 v164, v165, v167
	s_delay_alu instid0(VALU_DEP_1) | instskip(NEXT) | instid1(VALU_DEP_1)
	v_div_scale_f32 v165, null, v164, v164, 1.0
	v_rcp_f32_e32 v166, v165
	v_nop
	s_delay_alu instid0(TRANS32_DEP_1) | instskip(NEXT) | instid1(VALU_DEP_1)
	v_fma_f32 v168, -v165, v166, 1.0
	v_fmac_f32_e32 v166, v168, v166
	v_div_scale_f32 v168, vcc_lo, 1.0, v164, 1.0
	s_delay_alu instid0(VALU_DEP_1) | instskip(NEXT) | instid1(VALU_DEP_1)
	v_mul_f32_e32 v169, v168, v166
	v_fma_f32 v170, -v165, v169, v168
	s_delay_alu instid0(VALU_DEP_1) | instskip(NEXT) | instid1(VALU_DEP_1)
	v_fmac_f32_e32 v169, v170, v166
	v_fma_f32 v165, -v165, v169, v168
	s_delay_alu instid0(VALU_DEP_1) | instskip(NEXT) | instid1(VALU_DEP_1)
	v_div_fmas_f32 v165, v165, v166, v169
	v_div_fixup_f32 v166, v165, v164, 1.0
	s_delay_alu instid0(VALU_DEP_1)
	v_mul_f32_e64 v167, v167, -v166
.LBB59_196:
	s_or_b32 exec_lo, exec_lo, s1
	ds_store_b64 v183, v[166:167]
.LBB59_197:
	s_or_b32 exec_lo, exec_lo, s2
	s_wait_dscnt 0x0
	s_barrier_signal -1
	s_barrier_wait -1
	ds_load_b64 v[164:165], v183
	s_mov_b32 s1, exec_lo
	v_cmpx_lt_u32_e32 21, v182
	s_cbranch_execz .LBB59_199
; %bb.198:
	s_wait_dscnt 0x0
	v_pk_mul_f32 v[166:167], v[164:165], v[94:95] op_sel:[1,1] op_sel_hi:[0,1]
	s_delay_alu instid0(VALU_DEP_1)
	v_pk_fma_f32 v[170:171], v[164:165], v[94:95], v[166:167] op_sel_hi:[1,0,1] neg_lo:[0,0,1] neg_hi:[0,0,1]
	v_pk_fma_f32 v[172:173], v[164:165], v[94:95], v[166:167] op_sel_hi:[1,0,1]
	ds_load_2addr_b64 v[166:169], v184 offset0:22 offset1:23
	v_dual_mov_b32 v94, v170 :: v_dual_mov_b32 v95, v173
	s_wait_dscnt 0x0
	v_pk_mul_f32 v[174:175], v[166:167], v[172:173] op_sel:[0,1]
	s_delay_alu instid0(VALU_DEP_1) | instskip(SKIP_1) | instid1(VALU_DEP_1)
	v_pk_fma_f32 v[176:177], v[166:167], v[170:171], v[174:175] op_sel:[0,0,1] op_sel_hi:[1,1,0] neg_lo:[0,0,1] neg_hi:[0,0,1]
	v_pk_fma_f32 v[166:167], v[166:167], v[170:171], v[174:175] op_sel:[0,0,1] op_sel_hi:[1,0,0]
	v_mov_b32_e32 v177, v167
	v_pk_mul_f32 v[166:167], v[168:169], v[172:173] op_sel:[0,1]
	s_delay_alu instid0(VALU_DEP_1) | instskip(SKIP_1) | instid1(VALU_DEP_1)
	v_pk_fma_f32 v[174:175], v[168:169], v[170:171], v[166:167] op_sel:[0,0,1] op_sel_hi:[1,1,0] neg_lo:[0,0,1] neg_hi:[0,0,1]
	v_pk_fma_f32 v[166:167], v[168:169], v[170:171], v[166:167] op_sel:[0,0,1] op_sel_hi:[1,0,0]
	v_mov_b32_e32 v175, v167
	ds_load_2addr_b64 v[166:169], v184 offset0:24 offset1:25
	v_pk_add_f32 v[96:97], v[96:97], v[176:177] neg_lo:[0,1] neg_hi:[0,1]
	v_pk_add_f32 v[92:93], v[92:93], v[174:175] neg_lo:[0,1] neg_hi:[0,1]
	s_wait_dscnt 0x0
	v_pk_mul_f32 v[174:175], v[166:167], v[172:173] op_sel:[0,1]
	s_delay_alu instid0(VALU_DEP_1) | instskip(SKIP_2) | instid1(VALU_DEP_2)
	v_pk_fma_f32 v[176:177], v[166:167], v[170:171], v[174:175] op_sel:[0,0,1] op_sel_hi:[1,1,0] neg_lo:[0,0,1] neg_hi:[0,0,1]
	v_pk_fma_f32 v[166:167], v[166:167], v[170:171], v[174:175] op_sel:[0,0,1] op_sel_hi:[1,0,0]
	v_dual_mul_f32 v174, v169, v173 :: v_dual_mov_b32 v166, v169
	v_dual_mov_b32 v177, v167 :: v_dual_mov_b32 v167, v168
	s_delay_alu instid0(VALU_DEP_2) | instskip(SKIP_1) | instid1(VALU_DEP_3)
	v_pk_fma_f32 v[174:175], v[168:169], v[94:95], v[174:175] op_sel_hi:[1,1,0] neg_lo:[0,0,1] neg_hi:[0,0,1]
	v_mul_f32_e32 v168, v169, v170
	v_pk_add_f32 v[114:115], v[114:115], v[176:177] neg_lo:[0,1] neg_hi:[0,1]
	s_delay_alu instid0(VALU_DEP_2) | instskip(NEXT) | instid1(VALU_DEP_1)
	v_pk_fma_f32 v[166:167], v[166:167], v[94:95], v[168:169] op_sel_hi:[1,1,0]
	v_mov_b32_e32 v175, v167
	ds_load_2addr_b64 v[166:169], v184 offset0:26 offset1:27
	v_pk_add_f32 v[110:111], v[110:111], v[174:175] neg_lo:[0,1] neg_hi:[0,1]
	s_wait_dscnt 0x0
	v_pk_mul_f32 v[174:175], v[166:167], v[172:173] op_sel:[0,1]
	s_delay_alu instid0(VALU_DEP_1) | instskip(SKIP_1) | instid1(VALU_DEP_1)
	v_pk_fma_f32 v[176:177], v[166:167], v[170:171], v[174:175] op_sel:[0,0,1] op_sel_hi:[1,1,0] neg_lo:[0,0,1] neg_hi:[0,0,1]
	v_pk_fma_f32 v[166:167], v[166:167], v[170:171], v[174:175] op_sel:[0,0,1] op_sel_hi:[1,0,0]
	v_mov_b32_e32 v177, v167
	v_pk_mul_f32 v[166:167], v[168:169], v[172:173] op_sel:[0,1]
	s_delay_alu instid0(VALU_DEP_1) | instskip(SKIP_1) | instid1(VALU_DEP_1)
	v_pk_fma_f32 v[174:175], v[168:169], v[170:171], v[166:167] op_sel:[0,0,1] op_sel_hi:[1,1,0] neg_lo:[0,0,1] neg_hi:[0,0,1]
	v_pk_fma_f32 v[166:167], v[168:169], v[170:171], v[166:167] op_sel:[0,0,1] op_sel_hi:[1,0,0]
	v_mov_b32_e32 v175, v167
	ds_load_2addr_b64 v[166:169], v184 offset0:28 offset1:29
	v_pk_add_f32 v[112:113], v[112:113], v[176:177] neg_lo:[0,1] neg_hi:[0,1]
	v_pk_add_f32 v[118:119], v[118:119], v[174:175] neg_lo:[0,1] neg_hi:[0,1]
	s_wait_dscnt 0x0
	v_pk_mul_f32 v[174:175], v[166:167], v[172:173] op_sel:[0,1]
	s_delay_alu instid0(VALU_DEP_1) | instskip(SKIP_1) | instid1(VALU_DEP_1)
	v_pk_fma_f32 v[176:177], v[166:167], v[170:171], v[174:175] op_sel:[0,0,1] op_sel_hi:[1,1,0] neg_lo:[0,0,1] neg_hi:[0,0,1]
	v_pk_fma_f32 v[166:167], v[166:167], v[170:171], v[174:175] op_sel:[0,0,1] op_sel_hi:[1,0,0]
	v_mov_b32_e32 v177, v167
	v_pk_mul_f32 v[166:167], v[168:169], v[172:173] op_sel:[0,1]
	s_delay_alu instid0(VALU_DEP_1) | instskip(SKIP_1) | instid1(VALU_DEP_1)
	v_pk_fma_f32 v[172:173], v[168:169], v[170:171], v[166:167] op_sel:[0,0,1] op_sel_hi:[1,1,0] neg_lo:[0,0,1] neg_hi:[0,0,1]
	v_pk_fma_f32 v[166:167], v[168:169], v[170:171], v[166:167] op_sel:[0,0,1] op_sel_hi:[1,0,0]
	v_mov_b32_e32 v173, v167
	v_pk_add_f32 v[116:117], v[116:117], v[176:177] neg_lo:[0,1] neg_hi:[0,1]
	s_delay_alu instid0(VALU_DEP_2)
	v_pk_add_f32 v[120:121], v[120:121], v[172:173] neg_lo:[0,1] neg_hi:[0,1]
.LBB59_199:
	s_or_b32 exec_lo, exec_lo, s1
	s_delay_alu instid0(SALU_CYCLE_1)
	s_mov_b32 s2, exec_lo
	s_wait_dscnt 0x0
	s_barrier_signal -1
	s_barrier_wait -1
	v_cmpx_eq_u32_e32 22, v182
	s_cbranch_execz .LBB59_206
; %bb.200:
	ds_store_b64 v183, v[96:97]
	ds_store_2addr_b64 v184, v[92:93], v[114:115] offset0:23 offset1:24
	ds_store_2addr_b64 v184, v[110:111], v[112:113] offset0:25 offset1:26
	;; [unrolled: 1-line block ×3, first 2 shown]
	ds_store_b64 v184, v[120:121] offset:232
	ds_load_b64 v[166:167], v183
	s_wait_dscnt 0x0
	v_cmp_neq_f32_e32 vcc_lo, 0, v166
	v_cmp_neq_f32_e64 s1, 0, v167
	s_or_b32 s1, vcc_lo, s1
	s_delay_alu instid0(SALU_CYCLE_1)
	s_and_b32 exec_lo, exec_lo, s1
	s_cbranch_execz .LBB59_206
; %bb.201:
	v_cmp_ngt_f32_e64 s1, |v166|, |v167|
                                        ; implicit-def: $vgpr168_vgpr169
	s_and_saveexec_b32 s4, s1
	s_delay_alu instid0(SALU_CYCLE_1)
	s_xor_b32 s1, exec_lo, s4
	s_cbranch_execz .LBB59_203
; %bb.202:
	v_div_scale_f32 v168, null, v167, v167, v166
	v_div_scale_f32 v171, vcc_lo, v166, v167, v166
	s_delay_alu instid0(VALU_DEP_2) | instskip(SKIP_1) | instid1(TRANS32_DEP_1)
	v_rcp_f32_e32 v169, v168
	v_nop
	v_fma_f32 v170, -v168, v169, 1.0
	s_delay_alu instid0(VALU_DEP_1) | instskip(NEXT) | instid1(VALU_DEP_1)
	v_fmac_f32_e32 v169, v170, v169
	v_mul_f32_e32 v170, v171, v169
	s_delay_alu instid0(VALU_DEP_1) | instskip(NEXT) | instid1(VALU_DEP_1)
	v_fma_f32 v172, -v168, v170, v171
	v_fmac_f32_e32 v170, v172, v169
	s_delay_alu instid0(VALU_DEP_1) | instskip(NEXT) | instid1(VALU_DEP_1)
	v_fma_f32 v168, -v168, v170, v171
	v_div_fmas_f32 v168, v168, v169, v170
	s_delay_alu instid0(VALU_DEP_1) | instskip(NEXT) | instid1(VALU_DEP_1)
	v_div_fixup_f32 v168, v168, v167, v166
	v_fmac_f32_e32 v167, v166, v168
	s_delay_alu instid0(VALU_DEP_1) | instskip(SKIP_1) | instid1(VALU_DEP_2)
	v_div_scale_f32 v166, null, v167, v167, 1.0
	v_div_scale_f32 v171, vcc_lo, 1.0, v167, 1.0
	v_rcp_f32_e32 v169, v166
	v_nop
	s_delay_alu instid0(TRANS32_DEP_1) | instskip(NEXT) | instid1(VALU_DEP_1)
	v_fma_f32 v170, -v166, v169, 1.0
	v_fmac_f32_e32 v169, v170, v169
	s_delay_alu instid0(VALU_DEP_1) | instskip(NEXT) | instid1(VALU_DEP_1)
	v_mul_f32_e32 v170, v171, v169
	v_fma_f32 v172, -v166, v170, v171
	s_delay_alu instid0(VALU_DEP_1) | instskip(NEXT) | instid1(VALU_DEP_1)
	v_fmac_f32_e32 v170, v172, v169
	v_fma_f32 v166, -v166, v170, v171
	s_delay_alu instid0(VALU_DEP_1) | instskip(NEXT) | instid1(VALU_DEP_1)
	v_div_fmas_f32 v166, v166, v169, v170
	v_div_fixup_f32 v166, v166, v167, 1.0
	s_delay_alu instid0(VALU_DEP_1)
	v_mul_f32_e32 v168, v168, v166
	v_xor_b32_e32 v169, 0x80000000, v166
                                        ; implicit-def: $vgpr166_vgpr167
.LBB59_203:
	s_and_not1_saveexec_b32 s1, s1
	s_cbranch_execz .LBB59_205
; %bb.204:
	v_div_scale_f32 v168, null, v166, v166, v167
	v_div_scale_f32 v171, vcc_lo, v167, v166, v167
	s_delay_alu instid0(VALU_DEP_2) | instskip(SKIP_1) | instid1(TRANS32_DEP_1)
	v_rcp_f32_e32 v169, v168
	v_nop
	v_fma_f32 v170, -v168, v169, 1.0
	s_delay_alu instid0(VALU_DEP_1) | instskip(NEXT) | instid1(VALU_DEP_1)
	v_fmac_f32_e32 v169, v170, v169
	v_mul_f32_e32 v170, v171, v169
	s_delay_alu instid0(VALU_DEP_1) | instskip(NEXT) | instid1(VALU_DEP_1)
	v_fma_f32 v172, -v168, v170, v171
	v_fmac_f32_e32 v170, v172, v169
	s_delay_alu instid0(VALU_DEP_1) | instskip(NEXT) | instid1(VALU_DEP_1)
	v_fma_f32 v168, -v168, v170, v171
	v_div_fmas_f32 v168, v168, v169, v170
	s_delay_alu instid0(VALU_DEP_1) | instskip(NEXT) | instid1(VALU_DEP_1)
	v_div_fixup_f32 v169, v168, v166, v167
	v_fmac_f32_e32 v166, v167, v169
	s_delay_alu instid0(VALU_DEP_1) | instskip(NEXT) | instid1(VALU_DEP_1)
	v_div_scale_f32 v167, null, v166, v166, 1.0
	v_rcp_f32_e32 v168, v167
	v_nop
	s_delay_alu instid0(TRANS32_DEP_1) | instskip(NEXT) | instid1(VALU_DEP_1)
	v_fma_f32 v170, -v167, v168, 1.0
	v_fmac_f32_e32 v168, v170, v168
	v_div_scale_f32 v170, vcc_lo, 1.0, v166, 1.0
	s_delay_alu instid0(VALU_DEP_1) | instskip(NEXT) | instid1(VALU_DEP_1)
	v_mul_f32_e32 v171, v170, v168
	v_fma_f32 v172, -v167, v171, v170
	s_delay_alu instid0(VALU_DEP_1) | instskip(NEXT) | instid1(VALU_DEP_1)
	v_fmac_f32_e32 v171, v172, v168
	v_fma_f32 v167, -v167, v171, v170
	s_delay_alu instid0(VALU_DEP_1) | instskip(NEXT) | instid1(VALU_DEP_1)
	v_div_fmas_f32 v167, v167, v168, v171
	v_div_fixup_f32 v168, v167, v166, 1.0
	s_delay_alu instid0(VALU_DEP_1)
	v_mul_f32_e64 v169, v169, -v168
.LBB59_205:
	s_or_b32 exec_lo, exec_lo, s1
	ds_store_b64 v183, v[168:169]
.LBB59_206:
	s_or_b32 exec_lo, exec_lo, s2
	s_wait_dscnt 0x0
	s_barrier_signal -1
	s_barrier_wait -1
	ds_load_b64 v[166:167], v183
	s_mov_b32 s1, exec_lo
	v_cmpx_lt_u32_e32 22, v182
	s_cbranch_execz .LBB59_208
; %bb.207:
	s_wait_dscnt 0x0
	v_pk_mul_f32 v[168:169], v[166:167], v[96:97] op_sel:[1,1] op_sel_hi:[0,1]
	s_delay_alu instid0(VALU_DEP_1)
	v_pk_fma_f32 v[172:173], v[166:167], v[96:97], v[168:169] op_sel_hi:[1,0,1] neg_lo:[0,0,1] neg_hi:[0,0,1]
	v_pk_fma_f32 v[174:175], v[166:167], v[96:97], v[168:169] op_sel_hi:[1,0,1]
	ds_load_2addr_b64 v[168:171], v184 offset0:23 offset1:24
	v_dual_mov_b32 v96, v172 :: v_dual_mov_b32 v97, v175
	s_wait_dscnt 0x0
	v_pk_mul_f32 v[176:177], v[168:169], v[174:175] op_sel:[0,1]
	s_delay_alu instid0(VALU_DEP_1) | instskip(SKIP_1) | instid1(VALU_DEP_1)
	v_pk_fma_f32 v[178:179], v[168:169], v[172:173], v[176:177] op_sel:[0,0,1] op_sel_hi:[1,1,0] neg_lo:[0,0,1] neg_hi:[0,0,1]
	v_pk_fma_f32 v[168:169], v[168:169], v[172:173], v[176:177] op_sel:[0,0,1] op_sel_hi:[1,0,0]
	v_mov_b32_e32 v179, v169
	v_pk_mul_f32 v[168:169], v[170:171], v[174:175] op_sel:[0,1]
	s_delay_alu instid0(VALU_DEP_1) | instskip(SKIP_1) | instid1(VALU_DEP_1)
	v_pk_fma_f32 v[176:177], v[170:171], v[172:173], v[168:169] op_sel:[0,0,1] op_sel_hi:[1,1,0] neg_lo:[0,0,1] neg_hi:[0,0,1]
	v_pk_fma_f32 v[168:169], v[170:171], v[172:173], v[168:169] op_sel:[0,0,1] op_sel_hi:[1,0,0]
	v_mov_b32_e32 v177, v169
	ds_load_2addr_b64 v[168:171], v184 offset0:25 offset1:26
	v_pk_add_f32 v[92:93], v[92:93], v[178:179] neg_lo:[0,1] neg_hi:[0,1]
	v_pk_add_f32 v[114:115], v[114:115], v[176:177] neg_lo:[0,1] neg_hi:[0,1]
	s_wait_dscnt 0x0
	v_pk_mul_f32 v[176:177], v[168:169], v[174:175] op_sel:[0,1]
	s_delay_alu instid0(VALU_DEP_1) | instskip(SKIP_2) | instid1(VALU_DEP_2)
	v_pk_fma_f32 v[178:179], v[168:169], v[172:173], v[176:177] op_sel:[0,0,1] op_sel_hi:[1,1,0] neg_lo:[0,0,1] neg_hi:[0,0,1]
	v_pk_fma_f32 v[168:169], v[168:169], v[172:173], v[176:177] op_sel:[0,0,1] op_sel_hi:[1,0,0]
	v_dual_mul_f32 v176, v171, v175 :: v_dual_mov_b32 v168, v171
	v_dual_mov_b32 v179, v169 :: v_dual_mov_b32 v169, v170
	s_delay_alu instid0(VALU_DEP_2) | instskip(SKIP_1) | instid1(VALU_DEP_3)
	v_pk_fma_f32 v[176:177], v[170:171], v[96:97], v[176:177] op_sel_hi:[1,1,0] neg_lo:[0,0,1] neg_hi:[0,0,1]
	v_mul_f32_e32 v170, v171, v172
	v_pk_add_f32 v[110:111], v[110:111], v[178:179] neg_lo:[0,1] neg_hi:[0,1]
	s_delay_alu instid0(VALU_DEP_2) | instskip(NEXT) | instid1(VALU_DEP_1)
	v_pk_fma_f32 v[168:169], v[168:169], v[96:97], v[170:171] op_sel_hi:[1,1,0]
	v_mov_b32_e32 v177, v169
	ds_load_2addr_b64 v[168:171], v184 offset0:27 offset1:28
	v_pk_add_f32 v[112:113], v[112:113], v[176:177] neg_lo:[0,1] neg_hi:[0,1]
	s_wait_dscnt 0x0
	v_pk_mul_f32 v[176:177], v[168:169], v[174:175] op_sel:[0,1]
	s_delay_alu instid0(VALU_DEP_1) | instskip(SKIP_1) | instid1(VALU_DEP_1)
	v_pk_fma_f32 v[178:179], v[168:169], v[172:173], v[176:177] op_sel:[0,0,1] op_sel_hi:[1,1,0] neg_lo:[0,0,1] neg_hi:[0,0,1]
	v_pk_fma_f32 v[168:169], v[168:169], v[172:173], v[176:177] op_sel:[0,0,1] op_sel_hi:[1,0,0]
	v_mov_b32_e32 v179, v169
	v_pk_mul_f32 v[168:169], v[170:171], v[174:175] op_sel:[0,1]
	s_delay_alu instid0(VALU_DEP_1) | instskip(SKIP_1) | instid1(VALU_DEP_1)
	v_pk_fma_f32 v[176:177], v[170:171], v[172:173], v[168:169] op_sel:[0,0,1] op_sel_hi:[1,1,0] neg_lo:[0,0,1] neg_hi:[0,0,1]
	v_pk_fma_f32 v[168:169], v[170:171], v[172:173], v[168:169] op_sel:[0,0,1] op_sel_hi:[1,0,0]
	v_mov_b32_e32 v177, v169
	ds_load_b64 v[168:169], v184 offset:232
	v_pk_add_f32 v[118:119], v[118:119], v[178:179] neg_lo:[0,1] neg_hi:[0,1]
	v_pk_add_f32 v[116:117], v[116:117], v[176:177] neg_lo:[0,1] neg_hi:[0,1]
	s_wait_dscnt 0x0
	v_pk_mul_f32 v[170:171], v[168:169], v[174:175] op_sel:[0,1]
	s_delay_alu instid0(VALU_DEP_1) | instskip(SKIP_1) | instid1(VALU_DEP_1)
	v_pk_fma_f32 v[174:175], v[168:169], v[172:173], v[170:171] op_sel:[0,0,1] op_sel_hi:[1,1,0] neg_lo:[0,0,1] neg_hi:[0,0,1]
	v_pk_fma_f32 v[168:169], v[168:169], v[172:173], v[170:171] op_sel:[0,0,1] op_sel_hi:[1,0,0]
	v_mov_b32_e32 v175, v169
	s_delay_alu instid0(VALU_DEP_1)
	v_pk_add_f32 v[120:121], v[120:121], v[174:175] neg_lo:[0,1] neg_hi:[0,1]
.LBB59_208:
	s_or_b32 exec_lo, exec_lo, s1
	s_delay_alu instid0(SALU_CYCLE_1)
	s_mov_b32 s2, exec_lo
	s_wait_dscnt 0x0
	s_barrier_signal -1
	s_barrier_wait -1
	v_cmpx_eq_u32_e32 23, v182
	s_cbranch_execz .LBB59_215
; %bb.209:
	v_dual_mov_b32 v168, v114 :: v_dual_mov_b32 v169, v115
	v_dual_mov_b32 v170, v110 :: v_dual_mov_b32 v171, v111
	;; [unrolled: 1-line block ×5, first 2 shown]
	ds_store_b64 v183, v[92:93]
	ds_store_2addr_b64 v184, v[168:169], v[170:171] offset0:24 offset1:25
	ds_store_2addr_b64 v184, v[172:173], v[174:175] offset0:26 offset1:27
	;; [unrolled: 1-line block ×3, first 2 shown]
	ds_load_b64 v[168:169], v183
	s_wait_dscnt 0x0
	v_cmp_neq_f32_e32 vcc_lo, 0, v168
	v_cmp_neq_f32_e64 s1, 0, v169
	s_or_b32 s1, vcc_lo, s1
	s_delay_alu instid0(SALU_CYCLE_1)
	s_and_b32 exec_lo, exec_lo, s1
	s_cbranch_execz .LBB59_215
; %bb.210:
	v_cmp_ngt_f32_e64 s1, |v168|, |v169|
                                        ; implicit-def: $vgpr170_vgpr171
	s_and_saveexec_b32 s4, s1
	s_delay_alu instid0(SALU_CYCLE_1)
	s_xor_b32 s1, exec_lo, s4
	s_cbranch_execz .LBB59_212
; %bb.211:
	v_div_scale_f32 v170, null, v169, v169, v168
	v_div_scale_f32 v173, vcc_lo, v168, v169, v168
	s_delay_alu instid0(VALU_DEP_2) | instskip(SKIP_1) | instid1(TRANS32_DEP_1)
	v_rcp_f32_e32 v171, v170
	v_nop
	v_fma_f32 v172, -v170, v171, 1.0
	s_delay_alu instid0(VALU_DEP_1) | instskip(NEXT) | instid1(VALU_DEP_1)
	v_fmac_f32_e32 v171, v172, v171
	v_mul_f32_e32 v172, v173, v171
	s_delay_alu instid0(VALU_DEP_1) | instskip(NEXT) | instid1(VALU_DEP_1)
	v_fma_f32 v174, -v170, v172, v173
	v_fmac_f32_e32 v172, v174, v171
	s_delay_alu instid0(VALU_DEP_1) | instskip(NEXT) | instid1(VALU_DEP_1)
	v_fma_f32 v170, -v170, v172, v173
	v_div_fmas_f32 v170, v170, v171, v172
	s_delay_alu instid0(VALU_DEP_1) | instskip(NEXT) | instid1(VALU_DEP_1)
	v_div_fixup_f32 v170, v170, v169, v168
	v_fmac_f32_e32 v169, v168, v170
	s_delay_alu instid0(VALU_DEP_1) | instskip(SKIP_1) | instid1(VALU_DEP_2)
	v_div_scale_f32 v168, null, v169, v169, 1.0
	v_div_scale_f32 v173, vcc_lo, 1.0, v169, 1.0
	v_rcp_f32_e32 v171, v168
	v_nop
	s_delay_alu instid0(TRANS32_DEP_1) | instskip(NEXT) | instid1(VALU_DEP_1)
	v_fma_f32 v172, -v168, v171, 1.0
	v_fmac_f32_e32 v171, v172, v171
	s_delay_alu instid0(VALU_DEP_1) | instskip(NEXT) | instid1(VALU_DEP_1)
	v_mul_f32_e32 v172, v173, v171
	v_fma_f32 v174, -v168, v172, v173
	s_delay_alu instid0(VALU_DEP_1) | instskip(NEXT) | instid1(VALU_DEP_1)
	v_fmac_f32_e32 v172, v174, v171
	v_fma_f32 v168, -v168, v172, v173
	s_delay_alu instid0(VALU_DEP_1) | instskip(NEXT) | instid1(VALU_DEP_1)
	v_div_fmas_f32 v168, v168, v171, v172
	v_div_fixup_f32 v168, v168, v169, 1.0
	s_delay_alu instid0(VALU_DEP_1)
	v_mul_f32_e32 v170, v170, v168
	v_xor_b32_e32 v171, 0x80000000, v168
                                        ; implicit-def: $vgpr168_vgpr169
.LBB59_212:
	s_and_not1_saveexec_b32 s1, s1
	s_cbranch_execz .LBB59_214
; %bb.213:
	v_div_scale_f32 v170, null, v168, v168, v169
	v_div_scale_f32 v173, vcc_lo, v169, v168, v169
	s_delay_alu instid0(VALU_DEP_2) | instskip(SKIP_1) | instid1(TRANS32_DEP_1)
	v_rcp_f32_e32 v171, v170
	v_nop
	v_fma_f32 v172, -v170, v171, 1.0
	s_delay_alu instid0(VALU_DEP_1) | instskip(NEXT) | instid1(VALU_DEP_1)
	v_fmac_f32_e32 v171, v172, v171
	v_mul_f32_e32 v172, v173, v171
	s_delay_alu instid0(VALU_DEP_1) | instskip(NEXT) | instid1(VALU_DEP_1)
	v_fma_f32 v174, -v170, v172, v173
	v_fmac_f32_e32 v172, v174, v171
	s_delay_alu instid0(VALU_DEP_1) | instskip(NEXT) | instid1(VALU_DEP_1)
	v_fma_f32 v170, -v170, v172, v173
	v_div_fmas_f32 v170, v170, v171, v172
	s_delay_alu instid0(VALU_DEP_1) | instskip(NEXT) | instid1(VALU_DEP_1)
	v_div_fixup_f32 v171, v170, v168, v169
	v_fmac_f32_e32 v168, v169, v171
	s_delay_alu instid0(VALU_DEP_1) | instskip(NEXT) | instid1(VALU_DEP_1)
	v_div_scale_f32 v169, null, v168, v168, 1.0
	v_rcp_f32_e32 v170, v169
	v_nop
	s_delay_alu instid0(TRANS32_DEP_1) | instskip(NEXT) | instid1(VALU_DEP_1)
	v_fma_f32 v172, -v169, v170, 1.0
	v_fmac_f32_e32 v170, v172, v170
	v_div_scale_f32 v172, vcc_lo, 1.0, v168, 1.0
	s_delay_alu instid0(VALU_DEP_1) | instskip(NEXT) | instid1(VALU_DEP_1)
	v_mul_f32_e32 v173, v172, v170
	v_fma_f32 v174, -v169, v173, v172
	s_delay_alu instid0(VALU_DEP_1) | instskip(NEXT) | instid1(VALU_DEP_1)
	v_fmac_f32_e32 v173, v174, v170
	v_fma_f32 v169, -v169, v173, v172
	s_delay_alu instid0(VALU_DEP_1) | instskip(NEXT) | instid1(VALU_DEP_1)
	v_div_fmas_f32 v169, v169, v170, v173
	v_div_fixup_f32 v170, v169, v168, 1.0
	s_delay_alu instid0(VALU_DEP_1)
	v_mul_f32_e64 v171, v171, -v170
.LBB59_214:
	s_or_b32 exec_lo, exec_lo, s1
	ds_store_b64 v183, v[170:171]
.LBB59_215:
	s_or_b32 exec_lo, exec_lo, s2
	s_wait_dscnt 0x0
	s_barrier_signal -1
	s_barrier_wait -1
	ds_load_b64 v[168:169], v183
	s_mov_b32 s1, exec_lo
	v_cmpx_lt_u32_e32 23, v182
	s_cbranch_execz .LBB59_217
; %bb.216:
	s_wait_dscnt 0x0
	v_pk_mul_f32 v[170:171], v[168:169], v[92:93] op_sel:[1,1] op_sel_hi:[0,1]
	s_delay_alu instid0(VALU_DEP_1)
	v_pk_fma_f32 v[174:175], v[168:169], v[92:93], v[170:171] op_sel_hi:[1,0,1] neg_lo:[0,0,1] neg_hi:[0,0,1]
	v_pk_fma_f32 v[176:177], v[168:169], v[92:93], v[170:171] op_sel_hi:[1,0,1]
	ds_load_2addr_b64 v[170:173], v184 offset0:24 offset1:25
	v_dual_mov_b32 v92, v174 :: v_dual_mov_b32 v93, v177
	s_wait_dscnt 0x0
	v_pk_mul_f32 v[178:179], v[170:171], v[176:177] op_sel:[0,1]
	s_delay_alu instid0(VALU_DEP_1) | instskip(SKIP_1) | instid1(VALU_DEP_1)
	v_pk_fma_f32 v[180:181], v[170:171], v[174:175], v[178:179] op_sel:[0,0,1] op_sel_hi:[1,1,0] neg_lo:[0,0,1] neg_hi:[0,0,1]
	v_pk_fma_f32 v[170:171], v[170:171], v[174:175], v[178:179] op_sel:[0,0,1] op_sel_hi:[1,0,0]
	v_mov_b32_e32 v181, v171
	v_pk_mul_f32 v[170:171], v[172:173], v[176:177] op_sel:[0,1]
	s_delay_alu instid0(VALU_DEP_1) | instskip(SKIP_1) | instid1(VALU_DEP_1)
	v_pk_fma_f32 v[178:179], v[172:173], v[174:175], v[170:171] op_sel:[0,0,1] op_sel_hi:[1,1,0] neg_lo:[0,0,1] neg_hi:[0,0,1]
	v_pk_fma_f32 v[170:171], v[172:173], v[174:175], v[170:171] op_sel:[0,0,1] op_sel_hi:[1,0,0]
	v_mov_b32_e32 v179, v171
	ds_load_2addr_b64 v[170:173], v184 offset0:26 offset1:27
	v_pk_add_f32 v[114:115], v[114:115], v[180:181] neg_lo:[0,1] neg_hi:[0,1]
	v_pk_add_f32 v[110:111], v[110:111], v[178:179] neg_lo:[0,1] neg_hi:[0,1]
	s_wait_dscnt 0x0
	v_pk_mul_f32 v[178:179], v[170:171], v[176:177] op_sel:[0,1]
	s_delay_alu instid0(VALU_DEP_1) | instskip(SKIP_2) | instid1(VALU_DEP_2)
	v_pk_fma_f32 v[180:181], v[170:171], v[174:175], v[178:179] op_sel:[0,0,1] op_sel_hi:[1,1,0] neg_lo:[0,0,1] neg_hi:[0,0,1]
	v_pk_fma_f32 v[170:171], v[170:171], v[174:175], v[178:179] op_sel:[0,0,1] op_sel_hi:[1,0,0]
	v_dual_mul_f32 v178, v173, v177 :: v_dual_mov_b32 v170, v173
	v_dual_mov_b32 v181, v171 :: v_dual_mov_b32 v171, v172
	s_delay_alu instid0(VALU_DEP_2) | instskip(SKIP_1) | instid1(VALU_DEP_3)
	v_pk_fma_f32 v[178:179], v[172:173], v[92:93], v[178:179] op_sel_hi:[1,1,0] neg_lo:[0,0,1] neg_hi:[0,0,1]
	v_mul_f32_e32 v172, v173, v174
	v_pk_add_f32 v[112:113], v[112:113], v[180:181] neg_lo:[0,1] neg_hi:[0,1]
	s_delay_alu instid0(VALU_DEP_2) | instskip(NEXT) | instid1(VALU_DEP_1)
	v_pk_fma_f32 v[170:171], v[170:171], v[92:93], v[172:173] op_sel_hi:[1,1,0]
	v_mov_b32_e32 v179, v171
	ds_load_2addr_b64 v[170:173], v184 offset0:28 offset1:29
	v_pk_add_f32 v[118:119], v[118:119], v[178:179] neg_lo:[0,1] neg_hi:[0,1]
	s_wait_dscnt 0x0
	v_pk_mul_f32 v[178:179], v[170:171], v[176:177] op_sel:[0,1]
	v_mul_f32_e32 v176, v173, v177
	s_delay_alu instid0(VALU_DEP_2) | instskip(SKIP_2) | instid1(VALU_DEP_4)
	v_pk_fma_f32 v[180:181], v[170:171], v[174:175], v[178:179] op_sel:[0,0,1] op_sel_hi:[1,1,0] neg_lo:[0,0,1] neg_hi:[0,0,1]
	v_pk_fma_f32 v[170:171], v[170:171], v[174:175], v[178:179] op_sel:[0,0,1] op_sel_hi:[1,0,0]
	v_mov_b32_e32 v170, v173
	v_pk_fma_f32 v[176:177], v[172:173], v[92:93], v[176:177] op_sel_hi:[1,1,0] neg_lo:[0,0,1] neg_hi:[0,0,1]
	s_delay_alu instid0(VALU_DEP_3) | instskip(SKIP_1) | instid1(VALU_DEP_2)
	v_dual_mov_b32 v181, v171 :: v_dual_mov_b32 v171, v172
	v_mul_f32_e32 v172, v173, v174
	v_pk_add_f32 v[116:117], v[116:117], v[180:181] neg_lo:[0,1] neg_hi:[0,1]
	s_delay_alu instid0(VALU_DEP_2) | instskip(NEXT) | instid1(VALU_DEP_1)
	v_pk_fma_f32 v[170:171], v[170:171], v[92:93], v[172:173] op_sel_hi:[1,1,0]
	v_mov_b32_e32 v177, v171
	s_delay_alu instid0(VALU_DEP_1)
	v_pk_add_f32 v[120:121], v[120:121], v[176:177] neg_lo:[0,1] neg_hi:[0,1]
.LBB59_217:
	s_or_b32 exec_lo, exec_lo, s1
	s_delay_alu instid0(SALU_CYCLE_1)
	s_mov_b32 s2, exec_lo
	s_wait_dscnt 0x0
	s_barrier_signal -1
	s_barrier_wait -1
	v_cmpx_eq_u32_e32 24, v182
	s_cbranch_execz .LBB59_224
; %bb.218:
	ds_store_b64 v183, v[114:115]
	ds_store_2addr_b64 v184, v[110:111], v[112:113] offset0:25 offset1:26
	ds_store_2addr_b64 v184, v[118:119], v[116:117] offset0:27 offset1:28
	ds_store_b64 v184, v[120:121] offset:232
	ds_load_b64 v[170:171], v183
	s_wait_dscnt 0x0
	v_cmp_neq_f32_e32 vcc_lo, 0, v170
	v_cmp_neq_f32_e64 s1, 0, v171
	s_or_b32 s1, vcc_lo, s1
	s_delay_alu instid0(SALU_CYCLE_1)
	s_and_b32 exec_lo, exec_lo, s1
	s_cbranch_execz .LBB59_224
; %bb.219:
	v_cmp_ngt_f32_e64 s1, |v170|, |v171|
                                        ; implicit-def: $vgpr172_vgpr173
	s_and_saveexec_b32 s4, s1
	s_delay_alu instid0(SALU_CYCLE_1)
	s_xor_b32 s1, exec_lo, s4
	s_cbranch_execz .LBB59_221
; %bb.220:
	v_div_scale_f32 v172, null, v171, v171, v170
	v_div_scale_f32 v175, vcc_lo, v170, v171, v170
	s_delay_alu instid0(VALU_DEP_2) | instskip(SKIP_1) | instid1(TRANS32_DEP_1)
	v_rcp_f32_e32 v173, v172
	v_nop
	v_fma_f32 v174, -v172, v173, 1.0
	s_delay_alu instid0(VALU_DEP_1) | instskip(NEXT) | instid1(VALU_DEP_1)
	v_fmac_f32_e32 v173, v174, v173
	v_mul_f32_e32 v174, v175, v173
	s_delay_alu instid0(VALU_DEP_1) | instskip(NEXT) | instid1(VALU_DEP_1)
	v_fma_f32 v176, -v172, v174, v175
	v_fmac_f32_e32 v174, v176, v173
	s_delay_alu instid0(VALU_DEP_1) | instskip(NEXT) | instid1(VALU_DEP_1)
	v_fma_f32 v172, -v172, v174, v175
	v_div_fmas_f32 v172, v172, v173, v174
	s_delay_alu instid0(VALU_DEP_1) | instskip(NEXT) | instid1(VALU_DEP_1)
	v_div_fixup_f32 v172, v172, v171, v170
	v_fmac_f32_e32 v171, v170, v172
	s_delay_alu instid0(VALU_DEP_1) | instskip(SKIP_1) | instid1(VALU_DEP_2)
	v_div_scale_f32 v170, null, v171, v171, 1.0
	v_div_scale_f32 v175, vcc_lo, 1.0, v171, 1.0
	v_rcp_f32_e32 v173, v170
	v_nop
	s_delay_alu instid0(TRANS32_DEP_1) | instskip(NEXT) | instid1(VALU_DEP_1)
	v_fma_f32 v174, -v170, v173, 1.0
	v_fmac_f32_e32 v173, v174, v173
	s_delay_alu instid0(VALU_DEP_1) | instskip(NEXT) | instid1(VALU_DEP_1)
	v_mul_f32_e32 v174, v175, v173
	v_fma_f32 v176, -v170, v174, v175
	s_delay_alu instid0(VALU_DEP_1) | instskip(NEXT) | instid1(VALU_DEP_1)
	v_fmac_f32_e32 v174, v176, v173
	v_fma_f32 v170, -v170, v174, v175
	s_delay_alu instid0(VALU_DEP_1) | instskip(NEXT) | instid1(VALU_DEP_1)
	v_div_fmas_f32 v170, v170, v173, v174
	v_div_fixup_f32 v170, v170, v171, 1.0
	s_delay_alu instid0(VALU_DEP_1)
	v_mul_f32_e32 v172, v172, v170
	v_xor_b32_e32 v173, 0x80000000, v170
                                        ; implicit-def: $vgpr170_vgpr171
.LBB59_221:
	s_and_not1_saveexec_b32 s1, s1
	s_cbranch_execz .LBB59_223
; %bb.222:
	v_div_scale_f32 v172, null, v170, v170, v171
	v_div_scale_f32 v175, vcc_lo, v171, v170, v171
	s_delay_alu instid0(VALU_DEP_2) | instskip(SKIP_1) | instid1(TRANS32_DEP_1)
	v_rcp_f32_e32 v173, v172
	v_nop
	v_fma_f32 v174, -v172, v173, 1.0
	s_delay_alu instid0(VALU_DEP_1) | instskip(NEXT) | instid1(VALU_DEP_1)
	v_fmac_f32_e32 v173, v174, v173
	v_mul_f32_e32 v174, v175, v173
	s_delay_alu instid0(VALU_DEP_1) | instskip(NEXT) | instid1(VALU_DEP_1)
	v_fma_f32 v176, -v172, v174, v175
	v_fmac_f32_e32 v174, v176, v173
	s_delay_alu instid0(VALU_DEP_1) | instskip(NEXT) | instid1(VALU_DEP_1)
	v_fma_f32 v172, -v172, v174, v175
	v_div_fmas_f32 v172, v172, v173, v174
	s_delay_alu instid0(VALU_DEP_1) | instskip(NEXT) | instid1(VALU_DEP_1)
	v_div_fixup_f32 v173, v172, v170, v171
	v_fmac_f32_e32 v170, v171, v173
	s_delay_alu instid0(VALU_DEP_1) | instskip(NEXT) | instid1(VALU_DEP_1)
	v_div_scale_f32 v171, null, v170, v170, 1.0
	v_rcp_f32_e32 v172, v171
	v_nop
	s_delay_alu instid0(TRANS32_DEP_1) | instskip(NEXT) | instid1(VALU_DEP_1)
	v_fma_f32 v174, -v171, v172, 1.0
	v_fmac_f32_e32 v172, v174, v172
	v_div_scale_f32 v174, vcc_lo, 1.0, v170, 1.0
	s_delay_alu instid0(VALU_DEP_1) | instskip(NEXT) | instid1(VALU_DEP_1)
	v_mul_f32_e32 v175, v174, v172
	v_fma_f32 v176, -v171, v175, v174
	s_delay_alu instid0(VALU_DEP_1) | instskip(NEXT) | instid1(VALU_DEP_1)
	v_fmac_f32_e32 v175, v176, v172
	v_fma_f32 v171, -v171, v175, v174
	s_delay_alu instid0(VALU_DEP_1) | instskip(NEXT) | instid1(VALU_DEP_1)
	v_div_fmas_f32 v171, v171, v172, v175
	v_div_fixup_f32 v172, v171, v170, 1.0
	s_delay_alu instid0(VALU_DEP_1)
	v_mul_f32_e64 v173, v173, -v172
.LBB59_223:
	s_or_b32 exec_lo, exec_lo, s1
	ds_store_b64 v183, v[172:173]
.LBB59_224:
	s_or_b32 exec_lo, exec_lo, s2
	s_wait_dscnt 0x0
	s_barrier_signal -1
	s_barrier_wait -1
	ds_load_b64 v[170:171], v183
	s_mov_b32 s1, exec_lo
	v_cmpx_lt_u32_e32 24, v182
	s_cbranch_execz .LBB59_226
; %bb.225:
	s_wait_dscnt 0x0
	v_pk_mul_f32 v[172:173], v[170:171], v[114:115] op_sel:[1,1] op_sel_hi:[0,1]
	s_delay_alu instid0(VALU_DEP_1)
	v_pk_fma_f32 v[176:177], v[170:171], v[114:115], v[172:173] op_sel_hi:[1,0,1] neg_lo:[0,0,1] neg_hi:[0,0,1]
	v_pk_fma_f32 v[178:179], v[170:171], v[114:115], v[172:173] op_sel_hi:[1,0,1]
	ds_load_2addr_b64 v[172:175], v184 offset0:25 offset1:26
	v_dual_mov_b32 v114, v176 :: v_dual_mov_b32 v115, v179
	s_wait_dscnt 0x0
	v_pk_mul_f32 v[180:181], v[172:173], v[178:179] op_sel:[0,1]
	s_delay_alu instid0(VALU_DEP_1) | instskip(SKIP_1) | instid1(VALU_DEP_1)
	v_pk_fma_f32 v[186:187], v[172:173], v[176:177], v[180:181] op_sel:[0,0,1] op_sel_hi:[1,1,0] neg_lo:[0,0,1] neg_hi:[0,0,1]
	v_pk_fma_f32 v[172:173], v[172:173], v[176:177], v[180:181] op_sel:[0,0,1] op_sel_hi:[1,0,0]
	v_mov_b32_e32 v187, v173
	v_pk_mul_f32 v[172:173], v[174:175], v[178:179] op_sel:[0,1]
	s_delay_alu instid0(VALU_DEP_1) | instskip(SKIP_1) | instid1(VALU_DEP_1)
	v_pk_fma_f32 v[180:181], v[174:175], v[176:177], v[172:173] op_sel:[0,0,1] op_sel_hi:[1,1,0] neg_lo:[0,0,1] neg_hi:[0,0,1]
	v_pk_fma_f32 v[172:173], v[174:175], v[176:177], v[172:173] op_sel:[0,0,1] op_sel_hi:[1,0,0]
	v_mov_b32_e32 v181, v173
	ds_load_2addr_b64 v[172:175], v184 offset0:27 offset1:28
	v_pk_add_f32 v[110:111], v[110:111], v[186:187] neg_lo:[0,1] neg_hi:[0,1]
	v_pk_add_f32 v[112:113], v[112:113], v[180:181] neg_lo:[0,1] neg_hi:[0,1]
	s_wait_dscnt 0x0
	v_pk_mul_f32 v[180:181], v[172:173], v[178:179] op_sel:[0,1]
	s_delay_alu instid0(VALU_DEP_1) | instskip(SKIP_2) | instid1(VALU_DEP_2)
	v_pk_fma_f32 v[186:187], v[172:173], v[176:177], v[180:181] op_sel:[0,0,1] op_sel_hi:[1,1,0] neg_lo:[0,0,1] neg_hi:[0,0,1]
	v_pk_fma_f32 v[172:173], v[172:173], v[176:177], v[180:181] op_sel:[0,0,1] op_sel_hi:[1,0,0]
	v_dual_mul_f32 v180, v175, v179 :: v_dual_mov_b32 v172, v175
	v_dual_mov_b32 v187, v173 :: v_dual_mov_b32 v173, v174
	s_delay_alu instid0(VALU_DEP_2) | instskip(SKIP_1) | instid1(VALU_DEP_3)
	v_pk_fma_f32 v[180:181], v[174:175], v[114:115], v[180:181] op_sel_hi:[1,1,0] neg_lo:[0,0,1] neg_hi:[0,0,1]
	v_mul_f32_e32 v174, v175, v176
	v_pk_add_f32 v[118:119], v[118:119], v[186:187] neg_lo:[0,1] neg_hi:[0,1]
	s_delay_alu instid0(VALU_DEP_2) | instskip(NEXT) | instid1(VALU_DEP_1)
	v_pk_fma_f32 v[172:173], v[172:173], v[114:115], v[174:175] op_sel_hi:[1,1,0]
	v_mov_b32_e32 v181, v173
	ds_load_b64 v[172:173], v184 offset:232
	v_pk_add_f32 v[116:117], v[116:117], v[180:181] neg_lo:[0,1] neg_hi:[0,1]
	s_wait_dscnt 0x0
	v_pk_mul_f32 v[174:175], v[172:173], v[178:179] op_sel:[0,1]
	s_delay_alu instid0(VALU_DEP_1) | instskip(SKIP_1) | instid1(VALU_DEP_1)
	v_pk_fma_f32 v[178:179], v[172:173], v[176:177], v[174:175] op_sel:[0,0,1] op_sel_hi:[1,1,0] neg_lo:[0,0,1] neg_hi:[0,0,1]
	v_pk_fma_f32 v[172:173], v[172:173], v[176:177], v[174:175] op_sel:[0,0,1] op_sel_hi:[1,0,0]
	v_mov_b32_e32 v179, v173
	s_delay_alu instid0(VALU_DEP_1)
	v_pk_add_f32 v[120:121], v[120:121], v[178:179] neg_lo:[0,1] neg_hi:[0,1]
.LBB59_226:
	s_or_b32 exec_lo, exec_lo, s1
	s_delay_alu instid0(SALU_CYCLE_1)
	s_mov_b32 s2, exec_lo
	s_wait_dscnt 0x0
	s_barrier_signal -1
	s_barrier_wait -1
	v_cmpx_eq_u32_e32 25, v182
	s_cbranch_execz .LBB59_233
; %bb.227:
	v_dual_mov_b32 v172, v112 :: v_dual_mov_b32 v173, v113
	v_dual_mov_b32 v174, v118 :: v_dual_mov_b32 v175, v119
	v_dual_mov_b32 v176, v116 :: v_dual_mov_b32 v177, v117
	ds_store_b64 v183, v[110:111]
	ds_store_2addr_b64 v184, v[172:173], v[174:175] offset0:26 offset1:27
	ds_store_2addr_b64 v184, v[176:177], v[120:121] offset0:28 offset1:29
	ds_load_b64 v[172:173], v183
	s_wait_dscnt 0x0
	v_cmp_neq_f32_e32 vcc_lo, 0, v172
	v_cmp_neq_f32_e64 s1, 0, v173
	s_or_b32 s1, vcc_lo, s1
	s_delay_alu instid0(SALU_CYCLE_1)
	s_and_b32 exec_lo, exec_lo, s1
	s_cbranch_execz .LBB59_233
; %bb.228:
	v_cmp_ngt_f32_e64 s1, |v172|, |v173|
                                        ; implicit-def: $vgpr174_vgpr175
	s_and_saveexec_b32 s4, s1
	s_delay_alu instid0(SALU_CYCLE_1)
	s_xor_b32 s1, exec_lo, s4
	s_cbranch_execz .LBB59_230
; %bb.229:
	v_div_scale_f32 v174, null, v173, v173, v172
	v_div_scale_f32 v177, vcc_lo, v172, v173, v172
	s_delay_alu instid0(VALU_DEP_2) | instskip(SKIP_1) | instid1(TRANS32_DEP_1)
	v_rcp_f32_e32 v175, v174
	v_nop
	v_fma_f32 v176, -v174, v175, 1.0
	s_delay_alu instid0(VALU_DEP_1) | instskip(NEXT) | instid1(VALU_DEP_1)
	v_fmac_f32_e32 v175, v176, v175
	v_mul_f32_e32 v176, v177, v175
	s_delay_alu instid0(VALU_DEP_1) | instskip(NEXT) | instid1(VALU_DEP_1)
	v_fma_f32 v178, -v174, v176, v177
	v_fmac_f32_e32 v176, v178, v175
	s_delay_alu instid0(VALU_DEP_1) | instskip(NEXT) | instid1(VALU_DEP_1)
	v_fma_f32 v174, -v174, v176, v177
	v_div_fmas_f32 v174, v174, v175, v176
	s_delay_alu instid0(VALU_DEP_1) | instskip(NEXT) | instid1(VALU_DEP_1)
	v_div_fixup_f32 v174, v174, v173, v172
	v_fmac_f32_e32 v173, v172, v174
	s_delay_alu instid0(VALU_DEP_1) | instskip(SKIP_1) | instid1(VALU_DEP_2)
	v_div_scale_f32 v172, null, v173, v173, 1.0
	v_div_scale_f32 v177, vcc_lo, 1.0, v173, 1.0
	v_rcp_f32_e32 v175, v172
	v_nop
	s_delay_alu instid0(TRANS32_DEP_1) | instskip(NEXT) | instid1(VALU_DEP_1)
	v_fma_f32 v176, -v172, v175, 1.0
	v_fmac_f32_e32 v175, v176, v175
	s_delay_alu instid0(VALU_DEP_1) | instskip(NEXT) | instid1(VALU_DEP_1)
	v_mul_f32_e32 v176, v177, v175
	v_fma_f32 v178, -v172, v176, v177
	s_delay_alu instid0(VALU_DEP_1) | instskip(NEXT) | instid1(VALU_DEP_1)
	v_fmac_f32_e32 v176, v178, v175
	v_fma_f32 v172, -v172, v176, v177
	s_delay_alu instid0(VALU_DEP_1) | instskip(NEXT) | instid1(VALU_DEP_1)
	v_div_fmas_f32 v172, v172, v175, v176
	v_div_fixup_f32 v172, v172, v173, 1.0
	s_delay_alu instid0(VALU_DEP_1)
	v_mul_f32_e32 v174, v174, v172
	v_xor_b32_e32 v175, 0x80000000, v172
                                        ; implicit-def: $vgpr172_vgpr173
.LBB59_230:
	s_and_not1_saveexec_b32 s1, s1
	s_cbranch_execz .LBB59_232
; %bb.231:
	v_div_scale_f32 v174, null, v172, v172, v173
	v_div_scale_f32 v177, vcc_lo, v173, v172, v173
	s_delay_alu instid0(VALU_DEP_2) | instskip(SKIP_1) | instid1(TRANS32_DEP_1)
	v_rcp_f32_e32 v175, v174
	v_nop
	v_fma_f32 v176, -v174, v175, 1.0
	s_delay_alu instid0(VALU_DEP_1) | instskip(NEXT) | instid1(VALU_DEP_1)
	v_fmac_f32_e32 v175, v176, v175
	v_mul_f32_e32 v176, v177, v175
	s_delay_alu instid0(VALU_DEP_1) | instskip(NEXT) | instid1(VALU_DEP_1)
	v_fma_f32 v178, -v174, v176, v177
	v_fmac_f32_e32 v176, v178, v175
	s_delay_alu instid0(VALU_DEP_1) | instskip(NEXT) | instid1(VALU_DEP_1)
	v_fma_f32 v174, -v174, v176, v177
	v_div_fmas_f32 v174, v174, v175, v176
	s_delay_alu instid0(VALU_DEP_1) | instskip(NEXT) | instid1(VALU_DEP_1)
	v_div_fixup_f32 v175, v174, v172, v173
	v_fmac_f32_e32 v172, v173, v175
	s_delay_alu instid0(VALU_DEP_1) | instskip(NEXT) | instid1(VALU_DEP_1)
	v_div_scale_f32 v173, null, v172, v172, 1.0
	v_rcp_f32_e32 v174, v173
	v_nop
	s_delay_alu instid0(TRANS32_DEP_1) | instskip(NEXT) | instid1(VALU_DEP_1)
	v_fma_f32 v176, -v173, v174, 1.0
	v_fmac_f32_e32 v174, v176, v174
	v_div_scale_f32 v176, vcc_lo, 1.0, v172, 1.0
	s_delay_alu instid0(VALU_DEP_1) | instskip(NEXT) | instid1(VALU_DEP_1)
	v_mul_f32_e32 v177, v176, v174
	v_fma_f32 v178, -v173, v177, v176
	s_delay_alu instid0(VALU_DEP_1) | instskip(NEXT) | instid1(VALU_DEP_1)
	v_fmac_f32_e32 v177, v178, v174
	v_fma_f32 v173, -v173, v177, v176
	s_delay_alu instid0(VALU_DEP_1) | instskip(NEXT) | instid1(VALU_DEP_1)
	v_div_fmas_f32 v173, v173, v174, v177
	v_div_fixup_f32 v174, v173, v172, 1.0
	s_delay_alu instid0(VALU_DEP_1)
	v_mul_f32_e64 v175, v175, -v174
.LBB59_232:
	s_or_b32 exec_lo, exec_lo, s1
	ds_store_b64 v183, v[174:175]
.LBB59_233:
	s_or_b32 exec_lo, exec_lo, s2
	s_wait_dscnt 0x0
	s_barrier_signal -1
	s_barrier_wait -1
	ds_load_b64 v[172:173], v183
	s_mov_b32 s1, exec_lo
	v_cmpx_lt_u32_e32 25, v182
	s_cbranch_execz .LBB59_235
; %bb.234:
	s_wait_dscnt 0x0
	v_pk_mul_f32 v[174:175], v[172:173], v[110:111] op_sel:[1,1] op_sel_hi:[0,1]
	s_delay_alu instid0(VALU_DEP_1)
	v_pk_fma_f32 v[178:179], v[172:173], v[110:111], v[174:175] op_sel_hi:[1,0,1] neg_lo:[0,0,1] neg_hi:[0,0,1]
	v_pk_fma_f32 v[180:181], v[172:173], v[110:111], v[174:175] op_sel_hi:[1,0,1]
	ds_load_2addr_b64 v[174:177], v184 offset0:26 offset1:27
	v_dual_mov_b32 v110, v178 :: v_dual_mov_b32 v111, v181
	s_wait_dscnt 0x0
	v_pk_mul_f32 v[186:187], v[174:175], v[180:181] op_sel:[0,1]
	s_delay_alu instid0(VALU_DEP_1) | instskip(SKIP_1) | instid1(VALU_DEP_1)
	v_pk_fma_f32 v[188:189], v[174:175], v[178:179], v[186:187] op_sel:[0,0,1] op_sel_hi:[1,1,0] neg_lo:[0,0,1] neg_hi:[0,0,1]
	v_pk_fma_f32 v[174:175], v[174:175], v[178:179], v[186:187] op_sel:[0,0,1] op_sel_hi:[1,0,0]
	v_mov_b32_e32 v189, v175
	v_pk_mul_f32 v[174:175], v[176:177], v[180:181] op_sel:[0,1]
	s_delay_alu instid0(VALU_DEP_1) | instskip(SKIP_1) | instid1(VALU_DEP_1)
	v_pk_fma_f32 v[186:187], v[176:177], v[178:179], v[174:175] op_sel:[0,0,1] op_sel_hi:[1,1,0] neg_lo:[0,0,1] neg_hi:[0,0,1]
	v_pk_fma_f32 v[174:175], v[176:177], v[178:179], v[174:175] op_sel:[0,0,1] op_sel_hi:[1,0,0]
	v_mov_b32_e32 v187, v175
	ds_load_2addr_b64 v[174:177], v184 offset0:28 offset1:29
	v_pk_add_f32 v[112:113], v[112:113], v[188:189] neg_lo:[0,1] neg_hi:[0,1]
	v_pk_add_f32 v[118:119], v[118:119], v[186:187] neg_lo:[0,1] neg_hi:[0,1]
	s_wait_dscnt 0x0
	v_pk_mul_f32 v[186:187], v[174:175], v[180:181] op_sel:[0,1]
	s_delay_alu instid0(VALU_DEP_1) | instskip(SKIP_1) | instid1(VALU_DEP_1)
	v_pk_fma_f32 v[188:189], v[174:175], v[178:179], v[186:187] op_sel:[0,0,1] op_sel_hi:[1,1,0] neg_lo:[0,0,1] neg_hi:[0,0,1]
	v_pk_fma_f32 v[174:175], v[174:175], v[178:179], v[186:187] op_sel:[0,0,1] op_sel_hi:[1,0,0]
	v_dual_mov_b32 v174, v177 :: v_dual_mov_b32 v189, v175
	v_mov_b32_e32 v175, v176
	s_delay_alu instid0(VALU_DEP_2) | instskip(NEXT) | instid1(VALU_DEP_2)
	v_pk_add_f32 v[116:117], v[116:117], v[188:189] neg_lo:[0,1] neg_hi:[0,1]
	v_pk_mul_f32 v[174:175], v[174:175], v[180:181] op_sel:[0,1]
	s_delay_alu instid0(VALU_DEP_1) | instskip(SKIP_1) | instid1(VALU_DEP_1)
	v_pk_fma_f32 v[180:181], v[176:177], v[178:179], v[174:175] neg_lo:[0,0,1] neg_hi:[0,0,1]
	v_pk_fma_f32 v[174:175], v[176:177], v[178:179], v[174:175] op_sel_hi:[1,0,1]
	v_mov_b32_e32 v181, v175
	s_delay_alu instid0(VALU_DEP_1)
	v_pk_add_f32 v[120:121], v[120:121], v[180:181] neg_lo:[0,1] neg_hi:[0,1]
.LBB59_235:
	s_or_b32 exec_lo, exec_lo, s1
	s_delay_alu instid0(SALU_CYCLE_1)
	s_mov_b32 s2, exec_lo
	s_wait_dscnt 0x0
	s_barrier_signal -1
	s_barrier_wait -1
	v_cmpx_eq_u32_e32 26, v182
	s_cbranch_execz .LBB59_242
; %bb.236:
	ds_store_b64 v183, v[112:113]
	ds_store_2addr_b64 v184, v[118:119], v[116:117] offset0:27 offset1:28
	ds_store_b64 v184, v[120:121] offset:232
	ds_load_b64 v[174:175], v183
	s_wait_dscnt 0x0
	v_cmp_neq_f32_e32 vcc_lo, 0, v174
	v_cmp_neq_f32_e64 s1, 0, v175
	s_or_b32 s1, vcc_lo, s1
	s_delay_alu instid0(SALU_CYCLE_1)
	s_and_b32 exec_lo, exec_lo, s1
	s_cbranch_execz .LBB59_242
; %bb.237:
	v_cmp_ngt_f32_e64 s1, |v174|, |v175|
                                        ; implicit-def: $vgpr176_vgpr177
	s_and_saveexec_b32 s4, s1
	s_delay_alu instid0(SALU_CYCLE_1)
	s_xor_b32 s1, exec_lo, s4
	s_cbranch_execz .LBB59_239
; %bb.238:
	v_div_scale_f32 v176, null, v175, v175, v174
	v_div_scale_f32 v179, vcc_lo, v174, v175, v174
	s_delay_alu instid0(VALU_DEP_2) | instskip(SKIP_1) | instid1(TRANS32_DEP_1)
	v_rcp_f32_e32 v177, v176
	v_nop
	v_fma_f32 v178, -v176, v177, 1.0
	s_delay_alu instid0(VALU_DEP_1) | instskip(NEXT) | instid1(VALU_DEP_1)
	v_fmac_f32_e32 v177, v178, v177
	v_mul_f32_e32 v178, v179, v177
	s_delay_alu instid0(VALU_DEP_1) | instskip(NEXT) | instid1(VALU_DEP_1)
	v_fma_f32 v180, -v176, v178, v179
	v_fmac_f32_e32 v178, v180, v177
	s_delay_alu instid0(VALU_DEP_1) | instskip(NEXT) | instid1(VALU_DEP_1)
	v_fma_f32 v176, -v176, v178, v179
	v_div_fmas_f32 v176, v176, v177, v178
	s_delay_alu instid0(VALU_DEP_1) | instskip(NEXT) | instid1(VALU_DEP_1)
	v_div_fixup_f32 v176, v176, v175, v174
	v_fmac_f32_e32 v175, v174, v176
	s_delay_alu instid0(VALU_DEP_1) | instskip(SKIP_1) | instid1(VALU_DEP_2)
	v_div_scale_f32 v174, null, v175, v175, 1.0
	v_div_scale_f32 v179, vcc_lo, 1.0, v175, 1.0
	v_rcp_f32_e32 v177, v174
	v_nop
	s_delay_alu instid0(TRANS32_DEP_1) | instskip(NEXT) | instid1(VALU_DEP_1)
	v_fma_f32 v178, -v174, v177, 1.0
	v_fmac_f32_e32 v177, v178, v177
	s_delay_alu instid0(VALU_DEP_1) | instskip(NEXT) | instid1(VALU_DEP_1)
	v_mul_f32_e32 v178, v179, v177
	v_fma_f32 v180, -v174, v178, v179
	s_delay_alu instid0(VALU_DEP_1) | instskip(NEXT) | instid1(VALU_DEP_1)
	v_fmac_f32_e32 v178, v180, v177
	v_fma_f32 v174, -v174, v178, v179
	s_delay_alu instid0(VALU_DEP_1) | instskip(NEXT) | instid1(VALU_DEP_1)
	v_div_fmas_f32 v174, v174, v177, v178
	v_div_fixup_f32 v174, v174, v175, 1.0
	s_delay_alu instid0(VALU_DEP_1)
	v_mul_f32_e32 v176, v176, v174
	v_xor_b32_e32 v177, 0x80000000, v174
                                        ; implicit-def: $vgpr174_vgpr175
.LBB59_239:
	s_and_not1_saveexec_b32 s1, s1
	s_cbranch_execz .LBB59_241
; %bb.240:
	v_div_scale_f32 v176, null, v174, v174, v175
	v_div_scale_f32 v179, vcc_lo, v175, v174, v175
	s_delay_alu instid0(VALU_DEP_2) | instskip(SKIP_1) | instid1(TRANS32_DEP_1)
	v_rcp_f32_e32 v177, v176
	v_nop
	v_fma_f32 v178, -v176, v177, 1.0
	s_delay_alu instid0(VALU_DEP_1) | instskip(NEXT) | instid1(VALU_DEP_1)
	v_fmac_f32_e32 v177, v178, v177
	v_mul_f32_e32 v178, v179, v177
	s_delay_alu instid0(VALU_DEP_1) | instskip(NEXT) | instid1(VALU_DEP_1)
	v_fma_f32 v180, -v176, v178, v179
	v_fmac_f32_e32 v178, v180, v177
	s_delay_alu instid0(VALU_DEP_1) | instskip(NEXT) | instid1(VALU_DEP_1)
	v_fma_f32 v176, -v176, v178, v179
	v_div_fmas_f32 v176, v176, v177, v178
	s_delay_alu instid0(VALU_DEP_1) | instskip(NEXT) | instid1(VALU_DEP_1)
	v_div_fixup_f32 v177, v176, v174, v175
	v_fmac_f32_e32 v174, v175, v177
	s_delay_alu instid0(VALU_DEP_1) | instskip(NEXT) | instid1(VALU_DEP_1)
	v_div_scale_f32 v175, null, v174, v174, 1.0
	v_rcp_f32_e32 v176, v175
	v_nop
	s_delay_alu instid0(TRANS32_DEP_1) | instskip(NEXT) | instid1(VALU_DEP_1)
	v_fma_f32 v178, -v175, v176, 1.0
	v_fmac_f32_e32 v176, v178, v176
	v_div_scale_f32 v178, vcc_lo, 1.0, v174, 1.0
	s_delay_alu instid0(VALU_DEP_1) | instskip(NEXT) | instid1(VALU_DEP_1)
	v_mul_f32_e32 v179, v178, v176
	v_fma_f32 v180, -v175, v179, v178
	s_delay_alu instid0(VALU_DEP_1) | instskip(NEXT) | instid1(VALU_DEP_1)
	v_fmac_f32_e32 v179, v180, v176
	v_fma_f32 v175, -v175, v179, v178
	s_delay_alu instid0(VALU_DEP_1) | instskip(NEXT) | instid1(VALU_DEP_1)
	v_div_fmas_f32 v175, v175, v176, v179
	v_div_fixup_f32 v176, v175, v174, 1.0
	s_delay_alu instid0(VALU_DEP_1)
	v_mul_f32_e64 v177, v177, -v176
.LBB59_241:
	s_or_b32 exec_lo, exec_lo, s1
	ds_store_b64 v183, v[176:177]
.LBB59_242:
	s_or_b32 exec_lo, exec_lo, s2
	s_wait_dscnt 0x0
	s_barrier_signal -1
	s_barrier_wait -1
	ds_load_b64 v[174:175], v183
	s_mov_b32 s1, exec_lo
	v_cmpx_lt_u32_e32 26, v182
	s_cbranch_execz .LBB59_244
; %bb.243:
	s_wait_dscnt 0x0
	v_pk_mul_f32 v[176:177], v[174:175], v[112:113] op_sel:[1,1] op_sel_hi:[0,1]
	s_delay_alu instid0(VALU_DEP_1)
	v_pk_fma_f32 v[180:181], v[174:175], v[112:113], v[176:177] op_sel_hi:[1,0,1] neg_lo:[0,0,1] neg_hi:[0,0,1]
	v_pk_fma_f32 v[186:187], v[174:175], v[112:113], v[176:177] op_sel_hi:[1,0,1]
	ds_load_2addr_b64 v[176:179], v184 offset0:27 offset1:28
	v_dual_mov_b32 v112, v180 :: v_dual_mov_b32 v113, v187
	s_wait_dscnt 0x0
	v_pk_mul_f32 v[188:189], v[176:177], v[186:187] op_sel:[0,1]
	s_delay_alu instid0(VALU_DEP_1) | instskip(SKIP_1) | instid1(VALU_DEP_1)
	v_pk_fma_f32 v[190:191], v[176:177], v[180:181], v[188:189] op_sel:[0,0,1] op_sel_hi:[1,1,0] neg_lo:[0,0,1] neg_hi:[0,0,1]
	v_pk_fma_f32 v[176:177], v[176:177], v[180:181], v[188:189] op_sel:[0,0,1] op_sel_hi:[1,0,0]
	v_mov_b32_e32 v191, v177
	v_pk_mul_f32 v[176:177], v[178:179], v[186:187] op_sel:[0,1]
	s_delay_alu instid0(VALU_DEP_1) | instskip(SKIP_1) | instid1(VALU_DEP_1)
	v_pk_fma_f32 v[188:189], v[178:179], v[180:181], v[176:177] op_sel:[0,0,1] op_sel_hi:[1,1,0] neg_lo:[0,0,1] neg_hi:[0,0,1]
	v_pk_fma_f32 v[176:177], v[178:179], v[180:181], v[176:177] op_sel:[0,0,1] op_sel_hi:[1,0,0]
	v_mov_b32_e32 v189, v177
	ds_load_b64 v[176:177], v184 offset:232
	v_pk_add_f32 v[118:119], v[118:119], v[190:191] neg_lo:[0,1] neg_hi:[0,1]
	v_pk_add_f32 v[116:117], v[116:117], v[188:189] neg_lo:[0,1] neg_hi:[0,1]
	s_wait_dscnt 0x0
	v_pk_mul_f32 v[178:179], v[176:177], v[186:187] op_sel:[1,1] op_sel_hi:[0,1]
	s_delay_alu instid0(VALU_DEP_1) | instskip(SKIP_1) | instid1(VALU_DEP_1)
	v_pk_fma_f32 v[186:187], v[176:177], v[180:181], v[178:179] neg_lo:[0,0,1] neg_hi:[0,0,1]
	v_pk_fma_f32 v[176:177], v[176:177], v[180:181], v[178:179] op_sel_hi:[1,0,1]
	v_mov_b32_e32 v187, v177
	s_delay_alu instid0(VALU_DEP_1)
	v_pk_add_f32 v[120:121], v[120:121], v[186:187] neg_lo:[0,1] neg_hi:[0,1]
.LBB59_244:
	s_or_b32 exec_lo, exec_lo, s1
	s_delay_alu instid0(SALU_CYCLE_1)
	s_mov_b32 s2, exec_lo
	s_wait_dscnt 0x0
	s_barrier_signal -1
	s_barrier_wait -1
	v_cmpx_eq_u32_e32 27, v182
	s_cbranch_execz .LBB59_251
; %bb.245:
	v_dual_mov_b32 v176, v116 :: v_dual_mov_b32 v177, v117
	ds_store_b64 v183, v[118:119]
	ds_store_2addr_b64 v184, v[176:177], v[120:121] offset0:28 offset1:29
	ds_load_b64 v[176:177], v183
	s_wait_dscnt 0x0
	v_cmp_neq_f32_e32 vcc_lo, 0, v176
	v_cmp_neq_f32_e64 s1, 0, v177
	s_or_b32 s1, vcc_lo, s1
	s_delay_alu instid0(SALU_CYCLE_1)
	s_and_b32 exec_lo, exec_lo, s1
	s_cbranch_execz .LBB59_251
; %bb.246:
	v_cmp_ngt_f32_e64 s1, |v176|, |v177|
                                        ; implicit-def: $vgpr178_vgpr179
	s_and_saveexec_b32 s4, s1
	s_delay_alu instid0(SALU_CYCLE_1)
	s_xor_b32 s1, exec_lo, s4
	s_cbranch_execz .LBB59_248
; %bb.247:
	v_div_scale_f32 v178, null, v177, v177, v176
	v_div_scale_f32 v181, vcc_lo, v176, v177, v176
	s_delay_alu instid0(VALU_DEP_2) | instskip(SKIP_1) | instid1(TRANS32_DEP_1)
	v_rcp_f32_e32 v179, v178
	v_nop
	v_fma_f32 v180, -v178, v179, 1.0
	s_delay_alu instid0(VALU_DEP_1) | instskip(NEXT) | instid1(VALU_DEP_1)
	v_fmac_f32_e32 v179, v180, v179
	v_mul_f32_e32 v180, v181, v179
	s_delay_alu instid0(VALU_DEP_1) | instskip(NEXT) | instid1(VALU_DEP_1)
	v_fma_f32 v185, -v178, v180, v181
	v_fmac_f32_e32 v180, v185, v179
	s_delay_alu instid0(VALU_DEP_1) | instskip(NEXT) | instid1(VALU_DEP_1)
	v_fma_f32 v178, -v178, v180, v181
	v_div_fmas_f32 v178, v178, v179, v180
	s_delay_alu instid0(VALU_DEP_1) | instskip(NEXT) | instid1(VALU_DEP_1)
	v_div_fixup_f32 v178, v178, v177, v176
	v_fmac_f32_e32 v177, v176, v178
	s_delay_alu instid0(VALU_DEP_1) | instskip(SKIP_1) | instid1(VALU_DEP_2)
	v_div_scale_f32 v176, null, v177, v177, 1.0
	v_div_scale_f32 v181, vcc_lo, 1.0, v177, 1.0
	v_rcp_f32_e32 v179, v176
	v_nop
	s_delay_alu instid0(TRANS32_DEP_1) | instskip(NEXT) | instid1(VALU_DEP_1)
	v_fma_f32 v180, -v176, v179, 1.0
	v_fmac_f32_e32 v179, v180, v179
	s_delay_alu instid0(VALU_DEP_1) | instskip(NEXT) | instid1(VALU_DEP_1)
	v_mul_f32_e32 v180, v181, v179
	v_fma_f32 v185, -v176, v180, v181
	s_delay_alu instid0(VALU_DEP_1) | instskip(NEXT) | instid1(VALU_DEP_1)
	v_fmac_f32_e32 v180, v185, v179
	v_fma_f32 v176, -v176, v180, v181
	s_delay_alu instid0(VALU_DEP_1) | instskip(NEXT) | instid1(VALU_DEP_1)
	v_div_fmas_f32 v176, v176, v179, v180
	v_div_fixup_f32 v176, v176, v177, 1.0
	s_delay_alu instid0(VALU_DEP_1)
	v_mul_f32_e32 v178, v178, v176
	v_xor_b32_e32 v179, 0x80000000, v176
                                        ; implicit-def: $vgpr176_vgpr177
.LBB59_248:
	s_and_not1_saveexec_b32 s1, s1
	s_cbranch_execz .LBB59_250
; %bb.249:
	v_div_scale_f32 v178, null, v176, v176, v177
	v_div_scale_f32 v181, vcc_lo, v177, v176, v177
	s_delay_alu instid0(VALU_DEP_2) | instskip(SKIP_1) | instid1(TRANS32_DEP_1)
	v_rcp_f32_e32 v179, v178
	v_nop
	v_fma_f32 v180, -v178, v179, 1.0
	s_delay_alu instid0(VALU_DEP_1) | instskip(NEXT) | instid1(VALU_DEP_1)
	v_fmac_f32_e32 v179, v180, v179
	v_mul_f32_e32 v180, v181, v179
	s_delay_alu instid0(VALU_DEP_1) | instskip(NEXT) | instid1(VALU_DEP_1)
	v_fma_f32 v185, -v178, v180, v181
	v_fmac_f32_e32 v180, v185, v179
	s_delay_alu instid0(VALU_DEP_1) | instskip(NEXT) | instid1(VALU_DEP_1)
	v_fma_f32 v178, -v178, v180, v181
	v_div_fmas_f32 v178, v178, v179, v180
	s_delay_alu instid0(VALU_DEP_1) | instskip(NEXT) | instid1(VALU_DEP_1)
	v_div_fixup_f32 v179, v178, v176, v177
	v_fmac_f32_e32 v176, v177, v179
	s_delay_alu instid0(VALU_DEP_1) | instskip(NEXT) | instid1(VALU_DEP_1)
	v_div_scale_f32 v177, null, v176, v176, 1.0
	v_rcp_f32_e32 v178, v177
	v_nop
	s_delay_alu instid0(TRANS32_DEP_1) | instskip(NEXT) | instid1(VALU_DEP_1)
	v_fma_f32 v180, -v177, v178, 1.0
	v_fmac_f32_e32 v178, v180, v178
	v_div_scale_f32 v180, vcc_lo, 1.0, v176, 1.0
	s_delay_alu instid0(VALU_DEP_1) | instskip(NEXT) | instid1(VALU_DEP_1)
	v_mul_f32_e32 v181, v180, v178
	v_fma_f32 v185, -v177, v181, v180
	s_delay_alu instid0(VALU_DEP_1) | instskip(NEXT) | instid1(VALU_DEP_1)
	v_fmac_f32_e32 v181, v185, v178
	v_fma_f32 v177, -v177, v181, v180
	s_delay_alu instid0(VALU_DEP_1) | instskip(NEXT) | instid1(VALU_DEP_1)
	v_div_fmas_f32 v177, v177, v178, v181
	v_div_fixup_f32 v178, v177, v176, 1.0
	s_delay_alu instid0(VALU_DEP_1)
	v_mul_f32_e64 v179, v179, -v178
.LBB59_250:
	s_or_b32 exec_lo, exec_lo, s1
	ds_store_b64 v183, v[178:179]
.LBB59_251:
	s_or_b32 exec_lo, exec_lo, s2
	s_wait_dscnt 0x0
	s_barrier_signal -1
	s_barrier_wait -1
	ds_load_b64 v[176:177], v183
	s_mov_b32 s1, exec_lo
	v_cmpx_lt_u32_e32 27, v182
	s_cbranch_execz .LBB59_253
; %bb.252:
	ds_load_2addr_b64 v[178:181], v184 offset0:28 offset1:29
	s_wait_dscnt 0x1
	v_pk_mul_f32 v[186:187], v[176:177], v[118:119] op_sel:[1,1] op_sel_hi:[0,1]
	s_delay_alu instid0(VALU_DEP_1) | instskip(SKIP_3) | instid1(VALU_DEP_3)
	v_pk_fma_f32 v[188:189], v[176:177], v[118:119], v[186:187] op_sel_hi:[1,0,1]
	v_pk_fma_f32 v[118:119], v[176:177], v[118:119], v[186:187] op_sel_hi:[1,0,1] neg_lo:[0,0,1] neg_hi:[0,0,1]
	s_wait_dscnt 0x0
	v_dual_mov_b32 v190, v181 :: v_dual_mov_b32 v191, v180
	v_pk_mul_f32 v[186:187], v[178:179], v[188:189] op_sel:[0,1]
	s_delay_alu instid0(VALU_DEP_2) | instskip(NEXT) | instid1(VALU_DEP_2)
	v_pk_mul_f32 v[190:191], v[190:191], v[188:189] op_sel:[0,1]
	v_pk_fma_f32 v[192:193], v[178:179], v[118:119], v[186:187] op_sel:[0,0,1] op_sel_hi:[1,0,0]
	v_pk_fma_f32 v[178:179], v[178:179], v[118:119], v[186:187] op_sel:[0,0,1] op_sel_hi:[1,1,0] neg_lo:[0,0,1] neg_hi:[0,0,1]
	s_delay_alu instid0(VALU_DEP_3) | instskip(SKIP_1) | instid1(VALU_DEP_4)
	v_pk_fma_f32 v[194:195], v[180:181], v[118:119], v[190:191] op_sel_hi:[1,0,1]
	v_pk_fma_f32 v[180:181], v[180:181], v[118:119], v[190:191] neg_lo:[0,0,1] neg_hi:[0,0,1]
	v_dual_mov_b32 v179, v193 :: v_dual_mov_b32 v119, v189
	s_delay_alu instid0(VALU_DEP_3) | instskip(NEXT) | instid1(VALU_DEP_2)
	v_mov_b32_e32 v181, v195
	v_pk_add_f32 v[116:117], v[116:117], v[178:179] neg_lo:[0,1] neg_hi:[0,1]
	s_delay_alu instid0(VALU_DEP_2)
	v_pk_add_f32 v[120:121], v[120:121], v[180:181] neg_lo:[0,1] neg_hi:[0,1]
.LBB59_253:
	s_or_b32 exec_lo, exec_lo, s1
	s_delay_alu instid0(SALU_CYCLE_1)
	s_mov_b32 s2, exec_lo
	s_wait_dscnt 0x0
	s_barrier_signal -1
	s_barrier_wait -1
	v_cmpx_eq_u32_e32 28, v182
	s_cbranch_execz .LBB59_260
; %bb.254:
	ds_store_b64 v183, v[116:117]
	ds_store_b64 v184, v[120:121] offset:232
	ds_load_b64 v[178:179], v183
	s_wait_dscnt 0x0
	v_cmp_neq_f32_e32 vcc_lo, 0, v178
	v_cmp_neq_f32_e64 s1, 0, v179
	s_or_b32 s1, vcc_lo, s1
	s_delay_alu instid0(SALU_CYCLE_1)
	s_and_b32 exec_lo, exec_lo, s1
	s_cbranch_execz .LBB59_260
; %bb.255:
	v_cmp_ngt_f32_e64 s1, |v178|, |v179|
                                        ; implicit-def: $vgpr180_vgpr181
	s_and_saveexec_b32 s4, s1
	s_delay_alu instid0(SALU_CYCLE_1)
	s_xor_b32 s1, exec_lo, s4
	s_cbranch_execz .LBB59_257
; %bb.256:
	v_div_scale_f32 v180, null, v179, v179, v178
	v_div_scale_f32 v186, vcc_lo, v178, v179, v178
	s_delay_alu instid0(VALU_DEP_2) | instskip(SKIP_1) | instid1(TRANS32_DEP_1)
	v_rcp_f32_e32 v181, v180
	v_nop
	v_fma_f32 v185, -v180, v181, 1.0
	s_delay_alu instid0(VALU_DEP_1) | instskip(NEXT) | instid1(VALU_DEP_1)
	v_fmac_f32_e32 v181, v185, v181
	v_mul_f32_e32 v185, v186, v181
	s_delay_alu instid0(VALU_DEP_1) | instskip(NEXT) | instid1(VALU_DEP_1)
	v_fma_f32 v187, -v180, v185, v186
	v_fmac_f32_e32 v185, v187, v181
	s_delay_alu instid0(VALU_DEP_1) | instskip(NEXT) | instid1(VALU_DEP_1)
	v_fma_f32 v180, -v180, v185, v186
	v_div_fmas_f32 v180, v180, v181, v185
	s_delay_alu instid0(VALU_DEP_1) | instskip(NEXT) | instid1(VALU_DEP_1)
	v_div_fixup_f32 v180, v180, v179, v178
	v_fmac_f32_e32 v179, v178, v180
	s_delay_alu instid0(VALU_DEP_1) | instskip(SKIP_1) | instid1(VALU_DEP_2)
	v_div_scale_f32 v178, null, v179, v179, 1.0
	v_div_scale_f32 v186, vcc_lo, 1.0, v179, 1.0
	v_rcp_f32_e32 v181, v178
	v_nop
	s_delay_alu instid0(TRANS32_DEP_1) | instskip(NEXT) | instid1(VALU_DEP_1)
	v_fma_f32 v185, -v178, v181, 1.0
	v_fmac_f32_e32 v181, v185, v181
	s_delay_alu instid0(VALU_DEP_1) | instskip(NEXT) | instid1(VALU_DEP_1)
	v_mul_f32_e32 v185, v186, v181
	v_fma_f32 v187, -v178, v185, v186
	s_delay_alu instid0(VALU_DEP_1) | instskip(NEXT) | instid1(VALU_DEP_1)
	v_fmac_f32_e32 v185, v187, v181
	v_fma_f32 v178, -v178, v185, v186
	s_delay_alu instid0(VALU_DEP_1) | instskip(NEXT) | instid1(VALU_DEP_1)
	v_div_fmas_f32 v178, v178, v181, v185
	v_div_fixup_f32 v178, v178, v179, 1.0
	s_delay_alu instid0(VALU_DEP_1)
	v_mul_f32_e32 v180, v180, v178
	v_xor_b32_e32 v181, 0x80000000, v178
                                        ; implicit-def: $vgpr178_vgpr179
.LBB59_257:
	s_and_not1_saveexec_b32 s1, s1
	s_cbranch_execz .LBB59_259
; %bb.258:
	v_div_scale_f32 v180, null, v178, v178, v179
	v_div_scale_f32 v186, vcc_lo, v179, v178, v179
	s_delay_alu instid0(VALU_DEP_2) | instskip(SKIP_1) | instid1(TRANS32_DEP_1)
	v_rcp_f32_e32 v181, v180
	v_nop
	v_fma_f32 v185, -v180, v181, 1.0
	s_delay_alu instid0(VALU_DEP_1) | instskip(NEXT) | instid1(VALU_DEP_1)
	v_fmac_f32_e32 v181, v185, v181
	v_mul_f32_e32 v185, v186, v181
	s_delay_alu instid0(VALU_DEP_1) | instskip(NEXT) | instid1(VALU_DEP_1)
	v_fma_f32 v187, -v180, v185, v186
	v_fmac_f32_e32 v185, v187, v181
	s_delay_alu instid0(VALU_DEP_1) | instskip(NEXT) | instid1(VALU_DEP_1)
	v_fma_f32 v180, -v180, v185, v186
	v_div_fmas_f32 v180, v180, v181, v185
	s_delay_alu instid0(VALU_DEP_1) | instskip(NEXT) | instid1(VALU_DEP_1)
	v_div_fixup_f32 v181, v180, v178, v179
	v_fmac_f32_e32 v178, v179, v181
	s_delay_alu instid0(VALU_DEP_1) | instskip(NEXT) | instid1(VALU_DEP_1)
	v_div_scale_f32 v179, null, v178, v178, 1.0
	v_rcp_f32_e32 v180, v179
	v_nop
	s_delay_alu instid0(TRANS32_DEP_1) | instskip(NEXT) | instid1(VALU_DEP_1)
	v_fma_f32 v185, -v179, v180, 1.0
	v_fmac_f32_e32 v180, v185, v180
	v_div_scale_f32 v185, vcc_lo, 1.0, v178, 1.0
	s_delay_alu instid0(VALU_DEP_1) | instskip(NEXT) | instid1(VALU_DEP_1)
	v_mul_f32_e32 v186, v185, v180
	v_fma_f32 v187, -v179, v186, v185
	s_delay_alu instid0(VALU_DEP_1) | instskip(NEXT) | instid1(VALU_DEP_1)
	v_fmac_f32_e32 v186, v187, v180
	v_fma_f32 v179, -v179, v186, v185
	s_delay_alu instid0(VALU_DEP_1) | instskip(NEXT) | instid1(VALU_DEP_1)
	v_div_fmas_f32 v179, v179, v180, v186
	v_div_fixup_f32 v180, v179, v178, 1.0
	s_delay_alu instid0(VALU_DEP_1)
	v_mul_f32_e64 v181, v181, -v180
.LBB59_259:
	s_or_b32 exec_lo, exec_lo, s1
	ds_store_b64 v183, v[180:181]
.LBB59_260:
	s_or_b32 exec_lo, exec_lo, s2
	s_wait_dscnt 0x0
	s_barrier_signal -1
	s_barrier_wait -1
	ds_load_b64 v[178:179], v183
	s_mov_b32 s1, exec_lo
	v_cmpx_lt_u32_e32 28, v182
	s_cbranch_execz .LBB59_262
; %bb.261:
	ds_load_b64 v[180:181], v184 offset:232
	s_wait_dscnt 0x1
	v_pk_mul_f32 v[184:185], v[178:179], v[116:117] op_sel:[1,1] op_sel_hi:[0,1]
	s_delay_alu instid0(VALU_DEP_1) | instskip(SKIP_2) | instid1(VALU_DEP_2)
	v_pk_fma_f32 v[186:187], v[178:179], v[116:117], v[184:185] op_sel_hi:[1,0,1]
	v_pk_fma_f32 v[116:117], v[178:179], v[116:117], v[184:185] op_sel_hi:[1,0,1] neg_lo:[0,0,1] neg_hi:[0,0,1]
	s_wait_dscnt 0x0
	v_pk_mul_f32 v[184:185], v[180:181], v[186:187] op_sel:[1,1] op_sel_hi:[0,1]
	s_delay_alu instid0(VALU_DEP_1) | instskip(SKIP_1) | instid1(VALU_DEP_2)
	v_pk_fma_f32 v[188:189], v[180:181], v[116:117], v[184:185] op_sel_hi:[1,0,1]
	v_pk_fma_f32 v[180:181], v[180:181], v[116:117], v[184:185] neg_lo:[0,0,1] neg_hi:[0,0,1]
	v_dual_mov_b32 v117, v187 :: v_dual_mov_b32 v181, v189
	s_delay_alu instid0(VALU_DEP_1)
	v_pk_add_f32 v[120:121], v[120:121], v[180:181] neg_lo:[0,1] neg_hi:[0,1]
.LBB59_262:
	s_or_b32 exec_lo, exec_lo, s1
	s_delay_alu instid0(SALU_CYCLE_1)
	s_mov_b32 s2, exec_lo
	s_wait_dscnt 0x0
	s_barrier_signal -1
	s_barrier_wait -1
	v_cmpx_eq_u32_e32 29, v182
	s_cbranch_execz .LBB59_269
; %bb.263:
	v_cmp_neq_f32_e32 vcc_lo, 0, v120
	v_cmp_neq_f32_e64 s1, 0, v121
	ds_store_b64 v183, v[120:121]
	s_or_b32 s1, vcc_lo, s1
	s_delay_alu instid0(SALU_CYCLE_1)
	s_and_b32 exec_lo, exec_lo, s1
	s_cbranch_execz .LBB59_269
; %bb.264:
	v_cmp_ngt_f32_e64 s1, |v120|, |v121|
                                        ; implicit-def: $vgpr180_vgpr181
	s_and_saveexec_b32 s4, s1
	s_delay_alu instid0(SALU_CYCLE_1)
	s_xor_b32 s1, exec_lo, s4
	s_cbranch_execz .LBB59_266
; %bb.265:
	v_div_scale_f32 v180, null, v121, v121, v120
	v_div_scale_f32 v185, vcc_lo, v120, v121, v120
	s_delay_alu instid0(VALU_DEP_2) | instskip(SKIP_1) | instid1(TRANS32_DEP_1)
	v_rcp_f32_e32 v181, v180
	v_nop
	v_fma_f32 v184, -v180, v181, 1.0
	s_delay_alu instid0(VALU_DEP_1) | instskip(NEXT) | instid1(VALU_DEP_1)
	v_fmac_f32_e32 v181, v184, v181
	v_mul_f32_e32 v184, v185, v181
	s_delay_alu instid0(VALU_DEP_1) | instskip(NEXT) | instid1(VALU_DEP_1)
	v_fma_f32 v186, -v180, v184, v185
	v_fmac_f32_e32 v184, v186, v181
	s_delay_alu instid0(VALU_DEP_1) | instskip(NEXT) | instid1(VALU_DEP_1)
	v_fma_f32 v180, -v180, v184, v185
	v_div_fmas_f32 v180, v180, v181, v184
	s_delay_alu instid0(VALU_DEP_1) | instskip(NEXT) | instid1(VALU_DEP_1)
	v_div_fixup_f32 v180, v180, v121, v120
	v_fma_f32 v181, v120, v180, v121
	s_delay_alu instid0(VALU_DEP_1) | instskip(SKIP_1) | instid1(VALU_DEP_2)
	v_div_scale_f32 v184, null, v181, v181, 1.0
	v_div_scale_f32 v187, vcc_lo, 1.0, v181, 1.0
	v_rcp_f32_e32 v185, v184
	v_nop
	s_delay_alu instid0(TRANS32_DEP_1) | instskip(NEXT) | instid1(VALU_DEP_1)
	v_fma_f32 v186, -v184, v185, 1.0
	v_fmac_f32_e32 v185, v186, v185
	s_delay_alu instid0(VALU_DEP_1) | instskip(NEXT) | instid1(VALU_DEP_1)
	v_mul_f32_e32 v186, v187, v185
	v_fma_f32 v188, -v184, v186, v187
	s_delay_alu instid0(VALU_DEP_1) | instskip(NEXT) | instid1(VALU_DEP_1)
	v_fmac_f32_e32 v186, v188, v185
	v_fma_f32 v184, -v184, v186, v187
	s_delay_alu instid0(VALU_DEP_1) | instskip(NEXT) | instid1(VALU_DEP_1)
	v_div_fmas_f32 v184, v184, v185, v186
	v_div_fixup_f32 v181, v184, v181, 1.0
	s_delay_alu instid0(VALU_DEP_1)
	v_mul_f32_e32 v180, v180, v181
	v_xor_b32_e32 v181, 0x80000000, v181
.LBB59_266:
	s_and_not1_saveexec_b32 s1, s1
	s_cbranch_execz .LBB59_268
; %bb.267:
	v_div_scale_f32 v180, null, v120, v120, v121
	v_div_scale_f32 v185, vcc_lo, v121, v120, v121
	s_delay_alu instid0(VALU_DEP_2) | instskip(SKIP_1) | instid1(TRANS32_DEP_1)
	v_rcp_f32_e32 v181, v180
	v_nop
	v_fma_f32 v184, -v180, v181, 1.0
	s_delay_alu instid0(VALU_DEP_1) | instskip(NEXT) | instid1(VALU_DEP_1)
	v_fmac_f32_e32 v181, v184, v181
	v_mul_f32_e32 v184, v185, v181
	s_delay_alu instid0(VALU_DEP_1) | instskip(NEXT) | instid1(VALU_DEP_1)
	v_fma_f32 v186, -v180, v184, v185
	v_fmac_f32_e32 v184, v186, v181
	s_delay_alu instid0(VALU_DEP_1) | instskip(NEXT) | instid1(VALU_DEP_1)
	v_fma_f32 v180, -v180, v184, v185
	v_div_fmas_f32 v180, v180, v181, v184
	s_delay_alu instid0(VALU_DEP_1) | instskip(NEXT) | instid1(VALU_DEP_1)
	v_div_fixup_f32 v181, v180, v120, v121
	v_fma_f32 v180, v121, v181, v120
	s_delay_alu instid0(VALU_DEP_1) | instskip(NEXT) | instid1(VALU_DEP_1)
	v_div_scale_f32 v184, null, v180, v180, 1.0
	v_rcp_f32_e32 v185, v184
	v_nop
	s_delay_alu instid0(TRANS32_DEP_1) | instskip(NEXT) | instid1(VALU_DEP_1)
	v_fma_f32 v186, -v184, v185, 1.0
	v_fmac_f32_e32 v185, v186, v185
	v_div_scale_f32 v186, vcc_lo, 1.0, v180, 1.0
	s_delay_alu instid0(VALU_DEP_1) | instskip(NEXT) | instid1(VALU_DEP_1)
	v_mul_f32_e32 v187, v186, v185
	v_fma_f32 v188, -v184, v187, v186
	s_delay_alu instid0(VALU_DEP_1) | instskip(NEXT) | instid1(VALU_DEP_1)
	v_fmac_f32_e32 v187, v188, v185
	v_fma_f32 v184, -v184, v187, v186
	s_delay_alu instid0(VALU_DEP_1) | instskip(NEXT) | instid1(VALU_DEP_1)
	v_div_fmas_f32 v184, v184, v185, v187
	v_div_fixup_f32 v180, v184, v180, 1.0
	s_delay_alu instid0(VALU_DEP_1)
	v_mul_f32_e64 v181, v181, -v180
.LBB59_268:
	s_or_b32 exec_lo, exec_lo, s1
	ds_store_b64 v183, v[180:181]
.LBB59_269:
	s_or_b32 exec_lo, exec_lo, s2
	s_wait_dscnt 0x0
	s_barrier_signal -1
	s_barrier_wait -1
	ds_load_b64 v[180:181], v183
	s_wait_dscnt 0x0
	s_barrier_signal -1
	s_barrier_wait -1
	s_and_saveexec_b32 s4, s0
	s_cbranch_execz .LBB59_272
; %bb.270:
	v_cmp_eq_f32_e32 vcc_lo, 0, v122
	v_cmp_eq_f32_e64 s0, 0, v123
	v_cmp_neq_f32_e64 s1, 0, v124
	v_cmp_neq_f32_e64 s2, 0, v125
	v_lshl_add_u64 v[2:3], v[2:3], 2, s[6:7]
	s_and_b32 s0, vcc_lo, s0
	s_delay_alu instid0(SALU_CYCLE_1)
	v_cndmask_b32_e64 v122, 0, 1, s0
	s_or_b32 s1, s1, s2
	global_load_b32 v123, v[2:3], off
	s_or_b32 vcc_lo, s1, s0
	v_cmp_eq_f32_e64 s0, 0, v127
	v_cndmask_b32_e32 v122, 2, v122, vcc_lo
	v_cmp_eq_f32_e32 vcc_lo, 0, v126
	s_delay_alu instid0(VALU_DEP_2) | instskip(SKIP_3) | instid1(SALU_CYCLE_1)
	v_cmp_eq_u32_e64 s1, 0, v122
	s_and_b32 s0, vcc_lo, s0
	v_cmp_eq_f32_e32 vcc_lo, 0, v128
	s_and_b32 s0, s0, s1
	v_cndmask_b32_e64 v122, v122, 3, s0
	v_cmp_eq_f32_e64 s0, 0, v129
	s_delay_alu instid0(VALU_DEP_2) | instskip(SKIP_3) | instid1(SALU_CYCLE_1)
	v_cmp_eq_u32_e64 s1, 0, v122
	s_and_b32 s0, vcc_lo, s0
	v_cmp_eq_f32_e32 vcc_lo, 0, v130
	s_and_b32 s0, s0, s1
	v_cndmask_b32_e64 v122, v122, 4, s0
	v_cmp_eq_f32_e64 s0, 0, v131
	;; [unrolled: 7-line block ×27, first 2 shown]
	s_delay_alu instid0(VALU_DEP_2) | instskip(SKIP_4) | instid1(SALU_CYCLE_1)
	v_cmp_eq_u32_e64 s1, 0, v122
	s_and_b32 s0, vcc_lo, s0
	s_wait_loadcnt 0x0
	v_cmp_eq_u32_e32 vcc_lo, 0, v123
	s_and_b32 s0, s0, s1
	v_cndmask_b32_e64 v122, v122, 30, s0
	s_delay_alu instid0(VALU_DEP_1) | instskip(SKIP_1) | instid1(SALU_CYCLE_1)
	v_cmp_ne_u32_e64 s0, 0, v122
	s_and_b32 s0, vcc_lo, s0
	s_and_b32 exec_lo, exec_lo, s0
	s_cbranch_execz .LBB59_272
; %bb.271:
	v_add_nc_u32_e32 v122, s3, v122
	global_store_b32 v[2:3], v122, off
.LBB59_272:
	s_wait_xcnt 0x0
	s_or_b32 exec_lo, exec_lo, s4
	v_pk_mul_f32 v[2:3], v[180:181], v[120:121] op_sel:[1,1] op_sel_hi:[0,1]
	s_clause 0x1
	global_store_b64 v[18:19], v[54:55], off
	global_store_b64 v[34:35], v[56:57], off
	v_cmp_lt_u32_e32 vcc_lo, 29, v182
	s_clause 0x2
	global_store_b64 v[6:7], v[46:47], off
	global_store_b64 v[12:13], v[44:45], off
	;; [unrolled: 1-line block ×3, first 2 shown]
	s_wait_xcnt 0x4
	v_pk_fma_f32 v[18:19], v[180:181], v[120:121], v[2:3] op_sel_hi:[1,0,1]
	v_pk_fma_f32 v[2:3], v[180:181], v[120:121], v[2:3] neg_lo:[0,0,1] neg_hi:[0,0,1]
	s_delay_alu instid0(VALU_DEP_1)
	v_dual_cndmask_b32 v3, v121, v19 :: v_dual_cndmask_b32 v2, v120, v2
	s_clause 0x18
	global_store_b64 v[0:1], v[24:25], off
	global_store_b64 v[4:5], v[26:27], off
	global_store_b64 v[8:9], v[22:23], off
	global_store_b64 v[10:11], v[40:41], off
	global_store_b64 v[16:17], v[36:37], off
	global_store_b64 v[20:21], v[38:39], off
	global_store_b64 v[30:31], v[88:89], off
	global_store_b64 v[32:33], v[108:109], off
	global_store_b64 v[42:43], v[60:61], off
	global_store_b64 v[48:49], v[62:63], off
	global_store_b64 v[50:51], v[58:59], off
	global_store_b64 v[52:53], v[78:79], off
	global_store_b64 v[64:65], v[74:75], off
	global_store_b64 v[66:67], v[76:77], off
	global_store_b64 v[68:69], v[72:73], off
	global_store_b64 v[70:71], v[98:99], off
	global_store_b64 v[80:81], v[94:95], off
	global_store_b64 v[82:83], v[96:97], off
	global_store_b64 v[84:85], v[92:93], off
	global_store_b64 v[86:87], v[114:115], off
	global_store_b64 v[100:101], v[110:111], off
	global_store_b64 v[102:103], v[112:113], off
	global_store_b64 v[104:105], v[118:119], off
	global_store_b64 v[106:107], v[116:117], off
	global_store_b64 v[90:91], v[2:3], off
.LBB59_273:
	s_sendmsg sendmsg(MSG_DEALLOC_VGPRS)
	s_endpgm
	.section	.rodata,"a",@progbits
	.p2align	6, 0x0
	.amdhsa_kernel _ZN9rocsolver6v33100L23getf2_npvt_small_kernelILi30E19rocblas_complex_numIfEiiPS3_EEvT1_T3_lS5_lPT2_S5_S5_
		.amdhsa_group_segment_fixed_size 0
		.amdhsa_private_segment_fixed_size 0
		.amdhsa_kernarg_size 312
		.amdhsa_user_sgpr_count 2
		.amdhsa_user_sgpr_dispatch_ptr 0
		.amdhsa_user_sgpr_queue_ptr 0
		.amdhsa_user_sgpr_kernarg_segment_ptr 1
		.amdhsa_user_sgpr_dispatch_id 0
		.amdhsa_user_sgpr_kernarg_preload_length 0
		.amdhsa_user_sgpr_kernarg_preload_offset 0
		.amdhsa_user_sgpr_private_segment_size 0
		.amdhsa_wavefront_size32 1
		.amdhsa_uses_dynamic_stack 0
		.amdhsa_enable_private_segment 0
		.amdhsa_system_sgpr_workgroup_id_x 1
		.amdhsa_system_sgpr_workgroup_id_y 1
		.amdhsa_system_sgpr_workgroup_id_z 0
		.amdhsa_system_sgpr_workgroup_info 0
		.amdhsa_system_vgpr_workitem_id 1
		.amdhsa_next_free_vgpr 196
		.amdhsa_next_free_sgpr 15
		.amdhsa_named_barrier_count 0
		.amdhsa_reserve_vcc 1
		.amdhsa_float_round_mode_32 0
		.amdhsa_float_round_mode_16_64 0
		.amdhsa_float_denorm_mode_32 3
		.amdhsa_float_denorm_mode_16_64 3
		.amdhsa_fp16_overflow 0
		.amdhsa_memory_ordered 1
		.amdhsa_forward_progress 1
		.amdhsa_inst_pref_size 255
		.amdhsa_round_robin_scheduling 0
		.amdhsa_exception_fp_ieee_invalid_op 0
		.amdhsa_exception_fp_denorm_src 0
		.amdhsa_exception_fp_ieee_div_zero 0
		.amdhsa_exception_fp_ieee_overflow 0
		.amdhsa_exception_fp_ieee_underflow 0
		.amdhsa_exception_fp_ieee_inexact 0
		.amdhsa_exception_int_div_zero 0
	.end_amdhsa_kernel
	.section	.text._ZN9rocsolver6v33100L23getf2_npvt_small_kernelILi30E19rocblas_complex_numIfEiiPS3_EEvT1_T3_lS5_lPT2_S5_S5_,"axG",@progbits,_ZN9rocsolver6v33100L23getf2_npvt_small_kernelILi30E19rocblas_complex_numIfEiiPS3_EEvT1_T3_lS5_lPT2_S5_S5_,comdat
.Lfunc_end59:
	.size	_ZN9rocsolver6v33100L23getf2_npvt_small_kernelILi30E19rocblas_complex_numIfEiiPS3_EEvT1_T3_lS5_lPT2_S5_S5_, .Lfunc_end59-_ZN9rocsolver6v33100L23getf2_npvt_small_kernelILi30E19rocblas_complex_numIfEiiPS3_EEvT1_T3_lS5_lPT2_S5_S5_
                                        ; -- End function
	.set _ZN9rocsolver6v33100L23getf2_npvt_small_kernelILi30E19rocblas_complex_numIfEiiPS3_EEvT1_T3_lS5_lPT2_S5_S5_.num_vgpr, 196
	.set _ZN9rocsolver6v33100L23getf2_npvt_small_kernelILi30E19rocblas_complex_numIfEiiPS3_EEvT1_T3_lS5_lPT2_S5_S5_.num_agpr, 0
	.set _ZN9rocsolver6v33100L23getf2_npvt_small_kernelILi30E19rocblas_complex_numIfEiiPS3_EEvT1_T3_lS5_lPT2_S5_S5_.numbered_sgpr, 15
	.set _ZN9rocsolver6v33100L23getf2_npvt_small_kernelILi30E19rocblas_complex_numIfEiiPS3_EEvT1_T3_lS5_lPT2_S5_S5_.num_named_barrier, 0
	.set _ZN9rocsolver6v33100L23getf2_npvt_small_kernelILi30E19rocblas_complex_numIfEiiPS3_EEvT1_T3_lS5_lPT2_S5_S5_.private_seg_size, 0
	.set _ZN9rocsolver6v33100L23getf2_npvt_small_kernelILi30E19rocblas_complex_numIfEiiPS3_EEvT1_T3_lS5_lPT2_S5_S5_.uses_vcc, 1
	.set _ZN9rocsolver6v33100L23getf2_npvt_small_kernelILi30E19rocblas_complex_numIfEiiPS3_EEvT1_T3_lS5_lPT2_S5_S5_.uses_flat_scratch, 0
	.set _ZN9rocsolver6v33100L23getf2_npvt_small_kernelILi30E19rocblas_complex_numIfEiiPS3_EEvT1_T3_lS5_lPT2_S5_S5_.has_dyn_sized_stack, 0
	.set _ZN9rocsolver6v33100L23getf2_npvt_small_kernelILi30E19rocblas_complex_numIfEiiPS3_EEvT1_T3_lS5_lPT2_S5_S5_.has_recursion, 0
	.set _ZN9rocsolver6v33100L23getf2_npvt_small_kernelILi30E19rocblas_complex_numIfEiiPS3_EEvT1_T3_lS5_lPT2_S5_S5_.has_indirect_call, 0
	.section	.AMDGPU.csdata,"",@progbits
; Kernel info:
; codeLenInByte = 46252
; TotalNumSgprs: 17
; NumVgprs: 196
; ScratchSize: 0
; MemoryBound: 0
; FloatMode: 240
; IeeeMode: 1
; LDSByteSize: 0 bytes/workgroup (compile time only)
; SGPRBlocks: 0
; VGPRBlocks: 12
; NumSGPRsForWavesPerEU: 17
; NumVGPRsForWavesPerEU: 196
; NamedBarCnt: 0
; Occupancy: 4
; WaveLimiterHint : 0
; COMPUTE_PGM_RSRC2:SCRATCH_EN: 0
; COMPUTE_PGM_RSRC2:USER_SGPR: 2
; COMPUTE_PGM_RSRC2:TRAP_HANDLER: 0
; COMPUTE_PGM_RSRC2:TGID_X_EN: 1
; COMPUTE_PGM_RSRC2:TGID_Y_EN: 1
; COMPUTE_PGM_RSRC2:TGID_Z_EN: 0
; COMPUTE_PGM_RSRC2:TIDIG_COMP_CNT: 1
	.section	.text._ZN9rocsolver6v33100L18getf2_small_kernelILi31E19rocblas_complex_numIfEiiPS3_EEvT1_T3_lS5_lPS5_llPT2_S5_S5_S7_l,"axG",@progbits,_ZN9rocsolver6v33100L18getf2_small_kernelILi31E19rocblas_complex_numIfEiiPS3_EEvT1_T3_lS5_lPS5_llPT2_S5_S5_S7_l,comdat
	.globl	_ZN9rocsolver6v33100L18getf2_small_kernelILi31E19rocblas_complex_numIfEiiPS3_EEvT1_T3_lS5_lPS5_llPT2_S5_S5_S7_l ; -- Begin function _ZN9rocsolver6v33100L18getf2_small_kernelILi31E19rocblas_complex_numIfEiiPS3_EEvT1_T3_lS5_lPS5_llPT2_S5_S5_S7_l
	.p2align	8
	.type	_ZN9rocsolver6v33100L18getf2_small_kernelILi31E19rocblas_complex_numIfEiiPS3_EEvT1_T3_lS5_lPS5_llPT2_S5_S5_S7_l,@function
_ZN9rocsolver6v33100L18getf2_small_kernelILi31E19rocblas_complex_numIfEiiPS3_EEvT1_T3_lS5_lPS5_llPT2_S5_S5_S7_l: ; @_ZN9rocsolver6v33100L18getf2_small_kernelILi31E19rocblas_complex_numIfEiiPS3_EEvT1_T3_lS5_lPS5_llPT2_S5_S5_S7_l
; %bb.0:
	s_clause 0x1
	s_load_u16 s2, s[0:1], 0x6e
	s_load_b64 s[16:17], s[0:1], 0x48
	s_bfe_u32 s3, ttmp6, 0x40010
	s_bfe_u32 s4, ttmp6, 0x40004
	s_add_co_i32 s3, s3, 1
	s_getreg_b32 s5, hwreg(HW_REG_IB_STS2, 6, 4)
	s_mul_i32 s3, ttmp7, s3
	v_bfe_u32 v70, v0, 10, 10
	s_add_co_i32 s4, s4, s3
	s_cmp_eq_u32 s5, 0
	s_cselect_b32 s3, ttmp7, s4
	s_wait_kmcnt 0x0
	v_mad_u32 v2, s3, s2, v70
	s_mov_b32 s2, exec_lo
	s_delay_alu instid0(VALU_DEP_1)
	v_cmpx_gt_i32_e64 s16, v2
	s_cbranch_execz .LBB60_652
; %bb.1:
	s_load_b128 s[4:7], s[0:1], 0x50
	v_mov_b64_e32 v[4:5], 0
	v_ashrrev_i32_e32 v3, 31, v2
	s_wait_kmcnt 0x0
	s_cmp_eq_u64 s[4:5], 0
	s_cselect_b32 s16, -1, 0
	s_delay_alu instid0(SALU_CYCLE_1)
	s_and_b32 vcc_lo, exec_lo, s16
	s_cbranch_vccnz .LBB60_3
; %bb.2:
	v_mul_u64_e32 v[4:5], s[6:7], v[2:3]
	s_delay_alu instid0(VALU_DEP_1)
	v_lshl_add_u64 v[4:5], v[4:5], 2, s[4:5]
.LBB60_3:
	s_clause 0x2
	s_load_b32 s2, s[0:1], 0x18
	s_load_b128 s[12:15], s[0:1], 0x8
	s_load_b32 s18, s[0:1], 0x0
	v_and_b32_e32 v75, 0x3ff, v0
	s_load_b256 s[4:11], s[0:1], 0x20
	s_delay_alu instid0(VALU_DEP_1) | instskip(SKIP_4) | instid1(VALU_DEP_2)
	v_dual_mov_b32 v69, 0 :: v_dual_lshlrev_b32 v68, 3, v75
	s_wait_kmcnt 0x0
	v_add3_u32 v6, s2, s2, v75
	s_ashr_i32 s3, s2, 31
	v_mul_u64_e32 v[0:1], s[4:5], v[2:3]
	v_add_nc_u32_e32 v8, s2, v6
	s_max_i32 s4, s18, 31
	s_cmp_lt_i32 s18, 2
	s_delay_alu instid0(VALU_DEP_1) | instskip(NEXT) | instid1(VALU_DEP_1)
	v_add_nc_u32_e32 v10, s2, v8
	v_add_nc_u32_e32 v12, s2, v10
	s_delay_alu instid0(VALU_DEP_1) | instskip(NEXT) | instid1(VALU_DEP_1)
	v_add_nc_u32_e32 v14, s2, v12
	v_dual_ashrrev_i32 v9, 31, v8 :: v_dual_add_nc_u32 v16, s2, v14
	s_delay_alu instid0(VALU_DEP_1) | instskip(SKIP_1) | instid1(VALU_DEP_1)
	v_dual_ashrrev_i32 v15, 31, v14 :: v_dual_ashrrev_i32 v17, 31, v16
	v_dual_add_nc_u32 v18, s2, v16 :: v_dual_ashrrev_i32 v11, 31, v10
	v_dual_ashrrev_i32 v13, 31, v12 :: v_dual_add_nc_u32 v20, s2, v18
	v_lshl_add_u64 v[0:1], v[0:1], 3, s[12:13]
	s_delay_alu instid0(VALU_DEP_2) | instskip(NEXT) | instid1(VALU_DEP_2)
	v_add_nc_u32_e32 v22, s2, v20
	v_lshl_add_u64 v[0:1], s[14:15], 3, v[0:1]
	s_delay_alu instid0(VALU_DEP_2) | instskip(NEXT) | instid1(VALU_DEP_2)
	v_add_nc_u32_e32 v24, s2, v22
	v_lshl_add_u64 v[10:11], v[10:11], 3, v[0:1]
	v_lshl_add_u64 v[12:13], v[12:13], 3, v[0:1]
	;; [unrolled: 1-line block ×4, first 2 shown]
	v_add_nc_u32_e32 v26, s2, v24
	v_add_nc_u64_e32 v[34:35], v[0:1], v[68:69]
	v_lshl_add_u64 v[42:43], v[8:9], 3, v[0:1]
	v_ashrrev_i32_e32 v21, 31, v20
	s_delay_alu instid0(VALU_DEP_4) | instskip(SKIP_2) | instid1(VALU_DEP_4)
	v_dual_ashrrev_i32 v25, 31, v24 :: v_dual_add_nc_u32 v28, s2, v26
	v_ashrrev_i32_e32 v7, 31, v6
	v_ashrrev_i32_e32 v27, 31, v26
	v_lshl_add_u64 v[20:21], v[20:21], 3, v[0:1]
	s_delay_alu instid0(VALU_DEP_4) | instskip(NEXT) | instid1(VALU_DEP_4)
	v_add_nc_u32_e32 v30, s2, v28
	v_lshl_add_u64 v[36:37], v[6:7], 3, v[0:1]
	s_clause 0x3
	global_load_b64 v[40:41], v[10:11], off
	global_load_b64 v[38:39], v[12:13], off
	global_load_b64 v[8:9], v[14:15], off
	global_load_b64 v[6:7], v[16:17], off
	s_wait_xcnt 0x3
	v_lshl_add_u64 v[10:11], s[2:3], 3, v[34:35]
	s_clause 0x3
	global_load_b64 v[60:61], v[36:37], off
	global_load_b64 v[58:59], v[42:43], off
	;; [unrolled: 1-line block ×4, first 2 shown]
	v_add_nc_u32_e32 v32, s2, v30
	v_dual_ashrrev_i32 v19, 31, v18 :: v_dual_ashrrev_i32 v29, 31, v28
	v_ashrrev_i32_e32 v31, 31, v30
	s_wait_xcnt 0x4
	v_lshl_add_u64 v[16:17], v[24:25], 3, v[0:1]
	v_add_nc_u32_e32 v50, s2, v32
	v_lshl_add_u64 v[18:19], v[18:19], 3, v[0:1]
	s_delay_alu instid0(VALU_DEP_2) | instskip(NEXT) | instid1(VALU_DEP_1)
	v_dual_ashrrev_i32 v33, 31, v32 :: v_dual_add_nc_u32 v52, s2, v50
	v_dual_ashrrev_i32 v23, 31, v22 :: v_dual_add_nc_u32 v54, s2, v52
	s_delay_alu instid0(VALU_DEP_1)
	v_lshl_add_u64 v[14:15], v[22:23], 3, v[0:1]
	s_clause 0x3
	global_load_b64 v[44:45], v[18:19], off
	global_load_b64 v[42:43], v[20:21], off
	;; [unrolled: 1-line block ×4, first 2 shown]
	v_add_nc_u32_e32 v22, s2, v54
	s_wait_xcnt 0x2
	v_lshl_add_u64 v[20:21], v[26:27], 3, v[0:1]
	v_lshl_add_u64 v[26:27], v[28:29], 3, v[0:1]
	;; [unrolled: 1-line block ×4, first 2 shown]
	v_add_nc_u32_e32 v24, s2, v22
	s_clause 0x3
	global_load_b64 v[48:49], v[20:21], off
	global_load_b64 v[46:47], v[26:27], off
	;; [unrolled: 1-line block ×4, first 2 shown]
	v_ashrrev_i32_e32 v53, 31, v52
	v_dual_add_nc_u32 v18, s2, v24 :: v_dual_ashrrev_i32 v25, 31, v24
	s_delay_alu instid0(VALU_DEP_1) | instskip(NEXT) | instid1(VALU_DEP_2)
	v_add_nc_u32_e32 v34, s2, v18
	v_lshl_add_u64 v[24:25], v[24:25], 3, v[0:1]
	s_delay_alu instid0(VALU_DEP_2) | instskip(NEXT) | instid1(VALU_DEP_1)
	v_add_nc_u32_e32 v32, s2, v34
	v_dual_ashrrev_i32 v23, 31, v22 :: v_dual_ashrrev_i32 v33, 31, v32
	s_wait_xcnt 0x3
	v_dual_add_nc_u32 v20, s2, v32 :: v_dual_ashrrev_i32 v51, 31, v50
	s_delay_alu instid0(VALU_DEP_2) | instskip(SKIP_2) | instid1(VALU_DEP_4)
	v_lshl_add_u64 v[22:23], v[22:23], 3, v[0:1]
	v_ashrrev_i32_e32 v19, 31, v18
	v_lshl_add_u64 v[32:33], v[32:33], 3, v[0:1]
	v_dual_add_nc_u32 v36, s2, v20 :: v_dual_ashrrev_i32 v55, 31, v54
	s_wait_xcnt 0x0
	v_lshl_add_u64 v[30:31], v[50:51], 3, v[0:1]
	v_lshl_add_u64 v[50:51], v[52:53], 3, v[0:1]
	v_ashrrev_i32_e32 v21, 31, v20
	v_add_nc_u32_e32 v66, s2, v36
	v_lshl_add_u64 v[52:53], v[54:55], 3, v[0:1]
	s_clause 0x3
	global_load_b64 v[56:57], v[30:31], off
	global_load_b64 v[54:55], v[50:51], off
	;; [unrolled: 1-line block ×4, first 2 shown]
	s_wait_xcnt 0x3
	v_dual_add_nc_u32 v30, s2, v66 :: v_dual_ashrrev_i32 v37, 31, v36
	v_lshl_add_u64 v[72:73], v[18:19], 3, v[0:1]
	s_delay_alu instid0(VALU_DEP_2) | instskip(SKIP_1) | instid1(VALU_DEP_4)
	v_dual_add_nc_u32 v76, s2, v30 :: v_dual_ashrrev_i32 v31, 31, v30
	v_ashrrev_i32_e32 v35, 31, v34
	v_lshl_add_u64 v[80:81], v[36:37], 3, v[0:1]
	s_delay_alu instid0(VALU_DEP_3) | instskip(NEXT) | instid1(VALU_DEP_3)
	v_dual_add_nc_u32 v78, s2, v76 :: v_dual_ashrrev_i32 v77, 31, v76
	v_lshl_add_u64 v[34:35], v[34:35], 3, v[0:1]
	s_clause 0x3
	global_load_b64 v[52:53], v[24:25], off
	global_load_b64 v[50:51], v[72:73], off
	;; [unrolled: 1-line block ×4, first 2 shown]
	s_wait_xcnt 0x2
	v_lshl_add_u64 v[72:73], v[20:21], 3, v[0:1]
	v_add_nc_u32_e32 v20, s2, v78
	v_ashrrev_i32_e32 v67, 31, v66
	v_ashrrev_i32_e32 v79, 31, v78
	v_lshl_add_u64 v[84:85], v[30:31], 3, v[0:1]
	v_lshl_add_u64 v[76:77], v[76:77], 3, v[0:1]
	v_ashrrev_i32_e32 v21, 31, v20
	v_lshl_add_u64 v[82:83], v[66:67], 3, v[0:1]
	v_lshl_add_u64 v[78:79], v[78:79], 3, v[0:1]
	s_delay_alu instid0(VALU_DEP_3)
	v_lshl_add_u64 v[86:87], v[20:21], 3, v[0:1]
	s_clause 0x6
	global_load_b64 v[36:37], v[72:73], off
	global_load_b64 v[34:35], v[80:81], off
	global_load_b64 v[20:21], v[82:83], off
	global_load_b64 v[32:33], v[84:85], off
	global_load_b64 v[30:31], v[76:77], off
	global_load_b64 v[24:25], v[78:79], off
	global_load_b64 v[66:67], v[86:87], off
	s_wait_xcnt 0x6
	v_mul_lo_u32 v73, s4, v70
	s_load_b64 s[4:5], s[0:1], 0x40
	s_delay_alu instid0(VALU_DEP_1) | instskip(NEXT) | instid1(VALU_DEP_1)
	v_lshl_add_u32 v72, v73, 3, 0
	v_dual_lshlrev_b32 v73, 3, v73 :: v_dual_add_nc_u32 v68, v72, v68
	s_wait_loadcnt 0x18
	ds_store_b64 v68, v[62:63]
	s_wait_loadcnt_dscnt 0x0
	s_barrier_signal -1
	s_barrier_wait -1
	ds_load_b64 v[70:71], v72
	s_cbranch_scc1 .LBB60_6
; %bb.4:
	v_add3_u32 v68, v73, 0, 8
	v_mov_b32_e32 v69, 0
	s_wait_xcnt 0x0
	s_mov_b32 s1, 1
.LBB60_5:                               ; =>This Inner Loop Header: Depth=1
	ds_load_b64 v[76:77], v68
	s_wait_dscnt 0x1
	v_cmp_gt_f32_e32 vcc_lo, 0, v70
	v_cmp_gt_f32_e64 s0, 0, v71
	s_delay_alu instid0(VALU_DEP_1) | instskip(SKIP_3) | instid1(VALU_DEP_1)
	v_dual_cndmask_b32 v78, v70, -v70, vcc_lo :: v_dual_cndmask_b32 v80, v71, -v71, s0
	s_wait_dscnt 0x0
	v_cmp_gt_f32_e32 vcc_lo, 0, v76
	v_cmp_gt_f32_e64 s0, 0, v77
	v_dual_cndmask_b32 v79, v76, -v76, vcc_lo :: v_dual_cndmask_b32 v81, v77, -v77, s0
	s_delay_alu instid0(VALU_DEP_1) | instskip(NEXT) | instid1(VALU_DEP_1)
	v_pk_add_f32 v[78:79], v[78:79], v[80:81]
	v_cmp_lt_f32_e32 vcc_lo, v78, v79
	v_dual_cndmask_b32 v71, v71, v77 :: v_dual_add_nc_u32 v68, 8, v68
	v_cndmask_b32_e32 v70, v70, v76, vcc_lo
	v_cndmask_b32_e64 v69, v69, s1, vcc_lo
	s_add_co_i32 s1, s1, 1
	s_delay_alu instid0(SALU_CYCLE_1)
	s_cmp_eq_u32 s18, s1
	s_cbranch_scc0 .LBB60_5
.LBB60_6:
	s_wait_dscnt 0x0
	v_cmp_neq_f32_e32 vcc_lo, 0, v70
	s_wait_xcnt 0x0
	v_cmp_neq_f32_e64 s0, 0, v71
	v_dual_mov_b32 v74, 1 :: v_dual_mov_b32 v77, 1
	s_or_b32 s1, vcc_lo, s0
	s_delay_alu instid0(SALU_CYCLE_1)
	s_and_saveexec_b32 s0, s1
	s_cbranch_execz .LBB60_12
; %bb.7:
	v_cmp_ngt_f32_e64 s1, |v70|, |v71|
	s_and_saveexec_b32 s12, s1
	s_delay_alu instid0(SALU_CYCLE_1)
	s_xor_b32 s1, exec_lo, s12
	s_cbranch_execz .LBB60_9
; %bb.8:
	v_div_scale_f32 v68, null, v71, v71, v70
	v_div_scale_f32 v77, vcc_lo, v70, v71, v70
	s_delay_alu instid0(VALU_DEP_2) | instskip(SKIP_1) | instid1(TRANS32_DEP_1)
	v_rcp_f32_e32 v74, v68
	v_nop
	v_fma_f32 v76, -v68, v74, 1.0
	s_delay_alu instid0(VALU_DEP_1) | instskip(NEXT) | instid1(VALU_DEP_1)
	v_fmac_f32_e32 v74, v76, v74
	v_mul_f32_e32 v76, v77, v74
	s_delay_alu instid0(VALU_DEP_1) | instskip(NEXT) | instid1(VALU_DEP_1)
	v_fma_f32 v78, -v68, v76, v77
	v_fmac_f32_e32 v76, v78, v74
	s_delay_alu instid0(VALU_DEP_1) | instskip(NEXT) | instid1(VALU_DEP_1)
	v_fma_f32 v68, -v68, v76, v77
	v_div_fmas_f32 v68, v68, v74, v76
	s_delay_alu instid0(VALU_DEP_1) | instskip(NEXT) | instid1(VALU_DEP_1)
	v_div_fixup_f32 v68, v68, v71, v70
	v_fmac_f32_e32 v71, v70, v68
	s_delay_alu instid0(VALU_DEP_1) | instskip(SKIP_1) | instid1(VALU_DEP_2)
	v_div_scale_f32 v70, null, v71, v71, 1.0
	v_div_scale_f32 v77, vcc_lo, 1.0, v71, 1.0
	v_rcp_f32_e32 v74, v70
	v_nop
	s_delay_alu instid0(TRANS32_DEP_1) | instskip(NEXT) | instid1(VALU_DEP_1)
	v_fma_f32 v76, -v70, v74, 1.0
	v_fmac_f32_e32 v74, v76, v74
	s_delay_alu instid0(VALU_DEP_1) | instskip(NEXT) | instid1(VALU_DEP_1)
	v_mul_f32_e32 v76, v77, v74
	v_fma_f32 v78, -v70, v76, v77
	s_delay_alu instid0(VALU_DEP_1) | instskip(NEXT) | instid1(VALU_DEP_1)
	v_fmac_f32_e32 v76, v78, v74
	v_fma_f32 v70, -v70, v76, v77
	s_delay_alu instid0(VALU_DEP_1) | instskip(NEXT) | instid1(VALU_DEP_1)
	v_div_fmas_f32 v70, v70, v74, v76
	v_div_fixup_f32 v71, v70, v71, 1.0
	s_delay_alu instid0(VALU_DEP_1)
	v_mul_f32_e32 v70, v68, v71
	v_xor_b32_e32 v71, 0x80000000, v71
.LBB60_9:
	s_and_not1_saveexec_b32 s1, s1
	s_cbranch_execz .LBB60_11
; %bb.10:
	s_delay_alu instid0(VALU_DEP_1) | instskip(SKIP_1) | instid1(VALU_DEP_2)
	v_div_scale_f32 v68, null, v70, v70, v71
	v_div_scale_f32 v77, vcc_lo, v71, v70, v71
	v_rcp_f32_e32 v74, v68
	v_nop
	s_delay_alu instid0(TRANS32_DEP_1) | instskip(NEXT) | instid1(VALU_DEP_1)
	v_fma_f32 v76, -v68, v74, 1.0
	v_fmac_f32_e32 v74, v76, v74
	s_delay_alu instid0(VALU_DEP_1) | instskip(NEXT) | instid1(VALU_DEP_1)
	v_mul_f32_e32 v76, v77, v74
	v_fma_f32 v78, -v68, v76, v77
	s_delay_alu instid0(VALU_DEP_1) | instskip(NEXT) | instid1(VALU_DEP_1)
	v_fmac_f32_e32 v76, v78, v74
	v_fma_f32 v68, -v68, v76, v77
	s_delay_alu instid0(VALU_DEP_1) | instskip(NEXT) | instid1(VALU_DEP_1)
	v_div_fmas_f32 v68, v68, v74, v76
	v_div_fixup_f32 v68, v68, v70, v71
	s_delay_alu instid0(VALU_DEP_1) | instskip(NEXT) | instid1(VALU_DEP_1)
	v_fmac_f32_e32 v70, v71, v68
	v_div_scale_f32 v71, null, v70, v70, 1.0
	s_delay_alu instid0(VALU_DEP_1) | instskip(SKIP_1) | instid1(TRANS32_DEP_1)
	v_rcp_f32_e32 v74, v71
	v_nop
	v_fma_f32 v76, -v71, v74, 1.0
	s_delay_alu instid0(VALU_DEP_1) | instskip(SKIP_1) | instid1(VALU_DEP_1)
	v_fmac_f32_e32 v74, v76, v74
	v_div_scale_f32 v76, vcc_lo, 1.0, v70, 1.0
	v_mul_f32_e32 v77, v76, v74
	s_delay_alu instid0(VALU_DEP_1) | instskip(NEXT) | instid1(VALU_DEP_1)
	v_fma_f32 v78, -v71, v77, v76
	v_fmac_f32_e32 v77, v78, v74
	s_delay_alu instid0(VALU_DEP_1) | instskip(NEXT) | instid1(VALU_DEP_1)
	v_fma_f32 v71, -v71, v77, v76
	v_div_fmas_f32 v71, v71, v74, v77
	s_delay_alu instid0(VALU_DEP_1) | instskip(NEXT) | instid1(VALU_DEP_1)
	v_div_fixup_f32 v70, v71, v70, 1.0
	v_mul_f32_e64 v71, v68, -v70
.LBB60_11:
	s_or_b32 exec_lo, exec_lo, s1
	v_dual_mov_b32 v77, 0 :: v_dual_mov_b32 v74, 2
.LBB60_12:
	s_or_b32 exec_lo, exec_lo, s0
	s_delay_alu instid0(SALU_CYCLE_1)
	s_mov_b32 s0, exec_lo
	v_cmpx_ne_u32_e64 v75, v69
	s_xor_b32 s0, exec_lo, s0
	s_cbranch_execz .LBB60_18
; %bb.13:
	s_mov_b32 s1, exec_lo
	v_cmpx_eq_u32_e32 0, v75
	s_cbranch_execz .LBB60_17
; %bb.14:
	v_cmp_ne_u32_e32 vcc_lo, 0, v69
	s_xor_b32 s12, s16, -1
	s_delay_alu instid0(SALU_CYCLE_1) | instskip(NEXT) | instid1(SALU_CYCLE_1)
	s_and_b32 s13, s12, vcc_lo
	s_and_saveexec_b32 s12, s13
	s_cbranch_execz .LBB60_16
; %bb.15:
	v_dual_mov_b32 v78, v69 :: v_dual_ashrrev_i32 v79, 31, v69
	s_delay_alu instid0(VALU_DEP_1)
	v_lshl_add_u64 v[78:79], v[78:79], 2, v[4:5]
	s_clause 0x1
	global_load_b32 v68, v[78:79], off
	global_load_b32 v75, v[4:5], off
	s_wait_loadcnt 0x1
	global_store_b32 v[4:5], v68, off
	s_wait_loadcnt 0x0
	global_store_b32 v[78:79], v75, off
.LBB60_16:
	s_wait_xcnt 0x0
	s_or_b32 exec_lo, exec_lo, s12
	v_mov_b32_e32 v75, v69
.LBB60_17:
	s_or_b32 exec_lo, exec_lo, s1
.LBB60_18:
	s_or_saveexec_b32 s0, s0
	s_delay_alu instid0(VALU_DEP_1)
	v_mov_b32_e32 v76, v75
	s_xor_b32 exec_lo, exec_lo, s0
	s_cbranch_execz .LBB60_20
; %bb.19:
	v_mov_b32_e32 v76, 0
	ds_store_2addr_b64 v72, v[64:65], v[60:61] offset0:1 offset1:2
	ds_store_2addr_b64 v72, v[58:59], v[40:41] offset0:3 offset1:4
	;; [unrolled: 1-line block ×15, first 2 shown]
.LBB60_20:
	s_or_b32 exec_lo, exec_lo, s0
	s_delay_alu instid0(SALU_CYCLE_1)
	s_mov_b32 s0, exec_lo
	s_wait_storecnt_dscnt 0x0
	s_barrier_signal -1
	s_barrier_wait -1
	v_cmpx_lt_i32_e32 0, v76
	s_cbranch_execz .LBB60_22
; %bb.21:
	v_pk_mul_f32 v[78:79], v[70:71], v[62:63] op_sel:[1,1] op_sel_hi:[0,1]
	s_delay_alu instid0(VALU_DEP_1)
	v_pk_fma_f32 v[68:69], v[70:71], v[62:63], v[78:79] op_sel_hi:[1,0,1] neg_lo:[0,0,1] neg_hi:[0,0,1]
	v_pk_fma_f32 v[70:71], v[70:71], v[62:63], v[78:79] op_sel_hi:[1,0,1]
	ds_load_2addr_b64 v[78:81], v72 offset0:1 offset1:2
	v_dual_mov_b32 v62, v68 :: v_dual_mov_b32 v63, v71
	s_wait_dscnt 0x0
	v_pk_mul_f32 v[82:83], v[78:79], v[70:71] op_sel:[0,1]
	s_delay_alu instid0(VALU_DEP_1) | instskip(SKIP_1) | instid1(VALU_DEP_1)
	v_pk_fma_f32 v[84:85], v[78:79], v[68:69], v[82:83] op_sel:[0,0,1] op_sel_hi:[1,1,0] neg_lo:[0,0,1] neg_hi:[0,0,1]
	v_pk_fma_f32 v[78:79], v[78:79], v[68:69], v[82:83] op_sel:[0,0,1] op_sel_hi:[1,0,0]
	v_mov_b32_e32 v85, v79
	v_pk_mul_f32 v[78:79], v[80:81], v[70:71] op_sel:[0,1]
	s_delay_alu instid0(VALU_DEP_1) | instskip(SKIP_1) | instid1(VALU_DEP_1)
	v_pk_fma_f32 v[82:83], v[80:81], v[68:69], v[78:79] op_sel:[0,0,1] op_sel_hi:[1,1,0] neg_lo:[0,0,1] neg_hi:[0,0,1]
	v_pk_fma_f32 v[78:79], v[80:81], v[68:69], v[78:79] op_sel:[0,0,1] op_sel_hi:[1,0,0]
	v_mov_b32_e32 v83, v79
	ds_load_2addr_b64 v[78:81], v72 offset0:3 offset1:4
	v_pk_add_f32 v[64:65], v[64:65], v[84:85] neg_lo:[0,1] neg_hi:[0,1]
	v_pk_add_f32 v[60:61], v[60:61], v[82:83] neg_lo:[0,1] neg_hi:[0,1]
	s_wait_dscnt 0x0
	v_pk_mul_f32 v[82:83], v[78:79], v[70:71] op_sel:[0,1]
	s_delay_alu instid0(VALU_DEP_1) | instskip(SKIP_2) | instid1(VALU_DEP_2)
	v_pk_fma_f32 v[84:85], v[78:79], v[68:69], v[82:83] op_sel:[0,0,1] op_sel_hi:[1,1,0] neg_lo:[0,0,1] neg_hi:[0,0,1]
	v_pk_fma_f32 v[78:79], v[78:79], v[68:69], v[82:83] op_sel:[0,0,1] op_sel_hi:[1,0,0]
	v_dual_mul_f32 v82, v81, v71 :: v_dual_mov_b32 v78, v81
	v_dual_mov_b32 v85, v79 :: v_dual_mov_b32 v79, v80
	s_delay_alu instid0(VALU_DEP_2) | instskip(SKIP_1) | instid1(VALU_DEP_3)
	v_pk_fma_f32 v[82:83], v[80:81], v[62:63], v[82:83] op_sel_hi:[1,1,0] neg_lo:[0,0,1] neg_hi:[0,0,1]
	v_mul_f32_e32 v80, v81, v68
	v_pk_add_f32 v[58:59], v[58:59], v[84:85] neg_lo:[0,1] neg_hi:[0,1]
	s_delay_alu instid0(VALU_DEP_2) | instskip(NEXT) | instid1(VALU_DEP_1)
	v_pk_fma_f32 v[78:79], v[78:79], v[62:63], v[80:81] op_sel_hi:[1,1,0]
	v_mov_b32_e32 v83, v79
	ds_load_2addr_b64 v[78:81], v72 offset0:5 offset1:6
	v_pk_add_f32 v[40:41], v[40:41], v[82:83] neg_lo:[0,1] neg_hi:[0,1]
	s_wait_dscnt 0x0
	v_pk_mul_f32 v[82:83], v[78:79], v[70:71] op_sel:[0,1]
	s_delay_alu instid0(VALU_DEP_1) | instskip(SKIP_1) | instid1(VALU_DEP_1)
	v_pk_fma_f32 v[84:85], v[78:79], v[68:69], v[82:83] op_sel:[0,0,1] op_sel_hi:[1,1,0] neg_lo:[0,0,1] neg_hi:[0,0,1]
	v_pk_fma_f32 v[78:79], v[78:79], v[68:69], v[82:83] op_sel:[0,0,1] op_sel_hi:[1,0,0]
	v_mov_b32_e32 v85, v79
	v_pk_mul_f32 v[78:79], v[80:81], v[70:71] op_sel:[0,1]
	s_delay_alu instid0(VALU_DEP_1) | instskip(SKIP_1) | instid1(VALU_DEP_1)
	v_pk_fma_f32 v[82:83], v[80:81], v[68:69], v[78:79] op_sel:[0,0,1] op_sel_hi:[1,1,0] neg_lo:[0,0,1] neg_hi:[0,0,1]
	v_pk_fma_f32 v[78:79], v[80:81], v[68:69], v[78:79] op_sel:[0,0,1] op_sel_hi:[1,0,0]
	v_mov_b32_e32 v83, v79
	ds_load_2addr_b64 v[78:81], v72 offset0:7 offset1:8
	v_pk_add_f32 v[38:39], v[38:39], v[84:85] neg_lo:[0,1] neg_hi:[0,1]
	v_pk_add_f32 v[8:9], v[8:9], v[82:83] neg_lo:[0,1] neg_hi:[0,1]
	s_wait_dscnt 0x0
	v_pk_mul_f32 v[82:83], v[78:79], v[70:71] op_sel:[0,1]
	s_delay_alu instid0(VALU_DEP_1) | instskip(SKIP_1) | instid1(VALU_DEP_1)
	v_pk_fma_f32 v[84:85], v[78:79], v[68:69], v[82:83] op_sel:[0,0,1] op_sel_hi:[1,1,0] neg_lo:[0,0,1] neg_hi:[0,0,1]
	v_pk_fma_f32 v[78:79], v[78:79], v[68:69], v[82:83] op_sel:[0,0,1] op_sel_hi:[1,0,0]
	v_mov_b32_e32 v85, v79
	v_pk_mul_f32 v[78:79], v[80:81], v[70:71] op_sel:[0,1]
	s_delay_alu instid0(VALU_DEP_1) | instskip(SKIP_1) | instid1(VALU_DEP_1)
	v_pk_fma_f32 v[82:83], v[80:81], v[68:69], v[78:79] op_sel:[0,0,1] op_sel_hi:[1,1,0] neg_lo:[0,0,1] neg_hi:[0,0,1]
	v_pk_fma_f32 v[78:79], v[80:81], v[68:69], v[78:79] op_sel:[0,0,1] op_sel_hi:[1,0,0]
	v_mov_b32_e32 v83, v79
	ds_load_2addr_b64 v[78:81], v72 offset0:9 offset1:10
	v_pk_add_f32 v[6:7], v[6:7], v[84:85] neg_lo:[0,1] neg_hi:[0,1]
	v_pk_add_f32 v[44:45], v[44:45], v[82:83] neg_lo:[0,1] neg_hi:[0,1]
	s_wait_dscnt 0x0
	v_dual_mul_f32 v82, v79, v71 :: v_dual_mul_f32 v84, v79, v68
	s_delay_alu instid0(VALU_DEP_1) | instskip(NEXT) | instid1(VALU_DEP_2)
	v_pk_fma_f32 v[82:83], v[78:79], v[62:63], v[82:83] op_sel_hi:[1,1,0] neg_lo:[0,0,1] neg_hi:[0,0,1]
	v_pk_fma_f32 v[78:79], v[78:79], v[62:63], v[84:85] op_sel:[1,0,0] op_sel_hi:[0,1,0]
	s_delay_alu instid0(VALU_DEP_1) | instskip(SKIP_1) | instid1(VALU_DEP_2)
	v_mov_b32_e32 v83, v79
	v_pk_mul_f32 v[78:79], v[80:81], v[70:71] op_sel:[0,1]
	v_pk_add_f32 v[42:43], v[42:43], v[82:83] neg_lo:[0,1] neg_hi:[0,1]
	s_delay_alu instid0(VALU_DEP_2) | instskip(SKIP_1) | instid1(VALU_DEP_1)
	v_pk_fma_f32 v[82:83], v[80:81], v[68:69], v[78:79] op_sel:[0,0,1] op_sel_hi:[1,1,0] neg_lo:[0,0,1] neg_hi:[0,0,1]
	v_pk_fma_f32 v[78:79], v[80:81], v[68:69], v[78:79] op_sel:[0,0,1] op_sel_hi:[1,0,0]
	v_mov_b32_e32 v83, v79
	ds_load_2addr_b64 v[78:81], v72 offset0:11 offset1:12
	v_pk_add_f32 v[12:13], v[12:13], v[82:83] neg_lo:[0,1] neg_hi:[0,1]
	s_wait_dscnt 0x0
	v_pk_mul_f32 v[82:83], v[78:79], v[70:71] op_sel:[0,1]
	s_delay_alu instid0(VALU_DEP_1) | instskip(SKIP_1) | instid1(VALU_DEP_1)
	v_pk_fma_f32 v[84:85], v[78:79], v[68:69], v[82:83] op_sel:[0,0,1] op_sel_hi:[1,1,0] neg_lo:[0,0,1] neg_hi:[0,0,1]
	v_pk_fma_f32 v[78:79], v[78:79], v[68:69], v[82:83] op_sel:[0,0,1] op_sel_hi:[1,0,0]
	v_mov_b32_e32 v85, v79
	v_pk_mul_f32 v[78:79], v[80:81], v[70:71] op_sel:[0,1]
	s_delay_alu instid0(VALU_DEP_2) | instskip(NEXT) | instid1(VALU_DEP_2)
	v_pk_add_f32 v[10:11], v[10:11], v[84:85] neg_lo:[0,1] neg_hi:[0,1]
	v_pk_fma_f32 v[82:83], v[80:81], v[68:69], v[78:79] op_sel:[0,0,1] op_sel_hi:[1,1,0] neg_lo:[0,0,1] neg_hi:[0,0,1]
	v_pk_fma_f32 v[78:79], v[80:81], v[68:69], v[78:79] op_sel:[0,0,1] op_sel_hi:[1,0,0]
	s_delay_alu instid0(VALU_DEP_1) | instskip(SKIP_4) | instid1(VALU_DEP_1)
	v_mov_b32_e32 v83, v79
	ds_load_2addr_b64 v[78:81], v72 offset0:13 offset1:14
	v_pk_add_f32 v[48:49], v[48:49], v[82:83] neg_lo:[0,1] neg_hi:[0,1]
	s_wait_dscnt 0x0
	v_pk_mul_f32 v[82:83], v[78:79], v[70:71] op_sel:[0,1]
	v_pk_fma_f32 v[84:85], v[78:79], v[68:69], v[82:83] op_sel:[0,0,1] op_sel_hi:[1,1,0] neg_lo:[0,0,1] neg_hi:[0,0,1]
	v_pk_fma_f32 v[78:79], v[78:79], v[68:69], v[82:83] op_sel:[0,0,1] op_sel_hi:[1,0,0]
	v_dual_mul_f32 v82, v81, v71 :: v_dual_mov_b32 v78, v81
	s_delay_alu instid0(VALU_DEP_2) | instskip(NEXT) | instid1(VALU_DEP_2)
	v_dual_mov_b32 v85, v79 :: v_dual_mov_b32 v79, v80
	v_pk_fma_f32 v[82:83], v[80:81], v[62:63], v[82:83] op_sel_hi:[1,1,0] neg_lo:[0,0,1] neg_hi:[0,0,1]
	v_mul_f32_e32 v80, v81, v68
	s_delay_alu instid0(VALU_DEP_3) | instskip(NEXT) | instid1(VALU_DEP_2)
	v_pk_add_f32 v[46:47], v[46:47], v[84:85] neg_lo:[0,1] neg_hi:[0,1]
	v_pk_fma_f32 v[78:79], v[78:79], v[62:63], v[80:81] op_sel_hi:[1,1,0]
	s_delay_alu instid0(VALU_DEP_1) | instskip(SKIP_4) | instid1(VALU_DEP_1)
	v_mov_b32_e32 v83, v79
	ds_load_2addr_b64 v[78:81], v72 offset0:15 offset1:16
	v_pk_add_f32 v[16:17], v[16:17], v[82:83] neg_lo:[0,1] neg_hi:[0,1]
	s_wait_dscnt 0x0
	v_pk_mul_f32 v[82:83], v[78:79], v[70:71] op_sel:[0,1]
	v_pk_fma_f32 v[84:85], v[78:79], v[68:69], v[82:83] op_sel:[0,0,1] op_sel_hi:[1,1,0] neg_lo:[0,0,1] neg_hi:[0,0,1]
	v_pk_fma_f32 v[78:79], v[78:79], v[68:69], v[82:83] op_sel:[0,0,1] op_sel_hi:[1,0,0]
	s_delay_alu instid0(VALU_DEP_1) | instskip(SKIP_1) | instid1(VALU_DEP_1)
	v_mov_b32_e32 v85, v79
	v_pk_mul_f32 v[78:79], v[80:81], v[70:71] op_sel:[0,1]
	v_pk_fma_f32 v[82:83], v[80:81], v[68:69], v[78:79] op_sel:[0,0,1] op_sel_hi:[1,1,0] neg_lo:[0,0,1] neg_hi:[0,0,1]
	v_pk_fma_f32 v[78:79], v[80:81], v[68:69], v[78:79] op_sel:[0,0,1] op_sel_hi:[1,0,0]
	s_delay_alu instid0(VALU_DEP_1)
	v_mov_b32_e32 v83, v79
	ds_load_2addr_b64 v[78:81], v72 offset0:17 offset1:18
	v_pk_add_f32 v[14:15], v[14:15], v[84:85] neg_lo:[0,1] neg_hi:[0,1]
	v_pk_add_f32 v[56:57], v[56:57], v[82:83] neg_lo:[0,1] neg_hi:[0,1]
	s_wait_dscnt 0x0
	v_pk_mul_f32 v[82:83], v[78:79], v[70:71] op_sel:[0,1]
	s_delay_alu instid0(VALU_DEP_1) | instskip(SKIP_1) | instid1(VALU_DEP_1)
	v_pk_fma_f32 v[84:85], v[78:79], v[68:69], v[82:83] op_sel:[0,0,1] op_sel_hi:[1,1,0] neg_lo:[0,0,1] neg_hi:[0,0,1]
	v_pk_fma_f32 v[78:79], v[78:79], v[68:69], v[82:83] op_sel:[0,0,1] op_sel_hi:[1,0,0]
	v_mov_b32_e32 v85, v79
	v_pk_mul_f32 v[78:79], v[80:81], v[70:71] op_sel:[0,1]
	s_delay_alu instid0(VALU_DEP_1) | instskip(SKIP_1) | instid1(VALU_DEP_1)
	v_pk_fma_f32 v[82:83], v[80:81], v[68:69], v[78:79] op_sel:[0,0,1] op_sel_hi:[1,1,0] neg_lo:[0,0,1] neg_hi:[0,0,1]
	v_pk_fma_f32 v[78:79], v[80:81], v[68:69], v[78:79] op_sel:[0,0,1] op_sel_hi:[1,0,0]
	v_mov_b32_e32 v83, v79
	ds_load_2addr_b64 v[78:81], v72 offset0:19 offset1:20
	v_pk_add_f32 v[54:55], v[54:55], v[84:85] neg_lo:[0,1] neg_hi:[0,1]
	v_pk_add_f32 v[28:29], v[28:29], v[82:83] neg_lo:[0,1] neg_hi:[0,1]
	s_wait_dscnt 0x0
	v_dual_mul_f32 v82, v79, v71 :: v_dual_mul_f32 v84, v79, v68
	s_delay_alu instid0(VALU_DEP_1) | instskip(NEXT) | instid1(VALU_DEP_2)
	v_pk_fma_f32 v[82:83], v[78:79], v[62:63], v[82:83] op_sel_hi:[1,1,0] neg_lo:[0,0,1] neg_hi:[0,0,1]
	v_pk_fma_f32 v[78:79], v[78:79], v[62:63], v[84:85] op_sel:[1,0,0] op_sel_hi:[0,1,0]
	s_delay_alu instid0(VALU_DEP_1) | instskip(SKIP_1) | instid1(VALU_DEP_2)
	v_mov_b32_e32 v83, v79
	v_pk_mul_f32 v[78:79], v[80:81], v[70:71] op_sel:[0,1]
	v_pk_add_f32 v[26:27], v[26:27], v[82:83] neg_lo:[0,1] neg_hi:[0,1]
	s_delay_alu instid0(VALU_DEP_2) | instskip(SKIP_1) | instid1(VALU_DEP_1)
	v_pk_fma_f32 v[82:83], v[80:81], v[68:69], v[78:79] op_sel:[0,0,1] op_sel_hi:[1,1,0] neg_lo:[0,0,1] neg_hi:[0,0,1]
	v_pk_fma_f32 v[78:79], v[80:81], v[68:69], v[78:79] op_sel:[0,0,1] op_sel_hi:[1,0,0]
	v_mov_b32_e32 v83, v79
	ds_load_2addr_b64 v[78:81], v72 offset0:21 offset1:22
	v_pk_add_f32 v[52:53], v[52:53], v[82:83] neg_lo:[0,1] neg_hi:[0,1]
	s_wait_dscnt 0x0
	v_pk_mul_f32 v[82:83], v[78:79], v[70:71] op_sel:[0,1]
	s_delay_alu instid0(VALU_DEP_1) | instskip(SKIP_1) | instid1(VALU_DEP_1)
	v_pk_fma_f32 v[84:85], v[78:79], v[68:69], v[82:83] op_sel:[0,0,1] op_sel_hi:[1,1,0] neg_lo:[0,0,1] neg_hi:[0,0,1]
	v_pk_fma_f32 v[78:79], v[78:79], v[68:69], v[82:83] op_sel:[0,0,1] op_sel_hi:[1,0,0]
	v_mov_b32_e32 v85, v79
	v_pk_mul_f32 v[78:79], v[80:81], v[70:71] op_sel:[0,1]
	s_delay_alu instid0(VALU_DEP_2) | instskip(NEXT) | instid1(VALU_DEP_2)
	v_pk_add_f32 v[50:51], v[50:51], v[84:85] neg_lo:[0,1] neg_hi:[0,1]
	v_pk_fma_f32 v[82:83], v[80:81], v[68:69], v[78:79] op_sel:[0,0,1] op_sel_hi:[1,1,0] neg_lo:[0,0,1] neg_hi:[0,0,1]
	v_pk_fma_f32 v[78:79], v[80:81], v[68:69], v[78:79] op_sel:[0,0,1] op_sel_hi:[1,0,0]
	s_delay_alu instid0(VALU_DEP_1) | instskip(SKIP_4) | instid1(VALU_DEP_1)
	v_mov_b32_e32 v83, v79
	ds_load_2addr_b64 v[78:81], v72 offset0:23 offset1:24
	v_pk_add_f32 v[22:23], v[22:23], v[82:83] neg_lo:[0,1] neg_hi:[0,1]
	s_wait_dscnt 0x0
	v_pk_mul_f32 v[82:83], v[78:79], v[70:71] op_sel:[0,1]
	v_pk_fma_f32 v[84:85], v[78:79], v[68:69], v[82:83] op_sel:[0,0,1] op_sel_hi:[1,1,0] neg_lo:[0,0,1] neg_hi:[0,0,1]
	v_pk_fma_f32 v[78:79], v[78:79], v[68:69], v[82:83] op_sel:[0,0,1] op_sel_hi:[1,0,0]
	v_dual_mul_f32 v82, v81, v71 :: v_dual_mov_b32 v78, v81
	s_delay_alu instid0(VALU_DEP_2) | instskip(NEXT) | instid1(VALU_DEP_2)
	v_dual_mov_b32 v85, v79 :: v_dual_mov_b32 v79, v80
	v_pk_fma_f32 v[82:83], v[80:81], v[62:63], v[82:83] op_sel_hi:[1,1,0] neg_lo:[0,0,1] neg_hi:[0,0,1]
	v_mul_f32_e32 v80, v81, v68
	s_delay_alu instid0(VALU_DEP_3) | instskip(NEXT) | instid1(VALU_DEP_2)
	v_pk_add_f32 v[18:19], v[18:19], v[84:85] neg_lo:[0,1] neg_hi:[0,1]
	v_pk_fma_f32 v[78:79], v[78:79], v[62:63], v[80:81] op_sel_hi:[1,1,0]
	s_delay_alu instid0(VALU_DEP_1) | instskip(SKIP_4) | instid1(VALU_DEP_1)
	v_mov_b32_e32 v83, v79
	ds_load_2addr_b64 v[78:81], v72 offset0:25 offset1:26
	v_pk_add_f32 v[36:37], v[36:37], v[82:83] neg_lo:[0,1] neg_hi:[0,1]
	s_wait_dscnt 0x0
	v_pk_mul_f32 v[82:83], v[78:79], v[70:71] op_sel:[0,1]
	v_pk_fma_f32 v[84:85], v[78:79], v[68:69], v[82:83] op_sel:[0,0,1] op_sel_hi:[1,1,0] neg_lo:[0,0,1] neg_hi:[0,0,1]
	v_pk_fma_f32 v[78:79], v[78:79], v[68:69], v[82:83] op_sel:[0,0,1] op_sel_hi:[1,0,0]
	s_delay_alu instid0(VALU_DEP_1) | instskip(SKIP_1) | instid1(VALU_DEP_1)
	v_mov_b32_e32 v85, v79
	v_pk_mul_f32 v[78:79], v[80:81], v[70:71] op_sel:[0,1]
	v_pk_fma_f32 v[82:83], v[80:81], v[68:69], v[78:79] op_sel:[0,0,1] op_sel_hi:[1,1,0] neg_lo:[0,0,1] neg_hi:[0,0,1]
	v_pk_fma_f32 v[78:79], v[80:81], v[68:69], v[78:79] op_sel:[0,0,1] op_sel_hi:[1,0,0]
	s_delay_alu instid0(VALU_DEP_1)
	v_mov_b32_e32 v83, v79
	ds_load_2addr_b64 v[78:81], v72 offset0:27 offset1:28
	v_pk_add_f32 v[34:35], v[34:35], v[84:85] neg_lo:[0,1] neg_hi:[0,1]
	v_pk_add_f32 v[20:21], v[20:21], v[82:83] neg_lo:[0,1] neg_hi:[0,1]
	s_wait_dscnt 0x0
	v_pk_mul_f32 v[82:83], v[78:79], v[70:71] op_sel:[0,1]
	s_delay_alu instid0(VALU_DEP_1) | instskip(SKIP_1) | instid1(VALU_DEP_1)
	v_pk_fma_f32 v[84:85], v[78:79], v[68:69], v[82:83] op_sel:[0,0,1] op_sel_hi:[1,1,0] neg_lo:[0,0,1] neg_hi:[0,0,1]
	v_pk_fma_f32 v[78:79], v[78:79], v[68:69], v[82:83] op_sel:[0,0,1] op_sel_hi:[1,0,0]
	v_mov_b32_e32 v85, v79
	v_pk_mul_f32 v[78:79], v[80:81], v[70:71] op_sel:[0,1]
	s_delay_alu instid0(VALU_DEP_1) | instskip(SKIP_1) | instid1(VALU_DEP_1)
	v_pk_fma_f32 v[82:83], v[80:81], v[68:69], v[78:79] op_sel:[0,0,1] op_sel_hi:[1,1,0] neg_lo:[0,0,1] neg_hi:[0,0,1]
	v_pk_fma_f32 v[78:79], v[80:81], v[68:69], v[78:79] op_sel:[0,0,1] op_sel_hi:[1,0,0]
	v_mov_b32_e32 v83, v79
	ds_load_2addr_b64 v[78:81], v72 offset0:29 offset1:30
	v_pk_add_f32 v[32:33], v[32:33], v[84:85] neg_lo:[0,1] neg_hi:[0,1]
	v_pk_add_f32 v[30:31], v[30:31], v[82:83] neg_lo:[0,1] neg_hi:[0,1]
	s_wait_dscnt 0x0
	v_mul_f32_e32 v70, v79, v71
	s_delay_alu instid0(VALU_DEP_1) | instskip(SKIP_1) | instid1(VALU_DEP_1)
	v_pk_fma_f32 v[82:83], v[78:79], v[62:63], v[70:71] op_sel_hi:[1,1,0] neg_lo:[0,0,1] neg_hi:[0,0,1]
	v_dual_mul_f32 v70, v79, v68 :: v_dual_mul_f32 v68, v81, v68
	v_pk_fma_f32 v[78:79], v[78:79], v[62:63], v[70:71] op_sel:[1,0,0] op_sel_hi:[0,1,0]
	v_dual_mov_b32 v78, v81 :: v_dual_mul_f32 v70, v81, v71
	s_delay_alu instid0(VALU_DEP_2) | instskip(NEXT) | instid1(VALU_DEP_2)
	v_dual_mov_b32 v83, v79 :: v_dual_mov_b32 v79, v80
	v_pk_fma_f32 v[70:71], v[80:81], v[62:63], v[70:71] op_sel_hi:[1,1,0] neg_lo:[0,0,1] neg_hi:[0,0,1]
	s_delay_alu instid0(VALU_DEP_2) | instskip(NEXT) | instid1(VALU_DEP_3)
	v_pk_add_f32 v[24:25], v[24:25], v[82:83] neg_lo:[0,1] neg_hi:[0,1]
	v_pk_fma_f32 v[68:69], v[78:79], v[62:63], v[68:69] op_sel_hi:[1,1,0]
	s_delay_alu instid0(VALU_DEP_1) | instskip(NEXT) | instid1(VALU_DEP_1)
	v_mov_b32_e32 v71, v69
	v_pk_add_f32 v[66:67], v[66:67], v[70:71] neg_lo:[0,1] neg_hi:[0,1]
.LBB60_22:
	s_or_b32 exec_lo, exec_lo, s0
	v_lshl_add_u32 v68, v76, 3, v72
	s_barrier_signal -1
	s_barrier_wait -1
	ds_store_b64 v68, v[64:65]
	s_wait_dscnt 0x0
	s_barrier_signal -1
	s_barrier_wait -1
	ds_load_b64 v[70:71], v72 offset:8
	v_mov_b32_e32 v68, 1
	s_cmp_lt_i32 s18, 3
	s_cbranch_scc1 .LBB60_25
; %bb.23:
	v_add3_u32 v69, v73, 0, 16
	v_mov_b32_e32 v68, 1
	s_mov_b32 s0, 2
.LBB60_24:                              ; =>This Inner Loop Header: Depth=1
	ds_load_b64 v[78:79], v69
	s_wait_dscnt 0x1
	v_cmp_gt_f32_e32 vcc_lo, 0, v70
	v_cndmask_b32_e64 v80, v70, -v70, vcc_lo
	v_cmp_gt_f32_e32 vcc_lo, 0, v71
	v_cndmask_b32_e64 v82, v71, -v71, vcc_lo
	s_wait_dscnt 0x0
	v_cmp_gt_f32_e32 vcc_lo, 0, v78
	v_cndmask_b32_e64 v81, v78, -v78, vcc_lo
	v_cmp_gt_f32_e32 vcc_lo, 0, v79
	v_cndmask_b32_e64 v83, v79, -v79, vcc_lo
	s_delay_alu instid0(VALU_DEP_1) | instskip(NEXT) | instid1(VALU_DEP_1)
	v_pk_add_f32 v[80:81], v[80:81], v[82:83]
	v_cmp_lt_f32_e32 vcc_lo, v80, v81
	v_dual_add_nc_u32 v69, 8, v69 :: v_dual_cndmask_b32 v71, v71, v79, vcc_lo
	v_cndmask_b32_e32 v70, v70, v78, vcc_lo
	v_cndmask_b32_e64 v68, v68, s0, vcc_lo
	s_add_co_i32 s0, s0, 1
	s_delay_alu instid0(SALU_CYCLE_1)
	s_cmp_lg_u32 s18, s0
	s_cbranch_scc1 .LBB60_24
.LBB60_25:
	s_wait_dscnt 0x0
	v_cmp_neq_f32_e32 vcc_lo, 0, v70
	v_cmp_neq_f32_e64 s0, 0, v71
	s_or_b32 s1, vcc_lo, s0
	s_delay_alu instid0(SALU_CYCLE_1)
	s_and_saveexec_b32 s0, s1
	s_cbranch_execz .LBB60_31
; %bb.26:
	v_cmp_ngt_f32_e64 s1, |v70|, |v71|
	s_and_saveexec_b32 s12, s1
	s_delay_alu instid0(SALU_CYCLE_1)
	s_xor_b32 s1, exec_lo, s12
	s_cbranch_execz .LBB60_28
; %bb.27:
	v_div_scale_f32 v69, null, v71, v71, v70
	v_div_scale_f32 v79, vcc_lo, v70, v71, v70
	s_delay_alu instid0(VALU_DEP_2) | instskip(SKIP_1) | instid1(TRANS32_DEP_1)
	v_rcp_f32_e32 v74, v69
	v_nop
	v_fma_f32 v78, -v69, v74, 1.0
	s_delay_alu instid0(VALU_DEP_1) | instskip(NEXT) | instid1(VALU_DEP_1)
	v_fmac_f32_e32 v74, v78, v74
	v_mul_f32_e32 v78, v79, v74
	s_delay_alu instid0(VALU_DEP_1) | instskip(NEXT) | instid1(VALU_DEP_1)
	v_fma_f32 v80, -v69, v78, v79
	v_fmac_f32_e32 v78, v80, v74
	s_delay_alu instid0(VALU_DEP_1) | instskip(NEXT) | instid1(VALU_DEP_1)
	v_fma_f32 v69, -v69, v78, v79
	v_div_fmas_f32 v69, v69, v74, v78
	s_delay_alu instid0(VALU_DEP_1) | instskip(NEXT) | instid1(VALU_DEP_1)
	v_div_fixup_f32 v69, v69, v71, v70
	v_fmac_f32_e32 v71, v70, v69
	s_delay_alu instid0(VALU_DEP_1) | instskip(SKIP_1) | instid1(VALU_DEP_2)
	v_div_scale_f32 v70, null, v71, v71, 1.0
	v_div_scale_f32 v79, vcc_lo, 1.0, v71, 1.0
	v_rcp_f32_e32 v74, v70
	v_nop
	s_delay_alu instid0(TRANS32_DEP_1) | instskip(NEXT) | instid1(VALU_DEP_1)
	v_fma_f32 v78, -v70, v74, 1.0
	v_fmac_f32_e32 v74, v78, v74
	s_delay_alu instid0(VALU_DEP_1) | instskip(NEXT) | instid1(VALU_DEP_1)
	v_mul_f32_e32 v78, v79, v74
	v_fma_f32 v80, -v70, v78, v79
	s_delay_alu instid0(VALU_DEP_1) | instskip(NEXT) | instid1(VALU_DEP_1)
	v_fmac_f32_e32 v78, v80, v74
	v_fma_f32 v70, -v70, v78, v79
	s_delay_alu instid0(VALU_DEP_1) | instskip(NEXT) | instid1(VALU_DEP_1)
	v_div_fmas_f32 v70, v70, v74, v78
	v_div_fixup_f32 v71, v70, v71, 1.0
	s_delay_alu instid0(VALU_DEP_1)
	v_mul_f32_e32 v70, v69, v71
	v_xor_b32_e32 v71, 0x80000000, v71
.LBB60_28:
	s_and_not1_saveexec_b32 s1, s1
	s_cbranch_execz .LBB60_30
; %bb.29:
	s_delay_alu instid0(VALU_DEP_1) | instskip(SKIP_1) | instid1(VALU_DEP_2)
	v_div_scale_f32 v69, null, v70, v70, v71
	v_div_scale_f32 v79, vcc_lo, v71, v70, v71
	v_rcp_f32_e32 v74, v69
	v_nop
	s_delay_alu instid0(TRANS32_DEP_1) | instskip(NEXT) | instid1(VALU_DEP_1)
	v_fma_f32 v78, -v69, v74, 1.0
	v_fmac_f32_e32 v74, v78, v74
	s_delay_alu instid0(VALU_DEP_1) | instskip(NEXT) | instid1(VALU_DEP_1)
	v_mul_f32_e32 v78, v79, v74
	v_fma_f32 v80, -v69, v78, v79
	s_delay_alu instid0(VALU_DEP_1) | instskip(NEXT) | instid1(VALU_DEP_1)
	v_fmac_f32_e32 v78, v80, v74
	v_fma_f32 v69, -v69, v78, v79
	s_delay_alu instid0(VALU_DEP_1) | instskip(NEXT) | instid1(VALU_DEP_1)
	v_div_fmas_f32 v69, v69, v74, v78
	v_div_fixup_f32 v69, v69, v70, v71
	s_delay_alu instid0(VALU_DEP_1) | instskip(NEXT) | instid1(VALU_DEP_1)
	v_fmac_f32_e32 v70, v71, v69
	v_div_scale_f32 v71, null, v70, v70, 1.0
	s_delay_alu instid0(VALU_DEP_1) | instskip(SKIP_1) | instid1(TRANS32_DEP_1)
	v_rcp_f32_e32 v74, v71
	v_nop
	v_fma_f32 v78, -v71, v74, 1.0
	s_delay_alu instid0(VALU_DEP_1) | instskip(SKIP_1) | instid1(VALU_DEP_1)
	v_fmac_f32_e32 v74, v78, v74
	v_div_scale_f32 v78, vcc_lo, 1.0, v70, 1.0
	v_mul_f32_e32 v79, v78, v74
	s_delay_alu instid0(VALU_DEP_1) | instskip(NEXT) | instid1(VALU_DEP_1)
	v_fma_f32 v80, -v71, v79, v78
	v_fmac_f32_e32 v79, v80, v74
	s_delay_alu instid0(VALU_DEP_1) | instskip(NEXT) | instid1(VALU_DEP_1)
	v_fma_f32 v71, -v71, v79, v78
	v_div_fmas_f32 v71, v71, v74, v79
	s_delay_alu instid0(VALU_DEP_1) | instskip(NEXT) | instid1(VALU_DEP_1)
	v_div_fixup_f32 v70, v71, v70, 1.0
	v_mul_f32_e64 v71, v69, -v70
.LBB60_30:
	s_or_b32 exec_lo, exec_lo, s1
	v_mov_b32_e32 v74, v77
.LBB60_31:
	s_or_b32 exec_lo, exec_lo, s0
	s_delay_alu instid0(SALU_CYCLE_1)
	s_mov_b32 s0, exec_lo
	v_cmpx_ne_u32_e64 v76, v68
	s_xor_b32 s0, exec_lo, s0
	s_cbranch_execz .LBB60_37
; %bb.32:
	s_mov_b32 s1, exec_lo
	v_cmpx_eq_u32_e32 1, v76
	s_cbranch_execz .LBB60_36
; %bb.33:
	v_cmp_ne_u32_e32 vcc_lo, 1, v68
	s_xor_b32 s12, s16, -1
	s_delay_alu instid0(SALU_CYCLE_1) | instskip(NEXT) | instid1(SALU_CYCLE_1)
	s_and_b32 s13, s12, vcc_lo
	s_and_saveexec_b32 s12, s13
	s_cbranch_execz .LBB60_35
; %bb.34:
	v_ashrrev_i32_e32 v69, 31, v68
	s_delay_alu instid0(VALU_DEP_1)
	v_lshl_add_u64 v[76:77], v[68:69], 2, v[4:5]
	s_clause 0x1
	global_load_b32 v69, v[76:77], off
	global_load_b32 v75, v[4:5], off offset:4
	s_wait_loadcnt 0x1
	global_store_b32 v[4:5], v69, off offset:4
	s_wait_loadcnt 0x0
	global_store_b32 v[76:77], v75, off
.LBB60_35:
	s_wait_xcnt 0x0
	s_or_b32 exec_lo, exec_lo, s12
	v_dual_mov_b32 v76, v68 :: v_dual_mov_b32 v75, v68
.LBB60_36:
	s_or_b32 exec_lo, exec_lo, s1
.LBB60_37:
	s_and_not1_saveexec_b32 s0, s0
	s_cbranch_execz .LBB60_39
; %bb.38:
	v_dual_mov_b32 v68, v60 :: v_dual_mov_b32 v69, v61
	v_dual_mov_b32 v76, v58 :: v_dual_mov_b32 v77, v59
	ds_store_2addr_b64 v72, v[68:69], v[76:77] offset0:2 offset1:3
	v_dual_mov_b32 v68, v40 :: v_dual_mov_b32 v69, v41
	v_dual_mov_b32 v76, v38 :: v_dual_mov_b32 v77, v39
	ds_store_2addr_b64 v72, v[68:69], v[76:77] offset0:4 offset1:5
	;; [unrolled: 3-line block ×14, first 2 shown]
	ds_store_b64 v72, v[66:67] offset:240
	v_mov_b32_e32 v76, 1
.LBB60_39:
	s_or_b32 exec_lo, exec_lo, s0
	s_delay_alu instid0(SALU_CYCLE_1)
	s_mov_b32 s0, exec_lo
	s_wait_storecnt_dscnt 0x0
	s_barrier_signal -1
	s_barrier_wait -1
	v_cmpx_lt_i32_e32 1, v76
	s_cbranch_execz .LBB60_41
; %bb.40:
	v_pk_mul_f32 v[78:79], v[70:71], v[64:65] op_sel:[1,1] op_sel_hi:[0,1]
	s_delay_alu instid0(VALU_DEP_1)
	v_pk_fma_f32 v[68:69], v[70:71], v[64:65], v[78:79] op_sel_hi:[1,0,1] neg_lo:[0,0,1] neg_hi:[0,0,1]
	v_pk_fma_f32 v[70:71], v[70:71], v[64:65], v[78:79] op_sel_hi:[1,0,1]
	ds_load_2addr_b64 v[78:81], v72 offset0:2 offset1:3
	v_dual_mov_b32 v64, v68 :: v_dual_mov_b32 v65, v71
	s_wait_dscnt 0x0
	v_pk_mul_f32 v[82:83], v[78:79], v[70:71] op_sel:[0,1]
	s_delay_alu instid0(VALU_DEP_1) | instskip(SKIP_1) | instid1(VALU_DEP_1)
	v_pk_fma_f32 v[84:85], v[78:79], v[68:69], v[82:83] op_sel:[0,0,1] op_sel_hi:[1,1,0] neg_lo:[0,0,1] neg_hi:[0,0,1]
	v_pk_fma_f32 v[78:79], v[78:79], v[68:69], v[82:83] op_sel:[0,0,1] op_sel_hi:[1,0,0]
	v_mov_b32_e32 v85, v79
	v_pk_mul_f32 v[78:79], v[80:81], v[70:71] op_sel:[0,1]
	s_delay_alu instid0(VALU_DEP_1) | instskip(SKIP_1) | instid1(VALU_DEP_1)
	v_pk_fma_f32 v[82:83], v[80:81], v[68:69], v[78:79] op_sel:[0,0,1] op_sel_hi:[1,1,0] neg_lo:[0,0,1] neg_hi:[0,0,1]
	v_pk_fma_f32 v[78:79], v[80:81], v[68:69], v[78:79] op_sel:[0,0,1] op_sel_hi:[1,0,0]
	v_mov_b32_e32 v83, v79
	ds_load_2addr_b64 v[78:81], v72 offset0:4 offset1:5
	v_pk_add_f32 v[60:61], v[60:61], v[84:85] neg_lo:[0,1] neg_hi:[0,1]
	v_pk_add_f32 v[58:59], v[58:59], v[82:83] neg_lo:[0,1] neg_hi:[0,1]
	s_wait_dscnt 0x0
	v_pk_mul_f32 v[82:83], v[78:79], v[70:71] op_sel:[0,1]
	s_delay_alu instid0(VALU_DEP_1) | instskip(SKIP_2) | instid1(VALU_DEP_2)
	v_pk_fma_f32 v[84:85], v[78:79], v[68:69], v[82:83] op_sel:[0,0,1] op_sel_hi:[1,1,0] neg_lo:[0,0,1] neg_hi:[0,0,1]
	v_pk_fma_f32 v[78:79], v[78:79], v[68:69], v[82:83] op_sel:[0,0,1] op_sel_hi:[1,0,0]
	v_dual_mul_f32 v82, v81, v71 :: v_dual_mov_b32 v78, v81
	v_dual_mov_b32 v85, v79 :: v_dual_mov_b32 v79, v80
	s_delay_alu instid0(VALU_DEP_2) | instskip(SKIP_1) | instid1(VALU_DEP_3)
	v_pk_fma_f32 v[82:83], v[80:81], v[64:65], v[82:83] op_sel_hi:[1,1,0] neg_lo:[0,0,1] neg_hi:[0,0,1]
	v_mul_f32_e32 v80, v81, v68
	v_pk_add_f32 v[40:41], v[40:41], v[84:85] neg_lo:[0,1] neg_hi:[0,1]
	s_delay_alu instid0(VALU_DEP_2) | instskip(NEXT) | instid1(VALU_DEP_1)
	v_pk_fma_f32 v[78:79], v[78:79], v[64:65], v[80:81] op_sel_hi:[1,1,0]
	v_mov_b32_e32 v83, v79
	ds_load_2addr_b64 v[78:81], v72 offset0:6 offset1:7
	v_pk_add_f32 v[38:39], v[38:39], v[82:83] neg_lo:[0,1] neg_hi:[0,1]
	s_wait_dscnt 0x0
	v_pk_mul_f32 v[82:83], v[78:79], v[70:71] op_sel:[0,1]
	s_delay_alu instid0(VALU_DEP_1) | instskip(SKIP_1) | instid1(VALU_DEP_1)
	v_pk_fma_f32 v[84:85], v[78:79], v[68:69], v[82:83] op_sel:[0,0,1] op_sel_hi:[1,1,0] neg_lo:[0,0,1] neg_hi:[0,0,1]
	v_pk_fma_f32 v[78:79], v[78:79], v[68:69], v[82:83] op_sel:[0,0,1] op_sel_hi:[1,0,0]
	v_mov_b32_e32 v85, v79
	v_pk_mul_f32 v[78:79], v[80:81], v[70:71] op_sel:[0,1]
	s_delay_alu instid0(VALU_DEP_1) | instskip(SKIP_1) | instid1(VALU_DEP_1)
	v_pk_fma_f32 v[82:83], v[80:81], v[68:69], v[78:79] op_sel:[0,0,1] op_sel_hi:[1,1,0] neg_lo:[0,0,1] neg_hi:[0,0,1]
	v_pk_fma_f32 v[78:79], v[80:81], v[68:69], v[78:79] op_sel:[0,0,1] op_sel_hi:[1,0,0]
	v_mov_b32_e32 v83, v79
	ds_load_2addr_b64 v[78:81], v72 offset0:8 offset1:9
	v_pk_add_f32 v[8:9], v[8:9], v[84:85] neg_lo:[0,1] neg_hi:[0,1]
	v_pk_add_f32 v[6:7], v[6:7], v[82:83] neg_lo:[0,1] neg_hi:[0,1]
	s_wait_dscnt 0x0
	v_pk_mul_f32 v[82:83], v[78:79], v[70:71] op_sel:[0,1]
	s_delay_alu instid0(VALU_DEP_1) | instskip(SKIP_1) | instid1(VALU_DEP_1)
	v_pk_fma_f32 v[84:85], v[78:79], v[68:69], v[82:83] op_sel:[0,0,1] op_sel_hi:[1,1,0] neg_lo:[0,0,1] neg_hi:[0,0,1]
	v_pk_fma_f32 v[78:79], v[78:79], v[68:69], v[82:83] op_sel:[0,0,1] op_sel_hi:[1,0,0]
	v_mov_b32_e32 v85, v79
	v_pk_mul_f32 v[78:79], v[80:81], v[70:71] op_sel:[0,1]
	s_delay_alu instid0(VALU_DEP_1) | instskip(SKIP_1) | instid1(VALU_DEP_1)
	v_pk_fma_f32 v[82:83], v[80:81], v[68:69], v[78:79] op_sel:[0,0,1] op_sel_hi:[1,1,0] neg_lo:[0,0,1] neg_hi:[0,0,1]
	v_pk_fma_f32 v[78:79], v[80:81], v[68:69], v[78:79] op_sel:[0,0,1] op_sel_hi:[1,0,0]
	v_mov_b32_e32 v83, v79
	ds_load_2addr_b64 v[78:81], v72 offset0:10 offset1:11
	v_pk_add_f32 v[44:45], v[44:45], v[84:85] neg_lo:[0,1] neg_hi:[0,1]
	v_pk_add_f32 v[42:43], v[42:43], v[82:83] neg_lo:[0,1] neg_hi:[0,1]
	s_wait_dscnt 0x0
	v_dual_mul_f32 v82, v79, v71 :: v_dual_mul_f32 v84, v79, v68
	s_delay_alu instid0(VALU_DEP_1) | instskip(NEXT) | instid1(VALU_DEP_2)
	v_pk_fma_f32 v[82:83], v[78:79], v[64:65], v[82:83] op_sel_hi:[1,1,0] neg_lo:[0,0,1] neg_hi:[0,0,1]
	v_pk_fma_f32 v[78:79], v[78:79], v[64:65], v[84:85] op_sel:[1,0,0] op_sel_hi:[0,1,0]
	s_delay_alu instid0(VALU_DEP_1) | instskip(SKIP_1) | instid1(VALU_DEP_2)
	v_mov_b32_e32 v83, v79
	v_pk_mul_f32 v[78:79], v[80:81], v[70:71] op_sel:[0,1]
	v_pk_add_f32 v[12:13], v[12:13], v[82:83] neg_lo:[0,1] neg_hi:[0,1]
	s_delay_alu instid0(VALU_DEP_2) | instskip(SKIP_1) | instid1(VALU_DEP_1)
	v_pk_fma_f32 v[82:83], v[80:81], v[68:69], v[78:79] op_sel:[0,0,1] op_sel_hi:[1,1,0] neg_lo:[0,0,1] neg_hi:[0,0,1]
	v_pk_fma_f32 v[78:79], v[80:81], v[68:69], v[78:79] op_sel:[0,0,1] op_sel_hi:[1,0,0]
	v_mov_b32_e32 v83, v79
	ds_load_2addr_b64 v[78:81], v72 offset0:12 offset1:13
	v_pk_add_f32 v[10:11], v[10:11], v[82:83] neg_lo:[0,1] neg_hi:[0,1]
	s_wait_dscnt 0x0
	v_pk_mul_f32 v[82:83], v[78:79], v[70:71] op_sel:[0,1]
	s_delay_alu instid0(VALU_DEP_1) | instskip(SKIP_1) | instid1(VALU_DEP_1)
	v_pk_fma_f32 v[84:85], v[78:79], v[68:69], v[82:83] op_sel:[0,0,1] op_sel_hi:[1,1,0] neg_lo:[0,0,1] neg_hi:[0,0,1]
	v_pk_fma_f32 v[78:79], v[78:79], v[68:69], v[82:83] op_sel:[0,0,1] op_sel_hi:[1,0,0]
	v_mov_b32_e32 v85, v79
	v_pk_mul_f32 v[78:79], v[80:81], v[70:71] op_sel:[0,1]
	s_delay_alu instid0(VALU_DEP_2) | instskip(NEXT) | instid1(VALU_DEP_2)
	v_pk_add_f32 v[48:49], v[48:49], v[84:85] neg_lo:[0,1] neg_hi:[0,1]
	v_pk_fma_f32 v[82:83], v[80:81], v[68:69], v[78:79] op_sel:[0,0,1] op_sel_hi:[1,1,0] neg_lo:[0,0,1] neg_hi:[0,0,1]
	v_pk_fma_f32 v[78:79], v[80:81], v[68:69], v[78:79] op_sel:[0,0,1] op_sel_hi:[1,0,0]
	s_delay_alu instid0(VALU_DEP_1) | instskip(SKIP_4) | instid1(VALU_DEP_1)
	v_mov_b32_e32 v83, v79
	ds_load_2addr_b64 v[78:81], v72 offset0:14 offset1:15
	v_pk_add_f32 v[46:47], v[46:47], v[82:83] neg_lo:[0,1] neg_hi:[0,1]
	s_wait_dscnt 0x0
	v_pk_mul_f32 v[82:83], v[78:79], v[70:71] op_sel:[0,1]
	v_pk_fma_f32 v[84:85], v[78:79], v[68:69], v[82:83] op_sel:[0,0,1] op_sel_hi:[1,1,0] neg_lo:[0,0,1] neg_hi:[0,0,1]
	v_pk_fma_f32 v[78:79], v[78:79], v[68:69], v[82:83] op_sel:[0,0,1] op_sel_hi:[1,0,0]
	v_dual_mul_f32 v82, v81, v71 :: v_dual_mov_b32 v78, v81
	s_delay_alu instid0(VALU_DEP_2) | instskip(NEXT) | instid1(VALU_DEP_2)
	v_dual_mov_b32 v85, v79 :: v_dual_mov_b32 v79, v80
	v_pk_fma_f32 v[82:83], v[80:81], v[64:65], v[82:83] op_sel_hi:[1,1,0] neg_lo:[0,0,1] neg_hi:[0,0,1]
	v_mul_f32_e32 v80, v81, v68
	s_delay_alu instid0(VALU_DEP_3) | instskip(NEXT) | instid1(VALU_DEP_2)
	v_pk_add_f32 v[16:17], v[16:17], v[84:85] neg_lo:[0,1] neg_hi:[0,1]
	v_pk_fma_f32 v[78:79], v[78:79], v[64:65], v[80:81] op_sel_hi:[1,1,0]
	s_delay_alu instid0(VALU_DEP_1) | instskip(SKIP_4) | instid1(VALU_DEP_1)
	v_mov_b32_e32 v83, v79
	ds_load_2addr_b64 v[78:81], v72 offset0:16 offset1:17
	v_pk_add_f32 v[14:15], v[14:15], v[82:83] neg_lo:[0,1] neg_hi:[0,1]
	s_wait_dscnt 0x0
	v_pk_mul_f32 v[82:83], v[78:79], v[70:71] op_sel:[0,1]
	v_pk_fma_f32 v[84:85], v[78:79], v[68:69], v[82:83] op_sel:[0,0,1] op_sel_hi:[1,1,0] neg_lo:[0,0,1] neg_hi:[0,0,1]
	v_pk_fma_f32 v[78:79], v[78:79], v[68:69], v[82:83] op_sel:[0,0,1] op_sel_hi:[1,0,0]
	s_delay_alu instid0(VALU_DEP_1) | instskip(SKIP_1) | instid1(VALU_DEP_1)
	v_mov_b32_e32 v85, v79
	v_pk_mul_f32 v[78:79], v[80:81], v[70:71] op_sel:[0,1]
	v_pk_fma_f32 v[82:83], v[80:81], v[68:69], v[78:79] op_sel:[0,0,1] op_sel_hi:[1,1,0] neg_lo:[0,0,1] neg_hi:[0,0,1]
	v_pk_fma_f32 v[78:79], v[80:81], v[68:69], v[78:79] op_sel:[0,0,1] op_sel_hi:[1,0,0]
	s_delay_alu instid0(VALU_DEP_1)
	v_mov_b32_e32 v83, v79
	ds_load_2addr_b64 v[78:81], v72 offset0:18 offset1:19
	v_pk_add_f32 v[56:57], v[56:57], v[84:85] neg_lo:[0,1] neg_hi:[0,1]
	v_pk_add_f32 v[54:55], v[54:55], v[82:83] neg_lo:[0,1] neg_hi:[0,1]
	s_wait_dscnt 0x0
	v_pk_mul_f32 v[82:83], v[78:79], v[70:71] op_sel:[0,1]
	s_delay_alu instid0(VALU_DEP_1) | instskip(SKIP_1) | instid1(VALU_DEP_1)
	v_pk_fma_f32 v[84:85], v[78:79], v[68:69], v[82:83] op_sel:[0,0,1] op_sel_hi:[1,1,0] neg_lo:[0,0,1] neg_hi:[0,0,1]
	v_pk_fma_f32 v[78:79], v[78:79], v[68:69], v[82:83] op_sel:[0,0,1] op_sel_hi:[1,0,0]
	v_mov_b32_e32 v85, v79
	v_pk_mul_f32 v[78:79], v[80:81], v[70:71] op_sel:[0,1]
	s_delay_alu instid0(VALU_DEP_1) | instskip(SKIP_1) | instid1(VALU_DEP_1)
	v_pk_fma_f32 v[82:83], v[80:81], v[68:69], v[78:79] op_sel:[0,0,1] op_sel_hi:[1,1,0] neg_lo:[0,0,1] neg_hi:[0,0,1]
	v_pk_fma_f32 v[78:79], v[80:81], v[68:69], v[78:79] op_sel:[0,0,1] op_sel_hi:[1,0,0]
	v_mov_b32_e32 v83, v79
	ds_load_2addr_b64 v[78:81], v72 offset0:20 offset1:21
	v_pk_add_f32 v[28:29], v[28:29], v[84:85] neg_lo:[0,1] neg_hi:[0,1]
	v_pk_add_f32 v[26:27], v[26:27], v[82:83] neg_lo:[0,1] neg_hi:[0,1]
	s_wait_dscnt 0x0
	v_dual_mul_f32 v82, v79, v71 :: v_dual_mul_f32 v84, v79, v68
	s_delay_alu instid0(VALU_DEP_1) | instskip(NEXT) | instid1(VALU_DEP_2)
	v_pk_fma_f32 v[82:83], v[78:79], v[64:65], v[82:83] op_sel_hi:[1,1,0] neg_lo:[0,0,1] neg_hi:[0,0,1]
	v_pk_fma_f32 v[78:79], v[78:79], v[64:65], v[84:85] op_sel:[1,0,0] op_sel_hi:[0,1,0]
	s_delay_alu instid0(VALU_DEP_1) | instskip(SKIP_1) | instid1(VALU_DEP_2)
	v_mov_b32_e32 v83, v79
	v_pk_mul_f32 v[78:79], v[80:81], v[70:71] op_sel:[0,1]
	v_pk_add_f32 v[52:53], v[52:53], v[82:83] neg_lo:[0,1] neg_hi:[0,1]
	s_delay_alu instid0(VALU_DEP_2) | instskip(SKIP_1) | instid1(VALU_DEP_1)
	v_pk_fma_f32 v[82:83], v[80:81], v[68:69], v[78:79] op_sel:[0,0,1] op_sel_hi:[1,1,0] neg_lo:[0,0,1] neg_hi:[0,0,1]
	v_pk_fma_f32 v[78:79], v[80:81], v[68:69], v[78:79] op_sel:[0,0,1] op_sel_hi:[1,0,0]
	v_mov_b32_e32 v83, v79
	ds_load_2addr_b64 v[78:81], v72 offset0:22 offset1:23
	v_pk_add_f32 v[50:51], v[50:51], v[82:83] neg_lo:[0,1] neg_hi:[0,1]
	s_wait_dscnt 0x0
	v_pk_mul_f32 v[82:83], v[78:79], v[70:71] op_sel:[0,1]
	s_delay_alu instid0(VALU_DEP_1) | instskip(SKIP_1) | instid1(VALU_DEP_1)
	v_pk_fma_f32 v[84:85], v[78:79], v[68:69], v[82:83] op_sel:[0,0,1] op_sel_hi:[1,1,0] neg_lo:[0,0,1] neg_hi:[0,0,1]
	v_pk_fma_f32 v[78:79], v[78:79], v[68:69], v[82:83] op_sel:[0,0,1] op_sel_hi:[1,0,0]
	v_mov_b32_e32 v85, v79
	v_pk_mul_f32 v[78:79], v[80:81], v[70:71] op_sel:[0,1]
	s_delay_alu instid0(VALU_DEP_2) | instskip(NEXT) | instid1(VALU_DEP_2)
	v_pk_add_f32 v[22:23], v[22:23], v[84:85] neg_lo:[0,1] neg_hi:[0,1]
	v_pk_fma_f32 v[82:83], v[80:81], v[68:69], v[78:79] op_sel:[0,0,1] op_sel_hi:[1,1,0] neg_lo:[0,0,1] neg_hi:[0,0,1]
	v_pk_fma_f32 v[78:79], v[80:81], v[68:69], v[78:79] op_sel:[0,0,1] op_sel_hi:[1,0,0]
	s_delay_alu instid0(VALU_DEP_1) | instskip(SKIP_4) | instid1(VALU_DEP_1)
	v_mov_b32_e32 v83, v79
	ds_load_2addr_b64 v[78:81], v72 offset0:24 offset1:25
	v_pk_add_f32 v[18:19], v[18:19], v[82:83] neg_lo:[0,1] neg_hi:[0,1]
	s_wait_dscnt 0x0
	v_pk_mul_f32 v[82:83], v[78:79], v[70:71] op_sel:[0,1]
	v_pk_fma_f32 v[84:85], v[78:79], v[68:69], v[82:83] op_sel:[0,0,1] op_sel_hi:[1,1,0] neg_lo:[0,0,1] neg_hi:[0,0,1]
	v_pk_fma_f32 v[78:79], v[78:79], v[68:69], v[82:83] op_sel:[0,0,1] op_sel_hi:[1,0,0]
	v_dual_mul_f32 v82, v81, v71 :: v_dual_mov_b32 v78, v81
	s_delay_alu instid0(VALU_DEP_2) | instskip(NEXT) | instid1(VALU_DEP_2)
	v_dual_mov_b32 v85, v79 :: v_dual_mov_b32 v79, v80
	v_pk_fma_f32 v[82:83], v[80:81], v[64:65], v[82:83] op_sel_hi:[1,1,0] neg_lo:[0,0,1] neg_hi:[0,0,1]
	v_mul_f32_e32 v80, v81, v68
	s_delay_alu instid0(VALU_DEP_3) | instskip(NEXT) | instid1(VALU_DEP_2)
	v_pk_add_f32 v[36:37], v[36:37], v[84:85] neg_lo:[0,1] neg_hi:[0,1]
	v_pk_fma_f32 v[78:79], v[78:79], v[64:65], v[80:81] op_sel_hi:[1,1,0]
	s_delay_alu instid0(VALU_DEP_1) | instskip(SKIP_4) | instid1(VALU_DEP_1)
	v_mov_b32_e32 v83, v79
	ds_load_2addr_b64 v[78:81], v72 offset0:26 offset1:27
	v_pk_add_f32 v[34:35], v[34:35], v[82:83] neg_lo:[0,1] neg_hi:[0,1]
	s_wait_dscnt 0x0
	v_pk_mul_f32 v[82:83], v[78:79], v[70:71] op_sel:[0,1]
	v_pk_fma_f32 v[84:85], v[78:79], v[68:69], v[82:83] op_sel:[0,0,1] op_sel_hi:[1,1,0] neg_lo:[0,0,1] neg_hi:[0,0,1]
	v_pk_fma_f32 v[78:79], v[78:79], v[68:69], v[82:83] op_sel:[0,0,1] op_sel_hi:[1,0,0]
	s_delay_alu instid0(VALU_DEP_1) | instskip(SKIP_1) | instid1(VALU_DEP_1)
	v_mov_b32_e32 v85, v79
	v_pk_mul_f32 v[78:79], v[80:81], v[70:71] op_sel:[0,1]
	v_pk_fma_f32 v[82:83], v[80:81], v[68:69], v[78:79] op_sel:[0,0,1] op_sel_hi:[1,1,0] neg_lo:[0,0,1] neg_hi:[0,0,1]
	v_pk_fma_f32 v[78:79], v[80:81], v[68:69], v[78:79] op_sel:[0,0,1] op_sel_hi:[1,0,0]
	s_delay_alu instid0(VALU_DEP_1)
	v_mov_b32_e32 v83, v79
	ds_load_2addr_b64 v[78:81], v72 offset0:28 offset1:29
	v_pk_add_f32 v[20:21], v[20:21], v[84:85] neg_lo:[0,1] neg_hi:[0,1]
	v_pk_add_f32 v[32:33], v[32:33], v[82:83] neg_lo:[0,1] neg_hi:[0,1]
	s_wait_dscnt 0x0
	v_pk_mul_f32 v[82:83], v[78:79], v[70:71] op_sel:[0,1]
	s_delay_alu instid0(VALU_DEP_1) | instskip(SKIP_1) | instid1(VALU_DEP_1)
	v_pk_fma_f32 v[84:85], v[78:79], v[68:69], v[82:83] op_sel:[0,0,1] op_sel_hi:[1,1,0] neg_lo:[0,0,1] neg_hi:[0,0,1]
	v_pk_fma_f32 v[78:79], v[78:79], v[68:69], v[82:83] op_sel:[0,0,1] op_sel_hi:[1,0,0]
	v_mov_b32_e32 v85, v79
	v_pk_mul_f32 v[78:79], v[80:81], v[70:71] op_sel:[0,1]
	s_delay_alu instid0(VALU_DEP_1) | instskip(SKIP_1) | instid1(VALU_DEP_1)
	v_pk_fma_f32 v[82:83], v[80:81], v[68:69], v[78:79] op_sel:[0,0,1] op_sel_hi:[1,1,0] neg_lo:[0,0,1] neg_hi:[0,0,1]
	v_pk_fma_f32 v[78:79], v[80:81], v[68:69], v[78:79] op_sel:[0,0,1] op_sel_hi:[1,0,0]
	v_mov_b32_e32 v83, v79
	ds_load_b64 v[78:79], v72 offset:240
	v_pk_add_f32 v[30:31], v[30:31], v[84:85] neg_lo:[0,1] neg_hi:[0,1]
	v_pk_add_f32 v[24:25], v[24:25], v[82:83] neg_lo:[0,1] neg_hi:[0,1]
	s_wait_dscnt 0x0
	v_pk_mul_f32 v[70:71], v[78:79], v[70:71] op_sel:[0,1]
	s_delay_alu instid0(VALU_DEP_1) | instskip(SKIP_1) | instid1(VALU_DEP_1)
	v_pk_fma_f32 v[80:81], v[78:79], v[68:69], v[70:71] op_sel:[0,0,1] op_sel_hi:[1,1,0] neg_lo:[0,0,1] neg_hi:[0,0,1]
	v_pk_fma_f32 v[68:69], v[78:79], v[68:69], v[70:71] op_sel:[0,0,1] op_sel_hi:[1,0,0]
	v_mov_b32_e32 v81, v69
	s_delay_alu instid0(VALU_DEP_1)
	v_pk_add_f32 v[66:67], v[66:67], v[80:81] neg_lo:[0,1] neg_hi:[0,1]
.LBB60_41:
	s_or_b32 exec_lo, exec_lo, s0
	v_lshl_add_u32 v68, v76, 3, v72
	s_barrier_signal -1
	s_barrier_wait -1
	ds_store_b64 v68, v[60:61]
	s_wait_dscnt 0x0
	s_barrier_signal -1
	s_barrier_wait -1
	ds_load_b64 v[70:71], v72 offset:16
	v_mov_b32_e32 v68, 2
	s_cmp_lt_i32 s18, 4
	s_mov_b32 s0, 3
	s_cbranch_scc1 .LBB60_44
; %bb.42:
	v_add3_u32 v69, v73, 0, 24
	v_mov_b32_e32 v68, 2
.LBB60_43:                              ; =>This Inner Loop Header: Depth=1
	ds_load_b64 v[78:79], v69
	s_wait_dscnt 0x1
	v_cmp_gt_f32_e32 vcc_lo, 0, v70
	v_cndmask_b32_e64 v80, v70, -v70, vcc_lo
	v_cmp_gt_f32_e32 vcc_lo, 0, v71
	v_cndmask_b32_e64 v82, v71, -v71, vcc_lo
	s_wait_dscnt 0x0
	v_cmp_gt_f32_e32 vcc_lo, 0, v78
	v_cndmask_b32_e64 v81, v78, -v78, vcc_lo
	v_cmp_gt_f32_e32 vcc_lo, 0, v79
	v_cndmask_b32_e64 v83, v79, -v79, vcc_lo
	s_delay_alu instid0(VALU_DEP_1) | instskip(NEXT) | instid1(VALU_DEP_1)
	v_pk_add_f32 v[80:81], v[80:81], v[82:83]
	v_cmp_lt_f32_e32 vcc_lo, v80, v81
	v_dual_add_nc_u32 v69, 8, v69 :: v_dual_cndmask_b32 v71, v71, v79, vcc_lo
	v_cndmask_b32_e32 v70, v70, v78, vcc_lo
	v_cndmask_b32_e64 v68, v68, s0, vcc_lo
	s_add_co_i32 s0, s0, 1
	s_delay_alu instid0(SALU_CYCLE_1)
	s_cmp_lg_u32 s18, s0
	s_cbranch_scc1 .LBB60_43
.LBB60_44:
	s_wait_dscnt 0x0
	v_cmp_eq_f32_e32 vcc_lo, 0, v70
	v_cmp_eq_f32_e64 s0, 0, v71
	s_and_b32 s0, vcc_lo, s0
	s_delay_alu instid0(SALU_CYCLE_1) | instskip(NEXT) | instid1(SALU_CYCLE_1)
	s_and_saveexec_b32 s1, s0
	s_xor_b32 s0, exec_lo, s1
; %bb.45:
	v_cmp_ne_u32_e32 vcc_lo, 0, v74
	v_cndmask_b32_e32 v74, 3, v74, vcc_lo
; %bb.46:
	s_and_not1_saveexec_b32 s0, s0
	s_cbranch_execz .LBB60_52
; %bb.47:
	v_cmp_ngt_f32_e64 s1, |v70|, |v71|
	s_and_saveexec_b32 s12, s1
	s_delay_alu instid0(SALU_CYCLE_1)
	s_xor_b32 s1, exec_lo, s12
	s_cbranch_execz .LBB60_49
; %bb.48:
	v_div_scale_f32 v69, null, v71, v71, v70
	v_div_scale_f32 v79, vcc_lo, v70, v71, v70
	s_delay_alu instid0(VALU_DEP_2) | instskip(SKIP_1) | instid1(TRANS32_DEP_1)
	v_rcp_f32_e32 v77, v69
	v_nop
	v_fma_f32 v78, -v69, v77, 1.0
	s_delay_alu instid0(VALU_DEP_1) | instskip(NEXT) | instid1(VALU_DEP_1)
	v_fmac_f32_e32 v77, v78, v77
	v_mul_f32_e32 v78, v79, v77
	s_delay_alu instid0(VALU_DEP_1) | instskip(NEXT) | instid1(VALU_DEP_1)
	v_fma_f32 v80, -v69, v78, v79
	v_fmac_f32_e32 v78, v80, v77
	s_delay_alu instid0(VALU_DEP_1) | instskip(NEXT) | instid1(VALU_DEP_1)
	v_fma_f32 v69, -v69, v78, v79
	v_div_fmas_f32 v69, v69, v77, v78
	s_delay_alu instid0(VALU_DEP_1) | instskip(NEXT) | instid1(VALU_DEP_1)
	v_div_fixup_f32 v69, v69, v71, v70
	v_fmac_f32_e32 v71, v70, v69
	s_delay_alu instid0(VALU_DEP_1) | instskip(SKIP_1) | instid1(VALU_DEP_2)
	v_div_scale_f32 v70, null, v71, v71, 1.0
	v_div_scale_f32 v79, vcc_lo, 1.0, v71, 1.0
	v_rcp_f32_e32 v77, v70
	v_nop
	s_delay_alu instid0(TRANS32_DEP_1) | instskip(NEXT) | instid1(VALU_DEP_1)
	v_fma_f32 v78, -v70, v77, 1.0
	v_fmac_f32_e32 v77, v78, v77
	s_delay_alu instid0(VALU_DEP_1) | instskip(NEXT) | instid1(VALU_DEP_1)
	v_mul_f32_e32 v78, v79, v77
	v_fma_f32 v80, -v70, v78, v79
	s_delay_alu instid0(VALU_DEP_1) | instskip(NEXT) | instid1(VALU_DEP_1)
	v_fmac_f32_e32 v78, v80, v77
	v_fma_f32 v70, -v70, v78, v79
	s_delay_alu instid0(VALU_DEP_1) | instskip(NEXT) | instid1(VALU_DEP_1)
	v_div_fmas_f32 v70, v70, v77, v78
	v_div_fixup_f32 v71, v70, v71, 1.0
	s_delay_alu instid0(VALU_DEP_1)
	v_mul_f32_e32 v70, v69, v71
	v_xor_b32_e32 v71, 0x80000000, v71
.LBB60_49:
	s_and_not1_saveexec_b32 s1, s1
	s_cbranch_execz .LBB60_51
; %bb.50:
	s_delay_alu instid0(VALU_DEP_1) | instskip(SKIP_1) | instid1(VALU_DEP_2)
	v_div_scale_f32 v69, null, v70, v70, v71
	v_div_scale_f32 v79, vcc_lo, v71, v70, v71
	v_rcp_f32_e32 v77, v69
	v_nop
	s_delay_alu instid0(TRANS32_DEP_1) | instskip(NEXT) | instid1(VALU_DEP_1)
	v_fma_f32 v78, -v69, v77, 1.0
	v_fmac_f32_e32 v77, v78, v77
	s_delay_alu instid0(VALU_DEP_1) | instskip(NEXT) | instid1(VALU_DEP_1)
	v_mul_f32_e32 v78, v79, v77
	v_fma_f32 v80, -v69, v78, v79
	s_delay_alu instid0(VALU_DEP_1) | instskip(NEXT) | instid1(VALU_DEP_1)
	v_fmac_f32_e32 v78, v80, v77
	v_fma_f32 v69, -v69, v78, v79
	s_delay_alu instid0(VALU_DEP_1) | instskip(NEXT) | instid1(VALU_DEP_1)
	v_div_fmas_f32 v69, v69, v77, v78
	v_div_fixup_f32 v69, v69, v70, v71
	s_delay_alu instid0(VALU_DEP_1) | instskip(NEXT) | instid1(VALU_DEP_1)
	v_fmac_f32_e32 v70, v71, v69
	v_div_scale_f32 v71, null, v70, v70, 1.0
	s_delay_alu instid0(VALU_DEP_1) | instskip(SKIP_1) | instid1(TRANS32_DEP_1)
	v_rcp_f32_e32 v77, v71
	v_nop
	v_fma_f32 v78, -v71, v77, 1.0
	s_delay_alu instid0(VALU_DEP_1) | instskip(SKIP_1) | instid1(VALU_DEP_1)
	v_fmac_f32_e32 v77, v78, v77
	v_div_scale_f32 v78, vcc_lo, 1.0, v70, 1.0
	v_mul_f32_e32 v79, v78, v77
	s_delay_alu instid0(VALU_DEP_1) | instskip(NEXT) | instid1(VALU_DEP_1)
	v_fma_f32 v80, -v71, v79, v78
	v_fmac_f32_e32 v79, v80, v77
	s_delay_alu instid0(VALU_DEP_1) | instskip(NEXT) | instid1(VALU_DEP_1)
	v_fma_f32 v71, -v71, v79, v78
	v_div_fmas_f32 v71, v71, v77, v79
	s_delay_alu instid0(VALU_DEP_1) | instskip(NEXT) | instid1(VALU_DEP_1)
	v_div_fixup_f32 v70, v71, v70, 1.0
	v_mul_f32_e64 v71, v69, -v70
.LBB60_51:
	s_or_b32 exec_lo, exec_lo, s1
.LBB60_52:
	s_delay_alu instid0(SALU_CYCLE_1) | instskip(NEXT) | instid1(SALU_CYCLE_1)
	s_or_b32 exec_lo, exec_lo, s0
	s_mov_b32 s0, exec_lo
	v_cmpx_ne_u32_e64 v76, v68
	s_xor_b32 s0, exec_lo, s0
	s_cbranch_execz .LBB60_58
; %bb.53:
	s_mov_b32 s1, exec_lo
	v_cmpx_eq_u32_e32 2, v76
	s_cbranch_execz .LBB60_57
; %bb.54:
	v_cmp_ne_u32_e32 vcc_lo, 2, v68
	s_xor_b32 s12, s16, -1
	s_delay_alu instid0(SALU_CYCLE_1) | instskip(NEXT) | instid1(SALU_CYCLE_1)
	s_and_b32 s13, s12, vcc_lo
	s_and_saveexec_b32 s12, s13
	s_cbranch_execz .LBB60_56
; %bb.55:
	v_ashrrev_i32_e32 v69, 31, v68
	s_delay_alu instid0(VALU_DEP_1)
	v_lshl_add_u64 v[76:77], v[68:69], 2, v[4:5]
	s_clause 0x1
	global_load_b32 v69, v[76:77], off
	global_load_b32 v75, v[4:5], off offset:8
	s_wait_loadcnt 0x1
	global_store_b32 v[4:5], v69, off offset:8
	s_wait_loadcnt 0x0
	global_store_b32 v[76:77], v75, off
.LBB60_56:
	s_wait_xcnt 0x0
	s_or_b32 exec_lo, exec_lo, s12
	v_dual_mov_b32 v76, v68 :: v_dual_mov_b32 v75, v68
.LBB60_57:
	s_or_b32 exec_lo, exec_lo, s1
.LBB60_58:
	s_and_not1_saveexec_b32 s0, s0
	s_cbranch_execz .LBB60_60
; %bb.59:
	v_mov_b32_e32 v76, 2
	ds_store_2addr_b64 v72, v[58:59], v[40:41] offset0:3 offset1:4
	ds_store_2addr_b64 v72, v[38:39], v[8:9] offset0:5 offset1:6
	;; [unrolled: 1-line block ×14, first 2 shown]
.LBB60_60:
	s_or_b32 exec_lo, exec_lo, s0
	s_delay_alu instid0(SALU_CYCLE_1)
	s_mov_b32 s0, exec_lo
	s_wait_storecnt_dscnt 0x0
	s_barrier_signal -1
	s_barrier_wait -1
	v_cmpx_lt_i32_e32 2, v76
	s_cbranch_execz .LBB60_62
; %bb.61:
	v_pk_mul_f32 v[78:79], v[70:71], v[60:61] op_sel:[1,1] op_sel_hi:[0,1]
	s_delay_alu instid0(VALU_DEP_1)
	v_pk_fma_f32 v[68:69], v[70:71], v[60:61], v[78:79] op_sel_hi:[1,0,1] neg_lo:[0,0,1] neg_hi:[0,0,1]
	v_pk_fma_f32 v[70:71], v[70:71], v[60:61], v[78:79] op_sel_hi:[1,0,1]
	ds_load_2addr_b64 v[78:81], v72 offset0:3 offset1:4
	v_dual_mov_b32 v60, v68 :: v_dual_mov_b32 v61, v71
	s_wait_dscnt 0x0
	v_pk_mul_f32 v[82:83], v[78:79], v[70:71] op_sel:[0,1]
	s_delay_alu instid0(VALU_DEP_1) | instskip(SKIP_1) | instid1(VALU_DEP_1)
	v_pk_fma_f32 v[84:85], v[78:79], v[68:69], v[82:83] op_sel:[0,0,1] op_sel_hi:[1,1,0] neg_lo:[0,0,1] neg_hi:[0,0,1]
	v_pk_fma_f32 v[78:79], v[78:79], v[68:69], v[82:83] op_sel:[0,0,1] op_sel_hi:[1,0,0]
	v_mov_b32_e32 v85, v79
	v_pk_mul_f32 v[78:79], v[80:81], v[70:71] op_sel:[0,1]
	s_delay_alu instid0(VALU_DEP_1) | instskip(SKIP_1) | instid1(VALU_DEP_1)
	v_pk_fma_f32 v[82:83], v[80:81], v[68:69], v[78:79] op_sel:[0,0,1] op_sel_hi:[1,1,0] neg_lo:[0,0,1] neg_hi:[0,0,1]
	v_pk_fma_f32 v[78:79], v[80:81], v[68:69], v[78:79] op_sel:[0,0,1] op_sel_hi:[1,0,0]
	v_mov_b32_e32 v83, v79
	ds_load_2addr_b64 v[78:81], v72 offset0:5 offset1:6
	v_pk_add_f32 v[58:59], v[58:59], v[84:85] neg_lo:[0,1] neg_hi:[0,1]
	v_pk_add_f32 v[40:41], v[40:41], v[82:83] neg_lo:[0,1] neg_hi:[0,1]
	s_wait_dscnt 0x0
	v_pk_mul_f32 v[82:83], v[78:79], v[70:71] op_sel:[0,1]
	s_delay_alu instid0(VALU_DEP_1) | instskip(SKIP_2) | instid1(VALU_DEP_2)
	v_pk_fma_f32 v[84:85], v[78:79], v[68:69], v[82:83] op_sel:[0,0,1] op_sel_hi:[1,1,0] neg_lo:[0,0,1] neg_hi:[0,0,1]
	v_pk_fma_f32 v[78:79], v[78:79], v[68:69], v[82:83] op_sel:[0,0,1] op_sel_hi:[1,0,0]
	v_dual_mul_f32 v82, v81, v71 :: v_dual_mov_b32 v78, v81
	v_dual_mov_b32 v85, v79 :: v_dual_mov_b32 v79, v80
	s_delay_alu instid0(VALU_DEP_2) | instskip(SKIP_1) | instid1(VALU_DEP_3)
	v_pk_fma_f32 v[82:83], v[80:81], v[60:61], v[82:83] op_sel_hi:[1,1,0] neg_lo:[0,0,1] neg_hi:[0,0,1]
	v_mul_f32_e32 v80, v81, v68
	v_pk_add_f32 v[38:39], v[38:39], v[84:85] neg_lo:[0,1] neg_hi:[0,1]
	s_delay_alu instid0(VALU_DEP_2) | instskip(NEXT) | instid1(VALU_DEP_1)
	v_pk_fma_f32 v[78:79], v[78:79], v[60:61], v[80:81] op_sel_hi:[1,1,0]
	v_mov_b32_e32 v83, v79
	ds_load_2addr_b64 v[78:81], v72 offset0:7 offset1:8
	v_pk_add_f32 v[8:9], v[8:9], v[82:83] neg_lo:[0,1] neg_hi:[0,1]
	s_wait_dscnt 0x0
	v_pk_mul_f32 v[82:83], v[78:79], v[70:71] op_sel:[0,1]
	s_delay_alu instid0(VALU_DEP_1) | instskip(SKIP_1) | instid1(VALU_DEP_1)
	v_pk_fma_f32 v[84:85], v[78:79], v[68:69], v[82:83] op_sel:[0,0,1] op_sel_hi:[1,1,0] neg_lo:[0,0,1] neg_hi:[0,0,1]
	v_pk_fma_f32 v[78:79], v[78:79], v[68:69], v[82:83] op_sel:[0,0,1] op_sel_hi:[1,0,0]
	v_mov_b32_e32 v85, v79
	v_pk_mul_f32 v[78:79], v[80:81], v[70:71] op_sel:[0,1]
	s_delay_alu instid0(VALU_DEP_1) | instskip(SKIP_1) | instid1(VALU_DEP_1)
	v_pk_fma_f32 v[82:83], v[80:81], v[68:69], v[78:79] op_sel:[0,0,1] op_sel_hi:[1,1,0] neg_lo:[0,0,1] neg_hi:[0,0,1]
	v_pk_fma_f32 v[78:79], v[80:81], v[68:69], v[78:79] op_sel:[0,0,1] op_sel_hi:[1,0,0]
	v_mov_b32_e32 v83, v79
	ds_load_2addr_b64 v[78:81], v72 offset0:9 offset1:10
	v_pk_add_f32 v[6:7], v[6:7], v[84:85] neg_lo:[0,1] neg_hi:[0,1]
	v_pk_add_f32 v[44:45], v[44:45], v[82:83] neg_lo:[0,1] neg_hi:[0,1]
	s_wait_dscnt 0x0
	v_pk_mul_f32 v[82:83], v[78:79], v[70:71] op_sel:[0,1]
	s_delay_alu instid0(VALU_DEP_1) | instskip(SKIP_1) | instid1(VALU_DEP_1)
	v_pk_fma_f32 v[84:85], v[78:79], v[68:69], v[82:83] op_sel:[0,0,1] op_sel_hi:[1,1,0] neg_lo:[0,0,1] neg_hi:[0,0,1]
	v_pk_fma_f32 v[78:79], v[78:79], v[68:69], v[82:83] op_sel:[0,0,1] op_sel_hi:[1,0,0]
	v_mov_b32_e32 v85, v79
	v_pk_mul_f32 v[78:79], v[80:81], v[70:71] op_sel:[0,1]
	s_delay_alu instid0(VALU_DEP_1) | instskip(SKIP_1) | instid1(VALU_DEP_1)
	v_pk_fma_f32 v[82:83], v[80:81], v[68:69], v[78:79] op_sel:[0,0,1] op_sel_hi:[1,1,0] neg_lo:[0,0,1] neg_hi:[0,0,1]
	v_pk_fma_f32 v[78:79], v[80:81], v[68:69], v[78:79] op_sel:[0,0,1] op_sel_hi:[1,0,0]
	v_mov_b32_e32 v83, v79
	ds_load_2addr_b64 v[78:81], v72 offset0:11 offset1:12
	v_pk_add_f32 v[42:43], v[42:43], v[84:85] neg_lo:[0,1] neg_hi:[0,1]
	v_pk_add_f32 v[12:13], v[12:13], v[82:83] neg_lo:[0,1] neg_hi:[0,1]
	s_wait_dscnt 0x0
	v_dual_mul_f32 v82, v79, v71 :: v_dual_mul_f32 v84, v79, v68
	s_delay_alu instid0(VALU_DEP_1) | instskip(NEXT) | instid1(VALU_DEP_2)
	v_pk_fma_f32 v[82:83], v[78:79], v[60:61], v[82:83] op_sel_hi:[1,1,0] neg_lo:[0,0,1] neg_hi:[0,0,1]
	v_pk_fma_f32 v[78:79], v[78:79], v[60:61], v[84:85] op_sel:[1,0,0] op_sel_hi:[0,1,0]
	s_delay_alu instid0(VALU_DEP_1) | instskip(SKIP_1) | instid1(VALU_DEP_2)
	v_mov_b32_e32 v83, v79
	v_pk_mul_f32 v[78:79], v[80:81], v[70:71] op_sel:[0,1]
	v_pk_add_f32 v[10:11], v[10:11], v[82:83] neg_lo:[0,1] neg_hi:[0,1]
	s_delay_alu instid0(VALU_DEP_2) | instskip(SKIP_1) | instid1(VALU_DEP_1)
	v_pk_fma_f32 v[82:83], v[80:81], v[68:69], v[78:79] op_sel:[0,0,1] op_sel_hi:[1,1,0] neg_lo:[0,0,1] neg_hi:[0,0,1]
	v_pk_fma_f32 v[78:79], v[80:81], v[68:69], v[78:79] op_sel:[0,0,1] op_sel_hi:[1,0,0]
	v_mov_b32_e32 v83, v79
	ds_load_2addr_b64 v[78:81], v72 offset0:13 offset1:14
	v_pk_add_f32 v[48:49], v[48:49], v[82:83] neg_lo:[0,1] neg_hi:[0,1]
	s_wait_dscnt 0x0
	v_pk_mul_f32 v[82:83], v[78:79], v[70:71] op_sel:[0,1]
	s_delay_alu instid0(VALU_DEP_1) | instskip(SKIP_1) | instid1(VALU_DEP_1)
	v_pk_fma_f32 v[84:85], v[78:79], v[68:69], v[82:83] op_sel:[0,0,1] op_sel_hi:[1,1,0] neg_lo:[0,0,1] neg_hi:[0,0,1]
	v_pk_fma_f32 v[78:79], v[78:79], v[68:69], v[82:83] op_sel:[0,0,1] op_sel_hi:[1,0,0]
	v_mov_b32_e32 v85, v79
	v_pk_mul_f32 v[78:79], v[80:81], v[70:71] op_sel:[0,1]
	s_delay_alu instid0(VALU_DEP_2) | instskip(NEXT) | instid1(VALU_DEP_2)
	v_pk_add_f32 v[46:47], v[46:47], v[84:85] neg_lo:[0,1] neg_hi:[0,1]
	v_pk_fma_f32 v[82:83], v[80:81], v[68:69], v[78:79] op_sel:[0,0,1] op_sel_hi:[1,1,0] neg_lo:[0,0,1] neg_hi:[0,0,1]
	v_pk_fma_f32 v[78:79], v[80:81], v[68:69], v[78:79] op_sel:[0,0,1] op_sel_hi:[1,0,0]
	s_delay_alu instid0(VALU_DEP_1) | instskip(SKIP_4) | instid1(VALU_DEP_1)
	v_mov_b32_e32 v83, v79
	ds_load_2addr_b64 v[78:81], v72 offset0:15 offset1:16
	v_pk_add_f32 v[16:17], v[16:17], v[82:83] neg_lo:[0,1] neg_hi:[0,1]
	s_wait_dscnt 0x0
	v_pk_mul_f32 v[82:83], v[78:79], v[70:71] op_sel:[0,1]
	v_pk_fma_f32 v[84:85], v[78:79], v[68:69], v[82:83] op_sel:[0,0,1] op_sel_hi:[1,1,0] neg_lo:[0,0,1] neg_hi:[0,0,1]
	v_pk_fma_f32 v[78:79], v[78:79], v[68:69], v[82:83] op_sel:[0,0,1] op_sel_hi:[1,0,0]
	v_dual_mul_f32 v82, v81, v71 :: v_dual_mov_b32 v78, v81
	s_delay_alu instid0(VALU_DEP_2) | instskip(NEXT) | instid1(VALU_DEP_2)
	v_dual_mov_b32 v85, v79 :: v_dual_mov_b32 v79, v80
	v_pk_fma_f32 v[82:83], v[80:81], v[60:61], v[82:83] op_sel_hi:[1,1,0] neg_lo:[0,0,1] neg_hi:[0,0,1]
	v_mul_f32_e32 v80, v81, v68
	s_delay_alu instid0(VALU_DEP_3) | instskip(NEXT) | instid1(VALU_DEP_2)
	v_pk_add_f32 v[14:15], v[14:15], v[84:85] neg_lo:[0,1] neg_hi:[0,1]
	v_pk_fma_f32 v[78:79], v[78:79], v[60:61], v[80:81] op_sel_hi:[1,1,0]
	s_delay_alu instid0(VALU_DEP_1) | instskip(SKIP_4) | instid1(VALU_DEP_1)
	v_mov_b32_e32 v83, v79
	ds_load_2addr_b64 v[78:81], v72 offset0:17 offset1:18
	v_pk_add_f32 v[56:57], v[56:57], v[82:83] neg_lo:[0,1] neg_hi:[0,1]
	s_wait_dscnt 0x0
	v_pk_mul_f32 v[82:83], v[78:79], v[70:71] op_sel:[0,1]
	v_pk_fma_f32 v[84:85], v[78:79], v[68:69], v[82:83] op_sel:[0,0,1] op_sel_hi:[1,1,0] neg_lo:[0,0,1] neg_hi:[0,0,1]
	v_pk_fma_f32 v[78:79], v[78:79], v[68:69], v[82:83] op_sel:[0,0,1] op_sel_hi:[1,0,0]
	s_delay_alu instid0(VALU_DEP_1) | instskip(SKIP_1) | instid1(VALU_DEP_1)
	v_mov_b32_e32 v85, v79
	v_pk_mul_f32 v[78:79], v[80:81], v[70:71] op_sel:[0,1]
	v_pk_fma_f32 v[82:83], v[80:81], v[68:69], v[78:79] op_sel:[0,0,1] op_sel_hi:[1,1,0] neg_lo:[0,0,1] neg_hi:[0,0,1]
	v_pk_fma_f32 v[78:79], v[80:81], v[68:69], v[78:79] op_sel:[0,0,1] op_sel_hi:[1,0,0]
	s_delay_alu instid0(VALU_DEP_1)
	v_mov_b32_e32 v83, v79
	ds_load_2addr_b64 v[78:81], v72 offset0:19 offset1:20
	v_pk_add_f32 v[54:55], v[54:55], v[84:85] neg_lo:[0,1] neg_hi:[0,1]
	v_pk_add_f32 v[28:29], v[28:29], v[82:83] neg_lo:[0,1] neg_hi:[0,1]
	s_wait_dscnt 0x0
	v_pk_mul_f32 v[82:83], v[78:79], v[70:71] op_sel:[0,1]
	s_delay_alu instid0(VALU_DEP_1) | instskip(SKIP_1) | instid1(VALU_DEP_1)
	v_pk_fma_f32 v[84:85], v[78:79], v[68:69], v[82:83] op_sel:[0,0,1] op_sel_hi:[1,1,0] neg_lo:[0,0,1] neg_hi:[0,0,1]
	v_pk_fma_f32 v[78:79], v[78:79], v[68:69], v[82:83] op_sel:[0,0,1] op_sel_hi:[1,0,0]
	v_mov_b32_e32 v85, v79
	v_pk_mul_f32 v[78:79], v[80:81], v[70:71] op_sel:[0,1]
	s_delay_alu instid0(VALU_DEP_1) | instskip(SKIP_1) | instid1(VALU_DEP_1)
	v_pk_fma_f32 v[82:83], v[80:81], v[68:69], v[78:79] op_sel:[0,0,1] op_sel_hi:[1,1,0] neg_lo:[0,0,1] neg_hi:[0,0,1]
	v_pk_fma_f32 v[78:79], v[80:81], v[68:69], v[78:79] op_sel:[0,0,1] op_sel_hi:[1,0,0]
	v_mov_b32_e32 v83, v79
	ds_load_2addr_b64 v[78:81], v72 offset0:21 offset1:22
	v_pk_add_f32 v[26:27], v[26:27], v[84:85] neg_lo:[0,1] neg_hi:[0,1]
	v_pk_add_f32 v[52:53], v[52:53], v[82:83] neg_lo:[0,1] neg_hi:[0,1]
	s_wait_dscnt 0x0
	v_dual_mul_f32 v82, v79, v71 :: v_dual_mul_f32 v84, v79, v68
	s_delay_alu instid0(VALU_DEP_1) | instskip(NEXT) | instid1(VALU_DEP_2)
	v_pk_fma_f32 v[82:83], v[78:79], v[60:61], v[82:83] op_sel_hi:[1,1,0] neg_lo:[0,0,1] neg_hi:[0,0,1]
	v_pk_fma_f32 v[78:79], v[78:79], v[60:61], v[84:85] op_sel:[1,0,0] op_sel_hi:[0,1,0]
	s_delay_alu instid0(VALU_DEP_1) | instskip(SKIP_1) | instid1(VALU_DEP_2)
	v_mov_b32_e32 v83, v79
	v_pk_mul_f32 v[78:79], v[80:81], v[70:71] op_sel:[0,1]
	v_pk_add_f32 v[50:51], v[50:51], v[82:83] neg_lo:[0,1] neg_hi:[0,1]
	s_delay_alu instid0(VALU_DEP_2) | instskip(SKIP_1) | instid1(VALU_DEP_1)
	v_pk_fma_f32 v[82:83], v[80:81], v[68:69], v[78:79] op_sel:[0,0,1] op_sel_hi:[1,1,0] neg_lo:[0,0,1] neg_hi:[0,0,1]
	v_pk_fma_f32 v[78:79], v[80:81], v[68:69], v[78:79] op_sel:[0,0,1] op_sel_hi:[1,0,0]
	v_mov_b32_e32 v83, v79
	ds_load_2addr_b64 v[78:81], v72 offset0:23 offset1:24
	v_pk_add_f32 v[22:23], v[22:23], v[82:83] neg_lo:[0,1] neg_hi:[0,1]
	s_wait_dscnt 0x0
	v_pk_mul_f32 v[82:83], v[78:79], v[70:71] op_sel:[0,1]
	s_delay_alu instid0(VALU_DEP_1) | instskip(SKIP_1) | instid1(VALU_DEP_1)
	v_pk_fma_f32 v[84:85], v[78:79], v[68:69], v[82:83] op_sel:[0,0,1] op_sel_hi:[1,1,0] neg_lo:[0,0,1] neg_hi:[0,0,1]
	v_pk_fma_f32 v[78:79], v[78:79], v[68:69], v[82:83] op_sel:[0,0,1] op_sel_hi:[1,0,0]
	v_mov_b32_e32 v85, v79
	v_pk_mul_f32 v[78:79], v[80:81], v[70:71] op_sel:[0,1]
	s_delay_alu instid0(VALU_DEP_2) | instskip(NEXT) | instid1(VALU_DEP_2)
	v_pk_add_f32 v[18:19], v[18:19], v[84:85] neg_lo:[0,1] neg_hi:[0,1]
	v_pk_fma_f32 v[82:83], v[80:81], v[68:69], v[78:79] op_sel:[0,0,1] op_sel_hi:[1,1,0] neg_lo:[0,0,1] neg_hi:[0,0,1]
	v_pk_fma_f32 v[78:79], v[80:81], v[68:69], v[78:79] op_sel:[0,0,1] op_sel_hi:[1,0,0]
	s_delay_alu instid0(VALU_DEP_1) | instskip(SKIP_4) | instid1(VALU_DEP_1)
	v_mov_b32_e32 v83, v79
	ds_load_2addr_b64 v[78:81], v72 offset0:25 offset1:26
	v_pk_add_f32 v[36:37], v[36:37], v[82:83] neg_lo:[0,1] neg_hi:[0,1]
	s_wait_dscnt 0x0
	v_pk_mul_f32 v[82:83], v[78:79], v[70:71] op_sel:[0,1]
	v_pk_fma_f32 v[84:85], v[78:79], v[68:69], v[82:83] op_sel:[0,0,1] op_sel_hi:[1,1,0] neg_lo:[0,0,1] neg_hi:[0,0,1]
	v_pk_fma_f32 v[78:79], v[78:79], v[68:69], v[82:83] op_sel:[0,0,1] op_sel_hi:[1,0,0]
	v_dual_mul_f32 v82, v81, v71 :: v_dual_mov_b32 v78, v81
	s_delay_alu instid0(VALU_DEP_2) | instskip(NEXT) | instid1(VALU_DEP_2)
	v_dual_mov_b32 v85, v79 :: v_dual_mov_b32 v79, v80
	v_pk_fma_f32 v[82:83], v[80:81], v[60:61], v[82:83] op_sel_hi:[1,1,0] neg_lo:[0,0,1] neg_hi:[0,0,1]
	v_mul_f32_e32 v80, v81, v68
	s_delay_alu instid0(VALU_DEP_3) | instskip(NEXT) | instid1(VALU_DEP_2)
	v_pk_add_f32 v[34:35], v[34:35], v[84:85] neg_lo:[0,1] neg_hi:[0,1]
	v_pk_fma_f32 v[78:79], v[78:79], v[60:61], v[80:81] op_sel_hi:[1,1,0]
	s_delay_alu instid0(VALU_DEP_1) | instskip(SKIP_4) | instid1(VALU_DEP_1)
	v_mov_b32_e32 v83, v79
	ds_load_2addr_b64 v[78:81], v72 offset0:27 offset1:28
	v_pk_add_f32 v[20:21], v[20:21], v[82:83] neg_lo:[0,1] neg_hi:[0,1]
	s_wait_dscnt 0x0
	v_pk_mul_f32 v[82:83], v[78:79], v[70:71] op_sel:[0,1]
	v_pk_fma_f32 v[84:85], v[78:79], v[68:69], v[82:83] op_sel:[0,0,1] op_sel_hi:[1,1,0] neg_lo:[0,0,1] neg_hi:[0,0,1]
	v_pk_fma_f32 v[78:79], v[78:79], v[68:69], v[82:83] op_sel:[0,0,1] op_sel_hi:[1,0,0]
	s_delay_alu instid0(VALU_DEP_1) | instskip(SKIP_1) | instid1(VALU_DEP_1)
	v_mov_b32_e32 v85, v79
	v_pk_mul_f32 v[78:79], v[80:81], v[70:71] op_sel:[0,1]
	v_pk_fma_f32 v[82:83], v[80:81], v[68:69], v[78:79] op_sel:[0,0,1] op_sel_hi:[1,1,0] neg_lo:[0,0,1] neg_hi:[0,0,1]
	v_pk_fma_f32 v[78:79], v[80:81], v[68:69], v[78:79] op_sel:[0,0,1] op_sel_hi:[1,0,0]
	s_delay_alu instid0(VALU_DEP_1)
	v_mov_b32_e32 v83, v79
	ds_load_2addr_b64 v[78:81], v72 offset0:29 offset1:30
	v_pk_add_f32 v[32:33], v[32:33], v[84:85] neg_lo:[0,1] neg_hi:[0,1]
	v_pk_add_f32 v[30:31], v[30:31], v[82:83] neg_lo:[0,1] neg_hi:[0,1]
	s_wait_dscnt 0x0
	v_pk_mul_f32 v[82:83], v[78:79], v[70:71] op_sel:[0,1]
	v_pk_mul_f32 v[70:71], v[80:81], v[70:71] op_sel:[0,1]
	s_delay_alu instid0(VALU_DEP_2) | instskip(SKIP_1) | instid1(VALU_DEP_1)
	v_pk_fma_f32 v[84:85], v[78:79], v[68:69], v[82:83] op_sel:[0,0,1] op_sel_hi:[1,1,0] neg_lo:[0,0,1] neg_hi:[0,0,1]
	v_pk_fma_f32 v[78:79], v[78:79], v[68:69], v[82:83] op_sel:[0,0,1] op_sel_hi:[1,0,0]
	v_mov_b32_e32 v85, v79
	s_delay_alu instid0(VALU_DEP_4) | instskip(SKIP_1) | instid1(VALU_DEP_1)
	v_pk_fma_f32 v[78:79], v[80:81], v[68:69], v[70:71] op_sel:[0,0,1] op_sel_hi:[1,1,0] neg_lo:[0,0,1] neg_hi:[0,0,1]
	v_pk_fma_f32 v[68:69], v[80:81], v[68:69], v[70:71] op_sel:[0,0,1] op_sel_hi:[1,0,0]
	v_mov_b32_e32 v79, v69
	s_delay_alu instid0(VALU_DEP_4) | instskip(NEXT) | instid1(VALU_DEP_2)
	v_pk_add_f32 v[24:25], v[24:25], v[84:85] neg_lo:[0,1] neg_hi:[0,1]
	v_pk_add_f32 v[66:67], v[66:67], v[78:79] neg_lo:[0,1] neg_hi:[0,1]
.LBB60_62:
	s_or_b32 exec_lo, exec_lo, s0
	v_lshl_add_u32 v68, v76, 3, v72
	s_barrier_signal -1
	s_barrier_wait -1
	ds_store_b64 v68, v[58:59]
	s_wait_dscnt 0x0
	s_barrier_signal -1
	s_barrier_wait -1
	ds_load_b64 v[70:71], v72 offset:24
	v_mov_b32_e32 v68, 3
	s_cmp_lt_i32 s18, 5
	s_cbranch_scc1 .LBB60_65
; %bb.63:
	v_mov_b32_e32 v68, 3
	v_add3_u32 v69, v73, 0, 32
	s_mov_b32 s0, 4
.LBB60_64:                              ; =>This Inner Loop Header: Depth=1
	ds_load_b64 v[78:79], v69
	s_wait_dscnt 0x1
	v_cmp_gt_f32_e32 vcc_lo, 0, v70
	v_cndmask_b32_e64 v80, v70, -v70, vcc_lo
	v_cmp_gt_f32_e32 vcc_lo, 0, v71
	v_cndmask_b32_e64 v82, v71, -v71, vcc_lo
	s_wait_dscnt 0x0
	v_cmp_gt_f32_e32 vcc_lo, 0, v78
	v_cndmask_b32_e64 v81, v78, -v78, vcc_lo
	v_cmp_gt_f32_e32 vcc_lo, 0, v79
	v_cndmask_b32_e64 v83, v79, -v79, vcc_lo
	s_delay_alu instid0(VALU_DEP_1) | instskip(NEXT) | instid1(VALU_DEP_1)
	v_pk_add_f32 v[80:81], v[80:81], v[82:83]
	v_cmp_lt_f32_e32 vcc_lo, v80, v81
	v_dual_add_nc_u32 v69, 8, v69 :: v_dual_cndmask_b32 v71, v71, v79, vcc_lo
	v_cndmask_b32_e32 v70, v70, v78, vcc_lo
	v_cndmask_b32_e64 v68, v68, s0, vcc_lo
	s_add_co_i32 s0, s0, 1
	s_delay_alu instid0(SALU_CYCLE_1)
	s_cmp_lg_u32 s18, s0
	s_cbranch_scc1 .LBB60_64
.LBB60_65:
	s_wait_dscnt 0x0
	v_cmp_eq_f32_e32 vcc_lo, 0, v70
	v_cmp_eq_f32_e64 s0, 0, v71
	s_and_b32 s0, vcc_lo, s0
	s_delay_alu instid0(SALU_CYCLE_1) | instskip(NEXT) | instid1(SALU_CYCLE_1)
	s_and_saveexec_b32 s1, s0
	s_xor_b32 s0, exec_lo, s1
; %bb.66:
	v_cmp_ne_u32_e32 vcc_lo, 0, v74
	v_cndmask_b32_e32 v74, 4, v74, vcc_lo
; %bb.67:
	s_and_not1_saveexec_b32 s0, s0
	s_cbranch_execz .LBB60_73
; %bb.68:
	v_cmp_ngt_f32_e64 s1, |v70|, |v71|
	s_and_saveexec_b32 s12, s1
	s_delay_alu instid0(SALU_CYCLE_1)
	s_xor_b32 s1, exec_lo, s12
	s_cbranch_execz .LBB60_70
; %bb.69:
	v_div_scale_f32 v69, null, v71, v71, v70
	v_div_scale_f32 v79, vcc_lo, v70, v71, v70
	s_delay_alu instid0(VALU_DEP_2) | instskip(SKIP_1) | instid1(TRANS32_DEP_1)
	v_rcp_f32_e32 v77, v69
	v_nop
	v_fma_f32 v78, -v69, v77, 1.0
	s_delay_alu instid0(VALU_DEP_1) | instskip(NEXT) | instid1(VALU_DEP_1)
	v_fmac_f32_e32 v77, v78, v77
	v_mul_f32_e32 v78, v79, v77
	s_delay_alu instid0(VALU_DEP_1) | instskip(NEXT) | instid1(VALU_DEP_1)
	v_fma_f32 v80, -v69, v78, v79
	v_fmac_f32_e32 v78, v80, v77
	s_delay_alu instid0(VALU_DEP_1) | instskip(NEXT) | instid1(VALU_DEP_1)
	v_fma_f32 v69, -v69, v78, v79
	v_div_fmas_f32 v69, v69, v77, v78
	s_delay_alu instid0(VALU_DEP_1) | instskip(NEXT) | instid1(VALU_DEP_1)
	v_div_fixup_f32 v69, v69, v71, v70
	v_fmac_f32_e32 v71, v70, v69
	s_delay_alu instid0(VALU_DEP_1) | instskip(SKIP_1) | instid1(VALU_DEP_2)
	v_div_scale_f32 v70, null, v71, v71, 1.0
	v_div_scale_f32 v79, vcc_lo, 1.0, v71, 1.0
	v_rcp_f32_e32 v77, v70
	v_nop
	s_delay_alu instid0(TRANS32_DEP_1) | instskip(NEXT) | instid1(VALU_DEP_1)
	v_fma_f32 v78, -v70, v77, 1.0
	v_fmac_f32_e32 v77, v78, v77
	s_delay_alu instid0(VALU_DEP_1) | instskip(NEXT) | instid1(VALU_DEP_1)
	v_mul_f32_e32 v78, v79, v77
	v_fma_f32 v80, -v70, v78, v79
	s_delay_alu instid0(VALU_DEP_1) | instskip(NEXT) | instid1(VALU_DEP_1)
	v_fmac_f32_e32 v78, v80, v77
	v_fma_f32 v70, -v70, v78, v79
	s_delay_alu instid0(VALU_DEP_1) | instskip(NEXT) | instid1(VALU_DEP_1)
	v_div_fmas_f32 v70, v70, v77, v78
	v_div_fixup_f32 v71, v70, v71, 1.0
	s_delay_alu instid0(VALU_DEP_1)
	v_mul_f32_e32 v70, v69, v71
	v_xor_b32_e32 v71, 0x80000000, v71
.LBB60_70:
	s_and_not1_saveexec_b32 s1, s1
	s_cbranch_execz .LBB60_72
; %bb.71:
	s_delay_alu instid0(VALU_DEP_1) | instskip(SKIP_1) | instid1(VALU_DEP_2)
	v_div_scale_f32 v69, null, v70, v70, v71
	v_div_scale_f32 v79, vcc_lo, v71, v70, v71
	v_rcp_f32_e32 v77, v69
	v_nop
	s_delay_alu instid0(TRANS32_DEP_1) | instskip(NEXT) | instid1(VALU_DEP_1)
	v_fma_f32 v78, -v69, v77, 1.0
	v_fmac_f32_e32 v77, v78, v77
	s_delay_alu instid0(VALU_DEP_1) | instskip(NEXT) | instid1(VALU_DEP_1)
	v_mul_f32_e32 v78, v79, v77
	v_fma_f32 v80, -v69, v78, v79
	s_delay_alu instid0(VALU_DEP_1) | instskip(NEXT) | instid1(VALU_DEP_1)
	v_fmac_f32_e32 v78, v80, v77
	v_fma_f32 v69, -v69, v78, v79
	s_delay_alu instid0(VALU_DEP_1) | instskip(NEXT) | instid1(VALU_DEP_1)
	v_div_fmas_f32 v69, v69, v77, v78
	v_div_fixup_f32 v69, v69, v70, v71
	s_delay_alu instid0(VALU_DEP_1) | instskip(NEXT) | instid1(VALU_DEP_1)
	v_fmac_f32_e32 v70, v71, v69
	v_div_scale_f32 v71, null, v70, v70, 1.0
	s_delay_alu instid0(VALU_DEP_1) | instskip(SKIP_1) | instid1(TRANS32_DEP_1)
	v_rcp_f32_e32 v77, v71
	v_nop
	v_fma_f32 v78, -v71, v77, 1.0
	s_delay_alu instid0(VALU_DEP_1) | instskip(SKIP_1) | instid1(VALU_DEP_1)
	v_fmac_f32_e32 v77, v78, v77
	v_div_scale_f32 v78, vcc_lo, 1.0, v70, 1.0
	v_mul_f32_e32 v79, v78, v77
	s_delay_alu instid0(VALU_DEP_1) | instskip(NEXT) | instid1(VALU_DEP_1)
	v_fma_f32 v80, -v71, v79, v78
	v_fmac_f32_e32 v79, v80, v77
	s_delay_alu instid0(VALU_DEP_1) | instskip(NEXT) | instid1(VALU_DEP_1)
	v_fma_f32 v71, -v71, v79, v78
	v_div_fmas_f32 v71, v71, v77, v79
	s_delay_alu instid0(VALU_DEP_1) | instskip(NEXT) | instid1(VALU_DEP_1)
	v_div_fixup_f32 v70, v71, v70, 1.0
	v_mul_f32_e64 v71, v69, -v70
.LBB60_72:
	s_or_b32 exec_lo, exec_lo, s1
.LBB60_73:
	s_delay_alu instid0(SALU_CYCLE_1) | instskip(NEXT) | instid1(SALU_CYCLE_1)
	s_or_b32 exec_lo, exec_lo, s0
	s_mov_b32 s0, exec_lo
	v_cmpx_ne_u32_e64 v76, v68
	s_xor_b32 s0, exec_lo, s0
	s_cbranch_execz .LBB60_79
; %bb.74:
	s_mov_b32 s1, exec_lo
	v_cmpx_eq_u32_e32 3, v76
	s_cbranch_execz .LBB60_78
; %bb.75:
	v_cmp_ne_u32_e32 vcc_lo, 3, v68
	s_xor_b32 s12, s16, -1
	s_delay_alu instid0(SALU_CYCLE_1) | instskip(NEXT) | instid1(SALU_CYCLE_1)
	s_and_b32 s13, s12, vcc_lo
	s_and_saveexec_b32 s12, s13
	s_cbranch_execz .LBB60_77
; %bb.76:
	v_ashrrev_i32_e32 v69, 31, v68
	s_delay_alu instid0(VALU_DEP_1)
	v_lshl_add_u64 v[76:77], v[68:69], 2, v[4:5]
	s_clause 0x1
	global_load_b32 v69, v[76:77], off
	global_load_b32 v75, v[4:5], off offset:12
	s_wait_loadcnt 0x1
	global_store_b32 v[4:5], v69, off offset:12
	s_wait_loadcnt 0x0
	global_store_b32 v[76:77], v75, off
.LBB60_77:
	s_wait_xcnt 0x0
	s_or_b32 exec_lo, exec_lo, s12
	v_dual_mov_b32 v76, v68 :: v_dual_mov_b32 v75, v68
.LBB60_78:
	s_or_b32 exec_lo, exec_lo, s1
.LBB60_79:
	s_and_not1_saveexec_b32 s0, s0
	s_cbranch_execz .LBB60_81
; %bb.80:
	v_dual_mov_b32 v68, v40 :: v_dual_mov_b32 v69, v41
	v_dual_mov_b32 v76, v38 :: v_dual_mov_b32 v77, v39
	ds_store_2addr_b64 v72, v[68:69], v[76:77] offset0:4 offset1:5
	v_dual_mov_b32 v68, v8 :: v_dual_mov_b32 v69, v9
	v_dual_mov_b32 v76, v6 :: v_dual_mov_b32 v77, v7
	ds_store_2addr_b64 v72, v[68:69], v[76:77] offset0:6 offset1:7
	;; [unrolled: 3-line block ×13, first 2 shown]
	ds_store_b64 v72, v[66:67] offset:240
	v_mov_b32_e32 v76, 3
.LBB60_81:
	s_or_b32 exec_lo, exec_lo, s0
	s_delay_alu instid0(SALU_CYCLE_1)
	s_mov_b32 s0, exec_lo
	s_wait_storecnt_dscnt 0x0
	s_barrier_signal -1
	s_barrier_wait -1
	v_cmpx_lt_i32_e32 3, v76
	s_cbranch_execz .LBB60_83
; %bb.82:
	v_pk_mul_f32 v[78:79], v[70:71], v[58:59] op_sel:[1,1] op_sel_hi:[0,1]
	s_delay_alu instid0(VALU_DEP_1)
	v_pk_fma_f32 v[68:69], v[70:71], v[58:59], v[78:79] op_sel_hi:[1,0,1] neg_lo:[0,0,1] neg_hi:[0,0,1]
	v_pk_fma_f32 v[70:71], v[70:71], v[58:59], v[78:79] op_sel_hi:[1,0,1]
	ds_load_2addr_b64 v[78:81], v72 offset0:4 offset1:5
	v_dual_mov_b32 v58, v68 :: v_dual_mov_b32 v59, v71
	s_wait_dscnt 0x0
	v_pk_mul_f32 v[82:83], v[78:79], v[70:71] op_sel:[0,1]
	s_delay_alu instid0(VALU_DEP_1) | instskip(SKIP_1) | instid1(VALU_DEP_1)
	v_pk_fma_f32 v[84:85], v[78:79], v[68:69], v[82:83] op_sel:[0,0,1] op_sel_hi:[1,1,0] neg_lo:[0,0,1] neg_hi:[0,0,1]
	v_pk_fma_f32 v[78:79], v[78:79], v[68:69], v[82:83] op_sel:[0,0,1] op_sel_hi:[1,0,0]
	v_mov_b32_e32 v85, v79
	v_pk_mul_f32 v[78:79], v[80:81], v[70:71] op_sel:[0,1]
	s_delay_alu instid0(VALU_DEP_1) | instskip(SKIP_1) | instid1(VALU_DEP_1)
	v_pk_fma_f32 v[82:83], v[80:81], v[68:69], v[78:79] op_sel:[0,0,1] op_sel_hi:[1,1,0] neg_lo:[0,0,1] neg_hi:[0,0,1]
	v_pk_fma_f32 v[78:79], v[80:81], v[68:69], v[78:79] op_sel:[0,0,1] op_sel_hi:[1,0,0]
	v_mov_b32_e32 v83, v79
	ds_load_2addr_b64 v[78:81], v72 offset0:6 offset1:7
	v_pk_add_f32 v[40:41], v[40:41], v[84:85] neg_lo:[0,1] neg_hi:[0,1]
	v_pk_add_f32 v[38:39], v[38:39], v[82:83] neg_lo:[0,1] neg_hi:[0,1]
	s_wait_dscnt 0x0
	v_pk_mul_f32 v[82:83], v[78:79], v[70:71] op_sel:[0,1]
	s_delay_alu instid0(VALU_DEP_1) | instskip(SKIP_2) | instid1(VALU_DEP_2)
	v_pk_fma_f32 v[84:85], v[78:79], v[68:69], v[82:83] op_sel:[0,0,1] op_sel_hi:[1,1,0] neg_lo:[0,0,1] neg_hi:[0,0,1]
	v_pk_fma_f32 v[78:79], v[78:79], v[68:69], v[82:83] op_sel:[0,0,1] op_sel_hi:[1,0,0]
	v_dual_mul_f32 v82, v81, v71 :: v_dual_mov_b32 v78, v81
	v_dual_mov_b32 v85, v79 :: v_dual_mov_b32 v79, v80
	s_delay_alu instid0(VALU_DEP_2) | instskip(SKIP_1) | instid1(VALU_DEP_3)
	v_pk_fma_f32 v[82:83], v[80:81], v[58:59], v[82:83] op_sel_hi:[1,1,0] neg_lo:[0,0,1] neg_hi:[0,0,1]
	v_mul_f32_e32 v80, v81, v68
	v_pk_add_f32 v[8:9], v[8:9], v[84:85] neg_lo:[0,1] neg_hi:[0,1]
	s_delay_alu instid0(VALU_DEP_2) | instskip(NEXT) | instid1(VALU_DEP_1)
	v_pk_fma_f32 v[78:79], v[78:79], v[58:59], v[80:81] op_sel_hi:[1,1,0]
	v_mov_b32_e32 v83, v79
	ds_load_2addr_b64 v[78:81], v72 offset0:8 offset1:9
	v_pk_add_f32 v[6:7], v[6:7], v[82:83] neg_lo:[0,1] neg_hi:[0,1]
	s_wait_dscnt 0x0
	v_pk_mul_f32 v[82:83], v[78:79], v[70:71] op_sel:[0,1]
	s_delay_alu instid0(VALU_DEP_1) | instskip(SKIP_1) | instid1(VALU_DEP_1)
	v_pk_fma_f32 v[84:85], v[78:79], v[68:69], v[82:83] op_sel:[0,0,1] op_sel_hi:[1,1,0] neg_lo:[0,0,1] neg_hi:[0,0,1]
	v_pk_fma_f32 v[78:79], v[78:79], v[68:69], v[82:83] op_sel:[0,0,1] op_sel_hi:[1,0,0]
	v_mov_b32_e32 v85, v79
	v_pk_mul_f32 v[78:79], v[80:81], v[70:71] op_sel:[0,1]
	s_delay_alu instid0(VALU_DEP_1) | instskip(SKIP_1) | instid1(VALU_DEP_1)
	v_pk_fma_f32 v[82:83], v[80:81], v[68:69], v[78:79] op_sel:[0,0,1] op_sel_hi:[1,1,0] neg_lo:[0,0,1] neg_hi:[0,0,1]
	v_pk_fma_f32 v[78:79], v[80:81], v[68:69], v[78:79] op_sel:[0,0,1] op_sel_hi:[1,0,0]
	v_mov_b32_e32 v83, v79
	ds_load_2addr_b64 v[78:81], v72 offset0:10 offset1:11
	v_pk_add_f32 v[44:45], v[44:45], v[84:85] neg_lo:[0,1] neg_hi:[0,1]
	v_pk_add_f32 v[42:43], v[42:43], v[82:83] neg_lo:[0,1] neg_hi:[0,1]
	s_wait_dscnt 0x0
	v_pk_mul_f32 v[82:83], v[78:79], v[70:71] op_sel:[0,1]
	s_delay_alu instid0(VALU_DEP_1) | instskip(SKIP_1) | instid1(VALU_DEP_1)
	v_pk_fma_f32 v[84:85], v[78:79], v[68:69], v[82:83] op_sel:[0,0,1] op_sel_hi:[1,1,0] neg_lo:[0,0,1] neg_hi:[0,0,1]
	v_pk_fma_f32 v[78:79], v[78:79], v[68:69], v[82:83] op_sel:[0,0,1] op_sel_hi:[1,0,0]
	v_mov_b32_e32 v85, v79
	v_pk_mul_f32 v[78:79], v[80:81], v[70:71] op_sel:[0,1]
	s_delay_alu instid0(VALU_DEP_1) | instskip(SKIP_1) | instid1(VALU_DEP_1)
	v_pk_fma_f32 v[82:83], v[80:81], v[68:69], v[78:79] op_sel:[0,0,1] op_sel_hi:[1,1,0] neg_lo:[0,0,1] neg_hi:[0,0,1]
	v_pk_fma_f32 v[78:79], v[80:81], v[68:69], v[78:79] op_sel:[0,0,1] op_sel_hi:[1,0,0]
	v_mov_b32_e32 v83, v79
	ds_load_2addr_b64 v[78:81], v72 offset0:12 offset1:13
	v_pk_add_f32 v[12:13], v[12:13], v[84:85] neg_lo:[0,1] neg_hi:[0,1]
	v_pk_add_f32 v[10:11], v[10:11], v[82:83] neg_lo:[0,1] neg_hi:[0,1]
	s_wait_dscnt 0x0
	v_dual_mul_f32 v82, v79, v71 :: v_dual_mul_f32 v84, v79, v68
	s_delay_alu instid0(VALU_DEP_1) | instskip(NEXT) | instid1(VALU_DEP_2)
	v_pk_fma_f32 v[82:83], v[78:79], v[58:59], v[82:83] op_sel_hi:[1,1,0] neg_lo:[0,0,1] neg_hi:[0,0,1]
	v_pk_fma_f32 v[78:79], v[78:79], v[58:59], v[84:85] op_sel:[1,0,0] op_sel_hi:[0,1,0]
	s_delay_alu instid0(VALU_DEP_1) | instskip(SKIP_1) | instid1(VALU_DEP_2)
	v_mov_b32_e32 v83, v79
	v_pk_mul_f32 v[78:79], v[80:81], v[70:71] op_sel:[0,1]
	v_pk_add_f32 v[48:49], v[48:49], v[82:83] neg_lo:[0,1] neg_hi:[0,1]
	s_delay_alu instid0(VALU_DEP_2) | instskip(SKIP_1) | instid1(VALU_DEP_1)
	v_pk_fma_f32 v[82:83], v[80:81], v[68:69], v[78:79] op_sel:[0,0,1] op_sel_hi:[1,1,0] neg_lo:[0,0,1] neg_hi:[0,0,1]
	v_pk_fma_f32 v[78:79], v[80:81], v[68:69], v[78:79] op_sel:[0,0,1] op_sel_hi:[1,0,0]
	v_mov_b32_e32 v83, v79
	ds_load_2addr_b64 v[78:81], v72 offset0:14 offset1:15
	v_pk_add_f32 v[46:47], v[46:47], v[82:83] neg_lo:[0,1] neg_hi:[0,1]
	s_wait_dscnt 0x0
	v_pk_mul_f32 v[82:83], v[78:79], v[70:71] op_sel:[0,1]
	s_delay_alu instid0(VALU_DEP_1) | instskip(SKIP_1) | instid1(VALU_DEP_1)
	v_pk_fma_f32 v[84:85], v[78:79], v[68:69], v[82:83] op_sel:[0,0,1] op_sel_hi:[1,1,0] neg_lo:[0,0,1] neg_hi:[0,0,1]
	v_pk_fma_f32 v[78:79], v[78:79], v[68:69], v[82:83] op_sel:[0,0,1] op_sel_hi:[1,0,0]
	v_mov_b32_e32 v85, v79
	v_pk_mul_f32 v[78:79], v[80:81], v[70:71] op_sel:[0,1]
	s_delay_alu instid0(VALU_DEP_2) | instskip(NEXT) | instid1(VALU_DEP_2)
	v_pk_add_f32 v[16:17], v[16:17], v[84:85] neg_lo:[0,1] neg_hi:[0,1]
	v_pk_fma_f32 v[82:83], v[80:81], v[68:69], v[78:79] op_sel:[0,0,1] op_sel_hi:[1,1,0] neg_lo:[0,0,1] neg_hi:[0,0,1]
	v_pk_fma_f32 v[78:79], v[80:81], v[68:69], v[78:79] op_sel:[0,0,1] op_sel_hi:[1,0,0]
	s_delay_alu instid0(VALU_DEP_1) | instskip(SKIP_4) | instid1(VALU_DEP_1)
	v_mov_b32_e32 v83, v79
	ds_load_2addr_b64 v[78:81], v72 offset0:16 offset1:17
	v_pk_add_f32 v[14:15], v[14:15], v[82:83] neg_lo:[0,1] neg_hi:[0,1]
	s_wait_dscnt 0x0
	v_pk_mul_f32 v[82:83], v[78:79], v[70:71] op_sel:[0,1]
	v_pk_fma_f32 v[84:85], v[78:79], v[68:69], v[82:83] op_sel:[0,0,1] op_sel_hi:[1,1,0] neg_lo:[0,0,1] neg_hi:[0,0,1]
	v_pk_fma_f32 v[78:79], v[78:79], v[68:69], v[82:83] op_sel:[0,0,1] op_sel_hi:[1,0,0]
	v_dual_mul_f32 v82, v81, v71 :: v_dual_mov_b32 v78, v81
	s_delay_alu instid0(VALU_DEP_2) | instskip(NEXT) | instid1(VALU_DEP_2)
	v_dual_mov_b32 v85, v79 :: v_dual_mov_b32 v79, v80
	v_pk_fma_f32 v[82:83], v[80:81], v[58:59], v[82:83] op_sel_hi:[1,1,0] neg_lo:[0,0,1] neg_hi:[0,0,1]
	v_mul_f32_e32 v80, v81, v68
	s_delay_alu instid0(VALU_DEP_3) | instskip(NEXT) | instid1(VALU_DEP_2)
	v_pk_add_f32 v[56:57], v[56:57], v[84:85] neg_lo:[0,1] neg_hi:[0,1]
	v_pk_fma_f32 v[78:79], v[78:79], v[58:59], v[80:81] op_sel_hi:[1,1,0]
	s_delay_alu instid0(VALU_DEP_1) | instskip(SKIP_4) | instid1(VALU_DEP_1)
	v_mov_b32_e32 v83, v79
	ds_load_2addr_b64 v[78:81], v72 offset0:18 offset1:19
	v_pk_add_f32 v[54:55], v[54:55], v[82:83] neg_lo:[0,1] neg_hi:[0,1]
	s_wait_dscnt 0x0
	v_pk_mul_f32 v[82:83], v[78:79], v[70:71] op_sel:[0,1]
	v_pk_fma_f32 v[84:85], v[78:79], v[68:69], v[82:83] op_sel:[0,0,1] op_sel_hi:[1,1,0] neg_lo:[0,0,1] neg_hi:[0,0,1]
	v_pk_fma_f32 v[78:79], v[78:79], v[68:69], v[82:83] op_sel:[0,0,1] op_sel_hi:[1,0,0]
	s_delay_alu instid0(VALU_DEP_1) | instskip(SKIP_1) | instid1(VALU_DEP_1)
	v_mov_b32_e32 v85, v79
	v_pk_mul_f32 v[78:79], v[80:81], v[70:71] op_sel:[0,1]
	v_pk_fma_f32 v[82:83], v[80:81], v[68:69], v[78:79] op_sel:[0,0,1] op_sel_hi:[1,1,0] neg_lo:[0,0,1] neg_hi:[0,0,1]
	v_pk_fma_f32 v[78:79], v[80:81], v[68:69], v[78:79] op_sel:[0,0,1] op_sel_hi:[1,0,0]
	s_delay_alu instid0(VALU_DEP_1)
	v_mov_b32_e32 v83, v79
	ds_load_2addr_b64 v[78:81], v72 offset0:20 offset1:21
	v_pk_add_f32 v[28:29], v[28:29], v[84:85] neg_lo:[0,1] neg_hi:[0,1]
	v_pk_add_f32 v[26:27], v[26:27], v[82:83] neg_lo:[0,1] neg_hi:[0,1]
	s_wait_dscnt 0x0
	v_pk_mul_f32 v[82:83], v[78:79], v[70:71] op_sel:[0,1]
	s_delay_alu instid0(VALU_DEP_1) | instskip(SKIP_1) | instid1(VALU_DEP_1)
	v_pk_fma_f32 v[84:85], v[78:79], v[68:69], v[82:83] op_sel:[0,0,1] op_sel_hi:[1,1,0] neg_lo:[0,0,1] neg_hi:[0,0,1]
	v_pk_fma_f32 v[78:79], v[78:79], v[68:69], v[82:83] op_sel:[0,0,1] op_sel_hi:[1,0,0]
	v_mov_b32_e32 v85, v79
	v_pk_mul_f32 v[78:79], v[80:81], v[70:71] op_sel:[0,1]
	s_delay_alu instid0(VALU_DEP_1) | instskip(SKIP_1) | instid1(VALU_DEP_1)
	v_pk_fma_f32 v[82:83], v[80:81], v[68:69], v[78:79] op_sel:[0,0,1] op_sel_hi:[1,1,0] neg_lo:[0,0,1] neg_hi:[0,0,1]
	v_pk_fma_f32 v[78:79], v[80:81], v[68:69], v[78:79] op_sel:[0,0,1] op_sel_hi:[1,0,0]
	v_mov_b32_e32 v83, v79
	ds_load_2addr_b64 v[78:81], v72 offset0:22 offset1:23
	v_pk_add_f32 v[52:53], v[52:53], v[84:85] neg_lo:[0,1] neg_hi:[0,1]
	v_pk_add_f32 v[50:51], v[50:51], v[82:83] neg_lo:[0,1] neg_hi:[0,1]
	s_wait_dscnt 0x0
	v_dual_mul_f32 v82, v79, v71 :: v_dual_mul_f32 v84, v79, v68
	s_delay_alu instid0(VALU_DEP_1) | instskip(NEXT) | instid1(VALU_DEP_2)
	v_pk_fma_f32 v[82:83], v[78:79], v[58:59], v[82:83] op_sel_hi:[1,1,0] neg_lo:[0,0,1] neg_hi:[0,0,1]
	v_pk_fma_f32 v[78:79], v[78:79], v[58:59], v[84:85] op_sel:[1,0,0] op_sel_hi:[0,1,0]
	s_delay_alu instid0(VALU_DEP_1) | instskip(SKIP_1) | instid1(VALU_DEP_2)
	v_mov_b32_e32 v83, v79
	v_pk_mul_f32 v[78:79], v[80:81], v[70:71] op_sel:[0,1]
	v_pk_add_f32 v[22:23], v[22:23], v[82:83] neg_lo:[0,1] neg_hi:[0,1]
	s_delay_alu instid0(VALU_DEP_2) | instskip(SKIP_1) | instid1(VALU_DEP_1)
	v_pk_fma_f32 v[82:83], v[80:81], v[68:69], v[78:79] op_sel:[0,0,1] op_sel_hi:[1,1,0] neg_lo:[0,0,1] neg_hi:[0,0,1]
	v_pk_fma_f32 v[78:79], v[80:81], v[68:69], v[78:79] op_sel:[0,0,1] op_sel_hi:[1,0,0]
	v_mov_b32_e32 v83, v79
	ds_load_2addr_b64 v[78:81], v72 offset0:24 offset1:25
	v_pk_add_f32 v[18:19], v[18:19], v[82:83] neg_lo:[0,1] neg_hi:[0,1]
	s_wait_dscnt 0x0
	v_pk_mul_f32 v[82:83], v[78:79], v[70:71] op_sel:[0,1]
	s_delay_alu instid0(VALU_DEP_1) | instskip(SKIP_1) | instid1(VALU_DEP_1)
	v_pk_fma_f32 v[84:85], v[78:79], v[68:69], v[82:83] op_sel:[0,0,1] op_sel_hi:[1,1,0] neg_lo:[0,0,1] neg_hi:[0,0,1]
	v_pk_fma_f32 v[78:79], v[78:79], v[68:69], v[82:83] op_sel:[0,0,1] op_sel_hi:[1,0,0]
	v_mov_b32_e32 v85, v79
	v_pk_mul_f32 v[78:79], v[80:81], v[70:71] op_sel:[0,1]
	s_delay_alu instid0(VALU_DEP_2) | instskip(NEXT) | instid1(VALU_DEP_2)
	v_pk_add_f32 v[36:37], v[36:37], v[84:85] neg_lo:[0,1] neg_hi:[0,1]
	v_pk_fma_f32 v[82:83], v[80:81], v[68:69], v[78:79] op_sel:[0,0,1] op_sel_hi:[1,1,0] neg_lo:[0,0,1] neg_hi:[0,0,1]
	v_pk_fma_f32 v[78:79], v[80:81], v[68:69], v[78:79] op_sel:[0,0,1] op_sel_hi:[1,0,0]
	s_delay_alu instid0(VALU_DEP_1) | instskip(SKIP_4) | instid1(VALU_DEP_1)
	v_mov_b32_e32 v83, v79
	ds_load_2addr_b64 v[78:81], v72 offset0:26 offset1:27
	v_pk_add_f32 v[34:35], v[34:35], v[82:83] neg_lo:[0,1] neg_hi:[0,1]
	s_wait_dscnt 0x0
	v_pk_mul_f32 v[82:83], v[78:79], v[70:71] op_sel:[0,1]
	v_pk_fma_f32 v[84:85], v[78:79], v[68:69], v[82:83] op_sel:[0,0,1] op_sel_hi:[1,1,0] neg_lo:[0,0,1] neg_hi:[0,0,1]
	v_pk_fma_f32 v[78:79], v[78:79], v[68:69], v[82:83] op_sel:[0,0,1] op_sel_hi:[1,0,0]
	v_dual_mul_f32 v82, v81, v71 :: v_dual_mov_b32 v78, v81
	s_delay_alu instid0(VALU_DEP_2) | instskip(NEXT) | instid1(VALU_DEP_2)
	v_dual_mov_b32 v85, v79 :: v_dual_mov_b32 v79, v80
	v_pk_fma_f32 v[82:83], v[80:81], v[58:59], v[82:83] op_sel_hi:[1,1,0] neg_lo:[0,0,1] neg_hi:[0,0,1]
	v_mul_f32_e32 v80, v81, v68
	s_delay_alu instid0(VALU_DEP_3) | instskip(NEXT) | instid1(VALU_DEP_2)
	v_pk_add_f32 v[20:21], v[20:21], v[84:85] neg_lo:[0,1] neg_hi:[0,1]
	v_pk_fma_f32 v[78:79], v[78:79], v[58:59], v[80:81] op_sel_hi:[1,1,0]
	s_delay_alu instid0(VALU_DEP_1) | instskip(SKIP_4) | instid1(VALU_DEP_1)
	v_mov_b32_e32 v83, v79
	ds_load_2addr_b64 v[78:81], v72 offset0:28 offset1:29
	v_pk_add_f32 v[32:33], v[32:33], v[82:83] neg_lo:[0,1] neg_hi:[0,1]
	s_wait_dscnt 0x0
	v_pk_mul_f32 v[82:83], v[78:79], v[70:71] op_sel:[0,1]
	v_pk_fma_f32 v[84:85], v[78:79], v[68:69], v[82:83] op_sel:[0,0,1] op_sel_hi:[1,1,0] neg_lo:[0,0,1] neg_hi:[0,0,1]
	v_pk_fma_f32 v[78:79], v[78:79], v[68:69], v[82:83] op_sel:[0,0,1] op_sel_hi:[1,0,0]
	s_delay_alu instid0(VALU_DEP_1) | instskip(SKIP_1) | instid1(VALU_DEP_1)
	v_mov_b32_e32 v85, v79
	v_pk_mul_f32 v[78:79], v[80:81], v[70:71] op_sel:[0,1]
	v_pk_fma_f32 v[82:83], v[80:81], v[68:69], v[78:79] op_sel:[0,0,1] op_sel_hi:[1,1,0] neg_lo:[0,0,1] neg_hi:[0,0,1]
	v_pk_fma_f32 v[78:79], v[80:81], v[68:69], v[78:79] op_sel:[0,0,1] op_sel_hi:[1,0,0]
	s_delay_alu instid0(VALU_DEP_1)
	v_mov_b32_e32 v83, v79
	ds_load_b64 v[78:79], v72 offset:240
	v_pk_add_f32 v[30:31], v[30:31], v[84:85] neg_lo:[0,1] neg_hi:[0,1]
	v_pk_add_f32 v[24:25], v[24:25], v[82:83] neg_lo:[0,1] neg_hi:[0,1]
	s_wait_dscnt 0x0
	v_pk_mul_f32 v[70:71], v[78:79], v[70:71] op_sel:[0,1]
	s_delay_alu instid0(VALU_DEP_1) | instskip(SKIP_1) | instid1(VALU_DEP_1)
	v_pk_fma_f32 v[80:81], v[78:79], v[68:69], v[70:71] op_sel:[0,0,1] op_sel_hi:[1,1,0] neg_lo:[0,0,1] neg_hi:[0,0,1]
	v_pk_fma_f32 v[68:69], v[78:79], v[68:69], v[70:71] op_sel:[0,0,1] op_sel_hi:[1,0,0]
	v_mov_b32_e32 v81, v69
	s_delay_alu instid0(VALU_DEP_1)
	v_pk_add_f32 v[66:67], v[66:67], v[80:81] neg_lo:[0,1] neg_hi:[0,1]
.LBB60_83:
	s_or_b32 exec_lo, exec_lo, s0
	v_lshl_add_u32 v68, v76, 3, v72
	s_barrier_signal -1
	s_barrier_wait -1
	ds_store_b64 v68, v[40:41]
	s_wait_dscnt 0x0
	s_barrier_signal -1
	s_barrier_wait -1
	ds_load_b64 v[70:71], v72 offset:32
	v_mov_b32_e32 v68, 4
	s_cmp_lt_i32 s18, 6
	s_cbranch_scc1 .LBB60_86
; %bb.84:
	v_add3_u32 v69, v73, 0, 40
	v_mov_b32_e32 v68, 4
	s_mov_b32 s0, 5
.LBB60_85:                              ; =>This Inner Loop Header: Depth=1
	ds_load_b64 v[78:79], v69
	s_wait_dscnt 0x1
	v_cmp_gt_f32_e32 vcc_lo, 0, v70
	v_cndmask_b32_e64 v80, v70, -v70, vcc_lo
	v_cmp_gt_f32_e32 vcc_lo, 0, v71
	v_cndmask_b32_e64 v82, v71, -v71, vcc_lo
	s_wait_dscnt 0x0
	v_cmp_gt_f32_e32 vcc_lo, 0, v78
	v_cndmask_b32_e64 v81, v78, -v78, vcc_lo
	v_cmp_gt_f32_e32 vcc_lo, 0, v79
	v_cndmask_b32_e64 v83, v79, -v79, vcc_lo
	s_delay_alu instid0(VALU_DEP_1) | instskip(NEXT) | instid1(VALU_DEP_1)
	v_pk_add_f32 v[80:81], v[80:81], v[82:83]
	v_cmp_lt_f32_e32 vcc_lo, v80, v81
	v_dual_add_nc_u32 v69, 8, v69 :: v_dual_cndmask_b32 v71, v71, v79, vcc_lo
	v_cndmask_b32_e32 v70, v70, v78, vcc_lo
	v_cndmask_b32_e64 v68, v68, s0, vcc_lo
	s_add_co_i32 s0, s0, 1
	s_delay_alu instid0(SALU_CYCLE_1)
	s_cmp_lg_u32 s18, s0
	s_cbranch_scc1 .LBB60_85
.LBB60_86:
	s_wait_dscnt 0x0
	v_cmp_eq_f32_e32 vcc_lo, 0, v70
	v_cmp_eq_f32_e64 s0, 0, v71
	s_and_b32 s0, vcc_lo, s0
	s_delay_alu instid0(SALU_CYCLE_1) | instskip(NEXT) | instid1(SALU_CYCLE_1)
	s_and_saveexec_b32 s1, s0
	s_xor_b32 s0, exec_lo, s1
; %bb.87:
	v_cmp_ne_u32_e32 vcc_lo, 0, v74
	v_cndmask_b32_e32 v74, 5, v74, vcc_lo
; %bb.88:
	s_and_not1_saveexec_b32 s0, s0
	s_cbranch_execz .LBB60_94
; %bb.89:
	v_cmp_ngt_f32_e64 s1, |v70|, |v71|
	s_and_saveexec_b32 s12, s1
	s_delay_alu instid0(SALU_CYCLE_1)
	s_xor_b32 s1, exec_lo, s12
	s_cbranch_execz .LBB60_91
; %bb.90:
	v_div_scale_f32 v69, null, v71, v71, v70
	v_div_scale_f32 v79, vcc_lo, v70, v71, v70
	s_delay_alu instid0(VALU_DEP_2) | instskip(SKIP_1) | instid1(TRANS32_DEP_1)
	v_rcp_f32_e32 v77, v69
	v_nop
	v_fma_f32 v78, -v69, v77, 1.0
	s_delay_alu instid0(VALU_DEP_1) | instskip(NEXT) | instid1(VALU_DEP_1)
	v_fmac_f32_e32 v77, v78, v77
	v_mul_f32_e32 v78, v79, v77
	s_delay_alu instid0(VALU_DEP_1) | instskip(NEXT) | instid1(VALU_DEP_1)
	v_fma_f32 v80, -v69, v78, v79
	v_fmac_f32_e32 v78, v80, v77
	s_delay_alu instid0(VALU_DEP_1) | instskip(NEXT) | instid1(VALU_DEP_1)
	v_fma_f32 v69, -v69, v78, v79
	v_div_fmas_f32 v69, v69, v77, v78
	s_delay_alu instid0(VALU_DEP_1) | instskip(NEXT) | instid1(VALU_DEP_1)
	v_div_fixup_f32 v69, v69, v71, v70
	v_fmac_f32_e32 v71, v70, v69
	s_delay_alu instid0(VALU_DEP_1) | instskip(SKIP_1) | instid1(VALU_DEP_2)
	v_div_scale_f32 v70, null, v71, v71, 1.0
	v_div_scale_f32 v79, vcc_lo, 1.0, v71, 1.0
	v_rcp_f32_e32 v77, v70
	v_nop
	s_delay_alu instid0(TRANS32_DEP_1) | instskip(NEXT) | instid1(VALU_DEP_1)
	v_fma_f32 v78, -v70, v77, 1.0
	v_fmac_f32_e32 v77, v78, v77
	s_delay_alu instid0(VALU_DEP_1) | instskip(NEXT) | instid1(VALU_DEP_1)
	v_mul_f32_e32 v78, v79, v77
	v_fma_f32 v80, -v70, v78, v79
	s_delay_alu instid0(VALU_DEP_1) | instskip(NEXT) | instid1(VALU_DEP_1)
	v_fmac_f32_e32 v78, v80, v77
	v_fma_f32 v70, -v70, v78, v79
	s_delay_alu instid0(VALU_DEP_1) | instskip(NEXT) | instid1(VALU_DEP_1)
	v_div_fmas_f32 v70, v70, v77, v78
	v_div_fixup_f32 v71, v70, v71, 1.0
	s_delay_alu instid0(VALU_DEP_1)
	v_mul_f32_e32 v70, v69, v71
	v_xor_b32_e32 v71, 0x80000000, v71
.LBB60_91:
	s_and_not1_saveexec_b32 s1, s1
	s_cbranch_execz .LBB60_93
; %bb.92:
	s_delay_alu instid0(VALU_DEP_1) | instskip(SKIP_1) | instid1(VALU_DEP_2)
	v_div_scale_f32 v69, null, v70, v70, v71
	v_div_scale_f32 v79, vcc_lo, v71, v70, v71
	v_rcp_f32_e32 v77, v69
	v_nop
	s_delay_alu instid0(TRANS32_DEP_1) | instskip(NEXT) | instid1(VALU_DEP_1)
	v_fma_f32 v78, -v69, v77, 1.0
	v_fmac_f32_e32 v77, v78, v77
	s_delay_alu instid0(VALU_DEP_1) | instskip(NEXT) | instid1(VALU_DEP_1)
	v_mul_f32_e32 v78, v79, v77
	v_fma_f32 v80, -v69, v78, v79
	s_delay_alu instid0(VALU_DEP_1) | instskip(NEXT) | instid1(VALU_DEP_1)
	v_fmac_f32_e32 v78, v80, v77
	v_fma_f32 v69, -v69, v78, v79
	s_delay_alu instid0(VALU_DEP_1) | instskip(NEXT) | instid1(VALU_DEP_1)
	v_div_fmas_f32 v69, v69, v77, v78
	v_div_fixup_f32 v69, v69, v70, v71
	s_delay_alu instid0(VALU_DEP_1) | instskip(NEXT) | instid1(VALU_DEP_1)
	v_fmac_f32_e32 v70, v71, v69
	v_div_scale_f32 v71, null, v70, v70, 1.0
	s_delay_alu instid0(VALU_DEP_1) | instskip(SKIP_1) | instid1(TRANS32_DEP_1)
	v_rcp_f32_e32 v77, v71
	v_nop
	v_fma_f32 v78, -v71, v77, 1.0
	s_delay_alu instid0(VALU_DEP_1) | instskip(SKIP_1) | instid1(VALU_DEP_1)
	v_fmac_f32_e32 v77, v78, v77
	v_div_scale_f32 v78, vcc_lo, 1.0, v70, 1.0
	v_mul_f32_e32 v79, v78, v77
	s_delay_alu instid0(VALU_DEP_1) | instskip(NEXT) | instid1(VALU_DEP_1)
	v_fma_f32 v80, -v71, v79, v78
	v_fmac_f32_e32 v79, v80, v77
	s_delay_alu instid0(VALU_DEP_1) | instskip(NEXT) | instid1(VALU_DEP_1)
	v_fma_f32 v71, -v71, v79, v78
	v_div_fmas_f32 v71, v71, v77, v79
	s_delay_alu instid0(VALU_DEP_1) | instskip(NEXT) | instid1(VALU_DEP_1)
	v_div_fixup_f32 v70, v71, v70, 1.0
	v_mul_f32_e64 v71, v69, -v70
.LBB60_93:
	s_or_b32 exec_lo, exec_lo, s1
.LBB60_94:
	s_delay_alu instid0(SALU_CYCLE_1) | instskip(NEXT) | instid1(SALU_CYCLE_1)
	s_or_b32 exec_lo, exec_lo, s0
	s_mov_b32 s0, exec_lo
	v_cmpx_ne_u32_e64 v76, v68
	s_xor_b32 s0, exec_lo, s0
	s_cbranch_execz .LBB60_100
; %bb.95:
	s_mov_b32 s1, exec_lo
	v_cmpx_eq_u32_e32 4, v76
	s_cbranch_execz .LBB60_99
; %bb.96:
	v_cmp_ne_u32_e32 vcc_lo, 4, v68
	s_xor_b32 s12, s16, -1
	s_delay_alu instid0(SALU_CYCLE_1) | instskip(NEXT) | instid1(SALU_CYCLE_1)
	s_and_b32 s13, s12, vcc_lo
	s_and_saveexec_b32 s12, s13
	s_cbranch_execz .LBB60_98
; %bb.97:
	v_ashrrev_i32_e32 v69, 31, v68
	s_delay_alu instid0(VALU_DEP_1)
	v_lshl_add_u64 v[76:77], v[68:69], 2, v[4:5]
	s_clause 0x1
	global_load_b32 v69, v[76:77], off
	global_load_b32 v75, v[4:5], off offset:16
	s_wait_loadcnt 0x1
	global_store_b32 v[4:5], v69, off offset:16
	s_wait_loadcnt 0x0
	global_store_b32 v[76:77], v75, off
.LBB60_98:
	s_wait_xcnt 0x0
	s_or_b32 exec_lo, exec_lo, s12
	v_dual_mov_b32 v76, v68 :: v_dual_mov_b32 v75, v68
.LBB60_99:
	s_or_b32 exec_lo, exec_lo, s1
.LBB60_100:
	s_and_not1_saveexec_b32 s0, s0
	s_cbranch_execz .LBB60_102
; %bb.101:
	v_mov_b32_e32 v76, 4
	ds_store_2addr_b64 v72, v[38:39], v[8:9] offset0:5 offset1:6
	ds_store_2addr_b64 v72, v[6:7], v[44:45] offset0:7 offset1:8
	;; [unrolled: 1-line block ×13, first 2 shown]
.LBB60_102:
	s_or_b32 exec_lo, exec_lo, s0
	s_delay_alu instid0(SALU_CYCLE_1)
	s_mov_b32 s0, exec_lo
	s_wait_storecnt_dscnt 0x0
	s_barrier_signal -1
	s_barrier_wait -1
	v_cmpx_lt_i32_e32 4, v76
	s_cbranch_execz .LBB60_104
; %bb.103:
	v_pk_mul_f32 v[78:79], v[70:71], v[40:41] op_sel:[1,1] op_sel_hi:[0,1]
	s_delay_alu instid0(VALU_DEP_1)
	v_pk_fma_f32 v[68:69], v[70:71], v[40:41], v[78:79] op_sel_hi:[1,0,1] neg_lo:[0,0,1] neg_hi:[0,0,1]
	v_pk_fma_f32 v[70:71], v[70:71], v[40:41], v[78:79] op_sel_hi:[1,0,1]
	ds_load_2addr_b64 v[78:81], v72 offset0:5 offset1:6
	v_dual_mov_b32 v40, v68 :: v_dual_mov_b32 v41, v71
	s_wait_dscnt 0x0
	v_pk_mul_f32 v[82:83], v[78:79], v[70:71] op_sel:[0,1]
	s_delay_alu instid0(VALU_DEP_1) | instskip(SKIP_1) | instid1(VALU_DEP_1)
	v_pk_fma_f32 v[84:85], v[78:79], v[68:69], v[82:83] op_sel:[0,0,1] op_sel_hi:[1,1,0] neg_lo:[0,0,1] neg_hi:[0,0,1]
	v_pk_fma_f32 v[78:79], v[78:79], v[68:69], v[82:83] op_sel:[0,0,1] op_sel_hi:[1,0,0]
	v_mov_b32_e32 v85, v79
	v_pk_mul_f32 v[78:79], v[80:81], v[70:71] op_sel:[0,1]
	s_delay_alu instid0(VALU_DEP_1) | instskip(SKIP_1) | instid1(VALU_DEP_1)
	v_pk_fma_f32 v[82:83], v[80:81], v[68:69], v[78:79] op_sel:[0,0,1] op_sel_hi:[1,1,0] neg_lo:[0,0,1] neg_hi:[0,0,1]
	v_pk_fma_f32 v[78:79], v[80:81], v[68:69], v[78:79] op_sel:[0,0,1] op_sel_hi:[1,0,0]
	v_mov_b32_e32 v83, v79
	ds_load_2addr_b64 v[78:81], v72 offset0:7 offset1:8
	v_pk_add_f32 v[38:39], v[38:39], v[84:85] neg_lo:[0,1] neg_hi:[0,1]
	v_pk_add_f32 v[8:9], v[8:9], v[82:83] neg_lo:[0,1] neg_hi:[0,1]
	s_wait_dscnt 0x0
	v_pk_mul_f32 v[82:83], v[78:79], v[70:71] op_sel:[0,1]
	s_delay_alu instid0(VALU_DEP_1) | instskip(SKIP_2) | instid1(VALU_DEP_2)
	v_pk_fma_f32 v[84:85], v[78:79], v[68:69], v[82:83] op_sel:[0,0,1] op_sel_hi:[1,1,0] neg_lo:[0,0,1] neg_hi:[0,0,1]
	v_pk_fma_f32 v[78:79], v[78:79], v[68:69], v[82:83] op_sel:[0,0,1] op_sel_hi:[1,0,0]
	v_dual_mul_f32 v82, v81, v71 :: v_dual_mov_b32 v78, v81
	v_dual_mov_b32 v85, v79 :: v_dual_mov_b32 v79, v80
	s_delay_alu instid0(VALU_DEP_2) | instskip(SKIP_1) | instid1(VALU_DEP_3)
	v_pk_fma_f32 v[82:83], v[80:81], v[40:41], v[82:83] op_sel_hi:[1,1,0] neg_lo:[0,0,1] neg_hi:[0,0,1]
	v_mul_f32_e32 v80, v81, v68
	v_pk_add_f32 v[6:7], v[6:7], v[84:85] neg_lo:[0,1] neg_hi:[0,1]
	s_delay_alu instid0(VALU_DEP_2) | instskip(NEXT) | instid1(VALU_DEP_1)
	v_pk_fma_f32 v[78:79], v[78:79], v[40:41], v[80:81] op_sel_hi:[1,1,0]
	v_mov_b32_e32 v83, v79
	ds_load_2addr_b64 v[78:81], v72 offset0:9 offset1:10
	v_pk_add_f32 v[44:45], v[44:45], v[82:83] neg_lo:[0,1] neg_hi:[0,1]
	s_wait_dscnt 0x0
	v_pk_mul_f32 v[82:83], v[78:79], v[70:71] op_sel:[0,1]
	s_delay_alu instid0(VALU_DEP_1) | instskip(SKIP_1) | instid1(VALU_DEP_1)
	v_pk_fma_f32 v[84:85], v[78:79], v[68:69], v[82:83] op_sel:[0,0,1] op_sel_hi:[1,1,0] neg_lo:[0,0,1] neg_hi:[0,0,1]
	v_pk_fma_f32 v[78:79], v[78:79], v[68:69], v[82:83] op_sel:[0,0,1] op_sel_hi:[1,0,0]
	v_mov_b32_e32 v85, v79
	v_pk_mul_f32 v[78:79], v[80:81], v[70:71] op_sel:[0,1]
	s_delay_alu instid0(VALU_DEP_1) | instskip(SKIP_1) | instid1(VALU_DEP_1)
	v_pk_fma_f32 v[82:83], v[80:81], v[68:69], v[78:79] op_sel:[0,0,1] op_sel_hi:[1,1,0] neg_lo:[0,0,1] neg_hi:[0,0,1]
	v_pk_fma_f32 v[78:79], v[80:81], v[68:69], v[78:79] op_sel:[0,0,1] op_sel_hi:[1,0,0]
	v_mov_b32_e32 v83, v79
	ds_load_2addr_b64 v[78:81], v72 offset0:11 offset1:12
	v_pk_add_f32 v[42:43], v[42:43], v[84:85] neg_lo:[0,1] neg_hi:[0,1]
	v_pk_add_f32 v[12:13], v[12:13], v[82:83] neg_lo:[0,1] neg_hi:[0,1]
	s_wait_dscnt 0x0
	v_pk_mul_f32 v[82:83], v[78:79], v[70:71] op_sel:[0,1]
	s_delay_alu instid0(VALU_DEP_1) | instskip(SKIP_1) | instid1(VALU_DEP_1)
	v_pk_fma_f32 v[84:85], v[78:79], v[68:69], v[82:83] op_sel:[0,0,1] op_sel_hi:[1,1,0] neg_lo:[0,0,1] neg_hi:[0,0,1]
	v_pk_fma_f32 v[78:79], v[78:79], v[68:69], v[82:83] op_sel:[0,0,1] op_sel_hi:[1,0,0]
	v_mov_b32_e32 v85, v79
	v_pk_mul_f32 v[78:79], v[80:81], v[70:71] op_sel:[0,1]
	s_delay_alu instid0(VALU_DEP_1) | instskip(SKIP_1) | instid1(VALU_DEP_1)
	v_pk_fma_f32 v[82:83], v[80:81], v[68:69], v[78:79] op_sel:[0,0,1] op_sel_hi:[1,1,0] neg_lo:[0,0,1] neg_hi:[0,0,1]
	v_pk_fma_f32 v[78:79], v[80:81], v[68:69], v[78:79] op_sel:[0,0,1] op_sel_hi:[1,0,0]
	v_mov_b32_e32 v83, v79
	ds_load_2addr_b64 v[78:81], v72 offset0:13 offset1:14
	v_pk_add_f32 v[10:11], v[10:11], v[84:85] neg_lo:[0,1] neg_hi:[0,1]
	v_pk_add_f32 v[48:49], v[48:49], v[82:83] neg_lo:[0,1] neg_hi:[0,1]
	s_wait_dscnt 0x0
	v_dual_mul_f32 v82, v79, v71 :: v_dual_mul_f32 v84, v79, v68
	s_delay_alu instid0(VALU_DEP_1) | instskip(NEXT) | instid1(VALU_DEP_2)
	v_pk_fma_f32 v[82:83], v[78:79], v[40:41], v[82:83] op_sel_hi:[1,1,0] neg_lo:[0,0,1] neg_hi:[0,0,1]
	v_pk_fma_f32 v[78:79], v[78:79], v[40:41], v[84:85] op_sel:[1,0,0] op_sel_hi:[0,1,0]
	s_delay_alu instid0(VALU_DEP_1) | instskip(SKIP_1) | instid1(VALU_DEP_2)
	v_mov_b32_e32 v83, v79
	v_pk_mul_f32 v[78:79], v[80:81], v[70:71] op_sel:[0,1]
	v_pk_add_f32 v[46:47], v[46:47], v[82:83] neg_lo:[0,1] neg_hi:[0,1]
	s_delay_alu instid0(VALU_DEP_2) | instskip(SKIP_1) | instid1(VALU_DEP_1)
	v_pk_fma_f32 v[82:83], v[80:81], v[68:69], v[78:79] op_sel:[0,0,1] op_sel_hi:[1,1,0] neg_lo:[0,0,1] neg_hi:[0,0,1]
	v_pk_fma_f32 v[78:79], v[80:81], v[68:69], v[78:79] op_sel:[0,0,1] op_sel_hi:[1,0,0]
	v_mov_b32_e32 v83, v79
	ds_load_2addr_b64 v[78:81], v72 offset0:15 offset1:16
	v_pk_add_f32 v[16:17], v[16:17], v[82:83] neg_lo:[0,1] neg_hi:[0,1]
	s_wait_dscnt 0x0
	v_pk_mul_f32 v[82:83], v[78:79], v[70:71] op_sel:[0,1]
	s_delay_alu instid0(VALU_DEP_1) | instskip(SKIP_1) | instid1(VALU_DEP_1)
	v_pk_fma_f32 v[84:85], v[78:79], v[68:69], v[82:83] op_sel:[0,0,1] op_sel_hi:[1,1,0] neg_lo:[0,0,1] neg_hi:[0,0,1]
	v_pk_fma_f32 v[78:79], v[78:79], v[68:69], v[82:83] op_sel:[0,0,1] op_sel_hi:[1,0,0]
	v_mov_b32_e32 v85, v79
	v_pk_mul_f32 v[78:79], v[80:81], v[70:71] op_sel:[0,1]
	s_delay_alu instid0(VALU_DEP_2) | instskip(NEXT) | instid1(VALU_DEP_2)
	v_pk_add_f32 v[14:15], v[14:15], v[84:85] neg_lo:[0,1] neg_hi:[0,1]
	v_pk_fma_f32 v[82:83], v[80:81], v[68:69], v[78:79] op_sel:[0,0,1] op_sel_hi:[1,1,0] neg_lo:[0,0,1] neg_hi:[0,0,1]
	v_pk_fma_f32 v[78:79], v[80:81], v[68:69], v[78:79] op_sel:[0,0,1] op_sel_hi:[1,0,0]
	s_delay_alu instid0(VALU_DEP_1) | instskip(SKIP_4) | instid1(VALU_DEP_1)
	v_mov_b32_e32 v83, v79
	ds_load_2addr_b64 v[78:81], v72 offset0:17 offset1:18
	v_pk_add_f32 v[56:57], v[56:57], v[82:83] neg_lo:[0,1] neg_hi:[0,1]
	s_wait_dscnt 0x0
	v_pk_mul_f32 v[82:83], v[78:79], v[70:71] op_sel:[0,1]
	v_pk_fma_f32 v[84:85], v[78:79], v[68:69], v[82:83] op_sel:[0,0,1] op_sel_hi:[1,1,0] neg_lo:[0,0,1] neg_hi:[0,0,1]
	v_pk_fma_f32 v[78:79], v[78:79], v[68:69], v[82:83] op_sel:[0,0,1] op_sel_hi:[1,0,0]
	v_dual_mul_f32 v82, v81, v71 :: v_dual_mov_b32 v78, v81
	s_delay_alu instid0(VALU_DEP_2) | instskip(NEXT) | instid1(VALU_DEP_2)
	v_dual_mov_b32 v85, v79 :: v_dual_mov_b32 v79, v80
	v_pk_fma_f32 v[82:83], v[80:81], v[40:41], v[82:83] op_sel_hi:[1,1,0] neg_lo:[0,0,1] neg_hi:[0,0,1]
	v_mul_f32_e32 v80, v81, v68
	s_delay_alu instid0(VALU_DEP_3) | instskip(NEXT) | instid1(VALU_DEP_2)
	v_pk_add_f32 v[54:55], v[54:55], v[84:85] neg_lo:[0,1] neg_hi:[0,1]
	v_pk_fma_f32 v[78:79], v[78:79], v[40:41], v[80:81] op_sel_hi:[1,1,0]
	s_delay_alu instid0(VALU_DEP_1) | instskip(SKIP_4) | instid1(VALU_DEP_1)
	v_mov_b32_e32 v83, v79
	ds_load_2addr_b64 v[78:81], v72 offset0:19 offset1:20
	v_pk_add_f32 v[28:29], v[28:29], v[82:83] neg_lo:[0,1] neg_hi:[0,1]
	s_wait_dscnt 0x0
	v_pk_mul_f32 v[82:83], v[78:79], v[70:71] op_sel:[0,1]
	v_pk_fma_f32 v[84:85], v[78:79], v[68:69], v[82:83] op_sel:[0,0,1] op_sel_hi:[1,1,0] neg_lo:[0,0,1] neg_hi:[0,0,1]
	v_pk_fma_f32 v[78:79], v[78:79], v[68:69], v[82:83] op_sel:[0,0,1] op_sel_hi:[1,0,0]
	s_delay_alu instid0(VALU_DEP_1) | instskip(SKIP_1) | instid1(VALU_DEP_1)
	v_mov_b32_e32 v85, v79
	v_pk_mul_f32 v[78:79], v[80:81], v[70:71] op_sel:[0,1]
	v_pk_fma_f32 v[82:83], v[80:81], v[68:69], v[78:79] op_sel:[0,0,1] op_sel_hi:[1,1,0] neg_lo:[0,0,1] neg_hi:[0,0,1]
	v_pk_fma_f32 v[78:79], v[80:81], v[68:69], v[78:79] op_sel:[0,0,1] op_sel_hi:[1,0,0]
	s_delay_alu instid0(VALU_DEP_1)
	v_mov_b32_e32 v83, v79
	ds_load_2addr_b64 v[78:81], v72 offset0:21 offset1:22
	v_pk_add_f32 v[26:27], v[26:27], v[84:85] neg_lo:[0,1] neg_hi:[0,1]
	v_pk_add_f32 v[52:53], v[52:53], v[82:83] neg_lo:[0,1] neg_hi:[0,1]
	s_wait_dscnt 0x0
	v_pk_mul_f32 v[82:83], v[78:79], v[70:71] op_sel:[0,1]
	s_delay_alu instid0(VALU_DEP_1) | instskip(SKIP_1) | instid1(VALU_DEP_1)
	v_pk_fma_f32 v[84:85], v[78:79], v[68:69], v[82:83] op_sel:[0,0,1] op_sel_hi:[1,1,0] neg_lo:[0,0,1] neg_hi:[0,0,1]
	v_pk_fma_f32 v[78:79], v[78:79], v[68:69], v[82:83] op_sel:[0,0,1] op_sel_hi:[1,0,0]
	v_mov_b32_e32 v85, v79
	v_pk_mul_f32 v[78:79], v[80:81], v[70:71] op_sel:[0,1]
	s_delay_alu instid0(VALU_DEP_1) | instskip(SKIP_1) | instid1(VALU_DEP_1)
	v_pk_fma_f32 v[82:83], v[80:81], v[68:69], v[78:79] op_sel:[0,0,1] op_sel_hi:[1,1,0] neg_lo:[0,0,1] neg_hi:[0,0,1]
	v_pk_fma_f32 v[78:79], v[80:81], v[68:69], v[78:79] op_sel:[0,0,1] op_sel_hi:[1,0,0]
	v_mov_b32_e32 v83, v79
	ds_load_2addr_b64 v[78:81], v72 offset0:23 offset1:24
	v_pk_add_f32 v[50:51], v[50:51], v[84:85] neg_lo:[0,1] neg_hi:[0,1]
	v_pk_add_f32 v[22:23], v[22:23], v[82:83] neg_lo:[0,1] neg_hi:[0,1]
	s_wait_dscnt 0x0
	v_dual_mul_f32 v82, v79, v71 :: v_dual_mul_f32 v84, v79, v68
	s_delay_alu instid0(VALU_DEP_1) | instskip(NEXT) | instid1(VALU_DEP_2)
	v_pk_fma_f32 v[82:83], v[78:79], v[40:41], v[82:83] op_sel_hi:[1,1,0] neg_lo:[0,0,1] neg_hi:[0,0,1]
	v_pk_fma_f32 v[78:79], v[78:79], v[40:41], v[84:85] op_sel:[1,0,0] op_sel_hi:[0,1,0]
	s_delay_alu instid0(VALU_DEP_1) | instskip(SKIP_1) | instid1(VALU_DEP_2)
	v_mov_b32_e32 v83, v79
	v_pk_mul_f32 v[78:79], v[80:81], v[70:71] op_sel:[0,1]
	v_pk_add_f32 v[18:19], v[18:19], v[82:83] neg_lo:[0,1] neg_hi:[0,1]
	s_delay_alu instid0(VALU_DEP_2) | instskip(SKIP_1) | instid1(VALU_DEP_1)
	v_pk_fma_f32 v[82:83], v[80:81], v[68:69], v[78:79] op_sel:[0,0,1] op_sel_hi:[1,1,0] neg_lo:[0,0,1] neg_hi:[0,0,1]
	v_pk_fma_f32 v[78:79], v[80:81], v[68:69], v[78:79] op_sel:[0,0,1] op_sel_hi:[1,0,0]
	v_mov_b32_e32 v83, v79
	ds_load_2addr_b64 v[78:81], v72 offset0:25 offset1:26
	v_pk_add_f32 v[36:37], v[36:37], v[82:83] neg_lo:[0,1] neg_hi:[0,1]
	s_wait_dscnt 0x0
	v_pk_mul_f32 v[82:83], v[78:79], v[70:71] op_sel:[0,1]
	s_delay_alu instid0(VALU_DEP_1) | instskip(SKIP_1) | instid1(VALU_DEP_1)
	v_pk_fma_f32 v[84:85], v[78:79], v[68:69], v[82:83] op_sel:[0,0,1] op_sel_hi:[1,1,0] neg_lo:[0,0,1] neg_hi:[0,0,1]
	v_pk_fma_f32 v[78:79], v[78:79], v[68:69], v[82:83] op_sel:[0,0,1] op_sel_hi:[1,0,0]
	v_mov_b32_e32 v85, v79
	v_pk_mul_f32 v[78:79], v[80:81], v[70:71] op_sel:[0,1]
	s_delay_alu instid0(VALU_DEP_2) | instskip(NEXT) | instid1(VALU_DEP_2)
	v_pk_add_f32 v[34:35], v[34:35], v[84:85] neg_lo:[0,1] neg_hi:[0,1]
	v_pk_fma_f32 v[82:83], v[80:81], v[68:69], v[78:79] op_sel:[0,0,1] op_sel_hi:[1,1,0] neg_lo:[0,0,1] neg_hi:[0,0,1]
	v_pk_fma_f32 v[78:79], v[80:81], v[68:69], v[78:79] op_sel:[0,0,1] op_sel_hi:[1,0,0]
	s_delay_alu instid0(VALU_DEP_1) | instskip(SKIP_4) | instid1(VALU_DEP_1)
	v_mov_b32_e32 v83, v79
	ds_load_2addr_b64 v[78:81], v72 offset0:27 offset1:28
	v_pk_add_f32 v[20:21], v[20:21], v[82:83] neg_lo:[0,1] neg_hi:[0,1]
	s_wait_dscnt 0x0
	v_pk_mul_f32 v[82:83], v[78:79], v[70:71] op_sel:[0,1]
	v_pk_fma_f32 v[84:85], v[78:79], v[68:69], v[82:83] op_sel:[0,0,1] op_sel_hi:[1,1,0] neg_lo:[0,0,1] neg_hi:[0,0,1]
	v_pk_fma_f32 v[78:79], v[78:79], v[68:69], v[82:83] op_sel:[0,0,1] op_sel_hi:[1,0,0]
	v_dual_mul_f32 v82, v81, v71 :: v_dual_mov_b32 v78, v81
	s_delay_alu instid0(VALU_DEP_2) | instskip(NEXT) | instid1(VALU_DEP_2)
	v_dual_mov_b32 v85, v79 :: v_dual_mov_b32 v79, v80
	v_pk_fma_f32 v[82:83], v[80:81], v[40:41], v[82:83] op_sel_hi:[1,1,0] neg_lo:[0,0,1] neg_hi:[0,0,1]
	v_mul_f32_e32 v80, v81, v68
	s_delay_alu instid0(VALU_DEP_3) | instskip(NEXT) | instid1(VALU_DEP_2)
	v_pk_add_f32 v[32:33], v[32:33], v[84:85] neg_lo:[0,1] neg_hi:[0,1]
	v_pk_fma_f32 v[78:79], v[78:79], v[40:41], v[80:81] op_sel_hi:[1,1,0]
	s_delay_alu instid0(VALU_DEP_1)
	v_mov_b32_e32 v83, v79
	ds_load_2addr_b64 v[78:81], v72 offset0:29 offset1:30
	v_pk_add_f32 v[30:31], v[30:31], v[82:83] neg_lo:[0,1] neg_hi:[0,1]
	s_wait_dscnt 0x0
	v_pk_mul_f32 v[82:83], v[78:79], v[70:71] op_sel:[0,1]
	v_pk_mul_f32 v[70:71], v[80:81], v[70:71] op_sel:[0,1]
	s_delay_alu instid0(VALU_DEP_2) | instskip(SKIP_1) | instid1(VALU_DEP_1)
	v_pk_fma_f32 v[84:85], v[78:79], v[68:69], v[82:83] op_sel:[0,0,1] op_sel_hi:[1,1,0] neg_lo:[0,0,1] neg_hi:[0,0,1]
	v_pk_fma_f32 v[78:79], v[78:79], v[68:69], v[82:83] op_sel:[0,0,1] op_sel_hi:[1,0,0]
	v_mov_b32_e32 v85, v79
	s_delay_alu instid0(VALU_DEP_4) | instskip(SKIP_1) | instid1(VALU_DEP_1)
	v_pk_fma_f32 v[78:79], v[80:81], v[68:69], v[70:71] op_sel:[0,0,1] op_sel_hi:[1,1,0] neg_lo:[0,0,1] neg_hi:[0,0,1]
	v_pk_fma_f32 v[68:69], v[80:81], v[68:69], v[70:71] op_sel:[0,0,1] op_sel_hi:[1,0,0]
	v_mov_b32_e32 v79, v69
	s_delay_alu instid0(VALU_DEP_4) | instskip(NEXT) | instid1(VALU_DEP_2)
	v_pk_add_f32 v[24:25], v[24:25], v[84:85] neg_lo:[0,1] neg_hi:[0,1]
	v_pk_add_f32 v[66:67], v[66:67], v[78:79] neg_lo:[0,1] neg_hi:[0,1]
.LBB60_104:
	s_or_b32 exec_lo, exec_lo, s0
	v_lshl_add_u32 v68, v76, 3, v72
	s_barrier_signal -1
	s_barrier_wait -1
	ds_store_b64 v68, v[38:39]
	s_wait_dscnt 0x0
	s_barrier_signal -1
	s_barrier_wait -1
	ds_load_b64 v[70:71], v72 offset:40
	v_mov_b32_e32 v68, 5
	s_cmp_lt_i32 s18, 7
	s_cbranch_scc1 .LBB60_107
; %bb.105:
	v_add3_u32 v69, v73, 0, 48
	v_mov_b32_e32 v68, 5
	s_mov_b32 s0, 6
.LBB60_106:                             ; =>This Inner Loop Header: Depth=1
	ds_load_b64 v[78:79], v69
	s_wait_dscnt 0x1
	v_cmp_gt_f32_e32 vcc_lo, 0, v70
	v_cndmask_b32_e64 v80, v70, -v70, vcc_lo
	v_cmp_gt_f32_e32 vcc_lo, 0, v71
	v_cndmask_b32_e64 v82, v71, -v71, vcc_lo
	s_wait_dscnt 0x0
	v_cmp_gt_f32_e32 vcc_lo, 0, v78
	v_cndmask_b32_e64 v81, v78, -v78, vcc_lo
	v_cmp_gt_f32_e32 vcc_lo, 0, v79
	v_cndmask_b32_e64 v83, v79, -v79, vcc_lo
	s_delay_alu instid0(VALU_DEP_1) | instskip(NEXT) | instid1(VALU_DEP_1)
	v_pk_add_f32 v[80:81], v[80:81], v[82:83]
	v_cmp_lt_f32_e32 vcc_lo, v80, v81
	v_dual_add_nc_u32 v69, 8, v69 :: v_dual_cndmask_b32 v71, v71, v79, vcc_lo
	v_cndmask_b32_e32 v70, v70, v78, vcc_lo
	v_cndmask_b32_e64 v68, v68, s0, vcc_lo
	s_add_co_i32 s0, s0, 1
	s_delay_alu instid0(SALU_CYCLE_1)
	s_cmp_lg_u32 s18, s0
	s_cbranch_scc1 .LBB60_106
.LBB60_107:
	s_wait_dscnt 0x0
	v_cmp_eq_f32_e32 vcc_lo, 0, v70
	v_cmp_eq_f32_e64 s0, 0, v71
	s_and_b32 s0, vcc_lo, s0
	s_delay_alu instid0(SALU_CYCLE_1) | instskip(NEXT) | instid1(SALU_CYCLE_1)
	s_and_saveexec_b32 s1, s0
	s_xor_b32 s0, exec_lo, s1
; %bb.108:
	v_cmp_ne_u32_e32 vcc_lo, 0, v74
	v_cndmask_b32_e32 v74, 6, v74, vcc_lo
; %bb.109:
	s_and_not1_saveexec_b32 s0, s0
	s_cbranch_execz .LBB60_115
; %bb.110:
	v_cmp_ngt_f32_e64 s1, |v70|, |v71|
	s_and_saveexec_b32 s12, s1
	s_delay_alu instid0(SALU_CYCLE_1)
	s_xor_b32 s1, exec_lo, s12
	s_cbranch_execz .LBB60_112
; %bb.111:
	v_div_scale_f32 v69, null, v71, v71, v70
	v_div_scale_f32 v79, vcc_lo, v70, v71, v70
	s_delay_alu instid0(VALU_DEP_2) | instskip(SKIP_1) | instid1(TRANS32_DEP_1)
	v_rcp_f32_e32 v77, v69
	v_nop
	v_fma_f32 v78, -v69, v77, 1.0
	s_delay_alu instid0(VALU_DEP_1) | instskip(NEXT) | instid1(VALU_DEP_1)
	v_fmac_f32_e32 v77, v78, v77
	v_mul_f32_e32 v78, v79, v77
	s_delay_alu instid0(VALU_DEP_1) | instskip(NEXT) | instid1(VALU_DEP_1)
	v_fma_f32 v80, -v69, v78, v79
	v_fmac_f32_e32 v78, v80, v77
	s_delay_alu instid0(VALU_DEP_1) | instskip(NEXT) | instid1(VALU_DEP_1)
	v_fma_f32 v69, -v69, v78, v79
	v_div_fmas_f32 v69, v69, v77, v78
	s_delay_alu instid0(VALU_DEP_1) | instskip(NEXT) | instid1(VALU_DEP_1)
	v_div_fixup_f32 v69, v69, v71, v70
	v_fmac_f32_e32 v71, v70, v69
	s_delay_alu instid0(VALU_DEP_1) | instskip(SKIP_1) | instid1(VALU_DEP_2)
	v_div_scale_f32 v70, null, v71, v71, 1.0
	v_div_scale_f32 v79, vcc_lo, 1.0, v71, 1.0
	v_rcp_f32_e32 v77, v70
	v_nop
	s_delay_alu instid0(TRANS32_DEP_1) | instskip(NEXT) | instid1(VALU_DEP_1)
	v_fma_f32 v78, -v70, v77, 1.0
	v_fmac_f32_e32 v77, v78, v77
	s_delay_alu instid0(VALU_DEP_1) | instskip(NEXT) | instid1(VALU_DEP_1)
	v_mul_f32_e32 v78, v79, v77
	v_fma_f32 v80, -v70, v78, v79
	s_delay_alu instid0(VALU_DEP_1) | instskip(NEXT) | instid1(VALU_DEP_1)
	v_fmac_f32_e32 v78, v80, v77
	v_fma_f32 v70, -v70, v78, v79
	s_delay_alu instid0(VALU_DEP_1) | instskip(NEXT) | instid1(VALU_DEP_1)
	v_div_fmas_f32 v70, v70, v77, v78
	v_div_fixup_f32 v71, v70, v71, 1.0
	s_delay_alu instid0(VALU_DEP_1)
	v_mul_f32_e32 v70, v69, v71
	v_xor_b32_e32 v71, 0x80000000, v71
.LBB60_112:
	s_and_not1_saveexec_b32 s1, s1
	s_cbranch_execz .LBB60_114
; %bb.113:
	s_delay_alu instid0(VALU_DEP_1) | instskip(SKIP_1) | instid1(VALU_DEP_2)
	v_div_scale_f32 v69, null, v70, v70, v71
	v_div_scale_f32 v79, vcc_lo, v71, v70, v71
	v_rcp_f32_e32 v77, v69
	v_nop
	s_delay_alu instid0(TRANS32_DEP_1) | instskip(NEXT) | instid1(VALU_DEP_1)
	v_fma_f32 v78, -v69, v77, 1.0
	v_fmac_f32_e32 v77, v78, v77
	s_delay_alu instid0(VALU_DEP_1) | instskip(NEXT) | instid1(VALU_DEP_1)
	v_mul_f32_e32 v78, v79, v77
	v_fma_f32 v80, -v69, v78, v79
	s_delay_alu instid0(VALU_DEP_1) | instskip(NEXT) | instid1(VALU_DEP_1)
	v_fmac_f32_e32 v78, v80, v77
	v_fma_f32 v69, -v69, v78, v79
	s_delay_alu instid0(VALU_DEP_1) | instskip(NEXT) | instid1(VALU_DEP_1)
	v_div_fmas_f32 v69, v69, v77, v78
	v_div_fixup_f32 v69, v69, v70, v71
	s_delay_alu instid0(VALU_DEP_1) | instskip(NEXT) | instid1(VALU_DEP_1)
	v_fmac_f32_e32 v70, v71, v69
	v_div_scale_f32 v71, null, v70, v70, 1.0
	s_delay_alu instid0(VALU_DEP_1) | instskip(SKIP_1) | instid1(TRANS32_DEP_1)
	v_rcp_f32_e32 v77, v71
	v_nop
	v_fma_f32 v78, -v71, v77, 1.0
	s_delay_alu instid0(VALU_DEP_1) | instskip(SKIP_1) | instid1(VALU_DEP_1)
	v_fmac_f32_e32 v77, v78, v77
	v_div_scale_f32 v78, vcc_lo, 1.0, v70, 1.0
	v_mul_f32_e32 v79, v78, v77
	s_delay_alu instid0(VALU_DEP_1) | instskip(NEXT) | instid1(VALU_DEP_1)
	v_fma_f32 v80, -v71, v79, v78
	v_fmac_f32_e32 v79, v80, v77
	s_delay_alu instid0(VALU_DEP_1) | instskip(NEXT) | instid1(VALU_DEP_1)
	v_fma_f32 v71, -v71, v79, v78
	v_div_fmas_f32 v71, v71, v77, v79
	s_delay_alu instid0(VALU_DEP_1) | instskip(NEXT) | instid1(VALU_DEP_1)
	v_div_fixup_f32 v70, v71, v70, 1.0
	v_mul_f32_e64 v71, v69, -v70
.LBB60_114:
	s_or_b32 exec_lo, exec_lo, s1
.LBB60_115:
	s_delay_alu instid0(SALU_CYCLE_1) | instskip(NEXT) | instid1(SALU_CYCLE_1)
	s_or_b32 exec_lo, exec_lo, s0
	s_mov_b32 s0, exec_lo
	v_cmpx_ne_u32_e64 v76, v68
	s_xor_b32 s0, exec_lo, s0
	s_cbranch_execz .LBB60_121
; %bb.116:
	s_mov_b32 s1, exec_lo
	v_cmpx_eq_u32_e32 5, v76
	s_cbranch_execz .LBB60_120
; %bb.117:
	v_cmp_ne_u32_e32 vcc_lo, 5, v68
	s_xor_b32 s12, s16, -1
	s_delay_alu instid0(SALU_CYCLE_1) | instskip(NEXT) | instid1(SALU_CYCLE_1)
	s_and_b32 s13, s12, vcc_lo
	s_and_saveexec_b32 s12, s13
	s_cbranch_execz .LBB60_119
; %bb.118:
	v_ashrrev_i32_e32 v69, 31, v68
	s_delay_alu instid0(VALU_DEP_1)
	v_lshl_add_u64 v[76:77], v[68:69], 2, v[4:5]
	s_clause 0x1
	global_load_b32 v69, v[76:77], off
	global_load_b32 v75, v[4:5], off offset:20
	s_wait_loadcnt 0x1
	global_store_b32 v[4:5], v69, off offset:20
	s_wait_loadcnt 0x0
	global_store_b32 v[76:77], v75, off
.LBB60_119:
	s_wait_xcnt 0x0
	s_or_b32 exec_lo, exec_lo, s12
	v_dual_mov_b32 v76, v68 :: v_dual_mov_b32 v75, v68
.LBB60_120:
	s_or_b32 exec_lo, exec_lo, s1
.LBB60_121:
	s_and_not1_saveexec_b32 s0, s0
	s_cbranch_execz .LBB60_123
; %bb.122:
	v_dual_mov_b32 v68, v8 :: v_dual_mov_b32 v69, v9
	v_dual_mov_b32 v76, v6 :: v_dual_mov_b32 v77, v7
	ds_store_2addr_b64 v72, v[68:69], v[76:77] offset0:6 offset1:7
	v_dual_mov_b32 v68, v44 :: v_dual_mov_b32 v69, v45
	v_dual_mov_b32 v76, v42 :: v_dual_mov_b32 v77, v43
	ds_store_2addr_b64 v72, v[68:69], v[76:77] offset0:8 offset1:9
	;; [unrolled: 3-line block ×12, first 2 shown]
	ds_store_b64 v72, v[66:67] offset:240
	v_mov_b32_e32 v76, 5
.LBB60_123:
	s_or_b32 exec_lo, exec_lo, s0
	s_delay_alu instid0(SALU_CYCLE_1)
	s_mov_b32 s0, exec_lo
	s_wait_storecnt_dscnt 0x0
	s_barrier_signal -1
	s_barrier_wait -1
	v_cmpx_lt_i32_e32 5, v76
	s_cbranch_execz .LBB60_125
; %bb.124:
	v_pk_mul_f32 v[78:79], v[70:71], v[38:39] op_sel:[1,1] op_sel_hi:[0,1]
	s_delay_alu instid0(VALU_DEP_1)
	v_pk_fma_f32 v[68:69], v[70:71], v[38:39], v[78:79] op_sel_hi:[1,0,1] neg_lo:[0,0,1] neg_hi:[0,0,1]
	v_pk_fma_f32 v[70:71], v[70:71], v[38:39], v[78:79] op_sel_hi:[1,0,1]
	ds_load_2addr_b64 v[78:81], v72 offset0:6 offset1:7
	v_dual_mov_b32 v38, v68 :: v_dual_mov_b32 v39, v71
	s_wait_dscnt 0x0
	v_pk_mul_f32 v[82:83], v[78:79], v[70:71] op_sel:[0,1]
	s_delay_alu instid0(VALU_DEP_1) | instskip(SKIP_1) | instid1(VALU_DEP_1)
	v_pk_fma_f32 v[84:85], v[78:79], v[68:69], v[82:83] op_sel:[0,0,1] op_sel_hi:[1,1,0] neg_lo:[0,0,1] neg_hi:[0,0,1]
	v_pk_fma_f32 v[78:79], v[78:79], v[68:69], v[82:83] op_sel:[0,0,1] op_sel_hi:[1,0,0]
	v_mov_b32_e32 v85, v79
	v_pk_mul_f32 v[78:79], v[80:81], v[70:71] op_sel:[0,1]
	s_delay_alu instid0(VALU_DEP_1) | instskip(SKIP_1) | instid1(VALU_DEP_1)
	v_pk_fma_f32 v[82:83], v[80:81], v[68:69], v[78:79] op_sel:[0,0,1] op_sel_hi:[1,1,0] neg_lo:[0,0,1] neg_hi:[0,0,1]
	v_pk_fma_f32 v[78:79], v[80:81], v[68:69], v[78:79] op_sel:[0,0,1] op_sel_hi:[1,0,0]
	v_mov_b32_e32 v83, v79
	ds_load_2addr_b64 v[78:81], v72 offset0:8 offset1:9
	v_pk_add_f32 v[8:9], v[8:9], v[84:85] neg_lo:[0,1] neg_hi:[0,1]
	v_pk_add_f32 v[6:7], v[6:7], v[82:83] neg_lo:[0,1] neg_hi:[0,1]
	s_wait_dscnt 0x0
	v_pk_mul_f32 v[82:83], v[78:79], v[70:71] op_sel:[0,1]
	s_delay_alu instid0(VALU_DEP_1) | instskip(SKIP_2) | instid1(VALU_DEP_2)
	v_pk_fma_f32 v[84:85], v[78:79], v[68:69], v[82:83] op_sel:[0,0,1] op_sel_hi:[1,1,0] neg_lo:[0,0,1] neg_hi:[0,0,1]
	v_pk_fma_f32 v[78:79], v[78:79], v[68:69], v[82:83] op_sel:[0,0,1] op_sel_hi:[1,0,0]
	v_dual_mul_f32 v82, v81, v71 :: v_dual_mov_b32 v78, v81
	v_dual_mov_b32 v85, v79 :: v_dual_mov_b32 v79, v80
	s_delay_alu instid0(VALU_DEP_2) | instskip(SKIP_1) | instid1(VALU_DEP_3)
	v_pk_fma_f32 v[82:83], v[80:81], v[38:39], v[82:83] op_sel_hi:[1,1,0] neg_lo:[0,0,1] neg_hi:[0,0,1]
	v_mul_f32_e32 v80, v81, v68
	v_pk_add_f32 v[44:45], v[44:45], v[84:85] neg_lo:[0,1] neg_hi:[0,1]
	s_delay_alu instid0(VALU_DEP_2) | instskip(NEXT) | instid1(VALU_DEP_1)
	v_pk_fma_f32 v[78:79], v[78:79], v[38:39], v[80:81] op_sel_hi:[1,1,0]
	v_mov_b32_e32 v83, v79
	ds_load_2addr_b64 v[78:81], v72 offset0:10 offset1:11
	v_pk_add_f32 v[42:43], v[42:43], v[82:83] neg_lo:[0,1] neg_hi:[0,1]
	s_wait_dscnt 0x0
	v_pk_mul_f32 v[82:83], v[78:79], v[70:71] op_sel:[0,1]
	s_delay_alu instid0(VALU_DEP_1) | instskip(SKIP_1) | instid1(VALU_DEP_1)
	v_pk_fma_f32 v[84:85], v[78:79], v[68:69], v[82:83] op_sel:[0,0,1] op_sel_hi:[1,1,0] neg_lo:[0,0,1] neg_hi:[0,0,1]
	v_pk_fma_f32 v[78:79], v[78:79], v[68:69], v[82:83] op_sel:[0,0,1] op_sel_hi:[1,0,0]
	v_mov_b32_e32 v85, v79
	v_pk_mul_f32 v[78:79], v[80:81], v[70:71] op_sel:[0,1]
	s_delay_alu instid0(VALU_DEP_1) | instskip(SKIP_1) | instid1(VALU_DEP_1)
	v_pk_fma_f32 v[82:83], v[80:81], v[68:69], v[78:79] op_sel:[0,0,1] op_sel_hi:[1,1,0] neg_lo:[0,0,1] neg_hi:[0,0,1]
	v_pk_fma_f32 v[78:79], v[80:81], v[68:69], v[78:79] op_sel:[0,0,1] op_sel_hi:[1,0,0]
	v_mov_b32_e32 v83, v79
	ds_load_2addr_b64 v[78:81], v72 offset0:12 offset1:13
	v_pk_add_f32 v[12:13], v[12:13], v[84:85] neg_lo:[0,1] neg_hi:[0,1]
	v_pk_add_f32 v[10:11], v[10:11], v[82:83] neg_lo:[0,1] neg_hi:[0,1]
	s_wait_dscnt 0x0
	v_pk_mul_f32 v[82:83], v[78:79], v[70:71] op_sel:[0,1]
	s_delay_alu instid0(VALU_DEP_1) | instskip(SKIP_1) | instid1(VALU_DEP_1)
	v_pk_fma_f32 v[84:85], v[78:79], v[68:69], v[82:83] op_sel:[0,0,1] op_sel_hi:[1,1,0] neg_lo:[0,0,1] neg_hi:[0,0,1]
	v_pk_fma_f32 v[78:79], v[78:79], v[68:69], v[82:83] op_sel:[0,0,1] op_sel_hi:[1,0,0]
	v_mov_b32_e32 v85, v79
	v_pk_mul_f32 v[78:79], v[80:81], v[70:71] op_sel:[0,1]
	s_delay_alu instid0(VALU_DEP_1) | instskip(SKIP_1) | instid1(VALU_DEP_1)
	v_pk_fma_f32 v[82:83], v[80:81], v[68:69], v[78:79] op_sel:[0,0,1] op_sel_hi:[1,1,0] neg_lo:[0,0,1] neg_hi:[0,0,1]
	v_pk_fma_f32 v[78:79], v[80:81], v[68:69], v[78:79] op_sel:[0,0,1] op_sel_hi:[1,0,0]
	v_mov_b32_e32 v83, v79
	ds_load_2addr_b64 v[78:81], v72 offset0:14 offset1:15
	v_pk_add_f32 v[48:49], v[48:49], v[84:85] neg_lo:[0,1] neg_hi:[0,1]
	v_pk_add_f32 v[46:47], v[46:47], v[82:83] neg_lo:[0,1] neg_hi:[0,1]
	s_wait_dscnt 0x0
	v_dual_mul_f32 v82, v79, v71 :: v_dual_mul_f32 v84, v79, v68
	s_delay_alu instid0(VALU_DEP_1) | instskip(NEXT) | instid1(VALU_DEP_2)
	v_pk_fma_f32 v[82:83], v[78:79], v[38:39], v[82:83] op_sel_hi:[1,1,0] neg_lo:[0,0,1] neg_hi:[0,0,1]
	v_pk_fma_f32 v[78:79], v[78:79], v[38:39], v[84:85] op_sel:[1,0,0] op_sel_hi:[0,1,0]
	s_delay_alu instid0(VALU_DEP_1) | instskip(SKIP_1) | instid1(VALU_DEP_2)
	v_mov_b32_e32 v83, v79
	v_pk_mul_f32 v[78:79], v[80:81], v[70:71] op_sel:[0,1]
	v_pk_add_f32 v[16:17], v[16:17], v[82:83] neg_lo:[0,1] neg_hi:[0,1]
	s_delay_alu instid0(VALU_DEP_2) | instskip(SKIP_1) | instid1(VALU_DEP_1)
	v_pk_fma_f32 v[82:83], v[80:81], v[68:69], v[78:79] op_sel:[0,0,1] op_sel_hi:[1,1,0] neg_lo:[0,0,1] neg_hi:[0,0,1]
	v_pk_fma_f32 v[78:79], v[80:81], v[68:69], v[78:79] op_sel:[0,0,1] op_sel_hi:[1,0,0]
	v_mov_b32_e32 v83, v79
	ds_load_2addr_b64 v[78:81], v72 offset0:16 offset1:17
	v_pk_add_f32 v[14:15], v[14:15], v[82:83] neg_lo:[0,1] neg_hi:[0,1]
	s_wait_dscnt 0x0
	v_pk_mul_f32 v[82:83], v[78:79], v[70:71] op_sel:[0,1]
	s_delay_alu instid0(VALU_DEP_1) | instskip(SKIP_1) | instid1(VALU_DEP_1)
	v_pk_fma_f32 v[84:85], v[78:79], v[68:69], v[82:83] op_sel:[0,0,1] op_sel_hi:[1,1,0] neg_lo:[0,0,1] neg_hi:[0,0,1]
	v_pk_fma_f32 v[78:79], v[78:79], v[68:69], v[82:83] op_sel:[0,0,1] op_sel_hi:[1,0,0]
	v_mov_b32_e32 v85, v79
	v_pk_mul_f32 v[78:79], v[80:81], v[70:71] op_sel:[0,1]
	s_delay_alu instid0(VALU_DEP_2) | instskip(NEXT) | instid1(VALU_DEP_2)
	v_pk_add_f32 v[56:57], v[56:57], v[84:85] neg_lo:[0,1] neg_hi:[0,1]
	v_pk_fma_f32 v[82:83], v[80:81], v[68:69], v[78:79] op_sel:[0,0,1] op_sel_hi:[1,1,0] neg_lo:[0,0,1] neg_hi:[0,0,1]
	v_pk_fma_f32 v[78:79], v[80:81], v[68:69], v[78:79] op_sel:[0,0,1] op_sel_hi:[1,0,0]
	s_delay_alu instid0(VALU_DEP_1) | instskip(SKIP_4) | instid1(VALU_DEP_1)
	v_mov_b32_e32 v83, v79
	ds_load_2addr_b64 v[78:81], v72 offset0:18 offset1:19
	v_pk_add_f32 v[54:55], v[54:55], v[82:83] neg_lo:[0,1] neg_hi:[0,1]
	s_wait_dscnt 0x0
	v_pk_mul_f32 v[82:83], v[78:79], v[70:71] op_sel:[0,1]
	v_pk_fma_f32 v[84:85], v[78:79], v[68:69], v[82:83] op_sel:[0,0,1] op_sel_hi:[1,1,0] neg_lo:[0,0,1] neg_hi:[0,0,1]
	v_pk_fma_f32 v[78:79], v[78:79], v[68:69], v[82:83] op_sel:[0,0,1] op_sel_hi:[1,0,0]
	v_dual_mul_f32 v82, v81, v71 :: v_dual_mov_b32 v78, v81
	s_delay_alu instid0(VALU_DEP_2) | instskip(NEXT) | instid1(VALU_DEP_2)
	v_dual_mov_b32 v85, v79 :: v_dual_mov_b32 v79, v80
	v_pk_fma_f32 v[82:83], v[80:81], v[38:39], v[82:83] op_sel_hi:[1,1,0] neg_lo:[0,0,1] neg_hi:[0,0,1]
	v_mul_f32_e32 v80, v81, v68
	s_delay_alu instid0(VALU_DEP_3) | instskip(NEXT) | instid1(VALU_DEP_2)
	v_pk_add_f32 v[28:29], v[28:29], v[84:85] neg_lo:[0,1] neg_hi:[0,1]
	v_pk_fma_f32 v[78:79], v[78:79], v[38:39], v[80:81] op_sel_hi:[1,1,0]
	s_delay_alu instid0(VALU_DEP_1) | instskip(SKIP_4) | instid1(VALU_DEP_1)
	v_mov_b32_e32 v83, v79
	ds_load_2addr_b64 v[78:81], v72 offset0:20 offset1:21
	v_pk_add_f32 v[26:27], v[26:27], v[82:83] neg_lo:[0,1] neg_hi:[0,1]
	s_wait_dscnt 0x0
	v_pk_mul_f32 v[82:83], v[78:79], v[70:71] op_sel:[0,1]
	v_pk_fma_f32 v[84:85], v[78:79], v[68:69], v[82:83] op_sel:[0,0,1] op_sel_hi:[1,1,0] neg_lo:[0,0,1] neg_hi:[0,0,1]
	v_pk_fma_f32 v[78:79], v[78:79], v[68:69], v[82:83] op_sel:[0,0,1] op_sel_hi:[1,0,0]
	s_delay_alu instid0(VALU_DEP_1) | instskip(SKIP_1) | instid1(VALU_DEP_1)
	v_mov_b32_e32 v85, v79
	v_pk_mul_f32 v[78:79], v[80:81], v[70:71] op_sel:[0,1]
	v_pk_fma_f32 v[82:83], v[80:81], v[68:69], v[78:79] op_sel:[0,0,1] op_sel_hi:[1,1,0] neg_lo:[0,0,1] neg_hi:[0,0,1]
	v_pk_fma_f32 v[78:79], v[80:81], v[68:69], v[78:79] op_sel:[0,0,1] op_sel_hi:[1,0,0]
	s_delay_alu instid0(VALU_DEP_1)
	v_mov_b32_e32 v83, v79
	ds_load_2addr_b64 v[78:81], v72 offset0:22 offset1:23
	v_pk_add_f32 v[52:53], v[52:53], v[84:85] neg_lo:[0,1] neg_hi:[0,1]
	v_pk_add_f32 v[50:51], v[50:51], v[82:83] neg_lo:[0,1] neg_hi:[0,1]
	s_wait_dscnt 0x0
	v_pk_mul_f32 v[82:83], v[78:79], v[70:71] op_sel:[0,1]
	s_delay_alu instid0(VALU_DEP_1) | instskip(SKIP_1) | instid1(VALU_DEP_1)
	v_pk_fma_f32 v[84:85], v[78:79], v[68:69], v[82:83] op_sel:[0,0,1] op_sel_hi:[1,1,0] neg_lo:[0,0,1] neg_hi:[0,0,1]
	v_pk_fma_f32 v[78:79], v[78:79], v[68:69], v[82:83] op_sel:[0,0,1] op_sel_hi:[1,0,0]
	v_mov_b32_e32 v85, v79
	v_pk_mul_f32 v[78:79], v[80:81], v[70:71] op_sel:[0,1]
	s_delay_alu instid0(VALU_DEP_1) | instskip(SKIP_1) | instid1(VALU_DEP_1)
	v_pk_fma_f32 v[82:83], v[80:81], v[68:69], v[78:79] op_sel:[0,0,1] op_sel_hi:[1,1,0] neg_lo:[0,0,1] neg_hi:[0,0,1]
	v_pk_fma_f32 v[78:79], v[80:81], v[68:69], v[78:79] op_sel:[0,0,1] op_sel_hi:[1,0,0]
	v_mov_b32_e32 v83, v79
	ds_load_2addr_b64 v[78:81], v72 offset0:24 offset1:25
	v_pk_add_f32 v[22:23], v[22:23], v[84:85] neg_lo:[0,1] neg_hi:[0,1]
	v_pk_add_f32 v[18:19], v[18:19], v[82:83] neg_lo:[0,1] neg_hi:[0,1]
	s_wait_dscnt 0x0
	v_dual_mul_f32 v82, v79, v71 :: v_dual_mul_f32 v84, v79, v68
	s_delay_alu instid0(VALU_DEP_1) | instskip(NEXT) | instid1(VALU_DEP_2)
	v_pk_fma_f32 v[82:83], v[78:79], v[38:39], v[82:83] op_sel_hi:[1,1,0] neg_lo:[0,0,1] neg_hi:[0,0,1]
	v_pk_fma_f32 v[78:79], v[78:79], v[38:39], v[84:85] op_sel:[1,0,0] op_sel_hi:[0,1,0]
	s_delay_alu instid0(VALU_DEP_1) | instskip(SKIP_1) | instid1(VALU_DEP_2)
	v_mov_b32_e32 v83, v79
	v_pk_mul_f32 v[78:79], v[80:81], v[70:71] op_sel:[0,1]
	v_pk_add_f32 v[36:37], v[36:37], v[82:83] neg_lo:[0,1] neg_hi:[0,1]
	s_delay_alu instid0(VALU_DEP_2) | instskip(SKIP_1) | instid1(VALU_DEP_1)
	v_pk_fma_f32 v[82:83], v[80:81], v[68:69], v[78:79] op_sel:[0,0,1] op_sel_hi:[1,1,0] neg_lo:[0,0,1] neg_hi:[0,0,1]
	v_pk_fma_f32 v[78:79], v[80:81], v[68:69], v[78:79] op_sel:[0,0,1] op_sel_hi:[1,0,0]
	v_mov_b32_e32 v83, v79
	ds_load_2addr_b64 v[78:81], v72 offset0:26 offset1:27
	v_pk_add_f32 v[34:35], v[34:35], v[82:83] neg_lo:[0,1] neg_hi:[0,1]
	s_wait_dscnt 0x0
	v_pk_mul_f32 v[82:83], v[78:79], v[70:71] op_sel:[0,1]
	s_delay_alu instid0(VALU_DEP_1) | instskip(SKIP_1) | instid1(VALU_DEP_1)
	v_pk_fma_f32 v[84:85], v[78:79], v[68:69], v[82:83] op_sel:[0,0,1] op_sel_hi:[1,1,0] neg_lo:[0,0,1] neg_hi:[0,0,1]
	v_pk_fma_f32 v[78:79], v[78:79], v[68:69], v[82:83] op_sel:[0,0,1] op_sel_hi:[1,0,0]
	v_mov_b32_e32 v85, v79
	v_pk_mul_f32 v[78:79], v[80:81], v[70:71] op_sel:[0,1]
	s_delay_alu instid0(VALU_DEP_2) | instskip(NEXT) | instid1(VALU_DEP_2)
	v_pk_add_f32 v[20:21], v[20:21], v[84:85] neg_lo:[0,1] neg_hi:[0,1]
	v_pk_fma_f32 v[82:83], v[80:81], v[68:69], v[78:79] op_sel:[0,0,1] op_sel_hi:[1,1,0] neg_lo:[0,0,1] neg_hi:[0,0,1]
	v_pk_fma_f32 v[78:79], v[80:81], v[68:69], v[78:79] op_sel:[0,0,1] op_sel_hi:[1,0,0]
	s_delay_alu instid0(VALU_DEP_1) | instskip(SKIP_4) | instid1(VALU_DEP_1)
	v_mov_b32_e32 v83, v79
	ds_load_2addr_b64 v[78:81], v72 offset0:28 offset1:29
	v_pk_add_f32 v[32:33], v[32:33], v[82:83] neg_lo:[0,1] neg_hi:[0,1]
	s_wait_dscnt 0x0
	v_pk_mul_f32 v[82:83], v[78:79], v[70:71] op_sel:[0,1]
	v_pk_fma_f32 v[84:85], v[78:79], v[68:69], v[82:83] op_sel:[0,0,1] op_sel_hi:[1,1,0] neg_lo:[0,0,1] neg_hi:[0,0,1]
	v_pk_fma_f32 v[78:79], v[78:79], v[68:69], v[82:83] op_sel:[0,0,1] op_sel_hi:[1,0,0]
	v_dual_mul_f32 v82, v81, v71 :: v_dual_mov_b32 v78, v81
	s_delay_alu instid0(VALU_DEP_2) | instskip(NEXT) | instid1(VALU_DEP_2)
	v_dual_mov_b32 v85, v79 :: v_dual_mov_b32 v79, v80
	v_pk_fma_f32 v[82:83], v[80:81], v[38:39], v[82:83] op_sel_hi:[1,1,0] neg_lo:[0,0,1] neg_hi:[0,0,1]
	v_mul_f32_e32 v80, v81, v68
	s_delay_alu instid0(VALU_DEP_3) | instskip(NEXT) | instid1(VALU_DEP_2)
	v_pk_add_f32 v[30:31], v[30:31], v[84:85] neg_lo:[0,1] neg_hi:[0,1]
	v_pk_fma_f32 v[78:79], v[78:79], v[38:39], v[80:81] op_sel_hi:[1,1,0]
	s_delay_alu instid0(VALU_DEP_1) | instskip(SKIP_4) | instid1(VALU_DEP_1)
	v_mov_b32_e32 v83, v79
	ds_load_b64 v[78:79], v72 offset:240
	v_pk_add_f32 v[24:25], v[24:25], v[82:83] neg_lo:[0,1] neg_hi:[0,1]
	s_wait_dscnt 0x0
	v_pk_mul_f32 v[70:71], v[78:79], v[70:71] op_sel:[0,1]
	v_pk_fma_f32 v[80:81], v[78:79], v[68:69], v[70:71] op_sel:[0,0,1] op_sel_hi:[1,1,0] neg_lo:[0,0,1] neg_hi:[0,0,1]
	v_pk_fma_f32 v[68:69], v[78:79], v[68:69], v[70:71] op_sel:[0,0,1] op_sel_hi:[1,0,0]
	s_delay_alu instid0(VALU_DEP_1) | instskip(NEXT) | instid1(VALU_DEP_1)
	v_mov_b32_e32 v81, v69
	v_pk_add_f32 v[66:67], v[66:67], v[80:81] neg_lo:[0,1] neg_hi:[0,1]
.LBB60_125:
	s_or_b32 exec_lo, exec_lo, s0
	v_lshl_add_u32 v68, v76, 3, v72
	s_barrier_signal -1
	s_barrier_wait -1
	ds_store_b64 v68, v[8:9]
	s_wait_dscnt 0x0
	s_barrier_signal -1
	s_barrier_wait -1
	ds_load_b64 v[70:71], v72 offset:48
	v_mov_b32_e32 v68, 6
	s_cmp_lt_i32 s18, 8
	s_cbranch_scc1 .LBB60_128
; %bb.126:
	v_add3_u32 v69, v73, 0, 56
	v_mov_b32_e32 v68, 6
	s_mov_b32 s0, 7
.LBB60_127:                             ; =>This Inner Loop Header: Depth=1
	ds_load_b64 v[78:79], v69
	s_wait_dscnt 0x1
	v_cmp_gt_f32_e32 vcc_lo, 0, v70
	v_cndmask_b32_e64 v80, v70, -v70, vcc_lo
	v_cmp_gt_f32_e32 vcc_lo, 0, v71
	v_cndmask_b32_e64 v82, v71, -v71, vcc_lo
	s_wait_dscnt 0x0
	v_cmp_gt_f32_e32 vcc_lo, 0, v78
	v_cndmask_b32_e64 v81, v78, -v78, vcc_lo
	v_cmp_gt_f32_e32 vcc_lo, 0, v79
	v_cndmask_b32_e64 v83, v79, -v79, vcc_lo
	s_delay_alu instid0(VALU_DEP_1) | instskip(NEXT) | instid1(VALU_DEP_1)
	v_pk_add_f32 v[80:81], v[80:81], v[82:83]
	v_cmp_lt_f32_e32 vcc_lo, v80, v81
	v_dual_add_nc_u32 v69, 8, v69 :: v_dual_cndmask_b32 v71, v71, v79, vcc_lo
	v_cndmask_b32_e32 v70, v70, v78, vcc_lo
	v_cndmask_b32_e64 v68, v68, s0, vcc_lo
	s_add_co_i32 s0, s0, 1
	s_delay_alu instid0(SALU_CYCLE_1)
	s_cmp_lg_u32 s18, s0
	s_cbranch_scc1 .LBB60_127
.LBB60_128:
	s_wait_dscnt 0x0
	v_cmp_eq_f32_e32 vcc_lo, 0, v70
	v_cmp_eq_f32_e64 s0, 0, v71
	s_and_b32 s0, vcc_lo, s0
	s_delay_alu instid0(SALU_CYCLE_1) | instskip(NEXT) | instid1(SALU_CYCLE_1)
	s_and_saveexec_b32 s1, s0
	s_xor_b32 s0, exec_lo, s1
; %bb.129:
	v_cmp_ne_u32_e32 vcc_lo, 0, v74
	v_cndmask_b32_e32 v74, 7, v74, vcc_lo
; %bb.130:
	s_and_not1_saveexec_b32 s0, s0
	s_cbranch_execz .LBB60_136
; %bb.131:
	v_cmp_ngt_f32_e64 s1, |v70|, |v71|
	s_and_saveexec_b32 s12, s1
	s_delay_alu instid0(SALU_CYCLE_1)
	s_xor_b32 s1, exec_lo, s12
	s_cbranch_execz .LBB60_133
; %bb.132:
	v_div_scale_f32 v69, null, v71, v71, v70
	v_div_scale_f32 v79, vcc_lo, v70, v71, v70
	s_delay_alu instid0(VALU_DEP_2) | instskip(SKIP_1) | instid1(TRANS32_DEP_1)
	v_rcp_f32_e32 v77, v69
	v_nop
	v_fma_f32 v78, -v69, v77, 1.0
	s_delay_alu instid0(VALU_DEP_1) | instskip(NEXT) | instid1(VALU_DEP_1)
	v_fmac_f32_e32 v77, v78, v77
	v_mul_f32_e32 v78, v79, v77
	s_delay_alu instid0(VALU_DEP_1) | instskip(NEXT) | instid1(VALU_DEP_1)
	v_fma_f32 v80, -v69, v78, v79
	v_fmac_f32_e32 v78, v80, v77
	s_delay_alu instid0(VALU_DEP_1) | instskip(NEXT) | instid1(VALU_DEP_1)
	v_fma_f32 v69, -v69, v78, v79
	v_div_fmas_f32 v69, v69, v77, v78
	s_delay_alu instid0(VALU_DEP_1) | instskip(NEXT) | instid1(VALU_DEP_1)
	v_div_fixup_f32 v69, v69, v71, v70
	v_fmac_f32_e32 v71, v70, v69
	s_delay_alu instid0(VALU_DEP_1) | instskip(SKIP_1) | instid1(VALU_DEP_2)
	v_div_scale_f32 v70, null, v71, v71, 1.0
	v_div_scale_f32 v79, vcc_lo, 1.0, v71, 1.0
	v_rcp_f32_e32 v77, v70
	v_nop
	s_delay_alu instid0(TRANS32_DEP_1) | instskip(NEXT) | instid1(VALU_DEP_1)
	v_fma_f32 v78, -v70, v77, 1.0
	v_fmac_f32_e32 v77, v78, v77
	s_delay_alu instid0(VALU_DEP_1) | instskip(NEXT) | instid1(VALU_DEP_1)
	v_mul_f32_e32 v78, v79, v77
	v_fma_f32 v80, -v70, v78, v79
	s_delay_alu instid0(VALU_DEP_1) | instskip(NEXT) | instid1(VALU_DEP_1)
	v_fmac_f32_e32 v78, v80, v77
	v_fma_f32 v70, -v70, v78, v79
	s_delay_alu instid0(VALU_DEP_1) | instskip(NEXT) | instid1(VALU_DEP_1)
	v_div_fmas_f32 v70, v70, v77, v78
	v_div_fixup_f32 v71, v70, v71, 1.0
	s_delay_alu instid0(VALU_DEP_1)
	v_mul_f32_e32 v70, v69, v71
	v_xor_b32_e32 v71, 0x80000000, v71
.LBB60_133:
	s_and_not1_saveexec_b32 s1, s1
	s_cbranch_execz .LBB60_135
; %bb.134:
	s_delay_alu instid0(VALU_DEP_1) | instskip(SKIP_1) | instid1(VALU_DEP_2)
	v_div_scale_f32 v69, null, v70, v70, v71
	v_div_scale_f32 v79, vcc_lo, v71, v70, v71
	v_rcp_f32_e32 v77, v69
	v_nop
	s_delay_alu instid0(TRANS32_DEP_1) | instskip(NEXT) | instid1(VALU_DEP_1)
	v_fma_f32 v78, -v69, v77, 1.0
	v_fmac_f32_e32 v77, v78, v77
	s_delay_alu instid0(VALU_DEP_1) | instskip(NEXT) | instid1(VALU_DEP_1)
	v_mul_f32_e32 v78, v79, v77
	v_fma_f32 v80, -v69, v78, v79
	s_delay_alu instid0(VALU_DEP_1) | instskip(NEXT) | instid1(VALU_DEP_1)
	v_fmac_f32_e32 v78, v80, v77
	v_fma_f32 v69, -v69, v78, v79
	s_delay_alu instid0(VALU_DEP_1) | instskip(NEXT) | instid1(VALU_DEP_1)
	v_div_fmas_f32 v69, v69, v77, v78
	v_div_fixup_f32 v69, v69, v70, v71
	s_delay_alu instid0(VALU_DEP_1) | instskip(NEXT) | instid1(VALU_DEP_1)
	v_fmac_f32_e32 v70, v71, v69
	v_div_scale_f32 v71, null, v70, v70, 1.0
	s_delay_alu instid0(VALU_DEP_1) | instskip(SKIP_1) | instid1(TRANS32_DEP_1)
	v_rcp_f32_e32 v77, v71
	v_nop
	v_fma_f32 v78, -v71, v77, 1.0
	s_delay_alu instid0(VALU_DEP_1) | instskip(SKIP_1) | instid1(VALU_DEP_1)
	v_fmac_f32_e32 v77, v78, v77
	v_div_scale_f32 v78, vcc_lo, 1.0, v70, 1.0
	v_mul_f32_e32 v79, v78, v77
	s_delay_alu instid0(VALU_DEP_1) | instskip(NEXT) | instid1(VALU_DEP_1)
	v_fma_f32 v80, -v71, v79, v78
	v_fmac_f32_e32 v79, v80, v77
	s_delay_alu instid0(VALU_DEP_1) | instskip(NEXT) | instid1(VALU_DEP_1)
	v_fma_f32 v71, -v71, v79, v78
	v_div_fmas_f32 v71, v71, v77, v79
	s_delay_alu instid0(VALU_DEP_1) | instskip(NEXT) | instid1(VALU_DEP_1)
	v_div_fixup_f32 v70, v71, v70, 1.0
	v_mul_f32_e64 v71, v69, -v70
.LBB60_135:
	s_or_b32 exec_lo, exec_lo, s1
.LBB60_136:
	s_delay_alu instid0(SALU_CYCLE_1) | instskip(NEXT) | instid1(SALU_CYCLE_1)
	s_or_b32 exec_lo, exec_lo, s0
	s_mov_b32 s0, exec_lo
	v_cmpx_ne_u32_e64 v76, v68
	s_xor_b32 s0, exec_lo, s0
	s_cbranch_execz .LBB60_142
; %bb.137:
	s_mov_b32 s1, exec_lo
	v_cmpx_eq_u32_e32 6, v76
	s_cbranch_execz .LBB60_141
; %bb.138:
	v_cmp_ne_u32_e32 vcc_lo, 6, v68
	s_xor_b32 s12, s16, -1
	s_delay_alu instid0(SALU_CYCLE_1) | instskip(NEXT) | instid1(SALU_CYCLE_1)
	s_and_b32 s13, s12, vcc_lo
	s_and_saveexec_b32 s12, s13
	s_cbranch_execz .LBB60_140
; %bb.139:
	v_ashrrev_i32_e32 v69, 31, v68
	s_delay_alu instid0(VALU_DEP_1)
	v_lshl_add_u64 v[76:77], v[68:69], 2, v[4:5]
	s_clause 0x1
	global_load_b32 v69, v[76:77], off
	global_load_b32 v75, v[4:5], off offset:24
	s_wait_loadcnt 0x1
	global_store_b32 v[4:5], v69, off offset:24
	s_wait_loadcnt 0x0
	global_store_b32 v[76:77], v75, off
.LBB60_140:
	s_wait_xcnt 0x0
	s_or_b32 exec_lo, exec_lo, s12
	v_dual_mov_b32 v76, v68 :: v_dual_mov_b32 v75, v68
.LBB60_141:
	s_or_b32 exec_lo, exec_lo, s1
.LBB60_142:
	s_and_not1_saveexec_b32 s0, s0
	s_cbranch_execz .LBB60_144
; %bb.143:
	v_mov_b32_e32 v76, 6
	ds_store_2addr_b64 v72, v[6:7], v[44:45] offset0:7 offset1:8
	ds_store_2addr_b64 v72, v[42:43], v[12:13] offset0:9 offset1:10
	;; [unrolled: 1-line block ×12, first 2 shown]
.LBB60_144:
	s_or_b32 exec_lo, exec_lo, s0
	s_delay_alu instid0(SALU_CYCLE_1)
	s_mov_b32 s0, exec_lo
	s_wait_storecnt_dscnt 0x0
	s_barrier_signal -1
	s_barrier_wait -1
	v_cmpx_lt_i32_e32 6, v76
	s_cbranch_execz .LBB60_146
; %bb.145:
	v_pk_mul_f32 v[78:79], v[70:71], v[8:9] op_sel:[1,1] op_sel_hi:[0,1]
	s_delay_alu instid0(VALU_DEP_1)
	v_pk_fma_f32 v[68:69], v[70:71], v[8:9], v[78:79] op_sel_hi:[1,0,1] neg_lo:[0,0,1] neg_hi:[0,0,1]
	v_pk_fma_f32 v[70:71], v[70:71], v[8:9], v[78:79] op_sel_hi:[1,0,1]
	ds_load_2addr_b64 v[78:81], v72 offset0:7 offset1:8
	v_dual_mov_b32 v8, v68 :: v_dual_mov_b32 v9, v71
	s_wait_dscnt 0x0
	v_pk_mul_f32 v[82:83], v[78:79], v[70:71] op_sel:[0,1]
	s_delay_alu instid0(VALU_DEP_1) | instskip(SKIP_1) | instid1(VALU_DEP_1)
	v_pk_fma_f32 v[84:85], v[78:79], v[68:69], v[82:83] op_sel:[0,0,1] op_sel_hi:[1,1,0] neg_lo:[0,0,1] neg_hi:[0,0,1]
	v_pk_fma_f32 v[78:79], v[78:79], v[68:69], v[82:83] op_sel:[0,0,1] op_sel_hi:[1,0,0]
	v_mov_b32_e32 v85, v79
	v_pk_mul_f32 v[78:79], v[80:81], v[70:71] op_sel:[0,1]
	s_delay_alu instid0(VALU_DEP_1) | instskip(SKIP_1) | instid1(VALU_DEP_1)
	v_pk_fma_f32 v[82:83], v[80:81], v[68:69], v[78:79] op_sel:[0,0,1] op_sel_hi:[1,1,0] neg_lo:[0,0,1] neg_hi:[0,0,1]
	v_pk_fma_f32 v[78:79], v[80:81], v[68:69], v[78:79] op_sel:[0,0,1] op_sel_hi:[1,0,0]
	v_mov_b32_e32 v83, v79
	ds_load_2addr_b64 v[78:81], v72 offset0:9 offset1:10
	v_pk_add_f32 v[6:7], v[6:7], v[84:85] neg_lo:[0,1] neg_hi:[0,1]
	v_pk_add_f32 v[44:45], v[44:45], v[82:83] neg_lo:[0,1] neg_hi:[0,1]
	s_wait_dscnt 0x0
	v_pk_mul_f32 v[82:83], v[78:79], v[70:71] op_sel:[0,1]
	s_delay_alu instid0(VALU_DEP_1) | instskip(SKIP_2) | instid1(VALU_DEP_2)
	v_pk_fma_f32 v[84:85], v[78:79], v[68:69], v[82:83] op_sel:[0,0,1] op_sel_hi:[1,1,0] neg_lo:[0,0,1] neg_hi:[0,0,1]
	v_pk_fma_f32 v[78:79], v[78:79], v[68:69], v[82:83] op_sel:[0,0,1] op_sel_hi:[1,0,0]
	v_dual_mul_f32 v82, v81, v71 :: v_dual_mov_b32 v78, v81
	v_dual_mov_b32 v85, v79 :: v_dual_mov_b32 v79, v80
	s_delay_alu instid0(VALU_DEP_2) | instskip(SKIP_1) | instid1(VALU_DEP_3)
	v_pk_fma_f32 v[82:83], v[80:81], v[8:9], v[82:83] op_sel_hi:[1,1,0] neg_lo:[0,0,1] neg_hi:[0,0,1]
	v_mul_f32_e32 v80, v81, v68
	v_pk_add_f32 v[42:43], v[42:43], v[84:85] neg_lo:[0,1] neg_hi:[0,1]
	s_delay_alu instid0(VALU_DEP_2) | instskip(NEXT) | instid1(VALU_DEP_1)
	v_pk_fma_f32 v[78:79], v[78:79], v[8:9], v[80:81] op_sel_hi:[1,1,0]
	v_mov_b32_e32 v83, v79
	ds_load_2addr_b64 v[78:81], v72 offset0:11 offset1:12
	v_pk_add_f32 v[12:13], v[12:13], v[82:83] neg_lo:[0,1] neg_hi:[0,1]
	s_wait_dscnt 0x0
	v_pk_mul_f32 v[82:83], v[78:79], v[70:71] op_sel:[0,1]
	s_delay_alu instid0(VALU_DEP_1) | instskip(SKIP_1) | instid1(VALU_DEP_1)
	v_pk_fma_f32 v[84:85], v[78:79], v[68:69], v[82:83] op_sel:[0,0,1] op_sel_hi:[1,1,0] neg_lo:[0,0,1] neg_hi:[0,0,1]
	v_pk_fma_f32 v[78:79], v[78:79], v[68:69], v[82:83] op_sel:[0,0,1] op_sel_hi:[1,0,0]
	v_mov_b32_e32 v85, v79
	v_pk_mul_f32 v[78:79], v[80:81], v[70:71] op_sel:[0,1]
	s_delay_alu instid0(VALU_DEP_1) | instskip(SKIP_1) | instid1(VALU_DEP_1)
	v_pk_fma_f32 v[82:83], v[80:81], v[68:69], v[78:79] op_sel:[0,0,1] op_sel_hi:[1,1,0] neg_lo:[0,0,1] neg_hi:[0,0,1]
	v_pk_fma_f32 v[78:79], v[80:81], v[68:69], v[78:79] op_sel:[0,0,1] op_sel_hi:[1,0,0]
	v_mov_b32_e32 v83, v79
	ds_load_2addr_b64 v[78:81], v72 offset0:13 offset1:14
	v_pk_add_f32 v[10:11], v[10:11], v[84:85] neg_lo:[0,1] neg_hi:[0,1]
	v_pk_add_f32 v[48:49], v[48:49], v[82:83] neg_lo:[0,1] neg_hi:[0,1]
	s_wait_dscnt 0x0
	v_pk_mul_f32 v[82:83], v[78:79], v[70:71] op_sel:[0,1]
	s_delay_alu instid0(VALU_DEP_1) | instskip(SKIP_1) | instid1(VALU_DEP_1)
	v_pk_fma_f32 v[84:85], v[78:79], v[68:69], v[82:83] op_sel:[0,0,1] op_sel_hi:[1,1,0] neg_lo:[0,0,1] neg_hi:[0,0,1]
	v_pk_fma_f32 v[78:79], v[78:79], v[68:69], v[82:83] op_sel:[0,0,1] op_sel_hi:[1,0,0]
	v_mov_b32_e32 v85, v79
	v_pk_mul_f32 v[78:79], v[80:81], v[70:71] op_sel:[0,1]
	s_delay_alu instid0(VALU_DEP_1) | instskip(SKIP_1) | instid1(VALU_DEP_1)
	v_pk_fma_f32 v[82:83], v[80:81], v[68:69], v[78:79] op_sel:[0,0,1] op_sel_hi:[1,1,0] neg_lo:[0,0,1] neg_hi:[0,0,1]
	v_pk_fma_f32 v[78:79], v[80:81], v[68:69], v[78:79] op_sel:[0,0,1] op_sel_hi:[1,0,0]
	v_mov_b32_e32 v83, v79
	ds_load_2addr_b64 v[78:81], v72 offset0:15 offset1:16
	v_pk_add_f32 v[46:47], v[46:47], v[84:85] neg_lo:[0,1] neg_hi:[0,1]
	v_pk_add_f32 v[16:17], v[16:17], v[82:83] neg_lo:[0,1] neg_hi:[0,1]
	s_wait_dscnt 0x0
	v_dual_mul_f32 v82, v79, v71 :: v_dual_mul_f32 v84, v79, v68
	s_delay_alu instid0(VALU_DEP_1) | instskip(NEXT) | instid1(VALU_DEP_2)
	v_pk_fma_f32 v[82:83], v[78:79], v[8:9], v[82:83] op_sel_hi:[1,1,0] neg_lo:[0,0,1] neg_hi:[0,0,1]
	v_pk_fma_f32 v[78:79], v[78:79], v[8:9], v[84:85] op_sel:[1,0,0] op_sel_hi:[0,1,0]
	s_delay_alu instid0(VALU_DEP_1) | instskip(SKIP_1) | instid1(VALU_DEP_2)
	v_mov_b32_e32 v83, v79
	v_pk_mul_f32 v[78:79], v[80:81], v[70:71] op_sel:[0,1]
	v_pk_add_f32 v[14:15], v[14:15], v[82:83] neg_lo:[0,1] neg_hi:[0,1]
	s_delay_alu instid0(VALU_DEP_2) | instskip(SKIP_1) | instid1(VALU_DEP_1)
	v_pk_fma_f32 v[82:83], v[80:81], v[68:69], v[78:79] op_sel:[0,0,1] op_sel_hi:[1,1,0] neg_lo:[0,0,1] neg_hi:[0,0,1]
	v_pk_fma_f32 v[78:79], v[80:81], v[68:69], v[78:79] op_sel:[0,0,1] op_sel_hi:[1,0,0]
	v_mov_b32_e32 v83, v79
	ds_load_2addr_b64 v[78:81], v72 offset0:17 offset1:18
	v_pk_add_f32 v[56:57], v[56:57], v[82:83] neg_lo:[0,1] neg_hi:[0,1]
	s_wait_dscnt 0x0
	v_pk_mul_f32 v[82:83], v[78:79], v[70:71] op_sel:[0,1]
	s_delay_alu instid0(VALU_DEP_1) | instskip(SKIP_1) | instid1(VALU_DEP_1)
	v_pk_fma_f32 v[84:85], v[78:79], v[68:69], v[82:83] op_sel:[0,0,1] op_sel_hi:[1,1,0] neg_lo:[0,0,1] neg_hi:[0,0,1]
	v_pk_fma_f32 v[78:79], v[78:79], v[68:69], v[82:83] op_sel:[0,0,1] op_sel_hi:[1,0,0]
	v_mov_b32_e32 v85, v79
	v_pk_mul_f32 v[78:79], v[80:81], v[70:71] op_sel:[0,1]
	s_delay_alu instid0(VALU_DEP_2) | instskip(NEXT) | instid1(VALU_DEP_2)
	v_pk_add_f32 v[54:55], v[54:55], v[84:85] neg_lo:[0,1] neg_hi:[0,1]
	v_pk_fma_f32 v[82:83], v[80:81], v[68:69], v[78:79] op_sel:[0,0,1] op_sel_hi:[1,1,0] neg_lo:[0,0,1] neg_hi:[0,0,1]
	v_pk_fma_f32 v[78:79], v[80:81], v[68:69], v[78:79] op_sel:[0,0,1] op_sel_hi:[1,0,0]
	s_delay_alu instid0(VALU_DEP_1) | instskip(SKIP_4) | instid1(VALU_DEP_1)
	v_mov_b32_e32 v83, v79
	ds_load_2addr_b64 v[78:81], v72 offset0:19 offset1:20
	v_pk_add_f32 v[28:29], v[28:29], v[82:83] neg_lo:[0,1] neg_hi:[0,1]
	s_wait_dscnt 0x0
	v_pk_mul_f32 v[82:83], v[78:79], v[70:71] op_sel:[0,1]
	v_pk_fma_f32 v[84:85], v[78:79], v[68:69], v[82:83] op_sel:[0,0,1] op_sel_hi:[1,1,0] neg_lo:[0,0,1] neg_hi:[0,0,1]
	v_pk_fma_f32 v[78:79], v[78:79], v[68:69], v[82:83] op_sel:[0,0,1] op_sel_hi:[1,0,0]
	v_dual_mul_f32 v82, v81, v71 :: v_dual_mov_b32 v78, v81
	s_delay_alu instid0(VALU_DEP_2) | instskip(NEXT) | instid1(VALU_DEP_2)
	v_dual_mov_b32 v85, v79 :: v_dual_mov_b32 v79, v80
	v_pk_fma_f32 v[82:83], v[80:81], v[8:9], v[82:83] op_sel_hi:[1,1,0] neg_lo:[0,0,1] neg_hi:[0,0,1]
	v_mul_f32_e32 v80, v81, v68
	s_delay_alu instid0(VALU_DEP_3) | instskip(NEXT) | instid1(VALU_DEP_2)
	v_pk_add_f32 v[26:27], v[26:27], v[84:85] neg_lo:[0,1] neg_hi:[0,1]
	v_pk_fma_f32 v[78:79], v[78:79], v[8:9], v[80:81] op_sel_hi:[1,1,0]
	s_delay_alu instid0(VALU_DEP_1) | instskip(SKIP_4) | instid1(VALU_DEP_1)
	v_mov_b32_e32 v83, v79
	ds_load_2addr_b64 v[78:81], v72 offset0:21 offset1:22
	v_pk_add_f32 v[52:53], v[52:53], v[82:83] neg_lo:[0,1] neg_hi:[0,1]
	s_wait_dscnt 0x0
	v_pk_mul_f32 v[82:83], v[78:79], v[70:71] op_sel:[0,1]
	v_pk_fma_f32 v[84:85], v[78:79], v[68:69], v[82:83] op_sel:[0,0,1] op_sel_hi:[1,1,0] neg_lo:[0,0,1] neg_hi:[0,0,1]
	v_pk_fma_f32 v[78:79], v[78:79], v[68:69], v[82:83] op_sel:[0,0,1] op_sel_hi:[1,0,0]
	s_delay_alu instid0(VALU_DEP_1) | instskip(SKIP_1) | instid1(VALU_DEP_1)
	v_mov_b32_e32 v85, v79
	v_pk_mul_f32 v[78:79], v[80:81], v[70:71] op_sel:[0,1]
	v_pk_fma_f32 v[82:83], v[80:81], v[68:69], v[78:79] op_sel:[0,0,1] op_sel_hi:[1,1,0] neg_lo:[0,0,1] neg_hi:[0,0,1]
	v_pk_fma_f32 v[78:79], v[80:81], v[68:69], v[78:79] op_sel:[0,0,1] op_sel_hi:[1,0,0]
	s_delay_alu instid0(VALU_DEP_1)
	v_mov_b32_e32 v83, v79
	ds_load_2addr_b64 v[78:81], v72 offset0:23 offset1:24
	v_pk_add_f32 v[50:51], v[50:51], v[84:85] neg_lo:[0,1] neg_hi:[0,1]
	v_pk_add_f32 v[22:23], v[22:23], v[82:83] neg_lo:[0,1] neg_hi:[0,1]
	s_wait_dscnt 0x0
	v_pk_mul_f32 v[82:83], v[78:79], v[70:71] op_sel:[0,1]
	s_delay_alu instid0(VALU_DEP_1) | instskip(SKIP_1) | instid1(VALU_DEP_1)
	v_pk_fma_f32 v[84:85], v[78:79], v[68:69], v[82:83] op_sel:[0,0,1] op_sel_hi:[1,1,0] neg_lo:[0,0,1] neg_hi:[0,0,1]
	v_pk_fma_f32 v[78:79], v[78:79], v[68:69], v[82:83] op_sel:[0,0,1] op_sel_hi:[1,0,0]
	v_mov_b32_e32 v85, v79
	v_pk_mul_f32 v[78:79], v[80:81], v[70:71] op_sel:[0,1]
	s_delay_alu instid0(VALU_DEP_1) | instskip(SKIP_1) | instid1(VALU_DEP_1)
	v_pk_fma_f32 v[82:83], v[80:81], v[68:69], v[78:79] op_sel:[0,0,1] op_sel_hi:[1,1,0] neg_lo:[0,0,1] neg_hi:[0,0,1]
	v_pk_fma_f32 v[78:79], v[80:81], v[68:69], v[78:79] op_sel:[0,0,1] op_sel_hi:[1,0,0]
	v_mov_b32_e32 v83, v79
	ds_load_2addr_b64 v[78:81], v72 offset0:25 offset1:26
	v_pk_add_f32 v[18:19], v[18:19], v[84:85] neg_lo:[0,1] neg_hi:[0,1]
	v_pk_add_f32 v[36:37], v[36:37], v[82:83] neg_lo:[0,1] neg_hi:[0,1]
	s_wait_dscnt 0x0
	v_dual_mul_f32 v82, v79, v71 :: v_dual_mul_f32 v84, v79, v68
	s_delay_alu instid0(VALU_DEP_1) | instskip(NEXT) | instid1(VALU_DEP_2)
	v_pk_fma_f32 v[82:83], v[78:79], v[8:9], v[82:83] op_sel_hi:[1,1,0] neg_lo:[0,0,1] neg_hi:[0,0,1]
	v_pk_fma_f32 v[78:79], v[78:79], v[8:9], v[84:85] op_sel:[1,0,0] op_sel_hi:[0,1,0]
	s_delay_alu instid0(VALU_DEP_1) | instskip(SKIP_1) | instid1(VALU_DEP_2)
	v_mov_b32_e32 v83, v79
	v_pk_mul_f32 v[78:79], v[80:81], v[70:71] op_sel:[0,1]
	v_pk_add_f32 v[34:35], v[34:35], v[82:83] neg_lo:[0,1] neg_hi:[0,1]
	s_delay_alu instid0(VALU_DEP_2) | instskip(SKIP_1) | instid1(VALU_DEP_1)
	v_pk_fma_f32 v[82:83], v[80:81], v[68:69], v[78:79] op_sel:[0,0,1] op_sel_hi:[1,1,0] neg_lo:[0,0,1] neg_hi:[0,0,1]
	v_pk_fma_f32 v[78:79], v[80:81], v[68:69], v[78:79] op_sel:[0,0,1] op_sel_hi:[1,0,0]
	v_mov_b32_e32 v83, v79
	ds_load_2addr_b64 v[78:81], v72 offset0:27 offset1:28
	v_pk_add_f32 v[20:21], v[20:21], v[82:83] neg_lo:[0,1] neg_hi:[0,1]
	s_wait_dscnt 0x0
	v_pk_mul_f32 v[82:83], v[78:79], v[70:71] op_sel:[0,1]
	s_delay_alu instid0(VALU_DEP_1) | instskip(SKIP_1) | instid1(VALU_DEP_1)
	v_pk_fma_f32 v[84:85], v[78:79], v[68:69], v[82:83] op_sel:[0,0,1] op_sel_hi:[1,1,0] neg_lo:[0,0,1] neg_hi:[0,0,1]
	v_pk_fma_f32 v[78:79], v[78:79], v[68:69], v[82:83] op_sel:[0,0,1] op_sel_hi:[1,0,0]
	v_mov_b32_e32 v85, v79
	v_pk_mul_f32 v[78:79], v[80:81], v[70:71] op_sel:[0,1]
	s_delay_alu instid0(VALU_DEP_2) | instskip(NEXT) | instid1(VALU_DEP_2)
	v_pk_add_f32 v[32:33], v[32:33], v[84:85] neg_lo:[0,1] neg_hi:[0,1]
	v_pk_fma_f32 v[82:83], v[80:81], v[68:69], v[78:79] op_sel:[0,0,1] op_sel_hi:[1,1,0] neg_lo:[0,0,1] neg_hi:[0,0,1]
	v_pk_fma_f32 v[78:79], v[80:81], v[68:69], v[78:79] op_sel:[0,0,1] op_sel_hi:[1,0,0]
	s_delay_alu instid0(VALU_DEP_1)
	v_mov_b32_e32 v83, v79
	ds_load_2addr_b64 v[78:81], v72 offset0:29 offset1:30
	v_pk_add_f32 v[30:31], v[30:31], v[82:83] neg_lo:[0,1] neg_hi:[0,1]
	s_wait_dscnt 0x0
	v_pk_mul_f32 v[82:83], v[78:79], v[70:71] op_sel:[0,1]
	v_mul_f32_e32 v70, v81, v71
	s_delay_alu instid0(VALU_DEP_2) | instskip(SKIP_2) | instid1(VALU_DEP_4)
	v_pk_fma_f32 v[84:85], v[78:79], v[68:69], v[82:83] op_sel:[0,0,1] op_sel_hi:[1,1,0] neg_lo:[0,0,1] neg_hi:[0,0,1]
	v_pk_fma_f32 v[78:79], v[78:79], v[68:69], v[82:83] op_sel:[0,0,1] op_sel_hi:[1,0,0]
	v_dual_mov_b32 v78, v81 :: v_dual_mul_f32 v68, v81, v68
	v_pk_fma_f32 v[70:71], v[80:81], v[8:9], v[70:71] op_sel_hi:[1,1,0] neg_lo:[0,0,1] neg_hi:[0,0,1]
	s_delay_alu instid0(VALU_DEP_3) | instskip(NEXT) | instid1(VALU_DEP_1)
	v_dual_mov_b32 v85, v79 :: v_dual_mov_b32 v79, v80
	v_pk_add_f32 v[24:25], v[24:25], v[84:85] neg_lo:[0,1] neg_hi:[0,1]
	s_delay_alu instid0(VALU_DEP_2) | instskip(NEXT) | instid1(VALU_DEP_1)
	v_pk_fma_f32 v[68:69], v[78:79], v[8:9], v[68:69] op_sel_hi:[1,1,0]
	v_mov_b32_e32 v71, v69
	s_delay_alu instid0(VALU_DEP_1)
	v_pk_add_f32 v[66:67], v[66:67], v[70:71] neg_lo:[0,1] neg_hi:[0,1]
.LBB60_146:
	s_or_b32 exec_lo, exec_lo, s0
	v_lshl_add_u32 v68, v76, 3, v72
	s_barrier_signal -1
	s_barrier_wait -1
	ds_store_b64 v68, v[6:7]
	s_wait_dscnt 0x0
	s_barrier_signal -1
	s_barrier_wait -1
	ds_load_b64 v[70:71], v72 offset:56
	v_mov_b32_e32 v68, 7
	s_cmp_lt_i32 s18, 9
	s_cbranch_scc1 .LBB60_149
; %bb.147:
	v_add3_u32 v69, v73, 0, 64
	v_mov_b32_e32 v68, 7
	s_mov_b32 s0, 8
.LBB60_148:                             ; =>This Inner Loop Header: Depth=1
	ds_load_b64 v[78:79], v69
	s_wait_dscnt 0x1
	v_cmp_gt_f32_e32 vcc_lo, 0, v70
	v_cndmask_b32_e64 v80, v70, -v70, vcc_lo
	v_cmp_gt_f32_e32 vcc_lo, 0, v71
	v_cndmask_b32_e64 v82, v71, -v71, vcc_lo
	s_wait_dscnt 0x0
	v_cmp_gt_f32_e32 vcc_lo, 0, v78
	v_cndmask_b32_e64 v81, v78, -v78, vcc_lo
	v_cmp_gt_f32_e32 vcc_lo, 0, v79
	v_cndmask_b32_e64 v83, v79, -v79, vcc_lo
	s_delay_alu instid0(VALU_DEP_1) | instskip(NEXT) | instid1(VALU_DEP_1)
	v_pk_add_f32 v[80:81], v[80:81], v[82:83]
	v_cmp_lt_f32_e32 vcc_lo, v80, v81
	v_dual_add_nc_u32 v69, 8, v69 :: v_dual_cndmask_b32 v71, v71, v79, vcc_lo
	v_cndmask_b32_e32 v70, v70, v78, vcc_lo
	v_cndmask_b32_e64 v68, v68, s0, vcc_lo
	s_add_co_i32 s0, s0, 1
	s_delay_alu instid0(SALU_CYCLE_1)
	s_cmp_lg_u32 s18, s0
	s_cbranch_scc1 .LBB60_148
.LBB60_149:
	s_wait_dscnt 0x0
	v_cmp_eq_f32_e32 vcc_lo, 0, v70
	v_cmp_eq_f32_e64 s0, 0, v71
	s_and_b32 s0, vcc_lo, s0
	s_delay_alu instid0(SALU_CYCLE_1) | instskip(NEXT) | instid1(SALU_CYCLE_1)
	s_and_saveexec_b32 s1, s0
	s_xor_b32 s0, exec_lo, s1
; %bb.150:
	v_cmp_ne_u32_e32 vcc_lo, 0, v74
	v_cndmask_b32_e32 v74, 8, v74, vcc_lo
; %bb.151:
	s_and_not1_saveexec_b32 s0, s0
	s_cbranch_execz .LBB60_157
; %bb.152:
	v_cmp_ngt_f32_e64 s1, |v70|, |v71|
	s_and_saveexec_b32 s12, s1
	s_delay_alu instid0(SALU_CYCLE_1)
	s_xor_b32 s1, exec_lo, s12
	s_cbranch_execz .LBB60_154
; %bb.153:
	v_div_scale_f32 v69, null, v71, v71, v70
	v_div_scale_f32 v79, vcc_lo, v70, v71, v70
	s_delay_alu instid0(VALU_DEP_2) | instskip(SKIP_1) | instid1(TRANS32_DEP_1)
	v_rcp_f32_e32 v77, v69
	v_nop
	v_fma_f32 v78, -v69, v77, 1.0
	s_delay_alu instid0(VALU_DEP_1) | instskip(NEXT) | instid1(VALU_DEP_1)
	v_fmac_f32_e32 v77, v78, v77
	v_mul_f32_e32 v78, v79, v77
	s_delay_alu instid0(VALU_DEP_1) | instskip(NEXT) | instid1(VALU_DEP_1)
	v_fma_f32 v80, -v69, v78, v79
	v_fmac_f32_e32 v78, v80, v77
	s_delay_alu instid0(VALU_DEP_1) | instskip(NEXT) | instid1(VALU_DEP_1)
	v_fma_f32 v69, -v69, v78, v79
	v_div_fmas_f32 v69, v69, v77, v78
	s_delay_alu instid0(VALU_DEP_1) | instskip(NEXT) | instid1(VALU_DEP_1)
	v_div_fixup_f32 v69, v69, v71, v70
	v_fmac_f32_e32 v71, v70, v69
	s_delay_alu instid0(VALU_DEP_1) | instskip(SKIP_1) | instid1(VALU_DEP_2)
	v_div_scale_f32 v70, null, v71, v71, 1.0
	v_div_scale_f32 v79, vcc_lo, 1.0, v71, 1.0
	v_rcp_f32_e32 v77, v70
	v_nop
	s_delay_alu instid0(TRANS32_DEP_1) | instskip(NEXT) | instid1(VALU_DEP_1)
	v_fma_f32 v78, -v70, v77, 1.0
	v_fmac_f32_e32 v77, v78, v77
	s_delay_alu instid0(VALU_DEP_1) | instskip(NEXT) | instid1(VALU_DEP_1)
	v_mul_f32_e32 v78, v79, v77
	v_fma_f32 v80, -v70, v78, v79
	s_delay_alu instid0(VALU_DEP_1) | instskip(NEXT) | instid1(VALU_DEP_1)
	v_fmac_f32_e32 v78, v80, v77
	v_fma_f32 v70, -v70, v78, v79
	s_delay_alu instid0(VALU_DEP_1) | instskip(NEXT) | instid1(VALU_DEP_1)
	v_div_fmas_f32 v70, v70, v77, v78
	v_div_fixup_f32 v71, v70, v71, 1.0
	s_delay_alu instid0(VALU_DEP_1)
	v_mul_f32_e32 v70, v69, v71
	v_xor_b32_e32 v71, 0x80000000, v71
.LBB60_154:
	s_and_not1_saveexec_b32 s1, s1
	s_cbranch_execz .LBB60_156
; %bb.155:
	s_delay_alu instid0(VALU_DEP_1) | instskip(SKIP_1) | instid1(VALU_DEP_2)
	v_div_scale_f32 v69, null, v70, v70, v71
	v_div_scale_f32 v79, vcc_lo, v71, v70, v71
	v_rcp_f32_e32 v77, v69
	v_nop
	s_delay_alu instid0(TRANS32_DEP_1) | instskip(NEXT) | instid1(VALU_DEP_1)
	v_fma_f32 v78, -v69, v77, 1.0
	v_fmac_f32_e32 v77, v78, v77
	s_delay_alu instid0(VALU_DEP_1) | instskip(NEXT) | instid1(VALU_DEP_1)
	v_mul_f32_e32 v78, v79, v77
	v_fma_f32 v80, -v69, v78, v79
	s_delay_alu instid0(VALU_DEP_1) | instskip(NEXT) | instid1(VALU_DEP_1)
	v_fmac_f32_e32 v78, v80, v77
	v_fma_f32 v69, -v69, v78, v79
	s_delay_alu instid0(VALU_DEP_1) | instskip(NEXT) | instid1(VALU_DEP_1)
	v_div_fmas_f32 v69, v69, v77, v78
	v_div_fixup_f32 v69, v69, v70, v71
	s_delay_alu instid0(VALU_DEP_1) | instskip(NEXT) | instid1(VALU_DEP_1)
	v_fmac_f32_e32 v70, v71, v69
	v_div_scale_f32 v71, null, v70, v70, 1.0
	s_delay_alu instid0(VALU_DEP_1) | instskip(SKIP_1) | instid1(TRANS32_DEP_1)
	v_rcp_f32_e32 v77, v71
	v_nop
	v_fma_f32 v78, -v71, v77, 1.0
	s_delay_alu instid0(VALU_DEP_1) | instskip(SKIP_1) | instid1(VALU_DEP_1)
	v_fmac_f32_e32 v77, v78, v77
	v_div_scale_f32 v78, vcc_lo, 1.0, v70, 1.0
	v_mul_f32_e32 v79, v78, v77
	s_delay_alu instid0(VALU_DEP_1) | instskip(NEXT) | instid1(VALU_DEP_1)
	v_fma_f32 v80, -v71, v79, v78
	v_fmac_f32_e32 v79, v80, v77
	s_delay_alu instid0(VALU_DEP_1) | instskip(NEXT) | instid1(VALU_DEP_1)
	v_fma_f32 v71, -v71, v79, v78
	v_div_fmas_f32 v71, v71, v77, v79
	s_delay_alu instid0(VALU_DEP_1) | instskip(NEXT) | instid1(VALU_DEP_1)
	v_div_fixup_f32 v70, v71, v70, 1.0
	v_mul_f32_e64 v71, v69, -v70
.LBB60_156:
	s_or_b32 exec_lo, exec_lo, s1
.LBB60_157:
	s_delay_alu instid0(SALU_CYCLE_1) | instskip(NEXT) | instid1(SALU_CYCLE_1)
	s_or_b32 exec_lo, exec_lo, s0
	s_mov_b32 s0, exec_lo
	v_cmpx_ne_u32_e64 v76, v68
	s_xor_b32 s0, exec_lo, s0
	s_cbranch_execz .LBB60_163
; %bb.158:
	s_mov_b32 s1, exec_lo
	v_cmpx_eq_u32_e32 7, v76
	s_cbranch_execz .LBB60_162
; %bb.159:
	v_cmp_ne_u32_e32 vcc_lo, 7, v68
	s_xor_b32 s12, s16, -1
	s_delay_alu instid0(SALU_CYCLE_1) | instskip(NEXT) | instid1(SALU_CYCLE_1)
	s_and_b32 s13, s12, vcc_lo
	s_and_saveexec_b32 s12, s13
	s_cbranch_execz .LBB60_161
; %bb.160:
	v_ashrrev_i32_e32 v69, 31, v68
	s_delay_alu instid0(VALU_DEP_1)
	v_lshl_add_u64 v[76:77], v[68:69], 2, v[4:5]
	s_clause 0x1
	global_load_b32 v69, v[76:77], off
	global_load_b32 v75, v[4:5], off offset:28
	s_wait_loadcnt 0x1
	global_store_b32 v[4:5], v69, off offset:28
	s_wait_loadcnt 0x0
	global_store_b32 v[76:77], v75, off
.LBB60_161:
	s_wait_xcnt 0x0
	s_or_b32 exec_lo, exec_lo, s12
	v_dual_mov_b32 v76, v68 :: v_dual_mov_b32 v75, v68
.LBB60_162:
	s_or_b32 exec_lo, exec_lo, s1
.LBB60_163:
	s_and_not1_saveexec_b32 s0, s0
	s_cbranch_execz .LBB60_165
; %bb.164:
	v_dual_mov_b32 v68, v44 :: v_dual_mov_b32 v69, v45
	v_dual_mov_b32 v76, v42 :: v_dual_mov_b32 v77, v43
	ds_store_2addr_b64 v72, v[68:69], v[76:77] offset0:8 offset1:9
	v_dual_mov_b32 v68, v12 :: v_dual_mov_b32 v69, v13
	v_dual_mov_b32 v76, v10 :: v_dual_mov_b32 v77, v11
	ds_store_2addr_b64 v72, v[68:69], v[76:77] offset0:10 offset1:11
	;; [unrolled: 3-line block ×11, first 2 shown]
	ds_store_b64 v72, v[66:67] offset:240
	v_mov_b32_e32 v76, 7
.LBB60_165:
	s_or_b32 exec_lo, exec_lo, s0
	s_delay_alu instid0(SALU_CYCLE_1)
	s_mov_b32 s0, exec_lo
	s_wait_storecnt_dscnt 0x0
	s_barrier_signal -1
	s_barrier_wait -1
	v_cmpx_lt_i32_e32 7, v76
	s_cbranch_execz .LBB60_167
; %bb.166:
	v_pk_mul_f32 v[78:79], v[70:71], v[6:7] op_sel:[1,1] op_sel_hi:[0,1]
	s_delay_alu instid0(VALU_DEP_1)
	v_pk_fma_f32 v[68:69], v[70:71], v[6:7], v[78:79] op_sel_hi:[1,0,1] neg_lo:[0,0,1] neg_hi:[0,0,1]
	v_pk_fma_f32 v[70:71], v[70:71], v[6:7], v[78:79] op_sel_hi:[1,0,1]
	ds_load_2addr_b64 v[78:81], v72 offset0:8 offset1:9
	v_dual_mov_b32 v6, v68 :: v_dual_mov_b32 v7, v71
	s_wait_dscnt 0x0
	v_pk_mul_f32 v[82:83], v[78:79], v[70:71] op_sel:[0,1]
	s_delay_alu instid0(VALU_DEP_1) | instskip(SKIP_1) | instid1(VALU_DEP_1)
	v_pk_fma_f32 v[84:85], v[78:79], v[68:69], v[82:83] op_sel:[0,0,1] op_sel_hi:[1,1,0] neg_lo:[0,0,1] neg_hi:[0,0,1]
	v_pk_fma_f32 v[78:79], v[78:79], v[68:69], v[82:83] op_sel:[0,0,1] op_sel_hi:[1,0,0]
	v_mov_b32_e32 v85, v79
	v_pk_mul_f32 v[78:79], v[80:81], v[70:71] op_sel:[0,1]
	s_delay_alu instid0(VALU_DEP_1) | instskip(SKIP_1) | instid1(VALU_DEP_1)
	v_pk_fma_f32 v[82:83], v[80:81], v[68:69], v[78:79] op_sel:[0,0,1] op_sel_hi:[1,1,0] neg_lo:[0,0,1] neg_hi:[0,0,1]
	v_pk_fma_f32 v[78:79], v[80:81], v[68:69], v[78:79] op_sel:[0,0,1] op_sel_hi:[1,0,0]
	v_mov_b32_e32 v83, v79
	ds_load_2addr_b64 v[78:81], v72 offset0:10 offset1:11
	v_pk_add_f32 v[44:45], v[44:45], v[84:85] neg_lo:[0,1] neg_hi:[0,1]
	v_pk_add_f32 v[42:43], v[42:43], v[82:83] neg_lo:[0,1] neg_hi:[0,1]
	s_wait_dscnt 0x0
	v_pk_mul_f32 v[82:83], v[78:79], v[70:71] op_sel:[0,1]
	s_delay_alu instid0(VALU_DEP_1) | instskip(SKIP_2) | instid1(VALU_DEP_2)
	v_pk_fma_f32 v[84:85], v[78:79], v[68:69], v[82:83] op_sel:[0,0,1] op_sel_hi:[1,1,0] neg_lo:[0,0,1] neg_hi:[0,0,1]
	v_pk_fma_f32 v[78:79], v[78:79], v[68:69], v[82:83] op_sel:[0,0,1] op_sel_hi:[1,0,0]
	v_dual_mul_f32 v82, v81, v71 :: v_dual_mov_b32 v78, v81
	v_dual_mov_b32 v85, v79 :: v_dual_mov_b32 v79, v80
	s_delay_alu instid0(VALU_DEP_2) | instskip(SKIP_1) | instid1(VALU_DEP_3)
	v_pk_fma_f32 v[82:83], v[80:81], v[6:7], v[82:83] op_sel_hi:[1,1,0] neg_lo:[0,0,1] neg_hi:[0,0,1]
	v_mul_f32_e32 v80, v81, v68
	v_pk_add_f32 v[12:13], v[12:13], v[84:85] neg_lo:[0,1] neg_hi:[0,1]
	s_delay_alu instid0(VALU_DEP_2) | instskip(NEXT) | instid1(VALU_DEP_1)
	v_pk_fma_f32 v[78:79], v[78:79], v[6:7], v[80:81] op_sel_hi:[1,1,0]
	v_mov_b32_e32 v83, v79
	ds_load_2addr_b64 v[78:81], v72 offset0:12 offset1:13
	v_pk_add_f32 v[10:11], v[10:11], v[82:83] neg_lo:[0,1] neg_hi:[0,1]
	s_wait_dscnt 0x0
	v_pk_mul_f32 v[82:83], v[78:79], v[70:71] op_sel:[0,1]
	s_delay_alu instid0(VALU_DEP_1) | instskip(SKIP_1) | instid1(VALU_DEP_1)
	v_pk_fma_f32 v[84:85], v[78:79], v[68:69], v[82:83] op_sel:[0,0,1] op_sel_hi:[1,1,0] neg_lo:[0,0,1] neg_hi:[0,0,1]
	v_pk_fma_f32 v[78:79], v[78:79], v[68:69], v[82:83] op_sel:[0,0,1] op_sel_hi:[1,0,0]
	v_mov_b32_e32 v85, v79
	v_pk_mul_f32 v[78:79], v[80:81], v[70:71] op_sel:[0,1]
	s_delay_alu instid0(VALU_DEP_1) | instskip(SKIP_1) | instid1(VALU_DEP_1)
	v_pk_fma_f32 v[82:83], v[80:81], v[68:69], v[78:79] op_sel:[0,0,1] op_sel_hi:[1,1,0] neg_lo:[0,0,1] neg_hi:[0,0,1]
	v_pk_fma_f32 v[78:79], v[80:81], v[68:69], v[78:79] op_sel:[0,0,1] op_sel_hi:[1,0,0]
	v_mov_b32_e32 v83, v79
	ds_load_2addr_b64 v[78:81], v72 offset0:14 offset1:15
	v_pk_add_f32 v[48:49], v[48:49], v[84:85] neg_lo:[0,1] neg_hi:[0,1]
	v_pk_add_f32 v[46:47], v[46:47], v[82:83] neg_lo:[0,1] neg_hi:[0,1]
	s_wait_dscnt 0x0
	v_pk_mul_f32 v[82:83], v[78:79], v[70:71] op_sel:[0,1]
	s_delay_alu instid0(VALU_DEP_1) | instskip(SKIP_1) | instid1(VALU_DEP_1)
	v_pk_fma_f32 v[84:85], v[78:79], v[68:69], v[82:83] op_sel:[0,0,1] op_sel_hi:[1,1,0] neg_lo:[0,0,1] neg_hi:[0,0,1]
	v_pk_fma_f32 v[78:79], v[78:79], v[68:69], v[82:83] op_sel:[0,0,1] op_sel_hi:[1,0,0]
	v_mov_b32_e32 v85, v79
	v_pk_mul_f32 v[78:79], v[80:81], v[70:71] op_sel:[0,1]
	s_delay_alu instid0(VALU_DEP_1) | instskip(SKIP_1) | instid1(VALU_DEP_1)
	v_pk_fma_f32 v[82:83], v[80:81], v[68:69], v[78:79] op_sel:[0,0,1] op_sel_hi:[1,1,0] neg_lo:[0,0,1] neg_hi:[0,0,1]
	v_pk_fma_f32 v[78:79], v[80:81], v[68:69], v[78:79] op_sel:[0,0,1] op_sel_hi:[1,0,0]
	v_mov_b32_e32 v83, v79
	ds_load_2addr_b64 v[78:81], v72 offset0:16 offset1:17
	v_pk_add_f32 v[16:17], v[16:17], v[84:85] neg_lo:[0,1] neg_hi:[0,1]
	v_pk_add_f32 v[14:15], v[14:15], v[82:83] neg_lo:[0,1] neg_hi:[0,1]
	s_wait_dscnt 0x0
	v_dual_mul_f32 v82, v79, v71 :: v_dual_mul_f32 v84, v79, v68
	s_delay_alu instid0(VALU_DEP_1) | instskip(NEXT) | instid1(VALU_DEP_2)
	v_pk_fma_f32 v[82:83], v[78:79], v[6:7], v[82:83] op_sel_hi:[1,1,0] neg_lo:[0,0,1] neg_hi:[0,0,1]
	v_pk_fma_f32 v[78:79], v[78:79], v[6:7], v[84:85] op_sel:[1,0,0] op_sel_hi:[0,1,0]
	s_delay_alu instid0(VALU_DEP_1) | instskip(SKIP_1) | instid1(VALU_DEP_2)
	v_mov_b32_e32 v83, v79
	v_pk_mul_f32 v[78:79], v[80:81], v[70:71] op_sel:[0,1]
	v_pk_add_f32 v[56:57], v[56:57], v[82:83] neg_lo:[0,1] neg_hi:[0,1]
	s_delay_alu instid0(VALU_DEP_2) | instskip(SKIP_1) | instid1(VALU_DEP_1)
	v_pk_fma_f32 v[82:83], v[80:81], v[68:69], v[78:79] op_sel:[0,0,1] op_sel_hi:[1,1,0] neg_lo:[0,0,1] neg_hi:[0,0,1]
	v_pk_fma_f32 v[78:79], v[80:81], v[68:69], v[78:79] op_sel:[0,0,1] op_sel_hi:[1,0,0]
	v_mov_b32_e32 v83, v79
	ds_load_2addr_b64 v[78:81], v72 offset0:18 offset1:19
	v_pk_add_f32 v[54:55], v[54:55], v[82:83] neg_lo:[0,1] neg_hi:[0,1]
	s_wait_dscnt 0x0
	v_pk_mul_f32 v[82:83], v[78:79], v[70:71] op_sel:[0,1]
	s_delay_alu instid0(VALU_DEP_1) | instskip(SKIP_1) | instid1(VALU_DEP_1)
	v_pk_fma_f32 v[84:85], v[78:79], v[68:69], v[82:83] op_sel:[0,0,1] op_sel_hi:[1,1,0] neg_lo:[0,0,1] neg_hi:[0,0,1]
	v_pk_fma_f32 v[78:79], v[78:79], v[68:69], v[82:83] op_sel:[0,0,1] op_sel_hi:[1,0,0]
	v_mov_b32_e32 v85, v79
	v_pk_mul_f32 v[78:79], v[80:81], v[70:71] op_sel:[0,1]
	s_delay_alu instid0(VALU_DEP_2) | instskip(NEXT) | instid1(VALU_DEP_2)
	v_pk_add_f32 v[28:29], v[28:29], v[84:85] neg_lo:[0,1] neg_hi:[0,1]
	v_pk_fma_f32 v[82:83], v[80:81], v[68:69], v[78:79] op_sel:[0,0,1] op_sel_hi:[1,1,0] neg_lo:[0,0,1] neg_hi:[0,0,1]
	v_pk_fma_f32 v[78:79], v[80:81], v[68:69], v[78:79] op_sel:[0,0,1] op_sel_hi:[1,0,0]
	s_delay_alu instid0(VALU_DEP_1) | instskip(SKIP_4) | instid1(VALU_DEP_1)
	v_mov_b32_e32 v83, v79
	ds_load_2addr_b64 v[78:81], v72 offset0:20 offset1:21
	v_pk_add_f32 v[26:27], v[26:27], v[82:83] neg_lo:[0,1] neg_hi:[0,1]
	s_wait_dscnt 0x0
	v_pk_mul_f32 v[82:83], v[78:79], v[70:71] op_sel:[0,1]
	v_pk_fma_f32 v[84:85], v[78:79], v[68:69], v[82:83] op_sel:[0,0,1] op_sel_hi:[1,1,0] neg_lo:[0,0,1] neg_hi:[0,0,1]
	v_pk_fma_f32 v[78:79], v[78:79], v[68:69], v[82:83] op_sel:[0,0,1] op_sel_hi:[1,0,0]
	v_dual_mul_f32 v82, v81, v71 :: v_dual_mov_b32 v78, v81
	s_delay_alu instid0(VALU_DEP_2) | instskip(NEXT) | instid1(VALU_DEP_2)
	v_dual_mov_b32 v85, v79 :: v_dual_mov_b32 v79, v80
	v_pk_fma_f32 v[82:83], v[80:81], v[6:7], v[82:83] op_sel_hi:[1,1,0] neg_lo:[0,0,1] neg_hi:[0,0,1]
	v_mul_f32_e32 v80, v81, v68
	s_delay_alu instid0(VALU_DEP_3) | instskip(NEXT) | instid1(VALU_DEP_2)
	v_pk_add_f32 v[52:53], v[52:53], v[84:85] neg_lo:[0,1] neg_hi:[0,1]
	v_pk_fma_f32 v[78:79], v[78:79], v[6:7], v[80:81] op_sel_hi:[1,1,0]
	s_delay_alu instid0(VALU_DEP_1) | instskip(SKIP_4) | instid1(VALU_DEP_1)
	v_mov_b32_e32 v83, v79
	ds_load_2addr_b64 v[78:81], v72 offset0:22 offset1:23
	v_pk_add_f32 v[50:51], v[50:51], v[82:83] neg_lo:[0,1] neg_hi:[0,1]
	s_wait_dscnt 0x0
	v_pk_mul_f32 v[82:83], v[78:79], v[70:71] op_sel:[0,1]
	v_pk_fma_f32 v[84:85], v[78:79], v[68:69], v[82:83] op_sel:[0,0,1] op_sel_hi:[1,1,0] neg_lo:[0,0,1] neg_hi:[0,0,1]
	v_pk_fma_f32 v[78:79], v[78:79], v[68:69], v[82:83] op_sel:[0,0,1] op_sel_hi:[1,0,0]
	s_delay_alu instid0(VALU_DEP_1) | instskip(SKIP_1) | instid1(VALU_DEP_1)
	v_mov_b32_e32 v85, v79
	v_pk_mul_f32 v[78:79], v[80:81], v[70:71] op_sel:[0,1]
	v_pk_fma_f32 v[82:83], v[80:81], v[68:69], v[78:79] op_sel:[0,0,1] op_sel_hi:[1,1,0] neg_lo:[0,0,1] neg_hi:[0,0,1]
	v_pk_fma_f32 v[78:79], v[80:81], v[68:69], v[78:79] op_sel:[0,0,1] op_sel_hi:[1,0,0]
	s_delay_alu instid0(VALU_DEP_1)
	v_mov_b32_e32 v83, v79
	ds_load_2addr_b64 v[78:81], v72 offset0:24 offset1:25
	v_pk_add_f32 v[22:23], v[22:23], v[84:85] neg_lo:[0,1] neg_hi:[0,1]
	v_pk_add_f32 v[18:19], v[18:19], v[82:83] neg_lo:[0,1] neg_hi:[0,1]
	s_wait_dscnt 0x0
	v_pk_mul_f32 v[82:83], v[78:79], v[70:71] op_sel:[0,1]
	s_delay_alu instid0(VALU_DEP_1) | instskip(SKIP_1) | instid1(VALU_DEP_1)
	v_pk_fma_f32 v[84:85], v[78:79], v[68:69], v[82:83] op_sel:[0,0,1] op_sel_hi:[1,1,0] neg_lo:[0,0,1] neg_hi:[0,0,1]
	v_pk_fma_f32 v[78:79], v[78:79], v[68:69], v[82:83] op_sel:[0,0,1] op_sel_hi:[1,0,0]
	v_mov_b32_e32 v85, v79
	v_pk_mul_f32 v[78:79], v[80:81], v[70:71] op_sel:[0,1]
	s_delay_alu instid0(VALU_DEP_1) | instskip(SKIP_1) | instid1(VALU_DEP_1)
	v_pk_fma_f32 v[82:83], v[80:81], v[68:69], v[78:79] op_sel:[0,0,1] op_sel_hi:[1,1,0] neg_lo:[0,0,1] neg_hi:[0,0,1]
	v_pk_fma_f32 v[78:79], v[80:81], v[68:69], v[78:79] op_sel:[0,0,1] op_sel_hi:[1,0,0]
	v_mov_b32_e32 v83, v79
	ds_load_2addr_b64 v[78:81], v72 offset0:26 offset1:27
	v_pk_add_f32 v[36:37], v[36:37], v[84:85] neg_lo:[0,1] neg_hi:[0,1]
	v_pk_add_f32 v[34:35], v[34:35], v[82:83] neg_lo:[0,1] neg_hi:[0,1]
	s_wait_dscnt 0x0
	v_dual_mul_f32 v82, v79, v71 :: v_dual_mul_f32 v84, v79, v68
	s_delay_alu instid0(VALU_DEP_1) | instskip(NEXT) | instid1(VALU_DEP_2)
	v_pk_fma_f32 v[82:83], v[78:79], v[6:7], v[82:83] op_sel_hi:[1,1,0] neg_lo:[0,0,1] neg_hi:[0,0,1]
	v_pk_fma_f32 v[78:79], v[78:79], v[6:7], v[84:85] op_sel:[1,0,0] op_sel_hi:[0,1,0]
	s_delay_alu instid0(VALU_DEP_1) | instskip(SKIP_1) | instid1(VALU_DEP_2)
	v_mov_b32_e32 v83, v79
	v_pk_mul_f32 v[78:79], v[80:81], v[70:71] op_sel:[0,1]
	v_pk_add_f32 v[20:21], v[20:21], v[82:83] neg_lo:[0,1] neg_hi:[0,1]
	s_delay_alu instid0(VALU_DEP_2) | instskip(SKIP_1) | instid1(VALU_DEP_1)
	v_pk_fma_f32 v[82:83], v[80:81], v[68:69], v[78:79] op_sel:[0,0,1] op_sel_hi:[1,1,0] neg_lo:[0,0,1] neg_hi:[0,0,1]
	v_pk_fma_f32 v[78:79], v[80:81], v[68:69], v[78:79] op_sel:[0,0,1] op_sel_hi:[1,0,0]
	v_mov_b32_e32 v83, v79
	ds_load_2addr_b64 v[78:81], v72 offset0:28 offset1:29
	v_pk_add_f32 v[32:33], v[32:33], v[82:83] neg_lo:[0,1] neg_hi:[0,1]
	s_wait_dscnt 0x0
	v_pk_mul_f32 v[82:83], v[78:79], v[70:71] op_sel:[0,1]
	s_delay_alu instid0(VALU_DEP_1) | instskip(SKIP_1) | instid1(VALU_DEP_1)
	v_pk_fma_f32 v[84:85], v[78:79], v[68:69], v[82:83] op_sel:[0,0,1] op_sel_hi:[1,1,0] neg_lo:[0,0,1] neg_hi:[0,0,1]
	v_pk_fma_f32 v[78:79], v[78:79], v[68:69], v[82:83] op_sel:[0,0,1] op_sel_hi:[1,0,0]
	v_mov_b32_e32 v85, v79
	v_pk_mul_f32 v[78:79], v[80:81], v[70:71] op_sel:[0,1]
	s_delay_alu instid0(VALU_DEP_2) | instskip(NEXT) | instid1(VALU_DEP_2)
	v_pk_add_f32 v[30:31], v[30:31], v[84:85] neg_lo:[0,1] neg_hi:[0,1]
	v_pk_fma_f32 v[82:83], v[80:81], v[68:69], v[78:79] op_sel:[0,0,1] op_sel_hi:[1,1,0] neg_lo:[0,0,1] neg_hi:[0,0,1]
	v_pk_fma_f32 v[78:79], v[80:81], v[68:69], v[78:79] op_sel:[0,0,1] op_sel_hi:[1,0,0]
	s_delay_alu instid0(VALU_DEP_1) | instskip(SKIP_4) | instid1(VALU_DEP_1)
	v_mov_b32_e32 v83, v79
	ds_load_b64 v[78:79], v72 offset:240
	v_pk_add_f32 v[24:25], v[24:25], v[82:83] neg_lo:[0,1] neg_hi:[0,1]
	s_wait_dscnt 0x0
	v_pk_mul_f32 v[70:71], v[78:79], v[70:71] op_sel:[0,1]
	v_pk_fma_f32 v[80:81], v[78:79], v[68:69], v[70:71] op_sel:[0,0,1] op_sel_hi:[1,1,0] neg_lo:[0,0,1] neg_hi:[0,0,1]
	v_pk_fma_f32 v[68:69], v[78:79], v[68:69], v[70:71] op_sel:[0,0,1] op_sel_hi:[1,0,0]
	s_delay_alu instid0(VALU_DEP_1) | instskip(NEXT) | instid1(VALU_DEP_1)
	v_mov_b32_e32 v81, v69
	v_pk_add_f32 v[66:67], v[66:67], v[80:81] neg_lo:[0,1] neg_hi:[0,1]
.LBB60_167:
	s_or_b32 exec_lo, exec_lo, s0
	v_lshl_add_u32 v68, v76, 3, v72
	s_barrier_signal -1
	s_barrier_wait -1
	ds_store_b64 v68, v[44:45]
	s_wait_dscnt 0x0
	s_barrier_signal -1
	s_barrier_wait -1
	ds_load_b64 v[70:71], v72 offset:64
	v_mov_b32_e32 v68, 8
	s_cmp_lt_i32 s18, 10
	s_cbranch_scc1 .LBB60_170
; %bb.168:
	v_add3_u32 v69, v73, 0, 0x48
	v_mov_b32_e32 v68, 8
	s_mov_b32 s0, 9
.LBB60_169:                             ; =>This Inner Loop Header: Depth=1
	ds_load_b64 v[78:79], v69
	s_wait_dscnt 0x1
	v_cmp_gt_f32_e32 vcc_lo, 0, v70
	v_cndmask_b32_e64 v80, v70, -v70, vcc_lo
	v_cmp_gt_f32_e32 vcc_lo, 0, v71
	v_cndmask_b32_e64 v82, v71, -v71, vcc_lo
	s_wait_dscnt 0x0
	v_cmp_gt_f32_e32 vcc_lo, 0, v78
	v_cndmask_b32_e64 v81, v78, -v78, vcc_lo
	v_cmp_gt_f32_e32 vcc_lo, 0, v79
	v_cndmask_b32_e64 v83, v79, -v79, vcc_lo
	s_delay_alu instid0(VALU_DEP_1) | instskip(NEXT) | instid1(VALU_DEP_1)
	v_pk_add_f32 v[80:81], v[80:81], v[82:83]
	v_cmp_lt_f32_e32 vcc_lo, v80, v81
	v_dual_add_nc_u32 v69, 8, v69 :: v_dual_cndmask_b32 v71, v71, v79, vcc_lo
	v_cndmask_b32_e32 v70, v70, v78, vcc_lo
	v_cndmask_b32_e64 v68, v68, s0, vcc_lo
	s_add_co_i32 s0, s0, 1
	s_delay_alu instid0(SALU_CYCLE_1)
	s_cmp_lg_u32 s18, s0
	s_cbranch_scc1 .LBB60_169
.LBB60_170:
	s_wait_dscnt 0x0
	v_cmp_eq_f32_e32 vcc_lo, 0, v70
	v_cmp_eq_f32_e64 s0, 0, v71
	s_and_b32 s0, vcc_lo, s0
	s_delay_alu instid0(SALU_CYCLE_1) | instskip(NEXT) | instid1(SALU_CYCLE_1)
	s_and_saveexec_b32 s1, s0
	s_xor_b32 s0, exec_lo, s1
; %bb.171:
	v_cmp_ne_u32_e32 vcc_lo, 0, v74
	v_cndmask_b32_e32 v74, 9, v74, vcc_lo
; %bb.172:
	s_and_not1_saveexec_b32 s0, s0
	s_cbranch_execz .LBB60_178
; %bb.173:
	v_cmp_ngt_f32_e64 s1, |v70|, |v71|
	s_and_saveexec_b32 s12, s1
	s_delay_alu instid0(SALU_CYCLE_1)
	s_xor_b32 s1, exec_lo, s12
	s_cbranch_execz .LBB60_175
; %bb.174:
	v_div_scale_f32 v69, null, v71, v71, v70
	v_div_scale_f32 v79, vcc_lo, v70, v71, v70
	s_delay_alu instid0(VALU_DEP_2) | instskip(SKIP_1) | instid1(TRANS32_DEP_1)
	v_rcp_f32_e32 v77, v69
	v_nop
	v_fma_f32 v78, -v69, v77, 1.0
	s_delay_alu instid0(VALU_DEP_1) | instskip(NEXT) | instid1(VALU_DEP_1)
	v_fmac_f32_e32 v77, v78, v77
	v_mul_f32_e32 v78, v79, v77
	s_delay_alu instid0(VALU_DEP_1) | instskip(NEXT) | instid1(VALU_DEP_1)
	v_fma_f32 v80, -v69, v78, v79
	v_fmac_f32_e32 v78, v80, v77
	s_delay_alu instid0(VALU_DEP_1) | instskip(NEXT) | instid1(VALU_DEP_1)
	v_fma_f32 v69, -v69, v78, v79
	v_div_fmas_f32 v69, v69, v77, v78
	s_delay_alu instid0(VALU_DEP_1) | instskip(NEXT) | instid1(VALU_DEP_1)
	v_div_fixup_f32 v69, v69, v71, v70
	v_fmac_f32_e32 v71, v70, v69
	s_delay_alu instid0(VALU_DEP_1) | instskip(SKIP_1) | instid1(VALU_DEP_2)
	v_div_scale_f32 v70, null, v71, v71, 1.0
	v_div_scale_f32 v79, vcc_lo, 1.0, v71, 1.0
	v_rcp_f32_e32 v77, v70
	v_nop
	s_delay_alu instid0(TRANS32_DEP_1) | instskip(NEXT) | instid1(VALU_DEP_1)
	v_fma_f32 v78, -v70, v77, 1.0
	v_fmac_f32_e32 v77, v78, v77
	s_delay_alu instid0(VALU_DEP_1) | instskip(NEXT) | instid1(VALU_DEP_1)
	v_mul_f32_e32 v78, v79, v77
	v_fma_f32 v80, -v70, v78, v79
	s_delay_alu instid0(VALU_DEP_1) | instskip(NEXT) | instid1(VALU_DEP_1)
	v_fmac_f32_e32 v78, v80, v77
	v_fma_f32 v70, -v70, v78, v79
	s_delay_alu instid0(VALU_DEP_1) | instskip(NEXT) | instid1(VALU_DEP_1)
	v_div_fmas_f32 v70, v70, v77, v78
	v_div_fixup_f32 v71, v70, v71, 1.0
	s_delay_alu instid0(VALU_DEP_1)
	v_mul_f32_e32 v70, v69, v71
	v_xor_b32_e32 v71, 0x80000000, v71
.LBB60_175:
	s_and_not1_saveexec_b32 s1, s1
	s_cbranch_execz .LBB60_177
; %bb.176:
	s_delay_alu instid0(VALU_DEP_1) | instskip(SKIP_1) | instid1(VALU_DEP_2)
	v_div_scale_f32 v69, null, v70, v70, v71
	v_div_scale_f32 v79, vcc_lo, v71, v70, v71
	v_rcp_f32_e32 v77, v69
	v_nop
	s_delay_alu instid0(TRANS32_DEP_1) | instskip(NEXT) | instid1(VALU_DEP_1)
	v_fma_f32 v78, -v69, v77, 1.0
	v_fmac_f32_e32 v77, v78, v77
	s_delay_alu instid0(VALU_DEP_1) | instskip(NEXT) | instid1(VALU_DEP_1)
	v_mul_f32_e32 v78, v79, v77
	v_fma_f32 v80, -v69, v78, v79
	s_delay_alu instid0(VALU_DEP_1) | instskip(NEXT) | instid1(VALU_DEP_1)
	v_fmac_f32_e32 v78, v80, v77
	v_fma_f32 v69, -v69, v78, v79
	s_delay_alu instid0(VALU_DEP_1) | instskip(NEXT) | instid1(VALU_DEP_1)
	v_div_fmas_f32 v69, v69, v77, v78
	v_div_fixup_f32 v69, v69, v70, v71
	s_delay_alu instid0(VALU_DEP_1) | instskip(NEXT) | instid1(VALU_DEP_1)
	v_fmac_f32_e32 v70, v71, v69
	v_div_scale_f32 v71, null, v70, v70, 1.0
	s_delay_alu instid0(VALU_DEP_1) | instskip(SKIP_1) | instid1(TRANS32_DEP_1)
	v_rcp_f32_e32 v77, v71
	v_nop
	v_fma_f32 v78, -v71, v77, 1.0
	s_delay_alu instid0(VALU_DEP_1) | instskip(SKIP_1) | instid1(VALU_DEP_1)
	v_fmac_f32_e32 v77, v78, v77
	v_div_scale_f32 v78, vcc_lo, 1.0, v70, 1.0
	v_mul_f32_e32 v79, v78, v77
	s_delay_alu instid0(VALU_DEP_1) | instskip(NEXT) | instid1(VALU_DEP_1)
	v_fma_f32 v80, -v71, v79, v78
	v_fmac_f32_e32 v79, v80, v77
	s_delay_alu instid0(VALU_DEP_1) | instskip(NEXT) | instid1(VALU_DEP_1)
	v_fma_f32 v71, -v71, v79, v78
	v_div_fmas_f32 v71, v71, v77, v79
	s_delay_alu instid0(VALU_DEP_1) | instskip(NEXT) | instid1(VALU_DEP_1)
	v_div_fixup_f32 v70, v71, v70, 1.0
	v_mul_f32_e64 v71, v69, -v70
.LBB60_177:
	s_or_b32 exec_lo, exec_lo, s1
.LBB60_178:
	s_delay_alu instid0(SALU_CYCLE_1) | instskip(NEXT) | instid1(SALU_CYCLE_1)
	s_or_b32 exec_lo, exec_lo, s0
	s_mov_b32 s0, exec_lo
	v_cmpx_ne_u32_e64 v76, v68
	s_xor_b32 s0, exec_lo, s0
	s_cbranch_execz .LBB60_184
; %bb.179:
	s_mov_b32 s1, exec_lo
	v_cmpx_eq_u32_e32 8, v76
	s_cbranch_execz .LBB60_183
; %bb.180:
	v_cmp_ne_u32_e32 vcc_lo, 8, v68
	s_xor_b32 s12, s16, -1
	s_delay_alu instid0(SALU_CYCLE_1) | instskip(NEXT) | instid1(SALU_CYCLE_1)
	s_and_b32 s13, s12, vcc_lo
	s_and_saveexec_b32 s12, s13
	s_cbranch_execz .LBB60_182
; %bb.181:
	v_ashrrev_i32_e32 v69, 31, v68
	s_delay_alu instid0(VALU_DEP_1)
	v_lshl_add_u64 v[76:77], v[68:69], 2, v[4:5]
	s_clause 0x1
	global_load_b32 v69, v[76:77], off
	global_load_b32 v75, v[4:5], off offset:32
	s_wait_loadcnt 0x1
	global_store_b32 v[4:5], v69, off offset:32
	s_wait_loadcnt 0x0
	global_store_b32 v[76:77], v75, off
.LBB60_182:
	s_wait_xcnt 0x0
	s_or_b32 exec_lo, exec_lo, s12
	v_dual_mov_b32 v76, v68 :: v_dual_mov_b32 v75, v68
.LBB60_183:
	s_or_b32 exec_lo, exec_lo, s1
.LBB60_184:
	s_and_not1_saveexec_b32 s0, s0
	s_cbranch_execz .LBB60_186
; %bb.185:
	v_mov_b32_e32 v76, 8
	ds_store_2addr_b64 v72, v[42:43], v[12:13] offset0:9 offset1:10
	ds_store_2addr_b64 v72, v[10:11], v[48:49] offset0:11 offset1:12
	;; [unrolled: 1-line block ×11, first 2 shown]
.LBB60_186:
	s_or_b32 exec_lo, exec_lo, s0
	s_delay_alu instid0(SALU_CYCLE_1)
	s_mov_b32 s0, exec_lo
	s_wait_storecnt_dscnt 0x0
	s_barrier_signal -1
	s_barrier_wait -1
	v_cmpx_lt_i32_e32 8, v76
	s_cbranch_execz .LBB60_188
; %bb.187:
	v_pk_mul_f32 v[78:79], v[70:71], v[44:45] op_sel:[1,1] op_sel_hi:[0,1]
	s_delay_alu instid0(VALU_DEP_1)
	v_pk_fma_f32 v[68:69], v[70:71], v[44:45], v[78:79] op_sel_hi:[1,0,1] neg_lo:[0,0,1] neg_hi:[0,0,1]
	v_pk_fma_f32 v[70:71], v[70:71], v[44:45], v[78:79] op_sel_hi:[1,0,1]
	ds_load_2addr_b64 v[78:81], v72 offset0:9 offset1:10
	v_dual_mov_b32 v44, v68 :: v_dual_mov_b32 v45, v71
	s_wait_dscnt 0x0
	v_pk_mul_f32 v[82:83], v[78:79], v[70:71] op_sel:[0,1]
	s_delay_alu instid0(VALU_DEP_1) | instskip(SKIP_1) | instid1(VALU_DEP_1)
	v_pk_fma_f32 v[84:85], v[78:79], v[68:69], v[82:83] op_sel:[0,0,1] op_sel_hi:[1,1,0] neg_lo:[0,0,1] neg_hi:[0,0,1]
	v_pk_fma_f32 v[78:79], v[78:79], v[68:69], v[82:83] op_sel:[0,0,1] op_sel_hi:[1,0,0]
	v_mov_b32_e32 v85, v79
	v_pk_mul_f32 v[78:79], v[80:81], v[70:71] op_sel:[0,1]
	s_delay_alu instid0(VALU_DEP_1) | instskip(SKIP_1) | instid1(VALU_DEP_1)
	v_pk_fma_f32 v[82:83], v[80:81], v[68:69], v[78:79] op_sel:[0,0,1] op_sel_hi:[1,1,0] neg_lo:[0,0,1] neg_hi:[0,0,1]
	v_pk_fma_f32 v[78:79], v[80:81], v[68:69], v[78:79] op_sel:[0,0,1] op_sel_hi:[1,0,0]
	v_mov_b32_e32 v83, v79
	ds_load_2addr_b64 v[78:81], v72 offset0:11 offset1:12
	v_pk_add_f32 v[42:43], v[42:43], v[84:85] neg_lo:[0,1] neg_hi:[0,1]
	v_pk_add_f32 v[12:13], v[12:13], v[82:83] neg_lo:[0,1] neg_hi:[0,1]
	s_wait_dscnt 0x0
	v_pk_mul_f32 v[82:83], v[78:79], v[70:71] op_sel:[0,1]
	s_delay_alu instid0(VALU_DEP_1) | instskip(SKIP_2) | instid1(VALU_DEP_2)
	v_pk_fma_f32 v[84:85], v[78:79], v[68:69], v[82:83] op_sel:[0,0,1] op_sel_hi:[1,1,0] neg_lo:[0,0,1] neg_hi:[0,0,1]
	v_pk_fma_f32 v[78:79], v[78:79], v[68:69], v[82:83] op_sel:[0,0,1] op_sel_hi:[1,0,0]
	v_dual_mul_f32 v82, v81, v71 :: v_dual_mov_b32 v78, v81
	v_dual_mov_b32 v85, v79 :: v_dual_mov_b32 v79, v80
	s_delay_alu instid0(VALU_DEP_2) | instskip(SKIP_1) | instid1(VALU_DEP_3)
	v_pk_fma_f32 v[82:83], v[80:81], v[44:45], v[82:83] op_sel_hi:[1,1,0] neg_lo:[0,0,1] neg_hi:[0,0,1]
	v_mul_f32_e32 v80, v81, v68
	v_pk_add_f32 v[10:11], v[10:11], v[84:85] neg_lo:[0,1] neg_hi:[0,1]
	s_delay_alu instid0(VALU_DEP_2) | instskip(NEXT) | instid1(VALU_DEP_1)
	v_pk_fma_f32 v[78:79], v[78:79], v[44:45], v[80:81] op_sel_hi:[1,1,0]
	v_mov_b32_e32 v83, v79
	ds_load_2addr_b64 v[78:81], v72 offset0:13 offset1:14
	v_pk_add_f32 v[48:49], v[48:49], v[82:83] neg_lo:[0,1] neg_hi:[0,1]
	s_wait_dscnt 0x0
	v_pk_mul_f32 v[82:83], v[78:79], v[70:71] op_sel:[0,1]
	s_delay_alu instid0(VALU_DEP_1) | instskip(SKIP_1) | instid1(VALU_DEP_1)
	v_pk_fma_f32 v[84:85], v[78:79], v[68:69], v[82:83] op_sel:[0,0,1] op_sel_hi:[1,1,0] neg_lo:[0,0,1] neg_hi:[0,0,1]
	v_pk_fma_f32 v[78:79], v[78:79], v[68:69], v[82:83] op_sel:[0,0,1] op_sel_hi:[1,0,0]
	v_mov_b32_e32 v85, v79
	v_pk_mul_f32 v[78:79], v[80:81], v[70:71] op_sel:[0,1]
	s_delay_alu instid0(VALU_DEP_1) | instskip(SKIP_1) | instid1(VALU_DEP_1)
	v_pk_fma_f32 v[82:83], v[80:81], v[68:69], v[78:79] op_sel:[0,0,1] op_sel_hi:[1,1,0] neg_lo:[0,0,1] neg_hi:[0,0,1]
	v_pk_fma_f32 v[78:79], v[80:81], v[68:69], v[78:79] op_sel:[0,0,1] op_sel_hi:[1,0,0]
	v_mov_b32_e32 v83, v79
	ds_load_2addr_b64 v[78:81], v72 offset0:15 offset1:16
	v_pk_add_f32 v[46:47], v[46:47], v[84:85] neg_lo:[0,1] neg_hi:[0,1]
	v_pk_add_f32 v[16:17], v[16:17], v[82:83] neg_lo:[0,1] neg_hi:[0,1]
	s_wait_dscnt 0x0
	v_pk_mul_f32 v[82:83], v[78:79], v[70:71] op_sel:[0,1]
	s_delay_alu instid0(VALU_DEP_1) | instskip(SKIP_1) | instid1(VALU_DEP_1)
	v_pk_fma_f32 v[84:85], v[78:79], v[68:69], v[82:83] op_sel:[0,0,1] op_sel_hi:[1,1,0] neg_lo:[0,0,1] neg_hi:[0,0,1]
	v_pk_fma_f32 v[78:79], v[78:79], v[68:69], v[82:83] op_sel:[0,0,1] op_sel_hi:[1,0,0]
	v_mov_b32_e32 v85, v79
	v_pk_mul_f32 v[78:79], v[80:81], v[70:71] op_sel:[0,1]
	s_delay_alu instid0(VALU_DEP_1) | instskip(SKIP_1) | instid1(VALU_DEP_1)
	v_pk_fma_f32 v[82:83], v[80:81], v[68:69], v[78:79] op_sel:[0,0,1] op_sel_hi:[1,1,0] neg_lo:[0,0,1] neg_hi:[0,0,1]
	v_pk_fma_f32 v[78:79], v[80:81], v[68:69], v[78:79] op_sel:[0,0,1] op_sel_hi:[1,0,0]
	v_mov_b32_e32 v83, v79
	ds_load_2addr_b64 v[78:81], v72 offset0:17 offset1:18
	v_pk_add_f32 v[14:15], v[14:15], v[84:85] neg_lo:[0,1] neg_hi:[0,1]
	v_pk_add_f32 v[56:57], v[56:57], v[82:83] neg_lo:[0,1] neg_hi:[0,1]
	s_wait_dscnt 0x0
	v_dual_mul_f32 v82, v79, v71 :: v_dual_mul_f32 v84, v79, v68
	s_delay_alu instid0(VALU_DEP_1) | instskip(NEXT) | instid1(VALU_DEP_2)
	v_pk_fma_f32 v[82:83], v[78:79], v[44:45], v[82:83] op_sel_hi:[1,1,0] neg_lo:[0,0,1] neg_hi:[0,0,1]
	v_pk_fma_f32 v[78:79], v[78:79], v[44:45], v[84:85] op_sel:[1,0,0] op_sel_hi:[0,1,0]
	s_delay_alu instid0(VALU_DEP_1) | instskip(SKIP_1) | instid1(VALU_DEP_2)
	v_mov_b32_e32 v83, v79
	v_pk_mul_f32 v[78:79], v[80:81], v[70:71] op_sel:[0,1]
	v_pk_add_f32 v[54:55], v[54:55], v[82:83] neg_lo:[0,1] neg_hi:[0,1]
	s_delay_alu instid0(VALU_DEP_2) | instskip(SKIP_1) | instid1(VALU_DEP_1)
	v_pk_fma_f32 v[82:83], v[80:81], v[68:69], v[78:79] op_sel:[0,0,1] op_sel_hi:[1,1,0] neg_lo:[0,0,1] neg_hi:[0,0,1]
	v_pk_fma_f32 v[78:79], v[80:81], v[68:69], v[78:79] op_sel:[0,0,1] op_sel_hi:[1,0,0]
	v_mov_b32_e32 v83, v79
	ds_load_2addr_b64 v[78:81], v72 offset0:19 offset1:20
	v_pk_add_f32 v[28:29], v[28:29], v[82:83] neg_lo:[0,1] neg_hi:[0,1]
	s_wait_dscnt 0x0
	v_pk_mul_f32 v[82:83], v[78:79], v[70:71] op_sel:[0,1]
	s_delay_alu instid0(VALU_DEP_1) | instskip(SKIP_1) | instid1(VALU_DEP_1)
	v_pk_fma_f32 v[84:85], v[78:79], v[68:69], v[82:83] op_sel:[0,0,1] op_sel_hi:[1,1,0] neg_lo:[0,0,1] neg_hi:[0,0,1]
	v_pk_fma_f32 v[78:79], v[78:79], v[68:69], v[82:83] op_sel:[0,0,1] op_sel_hi:[1,0,0]
	v_mov_b32_e32 v85, v79
	v_pk_mul_f32 v[78:79], v[80:81], v[70:71] op_sel:[0,1]
	s_delay_alu instid0(VALU_DEP_2) | instskip(NEXT) | instid1(VALU_DEP_2)
	v_pk_add_f32 v[26:27], v[26:27], v[84:85] neg_lo:[0,1] neg_hi:[0,1]
	v_pk_fma_f32 v[82:83], v[80:81], v[68:69], v[78:79] op_sel:[0,0,1] op_sel_hi:[1,1,0] neg_lo:[0,0,1] neg_hi:[0,0,1]
	v_pk_fma_f32 v[78:79], v[80:81], v[68:69], v[78:79] op_sel:[0,0,1] op_sel_hi:[1,0,0]
	s_delay_alu instid0(VALU_DEP_1) | instskip(SKIP_4) | instid1(VALU_DEP_1)
	v_mov_b32_e32 v83, v79
	ds_load_2addr_b64 v[78:81], v72 offset0:21 offset1:22
	v_pk_add_f32 v[52:53], v[52:53], v[82:83] neg_lo:[0,1] neg_hi:[0,1]
	s_wait_dscnt 0x0
	v_pk_mul_f32 v[82:83], v[78:79], v[70:71] op_sel:[0,1]
	v_pk_fma_f32 v[84:85], v[78:79], v[68:69], v[82:83] op_sel:[0,0,1] op_sel_hi:[1,1,0] neg_lo:[0,0,1] neg_hi:[0,0,1]
	v_pk_fma_f32 v[78:79], v[78:79], v[68:69], v[82:83] op_sel:[0,0,1] op_sel_hi:[1,0,0]
	v_dual_mul_f32 v82, v81, v71 :: v_dual_mov_b32 v78, v81
	s_delay_alu instid0(VALU_DEP_2) | instskip(NEXT) | instid1(VALU_DEP_2)
	v_dual_mov_b32 v85, v79 :: v_dual_mov_b32 v79, v80
	v_pk_fma_f32 v[82:83], v[80:81], v[44:45], v[82:83] op_sel_hi:[1,1,0] neg_lo:[0,0,1] neg_hi:[0,0,1]
	v_mul_f32_e32 v80, v81, v68
	s_delay_alu instid0(VALU_DEP_3) | instskip(NEXT) | instid1(VALU_DEP_2)
	v_pk_add_f32 v[50:51], v[50:51], v[84:85] neg_lo:[0,1] neg_hi:[0,1]
	v_pk_fma_f32 v[78:79], v[78:79], v[44:45], v[80:81] op_sel_hi:[1,1,0]
	s_delay_alu instid0(VALU_DEP_1) | instskip(SKIP_4) | instid1(VALU_DEP_1)
	v_mov_b32_e32 v83, v79
	ds_load_2addr_b64 v[78:81], v72 offset0:23 offset1:24
	v_pk_add_f32 v[22:23], v[22:23], v[82:83] neg_lo:[0,1] neg_hi:[0,1]
	s_wait_dscnt 0x0
	v_pk_mul_f32 v[82:83], v[78:79], v[70:71] op_sel:[0,1]
	v_pk_fma_f32 v[84:85], v[78:79], v[68:69], v[82:83] op_sel:[0,0,1] op_sel_hi:[1,1,0] neg_lo:[0,0,1] neg_hi:[0,0,1]
	v_pk_fma_f32 v[78:79], v[78:79], v[68:69], v[82:83] op_sel:[0,0,1] op_sel_hi:[1,0,0]
	s_delay_alu instid0(VALU_DEP_1) | instskip(SKIP_1) | instid1(VALU_DEP_1)
	v_mov_b32_e32 v85, v79
	v_pk_mul_f32 v[78:79], v[80:81], v[70:71] op_sel:[0,1]
	v_pk_fma_f32 v[82:83], v[80:81], v[68:69], v[78:79] op_sel:[0,0,1] op_sel_hi:[1,1,0] neg_lo:[0,0,1] neg_hi:[0,0,1]
	v_pk_fma_f32 v[78:79], v[80:81], v[68:69], v[78:79] op_sel:[0,0,1] op_sel_hi:[1,0,0]
	s_delay_alu instid0(VALU_DEP_1)
	v_mov_b32_e32 v83, v79
	ds_load_2addr_b64 v[78:81], v72 offset0:25 offset1:26
	v_pk_add_f32 v[18:19], v[18:19], v[84:85] neg_lo:[0,1] neg_hi:[0,1]
	v_pk_add_f32 v[36:37], v[36:37], v[82:83] neg_lo:[0,1] neg_hi:[0,1]
	s_wait_dscnt 0x0
	v_pk_mul_f32 v[82:83], v[78:79], v[70:71] op_sel:[0,1]
	s_delay_alu instid0(VALU_DEP_1) | instskip(SKIP_1) | instid1(VALU_DEP_1)
	v_pk_fma_f32 v[84:85], v[78:79], v[68:69], v[82:83] op_sel:[0,0,1] op_sel_hi:[1,1,0] neg_lo:[0,0,1] neg_hi:[0,0,1]
	v_pk_fma_f32 v[78:79], v[78:79], v[68:69], v[82:83] op_sel:[0,0,1] op_sel_hi:[1,0,0]
	v_mov_b32_e32 v85, v79
	v_pk_mul_f32 v[78:79], v[80:81], v[70:71] op_sel:[0,1]
	s_delay_alu instid0(VALU_DEP_1) | instskip(SKIP_1) | instid1(VALU_DEP_1)
	v_pk_fma_f32 v[82:83], v[80:81], v[68:69], v[78:79] op_sel:[0,0,1] op_sel_hi:[1,1,0] neg_lo:[0,0,1] neg_hi:[0,0,1]
	v_pk_fma_f32 v[78:79], v[80:81], v[68:69], v[78:79] op_sel:[0,0,1] op_sel_hi:[1,0,0]
	v_mov_b32_e32 v83, v79
	ds_load_2addr_b64 v[78:81], v72 offset0:27 offset1:28
	v_pk_add_f32 v[34:35], v[34:35], v[84:85] neg_lo:[0,1] neg_hi:[0,1]
	v_pk_add_f32 v[20:21], v[20:21], v[82:83] neg_lo:[0,1] neg_hi:[0,1]
	s_wait_dscnt 0x0
	v_dual_mul_f32 v82, v79, v71 :: v_dual_mul_f32 v84, v79, v68
	s_delay_alu instid0(VALU_DEP_1) | instskip(NEXT) | instid1(VALU_DEP_2)
	v_pk_fma_f32 v[82:83], v[78:79], v[44:45], v[82:83] op_sel_hi:[1,1,0] neg_lo:[0,0,1] neg_hi:[0,0,1]
	v_pk_fma_f32 v[78:79], v[78:79], v[44:45], v[84:85] op_sel:[1,0,0] op_sel_hi:[0,1,0]
	s_delay_alu instid0(VALU_DEP_1) | instskip(SKIP_1) | instid1(VALU_DEP_2)
	v_mov_b32_e32 v83, v79
	v_pk_mul_f32 v[78:79], v[80:81], v[70:71] op_sel:[0,1]
	v_pk_add_f32 v[32:33], v[32:33], v[82:83] neg_lo:[0,1] neg_hi:[0,1]
	s_delay_alu instid0(VALU_DEP_2) | instskip(SKIP_1) | instid1(VALU_DEP_1)
	v_pk_fma_f32 v[82:83], v[80:81], v[68:69], v[78:79] op_sel:[0,0,1] op_sel_hi:[1,1,0] neg_lo:[0,0,1] neg_hi:[0,0,1]
	v_pk_fma_f32 v[78:79], v[80:81], v[68:69], v[78:79] op_sel:[0,0,1] op_sel_hi:[1,0,0]
	v_mov_b32_e32 v83, v79
	ds_load_2addr_b64 v[78:81], v72 offset0:29 offset1:30
	v_pk_add_f32 v[30:31], v[30:31], v[82:83] neg_lo:[0,1] neg_hi:[0,1]
	s_wait_dscnt 0x0
	v_pk_mul_f32 v[82:83], v[78:79], v[70:71] op_sel:[0,1]
	v_pk_mul_f32 v[70:71], v[80:81], v[70:71] op_sel:[0,1]
	s_delay_alu instid0(VALU_DEP_2) | instskip(SKIP_1) | instid1(VALU_DEP_1)
	v_pk_fma_f32 v[84:85], v[78:79], v[68:69], v[82:83] op_sel:[0,0,1] op_sel_hi:[1,1,0] neg_lo:[0,0,1] neg_hi:[0,0,1]
	v_pk_fma_f32 v[78:79], v[78:79], v[68:69], v[82:83] op_sel:[0,0,1] op_sel_hi:[1,0,0]
	v_mov_b32_e32 v85, v79
	s_delay_alu instid0(VALU_DEP_4) | instskip(SKIP_1) | instid1(VALU_DEP_3)
	v_pk_fma_f32 v[78:79], v[80:81], v[68:69], v[70:71] op_sel:[0,0,1] op_sel_hi:[1,1,0] neg_lo:[0,0,1] neg_hi:[0,0,1]
	v_pk_fma_f32 v[68:69], v[80:81], v[68:69], v[70:71] op_sel:[0,0,1] op_sel_hi:[1,0,0]
	v_pk_add_f32 v[24:25], v[24:25], v[84:85] neg_lo:[0,1] neg_hi:[0,1]
	s_delay_alu instid0(VALU_DEP_2) | instskip(NEXT) | instid1(VALU_DEP_1)
	v_mov_b32_e32 v79, v69
	v_pk_add_f32 v[66:67], v[66:67], v[78:79] neg_lo:[0,1] neg_hi:[0,1]
.LBB60_188:
	s_or_b32 exec_lo, exec_lo, s0
	v_lshl_add_u32 v68, v76, 3, v72
	s_barrier_signal -1
	s_barrier_wait -1
	ds_store_b64 v68, v[42:43]
	s_wait_dscnt 0x0
	s_barrier_signal -1
	s_barrier_wait -1
	ds_load_b64 v[70:71], v72 offset:72
	v_mov_b32_e32 v68, 9
	s_cmp_lt_i32 s18, 11
	s_cbranch_scc1 .LBB60_191
; %bb.189:
	v_add3_u32 v69, v73, 0, 0x50
	v_mov_b32_e32 v68, 9
	s_mov_b32 s0, 10
.LBB60_190:                             ; =>This Inner Loop Header: Depth=1
	ds_load_b64 v[78:79], v69
	s_wait_dscnt 0x1
	v_cmp_gt_f32_e32 vcc_lo, 0, v70
	v_cndmask_b32_e64 v80, v70, -v70, vcc_lo
	v_cmp_gt_f32_e32 vcc_lo, 0, v71
	v_cndmask_b32_e64 v82, v71, -v71, vcc_lo
	s_wait_dscnt 0x0
	v_cmp_gt_f32_e32 vcc_lo, 0, v78
	v_cndmask_b32_e64 v81, v78, -v78, vcc_lo
	v_cmp_gt_f32_e32 vcc_lo, 0, v79
	v_cndmask_b32_e64 v83, v79, -v79, vcc_lo
	s_delay_alu instid0(VALU_DEP_1) | instskip(NEXT) | instid1(VALU_DEP_1)
	v_pk_add_f32 v[80:81], v[80:81], v[82:83]
	v_cmp_lt_f32_e32 vcc_lo, v80, v81
	v_dual_add_nc_u32 v69, 8, v69 :: v_dual_cndmask_b32 v71, v71, v79, vcc_lo
	v_cndmask_b32_e32 v70, v70, v78, vcc_lo
	v_cndmask_b32_e64 v68, v68, s0, vcc_lo
	s_add_co_i32 s0, s0, 1
	s_delay_alu instid0(SALU_CYCLE_1)
	s_cmp_lg_u32 s18, s0
	s_cbranch_scc1 .LBB60_190
.LBB60_191:
	s_wait_dscnt 0x0
	v_cmp_eq_f32_e32 vcc_lo, 0, v70
	v_cmp_eq_f32_e64 s0, 0, v71
	s_and_b32 s0, vcc_lo, s0
	s_delay_alu instid0(SALU_CYCLE_1) | instskip(NEXT) | instid1(SALU_CYCLE_1)
	s_and_saveexec_b32 s1, s0
	s_xor_b32 s0, exec_lo, s1
; %bb.192:
	v_cmp_ne_u32_e32 vcc_lo, 0, v74
	v_cndmask_b32_e32 v74, 10, v74, vcc_lo
; %bb.193:
	s_and_not1_saveexec_b32 s0, s0
	s_cbranch_execz .LBB60_199
; %bb.194:
	v_cmp_ngt_f32_e64 s1, |v70|, |v71|
	s_and_saveexec_b32 s12, s1
	s_delay_alu instid0(SALU_CYCLE_1)
	s_xor_b32 s1, exec_lo, s12
	s_cbranch_execz .LBB60_196
; %bb.195:
	v_div_scale_f32 v69, null, v71, v71, v70
	v_div_scale_f32 v79, vcc_lo, v70, v71, v70
	s_delay_alu instid0(VALU_DEP_2) | instskip(SKIP_1) | instid1(TRANS32_DEP_1)
	v_rcp_f32_e32 v77, v69
	v_nop
	v_fma_f32 v78, -v69, v77, 1.0
	s_delay_alu instid0(VALU_DEP_1) | instskip(NEXT) | instid1(VALU_DEP_1)
	v_fmac_f32_e32 v77, v78, v77
	v_mul_f32_e32 v78, v79, v77
	s_delay_alu instid0(VALU_DEP_1) | instskip(NEXT) | instid1(VALU_DEP_1)
	v_fma_f32 v80, -v69, v78, v79
	v_fmac_f32_e32 v78, v80, v77
	s_delay_alu instid0(VALU_DEP_1) | instskip(NEXT) | instid1(VALU_DEP_1)
	v_fma_f32 v69, -v69, v78, v79
	v_div_fmas_f32 v69, v69, v77, v78
	s_delay_alu instid0(VALU_DEP_1) | instskip(NEXT) | instid1(VALU_DEP_1)
	v_div_fixup_f32 v69, v69, v71, v70
	v_fmac_f32_e32 v71, v70, v69
	s_delay_alu instid0(VALU_DEP_1) | instskip(SKIP_1) | instid1(VALU_DEP_2)
	v_div_scale_f32 v70, null, v71, v71, 1.0
	v_div_scale_f32 v79, vcc_lo, 1.0, v71, 1.0
	v_rcp_f32_e32 v77, v70
	v_nop
	s_delay_alu instid0(TRANS32_DEP_1) | instskip(NEXT) | instid1(VALU_DEP_1)
	v_fma_f32 v78, -v70, v77, 1.0
	v_fmac_f32_e32 v77, v78, v77
	s_delay_alu instid0(VALU_DEP_1) | instskip(NEXT) | instid1(VALU_DEP_1)
	v_mul_f32_e32 v78, v79, v77
	v_fma_f32 v80, -v70, v78, v79
	s_delay_alu instid0(VALU_DEP_1) | instskip(NEXT) | instid1(VALU_DEP_1)
	v_fmac_f32_e32 v78, v80, v77
	v_fma_f32 v70, -v70, v78, v79
	s_delay_alu instid0(VALU_DEP_1) | instskip(NEXT) | instid1(VALU_DEP_1)
	v_div_fmas_f32 v70, v70, v77, v78
	v_div_fixup_f32 v71, v70, v71, 1.0
	s_delay_alu instid0(VALU_DEP_1)
	v_mul_f32_e32 v70, v69, v71
	v_xor_b32_e32 v71, 0x80000000, v71
.LBB60_196:
	s_and_not1_saveexec_b32 s1, s1
	s_cbranch_execz .LBB60_198
; %bb.197:
	s_delay_alu instid0(VALU_DEP_1) | instskip(SKIP_1) | instid1(VALU_DEP_2)
	v_div_scale_f32 v69, null, v70, v70, v71
	v_div_scale_f32 v79, vcc_lo, v71, v70, v71
	v_rcp_f32_e32 v77, v69
	v_nop
	s_delay_alu instid0(TRANS32_DEP_1) | instskip(NEXT) | instid1(VALU_DEP_1)
	v_fma_f32 v78, -v69, v77, 1.0
	v_fmac_f32_e32 v77, v78, v77
	s_delay_alu instid0(VALU_DEP_1) | instskip(NEXT) | instid1(VALU_DEP_1)
	v_mul_f32_e32 v78, v79, v77
	v_fma_f32 v80, -v69, v78, v79
	s_delay_alu instid0(VALU_DEP_1) | instskip(NEXT) | instid1(VALU_DEP_1)
	v_fmac_f32_e32 v78, v80, v77
	v_fma_f32 v69, -v69, v78, v79
	s_delay_alu instid0(VALU_DEP_1) | instskip(NEXT) | instid1(VALU_DEP_1)
	v_div_fmas_f32 v69, v69, v77, v78
	v_div_fixup_f32 v69, v69, v70, v71
	s_delay_alu instid0(VALU_DEP_1) | instskip(NEXT) | instid1(VALU_DEP_1)
	v_fmac_f32_e32 v70, v71, v69
	v_div_scale_f32 v71, null, v70, v70, 1.0
	s_delay_alu instid0(VALU_DEP_1) | instskip(SKIP_1) | instid1(TRANS32_DEP_1)
	v_rcp_f32_e32 v77, v71
	v_nop
	v_fma_f32 v78, -v71, v77, 1.0
	s_delay_alu instid0(VALU_DEP_1) | instskip(SKIP_1) | instid1(VALU_DEP_1)
	v_fmac_f32_e32 v77, v78, v77
	v_div_scale_f32 v78, vcc_lo, 1.0, v70, 1.0
	v_mul_f32_e32 v79, v78, v77
	s_delay_alu instid0(VALU_DEP_1) | instskip(NEXT) | instid1(VALU_DEP_1)
	v_fma_f32 v80, -v71, v79, v78
	v_fmac_f32_e32 v79, v80, v77
	s_delay_alu instid0(VALU_DEP_1) | instskip(NEXT) | instid1(VALU_DEP_1)
	v_fma_f32 v71, -v71, v79, v78
	v_div_fmas_f32 v71, v71, v77, v79
	s_delay_alu instid0(VALU_DEP_1) | instskip(NEXT) | instid1(VALU_DEP_1)
	v_div_fixup_f32 v70, v71, v70, 1.0
	v_mul_f32_e64 v71, v69, -v70
.LBB60_198:
	s_or_b32 exec_lo, exec_lo, s1
.LBB60_199:
	s_delay_alu instid0(SALU_CYCLE_1) | instskip(NEXT) | instid1(SALU_CYCLE_1)
	s_or_b32 exec_lo, exec_lo, s0
	s_mov_b32 s0, exec_lo
	v_cmpx_ne_u32_e64 v76, v68
	s_xor_b32 s0, exec_lo, s0
	s_cbranch_execz .LBB60_205
; %bb.200:
	s_mov_b32 s1, exec_lo
	v_cmpx_eq_u32_e32 9, v76
	s_cbranch_execz .LBB60_204
; %bb.201:
	v_cmp_ne_u32_e32 vcc_lo, 9, v68
	s_xor_b32 s12, s16, -1
	s_delay_alu instid0(SALU_CYCLE_1) | instskip(NEXT) | instid1(SALU_CYCLE_1)
	s_and_b32 s13, s12, vcc_lo
	s_and_saveexec_b32 s12, s13
	s_cbranch_execz .LBB60_203
; %bb.202:
	v_ashrrev_i32_e32 v69, 31, v68
	s_delay_alu instid0(VALU_DEP_1)
	v_lshl_add_u64 v[76:77], v[68:69], 2, v[4:5]
	s_clause 0x1
	global_load_b32 v69, v[76:77], off
	global_load_b32 v75, v[4:5], off offset:36
	s_wait_loadcnt 0x1
	global_store_b32 v[4:5], v69, off offset:36
	s_wait_loadcnt 0x0
	global_store_b32 v[76:77], v75, off
.LBB60_203:
	s_wait_xcnt 0x0
	s_or_b32 exec_lo, exec_lo, s12
	v_dual_mov_b32 v76, v68 :: v_dual_mov_b32 v75, v68
.LBB60_204:
	s_or_b32 exec_lo, exec_lo, s1
.LBB60_205:
	s_and_not1_saveexec_b32 s0, s0
	s_cbranch_execz .LBB60_207
; %bb.206:
	v_dual_mov_b32 v68, v12 :: v_dual_mov_b32 v69, v13
	v_dual_mov_b32 v76, v10 :: v_dual_mov_b32 v77, v11
	ds_store_2addr_b64 v72, v[68:69], v[76:77] offset0:10 offset1:11
	v_dual_mov_b32 v68, v48 :: v_dual_mov_b32 v69, v49
	v_dual_mov_b32 v76, v46 :: v_dual_mov_b32 v77, v47
	ds_store_2addr_b64 v72, v[68:69], v[76:77] offset0:12 offset1:13
	v_dual_mov_b32 v68, v16 :: v_dual_mov_b32 v69, v17
	v_dual_mov_b32 v76, v14 :: v_dual_mov_b32 v77, v15
	ds_store_2addr_b64 v72, v[68:69], v[76:77] offset0:14 offset1:15
	v_dual_mov_b32 v68, v56 :: v_dual_mov_b32 v69, v57
	v_dual_mov_b32 v76, v54 :: v_dual_mov_b32 v77, v55
	ds_store_2addr_b64 v72, v[68:69], v[76:77] offset0:16 offset1:17
	v_dual_mov_b32 v68, v28 :: v_dual_mov_b32 v69, v29
	v_dual_mov_b32 v76, v26 :: v_dual_mov_b32 v77, v27
	ds_store_2addr_b64 v72, v[68:69], v[76:77] offset0:18 offset1:19
	v_dual_mov_b32 v68, v52 :: v_dual_mov_b32 v69, v53
	v_dual_mov_b32 v76, v50 :: v_dual_mov_b32 v77, v51
	ds_store_2addr_b64 v72, v[68:69], v[76:77] offset0:20 offset1:21
	v_dual_mov_b32 v68, v22 :: v_dual_mov_b32 v69, v23
	v_dual_mov_b32 v76, v18 :: v_dual_mov_b32 v77, v19
	ds_store_2addr_b64 v72, v[68:69], v[76:77] offset0:22 offset1:23
	v_dual_mov_b32 v68, v36 :: v_dual_mov_b32 v69, v37
	v_dual_mov_b32 v76, v34 :: v_dual_mov_b32 v77, v35
	ds_store_2addr_b64 v72, v[68:69], v[76:77] offset0:24 offset1:25
	v_dual_mov_b32 v68, v20 :: v_dual_mov_b32 v69, v21
	v_dual_mov_b32 v76, v32 :: v_dual_mov_b32 v77, v33
	ds_store_2addr_b64 v72, v[68:69], v[76:77] offset0:26 offset1:27
	v_dual_mov_b32 v68, v30 :: v_dual_mov_b32 v69, v31
	v_dual_mov_b32 v76, v24 :: v_dual_mov_b32 v77, v25
	ds_store_2addr_b64 v72, v[68:69], v[76:77] offset0:28 offset1:29
	ds_store_b64 v72, v[66:67] offset:240
	v_mov_b32_e32 v76, 9
.LBB60_207:
	s_or_b32 exec_lo, exec_lo, s0
	s_delay_alu instid0(SALU_CYCLE_1)
	s_mov_b32 s0, exec_lo
	s_wait_storecnt_dscnt 0x0
	s_barrier_signal -1
	s_barrier_wait -1
	v_cmpx_lt_i32_e32 9, v76
	s_cbranch_execz .LBB60_209
; %bb.208:
	v_pk_mul_f32 v[78:79], v[70:71], v[42:43] op_sel:[1,1] op_sel_hi:[0,1]
	s_delay_alu instid0(VALU_DEP_1)
	v_pk_fma_f32 v[68:69], v[70:71], v[42:43], v[78:79] op_sel_hi:[1,0,1] neg_lo:[0,0,1] neg_hi:[0,0,1]
	v_pk_fma_f32 v[70:71], v[70:71], v[42:43], v[78:79] op_sel_hi:[1,0,1]
	ds_load_2addr_b64 v[78:81], v72 offset0:10 offset1:11
	v_dual_mov_b32 v42, v68 :: v_dual_mov_b32 v43, v71
	s_wait_dscnt 0x0
	v_pk_mul_f32 v[82:83], v[78:79], v[70:71] op_sel:[0,1]
	s_delay_alu instid0(VALU_DEP_1) | instskip(SKIP_1) | instid1(VALU_DEP_1)
	v_pk_fma_f32 v[84:85], v[78:79], v[68:69], v[82:83] op_sel:[0,0,1] op_sel_hi:[1,1,0] neg_lo:[0,0,1] neg_hi:[0,0,1]
	v_pk_fma_f32 v[78:79], v[78:79], v[68:69], v[82:83] op_sel:[0,0,1] op_sel_hi:[1,0,0]
	v_mov_b32_e32 v85, v79
	v_pk_mul_f32 v[78:79], v[80:81], v[70:71] op_sel:[0,1]
	s_delay_alu instid0(VALU_DEP_1) | instskip(SKIP_1) | instid1(VALU_DEP_1)
	v_pk_fma_f32 v[82:83], v[80:81], v[68:69], v[78:79] op_sel:[0,0,1] op_sel_hi:[1,1,0] neg_lo:[0,0,1] neg_hi:[0,0,1]
	v_pk_fma_f32 v[78:79], v[80:81], v[68:69], v[78:79] op_sel:[0,0,1] op_sel_hi:[1,0,0]
	v_mov_b32_e32 v83, v79
	ds_load_2addr_b64 v[78:81], v72 offset0:12 offset1:13
	v_pk_add_f32 v[12:13], v[12:13], v[84:85] neg_lo:[0,1] neg_hi:[0,1]
	v_pk_add_f32 v[10:11], v[10:11], v[82:83] neg_lo:[0,1] neg_hi:[0,1]
	s_wait_dscnt 0x0
	v_pk_mul_f32 v[82:83], v[78:79], v[70:71] op_sel:[0,1]
	s_delay_alu instid0(VALU_DEP_1) | instskip(SKIP_2) | instid1(VALU_DEP_2)
	v_pk_fma_f32 v[84:85], v[78:79], v[68:69], v[82:83] op_sel:[0,0,1] op_sel_hi:[1,1,0] neg_lo:[0,0,1] neg_hi:[0,0,1]
	v_pk_fma_f32 v[78:79], v[78:79], v[68:69], v[82:83] op_sel:[0,0,1] op_sel_hi:[1,0,0]
	v_dual_mul_f32 v82, v81, v71 :: v_dual_mov_b32 v78, v81
	v_dual_mov_b32 v85, v79 :: v_dual_mov_b32 v79, v80
	s_delay_alu instid0(VALU_DEP_2) | instskip(SKIP_1) | instid1(VALU_DEP_3)
	v_pk_fma_f32 v[82:83], v[80:81], v[42:43], v[82:83] op_sel_hi:[1,1,0] neg_lo:[0,0,1] neg_hi:[0,0,1]
	v_mul_f32_e32 v80, v81, v68
	v_pk_add_f32 v[48:49], v[48:49], v[84:85] neg_lo:[0,1] neg_hi:[0,1]
	s_delay_alu instid0(VALU_DEP_2) | instskip(NEXT) | instid1(VALU_DEP_1)
	v_pk_fma_f32 v[78:79], v[78:79], v[42:43], v[80:81] op_sel_hi:[1,1,0]
	v_mov_b32_e32 v83, v79
	ds_load_2addr_b64 v[78:81], v72 offset0:14 offset1:15
	v_pk_add_f32 v[46:47], v[46:47], v[82:83] neg_lo:[0,1] neg_hi:[0,1]
	s_wait_dscnt 0x0
	v_pk_mul_f32 v[82:83], v[78:79], v[70:71] op_sel:[0,1]
	s_delay_alu instid0(VALU_DEP_1) | instskip(SKIP_1) | instid1(VALU_DEP_1)
	v_pk_fma_f32 v[84:85], v[78:79], v[68:69], v[82:83] op_sel:[0,0,1] op_sel_hi:[1,1,0] neg_lo:[0,0,1] neg_hi:[0,0,1]
	v_pk_fma_f32 v[78:79], v[78:79], v[68:69], v[82:83] op_sel:[0,0,1] op_sel_hi:[1,0,0]
	v_mov_b32_e32 v85, v79
	v_pk_mul_f32 v[78:79], v[80:81], v[70:71] op_sel:[0,1]
	s_delay_alu instid0(VALU_DEP_1) | instskip(SKIP_1) | instid1(VALU_DEP_1)
	v_pk_fma_f32 v[82:83], v[80:81], v[68:69], v[78:79] op_sel:[0,0,1] op_sel_hi:[1,1,0] neg_lo:[0,0,1] neg_hi:[0,0,1]
	v_pk_fma_f32 v[78:79], v[80:81], v[68:69], v[78:79] op_sel:[0,0,1] op_sel_hi:[1,0,0]
	v_mov_b32_e32 v83, v79
	ds_load_2addr_b64 v[78:81], v72 offset0:16 offset1:17
	v_pk_add_f32 v[16:17], v[16:17], v[84:85] neg_lo:[0,1] neg_hi:[0,1]
	v_pk_add_f32 v[14:15], v[14:15], v[82:83] neg_lo:[0,1] neg_hi:[0,1]
	s_wait_dscnt 0x0
	v_pk_mul_f32 v[82:83], v[78:79], v[70:71] op_sel:[0,1]
	s_delay_alu instid0(VALU_DEP_1) | instskip(SKIP_1) | instid1(VALU_DEP_1)
	v_pk_fma_f32 v[84:85], v[78:79], v[68:69], v[82:83] op_sel:[0,0,1] op_sel_hi:[1,1,0] neg_lo:[0,0,1] neg_hi:[0,0,1]
	v_pk_fma_f32 v[78:79], v[78:79], v[68:69], v[82:83] op_sel:[0,0,1] op_sel_hi:[1,0,0]
	v_mov_b32_e32 v85, v79
	v_pk_mul_f32 v[78:79], v[80:81], v[70:71] op_sel:[0,1]
	s_delay_alu instid0(VALU_DEP_1) | instskip(SKIP_1) | instid1(VALU_DEP_1)
	v_pk_fma_f32 v[82:83], v[80:81], v[68:69], v[78:79] op_sel:[0,0,1] op_sel_hi:[1,1,0] neg_lo:[0,0,1] neg_hi:[0,0,1]
	v_pk_fma_f32 v[78:79], v[80:81], v[68:69], v[78:79] op_sel:[0,0,1] op_sel_hi:[1,0,0]
	v_mov_b32_e32 v83, v79
	ds_load_2addr_b64 v[78:81], v72 offset0:18 offset1:19
	v_pk_add_f32 v[56:57], v[56:57], v[84:85] neg_lo:[0,1] neg_hi:[0,1]
	v_pk_add_f32 v[54:55], v[54:55], v[82:83] neg_lo:[0,1] neg_hi:[0,1]
	s_wait_dscnt 0x0
	v_dual_mul_f32 v82, v79, v71 :: v_dual_mul_f32 v84, v79, v68
	s_delay_alu instid0(VALU_DEP_1) | instskip(NEXT) | instid1(VALU_DEP_2)
	v_pk_fma_f32 v[82:83], v[78:79], v[42:43], v[82:83] op_sel_hi:[1,1,0] neg_lo:[0,0,1] neg_hi:[0,0,1]
	v_pk_fma_f32 v[78:79], v[78:79], v[42:43], v[84:85] op_sel:[1,0,0] op_sel_hi:[0,1,0]
	s_delay_alu instid0(VALU_DEP_1) | instskip(SKIP_1) | instid1(VALU_DEP_2)
	v_mov_b32_e32 v83, v79
	v_pk_mul_f32 v[78:79], v[80:81], v[70:71] op_sel:[0,1]
	v_pk_add_f32 v[28:29], v[28:29], v[82:83] neg_lo:[0,1] neg_hi:[0,1]
	s_delay_alu instid0(VALU_DEP_2) | instskip(SKIP_1) | instid1(VALU_DEP_1)
	v_pk_fma_f32 v[82:83], v[80:81], v[68:69], v[78:79] op_sel:[0,0,1] op_sel_hi:[1,1,0] neg_lo:[0,0,1] neg_hi:[0,0,1]
	v_pk_fma_f32 v[78:79], v[80:81], v[68:69], v[78:79] op_sel:[0,0,1] op_sel_hi:[1,0,0]
	v_mov_b32_e32 v83, v79
	ds_load_2addr_b64 v[78:81], v72 offset0:20 offset1:21
	v_pk_add_f32 v[26:27], v[26:27], v[82:83] neg_lo:[0,1] neg_hi:[0,1]
	s_wait_dscnt 0x0
	v_pk_mul_f32 v[82:83], v[78:79], v[70:71] op_sel:[0,1]
	s_delay_alu instid0(VALU_DEP_1) | instskip(SKIP_1) | instid1(VALU_DEP_1)
	v_pk_fma_f32 v[84:85], v[78:79], v[68:69], v[82:83] op_sel:[0,0,1] op_sel_hi:[1,1,0] neg_lo:[0,0,1] neg_hi:[0,0,1]
	v_pk_fma_f32 v[78:79], v[78:79], v[68:69], v[82:83] op_sel:[0,0,1] op_sel_hi:[1,0,0]
	v_mov_b32_e32 v85, v79
	v_pk_mul_f32 v[78:79], v[80:81], v[70:71] op_sel:[0,1]
	s_delay_alu instid0(VALU_DEP_2) | instskip(NEXT) | instid1(VALU_DEP_2)
	v_pk_add_f32 v[52:53], v[52:53], v[84:85] neg_lo:[0,1] neg_hi:[0,1]
	v_pk_fma_f32 v[82:83], v[80:81], v[68:69], v[78:79] op_sel:[0,0,1] op_sel_hi:[1,1,0] neg_lo:[0,0,1] neg_hi:[0,0,1]
	v_pk_fma_f32 v[78:79], v[80:81], v[68:69], v[78:79] op_sel:[0,0,1] op_sel_hi:[1,0,0]
	s_delay_alu instid0(VALU_DEP_1) | instskip(SKIP_4) | instid1(VALU_DEP_1)
	v_mov_b32_e32 v83, v79
	ds_load_2addr_b64 v[78:81], v72 offset0:22 offset1:23
	v_pk_add_f32 v[50:51], v[50:51], v[82:83] neg_lo:[0,1] neg_hi:[0,1]
	s_wait_dscnt 0x0
	v_pk_mul_f32 v[82:83], v[78:79], v[70:71] op_sel:[0,1]
	v_pk_fma_f32 v[84:85], v[78:79], v[68:69], v[82:83] op_sel:[0,0,1] op_sel_hi:[1,1,0] neg_lo:[0,0,1] neg_hi:[0,0,1]
	v_pk_fma_f32 v[78:79], v[78:79], v[68:69], v[82:83] op_sel:[0,0,1] op_sel_hi:[1,0,0]
	v_dual_mul_f32 v82, v81, v71 :: v_dual_mov_b32 v78, v81
	s_delay_alu instid0(VALU_DEP_2) | instskip(NEXT) | instid1(VALU_DEP_2)
	v_dual_mov_b32 v85, v79 :: v_dual_mov_b32 v79, v80
	v_pk_fma_f32 v[82:83], v[80:81], v[42:43], v[82:83] op_sel_hi:[1,1,0] neg_lo:[0,0,1] neg_hi:[0,0,1]
	v_mul_f32_e32 v80, v81, v68
	s_delay_alu instid0(VALU_DEP_3) | instskip(NEXT) | instid1(VALU_DEP_2)
	v_pk_add_f32 v[22:23], v[22:23], v[84:85] neg_lo:[0,1] neg_hi:[0,1]
	v_pk_fma_f32 v[78:79], v[78:79], v[42:43], v[80:81] op_sel_hi:[1,1,0]
	s_delay_alu instid0(VALU_DEP_1) | instskip(SKIP_4) | instid1(VALU_DEP_1)
	v_mov_b32_e32 v83, v79
	ds_load_2addr_b64 v[78:81], v72 offset0:24 offset1:25
	v_pk_add_f32 v[18:19], v[18:19], v[82:83] neg_lo:[0,1] neg_hi:[0,1]
	s_wait_dscnt 0x0
	v_pk_mul_f32 v[82:83], v[78:79], v[70:71] op_sel:[0,1]
	v_pk_fma_f32 v[84:85], v[78:79], v[68:69], v[82:83] op_sel:[0,0,1] op_sel_hi:[1,1,0] neg_lo:[0,0,1] neg_hi:[0,0,1]
	v_pk_fma_f32 v[78:79], v[78:79], v[68:69], v[82:83] op_sel:[0,0,1] op_sel_hi:[1,0,0]
	s_delay_alu instid0(VALU_DEP_1) | instskip(SKIP_1) | instid1(VALU_DEP_1)
	v_mov_b32_e32 v85, v79
	v_pk_mul_f32 v[78:79], v[80:81], v[70:71] op_sel:[0,1]
	v_pk_fma_f32 v[82:83], v[80:81], v[68:69], v[78:79] op_sel:[0,0,1] op_sel_hi:[1,1,0] neg_lo:[0,0,1] neg_hi:[0,0,1]
	v_pk_fma_f32 v[78:79], v[80:81], v[68:69], v[78:79] op_sel:[0,0,1] op_sel_hi:[1,0,0]
	s_delay_alu instid0(VALU_DEP_1)
	v_mov_b32_e32 v83, v79
	ds_load_2addr_b64 v[78:81], v72 offset0:26 offset1:27
	v_pk_add_f32 v[36:37], v[36:37], v[84:85] neg_lo:[0,1] neg_hi:[0,1]
	v_pk_add_f32 v[34:35], v[34:35], v[82:83] neg_lo:[0,1] neg_hi:[0,1]
	s_wait_dscnt 0x0
	v_pk_mul_f32 v[82:83], v[78:79], v[70:71] op_sel:[0,1]
	s_delay_alu instid0(VALU_DEP_1) | instskip(SKIP_1) | instid1(VALU_DEP_1)
	v_pk_fma_f32 v[84:85], v[78:79], v[68:69], v[82:83] op_sel:[0,0,1] op_sel_hi:[1,1,0] neg_lo:[0,0,1] neg_hi:[0,0,1]
	v_pk_fma_f32 v[78:79], v[78:79], v[68:69], v[82:83] op_sel:[0,0,1] op_sel_hi:[1,0,0]
	v_mov_b32_e32 v85, v79
	v_pk_mul_f32 v[78:79], v[80:81], v[70:71] op_sel:[0,1]
	s_delay_alu instid0(VALU_DEP_1) | instskip(SKIP_1) | instid1(VALU_DEP_1)
	v_pk_fma_f32 v[82:83], v[80:81], v[68:69], v[78:79] op_sel:[0,0,1] op_sel_hi:[1,1,0] neg_lo:[0,0,1] neg_hi:[0,0,1]
	v_pk_fma_f32 v[78:79], v[80:81], v[68:69], v[78:79] op_sel:[0,0,1] op_sel_hi:[1,0,0]
	v_mov_b32_e32 v83, v79
	ds_load_2addr_b64 v[78:81], v72 offset0:28 offset1:29
	v_pk_add_f32 v[20:21], v[20:21], v[84:85] neg_lo:[0,1] neg_hi:[0,1]
	v_pk_add_f32 v[32:33], v[32:33], v[82:83] neg_lo:[0,1] neg_hi:[0,1]
	s_wait_dscnt 0x0
	v_dual_mul_f32 v82, v79, v71 :: v_dual_mul_f32 v84, v79, v68
	s_delay_alu instid0(VALU_DEP_1) | instskip(NEXT) | instid1(VALU_DEP_2)
	v_pk_fma_f32 v[82:83], v[78:79], v[42:43], v[82:83] op_sel_hi:[1,1,0] neg_lo:[0,0,1] neg_hi:[0,0,1]
	v_pk_fma_f32 v[78:79], v[78:79], v[42:43], v[84:85] op_sel:[1,0,0] op_sel_hi:[0,1,0]
	s_delay_alu instid0(VALU_DEP_1) | instskip(SKIP_1) | instid1(VALU_DEP_2)
	v_mov_b32_e32 v83, v79
	v_pk_mul_f32 v[78:79], v[80:81], v[70:71] op_sel:[0,1]
	v_pk_add_f32 v[30:31], v[30:31], v[82:83] neg_lo:[0,1] neg_hi:[0,1]
	s_delay_alu instid0(VALU_DEP_2) | instskip(SKIP_1) | instid1(VALU_DEP_1)
	v_pk_fma_f32 v[82:83], v[80:81], v[68:69], v[78:79] op_sel:[0,0,1] op_sel_hi:[1,1,0] neg_lo:[0,0,1] neg_hi:[0,0,1]
	v_pk_fma_f32 v[78:79], v[80:81], v[68:69], v[78:79] op_sel:[0,0,1] op_sel_hi:[1,0,0]
	v_mov_b32_e32 v83, v79
	ds_load_b64 v[78:79], v72 offset:240
	v_pk_add_f32 v[24:25], v[24:25], v[82:83] neg_lo:[0,1] neg_hi:[0,1]
	s_wait_dscnt 0x0
	v_pk_mul_f32 v[70:71], v[78:79], v[70:71] op_sel:[0,1]
	s_delay_alu instid0(VALU_DEP_1) | instskip(SKIP_1) | instid1(VALU_DEP_1)
	v_pk_fma_f32 v[80:81], v[78:79], v[68:69], v[70:71] op_sel:[0,0,1] op_sel_hi:[1,1,0] neg_lo:[0,0,1] neg_hi:[0,0,1]
	v_pk_fma_f32 v[68:69], v[78:79], v[68:69], v[70:71] op_sel:[0,0,1] op_sel_hi:[1,0,0]
	v_mov_b32_e32 v81, v69
	s_delay_alu instid0(VALU_DEP_1)
	v_pk_add_f32 v[66:67], v[66:67], v[80:81] neg_lo:[0,1] neg_hi:[0,1]
.LBB60_209:
	s_or_b32 exec_lo, exec_lo, s0
	v_lshl_add_u32 v68, v76, 3, v72
	s_barrier_signal -1
	s_barrier_wait -1
	ds_store_b64 v68, v[12:13]
	s_wait_dscnt 0x0
	s_barrier_signal -1
	s_barrier_wait -1
	ds_load_b64 v[70:71], v72 offset:80
	v_mov_b32_e32 v68, 10
	s_cmp_lt_i32 s18, 12
	s_cbranch_scc1 .LBB60_212
; %bb.210:
	v_add3_u32 v69, v73, 0, 0x58
	v_mov_b32_e32 v68, 10
	s_mov_b32 s0, 11
.LBB60_211:                             ; =>This Inner Loop Header: Depth=1
	ds_load_b64 v[78:79], v69
	s_wait_dscnt 0x1
	v_cmp_gt_f32_e32 vcc_lo, 0, v70
	v_cndmask_b32_e64 v80, v70, -v70, vcc_lo
	v_cmp_gt_f32_e32 vcc_lo, 0, v71
	v_cndmask_b32_e64 v82, v71, -v71, vcc_lo
	s_wait_dscnt 0x0
	v_cmp_gt_f32_e32 vcc_lo, 0, v78
	v_cndmask_b32_e64 v81, v78, -v78, vcc_lo
	v_cmp_gt_f32_e32 vcc_lo, 0, v79
	v_cndmask_b32_e64 v83, v79, -v79, vcc_lo
	s_delay_alu instid0(VALU_DEP_1) | instskip(NEXT) | instid1(VALU_DEP_1)
	v_pk_add_f32 v[80:81], v[80:81], v[82:83]
	v_cmp_lt_f32_e32 vcc_lo, v80, v81
	v_dual_add_nc_u32 v69, 8, v69 :: v_dual_cndmask_b32 v71, v71, v79, vcc_lo
	v_cndmask_b32_e32 v70, v70, v78, vcc_lo
	v_cndmask_b32_e64 v68, v68, s0, vcc_lo
	s_add_co_i32 s0, s0, 1
	s_delay_alu instid0(SALU_CYCLE_1)
	s_cmp_lg_u32 s18, s0
	s_cbranch_scc1 .LBB60_211
.LBB60_212:
	s_wait_dscnt 0x0
	v_cmp_eq_f32_e32 vcc_lo, 0, v70
	v_cmp_eq_f32_e64 s0, 0, v71
	s_and_b32 s0, vcc_lo, s0
	s_delay_alu instid0(SALU_CYCLE_1) | instskip(NEXT) | instid1(SALU_CYCLE_1)
	s_and_saveexec_b32 s1, s0
	s_xor_b32 s0, exec_lo, s1
; %bb.213:
	v_cmp_ne_u32_e32 vcc_lo, 0, v74
	v_cndmask_b32_e32 v74, 11, v74, vcc_lo
; %bb.214:
	s_and_not1_saveexec_b32 s0, s0
	s_cbranch_execz .LBB60_220
; %bb.215:
	v_cmp_ngt_f32_e64 s1, |v70|, |v71|
	s_and_saveexec_b32 s12, s1
	s_delay_alu instid0(SALU_CYCLE_1)
	s_xor_b32 s1, exec_lo, s12
	s_cbranch_execz .LBB60_217
; %bb.216:
	v_div_scale_f32 v69, null, v71, v71, v70
	v_div_scale_f32 v79, vcc_lo, v70, v71, v70
	s_delay_alu instid0(VALU_DEP_2) | instskip(SKIP_1) | instid1(TRANS32_DEP_1)
	v_rcp_f32_e32 v77, v69
	v_nop
	v_fma_f32 v78, -v69, v77, 1.0
	s_delay_alu instid0(VALU_DEP_1) | instskip(NEXT) | instid1(VALU_DEP_1)
	v_fmac_f32_e32 v77, v78, v77
	v_mul_f32_e32 v78, v79, v77
	s_delay_alu instid0(VALU_DEP_1) | instskip(NEXT) | instid1(VALU_DEP_1)
	v_fma_f32 v80, -v69, v78, v79
	v_fmac_f32_e32 v78, v80, v77
	s_delay_alu instid0(VALU_DEP_1) | instskip(NEXT) | instid1(VALU_DEP_1)
	v_fma_f32 v69, -v69, v78, v79
	v_div_fmas_f32 v69, v69, v77, v78
	s_delay_alu instid0(VALU_DEP_1) | instskip(NEXT) | instid1(VALU_DEP_1)
	v_div_fixup_f32 v69, v69, v71, v70
	v_fmac_f32_e32 v71, v70, v69
	s_delay_alu instid0(VALU_DEP_1) | instskip(SKIP_1) | instid1(VALU_DEP_2)
	v_div_scale_f32 v70, null, v71, v71, 1.0
	v_div_scale_f32 v79, vcc_lo, 1.0, v71, 1.0
	v_rcp_f32_e32 v77, v70
	v_nop
	s_delay_alu instid0(TRANS32_DEP_1) | instskip(NEXT) | instid1(VALU_DEP_1)
	v_fma_f32 v78, -v70, v77, 1.0
	v_fmac_f32_e32 v77, v78, v77
	s_delay_alu instid0(VALU_DEP_1) | instskip(NEXT) | instid1(VALU_DEP_1)
	v_mul_f32_e32 v78, v79, v77
	v_fma_f32 v80, -v70, v78, v79
	s_delay_alu instid0(VALU_DEP_1) | instskip(NEXT) | instid1(VALU_DEP_1)
	v_fmac_f32_e32 v78, v80, v77
	v_fma_f32 v70, -v70, v78, v79
	s_delay_alu instid0(VALU_DEP_1) | instskip(NEXT) | instid1(VALU_DEP_1)
	v_div_fmas_f32 v70, v70, v77, v78
	v_div_fixup_f32 v71, v70, v71, 1.0
	s_delay_alu instid0(VALU_DEP_1)
	v_mul_f32_e32 v70, v69, v71
	v_xor_b32_e32 v71, 0x80000000, v71
.LBB60_217:
	s_and_not1_saveexec_b32 s1, s1
	s_cbranch_execz .LBB60_219
; %bb.218:
	s_delay_alu instid0(VALU_DEP_1) | instskip(SKIP_1) | instid1(VALU_DEP_2)
	v_div_scale_f32 v69, null, v70, v70, v71
	v_div_scale_f32 v79, vcc_lo, v71, v70, v71
	v_rcp_f32_e32 v77, v69
	v_nop
	s_delay_alu instid0(TRANS32_DEP_1) | instskip(NEXT) | instid1(VALU_DEP_1)
	v_fma_f32 v78, -v69, v77, 1.0
	v_fmac_f32_e32 v77, v78, v77
	s_delay_alu instid0(VALU_DEP_1) | instskip(NEXT) | instid1(VALU_DEP_1)
	v_mul_f32_e32 v78, v79, v77
	v_fma_f32 v80, -v69, v78, v79
	s_delay_alu instid0(VALU_DEP_1) | instskip(NEXT) | instid1(VALU_DEP_1)
	v_fmac_f32_e32 v78, v80, v77
	v_fma_f32 v69, -v69, v78, v79
	s_delay_alu instid0(VALU_DEP_1) | instskip(NEXT) | instid1(VALU_DEP_1)
	v_div_fmas_f32 v69, v69, v77, v78
	v_div_fixup_f32 v69, v69, v70, v71
	s_delay_alu instid0(VALU_DEP_1) | instskip(NEXT) | instid1(VALU_DEP_1)
	v_fmac_f32_e32 v70, v71, v69
	v_div_scale_f32 v71, null, v70, v70, 1.0
	s_delay_alu instid0(VALU_DEP_1) | instskip(SKIP_1) | instid1(TRANS32_DEP_1)
	v_rcp_f32_e32 v77, v71
	v_nop
	v_fma_f32 v78, -v71, v77, 1.0
	s_delay_alu instid0(VALU_DEP_1) | instskip(SKIP_1) | instid1(VALU_DEP_1)
	v_fmac_f32_e32 v77, v78, v77
	v_div_scale_f32 v78, vcc_lo, 1.0, v70, 1.0
	v_mul_f32_e32 v79, v78, v77
	s_delay_alu instid0(VALU_DEP_1) | instskip(NEXT) | instid1(VALU_DEP_1)
	v_fma_f32 v80, -v71, v79, v78
	v_fmac_f32_e32 v79, v80, v77
	s_delay_alu instid0(VALU_DEP_1) | instskip(NEXT) | instid1(VALU_DEP_1)
	v_fma_f32 v71, -v71, v79, v78
	v_div_fmas_f32 v71, v71, v77, v79
	s_delay_alu instid0(VALU_DEP_1) | instskip(NEXT) | instid1(VALU_DEP_1)
	v_div_fixup_f32 v70, v71, v70, 1.0
	v_mul_f32_e64 v71, v69, -v70
.LBB60_219:
	s_or_b32 exec_lo, exec_lo, s1
.LBB60_220:
	s_delay_alu instid0(SALU_CYCLE_1) | instskip(NEXT) | instid1(SALU_CYCLE_1)
	s_or_b32 exec_lo, exec_lo, s0
	s_mov_b32 s0, exec_lo
	v_cmpx_ne_u32_e64 v76, v68
	s_xor_b32 s0, exec_lo, s0
	s_cbranch_execz .LBB60_226
; %bb.221:
	s_mov_b32 s1, exec_lo
	v_cmpx_eq_u32_e32 10, v76
	s_cbranch_execz .LBB60_225
; %bb.222:
	v_cmp_ne_u32_e32 vcc_lo, 10, v68
	s_xor_b32 s12, s16, -1
	s_delay_alu instid0(SALU_CYCLE_1) | instskip(NEXT) | instid1(SALU_CYCLE_1)
	s_and_b32 s13, s12, vcc_lo
	s_and_saveexec_b32 s12, s13
	s_cbranch_execz .LBB60_224
; %bb.223:
	v_ashrrev_i32_e32 v69, 31, v68
	s_delay_alu instid0(VALU_DEP_1)
	v_lshl_add_u64 v[76:77], v[68:69], 2, v[4:5]
	s_clause 0x1
	global_load_b32 v69, v[76:77], off
	global_load_b32 v75, v[4:5], off offset:40
	s_wait_loadcnt 0x1
	global_store_b32 v[4:5], v69, off offset:40
	s_wait_loadcnt 0x0
	global_store_b32 v[76:77], v75, off
.LBB60_224:
	s_wait_xcnt 0x0
	s_or_b32 exec_lo, exec_lo, s12
	v_dual_mov_b32 v76, v68 :: v_dual_mov_b32 v75, v68
.LBB60_225:
	s_or_b32 exec_lo, exec_lo, s1
.LBB60_226:
	s_and_not1_saveexec_b32 s0, s0
	s_cbranch_execz .LBB60_228
; %bb.227:
	v_mov_b32_e32 v76, 10
	ds_store_2addr_b64 v72, v[10:11], v[48:49] offset0:11 offset1:12
	ds_store_2addr_b64 v72, v[46:47], v[16:17] offset0:13 offset1:14
	;; [unrolled: 1-line block ×10, first 2 shown]
.LBB60_228:
	s_or_b32 exec_lo, exec_lo, s0
	s_delay_alu instid0(SALU_CYCLE_1)
	s_mov_b32 s0, exec_lo
	s_wait_storecnt_dscnt 0x0
	s_barrier_signal -1
	s_barrier_wait -1
	v_cmpx_lt_i32_e32 10, v76
	s_cbranch_execz .LBB60_230
; %bb.229:
	v_pk_mul_f32 v[78:79], v[70:71], v[12:13] op_sel:[1,1] op_sel_hi:[0,1]
	s_delay_alu instid0(VALU_DEP_1)
	v_pk_fma_f32 v[68:69], v[70:71], v[12:13], v[78:79] op_sel_hi:[1,0,1] neg_lo:[0,0,1] neg_hi:[0,0,1]
	v_pk_fma_f32 v[70:71], v[70:71], v[12:13], v[78:79] op_sel_hi:[1,0,1]
	ds_load_2addr_b64 v[78:81], v72 offset0:11 offset1:12
	v_dual_mov_b32 v12, v68 :: v_dual_mov_b32 v13, v71
	s_wait_dscnt 0x0
	v_pk_mul_f32 v[82:83], v[78:79], v[70:71] op_sel:[0,1]
	s_delay_alu instid0(VALU_DEP_1) | instskip(SKIP_1) | instid1(VALU_DEP_1)
	v_pk_fma_f32 v[84:85], v[78:79], v[68:69], v[82:83] op_sel:[0,0,1] op_sel_hi:[1,1,0] neg_lo:[0,0,1] neg_hi:[0,0,1]
	v_pk_fma_f32 v[78:79], v[78:79], v[68:69], v[82:83] op_sel:[0,0,1] op_sel_hi:[1,0,0]
	v_mov_b32_e32 v85, v79
	v_pk_mul_f32 v[78:79], v[80:81], v[70:71] op_sel:[0,1]
	s_delay_alu instid0(VALU_DEP_1) | instskip(SKIP_1) | instid1(VALU_DEP_1)
	v_pk_fma_f32 v[82:83], v[80:81], v[68:69], v[78:79] op_sel:[0,0,1] op_sel_hi:[1,1,0] neg_lo:[0,0,1] neg_hi:[0,0,1]
	v_pk_fma_f32 v[78:79], v[80:81], v[68:69], v[78:79] op_sel:[0,0,1] op_sel_hi:[1,0,0]
	v_mov_b32_e32 v83, v79
	ds_load_2addr_b64 v[78:81], v72 offset0:13 offset1:14
	v_pk_add_f32 v[10:11], v[10:11], v[84:85] neg_lo:[0,1] neg_hi:[0,1]
	v_pk_add_f32 v[48:49], v[48:49], v[82:83] neg_lo:[0,1] neg_hi:[0,1]
	s_wait_dscnt 0x0
	v_pk_mul_f32 v[82:83], v[78:79], v[70:71] op_sel:[0,1]
	s_delay_alu instid0(VALU_DEP_1) | instskip(SKIP_2) | instid1(VALU_DEP_2)
	v_pk_fma_f32 v[84:85], v[78:79], v[68:69], v[82:83] op_sel:[0,0,1] op_sel_hi:[1,1,0] neg_lo:[0,0,1] neg_hi:[0,0,1]
	v_pk_fma_f32 v[78:79], v[78:79], v[68:69], v[82:83] op_sel:[0,0,1] op_sel_hi:[1,0,0]
	v_dual_mul_f32 v82, v81, v71 :: v_dual_mov_b32 v78, v81
	v_dual_mov_b32 v85, v79 :: v_dual_mov_b32 v79, v80
	s_delay_alu instid0(VALU_DEP_2) | instskip(SKIP_1) | instid1(VALU_DEP_3)
	v_pk_fma_f32 v[82:83], v[80:81], v[12:13], v[82:83] op_sel_hi:[1,1,0] neg_lo:[0,0,1] neg_hi:[0,0,1]
	v_mul_f32_e32 v80, v81, v68
	v_pk_add_f32 v[46:47], v[46:47], v[84:85] neg_lo:[0,1] neg_hi:[0,1]
	s_delay_alu instid0(VALU_DEP_2) | instskip(NEXT) | instid1(VALU_DEP_1)
	v_pk_fma_f32 v[78:79], v[78:79], v[12:13], v[80:81] op_sel_hi:[1,1,0]
	v_mov_b32_e32 v83, v79
	ds_load_2addr_b64 v[78:81], v72 offset0:15 offset1:16
	v_pk_add_f32 v[16:17], v[16:17], v[82:83] neg_lo:[0,1] neg_hi:[0,1]
	s_wait_dscnt 0x0
	v_pk_mul_f32 v[82:83], v[78:79], v[70:71] op_sel:[0,1]
	s_delay_alu instid0(VALU_DEP_1) | instskip(SKIP_1) | instid1(VALU_DEP_1)
	v_pk_fma_f32 v[84:85], v[78:79], v[68:69], v[82:83] op_sel:[0,0,1] op_sel_hi:[1,1,0] neg_lo:[0,0,1] neg_hi:[0,0,1]
	v_pk_fma_f32 v[78:79], v[78:79], v[68:69], v[82:83] op_sel:[0,0,1] op_sel_hi:[1,0,0]
	v_mov_b32_e32 v85, v79
	v_pk_mul_f32 v[78:79], v[80:81], v[70:71] op_sel:[0,1]
	s_delay_alu instid0(VALU_DEP_1) | instskip(SKIP_1) | instid1(VALU_DEP_1)
	v_pk_fma_f32 v[82:83], v[80:81], v[68:69], v[78:79] op_sel:[0,0,1] op_sel_hi:[1,1,0] neg_lo:[0,0,1] neg_hi:[0,0,1]
	v_pk_fma_f32 v[78:79], v[80:81], v[68:69], v[78:79] op_sel:[0,0,1] op_sel_hi:[1,0,0]
	v_mov_b32_e32 v83, v79
	ds_load_2addr_b64 v[78:81], v72 offset0:17 offset1:18
	v_pk_add_f32 v[14:15], v[14:15], v[84:85] neg_lo:[0,1] neg_hi:[0,1]
	v_pk_add_f32 v[56:57], v[56:57], v[82:83] neg_lo:[0,1] neg_hi:[0,1]
	s_wait_dscnt 0x0
	v_pk_mul_f32 v[82:83], v[78:79], v[70:71] op_sel:[0,1]
	s_delay_alu instid0(VALU_DEP_1) | instskip(SKIP_1) | instid1(VALU_DEP_1)
	v_pk_fma_f32 v[84:85], v[78:79], v[68:69], v[82:83] op_sel:[0,0,1] op_sel_hi:[1,1,0] neg_lo:[0,0,1] neg_hi:[0,0,1]
	v_pk_fma_f32 v[78:79], v[78:79], v[68:69], v[82:83] op_sel:[0,0,1] op_sel_hi:[1,0,0]
	v_mov_b32_e32 v85, v79
	v_pk_mul_f32 v[78:79], v[80:81], v[70:71] op_sel:[0,1]
	s_delay_alu instid0(VALU_DEP_1) | instskip(SKIP_1) | instid1(VALU_DEP_1)
	v_pk_fma_f32 v[82:83], v[80:81], v[68:69], v[78:79] op_sel:[0,0,1] op_sel_hi:[1,1,0] neg_lo:[0,0,1] neg_hi:[0,0,1]
	v_pk_fma_f32 v[78:79], v[80:81], v[68:69], v[78:79] op_sel:[0,0,1] op_sel_hi:[1,0,0]
	v_mov_b32_e32 v83, v79
	ds_load_2addr_b64 v[78:81], v72 offset0:19 offset1:20
	v_pk_add_f32 v[54:55], v[54:55], v[84:85] neg_lo:[0,1] neg_hi:[0,1]
	v_pk_add_f32 v[28:29], v[28:29], v[82:83] neg_lo:[0,1] neg_hi:[0,1]
	s_wait_dscnt 0x0
	v_dual_mul_f32 v82, v79, v71 :: v_dual_mul_f32 v84, v79, v68
	s_delay_alu instid0(VALU_DEP_1) | instskip(NEXT) | instid1(VALU_DEP_2)
	v_pk_fma_f32 v[82:83], v[78:79], v[12:13], v[82:83] op_sel_hi:[1,1,0] neg_lo:[0,0,1] neg_hi:[0,0,1]
	v_pk_fma_f32 v[78:79], v[78:79], v[12:13], v[84:85] op_sel:[1,0,0] op_sel_hi:[0,1,0]
	s_delay_alu instid0(VALU_DEP_1) | instskip(SKIP_1) | instid1(VALU_DEP_2)
	v_mov_b32_e32 v83, v79
	v_pk_mul_f32 v[78:79], v[80:81], v[70:71] op_sel:[0,1]
	v_pk_add_f32 v[26:27], v[26:27], v[82:83] neg_lo:[0,1] neg_hi:[0,1]
	s_delay_alu instid0(VALU_DEP_2) | instskip(SKIP_1) | instid1(VALU_DEP_1)
	v_pk_fma_f32 v[82:83], v[80:81], v[68:69], v[78:79] op_sel:[0,0,1] op_sel_hi:[1,1,0] neg_lo:[0,0,1] neg_hi:[0,0,1]
	v_pk_fma_f32 v[78:79], v[80:81], v[68:69], v[78:79] op_sel:[0,0,1] op_sel_hi:[1,0,0]
	v_mov_b32_e32 v83, v79
	ds_load_2addr_b64 v[78:81], v72 offset0:21 offset1:22
	v_pk_add_f32 v[52:53], v[52:53], v[82:83] neg_lo:[0,1] neg_hi:[0,1]
	s_wait_dscnt 0x0
	v_pk_mul_f32 v[82:83], v[78:79], v[70:71] op_sel:[0,1]
	s_delay_alu instid0(VALU_DEP_1) | instskip(SKIP_1) | instid1(VALU_DEP_1)
	v_pk_fma_f32 v[84:85], v[78:79], v[68:69], v[82:83] op_sel:[0,0,1] op_sel_hi:[1,1,0] neg_lo:[0,0,1] neg_hi:[0,0,1]
	v_pk_fma_f32 v[78:79], v[78:79], v[68:69], v[82:83] op_sel:[0,0,1] op_sel_hi:[1,0,0]
	v_mov_b32_e32 v85, v79
	v_pk_mul_f32 v[78:79], v[80:81], v[70:71] op_sel:[0,1]
	s_delay_alu instid0(VALU_DEP_2) | instskip(NEXT) | instid1(VALU_DEP_2)
	v_pk_add_f32 v[50:51], v[50:51], v[84:85] neg_lo:[0,1] neg_hi:[0,1]
	v_pk_fma_f32 v[82:83], v[80:81], v[68:69], v[78:79] op_sel:[0,0,1] op_sel_hi:[1,1,0] neg_lo:[0,0,1] neg_hi:[0,0,1]
	v_pk_fma_f32 v[78:79], v[80:81], v[68:69], v[78:79] op_sel:[0,0,1] op_sel_hi:[1,0,0]
	s_delay_alu instid0(VALU_DEP_1) | instskip(SKIP_4) | instid1(VALU_DEP_1)
	v_mov_b32_e32 v83, v79
	ds_load_2addr_b64 v[78:81], v72 offset0:23 offset1:24
	v_pk_add_f32 v[22:23], v[22:23], v[82:83] neg_lo:[0,1] neg_hi:[0,1]
	s_wait_dscnt 0x0
	v_pk_mul_f32 v[82:83], v[78:79], v[70:71] op_sel:[0,1]
	v_pk_fma_f32 v[84:85], v[78:79], v[68:69], v[82:83] op_sel:[0,0,1] op_sel_hi:[1,1,0] neg_lo:[0,0,1] neg_hi:[0,0,1]
	v_pk_fma_f32 v[78:79], v[78:79], v[68:69], v[82:83] op_sel:[0,0,1] op_sel_hi:[1,0,0]
	v_dual_mul_f32 v82, v81, v71 :: v_dual_mov_b32 v78, v81
	s_delay_alu instid0(VALU_DEP_2) | instskip(NEXT) | instid1(VALU_DEP_2)
	v_dual_mov_b32 v85, v79 :: v_dual_mov_b32 v79, v80
	v_pk_fma_f32 v[82:83], v[80:81], v[12:13], v[82:83] op_sel_hi:[1,1,0] neg_lo:[0,0,1] neg_hi:[0,0,1]
	v_mul_f32_e32 v80, v81, v68
	s_delay_alu instid0(VALU_DEP_3) | instskip(NEXT) | instid1(VALU_DEP_2)
	v_pk_add_f32 v[18:19], v[18:19], v[84:85] neg_lo:[0,1] neg_hi:[0,1]
	v_pk_fma_f32 v[78:79], v[78:79], v[12:13], v[80:81] op_sel_hi:[1,1,0]
	s_delay_alu instid0(VALU_DEP_1) | instskip(SKIP_4) | instid1(VALU_DEP_1)
	v_mov_b32_e32 v83, v79
	ds_load_2addr_b64 v[78:81], v72 offset0:25 offset1:26
	v_pk_add_f32 v[36:37], v[36:37], v[82:83] neg_lo:[0,1] neg_hi:[0,1]
	s_wait_dscnt 0x0
	v_pk_mul_f32 v[82:83], v[78:79], v[70:71] op_sel:[0,1]
	v_pk_fma_f32 v[84:85], v[78:79], v[68:69], v[82:83] op_sel:[0,0,1] op_sel_hi:[1,1,0] neg_lo:[0,0,1] neg_hi:[0,0,1]
	v_pk_fma_f32 v[78:79], v[78:79], v[68:69], v[82:83] op_sel:[0,0,1] op_sel_hi:[1,0,0]
	s_delay_alu instid0(VALU_DEP_1) | instskip(SKIP_1) | instid1(VALU_DEP_1)
	v_mov_b32_e32 v85, v79
	v_pk_mul_f32 v[78:79], v[80:81], v[70:71] op_sel:[0,1]
	v_pk_fma_f32 v[82:83], v[80:81], v[68:69], v[78:79] op_sel:[0,0,1] op_sel_hi:[1,1,0] neg_lo:[0,0,1] neg_hi:[0,0,1]
	v_pk_fma_f32 v[78:79], v[80:81], v[68:69], v[78:79] op_sel:[0,0,1] op_sel_hi:[1,0,0]
	s_delay_alu instid0(VALU_DEP_1)
	v_mov_b32_e32 v83, v79
	ds_load_2addr_b64 v[78:81], v72 offset0:27 offset1:28
	v_pk_add_f32 v[34:35], v[34:35], v[84:85] neg_lo:[0,1] neg_hi:[0,1]
	v_pk_add_f32 v[20:21], v[20:21], v[82:83] neg_lo:[0,1] neg_hi:[0,1]
	s_wait_dscnt 0x0
	v_pk_mul_f32 v[82:83], v[78:79], v[70:71] op_sel:[0,1]
	s_delay_alu instid0(VALU_DEP_1) | instskip(SKIP_1) | instid1(VALU_DEP_1)
	v_pk_fma_f32 v[84:85], v[78:79], v[68:69], v[82:83] op_sel:[0,0,1] op_sel_hi:[1,1,0] neg_lo:[0,0,1] neg_hi:[0,0,1]
	v_pk_fma_f32 v[78:79], v[78:79], v[68:69], v[82:83] op_sel:[0,0,1] op_sel_hi:[1,0,0]
	v_mov_b32_e32 v85, v79
	v_pk_mul_f32 v[78:79], v[80:81], v[70:71] op_sel:[0,1]
	s_delay_alu instid0(VALU_DEP_1) | instskip(SKIP_1) | instid1(VALU_DEP_1)
	v_pk_fma_f32 v[82:83], v[80:81], v[68:69], v[78:79] op_sel:[0,0,1] op_sel_hi:[1,1,0] neg_lo:[0,0,1] neg_hi:[0,0,1]
	v_pk_fma_f32 v[78:79], v[80:81], v[68:69], v[78:79] op_sel:[0,0,1] op_sel_hi:[1,0,0]
	v_mov_b32_e32 v83, v79
	ds_load_2addr_b64 v[78:81], v72 offset0:29 offset1:30
	v_pk_add_f32 v[32:33], v[32:33], v[84:85] neg_lo:[0,1] neg_hi:[0,1]
	v_pk_add_f32 v[30:31], v[30:31], v[82:83] neg_lo:[0,1] neg_hi:[0,1]
	s_wait_dscnt 0x0
	v_dual_mul_f32 v82, v79, v71 :: v_dual_mul_f32 v84, v79, v68
	v_pk_mul_f32 v[70:71], v[80:81], v[70:71] op_sel:[0,1]
	s_delay_alu instid0(VALU_DEP_2) | instskip(NEXT) | instid1(VALU_DEP_3)
	v_pk_fma_f32 v[82:83], v[78:79], v[12:13], v[82:83] op_sel_hi:[1,1,0] neg_lo:[0,0,1] neg_hi:[0,0,1]
	v_pk_fma_f32 v[78:79], v[78:79], v[12:13], v[84:85] op_sel:[1,0,0] op_sel_hi:[0,1,0]
	s_delay_alu instid0(VALU_DEP_1) | instskip(NEXT) | instid1(VALU_DEP_4)
	v_mov_b32_e32 v83, v79
	v_pk_fma_f32 v[78:79], v[80:81], v[68:69], v[70:71] op_sel:[0,0,1] op_sel_hi:[1,1,0] neg_lo:[0,0,1] neg_hi:[0,0,1]
	v_pk_fma_f32 v[68:69], v[80:81], v[68:69], v[70:71] op_sel:[0,0,1] op_sel_hi:[1,0,0]
	s_delay_alu instid0(VALU_DEP_1) | instskip(NEXT) | instid1(VALU_DEP_4)
	v_mov_b32_e32 v79, v69
	v_pk_add_f32 v[24:25], v[24:25], v[82:83] neg_lo:[0,1] neg_hi:[0,1]
	s_delay_alu instid0(VALU_DEP_2)
	v_pk_add_f32 v[66:67], v[66:67], v[78:79] neg_lo:[0,1] neg_hi:[0,1]
.LBB60_230:
	s_or_b32 exec_lo, exec_lo, s0
	v_lshl_add_u32 v68, v76, 3, v72
	s_barrier_signal -1
	s_barrier_wait -1
	ds_store_b64 v68, v[10:11]
	s_wait_dscnt 0x0
	s_barrier_signal -1
	s_barrier_wait -1
	ds_load_b64 v[68:69], v72 offset:88
	v_mov_b32_e32 v70, 11
	s_cmp_lt_i32 s18, 13
	s_cbranch_scc1 .LBB60_233
; %bb.231:
	v_add3_u32 v71, v73, 0, 0x60
	v_mov_b32_e32 v70, 11
	s_mov_b32 s0, 12
.LBB60_232:                             ; =>This Inner Loop Header: Depth=1
	ds_load_b64 v[78:79], v71
	s_wait_dscnt 0x1
	v_cmp_gt_f32_e32 vcc_lo, 0, v68
	v_cndmask_b32_e64 v80, v68, -v68, vcc_lo
	v_cmp_gt_f32_e32 vcc_lo, 0, v69
	v_cndmask_b32_e64 v82, v69, -v69, vcc_lo
	s_wait_dscnt 0x0
	v_cmp_gt_f32_e32 vcc_lo, 0, v78
	v_cndmask_b32_e64 v81, v78, -v78, vcc_lo
	v_cmp_gt_f32_e32 vcc_lo, 0, v79
	v_cndmask_b32_e64 v83, v79, -v79, vcc_lo
	s_delay_alu instid0(VALU_DEP_1) | instskip(NEXT) | instid1(VALU_DEP_1)
	v_pk_add_f32 v[80:81], v[80:81], v[82:83]
	v_cmp_lt_f32_e32 vcc_lo, v80, v81
	v_dual_cndmask_b32 v68, v68, v78 :: v_dual_add_nc_u32 v71, 8, v71
	v_cndmask_b32_e32 v69, v69, v79, vcc_lo
	v_cndmask_b32_e64 v70, v70, s0, vcc_lo
	s_add_co_i32 s0, s0, 1
	s_delay_alu instid0(SALU_CYCLE_1)
	s_cmp_lg_u32 s18, s0
	s_cbranch_scc1 .LBB60_232
.LBB60_233:
	s_wait_dscnt 0x0
	v_cmp_eq_f32_e32 vcc_lo, 0, v68
	v_cmp_eq_f32_e64 s0, 0, v69
	s_and_b32 s0, vcc_lo, s0
	s_delay_alu instid0(SALU_CYCLE_1) | instskip(NEXT) | instid1(SALU_CYCLE_1)
	s_and_saveexec_b32 s1, s0
	s_xor_b32 s0, exec_lo, s1
; %bb.234:
	v_cmp_ne_u32_e32 vcc_lo, 0, v74
	v_cndmask_b32_e32 v74, 12, v74, vcc_lo
; %bb.235:
	s_and_not1_saveexec_b32 s0, s0
	s_cbranch_execz .LBB60_241
; %bb.236:
	v_cmp_ngt_f32_e64 s1, |v68|, |v69|
	s_and_saveexec_b32 s12, s1
	s_delay_alu instid0(SALU_CYCLE_1)
	s_xor_b32 s1, exec_lo, s12
	s_cbranch_execz .LBB60_238
; %bb.237:
	v_div_scale_f32 v71, null, v69, v69, v68
	v_div_scale_f32 v79, vcc_lo, v68, v69, v68
	s_delay_alu instid0(VALU_DEP_2) | instskip(SKIP_1) | instid1(TRANS32_DEP_1)
	v_rcp_f32_e32 v77, v71
	v_nop
	v_fma_f32 v78, -v71, v77, 1.0
	s_delay_alu instid0(VALU_DEP_1) | instskip(NEXT) | instid1(VALU_DEP_1)
	v_fmac_f32_e32 v77, v78, v77
	v_mul_f32_e32 v78, v79, v77
	s_delay_alu instid0(VALU_DEP_1) | instskip(NEXT) | instid1(VALU_DEP_1)
	v_fma_f32 v80, -v71, v78, v79
	v_fmac_f32_e32 v78, v80, v77
	s_delay_alu instid0(VALU_DEP_1) | instskip(NEXT) | instid1(VALU_DEP_1)
	v_fma_f32 v71, -v71, v78, v79
	v_div_fmas_f32 v71, v71, v77, v78
	s_delay_alu instid0(VALU_DEP_1) | instskip(NEXT) | instid1(VALU_DEP_1)
	v_div_fixup_f32 v71, v71, v69, v68
	v_fmac_f32_e32 v69, v68, v71
	s_delay_alu instid0(VALU_DEP_1) | instskip(SKIP_1) | instid1(VALU_DEP_2)
	v_div_scale_f32 v68, null, v69, v69, 1.0
	v_div_scale_f32 v79, vcc_lo, 1.0, v69, 1.0
	v_rcp_f32_e32 v77, v68
	v_nop
	s_delay_alu instid0(TRANS32_DEP_1) | instskip(NEXT) | instid1(VALU_DEP_1)
	v_fma_f32 v78, -v68, v77, 1.0
	v_fmac_f32_e32 v77, v78, v77
	s_delay_alu instid0(VALU_DEP_1) | instskip(NEXT) | instid1(VALU_DEP_1)
	v_mul_f32_e32 v78, v79, v77
	v_fma_f32 v80, -v68, v78, v79
	s_delay_alu instid0(VALU_DEP_1) | instskip(NEXT) | instid1(VALU_DEP_1)
	v_fmac_f32_e32 v78, v80, v77
	v_fma_f32 v68, -v68, v78, v79
	s_delay_alu instid0(VALU_DEP_1) | instskip(NEXT) | instid1(VALU_DEP_1)
	v_div_fmas_f32 v68, v68, v77, v78
	v_div_fixup_f32 v69, v68, v69, 1.0
	s_delay_alu instid0(VALU_DEP_1)
	v_mul_f32_e32 v68, v71, v69
	v_xor_b32_e32 v69, 0x80000000, v69
.LBB60_238:
	s_and_not1_saveexec_b32 s1, s1
	s_cbranch_execz .LBB60_240
; %bb.239:
	s_delay_alu instid0(VALU_DEP_1) | instskip(SKIP_1) | instid1(VALU_DEP_2)
	v_div_scale_f32 v71, null, v68, v68, v69
	v_div_scale_f32 v79, vcc_lo, v69, v68, v69
	v_rcp_f32_e32 v77, v71
	v_nop
	s_delay_alu instid0(TRANS32_DEP_1) | instskip(NEXT) | instid1(VALU_DEP_1)
	v_fma_f32 v78, -v71, v77, 1.0
	v_fmac_f32_e32 v77, v78, v77
	s_delay_alu instid0(VALU_DEP_1) | instskip(NEXT) | instid1(VALU_DEP_1)
	v_mul_f32_e32 v78, v79, v77
	v_fma_f32 v80, -v71, v78, v79
	s_delay_alu instid0(VALU_DEP_1) | instskip(NEXT) | instid1(VALU_DEP_1)
	v_fmac_f32_e32 v78, v80, v77
	v_fma_f32 v71, -v71, v78, v79
	s_delay_alu instid0(VALU_DEP_1) | instskip(NEXT) | instid1(VALU_DEP_1)
	v_div_fmas_f32 v71, v71, v77, v78
	v_div_fixup_f32 v71, v71, v68, v69
	s_delay_alu instid0(VALU_DEP_1) | instskip(NEXT) | instid1(VALU_DEP_1)
	v_fmac_f32_e32 v68, v69, v71
	v_div_scale_f32 v69, null, v68, v68, 1.0
	s_delay_alu instid0(VALU_DEP_1) | instskip(SKIP_1) | instid1(TRANS32_DEP_1)
	v_rcp_f32_e32 v77, v69
	v_nop
	v_fma_f32 v78, -v69, v77, 1.0
	s_delay_alu instid0(VALU_DEP_1) | instskip(SKIP_1) | instid1(VALU_DEP_1)
	v_fmac_f32_e32 v77, v78, v77
	v_div_scale_f32 v78, vcc_lo, 1.0, v68, 1.0
	v_mul_f32_e32 v79, v78, v77
	s_delay_alu instid0(VALU_DEP_1) | instskip(NEXT) | instid1(VALU_DEP_1)
	v_fma_f32 v80, -v69, v79, v78
	v_fmac_f32_e32 v79, v80, v77
	s_delay_alu instid0(VALU_DEP_1) | instskip(NEXT) | instid1(VALU_DEP_1)
	v_fma_f32 v69, -v69, v79, v78
	v_div_fmas_f32 v69, v69, v77, v79
	s_delay_alu instid0(VALU_DEP_1) | instskip(NEXT) | instid1(VALU_DEP_1)
	v_div_fixup_f32 v68, v69, v68, 1.0
	v_mul_f32_e64 v69, v71, -v68
.LBB60_240:
	s_or_b32 exec_lo, exec_lo, s1
.LBB60_241:
	s_delay_alu instid0(SALU_CYCLE_1) | instskip(NEXT) | instid1(SALU_CYCLE_1)
	s_or_b32 exec_lo, exec_lo, s0
	s_mov_b32 s0, exec_lo
	v_cmpx_ne_u32_e64 v76, v70
	s_xor_b32 s0, exec_lo, s0
	s_cbranch_execz .LBB60_247
; %bb.242:
	s_mov_b32 s1, exec_lo
	v_cmpx_eq_u32_e32 11, v76
	s_cbranch_execz .LBB60_246
; %bb.243:
	v_cmp_ne_u32_e32 vcc_lo, 11, v70
	s_xor_b32 s12, s16, -1
	s_delay_alu instid0(SALU_CYCLE_1) | instskip(NEXT) | instid1(SALU_CYCLE_1)
	s_and_b32 s13, s12, vcc_lo
	s_and_saveexec_b32 s12, s13
	s_cbranch_execz .LBB60_245
; %bb.244:
	v_ashrrev_i32_e32 v71, 31, v70
	s_delay_alu instid0(VALU_DEP_1)
	v_lshl_add_u64 v[76:77], v[70:71], 2, v[4:5]
	s_clause 0x1
	global_load_b32 v71, v[76:77], off
	global_load_b32 v75, v[4:5], off offset:44
	s_wait_loadcnt 0x1
	global_store_b32 v[4:5], v71, off offset:44
	s_wait_loadcnt 0x0
	global_store_b32 v[76:77], v75, off
.LBB60_245:
	s_wait_xcnt 0x0
	s_or_b32 exec_lo, exec_lo, s12
	v_dual_mov_b32 v76, v70 :: v_dual_mov_b32 v75, v70
.LBB60_246:
	s_or_b32 exec_lo, exec_lo, s1
.LBB60_247:
	s_and_not1_saveexec_b32 s0, s0
	s_cbranch_execz .LBB60_249
; %bb.248:
	v_dual_mov_b32 v70, v48 :: v_dual_mov_b32 v71, v49
	v_dual_mov_b32 v76, v46 :: v_dual_mov_b32 v77, v47
	;; [unrolled: 1-line block ×8, first 2 shown]
	ds_store_2addr_b64 v72, v[70:71], v[76:77] offset0:12 offset1:13
	ds_store_2addr_b64 v72, v[78:79], v[80:81] offset0:14 offset1:15
	;; [unrolled: 1-line block ×4, first 2 shown]
	v_dual_mov_b32 v70, v52 :: v_dual_mov_b32 v71, v53
	v_dual_mov_b32 v76, v50 :: v_dual_mov_b32 v77, v51
	;; [unrolled: 1-line block ×6, first 2 shown]
	ds_store_2addr_b64 v72, v[70:71], v[76:77] offset0:20 offset1:21
	ds_store_2addr_b64 v72, v[78:79], v[80:81] offset0:22 offset1:23
	v_dual_mov_b32 v76, 11 :: v_dual_mov_b32 v86, v20
	v_dual_mov_b32 v87, v21 :: v_dual_mov_b32 v88, v32
	;; [unrolled: 1-line block ×4, first 2 shown]
	v_mov_b32_e32 v93, v25
	ds_store_2addr_b64 v72, v[82:83], v[84:85] offset0:24 offset1:25
	ds_store_2addr_b64 v72, v[86:87], v[88:89] offset0:26 offset1:27
	;; [unrolled: 1-line block ×3, first 2 shown]
	ds_store_b64 v72, v[66:67] offset:240
.LBB60_249:
	s_or_b32 exec_lo, exec_lo, s0
	s_delay_alu instid0(SALU_CYCLE_1)
	s_mov_b32 s0, exec_lo
	s_wait_storecnt_dscnt 0x0
	s_barrier_signal -1
	s_barrier_wait -1
	v_cmpx_lt_i32_e32 11, v76
	s_cbranch_execz .LBB60_251
; %bb.250:
	v_pk_mul_f32 v[78:79], v[68:69], v[10:11] op_sel:[1,1] op_sel_hi:[0,1]
	s_delay_alu instid0(VALU_DEP_1)
	v_pk_fma_f32 v[70:71], v[68:69], v[10:11], v[78:79] op_sel_hi:[1,0,1] neg_lo:[0,0,1] neg_hi:[0,0,1]
	v_pk_fma_f32 v[68:69], v[68:69], v[10:11], v[78:79] op_sel_hi:[1,0,1]
	ds_load_2addr_b64 v[78:81], v72 offset0:12 offset1:13
	v_dual_mov_b32 v10, v70 :: v_dual_mov_b32 v11, v69
	s_wait_dscnt 0x0
	v_pk_mul_f32 v[82:83], v[78:79], v[68:69] op_sel:[0,1]
	s_delay_alu instid0(VALU_DEP_1) | instskip(SKIP_1) | instid1(VALU_DEP_1)
	v_pk_fma_f32 v[84:85], v[78:79], v[70:71], v[82:83] op_sel:[0,0,1] op_sel_hi:[1,1,0] neg_lo:[0,0,1] neg_hi:[0,0,1]
	v_pk_fma_f32 v[78:79], v[78:79], v[70:71], v[82:83] op_sel:[0,0,1] op_sel_hi:[1,0,0]
	v_mov_b32_e32 v85, v79
	v_pk_mul_f32 v[78:79], v[80:81], v[68:69] op_sel:[0,1]
	s_delay_alu instid0(VALU_DEP_1) | instskip(SKIP_1) | instid1(VALU_DEP_1)
	v_pk_fma_f32 v[82:83], v[80:81], v[70:71], v[78:79] op_sel:[0,0,1] op_sel_hi:[1,1,0] neg_lo:[0,0,1] neg_hi:[0,0,1]
	v_pk_fma_f32 v[78:79], v[80:81], v[70:71], v[78:79] op_sel:[0,0,1] op_sel_hi:[1,0,0]
	v_mov_b32_e32 v83, v79
	ds_load_2addr_b64 v[78:81], v72 offset0:14 offset1:15
	v_pk_add_f32 v[48:49], v[48:49], v[84:85] neg_lo:[0,1] neg_hi:[0,1]
	v_pk_add_f32 v[46:47], v[46:47], v[82:83] neg_lo:[0,1] neg_hi:[0,1]
	s_wait_dscnt 0x0
	v_pk_mul_f32 v[82:83], v[78:79], v[68:69] op_sel:[0,1]
	s_delay_alu instid0(VALU_DEP_1) | instskip(SKIP_2) | instid1(VALU_DEP_2)
	v_pk_fma_f32 v[84:85], v[78:79], v[70:71], v[82:83] op_sel:[0,0,1] op_sel_hi:[1,1,0] neg_lo:[0,0,1] neg_hi:[0,0,1]
	v_pk_fma_f32 v[78:79], v[78:79], v[70:71], v[82:83] op_sel:[0,0,1] op_sel_hi:[1,0,0]
	v_dual_mul_f32 v82, v81, v69 :: v_dual_mov_b32 v78, v81
	v_dual_mov_b32 v85, v79 :: v_dual_mov_b32 v79, v80
	s_delay_alu instid0(VALU_DEP_2) | instskip(SKIP_1) | instid1(VALU_DEP_3)
	v_pk_fma_f32 v[82:83], v[80:81], v[10:11], v[82:83] op_sel_hi:[1,1,0] neg_lo:[0,0,1] neg_hi:[0,0,1]
	v_mul_f32_e32 v80, v81, v70
	v_pk_add_f32 v[16:17], v[16:17], v[84:85] neg_lo:[0,1] neg_hi:[0,1]
	s_delay_alu instid0(VALU_DEP_2) | instskip(NEXT) | instid1(VALU_DEP_1)
	v_pk_fma_f32 v[78:79], v[78:79], v[10:11], v[80:81] op_sel_hi:[1,1,0]
	v_mov_b32_e32 v83, v79
	ds_load_2addr_b64 v[78:81], v72 offset0:16 offset1:17
	v_pk_add_f32 v[14:15], v[14:15], v[82:83] neg_lo:[0,1] neg_hi:[0,1]
	s_wait_dscnt 0x0
	v_pk_mul_f32 v[82:83], v[78:79], v[68:69] op_sel:[0,1]
	s_delay_alu instid0(VALU_DEP_1) | instskip(SKIP_1) | instid1(VALU_DEP_1)
	v_pk_fma_f32 v[84:85], v[78:79], v[70:71], v[82:83] op_sel:[0,0,1] op_sel_hi:[1,1,0] neg_lo:[0,0,1] neg_hi:[0,0,1]
	v_pk_fma_f32 v[78:79], v[78:79], v[70:71], v[82:83] op_sel:[0,0,1] op_sel_hi:[1,0,0]
	v_mov_b32_e32 v85, v79
	v_pk_mul_f32 v[78:79], v[80:81], v[68:69] op_sel:[0,1]
	s_delay_alu instid0(VALU_DEP_1) | instskip(SKIP_1) | instid1(VALU_DEP_1)
	v_pk_fma_f32 v[82:83], v[80:81], v[70:71], v[78:79] op_sel:[0,0,1] op_sel_hi:[1,1,0] neg_lo:[0,0,1] neg_hi:[0,0,1]
	v_pk_fma_f32 v[78:79], v[80:81], v[70:71], v[78:79] op_sel:[0,0,1] op_sel_hi:[1,0,0]
	v_mov_b32_e32 v83, v79
	ds_load_2addr_b64 v[78:81], v72 offset0:18 offset1:19
	v_pk_add_f32 v[56:57], v[56:57], v[84:85] neg_lo:[0,1] neg_hi:[0,1]
	v_pk_add_f32 v[54:55], v[54:55], v[82:83] neg_lo:[0,1] neg_hi:[0,1]
	s_wait_dscnt 0x0
	v_pk_mul_f32 v[82:83], v[78:79], v[68:69] op_sel:[0,1]
	s_delay_alu instid0(VALU_DEP_1) | instskip(SKIP_1) | instid1(VALU_DEP_1)
	v_pk_fma_f32 v[84:85], v[78:79], v[70:71], v[82:83] op_sel:[0,0,1] op_sel_hi:[1,1,0] neg_lo:[0,0,1] neg_hi:[0,0,1]
	v_pk_fma_f32 v[78:79], v[78:79], v[70:71], v[82:83] op_sel:[0,0,1] op_sel_hi:[1,0,0]
	v_mov_b32_e32 v85, v79
	v_pk_mul_f32 v[78:79], v[80:81], v[68:69] op_sel:[0,1]
	s_delay_alu instid0(VALU_DEP_1) | instskip(SKIP_1) | instid1(VALU_DEP_1)
	v_pk_fma_f32 v[82:83], v[80:81], v[70:71], v[78:79] op_sel:[0,0,1] op_sel_hi:[1,1,0] neg_lo:[0,0,1] neg_hi:[0,0,1]
	v_pk_fma_f32 v[78:79], v[80:81], v[70:71], v[78:79] op_sel:[0,0,1] op_sel_hi:[1,0,0]
	v_mov_b32_e32 v83, v79
	ds_load_2addr_b64 v[78:81], v72 offset0:20 offset1:21
	v_pk_add_f32 v[28:29], v[28:29], v[84:85] neg_lo:[0,1] neg_hi:[0,1]
	v_pk_add_f32 v[26:27], v[26:27], v[82:83] neg_lo:[0,1] neg_hi:[0,1]
	s_wait_dscnt 0x0
	v_dual_mul_f32 v82, v79, v69 :: v_dual_mul_f32 v84, v79, v70
	s_delay_alu instid0(VALU_DEP_1) | instskip(NEXT) | instid1(VALU_DEP_2)
	v_pk_fma_f32 v[82:83], v[78:79], v[10:11], v[82:83] op_sel_hi:[1,1,0] neg_lo:[0,0,1] neg_hi:[0,0,1]
	v_pk_fma_f32 v[78:79], v[78:79], v[10:11], v[84:85] op_sel:[1,0,0] op_sel_hi:[0,1,0]
	s_delay_alu instid0(VALU_DEP_1) | instskip(SKIP_1) | instid1(VALU_DEP_2)
	v_mov_b32_e32 v83, v79
	v_pk_mul_f32 v[78:79], v[80:81], v[68:69] op_sel:[0,1]
	v_pk_add_f32 v[52:53], v[52:53], v[82:83] neg_lo:[0,1] neg_hi:[0,1]
	s_delay_alu instid0(VALU_DEP_2) | instskip(SKIP_1) | instid1(VALU_DEP_1)
	v_pk_fma_f32 v[82:83], v[80:81], v[70:71], v[78:79] op_sel:[0,0,1] op_sel_hi:[1,1,0] neg_lo:[0,0,1] neg_hi:[0,0,1]
	v_pk_fma_f32 v[78:79], v[80:81], v[70:71], v[78:79] op_sel:[0,0,1] op_sel_hi:[1,0,0]
	v_mov_b32_e32 v83, v79
	ds_load_2addr_b64 v[78:81], v72 offset0:22 offset1:23
	v_pk_add_f32 v[50:51], v[50:51], v[82:83] neg_lo:[0,1] neg_hi:[0,1]
	s_wait_dscnt 0x0
	v_pk_mul_f32 v[82:83], v[78:79], v[68:69] op_sel:[0,1]
	s_delay_alu instid0(VALU_DEP_1) | instskip(SKIP_1) | instid1(VALU_DEP_1)
	v_pk_fma_f32 v[84:85], v[78:79], v[70:71], v[82:83] op_sel:[0,0,1] op_sel_hi:[1,1,0] neg_lo:[0,0,1] neg_hi:[0,0,1]
	v_pk_fma_f32 v[78:79], v[78:79], v[70:71], v[82:83] op_sel:[0,0,1] op_sel_hi:[1,0,0]
	v_mov_b32_e32 v85, v79
	v_pk_mul_f32 v[78:79], v[80:81], v[68:69] op_sel:[0,1]
	s_delay_alu instid0(VALU_DEP_2) | instskip(NEXT) | instid1(VALU_DEP_2)
	v_pk_add_f32 v[22:23], v[22:23], v[84:85] neg_lo:[0,1] neg_hi:[0,1]
	v_pk_fma_f32 v[82:83], v[80:81], v[70:71], v[78:79] op_sel:[0,0,1] op_sel_hi:[1,1,0] neg_lo:[0,0,1] neg_hi:[0,0,1]
	v_pk_fma_f32 v[78:79], v[80:81], v[70:71], v[78:79] op_sel:[0,0,1] op_sel_hi:[1,0,0]
	s_delay_alu instid0(VALU_DEP_1) | instskip(SKIP_4) | instid1(VALU_DEP_1)
	v_mov_b32_e32 v83, v79
	ds_load_2addr_b64 v[78:81], v72 offset0:24 offset1:25
	v_pk_add_f32 v[18:19], v[18:19], v[82:83] neg_lo:[0,1] neg_hi:[0,1]
	s_wait_dscnt 0x0
	v_pk_mul_f32 v[82:83], v[78:79], v[68:69] op_sel:[0,1]
	v_pk_fma_f32 v[84:85], v[78:79], v[70:71], v[82:83] op_sel:[0,0,1] op_sel_hi:[1,1,0] neg_lo:[0,0,1] neg_hi:[0,0,1]
	v_pk_fma_f32 v[78:79], v[78:79], v[70:71], v[82:83] op_sel:[0,0,1] op_sel_hi:[1,0,0]
	v_dual_mul_f32 v82, v81, v69 :: v_dual_mov_b32 v78, v81
	s_delay_alu instid0(VALU_DEP_2) | instskip(NEXT) | instid1(VALU_DEP_2)
	v_dual_mov_b32 v85, v79 :: v_dual_mov_b32 v79, v80
	v_pk_fma_f32 v[82:83], v[80:81], v[10:11], v[82:83] op_sel_hi:[1,1,0] neg_lo:[0,0,1] neg_hi:[0,0,1]
	v_mul_f32_e32 v80, v81, v70
	s_delay_alu instid0(VALU_DEP_3) | instskip(NEXT) | instid1(VALU_DEP_2)
	v_pk_add_f32 v[36:37], v[36:37], v[84:85] neg_lo:[0,1] neg_hi:[0,1]
	v_pk_fma_f32 v[78:79], v[78:79], v[10:11], v[80:81] op_sel_hi:[1,1,0]
	s_delay_alu instid0(VALU_DEP_1) | instskip(SKIP_4) | instid1(VALU_DEP_1)
	v_mov_b32_e32 v83, v79
	ds_load_2addr_b64 v[78:81], v72 offset0:26 offset1:27
	v_pk_add_f32 v[34:35], v[34:35], v[82:83] neg_lo:[0,1] neg_hi:[0,1]
	s_wait_dscnt 0x0
	v_pk_mul_f32 v[82:83], v[78:79], v[68:69] op_sel:[0,1]
	v_pk_fma_f32 v[84:85], v[78:79], v[70:71], v[82:83] op_sel:[0,0,1] op_sel_hi:[1,1,0] neg_lo:[0,0,1] neg_hi:[0,0,1]
	v_pk_fma_f32 v[78:79], v[78:79], v[70:71], v[82:83] op_sel:[0,0,1] op_sel_hi:[1,0,0]
	s_delay_alu instid0(VALU_DEP_1) | instskip(SKIP_1) | instid1(VALU_DEP_1)
	v_mov_b32_e32 v85, v79
	v_pk_mul_f32 v[78:79], v[80:81], v[68:69] op_sel:[0,1]
	v_pk_fma_f32 v[82:83], v[80:81], v[70:71], v[78:79] op_sel:[0,0,1] op_sel_hi:[1,1,0] neg_lo:[0,0,1] neg_hi:[0,0,1]
	v_pk_fma_f32 v[78:79], v[80:81], v[70:71], v[78:79] op_sel:[0,0,1] op_sel_hi:[1,0,0]
	s_delay_alu instid0(VALU_DEP_1)
	v_mov_b32_e32 v83, v79
	ds_load_2addr_b64 v[78:81], v72 offset0:28 offset1:29
	v_pk_add_f32 v[20:21], v[20:21], v[84:85] neg_lo:[0,1] neg_hi:[0,1]
	v_pk_add_f32 v[32:33], v[32:33], v[82:83] neg_lo:[0,1] neg_hi:[0,1]
	s_wait_dscnt 0x0
	v_pk_mul_f32 v[82:83], v[78:79], v[68:69] op_sel:[0,1]
	s_delay_alu instid0(VALU_DEP_1) | instskip(SKIP_1) | instid1(VALU_DEP_1)
	v_pk_fma_f32 v[84:85], v[78:79], v[70:71], v[82:83] op_sel:[0,0,1] op_sel_hi:[1,1,0] neg_lo:[0,0,1] neg_hi:[0,0,1]
	v_pk_fma_f32 v[78:79], v[78:79], v[70:71], v[82:83] op_sel:[0,0,1] op_sel_hi:[1,0,0]
	v_mov_b32_e32 v85, v79
	v_pk_mul_f32 v[78:79], v[80:81], v[68:69] op_sel:[0,1]
	s_delay_alu instid0(VALU_DEP_1) | instskip(SKIP_1) | instid1(VALU_DEP_1)
	v_pk_fma_f32 v[82:83], v[80:81], v[70:71], v[78:79] op_sel:[0,0,1] op_sel_hi:[1,1,0] neg_lo:[0,0,1] neg_hi:[0,0,1]
	v_pk_fma_f32 v[78:79], v[80:81], v[70:71], v[78:79] op_sel:[0,0,1] op_sel_hi:[1,0,0]
	v_mov_b32_e32 v83, v79
	ds_load_b64 v[78:79], v72 offset:240
	v_pk_add_f32 v[30:31], v[30:31], v[84:85] neg_lo:[0,1] neg_hi:[0,1]
	v_pk_add_f32 v[24:25], v[24:25], v[82:83] neg_lo:[0,1] neg_hi:[0,1]
	s_wait_dscnt 0x0
	v_pk_mul_f32 v[68:69], v[78:79], v[68:69] op_sel:[0,1]
	s_delay_alu instid0(VALU_DEP_1) | instskip(SKIP_1) | instid1(VALU_DEP_1)
	v_pk_fma_f32 v[80:81], v[78:79], v[70:71], v[68:69] op_sel:[0,0,1] op_sel_hi:[1,1,0] neg_lo:[0,0,1] neg_hi:[0,0,1]
	v_pk_fma_f32 v[68:69], v[78:79], v[70:71], v[68:69] op_sel:[0,0,1] op_sel_hi:[1,0,0]
	v_mov_b32_e32 v81, v69
	s_delay_alu instid0(VALU_DEP_1)
	v_pk_add_f32 v[66:67], v[66:67], v[80:81] neg_lo:[0,1] neg_hi:[0,1]
.LBB60_251:
	s_or_b32 exec_lo, exec_lo, s0
	v_lshl_add_u32 v68, v76, 3, v72
	s_barrier_signal -1
	s_barrier_wait -1
	ds_store_b64 v68, v[48:49]
	s_wait_dscnt 0x0
	s_barrier_signal -1
	s_barrier_wait -1
	ds_load_b64 v[68:69], v72 offset:96
	v_mov_b32_e32 v70, 12
	s_cmp_lt_i32 s18, 14
	s_cbranch_scc1 .LBB60_254
; %bb.252:
	v_add3_u32 v71, v73, 0, 0x68
	v_mov_b32_e32 v70, 12
	s_mov_b32 s0, 13
.LBB60_253:                             ; =>This Inner Loop Header: Depth=1
	ds_load_b64 v[78:79], v71
	s_wait_dscnt 0x1
	v_cmp_gt_f32_e32 vcc_lo, 0, v68
	v_cndmask_b32_e64 v80, v68, -v68, vcc_lo
	v_cmp_gt_f32_e32 vcc_lo, 0, v69
	v_cndmask_b32_e64 v82, v69, -v69, vcc_lo
	s_wait_dscnt 0x0
	v_cmp_gt_f32_e32 vcc_lo, 0, v78
	v_cndmask_b32_e64 v81, v78, -v78, vcc_lo
	v_cmp_gt_f32_e32 vcc_lo, 0, v79
	v_cndmask_b32_e64 v83, v79, -v79, vcc_lo
	s_delay_alu instid0(VALU_DEP_1) | instskip(NEXT) | instid1(VALU_DEP_1)
	v_pk_add_f32 v[80:81], v[80:81], v[82:83]
	v_cmp_lt_f32_e32 vcc_lo, v80, v81
	v_dual_cndmask_b32 v68, v68, v78 :: v_dual_add_nc_u32 v71, 8, v71
	v_cndmask_b32_e32 v69, v69, v79, vcc_lo
	v_cndmask_b32_e64 v70, v70, s0, vcc_lo
	s_add_co_i32 s0, s0, 1
	s_delay_alu instid0(SALU_CYCLE_1)
	s_cmp_lg_u32 s18, s0
	s_cbranch_scc1 .LBB60_253
.LBB60_254:
	s_wait_dscnt 0x0
	v_cmp_eq_f32_e32 vcc_lo, 0, v68
	v_cmp_eq_f32_e64 s0, 0, v69
	s_and_b32 s0, vcc_lo, s0
	s_delay_alu instid0(SALU_CYCLE_1) | instskip(NEXT) | instid1(SALU_CYCLE_1)
	s_and_saveexec_b32 s1, s0
	s_xor_b32 s0, exec_lo, s1
; %bb.255:
	v_cmp_ne_u32_e32 vcc_lo, 0, v74
	v_cndmask_b32_e32 v74, 13, v74, vcc_lo
; %bb.256:
	s_and_not1_saveexec_b32 s0, s0
	s_cbranch_execz .LBB60_262
; %bb.257:
	v_cmp_ngt_f32_e64 s1, |v68|, |v69|
	s_and_saveexec_b32 s12, s1
	s_delay_alu instid0(SALU_CYCLE_1)
	s_xor_b32 s1, exec_lo, s12
	s_cbranch_execz .LBB60_259
; %bb.258:
	v_div_scale_f32 v71, null, v69, v69, v68
	v_div_scale_f32 v79, vcc_lo, v68, v69, v68
	s_delay_alu instid0(VALU_DEP_2) | instskip(SKIP_1) | instid1(TRANS32_DEP_1)
	v_rcp_f32_e32 v77, v71
	v_nop
	v_fma_f32 v78, -v71, v77, 1.0
	s_delay_alu instid0(VALU_DEP_1) | instskip(NEXT) | instid1(VALU_DEP_1)
	v_fmac_f32_e32 v77, v78, v77
	v_mul_f32_e32 v78, v79, v77
	s_delay_alu instid0(VALU_DEP_1) | instskip(NEXT) | instid1(VALU_DEP_1)
	v_fma_f32 v80, -v71, v78, v79
	v_fmac_f32_e32 v78, v80, v77
	s_delay_alu instid0(VALU_DEP_1) | instskip(NEXT) | instid1(VALU_DEP_1)
	v_fma_f32 v71, -v71, v78, v79
	v_div_fmas_f32 v71, v71, v77, v78
	s_delay_alu instid0(VALU_DEP_1) | instskip(NEXT) | instid1(VALU_DEP_1)
	v_div_fixup_f32 v71, v71, v69, v68
	v_fmac_f32_e32 v69, v68, v71
	s_delay_alu instid0(VALU_DEP_1) | instskip(SKIP_1) | instid1(VALU_DEP_2)
	v_div_scale_f32 v68, null, v69, v69, 1.0
	v_div_scale_f32 v79, vcc_lo, 1.0, v69, 1.0
	v_rcp_f32_e32 v77, v68
	v_nop
	s_delay_alu instid0(TRANS32_DEP_1) | instskip(NEXT) | instid1(VALU_DEP_1)
	v_fma_f32 v78, -v68, v77, 1.0
	v_fmac_f32_e32 v77, v78, v77
	s_delay_alu instid0(VALU_DEP_1) | instskip(NEXT) | instid1(VALU_DEP_1)
	v_mul_f32_e32 v78, v79, v77
	v_fma_f32 v80, -v68, v78, v79
	s_delay_alu instid0(VALU_DEP_1) | instskip(NEXT) | instid1(VALU_DEP_1)
	v_fmac_f32_e32 v78, v80, v77
	v_fma_f32 v68, -v68, v78, v79
	s_delay_alu instid0(VALU_DEP_1) | instskip(NEXT) | instid1(VALU_DEP_1)
	v_div_fmas_f32 v68, v68, v77, v78
	v_div_fixup_f32 v69, v68, v69, 1.0
	s_delay_alu instid0(VALU_DEP_1)
	v_mul_f32_e32 v68, v71, v69
	v_xor_b32_e32 v69, 0x80000000, v69
.LBB60_259:
	s_and_not1_saveexec_b32 s1, s1
	s_cbranch_execz .LBB60_261
; %bb.260:
	s_delay_alu instid0(VALU_DEP_1) | instskip(SKIP_1) | instid1(VALU_DEP_2)
	v_div_scale_f32 v71, null, v68, v68, v69
	v_div_scale_f32 v79, vcc_lo, v69, v68, v69
	v_rcp_f32_e32 v77, v71
	v_nop
	s_delay_alu instid0(TRANS32_DEP_1) | instskip(NEXT) | instid1(VALU_DEP_1)
	v_fma_f32 v78, -v71, v77, 1.0
	v_fmac_f32_e32 v77, v78, v77
	s_delay_alu instid0(VALU_DEP_1) | instskip(NEXT) | instid1(VALU_DEP_1)
	v_mul_f32_e32 v78, v79, v77
	v_fma_f32 v80, -v71, v78, v79
	s_delay_alu instid0(VALU_DEP_1) | instskip(NEXT) | instid1(VALU_DEP_1)
	v_fmac_f32_e32 v78, v80, v77
	v_fma_f32 v71, -v71, v78, v79
	s_delay_alu instid0(VALU_DEP_1) | instskip(NEXT) | instid1(VALU_DEP_1)
	v_div_fmas_f32 v71, v71, v77, v78
	v_div_fixup_f32 v71, v71, v68, v69
	s_delay_alu instid0(VALU_DEP_1) | instskip(NEXT) | instid1(VALU_DEP_1)
	v_fmac_f32_e32 v68, v69, v71
	v_div_scale_f32 v69, null, v68, v68, 1.0
	s_delay_alu instid0(VALU_DEP_1) | instskip(SKIP_1) | instid1(TRANS32_DEP_1)
	v_rcp_f32_e32 v77, v69
	v_nop
	v_fma_f32 v78, -v69, v77, 1.0
	s_delay_alu instid0(VALU_DEP_1) | instskip(SKIP_1) | instid1(VALU_DEP_1)
	v_fmac_f32_e32 v77, v78, v77
	v_div_scale_f32 v78, vcc_lo, 1.0, v68, 1.0
	v_mul_f32_e32 v79, v78, v77
	s_delay_alu instid0(VALU_DEP_1) | instskip(NEXT) | instid1(VALU_DEP_1)
	v_fma_f32 v80, -v69, v79, v78
	v_fmac_f32_e32 v79, v80, v77
	s_delay_alu instid0(VALU_DEP_1) | instskip(NEXT) | instid1(VALU_DEP_1)
	v_fma_f32 v69, -v69, v79, v78
	v_div_fmas_f32 v69, v69, v77, v79
	s_delay_alu instid0(VALU_DEP_1) | instskip(NEXT) | instid1(VALU_DEP_1)
	v_div_fixup_f32 v68, v69, v68, 1.0
	v_mul_f32_e64 v69, v71, -v68
.LBB60_261:
	s_or_b32 exec_lo, exec_lo, s1
.LBB60_262:
	s_delay_alu instid0(SALU_CYCLE_1) | instskip(NEXT) | instid1(SALU_CYCLE_1)
	s_or_b32 exec_lo, exec_lo, s0
	s_mov_b32 s0, exec_lo
	v_cmpx_ne_u32_e64 v76, v70
	s_xor_b32 s0, exec_lo, s0
	s_cbranch_execz .LBB60_268
; %bb.263:
	s_mov_b32 s1, exec_lo
	v_cmpx_eq_u32_e32 12, v76
	s_cbranch_execz .LBB60_267
; %bb.264:
	v_cmp_ne_u32_e32 vcc_lo, 12, v70
	s_xor_b32 s12, s16, -1
	s_delay_alu instid0(SALU_CYCLE_1) | instskip(NEXT) | instid1(SALU_CYCLE_1)
	s_and_b32 s13, s12, vcc_lo
	s_and_saveexec_b32 s12, s13
	s_cbranch_execz .LBB60_266
; %bb.265:
	v_ashrrev_i32_e32 v71, 31, v70
	s_delay_alu instid0(VALU_DEP_1)
	v_lshl_add_u64 v[76:77], v[70:71], 2, v[4:5]
	s_clause 0x1
	global_load_b32 v71, v[76:77], off
	global_load_b32 v75, v[4:5], off offset:48
	s_wait_loadcnt 0x1
	global_store_b32 v[4:5], v71, off offset:48
	s_wait_loadcnt 0x0
	global_store_b32 v[76:77], v75, off
.LBB60_266:
	s_wait_xcnt 0x0
	s_or_b32 exec_lo, exec_lo, s12
	v_dual_mov_b32 v76, v70 :: v_dual_mov_b32 v75, v70
.LBB60_267:
	s_or_b32 exec_lo, exec_lo, s1
.LBB60_268:
	s_and_not1_saveexec_b32 s0, s0
	s_cbranch_execz .LBB60_270
; %bb.269:
	v_mov_b32_e32 v76, 12
	ds_store_2addr_b64 v72, v[46:47], v[16:17] offset0:13 offset1:14
	ds_store_2addr_b64 v72, v[14:15], v[56:57] offset0:15 offset1:16
	ds_store_2addr_b64 v72, v[54:55], v[28:29] offset0:17 offset1:18
	ds_store_2addr_b64 v72, v[26:27], v[52:53] offset0:19 offset1:20
	ds_store_2addr_b64 v72, v[50:51], v[22:23] offset0:21 offset1:22
	ds_store_2addr_b64 v72, v[18:19], v[36:37] offset0:23 offset1:24
	ds_store_2addr_b64 v72, v[34:35], v[20:21] offset0:25 offset1:26
	ds_store_2addr_b64 v72, v[32:33], v[30:31] offset0:27 offset1:28
	ds_store_2addr_b64 v72, v[24:25], v[66:67] offset0:29 offset1:30
.LBB60_270:
	s_or_b32 exec_lo, exec_lo, s0
	s_delay_alu instid0(SALU_CYCLE_1)
	s_mov_b32 s0, exec_lo
	s_wait_storecnt_dscnt 0x0
	s_barrier_signal -1
	s_barrier_wait -1
	v_cmpx_lt_i32_e32 12, v76
	s_cbranch_execz .LBB60_272
; %bb.271:
	v_pk_mul_f32 v[78:79], v[68:69], v[48:49] op_sel:[1,1] op_sel_hi:[0,1]
	s_delay_alu instid0(VALU_DEP_1)
	v_pk_fma_f32 v[70:71], v[68:69], v[48:49], v[78:79] op_sel_hi:[1,0,1] neg_lo:[0,0,1] neg_hi:[0,0,1]
	v_pk_fma_f32 v[68:69], v[68:69], v[48:49], v[78:79] op_sel_hi:[1,0,1]
	ds_load_2addr_b64 v[78:81], v72 offset0:13 offset1:14
	v_dual_mov_b32 v48, v70 :: v_dual_mov_b32 v49, v69
	s_wait_dscnt 0x0
	v_pk_mul_f32 v[82:83], v[78:79], v[68:69] op_sel:[0,1]
	s_delay_alu instid0(VALU_DEP_1) | instskip(SKIP_1) | instid1(VALU_DEP_1)
	v_pk_fma_f32 v[84:85], v[78:79], v[70:71], v[82:83] op_sel:[0,0,1] op_sel_hi:[1,1,0] neg_lo:[0,0,1] neg_hi:[0,0,1]
	v_pk_fma_f32 v[78:79], v[78:79], v[70:71], v[82:83] op_sel:[0,0,1] op_sel_hi:[1,0,0]
	v_mov_b32_e32 v85, v79
	v_pk_mul_f32 v[78:79], v[80:81], v[68:69] op_sel:[0,1]
	s_delay_alu instid0(VALU_DEP_1) | instskip(SKIP_1) | instid1(VALU_DEP_1)
	v_pk_fma_f32 v[82:83], v[80:81], v[70:71], v[78:79] op_sel:[0,0,1] op_sel_hi:[1,1,0] neg_lo:[0,0,1] neg_hi:[0,0,1]
	v_pk_fma_f32 v[78:79], v[80:81], v[70:71], v[78:79] op_sel:[0,0,1] op_sel_hi:[1,0,0]
	v_mov_b32_e32 v83, v79
	ds_load_2addr_b64 v[78:81], v72 offset0:15 offset1:16
	v_pk_add_f32 v[46:47], v[46:47], v[84:85] neg_lo:[0,1] neg_hi:[0,1]
	v_pk_add_f32 v[16:17], v[16:17], v[82:83] neg_lo:[0,1] neg_hi:[0,1]
	s_wait_dscnt 0x0
	v_pk_mul_f32 v[82:83], v[78:79], v[68:69] op_sel:[0,1]
	s_delay_alu instid0(VALU_DEP_1) | instskip(SKIP_2) | instid1(VALU_DEP_2)
	v_pk_fma_f32 v[84:85], v[78:79], v[70:71], v[82:83] op_sel:[0,0,1] op_sel_hi:[1,1,0] neg_lo:[0,0,1] neg_hi:[0,0,1]
	v_pk_fma_f32 v[78:79], v[78:79], v[70:71], v[82:83] op_sel:[0,0,1] op_sel_hi:[1,0,0]
	v_dual_mul_f32 v82, v81, v69 :: v_dual_mov_b32 v78, v81
	v_dual_mov_b32 v85, v79 :: v_dual_mov_b32 v79, v80
	s_delay_alu instid0(VALU_DEP_2) | instskip(SKIP_1) | instid1(VALU_DEP_3)
	v_pk_fma_f32 v[82:83], v[80:81], v[48:49], v[82:83] op_sel_hi:[1,1,0] neg_lo:[0,0,1] neg_hi:[0,0,1]
	v_mul_f32_e32 v80, v81, v70
	v_pk_add_f32 v[14:15], v[14:15], v[84:85] neg_lo:[0,1] neg_hi:[0,1]
	s_delay_alu instid0(VALU_DEP_2) | instskip(NEXT) | instid1(VALU_DEP_1)
	v_pk_fma_f32 v[78:79], v[78:79], v[48:49], v[80:81] op_sel_hi:[1,1,0]
	v_mov_b32_e32 v83, v79
	ds_load_2addr_b64 v[78:81], v72 offset0:17 offset1:18
	v_pk_add_f32 v[56:57], v[56:57], v[82:83] neg_lo:[0,1] neg_hi:[0,1]
	s_wait_dscnt 0x0
	v_pk_mul_f32 v[82:83], v[78:79], v[68:69] op_sel:[0,1]
	s_delay_alu instid0(VALU_DEP_1) | instskip(SKIP_1) | instid1(VALU_DEP_1)
	v_pk_fma_f32 v[84:85], v[78:79], v[70:71], v[82:83] op_sel:[0,0,1] op_sel_hi:[1,1,0] neg_lo:[0,0,1] neg_hi:[0,0,1]
	v_pk_fma_f32 v[78:79], v[78:79], v[70:71], v[82:83] op_sel:[0,0,1] op_sel_hi:[1,0,0]
	v_mov_b32_e32 v85, v79
	v_pk_mul_f32 v[78:79], v[80:81], v[68:69] op_sel:[0,1]
	s_delay_alu instid0(VALU_DEP_1) | instskip(SKIP_1) | instid1(VALU_DEP_1)
	v_pk_fma_f32 v[82:83], v[80:81], v[70:71], v[78:79] op_sel:[0,0,1] op_sel_hi:[1,1,0] neg_lo:[0,0,1] neg_hi:[0,0,1]
	v_pk_fma_f32 v[78:79], v[80:81], v[70:71], v[78:79] op_sel:[0,0,1] op_sel_hi:[1,0,0]
	v_mov_b32_e32 v83, v79
	ds_load_2addr_b64 v[78:81], v72 offset0:19 offset1:20
	v_pk_add_f32 v[54:55], v[54:55], v[84:85] neg_lo:[0,1] neg_hi:[0,1]
	v_pk_add_f32 v[28:29], v[28:29], v[82:83] neg_lo:[0,1] neg_hi:[0,1]
	s_wait_dscnt 0x0
	v_pk_mul_f32 v[82:83], v[78:79], v[68:69] op_sel:[0,1]
	s_delay_alu instid0(VALU_DEP_1) | instskip(SKIP_1) | instid1(VALU_DEP_1)
	v_pk_fma_f32 v[84:85], v[78:79], v[70:71], v[82:83] op_sel:[0,0,1] op_sel_hi:[1,1,0] neg_lo:[0,0,1] neg_hi:[0,0,1]
	v_pk_fma_f32 v[78:79], v[78:79], v[70:71], v[82:83] op_sel:[0,0,1] op_sel_hi:[1,0,0]
	v_mov_b32_e32 v85, v79
	v_pk_mul_f32 v[78:79], v[80:81], v[68:69] op_sel:[0,1]
	s_delay_alu instid0(VALU_DEP_1) | instskip(SKIP_1) | instid1(VALU_DEP_1)
	v_pk_fma_f32 v[82:83], v[80:81], v[70:71], v[78:79] op_sel:[0,0,1] op_sel_hi:[1,1,0] neg_lo:[0,0,1] neg_hi:[0,0,1]
	v_pk_fma_f32 v[78:79], v[80:81], v[70:71], v[78:79] op_sel:[0,0,1] op_sel_hi:[1,0,0]
	v_mov_b32_e32 v83, v79
	ds_load_2addr_b64 v[78:81], v72 offset0:21 offset1:22
	v_pk_add_f32 v[26:27], v[26:27], v[84:85] neg_lo:[0,1] neg_hi:[0,1]
	v_pk_add_f32 v[52:53], v[52:53], v[82:83] neg_lo:[0,1] neg_hi:[0,1]
	s_wait_dscnt 0x0
	v_dual_mul_f32 v82, v79, v69 :: v_dual_mul_f32 v84, v79, v70
	s_delay_alu instid0(VALU_DEP_1) | instskip(NEXT) | instid1(VALU_DEP_2)
	v_pk_fma_f32 v[82:83], v[78:79], v[48:49], v[82:83] op_sel_hi:[1,1,0] neg_lo:[0,0,1] neg_hi:[0,0,1]
	v_pk_fma_f32 v[78:79], v[78:79], v[48:49], v[84:85] op_sel:[1,0,0] op_sel_hi:[0,1,0]
	s_delay_alu instid0(VALU_DEP_1) | instskip(SKIP_1) | instid1(VALU_DEP_2)
	v_mov_b32_e32 v83, v79
	v_pk_mul_f32 v[78:79], v[80:81], v[68:69] op_sel:[0,1]
	v_pk_add_f32 v[50:51], v[50:51], v[82:83] neg_lo:[0,1] neg_hi:[0,1]
	s_delay_alu instid0(VALU_DEP_2) | instskip(SKIP_1) | instid1(VALU_DEP_1)
	v_pk_fma_f32 v[82:83], v[80:81], v[70:71], v[78:79] op_sel:[0,0,1] op_sel_hi:[1,1,0] neg_lo:[0,0,1] neg_hi:[0,0,1]
	v_pk_fma_f32 v[78:79], v[80:81], v[70:71], v[78:79] op_sel:[0,0,1] op_sel_hi:[1,0,0]
	v_mov_b32_e32 v83, v79
	ds_load_2addr_b64 v[78:81], v72 offset0:23 offset1:24
	v_pk_add_f32 v[22:23], v[22:23], v[82:83] neg_lo:[0,1] neg_hi:[0,1]
	s_wait_dscnt 0x0
	v_pk_mul_f32 v[82:83], v[78:79], v[68:69] op_sel:[0,1]
	s_delay_alu instid0(VALU_DEP_1) | instskip(SKIP_1) | instid1(VALU_DEP_1)
	v_pk_fma_f32 v[84:85], v[78:79], v[70:71], v[82:83] op_sel:[0,0,1] op_sel_hi:[1,1,0] neg_lo:[0,0,1] neg_hi:[0,0,1]
	v_pk_fma_f32 v[78:79], v[78:79], v[70:71], v[82:83] op_sel:[0,0,1] op_sel_hi:[1,0,0]
	v_mov_b32_e32 v85, v79
	v_pk_mul_f32 v[78:79], v[80:81], v[68:69] op_sel:[0,1]
	s_delay_alu instid0(VALU_DEP_2) | instskip(NEXT) | instid1(VALU_DEP_2)
	v_pk_add_f32 v[18:19], v[18:19], v[84:85] neg_lo:[0,1] neg_hi:[0,1]
	v_pk_fma_f32 v[82:83], v[80:81], v[70:71], v[78:79] op_sel:[0,0,1] op_sel_hi:[1,1,0] neg_lo:[0,0,1] neg_hi:[0,0,1]
	v_pk_fma_f32 v[78:79], v[80:81], v[70:71], v[78:79] op_sel:[0,0,1] op_sel_hi:[1,0,0]
	s_delay_alu instid0(VALU_DEP_1) | instskip(SKIP_4) | instid1(VALU_DEP_1)
	v_mov_b32_e32 v83, v79
	ds_load_2addr_b64 v[78:81], v72 offset0:25 offset1:26
	v_pk_add_f32 v[36:37], v[36:37], v[82:83] neg_lo:[0,1] neg_hi:[0,1]
	s_wait_dscnt 0x0
	v_pk_mul_f32 v[82:83], v[78:79], v[68:69] op_sel:[0,1]
	v_pk_fma_f32 v[84:85], v[78:79], v[70:71], v[82:83] op_sel:[0,0,1] op_sel_hi:[1,1,0] neg_lo:[0,0,1] neg_hi:[0,0,1]
	v_pk_fma_f32 v[78:79], v[78:79], v[70:71], v[82:83] op_sel:[0,0,1] op_sel_hi:[1,0,0]
	v_dual_mul_f32 v82, v81, v69 :: v_dual_mov_b32 v78, v81
	s_delay_alu instid0(VALU_DEP_2) | instskip(NEXT) | instid1(VALU_DEP_2)
	v_dual_mov_b32 v85, v79 :: v_dual_mov_b32 v79, v80
	v_pk_fma_f32 v[82:83], v[80:81], v[48:49], v[82:83] op_sel_hi:[1,1,0] neg_lo:[0,0,1] neg_hi:[0,0,1]
	v_mul_f32_e32 v80, v81, v70
	s_delay_alu instid0(VALU_DEP_3) | instskip(NEXT) | instid1(VALU_DEP_2)
	v_pk_add_f32 v[34:35], v[34:35], v[84:85] neg_lo:[0,1] neg_hi:[0,1]
	v_pk_fma_f32 v[78:79], v[78:79], v[48:49], v[80:81] op_sel_hi:[1,1,0]
	s_delay_alu instid0(VALU_DEP_1) | instskip(SKIP_4) | instid1(VALU_DEP_1)
	v_mov_b32_e32 v83, v79
	ds_load_2addr_b64 v[78:81], v72 offset0:27 offset1:28
	v_pk_add_f32 v[20:21], v[20:21], v[82:83] neg_lo:[0,1] neg_hi:[0,1]
	s_wait_dscnt 0x0
	v_pk_mul_f32 v[82:83], v[78:79], v[68:69] op_sel:[0,1]
	v_pk_fma_f32 v[84:85], v[78:79], v[70:71], v[82:83] op_sel:[0,0,1] op_sel_hi:[1,1,0] neg_lo:[0,0,1] neg_hi:[0,0,1]
	v_pk_fma_f32 v[78:79], v[78:79], v[70:71], v[82:83] op_sel:[0,0,1] op_sel_hi:[1,0,0]
	s_delay_alu instid0(VALU_DEP_1) | instskip(SKIP_1) | instid1(VALU_DEP_1)
	v_mov_b32_e32 v85, v79
	v_pk_mul_f32 v[78:79], v[80:81], v[68:69] op_sel:[0,1]
	v_pk_fma_f32 v[82:83], v[80:81], v[70:71], v[78:79] op_sel:[0,0,1] op_sel_hi:[1,1,0] neg_lo:[0,0,1] neg_hi:[0,0,1]
	v_pk_fma_f32 v[78:79], v[80:81], v[70:71], v[78:79] op_sel:[0,0,1] op_sel_hi:[1,0,0]
	s_delay_alu instid0(VALU_DEP_1)
	v_mov_b32_e32 v83, v79
	ds_load_2addr_b64 v[78:81], v72 offset0:29 offset1:30
	v_pk_add_f32 v[32:33], v[32:33], v[84:85] neg_lo:[0,1] neg_hi:[0,1]
	v_pk_add_f32 v[30:31], v[30:31], v[82:83] neg_lo:[0,1] neg_hi:[0,1]
	s_wait_dscnt 0x0
	v_pk_mul_f32 v[82:83], v[78:79], v[68:69] op_sel:[0,1]
	v_mul_f32_e32 v68, v81, v69
	s_delay_alu instid0(VALU_DEP_2) | instskip(SKIP_2) | instid1(VALU_DEP_4)
	v_pk_fma_f32 v[84:85], v[78:79], v[70:71], v[82:83] op_sel:[0,0,1] op_sel_hi:[1,1,0] neg_lo:[0,0,1] neg_hi:[0,0,1]
	v_pk_fma_f32 v[78:79], v[78:79], v[70:71], v[82:83] op_sel:[0,0,1] op_sel_hi:[1,0,0]
	v_dual_mov_b32 v78, v81 :: v_dual_mul_f32 v70, v81, v70
	v_pk_fma_f32 v[68:69], v[80:81], v[48:49], v[68:69] op_sel_hi:[1,1,0] neg_lo:[0,0,1] neg_hi:[0,0,1]
	s_delay_alu instid0(VALU_DEP_3) | instskip(NEXT) | instid1(VALU_DEP_1)
	v_dual_mov_b32 v85, v79 :: v_dual_mov_b32 v79, v80
	v_pk_add_f32 v[24:25], v[24:25], v[84:85] neg_lo:[0,1] neg_hi:[0,1]
	s_delay_alu instid0(VALU_DEP_2) | instskip(NEXT) | instid1(VALU_DEP_1)
	v_pk_fma_f32 v[70:71], v[78:79], v[48:49], v[70:71] op_sel_hi:[1,1,0]
	v_mov_b32_e32 v69, v71
	s_delay_alu instid0(VALU_DEP_1)
	v_pk_add_f32 v[66:67], v[66:67], v[68:69] neg_lo:[0,1] neg_hi:[0,1]
.LBB60_272:
	s_or_b32 exec_lo, exec_lo, s0
	v_lshl_add_u32 v68, v76, 3, v72
	s_barrier_signal -1
	s_barrier_wait -1
	ds_store_b64 v68, v[46:47]
	s_wait_dscnt 0x0
	s_barrier_signal -1
	s_barrier_wait -1
	ds_load_b64 v[68:69], v72 offset:104
	v_mov_b32_e32 v70, 13
	s_cmp_lt_i32 s18, 15
	s_cbranch_scc1 .LBB60_275
; %bb.273:
	v_add3_u32 v71, v73, 0, 0x70
	v_mov_b32_e32 v70, 13
	s_mov_b32 s0, 14
.LBB60_274:                             ; =>This Inner Loop Header: Depth=1
	ds_load_b64 v[78:79], v71
	s_wait_dscnt 0x1
	v_cmp_gt_f32_e32 vcc_lo, 0, v68
	v_cndmask_b32_e64 v80, v68, -v68, vcc_lo
	v_cmp_gt_f32_e32 vcc_lo, 0, v69
	v_cndmask_b32_e64 v82, v69, -v69, vcc_lo
	s_wait_dscnt 0x0
	v_cmp_gt_f32_e32 vcc_lo, 0, v78
	v_cndmask_b32_e64 v81, v78, -v78, vcc_lo
	v_cmp_gt_f32_e32 vcc_lo, 0, v79
	v_cndmask_b32_e64 v83, v79, -v79, vcc_lo
	s_delay_alu instid0(VALU_DEP_1) | instskip(NEXT) | instid1(VALU_DEP_1)
	v_pk_add_f32 v[80:81], v[80:81], v[82:83]
	v_cmp_lt_f32_e32 vcc_lo, v80, v81
	v_dual_cndmask_b32 v68, v68, v78 :: v_dual_add_nc_u32 v71, 8, v71
	v_cndmask_b32_e32 v69, v69, v79, vcc_lo
	v_cndmask_b32_e64 v70, v70, s0, vcc_lo
	s_add_co_i32 s0, s0, 1
	s_delay_alu instid0(SALU_CYCLE_1)
	s_cmp_lg_u32 s18, s0
	s_cbranch_scc1 .LBB60_274
.LBB60_275:
	s_wait_dscnt 0x0
	v_cmp_eq_f32_e32 vcc_lo, 0, v68
	v_cmp_eq_f32_e64 s0, 0, v69
	s_and_b32 s0, vcc_lo, s0
	s_delay_alu instid0(SALU_CYCLE_1) | instskip(NEXT) | instid1(SALU_CYCLE_1)
	s_and_saveexec_b32 s1, s0
	s_xor_b32 s0, exec_lo, s1
; %bb.276:
	v_cmp_ne_u32_e32 vcc_lo, 0, v74
	v_cndmask_b32_e32 v74, 14, v74, vcc_lo
; %bb.277:
	s_and_not1_saveexec_b32 s0, s0
	s_cbranch_execz .LBB60_283
; %bb.278:
	v_cmp_ngt_f32_e64 s1, |v68|, |v69|
	s_and_saveexec_b32 s12, s1
	s_delay_alu instid0(SALU_CYCLE_1)
	s_xor_b32 s1, exec_lo, s12
	s_cbranch_execz .LBB60_280
; %bb.279:
	v_div_scale_f32 v71, null, v69, v69, v68
	v_div_scale_f32 v79, vcc_lo, v68, v69, v68
	s_delay_alu instid0(VALU_DEP_2) | instskip(SKIP_1) | instid1(TRANS32_DEP_1)
	v_rcp_f32_e32 v77, v71
	v_nop
	v_fma_f32 v78, -v71, v77, 1.0
	s_delay_alu instid0(VALU_DEP_1) | instskip(NEXT) | instid1(VALU_DEP_1)
	v_fmac_f32_e32 v77, v78, v77
	v_mul_f32_e32 v78, v79, v77
	s_delay_alu instid0(VALU_DEP_1) | instskip(NEXT) | instid1(VALU_DEP_1)
	v_fma_f32 v80, -v71, v78, v79
	v_fmac_f32_e32 v78, v80, v77
	s_delay_alu instid0(VALU_DEP_1) | instskip(NEXT) | instid1(VALU_DEP_1)
	v_fma_f32 v71, -v71, v78, v79
	v_div_fmas_f32 v71, v71, v77, v78
	s_delay_alu instid0(VALU_DEP_1) | instskip(NEXT) | instid1(VALU_DEP_1)
	v_div_fixup_f32 v71, v71, v69, v68
	v_fmac_f32_e32 v69, v68, v71
	s_delay_alu instid0(VALU_DEP_1) | instskip(SKIP_1) | instid1(VALU_DEP_2)
	v_div_scale_f32 v68, null, v69, v69, 1.0
	v_div_scale_f32 v79, vcc_lo, 1.0, v69, 1.0
	v_rcp_f32_e32 v77, v68
	v_nop
	s_delay_alu instid0(TRANS32_DEP_1) | instskip(NEXT) | instid1(VALU_DEP_1)
	v_fma_f32 v78, -v68, v77, 1.0
	v_fmac_f32_e32 v77, v78, v77
	s_delay_alu instid0(VALU_DEP_1) | instskip(NEXT) | instid1(VALU_DEP_1)
	v_mul_f32_e32 v78, v79, v77
	v_fma_f32 v80, -v68, v78, v79
	s_delay_alu instid0(VALU_DEP_1) | instskip(NEXT) | instid1(VALU_DEP_1)
	v_fmac_f32_e32 v78, v80, v77
	v_fma_f32 v68, -v68, v78, v79
	s_delay_alu instid0(VALU_DEP_1) | instskip(NEXT) | instid1(VALU_DEP_1)
	v_div_fmas_f32 v68, v68, v77, v78
	v_div_fixup_f32 v69, v68, v69, 1.0
	s_delay_alu instid0(VALU_DEP_1)
	v_mul_f32_e32 v68, v71, v69
	v_xor_b32_e32 v69, 0x80000000, v69
.LBB60_280:
	s_and_not1_saveexec_b32 s1, s1
	s_cbranch_execz .LBB60_282
; %bb.281:
	s_delay_alu instid0(VALU_DEP_1) | instskip(SKIP_1) | instid1(VALU_DEP_2)
	v_div_scale_f32 v71, null, v68, v68, v69
	v_div_scale_f32 v79, vcc_lo, v69, v68, v69
	v_rcp_f32_e32 v77, v71
	v_nop
	s_delay_alu instid0(TRANS32_DEP_1) | instskip(NEXT) | instid1(VALU_DEP_1)
	v_fma_f32 v78, -v71, v77, 1.0
	v_fmac_f32_e32 v77, v78, v77
	s_delay_alu instid0(VALU_DEP_1) | instskip(NEXT) | instid1(VALU_DEP_1)
	v_mul_f32_e32 v78, v79, v77
	v_fma_f32 v80, -v71, v78, v79
	s_delay_alu instid0(VALU_DEP_1) | instskip(NEXT) | instid1(VALU_DEP_1)
	v_fmac_f32_e32 v78, v80, v77
	v_fma_f32 v71, -v71, v78, v79
	s_delay_alu instid0(VALU_DEP_1) | instskip(NEXT) | instid1(VALU_DEP_1)
	v_div_fmas_f32 v71, v71, v77, v78
	v_div_fixup_f32 v71, v71, v68, v69
	s_delay_alu instid0(VALU_DEP_1) | instskip(NEXT) | instid1(VALU_DEP_1)
	v_fmac_f32_e32 v68, v69, v71
	v_div_scale_f32 v69, null, v68, v68, 1.0
	s_delay_alu instid0(VALU_DEP_1) | instskip(SKIP_1) | instid1(TRANS32_DEP_1)
	v_rcp_f32_e32 v77, v69
	v_nop
	v_fma_f32 v78, -v69, v77, 1.0
	s_delay_alu instid0(VALU_DEP_1) | instskip(SKIP_1) | instid1(VALU_DEP_1)
	v_fmac_f32_e32 v77, v78, v77
	v_div_scale_f32 v78, vcc_lo, 1.0, v68, 1.0
	v_mul_f32_e32 v79, v78, v77
	s_delay_alu instid0(VALU_DEP_1) | instskip(NEXT) | instid1(VALU_DEP_1)
	v_fma_f32 v80, -v69, v79, v78
	v_fmac_f32_e32 v79, v80, v77
	s_delay_alu instid0(VALU_DEP_1) | instskip(NEXT) | instid1(VALU_DEP_1)
	v_fma_f32 v69, -v69, v79, v78
	v_div_fmas_f32 v69, v69, v77, v79
	s_delay_alu instid0(VALU_DEP_1) | instskip(NEXT) | instid1(VALU_DEP_1)
	v_div_fixup_f32 v68, v69, v68, 1.0
	v_mul_f32_e64 v69, v71, -v68
.LBB60_282:
	s_or_b32 exec_lo, exec_lo, s1
.LBB60_283:
	s_delay_alu instid0(SALU_CYCLE_1) | instskip(NEXT) | instid1(SALU_CYCLE_1)
	s_or_b32 exec_lo, exec_lo, s0
	s_mov_b32 s0, exec_lo
	v_cmpx_ne_u32_e64 v76, v70
	s_xor_b32 s0, exec_lo, s0
	s_cbranch_execz .LBB60_289
; %bb.284:
	s_mov_b32 s1, exec_lo
	v_cmpx_eq_u32_e32 13, v76
	s_cbranch_execz .LBB60_288
; %bb.285:
	v_cmp_ne_u32_e32 vcc_lo, 13, v70
	s_xor_b32 s12, s16, -1
	s_delay_alu instid0(SALU_CYCLE_1) | instskip(NEXT) | instid1(SALU_CYCLE_1)
	s_and_b32 s13, s12, vcc_lo
	s_and_saveexec_b32 s12, s13
	s_cbranch_execz .LBB60_287
; %bb.286:
	v_ashrrev_i32_e32 v71, 31, v70
	s_delay_alu instid0(VALU_DEP_1)
	v_lshl_add_u64 v[76:77], v[70:71], 2, v[4:5]
	s_clause 0x1
	global_load_b32 v71, v[76:77], off
	global_load_b32 v75, v[4:5], off offset:52
	s_wait_loadcnt 0x1
	global_store_b32 v[4:5], v71, off offset:52
	s_wait_loadcnt 0x0
	global_store_b32 v[76:77], v75, off
.LBB60_287:
	s_wait_xcnt 0x0
	s_or_b32 exec_lo, exec_lo, s12
	v_dual_mov_b32 v76, v70 :: v_dual_mov_b32 v75, v70
.LBB60_288:
	s_or_b32 exec_lo, exec_lo, s1
.LBB60_289:
	s_and_not1_saveexec_b32 s0, s0
	s_cbranch_execz .LBB60_291
; %bb.290:
	v_dual_mov_b32 v70, v16 :: v_dual_mov_b32 v71, v17
	v_dual_mov_b32 v76, v14 :: v_dual_mov_b32 v77, v15
	;; [unrolled: 1-line block ×8, first 2 shown]
	ds_store_2addr_b64 v72, v[70:71], v[76:77] offset0:14 offset1:15
	ds_store_2addr_b64 v72, v[78:79], v[80:81] offset0:16 offset1:17
	;; [unrolled: 1-line block ×4, first 2 shown]
	v_dual_mov_b32 v70, v22 :: v_dual_mov_b32 v71, v23
	v_dual_mov_b32 v78, v18 :: v_dual_mov_b32 v79, v19
	;; [unrolled: 1-line block ×8, first 2 shown]
	v_mov_b32_e32 v91, v25
	ds_store_2addr_b64 v72, v[70:71], v[78:79] offset0:22 offset1:23
	ds_store_2addr_b64 v72, v[80:81], v[82:83] offset0:24 offset1:25
	;; [unrolled: 1-line block ×4, first 2 shown]
	ds_store_b64 v72, v[66:67] offset:240
.LBB60_291:
	s_or_b32 exec_lo, exec_lo, s0
	s_delay_alu instid0(SALU_CYCLE_1)
	s_mov_b32 s0, exec_lo
	s_wait_storecnt_dscnt 0x0
	s_barrier_signal -1
	s_barrier_wait -1
	v_cmpx_lt_i32_e32 13, v76
	s_cbranch_execz .LBB60_293
; %bb.292:
	v_pk_mul_f32 v[78:79], v[68:69], v[46:47] op_sel:[1,1] op_sel_hi:[0,1]
	s_delay_alu instid0(VALU_DEP_1)
	v_pk_fma_f32 v[70:71], v[68:69], v[46:47], v[78:79] op_sel_hi:[1,0,1] neg_lo:[0,0,1] neg_hi:[0,0,1]
	v_pk_fma_f32 v[68:69], v[68:69], v[46:47], v[78:79] op_sel_hi:[1,0,1]
	ds_load_2addr_b64 v[78:81], v72 offset0:14 offset1:15
	v_dual_mov_b32 v46, v70 :: v_dual_mov_b32 v47, v69
	s_wait_dscnt 0x0
	v_pk_mul_f32 v[82:83], v[78:79], v[68:69] op_sel:[0,1]
	s_delay_alu instid0(VALU_DEP_1) | instskip(SKIP_1) | instid1(VALU_DEP_1)
	v_pk_fma_f32 v[84:85], v[78:79], v[70:71], v[82:83] op_sel:[0,0,1] op_sel_hi:[1,1,0] neg_lo:[0,0,1] neg_hi:[0,0,1]
	v_pk_fma_f32 v[78:79], v[78:79], v[70:71], v[82:83] op_sel:[0,0,1] op_sel_hi:[1,0,0]
	v_mov_b32_e32 v85, v79
	v_pk_mul_f32 v[78:79], v[80:81], v[68:69] op_sel:[0,1]
	s_delay_alu instid0(VALU_DEP_1) | instskip(SKIP_1) | instid1(VALU_DEP_1)
	v_pk_fma_f32 v[82:83], v[80:81], v[70:71], v[78:79] op_sel:[0,0,1] op_sel_hi:[1,1,0] neg_lo:[0,0,1] neg_hi:[0,0,1]
	v_pk_fma_f32 v[78:79], v[80:81], v[70:71], v[78:79] op_sel:[0,0,1] op_sel_hi:[1,0,0]
	v_mov_b32_e32 v83, v79
	ds_load_2addr_b64 v[78:81], v72 offset0:16 offset1:17
	v_pk_add_f32 v[16:17], v[16:17], v[84:85] neg_lo:[0,1] neg_hi:[0,1]
	v_pk_add_f32 v[14:15], v[14:15], v[82:83] neg_lo:[0,1] neg_hi:[0,1]
	s_wait_dscnt 0x0
	v_pk_mul_f32 v[82:83], v[78:79], v[68:69] op_sel:[0,1]
	s_delay_alu instid0(VALU_DEP_1) | instskip(SKIP_2) | instid1(VALU_DEP_2)
	v_pk_fma_f32 v[84:85], v[78:79], v[70:71], v[82:83] op_sel:[0,0,1] op_sel_hi:[1,1,0] neg_lo:[0,0,1] neg_hi:[0,0,1]
	v_pk_fma_f32 v[78:79], v[78:79], v[70:71], v[82:83] op_sel:[0,0,1] op_sel_hi:[1,0,0]
	v_dual_mul_f32 v82, v81, v69 :: v_dual_mov_b32 v78, v81
	v_dual_mov_b32 v85, v79 :: v_dual_mov_b32 v79, v80
	s_delay_alu instid0(VALU_DEP_2) | instskip(SKIP_1) | instid1(VALU_DEP_3)
	v_pk_fma_f32 v[82:83], v[80:81], v[46:47], v[82:83] op_sel_hi:[1,1,0] neg_lo:[0,0,1] neg_hi:[0,0,1]
	v_mul_f32_e32 v80, v81, v70
	v_pk_add_f32 v[56:57], v[56:57], v[84:85] neg_lo:[0,1] neg_hi:[0,1]
	s_delay_alu instid0(VALU_DEP_2) | instskip(NEXT) | instid1(VALU_DEP_1)
	v_pk_fma_f32 v[78:79], v[78:79], v[46:47], v[80:81] op_sel_hi:[1,1,0]
	v_mov_b32_e32 v83, v79
	ds_load_2addr_b64 v[78:81], v72 offset0:18 offset1:19
	v_pk_add_f32 v[54:55], v[54:55], v[82:83] neg_lo:[0,1] neg_hi:[0,1]
	s_wait_dscnt 0x0
	v_pk_mul_f32 v[82:83], v[78:79], v[68:69] op_sel:[0,1]
	s_delay_alu instid0(VALU_DEP_1) | instskip(SKIP_1) | instid1(VALU_DEP_1)
	v_pk_fma_f32 v[84:85], v[78:79], v[70:71], v[82:83] op_sel:[0,0,1] op_sel_hi:[1,1,0] neg_lo:[0,0,1] neg_hi:[0,0,1]
	v_pk_fma_f32 v[78:79], v[78:79], v[70:71], v[82:83] op_sel:[0,0,1] op_sel_hi:[1,0,0]
	v_mov_b32_e32 v85, v79
	v_pk_mul_f32 v[78:79], v[80:81], v[68:69] op_sel:[0,1]
	s_delay_alu instid0(VALU_DEP_1) | instskip(SKIP_1) | instid1(VALU_DEP_1)
	v_pk_fma_f32 v[82:83], v[80:81], v[70:71], v[78:79] op_sel:[0,0,1] op_sel_hi:[1,1,0] neg_lo:[0,0,1] neg_hi:[0,0,1]
	v_pk_fma_f32 v[78:79], v[80:81], v[70:71], v[78:79] op_sel:[0,0,1] op_sel_hi:[1,0,0]
	v_mov_b32_e32 v83, v79
	ds_load_2addr_b64 v[78:81], v72 offset0:20 offset1:21
	v_pk_add_f32 v[28:29], v[28:29], v[84:85] neg_lo:[0,1] neg_hi:[0,1]
	v_pk_add_f32 v[26:27], v[26:27], v[82:83] neg_lo:[0,1] neg_hi:[0,1]
	s_wait_dscnt 0x0
	v_pk_mul_f32 v[82:83], v[78:79], v[68:69] op_sel:[0,1]
	s_delay_alu instid0(VALU_DEP_1) | instskip(SKIP_1) | instid1(VALU_DEP_1)
	v_pk_fma_f32 v[84:85], v[78:79], v[70:71], v[82:83] op_sel:[0,0,1] op_sel_hi:[1,1,0] neg_lo:[0,0,1] neg_hi:[0,0,1]
	v_pk_fma_f32 v[78:79], v[78:79], v[70:71], v[82:83] op_sel:[0,0,1] op_sel_hi:[1,0,0]
	v_mov_b32_e32 v85, v79
	v_pk_mul_f32 v[78:79], v[80:81], v[68:69] op_sel:[0,1]
	s_delay_alu instid0(VALU_DEP_1) | instskip(SKIP_1) | instid1(VALU_DEP_1)
	v_pk_fma_f32 v[82:83], v[80:81], v[70:71], v[78:79] op_sel:[0,0,1] op_sel_hi:[1,1,0] neg_lo:[0,0,1] neg_hi:[0,0,1]
	v_pk_fma_f32 v[78:79], v[80:81], v[70:71], v[78:79] op_sel:[0,0,1] op_sel_hi:[1,0,0]
	v_mov_b32_e32 v83, v79
	ds_load_2addr_b64 v[78:81], v72 offset0:22 offset1:23
	v_pk_add_f32 v[52:53], v[52:53], v[84:85] neg_lo:[0,1] neg_hi:[0,1]
	v_pk_add_f32 v[50:51], v[50:51], v[82:83] neg_lo:[0,1] neg_hi:[0,1]
	s_wait_dscnt 0x0
	v_dual_mul_f32 v82, v79, v69 :: v_dual_mul_f32 v84, v79, v70
	s_delay_alu instid0(VALU_DEP_1) | instskip(NEXT) | instid1(VALU_DEP_2)
	v_pk_fma_f32 v[82:83], v[78:79], v[46:47], v[82:83] op_sel_hi:[1,1,0] neg_lo:[0,0,1] neg_hi:[0,0,1]
	v_pk_fma_f32 v[78:79], v[78:79], v[46:47], v[84:85] op_sel:[1,0,0] op_sel_hi:[0,1,0]
	s_delay_alu instid0(VALU_DEP_1) | instskip(SKIP_1) | instid1(VALU_DEP_2)
	v_mov_b32_e32 v83, v79
	v_pk_mul_f32 v[78:79], v[80:81], v[68:69] op_sel:[0,1]
	v_pk_add_f32 v[22:23], v[22:23], v[82:83] neg_lo:[0,1] neg_hi:[0,1]
	s_delay_alu instid0(VALU_DEP_2) | instskip(SKIP_1) | instid1(VALU_DEP_1)
	v_pk_fma_f32 v[82:83], v[80:81], v[70:71], v[78:79] op_sel:[0,0,1] op_sel_hi:[1,1,0] neg_lo:[0,0,1] neg_hi:[0,0,1]
	v_pk_fma_f32 v[78:79], v[80:81], v[70:71], v[78:79] op_sel:[0,0,1] op_sel_hi:[1,0,0]
	v_mov_b32_e32 v83, v79
	ds_load_2addr_b64 v[78:81], v72 offset0:24 offset1:25
	v_pk_add_f32 v[18:19], v[18:19], v[82:83] neg_lo:[0,1] neg_hi:[0,1]
	s_wait_dscnt 0x0
	v_pk_mul_f32 v[82:83], v[78:79], v[68:69] op_sel:[0,1]
	s_delay_alu instid0(VALU_DEP_1) | instskip(SKIP_1) | instid1(VALU_DEP_1)
	v_pk_fma_f32 v[84:85], v[78:79], v[70:71], v[82:83] op_sel:[0,0,1] op_sel_hi:[1,1,0] neg_lo:[0,0,1] neg_hi:[0,0,1]
	v_pk_fma_f32 v[78:79], v[78:79], v[70:71], v[82:83] op_sel:[0,0,1] op_sel_hi:[1,0,0]
	v_mov_b32_e32 v85, v79
	v_pk_mul_f32 v[78:79], v[80:81], v[68:69] op_sel:[0,1]
	s_delay_alu instid0(VALU_DEP_2) | instskip(NEXT) | instid1(VALU_DEP_2)
	v_pk_add_f32 v[36:37], v[36:37], v[84:85] neg_lo:[0,1] neg_hi:[0,1]
	v_pk_fma_f32 v[82:83], v[80:81], v[70:71], v[78:79] op_sel:[0,0,1] op_sel_hi:[1,1,0] neg_lo:[0,0,1] neg_hi:[0,0,1]
	v_pk_fma_f32 v[78:79], v[80:81], v[70:71], v[78:79] op_sel:[0,0,1] op_sel_hi:[1,0,0]
	s_delay_alu instid0(VALU_DEP_1) | instskip(SKIP_4) | instid1(VALU_DEP_1)
	v_mov_b32_e32 v83, v79
	ds_load_2addr_b64 v[78:81], v72 offset0:26 offset1:27
	v_pk_add_f32 v[34:35], v[34:35], v[82:83] neg_lo:[0,1] neg_hi:[0,1]
	s_wait_dscnt 0x0
	v_pk_mul_f32 v[82:83], v[78:79], v[68:69] op_sel:[0,1]
	v_pk_fma_f32 v[84:85], v[78:79], v[70:71], v[82:83] op_sel:[0,0,1] op_sel_hi:[1,1,0] neg_lo:[0,0,1] neg_hi:[0,0,1]
	v_pk_fma_f32 v[78:79], v[78:79], v[70:71], v[82:83] op_sel:[0,0,1] op_sel_hi:[1,0,0]
	v_dual_mul_f32 v82, v81, v69 :: v_dual_mov_b32 v78, v81
	s_delay_alu instid0(VALU_DEP_2) | instskip(NEXT) | instid1(VALU_DEP_2)
	v_dual_mov_b32 v85, v79 :: v_dual_mov_b32 v79, v80
	v_pk_fma_f32 v[82:83], v[80:81], v[46:47], v[82:83] op_sel_hi:[1,1,0] neg_lo:[0,0,1] neg_hi:[0,0,1]
	v_mul_f32_e32 v80, v81, v70
	s_delay_alu instid0(VALU_DEP_3) | instskip(NEXT) | instid1(VALU_DEP_2)
	v_pk_add_f32 v[20:21], v[20:21], v[84:85] neg_lo:[0,1] neg_hi:[0,1]
	v_pk_fma_f32 v[78:79], v[78:79], v[46:47], v[80:81] op_sel_hi:[1,1,0]
	s_delay_alu instid0(VALU_DEP_1) | instskip(SKIP_4) | instid1(VALU_DEP_1)
	v_mov_b32_e32 v83, v79
	ds_load_2addr_b64 v[78:81], v72 offset0:28 offset1:29
	v_pk_add_f32 v[32:33], v[32:33], v[82:83] neg_lo:[0,1] neg_hi:[0,1]
	s_wait_dscnt 0x0
	v_pk_mul_f32 v[82:83], v[78:79], v[68:69] op_sel:[0,1]
	v_pk_fma_f32 v[84:85], v[78:79], v[70:71], v[82:83] op_sel:[0,0,1] op_sel_hi:[1,1,0] neg_lo:[0,0,1] neg_hi:[0,0,1]
	v_pk_fma_f32 v[78:79], v[78:79], v[70:71], v[82:83] op_sel:[0,0,1] op_sel_hi:[1,0,0]
	s_delay_alu instid0(VALU_DEP_1) | instskip(SKIP_1) | instid1(VALU_DEP_1)
	v_mov_b32_e32 v85, v79
	v_pk_mul_f32 v[78:79], v[80:81], v[68:69] op_sel:[0,1]
	v_pk_fma_f32 v[82:83], v[80:81], v[70:71], v[78:79] op_sel:[0,0,1] op_sel_hi:[1,1,0] neg_lo:[0,0,1] neg_hi:[0,0,1]
	v_pk_fma_f32 v[78:79], v[80:81], v[70:71], v[78:79] op_sel:[0,0,1] op_sel_hi:[1,0,0]
	s_delay_alu instid0(VALU_DEP_1)
	v_mov_b32_e32 v83, v79
	ds_load_b64 v[78:79], v72 offset:240
	v_pk_add_f32 v[30:31], v[30:31], v[84:85] neg_lo:[0,1] neg_hi:[0,1]
	v_pk_add_f32 v[24:25], v[24:25], v[82:83] neg_lo:[0,1] neg_hi:[0,1]
	s_wait_dscnt 0x0
	v_pk_mul_f32 v[68:69], v[78:79], v[68:69] op_sel:[0,1]
	s_delay_alu instid0(VALU_DEP_1) | instskip(SKIP_1) | instid1(VALU_DEP_1)
	v_pk_fma_f32 v[80:81], v[78:79], v[70:71], v[68:69] op_sel:[0,0,1] op_sel_hi:[1,1,0] neg_lo:[0,0,1] neg_hi:[0,0,1]
	v_pk_fma_f32 v[68:69], v[78:79], v[70:71], v[68:69] op_sel:[0,0,1] op_sel_hi:[1,0,0]
	v_mov_b32_e32 v81, v69
	s_delay_alu instid0(VALU_DEP_1)
	v_pk_add_f32 v[66:67], v[66:67], v[80:81] neg_lo:[0,1] neg_hi:[0,1]
.LBB60_293:
	s_or_b32 exec_lo, exec_lo, s0
	v_lshl_add_u32 v68, v76, 3, v72
	s_barrier_signal -1
	s_barrier_wait -1
	ds_store_b64 v68, v[16:17]
	s_wait_dscnt 0x0
	s_barrier_signal -1
	s_barrier_wait -1
	ds_load_b64 v[68:69], v72 offset:112
	v_mov_b32_e32 v70, 14
	s_cmp_lt_i32 s18, 16
	s_cbranch_scc1 .LBB60_296
; %bb.294:
	v_add3_u32 v71, v73, 0, 0x78
	v_mov_b32_e32 v70, 14
	s_mov_b32 s0, 15
.LBB60_295:                             ; =>This Inner Loop Header: Depth=1
	ds_load_b64 v[78:79], v71
	s_wait_dscnt 0x1
	v_cmp_gt_f32_e32 vcc_lo, 0, v68
	v_cndmask_b32_e64 v80, v68, -v68, vcc_lo
	v_cmp_gt_f32_e32 vcc_lo, 0, v69
	v_cndmask_b32_e64 v82, v69, -v69, vcc_lo
	s_wait_dscnt 0x0
	v_cmp_gt_f32_e32 vcc_lo, 0, v78
	v_cndmask_b32_e64 v81, v78, -v78, vcc_lo
	v_cmp_gt_f32_e32 vcc_lo, 0, v79
	v_cndmask_b32_e64 v83, v79, -v79, vcc_lo
	s_delay_alu instid0(VALU_DEP_1) | instskip(NEXT) | instid1(VALU_DEP_1)
	v_pk_add_f32 v[80:81], v[80:81], v[82:83]
	v_cmp_lt_f32_e32 vcc_lo, v80, v81
	v_dual_cndmask_b32 v68, v68, v78 :: v_dual_add_nc_u32 v71, 8, v71
	v_cndmask_b32_e32 v69, v69, v79, vcc_lo
	v_cndmask_b32_e64 v70, v70, s0, vcc_lo
	s_add_co_i32 s0, s0, 1
	s_delay_alu instid0(SALU_CYCLE_1)
	s_cmp_lg_u32 s18, s0
	s_cbranch_scc1 .LBB60_295
.LBB60_296:
	s_wait_dscnt 0x0
	v_cmp_eq_f32_e32 vcc_lo, 0, v68
	v_cmp_eq_f32_e64 s0, 0, v69
	s_and_b32 s0, vcc_lo, s0
	s_delay_alu instid0(SALU_CYCLE_1) | instskip(NEXT) | instid1(SALU_CYCLE_1)
	s_and_saveexec_b32 s1, s0
	s_xor_b32 s0, exec_lo, s1
; %bb.297:
	v_cmp_ne_u32_e32 vcc_lo, 0, v74
	v_cndmask_b32_e32 v74, 15, v74, vcc_lo
; %bb.298:
	s_and_not1_saveexec_b32 s0, s0
	s_cbranch_execz .LBB60_304
; %bb.299:
	v_cmp_ngt_f32_e64 s1, |v68|, |v69|
	s_and_saveexec_b32 s12, s1
	s_delay_alu instid0(SALU_CYCLE_1)
	s_xor_b32 s1, exec_lo, s12
	s_cbranch_execz .LBB60_301
; %bb.300:
	v_div_scale_f32 v71, null, v69, v69, v68
	v_div_scale_f32 v79, vcc_lo, v68, v69, v68
	s_delay_alu instid0(VALU_DEP_2) | instskip(SKIP_1) | instid1(TRANS32_DEP_1)
	v_rcp_f32_e32 v77, v71
	v_nop
	v_fma_f32 v78, -v71, v77, 1.0
	s_delay_alu instid0(VALU_DEP_1) | instskip(NEXT) | instid1(VALU_DEP_1)
	v_fmac_f32_e32 v77, v78, v77
	v_mul_f32_e32 v78, v79, v77
	s_delay_alu instid0(VALU_DEP_1) | instskip(NEXT) | instid1(VALU_DEP_1)
	v_fma_f32 v80, -v71, v78, v79
	v_fmac_f32_e32 v78, v80, v77
	s_delay_alu instid0(VALU_DEP_1) | instskip(NEXT) | instid1(VALU_DEP_1)
	v_fma_f32 v71, -v71, v78, v79
	v_div_fmas_f32 v71, v71, v77, v78
	s_delay_alu instid0(VALU_DEP_1) | instskip(NEXT) | instid1(VALU_DEP_1)
	v_div_fixup_f32 v71, v71, v69, v68
	v_fmac_f32_e32 v69, v68, v71
	s_delay_alu instid0(VALU_DEP_1) | instskip(SKIP_1) | instid1(VALU_DEP_2)
	v_div_scale_f32 v68, null, v69, v69, 1.0
	v_div_scale_f32 v79, vcc_lo, 1.0, v69, 1.0
	v_rcp_f32_e32 v77, v68
	v_nop
	s_delay_alu instid0(TRANS32_DEP_1) | instskip(NEXT) | instid1(VALU_DEP_1)
	v_fma_f32 v78, -v68, v77, 1.0
	v_fmac_f32_e32 v77, v78, v77
	s_delay_alu instid0(VALU_DEP_1) | instskip(NEXT) | instid1(VALU_DEP_1)
	v_mul_f32_e32 v78, v79, v77
	v_fma_f32 v80, -v68, v78, v79
	s_delay_alu instid0(VALU_DEP_1) | instskip(NEXT) | instid1(VALU_DEP_1)
	v_fmac_f32_e32 v78, v80, v77
	v_fma_f32 v68, -v68, v78, v79
	s_delay_alu instid0(VALU_DEP_1) | instskip(NEXT) | instid1(VALU_DEP_1)
	v_div_fmas_f32 v68, v68, v77, v78
	v_div_fixup_f32 v69, v68, v69, 1.0
	s_delay_alu instid0(VALU_DEP_1)
	v_mul_f32_e32 v68, v71, v69
	v_xor_b32_e32 v69, 0x80000000, v69
.LBB60_301:
	s_and_not1_saveexec_b32 s1, s1
	s_cbranch_execz .LBB60_303
; %bb.302:
	s_delay_alu instid0(VALU_DEP_1) | instskip(SKIP_1) | instid1(VALU_DEP_2)
	v_div_scale_f32 v71, null, v68, v68, v69
	v_div_scale_f32 v79, vcc_lo, v69, v68, v69
	v_rcp_f32_e32 v77, v71
	v_nop
	s_delay_alu instid0(TRANS32_DEP_1) | instskip(NEXT) | instid1(VALU_DEP_1)
	v_fma_f32 v78, -v71, v77, 1.0
	v_fmac_f32_e32 v77, v78, v77
	s_delay_alu instid0(VALU_DEP_1) | instskip(NEXT) | instid1(VALU_DEP_1)
	v_mul_f32_e32 v78, v79, v77
	v_fma_f32 v80, -v71, v78, v79
	s_delay_alu instid0(VALU_DEP_1) | instskip(NEXT) | instid1(VALU_DEP_1)
	v_fmac_f32_e32 v78, v80, v77
	v_fma_f32 v71, -v71, v78, v79
	s_delay_alu instid0(VALU_DEP_1) | instskip(NEXT) | instid1(VALU_DEP_1)
	v_div_fmas_f32 v71, v71, v77, v78
	v_div_fixup_f32 v71, v71, v68, v69
	s_delay_alu instid0(VALU_DEP_1) | instskip(NEXT) | instid1(VALU_DEP_1)
	v_fmac_f32_e32 v68, v69, v71
	v_div_scale_f32 v69, null, v68, v68, 1.0
	s_delay_alu instid0(VALU_DEP_1) | instskip(SKIP_1) | instid1(TRANS32_DEP_1)
	v_rcp_f32_e32 v77, v69
	v_nop
	v_fma_f32 v78, -v69, v77, 1.0
	s_delay_alu instid0(VALU_DEP_1) | instskip(SKIP_1) | instid1(VALU_DEP_1)
	v_fmac_f32_e32 v77, v78, v77
	v_div_scale_f32 v78, vcc_lo, 1.0, v68, 1.0
	v_mul_f32_e32 v79, v78, v77
	s_delay_alu instid0(VALU_DEP_1) | instskip(NEXT) | instid1(VALU_DEP_1)
	v_fma_f32 v80, -v69, v79, v78
	v_fmac_f32_e32 v79, v80, v77
	s_delay_alu instid0(VALU_DEP_1) | instskip(NEXT) | instid1(VALU_DEP_1)
	v_fma_f32 v69, -v69, v79, v78
	v_div_fmas_f32 v69, v69, v77, v79
	s_delay_alu instid0(VALU_DEP_1) | instskip(NEXT) | instid1(VALU_DEP_1)
	v_div_fixup_f32 v68, v69, v68, 1.0
	v_mul_f32_e64 v69, v71, -v68
.LBB60_303:
	s_or_b32 exec_lo, exec_lo, s1
.LBB60_304:
	s_delay_alu instid0(SALU_CYCLE_1) | instskip(NEXT) | instid1(SALU_CYCLE_1)
	s_or_b32 exec_lo, exec_lo, s0
	s_mov_b32 s0, exec_lo
	v_cmpx_ne_u32_e64 v76, v70
	s_xor_b32 s0, exec_lo, s0
	s_cbranch_execz .LBB60_310
; %bb.305:
	s_mov_b32 s1, exec_lo
	v_cmpx_eq_u32_e32 14, v76
	s_cbranch_execz .LBB60_309
; %bb.306:
	v_cmp_ne_u32_e32 vcc_lo, 14, v70
	s_xor_b32 s12, s16, -1
	s_delay_alu instid0(SALU_CYCLE_1) | instskip(NEXT) | instid1(SALU_CYCLE_1)
	s_and_b32 s13, s12, vcc_lo
	s_and_saveexec_b32 s12, s13
	s_cbranch_execz .LBB60_308
; %bb.307:
	v_ashrrev_i32_e32 v71, 31, v70
	s_delay_alu instid0(VALU_DEP_1)
	v_lshl_add_u64 v[76:77], v[70:71], 2, v[4:5]
	s_clause 0x1
	global_load_b32 v71, v[76:77], off
	global_load_b32 v75, v[4:5], off offset:56
	s_wait_loadcnt 0x1
	global_store_b32 v[4:5], v71, off offset:56
	s_wait_loadcnt 0x0
	global_store_b32 v[76:77], v75, off
.LBB60_308:
	s_wait_xcnt 0x0
	s_or_b32 exec_lo, exec_lo, s12
	v_dual_mov_b32 v76, v70 :: v_dual_mov_b32 v75, v70
.LBB60_309:
	s_or_b32 exec_lo, exec_lo, s1
.LBB60_310:
	s_and_not1_saveexec_b32 s0, s0
	s_cbranch_execz .LBB60_312
; %bb.311:
	v_mov_b32_e32 v76, 14
	ds_store_2addr_b64 v72, v[14:15], v[56:57] offset0:15 offset1:16
	ds_store_2addr_b64 v72, v[54:55], v[28:29] offset0:17 offset1:18
	;; [unrolled: 1-line block ×8, first 2 shown]
.LBB60_312:
	s_or_b32 exec_lo, exec_lo, s0
	s_delay_alu instid0(SALU_CYCLE_1)
	s_mov_b32 s0, exec_lo
	s_wait_storecnt_dscnt 0x0
	s_barrier_signal -1
	s_barrier_wait -1
	v_cmpx_lt_i32_e32 14, v76
	s_cbranch_execz .LBB60_314
; %bb.313:
	v_pk_mul_f32 v[78:79], v[68:69], v[16:17] op_sel:[1,1] op_sel_hi:[0,1]
	s_delay_alu instid0(VALU_DEP_1)
	v_pk_fma_f32 v[70:71], v[68:69], v[16:17], v[78:79] op_sel_hi:[1,0,1] neg_lo:[0,0,1] neg_hi:[0,0,1]
	v_pk_fma_f32 v[68:69], v[68:69], v[16:17], v[78:79] op_sel_hi:[1,0,1]
	ds_load_2addr_b64 v[78:81], v72 offset0:15 offset1:16
	v_dual_mov_b32 v16, v70 :: v_dual_mov_b32 v17, v69
	s_wait_dscnt 0x0
	v_pk_mul_f32 v[82:83], v[78:79], v[68:69] op_sel:[0,1]
	s_delay_alu instid0(VALU_DEP_1) | instskip(SKIP_1) | instid1(VALU_DEP_1)
	v_pk_fma_f32 v[84:85], v[78:79], v[70:71], v[82:83] op_sel:[0,0,1] op_sel_hi:[1,1,0] neg_lo:[0,0,1] neg_hi:[0,0,1]
	v_pk_fma_f32 v[78:79], v[78:79], v[70:71], v[82:83] op_sel:[0,0,1] op_sel_hi:[1,0,0]
	v_mov_b32_e32 v85, v79
	v_pk_mul_f32 v[78:79], v[80:81], v[68:69] op_sel:[0,1]
	s_delay_alu instid0(VALU_DEP_1) | instskip(SKIP_1) | instid1(VALU_DEP_1)
	v_pk_fma_f32 v[82:83], v[80:81], v[70:71], v[78:79] op_sel:[0,0,1] op_sel_hi:[1,1,0] neg_lo:[0,0,1] neg_hi:[0,0,1]
	v_pk_fma_f32 v[78:79], v[80:81], v[70:71], v[78:79] op_sel:[0,0,1] op_sel_hi:[1,0,0]
	v_mov_b32_e32 v83, v79
	ds_load_2addr_b64 v[78:81], v72 offset0:17 offset1:18
	v_pk_add_f32 v[14:15], v[14:15], v[84:85] neg_lo:[0,1] neg_hi:[0,1]
	v_pk_add_f32 v[56:57], v[56:57], v[82:83] neg_lo:[0,1] neg_hi:[0,1]
	s_wait_dscnt 0x0
	v_pk_mul_f32 v[82:83], v[78:79], v[68:69] op_sel:[0,1]
	s_delay_alu instid0(VALU_DEP_1) | instskip(SKIP_2) | instid1(VALU_DEP_2)
	v_pk_fma_f32 v[84:85], v[78:79], v[70:71], v[82:83] op_sel:[0,0,1] op_sel_hi:[1,1,0] neg_lo:[0,0,1] neg_hi:[0,0,1]
	v_pk_fma_f32 v[78:79], v[78:79], v[70:71], v[82:83] op_sel:[0,0,1] op_sel_hi:[1,0,0]
	v_dual_mul_f32 v82, v81, v69 :: v_dual_mov_b32 v78, v81
	v_dual_mov_b32 v85, v79 :: v_dual_mov_b32 v79, v80
	s_delay_alu instid0(VALU_DEP_2) | instskip(SKIP_1) | instid1(VALU_DEP_3)
	v_pk_fma_f32 v[82:83], v[80:81], v[16:17], v[82:83] op_sel_hi:[1,1,0] neg_lo:[0,0,1] neg_hi:[0,0,1]
	v_mul_f32_e32 v80, v81, v70
	v_pk_add_f32 v[54:55], v[54:55], v[84:85] neg_lo:[0,1] neg_hi:[0,1]
	s_delay_alu instid0(VALU_DEP_2) | instskip(NEXT) | instid1(VALU_DEP_1)
	v_pk_fma_f32 v[78:79], v[78:79], v[16:17], v[80:81] op_sel_hi:[1,1,0]
	v_mov_b32_e32 v83, v79
	ds_load_2addr_b64 v[78:81], v72 offset0:19 offset1:20
	v_pk_add_f32 v[28:29], v[28:29], v[82:83] neg_lo:[0,1] neg_hi:[0,1]
	s_wait_dscnt 0x0
	v_pk_mul_f32 v[82:83], v[78:79], v[68:69] op_sel:[0,1]
	s_delay_alu instid0(VALU_DEP_1) | instskip(SKIP_1) | instid1(VALU_DEP_1)
	v_pk_fma_f32 v[84:85], v[78:79], v[70:71], v[82:83] op_sel:[0,0,1] op_sel_hi:[1,1,0] neg_lo:[0,0,1] neg_hi:[0,0,1]
	v_pk_fma_f32 v[78:79], v[78:79], v[70:71], v[82:83] op_sel:[0,0,1] op_sel_hi:[1,0,0]
	v_mov_b32_e32 v85, v79
	v_pk_mul_f32 v[78:79], v[80:81], v[68:69] op_sel:[0,1]
	s_delay_alu instid0(VALU_DEP_1) | instskip(SKIP_1) | instid1(VALU_DEP_1)
	v_pk_fma_f32 v[82:83], v[80:81], v[70:71], v[78:79] op_sel:[0,0,1] op_sel_hi:[1,1,0] neg_lo:[0,0,1] neg_hi:[0,0,1]
	v_pk_fma_f32 v[78:79], v[80:81], v[70:71], v[78:79] op_sel:[0,0,1] op_sel_hi:[1,0,0]
	v_mov_b32_e32 v83, v79
	ds_load_2addr_b64 v[78:81], v72 offset0:21 offset1:22
	v_pk_add_f32 v[26:27], v[26:27], v[84:85] neg_lo:[0,1] neg_hi:[0,1]
	v_pk_add_f32 v[52:53], v[52:53], v[82:83] neg_lo:[0,1] neg_hi:[0,1]
	s_wait_dscnt 0x0
	v_pk_mul_f32 v[82:83], v[78:79], v[68:69] op_sel:[0,1]
	s_delay_alu instid0(VALU_DEP_1) | instskip(SKIP_1) | instid1(VALU_DEP_1)
	v_pk_fma_f32 v[84:85], v[78:79], v[70:71], v[82:83] op_sel:[0,0,1] op_sel_hi:[1,1,0] neg_lo:[0,0,1] neg_hi:[0,0,1]
	v_pk_fma_f32 v[78:79], v[78:79], v[70:71], v[82:83] op_sel:[0,0,1] op_sel_hi:[1,0,0]
	v_mov_b32_e32 v85, v79
	v_pk_mul_f32 v[78:79], v[80:81], v[68:69] op_sel:[0,1]
	s_delay_alu instid0(VALU_DEP_1) | instskip(SKIP_1) | instid1(VALU_DEP_1)
	v_pk_fma_f32 v[82:83], v[80:81], v[70:71], v[78:79] op_sel:[0,0,1] op_sel_hi:[1,1,0] neg_lo:[0,0,1] neg_hi:[0,0,1]
	v_pk_fma_f32 v[78:79], v[80:81], v[70:71], v[78:79] op_sel:[0,0,1] op_sel_hi:[1,0,0]
	v_mov_b32_e32 v83, v79
	ds_load_2addr_b64 v[78:81], v72 offset0:23 offset1:24
	v_pk_add_f32 v[50:51], v[50:51], v[84:85] neg_lo:[0,1] neg_hi:[0,1]
	v_pk_add_f32 v[22:23], v[22:23], v[82:83] neg_lo:[0,1] neg_hi:[0,1]
	s_wait_dscnt 0x0
	v_dual_mul_f32 v82, v79, v69 :: v_dual_mul_f32 v84, v79, v70
	s_delay_alu instid0(VALU_DEP_1) | instskip(NEXT) | instid1(VALU_DEP_2)
	v_pk_fma_f32 v[82:83], v[78:79], v[16:17], v[82:83] op_sel_hi:[1,1,0] neg_lo:[0,0,1] neg_hi:[0,0,1]
	v_pk_fma_f32 v[78:79], v[78:79], v[16:17], v[84:85] op_sel:[1,0,0] op_sel_hi:[0,1,0]
	s_delay_alu instid0(VALU_DEP_1) | instskip(SKIP_1) | instid1(VALU_DEP_2)
	v_mov_b32_e32 v83, v79
	v_pk_mul_f32 v[78:79], v[80:81], v[68:69] op_sel:[0,1]
	v_pk_add_f32 v[18:19], v[18:19], v[82:83] neg_lo:[0,1] neg_hi:[0,1]
	s_delay_alu instid0(VALU_DEP_2) | instskip(SKIP_1) | instid1(VALU_DEP_1)
	v_pk_fma_f32 v[82:83], v[80:81], v[70:71], v[78:79] op_sel:[0,0,1] op_sel_hi:[1,1,0] neg_lo:[0,0,1] neg_hi:[0,0,1]
	v_pk_fma_f32 v[78:79], v[80:81], v[70:71], v[78:79] op_sel:[0,0,1] op_sel_hi:[1,0,0]
	v_mov_b32_e32 v83, v79
	ds_load_2addr_b64 v[78:81], v72 offset0:25 offset1:26
	v_pk_add_f32 v[36:37], v[36:37], v[82:83] neg_lo:[0,1] neg_hi:[0,1]
	s_wait_dscnt 0x0
	v_pk_mul_f32 v[82:83], v[78:79], v[68:69] op_sel:[0,1]
	s_delay_alu instid0(VALU_DEP_1) | instskip(SKIP_1) | instid1(VALU_DEP_1)
	v_pk_fma_f32 v[84:85], v[78:79], v[70:71], v[82:83] op_sel:[0,0,1] op_sel_hi:[1,1,0] neg_lo:[0,0,1] neg_hi:[0,0,1]
	v_pk_fma_f32 v[78:79], v[78:79], v[70:71], v[82:83] op_sel:[0,0,1] op_sel_hi:[1,0,0]
	v_mov_b32_e32 v85, v79
	v_pk_mul_f32 v[78:79], v[80:81], v[68:69] op_sel:[0,1]
	s_delay_alu instid0(VALU_DEP_2) | instskip(NEXT) | instid1(VALU_DEP_2)
	v_pk_add_f32 v[34:35], v[34:35], v[84:85] neg_lo:[0,1] neg_hi:[0,1]
	v_pk_fma_f32 v[82:83], v[80:81], v[70:71], v[78:79] op_sel:[0,0,1] op_sel_hi:[1,1,0] neg_lo:[0,0,1] neg_hi:[0,0,1]
	v_pk_fma_f32 v[78:79], v[80:81], v[70:71], v[78:79] op_sel:[0,0,1] op_sel_hi:[1,0,0]
	s_delay_alu instid0(VALU_DEP_1) | instskip(SKIP_4) | instid1(VALU_DEP_1)
	v_mov_b32_e32 v83, v79
	ds_load_2addr_b64 v[78:81], v72 offset0:27 offset1:28
	v_pk_add_f32 v[20:21], v[20:21], v[82:83] neg_lo:[0,1] neg_hi:[0,1]
	s_wait_dscnt 0x0
	v_pk_mul_f32 v[82:83], v[78:79], v[68:69] op_sel:[0,1]
	v_pk_fma_f32 v[84:85], v[78:79], v[70:71], v[82:83] op_sel:[0,0,1] op_sel_hi:[1,1,0] neg_lo:[0,0,1] neg_hi:[0,0,1]
	v_pk_fma_f32 v[78:79], v[78:79], v[70:71], v[82:83] op_sel:[0,0,1] op_sel_hi:[1,0,0]
	v_dual_mul_f32 v82, v81, v69 :: v_dual_mov_b32 v78, v81
	s_delay_alu instid0(VALU_DEP_2) | instskip(NEXT) | instid1(VALU_DEP_2)
	v_dual_mov_b32 v85, v79 :: v_dual_mov_b32 v79, v80
	v_pk_fma_f32 v[82:83], v[80:81], v[16:17], v[82:83] op_sel_hi:[1,1,0] neg_lo:[0,0,1] neg_hi:[0,0,1]
	v_mul_f32_e32 v80, v81, v70
	s_delay_alu instid0(VALU_DEP_3) | instskip(NEXT) | instid1(VALU_DEP_2)
	v_pk_add_f32 v[32:33], v[32:33], v[84:85] neg_lo:[0,1] neg_hi:[0,1]
	v_pk_fma_f32 v[78:79], v[78:79], v[16:17], v[80:81] op_sel_hi:[1,1,0]
	s_delay_alu instid0(VALU_DEP_1)
	v_mov_b32_e32 v83, v79
	ds_load_2addr_b64 v[78:81], v72 offset0:29 offset1:30
	v_pk_add_f32 v[30:31], v[30:31], v[82:83] neg_lo:[0,1] neg_hi:[0,1]
	s_wait_dscnt 0x0
	v_pk_mul_f32 v[82:83], v[78:79], v[68:69] op_sel:[0,1]
	v_pk_mul_f32 v[68:69], v[80:81], v[68:69] op_sel:[0,1]
	s_delay_alu instid0(VALU_DEP_2) | instskip(SKIP_1) | instid1(VALU_DEP_1)
	v_pk_fma_f32 v[84:85], v[78:79], v[70:71], v[82:83] op_sel:[0,0,1] op_sel_hi:[1,1,0] neg_lo:[0,0,1] neg_hi:[0,0,1]
	v_pk_fma_f32 v[78:79], v[78:79], v[70:71], v[82:83] op_sel:[0,0,1] op_sel_hi:[1,0,0]
	v_mov_b32_e32 v85, v79
	s_delay_alu instid0(VALU_DEP_4) | instskip(SKIP_1) | instid1(VALU_DEP_1)
	v_pk_fma_f32 v[78:79], v[80:81], v[70:71], v[68:69] op_sel:[0,0,1] op_sel_hi:[1,1,0] neg_lo:[0,0,1] neg_hi:[0,0,1]
	v_pk_fma_f32 v[68:69], v[80:81], v[70:71], v[68:69] op_sel:[0,0,1] op_sel_hi:[1,0,0]
	v_mov_b32_e32 v79, v69
	s_delay_alu instid0(VALU_DEP_4) | instskip(NEXT) | instid1(VALU_DEP_2)
	v_pk_add_f32 v[24:25], v[24:25], v[84:85] neg_lo:[0,1] neg_hi:[0,1]
	v_pk_add_f32 v[66:67], v[66:67], v[78:79] neg_lo:[0,1] neg_hi:[0,1]
.LBB60_314:
	s_or_b32 exec_lo, exec_lo, s0
	v_lshl_add_u32 v68, v76, 3, v72
	s_barrier_signal -1
	s_barrier_wait -1
	ds_store_b64 v68, v[14:15]
	s_wait_dscnt 0x0
	s_barrier_signal -1
	s_barrier_wait -1
	ds_load_b64 v[68:69], v72 offset:120
	v_mov_b32_e32 v70, 15
	s_cmp_lt_i32 s18, 17
	s_cbranch_scc1 .LBB60_317
; %bb.315:
	v_add3_u32 v71, v73, 0, 0x80
	v_mov_b32_e32 v70, 15
	s_mov_b32 s0, 16
.LBB60_316:                             ; =>This Inner Loop Header: Depth=1
	ds_load_b64 v[78:79], v71
	s_wait_dscnt 0x1
	v_cmp_gt_f32_e32 vcc_lo, 0, v68
	v_cndmask_b32_e64 v80, v68, -v68, vcc_lo
	v_cmp_gt_f32_e32 vcc_lo, 0, v69
	v_cndmask_b32_e64 v82, v69, -v69, vcc_lo
	s_wait_dscnt 0x0
	v_cmp_gt_f32_e32 vcc_lo, 0, v78
	v_cndmask_b32_e64 v81, v78, -v78, vcc_lo
	v_cmp_gt_f32_e32 vcc_lo, 0, v79
	v_cndmask_b32_e64 v83, v79, -v79, vcc_lo
	s_delay_alu instid0(VALU_DEP_1) | instskip(NEXT) | instid1(VALU_DEP_1)
	v_pk_add_f32 v[80:81], v[80:81], v[82:83]
	v_cmp_lt_f32_e32 vcc_lo, v80, v81
	v_dual_cndmask_b32 v68, v68, v78 :: v_dual_add_nc_u32 v71, 8, v71
	v_cndmask_b32_e32 v69, v69, v79, vcc_lo
	v_cndmask_b32_e64 v70, v70, s0, vcc_lo
	s_add_co_i32 s0, s0, 1
	s_delay_alu instid0(SALU_CYCLE_1)
	s_cmp_lg_u32 s18, s0
	s_cbranch_scc1 .LBB60_316
.LBB60_317:
	s_wait_dscnt 0x0
	v_cmp_eq_f32_e32 vcc_lo, 0, v68
	v_cmp_eq_f32_e64 s0, 0, v69
	s_and_b32 s0, vcc_lo, s0
	s_delay_alu instid0(SALU_CYCLE_1) | instskip(NEXT) | instid1(SALU_CYCLE_1)
	s_and_saveexec_b32 s1, s0
	s_xor_b32 s0, exec_lo, s1
; %bb.318:
	v_cmp_ne_u32_e32 vcc_lo, 0, v74
	v_cndmask_b32_e32 v74, 16, v74, vcc_lo
; %bb.319:
	s_and_not1_saveexec_b32 s0, s0
	s_cbranch_execz .LBB60_325
; %bb.320:
	v_cmp_ngt_f32_e64 s1, |v68|, |v69|
	s_and_saveexec_b32 s12, s1
	s_delay_alu instid0(SALU_CYCLE_1)
	s_xor_b32 s1, exec_lo, s12
	s_cbranch_execz .LBB60_322
; %bb.321:
	v_div_scale_f32 v71, null, v69, v69, v68
	v_div_scale_f32 v79, vcc_lo, v68, v69, v68
	s_delay_alu instid0(VALU_DEP_2) | instskip(SKIP_1) | instid1(TRANS32_DEP_1)
	v_rcp_f32_e32 v77, v71
	v_nop
	v_fma_f32 v78, -v71, v77, 1.0
	s_delay_alu instid0(VALU_DEP_1) | instskip(NEXT) | instid1(VALU_DEP_1)
	v_fmac_f32_e32 v77, v78, v77
	v_mul_f32_e32 v78, v79, v77
	s_delay_alu instid0(VALU_DEP_1) | instskip(NEXT) | instid1(VALU_DEP_1)
	v_fma_f32 v80, -v71, v78, v79
	v_fmac_f32_e32 v78, v80, v77
	s_delay_alu instid0(VALU_DEP_1) | instskip(NEXT) | instid1(VALU_DEP_1)
	v_fma_f32 v71, -v71, v78, v79
	v_div_fmas_f32 v71, v71, v77, v78
	s_delay_alu instid0(VALU_DEP_1) | instskip(NEXT) | instid1(VALU_DEP_1)
	v_div_fixup_f32 v71, v71, v69, v68
	v_fmac_f32_e32 v69, v68, v71
	s_delay_alu instid0(VALU_DEP_1) | instskip(SKIP_1) | instid1(VALU_DEP_2)
	v_div_scale_f32 v68, null, v69, v69, 1.0
	v_div_scale_f32 v79, vcc_lo, 1.0, v69, 1.0
	v_rcp_f32_e32 v77, v68
	v_nop
	s_delay_alu instid0(TRANS32_DEP_1) | instskip(NEXT) | instid1(VALU_DEP_1)
	v_fma_f32 v78, -v68, v77, 1.0
	v_fmac_f32_e32 v77, v78, v77
	s_delay_alu instid0(VALU_DEP_1) | instskip(NEXT) | instid1(VALU_DEP_1)
	v_mul_f32_e32 v78, v79, v77
	v_fma_f32 v80, -v68, v78, v79
	s_delay_alu instid0(VALU_DEP_1) | instskip(NEXT) | instid1(VALU_DEP_1)
	v_fmac_f32_e32 v78, v80, v77
	v_fma_f32 v68, -v68, v78, v79
	s_delay_alu instid0(VALU_DEP_1) | instskip(NEXT) | instid1(VALU_DEP_1)
	v_div_fmas_f32 v68, v68, v77, v78
	v_div_fixup_f32 v69, v68, v69, 1.0
	s_delay_alu instid0(VALU_DEP_1)
	v_mul_f32_e32 v68, v71, v69
	v_xor_b32_e32 v69, 0x80000000, v69
.LBB60_322:
	s_and_not1_saveexec_b32 s1, s1
	s_cbranch_execz .LBB60_324
; %bb.323:
	s_delay_alu instid0(VALU_DEP_1) | instskip(SKIP_1) | instid1(VALU_DEP_2)
	v_div_scale_f32 v71, null, v68, v68, v69
	v_div_scale_f32 v79, vcc_lo, v69, v68, v69
	v_rcp_f32_e32 v77, v71
	v_nop
	s_delay_alu instid0(TRANS32_DEP_1) | instskip(NEXT) | instid1(VALU_DEP_1)
	v_fma_f32 v78, -v71, v77, 1.0
	v_fmac_f32_e32 v77, v78, v77
	s_delay_alu instid0(VALU_DEP_1) | instskip(NEXT) | instid1(VALU_DEP_1)
	v_mul_f32_e32 v78, v79, v77
	v_fma_f32 v80, -v71, v78, v79
	s_delay_alu instid0(VALU_DEP_1) | instskip(NEXT) | instid1(VALU_DEP_1)
	v_fmac_f32_e32 v78, v80, v77
	v_fma_f32 v71, -v71, v78, v79
	s_delay_alu instid0(VALU_DEP_1) | instskip(NEXT) | instid1(VALU_DEP_1)
	v_div_fmas_f32 v71, v71, v77, v78
	v_div_fixup_f32 v71, v71, v68, v69
	s_delay_alu instid0(VALU_DEP_1) | instskip(NEXT) | instid1(VALU_DEP_1)
	v_fmac_f32_e32 v68, v69, v71
	v_div_scale_f32 v69, null, v68, v68, 1.0
	s_delay_alu instid0(VALU_DEP_1) | instskip(SKIP_1) | instid1(TRANS32_DEP_1)
	v_rcp_f32_e32 v77, v69
	v_nop
	v_fma_f32 v78, -v69, v77, 1.0
	s_delay_alu instid0(VALU_DEP_1) | instskip(SKIP_1) | instid1(VALU_DEP_1)
	v_fmac_f32_e32 v77, v78, v77
	v_div_scale_f32 v78, vcc_lo, 1.0, v68, 1.0
	v_mul_f32_e32 v79, v78, v77
	s_delay_alu instid0(VALU_DEP_1) | instskip(NEXT) | instid1(VALU_DEP_1)
	v_fma_f32 v80, -v69, v79, v78
	v_fmac_f32_e32 v79, v80, v77
	s_delay_alu instid0(VALU_DEP_1) | instskip(NEXT) | instid1(VALU_DEP_1)
	v_fma_f32 v69, -v69, v79, v78
	v_div_fmas_f32 v69, v69, v77, v79
	s_delay_alu instid0(VALU_DEP_1) | instskip(NEXT) | instid1(VALU_DEP_1)
	v_div_fixup_f32 v68, v69, v68, 1.0
	v_mul_f32_e64 v69, v71, -v68
.LBB60_324:
	s_or_b32 exec_lo, exec_lo, s1
.LBB60_325:
	s_delay_alu instid0(SALU_CYCLE_1) | instskip(NEXT) | instid1(SALU_CYCLE_1)
	s_or_b32 exec_lo, exec_lo, s0
	s_mov_b32 s0, exec_lo
	v_cmpx_ne_u32_e64 v76, v70
	s_xor_b32 s0, exec_lo, s0
	s_cbranch_execz .LBB60_331
; %bb.326:
	s_mov_b32 s1, exec_lo
	v_cmpx_eq_u32_e32 15, v76
	s_cbranch_execz .LBB60_330
; %bb.327:
	v_cmp_ne_u32_e32 vcc_lo, 15, v70
	s_xor_b32 s12, s16, -1
	s_delay_alu instid0(SALU_CYCLE_1) | instskip(NEXT) | instid1(SALU_CYCLE_1)
	s_and_b32 s13, s12, vcc_lo
	s_and_saveexec_b32 s12, s13
	s_cbranch_execz .LBB60_329
; %bb.328:
	v_ashrrev_i32_e32 v71, 31, v70
	s_delay_alu instid0(VALU_DEP_1)
	v_lshl_add_u64 v[76:77], v[70:71], 2, v[4:5]
	s_clause 0x1
	global_load_b32 v71, v[76:77], off
	global_load_b32 v75, v[4:5], off offset:60
	s_wait_loadcnt 0x1
	global_store_b32 v[4:5], v71, off offset:60
	s_wait_loadcnt 0x0
	global_store_b32 v[76:77], v75, off
.LBB60_329:
	s_wait_xcnt 0x0
	s_or_b32 exec_lo, exec_lo, s12
	v_dual_mov_b32 v76, v70 :: v_dual_mov_b32 v75, v70
.LBB60_330:
	s_or_b32 exec_lo, exec_lo, s1
.LBB60_331:
	s_and_not1_saveexec_b32 s0, s0
	s_cbranch_execz .LBB60_333
; %bb.332:
	v_dual_mov_b32 v70, v56 :: v_dual_mov_b32 v71, v57
	v_dual_mov_b32 v76, v54 :: v_dual_mov_b32 v77, v55
	;; [unrolled: 1-line block ×4, first 2 shown]
	ds_store_2addr_b64 v72, v[70:71], v[76:77] offset0:16 offset1:17
	ds_store_2addr_b64 v72, v[78:79], v[80:81] offset0:18 offset1:19
	v_dual_mov_b32 v70, v52 :: v_dual_mov_b32 v71, v53
	v_dual_mov_b32 v76, v50 :: v_dual_mov_b32 v77, v51
	;; [unrolled: 1-line block ×6, first 2 shown]
	ds_store_2addr_b64 v72, v[70:71], v[76:77] offset0:20 offset1:21
	ds_store_2addr_b64 v72, v[78:79], v[80:81] offset0:22 offset1:23
	v_dual_mov_b32 v76, 15 :: v_dual_mov_b32 v86, v20
	v_dual_mov_b32 v87, v21 :: v_dual_mov_b32 v88, v32
	;; [unrolled: 1-line block ×4, first 2 shown]
	v_mov_b32_e32 v93, v25
	ds_store_2addr_b64 v72, v[82:83], v[84:85] offset0:24 offset1:25
	ds_store_2addr_b64 v72, v[86:87], v[88:89] offset0:26 offset1:27
	;; [unrolled: 1-line block ×3, first 2 shown]
	ds_store_b64 v72, v[66:67] offset:240
.LBB60_333:
	s_or_b32 exec_lo, exec_lo, s0
	s_delay_alu instid0(SALU_CYCLE_1)
	s_mov_b32 s0, exec_lo
	s_wait_storecnt_dscnt 0x0
	s_barrier_signal -1
	s_barrier_wait -1
	v_cmpx_lt_i32_e32 15, v76
	s_cbranch_execz .LBB60_335
; %bb.334:
	v_pk_mul_f32 v[78:79], v[68:69], v[14:15] op_sel:[1,1] op_sel_hi:[0,1]
	s_delay_alu instid0(VALU_DEP_1)
	v_pk_fma_f32 v[70:71], v[68:69], v[14:15], v[78:79] op_sel_hi:[1,0,1] neg_lo:[0,0,1] neg_hi:[0,0,1]
	v_pk_fma_f32 v[68:69], v[68:69], v[14:15], v[78:79] op_sel_hi:[1,0,1]
	ds_load_2addr_b64 v[78:81], v72 offset0:16 offset1:17
	v_dual_mov_b32 v14, v70 :: v_dual_mov_b32 v15, v69
	s_wait_dscnt 0x0
	v_pk_mul_f32 v[82:83], v[78:79], v[68:69] op_sel:[0,1]
	s_delay_alu instid0(VALU_DEP_1) | instskip(SKIP_1) | instid1(VALU_DEP_1)
	v_pk_fma_f32 v[84:85], v[78:79], v[70:71], v[82:83] op_sel:[0,0,1] op_sel_hi:[1,1,0] neg_lo:[0,0,1] neg_hi:[0,0,1]
	v_pk_fma_f32 v[78:79], v[78:79], v[70:71], v[82:83] op_sel:[0,0,1] op_sel_hi:[1,0,0]
	v_mov_b32_e32 v85, v79
	v_pk_mul_f32 v[78:79], v[80:81], v[68:69] op_sel:[0,1]
	s_delay_alu instid0(VALU_DEP_1) | instskip(SKIP_1) | instid1(VALU_DEP_1)
	v_pk_fma_f32 v[82:83], v[80:81], v[70:71], v[78:79] op_sel:[0,0,1] op_sel_hi:[1,1,0] neg_lo:[0,0,1] neg_hi:[0,0,1]
	v_pk_fma_f32 v[78:79], v[80:81], v[70:71], v[78:79] op_sel:[0,0,1] op_sel_hi:[1,0,0]
	v_mov_b32_e32 v83, v79
	ds_load_2addr_b64 v[78:81], v72 offset0:18 offset1:19
	v_pk_add_f32 v[56:57], v[56:57], v[84:85] neg_lo:[0,1] neg_hi:[0,1]
	v_pk_add_f32 v[54:55], v[54:55], v[82:83] neg_lo:[0,1] neg_hi:[0,1]
	s_wait_dscnt 0x0
	v_pk_mul_f32 v[82:83], v[78:79], v[68:69] op_sel:[0,1]
	s_delay_alu instid0(VALU_DEP_1) | instskip(SKIP_2) | instid1(VALU_DEP_2)
	v_pk_fma_f32 v[84:85], v[78:79], v[70:71], v[82:83] op_sel:[0,0,1] op_sel_hi:[1,1,0] neg_lo:[0,0,1] neg_hi:[0,0,1]
	v_pk_fma_f32 v[78:79], v[78:79], v[70:71], v[82:83] op_sel:[0,0,1] op_sel_hi:[1,0,0]
	v_dual_mul_f32 v82, v81, v69 :: v_dual_mov_b32 v78, v81
	v_dual_mov_b32 v85, v79 :: v_dual_mov_b32 v79, v80
	s_delay_alu instid0(VALU_DEP_2) | instskip(SKIP_1) | instid1(VALU_DEP_3)
	v_pk_fma_f32 v[82:83], v[80:81], v[14:15], v[82:83] op_sel_hi:[1,1,0] neg_lo:[0,0,1] neg_hi:[0,0,1]
	v_mul_f32_e32 v80, v81, v70
	v_pk_add_f32 v[28:29], v[28:29], v[84:85] neg_lo:[0,1] neg_hi:[0,1]
	s_delay_alu instid0(VALU_DEP_2) | instskip(NEXT) | instid1(VALU_DEP_1)
	v_pk_fma_f32 v[78:79], v[78:79], v[14:15], v[80:81] op_sel_hi:[1,1,0]
	v_mov_b32_e32 v83, v79
	ds_load_2addr_b64 v[78:81], v72 offset0:20 offset1:21
	v_pk_add_f32 v[26:27], v[26:27], v[82:83] neg_lo:[0,1] neg_hi:[0,1]
	s_wait_dscnt 0x0
	v_pk_mul_f32 v[82:83], v[78:79], v[68:69] op_sel:[0,1]
	s_delay_alu instid0(VALU_DEP_1) | instskip(SKIP_1) | instid1(VALU_DEP_1)
	v_pk_fma_f32 v[84:85], v[78:79], v[70:71], v[82:83] op_sel:[0,0,1] op_sel_hi:[1,1,0] neg_lo:[0,0,1] neg_hi:[0,0,1]
	v_pk_fma_f32 v[78:79], v[78:79], v[70:71], v[82:83] op_sel:[0,0,1] op_sel_hi:[1,0,0]
	v_mov_b32_e32 v85, v79
	v_pk_mul_f32 v[78:79], v[80:81], v[68:69] op_sel:[0,1]
	s_delay_alu instid0(VALU_DEP_1) | instskip(SKIP_1) | instid1(VALU_DEP_1)
	v_pk_fma_f32 v[82:83], v[80:81], v[70:71], v[78:79] op_sel:[0,0,1] op_sel_hi:[1,1,0] neg_lo:[0,0,1] neg_hi:[0,0,1]
	v_pk_fma_f32 v[78:79], v[80:81], v[70:71], v[78:79] op_sel:[0,0,1] op_sel_hi:[1,0,0]
	v_mov_b32_e32 v83, v79
	ds_load_2addr_b64 v[78:81], v72 offset0:22 offset1:23
	v_pk_add_f32 v[52:53], v[52:53], v[84:85] neg_lo:[0,1] neg_hi:[0,1]
	v_pk_add_f32 v[50:51], v[50:51], v[82:83] neg_lo:[0,1] neg_hi:[0,1]
	s_wait_dscnt 0x0
	v_pk_mul_f32 v[82:83], v[78:79], v[68:69] op_sel:[0,1]
	s_delay_alu instid0(VALU_DEP_1) | instskip(SKIP_1) | instid1(VALU_DEP_1)
	v_pk_fma_f32 v[84:85], v[78:79], v[70:71], v[82:83] op_sel:[0,0,1] op_sel_hi:[1,1,0] neg_lo:[0,0,1] neg_hi:[0,0,1]
	v_pk_fma_f32 v[78:79], v[78:79], v[70:71], v[82:83] op_sel:[0,0,1] op_sel_hi:[1,0,0]
	v_mov_b32_e32 v85, v79
	v_pk_mul_f32 v[78:79], v[80:81], v[68:69] op_sel:[0,1]
	s_delay_alu instid0(VALU_DEP_1) | instskip(SKIP_1) | instid1(VALU_DEP_1)
	v_pk_fma_f32 v[82:83], v[80:81], v[70:71], v[78:79] op_sel:[0,0,1] op_sel_hi:[1,1,0] neg_lo:[0,0,1] neg_hi:[0,0,1]
	v_pk_fma_f32 v[78:79], v[80:81], v[70:71], v[78:79] op_sel:[0,0,1] op_sel_hi:[1,0,0]
	v_mov_b32_e32 v83, v79
	ds_load_2addr_b64 v[78:81], v72 offset0:24 offset1:25
	v_pk_add_f32 v[22:23], v[22:23], v[84:85] neg_lo:[0,1] neg_hi:[0,1]
	v_pk_add_f32 v[18:19], v[18:19], v[82:83] neg_lo:[0,1] neg_hi:[0,1]
	s_wait_dscnt 0x0
	v_dual_mul_f32 v82, v79, v69 :: v_dual_mul_f32 v84, v79, v70
	s_delay_alu instid0(VALU_DEP_1) | instskip(NEXT) | instid1(VALU_DEP_2)
	v_pk_fma_f32 v[82:83], v[78:79], v[14:15], v[82:83] op_sel_hi:[1,1,0] neg_lo:[0,0,1] neg_hi:[0,0,1]
	v_pk_fma_f32 v[78:79], v[78:79], v[14:15], v[84:85] op_sel:[1,0,0] op_sel_hi:[0,1,0]
	s_delay_alu instid0(VALU_DEP_1) | instskip(SKIP_1) | instid1(VALU_DEP_2)
	v_mov_b32_e32 v83, v79
	v_pk_mul_f32 v[78:79], v[80:81], v[68:69] op_sel:[0,1]
	v_pk_add_f32 v[36:37], v[36:37], v[82:83] neg_lo:[0,1] neg_hi:[0,1]
	s_delay_alu instid0(VALU_DEP_2) | instskip(SKIP_1) | instid1(VALU_DEP_1)
	v_pk_fma_f32 v[82:83], v[80:81], v[70:71], v[78:79] op_sel:[0,0,1] op_sel_hi:[1,1,0] neg_lo:[0,0,1] neg_hi:[0,0,1]
	v_pk_fma_f32 v[78:79], v[80:81], v[70:71], v[78:79] op_sel:[0,0,1] op_sel_hi:[1,0,0]
	v_mov_b32_e32 v83, v79
	ds_load_2addr_b64 v[78:81], v72 offset0:26 offset1:27
	v_pk_add_f32 v[34:35], v[34:35], v[82:83] neg_lo:[0,1] neg_hi:[0,1]
	s_wait_dscnt 0x0
	v_pk_mul_f32 v[82:83], v[78:79], v[68:69] op_sel:[0,1]
	s_delay_alu instid0(VALU_DEP_1) | instskip(SKIP_1) | instid1(VALU_DEP_1)
	v_pk_fma_f32 v[84:85], v[78:79], v[70:71], v[82:83] op_sel:[0,0,1] op_sel_hi:[1,1,0] neg_lo:[0,0,1] neg_hi:[0,0,1]
	v_pk_fma_f32 v[78:79], v[78:79], v[70:71], v[82:83] op_sel:[0,0,1] op_sel_hi:[1,0,0]
	v_mov_b32_e32 v85, v79
	v_pk_mul_f32 v[78:79], v[80:81], v[68:69] op_sel:[0,1]
	s_delay_alu instid0(VALU_DEP_2) | instskip(NEXT) | instid1(VALU_DEP_2)
	v_pk_add_f32 v[20:21], v[20:21], v[84:85] neg_lo:[0,1] neg_hi:[0,1]
	v_pk_fma_f32 v[82:83], v[80:81], v[70:71], v[78:79] op_sel:[0,0,1] op_sel_hi:[1,1,0] neg_lo:[0,0,1] neg_hi:[0,0,1]
	v_pk_fma_f32 v[78:79], v[80:81], v[70:71], v[78:79] op_sel:[0,0,1] op_sel_hi:[1,0,0]
	s_delay_alu instid0(VALU_DEP_1) | instskip(SKIP_4) | instid1(VALU_DEP_1)
	v_mov_b32_e32 v83, v79
	ds_load_2addr_b64 v[78:81], v72 offset0:28 offset1:29
	v_pk_add_f32 v[32:33], v[32:33], v[82:83] neg_lo:[0,1] neg_hi:[0,1]
	s_wait_dscnt 0x0
	v_pk_mul_f32 v[82:83], v[78:79], v[68:69] op_sel:[0,1]
	v_pk_fma_f32 v[84:85], v[78:79], v[70:71], v[82:83] op_sel:[0,0,1] op_sel_hi:[1,1,0] neg_lo:[0,0,1] neg_hi:[0,0,1]
	v_pk_fma_f32 v[78:79], v[78:79], v[70:71], v[82:83] op_sel:[0,0,1] op_sel_hi:[1,0,0]
	v_dual_mul_f32 v82, v81, v69 :: v_dual_mov_b32 v78, v81
	s_delay_alu instid0(VALU_DEP_2) | instskip(NEXT) | instid1(VALU_DEP_2)
	v_dual_mov_b32 v85, v79 :: v_dual_mov_b32 v79, v80
	v_pk_fma_f32 v[82:83], v[80:81], v[14:15], v[82:83] op_sel_hi:[1,1,0] neg_lo:[0,0,1] neg_hi:[0,0,1]
	v_mul_f32_e32 v80, v81, v70
	s_delay_alu instid0(VALU_DEP_3) | instskip(NEXT) | instid1(VALU_DEP_2)
	v_pk_add_f32 v[30:31], v[30:31], v[84:85] neg_lo:[0,1] neg_hi:[0,1]
	v_pk_fma_f32 v[78:79], v[78:79], v[14:15], v[80:81] op_sel_hi:[1,1,0]
	s_delay_alu instid0(VALU_DEP_1) | instskip(SKIP_4) | instid1(VALU_DEP_1)
	v_mov_b32_e32 v83, v79
	ds_load_b64 v[78:79], v72 offset:240
	v_pk_add_f32 v[24:25], v[24:25], v[82:83] neg_lo:[0,1] neg_hi:[0,1]
	s_wait_dscnt 0x0
	v_pk_mul_f32 v[68:69], v[78:79], v[68:69] op_sel:[0,1]
	v_pk_fma_f32 v[80:81], v[78:79], v[70:71], v[68:69] op_sel:[0,0,1] op_sel_hi:[1,1,0] neg_lo:[0,0,1] neg_hi:[0,0,1]
	v_pk_fma_f32 v[68:69], v[78:79], v[70:71], v[68:69] op_sel:[0,0,1] op_sel_hi:[1,0,0]
	s_delay_alu instid0(VALU_DEP_1) | instskip(NEXT) | instid1(VALU_DEP_1)
	v_mov_b32_e32 v81, v69
	v_pk_add_f32 v[66:67], v[66:67], v[80:81] neg_lo:[0,1] neg_hi:[0,1]
.LBB60_335:
	s_or_b32 exec_lo, exec_lo, s0
	v_lshl_add_u32 v68, v76, 3, v72
	s_barrier_signal -1
	s_barrier_wait -1
	ds_store_b64 v68, v[56:57]
	s_wait_dscnt 0x0
	s_barrier_signal -1
	s_barrier_wait -1
	ds_load_b64 v[68:69], v72 offset:128
	v_mov_b32_e32 v70, 16
	s_cmp_lt_i32 s18, 18
	s_cbranch_scc1 .LBB60_338
; %bb.336:
	v_add3_u32 v71, v73, 0, 0x88
	v_mov_b32_e32 v70, 16
	s_mov_b32 s0, 17
.LBB60_337:                             ; =>This Inner Loop Header: Depth=1
	ds_load_b64 v[78:79], v71
	s_wait_dscnt 0x1
	v_cmp_gt_f32_e32 vcc_lo, 0, v68
	v_cndmask_b32_e64 v80, v68, -v68, vcc_lo
	v_cmp_gt_f32_e32 vcc_lo, 0, v69
	v_cndmask_b32_e64 v82, v69, -v69, vcc_lo
	s_wait_dscnt 0x0
	v_cmp_gt_f32_e32 vcc_lo, 0, v78
	v_cndmask_b32_e64 v81, v78, -v78, vcc_lo
	v_cmp_gt_f32_e32 vcc_lo, 0, v79
	v_cndmask_b32_e64 v83, v79, -v79, vcc_lo
	s_delay_alu instid0(VALU_DEP_1) | instskip(NEXT) | instid1(VALU_DEP_1)
	v_pk_add_f32 v[80:81], v[80:81], v[82:83]
	v_cmp_lt_f32_e32 vcc_lo, v80, v81
	v_dual_cndmask_b32 v68, v68, v78 :: v_dual_add_nc_u32 v71, 8, v71
	v_cndmask_b32_e32 v69, v69, v79, vcc_lo
	v_cndmask_b32_e64 v70, v70, s0, vcc_lo
	s_add_co_i32 s0, s0, 1
	s_delay_alu instid0(SALU_CYCLE_1)
	s_cmp_lg_u32 s18, s0
	s_cbranch_scc1 .LBB60_337
.LBB60_338:
	s_wait_dscnt 0x0
	v_cmp_eq_f32_e32 vcc_lo, 0, v68
	v_cmp_eq_f32_e64 s0, 0, v69
	s_and_b32 s0, vcc_lo, s0
	s_delay_alu instid0(SALU_CYCLE_1) | instskip(NEXT) | instid1(SALU_CYCLE_1)
	s_and_saveexec_b32 s1, s0
	s_xor_b32 s0, exec_lo, s1
; %bb.339:
	v_cmp_ne_u32_e32 vcc_lo, 0, v74
	v_cndmask_b32_e32 v74, 17, v74, vcc_lo
; %bb.340:
	s_and_not1_saveexec_b32 s0, s0
	s_cbranch_execz .LBB60_346
; %bb.341:
	v_cmp_ngt_f32_e64 s1, |v68|, |v69|
	s_and_saveexec_b32 s12, s1
	s_delay_alu instid0(SALU_CYCLE_1)
	s_xor_b32 s1, exec_lo, s12
	s_cbranch_execz .LBB60_343
; %bb.342:
	v_div_scale_f32 v71, null, v69, v69, v68
	v_div_scale_f32 v79, vcc_lo, v68, v69, v68
	s_delay_alu instid0(VALU_DEP_2) | instskip(SKIP_1) | instid1(TRANS32_DEP_1)
	v_rcp_f32_e32 v77, v71
	v_nop
	v_fma_f32 v78, -v71, v77, 1.0
	s_delay_alu instid0(VALU_DEP_1) | instskip(NEXT) | instid1(VALU_DEP_1)
	v_fmac_f32_e32 v77, v78, v77
	v_mul_f32_e32 v78, v79, v77
	s_delay_alu instid0(VALU_DEP_1) | instskip(NEXT) | instid1(VALU_DEP_1)
	v_fma_f32 v80, -v71, v78, v79
	v_fmac_f32_e32 v78, v80, v77
	s_delay_alu instid0(VALU_DEP_1) | instskip(NEXT) | instid1(VALU_DEP_1)
	v_fma_f32 v71, -v71, v78, v79
	v_div_fmas_f32 v71, v71, v77, v78
	s_delay_alu instid0(VALU_DEP_1) | instskip(NEXT) | instid1(VALU_DEP_1)
	v_div_fixup_f32 v71, v71, v69, v68
	v_fmac_f32_e32 v69, v68, v71
	s_delay_alu instid0(VALU_DEP_1) | instskip(SKIP_1) | instid1(VALU_DEP_2)
	v_div_scale_f32 v68, null, v69, v69, 1.0
	v_div_scale_f32 v79, vcc_lo, 1.0, v69, 1.0
	v_rcp_f32_e32 v77, v68
	v_nop
	s_delay_alu instid0(TRANS32_DEP_1) | instskip(NEXT) | instid1(VALU_DEP_1)
	v_fma_f32 v78, -v68, v77, 1.0
	v_fmac_f32_e32 v77, v78, v77
	s_delay_alu instid0(VALU_DEP_1) | instskip(NEXT) | instid1(VALU_DEP_1)
	v_mul_f32_e32 v78, v79, v77
	v_fma_f32 v80, -v68, v78, v79
	s_delay_alu instid0(VALU_DEP_1) | instskip(NEXT) | instid1(VALU_DEP_1)
	v_fmac_f32_e32 v78, v80, v77
	v_fma_f32 v68, -v68, v78, v79
	s_delay_alu instid0(VALU_DEP_1) | instskip(NEXT) | instid1(VALU_DEP_1)
	v_div_fmas_f32 v68, v68, v77, v78
	v_div_fixup_f32 v69, v68, v69, 1.0
	s_delay_alu instid0(VALU_DEP_1)
	v_mul_f32_e32 v68, v71, v69
	v_xor_b32_e32 v69, 0x80000000, v69
.LBB60_343:
	s_and_not1_saveexec_b32 s1, s1
	s_cbranch_execz .LBB60_345
; %bb.344:
	s_delay_alu instid0(VALU_DEP_1) | instskip(SKIP_1) | instid1(VALU_DEP_2)
	v_div_scale_f32 v71, null, v68, v68, v69
	v_div_scale_f32 v79, vcc_lo, v69, v68, v69
	v_rcp_f32_e32 v77, v71
	v_nop
	s_delay_alu instid0(TRANS32_DEP_1) | instskip(NEXT) | instid1(VALU_DEP_1)
	v_fma_f32 v78, -v71, v77, 1.0
	v_fmac_f32_e32 v77, v78, v77
	s_delay_alu instid0(VALU_DEP_1) | instskip(NEXT) | instid1(VALU_DEP_1)
	v_mul_f32_e32 v78, v79, v77
	v_fma_f32 v80, -v71, v78, v79
	s_delay_alu instid0(VALU_DEP_1) | instskip(NEXT) | instid1(VALU_DEP_1)
	v_fmac_f32_e32 v78, v80, v77
	v_fma_f32 v71, -v71, v78, v79
	s_delay_alu instid0(VALU_DEP_1) | instskip(NEXT) | instid1(VALU_DEP_1)
	v_div_fmas_f32 v71, v71, v77, v78
	v_div_fixup_f32 v71, v71, v68, v69
	s_delay_alu instid0(VALU_DEP_1) | instskip(NEXT) | instid1(VALU_DEP_1)
	v_fmac_f32_e32 v68, v69, v71
	v_div_scale_f32 v69, null, v68, v68, 1.0
	s_delay_alu instid0(VALU_DEP_1) | instskip(SKIP_1) | instid1(TRANS32_DEP_1)
	v_rcp_f32_e32 v77, v69
	v_nop
	v_fma_f32 v78, -v69, v77, 1.0
	s_delay_alu instid0(VALU_DEP_1) | instskip(SKIP_1) | instid1(VALU_DEP_1)
	v_fmac_f32_e32 v77, v78, v77
	v_div_scale_f32 v78, vcc_lo, 1.0, v68, 1.0
	v_mul_f32_e32 v79, v78, v77
	s_delay_alu instid0(VALU_DEP_1) | instskip(NEXT) | instid1(VALU_DEP_1)
	v_fma_f32 v80, -v69, v79, v78
	v_fmac_f32_e32 v79, v80, v77
	s_delay_alu instid0(VALU_DEP_1) | instskip(NEXT) | instid1(VALU_DEP_1)
	v_fma_f32 v69, -v69, v79, v78
	v_div_fmas_f32 v69, v69, v77, v79
	s_delay_alu instid0(VALU_DEP_1) | instskip(NEXT) | instid1(VALU_DEP_1)
	v_div_fixup_f32 v68, v69, v68, 1.0
	v_mul_f32_e64 v69, v71, -v68
.LBB60_345:
	s_or_b32 exec_lo, exec_lo, s1
.LBB60_346:
	s_delay_alu instid0(SALU_CYCLE_1) | instskip(NEXT) | instid1(SALU_CYCLE_1)
	s_or_b32 exec_lo, exec_lo, s0
	s_mov_b32 s0, exec_lo
	v_cmpx_ne_u32_e64 v76, v70
	s_xor_b32 s0, exec_lo, s0
	s_cbranch_execz .LBB60_352
; %bb.347:
	s_mov_b32 s1, exec_lo
	v_cmpx_eq_u32_e32 16, v76
	s_cbranch_execz .LBB60_351
; %bb.348:
	v_cmp_ne_u32_e32 vcc_lo, 16, v70
	s_xor_b32 s12, s16, -1
	s_delay_alu instid0(SALU_CYCLE_1) | instskip(NEXT) | instid1(SALU_CYCLE_1)
	s_and_b32 s13, s12, vcc_lo
	s_and_saveexec_b32 s12, s13
	s_cbranch_execz .LBB60_350
; %bb.349:
	v_ashrrev_i32_e32 v71, 31, v70
	s_delay_alu instid0(VALU_DEP_1)
	v_lshl_add_u64 v[76:77], v[70:71], 2, v[4:5]
	s_clause 0x1
	global_load_b32 v71, v[76:77], off
	global_load_b32 v75, v[4:5], off offset:64
	s_wait_loadcnt 0x1
	global_store_b32 v[4:5], v71, off offset:64
	s_wait_loadcnt 0x0
	global_store_b32 v[76:77], v75, off
.LBB60_350:
	s_wait_xcnt 0x0
	s_or_b32 exec_lo, exec_lo, s12
	v_dual_mov_b32 v76, v70 :: v_dual_mov_b32 v75, v70
.LBB60_351:
	s_or_b32 exec_lo, exec_lo, s1
.LBB60_352:
	s_and_not1_saveexec_b32 s0, s0
	s_cbranch_execz .LBB60_354
; %bb.353:
	v_mov_b32_e32 v76, 16
	ds_store_2addr_b64 v72, v[54:55], v[28:29] offset0:17 offset1:18
	ds_store_2addr_b64 v72, v[26:27], v[52:53] offset0:19 offset1:20
	ds_store_2addr_b64 v72, v[50:51], v[22:23] offset0:21 offset1:22
	ds_store_2addr_b64 v72, v[18:19], v[36:37] offset0:23 offset1:24
	ds_store_2addr_b64 v72, v[34:35], v[20:21] offset0:25 offset1:26
	ds_store_2addr_b64 v72, v[32:33], v[30:31] offset0:27 offset1:28
	ds_store_2addr_b64 v72, v[24:25], v[66:67] offset0:29 offset1:30
.LBB60_354:
	s_or_b32 exec_lo, exec_lo, s0
	s_delay_alu instid0(SALU_CYCLE_1)
	s_mov_b32 s0, exec_lo
	s_wait_storecnt_dscnt 0x0
	s_barrier_signal -1
	s_barrier_wait -1
	v_cmpx_lt_i32_e32 16, v76
	s_cbranch_execz .LBB60_356
; %bb.355:
	v_pk_mul_f32 v[70:71], v[68:69], v[56:57] op_sel:[1,1] op_sel_hi:[0,1]
	s_delay_alu instid0(VALU_DEP_1)
	v_pk_fma_f32 v[78:79], v[68:69], v[56:57], v[70:71] op_sel_hi:[1,0,1] neg_lo:[0,0,1] neg_hi:[0,0,1]
	v_pk_fma_f32 v[80:81], v[68:69], v[56:57], v[70:71] op_sel_hi:[1,0,1]
	ds_load_2addr_b64 v[68:71], v72 offset0:17 offset1:18
	v_dual_mov_b32 v56, v78 :: v_dual_mov_b32 v57, v81
	s_wait_dscnt 0x0
	v_pk_mul_f32 v[82:83], v[68:69], v[80:81] op_sel:[0,1]
	s_delay_alu instid0(VALU_DEP_1) | instskip(SKIP_1) | instid1(VALU_DEP_1)
	v_pk_fma_f32 v[84:85], v[68:69], v[78:79], v[82:83] op_sel:[0,0,1] op_sel_hi:[1,1,0] neg_lo:[0,0,1] neg_hi:[0,0,1]
	v_pk_fma_f32 v[68:69], v[68:69], v[78:79], v[82:83] op_sel:[0,0,1] op_sel_hi:[1,0,0]
	v_mov_b32_e32 v85, v69
	v_pk_mul_f32 v[68:69], v[70:71], v[80:81] op_sel:[0,1]
	s_delay_alu instid0(VALU_DEP_1) | instskip(SKIP_1) | instid1(VALU_DEP_1)
	v_pk_fma_f32 v[82:83], v[70:71], v[78:79], v[68:69] op_sel:[0,0,1] op_sel_hi:[1,1,0] neg_lo:[0,0,1] neg_hi:[0,0,1]
	v_pk_fma_f32 v[68:69], v[70:71], v[78:79], v[68:69] op_sel:[0,0,1] op_sel_hi:[1,0,0]
	v_mov_b32_e32 v83, v69
	ds_load_2addr_b64 v[68:71], v72 offset0:19 offset1:20
	v_pk_add_f32 v[54:55], v[54:55], v[84:85] neg_lo:[0,1] neg_hi:[0,1]
	v_pk_add_f32 v[28:29], v[28:29], v[82:83] neg_lo:[0,1] neg_hi:[0,1]
	s_wait_dscnt 0x0
	v_pk_mul_f32 v[82:83], v[68:69], v[80:81] op_sel:[0,1]
	s_delay_alu instid0(VALU_DEP_1) | instskip(SKIP_2) | instid1(VALU_DEP_2)
	v_pk_fma_f32 v[84:85], v[68:69], v[78:79], v[82:83] op_sel:[0,0,1] op_sel_hi:[1,1,0] neg_lo:[0,0,1] neg_hi:[0,0,1]
	v_pk_fma_f32 v[68:69], v[68:69], v[78:79], v[82:83] op_sel:[0,0,1] op_sel_hi:[1,0,0]
	v_dual_mul_f32 v82, v71, v81 :: v_dual_mov_b32 v68, v71
	v_dual_mov_b32 v85, v69 :: v_dual_mov_b32 v69, v70
	s_delay_alu instid0(VALU_DEP_2) | instskip(SKIP_1) | instid1(VALU_DEP_3)
	v_pk_fma_f32 v[82:83], v[70:71], v[56:57], v[82:83] op_sel_hi:[1,1,0] neg_lo:[0,0,1] neg_hi:[0,0,1]
	v_mul_f32_e32 v70, v71, v78
	v_pk_add_f32 v[26:27], v[26:27], v[84:85] neg_lo:[0,1] neg_hi:[0,1]
	s_delay_alu instid0(VALU_DEP_2) | instskip(NEXT) | instid1(VALU_DEP_1)
	v_pk_fma_f32 v[68:69], v[68:69], v[56:57], v[70:71] op_sel_hi:[1,1,0]
	v_mov_b32_e32 v83, v69
	ds_load_2addr_b64 v[68:71], v72 offset0:21 offset1:22
	v_pk_add_f32 v[52:53], v[52:53], v[82:83] neg_lo:[0,1] neg_hi:[0,1]
	s_wait_dscnt 0x0
	v_pk_mul_f32 v[82:83], v[68:69], v[80:81] op_sel:[0,1]
	s_delay_alu instid0(VALU_DEP_1) | instskip(SKIP_1) | instid1(VALU_DEP_1)
	v_pk_fma_f32 v[84:85], v[68:69], v[78:79], v[82:83] op_sel:[0,0,1] op_sel_hi:[1,1,0] neg_lo:[0,0,1] neg_hi:[0,0,1]
	v_pk_fma_f32 v[68:69], v[68:69], v[78:79], v[82:83] op_sel:[0,0,1] op_sel_hi:[1,0,0]
	v_mov_b32_e32 v85, v69
	v_pk_mul_f32 v[68:69], v[70:71], v[80:81] op_sel:[0,1]
	s_delay_alu instid0(VALU_DEP_1) | instskip(SKIP_1) | instid1(VALU_DEP_1)
	v_pk_fma_f32 v[82:83], v[70:71], v[78:79], v[68:69] op_sel:[0,0,1] op_sel_hi:[1,1,0] neg_lo:[0,0,1] neg_hi:[0,0,1]
	v_pk_fma_f32 v[68:69], v[70:71], v[78:79], v[68:69] op_sel:[0,0,1] op_sel_hi:[1,0,0]
	v_mov_b32_e32 v83, v69
	ds_load_2addr_b64 v[68:71], v72 offset0:23 offset1:24
	v_pk_add_f32 v[50:51], v[50:51], v[84:85] neg_lo:[0,1] neg_hi:[0,1]
	v_pk_add_f32 v[22:23], v[22:23], v[82:83] neg_lo:[0,1] neg_hi:[0,1]
	s_wait_dscnt 0x0
	v_pk_mul_f32 v[82:83], v[68:69], v[80:81] op_sel:[0,1]
	s_delay_alu instid0(VALU_DEP_1) | instskip(SKIP_1) | instid1(VALU_DEP_1)
	v_pk_fma_f32 v[84:85], v[68:69], v[78:79], v[82:83] op_sel:[0,0,1] op_sel_hi:[1,1,0] neg_lo:[0,0,1] neg_hi:[0,0,1]
	v_pk_fma_f32 v[68:69], v[68:69], v[78:79], v[82:83] op_sel:[0,0,1] op_sel_hi:[1,0,0]
	v_mov_b32_e32 v85, v69
	v_pk_mul_f32 v[68:69], v[70:71], v[80:81] op_sel:[0,1]
	s_delay_alu instid0(VALU_DEP_1) | instskip(SKIP_1) | instid1(VALU_DEP_1)
	v_pk_fma_f32 v[82:83], v[70:71], v[78:79], v[68:69] op_sel:[0,0,1] op_sel_hi:[1,1,0] neg_lo:[0,0,1] neg_hi:[0,0,1]
	v_pk_fma_f32 v[68:69], v[70:71], v[78:79], v[68:69] op_sel:[0,0,1] op_sel_hi:[1,0,0]
	v_mov_b32_e32 v83, v69
	ds_load_2addr_b64 v[68:71], v72 offset0:25 offset1:26
	v_pk_add_f32 v[18:19], v[18:19], v[84:85] neg_lo:[0,1] neg_hi:[0,1]
	v_pk_add_f32 v[36:37], v[36:37], v[82:83] neg_lo:[0,1] neg_hi:[0,1]
	s_wait_dscnt 0x0
	v_dual_mul_f32 v82, v69, v81 :: v_dual_mul_f32 v84, v69, v78
	s_delay_alu instid0(VALU_DEP_1) | instskip(NEXT) | instid1(VALU_DEP_2)
	v_pk_fma_f32 v[82:83], v[68:69], v[56:57], v[82:83] op_sel_hi:[1,1,0] neg_lo:[0,0,1] neg_hi:[0,0,1]
	v_pk_fma_f32 v[68:69], v[68:69], v[56:57], v[84:85] op_sel:[1,0,0] op_sel_hi:[0,1,0]
	s_delay_alu instid0(VALU_DEP_1) | instskip(SKIP_1) | instid1(VALU_DEP_2)
	v_mov_b32_e32 v83, v69
	v_pk_mul_f32 v[68:69], v[70:71], v[80:81] op_sel:[0,1]
	v_pk_add_f32 v[34:35], v[34:35], v[82:83] neg_lo:[0,1] neg_hi:[0,1]
	s_delay_alu instid0(VALU_DEP_2) | instskip(SKIP_1) | instid1(VALU_DEP_1)
	v_pk_fma_f32 v[82:83], v[70:71], v[78:79], v[68:69] op_sel:[0,0,1] op_sel_hi:[1,1,0] neg_lo:[0,0,1] neg_hi:[0,0,1]
	v_pk_fma_f32 v[68:69], v[70:71], v[78:79], v[68:69] op_sel:[0,0,1] op_sel_hi:[1,0,0]
	v_mov_b32_e32 v83, v69
	ds_load_2addr_b64 v[68:71], v72 offset0:27 offset1:28
	v_pk_add_f32 v[20:21], v[20:21], v[82:83] neg_lo:[0,1] neg_hi:[0,1]
	s_wait_dscnt 0x0
	v_pk_mul_f32 v[82:83], v[68:69], v[80:81] op_sel:[0,1]
	s_delay_alu instid0(VALU_DEP_1) | instskip(SKIP_1) | instid1(VALU_DEP_1)
	v_pk_fma_f32 v[84:85], v[68:69], v[78:79], v[82:83] op_sel:[0,0,1] op_sel_hi:[1,1,0] neg_lo:[0,0,1] neg_hi:[0,0,1]
	v_pk_fma_f32 v[68:69], v[68:69], v[78:79], v[82:83] op_sel:[0,0,1] op_sel_hi:[1,0,0]
	v_mov_b32_e32 v85, v69
	v_pk_mul_f32 v[68:69], v[70:71], v[80:81] op_sel:[0,1]
	s_delay_alu instid0(VALU_DEP_2) | instskip(NEXT) | instid1(VALU_DEP_2)
	v_pk_add_f32 v[32:33], v[32:33], v[84:85] neg_lo:[0,1] neg_hi:[0,1]
	v_pk_fma_f32 v[82:83], v[70:71], v[78:79], v[68:69] op_sel:[0,0,1] op_sel_hi:[1,1,0] neg_lo:[0,0,1] neg_hi:[0,0,1]
	v_pk_fma_f32 v[68:69], v[70:71], v[78:79], v[68:69] op_sel:[0,0,1] op_sel_hi:[1,0,0]
	s_delay_alu instid0(VALU_DEP_1) | instskip(SKIP_4) | instid1(VALU_DEP_1)
	v_mov_b32_e32 v83, v69
	ds_load_2addr_b64 v[68:71], v72 offset0:29 offset1:30
	v_pk_add_f32 v[30:31], v[30:31], v[82:83] neg_lo:[0,1] neg_hi:[0,1]
	s_wait_dscnt 0x0
	v_pk_mul_f32 v[82:83], v[68:69], v[80:81] op_sel:[0,1]
	v_pk_fma_f32 v[84:85], v[68:69], v[78:79], v[82:83] op_sel:[0,0,1] op_sel_hi:[1,1,0] neg_lo:[0,0,1] neg_hi:[0,0,1]
	v_pk_fma_f32 v[68:69], v[68:69], v[78:79], v[82:83] op_sel:[0,0,1] op_sel_hi:[1,0,0]
	s_delay_alu instid0(VALU_DEP_1) | instskip(SKIP_1) | instid1(VALU_DEP_2)
	v_mov_b32_e32 v85, v69
	v_pk_mul_f32 v[68:69], v[70:71], v[80:81] op_sel:[0,1]
	v_pk_add_f32 v[24:25], v[24:25], v[84:85] neg_lo:[0,1] neg_hi:[0,1]
	s_delay_alu instid0(VALU_DEP_2) | instskip(SKIP_1) | instid1(VALU_DEP_1)
	v_pk_fma_f32 v[80:81], v[70:71], v[78:79], v[68:69] op_sel:[0,0,1] op_sel_hi:[1,1,0] neg_lo:[0,0,1] neg_hi:[0,0,1]
	v_pk_fma_f32 v[68:69], v[70:71], v[78:79], v[68:69] op_sel:[0,0,1] op_sel_hi:[1,0,0]
	v_mov_b32_e32 v81, v69
	s_delay_alu instid0(VALU_DEP_1)
	v_pk_add_f32 v[66:67], v[66:67], v[80:81] neg_lo:[0,1] neg_hi:[0,1]
.LBB60_356:
	s_or_b32 exec_lo, exec_lo, s0
	v_lshl_add_u32 v68, v76, 3, v72
	s_barrier_signal -1
	s_barrier_wait -1
	ds_store_b64 v68, v[54:55]
	s_wait_dscnt 0x0
	s_barrier_signal -1
	s_barrier_wait -1
	ds_load_b64 v[68:69], v72 offset:136
	v_mov_b32_e32 v70, 17
	s_cmp_lt_i32 s18, 19
	s_cbranch_scc1 .LBB60_359
; %bb.357:
	v_add3_u32 v71, v73, 0, 0x90
	v_mov_b32_e32 v70, 17
	s_mov_b32 s0, 18
.LBB60_358:                             ; =>This Inner Loop Header: Depth=1
	ds_load_b64 v[78:79], v71
	s_wait_dscnt 0x1
	v_cmp_gt_f32_e32 vcc_lo, 0, v68
	v_cndmask_b32_e64 v80, v68, -v68, vcc_lo
	v_cmp_gt_f32_e32 vcc_lo, 0, v69
	v_cndmask_b32_e64 v82, v69, -v69, vcc_lo
	s_wait_dscnt 0x0
	v_cmp_gt_f32_e32 vcc_lo, 0, v78
	v_cndmask_b32_e64 v81, v78, -v78, vcc_lo
	v_cmp_gt_f32_e32 vcc_lo, 0, v79
	v_cndmask_b32_e64 v83, v79, -v79, vcc_lo
	s_delay_alu instid0(VALU_DEP_1) | instskip(NEXT) | instid1(VALU_DEP_1)
	v_pk_add_f32 v[80:81], v[80:81], v[82:83]
	v_cmp_lt_f32_e32 vcc_lo, v80, v81
	v_dual_cndmask_b32 v68, v68, v78 :: v_dual_add_nc_u32 v71, 8, v71
	v_cndmask_b32_e32 v69, v69, v79, vcc_lo
	v_cndmask_b32_e64 v70, v70, s0, vcc_lo
	s_add_co_i32 s0, s0, 1
	s_delay_alu instid0(SALU_CYCLE_1)
	s_cmp_lg_u32 s18, s0
	s_cbranch_scc1 .LBB60_358
.LBB60_359:
	s_wait_dscnt 0x0
	v_cmp_eq_f32_e32 vcc_lo, 0, v68
	v_cmp_eq_f32_e64 s0, 0, v69
	s_and_b32 s0, vcc_lo, s0
	s_delay_alu instid0(SALU_CYCLE_1) | instskip(NEXT) | instid1(SALU_CYCLE_1)
	s_and_saveexec_b32 s1, s0
	s_xor_b32 s0, exec_lo, s1
; %bb.360:
	v_cmp_ne_u32_e32 vcc_lo, 0, v74
	v_cndmask_b32_e32 v74, 18, v74, vcc_lo
; %bb.361:
	s_and_not1_saveexec_b32 s0, s0
	s_cbranch_execz .LBB60_367
; %bb.362:
	v_cmp_ngt_f32_e64 s1, |v68|, |v69|
	s_and_saveexec_b32 s12, s1
	s_delay_alu instid0(SALU_CYCLE_1)
	s_xor_b32 s1, exec_lo, s12
	s_cbranch_execz .LBB60_364
; %bb.363:
	v_div_scale_f32 v71, null, v69, v69, v68
	v_div_scale_f32 v79, vcc_lo, v68, v69, v68
	s_delay_alu instid0(VALU_DEP_2) | instskip(SKIP_1) | instid1(TRANS32_DEP_1)
	v_rcp_f32_e32 v77, v71
	v_nop
	v_fma_f32 v78, -v71, v77, 1.0
	s_delay_alu instid0(VALU_DEP_1) | instskip(NEXT) | instid1(VALU_DEP_1)
	v_fmac_f32_e32 v77, v78, v77
	v_mul_f32_e32 v78, v79, v77
	s_delay_alu instid0(VALU_DEP_1) | instskip(NEXT) | instid1(VALU_DEP_1)
	v_fma_f32 v80, -v71, v78, v79
	v_fmac_f32_e32 v78, v80, v77
	s_delay_alu instid0(VALU_DEP_1) | instskip(NEXT) | instid1(VALU_DEP_1)
	v_fma_f32 v71, -v71, v78, v79
	v_div_fmas_f32 v71, v71, v77, v78
	s_delay_alu instid0(VALU_DEP_1) | instskip(NEXT) | instid1(VALU_DEP_1)
	v_div_fixup_f32 v71, v71, v69, v68
	v_fmac_f32_e32 v69, v68, v71
	s_delay_alu instid0(VALU_DEP_1) | instskip(SKIP_1) | instid1(VALU_DEP_2)
	v_div_scale_f32 v68, null, v69, v69, 1.0
	v_div_scale_f32 v79, vcc_lo, 1.0, v69, 1.0
	v_rcp_f32_e32 v77, v68
	v_nop
	s_delay_alu instid0(TRANS32_DEP_1) | instskip(NEXT) | instid1(VALU_DEP_1)
	v_fma_f32 v78, -v68, v77, 1.0
	v_fmac_f32_e32 v77, v78, v77
	s_delay_alu instid0(VALU_DEP_1) | instskip(NEXT) | instid1(VALU_DEP_1)
	v_mul_f32_e32 v78, v79, v77
	v_fma_f32 v80, -v68, v78, v79
	s_delay_alu instid0(VALU_DEP_1) | instskip(NEXT) | instid1(VALU_DEP_1)
	v_fmac_f32_e32 v78, v80, v77
	v_fma_f32 v68, -v68, v78, v79
	s_delay_alu instid0(VALU_DEP_1) | instskip(NEXT) | instid1(VALU_DEP_1)
	v_div_fmas_f32 v68, v68, v77, v78
	v_div_fixup_f32 v69, v68, v69, 1.0
	s_delay_alu instid0(VALU_DEP_1)
	v_mul_f32_e32 v68, v71, v69
	v_xor_b32_e32 v69, 0x80000000, v69
.LBB60_364:
	s_and_not1_saveexec_b32 s1, s1
	s_cbranch_execz .LBB60_366
; %bb.365:
	s_delay_alu instid0(VALU_DEP_1) | instskip(SKIP_1) | instid1(VALU_DEP_2)
	v_div_scale_f32 v71, null, v68, v68, v69
	v_div_scale_f32 v79, vcc_lo, v69, v68, v69
	v_rcp_f32_e32 v77, v71
	v_nop
	s_delay_alu instid0(TRANS32_DEP_1) | instskip(NEXT) | instid1(VALU_DEP_1)
	v_fma_f32 v78, -v71, v77, 1.0
	v_fmac_f32_e32 v77, v78, v77
	s_delay_alu instid0(VALU_DEP_1) | instskip(NEXT) | instid1(VALU_DEP_1)
	v_mul_f32_e32 v78, v79, v77
	v_fma_f32 v80, -v71, v78, v79
	s_delay_alu instid0(VALU_DEP_1) | instskip(NEXT) | instid1(VALU_DEP_1)
	v_fmac_f32_e32 v78, v80, v77
	v_fma_f32 v71, -v71, v78, v79
	s_delay_alu instid0(VALU_DEP_1) | instskip(NEXT) | instid1(VALU_DEP_1)
	v_div_fmas_f32 v71, v71, v77, v78
	v_div_fixup_f32 v71, v71, v68, v69
	s_delay_alu instid0(VALU_DEP_1) | instskip(NEXT) | instid1(VALU_DEP_1)
	v_fmac_f32_e32 v68, v69, v71
	v_div_scale_f32 v69, null, v68, v68, 1.0
	s_delay_alu instid0(VALU_DEP_1) | instskip(SKIP_1) | instid1(TRANS32_DEP_1)
	v_rcp_f32_e32 v77, v69
	v_nop
	v_fma_f32 v78, -v69, v77, 1.0
	s_delay_alu instid0(VALU_DEP_1) | instskip(SKIP_1) | instid1(VALU_DEP_1)
	v_fmac_f32_e32 v77, v78, v77
	v_div_scale_f32 v78, vcc_lo, 1.0, v68, 1.0
	v_mul_f32_e32 v79, v78, v77
	s_delay_alu instid0(VALU_DEP_1) | instskip(NEXT) | instid1(VALU_DEP_1)
	v_fma_f32 v80, -v69, v79, v78
	v_fmac_f32_e32 v79, v80, v77
	s_delay_alu instid0(VALU_DEP_1) | instskip(NEXT) | instid1(VALU_DEP_1)
	v_fma_f32 v69, -v69, v79, v78
	v_div_fmas_f32 v69, v69, v77, v79
	s_delay_alu instid0(VALU_DEP_1) | instskip(NEXT) | instid1(VALU_DEP_1)
	v_div_fixup_f32 v68, v69, v68, 1.0
	v_mul_f32_e64 v69, v71, -v68
.LBB60_366:
	s_or_b32 exec_lo, exec_lo, s1
.LBB60_367:
	s_delay_alu instid0(SALU_CYCLE_1) | instskip(NEXT) | instid1(SALU_CYCLE_1)
	s_or_b32 exec_lo, exec_lo, s0
	s_mov_b32 s0, exec_lo
	v_cmpx_ne_u32_e64 v76, v70
	s_xor_b32 s0, exec_lo, s0
	s_cbranch_execz .LBB60_373
; %bb.368:
	s_mov_b32 s1, exec_lo
	v_cmpx_eq_u32_e32 17, v76
	s_cbranch_execz .LBB60_372
; %bb.369:
	v_cmp_ne_u32_e32 vcc_lo, 17, v70
	s_xor_b32 s12, s16, -1
	s_delay_alu instid0(SALU_CYCLE_1) | instskip(NEXT) | instid1(SALU_CYCLE_1)
	s_and_b32 s13, s12, vcc_lo
	s_and_saveexec_b32 s12, s13
	s_cbranch_execz .LBB60_371
; %bb.370:
	v_ashrrev_i32_e32 v71, 31, v70
	s_delay_alu instid0(VALU_DEP_1)
	v_lshl_add_u64 v[76:77], v[70:71], 2, v[4:5]
	s_clause 0x1
	global_load_b32 v71, v[76:77], off
	global_load_b32 v75, v[4:5], off offset:68
	s_wait_loadcnt 0x1
	global_store_b32 v[4:5], v71, off offset:68
	s_wait_loadcnt 0x0
	global_store_b32 v[76:77], v75, off
.LBB60_371:
	s_wait_xcnt 0x0
	s_or_b32 exec_lo, exec_lo, s12
	v_dual_mov_b32 v76, v70 :: v_dual_mov_b32 v75, v70
.LBB60_372:
	s_or_b32 exec_lo, exec_lo, s1
.LBB60_373:
	s_and_not1_saveexec_b32 s0, s0
	s_cbranch_execz .LBB60_375
; %bb.374:
	v_dual_mov_b32 v70, v28 :: v_dual_mov_b32 v71, v29
	v_dual_mov_b32 v76, v26 :: v_dual_mov_b32 v77, v27
	;; [unrolled: 1-line block ×4, first 2 shown]
	ds_store_2addr_b64 v72, v[70:71], v[76:77] offset0:18 offset1:19
	ds_store_2addr_b64 v72, v[78:79], v[80:81] offset0:20 offset1:21
	v_dual_mov_b32 v70, v22 :: v_dual_mov_b32 v71, v23
	v_dual_mov_b32 v78, v18 :: v_dual_mov_b32 v79, v19
	;; [unrolled: 1-line block ×8, first 2 shown]
	v_mov_b32_e32 v91, v25
	ds_store_2addr_b64 v72, v[70:71], v[78:79] offset0:22 offset1:23
	ds_store_2addr_b64 v72, v[80:81], v[82:83] offset0:24 offset1:25
	;; [unrolled: 1-line block ×4, first 2 shown]
	ds_store_b64 v72, v[66:67] offset:240
.LBB60_375:
	s_or_b32 exec_lo, exec_lo, s0
	s_delay_alu instid0(SALU_CYCLE_1)
	s_mov_b32 s0, exec_lo
	s_wait_storecnt_dscnt 0x0
	s_barrier_signal -1
	s_barrier_wait -1
	v_cmpx_lt_i32_e32 17, v76
	s_cbranch_execz .LBB60_377
; %bb.376:
	v_pk_mul_f32 v[70:71], v[68:69], v[54:55] op_sel:[1,1] op_sel_hi:[0,1]
	s_delay_alu instid0(VALU_DEP_1)
	v_pk_fma_f32 v[78:79], v[68:69], v[54:55], v[70:71] op_sel_hi:[1,0,1] neg_lo:[0,0,1] neg_hi:[0,0,1]
	v_pk_fma_f32 v[80:81], v[68:69], v[54:55], v[70:71] op_sel_hi:[1,0,1]
	ds_load_2addr_b64 v[68:71], v72 offset0:18 offset1:19
	v_dual_mov_b32 v54, v78 :: v_dual_mov_b32 v55, v81
	s_wait_dscnt 0x0
	v_pk_mul_f32 v[82:83], v[68:69], v[80:81] op_sel:[0,1]
	s_delay_alu instid0(VALU_DEP_1) | instskip(SKIP_1) | instid1(VALU_DEP_1)
	v_pk_fma_f32 v[84:85], v[68:69], v[78:79], v[82:83] op_sel:[0,0,1] op_sel_hi:[1,1,0] neg_lo:[0,0,1] neg_hi:[0,0,1]
	v_pk_fma_f32 v[68:69], v[68:69], v[78:79], v[82:83] op_sel:[0,0,1] op_sel_hi:[1,0,0]
	v_mov_b32_e32 v85, v69
	v_pk_mul_f32 v[68:69], v[70:71], v[80:81] op_sel:[0,1]
	s_delay_alu instid0(VALU_DEP_1) | instskip(SKIP_1) | instid1(VALU_DEP_1)
	v_pk_fma_f32 v[82:83], v[70:71], v[78:79], v[68:69] op_sel:[0,0,1] op_sel_hi:[1,1,0] neg_lo:[0,0,1] neg_hi:[0,0,1]
	v_pk_fma_f32 v[68:69], v[70:71], v[78:79], v[68:69] op_sel:[0,0,1] op_sel_hi:[1,0,0]
	v_mov_b32_e32 v83, v69
	ds_load_2addr_b64 v[68:71], v72 offset0:20 offset1:21
	v_pk_add_f32 v[28:29], v[28:29], v[84:85] neg_lo:[0,1] neg_hi:[0,1]
	v_pk_add_f32 v[26:27], v[26:27], v[82:83] neg_lo:[0,1] neg_hi:[0,1]
	s_wait_dscnt 0x0
	v_pk_mul_f32 v[82:83], v[68:69], v[80:81] op_sel:[0,1]
	s_delay_alu instid0(VALU_DEP_1) | instskip(SKIP_2) | instid1(VALU_DEP_2)
	v_pk_fma_f32 v[84:85], v[68:69], v[78:79], v[82:83] op_sel:[0,0,1] op_sel_hi:[1,1,0] neg_lo:[0,0,1] neg_hi:[0,0,1]
	v_pk_fma_f32 v[68:69], v[68:69], v[78:79], v[82:83] op_sel:[0,0,1] op_sel_hi:[1,0,0]
	v_dual_mul_f32 v82, v71, v81 :: v_dual_mov_b32 v68, v71
	v_dual_mov_b32 v85, v69 :: v_dual_mov_b32 v69, v70
	s_delay_alu instid0(VALU_DEP_2) | instskip(SKIP_1) | instid1(VALU_DEP_3)
	v_pk_fma_f32 v[82:83], v[70:71], v[54:55], v[82:83] op_sel_hi:[1,1,0] neg_lo:[0,0,1] neg_hi:[0,0,1]
	v_mul_f32_e32 v70, v71, v78
	v_pk_add_f32 v[52:53], v[52:53], v[84:85] neg_lo:[0,1] neg_hi:[0,1]
	s_delay_alu instid0(VALU_DEP_2) | instskip(NEXT) | instid1(VALU_DEP_1)
	v_pk_fma_f32 v[68:69], v[68:69], v[54:55], v[70:71] op_sel_hi:[1,1,0]
	v_mov_b32_e32 v83, v69
	ds_load_2addr_b64 v[68:71], v72 offset0:22 offset1:23
	v_pk_add_f32 v[50:51], v[50:51], v[82:83] neg_lo:[0,1] neg_hi:[0,1]
	s_wait_dscnt 0x0
	v_pk_mul_f32 v[82:83], v[68:69], v[80:81] op_sel:[0,1]
	s_delay_alu instid0(VALU_DEP_1) | instskip(SKIP_1) | instid1(VALU_DEP_1)
	v_pk_fma_f32 v[84:85], v[68:69], v[78:79], v[82:83] op_sel:[0,0,1] op_sel_hi:[1,1,0] neg_lo:[0,0,1] neg_hi:[0,0,1]
	v_pk_fma_f32 v[68:69], v[68:69], v[78:79], v[82:83] op_sel:[0,0,1] op_sel_hi:[1,0,0]
	v_mov_b32_e32 v85, v69
	v_pk_mul_f32 v[68:69], v[70:71], v[80:81] op_sel:[0,1]
	s_delay_alu instid0(VALU_DEP_1) | instskip(SKIP_1) | instid1(VALU_DEP_1)
	v_pk_fma_f32 v[82:83], v[70:71], v[78:79], v[68:69] op_sel:[0,0,1] op_sel_hi:[1,1,0] neg_lo:[0,0,1] neg_hi:[0,0,1]
	v_pk_fma_f32 v[68:69], v[70:71], v[78:79], v[68:69] op_sel:[0,0,1] op_sel_hi:[1,0,0]
	v_mov_b32_e32 v83, v69
	ds_load_2addr_b64 v[68:71], v72 offset0:24 offset1:25
	v_pk_add_f32 v[22:23], v[22:23], v[84:85] neg_lo:[0,1] neg_hi:[0,1]
	v_pk_add_f32 v[18:19], v[18:19], v[82:83] neg_lo:[0,1] neg_hi:[0,1]
	s_wait_dscnt 0x0
	v_pk_mul_f32 v[82:83], v[68:69], v[80:81] op_sel:[0,1]
	s_delay_alu instid0(VALU_DEP_1) | instskip(SKIP_1) | instid1(VALU_DEP_1)
	v_pk_fma_f32 v[84:85], v[68:69], v[78:79], v[82:83] op_sel:[0,0,1] op_sel_hi:[1,1,0] neg_lo:[0,0,1] neg_hi:[0,0,1]
	v_pk_fma_f32 v[68:69], v[68:69], v[78:79], v[82:83] op_sel:[0,0,1] op_sel_hi:[1,0,0]
	v_mov_b32_e32 v85, v69
	v_pk_mul_f32 v[68:69], v[70:71], v[80:81] op_sel:[0,1]
	s_delay_alu instid0(VALU_DEP_1) | instskip(SKIP_1) | instid1(VALU_DEP_1)
	v_pk_fma_f32 v[82:83], v[70:71], v[78:79], v[68:69] op_sel:[0,0,1] op_sel_hi:[1,1,0] neg_lo:[0,0,1] neg_hi:[0,0,1]
	v_pk_fma_f32 v[68:69], v[70:71], v[78:79], v[68:69] op_sel:[0,0,1] op_sel_hi:[1,0,0]
	v_mov_b32_e32 v83, v69
	ds_load_2addr_b64 v[68:71], v72 offset0:26 offset1:27
	v_pk_add_f32 v[36:37], v[36:37], v[84:85] neg_lo:[0,1] neg_hi:[0,1]
	v_pk_add_f32 v[34:35], v[34:35], v[82:83] neg_lo:[0,1] neg_hi:[0,1]
	s_wait_dscnt 0x0
	v_dual_mul_f32 v82, v69, v81 :: v_dual_mul_f32 v84, v69, v78
	s_delay_alu instid0(VALU_DEP_1) | instskip(NEXT) | instid1(VALU_DEP_2)
	v_pk_fma_f32 v[82:83], v[68:69], v[54:55], v[82:83] op_sel_hi:[1,1,0] neg_lo:[0,0,1] neg_hi:[0,0,1]
	v_pk_fma_f32 v[68:69], v[68:69], v[54:55], v[84:85] op_sel:[1,0,0] op_sel_hi:[0,1,0]
	s_delay_alu instid0(VALU_DEP_1) | instskip(SKIP_1) | instid1(VALU_DEP_2)
	v_mov_b32_e32 v83, v69
	v_pk_mul_f32 v[68:69], v[70:71], v[80:81] op_sel:[0,1]
	v_pk_add_f32 v[20:21], v[20:21], v[82:83] neg_lo:[0,1] neg_hi:[0,1]
	s_delay_alu instid0(VALU_DEP_2) | instskip(SKIP_1) | instid1(VALU_DEP_1)
	v_pk_fma_f32 v[82:83], v[70:71], v[78:79], v[68:69] op_sel:[0,0,1] op_sel_hi:[1,1,0] neg_lo:[0,0,1] neg_hi:[0,0,1]
	v_pk_fma_f32 v[68:69], v[70:71], v[78:79], v[68:69] op_sel:[0,0,1] op_sel_hi:[1,0,0]
	v_mov_b32_e32 v83, v69
	ds_load_2addr_b64 v[68:71], v72 offset0:28 offset1:29
	v_pk_add_f32 v[32:33], v[32:33], v[82:83] neg_lo:[0,1] neg_hi:[0,1]
	s_wait_dscnt 0x0
	v_pk_mul_f32 v[82:83], v[68:69], v[80:81] op_sel:[0,1]
	s_delay_alu instid0(VALU_DEP_1) | instskip(SKIP_1) | instid1(VALU_DEP_1)
	v_pk_fma_f32 v[84:85], v[68:69], v[78:79], v[82:83] op_sel:[0,0,1] op_sel_hi:[1,1,0] neg_lo:[0,0,1] neg_hi:[0,0,1]
	v_pk_fma_f32 v[68:69], v[68:69], v[78:79], v[82:83] op_sel:[0,0,1] op_sel_hi:[1,0,0]
	v_mov_b32_e32 v85, v69
	v_pk_mul_f32 v[68:69], v[70:71], v[80:81] op_sel:[0,1]
	s_delay_alu instid0(VALU_DEP_2) | instskip(NEXT) | instid1(VALU_DEP_2)
	v_pk_add_f32 v[30:31], v[30:31], v[84:85] neg_lo:[0,1] neg_hi:[0,1]
	v_pk_fma_f32 v[82:83], v[70:71], v[78:79], v[68:69] op_sel:[0,0,1] op_sel_hi:[1,1,0] neg_lo:[0,0,1] neg_hi:[0,0,1]
	v_pk_fma_f32 v[68:69], v[70:71], v[78:79], v[68:69] op_sel:[0,0,1] op_sel_hi:[1,0,0]
	s_delay_alu instid0(VALU_DEP_1) | instskip(SKIP_4) | instid1(VALU_DEP_1)
	v_mov_b32_e32 v83, v69
	ds_load_b64 v[68:69], v72 offset:240
	v_pk_add_f32 v[24:25], v[24:25], v[82:83] neg_lo:[0,1] neg_hi:[0,1]
	s_wait_dscnt 0x0
	v_pk_mul_f32 v[70:71], v[68:69], v[80:81] op_sel:[0,1]
	v_pk_fma_f32 v[80:81], v[68:69], v[78:79], v[70:71] op_sel:[0,0,1] op_sel_hi:[1,1,0] neg_lo:[0,0,1] neg_hi:[0,0,1]
	v_pk_fma_f32 v[68:69], v[68:69], v[78:79], v[70:71] op_sel:[0,0,1] op_sel_hi:[1,0,0]
	s_delay_alu instid0(VALU_DEP_1) | instskip(NEXT) | instid1(VALU_DEP_1)
	v_mov_b32_e32 v81, v69
	v_pk_add_f32 v[66:67], v[66:67], v[80:81] neg_lo:[0,1] neg_hi:[0,1]
.LBB60_377:
	s_or_b32 exec_lo, exec_lo, s0
	v_lshl_add_u32 v68, v76, 3, v72
	s_barrier_signal -1
	s_barrier_wait -1
	ds_store_b64 v68, v[28:29]
	s_wait_dscnt 0x0
	s_barrier_signal -1
	s_barrier_wait -1
	ds_load_b64 v[68:69], v72 offset:144
	v_mov_b32_e32 v70, 18
	s_cmp_lt_i32 s18, 20
	s_cbranch_scc1 .LBB60_380
; %bb.378:
	v_add3_u32 v71, v73, 0, 0x98
	v_mov_b32_e32 v70, 18
	s_mov_b32 s0, 19
.LBB60_379:                             ; =>This Inner Loop Header: Depth=1
	ds_load_b64 v[78:79], v71
	s_wait_dscnt 0x1
	v_cmp_gt_f32_e32 vcc_lo, 0, v68
	v_cndmask_b32_e64 v80, v68, -v68, vcc_lo
	v_cmp_gt_f32_e32 vcc_lo, 0, v69
	v_cndmask_b32_e64 v82, v69, -v69, vcc_lo
	s_wait_dscnt 0x0
	v_cmp_gt_f32_e32 vcc_lo, 0, v78
	v_cndmask_b32_e64 v81, v78, -v78, vcc_lo
	v_cmp_gt_f32_e32 vcc_lo, 0, v79
	v_cndmask_b32_e64 v83, v79, -v79, vcc_lo
	s_delay_alu instid0(VALU_DEP_1) | instskip(NEXT) | instid1(VALU_DEP_1)
	v_pk_add_f32 v[80:81], v[80:81], v[82:83]
	v_cmp_lt_f32_e32 vcc_lo, v80, v81
	v_dual_cndmask_b32 v68, v68, v78 :: v_dual_add_nc_u32 v71, 8, v71
	v_cndmask_b32_e32 v69, v69, v79, vcc_lo
	v_cndmask_b32_e64 v70, v70, s0, vcc_lo
	s_add_co_i32 s0, s0, 1
	s_delay_alu instid0(SALU_CYCLE_1)
	s_cmp_lg_u32 s18, s0
	s_cbranch_scc1 .LBB60_379
.LBB60_380:
	s_wait_dscnt 0x0
	v_cmp_eq_f32_e32 vcc_lo, 0, v68
	v_cmp_eq_f32_e64 s0, 0, v69
	s_and_b32 s0, vcc_lo, s0
	s_delay_alu instid0(SALU_CYCLE_1) | instskip(NEXT) | instid1(SALU_CYCLE_1)
	s_and_saveexec_b32 s1, s0
	s_xor_b32 s0, exec_lo, s1
; %bb.381:
	v_cmp_ne_u32_e32 vcc_lo, 0, v74
	v_cndmask_b32_e32 v74, 19, v74, vcc_lo
; %bb.382:
	s_and_not1_saveexec_b32 s0, s0
	s_cbranch_execz .LBB60_388
; %bb.383:
	v_cmp_ngt_f32_e64 s1, |v68|, |v69|
	s_and_saveexec_b32 s12, s1
	s_delay_alu instid0(SALU_CYCLE_1)
	s_xor_b32 s1, exec_lo, s12
	s_cbranch_execz .LBB60_385
; %bb.384:
	v_div_scale_f32 v71, null, v69, v69, v68
	v_div_scale_f32 v79, vcc_lo, v68, v69, v68
	s_delay_alu instid0(VALU_DEP_2) | instskip(SKIP_1) | instid1(TRANS32_DEP_1)
	v_rcp_f32_e32 v77, v71
	v_nop
	v_fma_f32 v78, -v71, v77, 1.0
	s_delay_alu instid0(VALU_DEP_1) | instskip(NEXT) | instid1(VALU_DEP_1)
	v_fmac_f32_e32 v77, v78, v77
	v_mul_f32_e32 v78, v79, v77
	s_delay_alu instid0(VALU_DEP_1) | instskip(NEXT) | instid1(VALU_DEP_1)
	v_fma_f32 v80, -v71, v78, v79
	v_fmac_f32_e32 v78, v80, v77
	s_delay_alu instid0(VALU_DEP_1) | instskip(NEXT) | instid1(VALU_DEP_1)
	v_fma_f32 v71, -v71, v78, v79
	v_div_fmas_f32 v71, v71, v77, v78
	s_delay_alu instid0(VALU_DEP_1) | instskip(NEXT) | instid1(VALU_DEP_1)
	v_div_fixup_f32 v71, v71, v69, v68
	v_fmac_f32_e32 v69, v68, v71
	s_delay_alu instid0(VALU_DEP_1) | instskip(SKIP_1) | instid1(VALU_DEP_2)
	v_div_scale_f32 v68, null, v69, v69, 1.0
	v_div_scale_f32 v79, vcc_lo, 1.0, v69, 1.0
	v_rcp_f32_e32 v77, v68
	v_nop
	s_delay_alu instid0(TRANS32_DEP_1) | instskip(NEXT) | instid1(VALU_DEP_1)
	v_fma_f32 v78, -v68, v77, 1.0
	v_fmac_f32_e32 v77, v78, v77
	s_delay_alu instid0(VALU_DEP_1) | instskip(NEXT) | instid1(VALU_DEP_1)
	v_mul_f32_e32 v78, v79, v77
	v_fma_f32 v80, -v68, v78, v79
	s_delay_alu instid0(VALU_DEP_1) | instskip(NEXT) | instid1(VALU_DEP_1)
	v_fmac_f32_e32 v78, v80, v77
	v_fma_f32 v68, -v68, v78, v79
	s_delay_alu instid0(VALU_DEP_1) | instskip(NEXT) | instid1(VALU_DEP_1)
	v_div_fmas_f32 v68, v68, v77, v78
	v_div_fixup_f32 v69, v68, v69, 1.0
	s_delay_alu instid0(VALU_DEP_1)
	v_mul_f32_e32 v68, v71, v69
	v_xor_b32_e32 v69, 0x80000000, v69
.LBB60_385:
	s_and_not1_saveexec_b32 s1, s1
	s_cbranch_execz .LBB60_387
; %bb.386:
	s_delay_alu instid0(VALU_DEP_1) | instskip(SKIP_1) | instid1(VALU_DEP_2)
	v_div_scale_f32 v71, null, v68, v68, v69
	v_div_scale_f32 v79, vcc_lo, v69, v68, v69
	v_rcp_f32_e32 v77, v71
	v_nop
	s_delay_alu instid0(TRANS32_DEP_1) | instskip(NEXT) | instid1(VALU_DEP_1)
	v_fma_f32 v78, -v71, v77, 1.0
	v_fmac_f32_e32 v77, v78, v77
	s_delay_alu instid0(VALU_DEP_1) | instskip(NEXT) | instid1(VALU_DEP_1)
	v_mul_f32_e32 v78, v79, v77
	v_fma_f32 v80, -v71, v78, v79
	s_delay_alu instid0(VALU_DEP_1) | instskip(NEXT) | instid1(VALU_DEP_1)
	v_fmac_f32_e32 v78, v80, v77
	v_fma_f32 v71, -v71, v78, v79
	s_delay_alu instid0(VALU_DEP_1) | instskip(NEXT) | instid1(VALU_DEP_1)
	v_div_fmas_f32 v71, v71, v77, v78
	v_div_fixup_f32 v71, v71, v68, v69
	s_delay_alu instid0(VALU_DEP_1) | instskip(NEXT) | instid1(VALU_DEP_1)
	v_fmac_f32_e32 v68, v69, v71
	v_div_scale_f32 v69, null, v68, v68, 1.0
	s_delay_alu instid0(VALU_DEP_1) | instskip(SKIP_1) | instid1(TRANS32_DEP_1)
	v_rcp_f32_e32 v77, v69
	v_nop
	v_fma_f32 v78, -v69, v77, 1.0
	s_delay_alu instid0(VALU_DEP_1) | instskip(SKIP_1) | instid1(VALU_DEP_1)
	v_fmac_f32_e32 v77, v78, v77
	v_div_scale_f32 v78, vcc_lo, 1.0, v68, 1.0
	v_mul_f32_e32 v79, v78, v77
	s_delay_alu instid0(VALU_DEP_1) | instskip(NEXT) | instid1(VALU_DEP_1)
	v_fma_f32 v80, -v69, v79, v78
	v_fmac_f32_e32 v79, v80, v77
	s_delay_alu instid0(VALU_DEP_1) | instskip(NEXT) | instid1(VALU_DEP_1)
	v_fma_f32 v69, -v69, v79, v78
	v_div_fmas_f32 v69, v69, v77, v79
	s_delay_alu instid0(VALU_DEP_1) | instskip(NEXT) | instid1(VALU_DEP_1)
	v_div_fixup_f32 v68, v69, v68, 1.0
	v_mul_f32_e64 v69, v71, -v68
.LBB60_387:
	s_or_b32 exec_lo, exec_lo, s1
.LBB60_388:
	s_delay_alu instid0(SALU_CYCLE_1) | instskip(NEXT) | instid1(SALU_CYCLE_1)
	s_or_b32 exec_lo, exec_lo, s0
	s_mov_b32 s0, exec_lo
	v_cmpx_ne_u32_e64 v76, v70
	s_xor_b32 s0, exec_lo, s0
	s_cbranch_execz .LBB60_394
; %bb.389:
	s_mov_b32 s1, exec_lo
	v_cmpx_eq_u32_e32 18, v76
	s_cbranch_execz .LBB60_393
; %bb.390:
	v_cmp_ne_u32_e32 vcc_lo, 18, v70
	s_xor_b32 s12, s16, -1
	s_delay_alu instid0(SALU_CYCLE_1) | instskip(NEXT) | instid1(SALU_CYCLE_1)
	s_and_b32 s13, s12, vcc_lo
	s_and_saveexec_b32 s12, s13
	s_cbranch_execz .LBB60_392
; %bb.391:
	v_ashrrev_i32_e32 v71, 31, v70
	s_delay_alu instid0(VALU_DEP_1)
	v_lshl_add_u64 v[76:77], v[70:71], 2, v[4:5]
	s_clause 0x1
	global_load_b32 v71, v[76:77], off
	global_load_b32 v75, v[4:5], off offset:72
	s_wait_loadcnt 0x1
	global_store_b32 v[4:5], v71, off offset:72
	s_wait_loadcnt 0x0
	global_store_b32 v[76:77], v75, off
.LBB60_392:
	s_wait_xcnt 0x0
	s_or_b32 exec_lo, exec_lo, s12
	v_dual_mov_b32 v76, v70 :: v_dual_mov_b32 v75, v70
.LBB60_393:
	s_or_b32 exec_lo, exec_lo, s1
.LBB60_394:
	s_and_not1_saveexec_b32 s0, s0
	s_cbranch_execz .LBB60_396
; %bb.395:
	v_mov_b32_e32 v76, 18
	ds_store_2addr_b64 v72, v[26:27], v[52:53] offset0:19 offset1:20
	ds_store_2addr_b64 v72, v[50:51], v[22:23] offset0:21 offset1:22
	;; [unrolled: 1-line block ×6, first 2 shown]
.LBB60_396:
	s_or_b32 exec_lo, exec_lo, s0
	s_delay_alu instid0(SALU_CYCLE_1)
	s_mov_b32 s0, exec_lo
	s_wait_storecnt_dscnt 0x0
	s_barrier_signal -1
	s_barrier_wait -1
	v_cmpx_lt_i32_e32 18, v76
	s_cbranch_execz .LBB60_398
; %bb.397:
	v_pk_mul_f32 v[70:71], v[68:69], v[28:29] op_sel:[1,1] op_sel_hi:[0,1]
	s_delay_alu instid0(VALU_DEP_1)
	v_pk_fma_f32 v[78:79], v[68:69], v[28:29], v[70:71] op_sel_hi:[1,0,1] neg_lo:[0,0,1] neg_hi:[0,0,1]
	v_pk_fma_f32 v[80:81], v[68:69], v[28:29], v[70:71] op_sel_hi:[1,0,1]
	ds_load_2addr_b64 v[68:71], v72 offset0:19 offset1:20
	v_dual_mov_b32 v28, v78 :: v_dual_mov_b32 v29, v81
	s_wait_dscnt 0x0
	v_pk_mul_f32 v[82:83], v[68:69], v[80:81] op_sel:[0,1]
	s_delay_alu instid0(VALU_DEP_1) | instskip(SKIP_1) | instid1(VALU_DEP_1)
	v_pk_fma_f32 v[84:85], v[68:69], v[78:79], v[82:83] op_sel:[0,0,1] op_sel_hi:[1,1,0] neg_lo:[0,0,1] neg_hi:[0,0,1]
	v_pk_fma_f32 v[68:69], v[68:69], v[78:79], v[82:83] op_sel:[0,0,1] op_sel_hi:[1,0,0]
	v_mov_b32_e32 v85, v69
	v_pk_mul_f32 v[68:69], v[70:71], v[80:81] op_sel:[0,1]
	s_delay_alu instid0(VALU_DEP_1) | instskip(SKIP_1) | instid1(VALU_DEP_1)
	v_pk_fma_f32 v[82:83], v[70:71], v[78:79], v[68:69] op_sel:[0,0,1] op_sel_hi:[1,1,0] neg_lo:[0,0,1] neg_hi:[0,0,1]
	v_pk_fma_f32 v[68:69], v[70:71], v[78:79], v[68:69] op_sel:[0,0,1] op_sel_hi:[1,0,0]
	v_mov_b32_e32 v83, v69
	ds_load_2addr_b64 v[68:71], v72 offset0:21 offset1:22
	v_pk_add_f32 v[26:27], v[26:27], v[84:85] neg_lo:[0,1] neg_hi:[0,1]
	v_pk_add_f32 v[52:53], v[52:53], v[82:83] neg_lo:[0,1] neg_hi:[0,1]
	s_wait_dscnt 0x0
	v_pk_mul_f32 v[82:83], v[68:69], v[80:81] op_sel:[0,1]
	s_delay_alu instid0(VALU_DEP_1) | instskip(SKIP_2) | instid1(VALU_DEP_2)
	v_pk_fma_f32 v[84:85], v[68:69], v[78:79], v[82:83] op_sel:[0,0,1] op_sel_hi:[1,1,0] neg_lo:[0,0,1] neg_hi:[0,0,1]
	v_pk_fma_f32 v[68:69], v[68:69], v[78:79], v[82:83] op_sel:[0,0,1] op_sel_hi:[1,0,0]
	v_dual_mul_f32 v82, v71, v81 :: v_dual_mov_b32 v68, v71
	v_dual_mov_b32 v85, v69 :: v_dual_mov_b32 v69, v70
	s_delay_alu instid0(VALU_DEP_2) | instskip(SKIP_1) | instid1(VALU_DEP_3)
	v_pk_fma_f32 v[82:83], v[70:71], v[28:29], v[82:83] op_sel_hi:[1,1,0] neg_lo:[0,0,1] neg_hi:[0,0,1]
	v_mul_f32_e32 v70, v71, v78
	v_pk_add_f32 v[50:51], v[50:51], v[84:85] neg_lo:[0,1] neg_hi:[0,1]
	s_delay_alu instid0(VALU_DEP_2) | instskip(NEXT) | instid1(VALU_DEP_1)
	v_pk_fma_f32 v[68:69], v[68:69], v[28:29], v[70:71] op_sel_hi:[1,1,0]
	v_mov_b32_e32 v83, v69
	ds_load_2addr_b64 v[68:71], v72 offset0:23 offset1:24
	v_pk_add_f32 v[22:23], v[22:23], v[82:83] neg_lo:[0,1] neg_hi:[0,1]
	s_wait_dscnt 0x0
	v_pk_mul_f32 v[82:83], v[68:69], v[80:81] op_sel:[0,1]
	s_delay_alu instid0(VALU_DEP_1) | instskip(SKIP_1) | instid1(VALU_DEP_1)
	v_pk_fma_f32 v[84:85], v[68:69], v[78:79], v[82:83] op_sel:[0,0,1] op_sel_hi:[1,1,0] neg_lo:[0,0,1] neg_hi:[0,0,1]
	v_pk_fma_f32 v[68:69], v[68:69], v[78:79], v[82:83] op_sel:[0,0,1] op_sel_hi:[1,0,0]
	v_mov_b32_e32 v85, v69
	v_pk_mul_f32 v[68:69], v[70:71], v[80:81] op_sel:[0,1]
	s_delay_alu instid0(VALU_DEP_1) | instskip(SKIP_1) | instid1(VALU_DEP_1)
	v_pk_fma_f32 v[82:83], v[70:71], v[78:79], v[68:69] op_sel:[0,0,1] op_sel_hi:[1,1,0] neg_lo:[0,0,1] neg_hi:[0,0,1]
	v_pk_fma_f32 v[68:69], v[70:71], v[78:79], v[68:69] op_sel:[0,0,1] op_sel_hi:[1,0,0]
	v_mov_b32_e32 v83, v69
	ds_load_2addr_b64 v[68:71], v72 offset0:25 offset1:26
	v_pk_add_f32 v[18:19], v[18:19], v[84:85] neg_lo:[0,1] neg_hi:[0,1]
	v_pk_add_f32 v[36:37], v[36:37], v[82:83] neg_lo:[0,1] neg_hi:[0,1]
	s_wait_dscnt 0x0
	v_pk_mul_f32 v[82:83], v[68:69], v[80:81] op_sel:[0,1]
	s_delay_alu instid0(VALU_DEP_1) | instskip(SKIP_1) | instid1(VALU_DEP_1)
	v_pk_fma_f32 v[84:85], v[68:69], v[78:79], v[82:83] op_sel:[0,0,1] op_sel_hi:[1,1,0] neg_lo:[0,0,1] neg_hi:[0,0,1]
	v_pk_fma_f32 v[68:69], v[68:69], v[78:79], v[82:83] op_sel:[0,0,1] op_sel_hi:[1,0,0]
	v_mov_b32_e32 v85, v69
	v_pk_mul_f32 v[68:69], v[70:71], v[80:81] op_sel:[0,1]
	s_delay_alu instid0(VALU_DEP_1) | instskip(SKIP_1) | instid1(VALU_DEP_1)
	v_pk_fma_f32 v[82:83], v[70:71], v[78:79], v[68:69] op_sel:[0,0,1] op_sel_hi:[1,1,0] neg_lo:[0,0,1] neg_hi:[0,0,1]
	v_pk_fma_f32 v[68:69], v[70:71], v[78:79], v[68:69] op_sel:[0,0,1] op_sel_hi:[1,0,0]
	v_mov_b32_e32 v83, v69
	ds_load_2addr_b64 v[68:71], v72 offset0:27 offset1:28
	v_pk_add_f32 v[34:35], v[34:35], v[84:85] neg_lo:[0,1] neg_hi:[0,1]
	v_pk_add_f32 v[20:21], v[20:21], v[82:83] neg_lo:[0,1] neg_hi:[0,1]
	s_wait_dscnt 0x0
	v_dual_mul_f32 v82, v69, v81 :: v_dual_mul_f32 v84, v69, v78
	s_delay_alu instid0(VALU_DEP_1) | instskip(NEXT) | instid1(VALU_DEP_2)
	v_pk_fma_f32 v[82:83], v[68:69], v[28:29], v[82:83] op_sel_hi:[1,1,0] neg_lo:[0,0,1] neg_hi:[0,0,1]
	v_pk_fma_f32 v[68:69], v[68:69], v[28:29], v[84:85] op_sel:[1,0,0] op_sel_hi:[0,1,0]
	s_delay_alu instid0(VALU_DEP_1) | instskip(SKIP_1) | instid1(VALU_DEP_2)
	v_mov_b32_e32 v83, v69
	v_pk_mul_f32 v[68:69], v[70:71], v[80:81] op_sel:[0,1]
	v_pk_add_f32 v[32:33], v[32:33], v[82:83] neg_lo:[0,1] neg_hi:[0,1]
	s_delay_alu instid0(VALU_DEP_2) | instskip(SKIP_1) | instid1(VALU_DEP_1)
	v_pk_fma_f32 v[82:83], v[70:71], v[78:79], v[68:69] op_sel:[0,0,1] op_sel_hi:[1,1,0] neg_lo:[0,0,1] neg_hi:[0,0,1]
	v_pk_fma_f32 v[68:69], v[70:71], v[78:79], v[68:69] op_sel:[0,0,1] op_sel_hi:[1,0,0]
	v_mov_b32_e32 v83, v69
	ds_load_2addr_b64 v[68:71], v72 offset0:29 offset1:30
	v_pk_add_f32 v[30:31], v[30:31], v[82:83] neg_lo:[0,1] neg_hi:[0,1]
	s_wait_dscnt 0x0
	v_pk_mul_f32 v[82:83], v[68:69], v[80:81] op_sel:[0,1]
	v_mul_f32_e32 v80, v71, v81
	s_delay_alu instid0(VALU_DEP_2) | instskip(SKIP_2) | instid1(VALU_DEP_4)
	v_pk_fma_f32 v[84:85], v[68:69], v[78:79], v[82:83] op_sel:[0,0,1] op_sel_hi:[1,1,0] neg_lo:[0,0,1] neg_hi:[0,0,1]
	v_pk_fma_f32 v[68:69], v[68:69], v[78:79], v[82:83] op_sel:[0,0,1] op_sel_hi:[1,0,0]
	v_mov_b32_e32 v68, v71
	v_pk_fma_f32 v[80:81], v[70:71], v[28:29], v[80:81] op_sel_hi:[1,1,0] neg_lo:[0,0,1] neg_hi:[0,0,1]
	s_delay_alu instid0(VALU_DEP_3) | instskip(SKIP_1) | instid1(VALU_DEP_2)
	v_dual_mov_b32 v85, v69 :: v_dual_mov_b32 v69, v70
	v_mul_f32_e32 v70, v71, v78
	v_pk_add_f32 v[24:25], v[24:25], v[84:85] neg_lo:[0,1] neg_hi:[0,1]
	s_delay_alu instid0(VALU_DEP_2) | instskip(NEXT) | instid1(VALU_DEP_1)
	v_pk_fma_f32 v[68:69], v[68:69], v[28:29], v[70:71] op_sel_hi:[1,1,0]
	v_mov_b32_e32 v81, v69
	s_delay_alu instid0(VALU_DEP_1)
	v_pk_add_f32 v[66:67], v[66:67], v[80:81] neg_lo:[0,1] neg_hi:[0,1]
.LBB60_398:
	s_or_b32 exec_lo, exec_lo, s0
	v_lshl_add_u32 v68, v76, 3, v72
	s_barrier_signal -1
	s_barrier_wait -1
	ds_store_b64 v68, v[26:27]
	s_wait_dscnt 0x0
	s_barrier_signal -1
	s_barrier_wait -1
	ds_load_b64 v[68:69], v72 offset:152
	v_mov_b32_e32 v70, 19
	s_cmp_lt_i32 s18, 21
	s_cbranch_scc1 .LBB60_401
; %bb.399:
	v_add3_u32 v71, v73, 0, 0xa0
	v_mov_b32_e32 v70, 19
	s_mov_b32 s0, 20
.LBB60_400:                             ; =>This Inner Loop Header: Depth=1
	ds_load_b64 v[78:79], v71
	s_wait_dscnt 0x1
	v_cmp_gt_f32_e32 vcc_lo, 0, v68
	v_cndmask_b32_e64 v80, v68, -v68, vcc_lo
	v_cmp_gt_f32_e32 vcc_lo, 0, v69
	v_cndmask_b32_e64 v82, v69, -v69, vcc_lo
	s_wait_dscnt 0x0
	v_cmp_gt_f32_e32 vcc_lo, 0, v78
	v_cndmask_b32_e64 v81, v78, -v78, vcc_lo
	v_cmp_gt_f32_e32 vcc_lo, 0, v79
	v_cndmask_b32_e64 v83, v79, -v79, vcc_lo
	s_delay_alu instid0(VALU_DEP_1) | instskip(NEXT) | instid1(VALU_DEP_1)
	v_pk_add_f32 v[80:81], v[80:81], v[82:83]
	v_cmp_lt_f32_e32 vcc_lo, v80, v81
	v_dual_cndmask_b32 v68, v68, v78 :: v_dual_add_nc_u32 v71, 8, v71
	v_cndmask_b32_e32 v69, v69, v79, vcc_lo
	v_cndmask_b32_e64 v70, v70, s0, vcc_lo
	s_add_co_i32 s0, s0, 1
	s_delay_alu instid0(SALU_CYCLE_1)
	s_cmp_lg_u32 s18, s0
	s_cbranch_scc1 .LBB60_400
.LBB60_401:
	s_wait_dscnt 0x0
	v_cmp_eq_f32_e32 vcc_lo, 0, v68
	v_cmp_eq_f32_e64 s0, 0, v69
	s_and_b32 s0, vcc_lo, s0
	s_delay_alu instid0(SALU_CYCLE_1) | instskip(NEXT) | instid1(SALU_CYCLE_1)
	s_and_saveexec_b32 s1, s0
	s_xor_b32 s0, exec_lo, s1
; %bb.402:
	v_cmp_ne_u32_e32 vcc_lo, 0, v74
	v_cndmask_b32_e32 v74, 20, v74, vcc_lo
; %bb.403:
	s_and_not1_saveexec_b32 s0, s0
	s_cbranch_execz .LBB60_409
; %bb.404:
	v_cmp_ngt_f32_e64 s1, |v68|, |v69|
	s_and_saveexec_b32 s12, s1
	s_delay_alu instid0(SALU_CYCLE_1)
	s_xor_b32 s1, exec_lo, s12
	s_cbranch_execz .LBB60_406
; %bb.405:
	v_div_scale_f32 v71, null, v69, v69, v68
	v_div_scale_f32 v79, vcc_lo, v68, v69, v68
	s_delay_alu instid0(VALU_DEP_2) | instskip(SKIP_1) | instid1(TRANS32_DEP_1)
	v_rcp_f32_e32 v77, v71
	v_nop
	v_fma_f32 v78, -v71, v77, 1.0
	s_delay_alu instid0(VALU_DEP_1) | instskip(NEXT) | instid1(VALU_DEP_1)
	v_fmac_f32_e32 v77, v78, v77
	v_mul_f32_e32 v78, v79, v77
	s_delay_alu instid0(VALU_DEP_1) | instskip(NEXT) | instid1(VALU_DEP_1)
	v_fma_f32 v80, -v71, v78, v79
	v_fmac_f32_e32 v78, v80, v77
	s_delay_alu instid0(VALU_DEP_1) | instskip(NEXT) | instid1(VALU_DEP_1)
	v_fma_f32 v71, -v71, v78, v79
	v_div_fmas_f32 v71, v71, v77, v78
	s_delay_alu instid0(VALU_DEP_1) | instskip(NEXT) | instid1(VALU_DEP_1)
	v_div_fixup_f32 v71, v71, v69, v68
	v_fmac_f32_e32 v69, v68, v71
	s_delay_alu instid0(VALU_DEP_1) | instskip(SKIP_1) | instid1(VALU_DEP_2)
	v_div_scale_f32 v68, null, v69, v69, 1.0
	v_div_scale_f32 v79, vcc_lo, 1.0, v69, 1.0
	v_rcp_f32_e32 v77, v68
	v_nop
	s_delay_alu instid0(TRANS32_DEP_1) | instskip(NEXT) | instid1(VALU_DEP_1)
	v_fma_f32 v78, -v68, v77, 1.0
	v_fmac_f32_e32 v77, v78, v77
	s_delay_alu instid0(VALU_DEP_1) | instskip(NEXT) | instid1(VALU_DEP_1)
	v_mul_f32_e32 v78, v79, v77
	v_fma_f32 v80, -v68, v78, v79
	s_delay_alu instid0(VALU_DEP_1) | instskip(NEXT) | instid1(VALU_DEP_1)
	v_fmac_f32_e32 v78, v80, v77
	v_fma_f32 v68, -v68, v78, v79
	s_delay_alu instid0(VALU_DEP_1) | instskip(NEXT) | instid1(VALU_DEP_1)
	v_div_fmas_f32 v68, v68, v77, v78
	v_div_fixup_f32 v69, v68, v69, 1.0
	s_delay_alu instid0(VALU_DEP_1)
	v_mul_f32_e32 v68, v71, v69
	v_xor_b32_e32 v69, 0x80000000, v69
.LBB60_406:
	s_and_not1_saveexec_b32 s1, s1
	s_cbranch_execz .LBB60_408
; %bb.407:
	s_delay_alu instid0(VALU_DEP_1) | instskip(SKIP_1) | instid1(VALU_DEP_2)
	v_div_scale_f32 v71, null, v68, v68, v69
	v_div_scale_f32 v79, vcc_lo, v69, v68, v69
	v_rcp_f32_e32 v77, v71
	v_nop
	s_delay_alu instid0(TRANS32_DEP_1) | instskip(NEXT) | instid1(VALU_DEP_1)
	v_fma_f32 v78, -v71, v77, 1.0
	v_fmac_f32_e32 v77, v78, v77
	s_delay_alu instid0(VALU_DEP_1) | instskip(NEXT) | instid1(VALU_DEP_1)
	v_mul_f32_e32 v78, v79, v77
	v_fma_f32 v80, -v71, v78, v79
	s_delay_alu instid0(VALU_DEP_1) | instskip(NEXT) | instid1(VALU_DEP_1)
	v_fmac_f32_e32 v78, v80, v77
	v_fma_f32 v71, -v71, v78, v79
	s_delay_alu instid0(VALU_DEP_1) | instskip(NEXT) | instid1(VALU_DEP_1)
	v_div_fmas_f32 v71, v71, v77, v78
	v_div_fixup_f32 v71, v71, v68, v69
	s_delay_alu instid0(VALU_DEP_1) | instskip(NEXT) | instid1(VALU_DEP_1)
	v_fmac_f32_e32 v68, v69, v71
	v_div_scale_f32 v69, null, v68, v68, 1.0
	s_delay_alu instid0(VALU_DEP_1) | instskip(SKIP_1) | instid1(TRANS32_DEP_1)
	v_rcp_f32_e32 v77, v69
	v_nop
	v_fma_f32 v78, -v69, v77, 1.0
	s_delay_alu instid0(VALU_DEP_1) | instskip(SKIP_1) | instid1(VALU_DEP_1)
	v_fmac_f32_e32 v77, v78, v77
	v_div_scale_f32 v78, vcc_lo, 1.0, v68, 1.0
	v_mul_f32_e32 v79, v78, v77
	s_delay_alu instid0(VALU_DEP_1) | instskip(NEXT) | instid1(VALU_DEP_1)
	v_fma_f32 v80, -v69, v79, v78
	v_fmac_f32_e32 v79, v80, v77
	s_delay_alu instid0(VALU_DEP_1) | instskip(NEXT) | instid1(VALU_DEP_1)
	v_fma_f32 v69, -v69, v79, v78
	v_div_fmas_f32 v69, v69, v77, v79
	s_delay_alu instid0(VALU_DEP_1) | instskip(NEXT) | instid1(VALU_DEP_1)
	v_div_fixup_f32 v68, v69, v68, 1.0
	v_mul_f32_e64 v69, v71, -v68
.LBB60_408:
	s_or_b32 exec_lo, exec_lo, s1
.LBB60_409:
	s_delay_alu instid0(SALU_CYCLE_1) | instskip(NEXT) | instid1(SALU_CYCLE_1)
	s_or_b32 exec_lo, exec_lo, s0
	s_mov_b32 s0, exec_lo
	v_cmpx_ne_u32_e64 v76, v70
	s_xor_b32 s0, exec_lo, s0
	s_cbranch_execz .LBB60_415
; %bb.410:
	s_mov_b32 s1, exec_lo
	v_cmpx_eq_u32_e32 19, v76
	s_cbranch_execz .LBB60_414
; %bb.411:
	v_cmp_ne_u32_e32 vcc_lo, 19, v70
	s_xor_b32 s12, s16, -1
	s_delay_alu instid0(SALU_CYCLE_1) | instskip(NEXT) | instid1(SALU_CYCLE_1)
	s_and_b32 s13, s12, vcc_lo
	s_and_saveexec_b32 s12, s13
	s_cbranch_execz .LBB60_413
; %bb.412:
	v_ashrrev_i32_e32 v71, 31, v70
	s_delay_alu instid0(VALU_DEP_1)
	v_lshl_add_u64 v[76:77], v[70:71], 2, v[4:5]
	s_clause 0x1
	global_load_b32 v71, v[76:77], off
	global_load_b32 v75, v[4:5], off offset:76
	s_wait_loadcnt 0x1
	global_store_b32 v[4:5], v71, off offset:76
	s_wait_loadcnt 0x0
	global_store_b32 v[76:77], v75, off
.LBB60_413:
	s_wait_xcnt 0x0
	s_or_b32 exec_lo, exec_lo, s12
	v_dual_mov_b32 v76, v70 :: v_dual_mov_b32 v75, v70
.LBB60_414:
	s_or_b32 exec_lo, exec_lo, s1
.LBB60_415:
	s_and_not1_saveexec_b32 s0, s0
	s_cbranch_execz .LBB60_417
; %bb.416:
	v_dual_mov_b32 v70, v52 :: v_dual_mov_b32 v71, v53
	v_dual_mov_b32 v76, v50 :: v_dual_mov_b32 v77, v51
	;; [unrolled: 1-line block ×6, first 2 shown]
	ds_store_2addr_b64 v72, v[70:71], v[76:77] offset0:20 offset1:21
	ds_store_2addr_b64 v72, v[78:79], v[80:81] offset0:22 offset1:23
	v_dual_mov_b32 v76, 19 :: v_dual_mov_b32 v86, v20
	v_dual_mov_b32 v87, v21 :: v_dual_mov_b32 v88, v32
	;; [unrolled: 1-line block ×4, first 2 shown]
	v_mov_b32_e32 v93, v25
	ds_store_2addr_b64 v72, v[82:83], v[84:85] offset0:24 offset1:25
	ds_store_2addr_b64 v72, v[86:87], v[88:89] offset0:26 offset1:27
	;; [unrolled: 1-line block ×3, first 2 shown]
	ds_store_b64 v72, v[66:67] offset:240
.LBB60_417:
	s_or_b32 exec_lo, exec_lo, s0
	s_delay_alu instid0(SALU_CYCLE_1)
	s_mov_b32 s0, exec_lo
	s_wait_storecnt_dscnt 0x0
	s_barrier_signal -1
	s_barrier_wait -1
	v_cmpx_lt_i32_e32 19, v76
	s_cbranch_execz .LBB60_419
; %bb.418:
	v_pk_mul_f32 v[70:71], v[68:69], v[26:27] op_sel:[1,1] op_sel_hi:[0,1]
	s_delay_alu instid0(VALU_DEP_1)
	v_pk_fma_f32 v[78:79], v[68:69], v[26:27], v[70:71] op_sel_hi:[1,0,1] neg_lo:[0,0,1] neg_hi:[0,0,1]
	v_pk_fma_f32 v[80:81], v[68:69], v[26:27], v[70:71] op_sel_hi:[1,0,1]
	ds_load_2addr_b64 v[68:71], v72 offset0:20 offset1:21
	v_dual_mov_b32 v26, v78 :: v_dual_mov_b32 v27, v81
	s_wait_dscnt 0x0
	v_pk_mul_f32 v[82:83], v[68:69], v[80:81] op_sel:[0,1]
	s_delay_alu instid0(VALU_DEP_1) | instskip(SKIP_1) | instid1(VALU_DEP_1)
	v_pk_fma_f32 v[84:85], v[68:69], v[78:79], v[82:83] op_sel:[0,0,1] op_sel_hi:[1,1,0] neg_lo:[0,0,1] neg_hi:[0,0,1]
	v_pk_fma_f32 v[68:69], v[68:69], v[78:79], v[82:83] op_sel:[0,0,1] op_sel_hi:[1,0,0]
	v_mov_b32_e32 v85, v69
	v_pk_mul_f32 v[68:69], v[70:71], v[80:81] op_sel:[0,1]
	s_delay_alu instid0(VALU_DEP_1) | instskip(SKIP_1) | instid1(VALU_DEP_1)
	v_pk_fma_f32 v[82:83], v[70:71], v[78:79], v[68:69] op_sel:[0,0,1] op_sel_hi:[1,1,0] neg_lo:[0,0,1] neg_hi:[0,0,1]
	v_pk_fma_f32 v[68:69], v[70:71], v[78:79], v[68:69] op_sel:[0,0,1] op_sel_hi:[1,0,0]
	v_mov_b32_e32 v83, v69
	ds_load_2addr_b64 v[68:71], v72 offset0:22 offset1:23
	v_pk_add_f32 v[52:53], v[52:53], v[84:85] neg_lo:[0,1] neg_hi:[0,1]
	v_pk_add_f32 v[50:51], v[50:51], v[82:83] neg_lo:[0,1] neg_hi:[0,1]
	s_wait_dscnt 0x0
	v_pk_mul_f32 v[82:83], v[68:69], v[80:81] op_sel:[0,1]
	s_delay_alu instid0(VALU_DEP_1) | instskip(SKIP_2) | instid1(VALU_DEP_2)
	v_pk_fma_f32 v[84:85], v[68:69], v[78:79], v[82:83] op_sel:[0,0,1] op_sel_hi:[1,1,0] neg_lo:[0,0,1] neg_hi:[0,0,1]
	v_pk_fma_f32 v[68:69], v[68:69], v[78:79], v[82:83] op_sel:[0,0,1] op_sel_hi:[1,0,0]
	v_dual_mul_f32 v82, v71, v81 :: v_dual_mov_b32 v68, v71
	v_dual_mov_b32 v85, v69 :: v_dual_mov_b32 v69, v70
	s_delay_alu instid0(VALU_DEP_2) | instskip(SKIP_1) | instid1(VALU_DEP_3)
	v_pk_fma_f32 v[82:83], v[70:71], v[26:27], v[82:83] op_sel_hi:[1,1,0] neg_lo:[0,0,1] neg_hi:[0,0,1]
	v_mul_f32_e32 v70, v71, v78
	v_pk_add_f32 v[22:23], v[22:23], v[84:85] neg_lo:[0,1] neg_hi:[0,1]
	s_delay_alu instid0(VALU_DEP_2) | instskip(NEXT) | instid1(VALU_DEP_1)
	v_pk_fma_f32 v[68:69], v[68:69], v[26:27], v[70:71] op_sel_hi:[1,1,0]
	v_mov_b32_e32 v83, v69
	ds_load_2addr_b64 v[68:71], v72 offset0:24 offset1:25
	v_pk_add_f32 v[18:19], v[18:19], v[82:83] neg_lo:[0,1] neg_hi:[0,1]
	s_wait_dscnt 0x0
	v_pk_mul_f32 v[82:83], v[68:69], v[80:81] op_sel:[0,1]
	s_delay_alu instid0(VALU_DEP_1) | instskip(SKIP_1) | instid1(VALU_DEP_1)
	v_pk_fma_f32 v[84:85], v[68:69], v[78:79], v[82:83] op_sel:[0,0,1] op_sel_hi:[1,1,0] neg_lo:[0,0,1] neg_hi:[0,0,1]
	v_pk_fma_f32 v[68:69], v[68:69], v[78:79], v[82:83] op_sel:[0,0,1] op_sel_hi:[1,0,0]
	v_mov_b32_e32 v85, v69
	v_pk_mul_f32 v[68:69], v[70:71], v[80:81] op_sel:[0,1]
	s_delay_alu instid0(VALU_DEP_1) | instskip(SKIP_1) | instid1(VALU_DEP_1)
	v_pk_fma_f32 v[82:83], v[70:71], v[78:79], v[68:69] op_sel:[0,0,1] op_sel_hi:[1,1,0] neg_lo:[0,0,1] neg_hi:[0,0,1]
	v_pk_fma_f32 v[68:69], v[70:71], v[78:79], v[68:69] op_sel:[0,0,1] op_sel_hi:[1,0,0]
	v_mov_b32_e32 v83, v69
	ds_load_2addr_b64 v[68:71], v72 offset0:26 offset1:27
	v_pk_add_f32 v[36:37], v[36:37], v[84:85] neg_lo:[0,1] neg_hi:[0,1]
	v_pk_add_f32 v[34:35], v[34:35], v[82:83] neg_lo:[0,1] neg_hi:[0,1]
	s_wait_dscnt 0x0
	v_pk_mul_f32 v[82:83], v[68:69], v[80:81] op_sel:[0,1]
	s_delay_alu instid0(VALU_DEP_1) | instskip(SKIP_1) | instid1(VALU_DEP_1)
	v_pk_fma_f32 v[84:85], v[68:69], v[78:79], v[82:83] op_sel:[0,0,1] op_sel_hi:[1,1,0] neg_lo:[0,0,1] neg_hi:[0,0,1]
	v_pk_fma_f32 v[68:69], v[68:69], v[78:79], v[82:83] op_sel:[0,0,1] op_sel_hi:[1,0,0]
	v_mov_b32_e32 v85, v69
	v_pk_mul_f32 v[68:69], v[70:71], v[80:81] op_sel:[0,1]
	s_delay_alu instid0(VALU_DEP_1) | instskip(SKIP_1) | instid1(VALU_DEP_1)
	v_pk_fma_f32 v[82:83], v[70:71], v[78:79], v[68:69] op_sel:[0,0,1] op_sel_hi:[1,1,0] neg_lo:[0,0,1] neg_hi:[0,0,1]
	v_pk_fma_f32 v[68:69], v[70:71], v[78:79], v[68:69] op_sel:[0,0,1] op_sel_hi:[1,0,0]
	v_mov_b32_e32 v83, v69
	ds_load_2addr_b64 v[68:71], v72 offset0:28 offset1:29
	v_pk_add_f32 v[20:21], v[20:21], v[84:85] neg_lo:[0,1] neg_hi:[0,1]
	v_pk_add_f32 v[32:33], v[32:33], v[82:83] neg_lo:[0,1] neg_hi:[0,1]
	s_wait_dscnt 0x0
	v_dual_mul_f32 v82, v69, v81 :: v_dual_mul_f32 v84, v69, v78
	s_delay_alu instid0(VALU_DEP_1) | instskip(NEXT) | instid1(VALU_DEP_2)
	v_pk_fma_f32 v[82:83], v[68:69], v[26:27], v[82:83] op_sel_hi:[1,1,0] neg_lo:[0,0,1] neg_hi:[0,0,1]
	v_pk_fma_f32 v[68:69], v[68:69], v[26:27], v[84:85] op_sel:[1,0,0] op_sel_hi:[0,1,0]
	s_delay_alu instid0(VALU_DEP_1) | instskip(SKIP_1) | instid1(VALU_DEP_2)
	v_mov_b32_e32 v83, v69
	v_pk_mul_f32 v[68:69], v[70:71], v[80:81] op_sel:[0,1]
	v_pk_add_f32 v[30:31], v[30:31], v[82:83] neg_lo:[0,1] neg_hi:[0,1]
	s_delay_alu instid0(VALU_DEP_2) | instskip(SKIP_1) | instid1(VALU_DEP_1)
	v_pk_fma_f32 v[82:83], v[70:71], v[78:79], v[68:69] op_sel:[0,0,1] op_sel_hi:[1,1,0] neg_lo:[0,0,1] neg_hi:[0,0,1]
	v_pk_fma_f32 v[68:69], v[70:71], v[78:79], v[68:69] op_sel:[0,0,1] op_sel_hi:[1,0,0]
	v_mov_b32_e32 v83, v69
	ds_load_b64 v[68:69], v72 offset:240
	v_pk_add_f32 v[24:25], v[24:25], v[82:83] neg_lo:[0,1] neg_hi:[0,1]
	s_wait_dscnt 0x0
	v_pk_mul_f32 v[70:71], v[68:69], v[80:81] op_sel:[0,1]
	s_delay_alu instid0(VALU_DEP_1) | instskip(SKIP_1) | instid1(VALU_DEP_1)
	v_pk_fma_f32 v[80:81], v[68:69], v[78:79], v[70:71] op_sel:[0,0,1] op_sel_hi:[1,1,0] neg_lo:[0,0,1] neg_hi:[0,0,1]
	v_pk_fma_f32 v[68:69], v[68:69], v[78:79], v[70:71] op_sel:[0,0,1] op_sel_hi:[1,0,0]
	v_mov_b32_e32 v81, v69
	s_delay_alu instid0(VALU_DEP_1)
	v_pk_add_f32 v[66:67], v[66:67], v[80:81] neg_lo:[0,1] neg_hi:[0,1]
.LBB60_419:
	s_or_b32 exec_lo, exec_lo, s0
	v_lshl_add_u32 v68, v76, 3, v72
	s_barrier_signal -1
	s_barrier_wait -1
	ds_store_b64 v68, v[52:53]
	s_wait_dscnt 0x0
	s_barrier_signal -1
	s_barrier_wait -1
	ds_load_b64 v[68:69], v72 offset:160
	v_mov_b32_e32 v70, 20
	s_cmp_lt_i32 s18, 22
	s_cbranch_scc1 .LBB60_422
; %bb.420:
	v_add3_u32 v71, v73, 0, 0xa8
	v_mov_b32_e32 v70, 20
	s_mov_b32 s0, 21
.LBB60_421:                             ; =>This Inner Loop Header: Depth=1
	ds_load_b64 v[78:79], v71
	s_wait_dscnt 0x1
	v_cmp_gt_f32_e32 vcc_lo, 0, v68
	v_cndmask_b32_e64 v80, v68, -v68, vcc_lo
	v_cmp_gt_f32_e32 vcc_lo, 0, v69
	v_cndmask_b32_e64 v82, v69, -v69, vcc_lo
	s_wait_dscnt 0x0
	v_cmp_gt_f32_e32 vcc_lo, 0, v78
	v_cndmask_b32_e64 v81, v78, -v78, vcc_lo
	v_cmp_gt_f32_e32 vcc_lo, 0, v79
	v_cndmask_b32_e64 v83, v79, -v79, vcc_lo
	s_delay_alu instid0(VALU_DEP_1) | instskip(NEXT) | instid1(VALU_DEP_1)
	v_pk_add_f32 v[80:81], v[80:81], v[82:83]
	v_cmp_lt_f32_e32 vcc_lo, v80, v81
	v_dual_cndmask_b32 v68, v68, v78 :: v_dual_add_nc_u32 v71, 8, v71
	v_cndmask_b32_e32 v69, v69, v79, vcc_lo
	v_cndmask_b32_e64 v70, v70, s0, vcc_lo
	s_add_co_i32 s0, s0, 1
	s_delay_alu instid0(SALU_CYCLE_1)
	s_cmp_lg_u32 s18, s0
	s_cbranch_scc1 .LBB60_421
.LBB60_422:
	s_wait_dscnt 0x0
	v_cmp_eq_f32_e32 vcc_lo, 0, v68
	v_cmp_eq_f32_e64 s0, 0, v69
	s_and_b32 s0, vcc_lo, s0
	s_delay_alu instid0(SALU_CYCLE_1) | instskip(NEXT) | instid1(SALU_CYCLE_1)
	s_and_saveexec_b32 s1, s0
	s_xor_b32 s0, exec_lo, s1
; %bb.423:
	v_cmp_ne_u32_e32 vcc_lo, 0, v74
	v_cndmask_b32_e32 v74, 21, v74, vcc_lo
; %bb.424:
	s_and_not1_saveexec_b32 s0, s0
	s_cbranch_execz .LBB60_430
; %bb.425:
	v_cmp_ngt_f32_e64 s1, |v68|, |v69|
	s_and_saveexec_b32 s12, s1
	s_delay_alu instid0(SALU_CYCLE_1)
	s_xor_b32 s1, exec_lo, s12
	s_cbranch_execz .LBB60_427
; %bb.426:
	v_div_scale_f32 v71, null, v69, v69, v68
	v_div_scale_f32 v79, vcc_lo, v68, v69, v68
	s_delay_alu instid0(VALU_DEP_2) | instskip(SKIP_1) | instid1(TRANS32_DEP_1)
	v_rcp_f32_e32 v77, v71
	v_nop
	v_fma_f32 v78, -v71, v77, 1.0
	s_delay_alu instid0(VALU_DEP_1) | instskip(NEXT) | instid1(VALU_DEP_1)
	v_fmac_f32_e32 v77, v78, v77
	v_mul_f32_e32 v78, v79, v77
	s_delay_alu instid0(VALU_DEP_1) | instskip(NEXT) | instid1(VALU_DEP_1)
	v_fma_f32 v80, -v71, v78, v79
	v_fmac_f32_e32 v78, v80, v77
	s_delay_alu instid0(VALU_DEP_1) | instskip(NEXT) | instid1(VALU_DEP_1)
	v_fma_f32 v71, -v71, v78, v79
	v_div_fmas_f32 v71, v71, v77, v78
	s_delay_alu instid0(VALU_DEP_1) | instskip(NEXT) | instid1(VALU_DEP_1)
	v_div_fixup_f32 v71, v71, v69, v68
	v_fmac_f32_e32 v69, v68, v71
	s_delay_alu instid0(VALU_DEP_1) | instskip(SKIP_1) | instid1(VALU_DEP_2)
	v_div_scale_f32 v68, null, v69, v69, 1.0
	v_div_scale_f32 v79, vcc_lo, 1.0, v69, 1.0
	v_rcp_f32_e32 v77, v68
	v_nop
	s_delay_alu instid0(TRANS32_DEP_1) | instskip(NEXT) | instid1(VALU_DEP_1)
	v_fma_f32 v78, -v68, v77, 1.0
	v_fmac_f32_e32 v77, v78, v77
	s_delay_alu instid0(VALU_DEP_1) | instskip(NEXT) | instid1(VALU_DEP_1)
	v_mul_f32_e32 v78, v79, v77
	v_fma_f32 v80, -v68, v78, v79
	s_delay_alu instid0(VALU_DEP_1) | instskip(NEXT) | instid1(VALU_DEP_1)
	v_fmac_f32_e32 v78, v80, v77
	v_fma_f32 v68, -v68, v78, v79
	s_delay_alu instid0(VALU_DEP_1) | instskip(NEXT) | instid1(VALU_DEP_1)
	v_div_fmas_f32 v68, v68, v77, v78
	v_div_fixup_f32 v69, v68, v69, 1.0
	s_delay_alu instid0(VALU_DEP_1)
	v_mul_f32_e32 v68, v71, v69
	v_xor_b32_e32 v69, 0x80000000, v69
.LBB60_427:
	s_and_not1_saveexec_b32 s1, s1
	s_cbranch_execz .LBB60_429
; %bb.428:
	s_delay_alu instid0(VALU_DEP_1) | instskip(SKIP_1) | instid1(VALU_DEP_2)
	v_div_scale_f32 v71, null, v68, v68, v69
	v_div_scale_f32 v79, vcc_lo, v69, v68, v69
	v_rcp_f32_e32 v77, v71
	v_nop
	s_delay_alu instid0(TRANS32_DEP_1) | instskip(NEXT) | instid1(VALU_DEP_1)
	v_fma_f32 v78, -v71, v77, 1.0
	v_fmac_f32_e32 v77, v78, v77
	s_delay_alu instid0(VALU_DEP_1) | instskip(NEXT) | instid1(VALU_DEP_1)
	v_mul_f32_e32 v78, v79, v77
	v_fma_f32 v80, -v71, v78, v79
	s_delay_alu instid0(VALU_DEP_1) | instskip(NEXT) | instid1(VALU_DEP_1)
	v_fmac_f32_e32 v78, v80, v77
	v_fma_f32 v71, -v71, v78, v79
	s_delay_alu instid0(VALU_DEP_1) | instskip(NEXT) | instid1(VALU_DEP_1)
	v_div_fmas_f32 v71, v71, v77, v78
	v_div_fixup_f32 v71, v71, v68, v69
	s_delay_alu instid0(VALU_DEP_1) | instskip(NEXT) | instid1(VALU_DEP_1)
	v_fmac_f32_e32 v68, v69, v71
	v_div_scale_f32 v69, null, v68, v68, 1.0
	s_delay_alu instid0(VALU_DEP_1) | instskip(SKIP_1) | instid1(TRANS32_DEP_1)
	v_rcp_f32_e32 v77, v69
	v_nop
	v_fma_f32 v78, -v69, v77, 1.0
	s_delay_alu instid0(VALU_DEP_1) | instskip(SKIP_1) | instid1(VALU_DEP_1)
	v_fmac_f32_e32 v77, v78, v77
	v_div_scale_f32 v78, vcc_lo, 1.0, v68, 1.0
	v_mul_f32_e32 v79, v78, v77
	s_delay_alu instid0(VALU_DEP_1) | instskip(NEXT) | instid1(VALU_DEP_1)
	v_fma_f32 v80, -v69, v79, v78
	v_fmac_f32_e32 v79, v80, v77
	s_delay_alu instid0(VALU_DEP_1) | instskip(NEXT) | instid1(VALU_DEP_1)
	v_fma_f32 v69, -v69, v79, v78
	v_div_fmas_f32 v69, v69, v77, v79
	s_delay_alu instid0(VALU_DEP_1) | instskip(NEXT) | instid1(VALU_DEP_1)
	v_div_fixup_f32 v68, v69, v68, 1.0
	v_mul_f32_e64 v69, v71, -v68
.LBB60_429:
	s_or_b32 exec_lo, exec_lo, s1
.LBB60_430:
	s_delay_alu instid0(SALU_CYCLE_1) | instskip(NEXT) | instid1(SALU_CYCLE_1)
	s_or_b32 exec_lo, exec_lo, s0
	s_mov_b32 s0, exec_lo
	v_cmpx_ne_u32_e64 v76, v70
	s_xor_b32 s0, exec_lo, s0
	s_cbranch_execz .LBB60_436
; %bb.431:
	s_mov_b32 s1, exec_lo
	v_cmpx_eq_u32_e32 20, v76
	s_cbranch_execz .LBB60_435
; %bb.432:
	v_cmp_ne_u32_e32 vcc_lo, 20, v70
	s_xor_b32 s12, s16, -1
	s_delay_alu instid0(SALU_CYCLE_1) | instskip(NEXT) | instid1(SALU_CYCLE_1)
	s_and_b32 s13, s12, vcc_lo
	s_and_saveexec_b32 s12, s13
	s_cbranch_execz .LBB60_434
; %bb.433:
	v_ashrrev_i32_e32 v71, 31, v70
	s_delay_alu instid0(VALU_DEP_1)
	v_lshl_add_u64 v[76:77], v[70:71], 2, v[4:5]
	s_clause 0x1
	global_load_b32 v71, v[76:77], off
	global_load_b32 v75, v[4:5], off offset:80
	s_wait_loadcnt 0x1
	global_store_b32 v[4:5], v71, off offset:80
	s_wait_loadcnt 0x0
	global_store_b32 v[76:77], v75, off
.LBB60_434:
	s_wait_xcnt 0x0
	s_or_b32 exec_lo, exec_lo, s12
	v_dual_mov_b32 v76, v70 :: v_dual_mov_b32 v75, v70
.LBB60_435:
	s_or_b32 exec_lo, exec_lo, s1
.LBB60_436:
	s_and_not1_saveexec_b32 s0, s0
	s_cbranch_execz .LBB60_438
; %bb.437:
	v_mov_b32_e32 v76, 20
	ds_store_2addr_b64 v72, v[50:51], v[22:23] offset0:21 offset1:22
	ds_store_2addr_b64 v72, v[18:19], v[36:37] offset0:23 offset1:24
	;; [unrolled: 1-line block ×5, first 2 shown]
.LBB60_438:
	s_or_b32 exec_lo, exec_lo, s0
	s_delay_alu instid0(SALU_CYCLE_1)
	s_mov_b32 s0, exec_lo
	s_wait_storecnt_dscnt 0x0
	s_barrier_signal -1
	s_barrier_wait -1
	v_cmpx_lt_i32_e32 20, v76
	s_cbranch_execz .LBB60_440
; %bb.439:
	v_pk_mul_f32 v[70:71], v[68:69], v[52:53] op_sel:[1,1] op_sel_hi:[0,1]
	s_delay_alu instid0(VALU_DEP_1)
	v_pk_fma_f32 v[78:79], v[68:69], v[52:53], v[70:71] op_sel_hi:[1,0,1] neg_lo:[0,0,1] neg_hi:[0,0,1]
	v_pk_fma_f32 v[80:81], v[68:69], v[52:53], v[70:71] op_sel_hi:[1,0,1]
	ds_load_2addr_b64 v[68:71], v72 offset0:21 offset1:22
	v_dual_mov_b32 v52, v78 :: v_dual_mov_b32 v53, v81
	s_wait_dscnt 0x0
	v_pk_mul_f32 v[82:83], v[68:69], v[80:81] op_sel:[0,1]
	s_delay_alu instid0(VALU_DEP_1) | instskip(SKIP_1) | instid1(VALU_DEP_1)
	v_pk_fma_f32 v[84:85], v[68:69], v[78:79], v[82:83] op_sel:[0,0,1] op_sel_hi:[1,1,0] neg_lo:[0,0,1] neg_hi:[0,0,1]
	v_pk_fma_f32 v[68:69], v[68:69], v[78:79], v[82:83] op_sel:[0,0,1] op_sel_hi:[1,0,0]
	v_mov_b32_e32 v85, v69
	v_pk_mul_f32 v[68:69], v[70:71], v[80:81] op_sel:[0,1]
	s_delay_alu instid0(VALU_DEP_1) | instskip(SKIP_1) | instid1(VALU_DEP_1)
	v_pk_fma_f32 v[82:83], v[70:71], v[78:79], v[68:69] op_sel:[0,0,1] op_sel_hi:[1,1,0] neg_lo:[0,0,1] neg_hi:[0,0,1]
	v_pk_fma_f32 v[68:69], v[70:71], v[78:79], v[68:69] op_sel:[0,0,1] op_sel_hi:[1,0,0]
	v_mov_b32_e32 v83, v69
	ds_load_2addr_b64 v[68:71], v72 offset0:23 offset1:24
	v_pk_add_f32 v[50:51], v[50:51], v[84:85] neg_lo:[0,1] neg_hi:[0,1]
	v_pk_add_f32 v[22:23], v[22:23], v[82:83] neg_lo:[0,1] neg_hi:[0,1]
	s_wait_dscnt 0x0
	v_pk_mul_f32 v[82:83], v[68:69], v[80:81] op_sel:[0,1]
	s_delay_alu instid0(VALU_DEP_1) | instskip(SKIP_2) | instid1(VALU_DEP_2)
	v_pk_fma_f32 v[84:85], v[68:69], v[78:79], v[82:83] op_sel:[0,0,1] op_sel_hi:[1,1,0] neg_lo:[0,0,1] neg_hi:[0,0,1]
	v_pk_fma_f32 v[68:69], v[68:69], v[78:79], v[82:83] op_sel:[0,0,1] op_sel_hi:[1,0,0]
	v_dual_mul_f32 v82, v71, v81 :: v_dual_mov_b32 v68, v71
	v_dual_mov_b32 v85, v69 :: v_dual_mov_b32 v69, v70
	s_delay_alu instid0(VALU_DEP_2) | instskip(SKIP_1) | instid1(VALU_DEP_3)
	v_pk_fma_f32 v[82:83], v[70:71], v[52:53], v[82:83] op_sel_hi:[1,1,0] neg_lo:[0,0,1] neg_hi:[0,0,1]
	v_mul_f32_e32 v70, v71, v78
	v_pk_add_f32 v[18:19], v[18:19], v[84:85] neg_lo:[0,1] neg_hi:[0,1]
	s_delay_alu instid0(VALU_DEP_2) | instskip(NEXT) | instid1(VALU_DEP_1)
	v_pk_fma_f32 v[68:69], v[68:69], v[52:53], v[70:71] op_sel_hi:[1,1,0]
	v_mov_b32_e32 v83, v69
	ds_load_2addr_b64 v[68:71], v72 offset0:25 offset1:26
	v_pk_add_f32 v[36:37], v[36:37], v[82:83] neg_lo:[0,1] neg_hi:[0,1]
	s_wait_dscnt 0x0
	v_pk_mul_f32 v[82:83], v[68:69], v[80:81] op_sel:[0,1]
	s_delay_alu instid0(VALU_DEP_1) | instskip(SKIP_1) | instid1(VALU_DEP_1)
	v_pk_fma_f32 v[84:85], v[68:69], v[78:79], v[82:83] op_sel:[0,0,1] op_sel_hi:[1,1,0] neg_lo:[0,0,1] neg_hi:[0,0,1]
	v_pk_fma_f32 v[68:69], v[68:69], v[78:79], v[82:83] op_sel:[0,0,1] op_sel_hi:[1,0,0]
	v_mov_b32_e32 v85, v69
	v_pk_mul_f32 v[68:69], v[70:71], v[80:81] op_sel:[0,1]
	s_delay_alu instid0(VALU_DEP_1) | instskip(SKIP_1) | instid1(VALU_DEP_1)
	v_pk_fma_f32 v[82:83], v[70:71], v[78:79], v[68:69] op_sel:[0,0,1] op_sel_hi:[1,1,0] neg_lo:[0,0,1] neg_hi:[0,0,1]
	v_pk_fma_f32 v[68:69], v[70:71], v[78:79], v[68:69] op_sel:[0,0,1] op_sel_hi:[1,0,0]
	v_mov_b32_e32 v83, v69
	ds_load_2addr_b64 v[68:71], v72 offset0:27 offset1:28
	v_pk_add_f32 v[34:35], v[34:35], v[84:85] neg_lo:[0,1] neg_hi:[0,1]
	v_pk_add_f32 v[20:21], v[20:21], v[82:83] neg_lo:[0,1] neg_hi:[0,1]
	s_wait_dscnt 0x0
	v_pk_mul_f32 v[82:83], v[68:69], v[80:81] op_sel:[0,1]
	s_delay_alu instid0(VALU_DEP_1) | instskip(SKIP_1) | instid1(VALU_DEP_1)
	v_pk_fma_f32 v[84:85], v[68:69], v[78:79], v[82:83] op_sel:[0,0,1] op_sel_hi:[1,1,0] neg_lo:[0,0,1] neg_hi:[0,0,1]
	v_pk_fma_f32 v[68:69], v[68:69], v[78:79], v[82:83] op_sel:[0,0,1] op_sel_hi:[1,0,0]
	v_mov_b32_e32 v85, v69
	v_pk_mul_f32 v[68:69], v[70:71], v[80:81] op_sel:[0,1]
	s_delay_alu instid0(VALU_DEP_1) | instskip(SKIP_1) | instid1(VALU_DEP_1)
	v_pk_fma_f32 v[82:83], v[70:71], v[78:79], v[68:69] op_sel:[0,0,1] op_sel_hi:[1,1,0] neg_lo:[0,0,1] neg_hi:[0,0,1]
	v_pk_fma_f32 v[68:69], v[70:71], v[78:79], v[68:69] op_sel:[0,0,1] op_sel_hi:[1,0,0]
	v_mov_b32_e32 v83, v69
	ds_load_2addr_b64 v[68:71], v72 offset0:29 offset1:30
	v_pk_add_f32 v[32:33], v[32:33], v[84:85] neg_lo:[0,1] neg_hi:[0,1]
	v_pk_add_f32 v[30:31], v[30:31], v[82:83] neg_lo:[0,1] neg_hi:[0,1]
	s_wait_dscnt 0x0
	v_dual_mul_f32 v82, v69, v81 :: v_dual_mul_f32 v84, v69, v78
	s_delay_alu instid0(VALU_DEP_1) | instskip(NEXT) | instid1(VALU_DEP_2)
	v_pk_fma_f32 v[82:83], v[68:69], v[52:53], v[82:83] op_sel_hi:[1,1,0] neg_lo:[0,0,1] neg_hi:[0,0,1]
	v_pk_fma_f32 v[68:69], v[68:69], v[52:53], v[84:85] op_sel:[1,0,0] op_sel_hi:[0,1,0]
	s_delay_alu instid0(VALU_DEP_1) | instskip(SKIP_1) | instid1(VALU_DEP_1)
	v_mov_b32_e32 v83, v69
	v_pk_mul_f32 v[68:69], v[70:71], v[80:81] op_sel:[0,1]
	v_pk_fma_f32 v[80:81], v[70:71], v[78:79], v[68:69] op_sel:[0,0,1] op_sel_hi:[1,1,0] neg_lo:[0,0,1] neg_hi:[0,0,1]
	v_pk_fma_f32 v[68:69], v[70:71], v[78:79], v[68:69] op_sel:[0,0,1] op_sel_hi:[1,0,0]
	s_delay_alu instid0(VALU_DEP_1) | instskip(SKIP_1) | instid1(VALU_DEP_2)
	v_mov_b32_e32 v81, v69
	v_pk_add_f32 v[24:25], v[24:25], v[82:83] neg_lo:[0,1] neg_hi:[0,1]
	v_pk_add_f32 v[66:67], v[66:67], v[80:81] neg_lo:[0,1] neg_hi:[0,1]
.LBB60_440:
	s_or_b32 exec_lo, exec_lo, s0
	v_lshl_add_u32 v68, v76, 3, v72
	s_barrier_signal -1
	s_barrier_wait -1
	ds_store_b64 v68, v[50:51]
	s_wait_dscnt 0x0
	s_barrier_signal -1
	s_barrier_wait -1
	ds_load_b64 v[68:69], v72 offset:168
	v_mov_b32_e32 v70, 21
	s_cmp_lt_i32 s18, 23
	s_cbranch_scc1 .LBB60_443
; %bb.441:
	v_add3_u32 v71, v73, 0, 0xb0
	v_mov_b32_e32 v70, 21
	s_mov_b32 s0, 22
.LBB60_442:                             ; =>This Inner Loop Header: Depth=1
	ds_load_b64 v[78:79], v71
	s_wait_dscnt 0x1
	v_cmp_gt_f32_e32 vcc_lo, 0, v68
	v_cndmask_b32_e64 v80, v68, -v68, vcc_lo
	v_cmp_gt_f32_e32 vcc_lo, 0, v69
	v_cndmask_b32_e64 v82, v69, -v69, vcc_lo
	s_wait_dscnt 0x0
	v_cmp_gt_f32_e32 vcc_lo, 0, v78
	v_cndmask_b32_e64 v81, v78, -v78, vcc_lo
	v_cmp_gt_f32_e32 vcc_lo, 0, v79
	v_cndmask_b32_e64 v83, v79, -v79, vcc_lo
	s_delay_alu instid0(VALU_DEP_1) | instskip(NEXT) | instid1(VALU_DEP_1)
	v_pk_add_f32 v[80:81], v[80:81], v[82:83]
	v_cmp_lt_f32_e32 vcc_lo, v80, v81
	v_dual_cndmask_b32 v68, v68, v78 :: v_dual_add_nc_u32 v71, 8, v71
	v_cndmask_b32_e32 v69, v69, v79, vcc_lo
	v_cndmask_b32_e64 v70, v70, s0, vcc_lo
	s_add_co_i32 s0, s0, 1
	s_delay_alu instid0(SALU_CYCLE_1)
	s_cmp_lg_u32 s18, s0
	s_cbranch_scc1 .LBB60_442
.LBB60_443:
	s_wait_dscnt 0x0
	v_cmp_eq_f32_e32 vcc_lo, 0, v68
	v_cmp_eq_f32_e64 s0, 0, v69
	s_and_b32 s0, vcc_lo, s0
	s_delay_alu instid0(SALU_CYCLE_1) | instskip(NEXT) | instid1(SALU_CYCLE_1)
	s_and_saveexec_b32 s1, s0
	s_xor_b32 s0, exec_lo, s1
; %bb.444:
	v_cmp_ne_u32_e32 vcc_lo, 0, v74
	v_cndmask_b32_e32 v74, 22, v74, vcc_lo
; %bb.445:
	s_and_not1_saveexec_b32 s0, s0
	s_cbranch_execz .LBB60_451
; %bb.446:
	v_cmp_ngt_f32_e64 s1, |v68|, |v69|
	s_and_saveexec_b32 s12, s1
	s_delay_alu instid0(SALU_CYCLE_1)
	s_xor_b32 s1, exec_lo, s12
	s_cbranch_execz .LBB60_448
; %bb.447:
	v_div_scale_f32 v71, null, v69, v69, v68
	v_div_scale_f32 v79, vcc_lo, v68, v69, v68
	s_delay_alu instid0(VALU_DEP_2) | instskip(SKIP_1) | instid1(TRANS32_DEP_1)
	v_rcp_f32_e32 v77, v71
	v_nop
	v_fma_f32 v78, -v71, v77, 1.0
	s_delay_alu instid0(VALU_DEP_1) | instskip(NEXT) | instid1(VALU_DEP_1)
	v_fmac_f32_e32 v77, v78, v77
	v_mul_f32_e32 v78, v79, v77
	s_delay_alu instid0(VALU_DEP_1) | instskip(NEXT) | instid1(VALU_DEP_1)
	v_fma_f32 v80, -v71, v78, v79
	v_fmac_f32_e32 v78, v80, v77
	s_delay_alu instid0(VALU_DEP_1) | instskip(NEXT) | instid1(VALU_DEP_1)
	v_fma_f32 v71, -v71, v78, v79
	v_div_fmas_f32 v71, v71, v77, v78
	s_delay_alu instid0(VALU_DEP_1) | instskip(NEXT) | instid1(VALU_DEP_1)
	v_div_fixup_f32 v71, v71, v69, v68
	v_fmac_f32_e32 v69, v68, v71
	s_delay_alu instid0(VALU_DEP_1) | instskip(SKIP_1) | instid1(VALU_DEP_2)
	v_div_scale_f32 v68, null, v69, v69, 1.0
	v_div_scale_f32 v79, vcc_lo, 1.0, v69, 1.0
	v_rcp_f32_e32 v77, v68
	v_nop
	s_delay_alu instid0(TRANS32_DEP_1) | instskip(NEXT) | instid1(VALU_DEP_1)
	v_fma_f32 v78, -v68, v77, 1.0
	v_fmac_f32_e32 v77, v78, v77
	s_delay_alu instid0(VALU_DEP_1) | instskip(NEXT) | instid1(VALU_DEP_1)
	v_mul_f32_e32 v78, v79, v77
	v_fma_f32 v80, -v68, v78, v79
	s_delay_alu instid0(VALU_DEP_1) | instskip(NEXT) | instid1(VALU_DEP_1)
	v_fmac_f32_e32 v78, v80, v77
	v_fma_f32 v68, -v68, v78, v79
	s_delay_alu instid0(VALU_DEP_1) | instskip(NEXT) | instid1(VALU_DEP_1)
	v_div_fmas_f32 v68, v68, v77, v78
	v_div_fixup_f32 v69, v68, v69, 1.0
	s_delay_alu instid0(VALU_DEP_1)
	v_mul_f32_e32 v68, v71, v69
	v_xor_b32_e32 v69, 0x80000000, v69
.LBB60_448:
	s_and_not1_saveexec_b32 s1, s1
	s_cbranch_execz .LBB60_450
; %bb.449:
	s_delay_alu instid0(VALU_DEP_1) | instskip(SKIP_1) | instid1(VALU_DEP_2)
	v_div_scale_f32 v71, null, v68, v68, v69
	v_div_scale_f32 v79, vcc_lo, v69, v68, v69
	v_rcp_f32_e32 v77, v71
	v_nop
	s_delay_alu instid0(TRANS32_DEP_1) | instskip(NEXT) | instid1(VALU_DEP_1)
	v_fma_f32 v78, -v71, v77, 1.0
	v_fmac_f32_e32 v77, v78, v77
	s_delay_alu instid0(VALU_DEP_1) | instskip(NEXT) | instid1(VALU_DEP_1)
	v_mul_f32_e32 v78, v79, v77
	v_fma_f32 v80, -v71, v78, v79
	s_delay_alu instid0(VALU_DEP_1) | instskip(NEXT) | instid1(VALU_DEP_1)
	v_fmac_f32_e32 v78, v80, v77
	v_fma_f32 v71, -v71, v78, v79
	s_delay_alu instid0(VALU_DEP_1) | instskip(NEXT) | instid1(VALU_DEP_1)
	v_div_fmas_f32 v71, v71, v77, v78
	v_div_fixup_f32 v71, v71, v68, v69
	s_delay_alu instid0(VALU_DEP_1) | instskip(NEXT) | instid1(VALU_DEP_1)
	v_fmac_f32_e32 v68, v69, v71
	v_div_scale_f32 v69, null, v68, v68, 1.0
	s_delay_alu instid0(VALU_DEP_1) | instskip(SKIP_1) | instid1(TRANS32_DEP_1)
	v_rcp_f32_e32 v77, v69
	v_nop
	v_fma_f32 v78, -v69, v77, 1.0
	s_delay_alu instid0(VALU_DEP_1) | instskip(SKIP_1) | instid1(VALU_DEP_1)
	v_fmac_f32_e32 v77, v78, v77
	v_div_scale_f32 v78, vcc_lo, 1.0, v68, 1.0
	v_mul_f32_e32 v79, v78, v77
	s_delay_alu instid0(VALU_DEP_1) | instskip(NEXT) | instid1(VALU_DEP_1)
	v_fma_f32 v80, -v69, v79, v78
	v_fmac_f32_e32 v79, v80, v77
	s_delay_alu instid0(VALU_DEP_1) | instskip(NEXT) | instid1(VALU_DEP_1)
	v_fma_f32 v69, -v69, v79, v78
	v_div_fmas_f32 v69, v69, v77, v79
	s_delay_alu instid0(VALU_DEP_1) | instskip(NEXT) | instid1(VALU_DEP_1)
	v_div_fixup_f32 v68, v69, v68, 1.0
	v_mul_f32_e64 v69, v71, -v68
.LBB60_450:
	s_or_b32 exec_lo, exec_lo, s1
.LBB60_451:
	s_delay_alu instid0(SALU_CYCLE_1) | instskip(NEXT) | instid1(SALU_CYCLE_1)
	s_or_b32 exec_lo, exec_lo, s0
	s_mov_b32 s0, exec_lo
	v_cmpx_ne_u32_e64 v76, v70
	s_xor_b32 s0, exec_lo, s0
	s_cbranch_execz .LBB60_457
; %bb.452:
	s_mov_b32 s1, exec_lo
	v_cmpx_eq_u32_e32 21, v76
	s_cbranch_execz .LBB60_456
; %bb.453:
	v_cmp_ne_u32_e32 vcc_lo, 21, v70
	s_xor_b32 s12, s16, -1
	s_delay_alu instid0(SALU_CYCLE_1) | instskip(NEXT) | instid1(SALU_CYCLE_1)
	s_and_b32 s13, s12, vcc_lo
	s_and_saveexec_b32 s12, s13
	s_cbranch_execz .LBB60_455
; %bb.454:
	v_ashrrev_i32_e32 v71, 31, v70
	s_delay_alu instid0(VALU_DEP_1)
	v_lshl_add_u64 v[76:77], v[70:71], 2, v[4:5]
	s_clause 0x1
	global_load_b32 v71, v[76:77], off
	global_load_b32 v75, v[4:5], off offset:84
	s_wait_loadcnt 0x1
	global_store_b32 v[4:5], v71, off offset:84
	s_wait_loadcnt 0x0
	global_store_b32 v[76:77], v75, off
.LBB60_455:
	s_wait_xcnt 0x0
	s_or_b32 exec_lo, exec_lo, s12
	v_dual_mov_b32 v76, v70 :: v_dual_mov_b32 v75, v70
.LBB60_456:
	s_or_b32 exec_lo, exec_lo, s1
.LBB60_457:
	s_and_not1_saveexec_b32 s0, s0
	s_cbranch_execz .LBB60_459
; %bb.458:
	v_dual_mov_b32 v70, v22 :: v_dual_mov_b32 v71, v23
	v_dual_mov_b32 v78, v18 :: v_dual_mov_b32 v79, v19
	;; [unrolled: 1-line block ×8, first 2 shown]
	v_mov_b32_e32 v91, v25
	ds_store_2addr_b64 v72, v[70:71], v[78:79] offset0:22 offset1:23
	ds_store_2addr_b64 v72, v[80:81], v[82:83] offset0:24 offset1:25
	;; [unrolled: 1-line block ×4, first 2 shown]
	ds_store_b64 v72, v[66:67] offset:240
.LBB60_459:
	s_or_b32 exec_lo, exec_lo, s0
	s_delay_alu instid0(SALU_CYCLE_1)
	s_mov_b32 s0, exec_lo
	s_wait_storecnt_dscnt 0x0
	s_barrier_signal -1
	s_barrier_wait -1
	v_cmpx_lt_i32_e32 21, v76
	s_cbranch_execz .LBB60_461
; %bb.460:
	v_pk_mul_f32 v[70:71], v[68:69], v[50:51] op_sel:[1,1] op_sel_hi:[0,1]
	s_delay_alu instid0(VALU_DEP_1)
	v_pk_fma_f32 v[78:79], v[68:69], v[50:51], v[70:71] op_sel_hi:[1,0,1] neg_lo:[0,0,1] neg_hi:[0,0,1]
	v_pk_fma_f32 v[80:81], v[68:69], v[50:51], v[70:71] op_sel_hi:[1,0,1]
	ds_load_2addr_b64 v[68:71], v72 offset0:22 offset1:23
	v_dual_mov_b32 v50, v78 :: v_dual_mov_b32 v51, v81
	s_wait_dscnt 0x0
	v_pk_mul_f32 v[82:83], v[68:69], v[80:81] op_sel:[0,1]
	s_delay_alu instid0(VALU_DEP_1) | instskip(SKIP_1) | instid1(VALU_DEP_1)
	v_pk_fma_f32 v[84:85], v[68:69], v[78:79], v[82:83] op_sel:[0,0,1] op_sel_hi:[1,1,0] neg_lo:[0,0,1] neg_hi:[0,0,1]
	v_pk_fma_f32 v[68:69], v[68:69], v[78:79], v[82:83] op_sel:[0,0,1] op_sel_hi:[1,0,0]
	v_mov_b32_e32 v85, v69
	v_pk_mul_f32 v[68:69], v[70:71], v[80:81] op_sel:[0,1]
	s_delay_alu instid0(VALU_DEP_1) | instskip(SKIP_1) | instid1(VALU_DEP_1)
	v_pk_fma_f32 v[82:83], v[70:71], v[78:79], v[68:69] op_sel:[0,0,1] op_sel_hi:[1,1,0] neg_lo:[0,0,1] neg_hi:[0,0,1]
	v_pk_fma_f32 v[68:69], v[70:71], v[78:79], v[68:69] op_sel:[0,0,1] op_sel_hi:[1,0,0]
	v_mov_b32_e32 v83, v69
	ds_load_2addr_b64 v[68:71], v72 offset0:24 offset1:25
	v_pk_add_f32 v[22:23], v[22:23], v[84:85] neg_lo:[0,1] neg_hi:[0,1]
	v_pk_add_f32 v[18:19], v[18:19], v[82:83] neg_lo:[0,1] neg_hi:[0,1]
	s_wait_dscnt 0x0
	v_pk_mul_f32 v[82:83], v[68:69], v[80:81] op_sel:[0,1]
	s_delay_alu instid0(VALU_DEP_1) | instskip(SKIP_2) | instid1(VALU_DEP_2)
	v_pk_fma_f32 v[84:85], v[68:69], v[78:79], v[82:83] op_sel:[0,0,1] op_sel_hi:[1,1,0] neg_lo:[0,0,1] neg_hi:[0,0,1]
	v_pk_fma_f32 v[68:69], v[68:69], v[78:79], v[82:83] op_sel:[0,0,1] op_sel_hi:[1,0,0]
	v_dual_mul_f32 v82, v71, v81 :: v_dual_mov_b32 v68, v71
	v_dual_mov_b32 v85, v69 :: v_dual_mov_b32 v69, v70
	s_delay_alu instid0(VALU_DEP_2) | instskip(SKIP_1) | instid1(VALU_DEP_3)
	v_pk_fma_f32 v[82:83], v[70:71], v[50:51], v[82:83] op_sel_hi:[1,1,0] neg_lo:[0,0,1] neg_hi:[0,0,1]
	v_mul_f32_e32 v70, v71, v78
	v_pk_add_f32 v[36:37], v[36:37], v[84:85] neg_lo:[0,1] neg_hi:[0,1]
	s_delay_alu instid0(VALU_DEP_2) | instskip(NEXT) | instid1(VALU_DEP_1)
	v_pk_fma_f32 v[68:69], v[68:69], v[50:51], v[70:71] op_sel_hi:[1,1,0]
	v_mov_b32_e32 v83, v69
	ds_load_2addr_b64 v[68:71], v72 offset0:26 offset1:27
	v_pk_add_f32 v[34:35], v[34:35], v[82:83] neg_lo:[0,1] neg_hi:[0,1]
	s_wait_dscnt 0x0
	v_pk_mul_f32 v[82:83], v[68:69], v[80:81] op_sel:[0,1]
	s_delay_alu instid0(VALU_DEP_1) | instskip(SKIP_1) | instid1(VALU_DEP_1)
	v_pk_fma_f32 v[84:85], v[68:69], v[78:79], v[82:83] op_sel:[0,0,1] op_sel_hi:[1,1,0] neg_lo:[0,0,1] neg_hi:[0,0,1]
	v_pk_fma_f32 v[68:69], v[68:69], v[78:79], v[82:83] op_sel:[0,0,1] op_sel_hi:[1,0,0]
	v_mov_b32_e32 v85, v69
	v_pk_mul_f32 v[68:69], v[70:71], v[80:81] op_sel:[0,1]
	s_delay_alu instid0(VALU_DEP_1) | instskip(SKIP_1) | instid1(VALU_DEP_1)
	v_pk_fma_f32 v[82:83], v[70:71], v[78:79], v[68:69] op_sel:[0,0,1] op_sel_hi:[1,1,0] neg_lo:[0,0,1] neg_hi:[0,0,1]
	v_pk_fma_f32 v[68:69], v[70:71], v[78:79], v[68:69] op_sel:[0,0,1] op_sel_hi:[1,0,0]
	v_mov_b32_e32 v83, v69
	ds_load_2addr_b64 v[68:71], v72 offset0:28 offset1:29
	v_pk_add_f32 v[20:21], v[20:21], v[84:85] neg_lo:[0,1] neg_hi:[0,1]
	v_pk_add_f32 v[32:33], v[32:33], v[82:83] neg_lo:[0,1] neg_hi:[0,1]
	s_wait_dscnt 0x0
	v_pk_mul_f32 v[82:83], v[68:69], v[80:81] op_sel:[0,1]
	s_delay_alu instid0(VALU_DEP_1) | instskip(SKIP_1) | instid1(VALU_DEP_1)
	v_pk_fma_f32 v[84:85], v[68:69], v[78:79], v[82:83] op_sel:[0,0,1] op_sel_hi:[1,1,0] neg_lo:[0,0,1] neg_hi:[0,0,1]
	v_pk_fma_f32 v[68:69], v[68:69], v[78:79], v[82:83] op_sel:[0,0,1] op_sel_hi:[1,0,0]
	v_mov_b32_e32 v85, v69
	v_pk_mul_f32 v[68:69], v[70:71], v[80:81] op_sel:[0,1]
	s_delay_alu instid0(VALU_DEP_1) | instskip(SKIP_1) | instid1(VALU_DEP_1)
	v_pk_fma_f32 v[82:83], v[70:71], v[78:79], v[68:69] op_sel:[0,0,1] op_sel_hi:[1,1,0] neg_lo:[0,0,1] neg_hi:[0,0,1]
	v_pk_fma_f32 v[68:69], v[70:71], v[78:79], v[68:69] op_sel:[0,0,1] op_sel_hi:[1,0,0]
	v_mov_b32_e32 v83, v69
	ds_load_b64 v[68:69], v72 offset:240
	v_pk_add_f32 v[30:31], v[30:31], v[84:85] neg_lo:[0,1] neg_hi:[0,1]
	v_pk_add_f32 v[24:25], v[24:25], v[82:83] neg_lo:[0,1] neg_hi:[0,1]
	s_wait_dscnt 0x0
	v_pk_mul_f32 v[70:71], v[68:69], v[80:81] op_sel:[0,1]
	s_delay_alu instid0(VALU_DEP_1) | instskip(SKIP_1) | instid1(VALU_DEP_1)
	v_pk_fma_f32 v[80:81], v[68:69], v[78:79], v[70:71] op_sel:[0,0,1] op_sel_hi:[1,1,0] neg_lo:[0,0,1] neg_hi:[0,0,1]
	v_pk_fma_f32 v[68:69], v[68:69], v[78:79], v[70:71] op_sel:[0,0,1] op_sel_hi:[1,0,0]
	v_mov_b32_e32 v81, v69
	s_delay_alu instid0(VALU_DEP_1)
	v_pk_add_f32 v[66:67], v[66:67], v[80:81] neg_lo:[0,1] neg_hi:[0,1]
.LBB60_461:
	s_or_b32 exec_lo, exec_lo, s0
	v_lshl_add_u32 v68, v76, 3, v72
	s_barrier_signal -1
	s_barrier_wait -1
	ds_store_b64 v68, v[22:23]
	s_wait_dscnt 0x0
	s_barrier_signal -1
	s_barrier_wait -1
	ds_load_b64 v[68:69], v72 offset:176
	v_mov_b32_e32 v70, 22
	s_cmp_lt_i32 s18, 24
	s_cbranch_scc1 .LBB60_464
; %bb.462:
	v_add3_u32 v71, v73, 0, 0xb8
	v_mov_b32_e32 v70, 22
	s_mov_b32 s0, 23
.LBB60_463:                             ; =>This Inner Loop Header: Depth=1
	ds_load_b64 v[78:79], v71
	s_wait_dscnt 0x1
	v_cmp_gt_f32_e32 vcc_lo, 0, v68
	v_cndmask_b32_e64 v80, v68, -v68, vcc_lo
	v_cmp_gt_f32_e32 vcc_lo, 0, v69
	v_cndmask_b32_e64 v82, v69, -v69, vcc_lo
	s_wait_dscnt 0x0
	v_cmp_gt_f32_e32 vcc_lo, 0, v78
	v_cndmask_b32_e64 v81, v78, -v78, vcc_lo
	v_cmp_gt_f32_e32 vcc_lo, 0, v79
	v_cndmask_b32_e64 v83, v79, -v79, vcc_lo
	s_delay_alu instid0(VALU_DEP_1) | instskip(NEXT) | instid1(VALU_DEP_1)
	v_pk_add_f32 v[80:81], v[80:81], v[82:83]
	v_cmp_lt_f32_e32 vcc_lo, v80, v81
	v_dual_cndmask_b32 v68, v68, v78 :: v_dual_add_nc_u32 v71, 8, v71
	v_cndmask_b32_e32 v69, v69, v79, vcc_lo
	v_cndmask_b32_e64 v70, v70, s0, vcc_lo
	s_add_co_i32 s0, s0, 1
	s_delay_alu instid0(SALU_CYCLE_1)
	s_cmp_lg_u32 s18, s0
	s_cbranch_scc1 .LBB60_463
.LBB60_464:
	s_wait_dscnt 0x0
	v_cmp_eq_f32_e32 vcc_lo, 0, v68
	v_cmp_eq_f32_e64 s0, 0, v69
	s_and_b32 s0, vcc_lo, s0
	s_delay_alu instid0(SALU_CYCLE_1) | instskip(NEXT) | instid1(SALU_CYCLE_1)
	s_and_saveexec_b32 s1, s0
	s_xor_b32 s0, exec_lo, s1
; %bb.465:
	v_cmp_ne_u32_e32 vcc_lo, 0, v74
	v_cndmask_b32_e32 v74, 23, v74, vcc_lo
; %bb.466:
	s_and_not1_saveexec_b32 s0, s0
	s_cbranch_execz .LBB60_472
; %bb.467:
	v_cmp_ngt_f32_e64 s1, |v68|, |v69|
	s_and_saveexec_b32 s12, s1
	s_delay_alu instid0(SALU_CYCLE_1)
	s_xor_b32 s1, exec_lo, s12
	s_cbranch_execz .LBB60_469
; %bb.468:
	v_div_scale_f32 v71, null, v69, v69, v68
	v_div_scale_f32 v79, vcc_lo, v68, v69, v68
	s_delay_alu instid0(VALU_DEP_2) | instskip(SKIP_1) | instid1(TRANS32_DEP_1)
	v_rcp_f32_e32 v77, v71
	v_nop
	v_fma_f32 v78, -v71, v77, 1.0
	s_delay_alu instid0(VALU_DEP_1) | instskip(NEXT) | instid1(VALU_DEP_1)
	v_fmac_f32_e32 v77, v78, v77
	v_mul_f32_e32 v78, v79, v77
	s_delay_alu instid0(VALU_DEP_1) | instskip(NEXT) | instid1(VALU_DEP_1)
	v_fma_f32 v80, -v71, v78, v79
	v_fmac_f32_e32 v78, v80, v77
	s_delay_alu instid0(VALU_DEP_1) | instskip(NEXT) | instid1(VALU_DEP_1)
	v_fma_f32 v71, -v71, v78, v79
	v_div_fmas_f32 v71, v71, v77, v78
	s_delay_alu instid0(VALU_DEP_1) | instskip(NEXT) | instid1(VALU_DEP_1)
	v_div_fixup_f32 v71, v71, v69, v68
	v_fmac_f32_e32 v69, v68, v71
	s_delay_alu instid0(VALU_DEP_1) | instskip(SKIP_1) | instid1(VALU_DEP_2)
	v_div_scale_f32 v68, null, v69, v69, 1.0
	v_div_scale_f32 v79, vcc_lo, 1.0, v69, 1.0
	v_rcp_f32_e32 v77, v68
	v_nop
	s_delay_alu instid0(TRANS32_DEP_1) | instskip(NEXT) | instid1(VALU_DEP_1)
	v_fma_f32 v78, -v68, v77, 1.0
	v_fmac_f32_e32 v77, v78, v77
	s_delay_alu instid0(VALU_DEP_1) | instskip(NEXT) | instid1(VALU_DEP_1)
	v_mul_f32_e32 v78, v79, v77
	v_fma_f32 v80, -v68, v78, v79
	s_delay_alu instid0(VALU_DEP_1) | instskip(NEXT) | instid1(VALU_DEP_1)
	v_fmac_f32_e32 v78, v80, v77
	v_fma_f32 v68, -v68, v78, v79
	s_delay_alu instid0(VALU_DEP_1) | instskip(NEXT) | instid1(VALU_DEP_1)
	v_div_fmas_f32 v68, v68, v77, v78
	v_div_fixup_f32 v69, v68, v69, 1.0
	s_delay_alu instid0(VALU_DEP_1)
	v_mul_f32_e32 v68, v71, v69
	v_xor_b32_e32 v69, 0x80000000, v69
.LBB60_469:
	s_and_not1_saveexec_b32 s1, s1
	s_cbranch_execz .LBB60_471
; %bb.470:
	s_delay_alu instid0(VALU_DEP_1) | instskip(SKIP_1) | instid1(VALU_DEP_2)
	v_div_scale_f32 v71, null, v68, v68, v69
	v_div_scale_f32 v79, vcc_lo, v69, v68, v69
	v_rcp_f32_e32 v77, v71
	v_nop
	s_delay_alu instid0(TRANS32_DEP_1) | instskip(NEXT) | instid1(VALU_DEP_1)
	v_fma_f32 v78, -v71, v77, 1.0
	v_fmac_f32_e32 v77, v78, v77
	s_delay_alu instid0(VALU_DEP_1) | instskip(NEXT) | instid1(VALU_DEP_1)
	v_mul_f32_e32 v78, v79, v77
	v_fma_f32 v80, -v71, v78, v79
	s_delay_alu instid0(VALU_DEP_1) | instskip(NEXT) | instid1(VALU_DEP_1)
	v_fmac_f32_e32 v78, v80, v77
	v_fma_f32 v71, -v71, v78, v79
	s_delay_alu instid0(VALU_DEP_1) | instskip(NEXT) | instid1(VALU_DEP_1)
	v_div_fmas_f32 v71, v71, v77, v78
	v_div_fixup_f32 v71, v71, v68, v69
	s_delay_alu instid0(VALU_DEP_1) | instskip(NEXT) | instid1(VALU_DEP_1)
	v_fmac_f32_e32 v68, v69, v71
	v_div_scale_f32 v69, null, v68, v68, 1.0
	s_delay_alu instid0(VALU_DEP_1) | instskip(SKIP_1) | instid1(TRANS32_DEP_1)
	v_rcp_f32_e32 v77, v69
	v_nop
	v_fma_f32 v78, -v69, v77, 1.0
	s_delay_alu instid0(VALU_DEP_1) | instskip(SKIP_1) | instid1(VALU_DEP_1)
	v_fmac_f32_e32 v77, v78, v77
	v_div_scale_f32 v78, vcc_lo, 1.0, v68, 1.0
	v_mul_f32_e32 v79, v78, v77
	s_delay_alu instid0(VALU_DEP_1) | instskip(NEXT) | instid1(VALU_DEP_1)
	v_fma_f32 v80, -v69, v79, v78
	v_fmac_f32_e32 v79, v80, v77
	s_delay_alu instid0(VALU_DEP_1) | instskip(NEXT) | instid1(VALU_DEP_1)
	v_fma_f32 v69, -v69, v79, v78
	v_div_fmas_f32 v69, v69, v77, v79
	s_delay_alu instid0(VALU_DEP_1) | instskip(NEXT) | instid1(VALU_DEP_1)
	v_div_fixup_f32 v68, v69, v68, 1.0
	v_mul_f32_e64 v69, v71, -v68
.LBB60_471:
	s_or_b32 exec_lo, exec_lo, s1
.LBB60_472:
	s_delay_alu instid0(SALU_CYCLE_1) | instskip(NEXT) | instid1(SALU_CYCLE_1)
	s_or_b32 exec_lo, exec_lo, s0
	s_mov_b32 s0, exec_lo
	v_cmpx_ne_u32_e64 v76, v70
	s_xor_b32 s0, exec_lo, s0
	s_cbranch_execz .LBB60_478
; %bb.473:
	s_mov_b32 s1, exec_lo
	v_cmpx_eq_u32_e32 22, v76
	s_cbranch_execz .LBB60_477
; %bb.474:
	v_cmp_ne_u32_e32 vcc_lo, 22, v70
	s_xor_b32 s12, s16, -1
	s_delay_alu instid0(SALU_CYCLE_1) | instskip(NEXT) | instid1(SALU_CYCLE_1)
	s_and_b32 s13, s12, vcc_lo
	s_and_saveexec_b32 s12, s13
	s_cbranch_execz .LBB60_476
; %bb.475:
	v_ashrrev_i32_e32 v71, 31, v70
	s_delay_alu instid0(VALU_DEP_1)
	v_lshl_add_u64 v[76:77], v[70:71], 2, v[4:5]
	s_clause 0x1
	global_load_b32 v71, v[76:77], off
	global_load_b32 v75, v[4:5], off offset:88
	s_wait_loadcnt 0x1
	global_store_b32 v[4:5], v71, off offset:88
	s_wait_loadcnt 0x0
	global_store_b32 v[76:77], v75, off
.LBB60_476:
	s_wait_xcnt 0x0
	s_or_b32 exec_lo, exec_lo, s12
	v_dual_mov_b32 v76, v70 :: v_dual_mov_b32 v75, v70
.LBB60_477:
	s_or_b32 exec_lo, exec_lo, s1
.LBB60_478:
	s_and_not1_saveexec_b32 s0, s0
	s_cbranch_execz .LBB60_480
; %bb.479:
	v_mov_b32_e32 v76, 22
	ds_store_2addr_b64 v72, v[18:19], v[36:37] offset0:23 offset1:24
	ds_store_2addr_b64 v72, v[34:35], v[20:21] offset0:25 offset1:26
	;; [unrolled: 1-line block ×4, first 2 shown]
.LBB60_480:
	s_or_b32 exec_lo, exec_lo, s0
	s_delay_alu instid0(SALU_CYCLE_1)
	s_mov_b32 s0, exec_lo
	s_wait_storecnt_dscnt 0x0
	s_barrier_signal -1
	s_barrier_wait -1
	v_cmpx_lt_i32_e32 22, v76
	s_cbranch_execz .LBB60_482
; %bb.481:
	v_pk_mul_f32 v[70:71], v[68:69], v[22:23] op_sel:[1,1] op_sel_hi:[0,1]
	s_delay_alu instid0(VALU_DEP_1)
	v_pk_fma_f32 v[78:79], v[68:69], v[22:23], v[70:71] op_sel_hi:[1,0,1] neg_lo:[0,0,1] neg_hi:[0,0,1]
	v_pk_fma_f32 v[80:81], v[68:69], v[22:23], v[70:71] op_sel_hi:[1,0,1]
	ds_load_2addr_b64 v[68:71], v72 offset0:23 offset1:24
	v_dual_mov_b32 v22, v78 :: v_dual_mov_b32 v23, v81
	s_wait_dscnt 0x0
	v_pk_mul_f32 v[82:83], v[68:69], v[80:81] op_sel:[0,1]
	s_delay_alu instid0(VALU_DEP_1) | instskip(SKIP_1) | instid1(VALU_DEP_1)
	v_pk_fma_f32 v[84:85], v[68:69], v[78:79], v[82:83] op_sel:[0,0,1] op_sel_hi:[1,1,0] neg_lo:[0,0,1] neg_hi:[0,0,1]
	v_pk_fma_f32 v[68:69], v[68:69], v[78:79], v[82:83] op_sel:[0,0,1] op_sel_hi:[1,0,0]
	v_mov_b32_e32 v85, v69
	v_pk_mul_f32 v[68:69], v[70:71], v[80:81] op_sel:[0,1]
	s_delay_alu instid0(VALU_DEP_1) | instskip(SKIP_1) | instid1(VALU_DEP_1)
	v_pk_fma_f32 v[82:83], v[70:71], v[78:79], v[68:69] op_sel:[0,0,1] op_sel_hi:[1,1,0] neg_lo:[0,0,1] neg_hi:[0,0,1]
	v_pk_fma_f32 v[68:69], v[70:71], v[78:79], v[68:69] op_sel:[0,0,1] op_sel_hi:[1,0,0]
	v_mov_b32_e32 v83, v69
	ds_load_2addr_b64 v[68:71], v72 offset0:25 offset1:26
	v_pk_add_f32 v[18:19], v[18:19], v[84:85] neg_lo:[0,1] neg_hi:[0,1]
	v_pk_add_f32 v[36:37], v[36:37], v[82:83] neg_lo:[0,1] neg_hi:[0,1]
	s_wait_dscnt 0x0
	v_pk_mul_f32 v[82:83], v[68:69], v[80:81] op_sel:[0,1]
	s_delay_alu instid0(VALU_DEP_1) | instskip(SKIP_2) | instid1(VALU_DEP_2)
	v_pk_fma_f32 v[84:85], v[68:69], v[78:79], v[82:83] op_sel:[0,0,1] op_sel_hi:[1,1,0] neg_lo:[0,0,1] neg_hi:[0,0,1]
	v_pk_fma_f32 v[68:69], v[68:69], v[78:79], v[82:83] op_sel:[0,0,1] op_sel_hi:[1,0,0]
	v_dual_mul_f32 v82, v71, v81 :: v_dual_mov_b32 v68, v71
	v_dual_mov_b32 v85, v69 :: v_dual_mov_b32 v69, v70
	s_delay_alu instid0(VALU_DEP_2) | instskip(SKIP_1) | instid1(VALU_DEP_3)
	v_pk_fma_f32 v[82:83], v[70:71], v[22:23], v[82:83] op_sel_hi:[1,1,0] neg_lo:[0,0,1] neg_hi:[0,0,1]
	v_mul_f32_e32 v70, v71, v78
	v_pk_add_f32 v[34:35], v[34:35], v[84:85] neg_lo:[0,1] neg_hi:[0,1]
	s_delay_alu instid0(VALU_DEP_2) | instskip(NEXT) | instid1(VALU_DEP_1)
	v_pk_fma_f32 v[68:69], v[68:69], v[22:23], v[70:71] op_sel_hi:[1,1,0]
	v_mov_b32_e32 v83, v69
	ds_load_2addr_b64 v[68:71], v72 offset0:27 offset1:28
	v_pk_add_f32 v[20:21], v[20:21], v[82:83] neg_lo:[0,1] neg_hi:[0,1]
	s_wait_dscnt 0x0
	v_pk_mul_f32 v[82:83], v[68:69], v[80:81] op_sel:[0,1]
	s_delay_alu instid0(VALU_DEP_1) | instskip(SKIP_1) | instid1(VALU_DEP_1)
	v_pk_fma_f32 v[84:85], v[68:69], v[78:79], v[82:83] op_sel:[0,0,1] op_sel_hi:[1,1,0] neg_lo:[0,0,1] neg_hi:[0,0,1]
	v_pk_fma_f32 v[68:69], v[68:69], v[78:79], v[82:83] op_sel:[0,0,1] op_sel_hi:[1,0,0]
	v_mov_b32_e32 v85, v69
	v_pk_mul_f32 v[68:69], v[70:71], v[80:81] op_sel:[0,1]
	s_delay_alu instid0(VALU_DEP_1) | instskip(SKIP_1) | instid1(VALU_DEP_1)
	v_pk_fma_f32 v[82:83], v[70:71], v[78:79], v[68:69] op_sel:[0,0,1] op_sel_hi:[1,1,0] neg_lo:[0,0,1] neg_hi:[0,0,1]
	v_pk_fma_f32 v[68:69], v[70:71], v[78:79], v[68:69] op_sel:[0,0,1] op_sel_hi:[1,0,0]
	v_mov_b32_e32 v83, v69
	ds_load_2addr_b64 v[68:71], v72 offset0:29 offset1:30
	v_pk_add_f32 v[32:33], v[32:33], v[84:85] neg_lo:[0,1] neg_hi:[0,1]
	v_pk_add_f32 v[30:31], v[30:31], v[82:83] neg_lo:[0,1] neg_hi:[0,1]
	s_wait_dscnt 0x0
	v_pk_mul_f32 v[82:83], v[68:69], v[80:81] op_sel:[0,1]
	s_delay_alu instid0(VALU_DEP_1) | instskip(SKIP_1) | instid1(VALU_DEP_1)
	v_pk_fma_f32 v[84:85], v[68:69], v[78:79], v[82:83] op_sel:[0,0,1] op_sel_hi:[1,1,0] neg_lo:[0,0,1] neg_hi:[0,0,1]
	v_pk_fma_f32 v[68:69], v[68:69], v[78:79], v[82:83] op_sel:[0,0,1] op_sel_hi:[1,0,0]
	v_mov_b32_e32 v85, v69
	v_pk_mul_f32 v[68:69], v[70:71], v[80:81] op_sel:[0,1]
	s_delay_alu instid0(VALU_DEP_1) | instskip(SKIP_1) | instid1(VALU_DEP_1)
	v_pk_fma_f32 v[80:81], v[70:71], v[78:79], v[68:69] op_sel:[0,0,1] op_sel_hi:[1,1,0] neg_lo:[0,0,1] neg_hi:[0,0,1]
	v_pk_fma_f32 v[68:69], v[70:71], v[78:79], v[68:69] op_sel:[0,0,1] op_sel_hi:[1,0,0]
	v_mov_b32_e32 v81, v69
	v_pk_add_f32 v[24:25], v[24:25], v[84:85] neg_lo:[0,1] neg_hi:[0,1]
	s_delay_alu instid0(VALU_DEP_2)
	v_pk_add_f32 v[66:67], v[66:67], v[80:81] neg_lo:[0,1] neg_hi:[0,1]
.LBB60_482:
	s_or_b32 exec_lo, exec_lo, s0
	v_lshl_add_u32 v68, v76, 3, v72
	s_barrier_signal -1
	s_barrier_wait -1
	ds_store_b64 v68, v[18:19]
	s_wait_dscnt 0x0
	s_barrier_signal -1
	s_barrier_wait -1
	ds_load_b64 v[68:69], v72 offset:184
	v_mov_b32_e32 v70, 23
	s_cmp_lt_i32 s18, 25
	s_cbranch_scc1 .LBB60_485
; %bb.483:
	v_add3_u32 v71, v73, 0, 0xc0
	v_mov_b32_e32 v70, 23
	s_mov_b32 s0, 24
.LBB60_484:                             ; =>This Inner Loop Header: Depth=1
	ds_load_b64 v[78:79], v71
	s_wait_dscnt 0x1
	v_cmp_gt_f32_e32 vcc_lo, 0, v68
	v_cndmask_b32_e64 v80, v68, -v68, vcc_lo
	v_cmp_gt_f32_e32 vcc_lo, 0, v69
	v_cndmask_b32_e64 v82, v69, -v69, vcc_lo
	s_wait_dscnt 0x0
	v_cmp_gt_f32_e32 vcc_lo, 0, v78
	v_cndmask_b32_e64 v81, v78, -v78, vcc_lo
	v_cmp_gt_f32_e32 vcc_lo, 0, v79
	v_cndmask_b32_e64 v83, v79, -v79, vcc_lo
	s_delay_alu instid0(VALU_DEP_1) | instskip(NEXT) | instid1(VALU_DEP_1)
	v_pk_add_f32 v[80:81], v[80:81], v[82:83]
	v_cmp_lt_f32_e32 vcc_lo, v80, v81
	v_dual_cndmask_b32 v68, v68, v78 :: v_dual_add_nc_u32 v71, 8, v71
	v_cndmask_b32_e32 v69, v69, v79, vcc_lo
	v_cndmask_b32_e64 v70, v70, s0, vcc_lo
	s_add_co_i32 s0, s0, 1
	s_delay_alu instid0(SALU_CYCLE_1)
	s_cmp_lg_u32 s18, s0
	s_cbranch_scc1 .LBB60_484
.LBB60_485:
	s_wait_dscnt 0x0
	v_cmp_eq_f32_e32 vcc_lo, 0, v68
	v_cmp_eq_f32_e64 s0, 0, v69
	s_and_b32 s0, vcc_lo, s0
	s_delay_alu instid0(SALU_CYCLE_1) | instskip(NEXT) | instid1(SALU_CYCLE_1)
	s_and_saveexec_b32 s1, s0
	s_xor_b32 s0, exec_lo, s1
; %bb.486:
	v_cmp_ne_u32_e32 vcc_lo, 0, v74
	v_cndmask_b32_e32 v74, 24, v74, vcc_lo
; %bb.487:
	s_and_not1_saveexec_b32 s0, s0
	s_cbranch_execz .LBB60_493
; %bb.488:
	v_cmp_ngt_f32_e64 s1, |v68|, |v69|
	s_and_saveexec_b32 s12, s1
	s_delay_alu instid0(SALU_CYCLE_1)
	s_xor_b32 s1, exec_lo, s12
	s_cbranch_execz .LBB60_490
; %bb.489:
	v_div_scale_f32 v71, null, v69, v69, v68
	v_div_scale_f32 v79, vcc_lo, v68, v69, v68
	s_delay_alu instid0(VALU_DEP_2) | instskip(SKIP_1) | instid1(TRANS32_DEP_1)
	v_rcp_f32_e32 v77, v71
	v_nop
	v_fma_f32 v78, -v71, v77, 1.0
	s_delay_alu instid0(VALU_DEP_1) | instskip(NEXT) | instid1(VALU_DEP_1)
	v_fmac_f32_e32 v77, v78, v77
	v_mul_f32_e32 v78, v79, v77
	s_delay_alu instid0(VALU_DEP_1) | instskip(NEXT) | instid1(VALU_DEP_1)
	v_fma_f32 v80, -v71, v78, v79
	v_fmac_f32_e32 v78, v80, v77
	s_delay_alu instid0(VALU_DEP_1) | instskip(NEXT) | instid1(VALU_DEP_1)
	v_fma_f32 v71, -v71, v78, v79
	v_div_fmas_f32 v71, v71, v77, v78
	s_delay_alu instid0(VALU_DEP_1) | instskip(NEXT) | instid1(VALU_DEP_1)
	v_div_fixup_f32 v71, v71, v69, v68
	v_fmac_f32_e32 v69, v68, v71
	s_delay_alu instid0(VALU_DEP_1) | instskip(SKIP_1) | instid1(VALU_DEP_2)
	v_div_scale_f32 v68, null, v69, v69, 1.0
	v_div_scale_f32 v79, vcc_lo, 1.0, v69, 1.0
	v_rcp_f32_e32 v77, v68
	v_nop
	s_delay_alu instid0(TRANS32_DEP_1) | instskip(NEXT) | instid1(VALU_DEP_1)
	v_fma_f32 v78, -v68, v77, 1.0
	v_fmac_f32_e32 v77, v78, v77
	s_delay_alu instid0(VALU_DEP_1) | instskip(NEXT) | instid1(VALU_DEP_1)
	v_mul_f32_e32 v78, v79, v77
	v_fma_f32 v80, -v68, v78, v79
	s_delay_alu instid0(VALU_DEP_1) | instskip(NEXT) | instid1(VALU_DEP_1)
	v_fmac_f32_e32 v78, v80, v77
	v_fma_f32 v68, -v68, v78, v79
	s_delay_alu instid0(VALU_DEP_1) | instskip(NEXT) | instid1(VALU_DEP_1)
	v_div_fmas_f32 v68, v68, v77, v78
	v_div_fixup_f32 v69, v68, v69, 1.0
	s_delay_alu instid0(VALU_DEP_1)
	v_mul_f32_e32 v68, v71, v69
	v_xor_b32_e32 v69, 0x80000000, v69
.LBB60_490:
	s_and_not1_saveexec_b32 s1, s1
	s_cbranch_execz .LBB60_492
; %bb.491:
	s_delay_alu instid0(VALU_DEP_1) | instskip(SKIP_1) | instid1(VALU_DEP_2)
	v_div_scale_f32 v71, null, v68, v68, v69
	v_div_scale_f32 v79, vcc_lo, v69, v68, v69
	v_rcp_f32_e32 v77, v71
	v_nop
	s_delay_alu instid0(TRANS32_DEP_1) | instskip(NEXT) | instid1(VALU_DEP_1)
	v_fma_f32 v78, -v71, v77, 1.0
	v_fmac_f32_e32 v77, v78, v77
	s_delay_alu instid0(VALU_DEP_1) | instskip(NEXT) | instid1(VALU_DEP_1)
	v_mul_f32_e32 v78, v79, v77
	v_fma_f32 v80, -v71, v78, v79
	s_delay_alu instid0(VALU_DEP_1) | instskip(NEXT) | instid1(VALU_DEP_1)
	v_fmac_f32_e32 v78, v80, v77
	v_fma_f32 v71, -v71, v78, v79
	s_delay_alu instid0(VALU_DEP_1) | instskip(NEXT) | instid1(VALU_DEP_1)
	v_div_fmas_f32 v71, v71, v77, v78
	v_div_fixup_f32 v71, v71, v68, v69
	s_delay_alu instid0(VALU_DEP_1) | instskip(NEXT) | instid1(VALU_DEP_1)
	v_fmac_f32_e32 v68, v69, v71
	v_div_scale_f32 v69, null, v68, v68, 1.0
	s_delay_alu instid0(VALU_DEP_1) | instskip(SKIP_1) | instid1(TRANS32_DEP_1)
	v_rcp_f32_e32 v77, v69
	v_nop
	v_fma_f32 v78, -v69, v77, 1.0
	s_delay_alu instid0(VALU_DEP_1) | instskip(SKIP_1) | instid1(VALU_DEP_1)
	v_fmac_f32_e32 v77, v78, v77
	v_div_scale_f32 v78, vcc_lo, 1.0, v68, 1.0
	v_mul_f32_e32 v79, v78, v77
	s_delay_alu instid0(VALU_DEP_1) | instskip(NEXT) | instid1(VALU_DEP_1)
	v_fma_f32 v80, -v69, v79, v78
	v_fmac_f32_e32 v79, v80, v77
	s_delay_alu instid0(VALU_DEP_1) | instskip(NEXT) | instid1(VALU_DEP_1)
	v_fma_f32 v69, -v69, v79, v78
	v_div_fmas_f32 v69, v69, v77, v79
	s_delay_alu instid0(VALU_DEP_1) | instskip(NEXT) | instid1(VALU_DEP_1)
	v_div_fixup_f32 v68, v69, v68, 1.0
	v_mul_f32_e64 v69, v71, -v68
.LBB60_492:
	s_or_b32 exec_lo, exec_lo, s1
.LBB60_493:
	s_delay_alu instid0(SALU_CYCLE_1) | instskip(NEXT) | instid1(SALU_CYCLE_1)
	s_or_b32 exec_lo, exec_lo, s0
	s_mov_b32 s0, exec_lo
	v_cmpx_ne_u32_e64 v76, v70
	s_xor_b32 s0, exec_lo, s0
	s_cbranch_execz .LBB60_499
; %bb.494:
	s_mov_b32 s1, exec_lo
	v_cmpx_eq_u32_e32 23, v76
	s_cbranch_execz .LBB60_498
; %bb.495:
	v_cmp_ne_u32_e32 vcc_lo, 23, v70
	s_xor_b32 s12, s16, -1
	s_delay_alu instid0(SALU_CYCLE_1) | instskip(NEXT) | instid1(SALU_CYCLE_1)
	s_and_b32 s13, s12, vcc_lo
	s_and_saveexec_b32 s12, s13
	s_cbranch_execz .LBB60_497
; %bb.496:
	v_ashrrev_i32_e32 v71, 31, v70
	s_delay_alu instid0(VALU_DEP_1)
	v_lshl_add_u64 v[76:77], v[70:71], 2, v[4:5]
	s_clause 0x1
	global_load_b32 v71, v[76:77], off
	global_load_b32 v75, v[4:5], off offset:92
	s_wait_loadcnt 0x1
	global_store_b32 v[4:5], v71, off offset:92
	s_wait_loadcnt 0x0
	global_store_b32 v[76:77], v75, off
.LBB60_497:
	s_wait_xcnt 0x0
	s_or_b32 exec_lo, exec_lo, s12
	v_dual_mov_b32 v76, v70 :: v_dual_mov_b32 v75, v70
.LBB60_498:
	s_or_b32 exec_lo, exec_lo, s1
.LBB60_499:
	s_and_not1_saveexec_b32 s0, s0
	s_cbranch_execz .LBB60_501
; %bb.500:
	v_dual_mov_b32 v70, v36 :: v_dual_mov_b32 v71, v37
	v_dual_mov_b32 v78, v34 :: v_dual_mov_b32 v79, v35
	;; [unrolled: 1-line block ×6, first 2 shown]
	v_mov_b32_e32 v87, v25
	ds_store_2addr_b64 v72, v[70:71], v[78:79] offset0:24 offset1:25
	ds_store_2addr_b64 v72, v[80:81], v[82:83] offset0:26 offset1:27
	;; [unrolled: 1-line block ×3, first 2 shown]
	ds_store_b64 v72, v[66:67] offset:240
.LBB60_501:
	s_or_b32 exec_lo, exec_lo, s0
	s_delay_alu instid0(SALU_CYCLE_1)
	s_mov_b32 s0, exec_lo
	s_wait_storecnt_dscnt 0x0
	s_barrier_signal -1
	s_barrier_wait -1
	v_cmpx_lt_i32_e32 23, v76
	s_cbranch_execz .LBB60_503
; %bb.502:
	v_pk_mul_f32 v[70:71], v[68:69], v[18:19] op_sel:[1,1] op_sel_hi:[0,1]
	s_delay_alu instid0(VALU_DEP_1)
	v_pk_fma_f32 v[78:79], v[68:69], v[18:19], v[70:71] op_sel_hi:[1,0,1] neg_lo:[0,0,1] neg_hi:[0,0,1]
	v_pk_fma_f32 v[80:81], v[68:69], v[18:19], v[70:71] op_sel_hi:[1,0,1]
	ds_load_2addr_b64 v[68:71], v72 offset0:24 offset1:25
	v_dual_mov_b32 v18, v78 :: v_dual_mov_b32 v19, v81
	s_wait_dscnt 0x0
	v_pk_mul_f32 v[82:83], v[68:69], v[80:81] op_sel:[0,1]
	s_delay_alu instid0(VALU_DEP_1) | instskip(SKIP_1) | instid1(VALU_DEP_1)
	v_pk_fma_f32 v[84:85], v[68:69], v[78:79], v[82:83] op_sel:[0,0,1] op_sel_hi:[1,1,0] neg_lo:[0,0,1] neg_hi:[0,0,1]
	v_pk_fma_f32 v[68:69], v[68:69], v[78:79], v[82:83] op_sel:[0,0,1] op_sel_hi:[1,0,0]
	v_mov_b32_e32 v85, v69
	v_pk_mul_f32 v[68:69], v[70:71], v[80:81] op_sel:[0,1]
	s_delay_alu instid0(VALU_DEP_1) | instskip(SKIP_1) | instid1(VALU_DEP_1)
	v_pk_fma_f32 v[82:83], v[70:71], v[78:79], v[68:69] op_sel:[0,0,1] op_sel_hi:[1,1,0] neg_lo:[0,0,1] neg_hi:[0,0,1]
	v_pk_fma_f32 v[68:69], v[70:71], v[78:79], v[68:69] op_sel:[0,0,1] op_sel_hi:[1,0,0]
	v_mov_b32_e32 v83, v69
	ds_load_2addr_b64 v[68:71], v72 offset0:26 offset1:27
	v_pk_add_f32 v[36:37], v[36:37], v[84:85] neg_lo:[0,1] neg_hi:[0,1]
	v_pk_add_f32 v[34:35], v[34:35], v[82:83] neg_lo:[0,1] neg_hi:[0,1]
	s_wait_dscnt 0x0
	v_pk_mul_f32 v[82:83], v[68:69], v[80:81] op_sel:[0,1]
	s_delay_alu instid0(VALU_DEP_1) | instskip(SKIP_2) | instid1(VALU_DEP_2)
	v_pk_fma_f32 v[84:85], v[68:69], v[78:79], v[82:83] op_sel:[0,0,1] op_sel_hi:[1,1,0] neg_lo:[0,0,1] neg_hi:[0,0,1]
	v_pk_fma_f32 v[68:69], v[68:69], v[78:79], v[82:83] op_sel:[0,0,1] op_sel_hi:[1,0,0]
	v_dual_mul_f32 v82, v71, v81 :: v_dual_mov_b32 v68, v71
	v_dual_mov_b32 v85, v69 :: v_dual_mov_b32 v69, v70
	s_delay_alu instid0(VALU_DEP_2) | instskip(SKIP_1) | instid1(VALU_DEP_3)
	v_pk_fma_f32 v[82:83], v[70:71], v[18:19], v[82:83] op_sel_hi:[1,1,0] neg_lo:[0,0,1] neg_hi:[0,0,1]
	v_mul_f32_e32 v70, v71, v78
	v_pk_add_f32 v[20:21], v[20:21], v[84:85] neg_lo:[0,1] neg_hi:[0,1]
	s_delay_alu instid0(VALU_DEP_2) | instskip(NEXT) | instid1(VALU_DEP_1)
	v_pk_fma_f32 v[68:69], v[68:69], v[18:19], v[70:71] op_sel_hi:[1,1,0]
	v_mov_b32_e32 v83, v69
	ds_load_2addr_b64 v[68:71], v72 offset0:28 offset1:29
	v_pk_add_f32 v[32:33], v[32:33], v[82:83] neg_lo:[0,1] neg_hi:[0,1]
	s_wait_dscnt 0x0
	v_pk_mul_f32 v[82:83], v[68:69], v[80:81] op_sel:[0,1]
	s_delay_alu instid0(VALU_DEP_1) | instskip(SKIP_1) | instid1(VALU_DEP_1)
	v_pk_fma_f32 v[84:85], v[68:69], v[78:79], v[82:83] op_sel:[0,0,1] op_sel_hi:[1,1,0] neg_lo:[0,0,1] neg_hi:[0,0,1]
	v_pk_fma_f32 v[68:69], v[68:69], v[78:79], v[82:83] op_sel:[0,0,1] op_sel_hi:[1,0,0]
	v_mov_b32_e32 v85, v69
	v_pk_mul_f32 v[68:69], v[70:71], v[80:81] op_sel:[0,1]
	s_delay_alu instid0(VALU_DEP_1) | instskip(SKIP_1) | instid1(VALU_DEP_1)
	v_pk_fma_f32 v[82:83], v[70:71], v[78:79], v[68:69] op_sel:[0,0,1] op_sel_hi:[1,1,0] neg_lo:[0,0,1] neg_hi:[0,0,1]
	v_pk_fma_f32 v[68:69], v[70:71], v[78:79], v[68:69] op_sel:[0,0,1] op_sel_hi:[1,0,0]
	v_mov_b32_e32 v83, v69
	ds_load_b64 v[68:69], v72 offset:240
	v_pk_add_f32 v[30:31], v[30:31], v[84:85] neg_lo:[0,1] neg_hi:[0,1]
	v_pk_add_f32 v[24:25], v[24:25], v[82:83] neg_lo:[0,1] neg_hi:[0,1]
	s_wait_dscnt 0x0
	v_pk_mul_f32 v[70:71], v[68:69], v[80:81] op_sel:[0,1]
	s_delay_alu instid0(VALU_DEP_1) | instskip(SKIP_1) | instid1(VALU_DEP_1)
	v_pk_fma_f32 v[80:81], v[68:69], v[78:79], v[70:71] op_sel:[0,0,1] op_sel_hi:[1,1,0] neg_lo:[0,0,1] neg_hi:[0,0,1]
	v_pk_fma_f32 v[68:69], v[68:69], v[78:79], v[70:71] op_sel:[0,0,1] op_sel_hi:[1,0,0]
	v_mov_b32_e32 v81, v69
	s_delay_alu instid0(VALU_DEP_1)
	v_pk_add_f32 v[66:67], v[66:67], v[80:81] neg_lo:[0,1] neg_hi:[0,1]
.LBB60_503:
	s_or_b32 exec_lo, exec_lo, s0
	v_lshl_add_u32 v68, v76, 3, v72
	s_barrier_signal -1
	s_barrier_wait -1
	ds_store_b64 v68, v[36:37]
	s_wait_dscnt 0x0
	s_barrier_signal -1
	s_barrier_wait -1
	ds_load_b64 v[68:69], v72 offset:192
	v_mov_b32_e32 v70, 24
	s_cmp_lt_i32 s18, 26
	s_cbranch_scc1 .LBB60_506
; %bb.504:
	v_add3_u32 v71, v73, 0, 0xc8
	v_mov_b32_e32 v70, 24
	s_mov_b32 s0, 25
.LBB60_505:                             ; =>This Inner Loop Header: Depth=1
	ds_load_b64 v[78:79], v71
	s_wait_dscnt 0x1
	v_cmp_gt_f32_e32 vcc_lo, 0, v68
	v_cndmask_b32_e64 v80, v68, -v68, vcc_lo
	v_cmp_gt_f32_e32 vcc_lo, 0, v69
	v_cndmask_b32_e64 v82, v69, -v69, vcc_lo
	s_wait_dscnt 0x0
	v_cmp_gt_f32_e32 vcc_lo, 0, v78
	v_cndmask_b32_e64 v81, v78, -v78, vcc_lo
	v_cmp_gt_f32_e32 vcc_lo, 0, v79
	v_cndmask_b32_e64 v83, v79, -v79, vcc_lo
	s_delay_alu instid0(VALU_DEP_1) | instskip(NEXT) | instid1(VALU_DEP_1)
	v_pk_add_f32 v[80:81], v[80:81], v[82:83]
	v_cmp_lt_f32_e32 vcc_lo, v80, v81
	v_dual_cndmask_b32 v68, v68, v78 :: v_dual_add_nc_u32 v71, 8, v71
	v_cndmask_b32_e32 v69, v69, v79, vcc_lo
	v_cndmask_b32_e64 v70, v70, s0, vcc_lo
	s_add_co_i32 s0, s0, 1
	s_delay_alu instid0(SALU_CYCLE_1)
	s_cmp_lg_u32 s18, s0
	s_cbranch_scc1 .LBB60_505
.LBB60_506:
	s_wait_dscnt 0x0
	v_cmp_eq_f32_e32 vcc_lo, 0, v68
	v_cmp_eq_f32_e64 s0, 0, v69
	s_and_b32 s0, vcc_lo, s0
	s_delay_alu instid0(SALU_CYCLE_1) | instskip(NEXT) | instid1(SALU_CYCLE_1)
	s_and_saveexec_b32 s1, s0
	s_xor_b32 s0, exec_lo, s1
; %bb.507:
	v_cmp_ne_u32_e32 vcc_lo, 0, v74
	v_cndmask_b32_e32 v74, 25, v74, vcc_lo
; %bb.508:
	s_and_not1_saveexec_b32 s0, s0
	s_cbranch_execz .LBB60_514
; %bb.509:
	v_cmp_ngt_f32_e64 s1, |v68|, |v69|
	s_and_saveexec_b32 s12, s1
	s_delay_alu instid0(SALU_CYCLE_1)
	s_xor_b32 s1, exec_lo, s12
	s_cbranch_execz .LBB60_511
; %bb.510:
	v_div_scale_f32 v71, null, v69, v69, v68
	v_div_scale_f32 v79, vcc_lo, v68, v69, v68
	s_delay_alu instid0(VALU_DEP_2) | instskip(SKIP_1) | instid1(TRANS32_DEP_1)
	v_rcp_f32_e32 v77, v71
	v_nop
	v_fma_f32 v78, -v71, v77, 1.0
	s_delay_alu instid0(VALU_DEP_1) | instskip(NEXT) | instid1(VALU_DEP_1)
	v_fmac_f32_e32 v77, v78, v77
	v_mul_f32_e32 v78, v79, v77
	s_delay_alu instid0(VALU_DEP_1) | instskip(NEXT) | instid1(VALU_DEP_1)
	v_fma_f32 v80, -v71, v78, v79
	v_fmac_f32_e32 v78, v80, v77
	s_delay_alu instid0(VALU_DEP_1) | instskip(NEXT) | instid1(VALU_DEP_1)
	v_fma_f32 v71, -v71, v78, v79
	v_div_fmas_f32 v71, v71, v77, v78
	s_delay_alu instid0(VALU_DEP_1) | instskip(NEXT) | instid1(VALU_DEP_1)
	v_div_fixup_f32 v71, v71, v69, v68
	v_fmac_f32_e32 v69, v68, v71
	s_delay_alu instid0(VALU_DEP_1) | instskip(SKIP_1) | instid1(VALU_DEP_2)
	v_div_scale_f32 v68, null, v69, v69, 1.0
	v_div_scale_f32 v79, vcc_lo, 1.0, v69, 1.0
	v_rcp_f32_e32 v77, v68
	v_nop
	s_delay_alu instid0(TRANS32_DEP_1) | instskip(NEXT) | instid1(VALU_DEP_1)
	v_fma_f32 v78, -v68, v77, 1.0
	v_fmac_f32_e32 v77, v78, v77
	s_delay_alu instid0(VALU_DEP_1) | instskip(NEXT) | instid1(VALU_DEP_1)
	v_mul_f32_e32 v78, v79, v77
	v_fma_f32 v80, -v68, v78, v79
	s_delay_alu instid0(VALU_DEP_1) | instskip(NEXT) | instid1(VALU_DEP_1)
	v_fmac_f32_e32 v78, v80, v77
	v_fma_f32 v68, -v68, v78, v79
	s_delay_alu instid0(VALU_DEP_1) | instskip(NEXT) | instid1(VALU_DEP_1)
	v_div_fmas_f32 v68, v68, v77, v78
	v_div_fixup_f32 v69, v68, v69, 1.0
	s_delay_alu instid0(VALU_DEP_1)
	v_mul_f32_e32 v68, v71, v69
	v_xor_b32_e32 v69, 0x80000000, v69
.LBB60_511:
	s_and_not1_saveexec_b32 s1, s1
	s_cbranch_execz .LBB60_513
; %bb.512:
	s_delay_alu instid0(VALU_DEP_1) | instskip(SKIP_1) | instid1(VALU_DEP_2)
	v_div_scale_f32 v71, null, v68, v68, v69
	v_div_scale_f32 v79, vcc_lo, v69, v68, v69
	v_rcp_f32_e32 v77, v71
	v_nop
	s_delay_alu instid0(TRANS32_DEP_1) | instskip(NEXT) | instid1(VALU_DEP_1)
	v_fma_f32 v78, -v71, v77, 1.0
	v_fmac_f32_e32 v77, v78, v77
	s_delay_alu instid0(VALU_DEP_1) | instskip(NEXT) | instid1(VALU_DEP_1)
	v_mul_f32_e32 v78, v79, v77
	v_fma_f32 v80, -v71, v78, v79
	s_delay_alu instid0(VALU_DEP_1) | instskip(NEXT) | instid1(VALU_DEP_1)
	v_fmac_f32_e32 v78, v80, v77
	v_fma_f32 v71, -v71, v78, v79
	s_delay_alu instid0(VALU_DEP_1) | instskip(NEXT) | instid1(VALU_DEP_1)
	v_div_fmas_f32 v71, v71, v77, v78
	v_div_fixup_f32 v71, v71, v68, v69
	s_delay_alu instid0(VALU_DEP_1) | instskip(NEXT) | instid1(VALU_DEP_1)
	v_fmac_f32_e32 v68, v69, v71
	v_div_scale_f32 v69, null, v68, v68, 1.0
	s_delay_alu instid0(VALU_DEP_1) | instskip(SKIP_1) | instid1(TRANS32_DEP_1)
	v_rcp_f32_e32 v77, v69
	v_nop
	v_fma_f32 v78, -v69, v77, 1.0
	s_delay_alu instid0(VALU_DEP_1) | instskip(SKIP_1) | instid1(VALU_DEP_1)
	v_fmac_f32_e32 v77, v78, v77
	v_div_scale_f32 v78, vcc_lo, 1.0, v68, 1.0
	v_mul_f32_e32 v79, v78, v77
	s_delay_alu instid0(VALU_DEP_1) | instskip(NEXT) | instid1(VALU_DEP_1)
	v_fma_f32 v80, -v69, v79, v78
	v_fmac_f32_e32 v79, v80, v77
	s_delay_alu instid0(VALU_DEP_1) | instskip(NEXT) | instid1(VALU_DEP_1)
	v_fma_f32 v69, -v69, v79, v78
	v_div_fmas_f32 v69, v69, v77, v79
	s_delay_alu instid0(VALU_DEP_1) | instskip(NEXT) | instid1(VALU_DEP_1)
	v_div_fixup_f32 v68, v69, v68, 1.0
	v_mul_f32_e64 v69, v71, -v68
.LBB60_513:
	s_or_b32 exec_lo, exec_lo, s1
.LBB60_514:
	s_delay_alu instid0(SALU_CYCLE_1) | instskip(NEXT) | instid1(SALU_CYCLE_1)
	s_or_b32 exec_lo, exec_lo, s0
	s_mov_b32 s0, exec_lo
	v_cmpx_ne_u32_e64 v76, v70
	s_xor_b32 s0, exec_lo, s0
	s_cbranch_execz .LBB60_520
; %bb.515:
	s_mov_b32 s1, exec_lo
	v_cmpx_eq_u32_e32 24, v76
	s_cbranch_execz .LBB60_519
; %bb.516:
	v_cmp_ne_u32_e32 vcc_lo, 24, v70
	s_xor_b32 s12, s16, -1
	s_delay_alu instid0(SALU_CYCLE_1) | instskip(NEXT) | instid1(SALU_CYCLE_1)
	s_and_b32 s13, s12, vcc_lo
	s_and_saveexec_b32 s12, s13
	s_cbranch_execz .LBB60_518
; %bb.517:
	v_ashrrev_i32_e32 v71, 31, v70
	s_delay_alu instid0(VALU_DEP_1)
	v_lshl_add_u64 v[76:77], v[70:71], 2, v[4:5]
	s_clause 0x1
	global_load_b32 v71, v[76:77], off
	global_load_b32 v75, v[4:5], off offset:96
	s_wait_loadcnt 0x1
	global_store_b32 v[4:5], v71, off offset:96
	s_wait_loadcnt 0x0
	global_store_b32 v[76:77], v75, off
.LBB60_518:
	s_wait_xcnt 0x0
	s_or_b32 exec_lo, exec_lo, s12
	v_dual_mov_b32 v76, v70 :: v_dual_mov_b32 v75, v70
.LBB60_519:
	s_or_b32 exec_lo, exec_lo, s1
.LBB60_520:
	s_and_not1_saveexec_b32 s0, s0
	s_cbranch_execz .LBB60_522
; %bb.521:
	v_mov_b32_e32 v76, 24
	ds_store_2addr_b64 v72, v[34:35], v[20:21] offset0:25 offset1:26
	ds_store_2addr_b64 v72, v[32:33], v[30:31] offset0:27 offset1:28
	;; [unrolled: 1-line block ×3, first 2 shown]
.LBB60_522:
	s_or_b32 exec_lo, exec_lo, s0
	s_delay_alu instid0(SALU_CYCLE_1)
	s_mov_b32 s0, exec_lo
	s_wait_storecnt_dscnt 0x0
	s_barrier_signal -1
	s_barrier_wait -1
	v_cmpx_lt_i32_e32 24, v76
	s_cbranch_execz .LBB60_524
; %bb.523:
	v_pk_mul_f32 v[70:71], v[68:69], v[36:37] op_sel:[1,1] op_sel_hi:[0,1]
	s_delay_alu instid0(VALU_DEP_1)
	v_pk_fma_f32 v[78:79], v[68:69], v[36:37], v[70:71] op_sel_hi:[1,0,1] neg_lo:[0,0,1] neg_hi:[0,0,1]
	v_pk_fma_f32 v[80:81], v[68:69], v[36:37], v[70:71] op_sel_hi:[1,0,1]
	ds_load_2addr_b64 v[68:71], v72 offset0:25 offset1:26
	v_dual_mov_b32 v36, v78 :: v_dual_mov_b32 v37, v81
	s_wait_dscnt 0x0
	v_pk_mul_f32 v[82:83], v[68:69], v[80:81] op_sel:[0,1]
	s_delay_alu instid0(VALU_DEP_1) | instskip(SKIP_1) | instid1(VALU_DEP_1)
	v_pk_fma_f32 v[84:85], v[68:69], v[78:79], v[82:83] op_sel:[0,0,1] op_sel_hi:[1,1,0] neg_lo:[0,0,1] neg_hi:[0,0,1]
	v_pk_fma_f32 v[68:69], v[68:69], v[78:79], v[82:83] op_sel:[0,0,1] op_sel_hi:[1,0,0]
	v_mov_b32_e32 v85, v69
	v_pk_mul_f32 v[68:69], v[70:71], v[80:81] op_sel:[0,1]
	s_delay_alu instid0(VALU_DEP_1) | instskip(SKIP_1) | instid1(VALU_DEP_1)
	v_pk_fma_f32 v[82:83], v[70:71], v[78:79], v[68:69] op_sel:[0,0,1] op_sel_hi:[1,1,0] neg_lo:[0,0,1] neg_hi:[0,0,1]
	v_pk_fma_f32 v[68:69], v[70:71], v[78:79], v[68:69] op_sel:[0,0,1] op_sel_hi:[1,0,0]
	v_mov_b32_e32 v83, v69
	ds_load_2addr_b64 v[68:71], v72 offset0:27 offset1:28
	v_pk_add_f32 v[34:35], v[34:35], v[84:85] neg_lo:[0,1] neg_hi:[0,1]
	v_pk_add_f32 v[20:21], v[20:21], v[82:83] neg_lo:[0,1] neg_hi:[0,1]
	s_wait_dscnt 0x0
	v_pk_mul_f32 v[82:83], v[68:69], v[80:81] op_sel:[0,1]
	s_delay_alu instid0(VALU_DEP_1) | instskip(SKIP_2) | instid1(VALU_DEP_2)
	v_pk_fma_f32 v[84:85], v[68:69], v[78:79], v[82:83] op_sel:[0,0,1] op_sel_hi:[1,1,0] neg_lo:[0,0,1] neg_hi:[0,0,1]
	v_pk_fma_f32 v[68:69], v[68:69], v[78:79], v[82:83] op_sel:[0,0,1] op_sel_hi:[1,0,0]
	v_dual_mul_f32 v82, v71, v81 :: v_dual_mov_b32 v68, v71
	v_dual_mov_b32 v85, v69 :: v_dual_mov_b32 v69, v70
	s_delay_alu instid0(VALU_DEP_2) | instskip(SKIP_1) | instid1(VALU_DEP_3)
	v_pk_fma_f32 v[82:83], v[70:71], v[36:37], v[82:83] op_sel_hi:[1,1,0] neg_lo:[0,0,1] neg_hi:[0,0,1]
	v_mul_f32_e32 v70, v71, v78
	v_pk_add_f32 v[32:33], v[32:33], v[84:85] neg_lo:[0,1] neg_hi:[0,1]
	s_delay_alu instid0(VALU_DEP_2) | instskip(NEXT) | instid1(VALU_DEP_1)
	v_pk_fma_f32 v[68:69], v[68:69], v[36:37], v[70:71] op_sel_hi:[1,1,0]
	v_mov_b32_e32 v83, v69
	ds_load_2addr_b64 v[68:71], v72 offset0:29 offset1:30
	v_pk_add_f32 v[30:31], v[30:31], v[82:83] neg_lo:[0,1] neg_hi:[0,1]
	s_wait_dscnt 0x0
	v_pk_mul_f32 v[82:83], v[68:69], v[80:81] op_sel:[0,1]
	v_mul_f32_e32 v80, v71, v81
	s_delay_alu instid0(VALU_DEP_2) | instskip(SKIP_2) | instid1(VALU_DEP_4)
	v_pk_fma_f32 v[84:85], v[68:69], v[78:79], v[82:83] op_sel:[0,0,1] op_sel_hi:[1,1,0] neg_lo:[0,0,1] neg_hi:[0,0,1]
	v_pk_fma_f32 v[68:69], v[68:69], v[78:79], v[82:83] op_sel:[0,0,1] op_sel_hi:[1,0,0]
	v_mov_b32_e32 v68, v71
	v_pk_fma_f32 v[80:81], v[70:71], v[36:37], v[80:81] op_sel_hi:[1,1,0] neg_lo:[0,0,1] neg_hi:[0,0,1]
	s_delay_alu instid0(VALU_DEP_3) | instskip(SKIP_1) | instid1(VALU_DEP_2)
	v_dual_mov_b32 v85, v69 :: v_dual_mov_b32 v69, v70
	v_mul_f32_e32 v70, v71, v78
	v_pk_add_f32 v[24:25], v[24:25], v[84:85] neg_lo:[0,1] neg_hi:[0,1]
	s_delay_alu instid0(VALU_DEP_2) | instskip(NEXT) | instid1(VALU_DEP_1)
	v_pk_fma_f32 v[68:69], v[68:69], v[36:37], v[70:71] op_sel_hi:[1,1,0]
	v_mov_b32_e32 v81, v69
	s_delay_alu instid0(VALU_DEP_1)
	v_pk_add_f32 v[66:67], v[66:67], v[80:81] neg_lo:[0,1] neg_hi:[0,1]
.LBB60_524:
	s_or_b32 exec_lo, exec_lo, s0
	v_lshl_add_u32 v68, v76, 3, v72
	s_barrier_signal -1
	s_barrier_wait -1
	ds_store_b64 v68, v[34:35]
	s_wait_dscnt 0x0
	s_barrier_signal -1
	s_barrier_wait -1
	ds_load_b64 v[68:69], v72 offset:200
	v_mov_b32_e32 v70, 25
	s_cmp_lt_i32 s18, 27
	s_cbranch_scc1 .LBB60_527
; %bb.525:
	v_add3_u32 v71, v73, 0, 0xd0
	v_mov_b32_e32 v70, 25
	s_mov_b32 s0, 26
.LBB60_526:                             ; =>This Inner Loop Header: Depth=1
	ds_load_b64 v[78:79], v71
	s_wait_dscnt 0x1
	v_cmp_gt_f32_e32 vcc_lo, 0, v68
	v_cndmask_b32_e64 v80, v68, -v68, vcc_lo
	v_cmp_gt_f32_e32 vcc_lo, 0, v69
	v_cndmask_b32_e64 v82, v69, -v69, vcc_lo
	s_wait_dscnt 0x0
	v_cmp_gt_f32_e32 vcc_lo, 0, v78
	v_cndmask_b32_e64 v81, v78, -v78, vcc_lo
	v_cmp_gt_f32_e32 vcc_lo, 0, v79
	v_cndmask_b32_e64 v83, v79, -v79, vcc_lo
	s_delay_alu instid0(VALU_DEP_1) | instskip(NEXT) | instid1(VALU_DEP_1)
	v_pk_add_f32 v[80:81], v[80:81], v[82:83]
	v_cmp_lt_f32_e32 vcc_lo, v80, v81
	v_dual_cndmask_b32 v68, v68, v78 :: v_dual_add_nc_u32 v71, 8, v71
	v_cndmask_b32_e32 v69, v69, v79, vcc_lo
	v_cndmask_b32_e64 v70, v70, s0, vcc_lo
	s_add_co_i32 s0, s0, 1
	s_delay_alu instid0(SALU_CYCLE_1)
	s_cmp_lg_u32 s18, s0
	s_cbranch_scc1 .LBB60_526
.LBB60_527:
	s_wait_dscnt 0x0
	v_cmp_eq_f32_e32 vcc_lo, 0, v68
	v_cmp_eq_f32_e64 s0, 0, v69
	s_and_b32 s0, vcc_lo, s0
	s_delay_alu instid0(SALU_CYCLE_1) | instskip(NEXT) | instid1(SALU_CYCLE_1)
	s_and_saveexec_b32 s1, s0
	s_xor_b32 s0, exec_lo, s1
; %bb.528:
	v_cmp_ne_u32_e32 vcc_lo, 0, v74
	v_cndmask_b32_e32 v74, 26, v74, vcc_lo
; %bb.529:
	s_and_not1_saveexec_b32 s0, s0
	s_cbranch_execz .LBB60_535
; %bb.530:
	v_cmp_ngt_f32_e64 s1, |v68|, |v69|
	s_and_saveexec_b32 s12, s1
	s_delay_alu instid0(SALU_CYCLE_1)
	s_xor_b32 s1, exec_lo, s12
	s_cbranch_execz .LBB60_532
; %bb.531:
	v_div_scale_f32 v71, null, v69, v69, v68
	v_div_scale_f32 v79, vcc_lo, v68, v69, v68
	s_delay_alu instid0(VALU_DEP_2) | instskip(SKIP_1) | instid1(TRANS32_DEP_1)
	v_rcp_f32_e32 v77, v71
	v_nop
	v_fma_f32 v78, -v71, v77, 1.0
	s_delay_alu instid0(VALU_DEP_1) | instskip(NEXT) | instid1(VALU_DEP_1)
	v_fmac_f32_e32 v77, v78, v77
	v_mul_f32_e32 v78, v79, v77
	s_delay_alu instid0(VALU_DEP_1) | instskip(NEXT) | instid1(VALU_DEP_1)
	v_fma_f32 v80, -v71, v78, v79
	v_fmac_f32_e32 v78, v80, v77
	s_delay_alu instid0(VALU_DEP_1) | instskip(NEXT) | instid1(VALU_DEP_1)
	v_fma_f32 v71, -v71, v78, v79
	v_div_fmas_f32 v71, v71, v77, v78
	s_delay_alu instid0(VALU_DEP_1) | instskip(NEXT) | instid1(VALU_DEP_1)
	v_div_fixup_f32 v71, v71, v69, v68
	v_fmac_f32_e32 v69, v68, v71
	s_delay_alu instid0(VALU_DEP_1) | instskip(SKIP_1) | instid1(VALU_DEP_2)
	v_div_scale_f32 v68, null, v69, v69, 1.0
	v_div_scale_f32 v79, vcc_lo, 1.0, v69, 1.0
	v_rcp_f32_e32 v77, v68
	v_nop
	s_delay_alu instid0(TRANS32_DEP_1) | instskip(NEXT) | instid1(VALU_DEP_1)
	v_fma_f32 v78, -v68, v77, 1.0
	v_fmac_f32_e32 v77, v78, v77
	s_delay_alu instid0(VALU_DEP_1) | instskip(NEXT) | instid1(VALU_DEP_1)
	v_mul_f32_e32 v78, v79, v77
	v_fma_f32 v80, -v68, v78, v79
	s_delay_alu instid0(VALU_DEP_1) | instskip(NEXT) | instid1(VALU_DEP_1)
	v_fmac_f32_e32 v78, v80, v77
	v_fma_f32 v68, -v68, v78, v79
	s_delay_alu instid0(VALU_DEP_1) | instskip(NEXT) | instid1(VALU_DEP_1)
	v_div_fmas_f32 v68, v68, v77, v78
	v_div_fixup_f32 v69, v68, v69, 1.0
	s_delay_alu instid0(VALU_DEP_1)
	v_mul_f32_e32 v68, v71, v69
	v_xor_b32_e32 v69, 0x80000000, v69
.LBB60_532:
	s_and_not1_saveexec_b32 s1, s1
	s_cbranch_execz .LBB60_534
; %bb.533:
	s_delay_alu instid0(VALU_DEP_1) | instskip(SKIP_1) | instid1(VALU_DEP_2)
	v_div_scale_f32 v71, null, v68, v68, v69
	v_div_scale_f32 v79, vcc_lo, v69, v68, v69
	v_rcp_f32_e32 v77, v71
	v_nop
	s_delay_alu instid0(TRANS32_DEP_1) | instskip(NEXT) | instid1(VALU_DEP_1)
	v_fma_f32 v78, -v71, v77, 1.0
	v_fmac_f32_e32 v77, v78, v77
	s_delay_alu instid0(VALU_DEP_1) | instskip(NEXT) | instid1(VALU_DEP_1)
	v_mul_f32_e32 v78, v79, v77
	v_fma_f32 v80, -v71, v78, v79
	s_delay_alu instid0(VALU_DEP_1) | instskip(NEXT) | instid1(VALU_DEP_1)
	v_fmac_f32_e32 v78, v80, v77
	v_fma_f32 v71, -v71, v78, v79
	s_delay_alu instid0(VALU_DEP_1) | instskip(NEXT) | instid1(VALU_DEP_1)
	v_div_fmas_f32 v71, v71, v77, v78
	v_div_fixup_f32 v71, v71, v68, v69
	s_delay_alu instid0(VALU_DEP_1) | instskip(NEXT) | instid1(VALU_DEP_1)
	v_fmac_f32_e32 v68, v69, v71
	v_div_scale_f32 v69, null, v68, v68, 1.0
	s_delay_alu instid0(VALU_DEP_1) | instskip(SKIP_1) | instid1(TRANS32_DEP_1)
	v_rcp_f32_e32 v77, v69
	v_nop
	v_fma_f32 v78, -v69, v77, 1.0
	s_delay_alu instid0(VALU_DEP_1) | instskip(SKIP_1) | instid1(VALU_DEP_1)
	v_fmac_f32_e32 v77, v78, v77
	v_div_scale_f32 v78, vcc_lo, 1.0, v68, 1.0
	v_mul_f32_e32 v79, v78, v77
	s_delay_alu instid0(VALU_DEP_1) | instskip(NEXT) | instid1(VALU_DEP_1)
	v_fma_f32 v80, -v69, v79, v78
	v_fmac_f32_e32 v79, v80, v77
	s_delay_alu instid0(VALU_DEP_1) | instskip(NEXT) | instid1(VALU_DEP_1)
	v_fma_f32 v69, -v69, v79, v78
	v_div_fmas_f32 v69, v69, v77, v79
	s_delay_alu instid0(VALU_DEP_1) | instskip(NEXT) | instid1(VALU_DEP_1)
	v_div_fixup_f32 v68, v69, v68, 1.0
	v_mul_f32_e64 v69, v71, -v68
.LBB60_534:
	s_or_b32 exec_lo, exec_lo, s1
.LBB60_535:
	s_delay_alu instid0(SALU_CYCLE_1) | instskip(NEXT) | instid1(SALU_CYCLE_1)
	s_or_b32 exec_lo, exec_lo, s0
	s_mov_b32 s0, exec_lo
	v_cmpx_ne_u32_e64 v76, v70
	s_xor_b32 s0, exec_lo, s0
	s_cbranch_execz .LBB60_541
; %bb.536:
	s_mov_b32 s1, exec_lo
	v_cmpx_eq_u32_e32 25, v76
	s_cbranch_execz .LBB60_540
; %bb.537:
	v_cmp_ne_u32_e32 vcc_lo, 25, v70
	s_xor_b32 s12, s16, -1
	s_delay_alu instid0(SALU_CYCLE_1) | instskip(NEXT) | instid1(SALU_CYCLE_1)
	s_and_b32 s13, s12, vcc_lo
	s_and_saveexec_b32 s12, s13
	s_cbranch_execz .LBB60_539
; %bb.538:
	v_ashrrev_i32_e32 v71, 31, v70
	s_delay_alu instid0(VALU_DEP_1)
	v_lshl_add_u64 v[76:77], v[70:71], 2, v[4:5]
	s_clause 0x1
	global_load_b32 v71, v[76:77], off
	global_load_b32 v75, v[4:5], off offset:100
	s_wait_loadcnt 0x1
	global_store_b32 v[4:5], v71, off offset:100
	s_wait_loadcnt 0x0
	global_store_b32 v[76:77], v75, off
.LBB60_539:
	s_wait_xcnt 0x0
	s_or_b32 exec_lo, exec_lo, s12
	v_dual_mov_b32 v76, v70 :: v_dual_mov_b32 v75, v70
.LBB60_540:
	s_or_b32 exec_lo, exec_lo, s1
.LBB60_541:
	s_and_not1_saveexec_b32 s0, s0
	s_cbranch_execz .LBB60_543
; %bb.542:
	v_dual_mov_b32 v70, v20 :: v_dual_mov_b32 v71, v21
	v_dual_mov_b32 v78, v32 :: v_dual_mov_b32 v79, v33
	;; [unrolled: 1-line block ×4, first 2 shown]
	v_mov_b32_e32 v83, v25
	ds_store_2addr_b64 v72, v[70:71], v[78:79] offset0:26 offset1:27
	ds_store_2addr_b64 v72, v[80:81], v[82:83] offset0:28 offset1:29
	ds_store_b64 v72, v[66:67] offset:240
.LBB60_543:
	s_or_b32 exec_lo, exec_lo, s0
	s_delay_alu instid0(SALU_CYCLE_1)
	s_mov_b32 s0, exec_lo
	s_wait_storecnt_dscnt 0x0
	s_barrier_signal -1
	s_barrier_wait -1
	v_cmpx_lt_i32_e32 25, v76
	s_cbranch_execz .LBB60_545
; %bb.544:
	v_pk_mul_f32 v[70:71], v[68:69], v[34:35] op_sel:[1,1] op_sel_hi:[0,1]
	s_delay_alu instid0(VALU_DEP_1)
	v_pk_fma_f32 v[78:79], v[68:69], v[34:35], v[70:71] op_sel_hi:[1,0,1] neg_lo:[0,0,1] neg_hi:[0,0,1]
	v_pk_fma_f32 v[80:81], v[68:69], v[34:35], v[70:71] op_sel_hi:[1,0,1]
	ds_load_2addr_b64 v[68:71], v72 offset0:26 offset1:27
	v_dual_mov_b32 v34, v78 :: v_dual_mov_b32 v35, v81
	s_wait_dscnt 0x0
	v_pk_mul_f32 v[82:83], v[68:69], v[80:81] op_sel:[0,1]
	s_delay_alu instid0(VALU_DEP_1) | instskip(SKIP_1) | instid1(VALU_DEP_1)
	v_pk_fma_f32 v[84:85], v[68:69], v[78:79], v[82:83] op_sel:[0,0,1] op_sel_hi:[1,1,0] neg_lo:[0,0,1] neg_hi:[0,0,1]
	v_pk_fma_f32 v[68:69], v[68:69], v[78:79], v[82:83] op_sel:[0,0,1] op_sel_hi:[1,0,0]
	v_mov_b32_e32 v85, v69
	v_pk_mul_f32 v[68:69], v[70:71], v[80:81] op_sel:[0,1]
	s_delay_alu instid0(VALU_DEP_1) | instskip(SKIP_1) | instid1(VALU_DEP_1)
	v_pk_fma_f32 v[82:83], v[70:71], v[78:79], v[68:69] op_sel:[0,0,1] op_sel_hi:[1,1,0] neg_lo:[0,0,1] neg_hi:[0,0,1]
	v_pk_fma_f32 v[68:69], v[70:71], v[78:79], v[68:69] op_sel:[0,0,1] op_sel_hi:[1,0,0]
	v_mov_b32_e32 v83, v69
	ds_load_2addr_b64 v[68:71], v72 offset0:28 offset1:29
	v_pk_add_f32 v[20:21], v[20:21], v[84:85] neg_lo:[0,1] neg_hi:[0,1]
	v_pk_add_f32 v[32:33], v[32:33], v[82:83] neg_lo:[0,1] neg_hi:[0,1]
	s_wait_dscnt 0x0
	v_pk_mul_f32 v[82:83], v[68:69], v[80:81] op_sel:[0,1]
	s_delay_alu instid0(VALU_DEP_1) | instskip(SKIP_2) | instid1(VALU_DEP_2)
	v_pk_fma_f32 v[84:85], v[68:69], v[78:79], v[82:83] op_sel:[0,0,1] op_sel_hi:[1,1,0] neg_lo:[0,0,1] neg_hi:[0,0,1]
	v_pk_fma_f32 v[68:69], v[68:69], v[78:79], v[82:83] op_sel:[0,0,1] op_sel_hi:[1,0,0]
	v_dual_mul_f32 v82, v71, v81 :: v_dual_mov_b32 v68, v71
	v_dual_mov_b32 v85, v69 :: v_dual_mov_b32 v69, v70
	s_delay_alu instid0(VALU_DEP_2) | instskip(SKIP_1) | instid1(VALU_DEP_3)
	v_pk_fma_f32 v[82:83], v[70:71], v[34:35], v[82:83] op_sel_hi:[1,1,0] neg_lo:[0,0,1] neg_hi:[0,0,1]
	v_mul_f32_e32 v70, v71, v78
	v_pk_add_f32 v[30:31], v[30:31], v[84:85] neg_lo:[0,1] neg_hi:[0,1]
	s_delay_alu instid0(VALU_DEP_2) | instskip(NEXT) | instid1(VALU_DEP_1)
	v_pk_fma_f32 v[68:69], v[68:69], v[34:35], v[70:71] op_sel_hi:[1,1,0]
	v_mov_b32_e32 v83, v69
	ds_load_b64 v[68:69], v72 offset:240
	v_pk_add_f32 v[24:25], v[24:25], v[82:83] neg_lo:[0,1] neg_hi:[0,1]
	s_wait_dscnt 0x0
	v_pk_mul_f32 v[70:71], v[68:69], v[80:81] op_sel:[0,1]
	s_delay_alu instid0(VALU_DEP_1) | instskip(SKIP_1) | instid1(VALU_DEP_1)
	v_pk_fma_f32 v[80:81], v[68:69], v[78:79], v[70:71] op_sel:[0,0,1] op_sel_hi:[1,1,0] neg_lo:[0,0,1] neg_hi:[0,0,1]
	v_pk_fma_f32 v[68:69], v[68:69], v[78:79], v[70:71] op_sel:[0,0,1] op_sel_hi:[1,0,0]
	v_mov_b32_e32 v81, v69
	s_delay_alu instid0(VALU_DEP_1)
	v_pk_add_f32 v[66:67], v[66:67], v[80:81] neg_lo:[0,1] neg_hi:[0,1]
.LBB60_545:
	s_or_b32 exec_lo, exec_lo, s0
	v_lshl_add_u32 v68, v76, 3, v72
	s_barrier_signal -1
	s_barrier_wait -1
	ds_store_b64 v68, v[20:21]
	s_wait_dscnt 0x0
	s_barrier_signal -1
	s_barrier_wait -1
	ds_load_b64 v[68:69], v72 offset:208
	v_mov_b32_e32 v70, 26
	s_cmp_lt_i32 s18, 28
	s_cbranch_scc1 .LBB60_548
; %bb.546:
	v_add3_u32 v71, v73, 0, 0xd8
	v_mov_b32_e32 v70, 26
	s_mov_b32 s0, 27
.LBB60_547:                             ; =>This Inner Loop Header: Depth=1
	ds_load_b64 v[78:79], v71
	s_wait_dscnt 0x1
	v_cmp_gt_f32_e32 vcc_lo, 0, v68
	v_cndmask_b32_e64 v80, v68, -v68, vcc_lo
	v_cmp_gt_f32_e32 vcc_lo, 0, v69
	v_cndmask_b32_e64 v82, v69, -v69, vcc_lo
	s_wait_dscnt 0x0
	v_cmp_gt_f32_e32 vcc_lo, 0, v78
	v_cndmask_b32_e64 v81, v78, -v78, vcc_lo
	v_cmp_gt_f32_e32 vcc_lo, 0, v79
	v_cndmask_b32_e64 v83, v79, -v79, vcc_lo
	s_delay_alu instid0(VALU_DEP_1) | instskip(NEXT) | instid1(VALU_DEP_1)
	v_pk_add_f32 v[80:81], v[80:81], v[82:83]
	v_cmp_lt_f32_e32 vcc_lo, v80, v81
	v_dual_cndmask_b32 v68, v68, v78 :: v_dual_add_nc_u32 v71, 8, v71
	v_cndmask_b32_e32 v69, v69, v79, vcc_lo
	v_cndmask_b32_e64 v70, v70, s0, vcc_lo
	s_add_co_i32 s0, s0, 1
	s_delay_alu instid0(SALU_CYCLE_1)
	s_cmp_lg_u32 s18, s0
	s_cbranch_scc1 .LBB60_547
.LBB60_548:
	s_wait_dscnt 0x0
	v_cmp_eq_f32_e32 vcc_lo, 0, v68
	v_cmp_eq_f32_e64 s0, 0, v69
	s_and_b32 s0, vcc_lo, s0
	s_delay_alu instid0(SALU_CYCLE_1) | instskip(NEXT) | instid1(SALU_CYCLE_1)
	s_and_saveexec_b32 s1, s0
	s_xor_b32 s0, exec_lo, s1
; %bb.549:
	v_cmp_ne_u32_e32 vcc_lo, 0, v74
	v_cndmask_b32_e32 v74, 27, v74, vcc_lo
; %bb.550:
	s_and_not1_saveexec_b32 s0, s0
	s_cbranch_execz .LBB60_556
; %bb.551:
	v_cmp_ngt_f32_e64 s1, |v68|, |v69|
	s_and_saveexec_b32 s12, s1
	s_delay_alu instid0(SALU_CYCLE_1)
	s_xor_b32 s1, exec_lo, s12
	s_cbranch_execz .LBB60_553
; %bb.552:
	v_div_scale_f32 v71, null, v69, v69, v68
	v_div_scale_f32 v79, vcc_lo, v68, v69, v68
	s_delay_alu instid0(VALU_DEP_2) | instskip(SKIP_1) | instid1(TRANS32_DEP_1)
	v_rcp_f32_e32 v77, v71
	v_nop
	v_fma_f32 v78, -v71, v77, 1.0
	s_delay_alu instid0(VALU_DEP_1) | instskip(NEXT) | instid1(VALU_DEP_1)
	v_fmac_f32_e32 v77, v78, v77
	v_mul_f32_e32 v78, v79, v77
	s_delay_alu instid0(VALU_DEP_1) | instskip(NEXT) | instid1(VALU_DEP_1)
	v_fma_f32 v80, -v71, v78, v79
	v_fmac_f32_e32 v78, v80, v77
	s_delay_alu instid0(VALU_DEP_1) | instskip(NEXT) | instid1(VALU_DEP_1)
	v_fma_f32 v71, -v71, v78, v79
	v_div_fmas_f32 v71, v71, v77, v78
	s_delay_alu instid0(VALU_DEP_1) | instskip(NEXT) | instid1(VALU_DEP_1)
	v_div_fixup_f32 v71, v71, v69, v68
	v_fmac_f32_e32 v69, v68, v71
	s_delay_alu instid0(VALU_DEP_1) | instskip(SKIP_1) | instid1(VALU_DEP_2)
	v_div_scale_f32 v68, null, v69, v69, 1.0
	v_div_scale_f32 v79, vcc_lo, 1.0, v69, 1.0
	v_rcp_f32_e32 v77, v68
	v_nop
	s_delay_alu instid0(TRANS32_DEP_1) | instskip(NEXT) | instid1(VALU_DEP_1)
	v_fma_f32 v78, -v68, v77, 1.0
	v_fmac_f32_e32 v77, v78, v77
	s_delay_alu instid0(VALU_DEP_1) | instskip(NEXT) | instid1(VALU_DEP_1)
	v_mul_f32_e32 v78, v79, v77
	v_fma_f32 v80, -v68, v78, v79
	s_delay_alu instid0(VALU_DEP_1) | instskip(NEXT) | instid1(VALU_DEP_1)
	v_fmac_f32_e32 v78, v80, v77
	v_fma_f32 v68, -v68, v78, v79
	s_delay_alu instid0(VALU_DEP_1) | instskip(NEXT) | instid1(VALU_DEP_1)
	v_div_fmas_f32 v68, v68, v77, v78
	v_div_fixup_f32 v69, v68, v69, 1.0
	s_delay_alu instid0(VALU_DEP_1)
	v_mul_f32_e32 v68, v71, v69
	v_xor_b32_e32 v69, 0x80000000, v69
.LBB60_553:
	s_and_not1_saveexec_b32 s1, s1
	s_cbranch_execz .LBB60_555
; %bb.554:
	s_delay_alu instid0(VALU_DEP_1) | instskip(SKIP_1) | instid1(VALU_DEP_2)
	v_div_scale_f32 v71, null, v68, v68, v69
	v_div_scale_f32 v79, vcc_lo, v69, v68, v69
	v_rcp_f32_e32 v77, v71
	v_nop
	s_delay_alu instid0(TRANS32_DEP_1) | instskip(NEXT) | instid1(VALU_DEP_1)
	v_fma_f32 v78, -v71, v77, 1.0
	v_fmac_f32_e32 v77, v78, v77
	s_delay_alu instid0(VALU_DEP_1) | instskip(NEXT) | instid1(VALU_DEP_1)
	v_mul_f32_e32 v78, v79, v77
	v_fma_f32 v80, -v71, v78, v79
	s_delay_alu instid0(VALU_DEP_1) | instskip(NEXT) | instid1(VALU_DEP_1)
	v_fmac_f32_e32 v78, v80, v77
	v_fma_f32 v71, -v71, v78, v79
	s_delay_alu instid0(VALU_DEP_1) | instskip(NEXT) | instid1(VALU_DEP_1)
	v_div_fmas_f32 v71, v71, v77, v78
	v_div_fixup_f32 v71, v71, v68, v69
	s_delay_alu instid0(VALU_DEP_1) | instskip(NEXT) | instid1(VALU_DEP_1)
	v_fmac_f32_e32 v68, v69, v71
	v_div_scale_f32 v69, null, v68, v68, 1.0
	s_delay_alu instid0(VALU_DEP_1) | instskip(SKIP_1) | instid1(TRANS32_DEP_1)
	v_rcp_f32_e32 v77, v69
	v_nop
	v_fma_f32 v78, -v69, v77, 1.0
	s_delay_alu instid0(VALU_DEP_1) | instskip(SKIP_1) | instid1(VALU_DEP_1)
	v_fmac_f32_e32 v77, v78, v77
	v_div_scale_f32 v78, vcc_lo, 1.0, v68, 1.0
	v_mul_f32_e32 v79, v78, v77
	s_delay_alu instid0(VALU_DEP_1) | instskip(NEXT) | instid1(VALU_DEP_1)
	v_fma_f32 v80, -v69, v79, v78
	v_fmac_f32_e32 v79, v80, v77
	s_delay_alu instid0(VALU_DEP_1) | instskip(NEXT) | instid1(VALU_DEP_1)
	v_fma_f32 v69, -v69, v79, v78
	v_div_fmas_f32 v69, v69, v77, v79
	s_delay_alu instid0(VALU_DEP_1) | instskip(NEXT) | instid1(VALU_DEP_1)
	v_div_fixup_f32 v68, v69, v68, 1.0
	v_mul_f32_e64 v69, v71, -v68
.LBB60_555:
	s_or_b32 exec_lo, exec_lo, s1
.LBB60_556:
	s_delay_alu instid0(SALU_CYCLE_1) | instskip(NEXT) | instid1(SALU_CYCLE_1)
	s_or_b32 exec_lo, exec_lo, s0
	s_mov_b32 s0, exec_lo
	v_cmpx_ne_u32_e64 v76, v70
	s_xor_b32 s0, exec_lo, s0
	s_cbranch_execz .LBB60_562
; %bb.557:
	s_mov_b32 s1, exec_lo
	v_cmpx_eq_u32_e32 26, v76
	s_cbranch_execz .LBB60_561
; %bb.558:
	v_cmp_ne_u32_e32 vcc_lo, 26, v70
	s_xor_b32 s12, s16, -1
	s_delay_alu instid0(SALU_CYCLE_1) | instskip(NEXT) | instid1(SALU_CYCLE_1)
	s_and_b32 s13, s12, vcc_lo
	s_and_saveexec_b32 s12, s13
	s_cbranch_execz .LBB60_560
; %bb.559:
	v_ashrrev_i32_e32 v71, 31, v70
	s_delay_alu instid0(VALU_DEP_1)
	v_lshl_add_u64 v[76:77], v[70:71], 2, v[4:5]
	s_clause 0x1
	global_load_b32 v71, v[76:77], off
	global_load_b32 v75, v[4:5], off offset:104
	s_wait_loadcnt 0x1
	global_store_b32 v[4:5], v71, off offset:104
	s_wait_loadcnt 0x0
	global_store_b32 v[76:77], v75, off
.LBB60_560:
	s_wait_xcnt 0x0
	s_or_b32 exec_lo, exec_lo, s12
	v_dual_mov_b32 v76, v70 :: v_dual_mov_b32 v75, v70
.LBB60_561:
	s_or_b32 exec_lo, exec_lo, s1
.LBB60_562:
	s_and_not1_saveexec_b32 s0, s0
	s_cbranch_execz .LBB60_564
; %bb.563:
	v_mov_b32_e32 v76, 26
	ds_store_2addr_b64 v72, v[32:33], v[30:31] offset0:27 offset1:28
	ds_store_2addr_b64 v72, v[24:25], v[66:67] offset0:29 offset1:30
.LBB60_564:
	s_or_b32 exec_lo, exec_lo, s0
	s_delay_alu instid0(SALU_CYCLE_1)
	s_mov_b32 s0, exec_lo
	s_wait_storecnt_dscnt 0x0
	s_barrier_signal -1
	s_barrier_wait -1
	v_cmpx_lt_i32_e32 26, v76
	s_cbranch_execz .LBB60_566
; %bb.565:
	ds_load_2addr_b64 v[78:81], v72 offset0:27 offset1:28
	ds_load_2addr_b64 v[82:85], v72 offset0:29 offset1:30
	v_pk_mul_f32 v[70:71], v[68:69], v[20:21] op_sel:[1,1] op_sel_hi:[0,1]
	s_delay_alu instid0(VALU_DEP_1) | instskip(SKIP_1) | instid1(VALU_DEP_1)
	v_pk_fma_f32 v[86:87], v[68:69], v[20:21], v[70:71] op_sel_hi:[1,0,1] neg_lo:[0,0,1] neg_hi:[0,0,1]
	v_pk_fma_f32 v[68:69], v[68:69], v[20:21], v[70:71] op_sel_hi:[1,0,1]
	v_dual_mov_b32 v20, v86 :: v_dual_mov_b32 v21, v69
	s_wait_dscnt 0x1
	s_delay_alu instid0(VALU_DEP_2)
	v_pk_mul_f32 v[70:71], v[78:79], v[68:69] op_sel:[0,1]
	s_wait_dscnt 0x0
	v_mov_b32_e32 v88, v85
	v_pk_mul_f32 v[90:91], v[80:81], v[68:69] op_sel:[0,1]
	v_pk_mul_f32 v[92:93], v[82:83], v[68:69] op_sel:[0,1]
	v_pk_fma_f32 v[94:95], v[78:79], v[86:87], v[70:71] op_sel:[0,0,1] op_sel_hi:[1,1,0] neg_lo:[0,0,1] neg_hi:[0,0,1]
	v_pk_fma_f32 v[70:71], v[78:79], v[86:87], v[70:71] op_sel:[0,0,1] op_sel_hi:[1,0,0]
	s_delay_alu instid0(VALU_DEP_1) | instskip(NEXT) | instid1(VALU_DEP_1)
	v_dual_mov_b32 v89, v84 :: v_dual_mov_b32 v95, v71
	v_pk_mul_f32 v[78:79], v[88:89], v[68:69] op_sel:[0,1]
	v_pk_fma_f32 v[88:89], v[80:81], v[86:87], v[90:91] op_sel:[0,0,1] op_sel_hi:[1,0,0]
	v_pk_fma_f32 v[80:81], v[80:81], v[86:87], v[90:91] op_sel:[0,0,1] op_sel_hi:[1,1,0] neg_lo:[0,0,1] neg_hi:[0,0,1]
	v_pk_fma_f32 v[90:91], v[82:83], v[86:87], v[92:93] op_sel:[0,0,1] op_sel_hi:[1,0,0]
	v_pk_fma_f32 v[82:83], v[82:83], v[86:87], v[92:93] op_sel:[0,0,1] op_sel_hi:[1,1,0] neg_lo:[0,0,1] neg_hi:[0,0,1]
	v_pk_fma_f32 v[70:71], v[84:85], v[86:87], v[78:79] op_sel_hi:[1,0,1]
	v_pk_fma_f32 v[78:79], v[84:85], v[86:87], v[78:79] neg_lo:[0,0,1] neg_hi:[0,0,1]
	s_delay_alu instid0(VALU_DEP_4) | instskip(SKIP_1) | instid1(VALU_DEP_4)
	v_dual_mov_b32 v81, v89 :: v_dual_mov_b32 v83, v91
	v_pk_add_f32 v[32:33], v[32:33], v[94:95] neg_lo:[0,1] neg_hi:[0,1]
	v_mov_b32_e32 v79, v71
	s_delay_alu instid0(VALU_DEP_3) | instskip(NEXT) | instid1(VALU_DEP_4)
	v_pk_add_f32 v[30:31], v[30:31], v[80:81] neg_lo:[0,1] neg_hi:[0,1]
	v_pk_add_f32 v[24:25], v[24:25], v[82:83] neg_lo:[0,1] neg_hi:[0,1]
	s_delay_alu instid0(VALU_DEP_3)
	v_pk_add_f32 v[66:67], v[66:67], v[78:79] neg_lo:[0,1] neg_hi:[0,1]
.LBB60_566:
	s_or_b32 exec_lo, exec_lo, s0
	v_lshl_add_u32 v68, v76, 3, v72
	s_barrier_signal -1
	s_barrier_wait -1
	ds_store_b64 v68, v[32:33]
	s_wait_dscnt 0x0
	s_barrier_signal -1
	s_barrier_wait -1
	ds_load_b64 v[68:69], v72 offset:216
	v_mov_b32_e32 v70, 27
	s_cmp_lt_i32 s18, 29
	s_cbranch_scc1 .LBB60_569
; %bb.567:
	v_add3_u32 v71, v73, 0, 0xe0
	v_mov_b32_e32 v70, 27
	s_mov_b32 s0, 28
.LBB60_568:                             ; =>This Inner Loop Header: Depth=1
	ds_load_b64 v[78:79], v71
	s_wait_dscnt 0x1
	v_cmp_gt_f32_e32 vcc_lo, 0, v68
	v_cndmask_b32_e64 v80, v68, -v68, vcc_lo
	v_cmp_gt_f32_e32 vcc_lo, 0, v69
	v_cndmask_b32_e64 v82, v69, -v69, vcc_lo
	s_wait_dscnt 0x0
	v_cmp_gt_f32_e32 vcc_lo, 0, v78
	v_cndmask_b32_e64 v81, v78, -v78, vcc_lo
	v_cmp_gt_f32_e32 vcc_lo, 0, v79
	v_cndmask_b32_e64 v83, v79, -v79, vcc_lo
	s_delay_alu instid0(VALU_DEP_1) | instskip(NEXT) | instid1(VALU_DEP_1)
	v_pk_add_f32 v[80:81], v[80:81], v[82:83]
	v_cmp_lt_f32_e32 vcc_lo, v80, v81
	v_dual_cndmask_b32 v68, v68, v78 :: v_dual_add_nc_u32 v71, 8, v71
	v_cndmask_b32_e32 v69, v69, v79, vcc_lo
	v_cndmask_b32_e64 v70, v70, s0, vcc_lo
	s_add_co_i32 s0, s0, 1
	s_delay_alu instid0(SALU_CYCLE_1)
	s_cmp_lg_u32 s18, s0
	s_cbranch_scc1 .LBB60_568
.LBB60_569:
	s_wait_dscnt 0x0
	v_cmp_eq_f32_e32 vcc_lo, 0, v68
	v_cmp_eq_f32_e64 s0, 0, v69
	s_and_b32 s0, vcc_lo, s0
	s_delay_alu instid0(SALU_CYCLE_1) | instskip(NEXT) | instid1(SALU_CYCLE_1)
	s_and_saveexec_b32 s1, s0
	s_xor_b32 s0, exec_lo, s1
; %bb.570:
	v_cmp_ne_u32_e32 vcc_lo, 0, v74
	v_cndmask_b32_e32 v74, 28, v74, vcc_lo
; %bb.571:
	s_and_not1_saveexec_b32 s0, s0
	s_cbranch_execz .LBB60_577
; %bb.572:
	v_cmp_ngt_f32_e64 s1, |v68|, |v69|
	s_and_saveexec_b32 s12, s1
	s_delay_alu instid0(SALU_CYCLE_1)
	s_xor_b32 s1, exec_lo, s12
	s_cbranch_execz .LBB60_574
; %bb.573:
	v_div_scale_f32 v71, null, v69, v69, v68
	v_div_scale_f32 v79, vcc_lo, v68, v69, v68
	s_delay_alu instid0(VALU_DEP_2) | instskip(SKIP_1) | instid1(TRANS32_DEP_1)
	v_rcp_f32_e32 v77, v71
	v_nop
	v_fma_f32 v78, -v71, v77, 1.0
	s_delay_alu instid0(VALU_DEP_1) | instskip(NEXT) | instid1(VALU_DEP_1)
	v_fmac_f32_e32 v77, v78, v77
	v_mul_f32_e32 v78, v79, v77
	s_delay_alu instid0(VALU_DEP_1) | instskip(NEXT) | instid1(VALU_DEP_1)
	v_fma_f32 v80, -v71, v78, v79
	v_fmac_f32_e32 v78, v80, v77
	s_delay_alu instid0(VALU_DEP_1) | instskip(NEXT) | instid1(VALU_DEP_1)
	v_fma_f32 v71, -v71, v78, v79
	v_div_fmas_f32 v71, v71, v77, v78
	s_delay_alu instid0(VALU_DEP_1) | instskip(NEXT) | instid1(VALU_DEP_1)
	v_div_fixup_f32 v71, v71, v69, v68
	v_fmac_f32_e32 v69, v68, v71
	s_delay_alu instid0(VALU_DEP_1) | instskip(SKIP_1) | instid1(VALU_DEP_2)
	v_div_scale_f32 v68, null, v69, v69, 1.0
	v_div_scale_f32 v79, vcc_lo, 1.0, v69, 1.0
	v_rcp_f32_e32 v77, v68
	v_nop
	s_delay_alu instid0(TRANS32_DEP_1) | instskip(NEXT) | instid1(VALU_DEP_1)
	v_fma_f32 v78, -v68, v77, 1.0
	v_fmac_f32_e32 v77, v78, v77
	s_delay_alu instid0(VALU_DEP_1) | instskip(NEXT) | instid1(VALU_DEP_1)
	v_mul_f32_e32 v78, v79, v77
	v_fma_f32 v80, -v68, v78, v79
	s_delay_alu instid0(VALU_DEP_1) | instskip(NEXT) | instid1(VALU_DEP_1)
	v_fmac_f32_e32 v78, v80, v77
	v_fma_f32 v68, -v68, v78, v79
	s_delay_alu instid0(VALU_DEP_1) | instskip(NEXT) | instid1(VALU_DEP_1)
	v_div_fmas_f32 v68, v68, v77, v78
	v_div_fixup_f32 v69, v68, v69, 1.0
	s_delay_alu instid0(VALU_DEP_1)
	v_mul_f32_e32 v68, v71, v69
	v_xor_b32_e32 v69, 0x80000000, v69
.LBB60_574:
	s_and_not1_saveexec_b32 s1, s1
	s_cbranch_execz .LBB60_576
; %bb.575:
	s_delay_alu instid0(VALU_DEP_1) | instskip(SKIP_1) | instid1(VALU_DEP_2)
	v_div_scale_f32 v71, null, v68, v68, v69
	v_div_scale_f32 v79, vcc_lo, v69, v68, v69
	v_rcp_f32_e32 v77, v71
	v_nop
	s_delay_alu instid0(TRANS32_DEP_1) | instskip(NEXT) | instid1(VALU_DEP_1)
	v_fma_f32 v78, -v71, v77, 1.0
	v_fmac_f32_e32 v77, v78, v77
	s_delay_alu instid0(VALU_DEP_1) | instskip(NEXT) | instid1(VALU_DEP_1)
	v_mul_f32_e32 v78, v79, v77
	v_fma_f32 v80, -v71, v78, v79
	s_delay_alu instid0(VALU_DEP_1) | instskip(NEXT) | instid1(VALU_DEP_1)
	v_fmac_f32_e32 v78, v80, v77
	v_fma_f32 v71, -v71, v78, v79
	s_delay_alu instid0(VALU_DEP_1) | instskip(NEXT) | instid1(VALU_DEP_1)
	v_div_fmas_f32 v71, v71, v77, v78
	v_div_fixup_f32 v71, v71, v68, v69
	s_delay_alu instid0(VALU_DEP_1) | instskip(NEXT) | instid1(VALU_DEP_1)
	v_fmac_f32_e32 v68, v69, v71
	v_div_scale_f32 v69, null, v68, v68, 1.0
	s_delay_alu instid0(VALU_DEP_1) | instskip(SKIP_1) | instid1(TRANS32_DEP_1)
	v_rcp_f32_e32 v77, v69
	v_nop
	v_fma_f32 v78, -v69, v77, 1.0
	s_delay_alu instid0(VALU_DEP_1) | instskip(SKIP_1) | instid1(VALU_DEP_1)
	v_fmac_f32_e32 v77, v78, v77
	v_div_scale_f32 v78, vcc_lo, 1.0, v68, 1.0
	v_mul_f32_e32 v79, v78, v77
	s_delay_alu instid0(VALU_DEP_1) | instskip(NEXT) | instid1(VALU_DEP_1)
	v_fma_f32 v80, -v69, v79, v78
	v_fmac_f32_e32 v79, v80, v77
	s_delay_alu instid0(VALU_DEP_1) | instskip(NEXT) | instid1(VALU_DEP_1)
	v_fma_f32 v69, -v69, v79, v78
	v_div_fmas_f32 v69, v69, v77, v79
	s_delay_alu instid0(VALU_DEP_1) | instskip(NEXT) | instid1(VALU_DEP_1)
	v_div_fixup_f32 v68, v69, v68, 1.0
	v_mul_f32_e64 v69, v71, -v68
.LBB60_576:
	s_or_b32 exec_lo, exec_lo, s1
.LBB60_577:
	s_delay_alu instid0(SALU_CYCLE_1) | instskip(NEXT) | instid1(SALU_CYCLE_1)
	s_or_b32 exec_lo, exec_lo, s0
	s_mov_b32 s0, exec_lo
	v_cmpx_ne_u32_e64 v76, v70
	s_xor_b32 s0, exec_lo, s0
	s_cbranch_execz .LBB60_583
; %bb.578:
	s_mov_b32 s1, exec_lo
	v_cmpx_eq_u32_e32 27, v76
	s_cbranch_execz .LBB60_582
; %bb.579:
	v_cmp_ne_u32_e32 vcc_lo, 27, v70
	s_xor_b32 s12, s16, -1
	s_delay_alu instid0(SALU_CYCLE_1) | instskip(NEXT) | instid1(SALU_CYCLE_1)
	s_and_b32 s13, s12, vcc_lo
	s_and_saveexec_b32 s12, s13
	s_cbranch_execz .LBB60_581
; %bb.580:
	v_ashrrev_i32_e32 v71, 31, v70
	s_delay_alu instid0(VALU_DEP_1)
	v_lshl_add_u64 v[76:77], v[70:71], 2, v[4:5]
	s_clause 0x1
	global_load_b32 v71, v[76:77], off
	global_load_b32 v75, v[4:5], off offset:108
	s_wait_loadcnt 0x1
	global_store_b32 v[4:5], v71, off offset:108
	s_wait_loadcnt 0x0
	global_store_b32 v[76:77], v75, off
.LBB60_581:
	s_wait_xcnt 0x0
	s_or_b32 exec_lo, exec_lo, s12
	v_dual_mov_b32 v76, v70 :: v_dual_mov_b32 v75, v70
.LBB60_582:
	s_or_b32 exec_lo, exec_lo, s1
.LBB60_583:
	s_and_not1_saveexec_b32 s0, s0
	s_cbranch_execz .LBB60_585
; %bb.584:
	v_dual_mov_b32 v70, v30 :: v_dual_mov_b32 v71, v31
	v_dual_mov_b32 v78, v24 :: v_dual_mov_b32 v79, v25
	v_mov_b32_e32 v76, 27
	ds_store_2addr_b64 v72, v[70:71], v[78:79] offset0:28 offset1:29
	ds_store_b64 v72, v[66:67] offset:240
.LBB60_585:
	s_or_b32 exec_lo, exec_lo, s0
	s_delay_alu instid0(SALU_CYCLE_1)
	s_mov_b32 s0, exec_lo
	s_wait_storecnt_dscnt 0x0
	s_barrier_signal -1
	s_barrier_wait -1
	v_cmpx_lt_i32_e32 27, v76
	s_cbranch_execz .LBB60_587
; %bb.586:
	ds_load_2addr_b64 v[78:81], v72 offset0:28 offset1:29
	ds_load_b64 v[70:71], v72 offset:240
	v_pk_mul_f32 v[82:83], v[68:69], v[32:33] op_sel:[1,1] op_sel_hi:[0,1]
	s_delay_alu instid0(VALU_DEP_1) | instskip(SKIP_2) | instid1(VALU_DEP_2)
	v_pk_fma_f32 v[84:85], v[68:69], v[32:33], v[82:83] op_sel_hi:[1,0,1]
	v_pk_fma_f32 v[32:33], v[68:69], v[32:33], v[82:83] op_sel_hi:[1,0,1] neg_lo:[0,0,1] neg_hi:[0,0,1]
	s_wait_dscnt 0x1
	v_pk_mul_f32 v[68:69], v[78:79], v[84:85] op_sel:[0,1]
	v_pk_mul_f32 v[82:83], v[80:81], v[84:85] op_sel:[0,1]
	s_wait_dscnt 0x0
	v_pk_mul_f32 v[86:87], v[70:71], v[84:85] op_sel:[1,1] op_sel_hi:[0,1]
	s_delay_alu instid0(VALU_DEP_3) | instskip(SKIP_2) | instid1(VALU_DEP_4)
	v_pk_fma_f32 v[88:89], v[78:79], v[32:33], v[68:69] op_sel:[0,0,1] op_sel_hi:[1,1,0] neg_lo:[0,0,1] neg_hi:[0,0,1]
	v_pk_fma_f32 v[68:69], v[78:79], v[32:33], v[68:69] op_sel:[0,0,1] op_sel_hi:[1,0,0]
	v_pk_fma_f32 v[78:79], v[80:81], v[32:33], v[82:83] op_sel:[0,0,1] op_sel_hi:[1,0,0]
	v_pk_fma_f32 v[90:91], v[70:71], v[32:33], v[86:87] op_sel_hi:[1,0,1]
	v_pk_fma_f32 v[80:81], v[80:81], v[32:33], v[82:83] op_sel:[0,0,1] op_sel_hi:[1,1,0] neg_lo:[0,0,1] neg_hi:[0,0,1]
	v_pk_fma_f32 v[70:71], v[70:71], v[32:33], v[86:87] neg_lo:[0,0,1] neg_hi:[0,0,1]
	s_delay_alu instid0(VALU_DEP_4) | instskip(NEXT) | instid1(VALU_DEP_4)
	v_dual_mov_b32 v89, v69 :: v_dual_mov_b32 v81, v79
	v_dual_mov_b32 v71, v91 :: v_dual_mov_b32 v33, v85
	s_delay_alu instid0(VALU_DEP_2) | instskip(NEXT) | instid1(VALU_DEP_3)
	v_pk_add_f32 v[30:31], v[30:31], v[88:89] neg_lo:[0,1] neg_hi:[0,1]
	v_pk_add_f32 v[24:25], v[24:25], v[80:81] neg_lo:[0,1] neg_hi:[0,1]
	s_delay_alu instid0(VALU_DEP_3)
	v_pk_add_f32 v[66:67], v[66:67], v[70:71] neg_lo:[0,1] neg_hi:[0,1]
.LBB60_587:
	s_or_b32 exec_lo, exec_lo, s0
	v_lshl_add_u32 v68, v76, 3, v72
	s_barrier_signal -1
	s_barrier_wait -1
	ds_store_b64 v68, v[30:31]
	s_wait_dscnt 0x0
	s_barrier_signal -1
	s_barrier_wait -1
	ds_load_b64 v[68:69], v72 offset:224
	v_mov_b32_e32 v70, 28
	s_cmp_lt_i32 s18, 30
	s_cbranch_scc1 .LBB60_590
; %bb.588:
	v_add3_u32 v71, v73, 0, 0xe8
	v_mov_b32_e32 v70, 28
	s_mov_b32 s0, 29
.LBB60_589:                             ; =>This Inner Loop Header: Depth=1
	ds_load_b64 v[78:79], v71
	s_wait_dscnt 0x1
	v_cmp_gt_f32_e32 vcc_lo, 0, v68
	v_cndmask_b32_e64 v80, v68, -v68, vcc_lo
	v_cmp_gt_f32_e32 vcc_lo, 0, v69
	v_cndmask_b32_e64 v82, v69, -v69, vcc_lo
	s_wait_dscnt 0x0
	v_cmp_gt_f32_e32 vcc_lo, 0, v78
	v_cndmask_b32_e64 v81, v78, -v78, vcc_lo
	v_cmp_gt_f32_e32 vcc_lo, 0, v79
	v_cndmask_b32_e64 v83, v79, -v79, vcc_lo
	s_delay_alu instid0(VALU_DEP_1) | instskip(NEXT) | instid1(VALU_DEP_1)
	v_pk_add_f32 v[80:81], v[80:81], v[82:83]
	v_cmp_lt_f32_e32 vcc_lo, v80, v81
	v_dual_cndmask_b32 v68, v68, v78 :: v_dual_add_nc_u32 v71, 8, v71
	v_cndmask_b32_e32 v69, v69, v79, vcc_lo
	v_cndmask_b32_e64 v70, v70, s0, vcc_lo
	s_add_co_i32 s0, s0, 1
	s_delay_alu instid0(SALU_CYCLE_1)
	s_cmp_lg_u32 s18, s0
	s_cbranch_scc1 .LBB60_589
.LBB60_590:
	s_wait_dscnt 0x0
	v_cmp_eq_f32_e32 vcc_lo, 0, v68
	v_cmp_eq_f32_e64 s0, 0, v69
	s_and_b32 s0, vcc_lo, s0
	s_delay_alu instid0(SALU_CYCLE_1) | instskip(NEXT) | instid1(SALU_CYCLE_1)
	s_and_saveexec_b32 s1, s0
	s_xor_b32 s0, exec_lo, s1
; %bb.591:
	v_cmp_ne_u32_e32 vcc_lo, 0, v74
	v_cndmask_b32_e32 v74, 29, v74, vcc_lo
; %bb.592:
	s_and_not1_saveexec_b32 s0, s0
	s_cbranch_execz .LBB60_598
; %bb.593:
	v_cmp_ngt_f32_e64 s1, |v68|, |v69|
	s_and_saveexec_b32 s12, s1
	s_delay_alu instid0(SALU_CYCLE_1)
	s_xor_b32 s1, exec_lo, s12
	s_cbranch_execz .LBB60_595
; %bb.594:
	v_div_scale_f32 v71, null, v69, v69, v68
	v_div_scale_f32 v79, vcc_lo, v68, v69, v68
	s_delay_alu instid0(VALU_DEP_2) | instskip(SKIP_1) | instid1(TRANS32_DEP_1)
	v_rcp_f32_e32 v77, v71
	v_nop
	v_fma_f32 v78, -v71, v77, 1.0
	s_delay_alu instid0(VALU_DEP_1) | instskip(NEXT) | instid1(VALU_DEP_1)
	v_fmac_f32_e32 v77, v78, v77
	v_mul_f32_e32 v78, v79, v77
	s_delay_alu instid0(VALU_DEP_1) | instskip(NEXT) | instid1(VALU_DEP_1)
	v_fma_f32 v80, -v71, v78, v79
	v_fmac_f32_e32 v78, v80, v77
	s_delay_alu instid0(VALU_DEP_1) | instskip(NEXT) | instid1(VALU_DEP_1)
	v_fma_f32 v71, -v71, v78, v79
	v_div_fmas_f32 v71, v71, v77, v78
	s_delay_alu instid0(VALU_DEP_1) | instskip(NEXT) | instid1(VALU_DEP_1)
	v_div_fixup_f32 v71, v71, v69, v68
	v_fmac_f32_e32 v69, v68, v71
	s_delay_alu instid0(VALU_DEP_1) | instskip(SKIP_1) | instid1(VALU_DEP_2)
	v_div_scale_f32 v68, null, v69, v69, 1.0
	v_div_scale_f32 v79, vcc_lo, 1.0, v69, 1.0
	v_rcp_f32_e32 v77, v68
	v_nop
	s_delay_alu instid0(TRANS32_DEP_1) | instskip(NEXT) | instid1(VALU_DEP_1)
	v_fma_f32 v78, -v68, v77, 1.0
	v_fmac_f32_e32 v77, v78, v77
	s_delay_alu instid0(VALU_DEP_1) | instskip(NEXT) | instid1(VALU_DEP_1)
	v_mul_f32_e32 v78, v79, v77
	v_fma_f32 v80, -v68, v78, v79
	s_delay_alu instid0(VALU_DEP_1) | instskip(NEXT) | instid1(VALU_DEP_1)
	v_fmac_f32_e32 v78, v80, v77
	v_fma_f32 v68, -v68, v78, v79
	s_delay_alu instid0(VALU_DEP_1) | instskip(NEXT) | instid1(VALU_DEP_1)
	v_div_fmas_f32 v68, v68, v77, v78
	v_div_fixup_f32 v69, v68, v69, 1.0
	s_delay_alu instid0(VALU_DEP_1)
	v_mul_f32_e32 v68, v71, v69
	v_xor_b32_e32 v69, 0x80000000, v69
.LBB60_595:
	s_and_not1_saveexec_b32 s1, s1
	s_cbranch_execz .LBB60_597
; %bb.596:
	s_delay_alu instid0(VALU_DEP_1) | instskip(SKIP_1) | instid1(VALU_DEP_2)
	v_div_scale_f32 v71, null, v68, v68, v69
	v_div_scale_f32 v79, vcc_lo, v69, v68, v69
	v_rcp_f32_e32 v77, v71
	v_nop
	s_delay_alu instid0(TRANS32_DEP_1) | instskip(NEXT) | instid1(VALU_DEP_1)
	v_fma_f32 v78, -v71, v77, 1.0
	v_fmac_f32_e32 v77, v78, v77
	s_delay_alu instid0(VALU_DEP_1) | instskip(NEXT) | instid1(VALU_DEP_1)
	v_mul_f32_e32 v78, v79, v77
	v_fma_f32 v80, -v71, v78, v79
	s_delay_alu instid0(VALU_DEP_1) | instskip(NEXT) | instid1(VALU_DEP_1)
	v_fmac_f32_e32 v78, v80, v77
	v_fma_f32 v71, -v71, v78, v79
	s_delay_alu instid0(VALU_DEP_1) | instskip(NEXT) | instid1(VALU_DEP_1)
	v_div_fmas_f32 v71, v71, v77, v78
	v_div_fixup_f32 v71, v71, v68, v69
	s_delay_alu instid0(VALU_DEP_1) | instskip(NEXT) | instid1(VALU_DEP_1)
	v_fmac_f32_e32 v68, v69, v71
	v_div_scale_f32 v69, null, v68, v68, 1.0
	s_delay_alu instid0(VALU_DEP_1) | instskip(SKIP_1) | instid1(TRANS32_DEP_1)
	v_rcp_f32_e32 v77, v69
	v_nop
	v_fma_f32 v78, -v69, v77, 1.0
	s_delay_alu instid0(VALU_DEP_1) | instskip(SKIP_1) | instid1(VALU_DEP_1)
	v_fmac_f32_e32 v77, v78, v77
	v_div_scale_f32 v78, vcc_lo, 1.0, v68, 1.0
	v_mul_f32_e32 v79, v78, v77
	s_delay_alu instid0(VALU_DEP_1) | instskip(NEXT) | instid1(VALU_DEP_1)
	v_fma_f32 v80, -v69, v79, v78
	v_fmac_f32_e32 v79, v80, v77
	s_delay_alu instid0(VALU_DEP_1) | instskip(NEXT) | instid1(VALU_DEP_1)
	v_fma_f32 v69, -v69, v79, v78
	v_div_fmas_f32 v69, v69, v77, v79
	s_delay_alu instid0(VALU_DEP_1) | instskip(NEXT) | instid1(VALU_DEP_1)
	v_div_fixup_f32 v68, v69, v68, 1.0
	v_mul_f32_e64 v69, v71, -v68
.LBB60_597:
	s_or_b32 exec_lo, exec_lo, s1
.LBB60_598:
	s_delay_alu instid0(SALU_CYCLE_1) | instskip(NEXT) | instid1(SALU_CYCLE_1)
	s_or_b32 exec_lo, exec_lo, s0
	s_mov_b32 s0, exec_lo
	v_cmpx_ne_u32_e64 v76, v70
	s_xor_b32 s0, exec_lo, s0
	s_cbranch_execz .LBB60_604
; %bb.599:
	s_mov_b32 s1, exec_lo
	v_cmpx_eq_u32_e32 28, v76
	s_cbranch_execz .LBB60_603
; %bb.600:
	v_cmp_ne_u32_e32 vcc_lo, 28, v70
	s_xor_b32 s12, s16, -1
	s_delay_alu instid0(SALU_CYCLE_1) | instskip(NEXT) | instid1(SALU_CYCLE_1)
	s_and_b32 s13, s12, vcc_lo
	s_and_saveexec_b32 s12, s13
	s_cbranch_execz .LBB60_602
; %bb.601:
	v_ashrrev_i32_e32 v71, 31, v70
	s_delay_alu instid0(VALU_DEP_1)
	v_lshl_add_u64 v[76:77], v[70:71], 2, v[4:5]
	s_clause 0x1
	global_load_b32 v71, v[76:77], off
	global_load_b32 v75, v[4:5], off offset:112
	s_wait_loadcnt 0x1
	global_store_b32 v[4:5], v71, off offset:112
	s_wait_loadcnt 0x0
	global_store_b32 v[76:77], v75, off
.LBB60_602:
	s_wait_xcnt 0x0
	s_or_b32 exec_lo, exec_lo, s12
	v_dual_mov_b32 v76, v70 :: v_dual_mov_b32 v75, v70
.LBB60_603:
	s_or_b32 exec_lo, exec_lo, s1
.LBB60_604:
	s_and_not1_saveexec_b32 s0, s0
; %bb.605:
	v_mov_b32_e32 v76, 28
	ds_store_2addr_b64 v72, v[24:25], v[66:67] offset0:29 offset1:30
; %bb.606:
	s_or_b32 exec_lo, exec_lo, s0
	s_delay_alu instid0(SALU_CYCLE_1)
	s_mov_b32 s0, exec_lo
	s_wait_storecnt_dscnt 0x0
	s_barrier_signal -1
	s_barrier_wait -1
	v_cmpx_lt_i32_e32 28, v76
	s_cbranch_execz .LBB60_608
; %bb.607:
	ds_load_2addr_b64 v[78:81], v72 offset0:29 offset1:30
	v_pk_mul_f32 v[70:71], v[68:69], v[30:31] op_sel:[1,1] op_sel_hi:[0,1]
	s_delay_alu instid0(VALU_DEP_1) | instskip(SKIP_3) | instid1(VALU_DEP_3)
	v_pk_fma_f32 v[82:83], v[68:69], v[30:31], v[70:71] op_sel_hi:[1,0,1]
	v_pk_fma_f32 v[30:31], v[68:69], v[30:31], v[70:71] op_sel_hi:[1,0,1] neg_lo:[0,0,1] neg_hi:[0,0,1]
	s_wait_dscnt 0x0
	v_dual_mov_b32 v84, v81 :: v_dual_mov_b32 v85, v80
	v_pk_mul_f32 v[68:69], v[78:79], v[82:83] op_sel:[0,1]
	s_delay_alu instid0(VALU_DEP_2) | instskip(NEXT) | instid1(VALU_DEP_2)
	v_pk_mul_f32 v[70:71], v[84:85], v[82:83] op_sel:[0,1]
	v_pk_fma_f32 v[84:85], v[78:79], v[30:31], v[68:69] op_sel:[0,0,1] op_sel_hi:[1,0,0]
	v_pk_fma_f32 v[68:69], v[78:79], v[30:31], v[68:69] op_sel:[0,0,1] op_sel_hi:[1,1,0] neg_lo:[0,0,1] neg_hi:[0,0,1]
	s_delay_alu instid0(VALU_DEP_3) | instskip(SKIP_1) | instid1(VALU_DEP_4)
	v_pk_fma_f32 v[86:87], v[80:81], v[30:31], v[70:71] op_sel_hi:[1,0,1]
	v_pk_fma_f32 v[70:71], v[80:81], v[30:31], v[70:71] neg_lo:[0,0,1] neg_hi:[0,0,1]
	v_dual_mov_b32 v69, v85 :: v_dual_mov_b32 v31, v83
	s_delay_alu instid0(VALU_DEP_3) | instskip(NEXT) | instid1(VALU_DEP_2)
	v_mov_b32_e32 v71, v87
	v_pk_add_f32 v[24:25], v[24:25], v[68:69] neg_lo:[0,1] neg_hi:[0,1]
	s_delay_alu instid0(VALU_DEP_2)
	v_pk_add_f32 v[66:67], v[66:67], v[70:71] neg_lo:[0,1] neg_hi:[0,1]
.LBB60_608:
	s_or_b32 exec_lo, exec_lo, s0
	v_lshl_add_u32 v68, v76, 3, v72
	s_barrier_signal -1
	s_barrier_wait -1
	ds_store_b64 v68, v[24:25]
	s_wait_dscnt 0x0
	s_barrier_signal -1
	s_barrier_wait -1
	ds_load_b64 v[68:69], v72 offset:232
	v_mov_b32_e32 v70, 29
	s_cmp_lt_i32 s18, 31
	s_cbranch_scc1 .LBB60_611
; %bb.609:
	v_add3_u32 v71, v73, 0, 0xf0
	v_mov_b32_e32 v70, 29
	s_mov_b32 s0, 30
.LBB60_610:                             ; =>This Inner Loop Header: Depth=1
	ds_load_b64 v[78:79], v71
	s_wait_dscnt 0x1
	v_cmp_gt_f32_e32 vcc_lo, 0, v68
	v_cndmask_b32_e64 v80, v68, -v68, vcc_lo
	v_cmp_gt_f32_e32 vcc_lo, 0, v69
	v_cndmask_b32_e64 v82, v69, -v69, vcc_lo
	s_wait_dscnt 0x0
	v_cmp_gt_f32_e32 vcc_lo, 0, v78
	v_cndmask_b32_e64 v81, v78, -v78, vcc_lo
	v_cmp_gt_f32_e32 vcc_lo, 0, v79
	v_cndmask_b32_e64 v83, v79, -v79, vcc_lo
	s_delay_alu instid0(VALU_DEP_1) | instskip(NEXT) | instid1(VALU_DEP_1)
	v_pk_add_f32 v[80:81], v[80:81], v[82:83]
	v_cmp_lt_f32_e32 vcc_lo, v80, v81
	v_dual_cndmask_b32 v68, v68, v78 :: v_dual_add_nc_u32 v71, 8, v71
	v_cndmask_b32_e32 v69, v69, v79, vcc_lo
	v_cndmask_b32_e64 v70, v70, s0, vcc_lo
	s_add_co_i32 s0, s0, 1
	s_delay_alu instid0(SALU_CYCLE_1)
	s_cmp_lg_u32 s18, s0
	s_cbranch_scc1 .LBB60_610
.LBB60_611:
	s_wait_dscnt 0x0
	v_cmp_eq_f32_e32 vcc_lo, 0, v68
	v_cmp_eq_f32_e64 s0, 0, v69
	s_and_b32 s0, vcc_lo, s0
	s_delay_alu instid0(SALU_CYCLE_1) | instskip(NEXT) | instid1(SALU_CYCLE_1)
	s_and_saveexec_b32 s1, s0
	s_xor_b32 s0, exec_lo, s1
; %bb.612:
	v_cmp_ne_u32_e32 vcc_lo, 0, v74
	v_cndmask_b32_e32 v74, 30, v74, vcc_lo
; %bb.613:
	s_and_not1_saveexec_b32 s0, s0
	s_cbranch_execz .LBB60_619
; %bb.614:
	v_cmp_ngt_f32_e64 s1, |v68|, |v69|
	s_and_saveexec_b32 s12, s1
	s_delay_alu instid0(SALU_CYCLE_1)
	s_xor_b32 s1, exec_lo, s12
	s_cbranch_execz .LBB60_616
; %bb.615:
	v_div_scale_f32 v71, null, v69, v69, v68
	v_div_scale_f32 v79, vcc_lo, v68, v69, v68
	s_delay_alu instid0(VALU_DEP_2) | instskip(SKIP_1) | instid1(TRANS32_DEP_1)
	v_rcp_f32_e32 v77, v71
	v_nop
	v_fma_f32 v78, -v71, v77, 1.0
	s_delay_alu instid0(VALU_DEP_1) | instskip(NEXT) | instid1(VALU_DEP_1)
	v_fmac_f32_e32 v77, v78, v77
	v_mul_f32_e32 v78, v79, v77
	s_delay_alu instid0(VALU_DEP_1) | instskip(NEXT) | instid1(VALU_DEP_1)
	v_fma_f32 v80, -v71, v78, v79
	v_fmac_f32_e32 v78, v80, v77
	s_delay_alu instid0(VALU_DEP_1) | instskip(NEXT) | instid1(VALU_DEP_1)
	v_fma_f32 v71, -v71, v78, v79
	v_div_fmas_f32 v71, v71, v77, v78
	s_delay_alu instid0(VALU_DEP_1) | instskip(NEXT) | instid1(VALU_DEP_1)
	v_div_fixup_f32 v71, v71, v69, v68
	v_fmac_f32_e32 v69, v68, v71
	s_delay_alu instid0(VALU_DEP_1) | instskip(SKIP_1) | instid1(VALU_DEP_2)
	v_div_scale_f32 v68, null, v69, v69, 1.0
	v_div_scale_f32 v79, vcc_lo, 1.0, v69, 1.0
	v_rcp_f32_e32 v77, v68
	v_nop
	s_delay_alu instid0(TRANS32_DEP_1) | instskip(NEXT) | instid1(VALU_DEP_1)
	v_fma_f32 v78, -v68, v77, 1.0
	v_fmac_f32_e32 v77, v78, v77
	s_delay_alu instid0(VALU_DEP_1) | instskip(NEXT) | instid1(VALU_DEP_1)
	v_mul_f32_e32 v78, v79, v77
	v_fma_f32 v80, -v68, v78, v79
	s_delay_alu instid0(VALU_DEP_1) | instskip(NEXT) | instid1(VALU_DEP_1)
	v_fmac_f32_e32 v78, v80, v77
	v_fma_f32 v68, -v68, v78, v79
	s_delay_alu instid0(VALU_DEP_1) | instskip(NEXT) | instid1(VALU_DEP_1)
	v_div_fmas_f32 v68, v68, v77, v78
	v_div_fixup_f32 v69, v68, v69, 1.0
	s_delay_alu instid0(VALU_DEP_1)
	v_mul_f32_e32 v68, v71, v69
	v_xor_b32_e32 v69, 0x80000000, v69
.LBB60_616:
	s_and_not1_saveexec_b32 s1, s1
	s_cbranch_execz .LBB60_618
; %bb.617:
	s_delay_alu instid0(VALU_DEP_1) | instskip(SKIP_1) | instid1(VALU_DEP_2)
	v_div_scale_f32 v71, null, v68, v68, v69
	v_div_scale_f32 v79, vcc_lo, v69, v68, v69
	v_rcp_f32_e32 v77, v71
	v_nop
	s_delay_alu instid0(TRANS32_DEP_1) | instskip(NEXT) | instid1(VALU_DEP_1)
	v_fma_f32 v78, -v71, v77, 1.0
	v_fmac_f32_e32 v77, v78, v77
	s_delay_alu instid0(VALU_DEP_1) | instskip(NEXT) | instid1(VALU_DEP_1)
	v_mul_f32_e32 v78, v79, v77
	v_fma_f32 v80, -v71, v78, v79
	s_delay_alu instid0(VALU_DEP_1) | instskip(NEXT) | instid1(VALU_DEP_1)
	v_fmac_f32_e32 v78, v80, v77
	v_fma_f32 v71, -v71, v78, v79
	s_delay_alu instid0(VALU_DEP_1) | instskip(NEXT) | instid1(VALU_DEP_1)
	v_div_fmas_f32 v71, v71, v77, v78
	v_div_fixup_f32 v71, v71, v68, v69
	s_delay_alu instid0(VALU_DEP_1) | instskip(NEXT) | instid1(VALU_DEP_1)
	v_fmac_f32_e32 v68, v69, v71
	v_div_scale_f32 v69, null, v68, v68, 1.0
	s_delay_alu instid0(VALU_DEP_1) | instskip(SKIP_1) | instid1(TRANS32_DEP_1)
	v_rcp_f32_e32 v77, v69
	v_nop
	v_fma_f32 v78, -v69, v77, 1.0
	s_delay_alu instid0(VALU_DEP_1) | instskip(SKIP_1) | instid1(VALU_DEP_1)
	v_fmac_f32_e32 v77, v78, v77
	v_div_scale_f32 v78, vcc_lo, 1.0, v68, 1.0
	v_mul_f32_e32 v79, v78, v77
	s_delay_alu instid0(VALU_DEP_1) | instskip(NEXT) | instid1(VALU_DEP_1)
	v_fma_f32 v80, -v69, v79, v78
	v_fmac_f32_e32 v79, v80, v77
	s_delay_alu instid0(VALU_DEP_1) | instskip(NEXT) | instid1(VALU_DEP_1)
	v_fma_f32 v69, -v69, v79, v78
	v_div_fmas_f32 v69, v69, v77, v79
	s_delay_alu instid0(VALU_DEP_1) | instskip(NEXT) | instid1(VALU_DEP_1)
	v_div_fixup_f32 v68, v69, v68, 1.0
	v_mul_f32_e64 v69, v71, -v68
.LBB60_618:
	s_or_b32 exec_lo, exec_lo, s1
.LBB60_619:
	s_delay_alu instid0(SALU_CYCLE_1) | instskip(NEXT) | instid1(SALU_CYCLE_1)
	s_or_b32 exec_lo, exec_lo, s0
	s_mov_b32 s0, exec_lo
	v_cmpx_ne_u32_e64 v76, v70
	s_xor_b32 s0, exec_lo, s0
	s_cbranch_execz .LBB60_625
; %bb.620:
	s_mov_b32 s1, exec_lo
	v_cmpx_eq_u32_e32 29, v76
	s_cbranch_execz .LBB60_624
; %bb.621:
	v_cmp_ne_u32_e32 vcc_lo, 29, v70
	s_xor_b32 s12, s16, -1
	s_delay_alu instid0(SALU_CYCLE_1) | instskip(NEXT) | instid1(SALU_CYCLE_1)
	s_and_b32 s13, s12, vcc_lo
	s_and_saveexec_b32 s12, s13
	s_cbranch_execz .LBB60_623
; %bb.622:
	v_ashrrev_i32_e32 v71, 31, v70
	s_delay_alu instid0(VALU_DEP_1)
	v_lshl_add_u64 v[76:77], v[70:71], 2, v[4:5]
	s_clause 0x1
	global_load_b32 v71, v[76:77], off
	global_load_b32 v75, v[4:5], off offset:116
	s_wait_loadcnt 0x1
	global_store_b32 v[4:5], v71, off offset:116
	s_wait_loadcnt 0x0
	global_store_b32 v[76:77], v75, off
.LBB60_623:
	s_wait_xcnt 0x0
	s_or_b32 exec_lo, exec_lo, s12
	v_dual_mov_b32 v76, v70 :: v_dual_mov_b32 v75, v70
.LBB60_624:
	s_or_b32 exec_lo, exec_lo, s1
.LBB60_625:
	s_and_not1_saveexec_b32 s0, s0
; %bb.626:
	v_mov_b32_e32 v76, 29
	ds_store_b64 v72, v[66:67] offset:240
; %bb.627:
	s_or_b32 exec_lo, exec_lo, s0
	s_delay_alu instid0(SALU_CYCLE_1)
	s_mov_b32 s0, exec_lo
	s_wait_storecnt_dscnt 0x0
	s_barrier_signal -1
	s_barrier_wait -1
	v_cmpx_lt_i32_e32 29, v76
	s_cbranch_execz .LBB60_629
; %bb.628:
	ds_load_b64 v[70:71], v72 offset:240
	v_pk_mul_f32 v[78:79], v[68:69], v[24:25] op_sel:[1,1] op_sel_hi:[0,1]
	s_delay_alu instid0(VALU_DEP_1) | instskip(SKIP_2) | instid1(VALU_DEP_2)
	v_pk_fma_f32 v[80:81], v[68:69], v[24:25], v[78:79] op_sel_hi:[1,0,1]
	v_pk_fma_f32 v[24:25], v[68:69], v[24:25], v[78:79] op_sel_hi:[1,0,1] neg_lo:[0,0,1] neg_hi:[0,0,1]
	s_wait_dscnt 0x0
	v_pk_mul_f32 v[68:69], v[70:71], v[80:81] op_sel:[1,1] op_sel_hi:[0,1]
	s_delay_alu instid0(VALU_DEP_1) | instskip(SKIP_1) | instid1(VALU_DEP_2)
	v_pk_fma_f32 v[78:79], v[70:71], v[24:25], v[68:69] op_sel_hi:[1,0,1]
	v_pk_fma_f32 v[68:69], v[70:71], v[24:25], v[68:69] neg_lo:[0,0,1] neg_hi:[0,0,1]
	v_dual_mov_b32 v25, v81 :: v_dual_mov_b32 v69, v79
	s_delay_alu instid0(VALU_DEP_1)
	v_pk_add_f32 v[66:67], v[66:67], v[68:69] neg_lo:[0,1] neg_hi:[0,1]
.LBB60_629:
	s_or_b32 exec_lo, exec_lo, s0
	v_lshl_add_u32 v68, v76, 3, v72
	s_barrier_signal -1
	s_barrier_wait -1
	ds_store_b64 v68, v[66:67]
	s_wait_dscnt 0x0
	s_barrier_signal -1
	s_barrier_wait -1
	ds_load_b64 v[68:69], v72 offset:240
	v_mov_b32_e32 v70, 30
	s_cmp_lt_i32 s18, 32
	s_cbranch_scc1 .LBB60_632
; %bb.630:
	v_add3_u32 v71, v73, 0, 0xf8
	v_mov_b32_e32 v70, 30
	s_mov_b32 s0, 31
.LBB60_631:                             ; =>This Inner Loop Header: Depth=1
	ds_load_b64 v[72:73], v71
	s_wait_dscnt 0x1
	v_cmp_gt_f32_e32 vcc_lo, 0, v68
	v_cndmask_b32_e64 v78, v68, -v68, vcc_lo
	v_cmp_gt_f32_e32 vcc_lo, 0, v69
	v_cndmask_b32_e64 v80, v69, -v69, vcc_lo
	s_wait_dscnt 0x0
	v_cmp_gt_f32_e32 vcc_lo, 0, v72
	v_cndmask_b32_e64 v79, v72, -v72, vcc_lo
	v_cmp_gt_f32_e32 vcc_lo, 0, v73
	v_cndmask_b32_e64 v81, v73, -v73, vcc_lo
	s_delay_alu instid0(VALU_DEP_1) | instskip(NEXT) | instid1(VALU_DEP_1)
	v_pk_add_f32 v[78:79], v[78:79], v[80:81]
	v_cmp_lt_f32_e32 vcc_lo, v78, v79
	v_dual_add_nc_u32 v71, 8, v71 :: v_dual_cndmask_b32 v69, v69, v73, vcc_lo
	v_cndmask_b32_e32 v68, v68, v72, vcc_lo
	v_cndmask_b32_e64 v70, v70, s0, vcc_lo
	s_add_co_i32 s0, s0, 1
	s_delay_alu instid0(SALU_CYCLE_1)
	s_cmp_lg_u32 s18, s0
	s_cbranch_scc1 .LBB60_631
.LBB60_632:
	s_wait_dscnt 0x0
	v_cmp_eq_f32_e32 vcc_lo, 0, v68
	v_cmp_eq_f32_e64 s0, 0, v69
	s_and_b32 s0, vcc_lo, s0
	s_delay_alu instid0(SALU_CYCLE_1) | instskip(NEXT) | instid1(SALU_CYCLE_1)
	s_and_saveexec_b32 s1, s0
	s_xor_b32 s0, exec_lo, s1
; %bb.633:
	v_cmp_ne_u32_e32 vcc_lo, 0, v74
	v_cndmask_b32_e32 v74, 31, v74, vcc_lo
; %bb.634:
	s_and_not1_saveexec_b32 s0, s0
	s_cbranch_execz .LBB60_640
; %bb.635:
	v_cmp_ngt_f32_e64 s1, |v68|, |v69|
	s_and_saveexec_b32 s12, s1
	s_delay_alu instid0(SALU_CYCLE_1)
	s_xor_b32 s1, exec_lo, s12
	s_cbranch_execz .LBB60_637
; %bb.636:
	v_div_scale_f32 v71, null, v69, v69, v68
	v_div_scale_f32 v77, vcc_lo, v68, v69, v68
	s_delay_alu instid0(VALU_DEP_2) | instskip(SKIP_1) | instid1(TRANS32_DEP_1)
	v_rcp_f32_e32 v72, v71
	v_nop
	v_fma_f32 v73, -v71, v72, 1.0
	s_delay_alu instid0(VALU_DEP_1) | instskip(NEXT) | instid1(VALU_DEP_1)
	v_fmac_f32_e32 v72, v73, v72
	v_mul_f32_e32 v73, v77, v72
	s_delay_alu instid0(VALU_DEP_1) | instskip(NEXT) | instid1(VALU_DEP_1)
	v_fma_f32 v78, -v71, v73, v77
	v_fmac_f32_e32 v73, v78, v72
	s_delay_alu instid0(VALU_DEP_1) | instskip(NEXT) | instid1(VALU_DEP_1)
	v_fma_f32 v71, -v71, v73, v77
	v_div_fmas_f32 v71, v71, v72, v73
	s_delay_alu instid0(VALU_DEP_1) | instskip(NEXT) | instid1(VALU_DEP_1)
	v_div_fixup_f32 v71, v71, v69, v68
	v_fmac_f32_e32 v69, v68, v71
	s_delay_alu instid0(VALU_DEP_1) | instskip(SKIP_1) | instid1(VALU_DEP_2)
	v_div_scale_f32 v68, null, v69, v69, 1.0
	v_div_scale_f32 v77, vcc_lo, 1.0, v69, 1.0
	v_rcp_f32_e32 v72, v68
	v_nop
	s_delay_alu instid0(TRANS32_DEP_1) | instskip(NEXT) | instid1(VALU_DEP_1)
	v_fma_f32 v73, -v68, v72, 1.0
	v_fmac_f32_e32 v72, v73, v72
	s_delay_alu instid0(VALU_DEP_1) | instskip(NEXT) | instid1(VALU_DEP_1)
	v_mul_f32_e32 v73, v77, v72
	v_fma_f32 v78, -v68, v73, v77
	s_delay_alu instid0(VALU_DEP_1) | instskip(NEXT) | instid1(VALU_DEP_1)
	v_fmac_f32_e32 v73, v78, v72
	v_fma_f32 v68, -v68, v73, v77
	s_delay_alu instid0(VALU_DEP_1) | instskip(NEXT) | instid1(VALU_DEP_1)
	v_div_fmas_f32 v68, v68, v72, v73
	v_div_fixup_f32 v69, v68, v69, 1.0
	s_delay_alu instid0(VALU_DEP_1)
	v_mul_f32_e32 v68, v71, v69
	v_xor_b32_e32 v69, 0x80000000, v69
.LBB60_637:
	s_and_not1_saveexec_b32 s1, s1
	s_cbranch_execz .LBB60_639
; %bb.638:
	s_delay_alu instid0(VALU_DEP_1) | instskip(SKIP_1) | instid1(VALU_DEP_2)
	v_div_scale_f32 v71, null, v68, v68, v69
	v_div_scale_f32 v77, vcc_lo, v69, v68, v69
	v_rcp_f32_e32 v72, v71
	v_nop
	s_delay_alu instid0(TRANS32_DEP_1) | instskip(NEXT) | instid1(VALU_DEP_1)
	v_fma_f32 v73, -v71, v72, 1.0
	v_fmac_f32_e32 v72, v73, v72
	s_delay_alu instid0(VALU_DEP_1) | instskip(NEXT) | instid1(VALU_DEP_1)
	v_mul_f32_e32 v73, v77, v72
	v_fma_f32 v78, -v71, v73, v77
	s_delay_alu instid0(VALU_DEP_1) | instskip(NEXT) | instid1(VALU_DEP_1)
	v_fmac_f32_e32 v73, v78, v72
	v_fma_f32 v71, -v71, v73, v77
	s_delay_alu instid0(VALU_DEP_1) | instskip(NEXT) | instid1(VALU_DEP_1)
	v_div_fmas_f32 v71, v71, v72, v73
	v_div_fixup_f32 v71, v71, v68, v69
	s_delay_alu instid0(VALU_DEP_1) | instskip(NEXT) | instid1(VALU_DEP_1)
	v_fmac_f32_e32 v68, v69, v71
	v_div_scale_f32 v69, null, v68, v68, 1.0
	s_delay_alu instid0(VALU_DEP_1) | instskip(SKIP_1) | instid1(TRANS32_DEP_1)
	v_rcp_f32_e32 v72, v69
	v_nop
	v_fma_f32 v73, -v69, v72, 1.0
	s_delay_alu instid0(VALU_DEP_1) | instskip(SKIP_1) | instid1(VALU_DEP_1)
	v_fmac_f32_e32 v72, v73, v72
	v_div_scale_f32 v73, vcc_lo, 1.0, v68, 1.0
	v_mul_f32_e32 v77, v73, v72
	s_delay_alu instid0(VALU_DEP_1) | instskip(NEXT) | instid1(VALU_DEP_1)
	v_fma_f32 v78, -v69, v77, v73
	v_fmac_f32_e32 v77, v78, v72
	s_delay_alu instid0(VALU_DEP_1) | instskip(NEXT) | instid1(VALU_DEP_1)
	v_fma_f32 v69, -v69, v77, v73
	v_div_fmas_f32 v69, v69, v72, v77
	s_delay_alu instid0(VALU_DEP_1) | instskip(NEXT) | instid1(VALU_DEP_1)
	v_div_fixup_f32 v68, v69, v68, 1.0
	v_mul_f32_e64 v69, v71, -v68
.LBB60_639:
	s_or_b32 exec_lo, exec_lo, s1
.LBB60_640:
	s_delay_alu instid0(SALU_CYCLE_1)
	s_or_b32 exec_lo, exec_lo, s0
	v_mov_b32_e32 v72, 30
	s_mov_b32 s0, exec_lo
	v_cmpx_ne_u32_e64 v76, v70
	s_cbranch_execz .LBB60_646
; %bb.641:
	s_mov_b32 s1, exec_lo
	v_cmpx_eq_u32_e32 30, v76
	s_cbranch_execz .LBB60_645
; %bb.642:
	v_cmp_ne_u32_e32 vcc_lo, 30, v70
	s_xor_b32 s12, s16, -1
	s_delay_alu instid0(SALU_CYCLE_1) | instskip(NEXT) | instid1(SALU_CYCLE_1)
	s_and_b32 s13, s12, vcc_lo
	s_and_saveexec_b32 s12, s13
	s_cbranch_execz .LBB60_644
; %bb.643:
	v_ashrrev_i32_e32 v71, 31, v70
	s_delay_alu instid0(VALU_DEP_1)
	v_lshl_add_u64 v[72:73], v[70:71], 2, v[4:5]
	s_clause 0x1
	global_load_b32 v71, v[72:73], off
	global_load_b32 v75, v[4:5], off offset:120
	s_wait_loadcnt 0x1
	global_store_b32 v[4:5], v71, off offset:120
	s_wait_loadcnt 0x0
	global_store_b32 v[72:73], v75, off
.LBB60_644:
	s_wait_xcnt 0x0
	s_or_b32 exec_lo, exec_lo, s12
	v_dual_mov_b32 v76, v70 :: v_dual_mov_b32 v75, v70
.LBB60_645:
	s_or_b32 exec_lo, exec_lo, s1
	s_delay_alu instid0(VALU_DEP_1)
	v_mov_b32_e32 v72, v76
.LBB60_646:
	s_or_b32 exec_lo, exec_lo, s0
	s_delay_alu instid0(VALU_DEP_1)
	v_ashrrev_i32_e32 v73, 31, v72
	s_mov_b32 s0, exec_lo
	s_wait_storecnt 0x0
	s_barrier_signal -1
	s_barrier_wait -1
	s_barrier_signal -1
	s_barrier_wait -1
	v_cmpx_gt_i32_e32 31, v72
	s_cbranch_execz .LBB60_648
; %bb.647:
	v_mul_u64_e32 v[4:5], s[10:11], v[2:3]
	v_add3_u32 v70, v75, s17, 1
	s_delay_alu instid0(VALU_DEP_2) | instskip(NEXT) | instid1(VALU_DEP_1)
	v_lshl_add_u64 v[4:5], v[4:5], 2, s[6:7]
	v_lshl_add_u64 v[4:5], s[8:9], 2, v[4:5]
	s_delay_alu instid0(VALU_DEP_1)
	v_lshl_add_u64 v[4:5], v[72:73], 2, v[4:5]
	global_store_b32 v[4:5], v70, off
.LBB60_648:
	s_wait_xcnt 0x0
	s_or_b32 exec_lo, exec_lo, s0
	s_delay_alu instid0(SALU_CYCLE_1)
	s_mov_b32 s1, exec_lo
	v_cmpx_eq_u32_e32 0, v72
	s_cbranch_execz .LBB60_651
; %bb.649:
	s_wait_kmcnt 0x0
	v_lshl_add_u64 v[2:3], v[2:3], 2, s[4:5]
	v_cmp_ne_u32_e64 s0, 0, v74
	global_load_b32 v4, v[2:3], off
	s_wait_loadcnt 0x0
	v_cmp_eq_u32_e32 vcc_lo, 0, v4
	s_and_b32 s0, vcc_lo, s0
	s_wait_xcnt 0x0
	s_and_b32 exec_lo, exec_lo, s0
	s_cbranch_execz .LBB60_651
; %bb.650:
	v_add_nc_u32_e32 v4, s17, v74
	global_store_b32 v[2:3], v4, off
.LBB60_651:
	s_wait_xcnt 0x0
	s_or_b32 exec_lo, exec_lo, s1
	v_add3_u32 v2, s2, s2, v72
	v_pk_mul_f32 v[82:83], v[68:69], v[66:67] op_sel:[1,1] op_sel_hi:[0,1]
	v_lshl_add_u64 v[88:89], v[72:73], 3, v[0:1]
	v_cmp_lt_i32_e32 vcc_lo, 30, v72
	s_delay_alu instid0(VALU_DEP_4) | instskip(NEXT) | instid1(VALU_DEP_4)
	v_add_nc_u32_e32 v4, s2, v2
	v_pk_fma_f32 v[86:87], v[68:69], v[66:67], v[82:83] op_sel_hi:[1,0,1]
	v_pk_fma_f32 v[68:69], v[68:69], v[66:67], v[82:83] neg_lo:[0,0,1] neg_hi:[0,0,1]
	v_lshl_add_u64 v[72:73], s[2:3], 3, v[88:89]
	s_clause 0x1
	global_store_b64 v[88:89], v[62:63], off
	global_store_b64 v[72:73], v[64:65], off
	v_dual_cndmask_b32 v67, v67, v87 :: v_dual_add_nc_u32 v70, s2, v4
	s_delay_alu instid0(VALU_DEP_1) | instskip(NEXT) | instid1(VALU_DEP_1)
	v_add_nc_u32_e32 v74, s2, v70
	v_add_nc_u32_e32 v76, s2, v74
	s_delay_alu instid0(VALU_DEP_1) | instskip(SKIP_1) | instid1(VALU_DEP_2)
	v_dual_add_nc_u32 v78, s2, v76 :: v_dual_ashrrev_i32 v3, 31, v2
	v_ashrrev_i32_e32 v5, 31, v4
	v_dual_ashrrev_i32 v77, 31, v76 :: v_dual_add_nc_u32 v80, s2, v78
	s_delay_alu instid0(VALU_DEP_3) | instskip(NEXT) | instid1(VALU_DEP_3)
	v_lshl_add_u64 v[2:3], v[2:3], 3, v[0:1]
	v_lshl_add_u64 v[4:5], v[4:5], 3, v[0:1]
	s_delay_alu instid0(VALU_DEP_3) | instskip(NEXT) | instid1(VALU_DEP_1)
	v_add_nc_u32_e32 v84, s2, v80
	v_dual_add_nc_u32 v86, s2, v84 :: v_dual_ashrrev_i32 v79, 31, v78
	s_delay_alu instid0(VALU_DEP_1) | instskip(SKIP_2) | instid1(VALU_DEP_2)
	v_dual_ashrrev_i32 v81, 31, v80 :: v_dual_add_nc_u32 v82, s2, v86
	v_dual_cndmask_b32 v66, v66, v68 :: v_dual_ashrrev_i32 v87, 31, v86
	s_wait_xcnt 0x1
	v_dual_add_nc_u32 v62, s2, v82 :: v_dual_ashrrev_i32 v83, 31, v82
	s_wait_xcnt 0x0
	s_delay_alu instid0(VALU_DEP_1) | instskip(SKIP_1) | instid1(VALU_DEP_2)
	v_add_nc_u32_e32 v64, s2, v62
	v_ashrrev_i32_e32 v71, 31, v70
	v_dual_ashrrev_i32 v63, 31, v62 :: v_dual_ashrrev_i32 v65, 31, v64
	v_dual_add_nc_u32 v72, s2, v64 :: v_dual_ashrrev_i32 v75, 31, v74
	s_delay_alu instid0(VALU_DEP_3) | instskip(NEXT) | instid1(VALU_DEP_2)
	v_lshl_add_u64 v[68:69], v[70:71], 3, v[0:1]
	v_ashrrev_i32_e32 v73, 31, v72
	s_delay_alu instid0(VALU_DEP_3)
	v_lshl_add_u64 v[70:71], v[74:75], 3, v[0:1]
	s_clause 0x3
	global_store_b64 v[2:3], v[60:61], off
	global_store_b64 v[4:5], v[58:59], off
	;; [unrolled: 1-line block ×4, first 2 shown]
	s_wait_xcnt 0x3
	v_add_nc_u32_e32 v2, s2, v72
	v_ashrrev_i32_e32 v85, 31, v84
	s_wait_xcnt 0x0
	v_lshl_add_u64 v[38:39], v[76:77], 3, v[0:1]
	v_lshl_add_u64 v[40:41], v[78:79], 3, v[0:1]
	;; [unrolled: 1-line block ×3, first 2 shown]
	v_add_nc_u32_e32 v4, s2, v2
	v_lshl_add_u64 v[60:61], v[84:85], 3, v[0:1]
	s_clause 0x3
	global_store_b64 v[38:39], v[8:9], off
	global_store_b64 v[40:41], v[6:7], off
	;; [unrolled: 1-line block ×4, first 2 shown]
	s_wait_xcnt 0x3
	v_lshl_add_u64 v[38:39], v[86:87], 3, v[0:1]
	v_add_nc_u32_e32 v68, s2, v4
	s_wait_xcnt 0x2
	v_lshl_add_u64 v[40:41], v[82:83], 3, v[0:1]
	s_wait_xcnt 0x0
	v_lshl_add_u64 v[42:43], v[62:63], 3, v[0:1]
	v_lshl_add_u64 v[44:45], v[64:65], 3, v[0:1]
	s_clause 0x3
	global_store_b64 v[38:39], v[12:13], off
	global_store_b64 v[40:41], v[10:11], off
	;; [unrolled: 1-line block ×4, first 2 shown]
	v_dual_add_nc_u32 v6, s2, v68 :: v_dual_ashrrev_i32 v3, 31, v2
	s_wait_xcnt 0x3
	v_lshl_add_u64 v[38:39], v[72:73], 3, v[0:1]
	s_delay_alu instid0(VALU_DEP_2) | instskip(NEXT) | instid1(VALU_DEP_3)
	v_dual_ashrrev_i32 v5, 31, v4 :: v_dual_add_nc_u32 v8, s2, v6
	v_lshl_add_u64 v[2:3], v[2:3], 3, v[0:1]
	v_ashrrev_i32_e32 v7, 31, v6
	s_delay_alu instid0(VALU_DEP_3) | instskip(NEXT) | instid1(VALU_DEP_4)
	v_lshl_add_u64 v[4:5], v[4:5], 3, v[0:1]
	v_dual_add_nc_u32 v58, s2, v8 :: v_dual_ashrrev_i32 v9, 31, v8
	s_delay_alu instid0(VALU_DEP_3) | instskip(SKIP_1) | instid1(VALU_DEP_2)
	v_lshl_add_u64 v[6:7], v[6:7], 3, v[0:1]
	s_wait_xcnt 0x2
	v_dual_add_nc_u32 v10, s2, v58 :: v_dual_ashrrev_i32 v69, 31, v68
	s_delay_alu instid0(VALU_DEP_3) | instskip(NEXT) | instid1(VALU_DEP_2)
	v_lshl_add_u64 v[8:9], v[8:9], 3, v[0:1]
	v_add_nc_u32_e32 v12, s2, v10
	s_delay_alu instid0(VALU_DEP_3)
	v_lshl_add_u64 v[40:41], v[68:69], 3, v[0:1]
	s_clause 0x3
	global_store_b64 v[38:39], v[16:17], off
	global_store_b64 v[2:3], v[14:15], off
	global_store_b64 v[4:5], v[56:57], off
	global_store_b64 v[40:41], v[54:55], off
	s_wait_xcnt 0x5
	v_dual_add_nc_u32 v42, s2, v12 :: v_dual_ashrrev_i32 v13, 31, v12
	s_wait_xcnt 0x2
	s_delay_alu instid0(VALU_DEP_1) | instskip(SKIP_1) | instid1(VALU_DEP_1)
	v_add_nc_u32_e32 v2, s2, v42
	s_wait_xcnt 0x1
	v_add_nc_u32_e32 v4, s2, v2
	v_ashrrev_i32_e32 v59, 31, v58
	s_delay_alu instid0(VALU_DEP_2) | instskip(SKIP_1) | instid1(VALU_DEP_3)
	v_dual_ashrrev_i32 v43, 31, v42 :: v_dual_ashrrev_i32 v5, 31, v4
	v_dual_add_nc_u32 v16, s2, v4 :: v_dual_ashrrev_i32 v11, 31, v10
	v_lshl_add_u64 v[14:15], v[58:59], 3, v[0:1]
	s_delay_alu instid0(VALU_DEP_3) | instskip(NEXT) | instid1(VALU_DEP_3)
	v_lshl_add_u64 v[4:5], v[4:5], 3, v[0:1]
	v_ashrrev_i32_e32 v17, 31, v16
	s_delay_alu instid0(VALU_DEP_4)
	v_lshl_add_u64 v[10:11], v[10:11], 3, v[0:1]
	s_clause 0x3
	global_store_b64 v[6:7], v[28:29], off
	global_store_b64 v[8:9], v[26:27], off
	;; [unrolled: 1-line block ×4, first 2 shown]
	s_wait_xcnt 0x3
	v_add_nc_u32_e32 v6, s2, v16
	s_wait_xcnt 0x0
	v_lshl_add_u64 v[10:11], v[12:13], 3, v[0:1]
	v_lshl_add_u64 v[12:13], v[42:43], 3, v[0:1]
	s_delay_alu instid0(VALU_DEP_3) | instskip(SKIP_1) | instid1(VALU_DEP_2)
	v_add_nc_u32_e32 v8, s2, v6
	v_ashrrev_i32_e32 v3, 31, v2
	v_dual_ashrrev_i32 v7, 31, v6 :: v_dual_add_nc_u32 v14, s2, v8
	s_delay_alu instid0(VALU_DEP_2)
	v_lshl_add_u64 v[2:3], v[2:3], 3, v[0:1]
	s_clause 0x3
	global_store_b64 v[10:11], v[22:23], off
	global_store_b64 v[12:13], v[18:19], off
	;; [unrolled: 1-line block ×4, first 2 shown]
	s_wait_xcnt 0x1
	v_dual_add_nc_u32 v2, s2, v14 :: v_dual_ashrrev_i32 v9, 31, v8
	v_ashrrev_i32_e32 v15, 31, v14
	s_wait_xcnt 0x0
	v_lshl_add_u64 v[4:5], v[16:17], 3, v[0:1]
	v_lshl_add_u64 v[6:7], v[6:7], 3, v[0:1]
	v_ashrrev_i32_e32 v3, 31, v2
	v_lshl_add_u64 v[8:9], v[8:9], 3, v[0:1]
	v_lshl_add_u64 v[10:11], v[14:15], 3, v[0:1]
	s_delay_alu instid0(VALU_DEP_3)
	v_lshl_add_u64 v[0:1], v[2:3], 3, v[0:1]
	s_clause 0x4
	global_store_b64 v[4:5], v[20:21], off
	global_store_b64 v[6:7], v[32:33], off
	global_store_b64 v[8:9], v[30:31], off
	global_store_b64 v[10:11], v[24:25], off
	global_store_b64 v[0:1], v[66:67], off
.LBB60_652:
	s_sendmsg sendmsg(MSG_DEALLOC_VGPRS)
	s_endpgm
	.section	.rodata,"a",@progbits
	.p2align	6, 0x0
	.amdhsa_kernel _ZN9rocsolver6v33100L18getf2_small_kernelILi31E19rocblas_complex_numIfEiiPS3_EEvT1_T3_lS5_lPS5_llPT2_S5_S5_S7_l
		.amdhsa_group_segment_fixed_size 0
		.amdhsa_private_segment_fixed_size 0
		.amdhsa_kernarg_size 352
		.amdhsa_user_sgpr_count 2
		.amdhsa_user_sgpr_dispatch_ptr 0
		.amdhsa_user_sgpr_queue_ptr 0
		.amdhsa_user_sgpr_kernarg_segment_ptr 1
		.amdhsa_user_sgpr_dispatch_id 0
		.amdhsa_user_sgpr_kernarg_preload_length 0
		.amdhsa_user_sgpr_kernarg_preload_offset 0
		.amdhsa_user_sgpr_private_segment_size 0
		.amdhsa_wavefront_size32 1
		.amdhsa_uses_dynamic_stack 0
		.amdhsa_enable_private_segment 0
		.amdhsa_system_sgpr_workgroup_id_x 1
		.amdhsa_system_sgpr_workgroup_id_y 1
		.amdhsa_system_sgpr_workgroup_id_z 0
		.amdhsa_system_sgpr_workgroup_info 0
		.amdhsa_system_vgpr_workitem_id 1
		.amdhsa_next_free_vgpr 96
		.amdhsa_next_free_sgpr 19
		.amdhsa_named_barrier_count 0
		.amdhsa_reserve_vcc 1
		.amdhsa_float_round_mode_32 0
		.amdhsa_float_round_mode_16_64 0
		.amdhsa_float_denorm_mode_32 3
		.amdhsa_float_denorm_mode_16_64 3
		.amdhsa_fp16_overflow 0
		.amdhsa_memory_ordered 1
		.amdhsa_forward_progress 1
		.amdhsa_inst_pref_size 255
		.amdhsa_round_robin_scheduling 0
		.amdhsa_exception_fp_ieee_invalid_op 0
		.amdhsa_exception_fp_denorm_src 0
		.amdhsa_exception_fp_ieee_div_zero 0
		.amdhsa_exception_fp_ieee_overflow 0
		.amdhsa_exception_fp_ieee_underflow 0
		.amdhsa_exception_fp_ieee_inexact 0
		.amdhsa_exception_int_div_zero 0
	.end_amdhsa_kernel
	.section	.text._ZN9rocsolver6v33100L18getf2_small_kernelILi31E19rocblas_complex_numIfEiiPS3_EEvT1_T3_lS5_lPS5_llPT2_S5_S5_S7_l,"axG",@progbits,_ZN9rocsolver6v33100L18getf2_small_kernelILi31E19rocblas_complex_numIfEiiPS3_EEvT1_T3_lS5_lPS5_llPT2_S5_S5_S7_l,comdat
.Lfunc_end60:
	.size	_ZN9rocsolver6v33100L18getf2_small_kernelILi31E19rocblas_complex_numIfEiiPS3_EEvT1_T3_lS5_lPS5_llPT2_S5_S5_S7_l, .Lfunc_end60-_ZN9rocsolver6v33100L18getf2_small_kernelILi31E19rocblas_complex_numIfEiiPS3_EEvT1_T3_lS5_lPS5_llPT2_S5_S5_S7_l
                                        ; -- End function
	.set _ZN9rocsolver6v33100L18getf2_small_kernelILi31E19rocblas_complex_numIfEiiPS3_EEvT1_T3_lS5_lPS5_llPT2_S5_S5_S7_l.num_vgpr, 96
	.set _ZN9rocsolver6v33100L18getf2_small_kernelILi31E19rocblas_complex_numIfEiiPS3_EEvT1_T3_lS5_lPS5_llPT2_S5_S5_S7_l.num_agpr, 0
	.set _ZN9rocsolver6v33100L18getf2_small_kernelILi31E19rocblas_complex_numIfEiiPS3_EEvT1_T3_lS5_lPS5_llPT2_S5_S5_S7_l.numbered_sgpr, 19
	.set _ZN9rocsolver6v33100L18getf2_small_kernelILi31E19rocblas_complex_numIfEiiPS3_EEvT1_T3_lS5_lPS5_llPT2_S5_S5_S7_l.num_named_barrier, 0
	.set _ZN9rocsolver6v33100L18getf2_small_kernelILi31E19rocblas_complex_numIfEiiPS3_EEvT1_T3_lS5_lPS5_llPT2_S5_S5_S7_l.private_seg_size, 0
	.set _ZN9rocsolver6v33100L18getf2_small_kernelILi31E19rocblas_complex_numIfEiiPS3_EEvT1_T3_lS5_lPS5_llPT2_S5_S5_S7_l.uses_vcc, 1
	.set _ZN9rocsolver6v33100L18getf2_small_kernelILi31E19rocblas_complex_numIfEiiPS3_EEvT1_T3_lS5_lPS5_llPT2_S5_S5_S7_l.uses_flat_scratch, 0
	.set _ZN9rocsolver6v33100L18getf2_small_kernelILi31E19rocblas_complex_numIfEiiPS3_EEvT1_T3_lS5_lPS5_llPT2_S5_S5_S7_l.has_dyn_sized_stack, 0
	.set _ZN9rocsolver6v33100L18getf2_small_kernelILi31E19rocblas_complex_numIfEiiPS3_EEvT1_T3_lS5_lPS5_llPT2_S5_S5_S7_l.has_recursion, 0
	.set _ZN9rocsolver6v33100L18getf2_small_kernelILi31E19rocblas_complex_numIfEiiPS3_EEvT1_T3_lS5_lPS5_llPT2_S5_S5_S7_l.has_indirect_call, 0
	.section	.AMDGPU.csdata,"",@progbits
; Kernel info:
; codeLenInByte = 58388
; TotalNumSgprs: 21
; NumVgprs: 96
; ScratchSize: 0
; MemoryBound: 0
; FloatMode: 240
; IeeeMode: 1
; LDSByteSize: 0 bytes/workgroup (compile time only)
; SGPRBlocks: 0
; VGPRBlocks: 5
; NumSGPRsForWavesPerEU: 21
; NumVGPRsForWavesPerEU: 96
; NamedBarCnt: 0
; Occupancy: 10
; WaveLimiterHint : 0
; COMPUTE_PGM_RSRC2:SCRATCH_EN: 0
; COMPUTE_PGM_RSRC2:USER_SGPR: 2
; COMPUTE_PGM_RSRC2:TRAP_HANDLER: 0
; COMPUTE_PGM_RSRC2:TGID_X_EN: 1
; COMPUTE_PGM_RSRC2:TGID_Y_EN: 1
; COMPUTE_PGM_RSRC2:TGID_Z_EN: 0
; COMPUTE_PGM_RSRC2:TIDIG_COMP_CNT: 1
	.section	.text._ZN9rocsolver6v33100L23getf2_npvt_small_kernelILi31E19rocblas_complex_numIfEiiPS3_EEvT1_T3_lS5_lPT2_S5_S5_,"axG",@progbits,_ZN9rocsolver6v33100L23getf2_npvt_small_kernelILi31E19rocblas_complex_numIfEiiPS3_EEvT1_T3_lS5_lPT2_S5_S5_,comdat
	.globl	_ZN9rocsolver6v33100L23getf2_npvt_small_kernelILi31E19rocblas_complex_numIfEiiPS3_EEvT1_T3_lS5_lPT2_S5_S5_ ; -- Begin function _ZN9rocsolver6v33100L23getf2_npvt_small_kernelILi31E19rocblas_complex_numIfEiiPS3_EEvT1_T3_lS5_lPT2_S5_S5_
	.p2align	8
	.type	_ZN9rocsolver6v33100L23getf2_npvt_small_kernelILi31E19rocblas_complex_numIfEiiPS3_EEvT1_T3_lS5_lPT2_S5_S5_,@function
_ZN9rocsolver6v33100L23getf2_npvt_small_kernelILi31E19rocblas_complex_numIfEiiPS3_EEvT1_T3_lS5_lPT2_S5_S5_: ; @_ZN9rocsolver6v33100L23getf2_npvt_small_kernelILi31E19rocblas_complex_numIfEiiPS3_EEvT1_T3_lS5_lPT2_S5_S5_
; %bb.0:
	s_clause 0x1
	s_load_u16 s14, s[0:1], 0x46
	s_load_b64 s[2:3], s[0:1], 0x30
	s_bfe_u32 s4, ttmp6, 0x40010
	s_bfe_u32 s5, ttmp6, 0x40004
	s_add_co_i32 s4, s4, 1
	s_getreg_b32 s6, hwreg(HW_REG_IB_STS2, 6, 4)
	s_mul_i32 s4, ttmp7, s4
	v_bfe_u32 v126, v0, 10, 10
	s_add_co_i32 s5, s5, s4
	s_cmp_eq_u32 s6, 0
	s_cselect_b32 s4, ttmp7, s5
	s_wait_kmcnt 0x0
	v_mad_u32 v2, s4, s14, v126
	s_delay_alu instid0(VALU_DEP_1)
	v_cmp_gt_i32_e32 vcc_lo, s2, v2
	s_and_saveexec_b32 s2, vcc_lo
	s_cbranch_execz .LBB61_282
; %bb.1:
	s_clause 0x1
	s_load_b32 s12, s[0:1], 0x18
	s_load_b128 s[8:11], s[0:1], 0x8
	v_and_b32_e32 v188, 0x3ff, v0
	s_load_b128 s[4:7], s[0:1], 0x20
	s_mulk_i32 s14, 0xf8
	v_mad_u32_u24 v190, 0xf8, v126, 0
	v_ashrrev_i32_e32 v3, 31, v2
	s_wait_xcnt 0x0
	v_cmp_ne_u32_e64 s1, 0, v188
	v_cmp_eq_u32_e64 s0, 0, v188
	v_dual_mov_b32 v15, 0 :: v_dual_lshlrev_b32 v127, 3, v126
	s_delay_alu instid0(VALU_DEP_1) | instskip(SKIP_4) | instid1(VALU_DEP_2)
	v_add3_u32 v189, 0, s14, v127
	s_wait_kmcnt 0x0
	v_add3_u32 v0, s12, s12, v188
	s_ashr_i32 s13, s12, 31
	v_mul_u64_e32 v[6:7], s[4:5], v[2:3]
	v_add_nc_u32_e32 v4, s12, v0
	s_delay_alu instid0(VALU_DEP_1) | instskip(NEXT) | instid1(VALU_DEP_1)
	v_add_nc_u32_e32 v8, s12, v4
	v_add_nc_u32_e32 v10, s12, v8
	s_delay_alu instid0(VALU_DEP_1) | instskip(NEXT) | instid1(VALU_DEP_1)
	v_add_nc_u32_e32 v12, s12, v10
	v_add_nc_u32_e32 v20, s12, v12
	s_delay_alu instid0(VALU_DEP_1) | instskip(NEXT) | instid1(VALU_DEP_1)
	v_add_nc_u32_e32 v22, s12, v20
	v_dual_lshlrev_b32 v14, 3, v188 :: v_dual_ashrrev_i32 v23, 31, v22
	v_add_nc_u32_e32 v24, s12, v22
	v_ashrrev_i32_e32 v11, 31, v10
	v_lshl_add_u64 v[6:7], v[6:7], 3, s[8:9]
	s_delay_alu instid0(VALU_DEP_3) | instskip(SKIP_1) | instid1(VALU_DEP_3)
	v_add_nc_u32_e32 v30, s12, v24
	v_ashrrev_i32_e32 v1, 31, v0
	v_lshl_add_u64 v[102:103], s[10:11], 3, v[6:7]
	s_delay_alu instid0(VALU_DEP_3) | instskip(NEXT) | instid1(VALU_DEP_2)
	v_dual_add_nc_u32 v32, s12, v30 :: v_dual_ashrrev_i32 v31, 31, v30
	v_add_nc_u64_e32 v[18:19], v[102:103], v[14:15]
	s_delay_alu instid0(VALU_DEP_4) | instskip(SKIP_1) | instid1(VALU_DEP_4)
	v_lshl_add_u64 v[6:7], v[0:1], 3, v[102:103]
	v_lshl_add_u64 v[0:1], v[10:11], 3, v[102:103]
	v_add_nc_u32_e32 v36, s12, v32
	v_lshl_add_u64 v[10:11], v[22:23], 3, v[102:103]
	v_lshl_add_u64 v[34:35], s[12:13], 3, v[18:19]
	s_delay_alu instid0(VALU_DEP_3) | instskip(NEXT) | instid1(VALU_DEP_1)
	v_add_nc_u32_e32 v40, s12, v36
	v_add_nc_u32_e32 v46, s12, v40
	s_delay_alu instid0(VALU_DEP_1) | instskip(SKIP_2) | instid1(VALU_DEP_3)
	v_dual_add_nc_u32 v48, s12, v46 :: v_dual_ashrrev_i32 v37, 31, v36
	v_ashrrev_i32_e32 v41, 31, v40
	v_dual_ashrrev_i32 v21, 31, v20 :: v_dual_ashrrev_i32 v47, 31, v46
	v_dual_add_nc_u32 v50, s12, v48 :: v_dual_ashrrev_i32 v49, 31, v48
	v_ashrrev_i32_e32 v5, 31, v4
	v_ashrrev_i32_e32 v25, 31, v24
	v_lshl_add_u64 v[40:41], v[40:41], 3, v[102:103]
	s_delay_alu instid0(VALU_DEP_4) | instskip(NEXT) | instid1(VALU_DEP_4)
	v_dual_add_nc_u32 v64, s12, v50 :: v_dual_ashrrev_i32 v51, 31, v50
	v_lshl_add_u64 v[14:15], v[4:5], 3, v[102:103]
	v_lshl_add_u64 v[46:47], v[46:47], 3, v[102:103]
	;; [unrolled: 1-line block ×3, first 2 shown]
	s_delay_alu instid0(VALU_DEP_4) | instskip(SKIP_2) | instid1(VALU_DEP_3)
	v_dual_add_nc_u32 v66, s12, v64 :: v_dual_ashrrev_i32 v65, 31, v64
	v_ashrrev_i32_e32 v9, 31, v8
	v_lshl_add_u64 v[50:51], v[50:51], 3, v[102:103]
	v_dual_add_nc_u32 v68, s12, v66 :: v_dual_ashrrev_i32 v67, 31, v66
	s_delay_alu instid0(VALU_DEP_3) | instskip(SKIP_2) | instid1(VALU_DEP_4)
	v_lshl_add_u64 v[16:17], v[8:9], 3, v[102:103]
	v_lshl_add_u64 v[8:9], v[20:21], 3, v[102:103]
	;; [unrolled: 1-line block ×3, first 2 shown]
	v_add_nc_u32_e32 v70, s12, v68
	v_ashrrev_i32_e32 v13, 31, v12
	v_lshl_add_u64 v[64:65], v[64:65], 3, v[102:103]
	v_lshl_add_u64 v[66:67], v[66:67], 3, v[102:103]
	s_delay_alu instid0(VALU_DEP_4) | instskip(NEXT) | instid1(VALU_DEP_4)
	v_dual_add_nc_u32 v80, s12, v70 :: v_dual_ashrrev_i32 v71, 31, v70
	v_lshl_add_u64 v[4:5], v[12:13], 3, v[102:103]
	v_lshl_add_u64 v[12:13], v[24:25], 3, v[102:103]
	s_clause 0x3
	global_load_b64 v[28:29], v[16:17], off
	global_load_b64 v[24:25], v[0:1], off
	;; [unrolled: 1-line block ×4, first 2 shown]
	v_add_nc_u32_e32 v82, s12, v80
	v_ashrrev_i32_e32 v33, 31, v32
	v_lshl_add_u64 v[70:71], v[70:71], 3, v[102:103]
	s_clause 0x3
	global_load_b64 v[52:53], v[18:19], off
	global_load_b64 v[54:55], v[34:35], off
	;; [unrolled: 1-line block ×4, first 2 shown]
	v_dual_add_nc_u32 v84, s12, v82 :: v_dual_ashrrev_i32 v83, 31, v82
	v_lshl_add_u64 v[30:31], v[32:33], 3, v[102:103]
	v_lshl_add_u64 v[32:33], v[36:37], 3, v[102:103]
	s_clause 0x3
	global_load_b64 v[38:39], v[10:11], off
	global_load_b64 v[88:89], v[12:13], off
	global_load_b64 v[90:91], v[20:21], off
	global_load_b64 v[36:37], v[30:31], off
	v_add_nc_u32_e32 v86, s12, v84
	v_ashrrev_i32_e32 v69, 31, v68
	v_ashrrev_i32_e32 v81, 31, v80
	v_lshl_add_u64 v[82:83], v[82:83], 3, v[102:103]
	s_clause 0x3
	global_load_b64 v[62:63], v[32:33], off
	global_load_b64 v[58:59], v[40:41], off
	;; [unrolled: 1-line block ×4, first 2 shown]
	v_dual_add_nc_u32 v92, s12, v86 :: v_dual_ashrrev_i32 v87, 31, v86
	v_lshl_add_u64 v[80:81], v[80:81], 3, v[102:103]
	v_lshl_add_u64 v[68:69], v[68:69], 3, v[102:103]
	s_clause 0x3
	global_load_b64 v[78:79], v[50:51], off
	global_load_b64 v[74:75], v[64:65], off
	;; [unrolled: 1-line block ×4, first 2 shown]
	v_add_nc_u32_e32 v104, s12, v92
	v_lshl_add_u64 v[86:87], v[86:87], 3, v[102:103]
	s_delay_alu instid0(VALU_DEP_2) | instskip(NEXT) | instid1(VALU_DEP_1)
	v_add_nc_u32_e32 v106, s12, v104
	v_dual_add_nc_u32 v108, s12, v106 :: v_dual_ashrrev_i32 v105, 31, v104
	s_delay_alu instid0(VALU_DEP_1) | instskip(SKIP_1) | instid1(VALU_DEP_3)
	v_dual_add_nc_u32 v110, s12, v108 :: v_dual_ashrrev_i32 v109, 31, v108
	v_ashrrev_i32_e32 v93, 31, v92
	v_lshl_add_u64 v[104:105], v[104:105], 3, v[102:103]
	s_delay_alu instid0(VALU_DEP_3) | instskip(SKIP_3) | instid1(VALU_DEP_4)
	v_dual_add_nc_u32 v112, s12, v110 :: v_dual_ashrrev_i32 v85, 31, v84
	v_ashrrev_i32_e32 v107, 31, v106
	v_ashrrev_i32_e32 v111, 31, v110
	v_lshl_add_u64 v[92:93], v[92:93], 3, v[102:103]
	v_ashrrev_i32_e32 v113, 31, v112
	v_lshl_add_u64 v[84:85], v[84:85], 3, v[102:103]
	v_lshl_add_u64 v[106:107], v[106:107], 3, v[102:103]
	;; [unrolled: 1-line block ×3, first 2 shown]
	s_clause 0x3
	global_load_b64 v[100:101], v[70:71], off
	global_load_b64 v[96:97], v[80:81], off
	;; [unrolled: 1-line block ×4, first 2 shown]
	v_lshl_add_u64 v[110:111], v[110:111], 3, v[102:103]
	v_lshl_add_u64 v[102:103], v[112:113], 3, v[102:103]
	s_clause 0x6
	global_load_b64 v[116:117], v[86:87], off
	global_load_b64 v[112:113], v[92:93], off
	;; [unrolled: 1-line block ×7, first 2 shown]
	s_wait_xcnt 0x0
	s_and_saveexec_b32 s4, s0
	s_cbranch_execz .LBB61_8
; %bb.2:
	s_wait_loadcnt 0x1a
	ds_store_b64 v189, v[52:53]
	s_wait_loadcnt 0x18
	ds_store_2addr_b64 v190, v[54:55], v[44:45] offset0:1 offset1:2
	s_wait_loadcnt 0x17
	ds_store_2addr_b64 v190, v[42:43], v[28:29] offset0:3 offset1:4
	ds_store_2addr_b64 v190, v[24:25], v[26:27] offset0:5 offset1:6
	s_wait_loadcnt 0x16
	ds_store_2addr_b64 v190, v[22:23], v[38:39] offset0:7 offset1:8
	s_wait_loadcnt 0x14
	;; [unrolled: 2-line block ×12, first 2 shown]
	ds_store_2addr_b64 v190, v[118:119], v[124:125] offset0:29 offset1:30
	ds_load_b64 v[126:127], v189
	s_wait_dscnt 0x0
	v_cmp_neq_f32_e32 vcc_lo, 0, v126
	v_cmp_neq_f32_e64 s2, 0, v127
	s_or_b32 s2, vcc_lo, s2
	s_delay_alu instid0(SALU_CYCLE_1)
	s_and_b32 exec_lo, exec_lo, s2
	s_cbranch_execz .LBB61_8
; %bb.3:
	v_cmp_ngt_f32_e64 s2, |v126|, |v127|
                                        ; implicit-def: $vgpr128_vgpr129
	s_and_saveexec_b32 s5, s2
	s_delay_alu instid0(SALU_CYCLE_1)
	s_xor_b32 s2, exec_lo, s5
	s_cbranch_execz .LBB61_5
; %bb.4:
	v_div_scale_f32 v128, null, v127, v127, v126
	v_div_scale_f32 v131, vcc_lo, v126, v127, v126
	s_delay_alu instid0(VALU_DEP_2) | instskip(SKIP_1) | instid1(TRANS32_DEP_1)
	v_rcp_f32_e32 v129, v128
	v_nop
	v_fma_f32 v130, -v128, v129, 1.0
	s_delay_alu instid0(VALU_DEP_1) | instskip(NEXT) | instid1(VALU_DEP_1)
	v_fmac_f32_e32 v129, v130, v129
	v_mul_f32_e32 v130, v131, v129
	s_delay_alu instid0(VALU_DEP_1) | instskip(NEXT) | instid1(VALU_DEP_1)
	v_fma_f32 v132, -v128, v130, v131
	v_fmac_f32_e32 v130, v132, v129
	s_delay_alu instid0(VALU_DEP_1) | instskip(NEXT) | instid1(VALU_DEP_1)
	v_fma_f32 v128, -v128, v130, v131
	v_div_fmas_f32 v128, v128, v129, v130
	s_delay_alu instid0(VALU_DEP_1) | instskip(NEXT) | instid1(VALU_DEP_1)
	v_div_fixup_f32 v128, v128, v127, v126
	v_fmac_f32_e32 v127, v126, v128
	s_delay_alu instid0(VALU_DEP_1) | instskip(SKIP_1) | instid1(VALU_DEP_2)
	v_div_scale_f32 v126, null, v127, v127, 1.0
	v_div_scale_f32 v131, vcc_lo, 1.0, v127, 1.0
	v_rcp_f32_e32 v129, v126
	v_nop
	s_delay_alu instid0(TRANS32_DEP_1) | instskip(NEXT) | instid1(VALU_DEP_1)
	v_fma_f32 v130, -v126, v129, 1.0
	v_fmac_f32_e32 v129, v130, v129
	s_delay_alu instid0(VALU_DEP_1) | instskip(NEXT) | instid1(VALU_DEP_1)
	v_mul_f32_e32 v130, v131, v129
	v_fma_f32 v132, -v126, v130, v131
	s_delay_alu instid0(VALU_DEP_1) | instskip(NEXT) | instid1(VALU_DEP_1)
	v_fmac_f32_e32 v130, v132, v129
	v_fma_f32 v126, -v126, v130, v131
	s_delay_alu instid0(VALU_DEP_1) | instskip(NEXT) | instid1(VALU_DEP_1)
	v_div_fmas_f32 v126, v126, v129, v130
	v_div_fixup_f32 v126, v126, v127, 1.0
	s_delay_alu instid0(VALU_DEP_1)
	v_mul_f32_e32 v128, v128, v126
	v_xor_b32_e32 v129, 0x80000000, v126
                                        ; implicit-def: $vgpr126_vgpr127
.LBB61_5:
	s_and_not1_saveexec_b32 s2, s2
	s_cbranch_execz .LBB61_7
; %bb.6:
	v_div_scale_f32 v128, null, v126, v126, v127
	v_div_scale_f32 v131, vcc_lo, v127, v126, v127
	s_delay_alu instid0(VALU_DEP_2) | instskip(SKIP_1) | instid1(TRANS32_DEP_1)
	v_rcp_f32_e32 v129, v128
	v_nop
	v_fma_f32 v130, -v128, v129, 1.0
	s_delay_alu instid0(VALU_DEP_1) | instskip(NEXT) | instid1(VALU_DEP_1)
	v_fmac_f32_e32 v129, v130, v129
	v_mul_f32_e32 v130, v131, v129
	s_delay_alu instid0(VALU_DEP_1) | instskip(NEXT) | instid1(VALU_DEP_1)
	v_fma_f32 v132, -v128, v130, v131
	v_fmac_f32_e32 v130, v132, v129
	s_delay_alu instid0(VALU_DEP_1) | instskip(NEXT) | instid1(VALU_DEP_1)
	v_fma_f32 v128, -v128, v130, v131
	v_div_fmas_f32 v128, v128, v129, v130
	s_delay_alu instid0(VALU_DEP_1) | instskip(NEXT) | instid1(VALU_DEP_1)
	v_div_fixup_f32 v129, v128, v126, v127
	v_fmac_f32_e32 v126, v127, v129
	s_delay_alu instid0(VALU_DEP_1) | instskip(NEXT) | instid1(VALU_DEP_1)
	v_div_scale_f32 v127, null, v126, v126, 1.0
	v_rcp_f32_e32 v128, v127
	v_nop
	s_delay_alu instid0(TRANS32_DEP_1) | instskip(NEXT) | instid1(VALU_DEP_1)
	v_fma_f32 v130, -v127, v128, 1.0
	v_fmac_f32_e32 v128, v130, v128
	v_div_scale_f32 v130, vcc_lo, 1.0, v126, 1.0
	s_delay_alu instid0(VALU_DEP_1) | instskip(NEXT) | instid1(VALU_DEP_1)
	v_mul_f32_e32 v131, v130, v128
	v_fma_f32 v132, -v127, v131, v130
	s_delay_alu instid0(VALU_DEP_1) | instskip(NEXT) | instid1(VALU_DEP_1)
	v_fmac_f32_e32 v131, v132, v128
	v_fma_f32 v127, -v127, v131, v130
	s_delay_alu instid0(VALU_DEP_1) | instskip(NEXT) | instid1(VALU_DEP_1)
	v_div_fmas_f32 v127, v127, v128, v131
	v_div_fixup_f32 v128, v127, v126, 1.0
	s_delay_alu instid0(VALU_DEP_1)
	v_mul_f32_e64 v129, v129, -v128
.LBB61_7:
	s_or_b32 exec_lo, exec_lo, s2
	ds_store_b64 v189, v[128:129]
.LBB61_8:
	s_or_b32 exec_lo, exec_lo, s4
	s_wait_loadcnt_dscnt 0x0
	s_barrier_signal -1
	s_barrier_wait -1
	ds_load_b64 v[126:127], v189
	s_and_saveexec_b32 s2, s1
	s_cbranch_execz .LBB61_10
; %bb.9:
	ds_load_2addr_b64 v[132:135], v190 offset0:1 offset1:2
	s_wait_dscnt 0x1
	v_pk_mul_f32 v[130:131], v[126:127], v[52:53] op_sel:[1,1] op_sel_hi:[0,1]
	s_delay_alu instid0(VALU_DEP_1) | instskip(SKIP_1) | instid1(VALU_DEP_1)
	v_pk_fma_f32 v[128:129], v[126:127], v[52:53], v[130:131] op_sel_hi:[1,0,1] neg_lo:[0,0,1] neg_hi:[0,0,1]
	v_pk_fma_f32 v[130:131], v[126:127], v[52:53], v[130:131] op_sel_hi:[1,0,1]
	v_dual_mov_b32 v52, v128 :: v_dual_mov_b32 v53, v131
	s_wait_dscnt 0x0
	s_delay_alu instid0(VALU_DEP_2) | instskip(NEXT) | instid1(VALU_DEP_1)
	v_pk_mul_f32 v[136:137], v[132:133], v[130:131] op_sel:[0,1]
	v_pk_fma_f32 v[138:139], v[132:133], v[128:129], v[136:137] op_sel:[0,0,1] op_sel_hi:[1,1,0] neg_lo:[0,0,1] neg_hi:[0,0,1]
	v_pk_fma_f32 v[132:133], v[132:133], v[128:129], v[136:137] op_sel:[0,0,1] op_sel_hi:[1,0,0]
	s_delay_alu instid0(VALU_DEP_1) | instskip(SKIP_1) | instid1(VALU_DEP_1)
	v_mov_b32_e32 v139, v133
	v_pk_mul_f32 v[132:133], v[134:135], v[130:131] op_sel:[0,1]
	v_pk_fma_f32 v[136:137], v[134:135], v[128:129], v[132:133] op_sel:[0,0,1] op_sel_hi:[1,1,0] neg_lo:[0,0,1] neg_hi:[0,0,1]
	v_pk_fma_f32 v[132:133], v[134:135], v[128:129], v[132:133] op_sel:[0,0,1] op_sel_hi:[1,0,0]
	s_delay_alu instid0(VALU_DEP_1)
	v_mov_b32_e32 v137, v133
	ds_load_2addr_b64 v[132:135], v190 offset0:3 offset1:4
	v_pk_add_f32 v[54:55], v[54:55], v[138:139] neg_lo:[0,1] neg_hi:[0,1]
	v_pk_add_f32 v[44:45], v[44:45], v[136:137] neg_lo:[0,1] neg_hi:[0,1]
	s_wait_dscnt 0x0
	v_pk_mul_f32 v[136:137], v[132:133], v[130:131] op_sel:[0,1]
	s_delay_alu instid0(VALU_DEP_1) | instskip(SKIP_2) | instid1(VALU_DEP_2)
	v_pk_fma_f32 v[138:139], v[132:133], v[128:129], v[136:137] op_sel:[0,0,1] op_sel_hi:[1,1,0] neg_lo:[0,0,1] neg_hi:[0,0,1]
	v_pk_fma_f32 v[132:133], v[132:133], v[128:129], v[136:137] op_sel:[0,0,1] op_sel_hi:[1,0,0]
	v_dual_mul_f32 v136, v135, v131 :: v_dual_mov_b32 v132, v135
	v_dual_mov_b32 v139, v133 :: v_dual_mov_b32 v133, v134
	s_delay_alu instid0(VALU_DEP_2) | instskip(SKIP_1) | instid1(VALU_DEP_3)
	v_pk_fma_f32 v[136:137], v[134:135], v[52:53], v[136:137] op_sel_hi:[1,1,0] neg_lo:[0,0,1] neg_hi:[0,0,1]
	v_mul_f32_e32 v134, v135, v128
	v_pk_add_f32 v[42:43], v[42:43], v[138:139] neg_lo:[0,1] neg_hi:[0,1]
	s_delay_alu instid0(VALU_DEP_2) | instskip(NEXT) | instid1(VALU_DEP_1)
	v_pk_fma_f32 v[132:133], v[132:133], v[52:53], v[134:135] op_sel_hi:[1,1,0]
	v_mov_b32_e32 v137, v133
	ds_load_2addr_b64 v[132:135], v190 offset0:5 offset1:6
	v_pk_add_f32 v[28:29], v[28:29], v[136:137] neg_lo:[0,1] neg_hi:[0,1]
	s_wait_dscnt 0x0
	v_pk_mul_f32 v[136:137], v[132:133], v[130:131] op_sel:[0,1]
	s_delay_alu instid0(VALU_DEP_1) | instskip(SKIP_1) | instid1(VALU_DEP_1)
	v_pk_fma_f32 v[138:139], v[132:133], v[128:129], v[136:137] op_sel:[0,0,1] op_sel_hi:[1,1,0] neg_lo:[0,0,1] neg_hi:[0,0,1]
	v_pk_fma_f32 v[132:133], v[132:133], v[128:129], v[136:137] op_sel:[0,0,1] op_sel_hi:[1,0,0]
	v_mov_b32_e32 v139, v133
	v_pk_mul_f32 v[132:133], v[134:135], v[130:131] op_sel:[0,1]
	s_delay_alu instid0(VALU_DEP_1) | instskip(SKIP_1) | instid1(VALU_DEP_1)
	v_pk_fma_f32 v[136:137], v[134:135], v[128:129], v[132:133] op_sel:[0,0,1] op_sel_hi:[1,1,0] neg_lo:[0,0,1] neg_hi:[0,0,1]
	v_pk_fma_f32 v[132:133], v[134:135], v[128:129], v[132:133] op_sel:[0,0,1] op_sel_hi:[1,0,0]
	v_mov_b32_e32 v137, v133
	ds_load_2addr_b64 v[132:135], v190 offset0:7 offset1:8
	v_pk_add_f32 v[24:25], v[24:25], v[138:139] neg_lo:[0,1] neg_hi:[0,1]
	v_pk_add_f32 v[26:27], v[26:27], v[136:137] neg_lo:[0,1] neg_hi:[0,1]
	s_wait_dscnt 0x0
	v_pk_mul_f32 v[136:137], v[132:133], v[130:131] op_sel:[0,1]
	s_delay_alu instid0(VALU_DEP_1) | instskip(SKIP_1) | instid1(VALU_DEP_1)
	v_pk_fma_f32 v[138:139], v[132:133], v[128:129], v[136:137] op_sel:[0,0,1] op_sel_hi:[1,1,0] neg_lo:[0,0,1] neg_hi:[0,0,1]
	v_pk_fma_f32 v[132:133], v[132:133], v[128:129], v[136:137] op_sel:[0,0,1] op_sel_hi:[1,0,0]
	v_mov_b32_e32 v139, v133
	v_pk_mul_f32 v[132:133], v[134:135], v[130:131] op_sel:[0,1]
	s_delay_alu instid0(VALU_DEP_1) | instskip(SKIP_1) | instid1(VALU_DEP_1)
	v_pk_fma_f32 v[136:137], v[134:135], v[128:129], v[132:133] op_sel:[0,0,1] op_sel_hi:[1,1,0] neg_lo:[0,0,1] neg_hi:[0,0,1]
	v_pk_fma_f32 v[132:133], v[134:135], v[128:129], v[132:133] op_sel:[0,0,1] op_sel_hi:[1,0,0]
	v_mov_b32_e32 v137, v133
	ds_load_2addr_b64 v[132:135], v190 offset0:9 offset1:10
	v_pk_add_f32 v[22:23], v[22:23], v[138:139] neg_lo:[0,1] neg_hi:[0,1]
	v_pk_add_f32 v[38:39], v[38:39], v[136:137] neg_lo:[0,1] neg_hi:[0,1]
	s_wait_dscnt 0x0
	v_dual_mul_f32 v136, v133, v131 :: v_dual_mul_f32 v138, v133, v128
	s_delay_alu instid0(VALU_DEP_1) | instskip(NEXT) | instid1(VALU_DEP_2)
	v_pk_fma_f32 v[136:137], v[132:133], v[52:53], v[136:137] op_sel_hi:[1,1,0] neg_lo:[0,0,1] neg_hi:[0,0,1]
	v_pk_fma_f32 v[132:133], v[132:133], v[52:53], v[138:139] op_sel:[1,0,0] op_sel_hi:[0,1,0]
	s_delay_alu instid0(VALU_DEP_1) | instskip(SKIP_1) | instid1(VALU_DEP_2)
	v_mov_b32_e32 v137, v133
	v_pk_mul_f32 v[132:133], v[134:135], v[130:131] op_sel:[0,1]
	v_pk_add_f32 v[88:89], v[88:89], v[136:137] neg_lo:[0,1] neg_hi:[0,1]
	s_delay_alu instid0(VALU_DEP_2) | instskip(SKIP_1) | instid1(VALU_DEP_1)
	v_pk_fma_f32 v[136:137], v[134:135], v[128:129], v[132:133] op_sel:[0,0,1] op_sel_hi:[1,1,0] neg_lo:[0,0,1] neg_hi:[0,0,1]
	v_pk_fma_f32 v[132:133], v[134:135], v[128:129], v[132:133] op_sel:[0,0,1] op_sel_hi:[1,0,0]
	v_mov_b32_e32 v137, v133
	ds_load_2addr_b64 v[132:135], v190 offset0:11 offset1:12
	v_pk_add_f32 v[90:91], v[90:91], v[136:137] neg_lo:[0,1] neg_hi:[0,1]
	s_wait_dscnt 0x0
	v_pk_mul_f32 v[136:137], v[132:133], v[130:131] op_sel:[0,1]
	s_delay_alu instid0(VALU_DEP_1) | instskip(SKIP_1) | instid1(VALU_DEP_1)
	v_pk_fma_f32 v[138:139], v[132:133], v[128:129], v[136:137] op_sel:[0,0,1] op_sel_hi:[1,1,0] neg_lo:[0,0,1] neg_hi:[0,0,1]
	v_pk_fma_f32 v[132:133], v[132:133], v[128:129], v[136:137] op_sel:[0,0,1] op_sel_hi:[1,0,0]
	v_mov_b32_e32 v139, v133
	v_pk_mul_f32 v[132:133], v[134:135], v[130:131] op_sel:[0,1]
	s_delay_alu instid0(VALU_DEP_2) | instskip(NEXT) | instid1(VALU_DEP_2)
	v_pk_add_f32 v[36:37], v[36:37], v[138:139] neg_lo:[0,1] neg_hi:[0,1]
	v_pk_fma_f32 v[136:137], v[134:135], v[128:129], v[132:133] op_sel:[0,0,1] op_sel_hi:[1,1,0] neg_lo:[0,0,1] neg_hi:[0,0,1]
	v_pk_fma_f32 v[132:133], v[134:135], v[128:129], v[132:133] op_sel:[0,0,1] op_sel_hi:[1,0,0]
	s_delay_alu instid0(VALU_DEP_1) | instskip(SKIP_4) | instid1(VALU_DEP_1)
	v_mov_b32_e32 v137, v133
	ds_load_2addr_b64 v[132:135], v190 offset0:13 offset1:14
	v_pk_add_f32 v[62:63], v[62:63], v[136:137] neg_lo:[0,1] neg_hi:[0,1]
	s_wait_dscnt 0x0
	v_pk_mul_f32 v[136:137], v[132:133], v[130:131] op_sel:[0,1]
	v_pk_fma_f32 v[138:139], v[132:133], v[128:129], v[136:137] op_sel:[0,0,1] op_sel_hi:[1,1,0] neg_lo:[0,0,1] neg_hi:[0,0,1]
	v_pk_fma_f32 v[132:133], v[132:133], v[128:129], v[136:137] op_sel:[0,0,1] op_sel_hi:[1,0,0]
	v_dual_mul_f32 v136, v135, v131 :: v_dual_mov_b32 v132, v135
	s_delay_alu instid0(VALU_DEP_2) | instskip(NEXT) | instid1(VALU_DEP_2)
	v_dual_mov_b32 v139, v133 :: v_dual_mov_b32 v133, v134
	v_pk_fma_f32 v[136:137], v[134:135], v[52:53], v[136:137] op_sel_hi:[1,1,0] neg_lo:[0,0,1] neg_hi:[0,0,1]
	v_mul_f32_e32 v134, v135, v128
	s_delay_alu instid0(VALU_DEP_3) | instskip(NEXT) | instid1(VALU_DEP_2)
	v_pk_add_f32 v[58:59], v[58:59], v[138:139] neg_lo:[0,1] neg_hi:[0,1]
	v_pk_fma_f32 v[132:133], v[132:133], v[52:53], v[134:135] op_sel_hi:[1,1,0]
	s_delay_alu instid0(VALU_DEP_1) | instskip(SKIP_4) | instid1(VALU_DEP_1)
	v_mov_b32_e32 v137, v133
	ds_load_2addr_b64 v[132:135], v190 offset0:15 offset1:16
	v_pk_add_f32 v[60:61], v[60:61], v[136:137] neg_lo:[0,1] neg_hi:[0,1]
	s_wait_dscnt 0x0
	v_pk_mul_f32 v[136:137], v[132:133], v[130:131] op_sel:[0,1]
	v_pk_fma_f32 v[138:139], v[132:133], v[128:129], v[136:137] op_sel:[0,0,1] op_sel_hi:[1,1,0] neg_lo:[0,0,1] neg_hi:[0,0,1]
	v_pk_fma_f32 v[132:133], v[132:133], v[128:129], v[136:137] op_sel:[0,0,1] op_sel_hi:[1,0,0]
	s_delay_alu instid0(VALU_DEP_1) | instskip(SKIP_1) | instid1(VALU_DEP_1)
	v_mov_b32_e32 v139, v133
	v_pk_mul_f32 v[132:133], v[134:135], v[130:131] op_sel:[0,1]
	v_pk_fma_f32 v[136:137], v[134:135], v[128:129], v[132:133] op_sel:[0,0,1] op_sel_hi:[1,1,0] neg_lo:[0,0,1] neg_hi:[0,0,1]
	v_pk_fma_f32 v[132:133], v[134:135], v[128:129], v[132:133] op_sel:[0,0,1] op_sel_hi:[1,0,0]
	s_delay_alu instid0(VALU_DEP_1)
	v_mov_b32_e32 v137, v133
	ds_load_2addr_b64 v[132:135], v190 offset0:17 offset1:18
	v_pk_add_f32 v[56:57], v[56:57], v[138:139] neg_lo:[0,1] neg_hi:[0,1]
	v_pk_add_f32 v[78:79], v[78:79], v[136:137] neg_lo:[0,1] neg_hi:[0,1]
	s_wait_dscnt 0x0
	v_pk_mul_f32 v[136:137], v[132:133], v[130:131] op_sel:[0,1]
	s_delay_alu instid0(VALU_DEP_1) | instskip(SKIP_1) | instid1(VALU_DEP_1)
	v_pk_fma_f32 v[138:139], v[132:133], v[128:129], v[136:137] op_sel:[0,0,1] op_sel_hi:[1,1,0] neg_lo:[0,0,1] neg_hi:[0,0,1]
	v_pk_fma_f32 v[132:133], v[132:133], v[128:129], v[136:137] op_sel:[0,0,1] op_sel_hi:[1,0,0]
	v_mov_b32_e32 v139, v133
	v_pk_mul_f32 v[132:133], v[134:135], v[130:131] op_sel:[0,1]
	s_delay_alu instid0(VALU_DEP_1) | instskip(SKIP_1) | instid1(VALU_DEP_1)
	v_pk_fma_f32 v[136:137], v[134:135], v[128:129], v[132:133] op_sel:[0,0,1] op_sel_hi:[1,1,0] neg_lo:[0,0,1] neg_hi:[0,0,1]
	v_pk_fma_f32 v[132:133], v[134:135], v[128:129], v[132:133] op_sel:[0,0,1] op_sel_hi:[1,0,0]
	v_mov_b32_e32 v137, v133
	ds_load_2addr_b64 v[132:135], v190 offset0:19 offset1:20
	v_pk_add_f32 v[74:75], v[74:75], v[138:139] neg_lo:[0,1] neg_hi:[0,1]
	v_pk_add_f32 v[76:77], v[76:77], v[136:137] neg_lo:[0,1] neg_hi:[0,1]
	s_wait_dscnt 0x0
	v_dual_mul_f32 v136, v133, v131 :: v_dual_mul_f32 v138, v133, v128
	s_delay_alu instid0(VALU_DEP_1) | instskip(NEXT) | instid1(VALU_DEP_2)
	v_pk_fma_f32 v[136:137], v[132:133], v[52:53], v[136:137] op_sel_hi:[1,1,0] neg_lo:[0,0,1] neg_hi:[0,0,1]
	v_pk_fma_f32 v[132:133], v[132:133], v[52:53], v[138:139] op_sel:[1,0,0] op_sel_hi:[0,1,0]
	s_delay_alu instid0(VALU_DEP_1) | instskip(SKIP_1) | instid1(VALU_DEP_2)
	v_mov_b32_e32 v137, v133
	v_pk_mul_f32 v[132:133], v[134:135], v[130:131] op_sel:[0,1]
	v_pk_add_f32 v[72:73], v[72:73], v[136:137] neg_lo:[0,1] neg_hi:[0,1]
	s_delay_alu instid0(VALU_DEP_2) | instskip(SKIP_1) | instid1(VALU_DEP_1)
	v_pk_fma_f32 v[136:137], v[134:135], v[128:129], v[132:133] op_sel:[0,0,1] op_sel_hi:[1,1,0] neg_lo:[0,0,1] neg_hi:[0,0,1]
	v_pk_fma_f32 v[132:133], v[134:135], v[128:129], v[132:133] op_sel:[0,0,1] op_sel_hi:[1,0,0]
	v_mov_b32_e32 v137, v133
	ds_load_2addr_b64 v[132:135], v190 offset0:21 offset1:22
	v_pk_add_f32 v[100:101], v[100:101], v[136:137] neg_lo:[0,1] neg_hi:[0,1]
	s_wait_dscnt 0x0
	v_pk_mul_f32 v[136:137], v[132:133], v[130:131] op_sel:[0,1]
	s_delay_alu instid0(VALU_DEP_1) | instskip(SKIP_1) | instid1(VALU_DEP_1)
	v_pk_fma_f32 v[138:139], v[132:133], v[128:129], v[136:137] op_sel:[0,0,1] op_sel_hi:[1,1,0] neg_lo:[0,0,1] neg_hi:[0,0,1]
	v_pk_fma_f32 v[132:133], v[132:133], v[128:129], v[136:137] op_sel:[0,0,1] op_sel_hi:[1,0,0]
	v_mov_b32_e32 v139, v133
	v_pk_mul_f32 v[132:133], v[134:135], v[130:131] op_sel:[0,1]
	s_delay_alu instid0(VALU_DEP_2) | instskip(NEXT) | instid1(VALU_DEP_2)
	v_pk_add_f32 v[96:97], v[96:97], v[138:139] neg_lo:[0,1] neg_hi:[0,1]
	v_pk_fma_f32 v[136:137], v[134:135], v[128:129], v[132:133] op_sel:[0,0,1] op_sel_hi:[1,1,0] neg_lo:[0,0,1] neg_hi:[0,0,1]
	v_pk_fma_f32 v[132:133], v[134:135], v[128:129], v[132:133] op_sel:[0,0,1] op_sel_hi:[1,0,0]
	s_delay_alu instid0(VALU_DEP_1) | instskip(SKIP_4) | instid1(VALU_DEP_1)
	v_mov_b32_e32 v137, v133
	ds_load_2addr_b64 v[132:135], v190 offset0:23 offset1:24
	v_pk_add_f32 v[98:99], v[98:99], v[136:137] neg_lo:[0,1] neg_hi:[0,1]
	s_wait_dscnt 0x0
	v_pk_mul_f32 v[136:137], v[132:133], v[130:131] op_sel:[0,1]
	v_pk_fma_f32 v[138:139], v[132:133], v[128:129], v[136:137] op_sel:[0,0,1] op_sel_hi:[1,1,0] neg_lo:[0,0,1] neg_hi:[0,0,1]
	v_pk_fma_f32 v[132:133], v[132:133], v[128:129], v[136:137] op_sel:[0,0,1] op_sel_hi:[1,0,0]
	v_dual_mul_f32 v136, v135, v131 :: v_dual_mov_b32 v132, v135
	s_delay_alu instid0(VALU_DEP_2) | instskip(NEXT) | instid1(VALU_DEP_2)
	v_dual_mov_b32 v139, v133 :: v_dual_mov_b32 v133, v134
	v_pk_fma_f32 v[136:137], v[134:135], v[52:53], v[136:137] op_sel_hi:[1,1,0] neg_lo:[0,0,1] neg_hi:[0,0,1]
	v_mul_f32_e32 v134, v135, v128
	s_delay_alu instid0(VALU_DEP_3) | instskip(NEXT) | instid1(VALU_DEP_2)
	v_pk_add_f32 v[94:95], v[94:95], v[138:139] neg_lo:[0,1] neg_hi:[0,1]
	v_pk_fma_f32 v[132:133], v[132:133], v[52:53], v[134:135] op_sel_hi:[1,1,0]
	s_delay_alu instid0(VALU_DEP_1) | instskip(SKIP_4) | instid1(VALU_DEP_1)
	v_mov_b32_e32 v137, v133
	ds_load_2addr_b64 v[132:135], v190 offset0:25 offset1:26
	v_pk_add_f32 v[116:117], v[116:117], v[136:137] neg_lo:[0,1] neg_hi:[0,1]
	s_wait_dscnt 0x0
	v_pk_mul_f32 v[136:137], v[132:133], v[130:131] op_sel:[0,1]
	v_pk_fma_f32 v[138:139], v[132:133], v[128:129], v[136:137] op_sel:[0,0,1] op_sel_hi:[1,1,0] neg_lo:[0,0,1] neg_hi:[0,0,1]
	v_pk_fma_f32 v[132:133], v[132:133], v[128:129], v[136:137] op_sel:[0,0,1] op_sel_hi:[1,0,0]
	s_delay_alu instid0(VALU_DEP_1) | instskip(SKIP_1) | instid1(VALU_DEP_1)
	v_mov_b32_e32 v139, v133
	v_pk_mul_f32 v[132:133], v[134:135], v[130:131] op_sel:[0,1]
	v_pk_fma_f32 v[136:137], v[134:135], v[128:129], v[132:133] op_sel:[0,0,1] op_sel_hi:[1,1,0] neg_lo:[0,0,1] neg_hi:[0,0,1]
	v_pk_fma_f32 v[132:133], v[134:135], v[128:129], v[132:133] op_sel:[0,0,1] op_sel_hi:[1,0,0]
	s_delay_alu instid0(VALU_DEP_1)
	v_mov_b32_e32 v137, v133
	ds_load_2addr_b64 v[132:135], v190 offset0:27 offset1:28
	v_pk_add_f32 v[112:113], v[112:113], v[138:139] neg_lo:[0,1] neg_hi:[0,1]
	v_pk_add_f32 v[114:115], v[114:115], v[136:137] neg_lo:[0,1] neg_hi:[0,1]
	s_wait_dscnt 0x0
	v_pk_mul_f32 v[136:137], v[132:133], v[130:131] op_sel:[0,1]
	s_delay_alu instid0(VALU_DEP_1) | instskip(SKIP_1) | instid1(VALU_DEP_1)
	v_pk_fma_f32 v[138:139], v[132:133], v[128:129], v[136:137] op_sel:[0,0,1] op_sel_hi:[1,1,0] neg_lo:[0,0,1] neg_hi:[0,0,1]
	v_pk_fma_f32 v[132:133], v[132:133], v[128:129], v[136:137] op_sel:[0,0,1] op_sel_hi:[1,0,0]
	v_mov_b32_e32 v139, v133
	v_pk_mul_f32 v[132:133], v[134:135], v[130:131] op_sel:[0,1]
	s_delay_alu instid0(VALU_DEP_1) | instskip(SKIP_1) | instid1(VALU_DEP_1)
	v_pk_fma_f32 v[136:137], v[134:135], v[128:129], v[132:133] op_sel:[0,0,1] op_sel_hi:[1,1,0] neg_lo:[0,0,1] neg_hi:[0,0,1]
	v_pk_fma_f32 v[132:133], v[134:135], v[128:129], v[132:133] op_sel:[0,0,1] op_sel_hi:[1,0,0]
	v_mov_b32_e32 v137, v133
	ds_load_2addr_b64 v[132:135], v190 offset0:29 offset1:30
	v_pk_add_f32 v[122:123], v[122:123], v[138:139] neg_lo:[0,1] neg_hi:[0,1]
	v_pk_add_f32 v[120:121], v[120:121], v[136:137] neg_lo:[0,1] neg_hi:[0,1]
	s_wait_dscnt 0x0
	v_mul_f32_e32 v130, v133, v131
	s_delay_alu instid0(VALU_DEP_1) | instskip(SKIP_1) | instid1(VALU_DEP_1)
	v_pk_fma_f32 v[136:137], v[132:133], v[52:53], v[130:131] op_sel_hi:[1,1,0] neg_lo:[0,0,1] neg_hi:[0,0,1]
	v_dual_mul_f32 v130, v133, v128 :: v_dual_mul_f32 v128, v135, v128
	v_pk_fma_f32 v[132:133], v[132:133], v[52:53], v[130:131] op_sel:[1,0,0] op_sel_hi:[0,1,0]
	v_dual_mov_b32 v132, v135 :: v_dual_mul_f32 v130, v135, v131
	s_delay_alu instid0(VALU_DEP_2) | instskip(NEXT) | instid1(VALU_DEP_2)
	v_dual_mov_b32 v137, v133 :: v_dual_mov_b32 v133, v134
	v_pk_fma_f32 v[130:131], v[134:135], v[52:53], v[130:131] op_sel_hi:[1,1,0] neg_lo:[0,0,1] neg_hi:[0,0,1]
	s_delay_alu instid0(VALU_DEP_2) | instskip(NEXT) | instid1(VALU_DEP_3)
	v_pk_add_f32 v[118:119], v[118:119], v[136:137] neg_lo:[0,1] neg_hi:[0,1]
	v_pk_fma_f32 v[128:129], v[132:133], v[52:53], v[128:129] op_sel_hi:[1,1,0]
	s_delay_alu instid0(VALU_DEP_1) | instskip(NEXT) | instid1(VALU_DEP_1)
	v_mov_b32_e32 v131, v129
	v_pk_add_f32 v[124:125], v[124:125], v[130:131] neg_lo:[0,1] neg_hi:[0,1]
.LBB61_10:
	s_or_b32 exec_lo, exec_lo, s2
	s_delay_alu instid0(SALU_CYCLE_1)
	s_mov_b32 s2, exec_lo
	s_wait_dscnt 0x0
	s_barrier_signal -1
	s_barrier_wait -1
	v_cmpx_eq_u32_e32 1, v188
	s_cbranch_execz .LBB61_17
; %bb.11:
	v_dual_mov_b32 v128, v44 :: v_dual_mov_b32 v129, v45
	v_dual_mov_b32 v130, v42 :: v_dual_mov_b32 v131, v43
	ds_store_b64 v189, v[54:55]
	ds_store_2addr_b64 v190, v[128:129], v[130:131] offset0:2 offset1:3
	v_dual_mov_b32 v128, v28 :: v_dual_mov_b32 v129, v29
	v_dual_mov_b32 v130, v24 :: v_dual_mov_b32 v131, v25
	ds_store_2addr_b64 v190, v[128:129], v[130:131] offset0:4 offset1:5
	v_dual_mov_b32 v128, v26 :: v_dual_mov_b32 v129, v27
	v_dual_mov_b32 v130, v22 :: v_dual_mov_b32 v131, v23
	;; [unrolled: 3-line block ×13, first 2 shown]
	ds_store_2addr_b64 v190, v[128:129], v[130:131] offset0:28 offset1:29
	ds_store_b64 v190, v[124:125] offset:240
	ds_load_b64 v[128:129], v189
	s_wait_dscnt 0x0
	v_cmp_neq_f32_e32 vcc_lo, 0, v128
	v_cmp_neq_f32_e64 s1, 0, v129
	s_or_b32 s1, vcc_lo, s1
	s_delay_alu instid0(SALU_CYCLE_1)
	s_and_b32 exec_lo, exec_lo, s1
	s_cbranch_execz .LBB61_17
; %bb.12:
	v_cmp_ngt_f32_e64 s1, |v128|, |v129|
                                        ; implicit-def: $vgpr130_vgpr131
	s_and_saveexec_b32 s4, s1
	s_delay_alu instid0(SALU_CYCLE_1)
	s_xor_b32 s1, exec_lo, s4
	s_cbranch_execz .LBB61_14
; %bb.13:
	v_div_scale_f32 v130, null, v129, v129, v128
	v_div_scale_f32 v133, vcc_lo, v128, v129, v128
	s_delay_alu instid0(VALU_DEP_2) | instskip(SKIP_1) | instid1(TRANS32_DEP_1)
	v_rcp_f32_e32 v131, v130
	v_nop
	v_fma_f32 v132, -v130, v131, 1.0
	s_delay_alu instid0(VALU_DEP_1) | instskip(NEXT) | instid1(VALU_DEP_1)
	v_fmac_f32_e32 v131, v132, v131
	v_mul_f32_e32 v132, v133, v131
	s_delay_alu instid0(VALU_DEP_1) | instskip(NEXT) | instid1(VALU_DEP_1)
	v_fma_f32 v134, -v130, v132, v133
	v_fmac_f32_e32 v132, v134, v131
	s_delay_alu instid0(VALU_DEP_1) | instskip(NEXT) | instid1(VALU_DEP_1)
	v_fma_f32 v130, -v130, v132, v133
	v_div_fmas_f32 v130, v130, v131, v132
	s_delay_alu instid0(VALU_DEP_1) | instskip(NEXT) | instid1(VALU_DEP_1)
	v_div_fixup_f32 v130, v130, v129, v128
	v_fmac_f32_e32 v129, v128, v130
	s_delay_alu instid0(VALU_DEP_1) | instskip(SKIP_1) | instid1(VALU_DEP_2)
	v_div_scale_f32 v128, null, v129, v129, 1.0
	v_div_scale_f32 v133, vcc_lo, 1.0, v129, 1.0
	v_rcp_f32_e32 v131, v128
	v_nop
	s_delay_alu instid0(TRANS32_DEP_1) | instskip(NEXT) | instid1(VALU_DEP_1)
	v_fma_f32 v132, -v128, v131, 1.0
	v_fmac_f32_e32 v131, v132, v131
	s_delay_alu instid0(VALU_DEP_1) | instskip(NEXT) | instid1(VALU_DEP_1)
	v_mul_f32_e32 v132, v133, v131
	v_fma_f32 v134, -v128, v132, v133
	s_delay_alu instid0(VALU_DEP_1) | instskip(NEXT) | instid1(VALU_DEP_1)
	v_fmac_f32_e32 v132, v134, v131
	v_fma_f32 v128, -v128, v132, v133
	s_delay_alu instid0(VALU_DEP_1) | instskip(NEXT) | instid1(VALU_DEP_1)
	v_div_fmas_f32 v128, v128, v131, v132
	v_div_fixup_f32 v128, v128, v129, 1.0
	s_delay_alu instid0(VALU_DEP_1)
	v_mul_f32_e32 v130, v130, v128
	v_xor_b32_e32 v131, 0x80000000, v128
                                        ; implicit-def: $vgpr128_vgpr129
.LBB61_14:
	s_and_not1_saveexec_b32 s1, s1
	s_cbranch_execz .LBB61_16
; %bb.15:
	v_div_scale_f32 v130, null, v128, v128, v129
	v_div_scale_f32 v133, vcc_lo, v129, v128, v129
	s_delay_alu instid0(VALU_DEP_2) | instskip(SKIP_1) | instid1(TRANS32_DEP_1)
	v_rcp_f32_e32 v131, v130
	v_nop
	v_fma_f32 v132, -v130, v131, 1.0
	s_delay_alu instid0(VALU_DEP_1) | instskip(NEXT) | instid1(VALU_DEP_1)
	v_fmac_f32_e32 v131, v132, v131
	v_mul_f32_e32 v132, v133, v131
	s_delay_alu instid0(VALU_DEP_1) | instskip(NEXT) | instid1(VALU_DEP_1)
	v_fma_f32 v134, -v130, v132, v133
	v_fmac_f32_e32 v132, v134, v131
	s_delay_alu instid0(VALU_DEP_1) | instskip(NEXT) | instid1(VALU_DEP_1)
	v_fma_f32 v130, -v130, v132, v133
	v_div_fmas_f32 v130, v130, v131, v132
	s_delay_alu instid0(VALU_DEP_1) | instskip(NEXT) | instid1(VALU_DEP_1)
	v_div_fixup_f32 v131, v130, v128, v129
	v_fmac_f32_e32 v128, v129, v131
	s_delay_alu instid0(VALU_DEP_1) | instskip(NEXT) | instid1(VALU_DEP_1)
	v_div_scale_f32 v129, null, v128, v128, 1.0
	v_rcp_f32_e32 v130, v129
	v_nop
	s_delay_alu instid0(TRANS32_DEP_1) | instskip(NEXT) | instid1(VALU_DEP_1)
	v_fma_f32 v132, -v129, v130, 1.0
	v_fmac_f32_e32 v130, v132, v130
	v_div_scale_f32 v132, vcc_lo, 1.0, v128, 1.0
	s_delay_alu instid0(VALU_DEP_1) | instskip(NEXT) | instid1(VALU_DEP_1)
	v_mul_f32_e32 v133, v132, v130
	v_fma_f32 v134, -v129, v133, v132
	s_delay_alu instid0(VALU_DEP_1) | instskip(NEXT) | instid1(VALU_DEP_1)
	v_fmac_f32_e32 v133, v134, v130
	v_fma_f32 v129, -v129, v133, v132
	s_delay_alu instid0(VALU_DEP_1) | instskip(NEXT) | instid1(VALU_DEP_1)
	v_div_fmas_f32 v129, v129, v130, v133
	v_div_fixup_f32 v130, v129, v128, 1.0
	s_delay_alu instid0(VALU_DEP_1)
	v_mul_f32_e64 v131, v131, -v130
.LBB61_16:
	s_or_b32 exec_lo, exec_lo, s1
	ds_store_b64 v189, v[130:131]
.LBB61_17:
	s_or_b32 exec_lo, exec_lo, s2
	s_wait_dscnt 0x0
	s_barrier_signal -1
	s_barrier_wait -1
	ds_load_b64 v[128:129], v189
	s_mov_b32 s1, exec_lo
	v_cmpx_lt_u32_e32 1, v188
	s_cbranch_execz .LBB61_19
; %bb.18:
	ds_load_2addr_b64 v[134:137], v190 offset0:2 offset1:3
	s_wait_dscnt 0x1
	v_pk_mul_f32 v[132:133], v[128:129], v[54:55] op_sel:[1,1] op_sel_hi:[0,1]
	s_delay_alu instid0(VALU_DEP_1) | instskip(SKIP_1) | instid1(VALU_DEP_1)
	v_pk_fma_f32 v[130:131], v[128:129], v[54:55], v[132:133] op_sel_hi:[1,0,1] neg_lo:[0,0,1] neg_hi:[0,0,1]
	v_pk_fma_f32 v[132:133], v[128:129], v[54:55], v[132:133] op_sel_hi:[1,0,1]
	v_dual_mov_b32 v54, v130 :: v_dual_mov_b32 v55, v133
	s_wait_dscnt 0x0
	s_delay_alu instid0(VALU_DEP_2) | instskip(NEXT) | instid1(VALU_DEP_1)
	v_pk_mul_f32 v[138:139], v[134:135], v[132:133] op_sel:[0,1]
	v_pk_fma_f32 v[140:141], v[134:135], v[130:131], v[138:139] op_sel:[0,0,1] op_sel_hi:[1,1,0] neg_lo:[0,0,1] neg_hi:[0,0,1]
	v_pk_fma_f32 v[134:135], v[134:135], v[130:131], v[138:139] op_sel:[0,0,1] op_sel_hi:[1,0,0]
	s_delay_alu instid0(VALU_DEP_1) | instskip(SKIP_1) | instid1(VALU_DEP_1)
	v_mov_b32_e32 v141, v135
	v_pk_mul_f32 v[134:135], v[136:137], v[132:133] op_sel:[0,1]
	v_pk_fma_f32 v[138:139], v[136:137], v[130:131], v[134:135] op_sel:[0,0,1] op_sel_hi:[1,1,0] neg_lo:[0,0,1] neg_hi:[0,0,1]
	v_pk_fma_f32 v[134:135], v[136:137], v[130:131], v[134:135] op_sel:[0,0,1] op_sel_hi:[1,0,0]
	s_delay_alu instid0(VALU_DEP_1)
	v_mov_b32_e32 v139, v135
	ds_load_2addr_b64 v[134:137], v190 offset0:4 offset1:5
	v_pk_add_f32 v[44:45], v[44:45], v[140:141] neg_lo:[0,1] neg_hi:[0,1]
	v_pk_add_f32 v[42:43], v[42:43], v[138:139] neg_lo:[0,1] neg_hi:[0,1]
	s_wait_dscnt 0x0
	v_pk_mul_f32 v[138:139], v[134:135], v[132:133] op_sel:[0,1]
	s_delay_alu instid0(VALU_DEP_1) | instskip(SKIP_2) | instid1(VALU_DEP_2)
	v_pk_fma_f32 v[140:141], v[134:135], v[130:131], v[138:139] op_sel:[0,0,1] op_sel_hi:[1,1,0] neg_lo:[0,0,1] neg_hi:[0,0,1]
	v_pk_fma_f32 v[134:135], v[134:135], v[130:131], v[138:139] op_sel:[0,0,1] op_sel_hi:[1,0,0]
	v_dual_mul_f32 v138, v137, v133 :: v_dual_mov_b32 v134, v137
	v_dual_mov_b32 v141, v135 :: v_dual_mov_b32 v135, v136
	s_delay_alu instid0(VALU_DEP_2) | instskip(SKIP_1) | instid1(VALU_DEP_3)
	v_pk_fma_f32 v[138:139], v[136:137], v[54:55], v[138:139] op_sel_hi:[1,1,0] neg_lo:[0,0,1] neg_hi:[0,0,1]
	v_mul_f32_e32 v136, v137, v130
	v_pk_add_f32 v[28:29], v[28:29], v[140:141] neg_lo:[0,1] neg_hi:[0,1]
	s_delay_alu instid0(VALU_DEP_2) | instskip(NEXT) | instid1(VALU_DEP_1)
	v_pk_fma_f32 v[134:135], v[134:135], v[54:55], v[136:137] op_sel_hi:[1,1,0]
	v_mov_b32_e32 v139, v135
	ds_load_2addr_b64 v[134:137], v190 offset0:6 offset1:7
	v_pk_add_f32 v[24:25], v[24:25], v[138:139] neg_lo:[0,1] neg_hi:[0,1]
	s_wait_dscnt 0x0
	v_pk_mul_f32 v[138:139], v[134:135], v[132:133] op_sel:[0,1]
	s_delay_alu instid0(VALU_DEP_1) | instskip(SKIP_1) | instid1(VALU_DEP_1)
	v_pk_fma_f32 v[140:141], v[134:135], v[130:131], v[138:139] op_sel:[0,0,1] op_sel_hi:[1,1,0] neg_lo:[0,0,1] neg_hi:[0,0,1]
	v_pk_fma_f32 v[134:135], v[134:135], v[130:131], v[138:139] op_sel:[0,0,1] op_sel_hi:[1,0,0]
	v_mov_b32_e32 v141, v135
	v_pk_mul_f32 v[134:135], v[136:137], v[132:133] op_sel:[0,1]
	s_delay_alu instid0(VALU_DEP_1) | instskip(SKIP_1) | instid1(VALU_DEP_1)
	v_pk_fma_f32 v[138:139], v[136:137], v[130:131], v[134:135] op_sel:[0,0,1] op_sel_hi:[1,1,0] neg_lo:[0,0,1] neg_hi:[0,0,1]
	v_pk_fma_f32 v[134:135], v[136:137], v[130:131], v[134:135] op_sel:[0,0,1] op_sel_hi:[1,0,0]
	v_mov_b32_e32 v139, v135
	ds_load_2addr_b64 v[134:137], v190 offset0:8 offset1:9
	v_pk_add_f32 v[26:27], v[26:27], v[140:141] neg_lo:[0,1] neg_hi:[0,1]
	v_pk_add_f32 v[22:23], v[22:23], v[138:139] neg_lo:[0,1] neg_hi:[0,1]
	s_wait_dscnt 0x0
	v_pk_mul_f32 v[138:139], v[134:135], v[132:133] op_sel:[0,1]
	s_delay_alu instid0(VALU_DEP_1) | instskip(SKIP_1) | instid1(VALU_DEP_1)
	v_pk_fma_f32 v[140:141], v[134:135], v[130:131], v[138:139] op_sel:[0,0,1] op_sel_hi:[1,1,0] neg_lo:[0,0,1] neg_hi:[0,0,1]
	v_pk_fma_f32 v[134:135], v[134:135], v[130:131], v[138:139] op_sel:[0,0,1] op_sel_hi:[1,0,0]
	v_mov_b32_e32 v141, v135
	v_pk_mul_f32 v[134:135], v[136:137], v[132:133] op_sel:[0,1]
	s_delay_alu instid0(VALU_DEP_1) | instskip(SKIP_1) | instid1(VALU_DEP_1)
	v_pk_fma_f32 v[138:139], v[136:137], v[130:131], v[134:135] op_sel:[0,0,1] op_sel_hi:[1,1,0] neg_lo:[0,0,1] neg_hi:[0,0,1]
	v_pk_fma_f32 v[134:135], v[136:137], v[130:131], v[134:135] op_sel:[0,0,1] op_sel_hi:[1,0,0]
	v_mov_b32_e32 v139, v135
	ds_load_2addr_b64 v[134:137], v190 offset0:10 offset1:11
	v_pk_add_f32 v[38:39], v[38:39], v[140:141] neg_lo:[0,1] neg_hi:[0,1]
	v_pk_add_f32 v[88:89], v[88:89], v[138:139] neg_lo:[0,1] neg_hi:[0,1]
	s_wait_dscnt 0x0
	v_dual_mul_f32 v138, v135, v133 :: v_dual_mul_f32 v140, v135, v130
	s_delay_alu instid0(VALU_DEP_1) | instskip(NEXT) | instid1(VALU_DEP_2)
	v_pk_fma_f32 v[138:139], v[134:135], v[54:55], v[138:139] op_sel_hi:[1,1,0] neg_lo:[0,0,1] neg_hi:[0,0,1]
	v_pk_fma_f32 v[134:135], v[134:135], v[54:55], v[140:141] op_sel:[1,0,0] op_sel_hi:[0,1,0]
	s_delay_alu instid0(VALU_DEP_1) | instskip(SKIP_1) | instid1(VALU_DEP_2)
	v_mov_b32_e32 v139, v135
	v_pk_mul_f32 v[134:135], v[136:137], v[132:133] op_sel:[0,1]
	v_pk_add_f32 v[90:91], v[90:91], v[138:139] neg_lo:[0,1] neg_hi:[0,1]
	s_delay_alu instid0(VALU_DEP_2) | instskip(SKIP_1) | instid1(VALU_DEP_1)
	v_pk_fma_f32 v[138:139], v[136:137], v[130:131], v[134:135] op_sel:[0,0,1] op_sel_hi:[1,1,0] neg_lo:[0,0,1] neg_hi:[0,0,1]
	v_pk_fma_f32 v[134:135], v[136:137], v[130:131], v[134:135] op_sel:[0,0,1] op_sel_hi:[1,0,0]
	v_mov_b32_e32 v139, v135
	ds_load_2addr_b64 v[134:137], v190 offset0:12 offset1:13
	v_pk_add_f32 v[36:37], v[36:37], v[138:139] neg_lo:[0,1] neg_hi:[0,1]
	s_wait_dscnt 0x0
	v_pk_mul_f32 v[138:139], v[134:135], v[132:133] op_sel:[0,1]
	s_delay_alu instid0(VALU_DEP_1) | instskip(SKIP_1) | instid1(VALU_DEP_1)
	v_pk_fma_f32 v[140:141], v[134:135], v[130:131], v[138:139] op_sel:[0,0,1] op_sel_hi:[1,1,0] neg_lo:[0,0,1] neg_hi:[0,0,1]
	v_pk_fma_f32 v[134:135], v[134:135], v[130:131], v[138:139] op_sel:[0,0,1] op_sel_hi:[1,0,0]
	v_mov_b32_e32 v141, v135
	v_pk_mul_f32 v[134:135], v[136:137], v[132:133] op_sel:[0,1]
	s_delay_alu instid0(VALU_DEP_2) | instskip(NEXT) | instid1(VALU_DEP_2)
	v_pk_add_f32 v[62:63], v[62:63], v[140:141] neg_lo:[0,1] neg_hi:[0,1]
	v_pk_fma_f32 v[138:139], v[136:137], v[130:131], v[134:135] op_sel:[0,0,1] op_sel_hi:[1,1,0] neg_lo:[0,0,1] neg_hi:[0,0,1]
	v_pk_fma_f32 v[134:135], v[136:137], v[130:131], v[134:135] op_sel:[0,0,1] op_sel_hi:[1,0,0]
	s_delay_alu instid0(VALU_DEP_1) | instskip(SKIP_4) | instid1(VALU_DEP_1)
	v_mov_b32_e32 v139, v135
	ds_load_2addr_b64 v[134:137], v190 offset0:14 offset1:15
	v_pk_add_f32 v[58:59], v[58:59], v[138:139] neg_lo:[0,1] neg_hi:[0,1]
	s_wait_dscnt 0x0
	v_pk_mul_f32 v[138:139], v[134:135], v[132:133] op_sel:[0,1]
	v_pk_fma_f32 v[140:141], v[134:135], v[130:131], v[138:139] op_sel:[0,0,1] op_sel_hi:[1,1,0] neg_lo:[0,0,1] neg_hi:[0,0,1]
	v_pk_fma_f32 v[134:135], v[134:135], v[130:131], v[138:139] op_sel:[0,0,1] op_sel_hi:[1,0,0]
	v_dual_mul_f32 v138, v137, v133 :: v_dual_mov_b32 v134, v137
	s_delay_alu instid0(VALU_DEP_2) | instskip(NEXT) | instid1(VALU_DEP_2)
	v_dual_mov_b32 v141, v135 :: v_dual_mov_b32 v135, v136
	v_pk_fma_f32 v[138:139], v[136:137], v[54:55], v[138:139] op_sel_hi:[1,1,0] neg_lo:[0,0,1] neg_hi:[0,0,1]
	v_mul_f32_e32 v136, v137, v130
	s_delay_alu instid0(VALU_DEP_3) | instskip(NEXT) | instid1(VALU_DEP_2)
	v_pk_add_f32 v[60:61], v[60:61], v[140:141] neg_lo:[0,1] neg_hi:[0,1]
	v_pk_fma_f32 v[134:135], v[134:135], v[54:55], v[136:137] op_sel_hi:[1,1,0]
	s_delay_alu instid0(VALU_DEP_1) | instskip(SKIP_4) | instid1(VALU_DEP_1)
	v_mov_b32_e32 v139, v135
	ds_load_2addr_b64 v[134:137], v190 offset0:16 offset1:17
	v_pk_add_f32 v[56:57], v[56:57], v[138:139] neg_lo:[0,1] neg_hi:[0,1]
	s_wait_dscnt 0x0
	v_pk_mul_f32 v[138:139], v[134:135], v[132:133] op_sel:[0,1]
	v_pk_fma_f32 v[140:141], v[134:135], v[130:131], v[138:139] op_sel:[0,0,1] op_sel_hi:[1,1,0] neg_lo:[0,0,1] neg_hi:[0,0,1]
	v_pk_fma_f32 v[134:135], v[134:135], v[130:131], v[138:139] op_sel:[0,0,1] op_sel_hi:[1,0,0]
	s_delay_alu instid0(VALU_DEP_1) | instskip(SKIP_1) | instid1(VALU_DEP_1)
	v_mov_b32_e32 v141, v135
	v_pk_mul_f32 v[134:135], v[136:137], v[132:133] op_sel:[0,1]
	v_pk_fma_f32 v[138:139], v[136:137], v[130:131], v[134:135] op_sel:[0,0,1] op_sel_hi:[1,1,0] neg_lo:[0,0,1] neg_hi:[0,0,1]
	v_pk_fma_f32 v[134:135], v[136:137], v[130:131], v[134:135] op_sel:[0,0,1] op_sel_hi:[1,0,0]
	s_delay_alu instid0(VALU_DEP_1)
	v_mov_b32_e32 v139, v135
	ds_load_2addr_b64 v[134:137], v190 offset0:18 offset1:19
	v_pk_add_f32 v[78:79], v[78:79], v[140:141] neg_lo:[0,1] neg_hi:[0,1]
	v_pk_add_f32 v[74:75], v[74:75], v[138:139] neg_lo:[0,1] neg_hi:[0,1]
	s_wait_dscnt 0x0
	v_pk_mul_f32 v[138:139], v[134:135], v[132:133] op_sel:[0,1]
	s_delay_alu instid0(VALU_DEP_1) | instskip(SKIP_1) | instid1(VALU_DEP_1)
	v_pk_fma_f32 v[140:141], v[134:135], v[130:131], v[138:139] op_sel:[0,0,1] op_sel_hi:[1,1,0] neg_lo:[0,0,1] neg_hi:[0,0,1]
	v_pk_fma_f32 v[134:135], v[134:135], v[130:131], v[138:139] op_sel:[0,0,1] op_sel_hi:[1,0,0]
	v_mov_b32_e32 v141, v135
	v_pk_mul_f32 v[134:135], v[136:137], v[132:133] op_sel:[0,1]
	s_delay_alu instid0(VALU_DEP_1) | instskip(SKIP_1) | instid1(VALU_DEP_1)
	v_pk_fma_f32 v[138:139], v[136:137], v[130:131], v[134:135] op_sel:[0,0,1] op_sel_hi:[1,1,0] neg_lo:[0,0,1] neg_hi:[0,0,1]
	v_pk_fma_f32 v[134:135], v[136:137], v[130:131], v[134:135] op_sel:[0,0,1] op_sel_hi:[1,0,0]
	v_mov_b32_e32 v139, v135
	ds_load_2addr_b64 v[134:137], v190 offset0:20 offset1:21
	v_pk_add_f32 v[76:77], v[76:77], v[140:141] neg_lo:[0,1] neg_hi:[0,1]
	v_pk_add_f32 v[72:73], v[72:73], v[138:139] neg_lo:[0,1] neg_hi:[0,1]
	s_wait_dscnt 0x0
	v_dual_mul_f32 v138, v135, v133 :: v_dual_mul_f32 v140, v135, v130
	s_delay_alu instid0(VALU_DEP_1) | instskip(NEXT) | instid1(VALU_DEP_2)
	v_pk_fma_f32 v[138:139], v[134:135], v[54:55], v[138:139] op_sel_hi:[1,1,0] neg_lo:[0,0,1] neg_hi:[0,0,1]
	v_pk_fma_f32 v[134:135], v[134:135], v[54:55], v[140:141] op_sel:[1,0,0] op_sel_hi:[0,1,0]
	s_delay_alu instid0(VALU_DEP_1) | instskip(SKIP_1) | instid1(VALU_DEP_2)
	v_mov_b32_e32 v139, v135
	v_pk_mul_f32 v[134:135], v[136:137], v[132:133] op_sel:[0,1]
	v_pk_add_f32 v[100:101], v[100:101], v[138:139] neg_lo:[0,1] neg_hi:[0,1]
	s_delay_alu instid0(VALU_DEP_2) | instskip(SKIP_1) | instid1(VALU_DEP_1)
	v_pk_fma_f32 v[138:139], v[136:137], v[130:131], v[134:135] op_sel:[0,0,1] op_sel_hi:[1,1,0] neg_lo:[0,0,1] neg_hi:[0,0,1]
	v_pk_fma_f32 v[134:135], v[136:137], v[130:131], v[134:135] op_sel:[0,0,1] op_sel_hi:[1,0,0]
	v_mov_b32_e32 v139, v135
	ds_load_2addr_b64 v[134:137], v190 offset0:22 offset1:23
	v_pk_add_f32 v[96:97], v[96:97], v[138:139] neg_lo:[0,1] neg_hi:[0,1]
	s_wait_dscnt 0x0
	v_pk_mul_f32 v[138:139], v[134:135], v[132:133] op_sel:[0,1]
	s_delay_alu instid0(VALU_DEP_1) | instskip(SKIP_1) | instid1(VALU_DEP_1)
	v_pk_fma_f32 v[140:141], v[134:135], v[130:131], v[138:139] op_sel:[0,0,1] op_sel_hi:[1,1,0] neg_lo:[0,0,1] neg_hi:[0,0,1]
	v_pk_fma_f32 v[134:135], v[134:135], v[130:131], v[138:139] op_sel:[0,0,1] op_sel_hi:[1,0,0]
	v_mov_b32_e32 v141, v135
	v_pk_mul_f32 v[134:135], v[136:137], v[132:133] op_sel:[0,1]
	s_delay_alu instid0(VALU_DEP_2) | instskip(NEXT) | instid1(VALU_DEP_2)
	v_pk_add_f32 v[98:99], v[98:99], v[140:141] neg_lo:[0,1] neg_hi:[0,1]
	v_pk_fma_f32 v[138:139], v[136:137], v[130:131], v[134:135] op_sel:[0,0,1] op_sel_hi:[1,1,0] neg_lo:[0,0,1] neg_hi:[0,0,1]
	v_pk_fma_f32 v[134:135], v[136:137], v[130:131], v[134:135] op_sel:[0,0,1] op_sel_hi:[1,0,0]
	s_delay_alu instid0(VALU_DEP_1) | instskip(SKIP_4) | instid1(VALU_DEP_1)
	v_mov_b32_e32 v139, v135
	ds_load_2addr_b64 v[134:137], v190 offset0:24 offset1:25
	v_pk_add_f32 v[94:95], v[94:95], v[138:139] neg_lo:[0,1] neg_hi:[0,1]
	s_wait_dscnt 0x0
	v_pk_mul_f32 v[138:139], v[134:135], v[132:133] op_sel:[0,1]
	v_pk_fma_f32 v[140:141], v[134:135], v[130:131], v[138:139] op_sel:[0,0,1] op_sel_hi:[1,1,0] neg_lo:[0,0,1] neg_hi:[0,0,1]
	v_pk_fma_f32 v[134:135], v[134:135], v[130:131], v[138:139] op_sel:[0,0,1] op_sel_hi:[1,0,0]
	v_dual_mul_f32 v138, v137, v133 :: v_dual_mov_b32 v134, v137
	s_delay_alu instid0(VALU_DEP_2) | instskip(NEXT) | instid1(VALU_DEP_2)
	v_dual_mov_b32 v141, v135 :: v_dual_mov_b32 v135, v136
	v_pk_fma_f32 v[138:139], v[136:137], v[54:55], v[138:139] op_sel_hi:[1,1,0] neg_lo:[0,0,1] neg_hi:[0,0,1]
	v_mul_f32_e32 v136, v137, v130
	s_delay_alu instid0(VALU_DEP_3) | instskip(NEXT) | instid1(VALU_DEP_2)
	v_pk_add_f32 v[116:117], v[116:117], v[140:141] neg_lo:[0,1] neg_hi:[0,1]
	v_pk_fma_f32 v[134:135], v[134:135], v[54:55], v[136:137] op_sel_hi:[1,1,0]
	s_delay_alu instid0(VALU_DEP_1) | instskip(SKIP_4) | instid1(VALU_DEP_1)
	v_mov_b32_e32 v139, v135
	ds_load_2addr_b64 v[134:137], v190 offset0:26 offset1:27
	v_pk_add_f32 v[112:113], v[112:113], v[138:139] neg_lo:[0,1] neg_hi:[0,1]
	s_wait_dscnt 0x0
	v_pk_mul_f32 v[138:139], v[134:135], v[132:133] op_sel:[0,1]
	v_pk_fma_f32 v[140:141], v[134:135], v[130:131], v[138:139] op_sel:[0,0,1] op_sel_hi:[1,1,0] neg_lo:[0,0,1] neg_hi:[0,0,1]
	v_pk_fma_f32 v[134:135], v[134:135], v[130:131], v[138:139] op_sel:[0,0,1] op_sel_hi:[1,0,0]
	s_delay_alu instid0(VALU_DEP_1) | instskip(SKIP_1) | instid1(VALU_DEP_1)
	v_mov_b32_e32 v141, v135
	v_pk_mul_f32 v[134:135], v[136:137], v[132:133] op_sel:[0,1]
	v_pk_fma_f32 v[138:139], v[136:137], v[130:131], v[134:135] op_sel:[0,0,1] op_sel_hi:[1,1,0] neg_lo:[0,0,1] neg_hi:[0,0,1]
	v_pk_fma_f32 v[134:135], v[136:137], v[130:131], v[134:135] op_sel:[0,0,1] op_sel_hi:[1,0,0]
	s_delay_alu instid0(VALU_DEP_1)
	v_mov_b32_e32 v139, v135
	ds_load_2addr_b64 v[134:137], v190 offset0:28 offset1:29
	v_pk_add_f32 v[114:115], v[114:115], v[140:141] neg_lo:[0,1] neg_hi:[0,1]
	v_pk_add_f32 v[122:123], v[122:123], v[138:139] neg_lo:[0,1] neg_hi:[0,1]
	s_wait_dscnt 0x0
	v_pk_mul_f32 v[138:139], v[134:135], v[132:133] op_sel:[0,1]
	s_delay_alu instid0(VALU_DEP_1) | instskip(SKIP_1) | instid1(VALU_DEP_1)
	v_pk_fma_f32 v[140:141], v[134:135], v[130:131], v[138:139] op_sel:[0,0,1] op_sel_hi:[1,1,0] neg_lo:[0,0,1] neg_hi:[0,0,1]
	v_pk_fma_f32 v[134:135], v[134:135], v[130:131], v[138:139] op_sel:[0,0,1] op_sel_hi:[1,0,0]
	v_mov_b32_e32 v141, v135
	v_pk_mul_f32 v[134:135], v[136:137], v[132:133] op_sel:[0,1]
	s_delay_alu instid0(VALU_DEP_1) | instskip(SKIP_1) | instid1(VALU_DEP_1)
	v_pk_fma_f32 v[138:139], v[136:137], v[130:131], v[134:135] op_sel:[0,0,1] op_sel_hi:[1,1,0] neg_lo:[0,0,1] neg_hi:[0,0,1]
	v_pk_fma_f32 v[134:135], v[136:137], v[130:131], v[134:135] op_sel:[0,0,1] op_sel_hi:[1,0,0]
	v_mov_b32_e32 v139, v135
	ds_load_b64 v[134:135], v190 offset:240
	v_pk_add_f32 v[120:121], v[120:121], v[140:141] neg_lo:[0,1] neg_hi:[0,1]
	v_pk_add_f32 v[118:119], v[118:119], v[138:139] neg_lo:[0,1] neg_hi:[0,1]
	s_wait_dscnt 0x0
	v_pk_mul_f32 v[132:133], v[134:135], v[132:133] op_sel:[0,1]
	s_delay_alu instid0(VALU_DEP_1) | instskip(SKIP_1) | instid1(VALU_DEP_1)
	v_pk_fma_f32 v[136:137], v[134:135], v[130:131], v[132:133] op_sel:[0,0,1] op_sel_hi:[1,1,0] neg_lo:[0,0,1] neg_hi:[0,0,1]
	v_pk_fma_f32 v[130:131], v[134:135], v[130:131], v[132:133] op_sel:[0,0,1] op_sel_hi:[1,0,0]
	v_mov_b32_e32 v137, v131
	s_delay_alu instid0(VALU_DEP_1)
	v_pk_add_f32 v[124:125], v[124:125], v[136:137] neg_lo:[0,1] neg_hi:[0,1]
.LBB61_19:
	s_or_b32 exec_lo, exec_lo, s1
	s_delay_alu instid0(SALU_CYCLE_1)
	s_mov_b32 s2, exec_lo
	s_wait_dscnt 0x0
	s_barrier_signal -1
	s_barrier_wait -1
	v_cmpx_eq_u32_e32 2, v188
	s_cbranch_execz .LBB61_26
; %bb.20:
	ds_store_b64 v189, v[44:45]
	ds_store_2addr_b64 v190, v[42:43], v[28:29] offset0:3 offset1:4
	ds_store_2addr_b64 v190, v[24:25], v[26:27] offset0:5 offset1:6
	;; [unrolled: 1-line block ×14, first 2 shown]
	ds_load_b64 v[130:131], v189
	s_wait_dscnt 0x0
	v_cmp_neq_f32_e32 vcc_lo, 0, v130
	v_cmp_neq_f32_e64 s1, 0, v131
	s_or_b32 s1, vcc_lo, s1
	s_delay_alu instid0(SALU_CYCLE_1)
	s_and_b32 exec_lo, exec_lo, s1
	s_cbranch_execz .LBB61_26
; %bb.21:
	v_cmp_ngt_f32_e64 s1, |v130|, |v131|
                                        ; implicit-def: $vgpr132_vgpr133
	s_and_saveexec_b32 s4, s1
	s_delay_alu instid0(SALU_CYCLE_1)
	s_xor_b32 s1, exec_lo, s4
	s_cbranch_execz .LBB61_23
; %bb.22:
	v_div_scale_f32 v132, null, v131, v131, v130
	v_div_scale_f32 v135, vcc_lo, v130, v131, v130
	s_delay_alu instid0(VALU_DEP_2) | instskip(SKIP_1) | instid1(TRANS32_DEP_1)
	v_rcp_f32_e32 v133, v132
	v_nop
	v_fma_f32 v134, -v132, v133, 1.0
	s_delay_alu instid0(VALU_DEP_1) | instskip(NEXT) | instid1(VALU_DEP_1)
	v_fmac_f32_e32 v133, v134, v133
	v_mul_f32_e32 v134, v135, v133
	s_delay_alu instid0(VALU_DEP_1) | instskip(NEXT) | instid1(VALU_DEP_1)
	v_fma_f32 v136, -v132, v134, v135
	v_fmac_f32_e32 v134, v136, v133
	s_delay_alu instid0(VALU_DEP_1) | instskip(NEXT) | instid1(VALU_DEP_1)
	v_fma_f32 v132, -v132, v134, v135
	v_div_fmas_f32 v132, v132, v133, v134
	s_delay_alu instid0(VALU_DEP_1) | instskip(NEXT) | instid1(VALU_DEP_1)
	v_div_fixup_f32 v132, v132, v131, v130
	v_fmac_f32_e32 v131, v130, v132
	s_delay_alu instid0(VALU_DEP_1) | instskip(SKIP_1) | instid1(VALU_DEP_2)
	v_div_scale_f32 v130, null, v131, v131, 1.0
	v_div_scale_f32 v135, vcc_lo, 1.0, v131, 1.0
	v_rcp_f32_e32 v133, v130
	v_nop
	s_delay_alu instid0(TRANS32_DEP_1) | instskip(NEXT) | instid1(VALU_DEP_1)
	v_fma_f32 v134, -v130, v133, 1.0
	v_fmac_f32_e32 v133, v134, v133
	s_delay_alu instid0(VALU_DEP_1) | instskip(NEXT) | instid1(VALU_DEP_1)
	v_mul_f32_e32 v134, v135, v133
	v_fma_f32 v136, -v130, v134, v135
	s_delay_alu instid0(VALU_DEP_1) | instskip(NEXT) | instid1(VALU_DEP_1)
	v_fmac_f32_e32 v134, v136, v133
	v_fma_f32 v130, -v130, v134, v135
	s_delay_alu instid0(VALU_DEP_1) | instskip(NEXT) | instid1(VALU_DEP_1)
	v_div_fmas_f32 v130, v130, v133, v134
	v_div_fixup_f32 v130, v130, v131, 1.0
	s_delay_alu instid0(VALU_DEP_1)
	v_mul_f32_e32 v132, v132, v130
	v_xor_b32_e32 v133, 0x80000000, v130
                                        ; implicit-def: $vgpr130_vgpr131
.LBB61_23:
	s_and_not1_saveexec_b32 s1, s1
	s_cbranch_execz .LBB61_25
; %bb.24:
	v_div_scale_f32 v132, null, v130, v130, v131
	v_div_scale_f32 v135, vcc_lo, v131, v130, v131
	s_delay_alu instid0(VALU_DEP_2) | instskip(SKIP_1) | instid1(TRANS32_DEP_1)
	v_rcp_f32_e32 v133, v132
	v_nop
	v_fma_f32 v134, -v132, v133, 1.0
	s_delay_alu instid0(VALU_DEP_1) | instskip(NEXT) | instid1(VALU_DEP_1)
	v_fmac_f32_e32 v133, v134, v133
	v_mul_f32_e32 v134, v135, v133
	s_delay_alu instid0(VALU_DEP_1) | instskip(NEXT) | instid1(VALU_DEP_1)
	v_fma_f32 v136, -v132, v134, v135
	v_fmac_f32_e32 v134, v136, v133
	s_delay_alu instid0(VALU_DEP_1) | instskip(NEXT) | instid1(VALU_DEP_1)
	v_fma_f32 v132, -v132, v134, v135
	v_div_fmas_f32 v132, v132, v133, v134
	s_delay_alu instid0(VALU_DEP_1) | instskip(NEXT) | instid1(VALU_DEP_1)
	v_div_fixup_f32 v133, v132, v130, v131
	v_fmac_f32_e32 v130, v131, v133
	s_delay_alu instid0(VALU_DEP_1) | instskip(NEXT) | instid1(VALU_DEP_1)
	v_div_scale_f32 v131, null, v130, v130, 1.0
	v_rcp_f32_e32 v132, v131
	v_nop
	s_delay_alu instid0(TRANS32_DEP_1) | instskip(NEXT) | instid1(VALU_DEP_1)
	v_fma_f32 v134, -v131, v132, 1.0
	v_fmac_f32_e32 v132, v134, v132
	v_div_scale_f32 v134, vcc_lo, 1.0, v130, 1.0
	s_delay_alu instid0(VALU_DEP_1) | instskip(NEXT) | instid1(VALU_DEP_1)
	v_mul_f32_e32 v135, v134, v132
	v_fma_f32 v136, -v131, v135, v134
	s_delay_alu instid0(VALU_DEP_1) | instskip(NEXT) | instid1(VALU_DEP_1)
	v_fmac_f32_e32 v135, v136, v132
	v_fma_f32 v131, -v131, v135, v134
	s_delay_alu instid0(VALU_DEP_1) | instskip(NEXT) | instid1(VALU_DEP_1)
	v_div_fmas_f32 v131, v131, v132, v135
	v_div_fixup_f32 v132, v131, v130, 1.0
	s_delay_alu instid0(VALU_DEP_1)
	v_mul_f32_e64 v133, v133, -v132
.LBB61_25:
	s_or_b32 exec_lo, exec_lo, s1
	ds_store_b64 v189, v[132:133]
.LBB61_26:
	s_or_b32 exec_lo, exec_lo, s2
	s_wait_dscnt 0x0
	s_barrier_signal -1
	s_barrier_wait -1
	ds_load_b64 v[130:131], v189
	s_mov_b32 s1, exec_lo
	v_cmpx_lt_u32_e32 2, v188
	s_cbranch_execz .LBB61_28
; %bb.27:
	ds_load_2addr_b64 v[136:139], v190 offset0:3 offset1:4
	s_wait_dscnt 0x1
	v_pk_mul_f32 v[134:135], v[130:131], v[44:45] op_sel:[1,1] op_sel_hi:[0,1]
	s_delay_alu instid0(VALU_DEP_1) | instskip(SKIP_1) | instid1(VALU_DEP_1)
	v_pk_fma_f32 v[132:133], v[130:131], v[44:45], v[134:135] op_sel_hi:[1,0,1] neg_lo:[0,0,1] neg_hi:[0,0,1]
	v_pk_fma_f32 v[134:135], v[130:131], v[44:45], v[134:135] op_sel_hi:[1,0,1]
	v_dual_mov_b32 v44, v132 :: v_dual_mov_b32 v45, v135
	s_wait_dscnt 0x0
	s_delay_alu instid0(VALU_DEP_2) | instskip(NEXT) | instid1(VALU_DEP_1)
	v_pk_mul_f32 v[140:141], v[136:137], v[134:135] op_sel:[0,1]
	v_pk_fma_f32 v[142:143], v[136:137], v[132:133], v[140:141] op_sel:[0,0,1] op_sel_hi:[1,1,0] neg_lo:[0,0,1] neg_hi:[0,0,1]
	v_pk_fma_f32 v[136:137], v[136:137], v[132:133], v[140:141] op_sel:[0,0,1] op_sel_hi:[1,0,0]
	s_delay_alu instid0(VALU_DEP_1) | instskip(SKIP_1) | instid1(VALU_DEP_1)
	v_mov_b32_e32 v143, v137
	v_pk_mul_f32 v[136:137], v[138:139], v[134:135] op_sel:[0,1]
	v_pk_fma_f32 v[140:141], v[138:139], v[132:133], v[136:137] op_sel:[0,0,1] op_sel_hi:[1,1,0] neg_lo:[0,0,1] neg_hi:[0,0,1]
	v_pk_fma_f32 v[136:137], v[138:139], v[132:133], v[136:137] op_sel:[0,0,1] op_sel_hi:[1,0,0]
	s_delay_alu instid0(VALU_DEP_1)
	v_mov_b32_e32 v141, v137
	ds_load_2addr_b64 v[136:139], v190 offset0:5 offset1:6
	v_pk_add_f32 v[42:43], v[42:43], v[142:143] neg_lo:[0,1] neg_hi:[0,1]
	v_pk_add_f32 v[28:29], v[28:29], v[140:141] neg_lo:[0,1] neg_hi:[0,1]
	s_wait_dscnt 0x0
	v_pk_mul_f32 v[140:141], v[136:137], v[134:135] op_sel:[0,1]
	s_delay_alu instid0(VALU_DEP_1) | instskip(SKIP_2) | instid1(VALU_DEP_2)
	v_pk_fma_f32 v[142:143], v[136:137], v[132:133], v[140:141] op_sel:[0,0,1] op_sel_hi:[1,1,0] neg_lo:[0,0,1] neg_hi:[0,0,1]
	v_pk_fma_f32 v[136:137], v[136:137], v[132:133], v[140:141] op_sel:[0,0,1] op_sel_hi:[1,0,0]
	v_dual_mul_f32 v140, v139, v135 :: v_dual_mov_b32 v136, v139
	v_dual_mov_b32 v143, v137 :: v_dual_mov_b32 v137, v138
	s_delay_alu instid0(VALU_DEP_2) | instskip(SKIP_1) | instid1(VALU_DEP_3)
	v_pk_fma_f32 v[140:141], v[138:139], v[44:45], v[140:141] op_sel_hi:[1,1,0] neg_lo:[0,0,1] neg_hi:[0,0,1]
	v_mul_f32_e32 v138, v139, v132
	v_pk_add_f32 v[24:25], v[24:25], v[142:143] neg_lo:[0,1] neg_hi:[0,1]
	s_delay_alu instid0(VALU_DEP_2) | instskip(NEXT) | instid1(VALU_DEP_1)
	v_pk_fma_f32 v[136:137], v[136:137], v[44:45], v[138:139] op_sel_hi:[1,1,0]
	v_mov_b32_e32 v141, v137
	ds_load_2addr_b64 v[136:139], v190 offset0:7 offset1:8
	v_pk_add_f32 v[26:27], v[26:27], v[140:141] neg_lo:[0,1] neg_hi:[0,1]
	s_wait_dscnt 0x0
	v_pk_mul_f32 v[140:141], v[136:137], v[134:135] op_sel:[0,1]
	s_delay_alu instid0(VALU_DEP_1) | instskip(SKIP_1) | instid1(VALU_DEP_1)
	v_pk_fma_f32 v[142:143], v[136:137], v[132:133], v[140:141] op_sel:[0,0,1] op_sel_hi:[1,1,0] neg_lo:[0,0,1] neg_hi:[0,0,1]
	v_pk_fma_f32 v[136:137], v[136:137], v[132:133], v[140:141] op_sel:[0,0,1] op_sel_hi:[1,0,0]
	v_mov_b32_e32 v143, v137
	v_pk_mul_f32 v[136:137], v[138:139], v[134:135] op_sel:[0,1]
	s_delay_alu instid0(VALU_DEP_1) | instskip(SKIP_1) | instid1(VALU_DEP_1)
	v_pk_fma_f32 v[140:141], v[138:139], v[132:133], v[136:137] op_sel:[0,0,1] op_sel_hi:[1,1,0] neg_lo:[0,0,1] neg_hi:[0,0,1]
	v_pk_fma_f32 v[136:137], v[138:139], v[132:133], v[136:137] op_sel:[0,0,1] op_sel_hi:[1,0,0]
	v_mov_b32_e32 v141, v137
	ds_load_2addr_b64 v[136:139], v190 offset0:9 offset1:10
	v_pk_add_f32 v[22:23], v[22:23], v[142:143] neg_lo:[0,1] neg_hi:[0,1]
	v_pk_add_f32 v[38:39], v[38:39], v[140:141] neg_lo:[0,1] neg_hi:[0,1]
	s_wait_dscnt 0x0
	v_pk_mul_f32 v[140:141], v[136:137], v[134:135] op_sel:[0,1]
	s_delay_alu instid0(VALU_DEP_1) | instskip(SKIP_1) | instid1(VALU_DEP_1)
	v_pk_fma_f32 v[142:143], v[136:137], v[132:133], v[140:141] op_sel:[0,0,1] op_sel_hi:[1,1,0] neg_lo:[0,0,1] neg_hi:[0,0,1]
	v_pk_fma_f32 v[136:137], v[136:137], v[132:133], v[140:141] op_sel:[0,0,1] op_sel_hi:[1,0,0]
	v_mov_b32_e32 v143, v137
	v_pk_mul_f32 v[136:137], v[138:139], v[134:135] op_sel:[0,1]
	s_delay_alu instid0(VALU_DEP_1) | instskip(SKIP_1) | instid1(VALU_DEP_1)
	v_pk_fma_f32 v[140:141], v[138:139], v[132:133], v[136:137] op_sel:[0,0,1] op_sel_hi:[1,1,0] neg_lo:[0,0,1] neg_hi:[0,0,1]
	v_pk_fma_f32 v[136:137], v[138:139], v[132:133], v[136:137] op_sel:[0,0,1] op_sel_hi:[1,0,0]
	v_mov_b32_e32 v141, v137
	ds_load_2addr_b64 v[136:139], v190 offset0:11 offset1:12
	v_pk_add_f32 v[88:89], v[88:89], v[142:143] neg_lo:[0,1] neg_hi:[0,1]
	v_pk_add_f32 v[90:91], v[90:91], v[140:141] neg_lo:[0,1] neg_hi:[0,1]
	s_wait_dscnt 0x0
	v_dual_mul_f32 v140, v137, v135 :: v_dual_mul_f32 v142, v137, v132
	s_delay_alu instid0(VALU_DEP_1) | instskip(NEXT) | instid1(VALU_DEP_2)
	v_pk_fma_f32 v[140:141], v[136:137], v[44:45], v[140:141] op_sel_hi:[1,1,0] neg_lo:[0,0,1] neg_hi:[0,0,1]
	v_pk_fma_f32 v[136:137], v[136:137], v[44:45], v[142:143] op_sel:[1,0,0] op_sel_hi:[0,1,0]
	s_delay_alu instid0(VALU_DEP_1) | instskip(SKIP_1) | instid1(VALU_DEP_2)
	v_mov_b32_e32 v141, v137
	v_pk_mul_f32 v[136:137], v[138:139], v[134:135] op_sel:[0,1]
	v_pk_add_f32 v[36:37], v[36:37], v[140:141] neg_lo:[0,1] neg_hi:[0,1]
	s_delay_alu instid0(VALU_DEP_2) | instskip(SKIP_1) | instid1(VALU_DEP_1)
	v_pk_fma_f32 v[140:141], v[138:139], v[132:133], v[136:137] op_sel:[0,0,1] op_sel_hi:[1,1,0] neg_lo:[0,0,1] neg_hi:[0,0,1]
	v_pk_fma_f32 v[136:137], v[138:139], v[132:133], v[136:137] op_sel:[0,0,1] op_sel_hi:[1,0,0]
	v_mov_b32_e32 v141, v137
	ds_load_2addr_b64 v[136:139], v190 offset0:13 offset1:14
	v_pk_add_f32 v[62:63], v[62:63], v[140:141] neg_lo:[0,1] neg_hi:[0,1]
	s_wait_dscnt 0x0
	v_pk_mul_f32 v[140:141], v[136:137], v[134:135] op_sel:[0,1]
	s_delay_alu instid0(VALU_DEP_1) | instskip(SKIP_1) | instid1(VALU_DEP_1)
	v_pk_fma_f32 v[142:143], v[136:137], v[132:133], v[140:141] op_sel:[0,0,1] op_sel_hi:[1,1,0] neg_lo:[0,0,1] neg_hi:[0,0,1]
	v_pk_fma_f32 v[136:137], v[136:137], v[132:133], v[140:141] op_sel:[0,0,1] op_sel_hi:[1,0,0]
	v_mov_b32_e32 v143, v137
	v_pk_mul_f32 v[136:137], v[138:139], v[134:135] op_sel:[0,1]
	s_delay_alu instid0(VALU_DEP_2) | instskip(NEXT) | instid1(VALU_DEP_2)
	v_pk_add_f32 v[58:59], v[58:59], v[142:143] neg_lo:[0,1] neg_hi:[0,1]
	v_pk_fma_f32 v[140:141], v[138:139], v[132:133], v[136:137] op_sel:[0,0,1] op_sel_hi:[1,1,0] neg_lo:[0,0,1] neg_hi:[0,0,1]
	v_pk_fma_f32 v[136:137], v[138:139], v[132:133], v[136:137] op_sel:[0,0,1] op_sel_hi:[1,0,0]
	s_delay_alu instid0(VALU_DEP_1) | instskip(SKIP_4) | instid1(VALU_DEP_1)
	v_mov_b32_e32 v141, v137
	ds_load_2addr_b64 v[136:139], v190 offset0:15 offset1:16
	v_pk_add_f32 v[60:61], v[60:61], v[140:141] neg_lo:[0,1] neg_hi:[0,1]
	s_wait_dscnt 0x0
	v_pk_mul_f32 v[140:141], v[136:137], v[134:135] op_sel:[0,1]
	v_pk_fma_f32 v[142:143], v[136:137], v[132:133], v[140:141] op_sel:[0,0,1] op_sel_hi:[1,1,0] neg_lo:[0,0,1] neg_hi:[0,0,1]
	v_pk_fma_f32 v[136:137], v[136:137], v[132:133], v[140:141] op_sel:[0,0,1] op_sel_hi:[1,0,0]
	v_dual_mul_f32 v140, v139, v135 :: v_dual_mov_b32 v136, v139
	s_delay_alu instid0(VALU_DEP_2) | instskip(NEXT) | instid1(VALU_DEP_2)
	v_dual_mov_b32 v143, v137 :: v_dual_mov_b32 v137, v138
	v_pk_fma_f32 v[140:141], v[138:139], v[44:45], v[140:141] op_sel_hi:[1,1,0] neg_lo:[0,0,1] neg_hi:[0,0,1]
	v_mul_f32_e32 v138, v139, v132
	s_delay_alu instid0(VALU_DEP_3) | instskip(NEXT) | instid1(VALU_DEP_2)
	v_pk_add_f32 v[56:57], v[56:57], v[142:143] neg_lo:[0,1] neg_hi:[0,1]
	v_pk_fma_f32 v[136:137], v[136:137], v[44:45], v[138:139] op_sel_hi:[1,1,0]
	s_delay_alu instid0(VALU_DEP_1) | instskip(SKIP_4) | instid1(VALU_DEP_1)
	v_mov_b32_e32 v141, v137
	ds_load_2addr_b64 v[136:139], v190 offset0:17 offset1:18
	v_pk_add_f32 v[78:79], v[78:79], v[140:141] neg_lo:[0,1] neg_hi:[0,1]
	s_wait_dscnt 0x0
	v_pk_mul_f32 v[140:141], v[136:137], v[134:135] op_sel:[0,1]
	v_pk_fma_f32 v[142:143], v[136:137], v[132:133], v[140:141] op_sel:[0,0,1] op_sel_hi:[1,1,0] neg_lo:[0,0,1] neg_hi:[0,0,1]
	v_pk_fma_f32 v[136:137], v[136:137], v[132:133], v[140:141] op_sel:[0,0,1] op_sel_hi:[1,0,0]
	s_delay_alu instid0(VALU_DEP_1) | instskip(SKIP_1) | instid1(VALU_DEP_1)
	v_mov_b32_e32 v143, v137
	v_pk_mul_f32 v[136:137], v[138:139], v[134:135] op_sel:[0,1]
	v_pk_fma_f32 v[140:141], v[138:139], v[132:133], v[136:137] op_sel:[0,0,1] op_sel_hi:[1,1,0] neg_lo:[0,0,1] neg_hi:[0,0,1]
	v_pk_fma_f32 v[136:137], v[138:139], v[132:133], v[136:137] op_sel:[0,0,1] op_sel_hi:[1,0,0]
	s_delay_alu instid0(VALU_DEP_1)
	v_mov_b32_e32 v141, v137
	ds_load_2addr_b64 v[136:139], v190 offset0:19 offset1:20
	v_pk_add_f32 v[74:75], v[74:75], v[142:143] neg_lo:[0,1] neg_hi:[0,1]
	v_pk_add_f32 v[76:77], v[76:77], v[140:141] neg_lo:[0,1] neg_hi:[0,1]
	s_wait_dscnt 0x0
	v_pk_mul_f32 v[140:141], v[136:137], v[134:135] op_sel:[0,1]
	s_delay_alu instid0(VALU_DEP_1) | instskip(SKIP_1) | instid1(VALU_DEP_1)
	v_pk_fma_f32 v[142:143], v[136:137], v[132:133], v[140:141] op_sel:[0,0,1] op_sel_hi:[1,1,0] neg_lo:[0,0,1] neg_hi:[0,0,1]
	v_pk_fma_f32 v[136:137], v[136:137], v[132:133], v[140:141] op_sel:[0,0,1] op_sel_hi:[1,0,0]
	v_mov_b32_e32 v143, v137
	v_pk_mul_f32 v[136:137], v[138:139], v[134:135] op_sel:[0,1]
	s_delay_alu instid0(VALU_DEP_1) | instskip(SKIP_1) | instid1(VALU_DEP_1)
	v_pk_fma_f32 v[140:141], v[138:139], v[132:133], v[136:137] op_sel:[0,0,1] op_sel_hi:[1,1,0] neg_lo:[0,0,1] neg_hi:[0,0,1]
	v_pk_fma_f32 v[136:137], v[138:139], v[132:133], v[136:137] op_sel:[0,0,1] op_sel_hi:[1,0,0]
	v_mov_b32_e32 v141, v137
	ds_load_2addr_b64 v[136:139], v190 offset0:21 offset1:22
	v_pk_add_f32 v[72:73], v[72:73], v[142:143] neg_lo:[0,1] neg_hi:[0,1]
	v_pk_add_f32 v[100:101], v[100:101], v[140:141] neg_lo:[0,1] neg_hi:[0,1]
	s_wait_dscnt 0x0
	v_dual_mul_f32 v140, v137, v135 :: v_dual_mul_f32 v142, v137, v132
	s_delay_alu instid0(VALU_DEP_1) | instskip(NEXT) | instid1(VALU_DEP_2)
	v_pk_fma_f32 v[140:141], v[136:137], v[44:45], v[140:141] op_sel_hi:[1,1,0] neg_lo:[0,0,1] neg_hi:[0,0,1]
	v_pk_fma_f32 v[136:137], v[136:137], v[44:45], v[142:143] op_sel:[1,0,0] op_sel_hi:[0,1,0]
	s_delay_alu instid0(VALU_DEP_1) | instskip(SKIP_1) | instid1(VALU_DEP_2)
	v_mov_b32_e32 v141, v137
	v_pk_mul_f32 v[136:137], v[138:139], v[134:135] op_sel:[0,1]
	v_pk_add_f32 v[96:97], v[96:97], v[140:141] neg_lo:[0,1] neg_hi:[0,1]
	s_delay_alu instid0(VALU_DEP_2) | instskip(SKIP_1) | instid1(VALU_DEP_1)
	v_pk_fma_f32 v[140:141], v[138:139], v[132:133], v[136:137] op_sel:[0,0,1] op_sel_hi:[1,1,0] neg_lo:[0,0,1] neg_hi:[0,0,1]
	v_pk_fma_f32 v[136:137], v[138:139], v[132:133], v[136:137] op_sel:[0,0,1] op_sel_hi:[1,0,0]
	v_mov_b32_e32 v141, v137
	ds_load_2addr_b64 v[136:139], v190 offset0:23 offset1:24
	v_pk_add_f32 v[98:99], v[98:99], v[140:141] neg_lo:[0,1] neg_hi:[0,1]
	s_wait_dscnt 0x0
	v_pk_mul_f32 v[140:141], v[136:137], v[134:135] op_sel:[0,1]
	s_delay_alu instid0(VALU_DEP_1) | instskip(SKIP_1) | instid1(VALU_DEP_1)
	v_pk_fma_f32 v[142:143], v[136:137], v[132:133], v[140:141] op_sel:[0,0,1] op_sel_hi:[1,1,0] neg_lo:[0,0,1] neg_hi:[0,0,1]
	v_pk_fma_f32 v[136:137], v[136:137], v[132:133], v[140:141] op_sel:[0,0,1] op_sel_hi:[1,0,0]
	v_mov_b32_e32 v143, v137
	v_pk_mul_f32 v[136:137], v[138:139], v[134:135] op_sel:[0,1]
	s_delay_alu instid0(VALU_DEP_2) | instskip(NEXT) | instid1(VALU_DEP_2)
	v_pk_add_f32 v[94:95], v[94:95], v[142:143] neg_lo:[0,1] neg_hi:[0,1]
	v_pk_fma_f32 v[140:141], v[138:139], v[132:133], v[136:137] op_sel:[0,0,1] op_sel_hi:[1,1,0] neg_lo:[0,0,1] neg_hi:[0,0,1]
	v_pk_fma_f32 v[136:137], v[138:139], v[132:133], v[136:137] op_sel:[0,0,1] op_sel_hi:[1,0,0]
	s_delay_alu instid0(VALU_DEP_1) | instskip(SKIP_4) | instid1(VALU_DEP_1)
	v_mov_b32_e32 v141, v137
	ds_load_2addr_b64 v[136:139], v190 offset0:25 offset1:26
	v_pk_add_f32 v[116:117], v[116:117], v[140:141] neg_lo:[0,1] neg_hi:[0,1]
	s_wait_dscnt 0x0
	v_pk_mul_f32 v[140:141], v[136:137], v[134:135] op_sel:[0,1]
	v_pk_fma_f32 v[142:143], v[136:137], v[132:133], v[140:141] op_sel:[0,0,1] op_sel_hi:[1,1,0] neg_lo:[0,0,1] neg_hi:[0,0,1]
	v_pk_fma_f32 v[136:137], v[136:137], v[132:133], v[140:141] op_sel:[0,0,1] op_sel_hi:[1,0,0]
	v_dual_mul_f32 v140, v139, v135 :: v_dual_mov_b32 v136, v139
	s_delay_alu instid0(VALU_DEP_2) | instskip(NEXT) | instid1(VALU_DEP_2)
	v_dual_mov_b32 v143, v137 :: v_dual_mov_b32 v137, v138
	v_pk_fma_f32 v[140:141], v[138:139], v[44:45], v[140:141] op_sel_hi:[1,1,0] neg_lo:[0,0,1] neg_hi:[0,0,1]
	v_mul_f32_e32 v138, v139, v132
	s_delay_alu instid0(VALU_DEP_3) | instskip(NEXT) | instid1(VALU_DEP_2)
	v_pk_add_f32 v[112:113], v[112:113], v[142:143] neg_lo:[0,1] neg_hi:[0,1]
	v_pk_fma_f32 v[136:137], v[136:137], v[44:45], v[138:139] op_sel_hi:[1,1,0]
	s_delay_alu instid0(VALU_DEP_1) | instskip(SKIP_4) | instid1(VALU_DEP_1)
	v_mov_b32_e32 v141, v137
	ds_load_2addr_b64 v[136:139], v190 offset0:27 offset1:28
	v_pk_add_f32 v[114:115], v[114:115], v[140:141] neg_lo:[0,1] neg_hi:[0,1]
	s_wait_dscnt 0x0
	v_pk_mul_f32 v[140:141], v[136:137], v[134:135] op_sel:[0,1]
	v_pk_fma_f32 v[142:143], v[136:137], v[132:133], v[140:141] op_sel:[0,0,1] op_sel_hi:[1,1,0] neg_lo:[0,0,1] neg_hi:[0,0,1]
	v_pk_fma_f32 v[136:137], v[136:137], v[132:133], v[140:141] op_sel:[0,0,1] op_sel_hi:[1,0,0]
	s_delay_alu instid0(VALU_DEP_1) | instskip(SKIP_1) | instid1(VALU_DEP_1)
	v_mov_b32_e32 v143, v137
	v_pk_mul_f32 v[136:137], v[138:139], v[134:135] op_sel:[0,1]
	v_pk_fma_f32 v[140:141], v[138:139], v[132:133], v[136:137] op_sel:[0,0,1] op_sel_hi:[1,1,0] neg_lo:[0,0,1] neg_hi:[0,0,1]
	v_pk_fma_f32 v[136:137], v[138:139], v[132:133], v[136:137] op_sel:[0,0,1] op_sel_hi:[1,0,0]
	s_delay_alu instid0(VALU_DEP_1)
	v_mov_b32_e32 v141, v137
	ds_load_2addr_b64 v[136:139], v190 offset0:29 offset1:30
	v_pk_add_f32 v[122:123], v[122:123], v[142:143] neg_lo:[0,1] neg_hi:[0,1]
	v_pk_add_f32 v[120:121], v[120:121], v[140:141] neg_lo:[0,1] neg_hi:[0,1]
	s_wait_dscnt 0x0
	v_pk_mul_f32 v[140:141], v[136:137], v[134:135] op_sel:[0,1]
	v_pk_mul_f32 v[134:135], v[138:139], v[134:135] op_sel:[0,1]
	s_delay_alu instid0(VALU_DEP_2) | instskip(SKIP_1) | instid1(VALU_DEP_1)
	v_pk_fma_f32 v[142:143], v[136:137], v[132:133], v[140:141] op_sel:[0,0,1] op_sel_hi:[1,1,0] neg_lo:[0,0,1] neg_hi:[0,0,1]
	v_pk_fma_f32 v[136:137], v[136:137], v[132:133], v[140:141] op_sel:[0,0,1] op_sel_hi:[1,0,0]
	v_mov_b32_e32 v143, v137
	s_delay_alu instid0(VALU_DEP_4) | instskip(SKIP_1) | instid1(VALU_DEP_1)
	v_pk_fma_f32 v[136:137], v[138:139], v[132:133], v[134:135] op_sel:[0,0,1] op_sel_hi:[1,1,0] neg_lo:[0,0,1] neg_hi:[0,0,1]
	v_pk_fma_f32 v[132:133], v[138:139], v[132:133], v[134:135] op_sel:[0,0,1] op_sel_hi:[1,0,0]
	v_mov_b32_e32 v137, v133
	s_delay_alu instid0(VALU_DEP_4) | instskip(NEXT) | instid1(VALU_DEP_2)
	v_pk_add_f32 v[118:119], v[118:119], v[142:143] neg_lo:[0,1] neg_hi:[0,1]
	v_pk_add_f32 v[124:125], v[124:125], v[136:137] neg_lo:[0,1] neg_hi:[0,1]
.LBB61_28:
	s_or_b32 exec_lo, exec_lo, s1
	s_delay_alu instid0(SALU_CYCLE_1)
	s_mov_b32 s2, exec_lo
	s_wait_dscnt 0x0
	s_barrier_signal -1
	s_barrier_wait -1
	v_cmpx_eq_u32_e32 3, v188
	s_cbranch_execz .LBB61_35
; %bb.29:
	v_dual_mov_b32 v132, v28 :: v_dual_mov_b32 v133, v29
	v_dual_mov_b32 v134, v24 :: v_dual_mov_b32 v135, v25
	;; [unrolled: 1-line block ×4, first 2 shown]
	ds_store_b64 v189, v[42:43]
	ds_store_2addr_b64 v190, v[132:133], v[134:135] offset0:4 offset1:5
	ds_store_2addr_b64 v190, v[136:137], v[138:139] offset0:6 offset1:7
	v_dual_mov_b32 v132, v38 :: v_dual_mov_b32 v133, v39
	v_dual_mov_b32 v134, v88 :: v_dual_mov_b32 v135, v89
	;; [unrolled: 1-line block ×12, first 2 shown]
	ds_store_2addr_b64 v190, v[132:133], v[134:135] offset0:8 offset1:9
	ds_store_2addr_b64 v190, v[136:137], v[138:139] offset0:10 offset1:11
	;; [unrolled: 1-line block ×6, first 2 shown]
	v_dual_mov_b32 v132, v100 :: v_dual_mov_b32 v133, v101
	v_dual_mov_b32 v134, v96 :: v_dual_mov_b32 v135, v97
	v_dual_mov_b32 v136, v98 :: v_dual_mov_b32 v137, v99
	v_dual_mov_b32 v138, v94 :: v_dual_mov_b32 v139, v95
	v_dual_mov_b32 v140, v116 :: v_dual_mov_b32 v141, v117
	v_dual_mov_b32 v142, v112 :: v_dual_mov_b32 v143, v113
	v_dual_mov_b32 v144, v114 :: v_dual_mov_b32 v145, v115
	v_dual_mov_b32 v146, v122 :: v_dual_mov_b32 v147, v123
	v_dual_mov_b32 v148, v120 :: v_dual_mov_b32 v149, v121
	v_dual_mov_b32 v150, v118 :: v_dual_mov_b32 v151, v119
	ds_store_2addr_b64 v190, v[132:133], v[134:135] offset0:20 offset1:21
	ds_store_2addr_b64 v190, v[136:137], v[138:139] offset0:22 offset1:23
	;; [unrolled: 1-line block ×5, first 2 shown]
	ds_store_b64 v190, v[124:125] offset:240
	ds_load_b64 v[132:133], v189
	s_wait_dscnt 0x0
	v_cmp_neq_f32_e32 vcc_lo, 0, v132
	v_cmp_neq_f32_e64 s1, 0, v133
	s_or_b32 s1, vcc_lo, s1
	s_delay_alu instid0(SALU_CYCLE_1)
	s_and_b32 exec_lo, exec_lo, s1
	s_cbranch_execz .LBB61_35
; %bb.30:
	v_cmp_ngt_f32_e64 s1, |v132|, |v133|
                                        ; implicit-def: $vgpr134_vgpr135
	s_and_saveexec_b32 s4, s1
	s_delay_alu instid0(SALU_CYCLE_1)
	s_xor_b32 s1, exec_lo, s4
	s_cbranch_execz .LBB61_32
; %bb.31:
	v_div_scale_f32 v134, null, v133, v133, v132
	v_div_scale_f32 v137, vcc_lo, v132, v133, v132
	s_delay_alu instid0(VALU_DEP_2) | instskip(SKIP_1) | instid1(TRANS32_DEP_1)
	v_rcp_f32_e32 v135, v134
	v_nop
	v_fma_f32 v136, -v134, v135, 1.0
	s_delay_alu instid0(VALU_DEP_1) | instskip(NEXT) | instid1(VALU_DEP_1)
	v_fmac_f32_e32 v135, v136, v135
	v_mul_f32_e32 v136, v137, v135
	s_delay_alu instid0(VALU_DEP_1) | instskip(NEXT) | instid1(VALU_DEP_1)
	v_fma_f32 v138, -v134, v136, v137
	v_fmac_f32_e32 v136, v138, v135
	s_delay_alu instid0(VALU_DEP_1) | instskip(NEXT) | instid1(VALU_DEP_1)
	v_fma_f32 v134, -v134, v136, v137
	v_div_fmas_f32 v134, v134, v135, v136
	s_delay_alu instid0(VALU_DEP_1) | instskip(NEXT) | instid1(VALU_DEP_1)
	v_div_fixup_f32 v134, v134, v133, v132
	v_fmac_f32_e32 v133, v132, v134
	s_delay_alu instid0(VALU_DEP_1) | instskip(SKIP_1) | instid1(VALU_DEP_2)
	v_div_scale_f32 v132, null, v133, v133, 1.0
	v_div_scale_f32 v137, vcc_lo, 1.0, v133, 1.0
	v_rcp_f32_e32 v135, v132
	v_nop
	s_delay_alu instid0(TRANS32_DEP_1) | instskip(NEXT) | instid1(VALU_DEP_1)
	v_fma_f32 v136, -v132, v135, 1.0
	v_fmac_f32_e32 v135, v136, v135
	s_delay_alu instid0(VALU_DEP_1) | instskip(NEXT) | instid1(VALU_DEP_1)
	v_mul_f32_e32 v136, v137, v135
	v_fma_f32 v138, -v132, v136, v137
	s_delay_alu instid0(VALU_DEP_1) | instskip(NEXT) | instid1(VALU_DEP_1)
	v_fmac_f32_e32 v136, v138, v135
	v_fma_f32 v132, -v132, v136, v137
	s_delay_alu instid0(VALU_DEP_1) | instskip(NEXT) | instid1(VALU_DEP_1)
	v_div_fmas_f32 v132, v132, v135, v136
	v_div_fixup_f32 v132, v132, v133, 1.0
	s_delay_alu instid0(VALU_DEP_1)
	v_mul_f32_e32 v134, v134, v132
	v_xor_b32_e32 v135, 0x80000000, v132
                                        ; implicit-def: $vgpr132_vgpr133
.LBB61_32:
	s_and_not1_saveexec_b32 s1, s1
	s_cbranch_execz .LBB61_34
; %bb.33:
	v_div_scale_f32 v134, null, v132, v132, v133
	v_div_scale_f32 v137, vcc_lo, v133, v132, v133
	s_delay_alu instid0(VALU_DEP_2) | instskip(SKIP_1) | instid1(TRANS32_DEP_1)
	v_rcp_f32_e32 v135, v134
	v_nop
	v_fma_f32 v136, -v134, v135, 1.0
	s_delay_alu instid0(VALU_DEP_1) | instskip(NEXT) | instid1(VALU_DEP_1)
	v_fmac_f32_e32 v135, v136, v135
	v_mul_f32_e32 v136, v137, v135
	s_delay_alu instid0(VALU_DEP_1) | instskip(NEXT) | instid1(VALU_DEP_1)
	v_fma_f32 v138, -v134, v136, v137
	v_fmac_f32_e32 v136, v138, v135
	s_delay_alu instid0(VALU_DEP_1) | instskip(NEXT) | instid1(VALU_DEP_1)
	v_fma_f32 v134, -v134, v136, v137
	v_div_fmas_f32 v134, v134, v135, v136
	s_delay_alu instid0(VALU_DEP_1) | instskip(NEXT) | instid1(VALU_DEP_1)
	v_div_fixup_f32 v135, v134, v132, v133
	v_fmac_f32_e32 v132, v133, v135
	s_delay_alu instid0(VALU_DEP_1) | instskip(NEXT) | instid1(VALU_DEP_1)
	v_div_scale_f32 v133, null, v132, v132, 1.0
	v_rcp_f32_e32 v134, v133
	v_nop
	s_delay_alu instid0(TRANS32_DEP_1) | instskip(NEXT) | instid1(VALU_DEP_1)
	v_fma_f32 v136, -v133, v134, 1.0
	v_fmac_f32_e32 v134, v136, v134
	v_div_scale_f32 v136, vcc_lo, 1.0, v132, 1.0
	s_delay_alu instid0(VALU_DEP_1) | instskip(NEXT) | instid1(VALU_DEP_1)
	v_mul_f32_e32 v137, v136, v134
	v_fma_f32 v138, -v133, v137, v136
	s_delay_alu instid0(VALU_DEP_1) | instskip(NEXT) | instid1(VALU_DEP_1)
	v_fmac_f32_e32 v137, v138, v134
	v_fma_f32 v133, -v133, v137, v136
	s_delay_alu instid0(VALU_DEP_1) | instskip(NEXT) | instid1(VALU_DEP_1)
	v_div_fmas_f32 v133, v133, v134, v137
	v_div_fixup_f32 v134, v133, v132, 1.0
	s_delay_alu instid0(VALU_DEP_1)
	v_mul_f32_e64 v135, v135, -v134
.LBB61_34:
	s_or_b32 exec_lo, exec_lo, s1
	ds_store_b64 v189, v[134:135]
.LBB61_35:
	s_or_b32 exec_lo, exec_lo, s2
	s_wait_dscnt 0x0
	s_barrier_signal -1
	s_barrier_wait -1
	ds_load_b64 v[132:133], v189
	s_mov_b32 s1, exec_lo
	v_cmpx_lt_u32_e32 3, v188
	s_cbranch_execz .LBB61_37
; %bb.36:
	ds_load_2addr_b64 v[138:141], v190 offset0:4 offset1:5
	s_wait_dscnt 0x1
	v_pk_mul_f32 v[136:137], v[132:133], v[42:43] op_sel:[1,1] op_sel_hi:[0,1]
	s_delay_alu instid0(VALU_DEP_1) | instskip(SKIP_1) | instid1(VALU_DEP_1)
	v_pk_fma_f32 v[134:135], v[132:133], v[42:43], v[136:137] op_sel_hi:[1,0,1] neg_lo:[0,0,1] neg_hi:[0,0,1]
	v_pk_fma_f32 v[136:137], v[132:133], v[42:43], v[136:137] op_sel_hi:[1,0,1]
	v_dual_mov_b32 v42, v134 :: v_dual_mov_b32 v43, v137
	s_wait_dscnt 0x0
	s_delay_alu instid0(VALU_DEP_2) | instskip(NEXT) | instid1(VALU_DEP_1)
	v_pk_mul_f32 v[142:143], v[138:139], v[136:137] op_sel:[0,1]
	v_pk_fma_f32 v[144:145], v[138:139], v[134:135], v[142:143] op_sel:[0,0,1] op_sel_hi:[1,1,0] neg_lo:[0,0,1] neg_hi:[0,0,1]
	v_pk_fma_f32 v[138:139], v[138:139], v[134:135], v[142:143] op_sel:[0,0,1] op_sel_hi:[1,0,0]
	s_delay_alu instid0(VALU_DEP_1) | instskip(SKIP_1) | instid1(VALU_DEP_1)
	v_mov_b32_e32 v145, v139
	v_pk_mul_f32 v[138:139], v[140:141], v[136:137] op_sel:[0,1]
	v_pk_fma_f32 v[142:143], v[140:141], v[134:135], v[138:139] op_sel:[0,0,1] op_sel_hi:[1,1,0] neg_lo:[0,0,1] neg_hi:[0,0,1]
	v_pk_fma_f32 v[138:139], v[140:141], v[134:135], v[138:139] op_sel:[0,0,1] op_sel_hi:[1,0,0]
	s_delay_alu instid0(VALU_DEP_1)
	v_mov_b32_e32 v143, v139
	ds_load_2addr_b64 v[138:141], v190 offset0:6 offset1:7
	v_pk_add_f32 v[28:29], v[28:29], v[144:145] neg_lo:[0,1] neg_hi:[0,1]
	v_pk_add_f32 v[24:25], v[24:25], v[142:143] neg_lo:[0,1] neg_hi:[0,1]
	s_wait_dscnt 0x0
	v_pk_mul_f32 v[142:143], v[138:139], v[136:137] op_sel:[0,1]
	s_delay_alu instid0(VALU_DEP_1) | instskip(SKIP_2) | instid1(VALU_DEP_2)
	v_pk_fma_f32 v[144:145], v[138:139], v[134:135], v[142:143] op_sel:[0,0,1] op_sel_hi:[1,1,0] neg_lo:[0,0,1] neg_hi:[0,0,1]
	v_pk_fma_f32 v[138:139], v[138:139], v[134:135], v[142:143] op_sel:[0,0,1] op_sel_hi:[1,0,0]
	v_dual_mul_f32 v142, v141, v137 :: v_dual_mov_b32 v138, v141
	v_dual_mov_b32 v145, v139 :: v_dual_mov_b32 v139, v140
	s_delay_alu instid0(VALU_DEP_2) | instskip(SKIP_1) | instid1(VALU_DEP_3)
	v_pk_fma_f32 v[142:143], v[140:141], v[42:43], v[142:143] op_sel_hi:[1,1,0] neg_lo:[0,0,1] neg_hi:[0,0,1]
	v_mul_f32_e32 v140, v141, v134
	v_pk_add_f32 v[26:27], v[26:27], v[144:145] neg_lo:[0,1] neg_hi:[0,1]
	s_delay_alu instid0(VALU_DEP_2) | instskip(NEXT) | instid1(VALU_DEP_1)
	v_pk_fma_f32 v[138:139], v[138:139], v[42:43], v[140:141] op_sel_hi:[1,1,0]
	v_mov_b32_e32 v143, v139
	ds_load_2addr_b64 v[138:141], v190 offset0:8 offset1:9
	v_pk_add_f32 v[22:23], v[22:23], v[142:143] neg_lo:[0,1] neg_hi:[0,1]
	s_wait_dscnt 0x0
	v_pk_mul_f32 v[142:143], v[138:139], v[136:137] op_sel:[0,1]
	s_delay_alu instid0(VALU_DEP_1) | instskip(SKIP_1) | instid1(VALU_DEP_1)
	v_pk_fma_f32 v[144:145], v[138:139], v[134:135], v[142:143] op_sel:[0,0,1] op_sel_hi:[1,1,0] neg_lo:[0,0,1] neg_hi:[0,0,1]
	v_pk_fma_f32 v[138:139], v[138:139], v[134:135], v[142:143] op_sel:[0,0,1] op_sel_hi:[1,0,0]
	v_mov_b32_e32 v145, v139
	v_pk_mul_f32 v[138:139], v[140:141], v[136:137] op_sel:[0,1]
	s_delay_alu instid0(VALU_DEP_1) | instskip(SKIP_1) | instid1(VALU_DEP_1)
	v_pk_fma_f32 v[142:143], v[140:141], v[134:135], v[138:139] op_sel:[0,0,1] op_sel_hi:[1,1,0] neg_lo:[0,0,1] neg_hi:[0,0,1]
	v_pk_fma_f32 v[138:139], v[140:141], v[134:135], v[138:139] op_sel:[0,0,1] op_sel_hi:[1,0,0]
	v_mov_b32_e32 v143, v139
	ds_load_2addr_b64 v[138:141], v190 offset0:10 offset1:11
	v_pk_add_f32 v[38:39], v[38:39], v[144:145] neg_lo:[0,1] neg_hi:[0,1]
	v_pk_add_f32 v[88:89], v[88:89], v[142:143] neg_lo:[0,1] neg_hi:[0,1]
	s_wait_dscnt 0x0
	v_pk_mul_f32 v[142:143], v[138:139], v[136:137] op_sel:[0,1]
	s_delay_alu instid0(VALU_DEP_1) | instskip(SKIP_1) | instid1(VALU_DEP_1)
	v_pk_fma_f32 v[144:145], v[138:139], v[134:135], v[142:143] op_sel:[0,0,1] op_sel_hi:[1,1,0] neg_lo:[0,0,1] neg_hi:[0,0,1]
	v_pk_fma_f32 v[138:139], v[138:139], v[134:135], v[142:143] op_sel:[0,0,1] op_sel_hi:[1,0,0]
	v_mov_b32_e32 v145, v139
	v_pk_mul_f32 v[138:139], v[140:141], v[136:137] op_sel:[0,1]
	s_delay_alu instid0(VALU_DEP_1) | instskip(SKIP_1) | instid1(VALU_DEP_1)
	v_pk_fma_f32 v[142:143], v[140:141], v[134:135], v[138:139] op_sel:[0,0,1] op_sel_hi:[1,1,0] neg_lo:[0,0,1] neg_hi:[0,0,1]
	v_pk_fma_f32 v[138:139], v[140:141], v[134:135], v[138:139] op_sel:[0,0,1] op_sel_hi:[1,0,0]
	v_mov_b32_e32 v143, v139
	ds_load_2addr_b64 v[138:141], v190 offset0:12 offset1:13
	v_pk_add_f32 v[90:91], v[90:91], v[144:145] neg_lo:[0,1] neg_hi:[0,1]
	v_pk_add_f32 v[36:37], v[36:37], v[142:143] neg_lo:[0,1] neg_hi:[0,1]
	s_wait_dscnt 0x0
	v_dual_mul_f32 v142, v139, v137 :: v_dual_mul_f32 v144, v139, v134
	s_delay_alu instid0(VALU_DEP_1) | instskip(NEXT) | instid1(VALU_DEP_2)
	v_pk_fma_f32 v[142:143], v[138:139], v[42:43], v[142:143] op_sel_hi:[1,1,0] neg_lo:[0,0,1] neg_hi:[0,0,1]
	v_pk_fma_f32 v[138:139], v[138:139], v[42:43], v[144:145] op_sel:[1,0,0] op_sel_hi:[0,1,0]
	s_delay_alu instid0(VALU_DEP_1) | instskip(SKIP_1) | instid1(VALU_DEP_2)
	v_mov_b32_e32 v143, v139
	v_pk_mul_f32 v[138:139], v[140:141], v[136:137] op_sel:[0,1]
	v_pk_add_f32 v[62:63], v[62:63], v[142:143] neg_lo:[0,1] neg_hi:[0,1]
	s_delay_alu instid0(VALU_DEP_2) | instskip(SKIP_1) | instid1(VALU_DEP_1)
	v_pk_fma_f32 v[142:143], v[140:141], v[134:135], v[138:139] op_sel:[0,0,1] op_sel_hi:[1,1,0] neg_lo:[0,0,1] neg_hi:[0,0,1]
	v_pk_fma_f32 v[138:139], v[140:141], v[134:135], v[138:139] op_sel:[0,0,1] op_sel_hi:[1,0,0]
	v_mov_b32_e32 v143, v139
	ds_load_2addr_b64 v[138:141], v190 offset0:14 offset1:15
	v_pk_add_f32 v[58:59], v[58:59], v[142:143] neg_lo:[0,1] neg_hi:[0,1]
	s_wait_dscnt 0x0
	v_pk_mul_f32 v[142:143], v[138:139], v[136:137] op_sel:[0,1]
	s_delay_alu instid0(VALU_DEP_1) | instskip(SKIP_1) | instid1(VALU_DEP_1)
	v_pk_fma_f32 v[144:145], v[138:139], v[134:135], v[142:143] op_sel:[0,0,1] op_sel_hi:[1,1,0] neg_lo:[0,0,1] neg_hi:[0,0,1]
	v_pk_fma_f32 v[138:139], v[138:139], v[134:135], v[142:143] op_sel:[0,0,1] op_sel_hi:[1,0,0]
	v_mov_b32_e32 v145, v139
	v_pk_mul_f32 v[138:139], v[140:141], v[136:137] op_sel:[0,1]
	s_delay_alu instid0(VALU_DEP_2) | instskip(NEXT) | instid1(VALU_DEP_2)
	v_pk_add_f32 v[60:61], v[60:61], v[144:145] neg_lo:[0,1] neg_hi:[0,1]
	v_pk_fma_f32 v[142:143], v[140:141], v[134:135], v[138:139] op_sel:[0,0,1] op_sel_hi:[1,1,0] neg_lo:[0,0,1] neg_hi:[0,0,1]
	v_pk_fma_f32 v[138:139], v[140:141], v[134:135], v[138:139] op_sel:[0,0,1] op_sel_hi:[1,0,0]
	s_delay_alu instid0(VALU_DEP_1) | instskip(SKIP_4) | instid1(VALU_DEP_1)
	v_mov_b32_e32 v143, v139
	ds_load_2addr_b64 v[138:141], v190 offset0:16 offset1:17
	v_pk_add_f32 v[56:57], v[56:57], v[142:143] neg_lo:[0,1] neg_hi:[0,1]
	s_wait_dscnt 0x0
	v_pk_mul_f32 v[142:143], v[138:139], v[136:137] op_sel:[0,1]
	v_pk_fma_f32 v[144:145], v[138:139], v[134:135], v[142:143] op_sel:[0,0,1] op_sel_hi:[1,1,0] neg_lo:[0,0,1] neg_hi:[0,0,1]
	v_pk_fma_f32 v[138:139], v[138:139], v[134:135], v[142:143] op_sel:[0,0,1] op_sel_hi:[1,0,0]
	v_dual_mul_f32 v142, v141, v137 :: v_dual_mov_b32 v138, v141
	s_delay_alu instid0(VALU_DEP_2) | instskip(NEXT) | instid1(VALU_DEP_2)
	v_dual_mov_b32 v145, v139 :: v_dual_mov_b32 v139, v140
	v_pk_fma_f32 v[142:143], v[140:141], v[42:43], v[142:143] op_sel_hi:[1,1,0] neg_lo:[0,0,1] neg_hi:[0,0,1]
	v_mul_f32_e32 v140, v141, v134
	s_delay_alu instid0(VALU_DEP_3) | instskip(NEXT) | instid1(VALU_DEP_2)
	v_pk_add_f32 v[78:79], v[78:79], v[144:145] neg_lo:[0,1] neg_hi:[0,1]
	v_pk_fma_f32 v[138:139], v[138:139], v[42:43], v[140:141] op_sel_hi:[1,1,0]
	s_delay_alu instid0(VALU_DEP_1) | instskip(SKIP_4) | instid1(VALU_DEP_1)
	v_mov_b32_e32 v143, v139
	ds_load_2addr_b64 v[138:141], v190 offset0:18 offset1:19
	v_pk_add_f32 v[74:75], v[74:75], v[142:143] neg_lo:[0,1] neg_hi:[0,1]
	s_wait_dscnt 0x0
	v_pk_mul_f32 v[142:143], v[138:139], v[136:137] op_sel:[0,1]
	v_pk_fma_f32 v[144:145], v[138:139], v[134:135], v[142:143] op_sel:[0,0,1] op_sel_hi:[1,1,0] neg_lo:[0,0,1] neg_hi:[0,0,1]
	v_pk_fma_f32 v[138:139], v[138:139], v[134:135], v[142:143] op_sel:[0,0,1] op_sel_hi:[1,0,0]
	s_delay_alu instid0(VALU_DEP_1) | instskip(SKIP_1) | instid1(VALU_DEP_1)
	v_mov_b32_e32 v145, v139
	v_pk_mul_f32 v[138:139], v[140:141], v[136:137] op_sel:[0,1]
	v_pk_fma_f32 v[142:143], v[140:141], v[134:135], v[138:139] op_sel:[0,0,1] op_sel_hi:[1,1,0] neg_lo:[0,0,1] neg_hi:[0,0,1]
	v_pk_fma_f32 v[138:139], v[140:141], v[134:135], v[138:139] op_sel:[0,0,1] op_sel_hi:[1,0,0]
	s_delay_alu instid0(VALU_DEP_1)
	v_mov_b32_e32 v143, v139
	ds_load_2addr_b64 v[138:141], v190 offset0:20 offset1:21
	v_pk_add_f32 v[76:77], v[76:77], v[144:145] neg_lo:[0,1] neg_hi:[0,1]
	v_pk_add_f32 v[72:73], v[72:73], v[142:143] neg_lo:[0,1] neg_hi:[0,1]
	s_wait_dscnt 0x0
	v_pk_mul_f32 v[142:143], v[138:139], v[136:137] op_sel:[0,1]
	s_delay_alu instid0(VALU_DEP_1) | instskip(SKIP_1) | instid1(VALU_DEP_1)
	v_pk_fma_f32 v[144:145], v[138:139], v[134:135], v[142:143] op_sel:[0,0,1] op_sel_hi:[1,1,0] neg_lo:[0,0,1] neg_hi:[0,0,1]
	v_pk_fma_f32 v[138:139], v[138:139], v[134:135], v[142:143] op_sel:[0,0,1] op_sel_hi:[1,0,0]
	v_mov_b32_e32 v145, v139
	v_pk_mul_f32 v[138:139], v[140:141], v[136:137] op_sel:[0,1]
	s_delay_alu instid0(VALU_DEP_1) | instskip(SKIP_1) | instid1(VALU_DEP_1)
	v_pk_fma_f32 v[142:143], v[140:141], v[134:135], v[138:139] op_sel:[0,0,1] op_sel_hi:[1,1,0] neg_lo:[0,0,1] neg_hi:[0,0,1]
	v_pk_fma_f32 v[138:139], v[140:141], v[134:135], v[138:139] op_sel:[0,0,1] op_sel_hi:[1,0,0]
	v_mov_b32_e32 v143, v139
	ds_load_2addr_b64 v[138:141], v190 offset0:22 offset1:23
	v_pk_add_f32 v[100:101], v[100:101], v[144:145] neg_lo:[0,1] neg_hi:[0,1]
	v_pk_add_f32 v[96:97], v[96:97], v[142:143] neg_lo:[0,1] neg_hi:[0,1]
	s_wait_dscnt 0x0
	v_dual_mul_f32 v142, v139, v137 :: v_dual_mul_f32 v144, v139, v134
	s_delay_alu instid0(VALU_DEP_1) | instskip(NEXT) | instid1(VALU_DEP_2)
	v_pk_fma_f32 v[142:143], v[138:139], v[42:43], v[142:143] op_sel_hi:[1,1,0] neg_lo:[0,0,1] neg_hi:[0,0,1]
	v_pk_fma_f32 v[138:139], v[138:139], v[42:43], v[144:145] op_sel:[1,0,0] op_sel_hi:[0,1,0]
	s_delay_alu instid0(VALU_DEP_1) | instskip(SKIP_1) | instid1(VALU_DEP_2)
	v_mov_b32_e32 v143, v139
	v_pk_mul_f32 v[138:139], v[140:141], v[136:137] op_sel:[0,1]
	v_pk_add_f32 v[98:99], v[98:99], v[142:143] neg_lo:[0,1] neg_hi:[0,1]
	s_delay_alu instid0(VALU_DEP_2) | instskip(SKIP_1) | instid1(VALU_DEP_1)
	v_pk_fma_f32 v[142:143], v[140:141], v[134:135], v[138:139] op_sel:[0,0,1] op_sel_hi:[1,1,0] neg_lo:[0,0,1] neg_hi:[0,0,1]
	v_pk_fma_f32 v[138:139], v[140:141], v[134:135], v[138:139] op_sel:[0,0,1] op_sel_hi:[1,0,0]
	v_mov_b32_e32 v143, v139
	ds_load_2addr_b64 v[138:141], v190 offset0:24 offset1:25
	v_pk_add_f32 v[94:95], v[94:95], v[142:143] neg_lo:[0,1] neg_hi:[0,1]
	s_wait_dscnt 0x0
	v_pk_mul_f32 v[142:143], v[138:139], v[136:137] op_sel:[0,1]
	s_delay_alu instid0(VALU_DEP_1) | instskip(SKIP_1) | instid1(VALU_DEP_1)
	v_pk_fma_f32 v[144:145], v[138:139], v[134:135], v[142:143] op_sel:[0,0,1] op_sel_hi:[1,1,0] neg_lo:[0,0,1] neg_hi:[0,0,1]
	v_pk_fma_f32 v[138:139], v[138:139], v[134:135], v[142:143] op_sel:[0,0,1] op_sel_hi:[1,0,0]
	v_mov_b32_e32 v145, v139
	v_pk_mul_f32 v[138:139], v[140:141], v[136:137] op_sel:[0,1]
	s_delay_alu instid0(VALU_DEP_2) | instskip(NEXT) | instid1(VALU_DEP_2)
	v_pk_add_f32 v[116:117], v[116:117], v[144:145] neg_lo:[0,1] neg_hi:[0,1]
	v_pk_fma_f32 v[142:143], v[140:141], v[134:135], v[138:139] op_sel:[0,0,1] op_sel_hi:[1,1,0] neg_lo:[0,0,1] neg_hi:[0,0,1]
	v_pk_fma_f32 v[138:139], v[140:141], v[134:135], v[138:139] op_sel:[0,0,1] op_sel_hi:[1,0,0]
	s_delay_alu instid0(VALU_DEP_1) | instskip(SKIP_4) | instid1(VALU_DEP_1)
	v_mov_b32_e32 v143, v139
	ds_load_2addr_b64 v[138:141], v190 offset0:26 offset1:27
	v_pk_add_f32 v[112:113], v[112:113], v[142:143] neg_lo:[0,1] neg_hi:[0,1]
	s_wait_dscnt 0x0
	v_pk_mul_f32 v[142:143], v[138:139], v[136:137] op_sel:[0,1]
	v_pk_fma_f32 v[144:145], v[138:139], v[134:135], v[142:143] op_sel:[0,0,1] op_sel_hi:[1,1,0] neg_lo:[0,0,1] neg_hi:[0,0,1]
	v_pk_fma_f32 v[138:139], v[138:139], v[134:135], v[142:143] op_sel:[0,0,1] op_sel_hi:[1,0,0]
	v_dual_mul_f32 v142, v141, v137 :: v_dual_mov_b32 v138, v141
	s_delay_alu instid0(VALU_DEP_2) | instskip(NEXT) | instid1(VALU_DEP_2)
	v_dual_mov_b32 v145, v139 :: v_dual_mov_b32 v139, v140
	v_pk_fma_f32 v[142:143], v[140:141], v[42:43], v[142:143] op_sel_hi:[1,1,0] neg_lo:[0,0,1] neg_hi:[0,0,1]
	v_mul_f32_e32 v140, v141, v134
	s_delay_alu instid0(VALU_DEP_3) | instskip(NEXT) | instid1(VALU_DEP_2)
	v_pk_add_f32 v[114:115], v[114:115], v[144:145] neg_lo:[0,1] neg_hi:[0,1]
	v_pk_fma_f32 v[138:139], v[138:139], v[42:43], v[140:141] op_sel_hi:[1,1,0]
	s_delay_alu instid0(VALU_DEP_1) | instskip(SKIP_4) | instid1(VALU_DEP_1)
	v_mov_b32_e32 v143, v139
	ds_load_2addr_b64 v[138:141], v190 offset0:28 offset1:29
	v_pk_add_f32 v[122:123], v[122:123], v[142:143] neg_lo:[0,1] neg_hi:[0,1]
	s_wait_dscnt 0x0
	v_pk_mul_f32 v[142:143], v[138:139], v[136:137] op_sel:[0,1]
	v_pk_fma_f32 v[144:145], v[138:139], v[134:135], v[142:143] op_sel:[0,0,1] op_sel_hi:[1,1,0] neg_lo:[0,0,1] neg_hi:[0,0,1]
	v_pk_fma_f32 v[138:139], v[138:139], v[134:135], v[142:143] op_sel:[0,0,1] op_sel_hi:[1,0,0]
	s_delay_alu instid0(VALU_DEP_1) | instskip(SKIP_1) | instid1(VALU_DEP_1)
	v_mov_b32_e32 v145, v139
	v_pk_mul_f32 v[138:139], v[140:141], v[136:137] op_sel:[0,1]
	v_pk_fma_f32 v[142:143], v[140:141], v[134:135], v[138:139] op_sel:[0,0,1] op_sel_hi:[1,1,0] neg_lo:[0,0,1] neg_hi:[0,0,1]
	v_pk_fma_f32 v[138:139], v[140:141], v[134:135], v[138:139] op_sel:[0,0,1] op_sel_hi:[1,0,0]
	s_delay_alu instid0(VALU_DEP_1)
	v_mov_b32_e32 v143, v139
	ds_load_b64 v[138:139], v190 offset:240
	v_pk_add_f32 v[120:121], v[120:121], v[144:145] neg_lo:[0,1] neg_hi:[0,1]
	v_pk_add_f32 v[118:119], v[118:119], v[142:143] neg_lo:[0,1] neg_hi:[0,1]
	s_wait_dscnt 0x0
	v_pk_mul_f32 v[136:137], v[138:139], v[136:137] op_sel:[0,1]
	s_delay_alu instid0(VALU_DEP_1) | instskip(SKIP_1) | instid1(VALU_DEP_1)
	v_pk_fma_f32 v[140:141], v[138:139], v[134:135], v[136:137] op_sel:[0,0,1] op_sel_hi:[1,1,0] neg_lo:[0,0,1] neg_hi:[0,0,1]
	v_pk_fma_f32 v[134:135], v[138:139], v[134:135], v[136:137] op_sel:[0,0,1] op_sel_hi:[1,0,0]
	v_mov_b32_e32 v141, v135
	s_delay_alu instid0(VALU_DEP_1)
	v_pk_add_f32 v[124:125], v[124:125], v[140:141] neg_lo:[0,1] neg_hi:[0,1]
.LBB61_37:
	s_or_b32 exec_lo, exec_lo, s1
	s_delay_alu instid0(SALU_CYCLE_1)
	s_mov_b32 s2, exec_lo
	s_wait_dscnt 0x0
	s_barrier_signal -1
	s_barrier_wait -1
	v_cmpx_eq_u32_e32 4, v188
	s_cbranch_execz .LBB61_44
; %bb.38:
	ds_store_b64 v189, v[28:29]
	ds_store_2addr_b64 v190, v[24:25], v[26:27] offset0:5 offset1:6
	ds_store_2addr_b64 v190, v[22:23], v[38:39] offset0:7 offset1:8
	;; [unrolled: 1-line block ×13, first 2 shown]
	ds_load_b64 v[134:135], v189
	s_wait_dscnt 0x0
	v_cmp_neq_f32_e32 vcc_lo, 0, v134
	v_cmp_neq_f32_e64 s1, 0, v135
	s_or_b32 s1, vcc_lo, s1
	s_delay_alu instid0(SALU_CYCLE_1)
	s_and_b32 exec_lo, exec_lo, s1
	s_cbranch_execz .LBB61_44
; %bb.39:
	v_cmp_ngt_f32_e64 s1, |v134|, |v135|
                                        ; implicit-def: $vgpr136_vgpr137
	s_and_saveexec_b32 s4, s1
	s_delay_alu instid0(SALU_CYCLE_1)
	s_xor_b32 s1, exec_lo, s4
	s_cbranch_execz .LBB61_41
; %bb.40:
	v_div_scale_f32 v136, null, v135, v135, v134
	v_div_scale_f32 v139, vcc_lo, v134, v135, v134
	s_delay_alu instid0(VALU_DEP_2) | instskip(SKIP_1) | instid1(TRANS32_DEP_1)
	v_rcp_f32_e32 v137, v136
	v_nop
	v_fma_f32 v138, -v136, v137, 1.0
	s_delay_alu instid0(VALU_DEP_1) | instskip(NEXT) | instid1(VALU_DEP_1)
	v_fmac_f32_e32 v137, v138, v137
	v_mul_f32_e32 v138, v139, v137
	s_delay_alu instid0(VALU_DEP_1) | instskip(NEXT) | instid1(VALU_DEP_1)
	v_fma_f32 v140, -v136, v138, v139
	v_fmac_f32_e32 v138, v140, v137
	s_delay_alu instid0(VALU_DEP_1) | instskip(NEXT) | instid1(VALU_DEP_1)
	v_fma_f32 v136, -v136, v138, v139
	v_div_fmas_f32 v136, v136, v137, v138
	s_delay_alu instid0(VALU_DEP_1) | instskip(NEXT) | instid1(VALU_DEP_1)
	v_div_fixup_f32 v136, v136, v135, v134
	v_fmac_f32_e32 v135, v134, v136
	s_delay_alu instid0(VALU_DEP_1) | instskip(SKIP_1) | instid1(VALU_DEP_2)
	v_div_scale_f32 v134, null, v135, v135, 1.0
	v_div_scale_f32 v139, vcc_lo, 1.0, v135, 1.0
	v_rcp_f32_e32 v137, v134
	v_nop
	s_delay_alu instid0(TRANS32_DEP_1) | instskip(NEXT) | instid1(VALU_DEP_1)
	v_fma_f32 v138, -v134, v137, 1.0
	v_fmac_f32_e32 v137, v138, v137
	s_delay_alu instid0(VALU_DEP_1) | instskip(NEXT) | instid1(VALU_DEP_1)
	v_mul_f32_e32 v138, v139, v137
	v_fma_f32 v140, -v134, v138, v139
	s_delay_alu instid0(VALU_DEP_1) | instskip(NEXT) | instid1(VALU_DEP_1)
	v_fmac_f32_e32 v138, v140, v137
	v_fma_f32 v134, -v134, v138, v139
	s_delay_alu instid0(VALU_DEP_1) | instskip(NEXT) | instid1(VALU_DEP_1)
	v_div_fmas_f32 v134, v134, v137, v138
	v_div_fixup_f32 v134, v134, v135, 1.0
	s_delay_alu instid0(VALU_DEP_1)
	v_mul_f32_e32 v136, v136, v134
	v_xor_b32_e32 v137, 0x80000000, v134
                                        ; implicit-def: $vgpr134_vgpr135
.LBB61_41:
	s_and_not1_saveexec_b32 s1, s1
	s_cbranch_execz .LBB61_43
; %bb.42:
	v_div_scale_f32 v136, null, v134, v134, v135
	v_div_scale_f32 v139, vcc_lo, v135, v134, v135
	s_delay_alu instid0(VALU_DEP_2) | instskip(SKIP_1) | instid1(TRANS32_DEP_1)
	v_rcp_f32_e32 v137, v136
	v_nop
	v_fma_f32 v138, -v136, v137, 1.0
	s_delay_alu instid0(VALU_DEP_1) | instskip(NEXT) | instid1(VALU_DEP_1)
	v_fmac_f32_e32 v137, v138, v137
	v_mul_f32_e32 v138, v139, v137
	s_delay_alu instid0(VALU_DEP_1) | instskip(NEXT) | instid1(VALU_DEP_1)
	v_fma_f32 v140, -v136, v138, v139
	v_fmac_f32_e32 v138, v140, v137
	s_delay_alu instid0(VALU_DEP_1) | instskip(NEXT) | instid1(VALU_DEP_1)
	v_fma_f32 v136, -v136, v138, v139
	v_div_fmas_f32 v136, v136, v137, v138
	s_delay_alu instid0(VALU_DEP_1) | instskip(NEXT) | instid1(VALU_DEP_1)
	v_div_fixup_f32 v137, v136, v134, v135
	v_fmac_f32_e32 v134, v135, v137
	s_delay_alu instid0(VALU_DEP_1) | instskip(NEXT) | instid1(VALU_DEP_1)
	v_div_scale_f32 v135, null, v134, v134, 1.0
	v_rcp_f32_e32 v136, v135
	v_nop
	s_delay_alu instid0(TRANS32_DEP_1) | instskip(NEXT) | instid1(VALU_DEP_1)
	v_fma_f32 v138, -v135, v136, 1.0
	v_fmac_f32_e32 v136, v138, v136
	v_div_scale_f32 v138, vcc_lo, 1.0, v134, 1.0
	s_delay_alu instid0(VALU_DEP_1) | instskip(NEXT) | instid1(VALU_DEP_1)
	v_mul_f32_e32 v139, v138, v136
	v_fma_f32 v140, -v135, v139, v138
	s_delay_alu instid0(VALU_DEP_1) | instskip(NEXT) | instid1(VALU_DEP_1)
	v_fmac_f32_e32 v139, v140, v136
	v_fma_f32 v135, -v135, v139, v138
	s_delay_alu instid0(VALU_DEP_1) | instskip(NEXT) | instid1(VALU_DEP_1)
	v_div_fmas_f32 v135, v135, v136, v139
	v_div_fixup_f32 v136, v135, v134, 1.0
	s_delay_alu instid0(VALU_DEP_1)
	v_mul_f32_e64 v137, v137, -v136
.LBB61_43:
	s_or_b32 exec_lo, exec_lo, s1
	ds_store_b64 v189, v[136:137]
.LBB61_44:
	s_or_b32 exec_lo, exec_lo, s2
	s_wait_dscnt 0x0
	s_barrier_signal -1
	s_barrier_wait -1
	ds_load_b64 v[134:135], v189
	s_mov_b32 s1, exec_lo
	v_cmpx_lt_u32_e32 4, v188
	s_cbranch_execz .LBB61_46
; %bb.45:
	ds_load_2addr_b64 v[140:143], v190 offset0:5 offset1:6
	s_wait_dscnt 0x1
	v_pk_mul_f32 v[138:139], v[134:135], v[28:29] op_sel:[1,1] op_sel_hi:[0,1]
	s_delay_alu instid0(VALU_DEP_1) | instskip(SKIP_1) | instid1(VALU_DEP_1)
	v_pk_fma_f32 v[136:137], v[134:135], v[28:29], v[138:139] op_sel_hi:[1,0,1] neg_lo:[0,0,1] neg_hi:[0,0,1]
	v_pk_fma_f32 v[138:139], v[134:135], v[28:29], v[138:139] op_sel_hi:[1,0,1]
	v_dual_mov_b32 v28, v136 :: v_dual_mov_b32 v29, v139
	s_wait_dscnt 0x0
	s_delay_alu instid0(VALU_DEP_2) | instskip(NEXT) | instid1(VALU_DEP_1)
	v_pk_mul_f32 v[144:145], v[140:141], v[138:139] op_sel:[0,1]
	v_pk_fma_f32 v[146:147], v[140:141], v[136:137], v[144:145] op_sel:[0,0,1] op_sel_hi:[1,1,0] neg_lo:[0,0,1] neg_hi:[0,0,1]
	v_pk_fma_f32 v[140:141], v[140:141], v[136:137], v[144:145] op_sel:[0,0,1] op_sel_hi:[1,0,0]
	s_delay_alu instid0(VALU_DEP_1) | instskip(SKIP_1) | instid1(VALU_DEP_1)
	v_mov_b32_e32 v147, v141
	v_pk_mul_f32 v[140:141], v[142:143], v[138:139] op_sel:[0,1]
	v_pk_fma_f32 v[144:145], v[142:143], v[136:137], v[140:141] op_sel:[0,0,1] op_sel_hi:[1,1,0] neg_lo:[0,0,1] neg_hi:[0,0,1]
	v_pk_fma_f32 v[140:141], v[142:143], v[136:137], v[140:141] op_sel:[0,0,1] op_sel_hi:[1,0,0]
	s_delay_alu instid0(VALU_DEP_1)
	v_mov_b32_e32 v145, v141
	ds_load_2addr_b64 v[140:143], v190 offset0:7 offset1:8
	v_pk_add_f32 v[24:25], v[24:25], v[146:147] neg_lo:[0,1] neg_hi:[0,1]
	v_pk_add_f32 v[26:27], v[26:27], v[144:145] neg_lo:[0,1] neg_hi:[0,1]
	s_wait_dscnt 0x0
	v_pk_mul_f32 v[144:145], v[140:141], v[138:139] op_sel:[0,1]
	s_delay_alu instid0(VALU_DEP_1) | instskip(SKIP_2) | instid1(VALU_DEP_2)
	v_pk_fma_f32 v[146:147], v[140:141], v[136:137], v[144:145] op_sel:[0,0,1] op_sel_hi:[1,1,0] neg_lo:[0,0,1] neg_hi:[0,0,1]
	v_pk_fma_f32 v[140:141], v[140:141], v[136:137], v[144:145] op_sel:[0,0,1] op_sel_hi:[1,0,0]
	v_dual_mul_f32 v144, v143, v139 :: v_dual_mov_b32 v140, v143
	v_dual_mov_b32 v147, v141 :: v_dual_mov_b32 v141, v142
	s_delay_alu instid0(VALU_DEP_2) | instskip(SKIP_1) | instid1(VALU_DEP_3)
	v_pk_fma_f32 v[144:145], v[142:143], v[28:29], v[144:145] op_sel_hi:[1,1,0] neg_lo:[0,0,1] neg_hi:[0,0,1]
	v_mul_f32_e32 v142, v143, v136
	v_pk_add_f32 v[22:23], v[22:23], v[146:147] neg_lo:[0,1] neg_hi:[0,1]
	s_delay_alu instid0(VALU_DEP_2) | instskip(NEXT) | instid1(VALU_DEP_1)
	v_pk_fma_f32 v[140:141], v[140:141], v[28:29], v[142:143] op_sel_hi:[1,1,0]
	v_mov_b32_e32 v145, v141
	ds_load_2addr_b64 v[140:143], v190 offset0:9 offset1:10
	v_pk_add_f32 v[38:39], v[38:39], v[144:145] neg_lo:[0,1] neg_hi:[0,1]
	s_wait_dscnt 0x0
	v_pk_mul_f32 v[144:145], v[140:141], v[138:139] op_sel:[0,1]
	s_delay_alu instid0(VALU_DEP_1) | instskip(SKIP_1) | instid1(VALU_DEP_1)
	v_pk_fma_f32 v[146:147], v[140:141], v[136:137], v[144:145] op_sel:[0,0,1] op_sel_hi:[1,1,0] neg_lo:[0,0,1] neg_hi:[0,0,1]
	v_pk_fma_f32 v[140:141], v[140:141], v[136:137], v[144:145] op_sel:[0,0,1] op_sel_hi:[1,0,0]
	v_mov_b32_e32 v147, v141
	v_pk_mul_f32 v[140:141], v[142:143], v[138:139] op_sel:[0,1]
	s_delay_alu instid0(VALU_DEP_1) | instskip(SKIP_1) | instid1(VALU_DEP_1)
	v_pk_fma_f32 v[144:145], v[142:143], v[136:137], v[140:141] op_sel:[0,0,1] op_sel_hi:[1,1,0] neg_lo:[0,0,1] neg_hi:[0,0,1]
	v_pk_fma_f32 v[140:141], v[142:143], v[136:137], v[140:141] op_sel:[0,0,1] op_sel_hi:[1,0,0]
	v_mov_b32_e32 v145, v141
	ds_load_2addr_b64 v[140:143], v190 offset0:11 offset1:12
	v_pk_add_f32 v[88:89], v[88:89], v[146:147] neg_lo:[0,1] neg_hi:[0,1]
	v_pk_add_f32 v[90:91], v[90:91], v[144:145] neg_lo:[0,1] neg_hi:[0,1]
	s_wait_dscnt 0x0
	v_pk_mul_f32 v[144:145], v[140:141], v[138:139] op_sel:[0,1]
	s_delay_alu instid0(VALU_DEP_1) | instskip(SKIP_1) | instid1(VALU_DEP_1)
	v_pk_fma_f32 v[146:147], v[140:141], v[136:137], v[144:145] op_sel:[0,0,1] op_sel_hi:[1,1,0] neg_lo:[0,0,1] neg_hi:[0,0,1]
	v_pk_fma_f32 v[140:141], v[140:141], v[136:137], v[144:145] op_sel:[0,0,1] op_sel_hi:[1,0,0]
	v_mov_b32_e32 v147, v141
	v_pk_mul_f32 v[140:141], v[142:143], v[138:139] op_sel:[0,1]
	s_delay_alu instid0(VALU_DEP_1) | instskip(SKIP_1) | instid1(VALU_DEP_1)
	v_pk_fma_f32 v[144:145], v[142:143], v[136:137], v[140:141] op_sel:[0,0,1] op_sel_hi:[1,1,0] neg_lo:[0,0,1] neg_hi:[0,0,1]
	v_pk_fma_f32 v[140:141], v[142:143], v[136:137], v[140:141] op_sel:[0,0,1] op_sel_hi:[1,0,0]
	v_mov_b32_e32 v145, v141
	ds_load_2addr_b64 v[140:143], v190 offset0:13 offset1:14
	v_pk_add_f32 v[36:37], v[36:37], v[146:147] neg_lo:[0,1] neg_hi:[0,1]
	v_pk_add_f32 v[62:63], v[62:63], v[144:145] neg_lo:[0,1] neg_hi:[0,1]
	s_wait_dscnt 0x0
	v_dual_mul_f32 v144, v141, v139 :: v_dual_mul_f32 v146, v141, v136
	s_delay_alu instid0(VALU_DEP_1) | instskip(NEXT) | instid1(VALU_DEP_2)
	v_pk_fma_f32 v[144:145], v[140:141], v[28:29], v[144:145] op_sel_hi:[1,1,0] neg_lo:[0,0,1] neg_hi:[0,0,1]
	v_pk_fma_f32 v[140:141], v[140:141], v[28:29], v[146:147] op_sel:[1,0,0] op_sel_hi:[0,1,0]
	s_delay_alu instid0(VALU_DEP_1) | instskip(SKIP_1) | instid1(VALU_DEP_2)
	v_mov_b32_e32 v145, v141
	v_pk_mul_f32 v[140:141], v[142:143], v[138:139] op_sel:[0,1]
	v_pk_add_f32 v[58:59], v[58:59], v[144:145] neg_lo:[0,1] neg_hi:[0,1]
	s_delay_alu instid0(VALU_DEP_2) | instskip(SKIP_1) | instid1(VALU_DEP_1)
	v_pk_fma_f32 v[144:145], v[142:143], v[136:137], v[140:141] op_sel:[0,0,1] op_sel_hi:[1,1,0] neg_lo:[0,0,1] neg_hi:[0,0,1]
	v_pk_fma_f32 v[140:141], v[142:143], v[136:137], v[140:141] op_sel:[0,0,1] op_sel_hi:[1,0,0]
	v_mov_b32_e32 v145, v141
	ds_load_2addr_b64 v[140:143], v190 offset0:15 offset1:16
	v_pk_add_f32 v[60:61], v[60:61], v[144:145] neg_lo:[0,1] neg_hi:[0,1]
	s_wait_dscnt 0x0
	v_pk_mul_f32 v[144:145], v[140:141], v[138:139] op_sel:[0,1]
	s_delay_alu instid0(VALU_DEP_1) | instskip(SKIP_1) | instid1(VALU_DEP_1)
	v_pk_fma_f32 v[146:147], v[140:141], v[136:137], v[144:145] op_sel:[0,0,1] op_sel_hi:[1,1,0] neg_lo:[0,0,1] neg_hi:[0,0,1]
	v_pk_fma_f32 v[140:141], v[140:141], v[136:137], v[144:145] op_sel:[0,0,1] op_sel_hi:[1,0,0]
	v_mov_b32_e32 v147, v141
	v_pk_mul_f32 v[140:141], v[142:143], v[138:139] op_sel:[0,1]
	s_delay_alu instid0(VALU_DEP_2) | instskip(NEXT) | instid1(VALU_DEP_2)
	v_pk_add_f32 v[56:57], v[56:57], v[146:147] neg_lo:[0,1] neg_hi:[0,1]
	v_pk_fma_f32 v[144:145], v[142:143], v[136:137], v[140:141] op_sel:[0,0,1] op_sel_hi:[1,1,0] neg_lo:[0,0,1] neg_hi:[0,0,1]
	v_pk_fma_f32 v[140:141], v[142:143], v[136:137], v[140:141] op_sel:[0,0,1] op_sel_hi:[1,0,0]
	s_delay_alu instid0(VALU_DEP_1) | instskip(SKIP_4) | instid1(VALU_DEP_1)
	v_mov_b32_e32 v145, v141
	ds_load_2addr_b64 v[140:143], v190 offset0:17 offset1:18
	v_pk_add_f32 v[78:79], v[78:79], v[144:145] neg_lo:[0,1] neg_hi:[0,1]
	s_wait_dscnt 0x0
	v_pk_mul_f32 v[144:145], v[140:141], v[138:139] op_sel:[0,1]
	v_pk_fma_f32 v[146:147], v[140:141], v[136:137], v[144:145] op_sel:[0,0,1] op_sel_hi:[1,1,0] neg_lo:[0,0,1] neg_hi:[0,0,1]
	v_pk_fma_f32 v[140:141], v[140:141], v[136:137], v[144:145] op_sel:[0,0,1] op_sel_hi:[1,0,0]
	v_dual_mul_f32 v144, v143, v139 :: v_dual_mov_b32 v140, v143
	s_delay_alu instid0(VALU_DEP_2) | instskip(NEXT) | instid1(VALU_DEP_2)
	v_dual_mov_b32 v147, v141 :: v_dual_mov_b32 v141, v142
	v_pk_fma_f32 v[144:145], v[142:143], v[28:29], v[144:145] op_sel_hi:[1,1,0] neg_lo:[0,0,1] neg_hi:[0,0,1]
	v_mul_f32_e32 v142, v143, v136
	s_delay_alu instid0(VALU_DEP_3) | instskip(NEXT) | instid1(VALU_DEP_2)
	v_pk_add_f32 v[74:75], v[74:75], v[146:147] neg_lo:[0,1] neg_hi:[0,1]
	v_pk_fma_f32 v[140:141], v[140:141], v[28:29], v[142:143] op_sel_hi:[1,1,0]
	s_delay_alu instid0(VALU_DEP_1) | instskip(SKIP_4) | instid1(VALU_DEP_1)
	v_mov_b32_e32 v145, v141
	ds_load_2addr_b64 v[140:143], v190 offset0:19 offset1:20
	v_pk_add_f32 v[76:77], v[76:77], v[144:145] neg_lo:[0,1] neg_hi:[0,1]
	s_wait_dscnt 0x0
	v_pk_mul_f32 v[144:145], v[140:141], v[138:139] op_sel:[0,1]
	v_pk_fma_f32 v[146:147], v[140:141], v[136:137], v[144:145] op_sel:[0,0,1] op_sel_hi:[1,1,0] neg_lo:[0,0,1] neg_hi:[0,0,1]
	v_pk_fma_f32 v[140:141], v[140:141], v[136:137], v[144:145] op_sel:[0,0,1] op_sel_hi:[1,0,0]
	s_delay_alu instid0(VALU_DEP_1) | instskip(SKIP_1) | instid1(VALU_DEP_1)
	v_mov_b32_e32 v147, v141
	v_pk_mul_f32 v[140:141], v[142:143], v[138:139] op_sel:[0,1]
	v_pk_fma_f32 v[144:145], v[142:143], v[136:137], v[140:141] op_sel:[0,0,1] op_sel_hi:[1,1,0] neg_lo:[0,0,1] neg_hi:[0,0,1]
	v_pk_fma_f32 v[140:141], v[142:143], v[136:137], v[140:141] op_sel:[0,0,1] op_sel_hi:[1,0,0]
	s_delay_alu instid0(VALU_DEP_1)
	v_mov_b32_e32 v145, v141
	ds_load_2addr_b64 v[140:143], v190 offset0:21 offset1:22
	v_pk_add_f32 v[72:73], v[72:73], v[146:147] neg_lo:[0,1] neg_hi:[0,1]
	v_pk_add_f32 v[100:101], v[100:101], v[144:145] neg_lo:[0,1] neg_hi:[0,1]
	s_wait_dscnt 0x0
	v_pk_mul_f32 v[144:145], v[140:141], v[138:139] op_sel:[0,1]
	s_delay_alu instid0(VALU_DEP_1) | instskip(SKIP_1) | instid1(VALU_DEP_1)
	v_pk_fma_f32 v[146:147], v[140:141], v[136:137], v[144:145] op_sel:[0,0,1] op_sel_hi:[1,1,0] neg_lo:[0,0,1] neg_hi:[0,0,1]
	v_pk_fma_f32 v[140:141], v[140:141], v[136:137], v[144:145] op_sel:[0,0,1] op_sel_hi:[1,0,0]
	v_mov_b32_e32 v147, v141
	v_pk_mul_f32 v[140:141], v[142:143], v[138:139] op_sel:[0,1]
	s_delay_alu instid0(VALU_DEP_1) | instskip(SKIP_1) | instid1(VALU_DEP_1)
	v_pk_fma_f32 v[144:145], v[142:143], v[136:137], v[140:141] op_sel:[0,0,1] op_sel_hi:[1,1,0] neg_lo:[0,0,1] neg_hi:[0,0,1]
	v_pk_fma_f32 v[140:141], v[142:143], v[136:137], v[140:141] op_sel:[0,0,1] op_sel_hi:[1,0,0]
	v_mov_b32_e32 v145, v141
	ds_load_2addr_b64 v[140:143], v190 offset0:23 offset1:24
	v_pk_add_f32 v[96:97], v[96:97], v[146:147] neg_lo:[0,1] neg_hi:[0,1]
	v_pk_add_f32 v[98:99], v[98:99], v[144:145] neg_lo:[0,1] neg_hi:[0,1]
	s_wait_dscnt 0x0
	v_dual_mul_f32 v144, v141, v139 :: v_dual_mul_f32 v146, v141, v136
	s_delay_alu instid0(VALU_DEP_1) | instskip(NEXT) | instid1(VALU_DEP_2)
	v_pk_fma_f32 v[144:145], v[140:141], v[28:29], v[144:145] op_sel_hi:[1,1,0] neg_lo:[0,0,1] neg_hi:[0,0,1]
	v_pk_fma_f32 v[140:141], v[140:141], v[28:29], v[146:147] op_sel:[1,0,0] op_sel_hi:[0,1,0]
	s_delay_alu instid0(VALU_DEP_1) | instskip(SKIP_1) | instid1(VALU_DEP_2)
	v_mov_b32_e32 v145, v141
	v_pk_mul_f32 v[140:141], v[142:143], v[138:139] op_sel:[0,1]
	v_pk_add_f32 v[94:95], v[94:95], v[144:145] neg_lo:[0,1] neg_hi:[0,1]
	s_delay_alu instid0(VALU_DEP_2) | instskip(SKIP_1) | instid1(VALU_DEP_1)
	v_pk_fma_f32 v[144:145], v[142:143], v[136:137], v[140:141] op_sel:[0,0,1] op_sel_hi:[1,1,0] neg_lo:[0,0,1] neg_hi:[0,0,1]
	v_pk_fma_f32 v[140:141], v[142:143], v[136:137], v[140:141] op_sel:[0,0,1] op_sel_hi:[1,0,0]
	v_mov_b32_e32 v145, v141
	ds_load_2addr_b64 v[140:143], v190 offset0:25 offset1:26
	v_pk_add_f32 v[116:117], v[116:117], v[144:145] neg_lo:[0,1] neg_hi:[0,1]
	s_wait_dscnt 0x0
	v_pk_mul_f32 v[144:145], v[140:141], v[138:139] op_sel:[0,1]
	s_delay_alu instid0(VALU_DEP_1) | instskip(SKIP_1) | instid1(VALU_DEP_1)
	v_pk_fma_f32 v[146:147], v[140:141], v[136:137], v[144:145] op_sel:[0,0,1] op_sel_hi:[1,1,0] neg_lo:[0,0,1] neg_hi:[0,0,1]
	v_pk_fma_f32 v[140:141], v[140:141], v[136:137], v[144:145] op_sel:[0,0,1] op_sel_hi:[1,0,0]
	v_mov_b32_e32 v147, v141
	v_pk_mul_f32 v[140:141], v[142:143], v[138:139] op_sel:[0,1]
	s_delay_alu instid0(VALU_DEP_2) | instskip(NEXT) | instid1(VALU_DEP_2)
	v_pk_add_f32 v[112:113], v[112:113], v[146:147] neg_lo:[0,1] neg_hi:[0,1]
	v_pk_fma_f32 v[144:145], v[142:143], v[136:137], v[140:141] op_sel:[0,0,1] op_sel_hi:[1,1,0] neg_lo:[0,0,1] neg_hi:[0,0,1]
	v_pk_fma_f32 v[140:141], v[142:143], v[136:137], v[140:141] op_sel:[0,0,1] op_sel_hi:[1,0,0]
	s_delay_alu instid0(VALU_DEP_1) | instskip(SKIP_4) | instid1(VALU_DEP_1)
	v_mov_b32_e32 v145, v141
	ds_load_2addr_b64 v[140:143], v190 offset0:27 offset1:28
	v_pk_add_f32 v[114:115], v[114:115], v[144:145] neg_lo:[0,1] neg_hi:[0,1]
	s_wait_dscnt 0x0
	v_pk_mul_f32 v[144:145], v[140:141], v[138:139] op_sel:[0,1]
	v_pk_fma_f32 v[146:147], v[140:141], v[136:137], v[144:145] op_sel:[0,0,1] op_sel_hi:[1,1,0] neg_lo:[0,0,1] neg_hi:[0,0,1]
	v_pk_fma_f32 v[140:141], v[140:141], v[136:137], v[144:145] op_sel:[0,0,1] op_sel_hi:[1,0,0]
	v_dual_mul_f32 v144, v143, v139 :: v_dual_mov_b32 v140, v143
	s_delay_alu instid0(VALU_DEP_2) | instskip(NEXT) | instid1(VALU_DEP_2)
	v_dual_mov_b32 v147, v141 :: v_dual_mov_b32 v141, v142
	v_pk_fma_f32 v[144:145], v[142:143], v[28:29], v[144:145] op_sel_hi:[1,1,0] neg_lo:[0,0,1] neg_hi:[0,0,1]
	v_mul_f32_e32 v142, v143, v136
	s_delay_alu instid0(VALU_DEP_3) | instskip(NEXT) | instid1(VALU_DEP_2)
	v_pk_add_f32 v[122:123], v[122:123], v[146:147] neg_lo:[0,1] neg_hi:[0,1]
	v_pk_fma_f32 v[140:141], v[140:141], v[28:29], v[142:143] op_sel_hi:[1,1,0]
	s_delay_alu instid0(VALU_DEP_1)
	v_mov_b32_e32 v145, v141
	ds_load_2addr_b64 v[140:143], v190 offset0:29 offset1:30
	v_pk_add_f32 v[120:121], v[120:121], v[144:145] neg_lo:[0,1] neg_hi:[0,1]
	s_wait_dscnt 0x0
	v_pk_mul_f32 v[144:145], v[140:141], v[138:139] op_sel:[0,1]
	v_pk_mul_f32 v[138:139], v[142:143], v[138:139] op_sel:[0,1]
	s_delay_alu instid0(VALU_DEP_2) | instskip(SKIP_1) | instid1(VALU_DEP_1)
	v_pk_fma_f32 v[146:147], v[140:141], v[136:137], v[144:145] op_sel:[0,0,1] op_sel_hi:[1,1,0] neg_lo:[0,0,1] neg_hi:[0,0,1]
	v_pk_fma_f32 v[140:141], v[140:141], v[136:137], v[144:145] op_sel:[0,0,1] op_sel_hi:[1,0,0]
	v_mov_b32_e32 v147, v141
	s_delay_alu instid0(VALU_DEP_4) | instskip(SKIP_1) | instid1(VALU_DEP_1)
	v_pk_fma_f32 v[140:141], v[142:143], v[136:137], v[138:139] op_sel:[0,0,1] op_sel_hi:[1,1,0] neg_lo:[0,0,1] neg_hi:[0,0,1]
	v_pk_fma_f32 v[136:137], v[142:143], v[136:137], v[138:139] op_sel:[0,0,1] op_sel_hi:[1,0,0]
	v_mov_b32_e32 v141, v137
	s_delay_alu instid0(VALU_DEP_4) | instskip(NEXT) | instid1(VALU_DEP_2)
	v_pk_add_f32 v[118:119], v[118:119], v[146:147] neg_lo:[0,1] neg_hi:[0,1]
	v_pk_add_f32 v[124:125], v[124:125], v[140:141] neg_lo:[0,1] neg_hi:[0,1]
.LBB61_46:
	s_or_b32 exec_lo, exec_lo, s1
	s_delay_alu instid0(SALU_CYCLE_1)
	s_mov_b32 s2, exec_lo
	s_wait_dscnt 0x0
	s_barrier_signal -1
	s_barrier_wait -1
	v_cmpx_eq_u32_e32 5, v188
	s_cbranch_execz .LBB61_53
; %bb.47:
	v_dual_mov_b32 v136, v26 :: v_dual_mov_b32 v137, v27
	v_dual_mov_b32 v138, v22 :: v_dual_mov_b32 v139, v23
	ds_store_b64 v189, v[24:25]
	ds_store_2addr_b64 v190, v[136:137], v[138:139] offset0:6 offset1:7
	v_dual_mov_b32 v136, v38 :: v_dual_mov_b32 v137, v39
	v_dual_mov_b32 v138, v88 :: v_dual_mov_b32 v139, v89
	ds_store_2addr_b64 v190, v[136:137], v[138:139] offset0:8 offset1:9
	v_dual_mov_b32 v136, v90 :: v_dual_mov_b32 v137, v91
	v_dual_mov_b32 v138, v36 :: v_dual_mov_b32 v139, v37
	;; [unrolled: 3-line block ×11, first 2 shown]
	ds_store_2addr_b64 v190, v[136:137], v[138:139] offset0:28 offset1:29
	ds_store_b64 v190, v[124:125] offset:240
	ds_load_b64 v[136:137], v189
	s_wait_dscnt 0x0
	v_cmp_neq_f32_e32 vcc_lo, 0, v136
	v_cmp_neq_f32_e64 s1, 0, v137
	s_or_b32 s1, vcc_lo, s1
	s_delay_alu instid0(SALU_CYCLE_1)
	s_and_b32 exec_lo, exec_lo, s1
	s_cbranch_execz .LBB61_53
; %bb.48:
	v_cmp_ngt_f32_e64 s1, |v136|, |v137|
                                        ; implicit-def: $vgpr138_vgpr139
	s_and_saveexec_b32 s4, s1
	s_delay_alu instid0(SALU_CYCLE_1)
	s_xor_b32 s1, exec_lo, s4
	s_cbranch_execz .LBB61_50
; %bb.49:
	v_div_scale_f32 v138, null, v137, v137, v136
	v_div_scale_f32 v141, vcc_lo, v136, v137, v136
	s_delay_alu instid0(VALU_DEP_2) | instskip(SKIP_1) | instid1(TRANS32_DEP_1)
	v_rcp_f32_e32 v139, v138
	v_nop
	v_fma_f32 v140, -v138, v139, 1.0
	s_delay_alu instid0(VALU_DEP_1) | instskip(NEXT) | instid1(VALU_DEP_1)
	v_fmac_f32_e32 v139, v140, v139
	v_mul_f32_e32 v140, v141, v139
	s_delay_alu instid0(VALU_DEP_1) | instskip(NEXT) | instid1(VALU_DEP_1)
	v_fma_f32 v142, -v138, v140, v141
	v_fmac_f32_e32 v140, v142, v139
	s_delay_alu instid0(VALU_DEP_1) | instskip(NEXT) | instid1(VALU_DEP_1)
	v_fma_f32 v138, -v138, v140, v141
	v_div_fmas_f32 v138, v138, v139, v140
	s_delay_alu instid0(VALU_DEP_1) | instskip(NEXT) | instid1(VALU_DEP_1)
	v_div_fixup_f32 v138, v138, v137, v136
	v_fmac_f32_e32 v137, v136, v138
	s_delay_alu instid0(VALU_DEP_1) | instskip(SKIP_1) | instid1(VALU_DEP_2)
	v_div_scale_f32 v136, null, v137, v137, 1.0
	v_div_scale_f32 v141, vcc_lo, 1.0, v137, 1.0
	v_rcp_f32_e32 v139, v136
	v_nop
	s_delay_alu instid0(TRANS32_DEP_1) | instskip(NEXT) | instid1(VALU_DEP_1)
	v_fma_f32 v140, -v136, v139, 1.0
	v_fmac_f32_e32 v139, v140, v139
	s_delay_alu instid0(VALU_DEP_1) | instskip(NEXT) | instid1(VALU_DEP_1)
	v_mul_f32_e32 v140, v141, v139
	v_fma_f32 v142, -v136, v140, v141
	s_delay_alu instid0(VALU_DEP_1) | instskip(NEXT) | instid1(VALU_DEP_1)
	v_fmac_f32_e32 v140, v142, v139
	v_fma_f32 v136, -v136, v140, v141
	s_delay_alu instid0(VALU_DEP_1) | instskip(NEXT) | instid1(VALU_DEP_1)
	v_div_fmas_f32 v136, v136, v139, v140
	v_div_fixup_f32 v136, v136, v137, 1.0
	s_delay_alu instid0(VALU_DEP_1)
	v_mul_f32_e32 v138, v138, v136
	v_xor_b32_e32 v139, 0x80000000, v136
                                        ; implicit-def: $vgpr136_vgpr137
.LBB61_50:
	s_and_not1_saveexec_b32 s1, s1
	s_cbranch_execz .LBB61_52
; %bb.51:
	v_div_scale_f32 v138, null, v136, v136, v137
	v_div_scale_f32 v141, vcc_lo, v137, v136, v137
	s_delay_alu instid0(VALU_DEP_2) | instskip(SKIP_1) | instid1(TRANS32_DEP_1)
	v_rcp_f32_e32 v139, v138
	v_nop
	v_fma_f32 v140, -v138, v139, 1.0
	s_delay_alu instid0(VALU_DEP_1) | instskip(NEXT) | instid1(VALU_DEP_1)
	v_fmac_f32_e32 v139, v140, v139
	v_mul_f32_e32 v140, v141, v139
	s_delay_alu instid0(VALU_DEP_1) | instskip(NEXT) | instid1(VALU_DEP_1)
	v_fma_f32 v142, -v138, v140, v141
	v_fmac_f32_e32 v140, v142, v139
	s_delay_alu instid0(VALU_DEP_1) | instskip(NEXT) | instid1(VALU_DEP_1)
	v_fma_f32 v138, -v138, v140, v141
	v_div_fmas_f32 v138, v138, v139, v140
	s_delay_alu instid0(VALU_DEP_1) | instskip(NEXT) | instid1(VALU_DEP_1)
	v_div_fixup_f32 v139, v138, v136, v137
	v_fmac_f32_e32 v136, v137, v139
	s_delay_alu instid0(VALU_DEP_1) | instskip(NEXT) | instid1(VALU_DEP_1)
	v_div_scale_f32 v137, null, v136, v136, 1.0
	v_rcp_f32_e32 v138, v137
	v_nop
	s_delay_alu instid0(TRANS32_DEP_1) | instskip(NEXT) | instid1(VALU_DEP_1)
	v_fma_f32 v140, -v137, v138, 1.0
	v_fmac_f32_e32 v138, v140, v138
	v_div_scale_f32 v140, vcc_lo, 1.0, v136, 1.0
	s_delay_alu instid0(VALU_DEP_1) | instskip(NEXT) | instid1(VALU_DEP_1)
	v_mul_f32_e32 v141, v140, v138
	v_fma_f32 v142, -v137, v141, v140
	s_delay_alu instid0(VALU_DEP_1) | instskip(NEXT) | instid1(VALU_DEP_1)
	v_fmac_f32_e32 v141, v142, v138
	v_fma_f32 v137, -v137, v141, v140
	s_delay_alu instid0(VALU_DEP_1) | instskip(NEXT) | instid1(VALU_DEP_1)
	v_div_fmas_f32 v137, v137, v138, v141
	v_div_fixup_f32 v138, v137, v136, 1.0
	s_delay_alu instid0(VALU_DEP_1)
	v_mul_f32_e64 v139, v139, -v138
.LBB61_52:
	s_or_b32 exec_lo, exec_lo, s1
	ds_store_b64 v189, v[138:139]
.LBB61_53:
	s_or_b32 exec_lo, exec_lo, s2
	s_wait_dscnt 0x0
	s_barrier_signal -1
	s_barrier_wait -1
	ds_load_b64 v[136:137], v189
	s_mov_b32 s1, exec_lo
	v_cmpx_lt_u32_e32 5, v188
	s_cbranch_execz .LBB61_55
; %bb.54:
	ds_load_2addr_b64 v[142:145], v190 offset0:6 offset1:7
	s_wait_dscnt 0x1
	v_pk_mul_f32 v[140:141], v[136:137], v[24:25] op_sel:[1,1] op_sel_hi:[0,1]
	s_delay_alu instid0(VALU_DEP_1) | instskip(SKIP_1) | instid1(VALU_DEP_1)
	v_pk_fma_f32 v[138:139], v[136:137], v[24:25], v[140:141] op_sel_hi:[1,0,1] neg_lo:[0,0,1] neg_hi:[0,0,1]
	v_pk_fma_f32 v[140:141], v[136:137], v[24:25], v[140:141] op_sel_hi:[1,0,1]
	v_dual_mov_b32 v24, v138 :: v_dual_mov_b32 v25, v141
	s_wait_dscnt 0x0
	s_delay_alu instid0(VALU_DEP_2) | instskip(NEXT) | instid1(VALU_DEP_1)
	v_pk_mul_f32 v[146:147], v[142:143], v[140:141] op_sel:[0,1]
	v_pk_fma_f32 v[148:149], v[142:143], v[138:139], v[146:147] op_sel:[0,0,1] op_sel_hi:[1,1,0] neg_lo:[0,0,1] neg_hi:[0,0,1]
	v_pk_fma_f32 v[142:143], v[142:143], v[138:139], v[146:147] op_sel:[0,0,1] op_sel_hi:[1,0,0]
	s_delay_alu instid0(VALU_DEP_1) | instskip(SKIP_1) | instid1(VALU_DEP_1)
	v_mov_b32_e32 v149, v143
	v_pk_mul_f32 v[142:143], v[144:145], v[140:141] op_sel:[0,1]
	v_pk_fma_f32 v[146:147], v[144:145], v[138:139], v[142:143] op_sel:[0,0,1] op_sel_hi:[1,1,0] neg_lo:[0,0,1] neg_hi:[0,0,1]
	v_pk_fma_f32 v[142:143], v[144:145], v[138:139], v[142:143] op_sel:[0,0,1] op_sel_hi:[1,0,0]
	s_delay_alu instid0(VALU_DEP_1)
	v_mov_b32_e32 v147, v143
	ds_load_2addr_b64 v[142:145], v190 offset0:8 offset1:9
	v_pk_add_f32 v[26:27], v[26:27], v[148:149] neg_lo:[0,1] neg_hi:[0,1]
	v_pk_add_f32 v[22:23], v[22:23], v[146:147] neg_lo:[0,1] neg_hi:[0,1]
	s_wait_dscnt 0x0
	v_pk_mul_f32 v[146:147], v[142:143], v[140:141] op_sel:[0,1]
	s_delay_alu instid0(VALU_DEP_1) | instskip(SKIP_2) | instid1(VALU_DEP_2)
	v_pk_fma_f32 v[148:149], v[142:143], v[138:139], v[146:147] op_sel:[0,0,1] op_sel_hi:[1,1,0] neg_lo:[0,0,1] neg_hi:[0,0,1]
	v_pk_fma_f32 v[142:143], v[142:143], v[138:139], v[146:147] op_sel:[0,0,1] op_sel_hi:[1,0,0]
	v_dual_mul_f32 v146, v145, v141 :: v_dual_mov_b32 v142, v145
	v_dual_mov_b32 v149, v143 :: v_dual_mov_b32 v143, v144
	s_delay_alu instid0(VALU_DEP_2) | instskip(SKIP_1) | instid1(VALU_DEP_3)
	v_pk_fma_f32 v[146:147], v[144:145], v[24:25], v[146:147] op_sel_hi:[1,1,0] neg_lo:[0,0,1] neg_hi:[0,0,1]
	v_mul_f32_e32 v144, v145, v138
	v_pk_add_f32 v[38:39], v[38:39], v[148:149] neg_lo:[0,1] neg_hi:[0,1]
	s_delay_alu instid0(VALU_DEP_2) | instskip(NEXT) | instid1(VALU_DEP_1)
	v_pk_fma_f32 v[142:143], v[142:143], v[24:25], v[144:145] op_sel_hi:[1,1,0]
	v_mov_b32_e32 v147, v143
	ds_load_2addr_b64 v[142:145], v190 offset0:10 offset1:11
	v_pk_add_f32 v[88:89], v[88:89], v[146:147] neg_lo:[0,1] neg_hi:[0,1]
	s_wait_dscnt 0x0
	v_pk_mul_f32 v[146:147], v[142:143], v[140:141] op_sel:[0,1]
	s_delay_alu instid0(VALU_DEP_1) | instskip(SKIP_1) | instid1(VALU_DEP_1)
	v_pk_fma_f32 v[148:149], v[142:143], v[138:139], v[146:147] op_sel:[0,0,1] op_sel_hi:[1,1,0] neg_lo:[0,0,1] neg_hi:[0,0,1]
	v_pk_fma_f32 v[142:143], v[142:143], v[138:139], v[146:147] op_sel:[0,0,1] op_sel_hi:[1,0,0]
	v_mov_b32_e32 v149, v143
	v_pk_mul_f32 v[142:143], v[144:145], v[140:141] op_sel:[0,1]
	s_delay_alu instid0(VALU_DEP_1) | instskip(SKIP_1) | instid1(VALU_DEP_1)
	v_pk_fma_f32 v[146:147], v[144:145], v[138:139], v[142:143] op_sel:[0,0,1] op_sel_hi:[1,1,0] neg_lo:[0,0,1] neg_hi:[0,0,1]
	v_pk_fma_f32 v[142:143], v[144:145], v[138:139], v[142:143] op_sel:[0,0,1] op_sel_hi:[1,0,0]
	v_mov_b32_e32 v147, v143
	ds_load_2addr_b64 v[142:145], v190 offset0:12 offset1:13
	v_pk_add_f32 v[90:91], v[90:91], v[148:149] neg_lo:[0,1] neg_hi:[0,1]
	v_pk_add_f32 v[36:37], v[36:37], v[146:147] neg_lo:[0,1] neg_hi:[0,1]
	s_wait_dscnt 0x0
	v_pk_mul_f32 v[146:147], v[142:143], v[140:141] op_sel:[0,1]
	s_delay_alu instid0(VALU_DEP_1) | instskip(SKIP_1) | instid1(VALU_DEP_1)
	v_pk_fma_f32 v[148:149], v[142:143], v[138:139], v[146:147] op_sel:[0,0,1] op_sel_hi:[1,1,0] neg_lo:[0,0,1] neg_hi:[0,0,1]
	v_pk_fma_f32 v[142:143], v[142:143], v[138:139], v[146:147] op_sel:[0,0,1] op_sel_hi:[1,0,0]
	v_mov_b32_e32 v149, v143
	v_pk_mul_f32 v[142:143], v[144:145], v[140:141] op_sel:[0,1]
	s_delay_alu instid0(VALU_DEP_1) | instskip(SKIP_1) | instid1(VALU_DEP_1)
	v_pk_fma_f32 v[146:147], v[144:145], v[138:139], v[142:143] op_sel:[0,0,1] op_sel_hi:[1,1,0] neg_lo:[0,0,1] neg_hi:[0,0,1]
	v_pk_fma_f32 v[142:143], v[144:145], v[138:139], v[142:143] op_sel:[0,0,1] op_sel_hi:[1,0,0]
	v_mov_b32_e32 v147, v143
	ds_load_2addr_b64 v[142:145], v190 offset0:14 offset1:15
	v_pk_add_f32 v[62:63], v[62:63], v[148:149] neg_lo:[0,1] neg_hi:[0,1]
	v_pk_add_f32 v[58:59], v[58:59], v[146:147] neg_lo:[0,1] neg_hi:[0,1]
	s_wait_dscnt 0x0
	v_dual_mul_f32 v146, v143, v141 :: v_dual_mul_f32 v148, v143, v138
	s_delay_alu instid0(VALU_DEP_1) | instskip(NEXT) | instid1(VALU_DEP_2)
	v_pk_fma_f32 v[146:147], v[142:143], v[24:25], v[146:147] op_sel_hi:[1,1,0] neg_lo:[0,0,1] neg_hi:[0,0,1]
	v_pk_fma_f32 v[142:143], v[142:143], v[24:25], v[148:149] op_sel:[1,0,0] op_sel_hi:[0,1,0]
	s_delay_alu instid0(VALU_DEP_1) | instskip(SKIP_1) | instid1(VALU_DEP_2)
	v_mov_b32_e32 v147, v143
	v_pk_mul_f32 v[142:143], v[144:145], v[140:141] op_sel:[0,1]
	v_pk_add_f32 v[60:61], v[60:61], v[146:147] neg_lo:[0,1] neg_hi:[0,1]
	s_delay_alu instid0(VALU_DEP_2) | instskip(SKIP_1) | instid1(VALU_DEP_1)
	v_pk_fma_f32 v[146:147], v[144:145], v[138:139], v[142:143] op_sel:[0,0,1] op_sel_hi:[1,1,0] neg_lo:[0,0,1] neg_hi:[0,0,1]
	v_pk_fma_f32 v[142:143], v[144:145], v[138:139], v[142:143] op_sel:[0,0,1] op_sel_hi:[1,0,0]
	v_mov_b32_e32 v147, v143
	ds_load_2addr_b64 v[142:145], v190 offset0:16 offset1:17
	v_pk_add_f32 v[56:57], v[56:57], v[146:147] neg_lo:[0,1] neg_hi:[0,1]
	s_wait_dscnt 0x0
	v_pk_mul_f32 v[146:147], v[142:143], v[140:141] op_sel:[0,1]
	s_delay_alu instid0(VALU_DEP_1) | instskip(SKIP_1) | instid1(VALU_DEP_1)
	v_pk_fma_f32 v[148:149], v[142:143], v[138:139], v[146:147] op_sel:[0,0,1] op_sel_hi:[1,1,0] neg_lo:[0,0,1] neg_hi:[0,0,1]
	v_pk_fma_f32 v[142:143], v[142:143], v[138:139], v[146:147] op_sel:[0,0,1] op_sel_hi:[1,0,0]
	v_mov_b32_e32 v149, v143
	v_pk_mul_f32 v[142:143], v[144:145], v[140:141] op_sel:[0,1]
	s_delay_alu instid0(VALU_DEP_2) | instskip(NEXT) | instid1(VALU_DEP_2)
	v_pk_add_f32 v[78:79], v[78:79], v[148:149] neg_lo:[0,1] neg_hi:[0,1]
	v_pk_fma_f32 v[146:147], v[144:145], v[138:139], v[142:143] op_sel:[0,0,1] op_sel_hi:[1,1,0] neg_lo:[0,0,1] neg_hi:[0,0,1]
	v_pk_fma_f32 v[142:143], v[144:145], v[138:139], v[142:143] op_sel:[0,0,1] op_sel_hi:[1,0,0]
	s_delay_alu instid0(VALU_DEP_1) | instskip(SKIP_4) | instid1(VALU_DEP_1)
	v_mov_b32_e32 v147, v143
	ds_load_2addr_b64 v[142:145], v190 offset0:18 offset1:19
	v_pk_add_f32 v[74:75], v[74:75], v[146:147] neg_lo:[0,1] neg_hi:[0,1]
	s_wait_dscnt 0x0
	v_pk_mul_f32 v[146:147], v[142:143], v[140:141] op_sel:[0,1]
	v_pk_fma_f32 v[148:149], v[142:143], v[138:139], v[146:147] op_sel:[0,0,1] op_sel_hi:[1,1,0] neg_lo:[0,0,1] neg_hi:[0,0,1]
	v_pk_fma_f32 v[142:143], v[142:143], v[138:139], v[146:147] op_sel:[0,0,1] op_sel_hi:[1,0,0]
	v_dual_mul_f32 v146, v145, v141 :: v_dual_mov_b32 v142, v145
	s_delay_alu instid0(VALU_DEP_2) | instskip(NEXT) | instid1(VALU_DEP_2)
	v_dual_mov_b32 v149, v143 :: v_dual_mov_b32 v143, v144
	v_pk_fma_f32 v[146:147], v[144:145], v[24:25], v[146:147] op_sel_hi:[1,1,0] neg_lo:[0,0,1] neg_hi:[0,0,1]
	v_mul_f32_e32 v144, v145, v138
	s_delay_alu instid0(VALU_DEP_3) | instskip(NEXT) | instid1(VALU_DEP_2)
	v_pk_add_f32 v[76:77], v[76:77], v[148:149] neg_lo:[0,1] neg_hi:[0,1]
	v_pk_fma_f32 v[142:143], v[142:143], v[24:25], v[144:145] op_sel_hi:[1,1,0]
	s_delay_alu instid0(VALU_DEP_1) | instskip(SKIP_4) | instid1(VALU_DEP_1)
	v_mov_b32_e32 v147, v143
	ds_load_2addr_b64 v[142:145], v190 offset0:20 offset1:21
	v_pk_add_f32 v[72:73], v[72:73], v[146:147] neg_lo:[0,1] neg_hi:[0,1]
	s_wait_dscnt 0x0
	v_pk_mul_f32 v[146:147], v[142:143], v[140:141] op_sel:[0,1]
	v_pk_fma_f32 v[148:149], v[142:143], v[138:139], v[146:147] op_sel:[0,0,1] op_sel_hi:[1,1,0] neg_lo:[0,0,1] neg_hi:[0,0,1]
	v_pk_fma_f32 v[142:143], v[142:143], v[138:139], v[146:147] op_sel:[0,0,1] op_sel_hi:[1,0,0]
	s_delay_alu instid0(VALU_DEP_1) | instskip(SKIP_1) | instid1(VALU_DEP_1)
	v_mov_b32_e32 v149, v143
	v_pk_mul_f32 v[142:143], v[144:145], v[140:141] op_sel:[0,1]
	v_pk_fma_f32 v[146:147], v[144:145], v[138:139], v[142:143] op_sel:[0,0,1] op_sel_hi:[1,1,0] neg_lo:[0,0,1] neg_hi:[0,0,1]
	v_pk_fma_f32 v[142:143], v[144:145], v[138:139], v[142:143] op_sel:[0,0,1] op_sel_hi:[1,0,0]
	s_delay_alu instid0(VALU_DEP_1)
	v_mov_b32_e32 v147, v143
	ds_load_2addr_b64 v[142:145], v190 offset0:22 offset1:23
	v_pk_add_f32 v[100:101], v[100:101], v[148:149] neg_lo:[0,1] neg_hi:[0,1]
	v_pk_add_f32 v[96:97], v[96:97], v[146:147] neg_lo:[0,1] neg_hi:[0,1]
	s_wait_dscnt 0x0
	v_pk_mul_f32 v[146:147], v[142:143], v[140:141] op_sel:[0,1]
	s_delay_alu instid0(VALU_DEP_1) | instskip(SKIP_1) | instid1(VALU_DEP_1)
	v_pk_fma_f32 v[148:149], v[142:143], v[138:139], v[146:147] op_sel:[0,0,1] op_sel_hi:[1,1,0] neg_lo:[0,0,1] neg_hi:[0,0,1]
	v_pk_fma_f32 v[142:143], v[142:143], v[138:139], v[146:147] op_sel:[0,0,1] op_sel_hi:[1,0,0]
	v_mov_b32_e32 v149, v143
	v_pk_mul_f32 v[142:143], v[144:145], v[140:141] op_sel:[0,1]
	s_delay_alu instid0(VALU_DEP_1) | instskip(SKIP_1) | instid1(VALU_DEP_1)
	v_pk_fma_f32 v[146:147], v[144:145], v[138:139], v[142:143] op_sel:[0,0,1] op_sel_hi:[1,1,0] neg_lo:[0,0,1] neg_hi:[0,0,1]
	v_pk_fma_f32 v[142:143], v[144:145], v[138:139], v[142:143] op_sel:[0,0,1] op_sel_hi:[1,0,0]
	v_mov_b32_e32 v147, v143
	ds_load_2addr_b64 v[142:145], v190 offset0:24 offset1:25
	v_pk_add_f32 v[98:99], v[98:99], v[148:149] neg_lo:[0,1] neg_hi:[0,1]
	v_pk_add_f32 v[94:95], v[94:95], v[146:147] neg_lo:[0,1] neg_hi:[0,1]
	s_wait_dscnt 0x0
	v_dual_mul_f32 v146, v143, v141 :: v_dual_mul_f32 v148, v143, v138
	s_delay_alu instid0(VALU_DEP_1) | instskip(NEXT) | instid1(VALU_DEP_2)
	v_pk_fma_f32 v[146:147], v[142:143], v[24:25], v[146:147] op_sel_hi:[1,1,0] neg_lo:[0,0,1] neg_hi:[0,0,1]
	v_pk_fma_f32 v[142:143], v[142:143], v[24:25], v[148:149] op_sel:[1,0,0] op_sel_hi:[0,1,0]
	s_delay_alu instid0(VALU_DEP_1) | instskip(SKIP_1) | instid1(VALU_DEP_2)
	v_mov_b32_e32 v147, v143
	v_pk_mul_f32 v[142:143], v[144:145], v[140:141] op_sel:[0,1]
	v_pk_add_f32 v[116:117], v[116:117], v[146:147] neg_lo:[0,1] neg_hi:[0,1]
	s_delay_alu instid0(VALU_DEP_2) | instskip(SKIP_1) | instid1(VALU_DEP_1)
	v_pk_fma_f32 v[146:147], v[144:145], v[138:139], v[142:143] op_sel:[0,0,1] op_sel_hi:[1,1,0] neg_lo:[0,0,1] neg_hi:[0,0,1]
	v_pk_fma_f32 v[142:143], v[144:145], v[138:139], v[142:143] op_sel:[0,0,1] op_sel_hi:[1,0,0]
	v_mov_b32_e32 v147, v143
	ds_load_2addr_b64 v[142:145], v190 offset0:26 offset1:27
	v_pk_add_f32 v[112:113], v[112:113], v[146:147] neg_lo:[0,1] neg_hi:[0,1]
	s_wait_dscnt 0x0
	v_pk_mul_f32 v[146:147], v[142:143], v[140:141] op_sel:[0,1]
	s_delay_alu instid0(VALU_DEP_1) | instskip(SKIP_1) | instid1(VALU_DEP_1)
	v_pk_fma_f32 v[148:149], v[142:143], v[138:139], v[146:147] op_sel:[0,0,1] op_sel_hi:[1,1,0] neg_lo:[0,0,1] neg_hi:[0,0,1]
	v_pk_fma_f32 v[142:143], v[142:143], v[138:139], v[146:147] op_sel:[0,0,1] op_sel_hi:[1,0,0]
	v_mov_b32_e32 v149, v143
	v_pk_mul_f32 v[142:143], v[144:145], v[140:141] op_sel:[0,1]
	s_delay_alu instid0(VALU_DEP_2) | instskip(NEXT) | instid1(VALU_DEP_2)
	v_pk_add_f32 v[114:115], v[114:115], v[148:149] neg_lo:[0,1] neg_hi:[0,1]
	v_pk_fma_f32 v[146:147], v[144:145], v[138:139], v[142:143] op_sel:[0,0,1] op_sel_hi:[1,1,0] neg_lo:[0,0,1] neg_hi:[0,0,1]
	v_pk_fma_f32 v[142:143], v[144:145], v[138:139], v[142:143] op_sel:[0,0,1] op_sel_hi:[1,0,0]
	s_delay_alu instid0(VALU_DEP_1) | instskip(SKIP_4) | instid1(VALU_DEP_1)
	v_mov_b32_e32 v147, v143
	ds_load_2addr_b64 v[142:145], v190 offset0:28 offset1:29
	v_pk_add_f32 v[122:123], v[122:123], v[146:147] neg_lo:[0,1] neg_hi:[0,1]
	s_wait_dscnt 0x0
	v_pk_mul_f32 v[146:147], v[142:143], v[140:141] op_sel:[0,1]
	v_pk_fma_f32 v[148:149], v[142:143], v[138:139], v[146:147] op_sel:[0,0,1] op_sel_hi:[1,1,0] neg_lo:[0,0,1] neg_hi:[0,0,1]
	v_pk_fma_f32 v[142:143], v[142:143], v[138:139], v[146:147] op_sel:[0,0,1] op_sel_hi:[1,0,0]
	v_dual_mul_f32 v146, v145, v141 :: v_dual_mov_b32 v142, v145
	s_delay_alu instid0(VALU_DEP_2) | instskip(NEXT) | instid1(VALU_DEP_2)
	v_dual_mov_b32 v149, v143 :: v_dual_mov_b32 v143, v144
	v_pk_fma_f32 v[146:147], v[144:145], v[24:25], v[146:147] op_sel_hi:[1,1,0] neg_lo:[0,0,1] neg_hi:[0,0,1]
	v_mul_f32_e32 v144, v145, v138
	s_delay_alu instid0(VALU_DEP_3) | instskip(NEXT) | instid1(VALU_DEP_2)
	v_pk_add_f32 v[120:121], v[120:121], v[148:149] neg_lo:[0,1] neg_hi:[0,1]
	v_pk_fma_f32 v[142:143], v[142:143], v[24:25], v[144:145] op_sel_hi:[1,1,0]
	s_delay_alu instid0(VALU_DEP_1) | instskip(SKIP_4) | instid1(VALU_DEP_1)
	v_mov_b32_e32 v147, v143
	ds_load_b64 v[142:143], v190 offset:240
	v_pk_add_f32 v[118:119], v[118:119], v[146:147] neg_lo:[0,1] neg_hi:[0,1]
	s_wait_dscnt 0x0
	v_pk_mul_f32 v[140:141], v[142:143], v[140:141] op_sel:[0,1]
	v_pk_fma_f32 v[144:145], v[142:143], v[138:139], v[140:141] op_sel:[0,0,1] op_sel_hi:[1,1,0] neg_lo:[0,0,1] neg_hi:[0,0,1]
	v_pk_fma_f32 v[138:139], v[142:143], v[138:139], v[140:141] op_sel:[0,0,1] op_sel_hi:[1,0,0]
	s_delay_alu instid0(VALU_DEP_1) | instskip(NEXT) | instid1(VALU_DEP_1)
	v_mov_b32_e32 v145, v139
	v_pk_add_f32 v[124:125], v[124:125], v[144:145] neg_lo:[0,1] neg_hi:[0,1]
.LBB61_55:
	s_or_b32 exec_lo, exec_lo, s1
	s_delay_alu instid0(SALU_CYCLE_1)
	s_mov_b32 s2, exec_lo
	s_wait_dscnt 0x0
	s_barrier_signal -1
	s_barrier_wait -1
	v_cmpx_eq_u32_e32 6, v188
	s_cbranch_execz .LBB61_62
; %bb.56:
	ds_store_b64 v189, v[26:27]
	ds_store_2addr_b64 v190, v[22:23], v[38:39] offset0:7 offset1:8
	ds_store_2addr_b64 v190, v[88:89], v[90:91] offset0:9 offset1:10
	;; [unrolled: 1-line block ×12, first 2 shown]
	ds_load_b64 v[138:139], v189
	s_wait_dscnt 0x0
	v_cmp_neq_f32_e32 vcc_lo, 0, v138
	v_cmp_neq_f32_e64 s1, 0, v139
	s_or_b32 s1, vcc_lo, s1
	s_delay_alu instid0(SALU_CYCLE_1)
	s_and_b32 exec_lo, exec_lo, s1
	s_cbranch_execz .LBB61_62
; %bb.57:
	v_cmp_ngt_f32_e64 s1, |v138|, |v139|
                                        ; implicit-def: $vgpr140_vgpr141
	s_and_saveexec_b32 s4, s1
	s_delay_alu instid0(SALU_CYCLE_1)
	s_xor_b32 s1, exec_lo, s4
	s_cbranch_execz .LBB61_59
; %bb.58:
	v_div_scale_f32 v140, null, v139, v139, v138
	v_div_scale_f32 v143, vcc_lo, v138, v139, v138
	s_delay_alu instid0(VALU_DEP_2) | instskip(SKIP_1) | instid1(TRANS32_DEP_1)
	v_rcp_f32_e32 v141, v140
	v_nop
	v_fma_f32 v142, -v140, v141, 1.0
	s_delay_alu instid0(VALU_DEP_1) | instskip(NEXT) | instid1(VALU_DEP_1)
	v_fmac_f32_e32 v141, v142, v141
	v_mul_f32_e32 v142, v143, v141
	s_delay_alu instid0(VALU_DEP_1) | instskip(NEXT) | instid1(VALU_DEP_1)
	v_fma_f32 v144, -v140, v142, v143
	v_fmac_f32_e32 v142, v144, v141
	s_delay_alu instid0(VALU_DEP_1) | instskip(NEXT) | instid1(VALU_DEP_1)
	v_fma_f32 v140, -v140, v142, v143
	v_div_fmas_f32 v140, v140, v141, v142
	s_delay_alu instid0(VALU_DEP_1) | instskip(NEXT) | instid1(VALU_DEP_1)
	v_div_fixup_f32 v140, v140, v139, v138
	v_fmac_f32_e32 v139, v138, v140
	s_delay_alu instid0(VALU_DEP_1) | instskip(SKIP_1) | instid1(VALU_DEP_2)
	v_div_scale_f32 v138, null, v139, v139, 1.0
	v_div_scale_f32 v143, vcc_lo, 1.0, v139, 1.0
	v_rcp_f32_e32 v141, v138
	v_nop
	s_delay_alu instid0(TRANS32_DEP_1) | instskip(NEXT) | instid1(VALU_DEP_1)
	v_fma_f32 v142, -v138, v141, 1.0
	v_fmac_f32_e32 v141, v142, v141
	s_delay_alu instid0(VALU_DEP_1) | instskip(NEXT) | instid1(VALU_DEP_1)
	v_mul_f32_e32 v142, v143, v141
	v_fma_f32 v144, -v138, v142, v143
	s_delay_alu instid0(VALU_DEP_1) | instskip(NEXT) | instid1(VALU_DEP_1)
	v_fmac_f32_e32 v142, v144, v141
	v_fma_f32 v138, -v138, v142, v143
	s_delay_alu instid0(VALU_DEP_1) | instskip(NEXT) | instid1(VALU_DEP_1)
	v_div_fmas_f32 v138, v138, v141, v142
	v_div_fixup_f32 v138, v138, v139, 1.0
	s_delay_alu instid0(VALU_DEP_1)
	v_mul_f32_e32 v140, v140, v138
	v_xor_b32_e32 v141, 0x80000000, v138
                                        ; implicit-def: $vgpr138_vgpr139
.LBB61_59:
	s_and_not1_saveexec_b32 s1, s1
	s_cbranch_execz .LBB61_61
; %bb.60:
	v_div_scale_f32 v140, null, v138, v138, v139
	v_div_scale_f32 v143, vcc_lo, v139, v138, v139
	s_delay_alu instid0(VALU_DEP_2) | instskip(SKIP_1) | instid1(TRANS32_DEP_1)
	v_rcp_f32_e32 v141, v140
	v_nop
	v_fma_f32 v142, -v140, v141, 1.0
	s_delay_alu instid0(VALU_DEP_1) | instskip(NEXT) | instid1(VALU_DEP_1)
	v_fmac_f32_e32 v141, v142, v141
	v_mul_f32_e32 v142, v143, v141
	s_delay_alu instid0(VALU_DEP_1) | instskip(NEXT) | instid1(VALU_DEP_1)
	v_fma_f32 v144, -v140, v142, v143
	v_fmac_f32_e32 v142, v144, v141
	s_delay_alu instid0(VALU_DEP_1) | instskip(NEXT) | instid1(VALU_DEP_1)
	v_fma_f32 v140, -v140, v142, v143
	v_div_fmas_f32 v140, v140, v141, v142
	s_delay_alu instid0(VALU_DEP_1) | instskip(NEXT) | instid1(VALU_DEP_1)
	v_div_fixup_f32 v141, v140, v138, v139
	v_fmac_f32_e32 v138, v139, v141
	s_delay_alu instid0(VALU_DEP_1) | instskip(NEXT) | instid1(VALU_DEP_1)
	v_div_scale_f32 v139, null, v138, v138, 1.0
	v_rcp_f32_e32 v140, v139
	v_nop
	s_delay_alu instid0(TRANS32_DEP_1) | instskip(NEXT) | instid1(VALU_DEP_1)
	v_fma_f32 v142, -v139, v140, 1.0
	v_fmac_f32_e32 v140, v142, v140
	v_div_scale_f32 v142, vcc_lo, 1.0, v138, 1.0
	s_delay_alu instid0(VALU_DEP_1) | instskip(NEXT) | instid1(VALU_DEP_1)
	v_mul_f32_e32 v143, v142, v140
	v_fma_f32 v144, -v139, v143, v142
	s_delay_alu instid0(VALU_DEP_1) | instskip(NEXT) | instid1(VALU_DEP_1)
	v_fmac_f32_e32 v143, v144, v140
	v_fma_f32 v139, -v139, v143, v142
	s_delay_alu instid0(VALU_DEP_1) | instskip(NEXT) | instid1(VALU_DEP_1)
	v_div_fmas_f32 v139, v139, v140, v143
	v_div_fixup_f32 v140, v139, v138, 1.0
	s_delay_alu instid0(VALU_DEP_1)
	v_mul_f32_e64 v141, v141, -v140
.LBB61_61:
	s_or_b32 exec_lo, exec_lo, s1
	ds_store_b64 v189, v[140:141]
.LBB61_62:
	s_or_b32 exec_lo, exec_lo, s2
	s_wait_dscnt 0x0
	s_barrier_signal -1
	s_barrier_wait -1
	ds_load_b64 v[138:139], v189
	s_mov_b32 s1, exec_lo
	v_cmpx_lt_u32_e32 6, v188
	s_cbranch_execz .LBB61_64
; %bb.63:
	ds_load_2addr_b64 v[144:147], v190 offset0:7 offset1:8
	s_wait_dscnt 0x1
	v_pk_mul_f32 v[142:143], v[138:139], v[26:27] op_sel:[1,1] op_sel_hi:[0,1]
	s_delay_alu instid0(VALU_DEP_1) | instskip(SKIP_1) | instid1(VALU_DEP_1)
	v_pk_fma_f32 v[140:141], v[138:139], v[26:27], v[142:143] op_sel_hi:[1,0,1] neg_lo:[0,0,1] neg_hi:[0,0,1]
	v_pk_fma_f32 v[142:143], v[138:139], v[26:27], v[142:143] op_sel_hi:[1,0,1]
	v_dual_mov_b32 v26, v140 :: v_dual_mov_b32 v27, v143
	s_wait_dscnt 0x0
	s_delay_alu instid0(VALU_DEP_2) | instskip(NEXT) | instid1(VALU_DEP_1)
	v_pk_mul_f32 v[148:149], v[144:145], v[142:143] op_sel:[0,1]
	v_pk_fma_f32 v[150:151], v[144:145], v[140:141], v[148:149] op_sel:[0,0,1] op_sel_hi:[1,1,0] neg_lo:[0,0,1] neg_hi:[0,0,1]
	v_pk_fma_f32 v[144:145], v[144:145], v[140:141], v[148:149] op_sel:[0,0,1] op_sel_hi:[1,0,0]
	s_delay_alu instid0(VALU_DEP_1) | instskip(SKIP_1) | instid1(VALU_DEP_1)
	v_mov_b32_e32 v151, v145
	v_pk_mul_f32 v[144:145], v[146:147], v[142:143] op_sel:[0,1]
	v_pk_fma_f32 v[148:149], v[146:147], v[140:141], v[144:145] op_sel:[0,0,1] op_sel_hi:[1,1,0] neg_lo:[0,0,1] neg_hi:[0,0,1]
	v_pk_fma_f32 v[144:145], v[146:147], v[140:141], v[144:145] op_sel:[0,0,1] op_sel_hi:[1,0,0]
	s_delay_alu instid0(VALU_DEP_1)
	v_mov_b32_e32 v149, v145
	ds_load_2addr_b64 v[144:147], v190 offset0:9 offset1:10
	v_pk_add_f32 v[22:23], v[22:23], v[150:151] neg_lo:[0,1] neg_hi:[0,1]
	v_pk_add_f32 v[38:39], v[38:39], v[148:149] neg_lo:[0,1] neg_hi:[0,1]
	s_wait_dscnt 0x0
	v_pk_mul_f32 v[148:149], v[144:145], v[142:143] op_sel:[0,1]
	s_delay_alu instid0(VALU_DEP_1) | instskip(SKIP_2) | instid1(VALU_DEP_2)
	v_pk_fma_f32 v[150:151], v[144:145], v[140:141], v[148:149] op_sel:[0,0,1] op_sel_hi:[1,1,0] neg_lo:[0,0,1] neg_hi:[0,0,1]
	v_pk_fma_f32 v[144:145], v[144:145], v[140:141], v[148:149] op_sel:[0,0,1] op_sel_hi:[1,0,0]
	v_dual_mul_f32 v148, v147, v143 :: v_dual_mov_b32 v144, v147
	v_dual_mov_b32 v151, v145 :: v_dual_mov_b32 v145, v146
	s_delay_alu instid0(VALU_DEP_2) | instskip(SKIP_1) | instid1(VALU_DEP_3)
	v_pk_fma_f32 v[148:149], v[146:147], v[26:27], v[148:149] op_sel_hi:[1,1,0] neg_lo:[0,0,1] neg_hi:[0,0,1]
	v_mul_f32_e32 v146, v147, v140
	v_pk_add_f32 v[88:89], v[88:89], v[150:151] neg_lo:[0,1] neg_hi:[0,1]
	s_delay_alu instid0(VALU_DEP_2) | instskip(NEXT) | instid1(VALU_DEP_1)
	v_pk_fma_f32 v[144:145], v[144:145], v[26:27], v[146:147] op_sel_hi:[1,1,0]
	v_mov_b32_e32 v149, v145
	ds_load_2addr_b64 v[144:147], v190 offset0:11 offset1:12
	v_pk_add_f32 v[90:91], v[90:91], v[148:149] neg_lo:[0,1] neg_hi:[0,1]
	s_wait_dscnt 0x0
	v_pk_mul_f32 v[148:149], v[144:145], v[142:143] op_sel:[0,1]
	s_delay_alu instid0(VALU_DEP_1) | instskip(SKIP_1) | instid1(VALU_DEP_1)
	v_pk_fma_f32 v[150:151], v[144:145], v[140:141], v[148:149] op_sel:[0,0,1] op_sel_hi:[1,1,0] neg_lo:[0,0,1] neg_hi:[0,0,1]
	v_pk_fma_f32 v[144:145], v[144:145], v[140:141], v[148:149] op_sel:[0,0,1] op_sel_hi:[1,0,0]
	v_mov_b32_e32 v151, v145
	v_pk_mul_f32 v[144:145], v[146:147], v[142:143] op_sel:[0,1]
	s_delay_alu instid0(VALU_DEP_1) | instskip(SKIP_1) | instid1(VALU_DEP_1)
	v_pk_fma_f32 v[148:149], v[146:147], v[140:141], v[144:145] op_sel:[0,0,1] op_sel_hi:[1,1,0] neg_lo:[0,0,1] neg_hi:[0,0,1]
	v_pk_fma_f32 v[144:145], v[146:147], v[140:141], v[144:145] op_sel:[0,0,1] op_sel_hi:[1,0,0]
	v_mov_b32_e32 v149, v145
	ds_load_2addr_b64 v[144:147], v190 offset0:13 offset1:14
	v_pk_add_f32 v[36:37], v[36:37], v[150:151] neg_lo:[0,1] neg_hi:[0,1]
	v_pk_add_f32 v[62:63], v[62:63], v[148:149] neg_lo:[0,1] neg_hi:[0,1]
	s_wait_dscnt 0x0
	v_pk_mul_f32 v[148:149], v[144:145], v[142:143] op_sel:[0,1]
	s_delay_alu instid0(VALU_DEP_1) | instskip(SKIP_1) | instid1(VALU_DEP_1)
	v_pk_fma_f32 v[150:151], v[144:145], v[140:141], v[148:149] op_sel:[0,0,1] op_sel_hi:[1,1,0] neg_lo:[0,0,1] neg_hi:[0,0,1]
	v_pk_fma_f32 v[144:145], v[144:145], v[140:141], v[148:149] op_sel:[0,0,1] op_sel_hi:[1,0,0]
	v_mov_b32_e32 v151, v145
	v_pk_mul_f32 v[144:145], v[146:147], v[142:143] op_sel:[0,1]
	s_delay_alu instid0(VALU_DEP_1) | instskip(SKIP_1) | instid1(VALU_DEP_1)
	v_pk_fma_f32 v[148:149], v[146:147], v[140:141], v[144:145] op_sel:[0,0,1] op_sel_hi:[1,1,0] neg_lo:[0,0,1] neg_hi:[0,0,1]
	v_pk_fma_f32 v[144:145], v[146:147], v[140:141], v[144:145] op_sel:[0,0,1] op_sel_hi:[1,0,0]
	v_mov_b32_e32 v149, v145
	ds_load_2addr_b64 v[144:147], v190 offset0:15 offset1:16
	v_pk_add_f32 v[58:59], v[58:59], v[150:151] neg_lo:[0,1] neg_hi:[0,1]
	v_pk_add_f32 v[60:61], v[60:61], v[148:149] neg_lo:[0,1] neg_hi:[0,1]
	s_wait_dscnt 0x0
	v_dual_mul_f32 v148, v145, v143 :: v_dual_mul_f32 v150, v145, v140
	s_delay_alu instid0(VALU_DEP_1) | instskip(NEXT) | instid1(VALU_DEP_2)
	v_pk_fma_f32 v[148:149], v[144:145], v[26:27], v[148:149] op_sel_hi:[1,1,0] neg_lo:[0,0,1] neg_hi:[0,0,1]
	v_pk_fma_f32 v[144:145], v[144:145], v[26:27], v[150:151] op_sel:[1,0,0] op_sel_hi:[0,1,0]
	s_delay_alu instid0(VALU_DEP_1) | instskip(SKIP_1) | instid1(VALU_DEP_2)
	v_mov_b32_e32 v149, v145
	v_pk_mul_f32 v[144:145], v[146:147], v[142:143] op_sel:[0,1]
	v_pk_add_f32 v[56:57], v[56:57], v[148:149] neg_lo:[0,1] neg_hi:[0,1]
	s_delay_alu instid0(VALU_DEP_2) | instskip(SKIP_1) | instid1(VALU_DEP_1)
	v_pk_fma_f32 v[148:149], v[146:147], v[140:141], v[144:145] op_sel:[0,0,1] op_sel_hi:[1,1,0] neg_lo:[0,0,1] neg_hi:[0,0,1]
	v_pk_fma_f32 v[144:145], v[146:147], v[140:141], v[144:145] op_sel:[0,0,1] op_sel_hi:[1,0,0]
	v_mov_b32_e32 v149, v145
	ds_load_2addr_b64 v[144:147], v190 offset0:17 offset1:18
	v_pk_add_f32 v[78:79], v[78:79], v[148:149] neg_lo:[0,1] neg_hi:[0,1]
	s_wait_dscnt 0x0
	v_pk_mul_f32 v[148:149], v[144:145], v[142:143] op_sel:[0,1]
	s_delay_alu instid0(VALU_DEP_1) | instskip(SKIP_1) | instid1(VALU_DEP_1)
	v_pk_fma_f32 v[150:151], v[144:145], v[140:141], v[148:149] op_sel:[0,0,1] op_sel_hi:[1,1,0] neg_lo:[0,0,1] neg_hi:[0,0,1]
	v_pk_fma_f32 v[144:145], v[144:145], v[140:141], v[148:149] op_sel:[0,0,1] op_sel_hi:[1,0,0]
	v_mov_b32_e32 v151, v145
	v_pk_mul_f32 v[144:145], v[146:147], v[142:143] op_sel:[0,1]
	s_delay_alu instid0(VALU_DEP_2) | instskip(NEXT) | instid1(VALU_DEP_2)
	v_pk_add_f32 v[74:75], v[74:75], v[150:151] neg_lo:[0,1] neg_hi:[0,1]
	v_pk_fma_f32 v[148:149], v[146:147], v[140:141], v[144:145] op_sel:[0,0,1] op_sel_hi:[1,1,0] neg_lo:[0,0,1] neg_hi:[0,0,1]
	v_pk_fma_f32 v[144:145], v[146:147], v[140:141], v[144:145] op_sel:[0,0,1] op_sel_hi:[1,0,0]
	s_delay_alu instid0(VALU_DEP_1) | instskip(SKIP_4) | instid1(VALU_DEP_1)
	v_mov_b32_e32 v149, v145
	ds_load_2addr_b64 v[144:147], v190 offset0:19 offset1:20
	v_pk_add_f32 v[76:77], v[76:77], v[148:149] neg_lo:[0,1] neg_hi:[0,1]
	s_wait_dscnt 0x0
	v_pk_mul_f32 v[148:149], v[144:145], v[142:143] op_sel:[0,1]
	v_pk_fma_f32 v[150:151], v[144:145], v[140:141], v[148:149] op_sel:[0,0,1] op_sel_hi:[1,1,0] neg_lo:[0,0,1] neg_hi:[0,0,1]
	v_pk_fma_f32 v[144:145], v[144:145], v[140:141], v[148:149] op_sel:[0,0,1] op_sel_hi:[1,0,0]
	v_dual_mul_f32 v148, v147, v143 :: v_dual_mov_b32 v144, v147
	s_delay_alu instid0(VALU_DEP_2) | instskip(NEXT) | instid1(VALU_DEP_2)
	v_dual_mov_b32 v151, v145 :: v_dual_mov_b32 v145, v146
	v_pk_fma_f32 v[148:149], v[146:147], v[26:27], v[148:149] op_sel_hi:[1,1,0] neg_lo:[0,0,1] neg_hi:[0,0,1]
	v_mul_f32_e32 v146, v147, v140
	s_delay_alu instid0(VALU_DEP_3) | instskip(NEXT) | instid1(VALU_DEP_2)
	v_pk_add_f32 v[72:73], v[72:73], v[150:151] neg_lo:[0,1] neg_hi:[0,1]
	v_pk_fma_f32 v[144:145], v[144:145], v[26:27], v[146:147] op_sel_hi:[1,1,0]
	s_delay_alu instid0(VALU_DEP_1) | instskip(SKIP_4) | instid1(VALU_DEP_1)
	v_mov_b32_e32 v149, v145
	ds_load_2addr_b64 v[144:147], v190 offset0:21 offset1:22
	v_pk_add_f32 v[100:101], v[100:101], v[148:149] neg_lo:[0,1] neg_hi:[0,1]
	s_wait_dscnt 0x0
	v_pk_mul_f32 v[148:149], v[144:145], v[142:143] op_sel:[0,1]
	v_pk_fma_f32 v[150:151], v[144:145], v[140:141], v[148:149] op_sel:[0,0,1] op_sel_hi:[1,1,0] neg_lo:[0,0,1] neg_hi:[0,0,1]
	v_pk_fma_f32 v[144:145], v[144:145], v[140:141], v[148:149] op_sel:[0,0,1] op_sel_hi:[1,0,0]
	s_delay_alu instid0(VALU_DEP_1) | instskip(SKIP_1) | instid1(VALU_DEP_1)
	v_mov_b32_e32 v151, v145
	v_pk_mul_f32 v[144:145], v[146:147], v[142:143] op_sel:[0,1]
	v_pk_fma_f32 v[148:149], v[146:147], v[140:141], v[144:145] op_sel:[0,0,1] op_sel_hi:[1,1,0] neg_lo:[0,0,1] neg_hi:[0,0,1]
	v_pk_fma_f32 v[144:145], v[146:147], v[140:141], v[144:145] op_sel:[0,0,1] op_sel_hi:[1,0,0]
	s_delay_alu instid0(VALU_DEP_1)
	v_mov_b32_e32 v149, v145
	ds_load_2addr_b64 v[144:147], v190 offset0:23 offset1:24
	v_pk_add_f32 v[96:97], v[96:97], v[150:151] neg_lo:[0,1] neg_hi:[0,1]
	v_pk_add_f32 v[98:99], v[98:99], v[148:149] neg_lo:[0,1] neg_hi:[0,1]
	s_wait_dscnt 0x0
	v_pk_mul_f32 v[148:149], v[144:145], v[142:143] op_sel:[0,1]
	s_delay_alu instid0(VALU_DEP_1) | instskip(SKIP_1) | instid1(VALU_DEP_1)
	v_pk_fma_f32 v[150:151], v[144:145], v[140:141], v[148:149] op_sel:[0,0,1] op_sel_hi:[1,1,0] neg_lo:[0,0,1] neg_hi:[0,0,1]
	v_pk_fma_f32 v[144:145], v[144:145], v[140:141], v[148:149] op_sel:[0,0,1] op_sel_hi:[1,0,0]
	v_mov_b32_e32 v151, v145
	v_pk_mul_f32 v[144:145], v[146:147], v[142:143] op_sel:[0,1]
	s_delay_alu instid0(VALU_DEP_1) | instskip(SKIP_1) | instid1(VALU_DEP_1)
	v_pk_fma_f32 v[148:149], v[146:147], v[140:141], v[144:145] op_sel:[0,0,1] op_sel_hi:[1,1,0] neg_lo:[0,0,1] neg_hi:[0,0,1]
	v_pk_fma_f32 v[144:145], v[146:147], v[140:141], v[144:145] op_sel:[0,0,1] op_sel_hi:[1,0,0]
	v_mov_b32_e32 v149, v145
	ds_load_2addr_b64 v[144:147], v190 offset0:25 offset1:26
	v_pk_add_f32 v[94:95], v[94:95], v[150:151] neg_lo:[0,1] neg_hi:[0,1]
	v_pk_add_f32 v[116:117], v[116:117], v[148:149] neg_lo:[0,1] neg_hi:[0,1]
	s_wait_dscnt 0x0
	v_dual_mul_f32 v148, v145, v143 :: v_dual_mul_f32 v150, v145, v140
	s_delay_alu instid0(VALU_DEP_1) | instskip(NEXT) | instid1(VALU_DEP_2)
	v_pk_fma_f32 v[148:149], v[144:145], v[26:27], v[148:149] op_sel_hi:[1,1,0] neg_lo:[0,0,1] neg_hi:[0,0,1]
	v_pk_fma_f32 v[144:145], v[144:145], v[26:27], v[150:151] op_sel:[1,0,0] op_sel_hi:[0,1,0]
	s_delay_alu instid0(VALU_DEP_1) | instskip(SKIP_1) | instid1(VALU_DEP_2)
	v_mov_b32_e32 v149, v145
	v_pk_mul_f32 v[144:145], v[146:147], v[142:143] op_sel:[0,1]
	v_pk_add_f32 v[112:113], v[112:113], v[148:149] neg_lo:[0,1] neg_hi:[0,1]
	s_delay_alu instid0(VALU_DEP_2) | instskip(SKIP_1) | instid1(VALU_DEP_1)
	v_pk_fma_f32 v[148:149], v[146:147], v[140:141], v[144:145] op_sel:[0,0,1] op_sel_hi:[1,1,0] neg_lo:[0,0,1] neg_hi:[0,0,1]
	v_pk_fma_f32 v[144:145], v[146:147], v[140:141], v[144:145] op_sel:[0,0,1] op_sel_hi:[1,0,0]
	v_mov_b32_e32 v149, v145
	ds_load_2addr_b64 v[144:147], v190 offset0:27 offset1:28
	v_pk_add_f32 v[114:115], v[114:115], v[148:149] neg_lo:[0,1] neg_hi:[0,1]
	s_wait_dscnt 0x0
	v_pk_mul_f32 v[148:149], v[144:145], v[142:143] op_sel:[0,1]
	s_delay_alu instid0(VALU_DEP_1) | instskip(SKIP_1) | instid1(VALU_DEP_1)
	v_pk_fma_f32 v[150:151], v[144:145], v[140:141], v[148:149] op_sel:[0,0,1] op_sel_hi:[1,1,0] neg_lo:[0,0,1] neg_hi:[0,0,1]
	v_pk_fma_f32 v[144:145], v[144:145], v[140:141], v[148:149] op_sel:[0,0,1] op_sel_hi:[1,0,0]
	v_mov_b32_e32 v151, v145
	v_pk_mul_f32 v[144:145], v[146:147], v[142:143] op_sel:[0,1]
	s_delay_alu instid0(VALU_DEP_2) | instskip(NEXT) | instid1(VALU_DEP_2)
	v_pk_add_f32 v[122:123], v[122:123], v[150:151] neg_lo:[0,1] neg_hi:[0,1]
	v_pk_fma_f32 v[148:149], v[146:147], v[140:141], v[144:145] op_sel:[0,0,1] op_sel_hi:[1,1,0] neg_lo:[0,0,1] neg_hi:[0,0,1]
	v_pk_fma_f32 v[144:145], v[146:147], v[140:141], v[144:145] op_sel:[0,0,1] op_sel_hi:[1,0,0]
	s_delay_alu instid0(VALU_DEP_1)
	v_mov_b32_e32 v149, v145
	ds_load_2addr_b64 v[144:147], v190 offset0:29 offset1:30
	v_pk_add_f32 v[120:121], v[120:121], v[148:149] neg_lo:[0,1] neg_hi:[0,1]
	s_wait_dscnt 0x0
	v_pk_mul_f32 v[148:149], v[144:145], v[142:143] op_sel:[0,1]
	v_mul_f32_e32 v142, v147, v143
	s_delay_alu instid0(VALU_DEP_2) | instskip(SKIP_2) | instid1(VALU_DEP_4)
	v_pk_fma_f32 v[150:151], v[144:145], v[140:141], v[148:149] op_sel:[0,0,1] op_sel_hi:[1,1,0] neg_lo:[0,0,1] neg_hi:[0,0,1]
	v_pk_fma_f32 v[144:145], v[144:145], v[140:141], v[148:149] op_sel:[0,0,1] op_sel_hi:[1,0,0]
	v_dual_mov_b32 v144, v147 :: v_dual_mul_f32 v140, v147, v140
	v_pk_fma_f32 v[142:143], v[146:147], v[26:27], v[142:143] op_sel_hi:[1,1,0] neg_lo:[0,0,1] neg_hi:[0,0,1]
	s_delay_alu instid0(VALU_DEP_3) | instskip(NEXT) | instid1(VALU_DEP_1)
	v_dual_mov_b32 v151, v145 :: v_dual_mov_b32 v145, v146
	v_pk_add_f32 v[118:119], v[118:119], v[150:151] neg_lo:[0,1] neg_hi:[0,1]
	s_delay_alu instid0(VALU_DEP_2) | instskip(NEXT) | instid1(VALU_DEP_1)
	v_pk_fma_f32 v[140:141], v[144:145], v[26:27], v[140:141] op_sel_hi:[1,1,0]
	v_mov_b32_e32 v143, v141
	s_delay_alu instid0(VALU_DEP_1)
	v_pk_add_f32 v[124:125], v[124:125], v[142:143] neg_lo:[0,1] neg_hi:[0,1]
.LBB61_64:
	s_or_b32 exec_lo, exec_lo, s1
	s_delay_alu instid0(SALU_CYCLE_1)
	s_mov_b32 s2, exec_lo
	s_wait_dscnt 0x0
	s_barrier_signal -1
	s_barrier_wait -1
	v_cmpx_eq_u32_e32 7, v188
	s_cbranch_execz .LBB61_71
; %bb.65:
	v_dual_mov_b32 v140, v38 :: v_dual_mov_b32 v141, v39
	v_dual_mov_b32 v142, v88 :: v_dual_mov_b32 v143, v89
	ds_store_b64 v189, v[22:23]
	ds_store_2addr_b64 v190, v[140:141], v[142:143] offset0:8 offset1:9
	v_dual_mov_b32 v140, v90 :: v_dual_mov_b32 v141, v91
	v_dual_mov_b32 v142, v36 :: v_dual_mov_b32 v143, v37
	ds_store_2addr_b64 v190, v[140:141], v[142:143] offset0:10 offset1:11
	v_dual_mov_b32 v140, v62 :: v_dual_mov_b32 v141, v63
	v_dual_mov_b32 v142, v58 :: v_dual_mov_b32 v143, v59
	;; [unrolled: 3-line block ×10, first 2 shown]
	ds_store_2addr_b64 v190, v[140:141], v[142:143] offset0:28 offset1:29
	ds_store_b64 v190, v[124:125] offset:240
	ds_load_b64 v[140:141], v189
	s_wait_dscnt 0x0
	v_cmp_neq_f32_e32 vcc_lo, 0, v140
	v_cmp_neq_f32_e64 s1, 0, v141
	s_or_b32 s1, vcc_lo, s1
	s_delay_alu instid0(SALU_CYCLE_1)
	s_and_b32 exec_lo, exec_lo, s1
	s_cbranch_execz .LBB61_71
; %bb.66:
	v_cmp_ngt_f32_e64 s1, |v140|, |v141|
                                        ; implicit-def: $vgpr142_vgpr143
	s_and_saveexec_b32 s4, s1
	s_delay_alu instid0(SALU_CYCLE_1)
	s_xor_b32 s1, exec_lo, s4
	s_cbranch_execz .LBB61_68
; %bb.67:
	v_div_scale_f32 v142, null, v141, v141, v140
	v_div_scale_f32 v145, vcc_lo, v140, v141, v140
	s_delay_alu instid0(VALU_DEP_2) | instskip(SKIP_1) | instid1(TRANS32_DEP_1)
	v_rcp_f32_e32 v143, v142
	v_nop
	v_fma_f32 v144, -v142, v143, 1.0
	s_delay_alu instid0(VALU_DEP_1) | instskip(NEXT) | instid1(VALU_DEP_1)
	v_fmac_f32_e32 v143, v144, v143
	v_mul_f32_e32 v144, v145, v143
	s_delay_alu instid0(VALU_DEP_1) | instskip(NEXT) | instid1(VALU_DEP_1)
	v_fma_f32 v146, -v142, v144, v145
	v_fmac_f32_e32 v144, v146, v143
	s_delay_alu instid0(VALU_DEP_1) | instskip(NEXT) | instid1(VALU_DEP_1)
	v_fma_f32 v142, -v142, v144, v145
	v_div_fmas_f32 v142, v142, v143, v144
	s_delay_alu instid0(VALU_DEP_1) | instskip(NEXT) | instid1(VALU_DEP_1)
	v_div_fixup_f32 v142, v142, v141, v140
	v_fmac_f32_e32 v141, v140, v142
	s_delay_alu instid0(VALU_DEP_1) | instskip(SKIP_1) | instid1(VALU_DEP_2)
	v_div_scale_f32 v140, null, v141, v141, 1.0
	v_div_scale_f32 v145, vcc_lo, 1.0, v141, 1.0
	v_rcp_f32_e32 v143, v140
	v_nop
	s_delay_alu instid0(TRANS32_DEP_1) | instskip(NEXT) | instid1(VALU_DEP_1)
	v_fma_f32 v144, -v140, v143, 1.0
	v_fmac_f32_e32 v143, v144, v143
	s_delay_alu instid0(VALU_DEP_1) | instskip(NEXT) | instid1(VALU_DEP_1)
	v_mul_f32_e32 v144, v145, v143
	v_fma_f32 v146, -v140, v144, v145
	s_delay_alu instid0(VALU_DEP_1) | instskip(NEXT) | instid1(VALU_DEP_1)
	v_fmac_f32_e32 v144, v146, v143
	v_fma_f32 v140, -v140, v144, v145
	s_delay_alu instid0(VALU_DEP_1) | instskip(NEXT) | instid1(VALU_DEP_1)
	v_div_fmas_f32 v140, v140, v143, v144
	v_div_fixup_f32 v140, v140, v141, 1.0
	s_delay_alu instid0(VALU_DEP_1)
	v_mul_f32_e32 v142, v142, v140
	v_xor_b32_e32 v143, 0x80000000, v140
                                        ; implicit-def: $vgpr140_vgpr141
.LBB61_68:
	s_and_not1_saveexec_b32 s1, s1
	s_cbranch_execz .LBB61_70
; %bb.69:
	v_div_scale_f32 v142, null, v140, v140, v141
	v_div_scale_f32 v145, vcc_lo, v141, v140, v141
	s_delay_alu instid0(VALU_DEP_2) | instskip(SKIP_1) | instid1(TRANS32_DEP_1)
	v_rcp_f32_e32 v143, v142
	v_nop
	v_fma_f32 v144, -v142, v143, 1.0
	s_delay_alu instid0(VALU_DEP_1) | instskip(NEXT) | instid1(VALU_DEP_1)
	v_fmac_f32_e32 v143, v144, v143
	v_mul_f32_e32 v144, v145, v143
	s_delay_alu instid0(VALU_DEP_1) | instskip(NEXT) | instid1(VALU_DEP_1)
	v_fma_f32 v146, -v142, v144, v145
	v_fmac_f32_e32 v144, v146, v143
	s_delay_alu instid0(VALU_DEP_1) | instskip(NEXT) | instid1(VALU_DEP_1)
	v_fma_f32 v142, -v142, v144, v145
	v_div_fmas_f32 v142, v142, v143, v144
	s_delay_alu instid0(VALU_DEP_1) | instskip(NEXT) | instid1(VALU_DEP_1)
	v_div_fixup_f32 v143, v142, v140, v141
	v_fmac_f32_e32 v140, v141, v143
	s_delay_alu instid0(VALU_DEP_1) | instskip(NEXT) | instid1(VALU_DEP_1)
	v_div_scale_f32 v141, null, v140, v140, 1.0
	v_rcp_f32_e32 v142, v141
	v_nop
	s_delay_alu instid0(TRANS32_DEP_1) | instskip(NEXT) | instid1(VALU_DEP_1)
	v_fma_f32 v144, -v141, v142, 1.0
	v_fmac_f32_e32 v142, v144, v142
	v_div_scale_f32 v144, vcc_lo, 1.0, v140, 1.0
	s_delay_alu instid0(VALU_DEP_1) | instskip(NEXT) | instid1(VALU_DEP_1)
	v_mul_f32_e32 v145, v144, v142
	v_fma_f32 v146, -v141, v145, v144
	s_delay_alu instid0(VALU_DEP_1) | instskip(NEXT) | instid1(VALU_DEP_1)
	v_fmac_f32_e32 v145, v146, v142
	v_fma_f32 v141, -v141, v145, v144
	s_delay_alu instid0(VALU_DEP_1) | instskip(NEXT) | instid1(VALU_DEP_1)
	v_div_fmas_f32 v141, v141, v142, v145
	v_div_fixup_f32 v142, v141, v140, 1.0
	s_delay_alu instid0(VALU_DEP_1)
	v_mul_f32_e64 v143, v143, -v142
.LBB61_70:
	s_or_b32 exec_lo, exec_lo, s1
	ds_store_b64 v189, v[142:143]
.LBB61_71:
	s_or_b32 exec_lo, exec_lo, s2
	s_wait_dscnt 0x0
	s_barrier_signal -1
	s_barrier_wait -1
	ds_load_b64 v[140:141], v189
	s_mov_b32 s1, exec_lo
	v_cmpx_lt_u32_e32 7, v188
	s_cbranch_execz .LBB61_73
; %bb.72:
	ds_load_2addr_b64 v[146:149], v190 offset0:8 offset1:9
	s_wait_dscnt 0x1
	v_pk_mul_f32 v[144:145], v[140:141], v[22:23] op_sel:[1,1] op_sel_hi:[0,1]
	s_delay_alu instid0(VALU_DEP_1) | instskip(SKIP_1) | instid1(VALU_DEP_1)
	v_pk_fma_f32 v[142:143], v[140:141], v[22:23], v[144:145] op_sel_hi:[1,0,1] neg_lo:[0,0,1] neg_hi:[0,0,1]
	v_pk_fma_f32 v[144:145], v[140:141], v[22:23], v[144:145] op_sel_hi:[1,0,1]
	v_dual_mov_b32 v22, v142 :: v_dual_mov_b32 v23, v145
	s_wait_dscnt 0x0
	s_delay_alu instid0(VALU_DEP_2) | instskip(NEXT) | instid1(VALU_DEP_1)
	v_pk_mul_f32 v[150:151], v[146:147], v[144:145] op_sel:[0,1]
	v_pk_fma_f32 v[152:153], v[146:147], v[142:143], v[150:151] op_sel:[0,0,1] op_sel_hi:[1,1,0] neg_lo:[0,0,1] neg_hi:[0,0,1]
	v_pk_fma_f32 v[146:147], v[146:147], v[142:143], v[150:151] op_sel:[0,0,1] op_sel_hi:[1,0,0]
	s_delay_alu instid0(VALU_DEP_1) | instskip(SKIP_1) | instid1(VALU_DEP_1)
	v_mov_b32_e32 v153, v147
	v_pk_mul_f32 v[146:147], v[148:149], v[144:145] op_sel:[0,1]
	v_pk_fma_f32 v[150:151], v[148:149], v[142:143], v[146:147] op_sel:[0,0,1] op_sel_hi:[1,1,0] neg_lo:[0,0,1] neg_hi:[0,0,1]
	v_pk_fma_f32 v[146:147], v[148:149], v[142:143], v[146:147] op_sel:[0,0,1] op_sel_hi:[1,0,0]
	s_delay_alu instid0(VALU_DEP_1)
	v_mov_b32_e32 v151, v147
	ds_load_2addr_b64 v[146:149], v190 offset0:10 offset1:11
	v_pk_add_f32 v[38:39], v[38:39], v[152:153] neg_lo:[0,1] neg_hi:[0,1]
	v_pk_add_f32 v[88:89], v[88:89], v[150:151] neg_lo:[0,1] neg_hi:[0,1]
	s_wait_dscnt 0x0
	v_pk_mul_f32 v[150:151], v[146:147], v[144:145] op_sel:[0,1]
	s_delay_alu instid0(VALU_DEP_1) | instskip(SKIP_2) | instid1(VALU_DEP_2)
	v_pk_fma_f32 v[152:153], v[146:147], v[142:143], v[150:151] op_sel:[0,0,1] op_sel_hi:[1,1,0] neg_lo:[0,0,1] neg_hi:[0,0,1]
	v_pk_fma_f32 v[146:147], v[146:147], v[142:143], v[150:151] op_sel:[0,0,1] op_sel_hi:[1,0,0]
	v_dual_mul_f32 v150, v149, v145 :: v_dual_mov_b32 v146, v149
	v_dual_mov_b32 v153, v147 :: v_dual_mov_b32 v147, v148
	s_delay_alu instid0(VALU_DEP_2) | instskip(SKIP_1) | instid1(VALU_DEP_3)
	v_pk_fma_f32 v[150:151], v[148:149], v[22:23], v[150:151] op_sel_hi:[1,1,0] neg_lo:[0,0,1] neg_hi:[0,0,1]
	v_mul_f32_e32 v148, v149, v142
	v_pk_add_f32 v[90:91], v[90:91], v[152:153] neg_lo:[0,1] neg_hi:[0,1]
	s_delay_alu instid0(VALU_DEP_2) | instskip(NEXT) | instid1(VALU_DEP_1)
	v_pk_fma_f32 v[146:147], v[146:147], v[22:23], v[148:149] op_sel_hi:[1,1,0]
	v_mov_b32_e32 v151, v147
	ds_load_2addr_b64 v[146:149], v190 offset0:12 offset1:13
	v_pk_add_f32 v[36:37], v[36:37], v[150:151] neg_lo:[0,1] neg_hi:[0,1]
	s_wait_dscnt 0x0
	v_pk_mul_f32 v[150:151], v[146:147], v[144:145] op_sel:[0,1]
	s_delay_alu instid0(VALU_DEP_1) | instskip(SKIP_1) | instid1(VALU_DEP_1)
	v_pk_fma_f32 v[152:153], v[146:147], v[142:143], v[150:151] op_sel:[0,0,1] op_sel_hi:[1,1,0] neg_lo:[0,0,1] neg_hi:[0,0,1]
	v_pk_fma_f32 v[146:147], v[146:147], v[142:143], v[150:151] op_sel:[0,0,1] op_sel_hi:[1,0,0]
	v_mov_b32_e32 v153, v147
	v_pk_mul_f32 v[146:147], v[148:149], v[144:145] op_sel:[0,1]
	s_delay_alu instid0(VALU_DEP_1) | instskip(SKIP_1) | instid1(VALU_DEP_1)
	v_pk_fma_f32 v[150:151], v[148:149], v[142:143], v[146:147] op_sel:[0,0,1] op_sel_hi:[1,1,0] neg_lo:[0,0,1] neg_hi:[0,0,1]
	v_pk_fma_f32 v[146:147], v[148:149], v[142:143], v[146:147] op_sel:[0,0,1] op_sel_hi:[1,0,0]
	v_mov_b32_e32 v151, v147
	ds_load_2addr_b64 v[146:149], v190 offset0:14 offset1:15
	v_pk_add_f32 v[62:63], v[62:63], v[152:153] neg_lo:[0,1] neg_hi:[0,1]
	v_pk_add_f32 v[58:59], v[58:59], v[150:151] neg_lo:[0,1] neg_hi:[0,1]
	s_wait_dscnt 0x0
	v_pk_mul_f32 v[150:151], v[146:147], v[144:145] op_sel:[0,1]
	s_delay_alu instid0(VALU_DEP_1) | instskip(SKIP_1) | instid1(VALU_DEP_1)
	v_pk_fma_f32 v[152:153], v[146:147], v[142:143], v[150:151] op_sel:[0,0,1] op_sel_hi:[1,1,0] neg_lo:[0,0,1] neg_hi:[0,0,1]
	v_pk_fma_f32 v[146:147], v[146:147], v[142:143], v[150:151] op_sel:[0,0,1] op_sel_hi:[1,0,0]
	v_mov_b32_e32 v153, v147
	v_pk_mul_f32 v[146:147], v[148:149], v[144:145] op_sel:[0,1]
	s_delay_alu instid0(VALU_DEP_1) | instskip(SKIP_1) | instid1(VALU_DEP_1)
	v_pk_fma_f32 v[150:151], v[148:149], v[142:143], v[146:147] op_sel:[0,0,1] op_sel_hi:[1,1,0] neg_lo:[0,0,1] neg_hi:[0,0,1]
	v_pk_fma_f32 v[146:147], v[148:149], v[142:143], v[146:147] op_sel:[0,0,1] op_sel_hi:[1,0,0]
	v_mov_b32_e32 v151, v147
	ds_load_2addr_b64 v[146:149], v190 offset0:16 offset1:17
	v_pk_add_f32 v[60:61], v[60:61], v[152:153] neg_lo:[0,1] neg_hi:[0,1]
	v_pk_add_f32 v[56:57], v[56:57], v[150:151] neg_lo:[0,1] neg_hi:[0,1]
	s_wait_dscnt 0x0
	v_dual_mul_f32 v150, v147, v145 :: v_dual_mul_f32 v152, v147, v142
	s_delay_alu instid0(VALU_DEP_1) | instskip(NEXT) | instid1(VALU_DEP_2)
	v_pk_fma_f32 v[150:151], v[146:147], v[22:23], v[150:151] op_sel_hi:[1,1,0] neg_lo:[0,0,1] neg_hi:[0,0,1]
	v_pk_fma_f32 v[146:147], v[146:147], v[22:23], v[152:153] op_sel:[1,0,0] op_sel_hi:[0,1,0]
	s_delay_alu instid0(VALU_DEP_1) | instskip(SKIP_1) | instid1(VALU_DEP_2)
	v_mov_b32_e32 v151, v147
	v_pk_mul_f32 v[146:147], v[148:149], v[144:145] op_sel:[0,1]
	v_pk_add_f32 v[78:79], v[78:79], v[150:151] neg_lo:[0,1] neg_hi:[0,1]
	s_delay_alu instid0(VALU_DEP_2) | instskip(SKIP_1) | instid1(VALU_DEP_1)
	v_pk_fma_f32 v[150:151], v[148:149], v[142:143], v[146:147] op_sel:[0,0,1] op_sel_hi:[1,1,0] neg_lo:[0,0,1] neg_hi:[0,0,1]
	v_pk_fma_f32 v[146:147], v[148:149], v[142:143], v[146:147] op_sel:[0,0,1] op_sel_hi:[1,0,0]
	v_mov_b32_e32 v151, v147
	ds_load_2addr_b64 v[146:149], v190 offset0:18 offset1:19
	v_pk_add_f32 v[74:75], v[74:75], v[150:151] neg_lo:[0,1] neg_hi:[0,1]
	s_wait_dscnt 0x0
	v_pk_mul_f32 v[150:151], v[146:147], v[144:145] op_sel:[0,1]
	s_delay_alu instid0(VALU_DEP_1) | instskip(SKIP_1) | instid1(VALU_DEP_1)
	v_pk_fma_f32 v[152:153], v[146:147], v[142:143], v[150:151] op_sel:[0,0,1] op_sel_hi:[1,1,0] neg_lo:[0,0,1] neg_hi:[0,0,1]
	v_pk_fma_f32 v[146:147], v[146:147], v[142:143], v[150:151] op_sel:[0,0,1] op_sel_hi:[1,0,0]
	v_mov_b32_e32 v153, v147
	v_pk_mul_f32 v[146:147], v[148:149], v[144:145] op_sel:[0,1]
	s_delay_alu instid0(VALU_DEP_2) | instskip(NEXT) | instid1(VALU_DEP_2)
	v_pk_add_f32 v[76:77], v[76:77], v[152:153] neg_lo:[0,1] neg_hi:[0,1]
	v_pk_fma_f32 v[150:151], v[148:149], v[142:143], v[146:147] op_sel:[0,0,1] op_sel_hi:[1,1,0] neg_lo:[0,0,1] neg_hi:[0,0,1]
	v_pk_fma_f32 v[146:147], v[148:149], v[142:143], v[146:147] op_sel:[0,0,1] op_sel_hi:[1,0,0]
	s_delay_alu instid0(VALU_DEP_1) | instskip(SKIP_4) | instid1(VALU_DEP_1)
	v_mov_b32_e32 v151, v147
	ds_load_2addr_b64 v[146:149], v190 offset0:20 offset1:21
	v_pk_add_f32 v[72:73], v[72:73], v[150:151] neg_lo:[0,1] neg_hi:[0,1]
	s_wait_dscnt 0x0
	v_pk_mul_f32 v[150:151], v[146:147], v[144:145] op_sel:[0,1]
	v_pk_fma_f32 v[152:153], v[146:147], v[142:143], v[150:151] op_sel:[0,0,1] op_sel_hi:[1,1,0] neg_lo:[0,0,1] neg_hi:[0,0,1]
	v_pk_fma_f32 v[146:147], v[146:147], v[142:143], v[150:151] op_sel:[0,0,1] op_sel_hi:[1,0,0]
	v_dual_mul_f32 v150, v149, v145 :: v_dual_mov_b32 v146, v149
	s_delay_alu instid0(VALU_DEP_2) | instskip(NEXT) | instid1(VALU_DEP_2)
	v_dual_mov_b32 v153, v147 :: v_dual_mov_b32 v147, v148
	v_pk_fma_f32 v[150:151], v[148:149], v[22:23], v[150:151] op_sel_hi:[1,1,0] neg_lo:[0,0,1] neg_hi:[0,0,1]
	v_mul_f32_e32 v148, v149, v142
	s_delay_alu instid0(VALU_DEP_3) | instskip(NEXT) | instid1(VALU_DEP_2)
	v_pk_add_f32 v[100:101], v[100:101], v[152:153] neg_lo:[0,1] neg_hi:[0,1]
	v_pk_fma_f32 v[146:147], v[146:147], v[22:23], v[148:149] op_sel_hi:[1,1,0]
	s_delay_alu instid0(VALU_DEP_1) | instskip(SKIP_4) | instid1(VALU_DEP_1)
	v_mov_b32_e32 v151, v147
	ds_load_2addr_b64 v[146:149], v190 offset0:22 offset1:23
	v_pk_add_f32 v[96:97], v[96:97], v[150:151] neg_lo:[0,1] neg_hi:[0,1]
	s_wait_dscnt 0x0
	v_pk_mul_f32 v[150:151], v[146:147], v[144:145] op_sel:[0,1]
	v_pk_fma_f32 v[152:153], v[146:147], v[142:143], v[150:151] op_sel:[0,0,1] op_sel_hi:[1,1,0] neg_lo:[0,0,1] neg_hi:[0,0,1]
	v_pk_fma_f32 v[146:147], v[146:147], v[142:143], v[150:151] op_sel:[0,0,1] op_sel_hi:[1,0,0]
	s_delay_alu instid0(VALU_DEP_1) | instskip(SKIP_1) | instid1(VALU_DEP_1)
	v_mov_b32_e32 v153, v147
	v_pk_mul_f32 v[146:147], v[148:149], v[144:145] op_sel:[0,1]
	v_pk_fma_f32 v[150:151], v[148:149], v[142:143], v[146:147] op_sel:[0,0,1] op_sel_hi:[1,1,0] neg_lo:[0,0,1] neg_hi:[0,0,1]
	v_pk_fma_f32 v[146:147], v[148:149], v[142:143], v[146:147] op_sel:[0,0,1] op_sel_hi:[1,0,0]
	s_delay_alu instid0(VALU_DEP_1)
	v_mov_b32_e32 v151, v147
	ds_load_2addr_b64 v[146:149], v190 offset0:24 offset1:25
	v_pk_add_f32 v[98:99], v[98:99], v[152:153] neg_lo:[0,1] neg_hi:[0,1]
	v_pk_add_f32 v[94:95], v[94:95], v[150:151] neg_lo:[0,1] neg_hi:[0,1]
	s_wait_dscnt 0x0
	v_pk_mul_f32 v[150:151], v[146:147], v[144:145] op_sel:[0,1]
	s_delay_alu instid0(VALU_DEP_1) | instskip(SKIP_1) | instid1(VALU_DEP_1)
	v_pk_fma_f32 v[152:153], v[146:147], v[142:143], v[150:151] op_sel:[0,0,1] op_sel_hi:[1,1,0] neg_lo:[0,0,1] neg_hi:[0,0,1]
	v_pk_fma_f32 v[146:147], v[146:147], v[142:143], v[150:151] op_sel:[0,0,1] op_sel_hi:[1,0,0]
	v_mov_b32_e32 v153, v147
	v_pk_mul_f32 v[146:147], v[148:149], v[144:145] op_sel:[0,1]
	s_delay_alu instid0(VALU_DEP_1) | instskip(SKIP_1) | instid1(VALU_DEP_1)
	v_pk_fma_f32 v[150:151], v[148:149], v[142:143], v[146:147] op_sel:[0,0,1] op_sel_hi:[1,1,0] neg_lo:[0,0,1] neg_hi:[0,0,1]
	v_pk_fma_f32 v[146:147], v[148:149], v[142:143], v[146:147] op_sel:[0,0,1] op_sel_hi:[1,0,0]
	v_mov_b32_e32 v151, v147
	ds_load_2addr_b64 v[146:149], v190 offset0:26 offset1:27
	v_pk_add_f32 v[116:117], v[116:117], v[152:153] neg_lo:[0,1] neg_hi:[0,1]
	v_pk_add_f32 v[112:113], v[112:113], v[150:151] neg_lo:[0,1] neg_hi:[0,1]
	s_wait_dscnt 0x0
	v_dual_mul_f32 v150, v147, v145 :: v_dual_mul_f32 v152, v147, v142
	s_delay_alu instid0(VALU_DEP_1) | instskip(NEXT) | instid1(VALU_DEP_2)
	v_pk_fma_f32 v[150:151], v[146:147], v[22:23], v[150:151] op_sel_hi:[1,1,0] neg_lo:[0,0,1] neg_hi:[0,0,1]
	v_pk_fma_f32 v[146:147], v[146:147], v[22:23], v[152:153] op_sel:[1,0,0] op_sel_hi:[0,1,0]
	s_delay_alu instid0(VALU_DEP_1) | instskip(SKIP_1) | instid1(VALU_DEP_2)
	v_mov_b32_e32 v151, v147
	v_pk_mul_f32 v[146:147], v[148:149], v[144:145] op_sel:[0,1]
	v_pk_add_f32 v[114:115], v[114:115], v[150:151] neg_lo:[0,1] neg_hi:[0,1]
	s_delay_alu instid0(VALU_DEP_2) | instskip(SKIP_1) | instid1(VALU_DEP_1)
	v_pk_fma_f32 v[150:151], v[148:149], v[142:143], v[146:147] op_sel:[0,0,1] op_sel_hi:[1,1,0] neg_lo:[0,0,1] neg_hi:[0,0,1]
	v_pk_fma_f32 v[146:147], v[148:149], v[142:143], v[146:147] op_sel:[0,0,1] op_sel_hi:[1,0,0]
	v_mov_b32_e32 v151, v147
	ds_load_2addr_b64 v[146:149], v190 offset0:28 offset1:29
	v_pk_add_f32 v[122:123], v[122:123], v[150:151] neg_lo:[0,1] neg_hi:[0,1]
	s_wait_dscnt 0x0
	v_pk_mul_f32 v[150:151], v[146:147], v[144:145] op_sel:[0,1]
	s_delay_alu instid0(VALU_DEP_1) | instskip(SKIP_1) | instid1(VALU_DEP_1)
	v_pk_fma_f32 v[152:153], v[146:147], v[142:143], v[150:151] op_sel:[0,0,1] op_sel_hi:[1,1,0] neg_lo:[0,0,1] neg_hi:[0,0,1]
	v_pk_fma_f32 v[146:147], v[146:147], v[142:143], v[150:151] op_sel:[0,0,1] op_sel_hi:[1,0,0]
	v_mov_b32_e32 v153, v147
	v_pk_mul_f32 v[146:147], v[148:149], v[144:145] op_sel:[0,1]
	s_delay_alu instid0(VALU_DEP_2) | instskip(NEXT) | instid1(VALU_DEP_2)
	v_pk_add_f32 v[120:121], v[120:121], v[152:153] neg_lo:[0,1] neg_hi:[0,1]
	v_pk_fma_f32 v[150:151], v[148:149], v[142:143], v[146:147] op_sel:[0,0,1] op_sel_hi:[1,1,0] neg_lo:[0,0,1] neg_hi:[0,0,1]
	v_pk_fma_f32 v[146:147], v[148:149], v[142:143], v[146:147] op_sel:[0,0,1] op_sel_hi:[1,0,0]
	s_delay_alu instid0(VALU_DEP_1) | instskip(SKIP_4) | instid1(VALU_DEP_1)
	v_mov_b32_e32 v151, v147
	ds_load_b64 v[146:147], v190 offset:240
	v_pk_add_f32 v[118:119], v[118:119], v[150:151] neg_lo:[0,1] neg_hi:[0,1]
	s_wait_dscnt 0x0
	v_pk_mul_f32 v[144:145], v[146:147], v[144:145] op_sel:[0,1]
	v_pk_fma_f32 v[148:149], v[146:147], v[142:143], v[144:145] op_sel:[0,0,1] op_sel_hi:[1,1,0] neg_lo:[0,0,1] neg_hi:[0,0,1]
	v_pk_fma_f32 v[142:143], v[146:147], v[142:143], v[144:145] op_sel:[0,0,1] op_sel_hi:[1,0,0]
	s_delay_alu instid0(VALU_DEP_1) | instskip(NEXT) | instid1(VALU_DEP_1)
	v_mov_b32_e32 v149, v143
	v_pk_add_f32 v[124:125], v[124:125], v[148:149] neg_lo:[0,1] neg_hi:[0,1]
.LBB61_73:
	s_or_b32 exec_lo, exec_lo, s1
	s_delay_alu instid0(SALU_CYCLE_1)
	s_mov_b32 s2, exec_lo
	s_wait_dscnt 0x0
	s_barrier_signal -1
	s_barrier_wait -1
	v_cmpx_eq_u32_e32 8, v188
	s_cbranch_execz .LBB61_80
; %bb.74:
	ds_store_b64 v189, v[38:39]
	ds_store_2addr_b64 v190, v[88:89], v[90:91] offset0:9 offset1:10
	ds_store_2addr_b64 v190, v[36:37], v[62:63] offset0:11 offset1:12
	;; [unrolled: 1-line block ×11, first 2 shown]
	ds_load_b64 v[142:143], v189
	s_wait_dscnt 0x0
	v_cmp_neq_f32_e32 vcc_lo, 0, v142
	v_cmp_neq_f32_e64 s1, 0, v143
	s_or_b32 s1, vcc_lo, s1
	s_delay_alu instid0(SALU_CYCLE_1)
	s_and_b32 exec_lo, exec_lo, s1
	s_cbranch_execz .LBB61_80
; %bb.75:
	v_cmp_ngt_f32_e64 s1, |v142|, |v143|
                                        ; implicit-def: $vgpr144_vgpr145
	s_and_saveexec_b32 s4, s1
	s_delay_alu instid0(SALU_CYCLE_1)
	s_xor_b32 s1, exec_lo, s4
	s_cbranch_execz .LBB61_77
; %bb.76:
	v_div_scale_f32 v144, null, v143, v143, v142
	v_div_scale_f32 v147, vcc_lo, v142, v143, v142
	s_delay_alu instid0(VALU_DEP_2) | instskip(SKIP_1) | instid1(TRANS32_DEP_1)
	v_rcp_f32_e32 v145, v144
	v_nop
	v_fma_f32 v146, -v144, v145, 1.0
	s_delay_alu instid0(VALU_DEP_1) | instskip(NEXT) | instid1(VALU_DEP_1)
	v_fmac_f32_e32 v145, v146, v145
	v_mul_f32_e32 v146, v147, v145
	s_delay_alu instid0(VALU_DEP_1) | instskip(NEXT) | instid1(VALU_DEP_1)
	v_fma_f32 v148, -v144, v146, v147
	v_fmac_f32_e32 v146, v148, v145
	s_delay_alu instid0(VALU_DEP_1) | instskip(NEXT) | instid1(VALU_DEP_1)
	v_fma_f32 v144, -v144, v146, v147
	v_div_fmas_f32 v144, v144, v145, v146
	s_delay_alu instid0(VALU_DEP_1) | instskip(NEXT) | instid1(VALU_DEP_1)
	v_div_fixup_f32 v144, v144, v143, v142
	v_fmac_f32_e32 v143, v142, v144
	s_delay_alu instid0(VALU_DEP_1) | instskip(SKIP_1) | instid1(VALU_DEP_2)
	v_div_scale_f32 v142, null, v143, v143, 1.0
	v_div_scale_f32 v147, vcc_lo, 1.0, v143, 1.0
	v_rcp_f32_e32 v145, v142
	v_nop
	s_delay_alu instid0(TRANS32_DEP_1) | instskip(NEXT) | instid1(VALU_DEP_1)
	v_fma_f32 v146, -v142, v145, 1.0
	v_fmac_f32_e32 v145, v146, v145
	s_delay_alu instid0(VALU_DEP_1) | instskip(NEXT) | instid1(VALU_DEP_1)
	v_mul_f32_e32 v146, v147, v145
	v_fma_f32 v148, -v142, v146, v147
	s_delay_alu instid0(VALU_DEP_1) | instskip(NEXT) | instid1(VALU_DEP_1)
	v_fmac_f32_e32 v146, v148, v145
	v_fma_f32 v142, -v142, v146, v147
	s_delay_alu instid0(VALU_DEP_1) | instskip(NEXT) | instid1(VALU_DEP_1)
	v_div_fmas_f32 v142, v142, v145, v146
	v_div_fixup_f32 v142, v142, v143, 1.0
	s_delay_alu instid0(VALU_DEP_1)
	v_mul_f32_e32 v144, v144, v142
	v_xor_b32_e32 v145, 0x80000000, v142
                                        ; implicit-def: $vgpr142_vgpr143
.LBB61_77:
	s_and_not1_saveexec_b32 s1, s1
	s_cbranch_execz .LBB61_79
; %bb.78:
	v_div_scale_f32 v144, null, v142, v142, v143
	v_div_scale_f32 v147, vcc_lo, v143, v142, v143
	s_delay_alu instid0(VALU_DEP_2) | instskip(SKIP_1) | instid1(TRANS32_DEP_1)
	v_rcp_f32_e32 v145, v144
	v_nop
	v_fma_f32 v146, -v144, v145, 1.0
	s_delay_alu instid0(VALU_DEP_1) | instskip(NEXT) | instid1(VALU_DEP_1)
	v_fmac_f32_e32 v145, v146, v145
	v_mul_f32_e32 v146, v147, v145
	s_delay_alu instid0(VALU_DEP_1) | instskip(NEXT) | instid1(VALU_DEP_1)
	v_fma_f32 v148, -v144, v146, v147
	v_fmac_f32_e32 v146, v148, v145
	s_delay_alu instid0(VALU_DEP_1) | instskip(NEXT) | instid1(VALU_DEP_1)
	v_fma_f32 v144, -v144, v146, v147
	v_div_fmas_f32 v144, v144, v145, v146
	s_delay_alu instid0(VALU_DEP_1) | instskip(NEXT) | instid1(VALU_DEP_1)
	v_div_fixup_f32 v145, v144, v142, v143
	v_fmac_f32_e32 v142, v143, v145
	s_delay_alu instid0(VALU_DEP_1) | instskip(NEXT) | instid1(VALU_DEP_1)
	v_div_scale_f32 v143, null, v142, v142, 1.0
	v_rcp_f32_e32 v144, v143
	v_nop
	s_delay_alu instid0(TRANS32_DEP_1) | instskip(NEXT) | instid1(VALU_DEP_1)
	v_fma_f32 v146, -v143, v144, 1.0
	v_fmac_f32_e32 v144, v146, v144
	v_div_scale_f32 v146, vcc_lo, 1.0, v142, 1.0
	s_delay_alu instid0(VALU_DEP_1) | instskip(NEXT) | instid1(VALU_DEP_1)
	v_mul_f32_e32 v147, v146, v144
	v_fma_f32 v148, -v143, v147, v146
	s_delay_alu instid0(VALU_DEP_1) | instskip(NEXT) | instid1(VALU_DEP_1)
	v_fmac_f32_e32 v147, v148, v144
	v_fma_f32 v143, -v143, v147, v146
	s_delay_alu instid0(VALU_DEP_1) | instskip(NEXT) | instid1(VALU_DEP_1)
	v_div_fmas_f32 v143, v143, v144, v147
	v_div_fixup_f32 v144, v143, v142, 1.0
	s_delay_alu instid0(VALU_DEP_1)
	v_mul_f32_e64 v145, v145, -v144
.LBB61_79:
	s_or_b32 exec_lo, exec_lo, s1
	ds_store_b64 v189, v[144:145]
.LBB61_80:
	s_or_b32 exec_lo, exec_lo, s2
	s_wait_dscnt 0x0
	s_barrier_signal -1
	s_barrier_wait -1
	ds_load_b64 v[142:143], v189
	s_mov_b32 s1, exec_lo
	v_cmpx_lt_u32_e32 8, v188
	s_cbranch_execz .LBB61_82
; %bb.81:
	ds_load_2addr_b64 v[148:151], v190 offset0:9 offset1:10
	s_wait_dscnt 0x1
	v_pk_mul_f32 v[146:147], v[142:143], v[38:39] op_sel:[1,1] op_sel_hi:[0,1]
	s_delay_alu instid0(VALU_DEP_1) | instskip(SKIP_1) | instid1(VALU_DEP_1)
	v_pk_fma_f32 v[144:145], v[142:143], v[38:39], v[146:147] op_sel_hi:[1,0,1] neg_lo:[0,0,1] neg_hi:[0,0,1]
	v_pk_fma_f32 v[146:147], v[142:143], v[38:39], v[146:147] op_sel_hi:[1,0,1]
	v_dual_mov_b32 v38, v144 :: v_dual_mov_b32 v39, v147
	s_wait_dscnt 0x0
	s_delay_alu instid0(VALU_DEP_2) | instskip(NEXT) | instid1(VALU_DEP_1)
	v_pk_mul_f32 v[152:153], v[148:149], v[146:147] op_sel:[0,1]
	v_pk_fma_f32 v[154:155], v[148:149], v[144:145], v[152:153] op_sel:[0,0,1] op_sel_hi:[1,1,0] neg_lo:[0,0,1] neg_hi:[0,0,1]
	v_pk_fma_f32 v[148:149], v[148:149], v[144:145], v[152:153] op_sel:[0,0,1] op_sel_hi:[1,0,0]
	s_delay_alu instid0(VALU_DEP_1) | instskip(SKIP_1) | instid1(VALU_DEP_1)
	v_mov_b32_e32 v155, v149
	v_pk_mul_f32 v[148:149], v[150:151], v[146:147] op_sel:[0,1]
	v_pk_fma_f32 v[152:153], v[150:151], v[144:145], v[148:149] op_sel:[0,0,1] op_sel_hi:[1,1,0] neg_lo:[0,0,1] neg_hi:[0,0,1]
	v_pk_fma_f32 v[148:149], v[150:151], v[144:145], v[148:149] op_sel:[0,0,1] op_sel_hi:[1,0,0]
	s_delay_alu instid0(VALU_DEP_1)
	v_mov_b32_e32 v153, v149
	ds_load_2addr_b64 v[148:151], v190 offset0:11 offset1:12
	v_pk_add_f32 v[88:89], v[88:89], v[154:155] neg_lo:[0,1] neg_hi:[0,1]
	v_pk_add_f32 v[90:91], v[90:91], v[152:153] neg_lo:[0,1] neg_hi:[0,1]
	s_wait_dscnt 0x0
	v_pk_mul_f32 v[152:153], v[148:149], v[146:147] op_sel:[0,1]
	s_delay_alu instid0(VALU_DEP_1) | instskip(SKIP_2) | instid1(VALU_DEP_2)
	v_pk_fma_f32 v[154:155], v[148:149], v[144:145], v[152:153] op_sel:[0,0,1] op_sel_hi:[1,1,0] neg_lo:[0,0,1] neg_hi:[0,0,1]
	v_pk_fma_f32 v[148:149], v[148:149], v[144:145], v[152:153] op_sel:[0,0,1] op_sel_hi:[1,0,0]
	v_dual_mul_f32 v152, v151, v147 :: v_dual_mov_b32 v148, v151
	v_dual_mov_b32 v155, v149 :: v_dual_mov_b32 v149, v150
	s_delay_alu instid0(VALU_DEP_2) | instskip(SKIP_1) | instid1(VALU_DEP_3)
	v_pk_fma_f32 v[152:153], v[150:151], v[38:39], v[152:153] op_sel_hi:[1,1,0] neg_lo:[0,0,1] neg_hi:[0,0,1]
	v_mul_f32_e32 v150, v151, v144
	v_pk_add_f32 v[36:37], v[36:37], v[154:155] neg_lo:[0,1] neg_hi:[0,1]
	s_delay_alu instid0(VALU_DEP_2) | instskip(NEXT) | instid1(VALU_DEP_1)
	v_pk_fma_f32 v[148:149], v[148:149], v[38:39], v[150:151] op_sel_hi:[1,1,0]
	v_mov_b32_e32 v153, v149
	ds_load_2addr_b64 v[148:151], v190 offset0:13 offset1:14
	v_pk_add_f32 v[62:63], v[62:63], v[152:153] neg_lo:[0,1] neg_hi:[0,1]
	s_wait_dscnt 0x0
	v_pk_mul_f32 v[152:153], v[148:149], v[146:147] op_sel:[0,1]
	s_delay_alu instid0(VALU_DEP_1) | instskip(SKIP_1) | instid1(VALU_DEP_1)
	v_pk_fma_f32 v[154:155], v[148:149], v[144:145], v[152:153] op_sel:[0,0,1] op_sel_hi:[1,1,0] neg_lo:[0,0,1] neg_hi:[0,0,1]
	v_pk_fma_f32 v[148:149], v[148:149], v[144:145], v[152:153] op_sel:[0,0,1] op_sel_hi:[1,0,0]
	v_mov_b32_e32 v155, v149
	v_pk_mul_f32 v[148:149], v[150:151], v[146:147] op_sel:[0,1]
	s_delay_alu instid0(VALU_DEP_1) | instskip(SKIP_1) | instid1(VALU_DEP_1)
	v_pk_fma_f32 v[152:153], v[150:151], v[144:145], v[148:149] op_sel:[0,0,1] op_sel_hi:[1,1,0] neg_lo:[0,0,1] neg_hi:[0,0,1]
	v_pk_fma_f32 v[148:149], v[150:151], v[144:145], v[148:149] op_sel:[0,0,1] op_sel_hi:[1,0,0]
	v_mov_b32_e32 v153, v149
	ds_load_2addr_b64 v[148:151], v190 offset0:15 offset1:16
	v_pk_add_f32 v[58:59], v[58:59], v[154:155] neg_lo:[0,1] neg_hi:[0,1]
	v_pk_add_f32 v[60:61], v[60:61], v[152:153] neg_lo:[0,1] neg_hi:[0,1]
	s_wait_dscnt 0x0
	v_pk_mul_f32 v[152:153], v[148:149], v[146:147] op_sel:[0,1]
	s_delay_alu instid0(VALU_DEP_1) | instskip(SKIP_1) | instid1(VALU_DEP_1)
	v_pk_fma_f32 v[154:155], v[148:149], v[144:145], v[152:153] op_sel:[0,0,1] op_sel_hi:[1,1,0] neg_lo:[0,0,1] neg_hi:[0,0,1]
	v_pk_fma_f32 v[148:149], v[148:149], v[144:145], v[152:153] op_sel:[0,0,1] op_sel_hi:[1,0,0]
	v_mov_b32_e32 v155, v149
	v_pk_mul_f32 v[148:149], v[150:151], v[146:147] op_sel:[0,1]
	s_delay_alu instid0(VALU_DEP_1) | instskip(SKIP_1) | instid1(VALU_DEP_1)
	v_pk_fma_f32 v[152:153], v[150:151], v[144:145], v[148:149] op_sel:[0,0,1] op_sel_hi:[1,1,0] neg_lo:[0,0,1] neg_hi:[0,0,1]
	v_pk_fma_f32 v[148:149], v[150:151], v[144:145], v[148:149] op_sel:[0,0,1] op_sel_hi:[1,0,0]
	v_mov_b32_e32 v153, v149
	ds_load_2addr_b64 v[148:151], v190 offset0:17 offset1:18
	v_pk_add_f32 v[56:57], v[56:57], v[154:155] neg_lo:[0,1] neg_hi:[0,1]
	v_pk_add_f32 v[78:79], v[78:79], v[152:153] neg_lo:[0,1] neg_hi:[0,1]
	s_wait_dscnt 0x0
	v_dual_mul_f32 v152, v149, v147 :: v_dual_mul_f32 v154, v149, v144
	s_delay_alu instid0(VALU_DEP_1) | instskip(NEXT) | instid1(VALU_DEP_2)
	v_pk_fma_f32 v[152:153], v[148:149], v[38:39], v[152:153] op_sel_hi:[1,1,0] neg_lo:[0,0,1] neg_hi:[0,0,1]
	v_pk_fma_f32 v[148:149], v[148:149], v[38:39], v[154:155] op_sel:[1,0,0] op_sel_hi:[0,1,0]
	s_delay_alu instid0(VALU_DEP_1) | instskip(SKIP_1) | instid1(VALU_DEP_2)
	v_mov_b32_e32 v153, v149
	v_pk_mul_f32 v[148:149], v[150:151], v[146:147] op_sel:[0,1]
	v_pk_add_f32 v[74:75], v[74:75], v[152:153] neg_lo:[0,1] neg_hi:[0,1]
	s_delay_alu instid0(VALU_DEP_2) | instskip(SKIP_1) | instid1(VALU_DEP_1)
	v_pk_fma_f32 v[152:153], v[150:151], v[144:145], v[148:149] op_sel:[0,0,1] op_sel_hi:[1,1,0] neg_lo:[0,0,1] neg_hi:[0,0,1]
	v_pk_fma_f32 v[148:149], v[150:151], v[144:145], v[148:149] op_sel:[0,0,1] op_sel_hi:[1,0,0]
	v_mov_b32_e32 v153, v149
	ds_load_2addr_b64 v[148:151], v190 offset0:19 offset1:20
	v_pk_add_f32 v[76:77], v[76:77], v[152:153] neg_lo:[0,1] neg_hi:[0,1]
	s_wait_dscnt 0x0
	v_pk_mul_f32 v[152:153], v[148:149], v[146:147] op_sel:[0,1]
	s_delay_alu instid0(VALU_DEP_1) | instskip(SKIP_1) | instid1(VALU_DEP_1)
	v_pk_fma_f32 v[154:155], v[148:149], v[144:145], v[152:153] op_sel:[0,0,1] op_sel_hi:[1,1,0] neg_lo:[0,0,1] neg_hi:[0,0,1]
	v_pk_fma_f32 v[148:149], v[148:149], v[144:145], v[152:153] op_sel:[0,0,1] op_sel_hi:[1,0,0]
	v_mov_b32_e32 v155, v149
	v_pk_mul_f32 v[148:149], v[150:151], v[146:147] op_sel:[0,1]
	s_delay_alu instid0(VALU_DEP_2) | instskip(NEXT) | instid1(VALU_DEP_2)
	v_pk_add_f32 v[72:73], v[72:73], v[154:155] neg_lo:[0,1] neg_hi:[0,1]
	v_pk_fma_f32 v[152:153], v[150:151], v[144:145], v[148:149] op_sel:[0,0,1] op_sel_hi:[1,1,0] neg_lo:[0,0,1] neg_hi:[0,0,1]
	v_pk_fma_f32 v[148:149], v[150:151], v[144:145], v[148:149] op_sel:[0,0,1] op_sel_hi:[1,0,0]
	s_delay_alu instid0(VALU_DEP_1) | instskip(SKIP_4) | instid1(VALU_DEP_1)
	v_mov_b32_e32 v153, v149
	ds_load_2addr_b64 v[148:151], v190 offset0:21 offset1:22
	v_pk_add_f32 v[100:101], v[100:101], v[152:153] neg_lo:[0,1] neg_hi:[0,1]
	s_wait_dscnt 0x0
	v_pk_mul_f32 v[152:153], v[148:149], v[146:147] op_sel:[0,1]
	v_pk_fma_f32 v[154:155], v[148:149], v[144:145], v[152:153] op_sel:[0,0,1] op_sel_hi:[1,1,0] neg_lo:[0,0,1] neg_hi:[0,0,1]
	v_pk_fma_f32 v[148:149], v[148:149], v[144:145], v[152:153] op_sel:[0,0,1] op_sel_hi:[1,0,0]
	v_dual_mul_f32 v152, v151, v147 :: v_dual_mov_b32 v148, v151
	s_delay_alu instid0(VALU_DEP_2) | instskip(NEXT) | instid1(VALU_DEP_2)
	v_dual_mov_b32 v155, v149 :: v_dual_mov_b32 v149, v150
	v_pk_fma_f32 v[152:153], v[150:151], v[38:39], v[152:153] op_sel_hi:[1,1,0] neg_lo:[0,0,1] neg_hi:[0,0,1]
	v_mul_f32_e32 v150, v151, v144
	s_delay_alu instid0(VALU_DEP_3) | instskip(NEXT) | instid1(VALU_DEP_2)
	v_pk_add_f32 v[96:97], v[96:97], v[154:155] neg_lo:[0,1] neg_hi:[0,1]
	v_pk_fma_f32 v[148:149], v[148:149], v[38:39], v[150:151] op_sel_hi:[1,1,0]
	s_delay_alu instid0(VALU_DEP_1) | instskip(SKIP_4) | instid1(VALU_DEP_1)
	v_mov_b32_e32 v153, v149
	ds_load_2addr_b64 v[148:151], v190 offset0:23 offset1:24
	v_pk_add_f32 v[98:99], v[98:99], v[152:153] neg_lo:[0,1] neg_hi:[0,1]
	s_wait_dscnt 0x0
	v_pk_mul_f32 v[152:153], v[148:149], v[146:147] op_sel:[0,1]
	v_pk_fma_f32 v[154:155], v[148:149], v[144:145], v[152:153] op_sel:[0,0,1] op_sel_hi:[1,1,0] neg_lo:[0,0,1] neg_hi:[0,0,1]
	v_pk_fma_f32 v[148:149], v[148:149], v[144:145], v[152:153] op_sel:[0,0,1] op_sel_hi:[1,0,0]
	s_delay_alu instid0(VALU_DEP_1) | instskip(SKIP_1) | instid1(VALU_DEP_1)
	v_mov_b32_e32 v155, v149
	v_pk_mul_f32 v[148:149], v[150:151], v[146:147] op_sel:[0,1]
	v_pk_fma_f32 v[152:153], v[150:151], v[144:145], v[148:149] op_sel:[0,0,1] op_sel_hi:[1,1,0] neg_lo:[0,0,1] neg_hi:[0,0,1]
	v_pk_fma_f32 v[148:149], v[150:151], v[144:145], v[148:149] op_sel:[0,0,1] op_sel_hi:[1,0,0]
	s_delay_alu instid0(VALU_DEP_1)
	v_mov_b32_e32 v153, v149
	ds_load_2addr_b64 v[148:151], v190 offset0:25 offset1:26
	v_pk_add_f32 v[94:95], v[94:95], v[154:155] neg_lo:[0,1] neg_hi:[0,1]
	v_pk_add_f32 v[116:117], v[116:117], v[152:153] neg_lo:[0,1] neg_hi:[0,1]
	s_wait_dscnt 0x0
	v_pk_mul_f32 v[152:153], v[148:149], v[146:147] op_sel:[0,1]
	s_delay_alu instid0(VALU_DEP_1) | instskip(SKIP_1) | instid1(VALU_DEP_1)
	v_pk_fma_f32 v[154:155], v[148:149], v[144:145], v[152:153] op_sel:[0,0,1] op_sel_hi:[1,1,0] neg_lo:[0,0,1] neg_hi:[0,0,1]
	v_pk_fma_f32 v[148:149], v[148:149], v[144:145], v[152:153] op_sel:[0,0,1] op_sel_hi:[1,0,0]
	v_mov_b32_e32 v155, v149
	v_pk_mul_f32 v[148:149], v[150:151], v[146:147] op_sel:[0,1]
	s_delay_alu instid0(VALU_DEP_1) | instskip(SKIP_1) | instid1(VALU_DEP_1)
	v_pk_fma_f32 v[152:153], v[150:151], v[144:145], v[148:149] op_sel:[0,0,1] op_sel_hi:[1,1,0] neg_lo:[0,0,1] neg_hi:[0,0,1]
	v_pk_fma_f32 v[148:149], v[150:151], v[144:145], v[148:149] op_sel:[0,0,1] op_sel_hi:[1,0,0]
	v_mov_b32_e32 v153, v149
	ds_load_2addr_b64 v[148:151], v190 offset0:27 offset1:28
	v_pk_add_f32 v[112:113], v[112:113], v[154:155] neg_lo:[0,1] neg_hi:[0,1]
	v_pk_add_f32 v[114:115], v[114:115], v[152:153] neg_lo:[0,1] neg_hi:[0,1]
	s_wait_dscnt 0x0
	v_dual_mul_f32 v152, v149, v147 :: v_dual_mul_f32 v154, v149, v144
	s_delay_alu instid0(VALU_DEP_1) | instskip(NEXT) | instid1(VALU_DEP_2)
	v_pk_fma_f32 v[152:153], v[148:149], v[38:39], v[152:153] op_sel_hi:[1,1,0] neg_lo:[0,0,1] neg_hi:[0,0,1]
	v_pk_fma_f32 v[148:149], v[148:149], v[38:39], v[154:155] op_sel:[1,0,0] op_sel_hi:[0,1,0]
	s_delay_alu instid0(VALU_DEP_1) | instskip(SKIP_1) | instid1(VALU_DEP_2)
	v_mov_b32_e32 v153, v149
	v_pk_mul_f32 v[148:149], v[150:151], v[146:147] op_sel:[0,1]
	v_pk_add_f32 v[122:123], v[122:123], v[152:153] neg_lo:[0,1] neg_hi:[0,1]
	s_delay_alu instid0(VALU_DEP_2) | instskip(SKIP_1) | instid1(VALU_DEP_1)
	v_pk_fma_f32 v[152:153], v[150:151], v[144:145], v[148:149] op_sel:[0,0,1] op_sel_hi:[1,1,0] neg_lo:[0,0,1] neg_hi:[0,0,1]
	v_pk_fma_f32 v[148:149], v[150:151], v[144:145], v[148:149] op_sel:[0,0,1] op_sel_hi:[1,0,0]
	v_mov_b32_e32 v153, v149
	ds_load_2addr_b64 v[148:151], v190 offset0:29 offset1:30
	v_pk_add_f32 v[120:121], v[120:121], v[152:153] neg_lo:[0,1] neg_hi:[0,1]
	s_wait_dscnt 0x0
	v_pk_mul_f32 v[152:153], v[148:149], v[146:147] op_sel:[0,1]
	v_pk_mul_f32 v[146:147], v[150:151], v[146:147] op_sel:[0,1]
	s_delay_alu instid0(VALU_DEP_2) | instskip(SKIP_1) | instid1(VALU_DEP_1)
	v_pk_fma_f32 v[154:155], v[148:149], v[144:145], v[152:153] op_sel:[0,0,1] op_sel_hi:[1,1,0] neg_lo:[0,0,1] neg_hi:[0,0,1]
	v_pk_fma_f32 v[148:149], v[148:149], v[144:145], v[152:153] op_sel:[0,0,1] op_sel_hi:[1,0,0]
	v_mov_b32_e32 v155, v149
	s_delay_alu instid0(VALU_DEP_4) | instskip(SKIP_1) | instid1(VALU_DEP_3)
	v_pk_fma_f32 v[148:149], v[150:151], v[144:145], v[146:147] op_sel:[0,0,1] op_sel_hi:[1,1,0] neg_lo:[0,0,1] neg_hi:[0,0,1]
	v_pk_fma_f32 v[144:145], v[150:151], v[144:145], v[146:147] op_sel:[0,0,1] op_sel_hi:[1,0,0]
	v_pk_add_f32 v[118:119], v[118:119], v[154:155] neg_lo:[0,1] neg_hi:[0,1]
	s_delay_alu instid0(VALU_DEP_2) | instskip(NEXT) | instid1(VALU_DEP_1)
	v_mov_b32_e32 v149, v145
	v_pk_add_f32 v[124:125], v[124:125], v[148:149] neg_lo:[0,1] neg_hi:[0,1]
.LBB61_82:
	s_or_b32 exec_lo, exec_lo, s1
	s_delay_alu instid0(SALU_CYCLE_1)
	s_mov_b32 s2, exec_lo
	s_wait_dscnt 0x0
	s_barrier_signal -1
	s_barrier_wait -1
	v_cmpx_eq_u32_e32 9, v188
	s_cbranch_execz .LBB61_89
; %bb.83:
	v_dual_mov_b32 v144, v90 :: v_dual_mov_b32 v145, v91
	v_dual_mov_b32 v146, v36 :: v_dual_mov_b32 v147, v37
	ds_store_b64 v189, v[88:89]
	ds_store_2addr_b64 v190, v[144:145], v[146:147] offset0:10 offset1:11
	v_dual_mov_b32 v144, v62 :: v_dual_mov_b32 v145, v63
	v_dual_mov_b32 v146, v58 :: v_dual_mov_b32 v147, v59
	ds_store_2addr_b64 v190, v[144:145], v[146:147] offset0:12 offset1:13
	v_dual_mov_b32 v144, v60 :: v_dual_mov_b32 v145, v61
	v_dual_mov_b32 v146, v56 :: v_dual_mov_b32 v147, v57
	;; [unrolled: 3-line block ×9, first 2 shown]
	ds_store_2addr_b64 v190, v[144:145], v[146:147] offset0:28 offset1:29
	ds_store_b64 v190, v[124:125] offset:240
	ds_load_b64 v[144:145], v189
	s_wait_dscnt 0x0
	v_cmp_neq_f32_e32 vcc_lo, 0, v144
	v_cmp_neq_f32_e64 s1, 0, v145
	s_or_b32 s1, vcc_lo, s1
	s_delay_alu instid0(SALU_CYCLE_1)
	s_and_b32 exec_lo, exec_lo, s1
	s_cbranch_execz .LBB61_89
; %bb.84:
	v_cmp_ngt_f32_e64 s1, |v144|, |v145|
                                        ; implicit-def: $vgpr146_vgpr147
	s_and_saveexec_b32 s4, s1
	s_delay_alu instid0(SALU_CYCLE_1)
	s_xor_b32 s1, exec_lo, s4
	s_cbranch_execz .LBB61_86
; %bb.85:
	v_div_scale_f32 v146, null, v145, v145, v144
	v_div_scale_f32 v149, vcc_lo, v144, v145, v144
	s_delay_alu instid0(VALU_DEP_2) | instskip(SKIP_1) | instid1(TRANS32_DEP_1)
	v_rcp_f32_e32 v147, v146
	v_nop
	v_fma_f32 v148, -v146, v147, 1.0
	s_delay_alu instid0(VALU_DEP_1) | instskip(NEXT) | instid1(VALU_DEP_1)
	v_fmac_f32_e32 v147, v148, v147
	v_mul_f32_e32 v148, v149, v147
	s_delay_alu instid0(VALU_DEP_1) | instskip(NEXT) | instid1(VALU_DEP_1)
	v_fma_f32 v150, -v146, v148, v149
	v_fmac_f32_e32 v148, v150, v147
	s_delay_alu instid0(VALU_DEP_1) | instskip(NEXT) | instid1(VALU_DEP_1)
	v_fma_f32 v146, -v146, v148, v149
	v_div_fmas_f32 v146, v146, v147, v148
	s_delay_alu instid0(VALU_DEP_1) | instskip(NEXT) | instid1(VALU_DEP_1)
	v_div_fixup_f32 v146, v146, v145, v144
	v_fmac_f32_e32 v145, v144, v146
	s_delay_alu instid0(VALU_DEP_1) | instskip(SKIP_1) | instid1(VALU_DEP_2)
	v_div_scale_f32 v144, null, v145, v145, 1.0
	v_div_scale_f32 v149, vcc_lo, 1.0, v145, 1.0
	v_rcp_f32_e32 v147, v144
	v_nop
	s_delay_alu instid0(TRANS32_DEP_1) | instskip(NEXT) | instid1(VALU_DEP_1)
	v_fma_f32 v148, -v144, v147, 1.0
	v_fmac_f32_e32 v147, v148, v147
	s_delay_alu instid0(VALU_DEP_1) | instskip(NEXT) | instid1(VALU_DEP_1)
	v_mul_f32_e32 v148, v149, v147
	v_fma_f32 v150, -v144, v148, v149
	s_delay_alu instid0(VALU_DEP_1) | instskip(NEXT) | instid1(VALU_DEP_1)
	v_fmac_f32_e32 v148, v150, v147
	v_fma_f32 v144, -v144, v148, v149
	s_delay_alu instid0(VALU_DEP_1) | instskip(NEXT) | instid1(VALU_DEP_1)
	v_div_fmas_f32 v144, v144, v147, v148
	v_div_fixup_f32 v144, v144, v145, 1.0
	s_delay_alu instid0(VALU_DEP_1)
	v_mul_f32_e32 v146, v146, v144
	v_xor_b32_e32 v147, 0x80000000, v144
                                        ; implicit-def: $vgpr144_vgpr145
.LBB61_86:
	s_and_not1_saveexec_b32 s1, s1
	s_cbranch_execz .LBB61_88
; %bb.87:
	v_div_scale_f32 v146, null, v144, v144, v145
	v_div_scale_f32 v149, vcc_lo, v145, v144, v145
	s_delay_alu instid0(VALU_DEP_2) | instskip(SKIP_1) | instid1(TRANS32_DEP_1)
	v_rcp_f32_e32 v147, v146
	v_nop
	v_fma_f32 v148, -v146, v147, 1.0
	s_delay_alu instid0(VALU_DEP_1) | instskip(NEXT) | instid1(VALU_DEP_1)
	v_fmac_f32_e32 v147, v148, v147
	v_mul_f32_e32 v148, v149, v147
	s_delay_alu instid0(VALU_DEP_1) | instskip(NEXT) | instid1(VALU_DEP_1)
	v_fma_f32 v150, -v146, v148, v149
	v_fmac_f32_e32 v148, v150, v147
	s_delay_alu instid0(VALU_DEP_1) | instskip(NEXT) | instid1(VALU_DEP_1)
	v_fma_f32 v146, -v146, v148, v149
	v_div_fmas_f32 v146, v146, v147, v148
	s_delay_alu instid0(VALU_DEP_1) | instskip(NEXT) | instid1(VALU_DEP_1)
	v_div_fixup_f32 v147, v146, v144, v145
	v_fmac_f32_e32 v144, v145, v147
	s_delay_alu instid0(VALU_DEP_1) | instskip(NEXT) | instid1(VALU_DEP_1)
	v_div_scale_f32 v145, null, v144, v144, 1.0
	v_rcp_f32_e32 v146, v145
	v_nop
	s_delay_alu instid0(TRANS32_DEP_1) | instskip(NEXT) | instid1(VALU_DEP_1)
	v_fma_f32 v148, -v145, v146, 1.0
	v_fmac_f32_e32 v146, v148, v146
	v_div_scale_f32 v148, vcc_lo, 1.0, v144, 1.0
	s_delay_alu instid0(VALU_DEP_1) | instskip(NEXT) | instid1(VALU_DEP_1)
	v_mul_f32_e32 v149, v148, v146
	v_fma_f32 v150, -v145, v149, v148
	s_delay_alu instid0(VALU_DEP_1) | instskip(NEXT) | instid1(VALU_DEP_1)
	v_fmac_f32_e32 v149, v150, v146
	v_fma_f32 v145, -v145, v149, v148
	s_delay_alu instid0(VALU_DEP_1) | instskip(NEXT) | instid1(VALU_DEP_1)
	v_div_fmas_f32 v145, v145, v146, v149
	v_div_fixup_f32 v146, v145, v144, 1.0
	s_delay_alu instid0(VALU_DEP_1)
	v_mul_f32_e64 v147, v147, -v146
.LBB61_88:
	s_or_b32 exec_lo, exec_lo, s1
	ds_store_b64 v189, v[146:147]
.LBB61_89:
	s_or_b32 exec_lo, exec_lo, s2
	s_wait_dscnt 0x0
	s_barrier_signal -1
	s_barrier_wait -1
	ds_load_b64 v[144:145], v189
	s_mov_b32 s1, exec_lo
	v_cmpx_lt_u32_e32 9, v188
	s_cbranch_execz .LBB61_91
; %bb.90:
	ds_load_2addr_b64 v[146:149], v190 offset0:10 offset1:11
	ds_load_2addr_b64 v[150:153], v190 offset0:12 offset1:13
	;; [unrolled: 1-line block ×3, first 2 shown]
	s_wait_dscnt 0x3
	v_pk_mul_f32 v[158:159], v[144:145], v[88:89] op_sel:[1,1] op_sel_hi:[0,1]
	s_delay_alu instid0(VALU_DEP_1)
	v_pk_fma_f32 v[168:169], v[144:145], v[88:89], v[158:159] op_sel_hi:[1,0,1]
	v_pk_fma_f32 v[166:167], v[144:145], v[88:89], v[158:159] op_sel_hi:[1,0,1] neg_lo:[0,0,1] neg_hi:[0,0,1]
	ds_load_2addr_b64 v[158:161], v190 offset0:16 offset1:17
	ds_load_2addr_b64 v[162:165], v190 offset0:18 offset1:19
	v_dual_mov_b32 v89, v169 :: v_dual_mov_b32 v88, v166
	s_wait_dscnt 0x4
	v_pk_mul_f32 v[170:171], v[146:147], v[168:169] op_sel:[0,1]
	v_pk_mul_f32 v[172:173], v[148:149], v[168:169] op_sel:[0,1]
	s_wait_dscnt 0x3
	v_pk_mul_f32 v[174:175], v[150:151], v[168:169] op_sel:[0,1]
	s_wait_dscnt 0x2
	v_pk_mul_f32 v[182:183], v[154:155], v[168:169] op_sel:[0,1]
	v_dual_mov_b32 v176, v153 :: v_dual_mov_b32 v177, v152
	v_pk_fma_f32 v[186:187], v[146:147], v[166:167], v[170:171] op_sel:[0,0,1] op_sel_hi:[1,1,0] neg_lo:[0,0,1] neg_hi:[0,0,1]
	v_pk_fma_f32 v[146:147], v[146:147], v[166:167], v[170:171] op_sel:[0,0,1] op_sel_hi:[1,0,0]
	v_dual_mul_f32 v178, v153, v169 :: v_dual_mul_f32 v180, v153, v166
	v_pk_mul_f32 v[184:185], v[156:157], v[168:169] op_sel:[0,1]
	v_pk_fma_f32 v[170:171], v[148:149], v[166:167], v[172:173] op_sel:[0,0,1] op_sel_hi:[1,1,0] neg_lo:[0,0,1] neg_hi:[0,0,1]
	v_pk_fma_f32 v[148:149], v[148:149], v[166:167], v[172:173] op_sel:[0,0,1] op_sel_hi:[1,0,0]
	v_pk_fma_f32 v[172:173], v[150:151], v[166:167], v[174:175] op_sel:[0,0,1] op_sel_hi:[1,1,0] neg_lo:[0,0,1] neg_hi:[0,0,1]
	v_pk_fma_f32 v[150:151], v[150:151], v[166:167], v[174:175] op_sel:[0,0,1] op_sel_hi:[1,0,0]
	v_mov_b32_e32 v187, v147
	v_pk_fma_f32 v[146:147], v[154:155], v[166:167], v[182:183] op_sel:[0,0,1] op_sel_hi:[1,0,0]
	v_pk_fma_f32 v[174:175], v[176:177], v[88:89], v[180:181] op_sel_hi:[1,1,0]
	v_pk_fma_f32 v[176:177], v[154:155], v[166:167], v[182:183] op_sel:[0,0,1] op_sel_hi:[1,1,0] neg_lo:[0,0,1] neg_hi:[0,0,1]
	v_dual_mov_b32 v171, v149 :: v_dual_mov_b32 v173, v151
	v_pk_fma_f32 v[150:151], v[156:157], v[166:167], v[184:185] op_sel:[0,0,1] op_sel_hi:[1,0,0]
	v_mov_b32_e32 v177, v147
	s_wait_dscnt 0x1
	v_pk_mul_f32 v[154:155], v[158:159], v[168:169] op_sel:[0,1]
	ds_load_2addr_b64 v[146:149], v190 offset0:20 offset1:21
	v_pk_fma_f32 v[152:153], v[152:153], v[88:89], v[178:179] op_sel_hi:[1,1,0] neg_lo:[0,0,1] neg_hi:[0,0,1]
	v_pk_fma_f32 v[156:157], v[156:157], v[166:167], v[184:185] op_sel:[0,0,1] op_sel_hi:[1,1,0] neg_lo:[0,0,1] neg_hi:[0,0,1]
	v_mov_b32_e32 v153, v175
	v_pk_add_f32 v[36:37], v[36:37], v[170:171] neg_lo:[0,1] neg_hi:[0,1]
	v_mov_b32_e32 v157, v151
	v_pk_mul_f32 v[170:171], v[160:161], v[168:169] op_sel:[0,1]
	v_pk_fma_f32 v[150:151], v[158:159], v[166:167], v[154:155] op_sel:[0,0,1] op_sel_hi:[1,0,0]
	v_pk_fma_f32 v[154:155], v[158:159], v[166:167], v[154:155] op_sel:[0,0,1] op_sel_hi:[1,1,0] neg_lo:[0,0,1] neg_hi:[0,0,1]
	v_pk_add_f32 v[58:59], v[58:59], v[152:153] neg_lo:[0,1] neg_hi:[0,1]
	v_pk_add_f32 v[56:57], v[56:57], v[156:157] neg_lo:[0,1] neg_hi:[0,1]
	v_pk_fma_f32 v[156:157], v[160:161], v[166:167], v[170:171] op_sel:[0,0,1] op_sel_hi:[1,0,0]
	v_mov_b32_e32 v155, v151
	ds_load_2addr_b64 v[150:153], v190 offset0:22 offset1:23
	v_pk_fma_f32 v[158:159], v[160:161], v[166:167], v[170:171] op_sel:[0,0,1] op_sel_hi:[1,1,0] neg_lo:[0,0,1] neg_hi:[0,0,1]
	s_wait_dscnt 0x2
	v_dual_mul_f32 v156, v163, v166 :: v_dual_mul_f32 v160, v163, v169
	v_mov_b32_e32 v159, v157
	v_pk_add_f32 v[78:79], v[78:79], v[154:155] neg_lo:[0,1] neg_hi:[0,1]
	v_pk_mul_f32 v[154:155], v[164:165], v[168:169] op_sel:[0,1]
	s_delay_alu instid0(VALU_DEP_4)
	v_pk_fma_f32 v[156:157], v[162:163], v[88:89], v[156:157] op_sel:[1,0,0] op_sel_hi:[0,1,0]
	v_pk_fma_f32 v[160:161], v[162:163], v[88:89], v[160:161] op_sel_hi:[1,1,0] neg_lo:[0,0,1] neg_hi:[0,0,1]
	v_pk_add_f32 v[74:75], v[74:75], v[158:159] neg_lo:[0,1] neg_hi:[0,1]
	s_wait_dscnt 0x1
	v_pk_mul_f32 v[158:159], v[146:147], v[168:169] op_sel:[0,1]
	v_pk_fma_f32 v[170:171], v[164:165], v[166:167], v[154:155] op_sel:[0,0,1] op_sel_hi:[1,0,0]
	v_mov_b32_e32 v161, v157
	v_pk_fma_f32 v[162:163], v[164:165], v[166:167], v[154:155] op_sel:[0,0,1] op_sel_hi:[1,1,0] neg_lo:[0,0,1] neg_hi:[0,0,1]
	ds_load_2addr_b64 v[154:157], v190 offset0:24 offset1:25
	v_pk_fma_f32 v[164:165], v[146:147], v[166:167], v[158:159] op_sel:[0,0,1] op_sel_hi:[1,0,0]
	v_pk_fma_f32 v[146:147], v[146:147], v[166:167], v[158:159] op_sel:[0,0,1] op_sel_hi:[1,1,0] neg_lo:[0,0,1] neg_hi:[0,0,1]
	v_pk_mul_f32 v[158:159], v[148:149], v[168:169] op_sel:[0,1]
	v_mov_b32_e32 v163, v171
	v_pk_add_f32 v[76:77], v[76:77], v[160:161] neg_lo:[0,1] neg_hi:[0,1]
	v_pk_add_f32 v[62:63], v[62:63], v[172:173] neg_lo:[0,1] neg_hi:[0,1]
	;; [unrolled: 1-line block ×3, first 2 shown]
	v_pk_fma_f32 v[160:161], v[148:149], v[166:167], v[158:159] op_sel:[0,0,1] op_sel_hi:[1,0,0]
	v_mov_b32_e32 v147, v165
	s_wait_dscnt 0x1
	v_pk_mul_f32 v[164:165], v[150:151], v[168:169] op_sel:[0,1]
	v_pk_fma_f32 v[158:159], v[148:149], v[166:167], v[158:159] op_sel:[0,0,1] op_sel_hi:[1,1,0] neg_lo:[0,0,1] neg_hi:[0,0,1]
	v_pk_add_f32 v[72:73], v[72:73], v[162:163] neg_lo:[0,1] neg_hi:[0,1]
	v_mov_b32_e32 v159, v161
	v_pk_add_f32 v[100:101], v[100:101], v[146:147] neg_lo:[0,1] neg_hi:[0,1]
	v_pk_fma_f32 v[162:163], v[150:151], v[166:167], v[164:165] op_sel:[0,0,1] op_sel_hi:[1,0,0]
	ds_load_2addr_b64 v[146:149], v190 offset0:26 offset1:27
	v_pk_fma_f32 v[150:151], v[150:151], v[166:167], v[164:165] op_sel:[0,0,1] op_sel_hi:[1,1,0] neg_lo:[0,0,1] neg_hi:[0,0,1]
	v_dual_mov_b32 v160, v153 :: v_dual_mov_b32 v161, v152
	v_dual_mul_f32 v162, v153, v166 :: v_dual_mov_b32 v151, v163
	v_pk_add_f32 v[96:97], v[96:97], v[158:159] neg_lo:[0,1] neg_hi:[0,1]
	ds_load_b64 v[172:173], v190 offset:240
	s_wait_dscnt 0x2
	v_pk_mul_f32 v[164:165], v[154:155], v[168:169] op_sel:[0,1]
	v_pk_fma_f32 v[162:163], v[160:161], v[88:89], v[162:163] op_sel_hi:[1,1,0]
	ds_load_2addr_b64 v[158:161], v190 offset0:28 offset1:29
	v_pk_add_f32 v[98:99], v[98:99], v[150:151] neg_lo:[0,1] neg_hi:[0,1]
	v_mul_f32_e32 v150, v153, v169
	v_pk_mul_f32 v[170:171], v[156:157], v[168:169] op_sel:[0,1]
	v_pk_add_f32 v[60:61], v[60:61], v[176:177] neg_lo:[0,1] neg_hi:[0,1]
	s_delay_alu instid0(VALU_DEP_3)
	v_pk_fma_f32 v[150:151], v[152:153], v[88:89], v[150:151] op_sel_hi:[1,1,0] neg_lo:[0,0,1] neg_hi:[0,0,1]
	v_pk_fma_f32 v[152:153], v[154:155], v[166:167], v[164:165] op_sel:[0,0,1] op_sel_hi:[1,0,0]
	v_mov_b32_e32 v151, v163
	v_pk_fma_f32 v[162:163], v[156:157], v[166:167], v[170:171] op_sel:[0,0,1] op_sel_hi:[1,0,0]
	v_pk_fma_f32 v[154:155], v[154:155], v[166:167], v[164:165] op_sel:[0,0,1] op_sel_hi:[1,1,0] neg_lo:[0,0,1] neg_hi:[0,0,1]
	s_wait_dscnt 0x2
	v_pk_mul_f32 v[164:165], v[146:147], v[168:169] op_sel:[0,1]
	v_mov_b32_e32 v155, v153
	v_pk_fma_f32 v[152:153], v[156:157], v[166:167], v[170:171] op_sel:[0,0,1] op_sel_hi:[1,1,0] neg_lo:[0,0,1] neg_hi:[0,0,1]
	v_mov_b32_e32 v153, v163
	v_pk_add_f32 v[94:95], v[94:95], v[150:151] neg_lo:[0,1] neg_hi:[0,1]
	v_pk_fma_f32 v[150:151], v[146:147], v[166:167], v[164:165] op_sel:[0,0,1] op_sel_hi:[1,0,0]
	v_pk_mul_f32 v[156:157], v[148:149], v[168:169] op_sel:[0,1]
	v_pk_fma_f32 v[146:147], v[146:147], v[166:167], v[164:165] op_sel:[0,0,1] op_sel_hi:[1,1,0] neg_lo:[0,0,1] neg_hi:[0,0,1]
	v_pk_add_f32 v[112:113], v[112:113], v[152:153] neg_lo:[0,1] neg_hi:[0,1]
	s_wait_dscnt 0x0
	v_mul_f32_e32 v152, v159, v166
	v_mov_b32_e32 v147, v151
	v_pk_fma_f32 v[150:151], v[148:149], v[166:167], v[156:157] op_sel:[0,0,1] op_sel_hi:[1,1,0] neg_lo:[0,0,1] neg_hi:[0,0,1]
	v_pk_fma_f32 v[148:149], v[148:149], v[166:167], v[156:157] op_sel:[0,0,1] op_sel_hi:[1,0,0]
	v_pk_add_f32 v[116:117], v[116:117], v[154:155] neg_lo:[0,1] neg_hi:[0,1]
	v_pk_mul_f32 v[154:155], v[160:161], v[168:169] op_sel:[0,1]
	v_mul_f32_e32 v148, v159, v169
	v_pk_mul_f32 v[156:157], v[172:173], v[168:169] op_sel:[0,1]
	v_pk_fma_f32 v[152:153], v[158:159], v[88:89], v[152:153] op_sel:[1,0,0] op_sel_hi:[0,1,0]
	v_mov_b32_e32 v151, v149
	v_pk_fma_f32 v[162:163], v[160:161], v[166:167], v[154:155] op_sel:[0,0,1] op_sel_hi:[1,0,0]
	v_pk_fma_f32 v[148:149], v[158:159], v[88:89], v[148:149] op_sel_hi:[1,1,0] neg_lo:[0,0,1] neg_hi:[0,0,1]
	v_pk_fma_f32 v[158:159], v[172:173], v[166:167], v[156:157] op_sel:[0,0,1] op_sel_hi:[1,0,0]
	v_mov_b32_e32 v149, v153
	v_pk_fma_f32 v[152:153], v[160:161], v[166:167], v[154:155] op_sel:[0,0,1] op_sel_hi:[1,1,0] neg_lo:[0,0,1] neg_hi:[0,0,1]
	v_pk_fma_f32 v[154:155], v[172:173], v[166:167], v[156:157] op_sel:[0,0,1] op_sel_hi:[1,1,0] neg_lo:[0,0,1] neg_hi:[0,0,1]
	s_delay_alu instid0(VALU_DEP_4) | instskip(SKIP_3) | instid1(VALU_DEP_4)
	v_dual_mov_b32 v153, v163 :: v_dual_mov_b32 v155, v159
	v_pk_add_f32 v[114:115], v[114:115], v[146:147] neg_lo:[0,1] neg_hi:[0,1]
	v_pk_add_f32 v[122:123], v[122:123], v[150:151] neg_lo:[0,1] neg_hi:[0,1]
	;; [unrolled: 1-line block ×5, first 2 shown]
.LBB61_91:
	s_or_b32 exec_lo, exec_lo, s1
	s_delay_alu instid0(SALU_CYCLE_1)
	s_mov_b32 s2, exec_lo
	s_wait_dscnt 0x0
	s_barrier_signal -1
	s_barrier_wait -1
	v_cmpx_eq_u32_e32 10, v188
	s_cbranch_execz .LBB61_98
; %bb.92:
	ds_store_b64 v189, v[90:91]
	ds_store_2addr_b64 v190, v[36:37], v[62:63] offset0:11 offset1:12
	ds_store_2addr_b64 v190, v[58:59], v[60:61] offset0:13 offset1:14
	;; [unrolled: 1-line block ×10, first 2 shown]
	ds_load_b64 v[146:147], v189
	s_wait_dscnt 0x0
	v_cmp_neq_f32_e32 vcc_lo, 0, v146
	v_cmp_neq_f32_e64 s1, 0, v147
	s_or_b32 s1, vcc_lo, s1
	s_delay_alu instid0(SALU_CYCLE_1)
	s_and_b32 exec_lo, exec_lo, s1
	s_cbranch_execz .LBB61_98
; %bb.93:
	v_cmp_ngt_f32_e64 s1, |v146|, |v147|
                                        ; implicit-def: $vgpr148_vgpr149
	s_and_saveexec_b32 s4, s1
	s_delay_alu instid0(SALU_CYCLE_1)
	s_xor_b32 s1, exec_lo, s4
	s_cbranch_execz .LBB61_95
; %bb.94:
	v_div_scale_f32 v148, null, v147, v147, v146
	v_div_scale_f32 v151, vcc_lo, v146, v147, v146
	s_delay_alu instid0(VALU_DEP_2) | instskip(SKIP_1) | instid1(TRANS32_DEP_1)
	v_rcp_f32_e32 v149, v148
	v_nop
	v_fma_f32 v150, -v148, v149, 1.0
	s_delay_alu instid0(VALU_DEP_1) | instskip(NEXT) | instid1(VALU_DEP_1)
	v_fmac_f32_e32 v149, v150, v149
	v_mul_f32_e32 v150, v151, v149
	s_delay_alu instid0(VALU_DEP_1) | instskip(NEXT) | instid1(VALU_DEP_1)
	v_fma_f32 v152, -v148, v150, v151
	v_fmac_f32_e32 v150, v152, v149
	s_delay_alu instid0(VALU_DEP_1) | instskip(NEXT) | instid1(VALU_DEP_1)
	v_fma_f32 v148, -v148, v150, v151
	v_div_fmas_f32 v148, v148, v149, v150
	s_delay_alu instid0(VALU_DEP_1) | instskip(NEXT) | instid1(VALU_DEP_1)
	v_div_fixup_f32 v148, v148, v147, v146
	v_fmac_f32_e32 v147, v146, v148
	s_delay_alu instid0(VALU_DEP_1) | instskip(SKIP_1) | instid1(VALU_DEP_2)
	v_div_scale_f32 v146, null, v147, v147, 1.0
	v_div_scale_f32 v151, vcc_lo, 1.0, v147, 1.0
	v_rcp_f32_e32 v149, v146
	v_nop
	s_delay_alu instid0(TRANS32_DEP_1) | instskip(NEXT) | instid1(VALU_DEP_1)
	v_fma_f32 v150, -v146, v149, 1.0
	v_fmac_f32_e32 v149, v150, v149
	s_delay_alu instid0(VALU_DEP_1) | instskip(NEXT) | instid1(VALU_DEP_1)
	v_mul_f32_e32 v150, v151, v149
	v_fma_f32 v152, -v146, v150, v151
	s_delay_alu instid0(VALU_DEP_1) | instskip(NEXT) | instid1(VALU_DEP_1)
	v_fmac_f32_e32 v150, v152, v149
	v_fma_f32 v146, -v146, v150, v151
	s_delay_alu instid0(VALU_DEP_1) | instskip(NEXT) | instid1(VALU_DEP_1)
	v_div_fmas_f32 v146, v146, v149, v150
	v_div_fixup_f32 v146, v146, v147, 1.0
	s_delay_alu instid0(VALU_DEP_1)
	v_mul_f32_e32 v148, v148, v146
	v_xor_b32_e32 v149, 0x80000000, v146
                                        ; implicit-def: $vgpr146_vgpr147
.LBB61_95:
	s_and_not1_saveexec_b32 s1, s1
	s_cbranch_execz .LBB61_97
; %bb.96:
	v_div_scale_f32 v148, null, v146, v146, v147
	v_div_scale_f32 v151, vcc_lo, v147, v146, v147
	s_delay_alu instid0(VALU_DEP_2) | instskip(SKIP_1) | instid1(TRANS32_DEP_1)
	v_rcp_f32_e32 v149, v148
	v_nop
	v_fma_f32 v150, -v148, v149, 1.0
	s_delay_alu instid0(VALU_DEP_1) | instskip(NEXT) | instid1(VALU_DEP_1)
	v_fmac_f32_e32 v149, v150, v149
	v_mul_f32_e32 v150, v151, v149
	s_delay_alu instid0(VALU_DEP_1) | instskip(NEXT) | instid1(VALU_DEP_1)
	v_fma_f32 v152, -v148, v150, v151
	v_fmac_f32_e32 v150, v152, v149
	s_delay_alu instid0(VALU_DEP_1) | instskip(NEXT) | instid1(VALU_DEP_1)
	v_fma_f32 v148, -v148, v150, v151
	v_div_fmas_f32 v148, v148, v149, v150
	s_delay_alu instid0(VALU_DEP_1) | instskip(NEXT) | instid1(VALU_DEP_1)
	v_div_fixup_f32 v149, v148, v146, v147
	v_fmac_f32_e32 v146, v147, v149
	s_delay_alu instid0(VALU_DEP_1) | instskip(NEXT) | instid1(VALU_DEP_1)
	v_div_scale_f32 v147, null, v146, v146, 1.0
	v_rcp_f32_e32 v148, v147
	v_nop
	s_delay_alu instid0(TRANS32_DEP_1) | instskip(NEXT) | instid1(VALU_DEP_1)
	v_fma_f32 v150, -v147, v148, 1.0
	v_fmac_f32_e32 v148, v150, v148
	v_div_scale_f32 v150, vcc_lo, 1.0, v146, 1.0
	s_delay_alu instid0(VALU_DEP_1) | instskip(NEXT) | instid1(VALU_DEP_1)
	v_mul_f32_e32 v151, v150, v148
	v_fma_f32 v152, -v147, v151, v150
	s_delay_alu instid0(VALU_DEP_1) | instskip(NEXT) | instid1(VALU_DEP_1)
	v_fmac_f32_e32 v151, v152, v148
	v_fma_f32 v147, -v147, v151, v150
	s_delay_alu instid0(VALU_DEP_1) | instskip(NEXT) | instid1(VALU_DEP_1)
	v_div_fmas_f32 v147, v147, v148, v151
	v_div_fixup_f32 v148, v147, v146, 1.0
	s_delay_alu instid0(VALU_DEP_1)
	v_mul_f32_e64 v149, v149, -v148
.LBB61_97:
	s_or_b32 exec_lo, exec_lo, s1
	ds_store_b64 v189, v[148:149]
.LBB61_98:
	s_or_b32 exec_lo, exec_lo, s2
	s_wait_dscnt 0x0
	s_barrier_signal -1
	s_barrier_wait -1
	ds_load_b64 v[146:147], v189
	s_mov_b32 s1, exec_lo
	v_cmpx_lt_u32_e32 10, v188
	s_cbranch_execz .LBB61_100
; %bb.99:
	ds_load_2addr_b64 v[148:151], v190 offset0:11 offset1:12
	ds_load_2addr_b64 v[152:155], v190 offset0:13 offset1:14
	;; [unrolled: 1-line block ×3, first 2 shown]
	s_wait_dscnt 0x3
	v_pk_mul_f32 v[160:161], v[146:147], v[90:91] op_sel:[1,1] op_sel_hi:[0,1]
	s_delay_alu instid0(VALU_DEP_1)
	v_pk_fma_f32 v[168:169], v[146:147], v[90:91], v[160:161] op_sel_hi:[1,0,1] neg_lo:[0,0,1] neg_hi:[0,0,1]
	v_pk_fma_f32 v[170:171], v[146:147], v[90:91], v[160:161] op_sel_hi:[1,0,1]
	ds_load_2addr_b64 v[160:163], v190 offset0:17 offset1:18
	ds_load_2addr_b64 v[164:167], v190 offset0:19 offset1:20
	v_dual_mov_b32 v90, v168 :: v_dual_mov_b32 v91, v171
	s_wait_dscnt 0x4
	v_pk_mul_f32 v[172:173], v[148:149], v[170:171] op_sel:[0,1]
	v_pk_mul_f32 v[174:175], v[150:151], v[170:171] op_sel:[0,1]
	s_wait_dscnt 0x3
	v_pk_mul_f32 v[176:177], v[152:153], v[170:171] op_sel:[0,1]
	v_dual_mov_b32 v178, v155 :: v_dual_mov_b32 v179, v154
	v_dual_mul_f32 v180, v155, v171 :: v_dual_mul_f32 v182, v155, v168
	v_pk_fma_f32 v[192:193], v[148:149], v[168:169], v[172:173] op_sel:[0,0,1] op_sel_hi:[1,1,0] neg_lo:[0,0,1] neg_hi:[0,0,1]
	v_pk_fma_f32 v[148:149], v[148:149], v[168:169], v[172:173] op_sel:[0,0,1] op_sel_hi:[1,0,0]
	v_pk_fma_f32 v[172:173], v[150:151], v[168:169], v[174:175] op_sel:[0,0,1] op_sel_hi:[1,1,0] neg_lo:[0,0,1] neg_hi:[0,0,1]
	v_pk_fma_f32 v[150:151], v[150:151], v[168:169], v[174:175] op_sel:[0,0,1] op_sel_hi:[1,0,0]
	;; [unrolled: 2-line block ×3, first 2 shown]
	v_pk_fma_f32 v[176:177], v[178:179], v[90:91], v[182:183] op_sel_hi:[1,1,0]
	s_wait_dscnt 0x2
	v_pk_mul_f32 v[184:185], v[156:157], v[170:171] op_sel:[0,1]
	v_pk_fma_f32 v[154:155], v[154:155], v[90:91], v[180:181] op_sel_hi:[1,1,0] neg_lo:[0,0,1] neg_hi:[0,0,1]
	v_pk_mul_f32 v[186:187], v[158:159], v[170:171] op_sel:[0,1]
	v_dual_mov_b32 v175, v153 :: v_dual_mov_b32 v155, v177
	v_dual_mov_b32 v193, v149 :: v_dual_mov_b32 v173, v151
	v_pk_fma_f32 v[148:149], v[156:157], v[168:169], v[184:185] op_sel:[0,0,1] op_sel_hi:[1,0,0]
	s_wait_dscnt 0x1
	v_pk_mul_f32 v[152:153], v[160:161], v[170:171] op_sel:[0,1]
	v_pk_add_f32 v[60:61], v[60:61], v[154:155] neg_lo:[0,1] neg_hi:[0,1]
	v_pk_fma_f32 v[154:155], v[156:157], v[168:169], v[184:185] op_sel:[0,0,1] op_sel_hi:[1,1,0] neg_lo:[0,0,1] neg_hi:[0,0,1]
	v_pk_fma_f32 v[156:157], v[158:159], v[168:169], v[186:187] op_sel:[0,0,1] op_sel_hi:[1,0,0]
	v_mov_b32_e32 v155, v149
	ds_load_2addr_b64 v[148:151], v190 offset0:21 offset1:22
	v_pk_add_f32 v[58:59], v[58:59], v[174:175] neg_lo:[0,1] neg_hi:[0,1]
	v_pk_mul_f32 v[174:175], v[162:163], v[170:171] op_sel:[0,1]
	v_pk_add_f32 v[62:63], v[62:63], v[172:173] neg_lo:[0,1] neg_hi:[0,1]
	v_pk_fma_f32 v[172:173], v[160:161], v[168:169], v[152:153] op_sel:[0,0,1] op_sel_hi:[1,0,0]
	v_pk_fma_f32 v[158:159], v[158:159], v[168:169], v[186:187] op_sel:[0,0,1] op_sel_hi:[1,1,0] neg_lo:[0,0,1] neg_hi:[0,0,1]
	v_mov_b32_e32 v159, v157
	v_pk_fma_f32 v[152:153], v[160:161], v[168:169], v[152:153] op_sel:[0,0,1] op_sel_hi:[1,1,0] neg_lo:[0,0,1] neg_hi:[0,0,1]
	v_pk_add_f32 v[56:57], v[56:57], v[154:155] neg_lo:[0,1] neg_hi:[0,1]
	v_pk_fma_f32 v[154:155], v[162:163], v[168:169], v[174:175] op_sel:[0,0,1] op_sel_hi:[1,0,0]
	v_mov_b32_e32 v153, v173
	s_wait_dscnt 0x1
	v_mul_f32_e32 v154, v165, v168
	v_pk_fma_f32 v[156:157], v[162:163], v[168:169], v[174:175] op_sel:[0,0,1] op_sel_hi:[1,1,0] neg_lo:[0,0,1] neg_hi:[0,0,1]
	v_pk_add_f32 v[78:79], v[78:79], v[158:159] neg_lo:[0,1] neg_hi:[0,1]
	v_mov_b32_e32 v157, v155
	v_pk_add_f32 v[74:75], v[74:75], v[152:153] neg_lo:[0,1] neg_hi:[0,1]
	v_mul_f32_e32 v158, v165, v171
	v_pk_fma_f32 v[160:161], v[164:165], v[90:91], v[154:155] op_sel:[1,0,0] op_sel_hi:[0,1,0]
	ds_load_2addr_b64 v[152:155], v190 offset0:23 offset1:24
	v_pk_mul_f32 v[162:163], v[166:167], v[170:171] op_sel:[0,1]
	s_wait_dscnt 0x1
	v_pk_mul_f32 v[172:173], v[148:149], v[170:171] op_sel:[0,1]
	v_pk_fma_f32 v[164:165], v[164:165], v[90:91], v[158:159] op_sel_hi:[1,1,0] neg_lo:[0,0,1] neg_hi:[0,0,1]
	v_pk_add_f32 v[76:77], v[76:77], v[156:157] neg_lo:[0,1] neg_hi:[0,1]
	v_mov_b32_e32 v165, v161
	v_pk_fma_f32 v[160:161], v[166:167], v[168:169], v[162:163] op_sel:[0,0,1] op_sel_hi:[1,0,0]
	v_pk_mul_f32 v[174:175], v[150:151], v[170:171] op_sel:[0,1]
	ds_load_2addr_b64 v[156:159], v190 offset0:25 offset1:26
	v_pk_fma_f32 v[176:177], v[148:149], v[168:169], v[172:173] op_sel:[0,0,1] op_sel_hi:[1,0,0]
	v_pk_fma_f32 v[162:163], v[166:167], v[168:169], v[162:163] op_sel:[0,0,1] op_sel_hi:[1,1,0] neg_lo:[0,0,1] neg_hi:[0,0,1]
	v_pk_fma_f32 v[148:149], v[148:149], v[168:169], v[172:173] op_sel:[0,0,1] op_sel_hi:[1,1,0] neg_lo:[0,0,1] neg_hi:[0,0,1]
	v_mov_b32_e32 v163, v161
	v_pk_fma_f32 v[160:161], v[150:151], v[168:169], v[174:175] op_sel:[0,0,1] op_sel_hi:[1,0,0]
	v_mov_b32_e32 v149, v177
	v_pk_add_f32 v[72:73], v[72:73], v[164:165] neg_lo:[0,1] neg_hi:[0,1]
	v_pk_fma_f32 v[164:165], v[150:151], v[168:169], v[174:175] op_sel:[0,0,1] op_sel_hi:[1,1,0] neg_lo:[0,0,1] neg_hi:[0,0,1]
	v_pk_add_f32 v[100:101], v[100:101], v[162:163] neg_lo:[0,1] neg_hi:[0,1]
	v_mov_b32_e32 v165, v161
	v_pk_add_f32 v[96:97], v[96:97], v[148:149] neg_lo:[0,1] neg_hi:[0,1]
	ds_load_2addr_b64 v[148:151], v190 offset0:27 offset1:28
	s_wait_dscnt 0x2
	v_pk_mul_f32 v[166:167], v[152:153], v[170:171] op_sel:[0,1]
	v_mul_f32_e32 v172, v155, v168
	v_pk_add_f32 v[98:99], v[98:99], v[164:165] neg_lo:[0,1] neg_hi:[0,1]
	v_dual_mov_b32 v164, v155 :: v_dual_mov_b32 v165, v154
	s_delay_alu instid0(VALU_DEP_4)
	v_pk_fma_f32 v[174:175], v[152:153], v[168:169], v[166:167] op_sel:[0,0,1] op_sel_hi:[1,0,0]
	v_mul_f32_e32 v174, v155, v171
	ds_load_2addr_b64 v[160:163], v190 offset0:29 offset1:30
	s_wait_dscnt 0x2
	v_pk_mul_f32 v[176:177], v[156:157], v[170:171] op_sel:[0,1]
	v_pk_fma_f32 v[164:165], v[164:165], v[90:91], v[172:173] op_sel_hi:[1,1,0]
	v_pk_fma_f32 v[152:153], v[152:153], v[168:169], v[166:167] op_sel:[0,0,1] op_sel_hi:[1,1,0] neg_lo:[0,0,1] neg_hi:[0,0,1]
	v_pk_fma_f32 v[154:155], v[154:155], v[90:91], v[174:175] op_sel_hi:[1,1,0] neg_lo:[0,0,1] neg_hi:[0,0,1]
	v_mov_b32_e32 v153, v175
	v_pk_fma_f32 v[166:167], v[156:157], v[168:169], v[176:177] op_sel:[0,0,1] op_sel_hi:[1,0,0]
	v_mov_b32_e32 v155, v165
	v_pk_mul_f32 v[164:165], v[158:159], v[170:171] op_sel:[0,1]
	v_pk_fma_f32 v[156:157], v[156:157], v[168:169], v[176:177] op_sel:[0,0,1] op_sel_hi:[1,1,0] neg_lo:[0,0,1] neg_hi:[0,0,1]
	v_pk_add_f32 v[94:95], v[94:95], v[152:153] neg_lo:[0,1] neg_hi:[0,1]
	v_mov_b32_e32 v157, v167
	s_wait_dscnt 0x1
	v_pk_mul_f32 v[152:153], v[148:149], v[170:171] op_sel:[0,1]
	v_pk_fma_f32 v[166:167], v[158:159], v[168:169], v[164:165] op_sel:[0,0,1] op_sel_hi:[1,0,0]
	v_pk_add_f32 v[116:117], v[116:117], v[154:155] neg_lo:[0,1] neg_hi:[0,1]
	v_pk_fma_f32 v[154:155], v[158:159], v[168:169], v[164:165] op_sel:[0,0,1] op_sel_hi:[1,1,0] neg_lo:[0,0,1] neg_hi:[0,0,1]
	v_pk_mul_f32 v[158:159], v[150:151], v[170:171] op_sel:[0,1]
	v_pk_add_f32 v[36:37], v[36:37], v[192:193] neg_lo:[0,1] neg_hi:[0,1]
	v_mov_b32_e32 v155, v167
	v_pk_add_f32 v[112:113], v[112:113], v[156:157] neg_lo:[0,1] neg_hi:[0,1]
	v_pk_fma_f32 v[156:157], v[148:149], v[168:169], v[152:153] op_sel:[0,0,1] op_sel_hi:[1,0,0]
	v_pk_fma_f32 v[148:149], v[148:149], v[168:169], v[152:153] op_sel:[0,0,1] op_sel_hi:[1,1,0] neg_lo:[0,0,1] neg_hi:[0,0,1]
	s_wait_dscnt 0x0
	v_mul_f32_e32 v152, v161, v168
	v_pk_fma_f32 v[164:165], v[150:151], v[168:169], v[158:159] op_sel:[0,0,1] op_sel_hi:[1,0,0]
	v_mul_f32_e32 v164, v161, v171
	v_mov_b32_e32 v149, v157
	v_pk_mul_f32 v[156:157], v[162:163], v[170:171] op_sel:[0,1]
	v_pk_fma_f32 v[152:153], v[160:161], v[90:91], v[152:153] op_sel:[1,0,0] op_sel_hi:[0,1,0]
	v_pk_fma_f32 v[150:151], v[150:151], v[168:169], v[158:159] op_sel:[0,0,1] op_sel_hi:[1,1,0] neg_lo:[0,0,1] neg_hi:[0,0,1]
	v_pk_fma_f32 v[160:161], v[160:161], v[90:91], v[164:165] op_sel_hi:[1,1,0] neg_lo:[0,0,1] neg_hi:[0,0,1]
	v_mov_b32_e32 v151, v165
	v_pk_fma_f32 v[158:159], v[162:163], v[168:169], v[156:157] op_sel:[0,0,1] op_sel_hi:[1,0,0]
	v_mov_b32_e32 v161, v153
	v_pk_fma_f32 v[152:153], v[162:163], v[168:169], v[156:157] op_sel:[0,0,1] op_sel_hi:[1,1,0] neg_lo:[0,0,1] neg_hi:[0,0,1]
	v_pk_add_f32 v[114:115], v[114:115], v[154:155] neg_lo:[0,1] neg_hi:[0,1]
	v_pk_add_f32 v[122:123], v[122:123], v[148:149] neg_lo:[0,1] neg_hi:[0,1]
	v_mov_b32_e32 v153, v159
	v_pk_add_f32 v[120:121], v[120:121], v[150:151] neg_lo:[0,1] neg_hi:[0,1]
	v_pk_add_f32 v[118:119], v[118:119], v[160:161] neg_lo:[0,1] neg_hi:[0,1]
	s_delay_alu instid0(VALU_DEP_3)
	v_pk_add_f32 v[124:125], v[124:125], v[152:153] neg_lo:[0,1] neg_hi:[0,1]
.LBB61_100:
	s_or_b32 exec_lo, exec_lo, s1
	s_delay_alu instid0(SALU_CYCLE_1)
	s_mov_b32 s2, exec_lo
	s_wait_dscnt 0x0
	s_barrier_signal -1
	s_barrier_wait -1
	v_cmpx_eq_u32_e32 11, v188
	s_cbranch_execz .LBB61_107
; %bb.101:
	v_dual_mov_b32 v148, v62 :: v_dual_mov_b32 v149, v63
	v_dual_mov_b32 v150, v58 :: v_dual_mov_b32 v151, v59
	;; [unrolled: 1-line block ×8, first 2 shown]
	ds_store_b64 v189, v[36:37]
	ds_store_2addr_b64 v190, v[148:149], v[150:151] offset0:12 offset1:13
	ds_store_2addr_b64 v190, v[152:153], v[154:155] offset0:14 offset1:15
	ds_store_2addr_b64 v190, v[156:157], v[158:159] offset0:16 offset1:17
	ds_store_2addr_b64 v190, v[160:161], v[162:163] offset0:18 offset1:19
	v_dual_mov_b32 v148, v100 :: v_dual_mov_b32 v149, v101
	v_dual_mov_b32 v150, v96 :: v_dual_mov_b32 v151, v97
	v_dual_mov_b32 v152, v98 :: v_dual_mov_b32 v153, v99
	v_dual_mov_b32 v154, v94 :: v_dual_mov_b32 v155, v95
	v_dual_mov_b32 v156, v116 :: v_dual_mov_b32 v157, v117
	v_dual_mov_b32 v158, v112 :: v_dual_mov_b32 v159, v113
	v_dual_mov_b32 v160, v114 :: v_dual_mov_b32 v161, v115
	v_dual_mov_b32 v162, v122 :: v_dual_mov_b32 v163, v123
	v_dual_mov_b32 v164, v120 :: v_dual_mov_b32 v165, v121
	v_dual_mov_b32 v166, v118 :: v_dual_mov_b32 v167, v119
	ds_store_2addr_b64 v190, v[148:149], v[150:151] offset0:20 offset1:21
	ds_store_2addr_b64 v190, v[152:153], v[154:155] offset0:22 offset1:23
	;; [unrolled: 1-line block ×5, first 2 shown]
	ds_store_b64 v190, v[124:125] offset:240
	ds_load_b64 v[148:149], v189
	s_wait_dscnt 0x0
	v_cmp_neq_f32_e32 vcc_lo, 0, v148
	v_cmp_neq_f32_e64 s1, 0, v149
	s_or_b32 s1, vcc_lo, s1
	s_delay_alu instid0(SALU_CYCLE_1)
	s_and_b32 exec_lo, exec_lo, s1
	s_cbranch_execz .LBB61_107
; %bb.102:
	v_cmp_ngt_f32_e64 s1, |v148|, |v149|
                                        ; implicit-def: $vgpr150_vgpr151
	s_and_saveexec_b32 s4, s1
	s_delay_alu instid0(SALU_CYCLE_1)
	s_xor_b32 s1, exec_lo, s4
	s_cbranch_execz .LBB61_104
; %bb.103:
	v_div_scale_f32 v150, null, v149, v149, v148
	v_div_scale_f32 v153, vcc_lo, v148, v149, v148
	s_delay_alu instid0(VALU_DEP_2) | instskip(SKIP_1) | instid1(TRANS32_DEP_1)
	v_rcp_f32_e32 v151, v150
	v_nop
	v_fma_f32 v152, -v150, v151, 1.0
	s_delay_alu instid0(VALU_DEP_1) | instskip(NEXT) | instid1(VALU_DEP_1)
	v_fmac_f32_e32 v151, v152, v151
	v_mul_f32_e32 v152, v153, v151
	s_delay_alu instid0(VALU_DEP_1) | instskip(NEXT) | instid1(VALU_DEP_1)
	v_fma_f32 v154, -v150, v152, v153
	v_fmac_f32_e32 v152, v154, v151
	s_delay_alu instid0(VALU_DEP_1) | instskip(NEXT) | instid1(VALU_DEP_1)
	v_fma_f32 v150, -v150, v152, v153
	v_div_fmas_f32 v150, v150, v151, v152
	s_delay_alu instid0(VALU_DEP_1) | instskip(NEXT) | instid1(VALU_DEP_1)
	v_div_fixup_f32 v150, v150, v149, v148
	v_fmac_f32_e32 v149, v148, v150
	s_delay_alu instid0(VALU_DEP_1) | instskip(SKIP_1) | instid1(VALU_DEP_2)
	v_div_scale_f32 v148, null, v149, v149, 1.0
	v_div_scale_f32 v153, vcc_lo, 1.0, v149, 1.0
	v_rcp_f32_e32 v151, v148
	v_nop
	s_delay_alu instid0(TRANS32_DEP_1) | instskip(NEXT) | instid1(VALU_DEP_1)
	v_fma_f32 v152, -v148, v151, 1.0
	v_fmac_f32_e32 v151, v152, v151
	s_delay_alu instid0(VALU_DEP_1) | instskip(NEXT) | instid1(VALU_DEP_1)
	v_mul_f32_e32 v152, v153, v151
	v_fma_f32 v154, -v148, v152, v153
	s_delay_alu instid0(VALU_DEP_1) | instskip(NEXT) | instid1(VALU_DEP_1)
	v_fmac_f32_e32 v152, v154, v151
	v_fma_f32 v148, -v148, v152, v153
	s_delay_alu instid0(VALU_DEP_1) | instskip(NEXT) | instid1(VALU_DEP_1)
	v_div_fmas_f32 v148, v148, v151, v152
	v_div_fixup_f32 v148, v148, v149, 1.0
	s_delay_alu instid0(VALU_DEP_1)
	v_mul_f32_e32 v150, v150, v148
	v_xor_b32_e32 v151, 0x80000000, v148
                                        ; implicit-def: $vgpr148_vgpr149
.LBB61_104:
	s_and_not1_saveexec_b32 s1, s1
	s_cbranch_execz .LBB61_106
; %bb.105:
	v_div_scale_f32 v150, null, v148, v148, v149
	v_div_scale_f32 v153, vcc_lo, v149, v148, v149
	s_delay_alu instid0(VALU_DEP_2) | instskip(SKIP_1) | instid1(TRANS32_DEP_1)
	v_rcp_f32_e32 v151, v150
	v_nop
	v_fma_f32 v152, -v150, v151, 1.0
	s_delay_alu instid0(VALU_DEP_1) | instskip(NEXT) | instid1(VALU_DEP_1)
	v_fmac_f32_e32 v151, v152, v151
	v_mul_f32_e32 v152, v153, v151
	s_delay_alu instid0(VALU_DEP_1) | instskip(NEXT) | instid1(VALU_DEP_1)
	v_fma_f32 v154, -v150, v152, v153
	v_fmac_f32_e32 v152, v154, v151
	s_delay_alu instid0(VALU_DEP_1) | instskip(NEXT) | instid1(VALU_DEP_1)
	v_fma_f32 v150, -v150, v152, v153
	v_div_fmas_f32 v150, v150, v151, v152
	s_delay_alu instid0(VALU_DEP_1) | instskip(NEXT) | instid1(VALU_DEP_1)
	v_div_fixup_f32 v151, v150, v148, v149
	v_fmac_f32_e32 v148, v149, v151
	s_delay_alu instid0(VALU_DEP_1) | instskip(NEXT) | instid1(VALU_DEP_1)
	v_div_scale_f32 v149, null, v148, v148, 1.0
	v_rcp_f32_e32 v150, v149
	v_nop
	s_delay_alu instid0(TRANS32_DEP_1) | instskip(NEXT) | instid1(VALU_DEP_1)
	v_fma_f32 v152, -v149, v150, 1.0
	v_fmac_f32_e32 v150, v152, v150
	v_div_scale_f32 v152, vcc_lo, 1.0, v148, 1.0
	s_delay_alu instid0(VALU_DEP_1) | instskip(NEXT) | instid1(VALU_DEP_1)
	v_mul_f32_e32 v153, v152, v150
	v_fma_f32 v154, -v149, v153, v152
	s_delay_alu instid0(VALU_DEP_1) | instskip(NEXT) | instid1(VALU_DEP_1)
	v_fmac_f32_e32 v153, v154, v150
	v_fma_f32 v149, -v149, v153, v152
	s_delay_alu instid0(VALU_DEP_1) | instskip(NEXT) | instid1(VALU_DEP_1)
	v_div_fmas_f32 v149, v149, v150, v153
	v_div_fixup_f32 v150, v149, v148, 1.0
	s_delay_alu instid0(VALU_DEP_1)
	v_mul_f32_e64 v151, v151, -v150
.LBB61_106:
	s_or_b32 exec_lo, exec_lo, s1
	ds_store_b64 v189, v[150:151]
.LBB61_107:
	s_or_b32 exec_lo, exec_lo, s2
	s_wait_dscnt 0x0
	s_barrier_signal -1
	s_barrier_wait -1
	ds_load_b64 v[148:149], v189
	s_mov_b32 s1, exec_lo
	v_cmpx_lt_u32_e32 11, v188
	s_cbranch_execz .LBB61_109
; %bb.108:
	ds_load_2addr_b64 v[154:157], v190 offset0:12 offset1:13
	s_wait_dscnt 0x1
	v_pk_mul_f32 v[152:153], v[148:149], v[36:37] op_sel:[1,1] op_sel_hi:[0,1]
	s_delay_alu instid0(VALU_DEP_1) | instskip(SKIP_1) | instid1(VALU_DEP_1)
	v_pk_fma_f32 v[150:151], v[148:149], v[36:37], v[152:153] op_sel_hi:[1,0,1] neg_lo:[0,0,1] neg_hi:[0,0,1]
	v_pk_fma_f32 v[152:153], v[148:149], v[36:37], v[152:153] op_sel_hi:[1,0,1]
	v_dual_mov_b32 v36, v150 :: v_dual_mov_b32 v37, v153
	s_wait_dscnt 0x0
	s_delay_alu instid0(VALU_DEP_2) | instskip(NEXT) | instid1(VALU_DEP_1)
	v_pk_mul_f32 v[158:159], v[154:155], v[152:153] op_sel:[0,1]
	v_pk_fma_f32 v[160:161], v[154:155], v[150:151], v[158:159] op_sel:[0,0,1] op_sel_hi:[1,1,0] neg_lo:[0,0,1] neg_hi:[0,0,1]
	v_pk_fma_f32 v[154:155], v[154:155], v[150:151], v[158:159] op_sel:[0,0,1] op_sel_hi:[1,0,0]
	s_delay_alu instid0(VALU_DEP_1) | instskip(SKIP_1) | instid1(VALU_DEP_1)
	v_mov_b32_e32 v161, v155
	v_pk_mul_f32 v[154:155], v[156:157], v[152:153] op_sel:[0,1]
	v_pk_fma_f32 v[158:159], v[156:157], v[150:151], v[154:155] op_sel:[0,0,1] op_sel_hi:[1,1,0] neg_lo:[0,0,1] neg_hi:[0,0,1]
	v_pk_fma_f32 v[154:155], v[156:157], v[150:151], v[154:155] op_sel:[0,0,1] op_sel_hi:[1,0,0]
	s_delay_alu instid0(VALU_DEP_1)
	v_mov_b32_e32 v159, v155
	ds_load_2addr_b64 v[154:157], v190 offset0:14 offset1:15
	v_pk_add_f32 v[62:63], v[62:63], v[160:161] neg_lo:[0,1] neg_hi:[0,1]
	v_pk_add_f32 v[58:59], v[58:59], v[158:159] neg_lo:[0,1] neg_hi:[0,1]
	s_wait_dscnt 0x0
	v_pk_mul_f32 v[158:159], v[154:155], v[152:153] op_sel:[0,1]
	s_delay_alu instid0(VALU_DEP_1) | instskip(SKIP_2) | instid1(VALU_DEP_2)
	v_pk_fma_f32 v[160:161], v[154:155], v[150:151], v[158:159] op_sel:[0,0,1] op_sel_hi:[1,1,0] neg_lo:[0,0,1] neg_hi:[0,0,1]
	v_pk_fma_f32 v[154:155], v[154:155], v[150:151], v[158:159] op_sel:[0,0,1] op_sel_hi:[1,0,0]
	v_dual_mul_f32 v158, v157, v153 :: v_dual_mov_b32 v154, v157
	v_dual_mov_b32 v161, v155 :: v_dual_mov_b32 v155, v156
	s_delay_alu instid0(VALU_DEP_2) | instskip(SKIP_1) | instid1(VALU_DEP_3)
	v_pk_fma_f32 v[158:159], v[156:157], v[36:37], v[158:159] op_sel_hi:[1,1,0] neg_lo:[0,0,1] neg_hi:[0,0,1]
	v_mul_f32_e32 v156, v157, v150
	v_pk_add_f32 v[60:61], v[60:61], v[160:161] neg_lo:[0,1] neg_hi:[0,1]
	s_delay_alu instid0(VALU_DEP_2) | instskip(NEXT) | instid1(VALU_DEP_1)
	v_pk_fma_f32 v[154:155], v[154:155], v[36:37], v[156:157] op_sel_hi:[1,1,0]
	v_mov_b32_e32 v159, v155
	ds_load_2addr_b64 v[154:157], v190 offset0:16 offset1:17
	v_pk_add_f32 v[56:57], v[56:57], v[158:159] neg_lo:[0,1] neg_hi:[0,1]
	s_wait_dscnt 0x0
	v_pk_mul_f32 v[158:159], v[154:155], v[152:153] op_sel:[0,1]
	s_delay_alu instid0(VALU_DEP_1) | instskip(SKIP_1) | instid1(VALU_DEP_1)
	v_pk_fma_f32 v[160:161], v[154:155], v[150:151], v[158:159] op_sel:[0,0,1] op_sel_hi:[1,1,0] neg_lo:[0,0,1] neg_hi:[0,0,1]
	v_pk_fma_f32 v[154:155], v[154:155], v[150:151], v[158:159] op_sel:[0,0,1] op_sel_hi:[1,0,0]
	v_mov_b32_e32 v161, v155
	v_pk_mul_f32 v[154:155], v[156:157], v[152:153] op_sel:[0,1]
	s_delay_alu instid0(VALU_DEP_1) | instskip(SKIP_1) | instid1(VALU_DEP_1)
	v_pk_fma_f32 v[158:159], v[156:157], v[150:151], v[154:155] op_sel:[0,0,1] op_sel_hi:[1,1,0] neg_lo:[0,0,1] neg_hi:[0,0,1]
	v_pk_fma_f32 v[154:155], v[156:157], v[150:151], v[154:155] op_sel:[0,0,1] op_sel_hi:[1,0,0]
	v_mov_b32_e32 v159, v155
	ds_load_2addr_b64 v[154:157], v190 offset0:18 offset1:19
	v_pk_add_f32 v[78:79], v[78:79], v[160:161] neg_lo:[0,1] neg_hi:[0,1]
	v_pk_add_f32 v[74:75], v[74:75], v[158:159] neg_lo:[0,1] neg_hi:[0,1]
	s_wait_dscnt 0x0
	v_pk_mul_f32 v[158:159], v[154:155], v[152:153] op_sel:[0,1]
	s_delay_alu instid0(VALU_DEP_1) | instskip(SKIP_1) | instid1(VALU_DEP_1)
	v_pk_fma_f32 v[160:161], v[154:155], v[150:151], v[158:159] op_sel:[0,0,1] op_sel_hi:[1,1,0] neg_lo:[0,0,1] neg_hi:[0,0,1]
	v_pk_fma_f32 v[154:155], v[154:155], v[150:151], v[158:159] op_sel:[0,0,1] op_sel_hi:[1,0,0]
	v_mov_b32_e32 v161, v155
	v_pk_mul_f32 v[154:155], v[156:157], v[152:153] op_sel:[0,1]
	s_delay_alu instid0(VALU_DEP_1) | instskip(SKIP_1) | instid1(VALU_DEP_1)
	v_pk_fma_f32 v[158:159], v[156:157], v[150:151], v[154:155] op_sel:[0,0,1] op_sel_hi:[1,1,0] neg_lo:[0,0,1] neg_hi:[0,0,1]
	v_pk_fma_f32 v[154:155], v[156:157], v[150:151], v[154:155] op_sel:[0,0,1] op_sel_hi:[1,0,0]
	v_mov_b32_e32 v159, v155
	ds_load_2addr_b64 v[154:157], v190 offset0:20 offset1:21
	v_pk_add_f32 v[76:77], v[76:77], v[160:161] neg_lo:[0,1] neg_hi:[0,1]
	v_pk_add_f32 v[72:73], v[72:73], v[158:159] neg_lo:[0,1] neg_hi:[0,1]
	s_wait_dscnt 0x0
	v_dual_mul_f32 v158, v155, v153 :: v_dual_mul_f32 v160, v155, v150
	s_delay_alu instid0(VALU_DEP_1) | instskip(NEXT) | instid1(VALU_DEP_2)
	v_pk_fma_f32 v[158:159], v[154:155], v[36:37], v[158:159] op_sel_hi:[1,1,0] neg_lo:[0,0,1] neg_hi:[0,0,1]
	v_pk_fma_f32 v[154:155], v[154:155], v[36:37], v[160:161] op_sel:[1,0,0] op_sel_hi:[0,1,0]
	s_delay_alu instid0(VALU_DEP_1) | instskip(SKIP_1) | instid1(VALU_DEP_2)
	v_mov_b32_e32 v159, v155
	v_pk_mul_f32 v[154:155], v[156:157], v[152:153] op_sel:[0,1]
	v_pk_add_f32 v[100:101], v[100:101], v[158:159] neg_lo:[0,1] neg_hi:[0,1]
	s_delay_alu instid0(VALU_DEP_2) | instskip(SKIP_1) | instid1(VALU_DEP_1)
	v_pk_fma_f32 v[158:159], v[156:157], v[150:151], v[154:155] op_sel:[0,0,1] op_sel_hi:[1,1,0] neg_lo:[0,0,1] neg_hi:[0,0,1]
	v_pk_fma_f32 v[154:155], v[156:157], v[150:151], v[154:155] op_sel:[0,0,1] op_sel_hi:[1,0,0]
	v_mov_b32_e32 v159, v155
	ds_load_2addr_b64 v[154:157], v190 offset0:22 offset1:23
	v_pk_add_f32 v[96:97], v[96:97], v[158:159] neg_lo:[0,1] neg_hi:[0,1]
	s_wait_dscnt 0x0
	v_pk_mul_f32 v[158:159], v[154:155], v[152:153] op_sel:[0,1]
	s_delay_alu instid0(VALU_DEP_1) | instskip(SKIP_1) | instid1(VALU_DEP_1)
	v_pk_fma_f32 v[160:161], v[154:155], v[150:151], v[158:159] op_sel:[0,0,1] op_sel_hi:[1,1,0] neg_lo:[0,0,1] neg_hi:[0,0,1]
	v_pk_fma_f32 v[154:155], v[154:155], v[150:151], v[158:159] op_sel:[0,0,1] op_sel_hi:[1,0,0]
	v_mov_b32_e32 v161, v155
	v_pk_mul_f32 v[154:155], v[156:157], v[152:153] op_sel:[0,1]
	s_delay_alu instid0(VALU_DEP_2) | instskip(NEXT) | instid1(VALU_DEP_2)
	v_pk_add_f32 v[98:99], v[98:99], v[160:161] neg_lo:[0,1] neg_hi:[0,1]
	v_pk_fma_f32 v[158:159], v[156:157], v[150:151], v[154:155] op_sel:[0,0,1] op_sel_hi:[1,1,0] neg_lo:[0,0,1] neg_hi:[0,0,1]
	v_pk_fma_f32 v[154:155], v[156:157], v[150:151], v[154:155] op_sel:[0,0,1] op_sel_hi:[1,0,0]
	s_delay_alu instid0(VALU_DEP_1) | instskip(SKIP_4) | instid1(VALU_DEP_1)
	v_mov_b32_e32 v159, v155
	ds_load_2addr_b64 v[154:157], v190 offset0:24 offset1:25
	v_pk_add_f32 v[94:95], v[94:95], v[158:159] neg_lo:[0,1] neg_hi:[0,1]
	s_wait_dscnt 0x0
	v_pk_mul_f32 v[158:159], v[154:155], v[152:153] op_sel:[0,1]
	v_pk_fma_f32 v[160:161], v[154:155], v[150:151], v[158:159] op_sel:[0,0,1] op_sel_hi:[1,1,0] neg_lo:[0,0,1] neg_hi:[0,0,1]
	v_pk_fma_f32 v[154:155], v[154:155], v[150:151], v[158:159] op_sel:[0,0,1] op_sel_hi:[1,0,0]
	v_dual_mul_f32 v158, v157, v153 :: v_dual_mov_b32 v154, v157
	s_delay_alu instid0(VALU_DEP_2) | instskip(NEXT) | instid1(VALU_DEP_2)
	v_dual_mov_b32 v161, v155 :: v_dual_mov_b32 v155, v156
	v_pk_fma_f32 v[158:159], v[156:157], v[36:37], v[158:159] op_sel_hi:[1,1,0] neg_lo:[0,0,1] neg_hi:[0,0,1]
	v_mul_f32_e32 v156, v157, v150
	s_delay_alu instid0(VALU_DEP_3) | instskip(NEXT) | instid1(VALU_DEP_2)
	v_pk_add_f32 v[116:117], v[116:117], v[160:161] neg_lo:[0,1] neg_hi:[0,1]
	v_pk_fma_f32 v[154:155], v[154:155], v[36:37], v[156:157] op_sel_hi:[1,1,0]
	s_delay_alu instid0(VALU_DEP_1) | instskip(SKIP_4) | instid1(VALU_DEP_1)
	v_mov_b32_e32 v159, v155
	ds_load_2addr_b64 v[154:157], v190 offset0:26 offset1:27
	v_pk_add_f32 v[112:113], v[112:113], v[158:159] neg_lo:[0,1] neg_hi:[0,1]
	s_wait_dscnt 0x0
	v_pk_mul_f32 v[158:159], v[154:155], v[152:153] op_sel:[0,1]
	v_pk_fma_f32 v[160:161], v[154:155], v[150:151], v[158:159] op_sel:[0,0,1] op_sel_hi:[1,1,0] neg_lo:[0,0,1] neg_hi:[0,0,1]
	v_pk_fma_f32 v[154:155], v[154:155], v[150:151], v[158:159] op_sel:[0,0,1] op_sel_hi:[1,0,0]
	s_delay_alu instid0(VALU_DEP_1) | instskip(SKIP_1) | instid1(VALU_DEP_1)
	v_mov_b32_e32 v161, v155
	v_pk_mul_f32 v[154:155], v[156:157], v[152:153] op_sel:[0,1]
	v_pk_fma_f32 v[158:159], v[156:157], v[150:151], v[154:155] op_sel:[0,0,1] op_sel_hi:[1,1,0] neg_lo:[0,0,1] neg_hi:[0,0,1]
	v_pk_fma_f32 v[154:155], v[156:157], v[150:151], v[154:155] op_sel:[0,0,1] op_sel_hi:[1,0,0]
	s_delay_alu instid0(VALU_DEP_1)
	v_mov_b32_e32 v159, v155
	ds_load_2addr_b64 v[154:157], v190 offset0:28 offset1:29
	v_pk_add_f32 v[114:115], v[114:115], v[160:161] neg_lo:[0,1] neg_hi:[0,1]
	v_pk_add_f32 v[122:123], v[122:123], v[158:159] neg_lo:[0,1] neg_hi:[0,1]
	s_wait_dscnt 0x0
	v_pk_mul_f32 v[158:159], v[154:155], v[152:153] op_sel:[0,1]
	s_delay_alu instid0(VALU_DEP_1) | instskip(SKIP_1) | instid1(VALU_DEP_1)
	v_pk_fma_f32 v[160:161], v[154:155], v[150:151], v[158:159] op_sel:[0,0,1] op_sel_hi:[1,1,0] neg_lo:[0,0,1] neg_hi:[0,0,1]
	v_pk_fma_f32 v[154:155], v[154:155], v[150:151], v[158:159] op_sel:[0,0,1] op_sel_hi:[1,0,0]
	v_mov_b32_e32 v161, v155
	v_pk_mul_f32 v[154:155], v[156:157], v[152:153] op_sel:[0,1]
	s_delay_alu instid0(VALU_DEP_1) | instskip(SKIP_1) | instid1(VALU_DEP_1)
	v_pk_fma_f32 v[158:159], v[156:157], v[150:151], v[154:155] op_sel:[0,0,1] op_sel_hi:[1,1,0] neg_lo:[0,0,1] neg_hi:[0,0,1]
	v_pk_fma_f32 v[154:155], v[156:157], v[150:151], v[154:155] op_sel:[0,0,1] op_sel_hi:[1,0,0]
	v_mov_b32_e32 v159, v155
	ds_load_b64 v[154:155], v190 offset:240
	v_pk_add_f32 v[120:121], v[120:121], v[160:161] neg_lo:[0,1] neg_hi:[0,1]
	v_pk_add_f32 v[118:119], v[118:119], v[158:159] neg_lo:[0,1] neg_hi:[0,1]
	s_wait_dscnt 0x0
	v_pk_mul_f32 v[152:153], v[154:155], v[152:153] op_sel:[0,1]
	s_delay_alu instid0(VALU_DEP_1) | instskip(SKIP_1) | instid1(VALU_DEP_1)
	v_pk_fma_f32 v[156:157], v[154:155], v[150:151], v[152:153] op_sel:[0,0,1] op_sel_hi:[1,1,0] neg_lo:[0,0,1] neg_hi:[0,0,1]
	v_pk_fma_f32 v[150:151], v[154:155], v[150:151], v[152:153] op_sel:[0,0,1] op_sel_hi:[1,0,0]
	v_mov_b32_e32 v157, v151
	s_delay_alu instid0(VALU_DEP_1)
	v_pk_add_f32 v[124:125], v[124:125], v[156:157] neg_lo:[0,1] neg_hi:[0,1]
.LBB61_109:
	s_or_b32 exec_lo, exec_lo, s1
	s_delay_alu instid0(SALU_CYCLE_1)
	s_mov_b32 s2, exec_lo
	s_wait_dscnt 0x0
	s_barrier_signal -1
	s_barrier_wait -1
	v_cmpx_eq_u32_e32 12, v188
	s_cbranch_execz .LBB61_116
; %bb.110:
	ds_store_b64 v189, v[62:63]
	ds_store_2addr_b64 v190, v[58:59], v[60:61] offset0:13 offset1:14
	ds_store_2addr_b64 v190, v[56:57], v[78:79] offset0:15 offset1:16
	;; [unrolled: 1-line block ×9, first 2 shown]
	ds_load_b64 v[150:151], v189
	s_wait_dscnt 0x0
	v_cmp_neq_f32_e32 vcc_lo, 0, v150
	v_cmp_neq_f32_e64 s1, 0, v151
	s_or_b32 s1, vcc_lo, s1
	s_delay_alu instid0(SALU_CYCLE_1)
	s_and_b32 exec_lo, exec_lo, s1
	s_cbranch_execz .LBB61_116
; %bb.111:
	v_cmp_ngt_f32_e64 s1, |v150|, |v151|
                                        ; implicit-def: $vgpr152_vgpr153
	s_and_saveexec_b32 s4, s1
	s_delay_alu instid0(SALU_CYCLE_1)
	s_xor_b32 s1, exec_lo, s4
	s_cbranch_execz .LBB61_113
; %bb.112:
	v_div_scale_f32 v152, null, v151, v151, v150
	v_div_scale_f32 v155, vcc_lo, v150, v151, v150
	s_delay_alu instid0(VALU_DEP_2) | instskip(SKIP_1) | instid1(TRANS32_DEP_1)
	v_rcp_f32_e32 v153, v152
	v_nop
	v_fma_f32 v154, -v152, v153, 1.0
	s_delay_alu instid0(VALU_DEP_1) | instskip(NEXT) | instid1(VALU_DEP_1)
	v_fmac_f32_e32 v153, v154, v153
	v_mul_f32_e32 v154, v155, v153
	s_delay_alu instid0(VALU_DEP_1) | instskip(NEXT) | instid1(VALU_DEP_1)
	v_fma_f32 v156, -v152, v154, v155
	v_fmac_f32_e32 v154, v156, v153
	s_delay_alu instid0(VALU_DEP_1) | instskip(NEXT) | instid1(VALU_DEP_1)
	v_fma_f32 v152, -v152, v154, v155
	v_div_fmas_f32 v152, v152, v153, v154
	s_delay_alu instid0(VALU_DEP_1) | instskip(NEXT) | instid1(VALU_DEP_1)
	v_div_fixup_f32 v152, v152, v151, v150
	v_fmac_f32_e32 v151, v150, v152
	s_delay_alu instid0(VALU_DEP_1) | instskip(SKIP_1) | instid1(VALU_DEP_2)
	v_div_scale_f32 v150, null, v151, v151, 1.0
	v_div_scale_f32 v155, vcc_lo, 1.0, v151, 1.0
	v_rcp_f32_e32 v153, v150
	v_nop
	s_delay_alu instid0(TRANS32_DEP_1) | instskip(NEXT) | instid1(VALU_DEP_1)
	v_fma_f32 v154, -v150, v153, 1.0
	v_fmac_f32_e32 v153, v154, v153
	s_delay_alu instid0(VALU_DEP_1) | instskip(NEXT) | instid1(VALU_DEP_1)
	v_mul_f32_e32 v154, v155, v153
	v_fma_f32 v156, -v150, v154, v155
	s_delay_alu instid0(VALU_DEP_1) | instskip(NEXT) | instid1(VALU_DEP_1)
	v_fmac_f32_e32 v154, v156, v153
	v_fma_f32 v150, -v150, v154, v155
	s_delay_alu instid0(VALU_DEP_1) | instskip(NEXT) | instid1(VALU_DEP_1)
	v_div_fmas_f32 v150, v150, v153, v154
	v_div_fixup_f32 v150, v150, v151, 1.0
	s_delay_alu instid0(VALU_DEP_1)
	v_mul_f32_e32 v152, v152, v150
	v_xor_b32_e32 v153, 0x80000000, v150
                                        ; implicit-def: $vgpr150_vgpr151
.LBB61_113:
	s_and_not1_saveexec_b32 s1, s1
	s_cbranch_execz .LBB61_115
; %bb.114:
	v_div_scale_f32 v152, null, v150, v150, v151
	v_div_scale_f32 v155, vcc_lo, v151, v150, v151
	s_delay_alu instid0(VALU_DEP_2) | instskip(SKIP_1) | instid1(TRANS32_DEP_1)
	v_rcp_f32_e32 v153, v152
	v_nop
	v_fma_f32 v154, -v152, v153, 1.0
	s_delay_alu instid0(VALU_DEP_1) | instskip(NEXT) | instid1(VALU_DEP_1)
	v_fmac_f32_e32 v153, v154, v153
	v_mul_f32_e32 v154, v155, v153
	s_delay_alu instid0(VALU_DEP_1) | instskip(NEXT) | instid1(VALU_DEP_1)
	v_fma_f32 v156, -v152, v154, v155
	v_fmac_f32_e32 v154, v156, v153
	s_delay_alu instid0(VALU_DEP_1) | instskip(NEXT) | instid1(VALU_DEP_1)
	v_fma_f32 v152, -v152, v154, v155
	v_div_fmas_f32 v152, v152, v153, v154
	s_delay_alu instid0(VALU_DEP_1) | instskip(NEXT) | instid1(VALU_DEP_1)
	v_div_fixup_f32 v153, v152, v150, v151
	v_fmac_f32_e32 v150, v151, v153
	s_delay_alu instid0(VALU_DEP_1) | instskip(NEXT) | instid1(VALU_DEP_1)
	v_div_scale_f32 v151, null, v150, v150, 1.0
	v_rcp_f32_e32 v152, v151
	v_nop
	s_delay_alu instid0(TRANS32_DEP_1) | instskip(NEXT) | instid1(VALU_DEP_1)
	v_fma_f32 v154, -v151, v152, 1.0
	v_fmac_f32_e32 v152, v154, v152
	v_div_scale_f32 v154, vcc_lo, 1.0, v150, 1.0
	s_delay_alu instid0(VALU_DEP_1) | instskip(NEXT) | instid1(VALU_DEP_1)
	v_mul_f32_e32 v155, v154, v152
	v_fma_f32 v156, -v151, v155, v154
	s_delay_alu instid0(VALU_DEP_1) | instskip(NEXT) | instid1(VALU_DEP_1)
	v_fmac_f32_e32 v155, v156, v152
	v_fma_f32 v151, -v151, v155, v154
	s_delay_alu instid0(VALU_DEP_1) | instskip(NEXT) | instid1(VALU_DEP_1)
	v_div_fmas_f32 v151, v151, v152, v155
	v_div_fixup_f32 v152, v151, v150, 1.0
	s_delay_alu instid0(VALU_DEP_1)
	v_mul_f32_e64 v153, v153, -v152
.LBB61_115:
	s_or_b32 exec_lo, exec_lo, s1
	ds_store_b64 v189, v[152:153]
.LBB61_116:
	s_or_b32 exec_lo, exec_lo, s2
	s_wait_dscnt 0x0
	s_barrier_signal -1
	s_barrier_wait -1
	ds_load_b64 v[150:151], v189
	s_mov_b32 s1, exec_lo
	v_cmpx_lt_u32_e32 12, v188
	s_cbranch_execz .LBB61_118
; %bb.117:
	ds_load_2addr_b64 v[156:159], v190 offset0:13 offset1:14
	s_wait_dscnt 0x1
	v_pk_mul_f32 v[154:155], v[150:151], v[62:63] op_sel:[1,1] op_sel_hi:[0,1]
	s_delay_alu instid0(VALU_DEP_1) | instskip(SKIP_1) | instid1(VALU_DEP_1)
	v_pk_fma_f32 v[152:153], v[150:151], v[62:63], v[154:155] op_sel_hi:[1,0,1] neg_lo:[0,0,1] neg_hi:[0,0,1]
	v_pk_fma_f32 v[154:155], v[150:151], v[62:63], v[154:155] op_sel_hi:[1,0,1]
	v_dual_mov_b32 v62, v152 :: v_dual_mov_b32 v63, v155
	s_wait_dscnt 0x0
	s_delay_alu instid0(VALU_DEP_2) | instskip(NEXT) | instid1(VALU_DEP_1)
	v_pk_mul_f32 v[160:161], v[156:157], v[154:155] op_sel:[0,1]
	v_pk_fma_f32 v[162:163], v[156:157], v[152:153], v[160:161] op_sel:[0,0,1] op_sel_hi:[1,1,0] neg_lo:[0,0,1] neg_hi:[0,0,1]
	v_pk_fma_f32 v[156:157], v[156:157], v[152:153], v[160:161] op_sel:[0,0,1] op_sel_hi:[1,0,0]
	s_delay_alu instid0(VALU_DEP_1) | instskip(SKIP_1) | instid1(VALU_DEP_1)
	v_mov_b32_e32 v163, v157
	v_pk_mul_f32 v[156:157], v[158:159], v[154:155] op_sel:[0,1]
	v_pk_fma_f32 v[160:161], v[158:159], v[152:153], v[156:157] op_sel:[0,0,1] op_sel_hi:[1,1,0] neg_lo:[0,0,1] neg_hi:[0,0,1]
	v_pk_fma_f32 v[156:157], v[158:159], v[152:153], v[156:157] op_sel:[0,0,1] op_sel_hi:[1,0,0]
	s_delay_alu instid0(VALU_DEP_1)
	v_mov_b32_e32 v161, v157
	ds_load_2addr_b64 v[156:159], v190 offset0:15 offset1:16
	v_pk_add_f32 v[58:59], v[58:59], v[162:163] neg_lo:[0,1] neg_hi:[0,1]
	v_pk_add_f32 v[60:61], v[60:61], v[160:161] neg_lo:[0,1] neg_hi:[0,1]
	s_wait_dscnt 0x0
	v_pk_mul_f32 v[160:161], v[156:157], v[154:155] op_sel:[0,1]
	s_delay_alu instid0(VALU_DEP_1) | instskip(SKIP_2) | instid1(VALU_DEP_2)
	v_pk_fma_f32 v[162:163], v[156:157], v[152:153], v[160:161] op_sel:[0,0,1] op_sel_hi:[1,1,0] neg_lo:[0,0,1] neg_hi:[0,0,1]
	v_pk_fma_f32 v[156:157], v[156:157], v[152:153], v[160:161] op_sel:[0,0,1] op_sel_hi:[1,0,0]
	v_dual_mul_f32 v160, v159, v155 :: v_dual_mov_b32 v156, v159
	v_dual_mov_b32 v163, v157 :: v_dual_mov_b32 v157, v158
	s_delay_alu instid0(VALU_DEP_2) | instskip(SKIP_1) | instid1(VALU_DEP_3)
	v_pk_fma_f32 v[160:161], v[158:159], v[62:63], v[160:161] op_sel_hi:[1,1,0] neg_lo:[0,0,1] neg_hi:[0,0,1]
	v_mul_f32_e32 v158, v159, v152
	v_pk_add_f32 v[56:57], v[56:57], v[162:163] neg_lo:[0,1] neg_hi:[0,1]
	s_delay_alu instid0(VALU_DEP_2) | instskip(NEXT) | instid1(VALU_DEP_1)
	v_pk_fma_f32 v[156:157], v[156:157], v[62:63], v[158:159] op_sel_hi:[1,1,0]
	v_mov_b32_e32 v161, v157
	ds_load_2addr_b64 v[156:159], v190 offset0:17 offset1:18
	v_pk_add_f32 v[78:79], v[78:79], v[160:161] neg_lo:[0,1] neg_hi:[0,1]
	s_wait_dscnt 0x0
	v_pk_mul_f32 v[160:161], v[156:157], v[154:155] op_sel:[0,1]
	s_delay_alu instid0(VALU_DEP_1) | instskip(SKIP_1) | instid1(VALU_DEP_1)
	v_pk_fma_f32 v[162:163], v[156:157], v[152:153], v[160:161] op_sel:[0,0,1] op_sel_hi:[1,1,0] neg_lo:[0,0,1] neg_hi:[0,0,1]
	v_pk_fma_f32 v[156:157], v[156:157], v[152:153], v[160:161] op_sel:[0,0,1] op_sel_hi:[1,0,0]
	v_mov_b32_e32 v163, v157
	v_pk_mul_f32 v[156:157], v[158:159], v[154:155] op_sel:[0,1]
	s_delay_alu instid0(VALU_DEP_1) | instskip(SKIP_1) | instid1(VALU_DEP_1)
	v_pk_fma_f32 v[160:161], v[158:159], v[152:153], v[156:157] op_sel:[0,0,1] op_sel_hi:[1,1,0] neg_lo:[0,0,1] neg_hi:[0,0,1]
	v_pk_fma_f32 v[156:157], v[158:159], v[152:153], v[156:157] op_sel:[0,0,1] op_sel_hi:[1,0,0]
	v_mov_b32_e32 v161, v157
	ds_load_2addr_b64 v[156:159], v190 offset0:19 offset1:20
	v_pk_add_f32 v[74:75], v[74:75], v[162:163] neg_lo:[0,1] neg_hi:[0,1]
	v_pk_add_f32 v[76:77], v[76:77], v[160:161] neg_lo:[0,1] neg_hi:[0,1]
	s_wait_dscnt 0x0
	v_pk_mul_f32 v[160:161], v[156:157], v[154:155] op_sel:[0,1]
	s_delay_alu instid0(VALU_DEP_1) | instskip(SKIP_1) | instid1(VALU_DEP_1)
	v_pk_fma_f32 v[162:163], v[156:157], v[152:153], v[160:161] op_sel:[0,0,1] op_sel_hi:[1,1,0] neg_lo:[0,0,1] neg_hi:[0,0,1]
	v_pk_fma_f32 v[156:157], v[156:157], v[152:153], v[160:161] op_sel:[0,0,1] op_sel_hi:[1,0,0]
	v_mov_b32_e32 v163, v157
	v_pk_mul_f32 v[156:157], v[158:159], v[154:155] op_sel:[0,1]
	s_delay_alu instid0(VALU_DEP_1) | instskip(SKIP_1) | instid1(VALU_DEP_1)
	v_pk_fma_f32 v[160:161], v[158:159], v[152:153], v[156:157] op_sel:[0,0,1] op_sel_hi:[1,1,0] neg_lo:[0,0,1] neg_hi:[0,0,1]
	v_pk_fma_f32 v[156:157], v[158:159], v[152:153], v[156:157] op_sel:[0,0,1] op_sel_hi:[1,0,0]
	v_mov_b32_e32 v161, v157
	ds_load_2addr_b64 v[156:159], v190 offset0:21 offset1:22
	v_pk_add_f32 v[72:73], v[72:73], v[162:163] neg_lo:[0,1] neg_hi:[0,1]
	v_pk_add_f32 v[100:101], v[100:101], v[160:161] neg_lo:[0,1] neg_hi:[0,1]
	s_wait_dscnt 0x0
	v_dual_mul_f32 v160, v157, v155 :: v_dual_mul_f32 v162, v157, v152
	s_delay_alu instid0(VALU_DEP_1) | instskip(NEXT) | instid1(VALU_DEP_2)
	v_pk_fma_f32 v[160:161], v[156:157], v[62:63], v[160:161] op_sel_hi:[1,1,0] neg_lo:[0,0,1] neg_hi:[0,0,1]
	v_pk_fma_f32 v[156:157], v[156:157], v[62:63], v[162:163] op_sel:[1,0,0] op_sel_hi:[0,1,0]
	s_delay_alu instid0(VALU_DEP_1) | instskip(SKIP_1) | instid1(VALU_DEP_2)
	v_mov_b32_e32 v161, v157
	v_pk_mul_f32 v[156:157], v[158:159], v[154:155] op_sel:[0,1]
	v_pk_add_f32 v[96:97], v[96:97], v[160:161] neg_lo:[0,1] neg_hi:[0,1]
	s_delay_alu instid0(VALU_DEP_2) | instskip(SKIP_1) | instid1(VALU_DEP_1)
	v_pk_fma_f32 v[160:161], v[158:159], v[152:153], v[156:157] op_sel:[0,0,1] op_sel_hi:[1,1,0] neg_lo:[0,0,1] neg_hi:[0,0,1]
	v_pk_fma_f32 v[156:157], v[158:159], v[152:153], v[156:157] op_sel:[0,0,1] op_sel_hi:[1,0,0]
	v_mov_b32_e32 v161, v157
	ds_load_2addr_b64 v[156:159], v190 offset0:23 offset1:24
	v_pk_add_f32 v[98:99], v[98:99], v[160:161] neg_lo:[0,1] neg_hi:[0,1]
	s_wait_dscnt 0x0
	v_pk_mul_f32 v[160:161], v[156:157], v[154:155] op_sel:[0,1]
	s_delay_alu instid0(VALU_DEP_1) | instskip(SKIP_1) | instid1(VALU_DEP_1)
	v_pk_fma_f32 v[162:163], v[156:157], v[152:153], v[160:161] op_sel:[0,0,1] op_sel_hi:[1,1,0] neg_lo:[0,0,1] neg_hi:[0,0,1]
	v_pk_fma_f32 v[156:157], v[156:157], v[152:153], v[160:161] op_sel:[0,0,1] op_sel_hi:[1,0,0]
	v_mov_b32_e32 v163, v157
	v_pk_mul_f32 v[156:157], v[158:159], v[154:155] op_sel:[0,1]
	s_delay_alu instid0(VALU_DEP_2) | instskip(NEXT) | instid1(VALU_DEP_2)
	v_pk_add_f32 v[94:95], v[94:95], v[162:163] neg_lo:[0,1] neg_hi:[0,1]
	v_pk_fma_f32 v[160:161], v[158:159], v[152:153], v[156:157] op_sel:[0,0,1] op_sel_hi:[1,1,0] neg_lo:[0,0,1] neg_hi:[0,0,1]
	v_pk_fma_f32 v[156:157], v[158:159], v[152:153], v[156:157] op_sel:[0,0,1] op_sel_hi:[1,0,0]
	s_delay_alu instid0(VALU_DEP_1) | instskip(SKIP_4) | instid1(VALU_DEP_1)
	v_mov_b32_e32 v161, v157
	ds_load_2addr_b64 v[156:159], v190 offset0:25 offset1:26
	v_pk_add_f32 v[116:117], v[116:117], v[160:161] neg_lo:[0,1] neg_hi:[0,1]
	s_wait_dscnt 0x0
	v_pk_mul_f32 v[160:161], v[156:157], v[154:155] op_sel:[0,1]
	v_pk_fma_f32 v[162:163], v[156:157], v[152:153], v[160:161] op_sel:[0,0,1] op_sel_hi:[1,1,0] neg_lo:[0,0,1] neg_hi:[0,0,1]
	v_pk_fma_f32 v[156:157], v[156:157], v[152:153], v[160:161] op_sel:[0,0,1] op_sel_hi:[1,0,0]
	v_dual_mul_f32 v160, v159, v155 :: v_dual_mov_b32 v156, v159
	s_delay_alu instid0(VALU_DEP_2) | instskip(NEXT) | instid1(VALU_DEP_2)
	v_dual_mov_b32 v163, v157 :: v_dual_mov_b32 v157, v158
	v_pk_fma_f32 v[160:161], v[158:159], v[62:63], v[160:161] op_sel_hi:[1,1,0] neg_lo:[0,0,1] neg_hi:[0,0,1]
	v_mul_f32_e32 v158, v159, v152
	s_delay_alu instid0(VALU_DEP_3) | instskip(NEXT) | instid1(VALU_DEP_2)
	v_pk_add_f32 v[112:113], v[112:113], v[162:163] neg_lo:[0,1] neg_hi:[0,1]
	v_pk_fma_f32 v[156:157], v[156:157], v[62:63], v[158:159] op_sel_hi:[1,1,0]
	s_delay_alu instid0(VALU_DEP_1) | instskip(SKIP_4) | instid1(VALU_DEP_1)
	v_mov_b32_e32 v161, v157
	ds_load_2addr_b64 v[156:159], v190 offset0:27 offset1:28
	v_pk_add_f32 v[114:115], v[114:115], v[160:161] neg_lo:[0,1] neg_hi:[0,1]
	s_wait_dscnt 0x0
	v_pk_mul_f32 v[160:161], v[156:157], v[154:155] op_sel:[0,1]
	v_pk_fma_f32 v[162:163], v[156:157], v[152:153], v[160:161] op_sel:[0,0,1] op_sel_hi:[1,1,0] neg_lo:[0,0,1] neg_hi:[0,0,1]
	v_pk_fma_f32 v[156:157], v[156:157], v[152:153], v[160:161] op_sel:[0,0,1] op_sel_hi:[1,0,0]
	s_delay_alu instid0(VALU_DEP_1) | instskip(SKIP_1) | instid1(VALU_DEP_1)
	v_mov_b32_e32 v163, v157
	v_pk_mul_f32 v[156:157], v[158:159], v[154:155] op_sel:[0,1]
	v_pk_fma_f32 v[160:161], v[158:159], v[152:153], v[156:157] op_sel:[0,0,1] op_sel_hi:[1,1,0] neg_lo:[0,0,1] neg_hi:[0,0,1]
	v_pk_fma_f32 v[156:157], v[158:159], v[152:153], v[156:157] op_sel:[0,0,1] op_sel_hi:[1,0,0]
	s_delay_alu instid0(VALU_DEP_1)
	v_mov_b32_e32 v161, v157
	ds_load_2addr_b64 v[156:159], v190 offset0:29 offset1:30
	v_pk_add_f32 v[122:123], v[122:123], v[162:163] neg_lo:[0,1] neg_hi:[0,1]
	v_pk_add_f32 v[120:121], v[120:121], v[160:161] neg_lo:[0,1] neg_hi:[0,1]
	s_wait_dscnt 0x0
	v_pk_mul_f32 v[160:161], v[156:157], v[154:155] op_sel:[0,1]
	v_mul_f32_e32 v154, v159, v155
	s_delay_alu instid0(VALU_DEP_2) | instskip(SKIP_2) | instid1(VALU_DEP_4)
	v_pk_fma_f32 v[162:163], v[156:157], v[152:153], v[160:161] op_sel:[0,0,1] op_sel_hi:[1,1,0] neg_lo:[0,0,1] neg_hi:[0,0,1]
	v_pk_fma_f32 v[156:157], v[156:157], v[152:153], v[160:161] op_sel:[0,0,1] op_sel_hi:[1,0,0]
	v_dual_mov_b32 v156, v159 :: v_dual_mul_f32 v152, v159, v152
	v_pk_fma_f32 v[154:155], v[158:159], v[62:63], v[154:155] op_sel_hi:[1,1,0] neg_lo:[0,0,1] neg_hi:[0,0,1]
	s_delay_alu instid0(VALU_DEP_3) | instskip(NEXT) | instid1(VALU_DEP_1)
	v_dual_mov_b32 v163, v157 :: v_dual_mov_b32 v157, v158
	v_pk_add_f32 v[118:119], v[118:119], v[162:163] neg_lo:[0,1] neg_hi:[0,1]
	s_delay_alu instid0(VALU_DEP_2) | instskip(NEXT) | instid1(VALU_DEP_1)
	v_pk_fma_f32 v[152:153], v[156:157], v[62:63], v[152:153] op_sel_hi:[1,1,0]
	v_mov_b32_e32 v155, v153
	s_delay_alu instid0(VALU_DEP_1)
	v_pk_add_f32 v[124:125], v[124:125], v[154:155] neg_lo:[0,1] neg_hi:[0,1]
.LBB61_118:
	s_or_b32 exec_lo, exec_lo, s1
	s_delay_alu instid0(SALU_CYCLE_1)
	s_mov_b32 s2, exec_lo
	s_wait_dscnt 0x0
	s_barrier_signal -1
	s_barrier_wait -1
	v_cmpx_eq_u32_e32 13, v188
	s_cbranch_execz .LBB61_125
; %bb.119:
	v_dual_mov_b32 v152, v60 :: v_dual_mov_b32 v153, v61
	v_dual_mov_b32 v154, v56 :: v_dual_mov_b32 v155, v57
	v_dual_mov_b32 v156, v78 :: v_dual_mov_b32 v157, v79
	v_dual_mov_b32 v158, v74 :: v_dual_mov_b32 v159, v75
	ds_store_b64 v189, v[58:59]
	ds_store_2addr_b64 v190, v[152:153], v[154:155] offset0:14 offset1:15
	ds_store_2addr_b64 v190, v[156:157], v[158:159] offset0:16 offset1:17
	v_dual_mov_b32 v152, v76 :: v_dual_mov_b32 v153, v77
	v_dual_mov_b32 v154, v72 :: v_dual_mov_b32 v155, v73
	;; [unrolled: 1-line block ×12, first 2 shown]
	ds_store_2addr_b64 v190, v[152:153], v[154:155] offset0:18 offset1:19
	ds_store_2addr_b64 v190, v[156:157], v[158:159] offset0:20 offset1:21
	;; [unrolled: 1-line block ×6, first 2 shown]
	ds_store_b64 v190, v[124:125] offset:240
	ds_load_b64 v[152:153], v189
	s_wait_dscnt 0x0
	v_cmp_neq_f32_e32 vcc_lo, 0, v152
	v_cmp_neq_f32_e64 s1, 0, v153
	s_or_b32 s1, vcc_lo, s1
	s_delay_alu instid0(SALU_CYCLE_1)
	s_and_b32 exec_lo, exec_lo, s1
	s_cbranch_execz .LBB61_125
; %bb.120:
	v_cmp_ngt_f32_e64 s1, |v152|, |v153|
                                        ; implicit-def: $vgpr154_vgpr155
	s_and_saveexec_b32 s4, s1
	s_delay_alu instid0(SALU_CYCLE_1)
	s_xor_b32 s1, exec_lo, s4
	s_cbranch_execz .LBB61_122
; %bb.121:
	v_div_scale_f32 v154, null, v153, v153, v152
	v_div_scale_f32 v157, vcc_lo, v152, v153, v152
	s_delay_alu instid0(VALU_DEP_2) | instskip(SKIP_1) | instid1(TRANS32_DEP_1)
	v_rcp_f32_e32 v155, v154
	v_nop
	v_fma_f32 v156, -v154, v155, 1.0
	s_delay_alu instid0(VALU_DEP_1) | instskip(NEXT) | instid1(VALU_DEP_1)
	v_fmac_f32_e32 v155, v156, v155
	v_mul_f32_e32 v156, v157, v155
	s_delay_alu instid0(VALU_DEP_1) | instskip(NEXT) | instid1(VALU_DEP_1)
	v_fma_f32 v158, -v154, v156, v157
	v_fmac_f32_e32 v156, v158, v155
	s_delay_alu instid0(VALU_DEP_1) | instskip(NEXT) | instid1(VALU_DEP_1)
	v_fma_f32 v154, -v154, v156, v157
	v_div_fmas_f32 v154, v154, v155, v156
	s_delay_alu instid0(VALU_DEP_1) | instskip(NEXT) | instid1(VALU_DEP_1)
	v_div_fixup_f32 v154, v154, v153, v152
	v_fmac_f32_e32 v153, v152, v154
	s_delay_alu instid0(VALU_DEP_1) | instskip(SKIP_1) | instid1(VALU_DEP_2)
	v_div_scale_f32 v152, null, v153, v153, 1.0
	v_div_scale_f32 v157, vcc_lo, 1.0, v153, 1.0
	v_rcp_f32_e32 v155, v152
	v_nop
	s_delay_alu instid0(TRANS32_DEP_1) | instskip(NEXT) | instid1(VALU_DEP_1)
	v_fma_f32 v156, -v152, v155, 1.0
	v_fmac_f32_e32 v155, v156, v155
	s_delay_alu instid0(VALU_DEP_1) | instskip(NEXT) | instid1(VALU_DEP_1)
	v_mul_f32_e32 v156, v157, v155
	v_fma_f32 v158, -v152, v156, v157
	s_delay_alu instid0(VALU_DEP_1) | instskip(NEXT) | instid1(VALU_DEP_1)
	v_fmac_f32_e32 v156, v158, v155
	v_fma_f32 v152, -v152, v156, v157
	s_delay_alu instid0(VALU_DEP_1) | instskip(NEXT) | instid1(VALU_DEP_1)
	v_div_fmas_f32 v152, v152, v155, v156
	v_div_fixup_f32 v152, v152, v153, 1.0
	s_delay_alu instid0(VALU_DEP_1)
	v_mul_f32_e32 v154, v154, v152
	v_xor_b32_e32 v155, 0x80000000, v152
                                        ; implicit-def: $vgpr152_vgpr153
.LBB61_122:
	s_and_not1_saveexec_b32 s1, s1
	s_cbranch_execz .LBB61_124
; %bb.123:
	v_div_scale_f32 v154, null, v152, v152, v153
	v_div_scale_f32 v157, vcc_lo, v153, v152, v153
	s_delay_alu instid0(VALU_DEP_2) | instskip(SKIP_1) | instid1(TRANS32_DEP_1)
	v_rcp_f32_e32 v155, v154
	v_nop
	v_fma_f32 v156, -v154, v155, 1.0
	s_delay_alu instid0(VALU_DEP_1) | instskip(NEXT) | instid1(VALU_DEP_1)
	v_fmac_f32_e32 v155, v156, v155
	v_mul_f32_e32 v156, v157, v155
	s_delay_alu instid0(VALU_DEP_1) | instskip(NEXT) | instid1(VALU_DEP_1)
	v_fma_f32 v158, -v154, v156, v157
	v_fmac_f32_e32 v156, v158, v155
	s_delay_alu instid0(VALU_DEP_1) | instskip(NEXT) | instid1(VALU_DEP_1)
	v_fma_f32 v154, -v154, v156, v157
	v_div_fmas_f32 v154, v154, v155, v156
	s_delay_alu instid0(VALU_DEP_1) | instskip(NEXT) | instid1(VALU_DEP_1)
	v_div_fixup_f32 v155, v154, v152, v153
	v_fmac_f32_e32 v152, v153, v155
	s_delay_alu instid0(VALU_DEP_1) | instskip(NEXT) | instid1(VALU_DEP_1)
	v_div_scale_f32 v153, null, v152, v152, 1.0
	v_rcp_f32_e32 v154, v153
	v_nop
	s_delay_alu instid0(TRANS32_DEP_1) | instskip(NEXT) | instid1(VALU_DEP_1)
	v_fma_f32 v156, -v153, v154, 1.0
	v_fmac_f32_e32 v154, v156, v154
	v_div_scale_f32 v156, vcc_lo, 1.0, v152, 1.0
	s_delay_alu instid0(VALU_DEP_1) | instskip(NEXT) | instid1(VALU_DEP_1)
	v_mul_f32_e32 v157, v156, v154
	v_fma_f32 v158, -v153, v157, v156
	s_delay_alu instid0(VALU_DEP_1) | instskip(NEXT) | instid1(VALU_DEP_1)
	v_fmac_f32_e32 v157, v158, v154
	v_fma_f32 v153, -v153, v157, v156
	s_delay_alu instid0(VALU_DEP_1) | instskip(NEXT) | instid1(VALU_DEP_1)
	v_div_fmas_f32 v153, v153, v154, v157
	v_div_fixup_f32 v154, v153, v152, 1.0
	s_delay_alu instid0(VALU_DEP_1)
	v_mul_f32_e64 v155, v155, -v154
.LBB61_124:
	s_or_b32 exec_lo, exec_lo, s1
	ds_store_b64 v189, v[154:155]
.LBB61_125:
	s_or_b32 exec_lo, exec_lo, s2
	s_wait_dscnt 0x0
	s_barrier_signal -1
	s_barrier_wait -1
	ds_load_b64 v[152:153], v189
	s_mov_b32 s1, exec_lo
	v_cmpx_lt_u32_e32 13, v188
	s_cbranch_execz .LBB61_127
; %bb.126:
	ds_load_2addr_b64 v[158:161], v190 offset0:14 offset1:15
	s_wait_dscnt 0x1
	v_pk_mul_f32 v[156:157], v[152:153], v[58:59] op_sel:[1,1] op_sel_hi:[0,1]
	s_delay_alu instid0(VALU_DEP_1) | instskip(SKIP_1) | instid1(VALU_DEP_1)
	v_pk_fma_f32 v[154:155], v[152:153], v[58:59], v[156:157] op_sel_hi:[1,0,1] neg_lo:[0,0,1] neg_hi:[0,0,1]
	v_pk_fma_f32 v[156:157], v[152:153], v[58:59], v[156:157] op_sel_hi:[1,0,1]
	v_dual_mov_b32 v58, v154 :: v_dual_mov_b32 v59, v157
	s_wait_dscnt 0x0
	s_delay_alu instid0(VALU_DEP_2) | instskip(NEXT) | instid1(VALU_DEP_1)
	v_pk_mul_f32 v[162:163], v[158:159], v[156:157] op_sel:[0,1]
	v_pk_fma_f32 v[164:165], v[158:159], v[154:155], v[162:163] op_sel:[0,0,1] op_sel_hi:[1,1,0] neg_lo:[0,0,1] neg_hi:[0,0,1]
	v_pk_fma_f32 v[158:159], v[158:159], v[154:155], v[162:163] op_sel:[0,0,1] op_sel_hi:[1,0,0]
	s_delay_alu instid0(VALU_DEP_1) | instskip(SKIP_1) | instid1(VALU_DEP_1)
	v_mov_b32_e32 v165, v159
	v_pk_mul_f32 v[158:159], v[160:161], v[156:157] op_sel:[0,1]
	v_pk_fma_f32 v[162:163], v[160:161], v[154:155], v[158:159] op_sel:[0,0,1] op_sel_hi:[1,1,0] neg_lo:[0,0,1] neg_hi:[0,0,1]
	v_pk_fma_f32 v[158:159], v[160:161], v[154:155], v[158:159] op_sel:[0,0,1] op_sel_hi:[1,0,0]
	s_delay_alu instid0(VALU_DEP_1)
	v_mov_b32_e32 v163, v159
	ds_load_2addr_b64 v[158:161], v190 offset0:16 offset1:17
	v_pk_add_f32 v[60:61], v[60:61], v[164:165] neg_lo:[0,1] neg_hi:[0,1]
	v_pk_add_f32 v[56:57], v[56:57], v[162:163] neg_lo:[0,1] neg_hi:[0,1]
	s_wait_dscnt 0x0
	v_pk_mul_f32 v[162:163], v[158:159], v[156:157] op_sel:[0,1]
	s_delay_alu instid0(VALU_DEP_1) | instskip(SKIP_2) | instid1(VALU_DEP_2)
	v_pk_fma_f32 v[164:165], v[158:159], v[154:155], v[162:163] op_sel:[0,0,1] op_sel_hi:[1,1,0] neg_lo:[0,0,1] neg_hi:[0,0,1]
	v_pk_fma_f32 v[158:159], v[158:159], v[154:155], v[162:163] op_sel:[0,0,1] op_sel_hi:[1,0,0]
	v_dual_mul_f32 v162, v161, v157 :: v_dual_mov_b32 v158, v161
	v_dual_mov_b32 v165, v159 :: v_dual_mov_b32 v159, v160
	s_delay_alu instid0(VALU_DEP_2) | instskip(SKIP_1) | instid1(VALU_DEP_3)
	v_pk_fma_f32 v[162:163], v[160:161], v[58:59], v[162:163] op_sel_hi:[1,1,0] neg_lo:[0,0,1] neg_hi:[0,0,1]
	v_mul_f32_e32 v160, v161, v154
	v_pk_add_f32 v[78:79], v[78:79], v[164:165] neg_lo:[0,1] neg_hi:[0,1]
	s_delay_alu instid0(VALU_DEP_2) | instskip(NEXT) | instid1(VALU_DEP_1)
	v_pk_fma_f32 v[158:159], v[158:159], v[58:59], v[160:161] op_sel_hi:[1,1,0]
	v_mov_b32_e32 v163, v159
	ds_load_2addr_b64 v[158:161], v190 offset0:18 offset1:19
	v_pk_add_f32 v[74:75], v[74:75], v[162:163] neg_lo:[0,1] neg_hi:[0,1]
	s_wait_dscnt 0x0
	v_pk_mul_f32 v[162:163], v[158:159], v[156:157] op_sel:[0,1]
	s_delay_alu instid0(VALU_DEP_1) | instskip(SKIP_1) | instid1(VALU_DEP_1)
	v_pk_fma_f32 v[164:165], v[158:159], v[154:155], v[162:163] op_sel:[0,0,1] op_sel_hi:[1,1,0] neg_lo:[0,0,1] neg_hi:[0,0,1]
	v_pk_fma_f32 v[158:159], v[158:159], v[154:155], v[162:163] op_sel:[0,0,1] op_sel_hi:[1,0,0]
	v_mov_b32_e32 v165, v159
	v_pk_mul_f32 v[158:159], v[160:161], v[156:157] op_sel:[0,1]
	s_delay_alu instid0(VALU_DEP_1) | instskip(SKIP_1) | instid1(VALU_DEP_1)
	v_pk_fma_f32 v[162:163], v[160:161], v[154:155], v[158:159] op_sel:[0,0,1] op_sel_hi:[1,1,0] neg_lo:[0,0,1] neg_hi:[0,0,1]
	v_pk_fma_f32 v[158:159], v[160:161], v[154:155], v[158:159] op_sel:[0,0,1] op_sel_hi:[1,0,0]
	v_mov_b32_e32 v163, v159
	ds_load_2addr_b64 v[158:161], v190 offset0:20 offset1:21
	v_pk_add_f32 v[76:77], v[76:77], v[164:165] neg_lo:[0,1] neg_hi:[0,1]
	v_pk_add_f32 v[72:73], v[72:73], v[162:163] neg_lo:[0,1] neg_hi:[0,1]
	s_wait_dscnt 0x0
	v_pk_mul_f32 v[162:163], v[158:159], v[156:157] op_sel:[0,1]
	s_delay_alu instid0(VALU_DEP_1) | instskip(SKIP_1) | instid1(VALU_DEP_1)
	v_pk_fma_f32 v[164:165], v[158:159], v[154:155], v[162:163] op_sel:[0,0,1] op_sel_hi:[1,1,0] neg_lo:[0,0,1] neg_hi:[0,0,1]
	v_pk_fma_f32 v[158:159], v[158:159], v[154:155], v[162:163] op_sel:[0,0,1] op_sel_hi:[1,0,0]
	v_mov_b32_e32 v165, v159
	v_pk_mul_f32 v[158:159], v[160:161], v[156:157] op_sel:[0,1]
	s_delay_alu instid0(VALU_DEP_1) | instskip(SKIP_1) | instid1(VALU_DEP_1)
	v_pk_fma_f32 v[162:163], v[160:161], v[154:155], v[158:159] op_sel:[0,0,1] op_sel_hi:[1,1,0] neg_lo:[0,0,1] neg_hi:[0,0,1]
	v_pk_fma_f32 v[158:159], v[160:161], v[154:155], v[158:159] op_sel:[0,0,1] op_sel_hi:[1,0,0]
	v_mov_b32_e32 v163, v159
	ds_load_2addr_b64 v[158:161], v190 offset0:22 offset1:23
	v_pk_add_f32 v[100:101], v[100:101], v[164:165] neg_lo:[0,1] neg_hi:[0,1]
	v_pk_add_f32 v[96:97], v[96:97], v[162:163] neg_lo:[0,1] neg_hi:[0,1]
	s_wait_dscnt 0x0
	v_dual_mul_f32 v162, v159, v157 :: v_dual_mul_f32 v164, v159, v154
	s_delay_alu instid0(VALU_DEP_1) | instskip(NEXT) | instid1(VALU_DEP_2)
	v_pk_fma_f32 v[162:163], v[158:159], v[58:59], v[162:163] op_sel_hi:[1,1,0] neg_lo:[0,0,1] neg_hi:[0,0,1]
	v_pk_fma_f32 v[158:159], v[158:159], v[58:59], v[164:165] op_sel:[1,0,0] op_sel_hi:[0,1,0]
	s_delay_alu instid0(VALU_DEP_1) | instskip(SKIP_1) | instid1(VALU_DEP_2)
	v_mov_b32_e32 v163, v159
	v_pk_mul_f32 v[158:159], v[160:161], v[156:157] op_sel:[0,1]
	v_pk_add_f32 v[98:99], v[98:99], v[162:163] neg_lo:[0,1] neg_hi:[0,1]
	s_delay_alu instid0(VALU_DEP_2) | instskip(SKIP_1) | instid1(VALU_DEP_1)
	v_pk_fma_f32 v[162:163], v[160:161], v[154:155], v[158:159] op_sel:[0,0,1] op_sel_hi:[1,1,0] neg_lo:[0,0,1] neg_hi:[0,0,1]
	v_pk_fma_f32 v[158:159], v[160:161], v[154:155], v[158:159] op_sel:[0,0,1] op_sel_hi:[1,0,0]
	v_mov_b32_e32 v163, v159
	ds_load_2addr_b64 v[158:161], v190 offset0:24 offset1:25
	v_pk_add_f32 v[94:95], v[94:95], v[162:163] neg_lo:[0,1] neg_hi:[0,1]
	s_wait_dscnt 0x0
	v_pk_mul_f32 v[162:163], v[158:159], v[156:157] op_sel:[0,1]
	s_delay_alu instid0(VALU_DEP_1) | instskip(SKIP_1) | instid1(VALU_DEP_1)
	v_pk_fma_f32 v[164:165], v[158:159], v[154:155], v[162:163] op_sel:[0,0,1] op_sel_hi:[1,1,0] neg_lo:[0,0,1] neg_hi:[0,0,1]
	v_pk_fma_f32 v[158:159], v[158:159], v[154:155], v[162:163] op_sel:[0,0,1] op_sel_hi:[1,0,0]
	v_mov_b32_e32 v165, v159
	v_pk_mul_f32 v[158:159], v[160:161], v[156:157] op_sel:[0,1]
	s_delay_alu instid0(VALU_DEP_2) | instskip(NEXT) | instid1(VALU_DEP_2)
	v_pk_add_f32 v[116:117], v[116:117], v[164:165] neg_lo:[0,1] neg_hi:[0,1]
	v_pk_fma_f32 v[162:163], v[160:161], v[154:155], v[158:159] op_sel:[0,0,1] op_sel_hi:[1,1,0] neg_lo:[0,0,1] neg_hi:[0,0,1]
	v_pk_fma_f32 v[158:159], v[160:161], v[154:155], v[158:159] op_sel:[0,0,1] op_sel_hi:[1,0,0]
	s_delay_alu instid0(VALU_DEP_1) | instskip(SKIP_4) | instid1(VALU_DEP_1)
	v_mov_b32_e32 v163, v159
	ds_load_2addr_b64 v[158:161], v190 offset0:26 offset1:27
	v_pk_add_f32 v[112:113], v[112:113], v[162:163] neg_lo:[0,1] neg_hi:[0,1]
	s_wait_dscnt 0x0
	v_pk_mul_f32 v[162:163], v[158:159], v[156:157] op_sel:[0,1]
	v_pk_fma_f32 v[164:165], v[158:159], v[154:155], v[162:163] op_sel:[0,0,1] op_sel_hi:[1,1,0] neg_lo:[0,0,1] neg_hi:[0,0,1]
	v_pk_fma_f32 v[158:159], v[158:159], v[154:155], v[162:163] op_sel:[0,0,1] op_sel_hi:[1,0,0]
	v_dual_mul_f32 v162, v161, v157 :: v_dual_mov_b32 v158, v161
	s_delay_alu instid0(VALU_DEP_2) | instskip(NEXT) | instid1(VALU_DEP_2)
	v_dual_mov_b32 v165, v159 :: v_dual_mov_b32 v159, v160
	v_pk_fma_f32 v[162:163], v[160:161], v[58:59], v[162:163] op_sel_hi:[1,1,0] neg_lo:[0,0,1] neg_hi:[0,0,1]
	v_mul_f32_e32 v160, v161, v154
	s_delay_alu instid0(VALU_DEP_3) | instskip(NEXT) | instid1(VALU_DEP_2)
	v_pk_add_f32 v[114:115], v[114:115], v[164:165] neg_lo:[0,1] neg_hi:[0,1]
	v_pk_fma_f32 v[158:159], v[158:159], v[58:59], v[160:161] op_sel_hi:[1,1,0]
	s_delay_alu instid0(VALU_DEP_1) | instskip(SKIP_4) | instid1(VALU_DEP_1)
	v_mov_b32_e32 v163, v159
	ds_load_2addr_b64 v[158:161], v190 offset0:28 offset1:29
	v_pk_add_f32 v[122:123], v[122:123], v[162:163] neg_lo:[0,1] neg_hi:[0,1]
	s_wait_dscnt 0x0
	v_pk_mul_f32 v[162:163], v[158:159], v[156:157] op_sel:[0,1]
	v_pk_fma_f32 v[164:165], v[158:159], v[154:155], v[162:163] op_sel:[0,0,1] op_sel_hi:[1,1,0] neg_lo:[0,0,1] neg_hi:[0,0,1]
	v_pk_fma_f32 v[158:159], v[158:159], v[154:155], v[162:163] op_sel:[0,0,1] op_sel_hi:[1,0,0]
	s_delay_alu instid0(VALU_DEP_1) | instskip(SKIP_1) | instid1(VALU_DEP_1)
	v_mov_b32_e32 v165, v159
	v_pk_mul_f32 v[158:159], v[160:161], v[156:157] op_sel:[0,1]
	v_pk_fma_f32 v[162:163], v[160:161], v[154:155], v[158:159] op_sel:[0,0,1] op_sel_hi:[1,1,0] neg_lo:[0,0,1] neg_hi:[0,0,1]
	v_pk_fma_f32 v[158:159], v[160:161], v[154:155], v[158:159] op_sel:[0,0,1] op_sel_hi:[1,0,0]
	s_delay_alu instid0(VALU_DEP_1)
	v_mov_b32_e32 v163, v159
	ds_load_b64 v[158:159], v190 offset:240
	v_pk_add_f32 v[120:121], v[120:121], v[164:165] neg_lo:[0,1] neg_hi:[0,1]
	v_pk_add_f32 v[118:119], v[118:119], v[162:163] neg_lo:[0,1] neg_hi:[0,1]
	s_wait_dscnt 0x0
	v_pk_mul_f32 v[156:157], v[158:159], v[156:157] op_sel:[0,1]
	s_delay_alu instid0(VALU_DEP_1) | instskip(SKIP_1) | instid1(VALU_DEP_1)
	v_pk_fma_f32 v[160:161], v[158:159], v[154:155], v[156:157] op_sel:[0,0,1] op_sel_hi:[1,1,0] neg_lo:[0,0,1] neg_hi:[0,0,1]
	v_pk_fma_f32 v[154:155], v[158:159], v[154:155], v[156:157] op_sel:[0,0,1] op_sel_hi:[1,0,0]
	v_mov_b32_e32 v161, v155
	s_delay_alu instid0(VALU_DEP_1)
	v_pk_add_f32 v[124:125], v[124:125], v[160:161] neg_lo:[0,1] neg_hi:[0,1]
.LBB61_127:
	s_or_b32 exec_lo, exec_lo, s1
	s_delay_alu instid0(SALU_CYCLE_1)
	s_mov_b32 s2, exec_lo
	s_wait_dscnt 0x0
	s_barrier_signal -1
	s_barrier_wait -1
	v_cmpx_eq_u32_e32 14, v188
	s_cbranch_execz .LBB61_134
; %bb.128:
	ds_store_b64 v189, v[60:61]
	ds_store_2addr_b64 v190, v[56:57], v[78:79] offset0:15 offset1:16
	ds_store_2addr_b64 v190, v[74:75], v[76:77] offset0:17 offset1:18
	;; [unrolled: 1-line block ×8, first 2 shown]
	ds_load_b64 v[154:155], v189
	s_wait_dscnt 0x0
	v_cmp_neq_f32_e32 vcc_lo, 0, v154
	v_cmp_neq_f32_e64 s1, 0, v155
	s_or_b32 s1, vcc_lo, s1
	s_delay_alu instid0(SALU_CYCLE_1)
	s_and_b32 exec_lo, exec_lo, s1
	s_cbranch_execz .LBB61_134
; %bb.129:
	v_cmp_ngt_f32_e64 s1, |v154|, |v155|
                                        ; implicit-def: $vgpr156_vgpr157
	s_and_saveexec_b32 s4, s1
	s_delay_alu instid0(SALU_CYCLE_1)
	s_xor_b32 s1, exec_lo, s4
	s_cbranch_execz .LBB61_131
; %bb.130:
	v_div_scale_f32 v156, null, v155, v155, v154
	v_div_scale_f32 v159, vcc_lo, v154, v155, v154
	s_delay_alu instid0(VALU_DEP_2) | instskip(SKIP_1) | instid1(TRANS32_DEP_1)
	v_rcp_f32_e32 v157, v156
	v_nop
	v_fma_f32 v158, -v156, v157, 1.0
	s_delay_alu instid0(VALU_DEP_1) | instskip(NEXT) | instid1(VALU_DEP_1)
	v_fmac_f32_e32 v157, v158, v157
	v_mul_f32_e32 v158, v159, v157
	s_delay_alu instid0(VALU_DEP_1) | instskip(NEXT) | instid1(VALU_DEP_1)
	v_fma_f32 v160, -v156, v158, v159
	v_fmac_f32_e32 v158, v160, v157
	s_delay_alu instid0(VALU_DEP_1) | instskip(NEXT) | instid1(VALU_DEP_1)
	v_fma_f32 v156, -v156, v158, v159
	v_div_fmas_f32 v156, v156, v157, v158
	s_delay_alu instid0(VALU_DEP_1) | instskip(NEXT) | instid1(VALU_DEP_1)
	v_div_fixup_f32 v156, v156, v155, v154
	v_fmac_f32_e32 v155, v154, v156
	s_delay_alu instid0(VALU_DEP_1) | instskip(SKIP_1) | instid1(VALU_DEP_2)
	v_div_scale_f32 v154, null, v155, v155, 1.0
	v_div_scale_f32 v159, vcc_lo, 1.0, v155, 1.0
	v_rcp_f32_e32 v157, v154
	v_nop
	s_delay_alu instid0(TRANS32_DEP_1) | instskip(NEXT) | instid1(VALU_DEP_1)
	v_fma_f32 v158, -v154, v157, 1.0
	v_fmac_f32_e32 v157, v158, v157
	s_delay_alu instid0(VALU_DEP_1) | instskip(NEXT) | instid1(VALU_DEP_1)
	v_mul_f32_e32 v158, v159, v157
	v_fma_f32 v160, -v154, v158, v159
	s_delay_alu instid0(VALU_DEP_1) | instskip(NEXT) | instid1(VALU_DEP_1)
	v_fmac_f32_e32 v158, v160, v157
	v_fma_f32 v154, -v154, v158, v159
	s_delay_alu instid0(VALU_DEP_1) | instskip(NEXT) | instid1(VALU_DEP_1)
	v_div_fmas_f32 v154, v154, v157, v158
	v_div_fixup_f32 v154, v154, v155, 1.0
	s_delay_alu instid0(VALU_DEP_1)
	v_mul_f32_e32 v156, v156, v154
	v_xor_b32_e32 v157, 0x80000000, v154
                                        ; implicit-def: $vgpr154_vgpr155
.LBB61_131:
	s_and_not1_saveexec_b32 s1, s1
	s_cbranch_execz .LBB61_133
; %bb.132:
	v_div_scale_f32 v156, null, v154, v154, v155
	v_div_scale_f32 v159, vcc_lo, v155, v154, v155
	s_delay_alu instid0(VALU_DEP_2) | instskip(SKIP_1) | instid1(TRANS32_DEP_1)
	v_rcp_f32_e32 v157, v156
	v_nop
	v_fma_f32 v158, -v156, v157, 1.0
	s_delay_alu instid0(VALU_DEP_1) | instskip(NEXT) | instid1(VALU_DEP_1)
	v_fmac_f32_e32 v157, v158, v157
	v_mul_f32_e32 v158, v159, v157
	s_delay_alu instid0(VALU_DEP_1) | instskip(NEXT) | instid1(VALU_DEP_1)
	v_fma_f32 v160, -v156, v158, v159
	v_fmac_f32_e32 v158, v160, v157
	s_delay_alu instid0(VALU_DEP_1) | instskip(NEXT) | instid1(VALU_DEP_1)
	v_fma_f32 v156, -v156, v158, v159
	v_div_fmas_f32 v156, v156, v157, v158
	s_delay_alu instid0(VALU_DEP_1) | instskip(NEXT) | instid1(VALU_DEP_1)
	v_div_fixup_f32 v157, v156, v154, v155
	v_fmac_f32_e32 v154, v155, v157
	s_delay_alu instid0(VALU_DEP_1) | instskip(NEXT) | instid1(VALU_DEP_1)
	v_div_scale_f32 v155, null, v154, v154, 1.0
	v_rcp_f32_e32 v156, v155
	v_nop
	s_delay_alu instid0(TRANS32_DEP_1) | instskip(NEXT) | instid1(VALU_DEP_1)
	v_fma_f32 v158, -v155, v156, 1.0
	v_fmac_f32_e32 v156, v158, v156
	v_div_scale_f32 v158, vcc_lo, 1.0, v154, 1.0
	s_delay_alu instid0(VALU_DEP_1) | instskip(NEXT) | instid1(VALU_DEP_1)
	v_mul_f32_e32 v159, v158, v156
	v_fma_f32 v160, -v155, v159, v158
	s_delay_alu instid0(VALU_DEP_1) | instskip(NEXT) | instid1(VALU_DEP_1)
	v_fmac_f32_e32 v159, v160, v156
	v_fma_f32 v155, -v155, v159, v158
	s_delay_alu instid0(VALU_DEP_1) | instskip(NEXT) | instid1(VALU_DEP_1)
	v_div_fmas_f32 v155, v155, v156, v159
	v_div_fixup_f32 v156, v155, v154, 1.0
	s_delay_alu instid0(VALU_DEP_1)
	v_mul_f32_e64 v157, v157, -v156
.LBB61_133:
	s_or_b32 exec_lo, exec_lo, s1
	ds_store_b64 v189, v[156:157]
.LBB61_134:
	s_or_b32 exec_lo, exec_lo, s2
	s_wait_dscnt 0x0
	s_barrier_signal -1
	s_barrier_wait -1
	ds_load_b64 v[154:155], v189
	s_mov_b32 s1, exec_lo
	v_cmpx_lt_u32_e32 14, v188
	s_cbranch_execz .LBB61_136
; %bb.135:
	ds_load_2addr_b64 v[160:163], v190 offset0:15 offset1:16
	s_wait_dscnt 0x1
	v_pk_mul_f32 v[158:159], v[154:155], v[60:61] op_sel:[1,1] op_sel_hi:[0,1]
	s_delay_alu instid0(VALU_DEP_1) | instskip(SKIP_1) | instid1(VALU_DEP_1)
	v_pk_fma_f32 v[156:157], v[154:155], v[60:61], v[158:159] op_sel_hi:[1,0,1] neg_lo:[0,0,1] neg_hi:[0,0,1]
	v_pk_fma_f32 v[158:159], v[154:155], v[60:61], v[158:159] op_sel_hi:[1,0,1]
	v_dual_mov_b32 v60, v156 :: v_dual_mov_b32 v61, v159
	s_wait_dscnt 0x0
	s_delay_alu instid0(VALU_DEP_2) | instskip(NEXT) | instid1(VALU_DEP_1)
	v_pk_mul_f32 v[164:165], v[160:161], v[158:159] op_sel:[0,1]
	v_pk_fma_f32 v[166:167], v[160:161], v[156:157], v[164:165] op_sel:[0,0,1] op_sel_hi:[1,1,0] neg_lo:[0,0,1] neg_hi:[0,0,1]
	v_pk_fma_f32 v[160:161], v[160:161], v[156:157], v[164:165] op_sel:[0,0,1] op_sel_hi:[1,0,0]
	s_delay_alu instid0(VALU_DEP_1) | instskip(SKIP_1) | instid1(VALU_DEP_1)
	v_mov_b32_e32 v167, v161
	v_pk_mul_f32 v[160:161], v[162:163], v[158:159] op_sel:[0,1]
	v_pk_fma_f32 v[164:165], v[162:163], v[156:157], v[160:161] op_sel:[0,0,1] op_sel_hi:[1,1,0] neg_lo:[0,0,1] neg_hi:[0,0,1]
	v_pk_fma_f32 v[160:161], v[162:163], v[156:157], v[160:161] op_sel:[0,0,1] op_sel_hi:[1,0,0]
	s_delay_alu instid0(VALU_DEP_1)
	v_mov_b32_e32 v165, v161
	ds_load_2addr_b64 v[160:163], v190 offset0:17 offset1:18
	v_pk_add_f32 v[56:57], v[56:57], v[166:167] neg_lo:[0,1] neg_hi:[0,1]
	v_pk_add_f32 v[78:79], v[78:79], v[164:165] neg_lo:[0,1] neg_hi:[0,1]
	s_wait_dscnt 0x0
	v_pk_mul_f32 v[164:165], v[160:161], v[158:159] op_sel:[0,1]
	s_delay_alu instid0(VALU_DEP_1) | instskip(SKIP_2) | instid1(VALU_DEP_2)
	v_pk_fma_f32 v[166:167], v[160:161], v[156:157], v[164:165] op_sel:[0,0,1] op_sel_hi:[1,1,0] neg_lo:[0,0,1] neg_hi:[0,0,1]
	v_pk_fma_f32 v[160:161], v[160:161], v[156:157], v[164:165] op_sel:[0,0,1] op_sel_hi:[1,0,0]
	v_dual_mul_f32 v164, v163, v159 :: v_dual_mov_b32 v160, v163
	v_dual_mov_b32 v167, v161 :: v_dual_mov_b32 v161, v162
	s_delay_alu instid0(VALU_DEP_2) | instskip(SKIP_1) | instid1(VALU_DEP_3)
	v_pk_fma_f32 v[164:165], v[162:163], v[60:61], v[164:165] op_sel_hi:[1,1,0] neg_lo:[0,0,1] neg_hi:[0,0,1]
	v_mul_f32_e32 v162, v163, v156
	v_pk_add_f32 v[74:75], v[74:75], v[166:167] neg_lo:[0,1] neg_hi:[0,1]
	s_delay_alu instid0(VALU_DEP_2) | instskip(NEXT) | instid1(VALU_DEP_1)
	v_pk_fma_f32 v[160:161], v[160:161], v[60:61], v[162:163] op_sel_hi:[1,1,0]
	v_mov_b32_e32 v165, v161
	ds_load_2addr_b64 v[160:163], v190 offset0:19 offset1:20
	v_pk_add_f32 v[76:77], v[76:77], v[164:165] neg_lo:[0,1] neg_hi:[0,1]
	s_wait_dscnt 0x0
	v_pk_mul_f32 v[164:165], v[160:161], v[158:159] op_sel:[0,1]
	s_delay_alu instid0(VALU_DEP_1) | instskip(SKIP_1) | instid1(VALU_DEP_1)
	v_pk_fma_f32 v[166:167], v[160:161], v[156:157], v[164:165] op_sel:[0,0,1] op_sel_hi:[1,1,0] neg_lo:[0,0,1] neg_hi:[0,0,1]
	v_pk_fma_f32 v[160:161], v[160:161], v[156:157], v[164:165] op_sel:[0,0,1] op_sel_hi:[1,0,0]
	v_mov_b32_e32 v167, v161
	v_pk_mul_f32 v[160:161], v[162:163], v[158:159] op_sel:[0,1]
	s_delay_alu instid0(VALU_DEP_1) | instskip(SKIP_1) | instid1(VALU_DEP_1)
	v_pk_fma_f32 v[164:165], v[162:163], v[156:157], v[160:161] op_sel:[0,0,1] op_sel_hi:[1,1,0] neg_lo:[0,0,1] neg_hi:[0,0,1]
	v_pk_fma_f32 v[160:161], v[162:163], v[156:157], v[160:161] op_sel:[0,0,1] op_sel_hi:[1,0,0]
	v_mov_b32_e32 v165, v161
	ds_load_2addr_b64 v[160:163], v190 offset0:21 offset1:22
	v_pk_add_f32 v[72:73], v[72:73], v[166:167] neg_lo:[0,1] neg_hi:[0,1]
	v_pk_add_f32 v[100:101], v[100:101], v[164:165] neg_lo:[0,1] neg_hi:[0,1]
	s_wait_dscnt 0x0
	v_pk_mul_f32 v[164:165], v[160:161], v[158:159] op_sel:[0,1]
	s_delay_alu instid0(VALU_DEP_1) | instskip(SKIP_1) | instid1(VALU_DEP_1)
	v_pk_fma_f32 v[166:167], v[160:161], v[156:157], v[164:165] op_sel:[0,0,1] op_sel_hi:[1,1,0] neg_lo:[0,0,1] neg_hi:[0,0,1]
	v_pk_fma_f32 v[160:161], v[160:161], v[156:157], v[164:165] op_sel:[0,0,1] op_sel_hi:[1,0,0]
	v_mov_b32_e32 v167, v161
	v_pk_mul_f32 v[160:161], v[162:163], v[158:159] op_sel:[0,1]
	s_delay_alu instid0(VALU_DEP_1) | instskip(SKIP_1) | instid1(VALU_DEP_1)
	v_pk_fma_f32 v[164:165], v[162:163], v[156:157], v[160:161] op_sel:[0,0,1] op_sel_hi:[1,1,0] neg_lo:[0,0,1] neg_hi:[0,0,1]
	v_pk_fma_f32 v[160:161], v[162:163], v[156:157], v[160:161] op_sel:[0,0,1] op_sel_hi:[1,0,0]
	v_mov_b32_e32 v165, v161
	ds_load_2addr_b64 v[160:163], v190 offset0:23 offset1:24
	v_pk_add_f32 v[96:97], v[96:97], v[166:167] neg_lo:[0,1] neg_hi:[0,1]
	v_pk_add_f32 v[98:99], v[98:99], v[164:165] neg_lo:[0,1] neg_hi:[0,1]
	s_wait_dscnt 0x0
	v_dual_mul_f32 v164, v161, v159 :: v_dual_mul_f32 v166, v161, v156
	s_delay_alu instid0(VALU_DEP_1) | instskip(NEXT) | instid1(VALU_DEP_2)
	v_pk_fma_f32 v[164:165], v[160:161], v[60:61], v[164:165] op_sel_hi:[1,1,0] neg_lo:[0,0,1] neg_hi:[0,0,1]
	v_pk_fma_f32 v[160:161], v[160:161], v[60:61], v[166:167] op_sel:[1,0,0] op_sel_hi:[0,1,0]
	s_delay_alu instid0(VALU_DEP_1) | instskip(SKIP_1) | instid1(VALU_DEP_2)
	v_mov_b32_e32 v165, v161
	v_pk_mul_f32 v[160:161], v[162:163], v[158:159] op_sel:[0,1]
	v_pk_add_f32 v[94:95], v[94:95], v[164:165] neg_lo:[0,1] neg_hi:[0,1]
	s_delay_alu instid0(VALU_DEP_2) | instskip(SKIP_1) | instid1(VALU_DEP_1)
	v_pk_fma_f32 v[164:165], v[162:163], v[156:157], v[160:161] op_sel:[0,0,1] op_sel_hi:[1,1,0] neg_lo:[0,0,1] neg_hi:[0,0,1]
	v_pk_fma_f32 v[160:161], v[162:163], v[156:157], v[160:161] op_sel:[0,0,1] op_sel_hi:[1,0,0]
	v_mov_b32_e32 v165, v161
	ds_load_2addr_b64 v[160:163], v190 offset0:25 offset1:26
	v_pk_add_f32 v[116:117], v[116:117], v[164:165] neg_lo:[0,1] neg_hi:[0,1]
	s_wait_dscnt 0x0
	v_pk_mul_f32 v[164:165], v[160:161], v[158:159] op_sel:[0,1]
	s_delay_alu instid0(VALU_DEP_1) | instskip(SKIP_1) | instid1(VALU_DEP_1)
	v_pk_fma_f32 v[166:167], v[160:161], v[156:157], v[164:165] op_sel:[0,0,1] op_sel_hi:[1,1,0] neg_lo:[0,0,1] neg_hi:[0,0,1]
	v_pk_fma_f32 v[160:161], v[160:161], v[156:157], v[164:165] op_sel:[0,0,1] op_sel_hi:[1,0,0]
	v_mov_b32_e32 v167, v161
	v_pk_mul_f32 v[160:161], v[162:163], v[158:159] op_sel:[0,1]
	s_delay_alu instid0(VALU_DEP_2) | instskip(NEXT) | instid1(VALU_DEP_2)
	v_pk_add_f32 v[112:113], v[112:113], v[166:167] neg_lo:[0,1] neg_hi:[0,1]
	v_pk_fma_f32 v[164:165], v[162:163], v[156:157], v[160:161] op_sel:[0,0,1] op_sel_hi:[1,1,0] neg_lo:[0,0,1] neg_hi:[0,0,1]
	v_pk_fma_f32 v[160:161], v[162:163], v[156:157], v[160:161] op_sel:[0,0,1] op_sel_hi:[1,0,0]
	s_delay_alu instid0(VALU_DEP_1) | instskip(SKIP_4) | instid1(VALU_DEP_1)
	v_mov_b32_e32 v165, v161
	ds_load_2addr_b64 v[160:163], v190 offset0:27 offset1:28
	v_pk_add_f32 v[114:115], v[114:115], v[164:165] neg_lo:[0,1] neg_hi:[0,1]
	s_wait_dscnt 0x0
	v_pk_mul_f32 v[164:165], v[160:161], v[158:159] op_sel:[0,1]
	v_pk_fma_f32 v[166:167], v[160:161], v[156:157], v[164:165] op_sel:[0,0,1] op_sel_hi:[1,1,0] neg_lo:[0,0,1] neg_hi:[0,0,1]
	v_pk_fma_f32 v[160:161], v[160:161], v[156:157], v[164:165] op_sel:[0,0,1] op_sel_hi:[1,0,0]
	v_dual_mul_f32 v164, v163, v159 :: v_dual_mov_b32 v160, v163
	s_delay_alu instid0(VALU_DEP_2) | instskip(NEXT) | instid1(VALU_DEP_2)
	v_dual_mov_b32 v167, v161 :: v_dual_mov_b32 v161, v162
	v_pk_fma_f32 v[164:165], v[162:163], v[60:61], v[164:165] op_sel_hi:[1,1,0] neg_lo:[0,0,1] neg_hi:[0,0,1]
	v_mul_f32_e32 v162, v163, v156
	s_delay_alu instid0(VALU_DEP_3) | instskip(NEXT) | instid1(VALU_DEP_2)
	v_pk_add_f32 v[122:123], v[122:123], v[166:167] neg_lo:[0,1] neg_hi:[0,1]
	v_pk_fma_f32 v[160:161], v[160:161], v[60:61], v[162:163] op_sel_hi:[1,1,0]
	s_delay_alu instid0(VALU_DEP_1)
	v_mov_b32_e32 v165, v161
	ds_load_2addr_b64 v[160:163], v190 offset0:29 offset1:30
	v_pk_add_f32 v[120:121], v[120:121], v[164:165] neg_lo:[0,1] neg_hi:[0,1]
	s_wait_dscnt 0x0
	v_pk_mul_f32 v[164:165], v[160:161], v[158:159] op_sel:[0,1]
	v_pk_mul_f32 v[158:159], v[162:163], v[158:159] op_sel:[0,1]
	s_delay_alu instid0(VALU_DEP_2) | instskip(SKIP_1) | instid1(VALU_DEP_1)
	v_pk_fma_f32 v[166:167], v[160:161], v[156:157], v[164:165] op_sel:[0,0,1] op_sel_hi:[1,1,0] neg_lo:[0,0,1] neg_hi:[0,0,1]
	v_pk_fma_f32 v[160:161], v[160:161], v[156:157], v[164:165] op_sel:[0,0,1] op_sel_hi:[1,0,0]
	v_mov_b32_e32 v167, v161
	s_delay_alu instid0(VALU_DEP_4) | instskip(SKIP_1) | instid1(VALU_DEP_1)
	v_pk_fma_f32 v[160:161], v[162:163], v[156:157], v[158:159] op_sel:[0,0,1] op_sel_hi:[1,1,0] neg_lo:[0,0,1] neg_hi:[0,0,1]
	v_pk_fma_f32 v[156:157], v[162:163], v[156:157], v[158:159] op_sel:[0,0,1] op_sel_hi:[1,0,0]
	v_mov_b32_e32 v161, v157
	s_delay_alu instid0(VALU_DEP_4) | instskip(NEXT) | instid1(VALU_DEP_2)
	v_pk_add_f32 v[118:119], v[118:119], v[166:167] neg_lo:[0,1] neg_hi:[0,1]
	v_pk_add_f32 v[124:125], v[124:125], v[160:161] neg_lo:[0,1] neg_hi:[0,1]
.LBB61_136:
	s_or_b32 exec_lo, exec_lo, s1
	s_delay_alu instid0(SALU_CYCLE_1)
	s_mov_b32 s2, exec_lo
	s_wait_dscnt 0x0
	s_barrier_signal -1
	s_barrier_wait -1
	v_cmpx_eq_u32_e32 15, v188
	s_cbranch_execz .LBB61_143
; %bb.137:
	v_dual_mov_b32 v156, v78 :: v_dual_mov_b32 v157, v79
	v_dual_mov_b32 v158, v74 :: v_dual_mov_b32 v159, v75
	;; [unrolled: 1-line block ×4, first 2 shown]
	ds_store_b64 v189, v[56:57]
	ds_store_2addr_b64 v190, v[156:157], v[158:159] offset0:16 offset1:17
	ds_store_2addr_b64 v190, v[160:161], v[162:163] offset0:18 offset1:19
	v_dual_mov_b32 v156, v100 :: v_dual_mov_b32 v157, v101
	v_dual_mov_b32 v158, v96 :: v_dual_mov_b32 v159, v97
	;; [unrolled: 1-line block ×10, first 2 shown]
	ds_store_2addr_b64 v190, v[156:157], v[158:159] offset0:20 offset1:21
	ds_store_2addr_b64 v190, v[160:161], v[162:163] offset0:22 offset1:23
	;; [unrolled: 1-line block ×5, first 2 shown]
	ds_store_b64 v190, v[124:125] offset:240
	ds_load_b64 v[156:157], v189
	s_wait_dscnt 0x0
	v_cmp_neq_f32_e32 vcc_lo, 0, v156
	v_cmp_neq_f32_e64 s1, 0, v157
	s_or_b32 s1, vcc_lo, s1
	s_delay_alu instid0(SALU_CYCLE_1)
	s_and_b32 exec_lo, exec_lo, s1
	s_cbranch_execz .LBB61_143
; %bb.138:
	v_cmp_ngt_f32_e64 s1, |v156|, |v157|
                                        ; implicit-def: $vgpr158_vgpr159
	s_and_saveexec_b32 s4, s1
	s_delay_alu instid0(SALU_CYCLE_1)
	s_xor_b32 s1, exec_lo, s4
	s_cbranch_execz .LBB61_140
; %bb.139:
	v_div_scale_f32 v158, null, v157, v157, v156
	v_div_scale_f32 v161, vcc_lo, v156, v157, v156
	s_delay_alu instid0(VALU_DEP_2) | instskip(SKIP_1) | instid1(TRANS32_DEP_1)
	v_rcp_f32_e32 v159, v158
	v_nop
	v_fma_f32 v160, -v158, v159, 1.0
	s_delay_alu instid0(VALU_DEP_1) | instskip(NEXT) | instid1(VALU_DEP_1)
	v_fmac_f32_e32 v159, v160, v159
	v_mul_f32_e32 v160, v161, v159
	s_delay_alu instid0(VALU_DEP_1) | instskip(NEXT) | instid1(VALU_DEP_1)
	v_fma_f32 v162, -v158, v160, v161
	v_fmac_f32_e32 v160, v162, v159
	s_delay_alu instid0(VALU_DEP_1) | instskip(NEXT) | instid1(VALU_DEP_1)
	v_fma_f32 v158, -v158, v160, v161
	v_div_fmas_f32 v158, v158, v159, v160
	s_delay_alu instid0(VALU_DEP_1) | instskip(NEXT) | instid1(VALU_DEP_1)
	v_div_fixup_f32 v158, v158, v157, v156
	v_fmac_f32_e32 v157, v156, v158
	s_delay_alu instid0(VALU_DEP_1) | instskip(SKIP_1) | instid1(VALU_DEP_2)
	v_div_scale_f32 v156, null, v157, v157, 1.0
	v_div_scale_f32 v161, vcc_lo, 1.0, v157, 1.0
	v_rcp_f32_e32 v159, v156
	v_nop
	s_delay_alu instid0(TRANS32_DEP_1) | instskip(NEXT) | instid1(VALU_DEP_1)
	v_fma_f32 v160, -v156, v159, 1.0
	v_fmac_f32_e32 v159, v160, v159
	s_delay_alu instid0(VALU_DEP_1) | instskip(NEXT) | instid1(VALU_DEP_1)
	v_mul_f32_e32 v160, v161, v159
	v_fma_f32 v162, -v156, v160, v161
	s_delay_alu instid0(VALU_DEP_1) | instskip(NEXT) | instid1(VALU_DEP_1)
	v_fmac_f32_e32 v160, v162, v159
	v_fma_f32 v156, -v156, v160, v161
	s_delay_alu instid0(VALU_DEP_1) | instskip(NEXT) | instid1(VALU_DEP_1)
	v_div_fmas_f32 v156, v156, v159, v160
	v_div_fixup_f32 v156, v156, v157, 1.0
	s_delay_alu instid0(VALU_DEP_1)
	v_mul_f32_e32 v158, v158, v156
	v_xor_b32_e32 v159, 0x80000000, v156
                                        ; implicit-def: $vgpr156_vgpr157
.LBB61_140:
	s_and_not1_saveexec_b32 s1, s1
	s_cbranch_execz .LBB61_142
; %bb.141:
	v_div_scale_f32 v158, null, v156, v156, v157
	v_div_scale_f32 v161, vcc_lo, v157, v156, v157
	s_delay_alu instid0(VALU_DEP_2) | instskip(SKIP_1) | instid1(TRANS32_DEP_1)
	v_rcp_f32_e32 v159, v158
	v_nop
	v_fma_f32 v160, -v158, v159, 1.0
	s_delay_alu instid0(VALU_DEP_1) | instskip(NEXT) | instid1(VALU_DEP_1)
	v_fmac_f32_e32 v159, v160, v159
	v_mul_f32_e32 v160, v161, v159
	s_delay_alu instid0(VALU_DEP_1) | instskip(NEXT) | instid1(VALU_DEP_1)
	v_fma_f32 v162, -v158, v160, v161
	v_fmac_f32_e32 v160, v162, v159
	s_delay_alu instid0(VALU_DEP_1) | instskip(NEXT) | instid1(VALU_DEP_1)
	v_fma_f32 v158, -v158, v160, v161
	v_div_fmas_f32 v158, v158, v159, v160
	s_delay_alu instid0(VALU_DEP_1) | instskip(NEXT) | instid1(VALU_DEP_1)
	v_div_fixup_f32 v159, v158, v156, v157
	v_fmac_f32_e32 v156, v157, v159
	s_delay_alu instid0(VALU_DEP_1) | instskip(NEXT) | instid1(VALU_DEP_1)
	v_div_scale_f32 v157, null, v156, v156, 1.0
	v_rcp_f32_e32 v158, v157
	v_nop
	s_delay_alu instid0(TRANS32_DEP_1) | instskip(NEXT) | instid1(VALU_DEP_1)
	v_fma_f32 v160, -v157, v158, 1.0
	v_fmac_f32_e32 v158, v160, v158
	v_div_scale_f32 v160, vcc_lo, 1.0, v156, 1.0
	s_delay_alu instid0(VALU_DEP_1) | instskip(NEXT) | instid1(VALU_DEP_1)
	v_mul_f32_e32 v161, v160, v158
	v_fma_f32 v162, -v157, v161, v160
	s_delay_alu instid0(VALU_DEP_1) | instskip(NEXT) | instid1(VALU_DEP_1)
	v_fmac_f32_e32 v161, v162, v158
	v_fma_f32 v157, -v157, v161, v160
	s_delay_alu instid0(VALU_DEP_1) | instskip(NEXT) | instid1(VALU_DEP_1)
	v_div_fmas_f32 v157, v157, v158, v161
	v_div_fixup_f32 v158, v157, v156, 1.0
	s_delay_alu instid0(VALU_DEP_1)
	v_mul_f32_e64 v159, v159, -v158
.LBB61_142:
	s_or_b32 exec_lo, exec_lo, s1
	ds_store_b64 v189, v[158:159]
.LBB61_143:
	s_or_b32 exec_lo, exec_lo, s2
	s_wait_dscnt 0x0
	s_barrier_signal -1
	s_barrier_wait -1
	ds_load_b64 v[156:157], v189
	s_mov_b32 s1, exec_lo
	v_cmpx_lt_u32_e32 15, v188
	s_cbranch_execz .LBB61_145
; %bb.144:
	ds_load_2addr_b64 v[162:165], v190 offset0:16 offset1:17
	s_wait_dscnt 0x1
	v_pk_mul_f32 v[160:161], v[156:157], v[56:57] op_sel:[1,1] op_sel_hi:[0,1]
	s_delay_alu instid0(VALU_DEP_1) | instskip(SKIP_1) | instid1(VALU_DEP_1)
	v_pk_fma_f32 v[158:159], v[156:157], v[56:57], v[160:161] op_sel_hi:[1,0,1] neg_lo:[0,0,1] neg_hi:[0,0,1]
	v_pk_fma_f32 v[160:161], v[156:157], v[56:57], v[160:161] op_sel_hi:[1,0,1]
	v_dual_mov_b32 v56, v158 :: v_dual_mov_b32 v57, v161
	s_wait_dscnt 0x0
	s_delay_alu instid0(VALU_DEP_2) | instskip(NEXT) | instid1(VALU_DEP_1)
	v_pk_mul_f32 v[166:167], v[162:163], v[160:161] op_sel:[0,1]
	v_pk_fma_f32 v[168:169], v[162:163], v[158:159], v[166:167] op_sel:[0,0,1] op_sel_hi:[1,1,0] neg_lo:[0,0,1] neg_hi:[0,0,1]
	v_pk_fma_f32 v[162:163], v[162:163], v[158:159], v[166:167] op_sel:[0,0,1] op_sel_hi:[1,0,0]
	s_delay_alu instid0(VALU_DEP_1) | instskip(SKIP_1) | instid1(VALU_DEP_1)
	v_mov_b32_e32 v169, v163
	v_pk_mul_f32 v[162:163], v[164:165], v[160:161] op_sel:[0,1]
	v_pk_fma_f32 v[166:167], v[164:165], v[158:159], v[162:163] op_sel:[0,0,1] op_sel_hi:[1,1,0] neg_lo:[0,0,1] neg_hi:[0,0,1]
	v_pk_fma_f32 v[162:163], v[164:165], v[158:159], v[162:163] op_sel:[0,0,1] op_sel_hi:[1,0,0]
	s_delay_alu instid0(VALU_DEP_1)
	v_mov_b32_e32 v167, v163
	ds_load_2addr_b64 v[162:165], v190 offset0:18 offset1:19
	v_pk_add_f32 v[78:79], v[78:79], v[168:169] neg_lo:[0,1] neg_hi:[0,1]
	v_pk_add_f32 v[74:75], v[74:75], v[166:167] neg_lo:[0,1] neg_hi:[0,1]
	s_wait_dscnt 0x0
	v_pk_mul_f32 v[166:167], v[162:163], v[160:161] op_sel:[0,1]
	s_delay_alu instid0(VALU_DEP_1) | instskip(SKIP_2) | instid1(VALU_DEP_2)
	v_pk_fma_f32 v[168:169], v[162:163], v[158:159], v[166:167] op_sel:[0,0,1] op_sel_hi:[1,1,0] neg_lo:[0,0,1] neg_hi:[0,0,1]
	v_pk_fma_f32 v[162:163], v[162:163], v[158:159], v[166:167] op_sel:[0,0,1] op_sel_hi:[1,0,0]
	v_dual_mul_f32 v166, v165, v161 :: v_dual_mov_b32 v162, v165
	v_dual_mov_b32 v169, v163 :: v_dual_mov_b32 v163, v164
	s_delay_alu instid0(VALU_DEP_2) | instskip(SKIP_1) | instid1(VALU_DEP_3)
	v_pk_fma_f32 v[166:167], v[164:165], v[56:57], v[166:167] op_sel_hi:[1,1,0] neg_lo:[0,0,1] neg_hi:[0,0,1]
	v_mul_f32_e32 v164, v165, v158
	v_pk_add_f32 v[76:77], v[76:77], v[168:169] neg_lo:[0,1] neg_hi:[0,1]
	s_delay_alu instid0(VALU_DEP_2) | instskip(NEXT) | instid1(VALU_DEP_1)
	v_pk_fma_f32 v[162:163], v[162:163], v[56:57], v[164:165] op_sel_hi:[1,1,0]
	v_mov_b32_e32 v167, v163
	ds_load_2addr_b64 v[162:165], v190 offset0:20 offset1:21
	v_pk_add_f32 v[72:73], v[72:73], v[166:167] neg_lo:[0,1] neg_hi:[0,1]
	s_wait_dscnt 0x0
	v_pk_mul_f32 v[166:167], v[162:163], v[160:161] op_sel:[0,1]
	s_delay_alu instid0(VALU_DEP_1) | instskip(SKIP_1) | instid1(VALU_DEP_1)
	v_pk_fma_f32 v[168:169], v[162:163], v[158:159], v[166:167] op_sel:[0,0,1] op_sel_hi:[1,1,0] neg_lo:[0,0,1] neg_hi:[0,0,1]
	v_pk_fma_f32 v[162:163], v[162:163], v[158:159], v[166:167] op_sel:[0,0,1] op_sel_hi:[1,0,0]
	v_mov_b32_e32 v169, v163
	v_pk_mul_f32 v[162:163], v[164:165], v[160:161] op_sel:[0,1]
	s_delay_alu instid0(VALU_DEP_1) | instskip(SKIP_1) | instid1(VALU_DEP_1)
	v_pk_fma_f32 v[166:167], v[164:165], v[158:159], v[162:163] op_sel:[0,0,1] op_sel_hi:[1,1,0] neg_lo:[0,0,1] neg_hi:[0,0,1]
	v_pk_fma_f32 v[162:163], v[164:165], v[158:159], v[162:163] op_sel:[0,0,1] op_sel_hi:[1,0,0]
	v_mov_b32_e32 v167, v163
	ds_load_2addr_b64 v[162:165], v190 offset0:22 offset1:23
	v_pk_add_f32 v[100:101], v[100:101], v[168:169] neg_lo:[0,1] neg_hi:[0,1]
	v_pk_add_f32 v[96:97], v[96:97], v[166:167] neg_lo:[0,1] neg_hi:[0,1]
	s_wait_dscnt 0x0
	v_pk_mul_f32 v[166:167], v[162:163], v[160:161] op_sel:[0,1]
	s_delay_alu instid0(VALU_DEP_1) | instskip(SKIP_1) | instid1(VALU_DEP_1)
	v_pk_fma_f32 v[168:169], v[162:163], v[158:159], v[166:167] op_sel:[0,0,1] op_sel_hi:[1,1,0] neg_lo:[0,0,1] neg_hi:[0,0,1]
	v_pk_fma_f32 v[162:163], v[162:163], v[158:159], v[166:167] op_sel:[0,0,1] op_sel_hi:[1,0,0]
	v_mov_b32_e32 v169, v163
	v_pk_mul_f32 v[162:163], v[164:165], v[160:161] op_sel:[0,1]
	s_delay_alu instid0(VALU_DEP_1) | instskip(SKIP_1) | instid1(VALU_DEP_1)
	v_pk_fma_f32 v[166:167], v[164:165], v[158:159], v[162:163] op_sel:[0,0,1] op_sel_hi:[1,1,0] neg_lo:[0,0,1] neg_hi:[0,0,1]
	v_pk_fma_f32 v[162:163], v[164:165], v[158:159], v[162:163] op_sel:[0,0,1] op_sel_hi:[1,0,0]
	v_mov_b32_e32 v167, v163
	ds_load_2addr_b64 v[162:165], v190 offset0:24 offset1:25
	v_pk_add_f32 v[98:99], v[98:99], v[168:169] neg_lo:[0,1] neg_hi:[0,1]
	v_pk_add_f32 v[94:95], v[94:95], v[166:167] neg_lo:[0,1] neg_hi:[0,1]
	s_wait_dscnt 0x0
	v_dual_mul_f32 v166, v163, v161 :: v_dual_mul_f32 v168, v163, v158
	s_delay_alu instid0(VALU_DEP_1) | instskip(NEXT) | instid1(VALU_DEP_2)
	v_pk_fma_f32 v[166:167], v[162:163], v[56:57], v[166:167] op_sel_hi:[1,1,0] neg_lo:[0,0,1] neg_hi:[0,0,1]
	v_pk_fma_f32 v[162:163], v[162:163], v[56:57], v[168:169] op_sel:[1,0,0] op_sel_hi:[0,1,0]
	s_delay_alu instid0(VALU_DEP_1) | instskip(SKIP_1) | instid1(VALU_DEP_2)
	v_mov_b32_e32 v167, v163
	v_pk_mul_f32 v[162:163], v[164:165], v[160:161] op_sel:[0,1]
	v_pk_add_f32 v[116:117], v[116:117], v[166:167] neg_lo:[0,1] neg_hi:[0,1]
	s_delay_alu instid0(VALU_DEP_2) | instskip(SKIP_1) | instid1(VALU_DEP_1)
	v_pk_fma_f32 v[166:167], v[164:165], v[158:159], v[162:163] op_sel:[0,0,1] op_sel_hi:[1,1,0] neg_lo:[0,0,1] neg_hi:[0,0,1]
	v_pk_fma_f32 v[162:163], v[164:165], v[158:159], v[162:163] op_sel:[0,0,1] op_sel_hi:[1,0,0]
	v_mov_b32_e32 v167, v163
	ds_load_2addr_b64 v[162:165], v190 offset0:26 offset1:27
	v_pk_add_f32 v[112:113], v[112:113], v[166:167] neg_lo:[0,1] neg_hi:[0,1]
	s_wait_dscnt 0x0
	v_pk_mul_f32 v[166:167], v[162:163], v[160:161] op_sel:[0,1]
	s_delay_alu instid0(VALU_DEP_1) | instskip(SKIP_1) | instid1(VALU_DEP_1)
	v_pk_fma_f32 v[168:169], v[162:163], v[158:159], v[166:167] op_sel:[0,0,1] op_sel_hi:[1,1,0] neg_lo:[0,0,1] neg_hi:[0,0,1]
	v_pk_fma_f32 v[162:163], v[162:163], v[158:159], v[166:167] op_sel:[0,0,1] op_sel_hi:[1,0,0]
	v_mov_b32_e32 v169, v163
	v_pk_mul_f32 v[162:163], v[164:165], v[160:161] op_sel:[0,1]
	s_delay_alu instid0(VALU_DEP_2) | instskip(NEXT) | instid1(VALU_DEP_2)
	v_pk_add_f32 v[114:115], v[114:115], v[168:169] neg_lo:[0,1] neg_hi:[0,1]
	v_pk_fma_f32 v[166:167], v[164:165], v[158:159], v[162:163] op_sel:[0,0,1] op_sel_hi:[1,1,0] neg_lo:[0,0,1] neg_hi:[0,0,1]
	v_pk_fma_f32 v[162:163], v[164:165], v[158:159], v[162:163] op_sel:[0,0,1] op_sel_hi:[1,0,0]
	s_delay_alu instid0(VALU_DEP_1) | instskip(SKIP_4) | instid1(VALU_DEP_1)
	v_mov_b32_e32 v167, v163
	ds_load_2addr_b64 v[162:165], v190 offset0:28 offset1:29
	v_pk_add_f32 v[122:123], v[122:123], v[166:167] neg_lo:[0,1] neg_hi:[0,1]
	s_wait_dscnt 0x0
	v_pk_mul_f32 v[166:167], v[162:163], v[160:161] op_sel:[0,1]
	v_pk_fma_f32 v[168:169], v[162:163], v[158:159], v[166:167] op_sel:[0,0,1] op_sel_hi:[1,1,0] neg_lo:[0,0,1] neg_hi:[0,0,1]
	v_pk_fma_f32 v[162:163], v[162:163], v[158:159], v[166:167] op_sel:[0,0,1] op_sel_hi:[1,0,0]
	v_dual_mul_f32 v166, v165, v161 :: v_dual_mov_b32 v162, v165
	s_delay_alu instid0(VALU_DEP_2) | instskip(NEXT) | instid1(VALU_DEP_2)
	v_dual_mov_b32 v169, v163 :: v_dual_mov_b32 v163, v164
	v_pk_fma_f32 v[166:167], v[164:165], v[56:57], v[166:167] op_sel_hi:[1,1,0] neg_lo:[0,0,1] neg_hi:[0,0,1]
	v_mul_f32_e32 v164, v165, v158
	s_delay_alu instid0(VALU_DEP_3) | instskip(NEXT) | instid1(VALU_DEP_2)
	v_pk_add_f32 v[120:121], v[120:121], v[168:169] neg_lo:[0,1] neg_hi:[0,1]
	v_pk_fma_f32 v[162:163], v[162:163], v[56:57], v[164:165] op_sel_hi:[1,1,0]
	s_delay_alu instid0(VALU_DEP_1) | instskip(SKIP_4) | instid1(VALU_DEP_1)
	v_mov_b32_e32 v167, v163
	ds_load_b64 v[162:163], v190 offset:240
	v_pk_add_f32 v[118:119], v[118:119], v[166:167] neg_lo:[0,1] neg_hi:[0,1]
	s_wait_dscnt 0x0
	v_pk_mul_f32 v[160:161], v[162:163], v[160:161] op_sel:[0,1]
	v_pk_fma_f32 v[164:165], v[162:163], v[158:159], v[160:161] op_sel:[0,0,1] op_sel_hi:[1,1,0] neg_lo:[0,0,1] neg_hi:[0,0,1]
	v_pk_fma_f32 v[158:159], v[162:163], v[158:159], v[160:161] op_sel:[0,0,1] op_sel_hi:[1,0,0]
	s_delay_alu instid0(VALU_DEP_1) | instskip(NEXT) | instid1(VALU_DEP_1)
	v_mov_b32_e32 v165, v159
	v_pk_add_f32 v[124:125], v[124:125], v[164:165] neg_lo:[0,1] neg_hi:[0,1]
.LBB61_145:
	s_or_b32 exec_lo, exec_lo, s1
	s_delay_alu instid0(SALU_CYCLE_1)
	s_mov_b32 s2, exec_lo
	s_wait_dscnt 0x0
	s_barrier_signal -1
	s_barrier_wait -1
	v_cmpx_eq_u32_e32 16, v188
	s_cbranch_execz .LBB61_152
; %bb.146:
	ds_store_b64 v189, v[78:79]
	ds_store_2addr_b64 v190, v[74:75], v[76:77] offset0:17 offset1:18
	ds_store_2addr_b64 v190, v[72:73], v[100:101] offset0:19 offset1:20
	;; [unrolled: 1-line block ×7, first 2 shown]
	ds_load_b64 v[158:159], v189
	s_wait_dscnt 0x0
	v_cmp_neq_f32_e32 vcc_lo, 0, v158
	v_cmp_neq_f32_e64 s1, 0, v159
	s_or_b32 s1, vcc_lo, s1
	s_delay_alu instid0(SALU_CYCLE_1)
	s_and_b32 exec_lo, exec_lo, s1
	s_cbranch_execz .LBB61_152
; %bb.147:
	v_cmp_ngt_f32_e64 s1, |v158|, |v159|
                                        ; implicit-def: $vgpr160_vgpr161
	s_and_saveexec_b32 s4, s1
	s_delay_alu instid0(SALU_CYCLE_1)
	s_xor_b32 s1, exec_lo, s4
	s_cbranch_execz .LBB61_149
; %bb.148:
	v_div_scale_f32 v160, null, v159, v159, v158
	v_div_scale_f32 v163, vcc_lo, v158, v159, v158
	s_delay_alu instid0(VALU_DEP_2) | instskip(SKIP_1) | instid1(TRANS32_DEP_1)
	v_rcp_f32_e32 v161, v160
	v_nop
	v_fma_f32 v162, -v160, v161, 1.0
	s_delay_alu instid0(VALU_DEP_1) | instskip(NEXT) | instid1(VALU_DEP_1)
	v_fmac_f32_e32 v161, v162, v161
	v_mul_f32_e32 v162, v163, v161
	s_delay_alu instid0(VALU_DEP_1) | instskip(NEXT) | instid1(VALU_DEP_1)
	v_fma_f32 v164, -v160, v162, v163
	v_fmac_f32_e32 v162, v164, v161
	s_delay_alu instid0(VALU_DEP_1) | instskip(NEXT) | instid1(VALU_DEP_1)
	v_fma_f32 v160, -v160, v162, v163
	v_div_fmas_f32 v160, v160, v161, v162
	s_delay_alu instid0(VALU_DEP_1) | instskip(NEXT) | instid1(VALU_DEP_1)
	v_div_fixup_f32 v160, v160, v159, v158
	v_fmac_f32_e32 v159, v158, v160
	s_delay_alu instid0(VALU_DEP_1) | instskip(SKIP_1) | instid1(VALU_DEP_2)
	v_div_scale_f32 v158, null, v159, v159, 1.0
	v_div_scale_f32 v163, vcc_lo, 1.0, v159, 1.0
	v_rcp_f32_e32 v161, v158
	v_nop
	s_delay_alu instid0(TRANS32_DEP_1) | instskip(NEXT) | instid1(VALU_DEP_1)
	v_fma_f32 v162, -v158, v161, 1.0
	v_fmac_f32_e32 v161, v162, v161
	s_delay_alu instid0(VALU_DEP_1) | instskip(NEXT) | instid1(VALU_DEP_1)
	v_mul_f32_e32 v162, v163, v161
	v_fma_f32 v164, -v158, v162, v163
	s_delay_alu instid0(VALU_DEP_1) | instskip(NEXT) | instid1(VALU_DEP_1)
	v_fmac_f32_e32 v162, v164, v161
	v_fma_f32 v158, -v158, v162, v163
	s_delay_alu instid0(VALU_DEP_1) | instskip(NEXT) | instid1(VALU_DEP_1)
	v_div_fmas_f32 v158, v158, v161, v162
	v_div_fixup_f32 v158, v158, v159, 1.0
	s_delay_alu instid0(VALU_DEP_1)
	v_mul_f32_e32 v160, v160, v158
	v_xor_b32_e32 v161, 0x80000000, v158
                                        ; implicit-def: $vgpr158_vgpr159
.LBB61_149:
	s_and_not1_saveexec_b32 s1, s1
	s_cbranch_execz .LBB61_151
; %bb.150:
	v_div_scale_f32 v160, null, v158, v158, v159
	v_div_scale_f32 v163, vcc_lo, v159, v158, v159
	s_delay_alu instid0(VALU_DEP_2) | instskip(SKIP_1) | instid1(TRANS32_DEP_1)
	v_rcp_f32_e32 v161, v160
	v_nop
	v_fma_f32 v162, -v160, v161, 1.0
	s_delay_alu instid0(VALU_DEP_1) | instskip(NEXT) | instid1(VALU_DEP_1)
	v_fmac_f32_e32 v161, v162, v161
	v_mul_f32_e32 v162, v163, v161
	s_delay_alu instid0(VALU_DEP_1) | instskip(NEXT) | instid1(VALU_DEP_1)
	v_fma_f32 v164, -v160, v162, v163
	v_fmac_f32_e32 v162, v164, v161
	s_delay_alu instid0(VALU_DEP_1) | instskip(NEXT) | instid1(VALU_DEP_1)
	v_fma_f32 v160, -v160, v162, v163
	v_div_fmas_f32 v160, v160, v161, v162
	s_delay_alu instid0(VALU_DEP_1) | instskip(NEXT) | instid1(VALU_DEP_1)
	v_div_fixup_f32 v161, v160, v158, v159
	v_fmac_f32_e32 v158, v159, v161
	s_delay_alu instid0(VALU_DEP_1) | instskip(NEXT) | instid1(VALU_DEP_1)
	v_div_scale_f32 v159, null, v158, v158, 1.0
	v_rcp_f32_e32 v160, v159
	v_nop
	s_delay_alu instid0(TRANS32_DEP_1) | instskip(NEXT) | instid1(VALU_DEP_1)
	v_fma_f32 v162, -v159, v160, 1.0
	v_fmac_f32_e32 v160, v162, v160
	v_div_scale_f32 v162, vcc_lo, 1.0, v158, 1.0
	s_delay_alu instid0(VALU_DEP_1) | instskip(NEXT) | instid1(VALU_DEP_1)
	v_mul_f32_e32 v163, v162, v160
	v_fma_f32 v164, -v159, v163, v162
	s_delay_alu instid0(VALU_DEP_1) | instskip(NEXT) | instid1(VALU_DEP_1)
	v_fmac_f32_e32 v163, v164, v160
	v_fma_f32 v159, -v159, v163, v162
	s_delay_alu instid0(VALU_DEP_1) | instskip(NEXT) | instid1(VALU_DEP_1)
	v_div_fmas_f32 v159, v159, v160, v163
	v_div_fixup_f32 v160, v159, v158, 1.0
	s_delay_alu instid0(VALU_DEP_1)
	v_mul_f32_e64 v161, v161, -v160
.LBB61_151:
	s_or_b32 exec_lo, exec_lo, s1
	ds_store_b64 v189, v[160:161]
.LBB61_152:
	s_or_b32 exec_lo, exec_lo, s2
	s_wait_dscnt 0x0
	s_barrier_signal -1
	s_barrier_wait -1
	ds_load_b64 v[158:159], v189
	s_mov_b32 s1, exec_lo
	v_cmpx_lt_u32_e32 16, v188
	s_cbranch_execz .LBB61_154
; %bb.153:
	s_wait_dscnt 0x0
	v_pk_mul_f32 v[160:161], v[158:159], v[78:79] op_sel:[1,1] op_sel_hi:[0,1]
	s_delay_alu instid0(VALU_DEP_1)
	v_pk_fma_f32 v[164:165], v[158:159], v[78:79], v[160:161] op_sel_hi:[1,0,1] neg_lo:[0,0,1] neg_hi:[0,0,1]
	v_pk_fma_f32 v[166:167], v[158:159], v[78:79], v[160:161] op_sel_hi:[1,0,1]
	ds_load_2addr_b64 v[160:163], v190 offset0:17 offset1:18
	v_dual_mov_b32 v78, v164 :: v_dual_mov_b32 v79, v167
	s_wait_dscnt 0x0
	v_pk_mul_f32 v[168:169], v[160:161], v[166:167] op_sel:[0,1]
	s_delay_alu instid0(VALU_DEP_1) | instskip(SKIP_1) | instid1(VALU_DEP_1)
	v_pk_fma_f32 v[170:171], v[160:161], v[164:165], v[168:169] op_sel:[0,0,1] op_sel_hi:[1,1,0] neg_lo:[0,0,1] neg_hi:[0,0,1]
	v_pk_fma_f32 v[160:161], v[160:161], v[164:165], v[168:169] op_sel:[0,0,1] op_sel_hi:[1,0,0]
	v_mov_b32_e32 v171, v161
	v_pk_mul_f32 v[160:161], v[162:163], v[166:167] op_sel:[0,1]
	s_delay_alu instid0(VALU_DEP_1) | instskip(SKIP_1) | instid1(VALU_DEP_1)
	v_pk_fma_f32 v[168:169], v[162:163], v[164:165], v[160:161] op_sel:[0,0,1] op_sel_hi:[1,1,0] neg_lo:[0,0,1] neg_hi:[0,0,1]
	v_pk_fma_f32 v[160:161], v[162:163], v[164:165], v[160:161] op_sel:[0,0,1] op_sel_hi:[1,0,0]
	v_mov_b32_e32 v169, v161
	ds_load_2addr_b64 v[160:163], v190 offset0:19 offset1:20
	v_pk_add_f32 v[74:75], v[74:75], v[170:171] neg_lo:[0,1] neg_hi:[0,1]
	v_pk_add_f32 v[76:77], v[76:77], v[168:169] neg_lo:[0,1] neg_hi:[0,1]
	s_wait_dscnt 0x0
	v_pk_mul_f32 v[168:169], v[160:161], v[166:167] op_sel:[0,1]
	s_delay_alu instid0(VALU_DEP_1) | instskip(SKIP_2) | instid1(VALU_DEP_2)
	v_pk_fma_f32 v[170:171], v[160:161], v[164:165], v[168:169] op_sel:[0,0,1] op_sel_hi:[1,1,0] neg_lo:[0,0,1] neg_hi:[0,0,1]
	v_pk_fma_f32 v[160:161], v[160:161], v[164:165], v[168:169] op_sel:[0,0,1] op_sel_hi:[1,0,0]
	v_dual_mul_f32 v168, v163, v167 :: v_dual_mov_b32 v160, v163
	v_dual_mov_b32 v171, v161 :: v_dual_mov_b32 v161, v162
	s_delay_alu instid0(VALU_DEP_2) | instskip(SKIP_1) | instid1(VALU_DEP_3)
	v_pk_fma_f32 v[168:169], v[162:163], v[78:79], v[168:169] op_sel_hi:[1,1,0] neg_lo:[0,0,1] neg_hi:[0,0,1]
	v_mul_f32_e32 v162, v163, v164
	v_pk_add_f32 v[72:73], v[72:73], v[170:171] neg_lo:[0,1] neg_hi:[0,1]
	s_delay_alu instid0(VALU_DEP_2) | instskip(NEXT) | instid1(VALU_DEP_1)
	v_pk_fma_f32 v[160:161], v[160:161], v[78:79], v[162:163] op_sel_hi:[1,1,0]
	v_mov_b32_e32 v169, v161
	ds_load_2addr_b64 v[160:163], v190 offset0:21 offset1:22
	v_pk_add_f32 v[100:101], v[100:101], v[168:169] neg_lo:[0,1] neg_hi:[0,1]
	s_wait_dscnt 0x0
	v_pk_mul_f32 v[168:169], v[160:161], v[166:167] op_sel:[0,1]
	s_delay_alu instid0(VALU_DEP_1) | instskip(SKIP_1) | instid1(VALU_DEP_1)
	v_pk_fma_f32 v[170:171], v[160:161], v[164:165], v[168:169] op_sel:[0,0,1] op_sel_hi:[1,1,0] neg_lo:[0,0,1] neg_hi:[0,0,1]
	v_pk_fma_f32 v[160:161], v[160:161], v[164:165], v[168:169] op_sel:[0,0,1] op_sel_hi:[1,0,0]
	v_mov_b32_e32 v171, v161
	v_pk_mul_f32 v[160:161], v[162:163], v[166:167] op_sel:[0,1]
	s_delay_alu instid0(VALU_DEP_1) | instskip(SKIP_1) | instid1(VALU_DEP_1)
	v_pk_fma_f32 v[168:169], v[162:163], v[164:165], v[160:161] op_sel:[0,0,1] op_sel_hi:[1,1,0] neg_lo:[0,0,1] neg_hi:[0,0,1]
	v_pk_fma_f32 v[160:161], v[162:163], v[164:165], v[160:161] op_sel:[0,0,1] op_sel_hi:[1,0,0]
	v_mov_b32_e32 v169, v161
	ds_load_2addr_b64 v[160:163], v190 offset0:23 offset1:24
	v_pk_add_f32 v[96:97], v[96:97], v[170:171] neg_lo:[0,1] neg_hi:[0,1]
	v_pk_add_f32 v[98:99], v[98:99], v[168:169] neg_lo:[0,1] neg_hi:[0,1]
	s_wait_dscnt 0x0
	v_pk_mul_f32 v[168:169], v[160:161], v[166:167] op_sel:[0,1]
	s_delay_alu instid0(VALU_DEP_1) | instskip(SKIP_1) | instid1(VALU_DEP_1)
	v_pk_fma_f32 v[170:171], v[160:161], v[164:165], v[168:169] op_sel:[0,0,1] op_sel_hi:[1,1,0] neg_lo:[0,0,1] neg_hi:[0,0,1]
	v_pk_fma_f32 v[160:161], v[160:161], v[164:165], v[168:169] op_sel:[0,0,1] op_sel_hi:[1,0,0]
	v_mov_b32_e32 v171, v161
	v_pk_mul_f32 v[160:161], v[162:163], v[166:167] op_sel:[0,1]
	s_delay_alu instid0(VALU_DEP_1) | instskip(SKIP_1) | instid1(VALU_DEP_1)
	v_pk_fma_f32 v[168:169], v[162:163], v[164:165], v[160:161] op_sel:[0,0,1] op_sel_hi:[1,1,0] neg_lo:[0,0,1] neg_hi:[0,0,1]
	v_pk_fma_f32 v[160:161], v[162:163], v[164:165], v[160:161] op_sel:[0,0,1] op_sel_hi:[1,0,0]
	v_mov_b32_e32 v169, v161
	ds_load_2addr_b64 v[160:163], v190 offset0:25 offset1:26
	v_pk_add_f32 v[94:95], v[94:95], v[170:171] neg_lo:[0,1] neg_hi:[0,1]
	v_pk_add_f32 v[116:117], v[116:117], v[168:169] neg_lo:[0,1] neg_hi:[0,1]
	s_wait_dscnt 0x0
	v_dual_mul_f32 v168, v161, v167 :: v_dual_mul_f32 v170, v161, v164
	s_delay_alu instid0(VALU_DEP_1) | instskip(NEXT) | instid1(VALU_DEP_2)
	v_pk_fma_f32 v[168:169], v[160:161], v[78:79], v[168:169] op_sel_hi:[1,1,0] neg_lo:[0,0,1] neg_hi:[0,0,1]
	v_pk_fma_f32 v[160:161], v[160:161], v[78:79], v[170:171] op_sel:[1,0,0] op_sel_hi:[0,1,0]
	s_delay_alu instid0(VALU_DEP_1) | instskip(SKIP_1) | instid1(VALU_DEP_2)
	v_mov_b32_e32 v169, v161
	v_pk_mul_f32 v[160:161], v[162:163], v[166:167] op_sel:[0,1]
	v_pk_add_f32 v[112:113], v[112:113], v[168:169] neg_lo:[0,1] neg_hi:[0,1]
	s_delay_alu instid0(VALU_DEP_2) | instskip(SKIP_1) | instid1(VALU_DEP_1)
	v_pk_fma_f32 v[168:169], v[162:163], v[164:165], v[160:161] op_sel:[0,0,1] op_sel_hi:[1,1,0] neg_lo:[0,0,1] neg_hi:[0,0,1]
	v_pk_fma_f32 v[160:161], v[162:163], v[164:165], v[160:161] op_sel:[0,0,1] op_sel_hi:[1,0,0]
	v_mov_b32_e32 v169, v161
	ds_load_2addr_b64 v[160:163], v190 offset0:27 offset1:28
	v_pk_add_f32 v[114:115], v[114:115], v[168:169] neg_lo:[0,1] neg_hi:[0,1]
	s_wait_dscnt 0x0
	v_pk_mul_f32 v[168:169], v[160:161], v[166:167] op_sel:[0,1]
	s_delay_alu instid0(VALU_DEP_1) | instskip(SKIP_1) | instid1(VALU_DEP_1)
	v_pk_fma_f32 v[170:171], v[160:161], v[164:165], v[168:169] op_sel:[0,0,1] op_sel_hi:[1,1,0] neg_lo:[0,0,1] neg_hi:[0,0,1]
	v_pk_fma_f32 v[160:161], v[160:161], v[164:165], v[168:169] op_sel:[0,0,1] op_sel_hi:[1,0,0]
	v_mov_b32_e32 v171, v161
	v_pk_mul_f32 v[160:161], v[162:163], v[166:167] op_sel:[0,1]
	s_delay_alu instid0(VALU_DEP_2) | instskip(NEXT) | instid1(VALU_DEP_2)
	v_pk_add_f32 v[122:123], v[122:123], v[170:171] neg_lo:[0,1] neg_hi:[0,1]
	v_pk_fma_f32 v[168:169], v[162:163], v[164:165], v[160:161] op_sel:[0,0,1] op_sel_hi:[1,1,0] neg_lo:[0,0,1] neg_hi:[0,0,1]
	v_pk_fma_f32 v[160:161], v[162:163], v[164:165], v[160:161] op_sel:[0,0,1] op_sel_hi:[1,0,0]
	s_delay_alu instid0(VALU_DEP_1) | instskip(SKIP_4) | instid1(VALU_DEP_1)
	v_mov_b32_e32 v169, v161
	ds_load_2addr_b64 v[160:163], v190 offset0:29 offset1:30
	v_pk_add_f32 v[120:121], v[120:121], v[168:169] neg_lo:[0,1] neg_hi:[0,1]
	s_wait_dscnt 0x0
	v_pk_mul_f32 v[168:169], v[160:161], v[166:167] op_sel:[0,1]
	v_pk_fma_f32 v[170:171], v[160:161], v[164:165], v[168:169] op_sel:[0,0,1] op_sel_hi:[1,1,0] neg_lo:[0,0,1] neg_hi:[0,0,1]
	v_pk_fma_f32 v[160:161], v[160:161], v[164:165], v[168:169] op_sel:[0,0,1] op_sel_hi:[1,0,0]
	s_delay_alu instid0(VALU_DEP_1) | instskip(SKIP_1) | instid1(VALU_DEP_2)
	v_mov_b32_e32 v171, v161
	v_pk_mul_f32 v[160:161], v[162:163], v[166:167] op_sel:[0,1]
	v_pk_add_f32 v[118:119], v[118:119], v[170:171] neg_lo:[0,1] neg_hi:[0,1]
	s_delay_alu instid0(VALU_DEP_2) | instskip(SKIP_1) | instid1(VALU_DEP_1)
	v_pk_fma_f32 v[166:167], v[162:163], v[164:165], v[160:161] op_sel:[0,0,1] op_sel_hi:[1,1,0] neg_lo:[0,0,1] neg_hi:[0,0,1]
	v_pk_fma_f32 v[160:161], v[162:163], v[164:165], v[160:161] op_sel:[0,0,1] op_sel_hi:[1,0,0]
	v_mov_b32_e32 v167, v161
	s_delay_alu instid0(VALU_DEP_1)
	v_pk_add_f32 v[124:125], v[124:125], v[166:167] neg_lo:[0,1] neg_hi:[0,1]
.LBB61_154:
	s_or_b32 exec_lo, exec_lo, s1
	s_delay_alu instid0(SALU_CYCLE_1)
	s_mov_b32 s2, exec_lo
	s_wait_dscnt 0x0
	s_barrier_signal -1
	s_barrier_wait -1
	v_cmpx_eq_u32_e32 17, v188
	s_cbranch_execz .LBB61_161
; %bb.155:
	v_dual_mov_b32 v160, v76 :: v_dual_mov_b32 v161, v77
	v_dual_mov_b32 v162, v72 :: v_dual_mov_b32 v163, v73
	;; [unrolled: 1-line block ×10, first 2 shown]
	ds_store_b64 v189, v[74:75]
	v_dual_mov_b32 v180, v120 :: v_dual_mov_b32 v181, v121
	v_dual_mov_b32 v182, v118 :: v_dual_mov_b32 v183, v119
	ds_store_2addr_b64 v190, v[160:161], v[162:163] offset0:18 offset1:19
	ds_store_2addr_b64 v190, v[164:165], v[166:167] offset0:20 offset1:21
	ds_store_2addr_b64 v190, v[168:169], v[170:171] offset0:22 offset1:23
	ds_store_2addr_b64 v190, v[172:173], v[174:175] offset0:24 offset1:25
	ds_store_2addr_b64 v190, v[176:177], v[178:179] offset0:26 offset1:27
	ds_store_2addr_b64 v190, v[180:181], v[182:183] offset0:28 offset1:29
	ds_store_b64 v190, v[124:125] offset:240
	ds_load_b64 v[160:161], v189
	s_wait_dscnt 0x0
	v_cmp_neq_f32_e32 vcc_lo, 0, v160
	v_cmp_neq_f32_e64 s1, 0, v161
	s_or_b32 s1, vcc_lo, s1
	s_delay_alu instid0(SALU_CYCLE_1)
	s_and_b32 exec_lo, exec_lo, s1
	s_cbranch_execz .LBB61_161
; %bb.156:
	v_cmp_ngt_f32_e64 s1, |v160|, |v161|
                                        ; implicit-def: $vgpr162_vgpr163
	s_and_saveexec_b32 s4, s1
	s_delay_alu instid0(SALU_CYCLE_1)
	s_xor_b32 s1, exec_lo, s4
	s_cbranch_execz .LBB61_158
; %bb.157:
	v_div_scale_f32 v162, null, v161, v161, v160
	v_div_scale_f32 v165, vcc_lo, v160, v161, v160
	s_delay_alu instid0(VALU_DEP_2) | instskip(SKIP_1) | instid1(TRANS32_DEP_1)
	v_rcp_f32_e32 v163, v162
	v_nop
	v_fma_f32 v164, -v162, v163, 1.0
	s_delay_alu instid0(VALU_DEP_1) | instskip(NEXT) | instid1(VALU_DEP_1)
	v_fmac_f32_e32 v163, v164, v163
	v_mul_f32_e32 v164, v165, v163
	s_delay_alu instid0(VALU_DEP_1) | instskip(NEXT) | instid1(VALU_DEP_1)
	v_fma_f32 v166, -v162, v164, v165
	v_fmac_f32_e32 v164, v166, v163
	s_delay_alu instid0(VALU_DEP_1) | instskip(NEXT) | instid1(VALU_DEP_1)
	v_fma_f32 v162, -v162, v164, v165
	v_div_fmas_f32 v162, v162, v163, v164
	s_delay_alu instid0(VALU_DEP_1) | instskip(NEXT) | instid1(VALU_DEP_1)
	v_div_fixup_f32 v162, v162, v161, v160
	v_fmac_f32_e32 v161, v160, v162
	s_delay_alu instid0(VALU_DEP_1) | instskip(SKIP_1) | instid1(VALU_DEP_2)
	v_div_scale_f32 v160, null, v161, v161, 1.0
	v_div_scale_f32 v165, vcc_lo, 1.0, v161, 1.0
	v_rcp_f32_e32 v163, v160
	v_nop
	s_delay_alu instid0(TRANS32_DEP_1) | instskip(NEXT) | instid1(VALU_DEP_1)
	v_fma_f32 v164, -v160, v163, 1.0
	v_fmac_f32_e32 v163, v164, v163
	s_delay_alu instid0(VALU_DEP_1) | instskip(NEXT) | instid1(VALU_DEP_1)
	v_mul_f32_e32 v164, v165, v163
	v_fma_f32 v166, -v160, v164, v165
	s_delay_alu instid0(VALU_DEP_1) | instskip(NEXT) | instid1(VALU_DEP_1)
	v_fmac_f32_e32 v164, v166, v163
	v_fma_f32 v160, -v160, v164, v165
	s_delay_alu instid0(VALU_DEP_1) | instskip(NEXT) | instid1(VALU_DEP_1)
	v_div_fmas_f32 v160, v160, v163, v164
	v_div_fixup_f32 v160, v160, v161, 1.0
	s_delay_alu instid0(VALU_DEP_1)
	v_mul_f32_e32 v162, v162, v160
	v_xor_b32_e32 v163, 0x80000000, v160
                                        ; implicit-def: $vgpr160_vgpr161
.LBB61_158:
	s_and_not1_saveexec_b32 s1, s1
	s_cbranch_execz .LBB61_160
; %bb.159:
	v_div_scale_f32 v162, null, v160, v160, v161
	v_div_scale_f32 v165, vcc_lo, v161, v160, v161
	s_delay_alu instid0(VALU_DEP_2) | instskip(SKIP_1) | instid1(TRANS32_DEP_1)
	v_rcp_f32_e32 v163, v162
	v_nop
	v_fma_f32 v164, -v162, v163, 1.0
	s_delay_alu instid0(VALU_DEP_1) | instskip(NEXT) | instid1(VALU_DEP_1)
	v_fmac_f32_e32 v163, v164, v163
	v_mul_f32_e32 v164, v165, v163
	s_delay_alu instid0(VALU_DEP_1) | instskip(NEXT) | instid1(VALU_DEP_1)
	v_fma_f32 v166, -v162, v164, v165
	v_fmac_f32_e32 v164, v166, v163
	s_delay_alu instid0(VALU_DEP_1) | instskip(NEXT) | instid1(VALU_DEP_1)
	v_fma_f32 v162, -v162, v164, v165
	v_div_fmas_f32 v162, v162, v163, v164
	s_delay_alu instid0(VALU_DEP_1) | instskip(NEXT) | instid1(VALU_DEP_1)
	v_div_fixup_f32 v163, v162, v160, v161
	v_fmac_f32_e32 v160, v161, v163
	s_delay_alu instid0(VALU_DEP_1) | instskip(NEXT) | instid1(VALU_DEP_1)
	v_div_scale_f32 v161, null, v160, v160, 1.0
	v_rcp_f32_e32 v162, v161
	v_nop
	s_delay_alu instid0(TRANS32_DEP_1) | instskip(NEXT) | instid1(VALU_DEP_1)
	v_fma_f32 v164, -v161, v162, 1.0
	v_fmac_f32_e32 v162, v164, v162
	v_div_scale_f32 v164, vcc_lo, 1.0, v160, 1.0
	s_delay_alu instid0(VALU_DEP_1) | instskip(NEXT) | instid1(VALU_DEP_1)
	v_mul_f32_e32 v165, v164, v162
	v_fma_f32 v166, -v161, v165, v164
	s_delay_alu instid0(VALU_DEP_1) | instskip(NEXT) | instid1(VALU_DEP_1)
	v_fmac_f32_e32 v165, v166, v162
	v_fma_f32 v161, -v161, v165, v164
	s_delay_alu instid0(VALU_DEP_1) | instskip(NEXT) | instid1(VALU_DEP_1)
	v_div_fmas_f32 v161, v161, v162, v165
	v_div_fixup_f32 v162, v161, v160, 1.0
	s_delay_alu instid0(VALU_DEP_1)
	v_mul_f32_e64 v163, v163, -v162
.LBB61_160:
	s_or_b32 exec_lo, exec_lo, s1
	ds_store_b64 v189, v[162:163]
.LBB61_161:
	s_or_b32 exec_lo, exec_lo, s2
	s_wait_dscnt 0x0
	s_barrier_signal -1
	s_barrier_wait -1
	ds_load_b64 v[160:161], v189
	s_mov_b32 s1, exec_lo
	v_cmpx_lt_u32_e32 17, v188
	s_cbranch_execz .LBB61_163
; %bb.162:
	s_wait_dscnt 0x0
	v_pk_mul_f32 v[162:163], v[160:161], v[74:75] op_sel:[1,1] op_sel_hi:[0,1]
	s_delay_alu instid0(VALU_DEP_1)
	v_pk_fma_f32 v[166:167], v[160:161], v[74:75], v[162:163] op_sel_hi:[1,0,1] neg_lo:[0,0,1] neg_hi:[0,0,1]
	v_pk_fma_f32 v[168:169], v[160:161], v[74:75], v[162:163] op_sel_hi:[1,0,1]
	ds_load_2addr_b64 v[162:165], v190 offset0:18 offset1:19
	v_dual_mov_b32 v74, v166 :: v_dual_mov_b32 v75, v169
	s_wait_dscnt 0x0
	v_pk_mul_f32 v[170:171], v[162:163], v[168:169] op_sel:[0,1]
	s_delay_alu instid0(VALU_DEP_1) | instskip(SKIP_1) | instid1(VALU_DEP_1)
	v_pk_fma_f32 v[172:173], v[162:163], v[166:167], v[170:171] op_sel:[0,0,1] op_sel_hi:[1,1,0] neg_lo:[0,0,1] neg_hi:[0,0,1]
	v_pk_fma_f32 v[162:163], v[162:163], v[166:167], v[170:171] op_sel:[0,0,1] op_sel_hi:[1,0,0]
	v_mov_b32_e32 v173, v163
	v_pk_mul_f32 v[162:163], v[164:165], v[168:169] op_sel:[0,1]
	s_delay_alu instid0(VALU_DEP_1) | instskip(SKIP_1) | instid1(VALU_DEP_1)
	v_pk_fma_f32 v[170:171], v[164:165], v[166:167], v[162:163] op_sel:[0,0,1] op_sel_hi:[1,1,0] neg_lo:[0,0,1] neg_hi:[0,0,1]
	v_pk_fma_f32 v[162:163], v[164:165], v[166:167], v[162:163] op_sel:[0,0,1] op_sel_hi:[1,0,0]
	v_mov_b32_e32 v171, v163
	ds_load_2addr_b64 v[162:165], v190 offset0:20 offset1:21
	v_pk_add_f32 v[76:77], v[76:77], v[172:173] neg_lo:[0,1] neg_hi:[0,1]
	v_pk_add_f32 v[72:73], v[72:73], v[170:171] neg_lo:[0,1] neg_hi:[0,1]
	s_wait_dscnt 0x0
	v_pk_mul_f32 v[170:171], v[162:163], v[168:169] op_sel:[0,1]
	s_delay_alu instid0(VALU_DEP_1) | instskip(SKIP_2) | instid1(VALU_DEP_2)
	v_pk_fma_f32 v[172:173], v[162:163], v[166:167], v[170:171] op_sel:[0,0,1] op_sel_hi:[1,1,0] neg_lo:[0,0,1] neg_hi:[0,0,1]
	v_pk_fma_f32 v[162:163], v[162:163], v[166:167], v[170:171] op_sel:[0,0,1] op_sel_hi:[1,0,0]
	v_dual_mul_f32 v170, v165, v169 :: v_dual_mov_b32 v162, v165
	v_dual_mov_b32 v173, v163 :: v_dual_mov_b32 v163, v164
	s_delay_alu instid0(VALU_DEP_2) | instskip(SKIP_1) | instid1(VALU_DEP_3)
	v_pk_fma_f32 v[170:171], v[164:165], v[74:75], v[170:171] op_sel_hi:[1,1,0] neg_lo:[0,0,1] neg_hi:[0,0,1]
	v_mul_f32_e32 v164, v165, v166
	v_pk_add_f32 v[100:101], v[100:101], v[172:173] neg_lo:[0,1] neg_hi:[0,1]
	s_delay_alu instid0(VALU_DEP_2) | instskip(NEXT) | instid1(VALU_DEP_1)
	v_pk_fma_f32 v[162:163], v[162:163], v[74:75], v[164:165] op_sel_hi:[1,1,0]
	v_mov_b32_e32 v171, v163
	ds_load_2addr_b64 v[162:165], v190 offset0:22 offset1:23
	v_pk_add_f32 v[96:97], v[96:97], v[170:171] neg_lo:[0,1] neg_hi:[0,1]
	s_wait_dscnt 0x0
	v_pk_mul_f32 v[170:171], v[162:163], v[168:169] op_sel:[0,1]
	s_delay_alu instid0(VALU_DEP_1) | instskip(SKIP_1) | instid1(VALU_DEP_1)
	v_pk_fma_f32 v[172:173], v[162:163], v[166:167], v[170:171] op_sel:[0,0,1] op_sel_hi:[1,1,0] neg_lo:[0,0,1] neg_hi:[0,0,1]
	v_pk_fma_f32 v[162:163], v[162:163], v[166:167], v[170:171] op_sel:[0,0,1] op_sel_hi:[1,0,0]
	v_mov_b32_e32 v173, v163
	v_pk_mul_f32 v[162:163], v[164:165], v[168:169] op_sel:[0,1]
	s_delay_alu instid0(VALU_DEP_1) | instskip(SKIP_1) | instid1(VALU_DEP_1)
	v_pk_fma_f32 v[170:171], v[164:165], v[166:167], v[162:163] op_sel:[0,0,1] op_sel_hi:[1,1,0] neg_lo:[0,0,1] neg_hi:[0,0,1]
	v_pk_fma_f32 v[162:163], v[164:165], v[166:167], v[162:163] op_sel:[0,0,1] op_sel_hi:[1,0,0]
	v_mov_b32_e32 v171, v163
	ds_load_2addr_b64 v[162:165], v190 offset0:24 offset1:25
	v_pk_add_f32 v[98:99], v[98:99], v[172:173] neg_lo:[0,1] neg_hi:[0,1]
	v_pk_add_f32 v[94:95], v[94:95], v[170:171] neg_lo:[0,1] neg_hi:[0,1]
	s_wait_dscnt 0x0
	v_pk_mul_f32 v[170:171], v[162:163], v[168:169] op_sel:[0,1]
	s_delay_alu instid0(VALU_DEP_1) | instskip(SKIP_1) | instid1(VALU_DEP_1)
	v_pk_fma_f32 v[172:173], v[162:163], v[166:167], v[170:171] op_sel:[0,0,1] op_sel_hi:[1,1,0] neg_lo:[0,0,1] neg_hi:[0,0,1]
	v_pk_fma_f32 v[162:163], v[162:163], v[166:167], v[170:171] op_sel:[0,0,1] op_sel_hi:[1,0,0]
	v_mov_b32_e32 v173, v163
	v_pk_mul_f32 v[162:163], v[164:165], v[168:169] op_sel:[0,1]
	s_delay_alu instid0(VALU_DEP_1) | instskip(SKIP_1) | instid1(VALU_DEP_1)
	v_pk_fma_f32 v[170:171], v[164:165], v[166:167], v[162:163] op_sel:[0,0,1] op_sel_hi:[1,1,0] neg_lo:[0,0,1] neg_hi:[0,0,1]
	v_pk_fma_f32 v[162:163], v[164:165], v[166:167], v[162:163] op_sel:[0,0,1] op_sel_hi:[1,0,0]
	v_mov_b32_e32 v171, v163
	ds_load_2addr_b64 v[162:165], v190 offset0:26 offset1:27
	v_pk_add_f32 v[116:117], v[116:117], v[172:173] neg_lo:[0,1] neg_hi:[0,1]
	v_pk_add_f32 v[112:113], v[112:113], v[170:171] neg_lo:[0,1] neg_hi:[0,1]
	s_wait_dscnt 0x0
	v_dual_mul_f32 v170, v163, v169 :: v_dual_mul_f32 v172, v163, v166
	s_delay_alu instid0(VALU_DEP_1) | instskip(NEXT) | instid1(VALU_DEP_2)
	v_pk_fma_f32 v[170:171], v[162:163], v[74:75], v[170:171] op_sel_hi:[1,1,0] neg_lo:[0,0,1] neg_hi:[0,0,1]
	v_pk_fma_f32 v[162:163], v[162:163], v[74:75], v[172:173] op_sel:[1,0,0] op_sel_hi:[0,1,0]
	s_delay_alu instid0(VALU_DEP_1) | instskip(SKIP_1) | instid1(VALU_DEP_2)
	v_mov_b32_e32 v171, v163
	v_pk_mul_f32 v[162:163], v[164:165], v[168:169] op_sel:[0,1]
	v_pk_add_f32 v[114:115], v[114:115], v[170:171] neg_lo:[0,1] neg_hi:[0,1]
	s_delay_alu instid0(VALU_DEP_2) | instskip(SKIP_1) | instid1(VALU_DEP_1)
	v_pk_fma_f32 v[170:171], v[164:165], v[166:167], v[162:163] op_sel:[0,0,1] op_sel_hi:[1,1,0] neg_lo:[0,0,1] neg_hi:[0,0,1]
	v_pk_fma_f32 v[162:163], v[164:165], v[166:167], v[162:163] op_sel:[0,0,1] op_sel_hi:[1,0,0]
	v_mov_b32_e32 v171, v163
	ds_load_2addr_b64 v[162:165], v190 offset0:28 offset1:29
	v_pk_add_f32 v[122:123], v[122:123], v[170:171] neg_lo:[0,1] neg_hi:[0,1]
	s_wait_dscnt 0x0
	v_pk_mul_f32 v[170:171], v[162:163], v[168:169] op_sel:[0,1]
	s_delay_alu instid0(VALU_DEP_1) | instskip(SKIP_1) | instid1(VALU_DEP_1)
	v_pk_fma_f32 v[172:173], v[162:163], v[166:167], v[170:171] op_sel:[0,0,1] op_sel_hi:[1,1,0] neg_lo:[0,0,1] neg_hi:[0,0,1]
	v_pk_fma_f32 v[162:163], v[162:163], v[166:167], v[170:171] op_sel:[0,0,1] op_sel_hi:[1,0,0]
	v_mov_b32_e32 v173, v163
	v_pk_mul_f32 v[162:163], v[164:165], v[168:169] op_sel:[0,1]
	s_delay_alu instid0(VALU_DEP_2) | instskip(NEXT) | instid1(VALU_DEP_2)
	v_pk_add_f32 v[120:121], v[120:121], v[172:173] neg_lo:[0,1] neg_hi:[0,1]
	v_pk_fma_f32 v[170:171], v[164:165], v[166:167], v[162:163] op_sel:[0,0,1] op_sel_hi:[1,1,0] neg_lo:[0,0,1] neg_hi:[0,0,1]
	v_pk_fma_f32 v[162:163], v[164:165], v[166:167], v[162:163] op_sel:[0,0,1] op_sel_hi:[1,0,0]
	s_delay_alu instid0(VALU_DEP_1) | instskip(SKIP_4) | instid1(VALU_DEP_1)
	v_mov_b32_e32 v171, v163
	ds_load_b64 v[162:163], v190 offset:240
	v_pk_add_f32 v[118:119], v[118:119], v[170:171] neg_lo:[0,1] neg_hi:[0,1]
	s_wait_dscnt 0x0
	v_pk_mul_f32 v[164:165], v[162:163], v[168:169] op_sel:[0,1]
	v_pk_fma_f32 v[168:169], v[162:163], v[166:167], v[164:165] op_sel:[0,0,1] op_sel_hi:[1,1,0] neg_lo:[0,0,1] neg_hi:[0,0,1]
	v_pk_fma_f32 v[162:163], v[162:163], v[166:167], v[164:165] op_sel:[0,0,1] op_sel_hi:[1,0,0]
	s_delay_alu instid0(VALU_DEP_1) | instskip(NEXT) | instid1(VALU_DEP_1)
	v_mov_b32_e32 v169, v163
	v_pk_add_f32 v[124:125], v[124:125], v[168:169] neg_lo:[0,1] neg_hi:[0,1]
.LBB61_163:
	s_or_b32 exec_lo, exec_lo, s1
	s_delay_alu instid0(SALU_CYCLE_1)
	s_mov_b32 s2, exec_lo
	s_wait_dscnt 0x0
	s_barrier_signal -1
	s_barrier_wait -1
	v_cmpx_eq_u32_e32 18, v188
	s_cbranch_execz .LBB61_170
; %bb.164:
	ds_store_b64 v189, v[76:77]
	ds_store_2addr_b64 v190, v[72:73], v[100:101] offset0:19 offset1:20
	ds_store_2addr_b64 v190, v[96:97], v[98:99] offset0:21 offset1:22
	ds_store_2addr_b64 v190, v[94:95], v[116:117] offset0:23 offset1:24
	ds_store_2addr_b64 v190, v[112:113], v[114:115] offset0:25 offset1:26
	ds_store_2addr_b64 v190, v[122:123], v[120:121] offset0:27 offset1:28
	ds_store_2addr_b64 v190, v[118:119], v[124:125] offset0:29 offset1:30
	ds_load_b64 v[162:163], v189
	s_wait_dscnt 0x0
	v_cmp_neq_f32_e32 vcc_lo, 0, v162
	v_cmp_neq_f32_e64 s1, 0, v163
	s_or_b32 s1, vcc_lo, s1
	s_delay_alu instid0(SALU_CYCLE_1)
	s_and_b32 exec_lo, exec_lo, s1
	s_cbranch_execz .LBB61_170
; %bb.165:
	v_cmp_ngt_f32_e64 s1, |v162|, |v163|
                                        ; implicit-def: $vgpr164_vgpr165
	s_and_saveexec_b32 s4, s1
	s_delay_alu instid0(SALU_CYCLE_1)
	s_xor_b32 s1, exec_lo, s4
	s_cbranch_execz .LBB61_167
; %bb.166:
	v_div_scale_f32 v164, null, v163, v163, v162
	v_div_scale_f32 v167, vcc_lo, v162, v163, v162
	s_delay_alu instid0(VALU_DEP_2) | instskip(SKIP_1) | instid1(TRANS32_DEP_1)
	v_rcp_f32_e32 v165, v164
	v_nop
	v_fma_f32 v166, -v164, v165, 1.0
	s_delay_alu instid0(VALU_DEP_1) | instskip(NEXT) | instid1(VALU_DEP_1)
	v_fmac_f32_e32 v165, v166, v165
	v_mul_f32_e32 v166, v167, v165
	s_delay_alu instid0(VALU_DEP_1) | instskip(NEXT) | instid1(VALU_DEP_1)
	v_fma_f32 v168, -v164, v166, v167
	v_fmac_f32_e32 v166, v168, v165
	s_delay_alu instid0(VALU_DEP_1) | instskip(NEXT) | instid1(VALU_DEP_1)
	v_fma_f32 v164, -v164, v166, v167
	v_div_fmas_f32 v164, v164, v165, v166
	s_delay_alu instid0(VALU_DEP_1) | instskip(NEXT) | instid1(VALU_DEP_1)
	v_div_fixup_f32 v164, v164, v163, v162
	v_fmac_f32_e32 v163, v162, v164
	s_delay_alu instid0(VALU_DEP_1) | instskip(SKIP_1) | instid1(VALU_DEP_2)
	v_div_scale_f32 v162, null, v163, v163, 1.0
	v_div_scale_f32 v167, vcc_lo, 1.0, v163, 1.0
	v_rcp_f32_e32 v165, v162
	v_nop
	s_delay_alu instid0(TRANS32_DEP_1) | instskip(NEXT) | instid1(VALU_DEP_1)
	v_fma_f32 v166, -v162, v165, 1.0
	v_fmac_f32_e32 v165, v166, v165
	s_delay_alu instid0(VALU_DEP_1) | instskip(NEXT) | instid1(VALU_DEP_1)
	v_mul_f32_e32 v166, v167, v165
	v_fma_f32 v168, -v162, v166, v167
	s_delay_alu instid0(VALU_DEP_1) | instskip(NEXT) | instid1(VALU_DEP_1)
	v_fmac_f32_e32 v166, v168, v165
	v_fma_f32 v162, -v162, v166, v167
	s_delay_alu instid0(VALU_DEP_1) | instskip(NEXT) | instid1(VALU_DEP_1)
	v_div_fmas_f32 v162, v162, v165, v166
	v_div_fixup_f32 v162, v162, v163, 1.0
	s_delay_alu instid0(VALU_DEP_1)
	v_mul_f32_e32 v164, v164, v162
	v_xor_b32_e32 v165, 0x80000000, v162
                                        ; implicit-def: $vgpr162_vgpr163
.LBB61_167:
	s_and_not1_saveexec_b32 s1, s1
	s_cbranch_execz .LBB61_169
; %bb.168:
	v_div_scale_f32 v164, null, v162, v162, v163
	v_div_scale_f32 v167, vcc_lo, v163, v162, v163
	s_delay_alu instid0(VALU_DEP_2) | instskip(SKIP_1) | instid1(TRANS32_DEP_1)
	v_rcp_f32_e32 v165, v164
	v_nop
	v_fma_f32 v166, -v164, v165, 1.0
	s_delay_alu instid0(VALU_DEP_1) | instskip(NEXT) | instid1(VALU_DEP_1)
	v_fmac_f32_e32 v165, v166, v165
	v_mul_f32_e32 v166, v167, v165
	s_delay_alu instid0(VALU_DEP_1) | instskip(NEXT) | instid1(VALU_DEP_1)
	v_fma_f32 v168, -v164, v166, v167
	v_fmac_f32_e32 v166, v168, v165
	s_delay_alu instid0(VALU_DEP_1) | instskip(NEXT) | instid1(VALU_DEP_1)
	v_fma_f32 v164, -v164, v166, v167
	v_div_fmas_f32 v164, v164, v165, v166
	s_delay_alu instid0(VALU_DEP_1) | instskip(NEXT) | instid1(VALU_DEP_1)
	v_div_fixup_f32 v165, v164, v162, v163
	v_fmac_f32_e32 v162, v163, v165
	s_delay_alu instid0(VALU_DEP_1) | instskip(NEXT) | instid1(VALU_DEP_1)
	v_div_scale_f32 v163, null, v162, v162, 1.0
	v_rcp_f32_e32 v164, v163
	v_nop
	s_delay_alu instid0(TRANS32_DEP_1) | instskip(NEXT) | instid1(VALU_DEP_1)
	v_fma_f32 v166, -v163, v164, 1.0
	v_fmac_f32_e32 v164, v166, v164
	v_div_scale_f32 v166, vcc_lo, 1.0, v162, 1.0
	s_delay_alu instid0(VALU_DEP_1) | instskip(NEXT) | instid1(VALU_DEP_1)
	v_mul_f32_e32 v167, v166, v164
	v_fma_f32 v168, -v163, v167, v166
	s_delay_alu instid0(VALU_DEP_1) | instskip(NEXT) | instid1(VALU_DEP_1)
	v_fmac_f32_e32 v167, v168, v164
	v_fma_f32 v163, -v163, v167, v166
	s_delay_alu instid0(VALU_DEP_1) | instskip(NEXT) | instid1(VALU_DEP_1)
	v_div_fmas_f32 v163, v163, v164, v167
	v_div_fixup_f32 v164, v163, v162, 1.0
	s_delay_alu instid0(VALU_DEP_1)
	v_mul_f32_e64 v165, v165, -v164
.LBB61_169:
	s_or_b32 exec_lo, exec_lo, s1
	ds_store_b64 v189, v[164:165]
.LBB61_170:
	s_or_b32 exec_lo, exec_lo, s2
	s_wait_dscnt 0x0
	s_barrier_signal -1
	s_barrier_wait -1
	ds_load_b64 v[162:163], v189
	s_mov_b32 s1, exec_lo
	v_cmpx_lt_u32_e32 18, v188
	s_cbranch_execz .LBB61_172
; %bb.171:
	s_wait_dscnt 0x0
	v_pk_mul_f32 v[164:165], v[162:163], v[76:77] op_sel:[1,1] op_sel_hi:[0,1]
	s_delay_alu instid0(VALU_DEP_1)
	v_pk_fma_f32 v[168:169], v[162:163], v[76:77], v[164:165] op_sel_hi:[1,0,1] neg_lo:[0,0,1] neg_hi:[0,0,1]
	v_pk_fma_f32 v[170:171], v[162:163], v[76:77], v[164:165] op_sel_hi:[1,0,1]
	ds_load_2addr_b64 v[164:167], v190 offset0:19 offset1:20
	v_dual_mov_b32 v76, v168 :: v_dual_mov_b32 v77, v171
	s_wait_dscnt 0x0
	v_pk_mul_f32 v[172:173], v[164:165], v[170:171] op_sel:[0,1]
	s_delay_alu instid0(VALU_DEP_1) | instskip(SKIP_1) | instid1(VALU_DEP_1)
	v_pk_fma_f32 v[174:175], v[164:165], v[168:169], v[172:173] op_sel:[0,0,1] op_sel_hi:[1,1,0] neg_lo:[0,0,1] neg_hi:[0,0,1]
	v_pk_fma_f32 v[164:165], v[164:165], v[168:169], v[172:173] op_sel:[0,0,1] op_sel_hi:[1,0,0]
	v_mov_b32_e32 v175, v165
	v_pk_mul_f32 v[164:165], v[166:167], v[170:171] op_sel:[0,1]
	s_delay_alu instid0(VALU_DEP_1) | instskip(SKIP_1) | instid1(VALU_DEP_1)
	v_pk_fma_f32 v[172:173], v[166:167], v[168:169], v[164:165] op_sel:[0,0,1] op_sel_hi:[1,1,0] neg_lo:[0,0,1] neg_hi:[0,0,1]
	v_pk_fma_f32 v[164:165], v[166:167], v[168:169], v[164:165] op_sel:[0,0,1] op_sel_hi:[1,0,0]
	v_mov_b32_e32 v173, v165
	ds_load_2addr_b64 v[164:167], v190 offset0:21 offset1:22
	v_pk_add_f32 v[72:73], v[72:73], v[174:175] neg_lo:[0,1] neg_hi:[0,1]
	v_pk_add_f32 v[100:101], v[100:101], v[172:173] neg_lo:[0,1] neg_hi:[0,1]
	s_wait_dscnt 0x0
	v_pk_mul_f32 v[172:173], v[164:165], v[170:171] op_sel:[0,1]
	s_delay_alu instid0(VALU_DEP_1) | instskip(SKIP_2) | instid1(VALU_DEP_2)
	v_pk_fma_f32 v[174:175], v[164:165], v[168:169], v[172:173] op_sel:[0,0,1] op_sel_hi:[1,1,0] neg_lo:[0,0,1] neg_hi:[0,0,1]
	v_pk_fma_f32 v[164:165], v[164:165], v[168:169], v[172:173] op_sel:[0,0,1] op_sel_hi:[1,0,0]
	v_dual_mul_f32 v172, v167, v171 :: v_dual_mov_b32 v164, v167
	v_dual_mov_b32 v175, v165 :: v_dual_mov_b32 v165, v166
	s_delay_alu instid0(VALU_DEP_2) | instskip(SKIP_1) | instid1(VALU_DEP_3)
	v_pk_fma_f32 v[172:173], v[166:167], v[76:77], v[172:173] op_sel_hi:[1,1,0] neg_lo:[0,0,1] neg_hi:[0,0,1]
	v_mul_f32_e32 v166, v167, v168
	v_pk_add_f32 v[96:97], v[96:97], v[174:175] neg_lo:[0,1] neg_hi:[0,1]
	s_delay_alu instid0(VALU_DEP_2) | instskip(NEXT) | instid1(VALU_DEP_1)
	v_pk_fma_f32 v[164:165], v[164:165], v[76:77], v[166:167] op_sel_hi:[1,1,0]
	v_mov_b32_e32 v173, v165
	ds_load_2addr_b64 v[164:167], v190 offset0:23 offset1:24
	v_pk_add_f32 v[98:99], v[98:99], v[172:173] neg_lo:[0,1] neg_hi:[0,1]
	s_wait_dscnt 0x0
	v_pk_mul_f32 v[172:173], v[164:165], v[170:171] op_sel:[0,1]
	s_delay_alu instid0(VALU_DEP_1) | instskip(SKIP_1) | instid1(VALU_DEP_1)
	v_pk_fma_f32 v[174:175], v[164:165], v[168:169], v[172:173] op_sel:[0,0,1] op_sel_hi:[1,1,0] neg_lo:[0,0,1] neg_hi:[0,0,1]
	v_pk_fma_f32 v[164:165], v[164:165], v[168:169], v[172:173] op_sel:[0,0,1] op_sel_hi:[1,0,0]
	v_mov_b32_e32 v175, v165
	v_pk_mul_f32 v[164:165], v[166:167], v[170:171] op_sel:[0,1]
	s_delay_alu instid0(VALU_DEP_1) | instskip(SKIP_1) | instid1(VALU_DEP_1)
	v_pk_fma_f32 v[172:173], v[166:167], v[168:169], v[164:165] op_sel:[0,0,1] op_sel_hi:[1,1,0] neg_lo:[0,0,1] neg_hi:[0,0,1]
	v_pk_fma_f32 v[164:165], v[166:167], v[168:169], v[164:165] op_sel:[0,0,1] op_sel_hi:[1,0,0]
	v_mov_b32_e32 v173, v165
	ds_load_2addr_b64 v[164:167], v190 offset0:25 offset1:26
	v_pk_add_f32 v[94:95], v[94:95], v[174:175] neg_lo:[0,1] neg_hi:[0,1]
	v_pk_add_f32 v[116:117], v[116:117], v[172:173] neg_lo:[0,1] neg_hi:[0,1]
	s_wait_dscnt 0x0
	v_pk_mul_f32 v[172:173], v[164:165], v[170:171] op_sel:[0,1]
	s_delay_alu instid0(VALU_DEP_1) | instskip(SKIP_1) | instid1(VALU_DEP_1)
	v_pk_fma_f32 v[174:175], v[164:165], v[168:169], v[172:173] op_sel:[0,0,1] op_sel_hi:[1,1,0] neg_lo:[0,0,1] neg_hi:[0,0,1]
	v_pk_fma_f32 v[164:165], v[164:165], v[168:169], v[172:173] op_sel:[0,0,1] op_sel_hi:[1,0,0]
	v_mov_b32_e32 v175, v165
	v_pk_mul_f32 v[164:165], v[166:167], v[170:171] op_sel:[0,1]
	s_delay_alu instid0(VALU_DEP_1) | instskip(SKIP_1) | instid1(VALU_DEP_1)
	v_pk_fma_f32 v[172:173], v[166:167], v[168:169], v[164:165] op_sel:[0,0,1] op_sel_hi:[1,1,0] neg_lo:[0,0,1] neg_hi:[0,0,1]
	v_pk_fma_f32 v[164:165], v[166:167], v[168:169], v[164:165] op_sel:[0,0,1] op_sel_hi:[1,0,0]
	v_mov_b32_e32 v173, v165
	ds_load_2addr_b64 v[164:167], v190 offset0:27 offset1:28
	v_pk_add_f32 v[112:113], v[112:113], v[174:175] neg_lo:[0,1] neg_hi:[0,1]
	v_pk_add_f32 v[114:115], v[114:115], v[172:173] neg_lo:[0,1] neg_hi:[0,1]
	s_wait_dscnt 0x0
	v_dual_mul_f32 v172, v165, v171 :: v_dual_mul_f32 v174, v165, v168
	s_delay_alu instid0(VALU_DEP_1) | instskip(NEXT) | instid1(VALU_DEP_2)
	v_pk_fma_f32 v[172:173], v[164:165], v[76:77], v[172:173] op_sel_hi:[1,1,0] neg_lo:[0,0,1] neg_hi:[0,0,1]
	v_pk_fma_f32 v[164:165], v[164:165], v[76:77], v[174:175] op_sel:[1,0,0] op_sel_hi:[0,1,0]
	s_delay_alu instid0(VALU_DEP_1) | instskip(SKIP_1) | instid1(VALU_DEP_2)
	v_mov_b32_e32 v173, v165
	v_pk_mul_f32 v[164:165], v[166:167], v[170:171] op_sel:[0,1]
	v_pk_add_f32 v[122:123], v[122:123], v[172:173] neg_lo:[0,1] neg_hi:[0,1]
	s_delay_alu instid0(VALU_DEP_2) | instskip(SKIP_1) | instid1(VALU_DEP_1)
	v_pk_fma_f32 v[172:173], v[166:167], v[168:169], v[164:165] op_sel:[0,0,1] op_sel_hi:[1,1,0] neg_lo:[0,0,1] neg_hi:[0,0,1]
	v_pk_fma_f32 v[164:165], v[166:167], v[168:169], v[164:165] op_sel:[0,0,1] op_sel_hi:[1,0,0]
	v_mov_b32_e32 v173, v165
	ds_load_2addr_b64 v[164:167], v190 offset0:29 offset1:30
	v_pk_add_f32 v[120:121], v[120:121], v[172:173] neg_lo:[0,1] neg_hi:[0,1]
	s_wait_dscnt 0x0
	v_pk_mul_f32 v[172:173], v[164:165], v[170:171] op_sel:[0,1]
	v_mul_f32_e32 v170, v167, v171
	s_delay_alu instid0(VALU_DEP_2) | instskip(SKIP_2) | instid1(VALU_DEP_4)
	v_pk_fma_f32 v[174:175], v[164:165], v[168:169], v[172:173] op_sel:[0,0,1] op_sel_hi:[1,1,0] neg_lo:[0,0,1] neg_hi:[0,0,1]
	v_pk_fma_f32 v[164:165], v[164:165], v[168:169], v[172:173] op_sel:[0,0,1] op_sel_hi:[1,0,0]
	v_mov_b32_e32 v164, v167
	v_pk_fma_f32 v[170:171], v[166:167], v[76:77], v[170:171] op_sel_hi:[1,1,0] neg_lo:[0,0,1] neg_hi:[0,0,1]
	s_delay_alu instid0(VALU_DEP_3) | instskip(SKIP_1) | instid1(VALU_DEP_2)
	v_dual_mov_b32 v175, v165 :: v_dual_mov_b32 v165, v166
	v_mul_f32_e32 v166, v167, v168
	v_pk_add_f32 v[118:119], v[118:119], v[174:175] neg_lo:[0,1] neg_hi:[0,1]
	s_delay_alu instid0(VALU_DEP_2) | instskip(NEXT) | instid1(VALU_DEP_1)
	v_pk_fma_f32 v[164:165], v[164:165], v[76:77], v[166:167] op_sel_hi:[1,1,0]
	v_mov_b32_e32 v171, v165
	s_delay_alu instid0(VALU_DEP_1)
	v_pk_add_f32 v[124:125], v[124:125], v[170:171] neg_lo:[0,1] neg_hi:[0,1]
.LBB61_172:
	s_or_b32 exec_lo, exec_lo, s1
	s_delay_alu instid0(SALU_CYCLE_1)
	s_mov_b32 s2, exec_lo
	s_wait_dscnt 0x0
	s_barrier_signal -1
	s_barrier_wait -1
	v_cmpx_eq_u32_e32 19, v188
	s_cbranch_execz .LBB61_179
; %bb.173:
	v_dual_mov_b32 v164, v100 :: v_dual_mov_b32 v165, v101
	v_dual_mov_b32 v166, v96 :: v_dual_mov_b32 v167, v97
	;; [unrolled: 1-line block ×10, first 2 shown]
	ds_store_b64 v189, v[72:73]
	ds_store_2addr_b64 v190, v[164:165], v[166:167] offset0:20 offset1:21
	ds_store_2addr_b64 v190, v[168:169], v[170:171] offset0:22 offset1:23
	;; [unrolled: 1-line block ×5, first 2 shown]
	ds_store_b64 v190, v[124:125] offset:240
	ds_load_b64 v[164:165], v189
	s_wait_dscnt 0x0
	v_cmp_neq_f32_e32 vcc_lo, 0, v164
	v_cmp_neq_f32_e64 s1, 0, v165
	s_or_b32 s1, vcc_lo, s1
	s_delay_alu instid0(SALU_CYCLE_1)
	s_and_b32 exec_lo, exec_lo, s1
	s_cbranch_execz .LBB61_179
; %bb.174:
	v_cmp_ngt_f32_e64 s1, |v164|, |v165|
                                        ; implicit-def: $vgpr166_vgpr167
	s_and_saveexec_b32 s4, s1
	s_delay_alu instid0(SALU_CYCLE_1)
	s_xor_b32 s1, exec_lo, s4
	s_cbranch_execz .LBB61_176
; %bb.175:
	v_div_scale_f32 v166, null, v165, v165, v164
	v_div_scale_f32 v169, vcc_lo, v164, v165, v164
	s_delay_alu instid0(VALU_DEP_2) | instskip(SKIP_1) | instid1(TRANS32_DEP_1)
	v_rcp_f32_e32 v167, v166
	v_nop
	v_fma_f32 v168, -v166, v167, 1.0
	s_delay_alu instid0(VALU_DEP_1) | instskip(NEXT) | instid1(VALU_DEP_1)
	v_fmac_f32_e32 v167, v168, v167
	v_mul_f32_e32 v168, v169, v167
	s_delay_alu instid0(VALU_DEP_1) | instskip(NEXT) | instid1(VALU_DEP_1)
	v_fma_f32 v170, -v166, v168, v169
	v_fmac_f32_e32 v168, v170, v167
	s_delay_alu instid0(VALU_DEP_1) | instskip(NEXT) | instid1(VALU_DEP_1)
	v_fma_f32 v166, -v166, v168, v169
	v_div_fmas_f32 v166, v166, v167, v168
	s_delay_alu instid0(VALU_DEP_1) | instskip(NEXT) | instid1(VALU_DEP_1)
	v_div_fixup_f32 v166, v166, v165, v164
	v_fmac_f32_e32 v165, v164, v166
	s_delay_alu instid0(VALU_DEP_1) | instskip(SKIP_1) | instid1(VALU_DEP_2)
	v_div_scale_f32 v164, null, v165, v165, 1.0
	v_div_scale_f32 v169, vcc_lo, 1.0, v165, 1.0
	v_rcp_f32_e32 v167, v164
	v_nop
	s_delay_alu instid0(TRANS32_DEP_1) | instskip(NEXT) | instid1(VALU_DEP_1)
	v_fma_f32 v168, -v164, v167, 1.0
	v_fmac_f32_e32 v167, v168, v167
	s_delay_alu instid0(VALU_DEP_1) | instskip(NEXT) | instid1(VALU_DEP_1)
	v_mul_f32_e32 v168, v169, v167
	v_fma_f32 v170, -v164, v168, v169
	s_delay_alu instid0(VALU_DEP_1) | instskip(NEXT) | instid1(VALU_DEP_1)
	v_fmac_f32_e32 v168, v170, v167
	v_fma_f32 v164, -v164, v168, v169
	s_delay_alu instid0(VALU_DEP_1) | instskip(NEXT) | instid1(VALU_DEP_1)
	v_div_fmas_f32 v164, v164, v167, v168
	v_div_fixup_f32 v164, v164, v165, 1.0
	s_delay_alu instid0(VALU_DEP_1)
	v_mul_f32_e32 v166, v166, v164
	v_xor_b32_e32 v167, 0x80000000, v164
                                        ; implicit-def: $vgpr164_vgpr165
.LBB61_176:
	s_and_not1_saveexec_b32 s1, s1
	s_cbranch_execz .LBB61_178
; %bb.177:
	v_div_scale_f32 v166, null, v164, v164, v165
	v_div_scale_f32 v169, vcc_lo, v165, v164, v165
	s_delay_alu instid0(VALU_DEP_2) | instskip(SKIP_1) | instid1(TRANS32_DEP_1)
	v_rcp_f32_e32 v167, v166
	v_nop
	v_fma_f32 v168, -v166, v167, 1.0
	s_delay_alu instid0(VALU_DEP_1) | instskip(NEXT) | instid1(VALU_DEP_1)
	v_fmac_f32_e32 v167, v168, v167
	v_mul_f32_e32 v168, v169, v167
	s_delay_alu instid0(VALU_DEP_1) | instskip(NEXT) | instid1(VALU_DEP_1)
	v_fma_f32 v170, -v166, v168, v169
	v_fmac_f32_e32 v168, v170, v167
	s_delay_alu instid0(VALU_DEP_1) | instskip(NEXT) | instid1(VALU_DEP_1)
	v_fma_f32 v166, -v166, v168, v169
	v_div_fmas_f32 v166, v166, v167, v168
	s_delay_alu instid0(VALU_DEP_1) | instskip(NEXT) | instid1(VALU_DEP_1)
	v_div_fixup_f32 v167, v166, v164, v165
	v_fmac_f32_e32 v164, v165, v167
	s_delay_alu instid0(VALU_DEP_1) | instskip(NEXT) | instid1(VALU_DEP_1)
	v_div_scale_f32 v165, null, v164, v164, 1.0
	v_rcp_f32_e32 v166, v165
	v_nop
	s_delay_alu instid0(TRANS32_DEP_1) | instskip(NEXT) | instid1(VALU_DEP_1)
	v_fma_f32 v168, -v165, v166, 1.0
	v_fmac_f32_e32 v166, v168, v166
	v_div_scale_f32 v168, vcc_lo, 1.0, v164, 1.0
	s_delay_alu instid0(VALU_DEP_1) | instskip(NEXT) | instid1(VALU_DEP_1)
	v_mul_f32_e32 v169, v168, v166
	v_fma_f32 v170, -v165, v169, v168
	s_delay_alu instid0(VALU_DEP_1) | instskip(NEXT) | instid1(VALU_DEP_1)
	v_fmac_f32_e32 v169, v170, v166
	v_fma_f32 v165, -v165, v169, v168
	s_delay_alu instid0(VALU_DEP_1) | instskip(NEXT) | instid1(VALU_DEP_1)
	v_div_fmas_f32 v165, v165, v166, v169
	v_div_fixup_f32 v166, v165, v164, 1.0
	s_delay_alu instid0(VALU_DEP_1)
	v_mul_f32_e64 v167, v167, -v166
.LBB61_178:
	s_or_b32 exec_lo, exec_lo, s1
	ds_store_b64 v189, v[166:167]
.LBB61_179:
	s_or_b32 exec_lo, exec_lo, s2
	s_wait_dscnt 0x0
	s_barrier_signal -1
	s_barrier_wait -1
	ds_load_b64 v[164:165], v189
	s_mov_b32 s1, exec_lo
	v_cmpx_lt_u32_e32 19, v188
	s_cbranch_execz .LBB61_181
; %bb.180:
	s_wait_dscnt 0x0
	v_pk_mul_f32 v[166:167], v[164:165], v[72:73] op_sel:[1,1] op_sel_hi:[0,1]
	s_delay_alu instid0(VALU_DEP_1)
	v_pk_fma_f32 v[170:171], v[164:165], v[72:73], v[166:167] op_sel_hi:[1,0,1] neg_lo:[0,0,1] neg_hi:[0,0,1]
	v_pk_fma_f32 v[172:173], v[164:165], v[72:73], v[166:167] op_sel_hi:[1,0,1]
	ds_load_2addr_b64 v[166:169], v190 offset0:20 offset1:21
	v_dual_mov_b32 v72, v170 :: v_dual_mov_b32 v73, v173
	s_wait_dscnt 0x0
	v_pk_mul_f32 v[174:175], v[166:167], v[172:173] op_sel:[0,1]
	s_delay_alu instid0(VALU_DEP_1) | instskip(SKIP_1) | instid1(VALU_DEP_1)
	v_pk_fma_f32 v[176:177], v[166:167], v[170:171], v[174:175] op_sel:[0,0,1] op_sel_hi:[1,1,0] neg_lo:[0,0,1] neg_hi:[0,0,1]
	v_pk_fma_f32 v[166:167], v[166:167], v[170:171], v[174:175] op_sel:[0,0,1] op_sel_hi:[1,0,0]
	v_mov_b32_e32 v177, v167
	v_pk_mul_f32 v[166:167], v[168:169], v[172:173] op_sel:[0,1]
	s_delay_alu instid0(VALU_DEP_1) | instskip(SKIP_1) | instid1(VALU_DEP_1)
	v_pk_fma_f32 v[174:175], v[168:169], v[170:171], v[166:167] op_sel:[0,0,1] op_sel_hi:[1,1,0] neg_lo:[0,0,1] neg_hi:[0,0,1]
	v_pk_fma_f32 v[166:167], v[168:169], v[170:171], v[166:167] op_sel:[0,0,1] op_sel_hi:[1,0,0]
	v_mov_b32_e32 v175, v167
	ds_load_2addr_b64 v[166:169], v190 offset0:22 offset1:23
	v_pk_add_f32 v[100:101], v[100:101], v[176:177] neg_lo:[0,1] neg_hi:[0,1]
	v_pk_add_f32 v[96:97], v[96:97], v[174:175] neg_lo:[0,1] neg_hi:[0,1]
	s_wait_dscnt 0x0
	v_pk_mul_f32 v[174:175], v[166:167], v[172:173] op_sel:[0,1]
	s_delay_alu instid0(VALU_DEP_1) | instskip(SKIP_2) | instid1(VALU_DEP_2)
	v_pk_fma_f32 v[176:177], v[166:167], v[170:171], v[174:175] op_sel:[0,0,1] op_sel_hi:[1,1,0] neg_lo:[0,0,1] neg_hi:[0,0,1]
	v_pk_fma_f32 v[166:167], v[166:167], v[170:171], v[174:175] op_sel:[0,0,1] op_sel_hi:[1,0,0]
	v_dual_mul_f32 v174, v169, v173 :: v_dual_mov_b32 v166, v169
	v_dual_mov_b32 v177, v167 :: v_dual_mov_b32 v167, v168
	s_delay_alu instid0(VALU_DEP_2) | instskip(SKIP_1) | instid1(VALU_DEP_3)
	v_pk_fma_f32 v[174:175], v[168:169], v[72:73], v[174:175] op_sel_hi:[1,1,0] neg_lo:[0,0,1] neg_hi:[0,0,1]
	v_mul_f32_e32 v168, v169, v170
	v_pk_add_f32 v[98:99], v[98:99], v[176:177] neg_lo:[0,1] neg_hi:[0,1]
	s_delay_alu instid0(VALU_DEP_2) | instskip(NEXT) | instid1(VALU_DEP_1)
	v_pk_fma_f32 v[166:167], v[166:167], v[72:73], v[168:169] op_sel_hi:[1,1,0]
	v_mov_b32_e32 v175, v167
	ds_load_2addr_b64 v[166:169], v190 offset0:24 offset1:25
	v_pk_add_f32 v[94:95], v[94:95], v[174:175] neg_lo:[0,1] neg_hi:[0,1]
	s_wait_dscnt 0x0
	v_pk_mul_f32 v[174:175], v[166:167], v[172:173] op_sel:[0,1]
	s_delay_alu instid0(VALU_DEP_1) | instskip(SKIP_1) | instid1(VALU_DEP_1)
	v_pk_fma_f32 v[176:177], v[166:167], v[170:171], v[174:175] op_sel:[0,0,1] op_sel_hi:[1,1,0] neg_lo:[0,0,1] neg_hi:[0,0,1]
	v_pk_fma_f32 v[166:167], v[166:167], v[170:171], v[174:175] op_sel:[0,0,1] op_sel_hi:[1,0,0]
	v_mov_b32_e32 v177, v167
	v_pk_mul_f32 v[166:167], v[168:169], v[172:173] op_sel:[0,1]
	s_delay_alu instid0(VALU_DEP_1) | instskip(SKIP_1) | instid1(VALU_DEP_1)
	v_pk_fma_f32 v[174:175], v[168:169], v[170:171], v[166:167] op_sel:[0,0,1] op_sel_hi:[1,1,0] neg_lo:[0,0,1] neg_hi:[0,0,1]
	v_pk_fma_f32 v[166:167], v[168:169], v[170:171], v[166:167] op_sel:[0,0,1] op_sel_hi:[1,0,0]
	v_mov_b32_e32 v175, v167
	ds_load_2addr_b64 v[166:169], v190 offset0:26 offset1:27
	v_pk_add_f32 v[116:117], v[116:117], v[176:177] neg_lo:[0,1] neg_hi:[0,1]
	v_pk_add_f32 v[112:113], v[112:113], v[174:175] neg_lo:[0,1] neg_hi:[0,1]
	s_wait_dscnt 0x0
	v_pk_mul_f32 v[174:175], v[166:167], v[172:173] op_sel:[0,1]
	s_delay_alu instid0(VALU_DEP_1) | instskip(SKIP_1) | instid1(VALU_DEP_1)
	v_pk_fma_f32 v[176:177], v[166:167], v[170:171], v[174:175] op_sel:[0,0,1] op_sel_hi:[1,1,0] neg_lo:[0,0,1] neg_hi:[0,0,1]
	v_pk_fma_f32 v[166:167], v[166:167], v[170:171], v[174:175] op_sel:[0,0,1] op_sel_hi:[1,0,0]
	v_mov_b32_e32 v177, v167
	v_pk_mul_f32 v[166:167], v[168:169], v[172:173] op_sel:[0,1]
	s_delay_alu instid0(VALU_DEP_1) | instskip(SKIP_1) | instid1(VALU_DEP_1)
	v_pk_fma_f32 v[174:175], v[168:169], v[170:171], v[166:167] op_sel:[0,0,1] op_sel_hi:[1,1,0] neg_lo:[0,0,1] neg_hi:[0,0,1]
	v_pk_fma_f32 v[166:167], v[168:169], v[170:171], v[166:167] op_sel:[0,0,1] op_sel_hi:[1,0,0]
	v_mov_b32_e32 v175, v167
	ds_load_2addr_b64 v[166:169], v190 offset0:28 offset1:29
	v_pk_add_f32 v[114:115], v[114:115], v[176:177] neg_lo:[0,1] neg_hi:[0,1]
	v_pk_add_f32 v[122:123], v[122:123], v[174:175] neg_lo:[0,1] neg_hi:[0,1]
	s_wait_dscnt 0x0
	v_dual_mul_f32 v174, v167, v173 :: v_dual_mul_f32 v176, v167, v170
	s_delay_alu instid0(VALU_DEP_1) | instskip(NEXT) | instid1(VALU_DEP_2)
	v_pk_fma_f32 v[174:175], v[166:167], v[72:73], v[174:175] op_sel_hi:[1,1,0] neg_lo:[0,0,1] neg_hi:[0,0,1]
	v_pk_fma_f32 v[166:167], v[166:167], v[72:73], v[176:177] op_sel:[1,0,0] op_sel_hi:[0,1,0]
	s_delay_alu instid0(VALU_DEP_1) | instskip(SKIP_1) | instid1(VALU_DEP_2)
	v_mov_b32_e32 v175, v167
	v_pk_mul_f32 v[166:167], v[168:169], v[172:173] op_sel:[0,1]
	v_pk_add_f32 v[120:121], v[120:121], v[174:175] neg_lo:[0,1] neg_hi:[0,1]
	s_delay_alu instid0(VALU_DEP_2) | instskip(SKIP_1) | instid1(VALU_DEP_1)
	v_pk_fma_f32 v[174:175], v[168:169], v[170:171], v[166:167] op_sel:[0,0,1] op_sel_hi:[1,1,0] neg_lo:[0,0,1] neg_hi:[0,0,1]
	v_pk_fma_f32 v[166:167], v[168:169], v[170:171], v[166:167] op_sel:[0,0,1] op_sel_hi:[1,0,0]
	v_mov_b32_e32 v175, v167
	ds_load_b64 v[166:167], v190 offset:240
	v_pk_add_f32 v[118:119], v[118:119], v[174:175] neg_lo:[0,1] neg_hi:[0,1]
	s_wait_dscnt 0x0
	v_pk_mul_f32 v[168:169], v[166:167], v[172:173] op_sel:[0,1]
	s_delay_alu instid0(VALU_DEP_1) | instskip(SKIP_1) | instid1(VALU_DEP_1)
	v_pk_fma_f32 v[172:173], v[166:167], v[170:171], v[168:169] op_sel:[0,0,1] op_sel_hi:[1,1,0] neg_lo:[0,0,1] neg_hi:[0,0,1]
	v_pk_fma_f32 v[166:167], v[166:167], v[170:171], v[168:169] op_sel:[0,0,1] op_sel_hi:[1,0,0]
	v_mov_b32_e32 v173, v167
	s_delay_alu instid0(VALU_DEP_1)
	v_pk_add_f32 v[124:125], v[124:125], v[172:173] neg_lo:[0,1] neg_hi:[0,1]
.LBB61_181:
	s_or_b32 exec_lo, exec_lo, s1
	s_delay_alu instid0(SALU_CYCLE_1)
	s_mov_b32 s2, exec_lo
	s_wait_dscnt 0x0
	s_barrier_signal -1
	s_barrier_wait -1
	v_cmpx_eq_u32_e32 20, v188
	s_cbranch_execz .LBB61_188
; %bb.182:
	ds_store_b64 v189, v[100:101]
	ds_store_2addr_b64 v190, v[96:97], v[98:99] offset0:21 offset1:22
	ds_store_2addr_b64 v190, v[94:95], v[116:117] offset0:23 offset1:24
	;; [unrolled: 1-line block ×5, first 2 shown]
	ds_load_b64 v[166:167], v189
	s_wait_dscnt 0x0
	v_cmp_neq_f32_e32 vcc_lo, 0, v166
	v_cmp_neq_f32_e64 s1, 0, v167
	s_or_b32 s1, vcc_lo, s1
	s_delay_alu instid0(SALU_CYCLE_1)
	s_and_b32 exec_lo, exec_lo, s1
	s_cbranch_execz .LBB61_188
; %bb.183:
	v_cmp_ngt_f32_e64 s1, |v166|, |v167|
                                        ; implicit-def: $vgpr168_vgpr169
	s_and_saveexec_b32 s4, s1
	s_delay_alu instid0(SALU_CYCLE_1)
	s_xor_b32 s1, exec_lo, s4
	s_cbranch_execz .LBB61_185
; %bb.184:
	v_div_scale_f32 v168, null, v167, v167, v166
	v_div_scale_f32 v171, vcc_lo, v166, v167, v166
	s_delay_alu instid0(VALU_DEP_2) | instskip(SKIP_1) | instid1(TRANS32_DEP_1)
	v_rcp_f32_e32 v169, v168
	v_nop
	v_fma_f32 v170, -v168, v169, 1.0
	s_delay_alu instid0(VALU_DEP_1) | instskip(NEXT) | instid1(VALU_DEP_1)
	v_fmac_f32_e32 v169, v170, v169
	v_mul_f32_e32 v170, v171, v169
	s_delay_alu instid0(VALU_DEP_1) | instskip(NEXT) | instid1(VALU_DEP_1)
	v_fma_f32 v172, -v168, v170, v171
	v_fmac_f32_e32 v170, v172, v169
	s_delay_alu instid0(VALU_DEP_1) | instskip(NEXT) | instid1(VALU_DEP_1)
	v_fma_f32 v168, -v168, v170, v171
	v_div_fmas_f32 v168, v168, v169, v170
	s_delay_alu instid0(VALU_DEP_1) | instskip(NEXT) | instid1(VALU_DEP_1)
	v_div_fixup_f32 v168, v168, v167, v166
	v_fmac_f32_e32 v167, v166, v168
	s_delay_alu instid0(VALU_DEP_1) | instskip(SKIP_1) | instid1(VALU_DEP_2)
	v_div_scale_f32 v166, null, v167, v167, 1.0
	v_div_scale_f32 v171, vcc_lo, 1.0, v167, 1.0
	v_rcp_f32_e32 v169, v166
	v_nop
	s_delay_alu instid0(TRANS32_DEP_1) | instskip(NEXT) | instid1(VALU_DEP_1)
	v_fma_f32 v170, -v166, v169, 1.0
	v_fmac_f32_e32 v169, v170, v169
	s_delay_alu instid0(VALU_DEP_1) | instskip(NEXT) | instid1(VALU_DEP_1)
	v_mul_f32_e32 v170, v171, v169
	v_fma_f32 v172, -v166, v170, v171
	s_delay_alu instid0(VALU_DEP_1) | instskip(NEXT) | instid1(VALU_DEP_1)
	v_fmac_f32_e32 v170, v172, v169
	v_fma_f32 v166, -v166, v170, v171
	s_delay_alu instid0(VALU_DEP_1) | instskip(NEXT) | instid1(VALU_DEP_1)
	v_div_fmas_f32 v166, v166, v169, v170
	v_div_fixup_f32 v166, v166, v167, 1.0
	s_delay_alu instid0(VALU_DEP_1)
	v_mul_f32_e32 v168, v168, v166
	v_xor_b32_e32 v169, 0x80000000, v166
                                        ; implicit-def: $vgpr166_vgpr167
.LBB61_185:
	s_and_not1_saveexec_b32 s1, s1
	s_cbranch_execz .LBB61_187
; %bb.186:
	v_div_scale_f32 v168, null, v166, v166, v167
	v_div_scale_f32 v171, vcc_lo, v167, v166, v167
	s_delay_alu instid0(VALU_DEP_2) | instskip(SKIP_1) | instid1(TRANS32_DEP_1)
	v_rcp_f32_e32 v169, v168
	v_nop
	v_fma_f32 v170, -v168, v169, 1.0
	s_delay_alu instid0(VALU_DEP_1) | instskip(NEXT) | instid1(VALU_DEP_1)
	v_fmac_f32_e32 v169, v170, v169
	v_mul_f32_e32 v170, v171, v169
	s_delay_alu instid0(VALU_DEP_1) | instskip(NEXT) | instid1(VALU_DEP_1)
	v_fma_f32 v172, -v168, v170, v171
	v_fmac_f32_e32 v170, v172, v169
	s_delay_alu instid0(VALU_DEP_1) | instskip(NEXT) | instid1(VALU_DEP_1)
	v_fma_f32 v168, -v168, v170, v171
	v_div_fmas_f32 v168, v168, v169, v170
	s_delay_alu instid0(VALU_DEP_1) | instskip(NEXT) | instid1(VALU_DEP_1)
	v_div_fixup_f32 v169, v168, v166, v167
	v_fmac_f32_e32 v166, v167, v169
	s_delay_alu instid0(VALU_DEP_1) | instskip(NEXT) | instid1(VALU_DEP_1)
	v_div_scale_f32 v167, null, v166, v166, 1.0
	v_rcp_f32_e32 v168, v167
	v_nop
	s_delay_alu instid0(TRANS32_DEP_1) | instskip(NEXT) | instid1(VALU_DEP_1)
	v_fma_f32 v170, -v167, v168, 1.0
	v_fmac_f32_e32 v168, v170, v168
	v_div_scale_f32 v170, vcc_lo, 1.0, v166, 1.0
	s_delay_alu instid0(VALU_DEP_1) | instskip(NEXT) | instid1(VALU_DEP_1)
	v_mul_f32_e32 v171, v170, v168
	v_fma_f32 v172, -v167, v171, v170
	s_delay_alu instid0(VALU_DEP_1) | instskip(NEXT) | instid1(VALU_DEP_1)
	v_fmac_f32_e32 v171, v172, v168
	v_fma_f32 v167, -v167, v171, v170
	s_delay_alu instid0(VALU_DEP_1) | instskip(NEXT) | instid1(VALU_DEP_1)
	v_div_fmas_f32 v167, v167, v168, v171
	v_div_fixup_f32 v168, v167, v166, 1.0
	s_delay_alu instid0(VALU_DEP_1)
	v_mul_f32_e64 v169, v169, -v168
.LBB61_187:
	s_or_b32 exec_lo, exec_lo, s1
	ds_store_b64 v189, v[168:169]
.LBB61_188:
	s_or_b32 exec_lo, exec_lo, s2
	s_wait_dscnt 0x0
	s_barrier_signal -1
	s_barrier_wait -1
	ds_load_b64 v[166:167], v189
	s_mov_b32 s1, exec_lo
	v_cmpx_lt_u32_e32 20, v188
	s_cbranch_execz .LBB61_190
; %bb.189:
	s_wait_dscnt 0x0
	v_pk_mul_f32 v[168:169], v[166:167], v[100:101] op_sel:[1,1] op_sel_hi:[0,1]
	s_delay_alu instid0(VALU_DEP_1)
	v_pk_fma_f32 v[172:173], v[166:167], v[100:101], v[168:169] op_sel_hi:[1,0,1] neg_lo:[0,0,1] neg_hi:[0,0,1]
	v_pk_fma_f32 v[174:175], v[166:167], v[100:101], v[168:169] op_sel_hi:[1,0,1]
	ds_load_2addr_b64 v[168:171], v190 offset0:21 offset1:22
	v_dual_mov_b32 v100, v172 :: v_dual_mov_b32 v101, v175
	s_wait_dscnt 0x0
	v_pk_mul_f32 v[176:177], v[168:169], v[174:175] op_sel:[0,1]
	s_delay_alu instid0(VALU_DEP_1) | instskip(SKIP_1) | instid1(VALU_DEP_1)
	v_pk_fma_f32 v[178:179], v[168:169], v[172:173], v[176:177] op_sel:[0,0,1] op_sel_hi:[1,1,0] neg_lo:[0,0,1] neg_hi:[0,0,1]
	v_pk_fma_f32 v[168:169], v[168:169], v[172:173], v[176:177] op_sel:[0,0,1] op_sel_hi:[1,0,0]
	v_mov_b32_e32 v179, v169
	v_pk_mul_f32 v[168:169], v[170:171], v[174:175] op_sel:[0,1]
	s_delay_alu instid0(VALU_DEP_1) | instskip(SKIP_1) | instid1(VALU_DEP_1)
	v_pk_fma_f32 v[176:177], v[170:171], v[172:173], v[168:169] op_sel:[0,0,1] op_sel_hi:[1,1,0] neg_lo:[0,0,1] neg_hi:[0,0,1]
	v_pk_fma_f32 v[168:169], v[170:171], v[172:173], v[168:169] op_sel:[0,0,1] op_sel_hi:[1,0,0]
	v_mov_b32_e32 v177, v169
	ds_load_2addr_b64 v[168:171], v190 offset0:23 offset1:24
	v_pk_add_f32 v[96:97], v[96:97], v[178:179] neg_lo:[0,1] neg_hi:[0,1]
	v_pk_add_f32 v[98:99], v[98:99], v[176:177] neg_lo:[0,1] neg_hi:[0,1]
	s_wait_dscnt 0x0
	v_pk_mul_f32 v[176:177], v[168:169], v[174:175] op_sel:[0,1]
	s_delay_alu instid0(VALU_DEP_1) | instskip(SKIP_2) | instid1(VALU_DEP_2)
	v_pk_fma_f32 v[178:179], v[168:169], v[172:173], v[176:177] op_sel:[0,0,1] op_sel_hi:[1,1,0] neg_lo:[0,0,1] neg_hi:[0,0,1]
	v_pk_fma_f32 v[168:169], v[168:169], v[172:173], v[176:177] op_sel:[0,0,1] op_sel_hi:[1,0,0]
	v_dual_mul_f32 v176, v171, v175 :: v_dual_mov_b32 v168, v171
	v_dual_mov_b32 v179, v169 :: v_dual_mov_b32 v169, v170
	s_delay_alu instid0(VALU_DEP_2) | instskip(SKIP_1) | instid1(VALU_DEP_3)
	v_pk_fma_f32 v[176:177], v[170:171], v[100:101], v[176:177] op_sel_hi:[1,1,0] neg_lo:[0,0,1] neg_hi:[0,0,1]
	v_mul_f32_e32 v170, v171, v172
	v_pk_add_f32 v[94:95], v[94:95], v[178:179] neg_lo:[0,1] neg_hi:[0,1]
	s_delay_alu instid0(VALU_DEP_2) | instskip(NEXT) | instid1(VALU_DEP_1)
	v_pk_fma_f32 v[168:169], v[168:169], v[100:101], v[170:171] op_sel_hi:[1,1,0]
	v_mov_b32_e32 v177, v169
	ds_load_2addr_b64 v[168:171], v190 offset0:25 offset1:26
	v_pk_add_f32 v[116:117], v[116:117], v[176:177] neg_lo:[0,1] neg_hi:[0,1]
	s_wait_dscnt 0x0
	v_pk_mul_f32 v[176:177], v[168:169], v[174:175] op_sel:[0,1]
	s_delay_alu instid0(VALU_DEP_1) | instskip(SKIP_1) | instid1(VALU_DEP_1)
	v_pk_fma_f32 v[178:179], v[168:169], v[172:173], v[176:177] op_sel:[0,0,1] op_sel_hi:[1,1,0] neg_lo:[0,0,1] neg_hi:[0,0,1]
	v_pk_fma_f32 v[168:169], v[168:169], v[172:173], v[176:177] op_sel:[0,0,1] op_sel_hi:[1,0,0]
	v_mov_b32_e32 v179, v169
	v_pk_mul_f32 v[168:169], v[170:171], v[174:175] op_sel:[0,1]
	s_delay_alu instid0(VALU_DEP_1) | instskip(SKIP_1) | instid1(VALU_DEP_1)
	v_pk_fma_f32 v[176:177], v[170:171], v[172:173], v[168:169] op_sel:[0,0,1] op_sel_hi:[1,1,0] neg_lo:[0,0,1] neg_hi:[0,0,1]
	v_pk_fma_f32 v[168:169], v[170:171], v[172:173], v[168:169] op_sel:[0,0,1] op_sel_hi:[1,0,0]
	v_mov_b32_e32 v177, v169
	ds_load_2addr_b64 v[168:171], v190 offset0:27 offset1:28
	v_pk_add_f32 v[112:113], v[112:113], v[178:179] neg_lo:[0,1] neg_hi:[0,1]
	v_pk_add_f32 v[114:115], v[114:115], v[176:177] neg_lo:[0,1] neg_hi:[0,1]
	s_wait_dscnt 0x0
	v_pk_mul_f32 v[176:177], v[168:169], v[174:175] op_sel:[0,1]
	s_delay_alu instid0(VALU_DEP_1) | instskip(SKIP_1) | instid1(VALU_DEP_1)
	v_pk_fma_f32 v[178:179], v[168:169], v[172:173], v[176:177] op_sel:[0,0,1] op_sel_hi:[1,1,0] neg_lo:[0,0,1] neg_hi:[0,0,1]
	v_pk_fma_f32 v[168:169], v[168:169], v[172:173], v[176:177] op_sel:[0,0,1] op_sel_hi:[1,0,0]
	v_mov_b32_e32 v179, v169
	v_pk_mul_f32 v[168:169], v[170:171], v[174:175] op_sel:[0,1]
	s_delay_alu instid0(VALU_DEP_1) | instskip(SKIP_1) | instid1(VALU_DEP_1)
	v_pk_fma_f32 v[176:177], v[170:171], v[172:173], v[168:169] op_sel:[0,0,1] op_sel_hi:[1,1,0] neg_lo:[0,0,1] neg_hi:[0,0,1]
	v_pk_fma_f32 v[168:169], v[170:171], v[172:173], v[168:169] op_sel:[0,0,1] op_sel_hi:[1,0,0]
	v_mov_b32_e32 v177, v169
	ds_load_2addr_b64 v[168:171], v190 offset0:29 offset1:30
	v_pk_add_f32 v[122:123], v[122:123], v[178:179] neg_lo:[0,1] neg_hi:[0,1]
	v_pk_add_f32 v[120:121], v[120:121], v[176:177] neg_lo:[0,1] neg_hi:[0,1]
	s_wait_dscnt 0x0
	v_dual_mul_f32 v176, v169, v175 :: v_dual_mul_f32 v178, v169, v172
	s_delay_alu instid0(VALU_DEP_1) | instskip(NEXT) | instid1(VALU_DEP_2)
	v_pk_fma_f32 v[176:177], v[168:169], v[100:101], v[176:177] op_sel_hi:[1,1,0] neg_lo:[0,0,1] neg_hi:[0,0,1]
	v_pk_fma_f32 v[168:169], v[168:169], v[100:101], v[178:179] op_sel:[1,0,0] op_sel_hi:[0,1,0]
	s_delay_alu instid0(VALU_DEP_1) | instskip(SKIP_1) | instid1(VALU_DEP_1)
	v_mov_b32_e32 v177, v169
	v_pk_mul_f32 v[168:169], v[170:171], v[174:175] op_sel:[0,1]
	v_pk_fma_f32 v[174:175], v[170:171], v[172:173], v[168:169] op_sel:[0,0,1] op_sel_hi:[1,1,0] neg_lo:[0,0,1] neg_hi:[0,0,1]
	v_pk_fma_f32 v[168:169], v[170:171], v[172:173], v[168:169] op_sel:[0,0,1] op_sel_hi:[1,0,0]
	s_delay_alu instid0(VALU_DEP_1) | instskip(SKIP_1) | instid1(VALU_DEP_2)
	v_mov_b32_e32 v175, v169
	v_pk_add_f32 v[118:119], v[118:119], v[176:177] neg_lo:[0,1] neg_hi:[0,1]
	v_pk_add_f32 v[124:125], v[124:125], v[174:175] neg_lo:[0,1] neg_hi:[0,1]
.LBB61_190:
	s_or_b32 exec_lo, exec_lo, s1
	s_delay_alu instid0(SALU_CYCLE_1)
	s_mov_b32 s2, exec_lo
	s_wait_dscnt 0x0
	s_barrier_signal -1
	s_barrier_wait -1
	v_cmpx_eq_u32_e32 21, v188
	s_cbranch_execz .LBB61_197
; %bb.191:
	v_dual_mov_b32 v168, v98 :: v_dual_mov_b32 v169, v99
	v_dual_mov_b32 v170, v94 :: v_dual_mov_b32 v171, v95
	;; [unrolled: 1-line block ×8, first 2 shown]
	ds_store_b64 v189, v[96:97]
	ds_store_2addr_b64 v190, v[168:169], v[170:171] offset0:22 offset1:23
	ds_store_2addr_b64 v190, v[172:173], v[174:175] offset0:24 offset1:25
	;; [unrolled: 1-line block ×4, first 2 shown]
	ds_store_b64 v190, v[124:125] offset:240
	ds_load_b64 v[168:169], v189
	s_wait_dscnt 0x0
	v_cmp_neq_f32_e32 vcc_lo, 0, v168
	v_cmp_neq_f32_e64 s1, 0, v169
	s_or_b32 s1, vcc_lo, s1
	s_delay_alu instid0(SALU_CYCLE_1)
	s_and_b32 exec_lo, exec_lo, s1
	s_cbranch_execz .LBB61_197
; %bb.192:
	v_cmp_ngt_f32_e64 s1, |v168|, |v169|
                                        ; implicit-def: $vgpr170_vgpr171
	s_and_saveexec_b32 s4, s1
	s_delay_alu instid0(SALU_CYCLE_1)
	s_xor_b32 s1, exec_lo, s4
	s_cbranch_execz .LBB61_194
; %bb.193:
	v_div_scale_f32 v170, null, v169, v169, v168
	v_div_scale_f32 v173, vcc_lo, v168, v169, v168
	s_delay_alu instid0(VALU_DEP_2) | instskip(SKIP_1) | instid1(TRANS32_DEP_1)
	v_rcp_f32_e32 v171, v170
	v_nop
	v_fma_f32 v172, -v170, v171, 1.0
	s_delay_alu instid0(VALU_DEP_1) | instskip(NEXT) | instid1(VALU_DEP_1)
	v_fmac_f32_e32 v171, v172, v171
	v_mul_f32_e32 v172, v173, v171
	s_delay_alu instid0(VALU_DEP_1) | instskip(NEXT) | instid1(VALU_DEP_1)
	v_fma_f32 v174, -v170, v172, v173
	v_fmac_f32_e32 v172, v174, v171
	s_delay_alu instid0(VALU_DEP_1) | instskip(NEXT) | instid1(VALU_DEP_1)
	v_fma_f32 v170, -v170, v172, v173
	v_div_fmas_f32 v170, v170, v171, v172
	s_delay_alu instid0(VALU_DEP_1) | instskip(NEXT) | instid1(VALU_DEP_1)
	v_div_fixup_f32 v170, v170, v169, v168
	v_fmac_f32_e32 v169, v168, v170
	s_delay_alu instid0(VALU_DEP_1) | instskip(SKIP_1) | instid1(VALU_DEP_2)
	v_div_scale_f32 v168, null, v169, v169, 1.0
	v_div_scale_f32 v173, vcc_lo, 1.0, v169, 1.0
	v_rcp_f32_e32 v171, v168
	v_nop
	s_delay_alu instid0(TRANS32_DEP_1) | instskip(NEXT) | instid1(VALU_DEP_1)
	v_fma_f32 v172, -v168, v171, 1.0
	v_fmac_f32_e32 v171, v172, v171
	s_delay_alu instid0(VALU_DEP_1) | instskip(NEXT) | instid1(VALU_DEP_1)
	v_mul_f32_e32 v172, v173, v171
	v_fma_f32 v174, -v168, v172, v173
	s_delay_alu instid0(VALU_DEP_1) | instskip(NEXT) | instid1(VALU_DEP_1)
	v_fmac_f32_e32 v172, v174, v171
	v_fma_f32 v168, -v168, v172, v173
	s_delay_alu instid0(VALU_DEP_1) | instskip(NEXT) | instid1(VALU_DEP_1)
	v_div_fmas_f32 v168, v168, v171, v172
	v_div_fixup_f32 v168, v168, v169, 1.0
	s_delay_alu instid0(VALU_DEP_1)
	v_mul_f32_e32 v170, v170, v168
	v_xor_b32_e32 v171, 0x80000000, v168
                                        ; implicit-def: $vgpr168_vgpr169
.LBB61_194:
	s_and_not1_saveexec_b32 s1, s1
	s_cbranch_execz .LBB61_196
; %bb.195:
	v_div_scale_f32 v170, null, v168, v168, v169
	v_div_scale_f32 v173, vcc_lo, v169, v168, v169
	s_delay_alu instid0(VALU_DEP_2) | instskip(SKIP_1) | instid1(TRANS32_DEP_1)
	v_rcp_f32_e32 v171, v170
	v_nop
	v_fma_f32 v172, -v170, v171, 1.0
	s_delay_alu instid0(VALU_DEP_1) | instskip(NEXT) | instid1(VALU_DEP_1)
	v_fmac_f32_e32 v171, v172, v171
	v_mul_f32_e32 v172, v173, v171
	s_delay_alu instid0(VALU_DEP_1) | instskip(NEXT) | instid1(VALU_DEP_1)
	v_fma_f32 v174, -v170, v172, v173
	v_fmac_f32_e32 v172, v174, v171
	s_delay_alu instid0(VALU_DEP_1) | instskip(NEXT) | instid1(VALU_DEP_1)
	v_fma_f32 v170, -v170, v172, v173
	v_div_fmas_f32 v170, v170, v171, v172
	s_delay_alu instid0(VALU_DEP_1) | instskip(NEXT) | instid1(VALU_DEP_1)
	v_div_fixup_f32 v171, v170, v168, v169
	v_fmac_f32_e32 v168, v169, v171
	s_delay_alu instid0(VALU_DEP_1) | instskip(NEXT) | instid1(VALU_DEP_1)
	v_div_scale_f32 v169, null, v168, v168, 1.0
	v_rcp_f32_e32 v170, v169
	v_nop
	s_delay_alu instid0(TRANS32_DEP_1) | instskip(NEXT) | instid1(VALU_DEP_1)
	v_fma_f32 v172, -v169, v170, 1.0
	v_fmac_f32_e32 v170, v172, v170
	v_div_scale_f32 v172, vcc_lo, 1.0, v168, 1.0
	s_delay_alu instid0(VALU_DEP_1) | instskip(NEXT) | instid1(VALU_DEP_1)
	v_mul_f32_e32 v173, v172, v170
	v_fma_f32 v174, -v169, v173, v172
	s_delay_alu instid0(VALU_DEP_1) | instskip(NEXT) | instid1(VALU_DEP_1)
	v_fmac_f32_e32 v173, v174, v170
	v_fma_f32 v169, -v169, v173, v172
	s_delay_alu instid0(VALU_DEP_1) | instskip(NEXT) | instid1(VALU_DEP_1)
	v_div_fmas_f32 v169, v169, v170, v173
	v_div_fixup_f32 v170, v169, v168, 1.0
	s_delay_alu instid0(VALU_DEP_1)
	v_mul_f32_e64 v171, v171, -v170
.LBB61_196:
	s_or_b32 exec_lo, exec_lo, s1
	ds_store_b64 v189, v[170:171]
.LBB61_197:
	s_or_b32 exec_lo, exec_lo, s2
	s_wait_dscnt 0x0
	s_barrier_signal -1
	s_barrier_wait -1
	ds_load_b64 v[168:169], v189
	s_mov_b32 s1, exec_lo
	v_cmpx_lt_u32_e32 21, v188
	s_cbranch_execz .LBB61_199
; %bb.198:
	s_wait_dscnt 0x0
	v_pk_mul_f32 v[170:171], v[168:169], v[96:97] op_sel:[1,1] op_sel_hi:[0,1]
	s_delay_alu instid0(VALU_DEP_1)
	v_pk_fma_f32 v[174:175], v[168:169], v[96:97], v[170:171] op_sel_hi:[1,0,1] neg_lo:[0,0,1] neg_hi:[0,0,1]
	v_pk_fma_f32 v[176:177], v[168:169], v[96:97], v[170:171] op_sel_hi:[1,0,1]
	ds_load_2addr_b64 v[170:173], v190 offset0:22 offset1:23
	v_dual_mov_b32 v96, v174 :: v_dual_mov_b32 v97, v177
	s_wait_dscnt 0x0
	v_pk_mul_f32 v[178:179], v[170:171], v[176:177] op_sel:[0,1]
	s_delay_alu instid0(VALU_DEP_1) | instskip(SKIP_1) | instid1(VALU_DEP_1)
	v_pk_fma_f32 v[180:181], v[170:171], v[174:175], v[178:179] op_sel:[0,0,1] op_sel_hi:[1,1,0] neg_lo:[0,0,1] neg_hi:[0,0,1]
	v_pk_fma_f32 v[170:171], v[170:171], v[174:175], v[178:179] op_sel:[0,0,1] op_sel_hi:[1,0,0]
	v_mov_b32_e32 v181, v171
	v_pk_mul_f32 v[170:171], v[172:173], v[176:177] op_sel:[0,1]
	s_delay_alu instid0(VALU_DEP_1) | instskip(SKIP_1) | instid1(VALU_DEP_1)
	v_pk_fma_f32 v[178:179], v[172:173], v[174:175], v[170:171] op_sel:[0,0,1] op_sel_hi:[1,1,0] neg_lo:[0,0,1] neg_hi:[0,0,1]
	v_pk_fma_f32 v[170:171], v[172:173], v[174:175], v[170:171] op_sel:[0,0,1] op_sel_hi:[1,0,0]
	v_mov_b32_e32 v179, v171
	ds_load_2addr_b64 v[170:173], v190 offset0:24 offset1:25
	v_pk_add_f32 v[98:99], v[98:99], v[180:181] neg_lo:[0,1] neg_hi:[0,1]
	v_pk_add_f32 v[94:95], v[94:95], v[178:179] neg_lo:[0,1] neg_hi:[0,1]
	s_wait_dscnt 0x0
	v_pk_mul_f32 v[178:179], v[170:171], v[176:177] op_sel:[0,1]
	s_delay_alu instid0(VALU_DEP_1) | instskip(SKIP_2) | instid1(VALU_DEP_2)
	v_pk_fma_f32 v[180:181], v[170:171], v[174:175], v[178:179] op_sel:[0,0,1] op_sel_hi:[1,1,0] neg_lo:[0,0,1] neg_hi:[0,0,1]
	v_pk_fma_f32 v[170:171], v[170:171], v[174:175], v[178:179] op_sel:[0,0,1] op_sel_hi:[1,0,0]
	v_dual_mul_f32 v178, v173, v177 :: v_dual_mov_b32 v170, v173
	v_dual_mov_b32 v181, v171 :: v_dual_mov_b32 v171, v172
	s_delay_alu instid0(VALU_DEP_2) | instskip(SKIP_1) | instid1(VALU_DEP_3)
	v_pk_fma_f32 v[178:179], v[172:173], v[96:97], v[178:179] op_sel_hi:[1,1,0] neg_lo:[0,0,1] neg_hi:[0,0,1]
	v_mul_f32_e32 v172, v173, v174
	v_pk_add_f32 v[116:117], v[116:117], v[180:181] neg_lo:[0,1] neg_hi:[0,1]
	s_delay_alu instid0(VALU_DEP_2) | instskip(NEXT) | instid1(VALU_DEP_1)
	v_pk_fma_f32 v[170:171], v[170:171], v[96:97], v[172:173] op_sel_hi:[1,1,0]
	v_mov_b32_e32 v179, v171
	ds_load_2addr_b64 v[170:173], v190 offset0:26 offset1:27
	v_pk_add_f32 v[112:113], v[112:113], v[178:179] neg_lo:[0,1] neg_hi:[0,1]
	s_wait_dscnt 0x0
	v_pk_mul_f32 v[178:179], v[170:171], v[176:177] op_sel:[0,1]
	s_delay_alu instid0(VALU_DEP_1) | instskip(SKIP_1) | instid1(VALU_DEP_1)
	v_pk_fma_f32 v[180:181], v[170:171], v[174:175], v[178:179] op_sel:[0,0,1] op_sel_hi:[1,1,0] neg_lo:[0,0,1] neg_hi:[0,0,1]
	v_pk_fma_f32 v[170:171], v[170:171], v[174:175], v[178:179] op_sel:[0,0,1] op_sel_hi:[1,0,0]
	v_mov_b32_e32 v181, v171
	v_pk_mul_f32 v[170:171], v[172:173], v[176:177] op_sel:[0,1]
	s_delay_alu instid0(VALU_DEP_1) | instskip(SKIP_1) | instid1(VALU_DEP_1)
	v_pk_fma_f32 v[178:179], v[172:173], v[174:175], v[170:171] op_sel:[0,0,1] op_sel_hi:[1,1,0] neg_lo:[0,0,1] neg_hi:[0,0,1]
	v_pk_fma_f32 v[170:171], v[172:173], v[174:175], v[170:171] op_sel:[0,0,1] op_sel_hi:[1,0,0]
	v_mov_b32_e32 v179, v171
	ds_load_2addr_b64 v[170:173], v190 offset0:28 offset1:29
	v_pk_add_f32 v[114:115], v[114:115], v[180:181] neg_lo:[0,1] neg_hi:[0,1]
	v_pk_add_f32 v[122:123], v[122:123], v[178:179] neg_lo:[0,1] neg_hi:[0,1]
	s_wait_dscnt 0x0
	v_pk_mul_f32 v[178:179], v[170:171], v[176:177] op_sel:[0,1]
	s_delay_alu instid0(VALU_DEP_1) | instskip(SKIP_1) | instid1(VALU_DEP_1)
	v_pk_fma_f32 v[180:181], v[170:171], v[174:175], v[178:179] op_sel:[0,0,1] op_sel_hi:[1,1,0] neg_lo:[0,0,1] neg_hi:[0,0,1]
	v_pk_fma_f32 v[170:171], v[170:171], v[174:175], v[178:179] op_sel:[0,0,1] op_sel_hi:[1,0,0]
	v_mov_b32_e32 v181, v171
	v_pk_mul_f32 v[170:171], v[172:173], v[176:177] op_sel:[0,1]
	s_delay_alu instid0(VALU_DEP_1) | instskip(SKIP_1) | instid1(VALU_DEP_1)
	v_pk_fma_f32 v[178:179], v[172:173], v[174:175], v[170:171] op_sel:[0,0,1] op_sel_hi:[1,1,0] neg_lo:[0,0,1] neg_hi:[0,0,1]
	v_pk_fma_f32 v[170:171], v[172:173], v[174:175], v[170:171] op_sel:[0,0,1] op_sel_hi:[1,0,0]
	v_mov_b32_e32 v179, v171
	ds_load_b64 v[170:171], v190 offset:240
	v_pk_add_f32 v[120:121], v[120:121], v[180:181] neg_lo:[0,1] neg_hi:[0,1]
	v_pk_add_f32 v[118:119], v[118:119], v[178:179] neg_lo:[0,1] neg_hi:[0,1]
	s_wait_dscnt 0x0
	v_pk_mul_f32 v[172:173], v[170:171], v[176:177] op_sel:[0,1]
	s_delay_alu instid0(VALU_DEP_1) | instskip(SKIP_1) | instid1(VALU_DEP_1)
	v_pk_fma_f32 v[176:177], v[170:171], v[174:175], v[172:173] op_sel:[0,0,1] op_sel_hi:[1,1,0] neg_lo:[0,0,1] neg_hi:[0,0,1]
	v_pk_fma_f32 v[170:171], v[170:171], v[174:175], v[172:173] op_sel:[0,0,1] op_sel_hi:[1,0,0]
	v_mov_b32_e32 v177, v171
	s_delay_alu instid0(VALU_DEP_1)
	v_pk_add_f32 v[124:125], v[124:125], v[176:177] neg_lo:[0,1] neg_hi:[0,1]
.LBB61_199:
	s_or_b32 exec_lo, exec_lo, s1
	s_delay_alu instid0(SALU_CYCLE_1)
	s_mov_b32 s2, exec_lo
	s_wait_dscnt 0x0
	s_barrier_signal -1
	s_barrier_wait -1
	v_cmpx_eq_u32_e32 22, v188
	s_cbranch_execz .LBB61_206
; %bb.200:
	ds_store_b64 v189, v[98:99]
	ds_store_2addr_b64 v190, v[94:95], v[116:117] offset0:23 offset1:24
	ds_store_2addr_b64 v190, v[112:113], v[114:115] offset0:25 offset1:26
	;; [unrolled: 1-line block ×4, first 2 shown]
	ds_load_b64 v[170:171], v189
	s_wait_dscnt 0x0
	v_cmp_neq_f32_e32 vcc_lo, 0, v170
	v_cmp_neq_f32_e64 s1, 0, v171
	s_or_b32 s1, vcc_lo, s1
	s_delay_alu instid0(SALU_CYCLE_1)
	s_and_b32 exec_lo, exec_lo, s1
	s_cbranch_execz .LBB61_206
; %bb.201:
	v_cmp_ngt_f32_e64 s1, |v170|, |v171|
                                        ; implicit-def: $vgpr172_vgpr173
	s_and_saveexec_b32 s4, s1
	s_delay_alu instid0(SALU_CYCLE_1)
	s_xor_b32 s1, exec_lo, s4
	s_cbranch_execz .LBB61_203
; %bb.202:
	v_div_scale_f32 v172, null, v171, v171, v170
	v_div_scale_f32 v175, vcc_lo, v170, v171, v170
	s_delay_alu instid0(VALU_DEP_2) | instskip(SKIP_1) | instid1(TRANS32_DEP_1)
	v_rcp_f32_e32 v173, v172
	v_nop
	v_fma_f32 v174, -v172, v173, 1.0
	s_delay_alu instid0(VALU_DEP_1) | instskip(NEXT) | instid1(VALU_DEP_1)
	v_fmac_f32_e32 v173, v174, v173
	v_mul_f32_e32 v174, v175, v173
	s_delay_alu instid0(VALU_DEP_1) | instskip(NEXT) | instid1(VALU_DEP_1)
	v_fma_f32 v176, -v172, v174, v175
	v_fmac_f32_e32 v174, v176, v173
	s_delay_alu instid0(VALU_DEP_1) | instskip(NEXT) | instid1(VALU_DEP_1)
	v_fma_f32 v172, -v172, v174, v175
	v_div_fmas_f32 v172, v172, v173, v174
	s_delay_alu instid0(VALU_DEP_1) | instskip(NEXT) | instid1(VALU_DEP_1)
	v_div_fixup_f32 v172, v172, v171, v170
	v_fmac_f32_e32 v171, v170, v172
	s_delay_alu instid0(VALU_DEP_1) | instskip(SKIP_1) | instid1(VALU_DEP_2)
	v_div_scale_f32 v170, null, v171, v171, 1.0
	v_div_scale_f32 v175, vcc_lo, 1.0, v171, 1.0
	v_rcp_f32_e32 v173, v170
	v_nop
	s_delay_alu instid0(TRANS32_DEP_1) | instskip(NEXT) | instid1(VALU_DEP_1)
	v_fma_f32 v174, -v170, v173, 1.0
	v_fmac_f32_e32 v173, v174, v173
	s_delay_alu instid0(VALU_DEP_1) | instskip(NEXT) | instid1(VALU_DEP_1)
	v_mul_f32_e32 v174, v175, v173
	v_fma_f32 v176, -v170, v174, v175
	s_delay_alu instid0(VALU_DEP_1) | instskip(NEXT) | instid1(VALU_DEP_1)
	v_fmac_f32_e32 v174, v176, v173
	v_fma_f32 v170, -v170, v174, v175
	s_delay_alu instid0(VALU_DEP_1) | instskip(NEXT) | instid1(VALU_DEP_1)
	v_div_fmas_f32 v170, v170, v173, v174
	v_div_fixup_f32 v170, v170, v171, 1.0
	s_delay_alu instid0(VALU_DEP_1)
	v_mul_f32_e32 v172, v172, v170
	v_xor_b32_e32 v173, 0x80000000, v170
                                        ; implicit-def: $vgpr170_vgpr171
.LBB61_203:
	s_and_not1_saveexec_b32 s1, s1
	s_cbranch_execz .LBB61_205
; %bb.204:
	v_div_scale_f32 v172, null, v170, v170, v171
	v_div_scale_f32 v175, vcc_lo, v171, v170, v171
	s_delay_alu instid0(VALU_DEP_2) | instskip(SKIP_1) | instid1(TRANS32_DEP_1)
	v_rcp_f32_e32 v173, v172
	v_nop
	v_fma_f32 v174, -v172, v173, 1.0
	s_delay_alu instid0(VALU_DEP_1) | instskip(NEXT) | instid1(VALU_DEP_1)
	v_fmac_f32_e32 v173, v174, v173
	v_mul_f32_e32 v174, v175, v173
	s_delay_alu instid0(VALU_DEP_1) | instskip(NEXT) | instid1(VALU_DEP_1)
	v_fma_f32 v176, -v172, v174, v175
	v_fmac_f32_e32 v174, v176, v173
	s_delay_alu instid0(VALU_DEP_1) | instskip(NEXT) | instid1(VALU_DEP_1)
	v_fma_f32 v172, -v172, v174, v175
	v_div_fmas_f32 v172, v172, v173, v174
	s_delay_alu instid0(VALU_DEP_1) | instskip(NEXT) | instid1(VALU_DEP_1)
	v_div_fixup_f32 v173, v172, v170, v171
	v_fmac_f32_e32 v170, v171, v173
	s_delay_alu instid0(VALU_DEP_1) | instskip(NEXT) | instid1(VALU_DEP_1)
	v_div_scale_f32 v171, null, v170, v170, 1.0
	v_rcp_f32_e32 v172, v171
	v_nop
	s_delay_alu instid0(TRANS32_DEP_1) | instskip(NEXT) | instid1(VALU_DEP_1)
	v_fma_f32 v174, -v171, v172, 1.0
	v_fmac_f32_e32 v172, v174, v172
	v_div_scale_f32 v174, vcc_lo, 1.0, v170, 1.0
	s_delay_alu instid0(VALU_DEP_1) | instskip(NEXT) | instid1(VALU_DEP_1)
	v_mul_f32_e32 v175, v174, v172
	v_fma_f32 v176, -v171, v175, v174
	s_delay_alu instid0(VALU_DEP_1) | instskip(NEXT) | instid1(VALU_DEP_1)
	v_fmac_f32_e32 v175, v176, v172
	v_fma_f32 v171, -v171, v175, v174
	s_delay_alu instid0(VALU_DEP_1) | instskip(NEXT) | instid1(VALU_DEP_1)
	v_div_fmas_f32 v171, v171, v172, v175
	v_div_fixup_f32 v172, v171, v170, 1.0
	s_delay_alu instid0(VALU_DEP_1)
	v_mul_f32_e64 v173, v173, -v172
.LBB61_205:
	s_or_b32 exec_lo, exec_lo, s1
	ds_store_b64 v189, v[172:173]
.LBB61_206:
	s_or_b32 exec_lo, exec_lo, s2
	s_wait_dscnt 0x0
	s_barrier_signal -1
	s_barrier_wait -1
	ds_load_b64 v[170:171], v189
	s_mov_b32 s1, exec_lo
	v_cmpx_lt_u32_e32 22, v188
	s_cbranch_execz .LBB61_208
; %bb.207:
	s_wait_dscnt 0x0
	v_pk_mul_f32 v[172:173], v[170:171], v[98:99] op_sel:[1,1] op_sel_hi:[0,1]
	s_delay_alu instid0(VALU_DEP_1)
	v_pk_fma_f32 v[176:177], v[170:171], v[98:99], v[172:173] op_sel_hi:[1,0,1] neg_lo:[0,0,1] neg_hi:[0,0,1]
	v_pk_fma_f32 v[178:179], v[170:171], v[98:99], v[172:173] op_sel_hi:[1,0,1]
	ds_load_2addr_b64 v[172:175], v190 offset0:23 offset1:24
	v_dual_mov_b32 v98, v176 :: v_dual_mov_b32 v99, v179
	s_wait_dscnt 0x0
	v_pk_mul_f32 v[180:181], v[172:173], v[178:179] op_sel:[0,1]
	s_delay_alu instid0(VALU_DEP_1) | instskip(SKIP_1) | instid1(VALU_DEP_1)
	v_pk_fma_f32 v[182:183], v[172:173], v[176:177], v[180:181] op_sel:[0,0,1] op_sel_hi:[1,1,0] neg_lo:[0,0,1] neg_hi:[0,0,1]
	v_pk_fma_f32 v[172:173], v[172:173], v[176:177], v[180:181] op_sel:[0,0,1] op_sel_hi:[1,0,0]
	v_mov_b32_e32 v183, v173
	v_pk_mul_f32 v[172:173], v[174:175], v[178:179] op_sel:[0,1]
	s_delay_alu instid0(VALU_DEP_1) | instskip(SKIP_1) | instid1(VALU_DEP_1)
	v_pk_fma_f32 v[180:181], v[174:175], v[176:177], v[172:173] op_sel:[0,0,1] op_sel_hi:[1,1,0] neg_lo:[0,0,1] neg_hi:[0,0,1]
	v_pk_fma_f32 v[172:173], v[174:175], v[176:177], v[172:173] op_sel:[0,0,1] op_sel_hi:[1,0,0]
	v_mov_b32_e32 v181, v173
	ds_load_2addr_b64 v[172:175], v190 offset0:25 offset1:26
	v_pk_add_f32 v[94:95], v[94:95], v[182:183] neg_lo:[0,1] neg_hi:[0,1]
	v_pk_add_f32 v[116:117], v[116:117], v[180:181] neg_lo:[0,1] neg_hi:[0,1]
	s_wait_dscnt 0x0
	v_pk_mul_f32 v[180:181], v[172:173], v[178:179] op_sel:[0,1]
	s_delay_alu instid0(VALU_DEP_1) | instskip(SKIP_2) | instid1(VALU_DEP_2)
	v_pk_fma_f32 v[182:183], v[172:173], v[176:177], v[180:181] op_sel:[0,0,1] op_sel_hi:[1,1,0] neg_lo:[0,0,1] neg_hi:[0,0,1]
	v_pk_fma_f32 v[172:173], v[172:173], v[176:177], v[180:181] op_sel:[0,0,1] op_sel_hi:[1,0,0]
	v_dual_mul_f32 v180, v175, v179 :: v_dual_mov_b32 v172, v175
	v_dual_mov_b32 v183, v173 :: v_dual_mov_b32 v173, v174
	s_delay_alu instid0(VALU_DEP_2) | instskip(SKIP_1) | instid1(VALU_DEP_3)
	v_pk_fma_f32 v[180:181], v[174:175], v[98:99], v[180:181] op_sel_hi:[1,1,0] neg_lo:[0,0,1] neg_hi:[0,0,1]
	v_mul_f32_e32 v174, v175, v176
	v_pk_add_f32 v[112:113], v[112:113], v[182:183] neg_lo:[0,1] neg_hi:[0,1]
	s_delay_alu instid0(VALU_DEP_2) | instskip(NEXT) | instid1(VALU_DEP_1)
	v_pk_fma_f32 v[172:173], v[172:173], v[98:99], v[174:175] op_sel_hi:[1,1,0]
	v_mov_b32_e32 v181, v173
	ds_load_2addr_b64 v[172:175], v190 offset0:27 offset1:28
	v_pk_add_f32 v[114:115], v[114:115], v[180:181] neg_lo:[0,1] neg_hi:[0,1]
	s_wait_dscnt 0x0
	v_pk_mul_f32 v[180:181], v[172:173], v[178:179] op_sel:[0,1]
	s_delay_alu instid0(VALU_DEP_1) | instskip(SKIP_1) | instid1(VALU_DEP_1)
	v_pk_fma_f32 v[182:183], v[172:173], v[176:177], v[180:181] op_sel:[0,0,1] op_sel_hi:[1,1,0] neg_lo:[0,0,1] neg_hi:[0,0,1]
	v_pk_fma_f32 v[172:173], v[172:173], v[176:177], v[180:181] op_sel:[0,0,1] op_sel_hi:[1,0,0]
	v_mov_b32_e32 v183, v173
	v_pk_mul_f32 v[172:173], v[174:175], v[178:179] op_sel:[0,1]
	s_delay_alu instid0(VALU_DEP_1) | instskip(SKIP_1) | instid1(VALU_DEP_1)
	v_pk_fma_f32 v[180:181], v[174:175], v[176:177], v[172:173] op_sel:[0,0,1] op_sel_hi:[1,1,0] neg_lo:[0,0,1] neg_hi:[0,0,1]
	v_pk_fma_f32 v[172:173], v[174:175], v[176:177], v[172:173] op_sel:[0,0,1] op_sel_hi:[1,0,0]
	v_mov_b32_e32 v181, v173
	ds_load_2addr_b64 v[172:175], v190 offset0:29 offset1:30
	v_pk_add_f32 v[122:123], v[122:123], v[182:183] neg_lo:[0,1] neg_hi:[0,1]
	v_pk_add_f32 v[120:121], v[120:121], v[180:181] neg_lo:[0,1] neg_hi:[0,1]
	s_wait_dscnt 0x0
	v_pk_mul_f32 v[180:181], v[172:173], v[178:179] op_sel:[0,1]
	s_delay_alu instid0(VALU_DEP_1) | instskip(SKIP_1) | instid1(VALU_DEP_1)
	v_pk_fma_f32 v[182:183], v[172:173], v[176:177], v[180:181] op_sel:[0,0,1] op_sel_hi:[1,1,0] neg_lo:[0,0,1] neg_hi:[0,0,1]
	v_pk_fma_f32 v[172:173], v[172:173], v[176:177], v[180:181] op_sel:[0,0,1] op_sel_hi:[1,0,0]
	v_mov_b32_e32 v183, v173
	v_pk_mul_f32 v[172:173], v[174:175], v[178:179] op_sel:[0,1]
	s_delay_alu instid0(VALU_DEP_1) | instskip(SKIP_1) | instid1(VALU_DEP_1)
	v_pk_fma_f32 v[178:179], v[174:175], v[176:177], v[172:173] op_sel:[0,0,1] op_sel_hi:[1,1,0] neg_lo:[0,0,1] neg_hi:[0,0,1]
	v_pk_fma_f32 v[172:173], v[174:175], v[176:177], v[172:173] op_sel:[0,0,1] op_sel_hi:[1,0,0]
	v_mov_b32_e32 v179, v173
	v_pk_add_f32 v[118:119], v[118:119], v[182:183] neg_lo:[0,1] neg_hi:[0,1]
	s_delay_alu instid0(VALU_DEP_2)
	v_pk_add_f32 v[124:125], v[124:125], v[178:179] neg_lo:[0,1] neg_hi:[0,1]
.LBB61_208:
	s_or_b32 exec_lo, exec_lo, s1
	s_delay_alu instid0(SALU_CYCLE_1)
	s_mov_b32 s2, exec_lo
	s_wait_dscnt 0x0
	s_barrier_signal -1
	s_barrier_wait -1
	v_cmpx_eq_u32_e32 23, v188
	s_cbranch_execz .LBB61_215
; %bb.209:
	v_dual_mov_b32 v172, v116 :: v_dual_mov_b32 v173, v117
	v_dual_mov_b32 v174, v112 :: v_dual_mov_b32 v175, v113
	;; [unrolled: 1-line block ×6, first 2 shown]
	ds_store_b64 v189, v[94:95]
	ds_store_2addr_b64 v190, v[172:173], v[174:175] offset0:24 offset1:25
	ds_store_2addr_b64 v190, v[176:177], v[178:179] offset0:26 offset1:27
	;; [unrolled: 1-line block ×3, first 2 shown]
	ds_store_b64 v190, v[124:125] offset:240
	ds_load_b64 v[172:173], v189
	s_wait_dscnt 0x0
	v_cmp_neq_f32_e32 vcc_lo, 0, v172
	v_cmp_neq_f32_e64 s1, 0, v173
	s_or_b32 s1, vcc_lo, s1
	s_delay_alu instid0(SALU_CYCLE_1)
	s_and_b32 exec_lo, exec_lo, s1
	s_cbranch_execz .LBB61_215
; %bb.210:
	v_cmp_ngt_f32_e64 s1, |v172|, |v173|
                                        ; implicit-def: $vgpr174_vgpr175
	s_and_saveexec_b32 s4, s1
	s_delay_alu instid0(SALU_CYCLE_1)
	s_xor_b32 s1, exec_lo, s4
	s_cbranch_execz .LBB61_212
; %bb.211:
	v_div_scale_f32 v174, null, v173, v173, v172
	v_div_scale_f32 v177, vcc_lo, v172, v173, v172
	s_delay_alu instid0(VALU_DEP_2) | instskip(SKIP_1) | instid1(TRANS32_DEP_1)
	v_rcp_f32_e32 v175, v174
	v_nop
	v_fma_f32 v176, -v174, v175, 1.0
	s_delay_alu instid0(VALU_DEP_1) | instskip(NEXT) | instid1(VALU_DEP_1)
	v_fmac_f32_e32 v175, v176, v175
	v_mul_f32_e32 v176, v177, v175
	s_delay_alu instid0(VALU_DEP_1) | instskip(NEXT) | instid1(VALU_DEP_1)
	v_fma_f32 v178, -v174, v176, v177
	v_fmac_f32_e32 v176, v178, v175
	s_delay_alu instid0(VALU_DEP_1) | instskip(NEXT) | instid1(VALU_DEP_1)
	v_fma_f32 v174, -v174, v176, v177
	v_div_fmas_f32 v174, v174, v175, v176
	s_delay_alu instid0(VALU_DEP_1) | instskip(NEXT) | instid1(VALU_DEP_1)
	v_div_fixup_f32 v174, v174, v173, v172
	v_fmac_f32_e32 v173, v172, v174
	s_delay_alu instid0(VALU_DEP_1) | instskip(SKIP_1) | instid1(VALU_DEP_2)
	v_div_scale_f32 v172, null, v173, v173, 1.0
	v_div_scale_f32 v177, vcc_lo, 1.0, v173, 1.0
	v_rcp_f32_e32 v175, v172
	v_nop
	s_delay_alu instid0(TRANS32_DEP_1) | instskip(NEXT) | instid1(VALU_DEP_1)
	v_fma_f32 v176, -v172, v175, 1.0
	v_fmac_f32_e32 v175, v176, v175
	s_delay_alu instid0(VALU_DEP_1) | instskip(NEXT) | instid1(VALU_DEP_1)
	v_mul_f32_e32 v176, v177, v175
	v_fma_f32 v178, -v172, v176, v177
	s_delay_alu instid0(VALU_DEP_1) | instskip(NEXT) | instid1(VALU_DEP_1)
	v_fmac_f32_e32 v176, v178, v175
	v_fma_f32 v172, -v172, v176, v177
	s_delay_alu instid0(VALU_DEP_1) | instskip(NEXT) | instid1(VALU_DEP_1)
	v_div_fmas_f32 v172, v172, v175, v176
	v_div_fixup_f32 v172, v172, v173, 1.0
	s_delay_alu instid0(VALU_DEP_1)
	v_mul_f32_e32 v174, v174, v172
	v_xor_b32_e32 v175, 0x80000000, v172
                                        ; implicit-def: $vgpr172_vgpr173
.LBB61_212:
	s_and_not1_saveexec_b32 s1, s1
	s_cbranch_execz .LBB61_214
; %bb.213:
	v_div_scale_f32 v174, null, v172, v172, v173
	v_div_scale_f32 v177, vcc_lo, v173, v172, v173
	s_delay_alu instid0(VALU_DEP_2) | instskip(SKIP_1) | instid1(TRANS32_DEP_1)
	v_rcp_f32_e32 v175, v174
	v_nop
	v_fma_f32 v176, -v174, v175, 1.0
	s_delay_alu instid0(VALU_DEP_1) | instskip(NEXT) | instid1(VALU_DEP_1)
	v_fmac_f32_e32 v175, v176, v175
	v_mul_f32_e32 v176, v177, v175
	s_delay_alu instid0(VALU_DEP_1) | instskip(NEXT) | instid1(VALU_DEP_1)
	v_fma_f32 v178, -v174, v176, v177
	v_fmac_f32_e32 v176, v178, v175
	s_delay_alu instid0(VALU_DEP_1) | instskip(NEXT) | instid1(VALU_DEP_1)
	v_fma_f32 v174, -v174, v176, v177
	v_div_fmas_f32 v174, v174, v175, v176
	s_delay_alu instid0(VALU_DEP_1) | instskip(NEXT) | instid1(VALU_DEP_1)
	v_div_fixup_f32 v175, v174, v172, v173
	v_fmac_f32_e32 v172, v173, v175
	s_delay_alu instid0(VALU_DEP_1) | instskip(NEXT) | instid1(VALU_DEP_1)
	v_div_scale_f32 v173, null, v172, v172, 1.0
	v_rcp_f32_e32 v174, v173
	v_nop
	s_delay_alu instid0(TRANS32_DEP_1) | instskip(NEXT) | instid1(VALU_DEP_1)
	v_fma_f32 v176, -v173, v174, 1.0
	v_fmac_f32_e32 v174, v176, v174
	v_div_scale_f32 v176, vcc_lo, 1.0, v172, 1.0
	s_delay_alu instid0(VALU_DEP_1) | instskip(NEXT) | instid1(VALU_DEP_1)
	v_mul_f32_e32 v177, v176, v174
	v_fma_f32 v178, -v173, v177, v176
	s_delay_alu instid0(VALU_DEP_1) | instskip(NEXT) | instid1(VALU_DEP_1)
	v_fmac_f32_e32 v177, v178, v174
	v_fma_f32 v173, -v173, v177, v176
	s_delay_alu instid0(VALU_DEP_1) | instskip(NEXT) | instid1(VALU_DEP_1)
	v_div_fmas_f32 v173, v173, v174, v177
	v_div_fixup_f32 v174, v173, v172, 1.0
	s_delay_alu instid0(VALU_DEP_1)
	v_mul_f32_e64 v175, v175, -v174
.LBB61_214:
	s_or_b32 exec_lo, exec_lo, s1
	ds_store_b64 v189, v[174:175]
.LBB61_215:
	s_or_b32 exec_lo, exec_lo, s2
	s_wait_dscnt 0x0
	s_barrier_signal -1
	s_barrier_wait -1
	ds_load_b64 v[172:173], v189
	s_mov_b32 s1, exec_lo
	v_cmpx_lt_u32_e32 23, v188
	s_cbranch_execz .LBB61_217
; %bb.216:
	s_wait_dscnt 0x0
	v_pk_mul_f32 v[174:175], v[172:173], v[94:95] op_sel:[1,1] op_sel_hi:[0,1]
	s_delay_alu instid0(VALU_DEP_1)
	v_pk_fma_f32 v[178:179], v[172:173], v[94:95], v[174:175] op_sel_hi:[1,0,1] neg_lo:[0,0,1] neg_hi:[0,0,1]
	v_pk_fma_f32 v[180:181], v[172:173], v[94:95], v[174:175] op_sel_hi:[1,0,1]
	ds_load_2addr_b64 v[174:177], v190 offset0:24 offset1:25
	v_dual_mov_b32 v94, v178 :: v_dual_mov_b32 v95, v181
	s_wait_dscnt 0x0
	v_pk_mul_f32 v[182:183], v[174:175], v[180:181] op_sel:[0,1]
	s_delay_alu instid0(VALU_DEP_1) | instskip(SKIP_1) | instid1(VALU_DEP_1)
	v_pk_fma_f32 v[184:185], v[174:175], v[178:179], v[182:183] op_sel:[0,0,1] op_sel_hi:[1,1,0] neg_lo:[0,0,1] neg_hi:[0,0,1]
	v_pk_fma_f32 v[174:175], v[174:175], v[178:179], v[182:183] op_sel:[0,0,1] op_sel_hi:[1,0,0]
	v_mov_b32_e32 v185, v175
	v_pk_mul_f32 v[174:175], v[176:177], v[180:181] op_sel:[0,1]
	s_delay_alu instid0(VALU_DEP_1) | instskip(SKIP_1) | instid1(VALU_DEP_1)
	v_pk_fma_f32 v[182:183], v[176:177], v[178:179], v[174:175] op_sel:[0,0,1] op_sel_hi:[1,1,0] neg_lo:[0,0,1] neg_hi:[0,0,1]
	v_pk_fma_f32 v[174:175], v[176:177], v[178:179], v[174:175] op_sel:[0,0,1] op_sel_hi:[1,0,0]
	v_mov_b32_e32 v183, v175
	ds_load_2addr_b64 v[174:177], v190 offset0:26 offset1:27
	v_pk_add_f32 v[116:117], v[116:117], v[184:185] neg_lo:[0,1] neg_hi:[0,1]
	v_pk_add_f32 v[112:113], v[112:113], v[182:183] neg_lo:[0,1] neg_hi:[0,1]
	s_wait_dscnt 0x0
	v_pk_mul_f32 v[182:183], v[174:175], v[180:181] op_sel:[0,1]
	s_delay_alu instid0(VALU_DEP_1) | instskip(SKIP_2) | instid1(VALU_DEP_2)
	v_pk_fma_f32 v[184:185], v[174:175], v[178:179], v[182:183] op_sel:[0,0,1] op_sel_hi:[1,1,0] neg_lo:[0,0,1] neg_hi:[0,0,1]
	v_pk_fma_f32 v[174:175], v[174:175], v[178:179], v[182:183] op_sel:[0,0,1] op_sel_hi:[1,0,0]
	v_dual_mul_f32 v182, v177, v181 :: v_dual_mov_b32 v174, v177
	v_dual_mov_b32 v185, v175 :: v_dual_mov_b32 v175, v176
	s_delay_alu instid0(VALU_DEP_2) | instskip(SKIP_1) | instid1(VALU_DEP_3)
	v_pk_fma_f32 v[182:183], v[176:177], v[94:95], v[182:183] op_sel_hi:[1,1,0] neg_lo:[0,0,1] neg_hi:[0,0,1]
	v_mul_f32_e32 v176, v177, v178
	v_pk_add_f32 v[114:115], v[114:115], v[184:185] neg_lo:[0,1] neg_hi:[0,1]
	s_delay_alu instid0(VALU_DEP_2) | instskip(NEXT) | instid1(VALU_DEP_1)
	v_pk_fma_f32 v[174:175], v[174:175], v[94:95], v[176:177] op_sel_hi:[1,1,0]
	v_mov_b32_e32 v183, v175
	ds_load_2addr_b64 v[174:177], v190 offset0:28 offset1:29
	v_pk_add_f32 v[122:123], v[122:123], v[182:183] neg_lo:[0,1] neg_hi:[0,1]
	s_wait_dscnt 0x0
	v_pk_mul_f32 v[182:183], v[174:175], v[180:181] op_sel:[0,1]
	s_delay_alu instid0(VALU_DEP_1) | instskip(SKIP_1) | instid1(VALU_DEP_1)
	v_pk_fma_f32 v[184:185], v[174:175], v[178:179], v[182:183] op_sel:[0,0,1] op_sel_hi:[1,1,0] neg_lo:[0,0,1] neg_hi:[0,0,1]
	v_pk_fma_f32 v[174:175], v[174:175], v[178:179], v[182:183] op_sel:[0,0,1] op_sel_hi:[1,0,0]
	v_mov_b32_e32 v185, v175
	v_pk_mul_f32 v[174:175], v[176:177], v[180:181] op_sel:[0,1]
	s_delay_alu instid0(VALU_DEP_1) | instskip(SKIP_1) | instid1(VALU_DEP_1)
	v_pk_fma_f32 v[182:183], v[176:177], v[178:179], v[174:175] op_sel:[0,0,1] op_sel_hi:[1,1,0] neg_lo:[0,0,1] neg_hi:[0,0,1]
	v_pk_fma_f32 v[174:175], v[176:177], v[178:179], v[174:175] op_sel:[0,0,1] op_sel_hi:[1,0,0]
	v_mov_b32_e32 v183, v175
	ds_load_b64 v[174:175], v190 offset:240
	v_pk_add_f32 v[120:121], v[120:121], v[184:185] neg_lo:[0,1] neg_hi:[0,1]
	v_pk_add_f32 v[118:119], v[118:119], v[182:183] neg_lo:[0,1] neg_hi:[0,1]
	s_wait_dscnt 0x0
	v_pk_mul_f32 v[176:177], v[174:175], v[180:181] op_sel:[0,1]
	s_delay_alu instid0(VALU_DEP_1) | instskip(SKIP_1) | instid1(VALU_DEP_1)
	v_pk_fma_f32 v[180:181], v[174:175], v[178:179], v[176:177] op_sel:[0,0,1] op_sel_hi:[1,1,0] neg_lo:[0,0,1] neg_hi:[0,0,1]
	v_pk_fma_f32 v[174:175], v[174:175], v[178:179], v[176:177] op_sel:[0,0,1] op_sel_hi:[1,0,0]
	v_mov_b32_e32 v181, v175
	s_delay_alu instid0(VALU_DEP_1)
	v_pk_add_f32 v[124:125], v[124:125], v[180:181] neg_lo:[0,1] neg_hi:[0,1]
.LBB61_217:
	s_or_b32 exec_lo, exec_lo, s1
	s_delay_alu instid0(SALU_CYCLE_1)
	s_mov_b32 s2, exec_lo
	s_wait_dscnt 0x0
	s_barrier_signal -1
	s_barrier_wait -1
	v_cmpx_eq_u32_e32 24, v188
	s_cbranch_execz .LBB61_224
; %bb.218:
	ds_store_b64 v189, v[116:117]
	ds_store_2addr_b64 v190, v[112:113], v[114:115] offset0:25 offset1:26
	ds_store_2addr_b64 v190, v[122:123], v[120:121] offset0:27 offset1:28
	;; [unrolled: 1-line block ×3, first 2 shown]
	ds_load_b64 v[174:175], v189
	s_wait_dscnt 0x0
	v_cmp_neq_f32_e32 vcc_lo, 0, v174
	v_cmp_neq_f32_e64 s1, 0, v175
	s_or_b32 s1, vcc_lo, s1
	s_delay_alu instid0(SALU_CYCLE_1)
	s_and_b32 exec_lo, exec_lo, s1
	s_cbranch_execz .LBB61_224
; %bb.219:
	v_cmp_ngt_f32_e64 s1, |v174|, |v175|
                                        ; implicit-def: $vgpr176_vgpr177
	s_and_saveexec_b32 s4, s1
	s_delay_alu instid0(SALU_CYCLE_1)
	s_xor_b32 s1, exec_lo, s4
	s_cbranch_execz .LBB61_221
; %bb.220:
	v_div_scale_f32 v176, null, v175, v175, v174
	v_div_scale_f32 v179, vcc_lo, v174, v175, v174
	s_delay_alu instid0(VALU_DEP_2) | instskip(SKIP_1) | instid1(TRANS32_DEP_1)
	v_rcp_f32_e32 v177, v176
	v_nop
	v_fma_f32 v178, -v176, v177, 1.0
	s_delay_alu instid0(VALU_DEP_1) | instskip(NEXT) | instid1(VALU_DEP_1)
	v_fmac_f32_e32 v177, v178, v177
	v_mul_f32_e32 v178, v179, v177
	s_delay_alu instid0(VALU_DEP_1) | instskip(NEXT) | instid1(VALU_DEP_1)
	v_fma_f32 v180, -v176, v178, v179
	v_fmac_f32_e32 v178, v180, v177
	s_delay_alu instid0(VALU_DEP_1) | instskip(NEXT) | instid1(VALU_DEP_1)
	v_fma_f32 v176, -v176, v178, v179
	v_div_fmas_f32 v176, v176, v177, v178
	s_delay_alu instid0(VALU_DEP_1) | instskip(NEXT) | instid1(VALU_DEP_1)
	v_div_fixup_f32 v176, v176, v175, v174
	v_fmac_f32_e32 v175, v174, v176
	s_delay_alu instid0(VALU_DEP_1) | instskip(SKIP_1) | instid1(VALU_DEP_2)
	v_div_scale_f32 v174, null, v175, v175, 1.0
	v_div_scale_f32 v179, vcc_lo, 1.0, v175, 1.0
	v_rcp_f32_e32 v177, v174
	v_nop
	s_delay_alu instid0(TRANS32_DEP_1) | instskip(NEXT) | instid1(VALU_DEP_1)
	v_fma_f32 v178, -v174, v177, 1.0
	v_fmac_f32_e32 v177, v178, v177
	s_delay_alu instid0(VALU_DEP_1) | instskip(NEXT) | instid1(VALU_DEP_1)
	v_mul_f32_e32 v178, v179, v177
	v_fma_f32 v180, -v174, v178, v179
	s_delay_alu instid0(VALU_DEP_1) | instskip(NEXT) | instid1(VALU_DEP_1)
	v_fmac_f32_e32 v178, v180, v177
	v_fma_f32 v174, -v174, v178, v179
	s_delay_alu instid0(VALU_DEP_1) | instskip(NEXT) | instid1(VALU_DEP_1)
	v_div_fmas_f32 v174, v174, v177, v178
	v_div_fixup_f32 v174, v174, v175, 1.0
	s_delay_alu instid0(VALU_DEP_1)
	v_mul_f32_e32 v176, v176, v174
	v_xor_b32_e32 v177, 0x80000000, v174
                                        ; implicit-def: $vgpr174_vgpr175
.LBB61_221:
	s_and_not1_saveexec_b32 s1, s1
	s_cbranch_execz .LBB61_223
; %bb.222:
	v_div_scale_f32 v176, null, v174, v174, v175
	v_div_scale_f32 v179, vcc_lo, v175, v174, v175
	s_delay_alu instid0(VALU_DEP_2) | instskip(SKIP_1) | instid1(TRANS32_DEP_1)
	v_rcp_f32_e32 v177, v176
	v_nop
	v_fma_f32 v178, -v176, v177, 1.0
	s_delay_alu instid0(VALU_DEP_1) | instskip(NEXT) | instid1(VALU_DEP_1)
	v_fmac_f32_e32 v177, v178, v177
	v_mul_f32_e32 v178, v179, v177
	s_delay_alu instid0(VALU_DEP_1) | instskip(NEXT) | instid1(VALU_DEP_1)
	v_fma_f32 v180, -v176, v178, v179
	v_fmac_f32_e32 v178, v180, v177
	s_delay_alu instid0(VALU_DEP_1) | instskip(NEXT) | instid1(VALU_DEP_1)
	v_fma_f32 v176, -v176, v178, v179
	v_div_fmas_f32 v176, v176, v177, v178
	s_delay_alu instid0(VALU_DEP_1) | instskip(NEXT) | instid1(VALU_DEP_1)
	v_div_fixup_f32 v177, v176, v174, v175
	v_fmac_f32_e32 v174, v175, v177
	s_delay_alu instid0(VALU_DEP_1) | instskip(NEXT) | instid1(VALU_DEP_1)
	v_div_scale_f32 v175, null, v174, v174, 1.0
	v_rcp_f32_e32 v176, v175
	v_nop
	s_delay_alu instid0(TRANS32_DEP_1) | instskip(NEXT) | instid1(VALU_DEP_1)
	v_fma_f32 v178, -v175, v176, 1.0
	v_fmac_f32_e32 v176, v178, v176
	v_div_scale_f32 v178, vcc_lo, 1.0, v174, 1.0
	s_delay_alu instid0(VALU_DEP_1) | instskip(NEXT) | instid1(VALU_DEP_1)
	v_mul_f32_e32 v179, v178, v176
	v_fma_f32 v180, -v175, v179, v178
	s_delay_alu instid0(VALU_DEP_1) | instskip(NEXT) | instid1(VALU_DEP_1)
	v_fmac_f32_e32 v179, v180, v176
	v_fma_f32 v175, -v175, v179, v178
	s_delay_alu instid0(VALU_DEP_1) | instskip(NEXT) | instid1(VALU_DEP_1)
	v_div_fmas_f32 v175, v175, v176, v179
	v_div_fixup_f32 v176, v175, v174, 1.0
	s_delay_alu instid0(VALU_DEP_1)
	v_mul_f32_e64 v177, v177, -v176
.LBB61_223:
	s_or_b32 exec_lo, exec_lo, s1
	ds_store_b64 v189, v[176:177]
.LBB61_224:
	s_or_b32 exec_lo, exec_lo, s2
	s_wait_dscnt 0x0
	s_barrier_signal -1
	s_barrier_wait -1
	ds_load_b64 v[174:175], v189
	s_mov_b32 s1, exec_lo
	v_cmpx_lt_u32_e32 24, v188
	s_cbranch_execz .LBB61_226
; %bb.225:
	s_wait_dscnt 0x0
	v_pk_mul_f32 v[176:177], v[174:175], v[116:117] op_sel:[1,1] op_sel_hi:[0,1]
	s_delay_alu instid0(VALU_DEP_1)
	v_pk_fma_f32 v[180:181], v[174:175], v[116:117], v[176:177] op_sel_hi:[1,0,1] neg_lo:[0,0,1] neg_hi:[0,0,1]
	v_pk_fma_f32 v[182:183], v[174:175], v[116:117], v[176:177] op_sel_hi:[1,0,1]
	ds_load_2addr_b64 v[176:179], v190 offset0:25 offset1:26
	v_dual_mov_b32 v116, v180 :: v_dual_mov_b32 v117, v183
	s_wait_dscnt 0x0
	v_pk_mul_f32 v[184:185], v[176:177], v[182:183] op_sel:[0,1]
	s_delay_alu instid0(VALU_DEP_1) | instskip(SKIP_1) | instid1(VALU_DEP_1)
	v_pk_fma_f32 v[186:187], v[176:177], v[180:181], v[184:185] op_sel:[0,0,1] op_sel_hi:[1,1,0] neg_lo:[0,0,1] neg_hi:[0,0,1]
	v_pk_fma_f32 v[176:177], v[176:177], v[180:181], v[184:185] op_sel:[0,0,1] op_sel_hi:[1,0,0]
	v_mov_b32_e32 v187, v177
	v_pk_mul_f32 v[176:177], v[178:179], v[182:183] op_sel:[0,1]
	s_delay_alu instid0(VALU_DEP_1) | instskip(SKIP_1) | instid1(VALU_DEP_1)
	v_pk_fma_f32 v[184:185], v[178:179], v[180:181], v[176:177] op_sel:[0,0,1] op_sel_hi:[1,1,0] neg_lo:[0,0,1] neg_hi:[0,0,1]
	v_pk_fma_f32 v[176:177], v[178:179], v[180:181], v[176:177] op_sel:[0,0,1] op_sel_hi:[1,0,0]
	v_mov_b32_e32 v185, v177
	ds_load_2addr_b64 v[176:179], v190 offset0:27 offset1:28
	v_pk_add_f32 v[112:113], v[112:113], v[186:187] neg_lo:[0,1] neg_hi:[0,1]
	v_pk_add_f32 v[114:115], v[114:115], v[184:185] neg_lo:[0,1] neg_hi:[0,1]
	s_wait_dscnt 0x0
	v_pk_mul_f32 v[184:185], v[176:177], v[182:183] op_sel:[0,1]
	s_delay_alu instid0(VALU_DEP_1) | instskip(SKIP_2) | instid1(VALU_DEP_2)
	v_pk_fma_f32 v[186:187], v[176:177], v[180:181], v[184:185] op_sel:[0,0,1] op_sel_hi:[1,1,0] neg_lo:[0,0,1] neg_hi:[0,0,1]
	v_pk_fma_f32 v[176:177], v[176:177], v[180:181], v[184:185] op_sel:[0,0,1] op_sel_hi:[1,0,0]
	v_dual_mul_f32 v184, v179, v183 :: v_dual_mov_b32 v176, v179
	v_dual_mov_b32 v187, v177 :: v_dual_mov_b32 v177, v178
	s_delay_alu instid0(VALU_DEP_2) | instskip(SKIP_1) | instid1(VALU_DEP_3)
	v_pk_fma_f32 v[184:185], v[178:179], v[116:117], v[184:185] op_sel_hi:[1,1,0] neg_lo:[0,0,1] neg_hi:[0,0,1]
	v_mul_f32_e32 v178, v179, v180
	v_pk_add_f32 v[122:123], v[122:123], v[186:187] neg_lo:[0,1] neg_hi:[0,1]
	s_delay_alu instid0(VALU_DEP_2) | instskip(NEXT) | instid1(VALU_DEP_1)
	v_pk_fma_f32 v[176:177], v[176:177], v[116:117], v[178:179] op_sel_hi:[1,1,0]
	v_mov_b32_e32 v185, v177
	ds_load_2addr_b64 v[176:179], v190 offset0:29 offset1:30
	v_pk_add_f32 v[120:121], v[120:121], v[184:185] neg_lo:[0,1] neg_hi:[0,1]
	s_wait_dscnt 0x0
	v_pk_mul_f32 v[184:185], v[176:177], v[182:183] op_sel:[0,1]
	v_mul_f32_e32 v182, v179, v183
	s_delay_alu instid0(VALU_DEP_2) | instskip(SKIP_2) | instid1(VALU_DEP_4)
	v_pk_fma_f32 v[186:187], v[176:177], v[180:181], v[184:185] op_sel:[0,0,1] op_sel_hi:[1,1,0] neg_lo:[0,0,1] neg_hi:[0,0,1]
	v_pk_fma_f32 v[176:177], v[176:177], v[180:181], v[184:185] op_sel:[0,0,1] op_sel_hi:[1,0,0]
	v_mov_b32_e32 v176, v179
	v_pk_fma_f32 v[182:183], v[178:179], v[116:117], v[182:183] op_sel_hi:[1,1,0] neg_lo:[0,0,1] neg_hi:[0,0,1]
	s_delay_alu instid0(VALU_DEP_3) | instskip(SKIP_1) | instid1(VALU_DEP_2)
	v_dual_mov_b32 v187, v177 :: v_dual_mov_b32 v177, v178
	v_mul_f32_e32 v178, v179, v180
	v_pk_add_f32 v[118:119], v[118:119], v[186:187] neg_lo:[0,1] neg_hi:[0,1]
	s_delay_alu instid0(VALU_DEP_2) | instskip(NEXT) | instid1(VALU_DEP_1)
	v_pk_fma_f32 v[176:177], v[176:177], v[116:117], v[178:179] op_sel_hi:[1,1,0]
	v_mov_b32_e32 v183, v177
	s_delay_alu instid0(VALU_DEP_1)
	v_pk_add_f32 v[124:125], v[124:125], v[182:183] neg_lo:[0,1] neg_hi:[0,1]
.LBB61_226:
	s_or_b32 exec_lo, exec_lo, s1
	s_delay_alu instid0(SALU_CYCLE_1)
	s_mov_b32 s2, exec_lo
	s_wait_dscnt 0x0
	s_barrier_signal -1
	s_barrier_wait -1
	v_cmpx_eq_u32_e32 25, v188
	s_cbranch_execz .LBB61_233
; %bb.227:
	v_dual_mov_b32 v176, v114 :: v_dual_mov_b32 v177, v115
	v_dual_mov_b32 v178, v122 :: v_dual_mov_b32 v179, v123
	;; [unrolled: 1-line block ×4, first 2 shown]
	ds_store_b64 v189, v[112:113]
	ds_store_2addr_b64 v190, v[176:177], v[178:179] offset0:26 offset1:27
	ds_store_2addr_b64 v190, v[180:181], v[182:183] offset0:28 offset1:29
	ds_store_b64 v190, v[124:125] offset:240
	ds_load_b64 v[176:177], v189
	s_wait_dscnt 0x0
	v_cmp_neq_f32_e32 vcc_lo, 0, v176
	v_cmp_neq_f32_e64 s1, 0, v177
	s_or_b32 s1, vcc_lo, s1
	s_delay_alu instid0(SALU_CYCLE_1)
	s_and_b32 exec_lo, exec_lo, s1
	s_cbranch_execz .LBB61_233
; %bb.228:
	v_cmp_ngt_f32_e64 s1, |v176|, |v177|
                                        ; implicit-def: $vgpr178_vgpr179
	s_and_saveexec_b32 s4, s1
	s_delay_alu instid0(SALU_CYCLE_1)
	s_xor_b32 s1, exec_lo, s4
	s_cbranch_execz .LBB61_230
; %bb.229:
	v_div_scale_f32 v178, null, v177, v177, v176
	v_div_scale_f32 v181, vcc_lo, v176, v177, v176
	s_delay_alu instid0(VALU_DEP_2) | instskip(SKIP_1) | instid1(TRANS32_DEP_1)
	v_rcp_f32_e32 v179, v178
	v_nop
	v_fma_f32 v180, -v178, v179, 1.0
	s_delay_alu instid0(VALU_DEP_1) | instskip(NEXT) | instid1(VALU_DEP_1)
	v_fmac_f32_e32 v179, v180, v179
	v_mul_f32_e32 v180, v181, v179
	s_delay_alu instid0(VALU_DEP_1) | instskip(NEXT) | instid1(VALU_DEP_1)
	v_fma_f32 v182, -v178, v180, v181
	v_fmac_f32_e32 v180, v182, v179
	s_delay_alu instid0(VALU_DEP_1) | instskip(NEXT) | instid1(VALU_DEP_1)
	v_fma_f32 v178, -v178, v180, v181
	v_div_fmas_f32 v178, v178, v179, v180
	s_delay_alu instid0(VALU_DEP_1) | instskip(NEXT) | instid1(VALU_DEP_1)
	v_div_fixup_f32 v178, v178, v177, v176
	v_fmac_f32_e32 v177, v176, v178
	s_delay_alu instid0(VALU_DEP_1) | instskip(SKIP_1) | instid1(VALU_DEP_2)
	v_div_scale_f32 v176, null, v177, v177, 1.0
	v_div_scale_f32 v181, vcc_lo, 1.0, v177, 1.0
	v_rcp_f32_e32 v179, v176
	v_nop
	s_delay_alu instid0(TRANS32_DEP_1) | instskip(NEXT) | instid1(VALU_DEP_1)
	v_fma_f32 v180, -v176, v179, 1.0
	v_fmac_f32_e32 v179, v180, v179
	s_delay_alu instid0(VALU_DEP_1) | instskip(NEXT) | instid1(VALU_DEP_1)
	v_mul_f32_e32 v180, v181, v179
	v_fma_f32 v182, -v176, v180, v181
	s_delay_alu instid0(VALU_DEP_1) | instskip(NEXT) | instid1(VALU_DEP_1)
	v_fmac_f32_e32 v180, v182, v179
	v_fma_f32 v176, -v176, v180, v181
	s_delay_alu instid0(VALU_DEP_1) | instskip(NEXT) | instid1(VALU_DEP_1)
	v_div_fmas_f32 v176, v176, v179, v180
	v_div_fixup_f32 v176, v176, v177, 1.0
	s_delay_alu instid0(VALU_DEP_1)
	v_mul_f32_e32 v178, v178, v176
	v_xor_b32_e32 v179, 0x80000000, v176
                                        ; implicit-def: $vgpr176_vgpr177
.LBB61_230:
	s_and_not1_saveexec_b32 s1, s1
	s_cbranch_execz .LBB61_232
; %bb.231:
	v_div_scale_f32 v178, null, v176, v176, v177
	v_div_scale_f32 v181, vcc_lo, v177, v176, v177
	s_delay_alu instid0(VALU_DEP_2) | instskip(SKIP_1) | instid1(TRANS32_DEP_1)
	v_rcp_f32_e32 v179, v178
	v_nop
	v_fma_f32 v180, -v178, v179, 1.0
	s_delay_alu instid0(VALU_DEP_1) | instskip(NEXT) | instid1(VALU_DEP_1)
	v_fmac_f32_e32 v179, v180, v179
	v_mul_f32_e32 v180, v181, v179
	s_delay_alu instid0(VALU_DEP_1) | instskip(NEXT) | instid1(VALU_DEP_1)
	v_fma_f32 v182, -v178, v180, v181
	v_fmac_f32_e32 v180, v182, v179
	s_delay_alu instid0(VALU_DEP_1) | instskip(NEXT) | instid1(VALU_DEP_1)
	v_fma_f32 v178, -v178, v180, v181
	v_div_fmas_f32 v178, v178, v179, v180
	s_delay_alu instid0(VALU_DEP_1) | instskip(NEXT) | instid1(VALU_DEP_1)
	v_div_fixup_f32 v179, v178, v176, v177
	v_fmac_f32_e32 v176, v177, v179
	s_delay_alu instid0(VALU_DEP_1) | instskip(NEXT) | instid1(VALU_DEP_1)
	v_div_scale_f32 v177, null, v176, v176, 1.0
	v_rcp_f32_e32 v178, v177
	v_nop
	s_delay_alu instid0(TRANS32_DEP_1) | instskip(NEXT) | instid1(VALU_DEP_1)
	v_fma_f32 v180, -v177, v178, 1.0
	v_fmac_f32_e32 v178, v180, v178
	v_div_scale_f32 v180, vcc_lo, 1.0, v176, 1.0
	s_delay_alu instid0(VALU_DEP_1) | instskip(NEXT) | instid1(VALU_DEP_1)
	v_mul_f32_e32 v181, v180, v178
	v_fma_f32 v182, -v177, v181, v180
	s_delay_alu instid0(VALU_DEP_1) | instskip(NEXT) | instid1(VALU_DEP_1)
	v_fmac_f32_e32 v181, v182, v178
	v_fma_f32 v177, -v177, v181, v180
	s_delay_alu instid0(VALU_DEP_1) | instskip(NEXT) | instid1(VALU_DEP_1)
	v_div_fmas_f32 v177, v177, v178, v181
	v_div_fixup_f32 v178, v177, v176, 1.0
	s_delay_alu instid0(VALU_DEP_1)
	v_mul_f32_e64 v179, v179, -v178
.LBB61_232:
	s_or_b32 exec_lo, exec_lo, s1
	ds_store_b64 v189, v[178:179]
.LBB61_233:
	s_or_b32 exec_lo, exec_lo, s2
	s_wait_dscnt 0x0
	s_barrier_signal -1
	s_barrier_wait -1
	ds_load_b64 v[176:177], v189
	s_mov_b32 s1, exec_lo
	v_cmpx_lt_u32_e32 25, v188
	s_cbranch_execz .LBB61_235
; %bb.234:
	ds_load_2addr_b64 v[178:181], v190 offset0:26 offset1:27
	ds_load_2addr_b64 v[182:185], v190 offset0:28 offset1:29
	ds_load_b64 v[186:187], v190 offset:240
	s_wait_dscnt 0x3
	v_pk_mul_f32 v[192:193], v[176:177], v[112:113] op_sel:[1,1] op_sel_hi:[0,1]
	s_delay_alu instid0(VALU_DEP_1) | instskip(SKIP_1) | instid1(VALU_DEP_1)
	v_pk_fma_f32 v[194:195], v[176:177], v[112:113], v[192:193] op_sel_hi:[1,0,1] neg_lo:[0,0,1] neg_hi:[0,0,1]
	v_pk_fma_f32 v[192:193], v[176:177], v[112:113], v[192:193] op_sel_hi:[1,0,1]
	v_dual_mov_b32 v112, v194 :: v_dual_mov_b32 v113, v193
	s_wait_dscnt 0x2
	s_delay_alu instid0(VALU_DEP_2)
	v_pk_mul_f32 v[196:197], v[178:179], v[192:193] op_sel:[0,1]
	v_pk_mul_f32 v[198:199], v[180:181], v[192:193] op_sel:[0,1]
	s_wait_dscnt 0x1
	v_pk_mul_f32 v[200:201], v[182:183], v[192:193] op_sel:[0,1]
	v_dual_mov_b32 v202, v185 :: v_dual_mov_b32 v203, v184
	v_dual_mul_f32 v204, v185, v193 :: v_dual_mul_f32 v206, v185, v194
	s_wait_dscnt 0x0
	v_pk_mul_f32 v[192:193], v[186:187], v[192:193] op_sel:[0,1]
	v_pk_fma_f32 v[208:209], v[178:179], v[194:195], v[196:197] op_sel:[0,0,1] op_sel_hi:[1,1,0] neg_lo:[0,0,1] neg_hi:[0,0,1]
	v_pk_fma_f32 v[178:179], v[178:179], v[194:195], v[196:197] op_sel:[0,0,1] op_sel_hi:[1,0,0]
	v_pk_fma_f32 v[196:197], v[180:181], v[194:195], v[198:199] op_sel:[0,0,1] op_sel_hi:[1,1,0] neg_lo:[0,0,1] neg_hi:[0,0,1]
	v_pk_fma_f32 v[180:181], v[180:181], v[194:195], v[198:199] op_sel:[0,0,1] op_sel_hi:[1,0,0]
	;; [unrolled: 2-line block ×3, first 2 shown]
	v_pk_fma_f32 v[200:201], v[202:203], v[112:113], v[206:207] op_sel_hi:[1,1,0]
	v_pk_fma_f32 v[202:203], v[186:187], v[194:195], v[192:193] op_sel:[0,0,1] op_sel_hi:[1,1,0] neg_lo:[0,0,1] neg_hi:[0,0,1]
	v_pk_fma_f32 v[186:187], v[186:187], v[194:195], v[192:193] op_sel:[0,0,1] op_sel_hi:[1,0,0]
	v_pk_fma_f32 v[184:185], v[184:185], v[112:113], v[204:205] op_sel_hi:[1,1,0] neg_lo:[0,0,1] neg_hi:[0,0,1]
	v_dual_mov_b32 v209, v179 :: v_dual_mov_b32 v197, v181
	v_dual_mov_b32 v199, v183 :: v_dual_mov_b32 v185, v201
	s_delay_alu instid0(VALU_DEP_4) | instskip(NEXT) | instid1(VALU_DEP_3)
	v_mov_b32_e32 v203, v187
	v_pk_add_f32 v[114:115], v[114:115], v[208:209] neg_lo:[0,1] neg_hi:[0,1]
	s_delay_alu instid0(VALU_DEP_4) | instskip(NEXT) | instid1(VALU_DEP_4)
	v_pk_add_f32 v[122:123], v[122:123], v[196:197] neg_lo:[0,1] neg_hi:[0,1]
	v_pk_add_f32 v[120:121], v[120:121], v[198:199] neg_lo:[0,1] neg_hi:[0,1]
	;; [unrolled: 1-line block ×4, first 2 shown]
.LBB61_235:
	s_or_b32 exec_lo, exec_lo, s1
	s_delay_alu instid0(SALU_CYCLE_1)
	s_mov_b32 s2, exec_lo
	s_wait_dscnt 0x0
	s_barrier_signal -1
	s_barrier_wait -1
	v_cmpx_eq_u32_e32 26, v188
	s_cbranch_execz .LBB61_242
; %bb.236:
	ds_store_b64 v189, v[114:115]
	ds_store_2addr_b64 v190, v[122:123], v[120:121] offset0:27 offset1:28
	ds_store_2addr_b64 v190, v[118:119], v[124:125] offset0:29 offset1:30
	ds_load_b64 v[178:179], v189
	s_wait_dscnt 0x0
	v_cmp_neq_f32_e32 vcc_lo, 0, v178
	v_cmp_neq_f32_e64 s1, 0, v179
	s_or_b32 s1, vcc_lo, s1
	s_delay_alu instid0(SALU_CYCLE_1)
	s_and_b32 exec_lo, exec_lo, s1
	s_cbranch_execz .LBB61_242
; %bb.237:
	v_cmp_ngt_f32_e64 s1, |v178|, |v179|
                                        ; implicit-def: $vgpr180_vgpr181
	s_and_saveexec_b32 s4, s1
	s_delay_alu instid0(SALU_CYCLE_1)
	s_xor_b32 s1, exec_lo, s4
	s_cbranch_execz .LBB61_239
; %bb.238:
	v_div_scale_f32 v180, null, v179, v179, v178
	v_div_scale_f32 v183, vcc_lo, v178, v179, v178
	s_delay_alu instid0(VALU_DEP_2) | instskip(SKIP_1) | instid1(TRANS32_DEP_1)
	v_rcp_f32_e32 v181, v180
	v_nop
	v_fma_f32 v182, -v180, v181, 1.0
	s_delay_alu instid0(VALU_DEP_1) | instskip(NEXT) | instid1(VALU_DEP_1)
	v_fmac_f32_e32 v181, v182, v181
	v_mul_f32_e32 v182, v183, v181
	s_delay_alu instid0(VALU_DEP_1) | instskip(NEXT) | instid1(VALU_DEP_1)
	v_fma_f32 v184, -v180, v182, v183
	v_fmac_f32_e32 v182, v184, v181
	s_delay_alu instid0(VALU_DEP_1) | instskip(NEXT) | instid1(VALU_DEP_1)
	v_fma_f32 v180, -v180, v182, v183
	v_div_fmas_f32 v180, v180, v181, v182
	s_delay_alu instid0(VALU_DEP_1) | instskip(NEXT) | instid1(VALU_DEP_1)
	v_div_fixup_f32 v180, v180, v179, v178
	v_fmac_f32_e32 v179, v178, v180
	s_delay_alu instid0(VALU_DEP_1) | instskip(SKIP_1) | instid1(VALU_DEP_2)
	v_div_scale_f32 v178, null, v179, v179, 1.0
	v_div_scale_f32 v183, vcc_lo, 1.0, v179, 1.0
	v_rcp_f32_e32 v181, v178
	v_nop
	s_delay_alu instid0(TRANS32_DEP_1) | instskip(NEXT) | instid1(VALU_DEP_1)
	v_fma_f32 v182, -v178, v181, 1.0
	v_fmac_f32_e32 v181, v182, v181
	s_delay_alu instid0(VALU_DEP_1) | instskip(NEXT) | instid1(VALU_DEP_1)
	v_mul_f32_e32 v182, v183, v181
	v_fma_f32 v184, -v178, v182, v183
	s_delay_alu instid0(VALU_DEP_1) | instskip(NEXT) | instid1(VALU_DEP_1)
	v_fmac_f32_e32 v182, v184, v181
	v_fma_f32 v178, -v178, v182, v183
	s_delay_alu instid0(VALU_DEP_1) | instskip(NEXT) | instid1(VALU_DEP_1)
	v_div_fmas_f32 v178, v178, v181, v182
	v_div_fixup_f32 v178, v178, v179, 1.0
	s_delay_alu instid0(VALU_DEP_1)
	v_mul_f32_e32 v180, v180, v178
	v_xor_b32_e32 v181, 0x80000000, v178
                                        ; implicit-def: $vgpr178_vgpr179
.LBB61_239:
	s_and_not1_saveexec_b32 s1, s1
	s_cbranch_execz .LBB61_241
; %bb.240:
	v_div_scale_f32 v180, null, v178, v178, v179
	v_div_scale_f32 v183, vcc_lo, v179, v178, v179
	s_delay_alu instid0(VALU_DEP_2) | instskip(SKIP_1) | instid1(TRANS32_DEP_1)
	v_rcp_f32_e32 v181, v180
	v_nop
	v_fma_f32 v182, -v180, v181, 1.0
	s_delay_alu instid0(VALU_DEP_1) | instskip(NEXT) | instid1(VALU_DEP_1)
	v_fmac_f32_e32 v181, v182, v181
	v_mul_f32_e32 v182, v183, v181
	s_delay_alu instid0(VALU_DEP_1) | instskip(NEXT) | instid1(VALU_DEP_1)
	v_fma_f32 v184, -v180, v182, v183
	v_fmac_f32_e32 v182, v184, v181
	s_delay_alu instid0(VALU_DEP_1) | instskip(NEXT) | instid1(VALU_DEP_1)
	v_fma_f32 v180, -v180, v182, v183
	v_div_fmas_f32 v180, v180, v181, v182
	s_delay_alu instid0(VALU_DEP_1) | instskip(NEXT) | instid1(VALU_DEP_1)
	v_div_fixup_f32 v181, v180, v178, v179
	v_fmac_f32_e32 v178, v179, v181
	s_delay_alu instid0(VALU_DEP_1) | instskip(NEXT) | instid1(VALU_DEP_1)
	v_div_scale_f32 v179, null, v178, v178, 1.0
	v_rcp_f32_e32 v180, v179
	v_nop
	s_delay_alu instid0(TRANS32_DEP_1) | instskip(NEXT) | instid1(VALU_DEP_1)
	v_fma_f32 v182, -v179, v180, 1.0
	v_fmac_f32_e32 v180, v182, v180
	v_div_scale_f32 v182, vcc_lo, 1.0, v178, 1.0
	s_delay_alu instid0(VALU_DEP_1) | instskip(NEXT) | instid1(VALU_DEP_1)
	v_mul_f32_e32 v183, v182, v180
	v_fma_f32 v184, -v179, v183, v182
	s_delay_alu instid0(VALU_DEP_1) | instskip(NEXT) | instid1(VALU_DEP_1)
	v_fmac_f32_e32 v183, v184, v180
	v_fma_f32 v179, -v179, v183, v182
	s_delay_alu instid0(VALU_DEP_1) | instskip(NEXT) | instid1(VALU_DEP_1)
	v_div_fmas_f32 v179, v179, v180, v183
	v_div_fixup_f32 v180, v179, v178, 1.0
	s_delay_alu instid0(VALU_DEP_1)
	v_mul_f32_e64 v181, v181, -v180
.LBB61_241:
	s_or_b32 exec_lo, exec_lo, s1
	ds_store_b64 v189, v[180:181]
.LBB61_242:
	s_or_b32 exec_lo, exec_lo, s2
	s_wait_dscnt 0x0
	s_barrier_signal -1
	s_barrier_wait -1
	ds_load_b64 v[178:179], v189
	s_mov_b32 s1, exec_lo
	v_cmpx_lt_u32_e32 26, v188
	s_cbranch_execz .LBB61_244
; %bb.243:
	ds_load_2addr_b64 v[180:183], v190 offset0:27 offset1:28
	ds_load_2addr_b64 v[184:187], v190 offset0:29 offset1:30
	s_wait_dscnt 0x2
	v_pk_mul_f32 v[192:193], v[178:179], v[114:115] op_sel:[1,1] op_sel_hi:[0,1]
	s_delay_alu instid0(VALU_DEP_1) | instskip(SKIP_1) | instid1(VALU_DEP_1)
	v_pk_fma_f32 v[194:195], v[178:179], v[114:115], v[192:193] op_sel_hi:[1,0,1] neg_lo:[0,0,1] neg_hi:[0,0,1]
	v_pk_fma_f32 v[192:193], v[178:179], v[114:115], v[192:193] op_sel_hi:[1,0,1]
	v_dual_mov_b32 v114, v194 :: v_dual_mov_b32 v115, v193
	s_wait_dscnt 0x1
	s_delay_alu instid0(VALU_DEP_2)
	v_pk_mul_f32 v[196:197], v[180:181], v[192:193] op_sel:[0,1]
	s_wait_dscnt 0x0
	v_mov_b32_e32 v198, v187
	v_pk_mul_f32 v[200:201], v[182:183], v[192:193] op_sel:[0,1]
	v_pk_mul_f32 v[202:203], v[184:185], v[192:193] op_sel:[0,1]
	v_pk_fma_f32 v[204:205], v[180:181], v[194:195], v[196:197] op_sel:[0,0,1] op_sel_hi:[1,1,0] neg_lo:[0,0,1] neg_hi:[0,0,1]
	v_pk_fma_f32 v[180:181], v[180:181], v[194:195], v[196:197] op_sel:[0,0,1] op_sel_hi:[1,0,0]
	s_delay_alu instid0(VALU_DEP_1) | instskip(NEXT) | instid1(VALU_DEP_1)
	v_dual_mov_b32 v199, v186 :: v_dual_mov_b32 v205, v181
	v_pk_mul_f32 v[196:197], v[198:199], v[192:193] op_sel:[0,1]
	v_pk_fma_f32 v[198:199], v[182:183], v[194:195], v[200:201] op_sel:[0,0,1] op_sel_hi:[1,0,0]
	v_pk_fma_f32 v[182:183], v[182:183], v[194:195], v[200:201] op_sel:[0,0,1] op_sel_hi:[1,1,0] neg_lo:[0,0,1] neg_hi:[0,0,1]
	v_pk_fma_f32 v[200:201], v[184:185], v[194:195], v[202:203] op_sel:[0,0,1] op_sel_hi:[1,0,0]
	v_pk_fma_f32 v[184:185], v[184:185], v[194:195], v[202:203] op_sel:[0,0,1] op_sel_hi:[1,1,0] neg_lo:[0,0,1] neg_hi:[0,0,1]
	v_pk_fma_f32 v[180:181], v[186:187], v[194:195], v[196:197] op_sel_hi:[1,0,1]
	v_pk_fma_f32 v[186:187], v[186:187], v[194:195], v[196:197] neg_lo:[0,0,1] neg_hi:[0,0,1]
	s_delay_alu instid0(VALU_DEP_4) | instskip(SKIP_1) | instid1(VALU_DEP_4)
	v_dual_mov_b32 v183, v199 :: v_dual_mov_b32 v185, v201
	v_pk_add_f32 v[122:123], v[122:123], v[204:205] neg_lo:[0,1] neg_hi:[0,1]
	v_mov_b32_e32 v187, v181
	s_delay_alu instid0(VALU_DEP_3) | instskip(NEXT) | instid1(VALU_DEP_4)
	v_pk_add_f32 v[120:121], v[120:121], v[182:183] neg_lo:[0,1] neg_hi:[0,1]
	v_pk_add_f32 v[118:119], v[118:119], v[184:185] neg_lo:[0,1] neg_hi:[0,1]
	s_delay_alu instid0(VALU_DEP_3)
	v_pk_add_f32 v[124:125], v[124:125], v[186:187] neg_lo:[0,1] neg_hi:[0,1]
.LBB61_244:
	s_or_b32 exec_lo, exec_lo, s1
	s_delay_alu instid0(SALU_CYCLE_1)
	s_mov_b32 s2, exec_lo
	s_wait_dscnt 0x0
	s_barrier_signal -1
	s_barrier_wait -1
	v_cmpx_eq_u32_e32 27, v188
	s_cbranch_execz .LBB61_251
; %bb.245:
	v_dual_mov_b32 v180, v120 :: v_dual_mov_b32 v181, v121
	v_dual_mov_b32 v182, v118 :: v_dual_mov_b32 v183, v119
	ds_store_b64 v189, v[122:123]
	ds_store_2addr_b64 v190, v[180:181], v[182:183] offset0:28 offset1:29
	ds_store_b64 v190, v[124:125] offset:240
	ds_load_b64 v[180:181], v189
	s_wait_dscnt 0x0
	v_cmp_neq_f32_e32 vcc_lo, 0, v180
	v_cmp_neq_f32_e64 s1, 0, v181
	s_or_b32 s1, vcc_lo, s1
	s_delay_alu instid0(SALU_CYCLE_1)
	s_and_b32 exec_lo, exec_lo, s1
	s_cbranch_execz .LBB61_251
; %bb.246:
	v_cmp_ngt_f32_e64 s1, |v180|, |v181|
                                        ; implicit-def: $vgpr182_vgpr183
	s_and_saveexec_b32 s4, s1
	s_delay_alu instid0(SALU_CYCLE_1)
	s_xor_b32 s1, exec_lo, s4
	s_cbranch_execz .LBB61_248
; %bb.247:
	v_div_scale_f32 v182, null, v181, v181, v180
	v_div_scale_f32 v185, vcc_lo, v180, v181, v180
	s_delay_alu instid0(VALU_DEP_2) | instskip(SKIP_1) | instid1(TRANS32_DEP_1)
	v_rcp_f32_e32 v183, v182
	v_nop
	v_fma_f32 v184, -v182, v183, 1.0
	s_delay_alu instid0(VALU_DEP_1) | instskip(NEXT) | instid1(VALU_DEP_1)
	v_fmac_f32_e32 v183, v184, v183
	v_mul_f32_e32 v184, v185, v183
	s_delay_alu instid0(VALU_DEP_1) | instskip(NEXT) | instid1(VALU_DEP_1)
	v_fma_f32 v186, -v182, v184, v185
	v_fmac_f32_e32 v184, v186, v183
	s_delay_alu instid0(VALU_DEP_1) | instskip(NEXT) | instid1(VALU_DEP_1)
	v_fma_f32 v182, -v182, v184, v185
	v_div_fmas_f32 v182, v182, v183, v184
	s_delay_alu instid0(VALU_DEP_1) | instskip(NEXT) | instid1(VALU_DEP_1)
	v_div_fixup_f32 v182, v182, v181, v180
	v_fmac_f32_e32 v181, v180, v182
	s_delay_alu instid0(VALU_DEP_1) | instskip(SKIP_1) | instid1(VALU_DEP_2)
	v_div_scale_f32 v180, null, v181, v181, 1.0
	v_div_scale_f32 v185, vcc_lo, 1.0, v181, 1.0
	v_rcp_f32_e32 v183, v180
	v_nop
	s_delay_alu instid0(TRANS32_DEP_1) | instskip(NEXT) | instid1(VALU_DEP_1)
	v_fma_f32 v184, -v180, v183, 1.0
	v_fmac_f32_e32 v183, v184, v183
	s_delay_alu instid0(VALU_DEP_1) | instskip(NEXT) | instid1(VALU_DEP_1)
	v_mul_f32_e32 v184, v185, v183
	v_fma_f32 v186, -v180, v184, v185
	s_delay_alu instid0(VALU_DEP_1) | instskip(NEXT) | instid1(VALU_DEP_1)
	v_fmac_f32_e32 v184, v186, v183
	v_fma_f32 v180, -v180, v184, v185
	s_delay_alu instid0(VALU_DEP_1) | instskip(NEXT) | instid1(VALU_DEP_1)
	v_div_fmas_f32 v180, v180, v183, v184
	v_div_fixup_f32 v180, v180, v181, 1.0
	s_delay_alu instid0(VALU_DEP_1)
	v_mul_f32_e32 v182, v182, v180
	v_xor_b32_e32 v183, 0x80000000, v180
                                        ; implicit-def: $vgpr180_vgpr181
.LBB61_248:
	s_and_not1_saveexec_b32 s1, s1
	s_cbranch_execz .LBB61_250
; %bb.249:
	v_div_scale_f32 v182, null, v180, v180, v181
	v_div_scale_f32 v185, vcc_lo, v181, v180, v181
	s_delay_alu instid0(VALU_DEP_2) | instskip(SKIP_1) | instid1(TRANS32_DEP_1)
	v_rcp_f32_e32 v183, v182
	v_nop
	v_fma_f32 v184, -v182, v183, 1.0
	s_delay_alu instid0(VALU_DEP_1) | instskip(NEXT) | instid1(VALU_DEP_1)
	v_fmac_f32_e32 v183, v184, v183
	v_mul_f32_e32 v184, v185, v183
	s_delay_alu instid0(VALU_DEP_1) | instskip(NEXT) | instid1(VALU_DEP_1)
	v_fma_f32 v186, -v182, v184, v185
	v_fmac_f32_e32 v184, v186, v183
	s_delay_alu instid0(VALU_DEP_1) | instskip(NEXT) | instid1(VALU_DEP_1)
	v_fma_f32 v182, -v182, v184, v185
	v_div_fmas_f32 v182, v182, v183, v184
	s_delay_alu instid0(VALU_DEP_1) | instskip(NEXT) | instid1(VALU_DEP_1)
	v_div_fixup_f32 v183, v182, v180, v181
	v_fmac_f32_e32 v180, v181, v183
	s_delay_alu instid0(VALU_DEP_1) | instskip(NEXT) | instid1(VALU_DEP_1)
	v_div_scale_f32 v181, null, v180, v180, 1.0
	v_rcp_f32_e32 v182, v181
	v_nop
	s_delay_alu instid0(TRANS32_DEP_1) | instskip(NEXT) | instid1(VALU_DEP_1)
	v_fma_f32 v184, -v181, v182, 1.0
	v_fmac_f32_e32 v182, v184, v182
	v_div_scale_f32 v184, vcc_lo, 1.0, v180, 1.0
	s_delay_alu instid0(VALU_DEP_1) | instskip(NEXT) | instid1(VALU_DEP_1)
	v_mul_f32_e32 v185, v184, v182
	v_fma_f32 v186, -v181, v185, v184
	s_delay_alu instid0(VALU_DEP_1) | instskip(NEXT) | instid1(VALU_DEP_1)
	v_fmac_f32_e32 v185, v186, v182
	v_fma_f32 v181, -v181, v185, v184
	s_delay_alu instid0(VALU_DEP_1) | instskip(NEXT) | instid1(VALU_DEP_1)
	v_div_fmas_f32 v181, v181, v182, v185
	v_div_fixup_f32 v182, v181, v180, 1.0
	s_delay_alu instid0(VALU_DEP_1)
	v_mul_f32_e64 v183, v183, -v182
.LBB61_250:
	s_or_b32 exec_lo, exec_lo, s1
	ds_store_b64 v189, v[182:183]
.LBB61_251:
	s_or_b32 exec_lo, exec_lo, s2
	s_wait_dscnt 0x0
	s_barrier_signal -1
	s_barrier_wait -1
	ds_load_b64 v[180:181], v189
	s_mov_b32 s1, exec_lo
	v_cmpx_lt_u32_e32 27, v188
	s_cbranch_execz .LBB61_253
; %bb.252:
	ds_load_2addr_b64 v[182:185], v190 offset0:28 offset1:29
	ds_load_b64 v[186:187], v190 offset:240
	s_wait_dscnt 0x2
	v_pk_mul_f32 v[192:193], v[180:181], v[122:123] op_sel:[1,1] op_sel_hi:[0,1]
	s_delay_alu instid0(VALU_DEP_1) | instskip(SKIP_2) | instid1(VALU_DEP_2)
	v_pk_fma_f32 v[194:195], v[180:181], v[122:123], v[192:193] op_sel_hi:[1,0,1]
	v_pk_fma_f32 v[122:123], v[180:181], v[122:123], v[192:193] op_sel_hi:[1,0,1] neg_lo:[0,0,1] neg_hi:[0,0,1]
	s_wait_dscnt 0x1
	v_pk_mul_f32 v[192:193], v[182:183], v[194:195] op_sel:[0,1]
	v_pk_mul_f32 v[196:197], v[184:185], v[194:195] op_sel:[0,1]
	s_wait_dscnt 0x0
	v_pk_mul_f32 v[198:199], v[186:187], v[194:195] op_sel:[1,1] op_sel_hi:[0,1]
	s_delay_alu instid0(VALU_DEP_3) | instskip(SKIP_2) | instid1(VALU_DEP_4)
	v_pk_fma_f32 v[200:201], v[182:183], v[122:123], v[192:193] op_sel:[0,0,1] op_sel_hi:[1,1,0] neg_lo:[0,0,1] neg_hi:[0,0,1]
	v_pk_fma_f32 v[182:183], v[182:183], v[122:123], v[192:193] op_sel:[0,0,1] op_sel_hi:[1,0,0]
	v_pk_fma_f32 v[192:193], v[184:185], v[122:123], v[196:197] op_sel:[0,0,1] op_sel_hi:[1,0,0]
	v_pk_fma_f32 v[202:203], v[186:187], v[122:123], v[198:199] op_sel_hi:[1,0,1]
	v_pk_fma_f32 v[184:185], v[184:185], v[122:123], v[196:197] op_sel:[0,0,1] op_sel_hi:[1,1,0] neg_lo:[0,0,1] neg_hi:[0,0,1]
	v_pk_fma_f32 v[186:187], v[186:187], v[122:123], v[198:199] neg_lo:[0,0,1] neg_hi:[0,0,1]
	s_delay_alu instid0(VALU_DEP_4) | instskip(NEXT) | instid1(VALU_DEP_4)
	v_dual_mov_b32 v201, v183 :: v_dual_mov_b32 v185, v193
	v_dual_mov_b32 v187, v203 :: v_dual_mov_b32 v123, v195
	s_delay_alu instid0(VALU_DEP_2) | instskip(NEXT) | instid1(VALU_DEP_3)
	v_pk_add_f32 v[120:121], v[120:121], v[200:201] neg_lo:[0,1] neg_hi:[0,1]
	v_pk_add_f32 v[118:119], v[118:119], v[184:185] neg_lo:[0,1] neg_hi:[0,1]
	s_delay_alu instid0(VALU_DEP_3)
	v_pk_add_f32 v[124:125], v[124:125], v[186:187] neg_lo:[0,1] neg_hi:[0,1]
.LBB61_253:
	s_or_b32 exec_lo, exec_lo, s1
	s_delay_alu instid0(SALU_CYCLE_1)
	s_mov_b32 s2, exec_lo
	s_wait_dscnt 0x0
	s_barrier_signal -1
	s_barrier_wait -1
	v_cmpx_eq_u32_e32 28, v188
	s_cbranch_execz .LBB61_260
; %bb.254:
	ds_store_b64 v189, v[120:121]
	ds_store_2addr_b64 v190, v[118:119], v[124:125] offset0:29 offset1:30
	ds_load_b64 v[182:183], v189
	s_wait_dscnt 0x0
	v_cmp_neq_f32_e32 vcc_lo, 0, v182
	v_cmp_neq_f32_e64 s1, 0, v183
	s_or_b32 s1, vcc_lo, s1
	s_delay_alu instid0(SALU_CYCLE_1)
	s_and_b32 exec_lo, exec_lo, s1
	s_cbranch_execz .LBB61_260
; %bb.255:
	v_cmp_ngt_f32_e64 s1, |v182|, |v183|
                                        ; implicit-def: $vgpr184_vgpr185
	s_and_saveexec_b32 s4, s1
	s_delay_alu instid0(SALU_CYCLE_1)
	s_xor_b32 s1, exec_lo, s4
	s_cbranch_execz .LBB61_257
; %bb.256:
	v_div_scale_f32 v184, null, v183, v183, v182
	v_div_scale_f32 v187, vcc_lo, v182, v183, v182
	s_delay_alu instid0(VALU_DEP_2) | instskip(SKIP_1) | instid1(TRANS32_DEP_1)
	v_rcp_f32_e32 v185, v184
	v_nop
	v_fma_f32 v186, -v184, v185, 1.0
	s_delay_alu instid0(VALU_DEP_1) | instskip(NEXT) | instid1(VALU_DEP_1)
	v_fmac_f32_e32 v185, v186, v185
	v_mul_f32_e32 v186, v187, v185
	s_delay_alu instid0(VALU_DEP_1) | instskip(NEXT) | instid1(VALU_DEP_1)
	v_fma_f32 v191, -v184, v186, v187
	v_fmac_f32_e32 v186, v191, v185
	s_delay_alu instid0(VALU_DEP_1) | instskip(NEXT) | instid1(VALU_DEP_1)
	v_fma_f32 v184, -v184, v186, v187
	v_div_fmas_f32 v184, v184, v185, v186
	s_delay_alu instid0(VALU_DEP_1) | instskip(NEXT) | instid1(VALU_DEP_1)
	v_div_fixup_f32 v184, v184, v183, v182
	v_fmac_f32_e32 v183, v182, v184
	s_delay_alu instid0(VALU_DEP_1) | instskip(SKIP_1) | instid1(VALU_DEP_2)
	v_div_scale_f32 v182, null, v183, v183, 1.0
	v_div_scale_f32 v187, vcc_lo, 1.0, v183, 1.0
	v_rcp_f32_e32 v185, v182
	v_nop
	s_delay_alu instid0(TRANS32_DEP_1) | instskip(NEXT) | instid1(VALU_DEP_1)
	v_fma_f32 v186, -v182, v185, 1.0
	v_fmac_f32_e32 v185, v186, v185
	s_delay_alu instid0(VALU_DEP_1) | instskip(NEXT) | instid1(VALU_DEP_1)
	v_mul_f32_e32 v186, v187, v185
	v_fma_f32 v191, -v182, v186, v187
	s_delay_alu instid0(VALU_DEP_1) | instskip(NEXT) | instid1(VALU_DEP_1)
	v_fmac_f32_e32 v186, v191, v185
	v_fma_f32 v182, -v182, v186, v187
	s_delay_alu instid0(VALU_DEP_1) | instskip(NEXT) | instid1(VALU_DEP_1)
	v_div_fmas_f32 v182, v182, v185, v186
	v_div_fixup_f32 v182, v182, v183, 1.0
	s_delay_alu instid0(VALU_DEP_1)
	v_mul_f32_e32 v184, v184, v182
	v_xor_b32_e32 v185, 0x80000000, v182
                                        ; implicit-def: $vgpr182_vgpr183
.LBB61_257:
	s_and_not1_saveexec_b32 s1, s1
	s_cbranch_execz .LBB61_259
; %bb.258:
	v_div_scale_f32 v184, null, v182, v182, v183
	v_div_scale_f32 v187, vcc_lo, v183, v182, v183
	s_delay_alu instid0(VALU_DEP_2) | instskip(SKIP_1) | instid1(TRANS32_DEP_1)
	v_rcp_f32_e32 v185, v184
	v_nop
	v_fma_f32 v186, -v184, v185, 1.0
	s_delay_alu instid0(VALU_DEP_1) | instskip(NEXT) | instid1(VALU_DEP_1)
	v_fmac_f32_e32 v185, v186, v185
	v_mul_f32_e32 v186, v187, v185
	s_delay_alu instid0(VALU_DEP_1) | instskip(NEXT) | instid1(VALU_DEP_1)
	v_fma_f32 v191, -v184, v186, v187
	v_fmac_f32_e32 v186, v191, v185
	s_delay_alu instid0(VALU_DEP_1) | instskip(NEXT) | instid1(VALU_DEP_1)
	v_fma_f32 v184, -v184, v186, v187
	v_div_fmas_f32 v184, v184, v185, v186
	s_delay_alu instid0(VALU_DEP_1) | instskip(NEXT) | instid1(VALU_DEP_1)
	v_div_fixup_f32 v185, v184, v182, v183
	v_fmac_f32_e32 v182, v183, v185
	s_delay_alu instid0(VALU_DEP_1) | instskip(NEXT) | instid1(VALU_DEP_1)
	v_div_scale_f32 v183, null, v182, v182, 1.0
	v_rcp_f32_e32 v184, v183
	v_nop
	s_delay_alu instid0(TRANS32_DEP_1) | instskip(NEXT) | instid1(VALU_DEP_1)
	v_fma_f32 v186, -v183, v184, 1.0
	v_fmac_f32_e32 v184, v186, v184
	v_div_scale_f32 v186, vcc_lo, 1.0, v182, 1.0
	s_delay_alu instid0(VALU_DEP_1) | instskip(NEXT) | instid1(VALU_DEP_1)
	v_mul_f32_e32 v187, v186, v184
	v_fma_f32 v191, -v183, v187, v186
	s_delay_alu instid0(VALU_DEP_1) | instskip(NEXT) | instid1(VALU_DEP_1)
	v_fmac_f32_e32 v187, v191, v184
	v_fma_f32 v183, -v183, v187, v186
	s_delay_alu instid0(VALU_DEP_1) | instskip(NEXT) | instid1(VALU_DEP_1)
	v_div_fmas_f32 v183, v183, v184, v187
	v_div_fixup_f32 v184, v183, v182, 1.0
	s_delay_alu instid0(VALU_DEP_1)
	v_mul_f32_e64 v185, v185, -v184
.LBB61_259:
	s_or_b32 exec_lo, exec_lo, s1
	ds_store_b64 v189, v[184:185]
.LBB61_260:
	s_or_b32 exec_lo, exec_lo, s2
	s_wait_dscnt 0x0
	s_barrier_signal -1
	s_barrier_wait -1
	ds_load_b64 v[182:183], v189
	s_mov_b32 s1, exec_lo
	v_cmpx_lt_u32_e32 28, v188
	s_cbranch_execz .LBB61_262
; %bb.261:
	ds_load_2addr_b64 v[184:187], v190 offset0:29 offset1:30
	s_wait_dscnt 0x1
	v_pk_mul_f32 v[192:193], v[182:183], v[120:121] op_sel:[1,1] op_sel_hi:[0,1]
	s_delay_alu instid0(VALU_DEP_1) | instskip(SKIP_3) | instid1(VALU_DEP_3)
	v_pk_fma_f32 v[194:195], v[182:183], v[120:121], v[192:193] op_sel_hi:[1,0,1]
	v_pk_fma_f32 v[120:121], v[182:183], v[120:121], v[192:193] op_sel_hi:[1,0,1] neg_lo:[0,0,1] neg_hi:[0,0,1]
	s_wait_dscnt 0x0
	v_dual_mov_b32 v196, v187 :: v_dual_mov_b32 v197, v186
	v_pk_mul_f32 v[192:193], v[184:185], v[194:195] op_sel:[0,1]
	s_delay_alu instid0(VALU_DEP_2) | instskip(NEXT) | instid1(VALU_DEP_2)
	v_pk_mul_f32 v[196:197], v[196:197], v[194:195] op_sel:[0,1]
	v_pk_fma_f32 v[198:199], v[184:185], v[120:121], v[192:193] op_sel:[0,0,1] op_sel_hi:[1,0,0]
	v_pk_fma_f32 v[184:185], v[184:185], v[120:121], v[192:193] op_sel:[0,0,1] op_sel_hi:[1,1,0] neg_lo:[0,0,1] neg_hi:[0,0,1]
	s_delay_alu instid0(VALU_DEP_3) | instskip(SKIP_1) | instid1(VALU_DEP_4)
	v_pk_fma_f32 v[200:201], v[186:187], v[120:121], v[196:197] op_sel_hi:[1,0,1]
	v_pk_fma_f32 v[186:187], v[186:187], v[120:121], v[196:197] neg_lo:[0,0,1] neg_hi:[0,0,1]
	v_dual_mov_b32 v185, v199 :: v_dual_mov_b32 v121, v195
	s_delay_alu instid0(VALU_DEP_3) | instskip(NEXT) | instid1(VALU_DEP_2)
	v_mov_b32_e32 v187, v201
	v_pk_add_f32 v[118:119], v[118:119], v[184:185] neg_lo:[0,1] neg_hi:[0,1]
	s_delay_alu instid0(VALU_DEP_2)
	v_pk_add_f32 v[124:125], v[124:125], v[186:187] neg_lo:[0,1] neg_hi:[0,1]
.LBB61_262:
	s_or_b32 exec_lo, exec_lo, s1
	s_delay_alu instid0(SALU_CYCLE_1)
	s_mov_b32 s2, exec_lo
	s_wait_dscnt 0x0
	s_barrier_signal -1
	s_barrier_wait -1
	v_cmpx_eq_u32_e32 29, v188
	s_cbranch_execz .LBB61_269
; %bb.263:
	ds_store_b64 v189, v[118:119]
	ds_store_b64 v190, v[124:125] offset:240
	ds_load_b64 v[184:185], v189
	s_wait_dscnt 0x0
	v_cmp_neq_f32_e32 vcc_lo, 0, v184
	v_cmp_neq_f32_e64 s1, 0, v185
	s_or_b32 s1, vcc_lo, s1
	s_delay_alu instid0(SALU_CYCLE_1)
	s_and_b32 exec_lo, exec_lo, s1
	s_cbranch_execz .LBB61_269
; %bb.264:
	v_cmp_ngt_f32_e64 s1, |v184|, |v185|
                                        ; implicit-def: $vgpr186_vgpr187
	s_and_saveexec_b32 s4, s1
	s_delay_alu instid0(SALU_CYCLE_1)
	s_xor_b32 s1, exec_lo, s4
	s_cbranch_execz .LBB61_266
; %bb.265:
	v_div_scale_f32 v186, null, v185, v185, v184
	v_div_scale_f32 v192, vcc_lo, v184, v185, v184
	s_delay_alu instid0(VALU_DEP_2) | instskip(SKIP_1) | instid1(TRANS32_DEP_1)
	v_rcp_f32_e32 v187, v186
	v_nop
	v_fma_f32 v191, -v186, v187, 1.0
	s_delay_alu instid0(VALU_DEP_1) | instskip(NEXT) | instid1(VALU_DEP_1)
	v_fmac_f32_e32 v187, v191, v187
	v_mul_f32_e32 v191, v192, v187
	s_delay_alu instid0(VALU_DEP_1) | instskip(NEXT) | instid1(VALU_DEP_1)
	v_fma_f32 v193, -v186, v191, v192
	v_fmac_f32_e32 v191, v193, v187
	s_delay_alu instid0(VALU_DEP_1) | instskip(NEXT) | instid1(VALU_DEP_1)
	v_fma_f32 v186, -v186, v191, v192
	v_div_fmas_f32 v186, v186, v187, v191
	s_delay_alu instid0(VALU_DEP_1) | instskip(NEXT) | instid1(VALU_DEP_1)
	v_div_fixup_f32 v186, v186, v185, v184
	v_fmac_f32_e32 v185, v184, v186
	s_delay_alu instid0(VALU_DEP_1) | instskip(SKIP_1) | instid1(VALU_DEP_2)
	v_div_scale_f32 v184, null, v185, v185, 1.0
	v_div_scale_f32 v192, vcc_lo, 1.0, v185, 1.0
	v_rcp_f32_e32 v187, v184
	v_nop
	s_delay_alu instid0(TRANS32_DEP_1) | instskip(NEXT) | instid1(VALU_DEP_1)
	v_fma_f32 v191, -v184, v187, 1.0
	v_fmac_f32_e32 v187, v191, v187
	s_delay_alu instid0(VALU_DEP_1) | instskip(NEXT) | instid1(VALU_DEP_1)
	v_mul_f32_e32 v191, v192, v187
	v_fma_f32 v193, -v184, v191, v192
	s_delay_alu instid0(VALU_DEP_1) | instskip(NEXT) | instid1(VALU_DEP_1)
	v_fmac_f32_e32 v191, v193, v187
	v_fma_f32 v184, -v184, v191, v192
	s_delay_alu instid0(VALU_DEP_1) | instskip(NEXT) | instid1(VALU_DEP_1)
	v_div_fmas_f32 v184, v184, v187, v191
	v_div_fixup_f32 v184, v184, v185, 1.0
	s_delay_alu instid0(VALU_DEP_1)
	v_mul_f32_e32 v186, v186, v184
	v_xor_b32_e32 v187, 0x80000000, v184
                                        ; implicit-def: $vgpr184_vgpr185
.LBB61_266:
	s_and_not1_saveexec_b32 s1, s1
	s_cbranch_execz .LBB61_268
; %bb.267:
	v_div_scale_f32 v186, null, v184, v184, v185
	v_div_scale_f32 v192, vcc_lo, v185, v184, v185
	s_delay_alu instid0(VALU_DEP_2) | instskip(SKIP_1) | instid1(TRANS32_DEP_1)
	v_rcp_f32_e32 v187, v186
	v_nop
	v_fma_f32 v191, -v186, v187, 1.0
	s_delay_alu instid0(VALU_DEP_1) | instskip(NEXT) | instid1(VALU_DEP_1)
	v_fmac_f32_e32 v187, v191, v187
	v_mul_f32_e32 v191, v192, v187
	s_delay_alu instid0(VALU_DEP_1) | instskip(NEXT) | instid1(VALU_DEP_1)
	v_fma_f32 v193, -v186, v191, v192
	v_fmac_f32_e32 v191, v193, v187
	s_delay_alu instid0(VALU_DEP_1) | instskip(NEXT) | instid1(VALU_DEP_1)
	v_fma_f32 v186, -v186, v191, v192
	v_div_fmas_f32 v186, v186, v187, v191
	s_delay_alu instid0(VALU_DEP_1) | instskip(NEXT) | instid1(VALU_DEP_1)
	v_div_fixup_f32 v187, v186, v184, v185
	v_fmac_f32_e32 v184, v185, v187
	s_delay_alu instid0(VALU_DEP_1) | instskip(NEXT) | instid1(VALU_DEP_1)
	v_div_scale_f32 v185, null, v184, v184, 1.0
	v_rcp_f32_e32 v186, v185
	v_nop
	s_delay_alu instid0(TRANS32_DEP_1) | instskip(NEXT) | instid1(VALU_DEP_1)
	v_fma_f32 v191, -v185, v186, 1.0
	v_fmac_f32_e32 v186, v191, v186
	v_div_scale_f32 v191, vcc_lo, 1.0, v184, 1.0
	s_delay_alu instid0(VALU_DEP_1) | instskip(NEXT) | instid1(VALU_DEP_1)
	v_mul_f32_e32 v192, v191, v186
	v_fma_f32 v193, -v185, v192, v191
	s_delay_alu instid0(VALU_DEP_1) | instskip(NEXT) | instid1(VALU_DEP_1)
	v_fmac_f32_e32 v192, v193, v186
	v_fma_f32 v185, -v185, v192, v191
	s_delay_alu instid0(VALU_DEP_1) | instskip(NEXT) | instid1(VALU_DEP_1)
	v_div_fmas_f32 v185, v185, v186, v192
	v_div_fixup_f32 v186, v185, v184, 1.0
	s_delay_alu instid0(VALU_DEP_1)
	v_mul_f32_e64 v187, v187, -v186
.LBB61_268:
	s_or_b32 exec_lo, exec_lo, s1
	ds_store_b64 v189, v[186:187]
.LBB61_269:
	s_or_b32 exec_lo, exec_lo, s2
	s_wait_dscnt 0x0
	s_barrier_signal -1
	s_barrier_wait -1
	ds_load_b64 v[184:185], v189
	s_mov_b32 s1, exec_lo
	v_cmpx_lt_u32_e32 29, v188
	s_cbranch_execz .LBB61_271
; %bb.270:
	ds_load_b64 v[186:187], v190 offset:240
	s_wait_dscnt 0x1
	v_pk_mul_f32 v[190:191], v[184:185], v[118:119] op_sel:[1,1] op_sel_hi:[0,1]
	s_delay_alu instid0(VALU_DEP_1) | instskip(SKIP_2) | instid1(VALU_DEP_2)
	v_pk_fma_f32 v[192:193], v[184:185], v[118:119], v[190:191] op_sel_hi:[1,0,1]
	v_pk_fma_f32 v[118:119], v[184:185], v[118:119], v[190:191] op_sel_hi:[1,0,1] neg_lo:[0,0,1] neg_hi:[0,0,1]
	s_wait_dscnt 0x0
	v_pk_mul_f32 v[190:191], v[186:187], v[192:193] op_sel:[1,1] op_sel_hi:[0,1]
	s_delay_alu instid0(VALU_DEP_1) | instskip(SKIP_1) | instid1(VALU_DEP_2)
	v_pk_fma_f32 v[194:195], v[186:187], v[118:119], v[190:191] op_sel_hi:[1,0,1]
	v_pk_fma_f32 v[186:187], v[186:187], v[118:119], v[190:191] neg_lo:[0,0,1] neg_hi:[0,0,1]
	v_dual_mov_b32 v119, v193 :: v_dual_mov_b32 v187, v195
	s_delay_alu instid0(VALU_DEP_1)
	v_pk_add_f32 v[124:125], v[124:125], v[186:187] neg_lo:[0,1] neg_hi:[0,1]
.LBB61_271:
	s_or_b32 exec_lo, exec_lo, s1
	s_delay_alu instid0(SALU_CYCLE_1)
	s_mov_b32 s2, exec_lo
	s_wait_dscnt 0x0
	s_barrier_signal -1
	s_barrier_wait -1
	v_cmpx_eq_u32_e32 30, v188
	s_cbranch_execz .LBB61_278
; %bb.272:
	v_cmp_neq_f32_e32 vcc_lo, 0, v124
	v_cmp_neq_f32_e64 s1, 0, v125
	ds_store_b64 v189, v[124:125]
	s_or_b32 s1, vcc_lo, s1
	s_delay_alu instid0(SALU_CYCLE_1)
	s_and_b32 exec_lo, exec_lo, s1
	s_cbranch_execz .LBB61_278
; %bb.273:
	v_cmp_ngt_f32_e64 s1, |v124|, |v125|
                                        ; implicit-def: $vgpr186_vgpr187
	s_and_saveexec_b32 s4, s1
	s_delay_alu instid0(SALU_CYCLE_1)
	s_xor_b32 s1, exec_lo, s4
	s_cbranch_execz .LBB61_275
; %bb.274:
	v_div_scale_f32 v186, null, v125, v125, v124
	v_div_scale_f32 v191, vcc_lo, v124, v125, v124
	s_delay_alu instid0(VALU_DEP_2) | instskip(SKIP_1) | instid1(TRANS32_DEP_1)
	v_rcp_f32_e32 v187, v186
	v_nop
	v_fma_f32 v190, -v186, v187, 1.0
	s_delay_alu instid0(VALU_DEP_1) | instskip(NEXT) | instid1(VALU_DEP_1)
	v_fmac_f32_e32 v187, v190, v187
	v_mul_f32_e32 v190, v191, v187
	s_delay_alu instid0(VALU_DEP_1) | instskip(NEXT) | instid1(VALU_DEP_1)
	v_fma_f32 v192, -v186, v190, v191
	v_fmac_f32_e32 v190, v192, v187
	s_delay_alu instid0(VALU_DEP_1) | instskip(NEXT) | instid1(VALU_DEP_1)
	v_fma_f32 v186, -v186, v190, v191
	v_div_fmas_f32 v186, v186, v187, v190
	s_delay_alu instid0(VALU_DEP_1) | instskip(NEXT) | instid1(VALU_DEP_1)
	v_div_fixup_f32 v186, v186, v125, v124
	v_fma_f32 v187, v124, v186, v125
	s_delay_alu instid0(VALU_DEP_1) | instskip(SKIP_1) | instid1(VALU_DEP_2)
	v_div_scale_f32 v190, null, v187, v187, 1.0
	v_div_scale_f32 v193, vcc_lo, 1.0, v187, 1.0
	v_rcp_f32_e32 v191, v190
	v_nop
	s_delay_alu instid0(TRANS32_DEP_1) | instskip(NEXT) | instid1(VALU_DEP_1)
	v_fma_f32 v192, -v190, v191, 1.0
	v_fmac_f32_e32 v191, v192, v191
	s_delay_alu instid0(VALU_DEP_1) | instskip(NEXT) | instid1(VALU_DEP_1)
	v_mul_f32_e32 v192, v193, v191
	v_fma_f32 v194, -v190, v192, v193
	s_delay_alu instid0(VALU_DEP_1) | instskip(NEXT) | instid1(VALU_DEP_1)
	v_fmac_f32_e32 v192, v194, v191
	v_fma_f32 v190, -v190, v192, v193
	s_delay_alu instid0(VALU_DEP_1) | instskip(NEXT) | instid1(VALU_DEP_1)
	v_div_fmas_f32 v190, v190, v191, v192
	v_div_fixup_f32 v187, v190, v187, 1.0
	s_delay_alu instid0(VALU_DEP_1)
	v_mul_f32_e32 v186, v186, v187
	v_xor_b32_e32 v187, 0x80000000, v187
.LBB61_275:
	s_and_not1_saveexec_b32 s1, s1
	s_cbranch_execz .LBB61_277
; %bb.276:
	v_div_scale_f32 v186, null, v124, v124, v125
	v_div_scale_f32 v191, vcc_lo, v125, v124, v125
	s_delay_alu instid0(VALU_DEP_2) | instskip(SKIP_1) | instid1(TRANS32_DEP_1)
	v_rcp_f32_e32 v187, v186
	v_nop
	v_fma_f32 v190, -v186, v187, 1.0
	s_delay_alu instid0(VALU_DEP_1) | instskip(NEXT) | instid1(VALU_DEP_1)
	v_fmac_f32_e32 v187, v190, v187
	v_mul_f32_e32 v190, v191, v187
	s_delay_alu instid0(VALU_DEP_1) | instskip(NEXT) | instid1(VALU_DEP_1)
	v_fma_f32 v192, -v186, v190, v191
	v_fmac_f32_e32 v190, v192, v187
	s_delay_alu instid0(VALU_DEP_1) | instskip(NEXT) | instid1(VALU_DEP_1)
	v_fma_f32 v186, -v186, v190, v191
	v_div_fmas_f32 v186, v186, v187, v190
	s_delay_alu instid0(VALU_DEP_1) | instskip(NEXT) | instid1(VALU_DEP_1)
	v_div_fixup_f32 v187, v186, v124, v125
	v_fma_f32 v186, v125, v187, v124
	s_delay_alu instid0(VALU_DEP_1) | instskip(NEXT) | instid1(VALU_DEP_1)
	v_div_scale_f32 v190, null, v186, v186, 1.0
	v_rcp_f32_e32 v191, v190
	v_nop
	s_delay_alu instid0(TRANS32_DEP_1) | instskip(NEXT) | instid1(VALU_DEP_1)
	v_fma_f32 v192, -v190, v191, 1.0
	v_fmac_f32_e32 v191, v192, v191
	v_div_scale_f32 v192, vcc_lo, 1.0, v186, 1.0
	s_delay_alu instid0(VALU_DEP_1) | instskip(NEXT) | instid1(VALU_DEP_1)
	v_mul_f32_e32 v193, v192, v191
	v_fma_f32 v194, -v190, v193, v192
	s_delay_alu instid0(VALU_DEP_1) | instskip(NEXT) | instid1(VALU_DEP_1)
	v_fmac_f32_e32 v193, v194, v191
	v_fma_f32 v190, -v190, v193, v192
	s_delay_alu instid0(VALU_DEP_1) | instskip(NEXT) | instid1(VALU_DEP_1)
	v_div_fmas_f32 v190, v190, v191, v193
	v_div_fixup_f32 v186, v190, v186, 1.0
	s_delay_alu instid0(VALU_DEP_1)
	v_mul_f32_e64 v187, v187, -v186
.LBB61_277:
	s_or_b32 exec_lo, exec_lo, s1
	ds_store_b64 v189, v[186:187]
.LBB61_278:
	s_or_b32 exec_lo, exec_lo, s2
	s_wait_dscnt 0x0
	s_barrier_signal -1
	s_barrier_wait -1
	ds_load_b64 v[186:187], v189
	s_wait_dscnt 0x0
	s_barrier_signal -1
	s_barrier_wait -1
	s_and_saveexec_b32 s4, s0
	s_cbranch_execz .LBB61_281
; %bb.279:
	v_cmp_eq_f32_e32 vcc_lo, 0, v126
	v_cmp_eq_f32_e64 s0, 0, v127
	v_cmp_neq_f32_e64 s1, 0, v128
	v_cmp_neq_f32_e64 s2, 0, v129
	v_lshl_add_u64 v[2:3], v[2:3], 2, s[6:7]
	s_and_b32 s0, vcc_lo, s0
	s_delay_alu instid0(SALU_CYCLE_1)
	v_cndmask_b32_e64 v126, 0, 1, s0
	s_or_b32 s1, s1, s2
	global_load_b32 v127, v[2:3], off
	s_or_b32 vcc_lo, s1, s0
	v_cmp_eq_f32_e64 s0, 0, v131
	v_cndmask_b32_e32 v126, 2, v126, vcc_lo
	v_cmp_eq_f32_e32 vcc_lo, 0, v130
	s_delay_alu instid0(VALU_DEP_2) | instskip(SKIP_3) | instid1(SALU_CYCLE_1)
	v_cmp_eq_u32_e64 s1, 0, v126
	s_and_b32 s0, vcc_lo, s0
	v_cmp_eq_f32_e32 vcc_lo, 0, v132
	s_and_b32 s0, s0, s1
	v_cndmask_b32_e64 v126, v126, 3, s0
	v_cmp_eq_f32_e64 s0, 0, v133
	s_delay_alu instid0(VALU_DEP_2) | instskip(SKIP_3) | instid1(SALU_CYCLE_1)
	v_cmp_eq_u32_e64 s1, 0, v126
	s_and_b32 s0, vcc_lo, s0
	v_cmp_eq_f32_e32 vcc_lo, 0, v134
	s_and_b32 s0, s0, s1
	v_cndmask_b32_e64 v126, v126, 4, s0
	v_cmp_eq_f32_e64 s0, 0, v135
	;; [unrolled: 7-line block ×28, first 2 shown]
	s_delay_alu instid0(VALU_DEP_2) | instskip(SKIP_4) | instid1(SALU_CYCLE_1)
	v_cmp_eq_u32_e64 s1, 0, v126
	s_and_b32 s0, vcc_lo, s0
	s_wait_loadcnt 0x0
	v_cmp_eq_u32_e32 vcc_lo, 0, v127
	s_and_b32 s0, s0, s1
	v_cndmask_b32_e64 v126, v126, 31, s0
	s_delay_alu instid0(VALU_DEP_1) | instskip(SKIP_1) | instid1(SALU_CYCLE_1)
	v_cmp_ne_u32_e64 s0, 0, v126
	s_and_b32 s0, vcc_lo, s0
	s_and_b32 exec_lo, exec_lo, s0
	s_cbranch_execz .LBB61_281
; %bb.280:
	v_add_nc_u32_e32 v126, s3, v126
	global_store_b32 v[2:3], v126, off
.LBB61_281:
	s_wait_xcnt 0x0
	s_or_b32 exec_lo, exec_lo, s4
	v_pk_mul_f32 v[2:3], v[186:187], v[124:125] op_sel:[1,1] op_sel_hi:[0,1]
	s_clause 0x1
	global_store_b64 v[18:19], v[52:53], off
	global_store_b64 v[34:35], v[54:55], off
	v_cmp_lt_u32_e32 vcc_lo, 30, v188
	s_clause 0x2
	global_store_b64 v[6:7], v[44:45], off
	global_store_b64 v[14:15], v[42:43], off
	;; [unrolled: 1-line block ×3, first 2 shown]
	s_wait_xcnt 0x4
	v_pk_fma_f32 v[18:19], v[186:187], v[124:125], v[2:3] op_sel_hi:[1,0,1]
	v_pk_fma_f32 v[2:3], v[186:187], v[124:125], v[2:3] neg_lo:[0,0,1] neg_hi:[0,0,1]
	s_delay_alu instid0(VALU_DEP_1)
	v_dual_cndmask_b32 v3, v125, v19 :: v_dual_cndmask_b32 v2, v124, v2
	s_clause 0x19
	global_store_b64 v[0:1], v[24:25], off
	global_store_b64 v[4:5], v[26:27], off
	;; [unrolled: 1-line block ×26, first 2 shown]
.LBB61_282:
	s_sendmsg sendmsg(MSG_DEALLOC_VGPRS)
	s_endpgm
	.section	.rodata,"a",@progbits
	.p2align	6, 0x0
	.amdhsa_kernel _ZN9rocsolver6v33100L23getf2_npvt_small_kernelILi31E19rocblas_complex_numIfEiiPS3_EEvT1_T3_lS5_lPT2_S5_S5_
		.amdhsa_group_segment_fixed_size 0
		.amdhsa_private_segment_fixed_size 0
		.amdhsa_kernarg_size 312
		.amdhsa_user_sgpr_count 2
		.amdhsa_user_sgpr_dispatch_ptr 0
		.amdhsa_user_sgpr_queue_ptr 0
		.amdhsa_user_sgpr_kernarg_segment_ptr 1
		.amdhsa_user_sgpr_dispatch_id 0
		.amdhsa_user_sgpr_kernarg_preload_length 0
		.amdhsa_user_sgpr_kernarg_preload_offset 0
		.amdhsa_user_sgpr_private_segment_size 0
		.amdhsa_wavefront_size32 1
		.amdhsa_uses_dynamic_stack 0
		.amdhsa_enable_private_segment 0
		.amdhsa_system_sgpr_workgroup_id_x 1
		.amdhsa_system_sgpr_workgroup_id_y 1
		.amdhsa_system_sgpr_workgroup_id_z 0
		.amdhsa_system_sgpr_workgroup_info 0
		.amdhsa_system_vgpr_workitem_id 1
		.amdhsa_next_free_vgpr 210
		.amdhsa_next_free_sgpr 15
		.amdhsa_named_barrier_count 0
		.amdhsa_reserve_vcc 1
		.amdhsa_float_round_mode_32 0
		.amdhsa_float_round_mode_16_64 0
		.amdhsa_float_denorm_mode_32 3
		.amdhsa_float_denorm_mode_16_64 3
		.amdhsa_fp16_overflow 0
		.amdhsa_memory_ordered 1
		.amdhsa_forward_progress 1
		.amdhsa_inst_pref_size 255
		.amdhsa_round_robin_scheduling 0
		.amdhsa_exception_fp_ieee_invalid_op 0
		.amdhsa_exception_fp_denorm_src 0
		.amdhsa_exception_fp_ieee_div_zero 0
		.amdhsa_exception_fp_ieee_overflow 0
		.amdhsa_exception_fp_ieee_underflow 0
		.amdhsa_exception_fp_ieee_inexact 0
		.amdhsa_exception_int_div_zero 0
	.end_amdhsa_kernel
	.section	.text._ZN9rocsolver6v33100L23getf2_npvt_small_kernelILi31E19rocblas_complex_numIfEiiPS3_EEvT1_T3_lS5_lPT2_S5_S5_,"axG",@progbits,_ZN9rocsolver6v33100L23getf2_npvt_small_kernelILi31E19rocblas_complex_numIfEiiPS3_EEvT1_T3_lS5_lPT2_S5_S5_,comdat
.Lfunc_end61:
	.size	_ZN9rocsolver6v33100L23getf2_npvt_small_kernelILi31E19rocblas_complex_numIfEiiPS3_EEvT1_T3_lS5_lPT2_S5_S5_, .Lfunc_end61-_ZN9rocsolver6v33100L23getf2_npvt_small_kernelILi31E19rocblas_complex_numIfEiiPS3_EEvT1_T3_lS5_lPT2_S5_S5_
                                        ; -- End function
	.set _ZN9rocsolver6v33100L23getf2_npvt_small_kernelILi31E19rocblas_complex_numIfEiiPS3_EEvT1_T3_lS5_lPT2_S5_S5_.num_vgpr, 210
	.set _ZN9rocsolver6v33100L23getf2_npvt_small_kernelILi31E19rocblas_complex_numIfEiiPS3_EEvT1_T3_lS5_lPT2_S5_S5_.num_agpr, 0
	.set _ZN9rocsolver6v33100L23getf2_npvt_small_kernelILi31E19rocblas_complex_numIfEiiPS3_EEvT1_T3_lS5_lPT2_S5_S5_.numbered_sgpr, 15
	.set _ZN9rocsolver6v33100L23getf2_npvt_small_kernelILi31E19rocblas_complex_numIfEiiPS3_EEvT1_T3_lS5_lPT2_S5_S5_.num_named_barrier, 0
	.set _ZN9rocsolver6v33100L23getf2_npvt_small_kernelILi31E19rocblas_complex_numIfEiiPS3_EEvT1_T3_lS5_lPT2_S5_S5_.private_seg_size, 0
	.set _ZN9rocsolver6v33100L23getf2_npvt_small_kernelILi31E19rocblas_complex_numIfEiiPS3_EEvT1_T3_lS5_lPT2_S5_S5_.uses_vcc, 1
	.set _ZN9rocsolver6v33100L23getf2_npvt_small_kernelILi31E19rocblas_complex_numIfEiiPS3_EEvT1_T3_lS5_lPT2_S5_S5_.uses_flat_scratch, 0
	.set _ZN9rocsolver6v33100L23getf2_npvt_small_kernelILi31E19rocblas_complex_numIfEiiPS3_EEvT1_T3_lS5_lPT2_S5_S5_.has_dyn_sized_stack, 0
	.set _ZN9rocsolver6v33100L23getf2_npvt_small_kernelILi31E19rocblas_complex_numIfEiiPS3_EEvT1_T3_lS5_lPT2_S5_S5_.has_recursion, 0
	.set _ZN9rocsolver6v33100L23getf2_npvt_small_kernelILi31E19rocblas_complex_numIfEiiPS3_EEvT1_T3_lS5_lPT2_S5_S5_.has_indirect_call, 0
	.section	.AMDGPU.csdata,"",@progbits
; Kernel info:
; codeLenInByte = 48628
; TotalNumSgprs: 17
; NumVgprs: 210
; ScratchSize: 0
; MemoryBound: 0
; FloatMode: 240
; IeeeMode: 1
; LDSByteSize: 0 bytes/workgroup (compile time only)
; SGPRBlocks: 0
; VGPRBlocks: 13
; NumSGPRsForWavesPerEU: 17
; NumVGPRsForWavesPerEU: 210
; NamedBarCnt: 0
; Occupancy: 4
; WaveLimiterHint : 0
; COMPUTE_PGM_RSRC2:SCRATCH_EN: 0
; COMPUTE_PGM_RSRC2:USER_SGPR: 2
; COMPUTE_PGM_RSRC2:TRAP_HANDLER: 0
; COMPUTE_PGM_RSRC2:TGID_X_EN: 1
; COMPUTE_PGM_RSRC2:TGID_Y_EN: 1
; COMPUTE_PGM_RSRC2:TGID_Z_EN: 0
; COMPUTE_PGM_RSRC2:TIDIG_COMP_CNT: 1
	.section	.text._ZN9rocsolver6v33100L18getf2_small_kernelILi32E19rocblas_complex_numIfEiiPS3_EEvT1_T3_lS5_lPS5_llPT2_S5_S5_S7_l,"axG",@progbits,_ZN9rocsolver6v33100L18getf2_small_kernelILi32E19rocblas_complex_numIfEiiPS3_EEvT1_T3_lS5_lPS5_llPT2_S5_S5_S7_l,comdat
	.globl	_ZN9rocsolver6v33100L18getf2_small_kernelILi32E19rocblas_complex_numIfEiiPS3_EEvT1_T3_lS5_lPS5_llPT2_S5_S5_S7_l ; -- Begin function _ZN9rocsolver6v33100L18getf2_small_kernelILi32E19rocblas_complex_numIfEiiPS3_EEvT1_T3_lS5_lPS5_llPT2_S5_S5_S7_l
	.p2align	8
	.type	_ZN9rocsolver6v33100L18getf2_small_kernelILi32E19rocblas_complex_numIfEiiPS3_EEvT1_T3_lS5_lPS5_llPT2_S5_S5_S7_l,@function
_ZN9rocsolver6v33100L18getf2_small_kernelILi32E19rocblas_complex_numIfEiiPS3_EEvT1_T3_lS5_lPS5_llPT2_S5_S5_S7_l: ; @_ZN9rocsolver6v33100L18getf2_small_kernelILi32E19rocblas_complex_numIfEiiPS3_EEvT1_T3_lS5_lPS5_llPT2_S5_S5_S7_l
; %bb.0:
	s_clause 0x1
	s_load_u16 s2, s[0:1], 0x6e
	s_load_b64 s[16:17], s[0:1], 0x48
	s_bfe_u32 s3, ttmp6, 0x40010
	s_bfe_u32 s4, ttmp6, 0x40004
	s_add_co_i32 s3, s3, 1
	s_getreg_b32 s5, hwreg(HW_REG_IB_STS2, 6, 4)
	s_mul_i32 s3, ttmp7, s3
	v_bfe_u32 v72, v0, 10, 10
	s_add_co_i32 s4, s4, s3
	s_cmp_eq_u32 s5, 0
	s_cselect_b32 s3, ttmp7, s4
	s_wait_kmcnt 0x0
	v_mad_u32 v2, s3, s2, v72
	s_mov_b32 s2, exec_lo
	s_delay_alu instid0(VALU_DEP_1)
	v_cmpx_gt_i32_e64 s16, v2
	s_cbranch_execz .LBB62_673
; %bb.1:
	s_load_b128 s[4:7], s[0:1], 0x50
	v_mov_b64_e32 v[4:5], 0
	v_ashrrev_i32_e32 v3, 31, v2
	s_wait_kmcnt 0x0
	s_cmp_eq_u64 s[4:5], 0
	s_cselect_b32 s16, -1, 0
	s_delay_alu instid0(SALU_CYCLE_1)
	s_and_b32 vcc_lo, exec_lo, s16
	s_cbranch_vccnz .LBB62_3
; %bb.2:
	v_mul_u64_e32 v[4:5], s[6:7], v[2:3]
	s_delay_alu instid0(VALU_DEP_1)
	v_lshl_add_u64 v[4:5], v[4:5], 2, s[4:5]
.LBB62_3:
	s_clause 0x2
	s_load_b32 s2, s[0:1], 0x18
	s_load_b128 s[12:15], s[0:1], 0x8
	s_load_b32 s18, s[0:1], 0x0
	v_and_b32_e32 v77, 0x3ff, v0
	s_load_b256 s[4:11], s[0:1], 0x20
	v_mov_b32_e32 v71, 0
	s_wait_kmcnt 0x0
	s_delay_alu instid0(VALU_DEP_2) | instskip(SKIP_2) | instid1(VALU_DEP_2)
	v_add3_u32 v6, s2, s2, v77
	s_ashr_i32 s3, s2, 31
	v_mul_u64_e32 v[0:1], s[4:5], v[2:3]
	v_add_nc_u32_e32 v8, s2, v6
	s_max_i32 s4, s18, 32
	s_cmp_lt_i32 s18, 2
	s_delay_alu instid0(VALU_DEP_1) | instskip(NEXT) | instid1(VALU_DEP_1)
	v_add_nc_u32_e32 v10, s2, v8
	v_add_nc_u32_e32 v12, s2, v10
	s_delay_alu instid0(VALU_DEP_1) | instskip(NEXT) | instid1(VALU_DEP_1)
	v_dual_add_nc_u32 v14, s2, v12 :: v_dual_ashrrev_i32 v7, 31, v6
	v_dual_ashrrev_i32 v9, 31, v8 :: v_dual_add_nc_u32 v16, s2, v14
	s_delay_alu instid0(VALU_DEP_1) | instskip(SKIP_1) | instid1(VALU_DEP_2)
	v_dual_add_nc_u32 v18, s2, v16 :: v_dual_ashrrev_i32 v11, 31, v10
	v_ashrrev_i32_e32 v13, 31, v12
	v_dual_ashrrev_i32 v17, 31, v16 :: v_dual_add_nc_u32 v20, s2, v18
	v_lshl_add_u64 v[0:1], v[0:1], 3, s[12:13]
	s_delay_alu instid0(VALU_DEP_2) | instskip(NEXT) | instid1(VALU_DEP_2)
	v_add_nc_u32_e32 v22, s2, v20
	v_lshl_add_u64 v[0:1], s[14:15], 3, v[0:1]
	s_delay_alu instid0(VALU_DEP_2) | instskip(NEXT) | instid1(VALU_DEP_2)
	v_add_nc_u32_e32 v24, s2, v22
	v_lshl_add_u64 v[10:11], v[10:11], 3, v[0:1]
	v_lshl_add_u64 v[12:13], v[12:13], 3, v[0:1]
	;; [unrolled: 1-line block ×4, first 2 shown]
	v_dual_add_nc_u32 v26, s2, v24 :: v_dual_ashrrev_i32 v19, 31, v18
	v_ashrrev_i32_e32 v21, 31, v20
	v_lshl_add_u64 v[16:17], v[16:17], 3, v[0:1]
	s_delay_alu instid0(VALU_DEP_3) | instskip(SKIP_3) | instid1(VALU_DEP_4)
	v_dual_ashrrev_i32 v25, 31, v24 :: v_dual_add_nc_u32 v28, s2, v26
	v_dual_lshlrev_b32 v70, 3, v77 :: v_dual_ashrrev_i32 v23, 31, v22
	v_lshl_add_u64 v[18:19], v[18:19], 3, v[0:1]
	v_lshl_add_u64 v[20:21], v[20:21], 3, v[0:1]
	v_add_nc_u32_e32 v42, s2, v28
	s_delay_alu instid0(VALU_DEP_4) | instskip(SKIP_1) | instid1(VALU_DEP_3)
	v_add_nc_u64_e32 v[36:37], v[0:1], v[70:71]
	v_dual_ashrrev_i32 v27, 31, v26 :: v_dual_ashrrev_i32 v29, 31, v28
	v_add_nc_u32_e32 v44, s2, v42
	v_ashrrev_i32_e32 v15, 31, v14
	s_delay_alu instid0(VALU_DEP_2) | instskip(SKIP_1) | instid1(VALU_DEP_3)
	v_dual_ashrrev_i32 v43, 31, v42 :: v_dual_ashrrev_i32 v45, 31, v44
	v_add_nc_u32_e32 v46, s2, v44
	v_lshl_add_u64 v[14:15], v[14:15], 3, v[0:1]
	s_clause 0x3
	global_load_b64 v[34:35], v[10:11], off
	global_load_b64 v[30:31], v[12:13], off
	;; [unrolled: 1-line block ×4, first 2 shown]
	v_add_nc_u32_e32 v54, s2, v46
	s_wait_xcnt 0x2
	v_lshl_add_u64 v[12:13], v[22:23], 3, v[0:1]
	v_lshl_add_u64 v[10:11], s[2:3], 3, v[36:37]
	s_clause 0x3
	global_load_b64 v[62:63], v[38:39], off
	global_load_b64 v[60:61], v[8:9], off
	;; [unrolled: 1-line block ×4, first 2 shown]
	v_add_nc_u32_e32 v56, s2, v54
	s_wait_xcnt 0x4
	v_lshl_add_u64 v[16:17], v[28:29], 3, v[0:1]
	v_ashrrev_i32_e32 v47, 31, v46
	s_wait_xcnt 0x0
	v_lshl_add_u64 v[10:11], v[24:25], 3, v[0:1]
	s_clause 0x3
	global_load_b64 v[40:41], v[18:19], off
	global_load_b64 v[36:37], v[20:21], off
	;; [unrolled: 1-line block ×4, first 2 shown]
	v_add_nc_u32_e32 v58, s2, v56
	s_wait_xcnt 0x1
	v_lshl_add_u64 v[12:13], v[26:27], 3, v[0:1]
	v_lshl_add_u64 v[20:21], v[42:43], 3, v[0:1]
	v_lshl_add_u64 v[26:27], v[44:45], 3, v[0:1]
	v_dual_ashrrev_i32 v57, 31, v56 :: v_dual_add_nc_u32 v22, s2, v58
	s_clause 0x3
	global_load_b64 v[52:53], v[12:13], off
	global_load_b64 v[48:49], v[16:17], off
	;; [unrolled: 1-line block ×4, first 2 shown]
	s_wait_xcnt 0x1
	v_lshl_add_u64 v[20:21], v[46:47], 3, v[0:1]
	v_lshl_add_u64 v[44:45], v[56:57], 3, v[0:1]
	v_add_nc_u32_e32 v24, s2, v22
	s_delay_alu instid0(VALU_DEP_1) | instskip(SKIP_1) | instid1(VALU_DEP_2)
	v_dual_ashrrev_i32 v55, 31, v54 :: v_dual_ashrrev_i32 v25, 31, v24
	v_add_nc_u32_e32 v10, s2, v24
	v_lshl_add_u64 v[42:43], v[54:55], 3, v[0:1]
	s_delay_alu instid0(VALU_DEP_3) | instskip(NEXT) | instid1(VALU_DEP_3)
	v_lshl_add_u64 v[24:25], v[24:25], 3, v[0:1]
	v_add_nc_u32_e32 v18, s2, v10
	s_delay_alu instid0(VALU_DEP_1) | instskip(NEXT) | instid1(VALU_DEP_1)
	v_add_nc_u32_e32 v28, s2, v18
	v_dual_add_nc_u32 v12, s2, v28 :: v_dual_ashrrev_i32 v11, 31, v10
	s_wait_xcnt 0x0
	s_delay_alu instid0(VALU_DEP_1) | instskip(SKIP_1) | instid1(VALU_DEP_3)
	v_dual_ashrrev_i32 v13, 31, v12 :: v_dual_add_nc_u32 v26, s2, v12
	v_ashrrev_i32_e32 v29, 31, v28
	v_lshl_add_u64 v[74:75], v[10:11], 3, v[0:1]
	s_delay_alu instid0(VALU_DEP_3) | instskip(NEXT) | instid1(VALU_DEP_4)
	v_lshl_add_u64 v[82:83], v[12:13], 3, v[0:1]
	v_add_nc_u32_e32 v68, s2, v26
	v_ashrrev_i32_e32 v59, 31, v58
	s_delay_alu instid0(VALU_DEP_2) | instskip(NEXT) | instid1(VALU_DEP_2)
	v_dual_ashrrev_i32 v27, 31, v26 :: v_dual_ashrrev_i32 v69, 31, v68
	v_lshl_add_u64 v[46:47], v[58:59], 3, v[0:1]
	s_clause 0x3
	global_load_b64 v[58:59], v[20:21], off
	global_load_b64 v[54:55], v[42:43], off
	;; [unrolled: 1-line block ×4, first 2 shown]
	s_wait_xcnt 0x3
	v_dual_add_nc_u32 v20, s2, v68 :: v_dual_ashrrev_i32 v23, 31, v22
	v_lshl_add_u64 v[84:85], v[26:27], 3, v[0:1]
	v_lshl_add_u64 v[86:87], v[68:69], 3, v[0:1]
	s_delay_alu instid0(VALU_DEP_3) | instskip(NEXT) | instid1(VALU_DEP_4)
	v_dual_add_nc_u32 v78, s2, v20 :: v_dual_ashrrev_i32 v21, 31, v20
	v_lshl_add_u64 v[22:23], v[22:23], 3, v[0:1]
	s_delay_alu instid0(VALU_DEP_2) | instskip(SKIP_3) | instid1(VALU_DEP_4)
	v_add_nc_u32_e32 v80, s2, v78
	v_ashrrev_i32_e32 v19, 31, v18
	v_ashrrev_i32_e32 v79, 31, v78
	v_lshl_add_u64 v[88:89], v[20:21], 3, v[0:1]
	v_add_nc_u32_e32 v12, s2, v80
	s_delay_alu instid0(VALU_DEP_4)
	v_lshl_add_u64 v[18:19], v[18:19], 3, v[0:1]
	s_clause 0x3
	global_load_b64 v[46:47], v[22:23], off
	global_load_b64 v[42:43], v[24:25], off
	;; [unrolled: 1-line block ×4, first 2 shown]
	s_wait_xcnt 0x1
	v_lshl_add_u64 v[74:75], v[28:29], 3, v[0:1]
	v_ashrrev_i32_e32 v81, 31, v80
	v_ashrrev_i32_e32 v13, 31, v12
	v_lshl_add_u64 v[78:79], v[78:79], 3, v[0:1]
	s_delay_alu instid0(VALU_DEP_3) | instskip(NEXT) | instid1(VALU_DEP_3)
	v_lshl_add_u64 v[80:81], v[80:81], 3, v[0:1]
	v_lshl_add_u64 v[90:91], v[12:13], 3, v[0:1]
	s_clause 0x7
	global_load_b64 v[28:29], v[74:75], off
	global_load_b64 v[24:25], v[82:83], off
	;; [unrolled: 1-line block ×8, first 2 shown]
	s_wait_xcnt 0x7
	v_mul_lo_u32 v75, s4, v72
	s_load_b64 s[4:5], s[0:1], 0x40
	s_delay_alu instid0(VALU_DEP_1) | instskip(NEXT) | instid1(VALU_DEP_1)
	v_lshl_add_u32 v74, v75, 3, 0
	v_dual_lshlrev_b32 v75, 3, v75 :: v_dual_add_nc_u32 v70, v74, v70
	s_wait_loadcnt 0x19
	ds_store_b64 v70, v[64:65]
	s_wait_loadcnt_dscnt 0x0
	s_barrier_signal -1
	s_barrier_wait -1
	ds_load_b64 v[72:73], v74
	s_cbranch_scc1 .LBB62_6
; %bb.4:
	v_add3_u32 v70, v75, 0, 8
	v_mov_b32_e32 v71, 0
	s_wait_xcnt 0x0
	s_mov_b32 s1, 1
.LBB62_5:                               ; =>This Inner Loop Header: Depth=1
	ds_load_b64 v[78:79], v70
	s_wait_dscnt 0x1
	v_cmp_gt_f32_e32 vcc_lo, 0, v72
	v_cmp_gt_f32_e64 s0, 0, v73
	s_delay_alu instid0(VALU_DEP_1) | instskip(SKIP_3) | instid1(VALU_DEP_1)
	v_dual_cndmask_b32 v80, v72, -v72, vcc_lo :: v_dual_cndmask_b32 v82, v73, -v73, s0
	s_wait_dscnt 0x0
	v_cmp_gt_f32_e32 vcc_lo, 0, v78
	v_cmp_gt_f32_e64 s0, 0, v79
	v_dual_cndmask_b32 v81, v78, -v78, vcc_lo :: v_dual_cndmask_b32 v83, v79, -v79, s0
	s_delay_alu instid0(VALU_DEP_1) | instskip(NEXT) | instid1(VALU_DEP_1)
	v_pk_add_f32 v[80:81], v[80:81], v[82:83]
	v_cmp_lt_f32_e32 vcc_lo, v80, v81
	v_dual_cndmask_b32 v73, v73, v79 :: v_dual_add_nc_u32 v70, 8, v70
	v_cndmask_b32_e32 v72, v72, v78, vcc_lo
	v_cndmask_b32_e64 v71, v71, s1, vcc_lo
	s_add_co_i32 s1, s1, 1
	s_delay_alu instid0(SALU_CYCLE_1)
	s_cmp_eq_u32 s18, s1
	s_cbranch_scc0 .LBB62_5
.LBB62_6:
	s_wait_dscnt 0x0
	v_cmp_neq_f32_e32 vcc_lo, 0, v72
	s_wait_xcnt 0x0
	v_cmp_neq_f32_e64 s0, 0, v73
	v_dual_mov_b32 v76, 1 :: v_dual_mov_b32 v79, 1
	s_or_b32 s1, vcc_lo, s0
	s_delay_alu instid0(SALU_CYCLE_1)
	s_and_saveexec_b32 s0, s1
	s_cbranch_execz .LBB62_12
; %bb.7:
	v_cmp_ngt_f32_e64 s1, |v72|, |v73|
	s_and_saveexec_b32 s12, s1
	s_delay_alu instid0(SALU_CYCLE_1)
	s_xor_b32 s1, exec_lo, s12
	s_cbranch_execz .LBB62_9
; %bb.8:
	v_div_scale_f32 v70, null, v73, v73, v72
	v_div_scale_f32 v79, vcc_lo, v72, v73, v72
	s_delay_alu instid0(VALU_DEP_2) | instskip(SKIP_1) | instid1(TRANS32_DEP_1)
	v_rcp_f32_e32 v76, v70
	v_nop
	v_fma_f32 v78, -v70, v76, 1.0
	s_delay_alu instid0(VALU_DEP_1) | instskip(NEXT) | instid1(VALU_DEP_1)
	v_fmac_f32_e32 v76, v78, v76
	v_mul_f32_e32 v78, v79, v76
	s_delay_alu instid0(VALU_DEP_1) | instskip(NEXT) | instid1(VALU_DEP_1)
	v_fma_f32 v80, -v70, v78, v79
	v_fmac_f32_e32 v78, v80, v76
	s_delay_alu instid0(VALU_DEP_1) | instskip(NEXT) | instid1(VALU_DEP_1)
	v_fma_f32 v70, -v70, v78, v79
	v_div_fmas_f32 v70, v70, v76, v78
	s_delay_alu instid0(VALU_DEP_1) | instskip(NEXT) | instid1(VALU_DEP_1)
	v_div_fixup_f32 v70, v70, v73, v72
	v_fmac_f32_e32 v73, v72, v70
	s_delay_alu instid0(VALU_DEP_1) | instskip(SKIP_1) | instid1(VALU_DEP_2)
	v_div_scale_f32 v72, null, v73, v73, 1.0
	v_div_scale_f32 v79, vcc_lo, 1.0, v73, 1.0
	v_rcp_f32_e32 v76, v72
	v_nop
	s_delay_alu instid0(TRANS32_DEP_1) | instskip(NEXT) | instid1(VALU_DEP_1)
	v_fma_f32 v78, -v72, v76, 1.0
	v_fmac_f32_e32 v76, v78, v76
	s_delay_alu instid0(VALU_DEP_1) | instskip(NEXT) | instid1(VALU_DEP_1)
	v_mul_f32_e32 v78, v79, v76
	v_fma_f32 v80, -v72, v78, v79
	s_delay_alu instid0(VALU_DEP_1) | instskip(NEXT) | instid1(VALU_DEP_1)
	v_fmac_f32_e32 v78, v80, v76
	v_fma_f32 v72, -v72, v78, v79
	s_delay_alu instid0(VALU_DEP_1) | instskip(NEXT) | instid1(VALU_DEP_1)
	v_div_fmas_f32 v72, v72, v76, v78
	v_div_fixup_f32 v73, v72, v73, 1.0
	s_delay_alu instid0(VALU_DEP_1)
	v_mul_f32_e32 v72, v70, v73
	v_xor_b32_e32 v73, 0x80000000, v73
.LBB62_9:
	s_and_not1_saveexec_b32 s1, s1
	s_cbranch_execz .LBB62_11
; %bb.10:
	s_delay_alu instid0(VALU_DEP_1) | instskip(SKIP_1) | instid1(VALU_DEP_2)
	v_div_scale_f32 v70, null, v72, v72, v73
	v_div_scale_f32 v79, vcc_lo, v73, v72, v73
	v_rcp_f32_e32 v76, v70
	v_nop
	s_delay_alu instid0(TRANS32_DEP_1) | instskip(NEXT) | instid1(VALU_DEP_1)
	v_fma_f32 v78, -v70, v76, 1.0
	v_fmac_f32_e32 v76, v78, v76
	s_delay_alu instid0(VALU_DEP_1) | instskip(NEXT) | instid1(VALU_DEP_1)
	v_mul_f32_e32 v78, v79, v76
	v_fma_f32 v80, -v70, v78, v79
	s_delay_alu instid0(VALU_DEP_1) | instskip(NEXT) | instid1(VALU_DEP_1)
	v_fmac_f32_e32 v78, v80, v76
	v_fma_f32 v70, -v70, v78, v79
	s_delay_alu instid0(VALU_DEP_1) | instskip(NEXT) | instid1(VALU_DEP_1)
	v_div_fmas_f32 v70, v70, v76, v78
	v_div_fixup_f32 v70, v70, v72, v73
	s_delay_alu instid0(VALU_DEP_1) | instskip(NEXT) | instid1(VALU_DEP_1)
	v_fmac_f32_e32 v72, v73, v70
	v_div_scale_f32 v73, null, v72, v72, 1.0
	s_delay_alu instid0(VALU_DEP_1) | instskip(SKIP_1) | instid1(TRANS32_DEP_1)
	v_rcp_f32_e32 v76, v73
	v_nop
	v_fma_f32 v78, -v73, v76, 1.0
	s_delay_alu instid0(VALU_DEP_1) | instskip(SKIP_1) | instid1(VALU_DEP_1)
	v_fmac_f32_e32 v76, v78, v76
	v_div_scale_f32 v78, vcc_lo, 1.0, v72, 1.0
	v_mul_f32_e32 v79, v78, v76
	s_delay_alu instid0(VALU_DEP_1) | instskip(NEXT) | instid1(VALU_DEP_1)
	v_fma_f32 v80, -v73, v79, v78
	v_fmac_f32_e32 v79, v80, v76
	s_delay_alu instid0(VALU_DEP_1) | instskip(NEXT) | instid1(VALU_DEP_1)
	v_fma_f32 v73, -v73, v79, v78
	v_div_fmas_f32 v73, v73, v76, v79
	s_delay_alu instid0(VALU_DEP_1) | instskip(NEXT) | instid1(VALU_DEP_1)
	v_div_fixup_f32 v72, v73, v72, 1.0
	v_mul_f32_e64 v73, v70, -v72
.LBB62_11:
	s_or_b32 exec_lo, exec_lo, s1
	v_dual_mov_b32 v79, 0 :: v_dual_mov_b32 v76, 2
.LBB62_12:
	s_or_b32 exec_lo, exec_lo, s0
	s_delay_alu instid0(SALU_CYCLE_1)
	s_mov_b32 s0, exec_lo
	v_cmpx_ne_u32_e64 v77, v71
	s_xor_b32 s0, exec_lo, s0
	s_cbranch_execz .LBB62_18
; %bb.13:
	s_mov_b32 s1, exec_lo
	v_cmpx_eq_u32_e32 0, v77
	s_cbranch_execz .LBB62_17
; %bb.14:
	v_cmp_ne_u32_e32 vcc_lo, 0, v71
	s_xor_b32 s12, s16, -1
	s_delay_alu instid0(SALU_CYCLE_1) | instskip(NEXT) | instid1(SALU_CYCLE_1)
	s_and_b32 s13, s12, vcc_lo
	s_and_saveexec_b32 s12, s13
	s_cbranch_execz .LBB62_16
; %bb.15:
	v_dual_mov_b32 v80, v71 :: v_dual_ashrrev_i32 v81, 31, v71
	s_delay_alu instid0(VALU_DEP_1)
	v_lshl_add_u64 v[80:81], v[80:81], 2, v[4:5]
	s_clause 0x1
	global_load_b32 v70, v[80:81], off
	global_load_b32 v77, v[4:5], off
	s_wait_loadcnt 0x1
	global_store_b32 v[4:5], v70, off
	s_wait_loadcnt 0x0
	global_store_b32 v[80:81], v77, off
.LBB62_16:
	s_wait_xcnt 0x0
	s_or_b32 exec_lo, exec_lo, s12
	v_mov_b32_e32 v77, v71
.LBB62_17:
	s_or_b32 exec_lo, exec_lo, s1
.LBB62_18:
	s_or_saveexec_b32 s0, s0
	s_delay_alu instid0(VALU_DEP_1)
	v_mov_b32_e32 v78, v77
	s_xor_b32 exec_lo, exec_lo, s0
	s_cbranch_execz .LBB62_20
; %bb.19:
	v_mov_b32_e32 v78, 0
	ds_store_2addr_b64 v74, v[66:67], v[62:63] offset0:1 offset1:2
	ds_store_2addr_b64 v74, v[60:61], v[34:35] offset0:3 offset1:4
	;; [unrolled: 1-line block ×15, first 2 shown]
	ds_store_b64 v74, v[68:69] offset:248
.LBB62_20:
	s_or_b32 exec_lo, exec_lo, s0
	s_delay_alu instid0(SALU_CYCLE_1)
	s_mov_b32 s0, exec_lo
	s_wait_storecnt_dscnt 0x0
	s_barrier_signal -1
	s_barrier_wait -1
	v_cmpx_lt_i32_e32 0, v78
	s_cbranch_execz .LBB62_22
; %bb.21:
	v_pk_mul_f32 v[80:81], v[72:73], v[64:65] op_sel:[1,1] op_sel_hi:[0,1]
	s_delay_alu instid0(VALU_DEP_1)
	v_pk_fma_f32 v[70:71], v[72:73], v[64:65], v[80:81] op_sel_hi:[1,0,1] neg_lo:[0,0,1] neg_hi:[0,0,1]
	v_pk_fma_f32 v[72:73], v[72:73], v[64:65], v[80:81] op_sel_hi:[1,0,1]
	ds_load_2addr_b64 v[80:83], v74 offset0:1 offset1:2
	v_dual_mov_b32 v64, v70 :: v_dual_mov_b32 v65, v73
	s_wait_dscnt 0x0
	v_pk_mul_f32 v[84:85], v[80:81], v[72:73] op_sel:[0,1]
	s_delay_alu instid0(VALU_DEP_1) | instskip(SKIP_1) | instid1(VALU_DEP_1)
	v_pk_fma_f32 v[86:87], v[80:81], v[70:71], v[84:85] op_sel:[0,0,1] op_sel_hi:[1,1,0] neg_lo:[0,0,1] neg_hi:[0,0,1]
	v_pk_fma_f32 v[80:81], v[80:81], v[70:71], v[84:85] op_sel:[0,0,1] op_sel_hi:[1,0,0]
	v_mov_b32_e32 v87, v81
	v_pk_mul_f32 v[80:81], v[82:83], v[72:73] op_sel:[0,1]
	s_delay_alu instid0(VALU_DEP_1) | instskip(SKIP_1) | instid1(VALU_DEP_1)
	v_pk_fma_f32 v[84:85], v[82:83], v[70:71], v[80:81] op_sel:[0,0,1] op_sel_hi:[1,1,0] neg_lo:[0,0,1] neg_hi:[0,0,1]
	v_pk_fma_f32 v[80:81], v[82:83], v[70:71], v[80:81] op_sel:[0,0,1] op_sel_hi:[1,0,0]
	v_mov_b32_e32 v85, v81
	ds_load_2addr_b64 v[80:83], v74 offset0:3 offset1:4
	v_pk_add_f32 v[66:67], v[66:67], v[86:87] neg_lo:[0,1] neg_hi:[0,1]
	v_pk_add_f32 v[62:63], v[62:63], v[84:85] neg_lo:[0,1] neg_hi:[0,1]
	s_wait_dscnt 0x0
	v_pk_mul_f32 v[84:85], v[80:81], v[72:73] op_sel:[0,1]
	s_delay_alu instid0(VALU_DEP_1) | instskip(SKIP_2) | instid1(VALU_DEP_2)
	v_pk_fma_f32 v[86:87], v[80:81], v[70:71], v[84:85] op_sel:[0,0,1] op_sel_hi:[1,1,0] neg_lo:[0,0,1] neg_hi:[0,0,1]
	v_pk_fma_f32 v[80:81], v[80:81], v[70:71], v[84:85] op_sel:[0,0,1] op_sel_hi:[1,0,0]
	v_dual_mul_f32 v84, v83, v73 :: v_dual_mov_b32 v80, v83
	v_dual_mov_b32 v87, v81 :: v_dual_mov_b32 v81, v82
	s_delay_alu instid0(VALU_DEP_2) | instskip(SKIP_1) | instid1(VALU_DEP_3)
	v_pk_fma_f32 v[84:85], v[82:83], v[64:65], v[84:85] op_sel_hi:[1,1,0] neg_lo:[0,0,1] neg_hi:[0,0,1]
	v_mul_f32_e32 v82, v83, v70
	v_pk_add_f32 v[60:61], v[60:61], v[86:87] neg_lo:[0,1] neg_hi:[0,1]
	s_delay_alu instid0(VALU_DEP_2) | instskip(NEXT) | instid1(VALU_DEP_1)
	v_pk_fma_f32 v[80:81], v[80:81], v[64:65], v[82:83] op_sel_hi:[1,1,0]
	v_mov_b32_e32 v85, v81
	ds_load_2addr_b64 v[80:83], v74 offset0:5 offset1:6
	v_pk_add_f32 v[34:35], v[34:35], v[84:85] neg_lo:[0,1] neg_hi:[0,1]
	s_wait_dscnt 0x0
	v_pk_mul_f32 v[84:85], v[80:81], v[72:73] op_sel:[0,1]
	s_delay_alu instid0(VALU_DEP_1) | instskip(SKIP_1) | instid1(VALU_DEP_1)
	v_pk_fma_f32 v[86:87], v[80:81], v[70:71], v[84:85] op_sel:[0,0,1] op_sel_hi:[1,1,0] neg_lo:[0,0,1] neg_hi:[0,0,1]
	v_pk_fma_f32 v[80:81], v[80:81], v[70:71], v[84:85] op_sel:[0,0,1] op_sel_hi:[1,0,0]
	v_mov_b32_e32 v87, v81
	v_pk_mul_f32 v[80:81], v[82:83], v[72:73] op_sel:[0,1]
	s_delay_alu instid0(VALU_DEP_1) | instskip(SKIP_1) | instid1(VALU_DEP_1)
	v_pk_fma_f32 v[84:85], v[82:83], v[70:71], v[80:81] op_sel:[0,0,1] op_sel_hi:[1,1,0] neg_lo:[0,0,1] neg_hi:[0,0,1]
	v_pk_fma_f32 v[80:81], v[82:83], v[70:71], v[80:81] op_sel:[0,0,1] op_sel_hi:[1,0,0]
	v_mov_b32_e32 v85, v81
	ds_load_2addr_b64 v[80:83], v74 offset0:7 offset1:8
	v_pk_add_f32 v[30:31], v[30:31], v[86:87] neg_lo:[0,1] neg_hi:[0,1]
	v_pk_add_f32 v[32:33], v[32:33], v[84:85] neg_lo:[0,1] neg_hi:[0,1]
	s_wait_dscnt 0x0
	v_pk_mul_f32 v[84:85], v[80:81], v[72:73] op_sel:[0,1]
	s_delay_alu instid0(VALU_DEP_1) | instskip(SKIP_1) | instid1(VALU_DEP_1)
	v_pk_fma_f32 v[86:87], v[80:81], v[70:71], v[84:85] op_sel:[0,0,1] op_sel_hi:[1,1,0] neg_lo:[0,0,1] neg_hi:[0,0,1]
	v_pk_fma_f32 v[80:81], v[80:81], v[70:71], v[84:85] op_sel:[0,0,1] op_sel_hi:[1,0,0]
	v_mov_b32_e32 v87, v81
	v_pk_mul_f32 v[80:81], v[82:83], v[72:73] op_sel:[0,1]
	s_delay_alu instid0(VALU_DEP_1) | instskip(SKIP_1) | instid1(VALU_DEP_1)
	v_pk_fma_f32 v[84:85], v[82:83], v[70:71], v[80:81] op_sel:[0,0,1] op_sel_hi:[1,1,0] neg_lo:[0,0,1] neg_hi:[0,0,1]
	v_pk_fma_f32 v[80:81], v[82:83], v[70:71], v[80:81] op_sel:[0,0,1] op_sel_hi:[1,0,0]
	v_mov_b32_e32 v85, v81
	ds_load_2addr_b64 v[80:83], v74 offset0:9 offset1:10
	v_pk_add_f32 v[6:7], v[6:7], v[86:87] neg_lo:[0,1] neg_hi:[0,1]
	v_pk_add_f32 v[40:41], v[40:41], v[84:85] neg_lo:[0,1] neg_hi:[0,1]
	s_wait_dscnt 0x0
	v_dual_mul_f32 v84, v81, v73 :: v_dual_mul_f32 v86, v81, v70
	s_delay_alu instid0(VALU_DEP_1) | instskip(NEXT) | instid1(VALU_DEP_2)
	v_pk_fma_f32 v[84:85], v[80:81], v[64:65], v[84:85] op_sel_hi:[1,1,0] neg_lo:[0,0,1] neg_hi:[0,0,1]
	v_pk_fma_f32 v[80:81], v[80:81], v[64:65], v[86:87] op_sel:[1,0,0] op_sel_hi:[0,1,0]
	s_delay_alu instid0(VALU_DEP_1) | instskip(SKIP_1) | instid1(VALU_DEP_2)
	v_mov_b32_e32 v85, v81
	v_pk_mul_f32 v[80:81], v[82:83], v[72:73] op_sel:[0,1]
	v_pk_add_f32 v[36:37], v[36:37], v[84:85] neg_lo:[0,1] neg_hi:[0,1]
	s_delay_alu instid0(VALU_DEP_2) | instskip(SKIP_1) | instid1(VALU_DEP_1)
	v_pk_fma_f32 v[84:85], v[82:83], v[70:71], v[80:81] op_sel:[0,0,1] op_sel_hi:[1,1,0] neg_lo:[0,0,1] neg_hi:[0,0,1]
	v_pk_fma_f32 v[80:81], v[82:83], v[70:71], v[80:81] op_sel:[0,0,1] op_sel_hi:[1,0,0]
	v_mov_b32_e32 v85, v81
	ds_load_2addr_b64 v[80:83], v74 offset0:11 offset1:12
	v_pk_add_f32 v[38:39], v[38:39], v[84:85] neg_lo:[0,1] neg_hi:[0,1]
	s_wait_dscnt 0x0
	v_pk_mul_f32 v[84:85], v[80:81], v[72:73] op_sel:[0,1]
	s_delay_alu instid0(VALU_DEP_1) | instskip(SKIP_1) | instid1(VALU_DEP_1)
	v_pk_fma_f32 v[86:87], v[80:81], v[70:71], v[84:85] op_sel:[0,0,1] op_sel_hi:[1,1,0] neg_lo:[0,0,1] neg_hi:[0,0,1]
	v_pk_fma_f32 v[80:81], v[80:81], v[70:71], v[84:85] op_sel:[0,0,1] op_sel_hi:[1,0,0]
	v_mov_b32_e32 v87, v81
	v_pk_mul_f32 v[80:81], v[82:83], v[72:73] op_sel:[0,1]
	s_delay_alu instid0(VALU_DEP_2) | instskip(NEXT) | instid1(VALU_DEP_2)
	v_pk_add_f32 v[8:9], v[8:9], v[86:87] neg_lo:[0,1] neg_hi:[0,1]
	v_pk_fma_f32 v[84:85], v[82:83], v[70:71], v[80:81] op_sel:[0,0,1] op_sel_hi:[1,1,0] neg_lo:[0,0,1] neg_hi:[0,0,1]
	v_pk_fma_f32 v[80:81], v[82:83], v[70:71], v[80:81] op_sel:[0,0,1] op_sel_hi:[1,0,0]
	s_delay_alu instid0(VALU_DEP_1) | instskip(SKIP_4) | instid1(VALU_DEP_1)
	v_mov_b32_e32 v85, v81
	ds_load_2addr_b64 v[80:83], v74 offset0:13 offset1:14
	v_pk_add_f32 v[52:53], v[52:53], v[84:85] neg_lo:[0,1] neg_hi:[0,1]
	s_wait_dscnt 0x0
	v_pk_mul_f32 v[84:85], v[80:81], v[72:73] op_sel:[0,1]
	v_pk_fma_f32 v[86:87], v[80:81], v[70:71], v[84:85] op_sel:[0,0,1] op_sel_hi:[1,1,0] neg_lo:[0,0,1] neg_hi:[0,0,1]
	v_pk_fma_f32 v[80:81], v[80:81], v[70:71], v[84:85] op_sel:[0,0,1] op_sel_hi:[1,0,0]
	v_dual_mul_f32 v84, v83, v73 :: v_dual_mov_b32 v80, v83
	s_delay_alu instid0(VALU_DEP_2) | instskip(NEXT) | instid1(VALU_DEP_2)
	v_dual_mov_b32 v87, v81 :: v_dual_mov_b32 v81, v82
	v_pk_fma_f32 v[84:85], v[82:83], v[64:65], v[84:85] op_sel_hi:[1,1,0] neg_lo:[0,0,1] neg_hi:[0,0,1]
	v_mul_f32_e32 v82, v83, v70
	s_delay_alu instid0(VALU_DEP_3) | instskip(NEXT) | instid1(VALU_DEP_2)
	v_pk_add_f32 v[48:49], v[48:49], v[86:87] neg_lo:[0,1] neg_hi:[0,1]
	v_pk_fma_f32 v[80:81], v[80:81], v[64:65], v[82:83] op_sel_hi:[1,1,0]
	s_delay_alu instid0(VALU_DEP_1) | instskip(SKIP_4) | instid1(VALU_DEP_1)
	v_mov_b32_e32 v85, v81
	ds_load_2addr_b64 v[80:83], v74 offset0:15 offset1:16
	v_pk_add_f32 v[50:51], v[50:51], v[84:85] neg_lo:[0,1] neg_hi:[0,1]
	s_wait_dscnt 0x0
	v_pk_mul_f32 v[84:85], v[80:81], v[72:73] op_sel:[0,1]
	v_pk_fma_f32 v[86:87], v[80:81], v[70:71], v[84:85] op_sel:[0,0,1] op_sel_hi:[1,1,0] neg_lo:[0,0,1] neg_hi:[0,0,1]
	v_pk_fma_f32 v[80:81], v[80:81], v[70:71], v[84:85] op_sel:[0,0,1] op_sel_hi:[1,0,0]
	s_delay_alu instid0(VALU_DEP_1) | instskip(SKIP_1) | instid1(VALU_DEP_1)
	v_mov_b32_e32 v87, v81
	v_pk_mul_f32 v[80:81], v[82:83], v[72:73] op_sel:[0,1]
	v_pk_fma_f32 v[84:85], v[82:83], v[70:71], v[80:81] op_sel:[0,0,1] op_sel_hi:[1,1,0] neg_lo:[0,0,1] neg_hi:[0,0,1]
	v_pk_fma_f32 v[80:81], v[82:83], v[70:71], v[80:81] op_sel:[0,0,1] op_sel_hi:[1,0,0]
	s_delay_alu instid0(VALU_DEP_1)
	v_mov_b32_e32 v85, v81
	ds_load_2addr_b64 v[80:83], v74 offset0:17 offset1:18
	v_pk_add_f32 v[14:15], v[14:15], v[86:87] neg_lo:[0,1] neg_hi:[0,1]
	v_pk_add_f32 v[58:59], v[58:59], v[84:85] neg_lo:[0,1] neg_hi:[0,1]
	s_wait_dscnt 0x0
	v_pk_mul_f32 v[84:85], v[80:81], v[72:73] op_sel:[0,1]
	s_delay_alu instid0(VALU_DEP_1) | instskip(SKIP_1) | instid1(VALU_DEP_1)
	v_pk_fma_f32 v[86:87], v[80:81], v[70:71], v[84:85] op_sel:[0,0,1] op_sel_hi:[1,1,0] neg_lo:[0,0,1] neg_hi:[0,0,1]
	v_pk_fma_f32 v[80:81], v[80:81], v[70:71], v[84:85] op_sel:[0,0,1] op_sel_hi:[1,0,0]
	v_mov_b32_e32 v87, v81
	v_pk_mul_f32 v[80:81], v[82:83], v[72:73] op_sel:[0,1]
	s_delay_alu instid0(VALU_DEP_1) | instskip(SKIP_1) | instid1(VALU_DEP_1)
	v_pk_fma_f32 v[84:85], v[82:83], v[70:71], v[80:81] op_sel:[0,0,1] op_sel_hi:[1,1,0] neg_lo:[0,0,1] neg_hi:[0,0,1]
	v_pk_fma_f32 v[80:81], v[82:83], v[70:71], v[80:81] op_sel:[0,0,1] op_sel_hi:[1,0,0]
	v_mov_b32_e32 v85, v81
	ds_load_2addr_b64 v[80:83], v74 offset0:19 offset1:20
	v_pk_add_f32 v[54:55], v[54:55], v[86:87] neg_lo:[0,1] neg_hi:[0,1]
	v_pk_add_f32 v[56:57], v[56:57], v[84:85] neg_lo:[0,1] neg_hi:[0,1]
	s_wait_dscnt 0x0
	v_dual_mul_f32 v84, v81, v73 :: v_dual_mul_f32 v86, v81, v70
	s_delay_alu instid0(VALU_DEP_1) | instskip(NEXT) | instid1(VALU_DEP_2)
	v_pk_fma_f32 v[84:85], v[80:81], v[64:65], v[84:85] op_sel_hi:[1,1,0] neg_lo:[0,0,1] neg_hi:[0,0,1]
	v_pk_fma_f32 v[80:81], v[80:81], v[64:65], v[86:87] op_sel:[1,0,0] op_sel_hi:[0,1,0]
	s_delay_alu instid0(VALU_DEP_1) | instskip(SKIP_1) | instid1(VALU_DEP_2)
	v_mov_b32_e32 v85, v81
	v_pk_mul_f32 v[80:81], v[82:83], v[72:73] op_sel:[0,1]
	v_pk_add_f32 v[16:17], v[16:17], v[84:85] neg_lo:[0,1] neg_hi:[0,1]
	s_delay_alu instid0(VALU_DEP_2) | instskip(SKIP_1) | instid1(VALU_DEP_1)
	v_pk_fma_f32 v[84:85], v[82:83], v[70:71], v[80:81] op_sel:[0,0,1] op_sel_hi:[1,1,0] neg_lo:[0,0,1] neg_hi:[0,0,1]
	v_pk_fma_f32 v[80:81], v[82:83], v[70:71], v[80:81] op_sel:[0,0,1] op_sel_hi:[1,0,0]
	v_mov_b32_e32 v85, v81
	ds_load_2addr_b64 v[80:83], v74 offset0:21 offset1:22
	v_pk_add_f32 v[46:47], v[46:47], v[84:85] neg_lo:[0,1] neg_hi:[0,1]
	s_wait_dscnt 0x0
	v_pk_mul_f32 v[84:85], v[80:81], v[72:73] op_sel:[0,1]
	s_delay_alu instid0(VALU_DEP_1) | instskip(SKIP_1) | instid1(VALU_DEP_1)
	v_pk_fma_f32 v[86:87], v[80:81], v[70:71], v[84:85] op_sel:[0,0,1] op_sel_hi:[1,1,0] neg_lo:[0,0,1] neg_hi:[0,0,1]
	v_pk_fma_f32 v[80:81], v[80:81], v[70:71], v[84:85] op_sel:[0,0,1] op_sel_hi:[1,0,0]
	v_mov_b32_e32 v87, v81
	v_pk_mul_f32 v[80:81], v[82:83], v[72:73] op_sel:[0,1]
	s_delay_alu instid0(VALU_DEP_2) | instskip(NEXT) | instid1(VALU_DEP_2)
	v_pk_add_f32 v[42:43], v[42:43], v[86:87] neg_lo:[0,1] neg_hi:[0,1]
	v_pk_fma_f32 v[84:85], v[82:83], v[70:71], v[80:81] op_sel:[0,0,1] op_sel_hi:[1,1,0] neg_lo:[0,0,1] neg_hi:[0,0,1]
	v_pk_fma_f32 v[80:81], v[82:83], v[70:71], v[80:81] op_sel:[0,0,1] op_sel_hi:[1,0,0]
	s_delay_alu instid0(VALU_DEP_1) | instskip(SKIP_4) | instid1(VALU_DEP_1)
	v_mov_b32_e32 v85, v81
	ds_load_2addr_b64 v[80:83], v74 offset0:23 offset1:24
	v_pk_add_f32 v[44:45], v[44:45], v[84:85] neg_lo:[0,1] neg_hi:[0,1]
	s_wait_dscnt 0x0
	v_pk_mul_f32 v[84:85], v[80:81], v[72:73] op_sel:[0,1]
	v_pk_fma_f32 v[86:87], v[80:81], v[70:71], v[84:85] op_sel:[0,0,1] op_sel_hi:[1,1,0] neg_lo:[0,0,1] neg_hi:[0,0,1]
	v_pk_fma_f32 v[80:81], v[80:81], v[70:71], v[84:85] op_sel:[0,0,1] op_sel_hi:[1,0,0]
	v_dual_mul_f32 v84, v83, v73 :: v_dual_mov_b32 v80, v83
	s_delay_alu instid0(VALU_DEP_2) | instskip(NEXT) | instid1(VALU_DEP_2)
	v_dual_mov_b32 v87, v81 :: v_dual_mov_b32 v81, v82
	v_pk_fma_f32 v[84:85], v[82:83], v[64:65], v[84:85] op_sel_hi:[1,1,0] neg_lo:[0,0,1] neg_hi:[0,0,1]
	v_mul_f32_e32 v82, v83, v70
	s_delay_alu instid0(VALU_DEP_3) | instskip(NEXT) | instid1(VALU_DEP_2)
	v_pk_add_f32 v[10:11], v[10:11], v[86:87] neg_lo:[0,1] neg_hi:[0,1]
	v_pk_fma_f32 v[80:81], v[80:81], v[64:65], v[82:83] op_sel_hi:[1,1,0]
	s_delay_alu instid0(VALU_DEP_1) | instskip(SKIP_4) | instid1(VALU_DEP_1)
	v_mov_b32_e32 v85, v81
	ds_load_2addr_b64 v[80:83], v74 offset0:25 offset1:26
	v_pk_add_f32 v[28:29], v[28:29], v[84:85] neg_lo:[0,1] neg_hi:[0,1]
	s_wait_dscnt 0x0
	v_pk_mul_f32 v[84:85], v[80:81], v[72:73] op_sel:[0,1]
	v_pk_fma_f32 v[86:87], v[80:81], v[70:71], v[84:85] op_sel:[0,0,1] op_sel_hi:[1,1,0] neg_lo:[0,0,1] neg_hi:[0,0,1]
	v_pk_fma_f32 v[80:81], v[80:81], v[70:71], v[84:85] op_sel:[0,0,1] op_sel_hi:[1,0,0]
	s_delay_alu instid0(VALU_DEP_1) | instskip(SKIP_1) | instid1(VALU_DEP_1)
	v_mov_b32_e32 v87, v81
	v_pk_mul_f32 v[80:81], v[82:83], v[72:73] op_sel:[0,1]
	v_pk_fma_f32 v[84:85], v[82:83], v[70:71], v[80:81] op_sel:[0,0,1] op_sel_hi:[1,1,0] neg_lo:[0,0,1] neg_hi:[0,0,1]
	v_pk_fma_f32 v[80:81], v[82:83], v[70:71], v[80:81] op_sel:[0,0,1] op_sel_hi:[1,0,0]
	s_delay_alu instid0(VALU_DEP_1)
	v_mov_b32_e32 v85, v81
	ds_load_2addr_b64 v[80:83], v74 offset0:27 offset1:28
	v_pk_add_f32 v[24:25], v[24:25], v[86:87] neg_lo:[0,1] neg_hi:[0,1]
	v_pk_add_f32 v[26:27], v[26:27], v[84:85] neg_lo:[0,1] neg_hi:[0,1]
	s_wait_dscnt 0x0
	v_pk_mul_f32 v[84:85], v[80:81], v[72:73] op_sel:[0,1]
	s_delay_alu instid0(VALU_DEP_1) | instskip(SKIP_1) | instid1(VALU_DEP_1)
	v_pk_fma_f32 v[86:87], v[80:81], v[70:71], v[84:85] op_sel:[0,0,1] op_sel_hi:[1,1,0] neg_lo:[0,0,1] neg_hi:[0,0,1]
	v_pk_fma_f32 v[80:81], v[80:81], v[70:71], v[84:85] op_sel:[0,0,1] op_sel_hi:[1,0,0]
	v_mov_b32_e32 v87, v81
	v_pk_mul_f32 v[80:81], v[82:83], v[72:73] op_sel:[0,1]
	s_delay_alu instid0(VALU_DEP_1) | instskip(SKIP_1) | instid1(VALU_DEP_1)
	v_pk_fma_f32 v[84:85], v[82:83], v[70:71], v[80:81] op_sel:[0,0,1] op_sel_hi:[1,1,0] neg_lo:[0,0,1] neg_hi:[0,0,1]
	v_pk_fma_f32 v[80:81], v[82:83], v[70:71], v[80:81] op_sel:[0,0,1] op_sel_hi:[1,0,0]
	v_mov_b32_e32 v85, v81
	ds_load_2addr_b64 v[80:83], v74 offset0:29 offset1:30
	v_pk_add_f32 v[12:13], v[12:13], v[86:87] neg_lo:[0,1] neg_hi:[0,1]
	v_pk_add_f32 v[22:23], v[22:23], v[84:85] neg_lo:[0,1] neg_hi:[0,1]
	s_wait_dscnt 0x0
	v_dual_mul_f32 v84, v81, v73 :: v_dual_mul_f32 v86, v81, v70
	s_delay_alu instid0(VALU_DEP_1) | instskip(NEXT) | instid1(VALU_DEP_2)
	v_pk_fma_f32 v[84:85], v[80:81], v[64:65], v[84:85] op_sel_hi:[1,1,0] neg_lo:[0,0,1] neg_hi:[0,0,1]
	v_pk_fma_f32 v[80:81], v[80:81], v[64:65], v[86:87] op_sel:[1,0,0] op_sel_hi:[0,1,0]
	s_delay_alu instid0(VALU_DEP_1) | instskip(SKIP_1) | instid1(VALU_DEP_2)
	v_mov_b32_e32 v85, v81
	v_pk_mul_f32 v[80:81], v[82:83], v[72:73] op_sel:[0,1]
	v_pk_add_f32 v[20:21], v[20:21], v[84:85] neg_lo:[0,1] neg_hi:[0,1]
	s_delay_alu instid0(VALU_DEP_2) | instskip(SKIP_1) | instid1(VALU_DEP_1)
	v_pk_fma_f32 v[84:85], v[82:83], v[70:71], v[80:81] op_sel:[0,0,1] op_sel_hi:[1,1,0] neg_lo:[0,0,1] neg_hi:[0,0,1]
	v_pk_fma_f32 v[80:81], v[82:83], v[70:71], v[80:81] op_sel:[0,0,1] op_sel_hi:[1,0,0]
	v_mov_b32_e32 v85, v81
	ds_load_b64 v[80:81], v74 offset:248
	v_pk_add_f32 v[18:19], v[18:19], v[84:85] neg_lo:[0,1] neg_hi:[0,1]
	s_wait_dscnt 0x0
	v_pk_mul_f32 v[72:73], v[80:81], v[72:73] op_sel:[0,1]
	s_delay_alu instid0(VALU_DEP_1) | instskip(SKIP_1) | instid1(VALU_DEP_1)
	v_pk_fma_f32 v[82:83], v[80:81], v[70:71], v[72:73] op_sel:[0,0,1] op_sel_hi:[1,1,0] neg_lo:[0,0,1] neg_hi:[0,0,1]
	v_pk_fma_f32 v[70:71], v[80:81], v[70:71], v[72:73] op_sel:[0,0,1] op_sel_hi:[1,0,0]
	v_mov_b32_e32 v83, v71
	s_delay_alu instid0(VALU_DEP_1)
	v_pk_add_f32 v[68:69], v[68:69], v[82:83] neg_lo:[0,1] neg_hi:[0,1]
.LBB62_22:
	s_or_b32 exec_lo, exec_lo, s0
	v_lshl_add_u32 v70, v78, 3, v74
	s_barrier_signal -1
	s_barrier_wait -1
	ds_store_b64 v70, v[66:67]
	s_wait_dscnt 0x0
	s_barrier_signal -1
	s_barrier_wait -1
	ds_load_b64 v[72:73], v74 offset:8
	v_mov_b32_e32 v70, 1
	s_cmp_lt_i32 s18, 3
	s_cbranch_scc1 .LBB62_25
; %bb.23:
	v_add3_u32 v71, v75, 0, 16
	v_mov_b32_e32 v70, 1
	s_mov_b32 s0, 2
.LBB62_24:                              ; =>This Inner Loop Header: Depth=1
	ds_load_b64 v[80:81], v71
	s_wait_dscnt 0x1
	v_cmp_gt_f32_e32 vcc_lo, 0, v72
	v_cndmask_b32_e64 v82, v72, -v72, vcc_lo
	v_cmp_gt_f32_e32 vcc_lo, 0, v73
	v_cndmask_b32_e64 v84, v73, -v73, vcc_lo
	s_wait_dscnt 0x0
	v_cmp_gt_f32_e32 vcc_lo, 0, v80
	v_cndmask_b32_e64 v83, v80, -v80, vcc_lo
	v_cmp_gt_f32_e32 vcc_lo, 0, v81
	v_cndmask_b32_e64 v85, v81, -v81, vcc_lo
	s_delay_alu instid0(VALU_DEP_1) | instskip(NEXT) | instid1(VALU_DEP_1)
	v_pk_add_f32 v[82:83], v[82:83], v[84:85]
	v_cmp_lt_f32_e32 vcc_lo, v82, v83
	v_dual_add_nc_u32 v71, 8, v71 :: v_dual_cndmask_b32 v73, v73, v81, vcc_lo
	v_cndmask_b32_e32 v72, v72, v80, vcc_lo
	v_cndmask_b32_e64 v70, v70, s0, vcc_lo
	s_add_co_i32 s0, s0, 1
	s_delay_alu instid0(SALU_CYCLE_1)
	s_cmp_lg_u32 s18, s0
	s_cbranch_scc1 .LBB62_24
.LBB62_25:
	s_wait_dscnt 0x0
	v_cmp_neq_f32_e32 vcc_lo, 0, v72
	v_cmp_neq_f32_e64 s0, 0, v73
	s_or_b32 s1, vcc_lo, s0
	s_delay_alu instid0(SALU_CYCLE_1)
	s_and_saveexec_b32 s0, s1
	s_cbranch_execz .LBB62_31
; %bb.26:
	v_cmp_ngt_f32_e64 s1, |v72|, |v73|
	s_and_saveexec_b32 s12, s1
	s_delay_alu instid0(SALU_CYCLE_1)
	s_xor_b32 s1, exec_lo, s12
	s_cbranch_execz .LBB62_28
; %bb.27:
	v_div_scale_f32 v71, null, v73, v73, v72
	v_div_scale_f32 v81, vcc_lo, v72, v73, v72
	s_delay_alu instid0(VALU_DEP_2) | instskip(SKIP_1) | instid1(TRANS32_DEP_1)
	v_rcp_f32_e32 v76, v71
	v_nop
	v_fma_f32 v80, -v71, v76, 1.0
	s_delay_alu instid0(VALU_DEP_1) | instskip(NEXT) | instid1(VALU_DEP_1)
	v_fmac_f32_e32 v76, v80, v76
	v_mul_f32_e32 v80, v81, v76
	s_delay_alu instid0(VALU_DEP_1) | instskip(NEXT) | instid1(VALU_DEP_1)
	v_fma_f32 v82, -v71, v80, v81
	v_fmac_f32_e32 v80, v82, v76
	s_delay_alu instid0(VALU_DEP_1) | instskip(NEXT) | instid1(VALU_DEP_1)
	v_fma_f32 v71, -v71, v80, v81
	v_div_fmas_f32 v71, v71, v76, v80
	s_delay_alu instid0(VALU_DEP_1) | instskip(NEXT) | instid1(VALU_DEP_1)
	v_div_fixup_f32 v71, v71, v73, v72
	v_fmac_f32_e32 v73, v72, v71
	s_delay_alu instid0(VALU_DEP_1) | instskip(SKIP_1) | instid1(VALU_DEP_2)
	v_div_scale_f32 v72, null, v73, v73, 1.0
	v_div_scale_f32 v81, vcc_lo, 1.0, v73, 1.0
	v_rcp_f32_e32 v76, v72
	v_nop
	s_delay_alu instid0(TRANS32_DEP_1) | instskip(NEXT) | instid1(VALU_DEP_1)
	v_fma_f32 v80, -v72, v76, 1.0
	v_fmac_f32_e32 v76, v80, v76
	s_delay_alu instid0(VALU_DEP_1) | instskip(NEXT) | instid1(VALU_DEP_1)
	v_mul_f32_e32 v80, v81, v76
	v_fma_f32 v82, -v72, v80, v81
	s_delay_alu instid0(VALU_DEP_1) | instskip(NEXT) | instid1(VALU_DEP_1)
	v_fmac_f32_e32 v80, v82, v76
	v_fma_f32 v72, -v72, v80, v81
	s_delay_alu instid0(VALU_DEP_1) | instskip(NEXT) | instid1(VALU_DEP_1)
	v_div_fmas_f32 v72, v72, v76, v80
	v_div_fixup_f32 v73, v72, v73, 1.0
	s_delay_alu instid0(VALU_DEP_1)
	v_mul_f32_e32 v72, v71, v73
	v_xor_b32_e32 v73, 0x80000000, v73
.LBB62_28:
	s_and_not1_saveexec_b32 s1, s1
	s_cbranch_execz .LBB62_30
; %bb.29:
	s_delay_alu instid0(VALU_DEP_1) | instskip(SKIP_1) | instid1(VALU_DEP_2)
	v_div_scale_f32 v71, null, v72, v72, v73
	v_div_scale_f32 v81, vcc_lo, v73, v72, v73
	v_rcp_f32_e32 v76, v71
	v_nop
	s_delay_alu instid0(TRANS32_DEP_1) | instskip(NEXT) | instid1(VALU_DEP_1)
	v_fma_f32 v80, -v71, v76, 1.0
	v_fmac_f32_e32 v76, v80, v76
	s_delay_alu instid0(VALU_DEP_1) | instskip(NEXT) | instid1(VALU_DEP_1)
	v_mul_f32_e32 v80, v81, v76
	v_fma_f32 v82, -v71, v80, v81
	s_delay_alu instid0(VALU_DEP_1) | instskip(NEXT) | instid1(VALU_DEP_1)
	v_fmac_f32_e32 v80, v82, v76
	v_fma_f32 v71, -v71, v80, v81
	s_delay_alu instid0(VALU_DEP_1) | instskip(NEXT) | instid1(VALU_DEP_1)
	v_div_fmas_f32 v71, v71, v76, v80
	v_div_fixup_f32 v71, v71, v72, v73
	s_delay_alu instid0(VALU_DEP_1) | instskip(NEXT) | instid1(VALU_DEP_1)
	v_fmac_f32_e32 v72, v73, v71
	v_div_scale_f32 v73, null, v72, v72, 1.0
	s_delay_alu instid0(VALU_DEP_1) | instskip(SKIP_1) | instid1(TRANS32_DEP_1)
	v_rcp_f32_e32 v76, v73
	v_nop
	v_fma_f32 v80, -v73, v76, 1.0
	s_delay_alu instid0(VALU_DEP_1) | instskip(SKIP_1) | instid1(VALU_DEP_1)
	v_fmac_f32_e32 v76, v80, v76
	v_div_scale_f32 v80, vcc_lo, 1.0, v72, 1.0
	v_mul_f32_e32 v81, v80, v76
	s_delay_alu instid0(VALU_DEP_1) | instskip(NEXT) | instid1(VALU_DEP_1)
	v_fma_f32 v82, -v73, v81, v80
	v_fmac_f32_e32 v81, v82, v76
	s_delay_alu instid0(VALU_DEP_1) | instskip(NEXT) | instid1(VALU_DEP_1)
	v_fma_f32 v73, -v73, v81, v80
	v_div_fmas_f32 v73, v73, v76, v81
	s_delay_alu instid0(VALU_DEP_1) | instskip(NEXT) | instid1(VALU_DEP_1)
	v_div_fixup_f32 v72, v73, v72, 1.0
	v_mul_f32_e64 v73, v71, -v72
.LBB62_30:
	s_or_b32 exec_lo, exec_lo, s1
	v_mov_b32_e32 v76, v79
.LBB62_31:
	s_or_b32 exec_lo, exec_lo, s0
	s_delay_alu instid0(SALU_CYCLE_1)
	s_mov_b32 s0, exec_lo
	v_cmpx_ne_u32_e64 v78, v70
	s_xor_b32 s0, exec_lo, s0
	s_cbranch_execz .LBB62_37
; %bb.32:
	s_mov_b32 s1, exec_lo
	v_cmpx_eq_u32_e32 1, v78
	s_cbranch_execz .LBB62_36
; %bb.33:
	v_cmp_ne_u32_e32 vcc_lo, 1, v70
	s_xor_b32 s12, s16, -1
	s_delay_alu instid0(SALU_CYCLE_1) | instskip(NEXT) | instid1(SALU_CYCLE_1)
	s_and_b32 s13, s12, vcc_lo
	s_and_saveexec_b32 s12, s13
	s_cbranch_execz .LBB62_35
; %bb.34:
	v_ashrrev_i32_e32 v71, 31, v70
	s_delay_alu instid0(VALU_DEP_1)
	v_lshl_add_u64 v[78:79], v[70:71], 2, v[4:5]
	s_clause 0x1
	global_load_b32 v71, v[78:79], off
	global_load_b32 v77, v[4:5], off offset:4
	s_wait_loadcnt 0x1
	global_store_b32 v[4:5], v71, off offset:4
	s_wait_loadcnt 0x0
	global_store_b32 v[78:79], v77, off
.LBB62_35:
	s_wait_xcnt 0x0
	s_or_b32 exec_lo, exec_lo, s12
	v_dual_mov_b32 v78, v70 :: v_dual_mov_b32 v77, v70
.LBB62_36:
	s_or_b32 exec_lo, exec_lo, s1
.LBB62_37:
	s_and_not1_saveexec_b32 s0, s0
	s_cbranch_execz .LBB62_39
; %bb.38:
	v_dual_mov_b32 v70, v62 :: v_dual_mov_b32 v71, v63
	v_dual_mov_b32 v78, v60 :: v_dual_mov_b32 v79, v61
	ds_store_2addr_b64 v74, v[70:71], v[78:79] offset0:2 offset1:3
	v_dual_mov_b32 v70, v34 :: v_dual_mov_b32 v71, v35
	v_dual_mov_b32 v78, v30 :: v_dual_mov_b32 v79, v31
	ds_store_2addr_b64 v74, v[70:71], v[78:79] offset0:4 offset1:5
	;; [unrolled: 3-line block ×14, first 2 shown]
	v_dual_mov_b32 v70, v18 :: v_dual_mov_b32 v71, v19
	v_mov_b32_e32 v78, 1
	ds_store_2addr_b64 v74, v[70:71], v[68:69] offset0:30 offset1:31
.LBB62_39:
	s_or_b32 exec_lo, exec_lo, s0
	s_delay_alu instid0(SALU_CYCLE_1)
	s_mov_b32 s0, exec_lo
	s_wait_storecnt_dscnt 0x0
	s_barrier_signal -1
	s_barrier_wait -1
	v_cmpx_lt_i32_e32 1, v78
	s_cbranch_execz .LBB62_41
; %bb.40:
	v_pk_mul_f32 v[80:81], v[72:73], v[66:67] op_sel:[1,1] op_sel_hi:[0,1]
	s_delay_alu instid0(VALU_DEP_1)
	v_pk_fma_f32 v[70:71], v[72:73], v[66:67], v[80:81] op_sel_hi:[1,0,1] neg_lo:[0,0,1] neg_hi:[0,0,1]
	v_pk_fma_f32 v[72:73], v[72:73], v[66:67], v[80:81] op_sel_hi:[1,0,1]
	ds_load_2addr_b64 v[80:83], v74 offset0:2 offset1:3
	v_dual_mov_b32 v66, v70 :: v_dual_mov_b32 v67, v73
	s_wait_dscnt 0x0
	v_pk_mul_f32 v[84:85], v[80:81], v[72:73] op_sel:[0,1]
	s_delay_alu instid0(VALU_DEP_1) | instskip(SKIP_1) | instid1(VALU_DEP_1)
	v_pk_fma_f32 v[86:87], v[80:81], v[70:71], v[84:85] op_sel:[0,0,1] op_sel_hi:[1,1,0] neg_lo:[0,0,1] neg_hi:[0,0,1]
	v_pk_fma_f32 v[80:81], v[80:81], v[70:71], v[84:85] op_sel:[0,0,1] op_sel_hi:[1,0,0]
	v_mov_b32_e32 v87, v81
	v_pk_mul_f32 v[80:81], v[82:83], v[72:73] op_sel:[0,1]
	s_delay_alu instid0(VALU_DEP_1) | instskip(SKIP_1) | instid1(VALU_DEP_1)
	v_pk_fma_f32 v[84:85], v[82:83], v[70:71], v[80:81] op_sel:[0,0,1] op_sel_hi:[1,1,0] neg_lo:[0,0,1] neg_hi:[0,0,1]
	v_pk_fma_f32 v[80:81], v[82:83], v[70:71], v[80:81] op_sel:[0,0,1] op_sel_hi:[1,0,0]
	v_mov_b32_e32 v85, v81
	ds_load_2addr_b64 v[80:83], v74 offset0:4 offset1:5
	v_pk_add_f32 v[62:63], v[62:63], v[86:87] neg_lo:[0,1] neg_hi:[0,1]
	v_pk_add_f32 v[60:61], v[60:61], v[84:85] neg_lo:[0,1] neg_hi:[0,1]
	s_wait_dscnt 0x0
	v_pk_mul_f32 v[84:85], v[80:81], v[72:73] op_sel:[0,1]
	s_delay_alu instid0(VALU_DEP_1) | instskip(SKIP_2) | instid1(VALU_DEP_2)
	v_pk_fma_f32 v[86:87], v[80:81], v[70:71], v[84:85] op_sel:[0,0,1] op_sel_hi:[1,1,0] neg_lo:[0,0,1] neg_hi:[0,0,1]
	v_pk_fma_f32 v[80:81], v[80:81], v[70:71], v[84:85] op_sel:[0,0,1] op_sel_hi:[1,0,0]
	v_dual_mul_f32 v84, v83, v73 :: v_dual_mov_b32 v80, v83
	v_dual_mov_b32 v87, v81 :: v_dual_mov_b32 v81, v82
	s_delay_alu instid0(VALU_DEP_2) | instskip(SKIP_1) | instid1(VALU_DEP_3)
	v_pk_fma_f32 v[84:85], v[82:83], v[66:67], v[84:85] op_sel_hi:[1,1,0] neg_lo:[0,0,1] neg_hi:[0,0,1]
	v_mul_f32_e32 v82, v83, v70
	v_pk_add_f32 v[34:35], v[34:35], v[86:87] neg_lo:[0,1] neg_hi:[0,1]
	s_delay_alu instid0(VALU_DEP_2) | instskip(NEXT) | instid1(VALU_DEP_1)
	v_pk_fma_f32 v[80:81], v[80:81], v[66:67], v[82:83] op_sel_hi:[1,1,0]
	v_mov_b32_e32 v85, v81
	ds_load_2addr_b64 v[80:83], v74 offset0:6 offset1:7
	v_pk_add_f32 v[30:31], v[30:31], v[84:85] neg_lo:[0,1] neg_hi:[0,1]
	s_wait_dscnt 0x0
	v_pk_mul_f32 v[84:85], v[80:81], v[72:73] op_sel:[0,1]
	s_delay_alu instid0(VALU_DEP_1) | instskip(SKIP_1) | instid1(VALU_DEP_1)
	v_pk_fma_f32 v[86:87], v[80:81], v[70:71], v[84:85] op_sel:[0,0,1] op_sel_hi:[1,1,0] neg_lo:[0,0,1] neg_hi:[0,0,1]
	v_pk_fma_f32 v[80:81], v[80:81], v[70:71], v[84:85] op_sel:[0,0,1] op_sel_hi:[1,0,0]
	v_mov_b32_e32 v87, v81
	v_pk_mul_f32 v[80:81], v[82:83], v[72:73] op_sel:[0,1]
	s_delay_alu instid0(VALU_DEP_1) | instskip(SKIP_1) | instid1(VALU_DEP_1)
	v_pk_fma_f32 v[84:85], v[82:83], v[70:71], v[80:81] op_sel:[0,0,1] op_sel_hi:[1,1,0] neg_lo:[0,0,1] neg_hi:[0,0,1]
	v_pk_fma_f32 v[80:81], v[82:83], v[70:71], v[80:81] op_sel:[0,0,1] op_sel_hi:[1,0,0]
	v_mov_b32_e32 v85, v81
	ds_load_2addr_b64 v[80:83], v74 offset0:8 offset1:9
	v_pk_add_f32 v[32:33], v[32:33], v[86:87] neg_lo:[0,1] neg_hi:[0,1]
	v_pk_add_f32 v[6:7], v[6:7], v[84:85] neg_lo:[0,1] neg_hi:[0,1]
	s_wait_dscnt 0x0
	v_pk_mul_f32 v[84:85], v[80:81], v[72:73] op_sel:[0,1]
	s_delay_alu instid0(VALU_DEP_1) | instskip(SKIP_1) | instid1(VALU_DEP_1)
	v_pk_fma_f32 v[86:87], v[80:81], v[70:71], v[84:85] op_sel:[0,0,1] op_sel_hi:[1,1,0] neg_lo:[0,0,1] neg_hi:[0,0,1]
	v_pk_fma_f32 v[80:81], v[80:81], v[70:71], v[84:85] op_sel:[0,0,1] op_sel_hi:[1,0,0]
	v_mov_b32_e32 v87, v81
	v_pk_mul_f32 v[80:81], v[82:83], v[72:73] op_sel:[0,1]
	s_delay_alu instid0(VALU_DEP_1) | instskip(SKIP_1) | instid1(VALU_DEP_1)
	v_pk_fma_f32 v[84:85], v[82:83], v[70:71], v[80:81] op_sel:[0,0,1] op_sel_hi:[1,1,0] neg_lo:[0,0,1] neg_hi:[0,0,1]
	v_pk_fma_f32 v[80:81], v[82:83], v[70:71], v[80:81] op_sel:[0,0,1] op_sel_hi:[1,0,0]
	v_mov_b32_e32 v85, v81
	ds_load_2addr_b64 v[80:83], v74 offset0:10 offset1:11
	v_pk_add_f32 v[40:41], v[40:41], v[86:87] neg_lo:[0,1] neg_hi:[0,1]
	v_pk_add_f32 v[36:37], v[36:37], v[84:85] neg_lo:[0,1] neg_hi:[0,1]
	s_wait_dscnt 0x0
	v_dual_mul_f32 v84, v81, v73 :: v_dual_mul_f32 v86, v81, v70
	s_delay_alu instid0(VALU_DEP_1) | instskip(NEXT) | instid1(VALU_DEP_2)
	v_pk_fma_f32 v[84:85], v[80:81], v[66:67], v[84:85] op_sel_hi:[1,1,0] neg_lo:[0,0,1] neg_hi:[0,0,1]
	v_pk_fma_f32 v[80:81], v[80:81], v[66:67], v[86:87] op_sel:[1,0,0] op_sel_hi:[0,1,0]
	s_delay_alu instid0(VALU_DEP_1) | instskip(SKIP_1) | instid1(VALU_DEP_2)
	v_mov_b32_e32 v85, v81
	v_pk_mul_f32 v[80:81], v[82:83], v[72:73] op_sel:[0,1]
	v_pk_add_f32 v[38:39], v[38:39], v[84:85] neg_lo:[0,1] neg_hi:[0,1]
	s_delay_alu instid0(VALU_DEP_2) | instskip(SKIP_1) | instid1(VALU_DEP_1)
	v_pk_fma_f32 v[84:85], v[82:83], v[70:71], v[80:81] op_sel:[0,0,1] op_sel_hi:[1,1,0] neg_lo:[0,0,1] neg_hi:[0,0,1]
	v_pk_fma_f32 v[80:81], v[82:83], v[70:71], v[80:81] op_sel:[0,0,1] op_sel_hi:[1,0,0]
	v_mov_b32_e32 v85, v81
	ds_load_2addr_b64 v[80:83], v74 offset0:12 offset1:13
	v_pk_add_f32 v[8:9], v[8:9], v[84:85] neg_lo:[0,1] neg_hi:[0,1]
	s_wait_dscnt 0x0
	v_pk_mul_f32 v[84:85], v[80:81], v[72:73] op_sel:[0,1]
	s_delay_alu instid0(VALU_DEP_1) | instskip(SKIP_1) | instid1(VALU_DEP_1)
	v_pk_fma_f32 v[86:87], v[80:81], v[70:71], v[84:85] op_sel:[0,0,1] op_sel_hi:[1,1,0] neg_lo:[0,0,1] neg_hi:[0,0,1]
	v_pk_fma_f32 v[80:81], v[80:81], v[70:71], v[84:85] op_sel:[0,0,1] op_sel_hi:[1,0,0]
	v_mov_b32_e32 v87, v81
	v_pk_mul_f32 v[80:81], v[82:83], v[72:73] op_sel:[0,1]
	s_delay_alu instid0(VALU_DEP_2) | instskip(NEXT) | instid1(VALU_DEP_2)
	v_pk_add_f32 v[52:53], v[52:53], v[86:87] neg_lo:[0,1] neg_hi:[0,1]
	v_pk_fma_f32 v[84:85], v[82:83], v[70:71], v[80:81] op_sel:[0,0,1] op_sel_hi:[1,1,0] neg_lo:[0,0,1] neg_hi:[0,0,1]
	v_pk_fma_f32 v[80:81], v[82:83], v[70:71], v[80:81] op_sel:[0,0,1] op_sel_hi:[1,0,0]
	s_delay_alu instid0(VALU_DEP_1) | instskip(SKIP_4) | instid1(VALU_DEP_1)
	v_mov_b32_e32 v85, v81
	ds_load_2addr_b64 v[80:83], v74 offset0:14 offset1:15
	v_pk_add_f32 v[48:49], v[48:49], v[84:85] neg_lo:[0,1] neg_hi:[0,1]
	s_wait_dscnt 0x0
	v_pk_mul_f32 v[84:85], v[80:81], v[72:73] op_sel:[0,1]
	v_pk_fma_f32 v[86:87], v[80:81], v[70:71], v[84:85] op_sel:[0,0,1] op_sel_hi:[1,1,0] neg_lo:[0,0,1] neg_hi:[0,0,1]
	v_pk_fma_f32 v[80:81], v[80:81], v[70:71], v[84:85] op_sel:[0,0,1] op_sel_hi:[1,0,0]
	v_dual_mul_f32 v84, v83, v73 :: v_dual_mov_b32 v80, v83
	s_delay_alu instid0(VALU_DEP_2) | instskip(NEXT) | instid1(VALU_DEP_2)
	v_dual_mov_b32 v87, v81 :: v_dual_mov_b32 v81, v82
	v_pk_fma_f32 v[84:85], v[82:83], v[66:67], v[84:85] op_sel_hi:[1,1,0] neg_lo:[0,0,1] neg_hi:[0,0,1]
	v_mul_f32_e32 v82, v83, v70
	s_delay_alu instid0(VALU_DEP_3) | instskip(NEXT) | instid1(VALU_DEP_2)
	v_pk_add_f32 v[50:51], v[50:51], v[86:87] neg_lo:[0,1] neg_hi:[0,1]
	v_pk_fma_f32 v[80:81], v[80:81], v[66:67], v[82:83] op_sel_hi:[1,1,0]
	s_delay_alu instid0(VALU_DEP_1) | instskip(SKIP_4) | instid1(VALU_DEP_1)
	v_mov_b32_e32 v85, v81
	ds_load_2addr_b64 v[80:83], v74 offset0:16 offset1:17
	v_pk_add_f32 v[14:15], v[14:15], v[84:85] neg_lo:[0,1] neg_hi:[0,1]
	s_wait_dscnt 0x0
	v_pk_mul_f32 v[84:85], v[80:81], v[72:73] op_sel:[0,1]
	v_pk_fma_f32 v[86:87], v[80:81], v[70:71], v[84:85] op_sel:[0,0,1] op_sel_hi:[1,1,0] neg_lo:[0,0,1] neg_hi:[0,0,1]
	v_pk_fma_f32 v[80:81], v[80:81], v[70:71], v[84:85] op_sel:[0,0,1] op_sel_hi:[1,0,0]
	s_delay_alu instid0(VALU_DEP_1) | instskip(SKIP_1) | instid1(VALU_DEP_1)
	v_mov_b32_e32 v87, v81
	v_pk_mul_f32 v[80:81], v[82:83], v[72:73] op_sel:[0,1]
	v_pk_fma_f32 v[84:85], v[82:83], v[70:71], v[80:81] op_sel:[0,0,1] op_sel_hi:[1,1,0] neg_lo:[0,0,1] neg_hi:[0,0,1]
	v_pk_fma_f32 v[80:81], v[82:83], v[70:71], v[80:81] op_sel:[0,0,1] op_sel_hi:[1,0,0]
	s_delay_alu instid0(VALU_DEP_1)
	v_mov_b32_e32 v85, v81
	ds_load_2addr_b64 v[80:83], v74 offset0:18 offset1:19
	v_pk_add_f32 v[58:59], v[58:59], v[86:87] neg_lo:[0,1] neg_hi:[0,1]
	v_pk_add_f32 v[54:55], v[54:55], v[84:85] neg_lo:[0,1] neg_hi:[0,1]
	s_wait_dscnt 0x0
	v_pk_mul_f32 v[84:85], v[80:81], v[72:73] op_sel:[0,1]
	s_delay_alu instid0(VALU_DEP_1) | instskip(SKIP_1) | instid1(VALU_DEP_1)
	v_pk_fma_f32 v[86:87], v[80:81], v[70:71], v[84:85] op_sel:[0,0,1] op_sel_hi:[1,1,0] neg_lo:[0,0,1] neg_hi:[0,0,1]
	v_pk_fma_f32 v[80:81], v[80:81], v[70:71], v[84:85] op_sel:[0,0,1] op_sel_hi:[1,0,0]
	v_mov_b32_e32 v87, v81
	v_pk_mul_f32 v[80:81], v[82:83], v[72:73] op_sel:[0,1]
	s_delay_alu instid0(VALU_DEP_1) | instskip(SKIP_1) | instid1(VALU_DEP_1)
	v_pk_fma_f32 v[84:85], v[82:83], v[70:71], v[80:81] op_sel:[0,0,1] op_sel_hi:[1,1,0] neg_lo:[0,0,1] neg_hi:[0,0,1]
	v_pk_fma_f32 v[80:81], v[82:83], v[70:71], v[80:81] op_sel:[0,0,1] op_sel_hi:[1,0,0]
	v_mov_b32_e32 v85, v81
	ds_load_2addr_b64 v[80:83], v74 offset0:20 offset1:21
	v_pk_add_f32 v[56:57], v[56:57], v[86:87] neg_lo:[0,1] neg_hi:[0,1]
	v_pk_add_f32 v[16:17], v[16:17], v[84:85] neg_lo:[0,1] neg_hi:[0,1]
	s_wait_dscnt 0x0
	v_dual_mul_f32 v84, v81, v73 :: v_dual_mul_f32 v86, v81, v70
	s_delay_alu instid0(VALU_DEP_1) | instskip(NEXT) | instid1(VALU_DEP_2)
	v_pk_fma_f32 v[84:85], v[80:81], v[66:67], v[84:85] op_sel_hi:[1,1,0] neg_lo:[0,0,1] neg_hi:[0,0,1]
	v_pk_fma_f32 v[80:81], v[80:81], v[66:67], v[86:87] op_sel:[1,0,0] op_sel_hi:[0,1,0]
	s_delay_alu instid0(VALU_DEP_1) | instskip(SKIP_1) | instid1(VALU_DEP_2)
	v_mov_b32_e32 v85, v81
	v_pk_mul_f32 v[80:81], v[82:83], v[72:73] op_sel:[0,1]
	v_pk_add_f32 v[46:47], v[46:47], v[84:85] neg_lo:[0,1] neg_hi:[0,1]
	s_delay_alu instid0(VALU_DEP_2) | instskip(SKIP_1) | instid1(VALU_DEP_1)
	v_pk_fma_f32 v[84:85], v[82:83], v[70:71], v[80:81] op_sel:[0,0,1] op_sel_hi:[1,1,0] neg_lo:[0,0,1] neg_hi:[0,0,1]
	v_pk_fma_f32 v[80:81], v[82:83], v[70:71], v[80:81] op_sel:[0,0,1] op_sel_hi:[1,0,0]
	v_mov_b32_e32 v85, v81
	ds_load_2addr_b64 v[80:83], v74 offset0:22 offset1:23
	v_pk_add_f32 v[42:43], v[42:43], v[84:85] neg_lo:[0,1] neg_hi:[0,1]
	s_wait_dscnt 0x0
	v_pk_mul_f32 v[84:85], v[80:81], v[72:73] op_sel:[0,1]
	s_delay_alu instid0(VALU_DEP_1) | instskip(SKIP_1) | instid1(VALU_DEP_1)
	v_pk_fma_f32 v[86:87], v[80:81], v[70:71], v[84:85] op_sel:[0,0,1] op_sel_hi:[1,1,0] neg_lo:[0,0,1] neg_hi:[0,0,1]
	v_pk_fma_f32 v[80:81], v[80:81], v[70:71], v[84:85] op_sel:[0,0,1] op_sel_hi:[1,0,0]
	v_mov_b32_e32 v87, v81
	v_pk_mul_f32 v[80:81], v[82:83], v[72:73] op_sel:[0,1]
	s_delay_alu instid0(VALU_DEP_2) | instskip(NEXT) | instid1(VALU_DEP_2)
	v_pk_add_f32 v[44:45], v[44:45], v[86:87] neg_lo:[0,1] neg_hi:[0,1]
	v_pk_fma_f32 v[84:85], v[82:83], v[70:71], v[80:81] op_sel:[0,0,1] op_sel_hi:[1,1,0] neg_lo:[0,0,1] neg_hi:[0,0,1]
	v_pk_fma_f32 v[80:81], v[82:83], v[70:71], v[80:81] op_sel:[0,0,1] op_sel_hi:[1,0,0]
	s_delay_alu instid0(VALU_DEP_1) | instskip(SKIP_4) | instid1(VALU_DEP_1)
	v_mov_b32_e32 v85, v81
	ds_load_2addr_b64 v[80:83], v74 offset0:24 offset1:25
	v_pk_add_f32 v[10:11], v[10:11], v[84:85] neg_lo:[0,1] neg_hi:[0,1]
	s_wait_dscnt 0x0
	v_pk_mul_f32 v[84:85], v[80:81], v[72:73] op_sel:[0,1]
	v_pk_fma_f32 v[86:87], v[80:81], v[70:71], v[84:85] op_sel:[0,0,1] op_sel_hi:[1,1,0] neg_lo:[0,0,1] neg_hi:[0,0,1]
	v_pk_fma_f32 v[80:81], v[80:81], v[70:71], v[84:85] op_sel:[0,0,1] op_sel_hi:[1,0,0]
	v_dual_mul_f32 v84, v83, v73 :: v_dual_mov_b32 v80, v83
	s_delay_alu instid0(VALU_DEP_2) | instskip(NEXT) | instid1(VALU_DEP_2)
	v_dual_mov_b32 v87, v81 :: v_dual_mov_b32 v81, v82
	v_pk_fma_f32 v[84:85], v[82:83], v[66:67], v[84:85] op_sel_hi:[1,1,0] neg_lo:[0,0,1] neg_hi:[0,0,1]
	v_mul_f32_e32 v82, v83, v70
	s_delay_alu instid0(VALU_DEP_3) | instskip(NEXT) | instid1(VALU_DEP_2)
	v_pk_add_f32 v[28:29], v[28:29], v[86:87] neg_lo:[0,1] neg_hi:[0,1]
	v_pk_fma_f32 v[80:81], v[80:81], v[66:67], v[82:83] op_sel_hi:[1,1,0]
	s_delay_alu instid0(VALU_DEP_1) | instskip(SKIP_4) | instid1(VALU_DEP_1)
	v_mov_b32_e32 v85, v81
	ds_load_2addr_b64 v[80:83], v74 offset0:26 offset1:27
	v_pk_add_f32 v[24:25], v[24:25], v[84:85] neg_lo:[0,1] neg_hi:[0,1]
	s_wait_dscnt 0x0
	v_pk_mul_f32 v[84:85], v[80:81], v[72:73] op_sel:[0,1]
	v_pk_fma_f32 v[86:87], v[80:81], v[70:71], v[84:85] op_sel:[0,0,1] op_sel_hi:[1,1,0] neg_lo:[0,0,1] neg_hi:[0,0,1]
	v_pk_fma_f32 v[80:81], v[80:81], v[70:71], v[84:85] op_sel:[0,0,1] op_sel_hi:[1,0,0]
	s_delay_alu instid0(VALU_DEP_1) | instskip(SKIP_1) | instid1(VALU_DEP_1)
	v_mov_b32_e32 v87, v81
	v_pk_mul_f32 v[80:81], v[82:83], v[72:73] op_sel:[0,1]
	v_pk_fma_f32 v[84:85], v[82:83], v[70:71], v[80:81] op_sel:[0,0,1] op_sel_hi:[1,1,0] neg_lo:[0,0,1] neg_hi:[0,0,1]
	v_pk_fma_f32 v[80:81], v[82:83], v[70:71], v[80:81] op_sel:[0,0,1] op_sel_hi:[1,0,0]
	s_delay_alu instid0(VALU_DEP_1)
	v_mov_b32_e32 v85, v81
	ds_load_2addr_b64 v[80:83], v74 offset0:28 offset1:29
	v_pk_add_f32 v[26:27], v[26:27], v[86:87] neg_lo:[0,1] neg_hi:[0,1]
	v_pk_add_f32 v[12:13], v[12:13], v[84:85] neg_lo:[0,1] neg_hi:[0,1]
	s_wait_dscnt 0x0
	v_pk_mul_f32 v[84:85], v[80:81], v[72:73] op_sel:[0,1]
	s_delay_alu instid0(VALU_DEP_1) | instskip(SKIP_1) | instid1(VALU_DEP_1)
	v_pk_fma_f32 v[86:87], v[80:81], v[70:71], v[84:85] op_sel:[0,0,1] op_sel_hi:[1,1,0] neg_lo:[0,0,1] neg_hi:[0,0,1]
	v_pk_fma_f32 v[80:81], v[80:81], v[70:71], v[84:85] op_sel:[0,0,1] op_sel_hi:[1,0,0]
	v_mov_b32_e32 v87, v81
	v_pk_mul_f32 v[80:81], v[82:83], v[72:73] op_sel:[0,1]
	s_delay_alu instid0(VALU_DEP_1) | instskip(SKIP_1) | instid1(VALU_DEP_1)
	v_pk_fma_f32 v[84:85], v[82:83], v[70:71], v[80:81] op_sel:[0,0,1] op_sel_hi:[1,1,0] neg_lo:[0,0,1] neg_hi:[0,0,1]
	v_pk_fma_f32 v[80:81], v[82:83], v[70:71], v[80:81] op_sel:[0,0,1] op_sel_hi:[1,0,0]
	v_mov_b32_e32 v85, v81
	ds_load_2addr_b64 v[80:83], v74 offset0:30 offset1:31
	v_pk_add_f32 v[22:23], v[22:23], v[86:87] neg_lo:[0,1] neg_hi:[0,1]
	v_pk_add_f32 v[20:21], v[20:21], v[84:85] neg_lo:[0,1] neg_hi:[0,1]
	s_wait_dscnt 0x0
	v_mul_f32_e32 v72, v81, v73
	s_delay_alu instid0(VALU_DEP_1) | instskip(SKIP_1) | instid1(VALU_DEP_1)
	v_pk_fma_f32 v[84:85], v[80:81], v[66:67], v[72:73] op_sel_hi:[1,1,0] neg_lo:[0,0,1] neg_hi:[0,0,1]
	v_dual_mul_f32 v72, v81, v70 :: v_dual_mul_f32 v70, v83, v70
	v_pk_fma_f32 v[80:81], v[80:81], v[66:67], v[72:73] op_sel:[1,0,0] op_sel_hi:[0,1,0]
	v_dual_mov_b32 v80, v83 :: v_dual_mul_f32 v72, v83, v73
	s_delay_alu instid0(VALU_DEP_2) | instskip(NEXT) | instid1(VALU_DEP_2)
	v_dual_mov_b32 v85, v81 :: v_dual_mov_b32 v81, v82
	v_pk_fma_f32 v[72:73], v[82:83], v[66:67], v[72:73] op_sel_hi:[1,1,0] neg_lo:[0,0,1] neg_hi:[0,0,1]
	s_delay_alu instid0(VALU_DEP_2) | instskip(NEXT) | instid1(VALU_DEP_3)
	v_pk_add_f32 v[18:19], v[18:19], v[84:85] neg_lo:[0,1] neg_hi:[0,1]
	v_pk_fma_f32 v[70:71], v[80:81], v[66:67], v[70:71] op_sel_hi:[1,1,0]
	s_delay_alu instid0(VALU_DEP_1) | instskip(NEXT) | instid1(VALU_DEP_1)
	v_mov_b32_e32 v73, v71
	v_pk_add_f32 v[68:69], v[68:69], v[72:73] neg_lo:[0,1] neg_hi:[0,1]
.LBB62_41:
	s_or_b32 exec_lo, exec_lo, s0
	v_lshl_add_u32 v70, v78, 3, v74
	s_barrier_signal -1
	s_barrier_wait -1
	ds_store_b64 v70, v[62:63]
	s_wait_dscnt 0x0
	s_barrier_signal -1
	s_barrier_wait -1
	ds_load_b64 v[72:73], v74 offset:16
	v_mov_b32_e32 v70, 2
	s_cmp_lt_i32 s18, 4
	s_mov_b32 s0, 3
	s_cbranch_scc1 .LBB62_44
; %bb.42:
	v_add3_u32 v71, v75, 0, 24
	v_mov_b32_e32 v70, 2
.LBB62_43:                              ; =>This Inner Loop Header: Depth=1
	ds_load_b64 v[80:81], v71
	s_wait_dscnt 0x1
	v_cmp_gt_f32_e32 vcc_lo, 0, v72
	v_cndmask_b32_e64 v82, v72, -v72, vcc_lo
	v_cmp_gt_f32_e32 vcc_lo, 0, v73
	v_cndmask_b32_e64 v84, v73, -v73, vcc_lo
	s_wait_dscnt 0x0
	v_cmp_gt_f32_e32 vcc_lo, 0, v80
	v_cndmask_b32_e64 v83, v80, -v80, vcc_lo
	v_cmp_gt_f32_e32 vcc_lo, 0, v81
	v_cndmask_b32_e64 v85, v81, -v81, vcc_lo
	s_delay_alu instid0(VALU_DEP_1) | instskip(NEXT) | instid1(VALU_DEP_1)
	v_pk_add_f32 v[82:83], v[82:83], v[84:85]
	v_cmp_lt_f32_e32 vcc_lo, v82, v83
	v_dual_add_nc_u32 v71, 8, v71 :: v_dual_cndmask_b32 v73, v73, v81, vcc_lo
	v_cndmask_b32_e32 v72, v72, v80, vcc_lo
	v_cndmask_b32_e64 v70, v70, s0, vcc_lo
	s_add_co_i32 s0, s0, 1
	s_delay_alu instid0(SALU_CYCLE_1)
	s_cmp_lg_u32 s18, s0
	s_cbranch_scc1 .LBB62_43
.LBB62_44:
	s_wait_dscnt 0x0
	v_cmp_eq_f32_e32 vcc_lo, 0, v72
	v_cmp_eq_f32_e64 s0, 0, v73
	s_and_b32 s0, vcc_lo, s0
	s_delay_alu instid0(SALU_CYCLE_1) | instskip(NEXT) | instid1(SALU_CYCLE_1)
	s_and_saveexec_b32 s1, s0
	s_xor_b32 s0, exec_lo, s1
; %bb.45:
	v_cmp_ne_u32_e32 vcc_lo, 0, v76
	v_cndmask_b32_e32 v76, 3, v76, vcc_lo
; %bb.46:
	s_and_not1_saveexec_b32 s0, s0
	s_cbranch_execz .LBB62_52
; %bb.47:
	v_cmp_ngt_f32_e64 s1, |v72|, |v73|
	s_and_saveexec_b32 s12, s1
	s_delay_alu instid0(SALU_CYCLE_1)
	s_xor_b32 s1, exec_lo, s12
	s_cbranch_execz .LBB62_49
; %bb.48:
	v_div_scale_f32 v71, null, v73, v73, v72
	v_div_scale_f32 v81, vcc_lo, v72, v73, v72
	s_delay_alu instid0(VALU_DEP_2) | instskip(SKIP_1) | instid1(TRANS32_DEP_1)
	v_rcp_f32_e32 v79, v71
	v_nop
	v_fma_f32 v80, -v71, v79, 1.0
	s_delay_alu instid0(VALU_DEP_1) | instskip(NEXT) | instid1(VALU_DEP_1)
	v_fmac_f32_e32 v79, v80, v79
	v_mul_f32_e32 v80, v81, v79
	s_delay_alu instid0(VALU_DEP_1) | instskip(NEXT) | instid1(VALU_DEP_1)
	v_fma_f32 v82, -v71, v80, v81
	v_fmac_f32_e32 v80, v82, v79
	s_delay_alu instid0(VALU_DEP_1) | instskip(NEXT) | instid1(VALU_DEP_1)
	v_fma_f32 v71, -v71, v80, v81
	v_div_fmas_f32 v71, v71, v79, v80
	s_delay_alu instid0(VALU_DEP_1) | instskip(NEXT) | instid1(VALU_DEP_1)
	v_div_fixup_f32 v71, v71, v73, v72
	v_fmac_f32_e32 v73, v72, v71
	s_delay_alu instid0(VALU_DEP_1) | instskip(SKIP_1) | instid1(VALU_DEP_2)
	v_div_scale_f32 v72, null, v73, v73, 1.0
	v_div_scale_f32 v81, vcc_lo, 1.0, v73, 1.0
	v_rcp_f32_e32 v79, v72
	v_nop
	s_delay_alu instid0(TRANS32_DEP_1) | instskip(NEXT) | instid1(VALU_DEP_1)
	v_fma_f32 v80, -v72, v79, 1.0
	v_fmac_f32_e32 v79, v80, v79
	s_delay_alu instid0(VALU_DEP_1) | instskip(NEXT) | instid1(VALU_DEP_1)
	v_mul_f32_e32 v80, v81, v79
	v_fma_f32 v82, -v72, v80, v81
	s_delay_alu instid0(VALU_DEP_1) | instskip(NEXT) | instid1(VALU_DEP_1)
	v_fmac_f32_e32 v80, v82, v79
	v_fma_f32 v72, -v72, v80, v81
	s_delay_alu instid0(VALU_DEP_1) | instskip(NEXT) | instid1(VALU_DEP_1)
	v_div_fmas_f32 v72, v72, v79, v80
	v_div_fixup_f32 v73, v72, v73, 1.0
	s_delay_alu instid0(VALU_DEP_1)
	v_mul_f32_e32 v72, v71, v73
	v_xor_b32_e32 v73, 0x80000000, v73
.LBB62_49:
	s_and_not1_saveexec_b32 s1, s1
	s_cbranch_execz .LBB62_51
; %bb.50:
	s_delay_alu instid0(VALU_DEP_1) | instskip(SKIP_1) | instid1(VALU_DEP_2)
	v_div_scale_f32 v71, null, v72, v72, v73
	v_div_scale_f32 v81, vcc_lo, v73, v72, v73
	v_rcp_f32_e32 v79, v71
	v_nop
	s_delay_alu instid0(TRANS32_DEP_1) | instskip(NEXT) | instid1(VALU_DEP_1)
	v_fma_f32 v80, -v71, v79, 1.0
	v_fmac_f32_e32 v79, v80, v79
	s_delay_alu instid0(VALU_DEP_1) | instskip(NEXT) | instid1(VALU_DEP_1)
	v_mul_f32_e32 v80, v81, v79
	v_fma_f32 v82, -v71, v80, v81
	s_delay_alu instid0(VALU_DEP_1) | instskip(NEXT) | instid1(VALU_DEP_1)
	v_fmac_f32_e32 v80, v82, v79
	v_fma_f32 v71, -v71, v80, v81
	s_delay_alu instid0(VALU_DEP_1) | instskip(NEXT) | instid1(VALU_DEP_1)
	v_div_fmas_f32 v71, v71, v79, v80
	v_div_fixup_f32 v71, v71, v72, v73
	s_delay_alu instid0(VALU_DEP_1) | instskip(NEXT) | instid1(VALU_DEP_1)
	v_fmac_f32_e32 v72, v73, v71
	v_div_scale_f32 v73, null, v72, v72, 1.0
	s_delay_alu instid0(VALU_DEP_1) | instskip(SKIP_1) | instid1(TRANS32_DEP_1)
	v_rcp_f32_e32 v79, v73
	v_nop
	v_fma_f32 v80, -v73, v79, 1.0
	s_delay_alu instid0(VALU_DEP_1) | instskip(SKIP_1) | instid1(VALU_DEP_1)
	v_fmac_f32_e32 v79, v80, v79
	v_div_scale_f32 v80, vcc_lo, 1.0, v72, 1.0
	v_mul_f32_e32 v81, v80, v79
	s_delay_alu instid0(VALU_DEP_1) | instskip(NEXT) | instid1(VALU_DEP_1)
	v_fma_f32 v82, -v73, v81, v80
	v_fmac_f32_e32 v81, v82, v79
	s_delay_alu instid0(VALU_DEP_1) | instskip(NEXT) | instid1(VALU_DEP_1)
	v_fma_f32 v73, -v73, v81, v80
	v_div_fmas_f32 v73, v73, v79, v81
	s_delay_alu instid0(VALU_DEP_1) | instskip(NEXT) | instid1(VALU_DEP_1)
	v_div_fixup_f32 v72, v73, v72, 1.0
	v_mul_f32_e64 v73, v71, -v72
.LBB62_51:
	s_or_b32 exec_lo, exec_lo, s1
.LBB62_52:
	s_delay_alu instid0(SALU_CYCLE_1) | instskip(NEXT) | instid1(SALU_CYCLE_1)
	s_or_b32 exec_lo, exec_lo, s0
	s_mov_b32 s0, exec_lo
	v_cmpx_ne_u32_e64 v78, v70
	s_xor_b32 s0, exec_lo, s0
	s_cbranch_execz .LBB62_58
; %bb.53:
	s_mov_b32 s1, exec_lo
	v_cmpx_eq_u32_e32 2, v78
	s_cbranch_execz .LBB62_57
; %bb.54:
	v_cmp_ne_u32_e32 vcc_lo, 2, v70
	s_xor_b32 s12, s16, -1
	s_delay_alu instid0(SALU_CYCLE_1) | instskip(NEXT) | instid1(SALU_CYCLE_1)
	s_and_b32 s13, s12, vcc_lo
	s_and_saveexec_b32 s12, s13
	s_cbranch_execz .LBB62_56
; %bb.55:
	v_ashrrev_i32_e32 v71, 31, v70
	s_delay_alu instid0(VALU_DEP_1)
	v_lshl_add_u64 v[78:79], v[70:71], 2, v[4:5]
	s_clause 0x1
	global_load_b32 v71, v[78:79], off
	global_load_b32 v77, v[4:5], off offset:8
	s_wait_loadcnt 0x1
	global_store_b32 v[4:5], v71, off offset:8
	s_wait_loadcnt 0x0
	global_store_b32 v[78:79], v77, off
.LBB62_56:
	s_wait_xcnt 0x0
	s_or_b32 exec_lo, exec_lo, s12
	v_dual_mov_b32 v78, v70 :: v_dual_mov_b32 v77, v70
.LBB62_57:
	s_or_b32 exec_lo, exec_lo, s1
.LBB62_58:
	s_and_not1_saveexec_b32 s0, s0
	s_cbranch_execz .LBB62_60
; %bb.59:
	v_mov_b32_e32 v78, 2
	ds_store_2addr_b64 v74, v[60:61], v[34:35] offset0:3 offset1:4
	ds_store_2addr_b64 v74, v[30:31], v[32:33] offset0:5 offset1:6
	;; [unrolled: 1-line block ×14, first 2 shown]
	ds_store_b64 v74, v[68:69] offset:248
.LBB62_60:
	s_or_b32 exec_lo, exec_lo, s0
	s_delay_alu instid0(SALU_CYCLE_1)
	s_mov_b32 s0, exec_lo
	s_wait_storecnt_dscnt 0x0
	s_barrier_signal -1
	s_barrier_wait -1
	v_cmpx_lt_i32_e32 2, v78
	s_cbranch_execz .LBB62_62
; %bb.61:
	v_pk_mul_f32 v[80:81], v[72:73], v[62:63] op_sel:[1,1] op_sel_hi:[0,1]
	s_delay_alu instid0(VALU_DEP_1)
	v_pk_fma_f32 v[70:71], v[72:73], v[62:63], v[80:81] op_sel_hi:[1,0,1] neg_lo:[0,0,1] neg_hi:[0,0,1]
	v_pk_fma_f32 v[72:73], v[72:73], v[62:63], v[80:81] op_sel_hi:[1,0,1]
	ds_load_2addr_b64 v[80:83], v74 offset0:3 offset1:4
	v_dual_mov_b32 v62, v70 :: v_dual_mov_b32 v63, v73
	s_wait_dscnt 0x0
	v_pk_mul_f32 v[84:85], v[80:81], v[72:73] op_sel:[0,1]
	s_delay_alu instid0(VALU_DEP_1) | instskip(SKIP_1) | instid1(VALU_DEP_1)
	v_pk_fma_f32 v[86:87], v[80:81], v[70:71], v[84:85] op_sel:[0,0,1] op_sel_hi:[1,1,0] neg_lo:[0,0,1] neg_hi:[0,0,1]
	v_pk_fma_f32 v[80:81], v[80:81], v[70:71], v[84:85] op_sel:[0,0,1] op_sel_hi:[1,0,0]
	v_mov_b32_e32 v87, v81
	v_pk_mul_f32 v[80:81], v[82:83], v[72:73] op_sel:[0,1]
	s_delay_alu instid0(VALU_DEP_1) | instskip(SKIP_1) | instid1(VALU_DEP_1)
	v_pk_fma_f32 v[84:85], v[82:83], v[70:71], v[80:81] op_sel:[0,0,1] op_sel_hi:[1,1,0] neg_lo:[0,0,1] neg_hi:[0,0,1]
	v_pk_fma_f32 v[80:81], v[82:83], v[70:71], v[80:81] op_sel:[0,0,1] op_sel_hi:[1,0,0]
	v_mov_b32_e32 v85, v81
	ds_load_2addr_b64 v[80:83], v74 offset0:5 offset1:6
	v_pk_add_f32 v[60:61], v[60:61], v[86:87] neg_lo:[0,1] neg_hi:[0,1]
	v_pk_add_f32 v[34:35], v[34:35], v[84:85] neg_lo:[0,1] neg_hi:[0,1]
	s_wait_dscnt 0x0
	v_pk_mul_f32 v[84:85], v[80:81], v[72:73] op_sel:[0,1]
	s_delay_alu instid0(VALU_DEP_1) | instskip(SKIP_2) | instid1(VALU_DEP_2)
	v_pk_fma_f32 v[86:87], v[80:81], v[70:71], v[84:85] op_sel:[0,0,1] op_sel_hi:[1,1,0] neg_lo:[0,0,1] neg_hi:[0,0,1]
	v_pk_fma_f32 v[80:81], v[80:81], v[70:71], v[84:85] op_sel:[0,0,1] op_sel_hi:[1,0,0]
	v_dual_mul_f32 v84, v83, v73 :: v_dual_mov_b32 v80, v83
	v_dual_mov_b32 v87, v81 :: v_dual_mov_b32 v81, v82
	s_delay_alu instid0(VALU_DEP_2) | instskip(SKIP_1) | instid1(VALU_DEP_3)
	v_pk_fma_f32 v[84:85], v[82:83], v[62:63], v[84:85] op_sel_hi:[1,1,0] neg_lo:[0,0,1] neg_hi:[0,0,1]
	v_mul_f32_e32 v82, v83, v70
	v_pk_add_f32 v[30:31], v[30:31], v[86:87] neg_lo:[0,1] neg_hi:[0,1]
	s_delay_alu instid0(VALU_DEP_2) | instskip(NEXT) | instid1(VALU_DEP_1)
	v_pk_fma_f32 v[80:81], v[80:81], v[62:63], v[82:83] op_sel_hi:[1,1,0]
	v_mov_b32_e32 v85, v81
	ds_load_2addr_b64 v[80:83], v74 offset0:7 offset1:8
	v_pk_add_f32 v[32:33], v[32:33], v[84:85] neg_lo:[0,1] neg_hi:[0,1]
	s_wait_dscnt 0x0
	v_pk_mul_f32 v[84:85], v[80:81], v[72:73] op_sel:[0,1]
	s_delay_alu instid0(VALU_DEP_1) | instskip(SKIP_1) | instid1(VALU_DEP_1)
	v_pk_fma_f32 v[86:87], v[80:81], v[70:71], v[84:85] op_sel:[0,0,1] op_sel_hi:[1,1,0] neg_lo:[0,0,1] neg_hi:[0,0,1]
	v_pk_fma_f32 v[80:81], v[80:81], v[70:71], v[84:85] op_sel:[0,0,1] op_sel_hi:[1,0,0]
	v_mov_b32_e32 v87, v81
	v_pk_mul_f32 v[80:81], v[82:83], v[72:73] op_sel:[0,1]
	s_delay_alu instid0(VALU_DEP_1) | instskip(SKIP_1) | instid1(VALU_DEP_1)
	v_pk_fma_f32 v[84:85], v[82:83], v[70:71], v[80:81] op_sel:[0,0,1] op_sel_hi:[1,1,0] neg_lo:[0,0,1] neg_hi:[0,0,1]
	v_pk_fma_f32 v[80:81], v[82:83], v[70:71], v[80:81] op_sel:[0,0,1] op_sel_hi:[1,0,0]
	v_mov_b32_e32 v85, v81
	ds_load_2addr_b64 v[80:83], v74 offset0:9 offset1:10
	v_pk_add_f32 v[6:7], v[6:7], v[86:87] neg_lo:[0,1] neg_hi:[0,1]
	v_pk_add_f32 v[40:41], v[40:41], v[84:85] neg_lo:[0,1] neg_hi:[0,1]
	s_wait_dscnt 0x0
	v_pk_mul_f32 v[84:85], v[80:81], v[72:73] op_sel:[0,1]
	s_delay_alu instid0(VALU_DEP_1) | instskip(SKIP_1) | instid1(VALU_DEP_1)
	v_pk_fma_f32 v[86:87], v[80:81], v[70:71], v[84:85] op_sel:[0,0,1] op_sel_hi:[1,1,0] neg_lo:[0,0,1] neg_hi:[0,0,1]
	v_pk_fma_f32 v[80:81], v[80:81], v[70:71], v[84:85] op_sel:[0,0,1] op_sel_hi:[1,0,0]
	v_mov_b32_e32 v87, v81
	v_pk_mul_f32 v[80:81], v[82:83], v[72:73] op_sel:[0,1]
	s_delay_alu instid0(VALU_DEP_1) | instskip(SKIP_1) | instid1(VALU_DEP_1)
	v_pk_fma_f32 v[84:85], v[82:83], v[70:71], v[80:81] op_sel:[0,0,1] op_sel_hi:[1,1,0] neg_lo:[0,0,1] neg_hi:[0,0,1]
	v_pk_fma_f32 v[80:81], v[82:83], v[70:71], v[80:81] op_sel:[0,0,1] op_sel_hi:[1,0,0]
	v_mov_b32_e32 v85, v81
	ds_load_2addr_b64 v[80:83], v74 offset0:11 offset1:12
	v_pk_add_f32 v[36:37], v[36:37], v[86:87] neg_lo:[0,1] neg_hi:[0,1]
	v_pk_add_f32 v[38:39], v[38:39], v[84:85] neg_lo:[0,1] neg_hi:[0,1]
	s_wait_dscnt 0x0
	v_dual_mul_f32 v84, v81, v73 :: v_dual_mul_f32 v86, v81, v70
	s_delay_alu instid0(VALU_DEP_1) | instskip(NEXT) | instid1(VALU_DEP_2)
	v_pk_fma_f32 v[84:85], v[80:81], v[62:63], v[84:85] op_sel_hi:[1,1,0] neg_lo:[0,0,1] neg_hi:[0,0,1]
	v_pk_fma_f32 v[80:81], v[80:81], v[62:63], v[86:87] op_sel:[1,0,0] op_sel_hi:[0,1,0]
	s_delay_alu instid0(VALU_DEP_1) | instskip(SKIP_1) | instid1(VALU_DEP_2)
	v_mov_b32_e32 v85, v81
	v_pk_mul_f32 v[80:81], v[82:83], v[72:73] op_sel:[0,1]
	v_pk_add_f32 v[8:9], v[8:9], v[84:85] neg_lo:[0,1] neg_hi:[0,1]
	s_delay_alu instid0(VALU_DEP_2) | instskip(SKIP_1) | instid1(VALU_DEP_1)
	v_pk_fma_f32 v[84:85], v[82:83], v[70:71], v[80:81] op_sel:[0,0,1] op_sel_hi:[1,1,0] neg_lo:[0,0,1] neg_hi:[0,0,1]
	v_pk_fma_f32 v[80:81], v[82:83], v[70:71], v[80:81] op_sel:[0,0,1] op_sel_hi:[1,0,0]
	v_mov_b32_e32 v85, v81
	ds_load_2addr_b64 v[80:83], v74 offset0:13 offset1:14
	v_pk_add_f32 v[52:53], v[52:53], v[84:85] neg_lo:[0,1] neg_hi:[0,1]
	s_wait_dscnt 0x0
	v_pk_mul_f32 v[84:85], v[80:81], v[72:73] op_sel:[0,1]
	s_delay_alu instid0(VALU_DEP_1) | instskip(SKIP_1) | instid1(VALU_DEP_1)
	v_pk_fma_f32 v[86:87], v[80:81], v[70:71], v[84:85] op_sel:[0,0,1] op_sel_hi:[1,1,0] neg_lo:[0,0,1] neg_hi:[0,0,1]
	v_pk_fma_f32 v[80:81], v[80:81], v[70:71], v[84:85] op_sel:[0,0,1] op_sel_hi:[1,0,0]
	v_mov_b32_e32 v87, v81
	v_pk_mul_f32 v[80:81], v[82:83], v[72:73] op_sel:[0,1]
	s_delay_alu instid0(VALU_DEP_2) | instskip(NEXT) | instid1(VALU_DEP_2)
	v_pk_add_f32 v[48:49], v[48:49], v[86:87] neg_lo:[0,1] neg_hi:[0,1]
	v_pk_fma_f32 v[84:85], v[82:83], v[70:71], v[80:81] op_sel:[0,0,1] op_sel_hi:[1,1,0] neg_lo:[0,0,1] neg_hi:[0,0,1]
	v_pk_fma_f32 v[80:81], v[82:83], v[70:71], v[80:81] op_sel:[0,0,1] op_sel_hi:[1,0,0]
	s_delay_alu instid0(VALU_DEP_1) | instskip(SKIP_4) | instid1(VALU_DEP_1)
	v_mov_b32_e32 v85, v81
	ds_load_2addr_b64 v[80:83], v74 offset0:15 offset1:16
	v_pk_add_f32 v[50:51], v[50:51], v[84:85] neg_lo:[0,1] neg_hi:[0,1]
	s_wait_dscnt 0x0
	v_pk_mul_f32 v[84:85], v[80:81], v[72:73] op_sel:[0,1]
	v_pk_fma_f32 v[86:87], v[80:81], v[70:71], v[84:85] op_sel:[0,0,1] op_sel_hi:[1,1,0] neg_lo:[0,0,1] neg_hi:[0,0,1]
	v_pk_fma_f32 v[80:81], v[80:81], v[70:71], v[84:85] op_sel:[0,0,1] op_sel_hi:[1,0,0]
	v_dual_mul_f32 v84, v83, v73 :: v_dual_mov_b32 v80, v83
	s_delay_alu instid0(VALU_DEP_2) | instskip(NEXT) | instid1(VALU_DEP_2)
	v_dual_mov_b32 v87, v81 :: v_dual_mov_b32 v81, v82
	v_pk_fma_f32 v[84:85], v[82:83], v[62:63], v[84:85] op_sel_hi:[1,1,0] neg_lo:[0,0,1] neg_hi:[0,0,1]
	v_mul_f32_e32 v82, v83, v70
	s_delay_alu instid0(VALU_DEP_3) | instskip(NEXT) | instid1(VALU_DEP_2)
	v_pk_add_f32 v[14:15], v[14:15], v[86:87] neg_lo:[0,1] neg_hi:[0,1]
	v_pk_fma_f32 v[80:81], v[80:81], v[62:63], v[82:83] op_sel_hi:[1,1,0]
	s_delay_alu instid0(VALU_DEP_1) | instskip(SKIP_4) | instid1(VALU_DEP_1)
	v_mov_b32_e32 v85, v81
	ds_load_2addr_b64 v[80:83], v74 offset0:17 offset1:18
	v_pk_add_f32 v[58:59], v[58:59], v[84:85] neg_lo:[0,1] neg_hi:[0,1]
	s_wait_dscnt 0x0
	v_pk_mul_f32 v[84:85], v[80:81], v[72:73] op_sel:[0,1]
	v_pk_fma_f32 v[86:87], v[80:81], v[70:71], v[84:85] op_sel:[0,0,1] op_sel_hi:[1,1,0] neg_lo:[0,0,1] neg_hi:[0,0,1]
	v_pk_fma_f32 v[80:81], v[80:81], v[70:71], v[84:85] op_sel:[0,0,1] op_sel_hi:[1,0,0]
	s_delay_alu instid0(VALU_DEP_1) | instskip(SKIP_1) | instid1(VALU_DEP_1)
	v_mov_b32_e32 v87, v81
	v_pk_mul_f32 v[80:81], v[82:83], v[72:73] op_sel:[0,1]
	v_pk_fma_f32 v[84:85], v[82:83], v[70:71], v[80:81] op_sel:[0,0,1] op_sel_hi:[1,1,0] neg_lo:[0,0,1] neg_hi:[0,0,1]
	v_pk_fma_f32 v[80:81], v[82:83], v[70:71], v[80:81] op_sel:[0,0,1] op_sel_hi:[1,0,0]
	s_delay_alu instid0(VALU_DEP_1)
	v_mov_b32_e32 v85, v81
	ds_load_2addr_b64 v[80:83], v74 offset0:19 offset1:20
	v_pk_add_f32 v[54:55], v[54:55], v[86:87] neg_lo:[0,1] neg_hi:[0,1]
	v_pk_add_f32 v[56:57], v[56:57], v[84:85] neg_lo:[0,1] neg_hi:[0,1]
	s_wait_dscnt 0x0
	v_pk_mul_f32 v[84:85], v[80:81], v[72:73] op_sel:[0,1]
	s_delay_alu instid0(VALU_DEP_1) | instskip(SKIP_1) | instid1(VALU_DEP_1)
	v_pk_fma_f32 v[86:87], v[80:81], v[70:71], v[84:85] op_sel:[0,0,1] op_sel_hi:[1,1,0] neg_lo:[0,0,1] neg_hi:[0,0,1]
	v_pk_fma_f32 v[80:81], v[80:81], v[70:71], v[84:85] op_sel:[0,0,1] op_sel_hi:[1,0,0]
	v_mov_b32_e32 v87, v81
	v_pk_mul_f32 v[80:81], v[82:83], v[72:73] op_sel:[0,1]
	s_delay_alu instid0(VALU_DEP_1) | instskip(SKIP_1) | instid1(VALU_DEP_1)
	v_pk_fma_f32 v[84:85], v[82:83], v[70:71], v[80:81] op_sel:[0,0,1] op_sel_hi:[1,1,0] neg_lo:[0,0,1] neg_hi:[0,0,1]
	v_pk_fma_f32 v[80:81], v[82:83], v[70:71], v[80:81] op_sel:[0,0,1] op_sel_hi:[1,0,0]
	v_mov_b32_e32 v85, v81
	ds_load_2addr_b64 v[80:83], v74 offset0:21 offset1:22
	v_pk_add_f32 v[16:17], v[16:17], v[86:87] neg_lo:[0,1] neg_hi:[0,1]
	v_pk_add_f32 v[46:47], v[46:47], v[84:85] neg_lo:[0,1] neg_hi:[0,1]
	s_wait_dscnt 0x0
	v_dual_mul_f32 v84, v81, v73 :: v_dual_mul_f32 v86, v81, v70
	s_delay_alu instid0(VALU_DEP_1) | instskip(NEXT) | instid1(VALU_DEP_2)
	v_pk_fma_f32 v[84:85], v[80:81], v[62:63], v[84:85] op_sel_hi:[1,1,0] neg_lo:[0,0,1] neg_hi:[0,0,1]
	v_pk_fma_f32 v[80:81], v[80:81], v[62:63], v[86:87] op_sel:[1,0,0] op_sel_hi:[0,1,0]
	s_delay_alu instid0(VALU_DEP_1) | instskip(SKIP_1) | instid1(VALU_DEP_2)
	v_mov_b32_e32 v85, v81
	v_pk_mul_f32 v[80:81], v[82:83], v[72:73] op_sel:[0,1]
	v_pk_add_f32 v[42:43], v[42:43], v[84:85] neg_lo:[0,1] neg_hi:[0,1]
	s_delay_alu instid0(VALU_DEP_2) | instskip(SKIP_1) | instid1(VALU_DEP_1)
	v_pk_fma_f32 v[84:85], v[82:83], v[70:71], v[80:81] op_sel:[0,0,1] op_sel_hi:[1,1,0] neg_lo:[0,0,1] neg_hi:[0,0,1]
	v_pk_fma_f32 v[80:81], v[82:83], v[70:71], v[80:81] op_sel:[0,0,1] op_sel_hi:[1,0,0]
	v_mov_b32_e32 v85, v81
	ds_load_2addr_b64 v[80:83], v74 offset0:23 offset1:24
	v_pk_add_f32 v[44:45], v[44:45], v[84:85] neg_lo:[0,1] neg_hi:[0,1]
	s_wait_dscnt 0x0
	v_pk_mul_f32 v[84:85], v[80:81], v[72:73] op_sel:[0,1]
	s_delay_alu instid0(VALU_DEP_1) | instskip(SKIP_1) | instid1(VALU_DEP_1)
	v_pk_fma_f32 v[86:87], v[80:81], v[70:71], v[84:85] op_sel:[0,0,1] op_sel_hi:[1,1,0] neg_lo:[0,0,1] neg_hi:[0,0,1]
	v_pk_fma_f32 v[80:81], v[80:81], v[70:71], v[84:85] op_sel:[0,0,1] op_sel_hi:[1,0,0]
	v_mov_b32_e32 v87, v81
	v_pk_mul_f32 v[80:81], v[82:83], v[72:73] op_sel:[0,1]
	s_delay_alu instid0(VALU_DEP_2) | instskip(NEXT) | instid1(VALU_DEP_2)
	v_pk_add_f32 v[10:11], v[10:11], v[86:87] neg_lo:[0,1] neg_hi:[0,1]
	v_pk_fma_f32 v[84:85], v[82:83], v[70:71], v[80:81] op_sel:[0,0,1] op_sel_hi:[1,1,0] neg_lo:[0,0,1] neg_hi:[0,0,1]
	v_pk_fma_f32 v[80:81], v[82:83], v[70:71], v[80:81] op_sel:[0,0,1] op_sel_hi:[1,0,0]
	s_delay_alu instid0(VALU_DEP_1) | instskip(SKIP_4) | instid1(VALU_DEP_1)
	v_mov_b32_e32 v85, v81
	ds_load_2addr_b64 v[80:83], v74 offset0:25 offset1:26
	v_pk_add_f32 v[28:29], v[28:29], v[84:85] neg_lo:[0,1] neg_hi:[0,1]
	s_wait_dscnt 0x0
	v_pk_mul_f32 v[84:85], v[80:81], v[72:73] op_sel:[0,1]
	v_pk_fma_f32 v[86:87], v[80:81], v[70:71], v[84:85] op_sel:[0,0,1] op_sel_hi:[1,1,0] neg_lo:[0,0,1] neg_hi:[0,0,1]
	v_pk_fma_f32 v[80:81], v[80:81], v[70:71], v[84:85] op_sel:[0,0,1] op_sel_hi:[1,0,0]
	v_dual_mul_f32 v84, v83, v73 :: v_dual_mov_b32 v80, v83
	s_delay_alu instid0(VALU_DEP_2) | instskip(NEXT) | instid1(VALU_DEP_2)
	v_dual_mov_b32 v87, v81 :: v_dual_mov_b32 v81, v82
	v_pk_fma_f32 v[84:85], v[82:83], v[62:63], v[84:85] op_sel_hi:[1,1,0] neg_lo:[0,0,1] neg_hi:[0,0,1]
	v_mul_f32_e32 v82, v83, v70
	s_delay_alu instid0(VALU_DEP_3) | instskip(NEXT) | instid1(VALU_DEP_2)
	v_pk_add_f32 v[24:25], v[24:25], v[86:87] neg_lo:[0,1] neg_hi:[0,1]
	v_pk_fma_f32 v[80:81], v[80:81], v[62:63], v[82:83] op_sel_hi:[1,1,0]
	s_delay_alu instid0(VALU_DEP_1) | instskip(SKIP_4) | instid1(VALU_DEP_1)
	v_mov_b32_e32 v85, v81
	ds_load_2addr_b64 v[80:83], v74 offset0:27 offset1:28
	v_pk_add_f32 v[26:27], v[26:27], v[84:85] neg_lo:[0,1] neg_hi:[0,1]
	s_wait_dscnt 0x0
	v_pk_mul_f32 v[84:85], v[80:81], v[72:73] op_sel:[0,1]
	v_pk_fma_f32 v[86:87], v[80:81], v[70:71], v[84:85] op_sel:[0,0,1] op_sel_hi:[1,1,0] neg_lo:[0,0,1] neg_hi:[0,0,1]
	v_pk_fma_f32 v[80:81], v[80:81], v[70:71], v[84:85] op_sel:[0,0,1] op_sel_hi:[1,0,0]
	s_delay_alu instid0(VALU_DEP_1) | instskip(SKIP_1) | instid1(VALU_DEP_1)
	v_mov_b32_e32 v87, v81
	v_pk_mul_f32 v[80:81], v[82:83], v[72:73] op_sel:[0,1]
	v_pk_fma_f32 v[84:85], v[82:83], v[70:71], v[80:81] op_sel:[0,0,1] op_sel_hi:[1,1,0] neg_lo:[0,0,1] neg_hi:[0,0,1]
	v_pk_fma_f32 v[80:81], v[82:83], v[70:71], v[80:81] op_sel:[0,0,1] op_sel_hi:[1,0,0]
	s_delay_alu instid0(VALU_DEP_1)
	v_mov_b32_e32 v85, v81
	ds_load_2addr_b64 v[80:83], v74 offset0:29 offset1:30
	v_pk_add_f32 v[12:13], v[12:13], v[86:87] neg_lo:[0,1] neg_hi:[0,1]
	v_pk_add_f32 v[22:23], v[22:23], v[84:85] neg_lo:[0,1] neg_hi:[0,1]
	s_wait_dscnt 0x0
	v_pk_mul_f32 v[84:85], v[80:81], v[72:73] op_sel:[0,1]
	s_delay_alu instid0(VALU_DEP_1) | instskip(SKIP_1) | instid1(VALU_DEP_1)
	v_pk_fma_f32 v[86:87], v[80:81], v[70:71], v[84:85] op_sel:[0,0,1] op_sel_hi:[1,1,0] neg_lo:[0,0,1] neg_hi:[0,0,1]
	v_pk_fma_f32 v[80:81], v[80:81], v[70:71], v[84:85] op_sel:[0,0,1] op_sel_hi:[1,0,0]
	v_mov_b32_e32 v87, v81
	v_pk_mul_f32 v[80:81], v[82:83], v[72:73] op_sel:[0,1]
	s_delay_alu instid0(VALU_DEP_1) | instskip(SKIP_1) | instid1(VALU_DEP_1)
	v_pk_fma_f32 v[84:85], v[82:83], v[70:71], v[80:81] op_sel:[0,0,1] op_sel_hi:[1,1,0] neg_lo:[0,0,1] neg_hi:[0,0,1]
	v_pk_fma_f32 v[80:81], v[82:83], v[70:71], v[80:81] op_sel:[0,0,1] op_sel_hi:[1,0,0]
	v_mov_b32_e32 v85, v81
	ds_load_b64 v[80:81], v74 offset:248
	v_pk_add_f32 v[20:21], v[20:21], v[86:87] neg_lo:[0,1] neg_hi:[0,1]
	v_pk_add_f32 v[18:19], v[18:19], v[84:85] neg_lo:[0,1] neg_hi:[0,1]
	s_wait_dscnt 0x0
	v_pk_mul_f32 v[72:73], v[80:81], v[72:73] op_sel:[0,1]
	s_delay_alu instid0(VALU_DEP_1) | instskip(SKIP_1) | instid1(VALU_DEP_1)
	v_pk_fma_f32 v[82:83], v[80:81], v[70:71], v[72:73] op_sel:[0,0,1] op_sel_hi:[1,1,0] neg_lo:[0,0,1] neg_hi:[0,0,1]
	v_pk_fma_f32 v[70:71], v[80:81], v[70:71], v[72:73] op_sel:[0,0,1] op_sel_hi:[1,0,0]
	v_mov_b32_e32 v83, v71
	s_delay_alu instid0(VALU_DEP_1)
	v_pk_add_f32 v[68:69], v[68:69], v[82:83] neg_lo:[0,1] neg_hi:[0,1]
.LBB62_62:
	s_or_b32 exec_lo, exec_lo, s0
	v_lshl_add_u32 v70, v78, 3, v74
	s_barrier_signal -1
	s_barrier_wait -1
	ds_store_b64 v70, v[60:61]
	s_wait_dscnt 0x0
	s_barrier_signal -1
	s_barrier_wait -1
	ds_load_b64 v[72:73], v74 offset:24
	v_mov_b32_e32 v70, 3
	s_cmp_lt_i32 s18, 5
	s_cbranch_scc1 .LBB62_65
; %bb.63:
	v_mov_b32_e32 v70, 3
	v_add3_u32 v71, v75, 0, 32
	s_mov_b32 s0, 4
.LBB62_64:                              ; =>This Inner Loop Header: Depth=1
	ds_load_b64 v[80:81], v71
	s_wait_dscnt 0x1
	v_cmp_gt_f32_e32 vcc_lo, 0, v72
	v_cndmask_b32_e64 v82, v72, -v72, vcc_lo
	v_cmp_gt_f32_e32 vcc_lo, 0, v73
	v_cndmask_b32_e64 v84, v73, -v73, vcc_lo
	s_wait_dscnt 0x0
	v_cmp_gt_f32_e32 vcc_lo, 0, v80
	v_cndmask_b32_e64 v83, v80, -v80, vcc_lo
	v_cmp_gt_f32_e32 vcc_lo, 0, v81
	v_cndmask_b32_e64 v85, v81, -v81, vcc_lo
	s_delay_alu instid0(VALU_DEP_1) | instskip(NEXT) | instid1(VALU_DEP_1)
	v_pk_add_f32 v[82:83], v[82:83], v[84:85]
	v_cmp_lt_f32_e32 vcc_lo, v82, v83
	v_dual_add_nc_u32 v71, 8, v71 :: v_dual_cndmask_b32 v73, v73, v81, vcc_lo
	v_cndmask_b32_e32 v72, v72, v80, vcc_lo
	v_cndmask_b32_e64 v70, v70, s0, vcc_lo
	s_add_co_i32 s0, s0, 1
	s_delay_alu instid0(SALU_CYCLE_1)
	s_cmp_lg_u32 s18, s0
	s_cbranch_scc1 .LBB62_64
.LBB62_65:
	s_wait_dscnt 0x0
	v_cmp_eq_f32_e32 vcc_lo, 0, v72
	v_cmp_eq_f32_e64 s0, 0, v73
	s_and_b32 s0, vcc_lo, s0
	s_delay_alu instid0(SALU_CYCLE_1) | instskip(NEXT) | instid1(SALU_CYCLE_1)
	s_and_saveexec_b32 s1, s0
	s_xor_b32 s0, exec_lo, s1
; %bb.66:
	v_cmp_ne_u32_e32 vcc_lo, 0, v76
	v_cndmask_b32_e32 v76, 4, v76, vcc_lo
; %bb.67:
	s_and_not1_saveexec_b32 s0, s0
	s_cbranch_execz .LBB62_73
; %bb.68:
	v_cmp_ngt_f32_e64 s1, |v72|, |v73|
	s_and_saveexec_b32 s12, s1
	s_delay_alu instid0(SALU_CYCLE_1)
	s_xor_b32 s1, exec_lo, s12
	s_cbranch_execz .LBB62_70
; %bb.69:
	v_div_scale_f32 v71, null, v73, v73, v72
	v_div_scale_f32 v81, vcc_lo, v72, v73, v72
	s_delay_alu instid0(VALU_DEP_2) | instskip(SKIP_1) | instid1(TRANS32_DEP_1)
	v_rcp_f32_e32 v79, v71
	v_nop
	v_fma_f32 v80, -v71, v79, 1.0
	s_delay_alu instid0(VALU_DEP_1) | instskip(NEXT) | instid1(VALU_DEP_1)
	v_fmac_f32_e32 v79, v80, v79
	v_mul_f32_e32 v80, v81, v79
	s_delay_alu instid0(VALU_DEP_1) | instskip(NEXT) | instid1(VALU_DEP_1)
	v_fma_f32 v82, -v71, v80, v81
	v_fmac_f32_e32 v80, v82, v79
	s_delay_alu instid0(VALU_DEP_1) | instskip(NEXT) | instid1(VALU_DEP_1)
	v_fma_f32 v71, -v71, v80, v81
	v_div_fmas_f32 v71, v71, v79, v80
	s_delay_alu instid0(VALU_DEP_1) | instskip(NEXT) | instid1(VALU_DEP_1)
	v_div_fixup_f32 v71, v71, v73, v72
	v_fmac_f32_e32 v73, v72, v71
	s_delay_alu instid0(VALU_DEP_1) | instskip(SKIP_1) | instid1(VALU_DEP_2)
	v_div_scale_f32 v72, null, v73, v73, 1.0
	v_div_scale_f32 v81, vcc_lo, 1.0, v73, 1.0
	v_rcp_f32_e32 v79, v72
	v_nop
	s_delay_alu instid0(TRANS32_DEP_1) | instskip(NEXT) | instid1(VALU_DEP_1)
	v_fma_f32 v80, -v72, v79, 1.0
	v_fmac_f32_e32 v79, v80, v79
	s_delay_alu instid0(VALU_DEP_1) | instskip(NEXT) | instid1(VALU_DEP_1)
	v_mul_f32_e32 v80, v81, v79
	v_fma_f32 v82, -v72, v80, v81
	s_delay_alu instid0(VALU_DEP_1) | instskip(NEXT) | instid1(VALU_DEP_1)
	v_fmac_f32_e32 v80, v82, v79
	v_fma_f32 v72, -v72, v80, v81
	s_delay_alu instid0(VALU_DEP_1) | instskip(NEXT) | instid1(VALU_DEP_1)
	v_div_fmas_f32 v72, v72, v79, v80
	v_div_fixup_f32 v73, v72, v73, 1.0
	s_delay_alu instid0(VALU_DEP_1)
	v_mul_f32_e32 v72, v71, v73
	v_xor_b32_e32 v73, 0x80000000, v73
.LBB62_70:
	s_and_not1_saveexec_b32 s1, s1
	s_cbranch_execz .LBB62_72
; %bb.71:
	s_delay_alu instid0(VALU_DEP_1) | instskip(SKIP_1) | instid1(VALU_DEP_2)
	v_div_scale_f32 v71, null, v72, v72, v73
	v_div_scale_f32 v81, vcc_lo, v73, v72, v73
	v_rcp_f32_e32 v79, v71
	v_nop
	s_delay_alu instid0(TRANS32_DEP_1) | instskip(NEXT) | instid1(VALU_DEP_1)
	v_fma_f32 v80, -v71, v79, 1.0
	v_fmac_f32_e32 v79, v80, v79
	s_delay_alu instid0(VALU_DEP_1) | instskip(NEXT) | instid1(VALU_DEP_1)
	v_mul_f32_e32 v80, v81, v79
	v_fma_f32 v82, -v71, v80, v81
	s_delay_alu instid0(VALU_DEP_1) | instskip(NEXT) | instid1(VALU_DEP_1)
	v_fmac_f32_e32 v80, v82, v79
	v_fma_f32 v71, -v71, v80, v81
	s_delay_alu instid0(VALU_DEP_1) | instskip(NEXT) | instid1(VALU_DEP_1)
	v_div_fmas_f32 v71, v71, v79, v80
	v_div_fixup_f32 v71, v71, v72, v73
	s_delay_alu instid0(VALU_DEP_1) | instskip(NEXT) | instid1(VALU_DEP_1)
	v_fmac_f32_e32 v72, v73, v71
	v_div_scale_f32 v73, null, v72, v72, 1.0
	s_delay_alu instid0(VALU_DEP_1) | instskip(SKIP_1) | instid1(TRANS32_DEP_1)
	v_rcp_f32_e32 v79, v73
	v_nop
	v_fma_f32 v80, -v73, v79, 1.0
	s_delay_alu instid0(VALU_DEP_1) | instskip(SKIP_1) | instid1(VALU_DEP_1)
	v_fmac_f32_e32 v79, v80, v79
	v_div_scale_f32 v80, vcc_lo, 1.0, v72, 1.0
	v_mul_f32_e32 v81, v80, v79
	s_delay_alu instid0(VALU_DEP_1) | instskip(NEXT) | instid1(VALU_DEP_1)
	v_fma_f32 v82, -v73, v81, v80
	v_fmac_f32_e32 v81, v82, v79
	s_delay_alu instid0(VALU_DEP_1) | instskip(NEXT) | instid1(VALU_DEP_1)
	v_fma_f32 v73, -v73, v81, v80
	v_div_fmas_f32 v73, v73, v79, v81
	s_delay_alu instid0(VALU_DEP_1) | instskip(NEXT) | instid1(VALU_DEP_1)
	v_div_fixup_f32 v72, v73, v72, 1.0
	v_mul_f32_e64 v73, v71, -v72
.LBB62_72:
	s_or_b32 exec_lo, exec_lo, s1
.LBB62_73:
	s_delay_alu instid0(SALU_CYCLE_1) | instskip(NEXT) | instid1(SALU_CYCLE_1)
	s_or_b32 exec_lo, exec_lo, s0
	s_mov_b32 s0, exec_lo
	v_cmpx_ne_u32_e64 v78, v70
	s_xor_b32 s0, exec_lo, s0
	s_cbranch_execz .LBB62_79
; %bb.74:
	s_mov_b32 s1, exec_lo
	v_cmpx_eq_u32_e32 3, v78
	s_cbranch_execz .LBB62_78
; %bb.75:
	v_cmp_ne_u32_e32 vcc_lo, 3, v70
	s_xor_b32 s12, s16, -1
	s_delay_alu instid0(SALU_CYCLE_1) | instskip(NEXT) | instid1(SALU_CYCLE_1)
	s_and_b32 s13, s12, vcc_lo
	s_and_saveexec_b32 s12, s13
	s_cbranch_execz .LBB62_77
; %bb.76:
	v_ashrrev_i32_e32 v71, 31, v70
	s_delay_alu instid0(VALU_DEP_1)
	v_lshl_add_u64 v[78:79], v[70:71], 2, v[4:5]
	s_clause 0x1
	global_load_b32 v71, v[78:79], off
	global_load_b32 v77, v[4:5], off offset:12
	s_wait_loadcnt 0x1
	global_store_b32 v[4:5], v71, off offset:12
	s_wait_loadcnt 0x0
	global_store_b32 v[78:79], v77, off
.LBB62_77:
	s_wait_xcnt 0x0
	s_or_b32 exec_lo, exec_lo, s12
	v_dual_mov_b32 v78, v70 :: v_dual_mov_b32 v77, v70
.LBB62_78:
	s_or_b32 exec_lo, exec_lo, s1
.LBB62_79:
	s_and_not1_saveexec_b32 s0, s0
	s_cbranch_execz .LBB62_81
; %bb.80:
	v_dual_mov_b32 v70, v34 :: v_dual_mov_b32 v71, v35
	v_dual_mov_b32 v78, v30 :: v_dual_mov_b32 v79, v31
	ds_store_2addr_b64 v74, v[70:71], v[78:79] offset0:4 offset1:5
	v_dual_mov_b32 v70, v32 :: v_dual_mov_b32 v71, v33
	v_dual_mov_b32 v78, v6 :: v_dual_mov_b32 v79, v7
	ds_store_2addr_b64 v74, v[70:71], v[78:79] offset0:6 offset1:7
	;; [unrolled: 3-line block ×13, first 2 shown]
	v_dual_mov_b32 v70, v18 :: v_dual_mov_b32 v71, v19
	v_mov_b32_e32 v78, 3
	ds_store_2addr_b64 v74, v[70:71], v[68:69] offset0:30 offset1:31
.LBB62_81:
	s_or_b32 exec_lo, exec_lo, s0
	s_delay_alu instid0(SALU_CYCLE_1)
	s_mov_b32 s0, exec_lo
	s_wait_storecnt_dscnt 0x0
	s_barrier_signal -1
	s_barrier_wait -1
	v_cmpx_lt_i32_e32 3, v78
	s_cbranch_execz .LBB62_83
; %bb.82:
	v_pk_mul_f32 v[80:81], v[72:73], v[60:61] op_sel:[1,1] op_sel_hi:[0,1]
	s_delay_alu instid0(VALU_DEP_1)
	v_pk_fma_f32 v[70:71], v[72:73], v[60:61], v[80:81] op_sel_hi:[1,0,1] neg_lo:[0,0,1] neg_hi:[0,0,1]
	v_pk_fma_f32 v[72:73], v[72:73], v[60:61], v[80:81] op_sel_hi:[1,0,1]
	ds_load_2addr_b64 v[80:83], v74 offset0:4 offset1:5
	v_dual_mov_b32 v60, v70 :: v_dual_mov_b32 v61, v73
	s_wait_dscnt 0x0
	v_pk_mul_f32 v[84:85], v[80:81], v[72:73] op_sel:[0,1]
	s_delay_alu instid0(VALU_DEP_1) | instskip(SKIP_1) | instid1(VALU_DEP_1)
	v_pk_fma_f32 v[86:87], v[80:81], v[70:71], v[84:85] op_sel:[0,0,1] op_sel_hi:[1,1,0] neg_lo:[0,0,1] neg_hi:[0,0,1]
	v_pk_fma_f32 v[80:81], v[80:81], v[70:71], v[84:85] op_sel:[0,0,1] op_sel_hi:[1,0,0]
	v_mov_b32_e32 v87, v81
	v_pk_mul_f32 v[80:81], v[82:83], v[72:73] op_sel:[0,1]
	s_delay_alu instid0(VALU_DEP_1) | instskip(SKIP_1) | instid1(VALU_DEP_1)
	v_pk_fma_f32 v[84:85], v[82:83], v[70:71], v[80:81] op_sel:[0,0,1] op_sel_hi:[1,1,0] neg_lo:[0,0,1] neg_hi:[0,0,1]
	v_pk_fma_f32 v[80:81], v[82:83], v[70:71], v[80:81] op_sel:[0,0,1] op_sel_hi:[1,0,0]
	v_mov_b32_e32 v85, v81
	ds_load_2addr_b64 v[80:83], v74 offset0:6 offset1:7
	v_pk_add_f32 v[34:35], v[34:35], v[86:87] neg_lo:[0,1] neg_hi:[0,1]
	v_pk_add_f32 v[30:31], v[30:31], v[84:85] neg_lo:[0,1] neg_hi:[0,1]
	s_wait_dscnt 0x0
	v_pk_mul_f32 v[84:85], v[80:81], v[72:73] op_sel:[0,1]
	s_delay_alu instid0(VALU_DEP_1) | instskip(SKIP_2) | instid1(VALU_DEP_2)
	v_pk_fma_f32 v[86:87], v[80:81], v[70:71], v[84:85] op_sel:[0,0,1] op_sel_hi:[1,1,0] neg_lo:[0,0,1] neg_hi:[0,0,1]
	v_pk_fma_f32 v[80:81], v[80:81], v[70:71], v[84:85] op_sel:[0,0,1] op_sel_hi:[1,0,0]
	v_dual_mul_f32 v84, v83, v73 :: v_dual_mov_b32 v80, v83
	v_dual_mov_b32 v87, v81 :: v_dual_mov_b32 v81, v82
	s_delay_alu instid0(VALU_DEP_2) | instskip(SKIP_1) | instid1(VALU_DEP_3)
	v_pk_fma_f32 v[84:85], v[82:83], v[60:61], v[84:85] op_sel_hi:[1,1,0] neg_lo:[0,0,1] neg_hi:[0,0,1]
	v_mul_f32_e32 v82, v83, v70
	v_pk_add_f32 v[32:33], v[32:33], v[86:87] neg_lo:[0,1] neg_hi:[0,1]
	s_delay_alu instid0(VALU_DEP_2) | instskip(NEXT) | instid1(VALU_DEP_1)
	v_pk_fma_f32 v[80:81], v[80:81], v[60:61], v[82:83] op_sel_hi:[1,1,0]
	v_mov_b32_e32 v85, v81
	ds_load_2addr_b64 v[80:83], v74 offset0:8 offset1:9
	v_pk_add_f32 v[6:7], v[6:7], v[84:85] neg_lo:[0,1] neg_hi:[0,1]
	s_wait_dscnt 0x0
	v_pk_mul_f32 v[84:85], v[80:81], v[72:73] op_sel:[0,1]
	s_delay_alu instid0(VALU_DEP_1) | instskip(SKIP_1) | instid1(VALU_DEP_1)
	v_pk_fma_f32 v[86:87], v[80:81], v[70:71], v[84:85] op_sel:[0,0,1] op_sel_hi:[1,1,0] neg_lo:[0,0,1] neg_hi:[0,0,1]
	v_pk_fma_f32 v[80:81], v[80:81], v[70:71], v[84:85] op_sel:[0,0,1] op_sel_hi:[1,0,0]
	v_mov_b32_e32 v87, v81
	v_pk_mul_f32 v[80:81], v[82:83], v[72:73] op_sel:[0,1]
	s_delay_alu instid0(VALU_DEP_1) | instskip(SKIP_1) | instid1(VALU_DEP_1)
	v_pk_fma_f32 v[84:85], v[82:83], v[70:71], v[80:81] op_sel:[0,0,1] op_sel_hi:[1,1,0] neg_lo:[0,0,1] neg_hi:[0,0,1]
	v_pk_fma_f32 v[80:81], v[82:83], v[70:71], v[80:81] op_sel:[0,0,1] op_sel_hi:[1,0,0]
	v_mov_b32_e32 v85, v81
	ds_load_2addr_b64 v[80:83], v74 offset0:10 offset1:11
	v_pk_add_f32 v[40:41], v[40:41], v[86:87] neg_lo:[0,1] neg_hi:[0,1]
	v_pk_add_f32 v[36:37], v[36:37], v[84:85] neg_lo:[0,1] neg_hi:[0,1]
	s_wait_dscnt 0x0
	v_pk_mul_f32 v[84:85], v[80:81], v[72:73] op_sel:[0,1]
	s_delay_alu instid0(VALU_DEP_1) | instskip(SKIP_1) | instid1(VALU_DEP_1)
	v_pk_fma_f32 v[86:87], v[80:81], v[70:71], v[84:85] op_sel:[0,0,1] op_sel_hi:[1,1,0] neg_lo:[0,0,1] neg_hi:[0,0,1]
	v_pk_fma_f32 v[80:81], v[80:81], v[70:71], v[84:85] op_sel:[0,0,1] op_sel_hi:[1,0,0]
	v_mov_b32_e32 v87, v81
	v_pk_mul_f32 v[80:81], v[82:83], v[72:73] op_sel:[0,1]
	s_delay_alu instid0(VALU_DEP_1) | instskip(SKIP_1) | instid1(VALU_DEP_1)
	v_pk_fma_f32 v[84:85], v[82:83], v[70:71], v[80:81] op_sel:[0,0,1] op_sel_hi:[1,1,0] neg_lo:[0,0,1] neg_hi:[0,0,1]
	v_pk_fma_f32 v[80:81], v[82:83], v[70:71], v[80:81] op_sel:[0,0,1] op_sel_hi:[1,0,0]
	v_mov_b32_e32 v85, v81
	ds_load_2addr_b64 v[80:83], v74 offset0:12 offset1:13
	v_pk_add_f32 v[38:39], v[38:39], v[86:87] neg_lo:[0,1] neg_hi:[0,1]
	v_pk_add_f32 v[8:9], v[8:9], v[84:85] neg_lo:[0,1] neg_hi:[0,1]
	s_wait_dscnt 0x0
	v_dual_mul_f32 v84, v81, v73 :: v_dual_mul_f32 v86, v81, v70
	s_delay_alu instid0(VALU_DEP_1) | instskip(NEXT) | instid1(VALU_DEP_2)
	v_pk_fma_f32 v[84:85], v[80:81], v[60:61], v[84:85] op_sel_hi:[1,1,0] neg_lo:[0,0,1] neg_hi:[0,0,1]
	v_pk_fma_f32 v[80:81], v[80:81], v[60:61], v[86:87] op_sel:[1,0,0] op_sel_hi:[0,1,0]
	s_delay_alu instid0(VALU_DEP_1) | instskip(SKIP_1) | instid1(VALU_DEP_2)
	v_mov_b32_e32 v85, v81
	v_pk_mul_f32 v[80:81], v[82:83], v[72:73] op_sel:[0,1]
	v_pk_add_f32 v[52:53], v[52:53], v[84:85] neg_lo:[0,1] neg_hi:[0,1]
	s_delay_alu instid0(VALU_DEP_2) | instskip(SKIP_1) | instid1(VALU_DEP_1)
	v_pk_fma_f32 v[84:85], v[82:83], v[70:71], v[80:81] op_sel:[0,0,1] op_sel_hi:[1,1,0] neg_lo:[0,0,1] neg_hi:[0,0,1]
	v_pk_fma_f32 v[80:81], v[82:83], v[70:71], v[80:81] op_sel:[0,0,1] op_sel_hi:[1,0,0]
	v_mov_b32_e32 v85, v81
	ds_load_2addr_b64 v[80:83], v74 offset0:14 offset1:15
	v_pk_add_f32 v[48:49], v[48:49], v[84:85] neg_lo:[0,1] neg_hi:[0,1]
	s_wait_dscnt 0x0
	v_pk_mul_f32 v[84:85], v[80:81], v[72:73] op_sel:[0,1]
	s_delay_alu instid0(VALU_DEP_1) | instskip(SKIP_1) | instid1(VALU_DEP_1)
	v_pk_fma_f32 v[86:87], v[80:81], v[70:71], v[84:85] op_sel:[0,0,1] op_sel_hi:[1,1,0] neg_lo:[0,0,1] neg_hi:[0,0,1]
	v_pk_fma_f32 v[80:81], v[80:81], v[70:71], v[84:85] op_sel:[0,0,1] op_sel_hi:[1,0,0]
	v_mov_b32_e32 v87, v81
	v_pk_mul_f32 v[80:81], v[82:83], v[72:73] op_sel:[0,1]
	s_delay_alu instid0(VALU_DEP_2) | instskip(NEXT) | instid1(VALU_DEP_2)
	v_pk_add_f32 v[50:51], v[50:51], v[86:87] neg_lo:[0,1] neg_hi:[0,1]
	v_pk_fma_f32 v[84:85], v[82:83], v[70:71], v[80:81] op_sel:[0,0,1] op_sel_hi:[1,1,0] neg_lo:[0,0,1] neg_hi:[0,0,1]
	v_pk_fma_f32 v[80:81], v[82:83], v[70:71], v[80:81] op_sel:[0,0,1] op_sel_hi:[1,0,0]
	s_delay_alu instid0(VALU_DEP_1) | instskip(SKIP_4) | instid1(VALU_DEP_1)
	v_mov_b32_e32 v85, v81
	ds_load_2addr_b64 v[80:83], v74 offset0:16 offset1:17
	v_pk_add_f32 v[14:15], v[14:15], v[84:85] neg_lo:[0,1] neg_hi:[0,1]
	s_wait_dscnt 0x0
	v_pk_mul_f32 v[84:85], v[80:81], v[72:73] op_sel:[0,1]
	v_pk_fma_f32 v[86:87], v[80:81], v[70:71], v[84:85] op_sel:[0,0,1] op_sel_hi:[1,1,0] neg_lo:[0,0,1] neg_hi:[0,0,1]
	v_pk_fma_f32 v[80:81], v[80:81], v[70:71], v[84:85] op_sel:[0,0,1] op_sel_hi:[1,0,0]
	v_dual_mul_f32 v84, v83, v73 :: v_dual_mov_b32 v80, v83
	s_delay_alu instid0(VALU_DEP_2) | instskip(NEXT) | instid1(VALU_DEP_2)
	v_dual_mov_b32 v87, v81 :: v_dual_mov_b32 v81, v82
	v_pk_fma_f32 v[84:85], v[82:83], v[60:61], v[84:85] op_sel_hi:[1,1,0] neg_lo:[0,0,1] neg_hi:[0,0,1]
	v_mul_f32_e32 v82, v83, v70
	s_delay_alu instid0(VALU_DEP_3) | instskip(NEXT) | instid1(VALU_DEP_2)
	v_pk_add_f32 v[58:59], v[58:59], v[86:87] neg_lo:[0,1] neg_hi:[0,1]
	v_pk_fma_f32 v[80:81], v[80:81], v[60:61], v[82:83] op_sel_hi:[1,1,0]
	s_delay_alu instid0(VALU_DEP_1) | instskip(SKIP_4) | instid1(VALU_DEP_1)
	v_mov_b32_e32 v85, v81
	ds_load_2addr_b64 v[80:83], v74 offset0:18 offset1:19
	v_pk_add_f32 v[54:55], v[54:55], v[84:85] neg_lo:[0,1] neg_hi:[0,1]
	s_wait_dscnt 0x0
	v_pk_mul_f32 v[84:85], v[80:81], v[72:73] op_sel:[0,1]
	v_pk_fma_f32 v[86:87], v[80:81], v[70:71], v[84:85] op_sel:[0,0,1] op_sel_hi:[1,1,0] neg_lo:[0,0,1] neg_hi:[0,0,1]
	v_pk_fma_f32 v[80:81], v[80:81], v[70:71], v[84:85] op_sel:[0,0,1] op_sel_hi:[1,0,0]
	s_delay_alu instid0(VALU_DEP_1) | instskip(SKIP_1) | instid1(VALU_DEP_1)
	v_mov_b32_e32 v87, v81
	v_pk_mul_f32 v[80:81], v[82:83], v[72:73] op_sel:[0,1]
	v_pk_fma_f32 v[84:85], v[82:83], v[70:71], v[80:81] op_sel:[0,0,1] op_sel_hi:[1,1,0] neg_lo:[0,0,1] neg_hi:[0,0,1]
	v_pk_fma_f32 v[80:81], v[82:83], v[70:71], v[80:81] op_sel:[0,0,1] op_sel_hi:[1,0,0]
	s_delay_alu instid0(VALU_DEP_1)
	v_mov_b32_e32 v85, v81
	ds_load_2addr_b64 v[80:83], v74 offset0:20 offset1:21
	v_pk_add_f32 v[56:57], v[56:57], v[86:87] neg_lo:[0,1] neg_hi:[0,1]
	v_pk_add_f32 v[16:17], v[16:17], v[84:85] neg_lo:[0,1] neg_hi:[0,1]
	s_wait_dscnt 0x0
	v_pk_mul_f32 v[84:85], v[80:81], v[72:73] op_sel:[0,1]
	s_delay_alu instid0(VALU_DEP_1) | instskip(SKIP_1) | instid1(VALU_DEP_1)
	v_pk_fma_f32 v[86:87], v[80:81], v[70:71], v[84:85] op_sel:[0,0,1] op_sel_hi:[1,1,0] neg_lo:[0,0,1] neg_hi:[0,0,1]
	v_pk_fma_f32 v[80:81], v[80:81], v[70:71], v[84:85] op_sel:[0,0,1] op_sel_hi:[1,0,0]
	v_mov_b32_e32 v87, v81
	v_pk_mul_f32 v[80:81], v[82:83], v[72:73] op_sel:[0,1]
	s_delay_alu instid0(VALU_DEP_1) | instskip(SKIP_1) | instid1(VALU_DEP_1)
	v_pk_fma_f32 v[84:85], v[82:83], v[70:71], v[80:81] op_sel:[0,0,1] op_sel_hi:[1,1,0] neg_lo:[0,0,1] neg_hi:[0,0,1]
	v_pk_fma_f32 v[80:81], v[82:83], v[70:71], v[80:81] op_sel:[0,0,1] op_sel_hi:[1,0,0]
	v_mov_b32_e32 v85, v81
	ds_load_2addr_b64 v[80:83], v74 offset0:22 offset1:23
	v_pk_add_f32 v[46:47], v[46:47], v[86:87] neg_lo:[0,1] neg_hi:[0,1]
	v_pk_add_f32 v[42:43], v[42:43], v[84:85] neg_lo:[0,1] neg_hi:[0,1]
	s_wait_dscnt 0x0
	v_dual_mul_f32 v84, v81, v73 :: v_dual_mul_f32 v86, v81, v70
	s_delay_alu instid0(VALU_DEP_1) | instskip(NEXT) | instid1(VALU_DEP_2)
	v_pk_fma_f32 v[84:85], v[80:81], v[60:61], v[84:85] op_sel_hi:[1,1,0] neg_lo:[0,0,1] neg_hi:[0,0,1]
	v_pk_fma_f32 v[80:81], v[80:81], v[60:61], v[86:87] op_sel:[1,0,0] op_sel_hi:[0,1,0]
	s_delay_alu instid0(VALU_DEP_1) | instskip(SKIP_1) | instid1(VALU_DEP_2)
	v_mov_b32_e32 v85, v81
	v_pk_mul_f32 v[80:81], v[82:83], v[72:73] op_sel:[0,1]
	v_pk_add_f32 v[44:45], v[44:45], v[84:85] neg_lo:[0,1] neg_hi:[0,1]
	s_delay_alu instid0(VALU_DEP_2) | instskip(SKIP_1) | instid1(VALU_DEP_1)
	v_pk_fma_f32 v[84:85], v[82:83], v[70:71], v[80:81] op_sel:[0,0,1] op_sel_hi:[1,1,0] neg_lo:[0,0,1] neg_hi:[0,0,1]
	v_pk_fma_f32 v[80:81], v[82:83], v[70:71], v[80:81] op_sel:[0,0,1] op_sel_hi:[1,0,0]
	v_mov_b32_e32 v85, v81
	ds_load_2addr_b64 v[80:83], v74 offset0:24 offset1:25
	v_pk_add_f32 v[10:11], v[10:11], v[84:85] neg_lo:[0,1] neg_hi:[0,1]
	s_wait_dscnt 0x0
	v_pk_mul_f32 v[84:85], v[80:81], v[72:73] op_sel:[0,1]
	s_delay_alu instid0(VALU_DEP_1) | instskip(SKIP_1) | instid1(VALU_DEP_1)
	v_pk_fma_f32 v[86:87], v[80:81], v[70:71], v[84:85] op_sel:[0,0,1] op_sel_hi:[1,1,0] neg_lo:[0,0,1] neg_hi:[0,0,1]
	v_pk_fma_f32 v[80:81], v[80:81], v[70:71], v[84:85] op_sel:[0,0,1] op_sel_hi:[1,0,0]
	v_mov_b32_e32 v87, v81
	v_pk_mul_f32 v[80:81], v[82:83], v[72:73] op_sel:[0,1]
	s_delay_alu instid0(VALU_DEP_2) | instskip(NEXT) | instid1(VALU_DEP_2)
	v_pk_add_f32 v[28:29], v[28:29], v[86:87] neg_lo:[0,1] neg_hi:[0,1]
	v_pk_fma_f32 v[84:85], v[82:83], v[70:71], v[80:81] op_sel:[0,0,1] op_sel_hi:[1,1,0] neg_lo:[0,0,1] neg_hi:[0,0,1]
	v_pk_fma_f32 v[80:81], v[82:83], v[70:71], v[80:81] op_sel:[0,0,1] op_sel_hi:[1,0,0]
	s_delay_alu instid0(VALU_DEP_1) | instskip(SKIP_4) | instid1(VALU_DEP_1)
	v_mov_b32_e32 v85, v81
	ds_load_2addr_b64 v[80:83], v74 offset0:26 offset1:27
	v_pk_add_f32 v[24:25], v[24:25], v[84:85] neg_lo:[0,1] neg_hi:[0,1]
	s_wait_dscnt 0x0
	v_pk_mul_f32 v[84:85], v[80:81], v[72:73] op_sel:[0,1]
	v_pk_fma_f32 v[86:87], v[80:81], v[70:71], v[84:85] op_sel:[0,0,1] op_sel_hi:[1,1,0] neg_lo:[0,0,1] neg_hi:[0,0,1]
	v_pk_fma_f32 v[80:81], v[80:81], v[70:71], v[84:85] op_sel:[0,0,1] op_sel_hi:[1,0,0]
	v_dual_mul_f32 v84, v83, v73 :: v_dual_mov_b32 v80, v83
	s_delay_alu instid0(VALU_DEP_2) | instskip(NEXT) | instid1(VALU_DEP_2)
	v_dual_mov_b32 v87, v81 :: v_dual_mov_b32 v81, v82
	v_pk_fma_f32 v[84:85], v[82:83], v[60:61], v[84:85] op_sel_hi:[1,1,0] neg_lo:[0,0,1] neg_hi:[0,0,1]
	v_mul_f32_e32 v82, v83, v70
	s_delay_alu instid0(VALU_DEP_3) | instskip(NEXT) | instid1(VALU_DEP_2)
	v_pk_add_f32 v[26:27], v[26:27], v[86:87] neg_lo:[0,1] neg_hi:[0,1]
	v_pk_fma_f32 v[80:81], v[80:81], v[60:61], v[82:83] op_sel_hi:[1,1,0]
	s_delay_alu instid0(VALU_DEP_1) | instskip(SKIP_4) | instid1(VALU_DEP_1)
	v_mov_b32_e32 v85, v81
	ds_load_2addr_b64 v[80:83], v74 offset0:28 offset1:29
	v_pk_add_f32 v[12:13], v[12:13], v[84:85] neg_lo:[0,1] neg_hi:[0,1]
	s_wait_dscnt 0x0
	v_pk_mul_f32 v[84:85], v[80:81], v[72:73] op_sel:[0,1]
	v_pk_fma_f32 v[86:87], v[80:81], v[70:71], v[84:85] op_sel:[0,0,1] op_sel_hi:[1,1,0] neg_lo:[0,0,1] neg_hi:[0,0,1]
	v_pk_fma_f32 v[80:81], v[80:81], v[70:71], v[84:85] op_sel:[0,0,1] op_sel_hi:[1,0,0]
	s_delay_alu instid0(VALU_DEP_1) | instskip(SKIP_1) | instid1(VALU_DEP_1)
	v_mov_b32_e32 v87, v81
	v_pk_mul_f32 v[80:81], v[82:83], v[72:73] op_sel:[0,1]
	v_pk_fma_f32 v[84:85], v[82:83], v[70:71], v[80:81] op_sel:[0,0,1] op_sel_hi:[1,1,0] neg_lo:[0,0,1] neg_hi:[0,0,1]
	v_pk_fma_f32 v[80:81], v[82:83], v[70:71], v[80:81] op_sel:[0,0,1] op_sel_hi:[1,0,0]
	s_delay_alu instid0(VALU_DEP_1)
	v_mov_b32_e32 v85, v81
	ds_load_2addr_b64 v[80:83], v74 offset0:30 offset1:31
	v_pk_add_f32 v[22:23], v[22:23], v[86:87] neg_lo:[0,1] neg_hi:[0,1]
	v_pk_add_f32 v[20:21], v[20:21], v[84:85] neg_lo:[0,1] neg_hi:[0,1]
	s_wait_dscnt 0x0
	v_pk_mul_f32 v[84:85], v[80:81], v[72:73] op_sel:[0,1]
	v_pk_mul_f32 v[72:73], v[82:83], v[72:73] op_sel:[0,1]
	s_delay_alu instid0(VALU_DEP_2) | instskip(SKIP_1) | instid1(VALU_DEP_1)
	v_pk_fma_f32 v[86:87], v[80:81], v[70:71], v[84:85] op_sel:[0,0,1] op_sel_hi:[1,1,0] neg_lo:[0,0,1] neg_hi:[0,0,1]
	v_pk_fma_f32 v[80:81], v[80:81], v[70:71], v[84:85] op_sel:[0,0,1] op_sel_hi:[1,0,0]
	v_mov_b32_e32 v87, v81
	s_delay_alu instid0(VALU_DEP_4) | instskip(SKIP_1) | instid1(VALU_DEP_1)
	v_pk_fma_f32 v[80:81], v[82:83], v[70:71], v[72:73] op_sel:[0,0,1] op_sel_hi:[1,1,0] neg_lo:[0,0,1] neg_hi:[0,0,1]
	v_pk_fma_f32 v[70:71], v[82:83], v[70:71], v[72:73] op_sel:[0,0,1] op_sel_hi:[1,0,0]
	v_mov_b32_e32 v81, v71
	s_delay_alu instid0(VALU_DEP_4) | instskip(NEXT) | instid1(VALU_DEP_2)
	v_pk_add_f32 v[18:19], v[18:19], v[86:87] neg_lo:[0,1] neg_hi:[0,1]
	v_pk_add_f32 v[68:69], v[68:69], v[80:81] neg_lo:[0,1] neg_hi:[0,1]
.LBB62_83:
	s_or_b32 exec_lo, exec_lo, s0
	v_lshl_add_u32 v70, v78, 3, v74
	s_barrier_signal -1
	s_barrier_wait -1
	ds_store_b64 v70, v[34:35]
	s_wait_dscnt 0x0
	s_barrier_signal -1
	s_barrier_wait -1
	ds_load_b64 v[72:73], v74 offset:32
	v_mov_b32_e32 v70, 4
	s_cmp_lt_i32 s18, 6
	s_cbranch_scc1 .LBB62_86
; %bb.84:
	v_add3_u32 v71, v75, 0, 40
	v_mov_b32_e32 v70, 4
	s_mov_b32 s0, 5
.LBB62_85:                              ; =>This Inner Loop Header: Depth=1
	ds_load_b64 v[80:81], v71
	s_wait_dscnt 0x1
	v_cmp_gt_f32_e32 vcc_lo, 0, v72
	v_cndmask_b32_e64 v82, v72, -v72, vcc_lo
	v_cmp_gt_f32_e32 vcc_lo, 0, v73
	v_cndmask_b32_e64 v84, v73, -v73, vcc_lo
	s_wait_dscnt 0x0
	v_cmp_gt_f32_e32 vcc_lo, 0, v80
	v_cndmask_b32_e64 v83, v80, -v80, vcc_lo
	v_cmp_gt_f32_e32 vcc_lo, 0, v81
	v_cndmask_b32_e64 v85, v81, -v81, vcc_lo
	s_delay_alu instid0(VALU_DEP_1) | instskip(NEXT) | instid1(VALU_DEP_1)
	v_pk_add_f32 v[82:83], v[82:83], v[84:85]
	v_cmp_lt_f32_e32 vcc_lo, v82, v83
	v_dual_add_nc_u32 v71, 8, v71 :: v_dual_cndmask_b32 v73, v73, v81, vcc_lo
	v_cndmask_b32_e32 v72, v72, v80, vcc_lo
	v_cndmask_b32_e64 v70, v70, s0, vcc_lo
	s_add_co_i32 s0, s0, 1
	s_delay_alu instid0(SALU_CYCLE_1)
	s_cmp_lg_u32 s18, s0
	s_cbranch_scc1 .LBB62_85
.LBB62_86:
	s_wait_dscnt 0x0
	v_cmp_eq_f32_e32 vcc_lo, 0, v72
	v_cmp_eq_f32_e64 s0, 0, v73
	s_and_b32 s0, vcc_lo, s0
	s_delay_alu instid0(SALU_CYCLE_1) | instskip(NEXT) | instid1(SALU_CYCLE_1)
	s_and_saveexec_b32 s1, s0
	s_xor_b32 s0, exec_lo, s1
; %bb.87:
	v_cmp_ne_u32_e32 vcc_lo, 0, v76
	v_cndmask_b32_e32 v76, 5, v76, vcc_lo
; %bb.88:
	s_and_not1_saveexec_b32 s0, s0
	s_cbranch_execz .LBB62_94
; %bb.89:
	v_cmp_ngt_f32_e64 s1, |v72|, |v73|
	s_and_saveexec_b32 s12, s1
	s_delay_alu instid0(SALU_CYCLE_1)
	s_xor_b32 s1, exec_lo, s12
	s_cbranch_execz .LBB62_91
; %bb.90:
	v_div_scale_f32 v71, null, v73, v73, v72
	v_div_scale_f32 v81, vcc_lo, v72, v73, v72
	s_delay_alu instid0(VALU_DEP_2) | instskip(SKIP_1) | instid1(TRANS32_DEP_1)
	v_rcp_f32_e32 v79, v71
	v_nop
	v_fma_f32 v80, -v71, v79, 1.0
	s_delay_alu instid0(VALU_DEP_1) | instskip(NEXT) | instid1(VALU_DEP_1)
	v_fmac_f32_e32 v79, v80, v79
	v_mul_f32_e32 v80, v81, v79
	s_delay_alu instid0(VALU_DEP_1) | instskip(NEXT) | instid1(VALU_DEP_1)
	v_fma_f32 v82, -v71, v80, v81
	v_fmac_f32_e32 v80, v82, v79
	s_delay_alu instid0(VALU_DEP_1) | instskip(NEXT) | instid1(VALU_DEP_1)
	v_fma_f32 v71, -v71, v80, v81
	v_div_fmas_f32 v71, v71, v79, v80
	s_delay_alu instid0(VALU_DEP_1) | instskip(NEXT) | instid1(VALU_DEP_1)
	v_div_fixup_f32 v71, v71, v73, v72
	v_fmac_f32_e32 v73, v72, v71
	s_delay_alu instid0(VALU_DEP_1) | instskip(SKIP_1) | instid1(VALU_DEP_2)
	v_div_scale_f32 v72, null, v73, v73, 1.0
	v_div_scale_f32 v81, vcc_lo, 1.0, v73, 1.0
	v_rcp_f32_e32 v79, v72
	v_nop
	s_delay_alu instid0(TRANS32_DEP_1) | instskip(NEXT) | instid1(VALU_DEP_1)
	v_fma_f32 v80, -v72, v79, 1.0
	v_fmac_f32_e32 v79, v80, v79
	s_delay_alu instid0(VALU_DEP_1) | instskip(NEXT) | instid1(VALU_DEP_1)
	v_mul_f32_e32 v80, v81, v79
	v_fma_f32 v82, -v72, v80, v81
	s_delay_alu instid0(VALU_DEP_1) | instskip(NEXT) | instid1(VALU_DEP_1)
	v_fmac_f32_e32 v80, v82, v79
	v_fma_f32 v72, -v72, v80, v81
	s_delay_alu instid0(VALU_DEP_1) | instskip(NEXT) | instid1(VALU_DEP_1)
	v_div_fmas_f32 v72, v72, v79, v80
	v_div_fixup_f32 v73, v72, v73, 1.0
	s_delay_alu instid0(VALU_DEP_1)
	v_mul_f32_e32 v72, v71, v73
	v_xor_b32_e32 v73, 0x80000000, v73
.LBB62_91:
	s_and_not1_saveexec_b32 s1, s1
	s_cbranch_execz .LBB62_93
; %bb.92:
	s_delay_alu instid0(VALU_DEP_1) | instskip(SKIP_1) | instid1(VALU_DEP_2)
	v_div_scale_f32 v71, null, v72, v72, v73
	v_div_scale_f32 v81, vcc_lo, v73, v72, v73
	v_rcp_f32_e32 v79, v71
	v_nop
	s_delay_alu instid0(TRANS32_DEP_1) | instskip(NEXT) | instid1(VALU_DEP_1)
	v_fma_f32 v80, -v71, v79, 1.0
	v_fmac_f32_e32 v79, v80, v79
	s_delay_alu instid0(VALU_DEP_1) | instskip(NEXT) | instid1(VALU_DEP_1)
	v_mul_f32_e32 v80, v81, v79
	v_fma_f32 v82, -v71, v80, v81
	s_delay_alu instid0(VALU_DEP_1) | instskip(NEXT) | instid1(VALU_DEP_1)
	v_fmac_f32_e32 v80, v82, v79
	v_fma_f32 v71, -v71, v80, v81
	s_delay_alu instid0(VALU_DEP_1) | instskip(NEXT) | instid1(VALU_DEP_1)
	v_div_fmas_f32 v71, v71, v79, v80
	v_div_fixup_f32 v71, v71, v72, v73
	s_delay_alu instid0(VALU_DEP_1) | instskip(NEXT) | instid1(VALU_DEP_1)
	v_fmac_f32_e32 v72, v73, v71
	v_div_scale_f32 v73, null, v72, v72, 1.0
	s_delay_alu instid0(VALU_DEP_1) | instskip(SKIP_1) | instid1(TRANS32_DEP_1)
	v_rcp_f32_e32 v79, v73
	v_nop
	v_fma_f32 v80, -v73, v79, 1.0
	s_delay_alu instid0(VALU_DEP_1) | instskip(SKIP_1) | instid1(VALU_DEP_1)
	v_fmac_f32_e32 v79, v80, v79
	v_div_scale_f32 v80, vcc_lo, 1.0, v72, 1.0
	v_mul_f32_e32 v81, v80, v79
	s_delay_alu instid0(VALU_DEP_1) | instskip(NEXT) | instid1(VALU_DEP_1)
	v_fma_f32 v82, -v73, v81, v80
	v_fmac_f32_e32 v81, v82, v79
	s_delay_alu instid0(VALU_DEP_1) | instskip(NEXT) | instid1(VALU_DEP_1)
	v_fma_f32 v73, -v73, v81, v80
	v_div_fmas_f32 v73, v73, v79, v81
	s_delay_alu instid0(VALU_DEP_1) | instskip(NEXT) | instid1(VALU_DEP_1)
	v_div_fixup_f32 v72, v73, v72, 1.0
	v_mul_f32_e64 v73, v71, -v72
.LBB62_93:
	s_or_b32 exec_lo, exec_lo, s1
.LBB62_94:
	s_delay_alu instid0(SALU_CYCLE_1) | instskip(NEXT) | instid1(SALU_CYCLE_1)
	s_or_b32 exec_lo, exec_lo, s0
	s_mov_b32 s0, exec_lo
	v_cmpx_ne_u32_e64 v78, v70
	s_xor_b32 s0, exec_lo, s0
	s_cbranch_execz .LBB62_100
; %bb.95:
	s_mov_b32 s1, exec_lo
	v_cmpx_eq_u32_e32 4, v78
	s_cbranch_execz .LBB62_99
; %bb.96:
	v_cmp_ne_u32_e32 vcc_lo, 4, v70
	s_xor_b32 s12, s16, -1
	s_delay_alu instid0(SALU_CYCLE_1) | instskip(NEXT) | instid1(SALU_CYCLE_1)
	s_and_b32 s13, s12, vcc_lo
	s_and_saveexec_b32 s12, s13
	s_cbranch_execz .LBB62_98
; %bb.97:
	v_ashrrev_i32_e32 v71, 31, v70
	s_delay_alu instid0(VALU_DEP_1)
	v_lshl_add_u64 v[78:79], v[70:71], 2, v[4:5]
	s_clause 0x1
	global_load_b32 v71, v[78:79], off
	global_load_b32 v77, v[4:5], off offset:16
	s_wait_loadcnt 0x1
	global_store_b32 v[4:5], v71, off offset:16
	s_wait_loadcnt 0x0
	global_store_b32 v[78:79], v77, off
.LBB62_98:
	s_wait_xcnt 0x0
	s_or_b32 exec_lo, exec_lo, s12
	v_dual_mov_b32 v78, v70 :: v_dual_mov_b32 v77, v70
.LBB62_99:
	s_or_b32 exec_lo, exec_lo, s1
.LBB62_100:
	s_and_not1_saveexec_b32 s0, s0
	s_cbranch_execz .LBB62_102
; %bb.101:
	v_mov_b32_e32 v78, 4
	ds_store_2addr_b64 v74, v[30:31], v[32:33] offset0:5 offset1:6
	ds_store_2addr_b64 v74, v[6:7], v[40:41] offset0:7 offset1:8
	;; [unrolled: 1-line block ×13, first 2 shown]
	ds_store_b64 v74, v[68:69] offset:248
.LBB62_102:
	s_or_b32 exec_lo, exec_lo, s0
	s_delay_alu instid0(SALU_CYCLE_1)
	s_mov_b32 s0, exec_lo
	s_wait_storecnt_dscnt 0x0
	s_barrier_signal -1
	s_barrier_wait -1
	v_cmpx_lt_i32_e32 4, v78
	s_cbranch_execz .LBB62_104
; %bb.103:
	v_pk_mul_f32 v[80:81], v[72:73], v[34:35] op_sel:[1,1] op_sel_hi:[0,1]
	s_delay_alu instid0(VALU_DEP_1)
	v_pk_fma_f32 v[70:71], v[72:73], v[34:35], v[80:81] op_sel_hi:[1,0,1] neg_lo:[0,0,1] neg_hi:[0,0,1]
	v_pk_fma_f32 v[72:73], v[72:73], v[34:35], v[80:81] op_sel_hi:[1,0,1]
	ds_load_2addr_b64 v[80:83], v74 offset0:5 offset1:6
	v_dual_mov_b32 v34, v70 :: v_dual_mov_b32 v35, v73
	s_wait_dscnt 0x0
	v_pk_mul_f32 v[84:85], v[80:81], v[72:73] op_sel:[0,1]
	s_delay_alu instid0(VALU_DEP_1) | instskip(SKIP_1) | instid1(VALU_DEP_1)
	v_pk_fma_f32 v[86:87], v[80:81], v[70:71], v[84:85] op_sel:[0,0,1] op_sel_hi:[1,1,0] neg_lo:[0,0,1] neg_hi:[0,0,1]
	v_pk_fma_f32 v[80:81], v[80:81], v[70:71], v[84:85] op_sel:[0,0,1] op_sel_hi:[1,0,0]
	v_mov_b32_e32 v87, v81
	v_pk_mul_f32 v[80:81], v[82:83], v[72:73] op_sel:[0,1]
	s_delay_alu instid0(VALU_DEP_1) | instskip(SKIP_1) | instid1(VALU_DEP_1)
	v_pk_fma_f32 v[84:85], v[82:83], v[70:71], v[80:81] op_sel:[0,0,1] op_sel_hi:[1,1,0] neg_lo:[0,0,1] neg_hi:[0,0,1]
	v_pk_fma_f32 v[80:81], v[82:83], v[70:71], v[80:81] op_sel:[0,0,1] op_sel_hi:[1,0,0]
	v_mov_b32_e32 v85, v81
	ds_load_2addr_b64 v[80:83], v74 offset0:7 offset1:8
	v_pk_add_f32 v[30:31], v[30:31], v[86:87] neg_lo:[0,1] neg_hi:[0,1]
	v_pk_add_f32 v[32:33], v[32:33], v[84:85] neg_lo:[0,1] neg_hi:[0,1]
	s_wait_dscnt 0x0
	v_pk_mul_f32 v[84:85], v[80:81], v[72:73] op_sel:[0,1]
	s_delay_alu instid0(VALU_DEP_1) | instskip(SKIP_2) | instid1(VALU_DEP_2)
	v_pk_fma_f32 v[86:87], v[80:81], v[70:71], v[84:85] op_sel:[0,0,1] op_sel_hi:[1,1,0] neg_lo:[0,0,1] neg_hi:[0,0,1]
	v_pk_fma_f32 v[80:81], v[80:81], v[70:71], v[84:85] op_sel:[0,0,1] op_sel_hi:[1,0,0]
	v_dual_mul_f32 v84, v83, v73 :: v_dual_mov_b32 v80, v83
	v_dual_mov_b32 v87, v81 :: v_dual_mov_b32 v81, v82
	s_delay_alu instid0(VALU_DEP_2) | instskip(SKIP_1) | instid1(VALU_DEP_3)
	v_pk_fma_f32 v[84:85], v[82:83], v[34:35], v[84:85] op_sel_hi:[1,1,0] neg_lo:[0,0,1] neg_hi:[0,0,1]
	v_mul_f32_e32 v82, v83, v70
	v_pk_add_f32 v[6:7], v[6:7], v[86:87] neg_lo:[0,1] neg_hi:[0,1]
	s_delay_alu instid0(VALU_DEP_2) | instskip(NEXT) | instid1(VALU_DEP_1)
	v_pk_fma_f32 v[80:81], v[80:81], v[34:35], v[82:83] op_sel_hi:[1,1,0]
	v_mov_b32_e32 v85, v81
	ds_load_2addr_b64 v[80:83], v74 offset0:9 offset1:10
	v_pk_add_f32 v[40:41], v[40:41], v[84:85] neg_lo:[0,1] neg_hi:[0,1]
	s_wait_dscnt 0x0
	v_pk_mul_f32 v[84:85], v[80:81], v[72:73] op_sel:[0,1]
	s_delay_alu instid0(VALU_DEP_1) | instskip(SKIP_1) | instid1(VALU_DEP_1)
	v_pk_fma_f32 v[86:87], v[80:81], v[70:71], v[84:85] op_sel:[0,0,1] op_sel_hi:[1,1,0] neg_lo:[0,0,1] neg_hi:[0,0,1]
	v_pk_fma_f32 v[80:81], v[80:81], v[70:71], v[84:85] op_sel:[0,0,1] op_sel_hi:[1,0,0]
	v_mov_b32_e32 v87, v81
	v_pk_mul_f32 v[80:81], v[82:83], v[72:73] op_sel:[0,1]
	s_delay_alu instid0(VALU_DEP_1) | instskip(SKIP_1) | instid1(VALU_DEP_1)
	v_pk_fma_f32 v[84:85], v[82:83], v[70:71], v[80:81] op_sel:[0,0,1] op_sel_hi:[1,1,0] neg_lo:[0,0,1] neg_hi:[0,0,1]
	v_pk_fma_f32 v[80:81], v[82:83], v[70:71], v[80:81] op_sel:[0,0,1] op_sel_hi:[1,0,0]
	v_mov_b32_e32 v85, v81
	ds_load_2addr_b64 v[80:83], v74 offset0:11 offset1:12
	v_pk_add_f32 v[36:37], v[36:37], v[86:87] neg_lo:[0,1] neg_hi:[0,1]
	v_pk_add_f32 v[38:39], v[38:39], v[84:85] neg_lo:[0,1] neg_hi:[0,1]
	s_wait_dscnt 0x0
	v_pk_mul_f32 v[84:85], v[80:81], v[72:73] op_sel:[0,1]
	s_delay_alu instid0(VALU_DEP_1) | instskip(SKIP_1) | instid1(VALU_DEP_1)
	v_pk_fma_f32 v[86:87], v[80:81], v[70:71], v[84:85] op_sel:[0,0,1] op_sel_hi:[1,1,0] neg_lo:[0,0,1] neg_hi:[0,0,1]
	v_pk_fma_f32 v[80:81], v[80:81], v[70:71], v[84:85] op_sel:[0,0,1] op_sel_hi:[1,0,0]
	v_mov_b32_e32 v87, v81
	v_pk_mul_f32 v[80:81], v[82:83], v[72:73] op_sel:[0,1]
	s_delay_alu instid0(VALU_DEP_1) | instskip(SKIP_1) | instid1(VALU_DEP_1)
	v_pk_fma_f32 v[84:85], v[82:83], v[70:71], v[80:81] op_sel:[0,0,1] op_sel_hi:[1,1,0] neg_lo:[0,0,1] neg_hi:[0,0,1]
	v_pk_fma_f32 v[80:81], v[82:83], v[70:71], v[80:81] op_sel:[0,0,1] op_sel_hi:[1,0,0]
	v_mov_b32_e32 v85, v81
	ds_load_2addr_b64 v[80:83], v74 offset0:13 offset1:14
	v_pk_add_f32 v[8:9], v[8:9], v[86:87] neg_lo:[0,1] neg_hi:[0,1]
	v_pk_add_f32 v[52:53], v[52:53], v[84:85] neg_lo:[0,1] neg_hi:[0,1]
	s_wait_dscnt 0x0
	v_dual_mul_f32 v84, v81, v73 :: v_dual_mul_f32 v86, v81, v70
	s_delay_alu instid0(VALU_DEP_1) | instskip(NEXT) | instid1(VALU_DEP_2)
	v_pk_fma_f32 v[84:85], v[80:81], v[34:35], v[84:85] op_sel_hi:[1,1,0] neg_lo:[0,0,1] neg_hi:[0,0,1]
	v_pk_fma_f32 v[80:81], v[80:81], v[34:35], v[86:87] op_sel:[1,0,0] op_sel_hi:[0,1,0]
	s_delay_alu instid0(VALU_DEP_1) | instskip(SKIP_1) | instid1(VALU_DEP_2)
	v_mov_b32_e32 v85, v81
	v_pk_mul_f32 v[80:81], v[82:83], v[72:73] op_sel:[0,1]
	v_pk_add_f32 v[48:49], v[48:49], v[84:85] neg_lo:[0,1] neg_hi:[0,1]
	s_delay_alu instid0(VALU_DEP_2) | instskip(SKIP_1) | instid1(VALU_DEP_1)
	v_pk_fma_f32 v[84:85], v[82:83], v[70:71], v[80:81] op_sel:[0,0,1] op_sel_hi:[1,1,0] neg_lo:[0,0,1] neg_hi:[0,0,1]
	v_pk_fma_f32 v[80:81], v[82:83], v[70:71], v[80:81] op_sel:[0,0,1] op_sel_hi:[1,0,0]
	v_mov_b32_e32 v85, v81
	ds_load_2addr_b64 v[80:83], v74 offset0:15 offset1:16
	v_pk_add_f32 v[50:51], v[50:51], v[84:85] neg_lo:[0,1] neg_hi:[0,1]
	s_wait_dscnt 0x0
	v_pk_mul_f32 v[84:85], v[80:81], v[72:73] op_sel:[0,1]
	s_delay_alu instid0(VALU_DEP_1) | instskip(SKIP_1) | instid1(VALU_DEP_1)
	v_pk_fma_f32 v[86:87], v[80:81], v[70:71], v[84:85] op_sel:[0,0,1] op_sel_hi:[1,1,0] neg_lo:[0,0,1] neg_hi:[0,0,1]
	v_pk_fma_f32 v[80:81], v[80:81], v[70:71], v[84:85] op_sel:[0,0,1] op_sel_hi:[1,0,0]
	v_mov_b32_e32 v87, v81
	v_pk_mul_f32 v[80:81], v[82:83], v[72:73] op_sel:[0,1]
	s_delay_alu instid0(VALU_DEP_2) | instskip(NEXT) | instid1(VALU_DEP_2)
	v_pk_add_f32 v[14:15], v[14:15], v[86:87] neg_lo:[0,1] neg_hi:[0,1]
	v_pk_fma_f32 v[84:85], v[82:83], v[70:71], v[80:81] op_sel:[0,0,1] op_sel_hi:[1,1,0] neg_lo:[0,0,1] neg_hi:[0,0,1]
	v_pk_fma_f32 v[80:81], v[82:83], v[70:71], v[80:81] op_sel:[0,0,1] op_sel_hi:[1,0,0]
	s_delay_alu instid0(VALU_DEP_1) | instskip(SKIP_4) | instid1(VALU_DEP_1)
	v_mov_b32_e32 v85, v81
	ds_load_2addr_b64 v[80:83], v74 offset0:17 offset1:18
	v_pk_add_f32 v[58:59], v[58:59], v[84:85] neg_lo:[0,1] neg_hi:[0,1]
	s_wait_dscnt 0x0
	v_pk_mul_f32 v[84:85], v[80:81], v[72:73] op_sel:[0,1]
	v_pk_fma_f32 v[86:87], v[80:81], v[70:71], v[84:85] op_sel:[0,0,1] op_sel_hi:[1,1,0] neg_lo:[0,0,1] neg_hi:[0,0,1]
	v_pk_fma_f32 v[80:81], v[80:81], v[70:71], v[84:85] op_sel:[0,0,1] op_sel_hi:[1,0,0]
	v_dual_mul_f32 v84, v83, v73 :: v_dual_mov_b32 v80, v83
	s_delay_alu instid0(VALU_DEP_2) | instskip(NEXT) | instid1(VALU_DEP_2)
	v_dual_mov_b32 v87, v81 :: v_dual_mov_b32 v81, v82
	v_pk_fma_f32 v[84:85], v[82:83], v[34:35], v[84:85] op_sel_hi:[1,1,0] neg_lo:[0,0,1] neg_hi:[0,0,1]
	v_mul_f32_e32 v82, v83, v70
	s_delay_alu instid0(VALU_DEP_3) | instskip(NEXT) | instid1(VALU_DEP_2)
	v_pk_add_f32 v[54:55], v[54:55], v[86:87] neg_lo:[0,1] neg_hi:[0,1]
	v_pk_fma_f32 v[80:81], v[80:81], v[34:35], v[82:83] op_sel_hi:[1,1,0]
	s_delay_alu instid0(VALU_DEP_1) | instskip(SKIP_4) | instid1(VALU_DEP_1)
	v_mov_b32_e32 v85, v81
	ds_load_2addr_b64 v[80:83], v74 offset0:19 offset1:20
	v_pk_add_f32 v[56:57], v[56:57], v[84:85] neg_lo:[0,1] neg_hi:[0,1]
	s_wait_dscnt 0x0
	v_pk_mul_f32 v[84:85], v[80:81], v[72:73] op_sel:[0,1]
	v_pk_fma_f32 v[86:87], v[80:81], v[70:71], v[84:85] op_sel:[0,0,1] op_sel_hi:[1,1,0] neg_lo:[0,0,1] neg_hi:[0,0,1]
	v_pk_fma_f32 v[80:81], v[80:81], v[70:71], v[84:85] op_sel:[0,0,1] op_sel_hi:[1,0,0]
	s_delay_alu instid0(VALU_DEP_1) | instskip(SKIP_1) | instid1(VALU_DEP_1)
	v_mov_b32_e32 v87, v81
	v_pk_mul_f32 v[80:81], v[82:83], v[72:73] op_sel:[0,1]
	v_pk_fma_f32 v[84:85], v[82:83], v[70:71], v[80:81] op_sel:[0,0,1] op_sel_hi:[1,1,0] neg_lo:[0,0,1] neg_hi:[0,0,1]
	v_pk_fma_f32 v[80:81], v[82:83], v[70:71], v[80:81] op_sel:[0,0,1] op_sel_hi:[1,0,0]
	s_delay_alu instid0(VALU_DEP_1)
	v_mov_b32_e32 v85, v81
	ds_load_2addr_b64 v[80:83], v74 offset0:21 offset1:22
	v_pk_add_f32 v[16:17], v[16:17], v[86:87] neg_lo:[0,1] neg_hi:[0,1]
	v_pk_add_f32 v[46:47], v[46:47], v[84:85] neg_lo:[0,1] neg_hi:[0,1]
	s_wait_dscnt 0x0
	v_pk_mul_f32 v[84:85], v[80:81], v[72:73] op_sel:[0,1]
	s_delay_alu instid0(VALU_DEP_1) | instskip(SKIP_1) | instid1(VALU_DEP_1)
	v_pk_fma_f32 v[86:87], v[80:81], v[70:71], v[84:85] op_sel:[0,0,1] op_sel_hi:[1,1,0] neg_lo:[0,0,1] neg_hi:[0,0,1]
	v_pk_fma_f32 v[80:81], v[80:81], v[70:71], v[84:85] op_sel:[0,0,1] op_sel_hi:[1,0,0]
	v_mov_b32_e32 v87, v81
	v_pk_mul_f32 v[80:81], v[82:83], v[72:73] op_sel:[0,1]
	s_delay_alu instid0(VALU_DEP_1) | instskip(SKIP_1) | instid1(VALU_DEP_1)
	v_pk_fma_f32 v[84:85], v[82:83], v[70:71], v[80:81] op_sel:[0,0,1] op_sel_hi:[1,1,0] neg_lo:[0,0,1] neg_hi:[0,0,1]
	v_pk_fma_f32 v[80:81], v[82:83], v[70:71], v[80:81] op_sel:[0,0,1] op_sel_hi:[1,0,0]
	v_mov_b32_e32 v85, v81
	ds_load_2addr_b64 v[80:83], v74 offset0:23 offset1:24
	v_pk_add_f32 v[42:43], v[42:43], v[86:87] neg_lo:[0,1] neg_hi:[0,1]
	v_pk_add_f32 v[44:45], v[44:45], v[84:85] neg_lo:[0,1] neg_hi:[0,1]
	s_wait_dscnt 0x0
	v_dual_mul_f32 v84, v81, v73 :: v_dual_mul_f32 v86, v81, v70
	s_delay_alu instid0(VALU_DEP_1) | instskip(NEXT) | instid1(VALU_DEP_2)
	v_pk_fma_f32 v[84:85], v[80:81], v[34:35], v[84:85] op_sel_hi:[1,1,0] neg_lo:[0,0,1] neg_hi:[0,0,1]
	v_pk_fma_f32 v[80:81], v[80:81], v[34:35], v[86:87] op_sel:[1,0,0] op_sel_hi:[0,1,0]
	s_delay_alu instid0(VALU_DEP_1) | instskip(SKIP_1) | instid1(VALU_DEP_2)
	v_mov_b32_e32 v85, v81
	v_pk_mul_f32 v[80:81], v[82:83], v[72:73] op_sel:[0,1]
	v_pk_add_f32 v[10:11], v[10:11], v[84:85] neg_lo:[0,1] neg_hi:[0,1]
	s_delay_alu instid0(VALU_DEP_2) | instskip(SKIP_1) | instid1(VALU_DEP_1)
	v_pk_fma_f32 v[84:85], v[82:83], v[70:71], v[80:81] op_sel:[0,0,1] op_sel_hi:[1,1,0] neg_lo:[0,0,1] neg_hi:[0,0,1]
	v_pk_fma_f32 v[80:81], v[82:83], v[70:71], v[80:81] op_sel:[0,0,1] op_sel_hi:[1,0,0]
	v_mov_b32_e32 v85, v81
	ds_load_2addr_b64 v[80:83], v74 offset0:25 offset1:26
	v_pk_add_f32 v[28:29], v[28:29], v[84:85] neg_lo:[0,1] neg_hi:[0,1]
	s_wait_dscnt 0x0
	v_pk_mul_f32 v[84:85], v[80:81], v[72:73] op_sel:[0,1]
	s_delay_alu instid0(VALU_DEP_1) | instskip(SKIP_1) | instid1(VALU_DEP_1)
	v_pk_fma_f32 v[86:87], v[80:81], v[70:71], v[84:85] op_sel:[0,0,1] op_sel_hi:[1,1,0] neg_lo:[0,0,1] neg_hi:[0,0,1]
	v_pk_fma_f32 v[80:81], v[80:81], v[70:71], v[84:85] op_sel:[0,0,1] op_sel_hi:[1,0,0]
	v_mov_b32_e32 v87, v81
	v_pk_mul_f32 v[80:81], v[82:83], v[72:73] op_sel:[0,1]
	s_delay_alu instid0(VALU_DEP_2) | instskip(NEXT) | instid1(VALU_DEP_2)
	v_pk_add_f32 v[24:25], v[24:25], v[86:87] neg_lo:[0,1] neg_hi:[0,1]
	v_pk_fma_f32 v[84:85], v[82:83], v[70:71], v[80:81] op_sel:[0,0,1] op_sel_hi:[1,1,0] neg_lo:[0,0,1] neg_hi:[0,0,1]
	v_pk_fma_f32 v[80:81], v[82:83], v[70:71], v[80:81] op_sel:[0,0,1] op_sel_hi:[1,0,0]
	s_delay_alu instid0(VALU_DEP_1) | instskip(SKIP_4) | instid1(VALU_DEP_1)
	v_mov_b32_e32 v85, v81
	ds_load_2addr_b64 v[80:83], v74 offset0:27 offset1:28
	v_pk_add_f32 v[26:27], v[26:27], v[84:85] neg_lo:[0,1] neg_hi:[0,1]
	s_wait_dscnt 0x0
	v_pk_mul_f32 v[84:85], v[80:81], v[72:73] op_sel:[0,1]
	v_pk_fma_f32 v[86:87], v[80:81], v[70:71], v[84:85] op_sel:[0,0,1] op_sel_hi:[1,1,0] neg_lo:[0,0,1] neg_hi:[0,0,1]
	v_pk_fma_f32 v[80:81], v[80:81], v[70:71], v[84:85] op_sel:[0,0,1] op_sel_hi:[1,0,0]
	v_dual_mul_f32 v84, v83, v73 :: v_dual_mov_b32 v80, v83
	s_delay_alu instid0(VALU_DEP_2) | instskip(NEXT) | instid1(VALU_DEP_2)
	v_dual_mov_b32 v87, v81 :: v_dual_mov_b32 v81, v82
	v_pk_fma_f32 v[84:85], v[82:83], v[34:35], v[84:85] op_sel_hi:[1,1,0] neg_lo:[0,0,1] neg_hi:[0,0,1]
	v_mul_f32_e32 v82, v83, v70
	s_delay_alu instid0(VALU_DEP_3) | instskip(NEXT) | instid1(VALU_DEP_2)
	v_pk_add_f32 v[12:13], v[12:13], v[86:87] neg_lo:[0,1] neg_hi:[0,1]
	v_pk_fma_f32 v[80:81], v[80:81], v[34:35], v[82:83] op_sel_hi:[1,1,0]
	s_delay_alu instid0(VALU_DEP_1) | instskip(SKIP_4) | instid1(VALU_DEP_1)
	v_mov_b32_e32 v85, v81
	ds_load_2addr_b64 v[80:83], v74 offset0:29 offset1:30
	v_pk_add_f32 v[22:23], v[22:23], v[84:85] neg_lo:[0,1] neg_hi:[0,1]
	s_wait_dscnt 0x0
	v_pk_mul_f32 v[84:85], v[80:81], v[72:73] op_sel:[0,1]
	v_pk_fma_f32 v[86:87], v[80:81], v[70:71], v[84:85] op_sel:[0,0,1] op_sel_hi:[1,1,0] neg_lo:[0,0,1] neg_hi:[0,0,1]
	v_pk_fma_f32 v[80:81], v[80:81], v[70:71], v[84:85] op_sel:[0,0,1] op_sel_hi:[1,0,0]
	s_delay_alu instid0(VALU_DEP_1) | instskip(SKIP_1) | instid1(VALU_DEP_1)
	v_mov_b32_e32 v87, v81
	v_pk_mul_f32 v[80:81], v[82:83], v[72:73] op_sel:[0,1]
	v_pk_fma_f32 v[84:85], v[82:83], v[70:71], v[80:81] op_sel:[0,0,1] op_sel_hi:[1,1,0] neg_lo:[0,0,1] neg_hi:[0,0,1]
	v_pk_fma_f32 v[80:81], v[82:83], v[70:71], v[80:81] op_sel:[0,0,1] op_sel_hi:[1,0,0]
	s_delay_alu instid0(VALU_DEP_1)
	v_mov_b32_e32 v85, v81
	ds_load_b64 v[80:81], v74 offset:248
	v_pk_add_f32 v[20:21], v[20:21], v[86:87] neg_lo:[0,1] neg_hi:[0,1]
	v_pk_add_f32 v[18:19], v[18:19], v[84:85] neg_lo:[0,1] neg_hi:[0,1]
	s_wait_dscnt 0x0
	v_pk_mul_f32 v[72:73], v[80:81], v[72:73] op_sel:[0,1]
	s_delay_alu instid0(VALU_DEP_1) | instskip(SKIP_1) | instid1(VALU_DEP_1)
	v_pk_fma_f32 v[82:83], v[80:81], v[70:71], v[72:73] op_sel:[0,0,1] op_sel_hi:[1,1,0] neg_lo:[0,0,1] neg_hi:[0,0,1]
	v_pk_fma_f32 v[70:71], v[80:81], v[70:71], v[72:73] op_sel:[0,0,1] op_sel_hi:[1,0,0]
	v_mov_b32_e32 v83, v71
	s_delay_alu instid0(VALU_DEP_1)
	v_pk_add_f32 v[68:69], v[68:69], v[82:83] neg_lo:[0,1] neg_hi:[0,1]
.LBB62_104:
	s_or_b32 exec_lo, exec_lo, s0
	v_lshl_add_u32 v70, v78, 3, v74
	s_barrier_signal -1
	s_barrier_wait -1
	ds_store_b64 v70, v[30:31]
	s_wait_dscnt 0x0
	s_barrier_signal -1
	s_barrier_wait -1
	ds_load_b64 v[72:73], v74 offset:40
	v_mov_b32_e32 v70, 5
	s_cmp_lt_i32 s18, 7
	s_cbranch_scc1 .LBB62_107
; %bb.105:
	v_add3_u32 v71, v75, 0, 48
	v_mov_b32_e32 v70, 5
	s_mov_b32 s0, 6
.LBB62_106:                             ; =>This Inner Loop Header: Depth=1
	ds_load_b64 v[80:81], v71
	s_wait_dscnt 0x1
	v_cmp_gt_f32_e32 vcc_lo, 0, v72
	v_cndmask_b32_e64 v82, v72, -v72, vcc_lo
	v_cmp_gt_f32_e32 vcc_lo, 0, v73
	v_cndmask_b32_e64 v84, v73, -v73, vcc_lo
	s_wait_dscnt 0x0
	v_cmp_gt_f32_e32 vcc_lo, 0, v80
	v_cndmask_b32_e64 v83, v80, -v80, vcc_lo
	v_cmp_gt_f32_e32 vcc_lo, 0, v81
	v_cndmask_b32_e64 v85, v81, -v81, vcc_lo
	s_delay_alu instid0(VALU_DEP_1) | instskip(NEXT) | instid1(VALU_DEP_1)
	v_pk_add_f32 v[82:83], v[82:83], v[84:85]
	v_cmp_lt_f32_e32 vcc_lo, v82, v83
	v_dual_add_nc_u32 v71, 8, v71 :: v_dual_cndmask_b32 v73, v73, v81, vcc_lo
	v_cndmask_b32_e32 v72, v72, v80, vcc_lo
	v_cndmask_b32_e64 v70, v70, s0, vcc_lo
	s_add_co_i32 s0, s0, 1
	s_delay_alu instid0(SALU_CYCLE_1)
	s_cmp_lg_u32 s18, s0
	s_cbranch_scc1 .LBB62_106
.LBB62_107:
	s_wait_dscnt 0x0
	v_cmp_eq_f32_e32 vcc_lo, 0, v72
	v_cmp_eq_f32_e64 s0, 0, v73
	s_and_b32 s0, vcc_lo, s0
	s_delay_alu instid0(SALU_CYCLE_1) | instskip(NEXT) | instid1(SALU_CYCLE_1)
	s_and_saveexec_b32 s1, s0
	s_xor_b32 s0, exec_lo, s1
; %bb.108:
	v_cmp_ne_u32_e32 vcc_lo, 0, v76
	v_cndmask_b32_e32 v76, 6, v76, vcc_lo
; %bb.109:
	s_and_not1_saveexec_b32 s0, s0
	s_cbranch_execz .LBB62_115
; %bb.110:
	v_cmp_ngt_f32_e64 s1, |v72|, |v73|
	s_and_saveexec_b32 s12, s1
	s_delay_alu instid0(SALU_CYCLE_1)
	s_xor_b32 s1, exec_lo, s12
	s_cbranch_execz .LBB62_112
; %bb.111:
	v_div_scale_f32 v71, null, v73, v73, v72
	v_div_scale_f32 v81, vcc_lo, v72, v73, v72
	s_delay_alu instid0(VALU_DEP_2) | instskip(SKIP_1) | instid1(TRANS32_DEP_1)
	v_rcp_f32_e32 v79, v71
	v_nop
	v_fma_f32 v80, -v71, v79, 1.0
	s_delay_alu instid0(VALU_DEP_1) | instskip(NEXT) | instid1(VALU_DEP_1)
	v_fmac_f32_e32 v79, v80, v79
	v_mul_f32_e32 v80, v81, v79
	s_delay_alu instid0(VALU_DEP_1) | instskip(NEXT) | instid1(VALU_DEP_1)
	v_fma_f32 v82, -v71, v80, v81
	v_fmac_f32_e32 v80, v82, v79
	s_delay_alu instid0(VALU_DEP_1) | instskip(NEXT) | instid1(VALU_DEP_1)
	v_fma_f32 v71, -v71, v80, v81
	v_div_fmas_f32 v71, v71, v79, v80
	s_delay_alu instid0(VALU_DEP_1) | instskip(NEXT) | instid1(VALU_DEP_1)
	v_div_fixup_f32 v71, v71, v73, v72
	v_fmac_f32_e32 v73, v72, v71
	s_delay_alu instid0(VALU_DEP_1) | instskip(SKIP_1) | instid1(VALU_DEP_2)
	v_div_scale_f32 v72, null, v73, v73, 1.0
	v_div_scale_f32 v81, vcc_lo, 1.0, v73, 1.0
	v_rcp_f32_e32 v79, v72
	v_nop
	s_delay_alu instid0(TRANS32_DEP_1) | instskip(NEXT) | instid1(VALU_DEP_1)
	v_fma_f32 v80, -v72, v79, 1.0
	v_fmac_f32_e32 v79, v80, v79
	s_delay_alu instid0(VALU_DEP_1) | instskip(NEXT) | instid1(VALU_DEP_1)
	v_mul_f32_e32 v80, v81, v79
	v_fma_f32 v82, -v72, v80, v81
	s_delay_alu instid0(VALU_DEP_1) | instskip(NEXT) | instid1(VALU_DEP_1)
	v_fmac_f32_e32 v80, v82, v79
	v_fma_f32 v72, -v72, v80, v81
	s_delay_alu instid0(VALU_DEP_1) | instskip(NEXT) | instid1(VALU_DEP_1)
	v_div_fmas_f32 v72, v72, v79, v80
	v_div_fixup_f32 v73, v72, v73, 1.0
	s_delay_alu instid0(VALU_DEP_1)
	v_mul_f32_e32 v72, v71, v73
	v_xor_b32_e32 v73, 0x80000000, v73
.LBB62_112:
	s_and_not1_saveexec_b32 s1, s1
	s_cbranch_execz .LBB62_114
; %bb.113:
	s_delay_alu instid0(VALU_DEP_1) | instskip(SKIP_1) | instid1(VALU_DEP_2)
	v_div_scale_f32 v71, null, v72, v72, v73
	v_div_scale_f32 v81, vcc_lo, v73, v72, v73
	v_rcp_f32_e32 v79, v71
	v_nop
	s_delay_alu instid0(TRANS32_DEP_1) | instskip(NEXT) | instid1(VALU_DEP_1)
	v_fma_f32 v80, -v71, v79, 1.0
	v_fmac_f32_e32 v79, v80, v79
	s_delay_alu instid0(VALU_DEP_1) | instskip(NEXT) | instid1(VALU_DEP_1)
	v_mul_f32_e32 v80, v81, v79
	v_fma_f32 v82, -v71, v80, v81
	s_delay_alu instid0(VALU_DEP_1) | instskip(NEXT) | instid1(VALU_DEP_1)
	v_fmac_f32_e32 v80, v82, v79
	v_fma_f32 v71, -v71, v80, v81
	s_delay_alu instid0(VALU_DEP_1) | instskip(NEXT) | instid1(VALU_DEP_1)
	v_div_fmas_f32 v71, v71, v79, v80
	v_div_fixup_f32 v71, v71, v72, v73
	s_delay_alu instid0(VALU_DEP_1) | instskip(NEXT) | instid1(VALU_DEP_1)
	v_fmac_f32_e32 v72, v73, v71
	v_div_scale_f32 v73, null, v72, v72, 1.0
	s_delay_alu instid0(VALU_DEP_1) | instskip(SKIP_1) | instid1(TRANS32_DEP_1)
	v_rcp_f32_e32 v79, v73
	v_nop
	v_fma_f32 v80, -v73, v79, 1.0
	s_delay_alu instid0(VALU_DEP_1) | instskip(SKIP_1) | instid1(VALU_DEP_1)
	v_fmac_f32_e32 v79, v80, v79
	v_div_scale_f32 v80, vcc_lo, 1.0, v72, 1.0
	v_mul_f32_e32 v81, v80, v79
	s_delay_alu instid0(VALU_DEP_1) | instskip(NEXT) | instid1(VALU_DEP_1)
	v_fma_f32 v82, -v73, v81, v80
	v_fmac_f32_e32 v81, v82, v79
	s_delay_alu instid0(VALU_DEP_1) | instskip(NEXT) | instid1(VALU_DEP_1)
	v_fma_f32 v73, -v73, v81, v80
	v_div_fmas_f32 v73, v73, v79, v81
	s_delay_alu instid0(VALU_DEP_1) | instskip(NEXT) | instid1(VALU_DEP_1)
	v_div_fixup_f32 v72, v73, v72, 1.0
	v_mul_f32_e64 v73, v71, -v72
.LBB62_114:
	s_or_b32 exec_lo, exec_lo, s1
.LBB62_115:
	s_delay_alu instid0(SALU_CYCLE_1) | instskip(NEXT) | instid1(SALU_CYCLE_1)
	s_or_b32 exec_lo, exec_lo, s0
	s_mov_b32 s0, exec_lo
	v_cmpx_ne_u32_e64 v78, v70
	s_xor_b32 s0, exec_lo, s0
	s_cbranch_execz .LBB62_121
; %bb.116:
	s_mov_b32 s1, exec_lo
	v_cmpx_eq_u32_e32 5, v78
	s_cbranch_execz .LBB62_120
; %bb.117:
	v_cmp_ne_u32_e32 vcc_lo, 5, v70
	s_xor_b32 s12, s16, -1
	s_delay_alu instid0(SALU_CYCLE_1) | instskip(NEXT) | instid1(SALU_CYCLE_1)
	s_and_b32 s13, s12, vcc_lo
	s_and_saveexec_b32 s12, s13
	s_cbranch_execz .LBB62_119
; %bb.118:
	v_ashrrev_i32_e32 v71, 31, v70
	s_delay_alu instid0(VALU_DEP_1)
	v_lshl_add_u64 v[78:79], v[70:71], 2, v[4:5]
	s_clause 0x1
	global_load_b32 v71, v[78:79], off
	global_load_b32 v77, v[4:5], off offset:20
	s_wait_loadcnt 0x1
	global_store_b32 v[4:5], v71, off offset:20
	s_wait_loadcnt 0x0
	global_store_b32 v[78:79], v77, off
.LBB62_119:
	s_wait_xcnt 0x0
	s_or_b32 exec_lo, exec_lo, s12
	v_dual_mov_b32 v78, v70 :: v_dual_mov_b32 v77, v70
.LBB62_120:
	s_or_b32 exec_lo, exec_lo, s1
.LBB62_121:
	s_and_not1_saveexec_b32 s0, s0
	s_cbranch_execz .LBB62_123
; %bb.122:
	v_dual_mov_b32 v70, v32 :: v_dual_mov_b32 v71, v33
	v_dual_mov_b32 v78, v6 :: v_dual_mov_b32 v79, v7
	ds_store_2addr_b64 v74, v[70:71], v[78:79] offset0:6 offset1:7
	v_dual_mov_b32 v70, v40 :: v_dual_mov_b32 v71, v41
	v_dual_mov_b32 v78, v36 :: v_dual_mov_b32 v79, v37
	ds_store_2addr_b64 v74, v[70:71], v[78:79] offset0:8 offset1:9
	;; [unrolled: 3-line block ×12, first 2 shown]
	v_dual_mov_b32 v70, v18 :: v_dual_mov_b32 v71, v19
	v_mov_b32_e32 v78, 5
	ds_store_2addr_b64 v74, v[70:71], v[68:69] offset0:30 offset1:31
.LBB62_123:
	s_or_b32 exec_lo, exec_lo, s0
	s_delay_alu instid0(SALU_CYCLE_1)
	s_mov_b32 s0, exec_lo
	s_wait_storecnt_dscnt 0x0
	s_barrier_signal -1
	s_barrier_wait -1
	v_cmpx_lt_i32_e32 5, v78
	s_cbranch_execz .LBB62_125
; %bb.124:
	v_pk_mul_f32 v[80:81], v[72:73], v[30:31] op_sel:[1,1] op_sel_hi:[0,1]
	s_delay_alu instid0(VALU_DEP_1)
	v_pk_fma_f32 v[70:71], v[72:73], v[30:31], v[80:81] op_sel_hi:[1,0,1] neg_lo:[0,0,1] neg_hi:[0,0,1]
	v_pk_fma_f32 v[72:73], v[72:73], v[30:31], v[80:81] op_sel_hi:[1,0,1]
	ds_load_2addr_b64 v[80:83], v74 offset0:6 offset1:7
	v_dual_mov_b32 v30, v70 :: v_dual_mov_b32 v31, v73
	s_wait_dscnt 0x0
	v_pk_mul_f32 v[84:85], v[80:81], v[72:73] op_sel:[0,1]
	s_delay_alu instid0(VALU_DEP_1) | instskip(SKIP_1) | instid1(VALU_DEP_1)
	v_pk_fma_f32 v[86:87], v[80:81], v[70:71], v[84:85] op_sel:[0,0,1] op_sel_hi:[1,1,0] neg_lo:[0,0,1] neg_hi:[0,0,1]
	v_pk_fma_f32 v[80:81], v[80:81], v[70:71], v[84:85] op_sel:[0,0,1] op_sel_hi:[1,0,0]
	v_mov_b32_e32 v87, v81
	v_pk_mul_f32 v[80:81], v[82:83], v[72:73] op_sel:[0,1]
	s_delay_alu instid0(VALU_DEP_1) | instskip(SKIP_1) | instid1(VALU_DEP_1)
	v_pk_fma_f32 v[84:85], v[82:83], v[70:71], v[80:81] op_sel:[0,0,1] op_sel_hi:[1,1,0] neg_lo:[0,0,1] neg_hi:[0,0,1]
	v_pk_fma_f32 v[80:81], v[82:83], v[70:71], v[80:81] op_sel:[0,0,1] op_sel_hi:[1,0,0]
	v_mov_b32_e32 v85, v81
	ds_load_2addr_b64 v[80:83], v74 offset0:8 offset1:9
	v_pk_add_f32 v[32:33], v[32:33], v[86:87] neg_lo:[0,1] neg_hi:[0,1]
	v_pk_add_f32 v[6:7], v[6:7], v[84:85] neg_lo:[0,1] neg_hi:[0,1]
	s_wait_dscnt 0x0
	v_pk_mul_f32 v[84:85], v[80:81], v[72:73] op_sel:[0,1]
	s_delay_alu instid0(VALU_DEP_1) | instskip(SKIP_2) | instid1(VALU_DEP_2)
	v_pk_fma_f32 v[86:87], v[80:81], v[70:71], v[84:85] op_sel:[0,0,1] op_sel_hi:[1,1,0] neg_lo:[0,0,1] neg_hi:[0,0,1]
	v_pk_fma_f32 v[80:81], v[80:81], v[70:71], v[84:85] op_sel:[0,0,1] op_sel_hi:[1,0,0]
	v_dual_mul_f32 v84, v83, v73 :: v_dual_mov_b32 v80, v83
	v_dual_mov_b32 v87, v81 :: v_dual_mov_b32 v81, v82
	s_delay_alu instid0(VALU_DEP_2) | instskip(SKIP_1) | instid1(VALU_DEP_3)
	v_pk_fma_f32 v[84:85], v[82:83], v[30:31], v[84:85] op_sel_hi:[1,1,0] neg_lo:[0,0,1] neg_hi:[0,0,1]
	v_mul_f32_e32 v82, v83, v70
	v_pk_add_f32 v[40:41], v[40:41], v[86:87] neg_lo:[0,1] neg_hi:[0,1]
	s_delay_alu instid0(VALU_DEP_2) | instskip(NEXT) | instid1(VALU_DEP_1)
	v_pk_fma_f32 v[80:81], v[80:81], v[30:31], v[82:83] op_sel_hi:[1,1,0]
	v_mov_b32_e32 v85, v81
	ds_load_2addr_b64 v[80:83], v74 offset0:10 offset1:11
	v_pk_add_f32 v[36:37], v[36:37], v[84:85] neg_lo:[0,1] neg_hi:[0,1]
	s_wait_dscnt 0x0
	v_pk_mul_f32 v[84:85], v[80:81], v[72:73] op_sel:[0,1]
	s_delay_alu instid0(VALU_DEP_1) | instskip(SKIP_1) | instid1(VALU_DEP_1)
	v_pk_fma_f32 v[86:87], v[80:81], v[70:71], v[84:85] op_sel:[0,0,1] op_sel_hi:[1,1,0] neg_lo:[0,0,1] neg_hi:[0,0,1]
	v_pk_fma_f32 v[80:81], v[80:81], v[70:71], v[84:85] op_sel:[0,0,1] op_sel_hi:[1,0,0]
	v_mov_b32_e32 v87, v81
	v_pk_mul_f32 v[80:81], v[82:83], v[72:73] op_sel:[0,1]
	s_delay_alu instid0(VALU_DEP_1) | instskip(SKIP_1) | instid1(VALU_DEP_1)
	v_pk_fma_f32 v[84:85], v[82:83], v[70:71], v[80:81] op_sel:[0,0,1] op_sel_hi:[1,1,0] neg_lo:[0,0,1] neg_hi:[0,0,1]
	v_pk_fma_f32 v[80:81], v[82:83], v[70:71], v[80:81] op_sel:[0,0,1] op_sel_hi:[1,0,0]
	v_mov_b32_e32 v85, v81
	ds_load_2addr_b64 v[80:83], v74 offset0:12 offset1:13
	v_pk_add_f32 v[38:39], v[38:39], v[86:87] neg_lo:[0,1] neg_hi:[0,1]
	v_pk_add_f32 v[8:9], v[8:9], v[84:85] neg_lo:[0,1] neg_hi:[0,1]
	s_wait_dscnt 0x0
	v_pk_mul_f32 v[84:85], v[80:81], v[72:73] op_sel:[0,1]
	s_delay_alu instid0(VALU_DEP_1) | instskip(SKIP_1) | instid1(VALU_DEP_1)
	v_pk_fma_f32 v[86:87], v[80:81], v[70:71], v[84:85] op_sel:[0,0,1] op_sel_hi:[1,1,0] neg_lo:[0,0,1] neg_hi:[0,0,1]
	v_pk_fma_f32 v[80:81], v[80:81], v[70:71], v[84:85] op_sel:[0,0,1] op_sel_hi:[1,0,0]
	v_mov_b32_e32 v87, v81
	v_pk_mul_f32 v[80:81], v[82:83], v[72:73] op_sel:[0,1]
	s_delay_alu instid0(VALU_DEP_1) | instskip(SKIP_1) | instid1(VALU_DEP_1)
	v_pk_fma_f32 v[84:85], v[82:83], v[70:71], v[80:81] op_sel:[0,0,1] op_sel_hi:[1,1,0] neg_lo:[0,0,1] neg_hi:[0,0,1]
	v_pk_fma_f32 v[80:81], v[82:83], v[70:71], v[80:81] op_sel:[0,0,1] op_sel_hi:[1,0,0]
	v_mov_b32_e32 v85, v81
	ds_load_2addr_b64 v[80:83], v74 offset0:14 offset1:15
	v_pk_add_f32 v[52:53], v[52:53], v[86:87] neg_lo:[0,1] neg_hi:[0,1]
	v_pk_add_f32 v[48:49], v[48:49], v[84:85] neg_lo:[0,1] neg_hi:[0,1]
	s_wait_dscnt 0x0
	v_dual_mul_f32 v84, v81, v73 :: v_dual_mul_f32 v86, v81, v70
	s_delay_alu instid0(VALU_DEP_1) | instskip(NEXT) | instid1(VALU_DEP_2)
	v_pk_fma_f32 v[84:85], v[80:81], v[30:31], v[84:85] op_sel_hi:[1,1,0] neg_lo:[0,0,1] neg_hi:[0,0,1]
	v_pk_fma_f32 v[80:81], v[80:81], v[30:31], v[86:87] op_sel:[1,0,0] op_sel_hi:[0,1,0]
	s_delay_alu instid0(VALU_DEP_1) | instskip(SKIP_1) | instid1(VALU_DEP_2)
	v_mov_b32_e32 v85, v81
	v_pk_mul_f32 v[80:81], v[82:83], v[72:73] op_sel:[0,1]
	v_pk_add_f32 v[50:51], v[50:51], v[84:85] neg_lo:[0,1] neg_hi:[0,1]
	s_delay_alu instid0(VALU_DEP_2) | instskip(SKIP_1) | instid1(VALU_DEP_1)
	v_pk_fma_f32 v[84:85], v[82:83], v[70:71], v[80:81] op_sel:[0,0,1] op_sel_hi:[1,1,0] neg_lo:[0,0,1] neg_hi:[0,0,1]
	v_pk_fma_f32 v[80:81], v[82:83], v[70:71], v[80:81] op_sel:[0,0,1] op_sel_hi:[1,0,0]
	v_mov_b32_e32 v85, v81
	ds_load_2addr_b64 v[80:83], v74 offset0:16 offset1:17
	v_pk_add_f32 v[14:15], v[14:15], v[84:85] neg_lo:[0,1] neg_hi:[0,1]
	s_wait_dscnt 0x0
	v_pk_mul_f32 v[84:85], v[80:81], v[72:73] op_sel:[0,1]
	s_delay_alu instid0(VALU_DEP_1) | instskip(SKIP_1) | instid1(VALU_DEP_1)
	v_pk_fma_f32 v[86:87], v[80:81], v[70:71], v[84:85] op_sel:[0,0,1] op_sel_hi:[1,1,0] neg_lo:[0,0,1] neg_hi:[0,0,1]
	v_pk_fma_f32 v[80:81], v[80:81], v[70:71], v[84:85] op_sel:[0,0,1] op_sel_hi:[1,0,0]
	v_mov_b32_e32 v87, v81
	v_pk_mul_f32 v[80:81], v[82:83], v[72:73] op_sel:[0,1]
	s_delay_alu instid0(VALU_DEP_2) | instskip(NEXT) | instid1(VALU_DEP_2)
	v_pk_add_f32 v[58:59], v[58:59], v[86:87] neg_lo:[0,1] neg_hi:[0,1]
	v_pk_fma_f32 v[84:85], v[82:83], v[70:71], v[80:81] op_sel:[0,0,1] op_sel_hi:[1,1,0] neg_lo:[0,0,1] neg_hi:[0,0,1]
	v_pk_fma_f32 v[80:81], v[82:83], v[70:71], v[80:81] op_sel:[0,0,1] op_sel_hi:[1,0,0]
	s_delay_alu instid0(VALU_DEP_1) | instskip(SKIP_4) | instid1(VALU_DEP_1)
	v_mov_b32_e32 v85, v81
	ds_load_2addr_b64 v[80:83], v74 offset0:18 offset1:19
	v_pk_add_f32 v[54:55], v[54:55], v[84:85] neg_lo:[0,1] neg_hi:[0,1]
	s_wait_dscnt 0x0
	v_pk_mul_f32 v[84:85], v[80:81], v[72:73] op_sel:[0,1]
	v_pk_fma_f32 v[86:87], v[80:81], v[70:71], v[84:85] op_sel:[0,0,1] op_sel_hi:[1,1,0] neg_lo:[0,0,1] neg_hi:[0,0,1]
	v_pk_fma_f32 v[80:81], v[80:81], v[70:71], v[84:85] op_sel:[0,0,1] op_sel_hi:[1,0,0]
	v_dual_mul_f32 v84, v83, v73 :: v_dual_mov_b32 v80, v83
	s_delay_alu instid0(VALU_DEP_2) | instskip(NEXT) | instid1(VALU_DEP_2)
	v_dual_mov_b32 v87, v81 :: v_dual_mov_b32 v81, v82
	v_pk_fma_f32 v[84:85], v[82:83], v[30:31], v[84:85] op_sel_hi:[1,1,0] neg_lo:[0,0,1] neg_hi:[0,0,1]
	v_mul_f32_e32 v82, v83, v70
	s_delay_alu instid0(VALU_DEP_3) | instskip(NEXT) | instid1(VALU_DEP_2)
	v_pk_add_f32 v[56:57], v[56:57], v[86:87] neg_lo:[0,1] neg_hi:[0,1]
	v_pk_fma_f32 v[80:81], v[80:81], v[30:31], v[82:83] op_sel_hi:[1,1,0]
	s_delay_alu instid0(VALU_DEP_1) | instskip(SKIP_4) | instid1(VALU_DEP_1)
	v_mov_b32_e32 v85, v81
	ds_load_2addr_b64 v[80:83], v74 offset0:20 offset1:21
	v_pk_add_f32 v[16:17], v[16:17], v[84:85] neg_lo:[0,1] neg_hi:[0,1]
	s_wait_dscnt 0x0
	v_pk_mul_f32 v[84:85], v[80:81], v[72:73] op_sel:[0,1]
	v_pk_fma_f32 v[86:87], v[80:81], v[70:71], v[84:85] op_sel:[0,0,1] op_sel_hi:[1,1,0] neg_lo:[0,0,1] neg_hi:[0,0,1]
	v_pk_fma_f32 v[80:81], v[80:81], v[70:71], v[84:85] op_sel:[0,0,1] op_sel_hi:[1,0,0]
	s_delay_alu instid0(VALU_DEP_1) | instskip(SKIP_1) | instid1(VALU_DEP_1)
	v_mov_b32_e32 v87, v81
	v_pk_mul_f32 v[80:81], v[82:83], v[72:73] op_sel:[0,1]
	v_pk_fma_f32 v[84:85], v[82:83], v[70:71], v[80:81] op_sel:[0,0,1] op_sel_hi:[1,1,0] neg_lo:[0,0,1] neg_hi:[0,0,1]
	v_pk_fma_f32 v[80:81], v[82:83], v[70:71], v[80:81] op_sel:[0,0,1] op_sel_hi:[1,0,0]
	s_delay_alu instid0(VALU_DEP_1)
	v_mov_b32_e32 v85, v81
	ds_load_2addr_b64 v[80:83], v74 offset0:22 offset1:23
	v_pk_add_f32 v[46:47], v[46:47], v[86:87] neg_lo:[0,1] neg_hi:[0,1]
	v_pk_add_f32 v[42:43], v[42:43], v[84:85] neg_lo:[0,1] neg_hi:[0,1]
	s_wait_dscnt 0x0
	v_pk_mul_f32 v[84:85], v[80:81], v[72:73] op_sel:[0,1]
	s_delay_alu instid0(VALU_DEP_1) | instskip(SKIP_1) | instid1(VALU_DEP_1)
	v_pk_fma_f32 v[86:87], v[80:81], v[70:71], v[84:85] op_sel:[0,0,1] op_sel_hi:[1,1,0] neg_lo:[0,0,1] neg_hi:[0,0,1]
	v_pk_fma_f32 v[80:81], v[80:81], v[70:71], v[84:85] op_sel:[0,0,1] op_sel_hi:[1,0,0]
	v_mov_b32_e32 v87, v81
	v_pk_mul_f32 v[80:81], v[82:83], v[72:73] op_sel:[0,1]
	s_delay_alu instid0(VALU_DEP_1) | instskip(SKIP_1) | instid1(VALU_DEP_1)
	v_pk_fma_f32 v[84:85], v[82:83], v[70:71], v[80:81] op_sel:[0,0,1] op_sel_hi:[1,1,0] neg_lo:[0,0,1] neg_hi:[0,0,1]
	v_pk_fma_f32 v[80:81], v[82:83], v[70:71], v[80:81] op_sel:[0,0,1] op_sel_hi:[1,0,0]
	v_mov_b32_e32 v85, v81
	ds_load_2addr_b64 v[80:83], v74 offset0:24 offset1:25
	v_pk_add_f32 v[44:45], v[44:45], v[86:87] neg_lo:[0,1] neg_hi:[0,1]
	v_pk_add_f32 v[10:11], v[10:11], v[84:85] neg_lo:[0,1] neg_hi:[0,1]
	s_wait_dscnt 0x0
	v_dual_mul_f32 v84, v81, v73 :: v_dual_mul_f32 v86, v81, v70
	s_delay_alu instid0(VALU_DEP_1) | instskip(NEXT) | instid1(VALU_DEP_2)
	v_pk_fma_f32 v[84:85], v[80:81], v[30:31], v[84:85] op_sel_hi:[1,1,0] neg_lo:[0,0,1] neg_hi:[0,0,1]
	v_pk_fma_f32 v[80:81], v[80:81], v[30:31], v[86:87] op_sel:[1,0,0] op_sel_hi:[0,1,0]
	s_delay_alu instid0(VALU_DEP_1) | instskip(SKIP_1) | instid1(VALU_DEP_2)
	v_mov_b32_e32 v85, v81
	v_pk_mul_f32 v[80:81], v[82:83], v[72:73] op_sel:[0,1]
	v_pk_add_f32 v[28:29], v[28:29], v[84:85] neg_lo:[0,1] neg_hi:[0,1]
	s_delay_alu instid0(VALU_DEP_2) | instskip(SKIP_1) | instid1(VALU_DEP_1)
	v_pk_fma_f32 v[84:85], v[82:83], v[70:71], v[80:81] op_sel:[0,0,1] op_sel_hi:[1,1,0] neg_lo:[0,0,1] neg_hi:[0,0,1]
	v_pk_fma_f32 v[80:81], v[82:83], v[70:71], v[80:81] op_sel:[0,0,1] op_sel_hi:[1,0,0]
	v_mov_b32_e32 v85, v81
	ds_load_2addr_b64 v[80:83], v74 offset0:26 offset1:27
	v_pk_add_f32 v[24:25], v[24:25], v[84:85] neg_lo:[0,1] neg_hi:[0,1]
	s_wait_dscnt 0x0
	v_pk_mul_f32 v[84:85], v[80:81], v[72:73] op_sel:[0,1]
	s_delay_alu instid0(VALU_DEP_1) | instskip(SKIP_1) | instid1(VALU_DEP_1)
	v_pk_fma_f32 v[86:87], v[80:81], v[70:71], v[84:85] op_sel:[0,0,1] op_sel_hi:[1,1,0] neg_lo:[0,0,1] neg_hi:[0,0,1]
	v_pk_fma_f32 v[80:81], v[80:81], v[70:71], v[84:85] op_sel:[0,0,1] op_sel_hi:[1,0,0]
	v_mov_b32_e32 v87, v81
	v_pk_mul_f32 v[80:81], v[82:83], v[72:73] op_sel:[0,1]
	s_delay_alu instid0(VALU_DEP_2) | instskip(NEXT) | instid1(VALU_DEP_2)
	v_pk_add_f32 v[26:27], v[26:27], v[86:87] neg_lo:[0,1] neg_hi:[0,1]
	v_pk_fma_f32 v[84:85], v[82:83], v[70:71], v[80:81] op_sel:[0,0,1] op_sel_hi:[1,1,0] neg_lo:[0,0,1] neg_hi:[0,0,1]
	v_pk_fma_f32 v[80:81], v[82:83], v[70:71], v[80:81] op_sel:[0,0,1] op_sel_hi:[1,0,0]
	s_delay_alu instid0(VALU_DEP_1) | instskip(SKIP_4) | instid1(VALU_DEP_1)
	v_mov_b32_e32 v85, v81
	ds_load_2addr_b64 v[80:83], v74 offset0:28 offset1:29
	v_pk_add_f32 v[12:13], v[12:13], v[84:85] neg_lo:[0,1] neg_hi:[0,1]
	s_wait_dscnt 0x0
	v_pk_mul_f32 v[84:85], v[80:81], v[72:73] op_sel:[0,1]
	v_pk_fma_f32 v[86:87], v[80:81], v[70:71], v[84:85] op_sel:[0,0,1] op_sel_hi:[1,1,0] neg_lo:[0,0,1] neg_hi:[0,0,1]
	v_pk_fma_f32 v[80:81], v[80:81], v[70:71], v[84:85] op_sel:[0,0,1] op_sel_hi:[1,0,0]
	v_dual_mul_f32 v84, v83, v73 :: v_dual_mov_b32 v80, v83
	s_delay_alu instid0(VALU_DEP_2) | instskip(NEXT) | instid1(VALU_DEP_2)
	v_dual_mov_b32 v87, v81 :: v_dual_mov_b32 v81, v82
	v_pk_fma_f32 v[84:85], v[82:83], v[30:31], v[84:85] op_sel_hi:[1,1,0] neg_lo:[0,0,1] neg_hi:[0,0,1]
	v_mul_f32_e32 v82, v83, v70
	s_delay_alu instid0(VALU_DEP_3) | instskip(NEXT) | instid1(VALU_DEP_2)
	v_pk_add_f32 v[22:23], v[22:23], v[86:87] neg_lo:[0,1] neg_hi:[0,1]
	v_pk_fma_f32 v[80:81], v[80:81], v[30:31], v[82:83] op_sel_hi:[1,1,0]
	s_delay_alu instid0(VALU_DEP_1)
	v_mov_b32_e32 v85, v81
	ds_load_2addr_b64 v[80:83], v74 offset0:30 offset1:31
	v_pk_add_f32 v[20:21], v[20:21], v[84:85] neg_lo:[0,1] neg_hi:[0,1]
	s_wait_dscnt 0x0
	v_pk_mul_f32 v[84:85], v[80:81], v[72:73] op_sel:[0,1]
	v_pk_mul_f32 v[72:73], v[82:83], v[72:73] op_sel:[0,1]
	s_delay_alu instid0(VALU_DEP_2) | instskip(SKIP_1) | instid1(VALU_DEP_1)
	v_pk_fma_f32 v[86:87], v[80:81], v[70:71], v[84:85] op_sel:[0,0,1] op_sel_hi:[1,1,0] neg_lo:[0,0,1] neg_hi:[0,0,1]
	v_pk_fma_f32 v[80:81], v[80:81], v[70:71], v[84:85] op_sel:[0,0,1] op_sel_hi:[1,0,0]
	v_mov_b32_e32 v87, v81
	s_delay_alu instid0(VALU_DEP_4) | instskip(SKIP_1) | instid1(VALU_DEP_1)
	v_pk_fma_f32 v[80:81], v[82:83], v[70:71], v[72:73] op_sel:[0,0,1] op_sel_hi:[1,1,0] neg_lo:[0,0,1] neg_hi:[0,0,1]
	v_pk_fma_f32 v[70:71], v[82:83], v[70:71], v[72:73] op_sel:[0,0,1] op_sel_hi:[1,0,0]
	v_mov_b32_e32 v81, v71
	s_delay_alu instid0(VALU_DEP_4) | instskip(NEXT) | instid1(VALU_DEP_2)
	v_pk_add_f32 v[18:19], v[18:19], v[86:87] neg_lo:[0,1] neg_hi:[0,1]
	v_pk_add_f32 v[68:69], v[68:69], v[80:81] neg_lo:[0,1] neg_hi:[0,1]
.LBB62_125:
	s_or_b32 exec_lo, exec_lo, s0
	v_lshl_add_u32 v70, v78, 3, v74
	s_barrier_signal -1
	s_barrier_wait -1
	ds_store_b64 v70, v[32:33]
	s_wait_dscnt 0x0
	s_barrier_signal -1
	s_barrier_wait -1
	ds_load_b64 v[72:73], v74 offset:48
	v_mov_b32_e32 v70, 6
	s_cmp_lt_i32 s18, 8
	s_cbranch_scc1 .LBB62_128
; %bb.126:
	v_add3_u32 v71, v75, 0, 56
	v_mov_b32_e32 v70, 6
	s_mov_b32 s0, 7
.LBB62_127:                             ; =>This Inner Loop Header: Depth=1
	ds_load_b64 v[80:81], v71
	s_wait_dscnt 0x1
	v_cmp_gt_f32_e32 vcc_lo, 0, v72
	v_cndmask_b32_e64 v82, v72, -v72, vcc_lo
	v_cmp_gt_f32_e32 vcc_lo, 0, v73
	v_cndmask_b32_e64 v84, v73, -v73, vcc_lo
	s_wait_dscnt 0x0
	v_cmp_gt_f32_e32 vcc_lo, 0, v80
	v_cndmask_b32_e64 v83, v80, -v80, vcc_lo
	v_cmp_gt_f32_e32 vcc_lo, 0, v81
	v_cndmask_b32_e64 v85, v81, -v81, vcc_lo
	s_delay_alu instid0(VALU_DEP_1) | instskip(NEXT) | instid1(VALU_DEP_1)
	v_pk_add_f32 v[82:83], v[82:83], v[84:85]
	v_cmp_lt_f32_e32 vcc_lo, v82, v83
	v_dual_add_nc_u32 v71, 8, v71 :: v_dual_cndmask_b32 v73, v73, v81, vcc_lo
	v_cndmask_b32_e32 v72, v72, v80, vcc_lo
	v_cndmask_b32_e64 v70, v70, s0, vcc_lo
	s_add_co_i32 s0, s0, 1
	s_delay_alu instid0(SALU_CYCLE_1)
	s_cmp_lg_u32 s18, s0
	s_cbranch_scc1 .LBB62_127
.LBB62_128:
	s_wait_dscnt 0x0
	v_cmp_eq_f32_e32 vcc_lo, 0, v72
	v_cmp_eq_f32_e64 s0, 0, v73
	s_and_b32 s0, vcc_lo, s0
	s_delay_alu instid0(SALU_CYCLE_1) | instskip(NEXT) | instid1(SALU_CYCLE_1)
	s_and_saveexec_b32 s1, s0
	s_xor_b32 s0, exec_lo, s1
; %bb.129:
	v_cmp_ne_u32_e32 vcc_lo, 0, v76
	v_cndmask_b32_e32 v76, 7, v76, vcc_lo
; %bb.130:
	s_and_not1_saveexec_b32 s0, s0
	s_cbranch_execz .LBB62_136
; %bb.131:
	v_cmp_ngt_f32_e64 s1, |v72|, |v73|
	s_and_saveexec_b32 s12, s1
	s_delay_alu instid0(SALU_CYCLE_1)
	s_xor_b32 s1, exec_lo, s12
	s_cbranch_execz .LBB62_133
; %bb.132:
	v_div_scale_f32 v71, null, v73, v73, v72
	v_div_scale_f32 v81, vcc_lo, v72, v73, v72
	s_delay_alu instid0(VALU_DEP_2) | instskip(SKIP_1) | instid1(TRANS32_DEP_1)
	v_rcp_f32_e32 v79, v71
	v_nop
	v_fma_f32 v80, -v71, v79, 1.0
	s_delay_alu instid0(VALU_DEP_1) | instskip(NEXT) | instid1(VALU_DEP_1)
	v_fmac_f32_e32 v79, v80, v79
	v_mul_f32_e32 v80, v81, v79
	s_delay_alu instid0(VALU_DEP_1) | instskip(NEXT) | instid1(VALU_DEP_1)
	v_fma_f32 v82, -v71, v80, v81
	v_fmac_f32_e32 v80, v82, v79
	s_delay_alu instid0(VALU_DEP_1) | instskip(NEXT) | instid1(VALU_DEP_1)
	v_fma_f32 v71, -v71, v80, v81
	v_div_fmas_f32 v71, v71, v79, v80
	s_delay_alu instid0(VALU_DEP_1) | instskip(NEXT) | instid1(VALU_DEP_1)
	v_div_fixup_f32 v71, v71, v73, v72
	v_fmac_f32_e32 v73, v72, v71
	s_delay_alu instid0(VALU_DEP_1) | instskip(SKIP_1) | instid1(VALU_DEP_2)
	v_div_scale_f32 v72, null, v73, v73, 1.0
	v_div_scale_f32 v81, vcc_lo, 1.0, v73, 1.0
	v_rcp_f32_e32 v79, v72
	v_nop
	s_delay_alu instid0(TRANS32_DEP_1) | instskip(NEXT) | instid1(VALU_DEP_1)
	v_fma_f32 v80, -v72, v79, 1.0
	v_fmac_f32_e32 v79, v80, v79
	s_delay_alu instid0(VALU_DEP_1) | instskip(NEXT) | instid1(VALU_DEP_1)
	v_mul_f32_e32 v80, v81, v79
	v_fma_f32 v82, -v72, v80, v81
	s_delay_alu instid0(VALU_DEP_1) | instskip(NEXT) | instid1(VALU_DEP_1)
	v_fmac_f32_e32 v80, v82, v79
	v_fma_f32 v72, -v72, v80, v81
	s_delay_alu instid0(VALU_DEP_1) | instskip(NEXT) | instid1(VALU_DEP_1)
	v_div_fmas_f32 v72, v72, v79, v80
	v_div_fixup_f32 v73, v72, v73, 1.0
	s_delay_alu instid0(VALU_DEP_1)
	v_mul_f32_e32 v72, v71, v73
	v_xor_b32_e32 v73, 0x80000000, v73
.LBB62_133:
	s_and_not1_saveexec_b32 s1, s1
	s_cbranch_execz .LBB62_135
; %bb.134:
	s_delay_alu instid0(VALU_DEP_1) | instskip(SKIP_1) | instid1(VALU_DEP_2)
	v_div_scale_f32 v71, null, v72, v72, v73
	v_div_scale_f32 v81, vcc_lo, v73, v72, v73
	v_rcp_f32_e32 v79, v71
	v_nop
	s_delay_alu instid0(TRANS32_DEP_1) | instskip(NEXT) | instid1(VALU_DEP_1)
	v_fma_f32 v80, -v71, v79, 1.0
	v_fmac_f32_e32 v79, v80, v79
	s_delay_alu instid0(VALU_DEP_1) | instskip(NEXT) | instid1(VALU_DEP_1)
	v_mul_f32_e32 v80, v81, v79
	v_fma_f32 v82, -v71, v80, v81
	s_delay_alu instid0(VALU_DEP_1) | instskip(NEXT) | instid1(VALU_DEP_1)
	v_fmac_f32_e32 v80, v82, v79
	v_fma_f32 v71, -v71, v80, v81
	s_delay_alu instid0(VALU_DEP_1) | instskip(NEXT) | instid1(VALU_DEP_1)
	v_div_fmas_f32 v71, v71, v79, v80
	v_div_fixup_f32 v71, v71, v72, v73
	s_delay_alu instid0(VALU_DEP_1) | instskip(NEXT) | instid1(VALU_DEP_1)
	v_fmac_f32_e32 v72, v73, v71
	v_div_scale_f32 v73, null, v72, v72, 1.0
	s_delay_alu instid0(VALU_DEP_1) | instskip(SKIP_1) | instid1(TRANS32_DEP_1)
	v_rcp_f32_e32 v79, v73
	v_nop
	v_fma_f32 v80, -v73, v79, 1.0
	s_delay_alu instid0(VALU_DEP_1) | instskip(SKIP_1) | instid1(VALU_DEP_1)
	v_fmac_f32_e32 v79, v80, v79
	v_div_scale_f32 v80, vcc_lo, 1.0, v72, 1.0
	v_mul_f32_e32 v81, v80, v79
	s_delay_alu instid0(VALU_DEP_1) | instskip(NEXT) | instid1(VALU_DEP_1)
	v_fma_f32 v82, -v73, v81, v80
	v_fmac_f32_e32 v81, v82, v79
	s_delay_alu instid0(VALU_DEP_1) | instskip(NEXT) | instid1(VALU_DEP_1)
	v_fma_f32 v73, -v73, v81, v80
	v_div_fmas_f32 v73, v73, v79, v81
	s_delay_alu instid0(VALU_DEP_1) | instskip(NEXT) | instid1(VALU_DEP_1)
	v_div_fixup_f32 v72, v73, v72, 1.0
	v_mul_f32_e64 v73, v71, -v72
.LBB62_135:
	s_or_b32 exec_lo, exec_lo, s1
.LBB62_136:
	s_delay_alu instid0(SALU_CYCLE_1) | instskip(NEXT) | instid1(SALU_CYCLE_1)
	s_or_b32 exec_lo, exec_lo, s0
	s_mov_b32 s0, exec_lo
	v_cmpx_ne_u32_e64 v78, v70
	s_xor_b32 s0, exec_lo, s0
	s_cbranch_execz .LBB62_142
; %bb.137:
	s_mov_b32 s1, exec_lo
	v_cmpx_eq_u32_e32 6, v78
	s_cbranch_execz .LBB62_141
; %bb.138:
	v_cmp_ne_u32_e32 vcc_lo, 6, v70
	s_xor_b32 s12, s16, -1
	s_delay_alu instid0(SALU_CYCLE_1) | instskip(NEXT) | instid1(SALU_CYCLE_1)
	s_and_b32 s13, s12, vcc_lo
	s_and_saveexec_b32 s12, s13
	s_cbranch_execz .LBB62_140
; %bb.139:
	v_ashrrev_i32_e32 v71, 31, v70
	s_delay_alu instid0(VALU_DEP_1)
	v_lshl_add_u64 v[78:79], v[70:71], 2, v[4:5]
	s_clause 0x1
	global_load_b32 v71, v[78:79], off
	global_load_b32 v77, v[4:5], off offset:24
	s_wait_loadcnt 0x1
	global_store_b32 v[4:5], v71, off offset:24
	s_wait_loadcnt 0x0
	global_store_b32 v[78:79], v77, off
.LBB62_140:
	s_wait_xcnt 0x0
	s_or_b32 exec_lo, exec_lo, s12
	v_dual_mov_b32 v78, v70 :: v_dual_mov_b32 v77, v70
.LBB62_141:
	s_or_b32 exec_lo, exec_lo, s1
.LBB62_142:
	s_and_not1_saveexec_b32 s0, s0
	s_cbranch_execz .LBB62_144
; %bb.143:
	v_mov_b32_e32 v78, 6
	ds_store_2addr_b64 v74, v[6:7], v[40:41] offset0:7 offset1:8
	ds_store_2addr_b64 v74, v[36:37], v[38:39] offset0:9 offset1:10
	;; [unrolled: 1-line block ×12, first 2 shown]
	ds_store_b64 v74, v[68:69] offset:248
.LBB62_144:
	s_or_b32 exec_lo, exec_lo, s0
	s_delay_alu instid0(SALU_CYCLE_1)
	s_mov_b32 s0, exec_lo
	s_wait_storecnt_dscnt 0x0
	s_barrier_signal -1
	s_barrier_wait -1
	v_cmpx_lt_i32_e32 6, v78
	s_cbranch_execz .LBB62_146
; %bb.145:
	v_pk_mul_f32 v[80:81], v[72:73], v[32:33] op_sel:[1,1] op_sel_hi:[0,1]
	s_delay_alu instid0(VALU_DEP_1)
	v_pk_fma_f32 v[70:71], v[72:73], v[32:33], v[80:81] op_sel_hi:[1,0,1] neg_lo:[0,0,1] neg_hi:[0,0,1]
	v_pk_fma_f32 v[72:73], v[72:73], v[32:33], v[80:81] op_sel_hi:[1,0,1]
	ds_load_2addr_b64 v[80:83], v74 offset0:7 offset1:8
	v_dual_mov_b32 v32, v70 :: v_dual_mov_b32 v33, v73
	s_wait_dscnt 0x0
	v_pk_mul_f32 v[84:85], v[80:81], v[72:73] op_sel:[0,1]
	s_delay_alu instid0(VALU_DEP_1) | instskip(SKIP_1) | instid1(VALU_DEP_1)
	v_pk_fma_f32 v[86:87], v[80:81], v[70:71], v[84:85] op_sel:[0,0,1] op_sel_hi:[1,1,0] neg_lo:[0,0,1] neg_hi:[0,0,1]
	v_pk_fma_f32 v[80:81], v[80:81], v[70:71], v[84:85] op_sel:[0,0,1] op_sel_hi:[1,0,0]
	v_mov_b32_e32 v87, v81
	v_pk_mul_f32 v[80:81], v[82:83], v[72:73] op_sel:[0,1]
	s_delay_alu instid0(VALU_DEP_1) | instskip(SKIP_1) | instid1(VALU_DEP_1)
	v_pk_fma_f32 v[84:85], v[82:83], v[70:71], v[80:81] op_sel:[0,0,1] op_sel_hi:[1,1,0] neg_lo:[0,0,1] neg_hi:[0,0,1]
	v_pk_fma_f32 v[80:81], v[82:83], v[70:71], v[80:81] op_sel:[0,0,1] op_sel_hi:[1,0,0]
	v_mov_b32_e32 v85, v81
	ds_load_2addr_b64 v[80:83], v74 offset0:9 offset1:10
	v_pk_add_f32 v[6:7], v[6:7], v[86:87] neg_lo:[0,1] neg_hi:[0,1]
	v_pk_add_f32 v[40:41], v[40:41], v[84:85] neg_lo:[0,1] neg_hi:[0,1]
	s_wait_dscnt 0x0
	v_pk_mul_f32 v[84:85], v[80:81], v[72:73] op_sel:[0,1]
	s_delay_alu instid0(VALU_DEP_1) | instskip(SKIP_2) | instid1(VALU_DEP_2)
	v_pk_fma_f32 v[86:87], v[80:81], v[70:71], v[84:85] op_sel:[0,0,1] op_sel_hi:[1,1,0] neg_lo:[0,0,1] neg_hi:[0,0,1]
	v_pk_fma_f32 v[80:81], v[80:81], v[70:71], v[84:85] op_sel:[0,0,1] op_sel_hi:[1,0,0]
	v_dual_mul_f32 v84, v83, v73 :: v_dual_mov_b32 v80, v83
	v_dual_mov_b32 v87, v81 :: v_dual_mov_b32 v81, v82
	s_delay_alu instid0(VALU_DEP_2) | instskip(SKIP_1) | instid1(VALU_DEP_3)
	v_pk_fma_f32 v[84:85], v[82:83], v[32:33], v[84:85] op_sel_hi:[1,1,0] neg_lo:[0,0,1] neg_hi:[0,0,1]
	v_mul_f32_e32 v82, v83, v70
	v_pk_add_f32 v[36:37], v[36:37], v[86:87] neg_lo:[0,1] neg_hi:[0,1]
	s_delay_alu instid0(VALU_DEP_2) | instskip(NEXT) | instid1(VALU_DEP_1)
	v_pk_fma_f32 v[80:81], v[80:81], v[32:33], v[82:83] op_sel_hi:[1,1,0]
	v_mov_b32_e32 v85, v81
	ds_load_2addr_b64 v[80:83], v74 offset0:11 offset1:12
	v_pk_add_f32 v[38:39], v[38:39], v[84:85] neg_lo:[0,1] neg_hi:[0,1]
	s_wait_dscnt 0x0
	v_pk_mul_f32 v[84:85], v[80:81], v[72:73] op_sel:[0,1]
	s_delay_alu instid0(VALU_DEP_1) | instskip(SKIP_1) | instid1(VALU_DEP_1)
	v_pk_fma_f32 v[86:87], v[80:81], v[70:71], v[84:85] op_sel:[0,0,1] op_sel_hi:[1,1,0] neg_lo:[0,0,1] neg_hi:[0,0,1]
	v_pk_fma_f32 v[80:81], v[80:81], v[70:71], v[84:85] op_sel:[0,0,1] op_sel_hi:[1,0,0]
	v_mov_b32_e32 v87, v81
	v_pk_mul_f32 v[80:81], v[82:83], v[72:73] op_sel:[0,1]
	s_delay_alu instid0(VALU_DEP_1) | instskip(SKIP_1) | instid1(VALU_DEP_1)
	v_pk_fma_f32 v[84:85], v[82:83], v[70:71], v[80:81] op_sel:[0,0,1] op_sel_hi:[1,1,0] neg_lo:[0,0,1] neg_hi:[0,0,1]
	v_pk_fma_f32 v[80:81], v[82:83], v[70:71], v[80:81] op_sel:[0,0,1] op_sel_hi:[1,0,0]
	v_mov_b32_e32 v85, v81
	ds_load_2addr_b64 v[80:83], v74 offset0:13 offset1:14
	v_pk_add_f32 v[8:9], v[8:9], v[86:87] neg_lo:[0,1] neg_hi:[0,1]
	v_pk_add_f32 v[52:53], v[52:53], v[84:85] neg_lo:[0,1] neg_hi:[0,1]
	s_wait_dscnt 0x0
	v_pk_mul_f32 v[84:85], v[80:81], v[72:73] op_sel:[0,1]
	s_delay_alu instid0(VALU_DEP_1) | instskip(SKIP_1) | instid1(VALU_DEP_1)
	v_pk_fma_f32 v[86:87], v[80:81], v[70:71], v[84:85] op_sel:[0,0,1] op_sel_hi:[1,1,0] neg_lo:[0,0,1] neg_hi:[0,0,1]
	v_pk_fma_f32 v[80:81], v[80:81], v[70:71], v[84:85] op_sel:[0,0,1] op_sel_hi:[1,0,0]
	v_mov_b32_e32 v87, v81
	v_pk_mul_f32 v[80:81], v[82:83], v[72:73] op_sel:[0,1]
	s_delay_alu instid0(VALU_DEP_1) | instskip(SKIP_1) | instid1(VALU_DEP_1)
	v_pk_fma_f32 v[84:85], v[82:83], v[70:71], v[80:81] op_sel:[0,0,1] op_sel_hi:[1,1,0] neg_lo:[0,0,1] neg_hi:[0,0,1]
	v_pk_fma_f32 v[80:81], v[82:83], v[70:71], v[80:81] op_sel:[0,0,1] op_sel_hi:[1,0,0]
	v_mov_b32_e32 v85, v81
	ds_load_2addr_b64 v[80:83], v74 offset0:15 offset1:16
	v_pk_add_f32 v[48:49], v[48:49], v[86:87] neg_lo:[0,1] neg_hi:[0,1]
	v_pk_add_f32 v[50:51], v[50:51], v[84:85] neg_lo:[0,1] neg_hi:[0,1]
	s_wait_dscnt 0x0
	v_dual_mul_f32 v84, v81, v73 :: v_dual_mul_f32 v86, v81, v70
	s_delay_alu instid0(VALU_DEP_1) | instskip(NEXT) | instid1(VALU_DEP_2)
	v_pk_fma_f32 v[84:85], v[80:81], v[32:33], v[84:85] op_sel_hi:[1,1,0] neg_lo:[0,0,1] neg_hi:[0,0,1]
	v_pk_fma_f32 v[80:81], v[80:81], v[32:33], v[86:87] op_sel:[1,0,0] op_sel_hi:[0,1,0]
	s_delay_alu instid0(VALU_DEP_1) | instskip(SKIP_1) | instid1(VALU_DEP_2)
	v_mov_b32_e32 v85, v81
	v_pk_mul_f32 v[80:81], v[82:83], v[72:73] op_sel:[0,1]
	v_pk_add_f32 v[14:15], v[14:15], v[84:85] neg_lo:[0,1] neg_hi:[0,1]
	s_delay_alu instid0(VALU_DEP_2) | instskip(SKIP_1) | instid1(VALU_DEP_1)
	v_pk_fma_f32 v[84:85], v[82:83], v[70:71], v[80:81] op_sel:[0,0,1] op_sel_hi:[1,1,0] neg_lo:[0,0,1] neg_hi:[0,0,1]
	v_pk_fma_f32 v[80:81], v[82:83], v[70:71], v[80:81] op_sel:[0,0,1] op_sel_hi:[1,0,0]
	v_mov_b32_e32 v85, v81
	ds_load_2addr_b64 v[80:83], v74 offset0:17 offset1:18
	v_pk_add_f32 v[58:59], v[58:59], v[84:85] neg_lo:[0,1] neg_hi:[0,1]
	s_wait_dscnt 0x0
	v_pk_mul_f32 v[84:85], v[80:81], v[72:73] op_sel:[0,1]
	s_delay_alu instid0(VALU_DEP_1) | instskip(SKIP_1) | instid1(VALU_DEP_1)
	v_pk_fma_f32 v[86:87], v[80:81], v[70:71], v[84:85] op_sel:[0,0,1] op_sel_hi:[1,1,0] neg_lo:[0,0,1] neg_hi:[0,0,1]
	v_pk_fma_f32 v[80:81], v[80:81], v[70:71], v[84:85] op_sel:[0,0,1] op_sel_hi:[1,0,0]
	v_mov_b32_e32 v87, v81
	v_pk_mul_f32 v[80:81], v[82:83], v[72:73] op_sel:[0,1]
	s_delay_alu instid0(VALU_DEP_2) | instskip(NEXT) | instid1(VALU_DEP_2)
	v_pk_add_f32 v[54:55], v[54:55], v[86:87] neg_lo:[0,1] neg_hi:[0,1]
	v_pk_fma_f32 v[84:85], v[82:83], v[70:71], v[80:81] op_sel:[0,0,1] op_sel_hi:[1,1,0] neg_lo:[0,0,1] neg_hi:[0,0,1]
	v_pk_fma_f32 v[80:81], v[82:83], v[70:71], v[80:81] op_sel:[0,0,1] op_sel_hi:[1,0,0]
	s_delay_alu instid0(VALU_DEP_1) | instskip(SKIP_4) | instid1(VALU_DEP_1)
	v_mov_b32_e32 v85, v81
	ds_load_2addr_b64 v[80:83], v74 offset0:19 offset1:20
	v_pk_add_f32 v[56:57], v[56:57], v[84:85] neg_lo:[0,1] neg_hi:[0,1]
	s_wait_dscnt 0x0
	v_pk_mul_f32 v[84:85], v[80:81], v[72:73] op_sel:[0,1]
	v_pk_fma_f32 v[86:87], v[80:81], v[70:71], v[84:85] op_sel:[0,0,1] op_sel_hi:[1,1,0] neg_lo:[0,0,1] neg_hi:[0,0,1]
	v_pk_fma_f32 v[80:81], v[80:81], v[70:71], v[84:85] op_sel:[0,0,1] op_sel_hi:[1,0,0]
	v_dual_mul_f32 v84, v83, v73 :: v_dual_mov_b32 v80, v83
	s_delay_alu instid0(VALU_DEP_2) | instskip(NEXT) | instid1(VALU_DEP_2)
	v_dual_mov_b32 v87, v81 :: v_dual_mov_b32 v81, v82
	v_pk_fma_f32 v[84:85], v[82:83], v[32:33], v[84:85] op_sel_hi:[1,1,0] neg_lo:[0,0,1] neg_hi:[0,0,1]
	v_mul_f32_e32 v82, v83, v70
	s_delay_alu instid0(VALU_DEP_3) | instskip(NEXT) | instid1(VALU_DEP_2)
	v_pk_add_f32 v[16:17], v[16:17], v[86:87] neg_lo:[0,1] neg_hi:[0,1]
	v_pk_fma_f32 v[80:81], v[80:81], v[32:33], v[82:83] op_sel_hi:[1,1,0]
	s_delay_alu instid0(VALU_DEP_1) | instskip(SKIP_4) | instid1(VALU_DEP_1)
	v_mov_b32_e32 v85, v81
	ds_load_2addr_b64 v[80:83], v74 offset0:21 offset1:22
	v_pk_add_f32 v[46:47], v[46:47], v[84:85] neg_lo:[0,1] neg_hi:[0,1]
	s_wait_dscnt 0x0
	v_pk_mul_f32 v[84:85], v[80:81], v[72:73] op_sel:[0,1]
	v_pk_fma_f32 v[86:87], v[80:81], v[70:71], v[84:85] op_sel:[0,0,1] op_sel_hi:[1,1,0] neg_lo:[0,0,1] neg_hi:[0,0,1]
	v_pk_fma_f32 v[80:81], v[80:81], v[70:71], v[84:85] op_sel:[0,0,1] op_sel_hi:[1,0,0]
	s_delay_alu instid0(VALU_DEP_1) | instskip(SKIP_1) | instid1(VALU_DEP_1)
	v_mov_b32_e32 v87, v81
	v_pk_mul_f32 v[80:81], v[82:83], v[72:73] op_sel:[0,1]
	v_pk_fma_f32 v[84:85], v[82:83], v[70:71], v[80:81] op_sel:[0,0,1] op_sel_hi:[1,1,0] neg_lo:[0,0,1] neg_hi:[0,0,1]
	v_pk_fma_f32 v[80:81], v[82:83], v[70:71], v[80:81] op_sel:[0,0,1] op_sel_hi:[1,0,0]
	s_delay_alu instid0(VALU_DEP_1)
	v_mov_b32_e32 v85, v81
	ds_load_2addr_b64 v[80:83], v74 offset0:23 offset1:24
	v_pk_add_f32 v[42:43], v[42:43], v[86:87] neg_lo:[0,1] neg_hi:[0,1]
	v_pk_add_f32 v[44:45], v[44:45], v[84:85] neg_lo:[0,1] neg_hi:[0,1]
	s_wait_dscnt 0x0
	v_pk_mul_f32 v[84:85], v[80:81], v[72:73] op_sel:[0,1]
	s_delay_alu instid0(VALU_DEP_1) | instskip(SKIP_1) | instid1(VALU_DEP_1)
	v_pk_fma_f32 v[86:87], v[80:81], v[70:71], v[84:85] op_sel:[0,0,1] op_sel_hi:[1,1,0] neg_lo:[0,0,1] neg_hi:[0,0,1]
	v_pk_fma_f32 v[80:81], v[80:81], v[70:71], v[84:85] op_sel:[0,0,1] op_sel_hi:[1,0,0]
	v_mov_b32_e32 v87, v81
	v_pk_mul_f32 v[80:81], v[82:83], v[72:73] op_sel:[0,1]
	s_delay_alu instid0(VALU_DEP_1) | instskip(SKIP_1) | instid1(VALU_DEP_1)
	v_pk_fma_f32 v[84:85], v[82:83], v[70:71], v[80:81] op_sel:[0,0,1] op_sel_hi:[1,1,0] neg_lo:[0,0,1] neg_hi:[0,0,1]
	v_pk_fma_f32 v[80:81], v[82:83], v[70:71], v[80:81] op_sel:[0,0,1] op_sel_hi:[1,0,0]
	v_mov_b32_e32 v85, v81
	ds_load_2addr_b64 v[80:83], v74 offset0:25 offset1:26
	v_pk_add_f32 v[10:11], v[10:11], v[86:87] neg_lo:[0,1] neg_hi:[0,1]
	v_pk_add_f32 v[28:29], v[28:29], v[84:85] neg_lo:[0,1] neg_hi:[0,1]
	s_wait_dscnt 0x0
	v_dual_mul_f32 v84, v81, v73 :: v_dual_mul_f32 v86, v81, v70
	s_delay_alu instid0(VALU_DEP_1) | instskip(NEXT) | instid1(VALU_DEP_2)
	v_pk_fma_f32 v[84:85], v[80:81], v[32:33], v[84:85] op_sel_hi:[1,1,0] neg_lo:[0,0,1] neg_hi:[0,0,1]
	v_pk_fma_f32 v[80:81], v[80:81], v[32:33], v[86:87] op_sel:[1,0,0] op_sel_hi:[0,1,0]
	s_delay_alu instid0(VALU_DEP_1) | instskip(SKIP_1) | instid1(VALU_DEP_2)
	v_mov_b32_e32 v85, v81
	v_pk_mul_f32 v[80:81], v[82:83], v[72:73] op_sel:[0,1]
	v_pk_add_f32 v[24:25], v[24:25], v[84:85] neg_lo:[0,1] neg_hi:[0,1]
	s_delay_alu instid0(VALU_DEP_2) | instskip(SKIP_1) | instid1(VALU_DEP_1)
	v_pk_fma_f32 v[84:85], v[82:83], v[70:71], v[80:81] op_sel:[0,0,1] op_sel_hi:[1,1,0] neg_lo:[0,0,1] neg_hi:[0,0,1]
	v_pk_fma_f32 v[80:81], v[82:83], v[70:71], v[80:81] op_sel:[0,0,1] op_sel_hi:[1,0,0]
	v_mov_b32_e32 v85, v81
	ds_load_2addr_b64 v[80:83], v74 offset0:27 offset1:28
	v_pk_add_f32 v[26:27], v[26:27], v[84:85] neg_lo:[0,1] neg_hi:[0,1]
	s_wait_dscnt 0x0
	v_pk_mul_f32 v[84:85], v[80:81], v[72:73] op_sel:[0,1]
	s_delay_alu instid0(VALU_DEP_1) | instskip(SKIP_1) | instid1(VALU_DEP_1)
	v_pk_fma_f32 v[86:87], v[80:81], v[70:71], v[84:85] op_sel:[0,0,1] op_sel_hi:[1,1,0] neg_lo:[0,0,1] neg_hi:[0,0,1]
	v_pk_fma_f32 v[80:81], v[80:81], v[70:71], v[84:85] op_sel:[0,0,1] op_sel_hi:[1,0,0]
	v_mov_b32_e32 v87, v81
	v_pk_mul_f32 v[80:81], v[82:83], v[72:73] op_sel:[0,1]
	s_delay_alu instid0(VALU_DEP_2) | instskip(NEXT) | instid1(VALU_DEP_2)
	v_pk_add_f32 v[12:13], v[12:13], v[86:87] neg_lo:[0,1] neg_hi:[0,1]
	v_pk_fma_f32 v[84:85], v[82:83], v[70:71], v[80:81] op_sel:[0,0,1] op_sel_hi:[1,1,0] neg_lo:[0,0,1] neg_hi:[0,0,1]
	v_pk_fma_f32 v[80:81], v[82:83], v[70:71], v[80:81] op_sel:[0,0,1] op_sel_hi:[1,0,0]
	s_delay_alu instid0(VALU_DEP_1) | instskip(SKIP_4) | instid1(VALU_DEP_1)
	v_mov_b32_e32 v85, v81
	ds_load_2addr_b64 v[80:83], v74 offset0:29 offset1:30
	v_pk_add_f32 v[22:23], v[22:23], v[84:85] neg_lo:[0,1] neg_hi:[0,1]
	s_wait_dscnt 0x0
	v_pk_mul_f32 v[84:85], v[80:81], v[72:73] op_sel:[0,1]
	v_pk_fma_f32 v[86:87], v[80:81], v[70:71], v[84:85] op_sel:[0,0,1] op_sel_hi:[1,1,0] neg_lo:[0,0,1] neg_hi:[0,0,1]
	v_pk_fma_f32 v[80:81], v[80:81], v[70:71], v[84:85] op_sel:[0,0,1] op_sel_hi:[1,0,0]
	v_dual_mul_f32 v84, v83, v73 :: v_dual_mov_b32 v80, v83
	s_delay_alu instid0(VALU_DEP_2) | instskip(NEXT) | instid1(VALU_DEP_2)
	v_dual_mov_b32 v87, v81 :: v_dual_mov_b32 v81, v82
	v_pk_fma_f32 v[84:85], v[82:83], v[32:33], v[84:85] op_sel_hi:[1,1,0] neg_lo:[0,0,1] neg_hi:[0,0,1]
	v_mul_f32_e32 v82, v83, v70
	s_delay_alu instid0(VALU_DEP_3) | instskip(NEXT) | instid1(VALU_DEP_2)
	v_pk_add_f32 v[20:21], v[20:21], v[86:87] neg_lo:[0,1] neg_hi:[0,1]
	v_pk_fma_f32 v[80:81], v[80:81], v[32:33], v[82:83] op_sel_hi:[1,1,0]
	s_delay_alu instid0(VALU_DEP_1) | instskip(SKIP_4) | instid1(VALU_DEP_1)
	v_mov_b32_e32 v85, v81
	ds_load_b64 v[80:81], v74 offset:248
	v_pk_add_f32 v[18:19], v[18:19], v[84:85] neg_lo:[0,1] neg_hi:[0,1]
	s_wait_dscnt 0x0
	v_pk_mul_f32 v[72:73], v[80:81], v[72:73] op_sel:[0,1]
	v_pk_fma_f32 v[82:83], v[80:81], v[70:71], v[72:73] op_sel:[0,0,1] op_sel_hi:[1,1,0] neg_lo:[0,0,1] neg_hi:[0,0,1]
	v_pk_fma_f32 v[70:71], v[80:81], v[70:71], v[72:73] op_sel:[0,0,1] op_sel_hi:[1,0,0]
	s_delay_alu instid0(VALU_DEP_1) | instskip(NEXT) | instid1(VALU_DEP_1)
	v_mov_b32_e32 v83, v71
	v_pk_add_f32 v[68:69], v[68:69], v[82:83] neg_lo:[0,1] neg_hi:[0,1]
.LBB62_146:
	s_or_b32 exec_lo, exec_lo, s0
	v_lshl_add_u32 v70, v78, 3, v74
	s_barrier_signal -1
	s_barrier_wait -1
	ds_store_b64 v70, v[6:7]
	s_wait_dscnt 0x0
	s_barrier_signal -1
	s_barrier_wait -1
	ds_load_b64 v[72:73], v74 offset:56
	v_mov_b32_e32 v70, 7
	s_cmp_lt_i32 s18, 9
	s_cbranch_scc1 .LBB62_149
; %bb.147:
	v_add3_u32 v71, v75, 0, 64
	v_mov_b32_e32 v70, 7
	s_mov_b32 s0, 8
.LBB62_148:                             ; =>This Inner Loop Header: Depth=1
	ds_load_b64 v[80:81], v71
	s_wait_dscnt 0x1
	v_cmp_gt_f32_e32 vcc_lo, 0, v72
	v_cndmask_b32_e64 v82, v72, -v72, vcc_lo
	v_cmp_gt_f32_e32 vcc_lo, 0, v73
	v_cndmask_b32_e64 v84, v73, -v73, vcc_lo
	s_wait_dscnt 0x0
	v_cmp_gt_f32_e32 vcc_lo, 0, v80
	v_cndmask_b32_e64 v83, v80, -v80, vcc_lo
	v_cmp_gt_f32_e32 vcc_lo, 0, v81
	v_cndmask_b32_e64 v85, v81, -v81, vcc_lo
	s_delay_alu instid0(VALU_DEP_1) | instskip(NEXT) | instid1(VALU_DEP_1)
	v_pk_add_f32 v[82:83], v[82:83], v[84:85]
	v_cmp_lt_f32_e32 vcc_lo, v82, v83
	v_dual_add_nc_u32 v71, 8, v71 :: v_dual_cndmask_b32 v73, v73, v81, vcc_lo
	v_cndmask_b32_e32 v72, v72, v80, vcc_lo
	v_cndmask_b32_e64 v70, v70, s0, vcc_lo
	s_add_co_i32 s0, s0, 1
	s_delay_alu instid0(SALU_CYCLE_1)
	s_cmp_lg_u32 s18, s0
	s_cbranch_scc1 .LBB62_148
.LBB62_149:
	s_wait_dscnt 0x0
	v_cmp_eq_f32_e32 vcc_lo, 0, v72
	v_cmp_eq_f32_e64 s0, 0, v73
	s_and_b32 s0, vcc_lo, s0
	s_delay_alu instid0(SALU_CYCLE_1) | instskip(NEXT) | instid1(SALU_CYCLE_1)
	s_and_saveexec_b32 s1, s0
	s_xor_b32 s0, exec_lo, s1
; %bb.150:
	v_cmp_ne_u32_e32 vcc_lo, 0, v76
	v_cndmask_b32_e32 v76, 8, v76, vcc_lo
; %bb.151:
	s_and_not1_saveexec_b32 s0, s0
	s_cbranch_execz .LBB62_157
; %bb.152:
	v_cmp_ngt_f32_e64 s1, |v72|, |v73|
	s_and_saveexec_b32 s12, s1
	s_delay_alu instid0(SALU_CYCLE_1)
	s_xor_b32 s1, exec_lo, s12
	s_cbranch_execz .LBB62_154
; %bb.153:
	v_div_scale_f32 v71, null, v73, v73, v72
	v_div_scale_f32 v81, vcc_lo, v72, v73, v72
	s_delay_alu instid0(VALU_DEP_2) | instskip(SKIP_1) | instid1(TRANS32_DEP_1)
	v_rcp_f32_e32 v79, v71
	v_nop
	v_fma_f32 v80, -v71, v79, 1.0
	s_delay_alu instid0(VALU_DEP_1) | instskip(NEXT) | instid1(VALU_DEP_1)
	v_fmac_f32_e32 v79, v80, v79
	v_mul_f32_e32 v80, v81, v79
	s_delay_alu instid0(VALU_DEP_1) | instskip(NEXT) | instid1(VALU_DEP_1)
	v_fma_f32 v82, -v71, v80, v81
	v_fmac_f32_e32 v80, v82, v79
	s_delay_alu instid0(VALU_DEP_1) | instskip(NEXT) | instid1(VALU_DEP_1)
	v_fma_f32 v71, -v71, v80, v81
	v_div_fmas_f32 v71, v71, v79, v80
	s_delay_alu instid0(VALU_DEP_1) | instskip(NEXT) | instid1(VALU_DEP_1)
	v_div_fixup_f32 v71, v71, v73, v72
	v_fmac_f32_e32 v73, v72, v71
	s_delay_alu instid0(VALU_DEP_1) | instskip(SKIP_1) | instid1(VALU_DEP_2)
	v_div_scale_f32 v72, null, v73, v73, 1.0
	v_div_scale_f32 v81, vcc_lo, 1.0, v73, 1.0
	v_rcp_f32_e32 v79, v72
	v_nop
	s_delay_alu instid0(TRANS32_DEP_1) | instskip(NEXT) | instid1(VALU_DEP_1)
	v_fma_f32 v80, -v72, v79, 1.0
	v_fmac_f32_e32 v79, v80, v79
	s_delay_alu instid0(VALU_DEP_1) | instskip(NEXT) | instid1(VALU_DEP_1)
	v_mul_f32_e32 v80, v81, v79
	v_fma_f32 v82, -v72, v80, v81
	s_delay_alu instid0(VALU_DEP_1) | instskip(NEXT) | instid1(VALU_DEP_1)
	v_fmac_f32_e32 v80, v82, v79
	v_fma_f32 v72, -v72, v80, v81
	s_delay_alu instid0(VALU_DEP_1) | instskip(NEXT) | instid1(VALU_DEP_1)
	v_div_fmas_f32 v72, v72, v79, v80
	v_div_fixup_f32 v73, v72, v73, 1.0
	s_delay_alu instid0(VALU_DEP_1)
	v_mul_f32_e32 v72, v71, v73
	v_xor_b32_e32 v73, 0x80000000, v73
.LBB62_154:
	s_and_not1_saveexec_b32 s1, s1
	s_cbranch_execz .LBB62_156
; %bb.155:
	s_delay_alu instid0(VALU_DEP_1) | instskip(SKIP_1) | instid1(VALU_DEP_2)
	v_div_scale_f32 v71, null, v72, v72, v73
	v_div_scale_f32 v81, vcc_lo, v73, v72, v73
	v_rcp_f32_e32 v79, v71
	v_nop
	s_delay_alu instid0(TRANS32_DEP_1) | instskip(NEXT) | instid1(VALU_DEP_1)
	v_fma_f32 v80, -v71, v79, 1.0
	v_fmac_f32_e32 v79, v80, v79
	s_delay_alu instid0(VALU_DEP_1) | instskip(NEXT) | instid1(VALU_DEP_1)
	v_mul_f32_e32 v80, v81, v79
	v_fma_f32 v82, -v71, v80, v81
	s_delay_alu instid0(VALU_DEP_1) | instskip(NEXT) | instid1(VALU_DEP_1)
	v_fmac_f32_e32 v80, v82, v79
	v_fma_f32 v71, -v71, v80, v81
	s_delay_alu instid0(VALU_DEP_1) | instskip(NEXT) | instid1(VALU_DEP_1)
	v_div_fmas_f32 v71, v71, v79, v80
	v_div_fixup_f32 v71, v71, v72, v73
	s_delay_alu instid0(VALU_DEP_1) | instskip(NEXT) | instid1(VALU_DEP_1)
	v_fmac_f32_e32 v72, v73, v71
	v_div_scale_f32 v73, null, v72, v72, 1.0
	s_delay_alu instid0(VALU_DEP_1) | instskip(SKIP_1) | instid1(TRANS32_DEP_1)
	v_rcp_f32_e32 v79, v73
	v_nop
	v_fma_f32 v80, -v73, v79, 1.0
	s_delay_alu instid0(VALU_DEP_1) | instskip(SKIP_1) | instid1(VALU_DEP_1)
	v_fmac_f32_e32 v79, v80, v79
	v_div_scale_f32 v80, vcc_lo, 1.0, v72, 1.0
	v_mul_f32_e32 v81, v80, v79
	s_delay_alu instid0(VALU_DEP_1) | instskip(NEXT) | instid1(VALU_DEP_1)
	v_fma_f32 v82, -v73, v81, v80
	v_fmac_f32_e32 v81, v82, v79
	s_delay_alu instid0(VALU_DEP_1) | instskip(NEXT) | instid1(VALU_DEP_1)
	v_fma_f32 v73, -v73, v81, v80
	v_div_fmas_f32 v73, v73, v79, v81
	s_delay_alu instid0(VALU_DEP_1) | instskip(NEXT) | instid1(VALU_DEP_1)
	v_div_fixup_f32 v72, v73, v72, 1.0
	v_mul_f32_e64 v73, v71, -v72
.LBB62_156:
	s_or_b32 exec_lo, exec_lo, s1
.LBB62_157:
	s_delay_alu instid0(SALU_CYCLE_1) | instskip(NEXT) | instid1(SALU_CYCLE_1)
	s_or_b32 exec_lo, exec_lo, s0
	s_mov_b32 s0, exec_lo
	v_cmpx_ne_u32_e64 v78, v70
	s_xor_b32 s0, exec_lo, s0
	s_cbranch_execz .LBB62_163
; %bb.158:
	s_mov_b32 s1, exec_lo
	v_cmpx_eq_u32_e32 7, v78
	s_cbranch_execz .LBB62_162
; %bb.159:
	v_cmp_ne_u32_e32 vcc_lo, 7, v70
	s_xor_b32 s12, s16, -1
	s_delay_alu instid0(SALU_CYCLE_1) | instskip(NEXT) | instid1(SALU_CYCLE_1)
	s_and_b32 s13, s12, vcc_lo
	s_and_saveexec_b32 s12, s13
	s_cbranch_execz .LBB62_161
; %bb.160:
	v_ashrrev_i32_e32 v71, 31, v70
	s_delay_alu instid0(VALU_DEP_1)
	v_lshl_add_u64 v[78:79], v[70:71], 2, v[4:5]
	s_clause 0x1
	global_load_b32 v71, v[78:79], off
	global_load_b32 v77, v[4:5], off offset:28
	s_wait_loadcnt 0x1
	global_store_b32 v[4:5], v71, off offset:28
	s_wait_loadcnt 0x0
	global_store_b32 v[78:79], v77, off
.LBB62_161:
	s_wait_xcnt 0x0
	s_or_b32 exec_lo, exec_lo, s12
	v_dual_mov_b32 v78, v70 :: v_dual_mov_b32 v77, v70
.LBB62_162:
	s_or_b32 exec_lo, exec_lo, s1
.LBB62_163:
	s_and_not1_saveexec_b32 s0, s0
	s_cbranch_execz .LBB62_165
; %bb.164:
	v_dual_mov_b32 v70, v40 :: v_dual_mov_b32 v71, v41
	v_dual_mov_b32 v78, v36 :: v_dual_mov_b32 v79, v37
	ds_store_2addr_b64 v74, v[70:71], v[78:79] offset0:8 offset1:9
	v_dual_mov_b32 v70, v38 :: v_dual_mov_b32 v71, v39
	v_dual_mov_b32 v78, v8 :: v_dual_mov_b32 v79, v9
	ds_store_2addr_b64 v74, v[70:71], v[78:79] offset0:10 offset1:11
	;; [unrolled: 3-line block ×11, first 2 shown]
	v_dual_mov_b32 v70, v18 :: v_dual_mov_b32 v71, v19
	v_mov_b32_e32 v78, 7
	ds_store_2addr_b64 v74, v[70:71], v[68:69] offset0:30 offset1:31
.LBB62_165:
	s_or_b32 exec_lo, exec_lo, s0
	s_delay_alu instid0(SALU_CYCLE_1)
	s_mov_b32 s0, exec_lo
	s_wait_storecnt_dscnt 0x0
	s_barrier_signal -1
	s_barrier_wait -1
	v_cmpx_lt_i32_e32 7, v78
	s_cbranch_execz .LBB62_167
; %bb.166:
	v_pk_mul_f32 v[80:81], v[72:73], v[6:7] op_sel:[1,1] op_sel_hi:[0,1]
	s_delay_alu instid0(VALU_DEP_1)
	v_pk_fma_f32 v[70:71], v[72:73], v[6:7], v[80:81] op_sel_hi:[1,0,1] neg_lo:[0,0,1] neg_hi:[0,0,1]
	v_pk_fma_f32 v[72:73], v[72:73], v[6:7], v[80:81] op_sel_hi:[1,0,1]
	ds_load_2addr_b64 v[80:83], v74 offset0:8 offset1:9
	v_dual_mov_b32 v6, v70 :: v_dual_mov_b32 v7, v73
	s_wait_dscnt 0x0
	v_pk_mul_f32 v[84:85], v[80:81], v[72:73] op_sel:[0,1]
	s_delay_alu instid0(VALU_DEP_1) | instskip(SKIP_1) | instid1(VALU_DEP_1)
	v_pk_fma_f32 v[86:87], v[80:81], v[70:71], v[84:85] op_sel:[0,0,1] op_sel_hi:[1,1,0] neg_lo:[0,0,1] neg_hi:[0,0,1]
	v_pk_fma_f32 v[80:81], v[80:81], v[70:71], v[84:85] op_sel:[0,0,1] op_sel_hi:[1,0,0]
	v_mov_b32_e32 v87, v81
	v_pk_mul_f32 v[80:81], v[82:83], v[72:73] op_sel:[0,1]
	s_delay_alu instid0(VALU_DEP_1) | instskip(SKIP_1) | instid1(VALU_DEP_1)
	v_pk_fma_f32 v[84:85], v[82:83], v[70:71], v[80:81] op_sel:[0,0,1] op_sel_hi:[1,1,0] neg_lo:[0,0,1] neg_hi:[0,0,1]
	v_pk_fma_f32 v[80:81], v[82:83], v[70:71], v[80:81] op_sel:[0,0,1] op_sel_hi:[1,0,0]
	v_mov_b32_e32 v85, v81
	ds_load_2addr_b64 v[80:83], v74 offset0:10 offset1:11
	v_pk_add_f32 v[40:41], v[40:41], v[86:87] neg_lo:[0,1] neg_hi:[0,1]
	v_pk_add_f32 v[36:37], v[36:37], v[84:85] neg_lo:[0,1] neg_hi:[0,1]
	s_wait_dscnt 0x0
	v_pk_mul_f32 v[84:85], v[80:81], v[72:73] op_sel:[0,1]
	s_delay_alu instid0(VALU_DEP_1) | instskip(SKIP_2) | instid1(VALU_DEP_2)
	v_pk_fma_f32 v[86:87], v[80:81], v[70:71], v[84:85] op_sel:[0,0,1] op_sel_hi:[1,1,0] neg_lo:[0,0,1] neg_hi:[0,0,1]
	v_pk_fma_f32 v[80:81], v[80:81], v[70:71], v[84:85] op_sel:[0,0,1] op_sel_hi:[1,0,0]
	v_dual_mul_f32 v84, v83, v73 :: v_dual_mov_b32 v80, v83
	v_dual_mov_b32 v87, v81 :: v_dual_mov_b32 v81, v82
	s_delay_alu instid0(VALU_DEP_2) | instskip(SKIP_1) | instid1(VALU_DEP_3)
	v_pk_fma_f32 v[84:85], v[82:83], v[6:7], v[84:85] op_sel_hi:[1,1,0] neg_lo:[0,0,1] neg_hi:[0,0,1]
	v_mul_f32_e32 v82, v83, v70
	v_pk_add_f32 v[38:39], v[38:39], v[86:87] neg_lo:[0,1] neg_hi:[0,1]
	s_delay_alu instid0(VALU_DEP_2) | instskip(NEXT) | instid1(VALU_DEP_1)
	v_pk_fma_f32 v[80:81], v[80:81], v[6:7], v[82:83] op_sel_hi:[1,1,0]
	v_mov_b32_e32 v85, v81
	ds_load_2addr_b64 v[80:83], v74 offset0:12 offset1:13
	v_pk_add_f32 v[8:9], v[8:9], v[84:85] neg_lo:[0,1] neg_hi:[0,1]
	s_wait_dscnt 0x0
	v_pk_mul_f32 v[84:85], v[80:81], v[72:73] op_sel:[0,1]
	s_delay_alu instid0(VALU_DEP_1) | instskip(SKIP_1) | instid1(VALU_DEP_1)
	v_pk_fma_f32 v[86:87], v[80:81], v[70:71], v[84:85] op_sel:[0,0,1] op_sel_hi:[1,1,0] neg_lo:[0,0,1] neg_hi:[0,0,1]
	v_pk_fma_f32 v[80:81], v[80:81], v[70:71], v[84:85] op_sel:[0,0,1] op_sel_hi:[1,0,0]
	v_mov_b32_e32 v87, v81
	v_pk_mul_f32 v[80:81], v[82:83], v[72:73] op_sel:[0,1]
	s_delay_alu instid0(VALU_DEP_1) | instskip(SKIP_1) | instid1(VALU_DEP_1)
	v_pk_fma_f32 v[84:85], v[82:83], v[70:71], v[80:81] op_sel:[0,0,1] op_sel_hi:[1,1,0] neg_lo:[0,0,1] neg_hi:[0,0,1]
	v_pk_fma_f32 v[80:81], v[82:83], v[70:71], v[80:81] op_sel:[0,0,1] op_sel_hi:[1,0,0]
	v_mov_b32_e32 v85, v81
	ds_load_2addr_b64 v[80:83], v74 offset0:14 offset1:15
	v_pk_add_f32 v[52:53], v[52:53], v[86:87] neg_lo:[0,1] neg_hi:[0,1]
	v_pk_add_f32 v[48:49], v[48:49], v[84:85] neg_lo:[0,1] neg_hi:[0,1]
	s_wait_dscnt 0x0
	v_pk_mul_f32 v[84:85], v[80:81], v[72:73] op_sel:[0,1]
	s_delay_alu instid0(VALU_DEP_1) | instskip(SKIP_1) | instid1(VALU_DEP_1)
	v_pk_fma_f32 v[86:87], v[80:81], v[70:71], v[84:85] op_sel:[0,0,1] op_sel_hi:[1,1,0] neg_lo:[0,0,1] neg_hi:[0,0,1]
	v_pk_fma_f32 v[80:81], v[80:81], v[70:71], v[84:85] op_sel:[0,0,1] op_sel_hi:[1,0,0]
	v_mov_b32_e32 v87, v81
	v_pk_mul_f32 v[80:81], v[82:83], v[72:73] op_sel:[0,1]
	s_delay_alu instid0(VALU_DEP_1) | instskip(SKIP_1) | instid1(VALU_DEP_1)
	v_pk_fma_f32 v[84:85], v[82:83], v[70:71], v[80:81] op_sel:[0,0,1] op_sel_hi:[1,1,0] neg_lo:[0,0,1] neg_hi:[0,0,1]
	v_pk_fma_f32 v[80:81], v[82:83], v[70:71], v[80:81] op_sel:[0,0,1] op_sel_hi:[1,0,0]
	v_mov_b32_e32 v85, v81
	ds_load_2addr_b64 v[80:83], v74 offset0:16 offset1:17
	v_pk_add_f32 v[50:51], v[50:51], v[86:87] neg_lo:[0,1] neg_hi:[0,1]
	v_pk_add_f32 v[14:15], v[14:15], v[84:85] neg_lo:[0,1] neg_hi:[0,1]
	s_wait_dscnt 0x0
	v_dual_mul_f32 v84, v81, v73 :: v_dual_mul_f32 v86, v81, v70
	s_delay_alu instid0(VALU_DEP_1) | instskip(NEXT) | instid1(VALU_DEP_2)
	v_pk_fma_f32 v[84:85], v[80:81], v[6:7], v[84:85] op_sel_hi:[1,1,0] neg_lo:[0,0,1] neg_hi:[0,0,1]
	v_pk_fma_f32 v[80:81], v[80:81], v[6:7], v[86:87] op_sel:[1,0,0] op_sel_hi:[0,1,0]
	s_delay_alu instid0(VALU_DEP_1) | instskip(SKIP_1) | instid1(VALU_DEP_2)
	v_mov_b32_e32 v85, v81
	v_pk_mul_f32 v[80:81], v[82:83], v[72:73] op_sel:[0,1]
	v_pk_add_f32 v[58:59], v[58:59], v[84:85] neg_lo:[0,1] neg_hi:[0,1]
	s_delay_alu instid0(VALU_DEP_2) | instskip(SKIP_1) | instid1(VALU_DEP_1)
	v_pk_fma_f32 v[84:85], v[82:83], v[70:71], v[80:81] op_sel:[0,0,1] op_sel_hi:[1,1,0] neg_lo:[0,0,1] neg_hi:[0,0,1]
	v_pk_fma_f32 v[80:81], v[82:83], v[70:71], v[80:81] op_sel:[0,0,1] op_sel_hi:[1,0,0]
	v_mov_b32_e32 v85, v81
	ds_load_2addr_b64 v[80:83], v74 offset0:18 offset1:19
	v_pk_add_f32 v[54:55], v[54:55], v[84:85] neg_lo:[0,1] neg_hi:[0,1]
	s_wait_dscnt 0x0
	v_pk_mul_f32 v[84:85], v[80:81], v[72:73] op_sel:[0,1]
	s_delay_alu instid0(VALU_DEP_1) | instskip(SKIP_1) | instid1(VALU_DEP_1)
	v_pk_fma_f32 v[86:87], v[80:81], v[70:71], v[84:85] op_sel:[0,0,1] op_sel_hi:[1,1,0] neg_lo:[0,0,1] neg_hi:[0,0,1]
	v_pk_fma_f32 v[80:81], v[80:81], v[70:71], v[84:85] op_sel:[0,0,1] op_sel_hi:[1,0,0]
	v_mov_b32_e32 v87, v81
	v_pk_mul_f32 v[80:81], v[82:83], v[72:73] op_sel:[0,1]
	s_delay_alu instid0(VALU_DEP_2) | instskip(NEXT) | instid1(VALU_DEP_2)
	v_pk_add_f32 v[56:57], v[56:57], v[86:87] neg_lo:[0,1] neg_hi:[0,1]
	v_pk_fma_f32 v[84:85], v[82:83], v[70:71], v[80:81] op_sel:[0,0,1] op_sel_hi:[1,1,0] neg_lo:[0,0,1] neg_hi:[0,0,1]
	v_pk_fma_f32 v[80:81], v[82:83], v[70:71], v[80:81] op_sel:[0,0,1] op_sel_hi:[1,0,0]
	s_delay_alu instid0(VALU_DEP_1) | instskip(SKIP_4) | instid1(VALU_DEP_1)
	v_mov_b32_e32 v85, v81
	ds_load_2addr_b64 v[80:83], v74 offset0:20 offset1:21
	v_pk_add_f32 v[16:17], v[16:17], v[84:85] neg_lo:[0,1] neg_hi:[0,1]
	s_wait_dscnt 0x0
	v_pk_mul_f32 v[84:85], v[80:81], v[72:73] op_sel:[0,1]
	v_pk_fma_f32 v[86:87], v[80:81], v[70:71], v[84:85] op_sel:[0,0,1] op_sel_hi:[1,1,0] neg_lo:[0,0,1] neg_hi:[0,0,1]
	v_pk_fma_f32 v[80:81], v[80:81], v[70:71], v[84:85] op_sel:[0,0,1] op_sel_hi:[1,0,0]
	v_dual_mul_f32 v84, v83, v73 :: v_dual_mov_b32 v80, v83
	s_delay_alu instid0(VALU_DEP_2) | instskip(NEXT) | instid1(VALU_DEP_2)
	v_dual_mov_b32 v87, v81 :: v_dual_mov_b32 v81, v82
	v_pk_fma_f32 v[84:85], v[82:83], v[6:7], v[84:85] op_sel_hi:[1,1,0] neg_lo:[0,0,1] neg_hi:[0,0,1]
	v_mul_f32_e32 v82, v83, v70
	s_delay_alu instid0(VALU_DEP_3) | instskip(NEXT) | instid1(VALU_DEP_2)
	v_pk_add_f32 v[46:47], v[46:47], v[86:87] neg_lo:[0,1] neg_hi:[0,1]
	v_pk_fma_f32 v[80:81], v[80:81], v[6:7], v[82:83] op_sel_hi:[1,1,0]
	s_delay_alu instid0(VALU_DEP_1) | instskip(SKIP_4) | instid1(VALU_DEP_1)
	v_mov_b32_e32 v85, v81
	ds_load_2addr_b64 v[80:83], v74 offset0:22 offset1:23
	v_pk_add_f32 v[42:43], v[42:43], v[84:85] neg_lo:[0,1] neg_hi:[0,1]
	s_wait_dscnt 0x0
	v_pk_mul_f32 v[84:85], v[80:81], v[72:73] op_sel:[0,1]
	v_pk_fma_f32 v[86:87], v[80:81], v[70:71], v[84:85] op_sel:[0,0,1] op_sel_hi:[1,1,0] neg_lo:[0,0,1] neg_hi:[0,0,1]
	v_pk_fma_f32 v[80:81], v[80:81], v[70:71], v[84:85] op_sel:[0,0,1] op_sel_hi:[1,0,0]
	s_delay_alu instid0(VALU_DEP_1) | instskip(SKIP_1) | instid1(VALU_DEP_1)
	v_mov_b32_e32 v87, v81
	v_pk_mul_f32 v[80:81], v[82:83], v[72:73] op_sel:[0,1]
	v_pk_fma_f32 v[84:85], v[82:83], v[70:71], v[80:81] op_sel:[0,0,1] op_sel_hi:[1,1,0] neg_lo:[0,0,1] neg_hi:[0,0,1]
	v_pk_fma_f32 v[80:81], v[82:83], v[70:71], v[80:81] op_sel:[0,0,1] op_sel_hi:[1,0,0]
	s_delay_alu instid0(VALU_DEP_1)
	v_mov_b32_e32 v85, v81
	ds_load_2addr_b64 v[80:83], v74 offset0:24 offset1:25
	v_pk_add_f32 v[44:45], v[44:45], v[86:87] neg_lo:[0,1] neg_hi:[0,1]
	v_pk_add_f32 v[10:11], v[10:11], v[84:85] neg_lo:[0,1] neg_hi:[0,1]
	s_wait_dscnt 0x0
	v_pk_mul_f32 v[84:85], v[80:81], v[72:73] op_sel:[0,1]
	s_delay_alu instid0(VALU_DEP_1) | instskip(SKIP_1) | instid1(VALU_DEP_1)
	v_pk_fma_f32 v[86:87], v[80:81], v[70:71], v[84:85] op_sel:[0,0,1] op_sel_hi:[1,1,0] neg_lo:[0,0,1] neg_hi:[0,0,1]
	v_pk_fma_f32 v[80:81], v[80:81], v[70:71], v[84:85] op_sel:[0,0,1] op_sel_hi:[1,0,0]
	v_mov_b32_e32 v87, v81
	v_pk_mul_f32 v[80:81], v[82:83], v[72:73] op_sel:[0,1]
	s_delay_alu instid0(VALU_DEP_1) | instskip(SKIP_1) | instid1(VALU_DEP_1)
	v_pk_fma_f32 v[84:85], v[82:83], v[70:71], v[80:81] op_sel:[0,0,1] op_sel_hi:[1,1,0] neg_lo:[0,0,1] neg_hi:[0,0,1]
	v_pk_fma_f32 v[80:81], v[82:83], v[70:71], v[80:81] op_sel:[0,0,1] op_sel_hi:[1,0,0]
	v_mov_b32_e32 v85, v81
	ds_load_2addr_b64 v[80:83], v74 offset0:26 offset1:27
	v_pk_add_f32 v[28:29], v[28:29], v[86:87] neg_lo:[0,1] neg_hi:[0,1]
	v_pk_add_f32 v[24:25], v[24:25], v[84:85] neg_lo:[0,1] neg_hi:[0,1]
	s_wait_dscnt 0x0
	v_dual_mul_f32 v84, v81, v73 :: v_dual_mul_f32 v86, v81, v70
	s_delay_alu instid0(VALU_DEP_1) | instskip(NEXT) | instid1(VALU_DEP_2)
	v_pk_fma_f32 v[84:85], v[80:81], v[6:7], v[84:85] op_sel_hi:[1,1,0] neg_lo:[0,0,1] neg_hi:[0,0,1]
	v_pk_fma_f32 v[80:81], v[80:81], v[6:7], v[86:87] op_sel:[1,0,0] op_sel_hi:[0,1,0]
	s_delay_alu instid0(VALU_DEP_1) | instskip(SKIP_1) | instid1(VALU_DEP_2)
	v_mov_b32_e32 v85, v81
	v_pk_mul_f32 v[80:81], v[82:83], v[72:73] op_sel:[0,1]
	v_pk_add_f32 v[26:27], v[26:27], v[84:85] neg_lo:[0,1] neg_hi:[0,1]
	s_delay_alu instid0(VALU_DEP_2) | instskip(SKIP_1) | instid1(VALU_DEP_1)
	v_pk_fma_f32 v[84:85], v[82:83], v[70:71], v[80:81] op_sel:[0,0,1] op_sel_hi:[1,1,0] neg_lo:[0,0,1] neg_hi:[0,0,1]
	v_pk_fma_f32 v[80:81], v[82:83], v[70:71], v[80:81] op_sel:[0,0,1] op_sel_hi:[1,0,0]
	v_mov_b32_e32 v85, v81
	ds_load_2addr_b64 v[80:83], v74 offset0:28 offset1:29
	v_pk_add_f32 v[12:13], v[12:13], v[84:85] neg_lo:[0,1] neg_hi:[0,1]
	s_wait_dscnt 0x0
	v_pk_mul_f32 v[84:85], v[80:81], v[72:73] op_sel:[0,1]
	s_delay_alu instid0(VALU_DEP_1) | instskip(SKIP_1) | instid1(VALU_DEP_1)
	v_pk_fma_f32 v[86:87], v[80:81], v[70:71], v[84:85] op_sel:[0,0,1] op_sel_hi:[1,1,0] neg_lo:[0,0,1] neg_hi:[0,0,1]
	v_pk_fma_f32 v[80:81], v[80:81], v[70:71], v[84:85] op_sel:[0,0,1] op_sel_hi:[1,0,0]
	v_mov_b32_e32 v87, v81
	v_pk_mul_f32 v[80:81], v[82:83], v[72:73] op_sel:[0,1]
	s_delay_alu instid0(VALU_DEP_2) | instskip(NEXT) | instid1(VALU_DEP_2)
	v_pk_add_f32 v[22:23], v[22:23], v[86:87] neg_lo:[0,1] neg_hi:[0,1]
	v_pk_fma_f32 v[84:85], v[82:83], v[70:71], v[80:81] op_sel:[0,0,1] op_sel_hi:[1,1,0] neg_lo:[0,0,1] neg_hi:[0,0,1]
	v_pk_fma_f32 v[80:81], v[82:83], v[70:71], v[80:81] op_sel:[0,0,1] op_sel_hi:[1,0,0]
	s_delay_alu instid0(VALU_DEP_1)
	v_mov_b32_e32 v85, v81
	ds_load_2addr_b64 v[80:83], v74 offset0:30 offset1:31
	v_pk_add_f32 v[20:21], v[20:21], v[84:85] neg_lo:[0,1] neg_hi:[0,1]
	s_wait_dscnt 0x0
	v_pk_mul_f32 v[84:85], v[80:81], v[72:73] op_sel:[0,1]
	v_mul_f32_e32 v72, v83, v73
	s_delay_alu instid0(VALU_DEP_2) | instskip(SKIP_2) | instid1(VALU_DEP_4)
	v_pk_fma_f32 v[86:87], v[80:81], v[70:71], v[84:85] op_sel:[0,0,1] op_sel_hi:[1,1,0] neg_lo:[0,0,1] neg_hi:[0,0,1]
	v_pk_fma_f32 v[80:81], v[80:81], v[70:71], v[84:85] op_sel:[0,0,1] op_sel_hi:[1,0,0]
	v_dual_mov_b32 v80, v83 :: v_dual_mul_f32 v70, v83, v70
	v_pk_fma_f32 v[72:73], v[82:83], v[6:7], v[72:73] op_sel_hi:[1,1,0] neg_lo:[0,0,1] neg_hi:[0,0,1]
	s_delay_alu instid0(VALU_DEP_3) | instskip(NEXT) | instid1(VALU_DEP_1)
	v_dual_mov_b32 v87, v81 :: v_dual_mov_b32 v81, v82
	v_pk_add_f32 v[18:19], v[18:19], v[86:87] neg_lo:[0,1] neg_hi:[0,1]
	s_delay_alu instid0(VALU_DEP_2) | instskip(NEXT) | instid1(VALU_DEP_1)
	v_pk_fma_f32 v[70:71], v[80:81], v[6:7], v[70:71] op_sel_hi:[1,1,0]
	v_mov_b32_e32 v73, v71
	s_delay_alu instid0(VALU_DEP_1)
	v_pk_add_f32 v[68:69], v[68:69], v[72:73] neg_lo:[0,1] neg_hi:[0,1]
.LBB62_167:
	s_or_b32 exec_lo, exec_lo, s0
	v_lshl_add_u32 v70, v78, 3, v74
	s_barrier_signal -1
	s_barrier_wait -1
	ds_store_b64 v70, v[40:41]
	s_wait_dscnt 0x0
	s_barrier_signal -1
	s_barrier_wait -1
	ds_load_b64 v[72:73], v74 offset:64
	v_mov_b32_e32 v70, 8
	s_cmp_lt_i32 s18, 10
	s_cbranch_scc1 .LBB62_170
; %bb.168:
	v_add3_u32 v71, v75, 0, 0x48
	v_mov_b32_e32 v70, 8
	s_mov_b32 s0, 9
.LBB62_169:                             ; =>This Inner Loop Header: Depth=1
	ds_load_b64 v[80:81], v71
	s_wait_dscnt 0x1
	v_cmp_gt_f32_e32 vcc_lo, 0, v72
	v_cndmask_b32_e64 v82, v72, -v72, vcc_lo
	v_cmp_gt_f32_e32 vcc_lo, 0, v73
	v_cndmask_b32_e64 v84, v73, -v73, vcc_lo
	s_wait_dscnt 0x0
	v_cmp_gt_f32_e32 vcc_lo, 0, v80
	v_cndmask_b32_e64 v83, v80, -v80, vcc_lo
	v_cmp_gt_f32_e32 vcc_lo, 0, v81
	v_cndmask_b32_e64 v85, v81, -v81, vcc_lo
	s_delay_alu instid0(VALU_DEP_1) | instskip(NEXT) | instid1(VALU_DEP_1)
	v_pk_add_f32 v[82:83], v[82:83], v[84:85]
	v_cmp_lt_f32_e32 vcc_lo, v82, v83
	v_dual_add_nc_u32 v71, 8, v71 :: v_dual_cndmask_b32 v73, v73, v81, vcc_lo
	v_cndmask_b32_e32 v72, v72, v80, vcc_lo
	v_cndmask_b32_e64 v70, v70, s0, vcc_lo
	s_add_co_i32 s0, s0, 1
	s_delay_alu instid0(SALU_CYCLE_1)
	s_cmp_lg_u32 s18, s0
	s_cbranch_scc1 .LBB62_169
.LBB62_170:
	s_wait_dscnt 0x0
	v_cmp_eq_f32_e32 vcc_lo, 0, v72
	v_cmp_eq_f32_e64 s0, 0, v73
	s_and_b32 s0, vcc_lo, s0
	s_delay_alu instid0(SALU_CYCLE_1) | instskip(NEXT) | instid1(SALU_CYCLE_1)
	s_and_saveexec_b32 s1, s0
	s_xor_b32 s0, exec_lo, s1
; %bb.171:
	v_cmp_ne_u32_e32 vcc_lo, 0, v76
	v_cndmask_b32_e32 v76, 9, v76, vcc_lo
; %bb.172:
	s_and_not1_saveexec_b32 s0, s0
	s_cbranch_execz .LBB62_178
; %bb.173:
	v_cmp_ngt_f32_e64 s1, |v72|, |v73|
	s_and_saveexec_b32 s12, s1
	s_delay_alu instid0(SALU_CYCLE_1)
	s_xor_b32 s1, exec_lo, s12
	s_cbranch_execz .LBB62_175
; %bb.174:
	v_div_scale_f32 v71, null, v73, v73, v72
	v_div_scale_f32 v81, vcc_lo, v72, v73, v72
	s_delay_alu instid0(VALU_DEP_2) | instskip(SKIP_1) | instid1(TRANS32_DEP_1)
	v_rcp_f32_e32 v79, v71
	v_nop
	v_fma_f32 v80, -v71, v79, 1.0
	s_delay_alu instid0(VALU_DEP_1) | instskip(NEXT) | instid1(VALU_DEP_1)
	v_fmac_f32_e32 v79, v80, v79
	v_mul_f32_e32 v80, v81, v79
	s_delay_alu instid0(VALU_DEP_1) | instskip(NEXT) | instid1(VALU_DEP_1)
	v_fma_f32 v82, -v71, v80, v81
	v_fmac_f32_e32 v80, v82, v79
	s_delay_alu instid0(VALU_DEP_1) | instskip(NEXT) | instid1(VALU_DEP_1)
	v_fma_f32 v71, -v71, v80, v81
	v_div_fmas_f32 v71, v71, v79, v80
	s_delay_alu instid0(VALU_DEP_1) | instskip(NEXT) | instid1(VALU_DEP_1)
	v_div_fixup_f32 v71, v71, v73, v72
	v_fmac_f32_e32 v73, v72, v71
	s_delay_alu instid0(VALU_DEP_1) | instskip(SKIP_1) | instid1(VALU_DEP_2)
	v_div_scale_f32 v72, null, v73, v73, 1.0
	v_div_scale_f32 v81, vcc_lo, 1.0, v73, 1.0
	v_rcp_f32_e32 v79, v72
	v_nop
	s_delay_alu instid0(TRANS32_DEP_1) | instskip(NEXT) | instid1(VALU_DEP_1)
	v_fma_f32 v80, -v72, v79, 1.0
	v_fmac_f32_e32 v79, v80, v79
	s_delay_alu instid0(VALU_DEP_1) | instskip(NEXT) | instid1(VALU_DEP_1)
	v_mul_f32_e32 v80, v81, v79
	v_fma_f32 v82, -v72, v80, v81
	s_delay_alu instid0(VALU_DEP_1) | instskip(NEXT) | instid1(VALU_DEP_1)
	v_fmac_f32_e32 v80, v82, v79
	v_fma_f32 v72, -v72, v80, v81
	s_delay_alu instid0(VALU_DEP_1) | instskip(NEXT) | instid1(VALU_DEP_1)
	v_div_fmas_f32 v72, v72, v79, v80
	v_div_fixup_f32 v73, v72, v73, 1.0
	s_delay_alu instid0(VALU_DEP_1)
	v_mul_f32_e32 v72, v71, v73
	v_xor_b32_e32 v73, 0x80000000, v73
.LBB62_175:
	s_and_not1_saveexec_b32 s1, s1
	s_cbranch_execz .LBB62_177
; %bb.176:
	s_delay_alu instid0(VALU_DEP_1) | instskip(SKIP_1) | instid1(VALU_DEP_2)
	v_div_scale_f32 v71, null, v72, v72, v73
	v_div_scale_f32 v81, vcc_lo, v73, v72, v73
	v_rcp_f32_e32 v79, v71
	v_nop
	s_delay_alu instid0(TRANS32_DEP_1) | instskip(NEXT) | instid1(VALU_DEP_1)
	v_fma_f32 v80, -v71, v79, 1.0
	v_fmac_f32_e32 v79, v80, v79
	s_delay_alu instid0(VALU_DEP_1) | instskip(NEXT) | instid1(VALU_DEP_1)
	v_mul_f32_e32 v80, v81, v79
	v_fma_f32 v82, -v71, v80, v81
	s_delay_alu instid0(VALU_DEP_1) | instskip(NEXT) | instid1(VALU_DEP_1)
	v_fmac_f32_e32 v80, v82, v79
	v_fma_f32 v71, -v71, v80, v81
	s_delay_alu instid0(VALU_DEP_1) | instskip(NEXT) | instid1(VALU_DEP_1)
	v_div_fmas_f32 v71, v71, v79, v80
	v_div_fixup_f32 v71, v71, v72, v73
	s_delay_alu instid0(VALU_DEP_1) | instskip(NEXT) | instid1(VALU_DEP_1)
	v_fmac_f32_e32 v72, v73, v71
	v_div_scale_f32 v73, null, v72, v72, 1.0
	s_delay_alu instid0(VALU_DEP_1) | instskip(SKIP_1) | instid1(TRANS32_DEP_1)
	v_rcp_f32_e32 v79, v73
	v_nop
	v_fma_f32 v80, -v73, v79, 1.0
	s_delay_alu instid0(VALU_DEP_1) | instskip(SKIP_1) | instid1(VALU_DEP_1)
	v_fmac_f32_e32 v79, v80, v79
	v_div_scale_f32 v80, vcc_lo, 1.0, v72, 1.0
	v_mul_f32_e32 v81, v80, v79
	s_delay_alu instid0(VALU_DEP_1) | instskip(NEXT) | instid1(VALU_DEP_1)
	v_fma_f32 v82, -v73, v81, v80
	v_fmac_f32_e32 v81, v82, v79
	s_delay_alu instid0(VALU_DEP_1) | instskip(NEXT) | instid1(VALU_DEP_1)
	v_fma_f32 v73, -v73, v81, v80
	v_div_fmas_f32 v73, v73, v79, v81
	s_delay_alu instid0(VALU_DEP_1) | instskip(NEXT) | instid1(VALU_DEP_1)
	v_div_fixup_f32 v72, v73, v72, 1.0
	v_mul_f32_e64 v73, v71, -v72
.LBB62_177:
	s_or_b32 exec_lo, exec_lo, s1
.LBB62_178:
	s_delay_alu instid0(SALU_CYCLE_1) | instskip(NEXT) | instid1(SALU_CYCLE_1)
	s_or_b32 exec_lo, exec_lo, s0
	s_mov_b32 s0, exec_lo
	v_cmpx_ne_u32_e64 v78, v70
	s_xor_b32 s0, exec_lo, s0
	s_cbranch_execz .LBB62_184
; %bb.179:
	s_mov_b32 s1, exec_lo
	v_cmpx_eq_u32_e32 8, v78
	s_cbranch_execz .LBB62_183
; %bb.180:
	v_cmp_ne_u32_e32 vcc_lo, 8, v70
	s_xor_b32 s12, s16, -1
	s_delay_alu instid0(SALU_CYCLE_1) | instskip(NEXT) | instid1(SALU_CYCLE_1)
	s_and_b32 s13, s12, vcc_lo
	s_and_saveexec_b32 s12, s13
	s_cbranch_execz .LBB62_182
; %bb.181:
	v_ashrrev_i32_e32 v71, 31, v70
	s_delay_alu instid0(VALU_DEP_1)
	v_lshl_add_u64 v[78:79], v[70:71], 2, v[4:5]
	s_clause 0x1
	global_load_b32 v71, v[78:79], off
	global_load_b32 v77, v[4:5], off offset:32
	s_wait_loadcnt 0x1
	global_store_b32 v[4:5], v71, off offset:32
	s_wait_loadcnt 0x0
	global_store_b32 v[78:79], v77, off
.LBB62_182:
	s_wait_xcnt 0x0
	s_or_b32 exec_lo, exec_lo, s12
	v_dual_mov_b32 v78, v70 :: v_dual_mov_b32 v77, v70
.LBB62_183:
	s_or_b32 exec_lo, exec_lo, s1
.LBB62_184:
	s_and_not1_saveexec_b32 s0, s0
	s_cbranch_execz .LBB62_186
; %bb.185:
	v_mov_b32_e32 v78, 8
	ds_store_2addr_b64 v74, v[36:37], v[38:39] offset0:9 offset1:10
	ds_store_2addr_b64 v74, v[8:9], v[52:53] offset0:11 offset1:12
	;; [unrolled: 1-line block ×11, first 2 shown]
	ds_store_b64 v74, v[68:69] offset:248
.LBB62_186:
	s_or_b32 exec_lo, exec_lo, s0
	s_delay_alu instid0(SALU_CYCLE_1)
	s_mov_b32 s0, exec_lo
	s_wait_storecnt_dscnt 0x0
	s_barrier_signal -1
	s_barrier_wait -1
	v_cmpx_lt_i32_e32 8, v78
	s_cbranch_execz .LBB62_188
; %bb.187:
	v_pk_mul_f32 v[80:81], v[72:73], v[40:41] op_sel:[1,1] op_sel_hi:[0,1]
	s_delay_alu instid0(VALU_DEP_1)
	v_pk_fma_f32 v[70:71], v[72:73], v[40:41], v[80:81] op_sel_hi:[1,0,1] neg_lo:[0,0,1] neg_hi:[0,0,1]
	v_pk_fma_f32 v[72:73], v[72:73], v[40:41], v[80:81] op_sel_hi:[1,0,1]
	ds_load_2addr_b64 v[80:83], v74 offset0:9 offset1:10
	v_dual_mov_b32 v40, v70 :: v_dual_mov_b32 v41, v73
	s_wait_dscnt 0x0
	v_pk_mul_f32 v[84:85], v[80:81], v[72:73] op_sel:[0,1]
	s_delay_alu instid0(VALU_DEP_1) | instskip(SKIP_1) | instid1(VALU_DEP_1)
	v_pk_fma_f32 v[86:87], v[80:81], v[70:71], v[84:85] op_sel:[0,0,1] op_sel_hi:[1,1,0] neg_lo:[0,0,1] neg_hi:[0,0,1]
	v_pk_fma_f32 v[80:81], v[80:81], v[70:71], v[84:85] op_sel:[0,0,1] op_sel_hi:[1,0,0]
	v_mov_b32_e32 v87, v81
	v_pk_mul_f32 v[80:81], v[82:83], v[72:73] op_sel:[0,1]
	s_delay_alu instid0(VALU_DEP_1) | instskip(SKIP_1) | instid1(VALU_DEP_1)
	v_pk_fma_f32 v[84:85], v[82:83], v[70:71], v[80:81] op_sel:[0,0,1] op_sel_hi:[1,1,0] neg_lo:[0,0,1] neg_hi:[0,0,1]
	v_pk_fma_f32 v[80:81], v[82:83], v[70:71], v[80:81] op_sel:[0,0,1] op_sel_hi:[1,0,0]
	v_mov_b32_e32 v85, v81
	ds_load_2addr_b64 v[80:83], v74 offset0:11 offset1:12
	v_pk_add_f32 v[36:37], v[36:37], v[86:87] neg_lo:[0,1] neg_hi:[0,1]
	v_pk_add_f32 v[38:39], v[38:39], v[84:85] neg_lo:[0,1] neg_hi:[0,1]
	s_wait_dscnt 0x0
	v_pk_mul_f32 v[84:85], v[80:81], v[72:73] op_sel:[0,1]
	s_delay_alu instid0(VALU_DEP_1) | instskip(SKIP_2) | instid1(VALU_DEP_2)
	v_pk_fma_f32 v[86:87], v[80:81], v[70:71], v[84:85] op_sel:[0,0,1] op_sel_hi:[1,1,0] neg_lo:[0,0,1] neg_hi:[0,0,1]
	v_pk_fma_f32 v[80:81], v[80:81], v[70:71], v[84:85] op_sel:[0,0,1] op_sel_hi:[1,0,0]
	v_dual_mul_f32 v84, v83, v73 :: v_dual_mov_b32 v80, v83
	v_dual_mov_b32 v87, v81 :: v_dual_mov_b32 v81, v82
	s_delay_alu instid0(VALU_DEP_2) | instskip(SKIP_1) | instid1(VALU_DEP_3)
	v_pk_fma_f32 v[84:85], v[82:83], v[40:41], v[84:85] op_sel_hi:[1,1,0] neg_lo:[0,0,1] neg_hi:[0,0,1]
	v_mul_f32_e32 v82, v83, v70
	v_pk_add_f32 v[8:9], v[8:9], v[86:87] neg_lo:[0,1] neg_hi:[0,1]
	s_delay_alu instid0(VALU_DEP_2) | instskip(NEXT) | instid1(VALU_DEP_1)
	v_pk_fma_f32 v[80:81], v[80:81], v[40:41], v[82:83] op_sel_hi:[1,1,0]
	v_mov_b32_e32 v85, v81
	ds_load_2addr_b64 v[80:83], v74 offset0:13 offset1:14
	v_pk_add_f32 v[52:53], v[52:53], v[84:85] neg_lo:[0,1] neg_hi:[0,1]
	s_wait_dscnt 0x0
	v_pk_mul_f32 v[84:85], v[80:81], v[72:73] op_sel:[0,1]
	s_delay_alu instid0(VALU_DEP_1) | instskip(SKIP_1) | instid1(VALU_DEP_1)
	v_pk_fma_f32 v[86:87], v[80:81], v[70:71], v[84:85] op_sel:[0,0,1] op_sel_hi:[1,1,0] neg_lo:[0,0,1] neg_hi:[0,0,1]
	v_pk_fma_f32 v[80:81], v[80:81], v[70:71], v[84:85] op_sel:[0,0,1] op_sel_hi:[1,0,0]
	v_mov_b32_e32 v87, v81
	v_pk_mul_f32 v[80:81], v[82:83], v[72:73] op_sel:[0,1]
	s_delay_alu instid0(VALU_DEP_1) | instskip(SKIP_1) | instid1(VALU_DEP_1)
	v_pk_fma_f32 v[84:85], v[82:83], v[70:71], v[80:81] op_sel:[0,0,1] op_sel_hi:[1,1,0] neg_lo:[0,0,1] neg_hi:[0,0,1]
	v_pk_fma_f32 v[80:81], v[82:83], v[70:71], v[80:81] op_sel:[0,0,1] op_sel_hi:[1,0,0]
	v_mov_b32_e32 v85, v81
	ds_load_2addr_b64 v[80:83], v74 offset0:15 offset1:16
	v_pk_add_f32 v[48:49], v[48:49], v[86:87] neg_lo:[0,1] neg_hi:[0,1]
	v_pk_add_f32 v[50:51], v[50:51], v[84:85] neg_lo:[0,1] neg_hi:[0,1]
	s_wait_dscnt 0x0
	v_pk_mul_f32 v[84:85], v[80:81], v[72:73] op_sel:[0,1]
	s_delay_alu instid0(VALU_DEP_1) | instskip(SKIP_1) | instid1(VALU_DEP_1)
	v_pk_fma_f32 v[86:87], v[80:81], v[70:71], v[84:85] op_sel:[0,0,1] op_sel_hi:[1,1,0] neg_lo:[0,0,1] neg_hi:[0,0,1]
	v_pk_fma_f32 v[80:81], v[80:81], v[70:71], v[84:85] op_sel:[0,0,1] op_sel_hi:[1,0,0]
	v_mov_b32_e32 v87, v81
	v_pk_mul_f32 v[80:81], v[82:83], v[72:73] op_sel:[0,1]
	s_delay_alu instid0(VALU_DEP_1) | instskip(SKIP_1) | instid1(VALU_DEP_1)
	v_pk_fma_f32 v[84:85], v[82:83], v[70:71], v[80:81] op_sel:[0,0,1] op_sel_hi:[1,1,0] neg_lo:[0,0,1] neg_hi:[0,0,1]
	v_pk_fma_f32 v[80:81], v[82:83], v[70:71], v[80:81] op_sel:[0,0,1] op_sel_hi:[1,0,0]
	v_mov_b32_e32 v85, v81
	ds_load_2addr_b64 v[80:83], v74 offset0:17 offset1:18
	v_pk_add_f32 v[14:15], v[14:15], v[86:87] neg_lo:[0,1] neg_hi:[0,1]
	v_pk_add_f32 v[58:59], v[58:59], v[84:85] neg_lo:[0,1] neg_hi:[0,1]
	s_wait_dscnt 0x0
	v_dual_mul_f32 v84, v81, v73 :: v_dual_mul_f32 v86, v81, v70
	s_delay_alu instid0(VALU_DEP_1) | instskip(NEXT) | instid1(VALU_DEP_2)
	v_pk_fma_f32 v[84:85], v[80:81], v[40:41], v[84:85] op_sel_hi:[1,1,0] neg_lo:[0,0,1] neg_hi:[0,0,1]
	v_pk_fma_f32 v[80:81], v[80:81], v[40:41], v[86:87] op_sel:[1,0,0] op_sel_hi:[0,1,0]
	s_delay_alu instid0(VALU_DEP_1) | instskip(SKIP_1) | instid1(VALU_DEP_2)
	v_mov_b32_e32 v85, v81
	v_pk_mul_f32 v[80:81], v[82:83], v[72:73] op_sel:[0,1]
	v_pk_add_f32 v[54:55], v[54:55], v[84:85] neg_lo:[0,1] neg_hi:[0,1]
	s_delay_alu instid0(VALU_DEP_2) | instskip(SKIP_1) | instid1(VALU_DEP_1)
	v_pk_fma_f32 v[84:85], v[82:83], v[70:71], v[80:81] op_sel:[0,0,1] op_sel_hi:[1,1,0] neg_lo:[0,0,1] neg_hi:[0,0,1]
	v_pk_fma_f32 v[80:81], v[82:83], v[70:71], v[80:81] op_sel:[0,0,1] op_sel_hi:[1,0,0]
	v_mov_b32_e32 v85, v81
	ds_load_2addr_b64 v[80:83], v74 offset0:19 offset1:20
	v_pk_add_f32 v[56:57], v[56:57], v[84:85] neg_lo:[0,1] neg_hi:[0,1]
	s_wait_dscnt 0x0
	v_pk_mul_f32 v[84:85], v[80:81], v[72:73] op_sel:[0,1]
	s_delay_alu instid0(VALU_DEP_1) | instskip(SKIP_1) | instid1(VALU_DEP_1)
	v_pk_fma_f32 v[86:87], v[80:81], v[70:71], v[84:85] op_sel:[0,0,1] op_sel_hi:[1,1,0] neg_lo:[0,0,1] neg_hi:[0,0,1]
	v_pk_fma_f32 v[80:81], v[80:81], v[70:71], v[84:85] op_sel:[0,0,1] op_sel_hi:[1,0,0]
	v_mov_b32_e32 v87, v81
	v_pk_mul_f32 v[80:81], v[82:83], v[72:73] op_sel:[0,1]
	s_delay_alu instid0(VALU_DEP_2) | instskip(NEXT) | instid1(VALU_DEP_2)
	v_pk_add_f32 v[16:17], v[16:17], v[86:87] neg_lo:[0,1] neg_hi:[0,1]
	v_pk_fma_f32 v[84:85], v[82:83], v[70:71], v[80:81] op_sel:[0,0,1] op_sel_hi:[1,1,0] neg_lo:[0,0,1] neg_hi:[0,0,1]
	v_pk_fma_f32 v[80:81], v[82:83], v[70:71], v[80:81] op_sel:[0,0,1] op_sel_hi:[1,0,0]
	s_delay_alu instid0(VALU_DEP_1) | instskip(SKIP_4) | instid1(VALU_DEP_1)
	v_mov_b32_e32 v85, v81
	ds_load_2addr_b64 v[80:83], v74 offset0:21 offset1:22
	v_pk_add_f32 v[46:47], v[46:47], v[84:85] neg_lo:[0,1] neg_hi:[0,1]
	s_wait_dscnt 0x0
	v_pk_mul_f32 v[84:85], v[80:81], v[72:73] op_sel:[0,1]
	v_pk_fma_f32 v[86:87], v[80:81], v[70:71], v[84:85] op_sel:[0,0,1] op_sel_hi:[1,1,0] neg_lo:[0,0,1] neg_hi:[0,0,1]
	v_pk_fma_f32 v[80:81], v[80:81], v[70:71], v[84:85] op_sel:[0,0,1] op_sel_hi:[1,0,0]
	v_dual_mul_f32 v84, v83, v73 :: v_dual_mov_b32 v80, v83
	s_delay_alu instid0(VALU_DEP_2) | instskip(NEXT) | instid1(VALU_DEP_2)
	v_dual_mov_b32 v87, v81 :: v_dual_mov_b32 v81, v82
	v_pk_fma_f32 v[84:85], v[82:83], v[40:41], v[84:85] op_sel_hi:[1,1,0] neg_lo:[0,0,1] neg_hi:[0,0,1]
	v_mul_f32_e32 v82, v83, v70
	s_delay_alu instid0(VALU_DEP_3) | instskip(NEXT) | instid1(VALU_DEP_2)
	v_pk_add_f32 v[42:43], v[42:43], v[86:87] neg_lo:[0,1] neg_hi:[0,1]
	v_pk_fma_f32 v[80:81], v[80:81], v[40:41], v[82:83] op_sel_hi:[1,1,0]
	s_delay_alu instid0(VALU_DEP_1) | instskip(SKIP_4) | instid1(VALU_DEP_1)
	v_mov_b32_e32 v85, v81
	ds_load_2addr_b64 v[80:83], v74 offset0:23 offset1:24
	v_pk_add_f32 v[44:45], v[44:45], v[84:85] neg_lo:[0,1] neg_hi:[0,1]
	s_wait_dscnt 0x0
	v_pk_mul_f32 v[84:85], v[80:81], v[72:73] op_sel:[0,1]
	v_pk_fma_f32 v[86:87], v[80:81], v[70:71], v[84:85] op_sel:[0,0,1] op_sel_hi:[1,1,0] neg_lo:[0,0,1] neg_hi:[0,0,1]
	v_pk_fma_f32 v[80:81], v[80:81], v[70:71], v[84:85] op_sel:[0,0,1] op_sel_hi:[1,0,0]
	s_delay_alu instid0(VALU_DEP_1) | instskip(SKIP_1) | instid1(VALU_DEP_1)
	v_mov_b32_e32 v87, v81
	v_pk_mul_f32 v[80:81], v[82:83], v[72:73] op_sel:[0,1]
	v_pk_fma_f32 v[84:85], v[82:83], v[70:71], v[80:81] op_sel:[0,0,1] op_sel_hi:[1,1,0] neg_lo:[0,0,1] neg_hi:[0,0,1]
	v_pk_fma_f32 v[80:81], v[82:83], v[70:71], v[80:81] op_sel:[0,0,1] op_sel_hi:[1,0,0]
	s_delay_alu instid0(VALU_DEP_1)
	v_mov_b32_e32 v85, v81
	ds_load_2addr_b64 v[80:83], v74 offset0:25 offset1:26
	v_pk_add_f32 v[10:11], v[10:11], v[86:87] neg_lo:[0,1] neg_hi:[0,1]
	v_pk_add_f32 v[28:29], v[28:29], v[84:85] neg_lo:[0,1] neg_hi:[0,1]
	s_wait_dscnt 0x0
	v_pk_mul_f32 v[84:85], v[80:81], v[72:73] op_sel:[0,1]
	s_delay_alu instid0(VALU_DEP_1) | instskip(SKIP_1) | instid1(VALU_DEP_1)
	v_pk_fma_f32 v[86:87], v[80:81], v[70:71], v[84:85] op_sel:[0,0,1] op_sel_hi:[1,1,0] neg_lo:[0,0,1] neg_hi:[0,0,1]
	v_pk_fma_f32 v[80:81], v[80:81], v[70:71], v[84:85] op_sel:[0,0,1] op_sel_hi:[1,0,0]
	v_mov_b32_e32 v87, v81
	v_pk_mul_f32 v[80:81], v[82:83], v[72:73] op_sel:[0,1]
	s_delay_alu instid0(VALU_DEP_1) | instskip(SKIP_1) | instid1(VALU_DEP_1)
	v_pk_fma_f32 v[84:85], v[82:83], v[70:71], v[80:81] op_sel:[0,0,1] op_sel_hi:[1,1,0] neg_lo:[0,0,1] neg_hi:[0,0,1]
	v_pk_fma_f32 v[80:81], v[82:83], v[70:71], v[80:81] op_sel:[0,0,1] op_sel_hi:[1,0,0]
	v_mov_b32_e32 v85, v81
	ds_load_2addr_b64 v[80:83], v74 offset0:27 offset1:28
	v_pk_add_f32 v[24:25], v[24:25], v[86:87] neg_lo:[0,1] neg_hi:[0,1]
	v_pk_add_f32 v[26:27], v[26:27], v[84:85] neg_lo:[0,1] neg_hi:[0,1]
	s_wait_dscnt 0x0
	v_dual_mul_f32 v84, v81, v73 :: v_dual_mul_f32 v86, v81, v70
	s_delay_alu instid0(VALU_DEP_1) | instskip(NEXT) | instid1(VALU_DEP_2)
	v_pk_fma_f32 v[84:85], v[80:81], v[40:41], v[84:85] op_sel_hi:[1,1,0] neg_lo:[0,0,1] neg_hi:[0,0,1]
	v_pk_fma_f32 v[80:81], v[80:81], v[40:41], v[86:87] op_sel:[1,0,0] op_sel_hi:[0,1,0]
	s_delay_alu instid0(VALU_DEP_1) | instskip(SKIP_1) | instid1(VALU_DEP_2)
	v_mov_b32_e32 v85, v81
	v_pk_mul_f32 v[80:81], v[82:83], v[72:73] op_sel:[0,1]
	v_pk_add_f32 v[12:13], v[12:13], v[84:85] neg_lo:[0,1] neg_hi:[0,1]
	s_delay_alu instid0(VALU_DEP_2) | instskip(SKIP_1) | instid1(VALU_DEP_1)
	v_pk_fma_f32 v[84:85], v[82:83], v[70:71], v[80:81] op_sel:[0,0,1] op_sel_hi:[1,1,0] neg_lo:[0,0,1] neg_hi:[0,0,1]
	v_pk_fma_f32 v[80:81], v[82:83], v[70:71], v[80:81] op_sel:[0,0,1] op_sel_hi:[1,0,0]
	v_mov_b32_e32 v85, v81
	ds_load_2addr_b64 v[80:83], v74 offset0:29 offset1:30
	v_pk_add_f32 v[22:23], v[22:23], v[84:85] neg_lo:[0,1] neg_hi:[0,1]
	s_wait_dscnt 0x0
	v_pk_mul_f32 v[84:85], v[80:81], v[72:73] op_sel:[0,1]
	s_delay_alu instid0(VALU_DEP_1) | instskip(SKIP_1) | instid1(VALU_DEP_1)
	v_pk_fma_f32 v[86:87], v[80:81], v[70:71], v[84:85] op_sel:[0,0,1] op_sel_hi:[1,1,0] neg_lo:[0,0,1] neg_hi:[0,0,1]
	v_pk_fma_f32 v[80:81], v[80:81], v[70:71], v[84:85] op_sel:[0,0,1] op_sel_hi:[1,0,0]
	v_mov_b32_e32 v87, v81
	v_pk_mul_f32 v[80:81], v[82:83], v[72:73] op_sel:[0,1]
	s_delay_alu instid0(VALU_DEP_2) | instskip(NEXT) | instid1(VALU_DEP_2)
	v_pk_add_f32 v[20:21], v[20:21], v[86:87] neg_lo:[0,1] neg_hi:[0,1]
	v_pk_fma_f32 v[84:85], v[82:83], v[70:71], v[80:81] op_sel:[0,0,1] op_sel_hi:[1,1,0] neg_lo:[0,0,1] neg_hi:[0,0,1]
	v_pk_fma_f32 v[80:81], v[82:83], v[70:71], v[80:81] op_sel:[0,0,1] op_sel_hi:[1,0,0]
	s_delay_alu instid0(VALU_DEP_1) | instskip(SKIP_4) | instid1(VALU_DEP_1)
	v_mov_b32_e32 v85, v81
	ds_load_b64 v[80:81], v74 offset:248
	v_pk_add_f32 v[18:19], v[18:19], v[84:85] neg_lo:[0,1] neg_hi:[0,1]
	s_wait_dscnt 0x0
	v_pk_mul_f32 v[72:73], v[80:81], v[72:73] op_sel:[0,1]
	v_pk_fma_f32 v[82:83], v[80:81], v[70:71], v[72:73] op_sel:[0,0,1] op_sel_hi:[1,1,0] neg_lo:[0,0,1] neg_hi:[0,0,1]
	v_pk_fma_f32 v[70:71], v[80:81], v[70:71], v[72:73] op_sel:[0,0,1] op_sel_hi:[1,0,0]
	s_delay_alu instid0(VALU_DEP_1) | instskip(NEXT) | instid1(VALU_DEP_1)
	v_mov_b32_e32 v83, v71
	v_pk_add_f32 v[68:69], v[68:69], v[82:83] neg_lo:[0,1] neg_hi:[0,1]
.LBB62_188:
	s_or_b32 exec_lo, exec_lo, s0
	v_lshl_add_u32 v70, v78, 3, v74
	s_barrier_signal -1
	s_barrier_wait -1
	ds_store_b64 v70, v[36:37]
	s_wait_dscnt 0x0
	s_barrier_signal -1
	s_barrier_wait -1
	ds_load_b64 v[72:73], v74 offset:72
	v_mov_b32_e32 v70, 9
	s_cmp_lt_i32 s18, 11
	s_cbranch_scc1 .LBB62_191
; %bb.189:
	v_add3_u32 v71, v75, 0, 0x50
	v_mov_b32_e32 v70, 9
	s_mov_b32 s0, 10
.LBB62_190:                             ; =>This Inner Loop Header: Depth=1
	ds_load_b64 v[80:81], v71
	s_wait_dscnt 0x1
	v_cmp_gt_f32_e32 vcc_lo, 0, v72
	v_cndmask_b32_e64 v82, v72, -v72, vcc_lo
	v_cmp_gt_f32_e32 vcc_lo, 0, v73
	v_cndmask_b32_e64 v84, v73, -v73, vcc_lo
	s_wait_dscnt 0x0
	v_cmp_gt_f32_e32 vcc_lo, 0, v80
	v_cndmask_b32_e64 v83, v80, -v80, vcc_lo
	v_cmp_gt_f32_e32 vcc_lo, 0, v81
	v_cndmask_b32_e64 v85, v81, -v81, vcc_lo
	s_delay_alu instid0(VALU_DEP_1) | instskip(NEXT) | instid1(VALU_DEP_1)
	v_pk_add_f32 v[82:83], v[82:83], v[84:85]
	v_cmp_lt_f32_e32 vcc_lo, v82, v83
	v_dual_add_nc_u32 v71, 8, v71 :: v_dual_cndmask_b32 v73, v73, v81, vcc_lo
	v_cndmask_b32_e32 v72, v72, v80, vcc_lo
	v_cndmask_b32_e64 v70, v70, s0, vcc_lo
	s_add_co_i32 s0, s0, 1
	s_delay_alu instid0(SALU_CYCLE_1)
	s_cmp_lg_u32 s18, s0
	s_cbranch_scc1 .LBB62_190
.LBB62_191:
	s_wait_dscnt 0x0
	v_cmp_eq_f32_e32 vcc_lo, 0, v72
	v_cmp_eq_f32_e64 s0, 0, v73
	s_and_b32 s0, vcc_lo, s0
	s_delay_alu instid0(SALU_CYCLE_1) | instskip(NEXT) | instid1(SALU_CYCLE_1)
	s_and_saveexec_b32 s1, s0
	s_xor_b32 s0, exec_lo, s1
; %bb.192:
	v_cmp_ne_u32_e32 vcc_lo, 0, v76
	v_cndmask_b32_e32 v76, 10, v76, vcc_lo
; %bb.193:
	s_and_not1_saveexec_b32 s0, s0
	s_cbranch_execz .LBB62_199
; %bb.194:
	v_cmp_ngt_f32_e64 s1, |v72|, |v73|
	s_and_saveexec_b32 s12, s1
	s_delay_alu instid0(SALU_CYCLE_1)
	s_xor_b32 s1, exec_lo, s12
	s_cbranch_execz .LBB62_196
; %bb.195:
	v_div_scale_f32 v71, null, v73, v73, v72
	v_div_scale_f32 v81, vcc_lo, v72, v73, v72
	s_delay_alu instid0(VALU_DEP_2) | instskip(SKIP_1) | instid1(TRANS32_DEP_1)
	v_rcp_f32_e32 v79, v71
	v_nop
	v_fma_f32 v80, -v71, v79, 1.0
	s_delay_alu instid0(VALU_DEP_1) | instskip(NEXT) | instid1(VALU_DEP_1)
	v_fmac_f32_e32 v79, v80, v79
	v_mul_f32_e32 v80, v81, v79
	s_delay_alu instid0(VALU_DEP_1) | instskip(NEXT) | instid1(VALU_DEP_1)
	v_fma_f32 v82, -v71, v80, v81
	v_fmac_f32_e32 v80, v82, v79
	s_delay_alu instid0(VALU_DEP_1) | instskip(NEXT) | instid1(VALU_DEP_1)
	v_fma_f32 v71, -v71, v80, v81
	v_div_fmas_f32 v71, v71, v79, v80
	s_delay_alu instid0(VALU_DEP_1) | instskip(NEXT) | instid1(VALU_DEP_1)
	v_div_fixup_f32 v71, v71, v73, v72
	v_fmac_f32_e32 v73, v72, v71
	s_delay_alu instid0(VALU_DEP_1) | instskip(SKIP_1) | instid1(VALU_DEP_2)
	v_div_scale_f32 v72, null, v73, v73, 1.0
	v_div_scale_f32 v81, vcc_lo, 1.0, v73, 1.0
	v_rcp_f32_e32 v79, v72
	v_nop
	s_delay_alu instid0(TRANS32_DEP_1) | instskip(NEXT) | instid1(VALU_DEP_1)
	v_fma_f32 v80, -v72, v79, 1.0
	v_fmac_f32_e32 v79, v80, v79
	s_delay_alu instid0(VALU_DEP_1) | instskip(NEXT) | instid1(VALU_DEP_1)
	v_mul_f32_e32 v80, v81, v79
	v_fma_f32 v82, -v72, v80, v81
	s_delay_alu instid0(VALU_DEP_1) | instskip(NEXT) | instid1(VALU_DEP_1)
	v_fmac_f32_e32 v80, v82, v79
	v_fma_f32 v72, -v72, v80, v81
	s_delay_alu instid0(VALU_DEP_1) | instskip(NEXT) | instid1(VALU_DEP_1)
	v_div_fmas_f32 v72, v72, v79, v80
	v_div_fixup_f32 v73, v72, v73, 1.0
	s_delay_alu instid0(VALU_DEP_1)
	v_mul_f32_e32 v72, v71, v73
	v_xor_b32_e32 v73, 0x80000000, v73
.LBB62_196:
	s_and_not1_saveexec_b32 s1, s1
	s_cbranch_execz .LBB62_198
; %bb.197:
	s_delay_alu instid0(VALU_DEP_1) | instskip(SKIP_1) | instid1(VALU_DEP_2)
	v_div_scale_f32 v71, null, v72, v72, v73
	v_div_scale_f32 v81, vcc_lo, v73, v72, v73
	v_rcp_f32_e32 v79, v71
	v_nop
	s_delay_alu instid0(TRANS32_DEP_1) | instskip(NEXT) | instid1(VALU_DEP_1)
	v_fma_f32 v80, -v71, v79, 1.0
	v_fmac_f32_e32 v79, v80, v79
	s_delay_alu instid0(VALU_DEP_1) | instskip(NEXT) | instid1(VALU_DEP_1)
	v_mul_f32_e32 v80, v81, v79
	v_fma_f32 v82, -v71, v80, v81
	s_delay_alu instid0(VALU_DEP_1) | instskip(NEXT) | instid1(VALU_DEP_1)
	v_fmac_f32_e32 v80, v82, v79
	v_fma_f32 v71, -v71, v80, v81
	s_delay_alu instid0(VALU_DEP_1) | instskip(NEXT) | instid1(VALU_DEP_1)
	v_div_fmas_f32 v71, v71, v79, v80
	v_div_fixup_f32 v71, v71, v72, v73
	s_delay_alu instid0(VALU_DEP_1) | instskip(NEXT) | instid1(VALU_DEP_1)
	v_fmac_f32_e32 v72, v73, v71
	v_div_scale_f32 v73, null, v72, v72, 1.0
	s_delay_alu instid0(VALU_DEP_1) | instskip(SKIP_1) | instid1(TRANS32_DEP_1)
	v_rcp_f32_e32 v79, v73
	v_nop
	v_fma_f32 v80, -v73, v79, 1.0
	s_delay_alu instid0(VALU_DEP_1) | instskip(SKIP_1) | instid1(VALU_DEP_1)
	v_fmac_f32_e32 v79, v80, v79
	v_div_scale_f32 v80, vcc_lo, 1.0, v72, 1.0
	v_mul_f32_e32 v81, v80, v79
	s_delay_alu instid0(VALU_DEP_1) | instskip(NEXT) | instid1(VALU_DEP_1)
	v_fma_f32 v82, -v73, v81, v80
	v_fmac_f32_e32 v81, v82, v79
	s_delay_alu instid0(VALU_DEP_1) | instskip(NEXT) | instid1(VALU_DEP_1)
	v_fma_f32 v73, -v73, v81, v80
	v_div_fmas_f32 v73, v73, v79, v81
	s_delay_alu instid0(VALU_DEP_1) | instskip(NEXT) | instid1(VALU_DEP_1)
	v_div_fixup_f32 v72, v73, v72, 1.0
	v_mul_f32_e64 v73, v71, -v72
.LBB62_198:
	s_or_b32 exec_lo, exec_lo, s1
.LBB62_199:
	s_delay_alu instid0(SALU_CYCLE_1) | instskip(NEXT) | instid1(SALU_CYCLE_1)
	s_or_b32 exec_lo, exec_lo, s0
	s_mov_b32 s0, exec_lo
	v_cmpx_ne_u32_e64 v78, v70
	s_xor_b32 s0, exec_lo, s0
	s_cbranch_execz .LBB62_205
; %bb.200:
	s_mov_b32 s1, exec_lo
	v_cmpx_eq_u32_e32 9, v78
	s_cbranch_execz .LBB62_204
; %bb.201:
	v_cmp_ne_u32_e32 vcc_lo, 9, v70
	s_xor_b32 s12, s16, -1
	s_delay_alu instid0(SALU_CYCLE_1) | instskip(NEXT) | instid1(SALU_CYCLE_1)
	s_and_b32 s13, s12, vcc_lo
	s_and_saveexec_b32 s12, s13
	s_cbranch_execz .LBB62_203
; %bb.202:
	v_ashrrev_i32_e32 v71, 31, v70
	s_delay_alu instid0(VALU_DEP_1)
	v_lshl_add_u64 v[78:79], v[70:71], 2, v[4:5]
	s_clause 0x1
	global_load_b32 v71, v[78:79], off
	global_load_b32 v77, v[4:5], off offset:36
	s_wait_loadcnt 0x1
	global_store_b32 v[4:5], v71, off offset:36
	s_wait_loadcnt 0x0
	global_store_b32 v[78:79], v77, off
.LBB62_203:
	s_wait_xcnt 0x0
	s_or_b32 exec_lo, exec_lo, s12
	v_dual_mov_b32 v78, v70 :: v_dual_mov_b32 v77, v70
.LBB62_204:
	s_or_b32 exec_lo, exec_lo, s1
.LBB62_205:
	s_and_not1_saveexec_b32 s0, s0
	s_cbranch_execz .LBB62_207
; %bb.206:
	v_dual_mov_b32 v70, v38 :: v_dual_mov_b32 v71, v39
	v_dual_mov_b32 v78, v8 :: v_dual_mov_b32 v79, v9
	ds_store_2addr_b64 v74, v[70:71], v[78:79] offset0:10 offset1:11
	v_dual_mov_b32 v70, v52 :: v_dual_mov_b32 v71, v53
	v_dual_mov_b32 v78, v48 :: v_dual_mov_b32 v79, v49
	ds_store_2addr_b64 v74, v[70:71], v[78:79] offset0:12 offset1:13
	;; [unrolled: 3-line block ×10, first 2 shown]
	v_dual_mov_b32 v70, v18 :: v_dual_mov_b32 v71, v19
	v_mov_b32_e32 v78, 9
	ds_store_2addr_b64 v74, v[70:71], v[68:69] offset0:30 offset1:31
.LBB62_207:
	s_or_b32 exec_lo, exec_lo, s0
	s_delay_alu instid0(SALU_CYCLE_1)
	s_mov_b32 s0, exec_lo
	s_wait_storecnt_dscnt 0x0
	s_barrier_signal -1
	s_barrier_wait -1
	v_cmpx_lt_i32_e32 9, v78
	s_cbranch_execz .LBB62_209
; %bb.208:
	v_pk_mul_f32 v[80:81], v[72:73], v[36:37] op_sel:[1,1] op_sel_hi:[0,1]
	s_delay_alu instid0(VALU_DEP_1)
	v_pk_fma_f32 v[70:71], v[72:73], v[36:37], v[80:81] op_sel_hi:[1,0,1] neg_lo:[0,0,1] neg_hi:[0,0,1]
	v_pk_fma_f32 v[72:73], v[72:73], v[36:37], v[80:81] op_sel_hi:[1,0,1]
	ds_load_2addr_b64 v[80:83], v74 offset0:10 offset1:11
	v_dual_mov_b32 v36, v70 :: v_dual_mov_b32 v37, v73
	s_wait_dscnt 0x0
	v_pk_mul_f32 v[84:85], v[80:81], v[72:73] op_sel:[0,1]
	s_delay_alu instid0(VALU_DEP_1) | instskip(SKIP_1) | instid1(VALU_DEP_1)
	v_pk_fma_f32 v[86:87], v[80:81], v[70:71], v[84:85] op_sel:[0,0,1] op_sel_hi:[1,1,0] neg_lo:[0,0,1] neg_hi:[0,0,1]
	v_pk_fma_f32 v[80:81], v[80:81], v[70:71], v[84:85] op_sel:[0,0,1] op_sel_hi:[1,0,0]
	v_mov_b32_e32 v87, v81
	v_pk_mul_f32 v[80:81], v[82:83], v[72:73] op_sel:[0,1]
	s_delay_alu instid0(VALU_DEP_1) | instskip(SKIP_1) | instid1(VALU_DEP_1)
	v_pk_fma_f32 v[84:85], v[82:83], v[70:71], v[80:81] op_sel:[0,0,1] op_sel_hi:[1,1,0] neg_lo:[0,0,1] neg_hi:[0,0,1]
	v_pk_fma_f32 v[80:81], v[82:83], v[70:71], v[80:81] op_sel:[0,0,1] op_sel_hi:[1,0,0]
	v_mov_b32_e32 v85, v81
	ds_load_2addr_b64 v[80:83], v74 offset0:12 offset1:13
	v_pk_add_f32 v[38:39], v[38:39], v[86:87] neg_lo:[0,1] neg_hi:[0,1]
	v_pk_add_f32 v[8:9], v[8:9], v[84:85] neg_lo:[0,1] neg_hi:[0,1]
	s_wait_dscnt 0x0
	v_pk_mul_f32 v[84:85], v[80:81], v[72:73] op_sel:[0,1]
	s_delay_alu instid0(VALU_DEP_1) | instskip(SKIP_2) | instid1(VALU_DEP_2)
	v_pk_fma_f32 v[86:87], v[80:81], v[70:71], v[84:85] op_sel:[0,0,1] op_sel_hi:[1,1,0] neg_lo:[0,0,1] neg_hi:[0,0,1]
	v_pk_fma_f32 v[80:81], v[80:81], v[70:71], v[84:85] op_sel:[0,0,1] op_sel_hi:[1,0,0]
	v_dual_mul_f32 v84, v83, v73 :: v_dual_mov_b32 v80, v83
	v_dual_mov_b32 v87, v81 :: v_dual_mov_b32 v81, v82
	s_delay_alu instid0(VALU_DEP_2) | instskip(SKIP_1) | instid1(VALU_DEP_3)
	v_pk_fma_f32 v[84:85], v[82:83], v[36:37], v[84:85] op_sel_hi:[1,1,0] neg_lo:[0,0,1] neg_hi:[0,0,1]
	v_mul_f32_e32 v82, v83, v70
	v_pk_add_f32 v[52:53], v[52:53], v[86:87] neg_lo:[0,1] neg_hi:[0,1]
	s_delay_alu instid0(VALU_DEP_2) | instskip(NEXT) | instid1(VALU_DEP_1)
	v_pk_fma_f32 v[80:81], v[80:81], v[36:37], v[82:83] op_sel_hi:[1,1,0]
	v_mov_b32_e32 v85, v81
	ds_load_2addr_b64 v[80:83], v74 offset0:14 offset1:15
	v_pk_add_f32 v[48:49], v[48:49], v[84:85] neg_lo:[0,1] neg_hi:[0,1]
	s_wait_dscnt 0x0
	v_pk_mul_f32 v[84:85], v[80:81], v[72:73] op_sel:[0,1]
	s_delay_alu instid0(VALU_DEP_1) | instskip(SKIP_1) | instid1(VALU_DEP_1)
	v_pk_fma_f32 v[86:87], v[80:81], v[70:71], v[84:85] op_sel:[0,0,1] op_sel_hi:[1,1,0] neg_lo:[0,0,1] neg_hi:[0,0,1]
	v_pk_fma_f32 v[80:81], v[80:81], v[70:71], v[84:85] op_sel:[0,0,1] op_sel_hi:[1,0,0]
	v_mov_b32_e32 v87, v81
	v_pk_mul_f32 v[80:81], v[82:83], v[72:73] op_sel:[0,1]
	s_delay_alu instid0(VALU_DEP_1) | instskip(SKIP_1) | instid1(VALU_DEP_1)
	v_pk_fma_f32 v[84:85], v[82:83], v[70:71], v[80:81] op_sel:[0,0,1] op_sel_hi:[1,1,0] neg_lo:[0,0,1] neg_hi:[0,0,1]
	v_pk_fma_f32 v[80:81], v[82:83], v[70:71], v[80:81] op_sel:[0,0,1] op_sel_hi:[1,0,0]
	v_mov_b32_e32 v85, v81
	ds_load_2addr_b64 v[80:83], v74 offset0:16 offset1:17
	v_pk_add_f32 v[50:51], v[50:51], v[86:87] neg_lo:[0,1] neg_hi:[0,1]
	v_pk_add_f32 v[14:15], v[14:15], v[84:85] neg_lo:[0,1] neg_hi:[0,1]
	s_wait_dscnt 0x0
	v_pk_mul_f32 v[84:85], v[80:81], v[72:73] op_sel:[0,1]
	s_delay_alu instid0(VALU_DEP_1) | instskip(SKIP_1) | instid1(VALU_DEP_1)
	v_pk_fma_f32 v[86:87], v[80:81], v[70:71], v[84:85] op_sel:[0,0,1] op_sel_hi:[1,1,0] neg_lo:[0,0,1] neg_hi:[0,0,1]
	v_pk_fma_f32 v[80:81], v[80:81], v[70:71], v[84:85] op_sel:[0,0,1] op_sel_hi:[1,0,0]
	v_mov_b32_e32 v87, v81
	v_pk_mul_f32 v[80:81], v[82:83], v[72:73] op_sel:[0,1]
	s_delay_alu instid0(VALU_DEP_1) | instskip(SKIP_1) | instid1(VALU_DEP_1)
	v_pk_fma_f32 v[84:85], v[82:83], v[70:71], v[80:81] op_sel:[0,0,1] op_sel_hi:[1,1,0] neg_lo:[0,0,1] neg_hi:[0,0,1]
	v_pk_fma_f32 v[80:81], v[82:83], v[70:71], v[80:81] op_sel:[0,0,1] op_sel_hi:[1,0,0]
	v_mov_b32_e32 v85, v81
	ds_load_2addr_b64 v[80:83], v74 offset0:18 offset1:19
	v_pk_add_f32 v[58:59], v[58:59], v[86:87] neg_lo:[0,1] neg_hi:[0,1]
	v_pk_add_f32 v[54:55], v[54:55], v[84:85] neg_lo:[0,1] neg_hi:[0,1]
	s_wait_dscnt 0x0
	v_dual_mul_f32 v84, v81, v73 :: v_dual_mul_f32 v86, v81, v70
	s_delay_alu instid0(VALU_DEP_1) | instskip(NEXT) | instid1(VALU_DEP_2)
	v_pk_fma_f32 v[84:85], v[80:81], v[36:37], v[84:85] op_sel_hi:[1,1,0] neg_lo:[0,0,1] neg_hi:[0,0,1]
	v_pk_fma_f32 v[80:81], v[80:81], v[36:37], v[86:87] op_sel:[1,0,0] op_sel_hi:[0,1,0]
	s_delay_alu instid0(VALU_DEP_1) | instskip(SKIP_1) | instid1(VALU_DEP_2)
	v_mov_b32_e32 v85, v81
	v_pk_mul_f32 v[80:81], v[82:83], v[72:73] op_sel:[0,1]
	v_pk_add_f32 v[56:57], v[56:57], v[84:85] neg_lo:[0,1] neg_hi:[0,1]
	s_delay_alu instid0(VALU_DEP_2) | instskip(SKIP_1) | instid1(VALU_DEP_1)
	v_pk_fma_f32 v[84:85], v[82:83], v[70:71], v[80:81] op_sel:[0,0,1] op_sel_hi:[1,1,0] neg_lo:[0,0,1] neg_hi:[0,0,1]
	v_pk_fma_f32 v[80:81], v[82:83], v[70:71], v[80:81] op_sel:[0,0,1] op_sel_hi:[1,0,0]
	v_mov_b32_e32 v85, v81
	ds_load_2addr_b64 v[80:83], v74 offset0:20 offset1:21
	v_pk_add_f32 v[16:17], v[16:17], v[84:85] neg_lo:[0,1] neg_hi:[0,1]
	s_wait_dscnt 0x0
	v_pk_mul_f32 v[84:85], v[80:81], v[72:73] op_sel:[0,1]
	s_delay_alu instid0(VALU_DEP_1) | instskip(SKIP_1) | instid1(VALU_DEP_1)
	v_pk_fma_f32 v[86:87], v[80:81], v[70:71], v[84:85] op_sel:[0,0,1] op_sel_hi:[1,1,0] neg_lo:[0,0,1] neg_hi:[0,0,1]
	v_pk_fma_f32 v[80:81], v[80:81], v[70:71], v[84:85] op_sel:[0,0,1] op_sel_hi:[1,0,0]
	v_mov_b32_e32 v87, v81
	v_pk_mul_f32 v[80:81], v[82:83], v[72:73] op_sel:[0,1]
	s_delay_alu instid0(VALU_DEP_2) | instskip(NEXT) | instid1(VALU_DEP_2)
	v_pk_add_f32 v[46:47], v[46:47], v[86:87] neg_lo:[0,1] neg_hi:[0,1]
	v_pk_fma_f32 v[84:85], v[82:83], v[70:71], v[80:81] op_sel:[0,0,1] op_sel_hi:[1,1,0] neg_lo:[0,0,1] neg_hi:[0,0,1]
	v_pk_fma_f32 v[80:81], v[82:83], v[70:71], v[80:81] op_sel:[0,0,1] op_sel_hi:[1,0,0]
	s_delay_alu instid0(VALU_DEP_1) | instskip(SKIP_4) | instid1(VALU_DEP_1)
	v_mov_b32_e32 v85, v81
	ds_load_2addr_b64 v[80:83], v74 offset0:22 offset1:23
	v_pk_add_f32 v[42:43], v[42:43], v[84:85] neg_lo:[0,1] neg_hi:[0,1]
	s_wait_dscnt 0x0
	v_pk_mul_f32 v[84:85], v[80:81], v[72:73] op_sel:[0,1]
	v_pk_fma_f32 v[86:87], v[80:81], v[70:71], v[84:85] op_sel:[0,0,1] op_sel_hi:[1,1,0] neg_lo:[0,0,1] neg_hi:[0,0,1]
	v_pk_fma_f32 v[80:81], v[80:81], v[70:71], v[84:85] op_sel:[0,0,1] op_sel_hi:[1,0,0]
	v_dual_mul_f32 v84, v83, v73 :: v_dual_mov_b32 v80, v83
	s_delay_alu instid0(VALU_DEP_2) | instskip(NEXT) | instid1(VALU_DEP_2)
	v_dual_mov_b32 v87, v81 :: v_dual_mov_b32 v81, v82
	v_pk_fma_f32 v[84:85], v[82:83], v[36:37], v[84:85] op_sel_hi:[1,1,0] neg_lo:[0,0,1] neg_hi:[0,0,1]
	v_mul_f32_e32 v82, v83, v70
	s_delay_alu instid0(VALU_DEP_3) | instskip(NEXT) | instid1(VALU_DEP_2)
	v_pk_add_f32 v[44:45], v[44:45], v[86:87] neg_lo:[0,1] neg_hi:[0,1]
	v_pk_fma_f32 v[80:81], v[80:81], v[36:37], v[82:83] op_sel_hi:[1,1,0]
	s_delay_alu instid0(VALU_DEP_1) | instskip(SKIP_4) | instid1(VALU_DEP_1)
	v_mov_b32_e32 v85, v81
	ds_load_2addr_b64 v[80:83], v74 offset0:24 offset1:25
	v_pk_add_f32 v[10:11], v[10:11], v[84:85] neg_lo:[0,1] neg_hi:[0,1]
	s_wait_dscnt 0x0
	v_pk_mul_f32 v[84:85], v[80:81], v[72:73] op_sel:[0,1]
	v_pk_fma_f32 v[86:87], v[80:81], v[70:71], v[84:85] op_sel:[0,0,1] op_sel_hi:[1,1,0] neg_lo:[0,0,1] neg_hi:[0,0,1]
	v_pk_fma_f32 v[80:81], v[80:81], v[70:71], v[84:85] op_sel:[0,0,1] op_sel_hi:[1,0,0]
	s_delay_alu instid0(VALU_DEP_1) | instskip(SKIP_1) | instid1(VALU_DEP_1)
	v_mov_b32_e32 v87, v81
	v_pk_mul_f32 v[80:81], v[82:83], v[72:73] op_sel:[0,1]
	v_pk_fma_f32 v[84:85], v[82:83], v[70:71], v[80:81] op_sel:[0,0,1] op_sel_hi:[1,1,0] neg_lo:[0,0,1] neg_hi:[0,0,1]
	v_pk_fma_f32 v[80:81], v[82:83], v[70:71], v[80:81] op_sel:[0,0,1] op_sel_hi:[1,0,0]
	s_delay_alu instid0(VALU_DEP_1)
	v_mov_b32_e32 v85, v81
	ds_load_2addr_b64 v[80:83], v74 offset0:26 offset1:27
	v_pk_add_f32 v[28:29], v[28:29], v[86:87] neg_lo:[0,1] neg_hi:[0,1]
	v_pk_add_f32 v[24:25], v[24:25], v[84:85] neg_lo:[0,1] neg_hi:[0,1]
	s_wait_dscnt 0x0
	v_pk_mul_f32 v[84:85], v[80:81], v[72:73] op_sel:[0,1]
	s_delay_alu instid0(VALU_DEP_1) | instskip(SKIP_1) | instid1(VALU_DEP_1)
	v_pk_fma_f32 v[86:87], v[80:81], v[70:71], v[84:85] op_sel:[0,0,1] op_sel_hi:[1,1,0] neg_lo:[0,0,1] neg_hi:[0,0,1]
	v_pk_fma_f32 v[80:81], v[80:81], v[70:71], v[84:85] op_sel:[0,0,1] op_sel_hi:[1,0,0]
	v_mov_b32_e32 v87, v81
	v_pk_mul_f32 v[80:81], v[82:83], v[72:73] op_sel:[0,1]
	s_delay_alu instid0(VALU_DEP_1) | instskip(SKIP_1) | instid1(VALU_DEP_1)
	v_pk_fma_f32 v[84:85], v[82:83], v[70:71], v[80:81] op_sel:[0,0,1] op_sel_hi:[1,1,0] neg_lo:[0,0,1] neg_hi:[0,0,1]
	v_pk_fma_f32 v[80:81], v[82:83], v[70:71], v[80:81] op_sel:[0,0,1] op_sel_hi:[1,0,0]
	v_mov_b32_e32 v85, v81
	ds_load_2addr_b64 v[80:83], v74 offset0:28 offset1:29
	v_pk_add_f32 v[26:27], v[26:27], v[86:87] neg_lo:[0,1] neg_hi:[0,1]
	v_pk_add_f32 v[12:13], v[12:13], v[84:85] neg_lo:[0,1] neg_hi:[0,1]
	s_wait_dscnt 0x0
	v_dual_mul_f32 v84, v81, v73 :: v_dual_mul_f32 v86, v81, v70
	s_delay_alu instid0(VALU_DEP_1) | instskip(NEXT) | instid1(VALU_DEP_2)
	v_pk_fma_f32 v[84:85], v[80:81], v[36:37], v[84:85] op_sel_hi:[1,1,0] neg_lo:[0,0,1] neg_hi:[0,0,1]
	v_pk_fma_f32 v[80:81], v[80:81], v[36:37], v[86:87] op_sel:[1,0,0] op_sel_hi:[0,1,0]
	s_delay_alu instid0(VALU_DEP_1) | instskip(SKIP_1) | instid1(VALU_DEP_2)
	v_mov_b32_e32 v85, v81
	v_pk_mul_f32 v[80:81], v[82:83], v[72:73] op_sel:[0,1]
	v_pk_add_f32 v[22:23], v[22:23], v[84:85] neg_lo:[0,1] neg_hi:[0,1]
	s_delay_alu instid0(VALU_DEP_2) | instskip(SKIP_1) | instid1(VALU_DEP_1)
	v_pk_fma_f32 v[84:85], v[82:83], v[70:71], v[80:81] op_sel:[0,0,1] op_sel_hi:[1,1,0] neg_lo:[0,0,1] neg_hi:[0,0,1]
	v_pk_fma_f32 v[80:81], v[82:83], v[70:71], v[80:81] op_sel:[0,0,1] op_sel_hi:[1,0,0]
	v_mov_b32_e32 v85, v81
	ds_load_2addr_b64 v[80:83], v74 offset0:30 offset1:31
	v_pk_add_f32 v[20:21], v[20:21], v[84:85] neg_lo:[0,1] neg_hi:[0,1]
	s_wait_dscnt 0x0
	v_pk_mul_f32 v[84:85], v[80:81], v[72:73] op_sel:[0,1]
	v_pk_mul_f32 v[72:73], v[82:83], v[72:73] op_sel:[0,1]
	s_delay_alu instid0(VALU_DEP_2) | instskip(SKIP_1) | instid1(VALU_DEP_1)
	v_pk_fma_f32 v[86:87], v[80:81], v[70:71], v[84:85] op_sel:[0,0,1] op_sel_hi:[1,1,0] neg_lo:[0,0,1] neg_hi:[0,0,1]
	v_pk_fma_f32 v[80:81], v[80:81], v[70:71], v[84:85] op_sel:[0,0,1] op_sel_hi:[1,0,0]
	v_mov_b32_e32 v87, v81
	s_delay_alu instid0(VALU_DEP_4) | instskip(SKIP_1) | instid1(VALU_DEP_3)
	v_pk_fma_f32 v[80:81], v[82:83], v[70:71], v[72:73] op_sel:[0,0,1] op_sel_hi:[1,1,0] neg_lo:[0,0,1] neg_hi:[0,0,1]
	v_pk_fma_f32 v[70:71], v[82:83], v[70:71], v[72:73] op_sel:[0,0,1] op_sel_hi:[1,0,0]
	v_pk_add_f32 v[18:19], v[18:19], v[86:87] neg_lo:[0,1] neg_hi:[0,1]
	s_delay_alu instid0(VALU_DEP_2) | instskip(NEXT) | instid1(VALU_DEP_1)
	v_mov_b32_e32 v81, v71
	v_pk_add_f32 v[68:69], v[68:69], v[80:81] neg_lo:[0,1] neg_hi:[0,1]
.LBB62_209:
	s_or_b32 exec_lo, exec_lo, s0
	v_lshl_add_u32 v70, v78, 3, v74
	s_barrier_signal -1
	s_barrier_wait -1
	ds_store_b64 v70, v[38:39]
	s_wait_dscnt 0x0
	s_barrier_signal -1
	s_barrier_wait -1
	ds_load_b64 v[72:73], v74 offset:80
	v_mov_b32_e32 v70, 10
	s_cmp_lt_i32 s18, 12
	s_cbranch_scc1 .LBB62_212
; %bb.210:
	v_add3_u32 v71, v75, 0, 0x58
	v_mov_b32_e32 v70, 10
	s_mov_b32 s0, 11
.LBB62_211:                             ; =>This Inner Loop Header: Depth=1
	ds_load_b64 v[80:81], v71
	s_wait_dscnt 0x1
	v_cmp_gt_f32_e32 vcc_lo, 0, v72
	v_cndmask_b32_e64 v82, v72, -v72, vcc_lo
	v_cmp_gt_f32_e32 vcc_lo, 0, v73
	v_cndmask_b32_e64 v84, v73, -v73, vcc_lo
	s_wait_dscnt 0x0
	v_cmp_gt_f32_e32 vcc_lo, 0, v80
	v_cndmask_b32_e64 v83, v80, -v80, vcc_lo
	v_cmp_gt_f32_e32 vcc_lo, 0, v81
	v_cndmask_b32_e64 v85, v81, -v81, vcc_lo
	s_delay_alu instid0(VALU_DEP_1) | instskip(NEXT) | instid1(VALU_DEP_1)
	v_pk_add_f32 v[82:83], v[82:83], v[84:85]
	v_cmp_lt_f32_e32 vcc_lo, v82, v83
	v_dual_add_nc_u32 v71, 8, v71 :: v_dual_cndmask_b32 v73, v73, v81, vcc_lo
	v_cndmask_b32_e32 v72, v72, v80, vcc_lo
	v_cndmask_b32_e64 v70, v70, s0, vcc_lo
	s_add_co_i32 s0, s0, 1
	s_delay_alu instid0(SALU_CYCLE_1)
	s_cmp_lg_u32 s18, s0
	s_cbranch_scc1 .LBB62_211
.LBB62_212:
	s_wait_dscnt 0x0
	v_cmp_eq_f32_e32 vcc_lo, 0, v72
	v_cmp_eq_f32_e64 s0, 0, v73
	s_and_b32 s0, vcc_lo, s0
	s_delay_alu instid0(SALU_CYCLE_1) | instskip(NEXT) | instid1(SALU_CYCLE_1)
	s_and_saveexec_b32 s1, s0
	s_xor_b32 s0, exec_lo, s1
; %bb.213:
	v_cmp_ne_u32_e32 vcc_lo, 0, v76
	v_cndmask_b32_e32 v76, 11, v76, vcc_lo
; %bb.214:
	s_and_not1_saveexec_b32 s0, s0
	s_cbranch_execz .LBB62_220
; %bb.215:
	v_cmp_ngt_f32_e64 s1, |v72|, |v73|
	s_and_saveexec_b32 s12, s1
	s_delay_alu instid0(SALU_CYCLE_1)
	s_xor_b32 s1, exec_lo, s12
	s_cbranch_execz .LBB62_217
; %bb.216:
	v_div_scale_f32 v71, null, v73, v73, v72
	v_div_scale_f32 v81, vcc_lo, v72, v73, v72
	s_delay_alu instid0(VALU_DEP_2) | instskip(SKIP_1) | instid1(TRANS32_DEP_1)
	v_rcp_f32_e32 v79, v71
	v_nop
	v_fma_f32 v80, -v71, v79, 1.0
	s_delay_alu instid0(VALU_DEP_1) | instskip(NEXT) | instid1(VALU_DEP_1)
	v_fmac_f32_e32 v79, v80, v79
	v_mul_f32_e32 v80, v81, v79
	s_delay_alu instid0(VALU_DEP_1) | instskip(NEXT) | instid1(VALU_DEP_1)
	v_fma_f32 v82, -v71, v80, v81
	v_fmac_f32_e32 v80, v82, v79
	s_delay_alu instid0(VALU_DEP_1) | instskip(NEXT) | instid1(VALU_DEP_1)
	v_fma_f32 v71, -v71, v80, v81
	v_div_fmas_f32 v71, v71, v79, v80
	s_delay_alu instid0(VALU_DEP_1) | instskip(NEXT) | instid1(VALU_DEP_1)
	v_div_fixup_f32 v71, v71, v73, v72
	v_fmac_f32_e32 v73, v72, v71
	s_delay_alu instid0(VALU_DEP_1) | instskip(SKIP_1) | instid1(VALU_DEP_2)
	v_div_scale_f32 v72, null, v73, v73, 1.0
	v_div_scale_f32 v81, vcc_lo, 1.0, v73, 1.0
	v_rcp_f32_e32 v79, v72
	v_nop
	s_delay_alu instid0(TRANS32_DEP_1) | instskip(NEXT) | instid1(VALU_DEP_1)
	v_fma_f32 v80, -v72, v79, 1.0
	v_fmac_f32_e32 v79, v80, v79
	s_delay_alu instid0(VALU_DEP_1) | instskip(NEXT) | instid1(VALU_DEP_1)
	v_mul_f32_e32 v80, v81, v79
	v_fma_f32 v82, -v72, v80, v81
	s_delay_alu instid0(VALU_DEP_1) | instskip(NEXT) | instid1(VALU_DEP_1)
	v_fmac_f32_e32 v80, v82, v79
	v_fma_f32 v72, -v72, v80, v81
	s_delay_alu instid0(VALU_DEP_1) | instskip(NEXT) | instid1(VALU_DEP_1)
	v_div_fmas_f32 v72, v72, v79, v80
	v_div_fixup_f32 v73, v72, v73, 1.0
	s_delay_alu instid0(VALU_DEP_1)
	v_mul_f32_e32 v72, v71, v73
	v_xor_b32_e32 v73, 0x80000000, v73
.LBB62_217:
	s_and_not1_saveexec_b32 s1, s1
	s_cbranch_execz .LBB62_219
; %bb.218:
	s_delay_alu instid0(VALU_DEP_1) | instskip(SKIP_1) | instid1(VALU_DEP_2)
	v_div_scale_f32 v71, null, v72, v72, v73
	v_div_scale_f32 v81, vcc_lo, v73, v72, v73
	v_rcp_f32_e32 v79, v71
	v_nop
	s_delay_alu instid0(TRANS32_DEP_1) | instskip(NEXT) | instid1(VALU_DEP_1)
	v_fma_f32 v80, -v71, v79, 1.0
	v_fmac_f32_e32 v79, v80, v79
	s_delay_alu instid0(VALU_DEP_1) | instskip(NEXT) | instid1(VALU_DEP_1)
	v_mul_f32_e32 v80, v81, v79
	v_fma_f32 v82, -v71, v80, v81
	s_delay_alu instid0(VALU_DEP_1) | instskip(NEXT) | instid1(VALU_DEP_1)
	v_fmac_f32_e32 v80, v82, v79
	v_fma_f32 v71, -v71, v80, v81
	s_delay_alu instid0(VALU_DEP_1) | instskip(NEXT) | instid1(VALU_DEP_1)
	v_div_fmas_f32 v71, v71, v79, v80
	v_div_fixup_f32 v71, v71, v72, v73
	s_delay_alu instid0(VALU_DEP_1) | instskip(NEXT) | instid1(VALU_DEP_1)
	v_fmac_f32_e32 v72, v73, v71
	v_div_scale_f32 v73, null, v72, v72, 1.0
	s_delay_alu instid0(VALU_DEP_1) | instskip(SKIP_1) | instid1(TRANS32_DEP_1)
	v_rcp_f32_e32 v79, v73
	v_nop
	v_fma_f32 v80, -v73, v79, 1.0
	s_delay_alu instid0(VALU_DEP_1) | instskip(SKIP_1) | instid1(VALU_DEP_1)
	v_fmac_f32_e32 v79, v80, v79
	v_div_scale_f32 v80, vcc_lo, 1.0, v72, 1.0
	v_mul_f32_e32 v81, v80, v79
	s_delay_alu instid0(VALU_DEP_1) | instskip(NEXT) | instid1(VALU_DEP_1)
	v_fma_f32 v82, -v73, v81, v80
	v_fmac_f32_e32 v81, v82, v79
	s_delay_alu instid0(VALU_DEP_1) | instskip(NEXT) | instid1(VALU_DEP_1)
	v_fma_f32 v73, -v73, v81, v80
	v_div_fmas_f32 v73, v73, v79, v81
	s_delay_alu instid0(VALU_DEP_1) | instskip(NEXT) | instid1(VALU_DEP_1)
	v_div_fixup_f32 v72, v73, v72, 1.0
	v_mul_f32_e64 v73, v71, -v72
.LBB62_219:
	s_or_b32 exec_lo, exec_lo, s1
.LBB62_220:
	s_delay_alu instid0(SALU_CYCLE_1) | instskip(NEXT) | instid1(SALU_CYCLE_1)
	s_or_b32 exec_lo, exec_lo, s0
	s_mov_b32 s0, exec_lo
	v_cmpx_ne_u32_e64 v78, v70
	s_xor_b32 s0, exec_lo, s0
	s_cbranch_execz .LBB62_226
; %bb.221:
	s_mov_b32 s1, exec_lo
	v_cmpx_eq_u32_e32 10, v78
	s_cbranch_execz .LBB62_225
; %bb.222:
	v_cmp_ne_u32_e32 vcc_lo, 10, v70
	s_xor_b32 s12, s16, -1
	s_delay_alu instid0(SALU_CYCLE_1) | instskip(NEXT) | instid1(SALU_CYCLE_1)
	s_and_b32 s13, s12, vcc_lo
	s_and_saveexec_b32 s12, s13
	s_cbranch_execz .LBB62_224
; %bb.223:
	v_ashrrev_i32_e32 v71, 31, v70
	s_delay_alu instid0(VALU_DEP_1)
	v_lshl_add_u64 v[78:79], v[70:71], 2, v[4:5]
	s_clause 0x1
	global_load_b32 v71, v[78:79], off
	global_load_b32 v77, v[4:5], off offset:40
	s_wait_loadcnt 0x1
	global_store_b32 v[4:5], v71, off offset:40
	s_wait_loadcnt 0x0
	global_store_b32 v[78:79], v77, off
.LBB62_224:
	s_wait_xcnt 0x0
	s_or_b32 exec_lo, exec_lo, s12
	v_dual_mov_b32 v78, v70 :: v_dual_mov_b32 v77, v70
.LBB62_225:
	s_or_b32 exec_lo, exec_lo, s1
.LBB62_226:
	s_and_not1_saveexec_b32 s0, s0
	s_cbranch_execz .LBB62_228
; %bb.227:
	v_mov_b32_e32 v78, 10
	ds_store_2addr_b64 v74, v[8:9], v[52:53] offset0:11 offset1:12
	ds_store_2addr_b64 v74, v[48:49], v[50:51] offset0:13 offset1:14
	ds_store_2addr_b64 v74, v[14:15], v[58:59] offset0:15 offset1:16
	ds_store_2addr_b64 v74, v[54:55], v[56:57] offset0:17 offset1:18
	ds_store_2addr_b64 v74, v[16:17], v[46:47] offset0:19 offset1:20
	ds_store_2addr_b64 v74, v[42:43], v[44:45] offset0:21 offset1:22
	ds_store_2addr_b64 v74, v[10:11], v[28:29] offset0:23 offset1:24
	ds_store_2addr_b64 v74, v[24:25], v[26:27] offset0:25 offset1:26
	ds_store_2addr_b64 v74, v[12:13], v[22:23] offset0:27 offset1:28
	ds_store_2addr_b64 v74, v[20:21], v[18:19] offset0:29 offset1:30
	ds_store_b64 v74, v[68:69] offset:248
.LBB62_228:
	s_or_b32 exec_lo, exec_lo, s0
	s_delay_alu instid0(SALU_CYCLE_1)
	s_mov_b32 s0, exec_lo
	s_wait_storecnt_dscnt 0x0
	s_barrier_signal -1
	s_barrier_wait -1
	v_cmpx_lt_i32_e32 10, v78
	s_cbranch_execz .LBB62_230
; %bb.229:
	v_pk_mul_f32 v[80:81], v[72:73], v[38:39] op_sel:[1,1] op_sel_hi:[0,1]
	s_delay_alu instid0(VALU_DEP_1)
	v_pk_fma_f32 v[70:71], v[72:73], v[38:39], v[80:81] op_sel_hi:[1,0,1] neg_lo:[0,0,1] neg_hi:[0,0,1]
	v_pk_fma_f32 v[72:73], v[72:73], v[38:39], v[80:81] op_sel_hi:[1,0,1]
	ds_load_2addr_b64 v[80:83], v74 offset0:11 offset1:12
	v_dual_mov_b32 v38, v70 :: v_dual_mov_b32 v39, v73
	s_wait_dscnt 0x0
	v_pk_mul_f32 v[84:85], v[80:81], v[72:73] op_sel:[0,1]
	s_delay_alu instid0(VALU_DEP_1) | instskip(SKIP_1) | instid1(VALU_DEP_1)
	v_pk_fma_f32 v[86:87], v[80:81], v[70:71], v[84:85] op_sel:[0,0,1] op_sel_hi:[1,1,0] neg_lo:[0,0,1] neg_hi:[0,0,1]
	v_pk_fma_f32 v[80:81], v[80:81], v[70:71], v[84:85] op_sel:[0,0,1] op_sel_hi:[1,0,0]
	v_mov_b32_e32 v87, v81
	v_pk_mul_f32 v[80:81], v[82:83], v[72:73] op_sel:[0,1]
	s_delay_alu instid0(VALU_DEP_1) | instskip(SKIP_1) | instid1(VALU_DEP_1)
	v_pk_fma_f32 v[84:85], v[82:83], v[70:71], v[80:81] op_sel:[0,0,1] op_sel_hi:[1,1,0] neg_lo:[0,0,1] neg_hi:[0,0,1]
	v_pk_fma_f32 v[80:81], v[82:83], v[70:71], v[80:81] op_sel:[0,0,1] op_sel_hi:[1,0,0]
	v_mov_b32_e32 v85, v81
	ds_load_2addr_b64 v[80:83], v74 offset0:13 offset1:14
	v_pk_add_f32 v[8:9], v[8:9], v[86:87] neg_lo:[0,1] neg_hi:[0,1]
	v_pk_add_f32 v[52:53], v[52:53], v[84:85] neg_lo:[0,1] neg_hi:[0,1]
	s_wait_dscnt 0x0
	v_pk_mul_f32 v[84:85], v[80:81], v[72:73] op_sel:[0,1]
	s_delay_alu instid0(VALU_DEP_1) | instskip(SKIP_2) | instid1(VALU_DEP_2)
	v_pk_fma_f32 v[86:87], v[80:81], v[70:71], v[84:85] op_sel:[0,0,1] op_sel_hi:[1,1,0] neg_lo:[0,0,1] neg_hi:[0,0,1]
	v_pk_fma_f32 v[80:81], v[80:81], v[70:71], v[84:85] op_sel:[0,0,1] op_sel_hi:[1,0,0]
	v_dual_mul_f32 v84, v83, v73 :: v_dual_mov_b32 v80, v83
	v_dual_mov_b32 v87, v81 :: v_dual_mov_b32 v81, v82
	s_delay_alu instid0(VALU_DEP_2) | instskip(SKIP_1) | instid1(VALU_DEP_3)
	v_pk_fma_f32 v[84:85], v[82:83], v[38:39], v[84:85] op_sel_hi:[1,1,0] neg_lo:[0,0,1] neg_hi:[0,0,1]
	v_mul_f32_e32 v82, v83, v70
	v_pk_add_f32 v[48:49], v[48:49], v[86:87] neg_lo:[0,1] neg_hi:[0,1]
	s_delay_alu instid0(VALU_DEP_2) | instskip(NEXT) | instid1(VALU_DEP_1)
	v_pk_fma_f32 v[80:81], v[80:81], v[38:39], v[82:83] op_sel_hi:[1,1,0]
	v_mov_b32_e32 v85, v81
	ds_load_2addr_b64 v[80:83], v74 offset0:15 offset1:16
	v_pk_add_f32 v[50:51], v[50:51], v[84:85] neg_lo:[0,1] neg_hi:[0,1]
	s_wait_dscnt 0x0
	v_pk_mul_f32 v[84:85], v[80:81], v[72:73] op_sel:[0,1]
	s_delay_alu instid0(VALU_DEP_1) | instskip(SKIP_1) | instid1(VALU_DEP_1)
	v_pk_fma_f32 v[86:87], v[80:81], v[70:71], v[84:85] op_sel:[0,0,1] op_sel_hi:[1,1,0] neg_lo:[0,0,1] neg_hi:[0,0,1]
	v_pk_fma_f32 v[80:81], v[80:81], v[70:71], v[84:85] op_sel:[0,0,1] op_sel_hi:[1,0,0]
	v_mov_b32_e32 v87, v81
	v_pk_mul_f32 v[80:81], v[82:83], v[72:73] op_sel:[0,1]
	s_delay_alu instid0(VALU_DEP_1) | instskip(SKIP_1) | instid1(VALU_DEP_1)
	v_pk_fma_f32 v[84:85], v[82:83], v[70:71], v[80:81] op_sel:[0,0,1] op_sel_hi:[1,1,0] neg_lo:[0,0,1] neg_hi:[0,0,1]
	v_pk_fma_f32 v[80:81], v[82:83], v[70:71], v[80:81] op_sel:[0,0,1] op_sel_hi:[1,0,0]
	v_mov_b32_e32 v85, v81
	ds_load_2addr_b64 v[80:83], v74 offset0:17 offset1:18
	v_pk_add_f32 v[14:15], v[14:15], v[86:87] neg_lo:[0,1] neg_hi:[0,1]
	v_pk_add_f32 v[58:59], v[58:59], v[84:85] neg_lo:[0,1] neg_hi:[0,1]
	s_wait_dscnt 0x0
	v_pk_mul_f32 v[84:85], v[80:81], v[72:73] op_sel:[0,1]
	s_delay_alu instid0(VALU_DEP_1) | instskip(SKIP_1) | instid1(VALU_DEP_1)
	v_pk_fma_f32 v[86:87], v[80:81], v[70:71], v[84:85] op_sel:[0,0,1] op_sel_hi:[1,1,0] neg_lo:[0,0,1] neg_hi:[0,0,1]
	v_pk_fma_f32 v[80:81], v[80:81], v[70:71], v[84:85] op_sel:[0,0,1] op_sel_hi:[1,0,0]
	v_mov_b32_e32 v87, v81
	v_pk_mul_f32 v[80:81], v[82:83], v[72:73] op_sel:[0,1]
	s_delay_alu instid0(VALU_DEP_1) | instskip(SKIP_1) | instid1(VALU_DEP_1)
	v_pk_fma_f32 v[84:85], v[82:83], v[70:71], v[80:81] op_sel:[0,0,1] op_sel_hi:[1,1,0] neg_lo:[0,0,1] neg_hi:[0,0,1]
	v_pk_fma_f32 v[80:81], v[82:83], v[70:71], v[80:81] op_sel:[0,0,1] op_sel_hi:[1,0,0]
	v_mov_b32_e32 v85, v81
	ds_load_2addr_b64 v[80:83], v74 offset0:19 offset1:20
	v_pk_add_f32 v[54:55], v[54:55], v[86:87] neg_lo:[0,1] neg_hi:[0,1]
	v_pk_add_f32 v[56:57], v[56:57], v[84:85] neg_lo:[0,1] neg_hi:[0,1]
	s_wait_dscnt 0x0
	v_dual_mul_f32 v84, v81, v73 :: v_dual_mul_f32 v86, v81, v70
	s_delay_alu instid0(VALU_DEP_1) | instskip(NEXT) | instid1(VALU_DEP_2)
	v_pk_fma_f32 v[84:85], v[80:81], v[38:39], v[84:85] op_sel_hi:[1,1,0] neg_lo:[0,0,1] neg_hi:[0,0,1]
	v_pk_fma_f32 v[80:81], v[80:81], v[38:39], v[86:87] op_sel:[1,0,0] op_sel_hi:[0,1,0]
	s_delay_alu instid0(VALU_DEP_1) | instskip(SKIP_1) | instid1(VALU_DEP_2)
	v_mov_b32_e32 v85, v81
	v_pk_mul_f32 v[80:81], v[82:83], v[72:73] op_sel:[0,1]
	v_pk_add_f32 v[16:17], v[16:17], v[84:85] neg_lo:[0,1] neg_hi:[0,1]
	s_delay_alu instid0(VALU_DEP_2) | instskip(SKIP_1) | instid1(VALU_DEP_1)
	v_pk_fma_f32 v[84:85], v[82:83], v[70:71], v[80:81] op_sel:[0,0,1] op_sel_hi:[1,1,0] neg_lo:[0,0,1] neg_hi:[0,0,1]
	v_pk_fma_f32 v[80:81], v[82:83], v[70:71], v[80:81] op_sel:[0,0,1] op_sel_hi:[1,0,0]
	v_mov_b32_e32 v85, v81
	ds_load_2addr_b64 v[80:83], v74 offset0:21 offset1:22
	v_pk_add_f32 v[46:47], v[46:47], v[84:85] neg_lo:[0,1] neg_hi:[0,1]
	s_wait_dscnt 0x0
	v_pk_mul_f32 v[84:85], v[80:81], v[72:73] op_sel:[0,1]
	s_delay_alu instid0(VALU_DEP_1) | instskip(SKIP_1) | instid1(VALU_DEP_1)
	v_pk_fma_f32 v[86:87], v[80:81], v[70:71], v[84:85] op_sel:[0,0,1] op_sel_hi:[1,1,0] neg_lo:[0,0,1] neg_hi:[0,0,1]
	v_pk_fma_f32 v[80:81], v[80:81], v[70:71], v[84:85] op_sel:[0,0,1] op_sel_hi:[1,0,0]
	v_mov_b32_e32 v87, v81
	v_pk_mul_f32 v[80:81], v[82:83], v[72:73] op_sel:[0,1]
	s_delay_alu instid0(VALU_DEP_2) | instskip(NEXT) | instid1(VALU_DEP_2)
	v_pk_add_f32 v[42:43], v[42:43], v[86:87] neg_lo:[0,1] neg_hi:[0,1]
	v_pk_fma_f32 v[84:85], v[82:83], v[70:71], v[80:81] op_sel:[0,0,1] op_sel_hi:[1,1,0] neg_lo:[0,0,1] neg_hi:[0,0,1]
	v_pk_fma_f32 v[80:81], v[82:83], v[70:71], v[80:81] op_sel:[0,0,1] op_sel_hi:[1,0,0]
	s_delay_alu instid0(VALU_DEP_1) | instskip(SKIP_4) | instid1(VALU_DEP_1)
	v_mov_b32_e32 v85, v81
	ds_load_2addr_b64 v[80:83], v74 offset0:23 offset1:24
	v_pk_add_f32 v[44:45], v[44:45], v[84:85] neg_lo:[0,1] neg_hi:[0,1]
	s_wait_dscnt 0x0
	v_pk_mul_f32 v[84:85], v[80:81], v[72:73] op_sel:[0,1]
	v_pk_fma_f32 v[86:87], v[80:81], v[70:71], v[84:85] op_sel:[0,0,1] op_sel_hi:[1,1,0] neg_lo:[0,0,1] neg_hi:[0,0,1]
	v_pk_fma_f32 v[80:81], v[80:81], v[70:71], v[84:85] op_sel:[0,0,1] op_sel_hi:[1,0,0]
	v_dual_mul_f32 v84, v83, v73 :: v_dual_mov_b32 v80, v83
	s_delay_alu instid0(VALU_DEP_2) | instskip(NEXT) | instid1(VALU_DEP_2)
	v_dual_mov_b32 v87, v81 :: v_dual_mov_b32 v81, v82
	v_pk_fma_f32 v[84:85], v[82:83], v[38:39], v[84:85] op_sel_hi:[1,1,0] neg_lo:[0,0,1] neg_hi:[0,0,1]
	v_mul_f32_e32 v82, v83, v70
	s_delay_alu instid0(VALU_DEP_3) | instskip(NEXT) | instid1(VALU_DEP_2)
	v_pk_add_f32 v[10:11], v[10:11], v[86:87] neg_lo:[0,1] neg_hi:[0,1]
	v_pk_fma_f32 v[80:81], v[80:81], v[38:39], v[82:83] op_sel_hi:[1,1,0]
	s_delay_alu instid0(VALU_DEP_1) | instskip(SKIP_4) | instid1(VALU_DEP_1)
	v_mov_b32_e32 v85, v81
	ds_load_2addr_b64 v[80:83], v74 offset0:25 offset1:26
	v_pk_add_f32 v[28:29], v[28:29], v[84:85] neg_lo:[0,1] neg_hi:[0,1]
	s_wait_dscnt 0x0
	v_pk_mul_f32 v[84:85], v[80:81], v[72:73] op_sel:[0,1]
	v_pk_fma_f32 v[86:87], v[80:81], v[70:71], v[84:85] op_sel:[0,0,1] op_sel_hi:[1,1,0] neg_lo:[0,0,1] neg_hi:[0,0,1]
	v_pk_fma_f32 v[80:81], v[80:81], v[70:71], v[84:85] op_sel:[0,0,1] op_sel_hi:[1,0,0]
	s_delay_alu instid0(VALU_DEP_1) | instskip(SKIP_1) | instid1(VALU_DEP_1)
	v_mov_b32_e32 v87, v81
	v_pk_mul_f32 v[80:81], v[82:83], v[72:73] op_sel:[0,1]
	v_pk_fma_f32 v[84:85], v[82:83], v[70:71], v[80:81] op_sel:[0,0,1] op_sel_hi:[1,1,0] neg_lo:[0,0,1] neg_hi:[0,0,1]
	v_pk_fma_f32 v[80:81], v[82:83], v[70:71], v[80:81] op_sel:[0,0,1] op_sel_hi:[1,0,0]
	s_delay_alu instid0(VALU_DEP_1)
	v_mov_b32_e32 v85, v81
	ds_load_2addr_b64 v[80:83], v74 offset0:27 offset1:28
	v_pk_add_f32 v[24:25], v[24:25], v[86:87] neg_lo:[0,1] neg_hi:[0,1]
	v_pk_add_f32 v[26:27], v[26:27], v[84:85] neg_lo:[0,1] neg_hi:[0,1]
	s_wait_dscnt 0x0
	v_pk_mul_f32 v[84:85], v[80:81], v[72:73] op_sel:[0,1]
	s_delay_alu instid0(VALU_DEP_1) | instskip(SKIP_1) | instid1(VALU_DEP_1)
	v_pk_fma_f32 v[86:87], v[80:81], v[70:71], v[84:85] op_sel:[0,0,1] op_sel_hi:[1,1,0] neg_lo:[0,0,1] neg_hi:[0,0,1]
	v_pk_fma_f32 v[80:81], v[80:81], v[70:71], v[84:85] op_sel:[0,0,1] op_sel_hi:[1,0,0]
	v_mov_b32_e32 v87, v81
	v_pk_mul_f32 v[80:81], v[82:83], v[72:73] op_sel:[0,1]
	s_delay_alu instid0(VALU_DEP_1) | instskip(SKIP_1) | instid1(VALU_DEP_1)
	v_pk_fma_f32 v[84:85], v[82:83], v[70:71], v[80:81] op_sel:[0,0,1] op_sel_hi:[1,1,0] neg_lo:[0,0,1] neg_hi:[0,0,1]
	v_pk_fma_f32 v[80:81], v[82:83], v[70:71], v[80:81] op_sel:[0,0,1] op_sel_hi:[1,0,0]
	v_mov_b32_e32 v85, v81
	ds_load_2addr_b64 v[80:83], v74 offset0:29 offset1:30
	v_pk_add_f32 v[12:13], v[12:13], v[86:87] neg_lo:[0,1] neg_hi:[0,1]
	v_pk_add_f32 v[22:23], v[22:23], v[84:85] neg_lo:[0,1] neg_hi:[0,1]
	s_wait_dscnt 0x0
	v_dual_mul_f32 v84, v81, v73 :: v_dual_mul_f32 v86, v81, v70
	s_delay_alu instid0(VALU_DEP_1) | instskip(NEXT) | instid1(VALU_DEP_2)
	v_pk_fma_f32 v[84:85], v[80:81], v[38:39], v[84:85] op_sel_hi:[1,1,0] neg_lo:[0,0,1] neg_hi:[0,0,1]
	v_pk_fma_f32 v[80:81], v[80:81], v[38:39], v[86:87] op_sel:[1,0,0] op_sel_hi:[0,1,0]
	s_delay_alu instid0(VALU_DEP_1) | instskip(SKIP_1) | instid1(VALU_DEP_2)
	v_mov_b32_e32 v85, v81
	v_pk_mul_f32 v[80:81], v[82:83], v[72:73] op_sel:[0,1]
	v_pk_add_f32 v[20:21], v[20:21], v[84:85] neg_lo:[0,1] neg_hi:[0,1]
	s_delay_alu instid0(VALU_DEP_2) | instskip(SKIP_1) | instid1(VALU_DEP_1)
	v_pk_fma_f32 v[84:85], v[82:83], v[70:71], v[80:81] op_sel:[0,0,1] op_sel_hi:[1,1,0] neg_lo:[0,0,1] neg_hi:[0,0,1]
	v_pk_fma_f32 v[80:81], v[82:83], v[70:71], v[80:81] op_sel:[0,0,1] op_sel_hi:[1,0,0]
	v_mov_b32_e32 v85, v81
	ds_load_b64 v[80:81], v74 offset:248
	v_pk_add_f32 v[18:19], v[18:19], v[84:85] neg_lo:[0,1] neg_hi:[0,1]
	s_wait_dscnt 0x0
	v_pk_mul_f32 v[72:73], v[80:81], v[72:73] op_sel:[0,1]
	s_delay_alu instid0(VALU_DEP_1) | instskip(SKIP_1) | instid1(VALU_DEP_1)
	v_pk_fma_f32 v[82:83], v[80:81], v[70:71], v[72:73] op_sel:[0,0,1] op_sel_hi:[1,1,0] neg_lo:[0,0,1] neg_hi:[0,0,1]
	v_pk_fma_f32 v[70:71], v[80:81], v[70:71], v[72:73] op_sel:[0,0,1] op_sel_hi:[1,0,0]
	v_mov_b32_e32 v83, v71
	s_delay_alu instid0(VALU_DEP_1)
	v_pk_add_f32 v[68:69], v[68:69], v[82:83] neg_lo:[0,1] neg_hi:[0,1]
.LBB62_230:
	s_or_b32 exec_lo, exec_lo, s0
	v_lshl_add_u32 v70, v78, 3, v74
	s_barrier_signal -1
	s_barrier_wait -1
	ds_store_b64 v70, v[8:9]
	s_wait_dscnt 0x0
	s_barrier_signal -1
	s_barrier_wait -1
	ds_load_b64 v[72:73], v74 offset:88
	v_mov_b32_e32 v70, 11
	s_cmp_lt_i32 s18, 13
	s_cbranch_scc1 .LBB62_233
; %bb.231:
	v_add3_u32 v71, v75, 0, 0x60
	v_mov_b32_e32 v70, 11
	s_mov_b32 s0, 12
.LBB62_232:                             ; =>This Inner Loop Header: Depth=1
	ds_load_b64 v[80:81], v71
	s_wait_dscnt 0x1
	v_cmp_gt_f32_e32 vcc_lo, 0, v72
	v_cndmask_b32_e64 v82, v72, -v72, vcc_lo
	v_cmp_gt_f32_e32 vcc_lo, 0, v73
	v_cndmask_b32_e64 v84, v73, -v73, vcc_lo
	s_wait_dscnt 0x0
	v_cmp_gt_f32_e32 vcc_lo, 0, v80
	v_cndmask_b32_e64 v83, v80, -v80, vcc_lo
	v_cmp_gt_f32_e32 vcc_lo, 0, v81
	v_cndmask_b32_e64 v85, v81, -v81, vcc_lo
	s_delay_alu instid0(VALU_DEP_1) | instskip(NEXT) | instid1(VALU_DEP_1)
	v_pk_add_f32 v[82:83], v[82:83], v[84:85]
	v_cmp_lt_f32_e32 vcc_lo, v82, v83
	v_dual_add_nc_u32 v71, 8, v71 :: v_dual_cndmask_b32 v73, v73, v81, vcc_lo
	v_cndmask_b32_e32 v72, v72, v80, vcc_lo
	v_cndmask_b32_e64 v70, v70, s0, vcc_lo
	s_add_co_i32 s0, s0, 1
	s_delay_alu instid0(SALU_CYCLE_1)
	s_cmp_lg_u32 s18, s0
	s_cbranch_scc1 .LBB62_232
.LBB62_233:
	s_wait_dscnt 0x0
	v_cmp_eq_f32_e32 vcc_lo, 0, v72
	v_cmp_eq_f32_e64 s0, 0, v73
	s_and_b32 s0, vcc_lo, s0
	s_delay_alu instid0(SALU_CYCLE_1) | instskip(NEXT) | instid1(SALU_CYCLE_1)
	s_and_saveexec_b32 s1, s0
	s_xor_b32 s0, exec_lo, s1
; %bb.234:
	v_cmp_ne_u32_e32 vcc_lo, 0, v76
	v_cndmask_b32_e32 v76, 12, v76, vcc_lo
; %bb.235:
	s_and_not1_saveexec_b32 s0, s0
	s_cbranch_execz .LBB62_241
; %bb.236:
	v_cmp_ngt_f32_e64 s1, |v72|, |v73|
	s_and_saveexec_b32 s12, s1
	s_delay_alu instid0(SALU_CYCLE_1)
	s_xor_b32 s1, exec_lo, s12
	s_cbranch_execz .LBB62_238
; %bb.237:
	v_div_scale_f32 v71, null, v73, v73, v72
	v_div_scale_f32 v81, vcc_lo, v72, v73, v72
	s_delay_alu instid0(VALU_DEP_2) | instskip(SKIP_1) | instid1(TRANS32_DEP_1)
	v_rcp_f32_e32 v79, v71
	v_nop
	v_fma_f32 v80, -v71, v79, 1.0
	s_delay_alu instid0(VALU_DEP_1) | instskip(NEXT) | instid1(VALU_DEP_1)
	v_fmac_f32_e32 v79, v80, v79
	v_mul_f32_e32 v80, v81, v79
	s_delay_alu instid0(VALU_DEP_1) | instskip(NEXT) | instid1(VALU_DEP_1)
	v_fma_f32 v82, -v71, v80, v81
	v_fmac_f32_e32 v80, v82, v79
	s_delay_alu instid0(VALU_DEP_1) | instskip(NEXT) | instid1(VALU_DEP_1)
	v_fma_f32 v71, -v71, v80, v81
	v_div_fmas_f32 v71, v71, v79, v80
	s_delay_alu instid0(VALU_DEP_1) | instskip(NEXT) | instid1(VALU_DEP_1)
	v_div_fixup_f32 v71, v71, v73, v72
	v_fmac_f32_e32 v73, v72, v71
	s_delay_alu instid0(VALU_DEP_1) | instskip(SKIP_1) | instid1(VALU_DEP_2)
	v_div_scale_f32 v72, null, v73, v73, 1.0
	v_div_scale_f32 v81, vcc_lo, 1.0, v73, 1.0
	v_rcp_f32_e32 v79, v72
	v_nop
	s_delay_alu instid0(TRANS32_DEP_1) | instskip(NEXT) | instid1(VALU_DEP_1)
	v_fma_f32 v80, -v72, v79, 1.0
	v_fmac_f32_e32 v79, v80, v79
	s_delay_alu instid0(VALU_DEP_1) | instskip(NEXT) | instid1(VALU_DEP_1)
	v_mul_f32_e32 v80, v81, v79
	v_fma_f32 v82, -v72, v80, v81
	s_delay_alu instid0(VALU_DEP_1) | instskip(NEXT) | instid1(VALU_DEP_1)
	v_fmac_f32_e32 v80, v82, v79
	v_fma_f32 v72, -v72, v80, v81
	s_delay_alu instid0(VALU_DEP_1) | instskip(NEXT) | instid1(VALU_DEP_1)
	v_div_fmas_f32 v72, v72, v79, v80
	v_div_fixup_f32 v73, v72, v73, 1.0
	s_delay_alu instid0(VALU_DEP_1)
	v_mul_f32_e32 v72, v71, v73
	v_xor_b32_e32 v73, 0x80000000, v73
.LBB62_238:
	s_and_not1_saveexec_b32 s1, s1
	s_cbranch_execz .LBB62_240
; %bb.239:
	s_delay_alu instid0(VALU_DEP_1) | instskip(SKIP_1) | instid1(VALU_DEP_2)
	v_div_scale_f32 v71, null, v72, v72, v73
	v_div_scale_f32 v81, vcc_lo, v73, v72, v73
	v_rcp_f32_e32 v79, v71
	v_nop
	s_delay_alu instid0(TRANS32_DEP_1) | instskip(NEXT) | instid1(VALU_DEP_1)
	v_fma_f32 v80, -v71, v79, 1.0
	v_fmac_f32_e32 v79, v80, v79
	s_delay_alu instid0(VALU_DEP_1) | instskip(NEXT) | instid1(VALU_DEP_1)
	v_mul_f32_e32 v80, v81, v79
	v_fma_f32 v82, -v71, v80, v81
	s_delay_alu instid0(VALU_DEP_1) | instskip(NEXT) | instid1(VALU_DEP_1)
	v_fmac_f32_e32 v80, v82, v79
	v_fma_f32 v71, -v71, v80, v81
	s_delay_alu instid0(VALU_DEP_1) | instskip(NEXT) | instid1(VALU_DEP_1)
	v_div_fmas_f32 v71, v71, v79, v80
	v_div_fixup_f32 v71, v71, v72, v73
	s_delay_alu instid0(VALU_DEP_1) | instskip(NEXT) | instid1(VALU_DEP_1)
	v_fmac_f32_e32 v72, v73, v71
	v_div_scale_f32 v73, null, v72, v72, 1.0
	s_delay_alu instid0(VALU_DEP_1) | instskip(SKIP_1) | instid1(TRANS32_DEP_1)
	v_rcp_f32_e32 v79, v73
	v_nop
	v_fma_f32 v80, -v73, v79, 1.0
	s_delay_alu instid0(VALU_DEP_1) | instskip(SKIP_1) | instid1(VALU_DEP_1)
	v_fmac_f32_e32 v79, v80, v79
	v_div_scale_f32 v80, vcc_lo, 1.0, v72, 1.0
	v_mul_f32_e32 v81, v80, v79
	s_delay_alu instid0(VALU_DEP_1) | instskip(NEXT) | instid1(VALU_DEP_1)
	v_fma_f32 v82, -v73, v81, v80
	v_fmac_f32_e32 v81, v82, v79
	s_delay_alu instid0(VALU_DEP_1) | instskip(NEXT) | instid1(VALU_DEP_1)
	v_fma_f32 v73, -v73, v81, v80
	v_div_fmas_f32 v73, v73, v79, v81
	s_delay_alu instid0(VALU_DEP_1) | instskip(NEXT) | instid1(VALU_DEP_1)
	v_div_fixup_f32 v72, v73, v72, 1.0
	v_mul_f32_e64 v73, v71, -v72
.LBB62_240:
	s_or_b32 exec_lo, exec_lo, s1
.LBB62_241:
	s_delay_alu instid0(SALU_CYCLE_1) | instskip(NEXT) | instid1(SALU_CYCLE_1)
	s_or_b32 exec_lo, exec_lo, s0
	s_mov_b32 s0, exec_lo
	v_cmpx_ne_u32_e64 v78, v70
	s_xor_b32 s0, exec_lo, s0
	s_cbranch_execz .LBB62_247
; %bb.242:
	s_mov_b32 s1, exec_lo
	v_cmpx_eq_u32_e32 11, v78
	s_cbranch_execz .LBB62_246
; %bb.243:
	v_cmp_ne_u32_e32 vcc_lo, 11, v70
	s_xor_b32 s12, s16, -1
	s_delay_alu instid0(SALU_CYCLE_1) | instskip(NEXT) | instid1(SALU_CYCLE_1)
	s_and_b32 s13, s12, vcc_lo
	s_and_saveexec_b32 s12, s13
	s_cbranch_execz .LBB62_245
; %bb.244:
	v_ashrrev_i32_e32 v71, 31, v70
	s_delay_alu instid0(VALU_DEP_1)
	v_lshl_add_u64 v[78:79], v[70:71], 2, v[4:5]
	s_clause 0x1
	global_load_b32 v71, v[78:79], off
	global_load_b32 v77, v[4:5], off offset:44
	s_wait_loadcnt 0x1
	global_store_b32 v[4:5], v71, off offset:44
	s_wait_loadcnt 0x0
	global_store_b32 v[78:79], v77, off
.LBB62_245:
	s_wait_xcnt 0x0
	s_or_b32 exec_lo, exec_lo, s12
	v_dual_mov_b32 v78, v70 :: v_dual_mov_b32 v77, v70
.LBB62_246:
	s_or_b32 exec_lo, exec_lo, s1
.LBB62_247:
	s_and_not1_saveexec_b32 s0, s0
	s_cbranch_execz .LBB62_249
; %bb.248:
	v_dual_mov_b32 v70, v52 :: v_dual_mov_b32 v71, v53
	v_dual_mov_b32 v78, v48 :: v_dual_mov_b32 v79, v49
	ds_store_2addr_b64 v74, v[70:71], v[78:79] offset0:12 offset1:13
	v_dual_mov_b32 v70, v50 :: v_dual_mov_b32 v71, v51
	v_dual_mov_b32 v78, v14 :: v_dual_mov_b32 v79, v15
	ds_store_2addr_b64 v74, v[70:71], v[78:79] offset0:14 offset1:15
	v_dual_mov_b32 v70, v58 :: v_dual_mov_b32 v71, v59
	v_dual_mov_b32 v78, v54 :: v_dual_mov_b32 v79, v55
	ds_store_2addr_b64 v74, v[70:71], v[78:79] offset0:16 offset1:17
	v_dual_mov_b32 v70, v56 :: v_dual_mov_b32 v71, v57
	v_dual_mov_b32 v78, v16 :: v_dual_mov_b32 v79, v17
	ds_store_2addr_b64 v74, v[70:71], v[78:79] offset0:18 offset1:19
	v_dual_mov_b32 v70, v46 :: v_dual_mov_b32 v71, v47
	v_dual_mov_b32 v78, v42 :: v_dual_mov_b32 v79, v43
	ds_store_2addr_b64 v74, v[70:71], v[78:79] offset0:20 offset1:21
	v_dual_mov_b32 v70, v44 :: v_dual_mov_b32 v71, v45
	v_dual_mov_b32 v78, v10 :: v_dual_mov_b32 v79, v11
	ds_store_2addr_b64 v74, v[70:71], v[78:79] offset0:22 offset1:23
	v_dual_mov_b32 v70, v28 :: v_dual_mov_b32 v71, v29
	v_dual_mov_b32 v78, v24 :: v_dual_mov_b32 v79, v25
	ds_store_2addr_b64 v74, v[70:71], v[78:79] offset0:24 offset1:25
	v_dual_mov_b32 v70, v26 :: v_dual_mov_b32 v71, v27
	v_dual_mov_b32 v78, v12 :: v_dual_mov_b32 v79, v13
	ds_store_2addr_b64 v74, v[70:71], v[78:79] offset0:26 offset1:27
	v_dual_mov_b32 v70, v22 :: v_dual_mov_b32 v71, v23
	v_dual_mov_b32 v78, v20 :: v_dual_mov_b32 v79, v21
	ds_store_2addr_b64 v74, v[70:71], v[78:79] offset0:28 offset1:29
	v_dual_mov_b32 v70, v18 :: v_dual_mov_b32 v71, v19
	v_mov_b32_e32 v78, 11
	ds_store_2addr_b64 v74, v[70:71], v[68:69] offset0:30 offset1:31
.LBB62_249:
	s_or_b32 exec_lo, exec_lo, s0
	s_delay_alu instid0(SALU_CYCLE_1)
	s_mov_b32 s0, exec_lo
	s_wait_storecnt_dscnt 0x0
	s_barrier_signal -1
	s_barrier_wait -1
	v_cmpx_lt_i32_e32 11, v78
	s_cbranch_execz .LBB62_251
; %bb.250:
	v_pk_mul_f32 v[80:81], v[72:73], v[8:9] op_sel:[1,1] op_sel_hi:[0,1]
	s_delay_alu instid0(VALU_DEP_1)
	v_pk_fma_f32 v[70:71], v[72:73], v[8:9], v[80:81] op_sel_hi:[1,0,1] neg_lo:[0,0,1] neg_hi:[0,0,1]
	v_pk_fma_f32 v[72:73], v[72:73], v[8:9], v[80:81] op_sel_hi:[1,0,1]
	ds_load_2addr_b64 v[80:83], v74 offset0:12 offset1:13
	v_dual_mov_b32 v8, v70 :: v_dual_mov_b32 v9, v73
	s_wait_dscnt 0x0
	v_pk_mul_f32 v[84:85], v[80:81], v[72:73] op_sel:[0,1]
	s_delay_alu instid0(VALU_DEP_1) | instskip(SKIP_1) | instid1(VALU_DEP_1)
	v_pk_fma_f32 v[86:87], v[80:81], v[70:71], v[84:85] op_sel:[0,0,1] op_sel_hi:[1,1,0] neg_lo:[0,0,1] neg_hi:[0,0,1]
	v_pk_fma_f32 v[80:81], v[80:81], v[70:71], v[84:85] op_sel:[0,0,1] op_sel_hi:[1,0,0]
	v_mov_b32_e32 v87, v81
	v_pk_mul_f32 v[80:81], v[82:83], v[72:73] op_sel:[0,1]
	s_delay_alu instid0(VALU_DEP_1) | instskip(SKIP_1) | instid1(VALU_DEP_1)
	v_pk_fma_f32 v[84:85], v[82:83], v[70:71], v[80:81] op_sel:[0,0,1] op_sel_hi:[1,1,0] neg_lo:[0,0,1] neg_hi:[0,0,1]
	v_pk_fma_f32 v[80:81], v[82:83], v[70:71], v[80:81] op_sel:[0,0,1] op_sel_hi:[1,0,0]
	v_mov_b32_e32 v85, v81
	ds_load_2addr_b64 v[80:83], v74 offset0:14 offset1:15
	v_pk_add_f32 v[52:53], v[52:53], v[86:87] neg_lo:[0,1] neg_hi:[0,1]
	v_pk_add_f32 v[48:49], v[48:49], v[84:85] neg_lo:[0,1] neg_hi:[0,1]
	s_wait_dscnt 0x0
	v_pk_mul_f32 v[84:85], v[80:81], v[72:73] op_sel:[0,1]
	s_delay_alu instid0(VALU_DEP_1) | instskip(SKIP_2) | instid1(VALU_DEP_2)
	v_pk_fma_f32 v[86:87], v[80:81], v[70:71], v[84:85] op_sel:[0,0,1] op_sel_hi:[1,1,0] neg_lo:[0,0,1] neg_hi:[0,0,1]
	v_pk_fma_f32 v[80:81], v[80:81], v[70:71], v[84:85] op_sel:[0,0,1] op_sel_hi:[1,0,0]
	v_dual_mul_f32 v84, v83, v73 :: v_dual_mov_b32 v80, v83
	v_dual_mov_b32 v87, v81 :: v_dual_mov_b32 v81, v82
	s_delay_alu instid0(VALU_DEP_2) | instskip(SKIP_1) | instid1(VALU_DEP_3)
	v_pk_fma_f32 v[84:85], v[82:83], v[8:9], v[84:85] op_sel_hi:[1,1,0] neg_lo:[0,0,1] neg_hi:[0,0,1]
	v_mul_f32_e32 v82, v83, v70
	v_pk_add_f32 v[50:51], v[50:51], v[86:87] neg_lo:[0,1] neg_hi:[0,1]
	s_delay_alu instid0(VALU_DEP_2) | instskip(NEXT) | instid1(VALU_DEP_1)
	v_pk_fma_f32 v[80:81], v[80:81], v[8:9], v[82:83] op_sel_hi:[1,1,0]
	v_mov_b32_e32 v85, v81
	ds_load_2addr_b64 v[80:83], v74 offset0:16 offset1:17
	v_pk_add_f32 v[14:15], v[14:15], v[84:85] neg_lo:[0,1] neg_hi:[0,1]
	s_wait_dscnt 0x0
	v_pk_mul_f32 v[84:85], v[80:81], v[72:73] op_sel:[0,1]
	s_delay_alu instid0(VALU_DEP_1) | instskip(SKIP_1) | instid1(VALU_DEP_1)
	v_pk_fma_f32 v[86:87], v[80:81], v[70:71], v[84:85] op_sel:[0,0,1] op_sel_hi:[1,1,0] neg_lo:[0,0,1] neg_hi:[0,0,1]
	v_pk_fma_f32 v[80:81], v[80:81], v[70:71], v[84:85] op_sel:[0,0,1] op_sel_hi:[1,0,0]
	v_mov_b32_e32 v87, v81
	v_pk_mul_f32 v[80:81], v[82:83], v[72:73] op_sel:[0,1]
	s_delay_alu instid0(VALU_DEP_1) | instskip(SKIP_1) | instid1(VALU_DEP_1)
	v_pk_fma_f32 v[84:85], v[82:83], v[70:71], v[80:81] op_sel:[0,0,1] op_sel_hi:[1,1,0] neg_lo:[0,0,1] neg_hi:[0,0,1]
	v_pk_fma_f32 v[80:81], v[82:83], v[70:71], v[80:81] op_sel:[0,0,1] op_sel_hi:[1,0,0]
	v_mov_b32_e32 v85, v81
	ds_load_2addr_b64 v[80:83], v74 offset0:18 offset1:19
	v_pk_add_f32 v[58:59], v[58:59], v[86:87] neg_lo:[0,1] neg_hi:[0,1]
	v_pk_add_f32 v[54:55], v[54:55], v[84:85] neg_lo:[0,1] neg_hi:[0,1]
	s_wait_dscnt 0x0
	v_pk_mul_f32 v[84:85], v[80:81], v[72:73] op_sel:[0,1]
	s_delay_alu instid0(VALU_DEP_1) | instskip(SKIP_1) | instid1(VALU_DEP_1)
	v_pk_fma_f32 v[86:87], v[80:81], v[70:71], v[84:85] op_sel:[0,0,1] op_sel_hi:[1,1,0] neg_lo:[0,0,1] neg_hi:[0,0,1]
	v_pk_fma_f32 v[80:81], v[80:81], v[70:71], v[84:85] op_sel:[0,0,1] op_sel_hi:[1,0,0]
	v_mov_b32_e32 v87, v81
	v_pk_mul_f32 v[80:81], v[82:83], v[72:73] op_sel:[0,1]
	s_delay_alu instid0(VALU_DEP_1) | instskip(SKIP_1) | instid1(VALU_DEP_1)
	v_pk_fma_f32 v[84:85], v[82:83], v[70:71], v[80:81] op_sel:[0,0,1] op_sel_hi:[1,1,0] neg_lo:[0,0,1] neg_hi:[0,0,1]
	v_pk_fma_f32 v[80:81], v[82:83], v[70:71], v[80:81] op_sel:[0,0,1] op_sel_hi:[1,0,0]
	v_mov_b32_e32 v85, v81
	ds_load_2addr_b64 v[80:83], v74 offset0:20 offset1:21
	v_pk_add_f32 v[56:57], v[56:57], v[86:87] neg_lo:[0,1] neg_hi:[0,1]
	v_pk_add_f32 v[16:17], v[16:17], v[84:85] neg_lo:[0,1] neg_hi:[0,1]
	s_wait_dscnt 0x0
	v_dual_mul_f32 v84, v81, v73 :: v_dual_mul_f32 v86, v81, v70
	s_delay_alu instid0(VALU_DEP_1) | instskip(NEXT) | instid1(VALU_DEP_2)
	v_pk_fma_f32 v[84:85], v[80:81], v[8:9], v[84:85] op_sel_hi:[1,1,0] neg_lo:[0,0,1] neg_hi:[0,0,1]
	v_pk_fma_f32 v[80:81], v[80:81], v[8:9], v[86:87] op_sel:[1,0,0] op_sel_hi:[0,1,0]
	s_delay_alu instid0(VALU_DEP_1) | instskip(SKIP_1) | instid1(VALU_DEP_2)
	v_mov_b32_e32 v85, v81
	v_pk_mul_f32 v[80:81], v[82:83], v[72:73] op_sel:[0,1]
	v_pk_add_f32 v[46:47], v[46:47], v[84:85] neg_lo:[0,1] neg_hi:[0,1]
	s_delay_alu instid0(VALU_DEP_2) | instskip(SKIP_1) | instid1(VALU_DEP_1)
	v_pk_fma_f32 v[84:85], v[82:83], v[70:71], v[80:81] op_sel:[0,0,1] op_sel_hi:[1,1,0] neg_lo:[0,0,1] neg_hi:[0,0,1]
	v_pk_fma_f32 v[80:81], v[82:83], v[70:71], v[80:81] op_sel:[0,0,1] op_sel_hi:[1,0,0]
	v_mov_b32_e32 v85, v81
	ds_load_2addr_b64 v[80:83], v74 offset0:22 offset1:23
	v_pk_add_f32 v[42:43], v[42:43], v[84:85] neg_lo:[0,1] neg_hi:[0,1]
	s_wait_dscnt 0x0
	v_pk_mul_f32 v[84:85], v[80:81], v[72:73] op_sel:[0,1]
	s_delay_alu instid0(VALU_DEP_1) | instskip(SKIP_1) | instid1(VALU_DEP_1)
	v_pk_fma_f32 v[86:87], v[80:81], v[70:71], v[84:85] op_sel:[0,0,1] op_sel_hi:[1,1,0] neg_lo:[0,0,1] neg_hi:[0,0,1]
	v_pk_fma_f32 v[80:81], v[80:81], v[70:71], v[84:85] op_sel:[0,0,1] op_sel_hi:[1,0,0]
	v_mov_b32_e32 v87, v81
	v_pk_mul_f32 v[80:81], v[82:83], v[72:73] op_sel:[0,1]
	s_delay_alu instid0(VALU_DEP_2) | instskip(NEXT) | instid1(VALU_DEP_2)
	v_pk_add_f32 v[44:45], v[44:45], v[86:87] neg_lo:[0,1] neg_hi:[0,1]
	v_pk_fma_f32 v[84:85], v[82:83], v[70:71], v[80:81] op_sel:[0,0,1] op_sel_hi:[1,1,0] neg_lo:[0,0,1] neg_hi:[0,0,1]
	v_pk_fma_f32 v[80:81], v[82:83], v[70:71], v[80:81] op_sel:[0,0,1] op_sel_hi:[1,0,0]
	s_delay_alu instid0(VALU_DEP_1) | instskip(SKIP_4) | instid1(VALU_DEP_1)
	v_mov_b32_e32 v85, v81
	ds_load_2addr_b64 v[80:83], v74 offset0:24 offset1:25
	v_pk_add_f32 v[10:11], v[10:11], v[84:85] neg_lo:[0,1] neg_hi:[0,1]
	s_wait_dscnt 0x0
	v_pk_mul_f32 v[84:85], v[80:81], v[72:73] op_sel:[0,1]
	v_pk_fma_f32 v[86:87], v[80:81], v[70:71], v[84:85] op_sel:[0,0,1] op_sel_hi:[1,1,0] neg_lo:[0,0,1] neg_hi:[0,0,1]
	v_pk_fma_f32 v[80:81], v[80:81], v[70:71], v[84:85] op_sel:[0,0,1] op_sel_hi:[1,0,0]
	v_dual_mul_f32 v84, v83, v73 :: v_dual_mov_b32 v80, v83
	s_delay_alu instid0(VALU_DEP_2) | instskip(NEXT) | instid1(VALU_DEP_2)
	v_dual_mov_b32 v87, v81 :: v_dual_mov_b32 v81, v82
	v_pk_fma_f32 v[84:85], v[82:83], v[8:9], v[84:85] op_sel_hi:[1,1,0] neg_lo:[0,0,1] neg_hi:[0,0,1]
	v_mul_f32_e32 v82, v83, v70
	s_delay_alu instid0(VALU_DEP_3) | instskip(NEXT) | instid1(VALU_DEP_2)
	v_pk_add_f32 v[28:29], v[28:29], v[86:87] neg_lo:[0,1] neg_hi:[0,1]
	v_pk_fma_f32 v[80:81], v[80:81], v[8:9], v[82:83] op_sel_hi:[1,1,0]
	s_delay_alu instid0(VALU_DEP_1) | instskip(SKIP_4) | instid1(VALU_DEP_1)
	v_mov_b32_e32 v85, v81
	ds_load_2addr_b64 v[80:83], v74 offset0:26 offset1:27
	v_pk_add_f32 v[24:25], v[24:25], v[84:85] neg_lo:[0,1] neg_hi:[0,1]
	s_wait_dscnt 0x0
	v_pk_mul_f32 v[84:85], v[80:81], v[72:73] op_sel:[0,1]
	v_pk_fma_f32 v[86:87], v[80:81], v[70:71], v[84:85] op_sel:[0,0,1] op_sel_hi:[1,1,0] neg_lo:[0,0,1] neg_hi:[0,0,1]
	v_pk_fma_f32 v[80:81], v[80:81], v[70:71], v[84:85] op_sel:[0,0,1] op_sel_hi:[1,0,0]
	s_delay_alu instid0(VALU_DEP_1) | instskip(SKIP_1) | instid1(VALU_DEP_1)
	v_mov_b32_e32 v87, v81
	v_pk_mul_f32 v[80:81], v[82:83], v[72:73] op_sel:[0,1]
	v_pk_fma_f32 v[84:85], v[82:83], v[70:71], v[80:81] op_sel:[0,0,1] op_sel_hi:[1,1,0] neg_lo:[0,0,1] neg_hi:[0,0,1]
	v_pk_fma_f32 v[80:81], v[82:83], v[70:71], v[80:81] op_sel:[0,0,1] op_sel_hi:[1,0,0]
	s_delay_alu instid0(VALU_DEP_1)
	v_mov_b32_e32 v85, v81
	ds_load_2addr_b64 v[80:83], v74 offset0:28 offset1:29
	v_pk_add_f32 v[26:27], v[26:27], v[86:87] neg_lo:[0,1] neg_hi:[0,1]
	v_pk_add_f32 v[12:13], v[12:13], v[84:85] neg_lo:[0,1] neg_hi:[0,1]
	s_wait_dscnt 0x0
	v_pk_mul_f32 v[84:85], v[80:81], v[72:73] op_sel:[0,1]
	s_delay_alu instid0(VALU_DEP_1) | instskip(SKIP_1) | instid1(VALU_DEP_1)
	v_pk_fma_f32 v[86:87], v[80:81], v[70:71], v[84:85] op_sel:[0,0,1] op_sel_hi:[1,1,0] neg_lo:[0,0,1] neg_hi:[0,0,1]
	v_pk_fma_f32 v[80:81], v[80:81], v[70:71], v[84:85] op_sel:[0,0,1] op_sel_hi:[1,0,0]
	v_mov_b32_e32 v87, v81
	v_pk_mul_f32 v[80:81], v[82:83], v[72:73] op_sel:[0,1]
	s_delay_alu instid0(VALU_DEP_1) | instskip(SKIP_1) | instid1(VALU_DEP_1)
	v_pk_fma_f32 v[84:85], v[82:83], v[70:71], v[80:81] op_sel:[0,0,1] op_sel_hi:[1,1,0] neg_lo:[0,0,1] neg_hi:[0,0,1]
	v_pk_fma_f32 v[80:81], v[82:83], v[70:71], v[80:81] op_sel:[0,0,1] op_sel_hi:[1,0,0]
	v_mov_b32_e32 v85, v81
	ds_load_2addr_b64 v[80:83], v74 offset0:30 offset1:31
	v_pk_add_f32 v[22:23], v[22:23], v[86:87] neg_lo:[0,1] neg_hi:[0,1]
	v_pk_add_f32 v[20:21], v[20:21], v[84:85] neg_lo:[0,1] neg_hi:[0,1]
	s_wait_dscnt 0x0
	v_dual_mul_f32 v84, v81, v73 :: v_dual_mul_f32 v86, v81, v70
	v_pk_mul_f32 v[72:73], v[82:83], v[72:73] op_sel:[0,1]
	s_delay_alu instid0(VALU_DEP_2) | instskip(NEXT) | instid1(VALU_DEP_3)
	v_pk_fma_f32 v[84:85], v[80:81], v[8:9], v[84:85] op_sel_hi:[1,1,0] neg_lo:[0,0,1] neg_hi:[0,0,1]
	v_pk_fma_f32 v[80:81], v[80:81], v[8:9], v[86:87] op_sel:[1,0,0] op_sel_hi:[0,1,0]
	s_delay_alu instid0(VALU_DEP_1) | instskip(NEXT) | instid1(VALU_DEP_4)
	v_mov_b32_e32 v85, v81
	v_pk_fma_f32 v[80:81], v[82:83], v[70:71], v[72:73] op_sel:[0,0,1] op_sel_hi:[1,1,0] neg_lo:[0,0,1] neg_hi:[0,0,1]
	v_pk_fma_f32 v[70:71], v[82:83], v[70:71], v[72:73] op_sel:[0,0,1] op_sel_hi:[1,0,0]
	s_delay_alu instid0(VALU_DEP_1) | instskip(NEXT) | instid1(VALU_DEP_4)
	v_mov_b32_e32 v81, v71
	v_pk_add_f32 v[18:19], v[18:19], v[84:85] neg_lo:[0,1] neg_hi:[0,1]
	s_delay_alu instid0(VALU_DEP_2)
	v_pk_add_f32 v[68:69], v[68:69], v[80:81] neg_lo:[0,1] neg_hi:[0,1]
.LBB62_251:
	s_or_b32 exec_lo, exec_lo, s0
	v_lshl_add_u32 v70, v78, 3, v74
	s_barrier_signal -1
	s_barrier_wait -1
	ds_store_b64 v70, v[52:53]
	s_wait_dscnt 0x0
	s_barrier_signal -1
	s_barrier_wait -1
	ds_load_b64 v[72:73], v74 offset:96
	v_mov_b32_e32 v70, 12
	s_cmp_lt_i32 s18, 14
	s_cbranch_scc1 .LBB62_254
; %bb.252:
	v_add3_u32 v71, v75, 0, 0x68
	v_mov_b32_e32 v70, 12
	s_mov_b32 s0, 13
.LBB62_253:                             ; =>This Inner Loop Header: Depth=1
	ds_load_b64 v[80:81], v71
	s_wait_dscnt 0x1
	v_cmp_gt_f32_e32 vcc_lo, 0, v72
	v_cndmask_b32_e64 v82, v72, -v72, vcc_lo
	v_cmp_gt_f32_e32 vcc_lo, 0, v73
	v_cndmask_b32_e64 v84, v73, -v73, vcc_lo
	s_wait_dscnt 0x0
	v_cmp_gt_f32_e32 vcc_lo, 0, v80
	v_cndmask_b32_e64 v83, v80, -v80, vcc_lo
	v_cmp_gt_f32_e32 vcc_lo, 0, v81
	v_cndmask_b32_e64 v85, v81, -v81, vcc_lo
	s_delay_alu instid0(VALU_DEP_1) | instskip(NEXT) | instid1(VALU_DEP_1)
	v_pk_add_f32 v[82:83], v[82:83], v[84:85]
	v_cmp_lt_f32_e32 vcc_lo, v82, v83
	v_dual_add_nc_u32 v71, 8, v71 :: v_dual_cndmask_b32 v73, v73, v81, vcc_lo
	v_cndmask_b32_e32 v72, v72, v80, vcc_lo
	v_cndmask_b32_e64 v70, v70, s0, vcc_lo
	s_add_co_i32 s0, s0, 1
	s_delay_alu instid0(SALU_CYCLE_1)
	s_cmp_lg_u32 s18, s0
	s_cbranch_scc1 .LBB62_253
.LBB62_254:
	s_wait_dscnt 0x0
	v_cmp_eq_f32_e32 vcc_lo, 0, v72
	v_cmp_eq_f32_e64 s0, 0, v73
	s_and_b32 s0, vcc_lo, s0
	s_delay_alu instid0(SALU_CYCLE_1) | instskip(NEXT) | instid1(SALU_CYCLE_1)
	s_and_saveexec_b32 s1, s0
	s_xor_b32 s0, exec_lo, s1
; %bb.255:
	v_cmp_ne_u32_e32 vcc_lo, 0, v76
	v_cndmask_b32_e32 v76, 13, v76, vcc_lo
; %bb.256:
	s_and_not1_saveexec_b32 s0, s0
	s_cbranch_execz .LBB62_262
; %bb.257:
	v_cmp_ngt_f32_e64 s1, |v72|, |v73|
	s_and_saveexec_b32 s12, s1
	s_delay_alu instid0(SALU_CYCLE_1)
	s_xor_b32 s1, exec_lo, s12
	s_cbranch_execz .LBB62_259
; %bb.258:
	v_div_scale_f32 v71, null, v73, v73, v72
	v_div_scale_f32 v81, vcc_lo, v72, v73, v72
	s_delay_alu instid0(VALU_DEP_2) | instskip(SKIP_1) | instid1(TRANS32_DEP_1)
	v_rcp_f32_e32 v79, v71
	v_nop
	v_fma_f32 v80, -v71, v79, 1.0
	s_delay_alu instid0(VALU_DEP_1) | instskip(NEXT) | instid1(VALU_DEP_1)
	v_fmac_f32_e32 v79, v80, v79
	v_mul_f32_e32 v80, v81, v79
	s_delay_alu instid0(VALU_DEP_1) | instskip(NEXT) | instid1(VALU_DEP_1)
	v_fma_f32 v82, -v71, v80, v81
	v_fmac_f32_e32 v80, v82, v79
	s_delay_alu instid0(VALU_DEP_1) | instskip(NEXT) | instid1(VALU_DEP_1)
	v_fma_f32 v71, -v71, v80, v81
	v_div_fmas_f32 v71, v71, v79, v80
	s_delay_alu instid0(VALU_DEP_1) | instskip(NEXT) | instid1(VALU_DEP_1)
	v_div_fixup_f32 v71, v71, v73, v72
	v_fmac_f32_e32 v73, v72, v71
	s_delay_alu instid0(VALU_DEP_1) | instskip(SKIP_1) | instid1(VALU_DEP_2)
	v_div_scale_f32 v72, null, v73, v73, 1.0
	v_div_scale_f32 v81, vcc_lo, 1.0, v73, 1.0
	v_rcp_f32_e32 v79, v72
	v_nop
	s_delay_alu instid0(TRANS32_DEP_1) | instskip(NEXT) | instid1(VALU_DEP_1)
	v_fma_f32 v80, -v72, v79, 1.0
	v_fmac_f32_e32 v79, v80, v79
	s_delay_alu instid0(VALU_DEP_1) | instskip(NEXT) | instid1(VALU_DEP_1)
	v_mul_f32_e32 v80, v81, v79
	v_fma_f32 v82, -v72, v80, v81
	s_delay_alu instid0(VALU_DEP_1) | instskip(NEXT) | instid1(VALU_DEP_1)
	v_fmac_f32_e32 v80, v82, v79
	v_fma_f32 v72, -v72, v80, v81
	s_delay_alu instid0(VALU_DEP_1) | instskip(NEXT) | instid1(VALU_DEP_1)
	v_div_fmas_f32 v72, v72, v79, v80
	v_div_fixup_f32 v73, v72, v73, 1.0
	s_delay_alu instid0(VALU_DEP_1)
	v_mul_f32_e32 v72, v71, v73
	v_xor_b32_e32 v73, 0x80000000, v73
.LBB62_259:
	s_and_not1_saveexec_b32 s1, s1
	s_cbranch_execz .LBB62_261
; %bb.260:
	s_delay_alu instid0(VALU_DEP_1) | instskip(SKIP_1) | instid1(VALU_DEP_2)
	v_div_scale_f32 v71, null, v72, v72, v73
	v_div_scale_f32 v81, vcc_lo, v73, v72, v73
	v_rcp_f32_e32 v79, v71
	v_nop
	s_delay_alu instid0(TRANS32_DEP_1) | instskip(NEXT) | instid1(VALU_DEP_1)
	v_fma_f32 v80, -v71, v79, 1.0
	v_fmac_f32_e32 v79, v80, v79
	s_delay_alu instid0(VALU_DEP_1) | instskip(NEXT) | instid1(VALU_DEP_1)
	v_mul_f32_e32 v80, v81, v79
	v_fma_f32 v82, -v71, v80, v81
	s_delay_alu instid0(VALU_DEP_1) | instskip(NEXT) | instid1(VALU_DEP_1)
	v_fmac_f32_e32 v80, v82, v79
	v_fma_f32 v71, -v71, v80, v81
	s_delay_alu instid0(VALU_DEP_1) | instskip(NEXT) | instid1(VALU_DEP_1)
	v_div_fmas_f32 v71, v71, v79, v80
	v_div_fixup_f32 v71, v71, v72, v73
	s_delay_alu instid0(VALU_DEP_1) | instskip(NEXT) | instid1(VALU_DEP_1)
	v_fmac_f32_e32 v72, v73, v71
	v_div_scale_f32 v73, null, v72, v72, 1.0
	s_delay_alu instid0(VALU_DEP_1) | instskip(SKIP_1) | instid1(TRANS32_DEP_1)
	v_rcp_f32_e32 v79, v73
	v_nop
	v_fma_f32 v80, -v73, v79, 1.0
	s_delay_alu instid0(VALU_DEP_1) | instskip(SKIP_1) | instid1(VALU_DEP_1)
	v_fmac_f32_e32 v79, v80, v79
	v_div_scale_f32 v80, vcc_lo, 1.0, v72, 1.0
	v_mul_f32_e32 v81, v80, v79
	s_delay_alu instid0(VALU_DEP_1) | instskip(NEXT) | instid1(VALU_DEP_1)
	v_fma_f32 v82, -v73, v81, v80
	v_fmac_f32_e32 v81, v82, v79
	s_delay_alu instid0(VALU_DEP_1) | instskip(NEXT) | instid1(VALU_DEP_1)
	v_fma_f32 v73, -v73, v81, v80
	v_div_fmas_f32 v73, v73, v79, v81
	s_delay_alu instid0(VALU_DEP_1) | instskip(NEXT) | instid1(VALU_DEP_1)
	v_div_fixup_f32 v72, v73, v72, 1.0
	v_mul_f32_e64 v73, v71, -v72
.LBB62_261:
	s_or_b32 exec_lo, exec_lo, s1
.LBB62_262:
	s_delay_alu instid0(SALU_CYCLE_1) | instskip(NEXT) | instid1(SALU_CYCLE_1)
	s_or_b32 exec_lo, exec_lo, s0
	s_mov_b32 s0, exec_lo
	v_cmpx_ne_u32_e64 v78, v70
	s_xor_b32 s0, exec_lo, s0
	s_cbranch_execz .LBB62_268
; %bb.263:
	s_mov_b32 s1, exec_lo
	v_cmpx_eq_u32_e32 12, v78
	s_cbranch_execz .LBB62_267
; %bb.264:
	v_cmp_ne_u32_e32 vcc_lo, 12, v70
	s_xor_b32 s12, s16, -1
	s_delay_alu instid0(SALU_CYCLE_1) | instskip(NEXT) | instid1(SALU_CYCLE_1)
	s_and_b32 s13, s12, vcc_lo
	s_and_saveexec_b32 s12, s13
	s_cbranch_execz .LBB62_266
; %bb.265:
	v_ashrrev_i32_e32 v71, 31, v70
	s_delay_alu instid0(VALU_DEP_1)
	v_lshl_add_u64 v[78:79], v[70:71], 2, v[4:5]
	s_clause 0x1
	global_load_b32 v71, v[78:79], off
	global_load_b32 v77, v[4:5], off offset:48
	s_wait_loadcnt 0x1
	global_store_b32 v[4:5], v71, off offset:48
	s_wait_loadcnt 0x0
	global_store_b32 v[78:79], v77, off
.LBB62_266:
	s_wait_xcnt 0x0
	s_or_b32 exec_lo, exec_lo, s12
	v_dual_mov_b32 v78, v70 :: v_dual_mov_b32 v77, v70
.LBB62_267:
	s_or_b32 exec_lo, exec_lo, s1
.LBB62_268:
	s_and_not1_saveexec_b32 s0, s0
	s_cbranch_execz .LBB62_270
; %bb.269:
	v_mov_b32_e32 v78, 12
	ds_store_2addr_b64 v74, v[48:49], v[50:51] offset0:13 offset1:14
	ds_store_2addr_b64 v74, v[14:15], v[58:59] offset0:15 offset1:16
	;; [unrolled: 1-line block ×9, first 2 shown]
	ds_store_b64 v74, v[68:69] offset:248
.LBB62_270:
	s_or_b32 exec_lo, exec_lo, s0
	s_delay_alu instid0(SALU_CYCLE_1)
	s_mov_b32 s0, exec_lo
	s_wait_storecnt_dscnt 0x0
	s_barrier_signal -1
	s_barrier_wait -1
	v_cmpx_lt_i32_e32 12, v78
	s_cbranch_execz .LBB62_272
; %bb.271:
	v_pk_mul_f32 v[80:81], v[72:73], v[52:53] op_sel:[1,1] op_sel_hi:[0,1]
	s_delay_alu instid0(VALU_DEP_1)
	v_pk_fma_f32 v[70:71], v[72:73], v[52:53], v[80:81] op_sel_hi:[1,0,1] neg_lo:[0,0,1] neg_hi:[0,0,1]
	v_pk_fma_f32 v[72:73], v[72:73], v[52:53], v[80:81] op_sel_hi:[1,0,1]
	ds_load_2addr_b64 v[80:83], v74 offset0:13 offset1:14
	v_dual_mov_b32 v52, v70 :: v_dual_mov_b32 v53, v73
	s_wait_dscnt 0x0
	v_pk_mul_f32 v[84:85], v[80:81], v[72:73] op_sel:[0,1]
	s_delay_alu instid0(VALU_DEP_1) | instskip(SKIP_1) | instid1(VALU_DEP_1)
	v_pk_fma_f32 v[86:87], v[80:81], v[70:71], v[84:85] op_sel:[0,0,1] op_sel_hi:[1,1,0] neg_lo:[0,0,1] neg_hi:[0,0,1]
	v_pk_fma_f32 v[80:81], v[80:81], v[70:71], v[84:85] op_sel:[0,0,1] op_sel_hi:[1,0,0]
	v_mov_b32_e32 v87, v81
	v_pk_mul_f32 v[80:81], v[82:83], v[72:73] op_sel:[0,1]
	s_delay_alu instid0(VALU_DEP_1) | instskip(SKIP_1) | instid1(VALU_DEP_1)
	v_pk_fma_f32 v[84:85], v[82:83], v[70:71], v[80:81] op_sel:[0,0,1] op_sel_hi:[1,1,0] neg_lo:[0,0,1] neg_hi:[0,0,1]
	v_pk_fma_f32 v[80:81], v[82:83], v[70:71], v[80:81] op_sel:[0,0,1] op_sel_hi:[1,0,0]
	v_mov_b32_e32 v85, v81
	ds_load_2addr_b64 v[80:83], v74 offset0:15 offset1:16
	v_pk_add_f32 v[48:49], v[48:49], v[86:87] neg_lo:[0,1] neg_hi:[0,1]
	v_pk_add_f32 v[50:51], v[50:51], v[84:85] neg_lo:[0,1] neg_hi:[0,1]
	s_wait_dscnt 0x0
	v_pk_mul_f32 v[84:85], v[80:81], v[72:73] op_sel:[0,1]
	s_delay_alu instid0(VALU_DEP_1) | instskip(SKIP_2) | instid1(VALU_DEP_2)
	v_pk_fma_f32 v[86:87], v[80:81], v[70:71], v[84:85] op_sel:[0,0,1] op_sel_hi:[1,1,0] neg_lo:[0,0,1] neg_hi:[0,0,1]
	v_pk_fma_f32 v[80:81], v[80:81], v[70:71], v[84:85] op_sel:[0,0,1] op_sel_hi:[1,0,0]
	v_dual_mul_f32 v84, v83, v73 :: v_dual_mov_b32 v80, v83
	v_dual_mov_b32 v87, v81 :: v_dual_mov_b32 v81, v82
	s_delay_alu instid0(VALU_DEP_2) | instskip(SKIP_1) | instid1(VALU_DEP_3)
	v_pk_fma_f32 v[84:85], v[82:83], v[52:53], v[84:85] op_sel_hi:[1,1,0] neg_lo:[0,0,1] neg_hi:[0,0,1]
	v_mul_f32_e32 v82, v83, v70
	v_pk_add_f32 v[14:15], v[14:15], v[86:87] neg_lo:[0,1] neg_hi:[0,1]
	s_delay_alu instid0(VALU_DEP_2) | instskip(NEXT) | instid1(VALU_DEP_1)
	v_pk_fma_f32 v[80:81], v[80:81], v[52:53], v[82:83] op_sel_hi:[1,1,0]
	v_mov_b32_e32 v85, v81
	ds_load_2addr_b64 v[80:83], v74 offset0:17 offset1:18
	v_pk_add_f32 v[58:59], v[58:59], v[84:85] neg_lo:[0,1] neg_hi:[0,1]
	s_wait_dscnt 0x0
	v_pk_mul_f32 v[84:85], v[80:81], v[72:73] op_sel:[0,1]
	s_delay_alu instid0(VALU_DEP_1) | instskip(SKIP_1) | instid1(VALU_DEP_1)
	v_pk_fma_f32 v[86:87], v[80:81], v[70:71], v[84:85] op_sel:[0,0,1] op_sel_hi:[1,1,0] neg_lo:[0,0,1] neg_hi:[0,0,1]
	v_pk_fma_f32 v[80:81], v[80:81], v[70:71], v[84:85] op_sel:[0,0,1] op_sel_hi:[1,0,0]
	v_mov_b32_e32 v87, v81
	v_pk_mul_f32 v[80:81], v[82:83], v[72:73] op_sel:[0,1]
	s_delay_alu instid0(VALU_DEP_1) | instskip(SKIP_1) | instid1(VALU_DEP_1)
	v_pk_fma_f32 v[84:85], v[82:83], v[70:71], v[80:81] op_sel:[0,0,1] op_sel_hi:[1,1,0] neg_lo:[0,0,1] neg_hi:[0,0,1]
	v_pk_fma_f32 v[80:81], v[82:83], v[70:71], v[80:81] op_sel:[0,0,1] op_sel_hi:[1,0,0]
	v_mov_b32_e32 v85, v81
	ds_load_2addr_b64 v[80:83], v74 offset0:19 offset1:20
	v_pk_add_f32 v[54:55], v[54:55], v[86:87] neg_lo:[0,1] neg_hi:[0,1]
	v_pk_add_f32 v[56:57], v[56:57], v[84:85] neg_lo:[0,1] neg_hi:[0,1]
	s_wait_dscnt 0x0
	v_pk_mul_f32 v[84:85], v[80:81], v[72:73] op_sel:[0,1]
	s_delay_alu instid0(VALU_DEP_1) | instskip(SKIP_1) | instid1(VALU_DEP_1)
	v_pk_fma_f32 v[86:87], v[80:81], v[70:71], v[84:85] op_sel:[0,0,1] op_sel_hi:[1,1,0] neg_lo:[0,0,1] neg_hi:[0,0,1]
	v_pk_fma_f32 v[80:81], v[80:81], v[70:71], v[84:85] op_sel:[0,0,1] op_sel_hi:[1,0,0]
	v_mov_b32_e32 v87, v81
	v_pk_mul_f32 v[80:81], v[82:83], v[72:73] op_sel:[0,1]
	s_delay_alu instid0(VALU_DEP_1) | instskip(SKIP_1) | instid1(VALU_DEP_1)
	v_pk_fma_f32 v[84:85], v[82:83], v[70:71], v[80:81] op_sel:[0,0,1] op_sel_hi:[1,1,0] neg_lo:[0,0,1] neg_hi:[0,0,1]
	v_pk_fma_f32 v[80:81], v[82:83], v[70:71], v[80:81] op_sel:[0,0,1] op_sel_hi:[1,0,0]
	v_mov_b32_e32 v85, v81
	ds_load_2addr_b64 v[80:83], v74 offset0:21 offset1:22
	v_pk_add_f32 v[16:17], v[16:17], v[86:87] neg_lo:[0,1] neg_hi:[0,1]
	v_pk_add_f32 v[46:47], v[46:47], v[84:85] neg_lo:[0,1] neg_hi:[0,1]
	s_wait_dscnt 0x0
	v_dual_mul_f32 v84, v81, v73 :: v_dual_mul_f32 v86, v81, v70
	s_delay_alu instid0(VALU_DEP_1) | instskip(NEXT) | instid1(VALU_DEP_2)
	v_pk_fma_f32 v[84:85], v[80:81], v[52:53], v[84:85] op_sel_hi:[1,1,0] neg_lo:[0,0,1] neg_hi:[0,0,1]
	v_pk_fma_f32 v[80:81], v[80:81], v[52:53], v[86:87] op_sel:[1,0,0] op_sel_hi:[0,1,0]
	s_delay_alu instid0(VALU_DEP_1) | instskip(SKIP_1) | instid1(VALU_DEP_2)
	v_mov_b32_e32 v85, v81
	v_pk_mul_f32 v[80:81], v[82:83], v[72:73] op_sel:[0,1]
	v_pk_add_f32 v[42:43], v[42:43], v[84:85] neg_lo:[0,1] neg_hi:[0,1]
	s_delay_alu instid0(VALU_DEP_2) | instskip(SKIP_1) | instid1(VALU_DEP_1)
	v_pk_fma_f32 v[84:85], v[82:83], v[70:71], v[80:81] op_sel:[0,0,1] op_sel_hi:[1,1,0] neg_lo:[0,0,1] neg_hi:[0,0,1]
	v_pk_fma_f32 v[80:81], v[82:83], v[70:71], v[80:81] op_sel:[0,0,1] op_sel_hi:[1,0,0]
	v_mov_b32_e32 v85, v81
	ds_load_2addr_b64 v[80:83], v74 offset0:23 offset1:24
	v_pk_add_f32 v[44:45], v[44:45], v[84:85] neg_lo:[0,1] neg_hi:[0,1]
	s_wait_dscnt 0x0
	v_pk_mul_f32 v[84:85], v[80:81], v[72:73] op_sel:[0,1]
	s_delay_alu instid0(VALU_DEP_1) | instskip(SKIP_1) | instid1(VALU_DEP_1)
	v_pk_fma_f32 v[86:87], v[80:81], v[70:71], v[84:85] op_sel:[0,0,1] op_sel_hi:[1,1,0] neg_lo:[0,0,1] neg_hi:[0,0,1]
	v_pk_fma_f32 v[80:81], v[80:81], v[70:71], v[84:85] op_sel:[0,0,1] op_sel_hi:[1,0,0]
	v_mov_b32_e32 v87, v81
	v_pk_mul_f32 v[80:81], v[82:83], v[72:73] op_sel:[0,1]
	s_delay_alu instid0(VALU_DEP_2) | instskip(NEXT) | instid1(VALU_DEP_2)
	v_pk_add_f32 v[10:11], v[10:11], v[86:87] neg_lo:[0,1] neg_hi:[0,1]
	v_pk_fma_f32 v[84:85], v[82:83], v[70:71], v[80:81] op_sel:[0,0,1] op_sel_hi:[1,1,0] neg_lo:[0,0,1] neg_hi:[0,0,1]
	v_pk_fma_f32 v[80:81], v[82:83], v[70:71], v[80:81] op_sel:[0,0,1] op_sel_hi:[1,0,0]
	s_delay_alu instid0(VALU_DEP_1) | instskip(SKIP_4) | instid1(VALU_DEP_1)
	v_mov_b32_e32 v85, v81
	ds_load_2addr_b64 v[80:83], v74 offset0:25 offset1:26
	v_pk_add_f32 v[28:29], v[28:29], v[84:85] neg_lo:[0,1] neg_hi:[0,1]
	s_wait_dscnt 0x0
	v_pk_mul_f32 v[84:85], v[80:81], v[72:73] op_sel:[0,1]
	v_pk_fma_f32 v[86:87], v[80:81], v[70:71], v[84:85] op_sel:[0,0,1] op_sel_hi:[1,1,0] neg_lo:[0,0,1] neg_hi:[0,0,1]
	v_pk_fma_f32 v[80:81], v[80:81], v[70:71], v[84:85] op_sel:[0,0,1] op_sel_hi:[1,0,0]
	v_dual_mul_f32 v84, v83, v73 :: v_dual_mov_b32 v80, v83
	s_delay_alu instid0(VALU_DEP_2) | instskip(NEXT) | instid1(VALU_DEP_2)
	v_dual_mov_b32 v87, v81 :: v_dual_mov_b32 v81, v82
	v_pk_fma_f32 v[84:85], v[82:83], v[52:53], v[84:85] op_sel_hi:[1,1,0] neg_lo:[0,0,1] neg_hi:[0,0,1]
	v_mul_f32_e32 v82, v83, v70
	s_delay_alu instid0(VALU_DEP_3) | instskip(NEXT) | instid1(VALU_DEP_2)
	v_pk_add_f32 v[24:25], v[24:25], v[86:87] neg_lo:[0,1] neg_hi:[0,1]
	v_pk_fma_f32 v[80:81], v[80:81], v[52:53], v[82:83] op_sel_hi:[1,1,0]
	s_delay_alu instid0(VALU_DEP_1) | instskip(SKIP_4) | instid1(VALU_DEP_1)
	v_mov_b32_e32 v85, v81
	ds_load_2addr_b64 v[80:83], v74 offset0:27 offset1:28
	v_pk_add_f32 v[26:27], v[26:27], v[84:85] neg_lo:[0,1] neg_hi:[0,1]
	s_wait_dscnt 0x0
	v_pk_mul_f32 v[84:85], v[80:81], v[72:73] op_sel:[0,1]
	v_pk_fma_f32 v[86:87], v[80:81], v[70:71], v[84:85] op_sel:[0,0,1] op_sel_hi:[1,1,0] neg_lo:[0,0,1] neg_hi:[0,0,1]
	v_pk_fma_f32 v[80:81], v[80:81], v[70:71], v[84:85] op_sel:[0,0,1] op_sel_hi:[1,0,0]
	s_delay_alu instid0(VALU_DEP_1) | instskip(SKIP_1) | instid1(VALU_DEP_1)
	v_mov_b32_e32 v87, v81
	v_pk_mul_f32 v[80:81], v[82:83], v[72:73] op_sel:[0,1]
	v_pk_fma_f32 v[84:85], v[82:83], v[70:71], v[80:81] op_sel:[0,0,1] op_sel_hi:[1,1,0] neg_lo:[0,0,1] neg_hi:[0,0,1]
	v_pk_fma_f32 v[80:81], v[82:83], v[70:71], v[80:81] op_sel:[0,0,1] op_sel_hi:[1,0,0]
	s_delay_alu instid0(VALU_DEP_1)
	v_mov_b32_e32 v85, v81
	ds_load_2addr_b64 v[80:83], v74 offset0:29 offset1:30
	v_pk_add_f32 v[12:13], v[12:13], v[86:87] neg_lo:[0,1] neg_hi:[0,1]
	v_pk_add_f32 v[22:23], v[22:23], v[84:85] neg_lo:[0,1] neg_hi:[0,1]
	s_wait_dscnt 0x0
	v_pk_mul_f32 v[84:85], v[80:81], v[72:73] op_sel:[0,1]
	s_delay_alu instid0(VALU_DEP_1) | instskip(SKIP_1) | instid1(VALU_DEP_1)
	v_pk_fma_f32 v[86:87], v[80:81], v[70:71], v[84:85] op_sel:[0,0,1] op_sel_hi:[1,1,0] neg_lo:[0,0,1] neg_hi:[0,0,1]
	v_pk_fma_f32 v[80:81], v[80:81], v[70:71], v[84:85] op_sel:[0,0,1] op_sel_hi:[1,0,0]
	v_mov_b32_e32 v87, v81
	v_pk_mul_f32 v[80:81], v[82:83], v[72:73] op_sel:[0,1]
	s_delay_alu instid0(VALU_DEP_1) | instskip(SKIP_1) | instid1(VALU_DEP_1)
	v_pk_fma_f32 v[84:85], v[82:83], v[70:71], v[80:81] op_sel:[0,0,1] op_sel_hi:[1,1,0] neg_lo:[0,0,1] neg_hi:[0,0,1]
	v_pk_fma_f32 v[80:81], v[82:83], v[70:71], v[80:81] op_sel:[0,0,1] op_sel_hi:[1,0,0]
	v_mov_b32_e32 v85, v81
	ds_load_b64 v[80:81], v74 offset:248
	v_pk_add_f32 v[20:21], v[20:21], v[86:87] neg_lo:[0,1] neg_hi:[0,1]
	v_pk_add_f32 v[18:19], v[18:19], v[84:85] neg_lo:[0,1] neg_hi:[0,1]
	s_wait_dscnt 0x0
	v_pk_mul_f32 v[72:73], v[80:81], v[72:73] op_sel:[0,1]
	s_delay_alu instid0(VALU_DEP_1) | instskip(SKIP_1) | instid1(VALU_DEP_1)
	v_pk_fma_f32 v[82:83], v[80:81], v[70:71], v[72:73] op_sel:[0,0,1] op_sel_hi:[1,1,0] neg_lo:[0,0,1] neg_hi:[0,0,1]
	v_pk_fma_f32 v[70:71], v[80:81], v[70:71], v[72:73] op_sel:[0,0,1] op_sel_hi:[1,0,0]
	v_mov_b32_e32 v83, v71
	s_delay_alu instid0(VALU_DEP_1)
	v_pk_add_f32 v[68:69], v[68:69], v[82:83] neg_lo:[0,1] neg_hi:[0,1]
.LBB62_272:
	s_or_b32 exec_lo, exec_lo, s0
	v_lshl_add_u32 v70, v78, 3, v74
	s_barrier_signal -1
	s_barrier_wait -1
	ds_store_b64 v70, v[48:49]
	s_wait_dscnt 0x0
	s_barrier_signal -1
	s_barrier_wait -1
	ds_load_b64 v[70:71], v74 offset:104
	v_mov_b32_e32 v72, 13
	s_cmp_lt_i32 s18, 15
	s_cbranch_scc1 .LBB62_275
; %bb.273:
	v_add3_u32 v73, v75, 0, 0x70
	v_mov_b32_e32 v72, 13
	s_mov_b32 s0, 14
.LBB62_274:                             ; =>This Inner Loop Header: Depth=1
	ds_load_b64 v[80:81], v73
	s_wait_dscnt 0x1
	v_cmp_gt_f32_e32 vcc_lo, 0, v70
	v_cndmask_b32_e64 v82, v70, -v70, vcc_lo
	v_cmp_gt_f32_e32 vcc_lo, 0, v71
	v_cndmask_b32_e64 v84, v71, -v71, vcc_lo
	s_wait_dscnt 0x0
	v_cmp_gt_f32_e32 vcc_lo, 0, v80
	v_cndmask_b32_e64 v83, v80, -v80, vcc_lo
	v_cmp_gt_f32_e32 vcc_lo, 0, v81
	v_cndmask_b32_e64 v85, v81, -v81, vcc_lo
	s_delay_alu instid0(VALU_DEP_1) | instskip(NEXT) | instid1(VALU_DEP_1)
	v_pk_add_f32 v[82:83], v[82:83], v[84:85]
	v_cmp_lt_f32_e32 vcc_lo, v82, v83
	v_dual_cndmask_b32 v70, v70, v80 :: v_dual_add_nc_u32 v73, 8, v73
	v_cndmask_b32_e32 v71, v71, v81, vcc_lo
	v_cndmask_b32_e64 v72, v72, s0, vcc_lo
	s_add_co_i32 s0, s0, 1
	s_delay_alu instid0(SALU_CYCLE_1)
	s_cmp_lg_u32 s18, s0
	s_cbranch_scc1 .LBB62_274
.LBB62_275:
	s_wait_dscnt 0x0
	v_cmp_eq_f32_e32 vcc_lo, 0, v70
	v_cmp_eq_f32_e64 s0, 0, v71
	s_and_b32 s0, vcc_lo, s0
	s_delay_alu instid0(SALU_CYCLE_1) | instskip(NEXT) | instid1(SALU_CYCLE_1)
	s_and_saveexec_b32 s1, s0
	s_xor_b32 s0, exec_lo, s1
; %bb.276:
	v_cmp_ne_u32_e32 vcc_lo, 0, v76
	v_cndmask_b32_e32 v76, 14, v76, vcc_lo
; %bb.277:
	s_and_not1_saveexec_b32 s0, s0
	s_cbranch_execz .LBB62_283
; %bb.278:
	v_cmp_ngt_f32_e64 s1, |v70|, |v71|
	s_and_saveexec_b32 s12, s1
	s_delay_alu instid0(SALU_CYCLE_1)
	s_xor_b32 s1, exec_lo, s12
	s_cbranch_execz .LBB62_280
; %bb.279:
	v_div_scale_f32 v73, null, v71, v71, v70
	v_div_scale_f32 v81, vcc_lo, v70, v71, v70
	s_delay_alu instid0(VALU_DEP_2) | instskip(SKIP_1) | instid1(TRANS32_DEP_1)
	v_rcp_f32_e32 v79, v73
	v_nop
	v_fma_f32 v80, -v73, v79, 1.0
	s_delay_alu instid0(VALU_DEP_1) | instskip(NEXT) | instid1(VALU_DEP_1)
	v_fmac_f32_e32 v79, v80, v79
	v_mul_f32_e32 v80, v81, v79
	s_delay_alu instid0(VALU_DEP_1) | instskip(NEXT) | instid1(VALU_DEP_1)
	v_fma_f32 v82, -v73, v80, v81
	v_fmac_f32_e32 v80, v82, v79
	s_delay_alu instid0(VALU_DEP_1) | instskip(NEXT) | instid1(VALU_DEP_1)
	v_fma_f32 v73, -v73, v80, v81
	v_div_fmas_f32 v73, v73, v79, v80
	s_delay_alu instid0(VALU_DEP_1) | instskip(NEXT) | instid1(VALU_DEP_1)
	v_div_fixup_f32 v73, v73, v71, v70
	v_fmac_f32_e32 v71, v70, v73
	s_delay_alu instid0(VALU_DEP_1) | instskip(SKIP_1) | instid1(VALU_DEP_2)
	v_div_scale_f32 v70, null, v71, v71, 1.0
	v_div_scale_f32 v81, vcc_lo, 1.0, v71, 1.0
	v_rcp_f32_e32 v79, v70
	v_nop
	s_delay_alu instid0(TRANS32_DEP_1) | instskip(NEXT) | instid1(VALU_DEP_1)
	v_fma_f32 v80, -v70, v79, 1.0
	v_fmac_f32_e32 v79, v80, v79
	s_delay_alu instid0(VALU_DEP_1) | instskip(NEXT) | instid1(VALU_DEP_1)
	v_mul_f32_e32 v80, v81, v79
	v_fma_f32 v82, -v70, v80, v81
	s_delay_alu instid0(VALU_DEP_1) | instskip(NEXT) | instid1(VALU_DEP_1)
	v_fmac_f32_e32 v80, v82, v79
	v_fma_f32 v70, -v70, v80, v81
	s_delay_alu instid0(VALU_DEP_1) | instskip(NEXT) | instid1(VALU_DEP_1)
	v_div_fmas_f32 v70, v70, v79, v80
	v_div_fixup_f32 v71, v70, v71, 1.0
	s_delay_alu instid0(VALU_DEP_1)
	v_mul_f32_e32 v70, v73, v71
	v_xor_b32_e32 v71, 0x80000000, v71
.LBB62_280:
	s_and_not1_saveexec_b32 s1, s1
	s_cbranch_execz .LBB62_282
; %bb.281:
	s_delay_alu instid0(VALU_DEP_1) | instskip(SKIP_1) | instid1(VALU_DEP_2)
	v_div_scale_f32 v73, null, v70, v70, v71
	v_div_scale_f32 v81, vcc_lo, v71, v70, v71
	v_rcp_f32_e32 v79, v73
	v_nop
	s_delay_alu instid0(TRANS32_DEP_1) | instskip(NEXT) | instid1(VALU_DEP_1)
	v_fma_f32 v80, -v73, v79, 1.0
	v_fmac_f32_e32 v79, v80, v79
	s_delay_alu instid0(VALU_DEP_1) | instskip(NEXT) | instid1(VALU_DEP_1)
	v_mul_f32_e32 v80, v81, v79
	v_fma_f32 v82, -v73, v80, v81
	s_delay_alu instid0(VALU_DEP_1) | instskip(NEXT) | instid1(VALU_DEP_1)
	v_fmac_f32_e32 v80, v82, v79
	v_fma_f32 v73, -v73, v80, v81
	s_delay_alu instid0(VALU_DEP_1) | instskip(NEXT) | instid1(VALU_DEP_1)
	v_div_fmas_f32 v73, v73, v79, v80
	v_div_fixup_f32 v73, v73, v70, v71
	s_delay_alu instid0(VALU_DEP_1) | instskip(NEXT) | instid1(VALU_DEP_1)
	v_fmac_f32_e32 v70, v71, v73
	v_div_scale_f32 v71, null, v70, v70, 1.0
	s_delay_alu instid0(VALU_DEP_1) | instskip(SKIP_1) | instid1(TRANS32_DEP_1)
	v_rcp_f32_e32 v79, v71
	v_nop
	v_fma_f32 v80, -v71, v79, 1.0
	s_delay_alu instid0(VALU_DEP_1) | instskip(SKIP_1) | instid1(VALU_DEP_1)
	v_fmac_f32_e32 v79, v80, v79
	v_div_scale_f32 v80, vcc_lo, 1.0, v70, 1.0
	v_mul_f32_e32 v81, v80, v79
	s_delay_alu instid0(VALU_DEP_1) | instskip(NEXT) | instid1(VALU_DEP_1)
	v_fma_f32 v82, -v71, v81, v80
	v_fmac_f32_e32 v81, v82, v79
	s_delay_alu instid0(VALU_DEP_1) | instskip(NEXT) | instid1(VALU_DEP_1)
	v_fma_f32 v71, -v71, v81, v80
	v_div_fmas_f32 v71, v71, v79, v81
	s_delay_alu instid0(VALU_DEP_1) | instskip(NEXT) | instid1(VALU_DEP_1)
	v_div_fixup_f32 v70, v71, v70, 1.0
	v_mul_f32_e64 v71, v73, -v70
.LBB62_282:
	s_or_b32 exec_lo, exec_lo, s1
.LBB62_283:
	s_delay_alu instid0(SALU_CYCLE_1) | instskip(NEXT) | instid1(SALU_CYCLE_1)
	s_or_b32 exec_lo, exec_lo, s0
	s_mov_b32 s0, exec_lo
	v_cmpx_ne_u32_e64 v78, v72
	s_xor_b32 s0, exec_lo, s0
	s_cbranch_execz .LBB62_289
; %bb.284:
	s_mov_b32 s1, exec_lo
	v_cmpx_eq_u32_e32 13, v78
	s_cbranch_execz .LBB62_288
; %bb.285:
	v_cmp_ne_u32_e32 vcc_lo, 13, v72
	s_xor_b32 s12, s16, -1
	s_delay_alu instid0(SALU_CYCLE_1) | instskip(NEXT) | instid1(SALU_CYCLE_1)
	s_and_b32 s13, s12, vcc_lo
	s_and_saveexec_b32 s12, s13
	s_cbranch_execz .LBB62_287
; %bb.286:
	v_ashrrev_i32_e32 v73, 31, v72
	s_delay_alu instid0(VALU_DEP_1)
	v_lshl_add_u64 v[78:79], v[72:73], 2, v[4:5]
	s_clause 0x1
	global_load_b32 v73, v[78:79], off
	global_load_b32 v77, v[4:5], off offset:52
	s_wait_loadcnt 0x1
	global_store_b32 v[4:5], v73, off offset:52
	s_wait_loadcnt 0x0
	global_store_b32 v[78:79], v77, off
.LBB62_287:
	s_wait_xcnt 0x0
	s_or_b32 exec_lo, exec_lo, s12
	v_dual_mov_b32 v78, v72 :: v_dual_mov_b32 v77, v72
.LBB62_288:
	s_or_b32 exec_lo, exec_lo, s1
.LBB62_289:
	s_and_not1_saveexec_b32 s0, s0
	s_cbranch_execz .LBB62_291
; %bb.290:
	v_dual_mov_b32 v72, v50 :: v_dual_mov_b32 v73, v51
	v_dual_mov_b32 v78, v14 :: v_dual_mov_b32 v79, v15
	;; [unrolled: 1-line block ×8, first 2 shown]
	ds_store_2addr_b64 v74, v[72:73], v[78:79] offset0:14 offset1:15
	ds_store_2addr_b64 v74, v[80:81], v[82:83] offset0:16 offset1:17
	;; [unrolled: 1-line block ×4, first 2 shown]
	v_dual_mov_b32 v72, v44 :: v_dual_mov_b32 v73, v45
	v_dual_mov_b32 v80, v10 :: v_dual_mov_b32 v81, v11
	;; [unrolled: 1-line block ×9, first 2 shown]
	v_mov_b32_e32 v95, v19
	ds_store_2addr_b64 v74, v[72:73], v[80:81] offset0:22 offset1:23
	ds_store_2addr_b64 v74, v[82:83], v[84:85] offset0:24 offset1:25
	;; [unrolled: 1-line block ×5, first 2 shown]
.LBB62_291:
	s_or_b32 exec_lo, exec_lo, s0
	s_delay_alu instid0(SALU_CYCLE_1)
	s_mov_b32 s0, exec_lo
	s_wait_storecnt_dscnt 0x0
	s_barrier_signal -1
	s_barrier_wait -1
	v_cmpx_lt_i32_e32 13, v78
	s_cbranch_execz .LBB62_293
; %bb.292:
	v_pk_mul_f32 v[80:81], v[70:71], v[48:49] op_sel:[1,1] op_sel_hi:[0,1]
	s_delay_alu instid0(VALU_DEP_1)
	v_pk_fma_f32 v[72:73], v[70:71], v[48:49], v[80:81] op_sel_hi:[1,0,1] neg_lo:[0,0,1] neg_hi:[0,0,1]
	v_pk_fma_f32 v[70:71], v[70:71], v[48:49], v[80:81] op_sel_hi:[1,0,1]
	ds_load_2addr_b64 v[80:83], v74 offset0:14 offset1:15
	v_dual_mov_b32 v48, v72 :: v_dual_mov_b32 v49, v71
	s_wait_dscnt 0x0
	v_pk_mul_f32 v[84:85], v[80:81], v[70:71] op_sel:[0,1]
	s_delay_alu instid0(VALU_DEP_1) | instskip(SKIP_1) | instid1(VALU_DEP_1)
	v_pk_fma_f32 v[86:87], v[80:81], v[72:73], v[84:85] op_sel:[0,0,1] op_sel_hi:[1,1,0] neg_lo:[0,0,1] neg_hi:[0,0,1]
	v_pk_fma_f32 v[80:81], v[80:81], v[72:73], v[84:85] op_sel:[0,0,1] op_sel_hi:[1,0,0]
	v_mov_b32_e32 v87, v81
	v_pk_mul_f32 v[80:81], v[82:83], v[70:71] op_sel:[0,1]
	s_delay_alu instid0(VALU_DEP_1) | instskip(SKIP_1) | instid1(VALU_DEP_1)
	v_pk_fma_f32 v[84:85], v[82:83], v[72:73], v[80:81] op_sel:[0,0,1] op_sel_hi:[1,1,0] neg_lo:[0,0,1] neg_hi:[0,0,1]
	v_pk_fma_f32 v[80:81], v[82:83], v[72:73], v[80:81] op_sel:[0,0,1] op_sel_hi:[1,0,0]
	v_mov_b32_e32 v85, v81
	ds_load_2addr_b64 v[80:83], v74 offset0:16 offset1:17
	v_pk_add_f32 v[50:51], v[50:51], v[86:87] neg_lo:[0,1] neg_hi:[0,1]
	v_pk_add_f32 v[14:15], v[14:15], v[84:85] neg_lo:[0,1] neg_hi:[0,1]
	s_wait_dscnt 0x0
	v_pk_mul_f32 v[84:85], v[80:81], v[70:71] op_sel:[0,1]
	s_delay_alu instid0(VALU_DEP_1) | instskip(SKIP_2) | instid1(VALU_DEP_2)
	v_pk_fma_f32 v[86:87], v[80:81], v[72:73], v[84:85] op_sel:[0,0,1] op_sel_hi:[1,1,0] neg_lo:[0,0,1] neg_hi:[0,0,1]
	v_pk_fma_f32 v[80:81], v[80:81], v[72:73], v[84:85] op_sel:[0,0,1] op_sel_hi:[1,0,0]
	v_dual_mul_f32 v84, v83, v71 :: v_dual_mov_b32 v80, v83
	v_dual_mov_b32 v87, v81 :: v_dual_mov_b32 v81, v82
	s_delay_alu instid0(VALU_DEP_2) | instskip(SKIP_1) | instid1(VALU_DEP_3)
	v_pk_fma_f32 v[84:85], v[82:83], v[48:49], v[84:85] op_sel_hi:[1,1,0] neg_lo:[0,0,1] neg_hi:[0,0,1]
	v_mul_f32_e32 v82, v83, v72
	v_pk_add_f32 v[58:59], v[58:59], v[86:87] neg_lo:[0,1] neg_hi:[0,1]
	s_delay_alu instid0(VALU_DEP_2) | instskip(NEXT) | instid1(VALU_DEP_1)
	v_pk_fma_f32 v[80:81], v[80:81], v[48:49], v[82:83] op_sel_hi:[1,1,0]
	v_mov_b32_e32 v85, v81
	ds_load_2addr_b64 v[80:83], v74 offset0:18 offset1:19
	v_pk_add_f32 v[54:55], v[54:55], v[84:85] neg_lo:[0,1] neg_hi:[0,1]
	s_wait_dscnt 0x0
	v_pk_mul_f32 v[84:85], v[80:81], v[70:71] op_sel:[0,1]
	s_delay_alu instid0(VALU_DEP_1) | instskip(SKIP_1) | instid1(VALU_DEP_1)
	v_pk_fma_f32 v[86:87], v[80:81], v[72:73], v[84:85] op_sel:[0,0,1] op_sel_hi:[1,1,0] neg_lo:[0,0,1] neg_hi:[0,0,1]
	v_pk_fma_f32 v[80:81], v[80:81], v[72:73], v[84:85] op_sel:[0,0,1] op_sel_hi:[1,0,0]
	v_mov_b32_e32 v87, v81
	v_pk_mul_f32 v[80:81], v[82:83], v[70:71] op_sel:[0,1]
	s_delay_alu instid0(VALU_DEP_1) | instskip(SKIP_1) | instid1(VALU_DEP_1)
	v_pk_fma_f32 v[84:85], v[82:83], v[72:73], v[80:81] op_sel:[0,0,1] op_sel_hi:[1,1,0] neg_lo:[0,0,1] neg_hi:[0,0,1]
	v_pk_fma_f32 v[80:81], v[82:83], v[72:73], v[80:81] op_sel:[0,0,1] op_sel_hi:[1,0,0]
	v_mov_b32_e32 v85, v81
	ds_load_2addr_b64 v[80:83], v74 offset0:20 offset1:21
	v_pk_add_f32 v[56:57], v[56:57], v[86:87] neg_lo:[0,1] neg_hi:[0,1]
	v_pk_add_f32 v[16:17], v[16:17], v[84:85] neg_lo:[0,1] neg_hi:[0,1]
	s_wait_dscnt 0x0
	v_pk_mul_f32 v[84:85], v[80:81], v[70:71] op_sel:[0,1]
	s_delay_alu instid0(VALU_DEP_1) | instskip(SKIP_1) | instid1(VALU_DEP_1)
	v_pk_fma_f32 v[86:87], v[80:81], v[72:73], v[84:85] op_sel:[0,0,1] op_sel_hi:[1,1,0] neg_lo:[0,0,1] neg_hi:[0,0,1]
	v_pk_fma_f32 v[80:81], v[80:81], v[72:73], v[84:85] op_sel:[0,0,1] op_sel_hi:[1,0,0]
	v_mov_b32_e32 v87, v81
	v_pk_mul_f32 v[80:81], v[82:83], v[70:71] op_sel:[0,1]
	s_delay_alu instid0(VALU_DEP_1) | instskip(SKIP_1) | instid1(VALU_DEP_1)
	v_pk_fma_f32 v[84:85], v[82:83], v[72:73], v[80:81] op_sel:[0,0,1] op_sel_hi:[1,1,0] neg_lo:[0,0,1] neg_hi:[0,0,1]
	v_pk_fma_f32 v[80:81], v[82:83], v[72:73], v[80:81] op_sel:[0,0,1] op_sel_hi:[1,0,0]
	v_mov_b32_e32 v85, v81
	ds_load_2addr_b64 v[80:83], v74 offset0:22 offset1:23
	v_pk_add_f32 v[46:47], v[46:47], v[86:87] neg_lo:[0,1] neg_hi:[0,1]
	v_pk_add_f32 v[42:43], v[42:43], v[84:85] neg_lo:[0,1] neg_hi:[0,1]
	s_wait_dscnt 0x0
	v_dual_mul_f32 v84, v81, v71 :: v_dual_mul_f32 v86, v81, v72
	s_delay_alu instid0(VALU_DEP_1) | instskip(NEXT) | instid1(VALU_DEP_2)
	v_pk_fma_f32 v[84:85], v[80:81], v[48:49], v[84:85] op_sel_hi:[1,1,0] neg_lo:[0,0,1] neg_hi:[0,0,1]
	v_pk_fma_f32 v[80:81], v[80:81], v[48:49], v[86:87] op_sel:[1,0,0] op_sel_hi:[0,1,0]
	s_delay_alu instid0(VALU_DEP_1) | instskip(SKIP_1) | instid1(VALU_DEP_2)
	v_mov_b32_e32 v85, v81
	v_pk_mul_f32 v[80:81], v[82:83], v[70:71] op_sel:[0,1]
	v_pk_add_f32 v[44:45], v[44:45], v[84:85] neg_lo:[0,1] neg_hi:[0,1]
	s_delay_alu instid0(VALU_DEP_2) | instskip(SKIP_1) | instid1(VALU_DEP_1)
	v_pk_fma_f32 v[84:85], v[82:83], v[72:73], v[80:81] op_sel:[0,0,1] op_sel_hi:[1,1,0] neg_lo:[0,0,1] neg_hi:[0,0,1]
	v_pk_fma_f32 v[80:81], v[82:83], v[72:73], v[80:81] op_sel:[0,0,1] op_sel_hi:[1,0,0]
	v_mov_b32_e32 v85, v81
	ds_load_2addr_b64 v[80:83], v74 offset0:24 offset1:25
	v_pk_add_f32 v[10:11], v[10:11], v[84:85] neg_lo:[0,1] neg_hi:[0,1]
	s_wait_dscnt 0x0
	v_pk_mul_f32 v[84:85], v[80:81], v[70:71] op_sel:[0,1]
	s_delay_alu instid0(VALU_DEP_1) | instskip(SKIP_1) | instid1(VALU_DEP_1)
	v_pk_fma_f32 v[86:87], v[80:81], v[72:73], v[84:85] op_sel:[0,0,1] op_sel_hi:[1,1,0] neg_lo:[0,0,1] neg_hi:[0,0,1]
	v_pk_fma_f32 v[80:81], v[80:81], v[72:73], v[84:85] op_sel:[0,0,1] op_sel_hi:[1,0,0]
	v_mov_b32_e32 v87, v81
	v_pk_mul_f32 v[80:81], v[82:83], v[70:71] op_sel:[0,1]
	s_delay_alu instid0(VALU_DEP_2) | instskip(NEXT) | instid1(VALU_DEP_2)
	v_pk_add_f32 v[28:29], v[28:29], v[86:87] neg_lo:[0,1] neg_hi:[0,1]
	v_pk_fma_f32 v[84:85], v[82:83], v[72:73], v[80:81] op_sel:[0,0,1] op_sel_hi:[1,1,0] neg_lo:[0,0,1] neg_hi:[0,0,1]
	v_pk_fma_f32 v[80:81], v[82:83], v[72:73], v[80:81] op_sel:[0,0,1] op_sel_hi:[1,0,0]
	s_delay_alu instid0(VALU_DEP_1) | instskip(SKIP_4) | instid1(VALU_DEP_1)
	v_mov_b32_e32 v85, v81
	ds_load_2addr_b64 v[80:83], v74 offset0:26 offset1:27
	v_pk_add_f32 v[24:25], v[24:25], v[84:85] neg_lo:[0,1] neg_hi:[0,1]
	s_wait_dscnt 0x0
	v_pk_mul_f32 v[84:85], v[80:81], v[70:71] op_sel:[0,1]
	v_pk_fma_f32 v[86:87], v[80:81], v[72:73], v[84:85] op_sel:[0,0,1] op_sel_hi:[1,1,0] neg_lo:[0,0,1] neg_hi:[0,0,1]
	v_pk_fma_f32 v[80:81], v[80:81], v[72:73], v[84:85] op_sel:[0,0,1] op_sel_hi:[1,0,0]
	v_dual_mul_f32 v84, v83, v71 :: v_dual_mov_b32 v80, v83
	s_delay_alu instid0(VALU_DEP_2) | instskip(NEXT) | instid1(VALU_DEP_2)
	v_dual_mov_b32 v87, v81 :: v_dual_mov_b32 v81, v82
	v_pk_fma_f32 v[84:85], v[82:83], v[48:49], v[84:85] op_sel_hi:[1,1,0] neg_lo:[0,0,1] neg_hi:[0,0,1]
	v_mul_f32_e32 v82, v83, v72
	s_delay_alu instid0(VALU_DEP_3) | instskip(NEXT) | instid1(VALU_DEP_2)
	v_pk_add_f32 v[26:27], v[26:27], v[86:87] neg_lo:[0,1] neg_hi:[0,1]
	v_pk_fma_f32 v[80:81], v[80:81], v[48:49], v[82:83] op_sel_hi:[1,1,0]
	s_delay_alu instid0(VALU_DEP_1) | instskip(SKIP_4) | instid1(VALU_DEP_1)
	v_mov_b32_e32 v85, v81
	ds_load_2addr_b64 v[80:83], v74 offset0:28 offset1:29
	v_pk_add_f32 v[12:13], v[12:13], v[84:85] neg_lo:[0,1] neg_hi:[0,1]
	s_wait_dscnt 0x0
	v_pk_mul_f32 v[84:85], v[80:81], v[70:71] op_sel:[0,1]
	v_pk_fma_f32 v[86:87], v[80:81], v[72:73], v[84:85] op_sel:[0,0,1] op_sel_hi:[1,1,0] neg_lo:[0,0,1] neg_hi:[0,0,1]
	v_pk_fma_f32 v[80:81], v[80:81], v[72:73], v[84:85] op_sel:[0,0,1] op_sel_hi:[1,0,0]
	s_delay_alu instid0(VALU_DEP_1) | instskip(SKIP_1) | instid1(VALU_DEP_1)
	v_mov_b32_e32 v87, v81
	v_pk_mul_f32 v[80:81], v[82:83], v[70:71] op_sel:[0,1]
	v_pk_fma_f32 v[84:85], v[82:83], v[72:73], v[80:81] op_sel:[0,0,1] op_sel_hi:[1,1,0] neg_lo:[0,0,1] neg_hi:[0,0,1]
	v_pk_fma_f32 v[80:81], v[82:83], v[72:73], v[80:81] op_sel:[0,0,1] op_sel_hi:[1,0,0]
	s_delay_alu instid0(VALU_DEP_1)
	v_mov_b32_e32 v85, v81
	ds_load_2addr_b64 v[80:83], v74 offset0:30 offset1:31
	v_pk_add_f32 v[22:23], v[22:23], v[86:87] neg_lo:[0,1] neg_hi:[0,1]
	v_pk_add_f32 v[20:21], v[20:21], v[84:85] neg_lo:[0,1] neg_hi:[0,1]
	s_wait_dscnt 0x0
	v_pk_mul_f32 v[84:85], v[80:81], v[70:71] op_sel:[0,1]
	v_mul_f32_e32 v70, v83, v71
	s_delay_alu instid0(VALU_DEP_2) | instskip(SKIP_2) | instid1(VALU_DEP_4)
	v_pk_fma_f32 v[86:87], v[80:81], v[72:73], v[84:85] op_sel:[0,0,1] op_sel_hi:[1,1,0] neg_lo:[0,0,1] neg_hi:[0,0,1]
	v_pk_fma_f32 v[80:81], v[80:81], v[72:73], v[84:85] op_sel:[0,0,1] op_sel_hi:[1,0,0]
	v_dual_mov_b32 v80, v83 :: v_dual_mul_f32 v72, v83, v72
	v_pk_fma_f32 v[70:71], v[82:83], v[48:49], v[70:71] op_sel_hi:[1,1,0] neg_lo:[0,0,1] neg_hi:[0,0,1]
	s_delay_alu instid0(VALU_DEP_3) | instskip(NEXT) | instid1(VALU_DEP_1)
	v_dual_mov_b32 v87, v81 :: v_dual_mov_b32 v81, v82
	v_pk_add_f32 v[18:19], v[18:19], v[86:87] neg_lo:[0,1] neg_hi:[0,1]
	s_delay_alu instid0(VALU_DEP_2) | instskip(NEXT) | instid1(VALU_DEP_1)
	v_pk_fma_f32 v[72:73], v[80:81], v[48:49], v[72:73] op_sel_hi:[1,1,0]
	v_mov_b32_e32 v71, v73
	s_delay_alu instid0(VALU_DEP_1)
	v_pk_add_f32 v[68:69], v[68:69], v[70:71] neg_lo:[0,1] neg_hi:[0,1]
.LBB62_293:
	s_or_b32 exec_lo, exec_lo, s0
	v_lshl_add_u32 v70, v78, 3, v74
	s_barrier_signal -1
	s_barrier_wait -1
	ds_store_b64 v70, v[50:51]
	s_wait_dscnt 0x0
	s_barrier_signal -1
	s_barrier_wait -1
	ds_load_b64 v[70:71], v74 offset:112
	v_mov_b32_e32 v72, 14
	s_cmp_lt_i32 s18, 16
	s_cbranch_scc1 .LBB62_296
; %bb.294:
	v_add3_u32 v73, v75, 0, 0x78
	v_mov_b32_e32 v72, 14
	s_mov_b32 s0, 15
.LBB62_295:                             ; =>This Inner Loop Header: Depth=1
	ds_load_b64 v[80:81], v73
	s_wait_dscnt 0x1
	v_cmp_gt_f32_e32 vcc_lo, 0, v70
	v_cndmask_b32_e64 v82, v70, -v70, vcc_lo
	v_cmp_gt_f32_e32 vcc_lo, 0, v71
	v_cndmask_b32_e64 v84, v71, -v71, vcc_lo
	s_wait_dscnt 0x0
	v_cmp_gt_f32_e32 vcc_lo, 0, v80
	v_cndmask_b32_e64 v83, v80, -v80, vcc_lo
	v_cmp_gt_f32_e32 vcc_lo, 0, v81
	v_cndmask_b32_e64 v85, v81, -v81, vcc_lo
	s_delay_alu instid0(VALU_DEP_1) | instskip(NEXT) | instid1(VALU_DEP_1)
	v_pk_add_f32 v[82:83], v[82:83], v[84:85]
	v_cmp_lt_f32_e32 vcc_lo, v82, v83
	v_dual_cndmask_b32 v70, v70, v80 :: v_dual_add_nc_u32 v73, 8, v73
	v_cndmask_b32_e32 v71, v71, v81, vcc_lo
	v_cndmask_b32_e64 v72, v72, s0, vcc_lo
	s_add_co_i32 s0, s0, 1
	s_delay_alu instid0(SALU_CYCLE_1)
	s_cmp_lg_u32 s18, s0
	s_cbranch_scc1 .LBB62_295
.LBB62_296:
	s_wait_dscnt 0x0
	v_cmp_eq_f32_e32 vcc_lo, 0, v70
	v_cmp_eq_f32_e64 s0, 0, v71
	s_and_b32 s0, vcc_lo, s0
	s_delay_alu instid0(SALU_CYCLE_1) | instskip(NEXT) | instid1(SALU_CYCLE_1)
	s_and_saveexec_b32 s1, s0
	s_xor_b32 s0, exec_lo, s1
; %bb.297:
	v_cmp_ne_u32_e32 vcc_lo, 0, v76
	v_cndmask_b32_e32 v76, 15, v76, vcc_lo
; %bb.298:
	s_and_not1_saveexec_b32 s0, s0
	s_cbranch_execz .LBB62_304
; %bb.299:
	v_cmp_ngt_f32_e64 s1, |v70|, |v71|
	s_and_saveexec_b32 s12, s1
	s_delay_alu instid0(SALU_CYCLE_1)
	s_xor_b32 s1, exec_lo, s12
	s_cbranch_execz .LBB62_301
; %bb.300:
	v_div_scale_f32 v73, null, v71, v71, v70
	v_div_scale_f32 v81, vcc_lo, v70, v71, v70
	s_delay_alu instid0(VALU_DEP_2) | instskip(SKIP_1) | instid1(TRANS32_DEP_1)
	v_rcp_f32_e32 v79, v73
	v_nop
	v_fma_f32 v80, -v73, v79, 1.0
	s_delay_alu instid0(VALU_DEP_1) | instskip(NEXT) | instid1(VALU_DEP_1)
	v_fmac_f32_e32 v79, v80, v79
	v_mul_f32_e32 v80, v81, v79
	s_delay_alu instid0(VALU_DEP_1) | instskip(NEXT) | instid1(VALU_DEP_1)
	v_fma_f32 v82, -v73, v80, v81
	v_fmac_f32_e32 v80, v82, v79
	s_delay_alu instid0(VALU_DEP_1) | instskip(NEXT) | instid1(VALU_DEP_1)
	v_fma_f32 v73, -v73, v80, v81
	v_div_fmas_f32 v73, v73, v79, v80
	s_delay_alu instid0(VALU_DEP_1) | instskip(NEXT) | instid1(VALU_DEP_1)
	v_div_fixup_f32 v73, v73, v71, v70
	v_fmac_f32_e32 v71, v70, v73
	s_delay_alu instid0(VALU_DEP_1) | instskip(SKIP_1) | instid1(VALU_DEP_2)
	v_div_scale_f32 v70, null, v71, v71, 1.0
	v_div_scale_f32 v81, vcc_lo, 1.0, v71, 1.0
	v_rcp_f32_e32 v79, v70
	v_nop
	s_delay_alu instid0(TRANS32_DEP_1) | instskip(NEXT) | instid1(VALU_DEP_1)
	v_fma_f32 v80, -v70, v79, 1.0
	v_fmac_f32_e32 v79, v80, v79
	s_delay_alu instid0(VALU_DEP_1) | instskip(NEXT) | instid1(VALU_DEP_1)
	v_mul_f32_e32 v80, v81, v79
	v_fma_f32 v82, -v70, v80, v81
	s_delay_alu instid0(VALU_DEP_1) | instskip(NEXT) | instid1(VALU_DEP_1)
	v_fmac_f32_e32 v80, v82, v79
	v_fma_f32 v70, -v70, v80, v81
	s_delay_alu instid0(VALU_DEP_1) | instskip(NEXT) | instid1(VALU_DEP_1)
	v_div_fmas_f32 v70, v70, v79, v80
	v_div_fixup_f32 v71, v70, v71, 1.0
	s_delay_alu instid0(VALU_DEP_1)
	v_mul_f32_e32 v70, v73, v71
	v_xor_b32_e32 v71, 0x80000000, v71
.LBB62_301:
	s_and_not1_saveexec_b32 s1, s1
	s_cbranch_execz .LBB62_303
; %bb.302:
	s_delay_alu instid0(VALU_DEP_1) | instskip(SKIP_1) | instid1(VALU_DEP_2)
	v_div_scale_f32 v73, null, v70, v70, v71
	v_div_scale_f32 v81, vcc_lo, v71, v70, v71
	v_rcp_f32_e32 v79, v73
	v_nop
	s_delay_alu instid0(TRANS32_DEP_1) | instskip(NEXT) | instid1(VALU_DEP_1)
	v_fma_f32 v80, -v73, v79, 1.0
	v_fmac_f32_e32 v79, v80, v79
	s_delay_alu instid0(VALU_DEP_1) | instskip(NEXT) | instid1(VALU_DEP_1)
	v_mul_f32_e32 v80, v81, v79
	v_fma_f32 v82, -v73, v80, v81
	s_delay_alu instid0(VALU_DEP_1) | instskip(NEXT) | instid1(VALU_DEP_1)
	v_fmac_f32_e32 v80, v82, v79
	v_fma_f32 v73, -v73, v80, v81
	s_delay_alu instid0(VALU_DEP_1) | instskip(NEXT) | instid1(VALU_DEP_1)
	v_div_fmas_f32 v73, v73, v79, v80
	v_div_fixup_f32 v73, v73, v70, v71
	s_delay_alu instid0(VALU_DEP_1) | instskip(NEXT) | instid1(VALU_DEP_1)
	v_fmac_f32_e32 v70, v71, v73
	v_div_scale_f32 v71, null, v70, v70, 1.0
	s_delay_alu instid0(VALU_DEP_1) | instskip(SKIP_1) | instid1(TRANS32_DEP_1)
	v_rcp_f32_e32 v79, v71
	v_nop
	v_fma_f32 v80, -v71, v79, 1.0
	s_delay_alu instid0(VALU_DEP_1) | instskip(SKIP_1) | instid1(VALU_DEP_1)
	v_fmac_f32_e32 v79, v80, v79
	v_div_scale_f32 v80, vcc_lo, 1.0, v70, 1.0
	v_mul_f32_e32 v81, v80, v79
	s_delay_alu instid0(VALU_DEP_1) | instskip(NEXT) | instid1(VALU_DEP_1)
	v_fma_f32 v82, -v71, v81, v80
	v_fmac_f32_e32 v81, v82, v79
	s_delay_alu instid0(VALU_DEP_1) | instskip(NEXT) | instid1(VALU_DEP_1)
	v_fma_f32 v71, -v71, v81, v80
	v_div_fmas_f32 v71, v71, v79, v81
	s_delay_alu instid0(VALU_DEP_1) | instskip(NEXT) | instid1(VALU_DEP_1)
	v_div_fixup_f32 v70, v71, v70, 1.0
	v_mul_f32_e64 v71, v73, -v70
.LBB62_303:
	s_or_b32 exec_lo, exec_lo, s1
.LBB62_304:
	s_delay_alu instid0(SALU_CYCLE_1) | instskip(NEXT) | instid1(SALU_CYCLE_1)
	s_or_b32 exec_lo, exec_lo, s0
	s_mov_b32 s0, exec_lo
	v_cmpx_ne_u32_e64 v78, v72
	s_xor_b32 s0, exec_lo, s0
	s_cbranch_execz .LBB62_310
; %bb.305:
	s_mov_b32 s1, exec_lo
	v_cmpx_eq_u32_e32 14, v78
	s_cbranch_execz .LBB62_309
; %bb.306:
	v_cmp_ne_u32_e32 vcc_lo, 14, v72
	s_xor_b32 s12, s16, -1
	s_delay_alu instid0(SALU_CYCLE_1) | instskip(NEXT) | instid1(SALU_CYCLE_1)
	s_and_b32 s13, s12, vcc_lo
	s_and_saveexec_b32 s12, s13
	s_cbranch_execz .LBB62_308
; %bb.307:
	v_ashrrev_i32_e32 v73, 31, v72
	s_delay_alu instid0(VALU_DEP_1)
	v_lshl_add_u64 v[78:79], v[72:73], 2, v[4:5]
	s_clause 0x1
	global_load_b32 v73, v[78:79], off
	global_load_b32 v77, v[4:5], off offset:56
	s_wait_loadcnt 0x1
	global_store_b32 v[4:5], v73, off offset:56
	s_wait_loadcnt 0x0
	global_store_b32 v[78:79], v77, off
.LBB62_308:
	s_wait_xcnt 0x0
	s_or_b32 exec_lo, exec_lo, s12
	v_dual_mov_b32 v78, v72 :: v_dual_mov_b32 v77, v72
.LBB62_309:
	s_or_b32 exec_lo, exec_lo, s1
.LBB62_310:
	s_and_not1_saveexec_b32 s0, s0
	s_cbranch_execz .LBB62_312
; %bb.311:
	v_mov_b32_e32 v78, 14
	ds_store_2addr_b64 v74, v[14:15], v[58:59] offset0:15 offset1:16
	ds_store_2addr_b64 v74, v[54:55], v[56:57] offset0:17 offset1:18
	ds_store_2addr_b64 v74, v[16:17], v[46:47] offset0:19 offset1:20
	ds_store_2addr_b64 v74, v[42:43], v[44:45] offset0:21 offset1:22
	ds_store_2addr_b64 v74, v[10:11], v[28:29] offset0:23 offset1:24
	ds_store_2addr_b64 v74, v[24:25], v[26:27] offset0:25 offset1:26
	ds_store_2addr_b64 v74, v[12:13], v[22:23] offset0:27 offset1:28
	ds_store_2addr_b64 v74, v[20:21], v[18:19] offset0:29 offset1:30
	ds_store_b64 v74, v[68:69] offset:248
.LBB62_312:
	s_or_b32 exec_lo, exec_lo, s0
	s_delay_alu instid0(SALU_CYCLE_1)
	s_mov_b32 s0, exec_lo
	s_wait_storecnt_dscnt 0x0
	s_barrier_signal -1
	s_barrier_wait -1
	v_cmpx_lt_i32_e32 14, v78
	s_cbranch_execz .LBB62_314
; %bb.313:
	v_pk_mul_f32 v[80:81], v[70:71], v[50:51] op_sel:[1,1] op_sel_hi:[0,1]
	s_delay_alu instid0(VALU_DEP_1)
	v_pk_fma_f32 v[72:73], v[70:71], v[50:51], v[80:81] op_sel_hi:[1,0,1] neg_lo:[0,0,1] neg_hi:[0,0,1]
	v_pk_fma_f32 v[70:71], v[70:71], v[50:51], v[80:81] op_sel_hi:[1,0,1]
	ds_load_2addr_b64 v[80:83], v74 offset0:15 offset1:16
	v_dual_mov_b32 v50, v72 :: v_dual_mov_b32 v51, v71
	s_wait_dscnt 0x0
	v_pk_mul_f32 v[84:85], v[80:81], v[70:71] op_sel:[0,1]
	s_delay_alu instid0(VALU_DEP_1) | instskip(SKIP_1) | instid1(VALU_DEP_1)
	v_pk_fma_f32 v[86:87], v[80:81], v[72:73], v[84:85] op_sel:[0,0,1] op_sel_hi:[1,1,0] neg_lo:[0,0,1] neg_hi:[0,0,1]
	v_pk_fma_f32 v[80:81], v[80:81], v[72:73], v[84:85] op_sel:[0,0,1] op_sel_hi:[1,0,0]
	v_mov_b32_e32 v87, v81
	v_pk_mul_f32 v[80:81], v[82:83], v[70:71] op_sel:[0,1]
	s_delay_alu instid0(VALU_DEP_1) | instskip(SKIP_1) | instid1(VALU_DEP_1)
	v_pk_fma_f32 v[84:85], v[82:83], v[72:73], v[80:81] op_sel:[0,0,1] op_sel_hi:[1,1,0] neg_lo:[0,0,1] neg_hi:[0,0,1]
	v_pk_fma_f32 v[80:81], v[82:83], v[72:73], v[80:81] op_sel:[0,0,1] op_sel_hi:[1,0,0]
	v_mov_b32_e32 v85, v81
	ds_load_2addr_b64 v[80:83], v74 offset0:17 offset1:18
	v_pk_add_f32 v[14:15], v[14:15], v[86:87] neg_lo:[0,1] neg_hi:[0,1]
	v_pk_add_f32 v[58:59], v[58:59], v[84:85] neg_lo:[0,1] neg_hi:[0,1]
	s_wait_dscnt 0x0
	v_pk_mul_f32 v[84:85], v[80:81], v[70:71] op_sel:[0,1]
	s_delay_alu instid0(VALU_DEP_1) | instskip(SKIP_2) | instid1(VALU_DEP_2)
	v_pk_fma_f32 v[86:87], v[80:81], v[72:73], v[84:85] op_sel:[0,0,1] op_sel_hi:[1,1,0] neg_lo:[0,0,1] neg_hi:[0,0,1]
	v_pk_fma_f32 v[80:81], v[80:81], v[72:73], v[84:85] op_sel:[0,0,1] op_sel_hi:[1,0,0]
	v_dual_mul_f32 v84, v83, v71 :: v_dual_mov_b32 v80, v83
	v_dual_mov_b32 v87, v81 :: v_dual_mov_b32 v81, v82
	s_delay_alu instid0(VALU_DEP_2) | instskip(SKIP_1) | instid1(VALU_DEP_3)
	v_pk_fma_f32 v[84:85], v[82:83], v[50:51], v[84:85] op_sel_hi:[1,1,0] neg_lo:[0,0,1] neg_hi:[0,0,1]
	v_mul_f32_e32 v82, v83, v72
	v_pk_add_f32 v[54:55], v[54:55], v[86:87] neg_lo:[0,1] neg_hi:[0,1]
	s_delay_alu instid0(VALU_DEP_2) | instskip(NEXT) | instid1(VALU_DEP_1)
	v_pk_fma_f32 v[80:81], v[80:81], v[50:51], v[82:83] op_sel_hi:[1,1,0]
	v_mov_b32_e32 v85, v81
	ds_load_2addr_b64 v[80:83], v74 offset0:19 offset1:20
	v_pk_add_f32 v[56:57], v[56:57], v[84:85] neg_lo:[0,1] neg_hi:[0,1]
	s_wait_dscnt 0x0
	v_pk_mul_f32 v[84:85], v[80:81], v[70:71] op_sel:[0,1]
	s_delay_alu instid0(VALU_DEP_1) | instskip(SKIP_1) | instid1(VALU_DEP_1)
	v_pk_fma_f32 v[86:87], v[80:81], v[72:73], v[84:85] op_sel:[0,0,1] op_sel_hi:[1,1,0] neg_lo:[0,0,1] neg_hi:[0,0,1]
	v_pk_fma_f32 v[80:81], v[80:81], v[72:73], v[84:85] op_sel:[0,0,1] op_sel_hi:[1,0,0]
	v_mov_b32_e32 v87, v81
	v_pk_mul_f32 v[80:81], v[82:83], v[70:71] op_sel:[0,1]
	s_delay_alu instid0(VALU_DEP_1) | instskip(SKIP_1) | instid1(VALU_DEP_1)
	v_pk_fma_f32 v[84:85], v[82:83], v[72:73], v[80:81] op_sel:[0,0,1] op_sel_hi:[1,1,0] neg_lo:[0,0,1] neg_hi:[0,0,1]
	v_pk_fma_f32 v[80:81], v[82:83], v[72:73], v[80:81] op_sel:[0,0,1] op_sel_hi:[1,0,0]
	v_mov_b32_e32 v85, v81
	ds_load_2addr_b64 v[80:83], v74 offset0:21 offset1:22
	v_pk_add_f32 v[16:17], v[16:17], v[86:87] neg_lo:[0,1] neg_hi:[0,1]
	v_pk_add_f32 v[46:47], v[46:47], v[84:85] neg_lo:[0,1] neg_hi:[0,1]
	s_wait_dscnt 0x0
	v_pk_mul_f32 v[84:85], v[80:81], v[70:71] op_sel:[0,1]
	s_delay_alu instid0(VALU_DEP_1) | instskip(SKIP_1) | instid1(VALU_DEP_1)
	v_pk_fma_f32 v[86:87], v[80:81], v[72:73], v[84:85] op_sel:[0,0,1] op_sel_hi:[1,1,0] neg_lo:[0,0,1] neg_hi:[0,0,1]
	v_pk_fma_f32 v[80:81], v[80:81], v[72:73], v[84:85] op_sel:[0,0,1] op_sel_hi:[1,0,0]
	v_mov_b32_e32 v87, v81
	v_pk_mul_f32 v[80:81], v[82:83], v[70:71] op_sel:[0,1]
	s_delay_alu instid0(VALU_DEP_1) | instskip(SKIP_1) | instid1(VALU_DEP_1)
	v_pk_fma_f32 v[84:85], v[82:83], v[72:73], v[80:81] op_sel:[0,0,1] op_sel_hi:[1,1,0] neg_lo:[0,0,1] neg_hi:[0,0,1]
	v_pk_fma_f32 v[80:81], v[82:83], v[72:73], v[80:81] op_sel:[0,0,1] op_sel_hi:[1,0,0]
	v_mov_b32_e32 v85, v81
	ds_load_2addr_b64 v[80:83], v74 offset0:23 offset1:24
	v_pk_add_f32 v[42:43], v[42:43], v[86:87] neg_lo:[0,1] neg_hi:[0,1]
	v_pk_add_f32 v[44:45], v[44:45], v[84:85] neg_lo:[0,1] neg_hi:[0,1]
	s_wait_dscnt 0x0
	v_dual_mul_f32 v84, v81, v71 :: v_dual_mul_f32 v86, v81, v72
	s_delay_alu instid0(VALU_DEP_1) | instskip(NEXT) | instid1(VALU_DEP_2)
	v_pk_fma_f32 v[84:85], v[80:81], v[50:51], v[84:85] op_sel_hi:[1,1,0] neg_lo:[0,0,1] neg_hi:[0,0,1]
	v_pk_fma_f32 v[80:81], v[80:81], v[50:51], v[86:87] op_sel:[1,0,0] op_sel_hi:[0,1,0]
	s_delay_alu instid0(VALU_DEP_1) | instskip(SKIP_1) | instid1(VALU_DEP_2)
	v_mov_b32_e32 v85, v81
	v_pk_mul_f32 v[80:81], v[82:83], v[70:71] op_sel:[0,1]
	v_pk_add_f32 v[10:11], v[10:11], v[84:85] neg_lo:[0,1] neg_hi:[0,1]
	s_delay_alu instid0(VALU_DEP_2) | instskip(SKIP_1) | instid1(VALU_DEP_1)
	v_pk_fma_f32 v[84:85], v[82:83], v[72:73], v[80:81] op_sel:[0,0,1] op_sel_hi:[1,1,0] neg_lo:[0,0,1] neg_hi:[0,0,1]
	v_pk_fma_f32 v[80:81], v[82:83], v[72:73], v[80:81] op_sel:[0,0,1] op_sel_hi:[1,0,0]
	v_mov_b32_e32 v85, v81
	ds_load_2addr_b64 v[80:83], v74 offset0:25 offset1:26
	v_pk_add_f32 v[28:29], v[28:29], v[84:85] neg_lo:[0,1] neg_hi:[0,1]
	s_wait_dscnt 0x0
	v_pk_mul_f32 v[84:85], v[80:81], v[70:71] op_sel:[0,1]
	s_delay_alu instid0(VALU_DEP_1) | instskip(SKIP_1) | instid1(VALU_DEP_1)
	v_pk_fma_f32 v[86:87], v[80:81], v[72:73], v[84:85] op_sel:[0,0,1] op_sel_hi:[1,1,0] neg_lo:[0,0,1] neg_hi:[0,0,1]
	v_pk_fma_f32 v[80:81], v[80:81], v[72:73], v[84:85] op_sel:[0,0,1] op_sel_hi:[1,0,0]
	v_mov_b32_e32 v87, v81
	v_pk_mul_f32 v[80:81], v[82:83], v[70:71] op_sel:[0,1]
	s_delay_alu instid0(VALU_DEP_2) | instskip(NEXT) | instid1(VALU_DEP_2)
	v_pk_add_f32 v[24:25], v[24:25], v[86:87] neg_lo:[0,1] neg_hi:[0,1]
	v_pk_fma_f32 v[84:85], v[82:83], v[72:73], v[80:81] op_sel:[0,0,1] op_sel_hi:[1,1,0] neg_lo:[0,0,1] neg_hi:[0,0,1]
	v_pk_fma_f32 v[80:81], v[82:83], v[72:73], v[80:81] op_sel:[0,0,1] op_sel_hi:[1,0,0]
	s_delay_alu instid0(VALU_DEP_1) | instskip(SKIP_4) | instid1(VALU_DEP_1)
	v_mov_b32_e32 v85, v81
	ds_load_2addr_b64 v[80:83], v74 offset0:27 offset1:28
	v_pk_add_f32 v[26:27], v[26:27], v[84:85] neg_lo:[0,1] neg_hi:[0,1]
	s_wait_dscnt 0x0
	v_pk_mul_f32 v[84:85], v[80:81], v[70:71] op_sel:[0,1]
	v_pk_fma_f32 v[86:87], v[80:81], v[72:73], v[84:85] op_sel:[0,0,1] op_sel_hi:[1,1,0] neg_lo:[0,0,1] neg_hi:[0,0,1]
	v_pk_fma_f32 v[80:81], v[80:81], v[72:73], v[84:85] op_sel:[0,0,1] op_sel_hi:[1,0,0]
	v_dual_mul_f32 v84, v83, v71 :: v_dual_mov_b32 v80, v83
	s_delay_alu instid0(VALU_DEP_2) | instskip(NEXT) | instid1(VALU_DEP_2)
	v_dual_mov_b32 v87, v81 :: v_dual_mov_b32 v81, v82
	v_pk_fma_f32 v[84:85], v[82:83], v[50:51], v[84:85] op_sel_hi:[1,1,0] neg_lo:[0,0,1] neg_hi:[0,0,1]
	v_mul_f32_e32 v82, v83, v72
	s_delay_alu instid0(VALU_DEP_3) | instskip(NEXT) | instid1(VALU_DEP_2)
	v_pk_add_f32 v[12:13], v[12:13], v[86:87] neg_lo:[0,1] neg_hi:[0,1]
	v_pk_fma_f32 v[80:81], v[80:81], v[50:51], v[82:83] op_sel_hi:[1,1,0]
	s_delay_alu instid0(VALU_DEP_1) | instskip(SKIP_4) | instid1(VALU_DEP_1)
	v_mov_b32_e32 v85, v81
	ds_load_2addr_b64 v[80:83], v74 offset0:29 offset1:30
	v_pk_add_f32 v[22:23], v[22:23], v[84:85] neg_lo:[0,1] neg_hi:[0,1]
	s_wait_dscnt 0x0
	v_pk_mul_f32 v[84:85], v[80:81], v[70:71] op_sel:[0,1]
	v_pk_fma_f32 v[86:87], v[80:81], v[72:73], v[84:85] op_sel:[0,0,1] op_sel_hi:[1,1,0] neg_lo:[0,0,1] neg_hi:[0,0,1]
	v_pk_fma_f32 v[80:81], v[80:81], v[72:73], v[84:85] op_sel:[0,0,1] op_sel_hi:[1,0,0]
	s_delay_alu instid0(VALU_DEP_1) | instskip(SKIP_1) | instid1(VALU_DEP_1)
	v_mov_b32_e32 v87, v81
	v_pk_mul_f32 v[80:81], v[82:83], v[70:71] op_sel:[0,1]
	v_pk_fma_f32 v[84:85], v[82:83], v[72:73], v[80:81] op_sel:[0,0,1] op_sel_hi:[1,1,0] neg_lo:[0,0,1] neg_hi:[0,0,1]
	v_pk_fma_f32 v[80:81], v[82:83], v[72:73], v[80:81] op_sel:[0,0,1] op_sel_hi:[1,0,0]
	s_delay_alu instid0(VALU_DEP_1)
	v_mov_b32_e32 v85, v81
	ds_load_b64 v[80:81], v74 offset:248
	v_pk_add_f32 v[20:21], v[20:21], v[86:87] neg_lo:[0,1] neg_hi:[0,1]
	v_pk_add_f32 v[18:19], v[18:19], v[84:85] neg_lo:[0,1] neg_hi:[0,1]
	s_wait_dscnt 0x0
	v_pk_mul_f32 v[70:71], v[80:81], v[70:71] op_sel:[0,1]
	s_delay_alu instid0(VALU_DEP_1) | instskip(SKIP_1) | instid1(VALU_DEP_1)
	v_pk_fma_f32 v[82:83], v[80:81], v[72:73], v[70:71] op_sel:[0,0,1] op_sel_hi:[1,1,0] neg_lo:[0,0,1] neg_hi:[0,0,1]
	v_pk_fma_f32 v[70:71], v[80:81], v[72:73], v[70:71] op_sel:[0,0,1] op_sel_hi:[1,0,0]
	v_mov_b32_e32 v83, v71
	s_delay_alu instid0(VALU_DEP_1)
	v_pk_add_f32 v[68:69], v[68:69], v[82:83] neg_lo:[0,1] neg_hi:[0,1]
.LBB62_314:
	s_or_b32 exec_lo, exec_lo, s0
	v_lshl_add_u32 v70, v78, 3, v74
	s_barrier_signal -1
	s_barrier_wait -1
	ds_store_b64 v70, v[14:15]
	s_wait_dscnt 0x0
	s_barrier_signal -1
	s_barrier_wait -1
	ds_load_b64 v[70:71], v74 offset:120
	v_mov_b32_e32 v72, 15
	s_cmp_lt_i32 s18, 17
	s_cbranch_scc1 .LBB62_317
; %bb.315:
	v_add3_u32 v73, v75, 0, 0x80
	v_mov_b32_e32 v72, 15
	s_mov_b32 s0, 16
.LBB62_316:                             ; =>This Inner Loop Header: Depth=1
	ds_load_b64 v[80:81], v73
	s_wait_dscnt 0x1
	v_cmp_gt_f32_e32 vcc_lo, 0, v70
	v_cndmask_b32_e64 v82, v70, -v70, vcc_lo
	v_cmp_gt_f32_e32 vcc_lo, 0, v71
	v_cndmask_b32_e64 v84, v71, -v71, vcc_lo
	s_wait_dscnt 0x0
	v_cmp_gt_f32_e32 vcc_lo, 0, v80
	v_cndmask_b32_e64 v83, v80, -v80, vcc_lo
	v_cmp_gt_f32_e32 vcc_lo, 0, v81
	v_cndmask_b32_e64 v85, v81, -v81, vcc_lo
	s_delay_alu instid0(VALU_DEP_1) | instskip(NEXT) | instid1(VALU_DEP_1)
	v_pk_add_f32 v[82:83], v[82:83], v[84:85]
	v_cmp_lt_f32_e32 vcc_lo, v82, v83
	v_dual_cndmask_b32 v70, v70, v80 :: v_dual_add_nc_u32 v73, 8, v73
	v_cndmask_b32_e32 v71, v71, v81, vcc_lo
	v_cndmask_b32_e64 v72, v72, s0, vcc_lo
	s_add_co_i32 s0, s0, 1
	s_delay_alu instid0(SALU_CYCLE_1)
	s_cmp_lg_u32 s18, s0
	s_cbranch_scc1 .LBB62_316
.LBB62_317:
	s_wait_dscnt 0x0
	v_cmp_eq_f32_e32 vcc_lo, 0, v70
	v_cmp_eq_f32_e64 s0, 0, v71
	s_and_b32 s0, vcc_lo, s0
	s_delay_alu instid0(SALU_CYCLE_1) | instskip(NEXT) | instid1(SALU_CYCLE_1)
	s_and_saveexec_b32 s1, s0
	s_xor_b32 s0, exec_lo, s1
; %bb.318:
	v_cmp_ne_u32_e32 vcc_lo, 0, v76
	v_cndmask_b32_e32 v76, 16, v76, vcc_lo
; %bb.319:
	s_and_not1_saveexec_b32 s0, s0
	s_cbranch_execz .LBB62_325
; %bb.320:
	v_cmp_ngt_f32_e64 s1, |v70|, |v71|
	s_and_saveexec_b32 s12, s1
	s_delay_alu instid0(SALU_CYCLE_1)
	s_xor_b32 s1, exec_lo, s12
	s_cbranch_execz .LBB62_322
; %bb.321:
	v_div_scale_f32 v73, null, v71, v71, v70
	v_div_scale_f32 v81, vcc_lo, v70, v71, v70
	s_delay_alu instid0(VALU_DEP_2) | instskip(SKIP_1) | instid1(TRANS32_DEP_1)
	v_rcp_f32_e32 v79, v73
	v_nop
	v_fma_f32 v80, -v73, v79, 1.0
	s_delay_alu instid0(VALU_DEP_1) | instskip(NEXT) | instid1(VALU_DEP_1)
	v_fmac_f32_e32 v79, v80, v79
	v_mul_f32_e32 v80, v81, v79
	s_delay_alu instid0(VALU_DEP_1) | instskip(NEXT) | instid1(VALU_DEP_1)
	v_fma_f32 v82, -v73, v80, v81
	v_fmac_f32_e32 v80, v82, v79
	s_delay_alu instid0(VALU_DEP_1) | instskip(NEXT) | instid1(VALU_DEP_1)
	v_fma_f32 v73, -v73, v80, v81
	v_div_fmas_f32 v73, v73, v79, v80
	s_delay_alu instid0(VALU_DEP_1) | instskip(NEXT) | instid1(VALU_DEP_1)
	v_div_fixup_f32 v73, v73, v71, v70
	v_fmac_f32_e32 v71, v70, v73
	s_delay_alu instid0(VALU_DEP_1) | instskip(SKIP_1) | instid1(VALU_DEP_2)
	v_div_scale_f32 v70, null, v71, v71, 1.0
	v_div_scale_f32 v81, vcc_lo, 1.0, v71, 1.0
	v_rcp_f32_e32 v79, v70
	v_nop
	s_delay_alu instid0(TRANS32_DEP_1) | instskip(NEXT) | instid1(VALU_DEP_1)
	v_fma_f32 v80, -v70, v79, 1.0
	v_fmac_f32_e32 v79, v80, v79
	s_delay_alu instid0(VALU_DEP_1) | instskip(NEXT) | instid1(VALU_DEP_1)
	v_mul_f32_e32 v80, v81, v79
	v_fma_f32 v82, -v70, v80, v81
	s_delay_alu instid0(VALU_DEP_1) | instskip(NEXT) | instid1(VALU_DEP_1)
	v_fmac_f32_e32 v80, v82, v79
	v_fma_f32 v70, -v70, v80, v81
	s_delay_alu instid0(VALU_DEP_1) | instskip(NEXT) | instid1(VALU_DEP_1)
	v_div_fmas_f32 v70, v70, v79, v80
	v_div_fixup_f32 v71, v70, v71, 1.0
	s_delay_alu instid0(VALU_DEP_1)
	v_mul_f32_e32 v70, v73, v71
	v_xor_b32_e32 v71, 0x80000000, v71
.LBB62_322:
	s_and_not1_saveexec_b32 s1, s1
	s_cbranch_execz .LBB62_324
; %bb.323:
	s_delay_alu instid0(VALU_DEP_1) | instskip(SKIP_1) | instid1(VALU_DEP_2)
	v_div_scale_f32 v73, null, v70, v70, v71
	v_div_scale_f32 v81, vcc_lo, v71, v70, v71
	v_rcp_f32_e32 v79, v73
	v_nop
	s_delay_alu instid0(TRANS32_DEP_1) | instskip(NEXT) | instid1(VALU_DEP_1)
	v_fma_f32 v80, -v73, v79, 1.0
	v_fmac_f32_e32 v79, v80, v79
	s_delay_alu instid0(VALU_DEP_1) | instskip(NEXT) | instid1(VALU_DEP_1)
	v_mul_f32_e32 v80, v81, v79
	v_fma_f32 v82, -v73, v80, v81
	s_delay_alu instid0(VALU_DEP_1) | instskip(NEXT) | instid1(VALU_DEP_1)
	v_fmac_f32_e32 v80, v82, v79
	v_fma_f32 v73, -v73, v80, v81
	s_delay_alu instid0(VALU_DEP_1) | instskip(NEXT) | instid1(VALU_DEP_1)
	v_div_fmas_f32 v73, v73, v79, v80
	v_div_fixup_f32 v73, v73, v70, v71
	s_delay_alu instid0(VALU_DEP_1) | instskip(NEXT) | instid1(VALU_DEP_1)
	v_fmac_f32_e32 v70, v71, v73
	v_div_scale_f32 v71, null, v70, v70, 1.0
	s_delay_alu instid0(VALU_DEP_1) | instskip(SKIP_1) | instid1(TRANS32_DEP_1)
	v_rcp_f32_e32 v79, v71
	v_nop
	v_fma_f32 v80, -v71, v79, 1.0
	s_delay_alu instid0(VALU_DEP_1) | instskip(SKIP_1) | instid1(VALU_DEP_1)
	v_fmac_f32_e32 v79, v80, v79
	v_div_scale_f32 v80, vcc_lo, 1.0, v70, 1.0
	v_mul_f32_e32 v81, v80, v79
	s_delay_alu instid0(VALU_DEP_1) | instskip(NEXT) | instid1(VALU_DEP_1)
	v_fma_f32 v82, -v71, v81, v80
	v_fmac_f32_e32 v81, v82, v79
	s_delay_alu instid0(VALU_DEP_1) | instskip(NEXT) | instid1(VALU_DEP_1)
	v_fma_f32 v71, -v71, v81, v80
	v_div_fmas_f32 v71, v71, v79, v81
	s_delay_alu instid0(VALU_DEP_1) | instskip(NEXT) | instid1(VALU_DEP_1)
	v_div_fixup_f32 v70, v71, v70, 1.0
	v_mul_f32_e64 v71, v73, -v70
.LBB62_324:
	s_or_b32 exec_lo, exec_lo, s1
.LBB62_325:
	s_delay_alu instid0(SALU_CYCLE_1) | instskip(NEXT) | instid1(SALU_CYCLE_1)
	s_or_b32 exec_lo, exec_lo, s0
	s_mov_b32 s0, exec_lo
	v_cmpx_ne_u32_e64 v78, v72
	s_xor_b32 s0, exec_lo, s0
	s_cbranch_execz .LBB62_331
; %bb.326:
	s_mov_b32 s1, exec_lo
	v_cmpx_eq_u32_e32 15, v78
	s_cbranch_execz .LBB62_330
; %bb.327:
	v_cmp_ne_u32_e32 vcc_lo, 15, v72
	s_xor_b32 s12, s16, -1
	s_delay_alu instid0(SALU_CYCLE_1) | instskip(NEXT) | instid1(SALU_CYCLE_1)
	s_and_b32 s13, s12, vcc_lo
	s_and_saveexec_b32 s12, s13
	s_cbranch_execz .LBB62_329
; %bb.328:
	v_ashrrev_i32_e32 v73, 31, v72
	s_delay_alu instid0(VALU_DEP_1)
	v_lshl_add_u64 v[78:79], v[72:73], 2, v[4:5]
	s_clause 0x1
	global_load_b32 v73, v[78:79], off
	global_load_b32 v77, v[4:5], off offset:60
	s_wait_loadcnt 0x1
	global_store_b32 v[4:5], v73, off offset:60
	s_wait_loadcnt 0x0
	global_store_b32 v[78:79], v77, off
.LBB62_329:
	s_wait_xcnt 0x0
	s_or_b32 exec_lo, exec_lo, s12
	v_dual_mov_b32 v78, v72 :: v_dual_mov_b32 v77, v72
.LBB62_330:
	s_or_b32 exec_lo, exec_lo, s1
.LBB62_331:
	s_and_not1_saveexec_b32 s0, s0
	s_cbranch_execz .LBB62_333
; %bb.332:
	v_dual_mov_b32 v72, v58 :: v_dual_mov_b32 v73, v59
	v_dual_mov_b32 v78, v54 :: v_dual_mov_b32 v79, v55
	;; [unrolled: 1-line block ×8, first 2 shown]
	ds_store_2addr_b64 v74, v[72:73], v[78:79] offset0:16 offset1:17
	ds_store_2addr_b64 v74, v[80:81], v[82:83] offset0:18 offset1:19
	;; [unrolled: 1-line block ×4, first 2 shown]
	v_dual_mov_b32 v72, v28 :: v_dual_mov_b32 v73, v29
	v_dual_mov_b32 v80, v24 :: v_dual_mov_b32 v81, v25
	;; [unrolled: 1-line block ×7, first 2 shown]
	v_mov_b32_e32 v91, v19
	ds_store_2addr_b64 v74, v[72:73], v[80:81] offset0:24 offset1:25
	ds_store_2addr_b64 v74, v[82:83], v[84:85] offset0:26 offset1:27
	;; [unrolled: 1-line block ×4, first 2 shown]
.LBB62_333:
	s_or_b32 exec_lo, exec_lo, s0
	s_delay_alu instid0(SALU_CYCLE_1)
	s_mov_b32 s0, exec_lo
	s_wait_storecnt_dscnt 0x0
	s_barrier_signal -1
	s_barrier_wait -1
	v_cmpx_lt_i32_e32 15, v78
	s_cbranch_execz .LBB62_335
; %bb.334:
	v_pk_mul_f32 v[80:81], v[70:71], v[14:15] op_sel:[1,1] op_sel_hi:[0,1]
	s_delay_alu instid0(VALU_DEP_1)
	v_pk_fma_f32 v[72:73], v[70:71], v[14:15], v[80:81] op_sel_hi:[1,0,1] neg_lo:[0,0,1] neg_hi:[0,0,1]
	v_pk_fma_f32 v[70:71], v[70:71], v[14:15], v[80:81] op_sel_hi:[1,0,1]
	ds_load_2addr_b64 v[80:83], v74 offset0:16 offset1:17
	v_dual_mov_b32 v14, v72 :: v_dual_mov_b32 v15, v71
	s_wait_dscnt 0x0
	v_pk_mul_f32 v[84:85], v[80:81], v[70:71] op_sel:[0,1]
	s_delay_alu instid0(VALU_DEP_1) | instskip(SKIP_1) | instid1(VALU_DEP_1)
	v_pk_fma_f32 v[86:87], v[80:81], v[72:73], v[84:85] op_sel:[0,0,1] op_sel_hi:[1,1,0] neg_lo:[0,0,1] neg_hi:[0,0,1]
	v_pk_fma_f32 v[80:81], v[80:81], v[72:73], v[84:85] op_sel:[0,0,1] op_sel_hi:[1,0,0]
	v_mov_b32_e32 v87, v81
	v_pk_mul_f32 v[80:81], v[82:83], v[70:71] op_sel:[0,1]
	s_delay_alu instid0(VALU_DEP_1) | instskip(SKIP_1) | instid1(VALU_DEP_1)
	v_pk_fma_f32 v[84:85], v[82:83], v[72:73], v[80:81] op_sel:[0,0,1] op_sel_hi:[1,1,0] neg_lo:[0,0,1] neg_hi:[0,0,1]
	v_pk_fma_f32 v[80:81], v[82:83], v[72:73], v[80:81] op_sel:[0,0,1] op_sel_hi:[1,0,0]
	v_mov_b32_e32 v85, v81
	ds_load_2addr_b64 v[80:83], v74 offset0:18 offset1:19
	v_pk_add_f32 v[58:59], v[58:59], v[86:87] neg_lo:[0,1] neg_hi:[0,1]
	v_pk_add_f32 v[54:55], v[54:55], v[84:85] neg_lo:[0,1] neg_hi:[0,1]
	s_wait_dscnt 0x0
	v_pk_mul_f32 v[84:85], v[80:81], v[70:71] op_sel:[0,1]
	s_delay_alu instid0(VALU_DEP_1) | instskip(SKIP_2) | instid1(VALU_DEP_2)
	v_pk_fma_f32 v[86:87], v[80:81], v[72:73], v[84:85] op_sel:[0,0,1] op_sel_hi:[1,1,0] neg_lo:[0,0,1] neg_hi:[0,0,1]
	v_pk_fma_f32 v[80:81], v[80:81], v[72:73], v[84:85] op_sel:[0,0,1] op_sel_hi:[1,0,0]
	v_dual_mul_f32 v84, v83, v71 :: v_dual_mov_b32 v80, v83
	v_dual_mov_b32 v87, v81 :: v_dual_mov_b32 v81, v82
	s_delay_alu instid0(VALU_DEP_2) | instskip(SKIP_1) | instid1(VALU_DEP_3)
	v_pk_fma_f32 v[84:85], v[82:83], v[14:15], v[84:85] op_sel_hi:[1,1,0] neg_lo:[0,0,1] neg_hi:[0,0,1]
	v_mul_f32_e32 v82, v83, v72
	v_pk_add_f32 v[56:57], v[56:57], v[86:87] neg_lo:[0,1] neg_hi:[0,1]
	s_delay_alu instid0(VALU_DEP_2) | instskip(NEXT) | instid1(VALU_DEP_1)
	v_pk_fma_f32 v[80:81], v[80:81], v[14:15], v[82:83] op_sel_hi:[1,1,0]
	v_mov_b32_e32 v85, v81
	ds_load_2addr_b64 v[80:83], v74 offset0:20 offset1:21
	v_pk_add_f32 v[16:17], v[16:17], v[84:85] neg_lo:[0,1] neg_hi:[0,1]
	s_wait_dscnt 0x0
	v_pk_mul_f32 v[84:85], v[80:81], v[70:71] op_sel:[0,1]
	s_delay_alu instid0(VALU_DEP_1) | instskip(SKIP_1) | instid1(VALU_DEP_1)
	v_pk_fma_f32 v[86:87], v[80:81], v[72:73], v[84:85] op_sel:[0,0,1] op_sel_hi:[1,1,0] neg_lo:[0,0,1] neg_hi:[0,0,1]
	v_pk_fma_f32 v[80:81], v[80:81], v[72:73], v[84:85] op_sel:[0,0,1] op_sel_hi:[1,0,0]
	v_mov_b32_e32 v87, v81
	v_pk_mul_f32 v[80:81], v[82:83], v[70:71] op_sel:[0,1]
	s_delay_alu instid0(VALU_DEP_1) | instskip(SKIP_1) | instid1(VALU_DEP_1)
	v_pk_fma_f32 v[84:85], v[82:83], v[72:73], v[80:81] op_sel:[0,0,1] op_sel_hi:[1,1,0] neg_lo:[0,0,1] neg_hi:[0,0,1]
	v_pk_fma_f32 v[80:81], v[82:83], v[72:73], v[80:81] op_sel:[0,0,1] op_sel_hi:[1,0,0]
	v_mov_b32_e32 v85, v81
	ds_load_2addr_b64 v[80:83], v74 offset0:22 offset1:23
	v_pk_add_f32 v[46:47], v[46:47], v[86:87] neg_lo:[0,1] neg_hi:[0,1]
	v_pk_add_f32 v[42:43], v[42:43], v[84:85] neg_lo:[0,1] neg_hi:[0,1]
	s_wait_dscnt 0x0
	v_pk_mul_f32 v[84:85], v[80:81], v[70:71] op_sel:[0,1]
	s_delay_alu instid0(VALU_DEP_1) | instskip(SKIP_1) | instid1(VALU_DEP_1)
	v_pk_fma_f32 v[86:87], v[80:81], v[72:73], v[84:85] op_sel:[0,0,1] op_sel_hi:[1,1,0] neg_lo:[0,0,1] neg_hi:[0,0,1]
	v_pk_fma_f32 v[80:81], v[80:81], v[72:73], v[84:85] op_sel:[0,0,1] op_sel_hi:[1,0,0]
	v_mov_b32_e32 v87, v81
	v_pk_mul_f32 v[80:81], v[82:83], v[70:71] op_sel:[0,1]
	s_delay_alu instid0(VALU_DEP_1) | instskip(SKIP_1) | instid1(VALU_DEP_1)
	v_pk_fma_f32 v[84:85], v[82:83], v[72:73], v[80:81] op_sel:[0,0,1] op_sel_hi:[1,1,0] neg_lo:[0,0,1] neg_hi:[0,0,1]
	v_pk_fma_f32 v[80:81], v[82:83], v[72:73], v[80:81] op_sel:[0,0,1] op_sel_hi:[1,0,0]
	v_mov_b32_e32 v85, v81
	ds_load_2addr_b64 v[80:83], v74 offset0:24 offset1:25
	v_pk_add_f32 v[44:45], v[44:45], v[86:87] neg_lo:[0,1] neg_hi:[0,1]
	v_pk_add_f32 v[10:11], v[10:11], v[84:85] neg_lo:[0,1] neg_hi:[0,1]
	s_wait_dscnt 0x0
	v_dual_mul_f32 v84, v81, v71 :: v_dual_mul_f32 v86, v81, v72
	s_delay_alu instid0(VALU_DEP_1) | instskip(NEXT) | instid1(VALU_DEP_2)
	v_pk_fma_f32 v[84:85], v[80:81], v[14:15], v[84:85] op_sel_hi:[1,1,0] neg_lo:[0,0,1] neg_hi:[0,0,1]
	v_pk_fma_f32 v[80:81], v[80:81], v[14:15], v[86:87] op_sel:[1,0,0] op_sel_hi:[0,1,0]
	s_delay_alu instid0(VALU_DEP_1) | instskip(SKIP_1) | instid1(VALU_DEP_2)
	v_mov_b32_e32 v85, v81
	v_pk_mul_f32 v[80:81], v[82:83], v[70:71] op_sel:[0,1]
	v_pk_add_f32 v[28:29], v[28:29], v[84:85] neg_lo:[0,1] neg_hi:[0,1]
	s_delay_alu instid0(VALU_DEP_2) | instskip(SKIP_1) | instid1(VALU_DEP_1)
	v_pk_fma_f32 v[84:85], v[82:83], v[72:73], v[80:81] op_sel:[0,0,1] op_sel_hi:[1,1,0] neg_lo:[0,0,1] neg_hi:[0,0,1]
	v_pk_fma_f32 v[80:81], v[82:83], v[72:73], v[80:81] op_sel:[0,0,1] op_sel_hi:[1,0,0]
	v_mov_b32_e32 v85, v81
	ds_load_2addr_b64 v[80:83], v74 offset0:26 offset1:27
	v_pk_add_f32 v[24:25], v[24:25], v[84:85] neg_lo:[0,1] neg_hi:[0,1]
	s_wait_dscnt 0x0
	v_pk_mul_f32 v[84:85], v[80:81], v[70:71] op_sel:[0,1]
	s_delay_alu instid0(VALU_DEP_1) | instskip(SKIP_1) | instid1(VALU_DEP_1)
	v_pk_fma_f32 v[86:87], v[80:81], v[72:73], v[84:85] op_sel:[0,0,1] op_sel_hi:[1,1,0] neg_lo:[0,0,1] neg_hi:[0,0,1]
	v_pk_fma_f32 v[80:81], v[80:81], v[72:73], v[84:85] op_sel:[0,0,1] op_sel_hi:[1,0,0]
	v_mov_b32_e32 v87, v81
	v_pk_mul_f32 v[80:81], v[82:83], v[70:71] op_sel:[0,1]
	s_delay_alu instid0(VALU_DEP_2) | instskip(NEXT) | instid1(VALU_DEP_2)
	v_pk_add_f32 v[26:27], v[26:27], v[86:87] neg_lo:[0,1] neg_hi:[0,1]
	v_pk_fma_f32 v[84:85], v[82:83], v[72:73], v[80:81] op_sel:[0,0,1] op_sel_hi:[1,1,0] neg_lo:[0,0,1] neg_hi:[0,0,1]
	v_pk_fma_f32 v[80:81], v[82:83], v[72:73], v[80:81] op_sel:[0,0,1] op_sel_hi:[1,0,0]
	s_delay_alu instid0(VALU_DEP_1) | instskip(SKIP_4) | instid1(VALU_DEP_1)
	v_mov_b32_e32 v85, v81
	ds_load_2addr_b64 v[80:83], v74 offset0:28 offset1:29
	v_pk_add_f32 v[12:13], v[12:13], v[84:85] neg_lo:[0,1] neg_hi:[0,1]
	s_wait_dscnt 0x0
	v_pk_mul_f32 v[84:85], v[80:81], v[70:71] op_sel:[0,1]
	v_pk_fma_f32 v[86:87], v[80:81], v[72:73], v[84:85] op_sel:[0,0,1] op_sel_hi:[1,1,0] neg_lo:[0,0,1] neg_hi:[0,0,1]
	v_pk_fma_f32 v[80:81], v[80:81], v[72:73], v[84:85] op_sel:[0,0,1] op_sel_hi:[1,0,0]
	v_dual_mul_f32 v84, v83, v71 :: v_dual_mov_b32 v80, v83
	s_delay_alu instid0(VALU_DEP_2) | instskip(NEXT) | instid1(VALU_DEP_2)
	v_dual_mov_b32 v87, v81 :: v_dual_mov_b32 v81, v82
	v_pk_fma_f32 v[84:85], v[82:83], v[14:15], v[84:85] op_sel_hi:[1,1,0] neg_lo:[0,0,1] neg_hi:[0,0,1]
	v_mul_f32_e32 v82, v83, v72
	s_delay_alu instid0(VALU_DEP_3) | instskip(NEXT) | instid1(VALU_DEP_2)
	v_pk_add_f32 v[22:23], v[22:23], v[86:87] neg_lo:[0,1] neg_hi:[0,1]
	v_pk_fma_f32 v[80:81], v[80:81], v[14:15], v[82:83] op_sel_hi:[1,1,0]
	s_delay_alu instid0(VALU_DEP_1)
	v_mov_b32_e32 v85, v81
	ds_load_2addr_b64 v[80:83], v74 offset0:30 offset1:31
	v_pk_add_f32 v[20:21], v[20:21], v[84:85] neg_lo:[0,1] neg_hi:[0,1]
	s_wait_dscnt 0x0
	v_pk_mul_f32 v[84:85], v[80:81], v[70:71] op_sel:[0,1]
	v_pk_mul_f32 v[70:71], v[82:83], v[70:71] op_sel:[0,1]
	s_delay_alu instid0(VALU_DEP_2) | instskip(SKIP_1) | instid1(VALU_DEP_1)
	v_pk_fma_f32 v[86:87], v[80:81], v[72:73], v[84:85] op_sel:[0,0,1] op_sel_hi:[1,1,0] neg_lo:[0,0,1] neg_hi:[0,0,1]
	v_pk_fma_f32 v[80:81], v[80:81], v[72:73], v[84:85] op_sel:[0,0,1] op_sel_hi:[1,0,0]
	v_mov_b32_e32 v87, v81
	s_delay_alu instid0(VALU_DEP_4) | instskip(SKIP_1) | instid1(VALU_DEP_1)
	v_pk_fma_f32 v[80:81], v[82:83], v[72:73], v[70:71] op_sel:[0,0,1] op_sel_hi:[1,1,0] neg_lo:[0,0,1] neg_hi:[0,0,1]
	v_pk_fma_f32 v[70:71], v[82:83], v[72:73], v[70:71] op_sel:[0,0,1] op_sel_hi:[1,0,0]
	v_mov_b32_e32 v81, v71
	s_delay_alu instid0(VALU_DEP_4) | instskip(NEXT) | instid1(VALU_DEP_2)
	v_pk_add_f32 v[18:19], v[18:19], v[86:87] neg_lo:[0,1] neg_hi:[0,1]
	v_pk_add_f32 v[68:69], v[68:69], v[80:81] neg_lo:[0,1] neg_hi:[0,1]
.LBB62_335:
	s_or_b32 exec_lo, exec_lo, s0
	v_lshl_add_u32 v70, v78, 3, v74
	s_barrier_signal -1
	s_barrier_wait -1
	ds_store_b64 v70, v[58:59]
	s_wait_dscnt 0x0
	s_barrier_signal -1
	s_barrier_wait -1
	ds_load_b64 v[70:71], v74 offset:128
	v_mov_b32_e32 v72, 16
	s_cmp_lt_i32 s18, 18
	s_cbranch_scc1 .LBB62_338
; %bb.336:
	v_add3_u32 v73, v75, 0, 0x88
	v_mov_b32_e32 v72, 16
	s_mov_b32 s0, 17
.LBB62_337:                             ; =>This Inner Loop Header: Depth=1
	ds_load_b64 v[80:81], v73
	s_wait_dscnt 0x1
	v_cmp_gt_f32_e32 vcc_lo, 0, v70
	v_cndmask_b32_e64 v82, v70, -v70, vcc_lo
	v_cmp_gt_f32_e32 vcc_lo, 0, v71
	v_cndmask_b32_e64 v84, v71, -v71, vcc_lo
	s_wait_dscnt 0x0
	v_cmp_gt_f32_e32 vcc_lo, 0, v80
	v_cndmask_b32_e64 v83, v80, -v80, vcc_lo
	v_cmp_gt_f32_e32 vcc_lo, 0, v81
	v_cndmask_b32_e64 v85, v81, -v81, vcc_lo
	s_delay_alu instid0(VALU_DEP_1) | instskip(NEXT) | instid1(VALU_DEP_1)
	v_pk_add_f32 v[82:83], v[82:83], v[84:85]
	v_cmp_lt_f32_e32 vcc_lo, v82, v83
	v_dual_cndmask_b32 v70, v70, v80 :: v_dual_add_nc_u32 v73, 8, v73
	v_cndmask_b32_e32 v71, v71, v81, vcc_lo
	v_cndmask_b32_e64 v72, v72, s0, vcc_lo
	s_add_co_i32 s0, s0, 1
	s_delay_alu instid0(SALU_CYCLE_1)
	s_cmp_lg_u32 s18, s0
	s_cbranch_scc1 .LBB62_337
.LBB62_338:
	s_wait_dscnt 0x0
	v_cmp_eq_f32_e32 vcc_lo, 0, v70
	v_cmp_eq_f32_e64 s0, 0, v71
	s_and_b32 s0, vcc_lo, s0
	s_delay_alu instid0(SALU_CYCLE_1) | instskip(NEXT) | instid1(SALU_CYCLE_1)
	s_and_saveexec_b32 s1, s0
	s_xor_b32 s0, exec_lo, s1
; %bb.339:
	v_cmp_ne_u32_e32 vcc_lo, 0, v76
	v_cndmask_b32_e32 v76, 17, v76, vcc_lo
; %bb.340:
	s_and_not1_saveexec_b32 s0, s0
	s_cbranch_execz .LBB62_346
; %bb.341:
	v_cmp_ngt_f32_e64 s1, |v70|, |v71|
	s_and_saveexec_b32 s12, s1
	s_delay_alu instid0(SALU_CYCLE_1)
	s_xor_b32 s1, exec_lo, s12
	s_cbranch_execz .LBB62_343
; %bb.342:
	v_div_scale_f32 v73, null, v71, v71, v70
	v_div_scale_f32 v81, vcc_lo, v70, v71, v70
	s_delay_alu instid0(VALU_DEP_2) | instskip(SKIP_1) | instid1(TRANS32_DEP_1)
	v_rcp_f32_e32 v79, v73
	v_nop
	v_fma_f32 v80, -v73, v79, 1.0
	s_delay_alu instid0(VALU_DEP_1) | instskip(NEXT) | instid1(VALU_DEP_1)
	v_fmac_f32_e32 v79, v80, v79
	v_mul_f32_e32 v80, v81, v79
	s_delay_alu instid0(VALU_DEP_1) | instskip(NEXT) | instid1(VALU_DEP_1)
	v_fma_f32 v82, -v73, v80, v81
	v_fmac_f32_e32 v80, v82, v79
	s_delay_alu instid0(VALU_DEP_1) | instskip(NEXT) | instid1(VALU_DEP_1)
	v_fma_f32 v73, -v73, v80, v81
	v_div_fmas_f32 v73, v73, v79, v80
	s_delay_alu instid0(VALU_DEP_1) | instskip(NEXT) | instid1(VALU_DEP_1)
	v_div_fixup_f32 v73, v73, v71, v70
	v_fmac_f32_e32 v71, v70, v73
	s_delay_alu instid0(VALU_DEP_1) | instskip(SKIP_1) | instid1(VALU_DEP_2)
	v_div_scale_f32 v70, null, v71, v71, 1.0
	v_div_scale_f32 v81, vcc_lo, 1.0, v71, 1.0
	v_rcp_f32_e32 v79, v70
	v_nop
	s_delay_alu instid0(TRANS32_DEP_1) | instskip(NEXT) | instid1(VALU_DEP_1)
	v_fma_f32 v80, -v70, v79, 1.0
	v_fmac_f32_e32 v79, v80, v79
	s_delay_alu instid0(VALU_DEP_1) | instskip(NEXT) | instid1(VALU_DEP_1)
	v_mul_f32_e32 v80, v81, v79
	v_fma_f32 v82, -v70, v80, v81
	s_delay_alu instid0(VALU_DEP_1) | instskip(NEXT) | instid1(VALU_DEP_1)
	v_fmac_f32_e32 v80, v82, v79
	v_fma_f32 v70, -v70, v80, v81
	s_delay_alu instid0(VALU_DEP_1) | instskip(NEXT) | instid1(VALU_DEP_1)
	v_div_fmas_f32 v70, v70, v79, v80
	v_div_fixup_f32 v71, v70, v71, 1.0
	s_delay_alu instid0(VALU_DEP_1)
	v_mul_f32_e32 v70, v73, v71
	v_xor_b32_e32 v71, 0x80000000, v71
.LBB62_343:
	s_and_not1_saveexec_b32 s1, s1
	s_cbranch_execz .LBB62_345
; %bb.344:
	s_delay_alu instid0(VALU_DEP_1) | instskip(SKIP_1) | instid1(VALU_DEP_2)
	v_div_scale_f32 v73, null, v70, v70, v71
	v_div_scale_f32 v81, vcc_lo, v71, v70, v71
	v_rcp_f32_e32 v79, v73
	v_nop
	s_delay_alu instid0(TRANS32_DEP_1) | instskip(NEXT) | instid1(VALU_DEP_1)
	v_fma_f32 v80, -v73, v79, 1.0
	v_fmac_f32_e32 v79, v80, v79
	s_delay_alu instid0(VALU_DEP_1) | instskip(NEXT) | instid1(VALU_DEP_1)
	v_mul_f32_e32 v80, v81, v79
	v_fma_f32 v82, -v73, v80, v81
	s_delay_alu instid0(VALU_DEP_1) | instskip(NEXT) | instid1(VALU_DEP_1)
	v_fmac_f32_e32 v80, v82, v79
	v_fma_f32 v73, -v73, v80, v81
	s_delay_alu instid0(VALU_DEP_1) | instskip(NEXT) | instid1(VALU_DEP_1)
	v_div_fmas_f32 v73, v73, v79, v80
	v_div_fixup_f32 v73, v73, v70, v71
	s_delay_alu instid0(VALU_DEP_1) | instskip(NEXT) | instid1(VALU_DEP_1)
	v_fmac_f32_e32 v70, v71, v73
	v_div_scale_f32 v71, null, v70, v70, 1.0
	s_delay_alu instid0(VALU_DEP_1) | instskip(SKIP_1) | instid1(TRANS32_DEP_1)
	v_rcp_f32_e32 v79, v71
	v_nop
	v_fma_f32 v80, -v71, v79, 1.0
	s_delay_alu instid0(VALU_DEP_1) | instskip(SKIP_1) | instid1(VALU_DEP_1)
	v_fmac_f32_e32 v79, v80, v79
	v_div_scale_f32 v80, vcc_lo, 1.0, v70, 1.0
	v_mul_f32_e32 v81, v80, v79
	s_delay_alu instid0(VALU_DEP_1) | instskip(NEXT) | instid1(VALU_DEP_1)
	v_fma_f32 v82, -v71, v81, v80
	v_fmac_f32_e32 v81, v82, v79
	s_delay_alu instid0(VALU_DEP_1) | instskip(NEXT) | instid1(VALU_DEP_1)
	v_fma_f32 v71, -v71, v81, v80
	v_div_fmas_f32 v71, v71, v79, v81
	s_delay_alu instid0(VALU_DEP_1) | instskip(NEXT) | instid1(VALU_DEP_1)
	v_div_fixup_f32 v70, v71, v70, 1.0
	v_mul_f32_e64 v71, v73, -v70
.LBB62_345:
	s_or_b32 exec_lo, exec_lo, s1
.LBB62_346:
	s_delay_alu instid0(SALU_CYCLE_1) | instskip(NEXT) | instid1(SALU_CYCLE_1)
	s_or_b32 exec_lo, exec_lo, s0
	s_mov_b32 s0, exec_lo
	v_cmpx_ne_u32_e64 v78, v72
	s_xor_b32 s0, exec_lo, s0
	s_cbranch_execz .LBB62_352
; %bb.347:
	s_mov_b32 s1, exec_lo
	v_cmpx_eq_u32_e32 16, v78
	s_cbranch_execz .LBB62_351
; %bb.348:
	v_cmp_ne_u32_e32 vcc_lo, 16, v72
	s_xor_b32 s12, s16, -1
	s_delay_alu instid0(SALU_CYCLE_1) | instskip(NEXT) | instid1(SALU_CYCLE_1)
	s_and_b32 s13, s12, vcc_lo
	s_and_saveexec_b32 s12, s13
	s_cbranch_execz .LBB62_350
; %bb.349:
	v_ashrrev_i32_e32 v73, 31, v72
	s_delay_alu instid0(VALU_DEP_1)
	v_lshl_add_u64 v[78:79], v[72:73], 2, v[4:5]
	s_clause 0x1
	global_load_b32 v73, v[78:79], off
	global_load_b32 v77, v[4:5], off offset:64
	s_wait_loadcnt 0x1
	global_store_b32 v[4:5], v73, off offset:64
	s_wait_loadcnt 0x0
	global_store_b32 v[78:79], v77, off
.LBB62_350:
	s_wait_xcnt 0x0
	s_or_b32 exec_lo, exec_lo, s12
	v_dual_mov_b32 v78, v72 :: v_dual_mov_b32 v77, v72
.LBB62_351:
	s_or_b32 exec_lo, exec_lo, s1
.LBB62_352:
	s_and_not1_saveexec_b32 s0, s0
	s_cbranch_execz .LBB62_354
; %bb.353:
	v_mov_b32_e32 v78, 16
	ds_store_2addr_b64 v74, v[54:55], v[56:57] offset0:17 offset1:18
	ds_store_2addr_b64 v74, v[16:17], v[46:47] offset0:19 offset1:20
	;; [unrolled: 1-line block ×7, first 2 shown]
	ds_store_b64 v74, v[68:69] offset:248
.LBB62_354:
	s_or_b32 exec_lo, exec_lo, s0
	s_delay_alu instid0(SALU_CYCLE_1)
	s_mov_b32 s0, exec_lo
	s_wait_storecnt_dscnt 0x0
	s_barrier_signal -1
	s_barrier_wait -1
	v_cmpx_lt_i32_e32 16, v78
	s_cbranch_execz .LBB62_356
; %bb.355:
	v_pk_mul_f32 v[80:81], v[70:71], v[58:59] op_sel:[1,1] op_sel_hi:[0,1]
	s_delay_alu instid0(VALU_DEP_1)
	v_pk_fma_f32 v[72:73], v[70:71], v[58:59], v[80:81] op_sel_hi:[1,0,1] neg_lo:[0,0,1] neg_hi:[0,0,1]
	v_pk_fma_f32 v[70:71], v[70:71], v[58:59], v[80:81] op_sel_hi:[1,0,1]
	ds_load_2addr_b64 v[80:83], v74 offset0:17 offset1:18
	v_dual_mov_b32 v58, v72 :: v_dual_mov_b32 v59, v71
	s_wait_dscnt 0x0
	v_pk_mul_f32 v[84:85], v[80:81], v[70:71] op_sel:[0,1]
	s_delay_alu instid0(VALU_DEP_1) | instskip(SKIP_1) | instid1(VALU_DEP_1)
	v_pk_fma_f32 v[86:87], v[80:81], v[72:73], v[84:85] op_sel:[0,0,1] op_sel_hi:[1,1,0] neg_lo:[0,0,1] neg_hi:[0,0,1]
	v_pk_fma_f32 v[80:81], v[80:81], v[72:73], v[84:85] op_sel:[0,0,1] op_sel_hi:[1,0,0]
	v_mov_b32_e32 v87, v81
	v_pk_mul_f32 v[80:81], v[82:83], v[70:71] op_sel:[0,1]
	s_delay_alu instid0(VALU_DEP_1) | instskip(SKIP_1) | instid1(VALU_DEP_1)
	v_pk_fma_f32 v[84:85], v[82:83], v[72:73], v[80:81] op_sel:[0,0,1] op_sel_hi:[1,1,0] neg_lo:[0,0,1] neg_hi:[0,0,1]
	v_pk_fma_f32 v[80:81], v[82:83], v[72:73], v[80:81] op_sel:[0,0,1] op_sel_hi:[1,0,0]
	v_mov_b32_e32 v85, v81
	ds_load_2addr_b64 v[80:83], v74 offset0:19 offset1:20
	v_pk_add_f32 v[54:55], v[54:55], v[86:87] neg_lo:[0,1] neg_hi:[0,1]
	v_pk_add_f32 v[56:57], v[56:57], v[84:85] neg_lo:[0,1] neg_hi:[0,1]
	s_wait_dscnt 0x0
	v_pk_mul_f32 v[84:85], v[80:81], v[70:71] op_sel:[0,1]
	s_delay_alu instid0(VALU_DEP_1) | instskip(SKIP_2) | instid1(VALU_DEP_2)
	v_pk_fma_f32 v[86:87], v[80:81], v[72:73], v[84:85] op_sel:[0,0,1] op_sel_hi:[1,1,0] neg_lo:[0,0,1] neg_hi:[0,0,1]
	v_pk_fma_f32 v[80:81], v[80:81], v[72:73], v[84:85] op_sel:[0,0,1] op_sel_hi:[1,0,0]
	v_dual_mul_f32 v84, v83, v71 :: v_dual_mov_b32 v80, v83
	v_dual_mov_b32 v87, v81 :: v_dual_mov_b32 v81, v82
	s_delay_alu instid0(VALU_DEP_2) | instskip(SKIP_1) | instid1(VALU_DEP_3)
	v_pk_fma_f32 v[84:85], v[82:83], v[58:59], v[84:85] op_sel_hi:[1,1,0] neg_lo:[0,0,1] neg_hi:[0,0,1]
	v_mul_f32_e32 v82, v83, v72
	v_pk_add_f32 v[16:17], v[16:17], v[86:87] neg_lo:[0,1] neg_hi:[0,1]
	s_delay_alu instid0(VALU_DEP_2) | instskip(NEXT) | instid1(VALU_DEP_1)
	v_pk_fma_f32 v[80:81], v[80:81], v[58:59], v[82:83] op_sel_hi:[1,1,0]
	v_mov_b32_e32 v85, v81
	ds_load_2addr_b64 v[80:83], v74 offset0:21 offset1:22
	v_pk_add_f32 v[46:47], v[46:47], v[84:85] neg_lo:[0,1] neg_hi:[0,1]
	s_wait_dscnt 0x0
	v_pk_mul_f32 v[84:85], v[80:81], v[70:71] op_sel:[0,1]
	s_delay_alu instid0(VALU_DEP_1) | instskip(SKIP_1) | instid1(VALU_DEP_1)
	v_pk_fma_f32 v[86:87], v[80:81], v[72:73], v[84:85] op_sel:[0,0,1] op_sel_hi:[1,1,0] neg_lo:[0,0,1] neg_hi:[0,0,1]
	v_pk_fma_f32 v[80:81], v[80:81], v[72:73], v[84:85] op_sel:[0,0,1] op_sel_hi:[1,0,0]
	v_mov_b32_e32 v87, v81
	v_pk_mul_f32 v[80:81], v[82:83], v[70:71] op_sel:[0,1]
	s_delay_alu instid0(VALU_DEP_1) | instskip(SKIP_1) | instid1(VALU_DEP_1)
	v_pk_fma_f32 v[84:85], v[82:83], v[72:73], v[80:81] op_sel:[0,0,1] op_sel_hi:[1,1,0] neg_lo:[0,0,1] neg_hi:[0,0,1]
	v_pk_fma_f32 v[80:81], v[82:83], v[72:73], v[80:81] op_sel:[0,0,1] op_sel_hi:[1,0,0]
	v_mov_b32_e32 v85, v81
	ds_load_2addr_b64 v[80:83], v74 offset0:23 offset1:24
	v_pk_add_f32 v[42:43], v[42:43], v[86:87] neg_lo:[0,1] neg_hi:[0,1]
	v_pk_add_f32 v[44:45], v[44:45], v[84:85] neg_lo:[0,1] neg_hi:[0,1]
	s_wait_dscnt 0x0
	v_pk_mul_f32 v[84:85], v[80:81], v[70:71] op_sel:[0,1]
	s_delay_alu instid0(VALU_DEP_1) | instskip(SKIP_1) | instid1(VALU_DEP_1)
	v_pk_fma_f32 v[86:87], v[80:81], v[72:73], v[84:85] op_sel:[0,0,1] op_sel_hi:[1,1,0] neg_lo:[0,0,1] neg_hi:[0,0,1]
	v_pk_fma_f32 v[80:81], v[80:81], v[72:73], v[84:85] op_sel:[0,0,1] op_sel_hi:[1,0,0]
	v_mov_b32_e32 v87, v81
	v_pk_mul_f32 v[80:81], v[82:83], v[70:71] op_sel:[0,1]
	s_delay_alu instid0(VALU_DEP_1) | instskip(SKIP_1) | instid1(VALU_DEP_1)
	v_pk_fma_f32 v[84:85], v[82:83], v[72:73], v[80:81] op_sel:[0,0,1] op_sel_hi:[1,1,0] neg_lo:[0,0,1] neg_hi:[0,0,1]
	v_pk_fma_f32 v[80:81], v[82:83], v[72:73], v[80:81] op_sel:[0,0,1] op_sel_hi:[1,0,0]
	v_mov_b32_e32 v85, v81
	ds_load_2addr_b64 v[80:83], v74 offset0:25 offset1:26
	v_pk_add_f32 v[10:11], v[10:11], v[86:87] neg_lo:[0,1] neg_hi:[0,1]
	v_pk_add_f32 v[28:29], v[28:29], v[84:85] neg_lo:[0,1] neg_hi:[0,1]
	s_wait_dscnt 0x0
	v_dual_mul_f32 v84, v81, v71 :: v_dual_mul_f32 v86, v81, v72
	s_delay_alu instid0(VALU_DEP_1) | instskip(NEXT) | instid1(VALU_DEP_2)
	v_pk_fma_f32 v[84:85], v[80:81], v[58:59], v[84:85] op_sel_hi:[1,1,0] neg_lo:[0,0,1] neg_hi:[0,0,1]
	v_pk_fma_f32 v[80:81], v[80:81], v[58:59], v[86:87] op_sel:[1,0,0] op_sel_hi:[0,1,0]
	s_delay_alu instid0(VALU_DEP_1) | instskip(SKIP_1) | instid1(VALU_DEP_2)
	v_mov_b32_e32 v85, v81
	v_pk_mul_f32 v[80:81], v[82:83], v[70:71] op_sel:[0,1]
	v_pk_add_f32 v[24:25], v[24:25], v[84:85] neg_lo:[0,1] neg_hi:[0,1]
	s_delay_alu instid0(VALU_DEP_2) | instskip(SKIP_1) | instid1(VALU_DEP_1)
	v_pk_fma_f32 v[84:85], v[82:83], v[72:73], v[80:81] op_sel:[0,0,1] op_sel_hi:[1,1,0] neg_lo:[0,0,1] neg_hi:[0,0,1]
	v_pk_fma_f32 v[80:81], v[82:83], v[72:73], v[80:81] op_sel:[0,0,1] op_sel_hi:[1,0,0]
	v_mov_b32_e32 v85, v81
	ds_load_2addr_b64 v[80:83], v74 offset0:27 offset1:28
	v_pk_add_f32 v[26:27], v[26:27], v[84:85] neg_lo:[0,1] neg_hi:[0,1]
	s_wait_dscnt 0x0
	v_pk_mul_f32 v[84:85], v[80:81], v[70:71] op_sel:[0,1]
	s_delay_alu instid0(VALU_DEP_1) | instskip(SKIP_1) | instid1(VALU_DEP_1)
	v_pk_fma_f32 v[86:87], v[80:81], v[72:73], v[84:85] op_sel:[0,0,1] op_sel_hi:[1,1,0] neg_lo:[0,0,1] neg_hi:[0,0,1]
	v_pk_fma_f32 v[80:81], v[80:81], v[72:73], v[84:85] op_sel:[0,0,1] op_sel_hi:[1,0,0]
	v_mov_b32_e32 v87, v81
	v_pk_mul_f32 v[80:81], v[82:83], v[70:71] op_sel:[0,1]
	s_delay_alu instid0(VALU_DEP_2) | instskip(NEXT) | instid1(VALU_DEP_2)
	v_pk_add_f32 v[12:13], v[12:13], v[86:87] neg_lo:[0,1] neg_hi:[0,1]
	v_pk_fma_f32 v[84:85], v[82:83], v[72:73], v[80:81] op_sel:[0,0,1] op_sel_hi:[1,1,0] neg_lo:[0,0,1] neg_hi:[0,0,1]
	v_pk_fma_f32 v[80:81], v[82:83], v[72:73], v[80:81] op_sel:[0,0,1] op_sel_hi:[1,0,0]
	s_delay_alu instid0(VALU_DEP_1) | instskip(SKIP_4) | instid1(VALU_DEP_1)
	v_mov_b32_e32 v85, v81
	ds_load_2addr_b64 v[80:83], v74 offset0:29 offset1:30
	v_pk_add_f32 v[22:23], v[22:23], v[84:85] neg_lo:[0,1] neg_hi:[0,1]
	s_wait_dscnt 0x0
	v_pk_mul_f32 v[84:85], v[80:81], v[70:71] op_sel:[0,1]
	v_pk_fma_f32 v[86:87], v[80:81], v[72:73], v[84:85] op_sel:[0,0,1] op_sel_hi:[1,1,0] neg_lo:[0,0,1] neg_hi:[0,0,1]
	v_pk_fma_f32 v[80:81], v[80:81], v[72:73], v[84:85] op_sel:[0,0,1] op_sel_hi:[1,0,0]
	v_dual_mul_f32 v84, v83, v71 :: v_dual_mov_b32 v80, v83
	s_delay_alu instid0(VALU_DEP_2) | instskip(NEXT) | instid1(VALU_DEP_2)
	v_dual_mov_b32 v87, v81 :: v_dual_mov_b32 v81, v82
	v_pk_fma_f32 v[84:85], v[82:83], v[58:59], v[84:85] op_sel_hi:[1,1,0] neg_lo:[0,0,1] neg_hi:[0,0,1]
	v_mul_f32_e32 v82, v83, v72
	s_delay_alu instid0(VALU_DEP_3) | instskip(NEXT) | instid1(VALU_DEP_2)
	v_pk_add_f32 v[20:21], v[20:21], v[86:87] neg_lo:[0,1] neg_hi:[0,1]
	v_pk_fma_f32 v[80:81], v[80:81], v[58:59], v[82:83] op_sel_hi:[1,1,0]
	s_delay_alu instid0(VALU_DEP_1) | instskip(SKIP_4) | instid1(VALU_DEP_1)
	v_mov_b32_e32 v85, v81
	ds_load_b64 v[80:81], v74 offset:248
	v_pk_add_f32 v[18:19], v[18:19], v[84:85] neg_lo:[0,1] neg_hi:[0,1]
	s_wait_dscnt 0x0
	v_pk_mul_f32 v[70:71], v[80:81], v[70:71] op_sel:[0,1]
	v_pk_fma_f32 v[82:83], v[80:81], v[72:73], v[70:71] op_sel:[0,0,1] op_sel_hi:[1,1,0] neg_lo:[0,0,1] neg_hi:[0,0,1]
	v_pk_fma_f32 v[70:71], v[80:81], v[72:73], v[70:71] op_sel:[0,0,1] op_sel_hi:[1,0,0]
	s_delay_alu instid0(VALU_DEP_1) | instskip(NEXT) | instid1(VALU_DEP_1)
	v_mov_b32_e32 v83, v71
	v_pk_add_f32 v[68:69], v[68:69], v[82:83] neg_lo:[0,1] neg_hi:[0,1]
.LBB62_356:
	s_or_b32 exec_lo, exec_lo, s0
	v_lshl_add_u32 v70, v78, 3, v74
	s_barrier_signal -1
	s_barrier_wait -1
	ds_store_b64 v70, v[54:55]
	s_wait_dscnt 0x0
	s_barrier_signal -1
	s_barrier_wait -1
	ds_load_b64 v[70:71], v74 offset:136
	v_mov_b32_e32 v72, 17
	s_cmp_lt_i32 s18, 19
	s_cbranch_scc1 .LBB62_359
; %bb.357:
	v_add3_u32 v73, v75, 0, 0x90
	v_mov_b32_e32 v72, 17
	s_mov_b32 s0, 18
.LBB62_358:                             ; =>This Inner Loop Header: Depth=1
	ds_load_b64 v[80:81], v73
	s_wait_dscnt 0x1
	v_cmp_gt_f32_e32 vcc_lo, 0, v70
	v_cndmask_b32_e64 v82, v70, -v70, vcc_lo
	v_cmp_gt_f32_e32 vcc_lo, 0, v71
	v_cndmask_b32_e64 v84, v71, -v71, vcc_lo
	s_wait_dscnt 0x0
	v_cmp_gt_f32_e32 vcc_lo, 0, v80
	v_cndmask_b32_e64 v83, v80, -v80, vcc_lo
	v_cmp_gt_f32_e32 vcc_lo, 0, v81
	v_cndmask_b32_e64 v85, v81, -v81, vcc_lo
	s_delay_alu instid0(VALU_DEP_1) | instskip(NEXT) | instid1(VALU_DEP_1)
	v_pk_add_f32 v[82:83], v[82:83], v[84:85]
	v_cmp_lt_f32_e32 vcc_lo, v82, v83
	v_dual_cndmask_b32 v70, v70, v80 :: v_dual_add_nc_u32 v73, 8, v73
	v_cndmask_b32_e32 v71, v71, v81, vcc_lo
	v_cndmask_b32_e64 v72, v72, s0, vcc_lo
	s_add_co_i32 s0, s0, 1
	s_delay_alu instid0(SALU_CYCLE_1)
	s_cmp_lg_u32 s18, s0
	s_cbranch_scc1 .LBB62_358
.LBB62_359:
	s_wait_dscnt 0x0
	v_cmp_eq_f32_e32 vcc_lo, 0, v70
	v_cmp_eq_f32_e64 s0, 0, v71
	s_and_b32 s0, vcc_lo, s0
	s_delay_alu instid0(SALU_CYCLE_1) | instskip(NEXT) | instid1(SALU_CYCLE_1)
	s_and_saveexec_b32 s1, s0
	s_xor_b32 s0, exec_lo, s1
; %bb.360:
	v_cmp_ne_u32_e32 vcc_lo, 0, v76
	v_cndmask_b32_e32 v76, 18, v76, vcc_lo
; %bb.361:
	s_and_not1_saveexec_b32 s0, s0
	s_cbranch_execz .LBB62_367
; %bb.362:
	v_cmp_ngt_f32_e64 s1, |v70|, |v71|
	s_and_saveexec_b32 s12, s1
	s_delay_alu instid0(SALU_CYCLE_1)
	s_xor_b32 s1, exec_lo, s12
	s_cbranch_execz .LBB62_364
; %bb.363:
	v_div_scale_f32 v73, null, v71, v71, v70
	v_div_scale_f32 v81, vcc_lo, v70, v71, v70
	s_delay_alu instid0(VALU_DEP_2) | instskip(SKIP_1) | instid1(TRANS32_DEP_1)
	v_rcp_f32_e32 v79, v73
	v_nop
	v_fma_f32 v80, -v73, v79, 1.0
	s_delay_alu instid0(VALU_DEP_1) | instskip(NEXT) | instid1(VALU_DEP_1)
	v_fmac_f32_e32 v79, v80, v79
	v_mul_f32_e32 v80, v81, v79
	s_delay_alu instid0(VALU_DEP_1) | instskip(NEXT) | instid1(VALU_DEP_1)
	v_fma_f32 v82, -v73, v80, v81
	v_fmac_f32_e32 v80, v82, v79
	s_delay_alu instid0(VALU_DEP_1) | instskip(NEXT) | instid1(VALU_DEP_1)
	v_fma_f32 v73, -v73, v80, v81
	v_div_fmas_f32 v73, v73, v79, v80
	s_delay_alu instid0(VALU_DEP_1) | instskip(NEXT) | instid1(VALU_DEP_1)
	v_div_fixup_f32 v73, v73, v71, v70
	v_fmac_f32_e32 v71, v70, v73
	s_delay_alu instid0(VALU_DEP_1) | instskip(SKIP_1) | instid1(VALU_DEP_2)
	v_div_scale_f32 v70, null, v71, v71, 1.0
	v_div_scale_f32 v81, vcc_lo, 1.0, v71, 1.0
	v_rcp_f32_e32 v79, v70
	v_nop
	s_delay_alu instid0(TRANS32_DEP_1) | instskip(NEXT) | instid1(VALU_DEP_1)
	v_fma_f32 v80, -v70, v79, 1.0
	v_fmac_f32_e32 v79, v80, v79
	s_delay_alu instid0(VALU_DEP_1) | instskip(NEXT) | instid1(VALU_DEP_1)
	v_mul_f32_e32 v80, v81, v79
	v_fma_f32 v82, -v70, v80, v81
	s_delay_alu instid0(VALU_DEP_1) | instskip(NEXT) | instid1(VALU_DEP_1)
	v_fmac_f32_e32 v80, v82, v79
	v_fma_f32 v70, -v70, v80, v81
	s_delay_alu instid0(VALU_DEP_1) | instskip(NEXT) | instid1(VALU_DEP_1)
	v_div_fmas_f32 v70, v70, v79, v80
	v_div_fixup_f32 v71, v70, v71, 1.0
	s_delay_alu instid0(VALU_DEP_1)
	v_mul_f32_e32 v70, v73, v71
	v_xor_b32_e32 v71, 0x80000000, v71
.LBB62_364:
	s_and_not1_saveexec_b32 s1, s1
	s_cbranch_execz .LBB62_366
; %bb.365:
	s_delay_alu instid0(VALU_DEP_1) | instskip(SKIP_1) | instid1(VALU_DEP_2)
	v_div_scale_f32 v73, null, v70, v70, v71
	v_div_scale_f32 v81, vcc_lo, v71, v70, v71
	v_rcp_f32_e32 v79, v73
	v_nop
	s_delay_alu instid0(TRANS32_DEP_1) | instskip(NEXT) | instid1(VALU_DEP_1)
	v_fma_f32 v80, -v73, v79, 1.0
	v_fmac_f32_e32 v79, v80, v79
	s_delay_alu instid0(VALU_DEP_1) | instskip(NEXT) | instid1(VALU_DEP_1)
	v_mul_f32_e32 v80, v81, v79
	v_fma_f32 v82, -v73, v80, v81
	s_delay_alu instid0(VALU_DEP_1) | instskip(NEXT) | instid1(VALU_DEP_1)
	v_fmac_f32_e32 v80, v82, v79
	v_fma_f32 v73, -v73, v80, v81
	s_delay_alu instid0(VALU_DEP_1) | instskip(NEXT) | instid1(VALU_DEP_1)
	v_div_fmas_f32 v73, v73, v79, v80
	v_div_fixup_f32 v73, v73, v70, v71
	s_delay_alu instid0(VALU_DEP_1) | instskip(NEXT) | instid1(VALU_DEP_1)
	v_fmac_f32_e32 v70, v71, v73
	v_div_scale_f32 v71, null, v70, v70, 1.0
	s_delay_alu instid0(VALU_DEP_1) | instskip(SKIP_1) | instid1(TRANS32_DEP_1)
	v_rcp_f32_e32 v79, v71
	v_nop
	v_fma_f32 v80, -v71, v79, 1.0
	s_delay_alu instid0(VALU_DEP_1) | instskip(SKIP_1) | instid1(VALU_DEP_1)
	v_fmac_f32_e32 v79, v80, v79
	v_div_scale_f32 v80, vcc_lo, 1.0, v70, 1.0
	v_mul_f32_e32 v81, v80, v79
	s_delay_alu instid0(VALU_DEP_1) | instskip(NEXT) | instid1(VALU_DEP_1)
	v_fma_f32 v82, -v71, v81, v80
	v_fmac_f32_e32 v81, v82, v79
	s_delay_alu instid0(VALU_DEP_1) | instskip(NEXT) | instid1(VALU_DEP_1)
	v_fma_f32 v71, -v71, v81, v80
	v_div_fmas_f32 v71, v71, v79, v81
	s_delay_alu instid0(VALU_DEP_1) | instskip(NEXT) | instid1(VALU_DEP_1)
	v_div_fixup_f32 v70, v71, v70, 1.0
	v_mul_f32_e64 v71, v73, -v70
.LBB62_366:
	s_or_b32 exec_lo, exec_lo, s1
.LBB62_367:
	s_delay_alu instid0(SALU_CYCLE_1) | instskip(NEXT) | instid1(SALU_CYCLE_1)
	s_or_b32 exec_lo, exec_lo, s0
	s_mov_b32 s0, exec_lo
	v_cmpx_ne_u32_e64 v78, v72
	s_xor_b32 s0, exec_lo, s0
	s_cbranch_execz .LBB62_373
; %bb.368:
	s_mov_b32 s1, exec_lo
	v_cmpx_eq_u32_e32 17, v78
	s_cbranch_execz .LBB62_372
; %bb.369:
	v_cmp_ne_u32_e32 vcc_lo, 17, v72
	s_xor_b32 s12, s16, -1
	s_delay_alu instid0(SALU_CYCLE_1) | instskip(NEXT) | instid1(SALU_CYCLE_1)
	s_and_b32 s13, s12, vcc_lo
	s_and_saveexec_b32 s12, s13
	s_cbranch_execz .LBB62_371
; %bb.370:
	v_ashrrev_i32_e32 v73, 31, v72
	s_delay_alu instid0(VALU_DEP_1)
	v_lshl_add_u64 v[78:79], v[72:73], 2, v[4:5]
	s_clause 0x1
	global_load_b32 v73, v[78:79], off
	global_load_b32 v77, v[4:5], off offset:68
	s_wait_loadcnt 0x1
	global_store_b32 v[4:5], v73, off offset:68
	s_wait_loadcnt 0x0
	global_store_b32 v[78:79], v77, off
.LBB62_371:
	s_wait_xcnt 0x0
	s_or_b32 exec_lo, exec_lo, s12
	v_dual_mov_b32 v78, v72 :: v_dual_mov_b32 v77, v72
.LBB62_372:
	s_or_b32 exec_lo, exec_lo, s1
.LBB62_373:
	s_and_not1_saveexec_b32 s0, s0
	s_cbranch_execz .LBB62_375
; %bb.374:
	v_dual_mov_b32 v72, v56 :: v_dual_mov_b32 v73, v57
	v_dual_mov_b32 v78, v16 :: v_dual_mov_b32 v79, v17
	;; [unrolled: 1-line block ×4, first 2 shown]
	ds_store_2addr_b64 v74, v[72:73], v[78:79] offset0:18 offset1:19
	ds_store_2addr_b64 v74, v[80:81], v[82:83] offset0:20 offset1:21
	v_dual_mov_b32 v72, v44 :: v_dual_mov_b32 v73, v45
	v_dual_mov_b32 v80, v10 :: v_dual_mov_b32 v81, v11
	;; [unrolled: 1-line block ×9, first 2 shown]
	v_mov_b32_e32 v95, v19
	ds_store_2addr_b64 v74, v[72:73], v[80:81] offset0:22 offset1:23
	ds_store_2addr_b64 v74, v[82:83], v[84:85] offset0:24 offset1:25
	;; [unrolled: 1-line block ×5, first 2 shown]
.LBB62_375:
	s_or_b32 exec_lo, exec_lo, s0
	s_delay_alu instid0(SALU_CYCLE_1)
	s_mov_b32 s0, exec_lo
	s_wait_storecnt_dscnt 0x0
	s_barrier_signal -1
	s_barrier_wait -1
	v_cmpx_lt_i32_e32 17, v78
	s_cbranch_execz .LBB62_377
; %bb.376:
	v_pk_mul_f32 v[72:73], v[70:71], v[54:55] op_sel:[1,1] op_sel_hi:[0,1]
	s_delay_alu instid0(VALU_DEP_1)
	v_pk_fma_f32 v[80:81], v[70:71], v[54:55], v[72:73] op_sel_hi:[1,0,1] neg_lo:[0,0,1] neg_hi:[0,0,1]
	v_pk_fma_f32 v[82:83], v[70:71], v[54:55], v[72:73] op_sel_hi:[1,0,1]
	ds_load_2addr_b64 v[70:73], v74 offset0:18 offset1:19
	v_dual_mov_b32 v54, v80 :: v_dual_mov_b32 v55, v83
	s_wait_dscnt 0x0
	v_pk_mul_f32 v[84:85], v[70:71], v[82:83] op_sel:[0,1]
	s_delay_alu instid0(VALU_DEP_1) | instskip(SKIP_1) | instid1(VALU_DEP_1)
	v_pk_fma_f32 v[86:87], v[70:71], v[80:81], v[84:85] op_sel:[0,0,1] op_sel_hi:[1,1,0] neg_lo:[0,0,1] neg_hi:[0,0,1]
	v_pk_fma_f32 v[70:71], v[70:71], v[80:81], v[84:85] op_sel:[0,0,1] op_sel_hi:[1,0,0]
	v_mov_b32_e32 v87, v71
	v_pk_mul_f32 v[70:71], v[72:73], v[82:83] op_sel:[0,1]
	s_delay_alu instid0(VALU_DEP_1) | instskip(SKIP_1) | instid1(VALU_DEP_1)
	v_pk_fma_f32 v[84:85], v[72:73], v[80:81], v[70:71] op_sel:[0,0,1] op_sel_hi:[1,1,0] neg_lo:[0,0,1] neg_hi:[0,0,1]
	v_pk_fma_f32 v[70:71], v[72:73], v[80:81], v[70:71] op_sel:[0,0,1] op_sel_hi:[1,0,0]
	v_mov_b32_e32 v85, v71
	ds_load_2addr_b64 v[70:73], v74 offset0:20 offset1:21
	v_pk_add_f32 v[56:57], v[56:57], v[86:87] neg_lo:[0,1] neg_hi:[0,1]
	v_pk_add_f32 v[16:17], v[16:17], v[84:85] neg_lo:[0,1] neg_hi:[0,1]
	s_wait_dscnt 0x0
	v_pk_mul_f32 v[84:85], v[70:71], v[82:83] op_sel:[0,1]
	s_delay_alu instid0(VALU_DEP_1) | instskip(SKIP_2) | instid1(VALU_DEP_2)
	v_pk_fma_f32 v[86:87], v[70:71], v[80:81], v[84:85] op_sel:[0,0,1] op_sel_hi:[1,1,0] neg_lo:[0,0,1] neg_hi:[0,0,1]
	v_pk_fma_f32 v[70:71], v[70:71], v[80:81], v[84:85] op_sel:[0,0,1] op_sel_hi:[1,0,0]
	v_dual_mul_f32 v84, v73, v83 :: v_dual_mov_b32 v70, v73
	v_dual_mov_b32 v87, v71 :: v_dual_mov_b32 v71, v72
	s_delay_alu instid0(VALU_DEP_2) | instskip(SKIP_1) | instid1(VALU_DEP_3)
	v_pk_fma_f32 v[84:85], v[72:73], v[54:55], v[84:85] op_sel_hi:[1,1,0] neg_lo:[0,0,1] neg_hi:[0,0,1]
	v_mul_f32_e32 v72, v73, v80
	v_pk_add_f32 v[46:47], v[46:47], v[86:87] neg_lo:[0,1] neg_hi:[0,1]
	s_delay_alu instid0(VALU_DEP_2) | instskip(NEXT) | instid1(VALU_DEP_1)
	v_pk_fma_f32 v[70:71], v[70:71], v[54:55], v[72:73] op_sel_hi:[1,1,0]
	v_mov_b32_e32 v85, v71
	ds_load_2addr_b64 v[70:73], v74 offset0:22 offset1:23
	v_pk_add_f32 v[42:43], v[42:43], v[84:85] neg_lo:[0,1] neg_hi:[0,1]
	s_wait_dscnt 0x0
	v_pk_mul_f32 v[84:85], v[70:71], v[82:83] op_sel:[0,1]
	s_delay_alu instid0(VALU_DEP_1) | instskip(SKIP_1) | instid1(VALU_DEP_1)
	v_pk_fma_f32 v[86:87], v[70:71], v[80:81], v[84:85] op_sel:[0,0,1] op_sel_hi:[1,1,0] neg_lo:[0,0,1] neg_hi:[0,0,1]
	v_pk_fma_f32 v[70:71], v[70:71], v[80:81], v[84:85] op_sel:[0,0,1] op_sel_hi:[1,0,0]
	v_mov_b32_e32 v87, v71
	v_pk_mul_f32 v[70:71], v[72:73], v[82:83] op_sel:[0,1]
	s_delay_alu instid0(VALU_DEP_1) | instskip(SKIP_1) | instid1(VALU_DEP_1)
	v_pk_fma_f32 v[84:85], v[72:73], v[80:81], v[70:71] op_sel:[0,0,1] op_sel_hi:[1,1,0] neg_lo:[0,0,1] neg_hi:[0,0,1]
	v_pk_fma_f32 v[70:71], v[72:73], v[80:81], v[70:71] op_sel:[0,0,1] op_sel_hi:[1,0,0]
	v_mov_b32_e32 v85, v71
	ds_load_2addr_b64 v[70:73], v74 offset0:24 offset1:25
	v_pk_add_f32 v[44:45], v[44:45], v[86:87] neg_lo:[0,1] neg_hi:[0,1]
	v_pk_add_f32 v[10:11], v[10:11], v[84:85] neg_lo:[0,1] neg_hi:[0,1]
	s_wait_dscnt 0x0
	v_pk_mul_f32 v[84:85], v[70:71], v[82:83] op_sel:[0,1]
	s_delay_alu instid0(VALU_DEP_1) | instskip(SKIP_1) | instid1(VALU_DEP_1)
	v_pk_fma_f32 v[86:87], v[70:71], v[80:81], v[84:85] op_sel:[0,0,1] op_sel_hi:[1,1,0] neg_lo:[0,0,1] neg_hi:[0,0,1]
	v_pk_fma_f32 v[70:71], v[70:71], v[80:81], v[84:85] op_sel:[0,0,1] op_sel_hi:[1,0,0]
	v_mov_b32_e32 v87, v71
	v_pk_mul_f32 v[70:71], v[72:73], v[82:83] op_sel:[0,1]
	s_delay_alu instid0(VALU_DEP_1) | instskip(SKIP_1) | instid1(VALU_DEP_1)
	v_pk_fma_f32 v[84:85], v[72:73], v[80:81], v[70:71] op_sel:[0,0,1] op_sel_hi:[1,1,0] neg_lo:[0,0,1] neg_hi:[0,0,1]
	v_pk_fma_f32 v[70:71], v[72:73], v[80:81], v[70:71] op_sel:[0,0,1] op_sel_hi:[1,0,0]
	v_mov_b32_e32 v85, v71
	ds_load_2addr_b64 v[70:73], v74 offset0:26 offset1:27
	v_pk_add_f32 v[28:29], v[28:29], v[86:87] neg_lo:[0,1] neg_hi:[0,1]
	v_pk_add_f32 v[24:25], v[24:25], v[84:85] neg_lo:[0,1] neg_hi:[0,1]
	s_wait_dscnt 0x0
	v_dual_mul_f32 v84, v71, v83 :: v_dual_mul_f32 v86, v71, v80
	s_delay_alu instid0(VALU_DEP_1) | instskip(NEXT) | instid1(VALU_DEP_2)
	v_pk_fma_f32 v[84:85], v[70:71], v[54:55], v[84:85] op_sel_hi:[1,1,0] neg_lo:[0,0,1] neg_hi:[0,0,1]
	v_pk_fma_f32 v[70:71], v[70:71], v[54:55], v[86:87] op_sel:[1,0,0] op_sel_hi:[0,1,0]
	s_delay_alu instid0(VALU_DEP_1) | instskip(SKIP_1) | instid1(VALU_DEP_2)
	v_mov_b32_e32 v85, v71
	v_pk_mul_f32 v[70:71], v[72:73], v[82:83] op_sel:[0,1]
	v_pk_add_f32 v[26:27], v[26:27], v[84:85] neg_lo:[0,1] neg_hi:[0,1]
	s_delay_alu instid0(VALU_DEP_2) | instskip(SKIP_1) | instid1(VALU_DEP_1)
	v_pk_fma_f32 v[84:85], v[72:73], v[80:81], v[70:71] op_sel:[0,0,1] op_sel_hi:[1,1,0] neg_lo:[0,0,1] neg_hi:[0,0,1]
	v_pk_fma_f32 v[70:71], v[72:73], v[80:81], v[70:71] op_sel:[0,0,1] op_sel_hi:[1,0,0]
	v_mov_b32_e32 v85, v71
	ds_load_2addr_b64 v[70:73], v74 offset0:28 offset1:29
	v_pk_add_f32 v[12:13], v[12:13], v[84:85] neg_lo:[0,1] neg_hi:[0,1]
	s_wait_dscnt 0x0
	v_pk_mul_f32 v[84:85], v[70:71], v[82:83] op_sel:[0,1]
	s_delay_alu instid0(VALU_DEP_1) | instskip(SKIP_1) | instid1(VALU_DEP_1)
	v_pk_fma_f32 v[86:87], v[70:71], v[80:81], v[84:85] op_sel:[0,0,1] op_sel_hi:[1,1,0] neg_lo:[0,0,1] neg_hi:[0,0,1]
	v_pk_fma_f32 v[70:71], v[70:71], v[80:81], v[84:85] op_sel:[0,0,1] op_sel_hi:[1,0,0]
	v_mov_b32_e32 v87, v71
	v_pk_mul_f32 v[70:71], v[72:73], v[82:83] op_sel:[0,1]
	s_delay_alu instid0(VALU_DEP_2) | instskip(NEXT) | instid1(VALU_DEP_2)
	v_pk_add_f32 v[22:23], v[22:23], v[86:87] neg_lo:[0,1] neg_hi:[0,1]
	v_pk_fma_f32 v[84:85], v[72:73], v[80:81], v[70:71] op_sel:[0,0,1] op_sel_hi:[1,1,0] neg_lo:[0,0,1] neg_hi:[0,0,1]
	v_pk_fma_f32 v[70:71], v[72:73], v[80:81], v[70:71] op_sel:[0,0,1] op_sel_hi:[1,0,0]
	s_delay_alu instid0(VALU_DEP_1) | instskip(SKIP_4) | instid1(VALU_DEP_1)
	v_mov_b32_e32 v85, v71
	ds_load_2addr_b64 v[70:73], v74 offset0:30 offset1:31
	v_pk_add_f32 v[20:21], v[20:21], v[84:85] neg_lo:[0,1] neg_hi:[0,1]
	s_wait_dscnt 0x0
	v_pk_mul_f32 v[84:85], v[70:71], v[82:83] op_sel:[0,1]
	v_pk_fma_f32 v[86:87], v[70:71], v[80:81], v[84:85] op_sel:[0,0,1] op_sel_hi:[1,1,0] neg_lo:[0,0,1] neg_hi:[0,0,1]
	v_pk_fma_f32 v[70:71], v[70:71], v[80:81], v[84:85] op_sel:[0,0,1] op_sel_hi:[1,0,0]
	s_delay_alu instid0(VALU_DEP_1) | instskip(SKIP_1) | instid1(VALU_DEP_2)
	v_mov_b32_e32 v87, v71
	v_pk_mul_f32 v[70:71], v[72:73], v[82:83] op_sel:[0,1]
	v_pk_add_f32 v[18:19], v[18:19], v[86:87] neg_lo:[0,1] neg_hi:[0,1]
	s_delay_alu instid0(VALU_DEP_2) | instskip(SKIP_1) | instid1(VALU_DEP_1)
	v_pk_fma_f32 v[82:83], v[72:73], v[80:81], v[70:71] op_sel:[0,0,1] op_sel_hi:[1,1,0] neg_lo:[0,0,1] neg_hi:[0,0,1]
	v_pk_fma_f32 v[70:71], v[72:73], v[80:81], v[70:71] op_sel:[0,0,1] op_sel_hi:[1,0,0]
	v_mov_b32_e32 v83, v71
	s_delay_alu instid0(VALU_DEP_1)
	v_pk_add_f32 v[68:69], v[68:69], v[82:83] neg_lo:[0,1] neg_hi:[0,1]
.LBB62_377:
	s_or_b32 exec_lo, exec_lo, s0
	v_lshl_add_u32 v70, v78, 3, v74
	s_barrier_signal -1
	s_barrier_wait -1
	ds_store_b64 v70, v[56:57]
	s_wait_dscnt 0x0
	s_barrier_signal -1
	s_barrier_wait -1
	ds_load_b64 v[70:71], v74 offset:144
	v_mov_b32_e32 v72, 18
	s_cmp_lt_i32 s18, 20
	s_cbranch_scc1 .LBB62_380
; %bb.378:
	v_add3_u32 v73, v75, 0, 0x98
	v_mov_b32_e32 v72, 18
	s_mov_b32 s0, 19
.LBB62_379:                             ; =>This Inner Loop Header: Depth=1
	ds_load_b64 v[80:81], v73
	s_wait_dscnt 0x1
	v_cmp_gt_f32_e32 vcc_lo, 0, v70
	v_cndmask_b32_e64 v82, v70, -v70, vcc_lo
	v_cmp_gt_f32_e32 vcc_lo, 0, v71
	v_cndmask_b32_e64 v84, v71, -v71, vcc_lo
	s_wait_dscnt 0x0
	v_cmp_gt_f32_e32 vcc_lo, 0, v80
	v_cndmask_b32_e64 v83, v80, -v80, vcc_lo
	v_cmp_gt_f32_e32 vcc_lo, 0, v81
	v_cndmask_b32_e64 v85, v81, -v81, vcc_lo
	s_delay_alu instid0(VALU_DEP_1) | instskip(NEXT) | instid1(VALU_DEP_1)
	v_pk_add_f32 v[82:83], v[82:83], v[84:85]
	v_cmp_lt_f32_e32 vcc_lo, v82, v83
	v_dual_cndmask_b32 v70, v70, v80 :: v_dual_add_nc_u32 v73, 8, v73
	v_cndmask_b32_e32 v71, v71, v81, vcc_lo
	v_cndmask_b32_e64 v72, v72, s0, vcc_lo
	s_add_co_i32 s0, s0, 1
	s_delay_alu instid0(SALU_CYCLE_1)
	s_cmp_lg_u32 s18, s0
	s_cbranch_scc1 .LBB62_379
.LBB62_380:
	s_wait_dscnt 0x0
	v_cmp_eq_f32_e32 vcc_lo, 0, v70
	v_cmp_eq_f32_e64 s0, 0, v71
	s_and_b32 s0, vcc_lo, s0
	s_delay_alu instid0(SALU_CYCLE_1) | instskip(NEXT) | instid1(SALU_CYCLE_1)
	s_and_saveexec_b32 s1, s0
	s_xor_b32 s0, exec_lo, s1
; %bb.381:
	v_cmp_ne_u32_e32 vcc_lo, 0, v76
	v_cndmask_b32_e32 v76, 19, v76, vcc_lo
; %bb.382:
	s_and_not1_saveexec_b32 s0, s0
	s_cbranch_execz .LBB62_388
; %bb.383:
	v_cmp_ngt_f32_e64 s1, |v70|, |v71|
	s_and_saveexec_b32 s12, s1
	s_delay_alu instid0(SALU_CYCLE_1)
	s_xor_b32 s1, exec_lo, s12
	s_cbranch_execz .LBB62_385
; %bb.384:
	v_div_scale_f32 v73, null, v71, v71, v70
	v_div_scale_f32 v81, vcc_lo, v70, v71, v70
	s_delay_alu instid0(VALU_DEP_2) | instskip(SKIP_1) | instid1(TRANS32_DEP_1)
	v_rcp_f32_e32 v79, v73
	v_nop
	v_fma_f32 v80, -v73, v79, 1.0
	s_delay_alu instid0(VALU_DEP_1) | instskip(NEXT) | instid1(VALU_DEP_1)
	v_fmac_f32_e32 v79, v80, v79
	v_mul_f32_e32 v80, v81, v79
	s_delay_alu instid0(VALU_DEP_1) | instskip(NEXT) | instid1(VALU_DEP_1)
	v_fma_f32 v82, -v73, v80, v81
	v_fmac_f32_e32 v80, v82, v79
	s_delay_alu instid0(VALU_DEP_1) | instskip(NEXT) | instid1(VALU_DEP_1)
	v_fma_f32 v73, -v73, v80, v81
	v_div_fmas_f32 v73, v73, v79, v80
	s_delay_alu instid0(VALU_DEP_1) | instskip(NEXT) | instid1(VALU_DEP_1)
	v_div_fixup_f32 v73, v73, v71, v70
	v_fmac_f32_e32 v71, v70, v73
	s_delay_alu instid0(VALU_DEP_1) | instskip(SKIP_1) | instid1(VALU_DEP_2)
	v_div_scale_f32 v70, null, v71, v71, 1.0
	v_div_scale_f32 v81, vcc_lo, 1.0, v71, 1.0
	v_rcp_f32_e32 v79, v70
	v_nop
	s_delay_alu instid0(TRANS32_DEP_1) | instskip(NEXT) | instid1(VALU_DEP_1)
	v_fma_f32 v80, -v70, v79, 1.0
	v_fmac_f32_e32 v79, v80, v79
	s_delay_alu instid0(VALU_DEP_1) | instskip(NEXT) | instid1(VALU_DEP_1)
	v_mul_f32_e32 v80, v81, v79
	v_fma_f32 v82, -v70, v80, v81
	s_delay_alu instid0(VALU_DEP_1) | instskip(NEXT) | instid1(VALU_DEP_1)
	v_fmac_f32_e32 v80, v82, v79
	v_fma_f32 v70, -v70, v80, v81
	s_delay_alu instid0(VALU_DEP_1) | instskip(NEXT) | instid1(VALU_DEP_1)
	v_div_fmas_f32 v70, v70, v79, v80
	v_div_fixup_f32 v71, v70, v71, 1.0
	s_delay_alu instid0(VALU_DEP_1)
	v_mul_f32_e32 v70, v73, v71
	v_xor_b32_e32 v71, 0x80000000, v71
.LBB62_385:
	s_and_not1_saveexec_b32 s1, s1
	s_cbranch_execz .LBB62_387
; %bb.386:
	s_delay_alu instid0(VALU_DEP_1) | instskip(SKIP_1) | instid1(VALU_DEP_2)
	v_div_scale_f32 v73, null, v70, v70, v71
	v_div_scale_f32 v81, vcc_lo, v71, v70, v71
	v_rcp_f32_e32 v79, v73
	v_nop
	s_delay_alu instid0(TRANS32_DEP_1) | instskip(NEXT) | instid1(VALU_DEP_1)
	v_fma_f32 v80, -v73, v79, 1.0
	v_fmac_f32_e32 v79, v80, v79
	s_delay_alu instid0(VALU_DEP_1) | instskip(NEXT) | instid1(VALU_DEP_1)
	v_mul_f32_e32 v80, v81, v79
	v_fma_f32 v82, -v73, v80, v81
	s_delay_alu instid0(VALU_DEP_1) | instskip(NEXT) | instid1(VALU_DEP_1)
	v_fmac_f32_e32 v80, v82, v79
	v_fma_f32 v73, -v73, v80, v81
	s_delay_alu instid0(VALU_DEP_1) | instskip(NEXT) | instid1(VALU_DEP_1)
	v_div_fmas_f32 v73, v73, v79, v80
	v_div_fixup_f32 v73, v73, v70, v71
	s_delay_alu instid0(VALU_DEP_1) | instskip(NEXT) | instid1(VALU_DEP_1)
	v_fmac_f32_e32 v70, v71, v73
	v_div_scale_f32 v71, null, v70, v70, 1.0
	s_delay_alu instid0(VALU_DEP_1) | instskip(SKIP_1) | instid1(TRANS32_DEP_1)
	v_rcp_f32_e32 v79, v71
	v_nop
	v_fma_f32 v80, -v71, v79, 1.0
	s_delay_alu instid0(VALU_DEP_1) | instskip(SKIP_1) | instid1(VALU_DEP_1)
	v_fmac_f32_e32 v79, v80, v79
	v_div_scale_f32 v80, vcc_lo, 1.0, v70, 1.0
	v_mul_f32_e32 v81, v80, v79
	s_delay_alu instid0(VALU_DEP_1) | instskip(NEXT) | instid1(VALU_DEP_1)
	v_fma_f32 v82, -v71, v81, v80
	v_fmac_f32_e32 v81, v82, v79
	s_delay_alu instid0(VALU_DEP_1) | instskip(NEXT) | instid1(VALU_DEP_1)
	v_fma_f32 v71, -v71, v81, v80
	v_div_fmas_f32 v71, v71, v79, v81
	s_delay_alu instid0(VALU_DEP_1) | instskip(NEXT) | instid1(VALU_DEP_1)
	v_div_fixup_f32 v70, v71, v70, 1.0
	v_mul_f32_e64 v71, v73, -v70
.LBB62_387:
	s_or_b32 exec_lo, exec_lo, s1
.LBB62_388:
	s_delay_alu instid0(SALU_CYCLE_1) | instskip(NEXT) | instid1(SALU_CYCLE_1)
	s_or_b32 exec_lo, exec_lo, s0
	s_mov_b32 s0, exec_lo
	v_cmpx_ne_u32_e64 v78, v72
	s_xor_b32 s0, exec_lo, s0
	s_cbranch_execz .LBB62_394
; %bb.389:
	s_mov_b32 s1, exec_lo
	v_cmpx_eq_u32_e32 18, v78
	s_cbranch_execz .LBB62_393
; %bb.390:
	v_cmp_ne_u32_e32 vcc_lo, 18, v72
	s_xor_b32 s12, s16, -1
	s_delay_alu instid0(SALU_CYCLE_1) | instskip(NEXT) | instid1(SALU_CYCLE_1)
	s_and_b32 s13, s12, vcc_lo
	s_and_saveexec_b32 s12, s13
	s_cbranch_execz .LBB62_392
; %bb.391:
	v_ashrrev_i32_e32 v73, 31, v72
	s_delay_alu instid0(VALU_DEP_1)
	v_lshl_add_u64 v[78:79], v[72:73], 2, v[4:5]
	s_clause 0x1
	global_load_b32 v73, v[78:79], off
	global_load_b32 v77, v[4:5], off offset:72
	s_wait_loadcnt 0x1
	global_store_b32 v[4:5], v73, off offset:72
	s_wait_loadcnt 0x0
	global_store_b32 v[78:79], v77, off
.LBB62_392:
	s_wait_xcnt 0x0
	s_or_b32 exec_lo, exec_lo, s12
	v_dual_mov_b32 v78, v72 :: v_dual_mov_b32 v77, v72
.LBB62_393:
	s_or_b32 exec_lo, exec_lo, s1
.LBB62_394:
	s_and_not1_saveexec_b32 s0, s0
	s_cbranch_execz .LBB62_396
; %bb.395:
	v_mov_b32_e32 v78, 18
	ds_store_2addr_b64 v74, v[16:17], v[46:47] offset0:19 offset1:20
	ds_store_2addr_b64 v74, v[42:43], v[44:45] offset0:21 offset1:22
	;; [unrolled: 1-line block ×6, first 2 shown]
	ds_store_b64 v74, v[68:69] offset:248
.LBB62_396:
	s_or_b32 exec_lo, exec_lo, s0
	s_delay_alu instid0(SALU_CYCLE_1)
	s_mov_b32 s0, exec_lo
	s_wait_storecnt_dscnt 0x0
	s_barrier_signal -1
	s_barrier_wait -1
	v_cmpx_lt_i32_e32 18, v78
	s_cbranch_execz .LBB62_398
; %bb.397:
	v_pk_mul_f32 v[72:73], v[70:71], v[56:57] op_sel:[1,1] op_sel_hi:[0,1]
	s_delay_alu instid0(VALU_DEP_1)
	v_pk_fma_f32 v[80:81], v[70:71], v[56:57], v[72:73] op_sel_hi:[1,0,1] neg_lo:[0,0,1] neg_hi:[0,0,1]
	v_pk_fma_f32 v[82:83], v[70:71], v[56:57], v[72:73] op_sel_hi:[1,0,1]
	ds_load_2addr_b64 v[70:73], v74 offset0:19 offset1:20
	v_dual_mov_b32 v56, v80 :: v_dual_mov_b32 v57, v83
	s_wait_dscnt 0x0
	v_pk_mul_f32 v[84:85], v[70:71], v[82:83] op_sel:[0,1]
	s_delay_alu instid0(VALU_DEP_1) | instskip(SKIP_1) | instid1(VALU_DEP_1)
	v_pk_fma_f32 v[86:87], v[70:71], v[80:81], v[84:85] op_sel:[0,0,1] op_sel_hi:[1,1,0] neg_lo:[0,0,1] neg_hi:[0,0,1]
	v_pk_fma_f32 v[70:71], v[70:71], v[80:81], v[84:85] op_sel:[0,0,1] op_sel_hi:[1,0,0]
	v_mov_b32_e32 v87, v71
	v_pk_mul_f32 v[70:71], v[72:73], v[82:83] op_sel:[0,1]
	s_delay_alu instid0(VALU_DEP_1) | instskip(SKIP_1) | instid1(VALU_DEP_1)
	v_pk_fma_f32 v[84:85], v[72:73], v[80:81], v[70:71] op_sel:[0,0,1] op_sel_hi:[1,1,0] neg_lo:[0,0,1] neg_hi:[0,0,1]
	v_pk_fma_f32 v[70:71], v[72:73], v[80:81], v[70:71] op_sel:[0,0,1] op_sel_hi:[1,0,0]
	v_mov_b32_e32 v85, v71
	ds_load_2addr_b64 v[70:73], v74 offset0:21 offset1:22
	v_pk_add_f32 v[16:17], v[16:17], v[86:87] neg_lo:[0,1] neg_hi:[0,1]
	v_pk_add_f32 v[46:47], v[46:47], v[84:85] neg_lo:[0,1] neg_hi:[0,1]
	s_wait_dscnt 0x0
	v_pk_mul_f32 v[84:85], v[70:71], v[82:83] op_sel:[0,1]
	s_delay_alu instid0(VALU_DEP_1) | instskip(SKIP_2) | instid1(VALU_DEP_2)
	v_pk_fma_f32 v[86:87], v[70:71], v[80:81], v[84:85] op_sel:[0,0,1] op_sel_hi:[1,1,0] neg_lo:[0,0,1] neg_hi:[0,0,1]
	v_pk_fma_f32 v[70:71], v[70:71], v[80:81], v[84:85] op_sel:[0,0,1] op_sel_hi:[1,0,0]
	v_dual_mul_f32 v84, v73, v83 :: v_dual_mov_b32 v70, v73
	v_dual_mov_b32 v87, v71 :: v_dual_mov_b32 v71, v72
	s_delay_alu instid0(VALU_DEP_2) | instskip(SKIP_1) | instid1(VALU_DEP_3)
	v_pk_fma_f32 v[84:85], v[72:73], v[56:57], v[84:85] op_sel_hi:[1,1,0] neg_lo:[0,0,1] neg_hi:[0,0,1]
	v_mul_f32_e32 v72, v73, v80
	v_pk_add_f32 v[42:43], v[42:43], v[86:87] neg_lo:[0,1] neg_hi:[0,1]
	s_delay_alu instid0(VALU_DEP_2) | instskip(NEXT) | instid1(VALU_DEP_1)
	v_pk_fma_f32 v[70:71], v[70:71], v[56:57], v[72:73] op_sel_hi:[1,1,0]
	v_mov_b32_e32 v85, v71
	ds_load_2addr_b64 v[70:73], v74 offset0:23 offset1:24
	v_pk_add_f32 v[44:45], v[44:45], v[84:85] neg_lo:[0,1] neg_hi:[0,1]
	s_wait_dscnt 0x0
	v_pk_mul_f32 v[84:85], v[70:71], v[82:83] op_sel:[0,1]
	s_delay_alu instid0(VALU_DEP_1) | instskip(SKIP_1) | instid1(VALU_DEP_1)
	v_pk_fma_f32 v[86:87], v[70:71], v[80:81], v[84:85] op_sel:[0,0,1] op_sel_hi:[1,1,0] neg_lo:[0,0,1] neg_hi:[0,0,1]
	v_pk_fma_f32 v[70:71], v[70:71], v[80:81], v[84:85] op_sel:[0,0,1] op_sel_hi:[1,0,0]
	v_mov_b32_e32 v87, v71
	v_pk_mul_f32 v[70:71], v[72:73], v[82:83] op_sel:[0,1]
	s_delay_alu instid0(VALU_DEP_1) | instskip(SKIP_1) | instid1(VALU_DEP_1)
	v_pk_fma_f32 v[84:85], v[72:73], v[80:81], v[70:71] op_sel:[0,0,1] op_sel_hi:[1,1,0] neg_lo:[0,0,1] neg_hi:[0,0,1]
	v_pk_fma_f32 v[70:71], v[72:73], v[80:81], v[70:71] op_sel:[0,0,1] op_sel_hi:[1,0,0]
	v_mov_b32_e32 v85, v71
	ds_load_2addr_b64 v[70:73], v74 offset0:25 offset1:26
	v_pk_add_f32 v[10:11], v[10:11], v[86:87] neg_lo:[0,1] neg_hi:[0,1]
	v_pk_add_f32 v[28:29], v[28:29], v[84:85] neg_lo:[0,1] neg_hi:[0,1]
	s_wait_dscnt 0x0
	v_pk_mul_f32 v[84:85], v[70:71], v[82:83] op_sel:[0,1]
	s_delay_alu instid0(VALU_DEP_1) | instskip(SKIP_1) | instid1(VALU_DEP_1)
	v_pk_fma_f32 v[86:87], v[70:71], v[80:81], v[84:85] op_sel:[0,0,1] op_sel_hi:[1,1,0] neg_lo:[0,0,1] neg_hi:[0,0,1]
	v_pk_fma_f32 v[70:71], v[70:71], v[80:81], v[84:85] op_sel:[0,0,1] op_sel_hi:[1,0,0]
	v_mov_b32_e32 v87, v71
	v_pk_mul_f32 v[70:71], v[72:73], v[82:83] op_sel:[0,1]
	s_delay_alu instid0(VALU_DEP_1) | instskip(SKIP_1) | instid1(VALU_DEP_1)
	v_pk_fma_f32 v[84:85], v[72:73], v[80:81], v[70:71] op_sel:[0,0,1] op_sel_hi:[1,1,0] neg_lo:[0,0,1] neg_hi:[0,0,1]
	v_pk_fma_f32 v[70:71], v[72:73], v[80:81], v[70:71] op_sel:[0,0,1] op_sel_hi:[1,0,0]
	v_mov_b32_e32 v85, v71
	ds_load_2addr_b64 v[70:73], v74 offset0:27 offset1:28
	v_pk_add_f32 v[24:25], v[24:25], v[86:87] neg_lo:[0,1] neg_hi:[0,1]
	v_pk_add_f32 v[26:27], v[26:27], v[84:85] neg_lo:[0,1] neg_hi:[0,1]
	s_wait_dscnt 0x0
	v_dual_mul_f32 v84, v71, v83 :: v_dual_mul_f32 v86, v71, v80
	s_delay_alu instid0(VALU_DEP_1) | instskip(NEXT) | instid1(VALU_DEP_2)
	v_pk_fma_f32 v[84:85], v[70:71], v[56:57], v[84:85] op_sel_hi:[1,1,0] neg_lo:[0,0,1] neg_hi:[0,0,1]
	v_pk_fma_f32 v[70:71], v[70:71], v[56:57], v[86:87] op_sel:[1,0,0] op_sel_hi:[0,1,0]
	s_delay_alu instid0(VALU_DEP_1) | instskip(SKIP_1) | instid1(VALU_DEP_2)
	v_mov_b32_e32 v85, v71
	v_pk_mul_f32 v[70:71], v[72:73], v[82:83] op_sel:[0,1]
	v_pk_add_f32 v[12:13], v[12:13], v[84:85] neg_lo:[0,1] neg_hi:[0,1]
	s_delay_alu instid0(VALU_DEP_2) | instskip(SKIP_1) | instid1(VALU_DEP_1)
	v_pk_fma_f32 v[84:85], v[72:73], v[80:81], v[70:71] op_sel:[0,0,1] op_sel_hi:[1,1,0] neg_lo:[0,0,1] neg_hi:[0,0,1]
	v_pk_fma_f32 v[70:71], v[72:73], v[80:81], v[70:71] op_sel:[0,0,1] op_sel_hi:[1,0,0]
	v_mov_b32_e32 v85, v71
	ds_load_2addr_b64 v[70:73], v74 offset0:29 offset1:30
	v_pk_add_f32 v[22:23], v[22:23], v[84:85] neg_lo:[0,1] neg_hi:[0,1]
	s_wait_dscnt 0x0
	v_pk_mul_f32 v[84:85], v[70:71], v[82:83] op_sel:[0,1]
	s_delay_alu instid0(VALU_DEP_1) | instskip(SKIP_1) | instid1(VALU_DEP_1)
	v_pk_fma_f32 v[86:87], v[70:71], v[80:81], v[84:85] op_sel:[0,0,1] op_sel_hi:[1,1,0] neg_lo:[0,0,1] neg_hi:[0,0,1]
	v_pk_fma_f32 v[70:71], v[70:71], v[80:81], v[84:85] op_sel:[0,0,1] op_sel_hi:[1,0,0]
	v_mov_b32_e32 v87, v71
	v_pk_mul_f32 v[70:71], v[72:73], v[82:83] op_sel:[0,1]
	s_delay_alu instid0(VALU_DEP_2) | instskip(NEXT) | instid1(VALU_DEP_2)
	v_pk_add_f32 v[20:21], v[20:21], v[86:87] neg_lo:[0,1] neg_hi:[0,1]
	v_pk_fma_f32 v[84:85], v[72:73], v[80:81], v[70:71] op_sel:[0,0,1] op_sel_hi:[1,1,0] neg_lo:[0,0,1] neg_hi:[0,0,1]
	v_pk_fma_f32 v[70:71], v[72:73], v[80:81], v[70:71] op_sel:[0,0,1] op_sel_hi:[1,0,0]
	s_delay_alu instid0(VALU_DEP_1) | instskip(SKIP_4) | instid1(VALU_DEP_1)
	v_mov_b32_e32 v85, v71
	ds_load_b64 v[70:71], v74 offset:248
	v_pk_add_f32 v[18:19], v[18:19], v[84:85] neg_lo:[0,1] neg_hi:[0,1]
	s_wait_dscnt 0x0
	v_pk_mul_f32 v[72:73], v[70:71], v[82:83] op_sel:[0,1]
	v_pk_fma_f32 v[82:83], v[70:71], v[80:81], v[72:73] op_sel:[0,0,1] op_sel_hi:[1,1,0] neg_lo:[0,0,1] neg_hi:[0,0,1]
	v_pk_fma_f32 v[70:71], v[70:71], v[80:81], v[72:73] op_sel:[0,0,1] op_sel_hi:[1,0,0]
	s_delay_alu instid0(VALU_DEP_1) | instskip(NEXT) | instid1(VALU_DEP_1)
	v_mov_b32_e32 v83, v71
	v_pk_add_f32 v[68:69], v[68:69], v[82:83] neg_lo:[0,1] neg_hi:[0,1]
.LBB62_398:
	s_or_b32 exec_lo, exec_lo, s0
	v_lshl_add_u32 v70, v78, 3, v74
	s_barrier_signal -1
	s_barrier_wait -1
	ds_store_b64 v70, v[16:17]
	s_wait_dscnt 0x0
	s_barrier_signal -1
	s_barrier_wait -1
	ds_load_b64 v[70:71], v74 offset:152
	v_mov_b32_e32 v72, 19
	s_cmp_lt_i32 s18, 21
	s_cbranch_scc1 .LBB62_401
; %bb.399:
	v_add3_u32 v73, v75, 0, 0xa0
	v_mov_b32_e32 v72, 19
	s_mov_b32 s0, 20
.LBB62_400:                             ; =>This Inner Loop Header: Depth=1
	ds_load_b64 v[80:81], v73
	s_wait_dscnt 0x1
	v_cmp_gt_f32_e32 vcc_lo, 0, v70
	v_cndmask_b32_e64 v82, v70, -v70, vcc_lo
	v_cmp_gt_f32_e32 vcc_lo, 0, v71
	v_cndmask_b32_e64 v84, v71, -v71, vcc_lo
	s_wait_dscnt 0x0
	v_cmp_gt_f32_e32 vcc_lo, 0, v80
	v_cndmask_b32_e64 v83, v80, -v80, vcc_lo
	v_cmp_gt_f32_e32 vcc_lo, 0, v81
	v_cndmask_b32_e64 v85, v81, -v81, vcc_lo
	s_delay_alu instid0(VALU_DEP_1) | instskip(NEXT) | instid1(VALU_DEP_1)
	v_pk_add_f32 v[82:83], v[82:83], v[84:85]
	v_cmp_lt_f32_e32 vcc_lo, v82, v83
	v_dual_cndmask_b32 v70, v70, v80 :: v_dual_add_nc_u32 v73, 8, v73
	v_cndmask_b32_e32 v71, v71, v81, vcc_lo
	v_cndmask_b32_e64 v72, v72, s0, vcc_lo
	s_add_co_i32 s0, s0, 1
	s_delay_alu instid0(SALU_CYCLE_1)
	s_cmp_lg_u32 s18, s0
	s_cbranch_scc1 .LBB62_400
.LBB62_401:
	s_wait_dscnt 0x0
	v_cmp_eq_f32_e32 vcc_lo, 0, v70
	v_cmp_eq_f32_e64 s0, 0, v71
	s_and_b32 s0, vcc_lo, s0
	s_delay_alu instid0(SALU_CYCLE_1) | instskip(NEXT) | instid1(SALU_CYCLE_1)
	s_and_saveexec_b32 s1, s0
	s_xor_b32 s0, exec_lo, s1
; %bb.402:
	v_cmp_ne_u32_e32 vcc_lo, 0, v76
	v_cndmask_b32_e32 v76, 20, v76, vcc_lo
; %bb.403:
	s_and_not1_saveexec_b32 s0, s0
	s_cbranch_execz .LBB62_409
; %bb.404:
	v_cmp_ngt_f32_e64 s1, |v70|, |v71|
	s_and_saveexec_b32 s12, s1
	s_delay_alu instid0(SALU_CYCLE_1)
	s_xor_b32 s1, exec_lo, s12
	s_cbranch_execz .LBB62_406
; %bb.405:
	v_div_scale_f32 v73, null, v71, v71, v70
	v_div_scale_f32 v81, vcc_lo, v70, v71, v70
	s_delay_alu instid0(VALU_DEP_2) | instskip(SKIP_1) | instid1(TRANS32_DEP_1)
	v_rcp_f32_e32 v79, v73
	v_nop
	v_fma_f32 v80, -v73, v79, 1.0
	s_delay_alu instid0(VALU_DEP_1) | instskip(NEXT) | instid1(VALU_DEP_1)
	v_fmac_f32_e32 v79, v80, v79
	v_mul_f32_e32 v80, v81, v79
	s_delay_alu instid0(VALU_DEP_1) | instskip(NEXT) | instid1(VALU_DEP_1)
	v_fma_f32 v82, -v73, v80, v81
	v_fmac_f32_e32 v80, v82, v79
	s_delay_alu instid0(VALU_DEP_1) | instskip(NEXT) | instid1(VALU_DEP_1)
	v_fma_f32 v73, -v73, v80, v81
	v_div_fmas_f32 v73, v73, v79, v80
	s_delay_alu instid0(VALU_DEP_1) | instskip(NEXT) | instid1(VALU_DEP_1)
	v_div_fixup_f32 v73, v73, v71, v70
	v_fmac_f32_e32 v71, v70, v73
	s_delay_alu instid0(VALU_DEP_1) | instskip(SKIP_1) | instid1(VALU_DEP_2)
	v_div_scale_f32 v70, null, v71, v71, 1.0
	v_div_scale_f32 v81, vcc_lo, 1.0, v71, 1.0
	v_rcp_f32_e32 v79, v70
	v_nop
	s_delay_alu instid0(TRANS32_DEP_1) | instskip(NEXT) | instid1(VALU_DEP_1)
	v_fma_f32 v80, -v70, v79, 1.0
	v_fmac_f32_e32 v79, v80, v79
	s_delay_alu instid0(VALU_DEP_1) | instskip(NEXT) | instid1(VALU_DEP_1)
	v_mul_f32_e32 v80, v81, v79
	v_fma_f32 v82, -v70, v80, v81
	s_delay_alu instid0(VALU_DEP_1) | instskip(NEXT) | instid1(VALU_DEP_1)
	v_fmac_f32_e32 v80, v82, v79
	v_fma_f32 v70, -v70, v80, v81
	s_delay_alu instid0(VALU_DEP_1) | instskip(NEXT) | instid1(VALU_DEP_1)
	v_div_fmas_f32 v70, v70, v79, v80
	v_div_fixup_f32 v71, v70, v71, 1.0
	s_delay_alu instid0(VALU_DEP_1)
	v_mul_f32_e32 v70, v73, v71
	v_xor_b32_e32 v71, 0x80000000, v71
.LBB62_406:
	s_and_not1_saveexec_b32 s1, s1
	s_cbranch_execz .LBB62_408
; %bb.407:
	s_delay_alu instid0(VALU_DEP_1) | instskip(SKIP_1) | instid1(VALU_DEP_2)
	v_div_scale_f32 v73, null, v70, v70, v71
	v_div_scale_f32 v81, vcc_lo, v71, v70, v71
	v_rcp_f32_e32 v79, v73
	v_nop
	s_delay_alu instid0(TRANS32_DEP_1) | instskip(NEXT) | instid1(VALU_DEP_1)
	v_fma_f32 v80, -v73, v79, 1.0
	v_fmac_f32_e32 v79, v80, v79
	s_delay_alu instid0(VALU_DEP_1) | instskip(NEXT) | instid1(VALU_DEP_1)
	v_mul_f32_e32 v80, v81, v79
	v_fma_f32 v82, -v73, v80, v81
	s_delay_alu instid0(VALU_DEP_1) | instskip(NEXT) | instid1(VALU_DEP_1)
	v_fmac_f32_e32 v80, v82, v79
	v_fma_f32 v73, -v73, v80, v81
	s_delay_alu instid0(VALU_DEP_1) | instskip(NEXT) | instid1(VALU_DEP_1)
	v_div_fmas_f32 v73, v73, v79, v80
	v_div_fixup_f32 v73, v73, v70, v71
	s_delay_alu instid0(VALU_DEP_1) | instskip(NEXT) | instid1(VALU_DEP_1)
	v_fmac_f32_e32 v70, v71, v73
	v_div_scale_f32 v71, null, v70, v70, 1.0
	s_delay_alu instid0(VALU_DEP_1) | instskip(SKIP_1) | instid1(TRANS32_DEP_1)
	v_rcp_f32_e32 v79, v71
	v_nop
	v_fma_f32 v80, -v71, v79, 1.0
	s_delay_alu instid0(VALU_DEP_1) | instskip(SKIP_1) | instid1(VALU_DEP_1)
	v_fmac_f32_e32 v79, v80, v79
	v_div_scale_f32 v80, vcc_lo, 1.0, v70, 1.0
	v_mul_f32_e32 v81, v80, v79
	s_delay_alu instid0(VALU_DEP_1) | instskip(NEXT) | instid1(VALU_DEP_1)
	v_fma_f32 v82, -v71, v81, v80
	v_fmac_f32_e32 v81, v82, v79
	s_delay_alu instid0(VALU_DEP_1) | instskip(NEXT) | instid1(VALU_DEP_1)
	v_fma_f32 v71, -v71, v81, v80
	v_div_fmas_f32 v71, v71, v79, v81
	s_delay_alu instid0(VALU_DEP_1) | instskip(NEXT) | instid1(VALU_DEP_1)
	v_div_fixup_f32 v70, v71, v70, 1.0
	v_mul_f32_e64 v71, v73, -v70
.LBB62_408:
	s_or_b32 exec_lo, exec_lo, s1
.LBB62_409:
	s_delay_alu instid0(SALU_CYCLE_1) | instskip(NEXT) | instid1(SALU_CYCLE_1)
	s_or_b32 exec_lo, exec_lo, s0
	s_mov_b32 s0, exec_lo
	v_cmpx_ne_u32_e64 v78, v72
	s_xor_b32 s0, exec_lo, s0
	s_cbranch_execz .LBB62_415
; %bb.410:
	s_mov_b32 s1, exec_lo
	v_cmpx_eq_u32_e32 19, v78
	s_cbranch_execz .LBB62_414
; %bb.411:
	v_cmp_ne_u32_e32 vcc_lo, 19, v72
	s_xor_b32 s12, s16, -1
	s_delay_alu instid0(SALU_CYCLE_1) | instskip(NEXT) | instid1(SALU_CYCLE_1)
	s_and_b32 s13, s12, vcc_lo
	s_and_saveexec_b32 s12, s13
	s_cbranch_execz .LBB62_413
; %bb.412:
	v_ashrrev_i32_e32 v73, 31, v72
	s_delay_alu instid0(VALU_DEP_1)
	v_lshl_add_u64 v[78:79], v[72:73], 2, v[4:5]
	s_clause 0x1
	global_load_b32 v73, v[78:79], off
	global_load_b32 v77, v[4:5], off offset:76
	s_wait_loadcnt 0x1
	global_store_b32 v[4:5], v73, off offset:76
	s_wait_loadcnt 0x0
	global_store_b32 v[78:79], v77, off
.LBB62_413:
	s_wait_xcnt 0x0
	s_or_b32 exec_lo, exec_lo, s12
	v_dual_mov_b32 v78, v72 :: v_dual_mov_b32 v77, v72
.LBB62_414:
	s_or_b32 exec_lo, exec_lo, s1
.LBB62_415:
	s_and_not1_saveexec_b32 s0, s0
	s_cbranch_execz .LBB62_417
; %bb.416:
	v_dual_mov_b32 v72, v46 :: v_dual_mov_b32 v73, v47
	v_dual_mov_b32 v78, v42 :: v_dual_mov_b32 v79, v43
	;; [unrolled: 1-line block ×4, first 2 shown]
	ds_store_2addr_b64 v74, v[72:73], v[78:79] offset0:20 offset1:21
	ds_store_2addr_b64 v74, v[80:81], v[82:83] offset0:22 offset1:23
	v_dual_mov_b32 v72, v28 :: v_dual_mov_b32 v73, v29
	v_dual_mov_b32 v80, v24 :: v_dual_mov_b32 v81, v25
	;; [unrolled: 1-line block ×7, first 2 shown]
	v_mov_b32_e32 v91, v19
	ds_store_2addr_b64 v74, v[72:73], v[80:81] offset0:24 offset1:25
	ds_store_2addr_b64 v74, v[82:83], v[84:85] offset0:26 offset1:27
	;; [unrolled: 1-line block ×4, first 2 shown]
.LBB62_417:
	s_or_b32 exec_lo, exec_lo, s0
	s_delay_alu instid0(SALU_CYCLE_1)
	s_mov_b32 s0, exec_lo
	s_wait_storecnt_dscnt 0x0
	s_barrier_signal -1
	s_barrier_wait -1
	v_cmpx_lt_i32_e32 19, v78
	s_cbranch_execz .LBB62_419
; %bb.418:
	v_pk_mul_f32 v[72:73], v[70:71], v[16:17] op_sel:[1,1] op_sel_hi:[0,1]
	s_delay_alu instid0(VALU_DEP_1)
	v_pk_fma_f32 v[80:81], v[70:71], v[16:17], v[72:73] op_sel_hi:[1,0,1] neg_lo:[0,0,1] neg_hi:[0,0,1]
	v_pk_fma_f32 v[82:83], v[70:71], v[16:17], v[72:73] op_sel_hi:[1,0,1]
	ds_load_2addr_b64 v[70:73], v74 offset0:20 offset1:21
	v_dual_mov_b32 v16, v80 :: v_dual_mov_b32 v17, v83
	s_wait_dscnt 0x0
	v_pk_mul_f32 v[84:85], v[70:71], v[82:83] op_sel:[0,1]
	s_delay_alu instid0(VALU_DEP_1) | instskip(SKIP_1) | instid1(VALU_DEP_1)
	v_pk_fma_f32 v[86:87], v[70:71], v[80:81], v[84:85] op_sel:[0,0,1] op_sel_hi:[1,1,0] neg_lo:[0,0,1] neg_hi:[0,0,1]
	v_pk_fma_f32 v[70:71], v[70:71], v[80:81], v[84:85] op_sel:[0,0,1] op_sel_hi:[1,0,0]
	v_mov_b32_e32 v87, v71
	v_pk_mul_f32 v[70:71], v[72:73], v[82:83] op_sel:[0,1]
	s_delay_alu instid0(VALU_DEP_1) | instskip(SKIP_1) | instid1(VALU_DEP_1)
	v_pk_fma_f32 v[84:85], v[72:73], v[80:81], v[70:71] op_sel:[0,0,1] op_sel_hi:[1,1,0] neg_lo:[0,0,1] neg_hi:[0,0,1]
	v_pk_fma_f32 v[70:71], v[72:73], v[80:81], v[70:71] op_sel:[0,0,1] op_sel_hi:[1,0,0]
	v_mov_b32_e32 v85, v71
	ds_load_2addr_b64 v[70:73], v74 offset0:22 offset1:23
	v_pk_add_f32 v[46:47], v[46:47], v[86:87] neg_lo:[0,1] neg_hi:[0,1]
	v_pk_add_f32 v[42:43], v[42:43], v[84:85] neg_lo:[0,1] neg_hi:[0,1]
	s_wait_dscnt 0x0
	v_pk_mul_f32 v[84:85], v[70:71], v[82:83] op_sel:[0,1]
	s_delay_alu instid0(VALU_DEP_1) | instskip(SKIP_2) | instid1(VALU_DEP_2)
	v_pk_fma_f32 v[86:87], v[70:71], v[80:81], v[84:85] op_sel:[0,0,1] op_sel_hi:[1,1,0] neg_lo:[0,0,1] neg_hi:[0,0,1]
	v_pk_fma_f32 v[70:71], v[70:71], v[80:81], v[84:85] op_sel:[0,0,1] op_sel_hi:[1,0,0]
	v_dual_mul_f32 v84, v73, v83 :: v_dual_mov_b32 v70, v73
	v_dual_mov_b32 v87, v71 :: v_dual_mov_b32 v71, v72
	s_delay_alu instid0(VALU_DEP_2) | instskip(SKIP_1) | instid1(VALU_DEP_3)
	v_pk_fma_f32 v[84:85], v[72:73], v[16:17], v[84:85] op_sel_hi:[1,1,0] neg_lo:[0,0,1] neg_hi:[0,0,1]
	v_mul_f32_e32 v72, v73, v80
	v_pk_add_f32 v[44:45], v[44:45], v[86:87] neg_lo:[0,1] neg_hi:[0,1]
	s_delay_alu instid0(VALU_DEP_2) | instskip(NEXT) | instid1(VALU_DEP_1)
	v_pk_fma_f32 v[70:71], v[70:71], v[16:17], v[72:73] op_sel_hi:[1,1,0]
	v_mov_b32_e32 v85, v71
	ds_load_2addr_b64 v[70:73], v74 offset0:24 offset1:25
	v_pk_add_f32 v[10:11], v[10:11], v[84:85] neg_lo:[0,1] neg_hi:[0,1]
	s_wait_dscnt 0x0
	v_pk_mul_f32 v[84:85], v[70:71], v[82:83] op_sel:[0,1]
	s_delay_alu instid0(VALU_DEP_1) | instskip(SKIP_1) | instid1(VALU_DEP_1)
	v_pk_fma_f32 v[86:87], v[70:71], v[80:81], v[84:85] op_sel:[0,0,1] op_sel_hi:[1,1,0] neg_lo:[0,0,1] neg_hi:[0,0,1]
	v_pk_fma_f32 v[70:71], v[70:71], v[80:81], v[84:85] op_sel:[0,0,1] op_sel_hi:[1,0,0]
	v_mov_b32_e32 v87, v71
	v_pk_mul_f32 v[70:71], v[72:73], v[82:83] op_sel:[0,1]
	s_delay_alu instid0(VALU_DEP_1) | instskip(SKIP_1) | instid1(VALU_DEP_1)
	v_pk_fma_f32 v[84:85], v[72:73], v[80:81], v[70:71] op_sel:[0,0,1] op_sel_hi:[1,1,0] neg_lo:[0,0,1] neg_hi:[0,0,1]
	v_pk_fma_f32 v[70:71], v[72:73], v[80:81], v[70:71] op_sel:[0,0,1] op_sel_hi:[1,0,0]
	v_mov_b32_e32 v85, v71
	ds_load_2addr_b64 v[70:73], v74 offset0:26 offset1:27
	v_pk_add_f32 v[28:29], v[28:29], v[86:87] neg_lo:[0,1] neg_hi:[0,1]
	v_pk_add_f32 v[24:25], v[24:25], v[84:85] neg_lo:[0,1] neg_hi:[0,1]
	s_wait_dscnt 0x0
	v_pk_mul_f32 v[84:85], v[70:71], v[82:83] op_sel:[0,1]
	s_delay_alu instid0(VALU_DEP_1) | instskip(SKIP_1) | instid1(VALU_DEP_1)
	v_pk_fma_f32 v[86:87], v[70:71], v[80:81], v[84:85] op_sel:[0,0,1] op_sel_hi:[1,1,0] neg_lo:[0,0,1] neg_hi:[0,0,1]
	v_pk_fma_f32 v[70:71], v[70:71], v[80:81], v[84:85] op_sel:[0,0,1] op_sel_hi:[1,0,0]
	v_mov_b32_e32 v87, v71
	v_pk_mul_f32 v[70:71], v[72:73], v[82:83] op_sel:[0,1]
	s_delay_alu instid0(VALU_DEP_1) | instskip(SKIP_1) | instid1(VALU_DEP_1)
	v_pk_fma_f32 v[84:85], v[72:73], v[80:81], v[70:71] op_sel:[0,0,1] op_sel_hi:[1,1,0] neg_lo:[0,0,1] neg_hi:[0,0,1]
	v_pk_fma_f32 v[70:71], v[72:73], v[80:81], v[70:71] op_sel:[0,0,1] op_sel_hi:[1,0,0]
	v_mov_b32_e32 v85, v71
	ds_load_2addr_b64 v[70:73], v74 offset0:28 offset1:29
	v_pk_add_f32 v[26:27], v[26:27], v[86:87] neg_lo:[0,1] neg_hi:[0,1]
	v_pk_add_f32 v[12:13], v[12:13], v[84:85] neg_lo:[0,1] neg_hi:[0,1]
	s_wait_dscnt 0x0
	v_dual_mul_f32 v84, v71, v83 :: v_dual_mul_f32 v86, v71, v80
	s_delay_alu instid0(VALU_DEP_1) | instskip(NEXT) | instid1(VALU_DEP_2)
	v_pk_fma_f32 v[84:85], v[70:71], v[16:17], v[84:85] op_sel_hi:[1,1,0] neg_lo:[0,0,1] neg_hi:[0,0,1]
	v_pk_fma_f32 v[70:71], v[70:71], v[16:17], v[86:87] op_sel:[1,0,0] op_sel_hi:[0,1,0]
	s_delay_alu instid0(VALU_DEP_1) | instskip(SKIP_1) | instid1(VALU_DEP_2)
	v_mov_b32_e32 v85, v71
	v_pk_mul_f32 v[70:71], v[72:73], v[82:83] op_sel:[0,1]
	v_pk_add_f32 v[22:23], v[22:23], v[84:85] neg_lo:[0,1] neg_hi:[0,1]
	s_delay_alu instid0(VALU_DEP_2) | instskip(SKIP_1) | instid1(VALU_DEP_1)
	v_pk_fma_f32 v[84:85], v[72:73], v[80:81], v[70:71] op_sel:[0,0,1] op_sel_hi:[1,1,0] neg_lo:[0,0,1] neg_hi:[0,0,1]
	v_pk_fma_f32 v[70:71], v[72:73], v[80:81], v[70:71] op_sel:[0,0,1] op_sel_hi:[1,0,0]
	v_mov_b32_e32 v85, v71
	ds_load_2addr_b64 v[70:73], v74 offset0:30 offset1:31
	v_pk_add_f32 v[20:21], v[20:21], v[84:85] neg_lo:[0,1] neg_hi:[0,1]
	s_wait_dscnt 0x0
	v_pk_mul_f32 v[84:85], v[70:71], v[82:83] op_sel:[0,1]
	v_mul_f32_e32 v82, v73, v83
	s_delay_alu instid0(VALU_DEP_2) | instskip(SKIP_2) | instid1(VALU_DEP_4)
	v_pk_fma_f32 v[86:87], v[70:71], v[80:81], v[84:85] op_sel:[0,0,1] op_sel_hi:[1,1,0] neg_lo:[0,0,1] neg_hi:[0,0,1]
	v_pk_fma_f32 v[70:71], v[70:71], v[80:81], v[84:85] op_sel:[0,0,1] op_sel_hi:[1,0,0]
	v_mov_b32_e32 v70, v73
	v_pk_fma_f32 v[82:83], v[72:73], v[16:17], v[82:83] op_sel_hi:[1,1,0] neg_lo:[0,0,1] neg_hi:[0,0,1]
	s_delay_alu instid0(VALU_DEP_3) | instskip(SKIP_1) | instid1(VALU_DEP_2)
	v_dual_mov_b32 v87, v71 :: v_dual_mov_b32 v71, v72
	v_mul_f32_e32 v72, v73, v80
	v_pk_add_f32 v[18:19], v[18:19], v[86:87] neg_lo:[0,1] neg_hi:[0,1]
	s_delay_alu instid0(VALU_DEP_2) | instskip(NEXT) | instid1(VALU_DEP_1)
	v_pk_fma_f32 v[70:71], v[70:71], v[16:17], v[72:73] op_sel_hi:[1,1,0]
	v_mov_b32_e32 v83, v71
	s_delay_alu instid0(VALU_DEP_1)
	v_pk_add_f32 v[68:69], v[68:69], v[82:83] neg_lo:[0,1] neg_hi:[0,1]
.LBB62_419:
	s_or_b32 exec_lo, exec_lo, s0
	v_lshl_add_u32 v70, v78, 3, v74
	s_barrier_signal -1
	s_barrier_wait -1
	ds_store_b64 v70, v[46:47]
	s_wait_dscnt 0x0
	s_barrier_signal -1
	s_barrier_wait -1
	ds_load_b64 v[70:71], v74 offset:160
	v_mov_b32_e32 v72, 20
	s_cmp_lt_i32 s18, 22
	s_cbranch_scc1 .LBB62_422
; %bb.420:
	v_add3_u32 v73, v75, 0, 0xa8
	v_mov_b32_e32 v72, 20
	s_mov_b32 s0, 21
.LBB62_421:                             ; =>This Inner Loop Header: Depth=1
	ds_load_b64 v[80:81], v73
	s_wait_dscnt 0x1
	v_cmp_gt_f32_e32 vcc_lo, 0, v70
	v_cndmask_b32_e64 v82, v70, -v70, vcc_lo
	v_cmp_gt_f32_e32 vcc_lo, 0, v71
	v_cndmask_b32_e64 v84, v71, -v71, vcc_lo
	s_wait_dscnt 0x0
	v_cmp_gt_f32_e32 vcc_lo, 0, v80
	v_cndmask_b32_e64 v83, v80, -v80, vcc_lo
	v_cmp_gt_f32_e32 vcc_lo, 0, v81
	v_cndmask_b32_e64 v85, v81, -v81, vcc_lo
	s_delay_alu instid0(VALU_DEP_1) | instskip(NEXT) | instid1(VALU_DEP_1)
	v_pk_add_f32 v[82:83], v[82:83], v[84:85]
	v_cmp_lt_f32_e32 vcc_lo, v82, v83
	v_dual_cndmask_b32 v70, v70, v80 :: v_dual_add_nc_u32 v73, 8, v73
	v_cndmask_b32_e32 v71, v71, v81, vcc_lo
	v_cndmask_b32_e64 v72, v72, s0, vcc_lo
	s_add_co_i32 s0, s0, 1
	s_delay_alu instid0(SALU_CYCLE_1)
	s_cmp_lg_u32 s18, s0
	s_cbranch_scc1 .LBB62_421
.LBB62_422:
	s_wait_dscnt 0x0
	v_cmp_eq_f32_e32 vcc_lo, 0, v70
	v_cmp_eq_f32_e64 s0, 0, v71
	s_and_b32 s0, vcc_lo, s0
	s_delay_alu instid0(SALU_CYCLE_1) | instskip(NEXT) | instid1(SALU_CYCLE_1)
	s_and_saveexec_b32 s1, s0
	s_xor_b32 s0, exec_lo, s1
; %bb.423:
	v_cmp_ne_u32_e32 vcc_lo, 0, v76
	v_cndmask_b32_e32 v76, 21, v76, vcc_lo
; %bb.424:
	s_and_not1_saveexec_b32 s0, s0
	s_cbranch_execz .LBB62_430
; %bb.425:
	v_cmp_ngt_f32_e64 s1, |v70|, |v71|
	s_and_saveexec_b32 s12, s1
	s_delay_alu instid0(SALU_CYCLE_1)
	s_xor_b32 s1, exec_lo, s12
	s_cbranch_execz .LBB62_427
; %bb.426:
	v_div_scale_f32 v73, null, v71, v71, v70
	v_div_scale_f32 v81, vcc_lo, v70, v71, v70
	s_delay_alu instid0(VALU_DEP_2) | instskip(SKIP_1) | instid1(TRANS32_DEP_1)
	v_rcp_f32_e32 v79, v73
	v_nop
	v_fma_f32 v80, -v73, v79, 1.0
	s_delay_alu instid0(VALU_DEP_1) | instskip(NEXT) | instid1(VALU_DEP_1)
	v_fmac_f32_e32 v79, v80, v79
	v_mul_f32_e32 v80, v81, v79
	s_delay_alu instid0(VALU_DEP_1) | instskip(NEXT) | instid1(VALU_DEP_1)
	v_fma_f32 v82, -v73, v80, v81
	v_fmac_f32_e32 v80, v82, v79
	s_delay_alu instid0(VALU_DEP_1) | instskip(NEXT) | instid1(VALU_DEP_1)
	v_fma_f32 v73, -v73, v80, v81
	v_div_fmas_f32 v73, v73, v79, v80
	s_delay_alu instid0(VALU_DEP_1) | instskip(NEXT) | instid1(VALU_DEP_1)
	v_div_fixup_f32 v73, v73, v71, v70
	v_fmac_f32_e32 v71, v70, v73
	s_delay_alu instid0(VALU_DEP_1) | instskip(SKIP_1) | instid1(VALU_DEP_2)
	v_div_scale_f32 v70, null, v71, v71, 1.0
	v_div_scale_f32 v81, vcc_lo, 1.0, v71, 1.0
	v_rcp_f32_e32 v79, v70
	v_nop
	s_delay_alu instid0(TRANS32_DEP_1) | instskip(NEXT) | instid1(VALU_DEP_1)
	v_fma_f32 v80, -v70, v79, 1.0
	v_fmac_f32_e32 v79, v80, v79
	s_delay_alu instid0(VALU_DEP_1) | instskip(NEXT) | instid1(VALU_DEP_1)
	v_mul_f32_e32 v80, v81, v79
	v_fma_f32 v82, -v70, v80, v81
	s_delay_alu instid0(VALU_DEP_1) | instskip(NEXT) | instid1(VALU_DEP_1)
	v_fmac_f32_e32 v80, v82, v79
	v_fma_f32 v70, -v70, v80, v81
	s_delay_alu instid0(VALU_DEP_1) | instskip(NEXT) | instid1(VALU_DEP_1)
	v_div_fmas_f32 v70, v70, v79, v80
	v_div_fixup_f32 v71, v70, v71, 1.0
	s_delay_alu instid0(VALU_DEP_1)
	v_mul_f32_e32 v70, v73, v71
	v_xor_b32_e32 v71, 0x80000000, v71
.LBB62_427:
	s_and_not1_saveexec_b32 s1, s1
	s_cbranch_execz .LBB62_429
; %bb.428:
	s_delay_alu instid0(VALU_DEP_1) | instskip(SKIP_1) | instid1(VALU_DEP_2)
	v_div_scale_f32 v73, null, v70, v70, v71
	v_div_scale_f32 v81, vcc_lo, v71, v70, v71
	v_rcp_f32_e32 v79, v73
	v_nop
	s_delay_alu instid0(TRANS32_DEP_1) | instskip(NEXT) | instid1(VALU_DEP_1)
	v_fma_f32 v80, -v73, v79, 1.0
	v_fmac_f32_e32 v79, v80, v79
	s_delay_alu instid0(VALU_DEP_1) | instskip(NEXT) | instid1(VALU_DEP_1)
	v_mul_f32_e32 v80, v81, v79
	v_fma_f32 v82, -v73, v80, v81
	s_delay_alu instid0(VALU_DEP_1) | instskip(NEXT) | instid1(VALU_DEP_1)
	v_fmac_f32_e32 v80, v82, v79
	v_fma_f32 v73, -v73, v80, v81
	s_delay_alu instid0(VALU_DEP_1) | instskip(NEXT) | instid1(VALU_DEP_1)
	v_div_fmas_f32 v73, v73, v79, v80
	v_div_fixup_f32 v73, v73, v70, v71
	s_delay_alu instid0(VALU_DEP_1) | instskip(NEXT) | instid1(VALU_DEP_1)
	v_fmac_f32_e32 v70, v71, v73
	v_div_scale_f32 v71, null, v70, v70, 1.0
	s_delay_alu instid0(VALU_DEP_1) | instskip(SKIP_1) | instid1(TRANS32_DEP_1)
	v_rcp_f32_e32 v79, v71
	v_nop
	v_fma_f32 v80, -v71, v79, 1.0
	s_delay_alu instid0(VALU_DEP_1) | instskip(SKIP_1) | instid1(VALU_DEP_1)
	v_fmac_f32_e32 v79, v80, v79
	v_div_scale_f32 v80, vcc_lo, 1.0, v70, 1.0
	v_mul_f32_e32 v81, v80, v79
	s_delay_alu instid0(VALU_DEP_1) | instskip(NEXT) | instid1(VALU_DEP_1)
	v_fma_f32 v82, -v71, v81, v80
	v_fmac_f32_e32 v81, v82, v79
	s_delay_alu instid0(VALU_DEP_1) | instskip(NEXT) | instid1(VALU_DEP_1)
	v_fma_f32 v71, -v71, v81, v80
	v_div_fmas_f32 v71, v71, v79, v81
	s_delay_alu instid0(VALU_DEP_1) | instskip(NEXT) | instid1(VALU_DEP_1)
	v_div_fixup_f32 v70, v71, v70, 1.0
	v_mul_f32_e64 v71, v73, -v70
.LBB62_429:
	s_or_b32 exec_lo, exec_lo, s1
.LBB62_430:
	s_delay_alu instid0(SALU_CYCLE_1) | instskip(NEXT) | instid1(SALU_CYCLE_1)
	s_or_b32 exec_lo, exec_lo, s0
	s_mov_b32 s0, exec_lo
	v_cmpx_ne_u32_e64 v78, v72
	s_xor_b32 s0, exec_lo, s0
	s_cbranch_execz .LBB62_436
; %bb.431:
	s_mov_b32 s1, exec_lo
	v_cmpx_eq_u32_e32 20, v78
	s_cbranch_execz .LBB62_435
; %bb.432:
	v_cmp_ne_u32_e32 vcc_lo, 20, v72
	s_xor_b32 s12, s16, -1
	s_delay_alu instid0(SALU_CYCLE_1) | instskip(NEXT) | instid1(SALU_CYCLE_1)
	s_and_b32 s13, s12, vcc_lo
	s_and_saveexec_b32 s12, s13
	s_cbranch_execz .LBB62_434
; %bb.433:
	v_ashrrev_i32_e32 v73, 31, v72
	s_delay_alu instid0(VALU_DEP_1)
	v_lshl_add_u64 v[78:79], v[72:73], 2, v[4:5]
	s_clause 0x1
	global_load_b32 v73, v[78:79], off
	global_load_b32 v77, v[4:5], off offset:80
	s_wait_loadcnt 0x1
	global_store_b32 v[4:5], v73, off offset:80
	s_wait_loadcnt 0x0
	global_store_b32 v[78:79], v77, off
.LBB62_434:
	s_wait_xcnt 0x0
	s_or_b32 exec_lo, exec_lo, s12
	v_dual_mov_b32 v78, v72 :: v_dual_mov_b32 v77, v72
.LBB62_435:
	s_or_b32 exec_lo, exec_lo, s1
.LBB62_436:
	s_and_not1_saveexec_b32 s0, s0
	s_cbranch_execz .LBB62_438
; %bb.437:
	v_mov_b32_e32 v78, 20
	ds_store_2addr_b64 v74, v[42:43], v[44:45] offset0:21 offset1:22
	ds_store_2addr_b64 v74, v[10:11], v[28:29] offset0:23 offset1:24
	;; [unrolled: 1-line block ×5, first 2 shown]
	ds_store_b64 v74, v[68:69] offset:248
.LBB62_438:
	s_or_b32 exec_lo, exec_lo, s0
	s_delay_alu instid0(SALU_CYCLE_1)
	s_mov_b32 s0, exec_lo
	s_wait_storecnt_dscnt 0x0
	s_barrier_signal -1
	s_barrier_wait -1
	v_cmpx_lt_i32_e32 20, v78
	s_cbranch_execz .LBB62_440
; %bb.439:
	v_pk_mul_f32 v[72:73], v[70:71], v[46:47] op_sel:[1,1] op_sel_hi:[0,1]
	s_delay_alu instid0(VALU_DEP_1)
	v_pk_fma_f32 v[80:81], v[70:71], v[46:47], v[72:73] op_sel_hi:[1,0,1] neg_lo:[0,0,1] neg_hi:[0,0,1]
	v_pk_fma_f32 v[82:83], v[70:71], v[46:47], v[72:73] op_sel_hi:[1,0,1]
	ds_load_2addr_b64 v[70:73], v74 offset0:21 offset1:22
	v_dual_mov_b32 v46, v80 :: v_dual_mov_b32 v47, v83
	s_wait_dscnt 0x0
	v_pk_mul_f32 v[84:85], v[70:71], v[82:83] op_sel:[0,1]
	s_delay_alu instid0(VALU_DEP_1) | instskip(SKIP_1) | instid1(VALU_DEP_1)
	v_pk_fma_f32 v[86:87], v[70:71], v[80:81], v[84:85] op_sel:[0,0,1] op_sel_hi:[1,1,0] neg_lo:[0,0,1] neg_hi:[0,0,1]
	v_pk_fma_f32 v[70:71], v[70:71], v[80:81], v[84:85] op_sel:[0,0,1] op_sel_hi:[1,0,0]
	v_mov_b32_e32 v87, v71
	v_pk_mul_f32 v[70:71], v[72:73], v[82:83] op_sel:[0,1]
	s_delay_alu instid0(VALU_DEP_1) | instskip(SKIP_1) | instid1(VALU_DEP_1)
	v_pk_fma_f32 v[84:85], v[72:73], v[80:81], v[70:71] op_sel:[0,0,1] op_sel_hi:[1,1,0] neg_lo:[0,0,1] neg_hi:[0,0,1]
	v_pk_fma_f32 v[70:71], v[72:73], v[80:81], v[70:71] op_sel:[0,0,1] op_sel_hi:[1,0,0]
	v_mov_b32_e32 v85, v71
	ds_load_2addr_b64 v[70:73], v74 offset0:23 offset1:24
	v_pk_add_f32 v[42:43], v[42:43], v[86:87] neg_lo:[0,1] neg_hi:[0,1]
	v_pk_add_f32 v[44:45], v[44:45], v[84:85] neg_lo:[0,1] neg_hi:[0,1]
	s_wait_dscnt 0x0
	v_pk_mul_f32 v[84:85], v[70:71], v[82:83] op_sel:[0,1]
	s_delay_alu instid0(VALU_DEP_1) | instskip(SKIP_2) | instid1(VALU_DEP_2)
	v_pk_fma_f32 v[86:87], v[70:71], v[80:81], v[84:85] op_sel:[0,0,1] op_sel_hi:[1,1,0] neg_lo:[0,0,1] neg_hi:[0,0,1]
	v_pk_fma_f32 v[70:71], v[70:71], v[80:81], v[84:85] op_sel:[0,0,1] op_sel_hi:[1,0,0]
	v_dual_mul_f32 v84, v73, v83 :: v_dual_mov_b32 v70, v73
	v_dual_mov_b32 v87, v71 :: v_dual_mov_b32 v71, v72
	s_delay_alu instid0(VALU_DEP_2) | instskip(SKIP_1) | instid1(VALU_DEP_3)
	v_pk_fma_f32 v[84:85], v[72:73], v[46:47], v[84:85] op_sel_hi:[1,1,0] neg_lo:[0,0,1] neg_hi:[0,0,1]
	v_mul_f32_e32 v72, v73, v80
	v_pk_add_f32 v[10:11], v[10:11], v[86:87] neg_lo:[0,1] neg_hi:[0,1]
	s_delay_alu instid0(VALU_DEP_2) | instskip(NEXT) | instid1(VALU_DEP_1)
	v_pk_fma_f32 v[70:71], v[70:71], v[46:47], v[72:73] op_sel_hi:[1,1,0]
	v_mov_b32_e32 v85, v71
	ds_load_2addr_b64 v[70:73], v74 offset0:25 offset1:26
	v_pk_add_f32 v[28:29], v[28:29], v[84:85] neg_lo:[0,1] neg_hi:[0,1]
	s_wait_dscnt 0x0
	v_pk_mul_f32 v[84:85], v[70:71], v[82:83] op_sel:[0,1]
	s_delay_alu instid0(VALU_DEP_1) | instskip(SKIP_1) | instid1(VALU_DEP_1)
	v_pk_fma_f32 v[86:87], v[70:71], v[80:81], v[84:85] op_sel:[0,0,1] op_sel_hi:[1,1,0] neg_lo:[0,0,1] neg_hi:[0,0,1]
	v_pk_fma_f32 v[70:71], v[70:71], v[80:81], v[84:85] op_sel:[0,0,1] op_sel_hi:[1,0,0]
	v_mov_b32_e32 v87, v71
	v_pk_mul_f32 v[70:71], v[72:73], v[82:83] op_sel:[0,1]
	s_delay_alu instid0(VALU_DEP_1) | instskip(SKIP_1) | instid1(VALU_DEP_1)
	v_pk_fma_f32 v[84:85], v[72:73], v[80:81], v[70:71] op_sel:[0,0,1] op_sel_hi:[1,1,0] neg_lo:[0,0,1] neg_hi:[0,0,1]
	v_pk_fma_f32 v[70:71], v[72:73], v[80:81], v[70:71] op_sel:[0,0,1] op_sel_hi:[1,0,0]
	v_mov_b32_e32 v85, v71
	ds_load_2addr_b64 v[70:73], v74 offset0:27 offset1:28
	v_pk_add_f32 v[24:25], v[24:25], v[86:87] neg_lo:[0,1] neg_hi:[0,1]
	v_pk_add_f32 v[26:27], v[26:27], v[84:85] neg_lo:[0,1] neg_hi:[0,1]
	s_wait_dscnt 0x0
	v_pk_mul_f32 v[84:85], v[70:71], v[82:83] op_sel:[0,1]
	s_delay_alu instid0(VALU_DEP_1) | instskip(SKIP_1) | instid1(VALU_DEP_1)
	v_pk_fma_f32 v[86:87], v[70:71], v[80:81], v[84:85] op_sel:[0,0,1] op_sel_hi:[1,1,0] neg_lo:[0,0,1] neg_hi:[0,0,1]
	v_pk_fma_f32 v[70:71], v[70:71], v[80:81], v[84:85] op_sel:[0,0,1] op_sel_hi:[1,0,0]
	v_mov_b32_e32 v87, v71
	v_pk_mul_f32 v[70:71], v[72:73], v[82:83] op_sel:[0,1]
	s_delay_alu instid0(VALU_DEP_1) | instskip(SKIP_1) | instid1(VALU_DEP_1)
	v_pk_fma_f32 v[84:85], v[72:73], v[80:81], v[70:71] op_sel:[0,0,1] op_sel_hi:[1,1,0] neg_lo:[0,0,1] neg_hi:[0,0,1]
	v_pk_fma_f32 v[70:71], v[72:73], v[80:81], v[70:71] op_sel:[0,0,1] op_sel_hi:[1,0,0]
	v_mov_b32_e32 v85, v71
	ds_load_2addr_b64 v[70:73], v74 offset0:29 offset1:30
	v_pk_add_f32 v[12:13], v[12:13], v[86:87] neg_lo:[0,1] neg_hi:[0,1]
	v_pk_add_f32 v[22:23], v[22:23], v[84:85] neg_lo:[0,1] neg_hi:[0,1]
	s_wait_dscnt 0x0
	v_dual_mul_f32 v84, v71, v83 :: v_dual_mul_f32 v86, v71, v80
	s_delay_alu instid0(VALU_DEP_1) | instskip(NEXT) | instid1(VALU_DEP_2)
	v_pk_fma_f32 v[84:85], v[70:71], v[46:47], v[84:85] op_sel_hi:[1,1,0] neg_lo:[0,0,1] neg_hi:[0,0,1]
	v_pk_fma_f32 v[70:71], v[70:71], v[46:47], v[86:87] op_sel:[1,0,0] op_sel_hi:[0,1,0]
	s_delay_alu instid0(VALU_DEP_1) | instskip(SKIP_1) | instid1(VALU_DEP_2)
	v_mov_b32_e32 v85, v71
	v_pk_mul_f32 v[70:71], v[72:73], v[82:83] op_sel:[0,1]
	v_pk_add_f32 v[20:21], v[20:21], v[84:85] neg_lo:[0,1] neg_hi:[0,1]
	s_delay_alu instid0(VALU_DEP_2) | instskip(SKIP_1) | instid1(VALU_DEP_1)
	v_pk_fma_f32 v[84:85], v[72:73], v[80:81], v[70:71] op_sel:[0,0,1] op_sel_hi:[1,1,0] neg_lo:[0,0,1] neg_hi:[0,0,1]
	v_pk_fma_f32 v[70:71], v[72:73], v[80:81], v[70:71] op_sel:[0,0,1] op_sel_hi:[1,0,0]
	v_mov_b32_e32 v85, v71
	ds_load_b64 v[70:71], v74 offset:248
	v_pk_add_f32 v[18:19], v[18:19], v[84:85] neg_lo:[0,1] neg_hi:[0,1]
	s_wait_dscnt 0x0
	v_pk_mul_f32 v[72:73], v[70:71], v[82:83] op_sel:[0,1]
	s_delay_alu instid0(VALU_DEP_1) | instskip(SKIP_1) | instid1(VALU_DEP_1)
	v_pk_fma_f32 v[82:83], v[70:71], v[80:81], v[72:73] op_sel:[0,0,1] op_sel_hi:[1,1,0] neg_lo:[0,0,1] neg_hi:[0,0,1]
	v_pk_fma_f32 v[70:71], v[70:71], v[80:81], v[72:73] op_sel:[0,0,1] op_sel_hi:[1,0,0]
	v_mov_b32_e32 v83, v71
	s_delay_alu instid0(VALU_DEP_1)
	v_pk_add_f32 v[68:69], v[68:69], v[82:83] neg_lo:[0,1] neg_hi:[0,1]
.LBB62_440:
	s_or_b32 exec_lo, exec_lo, s0
	v_lshl_add_u32 v70, v78, 3, v74
	s_barrier_signal -1
	s_barrier_wait -1
	ds_store_b64 v70, v[42:43]
	s_wait_dscnt 0x0
	s_barrier_signal -1
	s_barrier_wait -1
	ds_load_b64 v[70:71], v74 offset:168
	v_mov_b32_e32 v72, 21
	s_cmp_lt_i32 s18, 23
	s_cbranch_scc1 .LBB62_443
; %bb.441:
	v_add3_u32 v73, v75, 0, 0xb0
	v_mov_b32_e32 v72, 21
	s_mov_b32 s0, 22
.LBB62_442:                             ; =>This Inner Loop Header: Depth=1
	ds_load_b64 v[80:81], v73
	s_wait_dscnt 0x1
	v_cmp_gt_f32_e32 vcc_lo, 0, v70
	v_cndmask_b32_e64 v82, v70, -v70, vcc_lo
	v_cmp_gt_f32_e32 vcc_lo, 0, v71
	v_cndmask_b32_e64 v84, v71, -v71, vcc_lo
	s_wait_dscnt 0x0
	v_cmp_gt_f32_e32 vcc_lo, 0, v80
	v_cndmask_b32_e64 v83, v80, -v80, vcc_lo
	v_cmp_gt_f32_e32 vcc_lo, 0, v81
	v_cndmask_b32_e64 v85, v81, -v81, vcc_lo
	s_delay_alu instid0(VALU_DEP_1) | instskip(NEXT) | instid1(VALU_DEP_1)
	v_pk_add_f32 v[82:83], v[82:83], v[84:85]
	v_cmp_lt_f32_e32 vcc_lo, v82, v83
	v_dual_cndmask_b32 v70, v70, v80 :: v_dual_add_nc_u32 v73, 8, v73
	v_cndmask_b32_e32 v71, v71, v81, vcc_lo
	v_cndmask_b32_e64 v72, v72, s0, vcc_lo
	s_add_co_i32 s0, s0, 1
	s_delay_alu instid0(SALU_CYCLE_1)
	s_cmp_lg_u32 s18, s0
	s_cbranch_scc1 .LBB62_442
.LBB62_443:
	s_wait_dscnt 0x0
	v_cmp_eq_f32_e32 vcc_lo, 0, v70
	v_cmp_eq_f32_e64 s0, 0, v71
	s_and_b32 s0, vcc_lo, s0
	s_delay_alu instid0(SALU_CYCLE_1) | instskip(NEXT) | instid1(SALU_CYCLE_1)
	s_and_saveexec_b32 s1, s0
	s_xor_b32 s0, exec_lo, s1
; %bb.444:
	v_cmp_ne_u32_e32 vcc_lo, 0, v76
	v_cndmask_b32_e32 v76, 22, v76, vcc_lo
; %bb.445:
	s_and_not1_saveexec_b32 s0, s0
	s_cbranch_execz .LBB62_451
; %bb.446:
	v_cmp_ngt_f32_e64 s1, |v70|, |v71|
	s_and_saveexec_b32 s12, s1
	s_delay_alu instid0(SALU_CYCLE_1)
	s_xor_b32 s1, exec_lo, s12
	s_cbranch_execz .LBB62_448
; %bb.447:
	v_div_scale_f32 v73, null, v71, v71, v70
	v_div_scale_f32 v81, vcc_lo, v70, v71, v70
	s_delay_alu instid0(VALU_DEP_2) | instskip(SKIP_1) | instid1(TRANS32_DEP_1)
	v_rcp_f32_e32 v79, v73
	v_nop
	v_fma_f32 v80, -v73, v79, 1.0
	s_delay_alu instid0(VALU_DEP_1) | instskip(NEXT) | instid1(VALU_DEP_1)
	v_fmac_f32_e32 v79, v80, v79
	v_mul_f32_e32 v80, v81, v79
	s_delay_alu instid0(VALU_DEP_1) | instskip(NEXT) | instid1(VALU_DEP_1)
	v_fma_f32 v82, -v73, v80, v81
	v_fmac_f32_e32 v80, v82, v79
	s_delay_alu instid0(VALU_DEP_1) | instskip(NEXT) | instid1(VALU_DEP_1)
	v_fma_f32 v73, -v73, v80, v81
	v_div_fmas_f32 v73, v73, v79, v80
	s_delay_alu instid0(VALU_DEP_1) | instskip(NEXT) | instid1(VALU_DEP_1)
	v_div_fixup_f32 v73, v73, v71, v70
	v_fmac_f32_e32 v71, v70, v73
	s_delay_alu instid0(VALU_DEP_1) | instskip(SKIP_1) | instid1(VALU_DEP_2)
	v_div_scale_f32 v70, null, v71, v71, 1.0
	v_div_scale_f32 v81, vcc_lo, 1.0, v71, 1.0
	v_rcp_f32_e32 v79, v70
	v_nop
	s_delay_alu instid0(TRANS32_DEP_1) | instskip(NEXT) | instid1(VALU_DEP_1)
	v_fma_f32 v80, -v70, v79, 1.0
	v_fmac_f32_e32 v79, v80, v79
	s_delay_alu instid0(VALU_DEP_1) | instskip(NEXT) | instid1(VALU_DEP_1)
	v_mul_f32_e32 v80, v81, v79
	v_fma_f32 v82, -v70, v80, v81
	s_delay_alu instid0(VALU_DEP_1) | instskip(NEXT) | instid1(VALU_DEP_1)
	v_fmac_f32_e32 v80, v82, v79
	v_fma_f32 v70, -v70, v80, v81
	s_delay_alu instid0(VALU_DEP_1) | instskip(NEXT) | instid1(VALU_DEP_1)
	v_div_fmas_f32 v70, v70, v79, v80
	v_div_fixup_f32 v71, v70, v71, 1.0
	s_delay_alu instid0(VALU_DEP_1)
	v_mul_f32_e32 v70, v73, v71
	v_xor_b32_e32 v71, 0x80000000, v71
.LBB62_448:
	s_and_not1_saveexec_b32 s1, s1
	s_cbranch_execz .LBB62_450
; %bb.449:
	s_delay_alu instid0(VALU_DEP_1) | instskip(SKIP_1) | instid1(VALU_DEP_2)
	v_div_scale_f32 v73, null, v70, v70, v71
	v_div_scale_f32 v81, vcc_lo, v71, v70, v71
	v_rcp_f32_e32 v79, v73
	v_nop
	s_delay_alu instid0(TRANS32_DEP_1) | instskip(NEXT) | instid1(VALU_DEP_1)
	v_fma_f32 v80, -v73, v79, 1.0
	v_fmac_f32_e32 v79, v80, v79
	s_delay_alu instid0(VALU_DEP_1) | instskip(NEXT) | instid1(VALU_DEP_1)
	v_mul_f32_e32 v80, v81, v79
	v_fma_f32 v82, -v73, v80, v81
	s_delay_alu instid0(VALU_DEP_1) | instskip(NEXT) | instid1(VALU_DEP_1)
	v_fmac_f32_e32 v80, v82, v79
	v_fma_f32 v73, -v73, v80, v81
	s_delay_alu instid0(VALU_DEP_1) | instskip(NEXT) | instid1(VALU_DEP_1)
	v_div_fmas_f32 v73, v73, v79, v80
	v_div_fixup_f32 v73, v73, v70, v71
	s_delay_alu instid0(VALU_DEP_1) | instskip(NEXT) | instid1(VALU_DEP_1)
	v_fmac_f32_e32 v70, v71, v73
	v_div_scale_f32 v71, null, v70, v70, 1.0
	s_delay_alu instid0(VALU_DEP_1) | instskip(SKIP_1) | instid1(TRANS32_DEP_1)
	v_rcp_f32_e32 v79, v71
	v_nop
	v_fma_f32 v80, -v71, v79, 1.0
	s_delay_alu instid0(VALU_DEP_1) | instskip(SKIP_1) | instid1(VALU_DEP_1)
	v_fmac_f32_e32 v79, v80, v79
	v_div_scale_f32 v80, vcc_lo, 1.0, v70, 1.0
	v_mul_f32_e32 v81, v80, v79
	s_delay_alu instid0(VALU_DEP_1) | instskip(NEXT) | instid1(VALU_DEP_1)
	v_fma_f32 v82, -v71, v81, v80
	v_fmac_f32_e32 v81, v82, v79
	s_delay_alu instid0(VALU_DEP_1) | instskip(NEXT) | instid1(VALU_DEP_1)
	v_fma_f32 v71, -v71, v81, v80
	v_div_fmas_f32 v71, v71, v79, v81
	s_delay_alu instid0(VALU_DEP_1) | instskip(NEXT) | instid1(VALU_DEP_1)
	v_div_fixup_f32 v70, v71, v70, 1.0
	v_mul_f32_e64 v71, v73, -v70
.LBB62_450:
	s_or_b32 exec_lo, exec_lo, s1
.LBB62_451:
	s_delay_alu instid0(SALU_CYCLE_1) | instskip(NEXT) | instid1(SALU_CYCLE_1)
	s_or_b32 exec_lo, exec_lo, s0
	s_mov_b32 s0, exec_lo
	v_cmpx_ne_u32_e64 v78, v72
	s_xor_b32 s0, exec_lo, s0
	s_cbranch_execz .LBB62_457
; %bb.452:
	s_mov_b32 s1, exec_lo
	v_cmpx_eq_u32_e32 21, v78
	s_cbranch_execz .LBB62_456
; %bb.453:
	v_cmp_ne_u32_e32 vcc_lo, 21, v72
	s_xor_b32 s12, s16, -1
	s_delay_alu instid0(SALU_CYCLE_1) | instskip(NEXT) | instid1(SALU_CYCLE_1)
	s_and_b32 s13, s12, vcc_lo
	s_and_saveexec_b32 s12, s13
	s_cbranch_execz .LBB62_455
; %bb.454:
	v_ashrrev_i32_e32 v73, 31, v72
	s_delay_alu instid0(VALU_DEP_1)
	v_lshl_add_u64 v[78:79], v[72:73], 2, v[4:5]
	s_clause 0x1
	global_load_b32 v73, v[78:79], off
	global_load_b32 v77, v[4:5], off offset:84
	s_wait_loadcnt 0x1
	global_store_b32 v[4:5], v73, off offset:84
	s_wait_loadcnt 0x0
	global_store_b32 v[78:79], v77, off
.LBB62_455:
	s_wait_xcnt 0x0
	s_or_b32 exec_lo, exec_lo, s12
	v_dual_mov_b32 v78, v72 :: v_dual_mov_b32 v77, v72
.LBB62_456:
	s_or_b32 exec_lo, exec_lo, s1
.LBB62_457:
	s_and_not1_saveexec_b32 s0, s0
	s_cbranch_execz .LBB62_459
; %bb.458:
	v_dual_mov_b32 v72, v44 :: v_dual_mov_b32 v73, v45
	v_dual_mov_b32 v80, v10 :: v_dual_mov_b32 v81, v11
	;; [unrolled: 1-line block ×9, first 2 shown]
	v_mov_b32_e32 v95, v19
	ds_store_2addr_b64 v74, v[72:73], v[80:81] offset0:22 offset1:23
	ds_store_2addr_b64 v74, v[82:83], v[84:85] offset0:24 offset1:25
	ds_store_2addr_b64 v74, v[86:87], v[88:89] offset0:26 offset1:27
	ds_store_2addr_b64 v74, v[90:91], v[92:93] offset0:28 offset1:29
	ds_store_2addr_b64 v74, v[94:95], v[68:69] offset0:30 offset1:31
.LBB62_459:
	s_or_b32 exec_lo, exec_lo, s0
	s_delay_alu instid0(SALU_CYCLE_1)
	s_mov_b32 s0, exec_lo
	s_wait_storecnt_dscnt 0x0
	s_barrier_signal -1
	s_barrier_wait -1
	v_cmpx_lt_i32_e32 21, v78
	s_cbranch_execz .LBB62_461
; %bb.460:
	v_pk_mul_f32 v[72:73], v[70:71], v[42:43] op_sel:[1,1] op_sel_hi:[0,1]
	s_delay_alu instid0(VALU_DEP_1)
	v_pk_fma_f32 v[80:81], v[70:71], v[42:43], v[72:73] op_sel_hi:[1,0,1] neg_lo:[0,0,1] neg_hi:[0,0,1]
	v_pk_fma_f32 v[82:83], v[70:71], v[42:43], v[72:73] op_sel_hi:[1,0,1]
	ds_load_2addr_b64 v[70:73], v74 offset0:22 offset1:23
	v_dual_mov_b32 v42, v80 :: v_dual_mov_b32 v43, v83
	s_wait_dscnt 0x0
	v_pk_mul_f32 v[84:85], v[70:71], v[82:83] op_sel:[0,1]
	s_delay_alu instid0(VALU_DEP_1) | instskip(SKIP_1) | instid1(VALU_DEP_1)
	v_pk_fma_f32 v[86:87], v[70:71], v[80:81], v[84:85] op_sel:[0,0,1] op_sel_hi:[1,1,0] neg_lo:[0,0,1] neg_hi:[0,0,1]
	v_pk_fma_f32 v[70:71], v[70:71], v[80:81], v[84:85] op_sel:[0,0,1] op_sel_hi:[1,0,0]
	v_mov_b32_e32 v87, v71
	v_pk_mul_f32 v[70:71], v[72:73], v[82:83] op_sel:[0,1]
	s_delay_alu instid0(VALU_DEP_1) | instskip(SKIP_1) | instid1(VALU_DEP_1)
	v_pk_fma_f32 v[84:85], v[72:73], v[80:81], v[70:71] op_sel:[0,0,1] op_sel_hi:[1,1,0] neg_lo:[0,0,1] neg_hi:[0,0,1]
	v_pk_fma_f32 v[70:71], v[72:73], v[80:81], v[70:71] op_sel:[0,0,1] op_sel_hi:[1,0,0]
	v_mov_b32_e32 v85, v71
	ds_load_2addr_b64 v[70:73], v74 offset0:24 offset1:25
	v_pk_add_f32 v[44:45], v[44:45], v[86:87] neg_lo:[0,1] neg_hi:[0,1]
	v_pk_add_f32 v[10:11], v[10:11], v[84:85] neg_lo:[0,1] neg_hi:[0,1]
	s_wait_dscnt 0x0
	v_pk_mul_f32 v[84:85], v[70:71], v[82:83] op_sel:[0,1]
	s_delay_alu instid0(VALU_DEP_1) | instskip(SKIP_2) | instid1(VALU_DEP_2)
	v_pk_fma_f32 v[86:87], v[70:71], v[80:81], v[84:85] op_sel:[0,0,1] op_sel_hi:[1,1,0] neg_lo:[0,0,1] neg_hi:[0,0,1]
	v_pk_fma_f32 v[70:71], v[70:71], v[80:81], v[84:85] op_sel:[0,0,1] op_sel_hi:[1,0,0]
	v_dual_mul_f32 v84, v73, v83 :: v_dual_mov_b32 v70, v73
	v_dual_mov_b32 v87, v71 :: v_dual_mov_b32 v71, v72
	s_delay_alu instid0(VALU_DEP_2) | instskip(SKIP_1) | instid1(VALU_DEP_3)
	v_pk_fma_f32 v[84:85], v[72:73], v[42:43], v[84:85] op_sel_hi:[1,1,0] neg_lo:[0,0,1] neg_hi:[0,0,1]
	v_mul_f32_e32 v72, v73, v80
	v_pk_add_f32 v[28:29], v[28:29], v[86:87] neg_lo:[0,1] neg_hi:[0,1]
	s_delay_alu instid0(VALU_DEP_2) | instskip(NEXT) | instid1(VALU_DEP_1)
	v_pk_fma_f32 v[70:71], v[70:71], v[42:43], v[72:73] op_sel_hi:[1,1,0]
	v_mov_b32_e32 v85, v71
	ds_load_2addr_b64 v[70:73], v74 offset0:26 offset1:27
	v_pk_add_f32 v[24:25], v[24:25], v[84:85] neg_lo:[0,1] neg_hi:[0,1]
	s_wait_dscnt 0x0
	v_pk_mul_f32 v[84:85], v[70:71], v[82:83] op_sel:[0,1]
	s_delay_alu instid0(VALU_DEP_1) | instskip(SKIP_1) | instid1(VALU_DEP_1)
	v_pk_fma_f32 v[86:87], v[70:71], v[80:81], v[84:85] op_sel:[0,0,1] op_sel_hi:[1,1,0] neg_lo:[0,0,1] neg_hi:[0,0,1]
	v_pk_fma_f32 v[70:71], v[70:71], v[80:81], v[84:85] op_sel:[0,0,1] op_sel_hi:[1,0,0]
	v_mov_b32_e32 v87, v71
	v_pk_mul_f32 v[70:71], v[72:73], v[82:83] op_sel:[0,1]
	s_delay_alu instid0(VALU_DEP_1) | instskip(SKIP_1) | instid1(VALU_DEP_1)
	v_pk_fma_f32 v[84:85], v[72:73], v[80:81], v[70:71] op_sel:[0,0,1] op_sel_hi:[1,1,0] neg_lo:[0,0,1] neg_hi:[0,0,1]
	v_pk_fma_f32 v[70:71], v[72:73], v[80:81], v[70:71] op_sel:[0,0,1] op_sel_hi:[1,0,0]
	v_mov_b32_e32 v85, v71
	ds_load_2addr_b64 v[70:73], v74 offset0:28 offset1:29
	v_pk_add_f32 v[26:27], v[26:27], v[86:87] neg_lo:[0,1] neg_hi:[0,1]
	v_pk_add_f32 v[12:13], v[12:13], v[84:85] neg_lo:[0,1] neg_hi:[0,1]
	s_wait_dscnt 0x0
	v_pk_mul_f32 v[84:85], v[70:71], v[82:83] op_sel:[0,1]
	s_delay_alu instid0(VALU_DEP_1) | instskip(SKIP_1) | instid1(VALU_DEP_1)
	v_pk_fma_f32 v[86:87], v[70:71], v[80:81], v[84:85] op_sel:[0,0,1] op_sel_hi:[1,1,0] neg_lo:[0,0,1] neg_hi:[0,0,1]
	v_pk_fma_f32 v[70:71], v[70:71], v[80:81], v[84:85] op_sel:[0,0,1] op_sel_hi:[1,0,0]
	v_mov_b32_e32 v87, v71
	v_pk_mul_f32 v[70:71], v[72:73], v[82:83] op_sel:[0,1]
	s_delay_alu instid0(VALU_DEP_1) | instskip(SKIP_1) | instid1(VALU_DEP_1)
	v_pk_fma_f32 v[84:85], v[72:73], v[80:81], v[70:71] op_sel:[0,0,1] op_sel_hi:[1,1,0] neg_lo:[0,0,1] neg_hi:[0,0,1]
	v_pk_fma_f32 v[70:71], v[72:73], v[80:81], v[70:71] op_sel:[0,0,1] op_sel_hi:[1,0,0]
	v_mov_b32_e32 v85, v71
	ds_load_2addr_b64 v[70:73], v74 offset0:30 offset1:31
	v_pk_add_f32 v[22:23], v[22:23], v[86:87] neg_lo:[0,1] neg_hi:[0,1]
	v_pk_add_f32 v[20:21], v[20:21], v[84:85] neg_lo:[0,1] neg_hi:[0,1]
	s_wait_dscnt 0x0
	v_dual_mul_f32 v84, v71, v83 :: v_dual_mul_f32 v86, v71, v80
	s_delay_alu instid0(VALU_DEP_1) | instskip(NEXT) | instid1(VALU_DEP_2)
	v_pk_fma_f32 v[84:85], v[70:71], v[42:43], v[84:85] op_sel_hi:[1,1,0] neg_lo:[0,0,1] neg_hi:[0,0,1]
	v_pk_fma_f32 v[70:71], v[70:71], v[42:43], v[86:87] op_sel:[1,0,0] op_sel_hi:[0,1,0]
	s_delay_alu instid0(VALU_DEP_1) | instskip(SKIP_1) | instid1(VALU_DEP_1)
	v_mov_b32_e32 v85, v71
	v_pk_mul_f32 v[70:71], v[72:73], v[82:83] op_sel:[0,1]
	v_pk_fma_f32 v[82:83], v[72:73], v[80:81], v[70:71] op_sel:[0,0,1] op_sel_hi:[1,1,0] neg_lo:[0,0,1] neg_hi:[0,0,1]
	v_pk_fma_f32 v[70:71], v[72:73], v[80:81], v[70:71] op_sel:[0,0,1] op_sel_hi:[1,0,0]
	s_delay_alu instid0(VALU_DEP_1) | instskip(SKIP_1) | instid1(VALU_DEP_2)
	v_mov_b32_e32 v83, v71
	v_pk_add_f32 v[18:19], v[18:19], v[84:85] neg_lo:[0,1] neg_hi:[0,1]
	v_pk_add_f32 v[68:69], v[68:69], v[82:83] neg_lo:[0,1] neg_hi:[0,1]
.LBB62_461:
	s_or_b32 exec_lo, exec_lo, s0
	v_lshl_add_u32 v70, v78, 3, v74
	s_barrier_signal -1
	s_barrier_wait -1
	ds_store_b64 v70, v[44:45]
	s_wait_dscnt 0x0
	s_barrier_signal -1
	s_barrier_wait -1
	ds_load_b64 v[70:71], v74 offset:176
	v_mov_b32_e32 v72, 22
	s_cmp_lt_i32 s18, 24
	s_cbranch_scc1 .LBB62_464
; %bb.462:
	v_add3_u32 v73, v75, 0, 0xb8
	v_mov_b32_e32 v72, 22
	s_mov_b32 s0, 23
.LBB62_463:                             ; =>This Inner Loop Header: Depth=1
	ds_load_b64 v[80:81], v73
	s_wait_dscnt 0x1
	v_cmp_gt_f32_e32 vcc_lo, 0, v70
	v_cndmask_b32_e64 v82, v70, -v70, vcc_lo
	v_cmp_gt_f32_e32 vcc_lo, 0, v71
	v_cndmask_b32_e64 v84, v71, -v71, vcc_lo
	s_wait_dscnt 0x0
	v_cmp_gt_f32_e32 vcc_lo, 0, v80
	v_cndmask_b32_e64 v83, v80, -v80, vcc_lo
	v_cmp_gt_f32_e32 vcc_lo, 0, v81
	v_cndmask_b32_e64 v85, v81, -v81, vcc_lo
	s_delay_alu instid0(VALU_DEP_1) | instskip(NEXT) | instid1(VALU_DEP_1)
	v_pk_add_f32 v[82:83], v[82:83], v[84:85]
	v_cmp_lt_f32_e32 vcc_lo, v82, v83
	v_dual_cndmask_b32 v70, v70, v80 :: v_dual_add_nc_u32 v73, 8, v73
	v_cndmask_b32_e32 v71, v71, v81, vcc_lo
	v_cndmask_b32_e64 v72, v72, s0, vcc_lo
	s_add_co_i32 s0, s0, 1
	s_delay_alu instid0(SALU_CYCLE_1)
	s_cmp_lg_u32 s18, s0
	s_cbranch_scc1 .LBB62_463
.LBB62_464:
	s_wait_dscnt 0x0
	v_cmp_eq_f32_e32 vcc_lo, 0, v70
	v_cmp_eq_f32_e64 s0, 0, v71
	s_and_b32 s0, vcc_lo, s0
	s_delay_alu instid0(SALU_CYCLE_1) | instskip(NEXT) | instid1(SALU_CYCLE_1)
	s_and_saveexec_b32 s1, s0
	s_xor_b32 s0, exec_lo, s1
; %bb.465:
	v_cmp_ne_u32_e32 vcc_lo, 0, v76
	v_cndmask_b32_e32 v76, 23, v76, vcc_lo
; %bb.466:
	s_and_not1_saveexec_b32 s0, s0
	s_cbranch_execz .LBB62_472
; %bb.467:
	v_cmp_ngt_f32_e64 s1, |v70|, |v71|
	s_and_saveexec_b32 s12, s1
	s_delay_alu instid0(SALU_CYCLE_1)
	s_xor_b32 s1, exec_lo, s12
	s_cbranch_execz .LBB62_469
; %bb.468:
	v_div_scale_f32 v73, null, v71, v71, v70
	v_div_scale_f32 v81, vcc_lo, v70, v71, v70
	s_delay_alu instid0(VALU_DEP_2) | instskip(SKIP_1) | instid1(TRANS32_DEP_1)
	v_rcp_f32_e32 v79, v73
	v_nop
	v_fma_f32 v80, -v73, v79, 1.0
	s_delay_alu instid0(VALU_DEP_1) | instskip(NEXT) | instid1(VALU_DEP_1)
	v_fmac_f32_e32 v79, v80, v79
	v_mul_f32_e32 v80, v81, v79
	s_delay_alu instid0(VALU_DEP_1) | instskip(NEXT) | instid1(VALU_DEP_1)
	v_fma_f32 v82, -v73, v80, v81
	v_fmac_f32_e32 v80, v82, v79
	s_delay_alu instid0(VALU_DEP_1) | instskip(NEXT) | instid1(VALU_DEP_1)
	v_fma_f32 v73, -v73, v80, v81
	v_div_fmas_f32 v73, v73, v79, v80
	s_delay_alu instid0(VALU_DEP_1) | instskip(NEXT) | instid1(VALU_DEP_1)
	v_div_fixup_f32 v73, v73, v71, v70
	v_fmac_f32_e32 v71, v70, v73
	s_delay_alu instid0(VALU_DEP_1) | instskip(SKIP_1) | instid1(VALU_DEP_2)
	v_div_scale_f32 v70, null, v71, v71, 1.0
	v_div_scale_f32 v81, vcc_lo, 1.0, v71, 1.0
	v_rcp_f32_e32 v79, v70
	v_nop
	s_delay_alu instid0(TRANS32_DEP_1) | instskip(NEXT) | instid1(VALU_DEP_1)
	v_fma_f32 v80, -v70, v79, 1.0
	v_fmac_f32_e32 v79, v80, v79
	s_delay_alu instid0(VALU_DEP_1) | instskip(NEXT) | instid1(VALU_DEP_1)
	v_mul_f32_e32 v80, v81, v79
	v_fma_f32 v82, -v70, v80, v81
	s_delay_alu instid0(VALU_DEP_1) | instskip(NEXT) | instid1(VALU_DEP_1)
	v_fmac_f32_e32 v80, v82, v79
	v_fma_f32 v70, -v70, v80, v81
	s_delay_alu instid0(VALU_DEP_1) | instskip(NEXT) | instid1(VALU_DEP_1)
	v_div_fmas_f32 v70, v70, v79, v80
	v_div_fixup_f32 v71, v70, v71, 1.0
	s_delay_alu instid0(VALU_DEP_1)
	v_mul_f32_e32 v70, v73, v71
	v_xor_b32_e32 v71, 0x80000000, v71
.LBB62_469:
	s_and_not1_saveexec_b32 s1, s1
	s_cbranch_execz .LBB62_471
; %bb.470:
	s_delay_alu instid0(VALU_DEP_1) | instskip(SKIP_1) | instid1(VALU_DEP_2)
	v_div_scale_f32 v73, null, v70, v70, v71
	v_div_scale_f32 v81, vcc_lo, v71, v70, v71
	v_rcp_f32_e32 v79, v73
	v_nop
	s_delay_alu instid0(TRANS32_DEP_1) | instskip(NEXT) | instid1(VALU_DEP_1)
	v_fma_f32 v80, -v73, v79, 1.0
	v_fmac_f32_e32 v79, v80, v79
	s_delay_alu instid0(VALU_DEP_1) | instskip(NEXT) | instid1(VALU_DEP_1)
	v_mul_f32_e32 v80, v81, v79
	v_fma_f32 v82, -v73, v80, v81
	s_delay_alu instid0(VALU_DEP_1) | instskip(NEXT) | instid1(VALU_DEP_1)
	v_fmac_f32_e32 v80, v82, v79
	v_fma_f32 v73, -v73, v80, v81
	s_delay_alu instid0(VALU_DEP_1) | instskip(NEXT) | instid1(VALU_DEP_1)
	v_div_fmas_f32 v73, v73, v79, v80
	v_div_fixup_f32 v73, v73, v70, v71
	s_delay_alu instid0(VALU_DEP_1) | instskip(NEXT) | instid1(VALU_DEP_1)
	v_fmac_f32_e32 v70, v71, v73
	v_div_scale_f32 v71, null, v70, v70, 1.0
	s_delay_alu instid0(VALU_DEP_1) | instskip(SKIP_1) | instid1(TRANS32_DEP_1)
	v_rcp_f32_e32 v79, v71
	v_nop
	v_fma_f32 v80, -v71, v79, 1.0
	s_delay_alu instid0(VALU_DEP_1) | instskip(SKIP_1) | instid1(VALU_DEP_1)
	v_fmac_f32_e32 v79, v80, v79
	v_div_scale_f32 v80, vcc_lo, 1.0, v70, 1.0
	v_mul_f32_e32 v81, v80, v79
	s_delay_alu instid0(VALU_DEP_1) | instskip(NEXT) | instid1(VALU_DEP_1)
	v_fma_f32 v82, -v71, v81, v80
	v_fmac_f32_e32 v81, v82, v79
	s_delay_alu instid0(VALU_DEP_1) | instskip(NEXT) | instid1(VALU_DEP_1)
	v_fma_f32 v71, -v71, v81, v80
	v_div_fmas_f32 v71, v71, v79, v81
	s_delay_alu instid0(VALU_DEP_1) | instskip(NEXT) | instid1(VALU_DEP_1)
	v_div_fixup_f32 v70, v71, v70, 1.0
	v_mul_f32_e64 v71, v73, -v70
.LBB62_471:
	s_or_b32 exec_lo, exec_lo, s1
.LBB62_472:
	s_delay_alu instid0(SALU_CYCLE_1) | instskip(NEXT) | instid1(SALU_CYCLE_1)
	s_or_b32 exec_lo, exec_lo, s0
	s_mov_b32 s0, exec_lo
	v_cmpx_ne_u32_e64 v78, v72
	s_xor_b32 s0, exec_lo, s0
	s_cbranch_execz .LBB62_478
; %bb.473:
	s_mov_b32 s1, exec_lo
	v_cmpx_eq_u32_e32 22, v78
	s_cbranch_execz .LBB62_477
; %bb.474:
	v_cmp_ne_u32_e32 vcc_lo, 22, v72
	s_xor_b32 s12, s16, -1
	s_delay_alu instid0(SALU_CYCLE_1) | instskip(NEXT) | instid1(SALU_CYCLE_1)
	s_and_b32 s13, s12, vcc_lo
	s_and_saveexec_b32 s12, s13
	s_cbranch_execz .LBB62_476
; %bb.475:
	v_ashrrev_i32_e32 v73, 31, v72
	s_delay_alu instid0(VALU_DEP_1)
	v_lshl_add_u64 v[78:79], v[72:73], 2, v[4:5]
	s_clause 0x1
	global_load_b32 v73, v[78:79], off
	global_load_b32 v77, v[4:5], off offset:88
	s_wait_loadcnt 0x1
	global_store_b32 v[4:5], v73, off offset:88
	s_wait_loadcnt 0x0
	global_store_b32 v[78:79], v77, off
.LBB62_476:
	s_wait_xcnt 0x0
	s_or_b32 exec_lo, exec_lo, s12
	v_dual_mov_b32 v78, v72 :: v_dual_mov_b32 v77, v72
.LBB62_477:
	s_or_b32 exec_lo, exec_lo, s1
.LBB62_478:
	s_and_not1_saveexec_b32 s0, s0
	s_cbranch_execz .LBB62_480
; %bb.479:
	v_mov_b32_e32 v78, 22
	ds_store_2addr_b64 v74, v[10:11], v[28:29] offset0:23 offset1:24
	ds_store_2addr_b64 v74, v[24:25], v[26:27] offset0:25 offset1:26
	;; [unrolled: 1-line block ×4, first 2 shown]
	ds_store_b64 v74, v[68:69] offset:248
.LBB62_480:
	s_or_b32 exec_lo, exec_lo, s0
	s_delay_alu instid0(SALU_CYCLE_1)
	s_mov_b32 s0, exec_lo
	s_wait_storecnt_dscnt 0x0
	s_barrier_signal -1
	s_barrier_wait -1
	v_cmpx_lt_i32_e32 22, v78
	s_cbranch_execz .LBB62_482
; %bb.481:
	v_pk_mul_f32 v[72:73], v[70:71], v[44:45] op_sel:[1,1] op_sel_hi:[0,1]
	s_delay_alu instid0(VALU_DEP_1)
	v_pk_fma_f32 v[80:81], v[70:71], v[44:45], v[72:73] op_sel_hi:[1,0,1] neg_lo:[0,0,1] neg_hi:[0,0,1]
	v_pk_fma_f32 v[82:83], v[70:71], v[44:45], v[72:73] op_sel_hi:[1,0,1]
	ds_load_2addr_b64 v[70:73], v74 offset0:23 offset1:24
	v_dual_mov_b32 v44, v80 :: v_dual_mov_b32 v45, v83
	s_wait_dscnt 0x0
	v_pk_mul_f32 v[84:85], v[70:71], v[82:83] op_sel:[0,1]
	s_delay_alu instid0(VALU_DEP_1) | instskip(SKIP_1) | instid1(VALU_DEP_1)
	v_pk_fma_f32 v[86:87], v[70:71], v[80:81], v[84:85] op_sel:[0,0,1] op_sel_hi:[1,1,0] neg_lo:[0,0,1] neg_hi:[0,0,1]
	v_pk_fma_f32 v[70:71], v[70:71], v[80:81], v[84:85] op_sel:[0,0,1] op_sel_hi:[1,0,0]
	v_mov_b32_e32 v87, v71
	v_pk_mul_f32 v[70:71], v[72:73], v[82:83] op_sel:[0,1]
	s_delay_alu instid0(VALU_DEP_1) | instskip(SKIP_1) | instid1(VALU_DEP_1)
	v_pk_fma_f32 v[84:85], v[72:73], v[80:81], v[70:71] op_sel:[0,0,1] op_sel_hi:[1,1,0] neg_lo:[0,0,1] neg_hi:[0,0,1]
	v_pk_fma_f32 v[70:71], v[72:73], v[80:81], v[70:71] op_sel:[0,0,1] op_sel_hi:[1,0,0]
	v_mov_b32_e32 v85, v71
	ds_load_2addr_b64 v[70:73], v74 offset0:25 offset1:26
	v_pk_add_f32 v[10:11], v[10:11], v[86:87] neg_lo:[0,1] neg_hi:[0,1]
	v_pk_add_f32 v[28:29], v[28:29], v[84:85] neg_lo:[0,1] neg_hi:[0,1]
	s_wait_dscnt 0x0
	v_pk_mul_f32 v[84:85], v[70:71], v[82:83] op_sel:[0,1]
	s_delay_alu instid0(VALU_DEP_1) | instskip(SKIP_2) | instid1(VALU_DEP_2)
	v_pk_fma_f32 v[86:87], v[70:71], v[80:81], v[84:85] op_sel:[0,0,1] op_sel_hi:[1,1,0] neg_lo:[0,0,1] neg_hi:[0,0,1]
	v_pk_fma_f32 v[70:71], v[70:71], v[80:81], v[84:85] op_sel:[0,0,1] op_sel_hi:[1,0,0]
	v_dual_mul_f32 v84, v73, v83 :: v_dual_mov_b32 v70, v73
	v_dual_mov_b32 v87, v71 :: v_dual_mov_b32 v71, v72
	s_delay_alu instid0(VALU_DEP_2) | instskip(SKIP_1) | instid1(VALU_DEP_3)
	v_pk_fma_f32 v[84:85], v[72:73], v[44:45], v[84:85] op_sel_hi:[1,1,0] neg_lo:[0,0,1] neg_hi:[0,0,1]
	v_mul_f32_e32 v72, v73, v80
	v_pk_add_f32 v[24:25], v[24:25], v[86:87] neg_lo:[0,1] neg_hi:[0,1]
	s_delay_alu instid0(VALU_DEP_2) | instskip(NEXT) | instid1(VALU_DEP_1)
	v_pk_fma_f32 v[70:71], v[70:71], v[44:45], v[72:73] op_sel_hi:[1,1,0]
	v_mov_b32_e32 v85, v71
	ds_load_2addr_b64 v[70:73], v74 offset0:27 offset1:28
	v_pk_add_f32 v[26:27], v[26:27], v[84:85] neg_lo:[0,1] neg_hi:[0,1]
	s_wait_dscnt 0x0
	v_pk_mul_f32 v[84:85], v[70:71], v[82:83] op_sel:[0,1]
	s_delay_alu instid0(VALU_DEP_1) | instskip(SKIP_1) | instid1(VALU_DEP_1)
	v_pk_fma_f32 v[86:87], v[70:71], v[80:81], v[84:85] op_sel:[0,0,1] op_sel_hi:[1,1,0] neg_lo:[0,0,1] neg_hi:[0,0,1]
	v_pk_fma_f32 v[70:71], v[70:71], v[80:81], v[84:85] op_sel:[0,0,1] op_sel_hi:[1,0,0]
	v_mov_b32_e32 v87, v71
	v_pk_mul_f32 v[70:71], v[72:73], v[82:83] op_sel:[0,1]
	s_delay_alu instid0(VALU_DEP_1) | instskip(SKIP_1) | instid1(VALU_DEP_1)
	v_pk_fma_f32 v[84:85], v[72:73], v[80:81], v[70:71] op_sel:[0,0,1] op_sel_hi:[1,1,0] neg_lo:[0,0,1] neg_hi:[0,0,1]
	v_pk_fma_f32 v[70:71], v[72:73], v[80:81], v[70:71] op_sel:[0,0,1] op_sel_hi:[1,0,0]
	v_mov_b32_e32 v85, v71
	ds_load_2addr_b64 v[70:73], v74 offset0:29 offset1:30
	v_pk_add_f32 v[12:13], v[12:13], v[86:87] neg_lo:[0,1] neg_hi:[0,1]
	v_pk_add_f32 v[22:23], v[22:23], v[84:85] neg_lo:[0,1] neg_hi:[0,1]
	s_wait_dscnt 0x0
	v_pk_mul_f32 v[84:85], v[70:71], v[82:83] op_sel:[0,1]
	s_delay_alu instid0(VALU_DEP_1) | instskip(SKIP_1) | instid1(VALU_DEP_1)
	v_pk_fma_f32 v[86:87], v[70:71], v[80:81], v[84:85] op_sel:[0,0,1] op_sel_hi:[1,1,0] neg_lo:[0,0,1] neg_hi:[0,0,1]
	v_pk_fma_f32 v[70:71], v[70:71], v[80:81], v[84:85] op_sel:[0,0,1] op_sel_hi:[1,0,0]
	v_mov_b32_e32 v87, v71
	v_pk_mul_f32 v[70:71], v[72:73], v[82:83] op_sel:[0,1]
	s_delay_alu instid0(VALU_DEP_1) | instskip(SKIP_1) | instid1(VALU_DEP_1)
	v_pk_fma_f32 v[84:85], v[72:73], v[80:81], v[70:71] op_sel:[0,0,1] op_sel_hi:[1,1,0] neg_lo:[0,0,1] neg_hi:[0,0,1]
	v_pk_fma_f32 v[70:71], v[72:73], v[80:81], v[70:71] op_sel:[0,0,1] op_sel_hi:[1,0,0]
	v_mov_b32_e32 v85, v71
	ds_load_b64 v[70:71], v74 offset:248
	v_pk_add_f32 v[20:21], v[20:21], v[86:87] neg_lo:[0,1] neg_hi:[0,1]
	v_pk_add_f32 v[18:19], v[18:19], v[84:85] neg_lo:[0,1] neg_hi:[0,1]
	s_wait_dscnt 0x0
	v_pk_mul_f32 v[72:73], v[70:71], v[82:83] op_sel:[0,1]
	s_delay_alu instid0(VALU_DEP_1) | instskip(SKIP_1) | instid1(VALU_DEP_1)
	v_pk_fma_f32 v[82:83], v[70:71], v[80:81], v[72:73] op_sel:[0,0,1] op_sel_hi:[1,1,0] neg_lo:[0,0,1] neg_hi:[0,0,1]
	v_pk_fma_f32 v[70:71], v[70:71], v[80:81], v[72:73] op_sel:[0,0,1] op_sel_hi:[1,0,0]
	v_mov_b32_e32 v83, v71
	s_delay_alu instid0(VALU_DEP_1)
	v_pk_add_f32 v[68:69], v[68:69], v[82:83] neg_lo:[0,1] neg_hi:[0,1]
.LBB62_482:
	s_or_b32 exec_lo, exec_lo, s0
	v_lshl_add_u32 v70, v78, 3, v74
	s_barrier_signal -1
	s_barrier_wait -1
	ds_store_b64 v70, v[10:11]
	s_wait_dscnt 0x0
	s_barrier_signal -1
	s_barrier_wait -1
	ds_load_b64 v[70:71], v74 offset:184
	v_mov_b32_e32 v72, 23
	s_cmp_lt_i32 s18, 25
	s_cbranch_scc1 .LBB62_485
; %bb.483:
	v_add3_u32 v73, v75, 0, 0xc0
	v_mov_b32_e32 v72, 23
	s_mov_b32 s0, 24
.LBB62_484:                             ; =>This Inner Loop Header: Depth=1
	ds_load_b64 v[80:81], v73
	s_wait_dscnt 0x1
	v_cmp_gt_f32_e32 vcc_lo, 0, v70
	v_cndmask_b32_e64 v82, v70, -v70, vcc_lo
	v_cmp_gt_f32_e32 vcc_lo, 0, v71
	v_cndmask_b32_e64 v84, v71, -v71, vcc_lo
	s_wait_dscnt 0x0
	v_cmp_gt_f32_e32 vcc_lo, 0, v80
	v_cndmask_b32_e64 v83, v80, -v80, vcc_lo
	v_cmp_gt_f32_e32 vcc_lo, 0, v81
	v_cndmask_b32_e64 v85, v81, -v81, vcc_lo
	s_delay_alu instid0(VALU_DEP_1) | instskip(NEXT) | instid1(VALU_DEP_1)
	v_pk_add_f32 v[82:83], v[82:83], v[84:85]
	v_cmp_lt_f32_e32 vcc_lo, v82, v83
	v_dual_cndmask_b32 v70, v70, v80 :: v_dual_add_nc_u32 v73, 8, v73
	v_cndmask_b32_e32 v71, v71, v81, vcc_lo
	v_cndmask_b32_e64 v72, v72, s0, vcc_lo
	s_add_co_i32 s0, s0, 1
	s_delay_alu instid0(SALU_CYCLE_1)
	s_cmp_lg_u32 s18, s0
	s_cbranch_scc1 .LBB62_484
.LBB62_485:
	s_wait_dscnt 0x0
	v_cmp_eq_f32_e32 vcc_lo, 0, v70
	v_cmp_eq_f32_e64 s0, 0, v71
	s_and_b32 s0, vcc_lo, s0
	s_delay_alu instid0(SALU_CYCLE_1) | instskip(NEXT) | instid1(SALU_CYCLE_1)
	s_and_saveexec_b32 s1, s0
	s_xor_b32 s0, exec_lo, s1
; %bb.486:
	v_cmp_ne_u32_e32 vcc_lo, 0, v76
	v_cndmask_b32_e32 v76, 24, v76, vcc_lo
; %bb.487:
	s_and_not1_saveexec_b32 s0, s0
	s_cbranch_execz .LBB62_493
; %bb.488:
	v_cmp_ngt_f32_e64 s1, |v70|, |v71|
	s_and_saveexec_b32 s12, s1
	s_delay_alu instid0(SALU_CYCLE_1)
	s_xor_b32 s1, exec_lo, s12
	s_cbranch_execz .LBB62_490
; %bb.489:
	v_div_scale_f32 v73, null, v71, v71, v70
	v_div_scale_f32 v81, vcc_lo, v70, v71, v70
	s_delay_alu instid0(VALU_DEP_2) | instskip(SKIP_1) | instid1(TRANS32_DEP_1)
	v_rcp_f32_e32 v79, v73
	v_nop
	v_fma_f32 v80, -v73, v79, 1.0
	s_delay_alu instid0(VALU_DEP_1) | instskip(NEXT) | instid1(VALU_DEP_1)
	v_fmac_f32_e32 v79, v80, v79
	v_mul_f32_e32 v80, v81, v79
	s_delay_alu instid0(VALU_DEP_1) | instskip(NEXT) | instid1(VALU_DEP_1)
	v_fma_f32 v82, -v73, v80, v81
	v_fmac_f32_e32 v80, v82, v79
	s_delay_alu instid0(VALU_DEP_1) | instskip(NEXT) | instid1(VALU_DEP_1)
	v_fma_f32 v73, -v73, v80, v81
	v_div_fmas_f32 v73, v73, v79, v80
	s_delay_alu instid0(VALU_DEP_1) | instskip(NEXT) | instid1(VALU_DEP_1)
	v_div_fixup_f32 v73, v73, v71, v70
	v_fmac_f32_e32 v71, v70, v73
	s_delay_alu instid0(VALU_DEP_1) | instskip(SKIP_1) | instid1(VALU_DEP_2)
	v_div_scale_f32 v70, null, v71, v71, 1.0
	v_div_scale_f32 v81, vcc_lo, 1.0, v71, 1.0
	v_rcp_f32_e32 v79, v70
	v_nop
	s_delay_alu instid0(TRANS32_DEP_1) | instskip(NEXT) | instid1(VALU_DEP_1)
	v_fma_f32 v80, -v70, v79, 1.0
	v_fmac_f32_e32 v79, v80, v79
	s_delay_alu instid0(VALU_DEP_1) | instskip(NEXT) | instid1(VALU_DEP_1)
	v_mul_f32_e32 v80, v81, v79
	v_fma_f32 v82, -v70, v80, v81
	s_delay_alu instid0(VALU_DEP_1) | instskip(NEXT) | instid1(VALU_DEP_1)
	v_fmac_f32_e32 v80, v82, v79
	v_fma_f32 v70, -v70, v80, v81
	s_delay_alu instid0(VALU_DEP_1) | instskip(NEXT) | instid1(VALU_DEP_1)
	v_div_fmas_f32 v70, v70, v79, v80
	v_div_fixup_f32 v71, v70, v71, 1.0
	s_delay_alu instid0(VALU_DEP_1)
	v_mul_f32_e32 v70, v73, v71
	v_xor_b32_e32 v71, 0x80000000, v71
.LBB62_490:
	s_and_not1_saveexec_b32 s1, s1
	s_cbranch_execz .LBB62_492
; %bb.491:
	s_delay_alu instid0(VALU_DEP_1) | instskip(SKIP_1) | instid1(VALU_DEP_2)
	v_div_scale_f32 v73, null, v70, v70, v71
	v_div_scale_f32 v81, vcc_lo, v71, v70, v71
	v_rcp_f32_e32 v79, v73
	v_nop
	s_delay_alu instid0(TRANS32_DEP_1) | instskip(NEXT) | instid1(VALU_DEP_1)
	v_fma_f32 v80, -v73, v79, 1.0
	v_fmac_f32_e32 v79, v80, v79
	s_delay_alu instid0(VALU_DEP_1) | instskip(NEXT) | instid1(VALU_DEP_1)
	v_mul_f32_e32 v80, v81, v79
	v_fma_f32 v82, -v73, v80, v81
	s_delay_alu instid0(VALU_DEP_1) | instskip(NEXT) | instid1(VALU_DEP_1)
	v_fmac_f32_e32 v80, v82, v79
	v_fma_f32 v73, -v73, v80, v81
	s_delay_alu instid0(VALU_DEP_1) | instskip(NEXT) | instid1(VALU_DEP_1)
	v_div_fmas_f32 v73, v73, v79, v80
	v_div_fixup_f32 v73, v73, v70, v71
	s_delay_alu instid0(VALU_DEP_1) | instskip(NEXT) | instid1(VALU_DEP_1)
	v_fmac_f32_e32 v70, v71, v73
	v_div_scale_f32 v71, null, v70, v70, 1.0
	s_delay_alu instid0(VALU_DEP_1) | instskip(SKIP_1) | instid1(TRANS32_DEP_1)
	v_rcp_f32_e32 v79, v71
	v_nop
	v_fma_f32 v80, -v71, v79, 1.0
	s_delay_alu instid0(VALU_DEP_1) | instskip(SKIP_1) | instid1(VALU_DEP_1)
	v_fmac_f32_e32 v79, v80, v79
	v_div_scale_f32 v80, vcc_lo, 1.0, v70, 1.0
	v_mul_f32_e32 v81, v80, v79
	s_delay_alu instid0(VALU_DEP_1) | instskip(NEXT) | instid1(VALU_DEP_1)
	v_fma_f32 v82, -v71, v81, v80
	v_fmac_f32_e32 v81, v82, v79
	s_delay_alu instid0(VALU_DEP_1) | instskip(NEXT) | instid1(VALU_DEP_1)
	v_fma_f32 v71, -v71, v81, v80
	v_div_fmas_f32 v71, v71, v79, v81
	s_delay_alu instid0(VALU_DEP_1) | instskip(NEXT) | instid1(VALU_DEP_1)
	v_div_fixup_f32 v70, v71, v70, 1.0
	v_mul_f32_e64 v71, v73, -v70
.LBB62_492:
	s_or_b32 exec_lo, exec_lo, s1
.LBB62_493:
	s_delay_alu instid0(SALU_CYCLE_1) | instskip(NEXT) | instid1(SALU_CYCLE_1)
	s_or_b32 exec_lo, exec_lo, s0
	s_mov_b32 s0, exec_lo
	v_cmpx_ne_u32_e64 v78, v72
	s_xor_b32 s0, exec_lo, s0
	s_cbranch_execz .LBB62_499
; %bb.494:
	s_mov_b32 s1, exec_lo
	v_cmpx_eq_u32_e32 23, v78
	s_cbranch_execz .LBB62_498
; %bb.495:
	v_cmp_ne_u32_e32 vcc_lo, 23, v72
	s_xor_b32 s12, s16, -1
	s_delay_alu instid0(SALU_CYCLE_1) | instskip(NEXT) | instid1(SALU_CYCLE_1)
	s_and_b32 s13, s12, vcc_lo
	s_and_saveexec_b32 s12, s13
	s_cbranch_execz .LBB62_497
; %bb.496:
	v_ashrrev_i32_e32 v73, 31, v72
	s_delay_alu instid0(VALU_DEP_1)
	v_lshl_add_u64 v[78:79], v[72:73], 2, v[4:5]
	s_clause 0x1
	global_load_b32 v73, v[78:79], off
	global_load_b32 v77, v[4:5], off offset:92
	s_wait_loadcnt 0x1
	global_store_b32 v[4:5], v73, off offset:92
	s_wait_loadcnt 0x0
	global_store_b32 v[78:79], v77, off
.LBB62_497:
	s_wait_xcnt 0x0
	s_or_b32 exec_lo, exec_lo, s12
	v_dual_mov_b32 v78, v72 :: v_dual_mov_b32 v77, v72
.LBB62_498:
	s_or_b32 exec_lo, exec_lo, s1
.LBB62_499:
	s_and_not1_saveexec_b32 s0, s0
	s_cbranch_execz .LBB62_501
; %bb.500:
	v_dual_mov_b32 v72, v28 :: v_dual_mov_b32 v73, v29
	v_dual_mov_b32 v80, v24 :: v_dual_mov_b32 v81, v25
	;; [unrolled: 1-line block ×7, first 2 shown]
	v_mov_b32_e32 v91, v19
	ds_store_2addr_b64 v74, v[72:73], v[80:81] offset0:24 offset1:25
	ds_store_2addr_b64 v74, v[82:83], v[84:85] offset0:26 offset1:27
	;; [unrolled: 1-line block ×4, first 2 shown]
.LBB62_501:
	s_or_b32 exec_lo, exec_lo, s0
	s_delay_alu instid0(SALU_CYCLE_1)
	s_mov_b32 s0, exec_lo
	s_wait_storecnt_dscnt 0x0
	s_barrier_signal -1
	s_barrier_wait -1
	v_cmpx_lt_i32_e32 23, v78
	s_cbranch_execz .LBB62_503
; %bb.502:
	v_pk_mul_f32 v[72:73], v[70:71], v[10:11] op_sel:[1,1] op_sel_hi:[0,1]
	s_delay_alu instid0(VALU_DEP_1)
	v_pk_fma_f32 v[80:81], v[70:71], v[10:11], v[72:73] op_sel_hi:[1,0,1] neg_lo:[0,0,1] neg_hi:[0,0,1]
	v_pk_fma_f32 v[82:83], v[70:71], v[10:11], v[72:73] op_sel_hi:[1,0,1]
	ds_load_2addr_b64 v[70:73], v74 offset0:24 offset1:25
	v_dual_mov_b32 v10, v80 :: v_dual_mov_b32 v11, v83
	s_wait_dscnt 0x0
	v_pk_mul_f32 v[84:85], v[70:71], v[82:83] op_sel:[0,1]
	s_delay_alu instid0(VALU_DEP_1) | instskip(SKIP_1) | instid1(VALU_DEP_1)
	v_pk_fma_f32 v[86:87], v[70:71], v[80:81], v[84:85] op_sel:[0,0,1] op_sel_hi:[1,1,0] neg_lo:[0,0,1] neg_hi:[0,0,1]
	v_pk_fma_f32 v[70:71], v[70:71], v[80:81], v[84:85] op_sel:[0,0,1] op_sel_hi:[1,0,0]
	v_mov_b32_e32 v87, v71
	v_pk_mul_f32 v[70:71], v[72:73], v[82:83] op_sel:[0,1]
	s_delay_alu instid0(VALU_DEP_1) | instskip(SKIP_1) | instid1(VALU_DEP_1)
	v_pk_fma_f32 v[84:85], v[72:73], v[80:81], v[70:71] op_sel:[0,0,1] op_sel_hi:[1,1,0] neg_lo:[0,0,1] neg_hi:[0,0,1]
	v_pk_fma_f32 v[70:71], v[72:73], v[80:81], v[70:71] op_sel:[0,0,1] op_sel_hi:[1,0,0]
	v_mov_b32_e32 v85, v71
	ds_load_2addr_b64 v[70:73], v74 offset0:26 offset1:27
	v_pk_add_f32 v[28:29], v[28:29], v[86:87] neg_lo:[0,1] neg_hi:[0,1]
	v_pk_add_f32 v[24:25], v[24:25], v[84:85] neg_lo:[0,1] neg_hi:[0,1]
	s_wait_dscnt 0x0
	v_pk_mul_f32 v[84:85], v[70:71], v[82:83] op_sel:[0,1]
	s_delay_alu instid0(VALU_DEP_1) | instskip(SKIP_2) | instid1(VALU_DEP_2)
	v_pk_fma_f32 v[86:87], v[70:71], v[80:81], v[84:85] op_sel:[0,0,1] op_sel_hi:[1,1,0] neg_lo:[0,0,1] neg_hi:[0,0,1]
	v_pk_fma_f32 v[70:71], v[70:71], v[80:81], v[84:85] op_sel:[0,0,1] op_sel_hi:[1,0,0]
	v_dual_mul_f32 v84, v73, v83 :: v_dual_mov_b32 v70, v73
	v_dual_mov_b32 v87, v71 :: v_dual_mov_b32 v71, v72
	s_delay_alu instid0(VALU_DEP_2) | instskip(SKIP_1) | instid1(VALU_DEP_3)
	v_pk_fma_f32 v[84:85], v[72:73], v[10:11], v[84:85] op_sel_hi:[1,1,0] neg_lo:[0,0,1] neg_hi:[0,0,1]
	v_mul_f32_e32 v72, v73, v80
	v_pk_add_f32 v[26:27], v[26:27], v[86:87] neg_lo:[0,1] neg_hi:[0,1]
	s_delay_alu instid0(VALU_DEP_2) | instskip(NEXT) | instid1(VALU_DEP_1)
	v_pk_fma_f32 v[70:71], v[70:71], v[10:11], v[72:73] op_sel_hi:[1,1,0]
	v_mov_b32_e32 v85, v71
	ds_load_2addr_b64 v[70:73], v74 offset0:28 offset1:29
	v_pk_add_f32 v[12:13], v[12:13], v[84:85] neg_lo:[0,1] neg_hi:[0,1]
	s_wait_dscnt 0x0
	v_pk_mul_f32 v[84:85], v[70:71], v[82:83] op_sel:[0,1]
	s_delay_alu instid0(VALU_DEP_1) | instskip(SKIP_1) | instid1(VALU_DEP_1)
	v_pk_fma_f32 v[86:87], v[70:71], v[80:81], v[84:85] op_sel:[0,0,1] op_sel_hi:[1,1,0] neg_lo:[0,0,1] neg_hi:[0,0,1]
	v_pk_fma_f32 v[70:71], v[70:71], v[80:81], v[84:85] op_sel:[0,0,1] op_sel_hi:[1,0,0]
	v_mov_b32_e32 v87, v71
	v_pk_mul_f32 v[70:71], v[72:73], v[82:83] op_sel:[0,1]
	s_delay_alu instid0(VALU_DEP_1) | instskip(SKIP_1) | instid1(VALU_DEP_1)
	v_pk_fma_f32 v[84:85], v[72:73], v[80:81], v[70:71] op_sel:[0,0,1] op_sel_hi:[1,1,0] neg_lo:[0,0,1] neg_hi:[0,0,1]
	v_pk_fma_f32 v[70:71], v[72:73], v[80:81], v[70:71] op_sel:[0,0,1] op_sel_hi:[1,0,0]
	v_mov_b32_e32 v85, v71
	ds_load_2addr_b64 v[70:73], v74 offset0:30 offset1:31
	v_pk_add_f32 v[22:23], v[22:23], v[86:87] neg_lo:[0,1] neg_hi:[0,1]
	v_pk_add_f32 v[20:21], v[20:21], v[84:85] neg_lo:[0,1] neg_hi:[0,1]
	s_wait_dscnt 0x0
	v_pk_mul_f32 v[84:85], v[70:71], v[82:83] op_sel:[0,1]
	s_delay_alu instid0(VALU_DEP_1) | instskip(SKIP_1) | instid1(VALU_DEP_1)
	v_pk_fma_f32 v[86:87], v[70:71], v[80:81], v[84:85] op_sel:[0,0,1] op_sel_hi:[1,1,0] neg_lo:[0,0,1] neg_hi:[0,0,1]
	v_pk_fma_f32 v[70:71], v[70:71], v[80:81], v[84:85] op_sel:[0,0,1] op_sel_hi:[1,0,0]
	v_mov_b32_e32 v87, v71
	v_pk_mul_f32 v[70:71], v[72:73], v[82:83] op_sel:[0,1]
	s_delay_alu instid0(VALU_DEP_1) | instskip(SKIP_1) | instid1(VALU_DEP_1)
	v_pk_fma_f32 v[82:83], v[72:73], v[80:81], v[70:71] op_sel:[0,0,1] op_sel_hi:[1,1,0] neg_lo:[0,0,1] neg_hi:[0,0,1]
	v_pk_fma_f32 v[70:71], v[72:73], v[80:81], v[70:71] op_sel:[0,0,1] op_sel_hi:[1,0,0]
	v_mov_b32_e32 v83, v71
	v_pk_add_f32 v[18:19], v[18:19], v[86:87] neg_lo:[0,1] neg_hi:[0,1]
	s_delay_alu instid0(VALU_DEP_2)
	v_pk_add_f32 v[68:69], v[68:69], v[82:83] neg_lo:[0,1] neg_hi:[0,1]
.LBB62_503:
	s_or_b32 exec_lo, exec_lo, s0
	v_lshl_add_u32 v70, v78, 3, v74
	s_barrier_signal -1
	s_barrier_wait -1
	ds_store_b64 v70, v[28:29]
	s_wait_dscnt 0x0
	s_barrier_signal -1
	s_barrier_wait -1
	ds_load_b64 v[70:71], v74 offset:192
	v_mov_b32_e32 v72, 24
	s_cmp_lt_i32 s18, 26
	s_cbranch_scc1 .LBB62_506
; %bb.504:
	v_add3_u32 v73, v75, 0, 0xc8
	v_mov_b32_e32 v72, 24
	s_mov_b32 s0, 25
.LBB62_505:                             ; =>This Inner Loop Header: Depth=1
	ds_load_b64 v[80:81], v73
	s_wait_dscnt 0x1
	v_cmp_gt_f32_e32 vcc_lo, 0, v70
	v_cndmask_b32_e64 v82, v70, -v70, vcc_lo
	v_cmp_gt_f32_e32 vcc_lo, 0, v71
	v_cndmask_b32_e64 v84, v71, -v71, vcc_lo
	s_wait_dscnt 0x0
	v_cmp_gt_f32_e32 vcc_lo, 0, v80
	v_cndmask_b32_e64 v83, v80, -v80, vcc_lo
	v_cmp_gt_f32_e32 vcc_lo, 0, v81
	v_cndmask_b32_e64 v85, v81, -v81, vcc_lo
	s_delay_alu instid0(VALU_DEP_1) | instskip(NEXT) | instid1(VALU_DEP_1)
	v_pk_add_f32 v[82:83], v[82:83], v[84:85]
	v_cmp_lt_f32_e32 vcc_lo, v82, v83
	v_dual_cndmask_b32 v70, v70, v80 :: v_dual_add_nc_u32 v73, 8, v73
	v_cndmask_b32_e32 v71, v71, v81, vcc_lo
	v_cndmask_b32_e64 v72, v72, s0, vcc_lo
	s_add_co_i32 s0, s0, 1
	s_delay_alu instid0(SALU_CYCLE_1)
	s_cmp_lg_u32 s18, s0
	s_cbranch_scc1 .LBB62_505
.LBB62_506:
	s_wait_dscnt 0x0
	v_cmp_eq_f32_e32 vcc_lo, 0, v70
	v_cmp_eq_f32_e64 s0, 0, v71
	s_and_b32 s0, vcc_lo, s0
	s_delay_alu instid0(SALU_CYCLE_1) | instskip(NEXT) | instid1(SALU_CYCLE_1)
	s_and_saveexec_b32 s1, s0
	s_xor_b32 s0, exec_lo, s1
; %bb.507:
	v_cmp_ne_u32_e32 vcc_lo, 0, v76
	v_cndmask_b32_e32 v76, 25, v76, vcc_lo
; %bb.508:
	s_and_not1_saveexec_b32 s0, s0
	s_cbranch_execz .LBB62_514
; %bb.509:
	v_cmp_ngt_f32_e64 s1, |v70|, |v71|
	s_and_saveexec_b32 s12, s1
	s_delay_alu instid0(SALU_CYCLE_1)
	s_xor_b32 s1, exec_lo, s12
	s_cbranch_execz .LBB62_511
; %bb.510:
	v_div_scale_f32 v73, null, v71, v71, v70
	v_div_scale_f32 v81, vcc_lo, v70, v71, v70
	s_delay_alu instid0(VALU_DEP_2) | instskip(SKIP_1) | instid1(TRANS32_DEP_1)
	v_rcp_f32_e32 v79, v73
	v_nop
	v_fma_f32 v80, -v73, v79, 1.0
	s_delay_alu instid0(VALU_DEP_1) | instskip(NEXT) | instid1(VALU_DEP_1)
	v_fmac_f32_e32 v79, v80, v79
	v_mul_f32_e32 v80, v81, v79
	s_delay_alu instid0(VALU_DEP_1) | instskip(NEXT) | instid1(VALU_DEP_1)
	v_fma_f32 v82, -v73, v80, v81
	v_fmac_f32_e32 v80, v82, v79
	s_delay_alu instid0(VALU_DEP_1) | instskip(NEXT) | instid1(VALU_DEP_1)
	v_fma_f32 v73, -v73, v80, v81
	v_div_fmas_f32 v73, v73, v79, v80
	s_delay_alu instid0(VALU_DEP_1) | instskip(NEXT) | instid1(VALU_DEP_1)
	v_div_fixup_f32 v73, v73, v71, v70
	v_fmac_f32_e32 v71, v70, v73
	s_delay_alu instid0(VALU_DEP_1) | instskip(SKIP_1) | instid1(VALU_DEP_2)
	v_div_scale_f32 v70, null, v71, v71, 1.0
	v_div_scale_f32 v81, vcc_lo, 1.0, v71, 1.0
	v_rcp_f32_e32 v79, v70
	v_nop
	s_delay_alu instid0(TRANS32_DEP_1) | instskip(NEXT) | instid1(VALU_DEP_1)
	v_fma_f32 v80, -v70, v79, 1.0
	v_fmac_f32_e32 v79, v80, v79
	s_delay_alu instid0(VALU_DEP_1) | instskip(NEXT) | instid1(VALU_DEP_1)
	v_mul_f32_e32 v80, v81, v79
	v_fma_f32 v82, -v70, v80, v81
	s_delay_alu instid0(VALU_DEP_1) | instskip(NEXT) | instid1(VALU_DEP_1)
	v_fmac_f32_e32 v80, v82, v79
	v_fma_f32 v70, -v70, v80, v81
	s_delay_alu instid0(VALU_DEP_1) | instskip(NEXT) | instid1(VALU_DEP_1)
	v_div_fmas_f32 v70, v70, v79, v80
	v_div_fixup_f32 v71, v70, v71, 1.0
	s_delay_alu instid0(VALU_DEP_1)
	v_mul_f32_e32 v70, v73, v71
	v_xor_b32_e32 v71, 0x80000000, v71
.LBB62_511:
	s_and_not1_saveexec_b32 s1, s1
	s_cbranch_execz .LBB62_513
; %bb.512:
	s_delay_alu instid0(VALU_DEP_1) | instskip(SKIP_1) | instid1(VALU_DEP_2)
	v_div_scale_f32 v73, null, v70, v70, v71
	v_div_scale_f32 v81, vcc_lo, v71, v70, v71
	v_rcp_f32_e32 v79, v73
	v_nop
	s_delay_alu instid0(TRANS32_DEP_1) | instskip(NEXT) | instid1(VALU_DEP_1)
	v_fma_f32 v80, -v73, v79, 1.0
	v_fmac_f32_e32 v79, v80, v79
	s_delay_alu instid0(VALU_DEP_1) | instskip(NEXT) | instid1(VALU_DEP_1)
	v_mul_f32_e32 v80, v81, v79
	v_fma_f32 v82, -v73, v80, v81
	s_delay_alu instid0(VALU_DEP_1) | instskip(NEXT) | instid1(VALU_DEP_1)
	v_fmac_f32_e32 v80, v82, v79
	v_fma_f32 v73, -v73, v80, v81
	s_delay_alu instid0(VALU_DEP_1) | instskip(NEXT) | instid1(VALU_DEP_1)
	v_div_fmas_f32 v73, v73, v79, v80
	v_div_fixup_f32 v73, v73, v70, v71
	s_delay_alu instid0(VALU_DEP_1) | instskip(NEXT) | instid1(VALU_DEP_1)
	v_fmac_f32_e32 v70, v71, v73
	v_div_scale_f32 v71, null, v70, v70, 1.0
	s_delay_alu instid0(VALU_DEP_1) | instskip(SKIP_1) | instid1(TRANS32_DEP_1)
	v_rcp_f32_e32 v79, v71
	v_nop
	v_fma_f32 v80, -v71, v79, 1.0
	s_delay_alu instid0(VALU_DEP_1) | instskip(SKIP_1) | instid1(VALU_DEP_1)
	v_fmac_f32_e32 v79, v80, v79
	v_div_scale_f32 v80, vcc_lo, 1.0, v70, 1.0
	v_mul_f32_e32 v81, v80, v79
	s_delay_alu instid0(VALU_DEP_1) | instskip(NEXT) | instid1(VALU_DEP_1)
	v_fma_f32 v82, -v71, v81, v80
	v_fmac_f32_e32 v81, v82, v79
	s_delay_alu instid0(VALU_DEP_1) | instskip(NEXT) | instid1(VALU_DEP_1)
	v_fma_f32 v71, -v71, v81, v80
	v_div_fmas_f32 v71, v71, v79, v81
	s_delay_alu instid0(VALU_DEP_1) | instskip(NEXT) | instid1(VALU_DEP_1)
	v_div_fixup_f32 v70, v71, v70, 1.0
	v_mul_f32_e64 v71, v73, -v70
.LBB62_513:
	s_or_b32 exec_lo, exec_lo, s1
.LBB62_514:
	s_delay_alu instid0(SALU_CYCLE_1) | instskip(NEXT) | instid1(SALU_CYCLE_1)
	s_or_b32 exec_lo, exec_lo, s0
	s_mov_b32 s0, exec_lo
	v_cmpx_ne_u32_e64 v78, v72
	s_xor_b32 s0, exec_lo, s0
	s_cbranch_execz .LBB62_520
; %bb.515:
	s_mov_b32 s1, exec_lo
	v_cmpx_eq_u32_e32 24, v78
	s_cbranch_execz .LBB62_519
; %bb.516:
	v_cmp_ne_u32_e32 vcc_lo, 24, v72
	s_xor_b32 s12, s16, -1
	s_delay_alu instid0(SALU_CYCLE_1) | instskip(NEXT) | instid1(SALU_CYCLE_1)
	s_and_b32 s13, s12, vcc_lo
	s_and_saveexec_b32 s12, s13
	s_cbranch_execz .LBB62_518
; %bb.517:
	v_ashrrev_i32_e32 v73, 31, v72
	s_delay_alu instid0(VALU_DEP_1)
	v_lshl_add_u64 v[78:79], v[72:73], 2, v[4:5]
	s_clause 0x1
	global_load_b32 v73, v[78:79], off
	global_load_b32 v77, v[4:5], off offset:96
	s_wait_loadcnt 0x1
	global_store_b32 v[4:5], v73, off offset:96
	s_wait_loadcnt 0x0
	global_store_b32 v[78:79], v77, off
.LBB62_518:
	s_wait_xcnt 0x0
	s_or_b32 exec_lo, exec_lo, s12
	v_dual_mov_b32 v78, v72 :: v_dual_mov_b32 v77, v72
.LBB62_519:
	s_or_b32 exec_lo, exec_lo, s1
.LBB62_520:
	s_and_not1_saveexec_b32 s0, s0
	s_cbranch_execz .LBB62_522
; %bb.521:
	v_mov_b32_e32 v78, 24
	ds_store_2addr_b64 v74, v[24:25], v[26:27] offset0:25 offset1:26
	ds_store_2addr_b64 v74, v[12:13], v[22:23] offset0:27 offset1:28
	;; [unrolled: 1-line block ×3, first 2 shown]
	ds_store_b64 v74, v[68:69] offset:248
.LBB62_522:
	s_or_b32 exec_lo, exec_lo, s0
	s_delay_alu instid0(SALU_CYCLE_1)
	s_mov_b32 s0, exec_lo
	s_wait_storecnt_dscnt 0x0
	s_barrier_signal -1
	s_barrier_wait -1
	v_cmpx_lt_i32_e32 24, v78
	s_cbranch_execz .LBB62_524
; %bb.523:
	v_pk_mul_f32 v[72:73], v[70:71], v[28:29] op_sel:[1,1] op_sel_hi:[0,1]
	s_delay_alu instid0(VALU_DEP_1)
	v_pk_fma_f32 v[80:81], v[70:71], v[28:29], v[72:73] op_sel_hi:[1,0,1] neg_lo:[0,0,1] neg_hi:[0,0,1]
	v_pk_fma_f32 v[82:83], v[70:71], v[28:29], v[72:73] op_sel_hi:[1,0,1]
	ds_load_2addr_b64 v[70:73], v74 offset0:25 offset1:26
	v_dual_mov_b32 v28, v80 :: v_dual_mov_b32 v29, v83
	s_wait_dscnt 0x0
	v_pk_mul_f32 v[84:85], v[70:71], v[82:83] op_sel:[0,1]
	s_delay_alu instid0(VALU_DEP_1) | instskip(SKIP_1) | instid1(VALU_DEP_1)
	v_pk_fma_f32 v[86:87], v[70:71], v[80:81], v[84:85] op_sel:[0,0,1] op_sel_hi:[1,1,0] neg_lo:[0,0,1] neg_hi:[0,0,1]
	v_pk_fma_f32 v[70:71], v[70:71], v[80:81], v[84:85] op_sel:[0,0,1] op_sel_hi:[1,0,0]
	v_mov_b32_e32 v87, v71
	v_pk_mul_f32 v[70:71], v[72:73], v[82:83] op_sel:[0,1]
	s_delay_alu instid0(VALU_DEP_1) | instskip(SKIP_1) | instid1(VALU_DEP_1)
	v_pk_fma_f32 v[84:85], v[72:73], v[80:81], v[70:71] op_sel:[0,0,1] op_sel_hi:[1,1,0] neg_lo:[0,0,1] neg_hi:[0,0,1]
	v_pk_fma_f32 v[70:71], v[72:73], v[80:81], v[70:71] op_sel:[0,0,1] op_sel_hi:[1,0,0]
	v_mov_b32_e32 v85, v71
	ds_load_2addr_b64 v[70:73], v74 offset0:27 offset1:28
	v_pk_add_f32 v[24:25], v[24:25], v[86:87] neg_lo:[0,1] neg_hi:[0,1]
	v_pk_add_f32 v[26:27], v[26:27], v[84:85] neg_lo:[0,1] neg_hi:[0,1]
	s_wait_dscnt 0x0
	v_pk_mul_f32 v[84:85], v[70:71], v[82:83] op_sel:[0,1]
	s_delay_alu instid0(VALU_DEP_1) | instskip(SKIP_2) | instid1(VALU_DEP_2)
	v_pk_fma_f32 v[86:87], v[70:71], v[80:81], v[84:85] op_sel:[0,0,1] op_sel_hi:[1,1,0] neg_lo:[0,0,1] neg_hi:[0,0,1]
	v_pk_fma_f32 v[70:71], v[70:71], v[80:81], v[84:85] op_sel:[0,0,1] op_sel_hi:[1,0,0]
	v_dual_mul_f32 v84, v73, v83 :: v_dual_mov_b32 v70, v73
	v_dual_mov_b32 v87, v71 :: v_dual_mov_b32 v71, v72
	s_delay_alu instid0(VALU_DEP_2) | instskip(SKIP_1) | instid1(VALU_DEP_3)
	v_pk_fma_f32 v[84:85], v[72:73], v[28:29], v[84:85] op_sel_hi:[1,1,0] neg_lo:[0,0,1] neg_hi:[0,0,1]
	v_mul_f32_e32 v72, v73, v80
	v_pk_add_f32 v[12:13], v[12:13], v[86:87] neg_lo:[0,1] neg_hi:[0,1]
	s_delay_alu instid0(VALU_DEP_2) | instskip(NEXT) | instid1(VALU_DEP_1)
	v_pk_fma_f32 v[70:71], v[70:71], v[28:29], v[72:73] op_sel_hi:[1,1,0]
	v_mov_b32_e32 v85, v71
	ds_load_2addr_b64 v[70:73], v74 offset0:29 offset1:30
	v_pk_add_f32 v[22:23], v[22:23], v[84:85] neg_lo:[0,1] neg_hi:[0,1]
	s_wait_dscnt 0x0
	v_pk_mul_f32 v[84:85], v[70:71], v[82:83] op_sel:[0,1]
	s_delay_alu instid0(VALU_DEP_1) | instskip(SKIP_1) | instid1(VALU_DEP_1)
	v_pk_fma_f32 v[86:87], v[70:71], v[80:81], v[84:85] op_sel:[0,0,1] op_sel_hi:[1,1,0] neg_lo:[0,0,1] neg_hi:[0,0,1]
	v_pk_fma_f32 v[70:71], v[70:71], v[80:81], v[84:85] op_sel:[0,0,1] op_sel_hi:[1,0,0]
	v_mov_b32_e32 v87, v71
	v_pk_mul_f32 v[70:71], v[72:73], v[82:83] op_sel:[0,1]
	s_delay_alu instid0(VALU_DEP_1) | instskip(SKIP_1) | instid1(VALU_DEP_1)
	v_pk_fma_f32 v[84:85], v[72:73], v[80:81], v[70:71] op_sel:[0,0,1] op_sel_hi:[1,1,0] neg_lo:[0,0,1] neg_hi:[0,0,1]
	v_pk_fma_f32 v[70:71], v[72:73], v[80:81], v[70:71] op_sel:[0,0,1] op_sel_hi:[1,0,0]
	v_mov_b32_e32 v85, v71
	ds_load_b64 v[70:71], v74 offset:248
	v_pk_add_f32 v[20:21], v[20:21], v[86:87] neg_lo:[0,1] neg_hi:[0,1]
	v_pk_add_f32 v[18:19], v[18:19], v[84:85] neg_lo:[0,1] neg_hi:[0,1]
	s_wait_dscnt 0x0
	v_pk_mul_f32 v[72:73], v[70:71], v[82:83] op_sel:[0,1]
	s_delay_alu instid0(VALU_DEP_1) | instskip(SKIP_1) | instid1(VALU_DEP_1)
	v_pk_fma_f32 v[82:83], v[70:71], v[80:81], v[72:73] op_sel:[0,0,1] op_sel_hi:[1,1,0] neg_lo:[0,0,1] neg_hi:[0,0,1]
	v_pk_fma_f32 v[70:71], v[70:71], v[80:81], v[72:73] op_sel:[0,0,1] op_sel_hi:[1,0,0]
	v_mov_b32_e32 v83, v71
	s_delay_alu instid0(VALU_DEP_1)
	v_pk_add_f32 v[68:69], v[68:69], v[82:83] neg_lo:[0,1] neg_hi:[0,1]
.LBB62_524:
	s_or_b32 exec_lo, exec_lo, s0
	v_lshl_add_u32 v70, v78, 3, v74
	s_barrier_signal -1
	s_barrier_wait -1
	ds_store_b64 v70, v[24:25]
	s_wait_dscnt 0x0
	s_barrier_signal -1
	s_barrier_wait -1
	ds_load_b64 v[70:71], v74 offset:200
	v_mov_b32_e32 v72, 25
	s_cmp_lt_i32 s18, 27
	s_cbranch_scc1 .LBB62_527
; %bb.525:
	v_add3_u32 v73, v75, 0, 0xd0
	v_mov_b32_e32 v72, 25
	s_mov_b32 s0, 26
.LBB62_526:                             ; =>This Inner Loop Header: Depth=1
	ds_load_b64 v[80:81], v73
	s_wait_dscnt 0x1
	v_cmp_gt_f32_e32 vcc_lo, 0, v70
	v_cndmask_b32_e64 v82, v70, -v70, vcc_lo
	v_cmp_gt_f32_e32 vcc_lo, 0, v71
	v_cndmask_b32_e64 v84, v71, -v71, vcc_lo
	s_wait_dscnt 0x0
	v_cmp_gt_f32_e32 vcc_lo, 0, v80
	v_cndmask_b32_e64 v83, v80, -v80, vcc_lo
	v_cmp_gt_f32_e32 vcc_lo, 0, v81
	v_cndmask_b32_e64 v85, v81, -v81, vcc_lo
	s_delay_alu instid0(VALU_DEP_1) | instskip(NEXT) | instid1(VALU_DEP_1)
	v_pk_add_f32 v[82:83], v[82:83], v[84:85]
	v_cmp_lt_f32_e32 vcc_lo, v82, v83
	v_dual_cndmask_b32 v70, v70, v80 :: v_dual_add_nc_u32 v73, 8, v73
	v_cndmask_b32_e32 v71, v71, v81, vcc_lo
	v_cndmask_b32_e64 v72, v72, s0, vcc_lo
	s_add_co_i32 s0, s0, 1
	s_delay_alu instid0(SALU_CYCLE_1)
	s_cmp_lg_u32 s18, s0
	s_cbranch_scc1 .LBB62_526
.LBB62_527:
	s_wait_dscnt 0x0
	v_cmp_eq_f32_e32 vcc_lo, 0, v70
	v_cmp_eq_f32_e64 s0, 0, v71
	s_and_b32 s0, vcc_lo, s0
	s_delay_alu instid0(SALU_CYCLE_1) | instskip(NEXT) | instid1(SALU_CYCLE_1)
	s_and_saveexec_b32 s1, s0
	s_xor_b32 s0, exec_lo, s1
; %bb.528:
	v_cmp_ne_u32_e32 vcc_lo, 0, v76
	v_cndmask_b32_e32 v76, 26, v76, vcc_lo
; %bb.529:
	s_and_not1_saveexec_b32 s0, s0
	s_cbranch_execz .LBB62_535
; %bb.530:
	v_cmp_ngt_f32_e64 s1, |v70|, |v71|
	s_and_saveexec_b32 s12, s1
	s_delay_alu instid0(SALU_CYCLE_1)
	s_xor_b32 s1, exec_lo, s12
	s_cbranch_execz .LBB62_532
; %bb.531:
	v_div_scale_f32 v73, null, v71, v71, v70
	v_div_scale_f32 v81, vcc_lo, v70, v71, v70
	s_delay_alu instid0(VALU_DEP_2) | instskip(SKIP_1) | instid1(TRANS32_DEP_1)
	v_rcp_f32_e32 v79, v73
	v_nop
	v_fma_f32 v80, -v73, v79, 1.0
	s_delay_alu instid0(VALU_DEP_1) | instskip(NEXT) | instid1(VALU_DEP_1)
	v_fmac_f32_e32 v79, v80, v79
	v_mul_f32_e32 v80, v81, v79
	s_delay_alu instid0(VALU_DEP_1) | instskip(NEXT) | instid1(VALU_DEP_1)
	v_fma_f32 v82, -v73, v80, v81
	v_fmac_f32_e32 v80, v82, v79
	s_delay_alu instid0(VALU_DEP_1) | instskip(NEXT) | instid1(VALU_DEP_1)
	v_fma_f32 v73, -v73, v80, v81
	v_div_fmas_f32 v73, v73, v79, v80
	s_delay_alu instid0(VALU_DEP_1) | instskip(NEXT) | instid1(VALU_DEP_1)
	v_div_fixup_f32 v73, v73, v71, v70
	v_fmac_f32_e32 v71, v70, v73
	s_delay_alu instid0(VALU_DEP_1) | instskip(SKIP_1) | instid1(VALU_DEP_2)
	v_div_scale_f32 v70, null, v71, v71, 1.0
	v_div_scale_f32 v81, vcc_lo, 1.0, v71, 1.0
	v_rcp_f32_e32 v79, v70
	v_nop
	s_delay_alu instid0(TRANS32_DEP_1) | instskip(NEXT) | instid1(VALU_DEP_1)
	v_fma_f32 v80, -v70, v79, 1.0
	v_fmac_f32_e32 v79, v80, v79
	s_delay_alu instid0(VALU_DEP_1) | instskip(NEXT) | instid1(VALU_DEP_1)
	v_mul_f32_e32 v80, v81, v79
	v_fma_f32 v82, -v70, v80, v81
	s_delay_alu instid0(VALU_DEP_1) | instskip(NEXT) | instid1(VALU_DEP_1)
	v_fmac_f32_e32 v80, v82, v79
	v_fma_f32 v70, -v70, v80, v81
	s_delay_alu instid0(VALU_DEP_1) | instskip(NEXT) | instid1(VALU_DEP_1)
	v_div_fmas_f32 v70, v70, v79, v80
	v_div_fixup_f32 v71, v70, v71, 1.0
	s_delay_alu instid0(VALU_DEP_1)
	v_mul_f32_e32 v70, v73, v71
	v_xor_b32_e32 v71, 0x80000000, v71
.LBB62_532:
	s_and_not1_saveexec_b32 s1, s1
	s_cbranch_execz .LBB62_534
; %bb.533:
	s_delay_alu instid0(VALU_DEP_1) | instskip(SKIP_1) | instid1(VALU_DEP_2)
	v_div_scale_f32 v73, null, v70, v70, v71
	v_div_scale_f32 v81, vcc_lo, v71, v70, v71
	v_rcp_f32_e32 v79, v73
	v_nop
	s_delay_alu instid0(TRANS32_DEP_1) | instskip(NEXT) | instid1(VALU_DEP_1)
	v_fma_f32 v80, -v73, v79, 1.0
	v_fmac_f32_e32 v79, v80, v79
	s_delay_alu instid0(VALU_DEP_1) | instskip(NEXT) | instid1(VALU_DEP_1)
	v_mul_f32_e32 v80, v81, v79
	v_fma_f32 v82, -v73, v80, v81
	s_delay_alu instid0(VALU_DEP_1) | instskip(NEXT) | instid1(VALU_DEP_1)
	v_fmac_f32_e32 v80, v82, v79
	v_fma_f32 v73, -v73, v80, v81
	s_delay_alu instid0(VALU_DEP_1) | instskip(NEXT) | instid1(VALU_DEP_1)
	v_div_fmas_f32 v73, v73, v79, v80
	v_div_fixup_f32 v73, v73, v70, v71
	s_delay_alu instid0(VALU_DEP_1) | instskip(NEXT) | instid1(VALU_DEP_1)
	v_fmac_f32_e32 v70, v71, v73
	v_div_scale_f32 v71, null, v70, v70, 1.0
	s_delay_alu instid0(VALU_DEP_1) | instskip(SKIP_1) | instid1(TRANS32_DEP_1)
	v_rcp_f32_e32 v79, v71
	v_nop
	v_fma_f32 v80, -v71, v79, 1.0
	s_delay_alu instid0(VALU_DEP_1) | instskip(SKIP_1) | instid1(VALU_DEP_1)
	v_fmac_f32_e32 v79, v80, v79
	v_div_scale_f32 v80, vcc_lo, 1.0, v70, 1.0
	v_mul_f32_e32 v81, v80, v79
	s_delay_alu instid0(VALU_DEP_1) | instskip(NEXT) | instid1(VALU_DEP_1)
	v_fma_f32 v82, -v71, v81, v80
	v_fmac_f32_e32 v81, v82, v79
	s_delay_alu instid0(VALU_DEP_1) | instskip(NEXT) | instid1(VALU_DEP_1)
	v_fma_f32 v71, -v71, v81, v80
	v_div_fmas_f32 v71, v71, v79, v81
	s_delay_alu instid0(VALU_DEP_1) | instskip(NEXT) | instid1(VALU_DEP_1)
	v_div_fixup_f32 v70, v71, v70, 1.0
	v_mul_f32_e64 v71, v73, -v70
.LBB62_534:
	s_or_b32 exec_lo, exec_lo, s1
.LBB62_535:
	s_delay_alu instid0(SALU_CYCLE_1) | instskip(NEXT) | instid1(SALU_CYCLE_1)
	s_or_b32 exec_lo, exec_lo, s0
	s_mov_b32 s0, exec_lo
	v_cmpx_ne_u32_e64 v78, v72
	s_xor_b32 s0, exec_lo, s0
	s_cbranch_execz .LBB62_541
; %bb.536:
	s_mov_b32 s1, exec_lo
	v_cmpx_eq_u32_e32 25, v78
	s_cbranch_execz .LBB62_540
; %bb.537:
	v_cmp_ne_u32_e32 vcc_lo, 25, v72
	s_xor_b32 s12, s16, -1
	s_delay_alu instid0(SALU_CYCLE_1) | instskip(NEXT) | instid1(SALU_CYCLE_1)
	s_and_b32 s13, s12, vcc_lo
	s_and_saveexec_b32 s12, s13
	s_cbranch_execz .LBB62_539
; %bb.538:
	v_ashrrev_i32_e32 v73, 31, v72
	s_delay_alu instid0(VALU_DEP_1)
	v_lshl_add_u64 v[78:79], v[72:73], 2, v[4:5]
	s_clause 0x1
	global_load_b32 v73, v[78:79], off
	global_load_b32 v77, v[4:5], off offset:100
	s_wait_loadcnt 0x1
	global_store_b32 v[4:5], v73, off offset:100
	s_wait_loadcnt 0x0
	global_store_b32 v[78:79], v77, off
.LBB62_539:
	s_wait_xcnt 0x0
	s_or_b32 exec_lo, exec_lo, s12
	v_dual_mov_b32 v78, v72 :: v_dual_mov_b32 v77, v72
.LBB62_540:
	s_or_b32 exec_lo, exec_lo, s1
.LBB62_541:
	s_and_not1_saveexec_b32 s0, s0
	s_cbranch_execz .LBB62_543
; %bb.542:
	v_dual_mov_b32 v72, v26 :: v_dual_mov_b32 v73, v27
	v_dual_mov_b32 v80, v12 :: v_dual_mov_b32 v81, v13
	;; [unrolled: 1-line block ×5, first 2 shown]
	v_mov_b32_e32 v87, v19
	ds_store_2addr_b64 v74, v[72:73], v[80:81] offset0:26 offset1:27
	ds_store_2addr_b64 v74, v[82:83], v[84:85] offset0:28 offset1:29
	;; [unrolled: 1-line block ×3, first 2 shown]
.LBB62_543:
	s_or_b32 exec_lo, exec_lo, s0
	s_delay_alu instid0(SALU_CYCLE_1)
	s_mov_b32 s0, exec_lo
	s_wait_storecnt_dscnt 0x0
	s_barrier_signal -1
	s_barrier_wait -1
	v_cmpx_lt_i32_e32 25, v78
	s_cbranch_execz .LBB62_545
; %bb.544:
	v_pk_mul_f32 v[72:73], v[70:71], v[24:25] op_sel:[1,1] op_sel_hi:[0,1]
	s_delay_alu instid0(VALU_DEP_1)
	v_pk_fma_f32 v[80:81], v[70:71], v[24:25], v[72:73] op_sel_hi:[1,0,1] neg_lo:[0,0,1] neg_hi:[0,0,1]
	v_pk_fma_f32 v[82:83], v[70:71], v[24:25], v[72:73] op_sel_hi:[1,0,1]
	ds_load_2addr_b64 v[70:73], v74 offset0:26 offset1:27
	v_dual_mov_b32 v24, v80 :: v_dual_mov_b32 v25, v83
	s_wait_dscnt 0x0
	v_pk_mul_f32 v[84:85], v[70:71], v[82:83] op_sel:[0,1]
	s_delay_alu instid0(VALU_DEP_1) | instskip(SKIP_1) | instid1(VALU_DEP_1)
	v_pk_fma_f32 v[86:87], v[70:71], v[80:81], v[84:85] op_sel:[0,0,1] op_sel_hi:[1,1,0] neg_lo:[0,0,1] neg_hi:[0,0,1]
	v_pk_fma_f32 v[70:71], v[70:71], v[80:81], v[84:85] op_sel:[0,0,1] op_sel_hi:[1,0,0]
	v_mov_b32_e32 v87, v71
	v_pk_mul_f32 v[70:71], v[72:73], v[82:83] op_sel:[0,1]
	s_delay_alu instid0(VALU_DEP_1) | instskip(SKIP_1) | instid1(VALU_DEP_1)
	v_pk_fma_f32 v[84:85], v[72:73], v[80:81], v[70:71] op_sel:[0,0,1] op_sel_hi:[1,1,0] neg_lo:[0,0,1] neg_hi:[0,0,1]
	v_pk_fma_f32 v[70:71], v[72:73], v[80:81], v[70:71] op_sel:[0,0,1] op_sel_hi:[1,0,0]
	v_mov_b32_e32 v85, v71
	ds_load_2addr_b64 v[70:73], v74 offset0:28 offset1:29
	v_pk_add_f32 v[26:27], v[26:27], v[86:87] neg_lo:[0,1] neg_hi:[0,1]
	v_pk_add_f32 v[12:13], v[12:13], v[84:85] neg_lo:[0,1] neg_hi:[0,1]
	s_wait_dscnt 0x0
	v_pk_mul_f32 v[84:85], v[70:71], v[82:83] op_sel:[0,1]
	s_delay_alu instid0(VALU_DEP_1) | instskip(SKIP_2) | instid1(VALU_DEP_2)
	v_pk_fma_f32 v[86:87], v[70:71], v[80:81], v[84:85] op_sel:[0,0,1] op_sel_hi:[1,1,0] neg_lo:[0,0,1] neg_hi:[0,0,1]
	v_pk_fma_f32 v[70:71], v[70:71], v[80:81], v[84:85] op_sel:[0,0,1] op_sel_hi:[1,0,0]
	v_dual_mul_f32 v84, v73, v83 :: v_dual_mov_b32 v70, v73
	v_dual_mov_b32 v87, v71 :: v_dual_mov_b32 v71, v72
	s_delay_alu instid0(VALU_DEP_2) | instskip(SKIP_1) | instid1(VALU_DEP_3)
	v_pk_fma_f32 v[84:85], v[72:73], v[24:25], v[84:85] op_sel_hi:[1,1,0] neg_lo:[0,0,1] neg_hi:[0,0,1]
	v_mul_f32_e32 v72, v73, v80
	v_pk_add_f32 v[22:23], v[22:23], v[86:87] neg_lo:[0,1] neg_hi:[0,1]
	s_delay_alu instid0(VALU_DEP_2) | instskip(NEXT) | instid1(VALU_DEP_1)
	v_pk_fma_f32 v[70:71], v[70:71], v[24:25], v[72:73] op_sel_hi:[1,1,0]
	v_mov_b32_e32 v85, v71
	ds_load_2addr_b64 v[70:73], v74 offset0:30 offset1:31
	v_pk_add_f32 v[20:21], v[20:21], v[84:85] neg_lo:[0,1] neg_hi:[0,1]
	s_wait_dscnt 0x0
	v_pk_mul_f32 v[84:85], v[70:71], v[82:83] op_sel:[0,1]
	v_mul_f32_e32 v82, v73, v83
	s_delay_alu instid0(VALU_DEP_2) | instskip(SKIP_2) | instid1(VALU_DEP_4)
	v_pk_fma_f32 v[86:87], v[70:71], v[80:81], v[84:85] op_sel:[0,0,1] op_sel_hi:[1,1,0] neg_lo:[0,0,1] neg_hi:[0,0,1]
	v_pk_fma_f32 v[70:71], v[70:71], v[80:81], v[84:85] op_sel:[0,0,1] op_sel_hi:[1,0,0]
	v_mov_b32_e32 v70, v73
	v_pk_fma_f32 v[82:83], v[72:73], v[24:25], v[82:83] op_sel_hi:[1,1,0] neg_lo:[0,0,1] neg_hi:[0,0,1]
	s_delay_alu instid0(VALU_DEP_3) | instskip(SKIP_1) | instid1(VALU_DEP_2)
	v_dual_mov_b32 v87, v71 :: v_dual_mov_b32 v71, v72
	v_mul_f32_e32 v72, v73, v80
	v_pk_add_f32 v[18:19], v[18:19], v[86:87] neg_lo:[0,1] neg_hi:[0,1]
	s_delay_alu instid0(VALU_DEP_2) | instskip(NEXT) | instid1(VALU_DEP_1)
	v_pk_fma_f32 v[70:71], v[70:71], v[24:25], v[72:73] op_sel_hi:[1,1,0]
	v_mov_b32_e32 v83, v71
	s_delay_alu instid0(VALU_DEP_1)
	v_pk_add_f32 v[68:69], v[68:69], v[82:83] neg_lo:[0,1] neg_hi:[0,1]
.LBB62_545:
	s_or_b32 exec_lo, exec_lo, s0
	v_lshl_add_u32 v70, v78, 3, v74
	s_barrier_signal -1
	s_barrier_wait -1
	ds_store_b64 v70, v[26:27]
	s_wait_dscnt 0x0
	s_barrier_signal -1
	s_barrier_wait -1
	ds_load_b64 v[70:71], v74 offset:208
	v_mov_b32_e32 v72, 26
	s_cmp_lt_i32 s18, 28
	s_cbranch_scc1 .LBB62_548
; %bb.546:
	v_add3_u32 v73, v75, 0, 0xd8
	v_mov_b32_e32 v72, 26
	s_mov_b32 s0, 27
.LBB62_547:                             ; =>This Inner Loop Header: Depth=1
	ds_load_b64 v[80:81], v73
	s_wait_dscnt 0x1
	v_cmp_gt_f32_e32 vcc_lo, 0, v70
	v_cndmask_b32_e64 v82, v70, -v70, vcc_lo
	v_cmp_gt_f32_e32 vcc_lo, 0, v71
	v_cndmask_b32_e64 v84, v71, -v71, vcc_lo
	s_wait_dscnt 0x0
	v_cmp_gt_f32_e32 vcc_lo, 0, v80
	v_cndmask_b32_e64 v83, v80, -v80, vcc_lo
	v_cmp_gt_f32_e32 vcc_lo, 0, v81
	v_cndmask_b32_e64 v85, v81, -v81, vcc_lo
	s_delay_alu instid0(VALU_DEP_1) | instskip(NEXT) | instid1(VALU_DEP_1)
	v_pk_add_f32 v[82:83], v[82:83], v[84:85]
	v_cmp_lt_f32_e32 vcc_lo, v82, v83
	v_dual_cndmask_b32 v70, v70, v80 :: v_dual_add_nc_u32 v73, 8, v73
	v_cndmask_b32_e32 v71, v71, v81, vcc_lo
	v_cndmask_b32_e64 v72, v72, s0, vcc_lo
	s_add_co_i32 s0, s0, 1
	s_delay_alu instid0(SALU_CYCLE_1)
	s_cmp_lg_u32 s18, s0
	s_cbranch_scc1 .LBB62_547
.LBB62_548:
	s_wait_dscnt 0x0
	v_cmp_eq_f32_e32 vcc_lo, 0, v70
	v_cmp_eq_f32_e64 s0, 0, v71
	s_and_b32 s0, vcc_lo, s0
	s_delay_alu instid0(SALU_CYCLE_1) | instskip(NEXT) | instid1(SALU_CYCLE_1)
	s_and_saveexec_b32 s1, s0
	s_xor_b32 s0, exec_lo, s1
; %bb.549:
	v_cmp_ne_u32_e32 vcc_lo, 0, v76
	v_cndmask_b32_e32 v76, 27, v76, vcc_lo
; %bb.550:
	s_and_not1_saveexec_b32 s0, s0
	s_cbranch_execz .LBB62_556
; %bb.551:
	v_cmp_ngt_f32_e64 s1, |v70|, |v71|
	s_and_saveexec_b32 s12, s1
	s_delay_alu instid0(SALU_CYCLE_1)
	s_xor_b32 s1, exec_lo, s12
	s_cbranch_execz .LBB62_553
; %bb.552:
	v_div_scale_f32 v73, null, v71, v71, v70
	v_div_scale_f32 v81, vcc_lo, v70, v71, v70
	s_delay_alu instid0(VALU_DEP_2) | instskip(SKIP_1) | instid1(TRANS32_DEP_1)
	v_rcp_f32_e32 v79, v73
	v_nop
	v_fma_f32 v80, -v73, v79, 1.0
	s_delay_alu instid0(VALU_DEP_1) | instskip(NEXT) | instid1(VALU_DEP_1)
	v_fmac_f32_e32 v79, v80, v79
	v_mul_f32_e32 v80, v81, v79
	s_delay_alu instid0(VALU_DEP_1) | instskip(NEXT) | instid1(VALU_DEP_1)
	v_fma_f32 v82, -v73, v80, v81
	v_fmac_f32_e32 v80, v82, v79
	s_delay_alu instid0(VALU_DEP_1) | instskip(NEXT) | instid1(VALU_DEP_1)
	v_fma_f32 v73, -v73, v80, v81
	v_div_fmas_f32 v73, v73, v79, v80
	s_delay_alu instid0(VALU_DEP_1) | instskip(NEXT) | instid1(VALU_DEP_1)
	v_div_fixup_f32 v73, v73, v71, v70
	v_fmac_f32_e32 v71, v70, v73
	s_delay_alu instid0(VALU_DEP_1) | instskip(SKIP_1) | instid1(VALU_DEP_2)
	v_div_scale_f32 v70, null, v71, v71, 1.0
	v_div_scale_f32 v81, vcc_lo, 1.0, v71, 1.0
	v_rcp_f32_e32 v79, v70
	v_nop
	s_delay_alu instid0(TRANS32_DEP_1) | instskip(NEXT) | instid1(VALU_DEP_1)
	v_fma_f32 v80, -v70, v79, 1.0
	v_fmac_f32_e32 v79, v80, v79
	s_delay_alu instid0(VALU_DEP_1) | instskip(NEXT) | instid1(VALU_DEP_1)
	v_mul_f32_e32 v80, v81, v79
	v_fma_f32 v82, -v70, v80, v81
	s_delay_alu instid0(VALU_DEP_1) | instskip(NEXT) | instid1(VALU_DEP_1)
	v_fmac_f32_e32 v80, v82, v79
	v_fma_f32 v70, -v70, v80, v81
	s_delay_alu instid0(VALU_DEP_1) | instskip(NEXT) | instid1(VALU_DEP_1)
	v_div_fmas_f32 v70, v70, v79, v80
	v_div_fixup_f32 v71, v70, v71, 1.0
	s_delay_alu instid0(VALU_DEP_1)
	v_mul_f32_e32 v70, v73, v71
	v_xor_b32_e32 v71, 0x80000000, v71
.LBB62_553:
	s_and_not1_saveexec_b32 s1, s1
	s_cbranch_execz .LBB62_555
; %bb.554:
	s_delay_alu instid0(VALU_DEP_1) | instskip(SKIP_1) | instid1(VALU_DEP_2)
	v_div_scale_f32 v73, null, v70, v70, v71
	v_div_scale_f32 v81, vcc_lo, v71, v70, v71
	v_rcp_f32_e32 v79, v73
	v_nop
	s_delay_alu instid0(TRANS32_DEP_1) | instskip(NEXT) | instid1(VALU_DEP_1)
	v_fma_f32 v80, -v73, v79, 1.0
	v_fmac_f32_e32 v79, v80, v79
	s_delay_alu instid0(VALU_DEP_1) | instskip(NEXT) | instid1(VALU_DEP_1)
	v_mul_f32_e32 v80, v81, v79
	v_fma_f32 v82, -v73, v80, v81
	s_delay_alu instid0(VALU_DEP_1) | instskip(NEXT) | instid1(VALU_DEP_1)
	v_fmac_f32_e32 v80, v82, v79
	v_fma_f32 v73, -v73, v80, v81
	s_delay_alu instid0(VALU_DEP_1) | instskip(NEXT) | instid1(VALU_DEP_1)
	v_div_fmas_f32 v73, v73, v79, v80
	v_div_fixup_f32 v73, v73, v70, v71
	s_delay_alu instid0(VALU_DEP_1) | instskip(NEXT) | instid1(VALU_DEP_1)
	v_fmac_f32_e32 v70, v71, v73
	v_div_scale_f32 v71, null, v70, v70, 1.0
	s_delay_alu instid0(VALU_DEP_1) | instskip(SKIP_1) | instid1(TRANS32_DEP_1)
	v_rcp_f32_e32 v79, v71
	v_nop
	v_fma_f32 v80, -v71, v79, 1.0
	s_delay_alu instid0(VALU_DEP_1) | instskip(SKIP_1) | instid1(VALU_DEP_1)
	v_fmac_f32_e32 v79, v80, v79
	v_div_scale_f32 v80, vcc_lo, 1.0, v70, 1.0
	v_mul_f32_e32 v81, v80, v79
	s_delay_alu instid0(VALU_DEP_1) | instskip(NEXT) | instid1(VALU_DEP_1)
	v_fma_f32 v82, -v71, v81, v80
	v_fmac_f32_e32 v81, v82, v79
	s_delay_alu instid0(VALU_DEP_1) | instskip(NEXT) | instid1(VALU_DEP_1)
	v_fma_f32 v71, -v71, v81, v80
	v_div_fmas_f32 v71, v71, v79, v81
	s_delay_alu instid0(VALU_DEP_1) | instskip(NEXT) | instid1(VALU_DEP_1)
	v_div_fixup_f32 v70, v71, v70, 1.0
	v_mul_f32_e64 v71, v73, -v70
.LBB62_555:
	s_or_b32 exec_lo, exec_lo, s1
.LBB62_556:
	s_delay_alu instid0(SALU_CYCLE_1) | instskip(NEXT) | instid1(SALU_CYCLE_1)
	s_or_b32 exec_lo, exec_lo, s0
	s_mov_b32 s0, exec_lo
	v_cmpx_ne_u32_e64 v78, v72
	s_xor_b32 s0, exec_lo, s0
	s_cbranch_execz .LBB62_562
; %bb.557:
	s_mov_b32 s1, exec_lo
	v_cmpx_eq_u32_e32 26, v78
	s_cbranch_execz .LBB62_561
; %bb.558:
	v_cmp_ne_u32_e32 vcc_lo, 26, v72
	s_xor_b32 s12, s16, -1
	s_delay_alu instid0(SALU_CYCLE_1) | instskip(NEXT) | instid1(SALU_CYCLE_1)
	s_and_b32 s13, s12, vcc_lo
	s_and_saveexec_b32 s12, s13
	s_cbranch_execz .LBB62_560
; %bb.559:
	v_ashrrev_i32_e32 v73, 31, v72
	s_delay_alu instid0(VALU_DEP_1)
	v_lshl_add_u64 v[78:79], v[72:73], 2, v[4:5]
	s_clause 0x1
	global_load_b32 v73, v[78:79], off
	global_load_b32 v77, v[4:5], off offset:104
	s_wait_loadcnt 0x1
	global_store_b32 v[4:5], v73, off offset:104
	s_wait_loadcnt 0x0
	global_store_b32 v[78:79], v77, off
.LBB62_560:
	s_wait_xcnt 0x0
	s_or_b32 exec_lo, exec_lo, s12
	v_dual_mov_b32 v78, v72 :: v_dual_mov_b32 v77, v72
.LBB62_561:
	s_or_b32 exec_lo, exec_lo, s1
.LBB62_562:
	s_and_not1_saveexec_b32 s0, s0
	s_cbranch_execz .LBB62_564
; %bb.563:
	v_mov_b32_e32 v78, 26
	ds_store_2addr_b64 v74, v[12:13], v[22:23] offset0:27 offset1:28
	ds_store_2addr_b64 v74, v[20:21], v[18:19] offset0:29 offset1:30
	ds_store_b64 v74, v[68:69] offset:248
.LBB62_564:
	s_or_b32 exec_lo, exec_lo, s0
	s_delay_alu instid0(SALU_CYCLE_1)
	s_mov_b32 s0, exec_lo
	s_wait_storecnt_dscnt 0x0
	s_barrier_signal -1
	s_barrier_wait -1
	v_cmpx_lt_i32_e32 26, v78
	s_cbranch_execz .LBB62_566
; %bb.565:
	v_pk_mul_f32 v[72:73], v[70:71], v[26:27] op_sel:[1,1] op_sel_hi:[0,1]
	s_delay_alu instid0(VALU_DEP_1)
	v_pk_fma_f32 v[80:81], v[70:71], v[26:27], v[72:73] op_sel_hi:[1,0,1] neg_lo:[0,0,1] neg_hi:[0,0,1]
	v_pk_fma_f32 v[82:83], v[70:71], v[26:27], v[72:73] op_sel_hi:[1,0,1]
	ds_load_2addr_b64 v[70:73], v74 offset0:27 offset1:28
	v_dual_mov_b32 v26, v80 :: v_dual_mov_b32 v27, v83
	s_wait_dscnt 0x0
	v_pk_mul_f32 v[84:85], v[70:71], v[82:83] op_sel:[0,1]
	s_delay_alu instid0(VALU_DEP_1) | instskip(SKIP_1) | instid1(VALU_DEP_1)
	v_pk_fma_f32 v[86:87], v[70:71], v[80:81], v[84:85] op_sel:[0,0,1] op_sel_hi:[1,1,0] neg_lo:[0,0,1] neg_hi:[0,0,1]
	v_pk_fma_f32 v[70:71], v[70:71], v[80:81], v[84:85] op_sel:[0,0,1] op_sel_hi:[1,0,0]
	v_mov_b32_e32 v87, v71
	v_pk_mul_f32 v[70:71], v[72:73], v[82:83] op_sel:[0,1]
	s_delay_alu instid0(VALU_DEP_1) | instskip(SKIP_1) | instid1(VALU_DEP_1)
	v_pk_fma_f32 v[84:85], v[72:73], v[80:81], v[70:71] op_sel:[0,0,1] op_sel_hi:[1,1,0] neg_lo:[0,0,1] neg_hi:[0,0,1]
	v_pk_fma_f32 v[70:71], v[72:73], v[80:81], v[70:71] op_sel:[0,0,1] op_sel_hi:[1,0,0]
	v_mov_b32_e32 v85, v71
	ds_load_2addr_b64 v[70:73], v74 offset0:29 offset1:30
	v_pk_add_f32 v[12:13], v[12:13], v[86:87] neg_lo:[0,1] neg_hi:[0,1]
	v_pk_add_f32 v[22:23], v[22:23], v[84:85] neg_lo:[0,1] neg_hi:[0,1]
	s_wait_dscnt 0x0
	v_pk_mul_f32 v[84:85], v[70:71], v[82:83] op_sel:[0,1]
	s_delay_alu instid0(VALU_DEP_1) | instskip(SKIP_2) | instid1(VALU_DEP_2)
	v_pk_fma_f32 v[86:87], v[70:71], v[80:81], v[84:85] op_sel:[0,0,1] op_sel_hi:[1,1,0] neg_lo:[0,0,1] neg_hi:[0,0,1]
	v_pk_fma_f32 v[70:71], v[70:71], v[80:81], v[84:85] op_sel:[0,0,1] op_sel_hi:[1,0,0]
	v_dual_mul_f32 v84, v73, v83 :: v_dual_mov_b32 v70, v73
	v_dual_mov_b32 v87, v71 :: v_dual_mov_b32 v71, v72
	s_delay_alu instid0(VALU_DEP_2) | instskip(SKIP_1) | instid1(VALU_DEP_3)
	v_pk_fma_f32 v[84:85], v[72:73], v[26:27], v[84:85] op_sel_hi:[1,1,0] neg_lo:[0,0,1] neg_hi:[0,0,1]
	v_mul_f32_e32 v72, v73, v80
	v_pk_add_f32 v[20:21], v[20:21], v[86:87] neg_lo:[0,1] neg_hi:[0,1]
	s_delay_alu instid0(VALU_DEP_2) | instskip(NEXT) | instid1(VALU_DEP_1)
	v_pk_fma_f32 v[70:71], v[70:71], v[26:27], v[72:73] op_sel_hi:[1,1,0]
	v_mov_b32_e32 v85, v71
	ds_load_b64 v[70:71], v74 offset:248
	v_pk_add_f32 v[18:19], v[18:19], v[84:85] neg_lo:[0,1] neg_hi:[0,1]
	s_wait_dscnt 0x0
	v_pk_mul_f32 v[72:73], v[70:71], v[82:83] op_sel:[0,1]
	s_delay_alu instid0(VALU_DEP_1) | instskip(SKIP_1) | instid1(VALU_DEP_1)
	v_pk_fma_f32 v[82:83], v[70:71], v[80:81], v[72:73] op_sel:[0,0,1] op_sel_hi:[1,1,0] neg_lo:[0,0,1] neg_hi:[0,0,1]
	v_pk_fma_f32 v[70:71], v[70:71], v[80:81], v[72:73] op_sel:[0,0,1] op_sel_hi:[1,0,0]
	v_mov_b32_e32 v83, v71
	s_delay_alu instid0(VALU_DEP_1)
	v_pk_add_f32 v[68:69], v[68:69], v[82:83] neg_lo:[0,1] neg_hi:[0,1]
.LBB62_566:
	s_or_b32 exec_lo, exec_lo, s0
	v_lshl_add_u32 v70, v78, 3, v74
	s_barrier_signal -1
	s_barrier_wait -1
	ds_store_b64 v70, v[12:13]
	s_wait_dscnt 0x0
	s_barrier_signal -1
	s_barrier_wait -1
	ds_load_b64 v[70:71], v74 offset:216
	v_mov_b32_e32 v72, 27
	s_cmp_lt_i32 s18, 29
	s_cbranch_scc1 .LBB62_569
; %bb.567:
	v_add3_u32 v73, v75, 0, 0xe0
	v_mov_b32_e32 v72, 27
	s_mov_b32 s0, 28
.LBB62_568:                             ; =>This Inner Loop Header: Depth=1
	ds_load_b64 v[80:81], v73
	s_wait_dscnt 0x1
	v_cmp_gt_f32_e32 vcc_lo, 0, v70
	v_cndmask_b32_e64 v82, v70, -v70, vcc_lo
	v_cmp_gt_f32_e32 vcc_lo, 0, v71
	v_cndmask_b32_e64 v84, v71, -v71, vcc_lo
	s_wait_dscnt 0x0
	v_cmp_gt_f32_e32 vcc_lo, 0, v80
	v_cndmask_b32_e64 v83, v80, -v80, vcc_lo
	v_cmp_gt_f32_e32 vcc_lo, 0, v81
	v_cndmask_b32_e64 v85, v81, -v81, vcc_lo
	s_delay_alu instid0(VALU_DEP_1) | instskip(NEXT) | instid1(VALU_DEP_1)
	v_pk_add_f32 v[82:83], v[82:83], v[84:85]
	v_cmp_lt_f32_e32 vcc_lo, v82, v83
	v_dual_cndmask_b32 v70, v70, v80 :: v_dual_add_nc_u32 v73, 8, v73
	v_cndmask_b32_e32 v71, v71, v81, vcc_lo
	v_cndmask_b32_e64 v72, v72, s0, vcc_lo
	s_add_co_i32 s0, s0, 1
	s_delay_alu instid0(SALU_CYCLE_1)
	s_cmp_lg_u32 s18, s0
	s_cbranch_scc1 .LBB62_568
.LBB62_569:
	s_wait_dscnt 0x0
	v_cmp_eq_f32_e32 vcc_lo, 0, v70
	v_cmp_eq_f32_e64 s0, 0, v71
	s_and_b32 s0, vcc_lo, s0
	s_delay_alu instid0(SALU_CYCLE_1) | instskip(NEXT) | instid1(SALU_CYCLE_1)
	s_and_saveexec_b32 s1, s0
	s_xor_b32 s0, exec_lo, s1
; %bb.570:
	v_cmp_ne_u32_e32 vcc_lo, 0, v76
	v_cndmask_b32_e32 v76, 28, v76, vcc_lo
; %bb.571:
	s_and_not1_saveexec_b32 s0, s0
	s_cbranch_execz .LBB62_577
; %bb.572:
	v_cmp_ngt_f32_e64 s1, |v70|, |v71|
	s_and_saveexec_b32 s12, s1
	s_delay_alu instid0(SALU_CYCLE_1)
	s_xor_b32 s1, exec_lo, s12
	s_cbranch_execz .LBB62_574
; %bb.573:
	v_div_scale_f32 v73, null, v71, v71, v70
	v_div_scale_f32 v81, vcc_lo, v70, v71, v70
	s_delay_alu instid0(VALU_DEP_2) | instskip(SKIP_1) | instid1(TRANS32_DEP_1)
	v_rcp_f32_e32 v79, v73
	v_nop
	v_fma_f32 v80, -v73, v79, 1.0
	s_delay_alu instid0(VALU_DEP_1) | instskip(NEXT) | instid1(VALU_DEP_1)
	v_fmac_f32_e32 v79, v80, v79
	v_mul_f32_e32 v80, v81, v79
	s_delay_alu instid0(VALU_DEP_1) | instskip(NEXT) | instid1(VALU_DEP_1)
	v_fma_f32 v82, -v73, v80, v81
	v_fmac_f32_e32 v80, v82, v79
	s_delay_alu instid0(VALU_DEP_1) | instskip(NEXT) | instid1(VALU_DEP_1)
	v_fma_f32 v73, -v73, v80, v81
	v_div_fmas_f32 v73, v73, v79, v80
	s_delay_alu instid0(VALU_DEP_1) | instskip(NEXT) | instid1(VALU_DEP_1)
	v_div_fixup_f32 v73, v73, v71, v70
	v_fmac_f32_e32 v71, v70, v73
	s_delay_alu instid0(VALU_DEP_1) | instskip(SKIP_1) | instid1(VALU_DEP_2)
	v_div_scale_f32 v70, null, v71, v71, 1.0
	v_div_scale_f32 v81, vcc_lo, 1.0, v71, 1.0
	v_rcp_f32_e32 v79, v70
	v_nop
	s_delay_alu instid0(TRANS32_DEP_1) | instskip(NEXT) | instid1(VALU_DEP_1)
	v_fma_f32 v80, -v70, v79, 1.0
	v_fmac_f32_e32 v79, v80, v79
	s_delay_alu instid0(VALU_DEP_1) | instskip(NEXT) | instid1(VALU_DEP_1)
	v_mul_f32_e32 v80, v81, v79
	v_fma_f32 v82, -v70, v80, v81
	s_delay_alu instid0(VALU_DEP_1) | instskip(NEXT) | instid1(VALU_DEP_1)
	v_fmac_f32_e32 v80, v82, v79
	v_fma_f32 v70, -v70, v80, v81
	s_delay_alu instid0(VALU_DEP_1) | instskip(NEXT) | instid1(VALU_DEP_1)
	v_div_fmas_f32 v70, v70, v79, v80
	v_div_fixup_f32 v71, v70, v71, 1.0
	s_delay_alu instid0(VALU_DEP_1)
	v_mul_f32_e32 v70, v73, v71
	v_xor_b32_e32 v71, 0x80000000, v71
.LBB62_574:
	s_and_not1_saveexec_b32 s1, s1
	s_cbranch_execz .LBB62_576
; %bb.575:
	s_delay_alu instid0(VALU_DEP_1) | instskip(SKIP_1) | instid1(VALU_DEP_2)
	v_div_scale_f32 v73, null, v70, v70, v71
	v_div_scale_f32 v81, vcc_lo, v71, v70, v71
	v_rcp_f32_e32 v79, v73
	v_nop
	s_delay_alu instid0(TRANS32_DEP_1) | instskip(NEXT) | instid1(VALU_DEP_1)
	v_fma_f32 v80, -v73, v79, 1.0
	v_fmac_f32_e32 v79, v80, v79
	s_delay_alu instid0(VALU_DEP_1) | instskip(NEXT) | instid1(VALU_DEP_1)
	v_mul_f32_e32 v80, v81, v79
	v_fma_f32 v82, -v73, v80, v81
	s_delay_alu instid0(VALU_DEP_1) | instskip(NEXT) | instid1(VALU_DEP_1)
	v_fmac_f32_e32 v80, v82, v79
	v_fma_f32 v73, -v73, v80, v81
	s_delay_alu instid0(VALU_DEP_1) | instskip(NEXT) | instid1(VALU_DEP_1)
	v_div_fmas_f32 v73, v73, v79, v80
	v_div_fixup_f32 v73, v73, v70, v71
	s_delay_alu instid0(VALU_DEP_1) | instskip(NEXT) | instid1(VALU_DEP_1)
	v_fmac_f32_e32 v70, v71, v73
	v_div_scale_f32 v71, null, v70, v70, 1.0
	s_delay_alu instid0(VALU_DEP_1) | instskip(SKIP_1) | instid1(TRANS32_DEP_1)
	v_rcp_f32_e32 v79, v71
	v_nop
	v_fma_f32 v80, -v71, v79, 1.0
	s_delay_alu instid0(VALU_DEP_1) | instskip(SKIP_1) | instid1(VALU_DEP_1)
	v_fmac_f32_e32 v79, v80, v79
	v_div_scale_f32 v80, vcc_lo, 1.0, v70, 1.0
	v_mul_f32_e32 v81, v80, v79
	s_delay_alu instid0(VALU_DEP_1) | instskip(NEXT) | instid1(VALU_DEP_1)
	v_fma_f32 v82, -v71, v81, v80
	v_fmac_f32_e32 v81, v82, v79
	s_delay_alu instid0(VALU_DEP_1) | instskip(NEXT) | instid1(VALU_DEP_1)
	v_fma_f32 v71, -v71, v81, v80
	v_div_fmas_f32 v71, v71, v79, v81
	s_delay_alu instid0(VALU_DEP_1) | instskip(NEXT) | instid1(VALU_DEP_1)
	v_div_fixup_f32 v70, v71, v70, 1.0
	v_mul_f32_e64 v71, v73, -v70
.LBB62_576:
	s_or_b32 exec_lo, exec_lo, s1
.LBB62_577:
	s_delay_alu instid0(SALU_CYCLE_1) | instskip(NEXT) | instid1(SALU_CYCLE_1)
	s_or_b32 exec_lo, exec_lo, s0
	s_mov_b32 s0, exec_lo
	v_cmpx_ne_u32_e64 v78, v72
	s_xor_b32 s0, exec_lo, s0
	s_cbranch_execz .LBB62_583
; %bb.578:
	s_mov_b32 s1, exec_lo
	v_cmpx_eq_u32_e32 27, v78
	s_cbranch_execz .LBB62_582
; %bb.579:
	v_cmp_ne_u32_e32 vcc_lo, 27, v72
	s_xor_b32 s12, s16, -1
	s_delay_alu instid0(SALU_CYCLE_1) | instskip(NEXT) | instid1(SALU_CYCLE_1)
	s_and_b32 s13, s12, vcc_lo
	s_and_saveexec_b32 s12, s13
	s_cbranch_execz .LBB62_581
; %bb.580:
	v_ashrrev_i32_e32 v73, 31, v72
	s_delay_alu instid0(VALU_DEP_1)
	v_lshl_add_u64 v[78:79], v[72:73], 2, v[4:5]
	s_clause 0x1
	global_load_b32 v73, v[78:79], off
	global_load_b32 v77, v[4:5], off offset:108
	s_wait_loadcnt 0x1
	global_store_b32 v[4:5], v73, off offset:108
	s_wait_loadcnt 0x0
	global_store_b32 v[78:79], v77, off
.LBB62_581:
	s_wait_xcnt 0x0
	s_or_b32 exec_lo, exec_lo, s12
	v_dual_mov_b32 v78, v72 :: v_dual_mov_b32 v77, v72
.LBB62_582:
	s_or_b32 exec_lo, exec_lo, s1
.LBB62_583:
	s_and_not1_saveexec_b32 s0, s0
	s_cbranch_execz .LBB62_585
; %bb.584:
	v_dual_mov_b32 v72, v22 :: v_dual_mov_b32 v73, v23
	v_dual_mov_b32 v80, v20 :: v_dual_mov_b32 v81, v21
	;; [unrolled: 1-line block ×3, first 2 shown]
	v_mov_b32_e32 v83, v19
	ds_store_2addr_b64 v74, v[72:73], v[80:81] offset0:28 offset1:29
	ds_store_2addr_b64 v74, v[82:83], v[68:69] offset0:30 offset1:31
.LBB62_585:
	s_or_b32 exec_lo, exec_lo, s0
	s_delay_alu instid0(SALU_CYCLE_1)
	s_mov_b32 s0, exec_lo
	s_wait_storecnt_dscnt 0x0
	s_barrier_signal -1
	s_barrier_wait -1
	v_cmpx_lt_i32_e32 27, v78
	s_cbranch_execz .LBB62_587
; %bb.586:
	v_pk_mul_f32 v[72:73], v[70:71], v[12:13] op_sel:[1,1] op_sel_hi:[0,1]
	s_delay_alu instid0(VALU_DEP_1)
	v_pk_fma_f32 v[80:81], v[70:71], v[12:13], v[72:73] op_sel_hi:[1,0,1] neg_lo:[0,0,1] neg_hi:[0,0,1]
	v_pk_fma_f32 v[82:83], v[70:71], v[12:13], v[72:73] op_sel_hi:[1,0,1]
	ds_load_2addr_b64 v[70:73], v74 offset0:28 offset1:29
	v_dual_mov_b32 v12, v80 :: v_dual_mov_b32 v13, v83
	s_wait_dscnt 0x0
	v_pk_mul_f32 v[84:85], v[70:71], v[82:83] op_sel:[0,1]
	s_delay_alu instid0(VALU_DEP_1) | instskip(SKIP_1) | instid1(VALU_DEP_1)
	v_pk_fma_f32 v[86:87], v[70:71], v[80:81], v[84:85] op_sel:[0,0,1] op_sel_hi:[1,1,0] neg_lo:[0,0,1] neg_hi:[0,0,1]
	v_pk_fma_f32 v[70:71], v[70:71], v[80:81], v[84:85] op_sel:[0,0,1] op_sel_hi:[1,0,0]
	v_mov_b32_e32 v87, v71
	v_pk_mul_f32 v[70:71], v[72:73], v[82:83] op_sel:[0,1]
	s_delay_alu instid0(VALU_DEP_1) | instskip(SKIP_1) | instid1(VALU_DEP_1)
	v_pk_fma_f32 v[84:85], v[72:73], v[80:81], v[70:71] op_sel:[0,0,1] op_sel_hi:[1,1,0] neg_lo:[0,0,1] neg_hi:[0,0,1]
	v_pk_fma_f32 v[70:71], v[72:73], v[80:81], v[70:71] op_sel:[0,0,1] op_sel_hi:[1,0,0]
	v_mov_b32_e32 v85, v71
	ds_load_2addr_b64 v[70:73], v74 offset0:30 offset1:31
	v_pk_add_f32 v[22:23], v[22:23], v[86:87] neg_lo:[0,1] neg_hi:[0,1]
	v_pk_add_f32 v[20:21], v[20:21], v[84:85] neg_lo:[0,1] neg_hi:[0,1]
	s_wait_dscnt 0x0
	v_pk_mul_f32 v[84:85], v[70:71], v[82:83] op_sel:[0,1]
	s_delay_alu instid0(VALU_DEP_1) | instskip(SKIP_1) | instid1(VALU_DEP_1)
	v_pk_fma_f32 v[86:87], v[70:71], v[80:81], v[84:85] op_sel:[0,0,1] op_sel_hi:[1,1,0] neg_lo:[0,0,1] neg_hi:[0,0,1]
	v_pk_fma_f32 v[70:71], v[70:71], v[80:81], v[84:85] op_sel:[0,0,1] op_sel_hi:[1,0,0]
	v_dual_mov_b32 v70, v73 :: v_dual_mov_b32 v87, v71
	v_mov_b32_e32 v71, v72
	s_delay_alu instid0(VALU_DEP_2) | instskip(NEXT) | instid1(VALU_DEP_2)
	v_pk_add_f32 v[18:19], v[18:19], v[86:87] neg_lo:[0,1] neg_hi:[0,1]
	v_pk_mul_f32 v[70:71], v[70:71], v[82:83] op_sel:[0,1]
	s_delay_alu instid0(VALU_DEP_1) | instskip(SKIP_1) | instid1(VALU_DEP_1)
	v_pk_fma_f32 v[82:83], v[72:73], v[80:81], v[70:71] neg_lo:[0,0,1] neg_hi:[0,0,1]
	v_pk_fma_f32 v[70:71], v[72:73], v[80:81], v[70:71] op_sel_hi:[1,0,1]
	v_mov_b32_e32 v83, v71
	s_delay_alu instid0(VALU_DEP_1)
	v_pk_add_f32 v[68:69], v[68:69], v[82:83] neg_lo:[0,1] neg_hi:[0,1]
.LBB62_587:
	s_or_b32 exec_lo, exec_lo, s0
	v_lshl_add_u32 v70, v78, 3, v74
	s_barrier_signal -1
	s_barrier_wait -1
	ds_store_b64 v70, v[22:23]
	s_wait_dscnt 0x0
	s_barrier_signal -1
	s_barrier_wait -1
	ds_load_b64 v[70:71], v74 offset:224
	v_mov_b32_e32 v72, 28
	s_cmp_lt_i32 s18, 30
	s_cbranch_scc1 .LBB62_590
; %bb.588:
	v_add3_u32 v73, v75, 0, 0xe8
	v_mov_b32_e32 v72, 28
	s_mov_b32 s0, 29
.LBB62_589:                             ; =>This Inner Loop Header: Depth=1
	ds_load_b64 v[80:81], v73
	s_wait_dscnt 0x1
	v_cmp_gt_f32_e32 vcc_lo, 0, v70
	v_cndmask_b32_e64 v82, v70, -v70, vcc_lo
	v_cmp_gt_f32_e32 vcc_lo, 0, v71
	v_cndmask_b32_e64 v84, v71, -v71, vcc_lo
	s_wait_dscnt 0x0
	v_cmp_gt_f32_e32 vcc_lo, 0, v80
	v_cndmask_b32_e64 v83, v80, -v80, vcc_lo
	v_cmp_gt_f32_e32 vcc_lo, 0, v81
	v_cndmask_b32_e64 v85, v81, -v81, vcc_lo
	s_delay_alu instid0(VALU_DEP_1) | instskip(NEXT) | instid1(VALU_DEP_1)
	v_pk_add_f32 v[82:83], v[82:83], v[84:85]
	v_cmp_lt_f32_e32 vcc_lo, v82, v83
	v_dual_cndmask_b32 v70, v70, v80 :: v_dual_add_nc_u32 v73, 8, v73
	v_cndmask_b32_e32 v71, v71, v81, vcc_lo
	v_cndmask_b32_e64 v72, v72, s0, vcc_lo
	s_add_co_i32 s0, s0, 1
	s_delay_alu instid0(SALU_CYCLE_1)
	s_cmp_lg_u32 s18, s0
	s_cbranch_scc1 .LBB62_589
.LBB62_590:
	s_wait_dscnt 0x0
	v_cmp_eq_f32_e32 vcc_lo, 0, v70
	v_cmp_eq_f32_e64 s0, 0, v71
	s_and_b32 s0, vcc_lo, s0
	s_delay_alu instid0(SALU_CYCLE_1) | instskip(NEXT) | instid1(SALU_CYCLE_1)
	s_and_saveexec_b32 s1, s0
	s_xor_b32 s0, exec_lo, s1
; %bb.591:
	v_cmp_ne_u32_e32 vcc_lo, 0, v76
	v_cndmask_b32_e32 v76, 29, v76, vcc_lo
; %bb.592:
	s_and_not1_saveexec_b32 s0, s0
	s_cbranch_execz .LBB62_598
; %bb.593:
	v_cmp_ngt_f32_e64 s1, |v70|, |v71|
	s_and_saveexec_b32 s12, s1
	s_delay_alu instid0(SALU_CYCLE_1)
	s_xor_b32 s1, exec_lo, s12
	s_cbranch_execz .LBB62_595
; %bb.594:
	v_div_scale_f32 v73, null, v71, v71, v70
	v_div_scale_f32 v81, vcc_lo, v70, v71, v70
	s_delay_alu instid0(VALU_DEP_2) | instskip(SKIP_1) | instid1(TRANS32_DEP_1)
	v_rcp_f32_e32 v79, v73
	v_nop
	v_fma_f32 v80, -v73, v79, 1.0
	s_delay_alu instid0(VALU_DEP_1) | instskip(NEXT) | instid1(VALU_DEP_1)
	v_fmac_f32_e32 v79, v80, v79
	v_mul_f32_e32 v80, v81, v79
	s_delay_alu instid0(VALU_DEP_1) | instskip(NEXT) | instid1(VALU_DEP_1)
	v_fma_f32 v82, -v73, v80, v81
	v_fmac_f32_e32 v80, v82, v79
	s_delay_alu instid0(VALU_DEP_1) | instskip(NEXT) | instid1(VALU_DEP_1)
	v_fma_f32 v73, -v73, v80, v81
	v_div_fmas_f32 v73, v73, v79, v80
	s_delay_alu instid0(VALU_DEP_1) | instskip(NEXT) | instid1(VALU_DEP_1)
	v_div_fixup_f32 v73, v73, v71, v70
	v_fmac_f32_e32 v71, v70, v73
	s_delay_alu instid0(VALU_DEP_1) | instskip(SKIP_1) | instid1(VALU_DEP_2)
	v_div_scale_f32 v70, null, v71, v71, 1.0
	v_div_scale_f32 v81, vcc_lo, 1.0, v71, 1.0
	v_rcp_f32_e32 v79, v70
	v_nop
	s_delay_alu instid0(TRANS32_DEP_1) | instskip(NEXT) | instid1(VALU_DEP_1)
	v_fma_f32 v80, -v70, v79, 1.0
	v_fmac_f32_e32 v79, v80, v79
	s_delay_alu instid0(VALU_DEP_1) | instskip(NEXT) | instid1(VALU_DEP_1)
	v_mul_f32_e32 v80, v81, v79
	v_fma_f32 v82, -v70, v80, v81
	s_delay_alu instid0(VALU_DEP_1) | instskip(NEXT) | instid1(VALU_DEP_1)
	v_fmac_f32_e32 v80, v82, v79
	v_fma_f32 v70, -v70, v80, v81
	s_delay_alu instid0(VALU_DEP_1) | instskip(NEXT) | instid1(VALU_DEP_1)
	v_div_fmas_f32 v70, v70, v79, v80
	v_div_fixup_f32 v71, v70, v71, 1.0
	s_delay_alu instid0(VALU_DEP_1)
	v_mul_f32_e32 v70, v73, v71
	v_xor_b32_e32 v71, 0x80000000, v71
.LBB62_595:
	s_and_not1_saveexec_b32 s1, s1
	s_cbranch_execz .LBB62_597
; %bb.596:
	s_delay_alu instid0(VALU_DEP_1) | instskip(SKIP_1) | instid1(VALU_DEP_2)
	v_div_scale_f32 v73, null, v70, v70, v71
	v_div_scale_f32 v81, vcc_lo, v71, v70, v71
	v_rcp_f32_e32 v79, v73
	v_nop
	s_delay_alu instid0(TRANS32_DEP_1) | instskip(NEXT) | instid1(VALU_DEP_1)
	v_fma_f32 v80, -v73, v79, 1.0
	v_fmac_f32_e32 v79, v80, v79
	s_delay_alu instid0(VALU_DEP_1) | instskip(NEXT) | instid1(VALU_DEP_1)
	v_mul_f32_e32 v80, v81, v79
	v_fma_f32 v82, -v73, v80, v81
	s_delay_alu instid0(VALU_DEP_1) | instskip(NEXT) | instid1(VALU_DEP_1)
	v_fmac_f32_e32 v80, v82, v79
	v_fma_f32 v73, -v73, v80, v81
	s_delay_alu instid0(VALU_DEP_1) | instskip(NEXT) | instid1(VALU_DEP_1)
	v_div_fmas_f32 v73, v73, v79, v80
	v_div_fixup_f32 v73, v73, v70, v71
	s_delay_alu instid0(VALU_DEP_1) | instskip(NEXT) | instid1(VALU_DEP_1)
	v_fmac_f32_e32 v70, v71, v73
	v_div_scale_f32 v71, null, v70, v70, 1.0
	s_delay_alu instid0(VALU_DEP_1) | instskip(SKIP_1) | instid1(TRANS32_DEP_1)
	v_rcp_f32_e32 v79, v71
	v_nop
	v_fma_f32 v80, -v71, v79, 1.0
	s_delay_alu instid0(VALU_DEP_1) | instskip(SKIP_1) | instid1(VALU_DEP_1)
	v_fmac_f32_e32 v79, v80, v79
	v_div_scale_f32 v80, vcc_lo, 1.0, v70, 1.0
	v_mul_f32_e32 v81, v80, v79
	s_delay_alu instid0(VALU_DEP_1) | instskip(NEXT) | instid1(VALU_DEP_1)
	v_fma_f32 v82, -v71, v81, v80
	v_fmac_f32_e32 v81, v82, v79
	s_delay_alu instid0(VALU_DEP_1) | instskip(NEXT) | instid1(VALU_DEP_1)
	v_fma_f32 v71, -v71, v81, v80
	v_div_fmas_f32 v71, v71, v79, v81
	s_delay_alu instid0(VALU_DEP_1) | instskip(NEXT) | instid1(VALU_DEP_1)
	v_div_fixup_f32 v70, v71, v70, 1.0
	v_mul_f32_e64 v71, v73, -v70
.LBB62_597:
	s_or_b32 exec_lo, exec_lo, s1
.LBB62_598:
	s_delay_alu instid0(SALU_CYCLE_1) | instskip(NEXT) | instid1(SALU_CYCLE_1)
	s_or_b32 exec_lo, exec_lo, s0
	s_mov_b32 s0, exec_lo
	v_cmpx_ne_u32_e64 v78, v72
	s_xor_b32 s0, exec_lo, s0
	s_cbranch_execz .LBB62_604
; %bb.599:
	s_mov_b32 s1, exec_lo
	v_cmpx_eq_u32_e32 28, v78
	s_cbranch_execz .LBB62_603
; %bb.600:
	v_cmp_ne_u32_e32 vcc_lo, 28, v72
	s_xor_b32 s12, s16, -1
	s_delay_alu instid0(SALU_CYCLE_1) | instskip(NEXT) | instid1(SALU_CYCLE_1)
	s_and_b32 s13, s12, vcc_lo
	s_and_saveexec_b32 s12, s13
	s_cbranch_execz .LBB62_602
; %bb.601:
	v_ashrrev_i32_e32 v73, 31, v72
	s_delay_alu instid0(VALU_DEP_1)
	v_lshl_add_u64 v[78:79], v[72:73], 2, v[4:5]
	s_clause 0x1
	global_load_b32 v73, v[78:79], off
	global_load_b32 v77, v[4:5], off offset:112
	s_wait_loadcnt 0x1
	global_store_b32 v[4:5], v73, off offset:112
	s_wait_loadcnt 0x0
	global_store_b32 v[78:79], v77, off
.LBB62_602:
	s_wait_xcnt 0x0
	s_or_b32 exec_lo, exec_lo, s12
	v_dual_mov_b32 v78, v72 :: v_dual_mov_b32 v77, v72
.LBB62_603:
	s_or_b32 exec_lo, exec_lo, s1
.LBB62_604:
	s_and_not1_saveexec_b32 s0, s0
	s_cbranch_execz .LBB62_606
; %bb.605:
	v_mov_b32_e32 v78, 28
	ds_store_2addr_b64 v74, v[20:21], v[18:19] offset0:29 offset1:30
	ds_store_b64 v74, v[68:69] offset:248
.LBB62_606:
	s_or_b32 exec_lo, exec_lo, s0
	s_delay_alu instid0(SALU_CYCLE_1)
	s_mov_b32 s0, exec_lo
	s_wait_storecnt_dscnt 0x0
	s_barrier_signal -1
	s_barrier_wait -1
	v_cmpx_lt_i32_e32 28, v78
	s_cbranch_execz .LBB62_608
; %bb.607:
	ds_load_2addr_b64 v[80:83], v74 offset0:29 offset1:30
	ds_load_b64 v[72:73], v74 offset:248
	v_pk_mul_f32 v[84:85], v[70:71], v[22:23] op_sel:[1,1] op_sel_hi:[0,1]
	s_delay_alu instid0(VALU_DEP_1) | instskip(SKIP_2) | instid1(VALU_DEP_2)
	v_pk_fma_f32 v[86:87], v[70:71], v[22:23], v[84:85] op_sel_hi:[1,0,1]
	v_pk_fma_f32 v[22:23], v[70:71], v[22:23], v[84:85] op_sel_hi:[1,0,1] neg_lo:[0,0,1] neg_hi:[0,0,1]
	s_wait_dscnt 0x1
	v_pk_mul_f32 v[70:71], v[80:81], v[86:87] op_sel:[0,1]
	v_pk_mul_f32 v[84:85], v[82:83], v[86:87] op_sel:[0,1]
	s_wait_dscnt 0x0
	v_pk_mul_f32 v[88:89], v[72:73], v[86:87] op_sel:[1,1] op_sel_hi:[0,1]
	s_delay_alu instid0(VALU_DEP_3) | instskip(SKIP_2) | instid1(VALU_DEP_4)
	v_pk_fma_f32 v[90:91], v[80:81], v[22:23], v[70:71] op_sel:[0,0,1] op_sel_hi:[1,1,0] neg_lo:[0,0,1] neg_hi:[0,0,1]
	v_pk_fma_f32 v[70:71], v[80:81], v[22:23], v[70:71] op_sel:[0,0,1] op_sel_hi:[1,0,0]
	v_pk_fma_f32 v[80:81], v[82:83], v[22:23], v[84:85] op_sel:[0,0,1] op_sel_hi:[1,0,0]
	v_pk_fma_f32 v[92:93], v[72:73], v[22:23], v[88:89] op_sel_hi:[1,0,1]
	v_pk_fma_f32 v[82:83], v[82:83], v[22:23], v[84:85] op_sel:[0,0,1] op_sel_hi:[1,1,0] neg_lo:[0,0,1] neg_hi:[0,0,1]
	v_pk_fma_f32 v[72:73], v[72:73], v[22:23], v[88:89] neg_lo:[0,0,1] neg_hi:[0,0,1]
	s_delay_alu instid0(VALU_DEP_4) | instskip(NEXT) | instid1(VALU_DEP_4)
	v_dual_mov_b32 v91, v71 :: v_dual_mov_b32 v83, v81
	v_dual_mov_b32 v73, v93 :: v_dual_mov_b32 v23, v87
	s_delay_alu instid0(VALU_DEP_2) | instskip(NEXT) | instid1(VALU_DEP_3)
	v_pk_add_f32 v[20:21], v[20:21], v[90:91] neg_lo:[0,1] neg_hi:[0,1]
	v_pk_add_f32 v[18:19], v[18:19], v[82:83] neg_lo:[0,1] neg_hi:[0,1]
	s_delay_alu instid0(VALU_DEP_3)
	v_pk_add_f32 v[68:69], v[68:69], v[72:73] neg_lo:[0,1] neg_hi:[0,1]
.LBB62_608:
	s_or_b32 exec_lo, exec_lo, s0
	v_lshl_add_u32 v70, v78, 3, v74
	s_barrier_signal -1
	s_barrier_wait -1
	ds_store_b64 v70, v[20:21]
	s_wait_dscnt 0x0
	s_barrier_signal -1
	s_barrier_wait -1
	ds_load_b64 v[70:71], v74 offset:232
	v_mov_b32_e32 v72, 29
	s_cmp_lt_i32 s18, 31
	s_cbranch_scc1 .LBB62_611
; %bb.609:
	v_add3_u32 v73, v75, 0, 0xf0
	v_mov_b32_e32 v72, 29
	s_mov_b32 s0, 30
.LBB62_610:                             ; =>This Inner Loop Header: Depth=1
	ds_load_b64 v[80:81], v73
	s_wait_dscnt 0x1
	v_cmp_gt_f32_e32 vcc_lo, 0, v70
	v_cndmask_b32_e64 v82, v70, -v70, vcc_lo
	v_cmp_gt_f32_e32 vcc_lo, 0, v71
	v_cndmask_b32_e64 v84, v71, -v71, vcc_lo
	s_wait_dscnt 0x0
	v_cmp_gt_f32_e32 vcc_lo, 0, v80
	v_cndmask_b32_e64 v83, v80, -v80, vcc_lo
	v_cmp_gt_f32_e32 vcc_lo, 0, v81
	v_cndmask_b32_e64 v85, v81, -v81, vcc_lo
	s_delay_alu instid0(VALU_DEP_1) | instskip(NEXT) | instid1(VALU_DEP_1)
	v_pk_add_f32 v[82:83], v[82:83], v[84:85]
	v_cmp_lt_f32_e32 vcc_lo, v82, v83
	v_dual_cndmask_b32 v70, v70, v80 :: v_dual_add_nc_u32 v73, 8, v73
	v_cndmask_b32_e32 v71, v71, v81, vcc_lo
	v_cndmask_b32_e64 v72, v72, s0, vcc_lo
	s_add_co_i32 s0, s0, 1
	s_delay_alu instid0(SALU_CYCLE_1)
	s_cmp_lg_u32 s18, s0
	s_cbranch_scc1 .LBB62_610
.LBB62_611:
	s_wait_dscnt 0x0
	v_cmp_eq_f32_e32 vcc_lo, 0, v70
	v_cmp_eq_f32_e64 s0, 0, v71
	s_and_b32 s0, vcc_lo, s0
	s_delay_alu instid0(SALU_CYCLE_1) | instskip(NEXT) | instid1(SALU_CYCLE_1)
	s_and_saveexec_b32 s1, s0
	s_xor_b32 s0, exec_lo, s1
; %bb.612:
	v_cmp_ne_u32_e32 vcc_lo, 0, v76
	v_cndmask_b32_e32 v76, 30, v76, vcc_lo
; %bb.613:
	s_and_not1_saveexec_b32 s0, s0
	s_cbranch_execz .LBB62_619
; %bb.614:
	v_cmp_ngt_f32_e64 s1, |v70|, |v71|
	s_and_saveexec_b32 s12, s1
	s_delay_alu instid0(SALU_CYCLE_1)
	s_xor_b32 s1, exec_lo, s12
	s_cbranch_execz .LBB62_616
; %bb.615:
	v_div_scale_f32 v73, null, v71, v71, v70
	v_div_scale_f32 v81, vcc_lo, v70, v71, v70
	s_delay_alu instid0(VALU_DEP_2) | instskip(SKIP_1) | instid1(TRANS32_DEP_1)
	v_rcp_f32_e32 v79, v73
	v_nop
	v_fma_f32 v80, -v73, v79, 1.0
	s_delay_alu instid0(VALU_DEP_1) | instskip(NEXT) | instid1(VALU_DEP_1)
	v_fmac_f32_e32 v79, v80, v79
	v_mul_f32_e32 v80, v81, v79
	s_delay_alu instid0(VALU_DEP_1) | instskip(NEXT) | instid1(VALU_DEP_1)
	v_fma_f32 v82, -v73, v80, v81
	v_fmac_f32_e32 v80, v82, v79
	s_delay_alu instid0(VALU_DEP_1) | instskip(NEXT) | instid1(VALU_DEP_1)
	v_fma_f32 v73, -v73, v80, v81
	v_div_fmas_f32 v73, v73, v79, v80
	s_delay_alu instid0(VALU_DEP_1) | instskip(NEXT) | instid1(VALU_DEP_1)
	v_div_fixup_f32 v73, v73, v71, v70
	v_fmac_f32_e32 v71, v70, v73
	s_delay_alu instid0(VALU_DEP_1) | instskip(SKIP_1) | instid1(VALU_DEP_2)
	v_div_scale_f32 v70, null, v71, v71, 1.0
	v_div_scale_f32 v81, vcc_lo, 1.0, v71, 1.0
	v_rcp_f32_e32 v79, v70
	v_nop
	s_delay_alu instid0(TRANS32_DEP_1) | instskip(NEXT) | instid1(VALU_DEP_1)
	v_fma_f32 v80, -v70, v79, 1.0
	v_fmac_f32_e32 v79, v80, v79
	s_delay_alu instid0(VALU_DEP_1) | instskip(NEXT) | instid1(VALU_DEP_1)
	v_mul_f32_e32 v80, v81, v79
	v_fma_f32 v82, -v70, v80, v81
	s_delay_alu instid0(VALU_DEP_1) | instskip(NEXT) | instid1(VALU_DEP_1)
	v_fmac_f32_e32 v80, v82, v79
	v_fma_f32 v70, -v70, v80, v81
	s_delay_alu instid0(VALU_DEP_1) | instskip(NEXT) | instid1(VALU_DEP_1)
	v_div_fmas_f32 v70, v70, v79, v80
	v_div_fixup_f32 v71, v70, v71, 1.0
	s_delay_alu instid0(VALU_DEP_1)
	v_mul_f32_e32 v70, v73, v71
	v_xor_b32_e32 v71, 0x80000000, v71
.LBB62_616:
	s_and_not1_saveexec_b32 s1, s1
	s_cbranch_execz .LBB62_618
; %bb.617:
	s_delay_alu instid0(VALU_DEP_1) | instskip(SKIP_1) | instid1(VALU_DEP_2)
	v_div_scale_f32 v73, null, v70, v70, v71
	v_div_scale_f32 v81, vcc_lo, v71, v70, v71
	v_rcp_f32_e32 v79, v73
	v_nop
	s_delay_alu instid0(TRANS32_DEP_1) | instskip(NEXT) | instid1(VALU_DEP_1)
	v_fma_f32 v80, -v73, v79, 1.0
	v_fmac_f32_e32 v79, v80, v79
	s_delay_alu instid0(VALU_DEP_1) | instskip(NEXT) | instid1(VALU_DEP_1)
	v_mul_f32_e32 v80, v81, v79
	v_fma_f32 v82, -v73, v80, v81
	s_delay_alu instid0(VALU_DEP_1) | instskip(NEXT) | instid1(VALU_DEP_1)
	v_fmac_f32_e32 v80, v82, v79
	v_fma_f32 v73, -v73, v80, v81
	s_delay_alu instid0(VALU_DEP_1) | instskip(NEXT) | instid1(VALU_DEP_1)
	v_div_fmas_f32 v73, v73, v79, v80
	v_div_fixup_f32 v73, v73, v70, v71
	s_delay_alu instid0(VALU_DEP_1) | instskip(NEXT) | instid1(VALU_DEP_1)
	v_fmac_f32_e32 v70, v71, v73
	v_div_scale_f32 v71, null, v70, v70, 1.0
	s_delay_alu instid0(VALU_DEP_1) | instskip(SKIP_1) | instid1(TRANS32_DEP_1)
	v_rcp_f32_e32 v79, v71
	v_nop
	v_fma_f32 v80, -v71, v79, 1.0
	s_delay_alu instid0(VALU_DEP_1) | instskip(SKIP_1) | instid1(VALU_DEP_1)
	v_fmac_f32_e32 v79, v80, v79
	v_div_scale_f32 v80, vcc_lo, 1.0, v70, 1.0
	v_mul_f32_e32 v81, v80, v79
	s_delay_alu instid0(VALU_DEP_1) | instskip(NEXT) | instid1(VALU_DEP_1)
	v_fma_f32 v82, -v71, v81, v80
	v_fmac_f32_e32 v81, v82, v79
	s_delay_alu instid0(VALU_DEP_1) | instskip(NEXT) | instid1(VALU_DEP_1)
	v_fma_f32 v71, -v71, v81, v80
	v_div_fmas_f32 v71, v71, v79, v81
	s_delay_alu instid0(VALU_DEP_1) | instskip(NEXT) | instid1(VALU_DEP_1)
	v_div_fixup_f32 v70, v71, v70, 1.0
	v_mul_f32_e64 v71, v73, -v70
.LBB62_618:
	s_or_b32 exec_lo, exec_lo, s1
.LBB62_619:
	s_delay_alu instid0(SALU_CYCLE_1) | instskip(NEXT) | instid1(SALU_CYCLE_1)
	s_or_b32 exec_lo, exec_lo, s0
	s_mov_b32 s0, exec_lo
	v_cmpx_ne_u32_e64 v78, v72
	s_xor_b32 s0, exec_lo, s0
	s_cbranch_execz .LBB62_625
; %bb.620:
	s_mov_b32 s1, exec_lo
	v_cmpx_eq_u32_e32 29, v78
	s_cbranch_execz .LBB62_624
; %bb.621:
	v_cmp_ne_u32_e32 vcc_lo, 29, v72
	s_xor_b32 s12, s16, -1
	s_delay_alu instid0(SALU_CYCLE_1) | instskip(NEXT) | instid1(SALU_CYCLE_1)
	s_and_b32 s13, s12, vcc_lo
	s_and_saveexec_b32 s12, s13
	s_cbranch_execz .LBB62_623
; %bb.622:
	v_ashrrev_i32_e32 v73, 31, v72
	s_delay_alu instid0(VALU_DEP_1)
	v_lshl_add_u64 v[78:79], v[72:73], 2, v[4:5]
	s_clause 0x1
	global_load_b32 v73, v[78:79], off
	global_load_b32 v77, v[4:5], off offset:116
	s_wait_loadcnt 0x1
	global_store_b32 v[4:5], v73, off offset:116
	s_wait_loadcnt 0x0
	global_store_b32 v[78:79], v77, off
.LBB62_623:
	s_wait_xcnt 0x0
	s_or_b32 exec_lo, exec_lo, s12
	v_dual_mov_b32 v78, v72 :: v_dual_mov_b32 v77, v72
.LBB62_624:
	s_or_b32 exec_lo, exec_lo, s1
.LBB62_625:
	s_and_not1_saveexec_b32 s0, s0
; %bb.626:
	v_dual_mov_b32 v72, v18 :: v_dual_mov_b32 v73, v19
	v_mov_b32_e32 v78, 29
	ds_store_2addr_b64 v74, v[72:73], v[68:69] offset0:30 offset1:31
; %bb.627:
	s_or_b32 exec_lo, exec_lo, s0
	s_delay_alu instid0(SALU_CYCLE_1)
	s_mov_b32 s0, exec_lo
	s_wait_storecnt_dscnt 0x0
	s_barrier_signal -1
	s_barrier_wait -1
	v_cmpx_lt_i32_e32 29, v78
	s_cbranch_execz .LBB62_629
; %bb.628:
	ds_load_2addr_b64 v[80:83], v74 offset0:30 offset1:31
	v_pk_mul_f32 v[72:73], v[70:71], v[20:21] op_sel:[1,1] op_sel_hi:[0,1]
	s_delay_alu instid0(VALU_DEP_1) | instskip(SKIP_3) | instid1(VALU_DEP_3)
	v_pk_fma_f32 v[84:85], v[70:71], v[20:21], v[72:73] op_sel_hi:[1,0,1]
	v_pk_fma_f32 v[20:21], v[70:71], v[20:21], v[72:73] op_sel_hi:[1,0,1] neg_lo:[0,0,1] neg_hi:[0,0,1]
	s_wait_dscnt 0x0
	v_dual_mov_b32 v86, v83 :: v_dual_mov_b32 v87, v82
	v_pk_mul_f32 v[70:71], v[80:81], v[84:85] op_sel:[0,1]
	s_delay_alu instid0(VALU_DEP_2) | instskip(NEXT) | instid1(VALU_DEP_2)
	v_pk_mul_f32 v[72:73], v[86:87], v[84:85] op_sel:[0,1]
	v_pk_fma_f32 v[86:87], v[80:81], v[20:21], v[70:71] op_sel:[0,0,1] op_sel_hi:[1,0,0]
	v_pk_fma_f32 v[70:71], v[80:81], v[20:21], v[70:71] op_sel:[0,0,1] op_sel_hi:[1,1,0] neg_lo:[0,0,1] neg_hi:[0,0,1]
	s_delay_alu instid0(VALU_DEP_3) | instskip(SKIP_1) | instid1(VALU_DEP_4)
	v_pk_fma_f32 v[88:89], v[82:83], v[20:21], v[72:73] op_sel_hi:[1,0,1]
	v_pk_fma_f32 v[72:73], v[82:83], v[20:21], v[72:73] neg_lo:[0,0,1] neg_hi:[0,0,1]
	v_dual_mov_b32 v71, v87 :: v_dual_mov_b32 v21, v85
	s_delay_alu instid0(VALU_DEP_3) | instskip(NEXT) | instid1(VALU_DEP_2)
	v_mov_b32_e32 v73, v89
	v_pk_add_f32 v[18:19], v[18:19], v[70:71] neg_lo:[0,1] neg_hi:[0,1]
	s_delay_alu instid0(VALU_DEP_2)
	v_pk_add_f32 v[68:69], v[68:69], v[72:73] neg_lo:[0,1] neg_hi:[0,1]
.LBB62_629:
	s_or_b32 exec_lo, exec_lo, s0
	v_lshl_add_u32 v70, v78, 3, v74
	s_barrier_signal -1
	s_barrier_wait -1
	ds_store_b64 v70, v[18:19]
	s_wait_dscnt 0x0
	s_barrier_signal -1
	s_barrier_wait -1
	ds_load_b64 v[70:71], v74 offset:240
	v_mov_b32_e32 v72, 30
	s_cmp_lt_i32 s18, 32
	s_cbranch_scc1 .LBB62_632
; %bb.630:
	v_add3_u32 v73, v75, 0, 0xf8
	v_mov_b32_e32 v72, 30
	s_mov_b32 s0, 31
.LBB62_631:                             ; =>This Inner Loop Header: Depth=1
	ds_load_b64 v[80:81], v73
	s_wait_dscnt 0x1
	v_cmp_gt_f32_e32 vcc_lo, 0, v70
	v_cndmask_b32_e64 v82, v70, -v70, vcc_lo
	v_cmp_gt_f32_e32 vcc_lo, 0, v71
	v_cndmask_b32_e64 v84, v71, -v71, vcc_lo
	s_wait_dscnt 0x0
	v_cmp_gt_f32_e32 vcc_lo, 0, v80
	v_cndmask_b32_e64 v83, v80, -v80, vcc_lo
	v_cmp_gt_f32_e32 vcc_lo, 0, v81
	v_cndmask_b32_e64 v85, v81, -v81, vcc_lo
	s_delay_alu instid0(VALU_DEP_1) | instskip(NEXT) | instid1(VALU_DEP_1)
	v_pk_add_f32 v[82:83], v[82:83], v[84:85]
	v_cmp_lt_f32_e32 vcc_lo, v82, v83
	v_dual_cndmask_b32 v70, v70, v80 :: v_dual_add_nc_u32 v73, 8, v73
	v_cndmask_b32_e32 v71, v71, v81, vcc_lo
	v_cndmask_b32_e64 v72, v72, s0, vcc_lo
	s_add_co_i32 s0, s0, 1
	s_delay_alu instid0(SALU_CYCLE_1)
	s_cmp_lg_u32 s18, s0
	s_cbranch_scc1 .LBB62_631
.LBB62_632:
	s_wait_dscnt 0x0
	v_cmp_eq_f32_e32 vcc_lo, 0, v70
	v_cmp_eq_f32_e64 s0, 0, v71
	s_and_b32 s0, vcc_lo, s0
	s_delay_alu instid0(SALU_CYCLE_1) | instskip(NEXT) | instid1(SALU_CYCLE_1)
	s_and_saveexec_b32 s1, s0
	s_xor_b32 s0, exec_lo, s1
; %bb.633:
	v_cmp_ne_u32_e32 vcc_lo, 0, v76
	v_cndmask_b32_e32 v76, 31, v76, vcc_lo
; %bb.634:
	s_and_not1_saveexec_b32 s0, s0
	s_cbranch_execz .LBB62_640
; %bb.635:
	v_cmp_ngt_f32_e64 s1, |v70|, |v71|
	s_and_saveexec_b32 s12, s1
	s_delay_alu instid0(SALU_CYCLE_1)
	s_xor_b32 s1, exec_lo, s12
	s_cbranch_execz .LBB62_637
; %bb.636:
	v_div_scale_f32 v73, null, v71, v71, v70
	v_div_scale_f32 v81, vcc_lo, v70, v71, v70
	s_delay_alu instid0(VALU_DEP_2) | instskip(SKIP_1) | instid1(TRANS32_DEP_1)
	v_rcp_f32_e32 v79, v73
	v_nop
	v_fma_f32 v80, -v73, v79, 1.0
	s_delay_alu instid0(VALU_DEP_1) | instskip(NEXT) | instid1(VALU_DEP_1)
	v_fmac_f32_e32 v79, v80, v79
	v_mul_f32_e32 v80, v81, v79
	s_delay_alu instid0(VALU_DEP_1) | instskip(NEXT) | instid1(VALU_DEP_1)
	v_fma_f32 v82, -v73, v80, v81
	v_fmac_f32_e32 v80, v82, v79
	s_delay_alu instid0(VALU_DEP_1) | instskip(NEXT) | instid1(VALU_DEP_1)
	v_fma_f32 v73, -v73, v80, v81
	v_div_fmas_f32 v73, v73, v79, v80
	s_delay_alu instid0(VALU_DEP_1) | instskip(NEXT) | instid1(VALU_DEP_1)
	v_div_fixup_f32 v73, v73, v71, v70
	v_fmac_f32_e32 v71, v70, v73
	s_delay_alu instid0(VALU_DEP_1) | instskip(SKIP_1) | instid1(VALU_DEP_2)
	v_div_scale_f32 v70, null, v71, v71, 1.0
	v_div_scale_f32 v81, vcc_lo, 1.0, v71, 1.0
	v_rcp_f32_e32 v79, v70
	v_nop
	s_delay_alu instid0(TRANS32_DEP_1) | instskip(NEXT) | instid1(VALU_DEP_1)
	v_fma_f32 v80, -v70, v79, 1.0
	v_fmac_f32_e32 v79, v80, v79
	s_delay_alu instid0(VALU_DEP_1) | instskip(NEXT) | instid1(VALU_DEP_1)
	v_mul_f32_e32 v80, v81, v79
	v_fma_f32 v82, -v70, v80, v81
	s_delay_alu instid0(VALU_DEP_1) | instskip(NEXT) | instid1(VALU_DEP_1)
	v_fmac_f32_e32 v80, v82, v79
	v_fma_f32 v70, -v70, v80, v81
	s_delay_alu instid0(VALU_DEP_1) | instskip(NEXT) | instid1(VALU_DEP_1)
	v_div_fmas_f32 v70, v70, v79, v80
	v_div_fixup_f32 v71, v70, v71, 1.0
	s_delay_alu instid0(VALU_DEP_1)
	v_mul_f32_e32 v70, v73, v71
	v_xor_b32_e32 v71, 0x80000000, v71
.LBB62_637:
	s_and_not1_saveexec_b32 s1, s1
	s_cbranch_execz .LBB62_639
; %bb.638:
	s_delay_alu instid0(VALU_DEP_1) | instskip(SKIP_1) | instid1(VALU_DEP_2)
	v_div_scale_f32 v73, null, v70, v70, v71
	v_div_scale_f32 v81, vcc_lo, v71, v70, v71
	v_rcp_f32_e32 v79, v73
	v_nop
	s_delay_alu instid0(TRANS32_DEP_1) | instskip(NEXT) | instid1(VALU_DEP_1)
	v_fma_f32 v80, -v73, v79, 1.0
	v_fmac_f32_e32 v79, v80, v79
	s_delay_alu instid0(VALU_DEP_1) | instskip(NEXT) | instid1(VALU_DEP_1)
	v_mul_f32_e32 v80, v81, v79
	v_fma_f32 v82, -v73, v80, v81
	s_delay_alu instid0(VALU_DEP_1) | instskip(NEXT) | instid1(VALU_DEP_1)
	v_fmac_f32_e32 v80, v82, v79
	v_fma_f32 v73, -v73, v80, v81
	s_delay_alu instid0(VALU_DEP_1) | instskip(NEXT) | instid1(VALU_DEP_1)
	v_div_fmas_f32 v73, v73, v79, v80
	v_div_fixup_f32 v73, v73, v70, v71
	s_delay_alu instid0(VALU_DEP_1) | instskip(NEXT) | instid1(VALU_DEP_1)
	v_fmac_f32_e32 v70, v71, v73
	v_div_scale_f32 v71, null, v70, v70, 1.0
	s_delay_alu instid0(VALU_DEP_1) | instskip(SKIP_1) | instid1(TRANS32_DEP_1)
	v_rcp_f32_e32 v79, v71
	v_nop
	v_fma_f32 v80, -v71, v79, 1.0
	s_delay_alu instid0(VALU_DEP_1) | instskip(SKIP_1) | instid1(VALU_DEP_1)
	v_fmac_f32_e32 v79, v80, v79
	v_div_scale_f32 v80, vcc_lo, 1.0, v70, 1.0
	v_mul_f32_e32 v81, v80, v79
	s_delay_alu instid0(VALU_DEP_1) | instskip(NEXT) | instid1(VALU_DEP_1)
	v_fma_f32 v82, -v71, v81, v80
	v_fmac_f32_e32 v81, v82, v79
	s_delay_alu instid0(VALU_DEP_1) | instskip(NEXT) | instid1(VALU_DEP_1)
	v_fma_f32 v71, -v71, v81, v80
	v_div_fmas_f32 v71, v71, v79, v81
	s_delay_alu instid0(VALU_DEP_1) | instskip(NEXT) | instid1(VALU_DEP_1)
	v_div_fixup_f32 v70, v71, v70, 1.0
	v_mul_f32_e64 v71, v73, -v70
.LBB62_639:
	s_or_b32 exec_lo, exec_lo, s1
.LBB62_640:
	s_delay_alu instid0(SALU_CYCLE_1) | instskip(NEXT) | instid1(SALU_CYCLE_1)
	s_or_b32 exec_lo, exec_lo, s0
	s_mov_b32 s0, exec_lo
	v_cmpx_ne_u32_e64 v78, v72
	s_xor_b32 s0, exec_lo, s0
	s_cbranch_execz .LBB62_646
; %bb.641:
	s_mov_b32 s1, exec_lo
	v_cmpx_eq_u32_e32 30, v78
	s_cbranch_execz .LBB62_645
; %bb.642:
	v_cmp_ne_u32_e32 vcc_lo, 30, v72
	s_xor_b32 s12, s16, -1
	s_delay_alu instid0(SALU_CYCLE_1) | instskip(NEXT) | instid1(SALU_CYCLE_1)
	s_and_b32 s13, s12, vcc_lo
	s_and_saveexec_b32 s12, s13
	s_cbranch_execz .LBB62_644
; %bb.643:
	v_ashrrev_i32_e32 v73, 31, v72
	s_delay_alu instid0(VALU_DEP_1)
	v_lshl_add_u64 v[78:79], v[72:73], 2, v[4:5]
	s_clause 0x1
	global_load_b32 v73, v[78:79], off
	global_load_b32 v77, v[4:5], off offset:120
	s_wait_loadcnt 0x1
	global_store_b32 v[4:5], v73, off offset:120
	s_wait_loadcnt 0x0
	global_store_b32 v[78:79], v77, off
.LBB62_644:
	s_wait_xcnt 0x0
	s_or_b32 exec_lo, exec_lo, s12
	v_dual_mov_b32 v78, v72 :: v_dual_mov_b32 v77, v72
.LBB62_645:
	s_or_b32 exec_lo, exec_lo, s1
.LBB62_646:
	s_and_not1_saveexec_b32 s0, s0
; %bb.647:
	v_mov_b32_e32 v78, 30
	ds_store_b64 v74, v[68:69] offset:248
; %bb.648:
	s_or_b32 exec_lo, exec_lo, s0
	s_delay_alu instid0(SALU_CYCLE_1)
	s_mov_b32 s0, exec_lo
	s_wait_storecnt_dscnt 0x0
	s_barrier_signal -1
	s_barrier_wait -1
	v_cmpx_lt_i32_e32 30, v78
	s_cbranch_execz .LBB62_650
; %bb.649:
	ds_load_b64 v[72:73], v74 offset:248
	v_pk_mul_f32 v[80:81], v[70:71], v[18:19] op_sel:[1,1] op_sel_hi:[0,1]
	s_delay_alu instid0(VALU_DEP_1) | instskip(SKIP_2) | instid1(VALU_DEP_2)
	v_pk_fma_f32 v[82:83], v[70:71], v[18:19], v[80:81] op_sel_hi:[1,0,1]
	v_pk_fma_f32 v[18:19], v[70:71], v[18:19], v[80:81] op_sel_hi:[1,0,1] neg_lo:[0,0,1] neg_hi:[0,0,1]
	s_wait_dscnt 0x0
	v_pk_mul_f32 v[70:71], v[72:73], v[82:83] op_sel:[1,1] op_sel_hi:[0,1]
	s_delay_alu instid0(VALU_DEP_1) | instskip(SKIP_1) | instid1(VALU_DEP_2)
	v_pk_fma_f32 v[80:81], v[72:73], v[18:19], v[70:71] op_sel_hi:[1,0,1]
	v_pk_fma_f32 v[70:71], v[72:73], v[18:19], v[70:71] neg_lo:[0,0,1] neg_hi:[0,0,1]
	v_dual_mov_b32 v19, v83 :: v_dual_mov_b32 v71, v81
	s_delay_alu instid0(VALU_DEP_1)
	v_pk_add_f32 v[68:69], v[68:69], v[70:71] neg_lo:[0,1] neg_hi:[0,1]
.LBB62_650:
	s_or_b32 exec_lo, exec_lo, s0
	v_lshl_add_u32 v70, v78, 3, v74
	s_barrier_signal -1
	s_barrier_wait -1
	ds_store_b64 v70, v[68:69]
	s_wait_dscnt 0x0
	s_barrier_signal -1
	s_barrier_wait -1
	ds_load_b64 v[70:71], v74 offset:248
	v_mov_b32_e32 v72, 31
	s_cmp_lt_i32 s18, 33
	s_cbranch_scc1 .LBB62_653
; %bb.651:
	v_add3_u32 v73, v75, 0, 0x100
	v_mov_b32_e32 v72, 31
	s_mov_b32 s0, 32
.LBB62_652:                             ; =>This Inner Loop Header: Depth=1
	ds_load_b64 v[74:75], v73
	s_wait_dscnt 0x1
	v_cmp_gt_f32_e32 vcc_lo, 0, v70
	v_cndmask_b32_e64 v80, v70, -v70, vcc_lo
	v_cmp_gt_f32_e32 vcc_lo, 0, v71
	v_cndmask_b32_e64 v82, v71, -v71, vcc_lo
	s_wait_dscnt 0x0
	v_cmp_gt_f32_e32 vcc_lo, 0, v74
	v_cndmask_b32_e64 v81, v74, -v74, vcc_lo
	v_cmp_gt_f32_e32 vcc_lo, 0, v75
	v_cndmask_b32_e64 v83, v75, -v75, vcc_lo
	s_delay_alu instid0(VALU_DEP_1) | instskip(NEXT) | instid1(VALU_DEP_1)
	v_pk_add_f32 v[80:81], v[80:81], v[82:83]
	v_cmp_lt_f32_e32 vcc_lo, v80, v81
	v_dual_add_nc_u32 v73, 8, v73 :: v_dual_cndmask_b32 v71, v71, v75, vcc_lo
	v_cndmask_b32_e32 v70, v70, v74, vcc_lo
	v_cndmask_b32_e64 v72, v72, s0, vcc_lo
	s_add_co_i32 s0, s0, 1
	s_delay_alu instid0(SALU_CYCLE_1)
	s_cmp_lg_u32 s18, s0
	s_cbranch_scc1 .LBB62_652
.LBB62_653:
	s_wait_dscnt 0x0
	v_cmp_eq_f32_e32 vcc_lo, 0, v70
	v_cmp_eq_f32_e64 s0, 0, v71
	s_and_b32 s0, vcc_lo, s0
	s_delay_alu instid0(SALU_CYCLE_1) | instskip(NEXT) | instid1(SALU_CYCLE_1)
	s_and_saveexec_b32 s1, s0
	s_xor_b32 s0, exec_lo, s1
; %bb.654:
	v_cmp_ne_u32_e32 vcc_lo, 0, v76
	v_cndmask_b32_e32 v76, 32, v76, vcc_lo
; %bb.655:
	s_and_not1_saveexec_b32 s0, s0
	s_cbranch_execz .LBB62_661
; %bb.656:
	v_cmp_ngt_f32_e64 s1, |v70|, |v71|
	s_and_saveexec_b32 s12, s1
	s_delay_alu instid0(SALU_CYCLE_1)
	s_xor_b32 s1, exec_lo, s12
	s_cbranch_execz .LBB62_658
; %bb.657:
	v_div_scale_f32 v73, null, v71, v71, v70
	v_div_scale_f32 v79, vcc_lo, v70, v71, v70
	s_delay_alu instid0(VALU_DEP_2) | instskip(SKIP_1) | instid1(TRANS32_DEP_1)
	v_rcp_f32_e32 v74, v73
	v_nop
	v_fma_f32 v75, -v73, v74, 1.0
	s_delay_alu instid0(VALU_DEP_1) | instskip(NEXT) | instid1(VALU_DEP_1)
	v_fmac_f32_e32 v74, v75, v74
	v_mul_f32_e32 v75, v79, v74
	s_delay_alu instid0(VALU_DEP_1) | instskip(NEXT) | instid1(VALU_DEP_1)
	v_fma_f32 v80, -v73, v75, v79
	v_fmac_f32_e32 v75, v80, v74
	s_delay_alu instid0(VALU_DEP_1) | instskip(NEXT) | instid1(VALU_DEP_1)
	v_fma_f32 v73, -v73, v75, v79
	v_div_fmas_f32 v73, v73, v74, v75
	s_delay_alu instid0(VALU_DEP_1) | instskip(NEXT) | instid1(VALU_DEP_1)
	v_div_fixup_f32 v73, v73, v71, v70
	v_fmac_f32_e32 v71, v70, v73
	s_delay_alu instid0(VALU_DEP_1) | instskip(SKIP_1) | instid1(VALU_DEP_2)
	v_div_scale_f32 v70, null, v71, v71, 1.0
	v_div_scale_f32 v79, vcc_lo, 1.0, v71, 1.0
	v_rcp_f32_e32 v74, v70
	v_nop
	s_delay_alu instid0(TRANS32_DEP_1) | instskip(NEXT) | instid1(VALU_DEP_1)
	v_fma_f32 v75, -v70, v74, 1.0
	v_fmac_f32_e32 v74, v75, v74
	s_delay_alu instid0(VALU_DEP_1) | instskip(NEXT) | instid1(VALU_DEP_1)
	v_mul_f32_e32 v75, v79, v74
	v_fma_f32 v80, -v70, v75, v79
	s_delay_alu instid0(VALU_DEP_1) | instskip(NEXT) | instid1(VALU_DEP_1)
	v_fmac_f32_e32 v75, v80, v74
	v_fma_f32 v70, -v70, v75, v79
	s_delay_alu instid0(VALU_DEP_1) | instskip(NEXT) | instid1(VALU_DEP_1)
	v_div_fmas_f32 v70, v70, v74, v75
	v_div_fixup_f32 v71, v70, v71, 1.0
	s_delay_alu instid0(VALU_DEP_1)
	v_mul_f32_e32 v70, v73, v71
	v_xor_b32_e32 v71, 0x80000000, v71
.LBB62_658:
	s_and_not1_saveexec_b32 s1, s1
	s_cbranch_execz .LBB62_660
; %bb.659:
	s_delay_alu instid0(VALU_DEP_1) | instskip(SKIP_1) | instid1(VALU_DEP_2)
	v_div_scale_f32 v73, null, v70, v70, v71
	v_div_scale_f32 v79, vcc_lo, v71, v70, v71
	v_rcp_f32_e32 v74, v73
	v_nop
	s_delay_alu instid0(TRANS32_DEP_1) | instskip(NEXT) | instid1(VALU_DEP_1)
	v_fma_f32 v75, -v73, v74, 1.0
	v_fmac_f32_e32 v74, v75, v74
	s_delay_alu instid0(VALU_DEP_1) | instskip(NEXT) | instid1(VALU_DEP_1)
	v_mul_f32_e32 v75, v79, v74
	v_fma_f32 v80, -v73, v75, v79
	s_delay_alu instid0(VALU_DEP_1) | instskip(NEXT) | instid1(VALU_DEP_1)
	v_fmac_f32_e32 v75, v80, v74
	v_fma_f32 v73, -v73, v75, v79
	s_delay_alu instid0(VALU_DEP_1) | instskip(NEXT) | instid1(VALU_DEP_1)
	v_div_fmas_f32 v73, v73, v74, v75
	v_div_fixup_f32 v73, v73, v70, v71
	s_delay_alu instid0(VALU_DEP_1) | instskip(NEXT) | instid1(VALU_DEP_1)
	v_fmac_f32_e32 v70, v71, v73
	v_div_scale_f32 v71, null, v70, v70, 1.0
	s_delay_alu instid0(VALU_DEP_1) | instskip(SKIP_1) | instid1(TRANS32_DEP_1)
	v_rcp_f32_e32 v74, v71
	v_nop
	v_fma_f32 v75, -v71, v74, 1.0
	s_delay_alu instid0(VALU_DEP_1) | instskip(SKIP_1) | instid1(VALU_DEP_1)
	v_fmac_f32_e32 v74, v75, v74
	v_div_scale_f32 v75, vcc_lo, 1.0, v70, 1.0
	v_mul_f32_e32 v79, v75, v74
	s_delay_alu instid0(VALU_DEP_1) | instskip(NEXT) | instid1(VALU_DEP_1)
	v_fma_f32 v80, -v71, v79, v75
	v_fmac_f32_e32 v79, v80, v74
	s_delay_alu instid0(VALU_DEP_1) | instskip(NEXT) | instid1(VALU_DEP_1)
	v_fma_f32 v71, -v71, v79, v75
	v_div_fmas_f32 v71, v71, v74, v79
	s_delay_alu instid0(VALU_DEP_1) | instskip(NEXT) | instid1(VALU_DEP_1)
	v_div_fixup_f32 v70, v71, v70, 1.0
	v_mul_f32_e64 v71, v73, -v70
.LBB62_660:
	s_or_b32 exec_lo, exec_lo, s1
.LBB62_661:
	s_delay_alu instid0(SALU_CYCLE_1)
	s_or_b32 exec_lo, exec_lo, s0
	v_mov_b32_e32 v74, 31
	s_mov_b32 s0, exec_lo
	v_cmpx_ne_u32_e64 v78, v72
	s_cbranch_execz .LBB62_667
; %bb.662:
	s_mov_b32 s1, exec_lo
	v_cmpx_eq_u32_e32 31, v78
	s_cbranch_execz .LBB62_666
; %bb.663:
	v_cmp_ne_u32_e32 vcc_lo, 31, v72
	s_xor_b32 s12, s16, -1
	s_delay_alu instid0(SALU_CYCLE_1) | instskip(NEXT) | instid1(SALU_CYCLE_1)
	s_and_b32 s13, s12, vcc_lo
	s_and_saveexec_b32 s12, s13
	s_cbranch_execz .LBB62_665
; %bb.664:
	v_ashrrev_i32_e32 v73, 31, v72
	s_delay_alu instid0(VALU_DEP_1)
	v_lshl_add_u64 v[74:75], v[72:73], 2, v[4:5]
	s_clause 0x1
	global_load_b32 v73, v[74:75], off
	global_load_b32 v77, v[4:5], off offset:124
	s_wait_loadcnt 0x1
	global_store_b32 v[4:5], v73, off offset:124
	s_wait_loadcnt 0x0
	global_store_b32 v[74:75], v77, off
.LBB62_665:
	s_wait_xcnt 0x0
	s_or_b32 exec_lo, exec_lo, s12
	v_dual_mov_b32 v78, v72 :: v_dual_mov_b32 v77, v72
.LBB62_666:
	s_or_b32 exec_lo, exec_lo, s1
	s_delay_alu instid0(VALU_DEP_1)
	v_mov_b32_e32 v74, v78
.LBB62_667:
	s_or_b32 exec_lo, exec_lo, s0
	s_delay_alu instid0(VALU_DEP_1)
	v_ashrrev_i32_e32 v75, 31, v74
	s_mov_b32 s0, exec_lo
	s_wait_storecnt 0x0
	s_barrier_signal -1
	s_barrier_wait -1
	s_barrier_signal -1
	s_barrier_wait -1
	v_cmpx_gt_i32_e32 32, v74
	s_cbranch_execz .LBB62_669
; %bb.668:
	v_mul_u64_e32 v[4:5], s[10:11], v[2:3]
	v_add3_u32 v72, v77, s17, 1
	s_delay_alu instid0(VALU_DEP_2) | instskip(NEXT) | instid1(VALU_DEP_1)
	v_lshl_add_u64 v[4:5], v[4:5], 2, s[6:7]
	v_lshl_add_u64 v[4:5], s[8:9], 2, v[4:5]
	s_delay_alu instid0(VALU_DEP_1)
	v_lshl_add_u64 v[4:5], v[74:75], 2, v[4:5]
	global_store_b32 v[4:5], v72, off
.LBB62_669:
	s_wait_xcnt 0x0
	s_or_b32 exec_lo, exec_lo, s0
	s_delay_alu instid0(SALU_CYCLE_1)
	s_mov_b32 s1, exec_lo
	v_cmpx_eq_u32_e32 0, v74
	s_cbranch_execz .LBB62_672
; %bb.670:
	s_wait_kmcnt 0x0
	v_lshl_add_u64 v[2:3], v[2:3], 2, s[4:5]
	v_cmp_ne_u32_e64 s0, 0, v76
	global_load_b32 v4, v[2:3], off
	s_wait_loadcnt 0x0
	v_cmp_eq_u32_e32 vcc_lo, 0, v4
	s_and_b32 s0, vcc_lo, s0
	s_wait_xcnt 0x0
	s_and_b32 exec_lo, exec_lo, s0
	s_cbranch_execz .LBB62_672
; %bb.671:
	v_add_nc_u32_e32 v4, s17, v76
	global_store_b32 v[2:3], v4, off
.LBB62_672:
	s_wait_xcnt 0x0
	s_or_b32 exec_lo, exec_lo, s1
	v_add3_u32 v2, s2, s2, v74
	v_pk_mul_f32 v[84:85], v[70:71], v[68:69] op_sel:[1,1] op_sel_hi:[0,1]
	v_cmp_lt_i32_e32 vcc_lo, 31, v74
	v_lshl_add_u64 v[74:75], v[74:75], 3, v[0:1]
	s_delay_alu instid0(VALU_DEP_4) | instskip(NEXT) | instid1(VALU_DEP_4)
	v_add_nc_u32_e32 v4, s2, v2
	v_pk_fma_f32 v[88:89], v[70:71], v[68:69], v[84:85] op_sel_hi:[1,0,1]
	v_pk_fma_f32 v[70:71], v[70:71], v[68:69], v[84:85] neg_lo:[0,0,1] neg_hi:[0,0,1]
	s_delay_alu instid0(VALU_DEP_2) | instskip(NEXT) | instid1(VALU_DEP_2)
	v_dual_cndmask_b32 v69, v69, v89 :: v_dual_add_nc_u32 v72, s2, v4
	v_cndmask_b32_e32 v68, v68, v70, vcc_lo
	v_lshl_add_u64 v[70:71], s[2:3], 3, v[74:75]
	s_delay_alu instid0(VALU_DEP_3) | instskip(SKIP_1) | instid1(VALU_DEP_2)
	v_add_nc_u32_e32 v76, s2, v72
	v_ashrrev_i32_e32 v5, 31, v4
	v_add_nc_u32_e32 v78, s2, v76
	s_delay_alu instid0(VALU_DEP_2) | instskip(NEXT) | instid1(VALU_DEP_2)
	v_lshl_add_u64 v[4:5], v[4:5], 3, v[0:1]
	v_add_nc_u32_e32 v80, s2, v78
	s_delay_alu instid0(VALU_DEP_1) | instskip(NEXT) | instid1(VALU_DEP_1)
	v_add_nc_u32_e32 v82, s2, v80
	v_add_nc_u32_e32 v86, s2, v82
	v_dual_ashrrev_i32 v79, 31, v78 :: v_dual_ashrrev_i32 v81, 31, v80
	s_delay_alu instid0(VALU_DEP_2) | instskip(SKIP_1) | instid1(VALU_DEP_2)
	v_dual_ashrrev_i32 v87, 31, v86 :: v_dual_add_nc_u32 v88, s2, v86
	v_ashrrev_i32_e32 v3, 31, v2
	v_dual_ashrrev_i32 v83, 31, v82 :: v_dual_add_nc_u32 v84, s2, v88
	s_delay_alu instid0(VALU_DEP_2)
	v_lshl_add_u64 v[2:3], v[2:3], 3, v[0:1]
	s_clause 0x2
	global_store_b64 v[74:75], v[64:65], off
	global_store_b64 v[70:71], v[66:67], off
	;; [unrolled: 1-line block ×3, first 2 shown]
	v_add_nc_u32_e32 v90, s2, v84
	s_wait_xcnt 0x1
	v_lshl_add_u64 v[70:71], v[78:79], 3, v[0:1]
	s_delay_alu instid0(VALU_DEP_2) | instskip(SKIP_2) | instid1(VALU_DEP_1)
	v_dual_ashrrev_i32 v85, 31, v84 :: v_dual_ashrrev_i32 v91, 31, v90
	s_wait_xcnt 0x0
	v_dual_add_nc_u32 v2, s2, v90 :: v_dual_ashrrev_i32 v73, 31, v72
	v_dual_add_nc_u32 v62, s2, v2 :: v_dual_ashrrev_i32 v77, 31, v76
	s_delay_alu instid0(VALU_DEP_2) | instskip(NEXT) | instid1(VALU_DEP_2)
	v_lshl_add_u64 v[64:65], v[72:73], 3, v[0:1]
	v_add_nc_u32_e32 v72, s2, v62
	s_delay_alu instid0(VALU_DEP_3)
	v_lshl_add_u64 v[66:67], v[76:77], 3, v[0:1]
	s_clause 0x3
	global_store_b64 v[4:5], v[60:61], off
	global_store_b64 v[64:65], v[34:35], off
	global_store_b64 v[66:67], v[30:31], off
	global_store_b64 v[70:71], v[32:33], off
	s_wait_xcnt 0x3
	v_add_nc_u32_e32 v4, s2, v72
	s_wait_xcnt 0x0
	v_lshl_add_u64 v[32:33], v[80:81], 3, v[0:1]
	v_lshl_add_u64 v[60:61], v[86:87], 3, v[0:1]
	v_lshl_add_u64 v[34:35], v[82:83], 3, v[0:1]
	v_ashrrev_i32_e32 v73, 31, v72
	v_add_nc_u32_e32 v30, s2, v4
	s_delay_alu instid0(VALU_DEP_1) | instskip(NEXT) | instid1(VALU_DEP_1)
	v_dual_ashrrev_i32 v89, 31, v88 :: v_dual_add_nc_u32 v66, s2, v30
	v_lshl_add_u64 v[64:65], v[88:89], 3, v[0:1]
	s_clause 0x3
	global_store_b64 v[32:33], v[6:7], off
	global_store_b64 v[34:35], v[40:41], off
	;; [unrolled: 1-line block ×4, first 2 shown]
	s_wait_xcnt 0x2
	v_lshl_add_u64 v[34:35], v[84:85], 3, v[0:1]
	v_add_nc_u32_e32 v6, s2, v66
	s_wait_xcnt 0x1
	v_lshl_add_u64 v[36:37], v[90:91], 3, v[0:1]
	v_dual_ashrrev_i32 v5, 31, v4 :: v_dual_ashrrev_i32 v31, 31, v30
	s_delay_alu instid0(VALU_DEP_3) | instskip(SKIP_1) | instid1(VALU_DEP_3)
	v_add_nc_u32_e32 v32, s2, v6
	v_ashrrev_i32_e32 v3, 31, v2
	v_lshl_add_u64 v[4:5], v[4:5], 3, v[0:1]
	s_delay_alu instid0(VALU_DEP_4) | instskip(NEXT) | instid1(VALU_DEP_4)
	v_lshl_add_u64 v[30:31], v[30:31], 3, v[0:1]
	v_dual_add_nc_u32 v40, s2, v32 :: v_dual_ashrrev_i32 v63, 31, v62
	s_delay_alu instid0(VALU_DEP_4) | instskip(SKIP_1) | instid1(VALU_DEP_3)
	v_lshl_add_u64 v[2:3], v[2:3], 3, v[0:1]
	v_ashrrev_i32_e32 v33, 31, v32
	v_ashrrev_i32_e32 v41, 31, v40
	s_wait_xcnt 0x0
	v_lshl_add_u64 v[38:39], v[62:63], 3, v[0:1]
	s_clause 0x3
	global_store_b64 v[34:35], v[8:9], off
	global_store_b64 v[36:37], v[52:53], off
	;; [unrolled: 1-line block ×4, first 2 shown]
	s_wait_xcnt 0x1
	v_add_nc_u32_e32 v2, s2, v40
	v_lshl_add_u64 v[34:35], v[72:73], 3, v[0:1]
	s_delay_alu instid0(VALU_DEP_2) | instskip(SKIP_1) | instid1(VALU_DEP_2)
	v_add_nc_u32_e32 v8, s2, v2
	v_ashrrev_i32_e32 v67, 31, v66
	v_dual_ashrrev_i32 v3, 31, v2 :: v_dual_ashrrev_i32 v9, 31, v8
	s_wait_xcnt 0x0
	v_add_nc_u32_e32 v38, s2, v8
	s_delay_alu instid0(VALU_DEP_3)
	v_lshl_add_u64 v[36:37], v[66:67], 3, v[0:1]
	s_clause 0x3
	global_store_b64 v[34:35], v[14:15], off
	global_store_b64 v[4:5], v[58:59], off
	;; [unrolled: 1-line block ×4, first 2 shown]
	s_wait_xcnt 0x1
	v_lshl_add_u64 v[30:31], v[32:33], 3, v[0:1]
	v_add_nc_u32_e32 v4, s2, v38
	v_ashrrev_i32_e32 v7, 31, v6
	v_lshl_add_u64 v[32:33], v[40:41], 3, v[0:1]
	v_lshl_add_u64 v[2:3], v[2:3], 3, v[0:1]
	s_delay_alu instid0(VALU_DEP_4) | instskip(NEXT) | instid1(VALU_DEP_4)
	v_dual_ashrrev_i32 v39, 31, v38 :: v_dual_add_nc_u32 v14, s2, v4
	v_lshl_add_u64 v[6:7], v[6:7], 3, v[0:1]
	s_clause 0x3
	global_store_b64 v[6:7], v[16:17], off
	global_store_b64 v[30:31], v[46:47], off
	;; [unrolled: 1-line block ×4, first 2 shown]
	v_dual_add_nc_u32 v34, s2, v14 :: v_dual_ashrrev_i32 v5, 31, v4
	v_ashrrev_i32_e32 v15, 31, v14
	v_lshl_add_u64 v[8:9], v[8:9], 3, v[0:1]
	s_wait_xcnt 0x3
	v_lshl_add_u64 v[16:17], v[38:39], 3, v[0:1]
	s_wait_xcnt 0x0
	v_dual_add_nc_u32 v2, s2, v34 :: v_dual_ashrrev_i32 v35, 31, v34
	v_lshl_add_u64 v[4:5], v[4:5], 3, v[0:1]
	v_lshl_add_u64 v[14:15], v[14:15], 3, v[0:1]
	s_clause 0x3
	global_store_b64 v[8:9], v[10:11], off
	global_store_b64 v[16:17], v[28:29], off
	;; [unrolled: 1-line block ×4, first 2 shown]
	v_dual_add_nc_u32 v6, s2, v2 :: v_dual_ashrrev_i32 v3, 31, v2
	s_wait_xcnt 0x3
	v_lshl_add_u64 v[8:9], v[34:35], 3, v[0:1]
	s_delay_alu instid0(VALU_DEP_2) | instskip(NEXT) | instid1(VALU_DEP_3)
	v_dual_add_nc_u32 v30, s2, v6 :: v_dual_ashrrev_i32 v7, 31, v6
	v_lshl_add_u64 v[2:3], v[2:3], 3, v[0:1]
	s_wait_xcnt 0x1
	s_delay_alu instid0(VALU_DEP_2) | instskip(NEXT) | instid1(VALU_DEP_3)
	v_dual_add_nc_u32 v4, s2, v30 :: v_dual_ashrrev_i32 v31, 31, v30
	v_lshl_add_u64 v[6:7], v[6:7], 3, v[0:1]
	s_delay_alu instid0(VALU_DEP_2) | instskip(NEXT) | instid1(VALU_DEP_3)
	v_ashrrev_i32_e32 v5, 31, v4
	v_lshl_add_u64 v[10:11], v[30:31], 3, v[0:1]
	s_delay_alu instid0(VALU_DEP_2)
	v_lshl_add_u64 v[0:1], v[4:5], 3, v[0:1]
	s_clause 0x4
	global_store_b64 v[8:9], v[12:13], off
	global_store_b64 v[2:3], v[22:23], off
	;; [unrolled: 1-line block ×5, first 2 shown]
.LBB62_673:
	s_sendmsg sendmsg(MSG_DEALLOC_VGPRS)
	s_endpgm
	.section	.rodata,"a",@progbits
	.p2align	6, 0x0
	.amdhsa_kernel _ZN9rocsolver6v33100L18getf2_small_kernelILi32E19rocblas_complex_numIfEiiPS3_EEvT1_T3_lS5_lPS5_llPT2_S5_S5_S7_l
		.amdhsa_group_segment_fixed_size 0
		.amdhsa_private_segment_fixed_size 0
		.amdhsa_kernarg_size 352
		.amdhsa_user_sgpr_count 2
		.amdhsa_user_sgpr_dispatch_ptr 0
		.amdhsa_user_sgpr_queue_ptr 0
		.amdhsa_user_sgpr_kernarg_segment_ptr 1
		.amdhsa_user_sgpr_dispatch_id 0
		.amdhsa_user_sgpr_kernarg_preload_length 0
		.amdhsa_user_sgpr_kernarg_preload_offset 0
		.amdhsa_user_sgpr_private_segment_size 0
		.amdhsa_wavefront_size32 1
		.amdhsa_uses_dynamic_stack 0
		.amdhsa_enable_private_segment 0
		.amdhsa_system_sgpr_workgroup_id_x 1
		.amdhsa_system_sgpr_workgroup_id_y 1
		.amdhsa_system_sgpr_workgroup_id_z 0
		.amdhsa_system_sgpr_workgroup_info 0
		.amdhsa_system_vgpr_workitem_id 1
		.amdhsa_next_free_vgpr 96
		.amdhsa_next_free_sgpr 19
		.amdhsa_named_barrier_count 0
		.amdhsa_reserve_vcc 1
		.amdhsa_float_round_mode_32 0
		.amdhsa_float_round_mode_16_64 0
		.amdhsa_float_denorm_mode_32 3
		.amdhsa_float_denorm_mode_16_64 3
		.amdhsa_fp16_overflow 0
		.amdhsa_memory_ordered 1
		.amdhsa_forward_progress 1
		.amdhsa_inst_pref_size 255
		.amdhsa_round_robin_scheduling 0
		.amdhsa_exception_fp_ieee_invalid_op 0
		.amdhsa_exception_fp_denorm_src 0
		.amdhsa_exception_fp_ieee_div_zero 0
		.amdhsa_exception_fp_ieee_overflow 0
		.amdhsa_exception_fp_ieee_underflow 0
		.amdhsa_exception_fp_ieee_inexact 0
		.amdhsa_exception_int_div_zero 0
	.end_amdhsa_kernel
	.section	.text._ZN9rocsolver6v33100L18getf2_small_kernelILi32E19rocblas_complex_numIfEiiPS3_EEvT1_T3_lS5_lPS5_llPT2_S5_S5_S7_l,"axG",@progbits,_ZN9rocsolver6v33100L18getf2_small_kernelILi32E19rocblas_complex_numIfEiiPS3_EEvT1_T3_lS5_lPS5_llPT2_S5_S5_S7_l,comdat
.Lfunc_end62:
	.size	_ZN9rocsolver6v33100L18getf2_small_kernelILi32E19rocblas_complex_numIfEiiPS3_EEvT1_T3_lS5_lPS5_llPT2_S5_S5_S7_l, .Lfunc_end62-_ZN9rocsolver6v33100L18getf2_small_kernelILi32E19rocblas_complex_numIfEiiPS3_EEvT1_T3_lS5_lPS5_llPT2_S5_S5_S7_l
                                        ; -- End function
	.set _ZN9rocsolver6v33100L18getf2_small_kernelILi32E19rocblas_complex_numIfEiiPS3_EEvT1_T3_lS5_lPS5_llPT2_S5_S5_S7_l.num_vgpr, 96
	.set _ZN9rocsolver6v33100L18getf2_small_kernelILi32E19rocblas_complex_numIfEiiPS3_EEvT1_T3_lS5_lPS5_llPT2_S5_S5_S7_l.num_agpr, 0
	.set _ZN9rocsolver6v33100L18getf2_small_kernelILi32E19rocblas_complex_numIfEiiPS3_EEvT1_T3_lS5_lPS5_llPT2_S5_S5_S7_l.numbered_sgpr, 19
	.set _ZN9rocsolver6v33100L18getf2_small_kernelILi32E19rocblas_complex_numIfEiiPS3_EEvT1_T3_lS5_lPS5_llPT2_S5_S5_S7_l.num_named_barrier, 0
	.set _ZN9rocsolver6v33100L18getf2_small_kernelILi32E19rocblas_complex_numIfEiiPS3_EEvT1_T3_lS5_lPS5_llPT2_S5_S5_S7_l.private_seg_size, 0
	.set _ZN9rocsolver6v33100L18getf2_small_kernelILi32E19rocblas_complex_numIfEiiPS3_EEvT1_T3_lS5_lPS5_llPT2_S5_S5_S7_l.uses_vcc, 1
	.set _ZN9rocsolver6v33100L18getf2_small_kernelILi32E19rocblas_complex_numIfEiiPS3_EEvT1_T3_lS5_lPS5_llPT2_S5_S5_S7_l.uses_flat_scratch, 0
	.set _ZN9rocsolver6v33100L18getf2_small_kernelILi32E19rocblas_complex_numIfEiiPS3_EEvT1_T3_lS5_lPS5_llPT2_S5_S5_S7_l.has_dyn_sized_stack, 0
	.set _ZN9rocsolver6v33100L18getf2_small_kernelILi32E19rocblas_complex_numIfEiiPS3_EEvT1_T3_lS5_lPS5_llPT2_S5_S5_S7_l.has_recursion, 0
	.set _ZN9rocsolver6v33100L18getf2_small_kernelILi32E19rocblas_complex_numIfEiiPS3_EEvT1_T3_lS5_lPS5_llPT2_S5_S5_S7_l.has_indirect_call, 0
	.section	.AMDGPU.csdata,"",@progbits
; Kernel info:
; codeLenInByte = 61176
; TotalNumSgprs: 21
; NumVgprs: 96
; ScratchSize: 0
; MemoryBound: 0
; FloatMode: 240
; IeeeMode: 1
; LDSByteSize: 0 bytes/workgroup (compile time only)
; SGPRBlocks: 0
; VGPRBlocks: 5
; NumSGPRsForWavesPerEU: 21
; NumVGPRsForWavesPerEU: 96
; NamedBarCnt: 0
; Occupancy: 10
; WaveLimiterHint : 0
; COMPUTE_PGM_RSRC2:SCRATCH_EN: 0
; COMPUTE_PGM_RSRC2:USER_SGPR: 2
; COMPUTE_PGM_RSRC2:TRAP_HANDLER: 0
; COMPUTE_PGM_RSRC2:TGID_X_EN: 1
; COMPUTE_PGM_RSRC2:TGID_Y_EN: 1
; COMPUTE_PGM_RSRC2:TGID_Z_EN: 0
; COMPUTE_PGM_RSRC2:TIDIG_COMP_CNT: 1
	.section	.text._ZN9rocsolver6v33100L23getf2_npvt_small_kernelILi32E19rocblas_complex_numIfEiiPS3_EEvT1_T3_lS5_lPT2_S5_S5_,"axG",@progbits,_ZN9rocsolver6v33100L23getf2_npvt_small_kernelILi32E19rocblas_complex_numIfEiiPS3_EEvT1_T3_lS5_lPT2_S5_S5_,comdat
	.globl	_ZN9rocsolver6v33100L23getf2_npvt_small_kernelILi32E19rocblas_complex_numIfEiiPS3_EEvT1_T3_lS5_lPT2_S5_S5_ ; -- Begin function _ZN9rocsolver6v33100L23getf2_npvt_small_kernelILi32E19rocblas_complex_numIfEiiPS3_EEvT1_T3_lS5_lPT2_S5_S5_
	.p2align	8
	.type	_ZN9rocsolver6v33100L23getf2_npvt_small_kernelILi32E19rocblas_complex_numIfEiiPS3_EEvT1_T3_lS5_lPT2_S5_S5_,@function
_ZN9rocsolver6v33100L23getf2_npvt_small_kernelILi32E19rocblas_complex_numIfEiiPS3_EEvT1_T3_lS5_lPT2_S5_S5_: ; @_ZN9rocsolver6v33100L23getf2_npvt_small_kernelILi32E19rocblas_complex_numIfEiiPS3_EEvT1_T3_lS5_lPT2_S5_S5_
; %bb.0:
	s_clause 0x1
	s_load_u16 s14, s[0:1], 0x46
	s_load_b64 s[2:3], s[0:1], 0x30
	s_bfe_u32 s4, ttmp6, 0x40010
	s_bfe_u32 s5, ttmp6, 0x40004
	s_add_co_i32 s4, s4, 1
	s_getreg_b32 s6, hwreg(HW_REG_IB_STS2, 6, 4)
	s_mul_i32 s4, ttmp7, s4
	v_bfe_u32 v130, v0, 10, 10
	s_add_co_i32 s5, s5, s4
	s_cmp_eq_u32 s6, 0
	s_cselect_b32 s4, ttmp7, s5
	s_wait_kmcnt 0x0
	v_mad_u32 v2, s4, s14, v130
	s_delay_alu instid0(VALU_DEP_1)
	v_cmp_gt_i32_e32 vcc_lo, s2, v2
	s_and_saveexec_b32 s2, vcc_lo
	s_cbranch_execz .LBB63_291
; %bb.1:
	s_clause 0x1
	s_load_b32 s12, s[0:1], 0x18
	s_load_b128 s[8:11], s[0:1], 0x8
	v_and_b32_e32 v194, 0x3ff, v0
	s_load_b128 s[4:7], s[0:1], 0x20
	v_lshlrev_b32_e32 v131, 3, v130
	s_wait_xcnt 0x0
	s_lshl_b32 s0, s14, 8
	v_lshl_add_u32 v196, v130, 8, 0
	v_cmp_ne_u32_e64 s1, 0, v194
	v_ashrrev_i32_e32 v3, 31, v2
	v_add3_u32 v195, 0, s0, v131
	v_cmp_eq_u32_e64 s0, 0, v194
	v_dual_mov_b32 v13, 0 :: v_dual_lshlrev_b32 v12, 3, v194
	s_wait_kmcnt 0x0
	v_add3_u32 v0, s12, s12, v194
	s_ashr_i32 s13, s12, 31
	v_mul_u64_e32 v[6:7], s[4:5], v[2:3]
	s_delay_alu instid0(VALU_DEP_2) | instskip(NEXT) | instid1(VALU_DEP_1)
	v_add_nc_u32_e32 v4, s12, v0
	v_add_nc_u32_e32 v8, s12, v4
	s_delay_alu instid0(VALU_DEP_1) | instskip(NEXT) | instid1(VALU_DEP_1)
	v_add_nc_u32_e32 v10, s12, v8
	v_add_nc_u32_e32 v16, s12, v10
	s_delay_alu instid0(VALU_DEP_1) | instskip(NEXT) | instid1(VALU_DEP_1)
	v_add_nc_u32_e32 v20, s12, v16
	v_add_nc_u32_e32 v22, s12, v20
	s_delay_alu instid0(VALU_DEP_1) | instskip(SKIP_3) | instid1(VALU_DEP_3)
	v_dual_ashrrev_i32 v9, 31, v8 :: v_dual_ashrrev_i32 v23, 31, v22
	v_dual_add_nc_u32 v24, s12, v22 :: v_dual_ashrrev_i32 v5, 31, v4
	v_ashrrev_i32_e32 v11, 31, v10
	v_lshl_add_u64 v[6:7], v[6:7], 3, s[8:9]
	v_add_nc_u32_e32 v28, s12, v24
	s_delay_alu instid0(VALU_DEP_2) | instskip(NEXT) | instid1(VALU_DEP_2)
	v_lshl_add_u64 v[104:105], s[10:11], 3, v[6:7]
	v_add_nc_u32_e32 v30, s12, v28
	s_delay_alu instid0(VALU_DEP_2) | instskip(SKIP_1) | instid1(VALU_DEP_3)
	v_add_nc_u64_e32 v[18:19], v[104:105], v[12:13]
	v_lshl_add_u64 v[14:15], v[8:9], 3, v[104:105]
	v_dual_add_nc_u32 v34, s12, v30 :: v_dual_ashrrev_i32 v25, 31, v24
	v_lshl_add_u64 v[12:13], v[4:5], 3, v[104:105]
	s_delay_alu instid0(VALU_DEP_2) | instskip(SKIP_2) | instid1(VALU_DEP_3)
	v_dual_add_nc_u32 v42, s12, v34 :: v_dual_ashrrev_i32 v1, 31, v0
	v_dual_ashrrev_i32 v29, 31, v28 :: v_dual_ashrrev_i32 v35, 31, v34
	v_lshl_add_u64 v[32:33], s[12:13], 3, v[18:19]
	v_dual_add_nc_u32 v48, s12, v42 :: v_dual_ashrrev_i32 v43, 31, v42
	s_delay_alu instid0(VALU_DEP_4) | instskip(SKIP_1) | instid1(VALU_DEP_3)
	v_lshl_add_u64 v[6:7], v[0:1], 3, v[104:105]
	v_lshl_add_u64 v[0:1], v[10:11], 3, v[104:105]
	v_dual_ashrrev_i32 v31, 31, v30 :: v_dual_add_nc_u32 v50, s12, v48
	v_ashrrev_i32_e32 v17, 31, v16
	v_lshl_add_u64 v[10:11], v[22:23], 3, v[104:105]
	v_lshl_add_u64 v[42:43], v[42:43], 3, v[104:105]
	s_delay_alu instid0(VALU_DEP_4) | instskip(NEXT) | instid1(VALU_DEP_4)
	v_add_nc_u32_e32 v52, s12, v50
	v_lshl_add_u64 v[4:5], v[16:17], 3, v[104:105]
	v_lshl_add_u64 v[16:17], v[24:25], 3, v[104:105]
	s_delay_alu instid0(VALU_DEP_3) | instskip(SKIP_1) | instid1(VALU_DEP_2)
	v_dual_ashrrev_i32 v51, 31, v50 :: v_dual_add_nc_u32 v66, s12, v52
	v_ashrrev_i32_e32 v21, 31, v20
	v_lshl_add_u64 v[50:51], v[50:51], 3, v[104:105]
	s_delay_alu instid0(VALU_DEP_3) | instskip(NEXT) | instid1(VALU_DEP_3)
	v_add_nc_u32_e32 v68, s12, v66
	v_lshl_add_u64 v[8:9], v[20:21], 3, v[104:105]
	v_lshl_add_u64 v[20:21], v[28:29], 3, v[104:105]
	;; [unrolled: 1-line block ×4, first 2 shown]
	v_add_nc_u32_e32 v70, s12, v68
	v_ashrrev_i32_e32 v53, 31, v52
	s_clause 0xb
	global_load_b64 v[26:27], v[14:15], off
	global_load_b64 v[22:23], v[0:1], off
	;; [unrolled: 1-line block ×12, first 2 shown]
	v_dual_add_nc_u32 v72, s12, v70 :: v_dual_ashrrev_i32 v71, 31, v70
	v_lshl_add_u64 v[52:53], v[52:53], 3, v[104:105]
	s_delay_alu instid0(VALU_DEP_2) | instskip(NEXT) | instid1(VALU_DEP_3)
	v_dual_ashrrev_i32 v67, 31, v66 :: v_dual_add_nc_u32 v84, s12, v72
	v_lshl_add_u64 v[70:71], v[70:71], 3, v[104:105]
	s_delay_alu instid0(VALU_DEP_2) | instskip(NEXT) | instid1(VALU_DEP_3)
	v_lshl_add_u64 v[66:67], v[66:67], 3, v[104:105]
	v_add_nc_u32_e32 v86, s12, v84
	s_delay_alu instid0(VALU_DEP_1) | instskip(SKIP_1) | instid1(VALU_DEP_2)
	v_dual_ashrrev_i32 v69, 31, v68 :: v_dual_ashrrev_i32 v87, 31, v86
	v_add_nc_u32_e32 v88, s12, v86
	v_lshl_add_u64 v[68:69], v[68:69], 3, v[104:105]
	s_delay_alu instid0(VALU_DEP_3) | instskip(NEXT) | instid1(VALU_DEP_3)
	v_lshl_add_u64 v[86:87], v[86:87], 3, v[104:105]
	v_add_nc_u32_e32 v90, s12, v88
	s_delay_alu instid0(VALU_DEP_1) | instskip(NEXT) | instid1(VALU_DEP_1)
	v_dual_ashrrev_i32 v49, 31, v48 :: v_dual_add_nc_u32 v92, s12, v90
	v_lshl_add_u64 v[48:49], v[48:49], 3, v[104:105]
	s_clause 0x3
	global_load_b64 v[64:65], v[30:31], off
	global_load_b64 v[60:61], v[42:43], off
	;; [unrolled: 1-line block ×4, first 2 shown]
	v_add_nc_u32_e32 v94, s12, v92
	s_clause 0x3
	global_load_b64 v[82:83], v[52:53], off
	global_load_b64 v[78:79], v[66:67], off
	;; [unrolled: 1-line block ×4, first 2 shown]
	v_dual_add_nc_u32 v106, s12, v94 :: v_dual_ashrrev_i32 v73, 31, v72
	v_dual_ashrrev_i32 v91, 31, v90 :: v_dual_ashrrev_i32 v85, 31, v84
	v_ashrrev_i32_e32 v95, 31, v94
	s_delay_alu instid0(VALU_DEP_3) | instskip(NEXT) | instid1(VALU_DEP_4)
	v_add_nc_u32_e32 v108, s12, v106
	v_lshl_add_u64 v[72:73], v[72:73], 3, v[104:105]
	s_delay_alu instid0(VALU_DEP_4)
	v_lshl_add_u64 v[90:91], v[90:91], 3, v[104:105]
	v_ashrrev_i32_e32 v107, 31, v106
	v_lshl_add_u64 v[84:85], v[84:85], 3, v[104:105]
	v_add_nc_u32_e32 v110, s12, v108
	v_ashrrev_i32_e32 v89, 31, v88
	v_ashrrev_i32_e32 v93, 31, v92
	v_lshl_add_u64 v[94:95], v[94:95], 3, v[104:105]
	v_lshl_add_u64 v[106:107], v[106:107], 3, v[104:105]
	v_dual_add_nc_u32 v112, s12, v110 :: v_dual_ashrrev_i32 v111, 31, v110
	s_delay_alu instid0(VALU_DEP_4)
	v_lshl_add_u64 v[92:93], v[92:93], 3, v[104:105]
	v_lshl_add_u64 v[88:89], v[88:89], 3, v[104:105]
	s_clause 0x3
	global_load_b64 v[102:103], v[72:73], off
	global_load_b64 v[98:99], v[84:85], off
	;; [unrolled: 1-line block ×4, first 2 shown]
	v_dual_add_nc_u32 v114, s12, v112 :: v_dual_ashrrev_i32 v113, 31, v112
	v_ashrrev_i32_e32 v109, 31, v108
	v_lshl_add_u64 v[110:111], v[110:111], 3, v[104:105]
	s_delay_alu instid0(VALU_DEP_3) | instskip(NEXT) | instid1(VALU_DEP_4)
	v_ashrrev_i32_e32 v115, 31, v114
	v_lshl_add_u64 v[112:113], v[112:113], 3, v[104:105]
	s_delay_alu instid0(VALU_DEP_4) | instskip(NEXT) | instid1(VALU_DEP_3)
	v_lshl_add_u64 v[108:109], v[108:109], 3, v[104:105]
	v_lshl_add_u64 v[104:105], v[114:115], 3, v[104:105]
	s_clause 0x7
	global_load_b64 v[120:121], v[90:91], off
	global_load_b64 v[116:117], v[92:93], off
	;; [unrolled: 1-line block ×8, first 2 shown]
	s_wait_xcnt 0x0
	s_and_saveexec_b32 s4, s0
	s_cbranch_execz .LBB63_8
; %bb.2:
	s_wait_loadcnt 0x1b
	ds_store_b64 v195, v[54:55]
	s_wait_loadcnt 0x19
	ds_store_2addr_b64 v196, v[56:57], v[46:47] offset0:1 offset1:2
	s_wait_loadcnt 0x18
	ds_store_2addr_b64 v196, v[44:45], v[26:27] offset0:3 offset1:4
	ds_store_2addr_b64 v196, v[22:23], v[24:25] offset0:5 offset1:6
	s_wait_loadcnt 0x17
	ds_store_2addr_b64 v196, v[74:75], v[40:41] offset0:7 offset1:8
	s_wait_loadcnt 0x15
	;; [unrolled: 2-line block ×13, first 2 shown]
	ds_store_b64 v196, v[128:129] offset:248
	ds_load_b64 v[130:131], v195
	s_wait_dscnt 0x0
	v_cmp_neq_f32_e32 vcc_lo, 0, v130
	v_cmp_neq_f32_e64 s2, 0, v131
	s_or_b32 s2, vcc_lo, s2
	s_delay_alu instid0(SALU_CYCLE_1)
	s_and_b32 exec_lo, exec_lo, s2
	s_cbranch_execz .LBB63_8
; %bb.3:
	v_cmp_ngt_f32_e64 s2, |v130|, |v131|
                                        ; implicit-def: $vgpr132_vgpr133
	s_and_saveexec_b32 s5, s2
	s_delay_alu instid0(SALU_CYCLE_1)
	s_xor_b32 s2, exec_lo, s5
	s_cbranch_execz .LBB63_5
; %bb.4:
	v_div_scale_f32 v132, null, v131, v131, v130
	v_div_scale_f32 v135, vcc_lo, v130, v131, v130
	s_delay_alu instid0(VALU_DEP_2) | instskip(SKIP_1) | instid1(TRANS32_DEP_1)
	v_rcp_f32_e32 v133, v132
	v_nop
	v_fma_f32 v134, -v132, v133, 1.0
	s_delay_alu instid0(VALU_DEP_1) | instskip(NEXT) | instid1(VALU_DEP_1)
	v_fmac_f32_e32 v133, v134, v133
	v_mul_f32_e32 v134, v135, v133
	s_delay_alu instid0(VALU_DEP_1) | instskip(NEXT) | instid1(VALU_DEP_1)
	v_fma_f32 v136, -v132, v134, v135
	v_fmac_f32_e32 v134, v136, v133
	s_delay_alu instid0(VALU_DEP_1) | instskip(NEXT) | instid1(VALU_DEP_1)
	v_fma_f32 v132, -v132, v134, v135
	v_div_fmas_f32 v132, v132, v133, v134
	s_delay_alu instid0(VALU_DEP_1) | instskip(NEXT) | instid1(VALU_DEP_1)
	v_div_fixup_f32 v132, v132, v131, v130
	v_fmac_f32_e32 v131, v130, v132
	s_delay_alu instid0(VALU_DEP_1) | instskip(SKIP_1) | instid1(VALU_DEP_2)
	v_div_scale_f32 v130, null, v131, v131, 1.0
	v_div_scale_f32 v135, vcc_lo, 1.0, v131, 1.0
	v_rcp_f32_e32 v133, v130
	v_nop
	s_delay_alu instid0(TRANS32_DEP_1) | instskip(NEXT) | instid1(VALU_DEP_1)
	v_fma_f32 v134, -v130, v133, 1.0
	v_fmac_f32_e32 v133, v134, v133
	s_delay_alu instid0(VALU_DEP_1) | instskip(NEXT) | instid1(VALU_DEP_1)
	v_mul_f32_e32 v134, v135, v133
	v_fma_f32 v136, -v130, v134, v135
	s_delay_alu instid0(VALU_DEP_1) | instskip(NEXT) | instid1(VALU_DEP_1)
	v_fmac_f32_e32 v134, v136, v133
	v_fma_f32 v130, -v130, v134, v135
	s_delay_alu instid0(VALU_DEP_1) | instskip(NEXT) | instid1(VALU_DEP_1)
	v_div_fmas_f32 v130, v130, v133, v134
	v_div_fixup_f32 v130, v130, v131, 1.0
	s_delay_alu instid0(VALU_DEP_1)
	v_mul_f32_e32 v132, v132, v130
	v_xor_b32_e32 v133, 0x80000000, v130
                                        ; implicit-def: $vgpr130_vgpr131
.LBB63_5:
	s_and_not1_saveexec_b32 s2, s2
	s_cbranch_execz .LBB63_7
; %bb.6:
	v_div_scale_f32 v132, null, v130, v130, v131
	v_div_scale_f32 v135, vcc_lo, v131, v130, v131
	s_delay_alu instid0(VALU_DEP_2) | instskip(SKIP_1) | instid1(TRANS32_DEP_1)
	v_rcp_f32_e32 v133, v132
	v_nop
	v_fma_f32 v134, -v132, v133, 1.0
	s_delay_alu instid0(VALU_DEP_1) | instskip(NEXT) | instid1(VALU_DEP_1)
	v_fmac_f32_e32 v133, v134, v133
	v_mul_f32_e32 v134, v135, v133
	s_delay_alu instid0(VALU_DEP_1) | instskip(NEXT) | instid1(VALU_DEP_1)
	v_fma_f32 v136, -v132, v134, v135
	v_fmac_f32_e32 v134, v136, v133
	s_delay_alu instid0(VALU_DEP_1) | instskip(NEXT) | instid1(VALU_DEP_1)
	v_fma_f32 v132, -v132, v134, v135
	v_div_fmas_f32 v132, v132, v133, v134
	s_delay_alu instid0(VALU_DEP_1) | instskip(NEXT) | instid1(VALU_DEP_1)
	v_div_fixup_f32 v133, v132, v130, v131
	v_fmac_f32_e32 v130, v131, v133
	s_delay_alu instid0(VALU_DEP_1) | instskip(NEXT) | instid1(VALU_DEP_1)
	v_div_scale_f32 v131, null, v130, v130, 1.0
	v_rcp_f32_e32 v132, v131
	v_nop
	s_delay_alu instid0(TRANS32_DEP_1) | instskip(NEXT) | instid1(VALU_DEP_1)
	v_fma_f32 v134, -v131, v132, 1.0
	v_fmac_f32_e32 v132, v134, v132
	v_div_scale_f32 v134, vcc_lo, 1.0, v130, 1.0
	s_delay_alu instid0(VALU_DEP_1) | instskip(NEXT) | instid1(VALU_DEP_1)
	v_mul_f32_e32 v135, v134, v132
	v_fma_f32 v136, -v131, v135, v134
	s_delay_alu instid0(VALU_DEP_1) | instskip(NEXT) | instid1(VALU_DEP_1)
	v_fmac_f32_e32 v135, v136, v132
	v_fma_f32 v131, -v131, v135, v134
	s_delay_alu instid0(VALU_DEP_1) | instskip(NEXT) | instid1(VALU_DEP_1)
	v_div_fmas_f32 v131, v131, v132, v135
	v_div_fixup_f32 v132, v131, v130, 1.0
	s_delay_alu instid0(VALU_DEP_1)
	v_mul_f32_e64 v133, v133, -v132
.LBB63_7:
	s_or_b32 exec_lo, exec_lo, s2
	ds_store_b64 v195, v[132:133]
.LBB63_8:
	s_or_b32 exec_lo, exec_lo, s4
	s_wait_loadcnt_dscnt 0x0
	s_barrier_signal -1
	s_barrier_wait -1
	ds_load_b64 v[130:131], v195
	s_and_saveexec_b32 s2, s1
	s_cbranch_execz .LBB63_10
; %bb.9:
	ds_load_2addr_b64 v[136:139], v196 offset0:1 offset1:2
	s_wait_dscnt 0x1
	v_pk_mul_f32 v[134:135], v[130:131], v[54:55] op_sel:[1,1] op_sel_hi:[0,1]
	s_delay_alu instid0(VALU_DEP_1) | instskip(SKIP_1) | instid1(VALU_DEP_1)
	v_pk_fma_f32 v[132:133], v[130:131], v[54:55], v[134:135] op_sel_hi:[1,0,1] neg_lo:[0,0,1] neg_hi:[0,0,1]
	v_pk_fma_f32 v[134:135], v[130:131], v[54:55], v[134:135] op_sel_hi:[1,0,1]
	v_dual_mov_b32 v54, v132 :: v_dual_mov_b32 v55, v135
	s_wait_dscnt 0x0
	s_delay_alu instid0(VALU_DEP_2) | instskip(NEXT) | instid1(VALU_DEP_1)
	v_pk_mul_f32 v[140:141], v[136:137], v[134:135] op_sel:[0,1]
	v_pk_fma_f32 v[142:143], v[136:137], v[132:133], v[140:141] op_sel:[0,0,1] op_sel_hi:[1,1,0] neg_lo:[0,0,1] neg_hi:[0,0,1]
	v_pk_fma_f32 v[136:137], v[136:137], v[132:133], v[140:141] op_sel:[0,0,1] op_sel_hi:[1,0,0]
	s_delay_alu instid0(VALU_DEP_1) | instskip(SKIP_1) | instid1(VALU_DEP_1)
	v_mov_b32_e32 v143, v137
	v_pk_mul_f32 v[136:137], v[138:139], v[134:135] op_sel:[0,1]
	v_pk_fma_f32 v[140:141], v[138:139], v[132:133], v[136:137] op_sel:[0,0,1] op_sel_hi:[1,1,0] neg_lo:[0,0,1] neg_hi:[0,0,1]
	v_pk_fma_f32 v[136:137], v[138:139], v[132:133], v[136:137] op_sel:[0,0,1] op_sel_hi:[1,0,0]
	s_delay_alu instid0(VALU_DEP_1)
	v_mov_b32_e32 v141, v137
	ds_load_2addr_b64 v[136:139], v196 offset0:3 offset1:4
	v_pk_add_f32 v[56:57], v[56:57], v[142:143] neg_lo:[0,1] neg_hi:[0,1]
	v_pk_add_f32 v[46:47], v[46:47], v[140:141] neg_lo:[0,1] neg_hi:[0,1]
	s_wait_dscnt 0x0
	v_pk_mul_f32 v[140:141], v[136:137], v[134:135] op_sel:[0,1]
	s_delay_alu instid0(VALU_DEP_1) | instskip(SKIP_2) | instid1(VALU_DEP_2)
	v_pk_fma_f32 v[142:143], v[136:137], v[132:133], v[140:141] op_sel:[0,0,1] op_sel_hi:[1,1,0] neg_lo:[0,0,1] neg_hi:[0,0,1]
	v_pk_fma_f32 v[136:137], v[136:137], v[132:133], v[140:141] op_sel:[0,0,1] op_sel_hi:[1,0,0]
	v_dual_mul_f32 v140, v139, v135 :: v_dual_mov_b32 v136, v139
	v_dual_mov_b32 v143, v137 :: v_dual_mov_b32 v137, v138
	s_delay_alu instid0(VALU_DEP_2) | instskip(SKIP_1) | instid1(VALU_DEP_3)
	v_pk_fma_f32 v[140:141], v[138:139], v[54:55], v[140:141] op_sel_hi:[1,1,0] neg_lo:[0,0,1] neg_hi:[0,0,1]
	v_mul_f32_e32 v138, v139, v132
	v_pk_add_f32 v[44:45], v[44:45], v[142:143] neg_lo:[0,1] neg_hi:[0,1]
	s_delay_alu instid0(VALU_DEP_2) | instskip(NEXT) | instid1(VALU_DEP_1)
	v_pk_fma_f32 v[136:137], v[136:137], v[54:55], v[138:139] op_sel_hi:[1,1,0]
	v_mov_b32_e32 v141, v137
	ds_load_2addr_b64 v[136:139], v196 offset0:5 offset1:6
	v_pk_add_f32 v[26:27], v[26:27], v[140:141] neg_lo:[0,1] neg_hi:[0,1]
	s_wait_dscnt 0x0
	v_pk_mul_f32 v[140:141], v[136:137], v[134:135] op_sel:[0,1]
	s_delay_alu instid0(VALU_DEP_1) | instskip(SKIP_1) | instid1(VALU_DEP_1)
	v_pk_fma_f32 v[142:143], v[136:137], v[132:133], v[140:141] op_sel:[0,0,1] op_sel_hi:[1,1,0] neg_lo:[0,0,1] neg_hi:[0,0,1]
	v_pk_fma_f32 v[136:137], v[136:137], v[132:133], v[140:141] op_sel:[0,0,1] op_sel_hi:[1,0,0]
	v_mov_b32_e32 v143, v137
	v_pk_mul_f32 v[136:137], v[138:139], v[134:135] op_sel:[0,1]
	s_delay_alu instid0(VALU_DEP_1) | instskip(SKIP_1) | instid1(VALU_DEP_1)
	v_pk_fma_f32 v[140:141], v[138:139], v[132:133], v[136:137] op_sel:[0,0,1] op_sel_hi:[1,1,0] neg_lo:[0,0,1] neg_hi:[0,0,1]
	v_pk_fma_f32 v[136:137], v[138:139], v[132:133], v[136:137] op_sel:[0,0,1] op_sel_hi:[1,0,0]
	v_mov_b32_e32 v141, v137
	ds_load_2addr_b64 v[136:139], v196 offset0:7 offset1:8
	v_pk_add_f32 v[22:23], v[22:23], v[142:143] neg_lo:[0,1] neg_hi:[0,1]
	v_pk_add_f32 v[24:25], v[24:25], v[140:141] neg_lo:[0,1] neg_hi:[0,1]
	s_wait_dscnt 0x0
	v_pk_mul_f32 v[140:141], v[136:137], v[134:135] op_sel:[0,1]
	s_delay_alu instid0(VALU_DEP_1) | instskip(SKIP_1) | instid1(VALU_DEP_1)
	v_pk_fma_f32 v[142:143], v[136:137], v[132:133], v[140:141] op_sel:[0,0,1] op_sel_hi:[1,1,0] neg_lo:[0,0,1] neg_hi:[0,0,1]
	v_pk_fma_f32 v[136:137], v[136:137], v[132:133], v[140:141] op_sel:[0,0,1] op_sel_hi:[1,0,0]
	v_mov_b32_e32 v143, v137
	v_pk_mul_f32 v[136:137], v[138:139], v[134:135] op_sel:[0,1]
	s_delay_alu instid0(VALU_DEP_1) | instskip(SKIP_1) | instid1(VALU_DEP_1)
	v_pk_fma_f32 v[140:141], v[138:139], v[132:133], v[136:137] op_sel:[0,0,1] op_sel_hi:[1,1,0] neg_lo:[0,0,1] neg_hi:[0,0,1]
	v_pk_fma_f32 v[136:137], v[138:139], v[132:133], v[136:137] op_sel:[0,0,1] op_sel_hi:[1,0,0]
	v_mov_b32_e32 v141, v137
	ds_load_2addr_b64 v[136:139], v196 offset0:9 offset1:10
	v_pk_add_f32 v[74:75], v[74:75], v[142:143] neg_lo:[0,1] neg_hi:[0,1]
	v_pk_add_f32 v[40:41], v[40:41], v[140:141] neg_lo:[0,1] neg_hi:[0,1]
	s_wait_dscnt 0x0
	v_dual_mul_f32 v140, v137, v135 :: v_dual_mul_f32 v142, v137, v132
	s_delay_alu instid0(VALU_DEP_1) | instskip(NEXT) | instid1(VALU_DEP_2)
	v_pk_fma_f32 v[140:141], v[136:137], v[54:55], v[140:141] op_sel_hi:[1,1,0] neg_lo:[0,0,1] neg_hi:[0,0,1]
	v_pk_fma_f32 v[136:137], v[136:137], v[54:55], v[142:143] op_sel:[1,0,0] op_sel_hi:[0,1,0]
	s_delay_alu instid0(VALU_DEP_1) | instskip(SKIP_1) | instid1(VALU_DEP_2)
	v_mov_b32_e32 v141, v137
	v_pk_mul_f32 v[136:137], v[138:139], v[134:135] op_sel:[0,1]
	v_pk_add_f32 v[36:37], v[36:37], v[140:141] neg_lo:[0,1] neg_hi:[0,1]
	s_delay_alu instid0(VALU_DEP_2) | instskip(SKIP_1) | instid1(VALU_DEP_1)
	v_pk_fma_f32 v[140:141], v[138:139], v[132:133], v[136:137] op_sel:[0,0,1] op_sel_hi:[1,1,0] neg_lo:[0,0,1] neg_hi:[0,0,1]
	v_pk_fma_f32 v[136:137], v[138:139], v[132:133], v[136:137] op_sel:[0,0,1] op_sel_hi:[1,0,0]
	v_mov_b32_e32 v141, v137
	ds_load_2addr_b64 v[136:139], v196 offset0:11 offset1:12
	v_pk_add_f32 v[38:39], v[38:39], v[140:141] neg_lo:[0,1] neg_hi:[0,1]
	s_wait_dscnt 0x0
	v_pk_mul_f32 v[140:141], v[136:137], v[134:135] op_sel:[0,1]
	s_delay_alu instid0(VALU_DEP_1) | instskip(SKIP_1) | instid1(VALU_DEP_1)
	v_pk_fma_f32 v[142:143], v[136:137], v[132:133], v[140:141] op_sel:[0,0,1] op_sel_hi:[1,1,0] neg_lo:[0,0,1] neg_hi:[0,0,1]
	v_pk_fma_f32 v[136:137], v[136:137], v[132:133], v[140:141] op_sel:[0,0,1] op_sel_hi:[1,0,0]
	v_mov_b32_e32 v143, v137
	v_pk_mul_f32 v[136:137], v[138:139], v[134:135] op_sel:[0,1]
	s_delay_alu instid0(VALU_DEP_2) | instskip(NEXT) | instid1(VALU_DEP_2)
	v_pk_add_f32 v[34:35], v[34:35], v[142:143] neg_lo:[0,1] neg_hi:[0,1]
	v_pk_fma_f32 v[140:141], v[138:139], v[132:133], v[136:137] op_sel:[0,0,1] op_sel_hi:[1,1,0] neg_lo:[0,0,1] neg_hi:[0,0,1]
	v_pk_fma_f32 v[136:137], v[138:139], v[132:133], v[136:137] op_sel:[0,0,1] op_sel_hi:[1,0,0]
	s_delay_alu instid0(VALU_DEP_1) | instskip(SKIP_4) | instid1(VALU_DEP_1)
	v_mov_b32_e32 v141, v137
	ds_load_2addr_b64 v[136:139], v196 offset0:13 offset1:14
	v_pk_add_f32 v[64:65], v[64:65], v[140:141] neg_lo:[0,1] neg_hi:[0,1]
	s_wait_dscnt 0x0
	v_pk_mul_f32 v[140:141], v[136:137], v[134:135] op_sel:[0,1]
	v_pk_fma_f32 v[142:143], v[136:137], v[132:133], v[140:141] op_sel:[0,0,1] op_sel_hi:[1,1,0] neg_lo:[0,0,1] neg_hi:[0,0,1]
	v_pk_fma_f32 v[136:137], v[136:137], v[132:133], v[140:141] op_sel:[0,0,1] op_sel_hi:[1,0,0]
	v_dual_mul_f32 v140, v139, v135 :: v_dual_mov_b32 v136, v139
	s_delay_alu instid0(VALU_DEP_2) | instskip(NEXT) | instid1(VALU_DEP_2)
	v_dual_mov_b32 v143, v137 :: v_dual_mov_b32 v137, v138
	v_pk_fma_f32 v[140:141], v[138:139], v[54:55], v[140:141] op_sel_hi:[1,1,0] neg_lo:[0,0,1] neg_hi:[0,0,1]
	v_mul_f32_e32 v138, v139, v132
	s_delay_alu instid0(VALU_DEP_3) | instskip(NEXT) | instid1(VALU_DEP_2)
	v_pk_add_f32 v[60:61], v[60:61], v[142:143] neg_lo:[0,1] neg_hi:[0,1]
	v_pk_fma_f32 v[136:137], v[136:137], v[54:55], v[138:139] op_sel_hi:[1,1,0]
	s_delay_alu instid0(VALU_DEP_1) | instskip(SKIP_4) | instid1(VALU_DEP_1)
	v_mov_b32_e32 v141, v137
	ds_load_2addr_b64 v[136:139], v196 offset0:15 offset1:16
	v_pk_add_f32 v[62:63], v[62:63], v[140:141] neg_lo:[0,1] neg_hi:[0,1]
	s_wait_dscnt 0x0
	v_pk_mul_f32 v[140:141], v[136:137], v[134:135] op_sel:[0,1]
	v_pk_fma_f32 v[142:143], v[136:137], v[132:133], v[140:141] op_sel:[0,0,1] op_sel_hi:[1,1,0] neg_lo:[0,0,1] neg_hi:[0,0,1]
	v_pk_fma_f32 v[136:137], v[136:137], v[132:133], v[140:141] op_sel:[0,0,1] op_sel_hi:[1,0,0]
	s_delay_alu instid0(VALU_DEP_1) | instskip(SKIP_1) | instid1(VALU_DEP_1)
	v_mov_b32_e32 v143, v137
	v_pk_mul_f32 v[136:137], v[138:139], v[134:135] op_sel:[0,1]
	v_pk_fma_f32 v[140:141], v[138:139], v[132:133], v[136:137] op_sel:[0,0,1] op_sel_hi:[1,1,0] neg_lo:[0,0,1] neg_hi:[0,0,1]
	v_pk_fma_f32 v[136:137], v[138:139], v[132:133], v[136:137] op_sel:[0,0,1] op_sel_hi:[1,0,0]
	s_delay_alu instid0(VALU_DEP_1)
	v_mov_b32_e32 v141, v137
	ds_load_2addr_b64 v[136:139], v196 offset0:17 offset1:18
	v_pk_add_f32 v[58:59], v[58:59], v[142:143] neg_lo:[0,1] neg_hi:[0,1]
	v_pk_add_f32 v[82:83], v[82:83], v[140:141] neg_lo:[0,1] neg_hi:[0,1]
	s_wait_dscnt 0x0
	v_pk_mul_f32 v[140:141], v[136:137], v[134:135] op_sel:[0,1]
	s_delay_alu instid0(VALU_DEP_1) | instskip(SKIP_1) | instid1(VALU_DEP_1)
	v_pk_fma_f32 v[142:143], v[136:137], v[132:133], v[140:141] op_sel:[0,0,1] op_sel_hi:[1,1,0] neg_lo:[0,0,1] neg_hi:[0,0,1]
	v_pk_fma_f32 v[136:137], v[136:137], v[132:133], v[140:141] op_sel:[0,0,1] op_sel_hi:[1,0,0]
	v_mov_b32_e32 v143, v137
	v_pk_mul_f32 v[136:137], v[138:139], v[134:135] op_sel:[0,1]
	s_delay_alu instid0(VALU_DEP_1) | instskip(SKIP_1) | instid1(VALU_DEP_1)
	v_pk_fma_f32 v[140:141], v[138:139], v[132:133], v[136:137] op_sel:[0,0,1] op_sel_hi:[1,1,0] neg_lo:[0,0,1] neg_hi:[0,0,1]
	v_pk_fma_f32 v[136:137], v[138:139], v[132:133], v[136:137] op_sel:[0,0,1] op_sel_hi:[1,0,0]
	v_mov_b32_e32 v141, v137
	ds_load_2addr_b64 v[136:139], v196 offset0:19 offset1:20
	v_pk_add_f32 v[78:79], v[78:79], v[142:143] neg_lo:[0,1] neg_hi:[0,1]
	v_pk_add_f32 v[80:81], v[80:81], v[140:141] neg_lo:[0,1] neg_hi:[0,1]
	s_wait_dscnt 0x0
	v_dual_mul_f32 v140, v137, v135 :: v_dual_mul_f32 v142, v137, v132
	s_delay_alu instid0(VALU_DEP_1) | instskip(NEXT) | instid1(VALU_DEP_2)
	v_pk_fma_f32 v[140:141], v[136:137], v[54:55], v[140:141] op_sel_hi:[1,1,0] neg_lo:[0,0,1] neg_hi:[0,0,1]
	v_pk_fma_f32 v[136:137], v[136:137], v[54:55], v[142:143] op_sel:[1,0,0] op_sel_hi:[0,1,0]
	s_delay_alu instid0(VALU_DEP_1) | instskip(SKIP_1) | instid1(VALU_DEP_2)
	v_mov_b32_e32 v141, v137
	v_pk_mul_f32 v[136:137], v[138:139], v[134:135] op_sel:[0,1]
	v_pk_add_f32 v[76:77], v[76:77], v[140:141] neg_lo:[0,1] neg_hi:[0,1]
	s_delay_alu instid0(VALU_DEP_2) | instskip(SKIP_1) | instid1(VALU_DEP_1)
	v_pk_fma_f32 v[140:141], v[138:139], v[132:133], v[136:137] op_sel:[0,0,1] op_sel_hi:[1,1,0] neg_lo:[0,0,1] neg_hi:[0,0,1]
	v_pk_fma_f32 v[136:137], v[138:139], v[132:133], v[136:137] op_sel:[0,0,1] op_sel_hi:[1,0,0]
	v_mov_b32_e32 v141, v137
	ds_load_2addr_b64 v[136:139], v196 offset0:21 offset1:22
	v_pk_add_f32 v[102:103], v[102:103], v[140:141] neg_lo:[0,1] neg_hi:[0,1]
	s_wait_dscnt 0x0
	v_pk_mul_f32 v[140:141], v[136:137], v[134:135] op_sel:[0,1]
	s_delay_alu instid0(VALU_DEP_1) | instskip(SKIP_1) | instid1(VALU_DEP_1)
	v_pk_fma_f32 v[142:143], v[136:137], v[132:133], v[140:141] op_sel:[0,0,1] op_sel_hi:[1,1,0] neg_lo:[0,0,1] neg_hi:[0,0,1]
	v_pk_fma_f32 v[136:137], v[136:137], v[132:133], v[140:141] op_sel:[0,0,1] op_sel_hi:[1,0,0]
	v_mov_b32_e32 v143, v137
	v_pk_mul_f32 v[136:137], v[138:139], v[134:135] op_sel:[0,1]
	s_delay_alu instid0(VALU_DEP_2) | instskip(NEXT) | instid1(VALU_DEP_2)
	v_pk_add_f32 v[98:99], v[98:99], v[142:143] neg_lo:[0,1] neg_hi:[0,1]
	v_pk_fma_f32 v[140:141], v[138:139], v[132:133], v[136:137] op_sel:[0,0,1] op_sel_hi:[1,1,0] neg_lo:[0,0,1] neg_hi:[0,0,1]
	v_pk_fma_f32 v[136:137], v[138:139], v[132:133], v[136:137] op_sel:[0,0,1] op_sel_hi:[1,0,0]
	s_delay_alu instid0(VALU_DEP_1) | instskip(SKIP_4) | instid1(VALU_DEP_1)
	v_mov_b32_e32 v141, v137
	ds_load_2addr_b64 v[136:139], v196 offset0:23 offset1:24
	v_pk_add_f32 v[100:101], v[100:101], v[140:141] neg_lo:[0,1] neg_hi:[0,1]
	s_wait_dscnt 0x0
	v_pk_mul_f32 v[140:141], v[136:137], v[134:135] op_sel:[0,1]
	v_pk_fma_f32 v[142:143], v[136:137], v[132:133], v[140:141] op_sel:[0,0,1] op_sel_hi:[1,1,0] neg_lo:[0,0,1] neg_hi:[0,0,1]
	v_pk_fma_f32 v[136:137], v[136:137], v[132:133], v[140:141] op_sel:[0,0,1] op_sel_hi:[1,0,0]
	v_dual_mul_f32 v140, v139, v135 :: v_dual_mov_b32 v136, v139
	s_delay_alu instid0(VALU_DEP_2) | instskip(NEXT) | instid1(VALU_DEP_2)
	v_dual_mov_b32 v143, v137 :: v_dual_mov_b32 v137, v138
	v_pk_fma_f32 v[140:141], v[138:139], v[54:55], v[140:141] op_sel_hi:[1,1,0] neg_lo:[0,0,1] neg_hi:[0,0,1]
	v_mul_f32_e32 v138, v139, v132
	s_delay_alu instid0(VALU_DEP_3) | instskip(NEXT) | instid1(VALU_DEP_2)
	v_pk_add_f32 v[96:97], v[96:97], v[142:143] neg_lo:[0,1] neg_hi:[0,1]
	v_pk_fma_f32 v[136:137], v[136:137], v[54:55], v[138:139] op_sel_hi:[1,1,0]
	s_delay_alu instid0(VALU_DEP_1) | instskip(SKIP_4) | instid1(VALU_DEP_1)
	v_mov_b32_e32 v141, v137
	ds_load_2addr_b64 v[136:139], v196 offset0:25 offset1:26
	v_pk_add_f32 v[120:121], v[120:121], v[140:141] neg_lo:[0,1] neg_hi:[0,1]
	s_wait_dscnt 0x0
	v_pk_mul_f32 v[140:141], v[136:137], v[134:135] op_sel:[0,1]
	v_pk_fma_f32 v[142:143], v[136:137], v[132:133], v[140:141] op_sel:[0,0,1] op_sel_hi:[1,1,0] neg_lo:[0,0,1] neg_hi:[0,0,1]
	v_pk_fma_f32 v[136:137], v[136:137], v[132:133], v[140:141] op_sel:[0,0,1] op_sel_hi:[1,0,0]
	s_delay_alu instid0(VALU_DEP_1) | instskip(SKIP_1) | instid1(VALU_DEP_1)
	v_mov_b32_e32 v143, v137
	v_pk_mul_f32 v[136:137], v[138:139], v[134:135] op_sel:[0,1]
	v_pk_fma_f32 v[140:141], v[138:139], v[132:133], v[136:137] op_sel:[0,0,1] op_sel_hi:[1,1,0] neg_lo:[0,0,1] neg_hi:[0,0,1]
	v_pk_fma_f32 v[136:137], v[138:139], v[132:133], v[136:137] op_sel:[0,0,1] op_sel_hi:[1,0,0]
	s_delay_alu instid0(VALU_DEP_1)
	v_mov_b32_e32 v141, v137
	ds_load_2addr_b64 v[136:139], v196 offset0:27 offset1:28
	v_pk_add_f32 v[116:117], v[116:117], v[142:143] neg_lo:[0,1] neg_hi:[0,1]
	v_pk_add_f32 v[118:119], v[118:119], v[140:141] neg_lo:[0,1] neg_hi:[0,1]
	s_wait_dscnt 0x0
	v_pk_mul_f32 v[140:141], v[136:137], v[134:135] op_sel:[0,1]
	s_delay_alu instid0(VALU_DEP_1) | instskip(SKIP_1) | instid1(VALU_DEP_1)
	v_pk_fma_f32 v[142:143], v[136:137], v[132:133], v[140:141] op_sel:[0,0,1] op_sel_hi:[1,1,0] neg_lo:[0,0,1] neg_hi:[0,0,1]
	v_pk_fma_f32 v[136:137], v[136:137], v[132:133], v[140:141] op_sel:[0,0,1] op_sel_hi:[1,0,0]
	v_mov_b32_e32 v143, v137
	v_pk_mul_f32 v[136:137], v[138:139], v[134:135] op_sel:[0,1]
	s_delay_alu instid0(VALU_DEP_1) | instskip(SKIP_1) | instid1(VALU_DEP_1)
	v_pk_fma_f32 v[140:141], v[138:139], v[132:133], v[136:137] op_sel:[0,0,1] op_sel_hi:[1,1,0] neg_lo:[0,0,1] neg_hi:[0,0,1]
	v_pk_fma_f32 v[136:137], v[138:139], v[132:133], v[136:137] op_sel:[0,0,1] op_sel_hi:[1,0,0]
	v_mov_b32_e32 v141, v137
	ds_load_2addr_b64 v[136:139], v196 offset0:29 offset1:30
	v_pk_add_f32 v[114:115], v[114:115], v[142:143] neg_lo:[0,1] neg_hi:[0,1]
	v_pk_add_f32 v[126:127], v[126:127], v[140:141] neg_lo:[0,1] neg_hi:[0,1]
	s_wait_dscnt 0x0
	v_dual_mul_f32 v140, v137, v135 :: v_dual_mul_f32 v142, v137, v132
	s_delay_alu instid0(VALU_DEP_1) | instskip(NEXT) | instid1(VALU_DEP_2)
	v_pk_fma_f32 v[140:141], v[136:137], v[54:55], v[140:141] op_sel_hi:[1,1,0] neg_lo:[0,0,1] neg_hi:[0,0,1]
	v_pk_fma_f32 v[136:137], v[136:137], v[54:55], v[142:143] op_sel:[1,0,0] op_sel_hi:[0,1,0]
	s_delay_alu instid0(VALU_DEP_1) | instskip(SKIP_1) | instid1(VALU_DEP_2)
	v_mov_b32_e32 v141, v137
	v_pk_mul_f32 v[136:137], v[138:139], v[134:135] op_sel:[0,1]
	v_pk_add_f32 v[124:125], v[124:125], v[140:141] neg_lo:[0,1] neg_hi:[0,1]
	s_delay_alu instid0(VALU_DEP_2) | instskip(SKIP_1) | instid1(VALU_DEP_1)
	v_pk_fma_f32 v[140:141], v[138:139], v[132:133], v[136:137] op_sel:[0,0,1] op_sel_hi:[1,1,0] neg_lo:[0,0,1] neg_hi:[0,0,1]
	v_pk_fma_f32 v[136:137], v[138:139], v[132:133], v[136:137] op_sel:[0,0,1] op_sel_hi:[1,0,0]
	v_mov_b32_e32 v141, v137
	ds_load_b64 v[136:137], v196 offset:248
	v_pk_add_f32 v[122:123], v[122:123], v[140:141] neg_lo:[0,1] neg_hi:[0,1]
	s_wait_dscnt 0x0
	v_pk_mul_f32 v[134:135], v[136:137], v[134:135] op_sel:[0,1]
	s_delay_alu instid0(VALU_DEP_1) | instskip(SKIP_1) | instid1(VALU_DEP_1)
	v_pk_fma_f32 v[138:139], v[136:137], v[132:133], v[134:135] op_sel:[0,0,1] op_sel_hi:[1,1,0] neg_lo:[0,0,1] neg_hi:[0,0,1]
	v_pk_fma_f32 v[132:133], v[136:137], v[132:133], v[134:135] op_sel:[0,0,1] op_sel_hi:[1,0,0]
	v_mov_b32_e32 v139, v133
	s_delay_alu instid0(VALU_DEP_1)
	v_pk_add_f32 v[128:129], v[128:129], v[138:139] neg_lo:[0,1] neg_hi:[0,1]
.LBB63_10:
	s_or_b32 exec_lo, exec_lo, s2
	s_delay_alu instid0(SALU_CYCLE_1)
	s_mov_b32 s2, exec_lo
	s_wait_dscnt 0x0
	s_barrier_signal -1
	s_barrier_wait -1
	v_cmpx_eq_u32_e32 1, v194
	s_cbranch_execz .LBB63_17
; %bb.11:
	v_dual_mov_b32 v132, v46 :: v_dual_mov_b32 v133, v47
	v_dual_mov_b32 v134, v44 :: v_dual_mov_b32 v135, v45
	;; [unrolled: 1-line block ×8, first 2 shown]
	ds_store_b64 v195, v[56:57]
	ds_store_2addr_b64 v196, v[132:133], v[134:135] offset0:2 offset1:3
	ds_store_2addr_b64 v196, v[136:137], v[138:139] offset0:4 offset1:5
	;; [unrolled: 1-line block ×4, first 2 shown]
	v_dual_mov_b32 v132, v38 :: v_dual_mov_b32 v133, v39
	v_dual_mov_b32 v134, v34 :: v_dual_mov_b32 v135, v35
	v_dual_mov_b32 v136, v64 :: v_dual_mov_b32 v137, v65
	v_dual_mov_b32 v138, v60 :: v_dual_mov_b32 v139, v61
	v_dual_mov_b32 v140, v62 :: v_dual_mov_b32 v141, v63
	v_dual_mov_b32 v142, v58 :: v_dual_mov_b32 v143, v59
	v_dual_mov_b32 v144, v82 :: v_dual_mov_b32 v145, v83
	v_dual_mov_b32 v146, v78 :: v_dual_mov_b32 v147, v79
	v_dual_mov_b32 v148, v80 :: v_dual_mov_b32 v149, v81
	v_dual_mov_b32 v150, v76 :: v_dual_mov_b32 v151, v77
	v_dual_mov_b32 v152, v102 :: v_dual_mov_b32 v153, v103
	v_dual_mov_b32 v154, v98 :: v_dual_mov_b32 v155, v99
	ds_store_2addr_b64 v196, v[132:133], v[134:135] offset0:10 offset1:11
	ds_store_2addr_b64 v196, v[136:137], v[138:139] offset0:12 offset1:13
	;; [unrolled: 1-line block ×6, first 2 shown]
	v_dual_mov_b32 v132, v100 :: v_dual_mov_b32 v133, v101
	v_dual_mov_b32 v134, v96 :: v_dual_mov_b32 v135, v97
	v_dual_mov_b32 v136, v120 :: v_dual_mov_b32 v137, v121
	v_dual_mov_b32 v138, v116 :: v_dual_mov_b32 v139, v117
	v_dual_mov_b32 v140, v118 :: v_dual_mov_b32 v141, v119
	v_dual_mov_b32 v142, v114 :: v_dual_mov_b32 v143, v115
	v_dual_mov_b32 v144, v126 :: v_dual_mov_b32 v145, v127
	v_dual_mov_b32 v146, v124 :: v_dual_mov_b32 v147, v125
	v_dual_mov_b32 v148, v122 :: v_dual_mov_b32 v149, v123
	ds_store_2addr_b64 v196, v[132:133], v[134:135] offset0:22 offset1:23
	ds_store_2addr_b64 v196, v[136:137], v[138:139] offset0:24 offset1:25
	ds_store_2addr_b64 v196, v[140:141], v[142:143] offset0:26 offset1:27
	ds_store_2addr_b64 v196, v[144:145], v[146:147] offset0:28 offset1:29
	ds_store_2addr_b64 v196, v[148:149], v[128:129] offset0:30 offset1:31
	ds_load_b64 v[132:133], v195
	s_wait_dscnt 0x0
	v_cmp_neq_f32_e32 vcc_lo, 0, v132
	v_cmp_neq_f32_e64 s1, 0, v133
	s_or_b32 s1, vcc_lo, s1
	s_delay_alu instid0(SALU_CYCLE_1)
	s_and_b32 exec_lo, exec_lo, s1
	s_cbranch_execz .LBB63_17
; %bb.12:
	v_cmp_ngt_f32_e64 s1, |v132|, |v133|
                                        ; implicit-def: $vgpr134_vgpr135
	s_and_saveexec_b32 s4, s1
	s_delay_alu instid0(SALU_CYCLE_1)
	s_xor_b32 s1, exec_lo, s4
	s_cbranch_execz .LBB63_14
; %bb.13:
	v_div_scale_f32 v134, null, v133, v133, v132
	v_div_scale_f32 v137, vcc_lo, v132, v133, v132
	s_delay_alu instid0(VALU_DEP_2) | instskip(SKIP_1) | instid1(TRANS32_DEP_1)
	v_rcp_f32_e32 v135, v134
	v_nop
	v_fma_f32 v136, -v134, v135, 1.0
	s_delay_alu instid0(VALU_DEP_1) | instskip(NEXT) | instid1(VALU_DEP_1)
	v_fmac_f32_e32 v135, v136, v135
	v_mul_f32_e32 v136, v137, v135
	s_delay_alu instid0(VALU_DEP_1) | instskip(NEXT) | instid1(VALU_DEP_1)
	v_fma_f32 v138, -v134, v136, v137
	v_fmac_f32_e32 v136, v138, v135
	s_delay_alu instid0(VALU_DEP_1) | instskip(NEXT) | instid1(VALU_DEP_1)
	v_fma_f32 v134, -v134, v136, v137
	v_div_fmas_f32 v134, v134, v135, v136
	s_delay_alu instid0(VALU_DEP_1) | instskip(NEXT) | instid1(VALU_DEP_1)
	v_div_fixup_f32 v134, v134, v133, v132
	v_fmac_f32_e32 v133, v132, v134
	s_delay_alu instid0(VALU_DEP_1) | instskip(SKIP_1) | instid1(VALU_DEP_2)
	v_div_scale_f32 v132, null, v133, v133, 1.0
	v_div_scale_f32 v137, vcc_lo, 1.0, v133, 1.0
	v_rcp_f32_e32 v135, v132
	v_nop
	s_delay_alu instid0(TRANS32_DEP_1) | instskip(NEXT) | instid1(VALU_DEP_1)
	v_fma_f32 v136, -v132, v135, 1.0
	v_fmac_f32_e32 v135, v136, v135
	s_delay_alu instid0(VALU_DEP_1) | instskip(NEXT) | instid1(VALU_DEP_1)
	v_mul_f32_e32 v136, v137, v135
	v_fma_f32 v138, -v132, v136, v137
	s_delay_alu instid0(VALU_DEP_1) | instskip(NEXT) | instid1(VALU_DEP_1)
	v_fmac_f32_e32 v136, v138, v135
	v_fma_f32 v132, -v132, v136, v137
	s_delay_alu instid0(VALU_DEP_1) | instskip(NEXT) | instid1(VALU_DEP_1)
	v_div_fmas_f32 v132, v132, v135, v136
	v_div_fixup_f32 v132, v132, v133, 1.0
	s_delay_alu instid0(VALU_DEP_1)
	v_mul_f32_e32 v134, v134, v132
	v_xor_b32_e32 v135, 0x80000000, v132
                                        ; implicit-def: $vgpr132_vgpr133
.LBB63_14:
	s_and_not1_saveexec_b32 s1, s1
	s_cbranch_execz .LBB63_16
; %bb.15:
	v_div_scale_f32 v134, null, v132, v132, v133
	v_div_scale_f32 v137, vcc_lo, v133, v132, v133
	s_delay_alu instid0(VALU_DEP_2) | instskip(SKIP_1) | instid1(TRANS32_DEP_1)
	v_rcp_f32_e32 v135, v134
	v_nop
	v_fma_f32 v136, -v134, v135, 1.0
	s_delay_alu instid0(VALU_DEP_1) | instskip(NEXT) | instid1(VALU_DEP_1)
	v_fmac_f32_e32 v135, v136, v135
	v_mul_f32_e32 v136, v137, v135
	s_delay_alu instid0(VALU_DEP_1) | instskip(NEXT) | instid1(VALU_DEP_1)
	v_fma_f32 v138, -v134, v136, v137
	v_fmac_f32_e32 v136, v138, v135
	s_delay_alu instid0(VALU_DEP_1) | instskip(NEXT) | instid1(VALU_DEP_1)
	v_fma_f32 v134, -v134, v136, v137
	v_div_fmas_f32 v134, v134, v135, v136
	s_delay_alu instid0(VALU_DEP_1) | instskip(NEXT) | instid1(VALU_DEP_1)
	v_div_fixup_f32 v135, v134, v132, v133
	v_fmac_f32_e32 v132, v133, v135
	s_delay_alu instid0(VALU_DEP_1) | instskip(NEXT) | instid1(VALU_DEP_1)
	v_div_scale_f32 v133, null, v132, v132, 1.0
	v_rcp_f32_e32 v134, v133
	v_nop
	s_delay_alu instid0(TRANS32_DEP_1) | instskip(NEXT) | instid1(VALU_DEP_1)
	v_fma_f32 v136, -v133, v134, 1.0
	v_fmac_f32_e32 v134, v136, v134
	v_div_scale_f32 v136, vcc_lo, 1.0, v132, 1.0
	s_delay_alu instid0(VALU_DEP_1) | instskip(NEXT) | instid1(VALU_DEP_1)
	v_mul_f32_e32 v137, v136, v134
	v_fma_f32 v138, -v133, v137, v136
	s_delay_alu instid0(VALU_DEP_1) | instskip(NEXT) | instid1(VALU_DEP_1)
	v_fmac_f32_e32 v137, v138, v134
	v_fma_f32 v133, -v133, v137, v136
	s_delay_alu instid0(VALU_DEP_1) | instskip(NEXT) | instid1(VALU_DEP_1)
	v_div_fmas_f32 v133, v133, v134, v137
	v_div_fixup_f32 v134, v133, v132, 1.0
	s_delay_alu instid0(VALU_DEP_1)
	v_mul_f32_e64 v135, v135, -v134
.LBB63_16:
	s_or_b32 exec_lo, exec_lo, s1
	ds_store_b64 v195, v[134:135]
.LBB63_17:
	s_or_b32 exec_lo, exec_lo, s2
	s_wait_dscnt 0x0
	s_barrier_signal -1
	s_barrier_wait -1
	ds_load_b64 v[132:133], v195
	s_mov_b32 s1, exec_lo
	v_cmpx_lt_u32_e32 1, v194
	s_cbranch_execz .LBB63_19
; %bb.18:
	ds_load_2addr_b64 v[138:141], v196 offset0:2 offset1:3
	s_wait_dscnt 0x1
	v_pk_mul_f32 v[136:137], v[132:133], v[56:57] op_sel:[1,1] op_sel_hi:[0,1]
	s_delay_alu instid0(VALU_DEP_1) | instskip(SKIP_1) | instid1(VALU_DEP_1)
	v_pk_fma_f32 v[134:135], v[132:133], v[56:57], v[136:137] op_sel_hi:[1,0,1] neg_lo:[0,0,1] neg_hi:[0,0,1]
	v_pk_fma_f32 v[136:137], v[132:133], v[56:57], v[136:137] op_sel_hi:[1,0,1]
	v_dual_mov_b32 v56, v134 :: v_dual_mov_b32 v57, v137
	s_wait_dscnt 0x0
	s_delay_alu instid0(VALU_DEP_2) | instskip(NEXT) | instid1(VALU_DEP_1)
	v_pk_mul_f32 v[142:143], v[138:139], v[136:137] op_sel:[0,1]
	v_pk_fma_f32 v[144:145], v[138:139], v[134:135], v[142:143] op_sel:[0,0,1] op_sel_hi:[1,1,0] neg_lo:[0,0,1] neg_hi:[0,0,1]
	v_pk_fma_f32 v[138:139], v[138:139], v[134:135], v[142:143] op_sel:[0,0,1] op_sel_hi:[1,0,0]
	s_delay_alu instid0(VALU_DEP_1) | instskip(SKIP_1) | instid1(VALU_DEP_1)
	v_mov_b32_e32 v145, v139
	v_pk_mul_f32 v[138:139], v[140:141], v[136:137] op_sel:[0,1]
	v_pk_fma_f32 v[142:143], v[140:141], v[134:135], v[138:139] op_sel:[0,0,1] op_sel_hi:[1,1,0] neg_lo:[0,0,1] neg_hi:[0,0,1]
	v_pk_fma_f32 v[138:139], v[140:141], v[134:135], v[138:139] op_sel:[0,0,1] op_sel_hi:[1,0,0]
	s_delay_alu instid0(VALU_DEP_1)
	v_mov_b32_e32 v143, v139
	ds_load_2addr_b64 v[138:141], v196 offset0:4 offset1:5
	v_pk_add_f32 v[46:47], v[46:47], v[144:145] neg_lo:[0,1] neg_hi:[0,1]
	v_pk_add_f32 v[44:45], v[44:45], v[142:143] neg_lo:[0,1] neg_hi:[0,1]
	s_wait_dscnt 0x0
	v_pk_mul_f32 v[142:143], v[138:139], v[136:137] op_sel:[0,1]
	s_delay_alu instid0(VALU_DEP_1) | instskip(SKIP_2) | instid1(VALU_DEP_2)
	v_pk_fma_f32 v[144:145], v[138:139], v[134:135], v[142:143] op_sel:[0,0,1] op_sel_hi:[1,1,0] neg_lo:[0,0,1] neg_hi:[0,0,1]
	v_pk_fma_f32 v[138:139], v[138:139], v[134:135], v[142:143] op_sel:[0,0,1] op_sel_hi:[1,0,0]
	v_dual_mul_f32 v142, v141, v137 :: v_dual_mov_b32 v138, v141
	v_dual_mov_b32 v145, v139 :: v_dual_mov_b32 v139, v140
	s_delay_alu instid0(VALU_DEP_2) | instskip(SKIP_1) | instid1(VALU_DEP_3)
	v_pk_fma_f32 v[142:143], v[140:141], v[56:57], v[142:143] op_sel_hi:[1,1,0] neg_lo:[0,0,1] neg_hi:[0,0,1]
	v_mul_f32_e32 v140, v141, v134
	v_pk_add_f32 v[26:27], v[26:27], v[144:145] neg_lo:[0,1] neg_hi:[0,1]
	s_delay_alu instid0(VALU_DEP_2) | instskip(NEXT) | instid1(VALU_DEP_1)
	v_pk_fma_f32 v[138:139], v[138:139], v[56:57], v[140:141] op_sel_hi:[1,1,0]
	v_mov_b32_e32 v143, v139
	ds_load_2addr_b64 v[138:141], v196 offset0:6 offset1:7
	v_pk_add_f32 v[22:23], v[22:23], v[142:143] neg_lo:[0,1] neg_hi:[0,1]
	s_wait_dscnt 0x0
	v_pk_mul_f32 v[142:143], v[138:139], v[136:137] op_sel:[0,1]
	s_delay_alu instid0(VALU_DEP_1) | instskip(SKIP_1) | instid1(VALU_DEP_1)
	v_pk_fma_f32 v[144:145], v[138:139], v[134:135], v[142:143] op_sel:[0,0,1] op_sel_hi:[1,1,0] neg_lo:[0,0,1] neg_hi:[0,0,1]
	v_pk_fma_f32 v[138:139], v[138:139], v[134:135], v[142:143] op_sel:[0,0,1] op_sel_hi:[1,0,0]
	v_mov_b32_e32 v145, v139
	v_pk_mul_f32 v[138:139], v[140:141], v[136:137] op_sel:[0,1]
	s_delay_alu instid0(VALU_DEP_1) | instskip(SKIP_1) | instid1(VALU_DEP_1)
	v_pk_fma_f32 v[142:143], v[140:141], v[134:135], v[138:139] op_sel:[0,0,1] op_sel_hi:[1,1,0] neg_lo:[0,0,1] neg_hi:[0,0,1]
	v_pk_fma_f32 v[138:139], v[140:141], v[134:135], v[138:139] op_sel:[0,0,1] op_sel_hi:[1,0,0]
	v_mov_b32_e32 v143, v139
	ds_load_2addr_b64 v[138:141], v196 offset0:8 offset1:9
	v_pk_add_f32 v[24:25], v[24:25], v[144:145] neg_lo:[0,1] neg_hi:[0,1]
	v_pk_add_f32 v[74:75], v[74:75], v[142:143] neg_lo:[0,1] neg_hi:[0,1]
	s_wait_dscnt 0x0
	v_pk_mul_f32 v[142:143], v[138:139], v[136:137] op_sel:[0,1]
	s_delay_alu instid0(VALU_DEP_1) | instskip(SKIP_1) | instid1(VALU_DEP_1)
	v_pk_fma_f32 v[144:145], v[138:139], v[134:135], v[142:143] op_sel:[0,0,1] op_sel_hi:[1,1,0] neg_lo:[0,0,1] neg_hi:[0,0,1]
	v_pk_fma_f32 v[138:139], v[138:139], v[134:135], v[142:143] op_sel:[0,0,1] op_sel_hi:[1,0,0]
	v_mov_b32_e32 v145, v139
	v_pk_mul_f32 v[138:139], v[140:141], v[136:137] op_sel:[0,1]
	s_delay_alu instid0(VALU_DEP_1) | instskip(SKIP_1) | instid1(VALU_DEP_1)
	v_pk_fma_f32 v[142:143], v[140:141], v[134:135], v[138:139] op_sel:[0,0,1] op_sel_hi:[1,1,0] neg_lo:[0,0,1] neg_hi:[0,0,1]
	v_pk_fma_f32 v[138:139], v[140:141], v[134:135], v[138:139] op_sel:[0,0,1] op_sel_hi:[1,0,0]
	v_mov_b32_e32 v143, v139
	ds_load_2addr_b64 v[138:141], v196 offset0:10 offset1:11
	v_pk_add_f32 v[40:41], v[40:41], v[144:145] neg_lo:[0,1] neg_hi:[0,1]
	v_pk_add_f32 v[36:37], v[36:37], v[142:143] neg_lo:[0,1] neg_hi:[0,1]
	s_wait_dscnt 0x0
	v_dual_mul_f32 v142, v139, v137 :: v_dual_mul_f32 v144, v139, v134
	s_delay_alu instid0(VALU_DEP_1) | instskip(NEXT) | instid1(VALU_DEP_2)
	v_pk_fma_f32 v[142:143], v[138:139], v[56:57], v[142:143] op_sel_hi:[1,1,0] neg_lo:[0,0,1] neg_hi:[0,0,1]
	v_pk_fma_f32 v[138:139], v[138:139], v[56:57], v[144:145] op_sel:[1,0,0] op_sel_hi:[0,1,0]
	s_delay_alu instid0(VALU_DEP_1) | instskip(SKIP_1) | instid1(VALU_DEP_2)
	v_mov_b32_e32 v143, v139
	v_pk_mul_f32 v[138:139], v[140:141], v[136:137] op_sel:[0,1]
	v_pk_add_f32 v[38:39], v[38:39], v[142:143] neg_lo:[0,1] neg_hi:[0,1]
	s_delay_alu instid0(VALU_DEP_2) | instskip(SKIP_1) | instid1(VALU_DEP_1)
	v_pk_fma_f32 v[142:143], v[140:141], v[134:135], v[138:139] op_sel:[0,0,1] op_sel_hi:[1,1,0] neg_lo:[0,0,1] neg_hi:[0,0,1]
	v_pk_fma_f32 v[138:139], v[140:141], v[134:135], v[138:139] op_sel:[0,0,1] op_sel_hi:[1,0,0]
	v_mov_b32_e32 v143, v139
	ds_load_2addr_b64 v[138:141], v196 offset0:12 offset1:13
	v_pk_add_f32 v[34:35], v[34:35], v[142:143] neg_lo:[0,1] neg_hi:[0,1]
	s_wait_dscnt 0x0
	v_pk_mul_f32 v[142:143], v[138:139], v[136:137] op_sel:[0,1]
	s_delay_alu instid0(VALU_DEP_1) | instskip(SKIP_1) | instid1(VALU_DEP_1)
	v_pk_fma_f32 v[144:145], v[138:139], v[134:135], v[142:143] op_sel:[0,0,1] op_sel_hi:[1,1,0] neg_lo:[0,0,1] neg_hi:[0,0,1]
	v_pk_fma_f32 v[138:139], v[138:139], v[134:135], v[142:143] op_sel:[0,0,1] op_sel_hi:[1,0,0]
	v_mov_b32_e32 v145, v139
	v_pk_mul_f32 v[138:139], v[140:141], v[136:137] op_sel:[0,1]
	s_delay_alu instid0(VALU_DEP_2) | instskip(NEXT) | instid1(VALU_DEP_2)
	v_pk_add_f32 v[64:65], v[64:65], v[144:145] neg_lo:[0,1] neg_hi:[0,1]
	v_pk_fma_f32 v[142:143], v[140:141], v[134:135], v[138:139] op_sel:[0,0,1] op_sel_hi:[1,1,0] neg_lo:[0,0,1] neg_hi:[0,0,1]
	v_pk_fma_f32 v[138:139], v[140:141], v[134:135], v[138:139] op_sel:[0,0,1] op_sel_hi:[1,0,0]
	s_delay_alu instid0(VALU_DEP_1) | instskip(SKIP_4) | instid1(VALU_DEP_1)
	v_mov_b32_e32 v143, v139
	ds_load_2addr_b64 v[138:141], v196 offset0:14 offset1:15
	v_pk_add_f32 v[60:61], v[60:61], v[142:143] neg_lo:[0,1] neg_hi:[0,1]
	s_wait_dscnt 0x0
	v_pk_mul_f32 v[142:143], v[138:139], v[136:137] op_sel:[0,1]
	v_pk_fma_f32 v[144:145], v[138:139], v[134:135], v[142:143] op_sel:[0,0,1] op_sel_hi:[1,1,0] neg_lo:[0,0,1] neg_hi:[0,0,1]
	v_pk_fma_f32 v[138:139], v[138:139], v[134:135], v[142:143] op_sel:[0,0,1] op_sel_hi:[1,0,0]
	v_dual_mul_f32 v142, v141, v137 :: v_dual_mov_b32 v138, v141
	s_delay_alu instid0(VALU_DEP_2) | instskip(NEXT) | instid1(VALU_DEP_2)
	v_dual_mov_b32 v145, v139 :: v_dual_mov_b32 v139, v140
	v_pk_fma_f32 v[142:143], v[140:141], v[56:57], v[142:143] op_sel_hi:[1,1,0] neg_lo:[0,0,1] neg_hi:[0,0,1]
	v_mul_f32_e32 v140, v141, v134
	s_delay_alu instid0(VALU_DEP_3) | instskip(NEXT) | instid1(VALU_DEP_2)
	v_pk_add_f32 v[62:63], v[62:63], v[144:145] neg_lo:[0,1] neg_hi:[0,1]
	v_pk_fma_f32 v[138:139], v[138:139], v[56:57], v[140:141] op_sel_hi:[1,1,0]
	s_delay_alu instid0(VALU_DEP_1) | instskip(SKIP_4) | instid1(VALU_DEP_1)
	v_mov_b32_e32 v143, v139
	ds_load_2addr_b64 v[138:141], v196 offset0:16 offset1:17
	v_pk_add_f32 v[58:59], v[58:59], v[142:143] neg_lo:[0,1] neg_hi:[0,1]
	s_wait_dscnt 0x0
	v_pk_mul_f32 v[142:143], v[138:139], v[136:137] op_sel:[0,1]
	v_pk_fma_f32 v[144:145], v[138:139], v[134:135], v[142:143] op_sel:[0,0,1] op_sel_hi:[1,1,0] neg_lo:[0,0,1] neg_hi:[0,0,1]
	v_pk_fma_f32 v[138:139], v[138:139], v[134:135], v[142:143] op_sel:[0,0,1] op_sel_hi:[1,0,0]
	s_delay_alu instid0(VALU_DEP_1) | instskip(SKIP_1) | instid1(VALU_DEP_1)
	v_mov_b32_e32 v145, v139
	v_pk_mul_f32 v[138:139], v[140:141], v[136:137] op_sel:[0,1]
	v_pk_fma_f32 v[142:143], v[140:141], v[134:135], v[138:139] op_sel:[0,0,1] op_sel_hi:[1,1,0] neg_lo:[0,0,1] neg_hi:[0,0,1]
	v_pk_fma_f32 v[138:139], v[140:141], v[134:135], v[138:139] op_sel:[0,0,1] op_sel_hi:[1,0,0]
	s_delay_alu instid0(VALU_DEP_1)
	v_mov_b32_e32 v143, v139
	ds_load_2addr_b64 v[138:141], v196 offset0:18 offset1:19
	v_pk_add_f32 v[82:83], v[82:83], v[144:145] neg_lo:[0,1] neg_hi:[0,1]
	v_pk_add_f32 v[78:79], v[78:79], v[142:143] neg_lo:[0,1] neg_hi:[0,1]
	s_wait_dscnt 0x0
	v_pk_mul_f32 v[142:143], v[138:139], v[136:137] op_sel:[0,1]
	s_delay_alu instid0(VALU_DEP_1) | instskip(SKIP_1) | instid1(VALU_DEP_1)
	v_pk_fma_f32 v[144:145], v[138:139], v[134:135], v[142:143] op_sel:[0,0,1] op_sel_hi:[1,1,0] neg_lo:[0,0,1] neg_hi:[0,0,1]
	v_pk_fma_f32 v[138:139], v[138:139], v[134:135], v[142:143] op_sel:[0,0,1] op_sel_hi:[1,0,0]
	v_mov_b32_e32 v145, v139
	v_pk_mul_f32 v[138:139], v[140:141], v[136:137] op_sel:[0,1]
	s_delay_alu instid0(VALU_DEP_1) | instskip(SKIP_1) | instid1(VALU_DEP_1)
	v_pk_fma_f32 v[142:143], v[140:141], v[134:135], v[138:139] op_sel:[0,0,1] op_sel_hi:[1,1,0] neg_lo:[0,0,1] neg_hi:[0,0,1]
	v_pk_fma_f32 v[138:139], v[140:141], v[134:135], v[138:139] op_sel:[0,0,1] op_sel_hi:[1,0,0]
	v_mov_b32_e32 v143, v139
	ds_load_2addr_b64 v[138:141], v196 offset0:20 offset1:21
	v_pk_add_f32 v[80:81], v[80:81], v[144:145] neg_lo:[0,1] neg_hi:[0,1]
	v_pk_add_f32 v[76:77], v[76:77], v[142:143] neg_lo:[0,1] neg_hi:[0,1]
	s_wait_dscnt 0x0
	v_dual_mul_f32 v142, v139, v137 :: v_dual_mul_f32 v144, v139, v134
	s_delay_alu instid0(VALU_DEP_1) | instskip(NEXT) | instid1(VALU_DEP_2)
	v_pk_fma_f32 v[142:143], v[138:139], v[56:57], v[142:143] op_sel_hi:[1,1,0] neg_lo:[0,0,1] neg_hi:[0,0,1]
	v_pk_fma_f32 v[138:139], v[138:139], v[56:57], v[144:145] op_sel:[1,0,0] op_sel_hi:[0,1,0]
	s_delay_alu instid0(VALU_DEP_1) | instskip(SKIP_1) | instid1(VALU_DEP_2)
	v_mov_b32_e32 v143, v139
	v_pk_mul_f32 v[138:139], v[140:141], v[136:137] op_sel:[0,1]
	v_pk_add_f32 v[102:103], v[102:103], v[142:143] neg_lo:[0,1] neg_hi:[0,1]
	s_delay_alu instid0(VALU_DEP_2) | instskip(SKIP_1) | instid1(VALU_DEP_1)
	v_pk_fma_f32 v[142:143], v[140:141], v[134:135], v[138:139] op_sel:[0,0,1] op_sel_hi:[1,1,0] neg_lo:[0,0,1] neg_hi:[0,0,1]
	v_pk_fma_f32 v[138:139], v[140:141], v[134:135], v[138:139] op_sel:[0,0,1] op_sel_hi:[1,0,0]
	v_mov_b32_e32 v143, v139
	ds_load_2addr_b64 v[138:141], v196 offset0:22 offset1:23
	v_pk_add_f32 v[98:99], v[98:99], v[142:143] neg_lo:[0,1] neg_hi:[0,1]
	s_wait_dscnt 0x0
	v_pk_mul_f32 v[142:143], v[138:139], v[136:137] op_sel:[0,1]
	s_delay_alu instid0(VALU_DEP_1) | instskip(SKIP_1) | instid1(VALU_DEP_1)
	v_pk_fma_f32 v[144:145], v[138:139], v[134:135], v[142:143] op_sel:[0,0,1] op_sel_hi:[1,1,0] neg_lo:[0,0,1] neg_hi:[0,0,1]
	v_pk_fma_f32 v[138:139], v[138:139], v[134:135], v[142:143] op_sel:[0,0,1] op_sel_hi:[1,0,0]
	v_mov_b32_e32 v145, v139
	v_pk_mul_f32 v[138:139], v[140:141], v[136:137] op_sel:[0,1]
	s_delay_alu instid0(VALU_DEP_2) | instskip(NEXT) | instid1(VALU_DEP_2)
	v_pk_add_f32 v[100:101], v[100:101], v[144:145] neg_lo:[0,1] neg_hi:[0,1]
	v_pk_fma_f32 v[142:143], v[140:141], v[134:135], v[138:139] op_sel:[0,0,1] op_sel_hi:[1,1,0] neg_lo:[0,0,1] neg_hi:[0,0,1]
	v_pk_fma_f32 v[138:139], v[140:141], v[134:135], v[138:139] op_sel:[0,0,1] op_sel_hi:[1,0,0]
	s_delay_alu instid0(VALU_DEP_1) | instskip(SKIP_4) | instid1(VALU_DEP_1)
	v_mov_b32_e32 v143, v139
	ds_load_2addr_b64 v[138:141], v196 offset0:24 offset1:25
	v_pk_add_f32 v[96:97], v[96:97], v[142:143] neg_lo:[0,1] neg_hi:[0,1]
	s_wait_dscnt 0x0
	v_pk_mul_f32 v[142:143], v[138:139], v[136:137] op_sel:[0,1]
	v_pk_fma_f32 v[144:145], v[138:139], v[134:135], v[142:143] op_sel:[0,0,1] op_sel_hi:[1,1,0] neg_lo:[0,0,1] neg_hi:[0,0,1]
	v_pk_fma_f32 v[138:139], v[138:139], v[134:135], v[142:143] op_sel:[0,0,1] op_sel_hi:[1,0,0]
	v_dual_mul_f32 v142, v141, v137 :: v_dual_mov_b32 v138, v141
	s_delay_alu instid0(VALU_DEP_2) | instskip(NEXT) | instid1(VALU_DEP_2)
	v_dual_mov_b32 v145, v139 :: v_dual_mov_b32 v139, v140
	v_pk_fma_f32 v[142:143], v[140:141], v[56:57], v[142:143] op_sel_hi:[1,1,0] neg_lo:[0,0,1] neg_hi:[0,0,1]
	v_mul_f32_e32 v140, v141, v134
	s_delay_alu instid0(VALU_DEP_3) | instskip(NEXT) | instid1(VALU_DEP_2)
	v_pk_add_f32 v[120:121], v[120:121], v[144:145] neg_lo:[0,1] neg_hi:[0,1]
	v_pk_fma_f32 v[138:139], v[138:139], v[56:57], v[140:141] op_sel_hi:[1,1,0]
	s_delay_alu instid0(VALU_DEP_1) | instskip(SKIP_4) | instid1(VALU_DEP_1)
	v_mov_b32_e32 v143, v139
	ds_load_2addr_b64 v[138:141], v196 offset0:26 offset1:27
	v_pk_add_f32 v[116:117], v[116:117], v[142:143] neg_lo:[0,1] neg_hi:[0,1]
	s_wait_dscnt 0x0
	v_pk_mul_f32 v[142:143], v[138:139], v[136:137] op_sel:[0,1]
	v_pk_fma_f32 v[144:145], v[138:139], v[134:135], v[142:143] op_sel:[0,0,1] op_sel_hi:[1,1,0] neg_lo:[0,0,1] neg_hi:[0,0,1]
	v_pk_fma_f32 v[138:139], v[138:139], v[134:135], v[142:143] op_sel:[0,0,1] op_sel_hi:[1,0,0]
	s_delay_alu instid0(VALU_DEP_1) | instskip(SKIP_1) | instid1(VALU_DEP_1)
	v_mov_b32_e32 v145, v139
	v_pk_mul_f32 v[138:139], v[140:141], v[136:137] op_sel:[0,1]
	v_pk_fma_f32 v[142:143], v[140:141], v[134:135], v[138:139] op_sel:[0,0,1] op_sel_hi:[1,1,0] neg_lo:[0,0,1] neg_hi:[0,0,1]
	v_pk_fma_f32 v[138:139], v[140:141], v[134:135], v[138:139] op_sel:[0,0,1] op_sel_hi:[1,0,0]
	s_delay_alu instid0(VALU_DEP_1)
	v_mov_b32_e32 v143, v139
	ds_load_2addr_b64 v[138:141], v196 offset0:28 offset1:29
	v_pk_add_f32 v[118:119], v[118:119], v[144:145] neg_lo:[0,1] neg_hi:[0,1]
	v_pk_add_f32 v[114:115], v[114:115], v[142:143] neg_lo:[0,1] neg_hi:[0,1]
	s_wait_dscnt 0x0
	v_pk_mul_f32 v[142:143], v[138:139], v[136:137] op_sel:[0,1]
	s_delay_alu instid0(VALU_DEP_1) | instskip(SKIP_1) | instid1(VALU_DEP_1)
	v_pk_fma_f32 v[144:145], v[138:139], v[134:135], v[142:143] op_sel:[0,0,1] op_sel_hi:[1,1,0] neg_lo:[0,0,1] neg_hi:[0,0,1]
	v_pk_fma_f32 v[138:139], v[138:139], v[134:135], v[142:143] op_sel:[0,0,1] op_sel_hi:[1,0,0]
	v_mov_b32_e32 v145, v139
	v_pk_mul_f32 v[138:139], v[140:141], v[136:137] op_sel:[0,1]
	s_delay_alu instid0(VALU_DEP_1) | instskip(SKIP_1) | instid1(VALU_DEP_1)
	v_pk_fma_f32 v[142:143], v[140:141], v[134:135], v[138:139] op_sel:[0,0,1] op_sel_hi:[1,1,0] neg_lo:[0,0,1] neg_hi:[0,0,1]
	v_pk_fma_f32 v[138:139], v[140:141], v[134:135], v[138:139] op_sel:[0,0,1] op_sel_hi:[1,0,0]
	v_mov_b32_e32 v143, v139
	ds_load_2addr_b64 v[138:141], v196 offset0:30 offset1:31
	v_pk_add_f32 v[126:127], v[126:127], v[144:145] neg_lo:[0,1] neg_hi:[0,1]
	v_pk_add_f32 v[124:125], v[124:125], v[142:143] neg_lo:[0,1] neg_hi:[0,1]
	s_wait_dscnt 0x0
	v_mul_f32_e32 v136, v139, v137
	s_delay_alu instid0(VALU_DEP_1) | instskip(SKIP_1) | instid1(VALU_DEP_1)
	v_pk_fma_f32 v[142:143], v[138:139], v[56:57], v[136:137] op_sel_hi:[1,1,0] neg_lo:[0,0,1] neg_hi:[0,0,1]
	v_dual_mul_f32 v136, v139, v134 :: v_dual_mul_f32 v134, v141, v134
	v_pk_fma_f32 v[138:139], v[138:139], v[56:57], v[136:137] op_sel:[1,0,0] op_sel_hi:[0,1,0]
	v_dual_mov_b32 v138, v141 :: v_dual_mul_f32 v136, v141, v137
	s_delay_alu instid0(VALU_DEP_2) | instskip(NEXT) | instid1(VALU_DEP_2)
	v_dual_mov_b32 v143, v139 :: v_dual_mov_b32 v139, v140
	v_pk_fma_f32 v[136:137], v[140:141], v[56:57], v[136:137] op_sel_hi:[1,1,0] neg_lo:[0,0,1] neg_hi:[0,0,1]
	s_delay_alu instid0(VALU_DEP_2) | instskip(NEXT) | instid1(VALU_DEP_3)
	v_pk_add_f32 v[122:123], v[122:123], v[142:143] neg_lo:[0,1] neg_hi:[0,1]
	v_pk_fma_f32 v[134:135], v[138:139], v[56:57], v[134:135] op_sel_hi:[1,1,0]
	s_delay_alu instid0(VALU_DEP_1) | instskip(NEXT) | instid1(VALU_DEP_1)
	v_mov_b32_e32 v137, v135
	v_pk_add_f32 v[128:129], v[128:129], v[136:137] neg_lo:[0,1] neg_hi:[0,1]
.LBB63_19:
	s_or_b32 exec_lo, exec_lo, s1
	s_delay_alu instid0(SALU_CYCLE_1)
	s_mov_b32 s2, exec_lo
	s_wait_dscnt 0x0
	s_barrier_signal -1
	s_barrier_wait -1
	v_cmpx_eq_u32_e32 2, v194
	s_cbranch_execz .LBB63_26
; %bb.20:
	ds_store_b64 v195, v[46:47]
	ds_store_2addr_b64 v196, v[44:45], v[26:27] offset0:3 offset1:4
	ds_store_2addr_b64 v196, v[22:23], v[24:25] offset0:5 offset1:6
	;; [unrolled: 1-line block ×14, first 2 shown]
	ds_store_b64 v196, v[128:129] offset:248
	ds_load_b64 v[134:135], v195
	s_wait_dscnt 0x0
	v_cmp_neq_f32_e32 vcc_lo, 0, v134
	v_cmp_neq_f32_e64 s1, 0, v135
	s_or_b32 s1, vcc_lo, s1
	s_delay_alu instid0(SALU_CYCLE_1)
	s_and_b32 exec_lo, exec_lo, s1
	s_cbranch_execz .LBB63_26
; %bb.21:
	v_cmp_ngt_f32_e64 s1, |v134|, |v135|
                                        ; implicit-def: $vgpr136_vgpr137
	s_and_saveexec_b32 s4, s1
	s_delay_alu instid0(SALU_CYCLE_1)
	s_xor_b32 s1, exec_lo, s4
	s_cbranch_execz .LBB63_23
; %bb.22:
	v_div_scale_f32 v136, null, v135, v135, v134
	v_div_scale_f32 v139, vcc_lo, v134, v135, v134
	s_delay_alu instid0(VALU_DEP_2) | instskip(SKIP_1) | instid1(TRANS32_DEP_1)
	v_rcp_f32_e32 v137, v136
	v_nop
	v_fma_f32 v138, -v136, v137, 1.0
	s_delay_alu instid0(VALU_DEP_1) | instskip(NEXT) | instid1(VALU_DEP_1)
	v_fmac_f32_e32 v137, v138, v137
	v_mul_f32_e32 v138, v139, v137
	s_delay_alu instid0(VALU_DEP_1) | instskip(NEXT) | instid1(VALU_DEP_1)
	v_fma_f32 v140, -v136, v138, v139
	v_fmac_f32_e32 v138, v140, v137
	s_delay_alu instid0(VALU_DEP_1) | instskip(NEXT) | instid1(VALU_DEP_1)
	v_fma_f32 v136, -v136, v138, v139
	v_div_fmas_f32 v136, v136, v137, v138
	s_delay_alu instid0(VALU_DEP_1) | instskip(NEXT) | instid1(VALU_DEP_1)
	v_div_fixup_f32 v136, v136, v135, v134
	v_fmac_f32_e32 v135, v134, v136
	s_delay_alu instid0(VALU_DEP_1) | instskip(SKIP_1) | instid1(VALU_DEP_2)
	v_div_scale_f32 v134, null, v135, v135, 1.0
	v_div_scale_f32 v139, vcc_lo, 1.0, v135, 1.0
	v_rcp_f32_e32 v137, v134
	v_nop
	s_delay_alu instid0(TRANS32_DEP_1) | instskip(NEXT) | instid1(VALU_DEP_1)
	v_fma_f32 v138, -v134, v137, 1.0
	v_fmac_f32_e32 v137, v138, v137
	s_delay_alu instid0(VALU_DEP_1) | instskip(NEXT) | instid1(VALU_DEP_1)
	v_mul_f32_e32 v138, v139, v137
	v_fma_f32 v140, -v134, v138, v139
	s_delay_alu instid0(VALU_DEP_1) | instskip(NEXT) | instid1(VALU_DEP_1)
	v_fmac_f32_e32 v138, v140, v137
	v_fma_f32 v134, -v134, v138, v139
	s_delay_alu instid0(VALU_DEP_1) | instskip(NEXT) | instid1(VALU_DEP_1)
	v_div_fmas_f32 v134, v134, v137, v138
	v_div_fixup_f32 v134, v134, v135, 1.0
	s_delay_alu instid0(VALU_DEP_1)
	v_mul_f32_e32 v136, v136, v134
	v_xor_b32_e32 v137, 0x80000000, v134
                                        ; implicit-def: $vgpr134_vgpr135
.LBB63_23:
	s_and_not1_saveexec_b32 s1, s1
	s_cbranch_execz .LBB63_25
; %bb.24:
	v_div_scale_f32 v136, null, v134, v134, v135
	v_div_scale_f32 v139, vcc_lo, v135, v134, v135
	s_delay_alu instid0(VALU_DEP_2) | instskip(SKIP_1) | instid1(TRANS32_DEP_1)
	v_rcp_f32_e32 v137, v136
	v_nop
	v_fma_f32 v138, -v136, v137, 1.0
	s_delay_alu instid0(VALU_DEP_1) | instskip(NEXT) | instid1(VALU_DEP_1)
	v_fmac_f32_e32 v137, v138, v137
	v_mul_f32_e32 v138, v139, v137
	s_delay_alu instid0(VALU_DEP_1) | instskip(NEXT) | instid1(VALU_DEP_1)
	v_fma_f32 v140, -v136, v138, v139
	v_fmac_f32_e32 v138, v140, v137
	s_delay_alu instid0(VALU_DEP_1) | instskip(NEXT) | instid1(VALU_DEP_1)
	v_fma_f32 v136, -v136, v138, v139
	v_div_fmas_f32 v136, v136, v137, v138
	s_delay_alu instid0(VALU_DEP_1) | instskip(NEXT) | instid1(VALU_DEP_1)
	v_div_fixup_f32 v137, v136, v134, v135
	v_fmac_f32_e32 v134, v135, v137
	s_delay_alu instid0(VALU_DEP_1) | instskip(NEXT) | instid1(VALU_DEP_1)
	v_div_scale_f32 v135, null, v134, v134, 1.0
	v_rcp_f32_e32 v136, v135
	v_nop
	s_delay_alu instid0(TRANS32_DEP_1) | instskip(NEXT) | instid1(VALU_DEP_1)
	v_fma_f32 v138, -v135, v136, 1.0
	v_fmac_f32_e32 v136, v138, v136
	v_div_scale_f32 v138, vcc_lo, 1.0, v134, 1.0
	s_delay_alu instid0(VALU_DEP_1) | instskip(NEXT) | instid1(VALU_DEP_1)
	v_mul_f32_e32 v139, v138, v136
	v_fma_f32 v140, -v135, v139, v138
	s_delay_alu instid0(VALU_DEP_1) | instskip(NEXT) | instid1(VALU_DEP_1)
	v_fmac_f32_e32 v139, v140, v136
	v_fma_f32 v135, -v135, v139, v138
	s_delay_alu instid0(VALU_DEP_1) | instskip(NEXT) | instid1(VALU_DEP_1)
	v_div_fmas_f32 v135, v135, v136, v139
	v_div_fixup_f32 v136, v135, v134, 1.0
	s_delay_alu instid0(VALU_DEP_1)
	v_mul_f32_e64 v137, v137, -v136
.LBB63_25:
	s_or_b32 exec_lo, exec_lo, s1
	ds_store_b64 v195, v[136:137]
.LBB63_26:
	s_or_b32 exec_lo, exec_lo, s2
	s_wait_dscnt 0x0
	s_barrier_signal -1
	s_barrier_wait -1
	ds_load_b64 v[134:135], v195
	s_mov_b32 s1, exec_lo
	v_cmpx_lt_u32_e32 2, v194
	s_cbranch_execz .LBB63_28
; %bb.27:
	ds_load_2addr_b64 v[140:143], v196 offset0:3 offset1:4
	s_wait_dscnt 0x1
	v_pk_mul_f32 v[138:139], v[134:135], v[46:47] op_sel:[1,1] op_sel_hi:[0,1]
	s_delay_alu instid0(VALU_DEP_1) | instskip(SKIP_1) | instid1(VALU_DEP_1)
	v_pk_fma_f32 v[136:137], v[134:135], v[46:47], v[138:139] op_sel_hi:[1,0,1] neg_lo:[0,0,1] neg_hi:[0,0,1]
	v_pk_fma_f32 v[138:139], v[134:135], v[46:47], v[138:139] op_sel_hi:[1,0,1]
	v_dual_mov_b32 v46, v136 :: v_dual_mov_b32 v47, v139
	s_wait_dscnt 0x0
	s_delay_alu instid0(VALU_DEP_2) | instskip(NEXT) | instid1(VALU_DEP_1)
	v_pk_mul_f32 v[144:145], v[140:141], v[138:139] op_sel:[0,1]
	v_pk_fma_f32 v[146:147], v[140:141], v[136:137], v[144:145] op_sel:[0,0,1] op_sel_hi:[1,1,0] neg_lo:[0,0,1] neg_hi:[0,0,1]
	v_pk_fma_f32 v[140:141], v[140:141], v[136:137], v[144:145] op_sel:[0,0,1] op_sel_hi:[1,0,0]
	s_delay_alu instid0(VALU_DEP_1) | instskip(SKIP_1) | instid1(VALU_DEP_1)
	v_mov_b32_e32 v147, v141
	v_pk_mul_f32 v[140:141], v[142:143], v[138:139] op_sel:[0,1]
	v_pk_fma_f32 v[144:145], v[142:143], v[136:137], v[140:141] op_sel:[0,0,1] op_sel_hi:[1,1,0] neg_lo:[0,0,1] neg_hi:[0,0,1]
	v_pk_fma_f32 v[140:141], v[142:143], v[136:137], v[140:141] op_sel:[0,0,1] op_sel_hi:[1,0,0]
	s_delay_alu instid0(VALU_DEP_1)
	v_mov_b32_e32 v145, v141
	ds_load_2addr_b64 v[140:143], v196 offset0:5 offset1:6
	v_pk_add_f32 v[44:45], v[44:45], v[146:147] neg_lo:[0,1] neg_hi:[0,1]
	v_pk_add_f32 v[26:27], v[26:27], v[144:145] neg_lo:[0,1] neg_hi:[0,1]
	s_wait_dscnt 0x0
	v_pk_mul_f32 v[144:145], v[140:141], v[138:139] op_sel:[0,1]
	s_delay_alu instid0(VALU_DEP_1) | instskip(SKIP_2) | instid1(VALU_DEP_2)
	v_pk_fma_f32 v[146:147], v[140:141], v[136:137], v[144:145] op_sel:[0,0,1] op_sel_hi:[1,1,0] neg_lo:[0,0,1] neg_hi:[0,0,1]
	v_pk_fma_f32 v[140:141], v[140:141], v[136:137], v[144:145] op_sel:[0,0,1] op_sel_hi:[1,0,0]
	v_dual_mul_f32 v144, v143, v139 :: v_dual_mov_b32 v140, v143
	v_dual_mov_b32 v147, v141 :: v_dual_mov_b32 v141, v142
	s_delay_alu instid0(VALU_DEP_2) | instskip(SKIP_1) | instid1(VALU_DEP_3)
	v_pk_fma_f32 v[144:145], v[142:143], v[46:47], v[144:145] op_sel_hi:[1,1,0] neg_lo:[0,0,1] neg_hi:[0,0,1]
	v_mul_f32_e32 v142, v143, v136
	v_pk_add_f32 v[22:23], v[22:23], v[146:147] neg_lo:[0,1] neg_hi:[0,1]
	s_delay_alu instid0(VALU_DEP_2) | instskip(NEXT) | instid1(VALU_DEP_1)
	v_pk_fma_f32 v[140:141], v[140:141], v[46:47], v[142:143] op_sel_hi:[1,1,0]
	v_mov_b32_e32 v145, v141
	ds_load_2addr_b64 v[140:143], v196 offset0:7 offset1:8
	v_pk_add_f32 v[24:25], v[24:25], v[144:145] neg_lo:[0,1] neg_hi:[0,1]
	s_wait_dscnt 0x0
	v_pk_mul_f32 v[144:145], v[140:141], v[138:139] op_sel:[0,1]
	s_delay_alu instid0(VALU_DEP_1) | instskip(SKIP_1) | instid1(VALU_DEP_1)
	v_pk_fma_f32 v[146:147], v[140:141], v[136:137], v[144:145] op_sel:[0,0,1] op_sel_hi:[1,1,0] neg_lo:[0,0,1] neg_hi:[0,0,1]
	v_pk_fma_f32 v[140:141], v[140:141], v[136:137], v[144:145] op_sel:[0,0,1] op_sel_hi:[1,0,0]
	v_mov_b32_e32 v147, v141
	v_pk_mul_f32 v[140:141], v[142:143], v[138:139] op_sel:[0,1]
	s_delay_alu instid0(VALU_DEP_1) | instskip(SKIP_1) | instid1(VALU_DEP_1)
	v_pk_fma_f32 v[144:145], v[142:143], v[136:137], v[140:141] op_sel:[0,0,1] op_sel_hi:[1,1,0] neg_lo:[0,0,1] neg_hi:[0,0,1]
	v_pk_fma_f32 v[140:141], v[142:143], v[136:137], v[140:141] op_sel:[0,0,1] op_sel_hi:[1,0,0]
	v_mov_b32_e32 v145, v141
	ds_load_2addr_b64 v[140:143], v196 offset0:9 offset1:10
	v_pk_add_f32 v[74:75], v[74:75], v[146:147] neg_lo:[0,1] neg_hi:[0,1]
	v_pk_add_f32 v[40:41], v[40:41], v[144:145] neg_lo:[0,1] neg_hi:[0,1]
	s_wait_dscnt 0x0
	v_pk_mul_f32 v[144:145], v[140:141], v[138:139] op_sel:[0,1]
	s_delay_alu instid0(VALU_DEP_1) | instskip(SKIP_1) | instid1(VALU_DEP_1)
	v_pk_fma_f32 v[146:147], v[140:141], v[136:137], v[144:145] op_sel:[0,0,1] op_sel_hi:[1,1,0] neg_lo:[0,0,1] neg_hi:[0,0,1]
	v_pk_fma_f32 v[140:141], v[140:141], v[136:137], v[144:145] op_sel:[0,0,1] op_sel_hi:[1,0,0]
	v_mov_b32_e32 v147, v141
	v_pk_mul_f32 v[140:141], v[142:143], v[138:139] op_sel:[0,1]
	s_delay_alu instid0(VALU_DEP_1) | instskip(SKIP_1) | instid1(VALU_DEP_1)
	v_pk_fma_f32 v[144:145], v[142:143], v[136:137], v[140:141] op_sel:[0,0,1] op_sel_hi:[1,1,0] neg_lo:[0,0,1] neg_hi:[0,0,1]
	v_pk_fma_f32 v[140:141], v[142:143], v[136:137], v[140:141] op_sel:[0,0,1] op_sel_hi:[1,0,0]
	v_mov_b32_e32 v145, v141
	ds_load_2addr_b64 v[140:143], v196 offset0:11 offset1:12
	v_pk_add_f32 v[36:37], v[36:37], v[146:147] neg_lo:[0,1] neg_hi:[0,1]
	v_pk_add_f32 v[38:39], v[38:39], v[144:145] neg_lo:[0,1] neg_hi:[0,1]
	s_wait_dscnt 0x0
	v_dual_mul_f32 v144, v141, v139 :: v_dual_mul_f32 v146, v141, v136
	s_delay_alu instid0(VALU_DEP_1) | instskip(NEXT) | instid1(VALU_DEP_2)
	v_pk_fma_f32 v[144:145], v[140:141], v[46:47], v[144:145] op_sel_hi:[1,1,0] neg_lo:[0,0,1] neg_hi:[0,0,1]
	v_pk_fma_f32 v[140:141], v[140:141], v[46:47], v[146:147] op_sel:[1,0,0] op_sel_hi:[0,1,0]
	s_delay_alu instid0(VALU_DEP_1) | instskip(SKIP_1) | instid1(VALU_DEP_2)
	v_mov_b32_e32 v145, v141
	v_pk_mul_f32 v[140:141], v[142:143], v[138:139] op_sel:[0,1]
	v_pk_add_f32 v[34:35], v[34:35], v[144:145] neg_lo:[0,1] neg_hi:[0,1]
	s_delay_alu instid0(VALU_DEP_2) | instskip(SKIP_1) | instid1(VALU_DEP_1)
	v_pk_fma_f32 v[144:145], v[142:143], v[136:137], v[140:141] op_sel:[0,0,1] op_sel_hi:[1,1,0] neg_lo:[0,0,1] neg_hi:[0,0,1]
	v_pk_fma_f32 v[140:141], v[142:143], v[136:137], v[140:141] op_sel:[0,0,1] op_sel_hi:[1,0,0]
	v_mov_b32_e32 v145, v141
	ds_load_2addr_b64 v[140:143], v196 offset0:13 offset1:14
	v_pk_add_f32 v[64:65], v[64:65], v[144:145] neg_lo:[0,1] neg_hi:[0,1]
	s_wait_dscnt 0x0
	v_pk_mul_f32 v[144:145], v[140:141], v[138:139] op_sel:[0,1]
	s_delay_alu instid0(VALU_DEP_1) | instskip(SKIP_1) | instid1(VALU_DEP_1)
	v_pk_fma_f32 v[146:147], v[140:141], v[136:137], v[144:145] op_sel:[0,0,1] op_sel_hi:[1,1,0] neg_lo:[0,0,1] neg_hi:[0,0,1]
	v_pk_fma_f32 v[140:141], v[140:141], v[136:137], v[144:145] op_sel:[0,0,1] op_sel_hi:[1,0,0]
	v_mov_b32_e32 v147, v141
	v_pk_mul_f32 v[140:141], v[142:143], v[138:139] op_sel:[0,1]
	s_delay_alu instid0(VALU_DEP_2) | instskip(NEXT) | instid1(VALU_DEP_2)
	v_pk_add_f32 v[60:61], v[60:61], v[146:147] neg_lo:[0,1] neg_hi:[0,1]
	v_pk_fma_f32 v[144:145], v[142:143], v[136:137], v[140:141] op_sel:[0,0,1] op_sel_hi:[1,1,0] neg_lo:[0,0,1] neg_hi:[0,0,1]
	v_pk_fma_f32 v[140:141], v[142:143], v[136:137], v[140:141] op_sel:[0,0,1] op_sel_hi:[1,0,0]
	s_delay_alu instid0(VALU_DEP_1) | instskip(SKIP_4) | instid1(VALU_DEP_1)
	v_mov_b32_e32 v145, v141
	ds_load_2addr_b64 v[140:143], v196 offset0:15 offset1:16
	v_pk_add_f32 v[62:63], v[62:63], v[144:145] neg_lo:[0,1] neg_hi:[0,1]
	s_wait_dscnt 0x0
	v_pk_mul_f32 v[144:145], v[140:141], v[138:139] op_sel:[0,1]
	v_pk_fma_f32 v[146:147], v[140:141], v[136:137], v[144:145] op_sel:[0,0,1] op_sel_hi:[1,1,0] neg_lo:[0,0,1] neg_hi:[0,0,1]
	v_pk_fma_f32 v[140:141], v[140:141], v[136:137], v[144:145] op_sel:[0,0,1] op_sel_hi:[1,0,0]
	v_dual_mul_f32 v144, v143, v139 :: v_dual_mov_b32 v140, v143
	s_delay_alu instid0(VALU_DEP_2) | instskip(NEXT) | instid1(VALU_DEP_2)
	v_dual_mov_b32 v147, v141 :: v_dual_mov_b32 v141, v142
	v_pk_fma_f32 v[144:145], v[142:143], v[46:47], v[144:145] op_sel_hi:[1,1,0] neg_lo:[0,0,1] neg_hi:[0,0,1]
	v_mul_f32_e32 v142, v143, v136
	s_delay_alu instid0(VALU_DEP_3) | instskip(NEXT) | instid1(VALU_DEP_2)
	v_pk_add_f32 v[58:59], v[58:59], v[146:147] neg_lo:[0,1] neg_hi:[0,1]
	v_pk_fma_f32 v[140:141], v[140:141], v[46:47], v[142:143] op_sel_hi:[1,1,0]
	s_delay_alu instid0(VALU_DEP_1) | instskip(SKIP_4) | instid1(VALU_DEP_1)
	v_mov_b32_e32 v145, v141
	ds_load_2addr_b64 v[140:143], v196 offset0:17 offset1:18
	v_pk_add_f32 v[82:83], v[82:83], v[144:145] neg_lo:[0,1] neg_hi:[0,1]
	s_wait_dscnt 0x0
	v_pk_mul_f32 v[144:145], v[140:141], v[138:139] op_sel:[0,1]
	v_pk_fma_f32 v[146:147], v[140:141], v[136:137], v[144:145] op_sel:[0,0,1] op_sel_hi:[1,1,0] neg_lo:[0,0,1] neg_hi:[0,0,1]
	v_pk_fma_f32 v[140:141], v[140:141], v[136:137], v[144:145] op_sel:[0,0,1] op_sel_hi:[1,0,0]
	s_delay_alu instid0(VALU_DEP_1) | instskip(SKIP_1) | instid1(VALU_DEP_1)
	v_mov_b32_e32 v147, v141
	v_pk_mul_f32 v[140:141], v[142:143], v[138:139] op_sel:[0,1]
	v_pk_fma_f32 v[144:145], v[142:143], v[136:137], v[140:141] op_sel:[0,0,1] op_sel_hi:[1,1,0] neg_lo:[0,0,1] neg_hi:[0,0,1]
	v_pk_fma_f32 v[140:141], v[142:143], v[136:137], v[140:141] op_sel:[0,0,1] op_sel_hi:[1,0,0]
	s_delay_alu instid0(VALU_DEP_1)
	v_mov_b32_e32 v145, v141
	ds_load_2addr_b64 v[140:143], v196 offset0:19 offset1:20
	v_pk_add_f32 v[78:79], v[78:79], v[146:147] neg_lo:[0,1] neg_hi:[0,1]
	v_pk_add_f32 v[80:81], v[80:81], v[144:145] neg_lo:[0,1] neg_hi:[0,1]
	s_wait_dscnt 0x0
	v_pk_mul_f32 v[144:145], v[140:141], v[138:139] op_sel:[0,1]
	s_delay_alu instid0(VALU_DEP_1) | instskip(SKIP_1) | instid1(VALU_DEP_1)
	v_pk_fma_f32 v[146:147], v[140:141], v[136:137], v[144:145] op_sel:[0,0,1] op_sel_hi:[1,1,0] neg_lo:[0,0,1] neg_hi:[0,0,1]
	v_pk_fma_f32 v[140:141], v[140:141], v[136:137], v[144:145] op_sel:[0,0,1] op_sel_hi:[1,0,0]
	v_mov_b32_e32 v147, v141
	v_pk_mul_f32 v[140:141], v[142:143], v[138:139] op_sel:[0,1]
	s_delay_alu instid0(VALU_DEP_1) | instskip(SKIP_1) | instid1(VALU_DEP_1)
	v_pk_fma_f32 v[144:145], v[142:143], v[136:137], v[140:141] op_sel:[0,0,1] op_sel_hi:[1,1,0] neg_lo:[0,0,1] neg_hi:[0,0,1]
	v_pk_fma_f32 v[140:141], v[142:143], v[136:137], v[140:141] op_sel:[0,0,1] op_sel_hi:[1,0,0]
	v_mov_b32_e32 v145, v141
	ds_load_2addr_b64 v[140:143], v196 offset0:21 offset1:22
	v_pk_add_f32 v[76:77], v[76:77], v[146:147] neg_lo:[0,1] neg_hi:[0,1]
	v_pk_add_f32 v[102:103], v[102:103], v[144:145] neg_lo:[0,1] neg_hi:[0,1]
	s_wait_dscnt 0x0
	v_dual_mul_f32 v144, v141, v139 :: v_dual_mul_f32 v146, v141, v136
	s_delay_alu instid0(VALU_DEP_1) | instskip(NEXT) | instid1(VALU_DEP_2)
	v_pk_fma_f32 v[144:145], v[140:141], v[46:47], v[144:145] op_sel_hi:[1,1,0] neg_lo:[0,0,1] neg_hi:[0,0,1]
	v_pk_fma_f32 v[140:141], v[140:141], v[46:47], v[146:147] op_sel:[1,0,0] op_sel_hi:[0,1,0]
	s_delay_alu instid0(VALU_DEP_1) | instskip(SKIP_1) | instid1(VALU_DEP_2)
	v_mov_b32_e32 v145, v141
	v_pk_mul_f32 v[140:141], v[142:143], v[138:139] op_sel:[0,1]
	v_pk_add_f32 v[98:99], v[98:99], v[144:145] neg_lo:[0,1] neg_hi:[0,1]
	s_delay_alu instid0(VALU_DEP_2) | instskip(SKIP_1) | instid1(VALU_DEP_1)
	v_pk_fma_f32 v[144:145], v[142:143], v[136:137], v[140:141] op_sel:[0,0,1] op_sel_hi:[1,1,0] neg_lo:[0,0,1] neg_hi:[0,0,1]
	v_pk_fma_f32 v[140:141], v[142:143], v[136:137], v[140:141] op_sel:[0,0,1] op_sel_hi:[1,0,0]
	v_mov_b32_e32 v145, v141
	ds_load_2addr_b64 v[140:143], v196 offset0:23 offset1:24
	v_pk_add_f32 v[100:101], v[100:101], v[144:145] neg_lo:[0,1] neg_hi:[0,1]
	s_wait_dscnt 0x0
	v_pk_mul_f32 v[144:145], v[140:141], v[138:139] op_sel:[0,1]
	s_delay_alu instid0(VALU_DEP_1) | instskip(SKIP_1) | instid1(VALU_DEP_1)
	v_pk_fma_f32 v[146:147], v[140:141], v[136:137], v[144:145] op_sel:[0,0,1] op_sel_hi:[1,1,0] neg_lo:[0,0,1] neg_hi:[0,0,1]
	v_pk_fma_f32 v[140:141], v[140:141], v[136:137], v[144:145] op_sel:[0,0,1] op_sel_hi:[1,0,0]
	v_mov_b32_e32 v147, v141
	v_pk_mul_f32 v[140:141], v[142:143], v[138:139] op_sel:[0,1]
	s_delay_alu instid0(VALU_DEP_2) | instskip(NEXT) | instid1(VALU_DEP_2)
	v_pk_add_f32 v[96:97], v[96:97], v[146:147] neg_lo:[0,1] neg_hi:[0,1]
	v_pk_fma_f32 v[144:145], v[142:143], v[136:137], v[140:141] op_sel:[0,0,1] op_sel_hi:[1,1,0] neg_lo:[0,0,1] neg_hi:[0,0,1]
	v_pk_fma_f32 v[140:141], v[142:143], v[136:137], v[140:141] op_sel:[0,0,1] op_sel_hi:[1,0,0]
	s_delay_alu instid0(VALU_DEP_1) | instskip(SKIP_4) | instid1(VALU_DEP_1)
	v_mov_b32_e32 v145, v141
	ds_load_2addr_b64 v[140:143], v196 offset0:25 offset1:26
	v_pk_add_f32 v[120:121], v[120:121], v[144:145] neg_lo:[0,1] neg_hi:[0,1]
	s_wait_dscnt 0x0
	v_pk_mul_f32 v[144:145], v[140:141], v[138:139] op_sel:[0,1]
	v_pk_fma_f32 v[146:147], v[140:141], v[136:137], v[144:145] op_sel:[0,0,1] op_sel_hi:[1,1,0] neg_lo:[0,0,1] neg_hi:[0,0,1]
	v_pk_fma_f32 v[140:141], v[140:141], v[136:137], v[144:145] op_sel:[0,0,1] op_sel_hi:[1,0,0]
	v_dual_mul_f32 v144, v143, v139 :: v_dual_mov_b32 v140, v143
	s_delay_alu instid0(VALU_DEP_2) | instskip(NEXT) | instid1(VALU_DEP_2)
	v_dual_mov_b32 v147, v141 :: v_dual_mov_b32 v141, v142
	v_pk_fma_f32 v[144:145], v[142:143], v[46:47], v[144:145] op_sel_hi:[1,1,0] neg_lo:[0,0,1] neg_hi:[0,0,1]
	v_mul_f32_e32 v142, v143, v136
	s_delay_alu instid0(VALU_DEP_3) | instskip(NEXT) | instid1(VALU_DEP_2)
	v_pk_add_f32 v[116:117], v[116:117], v[146:147] neg_lo:[0,1] neg_hi:[0,1]
	v_pk_fma_f32 v[140:141], v[140:141], v[46:47], v[142:143] op_sel_hi:[1,1,0]
	s_delay_alu instid0(VALU_DEP_1) | instskip(SKIP_4) | instid1(VALU_DEP_1)
	v_mov_b32_e32 v145, v141
	ds_load_2addr_b64 v[140:143], v196 offset0:27 offset1:28
	v_pk_add_f32 v[118:119], v[118:119], v[144:145] neg_lo:[0,1] neg_hi:[0,1]
	s_wait_dscnt 0x0
	v_pk_mul_f32 v[144:145], v[140:141], v[138:139] op_sel:[0,1]
	v_pk_fma_f32 v[146:147], v[140:141], v[136:137], v[144:145] op_sel:[0,0,1] op_sel_hi:[1,1,0] neg_lo:[0,0,1] neg_hi:[0,0,1]
	v_pk_fma_f32 v[140:141], v[140:141], v[136:137], v[144:145] op_sel:[0,0,1] op_sel_hi:[1,0,0]
	s_delay_alu instid0(VALU_DEP_1) | instskip(SKIP_1) | instid1(VALU_DEP_1)
	v_mov_b32_e32 v147, v141
	v_pk_mul_f32 v[140:141], v[142:143], v[138:139] op_sel:[0,1]
	v_pk_fma_f32 v[144:145], v[142:143], v[136:137], v[140:141] op_sel:[0,0,1] op_sel_hi:[1,1,0] neg_lo:[0,0,1] neg_hi:[0,0,1]
	v_pk_fma_f32 v[140:141], v[142:143], v[136:137], v[140:141] op_sel:[0,0,1] op_sel_hi:[1,0,0]
	s_delay_alu instid0(VALU_DEP_1)
	v_mov_b32_e32 v145, v141
	ds_load_2addr_b64 v[140:143], v196 offset0:29 offset1:30
	v_pk_add_f32 v[114:115], v[114:115], v[146:147] neg_lo:[0,1] neg_hi:[0,1]
	v_pk_add_f32 v[126:127], v[126:127], v[144:145] neg_lo:[0,1] neg_hi:[0,1]
	s_wait_dscnt 0x0
	v_pk_mul_f32 v[144:145], v[140:141], v[138:139] op_sel:[0,1]
	s_delay_alu instid0(VALU_DEP_1) | instskip(SKIP_1) | instid1(VALU_DEP_1)
	v_pk_fma_f32 v[146:147], v[140:141], v[136:137], v[144:145] op_sel:[0,0,1] op_sel_hi:[1,1,0] neg_lo:[0,0,1] neg_hi:[0,0,1]
	v_pk_fma_f32 v[140:141], v[140:141], v[136:137], v[144:145] op_sel:[0,0,1] op_sel_hi:[1,0,0]
	v_mov_b32_e32 v147, v141
	v_pk_mul_f32 v[140:141], v[142:143], v[138:139] op_sel:[0,1]
	s_delay_alu instid0(VALU_DEP_1) | instskip(SKIP_1) | instid1(VALU_DEP_1)
	v_pk_fma_f32 v[144:145], v[142:143], v[136:137], v[140:141] op_sel:[0,0,1] op_sel_hi:[1,1,0] neg_lo:[0,0,1] neg_hi:[0,0,1]
	v_pk_fma_f32 v[140:141], v[142:143], v[136:137], v[140:141] op_sel:[0,0,1] op_sel_hi:[1,0,0]
	v_mov_b32_e32 v145, v141
	ds_load_b64 v[140:141], v196 offset:248
	v_pk_add_f32 v[124:125], v[124:125], v[146:147] neg_lo:[0,1] neg_hi:[0,1]
	v_pk_add_f32 v[122:123], v[122:123], v[144:145] neg_lo:[0,1] neg_hi:[0,1]
	s_wait_dscnt 0x0
	v_pk_mul_f32 v[138:139], v[140:141], v[138:139] op_sel:[0,1]
	s_delay_alu instid0(VALU_DEP_1) | instskip(SKIP_1) | instid1(VALU_DEP_1)
	v_pk_fma_f32 v[142:143], v[140:141], v[136:137], v[138:139] op_sel:[0,0,1] op_sel_hi:[1,1,0] neg_lo:[0,0,1] neg_hi:[0,0,1]
	v_pk_fma_f32 v[136:137], v[140:141], v[136:137], v[138:139] op_sel:[0,0,1] op_sel_hi:[1,0,0]
	v_mov_b32_e32 v143, v137
	s_delay_alu instid0(VALU_DEP_1)
	v_pk_add_f32 v[128:129], v[128:129], v[142:143] neg_lo:[0,1] neg_hi:[0,1]
.LBB63_28:
	s_or_b32 exec_lo, exec_lo, s1
	s_delay_alu instid0(SALU_CYCLE_1)
	s_mov_b32 s2, exec_lo
	s_wait_dscnt 0x0
	s_barrier_signal -1
	s_barrier_wait -1
	v_cmpx_eq_u32_e32 3, v194
	s_cbranch_execz .LBB63_35
; %bb.29:
	v_dual_mov_b32 v136, v26 :: v_dual_mov_b32 v137, v27
	v_dual_mov_b32 v138, v22 :: v_dual_mov_b32 v139, v23
	ds_store_b64 v195, v[44:45]
	ds_store_2addr_b64 v196, v[136:137], v[138:139] offset0:4 offset1:5
	v_dual_mov_b32 v136, v24 :: v_dual_mov_b32 v137, v25
	v_dual_mov_b32 v138, v74 :: v_dual_mov_b32 v139, v75
	ds_store_2addr_b64 v196, v[136:137], v[138:139] offset0:6 offset1:7
	v_dual_mov_b32 v136, v40 :: v_dual_mov_b32 v137, v41
	v_dual_mov_b32 v138, v36 :: v_dual_mov_b32 v139, v37
	;; [unrolled: 3-line block ×12, first 2 shown]
	ds_store_2addr_b64 v196, v[136:137], v[138:139] offset0:28 offset1:29
	v_dual_mov_b32 v136, v122 :: v_dual_mov_b32 v137, v123
	ds_store_2addr_b64 v196, v[136:137], v[128:129] offset0:30 offset1:31
	ds_load_b64 v[136:137], v195
	s_wait_dscnt 0x0
	v_cmp_neq_f32_e32 vcc_lo, 0, v136
	v_cmp_neq_f32_e64 s1, 0, v137
	s_or_b32 s1, vcc_lo, s1
	s_delay_alu instid0(SALU_CYCLE_1)
	s_and_b32 exec_lo, exec_lo, s1
	s_cbranch_execz .LBB63_35
; %bb.30:
	v_cmp_ngt_f32_e64 s1, |v136|, |v137|
                                        ; implicit-def: $vgpr138_vgpr139
	s_and_saveexec_b32 s4, s1
	s_delay_alu instid0(SALU_CYCLE_1)
	s_xor_b32 s1, exec_lo, s4
	s_cbranch_execz .LBB63_32
; %bb.31:
	v_div_scale_f32 v138, null, v137, v137, v136
	v_div_scale_f32 v141, vcc_lo, v136, v137, v136
	s_delay_alu instid0(VALU_DEP_2) | instskip(SKIP_1) | instid1(TRANS32_DEP_1)
	v_rcp_f32_e32 v139, v138
	v_nop
	v_fma_f32 v140, -v138, v139, 1.0
	s_delay_alu instid0(VALU_DEP_1) | instskip(NEXT) | instid1(VALU_DEP_1)
	v_fmac_f32_e32 v139, v140, v139
	v_mul_f32_e32 v140, v141, v139
	s_delay_alu instid0(VALU_DEP_1) | instskip(NEXT) | instid1(VALU_DEP_1)
	v_fma_f32 v142, -v138, v140, v141
	v_fmac_f32_e32 v140, v142, v139
	s_delay_alu instid0(VALU_DEP_1) | instskip(NEXT) | instid1(VALU_DEP_1)
	v_fma_f32 v138, -v138, v140, v141
	v_div_fmas_f32 v138, v138, v139, v140
	s_delay_alu instid0(VALU_DEP_1) | instskip(NEXT) | instid1(VALU_DEP_1)
	v_div_fixup_f32 v138, v138, v137, v136
	v_fmac_f32_e32 v137, v136, v138
	s_delay_alu instid0(VALU_DEP_1) | instskip(SKIP_1) | instid1(VALU_DEP_2)
	v_div_scale_f32 v136, null, v137, v137, 1.0
	v_div_scale_f32 v141, vcc_lo, 1.0, v137, 1.0
	v_rcp_f32_e32 v139, v136
	v_nop
	s_delay_alu instid0(TRANS32_DEP_1) | instskip(NEXT) | instid1(VALU_DEP_1)
	v_fma_f32 v140, -v136, v139, 1.0
	v_fmac_f32_e32 v139, v140, v139
	s_delay_alu instid0(VALU_DEP_1) | instskip(NEXT) | instid1(VALU_DEP_1)
	v_mul_f32_e32 v140, v141, v139
	v_fma_f32 v142, -v136, v140, v141
	s_delay_alu instid0(VALU_DEP_1) | instskip(NEXT) | instid1(VALU_DEP_1)
	v_fmac_f32_e32 v140, v142, v139
	v_fma_f32 v136, -v136, v140, v141
	s_delay_alu instid0(VALU_DEP_1) | instskip(NEXT) | instid1(VALU_DEP_1)
	v_div_fmas_f32 v136, v136, v139, v140
	v_div_fixup_f32 v136, v136, v137, 1.0
	s_delay_alu instid0(VALU_DEP_1)
	v_mul_f32_e32 v138, v138, v136
	v_xor_b32_e32 v139, 0x80000000, v136
                                        ; implicit-def: $vgpr136_vgpr137
.LBB63_32:
	s_and_not1_saveexec_b32 s1, s1
	s_cbranch_execz .LBB63_34
; %bb.33:
	v_div_scale_f32 v138, null, v136, v136, v137
	v_div_scale_f32 v141, vcc_lo, v137, v136, v137
	s_delay_alu instid0(VALU_DEP_2) | instskip(SKIP_1) | instid1(TRANS32_DEP_1)
	v_rcp_f32_e32 v139, v138
	v_nop
	v_fma_f32 v140, -v138, v139, 1.0
	s_delay_alu instid0(VALU_DEP_1) | instskip(NEXT) | instid1(VALU_DEP_1)
	v_fmac_f32_e32 v139, v140, v139
	v_mul_f32_e32 v140, v141, v139
	s_delay_alu instid0(VALU_DEP_1) | instskip(NEXT) | instid1(VALU_DEP_1)
	v_fma_f32 v142, -v138, v140, v141
	v_fmac_f32_e32 v140, v142, v139
	s_delay_alu instid0(VALU_DEP_1) | instskip(NEXT) | instid1(VALU_DEP_1)
	v_fma_f32 v138, -v138, v140, v141
	v_div_fmas_f32 v138, v138, v139, v140
	s_delay_alu instid0(VALU_DEP_1) | instskip(NEXT) | instid1(VALU_DEP_1)
	v_div_fixup_f32 v139, v138, v136, v137
	v_fmac_f32_e32 v136, v137, v139
	s_delay_alu instid0(VALU_DEP_1) | instskip(NEXT) | instid1(VALU_DEP_1)
	v_div_scale_f32 v137, null, v136, v136, 1.0
	v_rcp_f32_e32 v138, v137
	v_nop
	s_delay_alu instid0(TRANS32_DEP_1) | instskip(NEXT) | instid1(VALU_DEP_1)
	v_fma_f32 v140, -v137, v138, 1.0
	v_fmac_f32_e32 v138, v140, v138
	v_div_scale_f32 v140, vcc_lo, 1.0, v136, 1.0
	s_delay_alu instid0(VALU_DEP_1) | instskip(NEXT) | instid1(VALU_DEP_1)
	v_mul_f32_e32 v141, v140, v138
	v_fma_f32 v142, -v137, v141, v140
	s_delay_alu instid0(VALU_DEP_1) | instskip(NEXT) | instid1(VALU_DEP_1)
	v_fmac_f32_e32 v141, v142, v138
	v_fma_f32 v137, -v137, v141, v140
	s_delay_alu instid0(VALU_DEP_1) | instskip(NEXT) | instid1(VALU_DEP_1)
	v_div_fmas_f32 v137, v137, v138, v141
	v_div_fixup_f32 v138, v137, v136, 1.0
	s_delay_alu instid0(VALU_DEP_1)
	v_mul_f32_e64 v139, v139, -v138
.LBB63_34:
	s_or_b32 exec_lo, exec_lo, s1
	ds_store_b64 v195, v[138:139]
.LBB63_35:
	s_or_b32 exec_lo, exec_lo, s2
	s_wait_dscnt 0x0
	s_barrier_signal -1
	s_barrier_wait -1
	ds_load_b64 v[136:137], v195
	s_mov_b32 s1, exec_lo
	v_cmpx_lt_u32_e32 3, v194
	s_cbranch_execz .LBB63_37
; %bb.36:
	ds_load_2addr_b64 v[142:145], v196 offset0:4 offset1:5
	s_wait_dscnt 0x1
	v_pk_mul_f32 v[140:141], v[136:137], v[44:45] op_sel:[1,1] op_sel_hi:[0,1]
	s_delay_alu instid0(VALU_DEP_1) | instskip(SKIP_1) | instid1(VALU_DEP_1)
	v_pk_fma_f32 v[138:139], v[136:137], v[44:45], v[140:141] op_sel_hi:[1,0,1] neg_lo:[0,0,1] neg_hi:[0,0,1]
	v_pk_fma_f32 v[140:141], v[136:137], v[44:45], v[140:141] op_sel_hi:[1,0,1]
	v_dual_mov_b32 v44, v138 :: v_dual_mov_b32 v45, v141
	s_wait_dscnt 0x0
	s_delay_alu instid0(VALU_DEP_2) | instskip(NEXT) | instid1(VALU_DEP_1)
	v_pk_mul_f32 v[146:147], v[142:143], v[140:141] op_sel:[0,1]
	v_pk_fma_f32 v[148:149], v[142:143], v[138:139], v[146:147] op_sel:[0,0,1] op_sel_hi:[1,1,0] neg_lo:[0,0,1] neg_hi:[0,0,1]
	v_pk_fma_f32 v[142:143], v[142:143], v[138:139], v[146:147] op_sel:[0,0,1] op_sel_hi:[1,0,0]
	s_delay_alu instid0(VALU_DEP_1) | instskip(SKIP_1) | instid1(VALU_DEP_1)
	v_mov_b32_e32 v149, v143
	v_pk_mul_f32 v[142:143], v[144:145], v[140:141] op_sel:[0,1]
	v_pk_fma_f32 v[146:147], v[144:145], v[138:139], v[142:143] op_sel:[0,0,1] op_sel_hi:[1,1,0] neg_lo:[0,0,1] neg_hi:[0,0,1]
	v_pk_fma_f32 v[142:143], v[144:145], v[138:139], v[142:143] op_sel:[0,0,1] op_sel_hi:[1,0,0]
	s_delay_alu instid0(VALU_DEP_1)
	v_mov_b32_e32 v147, v143
	ds_load_2addr_b64 v[142:145], v196 offset0:6 offset1:7
	v_pk_add_f32 v[26:27], v[26:27], v[148:149] neg_lo:[0,1] neg_hi:[0,1]
	v_pk_add_f32 v[22:23], v[22:23], v[146:147] neg_lo:[0,1] neg_hi:[0,1]
	s_wait_dscnt 0x0
	v_pk_mul_f32 v[146:147], v[142:143], v[140:141] op_sel:[0,1]
	s_delay_alu instid0(VALU_DEP_1) | instskip(SKIP_2) | instid1(VALU_DEP_2)
	v_pk_fma_f32 v[148:149], v[142:143], v[138:139], v[146:147] op_sel:[0,0,1] op_sel_hi:[1,1,0] neg_lo:[0,0,1] neg_hi:[0,0,1]
	v_pk_fma_f32 v[142:143], v[142:143], v[138:139], v[146:147] op_sel:[0,0,1] op_sel_hi:[1,0,0]
	v_dual_mul_f32 v146, v145, v141 :: v_dual_mov_b32 v142, v145
	v_dual_mov_b32 v149, v143 :: v_dual_mov_b32 v143, v144
	s_delay_alu instid0(VALU_DEP_2) | instskip(SKIP_1) | instid1(VALU_DEP_3)
	v_pk_fma_f32 v[146:147], v[144:145], v[44:45], v[146:147] op_sel_hi:[1,1,0] neg_lo:[0,0,1] neg_hi:[0,0,1]
	v_mul_f32_e32 v144, v145, v138
	v_pk_add_f32 v[24:25], v[24:25], v[148:149] neg_lo:[0,1] neg_hi:[0,1]
	s_delay_alu instid0(VALU_DEP_2) | instskip(NEXT) | instid1(VALU_DEP_1)
	v_pk_fma_f32 v[142:143], v[142:143], v[44:45], v[144:145] op_sel_hi:[1,1,0]
	v_mov_b32_e32 v147, v143
	ds_load_2addr_b64 v[142:145], v196 offset0:8 offset1:9
	v_pk_add_f32 v[74:75], v[74:75], v[146:147] neg_lo:[0,1] neg_hi:[0,1]
	s_wait_dscnt 0x0
	v_pk_mul_f32 v[146:147], v[142:143], v[140:141] op_sel:[0,1]
	s_delay_alu instid0(VALU_DEP_1) | instskip(SKIP_1) | instid1(VALU_DEP_1)
	v_pk_fma_f32 v[148:149], v[142:143], v[138:139], v[146:147] op_sel:[0,0,1] op_sel_hi:[1,1,0] neg_lo:[0,0,1] neg_hi:[0,0,1]
	v_pk_fma_f32 v[142:143], v[142:143], v[138:139], v[146:147] op_sel:[0,0,1] op_sel_hi:[1,0,0]
	v_mov_b32_e32 v149, v143
	v_pk_mul_f32 v[142:143], v[144:145], v[140:141] op_sel:[0,1]
	s_delay_alu instid0(VALU_DEP_1) | instskip(SKIP_1) | instid1(VALU_DEP_1)
	v_pk_fma_f32 v[146:147], v[144:145], v[138:139], v[142:143] op_sel:[0,0,1] op_sel_hi:[1,1,0] neg_lo:[0,0,1] neg_hi:[0,0,1]
	v_pk_fma_f32 v[142:143], v[144:145], v[138:139], v[142:143] op_sel:[0,0,1] op_sel_hi:[1,0,0]
	v_mov_b32_e32 v147, v143
	ds_load_2addr_b64 v[142:145], v196 offset0:10 offset1:11
	v_pk_add_f32 v[40:41], v[40:41], v[148:149] neg_lo:[0,1] neg_hi:[0,1]
	v_pk_add_f32 v[36:37], v[36:37], v[146:147] neg_lo:[0,1] neg_hi:[0,1]
	s_wait_dscnt 0x0
	v_pk_mul_f32 v[146:147], v[142:143], v[140:141] op_sel:[0,1]
	s_delay_alu instid0(VALU_DEP_1) | instskip(SKIP_1) | instid1(VALU_DEP_1)
	v_pk_fma_f32 v[148:149], v[142:143], v[138:139], v[146:147] op_sel:[0,0,1] op_sel_hi:[1,1,0] neg_lo:[0,0,1] neg_hi:[0,0,1]
	v_pk_fma_f32 v[142:143], v[142:143], v[138:139], v[146:147] op_sel:[0,0,1] op_sel_hi:[1,0,0]
	v_mov_b32_e32 v149, v143
	v_pk_mul_f32 v[142:143], v[144:145], v[140:141] op_sel:[0,1]
	s_delay_alu instid0(VALU_DEP_1) | instskip(SKIP_1) | instid1(VALU_DEP_1)
	v_pk_fma_f32 v[146:147], v[144:145], v[138:139], v[142:143] op_sel:[0,0,1] op_sel_hi:[1,1,0] neg_lo:[0,0,1] neg_hi:[0,0,1]
	v_pk_fma_f32 v[142:143], v[144:145], v[138:139], v[142:143] op_sel:[0,0,1] op_sel_hi:[1,0,0]
	v_mov_b32_e32 v147, v143
	ds_load_2addr_b64 v[142:145], v196 offset0:12 offset1:13
	v_pk_add_f32 v[38:39], v[38:39], v[148:149] neg_lo:[0,1] neg_hi:[0,1]
	v_pk_add_f32 v[34:35], v[34:35], v[146:147] neg_lo:[0,1] neg_hi:[0,1]
	s_wait_dscnt 0x0
	v_dual_mul_f32 v146, v143, v141 :: v_dual_mul_f32 v148, v143, v138
	s_delay_alu instid0(VALU_DEP_1) | instskip(NEXT) | instid1(VALU_DEP_2)
	v_pk_fma_f32 v[146:147], v[142:143], v[44:45], v[146:147] op_sel_hi:[1,1,0] neg_lo:[0,0,1] neg_hi:[0,0,1]
	v_pk_fma_f32 v[142:143], v[142:143], v[44:45], v[148:149] op_sel:[1,0,0] op_sel_hi:[0,1,0]
	s_delay_alu instid0(VALU_DEP_1) | instskip(SKIP_1) | instid1(VALU_DEP_2)
	v_mov_b32_e32 v147, v143
	v_pk_mul_f32 v[142:143], v[144:145], v[140:141] op_sel:[0,1]
	v_pk_add_f32 v[64:65], v[64:65], v[146:147] neg_lo:[0,1] neg_hi:[0,1]
	s_delay_alu instid0(VALU_DEP_2) | instskip(SKIP_1) | instid1(VALU_DEP_1)
	v_pk_fma_f32 v[146:147], v[144:145], v[138:139], v[142:143] op_sel:[0,0,1] op_sel_hi:[1,1,0] neg_lo:[0,0,1] neg_hi:[0,0,1]
	v_pk_fma_f32 v[142:143], v[144:145], v[138:139], v[142:143] op_sel:[0,0,1] op_sel_hi:[1,0,0]
	v_mov_b32_e32 v147, v143
	ds_load_2addr_b64 v[142:145], v196 offset0:14 offset1:15
	v_pk_add_f32 v[60:61], v[60:61], v[146:147] neg_lo:[0,1] neg_hi:[0,1]
	s_wait_dscnt 0x0
	v_pk_mul_f32 v[146:147], v[142:143], v[140:141] op_sel:[0,1]
	s_delay_alu instid0(VALU_DEP_1) | instskip(SKIP_1) | instid1(VALU_DEP_1)
	v_pk_fma_f32 v[148:149], v[142:143], v[138:139], v[146:147] op_sel:[0,0,1] op_sel_hi:[1,1,0] neg_lo:[0,0,1] neg_hi:[0,0,1]
	v_pk_fma_f32 v[142:143], v[142:143], v[138:139], v[146:147] op_sel:[0,0,1] op_sel_hi:[1,0,0]
	v_mov_b32_e32 v149, v143
	v_pk_mul_f32 v[142:143], v[144:145], v[140:141] op_sel:[0,1]
	s_delay_alu instid0(VALU_DEP_2) | instskip(NEXT) | instid1(VALU_DEP_2)
	v_pk_add_f32 v[62:63], v[62:63], v[148:149] neg_lo:[0,1] neg_hi:[0,1]
	v_pk_fma_f32 v[146:147], v[144:145], v[138:139], v[142:143] op_sel:[0,0,1] op_sel_hi:[1,1,0] neg_lo:[0,0,1] neg_hi:[0,0,1]
	v_pk_fma_f32 v[142:143], v[144:145], v[138:139], v[142:143] op_sel:[0,0,1] op_sel_hi:[1,0,0]
	s_delay_alu instid0(VALU_DEP_1) | instskip(SKIP_4) | instid1(VALU_DEP_1)
	v_mov_b32_e32 v147, v143
	ds_load_2addr_b64 v[142:145], v196 offset0:16 offset1:17
	v_pk_add_f32 v[58:59], v[58:59], v[146:147] neg_lo:[0,1] neg_hi:[0,1]
	s_wait_dscnt 0x0
	v_pk_mul_f32 v[146:147], v[142:143], v[140:141] op_sel:[0,1]
	v_pk_fma_f32 v[148:149], v[142:143], v[138:139], v[146:147] op_sel:[0,0,1] op_sel_hi:[1,1,0] neg_lo:[0,0,1] neg_hi:[0,0,1]
	v_pk_fma_f32 v[142:143], v[142:143], v[138:139], v[146:147] op_sel:[0,0,1] op_sel_hi:[1,0,0]
	v_dual_mul_f32 v146, v145, v141 :: v_dual_mov_b32 v142, v145
	s_delay_alu instid0(VALU_DEP_2) | instskip(NEXT) | instid1(VALU_DEP_2)
	v_dual_mov_b32 v149, v143 :: v_dual_mov_b32 v143, v144
	v_pk_fma_f32 v[146:147], v[144:145], v[44:45], v[146:147] op_sel_hi:[1,1,0] neg_lo:[0,0,1] neg_hi:[0,0,1]
	v_mul_f32_e32 v144, v145, v138
	s_delay_alu instid0(VALU_DEP_3) | instskip(NEXT) | instid1(VALU_DEP_2)
	v_pk_add_f32 v[82:83], v[82:83], v[148:149] neg_lo:[0,1] neg_hi:[0,1]
	v_pk_fma_f32 v[142:143], v[142:143], v[44:45], v[144:145] op_sel_hi:[1,1,0]
	s_delay_alu instid0(VALU_DEP_1) | instskip(SKIP_4) | instid1(VALU_DEP_1)
	v_mov_b32_e32 v147, v143
	ds_load_2addr_b64 v[142:145], v196 offset0:18 offset1:19
	v_pk_add_f32 v[78:79], v[78:79], v[146:147] neg_lo:[0,1] neg_hi:[0,1]
	s_wait_dscnt 0x0
	v_pk_mul_f32 v[146:147], v[142:143], v[140:141] op_sel:[0,1]
	v_pk_fma_f32 v[148:149], v[142:143], v[138:139], v[146:147] op_sel:[0,0,1] op_sel_hi:[1,1,0] neg_lo:[0,0,1] neg_hi:[0,0,1]
	v_pk_fma_f32 v[142:143], v[142:143], v[138:139], v[146:147] op_sel:[0,0,1] op_sel_hi:[1,0,0]
	s_delay_alu instid0(VALU_DEP_1) | instskip(SKIP_1) | instid1(VALU_DEP_1)
	v_mov_b32_e32 v149, v143
	v_pk_mul_f32 v[142:143], v[144:145], v[140:141] op_sel:[0,1]
	v_pk_fma_f32 v[146:147], v[144:145], v[138:139], v[142:143] op_sel:[0,0,1] op_sel_hi:[1,1,0] neg_lo:[0,0,1] neg_hi:[0,0,1]
	v_pk_fma_f32 v[142:143], v[144:145], v[138:139], v[142:143] op_sel:[0,0,1] op_sel_hi:[1,0,0]
	s_delay_alu instid0(VALU_DEP_1)
	v_mov_b32_e32 v147, v143
	ds_load_2addr_b64 v[142:145], v196 offset0:20 offset1:21
	v_pk_add_f32 v[80:81], v[80:81], v[148:149] neg_lo:[0,1] neg_hi:[0,1]
	v_pk_add_f32 v[76:77], v[76:77], v[146:147] neg_lo:[0,1] neg_hi:[0,1]
	s_wait_dscnt 0x0
	v_pk_mul_f32 v[146:147], v[142:143], v[140:141] op_sel:[0,1]
	s_delay_alu instid0(VALU_DEP_1) | instskip(SKIP_1) | instid1(VALU_DEP_1)
	v_pk_fma_f32 v[148:149], v[142:143], v[138:139], v[146:147] op_sel:[0,0,1] op_sel_hi:[1,1,0] neg_lo:[0,0,1] neg_hi:[0,0,1]
	v_pk_fma_f32 v[142:143], v[142:143], v[138:139], v[146:147] op_sel:[0,0,1] op_sel_hi:[1,0,0]
	v_mov_b32_e32 v149, v143
	v_pk_mul_f32 v[142:143], v[144:145], v[140:141] op_sel:[0,1]
	s_delay_alu instid0(VALU_DEP_1) | instskip(SKIP_1) | instid1(VALU_DEP_1)
	v_pk_fma_f32 v[146:147], v[144:145], v[138:139], v[142:143] op_sel:[0,0,1] op_sel_hi:[1,1,0] neg_lo:[0,0,1] neg_hi:[0,0,1]
	v_pk_fma_f32 v[142:143], v[144:145], v[138:139], v[142:143] op_sel:[0,0,1] op_sel_hi:[1,0,0]
	v_mov_b32_e32 v147, v143
	ds_load_2addr_b64 v[142:145], v196 offset0:22 offset1:23
	v_pk_add_f32 v[102:103], v[102:103], v[148:149] neg_lo:[0,1] neg_hi:[0,1]
	v_pk_add_f32 v[98:99], v[98:99], v[146:147] neg_lo:[0,1] neg_hi:[0,1]
	s_wait_dscnt 0x0
	v_dual_mul_f32 v146, v143, v141 :: v_dual_mul_f32 v148, v143, v138
	s_delay_alu instid0(VALU_DEP_1) | instskip(NEXT) | instid1(VALU_DEP_2)
	v_pk_fma_f32 v[146:147], v[142:143], v[44:45], v[146:147] op_sel_hi:[1,1,0] neg_lo:[0,0,1] neg_hi:[0,0,1]
	v_pk_fma_f32 v[142:143], v[142:143], v[44:45], v[148:149] op_sel:[1,0,0] op_sel_hi:[0,1,0]
	s_delay_alu instid0(VALU_DEP_1) | instskip(SKIP_1) | instid1(VALU_DEP_2)
	v_mov_b32_e32 v147, v143
	v_pk_mul_f32 v[142:143], v[144:145], v[140:141] op_sel:[0,1]
	v_pk_add_f32 v[100:101], v[100:101], v[146:147] neg_lo:[0,1] neg_hi:[0,1]
	s_delay_alu instid0(VALU_DEP_2) | instskip(SKIP_1) | instid1(VALU_DEP_1)
	v_pk_fma_f32 v[146:147], v[144:145], v[138:139], v[142:143] op_sel:[0,0,1] op_sel_hi:[1,1,0] neg_lo:[0,0,1] neg_hi:[0,0,1]
	v_pk_fma_f32 v[142:143], v[144:145], v[138:139], v[142:143] op_sel:[0,0,1] op_sel_hi:[1,0,0]
	v_mov_b32_e32 v147, v143
	ds_load_2addr_b64 v[142:145], v196 offset0:24 offset1:25
	v_pk_add_f32 v[96:97], v[96:97], v[146:147] neg_lo:[0,1] neg_hi:[0,1]
	s_wait_dscnt 0x0
	v_pk_mul_f32 v[146:147], v[142:143], v[140:141] op_sel:[0,1]
	s_delay_alu instid0(VALU_DEP_1) | instskip(SKIP_1) | instid1(VALU_DEP_1)
	v_pk_fma_f32 v[148:149], v[142:143], v[138:139], v[146:147] op_sel:[0,0,1] op_sel_hi:[1,1,0] neg_lo:[0,0,1] neg_hi:[0,0,1]
	v_pk_fma_f32 v[142:143], v[142:143], v[138:139], v[146:147] op_sel:[0,0,1] op_sel_hi:[1,0,0]
	v_mov_b32_e32 v149, v143
	v_pk_mul_f32 v[142:143], v[144:145], v[140:141] op_sel:[0,1]
	s_delay_alu instid0(VALU_DEP_2) | instskip(NEXT) | instid1(VALU_DEP_2)
	v_pk_add_f32 v[120:121], v[120:121], v[148:149] neg_lo:[0,1] neg_hi:[0,1]
	v_pk_fma_f32 v[146:147], v[144:145], v[138:139], v[142:143] op_sel:[0,0,1] op_sel_hi:[1,1,0] neg_lo:[0,0,1] neg_hi:[0,0,1]
	v_pk_fma_f32 v[142:143], v[144:145], v[138:139], v[142:143] op_sel:[0,0,1] op_sel_hi:[1,0,0]
	s_delay_alu instid0(VALU_DEP_1) | instskip(SKIP_4) | instid1(VALU_DEP_1)
	v_mov_b32_e32 v147, v143
	ds_load_2addr_b64 v[142:145], v196 offset0:26 offset1:27
	v_pk_add_f32 v[116:117], v[116:117], v[146:147] neg_lo:[0,1] neg_hi:[0,1]
	s_wait_dscnt 0x0
	v_pk_mul_f32 v[146:147], v[142:143], v[140:141] op_sel:[0,1]
	v_pk_fma_f32 v[148:149], v[142:143], v[138:139], v[146:147] op_sel:[0,0,1] op_sel_hi:[1,1,0] neg_lo:[0,0,1] neg_hi:[0,0,1]
	v_pk_fma_f32 v[142:143], v[142:143], v[138:139], v[146:147] op_sel:[0,0,1] op_sel_hi:[1,0,0]
	v_dual_mul_f32 v146, v145, v141 :: v_dual_mov_b32 v142, v145
	s_delay_alu instid0(VALU_DEP_2) | instskip(NEXT) | instid1(VALU_DEP_2)
	v_dual_mov_b32 v149, v143 :: v_dual_mov_b32 v143, v144
	v_pk_fma_f32 v[146:147], v[144:145], v[44:45], v[146:147] op_sel_hi:[1,1,0] neg_lo:[0,0,1] neg_hi:[0,0,1]
	v_mul_f32_e32 v144, v145, v138
	s_delay_alu instid0(VALU_DEP_3) | instskip(NEXT) | instid1(VALU_DEP_2)
	v_pk_add_f32 v[118:119], v[118:119], v[148:149] neg_lo:[0,1] neg_hi:[0,1]
	v_pk_fma_f32 v[142:143], v[142:143], v[44:45], v[144:145] op_sel_hi:[1,1,0]
	s_delay_alu instid0(VALU_DEP_1) | instskip(SKIP_4) | instid1(VALU_DEP_1)
	v_mov_b32_e32 v147, v143
	ds_load_2addr_b64 v[142:145], v196 offset0:28 offset1:29
	v_pk_add_f32 v[114:115], v[114:115], v[146:147] neg_lo:[0,1] neg_hi:[0,1]
	s_wait_dscnt 0x0
	v_pk_mul_f32 v[146:147], v[142:143], v[140:141] op_sel:[0,1]
	v_pk_fma_f32 v[148:149], v[142:143], v[138:139], v[146:147] op_sel:[0,0,1] op_sel_hi:[1,1,0] neg_lo:[0,0,1] neg_hi:[0,0,1]
	v_pk_fma_f32 v[142:143], v[142:143], v[138:139], v[146:147] op_sel:[0,0,1] op_sel_hi:[1,0,0]
	s_delay_alu instid0(VALU_DEP_1) | instskip(SKIP_1) | instid1(VALU_DEP_1)
	v_mov_b32_e32 v149, v143
	v_pk_mul_f32 v[142:143], v[144:145], v[140:141] op_sel:[0,1]
	v_pk_fma_f32 v[146:147], v[144:145], v[138:139], v[142:143] op_sel:[0,0,1] op_sel_hi:[1,1,0] neg_lo:[0,0,1] neg_hi:[0,0,1]
	v_pk_fma_f32 v[142:143], v[144:145], v[138:139], v[142:143] op_sel:[0,0,1] op_sel_hi:[1,0,0]
	s_delay_alu instid0(VALU_DEP_1)
	v_mov_b32_e32 v147, v143
	ds_load_2addr_b64 v[142:145], v196 offset0:30 offset1:31
	v_pk_add_f32 v[126:127], v[126:127], v[148:149] neg_lo:[0,1] neg_hi:[0,1]
	v_pk_add_f32 v[124:125], v[124:125], v[146:147] neg_lo:[0,1] neg_hi:[0,1]
	s_wait_dscnt 0x0
	v_pk_mul_f32 v[146:147], v[142:143], v[140:141] op_sel:[0,1]
	v_pk_mul_f32 v[140:141], v[144:145], v[140:141] op_sel:[0,1]
	s_delay_alu instid0(VALU_DEP_2) | instskip(SKIP_1) | instid1(VALU_DEP_1)
	v_pk_fma_f32 v[148:149], v[142:143], v[138:139], v[146:147] op_sel:[0,0,1] op_sel_hi:[1,1,0] neg_lo:[0,0,1] neg_hi:[0,0,1]
	v_pk_fma_f32 v[142:143], v[142:143], v[138:139], v[146:147] op_sel:[0,0,1] op_sel_hi:[1,0,0]
	v_mov_b32_e32 v149, v143
	s_delay_alu instid0(VALU_DEP_4) | instskip(SKIP_1) | instid1(VALU_DEP_1)
	v_pk_fma_f32 v[142:143], v[144:145], v[138:139], v[140:141] op_sel:[0,0,1] op_sel_hi:[1,1,0] neg_lo:[0,0,1] neg_hi:[0,0,1]
	v_pk_fma_f32 v[138:139], v[144:145], v[138:139], v[140:141] op_sel:[0,0,1] op_sel_hi:[1,0,0]
	v_mov_b32_e32 v143, v139
	s_delay_alu instid0(VALU_DEP_4) | instskip(NEXT) | instid1(VALU_DEP_2)
	v_pk_add_f32 v[122:123], v[122:123], v[148:149] neg_lo:[0,1] neg_hi:[0,1]
	v_pk_add_f32 v[128:129], v[128:129], v[142:143] neg_lo:[0,1] neg_hi:[0,1]
.LBB63_37:
	s_or_b32 exec_lo, exec_lo, s1
	s_delay_alu instid0(SALU_CYCLE_1)
	s_mov_b32 s2, exec_lo
	s_wait_dscnt 0x0
	s_barrier_signal -1
	s_barrier_wait -1
	v_cmpx_eq_u32_e32 4, v194
	s_cbranch_execz .LBB63_44
; %bb.38:
	ds_store_b64 v195, v[26:27]
	ds_store_2addr_b64 v196, v[22:23], v[24:25] offset0:5 offset1:6
	ds_store_2addr_b64 v196, v[74:75], v[40:41] offset0:7 offset1:8
	;; [unrolled: 1-line block ×13, first 2 shown]
	ds_store_b64 v196, v[128:129] offset:248
	ds_load_b64 v[138:139], v195
	s_wait_dscnt 0x0
	v_cmp_neq_f32_e32 vcc_lo, 0, v138
	v_cmp_neq_f32_e64 s1, 0, v139
	s_or_b32 s1, vcc_lo, s1
	s_delay_alu instid0(SALU_CYCLE_1)
	s_and_b32 exec_lo, exec_lo, s1
	s_cbranch_execz .LBB63_44
; %bb.39:
	v_cmp_ngt_f32_e64 s1, |v138|, |v139|
                                        ; implicit-def: $vgpr140_vgpr141
	s_and_saveexec_b32 s4, s1
	s_delay_alu instid0(SALU_CYCLE_1)
	s_xor_b32 s1, exec_lo, s4
	s_cbranch_execz .LBB63_41
; %bb.40:
	v_div_scale_f32 v140, null, v139, v139, v138
	v_div_scale_f32 v143, vcc_lo, v138, v139, v138
	s_delay_alu instid0(VALU_DEP_2) | instskip(SKIP_1) | instid1(TRANS32_DEP_1)
	v_rcp_f32_e32 v141, v140
	v_nop
	v_fma_f32 v142, -v140, v141, 1.0
	s_delay_alu instid0(VALU_DEP_1) | instskip(NEXT) | instid1(VALU_DEP_1)
	v_fmac_f32_e32 v141, v142, v141
	v_mul_f32_e32 v142, v143, v141
	s_delay_alu instid0(VALU_DEP_1) | instskip(NEXT) | instid1(VALU_DEP_1)
	v_fma_f32 v144, -v140, v142, v143
	v_fmac_f32_e32 v142, v144, v141
	s_delay_alu instid0(VALU_DEP_1) | instskip(NEXT) | instid1(VALU_DEP_1)
	v_fma_f32 v140, -v140, v142, v143
	v_div_fmas_f32 v140, v140, v141, v142
	s_delay_alu instid0(VALU_DEP_1) | instskip(NEXT) | instid1(VALU_DEP_1)
	v_div_fixup_f32 v140, v140, v139, v138
	v_fmac_f32_e32 v139, v138, v140
	s_delay_alu instid0(VALU_DEP_1) | instskip(SKIP_1) | instid1(VALU_DEP_2)
	v_div_scale_f32 v138, null, v139, v139, 1.0
	v_div_scale_f32 v143, vcc_lo, 1.0, v139, 1.0
	v_rcp_f32_e32 v141, v138
	v_nop
	s_delay_alu instid0(TRANS32_DEP_1) | instskip(NEXT) | instid1(VALU_DEP_1)
	v_fma_f32 v142, -v138, v141, 1.0
	v_fmac_f32_e32 v141, v142, v141
	s_delay_alu instid0(VALU_DEP_1) | instskip(NEXT) | instid1(VALU_DEP_1)
	v_mul_f32_e32 v142, v143, v141
	v_fma_f32 v144, -v138, v142, v143
	s_delay_alu instid0(VALU_DEP_1) | instskip(NEXT) | instid1(VALU_DEP_1)
	v_fmac_f32_e32 v142, v144, v141
	v_fma_f32 v138, -v138, v142, v143
	s_delay_alu instid0(VALU_DEP_1) | instskip(NEXT) | instid1(VALU_DEP_1)
	v_div_fmas_f32 v138, v138, v141, v142
	v_div_fixup_f32 v138, v138, v139, 1.0
	s_delay_alu instid0(VALU_DEP_1)
	v_mul_f32_e32 v140, v140, v138
	v_xor_b32_e32 v141, 0x80000000, v138
                                        ; implicit-def: $vgpr138_vgpr139
.LBB63_41:
	s_and_not1_saveexec_b32 s1, s1
	s_cbranch_execz .LBB63_43
; %bb.42:
	v_div_scale_f32 v140, null, v138, v138, v139
	v_div_scale_f32 v143, vcc_lo, v139, v138, v139
	s_delay_alu instid0(VALU_DEP_2) | instskip(SKIP_1) | instid1(TRANS32_DEP_1)
	v_rcp_f32_e32 v141, v140
	v_nop
	v_fma_f32 v142, -v140, v141, 1.0
	s_delay_alu instid0(VALU_DEP_1) | instskip(NEXT) | instid1(VALU_DEP_1)
	v_fmac_f32_e32 v141, v142, v141
	v_mul_f32_e32 v142, v143, v141
	s_delay_alu instid0(VALU_DEP_1) | instskip(NEXT) | instid1(VALU_DEP_1)
	v_fma_f32 v144, -v140, v142, v143
	v_fmac_f32_e32 v142, v144, v141
	s_delay_alu instid0(VALU_DEP_1) | instskip(NEXT) | instid1(VALU_DEP_1)
	v_fma_f32 v140, -v140, v142, v143
	v_div_fmas_f32 v140, v140, v141, v142
	s_delay_alu instid0(VALU_DEP_1) | instskip(NEXT) | instid1(VALU_DEP_1)
	v_div_fixup_f32 v141, v140, v138, v139
	v_fmac_f32_e32 v138, v139, v141
	s_delay_alu instid0(VALU_DEP_1) | instskip(NEXT) | instid1(VALU_DEP_1)
	v_div_scale_f32 v139, null, v138, v138, 1.0
	v_rcp_f32_e32 v140, v139
	v_nop
	s_delay_alu instid0(TRANS32_DEP_1) | instskip(NEXT) | instid1(VALU_DEP_1)
	v_fma_f32 v142, -v139, v140, 1.0
	v_fmac_f32_e32 v140, v142, v140
	v_div_scale_f32 v142, vcc_lo, 1.0, v138, 1.0
	s_delay_alu instid0(VALU_DEP_1) | instskip(NEXT) | instid1(VALU_DEP_1)
	v_mul_f32_e32 v143, v142, v140
	v_fma_f32 v144, -v139, v143, v142
	s_delay_alu instid0(VALU_DEP_1) | instskip(NEXT) | instid1(VALU_DEP_1)
	v_fmac_f32_e32 v143, v144, v140
	v_fma_f32 v139, -v139, v143, v142
	s_delay_alu instid0(VALU_DEP_1) | instskip(NEXT) | instid1(VALU_DEP_1)
	v_div_fmas_f32 v139, v139, v140, v143
	v_div_fixup_f32 v140, v139, v138, 1.0
	s_delay_alu instid0(VALU_DEP_1)
	v_mul_f32_e64 v141, v141, -v140
.LBB63_43:
	s_or_b32 exec_lo, exec_lo, s1
	ds_store_b64 v195, v[140:141]
.LBB63_44:
	s_or_b32 exec_lo, exec_lo, s2
	s_wait_dscnt 0x0
	s_barrier_signal -1
	s_barrier_wait -1
	ds_load_b64 v[138:139], v195
	s_mov_b32 s1, exec_lo
	v_cmpx_lt_u32_e32 4, v194
	s_cbranch_execz .LBB63_46
; %bb.45:
	ds_load_2addr_b64 v[144:147], v196 offset0:5 offset1:6
	s_wait_dscnt 0x1
	v_pk_mul_f32 v[142:143], v[138:139], v[26:27] op_sel:[1,1] op_sel_hi:[0,1]
	s_delay_alu instid0(VALU_DEP_1) | instskip(SKIP_1) | instid1(VALU_DEP_1)
	v_pk_fma_f32 v[140:141], v[138:139], v[26:27], v[142:143] op_sel_hi:[1,0,1] neg_lo:[0,0,1] neg_hi:[0,0,1]
	v_pk_fma_f32 v[142:143], v[138:139], v[26:27], v[142:143] op_sel_hi:[1,0,1]
	v_dual_mov_b32 v26, v140 :: v_dual_mov_b32 v27, v143
	s_wait_dscnt 0x0
	s_delay_alu instid0(VALU_DEP_2) | instskip(NEXT) | instid1(VALU_DEP_1)
	v_pk_mul_f32 v[148:149], v[144:145], v[142:143] op_sel:[0,1]
	v_pk_fma_f32 v[150:151], v[144:145], v[140:141], v[148:149] op_sel:[0,0,1] op_sel_hi:[1,1,0] neg_lo:[0,0,1] neg_hi:[0,0,1]
	v_pk_fma_f32 v[144:145], v[144:145], v[140:141], v[148:149] op_sel:[0,0,1] op_sel_hi:[1,0,0]
	s_delay_alu instid0(VALU_DEP_1) | instskip(SKIP_1) | instid1(VALU_DEP_1)
	v_mov_b32_e32 v151, v145
	v_pk_mul_f32 v[144:145], v[146:147], v[142:143] op_sel:[0,1]
	v_pk_fma_f32 v[148:149], v[146:147], v[140:141], v[144:145] op_sel:[0,0,1] op_sel_hi:[1,1,0] neg_lo:[0,0,1] neg_hi:[0,0,1]
	v_pk_fma_f32 v[144:145], v[146:147], v[140:141], v[144:145] op_sel:[0,0,1] op_sel_hi:[1,0,0]
	s_delay_alu instid0(VALU_DEP_1)
	v_mov_b32_e32 v149, v145
	ds_load_2addr_b64 v[144:147], v196 offset0:7 offset1:8
	v_pk_add_f32 v[22:23], v[22:23], v[150:151] neg_lo:[0,1] neg_hi:[0,1]
	v_pk_add_f32 v[24:25], v[24:25], v[148:149] neg_lo:[0,1] neg_hi:[0,1]
	s_wait_dscnt 0x0
	v_pk_mul_f32 v[148:149], v[144:145], v[142:143] op_sel:[0,1]
	s_delay_alu instid0(VALU_DEP_1) | instskip(SKIP_2) | instid1(VALU_DEP_2)
	v_pk_fma_f32 v[150:151], v[144:145], v[140:141], v[148:149] op_sel:[0,0,1] op_sel_hi:[1,1,0] neg_lo:[0,0,1] neg_hi:[0,0,1]
	v_pk_fma_f32 v[144:145], v[144:145], v[140:141], v[148:149] op_sel:[0,0,1] op_sel_hi:[1,0,0]
	v_dual_mul_f32 v148, v147, v143 :: v_dual_mov_b32 v144, v147
	v_dual_mov_b32 v151, v145 :: v_dual_mov_b32 v145, v146
	s_delay_alu instid0(VALU_DEP_2) | instskip(SKIP_1) | instid1(VALU_DEP_3)
	v_pk_fma_f32 v[148:149], v[146:147], v[26:27], v[148:149] op_sel_hi:[1,1,0] neg_lo:[0,0,1] neg_hi:[0,0,1]
	v_mul_f32_e32 v146, v147, v140
	v_pk_add_f32 v[74:75], v[74:75], v[150:151] neg_lo:[0,1] neg_hi:[0,1]
	s_delay_alu instid0(VALU_DEP_2) | instskip(NEXT) | instid1(VALU_DEP_1)
	v_pk_fma_f32 v[144:145], v[144:145], v[26:27], v[146:147] op_sel_hi:[1,1,0]
	v_mov_b32_e32 v149, v145
	ds_load_2addr_b64 v[144:147], v196 offset0:9 offset1:10
	v_pk_add_f32 v[40:41], v[40:41], v[148:149] neg_lo:[0,1] neg_hi:[0,1]
	s_wait_dscnt 0x0
	v_pk_mul_f32 v[148:149], v[144:145], v[142:143] op_sel:[0,1]
	s_delay_alu instid0(VALU_DEP_1) | instskip(SKIP_1) | instid1(VALU_DEP_1)
	v_pk_fma_f32 v[150:151], v[144:145], v[140:141], v[148:149] op_sel:[0,0,1] op_sel_hi:[1,1,0] neg_lo:[0,0,1] neg_hi:[0,0,1]
	v_pk_fma_f32 v[144:145], v[144:145], v[140:141], v[148:149] op_sel:[0,0,1] op_sel_hi:[1,0,0]
	v_mov_b32_e32 v151, v145
	v_pk_mul_f32 v[144:145], v[146:147], v[142:143] op_sel:[0,1]
	s_delay_alu instid0(VALU_DEP_1) | instskip(SKIP_1) | instid1(VALU_DEP_1)
	v_pk_fma_f32 v[148:149], v[146:147], v[140:141], v[144:145] op_sel:[0,0,1] op_sel_hi:[1,1,0] neg_lo:[0,0,1] neg_hi:[0,0,1]
	v_pk_fma_f32 v[144:145], v[146:147], v[140:141], v[144:145] op_sel:[0,0,1] op_sel_hi:[1,0,0]
	v_mov_b32_e32 v149, v145
	ds_load_2addr_b64 v[144:147], v196 offset0:11 offset1:12
	v_pk_add_f32 v[36:37], v[36:37], v[150:151] neg_lo:[0,1] neg_hi:[0,1]
	v_pk_add_f32 v[38:39], v[38:39], v[148:149] neg_lo:[0,1] neg_hi:[0,1]
	s_wait_dscnt 0x0
	v_pk_mul_f32 v[148:149], v[144:145], v[142:143] op_sel:[0,1]
	s_delay_alu instid0(VALU_DEP_1) | instskip(SKIP_1) | instid1(VALU_DEP_1)
	v_pk_fma_f32 v[150:151], v[144:145], v[140:141], v[148:149] op_sel:[0,0,1] op_sel_hi:[1,1,0] neg_lo:[0,0,1] neg_hi:[0,0,1]
	v_pk_fma_f32 v[144:145], v[144:145], v[140:141], v[148:149] op_sel:[0,0,1] op_sel_hi:[1,0,0]
	v_mov_b32_e32 v151, v145
	v_pk_mul_f32 v[144:145], v[146:147], v[142:143] op_sel:[0,1]
	s_delay_alu instid0(VALU_DEP_1) | instskip(SKIP_1) | instid1(VALU_DEP_1)
	v_pk_fma_f32 v[148:149], v[146:147], v[140:141], v[144:145] op_sel:[0,0,1] op_sel_hi:[1,1,0] neg_lo:[0,0,1] neg_hi:[0,0,1]
	v_pk_fma_f32 v[144:145], v[146:147], v[140:141], v[144:145] op_sel:[0,0,1] op_sel_hi:[1,0,0]
	v_mov_b32_e32 v149, v145
	ds_load_2addr_b64 v[144:147], v196 offset0:13 offset1:14
	v_pk_add_f32 v[34:35], v[34:35], v[150:151] neg_lo:[0,1] neg_hi:[0,1]
	v_pk_add_f32 v[64:65], v[64:65], v[148:149] neg_lo:[0,1] neg_hi:[0,1]
	s_wait_dscnt 0x0
	v_dual_mul_f32 v148, v145, v143 :: v_dual_mul_f32 v150, v145, v140
	s_delay_alu instid0(VALU_DEP_1) | instskip(NEXT) | instid1(VALU_DEP_2)
	v_pk_fma_f32 v[148:149], v[144:145], v[26:27], v[148:149] op_sel_hi:[1,1,0] neg_lo:[0,0,1] neg_hi:[0,0,1]
	v_pk_fma_f32 v[144:145], v[144:145], v[26:27], v[150:151] op_sel:[1,0,0] op_sel_hi:[0,1,0]
	s_delay_alu instid0(VALU_DEP_1) | instskip(SKIP_1) | instid1(VALU_DEP_2)
	v_mov_b32_e32 v149, v145
	v_pk_mul_f32 v[144:145], v[146:147], v[142:143] op_sel:[0,1]
	v_pk_add_f32 v[60:61], v[60:61], v[148:149] neg_lo:[0,1] neg_hi:[0,1]
	s_delay_alu instid0(VALU_DEP_2) | instskip(SKIP_1) | instid1(VALU_DEP_1)
	v_pk_fma_f32 v[148:149], v[146:147], v[140:141], v[144:145] op_sel:[0,0,1] op_sel_hi:[1,1,0] neg_lo:[0,0,1] neg_hi:[0,0,1]
	v_pk_fma_f32 v[144:145], v[146:147], v[140:141], v[144:145] op_sel:[0,0,1] op_sel_hi:[1,0,0]
	v_mov_b32_e32 v149, v145
	ds_load_2addr_b64 v[144:147], v196 offset0:15 offset1:16
	v_pk_add_f32 v[62:63], v[62:63], v[148:149] neg_lo:[0,1] neg_hi:[0,1]
	s_wait_dscnt 0x0
	v_pk_mul_f32 v[148:149], v[144:145], v[142:143] op_sel:[0,1]
	s_delay_alu instid0(VALU_DEP_1) | instskip(SKIP_1) | instid1(VALU_DEP_1)
	v_pk_fma_f32 v[150:151], v[144:145], v[140:141], v[148:149] op_sel:[0,0,1] op_sel_hi:[1,1,0] neg_lo:[0,0,1] neg_hi:[0,0,1]
	v_pk_fma_f32 v[144:145], v[144:145], v[140:141], v[148:149] op_sel:[0,0,1] op_sel_hi:[1,0,0]
	v_mov_b32_e32 v151, v145
	v_pk_mul_f32 v[144:145], v[146:147], v[142:143] op_sel:[0,1]
	s_delay_alu instid0(VALU_DEP_2) | instskip(NEXT) | instid1(VALU_DEP_2)
	v_pk_add_f32 v[58:59], v[58:59], v[150:151] neg_lo:[0,1] neg_hi:[0,1]
	v_pk_fma_f32 v[148:149], v[146:147], v[140:141], v[144:145] op_sel:[0,0,1] op_sel_hi:[1,1,0] neg_lo:[0,0,1] neg_hi:[0,0,1]
	v_pk_fma_f32 v[144:145], v[146:147], v[140:141], v[144:145] op_sel:[0,0,1] op_sel_hi:[1,0,0]
	s_delay_alu instid0(VALU_DEP_1) | instskip(SKIP_4) | instid1(VALU_DEP_1)
	v_mov_b32_e32 v149, v145
	ds_load_2addr_b64 v[144:147], v196 offset0:17 offset1:18
	v_pk_add_f32 v[82:83], v[82:83], v[148:149] neg_lo:[0,1] neg_hi:[0,1]
	s_wait_dscnt 0x0
	v_pk_mul_f32 v[148:149], v[144:145], v[142:143] op_sel:[0,1]
	v_pk_fma_f32 v[150:151], v[144:145], v[140:141], v[148:149] op_sel:[0,0,1] op_sel_hi:[1,1,0] neg_lo:[0,0,1] neg_hi:[0,0,1]
	v_pk_fma_f32 v[144:145], v[144:145], v[140:141], v[148:149] op_sel:[0,0,1] op_sel_hi:[1,0,0]
	v_dual_mul_f32 v148, v147, v143 :: v_dual_mov_b32 v144, v147
	s_delay_alu instid0(VALU_DEP_2) | instskip(NEXT) | instid1(VALU_DEP_2)
	v_dual_mov_b32 v151, v145 :: v_dual_mov_b32 v145, v146
	v_pk_fma_f32 v[148:149], v[146:147], v[26:27], v[148:149] op_sel_hi:[1,1,0] neg_lo:[0,0,1] neg_hi:[0,0,1]
	v_mul_f32_e32 v146, v147, v140
	s_delay_alu instid0(VALU_DEP_3) | instskip(NEXT) | instid1(VALU_DEP_2)
	v_pk_add_f32 v[78:79], v[78:79], v[150:151] neg_lo:[0,1] neg_hi:[0,1]
	v_pk_fma_f32 v[144:145], v[144:145], v[26:27], v[146:147] op_sel_hi:[1,1,0]
	s_delay_alu instid0(VALU_DEP_1) | instskip(SKIP_4) | instid1(VALU_DEP_1)
	v_mov_b32_e32 v149, v145
	ds_load_2addr_b64 v[144:147], v196 offset0:19 offset1:20
	v_pk_add_f32 v[80:81], v[80:81], v[148:149] neg_lo:[0,1] neg_hi:[0,1]
	s_wait_dscnt 0x0
	v_pk_mul_f32 v[148:149], v[144:145], v[142:143] op_sel:[0,1]
	v_pk_fma_f32 v[150:151], v[144:145], v[140:141], v[148:149] op_sel:[0,0,1] op_sel_hi:[1,1,0] neg_lo:[0,0,1] neg_hi:[0,0,1]
	v_pk_fma_f32 v[144:145], v[144:145], v[140:141], v[148:149] op_sel:[0,0,1] op_sel_hi:[1,0,0]
	s_delay_alu instid0(VALU_DEP_1) | instskip(SKIP_1) | instid1(VALU_DEP_1)
	v_mov_b32_e32 v151, v145
	v_pk_mul_f32 v[144:145], v[146:147], v[142:143] op_sel:[0,1]
	v_pk_fma_f32 v[148:149], v[146:147], v[140:141], v[144:145] op_sel:[0,0,1] op_sel_hi:[1,1,0] neg_lo:[0,0,1] neg_hi:[0,0,1]
	v_pk_fma_f32 v[144:145], v[146:147], v[140:141], v[144:145] op_sel:[0,0,1] op_sel_hi:[1,0,0]
	s_delay_alu instid0(VALU_DEP_1)
	v_mov_b32_e32 v149, v145
	ds_load_2addr_b64 v[144:147], v196 offset0:21 offset1:22
	v_pk_add_f32 v[76:77], v[76:77], v[150:151] neg_lo:[0,1] neg_hi:[0,1]
	v_pk_add_f32 v[102:103], v[102:103], v[148:149] neg_lo:[0,1] neg_hi:[0,1]
	s_wait_dscnt 0x0
	v_pk_mul_f32 v[148:149], v[144:145], v[142:143] op_sel:[0,1]
	s_delay_alu instid0(VALU_DEP_1) | instskip(SKIP_1) | instid1(VALU_DEP_1)
	v_pk_fma_f32 v[150:151], v[144:145], v[140:141], v[148:149] op_sel:[0,0,1] op_sel_hi:[1,1,0] neg_lo:[0,0,1] neg_hi:[0,0,1]
	v_pk_fma_f32 v[144:145], v[144:145], v[140:141], v[148:149] op_sel:[0,0,1] op_sel_hi:[1,0,0]
	v_mov_b32_e32 v151, v145
	v_pk_mul_f32 v[144:145], v[146:147], v[142:143] op_sel:[0,1]
	s_delay_alu instid0(VALU_DEP_1) | instskip(SKIP_1) | instid1(VALU_DEP_1)
	v_pk_fma_f32 v[148:149], v[146:147], v[140:141], v[144:145] op_sel:[0,0,1] op_sel_hi:[1,1,0] neg_lo:[0,0,1] neg_hi:[0,0,1]
	v_pk_fma_f32 v[144:145], v[146:147], v[140:141], v[144:145] op_sel:[0,0,1] op_sel_hi:[1,0,0]
	v_mov_b32_e32 v149, v145
	ds_load_2addr_b64 v[144:147], v196 offset0:23 offset1:24
	v_pk_add_f32 v[98:99], v[98:99], v[150:151] neg_lo:[0,1] neg_hi:[0,1]
	v_pk_add_f32 v[100:101], v[100:101], v[148:149] neg_lo:[0,1] neg_hi:[0,1]
	s_wait_dscnt 0x0
	v_dual_mul_f32 v148, v145, v143 :: v_dual_mul_f32 v150, v145, v140
	s_delay_alu instid0(VALU_DEP_1) | instskip(NEXT) | instid1(VALU_DEP_2)
	v_pk_fma_f32 v[148:149], v[144:145], v[26:27], v[148:149] op_sel_hi:[1,1,0] neg_lo:[0,0,1] neg_hi:[0,0,1]
	v_pk_fma_f32 v[144:145], v[144:145], v[26:27], v[150:151] op_sel:[1,0,0] op_sel_hi:[0,1,0]
	s_delay_alu instid0(VALU_DEP_1) | instskip(SKIP_1) | instid1(VALU_DEP_2)
	v_mov_b32_e32 v149, v145
	v_pk_mul_f32 v[144:145], v[146:147], v[142:143] op_sel:[0,1]
	v_pk_add_f32 v[96:97], v[96:97], v[148:149] neg_lo:[0,1] neg_hi:[0,1]
	s_delay_alu instid0(VALU_DEP_2) | instskip(SKIP_1) | instid1(VALU_DEP_1)
	v_pk_fma_f32 v[148:149], v[146:147], v[140:141], v[144:145] op_sel:[0,0,1] op_sel_hi:[1,1,0] neg_lo:[0,0,1] neg_hi:[0,0,1]
	v_pk_fma_f32 v[144:145], v[146:147], v[140:141], v[144:145] op_sel:[0,0,1] op_sel_hi:[1,0,0]
	v_mov_b32_e32 v149, v145
	ds_load_2addr_b64 v[144:147], v196 offset0:25 offset1:26
	v_pk_add_f32 v[120:121], v[120:121], v[148:149] neg_lo:[0,1] neg_hi:[0,1]
	s_wait_dscnt 0x0
	v_pk_mul_f32 v[148:149], v[144:145], v[142:143] op_sel:[0,1]
	s_delay_alu instid0(VALU_DEP_1) | instskip(SKIP_1) | instid1(VALU_DEP_1)
	v_pk_fma_f32 v[150:151], v[144:145], v[140:141], v[148:149] op_sel:[0,0,1] op_sel_hi:[1,1,0] neg_lo:[0,0,1] neg_hi:[0,0,1]
	v_pk_fma_f32 v[144:145], v[144:145], v[140:141], v[148:149] op_sel:[0,0,1] op_sel_hi:[1,0,0]
	v_mov_b32_e32 v151, v145
	v_pk_mul_f32 v[144:145], v[146:147], v[142:143] op_sel:[0,1]
	s_delay_alu instid0(VALU_DEP_2) | instskip(NEXT) | instid1(VALU_DEP_2)
	v_pk_add_f32 v[116:117], v[116:117], v[150:151] neg_lo:[0,1] neg_hi:[0,1]
	v_pk_fma_f32 v[148:149], v[146:147], v[140:141], v[144:145] op_sel:[0,0,1] op_sel_hi:[1,1,0] neg_lo:[0,0,1] neg_hi:[0,0,1]
	v_pk_fma_f32 v[144:145], v[146:147], v[140:141], v[144:145] op_sel:[0,0,1] op_sel_hi:[1,0,0]
	s_delay_alu instid0(VALU_DEP_1) | instskip(SKIP_4) | instid1(VALU_DEP_1)
	v_mov_b32_e32 v149, v145
	ds_load_2addr_b64 v[144:147], v196 offset0:27 offset1:28
	v_pk_add_f32 v[118:119], v[118:119], v[148:149] neg_lo:[0,1] neg_hi:[0,1]
	s_wait_dscnt 0x0
	v_pk_mul_f32 v[148:149], v[144:145], v[142:143] op_sel:[0,1]
	v_pk_fma_f32 v[150:151], v[144:145], v[140:141], v[148:149] op_sel:[0,0,1] op_sel_hi:[1,1,0] neg_lo:[0,0,1] neg_hi:[0,0,1]
	v_pk_fma_f32 v[144:145], v[144:145], v[140:141], v[148:149] op_sel:[0,0,1] op_sel_hi:[1,0,0]
	v_dual_mul_f32 v148, v147, v143 :: v_dual_mov_b32 v144, v147
	s_delay_alu instid0(VALU_DEP_2) | instskip(NEXT) | instid1(VALU_DEP_2)
	v_dual_mov_b32 v151, v145 :: v_dual_mov_b32 v145, v146
	v_pk_fma_f32 v[148:149], v[146:147], v[26:27], v[148:149] op_sel_hi:[1,1,0] neg_lo:[0,0,1] neg_hi:[0,0,1]
	v_mul_f32_e32 v146, v147, v140
	s_delay_alu instid0(VALU_DEP_3) | instskip(NEXT) | instid1(VALU_DEP_2)
	v_pk_add_f32 v[114:115], v[114:115], v[150:151] neg_lo:[0,1] neg_hi:[0,1]
	v_pk_fma_f32 v[144:145], v[144:145], v[26:27], v[146:147] op_sel_hi:[1,1,0]
	s_delay_alu instid0(VALU_DEP_1) | instskip(SKIP_4) | instid1(VALU_DEP_1)
	v_mov_b32_e32 v149, v145
	ds_load_2addr_b64 v[144:147], v196 offset0:29 offset1:30
	v_pk_add_f32 v[126:127], v[126:127], v[148:149] neg_lo:[0,1] neg_hi:[0,1]
	s_wait_dscnt 0x0
	v_pk_mul_f32 v[148:149], v[144:145], v[142:143] op_sel:[0,1]
	v_pk_fma_f32 v[150:151], v[144:145], v[140:141], v[148:149] op_sel:[0,0,1] op_sel_hi:[1,1,0] neg_lo:[0,0,1] neg_hi:[0,0,1]
	v_pk_fma_f32 v[144:145], v[144:145], v[140:141], v[148:149] op_sel:[0,0,1] op_sel_hi:[1,0,0]
	s_delay_alu instid0(VALU_DEP_1) | instskip(SKIP_1) | instid1(VALU_DEP_1)
	v_mov_b32_e32 v151, v145
	v_pk_mul_f32 v[144:145], v[146:147], v[142:143] op_sel:[0,1]
	v_pk_fma_f32 v[148:149], v[146:147], v[140:141], v[144:145] op_sel:[0,0,1] op_sel_hi:[1,1,0] neg_lo:[0,0,1] neg_hi:[0,0,1]
	v_pk_fma_f32 v[144:145], v[146:147], v[140:141], v[144:145] op_sel:[0,0,1] op_sel_hi:[1,0,0]
	s_delay_alu instid0(VALU_DEP_1)
	v_mov_b32_e32 v149, v145
	ds_load_b64 v[144:145], v196 offset:248
	v_pk_add_f32 v[124:125], v[124:125], v[150:151] neg_lo:[0,1] neg_hi:[0,1]
	v_pk_add_f32 v[122:123], v[122:123], v[148:149] neg_lo:[0,1] neg_hi:[0,1]
	s_wait_dscnt 0x0
	v_pk_mul_f32 v[142:143], v[144:145], v[142:143] op_sel:[0,1]
	s_delay_alu instid0(VALU_DEP_1) | instskip(SKIP_1) | instid1(VALU_DEP_1)
	v_pk_fma_f32 v[146:147], v[144:145], v[140:141], v[142:143] op_sel:[0,0,1] op_sel_hi:[1,1,0] neg_lo:[0,0,1] neg_hi:[0,0,1]
	v_pk_fma_f32 v[140:141], v[144:145], v[140:141], v[142:143] op_sel:[0,0,1] op_sel_hi:[1,0,0]
	v_mov_b32_e32 v147, v141
	s_delay_alu instid0(VALU_DEP_1)
	v_pk_add_f32 v[128:129], v[128:129], v[146:147] neg_lo:[0,1] neg_hi:[0,1]
.LBB63_46:
	s_or_b32 exec_lo, exec_lo, s1
	s_delay_alu instid0(SALU_CYCLE_1)
	s_mov_b32 s2, exec_lo
	s_wait_dscnt 0x0
	s_barrier_signal -1
	s_barrier_wait -1
	v_cmpx_eq_u32_e32 5, v194
	s_cbranch_execz .LBB63_53
; %bb.47:
	v_dual_mov_b32 v140, v24 :: v_dual_mov_b32 v141, v25
	v_dual_mov_b32 v142, v74 :: v_dual_mov_b32 v143, v75
	ds_store_b64 v195, v[22:23]
	ds_store_2addr_b64 v196, v[140:141], v[142:143] offset0:6 offset1:7
	v_dual_mov_b32 v140, v40 :: v_dual_mov_b32 v141, v41
	v_dual_mov_b32 v142, v36 :: v_dual_mov_b32 v143, v37
	ds_store_2addr_b64 v196, v[140:141], v[142:143] offset0:8 offset1:9
	v_dual_mov_b32 v140, v38 :: v_dual_mov_b32 v141, v39
	v_dual_mov_b32 v142, v34 :: v_dual_mov_b32 v143, v35
	;; [unrolled: 3-line block ×11, first 2 shown]
	ds_store_2addr_b64 v196, v[140:141], v[142:143] offset0:28 offset1:29
	v_dual_mov_b32 v140, v122 :: v_dual_mov_b32 v141, v123
	ds_store_2addr_b64 v196, v[140:141], v[128:129] offset0:30 offset1:31
	ds_load_b64 v[140:141], v195
	s_wait_dscnt 0x0
	v_cmp_neq_f32_e32 vcc_lo, 0, v140
	v_cmp_neq_f32_e64 s1, 0, v141
	s_or_b32 s1, vcc_lo, s1
	s_delay_alu instid0(SALU_CYCLE_1)
	s_and_b32 exec_lo, exec_lo, s1
	s_cbranch_execz .LBB63_53
; %bb.48:
	v_cmp_ngt_f32_e64 s1, |v140|, |v141|
                                        ; implicit-def: $vgpr142_vgpr143
	s_and_saveexec_b32 s4, s1
	s_delay_alu instid0(SALU_CYCLE_1)
	s_xor_b32 s1, exec_lo, s4
	s_cbranch_execz .LBB63_50
; %bb.49:
	v_div_scale_f32 v142, null, v141, v141, v140
	v_div_scale_f32 v145, vcc_lo, v140, v141, v140
	s_delay_alu instid0(VALU_DEP_2) | instskip(SKIP_1) | instid1(TRANS32_DEP_1)
	v_rcp_f32_e32 v143, v142
	v_nop
	v_fma_f32 v144, -v142, v143, 1.0
	s_delay_alu instid0(VALU_DEP_1) | instskip(NEXT) | instid1(VALU_DEP_1)
	v_fmac_f32_e32 v143, v144, v143
	v_mul_f32_e32 v144, v145, v143
	s_delay_alu instid0(VALU_DEP_1) | instskip(NEXT) | instid1(VALU_DEP_1)
	v_fma_f32 v146, -v142, v144, v145
	v_fmac_f32_e32 v144, v146, v143
	s_delay_alu instid0(VALU_DEP_1) | instskip(NEXT) | instid1(VALU_DEP_1)
	v_fma_f32 v142, -v142, v144, v145
	v_div_fmas_f32 v142, v142, v143, v144
	s_delay_alu instid0(VALU_DEP_1) | instskip(NEXT) | instid1(VALU_DEP_1)
	v_div_fixup_f32 v142, v142, v141, v140
	v_fmac_f32_e32 v141, v140, v142
	s_delay_alu instid0(VALU_DEP_1) | instskip(SKIP_1) | instid1(VALU_DEP_2)
	v_div_scale_f32 v140, null, v141, v141, 1.0
	v_div_scale_f32 v145, vcc_lo, 1.0, v141, 1.0
	v_rcp_f32_e32 v143, v140
	v_nop
	s_delay_alu instid0(TRANS32_DEP_1) | instskip(NEXT) | instid1(VALU_DEP_1)
	v_fma_f32 v144, -v140, v143, 1.0
	v_fmac_f32_e32 v143, v144, v143
	s_delay_alu instid0(VALU_DEP_1) | instskip(NEXT) | instid1(VALU_DEP_1)
	v_mul_f32_e32 v144, v145, v143
	v_fma_f32 v146, -v140, v144, v145
	s_delay_alu instid0(VALU_DEP_1) | instskip(NEXT) | instid1(VALU_DEP_1)
	v_fmac_f32_e32 v144, v146, v143
	v_fma_f32 v140, -v140, v144, v145
	s_delay_alu instid0(VALU_DEP_1) | instskip(NEXT) | instid1(VALU_DEP_1)
	v_div_fmas_f32 v140, v140, v143, v144
	v_div_fixup_f32 v140, v140, v141, 1.0
	s_delay_alu instid0(VALU_DEP_1)
	v_mul_f32_e32 v142, v142, v140
	v_xor_b32_e32 v143, 0x80000000, v140
                                        ; implicit-def: $vgpr140_vgpr141
.LBB63_50:
	s_and_not1_saveexec_b32 s1, s1
	s_cbranch_execz .LBB63_52
; %bb.51:
	v_div_scale_f32 v142, null, v140, v140, v141
	v_div_scale_f32 v145, vcc_lo, v141, v140, v141
	s_delay_alu instid0(VALU_DEP_2) | instskip(SKIP_1) | instid1(TRANS32_DEP_1)
	v_rcp_f32_e32 v143, v142
	v_nop
	v_fma_f32 v144, -v142, v143, 1.0
	s_delay_alu instid0(VALU_DEP_1) | instskip(NEXT) | instid1(VALU_DEP_1)
	v_fmac_f32_e32 v143, v144, v143
	v_mul_f32_e32 v144, v145, v143
	s_delay_alu instid0(VALU_DEP_1) | instskip(NEXT) | instid1(VALU_DEP_1)
	v_fma_f32 v146, -v142, v144, v145
	v_fmac_f32_e32 v144, v146, v143
	s_delay_alu instid0(VALU_DEP_1) | instskip(NEXT) | instid1(VALU_DEP_1)
	v_fma_f32 v142, -v142, v144, v145
	v_div_fmas_f32 v142, v142, v143, v144
	s_delay_alu instid0(VALU_DEP_1) | instskip(NEXT) | instid1(VALU_DEP_1)
	v_div_fixup_f32 v143, v142, v140, v141
	v_fmac_f32_e32 v140, v141, v143
	s_delay_alu instid0(VALU_DEP_1) | instskip(NEXT) | instid1(VALU_DEP_1)
	v_div_scale_f32 v141, null, v140, v140, 1.0
	v_rcp_f32_e32 v142, v141
	v_nop
	s_delay_alu instid0(TRANS32_DEP_1) | instskip(NEXT) | instid1(VALU_DEP_1)
	v_fma_f32 v144, -v141, v142, 1.0
	v_fmac_f32_e32 v142, v144, v142
	v_div_scale_f32 v144, vcc_lo, 1.0, v140, 1.0
	s_delay_alu instid0(VALU_DEP_1) | instskip(NEXT) | instid1(VALU_DEP_1)
	v_mul_f32_e32 v145, v144, v142
	v_fma_f32 v146, -v141, v145, v144
	s_delay_alu instid0(VALU_DEP_1) | instskip(NEXT) | instid1(VALU_DEP_1)
	v_fmac_f32_e32 v145, v146, v142
	v_fma_f32 v141, -v141, v145, v144
	s_delay_alu instid0(VALU_DEP_1) | instskip(NEXT) | instid1(VALU_DEP_1)
	v_div_fmas_f32 v141, v141, v142, v145
	v_div_fixup_f32 v142, v141, v140, 1.0
	s_delay_alu instid0(VALU_DEP_1)
	v_mul_f32_e64 v143, v143, -v142
.LBB63_52:
	s_or_b32 exec_lo, exec_lo, s1
	ds_store_b64 v195, v[142:143]
.LBB63_53:
	s_or_b32 exec_lo, exec_lo, s2
	s_wait_dscnt 0x0
	s_barrier_signal -1
	s_barrier_wait -1
	ds_load_b64 v[140:141], v195
	s_mov_b32 s1, exec_lo
	v_cmpx_lt_u32_e32 5, v194
	s_cbranch_execz .LBB63_55
; %bb.54:
	ds_load_2addr_b64 v[146:149], v196 offset0:6 offset1:7
	s_wait_dscnt 0x1
	v_pk_mul_f32 v[144:145], v[140:141], v[22:23] op_sel:[1,1] op_sel_hi:[0,1]
	s_delay_alu instid0(VALU_DEP_1) | instskip(SKIP_1) | instid1(VALU_DEP_1)
	v_pk_fma_f32 v[142:143], v[140:141], v[22:23], v[144:145] op_sel_hi:[1,0,1] neg_lo:[0,0,1] neg_hi:[0,0,1]
	v_pk_fma_f32 v[144:145], v[140:141], v[22:23], v[144:145] op_sel_hi:[1,0,1]
	v_dual_mov_b32 v22, v142 :: v_dual_mov_b32 v23, v145
	s_wait_dscnt 0x0
	s_delay_alu instid0(VALU_DEP_2) | instskip(NEXT) | instid1(VALU_DEP_1)
	v_pk_mul_f32 v[150:151], v[146:147], v[144:145] op_sel:[0,1]
	v_pk_fma_f32 v[152:153], v[146:147], v[142:143], v[150:151] op_sel:[0,0,1] op_sel_hi:[1,1,0] neg_lo:[0,0,1] neg_hi:[0,0,1]
	v_pk_fma_f32 v[146:147], v[146:147], v[142:143], v[150:151] op_sel:[0,0,1] op_sel_hi:[1,0,0]
	s_delay_alu instid0(VALU_DEP_1) | instskip(SKIP_1) | instid1(VALU_DEP_1)
	v_mov_b32_e32 v153, v147
	v_pk_mul_f32 v[146:147], v[148:149], v[144:145] op_sel:[0,1]
	v_pk_fma_f32 v[150:151], v[148:149], v[142:143], v[146:147] op_sel:[0,0,1] op_sel_hi:[1,1,0] neg_lo:[0,0,1] neg_hi:[0,0,1]
	v_pk_fma_f32 v[146:147], v[148:149], v[142:143], v[146:147] op_sel:[0,0,1] op_sel_hi:[1,0,0]
	s_delay_alu instid0(VALU_DEP_1)
	v_mov_b32_e32 v151, v147
	ds_load_2addr_b64 v[146:149], v196 offset0:8 offset1:9
	v_pk_add_f32 v[24:25], v[24:25], v[152:153] neg_lo:[0,1] neg_hi:[0,1]
	v_pk_add_f32 v[74:75], v[74:75], v[150:151] neg_lo:[0,1] neg_hi:[0,1]
	s_wait_dscnt 0x0
	v_pk_mul_f32 v[150:151], v[146:147], v[144:145] op_sel:[0,1]
	s_delay_alu instid0(VALU_DEP_1) | instskip(SKIP_2) | instid1(VALU_DEP_2)
	v_pk_fma_f32 v[152:153], v[146:147], v[142:143], v[150:151] op_sel:[0,0,1] op_sel_hi:[1,1,0] neg_lo:[0,0,1] neg_hi:[0,0,1]
	v_pk_fma_f32 v[146:147], v[146:147], v[142:143], v[150:151] op_sel:[0,0,1] op_sel_hi:[1,0,0]
	v_dual_mul_f32 v150, v149, v145 :: v_dual_mov_b32 v146, v149
	v_dual_mov_b32 v153, v147 :: v_dual_mov_b32 v147, v148
	s_delay_alu instid0(VALU_DEP_2) | instskip(SKIP_1) | instid1(VALU_DEP_3)
	v_pk_fma_f32 v[150:151], v[148:149], v[22:23], v[150:151] op_sel_hi:[1,1,0] neg_lo:[0,0,1] neg_hi:[0,0,1]
	v_mul_f32_e32 v148, v149, v142
	v_pk_add_f32 v[40:41], v[40:41], v[152:153] neg_lo:[0,1] neg_hi:[0,1]
	s_delay_alu instid0(VALU_DEP_2) | instskip(NEXT) | instid1(VALU_DEP_1)
	v_pk_fma_f32 v[146:147], v[146:147], v[22:23], v[148:149] op_sel_hi:[1,1,0]
	v_mov_b32_e32 v151, v147
	ds_load_2addr_b64 v[146:149], v196 offset0:10 offset1:11
	v_pk_add_f32 v[36:37], v[36:37], v[150:151] neg_lo:[0,1] neg_hi:[0,1]
	s_wait_dscnt 0x0
	v_pk_mul_f32 v[150:151], v[146:147], v[144:145] op_sel:[0,1]
	s_delay_alu instid0(VALU_DEP_1) | instskip(SKIP_1) | instid1(VALU_DEP_1)
	v_pk_fma_f32 v[152:153], v[146:147], v[142:143], v[150:151] op_sel:[0,0,1] op_sel_hi:[1,1,0] neg_lo:[0,0,1] neg_hi:[0,0,1]
	v_pk_fma_f32 v[146:147], v[146:147], v[142:143], v[150:151] op_sel:[0,0,1] op_sel_hi:[1,0,0]
	v_mov_b32_e32 v153, v147
	v_pk_mul_f32 v[146:147], v[148:149], v[144:145] op_sel:[0,1]
	s_delay_alu instid0(VALU_DEP_1) | instskip(SKIP_1) | instid1(VALU_DEP_1)
	v_pk_fma_f32 v[150:151], v[148:149], v[142:143], v[146:147] op_sel:[0,0,1] op_sel_hi:[1,1,0] neg_lo:[0,0,1] neg_hi:[0,0,1]
	v_pk_fma_f32 v[146:147], v[148:149], v[142:143], v[146:147] op_sel:[0,0,1] op_sel_hi:[1,0,0]
	v_mov_b32_e32 v151, v147
	ds_load_2addr_b64 v[146:149], v196 offset0:12 offset1:13
	v_pk_add_f32 v[38:39], v[38:39], v[152:153] neg_lo:[0,1] neg_hi:[0,1]
	v_pk_add_f32 v[34:35], v[34:35], v[150:151] neg_lo:[0,1] neg_hi:[0,1]
	s_wait_dscnt 0x0
	v_pk_mul_f32 v[150:151], v[146:147], v[144:145] op_sel:[0,1]
	s_delay_alu instid0(VALU_DEP_1) | instskip(SKIP_1) | instid1(VALU_DEP_1)
	v_pk_fma_f32 v[152:153], v[146:147], v[142:143], v[150:151] op_sel:[0,0,1] op_sel_hi:[1,1,0] neg_lo:[0,0,1] neg_hi:[0,0,1]
	v_pk_fma_f32 v[146:147], v[146:147], v[142:143], v[150:151] op_sel:[0,0,1] op_sel_hi:[1,0,0]
	v_mov_b32_e32 v153, v147
	v_pk_mul_f32 v[146:147], v[148:149], v[144:145] op_sel:[0,1]
	s_delay_alu instid0(VALU_DEP_1) | instskip(SKIP_1) | instid1(VALU_DEP_1)
	v_pk_fma_f32 v[150:151], v[148:149], v[142:143], v[146:147] op_sel:[0,0,1] op_sel_hi:[1,1,0] neg_lo:[0,0,1] neg_hi:[0,0,1]
	v_pk_fma_f32 v[146:147], v[148:149], v[142:143], v[146:147] op_sel:[0,0,1] op_sel_hi:[1,0,0]
	v_mov_b32_e32 v151, v147
	ds_load_2addr_b64 v[146:149], v196 offset0:14 offset1:15
	v_pk_add_f32 v[64:65], v[64:65], v[152:153] neg_lo:[0,1] neg_hi:[0,1]
	v_pk_add_f32 v[60:61], v[60:61], v[150:151] neg_lo:[0,1] neg_hi:[0,1]
	s_wait_dscnt 0x0
	v_dual_mul_f32 v150, v147, v145 :: v_dual_mul_f32 v152, v147, v142
	s_delay_alu instid0(VALU_DEP_1) | instskip(NEXT) | instid1(VALU_DEP_2)
	v_pk_fma_f32 v[150:151], v[146:147], v[22:23], v[150:151] op_sel_hi:[1,1,0] neg_lo:[0,0,1] neg_hi:[0,0,1]
	v_pk_fma_f32 v[146:147], v[146:147], v[22:23], v[152:153] op_sel:[1,0,0] op_sel_hi:[0,1,0]
	s_delay_alu instid0(VALU_DEP_1) | instskip(SKIP_1) | instid1(VALU_DEP_2)
	v_mov_b32_e32 v151, v147
	v_pk_mul_f32 v[146:147], v[148:149], v[144:145] op_sel:[0,1]
	v_pk_add_f32 v[62:63], v[62:63], v[150:151] neg_lo:[0,1] neg_hi:[0,1]
	s_delay_alu instid0(VALU_DEP_2) | instskip(SKIP_1) | instid1(VALU_DEP_1)
	v_pk_fma_f32 v[150:151], v[148:149], v[142:143], v[146:147] op_sel:[0,0,1] op_sel_hi:[1,1,0] neg_lo:[0,0,1] neg_hi:[0,0,1]
	v_pk_fma_f32 v[146:147], v[148:149], v[142:143], v[146:147] op_sel:[0,0,1] op_sel_hi:[1,0,0]
	v_mov_b32_e32 v151, v147
	ds_load_2addr_b64 v[146:149], v196 offset0:16 offset1:17
	v_pk_add_f32 v[58:59], v[58:59], v[150:151] neg_lo:[0,1] neg_hi:[0,1]
	s_wait_dscnt 0x0
	v_pk_mul_f32 v[150:151], v[146:147], v[144:145] op_sel:[0,1]
	s_delay_alu instid0(VALU_DEP_1) | instskip(SKIP_1) | instid1(VALU_DEP_1)
	v_pk_fma_f32 v[152:153], v[146:147], v[142:143], v[150:151] op_sel:[0,0,1] op_sel_hi:[1,1,0] neg_lo:[0,0,1] neg_hi:[0,0,1]
	v_pk_fma_f32 v[146:147], v[146:147], v[142:143], v[150:151] op_sel:[0,0,1] op_sel_hi:[1,0,0]
	v_mov_b32_e32 v153, v147
	v_pk_mul_f32 v[146:147], v[148:149], v[144:145] op_sel:[0,1]
	s_delay_alu instid0(VALU_DEP_2) | instskip(NEXT) | instid1(VALU_DEP_2)
	v_pk_add_f32 v[82:83], v[82:83], v[152:153] neg_lo:[0,1] neg_hi:[0,1]
	v_pk_fma_f32 v[150:151], v[148:149], v[142:143], v[146:147] op_sel:[0,0,1] op_sel_hi:[1,1,0] neg_lo:[0,0,1] neg_hi:[0,0,1]
	v_pk_fma_f32 v[146:147], v[148:149], v[142:143], v[146:147] op_sel:[0,0,1] op_sel_hi:[1,0,0]
	s_delay_alu instid0(VALU_DEP_1) | instskip(SKIP_4) | instid1(VALU_DEP_1)
	v_mov_b32_e32 v151, v147
	ds_load_2addr_b64 v[146:149], v196 offset0:18 offset1:19
	v_pk_add_f32 v[78:79], v[78:79], v[150:151] neg_lo:[0,1] neg_hi:[0,1]
	s_wait_dscnt 0x0
	v_pk_mul_f32 v[150:151], v[146:147], v[144:145] op_sel:[0,1]
	v_pk_fma_f32 v[152:153], v[146:147], v[142:143], v[150:151] op_sel:[0,0,1] op_sel_hi:[1,1,0] neg_lo:[0,0,1] neg_hi:[0,0,1]
	v_pk_fma_f32 v[146:147], v[146:147], v[142:143], v[150:151] op_sel:[0,0,1] op_sel_hi:[1,0,0]
	v_dual_mul_f32 v150, v149, v145 :: v_dual_mov_b32 v146, v149
	s_delay_alu instid0(VALU_DEP_2) | instskip(NEXT) | instid1(VALU_DEP_2)
	v_dual_mov_b32 v153, v147 :: v_dual_mov_b32 v147, v148
	v_pk_fma_f32 v[150:151], v[148:149], v[22:23], v[150:151] op_sel_hi:[1,1,0] neg_lo:[0,0,1] neg_hi:[0,0,1]
	v_mul_f32_e32 v148, v149, v142
	s_delay_alu instid0(VALU_DEP_3) | instskip(NEXT) | instid1(VALU_DEP_2)
	v_pk_add_f32 v[80:81], v[80:81], v[152:153] neg_lo:[0,1] neg_hi:[0,1]
	v_pk_fma_f32 v[146:147], v[146:147], v[22:23], v[148:149] op_sel_hi:[1,1,0]
	s_delay_alu instid0(VALU_DEP_1) | instskip(SKIP_4) | instid1(VALU_DEP_1)
	v_mov_b32_e32 v151, v147
	ds_load_2addr_b64 v[146:149], v196 offset0:20 offset1:21
	v_pk_add_f32 v[76:77], v[76:77], v[150:151] neg_lo:[0,1] neg_hi:[0,1]
	s_wait_dscnt 0x0
	v_pk_mul_f32 v[150:151], v[146:147], v[144:145] op_sel:[0,1]
	v_pk_fma_f32 v[152:153], v[146:147], v[142:143], v[150:151] op_sel:[0,0,1] op_sel_hi:[1,1,0] neg_lo:[0,0,1] neg_hi:[0,0,1]
	v_pk_fma_f32 v[146:147], v[146:147], v[142:143], v[150:151] op_sel:[0,0,1] op_sel_hi:[1,0,0]
	s_delay_alu instid0(VALU_DEP_1) | instskip(SKIP_1) | instid1(VALU_DEP_1)
	v_mov_b32_e32 v153, v147
	v_pk_mul_f32 v[146:147], v[148:149], v[144:145] op_sel:[0,1]
	v_pk_fma_f32 v[150:151], v[148:149], v[142:143], v[146:147] op_sel:[0,0,1] op_sel_hi:[1,1,0] neg_lo:[0,0,1] neg_hi:[0,0,1]
	v_pk_fma_f32 v[146:147], v[148:149], v[142:143], v[146:147] op_sel:[0,0,1] op_sel_hi:[1,0,0]
	s_delay_alu instid0(VALU_DEP_1)
	v_mov_b32_e32 v151, v147
	ds_load_2addr_b64 v[146:149], v196 offset0:22 offset1:23
	v_pk_add_f32 v[102:103], v[102:103], v[152:153] neg_lo:[0,1] neg_hi:[0,1]
	v_pk_add_f32 v[98:99], v[98:99], v[150:151] neg_lo:[0,1] neg_hi:[0,1]
	s_wait_dscnt 0x0
	v_pk_mul_f32 v[150:151], v[146:147], v[144:145] op_sel:[0,1]
	s_delay_alu instid0(VALU_DEP_1) | instskip(SKIP_1) | instid1(VALU_DEP_1)
	v_pk_fma_f32 v[152:153], v[146:147], v[142:143], v[150:151] op_sel:[0,0,1] op_sel_hi:[1,1,0] neg_lo:[0,0,1] neg_hi:[0,0,1]
	v_pk_fma_f32 v[146:147], v[146:147], v[142:143], v[150:151] op_sel:[0,0,1] op_sel_hi:[1,0,0]
	v_mov_b32_e32 v153, v147
	v_pk_mul_f32 v[146:147], v[148:149], v[144:145] op_sel:[0,1]
	s_delay_alu instid0(VALU_DEP_1) | instskip(SKIP_1) | instid1(VALU_DEP_1)
	v_pk_fma_f32 v[150:151], v[148:149], v[142:143], v[146:147] op_sel:[0,0,1] op_sel_hi:[1,1,0] neg_lo:[0,0,1] neg_hi:[0,0,1]
	v_pk_fma_f32 v[146:147], v[148:149], v[142:143], v[146:147] op_sel:[0,0,1] op_sel_hi:[1,0,0]
	v_mov_b32_e32 v151, v147
	ds_load_2addr_b64 v[146:149], v196 offset0:24 offset1:25
	v_pk_add_f32 v[100:101], v[100:101], v[152:153] neg_lo:[0,1] neg_hi:[0,1]
	v_pk_add_f32 v[96:97], v[96:97], v[150:151] neg_lo:[0,1] neg_hi:[0,1]
	s_wait_dscnt 0x0
	v_dual_mul_f32 v150, v147, v145 :: v_dual_mul_f32 v152, v147, v142
	s_delay_alu instid0(VALU_DEP_1) | instskip(NEXT) | instid1(VALU_DEP_2)
	v_pk_fma_f32 v[150:151], v[146:147], v[22:23], v[150:151] op_sel_hi:[1,1,0] neg_lo:[0,0,1] neg_hi:[0,0,1]
	v_pk_fma_f32 v[146:147], v[146:147], v[22:23], v[152:153] op_sel:[1,0,0] op_sel_hi:[0,1,0]
	s_delay_alu instid0(VALU_DEP_1) | instskip(SKIP_1) | instid1(VALU_DEP_2)
	v_mov_b32_e32 v151, v147
	v_pk_mul_f32 v[146:147], v[148:149], v[144:145] op_sel:[0,1]
	v_pk_add_f32 v[120:121], v[120:121], v[150:151] neg_lo:[0,1] neg_hi:[0,1]
	s_delay_alu instid0(VALU_DEP_2) | instskip(SKIP_1) | instid1(VALU_DEP_1)
	v_pk_fma_f32 v[150:151], v[148:149], v[142:143], v[146:147] op_sel:[0,0,1] op_sel_hi:[1,1,0] neg_lo:[0,0,1] neg_hi:[0,0,1]
	v_pk_fma_f32 v[146:147], v[148:149], v[142:143], v[146:147] op_sel:[0,0,1] op_sel_hi:[1,0,0]
	v_mov_b32_e32 v151, v147
	ds_load_2addr_b64 v[146:149], v196 offset0:26 offset1:27
	v_pk_add_f32 v[116:117], v[116:117], v[150:151] neg_lo:[0,1] neg_hi:[0,1]
	s_wait_dscnt 0x0
	v_pk_mul_f32 v[150:151], v[146:147], v[144:145] op_sel:[0,1]
	s_delay_alu instid0(VALU_DEP_1) | instskip(SKIP_1) | instid1(VALU_DEP_1)
	v_pk_fma_f32 v[152:153], v[146:147], v[142:143], v[150:151] op_sel:[0,0,1] op_sel_hi:[1,1,0] neg_lo:[0,0,1] neg_hi:[0,0,1]
	v_pk_fma_f32 v[146:147], v[146:147], v[142:143], v[150:151] op_sel:[0,0,1] op_sel_hi:[1,0,0]
	v_mov_b32_e32 v153, v147
	v_pk_mul_f32 v[146:147], v[148:149], v[144:145] op_sel:[0,1]
	s_delay_alu instid0(VALU_DEP_2) | instskip(NEXT) | instid1(VALU_DEP_2)
	v_pk_add_f32 v[118:119], v[118:119], v[152:153] neg_lo:[0,1] neg_hi:[0,1]
	v_pk_fma_f32 v[150:151], v[148:149], v[142:143], v[146:147] op_sel:[0,0,1] op_sel_hi:[1,1,0] neg_lo:[0,0,1] neg_hi:[0,0,1]
	v_pk_fma_f32 v[146:147], v[148:149], v[142:143], v[146:147] op_sel:[0,0,1] op_sel_hi:[1,0,0]
	s_delay_alu instid0(VALU_DEP_1) | instskip(SKIP_4) | instid1(VALU_DEP_1)
	v_mov_b32_e32 v151, v147
	ds_load_2addr_b64 v[146:149], v196 offset0:28 offset1:29
	v_pk_add_f32 v[114:115], v[114:115], v[150:151] neg_lo:[0,1] neg_hi:[0,1]
	s_wait_dscnt 0x0
	v_pk_mul_f32 v[150:151], v[146:147], v[144:145] op_sel:[0,1]
	v_pk_fma_f32 v[152:153], v[146:147], v[142:143], v[150:151] op_sel:[0,0,1] op_sel_hi:[1,1,0] neg_lo:[0,0,1] neg_hi:[0,0,1]
	v_pk_fma_f32 v[146:147], v[146:147], v[142:143], v[150:151] op_sel:[0,0,1] op_sel_hi:[1,0,0]
	v_dual_mul_f32 v150, v149, v145 :: v_dual_mov_b32 v146, v149
	s_delay_alu instid0(VALU_DEP_2) | instskip(NEXT) | instid1(VALU_DEP_2)
	v_dual_mov_b32 v153, v147 :: v_dual_mov_b32 v147, v148
	v_pk_fma_f32 v[150:151], v[148:149], v[22:23], v[150:151] op_sel_hi:[1,1,0] neg_lo:[0,0,1] neg_hi:[0,0,1]
	v_mul_f32_e32 v148, v149, v142
	s_delay_alu instid0(VALU_DEP_3) | instskip(NEXT) | instid1(VALU_DEP_2)
	v_pk_add_f32 v[126:127], v[126:127], v[152:153] neg_lo:[0,1] neg_hi:[0,1]
	v_pk_fma_f32 v[146:147], v[146:147], v[22:23], v[148:149] op_sel_hi:[1,1,0]
	s_delay_alu instid0(VALU_DEP_1)
	v_mov_b32_e32 v151, v147
	ds_load_2addr_b64 v[146:149], v196 offset0:30 offset1:31
	v_pk_add_f32 v[124:125], v[124:125], v[150:151] neg_lo:[0,1] neg_hi:[0,1]
	s_wait_dscnt 0x0
	v_pk_mul_f32 v[150:151], v[146:147], v[144:145] op_sel:[0,1]
	v_pk_mul_f32 v[144:145], v[148:149], v[144:145] op_sel:[0,1]
	s_delay_alu instid0(VALU_DEP_2) | instskip(SKIP_1) | instid1(VALU_DEP_1)
	v_pk_fma_f32 v[152:153], v[146:147], v[142:143], v[150:151] op_sel:[0,0,1] op_sel_hi:[1,1,0] neg_lo:[0,0,1] neg_hi:[0,0,1]
	v_pk_fma_f32 v[146:147], v[146:147], v[142:143], v[150:151] op_sel:[0,0,1] op_sel_hi:[1,0,0]
	v_mov_b32_e32 v153, v147
	s_delay_alu instid0(VALU_DEP_4) | instskip(SKIP_1) | instid1(VALU_DEP_1)
	v_pk_fma_f32 v[146:147], v[148:149], v[142:143], v[144:145] op_sel:[0,0,1] op_sel_hi:[1,1,0] neg_lo:[0,0,1] neg_hi:[0,0,1]
	v_pk_fma_f32 v[142:143], v[148:149], v[142:143], v[144:145] op_sel:[0,0,1] op_sel_hi:[1,0,0]
	v_mov_b32_e32 v147, v143
	s_delay_alu instid0(VALU_DEP_4) | instskip(NEXT) | instid1(VALU_DEP_2)
	v_pk_add_f32 v[122:123], v[122:123], v[152:153] neg_lo:[0,1] neg_hi:[0,1]
	v_pk_add_f32 v[128:129], v[128:129], v[146:147] neg_lo:[0,1] neg_hi:[0,1]
.LBB63_55:
	s_or_b32 exec_lo, exec_lo, s1
	s_delay_alu instid0(SALU_CYCLE_1)
	s_mov_b32 s2, exec_lo
	s_wait_dscnt 0x0
	s_barrier_signal -1
	s_barrier_wait -1
	v_cmpx_eq_u32_e32 6, v194
	s_cbranch_execz .LBB63_62
; %bb.56:
	ds_store_b64 v195, v[24:25]
	ds_store_2addr_b64 v196, v[74:75], v[40:41] offset0:7 offset1:8
	ds_store_2addr_b64 v196, v[36:37], v[38:39] offset0:9 offset1:10
	;; [unrolled: 1-line block ×12, first 2 shown]
	ds_store_b64 v196, v[128:129] offset:248
	ds_load_b64 v[142:143], v195
	s_wait_dscnt 0x0
	v_cmp_neq_f32_e32 vcc_lo, 0, v142
	v_cmp_neq_f32_e64 s1, 0, v143
	s_or_b32 s1, vcc_lo, s1
	s_delay_alu instid0(SALU_CYCLE_1)
	s_and_b32 exec_lo, exec_lo, s1
	s_cbranch_execz .LBB63_62
; %bb.57:
	v_cmp_ngt_f32_e64 s1, |v142|, |v143|
                                        ; implicit-def: $vgpr144_vgpr145
	s_and_saveexec_b32 s4, s1
	s_delay_alu instid0(SALU_CYCLE_1)
	s_xor_b32 s1, exec_lo, s4
	s_cbranch_execz .LBB63_59
; %bb.58:
	v_div_scale_f32 v144, null, v143, v143, v142
	v_div_scale_f32 v147, vcc_lo, v142, v143, v142
	s_delay_alu instid0(VALU_DEP_2) | instskip(SKIP_1) | instid1(TRANS32_DEP_1)
	v_rcp_f32_e32 v145, v144
	v_nop
	v_fma_f32 v146, -v144, v145, 1.0
	s_delay_alu instid0(VALU_DEP_1) | instskip(NEXT) | instid1(VALU_DEP_1)
	v_fmac_f32_e32 v145, v146, v145
	v_mul_f32_e32 v146, v147, v145
	s_delay_alu instid0(VALU_DEP_1) | instskip(NEXT) | instid1(VALU_DEP_1)
	v_fma_f32 v148, -v144, v146, v147
	v_fmac_f32_e32 v146, v148, v145
	s_delay_alu instid0(VALU_DEP_1) | instskip(NEXT) | instid1(VALU_DEP_1)
	v_fma_f32 v144, -v144, v146, v147
	v_div_fmas_f32 v144, v144, v145, v146
	s_delay_alu instid0(VALU_DEP_1) | instskip(NEXT) | instid1(VALU_DEP_1)
	v_div_fixup_f32 v144, v144, v143, v142
	v_fmac_f32_e32 v143, v142, v144
	s_delay_alu instid0(VALU_DEP_1) | instskip(SKIP_1) | instid1(VALU_DEP_2)
	v_div_scale_f32 v142, null, v143, v143, 1.0
	v_div_scale_f32 v147, vcc_lo, 1.0, v143, 1.0
	v_rcp_f32_e32 v145, v142
	v_nop
	s_delay_alu instid0(TRANS32_DEP_1) | instskip(NEXT) | instid1(VALU_DEP_1)
	v_fma_f32 v146, -v142, v145, 1.0
	v_fmac_f32_e32 v145, v146, v145
	s_delay_alu instid0(VALU_DEP_1) | instskip(NEXT) | instid1(VALU_DEP_1)
	v_mul_f32_e32 v146, v147, v145
	v_fma_f32 v148, -v142, v146, v147
	s_delay_alu instid0(VALU_DEP_1) | instskip(NEXT) | instid1(VALU_DEP_1)
	v_fmac_f32_e32 v146, v148, v145
	v_fma_f32 v142, -v142, v146, v147
	s_delay_alu instid0(VALU_DEP_1) | instskip(NEXT) | instid1(VALU_DEP_1)
	v_div_fmas_f32 v142, v142, v145, v146
	v_div_fixup_f32 v142, v142, v143, 1.0
	s_delay_alu instid0(VALU_DEP_1)
	v_mul_f32_e32 v144, v144, v142
	v_xor_b32_e32 v145, 0x80000000, v142
                                        ; implicit-def: $vgpr142_vgpr143
.LBB63_59:
	s_and_not1_saveexec_b32 s1, s1
	s_cbranch_execz .LBB63_61
; %bb.60:
	v_div_scale_f32 v144, null, v142, v142, v143
	v_div_scale_f32 v147, vcc_lo, v143, v142, v143
	s_delay_alu instid0(VALU_DEP_2) | instskip(SKIP_1) | instid1(TRANS32_DEP_1)
	v_rcp_f32_e32 v145, v144
	v_nop
	v_fma_f32 v146, -v144, v145, 1.0
	s_delay_alu instid0(VALU_DEP_1) | instskip(NEXT) | instid1(VALU_DEP_1)
	v_fmac_f32_e32 v145, v146, v145
	v_mul_f32_e32 v146, v147, v145
	s_delay_alu instid0(VALU_DEP_1) | instskip(NEXT) | instid1(VALU_DEP_1)
	v_fma_f32 v148, -v144, v146, v147
	v_fmac_f32_e32 v146, v148, v145
	s_delay_alu instid0(VALU_DEP_1) | instskip(NEXT) | instid1(VALU_DEP_1)
	v_fma_f32 v144, -v144, v146, v147
	v_div_fmas_f32 v144, v144, v145, v146
	s_delay_alu instid0(VALU_DEP_1) | instskip(NEXT) | instid1(VALU_DEP_1)
	v_div_fixup_f32 v145, v144, v142, v143
	v_fmac_f32_e32 v142, v143, v145
	s_delay_alu instid0(VALU_DEP_1) | instskip(NEXT) | instid1(VALU_DEP_1)
	v_div_scale_f32 v143, null, v142, v142, 1.0
	v_rcp_f32_e32 v144, v143
	v_nop
	s_delay_alu instid0(TRANS32_DEP_1) | instskip(NEXT) | instid1(VALU_DEP_1)
	v_fma_f32 v146, -v143, v144, 1.0
	v_fmac_f32_e32 v144, v146, v144
	v_div_scale_f32 v146, vcc_lo, 1.0, v142, 1.0
	s_delay_alu instid0(VALU_DEP_1) | instskip(NEXT) | instid1(VALU_DEP_1)
	v_mul_f32_e32 v147, v146, v144
	v_fma_f32 v148, -v143, v147, v146
	s_delay_alu instid0(VALU_DEP_1) | instskip(NEXT) | instid1(VALU_DEP_1)
	v_fmac_f32_e32 v147, v148, v144
	v_fma_f32 v143, -v143, v147, v146
	s_delay_alu instid0(VALU_DEP_1) | instskip(NEXT) | instid1(VALU_DEP_1)
	v_div_fmas_f32 v143, v143, v144, v147
	v_div_fixup_f32 v144, v143, v142, 1.0
	s_delay_alu instid0(VALU_DEP_1)
	v_mul_f32_e64 v145, v145, -v144
.LBB63_61:
	s_or_b32 exec_lo, exec_lo, s1
	ds_store_b64 v195, v[144:145]
.LBB63_62:
	s_or_b32 exec_lo, exec_lo, s2
	s_wait_dscnt 0x0
	s_barrier_signal -1
	s_barrier_wait -1
	ds_load_b64 v[142:143], v195
	s_mov_b32 s1, exec_lo
	v_cmpx_lt_u32_e32 6, v194
	s_cbranch_execz .LBB63_64
; %bb.63:
	ds_load_2addr_b64 v[148:151], v196 offset0:7 offset1:8
	s_wait_dscnt 0x1
	v_pk_mul_f32 v[146:147], v[142:143], v[24:25] op_sel:[1,1] op_sel_hi:[0,1]
	s_delay_alu instid0(VALU_DEP_1) | instskip(SKIP_1) | instid1(VALU_DEP_1)
	v_pk_fma_f32 v[144:145], v[142:143], v[24:25], v[146:147] op_sel_hi:[1,0,1] neg_lo:[0,0,1] neg_hi:[0,0,1]
	v_pk_fma_f32 v[146:147], v[142:143], v[24:25], v[146:147] op_sel_hi:[1,0,1]
	v_dual_mov_b32 v24, v144 :: v_dual_mov_b32 v25, v147
	s_wait_dscnt 0x0
	s_delay_alu instid0(VALU_DEP_2) | instskip(NEXT) | instid1(VALU_DEP_1)
	v_pk_mul_f32 v[152:153], v[148:149], v[146:147] op_sel:[0,1]
	v_pk_fma_f32 v[154:155], v[148:149], v[144:145], v[152:153] op_sel:[0,0,1] op_sel_hi:[1,1,0] neg_lo:[0,0,1] neg_hi:[0,0,1]
	v_pk_fma_f32 v[148:149], v[148:149], v[144:145], v[152:153] op_sel:[0,0,1] op_sel_hi:[1,0,0]
	s_delay_alu instid0(VALU_DEP_1) | instskip(SKIP_1) | instid1(VALU_DEP_1)
	v_mov_b32_e32 v155, v149
	v_pk_mul_f32 v[148:149], v[150:151], v[146:147] op_sel:[0,1]
	v_pk_fma_f32 v[152:153], v[150:151], v[144:145], v[148:149] op_sel:[0,0,1] op_sel_hi:[1,1,0] neg_lo:[0,0,1] neg_hi:[0,0,1]
	v_pk_fma_f32 v[148:149], v[150:151], v[144:145], v[148:149] op_sel:[0,0,1] op_sel_hi:[1,0,0]
	s_delay_alu instid0(VALU_DEP_1)
	v_mov_b32_e32 v153, v149
	ds_load_2addr_b64 v[148:151], v196 offset0:9 offset1:10
	v_pk_add_f32 v[74:75], v[74:75], v[154:155] neg_lo:[0,1] neg_hi:[0,1]
	v_pk_add_f32 v[40:41], v[40:41], v[152:153] neg_lo:[0,1] neg_hi:[0,1]
	s_wait_dscnt 0x0
	v_pk_mul_f32 v[152:153], v[148:149], v[146:147] op_sel:[0,1]
	s_delay_alu instid0(VALU_DEP_1) | instskip(SKIP_2) | instid1(VALU_DEP_2)
	v_pk_fma_f32 v[154:155], v[148:149], v[144:145], v[152:153] op_sel:[0,0,1] op_sel_hi:[1,1,0] neg_lo:[0,0,1] neg_hi:[0,0,1]
	v_pk_fma_f32 v[148:149], v[148:149], v[144:145], v[152:153] op_sel:[0,0,1] op_sel_hi:[1,0,0]
	v_dual_mul_f32 v152, v151, v147 :: v_dual_mov_b32 v148, v151
	v_dual_mov_b32 v155, v149 :: v_dual_mov_b32 v149, v150
	s_delay_alu instid0(VALU_DEP_2) | instskip(SKIP_1) | instid1(VALU_DEP_3)
	v_pk_fma_f32 v[152:153], v[150:151], v[24:25], v[152:153] op_sel_hi:[1,1,0] neg_lo:[0,0,1] neg_hi:[0,0,1]
	v_mul_f32_e32 v150, v151, v144
	v_pk_add_f32 v[36:37], v[36:37], v[154:155] neg_lo:[0,1] neg_hi:[0,1]
	s_delay_alu instid0(VALU_DEP_2) | instskip(NEXT) | instid1(VALU_DEP_1)
	v_pk_fma_f32 v[148:149], v[148:149], v[24:25], v[150:151] op_sel_hi:[1,1,0]
	v_mov_b32_e32 v153, v149
	ds_load_2addr_b64 v[148:151], v196 offset0:11 offset1:12
	v_pk_add_f32 v[38:39], v[38:39], v[152:153] neg_lo:[0,1] neg_hi:[0,1]
	s_wait_dscnt 0x0
	v_pk_mul_f32 v[152:153], v[148:149], v[146:147] op_sel:[0,1]
	s_delay_alu instid0(VALU_DEP_1) | instskip(SKIP_1) | instid1(VALU_DEP_1)
	v_pk_fma_f32 v[154:155], v[148:149], v[144:145], v[152:153] op_sel:[0,0,1] op_sel_hi:[1,1,0] neg_lo:[0,0,1] neg_hi:[0,0,1]
	v_pk_fma_f32 v[148:149], v[148:149], v[144:145], v[152:153] op_sel:[0,0,1] op_sel_hi:[1,0,0]
	v_mov_b32_e32 v155, v149
	v_pk_mul_f32 v[148:149], v[150:151], v[146:147] op_sel:[0,1]
	s_delay_alu instid0(VALU_DEP_1) | instskip(SKIP_1) | instid1(VALU_DEP_1)
	v_pk_fma_f32 v[152:153], v[150:151], v[144:145], v[148:149] op_sel:[0,0,1] op_sel_hi:[1,1,0] neg_lo:[0,0,1] neg_hi:[0,0,1]
	v_pk_fma_f32 v[148:149], v[150:151], v[144:145], v[148:149] op_sel:[0,0,1] op_sel_hi:[1,0,0]
	v_mov_b32_e32 v153, v149
	ds_load_2addr_b64 v[148:151], v196 offset0:13 offset1:14
	v_pk_add_f32 v[34:35], v[34:35], v[154:155] neg_lo:[0,1] neg_hi:[0,1]
	v_pk_add_f32 v[64:65], v[64:65], v[152:153] neg_lo:[0,1] neg_hi:[0,1]
	s_wait_dscnt 0x0
	v_pk_mul_f32 v[152:153], v[148:149], v[146:147] op_sel:[0,1]
	s_delay_alu instid0(VALU_DEP_1) | instskip(SKIP_1) | instid1(VALU_DEP_1)
	v_pk_fma_f32 v[154:155], v[148:149], v[144:145], v[152:153] op_sel:[0,0,1] op_sel_hi:[1,1,0] neg_lo:[0,0,1] neg_hi:[0,0,1]
	v_pk_fma_f32 v[148:149], v[148:149], v[144:145], v[152:153] op_sel:[0,0,1] op_sel_hi:[1,0,0]
	v_mov_b32_e32 v155, v149
	v_pk_mul_f32 v[148:149], v[150:151], v[146:147] op_sel:[0,1]
	s_delay_alu instid0(VALU_DEP_1) | instskip(SKIP_1) | instid1(VALU_DEP_1)
	v_pk_fma_f32 v[152:153], v[150:151], v[144:145], v[148:149] op_sel:[0,0,1] op_sel_hi:[1,1,0] neg_lo:[0,0,1] neg_hi:[0,0,1]
	v_pk_fma_f32 v[148:149], v[150:151], v[144:145], v[148:149] op_sel:[0,0,1] op_sel_hi:[1,0,0]
	v_mov_b32_e32 v153, v149
	ds_load_2addr_b64 v[148:151], v196 offset0:15 offset1:16
	v_pk_add_f32 v[60:61], v[60:61], v[154:155] neg_lo:[0,1] neg_hi:[0,1]
	v_pk_add_f32 v[62:63], v[62:63], v[152:153] neg_lo:[0,1] neg_hi:[0,1]
	s_wait_dscnt 0x0
	v_dual_mul_f32 v152, v149, v147 :: v_dual_mul_f32 v154, v149, v144
	s_delay_alu instid0(VALU_DEP_1) | instskip(NEXT) | instid1(VALU_DEP_2)
	v_pk_fma_f32 v[152:153], v[148:149], v[24:25], v[152:153] op_sel_hi:[1,1,0] neg_lo:[0,0,1] neg_hi:[0,0,1]
	v_pk_fma_f32 v[148:149], v[148:149], v[24:25], v[154:155] op_sel:[1,0,0] op_sel_hi:[0,1,0]
	s_delay_alu instid0(VALU_DEP_1) | instskip(SKIP_1) | instid1(VALU_DEP_2)
	v_mov_b32_e32 v153, v149
	v_pk_mul_f32 v[148:149], v[150:151], v[146:147] op_sel:[0,1]
	v_pk_add_f32 v[58:59], v[58:59], v[152:153] neg_lo:[0,1] neg_hi:[0,1]
	s_delay_alu instid0(VALU_DEP_2) | instskip(SKIP_1) | instid1(VALU_DEP_1)
	v_pk_fma_f32 v[152:153], v[150:151], v[144:145], v[148:149] op_sel:[0,0,1] op_sel_hi:[1,1,0] neg_lo:[0,0,1] neg_hi:[0,0,1]
	v_pk_fma_f32 v[148:149], v[150:151], v[144:145], v[148:149] op_sel:[0,0,1] op_sel_hi:[1,0,0]
	v_mov_b32_e32 v153, v149
	ds_load_2addr_b64 v[148:151], v196 offset0:17 offset1:18
	v_pk_add_f32 v[82:83], v[82:83], v[152:153] neg_lo:[0,1] neg_hi:[0,1]
	s_wait_dscnt 0x0
	v_pk_mul_f32 v[152:153], v[148:149], v[146:147] op_sel:[0,1]
	s_delay_alu instid0(VALU_DEP_1) | instskip(SKIP_1) | instid1(VALU_DEP_1)
	v_pk_fma_f32 v[154:155], v[148:149], v[144:145], v[152:153] op_sel:[0,0,1] op_sel_hi:[1,1,0] neg_lo:[0,0,1] neg_hi:[0,0,1]
	v_pk_fma_f32 v[148:149], v[148:149], v[144:145], v[152:153] op_sel:[0,0,1] op_sel_hi:[1,0,0]
	v_mov_b32_e32 v155, v149
	v_pk_mul_f32 v[148:149], v[150:151], v[146:147] op_sel:[0,1]
	s_delay_alu instid0(VALU_DEP_2) | instskip(NEXT) | instid1(VALU_DEP_2)
	v_pk_add_f32 v[78:79], v[78:79], v[154:155] neg_lo:[0,1] neg_hi:[0,1]
	v_pk_fma_f32 v[152:153], v[150:151], v[144:145], v[148:149] op_sel:[0,0,1] op_sel_hi:[1,1,0] neg_lo:[0,0,1] neg_hi:[0,0,1]
	v_pk_fma_f32 v[148:149], v[150:151], v[144:145], v[148:149] op_sel:[0,0,1] op_sel_hi:[1,0,0]
	s_delay_alu instid0(VALU_DEP_1) | instskip(SKIP_4) | instid1(VALU_DEP_1)
	v_mov_b32_e32 v153, v149
	ds_load_2addr_b64 v[148:151], v196 offset0:19 offset1:20
	v_pk_add_f32 v[80:81], v[80:81], v[152:153] neg_lo:[0,1] neg_hi:[0,1]
	s_wait_dscnt 0x0
	v_pk_mul_f32 v[152:153], v[148:149], v[146:147] op_sel:[0,1]
	v_pk_fma_f32 v[154:155], v[148:149], v[144:145], v[152:153] op_sel:[0,0,1] op_sel_hi:[1,1,0] neg_lo:[0,0,1] neg_hi:[0,0,1]
	v_pk_fma_f32 v[148:149], v[148:149], v[144:145], v[152:153] op_sel:[0,0,1] op_sel_hi:[1,0,0]
	v_dual_mul_f32 v152, v151, v147 :: v_dual_mov_b32 v148, v151
	s_delay_alu instid0(VALU_DEP_2) | instskip(NEXT) | instid1(VALU_DEP_2)
	v_dual_mov_b32 v155, v149 :: v_dual_mov_b32 v149, v150
	v_pk_fma_f32 v[152:153], v[150:151], v[24:25], v[152:153] op_sel_hi:[1,1,0] neg_lo:[0,0,1] neg_hi:[0,0,1]
	v_mul_f32_e32 v150, v151, v144
	s_delay_alu instid0(VALU_DEP_3) | instskip(NEXT) | instid1(VALU_DEP_2)
	v_pk_add_f32 v[76:77], v[76:77], v[154:155] neg_lo:[0,1] neg_hi:[0,1]
	v_pk_fma_f32 v[148:149], v[148:149], v[24:25], v[150:151] op_sel_hi:[1,1,0]
	s_delay_alu instid0(VALU_DEP_1) | instskip(SKIP_4) | instid1(VALU_DEP_1)
	v_mov_b32_e32 v153, v149
	ds_load_2addr_b64 v[148:151], v196 offset0:21 offset1:22
	v_pk_add_f32 v[102:103], v[102:103], v[152:153] neg_lo:[0,1] neg_hi:[0,1]
	s_wait_dscnt 0x0
	v_pk_mul_f32 v[152:153], v[148:149], v[146:147] op_sel:[0,1]
	v_pk_fma_f32 v[154:155], v[148:149], v[144:145], v[152:153] op_sel:[0,0,1] op_sel_hi:[1,1,0] neg_lo:[0,0,1] neg_hi:[0,0,1]
	v_pk_fma_f32 v[148:149], v[148:149], v[144:145], v[152:153] op_sel:[0,0,1] op_sel_hi:[1,0,0]
	s_delay_alu instid0(VALU_DEP_1) | instskip(SKIP_1) | instid1(VALU_DEP_1)
	v_mov_b32_e32 v155, v149
	v_pk_mul_f32 v[148:149], v[150:151], v[146:147] op_sel:[0,1]
	v_pk_fma_f32 v[152:153], v[150:151], v[144:145], v[148:149] op_sel:[0,0,1] op_sel_hi:[1,1,0] neg_lo:[0,0,1] neg_hi:[0,0,1]
	v_pk_fma_f32 v[148:149], v[150:151], v[144:145], v[148:149] op_sel:[0,0,1] op_sel_hi:[1,0,0]
	s_delay_alu instid0(VALU_DEP_1)
	v_mov_b32_e32 v153, v149
	ds_load_2addr_b64 v[148:151], v196 offset0:23 offset1:24
	v_pk_add_f32 v[98:99], v[98:99], v[154:155] neg_lo:[0,1] neg_hi:[0,1]
	v_pk_add_f32 v[100:101], v[100:101], v[152:153] neg_lo:[0,1] neg_hi:[0,1]
	s_wait_dscnt 0x0
	v_pk_mul_f32 v[152:153], v[148:149], v[146:147] op_sel:[0,1]
	s_delay_alu instid0(VALU_DEP_1) | instskip(SKIP_1) | instid1(VALU_DEP_1)
	v_pk_fma_f32 v[154:155], v[148:149], v[144:145], v[152:153] op_sel:[0,0,1] op_sel_hi:[1,1,0] neg_lo:[0,0,1] neg_hi:[0,0,1]
	v_pk_fma_f32 v[148:149], v[148:149], v[144:145], v[152:153] op_sel:[0,0,1] op_sel_hi:[1,0,0]
	v_mov_b32_e32 v155, v149
	v_pk_mul_f32 v[148:149], v[150:151], v[146:147] op_sel:[0,1]
	s_delay_alu instid0(VALU_DEP_1) | instskip(SKIP_1) | instid1(VALU_DEP_1)
	v_pk_fma_f32 v[152:153], v[150:151], v[144:145], v[148:149] op_sel:[0,0,1] op_sel_hi:[1,1,0] neg_lo:[0,0,1] neg_hi:[0,0,1]
	v_pk_fma_f32 v[148:149], v[150:151], v[144:145], v[148:149] op_sel:[0,0,1] op_sel_hi:[1,0,0]
	v_mov_b32_e32 v153, v149
	ds_load_2addr_b64 v[148:151], v196 offset0:25 offset1:26
	v_pk_add_f32 v[96:97], v[96:97], v[154:155] neg_lo:[0,1] neg_hi:[0,1]
	v_pk_add_f32 v[120:121], v[120:121], v[152:153] neg_lo:[0,1] neg_hi:[0,1]
	s_wait_dscnt 0x0
	v_dual_mul_f32 v152, v149, v147 :: v_dual_mul_f32 v154, v149, v144
	s_delay_alu instid0(VALU_DEP_1) | instskip(NEXT) | instid1(VALU_DEP_2)
	v_pk_fma_f32 v[152:153], v[148:149], v[24:25], v[152:153] op_sel_hi:[1,1,0] neg_lo:[0,0,1] neg_hi:[0,0,1]
	v_pk_fma_f32 v[148:149], v[148:149], v[24:25], v[154:155] op_sel:[1,0,0] op_sel_hi:[0,1,0]
	s_delay_alu instid0(VALU_DEP_1) | instskip(SKIP_1) | instid1(VALU_DEP_2)
	v_mov_b32_e32 v153, v149
	v_pk_mul_f32 v[148:149], v[150:151], v[146:147] op_sel:[0,1]
	v_pk_add_f32 v[116:117], v[116:117], v[152:153] neg_lo:[0,1] neg_hi:[0,1]
	s_delay_alu instid0(VALU_DEP_2) | instskip(SKIP_1) | instid1(VALU_DEP_1)
	v_pk_fma_f32 v[152:153], v[150:151], v[144:145], v[148:149] op_sel:[0,0,1] op_sel_hi:[1,1,0] neg_lo:[0,0,1] neg_hi:[0,0,1]
	v_pk_fma_f32 v[148:149], v[150:151], v[144:145], v[148:149] op_sel:[0,0,1] op_sel_hi:[1,0,0]
	v_mov_b32_e32 v153, v149
	ds_load_2addr_b64 v[148:151], v196 offset0:27 offset1:28
	v_pk_add_f32 v[118:119], v[118:119], v[152:153] neg_lo:[0,1] neg_hi:[0,1]
	s_wait_dscnt 0x0
	v_pk_mul_f32 v[152:153], v[148:149], v[146:147] op_sel:[0,1]
	s_delay_alu instid0(VALU_DEP_1) | instskip(SKIP_1) | instid1(VALU_DEP_1)
	v_pk_fma_f32 v[154:155], v[148:149], v[144:145], v[152:153] op_sel:[0,0,1] op_sel_hi:[1,1,0] neg_lo:[0,0,1] neg_hi:[0,0,1]
	v_pk_fma_f32 v[148:149], v[148:149], v[144:145], v[152:153] op_sel:[0,0,1] op_sel_hi:[1,0,0]
	v_mov_b32_e32 v155, v149
	v_pk_mul_f32 v[148:149], v[150:151], v[146:147] op_sel:[0,1]
	s_delay_alu instid0(VALU_DEP_2) | instskip(NEXT) | instid1(VALU_DEP_2)
	v_pk_add_f32 v[114:115], v[114:115], v[154:155] neg_lo:[0,1] neg_hi:[0,1]
	v_pk_fma_f32 v[152:153], v[150:151], v[144:145], v[148:149] op_sel:[0,0,1] op_sel_hi:[1,1,0] neg_lo:[0,0,1] neg_hi:[0,0,1]
	v_pk_fma_f32 v[148:149], v[150:151], v[144:145], v[148:149] op_sel:[0,0,1] op_sel_hi:[1,0,0]
	s_delay_alu instid0(VALU_DEP_1) | instskip(SKIP_4) | instid1(VALU_DEP_1)
	v_mov_b32_e32 v153, v149
	ds_load_2addr_b64 v[148:151], v196 offset0:29 offset1:30
	v_pk_add_f32 v[126:127], v[126:127], v[152:153] neg_lo:[0,1] neg_hi:[0,1]
	s_wait_dscnt 0x0
	v_pk_mul_f32 v[152:153], v[148:149], v[146:147] op_sel:[0,1]
	v_pk_fma_f32 v[154:155], v[148:149], v[144:145], v[152:153] op_sel:[0,0,1] op_sel_hi:[1,1,0] neg_lo:[0,0,1] neg_hi:[0,0,1]
	v_pk_fma_f32 v[148:149], v[148:149], v[144:145], v[152:153] op_sel:[0,0,1] op_sel_hi:[1,0,0]
	v_dual_mul_f32 v152, v151, v147 :: v_dual_mov_b32 v148, v151
	s_delay_alu instid0(VALU_DEP_2) | instskip(NEXT) | instid1(VALU_DEP_2)
	v_dual_mov_b32 v155, v149 :: v_dual_mov_b32 v149, v150
	v_pk_fma_f32 v[152:153], v[150:151], v[24:25], v[152:153] op_sel_hi:[1,1,0] neg_lo:[0,0,1] neg_hi:[0,0,1]
	v_mul_f32_e32 v150, v151, v144
	s_delay_alu instid0(VALU_DEP_3) | instskip(NEXT) | instid1(VALU_DEP_2)
	v_pk_add_f32 v[124:125], v[124:125], v[154:155] neg_lo:[0,1] neg_hi:[0,1]
	v_pk_fma_f32 v[148:149], v[148:149], v[24:25], v[150:151] op_sel_hi:[1,1,0]
	s_delay_alu instid0(VALU_DEP_1) | instskip(SKIP_4) | instid1(VALU_DEP_1)
	v_mov_b32_e32 v153, v149
	ds_load_b64 v[148:149], v196 offset:248
	v_pk_add_f32 v[122:123], v[122:123], v[152:153] neg_lo:[0,1] neg_hi:[0,1]
	s_wait_dscnt 0x0
	v_pk_mul_f32 v[146:147], v[148:149], v[146:147] op_sel:[0,1]
	v_pk_fma_f32 v[150:151], v[148:149], v[144:145], v[146:147] op_sel:[0,0,1] op_sel_hi:[1,1,0] neg_lo:[0,0,1] neg_hi:[0,0,1]
	v_pk_fma_f32 v[144:145], v[148:149], v[144:145], v[146:147] op_sel:[0,0,1] op_sel_hi:[1,0,0]
	s_delay_alu instid0(VALU_DEP_1) | instskip(NEXT) | instid1(VALU_DEP_1)
	v_mov_b32_e32 v151, v145
	v_pk_add_f32 v[128:129], v[128:129], v[150:151] neg_lo:[0,1] neg_hi:[0,1]
.LBB63_64:
	s_or_b32 exec_lo, exec_lo, s1
	s_delay_alu instid0(SALU_CYCLE_1)
	s_mov_b32 s2, exec_lo
	s_wait_dscnt 0x0
	s_barrier_signal -1
	s_barrier_wait -1
	v_cmpx_eq_u32_e32 7, v194
	s_cbranch_execz .LBB63_71
; %bb.65:
	v_dual_mov_b32 v144, v40 :: v_dual_mov_b32 v145, v41
	v_dual_mov_b32 v146, v36 :: v_dual_mov_b32 v147, v37
	ds_store_b64 v195, v[74:75]
	ds_store_2addr_b64 v196, v[144:145], v[146:147] offset0:8 offset1:9
	v_dual_mov_b32 v144, v38 :: v_dual_mov_b32 v145, v39
	v_dual_mov_b32 v146, v34 :: v_dual_mov_b32 v147, v35
	ds_store_2addr_b64 v196, v[144:145], v[146:147] offset0:10 offset1:11
	v_dual_mov_b32 v144, v64 :: v_dual_mov_b32 v145, v65
	v_dual_mov_b32 v146, v60 :: v_dual_mov_b32 v147, v61
	;; [unrolled: 3-line block ×10, first 2 shown]
	ds_store_2addr_b64 v196, v[144:145], v[146:147] offset0:28 offset1:29
	v_dual_mov_b32 v144, v122 :: v_dual_mov_b32 v145, v123
	ds_store_2addr_b64 v196, v[144:145], v[128:129] offset0:30 offset1:31
	ds_load_b64 v[144:145], v195
	s_wait_dscnt 0x0
	v_cmp_neq_f32_e32 vcc_lo, 0, v144
	v_cmp_neq_f32_e64 s1, 0, v145
	s_or_b32 s1, vcc_lo, s1
	s_delay_alu instid0(SALU_CYCLE_1)
	s_and_b32 exec_lo, exec_lo, s1
	s_cbranch_execz .LBB63_71
; %bb.66:
	v_cmp_ngt_f32_e64 s1, |v144|, |v145|
                                        ; implicit-def: $vgpr146_vgpr147
	s_and_saveexec_b32 s4, s1
	s_delay_alu instid0(SALU_CYCLE_1)
	s_xor_b32 s1, exec_lo, s4
	s_cbranch_execz .LBB63_68
; %bb.67:
	v_div_scale_f32 v146, null, v145, v145, v144
	v_div_scale_f32 v149, vcc_lo, v144, v145, v144
	s_delay_alu instid0(VALU_DEP_2) | instskip(SKIP_1) | instid1(TRANS32_DEP_1)
	v_rcp_f32_e32 v147, v146
	v_nop
	v_fma_f32 v148, -v146, v147, 1.0
	s_delay_alu instid0(VALU_DEP_1) | instskip(NEXT) | instid1(VALU_DEP_1)
	v_fmac_f32_e32 v147, v148, v147
	v_mul_f32_e32 v148, v149, v147
	s_delay_alu instid0(VALU_DEP_1) | instskip(NEXT) | instid1(VALU_DEP_1)
	v_fma_f32 v150, -v146, v148, v149
	v_fmac_f32_e32 v148, v150, v147
	s_delay_alu instid0(VALU_DEP_1) | instskip(NEXT) | instid1(VALU_DEP_1)
	v_fma_f32 v146, -v146, v148, v149
	v_div_fmas_f32 v146, v146, v147, v148
	s_delay_alu instid0(VALU_DEP_1) | instskip(NEXT) | instid1(VALU_DEP_1)
	v_div_fixup_f32 v146, v146, v145, v144
	v_fmac_f32_e32 v145, v144, v146
	s_delay_alu instid0(VALU_DEP_1) | instskip(SKIP_1) | instid1(VALU_DEP_2)
	v_div_scale_f32 v144, null, v145, v145, 1.0
	v_div_scale_f32 v149, vcc_lo, 1.0, v145, 1.0
	v_rcp_f32_e32 v147, v144
	v_nop
	s_delay_alu instid0(TRANS32_DEP_1) | instskip(NEXT) | instid1(VALU_DEP_1)
	v_fma_f32 v148, -v144, v147, 1.0
	v_fmac_f32_e32 v147, v148, v147
	s_delay_alu instid0(VALU_DEP_1) | instskip(NEXT) | instid1(VALU_DEP_1)
	v_mul_f32_e32 v148, v149, v147
	v_fma_f32 v150, -v144, v148, v149
	s_delay_alu instid0(VALU_DEP_1) | instskip(NEXT) | instid1(VALU_DEP_1)
	v_fmac_f32_e32 v148, v150, v147
	v_fma_f32 v144, -v144, v148, v149
	s_delay_alu instid0(VALU_DEP_1) | instskip(NEXT) | instid1(VALU_DEP_1)
	v_div_fmas_f32 v144, v144, v147, v148
	v_div_fixup_f32 v144, v144, v145, 1.0
	s_delay_alu instid0(VALU_DEP_1)
	v_mul_f32_e32 v146, v146, v144
	v_xor_b32_e32 v147, 0x80000000, v144
                                        ; implicit-def: $vgpr144_vgpr145
.LBB63_68:
	s_and_not1_saveexec_b32 s1, s1
	s_cbranch_execz .LBB63_70
; %bb.69:
	v_div_scale_f32 v146, null, v144, v144, v145
	v_div_scale_f32 v149, vcc_lo, v145, v144, v145
	s_delay_alu instid0(VALU_DEP_2) | instskip(SKIP_1) | instid1(TRANS32_DEP_1)
	v_rcp_f32_e32 v147, v146
	v_nop
	v_fma_f32 v148, -v146, v147, 1.0
	s_delay_alu instid0(VALU_DEP_1) | instskip(NEXT) | instid1(VALU_DEP_1)
	v_fmac_f32_e32 v147, v148, v147
	v_mul_f32_e32 v148, v149, v147
	s_delay_alu instid0(VALU_DEP_1) | instskip(NEXT) | instid1(VALU_DEP_1)
	v_fma_f32 v150, -v146, v148, v149
	v_fmac_f32_e32 v148, v150, v147
	s_delay_alu instid0(VALU_DEP_1) | instskip(NEXT) | instid1(VALU_DEP_1)
	v_fma_f32 v146, -v146, v148, v149
	v_div_fmas_f32 v146, v146, v147, v148
	s_delay_alu instid0(VALU_DEP_1) | instskip(NEXT) | instid1(VALU_DEP_1)
	v_div_fixup_f32 v147, v146, v144, v145
	v_fmac_f32_e32 v144, v145, v147
	s_delay_alu instid0(VALU_DEP_1) | instskip(NEXT) | instid1(VALU_DEP_1)
	v_div_scale_f32 v145, null, v144, v144, 1.0
	v_rcp_f32_e32 v146, v145
	v_nop
	s_delay_alu instid0(TRANS32_DEP_1) | instskip(NEXT) | instid1(VALU_DEP_1)
	v_fma_f32 v148, -v145, v146, 1.0
	v_fmac_f32_e32 v146, v148, v146
	v_div_scale_f32 v148, vcc_lo, 1.0, v144, 1.0
	s_delay_alu instid0(VALU_DEP_1) | instskip(NEXT) | instid1(VALU_DEP_1)
	v_mul_f32_e32 v149, v148, v146
	v_fma_f32 v150, -v145, v149, v148
	s_delay_alu instid0(VALU_DEP_1) | instskip(NEXT) | instid1(VALU_DEP_1)
	v_fmac_f32_e32 v149, v150, v146
	v_fma_f32 v145, -v145, v149, v148
	s_delay_alu instid0(VALU_DEP_1) | instskip(NEXT) | instid1(VALU_DEP_1)
	v_div_fmas_f32 v145, v145, v146, v149
	v_div_fixup_f32 v146, v145, v144, 1.0
	s_delay_alu instid0(VALU_DEP_1)
	v_mul_f32_e64 v147, v147, -v146
.LBB63_70:
	s_or_b32 exec_lo, exec_lo, s1
	ds_store_b64 v195, v[146:147]
.LBB63_71:
	s_or_b32 exec_lo, exec_lo, s2
	s_wait_dscnt 0x0
	s_barrier_signal -1
	s_barrier_wait -1
	ds_load_b64 v[144:145], v195
	s_mov_b32 s1, exec_lo
	v_cmpx_lt_u32_e32 7, v194
	s_cbranch_execz .LBB63_73
; %bb.72:
	ds_load_2addr_b64 v[150:153], v196 offset0:8 offset1:9
	ds_load_2addr_b64 v[154:157], v196 offset0:10 offset1:11
	;; [unrolled: 1-line block ×3, first 2 shown]
	s_wait_dscnt 0x3
	v_pk_mul_f32 v[148:149], v[144:145], v[74:75] op_sel:[1,1] op_sel_hi:[0,1]
	ds_load_2addr_b64 v[162:165], v196 offset0:14 offset1:15
	ds_load_2addr_b64 v[166:169], v196 offset0:16 offset1:17
	v_pk_fma_f32 v[146:147], v[144:145], v[74:75], v[148:149] op_sel_hi:[1,0,1] neg_lo:[0,0,1] neg_hi:[0,0,1]
	v_pk_fma_f32 v[148:149], v[144:145], v[74:75], v[148:149] op_sel_hi:[1,0,1]
	s_delay_alu instid0(VALU_DEP_1) | instskip(SKIP_1) | instid1(VALU_DEP_2)
	v_dual_mov_b32 v74, v146 :: v_dual_mov_b32 v75, v149
	s_wait_dscnt 0x4
	v_pk_mul_f32 v[170:171], v[150:151], v[148:149] op_sel:[0,1]
	v_pk_mul_f32 v[172:173], v[152:153], v[148:149] op_sel:[0,1]
	s_wait_dscnt 0x3
	v_pk_mul_f32 v[174:175], v[154:155], v[148:149] op_sel:[0,1]
	v_dual_mov_b32 v176, v157 :: v_dual_mov_b32 v177, v156
	v_dual_mul_f32 v178, v157, v149 :: v_dual_mul_f32 v180, v157, v146
	s_wait_dscnt 0x2
	v_pk_mul_f32 v[182:183], v[158:159], v[148:149] op_sel:[0,1]
	v_pk_mul_f32 v[184:185], v[160:161], v[148:149] op_sel:[0,1]
	v_pk_fma_f32 v[186:187], v[150:151], v[146:147], v[170:171] op_sel:[0,0,1] op_sel_hi:[1,1,0] neg_lo:[0,0,1] neg_hi:[0,0,1]
	v_pk_fma_f32 v[150:151], v[150:151], v[146:147], v[170:171] op_sel:[0,0,1] op_sel_hi:[1,0,0]
	v_pk_fma_f32 v[170:171], v[152:153], v[146:147], v[172:173] op_sel:[0,0,1] op_sel_hi:[1,1,0] neg_lo:[0,0,1] neg_hi:[0,0,1]
	v_pk_fma_f32 v[152:153], v[152:153], v[146:147], v[172:173] op_sel:[0,0,1] op_sel_hi:[1,0,0]
	;; [unrolled: 2-line block ×3, first 2 shown]
	v_pk_fma_f32 v[174:175], v[176:177], v[74:75], v[180:181] op_sel_hi:[1,1,0]
	v_pk_fma_f32 v[156:157], v[156:157], v[74:75], v[178:179] op_sel_hi:[1,1,0] neg_lo:[0,0,1] neg_hi:[0,0,1]
	v_pk_fma_f32 v[176:177], v[158:159], v[146:147], v[182:183] op_sel:[0,0,1] op_sel_hi:[1,1,0] neg_lo:[0,0,1] neg_hi:[0,0,1]
	v_dual_mov_b32 v187, v151 :: v_dual_mov_b32 v171, v153
	s_delay_alu instid0(VALU_DEP_4)
	v_dual_mov_b32 v173, v155 :: v_dual_mov_b32 v157, v175
	v_pk_fma_f32 v[150:151], v[158:159], v[146:147], v[182:183] op_sel:[0,0,1] op_sel_hi:[1,0,0]
	v_pk_fma_f32 v[154:155], v[160:161], v[146:147], v[184:185] op_sel:[0,0,1] op_sel_hi:[1,0,0]
	v_pk_fma_f32 v[158:159], v[160:161], v[146:147], v[184:185] op_sel:[0,0,1] op_sel_hi:[1,1,0] neg_lo:[0,0,1] neg_hi:[0,0,1]
	s_wait_dscnt 0x1
	v_pk_mul_f32 v[160:161], v[162:163], v[148:149] op_sel:[0,1]
	v_pk_add_f32 v[34:35], v[34:35], v[156:157] neg_lo:[0,1] neg_hi:[0,1]
	v_dual_mov_b32 v177, v151 :: v_dual_mov_b32 v159, v155
	ds_load_2addr_b64 v[150:153], v196 offset0:18 offset1:19
	v_pk_fma_f32 v[156:157], v[162:163], v[146:147], v[160:161] op_sel:[0,0,1] op_sel_hi:[1,0,0]
	v_pk_mul_f32 v[154:155], v[164:165], v[148:149] op_sel:[0,1]
	v_pk_fma_f32 v[160:161], v[162:163], v[146:147], v[160:161] op_sel:[0,0,1] op_sel_hi:[1,1,0] neg_lo:[0,0,1] neg_hi:[0,0,1]
	v_pk_add_f32 v[60:61], v[60:61], v[158:159] neg_lo:[0,1] neg_hi:[0,1]
	v_pk_add_f32 v[36:37], v[36:37], v[170:171] neg_lo:[0,1] neg_hi:[0,1]
	v_mov_b32_e32 v161, v157
	v_pk_fma_f32 v[158:159], v[164:165], v[146:147], v[154:155] op_sel:[0,0,1] op_sel_hi:[1,0,0]
	s_wait_dscnt 0x1
	v_mul_f32_e32 v158, v167, v146
	v_pk_fma_f32 v[162:163], v[164:165], v[146:147], v[154:155] op_sel:[0,0,1] op_sel_hi:[1,1,0] neg_lo:[0,0,1] neg_hi:[0,0,1]
	ds_load_2addr_b64 v[154:157], v196 offset0:20 offset1:21
	v_pk_add_f32 v[62:63], v[62:63], v[160:161] neg_lo:[0,1] neg_hi:[0,1]
	v_pk_mul_f32 v[160:161], v[168:169], v[148:149] op_sel:[0,1]
	v_mul_f32_e32 v164, v167, v149
	v_pk_add_f32 v[38:39], v[38:39], v[172:173] neg_lo:[0,1] neg_hi:[0,1]
	v_pk_add_f32 v[40:41], v[40:41], v[186:187] neg_lo:[0,1] neg_hi:[0,1]
	;; [unrolled: 1-line block ×3, first 2 shown]
	v_pk_fma_f32 v[170:171], v[168:169], v[146:147], v[160:161] op_sel:[0,0,1] op_sel_hi:[1,0,0]
	v_mov_b32_e32 v163, v159
	v_pk_fma_f32 v[168:169], v[168:169], v[146:147], v[160:161] op_sel:[0,0,1] op_sel_hi:[1,1,0] neg_lo:[0,0,1] neg_hi:[0,0,1]
	v_pk_fma_f32 v[158:159], v[166:167], v[74:75], v[158:159] op_sel:[1,0,0] op_sel_hi:[0,1,0]
	s_delay_alu instid0(VALU_DEP_4) | instskip(NEXT) | instid1(VALU_DEP_4)
	v_mov_b32_e32 v169, v171
	v_pk_add_f32 v[58:59], v[58:59], v[162:163] neg_lo:[0,1] neg_hi:[0,1]
	v_pk_fma_f32 v[162:163], v[166:167], v[74:75], v[164:165] op_sel_hi:[1,1,0] neg_lo:[0,0,1] neg_hi:[0,0,1]
	s_wait_dscnt 0x1
	v_pk_mul_f32 v[166:167], v[152:153], v[148:149] op_sel:[0,1]
	v_pk_mul_f32 v[164:165], v[150:151], v[148:149] op_sel:[0,1]
	v_pk_add_f32 v[78:79], v[78:79], v[168:169] neg_lo:[0,1] neg_hi:[0,1]
	s_delay_alu instid0(VALU_DEP_3)
	v_pk_fma_f32 v[174:175], v[152:153], v[146:147], v[166:167] op_sel:[0,0,1] op_sel_hi:[1,0,0]
	v_mov_b32_e32 v163, v159
	ds_load_2addr_b64 v[158:161], v196 offset0:22 offset1:23
	v_pk_fma_f32 v[172:173], v[150:151], v[146:147], v[164:165] op_sel:[0,0,1] op_sel_hi:[1,0,0]
	v_pk_fma_f32 v[150:151], v[150:151], v[146:147], v[164:165] op_sel:[0,0,1] op_sel_hi:[1,1,0] neg_lo:[0,0,1] neg_hi:[0,0,1]
	s_wait_dscnt 0x1
	v_pk_mul_f32 v[164:165], v[154:155], v[148:149] op_sel:[0,1]
	v_pk_fma_f32 v[152:153], v[152:153], v[146:147], v[166:167] op_sel:[0,0,1] op_sel_hi:[1,1,0] neg_lo:[0,0,1] neg_hi:[0,0,1]
	v_dual_mov_b32 v153, v175 :: v_dual_mov_b32 v151, v173
	v_pk_add_f32 v[82:83], v[82:83], v[162:163] neg_lo:[0,1] neg_hi:[0,1]
	s_delay_alu instid0(VALU_DEP_4) | instskip(SKIP_1) | instid1(VALU_DEP_4)
	v_pk_fma_f32 v[162:163], v[154:155], v[146:147], v[164:165] op_sel:[0,0,1] op_sel_hi:[1,0,0]
	v_dual_mov_b32 v166, v157 :: v_dual_mov_b32 v167, v156
	v_pk_add_f32 v[80:81], v[80:81], v[150:151] neg_lo:[0,1] neg_hi:[0,1]
	v_pk_add_f32 v[76:77], v[76:77], v[152:153] neg_lo:[0,1] neg_hi:[0,1]
	ds_load_2addr_b64 v[150:153], v196 offset0:24 offset1:25
	v_mul_f32_e32 v162, v157, v146
	v_pk_fma_f32 v[154:155], v[154:155], v[146:147], v[164:165] op_sel:[0,0,1] op_sel_hi:[1,1,0] neg_lo:[0,0,1] neg_hi:[0,0,1]
	v_mov_b32_e32 v155, v163
	s_delay_alu instid0(VALU_DEP_3)
	v_pk_fma_f32 v[166:167], v[166:167], v[74:75], v[162:163] op_sel_hi:[1,1,0]
	s_wait_dscnt 0x1
	v_pk_mul_f32 v[170:171], v[158:159], v[148:149] op_sel:[0,1]
	v_mul_f32_e32 v168, v157, v149
	ds_load_2addr_b64 v[162:165], v196 offset0:26 offset1:27
	v_pk_mul_f32 v[172:173], v[160:161], v[148:149] op_sel:[0,1]
	v_pk_add_f32 v[102:103], v[102:103], v[154:155] neg_lo:[0,1] neg_hi:[0,1]
	v_pk_fma_f32 v[154:155], v[158:159], v[146:147], v[170:171] op_sel:[0,0,1] op_sel_hi:[1,0,0]
	v_pk_fma_f32 v[168:169], v[156:157], v[74:75], v[168:169] op_sel_hi:[1,1,0] neg_lo:[0,0,1] neg_hi:[0,0,1]
	v_pk_fma_f32 v[158:159], v[158:159], v[146:147], v[170:171] op_sel:[0,0,1] op_sel_hi:[1,1,0] neg_lo:[0,0,1] neg_hi:[0,0,1]
	v_mov_b32_e32 v169, v167
	v_pk_fma_f32 v[166:167], v[160:161], v[146:147], v[172:173] op_sel:[0,0,1] op_sel_hi:[1,0,0]
	v_mov_b32_e32 v159, v155
	ds_load_2addr_b64 v[154:157], v196 offset0:28 offset1:29
	v_pk_fma_f32 v[160:161], v[160:161], v[146:147], v[172:173] op_sel:[0,0,1] op_sel_hi:[1,1,0] neg_lo:[0,0,1] neg_hi:[0,0,1]
	v_pk_add_f32 v[98:99], v[98:99], v[168:169] neg_lo:[0,1] neg_hi:[0,1]
	v_mov_b32_e32 v161, v167
	s_wait_dscnt 0x2
	v_pk_mul_f32 v[166:167], v[150:151], v[148:149] op_sel:[0,1]
	v_pk_mul_f32 v[168:169], v[152:153], v[148:149] op_sel:[0,1]
	v_pk_add_f32 v[100:101], v[100:101], v[158:159] neg_lo:[0,1] neg_hi:[0,1]
	v_pk_add_f32 v[96:97], v[96:97], v[160:161] neg_lo:[0,1] neg_hi:[0,1]
	ds_load_2addr_b64 v[158:161], v196 offset0:30 offset1:31
	v_pk_fma_f32 v[170:171], v[150:151], v[146:147], v[166:167] op_sel:[0,0,1] op_sel_hi:[1,0,0]
	v_pk_fma_f32 v[150:151], v[150:151], v[146:147], v[166:167] op_sel:[0,0,1] op_sel_hi:[1,1,0] neg_lo:[0,0,1] neg_hi:[0,0,1]
	v_pk_fma_f32 v[166:167], v[152:153], v[146:147], v[168:169] op_sel:[0,0,1] op_sel_hi:[1,0,0]
	s_wait_dscnt 0x2
	v_dual_mul_f32 v166, v163, v146 :: v_dual_mul_f32 v170, v163, v149
	v_pk_fma_f32 v[152:153], v[152:153], v[146:147], v[168:169] op_sel:[0,0,1] op_sel_hi:[1,1,0] neg_lo:[0,0,1] neg_hi:[0,0,1]
	s_delay_alu instid0(VALU_DEP_3) | instskip(NEXT) | instid1(VALU_DEP_3)
	v_dual_mov_b32 v151, v171 :: v_dual_mov_b32 v153, v167
	v_pk_fma_f32 v[168:169], v[162:163], v[74:75], v[166:167] op_sel:[1,0,0] op_sel_hi:[0,1,0]
	s_delay_alu instid0(VALU_DEP_4)
	v_pk_fma_f32 v[162:163], v[162:163], v[74:75], v[170:171] op_sel_hi:[1,1,0] neg_lo:[0,0,1] neg_hi:[0,0,1]
	s_wait_dscnt 0x1
	v_pk_mul_f32 v[170:171], v[154:155], v[148:149] op_sel:[0,1]
	v_pk_mul_f32 v[166:167], v[164:165], v[148:149] op_sel:[0,1]
	v_pk_add_f32 v[116:117], v[116:117], v[152:153] neg_lo:[0,1] neg_hi:[0,1]
	v_pk_add_f32 v[120:121], v[120:121], v[150:151] neg_lo:[0,1] neg_hi:[0,1]
	s_delay_alu instid0(VALU_DEP_4) | instskip(SKIP_2) | instid1(VALU_DEP_2)
	v_pk_fma_f32 v[152:153], v[154:155], v[146:147], v[170:171] op_sel:[0,0,1] op_sel_hi:[1,0,0]
	v_mov_b32_e32 v163, v169
	v_pk_fma_f32 v[150:151], v[164:165], v[146:147], v[166:167] op_sel:[0,0,1] op_sel_hi:[1,0,0]
	v_pk_add_f32 v[118:119], v[118:119], v[162:163] neg_lo:[0,1] neg_hi:[0,1]
	v_pk_fma_f32 v[162:163], v[164:165], v[146:147], v[166:167] op_sel:[0,0,1] op_sel_hi:[1,1,0] neg_lo:[0,0,1] neg_hi:[0,0,1]
	s_wait_dscnt 0x0
	s_delay_alu instid0(VALU_DEP_3)
	v_dual_mov_b32 v163, v151 :: v_dual_mov_b32 v164, v161
	v_pk_fma_f32 v[150:151], v[154:155], v[146:147], v[170:171] op_sel:[0,0,1] op_sel_hi:[1,1,0] neg_lo:[0,0,1] neg_hi:[0,0,1]
	v_mov_b32_e32 v151, v153
	v_pk_mul_f32 v[152:153], v[156:157], v[148:149] op_sel:[0,1]
	v_pk_mul_f32 v[154:155], v[158:159], v[148:149] op_sel:[0,1]
	v_dual_mov_b32 v165, v160 :: v_dual_mul_f32 v148, v161, v146
	v_pk_add_f32 v[114:115], v[114:115], v[162:163] neg_lo:[0,1] neg_hi:[0,1]
	s_delay_alu instid0(VALU_DEP_4)
	v_pk_fma_f32 v[166:167], v[156:157], v[146:147], v[152:153] op_sel:[0,0,1] op_sel_hi:[1,0,0]
	v_pk_fma_f32 v[152:153], v[156:157], v[146:147], v[152:153] op_sel:[0,0,1] op_sel_hi:[1,1,0] neg_lo:[0,0,1] neg_hi:[0,0,1]
	v_pk_fma_f32 v[156:157], v[158:159], v[146:147], v[154:155] op_sel:[0,0,1] op_sel_hi:[1,0,0]
	v_mul_f32_e32 v156, v161, v149
	v_pk_fma_f32 v[148:149], v[164:165], v[74:75], v[148:149] op_sel_hi:[1,1,0]
	v_mov_b32_e32 v153, v167
	v_pk_fma_f32 v[146:147], v[158:159], v[146:147], v[154:155] op_sel:[0,0,1] op_sel_hi:[1,1,0] neg_lo:[0,0,1] neg_hi:[0,0,1]
	v_mov_b32_e32 v147, v157
	v_pk_fma_f32 v[154:155], v[160:161], v[74:75], v[156:157] op_sel_hi:[1,1,0] neg_lo:[0,0,1] neg_hi:[0,0,1]
	v_mov_b32_e32 v155, v149
	v_pk_add_f32 v[126:127], v[126:127], v[150:151] neg_lo:[0,1] neg_hi:[0,1]
	v_pk_add_f32 v[124:125], v[124:125], v[152:153] neg_lo:[0,1] neg_hi:[0,1]
	v_pk_add_f32 v[122:123], v[122:123], v[146:147] neg_lo:[0,1] neg_hi:[0,1]
	s_delay_alu instid0(VALU_DEP_4)
	v_pk_add_f32 v[128:129], v[128:129], v[154:155] neg_lo:[0,1] neg_hi:[0,1]
.LBB63_73:
	s_or_b32 exec_lo, exec_lo, s1
	s_delay_alu instid0(SALU_CYCLE_1)
	s_mov_b32 s2, exec_lo
	s_wait_dscnt 0x0
	s_barrier_signal -1
	s_barrier_wait -1
	v_cmpx_eq_u32_e32 8, v194
	s_cbranch_execz .LBB63_80
; %bb.74:
	ds_store_b64 v195, v[40:41]
	ds_store_2addr_b64 v196, v[36:37], v[38:39] offset0:9 offset1:10
	ds_store_2addr_b64 v196, v[34:35], v[64:65] offset0:11 offset1:12
	;; [unrolled: 1-line block ×11, first 2 shown]
	ds_store_b64 v196, v[128:129] offset:248
	ds_load_b64 v[146:147], v195
	s_wait_dscnt 0x0
	v_cmp_neq_f32_e32 vcc_lo, 0, v146
	v_cmp_neq_f32_e64 s1, 0, v147
	s_or_b32 s1, vcc_lo, s1
	s_delay_alu instid0(SALU_CYCLE_1)
	s_and_b32 exec_lo, exec_lo, s1
	s_cbranch_execz .LBB63_80
; %bb.75:
	v_cmp_ngt_f32_e64 s1, |v146|, |v147|
                                        ; implicit-def: $vgpr148_vgpr149
	s_and_saveexec_b32 s4, s1
	s_delay_alu instid0(SALU_CYCLE_1)
	s_xor_b32 s1, exec_lo, s4
	s_cbranch_execz .LBB63_77
; %bb.76:
	v_div_scale_f32 v148, null, v147, v147, v146
	v_div_scale_f32 v151, vcc_lo, v146, v147, v146
	s_delay_alu instid0(VALU_DEP_2) | instskip(SKIP_1) | instid1(TRANS32_DEP_1)
	v_rcp_f32_e32 v149, v148
	v_nop
	v_fma_f32 v150, -v148, v149, 1.0
	s_delay_alu instid0(VALU_DEP_1) | instskip(NEXT) | instid1(VALU_DEP_1)
	v_fmac_f32_e32 v149, v150, v149
	v_mul_f32_e32 v150, v151, v149
	s_delay_alu instid0(VALU_DEP_1) | instskip(NEXT) | instid1(VALU_DEP_1)
	v_fma_f32 v152, -v148, v150, v151
	v_fmac_f32_e32 v150, v152, v149
	s_delay_alu instid0(VALU_DEP_1) | instskip(NEXT) | instid1(VALU_DEP_1)
	v_fma_f32 v148, -v148, v150, v151
	v_div_fmas_f32 v148, v148, v149, v150
	s_delay_alu instid0(VALU_DEP_1) | instskip(NEXT) | instid1(VALU_DEP_1)
	v_div_fixup_f32 v148, v148, v147, v146
	v_fmac_f32_e32 v147, v146, v148
	s_delay_alu instid0(VALU_DEP_1) | instskip(SKIP_1) | instid1(VALU_DEP_2)
	v_div_scale_f32 v146, null, v147, v147, 1.0
	v_div_scale_f32 v151, vcc_lo, 1.0, v147, 1.0
	v_rcp_f32_e32 v149, v146
	v_nop
	s_delay_alu instid0(TRANS32_DEP_1) | instskip(NEXT) | instid1(VALU_DEP_1)
	v_fma_f32 v150, -v146, v149, 1.0
	v_fmac_f32_e32 v149, v150, v149
	s_delay_alu instid0(VALU_DEP_1) | instskip(NEXT) | instid1(VALU_DEP_1)
	v_mul_f32_e32 v150, v151, v149
	v_fma_f32 v152, -v146, v150, v151
	s_delay_alu instid0(VALU_DEP_1) | instskip(NEXT) | instid1(VALU_DEP_1)
	v_fmac_f32_e32 v150, v152, v149
	v_fma_f32 v146, -v146, v150, v151
	s_delay_alu instid0(VALU_DEP_1) | instskip(NEXT) | instid1(VALU_DEP_1)
	v_div_fmas_f32 v146, v146, v149, v150
	v_div_fixup_f32 v146, v146, v147, 1.0
	s_delay_alu instid0(VALU_DEP_1)
	v_mul_f32_e32 v148, v148, v146
	v_xor_b32_e32 v149, 0x80000000, v146
                                        ; implicit-def: $vgpr146_vgpr147
.LBB63_77:
	s_and_not1_saveexec_b32 s1, s1
	s_cbranch_execz .LBB63_79
; %bb.78:
	v_div_scale_f32 v148, null, v146, v146, v147
	v_div_scale_f32 v151, vcc_lo, v147, v146, v147
	s_delay_alu instid0(VALU_DEP_2) | instskip(SKIP_1) | instid1(TRANS32_DEP_1)
	v_rcp_f32_e32 v149, v148
	v_nop
	v_fma_f32 v150, -v148, v149, 1.0
	s_delay_alu instid0(VALU_DEP_1) | instskip(NEXT) | instid1(VALU_DEP_1)
	v_fmac_f32_e32 v149, v150, v149
	v_mul_f32_e32 v150, v151, v149
	s_delay_alu instid0(VALU_DEP_1) | instskip(NEXT) | instid1(VALU_DEP_1)
	v_fma_f32 v152, -v148, v150, v151
	v_fmac_f32_e32 v150, v152, v149
	s_delay_alu instid0(VALU_DEP_1) | instskip(NEXT) | instid1(VALU_DEP_1)
	v_fma_f32 v148, -v148, v150, v151
	v_div_fmas_f32 v148, v148, v149, v150
	s_delay_alu instid0(VALU_DEP_1) | instskip(NEXT) | instid1(VALU_DEP_1)
	v_div_fixup_f32 v149, v148, v146, v147
	v_fmac_f32_e32 v146, v147, v149
	s_delay_alu instid0(VALU_DEP_1) | instskip(NEXT) | instid1(VALU_DEP_1)
	v_div_scale_f32 v147, null, v146, v146, 1.0
	v_rcp_f32_e32 v148, v147
	v_nop
	s_delay_alu instid0(TRANS32_DEP_1) | instskip(NEXT) | instid1(VALU_DEP_1)
	v_fma_f32 v150, -v147, v148, 1.0
	v_fmac_f32_e32 v148, v150, v148
	v_div_scale_f32 v150, vcc_lo, 1.0, v146, 1.0
	s_delay_alu instid0(VALU_DEP_1) | instskip(NEXT) | instid1(VALU_DEP_1)
	v_mul_f32_e32 v151, v150, v148
	v_fma_f32 v152, -v147, v151, v150
	s_delay_alu instid0(VALU_DEP_1) | instskip(NEXT) | instid1(VALU_DEP_1)
	v_fmac_f32_e32 v151, v152, v148
	v_fma_f32 v147, -v147, v151, v150
	s_delay_alu instid0(VALU_DEP_1) | instskip(NEXT) | instid1(VALU_DEP_1)
	v_div_fmas_f32 v147, v147, v148, v151
	v_div_fixup_f32 v148, v147, v146, 1.0
	s_delay_alu instid0(VALU_DEP_1)
	v_mul_f32_e64 v149, v149, -v148
.LBB63_79:
	s_or_b32 exec_lo, exec_lo, s1
	ds_store_b64 v195, v[148:149]
.LBB63_80:
	s_or_b32 exec_lo, exec_lo, s2
	s_wait_dscnt 0x0
	s_barrier_signal -1
	s_barrier_wait -1
	ds_load_b64 v[146:147], v195
	s_mov_b32 s1, exec_lo
	v_cmpx_lt_u32_e32 8, v194
	s_cbranch_execz .LBB63_82
; %bb.81:
	ds_load_2addr_b64 v[152:155], v196 offset0:9 offset1:10
	s_wait_dscnt 0x1
	v_pk_mul_f32 v[150:151], v[146:147], v[40:41] op_sel:[1,1] op_sel_hi:[0,1]
	s_delay_alu instid0(VALU_DEP_1) | instskip(SKIP_1) | instid1(VALU_DEP_1)
	v_pk_fma_f32 v[148:149], v[146:147], v[40:41], v[150:151] op_sel_hi:[1,0,1] neg_lo:[0,0,1] neg_hi:[0,0,1]
	v_pk_fma_f32 v[150:151], v[146:147], v[40:41], v[150:151] op_sel_hi:[1,0,1]
	v_dual_mov_b32 v40, v148 :: v_dual_mov_b32 v41, v151
	s_wait_dscnt 0x0
	s_delay_alu instid0(VALU_DEP_2) | instskip(NEXT) | instid1(VALU_DEP_1)
	v_pk_mul_f32 v[156:157], v[152:153], v[150:151] op_sel:[0,1]
	v_pk_fma_f32 v[158:159], v[152:153], v[148:149], v[156:157] op_sel:[0,0,1] op_sel_hi:[1,1,0] neg_lo:[0,0,1] neg_hi:[0,0,1]
	v_pk_fma_f32 v[152:153], v[152:153], v[148:149], v[156:157] op_sel:[0,0,1] op_sel_hi:[1,0,0]
	s_delay_alu instid0(VALU_DEP_1) | instskip(SKIP_1) | instid1(VALU_DEP_1)
	v_mov_b32_e32 v159, v153
	v_pk_mul_f32 v[152:153], v[154:155], v[150:151] op_sel:[0,1]
	v_pk_fma_f32 v[156:157], v[154:155], v[148:149], v[152:153] op_sel:[0,0,1] op_sel_hi:[1,1,0] neg_lo:[0,0,1] neg_hi:[0,0,1]
	v_pk_fma_f32 v[152:153], v[154:155], v[148:149], v[152:153] op_sel:[0,0,1] op_sel_hi:[1,0,0]
	s_delay_alu instid0(VALU_DEP_1)
	v_mov_b32_e32 v157, v153
	ds_load_2addr_b64 v[152:155], v196 offset0:11 offset1:12
	v_pk_add_f32 v[36:37], v[36:37], v[158:159] neg_lo:[0,1] neg_hi:[0,1]
	v_pk_add_f32 v[38:39], v[38:39], v[156:157] neg_lo:[0,1] neg_hi:[0,1]
	s_wait_dscnt 0x0
	v_pk_mul_f32 v[156:157], v[152:153], v[150:151] op_sel:[0,1]
	s_delay_alu instid0(VALU_DEP_1) | instskip(SKIP_2) | instid1(VALU_DEP_2)
	v_pk_fma_f32 v[158:159], v[152:153], v[148:149], v[156:157] op_sel:[0,0,1] op_sel_hi:[1,1,0] neg_lo:[0,0,1] neg_hi:[0,0,1]
	v_pk_fma_f32 v[152:153], v[152:153], v[148:149], v[156:157] op_sel:[0,0,1] op_sel_hi:[1,0,0]
	v_dual_mul_f32 v156, v155, v151 :: v_dual_mov_b32 v152, v155
	v_dual_mov_b32 v159, v153 :: v_dual_mov_b32 v153, v154
	s_delay_alu instid0(VALU_DEP_2) | instskip(SKIP_1) | instid1(VALU_DEP_3)
	v_pk_fma_f32 v[156:157], v[154:155], v[40:41], v[156:157] op_sel_hi:[1,1,0] neg_lo:[0,0,1] neg_hi:[0,0,1]
	v_mul_f32_e32 v154, v155, v148
	v_pk_add_f32 v[34:35], v[34:35], v[158:159] neg_lo:[0,1] neg_hi:[0,1]
	s_delay_alu instid0(VALU_DEP_2) | instskip(NEXT) | instid1(VALU_DEP_1)
	v_pk_fma_f32 v[152:153], v[152:153], v[40:41], v[154:155] op_sel_hi:[1,1,0]
	v_mov_b32_e32 v157, v153
	ds_load_2addr_b64 v[152:155], v196 offset0:13 offset1:14
	v_pk_add_f32 v[64:65], v[64:65], v[156:157] neg_lo:[0,1] neg_hi:[0,1]
	s_wait_dscnt 0x0
	v_pk_mul_f32 v[156:157], v[152:153], v[150:151] op_sel:[0,1]
	s_delay_alu instid0(VALU_DEP_1) | instskip(SKIP_1) | instid1(VALU_DEP_1)
	v_pk_fma_f32 v[158:159], v[152:153], v[148:149], v[156:157] op_sel:[0,0,1] op_sel_hi:[1,1,0] neg_lo:[0,0,1] neg_hi:[0,0,1]
	v_pk_fma_f32 v[152:153], v[152:153], v[148:149], v[156:157] op_sel:[0,0,1] op_sel_hi:[1,0,0]
	v_mov_b32_e32 v159, v153
	v_pk_mul_f32 v[152:153], v[154:155], v[150:151] op_sel:[0,1]
	s_delay_alu instid0(VALU_DEP_1) | instskip(SKIP_1) | instid1(VALU_DEP_1)
	v_pk_fma_f32 v[156:157], v[154:155], v[148:149], v[152:153] op_sel:[0,0,1] op_sel_hi:[1,1,0] neg_lo:[0,0,1] neg_hi:[0,0,1]
	v_pk_fma_f32 v[152:153], v[154:155], v[148:149], v[152:153] op_sel:[0,0,1] op_sel_hi:[1,0,0]
	v_mov_b32_e32 v157, v153
	ds_load_2addr_b64 v[152:155], v196 offset0:15 offset1:16
	v_pk_add_f32 v[60:61], v[60:61], v[158:159] neg_lo:[0,1] neg_hi:[0,1]
	v_pk_add_f32 v[62:63], v[62:63], v[156:157] neg_lo:[0,1] neg_hi:[0,1]
	s_wait_dscnt 0x0
	v_pk_mul_f32 v[156:157], v[152:153], v[150:151] op_sel:[0,1]
	s_delay_alu instid0(VALU_DEP_1) | instskip(SKIP_1) | instid1(VALU_DEP_1)
	v_pk_fma_f32 v[158:159], v[152:153], v[148:149], v[156:157] op_sel:[0,0,1] op_sel_hi:[1,1,0] neg_lo:[0,0,1] neg_hi:[0,0,1]
	v_pk_fma_f32 v[152:153], v[152:153], v[148:149], v[156:157] op_sel:[0,0,1] op_sel_hi:[1,0,0]
	v_mov_b32_e32 v159, v153
	v_pk_mul_f32 v[152:153], v[154:155], v[150:151] op_sel:[0,1]
	s_delay_alu instid0(VALU_DEP_1) | instskip(SKIP_1) | instid1(VALU_DEP_1)
	v_pk_fma_f32 v[156:157], v[154:155], v[148:149], v[152:153] op_sel:[0,0,1] op_sel_hi:[1,1,0] neg_lo:[0,0,1] neg_hi:[0,0,1]
	v_pk_fma_f32 v[152:153], v[154:155], v[148:149], v[152:153] op_sel:[0,0,1] op_sel_hi:[1,0,0]
	v_mov_b32_e32 v157, v153
	ds_load_2addr_b64 v[152:155], v196 offset0:17 offset1:18
	v_pk_add_f32 v[58:59], v[58:59], v[158:159] neg_lo:[0,1] neg_hi:[0,1]
	v_pk_add_f32 v[82:83], v[82:83], v[156:157] neg_lo:[0,1] neg_hi:[0,1]
	s_wait_dscnt 0x0
	v_dual_mul_f32 v156, v153, v151 :: v_dual_mul_f32 v158, v153, v148
	s_delay_alu instid0(VALU_DEP_1) | instskip(NEXT) | instid1(VALU_DEP_2)
	v_pk_fma_f32 v[156:157], v[152:153], v[40:41], v[156:157] op_sel_hi:[1,1,0] neg_lo:[0,0,1] neg_hi:[0,0,1]
	v_pk_fma_f32 v[152:153], v[152:153], v[40:41], v[158:159] op_sel:[1,0,0] op_sel_hi:[0,1,0]
	s_delay_alu instid0(VALU_DEP_1) | instskip(SKIP_1) | instid1(VALU_DEP_2)
	v_mov_b32_e32 v157, v153
	v_pk_mul_f32 v[152:153], v[154:155], v[150:151] op_sel:[0,1]
	v_pk_add_f32 v[78:79], v[78:79], v[156:157] neg_lo:[0,1] neg_hi:[0,1]
	s_delay_alu instid0(VALU_DEP_2) | instskip(SKIP_1) | instid1(VALU_DEP_1)
	v_pk_fma_f32 v[156:157], v[154:155], v[148:149], v[152:153] op_sel:[0,0,1] op_sel_hi:[1,1,0] neg_lo:[0,0,1] neg_hi:[0,0,1]
	v_pk_fma_f32 v[152:153], v[154:155], v[148:149], v[152:153] op_sel:[0,0,1] op_sel_hi:[1,0,0]
	v_mov_b32_e32 v157, v153
	ds_load_2addr_b64 v[152:155], v196 offset0:19 offset1:20
	v_pk_add_f32 v[80:81], v[80:81], v[156:157] neg_lo:[0,1] neg_hi:[0,1]
	s_wait_dscnt 0x0
	v_pk_mul_f32 v[156:157], v[152:153], v[150:151] op_sel:[0,1]
	s_delay_alu instid0(VALU_DEP_1) | instskip(SKIP_1) | instid1(VALU_DEP_1)
	v_pk_fma_f32 v[158:159], v[152:153], v[148:149], v[156:157] op_sel:[0,0,1] op_sel_hi:[1,1,0] neg_lo:[0,0,1] neg_hi:[0,0,1]
	v_pk_fma_f32 v[152:153], v[152:153], v[148:149], v[156:157] op_sel:[0,0,1] op_sel_hi:[1,0,0]
	v_mov_b32_e32 v159, v153
	v_pk_mul_f32 v[152:153], v[154:155], v[150:151] op_sel:[0,1]
	s_delay_alu instid0(VALU_DEP_2) | instskip(NEXT) | instid1(VALU_DEP_2)
	v_pk_add_f32 v[76:77], v[76:77], v[158:159] neg_lo:[0,1] neg_hi:[0,1]
	v_pk_fma_f32 v[156:157], v[154:155], v[148:149], v[152:153] op_sel:[0,0,1] op_sel_hi:[1,1,0] neg_lo:[0,0,1] neg_hi:[0,0,1]
	v_pk_fma_f32 v[152:153], v[154:155], v[148:149], v[152:153] op_sel:[0,0,1] op_sel_hi:[1,0,0]
	s_delay_alu instid0(VALU_DEP_1) | instskip(SKIP_4) | instid1(VALU_DEP_1)
	v_mov_b32_e32 v157, v153
	ds_load_2addr_b64 v[152:155], v196 offset0:21 offset1:22
	v_pk_add_f32 v[102:103], v[102:103], v[156:157] neg_lo:[0,1] neg_hi:[0,1]
	s_wait_dscnt 0x0
	v_pk_mul_f32 v[156:157], v[152:153], v[150:151] op_sel:[0,1]
	v_pk_fma_f32 v[158:159], v[152:153], v[148:149], v[156:157] op_sel:[0,0,1] op_sel_hi:[1,1,0] neg_lo:[0,0,1] neg_hi:[0,0,1]
	v_pk_fma_f32 v[152:153], v[152:153], v[148:149], v[156:157] op_sel:[0,0,1] op_sel_hi:[1,0,0]
	v_dual_mul_f32 v156, v155, v151 :: v_dual_mov_b32 v152, v155
	s_delay_alu instid0(VALU_DEP_2) | instskip(NEXT) | instid1(VALU_DEP_2)
	v_dual_mov_b32 v159, v153 :: v_dual_mov_b32 v153, v154
	v_pk_fma_f32 v[156:157], v[154:155], v[40:41], v[156:157] op_sel_hi:[1,1,0] neg_lo:[0,0,1] neg_hi:[0,0,1]
	v_mul_f32_e32 v154, v155, v148
	s_delay_alu instid0(VALU_DEP_3) | instskip(NEXT) | instid1(VALU_DEP_2)
	v_pk_add_f32 v[98:99], v[98:99], v[158:159] neg_lo:[0,1] neg_hi:[0,1]
	v_pk_fma_f32 v[152:153], v[152:153], v[40:41], v[154:155] op_sel_hi:[1,1,0]
	s_delay_alu instid0(VALU_DEP_1) | instskip(SKIP_4) | instid1(VALU_DEP_1)
	v_mov_b32_e32 v157, v153
	ds_load_2addr_b64 v[152:155], v196 offset0:23 offset1:24
	v_pk_add_f32 v[100:101], v[100:101], v[156:157] neg_lo:[0,1] neg_hi:[0,1]
	s_wait_dscnt 0x0
	v_pk_mul_f32 v[156:157], v[152:153], v[150:151] op_sel:[0,1]
	v_pk_fma_f32 v[158:159], v[152:153], v[148:149], v[156:157] op_sel:[0,0,1] op_sel_hi:[1,1,0] neg_lo:[0,0,1] neg_hi:[0,0,1]
	v_pk_fma_f32 v[152:153], v[152:153], v[148:149], v[156:157] op_sel:[0,0,1] op_sel_hi:[1,0,0]
	s_delay_alu instid0(VALU_DEP_1) | instskip(SKIP_1) | instid1(VALU_DEP_1)
	v_mov_b32_e32 v159, v153
	v_pk_mul_f32 v[152:153], v[154:155], v[150:151] op_sel:[0,1]
	v_pk_fma_f32 v[156:157], v[154:155], v[148:149], v[152:153] op_sel:[0,0,1] op_sel_hi:[1,1,0] neg_lo:[0,0,1] neg_hi:[0,0,1]
	v_pk_fma_f32 v[152:153], v[154:155], v[148:149], v[152:153] op_sel:[0,0,1] op_sel_hi:[1,0,0]
	s_delay_alu instid0(VALU_DEP_1)
	v_mov_b32_e32 v157, v153
	ds_load_2addr_b64 v[152:155], v196 offset0:25 offset1:26
	v_pk_add_f32 v[96:97], v[96:97], v[158:159] neg_lo:[0,1] neg_hi:[0,1]
	v_pk_add_f32 v[120:121], v[120:121], v[156:157] neg_lo:[0,1] neg_hi:[0,1]
	s_wait_dscnt 0x0
	v_pk_mul_f32 v[156:157], v[152:153], v[150:151] op_sel:[0,1]
	s_delay_alu instid0(VALU_DEP_1) | instskip(SKIP_1) | instid1(VALU_DEP_1)
	v_pk_fma_f32 v[158:159], v[152:153], v[148:149], v[156:157] op_sel:[0,0,1] op_sel_hi:[1,1,0] neg_lo:[0,0,1] neg_hi:[0,0,1]
	v_pk_fma_f32 v[152:153], v[152:153], v[148:149], v[156:157] op_sel:[0,0,1] op_sel_hi:[1,0,0]
	v_mov_b32_e32 v159, v153
	v_pk_mul_f32 v[152:153], v[154:155], v[150:151] op_sel:[0,1]
	s_delay_alu instid0(VALU_DEP_1) | instskip(SKIP_1) | instid1(VALU_DEP_1)
	v_pk_fma_f32 v[156:157], v[154:155], v[148:149], v[152:153] op_sel:[0,0,1] op_sel_hi:[1,1,0] neg_lo:[0,0,1] neg_hi:[0,0,1]
	v_pk_fma_f32 v[152:153], v[154:155], v[148:149], v[152:153] op_sel:[0,0,1] op_sel_hi:[1,0,0]
	v_mov_b32_e32 v157, v153
	ds_load_2addr_b64 v[152:155], v196 offset0:27 offset1:28
	v_pk_add_f32 v[116:117], v[116:117], v[158:159] neg_lo:[0,1] neg_hi:[0,1]
	v_pk_add_f32 v[118:119], v[118:119], v[156:157] neg_lo:[0,1] neg_hi:[0,1]
	s_wait_dscnt 0x0
	v_dual_mul_f32 v156, v153, v151 :: v_dual_mul_f32 v158, v153, v148
	s_delay_alu instid0(VALU_DEP_1) | instskip(NEXT) | instid1(VALU_DEP_2)
	v_pk_fma_f32 v[156:157], v[152:153], v[40:41], v[156:157] op_sel_hi:[1,1,0] neg_lo:[0,0,1] neg_hi:[0,0,1]
	v_pk_fma_f32 v[152:153], v[152:153], v[40:41], v[158:159] op_sel:[1,0,0] op_sel_hi:[0,1,0]
	s_delay_alu instid0(VALU_DEP_1) | instskip(SKIP_1) | instid1(VALU_DEP_2)
	v_mov_b32_e32 v157, v153
	v_pk_mul_f32 v[152:153], v[154:155], v[150:151] op_sel:[0,1]
	v_pk_add_f32 v[114:115], v[114:115], v[156:157] neg_lo:[0,1] neg_hi:[0,1]
	s_delay_alu instid0(VALU_DEP_2) | instskip(SKIP_1) | instid1(VALU_DEP_1)
	v_pk_fma_f32 v[156:157], v[154:155], v[148:149], v[152:153] op_sel:[0,0,1] op_sel_hi:[1,1,0] neg_lo:[0,0,1] neg_hi:[0,0,1]
	v_pk_fma_f32 v[152:153], v[154:155], v[148:149], v[152:153] op_sel:[0,0,1] op_sel_hi:[1,0,0]
	v_mov_b32_e32 v157, v153
	ds_load_2addr_b64 v[152:155], v196 offset0:29 offset1:30
	v_pk_add_f32 v[126:127], v[126:127], v[156:157] neg_lo:[0,1] neg_hi:[0,1]
	s_wait_dscnt 0x0
	v_pk_mul_f32 v[156:157], v[152:153], v[150:151] op_sel:[0,1]
	s_delay_alu instid0(VALU_DEP_1) | instskip(SKIP_1) | instid1(VALU_DEP_1)
	v_pk_fma_f32 v[158:159], v[152:153], v[148:149], v[156:157] op_sel:[0,0,1] op_sel_hi:[1,1,0] neg_lo:[0,0,1] neg_hi:[0,0,1]
	v_pk_fma_f32 v[152:153], v[152:153], v[148:149], v[156:157] op_sel:[0,0,1] op_sel_hi:[1,0,0]
	v_mov_b32_e32 v159, v153
	v_pk_mul_f32 v[152:153], v[154:155], v[150:151] op_sel:[0,1]
	s_delay_alu instid0(VALU_DEP_2) | instskip(NEXT) | instid1(VALU_DEP_2)
	v_pk_add_f32 v[124:125], v[124:125], v[158:159] neg_lo:[0,1] neg_hi:[0,1]
	v_pk_fma_f32 v[156:157], v[154:155], v[148:149], v[152:153] op_sel:[0,0,1] op_sel_hi:[1,1,0] neg_lo:[0,0,1] neg_hi:[0,0,1]
	v_pk_fma_f32 v[152:153], v[154:155], v[148:149], v[152:153] op_sel:[0,0,1] op_sel_hi:[1,0,0]
	s_delay_alu instid0(VALU_DEP_1) | instskip(SKIP_4) | instid1(VALU_DEP_1)
	v_mov_b32_e32 v157, v153
	ds_load_b64 v[152:153], v196 offset:248
	v_pk_add_f32 v[122:123], v[122:123], v[156:157] neg_lo:[0,1] neg_hi:[0,1]
	s_wait_dscnt 0x0
	v_pk_mul_f32 v[150:151], v[152:153], v[150:151] op_sel:[0,1]
	v_pk_fma_f32 v[154:155], v[152:153], v[148:149], v[150:151] op_sel:[0,0,1] op_sel_hi:[1,1,0] neg_lo:[0,0,1] neg_hi:[0,0,1]
	v_pk_fma_f32 v[148:149], v[152:153], v[148:149], v[150:151] op_sel:[0,0,1] op_sel_hi:[1,0,0]
	s_delay_alu instid0(VALU_DEP_1) | instskip(NEXT) | instid1(VALU_DEP_1)
	v_mov_b32_e32 v155, v149
	v_pk_add_f32 v[128:129], v[128:129], v[154:155] neg_lo:[0,1] neg_hi:[0,1]
.LBB63_82:
	s_or_b32 exec_lo, exec_lo, s1
	s_delay_alu instid0(SALU_CYCLE_1)
	s_mov_b32 s2, exec_lo
	s_wait_dscnt 0x0
	s_barrier_signal -1
	s_barrier_wait -1
	v_cmpx_eq_u32_e32 9, v194
	s_cbranch_execz .LBB63_89
; %bb.83:
	v_dual_mov_b32 v148, v38 :: v_dual_mov_b32 v149, v39
	v_dual_mov_b32 v150, v34 :: v_dual_mov_b32 v151, v35
	;; [unrolled: 1-line block ×10, first 2 shown]
	ds_store_b64 v195, v[36:37]
	v_dual_mov_b32 v168, v102 :: v_dual_mov_b32 v169, v103
	v_dual_mov_b32 v170, v98 :: v_dual_mov_b32 v171, v99
	ds_store_2addr_b64 v196, v[148:149], v[150:151] offset0:10 offset1:11
	ds_store_2addr_b64 v196, v[152:153], v[154:155] offset0:12 offset1:13
	ds_store_2addr_b64 v196, v[156:157], v[158:159] offset0:14 offset1:15
	ds_store_2addr_b64 v196, v[160:161], v[162:163] offset0:16 offset1:17
	ds_store_2addr_b64 v196, v[164:165], v[166:167] offset0:18 offset1:19
	ds_store_2addr_b64 v196, v[168:169], v[170:171] offset0:20 offset1:21
	v_dual_mov_b32 v148, v100 :: v_dual_mov_b32 v149, v101
	v_dual_mov_b32 v150, v96 :: v_dual_mov_b32 v151, v97
	;; [unrolled: 1-line block ×9, first 2 shown]
	ds_store_2addr_b64 v196, v[148:149], v[150:151] offset0:22 offset1:23
	ds_store_2addr_b64 v196, v[152:153], v[154:155] offset0:24 offset1:25
	;; [unrolled: 1-line block ×5, first 2 shown]
	ds_load_b64 v[148:149], v195
	s_wait_dscnt 0x0
	v_cmp_neq_f32_e32 vcc_lo, 0, v148
	v_cmp_neq_f32_e64 s1, 0, v149
	s_or_b32 s1, vcc_lo, s1
	s_delay_alu instid0(SALU_CYCLE_1)
	s_and_b32 exec_lo, exec_lo, s1
	s_cbranch_execz .LBB63_89
; %bb.84:
	v_cmp_ngt_f32_e64 s1, |v148|, |v149|
                                        ; implicit-def: $vgpr150_vgpr151
	s_and_saveexec_b32 s4, s1
	s_delay_alu instid0(SALU_CYCLE_1)
	s_xor_b32 s1, exec_lo, s4
	s_cbranch_execz .LBB63_86
; %bb.85:
	v_div_scale_f32 v150, null, v149, v149, v148
	v_div_scale_f32 v153, vcc_lo, v148, v149, v148
	s_delay_alu instid0(VALU_DEP_2) | instskip(SKIP_1) | instid1(TRANS32_DEP_1)
	v_rcp_f32_e32 v151, v150
	v_nop
	v_fma_f32 v152, -v150, v151, 1.0
	s_delay_alu instid0(VALU_DEP_1) | instskip(NEXT) | instid1(VALU_DEP_1)
	v_fmac_f32_e32 v151, v152, v151
	v_mul_f32_e32 v152, v153, v151
	s_delay_alu instid0(VALU_DEP_1) | instskip(NEXT) | instid1(VALU_DEP_1)
	v_fma_f32 v154, -v150, v152, v153
	v_fmac_f32_e32 v152, v154, v151
	s_delay_alu instid0(VALU_DEP_1) | instskip(NEXT) | instid1(VALU_DEP_1)
	v_fma_f32 v150, -v150, v152, v153
	v_div_fmas_f32 v150, v150, v151, v152
	s_delay_alu instid0(VALU_DEP_1) | instskip(NEXT) | instid1(VALU_DEP_1)
	v_div_fixup_f32 v150, v150, v149, v148
	v_fmac_f32_e32 v149, v148, v150
	s_delay_alu instid0(VALU_DEP_1) | instskip(SKIP_1) | instid1(VALU_DEP_2)
	v_div_scale_f32 v148, null, v149, v149, 1.0
	v_div_scale_f32 v153, vcc_lo, 1.0, v149, 1.0
	v_rcp_f32_e32 v151, v148
	v_nop
	s_delay_alu instid0(TRANS32_DEP_1) | instskip(NEXT) | instid1(VALU_DEP_1)
	v_fma_f32 v152, -v148, v151, 1.0
	v_fmac_f32_e32 v151, v152, v151
	s_delay_alu instid0(VALU_DEP_1) | instskip(NEXT) | instid1(VALU_DEP_1)
	v_mul_f32_e32 v152, v153, v151
	v_fma_f32 v154, -v148, v152, v153
	s_delay_alu instid0(VALU_DEP_1) | instskip(NEXT) | instid1(VALU_DEP_1)
	v_fmac_f32_e32 v152, v154, v151
	v_fma_f32 v148, -v148, v152, v153
	s_delay_alu instid0(VALU_DEP_1) | instskip(NEXT) | instid1(VALU_DEP_1)
	v_div_fmas_f32 v148, v148, v151, v152
	v_div_fixup_f32 v148, v148, v149, 1.0
	s_delay_alu instid0(VALU_DEP_1)
	v_mul_f32_e32 v150, v150, v148
	v_xor_b32_e32 v151, 0x80000000, v148
                                        ; implicit-def: $vgpr148_vgpr149
.LBB63_86:
	s_and_not1_saveexec_b32 s1, s1
	s_cbranch_execz .LBB63_88
; %bb.87:
	v_div_scale_f32 v150, null, v148, v148, v149
	v_div_scale_f32 v153, vcc_lo, v149, v148, v149
	s_delay_alu instid0(VALU_DEP_2) | instskip(SKIP_1) | instid1(TRANS32_DEP_1)
	v_rcp_f32_e32 v151, v150
	v_nop
	v_fma_f32 v152, -v150, v151, 1.0
	s_delay_alu instid0(VALU_DEP_1) | instskip(NEXT) | instid1(VALU_DEP_1)
	v_fmac_f32_e32 v151, v152, v151
	v_mul_f32_e32 v152, v153, v151
	s_delay_alu instid0(VALU_DEP_1) | instskip(NEXT) | instid1(VALU_DEP_1)
	v_fma_f32 v154, -v150, v152, v153
	v_fmac_f32_e32 v152, v154, v151
	s_delay_alu instid0(VALU_DEP_1) | instskip(NEXT) | instid1(VALU_DEP_1)
	v_fma_f32 v150, -v150, v152, v153
	v_div_fmas_f32 v150, v150, v151, v152
	s_delay_alu instid0(VALU_DEP_1) | instskip(NEXT) | instid1(VALU_DEP_1)
	v_div_fixup_f32 v151, v150, v148, v149
	v_fmac_f32_e32 v148, v149, v151
	s_delay_alu instid0(VALU_DEP_1) | instskip(NEXT) | instid1(VALU_DEP_1)
	v_div_scale_f32 v149, null, v148, v148, 1.0
	v_rcp_f32_e32 v150, v149
	v_nop
	s_delay_alu instid0(TRANS32_DEP_1) | instskip(NEXT) | instid1(VALU_DEP_1)
	v_fma_f32 v152, -v149, v150, 1.0
	v_fmac_f32_e32 v150, v152, v150
	v_div_scale_f32 v152, vcc_lo, 1.0, v148, 1.0
	s_delay_alu instid0(VALU_DEP_1) | instskip(NEXT) | instid1(VALU_DEP_1)
	v_mul_f32_e32 v153, v152, v150
	v_fma_f32 v154, -v149, v153, v152
	s_delay_alu instid0(VALU_DEP_1) | instskip(NEXT) | instid1(VALU_DEP_1)
	v_fmac_f32_e32 v153, v154, v150
	v_fma_f32 v149, -v149, v153, v152
	s_delay_alu instid0(VALU_DEP_1) | instskip(NEXT) | instid1(VALU_DEP_1)
	v_div_fmas_f32 v149, v149, v150, v153
	v_div_fixup_f32 v150, v149, v148, 1.0
	s_delay_alu instid0(VALU_DEP_1)
	v_mul_f32_e64 v151, v151, -v150
.LBB63_88:
	s_or_b32 exec_lo, exec_lo, s1
	ds_store_b64 v195, v[150:151]
.LBB63_89:
	s_or_b32 exec_lo, exec_lo, s2
	s_wait_dscnt 0x0
	s_barrier_signal -1
	s_barrier_wait -1
	ds_load_b64 v[148:149], v195
	s_mov_b32 s1, exec_lo
	v_cmpx_lt_u32_e32 9, v194
	s_cbranch_execz .LBB63_91
; %bb.90:
	ds_load_2addr_b64 v[154:157], v196 offset0:10 offset1:11
	s_wait_dscnt 0x1
	v_pk_mul_f32 v[152:153], v[148:149], v[36:37] op_sel:[1,1] op_sel_hi:[0,1]
	s_delay_alu instid0(VALU_DEP_1) | instskip(SKIP_1) | instid1(VALU_DEP_1)
	v_pk_fma_f32 v[150:151], v[148:149], v[36:37], v[152:153] op_sel_hi:[1,0,1] neg_lo:[0,0,1] neg_hi:[0,0,1]
	v_pk_fma_f32 v[152:153], v[148:149], v[36:37], v[152:153] op_sel_hi:[1,0,1]
	v_dual_mov_b32 v36, v150 :: v_dual_mov_b32 v37, v153
	s_wait_dscnt 0x0
	s_delay_alu instid0(VALU_DEP_2) | instskip(NEXT) | instid1(VALU_DEP_1)
	v_pk_mul_f32 v[158:159], v[154:155], v[152:153] op_sel:[0,1]
	v_pk_fma_f32 v[160:161], v[154:155], v[150:151], v[158:159] op_sel:[0,0,1] op_sel_hi:[1,1,0] neg_lo:[0,0,1] neg_hi:[0,0,1]
	v_pk_fma_f32 v[154:155], v[154:155], v[150:151], v[158:159] op_sel:[0,0,1] op_sel_hi:[1,0,0]
	s_delay_alu instid0(VALU_DEP_1) | instskip(SKIP_1) | instid1(VALU_DEP_1)
	v_mov_b32_e32 v161, v155
	v_pk_mul_f32 v[154:155], v[156:157], v[152:153] op_sel:[0,1]
	v_pk_fma_f32 v[158:159], v[156:157], v[150:151], v[154:155] op_sel:[0,0,1] op_sel_hi:[1,1,0] neg_lo:[0,0,1] neg_hi:[0,0,1]
	v_pk_fma_f32 v[154:155], v[156:157], v[150:151], v[154:155] op_sel:[0,0,1] op_sel_hi:[1,0,0]
	s_delay_alu instid0(VALU_DEP_1)
	v_mov_b32_e32 v159, v155
	ds_load_2addr_b64 v[154:157], v196 offset0:12 offset1:13
	v_pk_add_f32 v[38:39], v[38:39], v[160:161] neg_lo:[0,1] neg_hi:[0,1]
	v_pk_add_f32 v[34:35], v[34:35], v[158:159] neg_lo:[0,1] neg_hi:[0,1]
	s_wait_dscnt 0x0
	v_pk_mul_f32 v[158:159], v[154:155], v[152:153] op_sel:[0,1]
	s_delay_alu instid0(VALU_DEP_1) | instskip(SKIP_2) | instid1(VALU_DEP_2)
	v_pk_fma_f32 v[160:161], v[154:155], v[150:151], v[158:159] op_sel:[0,0,1] op_sel_hi:[1,1,0] neg_lo:[0,0,1] neg_hi:[0,0,1]
	v_pk_fma_f32 v[154:155], v[154:155], v[150:151], v[158:159] op_sel:[0,0,1] op_sel_hi:[1,0,0]
	v_dual_mul_f32 v158, v157, v153 :: v_dual_mov_b32 v154, v157
	v_dual_mov_b32 v161, v155 :: v_dual_mov_b32 v155, v156
	s_delay_alu instid0(VALU_DEP_2) | instskip(SKIP_1) | instid1(VALU_DEP_3)
	v_pk_fma_f32 v[158:159], v[156:157], v[36:37], v[158:159] op_sel_hi:[1,1,0] neg_lo:[0,0,1] neg_hi:[0,0,1]
	v_mul_f32_e32 v156, v157, v150
	v_pk_add_f32 v[64:65], v[64:65], v[160:161] neg_lo:[0,1] neg_hi:[0,1]
	s_delay_alu instid0(VALU_DEP_2) | instskip(NEXT) | instid1(VALU_DEP_1)
	v_pk_fma_f32 v[154:155], v[154:155], v[36:37], v[156:157] op_sel_hi:[1,1,0]
	v_mov_b32_e32 v159, v155
	ds_load_2addr_b64 v[154:157], v196 offset0:14 offset1:15
	v_pk_add_f32 v[60:61], v[60:61], v[158:159] neg_lo:[0,1] neg_hi:[0,1]
	s_wait_dscnt 0x0
	v_pk_mul_f32 v[158:159], v[154:155], v[152:153] op_sel:[0,1]
	s_delay_alu instid0(VALU_DEP_1) | instskip(SKIP_1) | instid1(VALU_DEP_1)
	v_pk_fma_f32 v[160:161], v[154:155], v[150:151], v[158:159] op_sel:[0,0,1] op_sel_hi:[1,1,0] neg_lo:[0,0,1] neg_hi:[0,0,1]
	v_pk_fma_f32 v[154:155], v[154:155], v[150:151], v[158:159] op_sel:[0,0,1] op_sel_hi:[1,0,0]
	v_mov_b32_e32 v161, v155
	v_pk_mul_f32 v[154:155], v[156:157], v[152:153] op_sel:[0,1]
	s_delay_alu instid0(VALU_DEP_1) | instskip(SKIP_1) | instid1(VALU_DEP_1)
	v_pk_fma_f32 v[158:159], v[156:157], v[150:151], v[154:155] op_sel:[0,0,1] op_sel_hi:[1,1,0] neg_lo:[0,0,1] neg_hi:[0,0,1]
	v_pk_fma_f32 v[154:155], v[156:157], v[150:151], v[154:155] op_sel:[0,0,1] op_sel_hi:[1,0,0]
	v_mov_b32_e32 v159, v155
	ds_load_2addr_b64 v[154:157], v196 offset0:16 offset1:17
	v_pk_add_f32 v[62:63], v[62:63], v[160:161] neg_lo:[0,1] neg_hi:[0,1]
	v_pk_add_f32 v[58:59], v[58:59], v[158:159] neg_lo:[0,1] neg_hi:[0,1]
	s_wait_dscnt 0x0
	v_pk_mul_f32 v[158:159], v[154:155], v[152:153] op_sel:[0,1]
	s_delay_alu instid0(VALU_DEP_1) | instskip(SKIP_1) | instid1(VALU_DEP_1)
	v_pk_fma_f32 v[160:161], v[154:155], v[150:151], v[158:159] op_sel:[0,0,1] op_sel_hi:[1,1,0] neg_lo:[0,0,1] neg_hi:[0,0,1]
	v_pk_fma_f32 v[154:155], v[154:155], v[150:151], v[158:159] op_sel:[0,0,1] op_sel_hi:[1,0,0]
	v_mov_b32_e32 v161, v155
	v_pk_mul_f32 v[154:155], v[156:157], v[152:153] op_sel:[0,1]
	s_delay_alu instid0(VALU_DEP_1) | instskip(SKIP_1) | instid1(VALU_DEP_1)
	v_pk_fma_f32 v[158:159], v[156:157], v[150:151], v[154:155] op_sel:[0,0,1] op_sel_hi:[1,1,0] neg_lo:[0,0,1] neg_hi:[0,0,1]
	v_pk_fma_f32 v[154:155], v[156:157], v[150:151], v[154:155] op_sel:[0,0,1] op_sel_hi:[1,0,0]
	v_mov_b32_e32 v159, v155
	ds_load_2addr_b64 v[154:157], v196 offset0:18 offset1:19
	v_pk_add_f32 v[82:83], v[82:83], v[160:161] neg_lo:[0,1] neg_hi:[0,1]
	v_pk_add_f32 v[78:79], v[78:79], v[158:159] neg_lo:[0,1] neg_hi:[0,1]
	s_wait_dscnt 0x0
	v_dual_mul_f32 v158, v155, v153 :: v_dual_mul_f32 v160, v155, v150
	s_delay_alu instid0(VALU_DEP_1) | instskip(NEXT) | instid1(VALU_DEP_2)
	v_pk_fma_f32 v[158:159], v[154:155], v[36:37], v[158:159] op_sel_hi:[1,1,0] neg_lo:[0,0,1] neg_hi:[0,0,1]
	v_pk_fma_f32 v[154:155], v[154:155], v[36:37], v[160:161] op_sel:[1,0,0] op_sel_hi:[0,1,0]
	s_delay_alu instid0(VALU_DEP_1) | instskip(SKIP_1) | instid1(VALU_DEP_2)
	v_mov_b32_e32 v159, v155
	v_pk_mul_f32 v[154:155], v[156:157], v[152:153] op_sel:[0,1]
	v_pk_add_f32 v[80:81], v[80:81], v[158:159] neg_lo:[0,1] neg_hi:[0,1]
	s_delay_alu instid0(VALU_DEP_2) | instskip(SKIP_1) | instid1(VALU_DEP_1)
	v_pk_fma_f32 v[158:159], v[156:157], v[150:151], v[154:155] op_sel:[0,0,1] op_sel_hi:[1,1,0] neg_lo:[0,0,1] neg_hi:[0,0,1]
	v_pk_fma_f32 v[154:155], v[156:157], v[150:151], v[154:155] op_sel:[0,0,1] op_sel_hi:[1,0,0]
	v_mov_b32_e32 v159, v155
	ds_load_2addr_b64 v[154:157], v196 offset0:20 offset1:21
	v_pk_add_f32 v[76:77], v[76:77], v[158:159] neg_lo:[0,1] neg_hi:[0,1]
	s_wait_dscnt 0x0
	v_pk_mul_f32 v[158:159], v[154:155], v[152:153] op_sel:[0,1]
	s_delay_alu instid0(VALU_DEP_1) | instskip(SKIP_1) | instid1(VALU_DEP_1)
	v_pk_fma_f32 v[160:161], v[154:155], v[150:151], v[158:159] op_sel:[0,0,1] op_sel_hi:[1,1,0] neg_lo:[0,0,1] neg_hi:[0,0,1]
	v_pk_fma_f32 v[154:155], v[154:155], v[150:151], v[158:159] op_sel:[0,0,1] op_sel_hi:[1,0,0]
	v_mov_b32_e32 v161, v155
	v_pk_mul_f32 v[154:155], v[156:157], v[152:153] op_sel:[0,1]
	s_delay_alu instid0(VALU_DEP_2) | instskip(NEXT) | instid1(VALU_DEP_2)
	v_pk_add_f32 v[102:103], v[102:103], v[160:161] neg_lo:[0,1] neg_hi:[0,1]
	v_pk_fma_f32 v[158:159], v[156:157], v[150:151], v[154:155] op_sel:[0,0,1] op_sel_hi:[1,1,0] neg_lo:[0,0,1] neg_hi:[0,0,1]
	v_pk_fma_f32 v[154:155], v[156:157], v[150:151], v[154:155] op_sel:[0,0,1] op_sel_hi:[1,0,0]
	s_delay_alu instid0(VALU_DEP_1) | instskip(SKIP_4) | instid1(VALU_DEP_1)
	v_mov_b32_e32 v159, v155
	ds_load_2addr_b64 v[154:157], v196 offset0:22 offset1:23
	v_pk_add_f32 v[98:99], v[98:99], v[158:159] neg_lo:[0,1] neg_hi:[0,1]
	s_wait_dscnt 0x0
	v_pk_mul_f32 v[158:159], v[154:155], v[152:153] op_sel:[0,1]
	v_pk_fma_f32 v[160:161], v[154:155], v[150:151], v[158:159] op_sel:[0,0,1] op_sel_hi:[1,1,0] neg_lo:[0,0,1] neg_hi:[0,0,1]
	v_pk_fma_f32 v[154:155], v[154:155], v[150:151], v[158:159] op_sel:[0,0,1] op_sel_hi:[1,0,0]
	v_dual_mul_f32 v158, v157, v153 :: v_dual_mov_b32 v154, v157
	s_delay_alu instid0(VALU_DEP_2) | instskip(NEXT) | instid1(VALU_DEP_2)
	v_dual_mov_b32 v161, v155 :: v_dual_mov_b32 v155, v156
	v_pk_fma_f32 v[158:159], v[156:157], v[36:37], v[158:159] op_sel_hi:[1,1,0] neg_lo:[0,0,1] neg_hi:[0,0,1]
	v_mul_f32_e32 v156, v157, v150
	s_delay_alu instid0(VALU_DEP_3) | instskip(NEXT) | instid1(VALU_DEP_2)
	v_pk_add_f32 v[100:101], v[100:101], v[160:161] neg_lo:[0,1] neg_hi:[0,1]
	v_pk_fma_f32 v[154:155], v[154:155], v[36:37], v[156:157] op_sel_hi:[1,1,0]
	s_delay_alu instid0(VALU_DEP_1) | instskip(SKIP_4) | instid1(VALU_DEP_1)
	v_mov_b32_e32 v159, v155
	ds_load_2addr_b64 v[154:157], v196 offset0:24 offset1:25
	v_pk_add_f32 v[96:97], v[96:97], v[158:159] neg_lo:[0,1] neg_hi:[0,1]
	s_wait_dscnt 0x0
	v_pk_mul_f32 v[158:159], v[154:155], v[152:153] op_sel:[0,1]
	v_pk_fma_f32 v[160:161], v[154:155], v[150:151], v[158:159] op_sel:[0,0,1] op_sel_hi:[1,1,0] neg_lo:[0,0,1] neg_hi:[0,0,1]
	v_pk_fma_f32 v[154:155], v[154:155], v[150:151], v[158:159] op_sel:[0,0,1] op_sel_hi:[1,0,0]
	s_delay_alu instid0(VALU_DEP_1) | instskip(SKIP_1) | instid1(VALU_DEP_1)
	v_mov_b32_e32 v161, v155
	v_pk_mul_f32 v[154:155], v[156:157], v[152:153] op_sel:[0,1]
	v_pk_fma_f32 v[158:159], v[156:157], v[150:151], v[154:155] op_sel:[0,0,1] op_sel_hi:[1,1,0] neg_lo:[0,0,1] neg_hi:[0,0,1]
	v_pk_fma_f32 v[154:155], v[156:157], v[150:151], v[154:155] op_sel:[0,0,1] op_sel_hi:[1,0,0]
	s_delay_alu instid0(VALU_DEP_1)
	v_mov_b32_e32 v159, v155
	ds_load_2addr_b64 v[154:157], v196 offset0:26 offset1:27
	v_pk_add_f32 v[120:121], v[120:121], v[160:161] neg_lo:[0,1] neg_hi:[0,1]
	v_pk_add_f32 v[116:117], v[116:117], v[158:159] neg_lo:[0,1] neg_hi:[0,1]
	s_wait_dscnt 0x0
	v_pk_mul_f32 v[158:159], v[154:155], v[152:153] op_sel:[0,1]
	s_delay_alu instid0(VALU_DEP_1) | instskip(SKIP_1) | instid1(VALU_DEP_1)
	v_pk_fma_f32 v[160:161], v[154:155], v[150:151], v[158:159] op_sel:[0,0,1] op_sel_hi:[1,1,0] neg_lo:[0,0,1] neg_hi:[0,0,1]
	v_pk_fma_f32 v[154:155], v[154:155], v[150:151], v[158:159] op_sel:[0,0,1] op_sel_hi:[1,0,0]
	v_mov_b32_e32 v161, v155
	v_pk_mul_f32 v[154:155], v[156:157], v[152:153] op_sel:[0,1]
	s_delay_alu instid0(VALU_DEP_1) | instskip(SKIP_1) | instid1(VALU_DEP_1)
	v_pk_fma_f32 v[158:159], v[156:157], v[150:151], v[154:155] op_sel:[0,0,1] op_sel_hi:[1,1,0] neg_lo:[0,0,1] neg_hi:[0,0,1]
	v_pk_fma_f32 v[154:155], v[156:157], v[150:151], v[154:155] op_sel:[0,0,1] op_sel_hi:[1,0,0]
	v_mov_b32_e32 v159, v155
	ds_load_2addr_b64 v[154:157], v196 offset0:28 offset1:29
	v_pk_add_f32 v[118:119], v[118:119], v[160:161] neg_lo:[0,1] neg_hi:[0,1]
	v_pk_add_f32 v[114:115], v[114:115], v[158:159] neg_lo:[0,1] neg_hi:[0,1]
	s_wait_dscnt 0x0
	v_dual_mul_f32 v158, v155, v153 :: v_dual_mul_f32 v160, v155, v150
	s_delay_alu instid0(VALU_DEP_1) | instskip(NEXT) | instid1(VALU_DEP_2)
	v_pk_fma_f32 v[158:159], v[154:155], v[36:37], v[158:159] op_sel_hi:[1,1,0] neg_lo:[0,0,1] neg_hi:[0,0,1]
	v_pk_fma_f32 v[154:155], v[154:155], v[36:37], v[160:161] op_sel:[1,0,0] op_sel_hi:[0,1,0]
	s_delay_alu instid0(VALU_DEP_1) | instskip(SKIP_1) | instid1(VALU_DEP_2)
	v_mov_b32_e32 v159, v155
	v_pk_mul_f32 v[154:155], v[156:157], v[152:153] op_sel:[0,1]
	v_pk_add_f32 v[126:127], v[126:127], v[158:159] neg_lo:[0,1] neg_hi:[0,1]
	s_delay_alu instid0(VALU_DEP_2) | instskip(SKIP_1) | instid1(VALU_DEP_1)
	v_pk_fma_f32 v[158:159], v[156:157], v[150:151], v[154:155] op_sel:[0,0,1] op_sel_hi:[1,1,0] neg_lo:[0,0,1] neg_hi:[0,0,1]
	v_pk_fma_f32 v[154:155], v[156:157], v[150:151], v[154:155] op_sel:[0,0,1] op_sel_hi:[1,0,0]
	v_mov_b32_e32 v159, v155
	ds_load_2addr_b64 v[154:157], v196 offset0:30 offset1:31
	v_pk_add_f32 v[124:125], v[124:125], v[158:159] neg_lo:[0,1] neg_hi:[0,1]
	s_wait_dscnt 0x0
	v_pk_mul_f32 v[158:159], v[154:155], v[152:153] op_sel:[0,1]
	v_pk_mul_f32 v[152:153], v[156:157], v[152:153] op_sel:[0,1]
	s_delay_alu instid0(VALU_DEP_2) | instskip(SKIP_1) | instid1(VALU_DEP_1)
	v_pk_fma_f32 v[160:161], v[154:155], v[150:151], v[158:159] op_sel:[0,0,1] op_sel_hi:[1,1,0] neg_lo:[0,0,1] neg_hi:[0,0,1]
	v_pk_fma_f32 v[154:155], v[154:155], v[150:151], v[158:159] op_sel:[0,0,1] op_sel_hi:[1,0,0]
	v_mov_b32_e32 v161, v155
	s_delay_alu instid0(VALU_DEP_4) | instskip(SKIP_1) | instid1(VALU_DEP_3)
	v_pk_fma_f32 v[154:155], v[156:157], v[150:151], v[152:153] op_sel:[0,0,1] op_sel_hi:[1,1,0] neg_lo:[0,0,1] neg_hi:[0,0,1]
	v_pk_fma_f32 v[150:151], v[156:157], v[150:151], v[152:153] op_sel:[0,0,1] op_sel_hi:[1,0,0]
	v_pk_add_f32 v[122:123], v[122:123], v[160:161] neg_lo:[0,1] neg_hi:[0,1]
	s_delay_alu instid0(VALU_DEP_2) | instskip(NEXT) | instid1(VALU_DEP_1)
	v_mov_b32_e32 v155, v151
	v_pk_add_f32 v[128:129], v[128:129], v[154:155] neg_lo:[0,1] neg_hi:[0,1]
.LBB63_91:
	s_or_b32 exec_lo, exec_lo, s1
	s_delay_alu instid0(SALU_CYCLE_1)
	s_mov_b32 s2, exec_lo
	s_wait_dscnt 0x0
	s_barrier_signal -1
	s_barrier_wait -1
	v_cmpx_eq_u32_e32 10, v194
	s_cbranch_execz .LBB63_98
; %bb.92:
	ds_store_b64 v195, v[38:39]
	ds_store_2addr_b64 v196, v[34:35], v[64:65] offset0:11 offset1:12
	ds_store_2addr_b64 v196, v[60:61], v[62:63] offset0:13 offset1:14
	;; [unrolled: 1-line block ×10, first 2 shown]
	ds_store_b64 v196, v[128:129] offset:248
	ds_load_b64 v[150:151], v195
	s_wait_dscnt 0x0
	v_cmp_neq_f32_e32 vcc_lo, 0, v150
	v_cmp_neq_f32_e64 s1, 0, v151
	s_or_b32 s1, vcc_lo, s1
	s_delay_alu instid0(SALU_CYCLE_1)
	s_and_b32 exec_lo, exec_lo, s1
	s_cbranch_execz .LBB63_98
; %bb.93:
	v_cmp_ngt_f32_e64 s1, |v150|, |v151|
                                        ; implicit-def: $vgpr152_vgpr153
	s_and_saveexec_b32 s4, s1
	s_delay_alu instid0(SALU_CYCLE_1)
	s_xor_b32 s1, exec_lo, s4
	s_cbranch_execz .LBB63_95
; %bb.94:
	v_div_scale_f32 v152, null, v151, v151, v150
	v_div_scale_f32 v155, vcc_lo, v150, v151, v150
	s_delay_alu instid0(VALU_DEP_2) | instskip(SKIP_1) | instid1(TRANS32_DEP_1)
	v_rcp_f32_e32 v153, v152
	v_nop
	v_fma_f32 v154, -v152, v153, 1.0
	s_delay_alu instid0(VALU_DEP_1) | instskip(NEXT) | instid1(VALU_DEP_1)
	v_fmac_f32_e32 v153, v154, v153
	v_mul_f32_e32 v154, v155, v153
	s_delay_alu instid0(VALU_DEP_1) | instskip(NEXT) | instid1(VALU_DEP_1)
	v_fma_f32 v156, -v152, v154, v155
	v_fmac_f32_e32 v154, v156, v153
	s_delay_alu instid0(VALU_DEP_1) | instskip(NEXT) | instid1(VALU_DEP_1)
	v_fma_f32 v152, -v152, v154, v155
	v_div_fmas_f32 v152, v152, v153, v154
	s_delay_alu instid0(VALU_DEP_1) | instskip(NEXT) | instid1(VALU_DEP_1)
	v_div_fixup_f32 v152, v152, v151, v150
	v_fmac_f32_e32 v151, v150, v152
	s_delay_alu instid0(VALU_DEP_1) | instskip(SKIP_1) | instid1(VALU_DEP_2)
	v_div_scale_f32 v150, null, v151, v151, 1.0
	v_div_scale_f32 v155, vcc_lo, 1.0, v151, 1.0
	v_rcp_f32_e32 v153, v150
	v_nop
	s_delay_alu instid0(TRANS32_DEP_1) | instskip(NEXT) | instid1(VALU_DEP_1)
	v_fma_f32 v154, -v150, v153, 1.0
	v_fmac_f32_e32 v153, v154, v153
	s_delay_alu instid0(VALU_DEP_1) | instskip(NEXT) | instid1(VALU_DEP_1)
	v_mul_f32_e32 v154, v155, v153
	v_fma_f32 v156, -v150, v154, v155
	s_delay_alu instid0(VALU_DEP_1) | instskip(NEXT) | instid1(VALU_DEP_1)
	v_fmac_f32_e32 v154, v156, v153
	v_fma_f32 v150, -v150, v154, v155
	s_delay_alu instid0(VALU_DEP_1) | instskip(NEXT) | instid1(VALU_DEP_1)
	v_div_fmas_f32 v150, v150, v153, v154
	v_div_fixup_f32 v150, v150, v151, 1.0
	s_delay_alu instid0(VALU_DEP_1)
	v_mul_f32_e32 v152, v152, v150
	v_xor_b32_e32 v153, 0x80000000, v150
                                        ; implicit-def: $vgpr150_vgpr151
.LBB63_95:
	s_and_not1_saveexec_b32 s1, s1
	s_cbranch_execz .LBB63_97
; %bb.96:
	v_div_scale_f32 v152, null, v150, v150, v151
	v_div_scale_f32 v155, vcc_lo, v151, v150, v151
	s_delay_alu instid0(VALU_DEP_2) | instskip(SKIP_1) | instid1(TRANS32_DEP_1)
	v_rcp_f32_e32 v153, v152
	v_nop
	v_fma_f32 v154, -v152, v153, 1.0
	s_delay_alu instid0(VALU_DEP_1) | instskip(NEXT) | instid1(VALU_DEP_1)
	v_fmac_f32_e32 v153, v154, v153
	v_mul_f32_e32 v154, v155, v153
	s_delay_alu instid0(VALU_DEP_1) | instskip(NEXT) | instid1(VALU_DEP_1)
	v_fma_f32 v156, -v152, v154, v155
	v_fmac_f32_e32 v154, v156, v153
	s_delay_alu instid0(VALU_DEP_1) | instskip(NEXT) | instid1(VALU_DEP_1)
	v_fma_f32 v152, -v152, v154, v155
	v_div_fmas_f32 v152, v152, v153, v154
	s_delay_alu instid0(VALU_DEP_1) | instskip(NEXT) | instid1(VALU_DEP_1)
	v_div_fixup_f32 v153, v152, v150, v151
	v_fmac_f32_e32 v150, v151, v153
	s_delay_alu instid0(VALU_DEP_1) | instskip(NEXT) | instid1(VALU_DEP_1)
	v_div_scale_f32 v151, null, v150, v150, 1.0
	v_rcp_f32_e32 v152, v151
	v_nop
	s_delay_alu instid0(TRANS32_DEP_1) | instskip(NEXT) | instid1(VALU_DEP_1)
	v_fma_f32 v154, -v151, v152, 1.0
	v_fmac_f32_e32 v152, v154, v152
	v_div_scale_f32 v154, vcc_lo, 1.0, v150, 1.0
	s_delay_alu instid0(VALU_DEP_1) | instskip(NEXT) | instid1(VALU_DEP_1)
	v_mul_f32_e32 v155, v154, v152
	v_fma_f32 v156, -v151, v155, v154
	s_delay_alu instid0(VALU_DEP_1) | instskip(NEXT) | instid1(VALU_DEP_1)
	v_fmac_f32_e32 v155, v156, v152
	v_fma_f32 v151, -v151, v155, v154
	s_delay_alu instid0(VALU_DEP_1) | instskip(NEXT) | instid1(VALU_DEP_1)
	v_div_fmas_f32 v151, v151, v152, v155
	v_div_fixup_f32 v152, v151, v150, 1.0
	s_delay_alu instid0(VALU_DEP_1)
	v_mul_f32_e64 v153, v153, -v152
.LBB63_97:
	s_or_b32 exec_lo, exec_lo, s1
	ds_store_b64 v195, v[152:153]
.LBB63_98:
	s_or_b32 exec_lo, exec_lo, s2
	s_wait_dscnt 0x0
	s_barrier_signal -1
	s_barrier_wait -1
	ds_load_b64 v[150:151], v195
	s_mov_b32 s1, exec_lo
	v_cmpx_lt_u32_e32 10, v194
	s_cbranch_execz .LBB63_100
; %bb.99:
	ds_load_2addr_b64 v[156:159], v196 offset0:11 offset1:12
	s_wait_dscnt 0x1
	v_pk_mul_f32 v[154:155], v[150:151], v[38:39] op_sel:[1,1] op_sel_hi:[0,1]
	s_delay_alu instid0(VALU_DEP_1) | instskip(SKIP_1) | instid1(VALU_DEP_1)
	v_pk_fma_f32 v[152:153], v[150:151], v[38:39], v[154:155] op_sel_hi:[1,0,1] neg_lo:[0,0,1] neg_hi:[0,0,1]
	v_pk_fma_f32 v[154:155], v[150:151], v[38:39], v[154:155] op_sel_hi:[1,0,1]
	v_dual_mov_b32 v38, v152 :: v_dual_mov_b32 v39, v155
	s_wait_dscnt 0x0
	s_delay_alu instid0(VALU_DEP_2) | instskip(NEXT) | instid1(VALU_DEP_1)
	v_pk_mul_f32 v[160:161], v[156:157], v[154:155] op_sel:[0,1]
	v_pk_fma_f32 v[162:163], v[156:157], v[152:153], v[160:161] op_sel:[0,0,1] op_sel_hi:[1,1,0] neg_lo:[0,0,1] neg_hi:[0,0,1]
	v_pk_fma_f32 v[156:157], v[156:157], v[152:153], v[160:161] op_sel:[0,0,1] op_sel_hi:[1,0,0]
	s_delay_alu instid0(VALU_DEP_1) | instskip(SKIP_1) | instid1(VALU_DEP_1)
	v_mov_b32_e32 v163, v157
	v_pk_mul_f32 v[156:157], v[158:159], v[154:155] op_sel:[0,1]
	v_pk_fma_f32 v[160:161], v[158:159], v[152:153], v[156:157] op_sel:[0,0,1] op_sel_hi:[1,1,0] neg_lo:[0,0,1] neg_hi:[0,0,1]
	v_pk_fma_f32 v[156:157], v[158:159], v[152:153], v[156:157] op_sel:[0,0,1] op_sel_hi:[1,0,0]
	s_delay_alu instid0(VALU_DEP_1)
	v_mov_b32_e32 v161, v157
	ds_load_2addr_b64 v[156:159], v196 offset0:13 offset1:14
	v_pk_add_f32 v[34:35], v[34:35], v[162:163] neg_lo:[0,1] neg_hi:[0,1]
	v_pk_add_f32 v[64:65], v[64:65], v[160:161] neg_lo:[0,1] neg_hi:[0,1]
	s_wait_dscnt 0x0
	v_pk_mul_f32 v[160:161], v[156:157], v[154:155] op_sel:[0,1]
	s_delay_alu instid0(VALU_DEP_1) | instskip(SKIP_2) | instid1(VALU_DEP_2)
	v_pk_fma_f32 v[162:163], v[156:157], v[152:153], v[160:161] op_sel:[0,0,1] op_sel_hi:[1,1,0] neg_lo:[0,0,1] neg_hi:[0,0,1]
	v_pk_fma_f32 v[156:157], v[156:157], v[152:153], v[160:161] op_sel:[0,0,1] op_sel_hi:[1,0,0]
	v_dual_mul_f32 v160, v159, v155 :: v_dual_mov_b32 v156, v159
	v_dual_mov_b32 v163, v157 :: v_dual_mov_b32 v157, v158
	s_delay_alu instid0(VALU_DEP_2) | instskip(SKIP_1) | instid1(VALU_DEP_3)
	v_pk_fma_f32 v[160:161], v[158:159], v[38:39], v[160:161] op_sel_hi:[1,1,0] neg_lo:[0,0,1] neg_hi:[0,0,1]
	v_mul_f32_e32 v158, v159, v152
	v_pk_add_f32 v[60:61], v[60:61], v[162:163] neg_lo:[0,1] neg_hi:[0,1]
	s_delay_alu instid0(VALU_DEP_2) | instskip(NEXT) | instid1(VALU_DEP_1)
	v_pk_fma_f32 v[156:157], v[156:157], v[38:39], v[158:159] op_sel_hi:[1,1,0]
	v_mov_b32_e32 v161, v157
	ds_load_2addr_b64 v[156:159], v196 offset0:15 offset1:16
	v_pk_add_f32 v[62:63], v[62:63], v[160:161] neg_lo:[0,1] neg_hi:[0,1]
	s_wait_dscnt 0x0
	v_pk_mul_f32 v[160:161], v[156:157], v[154:155] op_sel:[0,1]
	s_delay_alu instid0(VALU_DEP_1) | instskip(SKIP_1) | instid1(VALU_DEP_1)
	v_pk_fma_f32 v[162:163], v[156:157], v[152:153], v[160:161] op_sel:[0,0,1] op_sel_hi:[1,1,0] neg_lo:[0,0,1] neg_hi:[0,0,1]
	v_pk_fma_f32 v[156:157], v[156:157], v[152:153], v[160:161] op_sel:[0,0,1] op_sel_hi:[1,0,0]
	v_mov_b32_e32 v163, v157
	v_pk_mul_f32 v[156:157], v[158:159], v[154:155] op_sel:[0,1]
	s_delay_alu instid0(VALU_DEP_1) | instskip(SKIP_1) | instid1(VALU_DEP_1)
	v_pk_fma_f32 v[160:161], v[158:159], v[152:153], v[156:157] op_sel:[0,0,1] op_sel_hi:[1,1,0] neg_lo:[0,0,1] neg_hi:[0,0,1]
	v_pk_fma_f32 v[156:157], v[158:159], v[152:153], v[156:157] op_sel:[0,0,1] op_sel_hi:[1,0,0]
	v_mov_b32_e32 v161, v157
	ds_load_2addr_b64 v[156:159], v196 offset0:17 offset1:18
	v_pk_add_f32 v[58:59], v[58:59], v[162:163] neg_lo:[0,1] neg_hi:[0,1]
	v_pk_add_f32 v[82:83], v[82:83], v[160:161] neg_lo:[0,1] neg_hi:[0,1]
	s_wait_dscnt 0x0
	v_pk_mul_f32 v[160:161], v[156:157], v[154:155] op_sel:[0,1]
	s_delay_alu instid0(VALU_DEP_1) | instskip(SKIP_1) | instid1(VALU_DEP_1)
	v_pk_fma_f32 v[162:163], v[156:157], v[152:153], v[160:161] op_sel:[0,0,1] op_sel_hi:[1,1,0] neg_lo:[0,0,1] neg_hi:[0,0,1]
	v_pk_fma_f32 v[156:157], v[156:157], v[152:153], v[160:161] op_sel:[0,0,1] op_sel_hi:[1,0,0]
	v_mov_b32_e32 v163, v157
	v_pk_mul_f32 v[156:157], v[158:159], v[154:155] op_sel:[0,1]
	s_delay_alu instid0(VALU_DEP_1) | instskip(SKIP_1) | instid1(VALU_DEP_1)
	v_pk_fma_f32 v[160:161], v[158:159], v[152:153], v[156:157] op_sel:[0,0,1] op_sel_hi:[1,1,0] neg_lo:[0,0,1] neg_hi:[0,0,1]
	v_pk_fma_f32 v[156:157], v[158:159], v[152:153], v[156:157] op_sel:[0,0,1] op_sel_hi:[1,0,0]
	v_mov_b32_e32 v161, v157
	ds_load_2addr_b64 v[156:159], v196 offset0:19 offset1:20
	v_pk_add_f32 v[78:79], v[78:79], v[162:163] neg_lo:[0,1] neg_hi:[0,1]
	v_pk_add_f32 v[80:81], v[80:81], v[160:161] neg_lo:[0,1] neg_hi:[0,1]
	s_wait_dscnt 0x0
	v_dual_mul_f32 v160, v157, v155 :: v_dual_mul_f32 v162, v157, v152
	s_delay_alu instid0(VALU_DEP_1) | instskip(NEXT) | instid1(VALU_DEP_2)
	v_pk_fma_f32 v[160:161], v[156:157], v[38:39], v[160:161] op_sel_hi:[1,1,0] neg_lo:[0,0,1] neg_hi:[0,0,1]
	v_pk_fma_f32 v[156:157], v[156:157], v[38:39], v[162:163] op_sel:[1,0,0] op_sel_hi:[0,1,0]
	s_delay_alu instid0(VALU_DEP_1) | instskip(SKIP_1) | instid1(VALU_DEP_2)
	v_mov_b32_e32 v161, v157
	v_pk_mul_f32 v[156:157], v[158:159], v[154:155] op_sel:[0,1]
	v_pk_add_f32 v[76:77], v[76:77], v[160:161] neg_lo:[0,1] neg_hi:[0,1]
	s_delay_alu instid0(VALU_DEP_2) | instskip(SKIP_1) | instid1(VALU_DEP_1)
	v_pk_fma_f32 v[160:161], v[158:159], v[152:153], v[156:157] op_sel:[0,0,1] op_sel_hi:[1,1,0] neg_lo:[0,0,1] neg_hi:[0,0,1]
	v_pk_fma_f32 v[156:157], v[158:159], v[152:153], v[156:157] op_sel:[0,0,1] op_sel_hi:[1,0,0]
	v_mov_b32_e32 v161, v157
	ds_load_2addr_b64 v[156:159], v196 offset0:21 offset1:22
	v_pk_add_f32 v[102:103], v[102:103], v[160:161] neg_lo:[0,1] neg_hi:[0,1]
	s_wait_dscnt 0x0
	v_pk_mul_f32 v[160:161], v[156:157], v[154:155] op_sel:[0,1]
	s_delay_alu instid0(VALU_DEP_1) | instskip(SKIP_1) | instid1(VALU_DEP_1)
	v_pk_fma_f32 v[162:163], v[156:157], v[152:153], v[160:161] op_sel:[0,0,1] op_sel_hi:[1,1,0] neg_lo:[0,0,1] neg_hi:[0,0,1]
	v_pk_fma_f32 v[156:157], v[156:157], v[152:153], v[160:161] op_sel:[0,0,1] op_sel_hi:[1,0,0]
	v_mov_b32_e32 v163, v157
	v_pk_mul_f32 v[156:157], v[158:159], v[154:155] op_sel:[0,1]
	s_delay_alu instid0(VALU_DEP_2) | instskip(NEXT) | instid1(VALU_DEP_2)
	v_pk_add_f32 v[98:99], v[98:99], v[162:163] neg_lo:[0,1] neg_hi:[0,1]
	v_pk_fma_f32 v[160:161], v[158:159], v[152:153], v[156:157] op_sel:[0,0,1] op_sel_hi:[1,1,0] neg_lo:[0,0,1] neg_hi:[0,0,1]
	v_pk_fma_f32 v[156:157], v[158:159], v[152:153], v[156:157] op_sel:[0,0,1] op_sel_hi:[1,0,0]
	s_delay_alu instid0(VALU_DEP_1) | instskip(SKIP_4) | instid1(VALU_DEP_1)
	v_mov_b32_e32 v161, v157
	ds_load_2addr_b64 v[156:159], v196 offset0:23 offset1:24
	v_pk_add_f32 v[100:101], v[100:101], v[160:161] neg_lo:[0,1] neg_hi:[0,1]
	s_wait_dscnt 0x0
	v_pk_mul_f32 v[160:161], v[156:157], v[154:155] op_sel:[0,1]
	v_pk_fma_f32 v[162:163], v[156:157], v[152:153], v[160:161] op_sel:[0,0,1] op_sel_hi:[1,1,0] neg_lo:[0,0,1] neg_hi:[0,0,1]
	v_pk_fma_f32 v[156:157], v[156:157], v[152:153], v[160:161] op_sel:[0,0,1] op_sel_hi:[1,0,0]
	v_dual_mul_f32 v160, v159, v155 :: v_dual_mov_b32 v156, v159
	s_delay_alu instid0(VALU_DEP_2) | instskip(NEXT) | instid1(VALU_DEP_2)
	v_dual_mov_b32 v163, v157 :: v_dual_mov_b32 v157, v158
	v_pk_fma_f32 v[160:161], v[158:159], v[38:39], v[160:161] op_sel_hi:[1,1,0] neg_lo:[0,0,1] neg_hi:[0,0,1]
	v_mul_f32_e32 v158, v159, v152
	s_delay_alu instid0(VALU_DEP_3) | instskip(NEXT) | instid1(VALU_DEP_2)
	v_pk_add_f32 v[96:97], v[96:97], v[162:163] neg_lo:[0,1] neg_hi:[0,1]
	v_pk_fma_f32 v[156:157], v[156:157], v[38:39], v[158:159] op_sel_hi:[1,1,0]
	s_delay_alu instid0(VALU_DEP_1) | instskip(SKIP_4) | instid1(VALU_DEP_1)
	v_mov_b32_e32 v161, v157
	ds_load_2addr_b64 v[156:159], v196 offset0:25 offset1:26
	v_pk_add_f32 v[120:121], v[120:121], v[160:161] neg_lo:[0,1] neg_hi:[0,1]
	s_wait_dscnt 0x0
	v_pk_mul_f32 v[160:161], v[156:157], v[154:155] op_sel:[0,1]
	v_pk_fma_f32 v[162:163], v[156:157], v[152:153], v[160:161] op_sel:[0,0,1] op_sel_hi:[1,1,0] neg_lo:[0,0,1] neg_hi:[0,0,1]
	v_pk_fma_f32 v[156:157], v[156:157], v[152:153], v[160:161] op_sel:[0,0,1] op_sel_hi:[1,0,0]
	s_delay_alu instid0(VALU_DEP_1) | instskip(SKIP_1) | instid1(VALU_DEP_1)
	v_mov_b32_e32 v163, v157
	v_pk_mul_f32 v[156:157], v[158:159], v[154:155] op_sel:[0,1]
	v_pk_fma_f32 v[160:161], v[158:159], v[152:153], v[156:157] op_sel:[0,0,1] op_sel_hi:[1,1,0] neg_lo:[0,0,1] neg_hi:[0,0,1]
	v_pk_fma_f32 v[156:157], v[158:159], v[152:153], v[156:157] op_sel:[0,0,1] op_sel_hi:[1,0,0]
	s_delay_alu instid0(VALU_DEP_1)
	v_mov_b32_e32 v161, v157
	ds_load_2addr_b64 v[156:159], v196 offset0:27 offset1:28
	v_pk_add_f32 v[116:117], v[116:117], v[162:163] neg_lo:[0,1] neg_hi:[0,1]
	v_pk_add_f32 v[118:119], v[118:119], v[160:161] neg_lo:[0,1] neg_hi:[0,1]
	s_wait_dscnt 0x0
	v_pk_mul_f32 v[160:161], v[156:157], v[154:155] op_sel:[0,1]
	s_delay_alu instid0(VALU_DEP_1) | instskip(SKIP_1) | instid1(VALU_DEP_1)
	v_pk_fma_f32 v[162:163], v[156:157], v[152:153], v[160:161] op_sel:[0,0,1] op_sel_hi:[1,1,0] neg_lo:[0,0,1] neg_hi:[0,0,1]
	v_pk_fma_f32 v[156:157], v[156:157], v[152:153], v[160:161] op_sel:[0,0,1] op_sel_hi:[1,0,0]
	v_mov_b32_e32 v163, v157
	v_pk_mul_f32 v[156:157], v[158:159], v[154:155] op_sel:[0,1]
	s_delay_alu instid0(VALU_DEP_1) | instskip(SKIP_1) | instid1(VALU_DEP_1)
	v_pk_fma_f32 v[160:161], v[158:159], v[152:153], v[156:157] op_sel:[0,0,1] op_sel_hi:[1,1,0] neg_lo:[0,0,1] neg_hi:[0,0,1]
	v_pk_fma_f32 v[156:157], v[158:159], v[152:153], v[156:157] op_sel:[0,0,1] op_sel_hi:[1,0,0]
	v_mov_b32_e32 v161, v157
	ds_load_2addr_b64 v[156:159], v196 offset0:29 offset1:30
	v_pk_add_f32 v[114:115], v[114:115], v[162:163] neg_lo:[0,1] neg_hi:[0,1]
	v_pk_add_f32 v[126:127], v[126:127], v[160:161] neg_lo:[0,1] neg_hi:[0,1]
	s_wait_dscnt 0x0
	v_dual_mul_f32 v160, v157, v155 :: v_dual_mul_f32 v162, v157, v152
	s_delay_alu instid0(VALU_DEP_1) | instskip(NEXT) | instid1(VALU_DEP_2)
	v_pk_fma_f32 v[160:161], v[156:157], v[38:39], v[160:161] op_sel_hi:[1,1,0] neg_lo:[0,0,1] neg_hi:[0,0,1]
	v_pk_fma_f32 v[156:157], v[156:157], v[38:39], v[162:163] op_sel:[1,0,0] op_sel_hi:[0,1,0]
	s_delay_alu instid0(VALU_DEP_1) | instskip(SKIP_1) | instid1(VALU_DEP_2)
	v_mov_b32_e32 v161, v157
	v_pk_mul_f32 v[156:157], v[158:159], v[154:155] op_sel:[0,1]
	v_pk_add_f32 v[124:125], v[124:125], v[160:161] neg_lo:[0,1] neg_hi:[0,1]
	s_delay_alu instid0(VALU_DEP_2) | instskip(SKIP_1) | instid1(VALU_DEP_1)
	v_pk_fma_f32 v[160:161], v[158:159], v[152:153], v[156:157] op_sel:[0,0,1] op_sel_hi:[1,1,0] neg_lo:[0,0,1] neg_hi:[0,0,1]
	v_pk_fma_f32 v[156:157], v[158:159], v[152:153], v[156:157] op_sel:[0,0,1] op_sel_hi:[1,0,0]
	v_mov_b32_e32 v161, v157
	ds_load_b64 v[156:157], v196 offset:248
	v_pk_add_f32 v[122:123], v[122:123], v[160:161] neg_lo:[0,1] neg_hi:[0,1]
	s_wait_dscnt 0x0
	v_pk_mul_f32 v[154:155], v[156:157], v[154:155] op_sel:[0,1]
	s_delay_alu instid0(VALU_DEP_1) | instskip(SKIP_1) | instid1(VALU_DEP_1)
	v_pk_fma_f32 v[158:159], v[156:157], v[152:153], v[154:155] op_sel:[0,0,1] op_sel_hi:[1,1,0] neg_lo:[0,0,1] neg_hi:[0,0,1]
	v_pk_fma_f32 v[152:153], v[156:157], v[152:153], v[154:155] op_sel:[0,0,1] op_sel_hi:[1,0,0]
	v_mov_b32_e32 v159, v153
	s_delay_alu instid0(VALU_DEP_1)
	v_pk_add_f32 v[128:129], v[128:129], v[158:159] neg_lo:[0,1] neg_hi:[0,1]
.LBB63_100:
	s_or_b32 exec_lo, exec_lo, s1
	s_delay_alu instid0(SALU_CYCLE_1)
	s_mov_b32 s2, exec_lo
	s_wait_dscnt 0x0
	s_barrier_signal -1
	s_barrier_wait -1
	v_cmpx_eq_u32_e32 11, v194
	s_cbranch_execz .LBB63_107
; %bb.101:
	v_dual_mov_b32 v152, v64 :: v_dual_mov_b32 v153, v65
	v_dual_mov_b32 v154, v60 :: v_dual_mov_b32 v155, v61
	;; [unrolled: 1-line block ×8, first 2 shown]
	ds_store_b64 v195, v[34:35]
	ds_store_2addr_b64 v196, v[152:153], v[154:155] offset0:12 offset1:13
	ds_store_2addr_b64 v196, v[156:157], v[158:159] offset0:14 offset1:15
	;; [unrolled: 1-line block ×4, first 2 shown]
	v_dual_mov_b32 v152, v102 :: v_dual_mov_b32 v153, v103
	v_dual_mov_b32 v154, v98 :: v_dual_mov_b32 v155, v99
	;; [unrolled: 1-line block ×11, first 2 shown]
	ds_store_2addr_b64 v196, v[152:153], v[154:155] offset0:20 offset1:21
	ds_store_2addr_b64 v196, v[156:157], v[158:159] offset0:22 offset1:23
	;; [unrolled: 1-line block ×6, first 2 shown]
	ds_load_b64 v[152:153], v195
	s_wait_dscnt 0x0
	v_cmp_neq_f32_e32 vcc_lo, 0, v152
	v_cmp_neq_f32_e64 s1, 0, v153
	s_or_b32 s1, vcc_lo, s1
	s_delay_alu instid0(SALU_CYCLE_1)
	s_and_b32 exec_lo, exec_lo, s1
	s_cbranch_execz .LBB63_107
; %bb.102:
	v_cmp_ngt_f32_e64 s1, |v152|, |v153|
                                        ; implicit-def: $vgpr154_vgpr155
	s_and_saveexec_b32 s4, s1
	s_delay_alu instid0(SALU_CYCLE_1)
	s_xor_b32 s1, exec_lo, s4
	s_cbranch_execz .LBB63_104
; %bb.103:
	v_div_scale_f32 v154, null, v153, v153, v152
	v_div_scale_f32 v157, vcc_lo, v152, v153, v152
	s_delay_alu instid0(VALU_DEP_2) | instskip(SKIP_1) | instid1(TRANS32_DEP_1)
	v_rcp_f32_e32 v155, v154
	v_nop
	v_fma_f32 v156, -v154, v155, 1.0
	s_delay_alu instid0(VALU_DEP_1) | instskip(NEXT) | instid1(VALU_DEP_1)
	v_fmac_f32_e32 v155, v156, v155
	v_mul_f32_e32 v156, v157, v155
	s_delay_alu instid0(VALU_DEP_1) | instskip(NEXT) | instid1(VALU_DEP_1)
	v_fma_f32 v158, -v154, v156, v157
	v_fmac_f32_e32 v156, v158, v155
	s_delay_alu instid0(VALU_DEP_1) | instskip(NEXT) | instid1(VALU_DEP_1)
	v_fma_f32 v154, -v154, v156, v157
	v_div_fmas_f32 v154, v154, v155, v156
	s_delay_alu instid0(VALU_DEP_1) | instskip(NEXT) | instid1(VALU_DEP_1)
	v_div_fixup_f32 v154, v154, v153, v152
	v_fmac_f32_e32 v153, v152, v154
	s_delay_alu instid0(VALU_DEP_1) | instskip(SKIP_1) | instid1(VALU_DEP_2)
	v_div_scale_f32 v152, null, v153, v153, 1.0
	v_div_scale_f32 v157, vcc_lo, 1.0, v153, 1.0
	v_rcp_f32_e32 v155, v152
	v_nop
	s_delay_alu instid0(TRANS32_DEP_1) | instskip(NEXT) | instid1(VALU_DEP_1)
	v_fma_f32 v156, -v152, v155, 1.0
	v_fmac_f32_e32 v155, v156, v155
	s_delay_alu instid0(VALU_DEP_1) | instskip(NEXT) | instid1(VALU_DEP_1)
	v_mul_f32_e32 v156, v157, v155
	v_fma_f32 v158, -v152, v156, v157
	s_delay_alu instid0(VALU_DEP_1) | instskip(NEXT) | instid1(VALU_DEP_1)
	v_fmac_f32_e32 v156, v158, v155
	v_fma_f32 v152, -v152, v156, v157
	s_delay_alu instid0(VALU_DEP_1) | instskip(NEXT) | instid1(VALU_DEP_1)
	v_div_fmas_f32 v152, v152, v155, v156
	v_div_fixup_f32 v152, v152, v153, 1.0
	s_delay_alu instid0(VALU_DEP_1)
	v_mul_f32_e32 v154, v154, v152
	v_xor_b32_e32 v155, 0x80000000, v152
                                        ; implicit-def: $vgpr152_vgpr153
.LBB63_104:
	s_and_not1_saveexec_b32 s1, s1
	s_cbranch_execz .LBB63_106
; %bb.105:
	v_div_scale_f32 v154, null, v152, v152, v153
	v_div_scale_f32 v157, vcc_lo, v153, v152, v153
	s_delay_alu instid0(VALU_DEP_2) | instskip(SKIP_1) | instid1(TRANS32_DEP_1)
	v_rcp_f32_e32 v155, v154
	v_nop
	v_fma_f32 v156, -v154, v155, 1.0
	s_delay_alu instid0(VALU_DEP_1) | instskip(NEXT) | instid1(VALU_DEP_1)
	v_fmac_f32_e32 v155, v156, v155
	v_mul_f32_e32 v156, v157, v155
	s_delay_alu instid0(VALU_DEP_1) | instskip(NEXT) | instid1(VALU_DEP_1)
	v_fma_f32 v158, -v154, v156, v157
	v_fmac_f32_e32 v156, v158, v155
	s_delay_alu instid0(VALU_DEP_1) | instskip(NEXT) | instid1(VALU_DEP_1)
	v_fma_f32 v154, -v154, v156, v157
	v_div_fmas_f32 v154, v154, v155, v156
	s_delay_alu instid0(VALU_DEP_1) | instskip(NEXT) | instid1(VALU_DEP_1)
	v_div_fixup_f32 v155, v154, v152, v153
	v_fmac_f32_e32 v152, v153, v155
	s_delay_alu instid0(VALU_DEP_1) | instskip(NEXT) | instid1(VALU_DEP_1)
	v_div_scale_f32 v153, null, v152, v152, 1.0
	v_rcp_f32_e32 v154, v153
	v_nop
	s_delay_alu instid0(TRANS32_DEP_1) | instskip(NEXT) | instid1(VALU_DEP_1)
	v_fma_f32 v156, -v153, v154, 1.0
	v_fmac_f32_e32 v154, v156, v154
	v_div_scale_f32 v156, vcc_lo, 1.0, v152, 1.0
	s_delay_alu instid0(VALU_DEP_1) | instskip(NEXT) | instid1(VALU_DEP_1)
	v_mul_f32_e32 v157, v156, v154
	v_fma_f32 v158, -v153, v157, v156
	s_delay_alu instid0(VALU_DEP_1) | instskip(NEXT) | instid1(VALU_DEP_1)
	v_fmac_f32_e32 v157, v158, v154
	v_fma_f32 v153, -v153, v157, v156
	s_delay_alu instid0(VALU_DEP_1) | instskip(NEXT) | instid1(VALU_DEP_1)
	v_div_fmas_f32 v153, v153, v154, v157
	v_div_fixup_f32 v154, v153, v152, 1.0
	s_delay_alu instid0(VALU_DEP_1)
	v_mul_f32_e64 v155, v155, -v154
.LBB63_106:
	s_or_b32 exec_lo, exec_lo, s1
	ds_store_b64 v195, v[154:155]
.LBB63_107:
	s_or_b32 exec_lo, exec_lo, s2
	s_wait_dscnt 0x0
	s_barrier_signal -1
	s_barrier_wait -1
	ds_load_b64 v[152:153], v195
	s_mov_b32 s1, exec_lo
	v_cmpx_lt_u32_e32 11, v194
	s_cbranch_execz .LBB63_109
; %bb.108:
	ds_load_2addr_b64 v[158:161], v196 offset0:12 offset1:13
	s_wait_dscnt 0x1
	v_pk_mul_f32 v[156:157], v[152:153], v[34:35] op_sel:[1,1] op_sel_hi:[0,1]
	s_delay_alu instid0(VALU_DEP_1) | instskip(SKIP_1) | instid1(VALU_DEP_1)
	v_pk_fma_f32 v[154:155], v[152:153], v[34:35], v[156:157] op_sel_hi:[1,0,1] neg_lo:[0,0,1] neg_hi:[0,0,1]
	v_pk_fma_f32 v[156:157], v[152:153], v[34:35], v[156:157] op_sel_hi:[1,0,1]
	v_dual_mov_b32 v34, v154 :: v_dual_mov_b32 v35, v157
	s_wait_dscnt 0x0
	s_delay_alu instid0(VALU_DEP_2) | instskip(NEXT) | instid1(VALU_DEP_1)
	v_pk_mul_f32 v[162:163], v[158:159], v[156:157] op_sel:[0,1]
	v_pk_fma_f32 v[164:165], v[158:159], v[154:155], v[162:163] op_sel:[0,0,1] op_sel_hi:[1,1,0] neg_lo:[0,0,1] neg_hi:[0,0,1]
	v_pk_fma_f32 v[158:159], v[158:159], v[154:155], v[162:163] op_sel:[0,0,1] op_sel_hi:[1,0,0]
	s_delay_alu instid0(VALU_DEP_1) | instskip(SKIP_1) | instid1(VALU_DEP_1)
	v_mov_b32_e32 v165, v159
	v_pk_mul_f32 v[158:159], v[160:161], v[156:157] op_sel:[0,1]
	v_pk_fma_f32 v[162:163], v[160:161], v[154:155], v[158:159] op_sel:[0,0,1] op_sel_hi:[1,1,0] neg_lo:[0,0,1] neg_hi:[0,0,1]
	v_pk_fma_f32 v[158:159], v[160:161], v[154:155], v[158:159] op_sel:[0,0,1] op_sel_hi:[1,0,0]
	s_delay_alu instid0(VALU_DEP_1)
	v_mov_b32_e32 v163, v159
	ds_load_2addr_b64 v[158:161], v196 offset0:14 offset1:15
	v_pk_add_f32 v[64:65], v[64:65], v[164:165] neg_lo:[0,1] neg_hi:[0,1]
	v_pk_add_f32 v[60:61], v[60:61], v[162:163] neg_lo:[0,1] neg_hi:[0,1]
	s_wait_dscnt 0x0
	v_pk_mul_f32 v[162:163], v[158:159], v[156:157] op_sel:[0,1]
	s_delay_alu instid0(VALU_DEP_1) | instskip(SKIP_2) | instid1(VALU_DEP_2)
	v_pk_fma_f32 v[164:165], v[158:159], v[154:155], v[162:163] op_sel:[0,0,1] op_sel_hi:[1,1,0] neg_lo:[0,0,1] neg_hi:[0,0,1]
	v_pk_fma_f32 v[158:159], v[158:159], v[154:155], v[162:163] op_sel:[0,0,1] op_sel_hi:[1,0,0]
	v_dual_mul_f32 v162, v161, v157 :: v_dual_mov_b32 v158, v161
	v_dual_mov_b32 v165, v159 :: v_dual_mov_b32 v159, v160
	s_delay_alu instid0(VALU_DEP_2) | instskip(SKIP_1) | instid1(VALU_DEP_3)
	v_pk_fma_f32 v[162:163], v[160:161], v[34:35], v[162:163] op_sel_hi:[1,1,0] neg_lo:[0,0,1] neg_hi:[0,0,1]
	v_mul_f32_e32 v160, v161, v154
	v_pk_add_f32 v[62:63], v[62:63], v[164:165] neg_lo:[0,1] neg_hi:[0,1]
	s_delay_alu instid0(VALU_DEP_2) | instskip(NEXT) | instid1(VALU_DEP_1)
	v_pk_fma_f32 v[158:159], v[158:159], v[34:35], v[160:161] op_sel_hi:[1,1,0]
	v_mov_b32_e32 v163, v159
	ds_load_2addr_b64 v[158:161], v196 offset0:16 offset1:17
	v_pk_add_f32 v[58:59], v[58:59], v[162:163] neg_lo:[0,1] neg_hi:[0,1]
	s_wait_dscnt 0x0
	v_pk_mul_f32 v[162:163], v[158:159], v[156:157] op_sel:[0,1]
	s_delay_alu instid0(VALU_DEP_1) | instskip(SKIP_1) | instid1(VALU_DEP_1)
	v_pk_fma_f32 v[164:165], v[158:159], v[154:155], v[162:163] op_sel:[0,0,1] op_sel_hi:[1,1,0] neg_lo:[0,0,1] neg_hi:[0,0,1]
	v_pk_fma_f32 v[158:159], v[158:159], v[154:155], v[162:163] op_sel:[0,0,1] op_sel_hi:[1,0,0]
	v_mov_b32_e32 v165, v159
	v_pk_mul_f32 v[158:159], v[160:161], v[156:157] op_sel:[0,1]
	s_delay_alu instid0(VALU_DEP_1) | instskip(SKIP_1) | instid1(VALU_DEP_1)
	v_pk_fma_f32 v[162:163], v[160:161], v[154:155], v[158:159] op_sel:[0,0,1] op_sel_hi:[1,1,0] neg_lo:[0,0,1] neg_hi:[0,0,1]
	v_pk_fma_f32 v[158:159], v[160:161], v[154:155], v[158:159] op_sel:[0,0,1] op_sel_hi:[1,0,0]
	v_mov_b32_e32 v163, v159
	ds_load_2addr_b64 v[158:161], v196 offset0:18 offset1:19
	v_pk_add_f32 v[82:83], v[82:83], v[164:165] neg_lo:[0,1] neg_hi:[0,1]
	v_pk_add_f32 v[78:79], v[78:79], v[162:163] neg_lo:[0,1] neg_hi:[0,1]
	s_wait_dscnt 0x0
	v_pk_mul_f32 v[162:163], v[158:159], v[156:157] op_sel:[0,1]
	s_delay_alu instid0(VALU_DEP_1) | instskip(SKIP_1) | instid1(VALU_DEP_1)
	v_pk_fma_f32 v[164:165], v[158:159], v[154:155], v[162:163] op_sel:[0,0,1] op_sel_hi:[1,1,0] neg_lo:[0,0,1] neg_hi:[0,0,1]
	v_pk_fma_f32 v[158:159], v[158:159], v[154:155], v[162:163] op_sel:[0,0,1] op_sel_hi:[1,0,0]
	v_mov_b32_e32 v165, v159
	v_pk_mul_f32 v[158:159], v[160:161], v[156:157] op_sel:[0,1]
	s_delay_alu instid0(VALU_DEP_1) | instskip(SKIP_1) | instid1(VALU_DEP_1)
	v_pk_fma_f32 v[162:163], v[160:161], v[154:155], v[158:159] op_sel:[0,0,1] op_sel_hi:[1,1,0] neg_lo:[0,0,1] neg_hi:[0,0,1]
	v_pk_fma_f32 v[158:159], v[160:161], v[154:155], v[158:159] op_sel:[0,0,1] op_sel_hi:[1,0,0]
	v_mov_b32_e32 v163, v159
	ds_load_2addr_b64 v[158:161], v196 offset0:20 offset1:21
	v_pk_add_f32 v[80:81], v[80:81], v[164:165] neg_lo:[0,1] neg_hi:[0,1]
	v_pk_add_f32 v[76:77], v[76:77], v[162:163] neg_lo:[0,1] neg_hi:[0,1]
	s_wait_dscnt 0x0
	v_dual_mul_f32 v162, v159, v157 :: v_dual_mul_f32 v164, v159, v154
	s_delay_alu instid0(VALU_DEP_1) | instskip(NEXT) | instid1(VALU_DEP_2)
	v_pk_fma_f32 v[162:163], v[158:159], v[34:35], v[162:163] op_sel_hi:[1,1,0] neg_lo:[0,0,1] neg_hi:[0,0,1]
	v_pk_fma_f32 v[158:159], v[158:159], v[34:35], v[164:165] op_sel:[1,0,0] op_sel_hi:[0,1,0]
	s_delay_alu instid0(VALU_DEP_1) | instskip(SKIP_1) | instid1(VALU_DEP_2)
	v_mov_b32_e32 v163, v159
	v_pk_mul_f32 v[158:159], v[160:161], v[156:157] op_sel:[0,1]
	v_pk_add_f32 v[102:103], v[102:103], v[162:163] neg_lo:[0,1] neg_hi:[0,1]
	s_delay_alu instid0(VALU_DEP_2) | instskip(SKIP_1) | instid1(VALU_DEP_1)
	v_pk_fma_f32 v[162:163], v[160:161], v[154:155], v[158:159] op_sel:[0,0,1] op_sel_hi:[1,1,0] neg_lo:[0,0,1] neg_hi:[0,0,1]
	v_pk_fma_f32 v[158:159], v[160:161], v[154:155], v[158:159] op_sel:[0,0,1] op_sel_hi:[1,0,0]
	v_mov_b32_e32 v163, v159
	ds_load_2addr_b64 v[158:161], v196 offset0:22 offset1:23
	v_pk_add_f32 v[98:99], v[98:99], v[162:163] neg_lo:[0,1] neg_hi:[0,1]
	s_wait_dscnt 0x0
	v_pk_mul_f32 v[162:163], v[158:159], v[156:157] op_sel:[0,1]
	s_delay_alu instid0(VALU_DEP_1) | instskip(SKIP_1) | instid1(VALU_DEP_1)
	v_pk_fma_f32 v[164:165], v[158:159], v[154:155], v[162:163] op_sel:[0,0,1] op_sel_hi:[1,1,0] neg_lo:[0,0,1] neg_hi:[0,0,1]
	v_pk_fma_f32 v[158:159], v[158:159], v[154:155], v[162:163] op_sel:[0,0,1] op_sel_hi:[1,0,0]
	v_mov_b32_e32 v165, v159
	v_pk_mul_f32 v[158:159], v[160:161], v[156:157] op_sel:[0,1]
	s_delay_alu instid0(VALU_DEP_2) | instskip(NEXT) | instid1(VALU_DEP_2)
	v_pk_add_f32 v[100:101], v[100:101], v[164:165] neg_lo:[0,1] neg_hi:[0,1]
	v_pk_fma_f32 v[162:163], v[160:161], v[154:155], v[158:159] op_sel:[0,0,1] op_sel_hi:[1,1,0] neg_lo:[0,0,1] neg_hi:[0,0,1]
	v_pk_fma_f32 v[158:159], v[160:161], v[154:155], v[158:159] op_sel:[0,0,1] op_sel_hi:[1,0,0]
	s_delay_alu instid0(VALU_DEP_1) | instskip(SKIP_4) | instid1(VALU_DEP_1)
	v_mov_b32_e32 v163, v159
	ds_load_2addr_b64 v[158:161], v196 offset0:24 offset1:25
	v_pk_add_f32 v[96:97], v[96:97], v[162:163] neg_lo:[0,1] neg_hi:[0,1]
	s_wait_dscnt 0x0
	v_pk_mul_f32 v[162:163], v[158:159], v[156:157] op_sel:[0,1]
	v_pk_fma_f32 v[164:165], v[158:159], v[154:155], v[162:163] op_sel:[0,0,1] op_sel_hi:[1,1,0] neg_lo:[0,0,1] neg_hi:[0,0,1]
	v_pk_fma_f32 v[158:159], v[158:159], v[154:155], v[162:163] op_sel:[0,0,1] op_sel_hi:[1,0,0]
	v_dual_mul_f32 v162, v161, v157 :: v_dual_mov_b32 v158, v161
	s_delay_alu instid0(VALU_DEP_2) | instskip(NEXT) | instid1(VALU_DEP_2)
	v_dual_mov_b32 v165, v159 :: v_dual_mov_b32 v159, v160
	v_pk_fma_f32 v[162:163], v[160:161], v[34:35], v[162:163] op_sel_hi:[1,1,0] neg_lo:[0,0,1] neg_hi:[0,0,1]
	v_mul_f32_e32 v160, v161, v154
	s_delay_alu instid0(VALU_DEP_3) | instskip(NEXT) | instid1(VALU_DEP_2)
	v_pk_add_f32 v[120:121], v[120:121], v[164:165] neg_lo:[0,1] neg_hi:[0,1]
	v_pk_fma_f32 v[158:159], v[158:159], v[34:35], v[160:161] op_sel_hi:[1,1,0]
	s_delay_alu instid0(VALU_DEP_1) | instskip(SKIP_4) | instid1(VALU_DEP_1)
	v_mov_b32_e32 v163, v159
	ds_load_2addr_b64 v[158:161], v196 offset0:26 offset1:27
	v_pk_add_f32 v[116:117], v[116:117], v[162:163] neg_lo:[0,1] neg_hi:[0,1]
	s_wait_dscnt 0x0
	v_pk_mul_f32 v[162:163], v[158:159], v[156:157] op_sel:[0,1]
	v_pk_fma_f32 v[164:165], v[158:159], v[154:155], v[162:163] op_sel:[0,0,1] op_sel_hi:[1,1,0] neg_lo:[0,0,1] neg_hi:[0,0,1]
	v_pk_fma_f32 v[158:159], v[158:159], v[154:155], v[162:163] op_sel:[0,0,1] op_sel_hi:[1,0,0]
	s_delay_alu instid0(VALU_DEP_1) | instskip(SKIP_1) | instid1(VALU_DEP_1)
	v_mov_b32_e32 v165, v159
	v_pk_mul_f32 v[158:159], v[160:161], v[156:157] op_sel:[0,1]
	v_pk_fma_f32 v[162:163], v[160:161], v[154:155], v[158:159] op_sel:[0,0,1] op_sel_hi:[1,1,0] neg_lo:[0,0,1] neg_hi:[0,0,1]
	v_pk_fma_f32 v[158:159], v[160:161], v[154:155], v[158:159] op_sel:[0,0,1] op_sel_hi:[1,0,0]
	s_delay_alu instid0(VALU_DEP_1)
	v_mov_b32_e32 v163, v159
	ds_load_2addr_b64 v[158:161], v196 offset0:28 offset1:29
	v_pk_add_f32 v[118:119], v[118:119], v[164:165] neg_lo:[0,1] neg_hi:[0,1]
	v_pk_add_f32 v[114:115], v[114:115], v[162:163] neg_lo:[0,1] neg_hi:[0,1]
	s_wait_dscnt 0x0
	v_pk_mul_f32 v[162:163], v[158:159], v[156:157] op_sel:[0,1]
	s_delay_alu instid0(VALU_DEP_1) | instskip(SKIP_1) | instid1(VALU_DEP_1)
	v_pk_fma_f32 v[164:165], v[158:159], v[154:155], v[162:163] op_sel:[0,0,1] op_sel_hi:[1,1,0] neg_lo:[0,0,1] neg_hi:[0,0,1]
	v_pk_fma_f32 v[158:159], v[158:159], v[154:155], v[162:163] op_sel:[0,0,1] op_sel_hi:[1,0,0]
	v_mov_b32_e32 v165, v159
	v_pk_mul_f32 v[158:159], v[160:161], v[156:157] op_sel:[0,1]
	s_delay_alu instid0(VALU_DEP_1) | instskip(SKIP_1) | instid1(VALU_DEP_1)
	v_pk_fma_f32 v[162:163], v[160:161], v[154:155], v[158:159] op_sel:[0,0,1] op_sel_hi:[1,1,0] neg_lo:[0,0,1] neg_hi:[0,0,1]
	v_pk_fma_f32 v[158:159], v[160:161], v[154:155], v[158:159] op_sel:[0,0,1] op_sel_hi:[1,0,0]
	v_mov_b32_e32 v163, v159
	ds_load_2addr_b64 v[158:161], v196 offset0:30 offset1:31
	v_pk_add_f32 v[126:127], v[126:127], v[164:165] neg_lo:[0,1] neg_hi:[0,1]
	v_pk_add_f32 v[124:125], v[124:125], v[162:163] neg_lo:[0,1] neg_hi:[0,1]
	s_wait_dscnt 0x0
	v_dual_mul_f32 v162, v159, v157 :: v_dual_mul_f32 v164, v159, v154
	v_pk_mul_f32 v[156:157], v[160:161], v[156:157] op_sel:[0,1]
	s_delay_alu instid0(VALU_DEP_2) | instskip(NEXT) | instid1(VALU_DEP_3)
	v_pk_fma_f32 v[162:163], v[158:159], v[34:35], v[162:163] op_sel_hi:[1,1,0] neg_lo:[0,0,1] neg_hi:[0,0,1]
	v_pk_fma_f32 v[158:159], v[158:159], v[34:35], v[164:165] op_sel:[1,0,0] op_sel_hi:[0,1,0]
	s_delay_alu instid0(VALU_DEP_1) | instskip(NEXT) | instid1(VALU_DEP_4)
	v_mov_b32_e32 v163, v159
	v_pk_fma_f32 v[158:159], v[160:161], v[154:155], v[156:157] op_sel:[0,0,1] op_sel_hi:[1,1,0] neg_lo:[0,0,1] neg_hi:[0,0,1]
	v_pk_fma_f32 v[154:155], v[160:161], v[154:155], v[156:157] op_sel:[0,0,1] op_sel_hi:[1,0,0]
	s_delay_alu instid0(VALU_DEP_1) | instskip(NEXT) | instid1(VALU_DEP_4)
	v_mov_b32_e32 v159, v155
	v_pk_add_f32 v[122:123], v[122:123], v[162:163] neg_lo:[0,1] neg_hi:[0,1]
	s_delay_alu instid0(VALU_DEP_2)
	v_pk_add_f32 v[128:129], v[128:129], v[158:159] neg_lo:[0,1] neg_hi:[0,1]
.LBB63_109:
	s_or_b32 exec_lo, exec_lo, s1
	s_delay_alu instid0(SALU_CYCLE_1)
	s_mov_b32 s2, exec_lo
	s_wait_dscnt 0x0
	s_barrier_signal -1
	s_barrier_wait -1
	v_cmpx_eq_u32_e32 12, v194
	s_cbranch_execz .LBB63_116
; %bb.110:
	ds_store_b64 v195, v[64:65]
	ds_store_2addr_b64 v196, v[60:61], v[62:63] offset0:13 offset1:14
	ds_store_2addr_b64 v196, v[58:59], v[82:83] offset0:15 offset1:16
	;; [unrolled: 1-line block ×9, first 2 shown]
	ds_store_b64 v196, v[128:129] offset:248
	ds_load_b64 v[154:155], v195
	s_wait_dscnt 0x0
	v_cmp_neq_f32_e32 vcc_lo, 0, v154
	v_cmp_neq_f32_e64 s1, 0, v155
	s_or_b32 s1, vcc_lo, s1
	s_delay_alu instid0(SALU_CYCLE_1)
	s_and_b32 exec_lo, exec_lo, s1
	s_cbranch_execz .LBB63_116
; %bb.111:
	v_cmp_ngt_f32_e64 s1, |v154|, |v155|
                                        ; implicit-def: $vgpr156_vgpr157
	s_and_saveexec_b32 s4, s1
	s_delay_alu instid0(SALU_CYCLE_1)
	s_xor_b32 s1, exec_lo, s4
	s_cbranch_execz .LBB63_113
; %bb.112:
	v_div_scale_f32 v156, null, v155, v155, v154
	v_div_scale_f32 v159, vcc_lo, v154, v155, v154
	s_delay_alu instid0(VALU_DEP_2) | instskip(SKIP_1) | instid1(TRANS32_DEP_1)
	v_rcp_f32_e32 v157, v156
	v_nop
	v_fma_f32 v158, -v156, v157, 1.0
	s_delay_alu instid0(VALU_DEP_1) | instskip(NEXT) | instid1(VALU_DEP_1)
	v_fmac_f32_e32 v157, v158, v157
	v_mul_f32_e32 v158, v159, v157
	s_delay_alu instid0(VALU_DEP_1) | instskip(NEXT) | instid1(VALU_DEP_1)
	v_fma_f32 v160, -v156, v158, v159
	v_fmac_f32_e32 v158, v160, v157
	s_delay_alu instid0(VALU_DEP_1) | instskip(NEXT) | instid1(VALU_DEP_1)
	v_fma_f32 v156, -v156, v158, v159
	v_div_fmas_f32 v156, v156, v157, v158
	s_delay_alu instid0(VALU_DEP_1) | instskip(NEXT) | instid1(VALU_DEP_1)
	v_div_fixup_f32 v156, v156, v155, v154
	v_fmac_f32_e32 v155, v154, v156
	s_delay_alu instid0(VALU_DEP_1) | instskip(SKIP_1) | instid1(VALU_DEP_2)
	v_div_scale_f32 v154, null, v155, v155, 1.0
	v_div_scale_f32 v159, vcc_lo, 1.0, v155, 1.0
	v_rcp_f32_e32 v157, v154
	v_nop
	s_delay_alu instid0(TRANS32_DEP_1) | instskip(NEXT) | instid1(VALU_DEP_1)
	v_fma_f32 v158, -v154, v157, 1.0
	v_fmac_f32_e32 v157, v158, v157
	s_delay_alu instid0(VALU_DEP_1) | instskip(NEXT) | instid1(VALU_DEP_1)
	v_mul_f32_e32 v158, v159, v157
	v_fma_f32 v160, -v154, v158, v159
	s_delay_alu instid0(VALU_DEP_1) | instskip(NEXT) | instid1(VALU_DEP_1)
	v_fmac_f32_e32 v158, v160, v157
	v_fma_f32 v154, -v154, v158, v159
	s_delay_alu instid0(VALU_DEP_1) | instskip(NEXT) | instid1(VALU_DEP_1)
	v_div_fmas_f32 v154, v154, v157, v158
	v_div_fixup_f32 v154, v154, v155, 1.0
	s_delay_alu instid0(VALU_DEP_1)
	v_mul_f32_e32 v156, v156, v154
	v_xor_b32_e32 v157, 0x80000000, v154
                                        ; implicit-def: $vgpr154_vgpr155
.LBB63_113:
	s_and_not1_saveexec_b32 s1, s1
	s_cbranch_execz .LBB63_115
; %bb.114:
	v_div_scale_f32 v156, null, v154, v154, v155
	v_div_scale_f32 v159, vcc_lo, v155, v154, v155
	s_delay_alu instid0(VALU_DEP_2) | instskip(SKIP_1) | instid1(TRANS32_DEP_1)
	v_rcp_f32_e32 v157, v156
	v_nop
	v_fma_f32 v158, -v156, v157, 1.0
	s_delay_alu instid0(VALU_DEP_1) | instskip(NEXT) | instid1(VALU_DEP_1)
	v_fmac_f32_e32 v157, v158, v157
	v_mul_f32_e32 v158, v159, v157
	s_delay_alu instid0(VALU_DEP_1) | instskip(NEXT) | instid1(VALU_DEP_1)
	v_fma_f32 v160, -v156, v158, v159
	v_fmac_f32_e32 v158, v160, v157
	s_delay_alu instid0(VALU_DEP_1) | instskip(NEXT) | instid1(VALU_DEP_1)
	v_fma_f32 v156, -v156, v158, v159
	v_div_fmas_f32 v156, v156, v157, v158
	s_delay_alu instid0(VALU_DEP_1) | instskip(NEXT) | instid1(VALU_DEP_1)
	v_div_fixup_f32 v157, v156, v154, v155
	v_fmac_f32_e32 v154, v155, v157
	s_delay_alu instid0(VALU_DEP_1) | instskip(NEXT) | instid1(VALU_DEP_1)
	v_div_scale_f32 v155, null, v154, v154, 1.0
	v_rcp_f32_e32 v156, v155
	v_nop
	s_delay_alu instid0(TRANS32_DEP_1) | instskip(NEXT) | instid1(VALU_DEP_1)
	v_fma_f32 v158, -v155, v156, 1.0
	v_fmac_f32_e32 v156, v158, v156
	v_div_scale_f32 v158, vcc_lo, 1.0, v154, 1.0
	s_delay_alu instid0(VALU_DEP_1) | instskip(NEXT) | instid1(VALU_DEP_1)
	v_mul_f32_e32 v159, v158, v156
	v_fma_f32 v160, -v155, v159, v158
	s_delay_alu instid0(VALU_DEP_1) | instskip(NEXT) | instid1(VALU_DEP_1)
	v_fmac_f32_e32 v159, v160, v156
	v_fma_f32 v155, -v155, v159, v158
	s_delay_alu instid0(VALU_DEP_1) | instskip(NEXT) | instid1(VALU_DEP_1)
	v_div_fmas_f32 v155, v155, v156, v159
	v_div_fixup_f32 v156, v155, v154, 1.0
	s_delay_alu instid0(VALU_DEP_1)
	v_mul_f32_e64 v157, v157, -v156
.LBB63_115:
	s_or_b32 exec_lo, exec_lo, s1
	ds_store_b64 v195, v[156:157]
.LBB63_116:
	s_or_b32 exec_lo, exec_lo, s2
	s_wait_dscnt 0x0
	s_barrier_signal -1
	s_barrier_wait -1
	ds_load_b64 v[154:155], v195
	s_mov_b32 s1, exec_lo
	v_cmpx_lt_u32_e32 12, v194
	s_cbranch_execz .LBB63_118
; %bb.117:
	ds_load_2addr_b64 v[160:163], v196 offset0:13 offset1:14
	s_wait_dscnt 0x1
	v_pk_mul_f32 v[158:159], v[154:155], v[64:65] op_sel:[1,1] op_sel_hi:[0,1]
	s_delay_alu instid0(VALU_DEP_1) | instskip(SKIP_1) | instid1(VALU_DEP_1)
	v_pk_fma_f32 v[156:157], v[154:155], v[64:65], v[158:159] op_sel_hi:[1,0,1] neg_lo:[0,0,1] neg_hi:[0,0,1]
	v_pk_fma_f32 v[158:159], v[154:155], v[64:65], v[158:159] op_sel_hi:[1,0,1]
	v_dual_mov_b32 v64, v156 :: v_dual_mov_b32 v65, v159
	s_wait_dscnt 0x0
	s_delay_alu instid0(VALU_DEP_2) | instskip(NEXT) | instid1(VALU_DEP_1)
	v_pk_mul_f32 v[164:165], v[160:161], v[158:159] op_sel:[0,1]
	v_pk_fma_f32 v[166:167], v[160:161], v[156:157], v[164:165] op_sel:[0,0,1] op_sel_hi:[1,1,0] neg_lo:[0,0,1] neg_hi:[0,0,1]
	v_pk_fma_f32 v[160:161], v[160:161], v[156:157], v[164:165] op_sel:[0,0,1] op_sel_hi:[1,0,0]
	s_delay_alu instid0(VALU_DEP_1) | instskip(SKIP_1) | instid1(VALU_DEP_1)
	v_mov_b32_e32 v167, v161
	v_pk_mul_f32 v[160:161], v[162:163], v[158:159] op_sel:[0,1]
	v_pk_fma_f32 v[164:165], v[162:163], v[156:157], v[160:161] op_sel:[0,0,1] op_sel_hi:[1,1,0] neg_lo:[0,0,1] neg_hi:[0,0,1]
	v_pk_fma_f32 v[160:161], v[162:163], v[156:157], v[160:161] op_sel:[0,0,1] op_sel_hi:[1,0,0]
	s_delay_alu instid0(VALU_DEP_1)
	v_mov_b32_e32 v165, v161
	ds_load_2addr_b64 v[160:163], v196 offset0:15 offset1:16
	v_pk_add_f32 v[60:61], v[60:61], v[166:167] neg_lo:[0,1] neg_hi:[0,1]
	v_pk_add_f32 v[62:63], v[62:63], v[164:165] neg_lo:[0,1] neg_hi:[0,1]
	s_wait_dscnt 0x0
	v_pk_mul_f32 v[164:165], v[160:161], v[158:159] op_sel:[0,1]
	s_delay_alu instid0(VALU_DEP_1) | instskip(SKIP_2) | instid1(VALU_DEP_2)
	v_pk_fma_f32 v[166:167], v[160:161], v[156:157], v[164:165] op_sel:[0,0,1] op_sel_hi:[1,1,0] neg_lo:[0,0,1] neg_hi:[0,0,1]
	v_pk_fma_f32 v[160:161], v[160:161], v[156:157], v[164:165] op_sel:[0,0,1] op_sel_hi:[1,0,0]
	v_dual_mul_f32 v164, v163, v159 :: v_dual_mov_b32 v160, v163
	v_dual_mov_b32 v167, v161 :: v_dual_mov_b32 v161, v162
	s_delay_alu instid0(VALU_DEP_2) | instskip(SKIP_1) | instid1(VALU_DEP_3)
	v_pk_fma_f32 v[164:165], v[162:163], v[64:65], v[164:165] op_sel_hi:[1,1,0] neg_lo:[0,0,1] neg_hi:[0,0,1]
	v_mul_f32_e32 v162, v163, v156
	v_pk_add_f32 v[58:59], v[58:59], v[166:167] neg_lo:[0,1] neg_hi:[0,1]
	s_delay_alu instid0(VALU_DEP_2) | instskip(NEXT) | instid1(VALU_DEP_1)
	v_pk_fma_f32 v[160:161], v[160:161], v[64:65], v[162:163] op_sel_hi:[1,1,0]
	v_mov_b32_e32 v165, v161
	ds_load_2addr_b64 v[160:163], v196 offset0:17 offset1:18
	v_pk_add_f32 v[82:83], v[82:83], v[164:165] neg_lo:[0,1] neg_hi:[0,1]
	s_wait_dscnt 0x0
	v_pk_mul_f32 v[164:165], v[160:161], v[158:159] op_sel:[0,1]
	s_delay_alu instid0(VALU_DEP_1) | instskip(SKIP_1) | instid1(VALU_DEP_1)
	v_pk_fma_f32 v[166:167], v[160:161], v[156:157], v[164:165] op_sel:[0,0,1] op_sel_hi:[1,1,0] neg_lo:[0,0,1] neg_hi:[0,0,1]
	v_pk_fma_f32 v[160:161], v[160:161], v[156:157], v[164:165] op_sel:[0,0,1] op_sel_hi:[1,0,0]
	v_mov_b32_e32 v167, v161
	v_pk_mul_f32 v[160:161], v[162:163], v[158:159] op_sel:[0,1]
	s_delay_alu instid0(VALU_DEP_1) | instskip(SKIP_1) | instid1(VALU_DEP_1)
	v_pk_fma_f32 v[164:165], v[162:163], v[156:157], v[160:161] op_sel:[0,0,1] op_sel_hi:[1,1,0] neg_lo:[0,0,1] neg_hi:[0,0,1]
	v_pk_fma_f32 v[160:161], v[162:163], v[156:157], v[160:161] op_sel:[0,0,1] op_sel_hi:[1,0,0]
	v_mov_b32_e32 v165, v161
	ds_load_2addr_b64 v[160:163], v196 offset0:19 offset1:20
	v_pk_add_f32 v[78:79], v[78:79], v[166:167] neg_lo:[0,1] neg_hi:[0,1]
	v_pk_add_f32 v[80:81], v[80:81], v[164:165] neg_lo:[0,1] neg_hi:[0,1]
	s_wait_dscnt 0x0
	v_pk_mul_f32 v[164:165], v[160:161], v[158:159] op_sel:[0,1]
	s_delay_alu instid0(VALU_DEP_1) | instskip(SKIP_1) | instid1(VALU_DEP_1)
	v_pk_fma_f32 v[166:167], v[160:161], v[156:157], v[164:165] op_sel:[0,0,1] op_sel_hi:[1,1,0] neg_lo:[0,0,1] neg_hi:[0,0,1]
	v_pk_fma_f32 v[160:161], v[160:161], v[156:157], v[164:165] op_sel:[0,0,1] op_sel_hi:[1,0,0]
	v_mov_b32_e32 v167, v161
	v_pk_mul_f32 v[160:161], v[162:163], v[158:159] op_sel:[0,1]
	s_delay_alu instid0(VALU_DEP_1) | instskip(SKIP_1) | instid1(VALU_DEP_1)
	v_pk_fma_f32 v[164:165], v[162:163], v[156:157], v[160:161] op_sel:[0,0,1] op_sel_hi:[1,1,0] neg_lo:[0,0,1] neg_hi:[0,0,1]
	v_pk_fma_f32 v[160:161], v[162:163], v[156:157], v[160:161] op_sel:[0,0,1] op_sel_hi:[1,0,0]
	v_mov_b32_e32 v165, v161
	ds_load_2addr_b64 v[160:163], v196 offset0:21 offset1:22
	v_pk_add_f32 v[76:77], v[76:77], v[166:167] neg_lo:[0,1] neg_hi:[0,1]
	v_pk_add_f32 v[102:103], v[102:103], v[164:165] neg_lo:[0,1] neg_hi:[0,1]
	s_wait_dscnt 0x0
	v_dual_mul_f32 v164, v161, v159 :: v_dual_mul_f32 v166, v161, v156
	s_delay_alu instid0(VALU_DEP_1) | instskip(NEXT) | instid1(VALU_DEP_2)
	v_pk_fma_f32 v[164:165], v[160:161], v[64:65], v[164:165] op_sel_hi:[1,1,0] neg_lo:[0,0,1] neg_hi:[0,0,1]
	v_pk_fma_f32 v[160:161], v[160:161], v[64:65], v[166:167] op_sel:[1,0,0] op_sel_hi:[0,1,0]
	s_delay_alu instid0(VALU_DEP_1) | instskip(SKIP_1) | instid1(VALU_DEP_2)
	v_mov_b32_e32 v165, v161
	v_pk_mul_f32 v[160:161], v[162:163], v[158:159] op_sel:[0,1]
	v_pk_add_f32 v[98:99], v[98:99], v[164:165] neg_lo:[0,1] neg_hi:[0,1]
	s_delay_alu instid0(VALU_DEP_2) | instskip(SKIP_1) | instid1(VALU_DEP_1)
	v_pk_fma_f32 v[164:165], v[162:163], v[156:157], v[160:161] op_sel:[0,0,1] op_sel_hi:[1,1,0] neg_lo:[0,0,1] neg_hi:[0,0,1]
	v_pk_fma_f32 v[160:161], v[162:163], v[156:157], v[160:161] op_sel:[0,0,1] op_sel_hi:[1,0,0]
	v_mov_b32_e32 v165, v161
	ds_load_2addr_b64 v[160:163], v196 offset0:23 offset1:24
	v_pk_add_f32 v[100:101], v[100:101], v[164:165] neg_lo:[0,1] neg_hi:[0,1]
	s_wait_dscnt 0x0
	v_pk_mul_f32 v[164:165], v[160:161], v[158:159] op_sel:[0,1]
	s_delay_alu instid0(VALU_DEP_1) | instskip(SKIP_1) | instid1(VALU_DEP_1)
	v_pk_fma_f32 v[166:167], v[160:161], v[156:157], v[164:165] op_sel:[0,0,1] op_sel_hi:[1,1,0] neg_lo:[0,0,1] neg_hi:[0,0,1]
	v_pk_fma_f32 v[160:161], v[160:161], v[156:157], v[164:165] op_sel:[0,0,1] op_sel_hi:[1,0,0]
	v_mov_b32_e32 v167, v161
	v_pk_mul_f32 v[160:161], v[162:163], v[158:159] op_sel:[0,1]
	s_delay_alu instid0(VALU_DEP_2) | instskip(NEXT) | instid1(VALU_DEP_2)
	v_pk_add_f32 v[96:97], v[96:97], v[166:167] neg_lo:[0,1] neg_hi:[0,1]
	v_pk_fma_f32 v[164:165], v[162:163], v[156:157], v[160:161] op_sel:[0,0,1] op_sel_hi:[1,1,0] neg_lo:[0,0,1] neg_hi:[0,0,1]
	v_pk_fma_f32 v[160:161], v[162:163], v[156:157], v[160:161] op_sel:[0,0,1] op_sel_hi:[1,0,0]
	s_delay_alu instid0(VALU_DEP_1) | instskip(SKIP_4) | instid1(VALU_DEP_1)
	v_mov_b32_e32 v165, v161
	ds_load_2addr_b64 v[160:163], v196 offset0:25 offset1:26
	v_pk_add_f32 v[120:121], v[120:121], v[164:165] neg_lo:[0,1] neg_hi:[0,1]
	s_wait_dscnt 0x0
	v_pk_mul_f32 v[164:165], v[160:161], v[158:159] op_sel:[0,1]
	v_pk_fma_f32 v[166:167], v[160:161], v[156:157], v[164:165] op_sel:[0,0,1] op_sel_hi:[1,1,0] neg_lo:[0,0,1] neg_hi:[0,0,1]
	v_pk_fma_f32 v[160:161], v[160:161], v[156:157], v[164:165] op_sel:[0,0,1] op_sel_hi:[1,0,0]
	v_dual_mul_f32 v164, v163, v159 :: v_dual_mov_b32 v160, v163
	s_delay_alu instid0(VALU_DEP_2) | instskip(NEXT) | instid1(VALU_DEP_2)
	v_dual_mov_b32 v167, v161 :: v_dual_mov_b32 v161, v162
	v_pk_fma_f32 v[164:165], v[162:163], v[64:65], v[164:165] op_sel_hi:[1,1,0] neg_lo:[0,0,1] neg_hi:[0,0,1]
	v_mul_f32_e32 v162, v163, v156
	s_delay_alu instid0(VALU_DEP_3) | instskip(NEXT) | instid1(VALU_DEP_2)
	v_pk_add_f32 v[116:117], v[116:117], v[166:167] neg_lo:[0,1] neg_hi:[0,1]
	v_pk_fma_f32 v[160:161], v[160:161], v[64:65], v[162:163] op_sel_hi:[1,1,0]
	s_delay_alu instid0(VALU_DEP_1) | instskip(SKIP_4) | instid1(VALU_DEP_1)
	v_mov_b32_e32 v165, v161
	ds_load_2addr_b64 v[160:163], v196 offset0:27 offset1:28
	v_pk_add_f32 v[118:119], v[118:119], v[164:165] neg_lo:[0,1] neg_hi:[0,1]
	s_wait_dscnt 0x0
	v_pk_mul_f32 v[164:165], v[160:161], v[158:159] op_sel:[0,1]
	v_pk_fma_f32 v[166:167], v[160:161], v[156:157], v[164:165] op_sel:[0,0,1] op_sel_hi:[1,1,0] neg_lo:[0,0,1] neg_hi:[0,0,1]
	v_pk_fma_f32 v[160:161], v[160:161], v[156:157], v[164:165] op_sel:[0,0,1] op_sel_hi:[1,0,0]
	s_delay_alu instid0(VALU_DEP_1) | instskip(SKIP_1) | instid1(VALU_DEP_1)
	v_mov_b32_e32 v167, v161
	v_pk_mul_f32 v[160:161], v[162:163], v[158:159] op_sel:[0,1]
	v_pk_fma_f32 v[164:165], v[162:163], v[156:157], v[160:161] op_sel:[0,0,1] op_sel_hi:[1,1,0] neg_lo:[0,0,1] neg_hi:[0,0,1]
	v_pk_fma_f32 v[160:161], v[162:163], v[156:157], v[160:161] op_sel:[0,0,1] op_sel_hi:[1,0,0]
	s_delay_alu instid0(VALU_DEP_1)
	v_mov_b32_e32 v165, v161
	ds_load_2addr_b64 v[160:163], v196 offset0:29 offset1:30
	v_pk_add_f32 v[114:115], v[114:115], v[166:167] neg_lo:[0,1] neg_hi:[0,1]
	v_pk_add_f32 v[126:127], v[126:127], v[164:165] neg_lo:[0,1] neg_hi:[0,1]
	s_wait_dscnt 0x0
	v_pk_mul_f32 v[164:165], v[160:161], v[158:159] op_sel:[0,1]
	s_delay_alu instid0(VALU_DEP_1) | instskip(SKIP_1) | instid1(VALU_DEP_1)
	v_pk_fma_f32 v[166:167], v[160:161], v[156:157], v[164:165] op_sel:[0,0,1] op_sel_hi:[1,1,0] neg_lo:[0,0,1] neg_hi:[0,0,1]
	v_pk_fma_f32 v[160:161], v[160:161], v[156:157], v[164:165] op_sel:[0,0,1] op_sel_hi:[1,0,0]
	v_mov_b32_e32 v167, v161
	v_pk_mul_f32 v[160:161], v[162:163], v[158:159] op_sel:[0,1]
	s_delay_alu instid0(VALU_DEP_1) | instskip(SKIP_1) | instid1(VALU_DEP_1)
	v_pk_fma_f32 v[164:165], v[162:163], v[156:157], v[160:161] op_sel:[0,0,1] op_sel_hi:[1,1,0] neg_lo:[0,0,1] neg_hi:[0,0,1]
	v_pk_fma_f32 v[160:161], v[162:163], v[156:157], v[160:161] op_sel:[0,0,1] op_sel_hi:[1,0,0]
	v_mov_b32_e32 v165, v161
	ds_load_b64 v[160:161], v196 offset:248
	v_pk_add_f32 v[124:125], v[124:125], v[166:167] neg_lo:[0,1] neg_hi:[0,1]
	v_pk_add_f32 v[122:123], v[122:123], v[164:165] neg_lo:[0,1] neg_hi:[0,1]
	s_wait_dscnt 0x0
	v_pk_mul_f32 v[158:159], v[160:161], v[158:159] op_sel:[0,1]
	s_delay_alu instid0(VALU_DEP_1) | instskip(SKIP_1) | instid1(VALU_DEP_1)
	v_pk_fma_f32 v[162:163], v[160:161], v[156:157], v[158:159] op_sel:[0,0,1] op_sel_hi:[1,1,0] neg_lo:[0,0,1] neg_hi:[0,0,1]
	v_pk_fma_f32 v[156:157], v[160:161], v[156:157], v[158:159] op_sel:[0,0,1] op_sel_hi:[1,0,0]
	v_mov_b32_e32 v163, v157
	s_delay_alu instid0(VALU_DEP_1)
	v_pk_add_f32 v[128:129], v[128:129], v[162:163] neg_lo:[0,1] neg_hi:[0,1]
.LBB63_118:
	s_or_b32 exec_lo, exec_lo, s1
	s_delay_alu instid0(SALU_CYCLE_1)
	s_mov_b32 s2, exec_lo
	s_wait_dscnt 0x0
	s_barrier_signal -1
	s_barrier_wait -1
	v_cmpx_eq_u32_e32 13, v194
	s_cbranch_execz .LBB63_125
; %bb.119:
	v_dual_mov_b32 v156, v62 :: v_dual_mov_b32 v157, v63
	v_dual_mov_b32 v158, v58 :: v_dual_mov_b32 v159, v59
	;; [unrolled: 1-line block ×8, first 2 shown]
	ds_store_b64 v195, v[60:61]
	ds_store_2addr_b64 v196, v[156:157], v[158:159] offset0:14 offset1:15
	ds_store_2addr_b64 v196, v[160:161], v[162:163] offset0:16 offset1:17
	;; [unrolled: 1-line block ×4, first 2 shown]
	v_dual_mov_b32 v156, v100 :: v_dual_mov_b32 v157, v101
	v_dual_mov_b32 v158, v96 :: v_dual_mov_b32 v159, v97
	;; [unrolled: 1-line block ×9, first 2 shown]
	ds_store_2addr_b64 v196, v[156:157], v[158:159] offset0:22 offset1:23
	ds_store_2addr_b64 v196, v[160:161], v[162:163] offset0:24 offset1:25
	;; [unrolled: 1-line block ×5, first 2 shown]
	ds_load_b64 v[156:157], v195
	s_wait_dscnt 0x0
	v_cmp_neq_f32_e32 vcc_lo, 0, v156
	v_cmp_neq_f32_e64 s1, 0, v157
	s_or_b32 s1, vcc_lo, s1
	s_delay_alu instid0(SALU_CYCLE_1)
	s_and_b32 exec_lo, exec_lo, s1
	s_cbranch_execz .LBB63_125
; %bb.120:
	v_cmp_ngt_f32_e64 s1, |v156|, |v157|
                                        ; implicit-def: $vgpr158_vgpr159
	s_and_saveexec_b32 s4, s1
	s_delay_alu instid0(SALU_CYCLE_1)
	s_xor_b32 s1, exec_lo, s4
	s_cbranch_execz .LBB63_122
; %bb.121:
	v_div_scale_f32 v158, null, v157, v157, v156
	v_div_scale_f32 v161, vcc_lo, v156, v157, v156
	s_delay_alu instid0(VALU_DEP_2) | instskip(SKIP_1) | instid1(TRANS32_DEP_1)
	v_rcp_f32_e32 v159, v158
	v_nop
	v_fma_f32 v160, -v158, v159, 1.0
	s_delay_alu instid0(VALU_DEP_1) | instskip(NEXT) | instid1(VALU_DEP_1)
	v_fmac_f32_e32 v159, v160, v159
	v_mul_f32_e32 v160, v161, v159
	s_delay_alu instid0(VALU_DEP_1) | instskip(NEXT) | instid1(VALU_DEP_1)
	v_fma_f32 v162, -v158, v160, v161
	v_fmac_f32_e32 v160, v162, v159
	s_delay_alu instid0(VALU_DEP_1) | instskip(NEXT) | instid1(VALU_DEP_1)
	v_fma_f32 v158, -v158, v160, v161
	v_div_fmas_f32 v158, v158, v159, v160
	s_delay_alu instid0(VALU_DEP_1) | instskip(NEXT) | instid1(VALU_DEP_1)
	v_div_fixup_f32 v158, v158, v157, v156
	v_fmac_f32_e32 v157, v156, v158
	s_delay_alu instid0(VALU_DEP_1) | instskip(SKIP_1) | instid1(VALU_DEP_2)
	v_div_scale_f32 v156, null, v157, v157, 1.0
	v_div_scale_f32 v161, vcc_lo, 1.0, v157, 1.0
	v_rcp_f32_e32 v159, v156
	v_nop
	s_delay_alu instid0(TRANS32_DEP_1) | instskip(NEXT) | instid1(VALU_DEP_1)
	v_fma_f32 v160, -v156, v159, 1.0
	v_fmac_f32_e32 v159, v160, v159
	s_delay_alu instid0(VALU_DEP_1) | instskip(NEXT) | instid1(VALU_DEP_1)
	v_mul_f32_e32 v160, v161, v159
	v_fma_f32 v162, -v156, v160, v161
	s_delay_alu instid0(VALU_DEP_1) | instskip(NEXT) | instid1(VALU_DEP_1)
	v_fmac_f32_e32 v160, v162, v159
	v_fma_f32 v156, -v156, v160, v161
	s_delay_alu instid0(VALU_DEP_1) | instskip(NEXT) | instid1(VALU_DEP_1)
	v_div_fmas_f32 v156, v156, v159, v160
	v_div_fixup_f32 v156, v156, v157, 1.0
	s_delay_alu instid0(VALU_DEP_1)
	v_mul_f32_e32 v158, v158, v156
	v_xor_b32_e32 v159, 0x80000000, v156
                                        ; implicit-def: $vgpr156_vgpr157
.LBB63_122:
	s_and_not1_saveexec_b32 s1, s1
	s_cbranch_execz .LBB63_124
; %bb.123:
	v_div_scale_f32 v158, null, v156, v156, v157
	v_div_scale_f32 v161, vcc_lo, v157, v156, v157
	s_delay_alu instid0(VALU_DEP_2) | instskip(SKIP_1) | instid1(TRANS32_DEP_1)
	v_rcp_f32_e32 v159, v158
	v_nop
	v_fma_f32 v160, -v158, v159, 1.0
	s_delay_alu instid0(VALU_DEP_1) | instskip(NEXT) | instid1(VALU_DEP_1)
	v_fmac_f32_e32 v159, v160, v159
	v_mul_f32_e32 v160, v161, v159
	s_delay_alu instid0(VALU_DEP_1) | instskip(NEXT) | instid1(VALU_DEP_1)
	v_fma_f32 v162, -v158, v160, v161
	v_fmac_f32_e32 v160, v162, v159
	s_delay_alu instid0(VALU_DEP_1) | instskip(NEXT) | instid1(VALU_DEP_1)
	v_fma_f32 v158, -v158, v160, v161
	v_div_fmas_f32 v158, v158, v159, v160
	s_delay_alu instid0(VALU_DEP_1) | instskip(NEXT) | instid1(VALU_DEP_1)
	v_div_fixup_f32 v159, v158, v156, v157
	v_fmac_f32_e32 v156, v157, v159
	s_delay_alu instid0(VALU_DEP_1) | instskip(NEXT) | instid1(VALU_DEP_1)
	v_div_scale_f32 v157, null, v156, v156, 1.0
	v_rcp_f32_e32 v158, v157
	v_nop
	s_delay_alu instid0(TRANS32_DEP_1) | instskip(NEXT) | instid1(VALU_DEP_1)
	v_fma_f32 v160, -v157, v158, 1.0
	v_fmac_f32_e32 v158, v160, v158
	v_div_scale_f32 v160, vcc_lo, 1.0, v156, 1.0
	s_delay_alu instid0(VALU_DEP_1) | instskip(NEXT) | instid1(VALU_DEP_1)
	v_mul_f32_e32 v161, v160, v158
	v_fma_f32 v162, -v157, v161, v160
	s_delay_alu instid0(VALU_DEP_1) | instskip(NEXT) | instid1(VALU_DEP_1)
	v_fmac_f32_e32 v161, v162, v158
	v_fma_f32 v157, -v157, v161, v160
	s_delay_alu instid0(VALU_DEP_1) | instskip(NEXT) | instid1(VALU_DEP_1)
	v_div_fmas_f32 v157, v157, v158, v161
	v_div_fixup_f32 v158, v157, v156, 1.0
	s_delay_alu instid0(VALU_DEP_1)
	v_mul_f32_e64 v159, v159, -v158
.LBB63_124:
	s_or_b32 exec_lo, exec_lo, s1
	ds_store_b64 v195, v[158:159]
.LBB63_125:
	s_or_b32 exec_lo, exec_lo, s2
	s_wait_dscnt 0x0
	s_barrier_signal -1
	s_barrier_wait -1
	ds_load_b64 v[156:157], v195
	s_mov_b32 s1, exec_lo
	v_cmpx_lt_u32_e32 13, v194
	s_cbranch_execz .LBB63_127
; %bb.126:
	ds_load_2addr_b64 v[162:165], v196 offset0:14 offset1:15
	s_wait_dscnt 0x1
	v_pk_mul_f32 v[160:161], v[156:157], v[60:61] op_sel:[1,1] op_sel_hi:[0,1]
	s_delay_alu instid0(VALU_DEP_1) | instskip(SKIP_1) | instid1(VALU_DEP_1)
	v_pk_fma_f32 v[158:159], v[156:157], v[60:61], v[160:161] op_sel_hi:[1,0,1] neg_lo:[0,0,1] neg_hi:[0,0,1]
	v_pk_fma_f32 v[160:161], v[156:157], v[60:61], v[160:161] op_sel_hi:[1,0,1]
	v_dual_mov_b32 v60, v158 :: v_dual_mov_b32 v61, v161
	s_wait_dscnt 0x0
	s_delay_alu instid0(VALU_DEP_2) | instskip(NEXT) | instid1(VALU_DEP_1)
	v_pk_mul_f32 v[166:167], v[162:163], v[160:161] op_sel:[0,1]
	v_pk_fma_f32 v[168:169], v[162:163], v[158:159], v[166:167] op_sel:[0,0,1] op_sel_hi:[1,1,0] neg_lo:[0,0,1] neg_hi:[0,0,1]
	v_pk_fma_f32 v[162:163], v[162:163], v[158:159], v[166:167] op_sel:[0,0,1] op_sel_hi:[1,0,0]
	s_delay_alu instid0(VALU_DEP_1) | instskip(SKIP_1) | instid1(VALU_DEP_1)
	v_mov_b32_e32 v169, v163
	v_pk_mul_f32 v[162:163], v[164:165], v[160:161] op_sel:[0,1]
	v_pk_fma_f32 v[166:167], v[164:165], v[158:159], v[162:163] op_sel:[0,0,1] op_sel_hi:[1,1,0] neg_lo:[0,0,1] neg_hi:[0,0,1]
	v_pk_fma_f32 v[162:163], v[164:165], v[158:159], v[162:163] op_sel:[0,0,1] op_sel_hi:[1,0,0]
	s_delay_alu instid0(VALU_DEP_1)
	v_mov_b32_e32 v167, v163
	ds_load_2addr_b64 v[162:165], v196 offset0:16 offset1:17
	v_pk_add_f32 v[62:63], v[62:63], v[168:169] neg_lo:[0,1] neg_hi:[0,1]
	v_pk_add_f32 v[58:59], v[58:59], v[166:167] neg_lo:[0,1] neg_hi:[0,1]
	s_wait_dscnt 0x0
	v_pk_mul_f32 v[166:167], v[162:163], v[160:161] op_sel:[0,1]
	s_delay_alu instid0(VALU_DEP_1) | instskip(SKIP_2) | instid1(VALU_DEP_2)
	v_pk_fma_f32 v[168:169], v[162:163], v[158:159], v[166:167] op_sel:[0,0,1] op_sel_hi:[1,1,0] neg_lo:[0,0,1] neg_hi:[0,0,1]
	v_pk_fma_f32 v[162:163], v[162:163], v[158:159], v[166:167] op_sel:[0,0,1] op_sel_hi:[1,0,0]
	v_dual_mul_f32 v166, v165, v161 :: v_dual_mov_b32 v162, v165
	v_dual_mov_b32 v169, v163 :: v_dual_mov_b32 v163, v164
	s_delay_alu instid0(VALU_DEP_2) | instskip(SKIP_1) | instid1(VALU_DEP_3)
	v_pk_fma_f32 v[166:167], v[164:165], v[60:61], v[166:167] op_sel_hi:[1,1,0] neg_lo:[0,0,1] neg_hi:[0,0,1]
	v_mul_f32_e32 v164, v165, v158
	v_pk_add_f32 v[82:83], v[82:83], v[168:169] neg_lo:[0,1] neg_hi:[0,1]
	s_delay_alu instid0(VALU_DEP_2) | instskip(NEXT) | instid1(VALU_DEP_1)
	v_pk_fma_f32 v[162:163], v[162:163], v[60:61], v[164:165] op_sel_hi:[1,1,0]
	v_mov_b32_e32 v167, v163
	ds_load_2addr_b64 v[162:165], v196 offset0:18 offset1:19
	v_pk_add_f32 v[78:79], v[78:79], v[166:167] neg_lo:[0,1] neg_hi:[0,1]
	s_wait_dscnt 0x0
	v_pk_mul_f32 v[166:167], v[162:163], v[160:161] op_sel:[0,1]
	s_delay_alu instid0(VALU_DEP_1) | instskip(SKIP_1) | instid1(VALU_DEP_1)
	v_pk_fma_f32 v[168:169], v[162:163], v[158:159], v[166:167] op_sel:[0,0,1] op_sel_hi:[1,1,0] neg_lo:[0,0,1] neg_hi:[0,0,1]
	v_pk_fma_f32 v[162:163], v[162:163], v[158:159], v[166:167] op_sel:[0,0,1] op_sel_hi:[1,0,0]
	v_mov_b32_e32 v169, v163
	v_pk_mul_f32 v[162:163], v[164:165], v[160:161] op_sel:[0,1]
	s_delay_alu instid0(VALU_DEP_1) | instskip(SKIP_1) | instid1(VALU_DEP_1)
	v_pk_fma_f32 v[166:167], v[164:165], v[158:159], v[162:163] op_sel:[0,0,1] op_sel_hi:[1,1,0] neg_lo:[0,0,1] neg_hi:[0,0,1]
	v_pk_fma_f32 v[162:163], v[164:165], v[158:159], v[162:163] op_sel:[0,0,1] op_sel_hi:[1,0,0]
	v_mov_b32_e32 v167, v163
	ds_load_2addr_b64 v[162:165], v196 offset0:20 offset1:21
	v_pk_add_f32 v[80:81], v[80:81], v[168:169] neg_lo:[0,1] neg_hi:[0,1]
	v_pk_add_f32 v[76:77], v[76:77], v[166:167] neg_lo:[0,1] neg_hi:[0,1]
	s_wait_dscnt 0x0
	v_pk_mul_f32 v[166:167], v[162:163], v[160:161] op_sel:[0,1]
	s_delay_alu instid0(VALU_DEP_1) | instskip(SKIP_1) | instid1(VALU_DEP_1)
	v_pk_fma_f32 v[168:169], v[162:163], v[158:159], v[166:167] op_sel:[0,0,1] op_sel_hi:[1,1,0] neg_lo:[0,0,1] neg_hi:[0,0,1]
	v_pk_fma_f32 v[162:163], v[162:163], v[158:159], v[166:167] op_sel:[0,0,1] op_sel_hi:[1,0,0]
	v_mov_b32_e32 v169, v163
	v_pk_mul_f32 v[162:163], v[164:165], v[160:161] op_sel:[0,1]
	s_delay_alu instid0(VALU_DEP_1) | instskip(SKIP_1) | instid1(VALU_DEP_1)
	v_pk_fma_f32 v[166:167], v[164:165], v[158:159], v[162:163] op_sel:[0,0,1] op_sel_hi:[1,1,0] neg_lo:[0,0,1] neg_hi:[0,0,1]
	v_pk_fma_f32 v[162:163], v[164:165], v[158:159], v[162:163] op_sel:[0,0,1] op_sel_hi:[1,0,0]
	v_mov_b32_e32 v167, v163
	ds_load_2addr_b64 v[162:165], v196 offset0:22 offset1:23
	v_pk_add_f32 v[102:103], v[102:103], v[168:169] neg_lo:[0,1] neg_hi:[0,1]
	v_pk_add_f32 v[98:99], v[98:99], v[166:167] neg_lo:[0,1] neg_hi:[0,1]
	s_wait_dscnt 0x0
	v_dual_mul_f32 v166, v163, v161 :: v_dual_mul_f32 v168, v163, v158
	s_delay_alu instid0(VALU_DEP_1) | instskip(NEXT) | instid1(VALU_DEP_2)
	v_pk_fma_f32 v[166:167], v[162:163], v[60:61], v[166:167] op_sel_hi:[1,1,0] neg_lo:[0,0,1] neg_hi:[0,0,1]
	v_pk_fma_f32 v[162:163], v[162:163], v[60:61], v[168:169] op_sel:[1,0,0] op_sel_hi:[0,1,0]
	s_delay_alu instid0(VALU_DEP_1) | instskip(SKIP_1) | instid1(VALU_DEP_2)
	v_mov_b32_e32 v167, v163
	v_pk_mul_f32 v[162:163], v[164:165], v[160:161] op_sel:[0,1]
	v_pk_add_f32 v[100:101], v[100:101], v[166:167] neg_lo:[0,1] neg_hi:[0,1]
	s_delay_alu instid0(VALU_DEP_2) | instskip(SKIP_1) | instid1(VALU_DEP_1)
	v_pk_fma_f32 v[166:167], v[164:165], v[158:159], v[162:163] op_sel:[0,0,1] op_sel_hi:[1,1,0] neg_lo:[0,0,1] neg_hi:[0,0,1]
	v_pk_fma_f32 v[162:163], v[164:165], v[158:159], v[162:163] op_sel:[0,0,1] op_sel_hi:[1,0,0]
	v_mov_b32_e32 v167, v163
	ds_load_2addr_b64 v[162:165], v196 offset0:24 offset1:25
	v_pk_add_f32 v[96:97], v[96:97], v[166:167] neg_lo:[0,1] neg_hi:[0,1]
	s_wait_dscnt 0x0
	v_pk_mul_f32 v[166:167], v[162:163], v[160:161] op_sel:[0,1]
	s_delay_alu instid0(VALU_DEP_1) | instskip(SKIP_1) | instid1(VALU_DEP_1)
	v_pk_fma_f32 v[168:169], v[162:163], v[158:159], v[166:167] op_sel:[0,0,1] op_sel_hi:[1,1,0] neg_lo:[0,0,1] neg_hi:[0,0,1]
	v_pk_fma_f32 v[162:163], v[162:163], v[158:159], v[166:167] op_sel:[0,0,1] op_sel_hi:[1,0,0]
	v_mov_b32_e32 v169, v163
	v_pk_mul_f32 v[162:163], v[164:165], v[160:161] op_sel:[0,1]
	s_delay_alu instid0(VALU_DEP_2) | instskip(NEXT) | instid1(VALU_DEP_2)
	v_pk_add_f32 v[120:121], v[120:121], v[168:169] neg_lo:[0,1] neg_hi:[0,1]
	v_pk_fma_f32 v[166:167], v[164:165], v[158:159], v[162:163] op_sel:[0,0,1] op_sel_hi:[1,1,0] neg_lo:[0,0,1] neg_hi:[0,0,1]
	v_pk_fma_f32 v[162:163], v[164:165], v[158:159], v[162:163] op_sel:[0,0,1] op_sel_hi:[1,0,0]
	s_delay_alu instid0(VALU_DEP_1) | instskip(SKIP_4) | instid1(VALU_DEP_1)
	v_mov_b32_e32 v167, v163
	ds_load_2addr_b64 v[162:165], v196 offset0:26 offset1:27
	v_pk_add_f32 v[116:117], v[116:117], v[166:167] neg_lo:[0,1] neg_hi:[0,1]
	s_wait_dscnt 0x0
	v_pk_mul_f32 v[166:167], v[162:163], v[160:161] op_sel:[0,1]
	v_pk_fma_f32 v[168:169], v[162:163], v[158:159], v[166:167] op_sel:[0,0,1] op_sel_hi:[1,1,0] neg_lo:[0,0,1] neg_hi:[0,0,1]
	v_pk_fma_f32 v[162:163], v[162:163], v[158:159], v[166:167] op_sel:[0,0,1] op_sel_hi:[1,0,0]
	v_dual_mul_f32 v166, v165, v161 :: v_dual_mov_b32 v162, v165
	s_delay_alu instid0(VALU_DEP_2) | instskip(NEXT) | instid1(VALU_DEP_2)
	v_dual_mov_b32 v169, v163 :: v_dual_mov_b32 v163, v164
	v_pk_fma_f32 v[166:167], v[164:165], v[60:61], v[166:167] op_sel_hi:[1,1,0] neg_lo:[0,0,1] neg_hi:[0,0,1]
	v_mul_f32_e32 v164, v165, v158
	s_delay_alu instid0(VALU_DEP_3) | instskip(NEXT) | instid1(VALU_DEP_2)
	v_pk_add_f32 v[118:119], v[118:119], v[168:169] neg_lo:[0,1] neg_hi:[0,1]
	v_pk_fma_f32 v[162:163], v[162:163], v[60:61], v[164:165] op_sel_hi:[1,1,0]
	s_delay_alu instid0(VALU_DEP_1) | instskip(SKIP_4) | instid1(VALU_DEP_1)
	v_mov_b32_e32 v167, v163
	ds_load_2addr_b64 v[162:165], v196 offset0:28 offset1:29
	v_pk_add_f32 v[114:115], v[114:115], v[166:167] neg_lo:[0,1] neg_hi:[0,1]
	s_wait_dscnt 0x0
	v_pk_mul_f32 v[166:167], v[162:163], v[160:161] op_sel:[0,1]
	v_pk_fma_f32 v[168:169], v[162:163], v[158:159], v[166:167] op_sel:[0,0,1] op_sel_hi:[1,1,0] neg_lo:[0,0,1] neg_hi:[0,0,1]
	v_pk_fma_f32 v[162:163], v[162:163], v[158:159], v[166:167] op_sel:[0,0,1] op_sel_hi:[1,0,0]
	s_delay_alu instid0(VALU_DEP_1) | instskip(SKIP_1) | instid1(VALU_DEP_1)
	v_mov_b32_e32 v169, v163
	v_pk_mul_f32 v[162:163], v[164:165], v[160:161] op_sel:[0,1]
	v_pk_fma_f32 v[166:167], v[164:165], v[158:159], v[162:163] op_sel:[0,0,1] op_sel_hi:[1,1,0] neg_lo:[0,0,1] neg_hi:[0,0,1]
	v_pk_fma_f32 v[162:163], v[164:165], v[158:159], v[162:163] op_sel:[0,0,1] op_sel_hi:[1,0,0]
	s_delay_alu instid0(VALU_DEP_1)
	v_mov_b32_e32 v167, v163
	ds_load_2addr_b64 v[162:165], v196 offset0:30 offset1:31
	v_pk_add_f32 v[126:127], v[126:127], v[168:169] neg_lo:[0,1] neg_hi:[0,1]
	v_pk_add_f32 v[124:125], v[124:125], v[166:167] neg_lo:[0,1] neg_hi:[0,1]
	s_wait_dscnt 0x0
	v_pk_mul_f32 v[166:167], v[162:163], v[160:161] op_sel:[0,1]
	v_mul_f32_e32 v160, v165, v161
	s_delay_alu instid0(VALU_DEP_2) | instskip(SKIP_2) | instid1(VALU_DEP_4)
	v_pk_fma_f32 v[168:169], v[162:163], v[158:159], v[166:167] op_sel:[0,0,1] op_sel_hi:[1,1,0] neg_lo:[0,0,1] neg_hi:[0,0,1]
	v_pk_fma_f32 v[162:163], v[162:163], v[158:159], v[166:167] op_sel:[0,0,1] op_sel_hi:[1,0,0]
	v_dual_mov_b32 v162, v165 :: v_dual_mul_f32 v158, v165, v158
	v_pk_fma_f32 v[160:161], v[164:165], v[60:61], v[160:161] op_sel_hi:[1,1,0] neg_lo:[0,0,1] neg_hi:[0,0,1]
	s_delay_alu instid0(VALU_DEP_3) | instskip(NEXT) | instid1(VALU_DEP_1)
	v_dual_mov_b32 v169, v163 :: v_dual_mov_b32 v163, v164
	v_pk_add_f32 v[122:123], v[122:123], v[168:169] neg_lo:[0,1] neg_hi:[0,1]
	s_delay_alu instid0(VALU_DEP_2) | instskip(NEXT) | instid1(VALU_DEP_1)
	v_pk_fma_f32 v[158:159], v[162:163], v[60:61], v[158:159] op_sel_hi:[1,1,0]
	v_mov_b32_e32 v161, v159
	s_delay_alu instid0(VALU_DEP_1)
	v_pk_add_f32 v[128:129], v[128:129], v[160:161] neg_lo:[0,1] neg_hi:[0,1]
.LBB63_127:
	s_or_b32 exec_lo, exec_lo, s1
	s_delay_alu instid0(SALU_CYCLE_1)
	s_mov_b32 s2, exec_lo
	s_wait_dscnt 0x0
	s_barrier_signal -1
	s_barrier_wait -1
	v_cmpx_eq_u32_e32 14, v194
	s_cbranch_execz .LBB63_134
; %bb.128:
	ds_store_b64 v195, v[62:63]
	ds_store_2addr_b64 v196, v[58:59], v[82:83] offset0:15 offset1:16
	ds_store_2addr_b64 v196, v[78:79], v[80:81] offset0:17 offset1:18
	;; [unrolled: 1-line block ×8, first 2 shown]
	ds_store_b64 v196, v[128:129] offset:248
	ds_load_b64 v[158:159], v195
	s_wait_dscnt 0x0
	v_cmp_neq_f32_e32 vcc_lo, 0, v158
	v_cmp_neq_f32_e64 s1, 0, v159
	s_or_b32 s1, vcc_lo, s1
	s_delay_alu instid0(SALU_CYCLE_1)
	s_and_b32 exec_lo, exec_lo, s1
	s_cbranch_execz .LBB63_134
; %bb.129:
	v_cmp_ngt_f32_e64 s1, |v158|, |v159|
                                        ; implicit-def: $vgpr160_vgpr161
	s_and_saveexec_b32 s4, s1
	s_delay_alu instid0(SALU_CYCLE_1)
	s_xor_b32 s1, exec_lo, s4
	s_cbranch_execz .LBB63_131
; %bb.130:
	v_div_scale_f32 v160, null, v159, v159, v158
	v_div_scale_f32 v163, vcc_lo, v158, v159, v158
	s_delay_alu instid0(VALU_DEP_2) | instskip(SKIP_1) | instid1(TRANS32_DEP_1)
	v_rcp_f32_e32 v161, v160
	v_nop
	v_fma_f32 v162, -v160, v161, 1.0
	s_delay_alu instid0(VALU_DEP_1) | instskip(NEXT) | instid1(VALU_DEP_1)
	v_fmac_f32_e32 v161, v162, v161
	v_mul_f32_e32 v162, v163, v161
	s_delay_alu instid0(VALU_DEP_1) | instskip(NEXT) | instid1(VALU_DEP_1)
	v_fma_f32 v164, -v160, v162, v163
	v_fmac_f32_e32 v162, v164, v161
	s_delay_alu instid0(VALU_DEP_1) | instskip(NEXT) | instid1(VALU_DEP_1)
	v_fma_f32 v160, -v160, v162, v163
	v_div_fmas_f32 v160, v160, v161, v162
	s_delay_alu instid0(VALU_DEP_1) | instskip(NEXT) | instid1(VALU_DEP_1)
	v_div_fixup_f32 v160, v160, v159, v158
	v_fmac_f32_e32 v159, v158, v160
	s_delay_alu instid0(VALU_DEP_1) | instskip(SKIP_1) | instid1(VALU_DEP_2)
	v_div_scale_f32 v158, null, v159, v159, 1.0
	v_div_scale_f32 v163, vcc_lo, 1.0, v159, 1.0
	v_rcp_f32_e32 v161, v158
	v_nop
	s_delay_alu instid0(TRANS32_DEP_1) | instskip(NEXT) | instid1(VALU_DEP_1)
	v_fma_f32 v162, -v158, v161, 1.0
	v_fmac_f32_e32 v161, v162, v161
	s_delay_alu instid0(VALU_DEP_1) | instskip(NEXT) | instid1(VALU_DEP_1)
	v_mul_f32_e32 v162, v163, v161
	v_fma_f32 v164, -v158, v162, v163
	s_delay_alu instid0(VALU_DEP_1) | instskip(NEXT) | instid1(VALU_DEP_1)
	v_fmac_f32_e32 v162, v164, v161
	v_fma_f32 v158, -v158, v162, v163
	s_delay_alu instid0(VALU_DEP_1) | instskip(NEXT) | instid1(VALU_DEP_1)
	v_div_fmas_f32 v158, v158, v161, v162
	v_div_fixup_f32 v158, v158, v159, 1.0
	s_delay_alu instid0(VALU_DEP_1)
	v_mul_f32_e32 v160, v160, v158
	v_xor_b32_e32 v161, 0x80000000, v158
                                        ; implicit-def: $vgpr158_vgpr159
.LBB63_131:
	s_and_not1_saveexec_b32 s1, s1
	s_cbranch_execz .LBB63_133
; %bb.132:
	v_div_scale_f32 v160, null, v158, v158, v159
	v_div_scale_f32 v163, vcc_lo, v159, v158, v159
	s_delay_alu instid0(VALU_DEP_2) | instskip(SKIP_1) | instid1(TRANS32_DEP_1)
	v_rcp_f32_e32 v161, v160
	v_nop
	v_fma_f32 v162, -v160, v161, 1.0
	s_delay_alu instid0(VALU_DEP_1) | instskip(NEXT) | instid1(VALU_DEP_1)
	v_fmac_f32_e32 v161, v162, v161
	v_mul_f32_e32 v162, v163, v161
	s_delay_alu instid0(VALU_DEP_1) | instskip(NEXT) | instid1(VALU_DEP_1)
	v_fma_f32 v164, -v160, v162, v163
	v_fmac_f32_e32 v162, v164, v161
	s_delay_alu instid0(VALU_DEP_1) | instskip(NEXT) | instid1(VALU_DEP_1)
	v_fma_f32 v160, -v160, v162, v163
	v_div_fmas_f32 v160, v160, v161, v162
	s_delay_alu instid0(VALU_DEP_1) | instskip(NEXT) | instid1(VALU_DEP_1)
	v_div_fixup_f32 v161, v160, v158, v159
	v_fmac_f32_e32 v158, v159, v161
	s_delay_alu instid0(VALU_DEP_1) | instskip(NEXT) | instid1(VALU_DEP_1)
	v_div_scale_f32 v159, null, v158, v158, 1.0
	v_rcp_f32_e32 v160, v159
	v_nop
	s_delay_alu instid0(TRANS32_DEP_1) | instskip(NEXT) | instid1(VALU_DEP_1)
	v_fma_f32 v162, -v159, v160, 1.0
	v_fmac_f32_e32 v160, v162, v160
	v_div_scale_f32 v162, vcc_lo, 1.0, v158, 1.0
	s_delay_alu instid0(VALU_DEP_1) | instskip(NEXT) | instid1(VALU_DEP_1)
	v_mul_f32_e32 v163, v162, v160
	v_fma_f32 v164, -v159, v163, v162
	s_delay_alu instid0(VALU_DEP_1) | instskip(NEXT) | instid1(VALU_DEP_1)
	v_fmac_f32_e32 v163, v164, v160
	v_fma_f32 v159, -v159, v163, v162
	s_delay_alu instid0(VALU_DEP_1) | instskip(NEXT) | instid1(VALU_DEP_1)
	v_div_fmas_f32 v159, v159, v160, v163
	v_div_fixup_f32 v160, v159, v158, 1.0
	s_delay_alu instid0(VALU_DEP_1)
	v_mul_f32_e64 v161, v161, -v160
.LBB63_133:
	s_or_b32 exec_lo, exec_lo, s1
	ds_store_b64 v195, v[160:161]
.LBB63_134:
	s_or_b32 exec_lo, exec_lo, s2
	s_wait_dscnt 0x0
	s_barrier_signal -1
	s_barrier_wait -1
	ds_load_b64 v[158:159], v195
	s_mov_b32 s1, exec_lo
	v_cmpx_lt_u32_e32 14, v194
	s_cbranch_execz .LBB63_136
; %bb.135:
	ds_load_2addr_b64 v[164:167], v196 offset0:15 offset1:16
	s_wait_dscnt 0x1
	v_pk_mul_f32 v[162:163], v[158:159], v[62:63] op_sel:[1,1] op_sel_hi:[0,1]
	s_delay_alu instid0(VALU_DEP_1) | instskip(SKIP_1) | instid1(VALU_DEP_1)
	v_pk_fma_f32 v[160:161], v[158:159], v[62:63], v[162:163] op_sel_hi:[1,0,1] neg_lo:[0,0,1] neg_hi:[0,0,1]
	v_pk_fma_f32 v[162:163], v[158:159], v[62:63], v[162:163] op_sel_hi:[1,0,1]
	v_dual_mov_b32 v62, v160 :: v_dual_mov_b32 v63, v163
	s_wait_dscnt 0x0
	s_delay_alu instid0(VALU_DEP_2) | instskip(NEXT) | instid1(VALU_DEP_1)
	v_pk_mul_f32 v[168:169], v[164:165], v[162:163] op_sel:[0,1]
	v_pk_fma_f32 v[170:171], v[164:165], v[160:161], v[168:169] op_sel:[0,0,1] op_sel_hi:[1,1,0] neg_lo:[0,0,1] neg_hi:[0,0,1]
	v_pk_fma_f32 v[164:165], v[164:165], v[160:161], v[168:169] op_sel:[0,0,1] op_sel_hi:[1,0,0]
	s_delay_alu instid0(VALU_DEP_1) | instskip(SKIP_1) | instid1(VALU_DEP_1)
	v_mov_b32_e32 v171, v165
	v_pk_mul_f32 v[164:165], v[166:167], v[162:163] op_sel:[0,1]
	v_pk_fma_f32 v[168:169], v[166:167], v[160:161], v[164:165] op_sel:[0,0,1] op_sel_hi:[1,1,0] neg_lo:[0,0,1] neg_hi:[0,0,1]
	v_pk_fma_f32 v[164:165], v[166:167], v[160:161], v[164:165] op_sel:[0,0,1] op_sel_hi:[1,0,0]
	s_delay_alu instid0(VALU_DEP_1)
	v_mov_b32_e32 v169, v165
	ds_load_2addr_b64 v[164:167], v196 offset0:17 offset1:18
	v_pk_add_f32 v[58:59], v[58:59], v[170:171] neg_lo:[0,1] neg_hi:[0,1]
	v_pk_add_f32 v[82:83], v[82:83], v[168:169] neg_lo:[0,1] neg_hi:[0,1]
	s_wait_dscnt 0x0
	v_pk_mul_f32 v[168:169], v[164:165], v[162:163] op_sel:[0,1]
	s_delay_alu instid0(VALU_DEP_1) | instskip(SKIP_2) | instid1(VALU_DEP_2)
	v_pk_fma_f32 v[170:171], v[164:165], v[160:161], v[168:169] op_sel:[0,0,1] op_sel_hi:[1,1,0] neg_lo:[0,0,1] neg_hi:[0,0,1]
	v_pk_fma_f32 v[164:165], v[164:165], v[160:161], v[168:169] op_sel:[0,0,1] op_sel_hi:[1,0,0]
	v_dual_mul_f32 v168, v167, v163 :: v_dual_mov_b32 v164, v167
	v_dual_mov_b32 v171, v165 :: v_dual_mov_b32 v165, v166
	s_delay_alu instid0(VALU_DEP_2) | instskip(SKIP_1) | instid1(VALU_DEP_3)
	v_pk_fma_f32 v[168:169], v[166:167], v[62:63], v[168:169] op_sel_hi:[1,1,0] neg_lo:[0,0,1] neg_hi:[0,0,1]
	v_mul_f32_e32 v166, v167, v160
	v_pk_add_f32 v[78:79], v[78:79], v[170:171] neg_lo:[0,1] neg_hi:[0,1]
	s_delay_alu instid0(VALU_DEP_2) | instskip(NEXT) | instid1(VALU_DEP_1)
	v_pk_fma_f32 v[164:165], v[164:165], v[62:63], v[166:167] op_sel_hi:[1,1,0]
	v_mov_b32_e32 v169, v165
	ds_load_2addr_b64 v[164:167], v196 offset0:19 offset1:20
	v_pk_add_f32 v[80:81], v[80:81], v[168:169] neg_lo:[0,1] neg_hi:[0,1]
	s_wait_dscnt 0x0
	v_pk_mul_f32 v[168:169], v[164:165], v[162:163] op_sel:[0,1]
	s_delay_alu instid0(VALU_DEP_1) | instskip(SKIP_1) | instid1(VALU_DEP_1)
	v_pk_fma_f32 v[170:171], v[164:165], v[160:161], v[168:169] op_sel:[0,0,1] op_sel_hi:[1,1,0] neg_lo:[0,0,1] neg_hi:[0,0,1]
	v_pk_fma_f32 v[164:165], v[164:165], v[160:161], v[168:169] op_sel:[0,0,1] op_sel_hi:[1,0,0]
	v_mov_b32_e32 v171, v165
	v_pk_mul_f32 v[164:165], v[166:167], v[162:163] op_sel:[0,1]
	s_delay_alu instid0(VALU_DEP_1) | instskip(SKIP_1) | instid1(VALU_DEP_1)
	v_pk_fma_f32 v[168:169], v[166:167], v[160:161], v[164:165] op_sel:[0,0,1] op_sel_hi:[1,1,0] neg_lo:[0,0,1] neg_hi:[0,0,1]
	v_pk_fma_f32 v[164:165], v[166:167], v[160:161], v[164:165] op_sel:[0,0,1] op_sel_hi:[1,0,0]
	v_mov_b32_e32 v169, v165
	ds_load_2addr_b64 v[164:167], v196 offset0:21 offset1:22
	v_pk_add_f32 v[76:77], v[76:77], v[170:171] neg_lo:[0,1] neg_hi:[0,1]
	v_pk_add_f32 v[102:103], v[102:103], v[168:169] neg_lo:[0,1] neg_hi:[0,1]
	s_wait_dscnt 0x0
	v_pk_mul_f32 v[168:169], v[164:165], v[162:163] op_sel:[0,1]
	s_delay_alu instid0(VALU_DEP_1) | instskip(SKIP_1) | instid1(VALU_DEP_1)
	v_pk_fma_f32 v[170:171], v[164:165], v[160:161], v[168:169] op_sel:[0,0,1] op_sel_hi:[1,1,0] neg_lo:[0,0,1] neg_hi:[0,0,1]
	v_pk_fma_f32 v[164:165], v[164:165], v[160:161], v[168:169] op_sel:[0,0,1] op_sel_hi:[1,0,0]
	v_mov_b32_e32 v171, v165
	v_pk_mul_f32 v[164:165], v[166:167], v[162:163] op_sel:[0,1]
	s_delay_alu instid0(VALU_DEP_1) | instskip(SKIP_1) | instid1(VALU_DEP_1)
	v_pk_fma_f32 v[168:169], v[166:167], v[160:161], v[164:165] op_sel:[0,0,1] op_sel_hi:[1,1,0] neg_lo:[0,0,1] neg_hi:[0,0,1]
	v_pk_fma_f32 v[164:165], v[166:167], v[160:161], v[164:165] op_sel:[0,0,1] op_sel_hi:[1,0,0]
	v_mov_b32_e32 v169, v165
	ds_load_2addr_b64 v[164:167], v196 offset0:23 offset1:24
	v_pk_add_f32 v[98:99], v[98:99], v[170:171] neg_lo:[0,1] neg_hi:[0,1]
	v_pk_add_f32 v[100:101], v[100:101], v[168:169] neg_lo:[0,1] neg_hi:[0,1]
	s_wait_dscnt 0x0
	v_dual_mul_f32 v168, v165, v163 :: v_dual_mul_f32 v170, v165, v160
	s_delay_alu instid0(VALU_DEP_1) | instskip(NEXT) | instid1(VALU_DEP_2)
	v_pk_fma_f32 v[168:169], v[164:165], v[62:63], v[168:169] op_sel_hi:[1,1,0] neg_lo:[0,0,1] neg_hi:[0,0,1]
	v_pk_fma_f32 v[164:165], v[164:165], v[62:63], v[170:171] op_sel:[1,0,0] op_sel_hi:[0,1,0]
	s_delay_alu instid0(VALU_DEP_1) | instskip(SKIP_1) | instid1(VALU_DEP_2)
	v_mov_b32_e32 v169, v165
	v_pk_mul_f32 v[164:165], v[166:167], v[162:163] op_sel:[0,1]
	v_pk_add_f32 v[96:97], v[96:97], v[168:169] neg_lo:[0,1] neg_hi:[0,1]
	s_delay_alu instid0(VALU_DEP_2) | instskip(SKIP_1) | instid1(VALU_DEP_1)
	v_pk_fma_f32 v[168:169], v[166:167], v[160:161], v[164:165] op_sel:[0,0,1] op_sel_hi:[1,1,0] neg_lo:[0,0,1] neg_hi:[0,0,1]
	v_pk_fma_f32 v[164:165], v[166:167], v[160:161], v[164:165] op_sel:[0,0,1] op_sel_hi:[1,0,0]
	v_mov_b32_e32 v169, v165
	ds_load_2addr_b64 v[164:167], v196 offset0:25 offset1:26
	v_pk_add_f32 v[120:121], v[120:121], v[168:169] neg_lo:[0,1] neg_hi:[0,1]
	s_wait_dscnt 0x0
	v_pk_mul_f32 v[168:169], v[164:165], v[162:163] op_sel:[0,1]
	s_delay_alu instid0(VALU_DEP_1) | instskip(SKIP_1) | instid1(VALU_DEP_1)
	v_pk_fma_f32 v[170:171], v[164:165], v[160:161], v[168:169] op_sel:[0,0,1] op_sel_hi:[1,1,0] neg_lo:[0,0,1] neg_hi:[0,0,1]
	v_pk_fma_f32 v[164:165], v[164:165], v[160:161], v[168:169] op_sel:[0,0,1] op_sel_hi:[1,0,0]
	v_mov_b32_e32 v171, v165
	v_pk_mul_f32 v[164:165], v[166:167], v[162:163] op_sel:[0,1]
	s_delay_alu instid0(VALU_DEP_2) | instskip(NEXT) | instid1(VALU_DEP_2)
	v_pk_add_f32 v[116:117], v[116:117], v[170:171] neg_lo:[0,1] neg_hi:[0,1]
	v_pk_fma_f32 v[168:169], v[166:167], v[160:161], v[164:165] op_sel:[0,0,1] op_sel_hi:[1,1,0] neg_lo:[0,0,1] neg_hi:[0,0,1]
	v_pk_fma_f32 v[164:165], v[166:167], v[160:161], v[164:165] op_sel:[0,0,1] op_sel_hi:[1,0,0]
	s_delay_alu instid0(VALU_DEP_1) | instskip(SKIP_4) | instid1(VALU_DEP_1)
	v_mov_b32_e32 v169, v165
	ds_load_2addr_b64 v[164:167], v196 offset0:27 offset1:28
	v_pk_add_f32 v[118:119], v[118:119], v[168:169] neg_lo:[0,1] neg_hi:[0,1]
	s_wait_dscnt 0x0
	v_pk_mul_f32 v[168:169], v[164:165], v[162:163] op_sel:[0,1]
	v_pk_fma_f32 v[170:171], v[164:165], v[160:161], v[168:169] op_sel:[0,0,1] op_sel_hi:[1,1,0] neg_lo:[0,0,1] neg_hi:[0,0,1]
	v_pk_fma_f32 v[164:165], v[164:165], v[160:161], v[168:169] op_sel:[0,0,1] op_sel_hi:[1,0,0]
	v_dual_mul_f32 v168, v167, v163 :: v_dual_mov_b32 v164, v167
	s_delay_alu instid0(VALU_DEP_2) | instskip(NEXT) | instid1(VALU_DEP_2)
	v_dual_mov_b32 v171, v165 :: v_dual_mov_b32 v165, v166
	v_pk_fma_f32 v[168:169], v[166:167], v[62:63], v[168:169] op_sel_hi:[1,1,0] neg_lo:[0,0,1] neg_hi:[0,0,1]
	v_mul_f32_e32 v166, v167, v160
	s_delay_alu instid0(VALU_DEP_3) | instskip(NEXT) | instid1(VALU_DEP_2)
	v_pk_add_f32 v[114:115], v[114:115], v[170:171] neg_lo:[0,1] neg_hi:[0,1]
	v_pk_fma_f32 v[164:165], v[164:165], v[62:63], v[166:167] op_sel_hi:[1,1,0]
	s_delay_alu instid0(VALU_DEP_1) | instskip(SKIP_4) | instid1(VALU_DEP_1)
	v_mov_b32_e32 v169, v165
	ds_load_2addr_b64 v[164:167], v196 offset0:29 offset1:30
	v_pk_add_f32 v[126:127], v[126:127], v[168:169] neg_lo:[0,1] neg_hi:[0,1]
	s_wait_dscnt 0x0
	v_pk_mul_f32 v[168:169], v[164:165], v[162:163] op_sel:[0,1]
	v_pk_fma_f32 v[170:171], v[164:165], v[160:161], v[168:169] op_sel:[0,0,1] op_sel_hi:[1,1,0] neg_lo:[0,0,1] neg_hi:[0,0,1]
	v_pk_fma_f32 v[164:165], v[164:165], v[160:161], v[168:169] op_sel:[0,0,1] op_sel_hi:[1,0,0]
	s_delay_alu instid0(VALU_DEP_1) | instskip(SKIP_1) | instid1(VALU_DEP_1)
	v_mov_b32_e32 v171, v165
	v_pk_mul_f32 v[164:165], v[166:167], v[162:163] op_sel:[0,1]
	v_pk_fma_f32 v[168:169], v[166:167], v[160:161], v[164:165] op_sel:[0,0,1] op_sel_hi:[1,1,0] neg_lo:[0,0,1] neg_hi:[0,0,1]
	v_pk_fma_f32 v[164:165], v[166:167], v[160:161], v[164:165] op_sel:[0,0,1] op_sel_hi:[1,0,0]
	s_delay_alu instid0(VALU_DEP_1)
	v_mov_b32_e32 v169, v165
	ds_load_b64 v[164:165], v196 offset:248
	v_pk_add_f32 v[124:125], v[124:125], v[170:171] neg_lo:[0,1] neg_hi:[0,1]
	v_pk_add_f32 v[122:123], v[122:123], v[168:169] neg_lo:[0,1] neg_hi:[0,1]
	s_wait_dscnt 0x0
	v_pk_mul_f32 v[162:163], v[164:165], v[162:163] op_sel:[0,1]
	s_delay_alu instid0(VALU_DEP_1) | instskip(SKIP_1) | instid1(VALU_DEP_1)
	v_pk_fma_f32 v[166:167], v[164:165], v[160:161], v[162:163] op_sel:[0,0,1] op_sel_hi:[1,1,0] neg_lo:[0,0,1] neg_hi:[0,0,1]
	v_pk_fma_f32 v[160:161], v[164:165], v[160:161], v[162:163] op_sel:[0,0,1] op_sel_hi:[1,0,0]
	v_mov_b32_e32 v167, v161
	s_delay_alu instid0(VALU_DEP_1)
	v_pk_add_f32 v[128:129], v[128:129], v[166:167] neg_lo:[0,1] neg_hi:[0,1]
.LBB63_136:
	s_or_b32 exec_lo, exec_lo, s1
	s_delay_alu instid0(SALU_CYCLE_1)
	s_mov_b32 s2, exec_lo
	s_wait_dscnt 0x0
	s_barrier_signal -1
	s_barrier_wait -1
	v_cmpx_eq_u32_e32 15, v194
	s_cbranch_execz .LBB63_143
; %bb.137:
	v_dual_mov_b32 v160, v82 :: v_dual_mov_b32 v161, v83
	v_dual_mov_b32 v162, v78 :: v_dual_mov_b32 v163, v79
	;; [unrolled: 1-line block ×4, first 2 shown]
	ds_store_b64 v195, v[58:59]
	ds_store_2addr_b64 v196, v[160:161], v[162:163] offset0:16 offset1:17
	ds_store_2addr_b64 v196, v[164:165], v[166:167] offset0:18 offset1:19
	v_dual_mov_b32 v160, v102 :: v_dual_mov_b32 v161, v103
	v_dual_mov_b32 v162, v98 :: v_dual_mov_b32 v163, v99
	;; [unrolled: 1-line block ×11, first 2 shown]
	ds_store_2addr_b64 v196, v[160:161], v[162:163] offset0:20 offset1:21
	ds_store_2addr_b64 v196, v[164:165], v[166:167] offset0:22 offset1:23
	;; [unrolled: 1-line block ×6, first 2 shown]
	ds_load_b64 v[160:161], v195
	s_wait_dscnt 0x0
	v_cmp_neq_f32_e32 vcc_lo, 0, v160
	v_cmp_neq_f32_e64 s1, 0, v161
	s_or_b32 s1, vcc_lo, s1
	s_delay_alu instid0(SALU_CYCLE_1)
	s_and_b32 exec_lo, exec_lo, s1
	s_cbranch_execz .LBB63_143
; %bb.138:
	v_cmp_ngt_f32_e64 s1, |v160|, |v161|
                                        ; implicit-def: $vgpr162_vgpr163
	s_and_saveexec_b32 s4, s1
	s_delay_alu instid0(SALU_CYCLE_1)
	s_xor_b32 s1, exec_lo, s4
	s_cbranch_execz .LBB63_140
; %bb.139:
	v_div_scale_f32 v162, null, v161, v161, v160
	v_div_scale_f32 v165, vcc_lo, v160, v161, v160
	s_delay_alu instid0(VALU_DEP_2) | instskip(SKIP_1) | instid1(TRANS32_DEP_1)
	v_rcp_f32_e32 v163, v162
	v_nop
	v_fma_f32 v164, -v162, v163, 1.0
	s_delay_alu instid0(VALU_DEP_1) | instskip(NEXT) | instid1(VALU_DEP_1)
	v_fmac_f32_e32 v163, v164, v163
	v_mul_f32_e32 v164, v165, v163
	s_delay_alu instid0(VALU_DEP_1) | instskip(NEXT) | instid1(VALU_DEP_1)
	v_fma_f32 v166, -v162, v164, v165
	v_fmac_f32_e32 v164, v166, v163
	s_delay_alu instid0(VALU_DEP_1) | instskip(NEXT) | instid1(VALU_DEP_1)
	v_fma_f32 v162, -v162, v164, v165
	v_div_fmas_f32 v162, v162, v163, v164
	s_delay_alu instid0(VALU_DEP_1) | instskip(NEXT) | instid1(VALU_DEP_1)
	v_div_fixup_f32 v162, v162, v161, v160
	v_fmac_f32_e32 v161, v160, v162
	s_delay_alu instid0(VALU_DEP_1) | instskip(SKIP_1) | instid1(VALU_DEP_2)
	v_div_scale_f32 v160, null, v161, v161, 1.0
	v_div_scale_f32 v165, vcc_lo, 1.0, v161, 1.0
	v_rcp_f32_e32 v163, v160
	v_nop
	s_delay_alu instid0(TRANS32_DEP_1) | instskip(NEXT) | instid1(VALU_DEP_1)
	v_fma_f32 v164, -v160, v163, 1.0
	v_fmac_f32_e32 v163, v164, v163
	s_delay_alu instid0(VALU_DEP_1) | instskip(NEXT) | instid1(VALU_DEP_1)
	v_mul_f32_e32 v164, v165, v163
	v_fma_f32 v166, -v160, v164, v165
	s_delay_alu instid0(VALU_DEP_1) | instskip(NEXT) | instid1(VALU_DEP_1)
	v_fmac_f32_e32 v164, v166, v163
	v_fma_f32 v160, -v160, v164, v165
	s_delay_alu instid0(VALU_DEP_1) | instskip(NEXT) | instid1(VALU_DEP_1)
	v_div_fmas_f32 v160, v160, v163, v164
	v_div_fixup_f32 v160, v160, v161, 1.0
	s_delay_alu instid0(VALU_DEP_1)
	v_mul_f32_e32 v162, v162, v160
	v_xor_b32_e32 v163, 0x80000000, v160
                                        ; implicit-def: $vgpr160_vgpr161
.LBB63_140:
	s_and_not1_saveexec_b32 s1, s1
	s_cbranch_execz .LBB63_142
; %bb.141:
	v_div_scale_f32 v162, null, v160, v160, v161
	v_div_scale_f32 v165, vcc_lo, v161, v160, v161
	s_delay_alu instid0(VALU_DEP_2) | instskip(SKIP_1) | instid1(TRANS32_DEP_1)
	v_rcp_f32_e32 v163, v162
	v_nop
	v_fma_f32 v164, -v162, v163, 1.0
	s_delay_alu instid0(VALU_DEP_1) | instskip(NEXT) | instid1(VALU_DEP_1)
	v_fmac_f32_e32 v163, v164, v163
	v_mul_f32_e32 v164, v165, v163
	s_delay_alu instid0(VALU_DEP_1) | instskip(NEXT) | instid1(VALU_DEP_1)
	v_fma_f32 v166, -v162, v164, v165
	v_fmac_f32_e32 v164, v166, v163
	s_delay_alu instid0(VALU_DEP_1) | instskip(NEXT) | instid1(VALU_DEP_1)
	v_fma_f32 v162, -v162, v164, v165
	v_div_fmas_f32 v162, v162, v163, v164
	s_delay_alu instid0(VALU_DEP_1) | instskip(NEXT) | instid1(VALU_DEP_1)
	v_div_fixup_f32 v163, v162, v160, v161
	v_fmac_f32_e32 v160, v161, v163
	s_delay_alu instid0(VALU_DEP_1) | instskip(NEXT) | instid1(VALU_DEP_1)
	v_div_scale_f32 v161, null, v160, v160, 1.0
	v_rcp_f32_e32 v162, v161
	v_nop
	s_delay_alu instid0(TRANS32_DEP_1) | instskip(NEXT) | instid1(VALU_DEP_1)
	v_fma_f32 v164, -v161, v162, 1.0
	v_fmac_f32_e32 v162, v164, v162
	v_div_scale_f32 v164, vcc_lo, 1.0, v160, 1.0
	s_delay_alu instid0(VALU_DEP_1) | instskip(NEXT) | instid1(VALU_DEP_1)
	v_mul_f32_e32 v165, v164, v162
	v_fma_f32 v166, -v161, v165, v164
	s_delay_alu instid0(VALU_DEP_1) | instskip(NEXT) | instid1(VALU_DEP_1)
	v_fmac_f32_e32 v165, v166, v162
	v_fma_f32 v161, -v161, v165, v164
	s_delay_alu instid0(VALU_DEP_1) | instskip(NEXT) | instid1(VALU_DEP_1)
	v_div_fmas_f32 v161, v161, v162, v165
	v_div_fixup_f32 v162, v161, v160, 1.0
	s_delay_alu instid0(VALU_DEP_1)
	v_mul_f32_e64 v163, v163, -v162
.LBB63_142:
	s_or_b32 exec_lo, exec_lo, s1
	ds_store_b64 v195, v[162:163]
.LBB63_143:
	s_or_b32 exec_lo, exec_lo, s2
	s_wait_dscnt 0x0
	s_barrier_signal -1
	s_barrier_wait -1
	ds_load_b64 v[160:161], v195
	s_mov_b32 s1, exec_lo
	v_cmpx_lt_u32_e32 15, v194
	s_cbranch_execz .LBB63_145
; %bb.144:
	ds_load_2addr_b64 v[166:169], v196 offset0:16 offset1:17
	s_wait_dscnt 0x1
	v_pk_mul_f32 v[164:165], v[160:161], v[58:59] op_sel:[1,1] op_sel_hi:[0,1]
	s_delay_alu instid0(VALU_DEP_1) | instskip(SKIP_1) | instid1(VALU_DEP_1)
	v_pk_fma_f32 v[162:163], v[160:161], v[58:59], v[164:165] op_sel_hi:[1,0,1] neg_lo:[0,0,1] neg_hi:[0,0,1]
	v_pk_fma_f32 v[164:165], v[160:161], v[58:59], v[164:165] op_sel_hi:[1,0,1]
	v_dual_mov_b32 v58, v162 :: v_dual_mov_b32 v59, v165
	s_wait_dscnt 0x0
	s_delay_alu instid0(VALU_DEP_2) | instskip(NEXT) | instid1(VALU_DEP_1)
	v_pk_mul_f32 v[170:171], v[166:167], v[164:165] op_sel:[0,1]
	v_pk_fma_f32 v[172:173], v[166:167], v[162:163], v[170:171] op_sel:[0,0,1] op_sel_hi:[1,1,0] neg_lo:[0,0,1] neg_hi:[0,0,1]
	v_pk_fma_f32 v[166:167], v[166:167], v[162:163], v[170:171] op_sel:[0,0,1] op_sel_hi:[1,0,0]
	s_delay_alu instid0(VALU_DEP_1) | instskip(SKIP_1) | instid1(VALU_DEP_1)
	v_mov_b32_e32 v173, v167
	v_pk_mul_f32 v[166:167], v[168:169], v[164:165] op_sel:[0,1]
	v_pk_fma_f32 v[170:171], v[168:169], v[162:163], v[166:167] op_sel:[0,0,1] op_sel_hi:[1,1,0] neg_lo:[0,0,1] neg_hi:[0,0,1]
	v_pk_fma_f32 v[166:167], v[168:169], v[162:163], v[166:167] op_sel:[0,0,1] op_sel_hi:[1,0,0]
	s_delay_alu instid0(VALU_DEP_1)
	v_mov_b32_e32 v171, v167
	ds_load_2addr_b64 v[166:169], v196 offset0:18 offset1:19
	v_pk_add_f32 v[82:83], v[82:83], v[172:173] neg_lo:[0,1] neg_hi:[0,1]
	v_pk_add_f32 v[78:79], v[78:79], v[170:171] neg_lo:[0,1] neg_hi:[0,1]
	s_wait_dscnt 0x0
	v_pk_mul_f32 v[170:171], v[166:167], v[164:165] op_sel:[0,1]
	s_delay_alu instid0(VALU_DEP_1) | instskip(SKIP_2) | instid1(VALU_DEP_2)
	v_pk_fma_f32 v[172:173], v[166:167], v[162:163], v[170:171] op_sel:[0,0,1] op_sel_hi:[1,1,0] neg_lo:[0,0,1] neg_hi:[0,0,1]
	v_pk_fma_f32 v[166:167], v[166:167], v[162:163], v[170:171] op_sel:[0,0,1] op_sel_hi:[1,0,0]
	v_dual_mul_f32 v170, v169, v165 :: v_dual_mov_b32 v166, v169
	v_dual_mov_b32 v173, v167 :: v_dual_mov_b32 v167, v168
	s_delay_alu instid0(VALU_DEP_2) | instskip(SKIP_1) | instid1(VALU_DEP_3)
	v_pk_fma_f32 v[170:171], v[168:169], v[58:59], v[170:171] op_sel_hi:[1,1,0] neg_lo:[0,0,1] neg_hi:[0,0,1]
	v_mul_f32_e32 v168, v169, v162
	v_pk_add_f32 v[80:81], v[80:81], v[172:173] neg_lo:[0,1] neg_hi:[0,1]
	s_delay_alu instid0(VALU_DEP_2) | instskip(NEXT) | instid1(VALU_DEP_1)
	v_pk_fma_f32 v[166:167], v[166:167], v[58:59], v[168:169] op_sel_hi:[1,1,0]
	v_mov_b32_e32 v171, v167
	ds_load_2addr_b64 v[166:169], v196 offset0:20 offset1:21
	v_pk_add_f32 v[76:77], v[76:77], v[170:171] neg_lo:[0,1] neg_hi:[0,1]
	s_wait_dscnt 0x0
	v_pk_mul_f32 v[170:171], v[166:167], v[164:165] op_sel:[0,1]
	s_delay_alu instid0(VALU_DEP_1) | instskip(SKIP_1) | instid1(VALU_DEP_1)
	v_pk_fma_f32 v[172:173], v[166:167], v[162:163], v[170:171] op_sel:[0,0,1] op_sel_hi:[1,1,0] neg_lo:[0,0,1] neg_hi:[0,0,1]
	v_pk_fma_f32 v[166:167], v[166:167], v[162:163], v[170:171] op_sel:[0,0,1] op_sel_hi:[1,0,0]
	v_mov_b32_e32 v173, v167
	v_pk_mul_f32 v[166:167], v[168:169], v[164:165] op_sel:[0,1]
	s_delay_alu instid0(VALU_DEP_1) | instskip(SKIP_1) | instid1(VALU_DEP_1)
	v_pk_fma_f32 v[170:171], v[168:169], v[162:163], v[166:167] op_sel:[0,0,1] op_sel_hi:[1,1,0] neg_lo:[0,0,1] neg_hi:[0,0,1]
	v_pk_fma_f32 v[166:167], v[168:169], v[162:163], v[166:167] op_sel:[0,0,1] op_sel_hi:[1,0,0]
	v_mov_b32_e32 v171, v167
	ds_load_2addr_b64 v[166:169], v196 offset0:22 offset1:23
	v_pk_add_f32 v[102:103], v[102:103], v[172:173] neg_lo:[0,1] neg_hi:[0,1]
	v_pk_add_f32 v[98:99], v[98:99], v[170:171] neg_lo:[0,1] neg_hi:[0,1]
	s_wait_dscnt 0x0
	v_pk_mul_f32 v[170:171], v[166:167], v[164:165] op_sel:[0,1]
	s_delay_alu instid0(VALU_DEP_1) | instskip(SKIP_1) | instid1(VALU_DEP_1)
	v_pk_fma_f32 v[172:173], v[166:167], v[162:163], v[170:171] op_sel:[0,0,1] op_sel_hi:[1,1,0] neg_lo:[0,0,1] neg_hi:[0,0,1]
	v_pk_fma_f32 v[166:167], v[166:167], v[162:163], v[170:171] op_sel:[0,0,1] op_sel_hi:[1,0,0]
	v_mov_b32_e32 v173, v167
	v_pk_mul_f32 v[166:167], v[168:169], v[164:165] op_sel:[0,1]
	s_delay_alu instid0(VALU_DEP_1) | instskip(SKIP_1) | instid1(VALU_DEP_1)
	v_pk_fma_f32 v[170:171], v[168:169], v[162:163], v[166:167] op_sel:[0,0,1] op_sel_hi:[1,1,0] neg_lo:[0,0,1] neg_hi:[0,0,1]
	v_pk_fma_f32 v[166:167], v[168:169], v[162:163], v[166:167] op_sel:[0,0,1] op_sel_hi:[1,0,0]
	v_mov_b32_e32 v171, v167
	ds_load_2addr_b64 v[166:169], v196 offset0:24 offset1:25
	v_pk_add_f32 v[100:101], v[100:101], v[172:173] neg_lo:[0,1] neg_hi:[0,1]
	v_pk_add_f32 v[96:97], v[96:97], v[170:171] neg_lo:[0,1] neg_hi:[0,1]
	s_wait_dscnt 0x0
	v_dual_mul_f32 v170, v167, v165 :: v_dual_mul_f32 v172, v167, v162
	s_delay_alu instid0(VALU_DEP_1) | instskip(NEXT) | instid1(VALU_DEP_2)
	v_pk_fma_f32 v[170:171], v[166:167], v[58:59], v[170:171] op_sel_hi:[1,1,0] neg_lo:[0,0,1] neg_hi:[0,0,1]
	v_pk_fma_f32 v[166:167], v[166:167], v[58:59], v[172:173] op_sel:[1,0,0] op_sel_hi:[0,1,0]
	s_delay_alu instid0(VALU_DEP_1) | instskip(SKIP_1) | instid1(VALU_DEP_2)
	v_mov_b32_e32 v171, v167
	v_pk_mul_f32 v[166:167], v[168:169], v[164:165] op_sel:[0,1]
	v_pk_add_f32 v[120:121], v[120:121], v[170:171] neg_lo:[0,1] neg_hi:[0,1]
	s_delay_alu instid0(VALU_DEP_2) | instskip(SKIP_1) | instid1(VALU_DEP_1)
	v_pk_fma_f32 v[170:171], v[168:169], v[162:163], v[166:167] op_sel:[0,0,1] op_sel_hi:[1,1,0] neg_lo:[0,0,1] neg_hi:[0,0,1]
	v_pk_fma_f32 v[166:167], v[168:169], v[162:163], v[166:167] op_sel:[0,0,1] op_sel_hi:[1,0,0]
	v_mov_b32_e32 v171, v167
	ds_load_2addr_b64 v[166:169], v196 offset0:26 offset1:27
	v_pk_add_f32 v[116:117], v[116:117], v[170:171] neg_lo:[0,1] neg_hi:[0,1]
	s_wait_dscnt 0x0
	v_pk_mul_f32 v[170:171], v[166:167], v[164:165] op_sel:[0,1]
	s_delay_alu instid0(VALU_DEP_1) | instskip(SKIP_1) | instid1(VALU_DEP_1)
	v_pk_fma_f32 v[172:173], v[166:167], v[162:163], v[170:171] op_sel:[0,0,1] op_sel_hi:[1,1,0] neg_lo:[0,0,1] neg_hi:[0,0,1]
	v_pk_fma_f32 v[166:167], v[166:167], v[162:163], v[170:171] op_sel:[0,0,1] op_sel_hi:[1,0,0]
	v_mov_b32_e32 v173, v167
	v_pk_mul_f32 v[166:167], v[168:169], v[164:165] op_sel:[0,1]
	s_delay_alu instid0(VALU_DEP_2) | instskip(NEXT) | instid1(VALU_DEP_2)
	v_pk_add_f32 v[118:119], v[118:119], v[172:173] neg_lo:[0,1] neg_hi:[0,1]
	v_pk_fma_f32 v[170:171], v[168:169], v[162:163], v[166:167] op_sel:[0,0,1] op_sel_hi:[1,1,0] neg_lo:[0,0,1] neg_hi:[0,0,1]
	v_pk_fma_f32 v[166:167], v[168:169], v[162:163], v[166:167] op_sel:[0,0,1] op_sel_hi:[1,0,0]
	s_delay_alu instid0(VALU_DEP_1) | instskip(SKIP_4) | instid1(VALU_DEP_1)
	v_mov_b32_e32 v171, v167
	ds_load_2addr_b64 v[166:169], v196 offset0:28 offset1:29
	v_pk_add_f32 v[114:115], v[114:115], v[170:171] neg_lo:[0,1] neg_hi:[0,1]
	s_wait_dscnt 0x0
	v_pk_mul_f32 v[170:171], v[166:167], v[164:165] op_sel:[0,1]
	v_pk_fma_f32 v[172:173], v[166:167], v[162:163], v[170:171] op_sel:[0,0,1] op_sel_hi:[1,1,0] neg_lo:[0,0,1] neg_hi:[0,0,1]
	v_pk_fma_f32 v[166:167], v[166:167], v[162:163], v[170:171] op_sel:[0,0,1] op_sel_hi:[1,0,0]
	v_dual_mul_f32 v170, v169, v165 :: v_dual_mov_b32 v166, v169
	s_delay_alu instid0(VALU_DEP_2) | instskip(NEXT) | instid1(VALU_DEP_2)
	v_dual_mov_b32 v173, v167 :: v_dual_mov_b32 v167, v168
	v_pk_fma_f32 v[170:171], v[168:169], v[58:59], v[170:171] op_sel_hi:[1,1,0] neg_lo:[0,0,1] neg_hi:[0,0,1]
	v_mul_f32_e32 v168, v169, v162
	s_delay_alu instid0(VALU_DEP_3) | instskip(NEXT) | instid1(VALU_DEP_2)
	v_pk_add_f32 v[126:127], v[126:127], v[172:173] neg_lo:[0,1] neg_hi:[0,1]
	v_pk_fma_f32 v[166:167], v[166:167], v[58:59], v[168:169] op_sel_hi:[1,1,0]
	s_delay_alu instid0(VALU_DEP_1)
	v_mov_b32_e32 v171, v167
	ds_load_2addr_b64 v[166:169], v196 offset0:30 offset1:31
	v_pk_add_f32 v[124:125], v[124:125], v[170:171] neg_lo:[0,1] neg_hi:[0,1]
	s_wait_dscnt 0x0
	v_pk_mul_f32 v[170:171], v[166:167], v[164:165] op_sel:[0,1]
	v_pk_mul_f32 v[164:165], v[168:169], v[164:165] op_sel:[0,1]
	s_delay_alu instid0(VALU_DEP_2) | instskip(SKIP_1) | instid1(VALU_DEP_1)
	v_pk_fma_f32 v[172:173], v[166:167], v[162:163], v[170:171] op_sel:[0,0,1] op_sel_hi:[1,1,0] neg_lo:[0,0,1] neg_hi:[0,0,1]
	v_pk_fma_f32 v[166:167], v[166:167], v[162:163], v[170:171] op_sel:[0,0,1] op_sel_hi:[1,0,0]
	v_mov_b32_e32 v173, v167
	s_delay_alu instid0(VALU_DEP_4) | instskip(SKIP_1) | instid1(VALU_DEP_1)
	v_pk_fma_f32 v[166:167], v[168:169], v[162:163], v[164:165] op_sel:[0,0,1] op_sel_hi:[1,1,0] neg_lo:[0,0,1] neg_hi:[0,0,1]
	v_pk_fma_f32 v[162:163], v[168:169], v[162:163], v[164:165] op_sel:[0,0,1] op_sel_hi:[1,0,0]
	v_mov_b32_e32 v167, v163
	s_delay_alu instid0(VALU_DEP_4) | instskip(NEXT) | instid1(VALU_DEP_2)
	v_pk_add_f32 v[122:123], v[122:123], v[172:173] neg_lo:[0,1] neg_hi:[0,1]
	v_pk_add_f32 v[128:129], v[128:129], v[166:167] neg_lo:[0,1] neg_hi:[0,1]
.LBB63_145:
	s_or_b32 exec_lo, exec_lo, s1
	s_delay_alu instid0(SALU_CYCLE_1)
	s_mov_b32 s2, exec_lo
	s_wait_dscnt 0x0
	s_barrier_signal -1
	s_barrier_wait -1
	v_cmpx_eq_u32_e32 16, v194
	s_cbranch_execz .LBB63_152
; %bb.146:
	ds_store_b64 v195, v[82:83]
	ds_store_2addr_b64 v196, v[78:79], v[80:81] offset0:17 offset1:18
	ds_store_2addr_b64 v196, v[76:77], v[102:103] offset0:19 offset1:20
	;; [unrolled: 1-line block ×7, first 2 shown]
	ds_store_b64 v196, v[128:129] offset:248
	ds_load_b64 v[162:163], v195
	s_wait_dscnt 0x0
	v_cmp_neq_f32_e32 vcc_lo, 0, v162
	v_cmp_neq_f32_e64 s1, 0, v163
	s_or_b32 s1, vcc_lo, s1
	s_delay_alu instid0(SALU_CYCLE_1)
	s_and_b32 exec_lo, exec_lo, s1
	s_cbranch_execz .LBB63_152
; %bb.147:
	v_cmp_ngt_f32_e64 s1, |v162|, |v163|
                                        ; implicit-def: $vgpr164_vgpr165
	s_and_saveexec_b32 s4, s1
	s_delay_alu instid0(SALU_CYCLE_1)
	s_xor_b32 s1, exec_lo, s4
	s_cbranch_execz .LBB63_149
; %bb.148:
	v_div_scale_f32 v164, null, v163, v163, v162
	v_div_scale_f32 v167, vcc_lo, v162, v163, v162
	s_delay_alu instid0(VALU_DEP_2) | instskip(SKIP_1) | instid1(TRANS32_DEP_1)
	v_rcp_f32_e32 v165, v164
	v_nop
	v_fma_f32 v166, -v164, v165, 1.0
	s_delay_alu instid0(VALU_DEP_1) | instskip(NEXT) | instid1(VALU_DEP_1)
	v_fmac_f32_e32 v165, v166, v165
	v_mul_f32_e32 v166, v167, v165
	s_delay_alu instid0(VALU_DEP_1) | instskip(NEXT) | instid1(VALU_DEP_1)
	v_fma_f32 v168, -v164, v166, v167
	v_fmac_f32_e32 v166, v168, v165
	s_delay_alu instid0(VALU_DEP_1) | instskip(NEXT) | instid1(VALU_DEP_1)
	v_fma_f32 v164, -v164, v166, v167
	v_div_fmas_f32 v164, v164, v165, v166
	s_delay_alu instid0(VALU_DEP_1) | instskip(NEXT) | instid1(VALU_DEP_1)
	v_div_fixup_f32 v164, v164, v163, v162
	v_fmac_f32_e32 v163, v162, v164
	s_delay_alu instid0(VALU_DEP_1) | instskip(SKIP_1) | instid1(VALU_DEP_2)
	v_div_scale_f32 v162, null, v163, v163, 1.0
	v_div_scale_f32 v167, vcc_lo, 1.0, v163, 1.0
	v_rcp_f32_e32 v165, v162
	v_nop
	s_delay_alu instid0(TRANS32_DEP_1) | instskip(NEXT) | instid1(VALU_DEP_1)
	v_fma_f32 v166, -v162, v165, 1.0
	v_fmac_f32_e32 v165, v166, v165
	s_delay_alu instid0(VALU_DEP_1) | instskip(NEXT) | instid1(VALU_DEP_1)
	v_mul_f32_e32 v166, v167, v165
	v_fma_f32 v168, -v162, v166, v167
	s_delay_alu instid0(VALU_DEP_1) | instskip(NEXT) | instid1(VALU_DEP_1)
	v_fmac_f32_e32 v166, v168, v165
	v_fma_f32 v162, -v162, v166, v167
	s_delay_alu instid0(VALU_DEP_1) | instskip(NEXT) | instid1(VALU_DEP_1)
	v_div_fmas_f32 v162, v162, v165, v166
	v_div_fixup_f32 v162, v162, v163, 1.0
	s_delay_alu instid0(VALU_DEP_1)
	v_mul_f32_e32 v164, v164, v162
	v_xor_b32_e32 v165, 0x80000000, v162
                                        ; implicit-def: $vgpr162_vgpr163
.LBB63_149:
	s_and_not1_saveexec_b32 s1, s1
	s_cbranch_execz .LBB63_151
; %bb.150:
	v_div_scale_f32 v164, null, v162, v162, v163
	v_div_scale_f32 v167, vcc_lo, v163, v162, v163
	s_delay_alu instid0(VALU_DEP_2) | instskip(SKIP_1) | instid1(TRANS32_DEP_1)
	v_rcp_f32_e32 v165, v164
	v_nop
	v_fma_f32 v166, -v164, v165, 1.0
	s_delay_alu instid0(VALU_DEP_1) | instskip(NEXT) | instid1(VALU_DEP_1)
	v_fmac_f32_e32 v165, v166, v165
	v_mul_f32_e32 v166, v167, v165
	s_delay_alu instid0(VALU_DEP_1) | instskip(NEXT) | instid1(VALU_DEP_1)
	v_fma_f32 v168, -v164, v166, v167
	v_fmac_f32_e32 v166, v168, v165
	s_delay_alu instid0(VALU_DEP_1) | instskip(NEXT) | instid1(VALU_DEP_1)
	v_fma_f32 v164, -v164, v166, v167
	v_div_fmas_f32 v164, v164, v165, v166
	s_delay_alu instid0(VALU_DEP_1) | instskip(NEXT) | instid1(VALU_DEP_1)
	v_div_fixup_f32 v165, v164, v162, v163
	v_fmac_f32_e32 v162, v163, v165
	s_delay_alu instid0(VALU_DEP_1) | instskip(NEXT) | instid1(VALU_DEP_1)
	v_div_scale_f32 v163, null, v162, v162, 1.0
	v_rcp_f32_e32 v164, v163
	v_nop
	s_delay_alu instid0(TRANS32_DEP_1) | instskip(NEXT) | instid1(VALU_DEP_1)
	v_fma_f32 v166, -v163, v164, 1.0
	v_fmac_f32_e32 v164, v166, v164
	v_div_scale_f32 v166, vcc_lo, 1.0, v162, 1.0
	s_delay_alu instid0(VALU_DEP_1) | instskip(NEXT) | instid1(VALU_DEP_1)
	v_mul_f32_e32 v167, v166, v164
	v_fma_f32 v168, -v163, v167, v166
	s_delay_alu instid0(VALU_DEP_1) | instskip(NEXT) | instid1(VALU_DEP_1)
	v_fmac_f32_e32 v167, v168, v164
	v_fma_f32 v163, -v163, v167, v166
	s_delay_alu instid0(VALU_DEP_1) | instskip(NEXT) | instid1(VALU_DEP_1)
	v_div_fmas_f32 v163, v163, v164, v167
	v_div_fixup_f32 v164, v163, v162, 1.0
	s_delay_alu instid0(VALU_DEP_1)
	v_mul_f32_e64 v165, v165, -v164
.LBB63_151:
	s_or_b32 exec_lo, exec_lo, s1
	ds_store_b64 v195, v[164:165]
.LBB63_152:
	s_or_b32 exec_lo, exec_lo, s2
	s_wait_dscnt 0x0
	s_barrier_signal -1
	s_barrier_wait -1
	ds_load_b64 v[162:163], v195
	s_mov_b32 s1, exec_lo
	v_cmpx_lt_u32_e32 16, v194
	s_cbranch_execz .LBB63_154
; %bb.153:
	ds_load_2addr_b64 v[168:171], v196 offset0:17 offset1:18
	s_wait_dscnt 0x1
	v_pk_mul_f32 v[166:167], v[162:163], v[82:83] op_sel:[1,1] op_sel_hi:[0,1]
	s_delay_alu instid0(VALU_DEP_1) | instskip(SKIP_1) | instid1(VALU_DEP_1)
	v_pk_fma_f32 v[164:165], v[162:163], v[82:83], v[166:167] op_sel_hi:[1,0,1] neg_lo:[0,0,1] neg_hi:[0,0,1]
	v_pk_fma_f32 v[166:167], v[162:163], v[82:83], v[166:167] op_sel_hi:[1,0,1]
	v_dual_mov_b32 v82, v164 :: v_dual_mov_b32 v83, v167
	s_wait_dscnt 0x0
	s_delay_alu instid0(VALU_DEP_2) | instskip(NEXT) | instid1(VALU_DEP_1)
	v_pk_mul_f32 v[172:173], v[168:169], v[166:167] op_sel:[0,1]
	v_pk_fma_f32 v[174:175], v[168:169], v[164:165], v[172:173] op_sel:[0,0,1] op_sel_hi:[1,1,0] neg_lo:[0,0,1] neg_hi:[0,0,1]
	v_pk_fma_f32 v[168:169], v[168:169], v[164:165], v[172:173] op_sel:[0,0,1] op_sel_hi:[1,0,0]
	s_delay_alu instid0(VALU_DEP_1) | instskip(SKIP_1) | instid1(VALU_DEP_1)
	v_mov_b32_e32 v175, v169
	v_pk_mul_f32 v[168:169], v[170:171], v[166:167] op_sel:[0,1]
	v_pk_fma_f32 v[172:173], v[170:171], v[164:165], v[168:169] op_sel:[0,0,1] op_sel_hi:[1,1,0] neg_lo:[0,0,1] neg_hi:[0,0,1]
	v_pk_fma_f32 v[168:169], v[170:171], v[164:165], v[168:169] op_sel:[0,0,1] op_sel_hi:[1,0,0]
	s_delay_alu instid0(VALU_DEP_1)
	v_mov_b32_e32 v173, v169
	ds_load_2addr_b64 v[168:171], v196 offset0:19 offset1:20
	v_pk_add_f32 v[78:79], v[78:79], v[174:175] neg_lo:[0,1] neg_hi:[0,1]
	v_pk_add_f32 v[80:81], v[80:81], v[172:173] neg_lo:[0,1] neg_hi:[0,1]
	s_wait_dscnt 0x0
	v_pk_mul_f32 v[172:173], v[168:169], v[166:167] op_sel:[0,1]
	s_delay_alu instid0(VALU_DEP_1) | instskip(SKIP_2) | instid1(VALU_DEP_2)
	v_pk_fma_f32 v[174:175], v[168:169], v[164:165], v[172:173] op_sel:[0,0,1] op_sel_hi:[1,1,0] neg_lo:[0,0,1] neg_hi:[0,0,1]
	v_pk_fma_f32 v[168:169], v[168:169], v[164:165], v[172:173] op_sel:[0,0,1] op_sel_hi:[1,0,0]
	v_dual_mul_f32 v172, v171, v167 :: v_dual_mov_b32 v168, v171
	v_dual_mov_b32 v175, v169 :: v_dual_mov_b32 v169, v170
	s_delay_alu instid0(VALU_DEP_2) | instskip(SKIP_1) | instid1(VALU_DEP_3)
	v_pk_fma_f32 v[172:173], v[170:171], v[82:83], v[172:173] op_sel_hi:[1,1,0] neg_lo:[0,0,1] neg_hi:[0,0,1]
	v_mul_f32_e32 v170, v171, v164
	v_pk_add_f32 v[76:77], v[76:77], v[174:175] neg_lo:[0,1] neg_hi:[0,1]
	s_delay_alu instid0(VALU_DEP_2) | instskip(NEXT) | instid1(VALU_DEP_1)
	v_pk_fma_f32 v[168:169], v[168:169], v[82:83], v[170:171] op_sel_hi:[1,1,0]
	v_mov_b32_e32 v173, v169
	ds_load_2addr_b64 v[168:171], v196 offset0:21 offset1:22
	v_pk_add_f32 v[102:103], v[102:103], v[172:173] neg_lo:[0,1] neg_hi:[0,1]
	s_wait_dscnt 0x0
	v_pk_mul_f32 v[172:173], v[168:169], v[166:167] op_sel:[0,1]
	s_delay_alu instid0(VALU_DEP_1) | instskip(SKIP_1) | instid1(VALU_DEP_1)
	v_pk_fma_f32 v[174:175], v[168:169], v[164:165], v[172:173] op_sel:[0,0,1] op_sel_hi:[1,1,0] neg_lo:[0,0,1] neg_hi:[0,0,1]
	v_pk_fma_f32 v[168:169], v[168:169], v[164:165], v[172:173] op_sel:[0,0,1] op_sel_hi:[1,0,0]
	v_mov_b32_e32 v175, v169
	v_pk_mul_f32 v[168:169], v[170:171], v[166:167] op_sel:[0,1]
	s_delay_alu instid0(VALU_DEP_1) | instskip(SKIP_1) | instid1(VALU_DEP_1)
	v_pk_fma_f32 v[172:173], v[170:171], v[164:165], v[168:169] op_sel:[0,0,1] op_sel_hi:[1,1,0] neg_lo:[0,0,1] neg_hi:[0,0,1]
	v_pk_fma_f32 v[168:169], v[170:171], v[164:165], v[168:169] op_sel:[0,0,1] op_sel_hi:[1,0,0]
	v_mov_b32_e32 v173, v169
	ds_load_2addr_b64 v[168:171], v196 offset0:23 offset1:24
	v_pk_add_f32 v[98:99], v[98:99], v[174:175] neg_lo:[0,1] neg_hi:[0,1]
	v_pk_add_f32 v[100:101], v[100:101], v[172:173] neg_lo:[0,1] neg_hi:[0,1]
	s_wait_dscnt 0x0
	v_pk_mul_f32 v[172:173], v[168:169], v[166:167] op_sel:[0,1]
	s_delay_alu instid0(VALU_DEP_1) | instskip(SKIP_1) | instid1(VALU_DEP_1)
	v_pk_fma_f32 v[174:175], v[168:169], v[164:165], v[172:173] op_sel:[0,0,1] op_sel_hi:[1,1,0] neg_lo:[0,0,1] neg_hi:[0,0,1]
	v_pk_fma_f32 v[168:169], v[168:169], v[164:165], v[172:173] op_sel:[0,0,1] op_sel_hi:[1,0,0]
	v_mov_b32_e32 v175, v169
	v_pk_mul_f32 v[168:169], v[170:171], v[166:167] op_sel:[0,1]
	s_delay_alu instid0(VALU_DEP_1) | instskip(SKIP_1) | instid1(VALU_DEP_1)
	v_pk_fma_f32 v[172:173], v[170:171], v[164:165], v[168:169] op_sel:[0,0,1] op_sel_hi:[1,1,0] neg_lo:[0,0,1] neg_hi:[0,0,1]
	v_pk_fma_f32 v[168:169], v[170:171], v[164:165], v[168:169] op_sel:[0,0,1] op_sel_hi:[1,0,0]
	v_mov_b32_e32 v173, v169
	ds_load_2addr_b64 v[168:171], v196 offset0:25 offset1:26
	v_pk_add_f32 v[96:97], v[96:97], v[174:175] neg_lo:[0,1] neg_hi:[0,1]
	v_pk_add_f32 v[120:121], v[120:121], v[172:173] neg_lo:[0,1] neg_hi:[0,1]
	s_wait_dscnt 0x0
	v_dual_mul_f32 v172, v169, v167 :: v_dual_mul_f32 v174, v169, v164
	s_delay_alu instid0(VALU_DEP_1) | instskip(NEXT) | instid1(VALU_DEP_2)
	v_pk_fma_f32 v[172:173], v[168:169], v[82:83], v[172:173] op_sel_hi:[1,1,0] neg_lo:[0,0,1] neg_hi:[0,0,1]
	v_pk_fma_f32 v[168:169], v[168:169], v[82:83], v[174:175] op_sel:[1,0,0] op_sel_hi:[0,1,0]
	s_delay_alu instid0(VALU_DEP_1) | instskip(SKIP_1) | instid1(VALU_DEP_2)
	v_mov_b32_e32 v173, v169
	v_pk_mul_f32 v[168:169], v[170:171], v[166:167] op_sel:[0,1]
	v_pk_add_f32 v[116:117], v[116:117], v[172:173] neg_lo:[0,1] neg_hi:[0,1]
	s_delay_alu instid0(VALU_DEP_2) | instskip(SKIP_1) | instid1(VALU_DEP_1)
	v_pk_fma_f32 v[172:173], v[170:171], v[164:165], v[168:169] op_sel:[0,0,1] op_sel_hi:[1,1,0] neg_lo:[0,0,1] neg_hi:[0,0,1]
	v_pk_fma_f32 v[168:169], v[170:171], v[164:165], v[168:169] op_sel:[0,0,1] op_sel_hi:[1,0,0]
	v_mov_b32_e32 v173, v169
	ds_load_2addr_b64 v[168:171], v196 offset0:27 offset1:28
	v_pk_add_f32 v[118:119], v[118:119], v[172:173] neg_lo:[0,1] neg_hi:[0,1]
	s_wait_dscnt 0x0
	v_pk_mul_f32 v[172:173], v[168:169], v[166:167] op_sel:[0,1]
	s_delay_alu instid0(VALU_DEP_1) | instskip(SKIP_1) | instid1(VALU_DEP_1)
	v_pk_fma_f32 v[174:175], v[168:169], v[164:165], v[172:173] op_sel:[0,0,1] op_sel_hi:[1,1,0] neg_lo:[0,0,1] neg_hi:[0,0,1]
	v_pk_fma_f32 v[168:169], v[168:169], v[164:165], v[172:173] op_sel:[0,0,1] op_sel_hi:[1,0,0]
	v_mov_b32_e32 v175, v169
	v_pk_mul_f32 v[168:169], v[170:171], v[166:167] op_sel:[0,1]
	s_delay_alu instid0(VALU_DEP_2) | instskip(NEXT) | instid1(VALU_DEP_2)
	v_pk_add_f32 v[114:115], v[114:115], v[174:175] neg_lo:[0,1] neg_hi:[0,1]
	v_pk_fma_f32 v[172:173], v[170:171], v[164:165], v[168:169] op_sel:[0,0,1] op_sel_hi:[1,1,0] neg_lo:[0,0,1] neg_hi:[0,0,1]
	v_pk_fma_f32 v[168:169], v[170:171], v[164:165], v[168:169] op_sel:[0,0,1] op_sel_hi:[1,0,0]
	s_delay_alu instid0(VALU_DEP_1) | instskip(SKIP_4) | instid1(VALU_DEP_1)
	v_mov_b32_e32 v173, v169
	ds_load_2addr_b64 v[168:171], v196 offset0:29 offset1:30
	v_pk_add_f32 v[126:127], v[126:127], v[172:173] neg_lo:[0,1] neg_hi:[0,1]
	s_wait_dscnt 0x0
	v_pk_mul_f32 v[172:173], v[168:169], v[166:167] op_sel:[0,1]
	v_pk_fma_f32 v[174:175], v[168:169], v[164:165], v[172:173] op_sel:[0,0,1] op_sel_hi:[1,1,0] neg_lo:[0,0,1] neg_hi:[0,0,1]
	v_pk_fma_f32 v[168:169], v[168:169], v[164:165], v[172:173] op_sel:[0,0,1] op_sel_hi:[1,0,0]
	v_dual_mul_f32 v172, v171, v167 :: v_dual_mov_b32 v168, v171
	s_delay_alu instid0(VALU_DEP_2) | instskip(NEXT) | instid1(VALU_DEP_2)
	v_dual_mov_b32 v175, v169 :: v_dual_mov_b32 v169, v170
	v_pk_fma_f32 v[172:173], v[170:171], v[82:83], v[172:173] op_sel_hi:[1,1,0] neg_lo:[0,0,1] neg_hi:[0,0,1]
	v_mul_f32_e32 v170, v171, v164
	s_delay_alu instid0(VALU_DEP_3) | instskip(NEXT) | instid1(VALU_DEP_2)
	v_pk_add_f32 v[124:125], v[124:125], v[174:175] neg_lo:[0,1] neg_hi:[0,1]
	v_pk_fma_f32 v[168:169], v[168:169], v[82:83], v[170:171] op_sel_hi:[1,1,0]
	s_delay_alu instid0(VALU_DEP_1) | instskip(SKIP_4) | instid1(VALU_DEP_1)
	v_mov_b32_e32 v173, v169
	ds_load_b64 v[168:169], v196 offset:248
	v_pk_add_f32 v[122:123], v[122:123], v[172:173] neg_lo:[0,1] neg_hi:[0,1]
	s_wait_dscnt 0x0
	v_pk_mul_f32 v[166:167], v[168:169], v[166:167] op_sel:[0,1]
	v_pk_fma_f32 v[170:171], v[168:169], v[164:165], v[166:167] op_sel:[0,0,1] op_sel_hi:[1,1,0] neg_lo:[0,0,1] neg_hi:[0,0,1]
	v_pk_fma_f32 v[164:165], v[168:169], v[164:165], v[166:167] op_sel:[0,0,1] op_sel_hi:[1,0,0]
	s_delay_alu instid0(VALU_DEP_1) | instskip(NEXT) | instid1(VALU_DEP_1)
	v_mov_b32_e32 v171, v165
	v_pk_add_f32 v[128:129], v[128:129], v[170:171] neg_lo:[0,1] neg_hi:[0,1]
.LBB63_154:
	s_or_b32 exec_lo, exec_lo, s1
	s_delay_alu instid0(SALU_CYCLE_1)
	s_mov_b32 s2, exec_lo
	s_wait_dscnt 0x0
	s_barrier_signal -1
	s_barrier_wait -1
	v_cmpx_eq_u32_e32 17, v194
	s_cbranch_execz .LBB63_161
; %bb.155:
	v_dual_mov_b32 v164, v80 :: v_dual_mov_b32 v165, v81
	v_dual_mov_b32 v166, v76 :: v_dual_mov_b32 v167, v77
	;; [unrolled: 1-line block ×4, first 2 shown]
	ds_store_b64 v195, v[78:79]
	ds_store_2addr_b64 v196, v[164:165], v[166:167] offset0:18 offset1:19
	ds_store_2addr_b64 v196, v[168:169], v[170:171] offset0:20 offset1:21
	v_dual_mov_b32 v164, v100 :: v_dual_mov_b32 v165, v101
	v_dual_mov_b32 v166, v96 :: v_dual_mov_b32 v167, v97
	;; [unrolled: 1-line block ×9, first 2 shown]
	ds_store_2addr_b64 v196, v[164:165], v[166:167] offset0:22 offset1:23
	ds_store_2addr_b64 v196, v[168:169], v[170:171] offset0:24 offset1:25
	;; [unrolled: 1-line block ×5, first 2 shown]
	ds_load_b64 v[164:165], v195
	s_wait_dscnt 0x0
	v_cmp_neq_f32_e32 vcc_lo, 0, v164
	v_cmp_neq_f32_e64 s1, 0, v165
	s_or_b32 s1, vcc_lo, s1
	s_delay_alu instid0(SALU_CYCLE_1)
	s_and_b32 exec_lo, exec_lo, s1
	s_cbranch_execz .LBB63_161
; %bb.156:
	v_cmp_ngt_f32_e64 s1, |v164|, |v165|
                                        ; implicit-def: $vgpr166_vgpr167
	s_and_saveexec_b32 s4, s1
	s_delay_alu instid0(SALU_CYCLE_1)
	s_xor_b32 s1, exec_lo, s4
	s_cbranch_execz .LBB63_158
; %bb.157:
	v_div_scale_f32 v166, null, v165, v165, v164
	v_div_scale_f32 v169, vcc_lo, v164, v165, v164
	s_delay_alu instid0(VALU_DEP_2) | instskip(SKIP_1) | instid1(TRANS32_DEP_1)
	v_rcp_f32_e32 v167, v166
	v_nop
	v_fma_f32 v168, -v166, v167, 1.0
	s_delay_alu instid0(VALU_DEP_1) | instskip(NEXT) | instid1(VALU_DEP_1)
	v_fmac_f32_e32 v167, v168, v167
	v_mul_f32_e32 v168, v169, v167
	s_delay_alu instid0(VALU_DEP_1) | instskip(NEXT) | instid1(VALU_DEP_1)
	v_fma_f32 v170, -v166, v168, v169
	v_fmac_f32_e32 v168, v170, v167
	s_delay_alu instid0(VALU_DEP_1) | instskip(NEXT) | instid1(VALU_DEP_1)
	v_fma_f32 v166, -v166, v168, v169
	v_div_fmas_f32 v166, v166, v167, v168
	s_delay_alu instid0(VALU_DEP_1) | instskip(NEXT) | instid1(VALU_DEP_1)
	v_div_fixup_f32 v166, v166, v165, v164
	v_fmac_f32_e32 v165, v164, v166
	s_delay_alu instid0(VALU_DEP_1) | instskip(SKIP_1) | instid1(VALU_DEP_2)
	v_div_scale_f32 v164, null, v165, v165, 1.0
	v_div_scale_f32 v169, vcc_lo, 1.0, v165, 1.0
	v_rcp_f32_e32 v167, v164
	v_nop
	s_delay_alu instid0(TRANS32_DEP_1) | instskip(NEXT) | instid1(VALU_DEP_1)
	v_fma_f32 v168, -v164, v167, 1.0
	v_fmac_f32_e32 v167, v168, v167
	s_delay_alu instid0(VALU_DEP_1) | instskip(NEXT) | instid1(VALU_DEP_1)
	v_mul_f32_e32 v168, v169, v167
	v_fma_f32 v170, -v164, v168, v169
	s_delay_alu instid0(VALU_DEP_1) | instskip(NEXT) | instid1(VALU_DEP_1)
	v_fmac_f32_e32 v168, v170, v167
	v_fma_f32 v164, -v164, v168, v169
	s_delay_alu instid0(VALU_DEP_1) | instskip(NEXT) | instid1(VALU_DEP_1)
	v_div_fmas_f32 v164, v164, v167, v168
	v_div_fixup_f32 v164, v164, v165, 1.0
	s_delay_alu instid0(VALU_DEP_1)
	v_mul_f32_e32 v166, v166, v164
	v_xor_b32_e32 v167, 0x80000000, v164
                                        ; implicit-def: $vgpr164_vgpr165
.LBB63_158:
	s_and_not1_saveexec_b32 s1, s1
	s_cbranch_execz .LBB63_160
; %bb.159:
	v_div_scale_f32 v166, null, v164, v164, v165
	v_div_scale_f32 v169, vcc_lo, v165, v164, v165
	s_delay_alu instid0(VALU_DEP_2) | instskip(SKIP_1) | instid1(TRANS32_DEP_1)
	v_rcp_f32_e32 v167, v166
	v_nop
	v_fma_f32 v168, -v166, v167, 1.0
	s_delay_alu instid0(VALU_DEP_1) | instskip(NEXT) | instid1(VALU_DEP_1)
	v_fmac_f32_e32 v167, v168, v167
	v_mul_f32_e32 v168, v169, v167
	s_delay_alu instid0(VALU_DEP_1) | instskip(NEXT) | instid1(VALU_DEP_1)
	v_fma_f32 v170, -v166, v168, v169
	v_fmac_f32_e32 v168, v170, v167
	s_delay_alu instid0(VALU_DEP_1) | instskip(NEXT) | instid1(VALU_DEP_1)
	v_fma_f32 v166, -v166, v168, v169
	v_div_fmas_f32 v166, v166, v167, v168
	s_delay_alu instid0(VALU_DEP_1) | instskip(NEXT) | instid1(VALU_DEP_1)
	v_div_fixup_f32 v167, v166, v164, v165
	v_fmac_f32_e32 v164, v165, v167
	s_delay_alu instid0(VALU_DEP_1) | instskip(NEXT) | instid1(VALU_DEP_1)
	v_div_scale_f32 v165, null, v164, v164, 1.0
	v_rcp_f32_e32 v166, v165
	v_nop
	s_delay_alu instid0(TRANS32_DEP_1) | instskip(NEXT) | instid1(VALU_DEP_1)
	v_fma_f32 v168, -v165, v166, 1.0
	v_fmac_f32_e32 v166, v168, v166
	v_div_scale_f32 v168, vcc_lo, 1.0, v164, 1.0
	s_delay_alu instid0(VALU_DEP_1) | instskip(NEXT) | instid1(VALU_DEP_1)
	v_mul_f32_e32 v169, v168, v166
	v_fma_f32 v170, -v165, v169, v168
	s_delay_alu instid0(VALU_DEP_1) | instskip(NEXT) | instid1(VALU_DEP_1)
	v_fmac_f32_e32 v169, v170, v166
	v_fma_f32 v165, -v165, v169, v168
	s_delay_alu instid0(VALU_DEP_1) | instskip(NEXT) | instid1(VALU_DEP_1)
	v_div_fmas_f32 v165, v165, v166, v169
	v_div_fixup_f32 v166, v165, v164, 1.0
	s_delay_alu instid0(VALU_DEP_1)
	v_mul_f32_e64 v167, v167, -v166
.LBB63_160:
	s_or_b32 exec_lo, exec_lo, s1
	ds_store_b64 v195, v[166:167]
.LBB63_161:
	s_or_b32 exec_lo, exec_lo, s2
	s_wait_dscnt 0x0
	s_barrier_signal -1
	s_barrier_wait -1
	ds_load_b64 v[164:165], v195
	s_mov_b32 s1, exec_lo
	v_cmpx_lt_u32_e32 17, v194
	s_cbranch_execz .LBB63_163
; %bb.162:
	s_wait_dscnt 0x0
	v_pk_mul_f32 v[166:167], v[164:165], v[78:79] op_sel:[1,1] op_sel_hi:[0,1]
	s_delay_alu instid0(VALU_DEP_1)
	v_pk_fma_f32 v[170:171], v[164:165], v[78:79], v[166:167] op_sel_hi:[1,0,1] neg_lo:[0,0,1] neg_hi:[0,0,1]
	v_pk_fma_f32 v[172:173], v[164:165], v[78:79], v[166:167] op_sel_hi:[1,0,1]
	ds_load_2addr_b64 v[166:169], v196 offset0:18 offset1:19
	v_dual_mov_b32 v78, v170 :: v_dual_mov_b32 v79, v173
	s_wait_dscnt 0x0
	v_pk_mul_f32 v[174:175], v[166:167], v[172:173] op_sel:[0,1]
	s_delay_alu instid0(VALU_DEP_1) | instskip(SKIP_1) | instid1(VALU_DEP_1)
	v_pk_fma_f32 v[176:177], v[166:167], v[170:171], v[174:175] op_sel:[0,0,1] op_sel_hi:[1,1,0] neg_lo:[0,0,1] neg_hi:[0,0,1]
	v_pk_fma_f32 v[166:167], v[166:167], v[170:171], v[174:175] op_sel:[0,0,1] op_sel_hi:[1,0,0]
	v_mov_b32_e32 v177, v167
	v_pk_mul_f32 v[166:167], v[168:169], v[172:173] op_sel:[0,1]
	s_delay_alu instid0(VALU_DEP_1) | instskip(SKIP_1) | instid1(VALU_DEP_1)
	v_pk_fma_f32 v[174:175], v[168:169], v[170:171], v[166:167] op_sel:[0,0,1] op_sel_hi:[1,1,0] neg_lo:[0,0,1] neg_hi:[0,0,1]
	v_pk_fma_f32 v[166:167], v[168:169], v[170:171], v[166:167] op_sel:[0,0,1] op_sel_hi:[1,0,0]
	v_mov_b32_e32 v175, v167
	ds_load_2addr_b64 v[166:169], v196 offset0:20 offset1:21
	v_pk_add_f32 v[80:81], v[80:81], v[176:177] neg_lo:[0,1] neg_hi:[0,1]
	v_pk_add_f32 v[76:77], v[76:77], v[174:175] neg_lo:[0,1] neg_hi:[0,1]
	s_wait_dscnt 0x0
	v_pk_mul_f32 v[174:175], v[166:167], v[172:173] op_sel:[0,1]
	s_delay_alu instid0(VALU_DEP_1) | instskip(SKIP_2) | instid1(VALU_DEP_2)
	v_pk_fma_f32 v[176:177], v[166:167], v[170:171], v[174:175] op_sel:[0,0,1] op_sel_hi:[1,1,0] neg_lo:[0,0,1] neg_hi:[0,0,1]
	v_pk_fma_f32 v[166:167], v[166:167], v[170:171], v[174:175] op_sel:[0,0,1] op_sel_hi:[1,0,0]
	v_dual_mul_f32 v174, v169, v173 :: v_dual_mov_b32 v166, v169
	v_dual_mov_b32 v177, v167 :: v_dual_mov_b32 v167, v168
	s_delay_alu instid0(VALU_DEP_2) | instskip(SKIP_1) | instid1(VALU_DEP_3)
	v_pk_fma_f32 v[174:175], v[168:169], v[78:79], v[174:175] op_sel_hi:[1,1,0] neg_lo:[0,0,1] neg_hi:[0,0,1]
	v_mul_f32_e32 v168, v169, v170
	v_pk_add_f32 v[102:103], v[102:103], v[176:177] neg_lo:[0,1] neg_hi:[0,1]
	s_delay_alu instid0(VALU_DEP_2) | instskip(NEXT) | instid1(VALU_DEP_1)
	v_pk_fma_f32 v[166:167], v[166:167], v[78:79], v[168:169] op_sel_hi:[1,1,0]
	v_mov_b32_e32 v175, v167
	ds_load_2addr_b64 v[166:169], v196 offset0:22 offset1:23
	v_pk_add_f32 v[98:99], v[98:99], v[174:175] neg_lo:[0,1] neg_hi:[0,1]
	s_wait_dscnt 0x0
	v_pk_mul_f32 v[174:175], v[166:167], v[172:173] op_sel:[0,1]
	s_delay_alu instid0(VALU_DEP_1) | instskip(SKIP_1) | instid1(VALU_DEP_1)
	v_pk_fma_f32 v[176:177], v[166:167], v[170:171], v[174:175] op_sel:[0,0,1] op_sel_hi:[1,1,0] neg_lo:[0,0,1] neg_hi:[0,0,1]
	v_pk_fma_f32 v[166:167], v[166:167], v[170:171], v[174:175] op_sel:[0,0,1] op_sel_hi:[1,0,0]
	v_mov_b32_e32 v177, v167
	v_pk_mul_f32 v[166:167], v[168:169], v[172:173] op_sel:[0,1]
	s_delay_alu instid0(VALU_DEP_1) | instskip(SKIP_1) | instid1(VALU_DEP_1)
	v_pk_fma_f32 v[174:175], v[168:169], v[170:171], v[166:167] op_sel:[0,0,1] op_sel_hi:[1,1,0] neg_lo:[0,0,1] neg_hi:[0,0,1]
	v_pk_fma_f32 v[166:167], v[168:169], v[170:171], v[166:167] op_sel:[0,0,1] op_sel_hi:[1,0,0]
	v_mov_b32_e32 v175, v167
	ds_load_2addr_b64 v[166:169], v196 offset0:24 offset1:25
	v_pk_add_f32 v[100:101], v[100:101], v[176:177] neg_lo:[0,1] neg_hi:[0,1]
	v_pk_add_f32 v[96:97], v[96:97], v[174:175] neg_lo:[0,1] neg_hi:[0,1]
	s_wait_dscnt 0x0
	v_pk_mul_f32 v[174:175], v[166:167], v[172:173] op_sel:[0,1]
	s_delay_alu instid0(VALU_DEP_1) | instskip(SKIP_1) | instid1(VALU_DEP_1)
	v_pk_fma_f32 v[176:177], v[166:167], v[170:171], v[174:175] op_sel:[0,0,1] op_sel_hi:[1,1,0] neg_lo:[0,0,1] neg_hi:[0,0,1]
	v_pk_fma_f32 v[166:167], v[166:167], v[170:171], v[174:175] op_sel:[0,0,1] op_sel_hi:[1,0,0]
	v_mov_b32_e32 v177, v167
	v_pk_mul_f32 v[166:167], v[168:169], v[172:173] op_sel:[0,1]
	s_delay_alu instid0(VALU_DEP_1) | instskip(SKIP_1) | instid1(VALU_DEP_1)
	v_pk_fma_f32 v[174:175], v[168:169], v[170:171], v[166:167] op_sel:[0,0,1] op_sel_hi:[1,1,0] neg_lo:[0,0,1] neg_hi:[0,0,1]
	v_pk_fma_f32 v[166:167], v[168:169], v[170:171], v[166:167] op_sel:[0,0,1] op_sel_hi:[1,0,0]
	v_mov_b32_e32 v175, v167
	ds_load_2addr_b64 v[166:169], v196 offset0:26 offset1:27
	v_pk_add_f32 v[120:121], v[120:121], v[176:177] neg_lo:[0,1] neg_hi:[0,1]
	v_pk_add_f32 v[116:117], v[116:117], v[174:175] neg_lo:[0,1] neg_hi:[0,1]
	s_wait_dscnt 0x0
	v_dual_mul_f32 v174, v167, v173 :: v_dual_mul_f32 v176, v167, v170
	s_delay_alu instid0(VALU_DEP_1) | instskip(NEXT) | instid1(VALU_DEP_2)
	v_pk_fma_f32 v[174:175], v[166:167], v[78:79], v[174:175] op_sel_hi:[1,1,0] neg_lo:[0,0,1] neg_hi:[0,0,1]
	v_pk_fma_f32 v[166:167], v[166:167], v[78:79], v[176:177] op_sel:[1,0,0] op_sel_hi:[0,1,0]
	s_delay_alu instid0(VALU_DEP_1) | instskip(SKIP_1) | instid1(VALU_DEP_2)
	v_mov_b32_e32 v175, v167
	v_pk_mul_f32 v[166:167], v[168:169], v[172:173] op_sel:[0,1]
	v_pk_add_f32 v[118:119], v[118:119], v[174:175] neg_lo:[0,1] neg_hi:[0,1]
	s_delay_alu instid0(VALU_DEP_2) | instskip(SKIP_1) | instid1(VALU_DEP_1)
	v_pk_fma_f32 v[174:175], v[168:169], v[170:171], v[166:167] op_sel:[0,0,1] op_sel_hi:[1,1,0] neg_lo:[0,0,1] neg_hi:[0,0,1]
	v_pk_fma_f32 v[166:167], v[168:169], v[170:171], v[166:167] op_sel:[0,0,1] op_sel_hi:[1,0,0]
	v_mov_b32_e32 v175, v167
	ds_load_2addr_b64 v[166:169], v196 offset0:28 offset1:29
	v_pk_add_f32 v[114:115], v[114:115], v[174:175] neg_lo:[0,1] neg_hi:[0,1]
	s_wait_dscnt 0x0
	v_pk_mul_f32 v[174:175], v[166:167], v[172:173] op_sel:[0,1]
	s_delay_alu instid0(VALU_DEP_1) | instskip(SKIP_1) | instid1(VALU_DEP_1)
	v_pk_fma_f32 v[176:177], v[166:167], v[170:171], v[174:175] op_sel:[0,0,1] op_sel_hi:[1,1,0] neg_lo:[0,0,1] neg_hi:[0,0,1]
	v_pk_fma_f32 v[166:167], v[166:167], v[170:171], v[174:175] op_sel:[0,0,1] op_sel_hi:[1,0,0]
	v_mov_b32_e32 v177, v167
	v_pk_mul_f32 v[166:167], v[168:169], v[172:173] op_sel:[0,1]
	s_delay_alu instid0(VALU_DEP_2) | instskip(NEXT) | instid1(VALU_DEP_2)
	v_pk_add_f32 v[126:127], v[126:127], v[176:177] neg_lo:[0,1] neg_hi:[0,1]
	v_pk_fma_f32 v[174:175], v[168:169], v[170:171], v[166:167] op_sel:[0,0,1] op_sel_hi:[1,1,0] neg_lo:[0,0,1] neg_hi:[0,0,1]
	v_pk_fma_f32 v[166:167], v[168:169], v[170:171], v[166:167] op_sel:[0,0,1] op_sel_hi:[1,0,0]
	s_delay_alu instid0(VALU_DEP_1) | instskip(SKIP_4) | instid1(VALU_DEP_1)
	v_mov_b32_e32 v175, v167
	ds_load_2addr_b64 v[166:169], v196 offset0:30 offset1:31
	v_pk_add_f32 v[124:125], v[124:125], v[174:175] neg_lo:[0,1] neg_hi:[0,1]
	s_wait_dscnt 0x0
	v_pk_mul_f32 v[174:175], v[166:167], v[172:173] op_sel:[0,1]
	v_pk_fma_f32 v[176:177], v[166:167], v[170:171], v[174:175] op_sel:[0,0,1] op_sel_hi:[1,1,0] neg_lo:[0,0,1] neg_hi:[0,0,1]
	v_pk_fma_f32 v[166:167], v[166:167], v[170:171], v[174:175] op_sel:[0,0,1] op_sel_hi:[1,0,0]
	s_delay_alu instid0(VALU_DEP_1) | instskip(SKIP_1) | instid1(VALU_DEP_2)
	v_mov_b32_e32 v177, v167
	v_pk_mul_f32 v[166:167], v[168:169], v[172:173] op_sel:[0,1]
	v_pk_add_f32 v[122:123], v[122:123], v[176:177] neg_lo:[0,1] neg_hi:[0,1]
	s_delay_alu instid0(VALU_DEP_2) | instskip(SKIP_1) | instid1(VALU_DEP_1)
	v_pk_fma_f32 v[172:173], v[168:169], v[170:171], v[166:167] op_sel:[0,0,1] op_sel_hi:[1,1,0] neg_lo:[0,0,1] neg_hi:[0,0,1]
	v_pk_fma_f32 v[166:167], v[168:169], v[170:171], v[166:167] op_sel:[0,0,1] op_sel_hi:[1,0,0]
	v_mov_b32_e32 v173, v167
	s_delay_alu instid0(VALU_DEP_1)
	v_pk_add_f32 v[128:129], v[128:129], v[172:173] neg_lo:[0,1] neg_hi:[0,1]
.LBB63_163:
	s_or_b32 exec_lo, exec_lo, s1
	s_delay_alu instid0(SALU_CYCLE_1)
	s_mov_b32 s2, exec_lo
	s_wait_dscnt 0x0
	s_barrier_signal -1
	s_barrier_wait -1
	v_cmpx_eq_u32_e32 18, v194
	s_cbranch_execz .LBB63_170
; %bb.164:
	ds_store_b64 v195, v[80:81]
	ds_store_2addr_b64 v196, v[76:77], v[102:103] offset0:19 offset1:20
	ds_store_2addr_b64 v196, v[98:99], v[100:101] offset0:21 offset1:22
	;; [unrolled: 1-line block ×6, first 2 shown]
	ds_store_b64 v196, v[128:129] offset:248
	ds_load_b64 v[166:167], v195
	s_wait_dscnt 0x0
	v_cmp_neq_f32_e32 vcc_lo, 0, v166
	v_cmp_neq_f32_e64 s1, 0, v167
	s_or_b32 s1, vcc_lo, s1
	s_delay_alu instid0(SALU_CYCLE_1)
	s_and_b32 exec_lo, exec_lo, s1
	s_cbranch_execz .LBB63_170
; %bb.165:
	v_cmp_ngt_f32_e64 s1, |v166|, |v167|
                                        ; implicit-def: $vgpr168_vgpr169
	s_and_saveexec_b32 s4, s1
	s_delay_alu instid0(SALU_CYCLE_1)
	s_xor_b32 s1, exec_lo, s4
	s_cbranch_execz .LBB63_167
; %bb.166:
	v_div_scale_f32 v168, null, v167, v167, v166
	v_div_scale_f32 v171, vcc_lo, v166, v167, v166
	s_delay_alu instid0(VALU_DEP_2) | instskip(SKIP_1) | instid1(TRANS32_DEP_1)
	v_rcp_f32_e32 v169, v168
	v_nop
	v_fma_f32 v170, -v168, v169, 1.0
	s_delay_alu instid0(VALU_DEP_1) | instskip(NEXT) | instid1(VALU_DEP_1)
	v_fmac_f32_e32 v169, v170, v169
	v_mul_f32_e32 v170, v171, v169
	s_delay_alu instid0(VALU_DEP_1) | instskip(NEXT) | instid1(VALU_DEP_1)
	v_fma_f32 v172, -v168, v170, v171
	v_fmac_f32_e32 v170, v172, v169
	s_delay_alu instid0(VALU_DEP_1) | instskip(NEXT) | instid1(VALU_DEP_1)
	v_fma_f32 v168, -v168, v170, v171
	v_div_fmas_f32 v168, v168, v169, v170
	s_delay_alu instid0(VALU_DEP_1) | instskip(NEXT) | instid1(VALU_DEP_1)
	v_div_fixup_f32 v168, v168, v167, v166
	v_fmac_f32_e32 v167, v166, v168
	s_delay_alu instid0(VALU_DEP_1) | instskip(SKIP_1) | instid1(VALU_DEP_2)
	v_div_scale_f32 v166, null, v167, v167, 1.0
	v_div_scale_f32 v171, vcc_lo, 1.0, v167, 1.0
	v_rcp_f32_e32 v169, v166
	v_nop
	s_delay_alu instid0(TRANS32_DEP_1) | instskip(NEXT) | instid1(VALU_DEP_1)
	v_fma_f32 v170, -v166, v169, 1.0
	v_fmac_f32_e32 v169, v170, v169
	s_delay_alu instid0(VALU_DEP_1) | instskip(NEXT) | instid1(VALU_DEP_1)
	v_mul_f32_e32 v170, v171, v169
	v_fma_f32 v172, -v166, v170, v171
	s_delay_alu instid0(VALU_DEP_1) | instskip(NEXT) | instid1(VALU_DEP_1)
	v_fmac_f32_e32 v170, v172, v169
	v_fma_f32 v166, -v166, v170, v171
	s_delay_alu instid0(VALU_DEP_1) | instskip(NEXT) | instid1(VALU_DEP_1)
	v_div_fmas_f32 v166, v166, v169, v170
	v_div_fixup_f32 v166, v166, v167, 1.0
	s_delay_alu instid0(VALU_DEP_1)
	v_mul_f32_e32 v168, v168, v166
	v_xor_b32_e32 v169, 0x80000000, v166
                                        ; implicit-def: $vgpr166_vgpr167
.LBB63_167:
	s_and_not1_saveexec_b32 s1, s1
	s_cbranch_execz .LBB63_169
; %bb.168:
	v_div_scale_f32 v168, null, v166, v166, v167
	v_div_scale_f32 v171, vcc_lo, v167, v166, v167
	s_delay_alu instid0(VALU_DEP_2) | instskip(SKIP_1) | instid1(TRANS32_DEP_1)
	v_rcp_f32_e32 v169, v168
	v_nop
	v_fma_f32 v170, -v168, v169, 1.0
	s_delay_alu instid0(VALU_DEP_1) | instskip(NEXT) | instid1(VALU_DEP_1)
	v_fmac_f32_e32 v169, v170, v169
	v_mul_f32_e32 v170, v171, v169
	s_delay_alu instid0(VALU_DEP_1) | instskip(NEXT) | instid1(VALU_DEP_1)
	v_fma_f32 v172, -v168, v170, v171
	v_fmac_f32_e32 v170, v172, v169
	s_delay_alu instid0(VALU_DEP_1) | instskip(NEXT) | instid1(VALU_DEP_1)
	v_fma_f32 v168, -v168, v170, v171
	v_div_fmas_f32 v168, v168, v169, v170
	s_delay_alu instid0(VALU_DEP_1) | instskip(NEXT) | instid1(VALU_DEP_1)
	v_div_fixup_f32 v169, v168, v166, v167
	v_fmac_f32_e32 v166, v167, v169
	s_delay_alu instid0(VALU_DEP_1) | instskip(NEXT) | instid1(VALU_DEP_1)
	v_div_scale_f32 v167, null, v166, v166, 1.0
	v_rcp_f32_e32 v168, v167
	v_nop
	s_delay_alu instid0(TRANS32_DEP_1) | instskip(NEXT) | instid1(VALU_DEP_1)
	v_fma_f32 v170, -v167, v168, 1.0
	v_fmac_f32_e32 v168, v170, v168
	v_div_scale_f32 v170, vcc_lo, 1.0, v166, 1.0
	s_delay_alu instid0(VALU_DEP_1) | instskip(NEXT) | instid1(VALU_DEP_1)
	v_mul_f32_e32 v171, v170, v168
	v_fma_f32 v172, -v167, v171, v170
	s_delay_alu instid0(VALU_DEP_1) | instskip(NEXT) | instid1(VALU_DEP_1)
	v_fmac_f32_e32 v171, v172, v168
	v_fma_f32 v167, -v167, v171, v170
	s_delay_alu instid0(VALU_DEP_1) | instskip(NEXT) | instid1(VALU_DEP_1)
	v_div_fmas_f32 v167, v167, v168, v171
	v_div_fixup_f32 v168, v167, v166, 1.0
	s_delay_alu instid0(VALU_DEP_1)
	v_mul_f32_e64 v169, v169, -v168
.LBB63_169:
	s_or_b32 exec_lo, exec_lo, s1
	ds_store_b64 v195, v[168:169]
.LBB63_170:
	s_or_b32 exec_lo, exec_lo, s2
	s_wait_dscnt 0x0
	s_barrier_signal -1
	s_barrier_wait -1
	ds_load_b64 v[166:167], v195
	s_mov_b32 s1, exec_lo
	v_cmpx_lt_u32_e32 18, v194
	s_cbranch_execz .LBB63_172
; %bb.171:
	s_wait_dscnt 0x0
	v_pk_mul_f32 v[168:169], v[166:167], v[80:81] op_sel:[1,1] op_sel_hi:[0,1]
	s_delay_alu instid0(VALU_DEP_1)
	v_pk_fma_f32 v[172:173], v[166:167], v[80:81], v[168:169] op_sel_hi:[1,0,1] neg_lo:[0,0,1] neg_hi:[0,0,1]
	v_pk_fma_f32 v[174:175], v[166:167], v[80:81], v[168:169] op_sel_hi:[1,0,1]
	ds_load_2addr_b64 v[168:171], v196 offset0:19 offset1:20
	v_dual_mov_b32 v80, v172 :: v_dual_mov_b32 v81, v175
	s_wait_dscnt 0x0
	v_pk_mul_f32 v[176:177], v[168:169], v[174:175] op_sel:[0,1]
	s_delay_alu instid0(VALU_DEP_1) | instskip(SKIP_1) | instid1(VALU_DEP_1)
	v_pk_fma_f32 v[178:179], v[168:169], v[172:173], v[176:177] op_sel:[0,0,1] op_sel_hi:[1,1,0] neg_lo:[0,0,1] neg_hi:[0,0,1]
	v_pk_fma_f32 v[168:169], v[168:169], v[172:173], v[176:177] op_sel:[0,0,1] op_sel_hi:[1,0,0]
	v_mov_b32_e32 v179, v169
	v_pk_mul_f32 v[168:169], v[170:171], v[174:175] op_sel:[0,1]
	s_delay_alu instid0(VALU_DEP_1) | instskip(SKIP_1) | instid1(VALU_DEP_1)
	v_pk_fma_f32 v[176:177], v[170:171], v[172:173], v[168:169] op_sel:[0,0,1] op_sel_hi:[1,1,0] neg_lo:[0,0,1] neg_hi:[0,0,1]
	v_pk_fma_f32 v[168:169], v[170:171], v[172:173], v[168:169] op_sel:[0,0,1] op_sel_hi:[1,0,0]
	v_mov_b32_e32 v177, v169
	ds_load_2addr_b64 v[168:171], v196 offset0:21 offset1:22
	v_pk_add_f32 v[76:77], v[76:77], v[178:179] neg_lo:[0,1] neg_hi:[0,1]
	v_pk_add_f32 v[102:103], v[102:103], v[176:177] neg_lo:[0,1] neg_hi:[0,1]
	s_wait_dscnt 0x0
	v_pk_mul_f32 v[176:177], v[168:169], v[174:175] op_sel:[0,1]
	s_delay_alu instid0(VALU_DEP_1) | instskip(SKIP_2) | instid1(VALU_DEP_2)
	v_pk_fma_f32 v[178:179], v[168:169], v[172:173], v[176:177] op_sel:[0,0,1] op_sel_hi:[1,1,0] neg_lo:[0,0,1] neg_hi:[0,0,1]
	v_pk_fma_f32 v[168:169], v[168:169], v[172:173], v[176:177] op_sel:[0,0,1] op_sel_hi:[1,0,0]
	v_dual_mul_f32 v176, v171, v175 :: v_dual_mov_b32 v168, v171
	v_dual_mov_b32 v179, v169 :: v_dual_mov_b32 v169, v170
	s_delay_alu instid0(VALU_DEP_2) | instskip(SKIP_1) | instid1(VALU_DEP_3)
	v_pk_fma_f32 v[176:177], v[170:171], v[80:81], v[176:177] op_sel_hi:[1,1,0] neg_lo:[0,0,1] neg_hi:[0,0,1]
	v_mul_f32_e32 v170, v171, v172
	v_pk_add_f32 v[98:99], v[98:99], v[178:179] neg_lo:[0,1] neg_hi:[0,1]
	s_delay_alu instid0(VALU_DEP_2) | instskip(NEXT) | instid1(VALU_DEP_1)
	v_pk_fma_f32 v[168:169], v[168:169], v[80:81], v[170:171] op_sel_hi:[1,1,0]
	v_mov_b32_e32 v177, v169
	ds_load_2addr_b64 v[168:171], v196 offset0:23 offset1:24
	v_pk_add_f32 v[100:101], v[100:101], v[176:177] neg_lo:[0,1] neg_hi:[0,1]
	s_wait_dscnt 0x0
	v_pk_mul_f32 v[176:177], v[168:169], v[174:175] op_sel:[0,1]
	s_delay_alu instid0(VALU_DEP_1) | instskip(SKIP_1) | instid1(VALU_DEP_1)
	v_pk_fma_f32 v[178:179], v[168:169], v[172:173], v[176:177] op_sel:[0,0,1] op_sel_hi:[1,1,0] neg_lo:[0,0,1] neg_hi:[0,0,1]
	v_pk_fma_f32 v[168:169], v[168:169], v[172:173], v[176:177] op_sel:[0,0,1] op_sel_hi:[1,0,0]
	v_mov_b32_e32 v179, v169
	v_pk_mul_f32 v[168:169], v[170:171], v[174:175] op_sel:[0,1]
	s_delay_alu instid0(VALU_DEP_1) | instskip(SKIP_1) | instid1(VALU_DEP_1)
	v_pk_fma_f32 v[176:177], v[170:171], v[172:173], v[168:169] op_sel:[0,0,1] op_sel_hi:[1,1,0] neg_lo:[0,0,1] neg_hi:[0,0,1]
	v_pk_fma_f32 v[168:169], v[170:171], v[172:173], v[168:169] op_sel:[0,0,1] op_sel_hi:[1,0,0]
	v_mov_b32_e32 v177, v169
	ds_load_2addr_b64 v[168:171], v196 offset0:25 offset1:26
	v_pk_add_f32 v[96:97], v[96:97], v[178:179] neg_lo:[0,1] neg_hi:[0,1]
	v_pk_add_f32 v[120:121], v[120:121], v[176:177] neg_lo:[0,1] neg_hi:[0,1]
	s_wait_dscnt 0x0
	v_pk_mul_f32 v[176:177], v[168:169], v[174:175] op_sel:[0,1]
	s_delay_alu instid0(VALU_DEP_1) | instskip(SKIP_1) | instid1(VALU_DEP_1)
	v_pk_fma_f32 v[178:179], v[168:169], v[172:173], v[176:177] op_sel:[0,0,1] op_sel_hi:[1,1,0] neg_lo:[0,0,1] neg_hi:[0,0,1]
	v_pk_fma_f32 v[168:169], v[168:169], v[172:173], v[176:177] op_sel:[0,0,1] op_sel_hi:[1,0,0]
	v_mov_b32_e32 v179, v169
	v_pk_mul_f32 v[168:169], v[170:171], v[174:175] op_sel:[0,1]
	s_delay_alu instid0(VALU_DEP_1) | instskip(SKIP_1) | instid1(VALU_DEP_1)
	v_pk_fma_f32 v[176:177], v[170:171], v[172:173], v[168:169] op_sel:[0,0,1] op_sel_hi:[1,1,0] neg_lo:[0,0,1] neg_hi:[0,0,1]
	v_pk_fma_f32 v[168:169], v[170:171], v[172:173], v[168:169] op_sel:[0,0,1] op_sel_hi:[1,0,0]
	v_mov_b32_e32 v177, v169
	ds_load_2addr_b64 v[168:171], v196 offset0:27 offset1:28
	v_pk_add_f32 v[116:117], v[116:117], v[178:179] neg_lo:[0,1] neg_hi:[0,1]
	v_pk_add_f32 v[118:119], v[118:119], v[176:177] neg_lo:[0,1] neg_hi:[0,1]
	s_wait_dscnt 0x0
	v_dual_mul_f32 v176, v169, v175 :: v_dual_mul_f32 v178, v169, v172
	s_delay_alu instid0(VALU_DEP_1) | instskip(NEXT) | instid1(VALU_DEP_2)
	v_pk_fma_f32 v[176:177], v[168:169], v[80:81], v[176:177] op_sel_hi:[1,1,0] neg_lo:[0,0,1] neg_hi:[0,0,1]
	v_pk_fma_f32 v[168:169], v[168:169], v[80:81], v[178:179] op_sel:[1,0,0] op_sel_hi:[0,1,0]
	s_delay_alu instid0(VALU_DEP_1) | instskip(SKIP_1) | instid1(VALU_DEP_2)
	v_mov_b32_e32 v177, v169
	v_pk_mul_f32 v[168:169], v[170:171], v[174:175] op_sel:[0,1]
	v_pk_add_f32 v[114:115], v[114:115], v[176:177] neg_lo:[0,1] neg_hi:[0,1]
	s_delay_alu instid0(VALU_DEP_2) | instskip(SKIP_1) | instid1(VALU_DEP_1)
	v_pk_fma_f32 v[176:177], v[170:171], v[172:173], v[168:169] op_sel:[0,0,1] op_sel_hi:[1,1,0] neg_lo:[0,0,1] neg_hi:[0,0,1]
	v_pk_fma_f32 v[168:169], v[170:171], v[172:173], v[168:169] op_sel:[0,0,1] op_sel_hi:[1,0,0]
	v_mov_b32_e32 v177, v169
	ds_load_2addr_b64 v[168:171], v196 offset0:29 offset1:30
	v_pk_add_f32 v[126:127], v[126:127], v[176:177] neg_lo:[0,1] neg_hi:[0,1]
	s_wait_dscnt 0x0
	v_pk_mul_f32 v[176:177], v[168:169], v[174:175] op_sel:[0,1]
	s_delay_alu instid0(VALU_DEP_1) | instskip(SKIP_1) | instid1(VALU_DEP_1)
	v_pk_fma_f32 v[178:179], v[168:169], v[172:173], v[176:177] op_sel:[0,0,1] op_sel_hi:[1,1,0] neg_lo:[0,0,1] neg_hi:[0,0,1]
	v_pk_fma_f32 v[168:169], v[168:169], v[172:173], v[176:177] op_sel:[0,0,1] op_sel_hi:[1,0,0]
	v_mov_b32_e32 v179, v169
	v_pk_mul_f32 v[168:169], v[170:171], v[174:175] op_sel:[0,1]
	s_delay_alu instid0(VALU_DEP_2) | instskip(NEXT) | instid1(VALU_DEP_2)
	v_pk_add_f32 v[124:125], v[124:125], v[178:179] neg_lo:[0,1] neg_hi:[0,1]
	v_pk_fma_f32 v[176:177], v[170:171], v[172:173], v[168:169] op_sel:[0,0,1] op_sel_hi:[1,1,0] neg_lo:[0,0,1] neg_hi:[0,0,1]
	v_pk_fma_f32 v[168:169], v[170:171], v[172:173], v[168:169] op_sel:[0,0,1] op_sel_hi:[1,0,0]
	s_delay_alu instid0(VALU_DEP_1) | instskip(SKIP_4) | instid1(VALU_DEP_1)
	v_mov_b32_e32 v177, v169
	ds_load_b64 v[168:169], v196 offset:248
	v_pk_add_f32 v[122:123], v[122:123], v[176:177] neg_lo:[0,1] neg_hi:[0,1]
	s_wait_dscnt 0x0
	v_pk_mul_f32 v[170:171], v[168:169], v[174:175] op_sel:[0,1]
	v_pk_fma_f32 v[174:175], v[168:169], v[172:173], v[170:171] op_sel:[0,0,1] op_sel_hi:[1,1,0] neg_lo:[0,0,1] neg_hi:[0,0,1]
	v_pk_fma_f32 v[168:169], v[168:169], v[172:173], v[170:171] op_sel:[0,0,1] op_sel_hi:[1,0,0]
	s_delay_alu instid0(VALU_DEP_1) | instskip(NEXT) | instid1(VALU_DEP_1)
	v_mov_b32_e32 v175, v169
	v_pk_add_f32 v[128:129], v[128:129], v[174:175] neg_lo:[0,1] neg_hi:[0,1]
.LBB63_172:
	s_or_b32 exec_lo, exec_lo, s1
	s_delay_alu instid0(SALU_CYCLE_1)
	s_mov_b32 s2, exec_lo
	s_wait_dscnt 0x0
	s_barrier_signal -1
	s_barrier_wait -1
	v_cmpx_eq_u32_e32 19, v194
	s_cbranch_execz .LBB63_179
; %bb.173:
	v_dual_mov_b32 v168, v102 :: v_dual_mov_b32 v169, v103
	v_dual_mov_b32 v170, v98 :: v_dual_mov_b32 v171, v99
	ds_store_b64 v195, v[76:77]
	ds_store_2addr_b64 v196, v[168:169], v[170:171] offset0:20 offset1:21
	v_dual_mov_b32 v168, v100 :: v_dual_mov_b32 v169, v101
	v_dual_mov_b32 v170, v96 :: v_dual_mov_b32 v171, v97
	ds_store_2addr_b64 v196, v[168:169], v[170:171] offset0:22 offset1:23
	v_dual_mov_b32 v168, v120 :: v_dual_mov_b32 v169, v121
	v_dual_mov_b32 v170, v116 :: v_dual_mov_b32 v171, v117
	;; [unrolled: 3-line block ×4, first 2 shown]
	ds_store_2addr_b64 v196, v[168:169], v[170:171] offset0:28 offset1:29
	v_dual_mov_b32 v168, v122 :: v_dual_mov_b32 v169, v123
	ds_store_2addr_b64 v196, v[168:169], v[128:129] offset0:30 offset1:31
	ds_load_b64 v[168:169], v195
	s_wait_dscnt 0x0
	v_cmp_neq_f32_e32 vcc_lo, 0, v168
	v_cmp_neq_f32_e64 s1, 0, v169
	s_or_b32 s1, vcc_lo, s1
	s_delay_alu instid0(SALU_CYCLE_1)
	s_and_b32 exec_lo, exec_lo, s1
	s_cbranch_execz .LBB63_179
; %bb.174:
	v_cmp_ngt_f32_e64 s1, |v168|, |v169|
                                        ; implicit-def: $vgpr170_vgpr171
	s_and_saveexec_b32 s4, s1
	s_delay_alu instid0(SALU_CYCLE_1)
	s_xor_b32 s1, exec_lo, s4
	s_cbranch_execz .LBB63_176
; %bb.175:
	v_div_scale_f32 v170, null, v169, v169, v168
	v_div_scale_f32 v173, vcc_lo, v168, v169, v168
	s_delay_alu instid0(VALU_DEP_2) | instskip(SKIP_1) | instid1(TRANS32_DEP_1)
	v_rcp_f32_e32 v171, v170
	v_nop
	v_fma_f32 v172, -v170, v171, 1.0
	s_delay_alu instid0(VALU_DEP_1) | instskip(NEXT) | instid1(VALU_DEP_1)
	v_fmac_f32_e32 v171, v172, v171
	v_mul_f32_e32 v172, v173, v171
	s_delay_alu instid0(VALU_DEP_1) | instskip(NEXT) | instid1(VALU_DEP_1)
	v_fma_f32 v174, -v170, v172, v173
	v_fmac_f32_e32 v172, v174, v171
	s_delay_alu instid0(VALU_DEP_1) | instskip(NEXT) | instid1(VALU_DEP_1)
	v_fma_f32 v170, -v170, v172, v173
	v_div_fmas_f32 v170, v170, v171, v172
	s_delay_alu instid0(VALU_DEP_1) | instskip(NEXT) | instid1(VALU_DEP_1)
	v_div_fixup_f32 v170, v170, v169, v168
	v_fmac_f32_e32 v169, v168, v170
	s_delay_alu instid0(VALU_DEP_1) | instskip(SKIP_1) | instid1(VALU_DEP_2)
	v_div_scale_f32 v168, null, v169, v169, 1.0
	v_div_scale_f32 v173, vcc_lo, 1.0, v169, 1.0
	v_rcp_f32_e32 v171, v168
	v_nop
	s_delay_alu instid0(TRANS32_DEP_1) | instskip(NEXT) | instid1(VALU_DEP_1)
	v_fma_f32 v172, -v168, v171, 1.0
	v_fmac_f32_e32 v171, v172, v171
	s_delay_alu instid0(VALU_DEP_1) | instskip(NEXT) | instid1(VALU_DEP_1)
	v_mul_f32_e32 v172, v173, v171
	v_fma_f32 v174, -v168, v172, v173
	s_delay_alu instid0(VALU_DEP_1) | instskip(NEXT) | instid1(VALU_DEP_1)
	v_fmac_f32_e32 v172, v174, v171
	v_fma_f32 v168, -v168, v172, v173
	s_delay_alu instid0(VALU_DEP_1) | instskip(NEXT) | instid1(VALU_DEP_1)
	v_div_fmas_f32 v168, v168, v171, v172
	v_div_fixup_f32 v168, v168, v169, 1.0
	s_delay_alu instid0(VALU_DEP_1)
	v_mul_f32_e32 v170, v170, v168
	v_xor_b32_e32 v171, 0x80000000, v168
                                        ; implicit-def: $vgpr168_vgpr169
.LBB63_176:
	s_and_not1_saveexec_b32 s1, s1
	s_cbranch_execz .LBB63_178
; %bb.177:
	v_div_scale_f32 v170, null, v168, v168, v169
	v_div_scale_f32 v173, vcc_lo, v169, v168, v169
	s_delay_alu instid0(VALU_DEP_2) | instskip(SKIP_1) | instid1(TRANS32_DEP_1)
	v_rcp_f32_e32 v171, v170
	v_nop
	v_fma_f32 v172, -v170, v171, 1.0
	s_delay_alu instid0(VALU_DEP_1) | instskip(NEXT) | instid1(VALU_DEP_1)
	v_fmac_f32_e32 v171, v172, v171
	v_mul_f32_e32 v172, v173, v171
	s_delay_alu instid0(VALU_DEP_1) | instskip(NEXT) | instid1(VALU_DEP_1)
	v_fma_f32 v174, -v170, v172, v173
	v_fmac_f32_e32 v172, v174, v171
	s_delay_alu instid0(VALU_DEP_1) | instskip(NEXT) | instid1(VALU_DEP_1)
	v_fma_f32 v170, -v170, v172, v173
	v_div_fmas_f32 v170, v170, v171, v172
	s_delay_alu instid0(VALU_DEP_1) | instskip(NEXT) | instid1(VALU_DEP_1)
	v_div_fixup_f32 v171, v170, v168, v169
	v_fmac_f32_e32 v168, v169, v171
	s_delay_alu instid0(VALU_DEP_1) | instskip(NEXT) | instid1(VALU_DEP_1)
	v_div_scale_f32 v169, null, v168, v168, 1.0
	v_rcp_f32_e32 v170, v169
	v_nop
	s_delay_alu instid0(TRANS32_DEP_1) | instskip(NEXT) | instid1(VALU_DEP_1)
	v_fma_f32 v172, -v169, v170, 1.0
	v_fmac_f32_e32 v170, v172, v170
	v_div_scale_f32 v172, vcc_lo, 1.0, v168, 1.0
	s_delay_alu instid0(VALU_DEP_1) | instskip(NEXT) | instid1(VALU_DEP_1)
	v_mul_f32_e32 v173, v172, v170
	v_fma_f32 v174, -v169, v173, v172
	s_delay_alu instid0(VALU_DEP_1) | instskip(NEXT) | instid1(VALU_DEP_1)
	v_fmac_f32_e32 v173, v174, v170
	v_fma_f32 v169, -v169, v173, v172
	s_delay_alu instid0(VALU_DEP_1) | instskip(NEXT) | instid1(VALU_DEP_1)
	v_div_fmas_f32 v169, v169, v170, v173
	v_div_fixup_f32 v170, v169, v168, 1.0
	s_delay_alu instid0(VALU_DEP_1)
	v_mul_f32_e64 v171, v171, -v170
.LBB63_178:
	s_or_b32 exec_lo, exec_lo, s1
	ds_store_b64 v195, v[170:171]
.LBB63_179:
	s_or_b32 exec_lo, exec_lo, s2
	s_wait_dscnt 0x0
	s_barrier_signal -1
	s_barrier_wait -1
	ds_load_b64 v[168:169], v195
	s_mov_b32 s1, exec_lo
	v_cmpx_lt_u32_e32 19, v194
	s_cbranch_execz .LBB63_181
; %bb.180:
	s_wait_dscnt 0x0
	v_pk_mul_f32 v[170:171], v[168:169], v[76:77] op_sel:[1,1] op_sel_hi:[0,1]
	s_delay_alu instid0(VALU_DEP_1)
	v_pk_fma_f32 v[174:175], v[168:169], v[76:77], v[170:171] op_sel_hi:[1,0,1] neg_lo:[0,0,1] neg_hi:[0,0,1]
	v_pk_fma_f32 v[176:177], v[168:169], v[76:77], v[170:171] op_sel_hi:[1,0,1]
	ds_load_2addr_b64 v[170:173], v196 offset0:20 offset1:21
	v_dual_mov_b32 v76, v174 :: v_dual_mov_b32 v77, v177
	s_wait_dscnt 0x0
	v_pk_mul_f32 v[178:179], v[170:171], v[176:177] op_sel:[0,1]
	s_delay_alu instid0(VALU_DEP_1) | instskip(SKIP_1) | instid1(VALU_DEP_1)
	v_pk_fma_f32 v[180:181], v[170:171], v[174:175], v[178:179] op_sel:[0,0,1] op_sel_hi:[1,1,0] neg_lo:[0,0,1] neg_hi:[0,0,1]
	v_pk_fma_f32 v[170:171], v[170:171], v[174:175], v[178:179] op_sel:[0,0,1] op_sel_hi:[1,0,0]
	v_mov_b32_e32 v181, v171
	v_pk_mul_f32 v[170:171], v[172:173], v[176:177] op_sel:[0,1]
	s_delay_alu instid0(VALU_DEP_1) | instskip(SKIP_1) | instid1(VALU_DEP_1)
	v_pk_fma_f32 v[178:179], v[172:173], v[174:175], v[170:171] op_sel:[0,0,1] op_sel_hi:[1,1,0] neg_lo:[0,0,1] neg_hi:[0,0,1]
	v_pk_fma_f32 v[170:171], v[172:173], v[174:175], v[170:171] op_sel:[0,0,1] op_sel_hi:[1,0,0]
	v_mov_b32_e32 v179, v171
	ds_load_2addr_b64 v[170:173], v196 offset0:22 offset1:23
	v_pk_add_f32 v[102:103], v[102:103], v[180:181] neg_lo:[0,1] neg_hi:[0,1]
	v_pk_add_f32 v[98:99], v[98:99], v[178:179] neg_lo:[0,1] neg_hi:[0,1]
	s_wait_dscnt 0x0
	v_pk_mul_f32 v[178:179], v[170:171], v[176:177] op_sel:[0,1]
	s_delay_alu instid0(VALU_DEP_1) | instskip(SKIP_2) | instid1(VALU_DEP_2)
	v_pk_fma_f32 v[180:181], v[170:171], v[174:175], v[178:179] op_sel:[0,0,1] op_sel_hi:[1,1,0] neg_lo:[0,0,1] neg_hi:[0,0,1]
	v_pk_fma_f32 v[170:171], v[170:171], v[174:175], v[178:179] op_sel:[0,0,1] op_sel_hi:[1,0,0]
	v_dual_mul_f32 v178, v173, v177 :: v_dual_mov_b32 v170, v173
	v_dual_mov_b32 v181, v171 :: v_dual_mov_b32 v171, v172
	s_delay_alu instid0(VALU_DEP_2) | instskip(SKIP_1) | instid1(VALU_DEP_3)
	v_pk_fma_f32 v[178:179], v[172:173], v[76:77], v[178:179] op_sel_hi:[1,1,0] neg_lo:[0,0,1] neg_hi:[0,0,1]
	v_mul_f32_e32 v172, v173, v174
	v_pk_add_f32 v[100:101], v[100:101], v[180:181] neg_lo:[0,1] neg_hi:[0,1]
	s_delay_alu instid0(VALU_DEP_2) | instskip(NEXT) | instid1(VALU_DEP_1)
	v_pk_fma_f32 v[170:171], v[170:171], v[76:77], v[172:173] op_sel_hi:[1,1,0]
	v_mov_b32_e32 v179, v171
	ds_load_2addr_b64 v[170:173], v196 offset0:24 offset1:25
	v_pk_add_f32 v[96:97], v[96:97], v[178:179] neg_lo:[0,1] neg_hi:[0,1]
	s_wait_dscnt 0x0
	v_pk_mul_f32 v[178:179], v[170:171], v[176:177] op_sel:[0,1]
	s_delay_alu instid0(VALU_DEP_1) | instskip(SKIP_1) | instid1(VALU_DEP_1)
	v_pk_fma_f32 v[180:181], v[170:171], v[174:175], v[178:179] op_sel:[0,0,1] op_sel_hi:[1,1,0] neg_lo:[0,0,1] neg_hi:[0,0,1]
	v_pk_fma_f32 v[170:171], v[170:171], v[174:175], v[178:179] op_sel:[0,0,1] op_sel_hi:[1,0,0]
	v_mov_b32_e32 v181, v171
	v_pk_mul_f32 v[170:171], v[172:173], v[176:177] op_sel:[0,1]
	s_delay_alu instid0(VALU_DEP_1) | instskip(SKIP_1) | instid1(VALU_DEP_1)
	v_pk_fma_f32 v[178:179], v[172:173], v[174:175], v[170:171] op_sel:[0,0,1] op_sel_hi:[1,1,0] neg_lo:[0,0,1] neg_hi:[0,0,1]
	v_pk_fma_f32 v[170:171], v[172:173], v[174:175], v[170:171] op_sel:[0,0,1] op_sel_hi:[1,0,0]
	v_mov_b32_e32 v179, v171
	ds_load_2addr_b64 v[170:173], v196 offset0:26 offset1:27
	v_pk_add_f32 v[120:121], v[120:121], v[180:181] neg_lo:[0,1] neg_hi:[0,1]
	v_pk_add_f32 v[116:117], v[116:117], v[178:179] neg_lo:[0,1] neg_hi:[0,1]
	s_wait_dscnt 0x0
	v_pk_mul_f32 v[178:179], v[170:171], v[176:177] op_sel:[0,1]
	s_delay_alu instid0(VALU_DEP_1) | instskip(SKIP_1) | instid1(VALU_DEP_1)
	v_pk_fma_f32 v[180:181], v[170:171], v[174:175], v[178:179] op_sel:[0,0,1] op_sel_hi:[1,1,0] neg_lo:[0,0,1] neg_hi:[0,0,1]
	v_pk_fma_f32 v[170:171], v[170:171], v[174:175], v[178:179] op_sel:[0,0,1] op_sel_hi:[1,0,0]
	v_mov_b32_e32 v181, v171
	v_pk_mul_f32 v[170:171], v[172:173], v[176:177] op_sel:[0,1]
	s_delay_alu instid0(VALU_DEP_1) | instskip(SKIP_1) | instid1(VALU_DEP_1)
	v_pk_fma_f32 v[178:179], v[172:173], v[174:175], v[170:171] op_sel:[0,0,1] op_sel_hi:[1,1,0] neg_lo:[0,0,1] neg_hi:[0,0,1]
	v_pk_fma_f32 v[170:171], v[172:173], v[174:175], v[170:171] op_sel:[0,0,1] op_sel_hi:[1,0,0]
	v_mov_b32_e32 v179, v171
	ds_load_2addr_b64 v[170:173], v196 offset0:28 offset1:29
	v_pk_add_f32 v[118:119], v[118:119], v[180:181] neg_lo:[0,1] neg_hi:[0,1]
	v_pk_add_f32 v[114:115], v[114:115], v[178:179] neg_lo:[0,1] neg_hi:[0,1]
	s_wait_dscnt 0x0
	v_dual_mul_f32 v178, v171, v177 :: v_dual_mul_f32 v180, v171, v174
	s_delay_alu instid0(VALU_DEP_1) | instskip(NEXT) | instid1(VALU_DEP_2)
	v_pk_fma_f32 v[178:179], v[170:171], v[76:77], v[178:179] op_sel_hi:[1,1,0] neg_lo:[0,0,1] neg_hi:[0,0,1]
	v_pk_fma_f32 v[170:171], v[170:171], v[76:77], v[180:181] op_sel:[1,0,0] op_sel_hi:[0,1,0]
	s_delay_alu instid0(VALU_DEP_1) | instskip(SKIP_1) | instid1(VALU_DEP_2)
	v_mov_b32_e32 v179, v171
	v_pk_mul_f32 v[170:171], v[172:173], v[176:177] op_sel:[0,1]
	v_pk_add_f32 v[126:127], v[126:127], v[178:179] neg_lo:[0,1] neg_hi:[0,1]
	s_delay_alu instid0(VALU_DEP_2) | instskip(SKIP_1) | instid1(VALU_DEP_1)
	v_pk_fma_f32 v[178:179], v[172:173], v[174:175], v[170:171] op_sel:[0,0,1] op_sel_hi:[1,1,0] neg_lo:[0,0,1] neg_hi:[0,0,1]
	v_pk_fma_f32 v[170:171], v[172:173], v[174:175], v[170:171] op_sel:[0,0,1] op_sel_hi:[1,0,0]
	v_mov_b32_e32 v179, v171
	ds_load_2addr_b64 v[170:173], v196 offset0:30 offset1:31
	v_pk_add_f32 v[124:125], v[124:125], v[178:179] neg_lo:[0,1] neg_hi:[0,1]
	s_wait_dscnt 0x0
	v_pk_mul_f32 v[178:179], v[170:171], v[176:177] op_sel:[0,1]
	v_mul_f32_e32 v176, v173, v177
	s_delay_alu instid0(VALU_DEP_2) | instskip(SKIP_2) | instid1(VALU_DEP_4)
	v_pk_fma_f32 v[180:181], v[170:171], v[174:175], v[178:179] op_sel:[0,0,1] op_sel_hi:[1,1,0] neg_lo:[0,0,1] neg_hi:[0,0,1]
	v_pk_fma_f32 v[170:171], v[170:171], v[174:175], v[178:179] op_sel:[0,0,1] op_sel_hi:[1,0,0]
	v_mov_b32_e32 v170, v173
	v_pk_fma_f32 v[176:177], v[172:173], v[76:77], v[176:177] op_sel_hi:[1,1,0] neg_lo:[0,0,1] neg_hi:[0,0,1]
	s_delay_alu instid0(VALU_DEP_3) | instskip(SKIP_1) | instid1(VALU_DEP_2)
	v_dual_mov_b32 v181, v171 :: v_dual_mov_b32 v171, v172
	v_mul_f32_e32 v172, v173, v174
	v_pk_add_f32 v[122:123], v[122:123], v[180:181] neg_lo:[0,1] neg_hi:[0,1]
	s_delay_alu instid0(VALU_DEP_2) | instskip(NEXT) | instid1(VALU_DEP_1)
	v_pk_fma_f32 v[170:171], v[170:171], v[76:77], v[172:173] op_sel_hi:[1,1,0]
	v_mov_b32_e32 v177, v171
	s_delay_alu instid0(VALU_DEP_1)
	v_pk_add_f32 v[128:129], v[128:129], v[176:177] neg_lo:[0,1] neg_hi:[0,1]
.LBB63_181:
	s_or_b32 exec_lo, exec_lo, s1
	s_delay_alu instid0(SALU_CYCLE_1)
	s_mov_b32 s2, exec_lo
	s_wait_dscnt 0x0
	s_barrier_signal -1
	s_barrier_wait -1
	v_cmpx_eq_u32_e32 20, v194
	s_cbranch_execz .LBB63_188
; %bb.182:
	ds_store_b64 v195, v[102:103]
	ds_store_2addr_b64 v196, v[98:99], v[100:101] offset0:21 offset1:22
	ds_store_2addr_b64 v196, v[96:97], v[120:121] offset0:23 offset1:24
	;; [unrolled: 1-line block ×5, first 2 shown]
	ds_store_b64 v196, v[128:129] offset:248
	ds_load_b64 v[170:171], v195
	s_wait_dscnt 0x0
	v_cmp_neq_f32_e32 vcc_lo, 0, v170
	v_cmp_neq_f32_e64 s1, 0, v171
	s_or_b32 s1, vcc_lo, s1
	s_delay_alu instid0(SALU_CYCLE_1)
	s_and_b32 exec_lo, exec_lo, s1
	s_cbranch_execz .LBB63_188
; %bb.183:
	v_cmp_ngt_f32_e64 s1, |v170|, |v171|
                                        ; implicit-def: $vgpr172_vgpr173
	s_and_saveexec_b32 s4, s1
	s_delay_alu instid0(SALU_CYCLE_1)
	s_xor_b32 s1, exec_lo, s4
	s_cbranch_execz .LBB63_185
; %bb.184:
	v_div_scale_f32 v172, null, v171, v171, v170
	v_div_scale_f32 v175, vcc_lo, v170, v171, v170
	s_delay_alu instid0(VALU_DEP_2) | instskip(SKIP_1) | instid1(TRANS32_DEP_1)
	v_rcp_f32_e32 v173, v172
	v_nop
	v_fma_f32 v174, -v172, v173, 1.0
	s_delay_alu instid0(VALU_DEP_1) | instskip(NEXT) | instid1(VALU_DEP_1)
	v_fmac_f32_e32 v173, v174, v173
	v_mul_f32_e32 v174, v175, v173
	s_delay_alu instid0(VALU_DEP_1) | instskip(NEXT) | instid1(VALU_DEP_1)
	v_fma_f32 v176, -v172, v174, v175
	v_fmac_f32_e32 v174, v176, v173
	s_delay_alu instid0(VALU_DEP_1) | instskip(NEXT) | instid1(VALU_DEP_1)
	v_fma_f32 v172, -v172, v174, v175
	v_div_fmas_f32 v172, v172, v173, v174
	s_delay_alu instid0(VALU_DEP_1) | instskip(NEXT) | instid1(VALU_DEP_1)
	v_div_fixup_f32 v172, v172, v171, v170
	v_fmac_f32_e32 v171, v170, v172
	s_delay_alu instid0(VALU_DEP_1) | instskip(SKIP_1) | instid1(VALU_DEP_2)
	v_div_scale_f32 v170, null, v171, v171, 1.0
	v_div_scale_f32 v175, vcc_lo, 1.0, v171, 1.0
	v_rcp_f32_e32 v173, v170
	v_nop
	s_delay_alu instid0(TRANS32_DEP_1) | instskip(NEXT) | instid1(VALU_DEP_1)
	v_fma_f32 v174, -v170, v173, 1.0
	v_fmac_f32_e32 v173, v174, v173
	s_delay_alu instid0(VALU_DEP_1) | instskip(NEXT) | instid1(VALU_DEP_1)
	v_mul_f32_e32 v174, v175, v173
	v_fma_f32 v176, -v170, v174, v175
	s_delay_alu instid0(VALU_DEP_1) | instskip(NEXT) | instid1(VALU_DEP_1)
	v_fmac_f32_e32 v174, v176, v173
	v_fma_f32 v170, -v170, v174, v175
	s_delay_alu instid0(VALU_DEP_1) | instskip(NEXT) | instid1(VALU_DEP_1)
	v_div_fmas_f32 v170, v170, v173, v174
	v_div_fixup_f32 v170, v170, v171, 1.0
	s_delay_alu instid0(VALU_DEP_1)
	v_mul_f32_e32 v172, v172, v170
	v_xor_b32_e32 v173, 0x80000000, v170
                                        ; implicit-def: $vgpr170_vgpr171
.LBB63_185:
	s_and_not1_saveexec_b32 s1, s1
	s_cbranch_execz .LBB63_187
; %bb.186:
	v_div_scale_f32 v172, null, v170, v170, v171
	v_div_scale_f32 v175, vcc_lo, v171, v170, v171
	s_delay_alu instid0(VALU_DEP_2) | instskip(SKIP_1) | instid1(TRANS32_DEP_1)
	v_rcp_f32_e32 v173, v172
	v_nop
	v_fma_f32 v174, -v172, v173, 1.0
	s_delay_alu instid0(VALU_DEP_1) | instskip(NEXT) | instid1(VALU_DEP_1)
	v_fmac_f32_e32 v173, v174, v173
	v_mul_f32_e32 v174, v175, v173
	s_delay_alu instid0(VALU_DEP_1) | instskip(NEXT) | instid1(VALU_DEP_1)
	v_fma_f32 v176, -v172, v174, v175
	v_fmac_f32_e32 v174, v176, v173
	s_delay_alu instid0(VALU_DEP_1) | instskip(NEXT) | instid1(VALU_DEP_1)
	v_fma_f32 v172, -v172, v174, v175
	v_div_fmas_f32 v172, v172, v173, v174
	s_delay_alu instid0(VALU_DEP_1) | instskip(NEXT) | instid1(VALU_DEP_1)
	v_div_fixup_f32 v173, v172, v170, v171
	v_fmac_f32_e32 v170, v171, v173
	s_delay_alu instid0(VALU_DEP_1) | instskip(NEXT) | instid1(VALU_DEP_1)
	v_div_scale_f32 v171, null, v170, v170, 1.0
	v_rcp_f32_e32 v172, v171
	v_nop
	s_delay_alu instid0(TRANS32_DEP_1) | instskip(NEXT) | instid1(VALU_DEP_1)
	v_fma_f32 v174, -v171, v172, 1.0
	v_fmac_f32_e32 v172, v174, v172
	v_div_scale_f32 v174, vcc_lo, 1.0, v170, 1.0
	s_delay_alu instid0(VALU_DEP_1) | instskip(NEXT) | instid1(VALU_DEP_1)
	v_mul_f32_e32 v175, v174, v172
	v_fma_f32 v176, -v171, v175, v174
	s_delay_alu instid0(VALU_DEP_1) | instskip(NEXT) | instid1(VALU_DEP_1)
	v_fmac_f32_e32 v175, v176, v172
	v_fma_f32 v171, -v171, v175, v174
	s_delay_alu instid0(VALU_DEP_1) | instskip(NEXT) | instid1(VALU_DEP_1)
	v_div_fmas_f32 v171, v171, v172, v175
	v_div_fixup_f32 v172, v171, v170, 1.0
	s_delay_alu instid0(VALU_DEP_1)
	v_mul_f32_e64 v173, v173, -v172
.LBB63_187:
	s_or_b32 exec_lo, exec_lo, s1
	ds_store_b64 v195, v[172:173]
.LBB63_188:
	s_or_b32 exec_lo, exec_lo, s2
	s_wait_dscnt 0x0
	s_barrier_signal -1
	s_barrier_wait -1
	ds_load_b64 v[170:171], v195
	s_mov_b32 s1, exec_lo
	v_cmpx_lt_u32_e32 20, v194
	s_cbranch_execz .LBB63_190
; %bb.189:
	s_wait_dscnt 0x0
	v_pk_mul_f32 v[172:173], v[170:171], v[102:103] op_sel:[1,1] op_sel_hi:[0,1]
	s_delay_alu instid0(VALU_DEP_1)
	v_pk_fma_f32 v[176:177], v[170:171], v[102:103], v[172:173] op_sel_hi:[1,0,1] neg_lo:[0,0,1] neg_hi:[0,0,1]
	v_pk_fma_f32 v[178:179], v[170:171], v[102:103], v[172:173] op_sel_hi:[1,0,1]
	ds_load_2addr_b64 v[172:175], v196 offset0:21 offset1:22
	v_dual_mov_b32 v102, v176 :: v_dual_mov_b32 v103, v179
	s_wait_dscnt 0x0
	v_pk_mul_f32 v[180:181], v[172:173], v[178:179] op_sel:[0,1]
	s_delay_alu instid0(VALU_DEP_1) | instskip(SKIP_1) | instid1(VALU_DEP_1)
	v_pk_fma_f32 v[182:183], v[172:173], v[176:177], v[180:181] op_sel:[0,0,1] op_sel_hi:[1,1,0] neg_lo:[0,0,1] neg_hi:[0,0,1]
	v_pk_fma_f32 v[172:173], v[172:173], v[176:177], v[180:181] op_sel:[0,0,1] op_sel_hi:[1,0,0]
	v_mov_b32_e32 v183, v173
	v_pk_mul_f32 v[172:173], v[174:175], v[178:179] op_sel:[0,1]
	s_delay_alu instid0(VALU_DEP_1) | instskip(SKIP_1) | instid1(VALU_DEP_1)
	v_pk_fma_f32 v[180:181], v[174:175], v[176:177], v[172:173] op_sel:[0,0,1] op_sel_hi:[1,1,0] neg_lo:[0,0,1] neg_hi:[0,0,1]
	v_pk_fma_f32 v[172:173], v[174:175], v[176:177], v[172:173] op_sel:[0,0,1] op_sel_hi:[1,0,0]
	v_mov_b32_e32 v181, v173
	ds_load_2addr_b64 v[172:175], v196 offset0:23 offset1:24
	v_pk_add_f32 v[98:99], v[98:99], v[182:183] neg_lo:[0,1] neg_hi:[0,1]
	v_pk_add_f32 v[100:101], v[100:101], v[180:181] neg_lo:[0,1] neg_hi:[0,1]
	s_wait_dscnt 0x0
	v_pk_mul_f32 v[180:181], v[172:173], v[178:179] op_sel:[0,1]
	s_delay_alu instid0(VALU_DEP_1) | instskip(SKIP_2) | instid1(VALU_DEP_2)
	v_pk_fma_f32 v[182:183], v[172:173], v[176:177], v[180:181] op_sel:[0,0,1] op_sel_hi:[1,1,0] neg_lo:[0,0,1] neg_hi:[0,0,1]
	v_pk_fma_f32 v[172:173], v[172:173], v[176:177], v[180:181] op_sel:[0,0,1] op_sel_hi:[1,0,0]
	v_dual_mul_f32 v180, v175, v179 :: v_dual_mov_b32 v172, v175
	v_dual_mov_b32 v183, v173 :: v_dual_mov_b32 v173, v174
	s_delay_alu instid0(VALU_DEP_2) | instskip(SKIP_1) | instid1(VALU_DEP_3)
	v_pk_fma_f32 v[180:181], v[174:175], v[102:103], v[180:181] op_sel_hi:[1,1,0] neg_lo:[0,0,1] neg_hi:[0,0,1]
	v_mul_f32_e32 v174, v175, v176
	v_pk_add_f32 v[96:97], v[96:97], v[182:183] neg_lo:[0,1] neg_hi:[0,1]
	s_delay_alu instid0(VALU_DEP_2) | instskip(NEXT) | instid1(VALU_DEP_1)
	v_pk_fma_f32 v[172:173], v[172:173], v[102:103], v[174:175] op_sel_hi:[1,1,0]
	v_mov_b32_e32 v181, v173
	ds_load_2addr_b64 v[172:175], v196 offset0:25 offset1:26
	v_pk_add_f32 v[120:121], v[120:121], v[180:181] neg_lo:[0,1] neg_hi:[0,1]
	s_wait_dscnt 0x0
	v_pk_mul_f32 v[180:181], v[172:173], v[178:179] op_sel:[0,1]
	s_delay_alu instid0(VALU_DEP_1) | instskip(SKIP_1) | instid1(VALU_DEP_1)
	v_pk_fma_f32 v[182:183], v[172:173], v[176:177], v[180:181] op_sel:[0,0,1] op_sel_hi:[1,1,0] neg_lo:[0,0,1] neg_hi:[0,0,1]
	v_pk_fma_f32 v[172:173], v[172:173], v[176:177], v[180:181] op_sel:[0,0,1] op_sel_hi:[1,0,0]
	v_mov_b32_e32 v183, v173
	v_pk_mul_f32 v[172:173], v[174:175], v[178:179] op_sel:[0,1]
	s_delay_alu instid0(VALU_DEP_1) | instskip(SKIP_1) | instid1(VALU_DEP_1)
	v_pk_fma_f32 v[180:181], v[174:175], v[176:177], v[172:173] op_sel:[0,0,1] op_sel_hi:[1,1,0] neg_lo:[0,0,1] neg_hi:[0,0,1]
	v_pk_fma_f32 v[172:173], v[174:175], v[176:177], v[172:173] op_sel:[0,0,1] op_sel_hi:[1,0,0]
	v_mov_b32_e32 v181, v173
	ds_load_2addr_b64 v[172:175], v196 offset0:27 offset1:28
	v_pk_add_f32 v[116:117], v[116:117], v[182:183] neg_lo:[0,1] neg_hi:[0,1]
	v_pk_add_f32 v[118:119], v[118:119], v[180:181] neg_lo:[0,1] neg_hi:[0,1]
	s_wait_dscnt 0x0
	v_pk_mul_f32 v[180:181], v[172:173], v[178:179] op_sel:[0,1]
	s_delay_alu instid0(VALU_DEP_1) | instskip(SKIP_1) | instid1(VALU_DEP_1)
	v_pk_fma_f32 v[182:183], v[172:173], v[176:177], v[180:181] op_sel:[0,0,1] op_sel_hi:[1,1,0] neg_lo:[0,0,1] neg_hi:[0,0,1]
	v_pk_fma_f32 v[172:173], v[172:173], v[176:177], v[180:181] op_sel:[0,0,1] op_sel_hi:[1,0,0]
	v_mov_b32_e32 v183, v173
	v_pk_mul_f32 v[172:173], v[174:175], v[178:179] op_sel:[0,1]
	s_delay_alu instid0(VALU_DEP_1) | instskip(SKIP_1) | instid1(VALU_DEP_1)
	v_pk_fma_f32 v[180:181], v[174:175], v[176:177], v[172:173] op_sel:[0,0,1] op_sel_hi:[1,1,0] neg_lo:[0,0,1] neg_hi:[0,0,1]
	v_pk_fma_f32 v[172:173], v[174:175], v[176:177], v[172:173] op_sel:[0,0,1] op_sel_hi:[1,0,0]
	v_mov_b32_e32 v181, v173
	ds_load_2addr_b64 v[172:175], v196 offset0:29 offset1:30
	v_pk_add_f32 v[114:115], v[114:115], v[182:183] neg_lo:[0,1] neg_hi:[0,1]
	v_pk_add_f32 v[126:127], v[126:127], v[180:181] neg_lo:[0,1] neg_hi:[0,1]
	s_wait_dscnt 0x0
	v_dual_mul_f32 v180, v173, v179 :: v_dual_mul_f32 v182, v173, v176
	s_delay_alu instid0(VALU_DEP_1) | instskip(NEXT) | instid1(VALU_DEP_2)
	v_pk_fma_f32 v[180:181], v[172:173], v[102:103], v[180:181] op_sel_hi:[1,1,0] neg_lo:[0,0,1] neg_hi:[0,0,1]
	v_pk_fma_f32 v[172:173], v[172:173], v[102:103], v[182:183] op_sel:[1,0,0] op_sel_hi:[0,1,0]
	s_delay_alu instid0(VALU_DEP_1) | instskip(SKIP_1) | instid1(VALU_DEP_2)
	v_mov_b32_e32 v181, v173
	v_pk_mul_f32 v[172:173], v[174:175], v[178:179] op_sel:[0,1]
	v_pk_add_f32 v[124:125], v[124:125], v[180:181] neg_lo:[0,1] neg_hi:[0,1]
	s_delay_alu instid0(VALU_DEP_2) | instskip(SKIP_1) | instid1(VALU_DEP_1)
	v_pk_fma_f32 v[180:181], v[174:175], v[176:177], v[172:173] op_sel:[0,0,1] op_sel_hi:[1,1,0] neg_lo:[0,0,1] neg_hi:[0,0,1]
	v_pk_fma_f32 v[172:173], v[174:175], v[176:177], v[172:173] op_sel:[0,0,1] op_sel_hi:[1,0,0]
	v_mov_b32_e32 v181, v173
	ds_load_b64 v[172:173], v196 offset:248
	v_pk_add_f32 v[122:123], v[122:123], v[180:181] neg_lo:[0,1] neg_hi:[0,1]
	s_wait_dscnt 0x0
	v_pk_mul_f32 v[174:175], v[172:173], v[178:179] op_sel:[0,1]
	s_delay_alu instid0(VALU_DEP_1) | instskip(SKIP_1) | instid1(VALU_DEP_1)
	v_pk_fma_f32 v[178:179], v[172:173], v[176:177], v[174:175] op_sel:[0,0,1] op_sel_hi:[1,1,0] neg_lo:[0,0,1] neg_hi:[0,0,1]
	v_pk_fma_f32 v[172:173], v[172:173], v[176:177], v[174:175] op_sel:[0,0,1] op_sel_hi:[1,0,0]
	v_mov_b32_e32 v179, v173
	s_delay_alu instid0(VALU_DEP_1)
	v_pk_add_f32 v[128:129], v[128:129], v[178:179] neg_lo:[0,1] neg_hi:[0,1]
.LBB63_190:
	s_or_b32 exec_lo, exec_lo, s1
	s_delay_alu instid0(SALU_CYCLE_1)
	s_mov_b32 s2, exec_lo
	s_wait_dscnt 0x0
	s_barrier_signal -1
	s_barrier_wait -1
	v_cmpx_eq_u32_e32 21, v194
	s_cbranch_execz .LBB63_197
; %bb.191:
	v_dual_mov_b32 v172, v100 :: v_dual_mov_b32 v173, v101
	v_dual_mov_b32 v174, v96 :: v_dual_mov_b32 v175, v97
	ds_store_b64 v195, v[98:99]
	ds_store_2addr_b64 v196, v[172:173], v[174:175] offset0:22 offset1:23
	v_dual_mov_b32 v172, v120 :: v_dual_mov_b32 v173, v121
	v_dual_mov_b32 v174, v116 :: v_dual_mov_b32 v175, v117
	ds_store_2addr_b64 v196, v[172:173], v[174:175] offset0:24 offset1:25
	v_dual_mov_b32 v172, v118 :: v_dual_mov_b32 v173, v119
	v_dual_mov_b32 v174, v114 :: v_dual_mov_b32 v175, v115
	;; [unrolled: 3-line block ×3, first 2 shown]
	ds_store_2addr_b64 v196, v[172:173], v[174:175] offset0:28 offset1:29
	v_dual_mov_b32 v172, v122 :: v_dual_mov_b32 v173, v123
	ds_store_2addr_b64 v196, v[172:173], v[128:129] offset0:30 offset1:31
	ds_load_b64 v[172:173], v195
	s_wait_dscnt 0x0
	v_cmp_neq_f32_e32 vcc_lo, 0, v172
	v_cmp_neq_f32_e64 s1, 0, v173
	s_or_b32 s1, vcc_lo, s1
	s_delay_alu instid0(SALU_CYCLE_1)
	s_and_b32 exec_lo, exec_lo, s1
	s_cbranch_execz .LBB63_197
; %bb.192:
	v_cmp_ngt_f32_e64 s1, |v172|, |v173|
                                        ; implicit-def: $vgpr174_vgpr175
	s_and_saveexec_b32 s4, s1
	s_delay_alu instid0(SALU_CYCLE_1)
	s_xor_b32 s1, exec_lo, s4
	s_cbranch_execz .LBB63_194
; %bb.193:
	v_div_scale_f32 v174, null, v173, v173, v172
	v_div_scale_f32 v177, vcc_lo, v172, v173, v172
	s_delay_alu instid0(VALU_DEP_2) | instskip(SKIP_1) | instid1(TRANS32_DEP_1)
	v_rcp_f32_e32 v175, v174
	v_nop
	v_fma_f32 v176, -v174, v175, 1.0
	s_delay_alu instid0(VALU_DEP_1) | instskip(NEXT) | instid1(VALU_DEP_1)
	v_fmac_f32_e32 v175, v176, v175
	v_mul_f32_e32 v176, v177, v175
	s_delay_alu instid0(VALU_DEP_1) | instskip(NEXT) | instid1(VALU_DEP_1)
	v_fma_f32 v178, -v174, v176, v177
	v_fmac_f32_e32 v176, v178, v175
	s_delay_alu instid0(VALU_DEP_1) | instskip(NEXT) | instid1(VALU_DEP_1)
	v_fma_f32 v174, -v174, v176, v177
	v_div_fmas_f32 v174, v174, v175, v176
	s_delay_alu instid0(VALU_DEP_1) | instskip(NEXT) | instid1(VALU_DEP_1)
	v_div_fixup_f32 v174, v174, v173, v172
	v_fmac_f32_e32 v173, v172, v174
	s_delay_alu instid0(VALU_DEP_1) | instskip(SKIP_1) | instid1(VALU_DEP_2)
	v_div_scale_f32 v172, null, v173, v173, 1.0
	v_div_scale_f32 v177, vcc_lo, 1.0, v173, 1.0
	v_rcp_f32_e32 v175, v172
	v_nop
	s_delay_alu instid0(TRANS32_DEP_1) | instskip(NEXT) | instid1(VALU_DEP_1)
	v_fma_f32 v176, -v172, v175, 1.0
	v_fmac_f32_e32 v175, v176, v175
	s_delay_alu instid0(VALU_DEP_1) | instskip(NEXT) | instid1(VALU_DEP_1)
	v_mul_f32_e32 v176, v177, v175
	v_fma_f32 v178, -v172, v176, v177
	s_delay_alu instid0(VALU_DEP_1) | instskip(NEXT) | instid1(VALU_DEP_1)
	v_fmac_f32_e32 v176, v178, v175
	v_fma_f32 v172, -v172, v176, v177
	s_delay_alu instid0(VALU_DEP_1) | instskip(NEXT) | instid1(VALU_DEP_1)
	v_div_fmas_f32 v172, v172, v175, v176
	v_div_fixup_f32 v172, v172, v173, 1.0
	s_delay_alu instid0(VALU_DEP_1)
	v_mul_f32_e32 v174, v174, v172
	v_xor_b32_e32 v175, 0x80000000, v172
                                        ; implicit-def: $vgpr172_vgpr173
.LBB63_194:
	s_and_not1_saveexec_b32 s1, s1
	s_cbranch_execz .LBB63_196
; %bb.195:
	v_div_scale_f32 v174, null, v172, v172, v173
	v_div_scale_f32 v177, vcc_lo, v173, v172, v173
	s_delay_alu instid0(VALU_DEP_2) | instskip(SKIP_1) | instid1(TRANS32_DEP_1)
	v_rcp_f32_e32 v175, v174
	v_nop
	v_fma_f32 v176, -v174, v175, 1.0
	s_delay_alu instid0(VALU_DEP_1) | instskip(NEXT) | instid1(VALU_DEP_1)
	v_fmac_f32_e32 v175, v176, v175
	v_mul_f32_e32 v176, v177, v175
	s_delay_alu instid0(VALU_DEP_1) | instskip(NEXT) | instid1(VALU_DEP_1)
	v_fma_f32 v178, -v174, v176, v177
	v_fmac_f32_e32 v176, v178, v175
	s_delay_alu instid0(VALU_DEP_1) | instskip(NEXT) | instid1(VALU_DEP_1)
	v_fma_f32 v174, -v174, v176, v177
	v_div_fmas_f32 v174, v174, v175, v176
	s_delay_alu instid0(VALU_DEP_1) | instskip(NEXT) | instid1(VALU_DEP_1)
	v_div_fixup_f32 v175, v174, v172, v173
	v_fmac_f32_e32 v172, v173, v175
	s_delay_alu instid0(VALU_DEP_1) | instskip(NEXT) | instid1(VALU_DEP_1)
	v_div_scale_f32 v173, null, v172, v172, 1.0
	v_rcp_f32_e32 v174, v173
	v_nop
	s_delay_alu instid0(TRANS32_DEP_1) | instskip(NEXT) | instid1(VALU_DEP_1)
	v_fma_f32 v176, -v173, v174, 1.0
	v_fmac_f32_e32 v174, v176, v174
	v_div_scale_f32 v176, vcc_lo, 1.0, v172, 1.0
	s_delay_alu instid0(VALU_DEP_1) | instskip(NEXT) | instid1(VALU_DEP_1)
	v_mul_f32_e32 v177, v176, v174
	v_fma_f32 v178, -v173, v177, v176
	s_delay_alu instid0(VALU_DEP_1) | instskip(NEXT) | instid1(VALU_DEP_1)
	v_fmac_f32_e32 v177, v178, v174
	v_fma_f32 v173, -v173, v177, v176
	s_delay_alu instid0(VALU_DEP_1) | instskip(NEXT) | instid1(VALU_DEP_1)
	v_div_fmas_f32 v173, v173, v174, v177
	v_div_fixup_f32 v174, v173, v172, 1.0
	s_delay_alu instid0(VALU_DEP_1)
	v_mul_f32_e64 v175, v175, -v174
.LBB63_196:
	s_or_b32 exec_lo, exec_lo, s1
	ds_store_b64 v195, v[174:175]
.LBB63_197:
	s_or_b32 exec_lo, exec_lo, s2
	s_wait_dscnt 0x0
	s_barrier_signal -1
	s_barrier_wait -1
	ds_load_b64 v[172:173], v195
	s_mov_b32 s1, exec_lo
	v_cmpx_lt_u32_e32 21, v194
	s_cbranch_execz .LBB63_199
; %bb.198:
	s_wait_dscnt 0x0
	v_pk_mul_f32 v[174:175], v[172:173], v[98:99] op_sel:[1,1] op_sel_hi:[0,1]
	s_delay_alu instid0(VALU_DEP_1)
	v_pk_fma_f32 v[178:179], v[172:173], v[98:99], v[174:175] op_sel_hi:[1,0,1] neg_lo:[0,0,1] neg_hi:[0,0,1]
	v_pk_fma_f32 v[180:181], v[172:173], v[98:99], v[174:175] op_sel_hi:[1,0,1]
	ds_load_2addr_b64 v[174:177], v196 offset0:22 offset1:23
	v_dual_mov_b32 v98, v178 :: v_dual_mov_b32 v99, v181
	s_wait_dscnt 0x0
	v_pk_mul_f32 v[182:183], v[174:175], v[180:181] op_sel:[0,1]
	s_delay_alu instid0(VALU_DEP_1) | instskip(SKIP_1) | instid1(VALU_DEP_1)
	v_pk_fma_f32 v[184:185], v[174:175], v[178:179], v[182:183] op_sel:[0,0,1] op_sel_hi:[1,1,0] neg_lo:[0,0,1] neg_hi:[0,0,1]
	v_pk_fma_f32 v[174:175], v[174:175], v[178:179], v[182:183] op_sel:[0,0,1] op_sel_hi:[1,0,0]
	v_mov_b32_e32 v185, v175
	v_pk_mul_f32 v[174:175], v[176:177], v[180:181] op_sel:[0,1]
	s_delay_alu instid0(VALU_DEP_1) | instskip(SKIP_1) | instid1(VALU_DEP_1)
	v_pk_fma_f32 v[182:183], v[176:177], v[178:179], v[174:175] op_sel:[0,0,1] op_sel_hi:[1,1,0] neg_lo:[0,0,1] neg_hi:[0,0,1]
	v_pk_fma_f32 v[174:175], v[176:177], v[178:179], v[174:175] op_sel:[0,0,1] op_sel_hi:[1,0,0]
	v_mov_b32_e32 v183, v175
	ds_load_2addr_b64 v[174:177], v196 offset0:24 offset1:25
	v_pk_add_f32 v[100:101], v[100:101], v[184:185] neg_lo:[0,1] neg_hi:[0,1]
	v_pk_add_f32 v[96:97], v[96:97], v[182:183] neg_lo:[0,1] neg_hi:[0,1]
	s_wait_dscnt 0x0
	v_pk_mul_f32 v[182:183], v[174:175], v[180:181] op_sel:[0,1]
	s_delay_alu instid0(VALU_DEP_1) | instskip(SKIP_2) | instid1(VALU_DEP_2)
	v_pk_fma_f32 v[184:185], v[174:175], v[178:179], v[182:183] op_sel:[0,0,1] op_sel_hi:[1,1,0] neg_lo:[0,0,1] neg_hi:[0,0,1]
	v_pk_fma_f32 v[174:175], v[174:175], v[178:179], v[182:183] op_sel:[0,0,1] op_sel_hi:[1,0,0]
	v_dual_mul_f32 v182, v177, v181 :: v_dual_mov_b32 v174, v177
	v_dual_mov_b32 v185, v175 :: v_dual_mov_b32 v175, v176
	s_delay_alu instid0(VALU_DEP_2) | instskip(SKIP_1) | instid1(VALU_DEP_3)
	v_pk_fma_f32 v[182:183], v[176:177], v[98:99], v[182:183] op_sel_hi:[1,1,0] neg_lo:[0,0,1] neg_hi:[0,0,1]
	v_mul_f32_e32 v176, v177, v178
	v_pk_add_f32 v[120:121], v[120:121], v[184:185] neg_lo:[0,1] neg_hi:[0,1]
	s_delay_alu instid0(VALU_DEP_2) | instskip(NEXT) | instid1(VALU_DEP_1)
	v_pk_fma_f32 v[174:175], v[174:175], v[98:99], v[176:177] op_sel_hi:[1,1,0]
	v_mov_b32_e32 v183, v175
	ds_load_2addr_b64 v[174:177], v196 offset0:26 offset1:27
	v_pk_add_f32 v[116:117], v[116:117], v[182:183] neg_lo:[0,1] neg_hi:[0,1]
	s_wait_dscnt 0x0
	v_pk_mul_f32 v[182:183], v[174:175], v[180:181] op_sel:[0,1]
	s_delay_alu instid0(VALU_DEP_1) | instskip(SKIP_1) | instid1(VALU_DEP_1)
	v_pk_fma_f32 v[184:185], v[174:175], v[178:179], v[182:183] op_sel:[0,0,1] op_sel_hi:[1,1,0] neg_lo:[0,0,1] neg_hi:[0,0,1]
	v_pk_fma_f32 v[174:175], v[174:175], v[178:179], v[182:183] op_sel:[0,0,1] op_sel_hi:[1,0,0]
	v_mov_b32_e32 v185, v175
	v_pk_mul_f32 v[174:175], v[176:177], v[180:181] op_sel:[0,1]
	s_delay_alu instid0(VALU_DEP_1) | instskip(SKIP_1) | instid1(VALU_DEP_1)
	v_pk_fma_f32 v[182:183], v[176:177], v[178:179], v[174:175] op_sel:[0,0,1] op_sel_hi:[1,1,0] neg_lo:[0,0,1] neg_hi:[0,0,1]
	v_pk_fma_f32 v[174:175], v[176:177], v[178:179], v[174:175] op_sel:[0,0,1] op_sel_hi:[1,0,0]
	v_mov_b32_e32 v183, v175
	ds_load_2addr_b64 v[174:177], v196 offset0:28 offset1:29
	v_pk_add_f32 v[118:119], v[118:119], v[184:185] neg_lo:[0,1] neg_hi:[0,1]
	v_pk_add_f32 v[114:115], v[114:115], v[182:183] neg_lo:[0,1] neg_hi:[0,1]
	s_wait_dscnt 0x0
	v_pk_mul_f32 v[182:183], v[174:175], v[180:181] op_sel:[0,1]
	s_delay_alu instid0(VALU_DEP_1) | instskip(SKIP_1) | instid1(VALU_DEP_1)
	v_pk_fma_f32 v[184:185], v[174:175], v[178:179], v[182:183] op_sel:[0,0,1] op_sel_hi:[1,1,0] neg_lo:[0,0,1] neg_hi:[0,0,1]
	v_pk_fma_f32 v[174:175], v[174:175], v[178:179], v[182:183] op_sel:[0,0,1] op_sel_hi:[1,0,0]
	v_mov_b32_e32 v185, v175
	v_pk_mul_f32 v[174:175], v[176:177], v[180:181] op_sel:[0,1]
	s_delay_alu instid0(VALU_DEP_1) | instskip(SKIP_1) | instid1(VALU_DEP_1)
	v_pk_fma_f32 v[182:183], v[176:177], v[178:179], v[174:175] op_sel:[0,0,1] op_sel_hi:[1,1,0] neg_lo:[0,0,1] neg_hi:[0,0,1]
	v_pk_fma_f32 v[174:175], v[176:177], v[178:179], v[174:175] op_sel:[0,0,1] op_sel_hi:[1,0,0]
	v_mov_b32_e32 v183, v175
	ds_load_2addr_b64 v[174:177], v196 offset0:30 offset1:31
	v_pk_add_f32 v[126:127], v[126:127], v[184:185] neg_lo:[0,1] neg_hi:[0,1]
	v_pk_add_f32 v[124:125], v[124:125], v[182:183] neg_lo:[0,1] neg_hi:[0,1]
	s_wait_dscnt 0x0
	v_dual_mul_f32 v182, v175, v181 :: v_dual_mul_f32 v184, v175, v178
	s_delay_alu instid0(VALU_DEP_1) | instskip(NEXT) | instid1(VALU_DEP_2)
	v_pk_fma_f32 v[182:183], v[174:175], v[98:99], v[182:183] op_sel_hi:[1,1,0] neg_lo:[0,0,1] neg_hi:[0,0,1]
	v_pk_fma_f32 v[174:175], v[174:175], v[98:99], v[184:185] op_sel:[1,0,0] op_sel_hi:[0,1,0]
	s_delay_alu instid0(VALU_DEP_1) | instskip(SKIP_1) | instid1(VALU_DEP_1)
	v_mov_b32_e32 v183, v175
	v_pk_mul_f32 v[174:175], v[176:177], v[180:181] op_sel:[0,1]
	v_pk_fma_f32 v[180:181], v[176:177], v[178:179], v[174:175] op_sel:[0,0,1] op_sel_hi:[1,1,0] neg_lo:[0,0,1] neg_hi:[0,0,1]
	v_pk_fma_f32 v[174:175], v[176:177], v[178:179], v[174:175] op_sel:[0,0,1] op_sel_hi:[1,0,0]
	s_delay_alu instid0(VALU_DEP_1) | instskip(SKIP_1) | instid1(VALU_DEP_2)
	v_mov_b32_e32 v181, v175
	v_pk_add_f32 v[122:123], v[122:123], v[182:183] neg_lo:[0,1] neg_hi:[0,1]
	v_pk_add_f32 v[128:129], v[128:129], v[180:181] neg_lo:[0,1] neg_hi:[0,1]
.LBB63_199:
	s_or_b32 exec_lo, exec_lo, s1
	s_delay_alu instid0(SALU_CYCLE_1)
	s_mov_b32 s2, exec_lo
	s_wait_dscnt 0x0
	s_barrier_signal -1
	s_barrier_wait -1
	v_cmpx_eq_u32_e32 22, v194
	s_cbranch_execz .LBB63_206
; %bb.200:
	ds_store_b64 v195, v[100:101]
	ds_store_2addr_b64 v196, v[96:97], v[120:121] offset0:23 offset1:24
	ds_store_2addr_b64 v196, v[116:117], v[118:119] offset0:25 offset1:26
	;; [unrolled: 1-line block ×4, first 2 shown]
	ds_store_b64 v196, v[128:129] offset:248
	ds_load_b64 v[174:175], v195
	s_wait_dscnt 0x0
	v_cmp_neq_f32_e32 vcc_lo, 0, v174
	v_cmp_neq_f32_e64 s1, 0, v175
	s_or_b32 s1, vcc_lo, s1
	s_delay_alu instid0(SALU_CYCLE_1)
	s_and_b32 exec_lo, exec_lo, s1
	s_cbranch_execz .LBB63_206
; %bb.201:
	v_cmp_ngt_f32_e64 s1, |v174|, |v175|
                                        ; implicit-def: $vgpr176_vgpr177
	s_and_saveexec_b32 s4, s1
	s_delay_alu instid0(SALU_CYCLE_1)
	s_xor_b32 s1, exec_lo, s4
	s_cbranch_execz .LBB63_203
; %bb.202:
	v_div_scale_f32 v176, null, v175, v175, v174
	v_div_scale_f32 v179, vcc_lo, v174, v175, v174
	s_delay_alu instid0(VALU_DEP_2) | instskip(SKIP_1) | instid1(TRANS32_DEP_1)
	v_rcp_f32_e32 v177, v176
	v_nop
	v_fma_f32 v178, -v176, v177, 1.0
	s_delay_alu instid0(VALU_DEP_1) | instskip(NEXT) | instid1(VALU_DEP_1)
	v_fmac_f32_e32 v177, v178, v177
	v_mul_f32_e32 v178, v179, v177
	s_delay_alu instid0(VALU_DEP_1) | instskip(NEXT) | instid1(VALU_DEP_1)
	v_fma_f32 v180, -v176, v178, v179
	v_fmac_f32_e32 v178, v180, v177
	s_delay_alu instid0(VALU_DEP_1) | instskip(NEXT) | instid1(VALU_DEP_1)
	v_fma_f32 v176, -v176, v178, v179
	v_div_fmas_f32 v176, v176, v177, v178
	s_delay_alu instid0(VALU_DEP_1) | instskip(NEXT) | instid1(VALU_DEP_1)
	v_div_fixup_f32 v176, v176, v175, v174
	v_fmac_f32_e32 v175, v174, v176
	s_delay_alu instid0(VALU_DEP_1) | instskip(SKIP_1) | instid1(VALU_DEP_2)
	v_div_scale_f32 v174, null, v175, v175, 1.0
	v_div_scale_f32 v179, vcc_lo, 1.0, v175, 1.0
	v_rcp_f32_e32 v177, v174
	v_nop
	s_delay_alu instid0(TRANS32_DEP_1) | instskip(NEXT) | instid1(VALU_DEP_1)
	v_fma_f32 v178, -v174, v177, 1.0
	v_fmac_f32_e32 v177, v178, v177
	s_delay_alu instid0(VALU_DEP_1) | instskip(NEXT) | instid1(VALU_DEP_1)
	v_mul_f32_e32 v178, v179, v177
	v_fma_f32 v180, -v174, v178, v179
	s_delay_alu instid0(VALU_DEP_1) | instskip(NEXT) | instid1(VALU_DEP_1)
	v_fmac_f32_e32 v178, v180, v177
	v_fma_f32 v174, -v174, v178, v179
	s_delay_alu instid0(VALU_DEP_1) | instskip(NEXT) | instid1(VALU_DEP_1)
	v_div_fmas_f32 v174, v174, v177, v178
	v_div_fixup_f32 v174, v174, v175, 1.0
	s_delay_alu instid0(VALU_DEP_1)
	v_mul_f32_e32 v176, v176, v174
	v_xor_b32_e32 v177, 0x80000000, v174
                                        ; implicit-def: $vgpr174_vgpr175
.LBB63_203:
	s_and_not1_saveexec_b32 s1, s1
	s_cbranch_execz .LBB63_205
; %bb.204:
	v_div_scale_f32 v176, null, v174, v174, v175
	v_div_scale_f32 v179, vcc_lo, v175, v174, v175
	s_delay_alu instid0(VALU_DEP_2) | instskip(SKIP_1) | instid1(TRANS32_DEP_1)
	v_rcp_f32_e32 v177, v176
	v_nop
	v_fma_f32 v178, -v176, v177, 1.0
	s_delay_alu instid0(VALU_DEP_1) | instskip(NEXT) | instid1(VALU_DEP_1)
	v_fmac_f32_e32 v177, v178, v177
	v_mul_f32_e32 v178, v179, v177
	s_delay_alu instid0(VALU_DEP_1) | instskip(NEXT) | instid1(VALU_DEP_1)
	v_fma_f32 v180, -v176, v178, v179
	v_fmac_f32_e32 v178, v180, v177
	s_delay_alu instid0(VALU_DEP_1) | instskip(NEXT) | instid1(VALU_DEP_1)
	v_fma_f32 v176, -v176, v178, v179
	v_div_fmas_f32 v176, v176, v177, v178
	s_delay_alu instid0(VALU_DEP_1) | instskip(NEXT) | instid1(VALU_DEP_1)
	v_div_fixup_f32 v177, v176, v174, v175
	v_fmac_f32_e32 v174, v175, v177
	s_delay_alu instid0(VALU_DEP_1) | instskip(NEXT) | instid1(VALU_DEP_1)
	v_div_scale_f32 v175, null, v174, v174, 1.0
	v_rcp_f32_e32 v176, v175
	v_nop
	s_delay_alu instid0(TRANS32_DEP_1) | instskip(NEXT) | instid1(VALU_DEP_1)
	v_fma_f32 v178, -v175, v176, 1.0
	v_fmac_f32_e32 v176, v178, v176
	v_div_scale_f32 v178, vcc_lo, 1.0, v174, 1.0
	s_delay_alu instid0(VALU_DEP_1) | instskip(NEXT) | instid1(VALU_DEP_1)
	v_mul_f32_e32 v179, v178, v176
	v_fma_f32 v180, -v175, v179, v178
	s_delay_alu instid0(VALU_DEP_1) | instskip(NEXT) | instid1(VALU_DEP_1)
	v_fmac_f32_e32 v179, v180, v176
	v_fma_f32 v175, -v175, v179, v178
	s_delay_alu instid0(VALU_DEP_1) | instskip(NEXT) | instid1(VALU_DEP_1)
	v_div_fmas_f32 v175, v175, v176, v179
	v_div_fixup_f32 v176, v175, v174, 1.0
	s_delay_alu instid0(VALU_DEP_1)
	v_mul_f32_e64 v177, v177, -v176
.LBB63_205:
	s_or_b32 exec_lo, exec_lo, s1
	ds_store_b64 v195, v[176:177]
.LBB63_206:
	s_or_b32 exec_lo, exec_lo, s2
	s_wait_dscnt 0x0
	s_barrier_signal -1
	s_barrier_wait -1
	ds_load_b64 v[174:175], v195
	s_mov_b32 s1, exec_lo
	v_cmpx_lt_u32_e32 22, v194
	s_cbranch_execz .LBB63_208
; %bb.207:
	s_wait_dscnt 0x0
	v_pk_mul_f32 v[176:177], v[174:175], v[100:101] op_sel:[1,1] op_sel_hi:[0,1]
	s_delay_alu instid0(VALU_DEP_1)
	v_pk_fma_f32 v[180:181], v[174:175], v[100:101], v[176:177] op_sel_hi:[1,0,1] neg_lo:[0,0,1] neg_hi:[0,0,1]
	v_pk_fma_f32 v[182:183], v[174:175], v[100:101], v[176:177] op_sel_hi:[1,0,1]
	ds_load_2addr_b64 v[176:179], v196 offset0:23 offset1:24
	v_dual_mov_b32 v100, v180 :: v_dual_mov_b32 v101, v183
	s_wait_dscnt 0x0
	v_pk_mul_f32 v[184:185], v[176:177], v[182:183] op_sel:[0,1]
	s_delay_alu instid0(VALU_DEP_1) | instskip(SKIP_1) | instid1(VALU_DEP_1)
	v_pk_fma_f32 v[186:187], v[176:177], v[180:181], v[184:185] op_sel:[0,0,1] op_sel_hi:[1,1,0] neg_lo:[0,0,1] neg_hi:[0,0,1]
	v_pk_fma_f32 v[176:177], v[176:177], v[180:181], v[184:185] op_sel:[0,0,1] op_sel_hi:[1,0,0]
	v_mov_b32_e32 v187, v177
	v_pk_mul_f32 v[176:177], v[178:179], v[182:183] op_sel:[0,1]
	s_delay_alu instid0(VALU_DEP_1) | instskip(SKIP_1) | instid1(VALU_DEP_1)
	v_pk_fma_f32 v[184:185], v[178:179], v[180:181], v[176:177] op_sel:[0,0,1] op_sel_hi:[1,1,0] neg_lo:[0,0,1] neg_hi:[0,0,1]
	v_pk_fma_f32 v[176:177], v[178:179], v[180:181], v[176:177] op_sel:[0,0,1] op_sel_hi:[1,0,0]
	v_mov_b32_e32 v185, v177
	ds_load_2addr_b64 v[176:179], v196 offset0:25 offset1:26
	v_pk_add_f32 v[96:97], v[96:97], v[186:187] neg_lo:[0,1] neg_hi:[0,1]
	v_pk_add_f32 v[120:121], v[120:121], v[184:185] neg_lo:[0,1] neg_hi:[0,1]
	s_wait_dscnt 0x0
	v_pk_mul_f32 v[184:185], v[176:177], v[182:183] op_sel:[0,1]
	s_delay_alu instid0(VALU_DEP_1) | instskip(SKIP_2) | instid1(VALU_DEP_2)
	v_pk_fma_f32 v[186:187], v[176:177], v[180:181], v[184:185] op_sel:[0,0,1] op_sel_hi:[1,1,0] neg_lo:[0,0,1] neg_hi:[0,0,1]
	v_pk_fma_f32 v[176:177], v[176:177], v[180:181], v[184:185] op_sel:[0,0,1] op_sel_hi:[1,0,0]
	v_dual_mul_f32 v184, v179, v183 :: v_dual_mov_b32 v176, v179
	v_dual_mov_b32 v187, v177 :: v_dual_mov_b32 v177, v178
	s_delay_alu instid0(VALU_DEP_2) | instskip(SKIP_1) | instid1(VALU_DEP_3)
	v_pk_fma_f32 v[184:185], v[178:179], v[100:101], v[184:185] op_sel_hi:[1,1,0] neg_lo:[0,0,1] neg_hi:[0,0,1]
	v_mul_f32_e32 v178, v179, v180
	v_pk_add_f32 v[116:117], v[116:117], v[186:187] neg_lo:[0,1] neg_hi:[0,1]
	s_delay_alu instid0(VALU_DEP_2) | instskip(NEXT) | instid1(VALU_DEP_1)
	v_pk_fma_f32 v[176:177], v[176:177], v[100:101], v[178:179] op_sel_hi:[1,1,0]
	v_mov_b32_e32 v185, v177
	ds_load_2addr_b64 v[176:179], v196 offset0:27 offset1:28
	v_pk_add_f32 v[118:119], v[118:119], v[184:185] neg_lo:[0,1] neg_hi:[0,1]
	s_wait_dscnt 0x0
	v_pk_mul_f32 v[184:185], v[176:177], v[182:183] op_sel:[0,1]
	s_delay_alu instid0(VALU_DEP_1) | instskip(SKIP_1) | instid1(VALU_DEP_1)
	v_pk_fma_f32 v[186:187], v[176:177], v[180:181], v[184:185] op_sel:[0,0,1] op_sel_hi:[1,1,0] neg_lo:[0,0,1] neg_hi:[0,0,1]
	v_pk_fma_f32 v[176:177], v[176:177], v[180:181], v[184:185] op_sel:[0,0,1] op_sel_hi:[1,0,0]
	v_mov_b32_e32 v187, v177
	v_pk_mul_f32 v[176:177], v[178:179], v[182:183] op_sel:[0,1]
	s_delay_alu instid0(VALU_DEP_1) | instskip(SKIP_1) | instid1(VALU_DEP_1)
	v_pk_fma_f32 v[184:185], v[178:179], v[180:181], v[176:177] op_sel:[0,0,1] op_sel_hi:[1,1,0] neg_lo:[0,0,1] neg_hi:[0,0,1]
	v_pk_fma_f32 v[176:177], v[178:179], v[180:181], v[176:177] op_sel:[0,0,1] op_sel_hi:[1,0,0]
	v_mov_b32_e32 v185, v177
	ds_load_2addr_b64 v[176:179], v196 offset0:29 offset1:30
	v_pk_add_f32 v[114:115], v[114:115], v[186:187] neg_lo:[0,1] neg_hi:[0,1]
	v_pk_add_f32 v[126:127], v[126:127], v[184:185] neg_lo:[0,1] neg_hi:[0,1]
	s_wait_dscnt 0x0
	v_pk_mul_f32 v[184:185], v[176:177], v[182:183] op_sel:[0,1]
	s_delay_alu instid0(VALU_DEP_1) | instskip(SKIP_1) | instid1(VALU_DEP_1)
	v_pk_fma_f32 v[186:187], v[176:177], v[180:181], v[184:185] op_sel:[0,0,1] op_sel_hi:[1,1,0] neg_lo:[0,0,1] neg_hi:[0,0,1]
	v_pk_fma_f32 v[176:177], v[176:177], v[180:181], v[184:185] op_sel:[0,0,1] op_sel_hi:[1,0,0]
	v_mov_b32_e32 v187, v177
	v_pk_mul_f32 v[176:177], v[178:179], v[182:183] op_sel:[0,1]
	s_delay_alu instid0(VALU_DEP_1) | instskip(SKIP_1) | instid1(VALU_DEP_1)
	v_pk_fma_f32 v[184:185], v[178:179], v[180:181], v[176:177] op_sel:[0,0,1] op_sel_hi:[1,1,0] neg_lo:[0,0,1] neg_hi:[0,0,1]
	v_pk_fma_f32 v[176:177], v[178:179], v[180:181], v[176:177] op_sel:[0,0,1] op_sel_hi:[1,0,0]
	v_mov_b32_e32 v185, v177
	ds_load_b64 v[176:177], v196 offset:248
	v_pk_add_f32 v[124:125], v[124:125], v[186:187] neg_lo:[0,1] neg_hi:[0,1]
	v_pk_add_f32 v[122:123], v[122:123], v[184:185] neg_lo:[0,1] neg_hi:[0,1]
	s_wait_dscnt 0x0
	v_pk_mul_f32 v[178:179], v[176:177], v[182:183] op_sel:[0,1]
	s_delay_alu instid0(VALU_DEP_1) | instskip(SKIP_1) | instid1(VALU_DEP_1)
	v_pk_fma_f32 v[182:183], v[176:177], v[180:181], v[178:179] op_sel:[0,0,1] op_sel_hi:[1,1,0] neg_lo:[0,0,1] neg_hi:[0,0,1]
	v_pk_fma_f32 v[176:177], v[176:177], v[180:181], v[178:179] op_sel:[0,0,1] op_sel_hi:[1,0,0]
	v_mov_b32_e32 v183, v177
	s_delay_alu instid0(VALU_DEP_1)
	v_pk_add_f32 v[128:129], v[128:129], v[182:183] neg_lo:[0,1] neg_hi:[0,1]
.LBB63_208:
	s_or_b32 exec_lo, exec_lo, s1
	s_delay_alu instid0(SALU_CYCLE_1)
	s_mov_b32 s2, exec_lo
	s_wait_dscnt 0x0
	s_barrier_signal -1
	s_barrier_wait -1
	v_cmpx_eq_u32_e32 23, v194
	s_cbranch_execz .LBB63_215
; %bb.209:
	v_dual_mov_b32 v176, v120 :: v_dual_mov_b32 v177, v121
	v_dual_mov_b32 v178, v116 :: v_dual_mov_b32 v179, v117
	ds_store_b64 v195, v[96:97]
	ds_store_2addr_b64 v196, v[176:177], v[178:179] offset0:24 offset1:25
	v_dual_mov_b32 v176, v118 :: v_dual_mov_b32 v177, v119
	v_dual_mov_b32 v178, v114 :: v_dual_mov_b32 v179, v115
	ds_store_2addr_b64 v196, v[176:177], v[178:179] offset0:26 offset1:27
	v_dual_mov_b32 v176, v126 :: v_dual_mov_b32 v177, v127
	v_dual_mov_b32 v178, v124 :: v_dual_mov_b32 v179, v125
	ds_store_2addr_b64 v196, v[176:177], v[178:179] offset0:28 offset1:29
	v_dual_mov_b32 v176, v122 :: v_dual_mov_b32 v177, v123
	ds_store_2addr_b64 v196, v[176:177], v[128:129] offset0:30 offset1:31
	ds_load_b64 v[176:177], v195
	s_wait_dscnt 0x0
	v_cmp_neq_f32_e32 vcc_lo, 0, v176
	v_cmp_neq_f32_e64 s1, 0, v177
	s_or_b32 s1, vcc_lo, s1
	s_delay_alu instid0(SALU_CYCLE_1)
	s_and_b32 exec_lo, exec_lo, s1
	s_cbranch_execz .LBB63_215
; %bb.210:
	v_cmp_ngt_f32_e64 s1, |v176|, |v177|
                                        ; implicit-def: $vgpr178_vgpr179
	s_and_saveexec_b32 s4, s1
	s_delay_alu instid0(SALU_CYCLE_1)
	s_xor_b32 s1, exec_lo, s4
	s_cbranch_execz .LBB63_212
; %bb.211:
	v_div_scale_f32 v178, null, v177, v177, v176
	v_div_scale_f32 v181, vcc_lo, v176, v177, v176
	s_delay_alu instid0(VALU_DEP_2) | instskip(SKIP_1) | instid1(TRANS32_DEP_1)
	v_rcp_f32_e32 v179, v178
	v_nop
	v_fma_f32 v180, -v178, v179, 1.0
	s_delay_alu instid0(VALU_DEP_1) | instskip(NEXT) | instid1(VALU_DEP_1)
	v_fmac_f32_e32 v179, v180, v179
	v_mul_f32_e32 v180, v181, v179
	s_delay_alu instid0(VALU_DEP_1) | instskip(NEXT) | instid1(VALU_DEP_1)
	v_fma_f32 v182, -v178, v180, v181
	v_fmac_f32_e32 v180, v182, v179
	s_delay_alu instid0(VALU_DEP_1) | instskip(NEXT) | instid1(VALU_DEP_1)
	v_fma_f32 v178, -v178, v180, v181
	v_div_fmas_f32 v178, v178, v179, v180
	s_delay_alu instid0(VALU_DEP_1) | instskip(NEXT) | instid1(VALU_DEP_1)
	v_div_fixup_f32 v178, v178, v177, v176
	v_fmac_f32_e32 v177, v176, v178
	s_delay_alu instid0(VALU_DEP_1) | instskip(SKIP_1) | instid1(VALU_DEP_2)
	v_div_scale_f32 v176, null, v177, v177, 1.0
	v_div_scale_f32 v181, vcc_lo, 1.0, v177, 1.0
	v_rcp_f32_e32 v179, v176
	v_nop
	s_delay_alu instid0(TRANS32_DEP_1) | instskip(NEXT) | instid1(VALU_DEP_1)
	v_fma_f32 v180, -v176, v179, 1.0
	v_fmac_f32_e32 v179, v180, v179
	s_delay_alu instid0(VALU_DEP_1) | instskip(NEXT) | instid1(VALU_DEP_1)
	v_mul_f32_e32 v180, v181, v179
	v_fma_f32 v182, -v176, v180, v181
	s_delay_alu instid0(VALU_DEP_1) | instskip(NEXT) | instid1(VALU_DEP_1)
	v_fmac_f32_e32 v180, v182, v179
	v_fma_f32 v176, -v176, v180, v181
	s_delay_alu instid0(VALU_DEP_1) | instskip(NEXT) | instid1(VALU_DEP_1)
	v_div_fmas_f32 v176, v176, v179, v180
	v_div_fixup_f32 v176, v176, v177, 1.0
	s_delay_alu instid0(VALU_DEP_1)
	v_mul_f32_e32 v178, v178, v176
	v_xor_b32_e32 v179, 0x80000000, v176
                                        ; implicit-def: $vgpr176_vgpr177
.LBB63_212:
	s_and_not1_saveexec_b32 s1, s1
	s_cbranch_execz .LBB63_214
; %bb.213:
	v_div_scale_f32 v178, null, v176, v176, v177
	v_div_scale_f32 v181, vcc_lo, v177, v176, v177
	s_delay_alu instid0(VALU_DEP_2) | instskip(SKIP_1) | instid1(TRANS32_DEP_1)
	v_rcp_f32_e32 v179, v178
	v_nop
	v_fma_f32 v180, -v178, v179, 1.0
	s_delay_alu instid0(VALU_DEP_1) | instskip(NEXT) | instid1(VALU_DEP_1)
	v_fmac_f32_e32 v179, v180, v179
	v_mul_f32_e32 v180, v181, v179
	s_delay_alu instid0(VALU_DEP_1) | instskip(NEXT) | instid1(VALU_DEP_1)
	v_fma_f32 v182, -v178, v180, v181
	v_fmac_f32_e32 v180, v182, v179
	s_delay_alu instid0(VALU_DEP_1) | instskip(NEXT) | instid1(VALU_DEP_1)
	v_fma_f32 v178, -v178, v180, v181
	v_div_fmas_f32 v178, v178, v179, v180
	s_delay_alu instid0(VALU_DEP_1) | instskip(NEXT) | instid1(VALU_DEP_1)
	v_div_fixup_f32 v179, v178, v176, v177
	v_fmac_f32_e32 v176, v177, v179
	s_delay_alu instid0(VALU_DEP_1) | instskip(NEXT) | instid1(VALU_DEP_1)
	v_div_scale_f32 v177, null, v176, v176, 1.0
	v_rcp_f32_e32 v178, v177
	v_nop
	s_delay_alu instid0(TRANS32_DEP_1) | instskip(NEXT) | instid1(VALU_DEP_1)
	v_fma_f32 v180, -v177, v178, 1.0
	v_fmac_f32_e32 v178, v180, v178
	v_div_scale_f32 v180, vcc_lo, 1.0, v176, 1.0
	s_delay_alu instid0(VALU_DEP_1) | instskip(NEXT) | instid1(VALU_DEP_1)
	v_mul_f32_e32 v181, v180, v178
	v_fma_f32 v182, -v177, v181, v180
	s_delay_alu instid0(VALU_DEP_1) | instskip(NEXT) | instid1(VALU_DEP_1)
	v_fmac_f32_e32 v181, v182, v178
	v_fma_f32 v177, -v177, v181, v180
	s_delay_alu instid0(VALU_DEP_1) | instskip(NEXT) | instid1(VALU_DEP_1)
	v_div_fmas_f32 v177, v177, v178, v181
	v_div_fixup_f32 v178, v177, v176, 1.0
	s_delay_alu instid0(VALU_DEP_1)
	v_mul_f32_e64 v179, v179, -v178
.LBB63_214:
	s_or_b32 exec_lo, exec_lo, s1
	ds_store_b64 v195, v[178:179]
.LBB63_215:
	s_or_b32 exec_lo, exec_lo, s2
	s_wait_dscnt 0x0
	s_barrier_signal -1
	s_barrier_wait -1
	ds_load_b64 v[176:177], v195
	s_mov_b32 s1, exec_lo
	v_cmpx_lt_u32_e32 23, v194
	s_cbranch_execz .LBB63_217
; %bb.216:
	ds_load_2addr_b64 v[178:181], v196 offset0:24 offset1:25
	ds_load_2addr_b64 v[182:185], v196 offset0:26 offset1:27
	;; [unrolled: 1-line block ×3, first 2 shown]
	s_wait_dscnt 0x3
	v_pk_mul_f32 v[198:199], v[176:177], v[96:97] op_sel:[1,1] op_sel_hi:[0,1]
	ds_load_2addr_b64 v[190:193], v196 offset0:30 offset1:31
	v_pk_fma_f32 v[200:201], v[176:177], v[96:97], v[198:199] op_sel_hi:[1,0,1] neg_lo:[0,0,1] neg_hi:[0,0,1]
	v_pk_fma_f32 v[198:199], v[176:177], v[96:97], v[198:199] op_sel_hi:[1,0,1]
	s_delay_alu instid0(VALU_DEP_1) | instskip(SKIP_1) | instid1(VALU_DEP_2)
	v_dual_mov_b32 v96, v200 :: v_dual_mov_b32 v97, v199
	s_wait_dscnt 0x3
	v_pk_mul_f32 v[202:203], v[178:179], v[198:199] op_sel:[0,1]
	v_pk_mul_f32 v[204:205], v[180:181], v[198:199] op_sel:[0,1]
	s_wait_dscnt 0x2
	v_pk_mul_f32 v[206:207], v[182:183], v[198:199] op_sel:[0,1]
	s_wait_dscnt 0x1
	v_pk_mul_f32 v[214:215], v[186:187], v[198:199] op_sel:[0,1]
	v_dual_mov_b32 v208, v185 :: v_dual_mov_b32 v209, v184
	v_pk_fma_f32 v[220:221], v[178:179], v[200:201], v[202:203] op_sel:[0,0,1] op_sel_hi:[1,1,0] neg_lo:[0,0,1] neg_hi:[0,0,1]
	v_pk_fma_f32 v[178:179], v[178:179], v[200:201], v[202:203] op_sel:[0,0,1] op_sel_hi:[1,0,0]
	v_pk_fma_f32 v[202:203], v[180:181], v[200:201], v[204:205] op_sel:[0,0,1] op_sel_hi:[1,1,0] neg_lo:[0,0,1] neg_hi:[0,0,1]
	v_pk_fma_f32 v[180:181], v[180:181], v[200:201], v[204:205] op_sel:[0,0,1] op_sel_hi:[1,0,0]
	v_dual_mul_f32 v210, v185, v199 :: v_dual_mul_f32 v212, v185, v200
	v_pk_mul_f32 v[216:217], v[188:189], v[198:199] op_sel:[0,1]
	v_pk_fma_f32 v[204:205], v[182:183], v[200:201], v[206:207] op_sel:[0,0,1] op_sel_hi:[1,1,0] neg_lo:[0,0,1] neg_hi:[0,0,1]
	v_pk_fma_f32 v[182:183], v[182:183], v[200:201], v[206:207] op_sel:[0,0,1] op_sel_hi:[1,0,0]
	s_wait_dscnt 0x0
	v_pk_mul_f32 v[218:219], v[190:191], v[198:199] op_sel:[0,1]
	v_dual_mov_b32 v221, v179 :: v_dual_mov_b32 v203, v181
	v_pk_fma_f32 v[178:179], v[186:187], v[200:201], v[214:215] op_sel:[0,0,1] op_sel_hi:[1,0,0]
	v_pk_mul_f32 v[180:181], v[192:193], v[198:199] op_sel:[0,1]
	v_pk_fma_f32 v[206:207], v[208:209], v[96:97], v[212:213] op_sel_hi:[1,1,0]
	v_pk_fma_f32 v[208:209], v[186:187], v[200:201], v[214:215] op_sel:[0,0,1] op_sel_hi:[1,1,0] neg_lo:[0,0,1] neg_hi:[0,0,1]
	v_mov_b32_e32 v205, v183
	v_pk_fma_f32 v[182:183], v[188:189], v[200:201], v[216:217] op_sel:[0,0,1] op_sel_hi:[1,0,0]
	v_mov_b32_e32 v209, v179
	v_pk_fma_f32 v[178:179], v[190:191], v[200:201], v[218:219] op_sel:[0,0,1] op_sel_hi:[1,0,0]
	v_pk_fma_f32 v[186:187], v[188:189], v[200:201], v[216:217] op_sel:[0,0,1] op_sel_hi:[1,1,0] neg_lo:[0,0,1] neg_hi:[0,0,1]
	v_pk_fma_f32 v[188:189], v[192:193], v[200:201], v[180:181] op_sel:[0,0,1] op_sel_hi:[1,0,0]
	v_mov_b32_e32 v187, v183
	v_pk_fma_f32 v[182:183], v[190:191], v[200:201], v[218:219] op_sel:[0,0,1] op_sel_hi:[1,1,0] neg_lo:[0,0,1] neg_hi:[0,0,1]
	v_pk_fma_f32 v[184:185], v[184:185], v[96:97], v[210:211] op_sel_hi:[1,1,0] neg_lo:[0,0,1] neg_hi:[0,0,1]
	v_mov_b32_e32 v183, v179
	v_pk_fma_f32 v[178:179], v[192:193], v[200:201], v[180:181] op_sel:[0,0,1] op_sel_hi:[1,1,0] neg_lo:[0,0,1] neg_hi:[0,0,1]
	v_dual_mov_b32 v185, v207 :: v_dual_mov_b32 v179, v189
	v_pk_add_f32 v[120:121], v[120:121], v[220:221] neg_lo:[0,1] neg_hi:[0,1]
	v_pk_add_f32 v[116:117], v[116:117], v[202:203] neg_lo:[0,1] neg_hi:[0,1]
	;; [unrolled: 1-line block ×3, first 2 shown]
	s_delay_alu instid0(VALU_DEP_4)
	v_pk_add_f32 v[114:115], v[114:115], v[184:185] neg_lo:[0,1] neg_hi:[0,1]
	v_pk_add_f32 v[126:127], v[126:127], v[208:209] neg_lo:[0,1] neg_hi:[0,1]
	;; [unrolled: 1-line block ×5, first 2 shown]
.LBB63_217:
	s_or_b32 exec_lo, exec_lo, s1
	s_delay_alu instid0(SALU_CYCLE_1)
	s_mov_b32 s2, exec_lo
	s_wait_dscnt 0x0
	s_barrier_signal -1
	s_barrier_wait -1
	v_cmpx_eq_u32_e32 24, v194
	s_cbranch_execz .LBB63_224
; %bb.218:
	ds_store_b64 v195, v[120:121]
	ds_store_2addr_b64 v196, v[116:117], v[118:119] offset0:25 offset1:26
	ds_store_2addr_b64 v196, v[114:115], v[126:127] offset0:27 offset1:28
	;; [unrolled: 1-line block ×3, first 2 shown]
	ds_store_b64 v196, v[128:129] offset:248
	ds_load_b64 v[178:179], v195
	s_wait_dscnt 0x0
	v_cmp_neq_f32_e32 vcc_lo, 0, v178
	v_cmp_neq_f32_e64 s1, 0, v179
	s_or_b32 s1, vcc_lo, s1
	s_delay_alu instid0(SALU_CYCLE_1)
	s_and_b32 exec_lo, exec_lo, s1
	s_cbranch_execz .LBB63_224
; %bb.219:
	v_cmp_ngt_f32_e64 s1, |v178|, |v179|
                                        ; implicit-def: $vgpr180_vgpr181
	s_and_saveexec_b32 s4, s1
	s_delay_alu instid0(SALU_CYCLE_1)
	s_xor_b32 s1, exec_lo, s4
	s_cbranch_execz .LBB63_221
; %bb.220:
	v_div_scale_f32 v180, null, v179, v179, v178
	v_div_scale_f32 v183, vcc_lo, v178, v179, v178
	s_delay_alu instid0(VALU_DEP_2) | instskip(SKIP_1) | instid1(TRANS32_DEP_1)
	v_rcp_f32_e32 v181, v180
	v_nop
	v_fma_f32 v182, -v180, v181, 1.0
	s_delay_alu instid0(VALU_DEP_1) | instskip(NEXT) | instid1(VALU_DEP_1)
	v_fmac_f32_e32 v181, v182, v181
	v_mul_f32_e32 v182, v183, v181
	s_delay_alu instid0(VALU_DEP_1) | instskip(NEXT) | instid1(VALU_DEP_1)
	v_fma_f32 v184, -v180, v182, v183
	v_fmac_f32_e32 v182, v184, v181
	s_delay_alu instid0(VALU_DEP_1) | instskip(NEXT) | instid1(VALU_DEP_1)
	v_fma_f32 v180, -v180, v182, v183
	v_div_fmas_f32 v180, v180, v181, v182
	s_delay_alu instid0(VALU_DEP_1) | instskip(NEXT) | instid1(VALU_DEP_1)
	v_div_fixup_f32 v180, v180, v179, v178
	v_fmac_f32_e32 v179, v178, v180
	s_delay_alu instid0(VALU_DEP_1) | instskip(SKIP_1) | instid1(VALU_DEP_2)
	v_div_scale_f32 v178, null, v179, v179, 1.0
	v_div_scale_f32 v183, vcc_lo, 1.0, v179, 1.0
	v_rcp_f32_e32 v181, v178
	v_nop
	s_delay_alu instid0(TRANS32_DEP_1) | instskip(NEXT) | instid1(VALU_DEP_1)
	v_fma_f32 v182, -v178, v181, 1.0
	v_fmac_f32_e32 v181, v182, v181
	s_delay_alu instid0(VALU_DEP_1) | instskip(NEXT) | instid1(VALU_DEP_1)
	v_mul_f32_e32 v182, v183, v181
	v_fma_f32 v184, -v178, v182, v183
	s_delay_alu instid0(VALU_DEP_1) | instskip(NEXT) | instid1(VALU_DEP_1)
	v_fmac_f32_e32 v182, v184, v181
	v_fma_f32 v178, -v178, v182, v183
	s_delay_alu instid0(VALU_DEP_1) | instskip(NEXT) | instid1(VALU_DEP_1)
	v_div_fmas_f32 v178, v178, v181, v182
	v_div_fixup_f32 v178, v178, v179, 1.0
	s_delay_alu instid0(VALU_DEP_1)
	v_mul_f32_e32 v180, v180, v178
	v_xor_b32_e32 v181, 0x80000000, v178
                                        ; implicit-def: $vgpr178_vgpr179
.LBB63_221:
	s_and_not1_saveexec_b32 s1, s1
	s_cbranch_execz .LBB63_223
; %bb.222:
	v_div_scale_f32 v180, null, v178, v178, v179
	v_div_scale_f32 v183, vcc_lo, v179, v178, v179
	s_delay_alu instid0(VALU_DEP_2) | instskip(SKIP_1) | instid1(TRANS32_DEP_1)
	v_rcp_f32_e32 v181, v180
	v_nop
	v_fma_f32 v182, -v180, v181, 1.0
	s_delay_alu instid0(VALU_DEP_1) | instskip(NEXT) | instid1(VALU_DEP_1)
	v_fmac_f32_e32 v181, v182, v181
	v_mul_f32_e32 v182, v183, v181
	s_delay_alu instid0(VALU_DEP_1) | instskip(NEXT) | instid1(VALU_DEP_1)
	v_fma_f32 v184, -v180, v182, v183
	v_fmac_f32_e32 v182, v184, v181
	s_delay_alu instid0(VALU_DEP_1) | instskip(NEXT) | instid1(VALU_DEP_1)
	v_fma_f32 v180, -v180, v182, v183
	v_div_fmas_f32 v180, v180, v181, v182
	s_delay_alu instid0(VALU_DEP_1) | instskip(NEXT) | instid1(VALU_DEP_1)
	v_div_fixup_f32 v181, v180, v178, v179
	v_fmac_f32_e32 v178, v179, v181
	s_delay_alu instid0(VALU_DEP_1) | instskip(NEXT) | instid1(VALU_DEP_1)
	v_div_scale_f32 v179, null, v178, v178, 1.0
	v_rcp_f32_e32 v180, v179
	v_nop
	s_delay_alu instid0(TRANS32_DEP_1) | instskip(NEXT) | instid1(VALU_DEP_1)
	v_fma_f32 v182, -v179, v180, 1.0
	v_fmac_f32_e32 v180, v182, v180
	v_div_scale_f32 v182, vcc_lo, 1.0, v178, 1.0
	s_delay_alu instid0(VALU_DEP_1) | instskip(NEXT) | instid1(VALU_DEP_1)
	v_mul_f32_e32 v183, v182, v180
	v_fma_f32 v184, -v179, v183, v182
	s_delay_alu instid0(VALU_DEP_1) | instskip(NEXT) | instid1(VALU_DEP_1)
	v_fmac_f32_e32 v183, v184, v180
	v_fma_f32 v179, -v179, v183, v182
	s_delay_alu instid0(VALU_DEP_1) | instskip(NEXT) | instid1(VALU_DEP_1)
	v_div_fmas_f32 v179, v179, v180, v183
	v_div_fixup_f32 v180, v179, v178, 1.0
	s_delay_alu instid0(VALU_DEP_1)
	v_mul_f32_e64 v181, v181, -v180
.LBB63_223:
	s_or_b32 exec_lo, exec_lo, s1
	ds_store_b64 v195, v[180:181]
.LBB63_224:
	s_or_b32 exec_lo, exec_lo, s2
	s_wait_dscnt 0x0
	s_barrier_signal -1
	s_barrier_wait -1
	ds_load_b64 v[178:179], v195
	s_mov_b32 s1, exec_lo
	v_cmpx_lt_u32_e32 24, v194
	s_cbranch_execz .LBB63_226
; %bb.225:
	ds_load_2addr_b64 v[180:183], v196 offset0:25 offset1:26
	ds_load_2addr_b64 v[184:187], v196 offset0:27 offset1:28
	;; [unrolled: 1-line block ×3, first 2 shown]
	ds_load_b64 v[198:199], v196 offset:248
	s_wait_dscnt 0x4
	v_pk_mul_f32 v[192:193], v[178:179], v[120:121] op_sel:[1,1] op_sel_hi:[0,1]
	s_delay_alu instid0(VALU_DEP_1) | instskip(SKIP_1) | instid1(VALU_DEP_1)
	v_pk_fma_f32 v[200:201], v[178:179], v[120:121], v[192:193] op_sel_hi:[1,0,1] neg_lo:[0,0,1] neg_hi:[0,0,1]
	v_pk_fma_f32 v[192:193], v[178:179], v[120:121], v[192:193] op_sel_hi:[1,0,1]
	v_dual_mov_b32 v120, v200 :: v_dual_mov_b32 v121, v193
	s_wait_dscnt 0x3
	s_delay_alu instid0(VALU_DEP_2)
	v_pk_mul_f32 v[202:203], v[180:181], v[192:193] op_sel:[0,1]
	v_pk_mul_f32 v[204:205], v[182:183], v[192:193] op_sel:[0,1]
	s_wait_dscnt 0x2
	v_pk_mul_f32 v[206:207], v[184:185], v[192:193] op_sel:[0,1]
	v_dual_mov_b32 v208, v187 :: v_dual_mov_b32 v209, v186
	v_dual_mul_f32 v210, v187, v193 :: v_dual_mul_f32 v212, v187, v200
	s_wait_dscnt 0x1
	v_pk_mul_f32 v[214:215], v[188:189], v[192:193] op_sel:[0,1]
	v_pk_mul_f32 v[216:217], v[190:191], v[192:193] op_sel:[0,1]
	v_pk_fma_f32 v[218:219], v[180:181], v[200:201], v[202:203] op_sel:[0,0,1] op_sel_hi:[1,1,0] neg_lo:[0,0,1] neg_hi:[0,0,1]
	v_pk_fma_f32 v[180:181], v[180:181], v[200:201], v[202:203] op_sel:[0,0,1] op_sel_hi:[1,0,0]
	s_wait_dscnt 0x0
	v_pk_mul_f32 v[192:193], v[198:199], v[192:193] op_sel:[0,1]
	v_pk_fma_f32 v[202:203], v[182:183], v[200:201], v[204:205] op_sel:[0,0,1] op_sel_hi:[1,1,0] neg_lo:[0,0,1] neg_hi:[0,0,1]
	v_pk_fma_f32 v[182:183], v[182:183], v[200:201], v[204:205] op_sel:[0,0,1] op_sel_hi:[1,0,0]
	v_pk_fma_f32 v[204:205], v[184:185], v[200:201], v[206:207] op_sel:[0,0,1] op_sel_hi:[1,1,0] neg_lo:[0,0,1] neg_hi:[0,0,1]
	v_pk_fma_f32 v[184:185], v[184:185], v[200:201], v[206:207] op_sel:[0,0,1] op_sel_hi:[1,0,0]
	v_pk_fma_f32 v[206:207], v[208:209], v[120:121], v[212:213] op_sel_hi:[1,1,0]
	v_pk_fma_f32 v[208:209], v[188:189], v[200:201], v[214:215] op_sel:[0,0,1] op_sel_hi:[1,1,0] neg_lo:[0,0,1] neg_hi:[0,0,1]
	v_pk_fma_f32 v[188:189], v[188:189], v[200:201], v[214:215] op_sel:[0,0,1] op_sel_hi:[1,0,0]
	v_dual_mov_b32 v219, v181 :: v_dual_mov_b32 v203, v183
	v_pk_fma_f32 v[180:181], v[190:191], v[200:201], v[216:217] op_sel:[0,0,1] op_sel_hi:[1,0,0]
	v_pk_fma_f32 v[182:183], v[198:199], v[200:201], v[192:193] op_sel:[0,0,1] op_sel_hi:[1,0,0]
	v_mov_b32_e32 v205, v185
	v_pk_fma_f32 v[184:185], v[190:191], v[200:201], v[216:217] op_sel:[0,0,1] op_sel_hi:[1,1,0] neg_lo:[0,0,1] neg_hi:[0,0,1]
	v_pk_fma_f32 v[186:187], v[186:187], v[120:121], v[210:211] op_sel_hi:[1,1,0] neg_lo:[0,0,1] neg_hi:[0,0,1]
	v_dual_mov_b32 v209, v189 :: v_dual_mov_b32 v185, v181
	v_pk_fma_f32 v[180:181], v[198:199], v[200:201], v[192:193] op_sel:[0,0,1] op_sel_hi:[1,1,0] neg_lo:[0,0,1] neg_hi:[0,0,1]
	v_dual_mov_b32 v187, v207 :: v_dual_mov_b32 v181, v183
	v_pk_add_f32 v[116:117], v[116:117], v[218:219] neg_lo:[0,1] neg_hi:[0,1]
	v_pk_add_f32 v[118:119], v[118:119], v[202:203] neg_lo:[0,1] neg_hi:[0,1]
	;; [unrolled: 1-line block ×3, first 2 shown]
	s_delay_alu instid0(VALU_DEP_4)
	v_pk_add_f32 v[126:127], v[126:127], v[186:187] neg_lo:[0,1] neg_hi:[0,1]
	v_pk_add_f32 v[124:125], v[124:125], v[208:209] neg_lo:[0,1] neg_hi:[0,1]
	;; [unrolled: 1-line block ×4, first 2 shown]
.LBB63_226:
	s_or_b32 exec_lo, exec_lo, s1
	s_delay_alu instid0(SALU_CYCLE_1)
	s_mov_b32 s2, exec_lo
	s_wait_dscnt 0x0
	s_barrier_signal -1
	s_barrier_wait -1
	v_cmpx_eq_u32_e32 25, v194
	s_cbranch_execz .LBB63_233
; %bb.227:
	v_dual_mov_b32 v180, v118 :: v_dual_mov_b32 v181, v119
	v_dual_mov_b32 v182, v114 :: v_dual_mov_b32 v183, v115
	;; [unrolled: 1-line block ×5, first 2 shown]
	ds_store_b64 v195, v[116:117]
	ds_store_2addr_b64 v196, v[180:181], v[182:183] offset0:26 offset1:27
	ds_store_2addr_b64 v196, v[184:185], v[186:187] offset0:28 offset1:29
	;; [unrolled: 1-line block ×3, first 2 shown]
	ds_load_b64 v[180:181], v195
	s_wait_dscnt 0x0
	v_cmp_neq_f32_e32 vcc_lo, 0, v180
	v_cmp_neq_f32_e64 s1, 0, v181
	s_or_b32 s1, vcc_lo, s1
	s_delay_alu instid0(SALU_CYCLE_1)
	s_and_b32 exec_lo, exec_lo, s1
	s_cbranch_execz .LBB63_233
; %bb.228:
	v_cmp_ngt_f32_e64 s1, |v180|, |v181|
                                        ; implicit-def: $vgpr182_vgpr183
	s_and_saveexec_b32 s4, s1
	s_delay_alu instid0(SALU_CYCLE_1)
	s_xor_b32 s1, exec_lo, s4
	s_cbranch_execz .LBB63_230
; %bb.229:
	v_div_scale_f32 v182, null, v181, v181, v180
	v_div_scale_f32 v185, vcc_lo, v180, v181, v180
	s_delay_alu instid0(VALU_DEP_2) | instskip(SKIP_1) | instid1(TRANS32_DEP_1)
	v_rcp_f32_e32 v183, v182
	v_nop
	v_fma_f32 v184, -v182, v183, 1.0
	s_delay_alu instid0(VALU_DEP_1) | instskip(NEXT) | instid1(VALU_DEP_1)
	v_fmac_f32_e32 v183, v184, v183
	v_mul_f32_e32 v184, v185, v183
	s_delay_alu instid0(VALU_DEP_1) | instskip(NEXT) | instid1(VALU_DEP_1)
	v_fma_f32 v186, -v182, v184, v185
	v_fmac_f32_e32 v184, v186, v183
	s_delay_alu instid0(VALU_DEP_1) | instskip(NEXT) | instid1(VALU_DEP_1)
	v_fma_f32 v182, -v182, v184, v185
	v_div_fmas_f32 v182, v182, v183, v184
	s_delay_alu instid0(VALU_DEP_1) | instskip(NEXT) | instid1(VALU_DEP_1)
	v_div_fixup_f32 v182, v182, v181, v180
	v_fmac_f32_e32 v181, v180, v182
	s_delay_alu instid0(VALU_DEP_1) | instskip(SKIP_1) | instid1(VALU_DEP_2)
	v_div_scale_f32 v180, null, v181, v181, 1.0
	v_div_scale_f32 v185, vcc_lo, 1.0, v181, 1.0
	v_rcp_f32_e32 v183, v180
	v_nop
	s_delay_alu instid0(TRANS32_DEP_1) | instskip(NEXT) | instid1(VALU_DEP_1)
	v_fma_f32 v184, -v180, v183, 1.0
	v_fmac_f32_e32 v183, v184, v183
	s_delay_alu instid0(VALU_DEP_1) | instskip(NEXT) | instid1(VALU_DEP_1)
	v_mul_f32_e32 v184, v185, v183
	v_fma_f32 v186, -v180, v184, v185
	s_delay_alu instid0(VALU_DEP_1) | instskip(NEXT) | instid1(VALU_DEP_1)
	v_fmac_f32_e32 v184, v186, v183
	v_fma_f32 v180, -v180, v184, v185
	s_delay_alu instid0(VALU_DEP_1) | instskip(NEXT) | instid1(VALU_DEP_1)
	v_div_fmas_f32 v180, v180, v183, v184
	v_div_fixup_f32 v180, v180, v181, 1.0
	s_delay_alu instid0(VALU_DEP_1)
	v_mul_f32_e32 v182, v182, v180
	v_xor_b32_e32 v183, 0x80000000, v180
                                        ; implicit-def: $vgpr180_vgpr181
.LBB63_230:
	s_and_not1_saveexec_b32 s1, s1
	s_cbranch_execz .LBB63_232
; %bb.231:
	v_div_scale_f32 v182, null, v180, v180, v181
	v_div_scale_f32 v185, vcc_lo, v181, v180, v181
	s_delay_alu instid0(VALU_DEP_2) | instskip(SKIP_1) | instid1(TRANS32_DEP_1)
	v_rcp_f32_e32 v183, v182
	v_nop
	v_fma_f32 v184, -v182, v183, 1.0
	s_delay_alu instid0(VALU_DEP_1) | instskip(NEXT) | instid1(VALU_DEP_1)
	v_fmac_f32_e32 v183, v184, v183
	v_mul_f32_e32 v184, v185, v183
	s_delay_alu instid0(VALU_DEP_1) | instskip(NEXT) | instid1(VALU_DEP_1)
	v_fma_f32 v186, -v182, v184, v185
	v_fmac_f32_e32 v184, v186, v183
	s_delay_alu instid0(VALU_DEP_1) | instskip(NEXT) | instid1(VALU_DEP_1)
	v_fma_f32 v182, -v182, v184, v185
	v_div_fmas_f32 v182, v182, v183, v184
	s_delay_alu instid0(VALU_DEP_1) | instskip(NEXT) | instid1(VALU_DEP_1)
	v_div_fixup_f32 v183, v182, v180, v181
	v_fmac_f32_e32 v180, v181, v183
	s_delay_alu instid0(VALU_DEP_1) | instskip(NEXT) | instid1(VALU_DEP_1)
	v_div_scale_f32 v181, null, v180, v180, 1.0
	v_rcp_f32_e32 v182, v181
	v_nop
	s_delay_alu instid0(TRANS32_DEP_1) | instskip(NEXT) | instid1(VALU_DEP_1)
	v_fma_f32 v184, -v181, v182, 1.0
	v_fmac_f32_e32 v182, v184, v182
	v_div_scale_f32 v184, vcc_lo, 1.0, v180, 1.0
	s_delay_alu instid0(VALU_DEP_1) | instskip(NEXT) | instid1(VALU_DEP_1)
	v_mul_f32_e32 v185, v184, v182
	v_fma_f32 v186, -v181, v185, v184
	s_delay_alu instid0(VALU_DEP_1) | instskip(NEXT) | instid1(VALU_DEP_1)
	v_fmac_f32_e32 v185, v186, v182
	v_fma_f32 v181, -v181, v185, v184
	s_delay_alu instid0(VALU_DEP_1) | instskip(NEXT) | instid1(VALU_DEP_1)
	v_div_fmas_f32 v181, v181, v182, v185
	v_div_fixup_f32 v182, v181, v180, 1.0
	s_delay_alu instid0(VALU_DEP_1)
	v_mul_f32_e64 v183, v183, -v182
.LBB63_232:
	s_or_b32 exec_lo, exec_lo, s1
	ds_store_b64 v195, v[182:183]
.LBB63_233:
	s_or_b32 exec_lo, exec_lo, s2
	s_wait_dscnt 0x0
	s_barrier_signal -1
	s_barrier_wait -1
	ds_load_b64 v[180:181], v195
	s_mov_b32 s1, exec_lo
	v_cmpx_lt_u32_e32 25, v194
	s_cbranch_execz .LBB63_235
; %bb.234:
	ds_load_2addr_b64 v[182:185], v196 offset0:26 offset1:27
	ds_load_2addr_b64 v[186:189], v196 offset0:28 offset1:29
	;; [unrolled: 1-line block ×3, first 2 shown]
	s_wait_dscnt 0x3
	v_pk_mul_f32 v[198:199], v[180:181], v[116:117] op_sel:[1,1] op_sel_hi:[0,1]
	s_delay_alu instid0(VALU_DEP_1) | instskip(SKIP_1) | instid1(VALU_DEP_1)
	v_pk_fma_f32 v[200:201], v[180:181], v[116:117], v[198:199] op_sel_hi:[1,0,1] neg_lo:[0,0,1] neg_hi:[0,0,1]
	v_pk_fma_f32 v[198:199], v[180:181], v[116:117], v[198:199] op_sel_hi:[1,0,1]
	v_dual_mov_b32 v116, v200 :: v_dual_mov_b32 v117, v199
	s_wait_dscnt 0x2
	s_delay_alu instid0(VALU_DEP_2)
	v_pk_mul_f32 v[202:203], v[182:183], v[198:199] op_sel:[0,1]
	v_pk_mul_f32 v[204:205], v[184:185], v[198:199] op_sel:[0,1]
	s_wait_dscnt 0x1
	v_pk_mul_f32 v[206:207], v[186:187], v[198:199] op_sel:[0,1]
	v_dual_mov_b32 v208, v189 :: v_dual_mov_b32 v209, v188
	v_dual_mul_f32 v210, v189, v199 :: v_dual_mul_f32 v212, v189, v200
	s_wait_dscnt 0x0
	v_pk_mul_f32 v[214:215], v[190:191], v[198:199] op_sel:[0,1]
	v_dual_mov_b32 v216, v193 :: v_dual_mov_b32 v217, v192
	v_dual_mul_f32 v198, v193, v199 :: v_dual_mul_f32 v218, v193, v200
	v_pk_fma_f32 v[220:221], v[182:183], v[200:201], v[202:203] op_sel:[0,0,1] op_sel_hi:[1,1,0] neg_lo:[0,0,1] neg_hi:[0,0,1]
	v_pk_fma_f32 v[182:183], v[182:183], v[200:201], v[202:203] op_sel:[0,0,1] op_sel_hi:[1,0,0]
	v_pk_fma_f32 v[202:203], v[184:185], v[200:201], v[204:205] op_sel:[0,0,1] op_sel_hi:[1,1,0] neg_lo:[0,0,1] neg_hi:[0,0,1]
	v_pk_fma_f32 v[184:185], v[184:185], v[200:201], v[204:205] op_sel:[0,0,1] op_sel_hi:[1,0,0]
	;; [unrolled: 2-line block ×3, first 2 shown]
	v_pk_fma_f32 v[206:207], v[208:209], v[116:117], v[212:213] op_sel_hi:[1,1,0]
	v_pk_fma_f32 v[208:209], v[190:191], v[200:201], v[214:215] op_sel:[0,0,1] op_sel_hi:[1,1,0] neg_lo:[0,0,1] neg_hi:[0,0,1]
	v_pk_fma_f32 v[190:191], v[190:191], v[200:201], v[214:215] op_sel:[0,0,1] op_sel_hi:[1,0,0]
	v_dual_mov_b32 v221, v183 :: v_dual_mov_b32 v203, v185
	v_pk_fma_f32 v[182:183], v[216:217], v[116:117], v[218:219] op_sel_hi:[1,1,0]
	v_pk_fma_f32 v[188:189], v[188:189], v[116:117], v[210:211] op_sel_hi:[1,1,0] neg_lo:[0,0,1] neg_hi:[0,0,1]
	v_pk_fma_f32 v[184:185], v[192:193], v[116:117], v[198:199] op_sel_hi:[1,1,0] neg_lo:[0,0,1] neg_hi:[0,0,1]
	v_dual_mov_b32 v205, v187 :: v_dual_mov_b32 v189, v207
	s_delay_alu instid0(VALU_DEP_4) | instskip(SKIP_2) | instid1(VALU_DEP_4)
	v_dual_mov_b32 v209, v191 :: v_dual_mov_b32 v185, v183
	v_pk_add_f32 v[118:119], v[118:119], v[220:221] neg_lo:[0,1] neg_hi:[0,1]
	v_pk_add_f32 v[114:115], v[114:115], v[202:203] neg_lo:[0,1] neg_hi:[0,1]
	;; [unrolled: 1-line block ×6, first 2 shown]
.LBB63_235:
	s_or_b32 exec_lo, exec_lo, s1
	s_delay_alu instid0(SALU_CYCLE_1)
	s_mov_b32 s2, exec_lo
	s_wait_dscnt 0x0
	s_barrier_signal -1
	s_barrier_wait -1
	v_cmpx_eq_u32_e32 26, v194
	s_cbranch_execz .LBB63_242
; %bb.236:
	ds_store_b64 v195, v[118:119]
	ds_store_2addr_b64 v196, v[114:115], v[126:127] offset0:27 offset1:28
	ds_store_2addr_b64 v196, v[124:125], v[122:123] offset0:29 offset1:30
	ds_store_b64 v196, v[128:129] offset:248
	ds_load_b64 v[182:183], v195
	s_wait_dscnt 0x0
	v_cmp_neq_f32_e32 vcc_lo, 0, v182
	v_cmp_neq_f32_e64 s1, 0, v183
	s_or_b32 s1, vcc_lo, s1
	s_delay_alu instid0(SALU_CYCLE_1)
	s_and_b32 exec_lo, exec_lo, s1
	s_cbranch_execz .LBB63_242
; %bb.237:
	v_cmp_ngt_f32_e64 s1, |v182|, |v183|
                                        ; implicit-def: $vgpr184_vgpr185
	s_and_saveexec_b32 s4, s1
	s_delay_alu instid0(SALU_CYCLE_1)
	s_xor_b32 s1, exec_lo, s4
	s_cbranch_execz .LBB63_239
; %bb.238:
	v_div_scale_f32 v184, null, v183, v183, v182
	v_div_scale_f32 v187, vcc_lo, v182, v183, v182
	s_delay_alu instid0(VALU_DEP_2) | instskip(SKIP_1) | instid1(TRANS32_DEP_1)
	v_rcp_f32_e32 v185, v184
	v_nop
	v_fma_f32 v186, -v184, v185, 1.0
	s_delay_alu instid0(VALU_DEP_1) | instskip(NEXT) | instid1(VALU_DEP_1)
	v_fmac_f32_e32 v185, v186, v185
	v_mul_f32_e32 v186, v187, v185
	s_delay_alu instid0(VALU_DEP_1) | instskip(NEXT) | instid1(VALU_DEP_1)
	v_fma_f32 v188, -v184, v186, v187
	v_fmac_f32_e32 v186, v188, v185
	s_delay_alu instid0(VALU_DEP_1) | instskip(NEXT) | instid1(VALU_DEP_1)
	v_fma_f32 v184, -v184, v186, v187
	v_div_fmas_f32 v184, v184, v185, v186
	s_delay_alu instid0(VALU_DEP_1) | instskip(NEXT) | instid1(VALU_DEP_1)
	v_div_fixup_f32 v184, v184, v183, v182
	v_fmac_f32_e32 v183, v182, v184
	s_delay_alu instid0(VALU_DEP_1) | instskip(SKIP_1) | instid1(VALU_DEP_2)
	v_div_scale_f32 v182, null, v183, v183, 1.0
	v_div_scale_f32 v187, vcc_lo, 1.0, v183, 1.0
	v_rcp_f32_e32 v185, v182
	v_nop
	s_delay_alu instid0(TRANS32_DEP_1) | instskip(NEXT) | instid1(VALU_DEP_1)
	v_fma_f32 v186, -v182, v185, 1.0
	v_fmac_f32_e32 v185, v186, v185
	s_delay_alu instid0(VALU_DEP_1) | instskip(NEXT) | instid1(VALU_DEP_1)
	v_mul_f32_e32 v186, v187, v185
	v_fma_f32 v188, -v182, v186, v187
	s_delay_alu instid0(VALU_DEP_1) | instskip(NEXT) | instid1(VALU_DEP_1)
	v_fmac_f32_e32 v186, v188, v185
	v_fma_f32 v182, -v182, v186, v187
	s_delay_alu instid0(VALU_DEP_1) | instskip(NEXT) | instid1(VALU_DEP_1)
	v_div_fmas_f32 v182, v182, v185, v186
	v_div_fixup_f32 v182, v182, v183, 1.0
	s_delay_alu instid0(VALU_DEP_1)
	v_mul_f32_e32 v184, v184, v182
	v_xor_b32_e32 v185, 0x80000000, v182
                                        ; implicit-def: $vgpr182_vgpr183
.LBB63_239:
	s_and_not1_saveexec_b32 s1, s1
	s_cbranch_execz .LBB63_241
; %bb.240:
	v_div_scale_f32 v184, null, v182, v182, v183
	v_div_scale_f32 v187, vcc_lo, v183, v182, v183
	s_delay_alu instid0(VALU_DEP_2) | instskip(SKIP_1) | instid1(TRANS32_DEP_1)
	v_rcp_f32_e32 v185, v184
	v_nop
	v_fma_f32 v186, -v184, v185, 1.0
	s_delay_alu instid0(VALU_DEP_1) | instskip(NEXT) | instid1(VALU_DEP_1)
	v_fmac_f32_e32 v185, v186, v185
	v_mul_f32_e32 v186, v187, v185
	s_delay_alu instid0(VALU_DEP_1) | instskip(NEXT) | instid1(VALU_DEP_1)
	v_fma_f32 v188, -v184, v186, v187
	v_fmac_f32_e32 v186, v188, v185
	s_delay_alu instid0(VALU_DEP_1) | instskip(NEXT) | instid1(VALU_DEP_1)
	v_fma_f32 v184, -v184, v186, v187
	v_div_fmas_f32 v184, v184, v185, v186
	s_delay_alu instid0(VALU_DEP_1) | instskip(NEXT) | instid1(VALU_DEP_1)
	v_div_fixup_f32 v185, v184, v182, v183
	v_fmac_f32_e32 v182, v183, v185
	s_delay_alu instid0(VALU_DEP_1) | instskip(NEXT) | instid1(VALU_DEP_1)
	v_div_scale_f32 v183, null, v182, v182, 1.0
	v_rcp_f32_e32 v184, v183
	v_nop
	s_delay_alu instid0(TRANS32_DEP_1) | instskip(NEXT) | instid1(VALU_DEP_1)
	v_fma_f32 v186, -v183, v184, 1.0
	v_fmac_f32_e32 v184, v186, v184
	v_div_scale_f32 v186, vcc_lo, 1.0, v182, 1.0
	s_delay_alu instid0(VALU_DEP_1) | instskip(NEXT) | instid1(VALU_DEP_1)
	v_mul_f32_e32 v187, v186, v184
	v_fma_f32 v188, -v183, v187, v186
	s_delay_alu instid0(VALU_DEP_1) | instskip(NEXT) | instid1(VALU_DEP_1)
	v_fmac_f32_e32 v187, v188, v184
	v_fma_f32 v183, -v183, v187, v186
	s_delay_alu instid0(VALU_DEP_1) | instskip(NEXT) | instid1(VALU_DEP_1)
	v_div_fmas_f32 v183, v183, v184, v187
	v_div_fixup_f32 v184, v183, v182, 1.0
	s_delay_alu instid0(VALU_DEP_1)
	v_mul_f32_e64 v185, v185, -v184
.LBB63_241:
	s_or_b32 exec_lo, exec_lo, s1
	ds_store_b64 v195, v[184:185]
.LBB63_242:
	s_or_b32 exec_lo, exec_lo, s2
	s_wait_dscnt 0x0
	s_barrier_signal -1
	s_barrier_wait -1
	ds_load_b64 v[182:183], v195
	s_mov_b32 s1, exec_lo
	v_cmpx_lt_u32_e32 26, v194
	s_cbranch_execz .LBB63_244
; %bb.243:
	ds_load_2addr_b64 v[184:187], v196 offset0:27 offset1:28
	ds_load_2addr_b64 v[188:191], v196 offset0:29 offset1:30
	ds_load_b64 v[192:193], v196 offset:248
	s_wait_dscnt 0x3
	v_pk_mul_f32 v[198:199], v[182:183], v[118:119] op_sel:[1,1] op_sel_hi:[0,1]
	s_delay_alu instid0(VALU_DEP_1) | instskip(SKIP_1) | instid1(VALU_DEP_1)
	v_pk_fma_f32 v[200:201], v[182:183], v[118:119], v[198:199] op_sel_hi:[1,0,1] neg_lo:[0,0,1] neg_hi:[0,0,1]
	v_pk_fma_f32 v[198:199], v[182:183], v[118:119], v[198:199] op_sel_hi:[1,0,1]
	v_dual_mov_b32 v118, v200 :: v_dual_mov_b32 v119, v199
	s_wait_dscnt 0x2
	s_delay_alu instid0(VALU_DEP_2)
	v_pk_mul_f32 v[202:203], v[184:185], v[198:199] op_sel:[0,1]
	v_pk_mul_f32 v[204:205], v[186:187], v[198:199] op_sel:[0,1]
	s_wait_dscnt 0x1
	v_pk_mul_f32 v[206:207], v[188:189], v[198:199] op_sel:[0,1]
	v_dual_mov_b32 v208, v191 :: v_dual_mov_b32 v209, v190
	v_dual_mul_f32 v210, v191, v199 :: v_dual_mul_f32 v212, v191, v200
	s_wait_dscnt 0x0
	v_pk_mul_f32 v[198:199], v[192:193], v[198:199] op_sel:[0,1]
	v_pk_fma_f32 v[214:215], v[184:185], v[200:201], v[202:203] op_sel:[0,0,1] op_sel_hi:[1,1,0] neg_lo:[0,0,1] neg_hi:[0,0,1]
	v_pk_fma_f32 v[184:185], v[184:185], v[200:201], v[202:203] op_sel:[0,0,1] op_sel_hi:[1,0,0]
	v_pk_fma_f32 v[202:203], v[186:187], v[200:201], v[204:205] op_sel:[0,0,1] op_sel_hi:[1,1,0] neg_lo:[0,0,1] neg_hi:[0,0,1]
	v_pk_fma_f32 v[186:187], v[186:187], v[200:201], v[204:205] op_sel:[0,0,1] op_sel_hi:[1,0,0]
	;; [unrolled: 2-line block ×3, first 2 shown]
	v_pk_fma_f32 v[206:207], v[208:209], v[118:119], v[212:213] op_sel_hi:[1,1,0]
	v_pk_fma_f32 v[208:209], v[192:193], v[200:201], v[198:199] op_sel:[0,0,1] op_sel_hi:[1,1,0] neg_lo:[0,0,1] neg_hi:[0,0,1]
	v_pk_fma_f32 v[192:193], v[192:193], v[200:201], v[198:199] op_sel:[0,0,1] op_sel_hi:[1,0,0]
	v_pk_fma_f32 v[190:191], v[190:191], v[118:119], v[210:211] op_sel_hi:[1,1,0] neg_lo:[0,0,1] neg_hi:[0,0,1]
	v_dual_mov_b32 v215, v185 :: v_dual_mov_b32 v203, v187
	v_dual_mov_b32 v205, v189 :: v_dual_mov_b32 v191, v207
	s_delay_alu instid0(VALU_DEP_4) | instskip(NEXT) | instid1(VALU_DEP_3)
	v_mov_b32_e32 v209, v193
	v_pk_add_f32 v[114:115], v[114:115], v[214:215] neg_lo:[0,1] neg_hi:[0,1]
	s_delay_alu instid0(VALU_DEP_4) | instskip(NEXT) | instid1(VALU_DEP_4)
	v_pk_add_f32 v[126:127], v[126:127], v[202:203] neg_lo:[0,1] neg_hi:[0,1]
	v_pk_add_f32 v[124:125], v[124:125], v[204:205] neg_lo:[0,1] neg_hi:[0,1]
	;; [unrolled: 1-line block ×4, first 2 shown]
.LBB63_244:
	s_or_b32 exec_lo, exec_lo, s1
	s_delay_alu instid0(SALU_CYCLE_1)
	s_mov_b32 s2, exec_lo
	s_wait_dscnt 0x0
	s_barrier_signal -1
	s_barrier_wait -1
	v_cmpx_eq_u32_e32 27, v194
	s_cbranch_execz .LBB63_251
; %bb.245:
	v_dual_mov_b32 v184, v126 :: v_dual_mov_b32 v185, v127
	v_dual_mov_b32 v186, v124 :: v_dual_mov_b32 v187, v125
	;; [unrolled: 1-line block ×3, first 2 shown]
	ds_store_b64 v195, v[114:115]
	ds_store_2addr_b64 v196, v[184:185], v[186:187] offset0:28 offset1:29
	ds_store_2addr_b64 v196, v[188:189], v[128:129] offset0:30 offset1:31
	ds_load_b64 v[184:185], v195
	s_wait_dscnt 0x0
	v_cmp_neq_f32_e32 vcc_lo, 0, v184
	v_cmp_neq_f32_e64 s1, 0, v185
	s_or_b32 s1, vcc_lo, s1
	s_delay_alu instid0(SALU_CYCLE_1)
	s_and_b32 exec_lo, exec_lo, s1
	s_cbranch_execz .LBB63_251
; %bb.246:
	v_cmp_ngt_f32_e64 s1, |v184|, |v185|
                                        ; implicit-def: $vgpr186_vgpr187
	s_and_saveexec_b32 s4, s1
	s_delay_alu instid0(SALU_CYCLE_1)
	s_xor_b32 s1, exec_lo, s4
	s_cbranch_execz .LBB63_248
; %bb.247:
	v_div_scale_f32 v186, null, v185, v185, v184
	v_div_scale_f32 v189, vcc_lo, v184, v185, v184
	s_delay_alu instid0(VALU_DEP_2) | instskip(SKIP_1) | instid1(TRANS32_DEP_1)
	v_rcp_f32_e32 v187, v186
	v_nop
	v_fma_f32 v188, -v186, v187, 1.0
	s_delay_alu instid0(VALU_DEP_1) | instskip(NEXT) | instid1(VALU_DEP_1)
	v_fmac_f32_e32 v187, v188, v187
	v_mul_f32_e32 v188, v189, v187
	s_delay_alu instid0(VALU_DEP_1) | instskip(NEXT) | instid1(VALU_DEP_1)
	v_fma_f32 v190, -v186, v188, v189
	v_fmac_f32_e32 v188, v190, v187
	s_delay_alu instid0(VALU_DEP_1) | instskip(NEXT) | instid1(VALU_DEP_1)
	v_fma_f32 v186, -v186, v188, v189
	v_div_fmas_f32 v186, v186, v187, v188
	s_delay_alu instid0(VALU_DEP_1) | instskip(NEXT) | instid1(VALU_DEP_1)
	v_div_fixup_f32 v186, v186, v185, v184
	v_fmac_f32_e32 v185, v184, v186
	s_delay_alu instid0(VALU_DEP_1) | instskip(SKIP_1) | instid1(VALU_DEP_2)
	v_div_scale_f32 v184, null, v185, v185, 1.0
	v_div_scale_f32 v189, vcc_lo, 1.0, v185, 1.0
	v_rcp_f32_e32 v187, v184
	v_nop
	s_delay_alu instid0(TRANS32_DEP_1) | instskip(NEXT) | instid1(VALU_DEP_1)
	v_fma_f32 v188, -v184, v187, 1.0
	v_fmac_f32_e32 v187, v188, v187
	s_delay_alu instid0(VALU_DEP_1) | instskip(NEXT) | instid1(VALU_DEP_1)
	v_mul_f32_e32 v188, v189, v187
	v_fma_f32 v190, -v184, v188, v189
	s_delay_alu instid0(VALU_DEP_1) | instskip(NEXT) | instid1(VALU_DEP_1)
	v_fmac_f32_e32 v188, v190, v187
	v_fma_f32 v184, -v184, v188, v189
	s_delay_alu instid0(VALU_DEP_1) | instskip(NEXT) | instid1(VALU_DEP_1)
	v_div_fmas_f32 v184, v184, v187, v188
	v_div_fixup_f32 v184, v184, v185, 1.0
	s_delay_alu instid0(VALU_DEP_1)
	v_mul_f32_e32 v186, v186, v184
	v_xor_b32_e32 v187, 0x80000000, v184
                                        ; implicit-def: $vgpr184_vgpr185
.LBB63_248:
	s_and_not1_saveexec_b32 s1, s1
	s_cbranch_execz .LBB63_250
; %bb.249:
	v_div_scale_f32 v186, null, v184, v184, v185
	v_div_scale_f32 v189, vcc_lo, v185, v184, v185
	s_delay_alu instid0(VALU_DEP_2) | instskip(SKIP_1) | instid1(TRANS32_DEP_1)
	v_rcp_f32_e32 v187, v186
	v_nop
	v_fma_f32 v188, -v186, v187, 1.0
	s_delay_alu instid0(VALU_DEP_1) | instskip(NEXT) | instid1(VALU_DEP_1)
	v_fmac_f32_e32 v187, v188, v187
	v_mul_f32_e32 v188, v189, v187
	s_delay_alu instid0(VALU_DEP_1) | instskip(NEXT) | instid1(VALU_DEP_1)
	v_fma_f32 v190, -v186, v188, v189
	v_fmac_f32_e32 v188, v190, v187
	s_delay_alu instid0(VALU_DEP_1) | instskip(NEXT) | instid1(VALU_DEP_1)
	v_fma_f32 v186, -v186, v188, v189
	v_div_fmas_f32 v186, v186, v187, v188
	s_delay_alu instid0(VALU_DEP_1) | instskip(NEXT) | instid1(VALU_DEP_1)
	v_div_fixup_f32 v187, v186, v184, v185
	v_fmac_f32_e32 v184, v185, v187
	s_delay_alu instid0(VALU_DEP_1) | instskip(NEXT) | instid1(VALU_DEP_1)
	v_div_scale_f32 v185, null, v184, v184, 1.0
	v_rcp_f32_e32 v186, v185
	v_nop
	s_delay_alu instid0(TRANS32_DEP_1) | instskip(NEXT) | instid1(VALU_DEP_1)
	v_fma_f32 v188, -v185, v186, 1.0
	v_fmac_f32_e32 v186, v188, v186
	v_div_scale_f32 v188, vcc_lo, 1.0, v184, 1.0
	s_delay_alu instid0(VALU_DEP_1) | instskip(NEXT) | instid1(VALU_DEP_1)
	v_mul_f32_e32 v189, v188, v186
	v_fma_f32 v190, -v185, v189, v188
	s_delay_alu instid0(VALU_DEP_1) | instskip(NEXT) | instid1(VALU_DEP_1)
	v_fmac_f32_e32 v189, v190, v186
	v_fma_f32 v185, -v185, v189, v188
	s_delay_alu instid0(VALU_DEP_1) | instskip(NEXT) | instid1(VALU_DEP_1)
	v_div_fmas_f32 v185, v185, v186, v189
	v_div_fixup_f32 v186, v185, v184, 1.0
	s_delay_alu instid0(VALU_DEP_1)
	v_mul_f32_e64 v187, v187, -v186
.LBB63_250:
	s_or_b32 exec_lo, exec_lo, s1
	ds_store_b64 v195, v[186:187]
.LBB63_251:
	s_or_b32 exec_lo, exec_lo, s2
	s_wait_dscnt 0x0
	s_barrier_signal -1
	s_barrier_wait -1
	ds_load_b64 v[184:185], v195
	s_mov_b32 s1, exec_lo
	v_cmpx_lt_u32_e32 27, v194
	s_cbranch_execz .LBB63_253
; %bb.252:
	ds_load_2addr_b64 v[186:189], v196 offset0:28 offset1:29
	ds_load_2addr_b64 v[190:193], v196 offset0:30 offset1:31
	s_wait_dscnt 0x2
	v_pk_mul_f32 v[198:199], v[184:185], v[114:115] op_sel:[1,1] op_sel_hi:[0,1]
	s_delay_alu instid0(VALU_DEP_1) | instskip(SKIP_1) | instid1(VALU_DEP_1)
	v_pk_fma_f32 v[200:201], v[184:185], v[114:115], v[198:199] op_sel_hi:[1,0,1] neg_lo:[0,0,1] neg_hi:[0,0,1]
	v_pk_fma_f32 v[198:199], v[184:185], v[114:115], v[198:199] op_sel_hi:[1,0,1]
	v_dual_mov_b32 v114, v200 :: v_dual_mov_b32 v115, v199
	s_wait_dscnt 0x1
	s_delay_alu instid0(VALU_DEP_2)
	v_pk_mul_f32 v[202:203], v[186:187], v[198:199] op_sel:[0,1]
	s_wait_dscnt 0x0
	v_mov_b32_e32 v204, v193
	v_pk_mul_f32 v[206:207], v[188:189], v[198:199] op_sel:[0,1]
	v_pk_mul_f32 v[208:209], v[190:191], v[198:199] op_sel:[0,1]
	v_pk_fma_f32 v[210:211], v[186:187], v[200:201], v[202:203] op_sel:[0,0,1] op_sel_hi:[1,1,0] neg_lo:[0,0,1] neg_hi:[0,0,1]
	v_pk_fma_f32 v[186:187], v[186:187], v[200:201], v[202:203] op_sel:[0,0,1] op_sel_hi:[1,0,0]
	s_delay_alu instid0(VALU_DEP_1) | instskip(NEXT) | instid1(VALU_DEP_1)
	v_dual_mov_b32 v205, v192 :: v_dual_mov_b32 v211, v187
	v_pk_mul_f32 v[202:203], v[204:205], v[198:199] op_sel:[0,1]
	v_pk_fma_f32 v[204:205], v[188:189], v[200:201], v[206:207] op_sel:[0,0,1] op_sel_hi:[1,0,0]
	v_pk_fma_f32 v[188:189], v[188:189], v[200:201], v[206:207] op_sel:[0,0,1] op_sel_hi:[1,1,0] neg_lo:[0,0,1] neg_hi:[0,0,1]
	v_pk_fma_f32 v[206:207], v[190:191], v[200:201], v[208:209] op_sel:[0,0,1] op_sel_hi:[1,0,0]
	v_pk_fma_f32 v[190:191], v[190:191], v[200:201], v[208:209] op_sel:[0,0,1] op_sel_hi:[1,1,0] neg_lo:[0,0,1] neg_hi:[0,0,1]
	v_pk_fma_f32 v[186:187], v[192:193], v[200:201], v[202:203] op_sel_hi:[1,0,1]
	v_pk_fma_f32 v[192:193], v[192:193], v[200:201], v[202:203] neg_lo:[0,0,1] neg_hi:[0,0,1]
	s_delay_alu instid0(VALU_DEP_4) | instskip(SKIP_1) | instid1(VALU_DEP_4)
	v_dual_mov_b32 v189, v205 :: v_dual_mov_b32 v191, v207
	v_pk_add_f32 v[126:127], v[126:127], v[210:211] neg_lo:[0,1] neg_hi:[0,1]
	v_mov_b32_e32 v193, v187
	s_delay_alu instid0(VALU_DEP_3) | instskip(NEXT) | instid1(VALU_DEP_4)
	v_pk_add_f32 v[124:125], v[124:125], v[188:189] neg_lo:[0,1] neg_hi:[0,1]
	v_pk_add_f32 v[122:123], v[122:123], v[190:191] neg_lo:[0,1] neg_hi:[0,1]
	s_delay_alu instid0(VALU_DEP_3)
	v_pk_add_f32 v[128:129], v[128:129], v[192:193] neg_lo:[0,1] neg_hi:[0,1]
.LBB63_253:
	s_or_b32 exec_lo, exec_lo, s1
	s_delay_alu instid0(SALU_CYCLE_1)
	s_mov_b32 s2, exec_lo
	s_wait_dscnt 0x0
	s_barrier_signal -1
	s_barrier_wait -1
	v_cmpx_eq_u32_e32 28, v194
	s_cbranch_execz .LBB63_260
; %bb.254:
	ds_store_b64 v195, v[126:127]
	ds_store_2addr_b64 v196, v[124:125], v[122:123] offset0:29 offset1:30
	ds_store_b64 v196, v[128:129] offset:248
	ds_load_b64 v[186:187], v195
	s_wait_dscnt 0x0
	v_cmp_neq_f32_e32 vcc_lo, 0, v186
	v_cmp_neq_f32_e64 s1, 0, v187
	s_or_b32 s1, vcc_lo, s1
	s_delay_alu instid0(SALU_CYCLE_1)
	s_and_b32 exec_lo, exec_lo, s1
	s_cbranch_execz .LBB63_260
; %bb.255:
	v_cmp_ngt_f32_e64 s1, |v186|, |v187|
                                        ; implicit-def: $vgpr188_vgpr189
	s_and_saveexec_b32 s4, s1
	s_delay_alu instid0(SALU_CYCLE_1)
	s_xor_b32 s1, exec_lo, s4
	s_cbranch_execz .LBB63_257
; %bb.256:
	v_div_scale_f32 v188, null, v187, v187, v186
	v_div_scale_f32 v191, vcc_lo, v186, v187, v186
	s_delay_alu instid0(VALU_DEP_2) | instskip(SKIP_1) | instid1(TRANS32_DEP_1)
	v_rcp_f32_e32 v189, v188
	v_nop
	v_fma_f32 v190, -v188, v189, 1.0
	s_delay_alu instid0(VALU_DEP_1) | instskip(NEXT) | instid1(VALU_DEP_1)
	v_fmac_f32_e32 v189, v190, v189
	v_mul_f32_e32 v190, v191, v189
	s_delay_alu instid0(VALU_DEP_1) | instskip(NEXT) | instid1(VALU_DEP_1)
	v_fma_f32 v192, -v188, v190, v191
	v_fmac_f32_e32 v190, v192, v189
	s_delay_alu instid0(VALU_DEP_1) | instskip(NEXT) | instid1(VALU_DEP_1)
	v_fma_f32 v188, -v188, v190, v191
	v_div_fmas_f32 v188, v188, v189, v190
	s_delay_alu instid0(VALU_DEP_1) | instskip(NEXT) | instid1(VALU_DEP_1)
	v_div_fixup_f32 v188, v188, v187, v186
	v_fmac_f32_e32 v187, v186, v188
	s_delay_alu instid0(VALU_DEP_1) | instskip(SKIP_1) | instid1(VALU_DEP_2)
	v_div_scale_f32 v186, null, v187, v187, 1.0
	v_div_scale_f32 v191, vcc_lo, 1.0, v187, 1.0
	v_rcp_f32_e32 v189, v186
	v_nop
	s_delay_alu instid0(TRANS32_DEP_1) | instskip(NEXT) | instid1(VALU_DEP_1)
	v_fma_f32 v190, -v186, v189, 1.0
	v_fmac_f32_e32 v189, v190, v189
	s_delay_alu instid0(VALU_DEP_1) | instskip(NEXT) | instid1(VALU_DEP_1)
	v_mul_f32_e32 v190, v191, v189
	v_fma_f32 v192, -v186, v190, v191
	s_delay_alu instid0(VALU_DEP_1) | instskip(NEXT) | instid1(VALU_DEP_1)
	v_fmac_f32_e32 v190, v192, v189
	v_fma_f32 v186, -v186, v190, v191
	s_delay_alu instid0(VALU_DEP_1) | instskip(NEXT) | instid1(VALU_DEP_1)
	v_div_fmas_f32 v186, v186, v189, v190
	v_div_fixup_f32 v186, v186, v187, 1.0
	s_delay_alu instid0(VALU_DEP_1)
	v_mul_f32_e32 v188, v188, v186
	v_xor_b32_e32 v189, 0x80000000, v186
                                        ; implicit-def: $vgpr186_vgpr187
.LBB63_257:
	s_and_not1_saveexec_b32 s1, s1
	s_cbranch_execz .LBB63_259
; %bb.258:
	v_div_scale_f32 v188, null, v186, v186, v187
	v_div_scale_f32 v191, vcc_lo, v187, v186, v187
	s_delay_alu instid0(VALU_DEP_2) | instskip(SKIP_1) | instid1(TRANS32_DEP_1)
	v_rcp_f32_e32 v189, v188
	v_nop
	v_fma_f32 v190, -v188, v189, 1.0
	s_delay_alu instid0(VALU_DEP_1) | instskip(NEXT) | instid1(VALU_DEP_1)
	v_fmac_f32_e32 v189, v190, v189
	v_mul_f32_e32 v190, v191, v189
	s_delay_alu instid0(VALU_DEP_1) | instskip(NEXT) | instid1(VALU_DEP_1)
	v_fma_f32 v192, -v188, v190, v191
	v_fmac_f32_e32 v190, v192, v189
	s_delay_alu instid0(VALU_DEP_1) | instskip(NEXT) | instid1(VALU_DEP_1)
	v_fma_f32 v188, -v188, v190, v191
	v_div_fmas_f32 v188, v188, v189, v190
	s_delay_alu instid0(VALU_DEP_1) | instskip(NEXT) | instid1(VALU_DEP_1)
	v_div_fixup_f32 v189, v188, v186, v187
	v_fmac_f32_e32 v186, v187, v189
	s_delay_alu instid0(VALU_DEP_1) | instskip(NEXT) | instid1(VALU_DEP_1)
	v_div_scale_f32 v187, null, v186, v186, 1.0
	v_rcp_f32_e32 v188, v187
	v_nop
	s_delay_alu instid0(TRANS32_DEP_1) | instskip(NEXT) | instid1(VALU_DEP_1)
	v_fma_f32 v190, -v187, v188, 1.0
	v_fmac_f32_e32 v188, v190, v188
	v_div_scale_f32 v190, vcc_lo, 1.0, v186, 1.0
	s_delay_alu instid0(VALU_DEP_1) | instskip(NEXT) | instid1(VALU_DEP_1)
	v_mul_f32_e32 v191, v190, v188
	v_fma_f32 v192, -v187, v191, v190
	s_delay_alu instid0(VALU_DEP_1) | instskip(NEXT) | instid1(VALU_DEP_1)
	v_fmac_f32_e32 v191, v192, v188
	v_fma_f32 v187, -v187, v191, v190
	s_delay_alu instid0(VALU_DEP_1) | instskip(NEXT) | instid1(VALU_DEP_1)
	v_div_fmas_f32 v187, v187, v188, v191
	v_div_fixup_f32 v188, v187, v186, 1.0
	s_delay_alu instid0(VALU_DEP_1)
	v_mul_f32_e64 v189, v189, -v188
.LBB63_259:
	s_or_b32 exec_lo, exec_lo, s1
	ds_store_b64 v195, v[188:189]
.LBB63_260:
	s_or_b32 exec_lo, exec_lo, s2
	s_wait_dscnt 0x0
	s_barrier_signal -1
	s_barrier_wait -1
	ds_load_b64 v[186:187], v195
	s_mov_b32 s1, exec_lo
	v_cmpx_lt_u32_e32 28, v194
	s_cbranch_execz .LBB63_262
; %bb.261:
	ds_load_2addr_b64 v[188:191], v196 offset0:29 offset1:30
	ds_load_b64 v[192:193], v196 offset:248
	s_wait_dscnt 0x2
	v_pk_mul_f32 v[198:199], v[186:187], v[126:127] op_sel:[1,1] op_sel_hi:[0,1]
	s_delay_alu instid0(VALU_DEP_1) | instskip(SKIP_2) | instid1(VALU_DEP_2)
	v_pk_fma_f32 v[200:201], v[186:187], v[126:127], v[198:199] op_sel_hi:[1,0,1]
	v_pk_fma_f32 v[126:127], v[186:187], v[126:127], v[198:199] op_sel_hi:[1,0,1] neg_lo:[0,0,1] neg_hi:[0,0,1]
	s_wait_dscnt 0x1
	v_pk_mul_f32 v[198:199], v[188:189], v[200:201] op_sel:[0,1]
	v_pk_mul_f32 v[202:203], v[190:191], v[200:201] op_sel:[0,1]
	s_wait_dscnt 0x0
	v_pk_mul_f32 v[204:205], v[192:193], v[200:201] op_sel:[1,1] op_sel_hi:[0,1]
	s_delay_alu instid0(VALU_DEP_3) | instskip(SKIP_2) | instid1(VALU_DEP_4)
	v_pk_fma_f32 v[206:207], v[188:189], v[126:127], v[198:199] op_sel:[0,0,1] op_sel_hi:[1,1,0] neg_lo:[0,0,1] neg_hi:[0,0,1]
	v_pk_fma_f32 v[188:189], v[188:189], v[126:127], v[198:199] op_sel:[0,0,1] op_sel_hi:[1,0,0]
	v_pk_fma_f32 v[198:199], v[190:191], v[126:127], v[202:203] op_sel:[0,0,1] op_sel_hi:[1,0,0]
	v_pk_fma_f32 v[208:209], v[192:193], v[126:127], v[204:205] op_sel_hi:[1,0,1]
	v_pk_fma_f32 v[190:191], v[190:191], v[126:127], v[202:203] op_sel:[0,0,1] op_sel_hi:[1,1,0] neg_lo:[0,0,1] neg_hi:[0,0,1]
	v_pk_fma_f32 v[192:193], v[192:193], v[126:127], v[204:205] neg_lo:[0,0,1] neg_hi:[0,0,1]
	s_delay_alu instid0(VALU_DEP_4) | instskip(NEXT) | instid1(VALU_DEP_4)
	v_dual_mov_b32 v207, v189 :: v_dual_mov_b32 v191, v199
	v_dual_mov_b32 v193, v209 :: v_dual_mov_b32 v127, v201
	s_delay_alu instid0(VALU_DEP_2) | instskip(NEXT) | instid1(VALU_DEP_3)
	v_pk_add_f32 v[124:125], v[124:125], v[206:207] neg_lo:[0,1] neg_hi:[0,1]
	v_pk_add_f32 v[122:123], v[122:123], v[190:191] neg_lo:[0,1] neg_hi:[0,1]
	s_delay_alu instid0(VALU_DEP_3)
	v_pk_add_f32 v[128:129], v[128:129], v[192:193] neg_lo:[0,1] neg_hi:[0,1]
.LBB63_262:
	s_or_b32 exec_lo, exec_lo, s1
	s_delay_alu instid0(SALU_CYCLE_1)
	s_mov_b32 s2, exec_lo
	s_wait_dscnt 0x0
	s_barrier_signal -1
	s_barrier_wait -1
	v_cmpx_eq_u32_e32 29, v194
	s_cbranch_execz .LBB63_269
; %bb.263:
	v_dual_mov_b32 v188, v122 :: v_dual_mov_b32 v189, v123
	ds_store_b64 v195, v[124:125]
	ds_store_2addr_b64 v196, v[188:189], v[128:129] offset0:30 offset1:31
	ds_load_b64 v[188:189], v195
	s_wait_dscnt 0x0
	v_cmp_neq_f32_e32 vcc_lo, 0, v188
	v_cmp_neq_f32_e64 s1, 0, v189
	s_or_b32 s1, vcc_lo, s1
	s_delay_alu instid0(SALU_CYCLE_1)
	s_and_b32 exec_lo, exec_lo, s1
	s_cbranch_execz .LBB63_269
; %bb.264:
	v_cmp_ngt_f32_e64 s1, |v188|, |v189|
                                        ; implicit-def: $vgpr190_vgpr191
	s_and_saveexec_b32 s4, s1
	s_delay_alu instid0(SALU_CYCLE_1)
	s_xor_b32 s1, exec_lo, s4
	s_cbranch_execz .LBB63_266
; %bb.265:
	v_div_scale_f32 v190, null, v189, v189, v188
	v_div_scale_f32 v193, vcc_lo, v188, v189, v188
	s_delay_alu instid0(VALU_DEP_2) | instskip(SKIP_1) | instid1(TRANS32_DEP_1)
	v_rcp_f32_e32 v191, v190
	v_nop
	v_fma_f32 v192, -v190, v191, 1.0
	s_delay_alu instid0(VALU_DEP_1) | instskip(NEXT) | instid1(VALU_DEP_1)
	v_fmac_f32_e32 v191, v192, v191
	v_mul_f32_e32 v192, v193, v191
	s_delay_alu instid0(VALU_DEP_1) | instskip(NEXT) | instid1(VALU_DEP_1)
	v_fma_f32 v197, -v190, v192, v193
	v_fmac_f32_e32 v192, v197, v191
	s_delay_alu instid0(VALU_DEP_1) | instskip(NEXT) | instid1(VALU_DEP_1)
	v_fma_f32 v190, -v190, v192, v193
	v_div_fmas_f32 v190, v190, v191, v192
	s_delay_alu instid0(VALU_DEP_1) | instskip(NEXT) | instid1(VALU_DEP_1)
	v_div_fixup_f32 v190, v190, v189, v188
	v_fmac_f32_e32 v189, v188, v190
	s_delay_alu instid0(VALU_DEP_1) | instskip(SKIP_1) | instid1(VALU_DEP_2)
	v_div_scale_f32 v188, null, v189, v189, 1.0
	v_div_scale_f32 v193, vcc_lo, 1.0, v189, 1.0
	v_rcp_f32_e32 v191, v188
	v_nop
	s_delay_alu instid0(TRANS32_DEP_1) | instskip(NEXT) | instid1(VALU_DEP_1)
	v_fma_f32 v192, -v188, v191, 1.0
	v_fmac_f32_e32 v191, v192, v191
	s_delay_alu instid0(VALU_DEP_1) | instskip(NEXT) | instid1(VALU_DEP_1)
	v_mul_f32_e32 v192, v193, v191
	v_fma_f32 v197, -v188, v192, v193
	s_delay_alu instid0(VALU_DEP_1) | instskip(NEXT) | instid1(VALU_DEP_1)
	v_fmac_f32_e32 v192, v197, v191
	v_fma_f32 v188, -v188, v192, v193
	s_delay_alu instid0(VALU_DEP_1) | instskip(NEXT) | instid1(VALU_DEP_1)
	v_div_fmas_f32 v188, v188, v191, v192
	v_div_fixup_f32 v188, v188, v189, 1.0
	s_delay_alu instid0(VALU_DEP_1)
	v_mul_f32_e32 v190, v190, v188
	v_xor_b32_e32 v191, 0x80000000, v188
                                        ; implicit-def: $vgpr188_vgpr189
.LBB63_266:
	s_and_not1_saveexec_b32 s1, s1
	s_cbranch_execz .LBB63_268
; %bb.267:
	v_div_scale_f32 v190, null, v188, v188, v189
	v_div_scale_f32 v193, vcc_lo, v189, v188, v189
	s_delay_alu instid0(VALU_DEP_2) | instskip(SKIP_1) | instid1(TRANS32_DEP_1)
	v_rcp_f32_e32 v191, v190
	v_nop
	v_fma_f32 v192, -v190, v191, 1.0
	s_delay_alu instid0(VALU_DEP_1) | instskip(NEXT) | instid1(VALU_DEP_1)
	v_fmac_f32_e32 v191, v192, v191
	v_mul_f32_e32 v192, v193, v191
	s_delay_alu instid0(VALU_DEP_1) | instskip(NEXT) | instid1(VALU_DEP_1)
	v_fma_f32 v197, -v190, v192, v193
	v_fmac_f32_e32 v192, v197, v191
	s_delay_alu instid0(VALU_DEP_1) | instskip(NEXT) | instid1(VALU_DEP_1)
	v_fma_f32 v190, -v190, v192, v193
	v_div_fmas_f32 v190, v190, v191, v192
	s_delay_alu instid0(VALU_DEP_1) | instskip(NEXT) | instid1(VALU_DEP_1)
	v_div_fixup_f32 v191, v190, v188, v189
	v_fmac_f32_e32 v188, v189, v191
	s_delay_alu instid0(VALU_DEP_1) | instskip(NEXT) | instid1(VALU_DEP_1)
	v_div_scale_f32 v189, null, v188, v188, 1.0
	v_rcp_f32_e32 v190, v189
	v_nop
	s_delay_alu instid0(TRANS32_DEP_1) | instskip(NEXT) | instid1(VALU_DEP_1)
	v_fma_f32 v192, -v189, v190, 1.0
	v_fmac_f32_e32 v190, v192, v190
	v_div_scale_f32 v192, vcc_lo, 1.0, v188, 1.0
	s_delay_alu instid0(VALU_DEP_1) | instskip(NEXT) | instid1(VALU_DEP_1)
	v_mul_f32_e32 v193, v192, v190
	v_fma_f32 v197, -v189, v193, v192
	s_delay_alu instid0(VALU_DEP_1) | instskip(NEXT) | instid1(VALU_DEP_1)
	v_fmac_f32_e32 v193, v197, v190
	v_fma_f32 v189, -v189, v193, v192
	s_delay_alu instid0(VALU_DEP_1) | instskip(NEXT) | instid1(VALU_DEP_1)
	v_div_fmas_f32 v189, v189, v190, v193
	v_div_fixup_f32 v190, v189, v188, 1.0
	s_delay_alu instid0(VALU_DEP_1)
	v_mul_f32_e64 v191, v191, -v190
.LBB63_268:
	s_or_b32 exec_lo, exec_lo, s1
	ds_store_b64 v195, v[190:191]
.LBB63_269:
	s_or_b32 exec_lo, exec_lo, s2
	s_wait_dscnt 0x0
	s_barrier_signal -1
	s_barrier_wait -1
	ds_load_b64 v[188:189], v195
	s_mov_b32 s1, exec_lo
	v_cmpx_lt_u32_e32 29, v194
	s_cbranch_execz .LBB63_271
; %bb.270:
	ds_load_2addr_b64 v[190:193], v196 offset0:30 offset1:31
	s_wait_dscnt 0x1
	v_pk_mul_f32 v[198:199], v[188:189], v[124:125] op_sel:[1,1] op_sel_hi:[0,1]
	s_delay_alu instid0(VALU_DEP_1) | instskip(SKIP_3) | instid1(VALU_DEP_3)
	v_pk_fma_f32 v[200:201], v[188:189], v[124:125], v[198:199] op_sel_hi:[1,0,1]
	v_pk_fma_f32 v[124:125], v[188:189], v[124:125], v[198:199] op_sel_hi:[1,0,1] neg_lo:[0,0,1] neg_hi:[0,0,1]
	s_wait_dscnt 0x0
	v_dual_mov_b32 v202, v193 :: v_dual_mov_b32 v203, v192
	v_pk_mul_f32 v[198:199], v[190:191], v[200:201] op_sel:[0,1]
	s_delay_alu instid0(VALU_DEP_2) | instskip(NEXT) | instid1(VALU_DEP_2)
	v_pk_mul_f32 v[202:203], v[202:203], v[200:201] op_sel:[0,1]
	v_pk_fma_f32 v[204:205], v[190:191], v[124:125], v[198:199] op_sel:[0,0,1] op_sel_hi:[1,0,0]
	v_pk_fma_f32 v[190:191], v[190:191], v[124:125], v[198:199] op_sel:[0,0,1] op_sel_hi:[1,1,0] neg_lo:[0,0,1] neg_hi:[0,0,1]
	s_delay_alu instid0(VALU_DEP_3) | instskip(SKIP_1) | instid1(VALU_DEP_4)
	v_pk_fma_f32 v[206:207], v[192:193], v[124:125], v[202:203] op_sel_hi:[1,0,1]
	v_pk_fma_f32 v[192:193], v[192:193], v[124:125], v[202:203] neg_lo:[0,0,1] neg_hi:[0,0,1]
	v_dual_mov_b32 v191, v205 :: v_dual_mov_b32 v125, v201
	s_delay_alu instid0(VALU_DEP_3) | instskip(NEXT) | instid1(VALU_DEP_2)
	v_mov_b32_e32 v193, v207
	v_pk_add_f32 v[122:123], v[122:123], v[190:191] neg_lo:[0,1] neg_hi:[0,1]
	s_delay_alu instid0(VALU_DEP_2)
	v_pk_add_f32 v[128:129], v[128:129], v[192:193] neg_lo:[0,1] neg_hi:[0,1]
.LBB63_271:
	s_or_b32 exec_lo, exec_lo, s1
	s_delay_alu instid0(SALU_CYCLE_1)
	s_mov_b32 s2, exec_lo
	s_wait_dscnt 0x0
	s_barrier_signal -1
	s_barrier_wait -1
	v_cmpx_eq_u32_e32 30, v194
	s_cbranch_execz .LBB63_278
; %bb.272:
	ds_store_b64 v195, v[122:123]
	ds_store_b64 v196, v[128:129] offset:248
	ds_load_b64 v[190:191], v195
	s_wait_dscnt 0x0
	v_cmp_neq_f32_e32 vcc_lo, 0, v190
	v_cmp_neq_f32_e64 s1, 0, v191
	s_or_b32 s1, vcc_lo, s1
	s_delay_alu instid0(SALU_CYCLE_1)
	s_and_b32 exec_lo, exec_lo, s1
	s_cbranch_execz .LBB63_278
; %bb.273:
	v_cmp_ngt_f32_e64 s1, |v190|, |v191|
                                        ; implicit-def: $vgpr192_vgpr193
	s_and_saveexec_b32 s4, s1
	s_delay_alu instid0(SALU_CYCLE_1)
	s_xor_b32 s1, exec_lo, s4
	s_cbranch_execz .LBB63_275
; %bb.274:
	v_div_scale_f32 v192, null, v191, v191, v190
	v_div_scale_f32 v198, vcc_lo, v190, v191, v190
	s_delay_alu instid0(VALU_DEP_2) | instskip(SKIP_1) | instid1(TRANS32_DEP_1)
	v_rcp_f32_e32 v193, v192
	v_nop
	v_fma_f32 v197, -v192, v193, 1.0
	s_delay_alu instid0(VALU_DEP_1) | instskip(NEXT) | instid1(VALU_DEP_1)
	v_fmac_f32_e32 v193, v197, v193
	v_mul_f32_e32 v197, v198, v193
	s_delay_alu instid0(VALU_DEP_1) | instskip(NEXT) | instid1(VALU_DEP_1)
	v_fma_f32 v199, -v192, v197, v198
	v_fmac_f32_e32 v197, v199, v193
	s_delay_alu instid0(VALU_DEP_1) | instskip(NEXT) | instid1(VALU_DEP_1)
	v_fma_f32 v192, -v192, v197, v198
	v_div_fmas_f32 v192, v192, v193, v197
	s_delay_alu instid0(VALU_DEP_1) | instskip(NEXT) | instid1(VALU_DEP_1)
	v_div_fixup_f32 v192, v192, v191, v190
	v_fmac_f32_e32 v191, v190, v192
	s_delay_alu instid0(VALU_DEP_1) | instskip(SKIP_1) | instid1(VALU_DEP_2)
	v_div_scale_f32 v190, null, v191, v191, 1.0
	v_div_scale_f32 v198, vcc_lo, 1.0, v191, 1.0
	v_rcp_f32_e32 v193, v190
	v_nop
	s_delay_alu instid0(TRANS32_DEP_1) | instskip(NEXT) | instid1(VALU_DEP_1)
	v_fma_f32 v197, -v190, v193, 1.0
	v_fmac_f32_e32 v193, v197, v193
	s_delay_alu instid0(VALU_DEP_1) | instskip(NEXT) | instid1(VALU_DEP_1)
	v_mul_f32_e32 v197, v198, v193
	v_fma_f32 v199, -v190, v197, v198
	s_delay_alu instid0(VALU_DEP_1) | instskip(NEXT) | instid1(VALU_DEP_1)
	v_fmac_f32_e32 v197, v199, v193
	v_fma_f32 v190, -v190, v197, v198
	s_delay_alu instid0(VALU_DEP_1) | instskip(NEXT) | instid1(VALU_DEP_1)
	v_div_fmas_f32 v190, v190, v193, v197
	v_div_fixup_f32 v190, v190, v191, 1.0
	s_delay_alu instid0(VALU_DEP_1)
	v_mul_f32_e32 v192, v192, v190
	v_xor_b32_e32 v193, 0x80000000, v190
                                        ; implicit-def: $vgpr190_vgpr191
.LBB63_275:
	s_and_not1_saveexec_b32 s1, s1
	s_cbranch_execz .LBB63_277
; %bb.276:
	v_div_scale_f32 v192, null, v190, v190, v191
	v_div_scale_f32 v198, vcc_lo, v191, v190, v191
	s_delay_alu instid0(VALU_DEP_2) | instskip(SKIP_1) | instid1(TRANS32_DEP_1)
	v_rcp_f32_e32 v193, v192
	v_nop
	v_fma_f32 v197, -v192, v193, 1.0
	s_delay_alu instid0(VALU_DEP_1) | instskip(NEXT) | instid1(VALU_DEP_1)
	v_fmac_f32_e32 v193, v197, v193
	v_mul_f32_e32 v197, v198, v193
	s_delay_alu instid0(VALU_DEP_1) | instskip(NEXT) | instid1(VALU_DEP_1)
	v_fma_f32 v199, -v192, v197, v198
	v_fmac_f32_e32 v197, v199, v193
	s_delay_alu instid0(VALU_DEP_1) | instskip(NEXT) | instid1(VALU_DEP_1)
	v_fma_f32 v192, -v192, v197, v198
	v_div_fmas_f32 v192, v192, v193, v197
	s_delay_alu instid0(VALU_DEP_1) | instskip(NEXT) | instid1(VALU_DEP_1)
	v_div_fixup_f32 v193, v192, v190, v191
	v_fmac_f32_e32 v190, v191, v193
	s_delay_alu instid0(VALU_DEP_1) | instskip(NEXT) | instid1(VALU_DEP_1)
	v_div_scale_f32 v191, null, v190, v190, 1.0
	v_rcp_f32_e32 v192, v191
	v_nop
	s_delay_alu instid0(TRANS32_DEP_1) | instskip(NEXT) | instid1(VALU_DEP_1)
	v_fma_f32 v197, -v191, v192, 1.0
	v_fmac_f32_e32 v192, v197, v192
	v_div_scale_f32 v197, vcc_lo, 1.0, v190, 1.0
	s_delay_alu instid0(VALU_DEP_1) | instskip(NEXT) | instid1(VALU_DEP_1)
	v_mul_f32_e32 v198, v197, v192
	v_fma_f32 v199, -v191, v198, v197
	s_delay_alu instid0(VALU_DEP_1) | instskip(NEXT) | instid1(VALU_DEP_1)
	v_fmac_f32_e32 v198, v199, v192
	v_fma_f32 v191, -v191, v198, v197
	s_delay_alu instid0(VALU_DEP_1) | instskip(NEXT) | instid1(VALU_DEP_1)
	v_div_fmas_f32 v191, v191, v192, v198
	v_div_fixup_f32 v192, v191, v190, 1.0
	s_delay_alu instid0(VALU_DEP_1)
	v_mul_f32_e64 v193, v193, -v192
.LBB63_277:
	s_or_b32 exec_lo, exec_lo, s1
	ds_store_b64 v195, v[192:193]
.LBB63_278:
	s_or_b32 exec_lo, exec_lo, s2
	s_wait_dscnt 0x0
	s_barrier_signal -1
	s_barrier_wait -1
	ds_load_b64 v[190:191], v195
	s_mov_b32 s1, exec_lo
	v_cmpx_lt_u32_e32 30, v194
	s_cbranch_execz .LBB63_280
; %bb.279:
	ds_load_b64 v[192:193], v196 offset:248
	s_wait_dscnt 0x1
	v_pk_mul_f32 v[196:197], v[190:191], v[122:123] op_sel:[1,1] op_sel_hi:[0,1]
	s_delay_alu instid0(VALU_DEP_1) | instskip(SKIP_2) | instid1(VALU_DEP_2)
	v_pk_fma_f32 v[198:199], v[190:191], v[122:123], v[196:197] op_sel_hi:[1,0,1]
	v_pk_fma_f32 v[122:123], v[190:191], v[122:123], v[196:197] op_sel_hi:[1,0,1] neg_lo:[0,0,1] neg_hi:[0,0,1]
	s_wait_dscnt 0x0
	v_pk_mul_f32 v[196:197], v[192:193], v[198:199] op_sel:[1,1] op_sel_hi:[0,1]
	s_delay_alu instid0(VALU_DEP_1) | instskip(SKIP_1) | instid1(VALU_DEP_2)
	v_pk_fma_f32 v[200:201], v[192:193], v[122:123], v[196:197] op_sel_hi:[1,0,1]
	v_pk_fma_f32 v[192:193], v[192:193], v[122:123], v[196:197] neg_lo:[0,0,1] neg_hi:[0,0,1]
	v_dual_mov_b32 v123, v199 :: v_dual_mov_b32 v193, v201
	s_delay_alu instid0(VALU_DEP_1)
	v_pk_add_f32 v[128:129], v[128:129], v[192:193] neg_lo:[0,1] neg_hi:[0,1]
.LBB63_280:
	s_or_b32 exec_lo, exec_lo, s1
	s_delay_alu instid0(SALU_CYCLE_1)
	s_mov_b32 s2, exec_lo
	s_wait_dscnt 0x0
	s_barrier_signal -1
	s_barrier_wait -1
	v_cmpx_eq_u32_e32 31, v194
	s_cbranch_execz .LBB63_287
; %bb.281:
	v_cmp_neq_f32_e32 vcc_lo, 0, v128
	v_cmp_neq_f32_e64 s1, 0, v129
	ds_store_b64 v195, v[128:129]
	s_or_b32 s1, vcc_lo, s1
	s_delay_alu instid0(SALU_CYCLE_1)
	s_and_b32 exec_lo, exec_lo, s1
	s_cbranch_execz .LBB63_287
; %bb.282:
	v_cmp_ngt_f32_e64 s1, |v128|, |v129|
                                        ; implicit-def: $vgpr192_vgpr193
	s_and_saveexec_b32 s4, s1
	s_delay_alu instid0(SALU_CYCLE_1)
	s_xor_b32 s1, exec_lo, s4
	s_cbranch_execz .LBB63_284
; %bb.283:
	v_div_scale_f32 v192, null, v129, v129, v128
	v_div_scale_f32 v197, vcc_lo, v128, v129, v128
	s_delay_alu instid0(VALU_DEP_2) | instskip(SKIP_1) | instid1(TRANS32_DEP_1)
	v_rcp_f32_e32 v193, v192
	v_nop
	v_fma_f32 v196, -v192, v193, 1.0
	s_delay_alu instid0(VALU_DEP_1) | instskip(NEXT) | instid1(VALU_DEP_1)
	v_fmac_f32_e32 v193, v196, v193
	v_mul_f32_e32 v196, v197, v193
	s_delay_alu instid0(VALU_DEP_1) | instskip(NEXT) | instid1(VALU_DEP_1)
	v_fma_f32 v198, -v192, v196, v197
	v_fmac_f32_e32 v196, v198, v193
	s_delay_alu instid0(VALU_DEP_1) | instskip(NEXT) | instid1(VALU_DEP_1)
	v_fma_f32 v192, -v192, v196, v197
	v_div_fmas_f32 v192, v192, v193, v196
	s_delay_alu instid0(VALU_DEP_1) | instskip(NEXT) | instid1(VALU_DEP_1)
	v_div_fixup_f32 v192, v192, v129, v128
	v_fma_f32 v193, v128, v192, v129
	s_delay_alu instid0(VALU_DEP_1) | instskip(SKIP_1) | instid1(VALU_DEP_2)
	v_div_scale_f32 v196, null, v193, v193, 1.0
	v_div_scale_f32 v199, vcc_lo, 1.0, v193, 1.0
	v_rcp_f32_e32 v197, v196
	v_nop
	s_delay_alu instid0(TRANS32_DEP_1) | instskip(NEXT) | instid1(VALU_DEP_1)
	v_fma_f32 v198, -v196, v197, 1.0
	v_fmac_f32_e32 v197, v198, v197
	s_delay_alu instid0(VALU_DEP_1) | instskip(NEXT) | instid1(VALU_DEP_1)
	v_mul_f32_e32 v198, v199, v197
	v_fma_f32 v200, -v196, v198, v199
	s_delay_alu instid0(VALU_DEP_1) | instskip(NEXT) | instid1(VALU_DEP_1)
	v_fmac_f32_e32 v198, v200, v197
	v_fma_f32 v196, -v196, v198, v199
	s_delay_alu instid0(VALU_DEP_1) | instskip(NEXT) | instid1(VALU_DEP_1)
	v_div_fmas_f32 v196, v196, v197, v198
	v_div_fixup_f32 v193, v196, v193, 1.0
	s_delay_alu instid0(VALU_DEP_1)
	v_mul_f32_e32 v192, v192, v193
	v_xor_b32_e32 v193, 0x80000000, v193
.LBB63_284:
	s_and_not1_saveexec_b32 s1, s1
	s_cbranch_execz .LBB63_286
; %bb.285:
	v_div_scale_f32 v192, null, v128, v128, v129
	v_div_scale_f32 v197, vcc_lo, v129, v128, v129
	s_delay_alu instid0(VALU_DEP_2) | instskip(SKIP_1) | instid1(TRANS32_DEP_1)
	v_rcp_f32_e32 v193, v192
	v_nop
	v_fma_f32 v196, -v192, v193, 1.0
	s_delay_alu instid0(VALU_DEP_1) | instskip(NEXT) | instid1(VALU_DEP_1)
	v_fmac_f32_e32 v193, v196, v193
	v_mul_f32_e32 v196, v197, v193
	s_delay_alu instid0(VALU_DEP_1) | instskip(NEXT) | instid1(VALU_DEP_1)
	v_fma_f32 v198, -v192, v196, v197
	v_fmac_f32_e32 v196, v198, v193
	s_delay_alu instid0(VALU_DEP_1) | instskip(NEXT) | instid1(VALU_DEP_1)
	v_fma_f32 v192, -v192, v196, v197
	v_div_fmas_f32 v192, v192, v193, v196
	s_delay_alu instid0(VALU_DEP_1) | instskip(NEXT) | instid1(VALU_DEP_1)
	v_div_fixup_f32 v193, v192, v128, v129
	v_fma_f32 v192, v129, v193, v128
	s_delay_alu instid0(VALU_DEP_1) | instskip(NEXT) | instid1(VALU_DEP_1)
	v_div_scale_f32 v196, null, v192, v192, 1.0
	v_rcp_f32_e32 v197, v196
	v_nop
	s_delay_alu instid0(TRANS32_DEP_1) | instskip(NEXT) | instid1(VALU_DEP_1)
	v_fma_f32 v198, -v196, v197, 1.0
	v_fmac_f32_e32 v197, v198, v197
	v_div_scale_f32 v198, vcc_lo, 1.0, v192, 1.0
	s_delay_alu instid0(VALU_DEP_1) | instskip(NEXT) | instid1(VALU_DEP_1)
	v_mul_f32_e32 v199, v198, v197
	v_fma_f32 v200, -v196, v199, v198
	s_delay_alu instid0(VALU_DEP_1) | instskip(NEXT) | instid1(VALU_DEP_1)
	v_fmac_f32_e32 v199, v200, v197
	v_fma_f32 v196, -v196, v199, v198
	s_delay_alu instid0(VALU_DEP_1) | instskip(NEXT) | instid1(VALU_DEP_1)
	v_div_fmas_f32 v196, v196, v197, v199
	v_div_fixup_f32 v192, v196, v192, 1.0
	s_delay_alu instid0(VALU_DEP_1)
	v_mul_f32_e64 v193, v193, -v192
.LBB63_286:
	s_or_b32 exec_lo, exec_lo, s1
	ds_store_b64 v195, v[192:193]
.LBB63_287:
	s_or_b32 exec_lo, exec_lo, s2
	s_wait_dscnt 0x0
	s_barrier_signal -1
	s_barrier_wait -1
	ds_load_b64 v[192:193], v195
	s_wait_dscnt 0x0
	s_barrier_signal -1
	s_barrier_wait -1
	s_and_saveexec_b32 s4, s0
	s_cbranch_execz .LBB63_290
; %bb.288:
	v_cmp_eq_f32_e32 vcc_lo, 0, v130
	v_cmp_eq_f32_e64 s0, 0, v131
	v_cmp_neq_f32_e64 s1, 0, v132
	v_cmp_neq_f32_e64 s2, 0, v133
	v_lshl_add_u64 v[2:3], v[2:3], 2, s[6:7]
	s_and_b32 s0, vcc_lo, s0
	s_delay_alu instid0(SALU_CYCLE_1)
	v_cndmask_b32_e64 v130, 0, 1, s0
	s_or_b32 s1, s1, s2
	global_load_b32 v131, v[2:3], off
	s_or_b32 vcc_lo, s1, s0
	v_cmp_eq_f32_e64 s0, 0, v135
	v_cndmask_b32_e32 v130, 2, v130, vcc_lo
	v_cmp_eq_f32_e32 vcc_lo, 0, v134
	s_delay_alu instid0(VALU_DEP_2) | instskip(SKIP_3) | instid1(SALU_CYCLE_1)
	v_cmp_eq_u32_e64 s1, 0, v130
	s_and_b32 s0, vcc_lo, s0
	v_cmp_eq_f32_e32 vcc_lo, 0, v136
	s_and_b32 s0, s0, s1
	v_cndmask_b32_e64 v130, v130, 3, s0
	v_cmp_eq_f32_e64 s0, 0, v137
	s_delay_alu instid0(VALU_DEP_2) | instskip(SKIP_3) | instid1(SALU_CYCLE_1)
	v_cmp_eq_u32_e64 s1, 0, v130
	s_and_b32 s0, vcc_lo, s0
	v_cmp_eq_f32_e32 vcc_lo, 0, v138
	s_and_b32 s0, s0, s1
	v_cndmask_b32_e64 v130, v130, 4, s0
	v_cmp_eq_f32_e64 s0, 0, v139
	;; [unrolled: 7-line block ×29, first 2 shown]
	s_delay_alu instid0(VALU_DEP_2) | instskip(SKIP_4) | instid1(SALU_CYCLE_1)
	v_cmp_eq_u32_e64 s1, 0, v130
	s_and_b32 s0, vcc_lo, s0
	s_wait_loadcnt 0x0
	v_cmp_eq_u32_e32 vcc_lo, 0, v131
	s_and_b32 s0, s0, s1
	v_cndmask_b32_e64 v130, v130, 32, s0
	s_delay_alu instid0(VALU_DEP_1) | instskip(SKIP_1) | instid1(SALU_CYCLE_1)
	v_cmp_ne_u32_e64 s0, 0, v130
	s_and_b32 s0, vcc_lo, s0
	s_and_b32 exec_lo, exec_lo, s0
	s_cbranch_execz .LBB63_290
; %bb.289:
	v_add_nc_u32_e32 v130, s3, v130
	global_store_b32 v[2:3], v130, off
.LBB63_290:
	s_wait_xcnt 0x0
	s_or_b32 exec_lo, exec_lo, s4
	v_pk_mul_f32 v[2:3], v[192:193], v[128:129] op_sel:[1,1] op_sel_hi:[0,1]
	s_clause 0x1
	global_store_b64 v[18:19], v[54:55], off
	global_store_b64 v[32:33], v[56:57], off
	v_cmp_lt_u32_e32 vcc_lo, 31, v194
	s_clause 0x2
	global_store_b64 v[6:7], v[46:47], off
	global_store_b64 v[12:13], v[44:45], off
	;; [unrolled: 1-line block ×3, first 2 shown]
	s_wait_xcnt 0x4
	v_pk_fma_f32 v[18:19], v[192:193], v[128:129], v[2:3] op_sel_hi:[1,0,1]
	v_pk_fma_f32 v[2:3], v[192:193], v[128:129], v[2:3] neg_lo:[0,0,1] neg_hi:[0,0,1]
	s_delay_alu instid0(VALU_DEP_1)
	v_dual_cndmask_b32 v3, v129, v19 :: v_dual_cndmask_b32 v2, v128, v2
	s_clause 0x1a
	global_store_b64 v[0:1], v[22:23], off
	global_store_b64 v[4:5], v[24:25], off
	;; [unrolled: 1-line block ×27, first 2 shown]
.LBB63_291:
	s_sendmsg sendmsg(MSG_DEALLOC_VGPRS)
	s_endpgm
	.section	.rodata,"a",@progbits
	.p2align	6, 0x0
	.amdhsa_kernel _ZN9rocsolver6v33100L23getf2_npvt_small_kernelILi32E19rocblas_complex_numIfEiiPS3_EEvT1_T3_lS5_lPT2_S5_S5_
		.amdhsa_group_segment_fixed_size 0
		.amdhsa_private_segment_fixed_size 0
		.amdhsa_kernarg_size 312
		.amdhsa_user_sgpr_count 2
		.amdhsa_user_sgpr_dispatch_ptr 0
		.amdhsa_user_sgpr_queue_ptr 0
		.amdhsa_user_sgpr_kernarg_segment_ptr 1
		.amdhsa_user_sgpr_dispatch_id 0
		.amdhsa_user_sgpr_kernarg_preload_length 0
		.amdhsa_user_sgpr_kernarg_preload_offset 0
		.amdhsa_user_sgpr_private_segment_size 0
		.amdhsa_wavefront_size32 1
		.amdhsa_uses_dynamic_stack 0
		.amdhsa_enable_private_segment 0
		.amdhsa_system_sgpr_workgroup_id_x 1
		.amdhsa_system_sgpr_workgroup_id_y 1
		.amdhsa_system_sgpr_workgroup_id_z 0
		.amdhsa_system_sgpr_workgroup_info 0
		.amdhsa_system_vgpr_workitem_id 1
		.amdhsa_next_free_vgpr 222
		.amdhsa_next_free_sgpr 15
		.amdhsa_named_barrier_count 0
		.amdhsa_reserve_vcc 1
		.amdhsa_float_round_mode_32 0
		.amdhsa_float_round_mode_16_64 0
		.amdhsa_float_denorm_mode_32 3
		.amdhsa_float_denorm_mode_16_64 3
		.amdhsa_fp16_overflow 0
		.amdhsa_memory_ordered 1
		.amdhsa_forward_progress 1
		.amdhsa_inst_pref_size 255
		.amdhsa_round_robin_scheduling 0
		.amdhsa_exception_fp_ieee_invalid_op 0
		.amdhsa_exception_fp_denorm_src 0
		.amdhsa_exception_fp_ieee_div_zero 0
		.amdhsa_exception_fp_ieee_overflow 0
		.amdhsa_exception_fp_ieee_underflow 0
		.amdhsa_exception_fp_ieee_inexact 0
		.amdhsa_exception_int_div_zero 0
	.end_amdhsa_kernel
	.section	.text._ZN9rocsolver6v33100L23getf2_npvt_small_kernelILi32E19rocblas_complex_numIfEiiPS3_EEvT1_T3_lS5_lPT2_S5_S5_,"axG",@progbits,_ZN9rocsolver6v33100L23getf2_npvt_small_kernelILi32E19rocblas_complex_numIfEiiPS3_EEvT1_T3_lS5_lPT2_S5_S5_,comdat
.Lfunc_end63:
	.size	_ZN9rocsolver6v33100L23getf2_npvt_small_kernelILi32E19rocblas_complex_numIfEiiPS3_EEvT1_T3_lS5_lPT2_S5_S5_, .Lfunc_end63-_ZN9rocsolver6v33100L23getf2_npvt_small_kernelILi32E19rocblas_complex_numIfEiiPS3_EEvT1_T3_lS5_lPT2_S5_S5_
                                        ; -- End function
	.set _ZN9rocsolver6v33100L23getf2_npvt_small_kernelILi32E19rocblas_complex_numIfEiiPS3_EEvT1_T3_lS5_lPT2_S5_S5_.num_vgpr, 222
	.set _ZN9rocsolver6v33100L23getf2_npvt_small_kernelILi32E19rocblas_complex_numIfEiiPS3_EEvT1_T3_lS5_lPT2_S5_S5_.num_agpr, 0
	.set _ZN9rocsolver6v33100L23getf2_npvt_small_kernelILi32E19rocblas_complex_numIfEiiPS3_EEvT1_T3_lS5_lPT2_S5_S5_.numbered_sgpr, 15
	.set _ZN9rocsolver6v33100L23getf2_npvt_small_kernelILi32E19rocblas_complex_numIfEiiPS3_EEvT1_T3_lS5_lPT2_S5_S5_.num_named_barrier, 0
	.set _ZN9rocsolver6v33100L23getf2_npvt_small_kernelILi32E19rocblas_complex_numIfEiiPS3_EEvT1_T3_lS5_lPT2_S5_S5_.private_seg_size, 0
	.set _ZN9rocsolver6v33100L23getf2_npvt_small_kernelILi32E19rocblas_complex_numIfEiiPS3_EEvT1_T3_lS5_lPT2_S5_S5_.uses_vcc, 1
	.set _ZN9rocsolver6v33100L23getf2_npvt_small_kernelILi32E19rocblas_complex_numIfEiiPS3_EEvT1_T3_lS5_lPT2_S5_S5_.uses_flat_scratch, 0
	.set _ZN9rocsolver6v33100L23getf2_npvt_small_kernelILi32E19rocblas_complex_numIfEiiPS3_EEvT1_T3_lS5_lPT2_S5_S5_.has_dyn_sized_stack, 0
	.set _ZN9rocsolver6v33100L23getf2_npvt_small_kernelILi32E19rocblas_complex_numIfEiiPS3_EEvT1_T3_lS5_lPT2_S5_S5_.has_recursion, 0
	.set _ZN9rocsolver6v33100L23getf2_npvt_small_kernelILi32E19rocblas_complex_numIfEiiPS3_EEvT1_T3_lS5_lPT2_S5_S5_.has_indirect_call, 0
	.section	.AMDGPU.csdata,"",@progbits
; Kernel info:
; codeLenInByte = 51184
; TotalNumSgprs: 17
; NumVgprs: 222
; ScratchSize: 0
; MemoryBound: 0
; FloatMode: 240
; IeeeMode: 1
; LDSByteSize: 0 bytes/workgroup (compile time only)
; SGPRBlocks: 0
; VGPRBlocks: 13
; NumSGPRsForWavesPerEU: 17
; NumVGPRsForWavesPerEU: 222
; NamedBarCnt: 0
; Occupancy: 4
; WaveLimiterHint : 0
; COMPUTE_PGM_RSRC2:SCRATCH_EN: 0
; COMPUTE_PGM_RSRC2:USER_SGPR: 2
; COMPUTE_PGM_RSRC2:TRAP_HANDLER: 0
; COMPUTE_PGM_RSRC2:TGID_X_EN: 1
; COMPUTE_PGM_RSRC2:TGID_Y_EN: 1
; COMPUTE_PGM_RSRC2:TGID_Z_EN: 0
; COMPUTE_PGM_RSRC2:TIDIG_COMP_CNT: 1
	.section	.text._ZN9rocsolver6v33100L18getf2_small_kernelILi33E19rocblas_complex_numIfEiiPS3_EEvT1_T3_lS5_lPS5_llPT2_S5_S5_S7_l,"axG",@progbits,_ZN9rocsolver6v33100L18getf2_small_kernelILi33E19rocblas_complex_numIfEiiPS3_EEvT1_T3_lS5_lPS5_llPT2_S5_S5_S7_l,comdat
	.globl	_ZN9rocsolver6v33100L18getf2_small_kernelILi33E19rocblas_complex_numIfEiiPS3_EEvT1_T3_lS5_lPS5_llPT2_S5_S5_S7_l ; -- Begin function _ZN9rocsolver6v33100L18getf2_small_kernelILi33E19rocblas_complex_numIfEiiPS3_EEvT1_T3_lS5_lPS5_llPT2_S5_S5_S7_l
	.p2align	8
	.type	_ZN9rocsolver6v33100L18getf2_small_kernelILi33E19rocblas_complex_numIfEiiPS3_EEvT1_T3_lS5_lPS5_llPT2_S5_S5_S7_l,@function
_ZN9rocsolver6v33100L18getf2_small_kernelILi33E19rocblas_complex_numIfEiiPS3_EEvT1_T3_lS5_lPS5_llPT2_S5_S5_S7_l: ; @_ZN9rocsolver6v33100L18getf2_small_kernelILi33E19rocblas_complex_numIfEiiPS3_EEvT1_T3_lS5_lPS5_llPT2_S5_S5_S7_l
; %bb.0:
	s_clause 0x1
	s_load_u16 s2, s[0:1], 0x6e
	s_load_b64 s[16:17], s[0:1], 0x48
	s_bfe_u32 s3, ttmp6, 0x40010
	s_bfe_u32 s4, ttmp6, 0x40004
	s_add_co_i32 s3, s3, 1
	s_getreg_b32 s5, hwreg(HW_REG_IB_STS2, 6, 4)
	s_mul_i32 s3, ttmp7, s3
	v_bfe_u32 v74, v0, 10, 10
	s_add_co_i32 s4, s4, s3
	s_cmp_eq_u32 s5, 0
	s_cselect_b32 s3, ttmp7, s4
	s_wait_kmcnt 0x0
	v_mad_u32 v2, s3, s2, v74
	s_mov_b32 s2, exec_lo
	s_delay_alu instid0(VALU_DEP_1)
	v_cmpx_gt_i32_e64 s16, v2
	s_cbranch_execz .LBB64_694
; %bb.1:
	s_load_b128 s[4:7], s[0:1], 0x50
	v_mov_b64_e32 v[4:5], 0
	v_ashrrev_i32_e32 v3, 31, v2
	s_wait_kmcnt 0x0
	s_cmp_eq_u64 s[4:5], 0
	s_cselect_b32 s16, -1, 0
	s_delay_alu instid0(SALU_CYCLE_1)
	s_and_b32 vcc_lo, exec_lo, s16
	s_cbranch_vccnz .LBB64_3
; %bb.2:
	v_mul_u64_e32 v[4:5], s[6:7], v[2:3]
	s_delay_alu instid0(VALU_DEP_1)
	v_lshl_add_u64 v[4:5], v[4:5], 2, s[4:5]
.LBB64_3:
	s_clause 0x2
	s_load_b32 s2, s[0:1], 0x18
	s_load_b128 s[12:15], s[0:1], 0x8
	s_load_b32 s18, s[0:1], 0x0
	v_and_b32_e32 v79, 0x3ff, v0
	s_load_b256 s[4:11], s[0:1], 0x20
	s_delay_alu instid0(VALU_DEP_1) | instskip(SKIP_4) | instid1(VALU_DEP_2)
	v_dual_mov_b32 v73, 0 :: v_dual_lshlrev_b32 v72, 3, v79
	s_wait_kmcnt 0x0
	v_add3_u32 v6, s2, s2, v79
	s_ashr_i32 s3, s2, 31
	v_mul_u64_e32 v[0:1], s[4:5], v[2:3]
	v_add_nc_u32_e32 v8, s2, v6
	s_max_i32 s4, s18, 33
	s_cmp_lt_i32 s18, 2
	s_delay_alu instid0(VALU_DEP_1) | instskip(NEXT) | instid1(VALU_DEP_1)
	v_add_nc_u32_e32 v10, s2, v8
	v_add_nc_u32_e32 v12, s2, v10
	s_delay_alu instid0(VALU_DEP_1) | instskip(NEXT) | instid1(VALU_DEP_1)
	v_add_nc_u32_e32 v14, s2, v12
	v_dual_ashrrev_i32 v9, 31, v8 :: v_dual_add_nc_u32 v16, s2, v14
	s_delay_alu instid0(VALU_DEP_1) | instskip(SKIP_1) | instid1(VALU_DEP_1)
	v_dual_ashrrev_i32 v15, 31, v14 :: v_dual_ashrrev_i32 v17, 31, v16
	v_dual_add_nc_u32 v18, s2, v16 :: v_dual_ashrrev_i32 v11, 31, v10
	v_dual_ashrrev_i32 v13, 31, v12 :: v_dual_add_nc_u32 v20, s2, v18
	v_lshl_add_u64 v[0:1], v[0:1], 3, s[12:13]
	s_delay_alu instid0(VALU_DEP_2) | instskip(NEXT) | instid1(VALU_DEP_2)
	v_add_nc_u32_e32 v22, s2, v20
	v_lshl_add_u64 v[0:1], s[14:15], 3, v[0:1]
	s_delay_alu instid0(VALU_DEP_2) | instskip(NEXT) | instid1(VALU_DEP_2)
	v_add_nc_u32_e32 v24, s2, v22
	v_lshl_add_u64 v[38:39], v[10:11], 3, v[0:1]
	v_add_nc_u64_e32 v[28:29], v[0:1], v[72:73]
	v_lshl_add_u64 v[40:41], v[12:13], 3, v[0:1]
	v_lshl_add_u64 v[44:45], v[14:15], 3, v[0:1]
	v_add_nc_u32_e32 v26, s2, v24
	v_lshl_add_u64 v[16:17], v[16:17], 3, v[0:1]
	v_lshl_add_u64 v[30:31], v[8:9], 3, v[0:1]
	s_clause 0x3
	global_load_b64 v[14:15], v[38:39], off
	global_load_b64 v[10:11], v[40:41], off
	;; [unrolled: 1-line block ×4, first 2 shown]
	s_wait_xcnt 0x0
	v_lshl_add_u64 v[16:17], s[2:3], 3, v[28:29]
	v_add_nc_u32_e32 v32, s2, v26
	v_dual_ashrrev_i32 v7, 31, v6 :: v_dual_ashrrev_i32 v21, 31, v20
	v_ashrrev_i32_e32 v25, 31, v24
	s_delay_alu instid0(VALU_DEP_3) | instskip(NEXT) | instid1(VALU_DEP_3)
	v_add_nc_u32_e32 v34, s2, v32
	v_lshl_add_u64 v[6:7], v[6:7], 3, v[0:1]
	s_clause 0x3
	global_load_b64 v[64:65], v[6:7], off
	global_load_b64 v[62:63], v[30:31], off
	;; [unrolled: 1-line block ×4, first 2 shown]
	v_add_nc_u32_e32 v36, s2, v34
	v_ashrrev_i32_e32 v19, 31, v18
	v_lshl_add_u64 v[48:49], v[20:21], 3, v[0:1]
	v_ashrrev_i32_e32 v27, 31, v26
	s_wait_xcnt 0x3
	v_lshl_add_u64 v[6:7], v[24:25], 3, v[0:1]
	v_add_nc_u32_e32 v42, s2, v36
	v_lshl_add_u64 v[18:19], v[18:19], 3, v[0:1]
	v_ashrrev_i32_e32 v37, 31, v36
	s_delay_alu instid0(VALU_DEP_3) | instskip(NEXT) | instid1(VALU_DEP_1)
	v_dual_ashrrev_i32 v33, 31, v32 :: v_dual_add_nc_u32 v46, s2, v42
	v_add_nc_u32_e32 v50, s2, v46
	s_delay_alu instid0(VALU_DEP_1) | instskip(SKIP_1) | instid1(VALU_DEP_2)
	v_add_nc_u32_e32 v44, s2, v50
	v_ashrrev_i32_e32 v23, 31, v22
	v_dual_ashrrev_i32 v43, 31, v42 :: v_dual_ashrrev_i32 v45, 31, v44
	s_wait_xcnt 0x0
	v_add_nc_u32_e32 v16, s2, v44
	s_delay_alu instid0(VALU_DEP_3)
	v_lshl_add_u64 v[38:39], v[22:23], 3, v[0:1]
	s_clause 0x3
	global_load_b64 v[30:31], v[18:19], off
	global_load_b64 v[22:23], v[48:49], off
	;; [unrolled: 1-line block ×4, first 2 shown]
	s_wait_xcnt 0x0
	v_add_nc_u32_e32 v6, s2, v16
	v_lshl_add_u64 v[18:19], v[26:27], 3, v[0:1]
	v_lshl_add_u64 v[26:27], v[32:33], 3, v[0:1]
	;; [unrolled: 1-line block ×3, first 2 shown]
	v_dual_ashrrev_i32 v47, 31, v46 :: v_dual_ashrrev_i32 v17, 31, v16
	v_add_nc_u32_e32 v24, s2, v6
	v_ashrrev_i32_e32 v35, 31, v34
	v_lshl_add_u64 v[44:45], v[44:45], 3, v[0:1]
	s_delay_alu instid0(VALU_DEP_4) | instskip(NEXT) | instid1(VALU_DEP_4)
	v_lshl_add_u64 v[16:17], v[16:17], 3, v[0:1]
	v_add_nc_u32_e32 v52, s2, v24
	s_delay_alu instid0(VALU_DEP_4)
	v_lshl_add_u64 v[32:33], v[34:35], 3, v[0:1]
	s_clause 0x3
	global_load_b64 v[40:41], v[18:19], off
	global_load_b64 v[36:37], v[26:27], off
	global_load_b64 v[38:39], v[32:33], off
	global_load_b64 v[34:35], v[48:49], off
	s_wait_xcnt 0x3
	v_add_nc_u32_e32 v18, s2, v52
	v_ashrrev_i32_e32 v25, 31, v24
	s_wait_xcnt 0x2
	v_lshl_add_u64 v[26:27], v[42:43], 3, v[0:1]
	v_lshl_add_u64 v[42:43], v[46:47], 3, v[0:1]
	s_wait_xcnt 0x1
	v_dual_ashrrev_i32 v53, 31, v52 :: v_dual_add_nc_u32 v32, s2, v18
	v_ashrrev_i32_e32 v51, 31, v50
	v_lshl_add_u64 v[24:25], v[24:25], 3, v[0:1]
	s_delay_alu instid0(VALU_DEP_3) | instskip(NEXT) | instid1(VALU_DEP_4)
	v_lshl_add_u64 v[52:53], v[52:53], 3, v[0:1]
	v_add_nc_u32_e32 v70, s2, v32
	s_delay_alu instid0(VALU_DEP_4)
	v_lshl_add_u64 v[46:47], v[50:51], 3, v[0:1]
	s_clause 0x3
	global_load_b64 v[60:61], v[26:27], off
	global_load_b64 v[56:57], v[42:43], off
	;; [unrolled: 1-line block ×4, first 2 shown]
	s_wait_xcnt 0x3
	v_dual_add_nc_u32 v26, s2, v70 :: v_dual_ashrrev_i32 v33, 31, v32
	s_wait_xcnt 0x2
	s_delay_alu instid0(VALU_DEP_1) | instskip(NEXT) | instid1(VALU_DEP_2)
	v_add_nc_u32_e32 v42, s2, v26
	v_lshl_add_u64 v[32:33], v[32:33], 3, v[0:1]
	s_delay_alu instid0(VALU_DEP_2) | instskip(SKIP_1) | instid1(VALU_DEP_2)
	v_dual_add_nc_u32 v76, s2, v42 :: v_dual_ashrrev_i32 v43, 31, v42
	v_ashrrev_i32_e32 v7, 31, v6
	v_dual_ashrrev_i32 v71, 31, v70 :: v_dual_ashrrev_i32 v77, 31, v76
	s_delay_alu instid0(VALU_DEP_2)
	v_lshl_add_u64 v[6:7], v[6:7], 3, v[0:1]
	s_clause 0x3
	global_load_b64 v[50:51], v[16:17], off
	global_load_b64 v[46:47], v[6:7], off
	;; [unrolled: 1-line block ×4, first 2 shown]
	s_wait_xcnt 0x2
	v_add_nc_u32_e32 v6, s2, v76
	v_lshl_add_u64 v[70:71], v[70:71], 3, v[0:1]
	v_lshl_add_u64 v[76:77], v[76:77], 3, v[0:1]
	s_delay_alu instid0(VALU_DEP_3) | instskip(SKIP_1) | instid1(VALU_DEP_2)
	v_dual_add_nc_u32 v80, s2, v6 :: v_dual_ashrrev_i32 v7, 31, v6
	v_ashrrev_i32_e32 v19, 31, v18
	v_dual_ashrrev_i32 v27, 31, v26 :: v_dual_ashrrev_i32 v81, 31, v80
	v_add_nc_u32_e32 v84, s2, v80
	s_wait_xcnt 0x0
	s_delay_alu instid0(VALU_DEP_3) | instskip(NEXT) | instid1(VALU_DEP_3)
	v_lshl_add_u64 v[52:53], v[18:19], 3, v[0:1]
	v_lshl_add_u64 v[82:83], v[26:27], 3, v[0:1]
	s_clause 0x3
	global_load_b64 v[26:27], v[52:53], off
	global_load_b64 v[18:19], v[32:33], off
	;; [unrolled: 1-line block ×4, first 2 shown]
	v_ashrrev_i32_e32 v85, 31, v84
	s_wait_xcnt 0x0
	v_lshl_add_u64 v[82:83], v[42:43], 3, v[0:1]
	v_lshl_add_u64 v[86:87], v[6:7], 3, v[0:1]
	;; [unrolled: 1-line block ×4, first 2 shown]
	s_clause 0x4
	global_load_b64 v[6:7], v[82:83], off
	global_load_b64 v[52:53], v[76:77], off
	;; [unrolled: 1-line block ×5, first 2 shown]
	s_wait_xcnt 0x3
	v_mul_lo_u32 v77, s4, v74
	s_load_b64 s[4:5], s[0:1], 0x40
	s_delay_alu instid0(VALU_DEP_1) | instskip(NEXT) | instid1(VALU_DEP_1)
	v_lshl_add_u32 v76, v77, 3, 0
	v_dual_lshlrev_b32 v77, 3, v77 :: v_dual_add_nc_u32 v72, v76, v72
	s_wait_loadcnt 0x1a
	ds_store_b64 v72, v[68:69]
	s_wait_loadcnt_dscnt 0x0
	s_barrier_signal -1
	s_barrier_wait -1
	ds_load_b64 v[74:75], v76
	s_cbranch_scc1 .LBB64_6
; %bb.4:
	v_add3_u32 v72, v77, 0, 8
	v_mov_b32_e32 v73, 0
	s_wait_xcnt 0x0
	s_mov_b32 s1, 1
.LBB64_5:                               ; =>This Inner Loop Header: Depth=1
	ds_load_b64 v[80:81], v72
	s_wait_dscnt 0x1
	v_cmp_gt_f32_e32 vcc_lo, 0, v74
	v_cmp_gt_f32_e64 s0, 0, v75
	s_delay_alu instid0(VALU_DEP_1) | instskip(SKIP_3) | instid1(VALU_DEP_1)
	v_dual_cndmask_b32 v82, v74, -v74, vcc_lo :: v_dual_cndmask_b32 v84, v75, -v75, s0
	s_wait_dscnt 0x0
	v_cmp_gt_f32_e32 vcc_lo, 0, v80
	v_cmp_gt_f32_e64 s0, 0, v81
	v_dual_cndmask_b32 v83, v80, -v80, vcc_lo :: v_dual_cndmask_b32 v85, v81, -v81, s0
	s_delay_alu instid0(VALU_DEP_1) | instskip(NEXT) | instid1(VALU_DEP_1)
	v_pk_add_f32 v[82:83], v[82:83], v[84:85]
	v_cmp_lt_f32_e32 vcc_lo, v82, v83
	v_dual_cndmask_b32 v75, v75, v81 :: v_dual_add_nc_u32 v72, 8, v72
	v_cndmask_b32_e32 v74, v74, v80, vcc_lo
	v_cndmask_b32_e64 v73, v73, s1, vcc_lo
	s_add_co_i32 s1, s1, 1
	s_delay_alu instid0(SALU_CYCLE_1)
	s_cmp_eq_u32 s18, s1
	s_cbranch_scc0 .LBB64_5
.LBB64_6:
	s_wait_dscnt 0x0
	v_cmp_neq_f32_e32 vcc_lo, 0, v74
	s_wait_xcnt 0x0
	v_cmp_neq_f32_e64 s0, 0, v75
	v_dual_mov_b32 v78, 1 :: v_dual_mov_b32 v81, 1
	s_or_b32 s1, vcc_lo, s0
	s_delay_alu instid0(SALU_CYCLE_1)
	s_and_saveexec_b32 s0, s1
	s_cbranch_execz .LBB64_12
; %bb.7:
	v_cmp_ngt_f32_e64 s1, |v74|, |v75|
	s_and_saveexec_b32 s12, s1
	s_delay_alu instid0(SALU_CYCLE_1)
	s_xor_b32 s1, exec_lo, s12
	s_cbranch_execz .LBB64_9
; %bb.8:
	v_div_scale_f32 v72, null, v75, v75, v74
	v_div_scale_f32 v81, vcc_lo, v74, v75, v74
	s_delay_alu instid0(VALU_DEP_2) | instskip(SKIP_1) | instid1(TRANS32_DEP_1)
	v_rcp_f32_e32 v78, v72
	v_nop
	v_fma_f32 v80, -v72, v78, 1.0
	s_delay_alu instid0(VALU_DEP_1) | instskip(NEXT) | instid1(VALU_DEP_1)
	v_fmac_f32_e32 v78, v80, v78
	v_mul_f32_e32 v80, v81, v78
	s_delay_alu instid0(VALU_DEP_1) | instskip(NEXT) | instid1(VALU_DEP_1)
	v_fma_f32 v82, -v72, v80, v81
	v_fmac_f32_e32 v80, v82, v78
	s_delay_alu instid0(VALU_DEP_1) | instskip(NEXT) | instid1(VALU_DEP_1)
	v_fma_f32 v72, -v72, v80, v81
	v_div_fmas_f32 v72, v72, v78, v80
	s_delay_alu instid0(VALU_DEP_1) | instskip(NEXT) | instid1(VALU_DEP_1)
	v_div_fixup_f32 v72, v72, v75, v74
	v_fmac_f32_e32 v75, v74, v72
	s_delay_alu instid0(VALU_DEP_1) | instskip(SKIP_1) | instid1(VALU_DEP_2)
	v_div_scale_f32 v74, null, v75, v75, 1.0
	v_div_scale_f32 v81, vcc_lo, 1.0, v75, 1.0
	v_rcp_f32_e32 v78, v74
	v_nop
	s_delay_alu instid0(TRANS32_DEP_1) | instskip(NEXT) | instid1(VALU_DEP_1)
	v_fma_f32 v80, -v74, v78, 1.0
	v_fmac_f32_e32 v78, v80, v78
	s_delay_alu instid0(VALU_DEP_1) | instskip(NEXT) | instid1(VALU_DEP_1)
	v_mul_f32_e32 v80, v81, v78
	v_fma_f32 v82, -v74, v80, v81
	s_delay_alu instid0(VALU_DEP_1) | instskip(NEXT) | instid1(VALU_DEP_1)
	v_fmac_f32_e32 v80, v82, v78
	v_fma_f32 v74, -v74, v80, v81
	s_delay_alu instid0(VALU_DEP_1) | instskip(NEXT) | instid1(VALU_DEP_1)
	v_div_fmas_f32 v74, v74, v78, v80
	v_div_fixup_f32 v75, v74, v75, 1.0
	s_delay_alu instid0(VALU_DEP_1)
	v_mul_f32_e32 v74, v72, v75
	v_xor_b32_e32 v75, 0x80000000, v75
.LBB64_9:
	s_and_not1_saveexec_b32 s1, s1
	s_cbranch_execz .LBB64_11
; %bb.10:
	s_delay_alu instid0(VALU_DEP_1) | instskip(SKIP_1) | instid1(VALU_DEP_2)
	v_div_scale_f32 v72, null, v74, v74, v75
	v_div_scale_f32 v81, vcc_lo, v75, v74, v75
	v_rcp_f32_e32 v78, v72
	v_nop
	s_delay_alu instid0(TRANS32_DEP_1) | instskip(NEXT) | instid1(VALU_DEP_1)
	v_fma_f32 v80, -v72, v78, 1.0
	v_fmac_f32_e32 v78, v80, v78
	s_delay_alu instid0(VALU_DEP_1) | instskip(NEXT) | instid1(VALU_DEP_1)
	v_mul_f32_e32 v80, v81, v78
	v_fma_f32 v82, -v72, v80, v81
	s_delay_alu instid0(VALU_DEP_1) | instskip(NEXT) | instid1(VALU_DEP_1)
	v_fmac_f32_e32 v80, v82, v78
	v_fma_f32 v72, -v72, v80, v81
	s_delay_alu instid0(VALU_DEP_1) | instskip(NEXT) | instid1(VALU_DEP_1)
	v_div_fmas_f32 v72, v72, v78, v80
	v_div_fixup_f32 v72, v72, v74, v75
	s_delay_alu instid0(VALU_DEP_1) | instskip(NEXT) | instid1(VALU_DEP_1)
	v_fmac_f32_e32 v74, v75, v72
	v_div_scale_f32 v75, null, v74, v74, 1.0
	s_delay_alu instid0(VALU_DEP_1) | instskip(SKIP_1) | instid1(TRANS32_DEP_1)
	v_rcp_f32_e32 v78, v75
	v_nop
	v_fma_f32 v80, -v75, v78, 1.0
	s_delay_alu instid0(VALU_DEP_1) | instskip(SKIP_1) | instid1(VALU_DEP_1)
	v_fmac_f32_e32 v78, v80, v78
	v_div_scale_f32 v80, vcc_lo, 1.0, v74, 1.0
	v_mul_f32_e32 v81, v80, v78
	s_delay_alu instid0(VALU_DEP_1) | instskip(NEXT) | instid1(VALU_DEP_1)
	v_fma_f32 v82, -v75, v81, v80
	v_fmac_f32_e32 v81, v82, v78
	s_delay_alu instid0(VALU_DEP_1) | instskip(NEXT) | instid1(VALU_DEP_1)
	v_fma_f32 v75, -v75, v81, v80
	v_div_fmas_f32 v75, v75, v78, v81
	s_delay_alu instid0(VALU_DEP_1) | instskip(NEXT) | instid1(VALU_DEP_1)
	v_div_fixup_f32 v74, v75, v74, 1.0
	v_mul_f32_e64 v75, v72, -v74
.LBB64_11:
	s_or_b32 exec_lo, exec_lo, s1
	v_dual_mov_b32 v81, 0 :: v_dual_mov_b32 v78, 2
.LBB64_12:
	s_or_b32 exec_lo, exec_lo, s0
	s_delay_alu instid0(SALU_CYCLE_1)
	s_mov_b32 s0, exec_lo
	v_cmpx_ne_u32_e64 v79, v73
	s_xor_b32 s0, exec_lo, s0
	s_cbranch_execz .LBB64_18
; %bb.13:
	s_mov_b32 s1, exec_lo
	v_cmpx_eq_u32_e32 0, v79
	s_cbranch_execz .LBB64_17
; %bb.14:
	v_cmp_ne_u32_e32 vcc_lo, 0, v73
	s_xor_b32 s12, s16, -1
	s_delay_alu instid0(SALU_CYCLE_1) | instskip(NEXT) | instid1(SALU_CYCLE_1)
	s_and_b32 s13, s12, vcc_lo
	s_and_saveexec_b32 s12, s13
	s_cbranch_execz .LBB64_16
; %bb.15:
	v_dual_mov_b32 v82, v73 :: v_dual_ashrrev_i32 v83, 31, v73
	s_delay_alu instid0(VALU_DEP_1)
	v_lshl_add_u64 v[82:83], v[82:83], 2, v[4:5]
	s_clause 0x1
	global_load_b32 v72, v[82:83], off
	global_load_b32 v79, v[4:5], off
	s_wait_loadcnt 0x1
	global_store_b32 v[4:5], v72, off
	s_wait_loadcnt 0x0
	global_store_b32 v[82:83], v79, off
.LBB64_16:
	s_wait_xcnt 0x0
	s_or_b32 exec_lo, exec_lo, s12
	v_mov_b32_e32 v79, v73
.LBB64_17:
	s_or_b32 exec_lo, exec_lo, s1
.LBB64_18:
	s_or_saveexec_b32 s0, s0
	s_delay_alu instid0(VALU_DEP_1)
	v_mov_b32_e32 v80, v79
	s_xor_b32 exec_lo, exec_lo, s0
	s_cbranch_execz .LBB64_20
; %bb.19:
	v_mov_b32_e32 v80, 0
	ds_store_2addr_b64 v76, v[66:67], v[64:65] offset0:1 offset1:2
	ds_store_2addr_b64 v76, v[62:63], v[14:15] offset0:3 offset1:4
	;; [unrolled: 1-line block ×16, first 2 shown]
.LBB64_20:
	s_or_b32 exec_lo, exec_lo, s0
	s_delay_alu instid0(SALU_CYCLE_1)
	s_mov_b32 s0, exec_lo
	s_wait_storecnt_dscnt 0x0
	s_barrier_signal -1
	s_barrier_wait -1
	v_cmpx_lt_i32_e32 0, v80
	s_cbranch_execz .LBB64_22
; %bb.21:
	v_pk_mul_f32 v[82:83], v[74:75], v[68:69] op_sel:[1,1] op_sel_hi:[0,1]
	s_delay_alu instid0(VALU_DEP_1)
	v_pk_fma_f32 v[72:73], v[74:75], v[68:69], v[82:83] op_sel_hi:[1,0,1] neg_lo:[0,0,1] neg_hi:[0,0,1]
	v_pk_fma_f32 v[74:75], v[74:75], v[68:69], v[82:83] op_sel_hi:[1,0,1]
	ds_load_2addr_b64 v[82:85], v76 offset0:1 offset1:2
	v_dual_mov_b32 v68, v72 :: v_dual_mov_b32 v69, v75
	s_wait_dscnt 0x0
	v_pk_mul_f32 v[86:87], v[82:83], v[74:75] op_sel:[0,1]
	s_delay_alu instid0(VALU_DEP_1) | instskip(SKIP_1) | instid1(VALU_DEP_1)
	v_pk_fma_f32 v[88:89], v[82:83], v[72:73], v[86:87] op_sel:[0,0,1] op_sel_hi:[1,1,0] neg_lo:[0,0,1] neg_hi:[0,0,1]
	v_pk_fma_f32 v[82:83], v[82:83], v[72:73], v[86:87] op_sel:[0,0,1] op_sel_hi:[1,0,0]
	v_mov_b32_e32 v89, v83
	v_pk_mul_f32 v[82:83], v[84:85], v[74:75] op_sel:[0,1]
	s_delay_alu instid0(VALU_DEP_1) | instskip(SKIP_1) | instid1(VALU_DEP_1)
	v_pk_fma_f32 v[86:87], v[84:85], v[72:73], v[82:83] op_sel:[0,0,1] op_sel_hi:[1,1,0] neg_lo:[0,0,1] neg_hi:[0,0,1]
	v_pk_fma_f32 v[82:83], v[84:85], v[72:73], v[82:83] op_sel:[0,0,1] op_sel_hi:[1,0,0]
	v_mov_b32_e32 v87, v83
	ds_load_2addr_b64 v[82:85], v76 offset0:3 offset1:4
	v_pk_add_f32 v[66:67], v[66:67], v[88:89] neg_lo:[0,1] neg_hi:[0,1]
	v_pk_add_f32 v[64:65], v[64:65], v[86:87] neg_lo:[0,1] neg_hi:[0,1]
	s_wait_dscnt 0x0
	v_pk_mul_f32 v[86:87], v[82:83], v[74:75] op_sel:[0,1]
	s_delay_alu instid0(VALU_DEP_1) | instskip(SKIP_2) | instid1(VALU_DEP_2)
	v_pk_fma_f32 v[88:89], v[82:83], v[72:73], v[86:87] op_sel:[0,0,1] op_sel_hi:[1,1,0] neg_lo:[0,0,1] neg_hi:[0,0,1]
	v_pk_fma_f32 v[82:83], v[82:83], v[72:73], v[86:87] op_sel:[0,0,1] op_sel_hi:[1,0,0]
	v_dual_mul_f32 v86, v85, v75 :: v_dual_mov_b32 v82, v85
	v_dual_mov_b32 v89, v83 :: v_dual_mov_b32 v83, v84
	s_delay_alu instid0(VALU_DEP_2) | instskip(SKIP_1) | instid1(VALU_DEP_3)
	v_pk_fma_f32 v[86:87], v[84:85], v[68:69], v[86:87] op_sel_hi:[1,1,0] neg_lo:[0,0,1] neg_hi:[0,0,1]
	v_mul_f32_e32 v84, v85, v72
	v_pk_add_f32 v[62:63], v[62:63], v[88:89] neg_lo:[0,1] neg_hi:[0,1]
	s_delay_alu instid0(VALU_DEP_2) | instskip(NEXT) | instid1(VALU_DEP_1)
	v_pk_fma_f32 v[82:83], v[82:83], v[68:69], v[84:85] op_sel_hi:[1,1,0]
	v_mov_b32_e32 v87, v83
	ds_load_2addr_b64 v[82:85], v76 offset0:5 offset1:6
	v_pk_add_f32 v[14:15], v[14:15], v[86:87] neg_lo:[0,1] neg_hi:[0,1]
	s_wait_dscnt 0x0
	v_pk_mul_f32 v[86:87], v[82:83], v[74:75] op_sel:[0,1]
	s_delay_alu instid0(VALU_DEP_1) | instskip(SKIP_1) | instid1(VALU_DEP_1)
	v_pk_fma_f32 v[88:89], v[82:83], v[72:73], v[86:87] op_sel:[0,0,1] op_sel_hi:[1,1,0] neg_lo:[0,0,1] neg_hi:[0,0,1]
	v_pk_fma_f32 v[82:83], v[82:83], v[72:73], v[86:87] op_sel:[0,0,1] op_sel_hi:[1,0,0]
	v_mov_b32_e32 v89, v83
	v_pk_mul_f32 v[82:83], v[84:85], v[74:75] op_sel:[0,1]
	s_delay_alu instid0(VALU_DEP_1) | instskip(SKIP_1) | instid1(VALU_DEP_1)
	v_pk_fma_f32 v[86:87], v[84:85], v[72:73], v[82:83] op_sel:[0,0,1] op_sel_hi:[1,1,0] neg_lo:[0,0,1] neg_hi:[0,0,1]
	v_pk_fma_f32 v[82:83], v[84:85], v[72:73], v[82:83] op_sel:[0,0,1] op_sel_hi:[1,0,0]
	v_mov_b32_e32 v87, v83
	ds_load_2addr_b64 v[82:85], v76 offset0:7 offset1:8
	v_pk_add_f32 v[10:11], v[10:11], v[88:89] neg_lo:[0,1] neg_hi:[0,1]
	v_pk_add_f32 v[12:13], v[12:13], v[86:87] neg_lo:[0,1] neg_hi:[0,1]
	s_wait_dscnt 0x0
	v_pk_mul_f32 v[86:87], v[82:83], v[74:75] op_sel:[0,1]
	s_delay_alu instid0(VALU_DEP_1) | instskip(SKIP_1) | instid1(VALU_DEP_1)
	v_pk_fma_f32 v[88:89], v[82:83], v[72:73], v[86:87] op_sel:[0,0,1] op_sel_hi:[1,1,0] neg_lo:[0,0,1] neg_hi:[0,0,1]
	v_pk_fma_f32 v[82:83], v[82:83], v[72:73], v[86:87] op_sel:[0,0,1] op_sel_hi:[1,0,0]
	v_mov_b32_e32 v89, v83
	v_pk_mul_f32 v[82:83], v[84:85], v[74:75] op_sel:[0,1]
	s_delay_alu instid0(VALU_DEP_1) | instskip(SKIP_1) | instid1(VALU_DEP_1)
	v_pk_fma_f32 v[86:87], v[84:85], v[72:73], v[82:83] op_sel:[0,0,1] op_sel_hi:[1,1,0] neg_lo:[0,0,1] neg_hi:[0,0,1]
	v_pk_fma_f32 v[82:83], v[84:85], v[72:73], v[82:83] op_sel:[0,0,1] op_sel_hi:[1,0,0]
	v_mov_b32_e32 v87, v83
	ds_load_2addr_b64 v[82:85], v76 offset0:9 offset1:10
	v_pk_add_f32 v[8:9], v[8:9], v[88:89] neg_lo:[0,1] neg_hi:[0,1]
	v_pk_add_f32 v[30:31], v[30:31], v[86:87] neg_lo:[0,1] neg_hi:[0,1]
	s_wait_dscnt 0x0
	v_dual_mul_f32 v86, v83, v75 :: v_dual_mul_f32 v88, v83, v72
	s_delay_alu instid0(VALU_DEP_1) | instskip(NEXT) | instid1(VALU_DEP_2)
	v_pk_fma_f32 v[86:87], v[82:83], v[68:69], v[86:87] op_sel_hi:[1,1,0] neg_lo:[0,0,1] neg_hi:[0,0,1]
	v_pk_fma_f32 v[82:83], v[82:83], v[68:69], v[88:89] op_sel:[1,0,0] op_sel_hi:[0,1,0]
	s_delay_alu instid0(VALU_DEP_1) | instskip(SKIP_1) | instid1(VALU_DEP_2)
	v_mov_b32_e32 v87, v83
	v_pk_mul_f32 v[82:83], v[84:85], v[74:75] op_sel:[0,1]
	v_pk_add_f32 v[22:23], v[22:23], v[86:87] neg_lo:[0,1] neg_hi:[0,1]
	s_delay_alu instid0(VALU_DEP_2) | instskip(SKIP_1) | instid1(VALU_DEP_1)
	v_pk_fma_f32 v[86:87], v[84:85], v[72:73], v[82:83] op_sel:[0,0,1] op_sel_hi:[1,1,0] neg_lo:[0,0,1] neg_hi:[0,0,1]
	v_pk_fma_f32 v[82:83], v[84:85], v[72:73], v[82:83] op_sel:[0,0,1] op_sel_hi:[1,0,0]
	v_mov_b32_e32 v87, v83
	ds_load_2addr_b64 v[82:85], v76 offset0:11 offset1:12
	v_pk_add_f32 v[28:29], v[28:29], v[86:87] neg_lo:[0,1] neg_hi:[0,1]
	s_wait_dscnt 0x0
	v_pk_mul_f32 v[86:87], v[82:83], v[74:75] op_sel:[0,1]
	s_delay_alu instid0(VALU_DEP_1) | instskip(SKIP_1) | instid1(VALU_DEP_1)
	v_pk_fma_f32 v[88:89], v[82:83], v[72:73], v[86:87] op_sel:[0,0,1] op_sel_hi:[1,1,0] neg_lo:[0,0,1] neg_hi:[0,0,1]
	v_pk_fma_f32 v[82:83], v[82:83], v[72:73], v[86:87] op_sel:[0,0,1] op_sel_hi:[1,0,0]
	v_mov_b32_e32 v89, v83
	v_pk_mul_f32 v[82:83], v[84:85], v[74:75] op_sel:[0,1]
	s_delay_alu instid0(VALU_DEP_2) | instskip(NEXT) | instid1(VALU_DEP_2)
	v_pk_add_f32 v[20:21], v[20:21], v[88:89] neg_lo:[0,1] neg_hi:[0,1]
	v_pk_fma_f32 v[86:87], v[84:85], v[72:73], v[82:83] op_sel:[0,0,1] op_sel_hi:[1,1,0] neg_lo:[0,0,1] neg_hi:[0,0,1]
	v_pk_fma_f32 v[82:83], v[84:85], v[72:73], v[82:83] op_sel:[0,0,1] op_sel_hi:[1,0,0]
	s_delay_alu instid0(VALU_DEP_1) | instskip(SKIP_4) | instid1(VALU_DEP_1)
	v_mov_b32_e32 v87, v83
	ds_load_2addr_b64 v[82:85], v76 offset0:13 offset1:14
	v_pk_add_f32 v[40:41], v[40:41], v[86:87] neg_lo:[0,1] neg_hi:[0,1]
	s_wait_dscnt 0x0
	v_pk_mul_f32 v[86:87], v[82:83], v[74:75] op_sel:[0,1]
	v_pk_fma_f32 v[88:89], v[82:83], v[72:73], v[86:87] op_sel:[0,0,1] op_sel_hi:[1,1,0] neg_lo:[0,0,1] neg_hi:[0,0,1]
	v_pk_fma_f32 v[82:83], v[82:83], v[72:73], v[86:87] op_sel:[0,0,1] op_sel_hi:[1,0,0]
	v_dual_mul_f32 v86, v85, v75 :: v_dual_mov_b32 v82, v85
	s_delay_alu instid0(VALU_DEP_2) | instskip(NEXT) | instid1(VALU_DEP_2)
	v_dual_mov_b32 v89, v83 :: v_dual_mov_b32 v83, v84
	v_pk_fma_f32 v[86:87], v[84:85], v[68:69], v[86:87] op_sel_hi:[1,1,0] neg_lo:[0,0,1] neg_hi:[0,0,1]
	v_mul_f32_e32 v84, v85, v72
	s_delay_alu instid0(VALU_DEP_3) | instskip(NEXT) | instid1(VALU_DEP_2)
	v_pk_add_f32 v[36:37], v[36:37], v[88:89] neg_lo:[0,1] neg_hi:[0,1]
	v_pk_fma_f32 v[82:83], v[82:83], v[68:69], v[84:85] op_sel_hi:[1,1,0]
	s_delay_alu instid0(VALU_DEP_1) | instskip(SKIP_4) | instid1(VALU_DEP_1)
	v_mov_b32_e32 v87, v83
	ds_load_2addr_b64 v[82:85], v76 offset0:15 offset1:16
	v_pk_add_f32 v[38:39], v[38:39], v[86:87] neg_lo:[0,1] neg_hi:[0,1]
	s_wait_dscnt 0x0
	v_pk_mul_f32 v[86:87], v[82:83], v[74:75] op_sel:[0,1]
	v_pk_fma_f32 v[88:89], v[82:83], v[72:73], v[86:87] op_sel:[0,0,1] op_sel_hi:[1,1,0] neg_lo:[0,0,1] neg_hi:[0,0,1]
	v_pk_fma_f32 v[82:83], v[82:83], v[72:73], v[86:87] op_sel:[0,0,1] op_sel_hi:[1,0,0]
	s_delay_alu instid0(VALU_DEP_1) | instskip(SKIP_1) | instid1(VALU_DEP_1)
	v_mov_b32_e32 v89, v83
	v_pk_mul_f32 v[82:83], v[84:85], v[74:75] op_sel:[0,1]
	v_pk_fma_f32 v[86:87], v[84:85], v[72:73], v[82:83] op_sel:[0,0,1] op_sel_hi:[1,1,0] neg_lo:[0,0,1] neg_hi:[0,0,1]
	v_pk_fma_f32 v[82:83], v[84:85], v[72:73], v[82:83] op_sel:[0,0,1] op_sel_hi:[1,0,0]
	s_delay_alu instid0(VALU_DEP_1)
	v_mov_b32_e32 v87, v83
	ds_load_2addr_b64 v[82:85], v76 offset0:17 offset1:18
	v_pk_add_f32 v[34:35], v[34:35], v[88:89] neg_lo:[0,1] neg_hi:[0,1]
	v_pk_add_f32 v[60:61], v[60:61], v[86:87] neg_lo:[0,1] neg_hi:[0,1]
	s_wait_dscnt 0x0
	v_pk_mul_f32 v[86:87], v[82:83], v[74:75] op_sel:[0,1]
	s_delay_alu instid0(VALU_DEP_1) | instskip(SKIP_1) | instid1(VALU_DEP_1)
	v_pk_fma_f32 v[88:89], v[82:83], v[72:73], v[86:87] op_sel:[0,0,1] op_sel_hi:[1,1,0] neg_lo:[0,0,1] neg_hi:[0,0,1]
	v_pk_fma_f32 v[82:83], v[82:83], v[72:73], v[86:87] op_sel:[0,0,1] op_sel_hi:[1,0,0]
	v_mov_b32_e32 v89, v83
	v_pk_mul_f32 v[82:83], v[84:85], v[74:75] op_sel:[0,1]
	s_delay_alu instid0(VALU_DEP_1) | instskip(SKIP_1) | instid1(VALU_DEP_1)
	v_pk_fma_f32 v[86:87], v[84:85], v[72:73], v[82:83] op_sel:[0,0,1] op_sel_hi:[1,1,0] neg_lo:[0,0,1] neg_hi:[0,0,1]
	v_pk_fma_f32 v[82:83], v[84:85], v[72:73], v[82:83] op_sel:[0,0,1] op_sel_hi:[1,0,0]
	v_mov_b32_e32 v87, v83
	ds_load_2addr_b64 v[82:85], v76 offset0:19 offset1:20
	v_pk_add_f32 v[56:57], v[56:57], v[88:89] neg_lo:[0,1] neg_hi:[0,1]
	v_pk_add_f32 v[58:59], v[58:59], v[86:87] neg_lo:[0,1] neg_hi:[0,1]
	s_wait_dscnt 0x0
	v_dual_mul_f32 v86, v83, v75 :: v_dual_mul_f32 v88, v83, v72
	s_delay_alu instid0(VALU_DEP_1) | instskip(NEXT) | instid1(VALU_DEP_2)
	v_pk_fma_f32 v[86:87], v[82:83], v[68:69], v[86:87] op_sel_hi:[1,1,0] neg_lo:[0,0,1] neg_hi:[0,0,1]
	v_pk_fma_f32 v[82:83], v[82:83], v[68:69], v[88:89] op_sel:[1,0,0] op_sel_hi:[0,1,0]
	s_delay_alu instid0(VALU_DEP_1) | instskip(SKIP_1) | instid1(VALU_DEP_2)
	v_mov_b32_e32 v87, v83
	v_pk_mul_f32 v[82:83], v[84:85], v[74:75] op_sel:[0,1]
	v_pk_add_f32 v[54:55], v[54:55], v[86:87] neg_lo:[0,1] neg_hi:[0,1]
	s_delay_alu instid0(VALU_DEP_2) | instskip(SKIP_1) | instid1(VALU_DEP_1)
	v_pk_fma_f32 v[86:87], v[84:85], v[72:73], v[82:83] op_sel:[0,0,1] op_sel_hi:[1,1,0] neg_lo:[0,0,1] neg_hi:[0,0,1]
	v_pk_fma_f32 v[82:83], v[84:85], v[72:73], v[82:83] op_sel:[0,0,1] op_sel_hi:[1,0,0]
	v_mov_b32_e32 v87, v83
	ds_load_2addr_b64 v[82:85], v76 offset0:21 offset1:22
	v_pk_add_f32 v[50:51], v[50:51], v[86:87] neg_lo:[0,1] neg_hi:[0,1]
	s_wait_dscnt 0x0
	v_pk_mul_f32 v[86:87], v[82:83], v[74:75] op_sel:[0,1]
	s_delay_alu instid0(VALU_DEP_1) | instskip(SKIP_1) | instid1(VALU_DEP_1)
	v_pk_fma_f32 v[88:89], v[82:83], v[72:73], v[86:87] op_sel:[0,0,1] op_sel_hi:[1,1,0] neg_lo:[0,0,1] neg_hi:[0,0,1]
	v_pk_fma_f32 v[82:83], v[82:83], v[72:73], v[86:87] op_sel:[0,0,1] op_sel_hi:[1,0,0]
	v_mov_b32_e32 v89, v83
	v_pk_mul_f32 v[82:83], v[84:85], v[74:75] op_sel:[0,1]
	s_delay_alu instid0(VALU_DEP_2) | instskip(NEXT) | instid1(VALU_DEP_2)
	v_pk_add_f32 v[46:47], v[46:47], v[88:89] neg_lo:[0,1] neg_hi:[0,1]
	v_pk_fma_f32 v[86:87], v[84:85], v[72:73], v[82:83] op_sel:[0,0,1] op_sel_hi:[1,1,0] neg_lo:[0,0,1] neg_hi:[0,0,1]
	v_pk_fma_f32 v[82:83], v[84:85], v[72:73], v[82:83] op_sel:[0,0,1] op_sel_hi:[1,0,0]
	s_delay_alu instid0(VALU_DEP_1) | instskip(SKIP_4) | instid1(VALU_DEP_1)
	v_mov_b32_e32 v87, v83
	ds_load_2addr_b64 v[82:85], v76 offset0:23 offset1:24
	v_pk_add_f32 v[48:49], v[48:49], v[86:87] neg_lo:[0,1] neg_hi:[0,1]
	s_wait_dscnt 0x0
	v_pk_mul_f32 v[86:87], v[82:83], v[74:75] op_sel:[0,1]
	v_pk_fma_f32 v[88:89], v[82:83], v[72:73], v[86:87] op_sel:[0,0,1] op_sel_hi:[1,1,0] neg_lo:[0,0,1] neg_hi:[0,0,1]
	v_pk_fma_f32 v[82:83], v[82:83], v[72:73], v[86:87] op_sel:[0,0,1] op_sel_hi:[1,0,0]
	v_dual_mul_f32 v86, v85, v75 :: v_dual_mov_b32 v82, v85
	s_delay_alu instid0(VALU_DEP_2) | instskip(NEXT) | instid1(VALU_DEP_2)
	v_dual_mov_b32 v89, v83 :: v_dual_mov_b32 v83, v84
	v_pk_fma_f32 v[86:87], v[84:85], v[68:69], v[86:87] op_sel_hi:[1,1,0] neg_lo:[0,0,1] neg_hi:[0,0,1]
	v_mul_f32_e32 v84, v85, v72
	s_delay_alu instid0(VALU_DEP_3) | instskip(NEXT) | instid1(VALU_DEP_2)
	v_pk_add_f32 v[44:45], v[44:45], v[88:89] neg_lo:[0,1] neg_hi:[0,1]
	v_pk_fma_f32 v[82:83], v[82:83], v[68:69], v[84:85] op_sel_hi:[1,1,0]
	s_delay_alu instid0(VALU_DEP_1) | instskip(SKIP_4) | instid1(VALU_DEP_1)
	v_mov_b32_e32 v87, v83
	ds_load_2addr_b64 v[82:85], v76 offset0:25 offset1:26
	v_pk_add_f32 v[26:27], v[26:27], v[86:87] neg_lo:[0,1] neg_hi:[0,1]
	s_wait_dscnt 0x0
	v_pk_mul_f32 v[86:87], v[82:83], v[74:75] op_sel:[0,1]
	v_pk_fma_f32 v[88:89], v[82:83], v[72:73], v[86:87] op_sel:[0,0,1] op_sel_hi:[1,1,0] neg_lo:[0,0,1] neg_hi:[0,0,1]
	v_pk_fma_f32 v[82:83], v[82:83], v[72:73], v[86:87] op_sel:[0,0,1] op_sel_hi:[1,0,0]
	s_delay_alu instid0(VALU_DEP_1) | instskip(SKIP_1) | instid1(VALU_DEP_1)
	v_mov_b32_e32 v89, v83
	v_pk_mul_f32 v[82:83], v[84:85], v[74:75] op_sel:[0,1]
	v_pk_fma_f32 v[86:87], v[84:85], v[72:73], v[82:83] op_sel:[0,0,1] op_sel_hi:[1,1,0] neg_lo:[0,0,1] neg_hi:[0,0,1]
	v_pk_fma_f32 v[82:83], v[84:85], v[72:73], v[82:83] op_sel:[0,0,1] op_sel_hi:[1,0,0]
	s_delay_alu instid0(VALU_DEP_1)
	v_mov_b32_e32 v87, v83
	ds_load_2addr_b64 v[82:85], v76 offset0:27 offset1:28
	v_pk_add_f32 v[18:19], v[18:19], v[88:89] neg_lo:[0,1] neg_hi:[0,1]
	v_pk_add_f32 v[24:25], v[24:25], v[86:87] neg_lo:[0,1] neg_hi:[0,1]
	s_wait_dscnt 0x0
	v_pk_mul_f32 v[86:87], v[82:83], v[74:75] op_sel:[0,1]
	s_delay_alu instid0(VALU_DEP_1) | instskip(SKIP_1) | instid1(VALU_DEP_1)
	v_pk_fma_f32 v[88:89], v[82:83], v[72:73], v[86:87] op_sel:[0,0,1] op_sel_hi:[1,1,0] neg_lo:[0,0,1] neg_hi:[0,0,1]
	v_pk_fma_f32 v[82:83], v[82:83], v[72:73], v[86:87] op_sel:[0,0,1] op_sel_hi:[1,0,0]
	v_mov_b32_e32 v89, v83
	v_pk_mul_f32 v[82:83], v[84:85], v[74:75] op_sel:[0,1]
	s_delay_alu instid0(VALU_DEP_1) | instskip(SKIP_1) | instid1(VALU_DEP_1)
	v_pk_fma_f32 v[86:87], v[84:85], v[72:73], v[82:83] op_sel:[0,0,1] op_sel_hi:[1,1,0] neg_lo:[0,0,1] neg_hi:[0,0,1]
	v_pk_fma_f32 v[82:83], v[84:85], v[72:73], v[82:83] op_sel:[0,0,1] op_sel_hi:[1,0,0]
	v_mov_b32_e32 v87, v83
	ds_load_2addr_b64 v[82:85], v76 offset0:29 offset1:30
	v_pk_add_f32 v[16:17], v[16:17], v[88:89] neg_lo:[0,1] neg_hi:[0,1]
	v_pk_add_f32 v[6:7], v[6:7], v[86:87] neg_lo:[0,1] neg_hi:[0,1]
	s_wait_dscnt 0x0
	v_dual_mul_f32 v86, v83, v75 :: v_dual_mul_f32 v88, v83, v72
	s_delay_alu instid0(VALU_DEP_1) | instskip(NEXT) | instid1(VALU_DEP_2)
	v_pk_fma_f32 v[86:87], v[82:83], v[68:69], v[86:87] op_sel_hi:[1,1,0] neg_lo:[0,0,1] neg_hi:[0,0,1]
	v_pk_fma_f32 v[82:83], v[82:83], v[68:69], v[88:89] op_sel:[1,0,0] op_sel_hi:[0,1,0]
	s_delay_alu instid0(VALU_DEP_1) | instskip(SKIP_1) | instid1(VALU_DEP_2)
	v_mov_b32_e32 v87, v83
	v_pk_mul_f32 v[82:83], v[84:85], v[74:75] op_sel:[0,1]
	v_pk_add_f32 v[52:53], v[52:53], v[86:87] neg_lo:[0,1] neg_hi:[0,1]
	s_delay_alu instid0(VALU_DEP_2) | instskip(SKIP_1) | instid1(VALU_DEP_1)
	v_pk_fma_f32 v[86:87], v[84:85], v[72:73], v[82:83] op_sel:[0,0,1] op_sel_hi:[1,1,0] neg_lo:[0,0,1] neg_hi:[0,0,1]
	v_pk_fma_f32 v[82:83], v[84:85], v[72:73], v[82:83] op_sel:[0,0,1] op_sel_hi:[1,0,0]
	v_mov_b32_e32 v87, v83
	ds_load_2addr_b64 v[82:85], v76 offset0:31 offset1:32
	v_pk_add_f32 v[42:43], v[42:43], v[86:87] neg_lo:[0,1] neg_hi:[0,1]
	s_wait_dscnt 0x0
	v_pk_mul_f32 v[86:87], v[82:83], v[74:75] op_sel:[0,1]
	v_pk_mul_f32 v[74:75], v[84:85], v[74:75] op_sel:[0,1]
	s_delay_alu instid0(VALU_DEP_2) | instskip(SKIP_1) | instid1(VALU_DEP_1)
	v_pk_fma_f32 v[88:89], v[82:83], v[72:73], v[86:87] op_sel:[0,0,1] op_sel_hi:[1,1,0] neg_lo:[0,0,1] neg_hi:[0,0,1]
	v_pk_fma_f32 v[82:83], v[82:83], v[72:73], v[86:87] op_sel:[0,0,1] op_sel_hi:[1,0,0]
	v_mov_b32_e32 v89, v83
	s_delay_alu instid0(VALU_DEP_4) | instskip(SKIP_1) | instid1(VALU_DEP_3)
	v_pk_fma_f32 v[82:83], v[84:85], v[72:73], v[74:75] op_sel:[0,0,1] op_sel_hi:[1,1,0] neg_lo:[0,0,1] neg_hi:[0,0,1]
	v_pk_fma_f32 v[72:73], v[84:85], v[72:73], v[74:75] op_sel:[0,0,1] op_sel_hi:[1,0,0]
	v_pk_add_f32 v[32:33], v[32:33], v[88:89] neg_lo:[0,1] neg_hi:[0,1]
	s_delay_alu instid0(VALU_DEP_2) | instskip(NEXT) | instid1(VALU_DEP_1)
	v_mov_b32_e32 v83, v73
	v_pk_add_f32 v[70:71], v[70:71], v[82:83] neg_lo:[0,1] neg_hi:[0,1]
.LBB64_22:
	s_or_b32 exec_lo, exec_lo, s0
	v_lshl_add_u32 v72, v80, 3, v76
	s_barrier_signal -1
	s_barrier_wait -1
	ds_store_b64 v72, v[66:67]
	s_wait_dscnt 0x0
	s_barrier_signal -1
	s_barrier_wait -1
	ds_load_b64 v[74:75], v76 offset:8
	v_mov_b32_e32 v72, 1
	s_cmp_lt_i32 s18, 3
	s_cbranch_scc1 .LBB64_25
; %bb.23:
	v_add3_u32 v73, v77, 0, 16
	v_mov_b32_e32 v72, 1
	s_mov_b32 s0, 2
.LBB64_24:                              ; =>This Inner Loop Header: Depth=1
	ds_load_b64 v[82:83], v73
	s_wait_dscnt 0x1
	v_cmp_gt_f32_e32 vcc_lo, 0, v74
	v_cndmask_b32_e64 v84, v74, -v74, vcc_lo
	v_cmp_gt_f32_e32 vcc_lo, 0, v75
	v_cndmask_b32_e64 v86, v75, -v75, vcc_lo
	s_wait_dscnt 0x0
	v_cmp_gt_f32_e32 vcc_lo, 0, v82
	v_cndmask_b32_e64 v85, v82, -v82, vcc_lo
	v_cmp_gt_f32_e32 vcc_lo, 0, v83
	v_cndmask_b32_e64 v87, v83, -v83, vcc_lo
	s_delay_alu instid0(VALU_DEP_1) | instskip(NEXT) | instid1(VALU_DEP_1)
	v_pk_add_f32 v[84:85], v[84:85], v[86:87]
	v_cmp_lt_f32_e32 vcc_lo, v84, v85
	v_dual_add_nc_u32 v73, 8, v73 :: v_dual_cndmask_b32 v75, v75, v83, vcc_lo
	v_cndmask_b32_e32 v74, v74, v82, vcc_lo
	v_cndmask_b32_e64 v72, v72, s0, vcc_lo
	s_add_co_i32 s0, s0, 1
	s_delay_alu instid0(SALU_CYCLE_1)
	s_cmp_lg_u32 s18, s0
	s_cbranch_scc1 .LBB64_24
.LBB64_25:
	s_wait_dscnt 0x0
	v_cmp_neq_f32_e32 vcc_lo, 0, v74
	v_cmp_neq_f32_e64 s0, 0, v75
	s_or_b32 s1, vcc_lo, s0
	s_delay_alu instid0(SALU_CYCLE_1)
	s_and_saveexec_b32 s0, s1
	s_cbranch_execz .LBB64_31
; %bb.26:
	v_cmp_ngt_f32_e64 s1, |v74|, |v75|
	s_and_saveexec_b32 s12, s1
	s_delay_alu instid0(SALU_CYCLE_1)
	s_xor_b32 s1, exec_lo, s12
	s_cbranch_execz .LBB64_28
; %bb.27:
	v_div_scale_f32 v73, null, v75, v75, v74
	v_div_scale_f32 v83, vcc_lo, v74, v75, v74
	s_delay_alu instid0(VALU_DEP_2) | instskip(SKIP_1) | instid1(TRANS32_DEP_1)
	v_rcp_f32_e32 v78, v73
	v_nop
	v_fma_f32 v82, -v73, v78, 1.0
	s_delay_alu instid0(VALU_DEP_1) | instskip(NEXT) | instid1(VALU_DEP_1)
	v_fmac_f32_e32 v78, v82, v78
	v_mul_f32_e32 v82, v83, v78
	s_delay_alu instid0(VALU_DEP_1) | instskip(NEXT) | instid1(VALU_DEP_1)
	v_fma_f32 v84, -v73, v82, v83
	v_fmac_f32_e32 v82, v84, v78
	s_delay_alu instid0(VALU_DEP_1) | instskip(NEXT) | instid1(VALU_DEP_1)
	v_fma_f32 v73, -v73, v82, v83
	v_div_fmas_f32 v73, v73, v78, v82
	s_delay_alu instid0(VALU_DEP_1) | instskip(NEXT) | instid1(VALU_DEP_1)
	v_div_fixup_f32 v73, v73, v75, v74
	v_fmac_f32_e32 v75, v74, v73
	s_delay_alu instid0(VALU_DEP_1) | instskip(SKIP_1) | instid1(VALU_DEP_2)
	v_div_scale_f32 v74, null, v75, v75, 1.0
	v_div_scale_f32 v83, vcc_lo, 1.0, v75, 1.0
	v_rcp_f32_e32 v78, v74
	v_nop
	s_delay_alu instid0(TRANS32_DEP_1) | instskip(NEXT) | instid1(VALU_DEP_1)
	v_fma_f32 v82, -v74, v78, 1.0
	v_fmac_f32_e32 v78, v82, v78
	s_delay_alu instid0(VALU_DEP_1) | instskip(NEXT) | instid1(VALU_DEP_1)
	v_mul_f32_e32 v82, v83, v78
	v_fma_f32 v84, -v74, v82, v83
	s_delay_alu instid0(VALU_DEP_1) | instskip(NEXT) | instid1(VALU_DEP_1)
	v_fmac_f32_e32 v82, v84, v78
	v_fma_f32 v74, -v74, v82, v83
	s_delay_alu instid0(VALU_DEP_1) | instskip(NEXT) | instid1(VALU_DEP_1)
	v_div_fmas_f32 v74, v74, v78, v82
	v_div_fixup_f32 v75, v74, v75, 1.0
	s_delay_alu instid0(VALU_DEP_1)
	v_mul_f32_e32 v74, v73, v75
	v_xor_b32_e32 v75, 0x80000000, v75
.LBB64_28:
	s_and_not1_saveexec_b32 s1, s1
	s_cbranch_execz .LBB64_30
; %bb.29:
	s_delay_alu instid0(VALU_DEP_1) | instskip(SKIP_1) | instid1(VALU_DEP_2)
	v_div_scale_f32 v73, null, v74, v74, v75
	v_div_scale_f32 v83, vcc_lo, v75, v74, v75
	v_rcp_f32_e32 v78, v73
	v_nop
	s_delay_alu instid0(TRANS32_DEP_1) | instskip(NEXT) | instid1(VALU_DEP_1)
	v_fma_f32 v82, -v73, v78, 1.0
	v_fmac_f32_e32 v78, v82, v78
	s_delay_alu instid0(VALU_DEP_1) | instskip(NEXT) | instid1(VALU_DEP_1)
	v_mul_f32_e32 v82, v83, v78
	v_fma_f32 v84, -v73, v82, v83
	s_delay_alu instid0(VALU_DEP_1) | instskip(NEXT) | instid1(VALU_DEP_1)
	v_fmac_f32_e32 v82, v84, v78
	v_fma_f32 v73, -v73, v82, v83
	s_delay_alu instid0(VALU_DEP_1) | instskip(NEXT) | instid1(VALU_DEP_1)
	v_div_fmas_f32 v73, v73, v78, v82
	v_div_fixup_f32 v73, v73, v74, v75
	s_delay_alu instid0(VALU_DEP_1) | instskip(NEXT) | instid1(VALU_DEP_1)
	v_fmac_f32_e32 v74, v75, v73
	v_div_scale_f32 v75, null, v74, v74, 1.0
	s_delay_alu instid0(VALU_DEP_1) | instskip(SKIP_1) | instid1(TRANS32_DEP_1)
	v_rcp_f32_e32 v78, v75
	v_nop
	v_fma_f32 v82, -v75, v78, 1.0
	s_delay_alu instid0(VALU_DEP_1) | instskip(SKIP_1) | instid1(VALU_DEP_1)
	v_fmac_f32_e32 v78, v82, v78
	v_div_scale_f32 v82, vcc_lo, 1.0, v74, 1.0
	v_mul_f32_e32 v83, v82, v78
	s_delay_alu instid0(VALU_DEP_1) | instskip(NEXT) | instid1(VALU_DEP_1)
	v_fma_f32 v84, -v75, v83, v82
	v_fmac_f32_e32 v83, v84, v78
	s_delay_alu instid0(VALU_DEP_1) | instskip(NEXT) | instid1(VALU_DEP_1)
	v_fma_f32 v75, -v75, v83, v82
	v_div_fmas_f32 v75, v75, v78, v83
	s_delay_alu instid0(VALU_DEP_1) | instskip(NEXT) | instid1(VALU_DEP_1)
	v_div_fixup_f32 v74, v75, v74, 1.0
	v_mul_f32_e64 v75, v73, -v74
.LBB64_30:
	s_or_b32 exec_lo, exec_lo, s1
	v_mov_b32_e32 v78, v81
.LBB64_31:
	s_or_b32 exec_lo, exec_lo, s0
	s_delay_alu instid0(SALU_CYCLE_1)
	s_mov_b32 s0, exec_lo
	v_cmpx_ne_u32_e64 v80, v72
	s_xor_b32 s0, exec_lo, s0
	s_cbranch_execz .LBB64_37
; %bb.32:
	s_mov_b32 s1, exec_lo
	v_cmpx_eq_u32_e32 1, v80
	s_cbranch_execz .LBB64_36
; %bb.33:
	v_cmp_ne_u32_e32 vcc_lo, 1, v72
	s_xor_b32 s12, s16, -1
	s_delay_alu instid0(SALU_CYCLE_1) | instskip(NEXT) | instid1(SALU_CYCLE_1)
	s_and_b32 s13, s12, vcc_lo
	s_and_saveexec_b32 s12, s13
	s_cbranch_execz .LBB64_35
; %bb.34:
	v_ashrrev_i32_e32 v73, 31, v72
	s_delay_alu instid0(VALU_DEP_1)
	v_lshl_add_u64 v[80:81], v[72:73], 2, v[4:5]
	s_clause 0x1
	global_load_b32 v73, v[80:81], off
	global_load_b32 v79, v[4:5], off offset:4
	s_wait_loadcnt 0x1
	global_store_b32 v[4:5], v73, off offset:4
	s_wait_loadcnt 0x0
	global_store_b32 v[80:81], v79, off
.LBB64_35:
	s_wait_xcnt 0x0
	s_or_b32 exec_lo, exec_lo, s12
	v_dual_mov_b32 v80, v72 :: v_dual_mov_b32 v79, v72
.LBB64_36:
	s_or_b32 exec_lo, exec_lo, s1
.LBB64_37:
	s_and_not1_saveexec_b32 s0, s0
	s_cbranch_execz .LBB64_39
; %bb.38:
	v_dual_mov_b32 v72, v64 :: v_dual_mov_b32 v73, v65
	v_dual_mov_b32 v80, v62 :: v_dual_mov_b32 v81, v63
	ds_store_2addr_b64 v76, v[72:73], v[80:81] offset0:2 offset1:3
	v_dual_mov_b32 v72, v14 :: v_dual_mov_b32 v73, v15
	v_dual_mov_b32 v80, v10 :: v_dual_mov_b32 v81, v11
	ds_store_2addr_b64 v76, v[72:73], v[80:81] offset0:4 offset1:5
	;; [unrolled: 3-line block ×15, first 2 shown]
	ds_store_b64 v76, v[70:71] offset:256
	v_mov_b32_e32 v80, 1
.LBB64_39:
	s_or_b32 exec_lo, exec_lo, s0
	s_delay_alu instid0(SALU_CYCLE_1)
	s_mov_b32 s0, exec_lo
	s_wait_storecnt_dscnt 0x0
	s_barrier_signal -1
	s_barrier_wait -1
	v_cmpx_lt_i32_e32 1, v80
	s_cbranch_execz .LBB64_41
; %bb.40:
	v_pk_mul_f32 v[82:83], v[74:75], v[66:67] op_sel:[1,1] op_sel_hi:[0,1]
	s_delay_alu instid0(VALU_DEP_1)
	v_pk_fma_f32 v[72:73], v[74:75], v[66:67], v[82:83] op_sel_hi:[1,0,1] neg_lo:[0,0,1] neg_hi:[0,0,1]
	v_pk_fma_f32 v[74:75], v[74:75], v[66:67], v[82:83] op_sel_hi:[1,0,1]
	ds_load_2addr_b64 v[82:85], v76 offset0:2 offset1:3
	v_dual_mov_b32 v66, v72 :: v_dual_mov_b32 v67, v75
	s_wait_dscnt 0x0
	v_pk_mul_f32 v[86:87], v[82:83], v[74:75] op_sel:[0,1]
	s_delay_alu instid0(VALU_DEP_1) | instskip(SKIP_1) | instid1(VALU_DEP_1)
	v_pk_fma_f32 v[88:89], v[82:83], v[72:73], v[86:87] op_sel:[0,0,1] op_sel_hi:[1,1,0] neg_lo:[0,0,1] neg_hi:[0,0,1]
	v_pk_fma_f32 v[82:83], v[82:83], v[72:73], v[86:87] op_sel:[0,0,1] op_sel_hi:[1,0,0]
	v_mov_b32_e32 v89, v83
	v_pk_mul_f32 v[82:83], v[84:85], v[74:75] op_sel:[0,1]
	s_delay_alu instid0(VALU_DEP_1) | instskip(SKIP_1) | instid1(VALU_DEP_1)
	v_pk_fma_f32 v[86:87], v[84:85], v[72:73], v[82:83] op_sel:[0,0,1] op_sel_hi:[1,1,0] neg_lo:[0,0,1] neg_hi:[0,0,1]
	v_pk_fma_f32 v[82:83], v[84:85], v[72:73], v[82:83] op_sel:[0,0,1] op_sel_hi:[1,0,0]
	v_mov_b32_e32 v87, v83
	ds_load_2addr_b64 v[82:85], v76 offset0:4 offset1:5
	v_pk_add_f32 v[64:65], v[64:65], v[88:89] neg_lo:[0,1] neg_hi:[0,1]
	v_pk_add_f32 v[62:63], v[62:63], v[86:87] neg_lo:[0,1] neg_hi:[0,1]
	s_wait_dscnt 0x0
	v_pk_mul_f32 v[86:87], v[82:83], v[74:75] op_sel:[0,1]
	s_delay_alu instid0(VALU_DEP_1) | instskip(SKIP_2) | instid1(VALU_DEP_2)
	v_pk_fma_f32 v[88:89], v[82:83], v[72:73], v[86:87] op_sel:[0,0,1] op_sel_hi:[1,1,0] neg_lo:[0,0,1] neg_hi:[0,0,1]
	v_pk_fma_f32 v[82:83], v[82:83], v[72:73], v[86:87] op_sel:[0,0,1] op_sel_hi:[1,0,0]
	v_dual_mul_f32 v86, v85, v75 :: v_dual_mov_b32 v82, v85
	v_dual_mov_b32 v89, v83 :: v_dual_mov_b32 v83, v84
	s_delay_alu instid0(VALU_DEP_2) | instskip(SKIP_1) | instid1(VALU_DEP_3)
	v_pk_fma_f32 v[86:87], v[84:85], v[66:67], v[86:87] op_sel_hi:[1,1,0] neg_lo:[0,0,1] neg_hi:[0,0,1]
	v_mul_f32_e32 v84, v85, v72
	v_pk_add_f32 v[14:15], v[14:15], v[88:89] neg_lo:[0,1] neg_hi:[0,1]
	s_delay_alu instid0(VALU_DEP_2) | instskip(NEXT) | instid1(VALU_DEP_1)
	v_pk_fma_f32 v[82:83], v[82:83], v[66:67], v[84:85] op_sel_hi:[1,1,0]
	v_mov_b32_e32 v87, v83
	ds_load_2addr_b64 v[82:85], v76 offset0:6 offset1:7
	v_pk_add_f32 v[10:11], v[10:11], v[86:87] neg_lo:[0,1] neg_hi:[0,1]
	s_wait_dscnt 0x0
	v_pk_mul_f32 v[86:87], v[82:83], v[74:75] op_sel:[0,1]
	s_delay_alu instid0(VALU_DEP_1) | instskip(SKIP_1) | instid1(VALU_DEP_1)
	v_pk_fma_f32 v[88:89], v[82:83], v[72:73], v[86:87] op_sel:[0,0,1] op_sel_hi:[1,1,0] neg_lo:[0,0,1] neg_hi:[0,0,1]
	v_pk_fma_f32 v[82:83], v[82:83], v[72:73], v[86:87] op_sel:[0,0,1] op_sel_hi:[1,0,0]
	v_mov_b32_e32 v89, v83
	v_pk_mul_f32 v[82:83], v[84:85], v[74:75] op_sel:[0,1]
	s_delay_alu instid0(VALU_DEP_1) | instskip(SKIP_1) | instid1(VALU_DEP_1)
	v_pk_fma_f32 v[86:87], v[84:85], v[72:73], v[82:83] op_sel:[0,0,1] op_sel_hi:[1,1,0] neg_lo:[0,0,1] neg_hi:[0,0,1]
	v_pk_fma_f32 v[82:83], v[84:85], v[72:73], v[82:83] op_sel:[0,0,1] op_sel_hi:[1,0,0]
	v_mov_b32_e32 v87, v83
	ds_load_2addr_b64 v[82:85], v76 offset0:8 offset1:9
	v_pk_add_f32 v[12:13], v[12:13], v[88:89] neg_lo:[0,1] neg_hi:[0,1]
	v_pk_add_f32 v[8:9], v[8:9], v[86:87] neg_lo:[0,1] neg_hi:[0,1]
	s_wait_dscnt 0x0
	v_pk_mul_f32 v[86:87], v[82:83], v[74:75] op_sel:[0,1]
	s_delay_alu instid0(VALU_DEP_1) | instskip(SKIP_1) | instid1(VALU_DEP_1)
	v_pk_fma_f32 v[88:89], v[82:83], v[72:73], v[86:87] op_sel:[0,0,1] op_sel_hi:[1,1,0] neg_lo:[0,0,1] neg_hi:[0,0,1]
	v_pk_fma_f32 v[82:83], v[82:83], v[72:73], v[86:87] op_sel:[0,0,1] op_sel_hi:[1,0,0]
	v_mov_b32_e32 v89, v83
	v_pk_mul_f32 v[82:83], v[84:85], v[74:75] op_sel:[0,1]
	s_delay_alu instid0(VALU_DEP_1) | instskip(SKIP_1) | instid1(VALU_DEP_1)
	v_pk_fma_f32 v[86:87], v[84:85], v[72:73], v[82:83] op_sel:[0,0,1] op_sel_hi:[1,1,0] neg_lo:[0,0,1] neg_hi:[0,0,1]
	v_pk_fma_f32 v[82:83], v[84:85], v[72:73], v[82:83] op_sel:[0,0,1] op_sel_hi:[1,0,0]
	v_mov_b32_e32 v87, v83
	ds_load_2addr_b64 v[82:85], v76 offset0:10 offset1:11
	v_pk_add_f32 v[30:31], v[30:31], v[88:89] neg_lo:[0,1] neg_hi:[0,1]
	v_pk_add_f32 v[22:23], v[22:23], v[86:87] neg_lo:[0,1] neg_hi:[0,1]
	s_wait_dscnt 0x0
	v_dual_mul_f32 v86, v83, v75 :: v_dual_mul_f32 v88, v83, v72
	s_delay_alu instid0(VALU_DEP_1) | instskip(NEXT) | instid1(VALU_DEP_2)
	v_pk_fma_f32 v[86:87], v[82:83], v[66:67], v[86:87] op_sel_hi:[1,1,0] neg_lo:[0,0,1] neg_hi:[0,0,1]
	v_pk_fma_f32 v[82:83], v[82:83], v[66:67], v[88:89] op_sel:[1,0,0] op_sel_hi:[0,1,0]
	s_delay_alu instid0(VALU_DEP_1) | instskip(SKIP_1) | instid1(VALU_DEP_2)
	v_mov_b32_e32 v87, v83
	v_pk_mul_f32 v[82:83], v[84:85], v[74:75] op_sel:[0,1]
	v_pk_add_f32 v[28:29], v[28:29], v[86:87] neg_lo:[0,1] neg_hi:[0,1]
	s_delay_alu instid0(VALU_DEP_2) | instskip(SKIP_1) | instid1(VALU_DEP_1)
	v_pk_fma_f32 v[86:87], v[84:85], v[72:73], v[82:83] op_sel:[0,0,1] op_sel_hi:[1,1,0] neg_lo:[0,0,1] neg_hi:[0,0,1]
	v_pk_fma_f32 v[82:83], v[84:85], v[72:73], v[82:83] op_sel:[0,0,1] op_sel_hi:[1,0,0]
	v_mov_b32_e32 v87, v83
	ds_load_2addr_b64 v[82:85], v76 offset0:12 offset1:13
	v_pk_add_f32 v[20:21], v[20:21], v[86:87] neg_lo:[0,1] neg_hi:[0,1]
	s_wait_dscnt 0x0
	v_pk_mul_f32 v[86:87], v[82:83], v[74:75] op_sel:[0,1]
	s_delay_alu instid0(VALU_DEP_1) | instskip(SKIP_1) | instid1(VALU_DEP_1)
	v_pk_fma_f32 v[88:89], v[82:83], v[72:73], v[86:87] op_sel:[0,0,1] op_sel_hi:[1,1,0] neg_lo:[0,0,1] neg_hi:[0,0,1]
	v_pk_fma_f32 v[82:83], v[82:83], v[72:73], v[86:87] op_sel:[0,0,1] op_sel_hi:[1,0,0]
	v_mov_b32_e32 v89, v83
	v_pk_mul_f32 v[82:83], v[84:85], v[74:75] op_sel:[0,1]
	s_delay_alu instid0(VALU_DEP_2) | instskip(NEXT) | instid1(VALU_DEP_2)
	v_pk_add_f32 v[40:41], v[40:41], v[88:89] neg_lo:[0,1] neg_hi:[0,1]
	v_pk_fma_f32 v[86:87], v[84:85], v[72:73], v[82:83] op_sel:[0,0,1] op_sel_hi:[1,1,0] neg_lo:[0,0,1] neg_hi:[0,0,1]
	v_pk_fma_f32 v[82:83], v[84:85], v[72:73], v[82:83] op_sel:[0,0,1] op_sel_hi:[1,0,0]
	s_delay_alu instid0(VALU_DEP_1) | instskip(SKIP_4) | instid1(VALU_DEP_1)
	v_mov_b32_e32 v87, v83
	ds_load_2addr_b64 v[82:85], v76 offset0:14 offset1:15
	v_pk_add_f32 v[36:37], v[36:37], v[86:87] neg_lo:[0,1] neg_hi:[0,1]
	s_wait_dscnt 0x0
	v_pk_mul_f32 v[86:87], v[82:83], v[74:75] op_sel:[0,1]
	v_pk_fma_f32 v[88:89], v[82:83], v[72:73], v[86:87] op_sel:[0,0,1] op_sel_hi:[1,1,0] neg_lo:[0,0,1] neg_hi:[0,0,1]
	v_pk_fma_f32 v[82:83], v[82:83], v[72:73], v[86:87] op_sel:[0,0,1] op_sel_hi:[1,0,0]
	v_dual_mul_f32 v86, v85, v75 :: v_dual_mov_b32 v82, v85
	s_delay_alu instid0(VALU_DEP_2) | instskip(NEXT) | instid1(VALU_DEP_2)
	v_dual_mov_b32 v89, v83 :: v_dual_mov_b32 v83, v84
	v_pk_fma_f32 v[86:87], v[84:85], v[66:67], v[86:87] op_sel_hi:[1,1,0] neg_lo:[0,0,1] neg_hi:[0,0,1]
	v_mul_f32_e32 v84, v85, v72
	s_delay_alu instid0(VALU_DEP_3) | instskip(NEXT) | instid1(VALU_DEP_2)
	v_pk_add_f32 v[38:39], v[38:39], v[88:89] neg_lo:[0,1] neg_hi:[0,1]
	v_pk_fma_f32 v[82:83], v[82:83], v[66:67], v[84:85] op_sel_hi:[1,1,0]
	s_delay_alu instid0(VALU_DEP_1) | instskip(SKIP_4) | instid1(VALU_DEP_1)
	v_mov_b32_e32 v87, v83
	ds_load_2addr_b64 v[82:85], v76 offset0:16 offset1:17
	v_pk_add_f32 v[34:35], v[34:35], v[86:87] neg_lo:[0,1] neg_hi:[0,1]
	s_wait_dscnt 0x0
	v_pk_mul_f32 v[86:87], v[82:83], v[74:75] op_sel:[0,1]
	v_pk_fma_f32 v[88:89], v[82:83], v[72:73], v[86:87] op_sel:[0,0,1] op_sel_hi:[1,1,0] neg_lo:[0,0,1] neg_hi:[0,0,1]
	v_pk_fma_f32 v[82:83], v[82:83], v[72:73], v[86:87] op_sel:[0,0,1] op_sel_hi:[1,0,0]
	s_delay_alu instid0(VALU_DEP_1) | instskip(SKIP_1) | instid1(VALU_DEP_1)
	v_mov_b32_e32 v89, v83
	v_pk_mul_f32 v[82:83], v[84:85], v[74:75] op_sel:[0,1]
	v_pk_fma_f32 v[86:87], v[84:85], v[72:73], v[82:83] op_sel:[0,0,1] op_sel_hi:[1,1,0] neg_lo:[0,0,1] neg_hi:[0,0,1]
	v_pk_fma_f32 v[82:83], v[84:85], v[72:73], v[82:83] op_sel:[0,0,1] op_sel_hi:[1,0,0]
	s_delay_alu instid0(VALU_DEP_1)
	v_mov_b32_e32 v87, v83
	ds_load_2addr_b64 v[82:85], v76 offset0:18 offset1:19
	v_pk_add_f32 v[60:61], v[60:61], v[88:89] neg_lo:[0,1] neg_hi:[0,1]
	v_pk_add_f32 v[56:57], v[56:57], v[86:87] neg_lo:[0,1] neg_hi:[0,1]
	s_wait_dscnt 0x0
	v_pk_mul_f32 v[86:87], v[82:83], v[74:75] op_sel:[0,1]
	s_delay_alu instid0(VALU_DEP_1) | instskip(SKIP_1) | instid1(VALU_DEP_1)
	v_pk_fma_f32 v[88:89], v[82:83], v[72:73], v[86:87] op_sel:[0,0,1] op_sel_hi:[1,1,0] neg_lo:[0,0,1] neg_hi:[0,0,1]
	v_pk_fma_f32 v[82:83], v[82:83], v[72:73], v[86:87] op_sel:[0,0,1] op_sel_hi:[1,0,0]
	v_mov_b32_e32 v89, v83
	v_pk_mul_f32 v[82:83], v[84:85], v[74:75] op_sel:[0,1]
	s_delay_alu instid0(VALU_DEP_1) | instskip(SKIP_1) | instid1(VALU_DEP_1)
	v_pk_fma_f32 v[86:87], v[84:85], v[72:73], v[82:83] op_sel:[0,0,1] op_sel_hi:[1,1,0] neg_lo:[0,0,1] neg_hi:[0,0,1]
	v_pk_fma_f32 v[82:83], v[84:85], v[72:73], v[82:83] op_sel:[0,0,1] op_sel_hi:[1,0,0]
	v_mov_b32_e32 v87, v83
	ds_load_2addr_b64 v[82:85], v76 offset0:20 offset1:21
	v_pk_add_f32 v[58:59], v[58:59], v[88:89] neg_lo:[0,1] neg_hi:[0,1]
	v_pk_add_f32 v[54:55], v[54:55], v[86:87] neg_lo:[0,1] neg_hi:[0,1]
	s_wait_dscnt 0x0
	v_dual_mul_f32 v86, v83, v75 :: v_dual_mul_f32 v88, v83, v72
	s_delay_alu instid0(VALU_DEP_1) | instskip(NEXT) | instid1(VALU_DEP_2)
	v_pk_fma_f32 v[86:87], v[82:83], v[66:67], v[86:87] op_sel_hi:[1,1,0] neg_lo:[0,0,1] neg_hi:[0,0,1]
	v_pk_fma_f32 v[82:83], v[82:83], v[66:67], v[88:89] op_sel:[1,0,0] op_sel_hi:[0,1,0]
	s_delay_alu instid0(VALU_DEP_1) | instskip(SKIP_1) | instid1(VALU_DEP_2)
	v_mov_b32_e32 v87, v83
	v_pk_mul_f32 v[82:83], v[84:85], v[74:75] op_sel:[0,1]
	v_pk_add_f32 v[50:51], v[50:51], v[86:87] neg_lo:[0,1] neg_hi:[0,1]
	s_delay_alu instid0(VALU_DEP_2) | instskip(SKIP_1) | instid1(VALU_DEP_1)
	v_pk_fma_f32 v[86:87], v[84:85], v[72:73], v[82:83] op_sel:[0,0,1] op_sel_hi:[1,1,0] neg_lo:[0,0,1] neg_hi:[0,0,1]
	v_pk_fma_f32 v[82:83], v[84:85], v[72:73], v[82:83] op_sel:[0,0,1] op_sel_hi:[1,0,0]
	v_mov_b32_e32 v87, v83
	ds_load_2addr_b64 v[82:85], v76 offset0:22 offset1:23
	v_pk_add_f32 v[46:47], v[46:47], v[86:87] neg_lo:[0,1] neg_hi:[0,1]
	s_wait_dscnt 0x0
	v_pk_mul_f32 v[86:87], v[82:83], v[74:75] op_sel:[0,1]
	s_delay_alu instid0(VALU_DEP_1) | instskip(SKIP_1) | instid1(VALU_DEP_1)
	v_pk_fma_f32 v[88:89], v[82:83], v[72:73], v[86:87] op_sel:[0,0,1] op_sel_hi:[1,1,0] neg_lo:[0,0,1] neg_hi:[0,0,1]
	v_pk_fma_f32 v[82:83], v[82:83], v[72:73], v[86:87] op_sel:[0,0,1] op_sel_hi:[1,0,0]
	v_mov_b32_e32 v89, v83
	v_pk_mul_f32 v[82:83], v[84:85], v[74:75] op_sel:[0,1]
	s_delay_alu instid0(VALU_DEP_2) | instskip(NEXT) | instid1(VALU_DEP_2)
	v_pk_add_f32 v[48:49], v[48:49], v[88:89] neg_lo:[0,1] neg_hi:[0,1]
	v_pk_fma_f32 v[86:87], v[84:85], v[72:73], v[82:83] op_sel:[0,0,1] op_sel_hi:[1,1,0] neg_lo:[0,0,1] neg_hi:[0,0,1]
	v_pk_fma_f32 v[82:83], v[84:85], v[72:73], v[82:83] op_sel:[0,0,1] op_sel_hi:[1,0,0]
	s_delay_alu instid0(VALU_DEP_1) | instskip(SKIP_4) | instid1(VALU_DEP_1)
	v_mov_b32_e32 v87, v83
	ds_load_2addr_b64 v[82:85], v76 offset0:24 offset1:25
	v_pk_add_f32 v[44:45], v[44:45], v[86:87] neg_lo:[0,1] neg_hi:[0,1]
	s_wait_dscnt 0x0
	v_pk_mul_f32 v[86:87], v[82:83], v[74:75] op_sel:[0,1]
	v_pk_fma_f32 v[88:89], v[82:83], v[72:73], v[86:87] op_sel:[0,0,1] op_sel_hi:[1,1,0] neg_lo:[0,0,1] neg_hi:[0,0,1]
	v_pk_fma_f32 v[82:83], v[82:83], v[72:73], v[86:87] op_sel:[0,0,1] op_sel_hi:[1,0,0]
	v_dual_mul_f32 v86, v85, v75 :: v_dual_mov_b32 v82, v85
	s_delay_alu instid0(VALU_DEP_2) | instskip(NEXT) | instid1(VALU_DEP_2)
	v_dual_mov_b32 v89, v83 :: v_dual_mov_b32 v83, v84
	v_pk_fma_f32 v[86:87], v[84:85], v[66:67], v[86:87] op_sel_hi:[1,1,0] neg_lo:[0,0,1] neg_hi:[0,0,1]
	v_mul_f32_e32 v84, v85, v72
	s_delay_alu instid0(VALU_DEP_3) | instskip(NEXT) | instid1(VALU_DEP_2)
	v_pk_add_f32 v[26:27], v[26:27], v[88:89] neg_lo:[0,1] neg_hi:[0,1]
	v_pk_fma_f32 v[82:83], v[82:83], v[66:67], v[84:85] op_sel_hi:[1,1,0]
	s_delay_alu instid0(VALU_DEP_1) | instskip(SKIP_4) | instid1(VALU_DEP_1)
	v_mov_b32_e32 v87, v83
	ds_load_2addr_b64 v[82:85], v76 offset0:26 offset1:27
	v_pk_add_f32 v[18:19], v[18:19], v[86:87] neg_lo:[0,1] neg_hi:[0,1]
	s_wait_dscnt 0x0
	v_pk_mul_f32 v[86:87], v[82:83], v[74:75] op_sel:[0,1]
	v_pk_fma_f32 v[88:89], v[82:83], v[72:73], v[86:87] op_sel:[0,0,1] op_sel_hi:[1,1,0] neg_lo:[0,0,1] neg_hi:[0,0,1]
	v_pk_fma_f32 v[82:83], v[82:83], v[72:73], v[86:87] op_sel:[0,0,1] op_sel_hi:[1,0,0]
	s_delay_alu instid0(VALU_DEP_1) | instskip(SKIP_1) | instid1(VALU_DEP_1)
	v_mov_b32_e32 v89, v83
	v_pk_mul_f32 v[82:83], v[84:85], v[74:75] op_sel:[0,1]
	v_pk_fma_f32 v[86:87], v[84:85], v[72:73], v[82:83] op_sel:[0,0,1] op_sel_hi:[1,1,0] neg_lo:[0,0,1] neg_hi:[0,0,1]
	v_pk_fma_f32 v[82:83], v[84:85], v[72:73], v[82:83] op_sel:[0,0,1] op_sel_hi:[1,0,0]
	s_delay_alu instid0(VALU_DEP_1)
	v_mov_b32_e32 v87, v83
	ds_load_2addr_b64 v[82:85], v76 offset0:28 offset1:29
	v_pk_add_f32 v[24:25], v[24:25], v[88:89] neg_lo:[0,1] neg_hi:[0,1]
	v_pk_add_f32 v[16:17], v[16:17], v[86:87] neg_lo:[0,1] neg_hi:[0,1]
	s_wait_dscnt 0x0
	v_pk_mul_f32 v[86:87], v[82:83], v[74:75] op_sel:[0,1]
	s_delay_alu instid0(VALU_DEP_1) | instskip(SKIP_1) | instid1(VALU_DEP_1)
	v_pk_fma_f32 v[88:89], v[82:83], v[72:73], v[86:87] op_sel:[0,0,1] op_sel_hi:[1,1,0] neg_lo:[0,0,1] neg_hi:[0,0,1]
	v_pk_fma_f32 v[82:83], v[82:83], v[72:73], v[86:87] op_sel:[0,0,1] op_sel_hi:[1,0,0]
	v_mov_b32_e32 v89, v83
	v_pk_mul_f32 v[82:83], v[84:85], v[74:75] op_sel:[0,1]
	s_delay_alu instid0(VALU_DEP_1) | instskip(SKIP_1) | instid1(VALU_DEP_1)
	v_pk_fma_f32 v[86:87], v[84:85], v[72:73], v[82:83] op_sel:[0,0,1] op_sel_hi:[1,1,0] neg_lo:[0,0,1] neg_hi:[0,0,1]
	v_pk_fma_f32 v[82:83], v[84:85], v[72:73], v[82:83] op_sel:[0,0,1] op_sel_hi:[1,0,0]
	v_mov_b32_e32 v87, v83
	ds_load_2addr_b64 v[82:85], v76 offset0:30 offset1:31
	v_pk_add_f32 v[6:7], v[6:7], v[88:89] neg_lo:[0,1] neg_hi:[0,1]
	v_pk_add_f32 v[52:53], v[52:53], v[86:87] neg_lo:[0,1] neg_hi:[0,1]
	s_wait_dscnt 0x0
	v_dual_mul_f32 v86, v83, v75 :: v_dual_mul_f32 v88, v83, v72
	s_delay_alu instid0(VALU_DEP_1) | instskip(NEXT) | instid1(VALU_DEP_2)
	v_pk_fma_f32 v[86:87], v[82:83], v[66:67], v[86:87] op_sel_hi:[1,1,0] neg_lo:[0,0,1] neg_hi:[0,0,1]
	v_pk_fma_f32 v[82:83], v[82:83], v[66:67], v[88:89] op_sel:[1,0,0] op_sel_hi:[0,1,0]
	s_delay_alu instid0(VALU_DEP_1) | instskip(SKIP_1) | instid1(VALU_DEP_2)
	v_mov_b32_e32 v87, v83
	v_pk_mul_f32 v[82:83], v[84:85], v[74:75] op_sel:[0,1]
	v_pk_add_f32 v[42:43], v[42:43], v[86:87] neg_lo:[0,1] neg_hi:[0,1]
	s_delay_alu instid0(VALU_DEP_2) | instskip(SKIP_1) | instid1(VALU_DEP_1)
	v_pk_fma_f32 v[86:87], v[84:85], v[72:73], v[82:83] op_sel:[0,0,1] op_sel_hi:[1,1,0] neg_lo:[0,0,1] neg_hi:[0,0,1]
	v_pk_fma_f32 v[82:83], v[84:85], v[72:73], v[82:83] op_sel:[0,0,1] op_sel_hi:[1,0,0]
	v_mov_b32_e32 v87, v83
	ds_load_b64 v[82:83], v76 offset:256
	v_pk_add_f32 v[32:33], v[32:33], v[86:87] neg_lo:[0,1] neg_hi:[0,1]
	s_wait_dscnt 0x0
	v_pk_mul_f32 v[74:75], v[82:83], v[74:75] op_sel:[0,1]
	s_delay_alu instid0(VALU_DEP_1) | instskip(SKIP_1) | instid1(VALU_DEP_1)
	v_pk_fma_f32 v[84:85], v[82:83], v[72:73], v[74:75] op_sel:[0,0,1] op_sel_hi:[1,1,0] neg_lo:[0,0,1] neg_hi:[0,0,1]
	v_pk_fma_f32 v[72:73], v[82:83], v[72:73], v[74:75] op_sel:[0,0,1] op_sel_hi:[1,0,0]
	v_mov_b32_e32 v85, v73
	s_delay_alu instid0(VALU_DEP_1)
	v_pk_add_f32 v[70:71], v[70:71], v[84:85] neg_lo:[0,1] neg_hi:[0,1]
.LBB64_41:
	s_or_b32 exec_lo, exec_lo, s0
	v_lshl_add_u32 v72, v80, 3, v76
	s_barrier_signal -1
	s_barrier_wait -1
	ds_store_b64 v72, v[64:65]
	s_wait_dscnt 0x0
	s_barrier_signal -1
	s_barrier_wait -1
	ds_load_b64 v[74:75], v76 offset:16
	v_mov_b32_e32 v72, 2
	s_cmp_lt_i32 s18, 4
	s_mov_b32 s0, 3
	s_cbranch_scc1 .LBB64_44
; %bb.42:
	v_add3_u32 v73, v77, 0, 24
	v_mov_b32_e32 v72, 2
.LBB64_43:                              ; =>This Inner Loop Header: Depth=1
	ds_load_b64 v[82:83], v73
	s_wait_dscnt 0x1
	v_cmp_gt_f32_e32 vcc_lo, 0, v74
	v_cndmask_b32_e64 v84, v74, -v74, vcc_lo
	v_cmp_gt_f32_e32 vcc_lo, 0, v75
	v_cndmask_b32_e64 v86, v75, -v75, vcc_lo
	s_wait_dscnt 0x0
	v_cmp_gt_f32_e32 vcc_lo, 0, v82
	v_cndmask_b32_e64 v85, v82, -v82, vcc_lo
	v_cmp_gt_f32_e32 vcc_lo, 0, v83
	v_cndmask_b32_e64 v87, v83, -v83, vcc_lo
	s_delay_alu instid0(VALU_DEP_1) | instskip(NEXT) | instid1(VALU_DEP_1)
	v_pk_add_f32 v[84:85], v[84:85], v[86:87]
	v_cmp_lt_f32_e32 vcc_lo, v84, v85
	v_dual_add_nc_u32 v73, 8, v73 :: v_dual_cndmask_b32 v75, v75, v83, vcc_lo
	v_cndmask_b32_e32 v74, v74, v82, vcc_lo
	v_cndmask_b32_e64 v72, v72, s0, vcc_lo
	s_add_co_i32 s0, s0, 1
	s_delay_alu instid0(SALU_CYCLE_1)
	s_cmp_lg_u32 s18, s0
	s_cbranch_scc1 .LBB64_43
.LBB64_44:
	s_wait_dscnt 0x0
	v_cmp_eq_f32_e32 vcc_lo, 0, v74
	v_cmp_eq_f32_e64 s0, 0, v75
	s_and_b32 s0, vcc_lo, s0
	s_delay_alu instid0(SALU_CYCLE_1) | instskip(NEXT) | instid1(SALU_CYCLE_1)
	s_and_saveexec_b32 s1, s0
	s_xor_b32 s0, exec_lo, s1
; %bb.45:
	v_cmp_ne_u32_e32 vcc_lo, 0, v78
	v_cndmask_b32_e32 v78, 3, v78, vcc_lo
; %bb.46:
	s_and_not1_saveexec_b32 s0, s0
	s_cbranch_execz .LBB64_52
; %bb.47:
	v_cmp_ngt_f32_e64 s1, |v74|, |v75|
	s_and_saveexec_b32 s12, s1
	s_delay_alu instid0(SALU_CYCLE_1)
	s_xor_b32 s1, exec_lo, s12
	s_cbranch_execz .LBB64_49
; %bb.48:
	v_div_scale_f32 v73, null, v75, v75, v74
	v_div_scale_f32 v83, vcc_lo, v74, v75, v74
	s_delay_alu instid0(VALU_DEP_2) | instskip(SKIP_1) | instid1(TRANS32_DEP_1)
	v_rcp_f32_e32 v81, v73
	v_nop
	v_fma_f32 v82, -v73, v81, 1.0
	s_delay_alu instid0(VALU_DEP_1) | instskip(NEXT) | instid1(VALU_DEP_1)
	v_fmac_f32_e32 v81, v82, v81
	v_mul_f32_e32 v82, v83, v81
	s_delay_alu instid0(VALU_DEP_1) | instskip(NEXT) | instid1(VALU_DEP_1)
	v_fma_f32 v84, -v73, v82, v83
	v_fmac_f32_e32 v82, v84, v81
	s_delay_alu instid0(VALU_DEP_1) | instskip(NEXT) | instid1(VALU_DEP_1)
	v_fma_f32 v73, -v73, v82, v83
	v_div_fmas_f32 v73, v73, v81, v82
	s_delay_alu instid0(VALU_DEP_1) | instskip(NEXT) | instid1(VALU_DEP_1)
	v_div_fixup_f32 v73, v73, v75, v74
	v_fmac_f32_e32 v75, v74, v73
	s_delay_alu instid0(VALU_DEP_1) | instskip(SKIP_1) | instid1(VALU_DEP_2)
	v_div_scale_f32 v74, null, v75, v75, 1.0
	v_div_scale_f32 v83, vcc_lo, 1.0, v75, 1.0
	v_rcp_f32_e32 v81, v74
	v_nop
	s_delay_alu instid0(TRANS32_DEP_1) | instskip(NEXT) | instid1(VALU_DEP_1)
	v_fma_f32 v82, -v74, v81, 1.0
	v_fmac_f32_e32 v81, v82, v81
	s_delay_alu instid0(VALU_DEP_1) | instskip(NEXT) | instid1(VALU_DEP_1)
	v_mul_f32_e32 v82, v83, v81
	v_fma_f32 v84, -v74, v82, v83
	s_delay_alu instid0(VALU_DEP_1) | instskip(NEXT) | instid1(VALU_DEP_1)
	v_fmac_f32_e32 v82, v84, v81
	v_fma_f32 v74, -v74, v82, v83
	s_delay_alu instid0(VALU_DEP_1) | instskip(NEXT) | instid1(VALU_DEP_1)
	v_div_fmas_f32 v74, v74, v81, v82
	v_div_fixup_f32 v75, v74, v75, 1.0
	s_delay_alu instid0(VALU_DEP_1)
	v_mul_f32_e32 v74, v73, v75
	v_xor_b32_e32 v75, 0x80000000, v75
.LBB64_49:
	s_and_not1_saveexec_b32 s1, s1
	s_cbranch_execz .LBB64_51
; %bb.50:
	s_delay_alu instid0(VALU_DEP_1) | instskip(SKIP_1) | instid1(VALU_DEP_2)
	v_div_scale_f32 v73, null, v74, v74, v75
	v_div_scale_f32 v83, vcc_lo, v75, v74, v75
	v_rcp_f32_e32 v81, v73
	v_nop
	s_delay_alu instid0(TRANS32_DEP_1) | instskip(NEXT) | instid1(VALU_DEP_1)
	v_fma_f32 v82, -v73, v81, 1.0
	v_fmac_f32_e32 v81, v82, v81
	s_delay_alu instid0(VALU_DEP_1) | instskip(NEXT) | instid1(VALU_DEP_1)
	v_mul_f32_e32 v82, v83, v81
	v_fma_f32 v84, -v73, v82, v83
	s_delay_alu instid0(VALU_DEP_1) | instskip(NEXT) | instid1(VALU_DEP_1)
	v_fmac_f32_e32 v82, v84, v81
	v_fma_f32 v73, -v73, v82, v83
	s_delay_alu instid0(VALU_DEP_1) | instskip(NEXT) | instid1(VALU_DEP_1)
	v_div_fmas_f32 v73, v73, v81, v82
	v_div_fixup_f32 v73, v73, v74, v75
	s_delay_alu instid0(VALU_DEP_1) | instskip(NEXT) | instid1(VALU_DEP_1)
	v_fmac_f32_e32 v74, v75, v73
	v_div_scale_f32 v75, null, v74, v74, 1.0
	s_delay_alu instid0(VALU_DEP_1) | instskip(SKIP_1) | instid1(TRANS32_DEP_1)
	v_rcp_f32_e32 v81, v75
	v_nop
	v_fma_f32 v82, -v75, v81, 1.0
	s_delay_alu instid0(VALU_DEP_1) | instskip(SKIP_1) | instid1(VALU_DEP_1)
	v_fmac_f32_e32 v81, v82, v81
	v_div_scale_f32 v82, vcc_lo, 1.0, v74, 1.0
	v_mul_f32_e32 v83, v82, v81
	s_delay_alu instid0(VALU_DEP_1) | instskip(NEXT) | instid1(VALU_DEP_1)
	v_fma_f32 v84, -v75, v83, v82
	v_fmac_f32_e32 v83, v84, v81
	s_delay_alu instid0(VALU_DEP_1) | instskip(NEXT) | instid1(VALU_DEP_1)
	v_fma_f32 v75, -v75, v83, v82
	v_div_fmas_f32 v75, v75, v81, v83
	s_delay_alu instid0(VALU_DEP_1) | instskip(NEXT) | instid1(VALU_DEP_1)
	v_div_fixup_f32 v74, v75, v74, 1.0
	v_mul_f32_e64 v75, v73, -v74
.LBB64_51:
	s_or_b32 exec_lo, exec_lo, s1
.LBB64_52:
	s_delay_alu instid0(SALU_CYCLE_1) | instskip(NEXT) | instid1(SALU_CYCLE_1)
	s_or_b32 exec_lo, exec_lo, s0
	s_mov_b32 s0, exec_lo
	v_cmpx_ne_u32_e64 v80, v72
	s_xor_b32 s0, exec_lo, s0
	s_cbranch_execz .LBB64_58
; %bb.53:
	s_mov_b32 s1, exec_lo
	v_cmpx_eq_u32_e32 2, v80
	s_cbranch_execz .LBB64_57
; %bb.54:
	v_cmp_ne_u32_e32 vcc_lo, 2, v72
	s_xor_b32 s12, s16, -1
	s_delay_alu instid0(SALU_CYCLE_1) | instskip(NEXT) | instid1(SALU_CYCLE_1)
	s_and_b32 s13, s12, vcc_lo
	s_and_saveexec_b32 s12, s13
	s_cbranch_execz .LBB64_56
; %bb.55:
	v_ashrrev_i32_e32 v73, 31, v72
	s_delay_alu instid0(VALU_DEP_1)
	v_lshl_add_u64 v[80:81], v[72:73], 2, v[4:5]
	s_clause 0x1
	global_load_b32 v73, v[80:81], off
	global_load_b32 v79, v[4:5], off offset:8
	s_wait_loadcnt 0x1
	global_store_b32 v[4:5], v73, off offset:8
	s_wait_loadcnt 0x0
	global_store_b32 v[80:81], v79, off
.LBB64_56:
	s_wait_xcnt 0x0
	s_or_b32 exec_lo, exec_lo, s12
	v_dual_mov_b32 v80, v72 :: v_dual_mov_b32 v79, v72
.LBB64_57:
	s_or_b32 exec_lo, exec_lo, s1
.LBB64_58:
	s_and_not1_saveexec_b32 s0, s0
	s_cbranch_execz .LBB64_60
; %bb.59:
	v_mov_b32_e32 v80, 2
	ds_store_2addr_b64 v76, v[62:63], v[14:15] offset0:3 offset1:4
	ds_store_2addr_b64 v76, v[10:11], v[12:13] offset0:5 offset1:6
	;; [unrolled: 1-line block ×15, first 2 shown]
.LBB64_60:
	s_or_b32 exec_lo, exec_lo, s0
	s_delay_alu instid0(SALU_CYCLE_1)
	s_mov_b32 s0, exec_lo
	s_wait_storecnt_dscnt 0x0
	s_barrier_signal -1
	s_barrier_wait -1
	v_cmpx_lt_i32_e32 2, v80
	s_cbranch_execz .LBB64_62
; %bb.61:
	v_pk_mul_f32 v[82:83], v[74:75], v[64:65] op_sel:[1,1] op_sel_hi:[0,1]
	s_delay_alu instid0(VALU_DEP_1)
	v_pk_fma_f32 v[72:73], v[74:75], v[64:65], v[82:83] op_sel_hi:[1,0,1] neg_lo:[0,0,1] neg_hi:[0,0,1]
	v_pk_fma_f32 v[74:75], v[74:75], v[64:65], v[82:83] op_sel_hi:[1,0,1]
	ds_load_2addr_b64 v[82:85], v76 offset0:3 offset1:4
	v_dual_mov_b32 v64, v72 :: v_dual_mov_b32 v65, v75
	s_wait_dscnt 0x0
	v_pk_mul_f32 v[86:87], v[82:83], v[74:75] op_sel:[0,1]
	s_delay_alu instid0(VALU_DEP_1) | instskip(SKIP_1) | instid1(VALU_DEP_1)
	v_pk_fma_f32 v[88:89], v[82:83], v[72:73], v[86:87] op_sel:[0,0,1] op_sel_hi:[1,1,0] neg_lo:[0,0,1] neg_hi:[0,0,1]
	v_pk_fma_f32 v[82:83], v[82:83], v[72:73], v[86:87] op_sel:[0,0,1] op_sel_hi:[1,0,0]
	v_mov_b32_e32 v89, v83
	v_pk_mul_f32 v[82:83], v[84:85], v[74:75] op_sel:[0,1]
	s_delay_alu instid0(VALU_DEP_1) | instskip(SKIP_1) | instid1(VALU_DEP_1)
	v_pk_fma_f32 v[86:87], v[84:85], v[72:73], v[82:83] op_sel:[0,0,1] op_sel_hi:[1,1,0] neg_lo:[0,0,1] neg_hi:[0,0,1]
	v_pk_fma_f32 v[82:83], v[84:85], v[72:73], v[82:83] op_sel:[0,0,1] op_sel_hi:[1,0,0]
	v_mov_b32_e32 v87, v83
	ds_load_2addr_b64 v[82:85], v76 offset0:5 offset1:6
	v_pk_add_f32 v[62:63], v[62:63], v[88:89] neg_lo:[0,1] neg_hi:[0,1]
	v_pk_add_f32 v[14:15], v[14:15], v[86:87] neg_lo:[0,1] neg_hi:[0,1]
	s_wait_dscnt 0x0
	v_pk_mul_f32 v[86:87], v[82:83], v[74:75] op_sel:[0,1]
	s_delay_alu instid0(VALU_DEP_1) | instskip(SKIP_2) | instid1(VALU_DEP_2)
	v_pk_fma_f32 v[88:89], v[82:83], v[72:73], v[86:87] op_sel:[0,0,1] op_sel_hi:[1,1,0] neg_lo:[0,0,1] neg_hi:[0,0,1]
	v_pk_fma_f32 v[82:83], v[82:83], v[72:73], v[86:87] op_sel:[0,0,1] op_sel_hi:[1,0,0]
	v_dual_mul_f32 v86, v85, v75 :: v_dual_mov_b32 v82, v85
	v_dual_mov_b32 v89, v83 :: v_dual_mov_b32 v83, v84
	s_delay_alu instid0(VALU_DEP_2) | instskip(SKIP_1) | instid1(VALU_DEP_3)
	v_pk_fma_f32 v[86:87], v[84:85], v[64:65], v[86:87] op_sel_hi:[1,1,0] neg_lo:[0,0,1] neg_hi:[0,0,1]
	v_mul_f32_e32 v84, v85, v72
	v_pk_add_f32 v[10:11], v[10:11], v[88:89] neg_lo:[0,1] neg_hi:[0,1]
	s_delay_alu instid0(VALU_DEP_2) | instskip(NEXT) | instid1(VALU_DEP_1)
	v_pk_fma_f32 v[82:83], v[82:83], v[64:65], v[84:85] op_sel_hi:[1,1,0]
	v_mov_b32_e32 v87, v83
	ds_load_2addr_b64 v[82:85], v76 offset0:7 offset1:8
	v_pk_add_f32 v[12:13], v[12:13], v[86:87] neg_lo:[0,1] neg_hi:[0,1]
	s_wait_dscnt 0x0
	v_pk_mul_f32 v[86:87], v[82:83], v[74:75] op_sel:[0,1]
	s_delay_alu instid0(VALU_DEP_1) | instskip(SKIP_1) | instid1(VALU_DEP_1)
	v_pk_fma_f32 v[88:89], v[82:83], v[72:73], v[86:87] op_sel:[0,0,1] op_sel_hi:[1,1,0] neg_lo:[0,0,1] neg_hi:[0,0,1]
	v_pk_fma_f32 v[82:83], v[82:83], v[72:73], v[86:87] op_sel:[0,0,1] op_sel_hi:[1,0,0]
	v_mov_b32_e32 v89, v83
	v_pk_mul_f32 v[82:83], v[84:85], v[74:75] op_sel:[0,1]
	s_delay_alu instid0(VALU_DEP_1) | instskip(SKIP_1) | instid1(VALU_DEP_1)
	v_pk_fma_f32 v[86:87], v[84:85], v[72:73], v[82:83] op_sel:[0,0,1] op_sel_hi:[1,1,0] neg_lo:[0,0,1] neg_hi:[0,0,1]
	v_pk_fma_f32 v[82:83], v[84:85], v[72:73], v[82:83] op_sel:[0,0,1] op_sel_hi:[1,0,0]
	v_mov_b32_e32 v87, v83
	ds_load_2addr_b64 v[82:85], v76 offset0:9 offset1:10
	v_pk_add_f32 v[8:9], v[8:9], v[88:89] neg_lo:[0,1] neg_hi:[0,1]
	v_pk_add_f32 v[30:31], v[30:31], v[86:87] neg_lo:[0,1] neg_hi:[0,1]
	s_wait_dscnt 0x0
	v_pk_mul_f32 v[86:87], v[82:83], v[74:75] op_sel:[0,1]
	s_delay_alu instid0(VALU_DEP_1) | instskip(SKIP_1) | instid1(VALU_DEP_1)
	v_pk_fma_f32 v[88:89], v[82:83], v[72:73], v[86:87] op_sel:[0,0,1] op_sel_hi:[1,1,0] neg_lo:[0,0,1] neg_hi:[0,0,1]
	v_pk_fma_f32 v[82:83], v[82:83], v[72:73], v[86:87] op_sel:[0,0,1] op_sel_hi:[1,0,0]
	v_mov_b32_e32 v89, v83
	v_pk_mul_f32 v[82:83], v[84:85], v[74:75] op_sel:[0,1]
	s_delay_alu instid0(VALU_DEP_1) | instskip(SKIP_1) | instid1(VALU_DEP_1)
	v_pk_fma_f32 v[86:87], v[84:85], v[72:73], v[82:83] op_sel:[0,0,1] op_sel_hi:[1,1,0] neg_lo:[0,0,1] neg_hi:[0,0,1]
	v_pk_fma_f32 v[82:83], v[84:85], v[72:73], v[82:83] op_sel:[0,0,1] op_sel_hi:[1,0,0]
	v_mov_b32_e32 v87, v83
	ds_load_2addr_b64 v[82:85], v76 offset0:11 offset1:12
	v_pk_add_f32 v[22:23], v[22:23], v[88:89] neg_lo:[0,1] neg_hi:[0,1]
	v_pk_add_f32 v[28:29], v[28:29], v[86:87] neg_lo:[0,1] neg_hi:[0,1]
	s_wait_dscnt 0x0
	v_dual_mul_f32 v86, v83, v75 :: v_dual_mul_f32 v88, v83, v72
	s_delay_alu instid0(VALU_DEP_1) | instskip(NEXT) | instid1(VALU_DEP_2)
	v_pk_fma_f32 v[86:87], v[82:83], v[64:65], v[86:87] op_sel_hi:[1,1,0] neg_lo:[0,0,1] neg_hi:[0,0,1]
	v_pk_fma_f32 v[82:83], v[82:83], v[64:65], v[88:89] op_sel:[1,0,0] op_sel_hi:[0,1,0]
	s_delay_alu instid0(VALU_DEP_1) | instskip(SKIP_1) | instid1(VALU_DEP_2)
	v_mov_b32_e32 v87, v83
	v_pk_mul_f32 v[82:83], v[84:85], v[74:75] op_sel:[0,1]
	v_pk_add_f32 v[20:21], v[20:21], v[86:87] neg_lo:[0,1] neg_hi:[0,1]
	s_delay_alu instid0(VALU_DEP_2) | instskip(SKIP_1) | instid1(VALU_DEP_1)
	v_pk_fma_f32 v[86:87], v[84:85], v[72:73], v[82:83] op_sel:[0,0,1] op_sel_hi:[1,1,0] neg_lo:[0,0,1] neg_hi:[0,0,1]
	v_pk_fma_f32 v[82:83], v[84:85], v[72:73], v[82:83] op_sel:[0,0,1] op_sel_hi:[1,0,0]
	v_mov_b32_e32 v87, v83
	ds_load_2addr_b64 v[82:85], v76 offset0:13 offset1:14
	v_pk_add_f32 v[40:41], v[40:41], v[86:87] neg_lo:[0,1] neg_hi:[0,1]
	s_wait_dscnt 0x0
	v_pk_mul_f32 v[86:87], v[82:83], v[74:75] op_sel:[0,1]
	s_delay_alu instid0(VALU_DEP_1) | instskip(SKIP_1) | instid1(VALU_DEP_1)
	v_pk_fma_f32 v[88:89], v[82:83], v[72:73], v[86:87] op_sel:[0,0,1] op_sel_hi:[1,1,0] neg_lo:[0,0,1] neg_hi:[0,0,1]
	v_pk_fma_f32 v[82:83], v[82:83], v[72:73], v[86:87] op_sel:[0,0,1] op_sel_hi:[1,0,0]
	v_mov_b32_e32 v89, v83
	v_pk_mul_f32 v[82:83], v[84:85], v[74:75] op_sel:[0,1]
	s_delay_alu instid0(VALU_DEP_2) | instskip(NEXT) | instid1(VALU_DEP_2)
	v_pk_add_f32 v[36:37], v[36:37], v[88:89] neg_lo:[0,1] neg_hi:[0,1]
	v_pk_fma_f32 v[86:87], v[84:85], v[72:73], v[82:83] op_sel:[0,0,1] op_sel_hi:[1,1,0] neg_lo:[0,0,1] neg_hi:[0,0,1]
	v_pk_fma_f32 v[82:83], v[84:85], v[72:73], v[82:83] op_sel:[0,0,1] op_sel_hi:[1,0,0]
	s_delay_alu instid0(VALU_DEP_1) | instskip(SKIP_4) | instid1(VALU_DEP_1)
	v_mov_b32_e32 v87, v83
	ds_load_2addr_b64 v[82:85], v76 offset0:15 offset1:16
	v_pk_add_f32 v[38:39], v[38:39], v[86:87] neg_lo:[0,1] neg_hi:[0,1]
	s_wait_dscnt 0x0
	v_pk_mul_f32 v[86:87], v[82:83], v[74:75] op_sel:[0,1]
	v_pk_fma_f32 v[88:89], v[82:83], v[72:73], v[86:87] op_sel:[0,0,1] op_sel_hi:[1,1,0] neg_lo:[0,0,1] neg_hi:[0,0,1]
	v_pk_fma_f32 v[82:83], v[82:83], v[72:73], v[86:87] op_sel:[0,0,1] op_sel_hi:[1,0,0]
	v_dual_mul_f32 v86, v85, v75 :: v_dual_mov_b32 v82, v85
	s_delay_alu instid0(VALU_DEP_2) | instskip(NEXT) | instid1(VALU_DEP_2)
	v_dual_mov_b32 v89, v83 :: v_dual_mov_b32 v83, v84
	v_pk_fma_f32 v[86:87], v[84:85], v[64:65], v[86:87] op_sel_hi:[1,1,0] neg_lo:[0,0,1] neg_hi:[0,0,1]
	v_mul_f32_e32 v84, v85, v72
	s_delay_alu instid0(VALU_DEP_3) | instskip(NEXT) | instid1(VALU_DEP_2)
	v_pk_add_f32 v[34:35], v[34:35], v[88:89] neg_lo:[0,1] neg_hi:[0,1]
	v_pk_fma_f32 v[82:83], v[82:83], v[64:65], v[84:85] op_sel_hi:[1,1,0]
	s_delay_alu instid0(VALU_DEP_1) | instskip(SKIP_4) | instid1(VALU_DEP_1)
	v_mov_b32_e32 v87, v83
	ds_load_2addr_b64 v[82:85], v76 offset0:17 offset1:18
	v_pk_add_f32 v[60:61], v[60:61], v[86:87] neg_lo:[0,1] neg_hi:[0,1]
	s_wait_dscnt 0x0
	v_pk_mul_f32 v[86:87], v[82:83], v[74:75] op_sel:[0,1]
	v_pk_fma_f32 v[88:89], v[82:83], v[72:73], v[86:87] op_sel:[0,0,1] op_sel_hi:[1,1,0] neg_lo:[0,0,1] neg_hi:[0,0,1]
	v_pk_fma_f32 v[82:83], v[82:83], v[72:73], v[86:87] op_sel:[0,0,1] op_sel_hi:[1,0,0]
	s_delay_alu instid0(VALU_DEP_1) | instskip(SKIP_1) | instid1(VALU_DEP_1)
	v_mov_b32_e32 v89, v83
	v_pk_mul_f32 v[82:83], v[84:85], v[74:75] op_sel:[0,1]
	v_pk_fma_f32 v[86:87], v[84:85], v[72:73], v[82:83] op_sel:[0,0,1] op_sel_hi:[1,1,0] neg_lo:[0,0,1] neg_hi:[0,0,1]
	v_pk_fma_f32 v[82:83], v[84:85], v[72:73], v[82:83] op_sel:[0,0,1] op_sel_hi:[1,0,0]
	s_delay_alu instid0(VALU_DEP_1)
	v_mov_b32_e32 v87, v83
	ds_load_2addr_b64 v[82:85], v76 offset0:19 offset1:20
	v_pk_add_f32 v[56:57], v[56:57], v[88:89] neg_lo:[0,1] neg_hi:[0,1]
	v_pk_add_f32 v[58:59], v[58:59], v[86:87] neg_lo:[0,1] neg_hi:[0,1]
	s_wait_dscnt 0x0
	v_pk_mul_f32 v[86:87], v[82:83], v[74:75] op_sel:[0,1]
	s_delay_alu instid0(VALU_DEP_1) | instskip(SKIP_1) | instid1(VALU_DEP_1)
	v_pk_fma_f32 v[88:89], v[82:83], v[72:73], v[86:87] op_sel:[0,0,1] op_sel_hi:[1,1,0] neg_lo:[0,0,1] neg_hi:[0,0,1]
	v_pk_fma_f32 v[82:83], v[82:83], v[72:73], v[86:87] op_sel:[0,0,1] op_sel_hi:[1,0,0]
	v_mov_b32_e32 v89, v83
	v_pk_mul_f32 v[82:83], v[84:85], v[74:75] op_sel:[0,1]
	s_delay_alu instid0(VALU_DEP_1) | instskip(SKIP_1) | instid1(VALU_DEP_1)
	v_pk_fma_f32 v[86:87], v[84:85], v[72:73], v[82:83] op_sel:[0,0,1] op_sel_hi:[1,1,0] neg_lo:[0,0,1] neg_hi:[0,0,1]
	v_pk_fma_f32 v[82:83], v[84:85], v[72:73], v[82:83] op_sel:[0,0,1] op_sel_hi:[1,0,0]
	v_mov_b32_e32 v87, v83
	ds_load_2addr_b64 v[82:85], v76 offset0:21 offset1:22
	v_pk_add_f32 v[54:55], v[54:55], v[88:89] neg_lo:[0,1] neg_hi:[0,1]
	v_pk_add_f32 v[50:51], v[50:51], v[86:87] neg_lo:[0,1] neg_hi:[0,1]
	s_wait_dscnt 0x0
	v_dual_mul_f32 v86, v83, v75 :: v_dual_mul_f32 v88, v83, v72
	s_delay_alu instid0(VALU_DEP_1) | instskip(NEXT) | instid1(VALU_DEP_2)
	v_pk_fma_f32 v[86:87], v[82:83], v[64:65], v[86:87] op_sel_hi:[1,1,0] neg_lo:[0,0,1] neg_hi:[0,0,1]
	v_pk_fma_f32 v[82:83], v[82:83], v[64:65], v[88:89] op_sel:[1,0,0] op_sel_hi:[0,1,0]
	s_delay_alu instid0(VALU_DEP_1) | instskip(SKIP_1) | instid1(VALU_DEP_2)
	v_mov_b32_e32 v87, v83
	v_pk_mul_f32 v[82:83], v[84:85], v[74:75] op_sel:[0,1]
	v_pk_add_f32 v[46:47], v[46:47], v[86:87] neg_lo:[0,1] neg_hi:[0,1]
	s_delay_alu instid0(VALU_DEP_2) | instskip(SKIP_1) | instid1(VALU_DEP_1)
	v_pk_fma_f32 v[86:87], v[84:85], v[72:73], v[82:83] op_sel:[0,0,1] op_sel_hi:[1,1,0] neg_lo:[0,0,1] neg_hi:[0,0,1]
	v_pk_fma_f32 v[82:83], v[84:85], v[72:73], v[82:83] op_sel:[0,0,1] op_sel_hi:[1,0,0]
	v_mov_b32_e32 v87, v83
	ds_load_2addr_b64 v[82:85], v76 offset0:23 offset1:24
	v_pk_add_f32 v[48:49], v[48:49], v[86:87] neg_lo:[0,1] neg_hi:[0,1]
	s_wait_dscnt 0x0
	v_pk_mul_f32 v[86:87], v[82:83], v[74:75] op_sel:[0,1]
	s_delay_alu instid0(VALU_DEP_1) | instskip(SKIP_1) | instid1(VALU_DEP_1)
	v_pk_fma_f32 v[88:89], v[82:83], v[72:73], v[86:87] op_sel:[0,0,1] op_sel_hi:[1,1,0] neg_lo:[0,0,1] neg_hi:[0,0,1]
	v_pk_fma_f32 v[82:83], v[82:83], v[72:73], v[86:87] op_sel:[0,0,1] op_sel_hi:[1,0,0]
	v_mov_b32_e32 v89, v83
	v_pk_mul_f32 v[82:83], v[84:85], v[74:75] op_sel:[0,1]
	s_delay_alu instid0(VALU_DEP_2) | instskip(NEXT) | instid1(VALU_DEP_2)
	v_pk_add_f32 v[44:45], v[44:45], v[88:89] neg_lo:[0,1] neg_hi:[0,1]
	v_pk_fma_f32 v[86:87], v[84:85], v[72:73], v[82:83] op_sel:[0,0,1] op_sel_hi:[1,1,0] neg_lo:[0,0,1] neg_hi:[0,0,1]
	v_pk_fma_f32 v[82:83], v[84:85], v[72:73], v[82:83] op_sel:[0,0,1] op_sel_hi:[1,0,0]
	s_delay_alu instid0(VALU_DEP_1) | instskip(SKIP_4) | instid1(VALU_DEP_1)
	v_mov_b32_e32 v87, v83
	ds_load_2addr_b64 v[82:85], v76 offset0:25 offset1:26
	v_pk_add_f32 v[26:27], v[26:27], v[86:87] neg_lo:[0,1] neg_hi:[0,1]
	s_wait_dscnt 0x0
	v_pk_mul_f32 v[86:87], v[82:83], v[74:75] op_sel:[0,1]
	v_pk_fma_f32 v[88:89], v[82:83], v[72:73], v[86:87] op_sel:[0,0,1] op_sel_hi:[1,1,0] neg_lo:[0,0,1] neg_hi:[0,0,1]
	v_pk_fma_f32 v[82:83], v[82:83], v[72:73], v[86:87] op_sel:[0,0,1] op_sel_hi:[1,0,0]
	v_dual_mul_f32 v86, v85, v75 :: v_dual_mov_b32 v82, v85
	s_delay_alu instid0(VALU_DEP_2) | instskip(NEXT) | instid1(VALU_DEP_2)
	v_dual_mov_b32 v89, v83 :: v_dual_mov_b32 v83, v84
	v_pk_fma_f32 v[86:87], v[84:85], v[64:65], v[86:87] op_sel_hi:[1,1,0] neg_lo:[0,0,1] neg_hi:[0,0,1]
	v_mul_f32_e32 v84, v85, v72
	s_delay_alu instid0(VALU_DEP_3) | instskip(NEXT) | instid1(VALU_DEP_2)
	v_pk_add_f32 v[18:19], v[18:19], v[88:89] neg_lo:[0,1] neg_hi:[0,1]
	v_pk_fma_f32 v[82:83], v[82:83], v[64:65], v[84:85] op_sel_hi:[1,1,0]
	s_delay_alu instid0(VALU_DEP_1) | instskip(SKIP_4) | instid1(VALU_DEP_1)
	v_mov_b32_e32 v87, v83
	ds_load_2addr_b64 v[82:85], v76 offset0:27 offset1:28
	v_pk_add_f32 v[24:25], v[24:25], v[86:87] neg_lo:[0,1] neg_hi:[0,1]
	s_wait_dscnt 0x0
	v_pk_mul_f32 v[86:87], v[82:83], v[74:75] op_sel:[0,1]
	v_pk_fma_f32 v[88:89], v[82:83], v[72:73], v[86:87] op_sel:[0,0,1] op_sel_hi:[1,1,0] neg_lo:[0,0,1] neg_hi:[0,0,1]
	v_pk_fma_f32 v[82:83], v[82:83], v[72:73], v[86:87] op_sel:[0,0,1] op_sel_hi:[1,0,0]
	s_delay_alu instid0(VALU_DEP_1) | instskip(SKIP_1) | instid1(VALU_DEP_1)
	v_mov_b32_e32 v89, v83
	v_pk_mul_f32 v[82:83], v[84:85], v[74:75] op_sel:[0,1]
	v_pk_fma_f32 v[86:87], v[84:85], v[72:73], v[82:83] op_sel:[0,0,1] op_sel_hi:[1,1,0] neg_lo:[0,0,1] neg_hi:[0,0,1]
	v_pk_fma_f32 v[82:83], v[84:85], v[72:73], v[82:83] op_sel:[0,0,1] op_sel_hi:[1,0,0]
	s_delay_alu instid0(VALU_DEP_1)
	v_mov_b32_e32 v87, v83
	ds_load_2addr_b64 v[82:85], v76 offset0:29 offset1:30
	v_pk_add_f32 v[16:17], v[16:17], v[88:89] neg_lo:[0,1] neg_hi:[0,1]
	v_pk_add_f32 v[6:7], v[6:7], v[86:87] neg_lo:[0,1] neg_hi:[0,1]
	s_wait_dscnt 0x0
	v_pk_mul_f32 v[86:87], v[82:83], v[74:75] op_sel:[0,1]
	s_delay_alu instid0(VALU_DEP_1) | instskip(SKIP_1) | instid1(VALU_DEP_1)
	v_pk_fma_f32 v[88:89], v[82:83], v[72:73], v[86:87] op_sel:[0,0,1] op_sel_hi:[1,1,0] neg_lo:[0,0,1] neg_hi:[0,0,1]
	v_pk_fma_f32 v[82:83], v[82:83], v[72:73], v[86:87] op_sel:[0,0,1] op_sel_hi:[1,0,0]
	v_mov_b32_e32 v89, v83
	v_pk_mul_f32 v[82:83], v[84:85], v[74:75] op_sel:[0,1]
	s_delay_alu instid0(VALU_DEP_1) | instskip(SKIP_1) | instid1(VALU_DEP_1)
	v_pk_fma_f32 v[86:87], v[84:85], v[72:73], v[82:83] op_sel:[0,0,1] op_sel_hi:[1,1,0] neg_lo:[0,0,1] neg_hi:[0,0,1]
	v_pk_fma_f32 v[82:83], v[84:85], v[72:73], v[82:83] op_sel:[0,0,1] op_sel_hi:[1,0,0]
	v_mov_b32_e32 v87, v83
	ds_load_2addr_b64 v[82:85], v76 offset0:31 offset1:32
	v_pk_add_f32 v[52:53], v[52:53], v[88:89] neg_lo:[0,1] neg_hi:[0,1]
	v_pk_add_f32 v[42:43], v[42:43], v[86:87] neg_lo:[0,1] neg_hi:[0,1]
	s_wait_dscnt 0x0
	v_mul_f32_e32 v74, v83, v75
	s_delay_alu instid0(VALU_DEP_1) | instskip(SKIP_1) | instid1(VALU_DEP_1)
	v_pk_fma_f32 v[86:87], v[82:83], v[64:65], v[74:75] op_sel_hi:[1,1,0] neg_lo:[0,0,1] neg_hi:[0,0,1]
	v_dual_mul_f32 v74, v83, v72 :: v_dual_mul_f32 v72, v85, v72
	v_pk_fma_f32 v[82:83], v[82:83], v[64:65], v[74:75] op_sel:[1,0,0] op_sel_hi:[0,1,0]
	v_dual_mov_b32 v82, v85 :: v_dual_mul_f32 v74, v85, v75
	s_delay_alu instid0(VALU_DEP_2) | instskip(NEXT) | instid1(VALU_DEP_2)
	v_dual_mov_b32 v87, v83 :: v_dual_mov_b32 v83, v84
	v_pk_fma_f32 v[74:75], v[84:85], v[64:65], v[74:75] op_sel_hi:[1,1,0] neg_lo:[0,0,1] neg_hi:[0,0,1]
	s_delay_alu instid0(VALU_DEP_2) | instskip(NEXT) | instid1(VALU_DEP_3)
	v_pk_add_f32 v[32:33], v[32:33], v[86:87] neg_lo:[0,1] neg_hi:[0,1]
	v_pk_fma_f32 v[72:73], v[82:83], v[64:65], v[72:73] op_sel_hi:[1,1,0]
	s_delay_alu instid0(VALU_DEP_1) | instskip(NEXT) | instid1(VALU_DEP_1)
	v_mov_b32_e32 v75, v73
	v_pk_add_f32 v[70:71], v[70:71], v[74:75] neg_lo:[0,1] neg_hi:[0,1]
.LBB64_62:
	s_or_b32 exec_lo, exec_lo, s0
	v_lshl_add_u32 v72, v80, 3, v76
	s_barrier_signal -1
	s_barrier_wait -1
	ds_store_b64 v72, v[62:63]
	s_wait_dscnt 0x0
	s_barrier_signal -1
	s_barrier_wait -1
	ds_load_b64 v[74:75], v76 offset:24
	v_mov_b32_e32 v72, 3
	s_cmp_lt_i32 s18, 5
	s_cbranch_scc1 .LBB64_65
; %bb.63:
	v_mov_b32_e32 v72, 3
	v_add3_u32 v73, v77, 0, 32
	s_mov_b32 s0, 4
.LBB64_64:                              ; =>This Inner Loop Header: Depth=1
	ds_load_b64 v[82:83], v73
	s_wait_dscnt 0x1
	v_cmp_gt_f32_e32 vcc_lo, 0, v74
	v_cndmask_b32_e64 v84, v74, -v74, vcc_lo
	v_cmp_gt_f32_e32 vcc_lo, 0, v75
	v_cndmask_b32_e64 v86, v75, -v75, vcc_lo
	s_wait_dscnt 0x0
	v_cmp_gt_f32_e32 vcc_lo, 0, v82
	v_cndmask_b32_e64 v85, v82, -v82, vcc_lo
	v_cmp_gt_f32_e32 vcc_lo, 0, v83
	v_cndmask_b32_e64 v87, v83, -v83, vcc_lo
	s_delay_alu instid0(VALU_DEP_1) | instskip(NEXT) | instid1(VALU_DEP_1)
	v_pk_add_f32 v[84:85], v[84:85], v[86:87]
	v_cmp_lt_f32_e32 vcc_lo, v84, v85
	v_dual_add_nc_u32 v73, 8, v73 :: v_dual_cndmask_b32 v75, v75, v83, vcc_lo
	v_cndmask_b32_e32 v74, v74, v82, vcc_lo
	v_cndmask_b32_e64 v72, v72, s0, vcc_lo
	s_add_co_i32 s0, s0, 1
	s_delay_alu instid0(SALU_CYCLE_1)
	s_cmp_lg_u32 s18, s0
	s_cbranch_scc1 .LBB64_64
.LBB64_65:
	s_wait_dscnt 0x0
	v_cmp_eq_f32_e32 vcc_lo, 0, v74
	v_cmp_eq_f32_e64 s0, 0, v75
	s_and_b32 s0, vcc_lo, s0
	s_delay_alu instid0(SALU_CYCLE_1) | instskip(NEXT) | instid1(SALU_CYCLE_1)
	s_and_saveexec_b32 s1, s0
	s_xor_b32 s0, exec_lo, s1
; %bb.66:
	v_cmp_ne_u32_e32 vcc_lo, 0, v78
	v_cndmask_b32_e32 v78, 4, v78, vcc_lo
; %bb.67:
	s_and_not1_saveexec_b32 s0, s0
	s_cbranch_execz .LBB64_73
; %bb.68:
	v_cmp_ngt_f32_e64 s1, |v74|, |v75|
	s_and_saveexec_b32 s12, s1
	s_delay_alu instid0(SALU_CYCLE_1)
	s_xor_b32 s1, exec_lo, s12
	s_cbranch_execz .LBB64_70
; %bb.69:
	v_div_scale_f32 v73, null, v75, v75, v74
	v_div_scale_f32 v83, vcc_lo, v74, v75, v74
	s_delay_alu instid0(VALU_DEP_2) | instskip(SKIP_1) | instid1(TRANS32_DEP_1)
	v_rcp_f32_e32 v81, v73
	v_nop
	v_fma_f32 v82, -v73, v81, 1.0
	s_delay_alu instid0(VALU_DEP_1) | instskip(NEXT) | instid1(VALU_DEP_1)
	v_fmac_f32_e32 v81, v82, v81
	v_mul_f32_e32 v82, v83, v81
	s_delay_alu instid0(VALU_DEP_1) | instskip(NEXT) | instid1(VALU_DEP_1)
	v_fma_f32 v84, -v73, v82, v83
	v_fmac_f32_e32 v82, v84, v81
	s_delay_alu instid0(VALU_DEP_1) | instskip(NEXT) | instid1(VALU_DEP_1)
	v_fma_f32 v73, -v73, v82, v83
	v_div_fmas_f32 v73, v73, v81, v82
	s_delay_alu instid0(VALU_DEP_1) | instskip(NEXT) | instid1(VALU_DEP_1)
	v_div_fixup_f32 v73, v73, v75, v74
	v_fmac_f32_e32 v75, v74, v73
	s_delay_alu instid0(VALU_DEP_1) | instskip(SKIP_1) | instid1(VALU_DEP_2)
	v_div_scale_f32 v74, null, v75, v75, 1.0
	v_div_scale_f32 v83, vcc_lo, 1.0, v75, 1.0
	v_rcp_f32_e32 v81, v74
	v_nop
	s_delay_alu instid0(TRANS32_DEP_1) | instskip(NEXT) | instid1(VALU_DEP_1)
	v_fma_f32 v82, -v74, v81, 1.0
	v_fmac_f32_e32 v81, v82, v81
	s_delay_alu instid0(VALU_DEP_1) | instskip(NEXT) | instid1(VALU_DEP_1)
	v_mul_f32_e32 v82, v83, v81
	v_fma_f32 v84, -v74, v82, v83
	s_delay_alu instid0(VALU_DEP_1) | instskip(NEXT) | instid1(VALU_DEP_1)
	v_fmac_f32_e32 v82, v84, v81
	v_fma_f32 v74, -v74, v82, v83
	s_delay_alu instid0(VALU_DEP_1) | instskip(NEXT) | instid1(VALU_DEP_1)
	v_div_fmas_f32 v74, v74, v81, v82
	v_div_fixup_f32 v75, v74, v75, 1.0
	s_delay_alu instid0(VALU_DEP_1)
	v_mul_f32_e32 v74, v73, v75
	v_xor_b32_e32 v75, 0x80000000, v75
.LBB64_70:
	s_and_not1_saveexec_b32 s1, s1
	s_cbranch_execz .LBB64_72
; %bb.71:
	s_delay_alu instid0(VALU_DEP_1) | instskip(SKIP_1) | instid1(VALU_DEP_2)
	v_div_scale_f32 v73, null, v74, v74, v75
	v_div_scale_f32 v83, vcc_lo, v75, v74, v75
	v_rcp_f32_e32 v81, v73
	v_nop
	s_delay_alu instid0(TRANS32_DEP_1) | instskip(NEXT) | instid1(VALU_DEP_1)
	v_fma_f32 v82, -v73, v81, 1.0
	v_fmac_f32_e32 v81, v82, v81
	s_delay_alu instid0(VALU_DEP_1) | instskip(NEXT) | instid1(VALU_DEP_1)
	v_mul_f32_e32 v82, v83, v81
	v_fma_f32 v84, -v73, v82, v83
	s_delay_alu instid0(VALU_DEP_1) | instskip(NEXT) | instid1(VALU_DEP_1)
	v_fmac_f32_e32 v82, v84, v81
	v_fma_f32 v73, -v73, v82, v83
	s_delay_alu instid0(VALU_DEP_1) | instskip(NEXT) | instid1(VALU_DEP_1)
	v_div_fmas_f32 v73, v73, v81, v82
	v_div_fixup_f32 v73, v73, v74, v75
	s_delay_alu instid0(VALU_DEP_1) | instskip(NEXT) | instid1(VALU_DEP_1)
	v_fmac_f32_e32 v74, v75, v73
	v_div_scale_f32 v75, null, v74, v74, 1.0
	s_delay_alu instid0(VALU_DEP_1) | instskip(SKIP_1) | instid1(TRANS32_DEP_1)
	v_rcp_f32_e32 v81, v75
	v_nop
	v_fma_f32 v82, -v75, v81, 1.0
	s_delay_alu instid0(VALU_DEP_1) | instskip(SKIP_1) | instid1(VALU_DEP_1)
	v_fmac_f32_e32 v81, v82, v81
	v_div_scale_f32 v82, vcc_lo, 1.0, v74, 1.0
	v_mul_f32_e32 v83, v82, v81
	s_delay_alu instid0(VALU_DEP_1) | instskip(NEXT) | instid1(VALU_DEP_1)
	v_fma_f32 v84, -v75, v83, v82
	v_fmac_f32_e32 v83, v84, v81
	s_delay_alu instid0(VALU_DEP_1) | instskip(NEXT) | instid1(VALU_DEP_1)
	v_fma_f32 v75, -v75, v83, v82
	v_div_fmas_f32 v75, v75, v81, v83
	s_delay_alu instid0(VALU_DEP_1) | instskip(NEXT) | instid1(VALU_DEP_1)
	v_div_fixup_f32 v74, v75, v74, 1.0
	v_mul_f32_e64 v75, v73, -v74
.LBB64_72:
	s_or_b32 exec_lo, exec_lo, s1
.LBB64_73:
	s_delay_alu instid0(SALU_CYCLE_1) | instskip(NEXT) | instid1(SALU_CYCLE_1)
	s_or_b32 exec_lo, exec_lo, s0
	s_mov_b32 s0, exec_lo
	v_cmpx_ne_u32_e64 v80, v72
	s_xor_b32 s0, exec_lo, s0
	s_cbranch_execz .LBB64_79
; %bb.74:
	s_mov_b32 s1, exec_lo
	v_cmpx_eq_u32_e32 3, v80
	s_cbranch_execz .LBB64_78
; %bb.75:
	v_cmp_ne_u32_e32 vcc_lo, 3, v72
	s_xor_b32 s12, s16, -1
	s_delay_alu instid0(SALU_CYCLE_1) | instskip(NEXT) | instid1(SALU_CYCLE_1)
	s_and_b32 s13, s12, vcc_lo
	s_and_saveexec_b32 s12, s13
	s_cbranch_execz .LBB64_77
; %bb.76:
	v_ashrrev_i32_e32 v73, 31, v72
	s_delay_alu instid0(VALU_DEP_1)
	v_lshl_add_u64 v[80:81], v[72:73], 2, v[4:5]
	s_clause 0x1
	global_load_b32 v73, v[80:81], off
	global_load_b32 v79, v[4:5], off offset:12
	s_wait_loadcnt 0x1
	global_store_b32 v[4:5], v73, off offset:12
	s_wait_loadcnt 0x0
	global_store_b32 v[80:81], v79, off
.LBB64_77:
	s_wait_xcnt 0x0
	s_or_b32 exec_lo, exec_lo, s12
	v_dual_mov_b32 v80, v72 :: v_dual_mov_b32 v79, v72
.LBB64_78:
	s_or_b32 exec_lo, exec_lo, s1
.LBB64_79:
	s_and_not1_saveexec_b32 s0, s0
	s_cbranch_execz .LBB64_81
; %bb.80:
	v_dual_mov_b32 v72, v14 :: v_dual_mov_b32 v73, v15
	v_dual_mov_b32 v80, v10 :: v_dual_mov_b32 v81, v11
	ds_store_2addr_b64 v76, v[72:73], v[80:81] offset0:4 offset1:5
	v_dual_mov_b32 v72, v12 :: v_dual_mov_b32 v73, v13
	v_dual_mov_b32 v80, v8 :: v_dual_mov_b32 v81, v9
	ds_store_2addr_b64 v76, v[72:73], v[80:81] offset0:6 offset1:7
	;; [unrolled: 3-line block ×14, first 2 shown]
	ds_store_b64 v76, v[70:71] offset:256
	v_mov_b32_e32 v80, 3
.LBB64_81:
	s_or_b32 exec_lo, exec_lo, s0
	s_delay_alu instid0(SALU_CYCLE_1)
	s_mov_b32 s0, exec_lo
	s_wait_storecnt_dscnt 0x0
	s_barrier_signal -1
	s_barrier_wait -1
	v_cmpx_lt_i32_e32 3, v80
	s_cbranch_execz .LBB64_83
; %bb.82:
	v_pk_mul_f32 v[82:83], v[74:75], v[62:63] op_sel:[1,1] op_sel_hi:[0,1]
	s_delay_alu instid0(VALU_DEP_1)
	v_pk_fma_f32 v[72:73], v[74:75], v[62:63], v[82:83] op_sel_hi:[1,0,1] neg_lo:[0,0,1] neg_hi:[0,0,1]
	v_pk_fma_f32 v[74:75], v[74:75], v[62:63], v[82:83] op_sel_hi:[1,0,1]
	ds_load_2addr_b64 v[82:85], v76 offset0:4 offset1:5
	v_dual_mov_b32 v62, v72 :: v_dual_mov_b32 v63, v75
	s_wait_dscnt 0x0
	v_pk_mul_f32 v[86:87], v[82:83], v[74:75] op_sel:[0,1]
	s_delay_alu instid0(VALU_DEP_1) | instskip(SKIP_1) | instid1(VALU_DEP_1)
	v_pk_fma_f32 v[88:89], v[82:83], v[72:73], v[86:87] op_sel:[0,0,1] op_sel_hi:[1,1,0] neg_lo:[0,0,1] neg_hi:[0,0,1]
	v_pk_fma_f32 v[82:83], v[82:83], v[72:73], v[86:87] op_sel:[0,0,1] op_sel_hi:[1,0,0]
	v_mov_b32_e32 v89, v83
	v_pk_mul_f32 v[82:83], v[84:85], v[74:75] op_sel:[0,1]
	s_delay_alu instid0(VALU_DEP_1) | instskip(SKIP_1) | instid1(VALU_DEP_1)
	v_pk_fma_f32 v[86:87], v[84:85], v[72:73], v[82:83] op_sel:[0,0,1] op_sel_hi:[1,1,0] neg_lo:[0,0,1] neg_hi:[0,0,1]
	v_pk_fma_f32 v[82:83], v[84:85], v[72:73], v[82:83] op_sel:[0,0,1] op_sel_hi:[1,0,0]
	v_mov_b32_e32 v87, v83
	ds_load_2addr_b64 v[82:85], v76 offset0:6 offset1:7
	v_pk_add_f32 v[14:15], v[14:15], v[88:89] neg_lo:[0,1] neg_hi:[0,1]
	v_pk_add_f32 v[10:11], v[10:11], v[86:87] neg_lo:[0,1] neg_hi:[0,1]
	s_wait_dscnt 0x0
	v_pk_mul_f32 v[86:87], v[82:83], v[74:75] op_sel:[0,1]
	s_delay_alu instid0(VALU_DEP_1) | instskip(SKIP_2) | instid1(VALU_DEP_2)
	v_pk_fma_f32 v[88:89], v[82:83], v[72:73], v[86:87] op_sel:[0,0,1] op_sel_hi:[1,1,0] neg_lo:[0,0,1] neg_hi:[0,0,1]
	v_pk_fma_f32 v[82:83], v[82:83], v[72:73], v[86:87] op_sel:[0,0,1] op_sel_hi:[1,0,0]
	v_dual_mul_f32 v86, v85, v75 :: v_dual_mov_b32 v82, v85
	v_dual_mov_b32 v89, v83 :: v_dual_mov_b32 v83, v84
	s_delay_alu instid0(VALU_DEP_2) | instskip(SKIP_1) | instid1(VALU_DEP_3)
	v_pk_fma_f32 v[86:87], v[84:85], v[62:63], v[86:87] op_sel_hi:[1,1,0] neg_lo:[0,0,1] neg_hi:[0,0,1]
	v_mul_f32_e32 v84, v85, v72
	v_pk_add_f32 v[12:13], v[12:13], v[88:89] neg_lo:[0,1] neg_hi:[0,1]
	s_delay_alu instid0(VALU_DEP_2) | instskip(NEXT) | instid1(VALU_DEP_1)
	v_pk_fma_f32 v[82:83], v[82:83], v[62:63], v[84:85] op_sel_hi:[1,1,0]
	v_mov_b32_e32 v87, v83
	ds_load_2addr_b64 v[82:85], v76 offset0:8 offset1:9
	v_pk_add_f32 v[8:9], v[8:9], v[86:87] neg_lo:[0,1] neg_hi:[0,1]
	s_wait_dscnt 0x0
	v_pk_mul_f32 v[86:87], v[82:83], v[74:75] op_sel:[0,1]
	s_delay_alu instid0(VALU_DEP_1) | instskip(SKIP_1) | instid1(VALU_DEP_1)
	v_pk_fma_f32 v[88:89], v[82:83], v[72:73], v[86:87] op_sel:[0,0,1] op_sel_hi:[1,1,0] neg_lo:[0,0,1] neg_hi:[0,0,1]
	v_pk_fma_f32 v[82:83], v[82:83], v[72:73], v[86:87] op_sel:[0,0,1] op_sel_hi:[1,0,0]
	v_mov_b32_e32 v89, v83
	v_pk_mul_f32 v[82:83], v[84:85], v[74:75] op_sel:[0,1]
	s_delay_alu instid0(VALU_DEP_1) | instskip(SKIP_1) | instid1(VALU_DEP_1)
	v_pk_fma_f32 v[86:87], v[84:85], v[72:73], v[82:83] op_sel:[0,0,1] op_sel_hi:[1,1,0] neg_lo:[0,0,1] neg_hi:[0,0,1]
	v_pk_fma_f32 v[82:83], v[84:85], v[72:73], v[82:83] op_sel:[0,0,1] op_sel_hi:[1,0,0]
	v_mov_b32_e32 v87, v83
	ds_load_2addr_b64 v[82:85], v76 offset0:10 offset1:11
	v_pk_add_f32 v[30:31], v[30:31], v[88:89] neg_lo:[0,1] neg_hi:[0,1]
	v_pk_add_f32 v[22:23], v[22:23], v[86:87] neg_lo:[0,1] neg_hi:[0,1]
	s_wait_dscnt 0x0
	v_pk_mul_f32 v[86:87], v[82:83], v[74:75] op_sel:[0,1]
	s_delay_alu instid0(VALU_DEP_1) | instskip(SKIP_1) | instid1(VALU_DEP_1)
	v_pk_fma_f32 v[88:89], v[82:83], v[72:73], v[86:87] op_sel:[0,0,1] op_sel_hi:[1,1,0] neg_lo:[0,0,1] neg_hi:[0,0,1]
	v_pk_fma_f32 v[82:83], v[82:83], v[72:73], v[86:87] op_sel:[0,0,1] op_sel_hi:[1,0,0]
	v_mov_b32_e32 v89, v83
	v_pk_mul_f32 v[82:83], v[84:85], v[74:75] op_sel:[0,1]
	s_delay_alu instid0(VALU_DEP_1) | instskip(SKIP_1) | instid1(VALU_DEP_1)
	v_pk_fma_f32 v[86:87], v[84:85], v[72:73], v[82:83] op_sel:[0,0,1] op_sel_hi:[1,1,0] neg_lo:[0,0,1] neg_hi:[0,0,1]
	v_pk_fma_f32 v[82:83], v[84:85], v[72:73], v[82:83] op_sel:[0,0,1] op_sel_hi:[1,0,0]
	v_mov_b32_e32 v87, v83
	ds_load_2addr_b64 v[82:85], v76 offset0:12 offset1:13
	v_pk_add_f32 v[28:29], v[28:29], v[88:89] neg_lo:[0,1] neg_hi:[0,1]
	v_pk_add_f32 v[20:21], v[20:21], v[86:87] neg_lo:[0,1] neg_hi:[0,1]
	s_wait_dscnt 0x0
	v_dual_mul_f32 v86, v83, v75 :: v_dual_mul_f32 v88, v83, v72
	s_delay_alu instid0(VALU_DEP_1) | instskip(NEXT) | instid1(VALU_DEP_2)
	v_pk_fma_f32 v[86:87], v[82:83], v[62:63], v[86:87] op_sel_hi:[1,1,0] neg_lo:[0,0,1] neg_hi:[0,0,1]
	v_pk_fma_f32 v[82:83], v[82:83], v[62:63], v[88:89] op_sel:[1,0,0] op_sel_hi:[0,1,0]
	s_delay_alu instid0(VALU_DEP_1) | instskip(SKIP_1) | instid1(VALU_DEP_2)
	v_mov_b32_e32 v87, v83
	v_pk_mul_f32 v[82:83], v[84:85], v[74:75] op_sel:[0,1]
	v_pk_add_f32 v[40:41], v[40:41], v[86:87] neg_lo:[0,1] neg_hi:[0,1]
	s_delay_alu instid0(VALU_DEP_2) | instskip(SKIP_1) | instid1(VALU_DEP_1)
	v_pk_fma_f32 v[86:87], v[84:85], v[72:73], v[82:83] op_sel:[0,0,1] op_sel_hi:[1,1,0] neg_lo:[0,0,1] neg_hi:[0,0,1]
	v_pk_fma_f32 v[82:83], v[84:85], v[72:73], v[82:83] op_sel:[0,0,1] op_sel_hi:[1,0,0]
	v_mov_b32_e32 v87, v83
	ds_load_2addr_b64 v[82:85], v76 offset0:14 offset1:15
	v_pk_add_f32 v[36:37], v[36:37], v[86:87] neg_lo:[0,1] neg_hi:[0,1]
	s_wait_dscnt 0x0
	v_pk_mul_f32 v[86:87], v[82:83], v[74:75] op_sel:[0,1]
	s_delay_alu instid0(VALU_DEP_1) | instskip(SKIP_1) | instid1(VALU_DEP_1)
	v_pk_fma_f32 v[88:89], v[82:83], v[72:73], v[86:87] op_sel:[0,0,1] op_sel_hi:[1,1,0] neg_lo:[0,0,1] neg_hi:[0,0,1]
	v_pk_fma_f32 v[82:83], v[82:83], v[72:73], v[86:87] op_sel:[0,0,1] op_sel_hi:[1,0,0]
	v_mov_b32_e32 v89, v83
	v_pk_mul_f32 v[82:83], v[84:85], v[74:75] op_sel:[0,1]
	s_delay_alu instid0(VALU_DEP_2) | instskip(NEXT) | instid1(VALU_DEP_2)
	v_pk_add_f32 v[38:39], v[38:39], v[88:89] neg_lo:[0,1] neg_hi:[0,1]
	v_pk_fma_f32 v[86:87], v[84:85], v[72:73], v[82:83] op_sel:[0,0,1] op_sel_hi:[1,1,0] neg_lo:[0,0,1] neg_hi:[0,0,1]
	v_pk_fma_f32 v[82:83], v[84:85], v[72:73], v[82:83] op_sel:[0,0,1] op_sel_hi:[1,0,0]
	s_delay_alu instid0(VALU_DEP_1) | instskip(SKIP_4) | instid1(VALU_DEP_1)
	v_mov_b32_e32 v87, v83
	ds_load_2addr_b64 v[82:85], v76 offset0:16 offset1:17
	v_pk_add_f32 v[34:35], v[34:35], v[86:87] neg_lo:[0,1] neg_hi:[0,1]
	s_wait_dscnt 0x0
	v_pk_mul_f32 v[86:87], v[82:83], v[74:75] op_sel:[0,1]
	v_pk_fma_f32 v[88:89], v[82:83], v[72:73], v[86:87] op_sel:[0,0,1] op_sel_hi:[1,1,0] neg_lo:[0,0,1] neg_hi:[0,0,1]
	v_pk_fma_f32 v[82:83], v[82:83], v[72:73], v[86:87] op_sel:[0,0,1] op_sel_hi:[1,0,0]
	v_dual_mul_f32 v86, v85, v75 :: v_dual_mov_b32 v82, v85
	s_delay_alu instid0(VALU_DEP_2) | instskip(NEXT) | instid1(VALU_DEP_2)
	v_dual_mov_b32 v89, v83 :: v_dual_mov_b32 v83, v84
	v_pk_fma_f32 v[86:87], v[84:85], v[62:63], v[86:87] op_sel_hi:[1,1,0] neg_lo:[0,0,1] neg_hi:[0,0,1]
	v_mul_f32_e32 v84, v85, v72
	s_delay_alu instid0(VALU_DEP_3) | instskip(NEXT) | instid1(VALU_DEP_2)
	v_pk_add_f32 v[60:61], v[60:61], v[88:89] neg_lo:[0,1] neg_hi:[0,1]
	v_pk_fma_f32 v[82:83], v[82:83], v[62:63], v[84:85] op_sel_hi:[1,1,0]
	s_delay_alu instid0(VALU_DEP_1) | instskip(SKIP_4) | instid1(VALU_DEP_1)
	v_mov_b32_e32 v87, v83
	ds_load_2addr_b64 v[82:85], v76 offset0:18 offset1:19
	v_pk_add_f32 v[56:57], v[56:57], v[86:87] neg_lo:[0,1] neg_hi:[0,1]
	s_wait_dscnt 0x0
	v_pk_mul_f32 v[86:87], v[82:83], v[74:75] op_sel:[0,1]
	v_pk_fma_f32 v[88:89], v[82:83], v[72:73], v[86:87] op_sel:[0,0,1] op_sel_hi:[1,1,0] neg_lo:[0,0,1] neg_hi:[0,0,1]
	v_pk_fma_f32 v[82:83], v[82:83], v[72:73], v[86:87] op_sel:[0,0,1] op_sel_hi:[1,0,0]
	s_delay_alu instid0(VALU_DEP_1) | instskip(SKIP_1) | instid1(VALU_DEP_1)
	v_mov_b32_e32 v89, v83
	v_pk_mul_f32 v[82:83], v[84:85], v[74:75] op_sel:[0,1]
	v_pk_fma_f32 v[86:87], v[84:85], v[72:73], v[82:83] op_sel:[0,0,1] op_sel_hi:[1,1,0] neg_lo:[0,0,1] neg_hi:[0,0,1]
	v_pk_fma_f32 v[82:83], v[84:85], v[72:73], v[82:83] op_sel:[0,0,1] op_sel_hi:[1,0,0]
	s_delay_alu instid0(VALU_DEP_1)
	v_mov_b32_e32 v87, v83
	ds_load_2addr_b64 v[82:85], v76 offset0:20 offset1:21
	v_pk_add_f32 v[58:59], v[58:59], v[88:89] neg_lo:[0,1] neg_hi:[0,1]
	v_pk_add_f32 v[54:55], v[54:55], v[86:87] neg_lo:[0,1] neg_hi:[0,1]
	s_wait_dscnt 0x0
	v_pk_mul_f32 v[86:87], v[82:83], v[74:75] op_sel:[0,1]
	s_delay_alu instid0(VALU_DEP_1) | instskip(SKIP_1) | instid1(VALU_DEP_1)
	v_pk_fma_f32 v[88:89], v[82:83], v[72:73], v[86:87] op_sel:[0,0,1] op_sel_hi:[1,1,0] neg_lo:[0,0,1] neg_hi:[0,0,1]
	v_pk_fma_f32 v[82:83], v[82:83], v[72:73], v[86:87] op_sel:[0,0,1] op_sel_hi:[1,0,0]
	v_mov_b32_e32 v89, v83
	v_pk_mul_f32 v[82:83], v[84:85], v[74:75] op_sel:[0,1]
	s_delay_alu instid0(VALU_DEP_1) | instskip(SKIP_1) | instid1(VALU_DEP_1)
	v_pk_fma_f32 v[86:87], v[84:85], v[72:73], v[82:83] op_sel:[0,0,1] op_sel_hi:[1,1,0] neg_lo:[0,0,1] neg_hi:[0,0,1]
	v_pk_fma_f32 v[82:83], v[84:85], v[72:73], v[82:83] op_sel:[0,0,1] op_sel_hi:[1,0,0]
	v_mov_b32_e32 v87, v83
	ds_load_2addr_b64 v[82:85], v76 offset0:22 offset1:23
	v_pk_add_f32 v[50:51], v[50:51], v[88:89] neg_lo:[0,1] neg_hi:[0,1]
	v_pk_add_f32 v[46:47], v[46:47], v[86:87] neg_lo:[0,1] neg_hi:[0,1]
	s_wait_dscnt 0x0
	v_dual_mul_f32 v86, v83, v75 :: v_dual_mul_f32 v88, v83, v72
	s_delay_alu instid0(VALU_DEP_1) | instskip(NEXT) | instid1(VALU_DEP_2)
	v_pk_fma_f32 v[86:87], v[82:83], v[62:63], v[86:87] op_sel_hi:[1,1,0] neg_lo:[0,0,1] neg_hi:[0,0,1]
	v_pk_fma_f32 v[82:83], v[82:83], v[62:63], v[88:89] op_sel:[1,0,0] op_sel_hi:[0,1,0]
	s_delay_alu instid0(VALU_DEP_1) | instskip(SKIP_1) | instid1(VALU_DEP_2)
	v_mov_b32_e32 v87, v83
	v_pk_mul_f32 v[82:83], v[84:85], v[74:75] op_sel:[0,1]
	v_pk_add_f32 v[48:49], v[48:49], v[86:87] neg_lo:[0,1] neg_hi:[0,1]
	s_delay_alu instid0(VALU_DEP_2) | instskip(SKIP_1) | instid1(VALU_DEP_1)
	v_pk_fma_f32 v[86:87], v[84:85], v[72:73], v[82:83] op_sel:[0,0,1] op_sel_hi:[1,1,0] neg_lo:[0,0,1] neg_hi:[0,0,1]
	v_pk_fma_f32 v[82:83], v[84:85], v[72:73], v[82:83] op_sel:[0,0,1] op_sel_hi:[1,0,0]
	v_mov_b32_e32 v87, v83
	ds_load_2addr_b64 v[82:85], v76 offset0:24 offset1:25
	v_pk_add_f32 v[44:45], v[44:45], v[86:87] neg_lo:[0,1] neg_hi:[0,1]
	s_wait_dscnt 0x0
	v_pk_mul_f32 v[86:87], v[82:83], v[74:75] op_sel:[0,1]
	s_delay_alu instid0(VALU_DEP_1) | instskip(SKIP_1) | instid1(VALU_DEP_1)
	v_pk_fma_f32 v[88:89], v[82:83], v[72:73], v[86:87] op_sel:[0,0,1] op_sel_hi:[1,1,0] neg_lo:[0,0,1] neg_hi:[0,0,1]
	v_pk_fma_f32 v[82:83], v[82:83], v[72:73], v[86:87] op_sel:[0,0,1] op_sel_hi:[1,0,0]
	v_mov_b32_e32 v89, v83
	v_pk_mul_f32 v[82:83], v[84:85], v[74:75] op_sel:[0,1]
	s_delay_alu instid0(VALU_DEP_2) | instskip(NEXT) | instid1(VALU_DEP_2)
	v_pk_add_f32 v[26:27], v[26:27], v[88:89] neg_lo:[0,1] neg_hi:[0,1]
	v_pk_fma_f32 v[86:87], v[84:85], v[72:73], v[82:83] op_sel:[0,0,1] op_sel_hi:[1,1,0] neg_lo:[0,0,1] neg_hi:[0,0,1]
	v_pk_fma_f32 v[82:83], v[84:85], v[72:73], v[82:83] op_sel:[0,0,1] op_sel_hi:[1,0,0]
	s_delay_alu instid0(VALU_DEP_1) | instskip(SKIP_4) | instid1(VALU_DEP_1)
	v_mov_b32_e32 v87, v83
	ds_load_2addr_b64 v[82:85], v76 offset0:26 offset1:27
	v_pk_add_f32 v[18:19], v[18:19], v[86:87] neg_lo:[0,1] neg_hi:[0,1]
	s_wait_dscnt 0x0
	v_pk_mul_f32 v[86:87], v[82:83], v[74:75] op_sel:[0,1]
	v_pk_fma_f32 v[88:89], v[82:83], v[72:73], v[86:87] op_sel:[0,0,1] op_sel_hi:[1,1,0] neg_lo:[0,0,1] neg_hi:[0,0,1]
	v_pk_fma_f32 v[82:83], v[82:83], v[72:73], v[86:87] op_sel:[0,0,1] op_sel_hi:[1,0,0]
	v_dual_mul_f32 v86, v85, v75 :: v_dual_mov_b32 v82, v85
	s_delay_alu instid0(VALU_DEP_2) | instskip(NEXT) | instid1(VALU_DEP_2)
	v_dual_mov_b32 v89, v83 :: v_dual_mov_b32 v83, v84
	v_pk_fma_f32 v[86:87], v[84:85], v[62:63], v[86:87] op_sel_hi:[1,1,0] neg_lo:[0,0,1] neg_hi:[0,0,1]
	v_mul_f32_e32 v84, v85, v72
	s_delay_alu instid0(VALU_DEP_3) | instskip(NEXT) | instid1(VALU_DEP_2)
	v_pk_add_f32 v[24:25], v[24:25], v[88:89] neg_lo:[0,1] neg_hi:[0,1]
	v_pk_fma_f32 v[82:83], v[82:83], v[62:63], v[84:85] op_sel_hi:[1,1,0]
	s_delay_alu instid0(VALU_DEP_1) | instskip(SKIP_4) | instid1(VALU_DEP_1)
	v_mov_b32_e32 v87, v83
	ds_load_2addr_b64 v[82:85], v76 offset0:28 offset1:29
	v_pk_add_f32 v[16:17], v[16:17], v[86:87] neg_lo:[0,1] neg_hi:[0,1]
	s_wait_dscnt 0x0
	v_pk_mul_f32 v[86:87], v[82:83], v[74:75] op_sel:[0,1]
	v_pk_fma_f32 v[88:89], v[82:83], v[72:73], v[86:87] op_sel:[0,0,1] op_sel_hi:[1,1,0] neg_lo:[0,0,1] neg_hi:[0,0,1]
	v_pk_fma_f32 v[82:83], v[82:83], v[72:73], v[86:87] op_sel:[0,0,1] op_sel_hi:[1,0,0]
	s_delay_alu instid0(VALU_DEP_1) | instskip(SKIP_1) | instid1(VALU_DEP_1)
	v_mov_b32_e32 v89, v83
	v_pk_mul_f32 v[82:83], v[84:85], v[74:75] op_sel:[0,1]
	v_pk_fma_f32 v[86:87], v[84:85], v[72:73], v[82:83] op_sel:[0,0,1] op_sel_hi:[1,1,0] neg_lo:[0,0,1] neg_hi:[0,0,1]
	v_pk_fma_f32 v[82:83], v[84:85], v[72:73], v[82:83] op_sel:[0,0,1] op_sel_hi:[1,0,0]
	s_delay_alu instid0(VALU_DEP_1)
	v_mov_b32_e32 v87, v83
	ds_load_2addr_b64 v[82:85], v76 offset0:30 offset1:31
	v_pk_add_f32 v[6:7], v[6:7], v[88:89] neg_lo:[0,1] neg_hi:[0,1]
	v_pk_add_f32 v[52:53], v[52:53], v[86:87] neg_lo:[0,1] neg_hi:[0,1]
	s_wait_dscnt 0x0
	v_pk_mul_f32 v[86:87], v[82:83], v[74:75] op_sel:[0,1]
	s_delay_alu instid0(VALU_DEP_1) | instskip(SKIP_1) | instid1(VALU_DEP_1)
	v_pk_fma_f32 v[88:89], v[82:83], v[72:73], v[86:87] op_sel:[0,0,1] op_sel_hi:[1,1,0] neg_lo:[0,0,1] neg_hi:[0,0,1]
	v_pk_fma_f32 v[82:83], v[82:83], v[72:73], v[86:87] op_sel:[0,0,1] op_sel_hi:[1,0,0]
	v_mov_b32_e32 v89, v83
	v_pk_mul_f32 v[82:83], v[84:85], v[74:75] op_sel:[0,1]
	s_delay_alu instid0(VALU_DEP_1) | instskip(SKIP_1) | instid1(VALU_DEP_1)
	v_pk_fma_f32 v[86:87], v[84:85], v[72:73], v[82:83] op_sel:[0,0,1] op_sel_hi:[1,1,0] neg_lo:[0,0,1] neg_hi:[0,0,1]
	v_pk_fma_f32 v[82:83], v[84:85], v[72:73], v[82:83] op_sel:[0,0,1] op_sel_hi:[1,0,0]
	v_mov_b32_e32 v87, v83
	ds_load_b64 v[82:83], v76 offset:256
	v_pk_add_f32 v[42:43], v[42:43], v[88:89] neg_lo:[0,1] neg_hi:[0,1]
	v_pk_add_f32 v[32:33], v[32:33], v[86:87] neg_lo:[0,1] neg_hi:[0,1]
	s_wait_dscnt 0x0
	v_pk_mul_f32 v[74:75], v[82:83], v[74:75] op_sel:[0,1]
	s_delay_alu instid0(VALU_DEP_1) | instskip(SKIP_1) | instid1(VALU_DEP_1)
	v_pk_fma_f32 v[84:85], v[82:83], v[72:73], v[74:75] op_sel:[0,0,1] op_sel_hi:[1,1,0] neg_lo:[0,0,1] neg_hi:[0,0,1]
	v_pk_fma_f32 v[72:73], v[82:83], v[72:73], v[74:75] op_sel:[0,0,1] op_sel_hi:[1,0,0]
	v_mov_b32_e32 v85, v73
	s_delay_alu instid0(VALU_DEP_1)
	v_pk_add_f32 v[70:71], v[70:71], v[84:85] neg_lo:[0,1] neg_hi:[0,1]
.LBB64_83:
	s_or_b32 exec_lo, exec_lo, s0
	v_lshl_add_u32 v72, v80, 3, v76
	s_barrier_signal -1
	s_barrier_wait -1
	ds_store_b64 v72, v[14:15]
	s_wait_dscnt 0x0
	s_barrier_signal -1
	s_barrier_wait -1
	ds_load_b64 v[74:75], v76 offset:32
	v_mov_b32_e32 v72, 4
	s_cmp_lt_i32 s18, 6
	s_cbranch_scc1 .LBB64_86
; %bb.84:
	v_add3_u32 v73, v77, 0, 40
	v_mov_b32_e32 v72, 4
	s_mov_b32 s0, 5
.LBB64_85:                              ; =>This Inner Loop Header: Depth=1
	ds_load_b64 v[82:83], v73
	s_wait_dscnt 0x1
	v_cmp_gt_f32_e32 vcc_lo, 0, v74
	v_cndmask_b32_e64 v84, v74, -v74, vcc_lo
	v_cmp_gt_f32_e32 vcc_lo, 0, v75
	v_cndmask_b32_e64 v86, v75, -v75, vcc_lo
	s_wait_dscnt 0x0
	v_cmp_gt_f32_e32 vcc_lo, 0, v82
	v_cndmask_b32_e64 v85, v82, -v82, vcc_lo
	v_cmp_gt_f32_e32 vcc_lo, 0, v83
	v_cndmask_b32_e64 v87, v83, -v83, vcc_lo
	s_delay_alu instid0(VALU_DEP_1) | instskip(NEXT) | instid1(VALU_DEP_1)
	v_pk_add_f32 v[84:85], v[84:85], v[86:87]
	v_cmp_lt_f32_e32 vcc_lo, v84, v85
	v_dual_add_nc_u32 v73, 8, v73 :: v_dual_cndmask_b32 v75, v75, v83, vcc_lo
	v_cndmask_b32_e32 v74, v74, v82, vcc_lo
	v_cndmask_b32_e64 v72, v72, s0, vcc_lo
	s_add_co_i32 s0, s0, 1
	s_delay_alu instid0(SALU_CYCLE_1)
	s_cmp_lg_u32 s18, s0
	s_cbranch_scc1 .LBB64_85
.LBB64_86:
	s_wait_dscnt 0x0
	v_cmp_eq_f32_e32 vcc_lo, 0, v74
	v_cmp_eq_f32_e64 s0, 0, v75
	s_and_b32 s0, vcc_lo, s0
	s_delay_alu instid0(SALU_CYCLE_1) | instskip(NEXT) | instid1(SALU_CYCLE_1)
	s_and_saveexec_b32 s1, s0
	s_xor_b32 s0, exec_lo, s1
; %bb.87:
	v_cmp_ne_u32_e32 vcc_lo, 0, v78
	v_cndmask_b32_e32 v78, 5, v78, vcc_lo
; %bb.88:
	s_and_not1_saveexec_b32 s0, s0
	s_cbranch_execz .LBB64_94
; %bb.89:
	v_cmp_ngt_f32_e64 s1, |v74|, |v75|
	s_and_saveexec_b32 s12, s1
	s_delay_alu instid0(SALU_CYCLE_1)
	s_xor_b32 s1, exec_lo, s12
	s_cbranch_execz .LBB64_91
; %bb.90:
	v_div_scale_f32 v73, null, v75, v75, v74
	v_div_scale_f32 v83, vcc_lo, v74, v75, v74
	s_delay_alu instid0(VALU_DEP_2) | instskip(SKIP_1) | instid1(TRANS32_DEP_1)
	v_rcp_f32_e32 v81, v73
	v_nop
	v_fma_f32 v82, -v73, v81, 1.0
	s_delay_alu instid0(VALU_DEP_1) | instskip(NEXT) | instid1(VALU_DEP_1)
	v_fmac_f32_e32 v81, v82, v81
	v_mul_f32_e32 v82, v83, v81
	s_delay_alu instid0(VALU_DEP_1) | instskip(NEXT) | instid1(VALU_DEP_1)
	v_fma_f32 v84, -v73, v82, v83
	v_fmac_f32_e32 v82, v84, v81
	s_delay_alu instid0(VALU_DEP_1) | instskip(NEXT) | instid1(VALU_DEP_1)
	v_fma_f32 v73, -v73, v82, v83
	v_div_fmas_f32 v73, v73, v81, v82
	s_delay_alu instid0(VALU_DEP_1) | instskip(NEXT) | instid1(VALU_DEP_1)
	v_div_fixup_f32 v73, v73, v75, v74
	v_fmac_f32_e32 v75, v74, v73
	s_delay_alu instid0(VALU_DEP_1) | instskip(SKIP_1) | instid1(VALU_DEP_2)
	v_div_scale_f32 v74, null, v75, v75, 1.0
	v_div_scale_f32 v83, vcc_lo, 1.0, v75, 1.0
	v_rcp_f32_e32 v81, v74
	v_nop
	s_delay_alu instid0(TRANS32_DEP_1) | instskip(NEXT) | instid1(VALU_DEP_1)
	v_fma_f32 v82, -v74, v81, 1.0
	v_fmac_f32_e32 v81, v82, v81
	s_delay_alu instid0(VALU_DEP_1) | instskip(NEXT) | instid1(VALU_DEP_1)
	v_mul_f32_e32 v82, v83, v81
	v_fma_f32 v84, -v74, v82, v83
	s_delay_alu instid0(VALU_DEP_1) | instskip(NEXT) | instid1(VALU_DEP_1)
	v_fmac_f32_e32 v82, v84, v81
	v_fma_f32 v74, -v74, v82, v83
	s_delay_alu instid0(VALU_DEP_1) | instskip(NEXT) | instid1(VALU_DEP_1)
	v_div_fmas_f32 v74, v74, v81, v82
	v_div_fixup_f32 v75, v74, v75, 1.0
	s_delay_alu instid0(VALU_DEP_1)
	v_mul_f32_e32 v74, v73, v75
	v_xor_b32_e32 v75, 0x80000000, v75
.LBB64_91:
	s_and_not1_saveexec_b32 s1, s1
	s_cbranch_execz .LBB64_93
; %bb.92:
	s_delay_alu instid0(VALU_DEP_1) | instskip(SKIP_1) | instid1(VALU_DEP_2)
	v_div_scale_f32 v73, null, v74, v74, v75
	v_div_scale_f32 v83, vcc_lo, v75, v74, v75
	v_rcp_f32_e32 v81, v73
	v_nop
	s_delay_alu instid0(TRANS32_DEP_1) | instskip(NEXT) | instid1(VALU_DEP_1)
	v_fma_f32 v82, -v73, v81, 1.0
	v_fmac_f32_e32 v81, v82, v81
	s_delay_alu instid0(VALU_DEP_1) | instskip(NEXT) | instid1(VALU_DEP_1)
	v_mul_f32_e32 v82, v83, v81
	v_fma_f32 v84, -v73, v82, v83
	s_delay_alu instid0(VALU_DEP_1) | instskip(NEXT) | instid1(VALU_DEP_1)
	v_fmac_f32_e32 v82, v84, v81
	v_fma_f32 v73, -v73, v82, v83
	s_delay_alu instid0(VALU_DEP_1) | instskip(NEXT) | instid1(VALU_DEP_1)
	v_div_fmas_f32 v73, v73, v81, v82
	v_div_fixup_f32 v73, v73, v74, v75
	s_delay_alu instid0(VALU_DEP_1) | instskip(NEXT) | instid1(VALU_DEP_1)
	v_fmac_f32_e32 v74, v75, v73
	v_div_scale_f32 v75, null, v74, v74, 1.0
	s_delay_alu instid0(VALU_DEP_1) | instskip(SKIP_1) | instid1(TRANS32_DEP_1)
	v_rcp_f32_e32 v81, v75
	v_nop
	v_fma_f32 v82, -v75, v81, 1.0
	s_delay_alu instid0(VALU_DEP_1) | instskip(SKIP_1) | instid1(VALU_DEP_1)
	v_fmac_f32_e32 v81, v82, v81
	v_div_scale_f32 v82, vcc_lo, 1.0, v74, 1.0
	v_mul_f32_e32 v83, v82, v81
	s_delay_alu instid0(VALU_DEP_1) | instskip(NEXT) | instid1(VALU_DEP_1)
	v_fma_f32 v84, -v75, v83, v82
	v_fmac_f32_e32 v83, v84, v81
	s_delay_alu instid0(VALU_DEP_1) | instskip(NEXT) | instid1(VALU_DEP_1)
	v_fma_f32 v75, -v75, v83, v82
	v_div_fmas_f32 v75, v75, v81, v83
	s_delay_alu instid0(VALU_DEP_1) | instskip(NEXT) | instid1(VALU_DEP_1)
	v_div_fixup_f32 v74, v75, v74, 1.0
	v_mul_f32_e64 v75, v73, -v74
.LBB64_93:
	s_or_b32 exec_lo, exec_lo, s1
.LBB64_94:
	s_delay_alu instid0(SALU_CYCLE_1) | instskip(NEXT) | instid1(SALU_CYCLE_1)
	s_or_b32 exec_lo, exec_lo, s0
	s_mov_b32 s0, exec_lo
	v_cmpx_ne_u32_e64 v80, v72
	s_xor_b32 s0, exec_lo, s0
	s_cbranch_execz .LBB64_100
; %bb.95:
	s_mov_b32 s1, exec_lo
	v_cmpx_eq_u32_e32 4, v80
	s_cbranch_execz .LBB64_99
; %bb.96:
	v_cmp_ne_u32_e32 vcc_lo, 4, v72
	s_xor_b32 s12, s16, -1
	s_delay_alu instid0(SALU_CYCLE_1) | instskip(NEXT) | instid1(SALU_CYCLE_1)
	s_and_b32 s13, s12, vcc_lo
	s_and_saveexec_b32 s12, s13
	s_cbranch_execz .LBB64_98
; %bb.97:
	v_ashrrev_i32_e32 v73, 31, v72
	s_delay_alu instid0(VALU_DEP_1)
	v_lshl_add_u64 v[80:81], v[72:73], 2, v[4:5]
	s_clause 0x1
	global_load_b32 v73, v[80:81], off
	global_load_b32 v79, v[4:5], off offset:16
	s_wait_loadcnt 0x1
	global_store_b32 v[4:5], v73, off offset:16
	s_wait_loadcnt 0x0
	global_store_b32 v[80:81], v79, off
.LBB64_98:
	s_wait_xcnt 0x0
	s_or_b32 exec_lo, exec_lo, s12
	v_dual_mov_b32 v80, v72 :: v_dual_mov_b32 v79, v72
.LBB64_99:
	s_or_b32 exec_lo, exec_lo, s1
.LBB64_100:
	s_and_not1_saveexec_b32 s0, s0
	s_cbranch_execz .LBB64_102
; %bb.101:
	v_mov_b32_e32 v80, 4
	ds_store_2addr_b64 v76, v[10:11], v[12:13] offset0:5 offset1:6
	ds_store_2addr_b64 v76, v[8:9], v[30:31] offset0:7 offset1:8
	;; [unrolled: 1-line block ×14, first 2 shown]
.LBB64_102:
	s_or_b32 exec_lo, exec_lo, s0
	s_delay_alu instid0(SALU_CYCLE_1)
	s_mov_b32 s0, exec_lo
	s_wait_storecnt_dscnt 0x0
	s_barrier_signal -1
	s_barrier_wait -1
	v_cmpx_lt_i32_e32 4, v80
	s_cbranch_execz .LBB64_104
; %bb.103:
	v_pk_mul_f32 v[82:83], v[74:75], v[14:15] op_sel:[1,1] op_sel_hi:[0,1]
	s_delay_alu instid0(VALU_DEP_1)
	v_pk_fma_f32 v[72:73], v[74:75], v[14:15], v[82:83] op_sel_hi:[1,0,1] neg_lo:[0,0,1] neg_hi:[0,0,1]
	v_pk_fma_f32 v[74:75], v[74:75], v[14:15], v[82:83] op_sel_hi:[1,0,1]
	ds_load_2addr_b64 v[82:85], v76 offset0:5 offset1:6
	v_dual_mov_b32 v14, v72 :: v_dual_mov_b32 v15, v75
	s_wait_dscnt 0x0
	v_pk_mul_f32 v[86:87], v[82:83], v[74:75] op_sel:[0,1]
	s_delay_alu instid0(VALU_DEP_1) | instskip(SKIP_1) | instid1(VALU_DEP_1)
	v_pk_fma_f32 v[88:89], v[82:83], v[72:73], v[86:87] op_sel:[0,0,1] op_sel_hi:[1,1,0] neg_lo:[0,0,1] neg_hi:[0,0,1]
	v_pk_fma_f32 v[82:83], v[82:83], v[72:73], v[86:87] op_sel:[0,0,1] op_sel_hi:[1,0,0]
	v_mov_b32_e32 v89, v83
	v_pk_mul_f32 v[82:83], v[84:85], v[74:75] op_sel:[0,1]
	s_delay_alu instid0(VALU_DEP_1) | instskip(SKIP_1) | instid1(VALU_DEP_1)
	v_pk_fma_f32 v[86:87], v[84:85], v[72:73], v[82:83] op_sel:[0,0,1] op_sel_hi:[1,1,0] neg_lo:[0,0,1] neg_hi:[0,0,1]
	v_pk_fma_f32 v[82:83], v[84:85], v[72:73], v[82:83] op_sel:[0,0,1] op_sel_hi:[1,0,0]
	v_mov_b32_e32 v87, v83
	ds_load_2addr_b64 v[82:85], v76 offset0:7 offset1:8
	v_pk_add_f32 v[10:11], v[10:11], v[88:89] neg_lo:[0,1] neg_hi:[0,1]
	v_pk_add_f32 v[12:13], v[12:13], v[86:87] neg_lo:[0,1] neg_hi:[0,1]
	s_wait_dscnt 0x0
	v_pk_mul_f32 v[86:87], v[82:83], v[74:75] op_sel:[0,1]
	s_delay_alu instid0(VALU_DEP_1) | instskip(SKIP_2) | instid1(VALU_DEP_2)
	v_pk_fma_f32 v[88:89], v[82:83], v[72:73], v[86:87] op_sel:[0,0,1] op_sel_hi:[1,1,0] neg_lo:[0,0,1] neg_hi:[0,0,1]
	v_pk_fma_f32 v[82:83], v[82:83], v[72:73], v[86:87] op_sel:[0,0,1] op_sel_hi:[1,0,0]
	v_dual_mul_f32 v86, v85, v75 :: v_dual_mov_b32 v82, v85
	v_dual_mov_b32 v89, v83 :: v_dual_mov_b32 v83, v84
	s_delay_alu instid0(VALU_DEP_2) | instskip(SKIP_1) | instid1(VALU_DEP_3)
	v_pk_fma_f32 v[86:87], v[84:85], v[14:15], v[86:87] op_sel_hi:[1,1,0] neg_lo:[0,0,1] neg_hi:[0,0,1]
	v_mul_f32_e32 v84, v85, v72
	v_pk_add_f32 v[8:9], v[8:9], v[88:89] neg_lo:[0,1] neg_hi:[0,1]
	s_delay_alu instid0(VALU_DEP_2) | instskip(NEXT) | instid1(VALU_DEP_1)
	v_pk_fma_f32 v[82:83], v[82:83], v[14:15], v[84:85] op_sel_hi:[1,1,0]
	v_mov_b32_e32 v87, v83
	ds_load_2addr_b64 v[82:85], v76 offset0:9 offset1:10
	v_pk_add_f32 v[30:31], v[30:31], v[86:87] neg_lo:[0,1] neg_hi:[0,1]
	s_wait_dscnt 0x0
	v_pk_mul_f32 v[86:87], v[82:83], v[74:75] op_sel:[0,1]
	s_delay_alu instid0(VALU_DEP_1) | instskip(SKIP_1) | instid1(VALU_DEP_1)
	v_pk_fma_f32 v[88:89], v[82:83], v[72:73], v[86:87] op_sel:[0,0,1] op_sel_hi:[1,1,0] neg_lo:[0,0,1] neg_hi:[0,0,1]
	v_pk_fma_f32 v[82:83], v[82:83], v[72:73], v[86:87] op_sel:[0,0,1] op_sel_hi:[1,0,0]
	v_mov_b32_e32 v89, v83
	v_pk_mul_f32 v[82:83], v[84:85], v[74:75] op_sel:[0,1]
	s_delay_alu instid0(VALU_DEP_1) | instskip(SKIP_1) | instid1(VALU_DEP_1)
	v_pk_fma_f32 v[86:87], v[84:85], v[72:73], v[82:83] op_sel:[0,0,1] op_sel_hi:[1,1,0] neg_lo:[0,0,1] neg_hi:[0,0,1]
	v_pk_fma_f32 v[82:83], v[84:85], v[72:73], v[82:83] op_sel:[0,0,1] op_sel_hi:[1,0,0]
	v_mov_b32_e32 v87, v83
	ds_load_2addr_b64 v[82:85], v76 offset0:11 offset1:12
	v_pk_add_f32 v[22:23], v[22:23], v[88:89] neg_lo:[0,1] neg_hi:[0,1]
	v_pk_add_f32 v[28:29], v[28:29], v[86:87] neg_lo:[0,1] neg_hi:[0,1]
	s_wait_dscnt 0x0
	v_pk_mul_f32 v[86:87], v[82:83], v[74:75] op_sel:[0,1]
	s_delay_alu instid0(VALU_DEP_1) | instskip(SKIP_1) | instid1(VALU_DEP_1)
	v_pk_fma_f32 v[88:89], v[82:83], v[72:73], v[86:87] op_sel:[0,0,1] op_sel_hi:[1,1,0] neg_lo:[0,0,1] neg_hi:[0,0,1]
	v_pk_fma_f32 v[82:83], v[82:83], v[72:73], v[86:87] op_sel:[0,0,1] op_sel_hi:[1,0,0]
	v_mov_b32_e32 v89, v83
	v_pk_mul_f32 v[82:83], v[84:85], v[74:75] op_sel:[0,1]
	s_delay_alu instid0(VALU_DEP_1) | instskip(SKIP_1) | instid1(VALU_DEP_1)
	v_pk_fma_f32 v[86:87], v[84:85], v[72:73], v[82:83] op_sel:[0,0,1] op_sel_hi:[1,1,0] neg_lo:[0,0,1] neg_hi:[0,0,1]
	v_pk_fma_f32 v[82:83], v[84:85], v[72:73], v[82:83] op_sel:[0,0,1] op_sel_hi:[1,0,0]
	v_mov_b32_e32 v87, v83
	ds_load_2addr_b64 v[82:85], v76 offset0:13 offset1:14
	v_pk_add_f32 v[20:21], v[20:21], v[88:89] neg_lo:[0,1] neg_hi:[0,1]
	v_pk_add_f32 v[40:41], v[40:41], v[86:87] neg_lo:[0,1] neg_hi:[0,1]
	s_wait_dscnt 0x0
	v_dual_mul_f32 v86, v83, v75 :: v_dual_mul_f32 v88, v83, v72
	s_delay_alu instid0(VALU_DEP_1) | instskip(NEXT) | instid1(VALU_DEP_2)
	v_pk_fma_f32 v[86:87], v[82:83], v[14:15], v[86:87] op_sel_hi:[1,1,0] neg_lo:[0,0,1] neg_hi:[0,0,1]
	v_pk_fma_f32 v[82:83], v[82:83], v[14:15], v[88:89] op_sel:[1,0,0] op_sel_hi:[0,1,0]
	s_delay_alu instid0(VALU_DEP_1) | instskip(SKIP_1) | instid1(VALU_DEP_2)
	v_mov_b32_e32 v87, v83
	v_pk_mul_f32 v[82:83], v[84:85], v[74:75] op_sel:[0,1]
	v_pk_add_f32 v[36:37], v[36:37], v[86:87] neg_lo:[0,1] neg_hi:[0,1]
	s_delay_alu instid0(VALU_DEP_2) | instskip(SKIP_1) | instid1(VALU_DEP_1)
	v_pk_fma_f32 v[86:87], v[84:85], v[72:73], v[82:83] op_sel:[0,0,1] op_sel_hi:[1,1,0] neg_lo:[0,0,1] neg_hi:[0,0,1]
	v_pk_fma_f32 v[82:83], v[84:85], v[72:73], v[82:83] op_sel:[0,0,1] op_sel_hi:[1,0,0]
	v_mov_b32_e32 v87, v83
	ds_load_2addr_b64 v[82:85], v76 offset0:15 offset1:16
	v_pk_add_f32 v[38:39], v[38:39], v[86:87] neg_lo:[0,1] neg_hi:[0,1]
	s_wait_dscnt 0x0
	v_pk_mul_f32 v[86:87], v[82:83], v[74:75] op_sel:[0,1]
	s_delay_alu instid0(VALU_DEP_1) | instskip(SKIP_1) | instid1(VALU_DEP_1)
	v_pk_fma_f32 v[88:89], v[82:83], v[72:73], v[86:87] op_sel:[0,0,1] op_sel_hi:[1,1,0] neg_lo:[0,0,1] neg_hi:[0,0,1]
	v_pk_fma_f32 v[82:83], v[82:83], v[72:73], v[86:87] op_sel:[0,0,1] op_sel_hi:[1,0,0]
	v_mov_b32_e32 v89, v83
	v_pk_mul_f32 v[82:83], v[84:85], v[74:75] op_sel:[0,1]
	s_delay_alu instid0(VALU_DEP_2) | instskip(NEXT) | instid1(VALU_DEP_2)
	v_pk_add_f32 v[34:35], v[34:35], v[88:89] neg_lo:[0,1] neg_hi:[0,1]
	v_pk_fma_f32 v[86:87], v[84:85], v[72:73], v[82:83] op_sel:[0,0,1] op_sel_hi:[1,1,0] neg_lo:[0,0,1] neg_hi:[0,0,1]
	v_pk_fma_f32 v[82:83], v[84:85], v[72:73], v[82:83] op_sel:[0,0,1] op_sel_hi:[1,0,0]
	s_delay_alu instid0(VALU_DEP_1) | instskip(SKIP_4) | instid1(VALU_DEP_1)
	v_mov_b32_e32 v87, v83
	ds_load_2addr_b64 v[82:85], v76 offset0:17 offset1:18
	v_pk_add_f32 v[60:61], v[60:61], v[86:87] neg_lo:[0,1] neg_hi:[0,1]
	s_wait_dscnt 0x0
	v_pk_mul_f32 v[86:87], v[82:83], v[74:75] op_sel:[0,1]
	v_pk_fma_f32 v[88:89], v[82:83], v[72:73], v[86:87] op_sel:[0,0,1] op_sel_hi:[1,1,0] neg_lo:[0,0,1] neg_hi:[0,0,1]
	v_pk_fma_f32 v[82:83], v[82:83], v[72:73], v[86:87] op_sel:[0,0,1] op_sel_hi:[1,0,0]
	v_dual_mul_f32 v86, v85, v75 :: v_dual_mov_b32 v82, v85
	s_delay_alu instid0(VALU_DEP_2) | instskip(NEXT) | instid1(VALU_DEP_2)
	v_dual_mov_b32 v89, v83 :: v_dual_mov_b32 v83, v84
	v_pk_fma_f32 v[86:87], v[84:85], v[14:15], v[86:87] op_sel_hi:[1,1,0] neg_lo:[0,0,1] neg_hi:[0,0,1]
	v_mul_f32_e32 v84, v85, v72
	s_delay_alu instid0(VALU_DEP_3) | instskip(NEXT) | instid1(VALU_DEP_2)
	v_pk_add_f32 v[56:57], v[56:57], v[88:89] neg_lo:[0,1] neg_hi:[0,1]
	v_pk_fma_f32 v[82:83], v[82:83], v[14:15], v[84:85] op_sel_hi:[1,1,0]
	s_delay_alu instid0(VALU_DEP_1) | instskip(SKIP_4) | instid1(VALU_DEP_1)
	v_mov_b32_e32 v87, v83
	ds_load_2addr_b64 v[82:85], v76 offset0:19 offset1:20
	v_pk_add_f32 v[58:59], v[58:59], v[86:87] neg_lo:[0,1] neg_hi:[0,1]
	s_wait_dscnt 0x0
	v_pk_mul_f32 v[86:87], v[82:83], v[74:75] op_sel:[0,1]
	v_pk_fma_f32 v[88:89], v[82:83], v[72:73], v[86:87] op_sel:[0,0,1] op_sel_hi:[1,1,0] neg_lo:[0,0,1] neg_hi:[0,0,1]
	v_pk_fma_f32 v[82:83], v[82:83], v[72:73], v[86:87] op_sel:[0,0,1] op_sel_hi:[1,0,0]
	s_delay_alu instid0(VALU_DEP_1) | instskip(SKIP_1) | instid1(VALU_DEP_1)
	v_mov_b32_e32 v89, v83
	v_pk_mul_f32 v[82:83], v[84:85], v[74:75] op_sel:[0,1]
	v_pk_fma_f32 v[86:87], v[84:85], v[72:73], v[82:83] op_sel:[0,0,1] op_sel_hi:[1,1,0] neg_lo:[0,0,1] neg_hi:[0,0,1]
	v_pk_fma_f32 v[82:83], v[84:85], v[72:73], v[82:83] op_sel:[0,0,1] op_sel_hi:[1,0,0]
	s_delay_alu instid0(VALU_DEP_1)
	v_mov_b32_e32 v87, v83
	ds_load_2addr_b64 v[82:85], v76 offset0:21 offset1:22
	v_pk_add_f32 v[54:55], v[54:55], v[88:89] neg_lo:[0,1] neg_hi:[0,1]
	v_pk_add_f32 v[50:51], v[50:51], v[86:87] neg_lo:[0,1] neg_hi:[0,1]
	s_wait_dscnt 0x0
	v_pk_mul_f32 v[86:87], v[82:83], v[74:75] op_sel:[0,1]
	s_delay_alu instid0(VALU_DEP_1) | instskip(SKIP_1) | instid1(VALU_DEP_1)
	v_pk_fma_f32 v[88:89], v[82:83], v[72:73], v[86:87] op_sel:[0,0,1] op_sel_hi:[1,1,0] neg_lo:[0,0,1] neg_hi:[0,0,1]
	v_pk_fma_f32 v[82:83], v[82:83], v[72:73], v[86:87] op_sel:[0,0,1] op_sel_hi:[1,0,0]
	v_mov_b32_e32 v89, v83
	v_pk_mul_f32 v[82:83], v[84:85], v[74:75] op_sel:[0,1]
	s_delay_alu instid0(VALU_DEP_1) | instskip(SKIP_1) | instid1(VALU_DEP_1)
	v_pk_fma_f32 v[86:87], v[84:85], v[72:73], v[82:83] op_sel:[0,0,1] op_sel_hi:[1,1,0] neg_lo:[0,0,1] neg_hi:[0,0,1]
	v_pk_fma_f32 v[82:83], v[84:85], v[72:73], v[82:83] op_sel:[0,0,1] op_sel_hi:[1,0,0]
	v_mov_b32_e32 v87, v83
	ds_load_2addr_b64 v[82:85], v76 offset0:23 offset1:24
	v_pk_add_f32 v[46:47], v[46:47], v[88:89] neg_lo:[0,1] neg_hi:[0,1]
	v_pk_add_f32 v[48:49], v[48:49], v[86:87] neg_lo:[0,1] neg_hi:[0,1]
	s_wait_dscnt 0x0
	v_dual_mul_f32 v86, v83, v75 :: v_dual_mul_f32 v88, v83, v72
	s_delay_alu instid0(VALU_DEP_1) | instskip(NEXT) | instid1(VALU_DEP_2)
	v_pk_fma_f32 v[86:87], v[82:83], v[14:15], v[86:87] op_sel_hi:[1,1,0] neg_lo:[0,0,1] neg_hi:[0,0,1]
	v_pk_fma_f32 v[82:83], v[82:83], v[14:15], v[88:89] op_sel:[1,0,0] op_sel_hi:[0,1,0]
	s_delay_alu instid0(VALU_DEP_1) | instskip(SKIP_1) | instid1(VALU_DEP_2)
	v_mov_b32_e32 v87, v83
	v_pk_mul_f32 v[82:83], v[84:85], v[74:75] op_sel:[0,1]
	v_pk_add_f32 v[44:45], v[44:45], v[86:87] neg_lo:[0,1] neg_hi:[0,1]
	s_delay_alu instid0(VALU_DEP_2) | instskip(SKIP_1) | instid1(VALU_DEP_1)
	v_pk_fma_f32 v[86:87], v[84:85], v[72:73], v[82:83] op_sel:[0,0,1] op_sel_hi:[1,1,0] neg_lo:[0,0,1] neg_hi:[0,0,1]
	v_pk_fma_f32 v[82:83], v[84:85], v[72:73], v[82:83] op_sel:[0,0,1] op_sel_hi:[1,0,0]
	v_mov_b32_e32 v87, v83
	ds_load_2addr_b64 v[82:85], v76 offset0:25 offset1:26
	v_pk_add_f32 v[26:27], v[26:27], v[86:87] neg_lo:[0,1] neg_hi:[0,1]
	s_wait_dscnt 0x0
	v_pk_mul_f32 v[86:87], v[82:83], v[74:75] op_sel:[0,1]
	s_delay_alu instid0(VALU_DEP_1) | instskip(SKIP_1) | instid1(VALU_DEP_1)
	v_pk_fma_f32 v[88:89], v[82:83], v[72:73], v[86:87] op_sel:[0,0,1] op_sel_hi:[1,1,0] neg_lo:[0,0,1] neg_hi:[0,0,1]
	v_pk_fma_f32 v[82:83], v[82:83], v[72:73], v[86:87] op_sel:[0,0,1] op_sel_hi:[1,0,0]
	v_mov_b32_e32 v89, v83
	v_pk_mul_f32 v[82:83], v[84:85], v[74:75] op_sel:[0,1]
	s_delay_alu instid0(VALU_DEP_2) | instskip(NEXT) | instid1(VALU_DEP_2)
	v_pk_add_f32 v[18:19], v[18:19], v[88:89] neg_lo:[0,1] neg_hi:[0,1]
	v_pk_fma_f32 v[86:87], v[84:85], v[72:73], v[82:83] op_sel:[0,0,1] op_sel_hi:[1,1,0] neg_lo:[0,0,1] neg_hi:[0,0,1]
	v_pk_fma_f32 v[82:83], v[84:85], v[72:73], v[82:83] op_sel:[0,0,1] op_sel_hi:[1,0,0]
	s_delay_alu instid0(VALU_DEP_1) | instskip(SKIP_4) | instid1(VALU_DEP_1)
	v_mov_b32_e32 v87, v83
	ds_load_2addr_b64 v[82:85], v76 offset0:27 offset1:28
	v_pk_add_f32 v[24:25], v[24:25], v[86:87] neg_lo:[0,1] neg_hi:[0,1]
	s_wait_dscnt 0x0
	v_pk_mul_f32 v[86:87], v[82:83], v[74:75] op_sel:[0,1]
	v_pk_fma_f32 v[88:89], v[82:83], v[72:73], v[86:87] op_sel:[0,0,1] op_sel_hi:[1,1,0] neg_lo:[0,0,1] neg_hi:[0,0,1]
	v_pk_fma_f32 v[82:83], v[82:83], v[72:73], v[86:87] op_sel:[0,0,1] op_sel_hi:[1,0,0]
	v_dual_mul_f32 v86, v85, v75 :: v_dual_mov_b32 v82, v85
	s_delay_alu instid0(VALU_DEP_2) | instskip(NEXT) | instid1(VALU_DEP_2)
	v_dual_mov_b32 v89, v83 :: v_dual_mov_b32 v83, v84
	v_pk_fma_f32 v[86:87], v[84:85], v[14:15], v[86:87] op_sel_hi:[1,1,0] neg_lo:[0,0,1] neg_hi:[0,0,1]
	v_mul_f32_e32 v84, v85, v72
	s_delay_alu instid0(VALU_DEP_3) | instskip(NEXT) | instid1(VALU_DEP_2)
	v_pk_add_f32 v[16:17], v[16:17], v[88:89] neg_lo:[0,1] neg_hi:[0,1]
	v_pk_fma_f32 v[82:83], v[82:83], v[14:15], v[84:85] op_sel_hi:[1,1,0]
	s_delay_alu instid0(VALU_DEP_1) | instskip(SKIP_4) | instid1(VALU_DEP_1)
	v_mov_b32_e32 v87, v83
	ds_load_2addr_b64 v[82:85], v76 offset0:29 offset1:30
	v_pk_add_f32 v[6:7], v[6:7], v[86:87] neg_lo:[0,1] neg_hi:[0,1]
	s_wait_dscnt 0x0
	v_pk_mul_f32 v[86:87], v[82:83], v[74:75] op_sel:[0,1]
	v_pk_fma_f32 v[88:89], v[82:83], v[72:73], v[86:87] op_sel:[0,0,1] op_sel_hi:[1,1,0] neg_lo:[0,0,1] neg_hi:[0,0,1]
	v_pk_fma_f32 v[82:83], v[82:83], v[72:73], v[86:87] op_sel:[0,0,1] op_sel_hi:[1,0,0]
	s_delay_alu instid0(VALU_DEP_1) | instskip(SKIP_1) | instid1(VALU_DEP_1)
	v_mov_b32_e32 v89, v83
	v_pk_mul_f32 v[82:83], v[84:85], v[74:75] op_sel:[0,1]
	v_pk_fma_f32 v[86:87], v[84:85], v[72:73], v[82:83] op_sel:[0,0,1] op_sel_hi:[1,1,0] neg_lo:[0,0,1] neg_hi:[0,0,1]
	v_pk_fma_f32 v[82:83], v[84:85], v[72:73], v[82:83] op_sel:[0,0,1] op_sel_hi:[1,0,0]
	s_delay_alu instid0(VALU_DEP_1)
	v_mov_b32_e32 v87, v83
	ds_load_2addr_b64 v[82:85], v76 offset0:31 offset1:32
	v_pk_add_f32 v[52:53], v[52:53], v[88:89] neg_lo:[0,1] neg_hi:[0,1]
	v_pk_add_f32 v[42:43], v[42:43], v[86:87] neg_lo:[0,1] neg_hi:[0,1]
	s_wait_dscnt 0x0
	v_pk_mul_f32 v[86:87], v[82:83], v[74:75] op_sel:[0,1]
	v_pk_mul_f32 v[74:75], v[84:85], v[74:75] op_sel:[0,1]
	s_delay_alu instid0(VALU_DEP_2) | instskip(SKIP_1) | instid1(VALU_DEP_1)
	v_pk_fma_f32 v[88:89], v[82:83], v[72:73], v[86:87] op_sel:[0,0,1] op_sel_hi:[1,1,0] neg_lo:[0,0,1] neg_hi:[0,0,1]
	v_pk_fma_f32 v[82:83], v[82:83], v[72:73], v[86:87] op_sel:[0,0,1] op_sel_hi:[1,0,0]
	v_mov_b32_e32 v89, v83
	s_delay_alu instid0(VALU_DEP_4) | instskip(SKIP_1) | instid1(VALU_DEP_1)
	v_pk_fma_f32 v[82:83], v[84:85], v[72:73], v[74:75] op_sel:[0,0,1] op_sel_hi:[1,1,0] neg_lo:[0,0,1] neg_hi:[0,0,1]
	v_pk_fma_f32 v[72:73], v[84:85], v[72:73], v[74:75] op_sel:[0,0,1] op_sel_hi:[1,0,0]
	v_mov_b32_e32 v83, v73
	s_delay_alu instid0(VALU_DEP_4) | instskip(NEXT) | instid1(VALU_DEP_2)
	v_pk_add_f32 v[32:33], v[32:33], v[88:89] neg_lo:[0,1] neg_hi:[0,1]
	v_pk_add_f32 v[70:71], v[70:71], v[82:83] neg_lo:[0,1] neg_hi:[0,1]
.LBB64_104:
	s_or_b32 exec_lo, exec_lo, s0
	v_lshl_add_u32 v72, v80, 3, v76
	s_barrier_signal -1
	s_barrier_wait -1
	ds_store_b64 v72, v[10:11]
	s_wait_dscnt 0x0
	s_barrier_signal -1
	s_barrier_wait -1
	ds_load_b64 v[74:75], v76 offset:40
	v_mov_b32_e32 v72, 5
	s_cmp_lt_i32 s18, 7
	s_cbranch_scc1 .LBB64_107
; %bb.105:
	v_add3_u32 v73, v77, 0, 48
	v_mov_b32_e32 v72, 5
	s_mov_b32 s0, 6
.LBB64_106:                             ; =>This Inner Loop Header: Depth=1
	ds_load_b64 v[82:83], v73
	s_wait_dscnt 0x1
	v_cmp_gt_f32_e32 vcc_lo, 0, v74
	v_cndmask_b32_e64 v84, v74, -v74, vcc_lo
	v_cmp_gt_f32_e32 vcc_lo, 0, v75
	v_cndmask_b32_e64 v86, v75, -v75, vcc_lo
	s_wait_dscnt 0x0
	v_cmp_gt_f32_e32 vcc_lo, 0, v82
	v_cndmask_b32_e64 v85, v82, -v82, vcc_lo
	v_cmp_gt_f32_e32 vcc_lo, 0, v83
	v_cndmask_b32_e64 v87, v83, -v83, vcc_lo
	s_delay_alu instid0(VALU_DEP_1) | instskip(NEXT) | instid1(VALU_DEP_1)
	v_pk_add_f32 v[84:85], v[84:85], v[86:87]
	v_cmp_lt_f32_e32 vcc_lo, v84, v85
	v_dual_add_nc_u32 v73, 8, v73 :: v_dual_cndmask_b32 v75, v75, v83, vcc_lo
	v_cndmask_b32_e32 v74, v74, v82, vcc_lo
	v_cndmask_b32_e64 v72, v72, s0, vcc_lo
	s_add_co_i32 s0, s0, 1
	s_delay_alu instid0(SALU_CYCLE_1)
	s_cmp_lg_u32 s18, s0
	s_cbranch_scc1 .LBB64_106
.LBB64_107:
	s_wait_dscnt 0x0
	v_cmp_eq_f32_e32 vcc_lo, 0, v74
	v_cmp_eq_f32_e64 s0, 0, v75
	s_and_b32 s0, vcc_lo, s0
	s_delay_alu instid0(SALU_CYCLE_1) | instskip(NEXT) | instid1(SALU_CYCLE_1)
	s_and_saveexec_b32 s1, s0
	s_xor_b32 s0, exec_lo, s1
; %bb.108:
	v_cmp_ne_u32_e32 vcc_lo, 0, v78
	v_cndmask_b32_e32 v78, 6, v78, vcc_lo
; %bb.109:
	s_and_not1_saveexec_b32 s0, s0
	s_cbranch_execz .LBB64_115
; %bb.110:
	v_cmp_ngt_f32_e64 s1, |v74|, |v75|
	s_and_saveexec_b32 s12, s1
	s_delay_alu instid0(SALU_CYCLE_1)
	s_xor_b32 s1, exec_lo, s12
	s_cbranch_execz .LBB64_112
; %bb.111:
	v_div_scale_f32 v73, null, v75, v75, v74
	v_div_scale_f32 v83, vcc_lo, v74, v75, v74
	s_delay_alu instid0(VALU_DEP_2) | instskip(SKIP_1) | instid1(TRANS32_DEP_1)
	v_rcp_f32_e32 v81, v73
	v_nop
	v_fma_f32 v82, -v73, v81, 1.0
	s_delay_alu instid0(VALU_DEP_1) | instskip(NEXT) | instid1(VALU_DEP_1)
	v_fmac_f32_e32 v81, v82, v81
	v_mul_f32_e32 v82, v83, v81
	s_delay_alu instid0(VALU_DEP_1) | instskip(NEXT) | instid1(VALU_DEP_1)
	v_fma_f32 v84, -v73, v82, v83
	v_fmac_f32_e32 v82, v84, v81
	s_delay_alu instid0(VALU_DEP_1) | instskip(NEXT) | instid1(VALU_DEP_1)
	v_fma_f32 v73, -v73, v82, v83
	v_div_fmas_f32 v73, v73, v81, v82
	s_delay_alu instid0(VALU_DEP_1) | instskip(NEXT) | instid1(VALU_DEP_1)
	v_div_fixup_f32 v73, v73, v75, v74
	v_fmac_f32_e32 v75, v74, v73
	s_delay_alu instid0(VALU_DEP_1) | instskip(SKIP_1) | instid1(VALU_DEP_2)
	v_div_scale_f32 v74, null, v75, v75, 1.0
	v_div_scale_f32 v83, vcc_lo, 1.0, v75, 1.0
	v_rcp_f32_e32 v81, v74
	v_nop
	s_delay_alu instid0(TRANS32_DEP_1) | instskip(NEXT) | instid1(VALU_DEP_1)
	v_fma_f32 v82, -v74, v81, 1.0
	v_fmac_f32_e32 v81, v82, v81
	s_delay_alu instid0(VALU_DEP_1) | instskip(NEXT) | instid1(VALU_DEP_1)
	v_mul_f32_e32 v82, v83, v81
	v_fma_f32 v84, -v74, v82, v83
	s_delay_alu instid0(VALU_DEP_1) | instskip(NEXT) | instid1(VALU_DEP_1)
	v_fmac_f32_e32 v82, v84, v81
	v_fma_f32 v74, -v74, v82, v83
	s_delay_alu instid0(VALU_DEP_1) | instskip(NEXT) | instid1(VALU_DEP_1)
	v_div_fmas_f32 v74, v74, v81, v82
	v_div_fixup_f32 v75, v74, v75, 1.0
	s_delay_alu instid0(VALU_DEP_1)
	v_mul_f32_e32 v74, v73, v75
	v_xor_b32_e32 v75, 0x80000000, v75
.LBB64_112:
	s_and_not1_saveexec_b32 s1, s1
	s_cbranch_execz .LBB64_114
; %bb.113:
	s_delay_alu instid0(VALU_DEP_1) | instskip(SKIP_1) | instid1(VALU_DEP_2)
	v_div_scale_f32 v73, null, v74, v74, v75
	v_div_scale_f32 v83, vcc_lo, v75, v74, v75
	v_rcp_f32_e32 v81, v73
	v_nop
	s_delay_alu instid0(TRANS32_DEP_1) | instskip(NEXT) | instid1(VALU_DEP_1)
	v_fma_f32 v82, -v73, v81, 1.0
	v_fmac_f32_e32 v81, v82, v81
	s_delay_alu instid0(VALU_DEP_1) | instskip(NEXT) | instid1(VALU_DEP_1)
	v_mul_f32_e32 v82, v83, v81
	v_fma_f32 v84, -v73, v82, v83
	s_delay_alu instid0(VALU_DEP_1) | instskip(NEXT) | instid1(VALU_DEP_1)
	v_fmac_f32_e32 v82, v84, v81
	v_fma_f32 v73, -v73, v82, v83
	s_delay_alu instid0(VALU_DEP_1) | instskip(NEXT) | instid1(VALU_DEP_1)
	v_div_fmas_f32 v73, v73, v81, v82
	v_div_fixup_f32 v73, v73, v74, v75
	s_delay_alu instid0(VALU_DEP_1) | instskip(NEXT) | instid1(VALU_DEP_1)
	v_fmac_f32_e32 v74, v75, v73
	v_div_scale_f32 v75, null, v74, v74, 1.0
	s_delay_alu instid0(VALU_DEP_1) | instskip(SKIP_1) | instid1(TRANS32_DEP_1)
	v_rcp_f32_e32 v81, v75
	v_nop
	v_fma_f32 v82, -v75, v81, 1.0
	s_delay_alu instid0(VALU_DEP_1) | instskip(SKIP_1) | instid1(VALU_DEP_1)
	v_fmac_f32_e32 v81, v82, v81
	v_div_scale_f32 v82, vcc_lo, 1.0, v74, 1.0
	v_mul_f32_e32 v83, v82, v81
	s_delay_alu instid0(VALU_DEP_1) | instskip(NEXT) | instid1(VALU_DEP_1)
	v_fma_f32 v84, -v75, v83, v82
	v_fmac_f32_e32 v83, v84, v81
	s_delay_alu instid0(VALU_DEP_1) | instskip(NEXT) | instid1(VALU_DEP_1)
	v_fma_f32 v75, -v75, v83, v82
	v_div_fmas_f32 v75, v75, v81, v83
	s_delay_alu instid0(VALU_DEP_1) | instskip(NEXT) | instid1(VALU_DEP_1)
	v_div_fixup_f32 v74, v75, v74, 1.0
	v_mul_f32_e64 v75, v73, -v74
.LBB64_114:
	s_or_b32 exec_lo, exec_lo, s1
.LBB64_115:
	s_delay_alu instid0(SALU_CYCLE_1) | instskip(NEXT) | instid1(SALU_CYCLE_1)
	s_or_b32 exec_lo, exec_lo, s0
	s_mov_b32 s0, exec_lo
	v_cmpx_ne_u32_e64 v80, v72
	s_xor_b32 s0, exec_lo, s0
	s_cbranch_execz .LBB64_121
; %bb.116:
	s_mov_b32 s1, exec_lo
	v_cmpx_eq_u32_e32 5, v80
	s_cbranch_execz .LBB64_120
; %bb.117:
	v_cmp_ne_u32_e32 vcc_lo, 5, v72
	s_xor_b32 s12, s16, -1
	s_delay_alu instid0(SALU_CYCLE_1) | instskip(NEXT) | instid1(SALU_CYCLE_1)
	s_and_b32 s13, s12, vcc_lo
	s_and_saveexec_b32 s12, s13
	s_cbranch_execz .LBB64_119
; %bb.118:
	v_ashrrev_i32_e32 v73, 31, v72
	s_delay_alu instid0(VALU_DEP_1)
	v_lshl_add_u64 v[80:81], v[72:73], 2, v[4:5]
	s_clause 0x1
	global_load_b32 v73, v[80:81], off
	global_load_b32 v79, v[4:5], off offset:20
	s_wait_loadcnt 0x1
	global_store_b32 v[4:5], v73, off offset:20
	s_wait_loadcnt 0x0
	global_store_b32 v[80:81], v79, off
.LBB64_119:
	s_wait_xcnt 0x0
	s_or_b32 exec_lo, exec_lo, s12
	v_dual_mov_b32 v80, v72 :: v_dual_mov_b32 v79, v72
.LBB64_120:
	s_or_b32 exec_lo, exec_lo, s1
.LBB64_121:
	s_and_not1_saveexec_b32 s0, s0
	s_cbranch_execz .LBB64_123
; %bb.122:
	v_dual_mov_b32 v72, v12 :: v_dual_mov_b32 v73, v13
	v_dual_mov_b32 v80, v8 :: v_dual_mov_b32 v81, v9
	ds_store_2addr_b64 v76, v[72:73], v[80:81] offset0:6 offset1:7
	v_dual_mov_b32 v72, v30 :: v_dual_mov_b32 v73, v31
	v_dual_mov_b32 v80, v22 :: v_dual_mov_b32 v81, v23
	ds_store_2addr_b64 v76, v[72:73], v[80:81] offset0:8 offset1:9
	;; [unrolled: 3-line block ×13, first 2 shown]
	ds_store_b64 v76, v[70:71] offset:256
	v_mov_b32_e32 v80, 5
.LBB64_123:
	s_or_b32 exec_lo, exec_lo, s0
	s_delay_alu instid0(SALU_CYCLE_1)
	s_mov_b32 s0, exec_lo
	s_wait_storecnt_dscnt 0x0
	s_barrier_signal -1
	s_barrier_wait -1
	v_cmpx_lt_i32_e32 5, v80
	s_cbranch_execz .LBB64_125
; %bb.124:
	v_pk_mul_f32 v[82:83], v[74:75], v[10:11] op_sel:[1,1] op_sel_hi:[0,1]
	s_delay_alu instid0(VALU_DEP_1)
	v_pk_fma_f32 v[72:73], v[74:75], v[10:11], v[82:83] op_sel_hi:[1,0,1] neg_lo:[0,0,1] neg_hi:[0,0,1]
	v_pk_fma_f32 v[74:75], v[74:75], v[10:11], v[82:83] op_sel_hi:[1,0,1]
	ds_load_2addr_b64 v[82:85], v76 offset0:6 offset1:7
	v_dual_mov_b32 v10, v72 :: v_dual_mov_b32 v11, v75
	s_wait_dscnt 0x0
	v_pk_mul_f32 v[86:87], v[82:83], v[74:75] op_sel:[0,1]
	s_delay_alu instid0(VALU_DEP_1) | instskip(SKIP_1) | instid1(VALU_DEP_1)
	v_pk_fma_f32 v[88:89], v[82:83], v[72:73], v[86:87] op_sel:[0,0,1] op_sel_hi:[1,1,0] neg_lo:[0,0,1] neg_hi:[0,0,1]
	v_pk_fma_f32 v[82:83], v[82:83], v[72:73], v[86:87] op_sel:[0,0,1] op_sel_hi:[1,0,0]
	v_mov_b32_e32 v89, v83
	v_pk_mul_f32 v[82:83], v[84:85], v[74:75] op_sel:[0,1]
	s_delay_alu instid0(VALU_DEP_1) | instskip(SKIP_1) | instid1(VALU_DEP_1)
	v_pk_fma_f32 v[86:87], v[84:85], v[72:73], v[82:83] op_sel:[0,0,1] op_sel_hi:[1,1,0] neg_lo:[0,0,1] neg_hi:[0,0,1]
	v_pk_fma_f32 v[82:83], v[84:85], v[72:73], v[82:83] op_sel:[0,0,1] op_sel_hi:[1,0,0]
	v_mov_b32_e32 v87, v83
	ds_load_2addr_b64 v[82:85], v76 offset0:8 offset1:9
	v_pk_add_f32 v[12:13], v[12:13], v[88:89] neg_lo:[0,1] neg_hi:[0,1]
	v_pk_add_f32 v[8:9], v[8:9], v[86:87] neg_lo:[0,1] neg_hi:[0,1]
	s_wait_dscnt 0x0
	v_pk_mul_f32 v[86:87], v[82:83], v[74:75] op_sel:[0,1]
	s_delay_alu instid0(VALU_DEP_1) | instskip(SKIP_2) | instid1(VALU_DEP_2)
	v_pk_fma_f32 v[88:89], v[82:83], v[72:73], v[86:87] op_sel:[0,0,1] op_sel_hi:[1,1,0] neg_lo:[0,0,1] neg_hi:[0,0,1]
	v_pk_fma_f32 v[82:83], v[82:83], v[72:73], v[86:87] op_sel:[0,0,1] op_sel_hi:[1,0,0]
	v_dual_mul_f32 v86, v85, v75 :: v_dual_mov_b32 v82, v85
	v_dual_mov_b32 v89, v83 :: v_dual_mov_b32 v83, v84
	s_delay_alu instid0(VALU_DEP_2) | instskip(SKIP_1) | instid1(VALU_DEP_3)
	v_pk_fma_f32 v[86:87], v[84:85], v[10:11], v[86:87] op_sel_hi:[1,1,0] neg_lo:[0,0,1] neg_hi:[0,0,1]
	v_mul_f32_e32 v84, v85, v72
	v_pk_add_f32 v[30:31], v[30:31], v[88:89] neg_lo:[0,1] neg_hi:[0,1]
	s_delay_alu instid0(VALU_DEP_2) | instskip(NEXT) | instid1(VALU_DEP_1)
	v_pk_fma_f32 v[82:83], v[82:83], v[10:11], v[84:85] op_sel_hi:[1,1,0]
	v_mov_b32_e32 v87, v83
	ds_load_2addr_b64 v[82:85], v76 offset0:10 offset1:11
	v_pk_add_f32 v[22:23], v[22:23], v[86:87] neg_lo:[0,1] neg_hi:[0,1]
	s_wait_dscnt 0x0
	v_pk_mul_f32 v[86:87], v[82:83], v[74:75] op_sel:[0,1]
	s_delay_alu instid0(VALU_DEP_1) | instskip(SKIP_1) | instid1(VALU_DEP_1)
	v_pk_fma_f32 v[88:89], v[82:83], v[72:73], v[86:87] op_sel:[0,0,1] op_sel_hi:[1,1,0] neg_lo:[0,0,1] neg_hi:[0,0,1]
	v_pk_fma_f32 v[82:83], v[82:83], v[72:73], v[86:87] op_sel:[0,0,1] op_sel_hi:[1,0,0]
	v_mov_b32_e32 v89, v83
	v_pk_mul_f32 v[82:83], v[84:85], v[74:75] op_sel:[0,1]
	s_delay_alu instid0(VALU_DEP_1) | instskip(SKIP_1) | instid1(VALU_DEP_1)
	v_pk_fma_f32 v[86:87], v[84:85], v[72:73], v[82:83] op_sel:[0,0,1] op_sel_hi:[1,1,0] neg_lo:[0,0,1] neg_hi:[0,0,1]
	v_pk_fma_f32 v[82:83], v[84:85], v[72:73], v[82:83] op_sel:[0,0,1] op_sel_hi:[1,0,0]
	v_mov_b32_e32 v87, v83
	ds_load_2addr_b64 v[82:85], v76 offset0:12 offset1:13
	v_pk_add_f32 v[28:29], v[28:29], v[88:89] neg_lo:[0,1] neg_hi:[0,1]
	v_pk_add_f32 v[20:21], v[20:21], v[86:87] neg_lo:[0,1] neg_hi:[0,1]
	s_wait_dscnt 0x0
	v_pk_mul_f32 v[86:87], v[82:83], v[74:75] op_sel:[0,1]
	s_delay_alu instid0(VALU_DEP_1) | instskip(SKIP_1) | instid1(VALU_DEP_1)
	v_pk_fma_f32 v[88:89], v[82:83], v[72:73], v[86:87] op_sel:[0,0,1] op_sel_hi:[1,1,0] neg_lo:[0,0,1] neg_hi:[0,0,1]
	v_pk_fma_f32 v[82:83], v[82:83], v[72:73], v[86:87] op_sel:[0,0,1] op_sel_hi:[1,0,0]
	v_mov_b32_e32 v89, v83
	v_pk_mul_f32 v[82:83], v[84:85], v[74:75] op_sel:[0,1]
	s_delay_alu instid0(VALU_DEP_1) | instskip(SKIP_1) | instid1(VALU_DEP_1)
	v_pk_fma_f32 v[86:87], v[84:85], v[72:73], v[82:83] op_sel:[0,0,1] op_sel_hi:[1,1,0] neg_lo:[0,0,1] neg_hi:[0,0,1]
	v_pk_fma_f32 v[82:83], v[84:85], v[72:73], v[82:83] op_sel:[0,0,1] op_sel_hi:[1,0,0]
	v_mov_b32_e32 v87, v83
	ds_load_2addr_b64 v[82:85], v76 offset0:14 offset1:15
	v_pk_add_f32 v[40:41], v[40:41], v[88:89] neg_lo:[0,1] neg_hi:[0,1]
	v_pk_add_f32 v[36:37], v[36:37], v[86:87] neg_lo:[0,1] neg_hi:[0,1]
	s_wait_dscnt 0x0
	v_dual_mul_f32 v86, v83, v75 :: v_dual_mul_f32 v88, v83, v72
	s_delay_alu instid0(VALU_DEP_1) | instskip(NEXT) | instid1(VALU_DEP_2)
	v_pk_fma_f32 v[86:87], v[82:83], v[10:11], v[86:87] op_sel_hi:[1,1,0] neg_lo:[0,0,1] neg_hi:[0,0,1]
	v_pk_fma_f32 v[82:83], v[82:83], v[10:11], v[88:89] op_sel:[1,0,0] op_sel_hi:[0,1,0]
	s_delay_alu instid0(VALU_DEP_1) | instskip(SKIP_1) | instid1(VALU_DEP_2)
	v_mov_b32_e32 v87, v83
	v_pk_mul_f32 v[82:83], v[84:85], v[74:75] op_sel:[0,1]
	v_pk_add_f32 v[38:39], v[38:39], v[86:87] neg_lo:[0,1] neg_hi:[0,1]
	s_delay_alu instid0(VALU_DEP_2) | instskip(SKIP_1) | instid1(VALU_DEP_1)
	v_pk_fma_f32 v[86:87], v[84:85], v[72:73], v[82:83] op_sel:[0,0,1] op_sel_hi:[1,1,0] neg_lo:[0,0,1] neg_hi:[0,0,1]
	v_pk_fma_f32 v[82:83], v[84:85], v[72:73], v[82:83] op_sel:[0,0,1] op_sel_hi:[1,0,0]
	v_mov_b32_e32 v87, v83
	ds_load_2addr_b64 v[82:85], v76 offset0:16 offset1:17
	v_pk_add_f32 v[34:35], v[34:35], v[86:87] neg_lo:[0,1] neg_hi:[0,1]
	s_wait_dscnt 0x0
	v_pk_mul_f32 v[86:87], v[82:83], v[74:75] op_sel:[0,1]
	s_delay_alu instid0(VALU_DEP_1) | instskip(SKIP_1) | instid1(VALU_DEP_1)
	v_pk_fma_f32 v[88:89], v[82:83], v[72:73], v[86:87] op_sel:[0,0,1] op_sel_hi:[1,1,0] neg_lo:[0,0,1] neg_hi:[0,0,1]
	v_pk_fma_f32 v[82:83], v[82:83], v[72:73], v[86:87] op_sel:[0,0,1] op_sel_hi:[1,0,0]
	v_mov_b32_e32 v89, v83
	v_pk_mul_f32 v[82:83], v[84:85], v[74:75] op_sel:[0,1]
	s_delay_alu instid0(VALU_DEP_2) | instskip(NEXT) | instid1(VALU_DEP_2)
	v_pk_add_f32 v[60:61], v[60:61], v[88:89] neg_lo:[0,1] neg_hi:[0,1]
	v_pk_fma_f32 v[86:87], v[84:85], v[72:73], v[82:83] op_sel:[0,0,1] op_sel_hi:[1,1,0] neg_lo:[0,0,1] neg_hi:[0,0,1]
	v_pk_fma_f32 v[82:83], v[84:85], v[72:73], v[82:83] op_sel:[0,0,1] op_sel_hi:[1,0,0]
	s_delay_alu instid0(VALU_DEP_1) | instskip(SKIP_4) | instid1(VALU_DEP_1)
	v_mov_b32_e32 v87, v83
	ds_load_2addr_b64 v[82:85], v76 offset0:18 offset1:19
	v_pk_add_f32 v[56:57], v[56:57], v[86:87] neg_lo:[0,1] neg_hi:[0,1]
	s_wait_dscnt 0x0
	v_pk_mul_f32 v[86:87], v[82:83], v[74:75] op_sel:[0,1]
	v_pk_fma_f32 v[88:89], v[82:83], v[72:73], v[86:87] op_sel:[0,0,1] op_sel_hi:[1,1,0] neg_lo:[0,0,1] neg_hi:[0,0,1]
	v_pk_fma_f32 v[82:83], v[82:83], v[72:73], v[86:87] op_sel:[0,0,1] op_sel_hi:[1,0,0]
	v_dual_mul_f32 v86, v85, v75 :: v_dual_mov_b32 v82, v85
	s_delay_alu instid0(VALU_DEP_2) | instskip(NEXT) | instid1(VALU_DEP_2)
	v_dual_mov_b32 v89, v83 :: v_dual_mov_b32 v83, v84
	v_pk_fma_f32 v[86:87], v[84:85], v[10:11], v[86:87] op_sel_hi:[1,1,0] neg_lo:[0,0,1] neg_hi:[0,0,1]
	v_mul_f32_e32 v84, v85, v72
	s_delay_alu instid0(VALU_DEP_3) | instskip(NEXT) | instid1(VALU_DEP_2)
	v_pk_add_f32 v[58:59], v[58:59], v[88:89] neg_lo:[0,1] neg_hi:[0,1]
	v_pk_fma_f32 v[82:83], v[82:83], v[10:11], v[84:85] op_sel_hi:[1,1,0]
	s_delay_alu instid0(VALU_DEP_1) | instskip(SKIP_4) | instid1(VALU_DEP_1)
	v_mov_b32_e32 v87, v83
	ds_load_2addr_b64 v[82:85], v76 offset0:20 offset1:21
	v_pk_add_f32 v[54:55], v[54:55], v[86:87] neg_lo:[0,1] neg_hi:[0,1]
	s_wait_dscnt 0x0
	v_pk_mul_f32 v[86:87], v[82:83], v[74:75] op_sel:[0,1]
	v_pk_fma_f32 v[88:89], v[82:83], v[72:73], v[86:87] op_sel:[0,0,1] op_sel_hi:[1,1,0] neg_lo:[0,0,1] neg_hi:[0,0,1]
	v_pk_fma_f32 v[82:83], v[82:83], v[72:73], v[86:87] op_sel:[0,0,1] op_sel_hi:[1,0,0]
	s_delay_alu instid0(VALU_DEP_1) | instskip(SKIP_1) | instid1(VALU_DEP_1)
	v_mov_b32_e32 v89, v83
	v_pk_mul_f32 v[82:83], v[84:85], v[74:75] op_sel:[0,1]
	v_pk_fma_f32 v[86:87], v[84:85], v[72:73], v[82:83] op_sel:[0,0,1] op_sel_hi:[1,1,0] neg_lo:[0,0,1] neg_hi:[0,0,1]
	v_pk_fma_f32 v[82:83], v[84:85], v[72:73], v[82:83] op_sel:[0,0,1] op_sel_hi:[1,0,0]
	s_delay_alu instid0(VALU_DEP_1)
	v_mov_b32_e32 v87, v83
	ds_load_2addr_b64 v[82:85], v76 offset0:22 offset1:23
	v_pk_add_f32 v[50:51], v[50:51], v[88:89] neg_lo:[0,1] neg_hi:[0,1]
	v_pk_add_f32 v[46:47], v[46:47], v[86:87] neg_lo:[0,1] neg_hi:[0,1]
	s_wait_dscnt 0x0
	v_pk_mul_f32 v[86:87], v[82:83], v[74:75] op_sel:[0,1]
	s_delay_alu instid0(VALU_DEP_1) | instskip(SKIP_1) | instid1(VALU_DEP_1)
	v_pk_fma_f32 v[88:89], v[82:83], v[72:73], v[86:87] op_sel:[0,0,1] op_sel_hi:[1,1,0] neg_lo:[0,0,1] neg_hi:[0,0,1]
	v_pk_fma_f32 v[82:83], v[82:83], v[72:73], v[86:87] op_sel:[0,0,1] op_sel_hi:[1,0,0]
	v_mov_b32_e32 v89, v83
	v_pk_mul_f32 v[82:83], v[84:85], v[74:75] op_sel:[0,1]
	s_delay_alu instid0(VALU_DEP_1) | instskip(SKIP_1) | instid1(VALU_DEP_1)
	v_pk_fma_f32 v[86:87], v[84:85], v[72:73], v[82:83] op_sel:[0,0,1] op_sel_hi:[1,1,0] neg_lo:[0,0,1] neg_hi:[0,0,1]
	v_pk_fma_f32 v[82:83], v[84:85], v[72:73], v[82:83] op_sel:[0,0,1] op_sel_hi:[1,0,0]
	v_mov_b32_e32 v87, v83
	ds_load_2addr_b64 v[82:85], v76 offset0:24 offset1:25
	v_pk_add_f32 v[48:49], v[48:49], v[88:89] neg_lo:[0,1] neg_hi:[0,1]
	v_pk_add_f32 v[44:45], v[44:45], v[86:87] neg_lo:[0,1] neg_hi:[0,1]
	s_wait_dscnt 0x0
	v_dual_mul_f32 v86, v83, v75 :: v_dual_mul_f32 v88, v83, v72
	s_delay_alu instid0(VALU_DEP_1) | instskip(NEXT) | instid1(VALU_DEP_2)
	v_pk_fma_f32 v[86:87], v[82:83], v[10:11], v[86:87] op_sel_hi:[1,1,0] neg_lo:[0,0,1] neg_hi:[0,0,1]
	v_pk_fma_f32 v[82:83], v[82:83], v[10:11], v[88:89] op_sel:[1,0,0] op_sel_hi:[0,1,0]
	s_delay_alu instid0(VALU_DEP_1) | instskip(SKIP_1) | instid1(VALU_DEP_2)
	v_mov_b32_e32 v87, v83
	v_pk_mul_f32 v[82:83], v[84:85], v[74:75] op_sel:[0,1]
	v_pk_add_f32 v[26:27], v[26:27], v[86:87] neg_lo:[0,1] neg_hi:[0,1]
	s_delay_alu instid0(VALU_DEP_2) | instskip(SKIP_1) | instid1(VALU_DEP_1)
	v_pk_fma_f32 v[86:87], v[84:85], v[72:73], v[82:83] op_sel:[0,0,1] op_sel_hi:[1,1,0] neg_lo:[0,0,1] neg_hi:[0,0,1]
	v_pk_fma_f32 v[82:83], v[84:85], v[72:73], v[82:83] op_sel:[0,0,1] op_sel_hi:[1,0,0]
	v_mov_b32_e32 v87, v83
	ds_load_2addr_b64 v[82:85], v76 offset0:26 offset1:27
	v_pk_add_f32 v[18:19], v[18:19], v[86:87] neg_lo:[0,1] neg_hi:[0,1]
	s_wait_dscnt 0x0
	v_pk_mul_f32 v[86:87], v[82:83], v[74:75] op_sel:[0,1]
	s_delay_alu instid0(VALU_DEP_1) | instskip(SKIP_1) | instid1(VALU_DEP_1)
	v_pk_fma_f32 v[88:89], v[82:83], v[72:73], v[86:87] op_sel:[0,0,1] op_sel_hi:[1,1,0] neg_lo:[0,0,1] neg_hi:[0,0,1]
	v_pk_fma_f32 v[82:83], v[82:83], v[72:73], v[86:87] op_sel:[0,0,1] op_sel_hi:[1,0,0]
	v_mov_b32_e32 v89, v83
	v_pk_mul_f32 v[82:83], v[84:85], v[74:75] op_sel:[0,1]
	s_delay_alu instid0(VALU_DEP_2) | instskip(NEXT) | instid1(VALU_DEP_2)
	v_pk_add_f32 v[24:25], v[24:25], v[88:89] neg_lo:[0,1] neg_hi:[0,1]
	v_pk_fma_f32 v[86:87], v[84:85], v[72:73], v[82:83] op_sel:[0,0,1] op_sel_hi:[1,1,0] neg_lo:[0,0,1] neg_hi:[0,0,1]
	v_pk_fma_f32 v[82:83], v[84:85], v[72:73], v[82:83] op_sel:[0,0,1] op_sel_hi:[1,0,0]
	s_delay_alu instid0(VALU_DEP_1) | instskip(SKIP_4) | instid1(VALU_DEP_1)
	v_mov_b32_e32 v87, v83
	ds_load_2addr_b64 v[82:85], v76 offset0:28 offset1:29
	v_pk_add_f32 v[16:17], v[16:17], v[86:87] neg_lo:[0,1] neg_hi:[0,1]
	s_wait_dscnt 0x0
	v_pk_mul_f32 v[86:87], v[82:83], v[74:75] op_sel:[0,1]
	v_pk_fma_f32 v[88:89], v[82:83], v[72:73], v[86:87] op_sel:[0,0,1] op_sel_hi:[1,1,0] neg_lo:[0,0,1] neg_hi:[0,0,1]
	v_pk_fma_f32 v[82:83], v[82:83], v[72:73], v[86:87] op_sel:[0,0,1] op_sel_hi:[1,0,0]
	v_dual_mul_f32 v86, v85, v75 :: v_dual_mov_b32 v82, v85
	s_delay_alu instid0(VALU_DEP_2) | instskip(NEXT) | instid1(VALU_DEP_2)
	v_dual_mov_b32 v89, v83 :: v_dual_mov_b32 v83, v84
	v_pk_fma_f32 v[86:87], v[84:85], v[10:11], v[86:87] op_sel_hi:[1,1,0] neg_lo:[0,0,1] neg_hi:[0,0,1]
	v_mul_f32_e32 v84, v85, v72
	s_delay_alu instid0(VALU_DEP_3) | instskip(NEXT) | instid1(VALU_DEP_2)
	v_pk_add_f32 v[6:7], v[6:7], v[88:89] neg_lo:[0,1] neg_hi:[0,1]
	v_pk_fma_f32 v[82:83], v[82:83], v[10:11], v[84:85] op_sel_hi:[1,1,0]
	s_delay_alu instid0(VALU_DEP_1) | instskip(SKIP_4) | instid1(VALU_DEP_1)
	v_mov_b32_e32 v87, v83
	ds_load_2addr_b64 v[82:85], v76 offset0:30 offset1:31
	v_pk_add_f32 v[52:53], v[52:53], v[86:87] neg_lo:[0,1] neg_hi:[0,1]
	s_wait_dscnt 0x0
	v_pk_mul_f32 v[86:87], v[82:83], v[74:75] op_sel:[0,1]
	v_pk_fma_f32 v[88:89], v[82:83], v[72:73], v[86:87] op_sel:[0,0,1] op_sel_hi:[1,1,0] neg_lo:[0,0,1] neg_hi:[0,0,1]
	v_pk_fma_f32 v[82:83], v[82:83], v[72:73], v[86:87] op_sel:[0,0,1] op_sel_hi:[1,0,0]
	s_delay_alu instid0(VALU_DEP_1) | instskip(SKIP_1) | instid1(VALU_DEP_1)
	v_mov_b32_e32 v89, v83
	v_pk_mul_f32 v[82:83], v[84:85], v[74:75] op_sel:[0,1]
	v_pk_fma_f32 v[86:87], v[84:85], v[72:73], v[82:83] op_sel:[0,0,1] op_sel_hi:[1,1,0] neg_lo:[0,0,1] neg_hi:[0,0,1]
	v_pk_fma_f32 v[82:83], v[84:85], v[72:73], v[82:83] op_sel:[0,0,1] op_sel_hi:[1,0,0]
	s_delay_alu instid0(VALU_DEP_1)
	v_mov_b32_e32 v87, v83
	ds_load_b64 v[82:83], v76 offset:256
	v_pk_add_f32 v[42:43], v[42:43], v[88:89] neg_lo:[0,1] neg_hi:[0,1]
	v_pk_add_f32 v[32:33], v[32:33], v[86:87] neg_lo:[0,1] neg_hi:[0,1]
	s_wait_dscnt 0x0
	v_pk_mul_f32 v[74:75], v[82:83], v[74:75] op_sel:[0,1]
	s_delay_alu instid0(VALU_DEP_1) | instskip(SKIP_1) | instid1(VALU_DEP_1)
	v_pk_fma_f32 v[84:85], v[82:83], v[72:73], v[74:75] op_sel:[0,0,1] op_sel_hi:[1,1,0] neg_lo:[0,0,1] neg_hi:[0,0,1]
	v_pk_fma_f32 v[72:73], v[82:83], v[72:73], v[74:75] op_sel:[0,0,1] op_sel_hi:[1,0,0]
	v_mov_b32_e32 v85, v73
	s_delay_alu instid0(VALU_DEP_1)
	v_pk_add_f32 v[70:71], v[70:71], v[84:85] neg_lo:[0,1] neg_hi:[0,1]
.LBB64_125:
	s_or_b32 exec_lo, exec_lo, s0
	v_lshl_add_u32 v72, v80, 3, v76
	s_barrier_signal -1
	s_barrier_wait -1
	ds_store_b64 v72, v[12:13]
	s_wait_dscnt 0x0
	s_barrier_signal -1
	s_barrier_wait -1
	ds_load_b64 v[74:75], v76 offset:48
	v_mov_b32_e32 v72, 6
	s_cmp_lt_i32 s18, 8
	s_cbranch_scc1 .LBB64_128
; %bb.126:
	v_add3_u32 v73, v77, 0, 56
	v_mov_b32_e32 v72, 6
	s_mov_b32 s0, 7
.LBB64_127:                             ; =>This Inner Loop Header: Depth=1
	ds_load_b64 v[82:83], v73
	s_wait_dscnt 0x1
	v_cmp_gt_f32_e32 vcc_lo, 0, v74
	v_cndmask_b32_e64 v84, v74, -v74, vcc_lo
	v_cmp_gt_f32_e32 vcc_lo, 0, v75
	v_cndmask_b32_e64 v86, v75, -v75, vcc_lo
	s_wait_dscnt 0x0
	v_cmp_gt_f32_e32 vcc_lo, 0, v82
	v_cndmask_b32_e64 v85, v82, -v82, vcc_lo
	v_cmp_gt_f32_e32 vcc_lo, 0, v83
	v_cndmask_b32_e64 v87, v83, -v83, vcc_lo
	s_delay_alu instid0(VALU_DEP_1) | instskip(NEXT) | instid1(VALU_DEP_1)
	v_pk_add_f32 v[84:85], v[84:85], v[86:87]
	v_cmp_lt_f32_e32 vcc_lo, v84, v85
	v_dual_add_nc_u32 v73, 8, v73 :: v_dual_cndmask_b32 v75, v75, v83, vcc_lo
	v_cndmask_b32_e32 v74, v74, v82, vcc_lo
	v_cndmask_b32_e64 v72, v72, s0, vcc_lo
	s_add_co_i32 s0, s0, 1
	s_delay_alu instid0(SALU_CYCLE_1)
	s_cmp_lg_u32 s18, s0
	s_cbranch_scc1 .LBB64_127
.LBB64_128:
	s_wait_dscnt 0x0
	v_cmp_eq_f32_e32 vcc_lo, 0, v74
	v_cmp_eq_f32_e64 s0, 0, v75
	s_and_b32 s0, vcc_lo, s0
	s_delay_alu instid0(SALU_CYCLE_1) | instskip(NEXT) | instid1(SALU_CYCLE_1)
	s_and_saveexec_b32 s1, s0
	s_xor_b32 s0, exec_lo, s1
; %bb.129:
	v_cmp_ne_u32_e32 vcc_lo, 0, v78
	v_cndmask_b32_e32 v78, 7, v78, vcc_lo
; %bb.130:
	s_and_not1_saveexec_b32 s0, s0
	s_cbranch_execz .LBB64_136
; %bb.131:
	v_cmp_ngt_f32_e64 s1, |v74|, |v75|
	s_and_saveexec_b32 s12, s1
	s_delay_alu instid0(SALU_CYCLE_1)
	s_xor_b32 s1, exec_lo, s12
	s_cbranch_execz .LBB64_133
; %bb.132:
	v_div_scale_f32 v73, null, v75, v75, v74
	v_div_scale_f32 v83, vcc_lo, v74, v75, v74
	s_delay_alu instid0(VALU_DEP_2) | instskip(SKIP_1) | instid1(TRANS32_DEP_1)
	v_rcp_f32_e32 v81, v73
	v_nop
	v_fma_f32 v82, -v73, v81, 1.0
	s_delay_alu instid0(VALU_DEP_1) | instskip(NEXT) | instid1(VALU_DEP_1)
	v_fmac_f32_e32 v81, v82, v81
	v_mul_f32_e32 v82, v83, v81
	s_delay_alu instid0(VALU_DEP_1) | instskip(NEXT) | instid1(VALU_DEP_1)
	v_fma_f32 v84, -v73, v82, v83
	v_fmac_f32_e32 v82, v84, v81
	s_delay_alu instid0(VALU_DEP_1) | instskip(NEXT) | instid1(VALU_DEP_1)
	v_fma_f32 v73, -v73, v82, v83
	v_div_fmas_f32 v73, v73, v81, v82
	s_delay_alu instid0(VALU_DEP_1) | instskip(NEXT) | instid1(VALU_DEP_1)
	v_div_fixup_f32 v73, v73, v75, v74
	v_fmac_f32_e32 v75, v74, v73
	s_delay_alu instid0(VALU_DEP_1) | instskip(SKIP_1) | instid1(VALU_DEP_2)
	v_div_scale_f32 v74, null, v75, v75, 1.0
	v_div_scale_f32 v83, vcc_lo, 1.0, v75, 1.0
	v_rcp_f32_e32 v81, v74
	v_nop
	s_delay_alu instid0(TRANS32_DEP_1) | instskip(NEXT) | instid1(VALU_DEP_1)
	v_fma_f32 v82, -v74, v81, 1.0
	v_fmac_f32_e32 v81, v82, v81
	s_delay_alu instid0(VALU_DEP_1) | instskip(NEXT) | instid1(VALU_DEP_1)
	v_mul_f32_e32 v82, v83, v81
	v_fma_f32 v84, -v74, v82, v83
	s_delay_alu instid0(VALU_DEP_1) | instskip(NEXT) | instid1(VALU_DEP_1)
	v_fmac_f32_e32 v82, v84, v81
	v_fma_f32 v74, -v74, v82, v83
	s_delay_alu instid0(VALU_DEP_1) | instskip(NEXT) | instid1(VALU_DEP_1)
	v_div_fmas_f32 v74, v74, v81, v82
	v_div_fixup_f32 v75, v74, v75, 1.0
	s_delay_alu instid0(VALU_DEP_1)
	v_mul_f32_e32 v74, v73, v75
	v_xor_b32_e32 v75, 0x80000000, v75
.LBB64_133:
	s_and_not1_saveexec_b32 s1, s1
	s_cbranch_execz .LBB64_135
; %bb.134:
	s_delay_alu instid0(VALU_DEP_1) | instskip(SKIP_1) | instid1(VALU_DEP_2)
	v_div_scale_f32 v73, null, v74, v74, v75
	v_div_scale_f32 v83, vcc_lo, v75, v74, v75
	v_rcp_f32_e32 v81, v73
	v_nop
	s_delay_alu instid0(TRANS32_DEP_1) | instskip(NEXT) | instid1(VALU_DEP_1)
	v_fma_f32 v82, -v73, v81, 1.0
	v_fmac_f32_e32 v81, v82, v81
	s_delay_alu instid0(VALU_DEP_1) | instskip(NEXT) | instid1(VALU_DEP_1)
	v_mul_f32_e32 v82, v83, v81
	v_fma_f32 v84, -v73, v82, v83
	s_delay_alu instid0(VALU_DEP_1) | instskip(NEXT) | instid1(VALU_DEP_1)
	v_fmac_f32_e32 v82, v84, v81
	v_fma_f32 v73, -v73, v82, v83
	s_delay_alu instid0(VALU_DEP_1) | instskip(NEXT) | instid1(VALU_DEP_1)
	v_div_fmas_f32 v73, v73, v81, v82
	v_div_fixup_f32 v73, v73, v74, v75
	s_delay_alu instid0(VALU_DEP_1) | instskip(NEXT) | instid1(VALU_DEP_1)
	v_fmac_f32_e32 v74, v75, v73
	v_div_scale_f32 v75, null, v74, v74, 1.0
	s_delay_alu instid0(VALU_DEP_1) | instskip(SKIP_1) | instid1(TRANS32_DEP_1)
	v_rcp_f32_e32 v81, v75
	v_nop
	v_fma_f32 v82, -v75, v81, 1.0
	s_delay_alu instid0(VALU_DEP_1) | instskip(SKIP_1) | instid1(VALU_DEP_1)
	v_fmac_f32_e32 v81, v82, v81
	v_div_scale_f32 v82, vcc_lo, 1.0, v74, 1.0
	v_mul_f32_e32 v83, v82, v81
	s_delay_alu instid0(VALU_DEP_1) | instskip(NEXT) | instid1(VALU_DEP_1)
	v_fma_f32 v84, -v75, v83, v82
	v_fmac_f32_e32 v83, v84, v81
	s_delay_alu instid0(VALU_DEP_1) | instskip(NEXT) | instid1(VALU_DEP_1)
	v_fma_f32 v75, -v75, v83, v82
	v_div_fmas_f32 v75, v75, v81, v83
	s_delay_alu instid0(VALU_DEP_1) | instskip(NEXT) | instid1(VALU_DEP_1)
	v_div_fixup_f32 v74, v75, v74, 1.0
	v_mul_f32_e64 v75, v73, -v74
.LBB64_135:
	s_or_b32 exec_lo, exec_lo, s1
.LBB64_136:
	s_delay_alu instid0(SALU_CYCLE_1) | instskip(NEXT) | instid1(SALU_CYCLE_1)
	s_or_b32 exec_lo, exec_lo, s0
	s_mov_b32 s0, exec_lo
	v_cmpx_ne_u32_e64 v80, v72
	s_xor_b32 s0, exec_lo, s0
	s_cbranch_execz .LBB64_142
; %bb.137:
	s_mov_b32 s1, exec_lo
	v_cmpx_eq_u32_e32 6, v80
	s_cbranch_execz .LBB64_141
; %bb.138:
	v_cmp_ne_u32_e32 vcc_lo, 6, v72
	s_xor_b32 s12, s16, -1
	s_delay_alu instid0(SALU_CYCLE_1) | instskip(NEXT) | instid1(SALU_CYCLE_1)
	s_and_b32 s13, s12, vcc_lo
	s_and_saveexec_b32 s12, s13
	s_cbranch_execz .LBB64_140
; %bb.139:
	v_ashrrev_i32_e32 v73, 31, v72
	s_delay_alu instid0(VALU_DEP_1)
	v_lshl_add_u64 v[80:81], v[72:73], 2, v[4:5]
	s_clause 0x1
	global_load_b32 v73, v[80:81], off
	global_load_b32 v79, v[4:5], off offset:24
	s_wait_loadcnt 0x1
	global_store_b32 v[4:5], v73, off offset:24
	s_wait_loadcnt 0x0
	global_store_b32 v[80:81], v79, off
.LBB64_140:
	s_wait_xcnt 0x0
	s_or_b32 exec_lo, exec_lo, s12
	v_dual_mov_b32 v80, v72 :: v_dual_mov_b32 v79, v72
.LBB64_141:
	s_or_b32 exec_lo, exec_lo, s1
.LBB64_142:
	s_and_not1_saveexec_b32 s0, s0
	s_cbranch_execz .LBB64_144
; %bb.143:
	v_mov_b32_e32 v80, 6
	ds_store_2addr_b64 v76, v[8:9], v[30:31] offset0:7 offset1:8
	ds_store_2addr_b64 v76, v[22:23], v[28:29] offset0:9 offset1:10
	;; [unrolled: 1-line block ×13, first 2 shown]
.LBB64_144:
	s_or_b32 exec_lo, exec_lo, s0
	s_delay_alu instid0(SALU_CYCLE_1)
	s_mov_b32 s0, exec_lo
	s_wait_storecnt_dscnt 0x0
	s_barrier_signal -1
	s_barrier_wait -1
	v_cmpx_lt_i32_e32 6, v80
	s_cbranch_execz .LBB64_146
; %bb.145:
	v_pk_mul_f32 v[82:83], v[74:75], v[12:13] op_sel:[1,1] op_sel_hi:[0,1]
	s_delay_alu instid0(VALU_DEP_1)
	v_pk_fma_f32 v[72:73], v[74:75], v[12:13], v[82:83] op_sel_hi:[1,0,1] neg_lo:[0,0,1] neg_hi:[0,0,1]
	v_pk_fma_f32 v[74:75], v[74:75], v[12:13], v[82:83] op_sel_hi:[1,0,1]
	ds_load_2addr_b64 v[82:85], v76 offset0:7 offset1:8
	v_dual_mov_b32 v12, v72 :: v_dual_mov_b32 v13, v75
	s_wait_dscnt 0x0
	v_pk_mul_f32 v[86:87], v[82:83], v[74:75] op_sel:[0,1]
	s_delay_alu instid0(VALU_DEP_1) | instskip(SKIP_1) | instid1(VALU_DEP_1)
	v_pk_fma_f32 v[88:89], v[82:83], v[72:73], v[86:87] op_sel:[0,0,1] op_sel_hi:[1,1,0] neg_lo:[0,0,1] neg_hi:[0,0,1]
	v_pk_fma_f32 v[82:83], v[82:83], v[72:73], v[86:87] op_sel:[0,0,1] op_sel_hi:[1,0,0]
	v_mov_b32_e32 v89, v83
	v_pk_mul_f32 v[82:83], v[84:85], v[74:75] op_sel:[0,1]
	s_delay_alu instid0(VALU_DEP_1) | instskip(SKIP_1) | instid1(VALU_DEP_1)
	v_pk_fma_f32 v[86:87], v[84:85], v[72:73], v[82:83] op_sel:[0,0,1] op_sel_hi:[1,1,0] neg_lo:[0,0,1] neg_hi:[0,0,1]
	v_pk_fma_f32 v[82:83], v[84:85], v[72:73], v[82:83] op_sel:[0,0,1] op_sel_hi:[1,0,0]
	v_mov_b32_e32 v87, v83
	ds_load_2addr_b64 v[82:85], v76 offset0:9 offset1:10
	v_pk_add_f32 v[8:9], v[8:9], v[88:89] neg_lo:[0,1] neg_hi:[0,1]
	v_pk_add_f32 v[30:31], v[30:31], v[86:87] neg_lo:[0,1] neg_hi:[0,1]
	s_wait_dscnt 0x0
	v_pk_mul_f32 v[86:87], v[82:83], v[74:75] op_sel:[0,1]
	s_delay_alu instid0(VALU_DEP_1) | instskip(SKIP_2) | instid1(VALU_DEP_2)
	v_pk_fma_f32 v[88:89], v[82:83], v[72:73], v[86:87] op_sel:[0,0,1] op_sel_hi:[1,1,0] neg_lo:[0,0,1] neg_hi:[0,0,1]
	v_pk_fma_f32 v[82:83], v[82:83], v[72:73], v[86:87] op_sel:[0,0,1] op_sel_hi:[1,0,0]
	v_dual_mul_f32 v86, v85, v75 :: v_dual_mov_b32 v82, v85
	v_dual_mov_b32 v89, v83 :: v_dual_mov_b32 v83, v84
	s_delay_alu instid0(VALU_DEP_2) | instskip(SKIP_1) | instid1(VALU_DEP_3)
	v_pk_fma_f32 v[86:87], v[84:85], v[12:13], v[86:87] op_sel_hi:[1,1,0] neg_lo:[0,0,1] neg_hi:[0,0,1]
	v_mul_f32_e32 v84, v85, v72
	v_pk_add_f32 v[22:23], v[22:23], v[88:89] neg_lo:[0,1] neg_hi:[0,1]
	s_delay_alu instid0(VALU_DEP_2) | instskip(NEXT) | instid1(VALU_DEP_1)
	v_pk_fma_f32 v[82:83], v[82:83], v[12:13], v[84:85] op_sel_hi:[1,1,0]
	v_mov_b32_e32 v87, v83
	ds_load_2addr_b64 v[82:85], v76 offset0:11 offset1:12
	v_pk_add_f32 v[28:29], v[28:29], v[86:87] neg_lo:[0,1] neg_hi:[0,1]
	s_wait_dscnt 0x0
	v_pk_mul_f32 v[86:87], v[82:83], v[74:75] op_sel:[0,1]
	s_delay_alu instid0(VALU_DEP_1) | instskip(SKIP_1) | instid1(VALU_DEP_1)
	v_pk_fma_f32 v[88:89], v[82:83], v[72:73], v[86:87] op_sel:[0,0,1] op_sel_hi:[1,1,0] neg_lo:[0,0,1] neg_hi:[0,0,1]
	v_pk_fma_f32 v[82:83], v[82:83], v[72:73], v[86:87] op_sel:[0,0,1] op_sel_hi:[1,0,0]
	v_mov_b32_e32 v89, v83
	v_pk_mul_f32 v[82:83], v[84:85], v[74:75] op_sel:[0,1]
	s_delay_alu instid0(VALU_DEP_1) | instskip(SKIP_1) | instid1(VALU_DEP_1)
	v_pk_fma_f32 v[86:87], v[84:85], v[72:73], v[82:83] op_sel:[0,0,1] op_sel_hi:[1,1,0] neg_lo:[0,0,1] neg_hi:[0,0,1]
	v_pk_fma_f32 v[82:83], v[84:85], v[72:73], v[82:83] op_sel:[0,0,1] op_sel_hi:[1,0,0]
	v_mov_b32_e32 v87, v83
	ds_load_2addr_b64 v[82:85], v76 offset0:13 offset1:14
	v_pk_add_f32 v[20:21], v[20:21], v[88:89] neg_lo:[0,1] neg_hi:[0,1]
	v_pk_add_f32 v[40:41], v[40:41], v[86:87] neg_lo:[0,1] neg_hi:[0,1]
	s_wait_dscnt 0x0
	v_pk_mul_f32 v[86:87], v[82:83], v[74:75] op_sel:[0,1]
	s_delay_alu instid0(VALU_DEP_1) | instskip(SKIP_1) | instid1(VALU_DEP_1)
	v_pk_fma_f32 v[88:89], v[82:83], v[72:73], v[86:87] op_sel:[0,0,1] op_sel_hi:[1,1,0] neg_lo:[0,0,1] neg_hi:[0,0,1]
	v_pk_fma_f32 v[82:83], v[82:83], v[72:73], v[86:87] op_sel:[0,0,1] op_sel_hi:[1,0,0]
	v_mov_b32_e32 v89, v83
	v_pk_mul_f32 v[82:83], v[84:85], v[74:75] op_sel:[0,1]
	s_delay_alu instid0(VALU_DEP_1) | instskip(SKIP_1) | instid1(VALU_DEP_1)
	v_pk_fma_f32 v[86:87], v[84:85], v[72:73], v[82:83] op_sel:[0,0,1] op_sel_hi:[1,1,0] neg_lo:[0,0,1] neg_hi:[0,0,1]
	v_pk_fma_f32 v[82:83], v[84:85], v[72:73], v[82:83] op_sel:[0,0,1] op_sel_hi:[1,0,0]
	v_mov_b32_e32 v87, v83
	ds_load_2addr_b64 v[82:85], v76 offset0:15 offset1:16
	v_pk_add_f32 v[36:37], v[36:37], v[88:89] neg_lo:[0,1] neg_hi:[0,1]
	v_pk_add_f32 v[38:39], v[38:39], v[86:87] neg_lo:[0,1] neg_hi:[0,1]
	s_wait_dscnt 0x0
	v_dual_mul_f32 v86, v83, v75 :: v_dual_mul_f32 v88, v83, v72
	s_delay_alu instid0(VALU_DEP_1) | instskip(NEXT) | instid1(VALU_DEP_2)
	v_pk_fma_f32 v[86:87], v[82:83], v[12:13], v[86:87] op_sel_hi:[1,1,0] neg_lo:[0,0,1] neg_hi:[0,0,1]
	v_pk_fma_f32 v[82:83], v[82:83], v[12:13], v[88:89] op_sel:[1,0,0] op_sel_hi:[0,1,0]
	s_delay_alu instid0(VALU_DEP_1) | instskip(SKIP_1) | instid1(VALU_DEP_2)
	v_mov_b32_e32 v87, v83
	v_pk_mul_f32 v[82:83], v[84:85], v[74:75] op_sel:[0,1]
	v_pk_add_f32 v[34:35], v[34:35], v[86:87] neg_lo:[0,1] neg_hi:[0,1]
	s_delay_alu instid0(VALU_DEP_2) | instskip(SKIP_1) | instid1(VALU_DEP_1)
	v_pk_fma_f32 v[86:87], v[84:85], v[72:73], v[82:83] op_sel:[0,0,1] op_sel_hi:[1,1,0] neg_lo:[0,0,1] neg_hi:[0,0,1]
	v_pk_fma_f32 v[82:83], v[84:85], v[72:73], v[82:83] op_sel:[0,0,1] op_sel_hi:[1,0,0]
	v_mov_b32_e32 v87, v83
	ds_load_2addr_b64 v[82:85], v76 offset0:17 offset1:18
	v_pk_add_f32 v[60:61], v[60:61], v[86:87] neg_lo:[0,1] neg_hi:[0,1]
	s_wait_dscnt 0x0
	v_pk_mul_f32 v[86:87], v[82:83], v[74:75] op_sel:[0,1]
	s_delay_alu instid0(VALU_DEP_1) | instskip(SKIP_1) | instid1(VALU_DEP_1)
	v_pk_fma_f32 v[88:89], v[82:83], v[72:73], v[86:87] op_sel:[0,0,1] op_sel_hi:[1,1,0] neg_lo:[0,0,1] neg_hi:[0,0,1]
	v_pk_fma_f32 v[82:83], v[82:83], v[72:73], v[86:87] op_sel:[0,0,1] op_sel_hi:[1,0,0]
	v_mov_b32_e32 v89, v83
	v_pk_mul_f32 v[82:83], v[84:85], v[74:75] op_sel:[0,1]
	s_delay_alu instid0(VALU_DEP_2) | instskip(NEXT) | instid1(VALU_DEP_2)
	v_pk_add_f32 v[56:57], v[56:57], v[88:89] neg_lo:[0,1] neg_hi:[0,1]
	v_pk_fma_f32 v[86:87], v[84:85], v[72:73], v[82:83] op_sel:[0,0,1] op_sel_hi:[1,1,0] neg_lo:[0,0,1] neg_hi:[0,0,1]
	v_pk_fma_f32 v[82:83], v[84:85], v[72:73], v[82:83] op_sel:[0,0,1] op_sel_hi:[1,0,0]
	s_delay_alu instid0(VALU_DEP_1) | instskip(SKIP_4) | instid1(VALU_DEP_1)
	v_mov_b32_e32 v87, v83
	ds_load_2addr_b64 v[82:85], v76 offset0:19 offset1:20
	v_pk_add_f32 v[58:59], v[58:59], v[86:87] neg_lo:[0,1] neg_hi:[0,1]
	s_wait_dscnt 0x0
	v_pk_mul_f32 v[86:87], v[82:83], v[74:75] op_sel:[0,1]
	v_pk_fma_f32 v[88:89], v[82:83], v[72:73], v[86:87] op_sel:[0,0,1] op_sel_hi:[1,1,0] neg_lo:[0,0,1] neg_hi:[0,0,1]
	v_pk_fma_f32 v[82:83], v[82:83], v[72:73], v[86:87] op_sel:[0,0,1] op_sel_hi:[1,0,0]
	v_dual_mul_f32 v86, v85, v75 :: v_dual_mov_b32 v82, v85
	s_delay_alu instid0(VALU_DEP_2) | instskip(NEXT) | instid1(VALU_DEP_2)
	v_dual_mov_b32 v89, v83 :: v_dual_mov_b32 v83, v84
	v_pk_fma_f32 v[86:87], v[84:85], v[12:13], v[86:87] op_sel_hi:[1,1,0] neg_lo:[0,0,1] neg_hi:[0,0,1]
	v_mul_f32_e32 v84, v85, v72
	s_delay_alu instid0(VALU_DEP_3) | instskip(NEXT) | instid1(VALU_DEP_2)
	v_pk_add_f32 v[54:55], v[54:55], v[88:89] neg_lo:[0,1] neg_hi:[0,1]
	v_pk_fma_f32 v[82:83], v[82:83], v[12:13], v[84:85] op_sel_hi:[1,1,0]
	s_delay_alu instid0(VALU_DEP_1) | instskip(SKIP_4) | instid1(VALU_DEP_1)
	v_mov_b32_e32 v87, v83
	ds_load_2addr_b64 v[82:85], v76 offset0:21 offset1:22
	v_pk_add_f32 v[50:51], v[50:51], v[86:87] neg_lo:[0,1] neg_hi:[0,1]
	s_wait_dscnt 0x0
	v_pk_mul_f32 v[86:87], v[82:83], v[74:75] op_sel:[0,1]
	v_pk_fma_f32 v[88:89], v[82:83], v[72:73], v[86:87] op_sel:[0,0,1] op_sel_hi:[1,1,0] neg_lo:[0,0,1] neg_hi:[0,0,1]
	v_pk_fma_f32 v[82:83], v[82:83], v[72:73], v[86:87] op_sel:[0,0,1] op_sel_hi:[1,0,0]
	s_delay_alu instid0(VALU_DEP_1) | instskip(SKIP_1) | instid1(VALU_DEP_1)
	v_mov_b32_e32 v89, v83
	v_pk_mul_f32 v[82:83], v[84:85], v[74:75] op_sel:[0,1]
	v_pk_fma_f32 v[86:87], v[84:85], v[72:73], v[82:83] op_sel:[0,0,1] op_sel_hi:[1,1,0] neg_lo:[0,0,1] neg_hi:[0,0,1]
	v_pk_fma_f32 v[82:83], v[84:85], v[72:73], v[82:83] op_sel:[0,0,1] op_sel_hi:[1,0,0]
	s_delay_alu instid0(VALU_DEP_1)
	v_mov_b32_e32 v87, v83
	ds_load_2addr_b64 v[82:85], v76 offset0:23 offset1:24
	v_pk_add_f32 v[46:47], v[46:47], v[88:89] neg_lo:[0,1] neg_hi:[0,1]
	v_pk_add_f32 v[48:49], v[48:49], v[86:87] neg_lo:[0,1] neg_hi:[0,1]
	s_wait_dscnt 0x0
	v_pk_mul_f32 v[86:87], v[82:83], v[74:75] op_sel:[0,1]
	s_delay_alu instid0(VALU_DEP_1) | instskip(SKIP_1) | instid1(VALU_DEP_1)
	v_pk_fma_f32 v[88:89], v[82:83], v[72:73], v[86:87] op_sel:[0,0,1] op_sel_hi:[1,1,0] neg_lo:[0,0,1] neg_hi:[0,0,1]
	v_pk_fma_f32 v[82:83], v[82:83], v[72:73], v[86:87] op_sel:[0,0,1] op_sel_hi:[1,0,0]
	v_mov_b32_e32 v89, v83
	v_pk_mul_f32 v[82:83], v[84:85], v[74:75] op_sel:[0,1]
	s_delay_alu instid0(VALU_DEP_1) | instskip(SKIP_1) | instid1(VALU_DEP_1)
	v_pk_fma_f32 v[86:87], v[84:85], v[72:73], v[82:83] op_sel:[0,0,1] op_sel_hi:[1,1,0] neg_lo:[0,0,1] neg_hi:[0,0,1]
	v_pk_fma_f32 v[82:83], v[84:85], v[72:73], v[82:83] op_sel:[0,0,1] op_sel_hi:[1,0,0]
	v_mov_b32_e32 v87, v83
	ds_load_2addr_b64 v[82:85], v76 offset0:25 offset1:26
	v_pk_add_f32 v[44:45], v[44:45], v[88:89] neg_lo:[0,1] neg_hi:[0,1]
	v_pk_add_f32 v[26:27], v[26:27], v[86:87] neg_lo:[0,1] neg_hi:[0,1]
	s_wait_dscnt 0x0
	v_dual_mul_f32 v86, v83, v75 :: v_dual_mul_f32 v88, v83, v72
	s_delay_alu instid0(VALU_DEP_1) | instskip(NEXT) | instid1(VALU_DEP_2)
	v_pk_fma_f32 v[86:87], v[82:83], v[12:13], v[86:87] op_sel_hi:[1,1,0] neg_lo:[0,0,1] neg_hi:[0,0,1]
	v_pk_fma_f32 v[82:83], v[82:83], v[12:13], v[88:89] op_sel:[1,0,0] op_sel_hi:[0,1,0]
	s_delay_alu instid0(VALU_DEP_1) | instskip(SKIP_1) | instid1(VALU_DEP_2)
	v_mov_b32_e32 v87, v83
	v_pk_mul_f32 v[82:83], v[84:85], v[74:75] op_sel:[0,1]
	v_pk_add_f32 v[18:19], v[18:19], v[86:87] neg_lo:[0,1] neg_hi:[0,1]
	s_delay_alu instid0(VALU_DEP_2) | instskip(SKIP_1) | instid1(VALU_DEP_1)
	v_pk_fma_f32 v[86:87], v[84:85], v[72:73], v[82:83] op_sel:[0,0,1] op_sel_hi:[1,1,0] neg_lo:[0,0,1] neg_hi:[0,0,1]
	v_pk_fma_f32 v[82:83], v[84:85], v[72:73], v[82:83] op_sel:[0,0,1] op_sel_hi:[1,0,0]
	v_mov_b32_e32 v87, v83
	ds_load_2addr_b64 v[82:85], v76 offset0:27 offset1:28
	v_pk_add_f32 v[24:25], v[24:25], v[86:87] neg_lo:[0,1] neg_hi:[0,1]
	s_wait_dscnt 0x0
	v_pk_mul_f32 v[86:87], v[82:83], v[74:75] op_sel:[0,1]
	s_delay_alu instid0(VALU_DEP_1) | instskip(SKIP_1) | instid1(VALU_DEP_1)
	v_pk_fma_f32 v[88:89], v[82:83], v[72:73], v[86:87] op_sel:[0,0,1] op_sel_hi:[1,1,0] neg_lo:[0,0,1] neg_hi:[0,0,1]
	v_pk_fma_f32 v[82:83], v[82:83], v[72:73], v[86:87] op_sel:[0,0,1] op_sel_hi:[1,0,0]
	v_mov_b32_e32 v89, v83
	v_pk_mul_f32 v[82:83], v[84:85], v[74:75] op_sel:[0,1]
	s_delay_alu instid0(VALU_DEP_2) | instskip(NEXT) | instid1(VALU_DEP_2)
	v_pk_add_f32 v[16:17], v[16:17], v[88:89] neg_lo:[0,1] neg_hi:[0,1]
	v_pk_fma_f32 v[86:87], v[84:85], v[72:73], v[82:83] op_sel:[0,0,1] op_sel_hi:[1,1,0] neg_lo:[0,0,1] neg_hi:[0,0,1]
	v_pk_fma_f32 v[82:83], v[84:85], v[72:73], v[82:83] op_sel:[0,0,1] op_sel_hi:[1,0,0]
	s_delay_alu instid0(VALU_DEP_1) | instskip(SKIP_4) | instid1(VALU_DEP_1)
	v_mov_b32_e32 v87, v83
	ds_load_2addr_b64 v[82:85], v76 offset0:29 offset1:30
	v_pk_add_f32 v[6:7], v[6:7], v[86:87] neg_lo:[0,1] neg_hi:[0,1]
	s_wait_dscnt 0x0
	v_pk_mul_f32 v[86:87], v[82:83], v[74:75] op_sel:[0,1]
	v_pk_fma_f32 v[88:89], v[82:83], v[72:73], v[86:87] op_sel:[0,0,1] op_sel_hi:[1,1,0] neg_lo:[0,0,1] neg_hi:[0,0,1]
	v_pk_fma_f32 v[82:83], v[82:83], v[72:73], v[86:87] op_sel:[0,0,1] op_sel_hi:[1,0,0]
	v_dual_mul_f32 v86, v85, v75 :: v_dual_mov_b32 v82, v85
	s_delay_alu instid0(VALU_DEP_2) | instskip(NEXT) | instid1(VALU_DEP_2)
	v_dual_mov_b32 v89, v83 :: v_dual_mov_b32 v83, v84
	v_pk_fma_f32 v[86:87], v[84:85], v[12:13], v[86:87] op_sel_hi:[1,1,0] neg_lo:[0,0,1] neg_hi:[0,0,1]
	v_mul_f32_e32 v84, v85, v72
	s_delay_alu instid0(VALU_DEP_3) | instskip(NEXT) | instid1(VALU_DEP_2)
	v_pk_add_f32 v[52:53], v[52:53], v[88:89] neg_lo:[0,1] neg_hi:[0,1]
	v_pk_fma_f32 v[82:83], v[82:83], v[12:13], v[84:85] op_sel_hi:[1,1,0]
	s_delay_alu instid0(VALU_DEP_1)
	v_mov_b32_e32 v87, v83
	ds_load_2addr_b64 v[82:85], v76 offset0:31 offset1:32
	v_pk_add_f32 v[42:43], v[42:43], v[86:87] neg_lo:[0,1] neg_hi:[0,1]
	s_wait_dscnt 0x0
	v_pk_mul_f32 v[86:87], v[82:83], v[74:75] op_sel:[0,1]
	v_pk_mul_f32 v[74:75], v[84:85], v[74:75] op_sel:[0,1]
	s_delay_alu instid0(VALU_DEP_2) | instskip(SKIP_1) | instid1(VALU_DEP_1)
	v_pk_fma_f32 v[88:89], v[82:83], v[72:73], v[86:87] op_sel:[0,0,1] op_sel_hi:[1,1,0] neg_lo:[0,0,1] neg_hi:[0,0,1]
	v_pk_fma_f32 v[82:83], v[82:83], v[72:73], v[86:87] op_sel:[0,0,1] op_sel_hi:[1,0,0]
	v_mov_b32_e32 v89, v83
	s_delay_alu instid0(VALU_DEP_4) | instskip(SKIP_1) | instid1(VALU_DEP_1)
	v_pk_fma_f32 v[82:83], v[84:85], v[72:73], v[74:75] op_sel:[0,0,1] op_sel_hi:[1,1,0] neg_lo:[0,0,1] neg_hi:[0,0,1]
	v_pk_fma_f32 v[72:73], v[84:85], v[72:73], v[74:75] op_sel:[0,0,1] op_sel_hi:[1,0,0]
	v_mov_b32_e32 v83, v73
	s_delay_alu instid0(VALU_DEP_4) | instskip(NEXT) | instid1(VALU_DEP_2)
	v_pk_add_f32 v[32:33], v[32:33], v[88:89] neg_lo:[0,1] neg_hi:[0,1]
	v_pk_add_f32 v[70:71], v[70:71], v[82:83] neg_lo:[0,1] neg_hi:[0,1]
.LBB64_146:
	s_or_b32 exec_lo, exec_lo, s0
	v_lshl_add_u32 v72, v80, 3, v76
	s_barrier_signal -1
	s_barrier_wait -1
	ds_store_b64 v72, v[8:9]
	s_wait_dscnt 0x0
	s_barrier_signal -1
	s_barrier_wait -1
	ds_load_b64 v[74:75], v76 offset:56
	v_mov_b32_e32 v72, 7
	s_cmp_lt_i32 s18, 9
	s_cbranch_scc1 .LBB64_149
; %bb.147:
	v_add3_u32 v73, v77, 0, 64
	v_mov_b32_e32 v72, 7
	s_mov_b32 s0, 8
.LBB64_148:                             ; =>This Inner Loop Header: Depth=1
	ds_load_b64 v[82:83], v73
	s_wait_dscnt 0x1
	v_cmp_gt_f32_e32 vcc_lo, 0, v74
	v_cndmask_b32_e64 v84, v74, -v74, vcc_lo
	v_cmp_gt_f32_e32 vcc_lo, 0, v75
	v_cndmask_b32_e64 v86, v75, -v75, vcc_lo
	s_wait_dscnt 0x0
	v_cmp_gt_f32_e32 vcc_lo, 0, v82
	v_cndmask_b32_e64 v85, v82, -v82, vcc_lo
	v_cmp_gt_f32_e32 vcc_lo, 0, v83
	v_cndmask_b32_e64 v87, v83, -v83, vcc_lo
	s_delay_alu instid0(VALU_DEP_1) | instskip(NEXT) | instid1(VALU_DEP_1)
	v_pk_add_f32 v[84:85], v[84:85], v[86:87]
	v_cmp_lt_f32_e32 vcc_lo, v84, v85
	v_dual_add_nc_u32 v73, 8, v73 :: v_dual_cndmask_b32 v75, v75, v83, vcc_lo
	v_cndmask_b32_e32 v74, v74, v82, vcc_lo
	v_cndmask_b32_e64 v72, v72, s0, vcc_lo
	s_add_co_i32 s0, s0, 1
	s_delay_alu instid0(SALU_CYCLE_1)
	s_cmp_lg_u32 s18, s0
	s_cbranch_scc1 .LBB64_148
.LBB64_149:
	s_wait_dscnt 0x0
	v_cmp_eq_f32_e32 vcc_lo, 0, v74
	v_cmp_eq_f32_e64 s0, 0, v75
	s_and_b32 s0, vcc_lo, s0
	s_delay_alu instid0(SALU_CYCLE_1) | instskip(NEXT) | instid1(SALU_CYCLE_1)
	s_and_saveexec_b32 s1, s0
	s_xor_b32 s0, exec_lo, s1
; %bb.150:
	v_cmp_ne_u32_e32 vcc_lo, 0, v78
	v_cndmask_b32_e32 v78, 8, v78, vcc_lo
; %bb.151:
	s_and_not1_saveexec_b32 s0, s0
	s_cbranch_execz .LBB64_157
; %bb.152:
	v_cmp_ngt_f32_e64 s1, |v74|, |v75|
	s_and_saveexec_b32 s12, s1
	s_delay_alu instid0(SALU_CYCLE_1)
	s_xor_b32 s1, exec_lo, s12
	s_cbranch_execz .LBB64_154
; %bb.153:
	v_div_scale_f32 v73, null, v75, v75, v74
	v_div_scale_f32 v83, vcc_lo, v74, v75, v74
	s_delay_alu instid0(VALU_DEP_2) | instskip(SKIP_1) | instid1(TRANS32_DEP_1)
	v_rcp_f32_e32 v81, v73
	v_nop
	v_fma_f32 v82, -v73, v81, 1.0
	s_delay_alu instid0(VALU_DEP_1) | instskip(NEXT) | instid1(VALU_DEP_1)
	v_fmac_f32_e32 v81, v82, v81
	v_mul_f32_e32 v82, v83, v81
	s_delay_alu instid0(VALU_DEP_1) | instskip(NEXT) | instid1(VALU_DEP_1)
	v_fma_f32 v84, -v73, v82, v83
	v_fmac_f32_e32 v82, v84, v81
	s_delay_alu instid0(VALU_DEP_1) | instskip(NEXT) | instid1(VALU_DEP_1)
	v_fma_f32 v73, -v73, v82, v83
	v_div_fmas_f32 v73, v73, v81, v82
	s_delay_alu instid0(VALU_DEP_1) | instskip(NEXT) | instid1(VALU_DEP_1)
	v_div_fixup_f32 v73, v73, v75, v74
	v_fmac_f32_e32 v75, v74, v73
	s_delay_alu instid0(VALU_DEP_1) | instskip(SKIP_1) | instid1(VALU_DEP_2)
	v_div_scale_f32 v74, null, v75, v75, 1.0
	v_div_scale_f32 v83, vcc_lo, 1.0, v75, 1.0
	v_rcp_f32_e32 v81, v74
	v_nop
	s_delay_alu instid0(TRANS32_DEP_1) | instskip(NEXT) | instid1(VALU_DEP_1)
	v_fma_f32 v82, -v74, v81, 1.0
	v_fmac_f32_e32 v81, v82, v81
	s_delay_alu instid0(VALU_DEP_1) | instskip(NEXT) | instid1(VALU_DEP_1)
	v_mul_f32_e32 v82, v83, v81
	v_fma_f32 v84, -v74, v82, v83
	s_delay_alu instid0(VALU_DEP_1) | instskip(NEXT) | instid1(VALU_DEP_1)
	v_fmac_f32_e32 v82, v84, v81
	v_fma_f32 v74, -v74, v82, v83
	s_delay_alu instid0(VALU_DEP_1) | instskip(NEXT) | instid1(VALU_DEP_1)
	v_div_fmas_f32 v74, v74, v81, v82
	v_div_fixup_f32 v75, v74, v75, 1.0
	s_delay_alu instid0(VALU_DEP_1)
	v_mul_f32_e32 v74, v73, v75
	v_xor_b32_e32 v75, 0x80000000, v75
.LBB64_154:
	s_and_not1_saveexec_b32 s1, s1
	s_cbranch_execz .LBB64_156
; %bb.155:
	s_delay_alu instid0(VALU_DEP_1) | instskip(SKIP_1) | instid1(VALU_DEP_2)
	v_div_scale_f32 v73, null, v74, v74, v75
	v_div_scale_f32 v83, vcc_lo, v75, v74, v75
	v_rcp_f32_e32 v81, v73
	v_nop
	s_delay_alu instid0(TRANS32_DEP_1) | instskip(NEXT) | instid1(VALU_DEP_1)
	v_fma_f32 v82, -v73, v81, 1.0
	v_fmac_f32_e32 v81, v82, v81
	s_delay_alu instid0(VALU_DEP_1) | instskip(NEXT) | instid1(VALU_DEP_1)
	v_mul_f32_e32 v82, v83, v81
	v_fma_f32 v84, -v73, v82, v83
	s_delay_alu instid0(VALU_DEP_1) | instskip(NEXT) | instid1(VALU_DEP_1)
	v_fmac_f32_e32 v82, v84, v81
	v_fma_f32 v73, -v73, v82, v83
	s_delay_alu instid0(VALU_DEP_1) | instskip(NEXT) | instid1(VALU_DEP_1)
	v_div_fmas_f32 v73, v73, v81, v82
	v_div_fixup_f32 v73, v73, v74, v75
	s_delay_alu instid0(VALU_DEP_1) | instskip(NEXT) | instid1(VALU_DEP_1)
	v_fmac_f32_e32 v74, v75, v73
	v_div_scale_f32 v75, null, v74, v74, 1.0
	s_delay_alu instid0(VALU_DEP_1) | instskip(SKIP_1) | instid1(TRANS32_DEP_1)
	v_rcp_f32_e32 v81, v75
	v_nop
	v_fma_f32 v82, -v75, v81, 1.0
	s_delay_alu instid0(VALU_DEP_1) | instskip(SKIP_1) | instid1(VALU_DEP_1)
	v_fmac_f32_e32 v81, v82, v81
	v_div_scale_f32 v82, vcc_lo, 1.0, v74, 1.0
	v_mul_f32_e32 v83, v82, v81
	s_delay_alu instid0(VALU_DEP_1) | instskip(NEXT) | instid1(VALU_DEP_1)
	v_fma_f32 v84, -v75, v83, v82
	v_fmac_f32_e32 v83, v84, v81
	s_delay_alu instid0(VALU_DEP_1) | instskip(NEXT) | instid1(VALU_DEP_1)
	v_fma_f32 v75, -v75, v83, v82
	v_div_fmas_f32 v75, v75, v81, v83
	s_delay_alu instid0(VALU_DEP_1) | instskip(NEXT) | instid1(VALU_DEP_1)
	v_div_fixup_f32 v74, v75, v74, 1.0
	v_mul_f32_e64 v75, v73, -v74
.LBB64_156:
	s_or_b32 exec_lo, exec_lo, s1
.LBB64_157:
	s_delay_alu instid0(SALU_CYCLE_1) | instskip(NEXT) | instid1(SALU_CYCLE_1)
	s_or_b32 exec_lo, exec_lo, s0
	s_mov_b32 s0, exec_lo
	v_cmpx_ne_u32_e64 v80, v72
	s_xor_b32 s0, exec_lo, s0
	s_cbranch_execz .LBB64_163
; %bb.158:
	s_mov_b32 s1, exec_lo
	v_cmpx_eq_u32_e32 7, v80
	s_cbranch_execz .LBB64_162
; %bb.159:
	v_cmp_ne_u32_e32 vcc_lo, 7, v72
	s_xor_b32 s12, s16, -1
	s_delay_alu instid0(SALU_CYCLE_1) | instskip(NEXT) | instid1(SALU_CYCLE_1)
	s_and_b32 s13, s12, vcc_lo
	s_and_saveexec_b32 s12, s13
	s_cbranch_execz .LBB64_161
; %bb.160:
	v_ashrrev_i32_e32 v73, 31, v72
	s_delay_alu instid0(VALU_DEP_1)
	v_lshl_add_u64 v[80:81], v[72:73], 2, v[4:5]
	s_clause 0x1
	global_load_b32 v73, v[80:81], off
	global_load_b32 v79, v[4:5], off offset:28
	s_wait_loadcnt 0x1
	global_store_b32 v[4:5], v73, off offset:28
	s_wait_loadcnt 0x0
	global_store_b32 v[80:81], v79, off
.LBB64_161:
	s_wait_xcnt 0x0
	s_or_b32 exec_lo, exec_lo, s12
	v_dual_mov_b32 v80, v72 :: v_dual_mov_b32 v79, v72
.LBB64_162:
	s_or_b32 exec_lo, exec_lo, s1
.LBB64_163:
	s_and_not1_saveexec_b32 s0, s0
	s_cbranch_execz .LBB64_165
; %bb.164:
	v_dual_mov_b32 v72, v30 :: v_dual_mov_b32 v73, v31
	v_dual_mov_b32 v80, v22 :: v_dual_mov_b32 v81, v23
	ds_store_2addr_b64 v76, v[72:73], v[80:81] offset0:8 offset1:9
	v_dual_mov_b32 v72, v28 :: v_dual_mov_b32 v73, v29
	v_dual_mov_b32 v80, v20 :: v_dual_mov_b32 v81, v21
	ds_store_2addr_b64 v76, v[72:73], v[80:81] offset0:10 offset1:11
	;; [unrolled: 3-line block ×12, first 2 shown]
	ds_store_b64 v76, v[70:71] offset:256
	v_mov_b32_e32 v80, 7
.LBB64_165:
	s_or_b32 exec_lo, exec_lo, s0
	s_delay_alu instid0(SALU_CYCLE_1)
	s_mov_b32 s0, exec_lo
	s_wait_storecnt_dscnt 0x0
	s_barrier_signal -1
	s_barrier_wait -1
	v_cmpx_lt_i32_e32 7, v80
	s_cbranch_execz .LBB64_167
; %bb.166:
	v_pk_mul_f32 v[82:83], v[74:75], v[8:9] op_sel:[1,1] op_sel_hi:[0,1]
	s_delay_alu instid0(VALU_DEP_1)
	v_pk_fma_f32 v[72:73], v[74:75], v[8:9], v[82:83] op_sel_hi:[1,0,1] neg_lo:[0,0,1] neg_hi:[0,0,1]
	v_pk_fma_f32 v[74:75], v[74:75], v[8:9], v[82:83] op_sel_hi:[1,0,1]
	ds_load_2addr_b64 v[82:85], v76 offset0:8 offset1:9
	v_dual_mov_b32 v8, v72 :: v_dual_mov_b32 v9, v75
	s_wait_dscnt 0x0
	v_pk_mul_f32 v[86:87], v[82:83], v[74:75] op_sel:[0,1]
	s_delay_alu instid0(VALU_DEP_1) | instskip(SKIP_1) | instid1(VALU_DEP_1)
	v_pk_fma_f32 v[88:89], v[82:83], v[72:73], v[86:87] op_sel:[0,0,1] op_sel_hi:[1,1,0] neg_lo:[0,0,1] neg_hi:[0,0,1]
	v_pk_fma_f32 v[82:83], v[82:83], v[72:73], v[86:87] op_sel:[0,0,1] op_sel_hi:[1,0,0]
	v_mov_b32_e32 v89, v83
	v_pk_mul_f32 v[82:83], v[84:85], v[74:75] op_sel:[0,1]
	s_delay_alu instid0(VALU_DEP_1) | instskip(SKIP_1) | instid1(VALU_DEP_1)
	v_pk_fma_f32 v[86:87], v[84:85], v[72:73], v[82:83] op_sel:[0,0,1] op_sel_hi:[1,1,0] neg_lo:[0,0,1] neg_hi:[0,0,1]
	v_pk_fma_f32 v[82:83], v[84:85], v[72:73], v[82:83] op_sel:[0,0,1] op_sel_hi:[1,0,0]
	v_mov_b32_e32 v87, v83
	ds_load_2addr_b64 v[82:85], v76 offset0:10 offset1:11
	v_pk_add_f32 v[30:31], v[30:31], v[88:89] neg_lo:[0,1] neg_hi:[0,1]
	v_pk_add_f32 v[22:23], v[22:23], v[86:87] neg_lo:[0,1] neg_hi:[0,1]
	s_wait_dscnt 0x0
	v_pk_mul_f32 v[86:87], v[82:83], v[74:75] op_sel:[0,1]
	s_delay_alu instid0(VALU_DEP_1) | instskip(SKIP_2) | instid1(VALU_DEP_2)
	v_pk_fma_f32 v[88:89], v[82:83], v[72:73], v[86:87] op_sel:[0,0,1] op_sel_hi:[1,1,0] neg_lo:[0,0,1] neg_hi:[0,0,1]
	v_pk_fma_f32 v[82:83], v[82:83], v[72:73], v[86:87] op_sel:[0,0,1] op_sel_hi:[1,0,0]
	v_dual_mul_f32 v86, v85, v75 :: v_dual_mov_b32 v82, v85
	v_dual_mov_b32 v89, v83 :: v_dual_mov_b32 v83, v84
	s_delay_alu instid0(VALU_DEP_2) | instskip(SKIP_1) | instid1(VALU_DEP_3)
	v_pk_fma_f32 v[86:87], v[84:85], v[8:9], v[86:87] op_sel_hi:[1,1,0] neg_lo:[0,0,1] neg_hi:[0,0,1]
	v_mul_f32_e32 v84, v85, v72
	v_pk_add_f32 v[28:29], v[28:29], v[88:89] neg_lo:[0,1] neg_hi:[0,1]
	s_delay_alu instid0(VALU_DEP_2) | instskip(NEXT) | instid1(VALU_DEP_1)
	v_pk_fma_f32 v[82:83], v[82:83], v[8:9], v[84:85] op_sel_hi:[1,1,0]
	v_mov_b32_e32 v87, v83
	ds_load_2addr_b64 v[82:85], v76 offset0:12 offset1:13
	v_pk_add_f32 v[20:21], v[20:21], v[86:87] neg_lo:[0,1] neg_hi:[0,1]
	s_wait_dscnt 0x0
	v_pk_mul_f32 v[86:87], v[82:83], v[74:75] op_sel:[0,1]
	s_delay_alu instid0(VALU_DEP_1) | instskip(SKIP_1) | instid1(VALU_DEP_1)
	v_pk_fma_f32 v[88:89], v[82:83], v[72:73], v[86:87] op_sel:[0,0,1] op_sel_hi:[1,1,0] neg_lo:[0,0,1] neg_hi:[0,0,1]
	v_pk_fma_f32 v[82:83], v[82:83], v[72:73], v[86:87] op_sel:[0,0,1] op_sel_hi:[1,0,0]
	v_mov_b32_e32 v89, v83
	v_pk_mul_f32 v[82:83], v[84:85], v[74:75] op_sel:[0,1]
	s_delay_alu instid0(VALU_DEP_1) | instskip(SKIP_1) | instid1(VALU_DEP_1)
	v_pk_fma_f32 v[86:87], v[84:85], v[72:73], v[82:83] op_sel:[0,0,1] op_sel_hi:[1,1,0] neg_lo:[0,0,1] neg_hi:[0,0,1]
	v_pk_fma_f32 v[82:83], v[84:85], v[72:73], v[82:83] op_sel:[0,0,1] op_sel_hi:[1,0,0]
	v_mov_b32_e32 v87, v83
	ds_load_2addr_b64 v[82:85], v76 offset0:14 offset1:15
	v_pk_add_f32 v[40:41], v[40:41], v[88:89] neg_lo:[0,1] neg_hi:[0,1]
	v_pk_add_f32 v[36:37], v[36:37], v[86:87] neg_lo:[0,1] neg_hi:[0,1]
	s_wait_dscnt 0x0
	v_pk_mul_f32 v[86:87], v[82:83], v[74:75] op_sel:[0,1]
	s_delay_alu instid0(VALU_DEP_1) | instskip(SKIP_1) | instid1(VALU_DEP_1)
	v_pk_fma_f32 v[88:89], v[82:83], v[72:73], v[86:87] op_sel:[0,0,1] op_sel_hi:[1,1,0] neg_lo:[0,0,1] neg_hi:[0,0,1]
	v_pk_fma_f32 v[82:83], v[82:83], v[72:73], v[86:87] op_sel:[0,0,1] op_sel_hi:[1,0,0]
	v_mov_b32_e32 v89, v83
	v_pk_mul_f32 v[82:83], v[84:85], v[74:75] op_sel:[0,1]
	s_delay_alu instid0(VALU_DEP_1) | instskip(SKIP_1) | instid1(VALU_DEP_1)
	v_pk_fma_f32 v[86:87], v[84:85], v[72:73], v[82:83] op_sel:[0,0,1] op_sel_hi:[1,1,0] neg_lo:[0,0,1] neg_hi:[0,0,1]
	v_pk_fma_f32 v[82:83], v[84:85], v[72:73], v[82:83] op_sel:[0,0,1] op_sel_hi:[1,0,0]
	v_mov_b32_e32 v87, v83
	ds_load_2addr_b64 v[82:85], v76 offset0:16 offset1:17
	v_pk_add_f32 v[38:39], v[38:39], v[88:89] neg_lo:[0,1] neg_hi:[0,1]
	v_pk_add_f32 v[34:35], v[34:35], v[86:87] neg_lo:[0,1] neg_hi:[0,1]
	s_wait_dscnt 0x0
	v_dual_mul_f32 v86, v83, v75 :: v_dual_mul_f32 v88, v83, v72
	s_delay_alu instid0(VALU_DEP_1) | instskip(NEXT) | instid1(VALU_DEP_2)
	v_pk_fma_f32 v[86:87], v[82:83], v[8:9], v[86:87] op_sel_hi:[1,1,0] neg_lo:[0,0,1] neg_hi:[0,0,1]
	v_pk_fma_f32 v[82:83], v[82:83], v[8:9], v[88:89] op_sel:[1,0,0] op_sel_hi:[0,1,0]
	s_delay_alu instid0(VALU_DEP_1) | instskip(SKIP_1) | instid1(VALU_DEP_2)
	v_mov_b32_e32 v87, v83
	v_pk_mul_f32 v[82:83], v[84:85], v[74:75] op_sel:[0,1]
	v_pk_add_f32 v[60:61], v[60:61], v[86:87] neg_lo:[0,1] neg_hi:[0,1]
	s_delay_alu instid0(VALU_DEP_2) | instskip(SKIP_1) | instid1(VALU_DEP_1)
	v_pk_fma_f32 v[86:87], v[84:85], v[72:73], v[82:83] op_sel:[0,0,1] op_sel_hi:[1,1,0] neg_lo:[0,0,1] neg_hi:[0,0,1]
	v_pk_fma_f32 v[82:83], v[84:85], v[72:73], v[82:83] op_sel:[0,0,1] op_sel_hi:[1,0,0]
	v_mov_b32_e32 v87, v83
	ds_load_2addr_b64 v[82:85], v76 offset0:18 offset1:19
	v_pk_add_f32 v[56:57], v[56:57], v[86:87] neg_lo:[0,1] neg_hi:[0,1]
	s_wait_dscnt 0x0
	v_pk_mul_f32 v[86:87], v[82:83], v[74:75] op_sel:[0,1]
	s_delay_alu instid0(VALU_DEP_1) | instskip(SKIP_1) | instid1(VALU_DEP_1)
	v_pk_fma_f32 v[88:89], v[82:83], v[72:73], v[86:87] op_sel:[0,0,1] op_sel_hi:[1,1,0] neg_lo:[0,0,1] neg_hi:[0,0,1]
	v_pk_fma_f32 v[82:83], v[82:83], v[72:73], v[86:87] op_sel:[0,0,1] op_sel_hi:[1,0,0]
	v_mov_b32_e32 v89, v83
	v_pk_mul_f32 v[82:83], v[84:85], v[74:75] op_sel:[0,1]
	s_delay_alu instid0(VALU_DEP_2) | instskip(NEXT) | instid1(VALU_DEP_2)
	v_pk_add_f32 v[58:59], v[58:59], v[88:89] neg_lo:[0,1] neg_hi:[0,1]
	v_pk_fma_f32 v[86:87], v[84:85], v[72:73], v[82:83] op_sel:[0,0,1] op_sel_hi:[1,1,0] neg_lo:[0,0,1] neg_hi:[0,0,1]
	v_pk_fma_f32 v[82:83], v[84:85], v[72:73], v[82:83] op_sel:[0,0,1] op_sel_hi:[1,0,0]
	s_delay_alu instid0(VALU_DEP_1) | instskip(SKIP_4) | instid1(VALU_DEP_1)
	v_mov_b32_e32 v87, v83
	ds_load_2addr_b64 v[82:85], v76 offset0:20 offset1:21
	v_pk_add_f32 v[54:55], v[54:55], v[86:87] neg_lo:[0,1] neg_hi:[0,1]
	s_wait_dscnt 0x0
	v_pk_mul_f32 v[86:87], v[82:83], v[74:75] op_sel:[0,1]
	v_pk_fma_f32 v[88:89], v[82:83], v[72:73], v[86:87] op_sel:[0,0,1] op_sel_hi:[1,1,0] neg_lo:[0,0,1] neg_hi:[0,0,1]
	v_pk_fma_f32 v[82:83], v[82:83], v[72:73], v[86:87] op_sel:[0,0,1] op_sel_hi:[1,0,0]
	v_dual_mul_f32 v86, v85, v75 :: v_dual_mov_b32 v82, v85
	s_delay_alu instid0(VALU_DEP_2) | instskip(NEXT) | instid1(VALU_DEP_2)
	v_dual_mov_b32 v89, v83 :: v_dual_mov_b32 v83, v84
	v_pk_fma_f32 v[86:87], v[84:85], v[8:9], v[86:87] op_sel_hi:[1,1,0] neg_lo:[0,0,1] neg_hi:[0,0,1]
	v_mul_f32_e32 v84, v85, v72
	s_delay_alu instid0(VALU_DEP_3) | instskip(NEXT) | instid1(VALU_DEP_2)
	v_pk_add_f32 v[50:51], v[50:51], v[88:89] neg_lo:[0,1] neg_hi:[0,1]
	v_pk_fma_f32 v[82:83], v[82:83], v[8:9], v[84:85] op_sel_hi:[1,1,0]
	s_delay_alu instid0(VALU_DEP_1) | instskip(SKIP_4) | instid1(VALU_DEP_1)
	v_mov_b32_e32 v87, v83
	ds_load_2addr_b64 v[82:85], v76 offset0:22 offset1:23
	v_pk_add_f32 v[46:47], v[46:47], v[86:87] neg_lo:[0,1] neg_hi:[0,1]
	s_wait_dscnt 0x0
	v_pk_mul_f32 v[86:87], v[82:83], v[74:75] op_sel:[0,1]
	v_pk_fma_f32 v[88:89], v[82:83], v[72:73], v[86:87] op_sel:[0,0,1] op_sel_hi:[1,1,0] neg_lo:[0,0,1] neg_hi:[0,0,1]
	v_pk_fma_f32 v[82:83], v[82:83], v[72:73], v[86:87] op_sel:[0,0,1] op_sel_hi:[1,0,0]
	s_delay_alu instid0(VALU_DEP_1) | instskip(SKIP_1) | instid1(VALU_DEP_1)
	v_mov_b32_e32 v89, v83
	v_pk_mul_f32 v[82:83], v[84:85], v[74:75] op_sel:[0,1]
	v_pk_fma_f32 v[86:87], v[84:85], v[72:73], v[82:83] op_sel:[0,0,1] op_sel_hi:[1,1,0] neg_lo:[0,0,1] neg_hi:[0,0,1]
	v_pk_fma_f32 v[82:83], v[84:85], v[72:73], v[82:83] op_sel:[0,0,1] op_sel_hi:[1,0,0]
	s_delay_alu instid0(VALU_DEP_1)
	v_mov_b32_e32 v87, v83
	ds_load_2addr_b64 v[82:85], v76 offset0:24 offset1:25
	v_pk_add_f32 v[48:49], v[48:49], v[88:89] neg_lo:[0,1] neg_hi:[0,1]
	v_pk_add_f32 v[44:45], v[44:45], v[86:87] neg_lo:[0,1] neg_hi:[0,1]
	s_wait_dscnt 0x0
	v_pk_mul_f32 v[86:87], v[82:83], v[74:75] op_sel:[0,1]
	s_delay_alu instid0(VALU_DEP_1) | instskip(SKIP_1) | instid1(VALU_DEP_1)
	v_pk_fma_f32 v[88:89], v[82:83], v[72:73], v[86:87] op_sel:[0,0,1] op_sel_hi:[1,1,0] neg_lo:[0,0,1] neg_hi:[0,0,1]
	v_pk_fma_f32 v[82:83], v[82:83], v[72:73], v[86:87] op_sel:[0,0,1] op_sel_hi:[1,0,0]
	v_mov_b32_e32 v89, v83
	v_pk_mul_f32 v[82:83], v[84:85], v[74:75] op_sel:[0,1]
	s_delay_alu instid0(VALU_DEP_1) | instskip(SKIP_1) | instid1(VALU_DEP_1)
	v_pk_fma_f32 v[86:87], v[84:85], v[72:73], v[82:83] op_sel:[0,0,1] op_sel_hi:[1,1,0] neg_lo:[0,0,1] neg_hi:[0,0,1]
	v_pk_fma_f32 v[82:83], v[84:85], v[72:73], v[82:83] op_sel:[0,0,1] op_sel_hi:[1,0,0]
	v_mov_b32_e32 v87, v83
	ds_load_2addr_b64 v[82:85], v76 offset0:26 offset1:27
	v_pk_add_f32 v[26:27], v[26:27], v[88:89] neg_lo:[0,1] neg_hi:[0,1]
	v_pk_add_f32 v[18:19], v[18:19], v[86:87] neg_lo:[0,1] neg_hi:[0,1]
	s_wait_dscnt 0x0
	v_dual_mul_f32 v86, v83, v75 :: v_dual_mul_f32 v88, v83, v72
	s_delay_alu instid0(VALU_DEP_1) | instskip(NEXT) | instid1(VALU_DEP_2)
	v_pk_fma_f32 v[86:87], v[82:83], v[8:9], v[86:87] op_sel_hi:[1,1,0] neg_lo:[0,0,1] neg_hi:[0,0,1]
	v_pk_fma_f32 v[82:83], v[82:83], v[8:9], v[88:89] op_sel:[1,0,0] op_sel_hi:[0,1,0]
	s_delay_alu instid0(VALU_DEP_1) | instskip(SKIP_1) | instid1(VALU_DEP_2)
	v_mov_b32_e32 v87, v83
	v_pk_mul_f32 v[82:83], v[84:85], v[74:75] op_sel:[0,1]
	v_pk_add_f32 v[24:25], v[24:25], v[86:87] neg_lo:[0,1] neg_hi:[0,1]
	s_delay_alu instid0(VALU_DEP_2) | instskip(SKIP_1) | instid1(VALU_DEP_1)
	v_pk_fma_f32 v[86:87], v[84:85], v[72:73], v[82:83] op_sel:[0,0,1] op_sel_hi:[1,1,0] neg_lo:[0,0,1] neg_hi:[0,0,1]
	v_pk_fma_f32 v[82:83], v[84:85], v[72:73], v[82:83] op_sel:[0,0,1] op_sel_hi:[1,0,0]
	v_mov_b32_e32 v87, v83
	ds_load_2addr_b64 v[82:85], v76 offset0:28 offset1:29
	v_pk_add_f32 v[16:17], v[16:17], v[86:87] neg_lo:[0,1] neg_hi:[0,1]
	s_wait_dscnt 0x0
	v_pk_mul_f32 v[86:87], v[82:83], v[74:75] op_sel:[0,1]
	s_delay_alu instid0(VALU_DEP_1) | instskip(SKIP_1) | instid1(VALU_DEP_1)
	v_pk_fma_f32 v[88:89], v[82:83], v[72:73], v[86:87] op_sel:[0,0,1] op_sel_hi:[1,1,0] neg_lo:[0,0,1] neg_hi:[0,0,1]
	v_pk_fma_f32 v[82:83], v[82:83], v[72:73], v[86:87] op_sel:[0,0,1] op_sel_hi:[1,0,0]
	v_mov_b32_e32 v89, v83
	v_pk_mul_f32 v[82:83], v[84:85], v[74:75] op_sel:[0,1]
	s_delay_alu instid0(VALU_DEP_2) | instskip(NEXT) | instid1(VALU_DEP_2)
	v_pk_add_f32 v[6:7], v[6:7], v[88:89] neg_lo:[0,1] neg_hi:[0,1]
	v_pk_fma_f32 v[86:87], v[84:85], v[72:73], v[82:83] op_sel:[0,0,1] op_sel_hi:[1,1,0] neg_lo:[0,0,1] neg_hi:[0,0,1]
	v_pk_fma_f32 v[82:83], v[84:85], v[72:73], v[82:83] op_sel:[0,0,1] op_sel_hi:[1,0,0]
	s_delay_alu instid0(VALU_DEP_1) | instskip(SKIP_4) | instid1(VALU_DEP_1)
	v_mov_b32_e32 v87, v83
	ds_load_2addr_b64 v[82:85], v76 offset0:30 offset1:31
	v_pk_add_f32 v[52:53], v[52:53], v[86:87] neg_lo:[0,1] neg_hi:[0,1]
	s_wait_dscnt 0x0
	v_pk_mul_f32 v[86:87], v[82:83], v[74:75] op_sel:[0,1]
	v_pk_fma_f32 v[88:89], v[82:83], v[72:73], v[86:87] op_sel:[0,0,1] op_sel_hi:[1,1,0] neg_lo:[0,0,1] neg_hi:[0,0,1]
	v_pk_fma_f32 v[82:83], v[82:83], v[72:73], v[86:87] op_sel:[0,0,1] op_sel_hi:[1,0,0]
	v_dual_mul_f32 v86, v85, v75 :: v_dual_mov_b32 v82, v85
	s_delay_alu instid0(VALU_DEP_2) | instskip(NEXT) | instid1(VALU_DEP_2)
	v_dual_mov_b32 v89, v83 :: v_dual_mov_b32 v83, v84
	v_pk_fma_f32 v[86:87], v[84:85], v[8:9], v[86:87] op_sel_hi:[1,1,0] neg_lo:[0,0,1] neg_hi:[0,0,1]
	v_mul_f32_e32 v84, v85, v72
	s_delay_alu instid0(VALU_DEP_3) | instskip(NEXT) | instid1(VALU_DEP_2)
	v_pk_add_f32 v[42:43], v[42:43], v[88:89] neg_lo:[0,1] neg_hi:[0,1]
	v_pk_fma_f32 v[82:83], v[82:83], v[8:9], v[84:85] op_sel_hi:[1,1,0]
	s_delay_alu instid0(VALU_DEP_1) | instskip(SKIP_4) | instid1(VALU_DEP_1)
	v_mov_b32_e32 v87, v83
	ds_load_b64 v[82:83], v76 offset:256
	v_pk_add_f32 v[32:33], v[32:33], v[86:87] neg_lo:[0,1] neg_hi:[0,1]
	s_wait_dscnt 0x0
	v_pk_mul_f32 v[74:75], v[82:83], v[74:75] op_sel:[0,1]
	v_pk_fma_f32 v[84:85], v[82:83], v[72:73], v[74:75] op_sel:[0,0,1] op_sel_hi:[1,1,0] neg_lo:[0,0,1] neg_hi:[0,0,1]
	v_pk_fma_f32 v[72:73], v[82:83], v[72:73], v[74:75] op_sel:[0,0,1] op_sel_hi:[1,0,0]
	s_delay_alu instid0(VALU_DEP_1) | instskip(NEXT) | instid1(VALU_DEP_1)
	v_mov_b32_e32 v85, v73
	v_pk_add_f32 v[70:71], v[70:71], v[84:85] neg_lo:[0,1] neg_hi:[0,1]
.LBB64_167:
	s_or_b32 exec_lo, exec_lo, s0
	v_lshl_add_u32 v72, v80, 3, v76
	s_barrier_signal -1
	s_barrier_wait -1
	ds_store_b64 v72, v[30:31]
	s_wait_dscnt 0x0
	s_barrier_signal -1
	s_barrier_wait -1
	ds_load_b64 v[74:75], v76 offset:64
	v_mov_b32_e32 v72, 8
	s_cmp_lt_i32 s18, 10
	s_cbranch_scc1 .LBB64_170
; %bb.168:
	v_add3_u32 v73, v77, 0, 0x48
	v_mov_b32_e32 v72, 8
	s_mov_b32 s0, 9
.LBB64_169:                             ; =>This Inner Loop Header: Depth=1
	ds_load_b64 v[82:83], v73
	s_wait_dscnt 0x1
	v_cmp_gt_f32_e32 vcc_lo, 0, v74
	v_cndmask_b32_e64 v84, v74, -v74, vcc_lo
	v_cmp_gt_f32_e32 vcc_lo, 0, v75
	v_cndmask_b32_e64 v86, v75, -v75, vcc_lo
	s_wait_dscnt 0x0
	v_cmp_gt_f32_e32 vcc_lo, 0, v82
	v_cndmask_b32_e64 v85, v82, -v82, vcc_lo
	v_cmp_gt_f32_e32 vcc_lo, 0, v83
	v_cndmask_b32_e64 v87, v83, -v83, vcc_lo
	s_delay_alu instid0(VALU_DEP_1) | instskip(NEXT) | instid1(VALU_DEP_1)
	v_pk_add_f32 v[84:85], v[84:85], v[86:87]
	v_cmp_lt_f32_e32 vcc_lo, v84, v85
	v_dual_add_nc_u32 v73, 8, v73 :: v_dual_cndmask_b32 v75, v75, v83, vcc_lo
	v_cndmask_b32_e32 v74, v74, v82, vcc_lo
	v_cndmask_b32_e64 v72, v72, s0, vcc_lo
	s_add_co_i32 s0, s0, 1
	s_delay_alu instid0(SALU_CYCLE_1)
	s_cmp_lg_u32 s18, s0
	s_cbranch_scc1 .LBB64_169
.LBB64_170:
	s_wait_dscnt 0x0
	v_cmp_eq_f32_e32 vcc_lo, 0, v74
	v_cmp_eq_f32_e64 s0, 0, v75
	s_and_b32 s0, vcc_lo, s0
	s_delay_alu instid0(SALU_CYCLE_1) | instskip(NEXT) | instid1(SALU_CYCLE_1)
	s_and_saveexec_b32 s1, s0
	s_xor_b32 s0, exec_lo, s1
; %bb.171:
	v_cmp_ne_u32_e32 vcc_lo, 0, v78
	v_cndmask_b32_e32 v78, 9, v78, vcc_lo
; %bb.172:
	s_and_not1_saveexec_b32 s0, s0
	s_cbranch_execz .LBB64_178
; %bb.173:
	v_cmp_ngt_f32_e64 s1, |v74|, |v75|
	s_and_saveexec_b32 s12, s1
	s_delay_alu instid0(SALU_CYCLE_1)
	s_xor_b32 s1, exec_lo, s12
	s_cbranch_execz .LBB64_175
; %bb.174:
	v_div_scale_f32 v73, null, v75, v75, v74
	v_div_scale_f32 v83, vcc_lo, v74, v75, v74
	s_delay_alu instid0(VALU_DEP_2) | instskip(SKIP_1) | instid1(TRANS32_DEP_1)
	v_rcp_f32_e32 v81, v73
	v_nop
	v_fma_f32 v82, -v73, v81, 1.0
	s_delay_alu instid0(VALU_DEP_1) | instskip(NEXT) | instid1(VALU_DEP_1)
	v_fmac_f32_e32 v81, v82, v81
	v_mul_f32_e32 v82, v83, v81
	s_delay_alu instid0(VALU_DEP_1) | instskip(NEXT) | instid1(VALU_DEP_1)
	v_fma_f32 v84, -v73, v82, v83
	v_fmac_f32_e32 v82, v84, v81
	s_delay_alu instid0(VALU_DEP_1) | instskip(NEXT) | instid1(VALU_DEP_1)
	v_fma_f32 v73, -v73, v82, v83
	v_div_fmas_f32 v73, v73, v81, v82
	s_delay_alu instid0(VALU_DEP_1) | instskip(NEXT) | instid1(VALU_DEP_1)
	v_div_fixup_f32 v73, v73, v75, v74
	v_fmac_f32_e32 v75, v74, v73
	s_delay_alu instid0(VALU_DEP_1) | instskip(SKIP_1) | instid1(VALU_DEP_2)
	v_div_scale_f32 v74, null, v75, v75, 1.0
	v_div_scale_f32 v83, vcc_lo, 1.0, v75, 1.0
	v_rcp_f32_e32 v81, v74
	v_nop
	s_delay_alu instid0(TRANS32_DEP_1) | instskip(NEXT) | instid1(VALU_DEP_1)
	v_fma_f32 v82, -v74, v81, 1.0
	v_fmac_f32_e32 v81, v82, v81
	s_delay_alu instid0(VALU_DEP_1) | instskip(NEXT) | instid1(VALU_DEP_1)
	v_mul_f32_e32 v82, v83, v81
	v_fma_f32 v84, -v74, v82, v83
	s_delay_alu instid0(VALU_DEP_1) | instskip(NEXT) | instid1(VALU_DEP_1)
	v_fmac_f32_e32 v82, v84, v81
	v_fma_f32 v74, -v74, v82, v83
	s_delay_alu instid0(VALU_DEP_1) | instskip(NEXT) | instid1(VALU_DEP_1)
	v_div_fmas_f32 v74, v74, v81, v82
	v_div_fixup_f32 v75, v74, v75, 1.0
	s_delay_alu instid0(VALU_DEP_1)
	v_mul_f32_e32 v74, v73, v75
	v_xor_b32_e32 v75, 0x80000000, v75
.LBB64_175:
	s_and_not1_saveexec_b32 s1, s1
	s_cbranch_execz .LBB64_177
; %bb.176:
	s_delay_alu instid0(VALU_DEP_1) | instskip(SKIP_1) | instid1(VALU_DEP_2)
	v_div_scale_f32 v73, null, v74, v74, v75
	v_div_scale_f32 v83, vcc_lo, v75, v74, v75
	v_rcp_f32_e32 v81, v73
	v_nop
	s_delay_alu instid0(TRANS32_DEP_1) | instskip(NEXT) | instid1(VALU_DEP_1)
	v_fma_f32 v82, -v73, v81, 1.0
	v_fmac_f32_e32 v81, v82, v81
	s_delay_alu instid0(VALU_DEP_1) | instskip(NEXT) | instid1(VALU_DEP_1)
	v_mul_f32_e32 v82, v83, v81
	v_fma_f32 v84, -v73, v82, v83
	s_delay_alu instid0(VALU_DEP_1) | instskip(NEXT) | instid1(VALU_DEP_1)
	v_fmac_f32_e32 v82, v84, v81
	v_fma_f32 v73, -v73, v82, v83
	s_delay_alu instid0(VALU_DEP_1) | instskip(NEXT) | instid1(VALU_DEP_1)
	v_div_fmas_f32 v73, v73, v81, v82
	v_div_fixup_f32 v73, v73, v74, v75
	s_delay_alu instid0(VALU_DEP_1) | instskip(NEXT) | instid1(VALU_DEP_1)
	v_fmac_f32_e32 v74, v75, v73
	v_div_scale_f32 v75, null, v74, v74, 1.0
	s_delay_alu instid0(VALU_DEP_1) | instskip(SKIP_1) | instid1(TRANS32_DEP_1)
	v_rcp_f32_e32 v81, v75
	v_nop
	v_fma_f32 v82, -v75, v81, 1.0
	s_delay_alu instid0(VALU_DEP_1) | instskip(SKIP_1) | instid1(VALU_DEP_1)
	v_fmac_f32_e32 v81, v82, v81
	v_div_scale_f32 v82, vcc_lo, 1.0, v74, 1.0
	v_mul_f32_e32 v83, v82, v81
	s_delay_alu instid0(VALU_DEP_1) | instskip(NEXT) | instid1(VALU_DEP_1)
	v_fma_f32 v84, -v75, v83, v82
	v_fmac_f32_e32 v83, v84, v81
	s_delay_alu instid0(VALU_DEP_1) | instskip(NEXT) | instid1(VALU_DEP_1)
	v_fma_f32 v75, -v75, v83, v82
	v_div_fmas_f32 v75, v75, v81, v83
	s_delay_alu instid0(VALU_DEP_1) | instskip(NEXT) | instid1(VALU_DEP_1)
	v_div_fixup_f32 v74, v75, v74, 1.0
	v_mul_f32_e64 v75, v73, -v74
.LBB64_177:
	s_or_b32 exec_lo, exec_lo, s1
.LBB64_178:
	s_delay_alu instid0(SALU_CYCLE_1) | instskip(NEXT) | instid1(SALU_CYCLE_1)
	s_or_b32 exec_lo, exec_lo, s0
	s_mov_b32 s0, exec_lo
	v_cmpx_ne_u32_e64 v80, v72
	s_xor_b32 s0, exec_lo, s0
	s_cbranch_execz .LBB64_184
; %bb.179:
	s_mov_b32 s1, exec_lo
	v_cmpx_eq_u32_e32 8, v80
	s_cbranch_execz .LBB64_183
; %bb.180:
	v_cmp_ne_u32_e32 vcc_lo, 8, v72
	s_xor_b32 s12, s16, -1
	s_delay_alu instid0(SALU_CYCLE_1) | instskip(NEXT) | instid1(SALU_CYCLE_1)
	s_and_b32 s13, s12, vcc_lo
	s_and_saveexec_b32 s12, s13
	s_cbranch_execz .LBB64_182
; %bb.181:
	v_ashrrev_i32_e32 v73, 31, v72
	s_delay_alu instid0(VALU_DEP_1)
	v_lshl_add_u64 v[80:81], v[72:73], 2, v[4:5]
	s_clause 0x1
	global_load_b32 v73, v[80:81], off
	global_load_b32 v79, v[4:5], off offset:32
	s_wait_loadcnt 0x1
	global_store_b32 v[4:5], v73, off offset:32
	s_wait_loadcnt 0x0
	global_store_b32 v[80:81], v79, off
.LBB64_182:
	s_wait_xcnt 0x0
	s_or_b32 exec_lo, exec_lo, s12
	v_dual_mov_b32 v80, v72 :: v_dual_mov_b32 v79, v72
.LBB64_183:
	s_or_b32 exec_lo, exec_lo, s1
.LBB64_184:
	s_and_not1_saveexec_b32 s0, s0
	s_cbranch_execz .LBB64_186
; %bb.185:
	v_mov_b32_e32 v80, 8
	ds_store_2addr_b64 v76, v[22:23], v[28:29] offset0:9 offset1:10
	ds_store_2addr_b64 v76, v[20:21], v[40:41] offset0:11 offset1:12
	;; [unrolled: 1-line block ×12, first 2 shown]
.LBB64_186:
	s_or_b32 exec_lo, exec_lo, s0
	s_delay_alu instid0(SALU_CYCLE_1)
	s_mov_b32 s0, exec_lo
	s_wait_storecnt_dscnt 0x0
	s_barrier_signal -1
	s_barrier_wait -1
	v_cmpx_lt_i32_e32 8, v80
	s_cbranch_execz .LBB64_188
; %bb.187:
	v_pk_mul_f32 v[82:83], v[74:75], v[30:31] op_sel:[1,1] op_sel_hi:[0,1]
	s_delay_alu instid0(VALU_DEP_1)
	v_pk_fma_f32 v[72:73], v[74:75], v[30:31], v[82:83] op_sel_hi:[1,0,1] neg_lo:[0,0,1] neg_hi:[0,0,1]
	v_pk_fma_f32 v[74:75], v[74:75], v[30:31], v[82:83] op_sel_hi:[1,0,1]
	ds_load_2addr_b64 v[82:85], v76 offset0:9 offset1:10
	v_dual_mov_b32 v30, v72 :: v_dual_mov_b32 v31, v75
	s_wait_dscnt 0x0
	v_pk_mul_f32 v[86:87], v[82:83], v[74:75] op_sel:[0,1]
	s_delay_alu instid0(VALU_DEP_1) | instskip(SKIP_1) | instid1(VALU_DEP_1)
	v_pk_fma_f32 v[88:89], v[82:83], v[72:73], v[86:87] op_sel:[0,0,1] op_sel_hi:[1,1,0] neg_lo:[0,0,1] neg_hi:[0,0,1]
	v_pk_fma_f32 v[82:83], v[82:83], v[72:73], v[86:87] op_sel:[0,0,1] op_sel_hi:[1,0,0]
	v_mov_b32_e32 v89, v83
	v_pk_mul_f32 v[82:83], v[84:85], v[74:75] op_sel:[0,1]
	s_delay_alu instid0(VALU_DEP_1) | instskip(SKIP_1) | instid1(VALU_DEP_1)
	v_pk_fma_f32 v[86:87], v[84:85], v[72:73], v[82:83] op_sel:[0,0,1] op_sel_hi:[1,1,0] neg_lo:[0,0,1] neg_hi:[0,0,1]
	v_pk_fma_f32 v[82:83], v[84:85], v[72:73], v[82:83] op_sel:[0,0,1] op_sel_hi:[1,0,0]
	v_mov_b32_e32 v87, v83
	ds_load_2addr_b64 v[82:85], v76 offset0:11 offset1:12
	v_pk_add_f32 v[22:23], v[22:23], v[88:89] neg_lo:[0,1] neg_hi:[0,1]
	v_pk_add_f32 v[28:29], v[28:29], v[86:87] neg_lo:[0,1] neg_hi:[0,1]
	s_wait_dscnt 0x0
	v_pk_mul_f32 v[86:87], v[82:83], v[74:75] op_sel:[0,1]
	s_delay_alu instid0(VALU_DEP_1) | instskip(SKIP_2) | instid1(VALU_DEP_2)
	v_pk_fma_f32 v[88:89], v[82:83], v[72:73], v[86:87] op_sel:[0,0,1] op_sel_hi:[1,1,0] neg_lo:[0,0,1] neg_hi:[0,0,1]
	v_pk_fma_f32 v[82:83], v[82:83], v[72:73], v[86:87] op_sel:[0,0,1] op_sel_hi:[1,0,0]
	v_dual_mul_f32 v86, v85, v75 :: v_dual_mov_b32 v82, v85
	v_dual_mov_b32 v89, v83 :: v_dual_mov_b32 v83, v84
	s_delay_alu instid0(VALU_DEP_2) | instskip(SKIP_1) | instid1(VALU_DEP_3)
	v_pk_fma_f32 v[86:87], v[84:85], v[30:31], v[86:87] op_sel_hi:[1,1,0] neg_lo:[0,0,1] neg_hi:[0,0,1]
	v_mul_f32_e32 v84, v85, v72
	v_pk_add_f32 v[20:21], v[20:21], v[88:89] neg_lo:[0,1] neg_hi:[0,1]
	s_delay_alu instid0(VALU_DEP_2) | instskip(NEXT) | instid1(VALU_DEP_1)
	v_pk_fma_f32 v[82:83], v[82:83], v[30:31], v[84:85] op_sel_hi:[1,1,0]
	v_mov_b32_e32 v87, v83
	ds_load_2addr_b64 v[82:85], v76 offset0:13 offset1:14
	v_pk_add_f32 v[40:41], v[40:41], v[86:87] neg_lo:[0,1] neg_hi:[0,1]
	s_wait_dscnt 0x0
	v_pk_mul_f32 v[86:87], v[82:83], v[74:75] op_sel:[0,1]
	s_delay_alu instid0(VALU_DEP_1) | instskip(SKIP_1) | instid1(VALU_DEP_1)
	v_pk_fma_f32 v[88:89], v[82:83], v[72:73], v[86:87] op_sel:[0,0,1] op_sel_hi:[1,1,0] neg_lo:[0,0,1] neg_hi:[0,0,1]
	v_pk_fma_f32 v[82:83], v[82:83], v[72:73], v[86:87] op_sel:[0,0,1] op_sel_hi:[1,0,0]
	v_mov_b32_e32 v89, v83
	v_pk_mul_f32 v[82:83], v[84:85], v[74:75] op_sel:[0,1]
	s_delay_alu instid0(VALU_DEP_1) | instskip(SKIP_1) | instid1(VALU_DEP_1)
	v_pk_fma_f32 v[86:87], v[84:85], v[72:73], v[82:83] op_sel:[0,0,1] op_sel_hi:[1,1,0] neg_lo:[0,0,1] neg_hi:[0,0,1]
	v_pk_fma_f32 v[82:83], v[84:85], v[72:73], v[82:83] op_sel:[0,0,1] op_sel_hi:[1,0,0]
	v_mov_b32_e32 v87, v83
	ds_load_2addr_b64 v[82:85], v76 offset0:15 offset1:16
	v_pk_add_f32 v[36:37], v[36:37], v[88:89] neg_lo:[0,1] neg_hi:[0,1]
	v_pk_add_f32 v[38:39], v[38:39], v[86:87] neg_lo:[0,1] neg_hi:[0,1]
	s_wait_dscnt 0x0
	v_pk_mul_f32 v[86:87], v[82:83], v[74:75] op_sel:[0,1]
	s_delay_alu instid0(VALU_DEP_1) | instskip(SKIP_1) | instid1(VALU_DEP_1)
	v_pk_fma_f32 v[88:89], v[82:83], v[72:73], v[86:87] op_sel:[0,0,1] op_sel_hi:[1,1,0] neg_lo:[0,0,1] neg_hi:[0,0,1]
	v_pk_fma_f32 v[82:83], v[82:83], v[72:73], v[86:87] op_sel:[0,0,1] op_sel_hi:[1,0,0]
	v_mov_b32_e32 v89, v83
	v_pk_mul_f32 v[82:83], v[84:85], v[74:75] op_sel:[0,1]
	s_delay_alu instid0(VALU_DEP_1) | instskip(SKIP_1) | instid1(VALU_DEP_1)
	v_pk_fma_f32 v[86:87], v[84:85], v[72:73], v[82:83] op_sel:[0,0,1] op_sel_hi:[1,1,0] neg_lo:[0,0,1] neg_hi:[0,0,1]
	v_pk_fma_f32 v[82:83], v[84:85], v[72:73], v[82:83] op_sel:[0,0,1] op_sel_hi:[1,0,0]
	v_mov_b32_e32 v87, v83
	ds_load_2addr_b64 v[82:85], v76 offset0:17 offset1:18
	v_pk_add_f32 v[34:35], v[34:35], v[88:89] neg_lo:[0,1] neg_hi:[0,1]
	v_pk_add_f32 v[60:61], v[60:61], v[86:87] neg_lo:[0,1] neg_hi:[0,1]
	s_wait_dscnt 0x0
	v_dual_mul_f32 v86, v83, v75 :: v_dual_mul_f32 v88, v83, v72
	s_delay_alu instid0(VALU_DEP_1) | instskip(NEXT) | instid1(VALU_DEP_2)
	v_pk_fma_f32 v[86:87], v[82:83], v[30:31], v[86:87] op_sel_hi:[1,1,0] neg_lo:[0,0,1] neg_hi:[0,0,1]
	v_pk_fma_f32 v[82:83], v[82:83], v[30:31], v[88:89] op_sel:[1,0,0] op_sel_hi:[0,1,0]
	s_delay_alu instid0(VALU_DEP_1) | instskip(SKIP_1) | instid1(VALU_DEP_2)
	v_mov_b32_e32 v87, v83
	v_pk_mul_f32 v[82:83], v[84:85], v[74:75] op_sel:[0,1]
	v_pk_add_f32 v[56:57], v[56:57], v[86:87] neg_lo:[0,1] neg_hi:[0,1]
	s_delay_alu instid0(VALU_DEP_2) | instskip(SKIP_1) | instid1(VALU_DEP_1)
	v_pk_fma_f32 v[86:87], v[84:85], v[72:73], v[82:83] op_sel:[0,0,1] op_sel_hi:[1,1,0] neg_lo:[0,0,1] neg_hi:[0,0,1]
	v_pk_fma_f32 v[82:83], v[84:85], v[72:73], v[82:83] op_sel:[0,0,1] op_sel_hi:[1,0,0]
	v_mov_b32_e32 v87, v83
	ds_load_2addr_b64 v[82:85], v76 offset0:19 offset1:20
	v_pk_add_f32 v[58:59], v[58:59], v[86:87] neg_lo:[0,1] neg_hi:[0,1]
	s_wait_dscnt 0x0
	v_pk_mul_f32 v[86:87], v[82:83], v[74:75] op_sel:[0,1]
	s_delay_alu instid0(VALU_DEP_1) | instskip(SKIP_1) | instid1(VALU_DEP_1)
	v_pk_fma_f32 v[88:89], v[82:83], v[72:73], v[86:87] op_sel:[0,0,1] op_sel_hi:[1,1,0] neg_lo:[0,0,1] neg_hi:[0,0,1]
	v_pk_fma_f32 v[82:83], v[82:83], v[72:73], v[86:87] op_sel:[0,0,1] op_sel_hi:[1,0,0]
	v_mov_b32_e32 v89, v83
	v_pk_mul_f32 v[82:83], v[84:85], v[74:75] op_sel:[0,1]
	s_delay_alu instid0(VALU_DEP_2) | instskip(NEXT) | instid1(VALU_DEP_2)
	v_pk_add_f32 v[54:55], v[54:55], v[88:89] neg_lo:[0,1] neg_hi:[0,1]
	v_pk_fma_f32 v[86:87], v[84:85], v[72:73], v[82:83] op_sel:[0,0,1] op_sel_hi:[1,1,0] neg_lo:[0,0,1] neg_hi:[0,0,1]
	v_pk_fma_f32 v[82:83], v[84:85], v[72:73], v[82:83] op_sel:[0,0,1] op_sel_hi:[1,0,0]
	s_delay_alu instid0(VALU_DEP_1) | instskip(SKIP_4) | instid1(VALU_DEP_1)
	v_mov_b32_e32 v87, v83
	ds_load_2addr_b64 v[82:85], v76 offset0:21 offset1:22
	v_pk_add_f32 v[50:51], v[50:51], v[86:87] neg_lo:[0,1] neg_hi:[0,1]
	s_wait_dscnt 0x0
	v_pk_mul_f32 v[86:87], v[82:83], v[74:75] op_sel:[0,1]
	v_pk_fma_f32 v[88:89], v[82:83], v[72:73], v[86:87] op_sel:[0,0,1] op_sel_hi:[1,1,0] neg_lo:[0,0,1] neg_hi:[0,0,1]
	v_pk_fma_f32 v[82:83], v[82:83], v[72:73], v[86:87] op_sel:[0,0,1] op_sel_hi:[1,0,0]
	v_dual_mul_f32 v86, v85, v75 :: v_dual_mov_b32 v82, v85
	s_delay_alu instid0(VALU_DEP_2) | instskip(NEXT) | instid1(VALU_DEP_2)
	v_dual_mov_b32 v89, v83 :: v_dual_mov_b32 v83, v84
	v_pk_fma_f32 v[86:87], v[84:85], v[30:31], v[86:87] op_sel_hi:[1,1,0] neg_lo:[0,0,1] neg_hi:[0,0,1]
	v_mul_f32_e32 v84, v85, v72
	s_delay_alu instid0(VALU_DEP_3) | instskip(NEXT) | instid1(VALU_DEP_2)
	v_pk_add_f32 v[46:47], v[46:47], v[88:89] neg_lo:[0,1] neg_hi:[0,1]
	v_pk_fma_f32 v[82:83], v[82:83], v[30:31], v[84:85] op_sel_hi:[1,1,0]
	s_delay_alu instid0(VALU_DEP_1) | instskip(SKIP_4) | instid1(VALU_DEP_1)
	v_mov_b32_e32 v87, v83
	ds_load_2addr_b64 v[82:85], v76 offset0:23 offset1:24
	v_pk_add_f32 v[48:49], v[48:49], v[86:87] neg_lo:[0,1] neg_hi:[0,1]
	s_wait_dscnt 0x0
	v_pk_mul_f32 v[86:87], v[82:83], v[74:75] op_sel:[0,1]
	v_pk_fma_f32 v[88:89], v[82:83], v[72:73], v[86:87] op_sel:[0,0,1] op_sel_hi:[1,1,0] neg_lo:[0,0,1] neg_hi:[0,0,1]
	v_pk_fma_f32 v[82:83], v[82:83], v[72:73], v[86:87] op_sel:[0,0,1] op_sel_hi:[1,0,0]
	s_delay_alu instid0(VALU_DEP_1) | instskip(SKIP_1) | instid1(VALU_DEP_1)
	v_mov_b32_e32 v89, v83
	v_pk_mul_f32 v[82:83], v[84:85], v[74:75] op_sel:[0,1]
	v_pk_fma_f32 v[86:87], v[84:85], v[72:73], v[82:83] op_sel:[0,0,1] op_sel_hi:[1,1,0] neg_lo:[0,0,1] neg_hi:[0,0,1]
	v_pk_fma_f32 v[82:83], v[84:85], v[72:73], v[82:83] op_sel:[0,0,1] op_sel_hi:[1,0,0]
	s_delay_alu instid0(VALU_DEP_1)
	v_mov_b32_e32 v87, v83
	ds_load_2addr_b64 v[82:85], v76 offset0:25 offset1:26
	v_pk_add_f32 v[44:45], v[44:45], v[88:89] neg_lo:[0,1] neg_hi:[0,1]
	v_pk_add_f32 v[26:27], v[26:27], v[86:87] neg_lo:[0,1] neg_hi:[0,1]
	s_wait_dscnt 0x0
	v_pk_mul_f32 v[86:87], v[82:83], v[74:75] op_sel:[0,1]
	s_delay_alu instid0(VALU_DEP_1) | instskip(SKIP_1) | instid1(VALU_DEP_1)
	v_pk_fma_f32 v[88:89], v[82:83], v[72:73], v[86:87] op_sel:[0,0,1] op_sel_hi:[1,1,0] neg_lo:[0,0,1] neg_hi:[0,0,1]
	v_pk_fma_f32 v[82:83], v[82:83], v[72:73], v[86:87] op_sel:[0,0,1] op_sel_hi:[1,0,0]
	v_mov_b32_e32 v89, v83
	v_pk_mul_f32 v[82:83], v[84:85], v[74:75] op_sel:[0,1]
	s_delay_alu instid0(VALU_DEP_1) | instskip(SKIP_1) | instid1(VALU_DEP_1)
	v_pk_fma_f32 v[86:87], v[84:85], v[72:73], v[82:83] op_sel:[0,0,1] op_sel_hi:[1,1,0] neg_lo:[0,0,1] neg_hi:[0,0,1]
	v_pk_fma_f32 v[82:83], v[84:85], v[72:73], v[82:83] op_sel:[0,0,1] op_sel_hi:[1,0,0]
	v_mov_b32_e32 v87, v83
	ds_load_2addr_b64 v[82:85], v76 offset0:27 offset1:28
	v_pk_add_f32 v[18:19], v[18:19], v[88:89] neg_lo:[0,1] neg_hi:[0,1]
	v_pk_add_f32 v[24:25], v[24:25], v[86:87] neg_lo:[0,1] neg_hi:[0,1]
	s_wait_dscnt 0x0
	v_dual_mul_f32 v86, v83, v75 :: v_dual_mul_f32 v88, v83, v72
	s_delay_alu instid0(VALU_DEP_1) | instskip(NEXT) | instid1(VALU_DEP_2)
	v_pk_fma_f32 v[86:87], v[82:83], v[30:31], v[86:87] op_sel_hi:[1,1,0] neg_lo:[0,0,1] neg_hi:[0,0,1]
	v_pk_fma_f32 v[82:83], v[82:83], v[30:31], v[88:89] op_sel:[1,0,0] op_sel_hi:[0,1,0]
	s_delay_alu instid0(VALU_DEP_1) | instskip(SKIP_1) | instid1(VALU_DEP_2)
	v_mov_b32_e32 v87, v83
	v_pk_mul_f32 v[82:83], v[84:85], v[74:75] op_sel:[0,1]
	v_pk_add_f32 v[16:17], v[16:17], v[86:87] neg_lo:[0,1] neg_hi:[0,1]
	s_delay_alu instid0(VALU_DEP_2) | instskip(SKIP_1) | instid1(VALU_DEP_1)
	v_pk_fma_f32 v[86:87], v[84:85], v[72:73], v[82:83] op_sel:[0,0,1] op_sel_hi:[1,1,0] neg_lo:[0,0,1] neg_hi:[0,0,1]
	v_pk_fma_f32 v[82:83], v[84:85], v[72:73], v[82:83] op_sel:[0,0,1] op_sel_hi:[1,0,0]
	v_mov_b32_e32 v87, v83
	ds_load_2addr_b64 v[82:85], v76 offset0:29 offset1:30
	v_pk_add_f32 v[6:7], v[6:7], v[86:87] neg_lo:[0,1] neg_hi:[0,1]
	s_wait_dscnt 0x0
	v_pk_mul_f32 v[86:87], v[82:83], v[74:75] op_sel:[0,1]
	s_delay_alu instid0(VALU_DEP_1) | instskip(SKIP_1) | instid1(VALU_DEP_1)
	v_pk_fma_f32 v[88:89], v[82:83], v[72:73], v[86:87] op_sel:[0,0,1] op_sel_hi:[1,1,0] neg_lo:[0,0,1] neg_hi:[0,0,1]
	v_pk_fma_f32 v[82:83], v[82:83], v[72:73], v[86:87] op_sel:[0,0,1] op_sel_hi:[1,0,0]
	v_mov_b32_e32 v89, v83
	v_pk_mul_f32 v[82:83], v[84:85], v[74:75] op_sel:[0,1]
	s_delay_alu instid0(VALU_DEP_2) | instskip(NEXT) | instid1(VALU_DEP_2)
	v_pk_add_f32 v[52:53], v[52:53], v[88:89] neg_lo:[0,1] neg_hi:[0,1]
	v_pk_fma_f32 v[86:87], v[84:85], v[72:73], v[82:83] op_sel:[0,0,1] op_sel_hi:[1,1,0] neg_lo:[0,0,1] neg_hi:[0,0,1]
	v_pk_fma_f32 v[82:83], v[84:85], v[72:73], v[82:83] op_sel:[0,0,1] op_sel_hi:[1,0,0]
	s_delay_alu instid0(VALU_DEP_1)
	v_mov_b32_e32 v87, v83
	ds_load_2addr_b64 v[82:85], v76 offset0:31 offset1:32
	v_pk_add_f32 v[42:43], v[42:43], v[86:87] neg_lo:[0,1] neg_hi:[0,1]
	s_wait_dscnt 0x0
	v_pk_mul_f32 v[86:87], v[82:83], v[74:75] op_sel:[0,1]
	v_mul_f32_e32 v74, v85, v75
	s_delay_alu instid0(VALU_DEP_2) | instskip(SKIP_2) | instid1(VALU_DEP_4)
	v_pk_fma_f32 v[88:89], v[82:83], v[72:73], v[86:87] op_sel:[0,0,1] op_sel_hi:[1,1,0] neg_lo:[0,0,1] neg_hi:[0,0,1]
	v_pk_fma_f32 v[82:83], v[82:83], v[72:73], v[86:87] op_sel:[0,0,1] op_sel_hi:[1,0,0]
	v_dual_mov_b32 v82, v85 :: v_dual_mul_f32 v72, v85, v72
	v_pk_fma_f32 v[74:75], v[84:85], v[30:31], v[74:75] op_sel_hi:[1,1,0] neg_lo:[0,0,1] neg_hi:[0,0,1]
	s_delay_alu instid0(VALU_DEP_3) | instskip(NEXT) | instid1(VALU_DEP_1)
	v_dual_mov_b32 v89, v83 :: v_dual_mov_b32 v83, v84
	v_pk_add_f32 v[32:33], v[32:33], v[88:89] neg_lo:[0,1] neg_hi:[0,1]
	s_delay_alu instid0(VALU_DEP_2) | instskip(NEXT) | instid1(VALU_DEP_1)
	v_pk_fma_f32 v[72:73], v[82:83], v[30:31], v[72:73] op_sel_hi:[1,1,0]
	v_mov_b32_e32 v75, v73
	s_delay_alu instid0(VALU_DEP_1)
	v_pk_add_f32 v[70:71], v[70:71], v[74:75] neg_lo:[0,1] neg_hi:[0,1]
.LBB64_188:
	s_or_b32 exec_lo, exec_lo, s0
	v_lshl_add_u32 v72, v80, 3, v76
	s_barrier_signal -1
	s_barrier_wait -1
	ds_store_b64 v72, v[22:23]
	s_wait_dscnt 0x0
	s_barrier_signal -1
	s_barrier_wait -1
	ds_load_b64 v[74:75], v76 offset:72
	v_mov_b32_e32 v72, 9
	s_cmp_lt_i32 s18, 11
	s_cbranch_scc1 .LBB64_191
; %bb.189:
	v_add3_u32 v73, v77, 0, 0x50
	v_mov_b32_e32 v72, 9
	s_mov_b32 s0, 10
.LBB64_190:                             ; =>This Inner Loop Header: Depth=1
	ds_load_b64 v[82:83], v73
	s_wait_dscnt 0x1
	v_cmp_gt_f32_e32 vcc_lo, 0, v74
	v_cndmask_b32_e64 v84, v74, -v74, vcc_lo
	v_cmp_gt_f32_e32 vcc_lo, 0, v75
	v_cndmask_b32_e64 v86, v75, -v75, vcc_lo
	s_wait_dscnt 0x0
	v_cmp_gt_f32_e32 vcc_lo, 0, v82
	v_cndmask_b32_e64 v85, v82, -v82, vcc_lo
	v_cmp_gt_f32_e32 vcc_lo, 0, v83
	v_cndmask_b32_e64 v87, v83, -v83, vcc_lo
	s_delay_alu instid0(VALU_DEP_1) | instskip(NEXT) | instid1(VALU_DEP_1)
	v_pk_add_f32 v[84:85], v[84:85], v[86:87]
	v_cmp_lt_f32_e32 vcc_lo, v84, v85
	v_dual_add_nc_u32 v73, 8, v73 :: v_dual_cndmask_b32 v75, v75, v83, vcc_lo
	v_cndmask_b32_e32 v74, v74, v82, vcc_lo
	v_cndmask_b32_e64 v72, v72, s0, vcc_lo
	s_add_co_i32 s0, s0, 1
	s_delay_alu instid0(SALU_CYCLE_1)
	s_cmp_lg_u32 s18, s0
	s_cbranch_scc1 .LBB64_190
.LBB64_191:
	s_wait_dscnt 0x0
	v_cmp_eq_f32_e32 vcc_lo, 0, v74
	v_cmp_eq_f32_e64 s0, 0, v75
	s_and_b32 s0, vcc_lo, s0
	s_delay_alu instid0(SALU_CYCLE_1) | instskip(NEXT) | instid1(SALU_CYCLE_1)
	s_and_saveexec_b32 s1, s0
	s_xor_b32 s0, exec_lo, s1
; %bb.192:
	v_cmp_ne_u32_e32 vcc_lo, 0, v78
	v_cndmask_b32_e32 v78, 10, v78, vcc_lo
; %bb.193:
	s_and_not1_saveexec_b32 s0, s0
	s_cbranch_execz .LBB64_199
; %bb.194:
	v_cmp_ngt_f32_e64 s1, |v74|, |v75|
	s_and_saveexec_b32 s12, s1
	s_delay_alu instid0(SALU_CYCLE_1)
	s_xor_b32 s1, exec_lo, s12
	s_cbranch_execz .LBB64_196
; %bb.195:
	v_div_scale_f32 v73, null, v75, v75, v74
	v_div_scale_f32 v83, vcc_lo, v74, v75, v74
	s_delay_alu instid0(VALU_DEP_2) | instskip(SKIP_1) | instid1(TRANS32_DEP_1)
	v_rcp_f32_e32 v81, v73
	v_nop
	v_fma_f32 v82, -v73, v81, 1.0
	s_delay_alu instid0(VALU_DEP_1) | instskip(NEXT) | instid1(VALU_DEP_1)
	v_fmac_f32_e32 v81, v82, v81
	v_mul_f32_e32 v82, v83, v81
	s_delay_alu instid0(VALU_DEP_1) | instskip(NEXT) | instid1(VALU_DEP_1)
	v_fma_f32 v84, -v73, v82, v83
	v_fmac_f32_e32 v82, v84, v81
	s_delay_alu instid0(VALU_DEP_1) | instskip(NEXT) | instid1(VALU_DEP_1)
	v_fma_f32 v73, -v73, v82, v83
	v_div_fmas_f32 v73, v73, v81, v82
	s_delay_alu instid0(VALU_DEP_1) | instskip(NEXT) | instid1(VALU_DEP_1)
	v_div_fixup_f32 v73, v73, v75, v74
	v_fmac_f32_e32 v75, v74, v73
	s_delay_alu instid0(VALU_DEP_1) | instskip(SKIP_1) | instid1(VALU_DEP_2)
	v_div_scale_f32 v74, null, v75, v75, 1.0
	v_div_scale_f32 v83, vcc_lo, 1.0, v75, 1.0
	v_rcp_f32_e32 v81, v74
	v_nop
	s_delay_alu instid0(TRANS32_DEP_1) | instskip(NEXT) | instid1(VALU_DEP_1)
	v_fma_f32 v82, -v74, v81, 1.0
	v_fmac_f32_e32 v81, v82, v81
	s_delay_alu instid0(VALU_DEP_1) | instskip(NEXT) | instid1(VALU_DEP_1)
	v_mul_f32_e32 v82, v83, v81
	v_fma_f32 v84, -v74, v82, v83
	s_delay_alu instid0(VALU_DEP_1) | instskip(NEXT) | instid1(VALU_DEP_1)
	v_fmac_f32_e32 v82, v84, v81
	v_fma_f32 v74, -v74, v82, v83
	s_delay_alu instid0(VALU_DEP_1) | instskip(NEXT) | instid1(VALU_DEP_1)
	v_div_fmas_f32 v74, v74, v81, v82
	v_div_fixup_f32 v75, v74, v75, 1.0
	s_delay_alu instid0(VALU_DEP_1)
	v_mul_f32_e32 v74, v73, v75
	v_xor_b32_e32 v75, 0x80000000, v75
.LBB64_196:
	s_and_not1_saveexec_b32 s1, s1
	s_cbranch_execz .LBB64_198
; %bb.197:
	s_delay_alu instid0(VALU_DEP_1) | instskip(SKIP_1) | instid1(VALU_DEP_2)
	v_div_scale_f32 v73, null, v74, v74, v75
	v_div_scale_f32 v83, vcc_lo, v75, v74, v75
	v_rcp_f32_e32 v81, v73
	v_nop
	s_delay_alu instid0(TRANS32_DEP_1) | instskip(NEXT) | instid1(VALU_DEP_1)
	v_fma_f32 v82, -v73, v81, 1.0
	v_fmac_f32_e32 v81, v82, v81
	s_delay_alu instid0(VALU_DEP_1) | instskip(NEXT) | instid1(VALU_DEP_1)
	v_mul_f32_e32 v82, v83, v81
	v_fma_f32 v84, -v73, v82, v83
	s_delay_alu instid0(VALU_DEP_1) | instskip(NEXT) | instid1(VALU_DEP_1)
	v_fmac_f32_e32 v82, v84, v81
	v_fma_f32 v73, -v73, v82, v83
	s_delay_alu instid0(VALU_DEP_1) | instskip(NEXT) | instid1(VALU_DEP_1)
	v_div_fmas_f32 v73, v73, v81, v82
	v_div_fixup_f32 v73, v73, v74, v75
	s_delay_alu instid0(VALU_DEP_1) | instskip(NEXT) | instid1(VALU_DEP_1)
	v_fmac_f32_e32 v74, v75, v73
	v_div_scale_f32 v75, null, v74, v74, 1.0
	s_delay_alu instid0(VALU_DEP_1) | instskip(SKIP_1) | instid1(TRANS32_DEP_1)
	v_rcp_f32_e32 v81, v75
	v_nop
	v_fma_f32 v82, -v75, v81, 1.0
	s_delay_alu instid0(VALU_DEP_1) | instskip(SKIP_1) | instid1(VALU_DEP_1)
	v_fmac_f32_e32 v81, v82, v81
	v_div_scale_f32 v82, vcc_lo, 1.0, v74, 1.0
	v_mul_f32_e32 v83, v82, v81
	s_delay_alu instid0(VALU_DEP_1) | instskip(NEXT) | instid1(VALU_DEP_1)
	v_fma_f32 v84, -v75, v83, v82
	v_fmac_f32_e32 v83, v84, v81
	s_delay_alu instid0(VALU_DEP_1) | instskip(NEXT) | instid1(VALU_DEP_1)
	v_fma_f32 v75, -v75, v83, v82
	v_div_fmas_f32 v75, v75, v81, v83
	s_delay_alu instid0(VALU_DEP_1) | instskip(NEXT) | instid1(VALU_DEP_1)
	v_div_fixup_f32 v74, v75, v74, 1.0
	v_mul_f32_e64 v75, v73, -v74
.LBB64_198:
	s_or_b32 exec_lo, exec_lo, s1
.LBB64_199:
	s_delay_alu instid0(SALU_CYCLE_1) | instskip(NEXT) | instid1(SALU_CYCLE_1)
	s_or_b32 exec_lo, exec_lo, s0
	s_mov_b32 s0, exec_lo
	v_cmpx_ne_u32_e64 v80, v72
	s_xor_b32 s0, exec_lo, s0
	s_cbranch_execz .LBB64_205
; %bb.200:
	s_mov_b32 s1, exec_lo
	v_cmpx_eq_u32_e32 9, v80
	s_cbranch_execz .LBB64_204
; %bb.201:
	v_cmp_ne_u32_e32 vcc_lo, 9, v72
	s_xor_b32 s12, s16, -1
	s_delay_alu instid0(SALU_CYCLE_1) | instskip(NEXT) | instid1(SALU_CYCLE_1)
	s_and_b32 s13, s12, vcc_lo
	s_and_saveexec_b32 s12, s13
	s_cbranch_execz .LBB64_203
; %bb.202:
	v_ashrrev_i32_e32 v73, 31, v72
	s_delay_alu instid0(VALU_DEP_1)
	v_lshl_add_u64 v[80:81], v[72:73], 2, v[4:5]
	s_clause 0x1
	global_load_b32 v73, v[80:81], off
	global_load_b32 v79, v[4:5], off offset:36
	s_wait_loadcnt 0x1
	global_store_b32 v[4:5], v73, off offset:36
	s_wait_loadcnt 0x0
	global_store_b32 v[80:81], v79, off
.LBB64_203:
	s_wait_xcnt 0x0
	s_or_b32 exec_lo, exec_lo, s12
	v_dual_mov_b32 v80, v72 :: v_dual_mov_b32 v79, v72
.LBB64_204:
	s_or_b32 exec_lo, exec_lo, s1
.LBB64_205:
	s_and_not1_saveexec_b32 s0, s0
	s_cbranch_execz .LBB64_207
; %bb.206:
	v_dual_mov_b32 v72, v28 :: v_dual_mov_b32 v73, v29
	v_dual_mov_b32 v80, v20 :: v_dual_mov_b32 v81, v21
	ds_store_2addr_b64 v76, v[72:73], v[80:81] offset0:10 offset1:11
	v_dual_mov_b32 v72, v40 :: v_dual_mov_b32 v73, v41
	v_dual_mov_b32 v80, v36 :: v_dual_mov_b32 v81, v37
	ds_store_2addr_b64 v76, v[72:73], v[80:81] offset0:12 offset1:13
	;; [unrolled: 3-line block ×11, first 2 shown]
	ds_store_b64 v76, v[70:71] offset:256
	v_mov_b32_e32 v80, 9
.LBB64_207:
	s_or_b32 exec_lo, exec_lo, s0
	s_delay_alu instid0(SALU_CYCLE_1)
	s_mov_b32 s0, exec_lo
	s_wait_storecnt_dscnt 0x0
	s_barrier_signal -1
	s_barrier_wait -1
	v_cmpx_lt_i32_e32 9, v80
	s_cbranch_execz .LBB64_209
; %bb.208:
	v_pk_mul_f32 v[82:83], v[74:75], v[22:23] op_sel:[1,1] op_sel_hi:[0,1]
	s_delay_alu instid0(VALU_DEP_1)
	v_pk_fma_f32 v[72:73], v[74:75], v[22:23], v[82:83] op_sel_hi:[1,0,1] neg_lo:[0,0,1] neg_hi:[0,0,1]
	v_pk_fma_f32 v[74:75], v[74:75], v[22:23], v[82:83] op_sel_hi:[1,0,1]
	ds_load_2addr_b64 v[82:85], v76 offset0:10 offset1:11
	v_dual_mov_b32 v22, v72 :: v_dual_mov_b32 v23, v75
	s_wait_dscnt 0x0
	v_pk_mul_f32 v[86:87], v[82:83], v[74:75] op_sel:[0,1]
	s_delay_alu instid0(VALU_DEP_1) | instskip(SKIP_1) | instid1(VALU_DEP_1)
	v_pk_fma_f32 v[88:89], v[82:83], v[72:73], v[86:87] op_sel:[0,0,1] op_sel_hi:[1,1,0] neg_lo:[0,0,1] neg_hi:[0,0,1]
	v_pk_fma_f32 v[82:83], v[82:83], v[72:73], v[86:87] op_sel:[0,0,1] op_sel_hi:[1,0,0]
	v_mov_b32_e32 v89, v83
	v_pk_mul_f32 v[82:83], v[84:85], v[74:75] op_sel:[0,1]
	s_delay_alu instid0(VALU_DEP_1) | instskip(SKIP_1) | instid1(VALU_DEP_1)
	v_pk_fma_f32 v[86:87], v[84:85], v[72:73], v[82:83] op_sel:[0,0,1] op_sel_hi:[1,1,0] neg_lo:[0,0,1] neg_hi:[0,0,1]
	v_pk_fma_f32 v[82:83], v[84:85], v[72:73], v[82:83] op_sel:[0,0,1] op_sel_hi:[1,0,0]
	v_mov_b32_e32 v87, v83
	ds_load_2addr_b64 v[82:85], v76 offset0:12 offset1:13
	v_pk_add_f32 v[28:29], v[28:29], v[88:89] neg_lo:[0,1] neg_hi:[0,1]
	v_pk_add_f32 v[20:21], v[20:21], v[86:87] neg_lo:[0,1] neg_hi:[0,1]
	s_wait_dscnt 0x0
	v_pk_mul_f32 v[86:87], v[82:83], v[74:75] op_sel:[0,1]
	s_delay_alu instid0(VALU_DEP_1) | instskip(SKIP_2) | instid1(VALU_DEP_2)
	v_pk_fma_f32 v[88:89], v[82:83], v[72:73], v[86:87] op_sel:[0,0,1] op_sel_hi:[1,1,0] neg_lo:[0,0,1] neg_hi:[0,0,1]
	v_pk_fma_f32 v[82:83], v[82:83], v[72:73], v[86:87] op_sel:[0,0,1] op_sel_hi:[1,0,0]
	v_dual_mul_f32 v86, v85, v75 :: v_dual_mov_b32 v82, v85
	v_dual_mov_b32 v89, v83 :: v_dual_mov_b32 v83, v84
	s_delay_alu instid0(VALU_DEP_2) | instskip(SKIP_1) | instid1(VALU_DEP_3)
	v_pk_fma_f32 v[86:87], v[84:85], v[22:23], v[86:87] op_sel_hi:[1,1,0] neg_lo:[0,0,1] neg_hi:[0,0,1]
	v_mul_f32_e32 v84, v85, v72
	v_pk_add_f32 v[40:41], v[40:41], v[88:89] neg_lo:[0,1] neg_hi:[0,1]
	s_delay_alu instid0(VALU_DEP_2) | instskip(NEXT) | instid1(VALU_DEP_1)
	v_pk_fma_f32 v[82:83], v[82:83], v[22:23], v[84:85] op_sel_hi:[1,1,0]
	v_mov_b32_e32 v87, v83
	ds_load_2addr_b64 v[82:85], v76 offset0:14 offset1:15
	v_pk_add_f32 v[36:37], v[36:37], v[86:87] neg_lo:[0,1] neg_hi:[0,1]
	s_wait_dscnt 0x0
	v_pk_mul_f32 v[86:87], v[82:83], v[74:75] op_sel:[0,1]
	s_delay_alu instid0(VALU_DEP_1) | instskip(SKIP_1) | instid1(VALU_DEP_1)
	v_pk_fma_f32 v[88:89], v[82:83], v[72:73], v[86:87] op_sel:[0,0,1] op_sel_hi:[1,1,0] neg_lo:[0,0,1] neg_hi:[0,0,1]
	v_pk_fma_f32 v[82:83], v[82:83], v[72:73], v[86:87] op_sel:[0,0,1] op_sel_hi:[1,0,0]
	v_mov_b32_e32 v89, v83
	v_pk_mul_f32 v[82:83], v[84:85], v[74:75] op_sel:[0,1]
	s_delay_alu instid0(VALU_DEP_1) | instskip(SKIP_1) | instid1(VALU_DEP_1)
	v_pk_fma_f32 v[86:87], v[84:85], v[72:73], v[82:83] op_sel:[0,0,1] op_sel_hi:[1,1,0] neg_lo:[0,0,1] neg_hi:[0,0,1]
	v_pk_fma_f32 v[82:83], v[84:85], v[72:73], v[82:83] op_sel:[0,0,1] op_sel_hi:[1,0,0]
	v_mov_b32_e32 v87, v83
	ds_load_2addr_b64 v[82:85], v76 offset0:16 offset1:17
	v_pk_add_f32 v[38:39], v[38:39], v[88:89] neg_lo:[0,1] neg_hi:[0,1]
	v_pk_add_f32 v[34:35], v[34:35], v[86:87] neg_lo:[0,1] neg_hi:[0,1]
	s_wait_dscnt 0x0
	v_pk_mul_f32 v[86:87], v[82:83], v[74:75] op_sel:[0,1]
	s_delay_alu instid0(VALU_DEP_1) | instskip(SKIP_1) | instid1(VALU_DEP_1)
	v_pk_fma_f32 v[88:89], v[82:83], v[72:73], v[86:87] op_sel:[0,0,1] op_sel_hi:[1,1,0] neg_lo:[0,0,1] neg_hi:[0,0,1]
	v_pk_fma_f32 v[82:83], v[82:83], v[72:73], v[86:87] op_sel:[0,0,1] op_sel_hi:[1,0,0]
	v_mov_b32_e32 v89, v83
	v_pk_mul_f32 v[82:83], v[84:85], v[74:75] op_sel:[0,1]
	s_delay_alu instid0(VALU_DEP_1) | instskip(SKIP_1) | instid1(VALU_DEP_1)
	v_pk_fma_f32 v[86:87], v[84:85], v[72:73], v[82:83] op_sel:[0,0,1] op_sel_hi:[1,1,0] neg_lo:[0,0,1] neg_hi:[0,0,1]
	v_pk_fma_f32 v[82:83], v[84:85], v[72:73], v[82:83] op_sel:[0,0,1] op_sel_hi:[1,0,0]
	v_mov_b32_e32 v87, v83
	ds_load_2addr_b64 v[82:85], v76 offset0:18 offset1:19
	v_pk_add_f32 v[60:61], v[60:61], v[88:89] neg_lo:[0,1] neg_hi:[0,1]
	v_pk_add_f32 v[56:57], v[56:57], v[86:87] neg_lo:[0,1] neg_hi:[0,1]
	s_wait_dscnt 0x0
	v_dual_mul_f32 v86, v83, v75 :: v_dual_mul_f32 v88, v83, v72
	s_delay_alu instid0(VALU_DEP_1) | instskip(NEXT) | instid1(VALU_DEP_2)
	v_pk_fma_f32 v[86:87], v[82:83], v[22:23], v[86:87] op_sel_hi:[1,1,0] neg_lo:[0,0,1] neg_hi:[0,0,1]
	v_pk_fma_f32 v[82:83], v[82:83], v[22:23], v[88:89] op_sel:[1,0,0] op_sel_hi:[0,1,0]
	s_delay_alu instid0(VALU_DEP_1) | instskip(SKIP_1) | instid1(VALU_DEP_2)
	v_mov_b32_e32 v87, v83
	v_pk_mul_f32 v[82:83], v[84:85], v[74:75] op_sel:[0,1]
	v_pk_add_f32 v[58:59], v[58:59], v[86:87] neg_lo:[0,1] neg_hi:[0,1]
	s_delay_alu instid0(VALU_DEP_2) | instskip(SKIP_1) | instid1(VALU_DEP_1)
	v_pk_fma_f32 v[86:87], v[84:85], v[72:73], v[82:83] op_sel:[0,0,1] op_sel_hi:[1,1,0] neg_lo:[0,0,1] neg_hi:[0,0,1]
	v_pk_fma_f32 v[82:83], v[84:85], v[72:73], v[82:83] op_sel:[0,0,1] op_sel_hi:[1,0,0]
	v_mov_b32_e32 v87, v83
	ds_load_2addr_b64 v[82:85], v76 offset0:20 offset1:21
	v_pk_add_f32 v[54:55], v[54:55], v[86:87] neg_lo:[0,1] neg_hi:[0,1]
	s_wait_dscnt 0x0
	v_pk_mul_f32 v[86:87], v[82:83], v[74:75] op_sel:[0,1]
	s_delay_alu instid0(VALU_DEP_1) | instskip(SKIP_1) | instid1(VALU_DEP_1)
	v_pk_fma_f32 v[88:89], v[82:83], v[72:73], v[86:87] op_sel:[0,0,1] op_sel_hi:[1,1,0] neg_lo:[0,0,1] neg_hi:[0,0,1]
	v_pk_fma_f32 v[82:83], v[82:83], v[72:73], v[86:87] op_sel:[0,0,1] op_sel_hi:[1,0,0]
	v_mov_b32_e32 v89, v83
	v_pk_mul_f32 v[82:83], v[84:85], v[74:75] op_sel:[0,1]
	s_delay_alu instid0(VALU_DEP_2) | instskip(NEXT) | instid1(VALU_DEP_2)
	v_pk_add_f32 v[50:51], v[50:51], v[88:89] neg_lo:[0,1] neg_hi:[0,1]
	v_pk_fma_f32 v[86:87], v[84:85], v[72:73], v[82:83] op_sel:[0,0,1] op_sel_hi:[1,1,0] neg_lo:[0,0,1] neg_hi:[0,0,1]
	v_pk_fma_f32 v[82:83], v[84:85], v[72:73], v[82:83] op_sel:[0,0,1] op_sel_hi:[1,0,0]
	s_delay_alu instid0(VALU_DEP_1) | instskip(SKIP_4) | instid1(VALU_DEP_1)
	v_mov_b32_e32 v87, v83
	ds_load_2addr_b64 v[82:85], v76 offset0:22 offset1:23
	v_pk_add_f32 v[46:47], v[46:47], v[86:87] neg_lo:[0,1] neg_hi:[0,1]
	s_wait_dscnt 0x0
	v_pk_mul_f32 v[86:87], v[82:83], v[74:75] op_sel:[0,1]
	v_pk_fma_f32 v[88:89], v[82:83], v[72:73], v[86:87] op_sel:[0,0,1] op_sel_hi:[1,1,0] neg_lo:[0,0,1] neg_hi:[0,0,1]
	v_pk_fma_f32 v[82:83], v[82:83], v[72:73], v[86:87] op_sel:[0,0,1] op_sel_hi:[1,0,0]
	v_dual_mul_f32 v86, v85, v75 :: v_dual_mov_b32 v82, v85
	s_delay_alu instid0(VALU_DEP_2) | instskip(NEXT) | instid1(VALU_DEP_2)
	v_dual_mov_b32 v89, v83 :: v_dual_mov_b32 v83, v84
	v_pk_fma_f32 v[86:87], v[84:85], v[22:23], v[86:87] op_sel_hi:[1,1,0] neg_lo:[0,0,1] neg_hi:[0,0,1]
	v_mul_f32_e32 v84, v85, v72
	s_delay_alu instid0(VALU_DEP_3) | instskip(NEXT) | instid1(VALU_DEP_2)
	v_pk_add_f32 v[48:49], v[48:49], v[88:89] neg_lo:[0,1] neg_hi:[0,1]
	v_pk_fma_f32 v[82:83], v[82:83], v[22:23], v[84:85] op_sel_hi:[1,1,0]
	s_delay_alu instid0(VALU_DEP_1) | instskip(SKIP_4) | instid1(VALU_DEP_1)
	v_mov_b32_e32 v87, v83
	ds_load_2addr_b64 v[82:85], v76 offset0:24 offset1:25
	v_pk_add_f32 v[44:45], v[44:45], v[86:87] neg_lo:[0,1] neg_hi:[0,1]
	s_wait_dscnt 0x0
	v_pk_mul_f32 v[86:87], v[82:83], v[74:75] op_sel:[0,1]
	v_pk_fma_f32 v[88:89], v[82:83], v[72:73], v[86:87] op_sel:[0,0,1] op_sel_hi:[1,1,0] neg_lo:[0,0,1] neg_hi:[0,0,1]
	v_pk_fma_f32 v[82:83], v[82:83], v[72:73], v[86:87] op_sel:[0,0,1] op_sel_hi:[1,0,0]
	s_delay_alu instid0(VALU_DEP_1) | instskip(SKIP_1) | instid1(VALU_DEP_1)
	v_mov_b32_e32 v89, v83
	v_pk_mul_f32 v[82:83], v[84:85], v[74:75] op_sel:[0,1]
	v_pk_fma_f32 v[86:87], v[84:85], v[72:73], v[82:83] op_sel:[0,0,1] op_sel_hi:[1,1,0] neg_lo:[0,0,1] neg_hi:[0,0,1]
	v_pk_fma_f32 v[82:83], v[84:85], v[72:73], v[82:83] op_sel:[0,0,1] op_sel_hi:[1,0,0]
	s_delay_alu instid0(VALU_DEP_1)
	v_mov_b32_e32 v87, v83
	ds_load_2addr_b64 v[82:85], v76 offset0:26 offset1:27
	v_pk_add_f32 v[26:27], v[26:27], v[88:89] neg_lo:[0,1] neg_hi:[0,1]
	v_pk_add_f32 v[18:19], v[18:19], v[86:87] neg_lo:[0,1] neg_hi:[0,1]
	s_wait_dscnt 0x0
	v_pk_mul_f32 v[86:87], v[82:83], v[74:75] op_sel:[0,1]
	s_delay_alu instid0(VALU_DEP_1) | instskip(SKIP_1) | instid1(VALU_DEP_1)
	v_pk_fma_f32 v[88:89], v[82:83], v[72:73], v[86:87] op_sel:[0,0,1] op_sel_hi:[1,1,0] neg_lo:[0,0,1] neg_hi:[0,0,1]
	v_pk_fma_f32 v[82:83], v[82:83], v[72:73], v[86:87] op_sel:[0,0,1] op_sel_hi:[1,0,0]
	v_mov_b32_e32 v89, v83
	v_pk_mul_f32 v[82:83], v[84:85], v[74:75] op_sel:[0,1]
	s_delay_alu instid0(VALU_DEP_1) | instskip(SKIP_1) | instid1(VALU_DEP_1)
	v_pk_fma_f32 v[86:87], v[84:85], v[72:73], v[82:83] op_sel:[0,0,1] op_sel_hi:[1,1,0] neg_lo:[0,0,1] neg_hi:[0,0,1]
	v_pk_fma_f32 v[82:83], v[84:85], v[72:73], v[82:83] op_sel:[0,0,1] op_sel_hi:[1,0,0]
	v_mov_b32_e32 v87, v83
	ds_load_2addr_b64 v[82:85], v76 offset0:28 offset1:29
	v_pk_add_f32 v[24:25], v[24:25], v[88:89] neg_lo:[0,1] neg_hi:[0,1]
	v_pk_add_f32 v[16:17], v[16:17], v[86:87] neg_lo:[0,1] neg_hi:[0,1]
	s_wait_dscnt 0x0
	v_dual_mul_f32 v86, v83, v75 :: v_dual_mul_f32 v88, v83, v72
	s_delay_alu instid0(VALU_DEP_1) | instskip(NEXT) | instid1(VALU_DEP_2)
	v_pk_fma_f32 v[86:87], v[82:83], v[22:23], v[86:87] op_sel_hi:[1,1,0] neg_lo:[0,0,1] neg_hi:[0,0,1]
	v_pk_fma_f32 v[82:83], v[82:83], v[22:23], v[88:89] op_sel:[1,0,0] op_sel_hi:[0,1,0]
	s_delay_alu instid0(VALU_DEP_1) | instskip(SKIP_1) | instid1(VALU_DEP_2)
	v_mov_b32_e32 v87, v83
	v_pk_mul_f32 v[82:83], v[84:85], v[74:75] op_sel:[0,1]
	v_pk_add_f32 v[6:7], v[6:7], v[86:87] neg_lo:[0,1] neg_hi:[0,1]
	s_delay_alu instid0(VALU_DEP_2) | instskip(SKIP_1) | instid1(VALU_DEP_1)
	v_pk_fma_f32 v[86:87], v[84:85], v[72:73], v[82:83] op_sel:[0,0,1] op_sel_hi:[1,1,0] neg_lo:[0,0,1] neg_hi:[0,0,1]
	v_pk_fma_f32 v[82:83], v[84:85], v[72:73], v[82:83] op_sel:[0,0,1] op_sel_hi:[1,0,0]
	v_mov_b32_e32 v87, v83
	ds_load_2addr_b64 v[82:85], v76 offset0:30 offset1:31
	v_pk_add_f32 v[52:53], v[52:53], v[86:87] neg_lo:[0,1] neg_hi:[0,1]
	s_wait_dscnt 0x0
	v_pk_mul_f32 v[86:87], v[82:83], v[74:75] op_sel:[0,1]
	s_delay_alu instid0(VALU_DEP_1) | instskip(SKIP_1) | instid1(VALU_DEP_1)
	v_pk_fma_f32 v[88:89], v[82:83], v[72:73], v[86:87] op_sel:[0,0,1] op_sel_hi:[1,1,0] neg_lo:[0,0,1] neg_hi:[0,0,1]
	v_pk_fma_f32 v[82:83], v[82:83], v[72:73], v[86:87] op_sel:[0,0,1] op_sel_hi:[1,0,0]
	v_mov_b32_e32 v89, v83
	v_pk_mul_f32 v[82:83], v[84:85], v[74:75] op_sel:[0,1]
	s_delay_alu instid0(VALU_DEP_2) | instskip(NEXT) | instid1(VALU_DEP_2)
	v_pk_add_f32 v[42:43], v[42:43], v[88:89] neg_lo:[0,1] neg_hi:[0,1]
	v_pk_fma_f32 v[86:87], v[84:85], v[72:73], v[82:83] op_sel:[0,0,1] op_sel_hi:[1,1,0] neg_lo:[0,0,1] neg_hi:[0,0,1]
	v_pk_fma_f32 v[82:83], v[84:85], v[72:73], v[82:83] op_sel:[0,0,1] op_sel_hi:[1,0,0]
	s_delay_alu instid0(VALU_DEP_1) | instskip(SKIP_4) | instid1(VALU_DEP_1)
	v_mov_b32_e32 v87, v83
	ds_load_b64 v[82:83], v76 offset:256
	v_pk_add_f32 v[32:33], v[32:33], v[86:87] neg_lo:[0,1] neg_hi:[0,1]
	s_wait_dscnt 0x0
	v_pk_mul_f32 v[74:75], v[82:83], v[74:75] op_sel:[0,1]
	v_pk_fma_f32 v[84:85], v[82:83], v[72:73], v[74:75] op_sel:[0,0,1] op_sel_hi:[1,1,0] neg_lo:[0,0,1] neg_hi:[0,0,1]
	v_pk_fma_f32 v[72:73], v[82:83], v[72:73], v[74:75] op_sel:[0,0,1] op_sel_hi:[1,0,0]
	s_delay_alu instid0(VALU_DEP_1) | instskip(NEXT) | instid1(VALU_DEP_1)
	v_mov_b32_e32 v85, v73
	v_pk_add_f32 v[70:71], v[70:71], v[84:85] neg_lo:[0,1] neg_hi:[0,1]
.LBB64_209:
	s_or_b32 exec_lo, exec_lo, s0
	v_lshl_add_u32 v72, v80, 3, v76
	s_barrier_signal -1
	s_barrier_wait -1
	ds_store_b64 v72, v[28:29]
	s_wait_dscnt 0x0
	s_barrier_signal -1
	s_barrier_wait -1
	ds_load_b64 v[74:75], v76 offset:80
	v_mov_b32_e32 v72, 10
	s_cmp_lt_i32 s18, 12
	s_cbranch_scc1 .LBB64_212
; %bb.210:
	v_add3_u32 v73, v77, 0, 0x58
	v_mov_b32_e32 v72, 10
	s_mov_b32 s0, 11
.LBB64_211:                             ; =>This Inner Loop Header: Depth=1
	ds_load_b64 v[82:83], v73
	s_wait_dscnt 0x1
	v_cmp_gt_f32_e32 vcc_lo, 0, v74
	v_cndmask_b32_e64 v84, v74, -v74, vcc_lo
	v_cmp_gt_f32_e32 vcc_lo, 0, v75
	v_cndmask_b32_e64 v86, v75, -v75, vcc_lo
	s_wait_dscnt 0x0
	v_cmp_gt_f32_e32 vcc_lo, 0, v82
	v_cndmask_b32_e64 v85, v82, -v82, vcc_lo
	v_cmp_gt_f32_e32 vcc_lo, 0, v83
	v_cndmask_b32_e64 v87, v83, -v83, vcc_lo
	s_delay_alu instid0(VALU_DEP_1) | instskip(NEXT) | instid1(VALU_DEP_1)
	v_pk_add_f32 v[84:85], v[84:85], v[86:87]
	v_cmp_lt_f32_e32 vcc_lo, v84, v85
	v_dual_add_nc_u32 v73, 8, v73 :: v_dual_cndmask_b32 v75, v75, v83, vcc_lo
	v_cndmask_b32_e32 v74, v74, v82, vcc_lo
	v_cndmask_b32_e64 v72, v72, s0, vcc_lo
	s_add_co_i32 s0, s0, 1
	s_delay_alu instid0(SALU_CYCLE_1)
	s_cmp_lg_u32 s18, s0
	s_cbranch_scc1 .LBB64_211
.LBB64_212:
	s_wait_dscnt 0x0
	v_cmp_eq_f32_e32 vcc_lo, 0, v74
	v_cmp_eq_f32_e64 s0, 0, v75
	s_and_b32 s0, vcc_lo, s0
	s_delay_alu instid0(SALU_CYCLE_1) | instskip(NEXT) | instid1(SALU_CYCLE_1)
	s_and_saveexec_b32 s1, s0
	s_xor_b32 s0, exec_lo, s1
; %bb.213:
	v_cmp_ne_u32_e32 vcc_lo, 0, v78
	v_cndmask_b32_e32 v78, 11, v78, vcc_lo
; %bb.214:
	s_and_not1_saveexec_b32 s0, s0
	s_cbranch_execz .LBB64_220
; %bb.215:
	v_cmp_ngt_f32_e64 s1, |v74|, |v75|
	s_and_saveexec_b32 s12, s1
	s_delay_alu instid0(SALU_CYCLE_1)
	s_xor_b32 s1, exec_lo, s12
	s_cbranch_execz .LBB64_217
; %bb.216:
	v_div_scale_f32 v73, null, v75, v75, v74
	v_div_scale_f32 v83, vcc_lo, v74, v75, v74
	s_delay_alu instid0(VALU_DEP_2) | instskip(SKIP_1) | instid1(TRANS32_DEP_1)
	v_rcp_f32_e32 v81, v73
	v_nop
	v_fma_f32 v82, -v73, v81, 1.0
	s_delay_alu instid0(VALU_DEP_1) | instskip(NEXT) | instid1(VALU_DEP_1)
	v_fmac_f32_e32 v81, v82, v81
	v_mul_f32_e32 v82, v83, v81
	s_delay_alu instid0(VALU_DEP_1) | instskip(NEXT) | instid1(VALU_DEP_1)
	v_fma_f32 v84, -v73, v82, v83
	v_fmac_f32_e32 v82, v84, v81
	s_delay_alu instid0(VALU_DEP_1) | instskip(NEXT) | instid1(VALU_DEP_1)
	v_fma_f32 v73, -v73, v82, v83
	v_div_fmas_f32 v73, v73, v81, v82
	s_delay_alu instid0(VALU_DEP_1) | instskip(NEXT) | instid1(VALU_DEP_1)
	v_div_fixup_f32 v73, v73, v75, v74
	v_fmac_f32_e32 v75, v74, v73
	s_delay_alu instid0(VALU_DEP_1) | instskip(SKIP_1) | instid1(VALU_DEP_2)
	v_div_scale_f32 v74, null, v75, v75, 1.0
	v_div_scale_f32 v83, vcc_lo, 1.0, v75, 1.0
	v_rcp_f32_e32 v81, v74
	v_nop
	s_delay_alu instid0(TRANS32_DEP_1) | instskip(NEXT) | instid1(VALU_DEP_1)
	v_fma_f32 v82, -v74, v81, 1.0
	v_fmac_f32_e32 v81, v82, v81
	s_delay_alu instid0(VALU_DEP_1) | instskip(NEXT) | instid1(VALU_DEP_1)
	v_mul_f32_e32 v82, v83, v81
	v_fma_f32 v84, -v74, v82, v83
	s_delay_alu instid0(VALU_DEP_1) | instskip(NEXT) | instid1(VALU_DEP_1)
	v_fmac_f32_e32 v82, v84, v81
	v_fma_f32 v74, -v74, v82, v83
	s_delay_alu instid0(VALU_DEP_1) | instskip(NEXT) | instid1(VALU_DEP_1)
	v_div_fmas_f32 v74, v74, v81, v82
	v_div_fixup_f32 v75, v74, v75, 1.0
	s_delay_alu instid0(VALU_DEP_1)
	v_mul_f32_e32 v74, v73, v75
	v_xor_b32_e32 v75, 0x80000000, v75
.LBB64_217:
	s_and_not1_saveexec_b32 s1, s1
	s_cbranch_execz .LBB64_219
; %bb.218:
	s_delay_alu instid0(VALU_DEP_1) | instskip(SKIP_1) | instid1(VALU_DEP_2)
	v_div_scale_f32 v73, null, v74, v74, v75
	v_div_scale_f32 v83, vcc_lo, v75, v74, v75
	v_rcp_f32_e32 v81, v73
	v_nop
	s_delay_alu instid0(TRANS32_DEP_1) | instskip(NEXT) | instid1(VALU_DEP_1)
	v_fma_f32 v82, -v73, v81, 1.0
	v_fmac_f32_e32 v81, v82, v81
	s_delay_alu instid0(VALU_DEP_1) | instskip(NEXT) | instid1(VALU_DEP_1)
	v_mul_f32_e32 v82, v83, v81
	v_fma_f32 v84, -v73, v82, v83
	s_delay_alu instid0(VALU_DEP_1) | instskip(NEXT) | instid1(VALU_DEP_1)
	v_fmac_f32_e32 v82, v84, v81
	v_fma_f32 v73, -v73, v82, v83
	s_delay_alu instid0(VALU_DEP_1) | instskip(NEXT) | instid1(VALU_DEP_1)
	v_div_fmas_f32 v73, v73, v81, v82
	v_div_fixup_f32 v73, v73, v74, v75
	s_delay_alu instid0(VALU_DEP_1) | instskip(NEXT) | instid1(VALU_DEP_1)
	v_fmac_f32_e32 v74, v75, v73
	v_div_scale_f32 v75, null, v74, v74, 1.0
	s_delay_alu instid0(VALU_DEP_1) | instskip(SKIP_1) | instid1(TRANS32_DEP_1)
	v_rcp_f32_e32 v81, v75
	v_nop
	v_fma_f32 v82, -v75, v81, 1.0
	s_delay_alu instid0(VALU_DEP_1) | instskip(SKIP_1) | instid1(VALU_DEP_1)
	v_fmac_f32_e32 v81, v82, v81
	v_div_scale_f32 v82, vcc_lo, 1.0, v74, 1.0
	v_mul_f32_e32 v83, v82, v81
	s_delay_alu instid0(VALU_DEP_1) | instskip(NEXT) | instid1(VALU_DEP_1)
	v_fma_f32 v84, -v75, v83, v82
	v_fmac_f32_e32 v83, v84, v81
	s_delay_alu instid0(VALU_DEP_1) | instskip(NEXT) | instid1(VALU_DEP_1)
	v_fma_f32 v75, -v75, v83, v82
	v_div_fmas_f32 v75, v75, v81, v83
	s_delay_alu instid0(VALU_DEP_1) | instskip(NEXT) | instid1(VALU_DEP_1)
	v_div_fixup_f32 v74, v75, v74, 1.0
	v_mul_f32_e64 v75, v73, -v74
.LBB64_219:
	s_or_b32 exec_lo, exec_lo, s1
.LBB64_220:
	s_delay_alu instid0(SALU_CYCLE_1) | instskip(NEXT) | instid1(SALU_CYCLE_1)
	s_or_b32 exec_lo, exec_lo, s0
	s_mov_b32 s0, exec_lo
	v_cmpx_ne_u32_e64 v80, v72
	s_xor_b32 s0, exec_lo, s0
	s_cbranch_execz .LBB64_226
; %bb.221:
	s_mov_b32 s1, exec_lo
	v_cmpx_eq_u32_e32 10, v80
	s_cbranch_execz .LBB64_225
; %bb.222:
	v_cmp_ne_u32_e32 vcc_lo, 10, v72
	s_xor_b32 s12, s16, -1
	s_delay_alu instid0(SALU_CYCLE_1) | instskip(NEXT) | instid1(SALU_CYCLE_1)
	s_and_b32 s13, s12, vcc_lo
	s_and_saveexec_b32 s12, s13
	s_cbranch_execz .LBB64_224
; %bb.223:
	v_ashrrev_i32_e32 v73, 31, v72
	s_delay_alu instid0(VALU_DEP_1)
	v_lshl_add_u64 v[80:81], v[72:73], 2, v[4:5]
	s_clause 0x1
	global_load_b32 v73, v[80:81], off
	global_load_b32 v79, v[4:5], off offset:40
	s_wait_loadcnt 0x1
	global_store_b32 v[4:5], v73, off offset:40
	s_wait_loadcnt 0x0
	global_store_b32 v[80:81], v79, off
.LBB64_224:
	s_wait_xcnt 0x0
	s_or_b32 exec_lo, exec_lo, s12
	v_dual_mov_b32 v80, v72 :: v_dual_mov_b32 v79, v72
.LBB64_225:
	s_or_b32 exec_lo, exec_lo, s1
.LBB64_226:
	s_and_not1_saveexec_b32 s0, s0
	s_cbranch_execz .LBB64_228
; %bb.227:
	v_mov_b32_e32 v80, 10
	ds_store_2addr_b64 v76, v[20:21], v[40:41] offset0:11 offset1:12
	ds_store_2addr_b64 v76, v[36:37], v[38:39] offset0:13 offset1:14
	;; [unrolled: 1-line block ×11, first 2 shown]
.LBB64_228:
	s_or_b32 exec_lo, exec_lo, s0
	s_delay_alu instid0(SALU_CYCLE_1)
	s_mov_b32 s0, exec_lo
	s_wait_storecnt_dscnt 0x0
	s_barrier_signal -1
	s_barrier_wait -1
	v_cmpx_lt_i32_e32 10, v80
	s_cbranch_execz .LBB64_230
; %bb.229:
	v_pk_mul_f32 v[82:83], v[74:75], v[28:29] op_sel:[1,1] op_sel_hi:[0,1]
	s_delay_alu instid0(VALU_DEP_1)
	v_pk_fma_f32 v[72:73], v[74:75], v[28:29], v[82:83] op_sel_hi:[1,0,1] neg_lo:[0,0,1] neg_hi:[0,0,1]
	v_pk_fma_f32 v[74:75], v[74:75], v[28:29], v[82:83] op_sel_hi:[1,0,1]
	ds_load_2addr_b64 v[82:85], v76 offset0:11 offset1:12
	v_dual_mov_b32 v28, v72 :: v_dual_mov_b32 v29, v75
	s_wait_dscnt 0x0
	v_pk_mul_f32 v[86:87], v[82:83], v[74:75] op_sel:[0,1]
	s_delay_alu instid0(VALU_DEP_1) | instskip(SKIP_1) | instid1(VALU_DEP_1)
	v_pk_fma_f32 v[88:89], v[82:83], v[72:73], v[86:87] op_sel:[0,0,1] op_sel_hi:[1,1,0] neg_lo:[0,0,1] neg_hi:[0,0,1]
	v_pk_fma_f32 v[82:83], v[82:83], v[72:73], v[86:87] op_sel:[0,0,1] op_sel_hi:[1,0,0]
	v_mov_b32_e32 v89, v83
	v_pk_mul_f32 v[82:83], v[84:85], v[74:75] op_sel:[0,1]
	s_delay_alu instid0(VALU_DEP_1) | instskip(SKIP_1) | instid1(VALU_DEP_1)
	v_pk_fma_f32 v[86:87], v[84:85], v[72:73], v[82:83] op_sel:[0,0,1] op_sel_hi:[1,1,0] neg_lo:[0,0,1] neg_hi:[0,0,1]
	v_pk_fma_f32 v[82:83], v[84:85], v[72:73], v[82:83] op_sel:[0,0,1] op_sel_hi:[1,0,0]
	v_mov_b32_e32 v87, v83
	ds_load_2addr_b64 v[82:85], v76 offset0:13 offset1:14
	v_pk_add_f32 v[20:21], v[20:21], v[88:89] neg_lo:[0,1] neg_hi:[0,1]
	v_pk_add_f32 v[40:41], v[40:41], v[86:87] neg_lo:[0,1] neg_hi:[0,1]
	s_wait_dscnt 0x0
	v_pk_mul_f32 v[86:87], v[82:83], v[74:75] op_sel:[0,1]
	s_delay_alu instid0(VALU_DEP_1) | instskip(SKIP_2) | instid1(VALU_DEP_2)
	v_pk_fma_f32 v[88:89], v[82:83], v[72:73], v[86:87] op_sel:[0,0,1] op_sel_hi:[1,1,0] neg_lo:[0,0,1] neg_hi:[0,0,1]
	v_pk_fma_f32 v[82:83], v[82:83], v[72:73], v[86:87] op_sel:[0,0,1] op_sel_hi:[1,0,0]
	v_dual_mul_f32 v86, v85, v75 :: v_dual_mov_b32 v82, v85
	v_dual_mov_b32 v89, v83 :: v_dual_mov_b32 v83, v84
	s_delay_alu instid0(VALU_DEP_2) | instskip(SKIP_1) | instid1(VALU_DEP_3)
	v_pk_fma_f32 v[86:87], v[84:85], v[28:29], v[86:87] op_sel_hi:[1,1,0] neg_lo:[0,0,1] neg_hi:[0,0,1]
	v_mul_f32_e32 v84, v85, v72
	v_pk_add_f32 v[36:37], v[36:37], v[88:89] neg_lo:[0,1] neg_hi:[0,1]
	s_delay_alu instid0(VALU_DEP_2) | instskip(NEXT) | instid1(VALU_DEP_1)
	v_pk_fma_f32 v[82:83], v[82:83], v[28:29], v[84:85] op_sel_hi:[1,1,0]
	v_mov_b32_e32 v87, v83
	ds_load_2addr_b64 v[82:85], v76 offset0:15 offset1:16
	v_pk_add_f32 v[38:39], v[38:39], v[86:87] neg_lo:[0,1] neg_hi:[0,1]
	s_wait_dscnt 0x0
	v_pk_mul_f32 v[86:87], v[82:83], v[74:75] op_sel:[0,1]
	s_delay_alu instid0(VALU_DEP_1) | instskip(SKIP_1) | instid1(VALU_DEP_1)
	v_pk_fma_f32 v[88:89], v[82:83], v[72:73], v[86:87] op_sel:[0,0,1] op_sel_hi:[1,1,0] neg_lo:[0,0,1] neg_hi:[0,0,1]
	v_pk_fma_f32 v[82:83], v[82:83], v[72:73], v[86:87] op_sel:[0,0,1] op_sel_hi:[1,0,0]
	v_mov_b32_e32 v89, v83
	v_pk_mul_f32 v[82:83], v[84:85], v[74:75] op_sel:[0,1]
	s_delay_alu instid0(VALU_DEP_1) | instskip(SKIP_1) | instid1(VALU_DEP_1)
	v_pk_fma_f32 v[86:87], v[84:85], v[72:73], v[82:83] op_sel:[0,0,1] op_sel_hi:[1,1,0] neg_lo:[0,0,1] neg_hi:[0,0,1]
	v_pk_fma_f32 v[82:83], v[84:85], v[72:73], v[82:83] op_sel:[0,0,1] op_sel_hi:[1,0,0]
	v_mov_b32_e32 v87, v83
	ds_load_2addr_b64 v[82:85], v76 offset0:17 offset1:18
	v_pk_add_f32 v[34:35], v[34:35], v[88:89] neg_lo:[0,1] neg_hi:[0,1]
	v_pk_add_f32 v[60:61], v[60:61], v[86:87] neg_lo:[0,1] neg_hi:[0,1]
	s_wait_dscnt 0x0
	v_pk_mul_f32 v[86:87], v[82:83], v[74:75] op_sel:[0,1]
	s_delay_alu instid0(VALU_DEP_1) | instskip(SKIP_1) | instid1(VALU_DEP_1)
	v_pk_fma_f32 v[88:89], v[82:83], v[72:73], v[86:87] op_sel:[0,0,1] op_sel_hi:[1,1,0] neg_lo:[0,0,1] neg_hi:[0,0,1]
	v_pk_fma_f32 v[82:83], v[82:83], v[72:73], v[86:87] op_sel:[0,0,1] op_sel_hi:[1,0,0]
	v_mov_b32_e32 v89, v83
	v_pk_mul_f32 v[82:83], v[84:85], v[74:75] op_sel:[0,1]
	s_delay_alu instid0(VALU_DEP_1) | instskip(SKIP_1) | instid1(VALU_DEP_1)
	v_pk_fma_f32 v[86:87], v[84:85], v[72:73], v[82:83] op_sel:[0,0,1] op_sel_hi:[1,1,0] neg_lo:[0,0,1] neg_hi:[0,0,1]
	v_pk_fma_f32 v[82:83], v[84:85], v[72:73], v[82:83] op_sel:[0,0,1] op_sel_hi:[1,0,0]
	v_mov_b32_e32 v87, v83
	ds_load_2addr_b64 v[82:85], v76 offset0:19 offset1:20
	v_pk_add_f32 v[56:57], v[56:57], v[88:89] neg_lo:[0,1] neg_hi:[0,1]
	v_pk_add_f32 v[58:59], v[58:59], v[86:87] neg_lo:[0,1] neg_hi:[0,1]
	s_wait_dscnt 0x0
	v_dual_mul_f32 v86, v83, v75 :: v_dual_mul_f32 v88, v83, v72
	s_delay_alu instid0(VALU_DEP_1) | instskip(NEXT) | instid1(VALU_DEP_2)
	v_pk_fma_f32 v[86:87], v[82:83], v[28:29], v[86:87] op_sel_hi:[1,1,0] neg_lo:[0,0,1] neg_hi:[0,0,1]
	v_pk_fma_f32 v[82:83], v[82:83], v[28:29], v[88:89] op_sel:[1,0,0] op_sel_hi:[0,1,0]
	s_delay_alu instid0(VALU_DEP_1) | instskip(SKIP_1) | instid1(VALU_DEP_2)
	v_mov_b32_e32 v87, v83
	v_pk_mul_f32 v[82:83], v[84:85], v[74:75] op_sel:[0,1]
	v_pk_add_f32 v[54:55], v[54:55], v[86:87] neg_lo:[0,1] neg_hi:[0,1]
	s_delay_alu instid0(VALU_DEP_2) | instskip(SKIP_1) | instid1(VALU_DEP_1)
	v_pk_fma_f32 v[86:87], v[84:85], v[72:73], v[82:83] op_sel:[0,0,1] op_sel_hi:[1,1,0] neg_lo:[0,0,1] neg_hi:[0,0,1]
	v_pk_fma_f32 v[82:83], v[84:85], v[72:73], v[82:83] op_sel:[0,0,1] op_sel_hi:[1,0,0]
	v_mov_b32_e32 v87, v83
	ds_load_2addr_b64 v[82:85], v76 offset0:21 offset1:22
	v_pk_add_f32 v[50:51], v[50:51], v[86:87] neg_lo:[0,1] neg_hi:[0,1]
	s_wait_dscnt 0x0
	v_pk_mul_f32 v[86:87], v[82:83], v[74:75] op_sel:[0,1]
	s_delay_alu instid0(VALU_DEP_1) | instskip(SKIP_1) | instid1(VALU_DEP_1)
	v_pk_fma_f32 v[88:89], v[82:83], v[72:73], v[86:87] op_sel:[0,0,1] op_sel_hi:[1,1,0] neg_lo:[0,0,1] neg_hi:[0,0,1]
	v_pk_fma_f32 v[82:83], v[82:83], v[72:73], v[86:87] op_sel:[0,0,1] op_sel_hi:[1,0,0]
	v_mov_b32_e32 v89, v83
	v_pk_mul_f32 v[82:83], v[84:85], v[74:75] op_sel:[0,1]
	s_delay_alu instid0(VALU_DEP_2) | instskip(NEXT) | instid1(VALU_DEP_2)
	v_pk_add_f32 v[46:47], v[46:47], v[88:89] neg_lo:[0,1] neg_hi:[0,1]
	v_pk_fma_f32 v[86:87], v[84:85], v[72:73], v[82:83] op_sel:[0,0,1] op_sel_hi:[1,1,0] neg_lo:[0,0,1] neg_hi:[0,0,1]
	v_pk_fma_f32 v[82:83], v[84:85], v[72:73], v[82:83] op_sel:[0,0,1] op_sel_hi:[1,0,0]
	s_delay_alu instid0(VALU_DEP_1) | instskip(SKIP_4) | instid1(VALU_DEP_1)
	v_mov_b32_e32 v87, v83
	ds_load_2addr_b64 v[82:85], v76 offset0:23 offset1:24
	v_pk_add_f32 v[48:49], v[48:49], v[86:87] neg_lo:[0,1] neg_hi:[0,1]
	s_wait_dscnt 0x0
	v_pk_mul_f32 v[86:87], v[82:83], v[74:75] op_sel:[0,1]
	v_pk_fma_f32 v[88:89], v[82:83], v[72:73], v[86:87] op_sel:[0,0,1] op_sel_hi:[1,1,0] neg_lo:[0,0,1] neg_hi:[0,0,1]
	v_pk_fma_f32 v[82:83], v[82:83], v[72:73], v[86:87] op_sel:[0,0,1] op_sel_hi:[1,0,0]
	v_dual_mul_f32 v86, v85, v75 :: v_dual_mov_b32 v82, v85
	s_delay_alu instid0(VALU_DEP_2) | instskip(NEXT) | instid1(VALU_DEP_2)
	v_dual_mov_b32 v89, v83 :: v_dual_mov_b32 v83, v84
	v_pk_fma_f32 v[86:87], v[84:85], v[28:29], v[86:87] op_sel_hi:[1,1,0] neg_lo:[0,0,1] neg_hi:[0,0,1]
	v_mul_f32_e32 v84, v85, v72
	s_delay_alu instid0(VALU_DEP_3) | instskip(NEXT) | instid1(VALU_DEP_2)
	v_pk_add_f32 v[44:45], v[44:45], v[88:89] neg_lo:[0,1] neg_hi:[0,1]
	v_pk_fma_f32 v[82:83], v[82:83], v[28:29], v[84:85] op_sel_hi:[1,1,0]
	s_delay_alu instid0(VALU_DEP_1) | instskip(SKIP_4) | instid1(VALU_DEP_1)
	v_mov_b32_e32 v87, v83
	ds_load_2addr_b64 v[82:85], v76 offset0:25 offset1:26
	v_pk_add_f32 v[26:27], v[26:27], v[86:87] neg_lo:[0,1] neg_hi:[0,1]
	s_wait_dscnt 0x0
	v_pk_mul_f32 v[86:87], v[82:83], v[74:75] op_sel:[0,1]
	v_pk_fma_f32 v[88:89], v[82:83], v[72:73], v[86:87] op_sel:[0,0,1] op_sel_hi:[1,1,0] neg_lo:[0,0,1] neg_hi:[0,0,1]
	v_pk_fma_f32 v[82:83], v[82:83], v[72:73], v[86:87] op_sel:[0,0,1] op_sel_hi:[1,0,0]
	s_delay_alu instid0(VALU_DEP_1) | instskip(SKIP_1) | instid1(VALU_DEP_1)
	v_mov_b32_e32 v89, v83
	v_pk_mul_f32 v[82:83], v[84:85], v[74:75] op_sel:[0,1]
	v_pk_fma_f32 v[86:87], v[84:85], v[72:73], v[82:83] op_sel:[0,0,1] op_sel_hi:[1,1,0] neg_lo:[0,0,1] neg_hi:[0,0,1]
	v_pk_fma_f32 v[82:83], v[84:85], v[72:73], v[82:83] op_sel:[0,0,1] op_sel_hi:[1,0,0]
	s_delay_alu instid0(VALU_DEP_1)
	v_mov_b32_e32 v87, v83
	ds_load_2addr_b64 v[82:85], v76 offset0:27 offset1:28
	v_pk_add_f32 v[18:19], v[18:19], v[88:89] neg_lo:[0,1] neg_hi:[0,1]
	v_pk_add_f32 v[24:25], v[24:25], v[86:87] neg_lo:[0,1] neg_hi:[0,1]
	s_wait_dscnt 0x0
	v_pk_mul_f32 v[86:87], v[82:83], v[74:75] op_sel:[0,1]
	s_delay_alu instid0(VALU_DEP_1) | instskip(SKIP_1) | instid1(VALU_DEP_1)
	v_pk_fma_f32 v[88:89], v[82:83], v[72:73], v[86:87] op_sel:[0,0,1] op_sel_hi:[1,1,0] neg_lo:[0,0,1] neg_hi:[0,0,1]
	v_pk_fma_f32 v[82:83], v[82:83], v[72:73], v[86:87] op_sel:[0,0,1] op_sel_hi:[1,0,0]
	v_mov_b32_e32 v89, v83
	v_pk_mul_f32 v[82:83], v[84:85], v[74:75] op_sel:[0,1]
	s_delay_alu instid0(VALU_DEP_1) | instskip(SKIP_1) | instid1(VALU_DEP_1)
	v_pk_fma_f32 v[86:87], v[84:85], v[72:73], v[82:83] op_sel:[0,0,1] op_sel_hi:[1,1,0] neg_lo:[0,0,1] neg_hi:[0,0,1]
	v_pk_fma_f32 v[82:83], v[84:85], v[72:73], v[82:83] op_sel:[0,0,1] op_sel_hi:[1,0,0]
	v_mov_b32_e32 v87, v83
	ds_load_2addr_b64 v[82:85], v76 offset0:29 offset1:30
	v_pk_add_f32 v[16:17], v[16:17], v[88:89] neg_lo:[0,1] neg_hi:[0,1]
	v_pk_add_f32 v[6:7], v[6:7], v[86:87] neg_lo:[0,1] neg_hi:[0,1]
	s_wait_dscnt 0x0
	v_dual_mul_f32 v86, v83, v75 :: v_dual_mul_f32 v88, v83, v72
	s_delay_alu instid0(VALU_DEP_1) | instskip(NEXT) | instid1(VALU_DEP_2)
	v_pk_fma_f32 v[86:87], v[82:83], v[28:29], v[86:87] op_sel_hi:[1,1,0] neg_lo:[0,0,1] neg_hi:[0,0,1]
	v_pk_fma_f32 v[82:83], v[82:83], v[28:29], v[88:89] op_sel:[1,0,0] op_sel_hi:[0,1,0]
	s_delay_alu instid0(VALU_DEP_1) | instskip(SKIP_1) | instid1(VALU_DEP_2)
	v_mov_b32_e32 v87, v83
	v_pk_mul_f32 v[82:83], v[84:85], v[74:75] op_sel:[0,1]
	v_pk_add_f32 v[52:53], v[52:53], v[86:87] neg_lo:[0,1] neg_hi:[0,1]
	s_delay_alu instid0(VALU_DEP_2) | instskip(SKIP_1) | instid1(VALU_DEP_1)
	v_pk_fma_f32 v[86:87], v[84:85], v[72:73], v[82:83] op_sel:[0,0,1] op_sel_hi:[1,1,0] neg_lo:[0,0,1] neg_hi:[0,0,1]
	v_pk_fma_f32 v[82:83], v[84:85], v[72:73], v[82:83] op_sel:[0,0,1] op_sel_hi:[1,0,0]
	v_mov_b32_e32 v87, v83
	ds_load_2addr_b64 v[82:85], v76 offset0:31 offset1:32
	v_pk_add_f32 v[42:43], v[42:43], v[86:87] neg_lo:[0,1] neg_hi:[0,1]
	s_wait_dscnt 0x0
	v_pk_mul_f32 v[86:87], v[82:83], v[74:75] op_sel:[0,1]
	v_pk_mul_f32 v[74:75], v[84:85], v[74:75] op_sel:[0,1]
	s_delay_alu instid0(VALU_DEP_2) | instskip(SKIP_1) | instid1(VALU_DEP_1)
	v_pk_fma_f32 v[88:89], v[82:83], v[72:73], v[86:87] op_sel:[0,0,1] op_sel_hi:[1,1,0] neg_lo:[0,0,1] neg_hi:[0,0,1]
	v_pk_fma_f32 v[82:83], v[82:83], v[72:73], v[86:87] op_sel:[0,0,1] op_sel_hi:[1,0,0]
	v_mov_b32_e32 v89, v83
	s_delay_alu instid0(VALU_DEP_4) | instskip(SKIP_1) | instid1(VALU_DEP_3)
	v_pk_fma_f32 v[82:83], v[84:85], v[72:73], v[74:75] op_sel:[0,0,1] op_sel_hi:[1,1,0] neg_lo:[0,0,1] neg_hi:[0,0,1]
	v_pk_fma_f32 v[72:73], v[84:85], v[72:73], v[74:75] op_sel:[0,0,1] op_sel_hi:[1,0,0]
	v_pk_add_f32 v[32:33], v[32:33], v[88:89] neg_lo:[0,1] neg_hi:[0,1]
	s_delay_alu instid0(VALU_DEP_2) | instskip(NEXT) | instid1(VALU_DEP_1)
	v_mov_b32_e32 v83, v73
	v_pk_add_f32 v[70:71], v[70:71], v[82:83] neg_lo:[0,1] neg_hi:[0,1]
.LBB64_230:
	s_or_b32 exec_lo, exec_lo, s0
	v_lshl_add_u32 v72, v80, 3, v76
	s_barrier_signal -1
	s_barrier_wait -1
	ds_store_b64 v72, v[20:21]
	s_wait_dscnt 0x0
	s_barrier_signal -1
	s_barrier_wait -1
	ds_load_b64 v[74:75], v76 offset:88
	v_mov_b32_e32 v72, 11
	s_cmp_lt_i32 s18, 13
	s_cbranch_scc1 .LBB64_233
; %bb.231:
	v_add3_u32 v73, v77, 0, 0x60
	v_mov_b32_e32 v72, 11
	s_mov_b32 s0, 12
.LBB64_232:                             ; =>This Inner Loop Header: Depth=1
	ds_load_b64 v[82:83], v73
	s_wait_dscnt 0x1
	v_cmp_gt_f32_e32 vcc_lo, 0, v74
	v_cndmask_b32_e64 v84, v74, -v74, vcc_lo
	v_cmp_gt_f32_e32 vcc_lo, 0, v75
	v_cndmask_b32_e64 v86, v75, -v75, vcc_lo
	s_wait_dscnt 0x0
	v_cmp_gt_f32_e32 vcc_lo, 0, v82
	v_cndmask_b32_e64 v85, v82, -v82, vcc_lo
	v_cmp_gt_f32_e32 vcc_lo, 0, v83
	v_cndmask_b32_e64 v87, v83, -v83, vcc_lo
	s_delay_alu instid0(VALU_DEP_1) | instskip(NEXT) | instid1(VALU_DEP_1)
	v_pk_add_f32 v[84:85], v[84:85], v[86:87]
	v_cmp_lt_f32_e32 vcc_lo, v84, v85
	v_dual_add_nc_u32 v73, 8, v73 :: v_dual_cndmask_b32 v75, v75, v83, vcc_lo
	v_cndmask_b32_e32 v74, v74, v82, vcc_lo
	v_cndmask_b32_e64 v72, v72, s0, vcc_lo
	s_add_co_i32 s0, s0, 1
	s_delay_alu instid0(SALU_CYCLE_1)
	s_cmp_lg_u32 s18, s0
	s_cbranch_scc1 .LBB64_232
.LBB64_233:
	s_wait_dscnt 0x0
	v_cmp_eq_f32_e32 vcc_lo, 0, v74
	v_cmp_eq_f32_e64 s0, 0, v75
	s_and_b32 s0, vcc_lo, s0
	s_delay_alu instid0(SALU_CYCLE_1) | instskip(NEXT) | instid1(SALU_CYCLE_1)
	s_and_saveexec_b32 s1, s0
	s_xor_b32 s0, exec_lo, s1
; %bb.234:
	v_cmp_ne_u32_e32 vcc_lo, 0, v78
	v_cndmask_b32_e32 v78, 12, v78, vcc_lo
; %bb.235:
	s_and_not1_saveexec_b32 s0, s0
	s_cbranch_execz .LBB64_241
; %bb.236:
	v_cmp_ngt_f32_e64 s1, |v74|, |v75|
	s_and_saveexec_b32 s12, s1
	s_delay_alu instid0(SALU_CYCLE_1)
	s_xor_b32 s1, exec_lo, s12
	s_cbranch_execz .LBB64_238
; %bb.237:
	v_div_scale_f32 v73, null, v75, v75, v74
	v_div_scale_f32 v83, vcc_lo, v74, v75, v74
	s_delay_alu instid0(VALU_DEP_2) | instskip(SKIP_1) | instid1(TRANS32_DEP_1)
	v_rcp_f32_e32 v81, v73
	v_nop
	v_fma_f32 v82, -v73, v81, 1.0
	s_delay_alu instid0(VALU_DEP_1) | instskip(NEXT) | instid1(VALU_DEP_1)
	v_fmac_f32_e32 v81, v82, v81
	v_mul_f32_e32 v82, v83, v81
	s_delay_alu instid0(VALU_DEP_1) | instskip(NEXT) | instid1(VALU_DEP_1)
	v_fma_f32 v84, -v73, v82, v83
	v_fmac_f32_e32 v82, v84, v81
	s_delay_alu instid0(VALU_DEP_1) | instskip(NEXT) | instid1(VALU_DEP_1)
	v_fma_f32 v73, -v73, v82, v83
	v_div_fmas_f32 v73, v73, v81, v82
	s_delay_alu instid0(VALU_DEP_1) | instskip(NEXT) | instid1(VALU_DEP_1)
	v_div_fixup_f32 v73, v73, v75, v74
	v_fmac_f32_e32 v75, v74, v73
	s_delay_alu instid0(VALU_DEP_1) | instskip(SKIP_1) | instid1(VALU_DEP_2)
	v_div_scale_f32 v74, null, v75, v75, 1.0
	v_div_scale_f32 v83, vcc_lo, 1.0, v75, 1.0
	v_rcp_f32_e32 v81, v74
	v_nop
	s_delay_alu instid0(TRANS32_DEP_1) | instskip(NEXT) | instid1(VALU_DEP_1)
	v_fma_f32 v82, -v74, v81, 1.0
	v_fmac_f32_e32 v81, v82, v81
	s_delay_alu instid0(VALU_DEP_1) | instskip(NEXT) | instid1(VALU_DEP_1)
	v_mul_f32_e32 v82, v83, v81
	v_fma_f32 v84, -v74, v82, v83
	s_delay_alu instid0(VALU_DEP_1) | instskip(NEXT) | instid1(VALU_DEP_1)
	v_fmac_f32_e32 v82, v84, v81
	v_fma_f32 v74, -v74, v82, v83
	s_delay_alu instid0(VALU_DEP_1) | instskip(NEXT) | instid1(VALU_DEP_1)
	v_div_fmas_f32 v74, v74, v81, v82
	v_div_fixup_f32 v75, v74, v75, 1.0
	s_delay_alu instid0(VALU_DEP_1)
	v_mul_f32_e32 v74, v73, v75
	v_xor_b32_e32 v75, 0x80000000, v75
.LBB64_238:
	s_and_not1_saveexec_b32 s1, s1
	s_cbranch_execz .LBB64_240
; %bb.239:
	s_delay_alu instid0(VALU_DEP_1) | instskip(SKIP_1) | instid1(VALU_DEP_2)
	v_div_scale_f32 v73, null, v74, v74, v75
	v_div_scale_f32 v83, vcc_lo, v75, v74, v75
	v_rcp_f32_e32 v81, v73
	v_nop
	s_delay_alu instid0(TRANS32_DEP_1) | instskip(NEXT) | instid1(VALU_DEP_1)
	v_fma_f32 v82, -v73, v81, 1.0
	v_fmac_f32_e32 v81, v82, v81
	s_delay_alu instid0(VALU_DEP_1) | instskip(NEXT) | instid1(VALU_DEP_1)
	v_mul_f32_e32 v82, v83, v81
	v_fma_f32 v84, -v73, v82, v83
	s_delay_alu instid0(VALU_DEP_1) | instskip(NEXT) | instid1(VALU_DEP_1)
	v_fmac_f32_e32 v82, v84, v81
	v_fma_f32 v73, -v73, v82, v83
	s_delay_alu instid0(VALU_DEP_1) | instskip(NEXT) | instid1(VALU_DEP_1)
	v_div_fmas_f32 v73, v73, v81, v82
	v_div_fixup_f32 v73, v73, v74, v75
	s_delay_alu instid0(VALU_DEP_1) | instskip(NEXT) | instid1(VALU_DEP_1)
	v_fmac_f32_e32 v74, v75, v73
	v_div_scale_f32 v75, null, v74, v74, 1.0
	s_delay_alu instid0(VALU_DEP_1) | instskip(SKIP_1) | instid1(TRANS32_DEP_1)
	v_rcp_f32_e32 v81, v75
	v_nop
	v_fma_f32 v82, -v75, v81, 1.0
	s_delay_alu instid0(VALU_DEP_1) | instskip(SKIP_1) | instid1(VALU_DEP_1)
	v_fmac_f32_e32 v81, v82, v81
	v_div_scale_f32 v82, vcc_lo, 1.0, v74, 1.0
	v_mul_f32_e32 v83, v82, v81
	s_delay_alu instid0(VALU_DEP_1) | instskip(NEXT) | instid1(VALU_DEP_1)
	v_fma_f32 v84, -v75, v83, v82
	v_fmac_f32_e32 v83, v84, v81
	s_delay_alu instid0(VALU_DEP_1) | instskip(NEXT) | instid1(VALU_DEP_1)
	v_fma_f32 v75, -v75, v83, v82
	v_div_fmas_f32 v75, v75, v81, v83
	s_delay_alu instid0(VALU_DEP_1) | instskip(NEXT) | instid1(VALU_DEP_1)
	v_div_fixup_f32 v74, v75, v74, 1.0
	v_mul_f32_e64 v75, v73, -v74
.LBB64_240:
	s_or_b32 exec_lo, exec_lo, s1
.LBB64_241:
	s_delay_alu instid0(SALU_CYCLE_1) | instskip(NEXT) | instid1(SALU_CYCLE_1)
	s_or_b32 exec_lo, exec_lo, s0
	s_mov_b32 s0, exec_lo
	v_cmpx_ne_u32_e64 v80, v72
	s_xor_b32 s0, exec_lo, s0
	s_cbranch_execz .LBB64_247
; %bb.242:
	s_mov_b32 s1, exec_lo
	v_cmpx_eq_u32_e32 11, v80
	s_cbranch_execz .LBB64_246
; %bb.243:
	v_cmp_ne_u32_e32 vcc_lo, 11, v72
	s_xor_b32 s12, s16, -1
	s_delay_alu instid0(SALU_CYCLE_1) | instskip(NEXT) | instid1(SALU_CYCLE_1)
	s_and_b32 s13, s12, vcc_lo
	s_and_saveexec_b32 s12, s13
	s_cbranch_execz .LBB64_245
; %bb.244:
	v_ashrrev_i32_e32 v73, 31, v72
	s_delay_alu instid0(VALU_DEP_1)
	v_lshl_add_u64 v[80:81], v[72:73], 2, v[4:5]
	s_clause 0x1
	global_load_b32 v73, v[80:81], off
	global_load_b32 v79, v[4:5], off offset:44
	s_wait_loadcnt 0x1
	global_store_b32 v[4:5], v73, off offset:44
	s_wait_loadcnt 0x0
	global_store_b32 v[80:81], v79, off
.LBB64_245:
	s_wait_xcnt 0x0
	s_or_b32 exec_lo, exec_lo, s12
	v_dual_mov_b32 v80, v72 :: v_dual_mov_b32 v79, v72
.LBB64_246:
	s_or_b32 exec_lo, exec_lo, s1
.LBB64_247:
	s_and_not1_saveexec_b32 s0, s0
	s_cbranch_execz .LBB64_249
; %bb.248:
	v_dual_mov_b32 v72, v40 :: v_dual_mov_b32 v73, v41
	v_dual_mov_b32 v80, v36 :: v_dual_mov_b32 v81, v37
	ds_store_2addr_b64 v76, v[72:73], v[80:81] offset0:12 offset1:13
	v_dual_mov_b32 v72, v38 :: v_dual_mov_b32 v73, v39
	v_dual_mov_b32 v80, v34 :: v_dual_mov_b32 v81, v35
	ds_store_2addr_b64 v76, v[72:73], v[80:81] offset0:14 offset1:15
	;; [unrolled: 3-line block ×10, first 2 shown]
	ds_store_b64 v76, v[70:71] offset:256
	v_mov_b32_e32 v80, 11
.LBB64_249:
	s_or_b32 exec_lo, exec_lo, s0
	s_delay_alu instid0(SALU_CYCLE_1)
	s_mov_b32 s0, exec_lo
	s_wait_storecnt_dscnt 0x0
	s_barrier_signal -1
	s_barrier_wait -1
	v_cmpx_lt_i32_e32 11, v80
	s_cbranch_execz .LBB64_251
; %bb.250:
	v_pk_mul_f32 v[82:83], v[74:75], v[20:21] op_sel:[1,1] op_sel_hi:[0,1]
	s_delay_alu instid0(VALU_DEP_1)
	v_pk_fma_f32 v[72:73], v[74:75], v[20:21], v[82:83] op_sel_hi:[1,0,1] neg_lo:[0,0,1] neg_hi:[0,0,1]
	v_pk_fma_f32 v[74:75], v[74:75], v[20:21], v[82:83] op_sel_hi:[1,0,1]
	ds_load_2addr_b64 v[82:85], v76 offset0:12 offset1:13
	v_dual_mov_b32 v20, v72 :: v_dual_mov_b32 v21, v75
	s_wait_dscnt 0x0
	v_pk_mul_f32 v[86:87], v[82:83], v[74:75] op_sel:[0,1]
	s_delay_alu instid0(VALU_DEP_1) | instskip(SKIP_1) | instid1(VALU_DEP_1)
	v_pk_fma_f32 v[88:89], v[82:83], v[72:73], v[86:87] op_sel:[0,0,1] op_sel_hi:[1,1,0] neg_lo:[0,0,1] neg_hi:[0,0,1]
	v_pk_fma_f32 v[82:83], v[82:83], v[72:73], v[86:87] op_sel:[0,0,1] op_sel_hi:[1,0,0]
	v_mov_b32_e32 v89, v83
	v_pk_mul_f32 v[82:83], v[84:85], v[74:75] op_sel:[0,1]
	s_delay_alu instid0(VALU_DEP_1) | instskip(SKIP_1) | instid1(VALU_DEP_1)
	v_pk_fma_f32 v[86:87], v[84:85], v[72:73], v[82:83] op_sel:[0,0,1] op_sel_hi:[1,1,0] neg_lo:[0,0,1] neg_hi:[0,0,1]
	v_pk_fma_f32 v[82:83], v[84:85], v[72:73], v[82:83] op_sel:[0,0,1] op_sel_hi:[1,0,0]
	v_mov_b32_e32 v87, v83
	ds_load_2addr_b64 v[82:85], v76 offset0:14 offset1:15
	v_pk_add_f32 v[40:41], v[40:41], v[88:89] neg_lo:[0,1] neg_hi:[0,1]
	v_pk_add_f32 v[36:37], v[36:37], v[86:87] neg_lo:[0,1] neg_hi:[0,1]
	s_wait_dscnt 0x0
	v_pk_mul_f32 v[86:87], v[82:83], v[74:75] op_sel:[0,1]
	s_delay_alu instid0(VALU_DEP_1) | instskip(SKIP_2) | instid1(VALU_DEP_2)
	v_pk_fma_f32 v[88:89], v[82:83], v[72:73], v[86:87] op_sel:[0,0,1] op_sel_hi:[1,1,0] neg_lo:[0,0,1] neg_hi:[0,0,1]
	v_pk_fma_f32 v[82:83], v[82:83], v[72:73], v[86:87] op_sel:[0,0,1] op_sel_hi:[1,0,0]
	v_dual_mul_f32 v86, v85, v75 :: v_dual_mov_b32 v82, v85
	v_dual_mov_b32 v89, v83 :: v_dual_mov_b32 v83, v84
	s_delay_alu instid0(VALU_DEP_2) | instskip(SKIP_1) | instid1(VALU_DEP_3)
	v_pk_fma_f32 v[86:87], v[84:85], v[20:21], v[86:87] op_sel_hi:[1,1,0] neg_lo:[0,0,1] neg_hi:[0,0,1]
	v_mul_f32_e32 v84, v85, v72
	v_pk_add_f32 v[38:39], v[38:39], v[88:89] neg_lo:[0,1] neg_hi:[0,1]
	s_delay_alu instid0(VALU_DEP_2) | instskip(NEXT) | instid1(VALU_DEP_1)
	v_pk_fma_f32 v[82:83], v[82:83], v[20:21], v[84:85] op_sel_hi:[1,1,0]
	v_mov_b32_e32 v87, v83
	ds_load_2addr_b64 v[82:85], v76 offset0:16 offset1:17
	v_pk_add_f32 v[34:35], v[34:35], v[86:87] neg_lo:[0,1] neg_hi:[0,1]
	s_wait_dscnt 0x0
	v_pk_mul_f32 v[86:87], v[82:83], v[74:75] op_sel:[0,1]
	s_delay_alu instid0(VALU_DEP_1) | instskip(SKIP_1) | instid1(VALU_DEP_1)
	v_pk_fma_f32 v[88:89], v[82:83], v[72:73], v[86:87] op_sel:[0,0,1] op_sel_hi:[1,1,0] neg_lo:[0,0,1] neg_hi:[0,0,1]
	v_pk_fma_f32 v[82:83], v[82:83], v[72:73], v[86:87] op_sel:[0,0,1] op_sel_hi:[1,0,0]
	v_mov_b32_e32 v89, v83
	v_pk_mul_f32 v[82:83], v[84:85], v[74:75] op_sel:[0,1]
	s_delay_alu instid0(VALU_DEP_1) | instskip(SKIP_1) | instid1(VALU_DEP_1)
	v_pk_fma_f32 v[86:87], v[84:85], v[72:73], v[82:83] op_sel:[0,0,1] op_sel_hi:[1,1,0] neg_lo:[0,0,1] neg_hi:[0,0,1]
	v_pk_fma_f32 v[82:83], v[84:85], v[72:73], v[82:83] op_sel:[0,0,1] op_sel_hi:[1,0,0]
	v_mov_b32_e32 v87, v83
	ds_load_2addr_b64 v[82:85], v76 offset0:18 offset1:19
	v_pk_add_f32 v[60:61], v[60:61], v[88:89] neg_lo:[0,1] neg_hi:[0,1]
	v_pk_add_f32 v[56:57], v[56:57], v[86:87] neg_lo:[0,1] neg_hi:[0,1]
	s_wait_dscnt 0x0
	v_pk_mul_f32 v[86:87], v[82:83], v[74:75] op_sel:[0,1]
	s_delay_alu instid0(VALU_DEP_1) | instskip(SKIP_1) | instid1(VALU_DEP_1)
	v_pk_fma_f32 v[88:89], v[82:83], v[72:73], v[86:87] op_sel:[0,0,1] op_sel_hi:[1,1,0] neg_lo:[0,0,1] neg_hi:[0,0,1]
	v_pk_fma_f32 v[82:83], v[82:83], v[72:73], v[86:87] op_sel:[0,0,1] op_sel_hi:[1,0,0]
	v_mov_b32_e32 v89, v83
	v_pk_mul_f32 v[82:83], v[84:85], v[74:75] op_sel:[0,1]
	s_delay_alu instid0(VALU_DEP_1) | instskip(SKIP_1) | instid1(VALU_DEP_1)
	v_pk_fma_f32 v[86:87], v[84:85], v[72:73], v[82:83] op_sel:[0,0,1] op_sel_hi:[1,1,0] neg_lo:[0,0,1] neg_hi:[0,0,1]
	v_pk_fma_f32 v[82:83], v[84:85], v[72:73], v[82:83] op_sel:[0,0,1] op_sel_hi:[1,0,0]
	v_mov_b32_e32 v87, v83
	ds_load_2addr_b64 v[82:85], v76 offset0:20 offset1:21
	v_pk_add_f32 v[58:59], v[58:59], v[88:89] neg_lo:[0,1] neg_hi:[0,1]
	v_pk_add_f32 v[54:55], v[54:55], v[86:87] neg_lo:[0,1] neg_hi:[0,1]
	s_wait_dscnt 0x0
	v_dual_mul_f32 v86, v83, v75 :: v_dual_mul_f32 v88, v83, v72
	s_delay_alu instid0(VALU_DEP_1) | instskip(NEXT) | instid1(VALU_DEP_2)
	v_pk_fma_f32 v[86:87], v[82:83], v[20:21], v[86:87] op_sel_hi:[1,1,0] neg_lo:[0,0,1] neg_hi:[0,0,1]
	v_pk_fma_f32 v[82:83], v[82:83], v[20:21], v[88:89] op_sel:[1,0,0] op_sel_hi:[0,1,0]
	s_delay_alu instid0(VALU_DEP_1) | instskip(SKIP_1) | instid1(VALU_DEP_2)
	v_mov_b32_e32 v87, v83
	v_pk_mul_f32 v[82:83], v[84:85], v[74:75] op_sel:[0,1]
	v_pk_add_f32 v[50:51], v[50:51], v[86:87] neg_lo:[0,1] neg_hi:[0,1]
	s_delay_alu instid0(VALU_DEP_2) | instskip(SKIP_1) | instid1(VALU_DEP_1)
	v_pk_fma_f32 v[86:87], v[84:85], v[72:73], v[82:83] op_sel:[0,0,1] op_sel_hi:[1,1,0] neg_lo:[0,0,1] neg_hi:[0,0,1]
	v_pk_fma_f32 v[82:83], v[84:85], v[72:73], v[82:83] op_sel:[0,0,1] op_sel_hi:[1,0,0]
	v_mov_b32_e32 v87, v83
	ds_load_2addr_b64 v[82:85], v76 offset0:22 offset1:23
	v_pk_add_f32 v[46:47], v[46:47], v[86:87] neg_lo:[0,1] neg_hi:[0,1]
	s_wait_dscnt 0x0
	v_pk_mul_f32 v[86:87], v[82:83], v[74:75] op_sel:[0,1]
	s_delay_alu instid0(VALU_DEP_1) | instskip(SKIP_1) | instid1(VALU_DEP_1)
	v_pk_fma_f32 v[88:89], v[82:83], v[72:73], v[86:87] op_sel:[0,0,1] op_sel_hi:[1,1,0] neg_lo:[0,0,1] neg_hi:[0,0,1]
	v_pk_fma_f32 v[82:83], v[82:83], v[72:73], v[86:87] op_sel:[0,0,1] op_sel_hi:[1,0,0]
	v_mov_b32_e32 v89, v83
	v_pk_mul_f32 v[82:83], v[84:85], v[74:75] op_sel:[0,1]
	s_delay_alu instid0(VALU_DEP_2) | instskip(NEXT) | instid1(VALU_DEP_2)
	v_pk_add_f32 v[48:49], v[48:49], v[88:89] neg_lo:[0,1] neg_hi:[0,1]
	v_pk_fma_f32 v[86:87], v[84:85], v[72:73], v[82:83] op_sel:[0,0,1] op_sel_hi:[1,1,0] neg_lo:[0,0,1] neg_hi:[0,0,1]
	v_pk_fma_f32 v[82:83], v[84:85], v[72:73], v[82:83] op_sel:[0,0,1] op_sel_hi:[1,0,0]
	s_delay_alu instid0(VALU_DEP_1) | instskip(SKIP_4) | instid1(VALU_DEP_1)
	v_mov_b32_e32 v87, v83
	ds_load_2addr_b64 v[82:85], v76 offset0:24 offset1:25
	v_pk_add_f32 v[44:45], v[44:45], v[86:87] neg_lo:[0,1] neg_hi:[0,1]
	s_wait_dscnt 0x0
	v_pk_mul_f32 v[86:87], v[82:83], v[74:75] op_sel:[0,1]
	v_pk_fma_f32 v[88:89], v[82:83], v[72:73], v[86:87] op_sel:[0,0,1] op_sel_hi:[1,1,0] neg_lo:[0,0,1] neg_hi:[0,0,1]
	v_pk_fma_f32 v[82:83], v[82:83], v[72:73], v[86:87] op_sel:[0,0,1] op_sel_hi:[1,0,0]
	v_dual_mul_f32 v86, v85, v75 :: v_dual_mov_b32 v82, v85
	s_delay_alu instid0(VALU_DEP_2) | instskip(NEXT) | instid1(VALU_DEP_2)
	v_dual_mov_b32 v89, v83 :: v_dual_mov_b32 v83, v84
	v_pk_fma_f32 v[86:87], v[84:85], v[20:21], v[86:87] op_sel_hi:[1,1,0] neg_lo:[0,0,1] neg_hi:[0,0,1]
	v_mul_f32_e32 v84, v85, v72
	s_delay_alu instid0(VALU_DEP_3) | instskip(NEXT) | instid1(VALU_DEP_2)
	v_pk_add_f32 v[26:27], v[26:27], v[88:89] neg_lo:[0,1] neg_hi:[0,1]
	v_pk_fma_f32 v[82:83], v[82:83], v[20:21], v[84:85] op_sel_hi:[1,1,0]
	s_delay_alu instid0(VALU_DEP_1) | instskip(SKIP_4) | instid1(VALU_DEP_1)
	v_mov_b32_e32 v87, v83
	ds_load_2addr_b64 v[82:85], v76 offset0:26 offset1:27
	v_pk_add_f32 v[18:19], v[18:19], v[86:87] neg_lo:[0,1] neg_hi:[0,1]
	s_wait_dscnt 0x0
	v_pk_mul_f32 v[86:87], v[82:83], v[74:75] op_sel:[0,1]
	v_pk_fma_f32 v[88:89], v[82:83], v[72:73], v[86:87] op_sel:[0,0,1] op_sel_hi:[1,1,0] neg_lo:[0,0,1] neg_hi:[0,0,1]
	v_pk_fma_f32 v[82:83], v[82:83], v[72:73], v[86:87] op_sel:[0,0,1] op_sel_hi:[1,0,0]
	s_delay_alu instid0(VALU_DEP_1) | instskip(SKIP_1) | instid1(VALU_DEP_1)
	v_mov_b32_e32 v89, v83
	v_pk_mul_f32 v[82:83], v[84:85], v[74:75] op_sel:[0,1]
	v_pk_fma_f32 v[86:87], v[84:85], v[72:73], v[82:83] op_sel:[0,0,1] op_sel_hi:[1,1,0] neg_lo:[0,0,1] neg_hi:[0,0,1]
	v_pk_fma_f32 v[82:83], v[84:85], v[72:73], v[82:83] op_sel:[0,0,1] op_sel_hi:[1,0,0]
	s_delay_alu instid0(VALU_DEP_1)
	v_mov_b32_e32 v87, v83
	ds_load_2addr_b64 v[82:85], v76 offset0:28 offset1:29
	v_pk_add_f32 v[24:25], v[24:25], v[88:89] neg_lo:[0,1] neg_hi:[0,1]
	v_pk_add_f32 v[16:17], v[16:17], v[86:87] neg_lo:[0,1] neg_hi:[0,1]
	s_wait_dscnt 0x0
	v_pk_mul_f32 v[86:87], v[82:83], v[74:75] op_sel:[0,1]
	s_delay_alu instid0(VALU_DEP_1) | instskip(SKIP_1) | instid1(VALU_DEP_1)
	v_pk_fma_f32 v[88:89], v[82:83], v[72:73], v[86:87] op_sel:[0,0,1] op_sel_hi:[1,1,0] neg_lo:[0,0,1] neg_hi:[0,0,1]
	v_pk_fma_f32 v[82:83], v[82:83], v[72:73], v[86:87] op_sel:[0,0,1] op_sel_hi:[1,0,0]
	v_mov_b32_e32 v89, v83
	v_pk_mul_f32 v[82:83], v[84:85], v[74:75] op_sel:[0,1]
	s_delay_alu instid0(VALU_DEP_1) | instskip(SKIP_1) | instid1(VALU_DEP_1)
	v_pk_fma_f32 v[86:87], v[84:85], v[72:73], v[82:83] op_sel:[0,0,1] op_sel_hi:[1,1,0] neg_lo:[0,0,1] neg_hi:[0,0,1]
	v_pk_fma_f32 v[82:83], v[84:85], v[72:73], v[82:83] op_sel:[0,0,1] op_sel_hi:[1,0,0]
	v_mov_b32_e32 v87, v83
	ds_load_2addr_b64 v[82:85], v76 offset0:30 offset1:31
	v_pk_add_f32 v[6:7], v[6:7], v[88:89] neg_lo:[0,1] neg_hi:[0,1]
	v_pk_add_f32 v[52:53], v[52:53], v[86:87] neg_lo:[0,1] neg_hi:[0,1]
	s_wait_dscnt 0x0
	v_dual_mul_f32 v86, v83, v75 :: v_dual_mul_f32 v88, v83, v72
	s_delay_alu instid0(VALU_DEP_1) | instskip(NEXT) | instid1(VALU_DEP_2)
	v_pk_fma_f32 v[86:87], v[82:83], v[20:21], v[86:87] op_sel_hi:[1,1,0] neg_lo:[0,0,1] neg_hi:[0,0,1]
	v_pk_fma_f32 v[82:83], v[82:83], v[20:21], v[88:89] op_sel:[1,0,0] op_sel_hi:[0,1,0]
	s_delay_alu instid0(VALU_DEP_1) | instskip(SKIP_1) | instid1(VALU_DEP_2)
	v_mov_b32_e32 v87, v83
	v_pk_mul_f32 v[82:83], v[84:85], v[74:75] op_sel:[0,1]
	v_pk_add_f32 v[42:43], v[42:43], v[86:87] neg_lo:[0,1] neg_hi:[0,1]
	s_delay_alu instid0(VALU_DEP_2) | instskip(SKIP_1) | instid1(VALU_DEP_1)
	v_pk_fma_f32 v[86:87], v[84:85], v[72:73], v[82:83] op_sel:[0,0,1] op_sel_hi:[1,1,0] neg_lo:[0,0,1] neg_hi:[0,0,1]
	v_pk_fma_f32 v[82:83], v[84:85], v[72:73], v[82:83] op_sel:[0,0,1] op_sel_hi:[1,0,0]
	v_mov_b32_e32 v87, v83
	ds_load_b64 v[82:83], v76 offset:256
	v_pk_add_f32 v[32:33], v[32:33], v[86:87] neg_lo:[0,1] neg_hi:[0,1]
	s_wait_dscnt 0x0
	v_pk_mul_f32 v[74:75], v[82:83], v[74:75] op_sel:[0,1]
	s_delay_alu instid0(VALU_DEP_1) | instskip(SKIP_1) | instid1(VALU_DEP_1)
	v_pk_fma_f32 v[84:85], v[82:83], v[72:73], v[74:75] op_sel:[0,0,1] op_sel_hi:[1,1,0] neg_lo:[0,0,1] neg_hi:[0,0,1]
	v_pk_fma_f32 v[72:73], v[82:83], v[72:73], v[74:75] op_sel:[0,0,1] op_sel_hi:[1,0,0]
	v_mov_b32_e32 v85, v73
	s_delay_alu instid0(VALU_DEP_1)
	v_pk_add_f32 v[70:71], v[70:71], v[84:85] neg_lo:[0,1] neg_hi:[0,1]
.LBB64_251:
	s_or_b32 exec_lo, exec_lo, s0
	v_lshl_add_u32 v72, v80, 3, v76
	s_barrier_signal -1
	s_barrier_wait -1
	ds_store_b64 v72, v[40:41]
	s_wait_dscnt 0x0
	s_barrier_signal -1
	s_barrier_wait -1
	ds_load_b64 v[74:75], v76 offset:96
	v_mov_b32_e32 v72, 12
	s_cmp_lt_i32 s18, 14
	s_cbranch_scc1 .LBB64_254
; %bb.252:
	v_add3_u32 v73, v77, 0, 0x68
	v_mov_b32_e32 v72, 12
	s_mov_b32 s0, 13
.LBB64_253:                             ; =>This Inner Loop Header: Depth=1
	ds_load_b64 v[82:83], v73
	s_wait_dscnt 0x1
	v_cmp_gt_f32_e32 vcc_lo, 0, v74
	v_cndmask_b32_e64 v84, v74, -v74, vcc_lo
	v_cmp_gt_f32_e32 vcc_lo, 0, v75
	v_cndmask_b32_e64 v86, v75, -v75, vcc_lo
	s_wait_dscnt 0x0
	v_cmp_gt_f32_e32 vcc_lo, 0, v82
	v_cndmask_b32_e64 v85, v82, -v82, vcc_lo
	v_cmp_gt_f32_e32 vcc_lo, 0, v83
	v_cndmask_b32_e64 v87, v83, -v83, vcc_lo
	s_delay_alu instid0(VALU_DEP_1) | instskip(NEXT) | instid1(VALU_DEP_1)
	v_pk_add_f32 v[84:85], v[84:85], v[86:87]
	v_cmp_lt_f32_e32 vcc_lo, v84, v85
	v_dual_add_nc_u32 v73, 8, v73 :: v_dual_cndmask_b32 v75, v75, v83, vcc_lo
	v_cndmask_b32_e32 v74, v74, v82, vcc_lo
	v_cndmask_b32_e64 v72, v72, s0, vcc_lo
	s_add_co_i32 s0, s0, 1
	s_delay_alu instid0(SALU_CYCLE_1)
	s_cmp_lg_u32 s18, s0
	s_cbranch_scc1 .LBB64_253
.LBB64_254:
	s_wait_dscnt 0x0
	v_cmp_eq_f32_e32 vcc_lo, 0, v74
	v_cmp_eq_f32_e64 s0, 0, v75
	s_and_b32 s0, vcc_lo, s0
	s_delay_alu instid0(SALU_CYCLE_1) | instskip(NEXT) | instid1(SALU_CYCLE_1)
	s_and_saveexec_b32 s1, s0
	s_xor_b32 s0, exec_lo, s1
; %bb.255:
	v_cmp_ne_u32_e32 vcc_lo, 0, v78
	v_cndmask_b32_e32 v78, 13, v78, vcc_lo
; %bb.256:
	s_and_not1_saveexec_b32 s0, s0
	s_cbranch_execz .LBB64_262
; %bb.257:
	v_cmp_ngt_f32_e64 s1, |v74|, |v75|
	s_and_saveexec_b32 s12, s1
	s_delay_alu instid0(SALU_CYCLE_1)
	s_xor_b32 s1, exec_lo, s12
	s_cbranch_execz .LBB64_259
; %bb.258:
	v_div_scale_f32 v73, null, v75, v75, v74
	v_div_scale_f32 v83, vcc_lo, v74, v75, v74
	s_delay_alu instid0(VALU_DEP_2) | instskip(SKIP_1) | instid1(TRANS32_DEP_1)
	v_rcp_f32_e32 v81, v73
	v_nop
	v_fma_f32 v82, -v73, v81, 1.0
	s_delay_alu instid0(VALU_DEP_1) | instskip(NEXT) | instid1(VALU_DEP_1)
	v_fmac_f32_e32 v81, v82, v81
	v_mul_f32_e32 v82, v83, v81
	s_delay_alu instid0(VALU_DEP_1) | instskip(NEXT) | instid1(VALU_DEP_1)
	v_fma_f32 v84, -v73, v82, v83
	v_fmac_f32_e32 v82, v84, v81
	s_delay_alu instid0(VALU_DEP_1) | instskip(NEXT) | instid1(VALU_DEP_1)
	v_fma_f32 v73, -v73, v82, v83
	v_div_fmas_f32 v73, v73, v81, v82
	s_delay_alu instid0(VALU_DEP_1) | instskip(NEXT) | instid1(VALU_DEP_1)
	v_div_fixup_f32 v73, v73, v75, v74
	v_fmac_f32_e32 v75, v74, v73
	s_delay_alu instid0(VALU_DEP_1) | instskip(SKIP_1) | instid1(VALU_DEP_2)
	v_div_scale_f32 v74, null, v75, v75, 1.0
	v_div_scale_f32 v83, vcc_lo, 1.0, v75, 1.0
	v_rcp_f32_e32 v81, v74
	v_nop
	s_delay_alu instid0(TRANS32_DEP_1) | instskip(NEXT) | instid1(VALU_DEP_1)
	v_fma_f32 v82, -v74, v81, 1.0
	v_fmac_f32_e32 v81, v82, v81
	s_delay_alu instid0(VALU_DEP_1) | instskip(NEXT) | instid1(VALU_DEP_1)
	v_mul_f32_e32 v82, v83, v81
	v_fma_f32 v84, -v74, v82, v83
	s_delay_alu instid0(VALU_DEP_1) | instskip(NEXT) | instid1(VALU_DEP_1)
	v_fmac_f32_e32 v82, v84, v81
	v_fma_f32 v74, -v74, v82, v83
	s_delay_alu instid0(VALU_DEP_1) | instskip(NEXT) | instid1(VALU_DEP_1)
	v_div_fmas_f32 v74, v74, v81, v82
	v_div_fixup_f32 v75, v74, v75, 1.0
	s_delay_alu instid0(VALU_DEP_1)
	v_mul_f32_e32 v74, v73, v75
	v_xor_b32_e32 v75, 0x80000000, v75
.LBB64_259:
	s_and_not1_saveexec_b32 s1, s1
	s_cbranch_execz .LBB64_261
; %bb.260:
	s_delay_alu instid0(VALU_DEP_1) | instskip(SKIP_1) | instid1(VALU_DEP_2)
	v_div_scale_f32 v73, null, v74, v74, v75
	v_div_scale_f32 v83, vcc_lo, v75, v74, v75
	v_rcp_f32_e32 v81, v73
	v_nop
	s_delay_alu instid0(TRANS32_DEP_1) | instskip(NEXT) | instid1(VALU_DEP_1)
	v_fma_f32 v82, -v73, v81, 1.0
	v_fmac_f32_e32 v81, v82, v81
	s_delay_alu instid0(VALU_DEP_1) | instskip(NEXT) | instid1(VALU_DEP_1)
	v_mul_f32_e32 v82, v83, v81
	v_fma_f32 v84, -v73, v82, v83
	s_delay_alu instid0(VALU_DEP_1) | instskip(NEXT) | instid1(VALU_DEP_1)
	v_fmac_f32_e32 v82, v84, v81
	v_fma_f32 v73, -v73, v82, v83
	s_delay_alu instid0(VALU_DEP_1) | instskip(NEXT) | instid1(VALU_DEP_1)
	v_div_fmas_f32 v73, v73, v81, v82
	v_div_fixup_f32 v73, v73, v74, v75
	s_delay_alu instid0(VALU_DEP_1) | instskip(NEXT) | instid1(VALU_DEP_1)
	v_fmac_f32_e32 v74, v75, v73
	v_div_scale_f32 v75, null, v74, v74, 1.0
	s_delay_alu instid0(VALU_DEP_1) | instskip(SKIP_1) | instid1(TRANS32_DEP_1)
	v_rcp_f32_e32 v81, v75
	v_nop
	v_fma_f32 v82, -v75, v81, 1.0
	s_delay_alu instid0(VALU_DEP_1) | instskip(SKIP_1) | instid1(VALU_DEP_1)
	v_fmac_f32_e32 v81, v82, v81
	v_div_scale_f32 v82, vcc_lo, 1.0, v74, 1.0
	v_mul_f32_e32 v83, v82, v81
	s_delay_alu instid0(VALU_DEP_1) | instskip(NEXT) | instid1(VALU_DEP_1)
	v_fma_f32 v84, -v75, v83, v82
	v_fmac_f32_e32 v83, v84, v81
	s_delay_alu instid0(VALU_DEP_1) | instskip(NEXT) | instid1(VALU_DEP_1)
	v_fma_f32 v75, -v75, v83, v82
	v_div_fmas_f32 v75, v75, v81, v83
	s_delay_alu instid0(VALU_DEP_1) | instskip(NEXT) | instid1(VALU_DEP_1)
	v_div_fixup_f32 v74, v75, v74, 1.0
	v_mul_f32_e64 v75, v73, -v74
.LBB64_261:
	s_or_b32 exec_lo, exec_lo, s1
.LBB64_262:
	s_delay_alu instid0(SALU_CYCLE_1) | instskip(NEXT) | instid1(SALU_CYCLE_1)
	s_or_b32 exec_lo, exec_lo, s0
	s_mov_b32 s0, exec_lo
	v_cmpx_ne_u32_e64 v80, v72
	s_xor_b32 s0, exec_lo, s0
	s_cbranch_execz .LBB64_268
; %bb.263:
	s_mov_b32 s1, exec_lo
	v_cmpx_eq_u32_e32 12, v80
	s_cbranch_execz .LBB64_267
; %bb.264:
	v_cmp_ne_u32_e32 vcc_lo, 12, v72
	s_xor_b32 s12, s16, -1
	s_delay_alu instid0(SALU_CYCLE_1) | instskip(NEXT) | instid1(SALU_CYCLE_1)
	s_and_b32 s13, s12, vcc_lo
	s_and_saveexec_b32 s12, s13
	s_cbranch_execz .LBB64_266
; %bb.265:
	v_ashrrev_i32_e32 v73, 31, v72
	s_delay_alu instid0(VALU_DEP_1)
	v_lshl_add_u64 v[80:81], v[72:73], 2, v[4:5]
	s_clause 0x1
	global_load_b32 v73, v[80:81], off
	global_load_b32 v79, v[4:5], off offset:48
	s_wait_loadcnt 0x1
	global_store_b32 v[4:5], v73, off offset:48
	s_wait_loadcnt 0x0
	global_store_b32 v[80:81], v79, off
.LBB64_266:
	s_wait_xcnt 0x0
	s_or_b32 exec_lo, exec_lo, s12
	v_dual_mov_b32 v80, v72 :: v_dual_mov_b32 v79, v72
.LBB64_267:
	s_or_b32 exec_lo, exec_lo, s1
.LBB64_268:
	s_and_not1_saveexec_b32 s0, s0
	s_cbranch_execz .LBB64_270
; %bb.269:
	v_mov_b32_e32 v80, 12
	ds_store_2addr_b64 v76, v[36:37], v[38:39] offset0:13 offset1:14
	ds_store_2addr_b64 v76, v[34:35], v[60:61] offset0:15 offset1:16
	;; [unrolled: 1-line block ×10, first 2 shown]
.LBB64_270:
	s_or_b32 exec_lo, exec_lo, s0
	s_delay_alu instid0(SALU_CYCLE_1)
	s_mov_b32 s0, exec_lo
	s_wait_storecnt_dscnt 0x0
	s_barrier_signal -1
	s_barrier_wait -1
	v_cmpx_lt_i32_e32 12, v80
	s_cbranch_execz .LBB64_272
; %bb.271:
	v_pk_mul_f32 v[82:83], v[74:75], v[40:41] op_sel:[1,1] op_sel_hi:[0,1]
	s_delay_alu instid0(VALU_DEP_1)
	v_pk_fma_f32 v[72:73], v[74:75], v[40:41], v[82:83] op_sel_hi:[1,0,1] neg_lo:[0,0,1] neg_hi:[0,0,1]
	v_pk_fma_f32 v[74:75], v[74:75], v[40:41], v[82:83] op_sel_hi:[1,0,1]
	ds_load_2addr_b64 v[82:85], v76 offset0:13 offset1:14
	v_dual_mov_b32 v40, v72 :: v_dual_mov_b32 v41, v75
	s_wait_dscnt 0x0
	v_pk_mul_f32 v[86:87], v[82:83], v[74:75] op_sel:[0,1]
	s_delay_alu instid0(VALU_DEP_1) | instskip(SKIP_1) | instid1(VALU_DEP_1)
	v_pk_fma_f32 v[88:89], v[82:83], v[72:73], v[86:87] op_sel:[0,0,1] op_sel_hi:[1,1,0] neg_lo:[0,0,1] neg_hi:[0,0,1]
	v_pk_fma_f32 v[82:83], v[82:83], v[72:73], v[86:87] op_sel:[0,0,1] op_sel_hi:[1,0,0]
	v_mov_b32_e32 v89, v83
	v_pk_mul_f32 v[82:83], v[84:85], v[74:75] op_sel:[0,1]
	s_delay_alu instid0(VALU_DEP_1) | instskip(SKIP_1) | instid1(VALU_DEP_1)
	v_pk_fma_f32 v[86:87], v[84:85], v[72:73], v[82:83] op_sel:[0,0,1] op_sel_hi:[1,1,0] neg_lo:[0,0,1] neg_hi:[0,0,1]
	v_pk_fma_f32 v[82:83], v[84:85], v[72:73], v[82:83] op_sel:[0,0,1] op_sel_hi:[1,0,0]
	v_mov_b32_e32 v87, v83
	ds_load_2addr_b64 v[82:85], v76 offset0:15 offset1:16
	v_pk_add_f32 v[36:37], v[36:37], v[88:89] neg_lo:[0,1] neg_hi:[0,1]
	v_pk_add_f32 v[38:39], v[38:39], v[86:87] neg_lo:[0,1] neg_hi:[0,1]
	s_wait_dscnt 0x0
	v_pk_mul_f32 v[86:87], v[82:83], v[74:75] op_sel:[0,1]
	s_delay_alu instid0(VALU_DEP_1) | instskip(SKIP_2) | instid1(VALU_DEP_2)
	v_pk_fma_f32 v[88:89], v[82:83], v[72:73], v[86:87] op_sel:[0,0,1] op_sel_hi:[1,1,0] neg_lo:[0,0,1] neg_hi:[0,0,1]
	v_pk_fma_f32 v[82:83], v[82:83], v[72:73], v[86:87] op_sel:[0,0,1] op_sel_hi:[1,0,0]
	v_dual_mul_f32 v86, v85, v75 :: v_dual_mov_b32 v82, v85
	v_dual_mov_b32 v89, v83 :: v_dual_mov_b32 v83, v84
	s_delay_alu instid0(VALU_DEP_2) | instskip(SKIP_1) | instid1(VALU_DEP_3)
	v_pk_fma_f32 v[86:87], v[84:85], v[40:41], v[86:87] op_sel_hi:[1,1,0] neg_lo:[0,0,1] neg_hi:[0,0,1]
	v_mul_f32_e32 v84, v85, v72
	v_pk_add_f32 v[34:35], v[34:35], v[88:89] neg_lo:[0,1] neg_hi:[0,1]
	s_delay_alu instid0(VALU_DEP_2) | instskip(NEXT) | instid1(VALU_DEP_1)
	v_pk_fma_f32 v[82:83], v[82:83], v[40:41], v[84:85] op_sel_hi:[1,1,0]
	v_mov_b32_e32 v87, v83
	ds_load_2addr_b64 v[82:85], v76 offset0:17 offset1:18
	v_pk_add_f32 v[60:61], v[60:61], v[86:87] neg_lo:[0,1] neg_hi:[0,1]
	s_wait_dscnt 0x0
	v_pk_mul_f32 v[86:87], v[82:83], v[74:75] op_sel:[0,1]
	s_delay_alu instid0(VALU_DEP_1) | instskip(SKIP_1) | instid1(VALU_DEP_1)
	v_pk_fma_f32 v[88:89], v[82:83], v[72:73], v[86:87] op_sel:[0,0,1] op_sel_hi:[1,1,0] neg_lo:[0,0,1] neg_hi:[0,0,1]
	v_pk_fma_f32 v[82:83], v[82:83], v[72:73], v[86:87] op_sel:[0,0,1] op_sel_hi:[1,0,0]
	v_mov_b32_e32 v89, v83
	v_pk_mul_f32 v[82:83], v[84:85], v[74:75] op_sel:[0,1]
	s_delay_alu instid0(VALU_DEP_1) | instskip(SKIP_1) | instid1(VALU_DEP_1)
	v_pk_fma_f32 v[86:87], v[84:85], v[72:73], v[82:83] op_sel:[0,0,1] op_sel_hi:[1,1,0] neg_lo:[0,0,1] neg_hi:[0,0,1]
	v_pk_fma_f32 v[82:83], v[84:85], v[72:73], v[82:83] op_sel:[0,0,1] op_sel_hi:[1,0,0]
	v_mov_b32_e32 v87, v83
	ds_load_2addr_b64 v[82:85], v76 offset0:19 offset1:20
	v_pk_add_f32 v[56:57], v[56:57], v[88:89] neg_lo:[0,1] neg_hi:[0,1]
	v_pk_add_f32 v[58:59], v[58:59], v[86:87] neg_lo:[0,1] neg_hi:[0,1]
	s_wait_dscnt 0x0
	v_pk_mul_f32 v[86:87], v[82:83], v[74:75] op_sel:[0,1]
	s_delay_alu instid0(VALU_DEP_1) | instskip(SKIP_1) | instid1(VALU_DEP_1)
	v_pk_fma_f32 v[88:89], v[82:83], v[72:73], v[86:87] op_sel:[0,0,1] op_sel_hi:[1,1,0] neg_lo:[0,0,1] neg_hi:[0,0,1]
	v_pk_fma_f32 v[82:83], v[82:83], v[72:73], v[86:87] op_sel:[0,0,1] op_sel_hi:[1,0,0]
	v_mov_b32_e32 v89, v83
	v_pk_mul_f32 v[82:83], v[84:85], v[74:75] op_sel:[0,1]
	s_delay_alu instid0(VALU_DEP_1) | instskip(SKIP_1) | instid1(VALU_DEP_1)
	v_pk_fma_f32 v[86:87], v[84:85], v[72:73], v[82:83] op_sel:[0,0,1] op_sel_hi:[1,1,0] neg_lo:[0,0,1] neg_hi:[0,0,1]
	v_pk_fma_f32 v[82:83], v[84:85], v[72:73], v[82:83] op_sel:[0,0,1] op_sel_hi:[1,0,0]
	v_mov_b32_e32 v87, v83
	ds_load_2addr_b64 v[82:85], v76 offset0:21 offset1:22
	v_pk_add_f32 v[54:55], v[54:55], v[88:89] neg_lo:[0,1] neg_hi:[0,1]
	v_pk_add_f32 v[50:51], v[50:51], v[86:87] neg_lo:[0,1] neg_hi:[0,1]
	s_wait_dscnt 0x0
	v_dual_mul_f32 v86, v83, v75 :: v_dual_mul_f32 v88, v83, v72
	s_delay_alu instid0(VALU_DEP_1) | instskip(NEXT) | instid1(VALU_DEP_2)
	v_pk_fma_f32 v[86:87], v[82:83], v[40:41], v[86:87] op_sel_hi:[1,1,0] neg_lo:[0,0,1] neg_hi:[0,0,1]
	v_pk_fma_f32 v[82:83], v[82:83], v[40:41], v[88:89] op_sel:[1,0,0] op_sel_hi:[0,1,0]
	s_delay_alu instid0(VALU_DEP_1) | instskip(SKIP_1) | instid1(VALU_DEP_2)
	v_mov_b32_e32 v87, v83
	v_pk_mul_f32 v[82:83], v[84:85], v[74:75] op_sel:[0,1]
	v_pk_add_f32 v[46:47], v[46:47], v[86:87] neg_lo:[0,1] neg_hi:[0,1]
	s_delay_alu instid0(VALU_DEP_2) | instskip(SKIP_1) | instid1(VALU_DEP_1)
	v_pk_fma_f32 v[86:87], v[84:85], v[72:73], v[82:83] op_sel:[0,0,1] op_sel_hi:[1,1,0] neg_lo:[0,0,1] neg_hi:[0,0,1]
	v_pk_fma_f32 v[82:83], v[84:85], v[72:73], v[82:83] op_sel:[0,0,1] op_sel_hi:[1,0,0]
	v_mov_b32_e32 v87, v83
	ds_load_2addr_b64 v[82:85], v76 offset0:23 offset1:24
	v_pk_add_f32 v[48:49], v[48:49], v[86:87] neg_lo:[0,1] neg_hi:[0,1]
	s_wait_dscnt 0x0
	v_pk_mul_f32 v[86:87], v[82:83], v[74:75] op_sel:[0,1]
	s_delay_alu instid0(VALU_DEP_1) | instskip(SKIP_1) | instid1(VALU_DEP_1)
	v_pk_fma_f32 v[88:89], v[82:83], v[72:73], v[86:87] op_sel:[0,0,1] op_sel_hi:[1,1,0] neg_lo:[0,0,1] neg_hi:[0,0,1]
	v_pk_fma_f32 v[82:83], v[82:83], v[72:73], v[86:87] op_sel:[0,0,1] op_sel_hi:[1,0,0]
	v_mov_b32_e32 v89, v83
	v_pk_mul_f32 v[82:83], v[84:85], v[74:75] op_sel:[0,1]
	s_delay_alu instid0(VALU_DEP_2) | instskip(NEXT) | instid1(VALU_DEP_2)
	v_pk_add_f32 v[44:45], v[44:45], v[88:89] neg_lo:[0,1] neg_hi:[0,1]
	v_pk_fma_f32 v[86:87], v[84:85], v[72:73], v[82:83] op_sel:[0,0,1] op_sel_hi:[1,1,0] neg_lo:[0,0,1] neg_hi:[0,0,1]
	v_pk_fma_f32 v[82:83], v[84:85], v[72:73], v[82:83] op_sel:[0,0,1] op_sel_hi:[1,0,0]
	s_delay_alu instid0(VALU_DEP_1) | instskip(SKIP_4) | instid1(VALU_DEP_1)
	v_mov_b32_e32 v87, v83
	ds_load_2addr_b64 v[82:85], v76 offset0:25 offset1:26
	v_pk_add_f32 v[26:27], v[26:27], v[86:87] neg_lo:[0,1] neg_hi:[0,1]
	s_wait_dscnt 0x0
	v_pk_mul_f32 v[86:87], v[82:83], v[74:75] op_sel:[0,1]
	v_pk_fma_f32 v[88:89], v[82:83], v[72:73], v[86:87] op_sel:[0,0,1] op_sel_hi:[1,1,0] neg_lo:[0,0,1] neg_hi:[0,0,1]
	v_pk_fma_f32 v[82:83], v[82:83], v[72:73], v[86:87] op_sel:[0,0,1] op_sel_hi:[1,0,0]
	v_dual_mul_f32 v86, v85, v75 :: v_dual_mov_b32 v82, v85
	s_delay_alu instid0(VALU_DEP_2) | instskip(NEXT) | instid1(VALU_DEP_2)
	v_dual_mov_b32 v89, v83 :: v_dual_mov_b32 v83, v84
	v_pk_fma_f32 v[86:87], v[84:85], v[40:41], v[86:87] op_sel_hi:[1,1,0] neg_lo:[0,0,1] neg_hi:[0,0,1]
	v_mul_f32_e32 v84, v85, v72
	s_delay_alu instid0(VALU_DEP_3) | instskip(NEXT) | instid1(VALU_DEP_2)
	v_pk_add_f32 v[18:19], v[18:19], v[88:89] neg_lo:[0,1] neg_hi:[0,1]
	v_pk_fma_f32 v[82:83], v[82:83], v[40:41], v[84:85] op_sel_hi:[1,1,0]
	s_delay_alu instid0(VALU_DEP_1) | instskip(SKIP_4) | instid1(VALU_DEP_1)
	v_mov_b32_e32 v87, v83
	ds_load_2addr_b64 v[82:85], v76 offset0:27 offset1:28
	v_pk_add_f32 v[24:25], v[24:25], v[86:87] neg_lo:[0,1] neg_hi:[0,1]
	s_wait_dscnt 0x0
	v_pk_mul_f32 v[86:87], v[82:83], v[74:75] op_sel:[0,1]
	v_pk_fma_f32 v[88:89], v[82:83], v[72:73], v[86:87] op_sel:[0,0,1] op_sel_hi:[1,1,0] neg_lo:[0,0,1] neg_hi:[0,0,1]
	v_pk_fma_f32 v[82:83], v[82:83], v[72:73], v[86:87] op_sel:[0,0,1] op_sel_hi:[1,0,0]
	s_delay_alu instid0(VALU_DEP_1) | instskip(SKIP_1) | instid1(VALU_DEP_1)
	v_mov_b32_e32 v89, v83
	v_pk_mul_f32 v[82:83], v[84:85], v[74:75] op_sel:[0,1]
	v_pk_fma_f32 v[86:87], v[84:85], v[72:73], v[82:83] op_sel:[0,0,1] op_sel_hi:[1,1,0] neg_lo:[0,0,1] neg_hi:[0,0,1]
	v_pk_fma_f32 v[82:83], v[84:85], v[72:73], v[82:83] op_sel:[0,0,1] op_sel_hi:[1,0,0]
	s_delay_alu instid0(VALU_DEP_1)
	v_mov_b32_e32 v87, v83
	ds_load_2addr_b64 v[82:85], v76 offset0:29 offset1:30
	v_pk_add_f32 v[16:17], v[16:17], v[88:89] neg_lo:[0,1] neg_hi:[0,1]
	v_pk_add_f32 v[6:7], v[6:7], v[86:87] neg_lo:[0,1] neg_hi:[0,1]
	s_wait_dscnt 0x0
	v_pk_mul_f32 v[86:87], v[82:83], v[74:75] op_sel:[0,1]
	s_delay_alu instid0(VALU_DEP_1) | instskip(SKIP_1) | instid1(VALU_DEP_1)
	v_pk_fma_f32 v[88:89], v[82:83], v[72:73], v[86:87] op_sel:[0,0,1] op_sel_hi:[1,1,0] neg_lo:[0,0,1] neg_hi:[0,0,1]
	v_pk_fma_f32 v[82:83], v[82:83], v[72:73], v[86:87] op_sel:[0,0,1] op_sel_hi:[1,0,0]
	v_mov_b32_e32 v89, v83
	v_pk_mul_f32 v[82:83], v[84:85], v[74:75] op_sel:[0,1]
	s_delay_alu instid0(VALU_DEP_1) | instskip(SKIP_1) | instid1(VALU_DEP_1)
	v_pk_fma_f32 v[86:87], v[84:85], v[72:73], v[82:83] op_sel:[0,0,1] op_sel_hi:[1,1,0] neg_lo:[0,0,1] neg_hi:[0,0,1]
	v_pk_fma_f32 v[82:83], v[84:85], v[72:73], v[82:83] op_sel:[0,0,1] op_sel_hi:[1,0,0]
	v_mov_b32_e32 v87, v83
	ds_load_2addr_b64 v[82:85], v76 offset0:31 offset1:32
	v_pk_add_f32 v[52:53], v[52:53], v[88:89] neg_lo:[0,1] neg_hi:[0,1]
	v_pk_add_f32 v[42:43], v[42:43], v[86:87] neg_lo:[0,1] neg_hi:[0,1]
	s_wait_dscnt 0x0
	v_dual_mul_f32 v86, v83, v75 :: v_dual_mul_f32 v88, v83, v72
	v_pk_mul_f32 v[74:75], v[84:85], v[74:75] op_sel:[0,1]
	s_delay_alu instid0(VALU_DEP_2) | instskip(NEXT) | instid1(VALU_DEP_3)
	v_pk_fma_f32 v[86:87], v[82:83], v[40:41], v[86:87] op_sel_hi:[1,1,0] neg_lo:[0,0,1] neg_hi:[0,0,1]
	v_pk_fma_f32 v[82:83], v[82:83], v[40:41], v[88:89] op_sel:[1,0,0] op_sel_hi:[0,1,0]
	s_delay_alu instid0(VALU_DEP_1) | instskip(NEXT) | instid1(VALU_DEP_4)
	v_mov_b32_e32 v87, v83
	v_pk_fma_f32 v[82:83], v[84:85], v[72:73], v[74:75] op_sel:[0,0,1] op_sel_hi:[1,1,0] neg_lo:[0,0,1] neg_hi:[0,0,1]
	v_pk_fma_f32 v[72:73], v[84:85], v[72:73], v[74:75] op_sel:[0,0,1] op_sel_hi:[1,0,0]
	s_delay_alu instid0(VALU_DEP_1) | instskip(NEXT) | instid1(VALU_DEP_4)
	v_mov_b32_e32 v83, v73
	v_pk_add_f32 v[32:33], v[32:33], v[86:87] neg_lo:[0,1] neg_hi:[0,1]
	s_delay_alu instid0(VALU_DEP_2)
	v_pk_add_f32 v[70:71], v[70:71], v[82:83] neg_lo:[0,1] neg_hi:[0,1]
.LBB64_272:
	s_or_b32 exec_lo, exec_lo, s0
	v_lshl_add_u32 v72, v80, 3, v76
	s_barrier_signal -1
	s_barrier_wait -1
	ds_store_b64 v72, v[36:37]
	s_wait_dscnt 0x0
	s_barrier_signal -1
	s_barrier_wait -1
	ds_load_b64 v[72:73], v76 offset:104
	v_mov_b32_e32 v74, 13
	s_cmp_lt_i32 s18, 15
	s_cbranch_scc1 .LBB64_275
; %bb.273:
	v_add3_u32 v75, v77, 0, 0x70
	v_mov_b32_e32 v74, 13
	s_mov_b32 s0, 14
.LBB64_274:                             ; =>This Inner Loop Header: Depth=1
	ds_load_b64 v[82:83], v75
	s_wait_dscnt 0x1
	v_cmp_gt_f32_e32 vcc_lo, 0, v72
	v_cndmask_b32_e64 v84, v72, -v72, vcc_lo
	v_cmp_gt_f32_e32 vcc_lo, 0, v73
	v_cndmask_b32_e64 v86, v73, -v73, vcc_lo
	s_wait_dscnt 0x0
	v_cmp_gt_f32_e32 vcc_lo, 0, v82
	v_cndmask_b32_e64 v85, v82, -v82, vcc_lo
	v_cmp_gt_f32_e32 vcc_lo, 0, v83
	v_cndmask_b32_e64 v87, v83, -v83, vcc_lo
	s_delay_alu instid0(VALU_DEP_1) | instskip(NEXT) | instid1(VALU_DEP_1)
	v_pk_add_f32 v[84:85], v[84:85], v[86:87]
	v_cmp_lt_f32_e32 vcc_lo, v84, v85
	v_dual_cndmask_b32 v72, v72, v82 :: v_dual_add_nc_u32 v75, 8, v75
	v_cndmask_b32_e32 v73, v73, v83, vcc_lo
	v_cndmask_b32_e64 v74, v74, s0, vcc_lo
	s_add_co_i32 s0, s0, 1
	s_delay_alu instid0(SALU_CYCLE_1)
	s_cmp_lg_u32 s18, s0
	s_cbranch_scc1 .LBB64_274
.LBB64_275:
	s_wait_dscnt 0x0
	v_cmp_eq_f32_e32 vcc_lo, 0, v72
	v_cmp_eq_f32_e64 s0, 0, v73
	s_and_b32 s0, vcc_lo, s0
	s_delay_alu instid0(SALU_CYCLE_1) | instskip(NEXT) | instid1(SALU_CYCLE_1)
	s_and_saveexec_b32 s1, s0
	s_xor_b32 s0, exec_lo, s1
; %bb.276:
	v_cmp_ne_u32_e32 vcc_lo, 0, v78
	v_cndmask_b32_e32 v78, 14, v78, vcc_lo
; %bb.277:
	s_and_not1_saveexec_b32 s0, s0
	s_cbranch_execz .LBB64_283
; %bb.278:
	v_cmp_ngt_f32_e64 s1, |v72|, |v73|
	s_and_saveexec_b32 s12, s1
	s_delay_alu instid0(SALU_CYCLE_1)
	s_xor_b32 s1, exec_lo, s12
	s_cbranch_execz .LBB64_280
; %bb.279:
	v_div_scale_f32 v75, null, v73, v73, v72
	v_div_scale_f32 v83, vcc_lo, v72, v73, v72
	s_delay_alu instid0(VALU_DEP_2) | instskip(SKIP_1) | instid1(TRANS32_DEP_1)
	v_rcp_f32_e32 v81, v75
	v_nop
	v_fma_f32 v82, -v75, v81, 1.0
	s_delay_alu instid0(VALU_DEP_1) | instskip(NEXT) | instid1(VALU_DEP_1)
	v_fmac_f32_e32 v81, v82, v81
	v_mul_f32_e32 v82, v83, v81
	s_delay_alu instid0(VALU_DEP_1) | instskip(NEXT) | instid1(VALU_DEP_1)
	v_fma_f32 v84, -v75, v82, v83
	v_fmac_f32_e32 v82, v84, v81
	s_delay_alu instid0(VALU_DEP_1) | instskip(NEXT) | instid1(VALU_DEP_1)
	v_fma_f32 v75, -v75, v82, v83
	v_div_fmas_f32 v75, v75, v81, v82
	s_delay_alu instid0(VALU_DEP_1) | instskip(NEXT) | instid1(VALU_DEP_1)
	v_div_fixup_f32 v75, v75, v73, v72
	v_fmac_f32_e32 v73, v72, v75
	s_delay_alu instid0(VALU_DEP_1) | instskip(SKIP_1) | instid1(VALU_DEP_2)
	v_div_scale_f32 v72, null, v73, v73, 1.0
	v_div_scale_f32 v83, vcc_lo, 1.0, v73, 1.0
	v_rcp_f32_e32 v81, v72
	v_nop
	s_delay_alu instid0(TRANS32_DEP_1) | instskip(NEXT) | instid1(VALU_DEP_1)
	v_fma_f32 v82, -v72, v81, 1.0
	v_fmac_f32_e32 v81, v82, v81
	s_delay_alu instid0(VALU_DEP_1) | instskip(NEXT) | instid1(VALU_DEP_1)
	v_mul_f32_e32 v82, v83, v81
	v_fma_f32 v84, -v72, v82, v83
	s_delay_alu instid0(VALU_DEP_1) | instskip(NEXT) | instid1(VALU_DEP_1)
	v_fmac_f32_e32 v82, v84, v81
	v_fma_f32 v72, -v72, v82, v83
	s_delay_alu instid0(VALU_DEP_1) | instskip(NEXT) | instid1(VALU_DEP_1)
	v_div_fmas_f32 v72, v72, v81, v82
	v_div_fixup_f32 v73, v72, v73, 1.0
	s_delay_alu instid0(VALU_DEP_1)
	v_mul_f32_e32 v72, v75, v73
	v_xor_b32_e32 v73, 0x80000000, v73
.LBB64_280:
	s_and_not1_saveexec_b32 s1, s1
	s_cbranch_execz .LBB64_282
; %bb.281:
	s_delay_alu instid0(VALU_DEP_1) | instskip(SKIP_1) | instid1(VALU_DEP_2)
	v_div_scale_f32 v75, null, v72, v72, v73
	v_div_scale_f32 v83, vcc_lo, v73, v72, v73
	v_rcp_f32_e32 v81, v75
	v_nop
	s_delay_alu instid0(TRANS32_DEP_1) | instskip(NEXT) | instid1(VALU_DEP_1)
	v_fma_f32 v82, -v75, v81, 1.0
	v_fmac_f32_e32 v81, v82, v81
	s_delay_alu instid0(VALU_DEP_1) | instskip(NEXT) | instid1(VALU_DEP_1)
	v_mul_f32_e32 v82, v83, v81
	v_fma_f32 v84, -v75, v82, v83
	s_delay_alu instid0(VALU_DEP_1) | instskip(NEXT) | instid1(VALU_DEP_1)
	v_fmac_f32_e32 v82, v84, v81
	v_fma_f32 v75, -v75, v82, v83
	s_delay_alu instid0(VALU_DEP_1) | instskip(NEXT) | instid1(VALU_DEP_1)
	v_div_fmas_f32 v75, v75, v81, v82
	v_div_fixup_f32 v75, v75, v72, v73
	s_delay_alu instid0(VALU_DEP_1) | instskip(NEXT) | instid1(VALU_DEP_1)
	v_fmac_f32_e32 v72, v73, v75
	v_div_scale_f32 v73, null, v72, v72, 1.0
	s_delay_alu instid0(VALU_DEP_1) | instskip(SKIP_1) | instid1(TRANS32_DEP_1)
	v_rcp_f32_e32 v81, v73
	v_nop
	v_fma_f32 v82, -v73, v81, 1.0
	s_delay_alu instid0(VALU_DEP_1) | instskip(SKIP_1) | instid1(VALU_DEP_1)
	v_fmac_f32_e32 v81, v82, v81
	v_div_scale_f32 v82, vcc_lo, 1.0, v72, 1.0
	v_mul_f32_e32 v83, v82, v81
	s_delay_alu instid0(VALU_DEP_1) | instskip(NEXT) | instid1(VALU_DEP_1)
	v_fma_f32 v84, -v73, v83, v82
	v_fmac_f32_e32 v83, v84, v81
	s_delay_alu instid0(VALU_DEP_1) | instskip(NEXT) | instid1(VALU_DEP_1)
	v_fma_f32 v73, -v73, v83, v82
	v_div_fmas_f32 v73, v73, v81, v83
	s_delay_alu instid0(VALU_DEP_1) | instskip(NEXT) | instid1(VALU_DEP_1)
	v_div_fixup_f32 v72, v73, v72, 1.0
	v_mul_f32_e64 v73, v75, -v72
.LBB64_282:
	s_or_b32 exec_lo, exec_lo, s1
.LBB64_283:
	s_delay_alu instid0(SALU_CYCLE_1) | instskip(NEXT) | instid1(SALU_CYCLE_1)
	s_or_b32 exec_lo, exec_lo, s0
	s_mov_b32 s0, exec_lo
	v_cmpx_ne_u32_e64 v80, v74
	s_xor_b32 s0, exec_lo, s0
	s_cbranch_execz .LBB64_289
; %bb.284:
	s_mov_b32 s1, exec_lo
	v_cmpx_eq_u32_e32 13, v80
	s_cbranch_execz .LBB64_288
; %bb.285:
	v_cmp_ne_u32_e32 vcc_lo, 13, v74
	s_xor_b32 s12, s16, -1
	s_delay_alu instid0(SALU_CYCLE_1) | instskip(NEXT) | instid1(SALU_CYCLE_1)
	s_and_b32 s13, s12, vcc_lo
	s_and_saveexec_b32 s12, s13
	s_cbranch_execz .LBB64_287
; %bb.286:
	v_ashrrev_i32_e32 v75, 31, v74
	s_delay_alu instid0(VALU_DEP_1)
	v_lshl_add_u64 v[80:81], v[74:75], 2, v[4:5]
	s_clause 0x1
	global_load_b32 v75, v[80:81], off
	global_load_b32 v79, v[4:5], off offset:52
	s_wait_loadcnt 0x1
	global_store_b32 v[4:5], v75, off offset:52
	s_wait_loadcnt 0x0
	global_store_b32 v[80:81], v79, off
.LBB64_287:
	s_wait_xcnt 0x0
	s_or_b32 exec_lo, exec_lo, s12
	v_dual_mov_b32 v80, v74 :: v_dual_mov_b32 v79, v74
.LBB64_288:
	s_or_b32 exec_lo, exec_lo, s1
.LBB64_289:
	s_and_not1_saveexec_b32 s0, s0
	s_cbranch_execz .LBB64_291
; %bb.290:
	v_dual_mov_b32 v74, v38 :: v_dual_mov_b32 v75, v39
	v_dual_mov_b32 v80, v34 :: v_dual_mov_b32 v81, v35
	ds_store_2addr_b64 v76, v[74:75], v[80:81] offset0:14 offset1:15
	v_dual_mov_b32 v74, v60 :: v_dual_mov_b32 v75, v61
	v_dual_mov_b32 v80, v56 :: v_dual_mov_b32 v81, v57
	ds_store_2addr_b64 v76, v[74:75], v[80:81] offset0:16 offset1:17
	;; [unrolled: 3-line block ×9, first 2 shown]
	ds_store_b64 v76, v[70:71] offset:256
	v_mov_b32_e32 v80, 13
.LBB64_291:
	s_or_b32 exec_lo, exec_lo, s0
	s_delay_alu instid0(SALU_CYCLE_1)
	s_mov_b32 s0, exec_lo
	s_wait_storecnt_dscnt 0x0
	s_barrier_signal -1
	s_barrier_wait -1
	v_cmpx_lt_i32_e32 13, v80
	s_cbranch_execz .LBB64_293
; %bb.292:
	v_pk_mul_f32 v[82:83], v[72:73], v[36:37] op_sel:[1,1] op_sel_hi:[0,1]
	s_delay_alu instid0(VALU_DEP_1)
	v_pk_fma_f32 v[74:75], v[72:73], v[36:37], v[82:83] op_sel_hi:[1,0,1] neg_lo:[0,0,1] neg_hi:[0,0,1]
	v_pk_fma_f32 v[72:73], v[72:73], v[36:37], v[82:83] op_sel_hi:[1,0,1]
	ds_load_2addr_b64 v[82:85], v76 offset0:14 offset1:15
	v_dual_mov_b32 v36, v74 :: v_dual_mov_b32 v37, v73
	s_wait_dscnt 0x0
	v_pk_mul_f32 v[86:87], v[82:83], v[72:73] op_sel:[0,1]
	s_delay_alu instid0(VALU_DEP_1) | instskip(SKIP_1) | instid1(VALU_DEP_1)
	v_pk_fma_f32 v[88:89], v[82:83], v[74:75], v[86:87] op_sel:[0,0,1] op_sel_hi:[1,1,0] neg_lo:[0,0,1] neg_hi:[0,0,1]
	v_pk_fma_f32 v[82:83], v[82:83], v[74:75], v[86:87] op_sel:[0,0,1] op_sel_hi:[1,0,0]
	v_mov_b32_e32 v89, v83
	v_pk_mul_f32 v[82:83], v[84:85], v[72:73] op_sel:[0,1]
	s_delay_alu instid0(VALU_DEP_1) | instskip(SKIP_1) | instid1(VALU_DEP_1)
	v_pk_fma_f32 v[86:87], v[84:85], v[74:75], v[82:83] op_sel:[0,0,1] op_sel_hi:[1,1,0] neg_lo:[0,0,1] neg_hi:[0,0,1]
	v_pk_fma_f32 v[82:83], v[84:85], v[74:75], v[82:83] op_sel:[0,0,1] op_sel_hi:[1,0,0]
	v_mov_b32_e32 v87, v83
	ds_load_2addr_b64 v[82:85], v76 offset0:16 offset1:17
	v_pk_add_f32 v[38:39], v[38:39], v[88:89] neg_lo:[0,1] neg_hi:[0,1]
	v_pk_add_f32 v[34:35], v[34:35], v[86:87] neg_lo:[0,1] neg_hi:[0,1]
	s_wait_dscnt 0x0
	v_pk_mul_f32 v[86:87], v[82:83], v[72:73] op_sel:[0,1]
	s_delay_alu instid0(VALU_DEP_1) | instskip(SKIP_2) | instid1(VALU_DEP_2)
	v_pk_fma_f32 v[88:89], v[82:83], v[74:75], v[86:87] op_sel:[0,0,1] op_sel_hi:[1,1,0] neg_lo:[0,0,1] neg_hi:[0,0,1]
	v_pk_fma_f32 v[82:83], v[82:83], v[74:75], v[86:87] op_sel:[0,0,1] op_sel_hi:[1,0,0]
	v_dual_mul_f32 v86, v85, v73 :: v_dual_mov_b32 v82, v85
	v_dual_mov_b32 v89, v83 :: v_dual_mov_b32 v83, v84
	s_delay_alu instid0(VALU_DEP_2) | instskip(SKIP_1) | instid1(VALU_DEP_3)
	v_pk_fma_f32 v[86:87], v[84:85], v[36:37], v[86:87] op_sel_hi:[1,1,0] neg_lo:[0,0,1] neg_hi:[0,0,1]
	v_mul_f32_e32 v84, v85, v74
	v_pk_add_f32 v[60:61], v[60:61], v[88:89] neg_lo:[0,1] neg_hi:[0,1]
	s_delay_alu instid0(VALU_DEP_2) | instskip(NEXT) | instid1(VALU_DEP_1)
	v_pk_fma_f32 v[82:83], v[82:83], v[36:37], v[84:85] op_sel_hi:[1,1,0]
	v_mov_b32_e32 v87, v83
	ds_load_2addr_b64 v[82:85], v76 offset0:18 offset1:19
	v_pk_add_f32 v[56:57], v[56:57], v[86:87] neg_lo:[0,1] neg_hi:[0,1]
	s_wait_dscnt 0x0
	v_pk_mul_f32 v[86:87], v[82:83], v[72:73] op_sel:[0,1]
	s_delay_alu instid0(VALU_DEP_1) | instskip(SKIP_1) | instid1(VALU_DEP_1)
	v_pk_fma_f32 v[88:89], v[82:83], v[74:75], v[86:87] op_sel:[0,0,1] op_sel_hi:[1,1,0] neg_lo:[0,0,1] neg_hi:[0,0,1]
	v_pk_fma_f32 v[82:83], v[82:83], v[74:75], v[86:87] op_sel:[0,0,1] op_sel_hi:[1,0,0]
	v_mov_b32_e32 v89, v83
	v_pk_mul_f32 v[82:83], v[84:85], v[72:73] op_sel:[0,1]
	s_delay_alu instid0(VALU_DEP_1) | instskip(SKIP_1) | instid1(VALU_DEP_1)
	v_pk_fma_f32 v[86:87], v[84:85], v[74:75], v[82:83] op_sel:[0,0,1] op_sel_hi:[1,1,0] neg_lo:[0,0,1] neg_hi:[0,0,1]
	v_pk_fma_f32 v[82:83], v[84:85], v[74:75], v[82:83] op_sel:[0,0,1] op_sel_hi:[1,0,0]
	v_mov_b32_e32 v87, v83
	ds_load_2addr_b64 v[82:85], v76 offset0:20 offset1:21
	v_pk_add_f32 v[58:59], v[58:59], v[88:89] neg_lo:[0,1] neg_hi:[0,1]
	v_pk_add_f32 v[54:55], v[54:55], v[86:87] neg_lo:[0,1] neg_hi:[0,1]
	s_wait_dscnt 0x0
	v_pk_mul_f32 v[86:87], v[82:83], v[72:73] op_sel:[0,1]
	s_delay_alu instid0(VALU_DEP_1) | instskip(SKIP_1) | instid1(VALU_DEP_1)
	v_pk_fma_f32 v[88:89], v[82:83], v[74:75], v[86:87] op_sel:[0,0,1] op_sel_hi:[1,1,0] neg_lo:[0,0,1] neg_hi:[0,0,1]
	v_pk_fma_f32 v[82:83], v[82:83], v[74:75], v[86:87] op_sel:[0,0,1] op_sel_hi:[1,0,0]
	v_mov_b32_e32 v89, v83
	v_pk_mul_f32 v[82:83], v[84:85], v[72:73] op_sel:[0,1]
	s_delay_alu instid0(VALU_DEP_1) | instskip(SKIP_1) | instid1(VALU_DEP_1)
	v_pk_fma_f32 v[86:87], v[84:85], v[74:75], v[82:83] op_sel:[0,0,1] op_sel_hi:[1,1,0] neg_lo:[0,0,1] neg_hi:[0,0,1]
	v_pk_fma_f32 v[82:83], v[84:85], v[74:75], v[82:83] op_sel:[0,0,1] op_sel_hi:[1,0,0]
	v_mov_b32_e32 v87, v83
	ds_load_2addr_b64 v[82:85], v76 offset0:22 offset1:23
	v_pk_add_f32 v[50:51], v[50:51], v[88:89] neg_lo:[0,1] neg_hi:[0,1]
	v_pk_add_f32 v[46:47], v[46:47], v[86:87] neg_lo:[0,1] neg_hi:[0,1]
	s_wait_dscnt 0x0
	v_dual_mul_f32 v86, v83, v73 :: v_dual_mul_f32 v88, v83, v74
	s_delay_alu instid0(VALU_DEP_1) | instskip(NEXT) | instid1(VALU_DEP_2)
	v_pk_fma_f32 v[86:87], v[82:83], v[36:37], v[86:87] op_sel_hi:[1,1,0] neg_lo:[0,0,1] neg_hi:[0,0,1]
	v_pk_fma_f32 v[82:83], v[82:83], v[36:37], v[88:89] op_sel:[1,0,0] op_sel_hi:[0,1,0]
	s_delay_alu instid0(VALU_DEP_1) | instskip(SKIP_1) | instid1(VALU_DEP_2)
	v_mov_b32_e32 v87, v83
	v_pk_mul_f32 v[82:83], v[84:85], v[72:73] op_sel:[0,1]
	v_pk_add_f32 v[48:49], v[48:49], v[86:87] neg_lo:[0,1] neg_hi:[0,1]
	s_delay_alu instid0(VALU_DEP_2) | instskip(SKIP_1) | instid1(VALU_DEP_1)
	v_pk_fma_f32 v[86:87], v[84:85], v[74:75], v[82:83] op_sel:[0,0,1] op_sel_hi:[1,1,0] neg_lo:[0,0,1] neg_hi:[0,0,1]
	v_pk_fma_f32 v[82:83], v[84:85], v[74:75], v[82:83] op_sel:[0,0,1] op_sel_hi:[1,0,0]
	v_mov_b32_e32 v87, v83
	ds_load_2addr_b64 v[82:85], v76 offset0:24 offset1:25
	v_pk_add_f32 v[44:45], v[44:45], v[86:87] neg_lo:[0,1] neg_hi:[0,1]
	s_wait_dscnt 0x0
	v_pk_mul_f32 v[86:87], v[82:83], v[72:73] op_sel:[0,1]
	s_delay_alu instid0(VALU_DEP_1) | instskip(SKIP_1) | instid1(VALU_DEP_1)
	v_pk_fma_f32 v[88:89], v[82:83], v[74:75], v[86:87] op_sel:[0,0,1] op_sel_hi:[1,1,0] neg_lo:[0,0,1] neg_hi:[0,0,1]
	v_pk_fma_f32 v[82:83], v[82:83], v[74:75], v[86:87] op_sel:[0,0,1] op_sel_hi:[1,0,0]
	v_mov_b32_e32 v89, v83
	v_pk_mul_f32 v[82:83], v[84:85], v[72:73] op_sel:[0,1]
	s_delay_alu instid0(VALU_DEP_2) | instskip(NEXT) | instid1(VALU_DEP_2)
	v_pk_add_f32 v[26:27], v[26:27], v[88:89] neg_lo:[0,1] neg_hi:[0,1]
	v_pk_fma_f32 v[86:87], v[84:85], v[74:75], v[82:83] op_sel:[0,0,1] op_sel_hi:[1,1,0] neg_lo:[0,0,1] neg_hi:[0,0,1]
	v_pk_fma_f32 v[82:83], v[84:85], v[74:75], v[82:83] op_sel:[0,0,1] op_sel_hi:[1,0,0]
	s_delay_alu instid0(VALU_DEP_1) | instskip(SKIP_4) | instid1(VALU_DEP_1)
	v_mov_b32_e32 v87, v83
	ds_load_2addr_b64 v[82:85], v76 offset0:26 offset1:27
	v_pk_add_f32 v[18:19], v[18:19], v[86:87] neg_lo:[0,1] neg_hi:[0,1]
	s_wait_dscnt 0x0
	v_pk_mul_f32 v[86:87], v[82:83], v[72:73] op_sel:[0,1]
	v_pk_fma_f32 v[88:89], v[82:83], v[74:75], v[86:87] op_sel:[0,0,1] op_sel_hi:[1,1,0] neg_lo:[0,0,1] neg_hi:[0,0,1]
	v_pk_fma_f32 v[82:83], v[82:83], v[74:75], v[86:87] op_sel:[0,0,1] op_sel_hi:[1,0,0]
	v_dual_mul_f32 v86, v85, v73 :: v_dual_mov_b32 v82, v85
	s_delay_alu instid0(VALU_DEP_2) | instskip(NEXT) | instid1(VALU_DEP_2)
	v_dual_mov_b32 v89, v83 :: v_dual_mov_b32 v83, v84
	v_pk_fma_f32 v[86:87], v[84:85], v[36:37], v[86:87] op_sel_hi:[1,1,0] neg_lo:[0,0,1] neg_hi:[0,0,1]
	v_mul_f32_e32 v84, v85, v74
	s_delay_alu instid0(VALU_DEP_3) | instskip(NEXT) | instid1(VALU_DEP_2)
	v_pk_add_f32 v[24:25], v[24:25], v[88:89] neg_lo:[0,1] neg_hi:[0,1]
	v_pk_fma_f32 v[82:83], v[82:83], v[36:37], v[84:85] op_sel_hi:[1,1,0]
	s_delay_alu instid0(VALU_DEP_1) | instskip(SKIP_4) | instid1(VALU_DEP_1)
	v_mov_b32_e32 v87, v83
	ds_load_2addr_b64 v[82:85], v76 offset0:28 offset1:29
	v_pk_add_f32 v[16:17], v[16:17], v[86:87] neg_lo:[0,1] neg_hi:[0,1]
	s_wait_dscnt 0x0
	v_pk_mul_f32 v[86:87], v[82:83], v[72:73] op_sel:[0,1]
	v_pk_fma_f32 v[88:89], v[82:83], v[74:75], v[86:87] op_sel:[0,0,1] op_sel_hi:[1,1,0] neg_lo:[0,0,1] neg_hi:[0,0,1]
	v_pk_fma_f32 v[82:83], v[82:83], v[74:75], v[86:87] op_sel:[0,0,1] op_sel_hi:[1,0,0]
	s_delay_alu instid0(VALU_DEP_1) | instskip(SKIP_1) | instid1(VALU_DEP_1)
	v_mov_b32_e32 v89, v83
	v_pk_mul_f32 v[82:83], v[84:85], v[72:73] op_sel:[0,1]
	v_pk_fma_f32 v[86:87], v[84:85], v[74:75], v[82:83] op_sel:[0,0,1] op_sel_hi:[1,1,0] neg_lo:[0,0,1] neg_hi:[0,0,1]
	v_pk_fma_f32 v[82:83], v[84:85], v[74:75], v[82:83] op_sel:[0,0,1] op_sel_hi:[1,0,0]
	s_delay_alu instid0(VALU_DEP_1)
	v_mov_b32_e32 v87, v83
	ds_load_2addr_b64 v[82:85], v76 offset0:30 offset1:31
	v_pk_add_f32 v[6:7], v[6:7], v[88:89] neg_lo:[0,1] neg_hi:[0,1]
	v_pk_add_f32 v[52:53], v[52:53], v[86:87] neg_lo:[0,1] neg_hi:[0,1]
	s_wait_dscnt 0x0
	v_pk_mul_f32 v[86:87], v[82:83], v[72:73] op_sel:[0,1]
	s_delay_alu instid0(VALU_DEP_1) | instskip(SKIP_1) | instid1(VALU_DEP_1)
	v_pk_fma_f32 v[88:89], v[82:83], v[74:75], v[86:87] op_sel:[0,0,1] op_sel_hi:[1,1,0] neg_lo:[0,0,1] neg_hi:[0,0,1]
	v_pk_fma_f32 v[82:83], v[82:83], v[74:75], v[86:87] op_sel:[0,0,1] op_sel_hi:[1,0,0]
	v_mov_b32_e32 v89, v83
	v_pk_mul_f32 v[82:83], v[84:85], v[72:73] op_sel:[0,1]
	s_delay_alu instid0(VALU_DEP_1) | instskip(SKIP_1) | instid1(VALU_DEP_1)
	v_pk_fma_f32 v[86:87], v[84:85], v[74:75], v[82:83] op_sel:[0,0,1] op_sel_hi:[1,1,0] neg_lo:[0,0,1] neg_hi:[0,0,1]
	v_pk_fma_f32 v[82:83], v[84:85], v[74:75], v[82:83] op_sel:[0,0,1] op_sel_hi:[1,0,0]
	v_mov_b32_e32 v87, v83
	ds_load_b64 v[82:83], v76 offset:256
	v_pk_add_f32 v[42:43], v[42:43], v[88:89] neg_lo:[0,1] neg_hi:[0,1]
	v_pk_add_f32 v[32:33], v[32:33], v[86:87] neg_lo:[0,1] neg_hi:[0,1]
	s_wait_dscnt 0x0
	v_pk_mul_f32 v[72:73], v[82:83], v[72:73] op_sel:[0,1]
	s_delay_alu instid0(VALU_DEP_1) | instskip(SKIP_1) | instid1(VALU_DEP_1)
	v_pk_fma_f32 v[84:85], v[82:83], v[74:75], v[72:73] op_sel:[0,0,1] op_sel_hi:[1,1,0] neg_lo:[0,0,1] neg_hi:[0,0,1]
	v_pk_fma_f32 v[72:73], v[82:83], v[74:75], v[72:73] op_sel:[0,0,1] op_sel_hi:[1,0,0]
	v_mov_b32_e32 v85, v73
	s_delay_alu instid0(VALU_DEP_1)
	v_pk_add_f32 v[70:71], v[70:71], v[84:85] neg_lo:[0,1] neg_hi:[0,1]
.LBB64_293:
	s_or_b32 exec_lo, exec_lo, s0
	v_lshl_add_u32 v72, v80, 3, v76
	s_barrier_signal -1
	s_barrier_wait -1
	ds_store_b64 v72, v[38:39]
	s_wait_dscnt 0x0
	s_barrier_signal -1
	s_barrier_wait -1
	ds_load_b64 v[72:73], v76 offset:112
	v_mov_b32_e32 v74, 14
	s_cmp_lt_i32 s18, 16
	s_cbranch_scc1 .LBB64_296
; %bb.294:
	v_add3_u32 v75, v77, 0, 0x78
	v_mov_b32_e32 v74, 14
	s_mov_b32 s0, 15
.LBB64_295:                             ; =>This Inner Loop Header: Depth=1
	ds_load_b64 v[82:83], v75
	s_wait_dscnt 0x1
	v_cmp_gt_f32_e32 vcc_lo, 0, v72
	v_cndmask_b32_e64 v84, v72, -v72, vcc_lo
	v_cmp_gt_f32_e32 vcc_lo, 0, v73
	v_cndmask_b32_e64 v86, v73, -v73, vcc_lo
	s_wait_dscnt 0x0
	v_cmp_gt_f32_e32 vcc_lo, 0, v82
	v_cndmask_b32_e64 v85, v82, -v82, vcc_lo
	v_cmp_gt_f32_e32 vcc_lo, 0, v83
	v_cndmask_b32_e64 v87, v83, -v83, vcc_lo
	s_delay_alu instid0(VALU_DEP_1) | instskip(NEXT) | instid1(VALU_DEP_1)
	v_pk_add_f32 v[84:85], v[84:85], v[86:87]
	v_cmp_lt_f32_e32 vcc_lo, v84, v85
	v_dual_cndmask_b32 v72, v72, v82 :: v_dual_add_nc_u32 v75, 8, v75
	v_cndmask_b32_e32 v73, v73, v83, vcc_lo
	v_cndmask_b32_e64 v74, v74, s0, vcc_lo
	s_add_co_i32 s0, s0, 1
	s_delay_alu instid0(SALU_CYCLE_1)
	s_cmp_lg_u32 s18, s0
	s_cbranch_scc1 .LBB64_295
.LBB64_296:
	s_wait_dscnt 0x0
	v_cmp_eq_f32_e32 vcc_lo, 0, v72
	v_cmp_eq_f32_e64 s0, 0, v73
	s_and_b32 s0, vcc_lo, s0
	s_delay_alu instid0(SALU_CYCLE_1) | instskip(NEXT) | instid1(SALU_CYCLE_1)
	s_and_saveexec_b32 s1, s0
	s_xor_b32 s0, exec_lo, s1
; %bb.297:
	v_cmp_ne_u32_e32 vcc_lo, 0, v78
	v_cndmask_b32_e32 v78, 15, v78, vcc_lo
; %bb.298:
	s_and_not1_saveexec_b32 s0, s0
	s_cbranch_execz .LBB64_304
; %bb.299:
	v_cmp_ngt_f32_e64 s1, |v72|, |v73|
	s_and_saveexec_b32 s12, s1
	s_delay_alu instid0(SALU_CYCLE_1)
	s_xor_b32 s1, exec_lo, s12
	s_cbranch_execz .LBB64_301
; %bb.300:
	v_div_scale_f32 v75, null, v73, v73, v72
	v_div_scale_f32 v83, vcc_lo, v72, v73, v72
	s_delay_alu instid0(VALU_DEP_2) | instskip(SKIP_1) | instid1(TRANS32_DEP_1)
	v_rcp_f32_e32 v81, v75
	v_nop
	v_fma_f32 v82, -v75, v81, 1.0
	s_delay_alu instid0(VALU_DEP_1) | instskip(NEXT) | instid1(VALU_DEP_1)
	v_fmac_f32_e32 v81, v82, v81
	v_mul_f32_e32 v82, v83, v81
	s_delay_alu instid0(VALU_DEP_1) | instskip(NEXT) | instid1(VALU_DEP_1)
	v_fma_f32 v84, -v75, v82, v83
	v_fmac_f32_e32 v82, v84, v81
	s_delay_alu instid0(VALU_DEP_1) | instskip(NEXT) | instid1(VALU_DEP_1)
	v_fma_f32 v75, -v75, v82, v83
	v_div_fmas_f32 v75, v75, v81, v82
	s_delay_alu instid0(VALU_DEP_1) | instskip(NEXT) | instid1(VALU_DEP_1)
	v_div_fixup_f32 v75, v75, v73, v72
	v_fmac_f32_e32 v73, v72, v75
	s_delay_alu instid0(VALU_DEP_1) | instskip(SKIP_1) | instid1(VALU_DEP_2)
	v_div_scale_f32 v72, null, v73, v73, 1.0
	v_div_scale_f32 v83, vcc_lo, 1.0, v73, 1.0
	v_rcp_f32_e32 v81, v72
	v_nop
	s_delay_alu instid0(TRANS32_DEP_1) | instskip(NEXT) | instid1(VALU_DEP_1)
	v_fma_f32 v82, -v72, v81, 1.0
	v_fmac_f32_e32 v81, v82, v81
	s_delay_alu instid0(VALU_DEP_1) | instskip(NEXT) | instid1(VALU_DEP_1)
	v_mul_f32_e32 v82, v83, v81
	v_fma_f32 v84, -v72, v82, v83
	s_delay_alu instid0(VALU_DEP_1) | instskip(NEXT) | instid1(VALU_DEP_1)
	v_fmac_f32_e32 v82, v84, v81
	v_fma_f32 v72, -v72, v82, v83
	s_delay_alu instid0(VALU_DEP_1) | instskip(NEXT) | instid1(VALU_DEP_1)
	v_div_fmas_f32 v72, v72, v81, v82
	v_div_fixup_f32 v73, v72, v73, 1.0
	s_delay_alu instid0(VALU_DEP_1)
	v_mul_f32_e32 v72, v75, v73
	v_xor_b32_e32 v73, 0x80000000, v73
.LBB64_301:
	s_and_not1_saveexec_b32 s1, s1
	s_cbranch_execz .LBB64_303
; %bb.302:
	s_delay_alu instid0(VALU_DEP_1) | instskip(SKIP_1) | instid1(VALU_DEP_2)
	v_div_scale_f32 v75, null, v72, v72, v73
	v_div_scale_f32 v83, vcc_lo, v73, v72, v73
	v_rcp_f32_e32 v81, v75
	v_nop
	s_delay_alu instid0(TRANS32_DEP_1) | instskip(NEXT) | instid1(VALU_DEP_1)
	v_fma_f32 v82, -v75, v81, 1.0
	v_fmac_f32_e32 v81, v82, v81
	s_delay_alu instid0(VALU_DEP_1) | instskip(NEXT) | instid1(VALU_DEP_1)
	v_mul_f32_e32 v82, v83, v81
	v_fma_f32 v84, -v75, v82, v83
	s_delay_alu instid0(VALU_DEP_1) | instskip(NEXT) | instid1(VALU_DEP_1)
	v_fmac_f32_e32 v82, v84, v81
	v_fma_f32 v75, -v75, v82, v83
	s_delay_alu instid0(VALU_DEP_1) | instskip(NEXT) | instid1(VALU_DEP_1)
	v_div_fmas_f32 v75, v75, v81, v82
	v_div_fixup_f32 v75, v75, v72, v73
	s_delay_alu instid0(VALU_DEP_1) | instskip(NEXT) | instid1(VALU_DEP_1)
	v_fmac_f32_e32 v72, v73, v75
	v_div_scale_f32 v73, null, v72, v72, 1.0
	s_delay_alu instid0(VALU_DEP_1) | instskip(SKIP_1) | instid1(TRANS32_DEP_1)
	v_rcp_f32_e32 v81, v73
	v_nop
	v_fma_f32 v82, -v73, v81, 1.0
	s_delay_alu instid0(VALU_DEP_1) | instskip(SKIP_1) | instid1(VALU_DEP_1)
	v_fmac_f32_e32 v81, v82, v81
	v_div_scale_f32 v82, vcc_lo, 1.0, v72, 1.0
	v_mul_f32_e32 v83, v82, v81
	s_delay_alu instid0(VALU_DEP_1) | instskip(NEXT) | instid1(VALU_DEP_1)
	v_fma_f32 v84, -v73, v83, v82
	v_fmac_f32_e32 v83, v84, v81
	s_delay_alu instid0(VALU_DEP_1) | instskip(NEXT) | instid1(VALU_DEP_1)
	v_fma_f32 v73, -v73, v83, v82
	v_div_fmas_f32 v73, v73, v81, v83
	s_delay_alu instid0(VALU_DEP_1) | instskip(NEXT) | instid1(VALU_DEP_1)
	v_div_fixup_f32 v72, v73, v72, 1.0
	v_mul_f32_e64 v73, v75, -v72
.LBB64_303:
	s_or_b32 exec_lo, exec_lo, s1
.LBB64_304:
	s_delay_alu instid0(SALU_CYCLE_1) | instskip(NEXT) | instid1(SALU_CYCLE_1)
	s_or_b32 exec_lo, exec_lo, s0
	s_mov_b32 s0, exec_lo
	v_cmpx_ne_u32_e64 v80, v74
	s_xor_b32 s0, exec_lo, s0
	s_cbranch_execz .LBB64_310
; %bb.305:
	s_mov_b32 s1, exec_lo
	v_cmpx_eq_u32_e32 14, v80
	s_cbranch_execz .LBB64_309
; %bb.306:
	v_cmp_ne_u32_e32 vcc_lo, 14, v74
	s_xor_b32 s12, s16, -1
	s_delay_alu instid0(SALU_CYCLE_1) | instskip(NEXT) | instid1(SALU_CYCLE_1)
	s_and_b32 s13, s12, vcc_lo
	s_and_saveexec_b32 s12, s13
	s_cbranch_execz .LBB64_308
; %bb.307:
	v_ashrrev_i32_e32 v75, 31, v74
	s_delay_alu instid0(VALU_DEP_1)
	v_lshl_add_u64 v[80:81], v[74:75], 2, v[4:5]
	s_clause 0x1
	global_load_b32 v75, v[80:81], off
	global_load_b32 v79, v[4:5], off offset:56
	s_wait_loadcnt 0x1
	global_store_b32 v[4:5], v75, off offset:56
	s_wait_loadcnt 0x0
	global_store_b32 v[80:81], v79, off
.LBB64_308:
	s_wait_xcnt 0x0
	s_or_b32 exec_lo, exec_lo, s12
	v_dual_mov_b32 v80, v74 :: v_dual_mov_b32 v79, v74
.LBB64_309:
	s_or_b32 exec_lo, exec_lo, s1
.LBB64_310:
	s_and_not1_saveexec_b32 s0, s0
	s_cbranch_execz .LBB64_312
; %bb.311:
	v_mov_b32_e32 v80, 14
	ds_store_2addr_b64 v76, v[34:35], v[60:61] offset0:15 offset1:16
	ds_store_2addr_b64 v76, v[56:57], v[58:59] offset0:17 offset1:18
	;; [unrolled: 1-line block ×9, first 2 shown]
.LBB64_312:
	s_or_b32 exec_lo, exec_lo, s0
	s_delay_alu instid0(SALU_CYCLE_1)
	s_mov_b32 s0, exec_lo
	s_wait_storecnt_dscnt 0x0
	s_barrier_signal -1
	s_barrier_wait -1
	v_cmpx_lt_i32_e32 14, v80
	s_cbranch_execz .LBB64_314
; %bb.313:
	v_pk_mul_f32 v[82:83], v[72:73], v[38:39] op_sel:[1,1] op_sel_hi:[0,1]
	s_delay_alu instid0(VALU_DEP_1)
	v_pk_fma_f32 v[74:75], v[72:73], v[38:39], v[82:83] op_sel_hi:[1,0,1] neg_lo:[0,0,1] neg_hi:[0,0,1]
	v_pk_fma_f32 v[72:73], v[72:73], v[38:39], v[82:83] op_sel_hi:[1,0,1]
	ds_load_2addr_b64 v[82:85], v76 offset0:15 offset1:16
	v_dual_mov_b32 v38, v74 :: v_dual_mov_b32 v39, v73
	s_wait_dscnt 0x0
	v_pk_mul_f32 v[86:87], v[82:83], v[72:73] op_sel:[0,1]
	s_delay_alu instid0(VALU_DEP_1) | instskip(SKIP_1) | instid1(VALU_DEP_1)
	v_pk_fma_f32 v[88:89], v[82:83], v[74:75], v[86:87] op_sel:[0,0,1] op_sel_hi:[1,1,0] neg_lo:[0,0,1] neg_hi:[0,0,1]
	v_pk_fma_f32 v[82:83], v[82:83], v[74:75], v[86:87] op_sel:[0,0,1] op_sel_hi:[1,0,0]
	v_mov_b32_e32 v89, v83
	v_pk_mul_f32 v[82:83], v[84:85], v[72:73] op_sel:[0,1]
	s_delay_alu instid0(VALU_DEP_1) | instskip(SKIP_1) | instid1(VALU_DEP_1)
	v_pk_fma_f32 v[86:87], v[84:85], v[74:75], v[82:83] op_sel:[0,0,1] op_sel_hi:[1,1,0] neg_lo:[0,0,1] neg_hi:[0,0,1]
	v_pk_fma_f32 v[82:83], v[84:85], v[74:75], v[82:83] op_sel:[0,0,1] op_sel_hi:[1,0,0]
	v_mov_b32_e32 v87, v83
	ds_load_2addr_b64 v[82:85], v76 offset0:17 offset1:18
	v_pk_add_f32 v[34:35], v[34:35], v[88:89] neg_lo:[0,1] neg_hi:[0,1]
	v_pk_add_f32 v[60:61], v[60:61], v[86:87] neg_lo:[0,1] neg_hi:[0,1]
	s_wait_dscnt 0x0
	v_pk_mul_f32 v[86:87], v[82:83], v[72:73] op_sel:[0,1]
	s_delay_alu instid0(VALU_DEP_1) | instskip(SKIP_2) | instid1(VALU_DEP_2)
	v_pk_fma_f32 v[88:89], v[82:83], v[74:75], v[86:87] op_sel:[0,0,1] op_sel_hi:[1,1,0] neg_lo:[0,0,1] neg_hi:[0,0,1]
	v_pk_fma_f32 v[82:83], v[82:83], v[74:75], v[86:87] op_sel:[0,0,1] op_sel_hi:[1,0,0]
	v_dual_mul_f32 v86, v85, v73 :: v_dual_mov_b32 v82, v85
	v_dual_mov_b32 v89, v83 :: v_dual_mov_b32 v83, v84
	s_delay_alu instid0(VALU_DEP_2) | instskip(SKIP_1) | instid1(VALU_DEP_3)
	v_pk_fma_f32 v[86:87], v[84:85], v[38:39], v[86:87] op_sel_hi:[1,1,0] neg_lo:[0,0,1] neg_hi:[0,0,1]
	v_mul_f32_e32 v84, v85, v74
	v_pk_add_f32 v[56:57], v[56:57], v[88:89] neg_lo:[0,1] neg_hi:[0,1]
	s_delay_alu instid0(VALU_DEP_2) | instskip(NEXT) | instid1(VALU_DEP_1)
	v_pk_fma_f32 v[82:83], v[82:83], v[38:39], v[84:85] op_sel_hi:[1,1,0]
	v_mov_b32_e32 v87, v83
	ds_load_2addr_b64 v[82:85], v76 offset0:19 offset1:20
	v_pk_add_f32 v[58:59], v[58:59], v[86:87] neg_lo:[0,1] neg_hi:[0,1]
	s_wait_dscnt 0x0
	v_pk_mul_f32 v[86:87], v[82:83], v[72:73] op_sel:[0,1]
	s_delay_alu instid0(VALU_DEP_1) | instskip(SKIP_1) | instid1(VALU_DEP_1)
	v_pk_fma_f32 v[88:89], v[82:83], v[74:75], v[86:87] op_sel:[0,0,1] op_sel_hi:[1,1,0] neg_lo:[0,0,1] neg_hi:[0,0,1]
	v_pk_fma_f32 v[82:83], v[82:83], v[74:75], v[86:87] op_sel:[0,0,1] op_sel_hi:[1,0,0]
	v_mov_b32_e32 v89, v83
	v_pk_mul_f32 v[82:83], v[84:85], v[72:73] op_sel:[0,1]
	s_delay_alu instid0(VALU_DEP_1) | instskip(SKIP_1) | instid1(VALU_DEP_1)
	v_pk_fma_f32 v[86:87], v[84:85], v[74:75], v[82:83] op_sel:[0,0,1] op_sel_hi:[1,1,0] neg_lo:[0,0,1] neg_hi:[0,0,1]
	v_pk_fma_f32 v[82:83], v[84:85], v[74:75], v[82:83] op_sel:[0,0,1] op_sel_hi:[1,0,0]
	v_mov_b32_e32 v87, v83
	ds_load_2addr_b64 v[82:85], v76 offset0:21 offset1:22
	v_pk_add_f32 v[54:55], v[54:55], v[88:89] neg_lo:[0,1] neg_hi:[0,1]
	v_pk_add_f32 v[50:51], v[50:51], v[86:87] neg_lo:[0,1] neg_hi:[0,1]
	s_wait_dscnt 0x0
	v_pk_mul_f32 v[86:87], v[82:83], v[72:73] op_sel:[0,1]
	s_delay_alu instid0(VALU_DEP_1) | instskip(SKIP_1) | instid1(VALU_DEP_1)
	v_pk_fma_f32 v[88:89], v[82:83], v[74:75], v[86:87] op_sel:[0,0,1] op_sel_hi:[1,1,0] neg_lo:[0,0,1] neg_hi:[0,0,1]
	v_pk_fma_f32 v[82:83], v[82:83], v[74:75], v[86:87] op_sel:[0,0,1] op_sel_hi:[1,0,0]
	v_mov_b32_e32 v89, v83
	v_pk_mul_f32 v[82:83], v[84:85], v[72:73] op_sel:[0,1]
	s_delay_alu instid0(VALU_DEP_1) | instskip(SKIP_1) | instid1(VALU_DEP_1)
	v_pk_fma_f32 v[86:87], v[84:85], v[74:75], v[82:83] op_sel:[0,0,1] op_sel_hi:[1,1,0] neg_lo:[0,0,1] neg_hi:[0,0,1]
	v_pk_fma_f32 v[82:83], v[84:85], v[74:75], v[82:83] op_sel:[0,0,1] op_sel_hi:[1,0,0]
	v_mov_b32_e32 v87, v83
	ds_load_2addr_b64 v[82:85], v76 offset0:23 offset1:24
	v_pk_add_f32 v[46:47], v[46:47], v[88:89] neg_lo:[0,1] neg_hi:[0,1]
	v_pk_add_f32 v[48:49], v[48:49], v[86:87] neg_lo:[0,1] neg_hi:[0,1]
	s_wait_dscnt 0x0
	v_dual_mul_f32 v86, v83, v73 :: v_dual_mul_f32 v88, v83, v74
	s_delay_alu instid0(VALU_DEP_1) | instskip(NEXT) | instid1(VALU_DEP_2)
	v_pk_fma_f32 v[86:87], v[82:83], v[38:39], v[86:87] op_sel_hi:[1,1,0] neg_lo:[0,0,1] neg_hi:[0,0,1]
	v_pk_fma_f32 v[82:83], v[82:83], v[38:39], v[88:89] op_sel:[1,0,0] op_sel_hi:[0,1,0]
	s_delay_alu instid0(VALU_DEP_1) | instskip(SKIP_1) | instid1(VALU_DEP_2)
	v_mov_b32_e32 v87, v83
	v_pk_mul_f32 v[82:83], v[84:85], v[72:73] op_sel:[0,1]
	v_pk_add_f32 v[44:45], v[44:45], v[86:87] neg_lo:[0,1] neg_hi:[0,1]
	s_delay_alu instid0(VALU_DEP_2) | instskip(SKIP_1) | instid1(VALU_DEP_1)
	v_pk_fma_f32 v[86:87], v[84:85], v[74:75], v[82:83] op_sel:[0,0,1] op_sel_hi:[1,1,0] neg_lo:[0,0,1] neg_hi:[0,0,1]
	v_pk_fma_f32 v[82:83], v[84:85], v[74:75], v[82:83] op_sel:[0,0,1] op_sel_hi:[1,0,0]
	v_mov_b32_e32 v87, v83
	ds_load_2addr_b64 v[82:85], v76 offset0:25 offset1:26
	v_pk_add_f32 v[26:27], v[26:27], v[86:87] neg_lo:[0,1] neg_hi:[0,1]
	s_wait_dscnt 0x0
	v_pk_mul_f32 v[86:87], v[82:83], v[72:73] op_sel:[0,1]
	s_delay_alu instid0(VALU_DEP_1) | instskip(SKIP_1) | instid1(VALU_DEP_1)
	v_pk_fma_f32 v[88:89], v[82:83], v[74:75], v[86:87] op_sel:[0,0,1] op_sel_hi:[1,1,0] neg_lo:[0,0,1] neg_hi:[0,0,1]
	v_pk_fma_f32 v[82:83], v[82:83], v[74:75], v[86:87] op_sel:[0,0,1] op_sel_hi:[1,0,0]
	v_mov_b32_e32 v89, v83
	v_pk_mul_f32 v[82:83], v[84:85], v[72:73] op_sel:[0,1]
	s_delay_alu instid0(VALU_DEP_2) | instskip(NEXT) | instid1(VALU_DEP_2)
	v_pk_add_f32 v[18:19], v[18:19], v[88:89] neg_lo:[0,1] neg_hi:[0,1]
	v_pk_fma_f32 v[86:87], v[84:85], v[74:75], v[82:83] op_sel:[0,0,1] op_sel_hi:[1,1,0] neg_lo:[0,0,1] neg_hi:[0,0,1]
	v_pk_fma_f32 v[82:83], v[84:85], v[74:75], v[82:83] op_sel:[0,0,1] op_sel_hi:[1,0,0]
	s_delay_alu instid0(VALU_DEP_1) | instskip(SKIP_4) | instid1(VALU_DEP_1)
	v_mov_b32_e32 v87, v83
	ds_load_2addr_b64 v[82:85], v76 offset0:27 offset1:28
	v_pk_add_f32 v[24:25], v[24:25], v[86:87] neg_lo:[0,1] neg_hi:[0,1]
	s_wait_dscnt 0x0
	v_pk_mul_f32 v[86:87], v[82:83], v[72:73] op_sel:[0,1]
	v_pk_fma_f32 v[88:89], v[82:83], v[74:75], v[86:87] op_sel:[0,0,1] op_sel_hi:[1,1,0] neg_lo:[0,0,1] neg_hi:[0,0,1]
	v_pk_fma_f32 v[82:83], v[82:83], v[74:75], v[86:87] op_sel:[0,0,1] op_sel_hi:[1,0,0]
	v_dual_mul_f32 v86, v85, v73 :: v_dual_mov_b32 v82, v85
	s_delay_alu instid0(VALU_DEP_2) | instskip(NEXT) | instid1(VALU_DEP_2)
	v_dual_mov_b32 v89, v83 :: v_dual_mov_b32 v83, v84
	v_pk_fma_f32 v[86:87], v[84:85], v[38:39], v[86:87] op_sel_hi:[1,1,0] neg_lo:[0,0,1] neg_hi:[0,0,1]
	v_mul_f32_e32 v84, v85, v74
	s_delay_alu instid0(VALU_DEP_3) | instskip(NEXT) | instid1(VALU_DEP_2)
	v_pk_add_f32 v[16:17], v[16:17], v[88:89] neg_lo:[0,1] neg_hi:[0,1]
	v_pk_fma_f32 v[82:83], v[82:83], v[38:39], v[84:85] op_sel_hi:[1,1,0]
	s_delay_alu instid0(VALU_DEP_1) | instskip(SKIP_4) | instid1(VALU_DEP_1)
	v_mov_b32_e32 v87, v83
	ds_load_2addr_b64 v[82:85], v76 offset0:29 offset1:30
	v_pk_add_f32 v[6:7], v[6:7], v[86:87] neg_lo:[0,1] neg_hi:[0,1]
	s_wait_dscnt 0x0
	v_pk_mul_f32 v[86:87], v[82:83], v[72:73] op_sel:[0,1]
	v_pk_fma_f32 v[88:89], v[82:83], v[74:75], v[86:87] op_sel:[0,0,1] op_sel_hi:[1,1,0] neg_lo:[0,0,1] neg_hi:[0,0,1]
	v_pk_fma_f32 v[82:83], v[82:83], v[74:75], v[86:87] op_sel:[0,0,1] op_sel_hi:[1,0,0]
	s_delay_alu instid0(VALU_DEP_1) | instskip(SKIP_1) | instid1(VALU_DEP_1)
	v_mov_b32_e32 v89, v83
	v_pk_mul_f32 v[82:83], v[84:85], v[72:73] op_sel:[0,1]
	v_pk_fma_f32 v[86:87], v[84:85], v[74:75], v[82:83] op_sel:[0,0,1] op_sel_hi:[1,1,0] neg_lo:[0,0,1] neg_hi:[0,0,1]
	v_pk_fma_f32 v[82:83], v[84:85], v[74:75], v[82:83] op_sel:[0,0,1] op_sel_hi:[1,0,0]
	s_delay_alu instid0(VALU_DEP_1)
	v_mov_b32_e32 v87, v83
	ds_load_2addr_b64 v[82:85], v76 offset0:31 offset1:32
	v_pk_add_f32 v[52:53], v[52:53], v[88:89] neg_lo:[0,1] neg_hi:[0,1]
	v_pk_add_f32 v[42:43], v[42:43], v[86:87] neg_lo:[0,1] neg_hi:[0,1]
	s_wait_dscnt 0x0
	v_pk_mul_f32 v[86:87], v[82:83], v[72:73] op_sel:[0,1]
	v_mul_f32_e32 v72, v85, v73
	s_delay_alu instid0(VALU_DEP_2) | instskip(SKIP_2) | instid1(VALU_DEP_4)
	v_pk_fma_f32 v[88:89], v[82:83], v[74:75], v[86:87] op_sel:[0,0,1] op_sel_hi:[1,1,0] neg_lo:[0,0,1] neg_hi:[0,0,1]
	v_pk_fma_f32 v[82:83], v[82:83], v[74:75], v[86:87] op_sel:[0,0,1] op_sel_hi:[1,0,0]
	v_dual_mov_b32 v82, v85 :: v_dual_mul_f32 v74, v85, v74
	v_pk_fma_f32 v[72:73], v[84:85], v[38:39], v[72:73] op_sel_hi:[1,1,0] neg_lo:[0,0,1] neg_hi:[0,0,1]
	s_delay_alu instid0(VALU_DEP_3) | instskip(NEXT) | instid1(VALU_DEP_1)
	v_dual_mov_b32 v89, v83 :: v_dual_mov_b32 v83, v84
	v_pk_add_f32 v[32:33], v[32:33], v[88:89] neg_lo:[0,1] neg_hi:[0,1]
	s_delay_alu instid0(VALU_DEP_2) | instskip(NEXT) | instid1(VALU_DEP_1)
	v_pk_fma_f32 v[74:75], v[82:83], v[38:39], v[74:75] op_sel_hi:[1,1,0]
	v_mov_b32_e32 v73, v75
	s_delay_alu instid0(VALU_DEP_1)
	v_pk_add_f32 v[70:71], v[70:71], v[72:73] neg_lo:[0,1] neg_hi:[0,1]
.LBB64_314:
	s_or_b32 exec_lo, exec_lo, s0
	v_lshl_add_u32 v72, v80, 3, v76
	s_barrier_signal -1
	s_barrier_wait -1
	ds_store_b64 v72, v[34:35]
	s_wait_dscnt 0x0
	s_barrier_signal -1
	s_barrier_wait -1
	ds_load_b64 v[72:73], v76 offset:120
	v_mov_b32_e32 v74, 15
	s_cmp_lt_i32 s18, 17
	s_cbranch_scc1 .LBB64_317
; %bb.315:
	v_add3_u32 v75, v77, 0, 0x80
	v_mov_b32_e32 v74, 15
	s_mov_b32 s0, 16
.LBB64_316:                             ; =>This Inner Loop Header: Depth=1
	ds_load_b64 v[82:83], v75
	s_wait_dscnt 0x1
	v_cmp_gt_f32_e32 vcc_lo, 0, v72
	v_cndmask_b32_e64 v84, v72, -v72, vcc_lo
	v_cmp_gt_f32_e32 vcc_lo, 0, v73
	v_cndmask_b32_e64 v86, v73, -v73, vcc_lo
	s_wait_dscnt 0x0
	v_cmp_gt_f32_e32 vcc_lo, 0, v82
	v_cndmask_b32_e64 v85, v82, -v82, vcc_lo
	v_cmp_gt_f32_e32 vcc_lo, 0, v83
	v_cndmask_b32_e64 v87, v83, -v83, vcc_lo
	s_delay_alu instid0(VALU_DEP_1) | instskip(NEXT) | instid1(VALU_DEP_1)
	v_pk_add_f32 v[84:85], v[84:85], v[86:87]
	v_cmp_lt_f32_e32 vcc_lo, v84, v85
	v_dual_cndmask_b32 v72, v72, v82 :: v_dual_add_nc_u32 v75, 8, v75
	v_cndmask_b32_e32 v73, v73, v83, vcc_lo
	v_cndmask_b32_e64 v74, v74, s0, vcc_lo
	s_add_co_i32 s0, s0, 1
	s_delay_alu instid0(SALU_CYCLE_1)
	s_cmp_lg_u32 s18, s0
	s_cbranch_scc1 .LBB64_316
.LBB64_317:
	s_wait_dscnt 0x0
	v_cmp_eq_f32_e32 vcc_lo, 0, v72
	v_cmp_eq_f32_e64 s0, 0, v73
	s_and_b32 s0, vcc_lo, s0
	s_delay_alu instid0(SALU_CYCLE_1) | instskip(NEXT) | instid1(SALU_CYCLE_1)
	s_and_saveexec_b32 s1, s0
	s_xor_b32 s0, exec_lo, s1
; %bb.318:
	v_cmp_ne_u32_e32 vcc_lo, 0, v78
	v_cndmask_b32_e32 v78, 16, v78, vcc_lo
; %bb.319:
	s_and_not1_saveexec_b32 s0, s0
	s_cbranch_execz .LBB64_325
; %bb.320:
	v_cmp_ngt_f32_e64 s1, |v72|, |v73|
	s_and_saveexec_b32 s12, s1
	s_delay_alu instid0(SALU_CYCLE_1)
	s_xor_b32 s1, exec_lo, s12
	s_cbranch_execz .LBB64_322
; %bb.321:
	v_div_scale_f32 v75, null, v73, v73, v72
	v_div_scale_f32 v83, vcc_lo, v72, v73, v72
	s_delay_alu instid0(VALU_DEP_2) | instskip(SKIP_1) | instid1(TRANS32_DEP_1)
	v_rcp_f32_e32 v81, v75
	v_nop
	v_fma_f32 v82, -v75, v81, 1.0
	s_delay_alu instid0(VALU_DEP_1) | instskip(NEXT) | instid1(VALU_DEP_1)
	v_fmac_f32_e32 v81, v82, v81
	v_mul_f32_e32 v82, v83, v81
	s_delay_alu instid0(VALU_DEP_1) | instskip(NEXT) | instid1(VALU_DEP_1)
	v_fma_f32 v84, -v75, v82, v83
	v_fmac_f32_e32 v82, v84, v81
	s_delay_alu instid0(VALU_DEP_1) | instskip(NEXT) | instid1(VALU_DEP_1)
	v_fma_f32 v75, -v75, v82, v83
	v_div_fmas_f32 v75, v75, v81, v82
	s_delay_alu instid0(VALU_DEP_1) | instskip(NEXT) | instid1(VALU_DEP_1)
	v_div_fixup_f32 v75, v75, v73, v72
	v_fmac_f32_e32 v73, v72, v75
	s_delay_alu instid0(VALU_DEP_1) | instskip(SKIP_1) | instid1(VALU_DEP_2)
	v_div_scale_f32 v72, null, v73, v73, 1.0
	v_div_scale_f32 v83, vcc_lo, 1.0, v73, 1.0
	v_rcp_f32_e32 v81, v72
	v_nop
	s_delay_alu instid0(TRANS32_DEP_1) | instskip(NEXT) | instid1(VALU_DEP_1)
	v_fma_f32 v82, -v72, v81, 1.0
	v_fmac_f32_e32 v81, v82, v81
	s_delay_alu instid0(VALU_DEP_1) | instskip(NEXT) | instid1(VALU_DEP_1)
	v_mul_f32_e32 v82, v83, v81
	v_fma_f32 v84, -v72, v82, v83
	s_delay_alu instid0(VALU_DEP_1) | instskip(NEXT) | instid1(VALU_DEP_1)
	v_fmac_f32_e32 v82, v84, v81
	v_fma_f32 v72, -v72, v82, v83
	s_delay_alu instid0(VALU_DEP_1) | instskip(NEXT) | instid1(VALU_DEP_1)
	v_div_fmas_f32 v72, v72, v81, v82
	v_div_fixup_f32 v73, v72, v73, 1.0
	s_delay_alu instid0(VALU_DEP_1)
	v_mul_f32_e32 v72, v75, v73
	v_xor_b32_e32 v73, 0x80000000, v73
.LBB64_322:
	s_and_not1_saveexec_b32 s1, s1
	s_cbranch_execz .LBB64_324
; %bb.323:
	s_delay_alu instid0(VALU_DEP_1) | instskip(SKIP_1) | instid1(VALU_DEP_2)
	v_div_scale_f32 v75, null, v72, v72, v73
	v_div_scale_f32 v83, vcc_lo, v73, v72, v73
	v_rcp_f32_e32 v81, v75
	v_nop
	s_delay_alu instid0(TRANS32_DEP_1) | instskip(NEXT) | instid1(VALU_DEP_1)
	v_fma_f32 v82, -v75, v81, 1.0
	v_fmac_f32_e32 v81, v82, v81
	s_delay_alu instid0(VALU_DEP_1) | instskip(NEXT) | instid1(VALU_DEP_1)
	v_mul_f32_e32 v82, v83, v81
	v_fma_f32 v84, -v75, v82, v83
	s_delay_alu instid0(VALU_DEP_1) | instskip(NEXT) | instid1(VALU_DEP_1)
	v_fmac_f32_e32 v82, v84, v81
	v_fma_f32 v75, -v75, v82, v83
	s_delay_alu instid0(VALU_DEP_1) | instskip(NEXT) | instid1(VALU_DEP_1)
	v_div_fmas_f32 v75, v75, v81, v82
	v_div_fixup_f32 v75, v75, v72, v73
	s_delay_alu instid0(VALU_DEP_1) | instskip(NEXT) | instid1(VALU_DEP_1)
	v_fmac_f32_e32 v72, v73, v75
	v_div_scale_f32 v73, null, v72, v72, 1.0
	s_delay_alu instid0(VALU_DEP_1) | instskip(SKIP_1) | instid1(TRANS32_DEP_1)
	v_rcp_f32_e32 v81, v73
	v_nop
	v_fma_f32 v82, -v73, v81, 1.0
	s_delay_alu instid0(VALU_DEP_1) | instskip(SKIP_1) | instid1(VALU_DEP_1)
	v_fmac_f32_e32 v81, v82, v81
	v_div_scale_f32 v82, vcc_lo, 1.0, v72, 1.0
	v_mul_f32_e32 v83, v82, v81
	s_delay_alu instid0(VALU_DEP_1) | instskip(NEXT) | instid1(VALU_DEP_1)
	v_fma_f32 v84, -v73, v83, v82
	v_fmac_f32_e32 v83, v84, v81
	s_delay_alu instid0(VALU_DEP_1) | instskip(NEXT) | instid1(VALU_DEP_1)
	v_fma_f32 v73, -v73, v83, v82
	v_div_fmas_f32 v73, v73, v81, v83
	s_delay_alu instid0(VALU_DEP_1) | instskip(NEXT) | instid1(VALU_DEP_1)
	v_div_fixup_f32 v72, v73, v72, 1.0
	v_mul_f32_e64 v73, v75, -v72
.LBB64_324:
	s_or_b32 exec_lo, exec_lo, s1
.LBB64_325:
	s_delay_alu instid0(SALU_CYCLE_1) | instskip(NEXT) | instid1(SALU_CYCLE_1)
	s_or_b32 exec_lo, exec_lo, s0
	s_mov_b32 s0, exec_lo
	v_cmpx_ne_u32_e64 v80, v74
	s_xor_b32 s0, exec_lo, s0
	s_cbranch_execz .LBB64_331
; %bb.326:
	s_mov_b32 s1, exec_lo
	v_cmpx_eq_u32_e32 15, v80
	s_cbranch_execz .LBB64_330
; %bb.327:
	v_cmp_ne_u32_e32 vcc_lo, 15, v74
	s_xor_b32 s12, s16, -1
	s_delay_alu instid0(SALU_CYCLE_1) | instskip(NEXT) | instid1(SALU_CYCLE_1)
	s_and_b32 s13, s12, vcc_lo
	s_and_saveexec_b32 s12, s13
	s_cbranch_execz .LBB64_329
; %bb.328:
	v_ashrrev_i32_e32 v75, 31, v74
	s_delay_alu instid0(VALU_DEP_1)
	v_lshl_add_u64 v[80:81], v[74:75], 2, v[4:5]
	s_clause 0x1
	global_load_b32 v75, v[80:81], off
	global_load_b32 v79, v[4:5], off offset:60
	s_wait_loadcnt 0x1
	global_store_b32 v[4:5], v75, off offset:60
	s_wait_loadcnt 0x0
	global_store_b32 v[80:81], v79, off
.LBB64_329:
	s_wait_xcnt 0x0
	s_or_b32 exec_lo, exec_lo, s12
	v_dual_mov_b32 v80, v74 :: v_dual_mov_b32 v79, v74
.LBB64_330:
	s_or_b32 exec_lo, exec_lo, s1
.LBB64_331:
	s_and_not1_saveexec_b32 s0, s0
	s_cbranch_execz .LBB64_333
; %bb.332:
	v_dual_mov_b32 v74, v60 :: v_dual_mov_b32 v75, v61
	v_dual_mov_b32 v80, v56 :: v_dual_mov_b32 v81, v57
	;; [unrolled: 1-line block ×8, first 2 shown]
	ds_store_2addr_b64 v76, v[74:75], v[80:81] offset0:16 offset1:17
	ds_store_2addr_b64 v76, v[82:83], v[84:85] offset0:18 offset1:19
	;; [unrolled: 1-line block ×4, first 2 shown]
	v_dual_mov_b32 v74, v26 :: v_dual_mov_b32 v75, v27
	v_dual_mov_b32 v82, v18 :: v_dual_mov_b32 v83, v19
	;; [unrolled: 1-line block ×8, first 2 shown]
	v_mov_b32_e32 v95, v33
	ds_store_2addr_b64 v76, v[74:75], v[82:83] offset0:24 offset1:25
	ds_store_2addr_b64 v76, v[84:85], v[86:87] offset0:26 offset1:27
	;; [unrolled: 1-line block ×4, first 2 shown]
	ds_store_b64 v76, v[70:71] offset:256
.LBB64_333:
	s_or_b32 exec_lo, exec_lo, s0
	s_delay_alu instid0(SALU_CYCLE_1)
	s_mov_b32 s0, exec_lo
	s_wait_storecnt_dscnt 0x0
	s_barrier_signal -1
	s_barrier_wait -1
	v_cmpx_lt_i32_e32 15, v80
	s_cbranch_execz .LBB64_335
; %bb.334:
	v_pk_mul_f32 v[82:83], v[72:73], v[34:35] op_sel:[1,1] op_sel_hi:[0,1]
	s_delay_alu instid0(VALU_DEP_1)
	v_pk_fma_f32 v[74:75], v[72:73], v[34:35], v[82:83] op_sel_hi:[1,0,1] neg_lo:[0,0,1] neg_hi:[0,0,1]
	v_pk_fma_f32 v[72:73], v[72:73], v[34:35], v[82:83] op_sel_hi:[1,0,1]
	ds_load_2addr_b64 v[82:85], v76 offset0:16 offset1:17
	v_dual_mov_b32 v34, v74 :: v_dual_mov_b32 v35, v73
	s_wait_dscnt 0x0
	v_pk_mul_f32 v[86:87], v[82:83], v[72:73] op_sel:[0,1]
	s_delay_alu instid0(VALU_DEP_1) | instskip(SKIP_1) | instid1(VALU_DEP_1)
	v_pk_fma_f32 v[88:89], v[82:83], v[74:75], v[86:87] op_sel:[0,0,1] op_sel_hi:[1,1,0] neg_lo:[0,0,1] neg_hi:[0,0,1]
	v_pk_fma_f32 v[82:83], v[82:83], v[74:75], v[86:87] op_sel:[0,0,1] op_sel_hi:[1,0,0]
	v_mov_b32_e32 v89, v83
	v_pk_mul_f32 v[82:83], v[84:85], v[72:73] op_sel:[0,1]
	s_delay_alu instid0(VALU_DEP_1) | instskip(SKIP_1) | instid1(VALU_DEP_1)
	v_pk_fma_f32 v[86:87], v[84:85], v[74:75], v[82:83] op_sel:[0,0,1] op_sel_hi:[1,1,0] neg_lo:[0,0,1] neg_hi:[0,0,1]
	v_pk_fma_f32 v[82:83], v[84:85], v[74:75], v[82:83] op_sel:[0,0,1] op_sel_hi:[1,0,0]
	v_mov_b32_e32 v87, v83
	ds_load_2addr_b64 v[82:85], v76 offset0:18 offset1:19
	v_pk_add_f32 v[60:61], v[60:61], v[88:89] neg_lo:[0,1] neg_hi:[0,1]
	v_pk_add_f32 v[56:57], v[56:57], v[86:87] neg_lo:[0,1] neg_hi:[0,1]
	s_wait_dscnt 0x0
	v_pk_mul_f32 v[86:87], v[82:83], v[72:73] op_sel:[0,1]
	s_delay_alu instid0(VALU_DEP_1) | instskip(SKIP_2) | instid1(VALU_DEP_2)
	v_pk_fma_f32 v[88:89], v[82:83], v[74:75], v[86:87] op_sel:[0,0,1] op_sel_hi:[1,1,0] neg_lo:[0,0,1] neg_hi:[0,0,1]
	v_pk_fma_f32 v[82:83], v[82:83], v[74:75], v[86:87] op_sel:[0,0,1] op_sel_hi:[1,0,0]
	v_dual_mul_f32 v86, v85, v73 :: v_dual_mov_b32 v82, v85
	v_dual_mov_b32 v89, v83 :: v_dual_mov_b32 v83, v84
	s_delay_alu instid0(VALU_DEP_2) | instskip(SKIP_1) | instid1(VALU_DEP_3)
	v_pk_fma_f32 v[86:87], v[84:85], v[34:35], v[86:87] op_sel_hi:[1,1,0] neg_lo:[0,0,1] neg_hi:[0,0,1]
	v_mul_f32_e32 v84, v85, v74
	v_pk_add_f32 v[58:59], v[58:59], v[88:89] neg_lo:[0,1] neg_hi:[0,1]
	s_delay_alu instid0(VALU_DEP_2) | instskip(NEXT) | instid1(VALU_DEP_1)
	v_pk_fma_f32 v[82:83], v[82:83], v[34:35], v[84:85] op_sel_hi:[1,1,0]
	v_mov_b32_e32 v87, v83
	ds_load_2addr_b64 v[82:85], v76 offset0:20 offset1:21
	v_pk_add_f32 v[54:55], v[54:55], v[86:87] neg_lo:[0,1] neg_hi:[0,1]
	s_wait_dscnt 0x0
	v_pk_mul_f32 v[86:87], v[82:83], v[72:73] op_sel:[0,1]
	s_delay_alu instid0(VALU_DEP_1) | instskip(SKIP_1) | instid1(VALU_DEP_1)
	v_pk_fma_f32 v[88:89], v[82:83], v[74:75], v[86:87] op_sel:[0,0,1] op_sel_hi:[1,1,0] neg_lo:[0,0,1] neg_hi:[0,0,1]
	v_pk_fma_f32 v[82:83], v[82:83], v[74:75], v[86:87] op_sel:[0,0,1] op_sel_hi:[1,0,0]
	v_mov_b32_e32 v89, v83
	v_pk_mul_f32 v[82:83], v[84:85], v[72:73] op_sel:[0,1]
	s_delay_alu instid0(VALU_DEP_1) | instskip(SKIP_1) | instid1(VALU_DEP_1)
	v_pk_fma_f32 v[86:87], v[84:85], v[74:75], v[82:83] op_sel:[0,0,1] op_sel_hi:[1,1,0] neg_lo:[0,0,1] neg_hi:[0,0,1]
	v_pk_fma_f32 v[82:83], v[84:85], v[74:75], v[82:83] op_sel:[0,0,1] op_sel_hi:[1,0,0]
	v_mov_b32_e32 v87, v83
	ds_load_2addr_b64 v[82:85], v76 offset0:22 offset1:23
	v_pk_add_f32 v[50:51], v[50:51], v[88:89] neg_lo:[0,1] neg_hi:[0,1]
	v_pk_add_f32 v[46:47], v[46:47], v[86:87] neg_lo:[0,1] neg_hi:[0,1]
	s_wait_dscnt 0x0
	v_pk_mul_f32 v[86:87], v[82:83], v[72:73] op_sel:[0,1]
	s_delay_alu instid0(VALU_DEP_1) | instskip(SKIP_1) | instid1(VALU_DEP_1)
	v_pk_fma_f32 v[88:89], v[82:83], v[74:75], v[86:87] op_sel:[0,0,1] op_sel_hi:[1,1,0] neg_lo:[0,0,1] neg_hi:[0,0,1]
	v_pk_fma_f32 v[82:83], v[82:83], v[74:75], v[86:87] op_sel:[0,0,1] op_sel_hi:[1,0,0]
	v_mov_b32_e32 v89, v83
	v_pk_mul_f32 v[82:83], v[84:85], v[72:73] op_sel:[0,1]
	s_delay_alu instid0(VALU_DEP_1) | instskip(SKIP_1) | instid1(VALU_DEP_1)
	v_pk_fma_f32 v[86:87], v[84:85], v[74:75], v[82:83] op_sel:[0,0,1] op_sel_hi:[1,1,0] neg_lo:[0,0,1] neg_hi:[0,0,1]
	v_pk_fma_f32 v[82:83], v[84:85], v[74:75], v[82:83] op_sel:[0,0,1] op_sel_hi:[1,0,0]
	v_mov_b32_e32 v87, v83
	ds_load_2addr_b64 v[82:85], v76 offset0:24 offset1:25
	v_pk_add_f32 v[48:49], v[48:49], v[88:89] neg_lo:[0,1] neg_hi:[0,1]
	v_pk_add_f32 v[44:45], v[44:45], v[86:87] neg_lo:[0,1] neg_hi:[0,1]
	s_wait_dscnt 0x0
	v_dual_mul_f32 v86, v83, v73 :: v_dual_mul_f32 v88, v83, v74
	s_delay_alu instid0(VALU_DEP_1) | instskip(NEXT) | instid1(VALU_DEP_2)
	v_pk_fma_f32 v[86:87], v[82:83], v[34:35], v[86:87] op_sel_hi:[1,1,0] neg_lo:[0,0,1] neg_hi:[0,0,1]
	v_pk_fma_f32 v[82:83], v[82:83], v[34:35], v[88:89] op_sel:[1,0,0] op_sel_hi:[0,1,0]
	s_delay_alu instid0(VALU_DEP_1) | instskip(SKIP_1) | instid1(VALU_DEP_2)
	v_mov_b32_e32 v87, v83
	v_pk_mul_f32 v[82:83], v[84:85], v[72:73] op_sel:[0,1]
	v_pk_add_f32 v[26:27], v[26:27], v[86:87] neg_lo:[0,1] neg_hi:[0,1]
	s_delay_alu instid0(VALU_DEP_2) | instskip(SKIP_1) | instid1(VALU_DEP_1)
	v_pk_fma_f32 v[86:87], v[84:85], v[74:75], v[82:83] op_sel:[0,0,1] op_sel_hi:[1,1,0] neg_lo:[0,0,1] neg_hi:[0,0,1]
	v_pk_fma_f32 v[82:83], v[84:85], v[74:75], v[82:83] op_sel:[0,0,1] op_sel_hi:[1,0,0]
	v_mov_b32_e32 v87, v83
	ds_load_2addr_b64 v[82:85], v76 offset0:26 offset1:27
	v_pk_add_f32 v[18:19], v[18:19], v[86:87] neg_lo:[0,1] neg_hi:[0,1]
	s_wait_dscnt 0x0
	v_pk_mul_f32 v[86:87], v[82:83], v[72:73] op_sel:[0,1]
	s_delay_alu instid0(VALU_DEP_1) | instskip(SKIP_1) | instid1(VALU_DEP_1)
	v_pk_fma_f32 v[88:89], v[82:83], v[74:75], v[86:87] op_sel:[0,0,1] op_sel_hi:[1,1,0] neg_lo:[0,0,1] neg_hi:[0,0,1]
	v_pk_fma_f32 v[82:83], v[82:83], v[74:75], v[86:87] op_sel:[0,0,1] op_sel_hi:[1,0,0]
	v_mov_b32_e32 v89, v83
	v_pk_mul_f32 v[82:83], v[84:85], v[72:73] op_sel:[0,1]
	s_delay_alu instid0(VALU_DEP_2) | instskip(NEXT) | instid1(VALU_DEP_2)
	v_pk_add_f32 v[24:25], v[24:25], v[88:89] neg_lo:[0,1] neg_hi:[0,1]
	v_pk_fma_f32 v[86:87], v[84:85], v[74:75], v[82:83] op_sel:[0,0,1] op_sel_hi:[1,1,0] neg_lo:[0,0,1] neg_hi:[0,0,1]
	v_pk_fma_f32 v[82:83], v[84:85], v[74:75], v[82:83] op_sel:[0,0,1] op_sel_hi:[1,0,0]
	s_delay_alu instid0(VALU_DEP_1) | instskip(SKIP_4) | instid1(VALU_DEP_1)
	v_mov_b32_e32 v87, v83
	ds_load_2addr_b64 v[82:85], v76 offset0:28 offset1:29
	v_pk_add_f32 v[16:17], v[16:17], v[86:87] neg_lo:[0,1] neg_hi:[0,1]
	s_wait_dscnt 0x0
	v_pk_mul_f32 v[86:87], v[82:83], v[72:73] op_sel:[0,1]
	v_pk_fma_f32 v[88:89], v[82:83], v[74:75], v[86:87] op_sel:[0,0,1] op_sel_hi:[1,1,0] neg_lo:[0,0,1] neg_hi:[0,0,1]
	v_pk_fma_f32 v[82:83], v[82:83], v[74:75], v[86:87] op_sel:[0,0,1] op_sel_hi:[1,0,0]
	v_dual_mul_f32 v86, v85, v73 :: v_dual_mov_b32 v82, v85
	s_delay_alu instid0(VALU_DEP_2) | instskip(NEXT) | instid1(VALU_DEP_2)
	v_dual_mov_b32 v89, v83 :: v_dual_mov_b32 v83, v84
	v_pk_fma_f32 v[86:87], v[84:85], v[34:35], v[86:87] op_sel_hi:[1,1,0] neg_lo:[0,0,1] neg_hi:[0,0,1]
	v_mul_f32_e32 v84, v85, v74
	s_delay_alu instid0(VALU_DEP_3) | instskip(NEXT) | instid1(VALU_DEP_2)
	v_pk_add_f32 v[6:7], v[6:7], v[88:89] neg_lo:[0,1] neg_hi:[0,1]
	v_pk_fma_f32 v[82:83], v[82:83], v[34:35], v[84:85] op_sel_hi:[1,1,0]
	s_delay_alu instid0(VALU_DEP_1) | instskip(SKIP_4) | instid1(VALU_DEP_1)
	v_mov_b32_e32 v87, v83
	ds_load_2addr_b64 v[82:85], v76 offset0:30 offset1:31
	v_pk_add_f32 v[52:53], v[52:53], v[86:87] neg_lo:[0,1] neg_hi:[0,1]
	s_wait_dscnt 0x0
	v_pk_mul_f32 v[86:87], v[82:83], v[72:73] op_sel:[0,1]
	v_pk_fma_f32 v[88:89], v[82:83], v[74:75], v[86:87] op_sel:[0,0,1] op_sel_hi:[1,1,0] neg_lo:[0,0,1] neg_hi:[0,0,1]
	v_pk_fma_f32 v[82:83], v[82:83], v[74:75], v[86:87] op_sel:[0,0,1] op_sel_hi:[1,0,0]
	s_delay_alu instid0(VALU_DEP_1) | instskip(SKIP_1) | instid1(VALU_DEP_1)
	v_mov_b32_e32 v89, v83
	v_pk_mul_f32 v[82:83], v[84:85], v[72:73] op_sel:[0,1]
	v_pk_fma_f32 v[86:87], v[84:85], v[74:75], v[82:83] op_sel:[0,0,1] op_sel_hi:[1,1,0] neg_lo:[0,0,1] neg_hi:[0,0,1]
	v_pk_fma_f32 v[82:83], v[84:85], v[74:75], v[82:83] op_sel:[0,0,1] op_sel_hi:[1,0,0]
	s_delay_alu instid0(VALU_DEP_1)
	v_mov_b32_e32 v87, v83
	ds_load_b64 v[82:83], v76 offset:256
	v_pk_add_f32 v[42:43], v[42:43], v[88:89] neg_lo:[0,1] neg_hi:[0,1]
	v_pk_add_f32 v[32:33], v[32:33], v[86:87] neg_lo:[0,1] neg_hi:[0,1]
	s_wait_dscnt 0x0
	v_pk_mul_f32 v[72:73], v[82:83], v[72:73] op_sel:[0,1]
	s_delay_alu instid0(VALU_DEP_1) | instskip(SKIP_1) | instid1(VALU_DEP_1)
	v_pk_fma_f32 v[84:85], v[82:83], v[74:75], v[72:73] op_sel:[0,0,1] op_sel_hi:[1,1,0] neg_lo:[0,0,1] neg_hi:[0,0,1]
	v_pk_fma_f32 v[72:73], v[82:83], v[74:75], v[72:73] op_sel:[0,0,1] op_sel_hi:[1,0,0]
	v_mov_b32_e32 v85, v73
	s_delay_alu instid0(VALU_DEP_1)
	v_pk_add_f32 v[70:71], v[70:71], v[84:85] neg_lo:[0,1] neg_hi:[0,1]
.LBB64_335:
	s_or_b32 exec_lo, exec_lo, s0
	v_lshl_add_u32 v72, v80, 3, v76
	s_barrier_signal -1
	s_barrier_wait -1
	ds_store_b64 v72, v[60:61]
	s_wait_dscnt 0x0
	s_barrier_signal -1
	s_barrier_wait -1
	ds_load_b64 v[72:73], v76 offset:128
	v_mov_b32_e32 v74, 16
	s_cmp_lt_i32 s18, 18
	s_cbranch_scc1 .LBB64_338
; %bb.336:
	v_add3_u32 v75, v77, 0, 0x88
	v_mov_b32_e32 v74, 16
	s_mov_b32 s0, 17
.LBB64_337:                             ; =>This Inner Loop Header: Depth=1
	ds_load_b64 v[82:83], v75
	s_wait_dscnt 0x1
	v_cmp_gt_f32_e32 vcc_lo, 0, v72
	v_cndmask_b32_e64 v84, v72, -v72, vcc_lo
	v_cmp_gt_f32_e32 vcc_lo, 0, v73
	v_cndmask_b32_e64 v86, v73, -v73, vcc_lo
	s_wait_dscnt 0x0
	v_cmp_gt_f32_e32 vcc_lo, 0, v82
	v_cndmask_b32_e64 v85, v82, -v82, vcc_lo
	v_cmp_gt_f32_e32 vcc_lo, 0, v83
	v_cndmask_b32_e64 v87, v83, -v83, vcc_lo
	s_delay_alu instid0(VALU_DEP_1) | instskip(NEXT) | instid1(VALU_DEP_1)
	v_pk_add_f32 v[84:85], v[84:85], v[86:87]
	v_cmp_lt_f32_e32 vcc_lo, v84, v85
	v_dual_cndmask_b32 v72, v72, v82 :: v_dual_add_nc_u32 v75, 8, v75
	v_cndmask_b32_e32 v73, v73, v83, vcc_lo
	v_cndmask_b32_e64 v74, v74, s0, vcc_lo
	s_add_co_i32 s0, s0, 1
	s_delay_alu instid0(SALU_CYCLE_1)
	s_cmp_lg_u32 s18, s0
	s_cbranch_scc1 .LBB64_337
.LBB64_338:
	s_wait_dscnt 0x0
	v_cmp_eq_f32_e32 vcc_lo, 0, v72
	v_cmp_eq_f32_e64 s0, 0, v73
	s_and_b32 s0, vcc_lo, s0
	s_delay_alu instid0(SALU_CYCLE_1) | instskip(NEXT) | instid1(SALU_CYCLE_1)
	s_and_saveexec_b32 s1, s0
	s_xor_b32 s0, exec_lo, s1
; %bb.339:
	v_cmp_ne_u32_e32 vcc_lo, 0, v78
	v_cndmask_b32_e32 v78, 17, v78, vcc_lo
; %bb.340:
	s_and_not1_saveexec_b32 s0, s0
	s_cbranch_execz .LBB64_346
; %bb.341:
	v_cmp_ngt_f32_e64 s1, |v72|, |v73|
	s_and_saveexec_b32 s12, s1
	s_delay_alu instid0(SALU_CYCLE_1)
	s_xor_b32 s1, exec_lo, s12
	s_cbranch_execz .LBB64_343
; %bb.342:
	v_div_scale_f32 v75, null, v73, v73, v72
	v_div_scale_f32 v83, vcc_lo, v72, v73, v72
	s_delay_alu instid0(VALU_DEP_2) | instskip(SKIP_1) | instid1(TRANS32_DEP_1)
	v_rcp_f32_e32 v81, v75
	v_nop
	v_fma_f32 v82, -v75, v81, 1.0
	s_delay_alu instid0(VALU_DEP_1) | instskip(NEXT) | instid1(VALU_DEP_1)
	v_fmac_f32_e32 v81, v82, v81
	v_mul_f32_e32 v82, v83, v81
	s_delay_alu instid0(VALU_DEP_1) | instskip(NEXT) | instid1(VALU_DEP_1)
	v_fma_f32 v84, -v75, v82, v83
	v_fmac_f32_e32 v82, v84, v81
	s_delay_alu instid0(VALU_DEP_1) | instskip(NEXT) | instid1(VALU_DEP_1)
	v_fma_f32 v75, -v75, v82, v83
	v_div_fmas_f32 v75, v75, v81, v82
	s_delay_alu instid0(VALU_DEP_1) | instskip(NEXT) | instid1(VALU_DEP_1)
	v_div_fixup_f32 v75, v75, v73, v72
	v_fmac_f32_e32 v73, v72, v75
	s_delay_alu instid0(VALU_DEP_1) | instskip(SKIP_1) | instid1(VALU_DEP_2)
	v_div_scale_f32 v72, null, v73, v73, 1.0
	v_div_scale_f32 v83, vcc_lo, 1.0, v73, 1.0
	v_rcp_f32_e32 v81, v72
	v_nop
	s_delay_alu instid0(TRANS32_DEP_1) | instskip(NEXT) | instid1(VALU_DEP_1)
	v_fma_f32 v82, -v72, v81, 1.0
	v_fmac_f32_e32 v81, v82, v81
	s_delay_alu instid0(VALU_DEP_1) | instskip(NEXT) | instid1(VALU_DEP_1)
	v_mul_f32_e32 v82, v83, v81
	v_fma_f32 v84, -v72, v82, v83
	s_delay_alu instid0(VALU_DEP_1) | instskip(NEXT) | instid1(VALU_DEP_1)
	v_fmac_f32_e32 v82, v84, v81
	v_fma_f32 v72, -v72, v82, v83
	s_delay_alu instid0(VALU_DEP_1) | instskip(NEXT) | instid1(VALU_DEP_1)
	v_div_fmas_f32 v72, v72, v81, v82
	v_div_fixup_f32 v73, v72, v73, 1.0
	s_delay_alu instid0(VALU_DEP_1)
	v_mul_f32_e32 v72, v75, v73
	v_xor_b32_e32 v73, 0x80000000, v73
.LBB64_343:
	s_and_not1_saveexec_b32 s1, s1
	s_cbranch_execz .LBB64_345
; %bb.344:
	s_delay_alu instid0(VALU_DEP_1) | instskip(SKIP_1) | instid1(VALU_DEP_2)
	v_div_scale_f32 v75, null, v72, v72, v73
	v_div_scale_f32 v83, vcc_lo, v73, v72, v73
	v_rcp_f32_e32 v81, v75
	v_nop
	s_delay_alu instid0(TRANS32_DEP_1) | instskip(NEXT) | instid1(VALU_DEP_1)
	v_fma_f32 v82, -v75, v81, 1.0
	v_fmac_f32_e32 v81, v82, v81
	s_delay_alu instid0(VALU_DEP_1) | instskip(NEXT) | instid1(VALU_DEP_1)
	v_mul_f32_e32 v82, v83, v81
	v_fma_f32 v84, -v75, v82, v83
	s_delay_alu instid0(VALU_DEP_1) | instskip(NEXT) | instid1(VALU_DEP_1)
	v_fmac_f32_e32 v82, v84, v81
	v_fma_f32 v75, -v75, v82, v83
	s_delay_alu instid0(VALU_DEP_1) | instskip(NEXT) | instid1(VALU_DEP_1)
	v_div_fmas_f32 v75, v75, v81, v82
	v_div_fixup_f32 v75, v75, v72, v73
	s_delay_alu instid0(VALU_DEP_1) | instskip(NEXT) | instid1(VALU_DEP_1)
	v_fmac_f32_e32 v72, v73, v75
	v_div_scale_f32 v73, null, v72, v72, 1.0
	s_delay_alu instid0(VALU_DEP_1) | instskip(SKIP_1) | instid1(TRANS32_DEP_1)
	v_rcp_f32_e32 v81, v73
	v_nop
	v_fma_f32 v82, -v73, v81, 1.0
	s_delay_alu instid0(VALU_DEP_1) | instskip(SKIP_1) | instid1(VALU_DEP_1)
	v_fmac_f32_e32 v81, v82, v81
	v_div_scale_f32 v82, vcc_lo, 1.0, v72, 1.0
	v_mul_f32_e32 v83, v82, v81
	s_delay_alu instid0(VALU_DEP_1) | instskip(NEXT) | instid1(VALU_DEP_1)
	v_fma_f32 v84, -v73, v83, v82
	v_fmac_f32_e32 v83, v84, v81
	s_delay_alu instid0(VALU_DEP_1) | instskip(NEXT) | instid1(VALU_DEP_1)
	v_fma_f32 v73, -v73, v83, v82
	v_div_fmas_f32 v73, v73, v81, v83
	s_delay_alu instid0(VALU_DEP_1) | instskip(NEXT) | instid1(VALU_DEP_1)
	v_div_fixup_f32 v72, v73, v72, 1.0
	v_mul_f32_e64 v73, v75, -v72
.LBB64_345:
	s_or_b32 exec_lo, exec_lo, s1
.LBB64_346:
	s_delay_alu instid0(SALU_CYCLE_1) | instskip(NEXT) | instid1(SALU_CYCLE_1)
	s_or_b32 exec_lo, exec_lo, s0
	s_mov_b32 s0, exec_lo
	v_cmpx_ne_u32_e64 v80, v74
	s_xor_b32 s0, exec_lo, s0
	s_cbranch_execz .LBB64_352
; %bb.347:
	s_mov_b32 s1, exec_lo
	v_cmpx_eq_u32_e32 16, v80
	s_cbranch_execz .LBB64_351
; %bb.348:
	v_cmp_ne_u32_e32 vcc_lo, 16, v74
	s_xor_b32 s12, s16, -1
	s_delay_alu instid0(SALU_CYCLE_1) | instskip(NEXT) | instid1(SALU_CYCLE_1)
	s_and_b32 s13, s12, vcc_lo
	s_and_saveexec_b32 s12, s13
	s_cbranch_execz .LBB64_350
; %bb.349:
	v_ashrrev_i32_e32 v75, 31, v74
	s_delay_alu instid0(VALU_DEP_1)
	v_lshl_add_u64 v[80:81], v[74:75], 2, v[4:5]
	s_clause 0x1
	global_load_b32 v75, v[80:81], off
	global_load_b32 v79, v[4:5], off offset:64
	s_wait_loadcnt 0x1
	global_store_b32 v[4:5], v75, off offset:64
	s_wait_loadcnt 0x0
	global_store_b32 v[80:81], v79, off
.LBB64_350:
	s_wait_xcnt 0x0
	s_or_b32 exec_lo, exec_lo, s12
	v_dual_mov_b32 v80, v74 :: v_dual_mov_b32 v79, v74
.LBB64_351:
	s_or_b32 exec_lo, exec_lo, s1
.LBB64_352:
	s_and_not1_saveexec_b32 s0, s0
	s_cbranch_execz .LBB64_354
; %bb.353:
	v_mov_b32_e32 v80, 16
	ds_store_2addr_b64 v76, v[56:57], v[58:59] offset0:17 offset1:18
	ds_store_2addr_b64 v76, v[54:55], v[50:51] offset0:19 offset1:20
	;; [unrolled: 1-line block ×8, first 2 shown]
.LBB64_354:
	s_or_b32 exec_lo, exec_lo, s0
	s_delay_alu instid0(SALU_CYCLE_1)
	s_mov_b32 s0, exec_lo
	s_wait_storecnt_dscnt 0x0
	s_barrier_signal -1
	s_barrier_wait -1
	v_cmpx_lt_i32_e32 16, v80
	s_cbranch_execz .LBB64_356
; %bb.355:
	v_pk_mul_f32 v[82:83], v[72:73], v[60:61] op_sel:[1,1] op_sel_hi:[0,1]
	s_delay_alu instid0(VALU_DEP_1)
	v_pk_fma_f32 v[74:75], v[72:73], v[60:61], v[82:83] op_sel_hi:[1,0,1] neg_lo:[0,0,1] neg_hi:[0,0,1]
	v_pk_fma_f32 v[72:73], v[72:73], v[60:61], v[82:83] op_sel_hi:[1,0,1]
	ds_load_2addr_b64 v[82:85], v76 offset0:17 offset1:18
	v_dual_mov_b32 v60, v74 :: v_dual_mov_b32 v61, v73
	s_wait_dscnt 0x0
	v_pk_mul_f32 v[86:87], v[82:83], v[72:73] op_sel:[0,1]
	s_delay_alu instid0(VALU_DEP_1) | instskip(SKIP_1) | instid1(VALU_DEP_1)
	v_pk_fma_f32 v[88:89], v[82:83], v[74:75], v[86:87] op_sel:[0,0,1] op_sel_hi:[1,1,0] neg_lo:[0,0,1] neg_hi:[0,0,1]
	v_pk_fma_f32 v[82:83], v[82:83], v[74:75], v[86:87] op_sel:[0,0,1] op_sel_hi:[1,0,0]
	v_mov_b32_e32 v89, v83
	v_pk_mul_f32 v[82:83], v[84:85], v[72:73] op_sel:[0,1]
	s_delay_alu instid0(VALU_DEP_1) | instskip(SKIP_1) | instid1(VALU_DEP_1)
	v_pk_fma_f32 v[86:87], v[84:85], v[74:75], v[82:83] op_sel:[0,0,1] op_sel_hi:[1,1,0] neg_lo:[0,0,1] neg_hi:[0,0,1]
	v_pk_fma_f32 v[82:83], v[84:85], v[74:75], v[82:83] op_sel:[0,0,1] op_sel_hi:[1,0,0]
	v_mov_b32_e32 v87, v83
	ds_load_2addr_b64 v[82:85], v76 offset0:19 offset1:20
	v_pk_add_f32 v[56:57], v[56:57], v[88:89] neg_lo:[0,1] neg_hi:[0,1]
	v_pk_add_f32 v[58:59], v[58:59], v[86:87] neg_lo:[0,1] neg_hi:[0,1]
	s_wait_dscnt 0x0
	v_pk_mul_f32 v[86:87], v[82:83], v[72:73] op_sel:[0,1]
	s_delay_alu instid0(VALU_DEP_1) | instskip(SKIP_2) | instid1(VALU_DEP_2)
	v_pk_fma_f32 v[88:89], v[82:83], v[74:75], v[86:87] op_sel:[0,0,1] op_sel_hi:[1,1,0] neg_lo:[0,0,1] neg_hi:[0,0,1]
	v_pk_fma_f32 v[82:83], v[82:83], v[74:75], v[86:87] op_sel:[0,0,1] op_sel_hi:[1,0,0]
	v_dual_mul_f32 v86, v85, v73 :: v_dual_mov_b32 v82, v85
	v_dual_mov_b32 v89, v83 :: v_dual_mov_b32 v83, v84
	s_delay_alu instid0(VALU_DEP_2) | instskip(SKIP_1) | instid1(VALU_DEP_3)
	v_pk_fma_f32 v[86:87], v[84:85], v[60:61], v[86:87] op_sel_hi:[1,1,0] neg_lo:[0,0,1] neg_hi:[0,0,1]
	v_mul_f32_e32 v84, v85, v74
	v_pk_add_f32 v[54:55], v[54:55], v[88:89] neg_lo:[0,1] neg_hi:[0,1]
	s_delay_alu instid0(VALU_DEP_2) | instskip(NEXT) | instid1(VALU_DEP_1)
	v_pk_fma_f32 v[82:83], v[82:83], v[60:61], v[84:85] op_sel_hi:[1,1,0]
	v_mov_b32_e32 v87, v83
	ds_load_2addr_b64 v[82:85], v76 offset0:21 offset1:22
	v_pk_add_f32 v[50:51], v[50:51], v[86:87] neg_lo:[0,1] neg_hi:[0,1]
	s_wait_dscnt 0x0
	v_pk_mul_f32 v[86:87], v[82:83], v[72:73] op_sel:[0,1]
	s_delay_alu instid0(VALU_DEP_1) | instskip(SKIP_1) | instid1(VALU_DEP_1)
	v_pk_fma_f32 v[88:89], v[82:83], v[74:75], v[86:87] op_sel:[0,0,1] op_sel_hi:[1,1,0] neg_lo:[0,0,1] neg_hi:[0,0,1]
	v_pk_fma_f32 v[82:83], v[82:83], v[74:75], v[86:87] op_sel:[0,0,1] op_sel_hi:[1,0,0]
	v_mov_b32_e32 v89, v83
	v_pk_mul_f32 v[82:83], v[84:85], v[72:73] op_sel:[0,1]
	s_delay_alu instid0(VALU_DEP_1) | instskip(SKIP_1) | instid1(VALU_DEP_1)
	v_pk_fma_f32 v[86:87], v[84:85], v[74:75], v[82:83] op_sel:[0,0,1] op_sel_hi:[1,1,0] neg_lo:[0,0,1] neg_hi:[0,0,1]
	v_pk_fma_f32 v[82:83], v[84:85], v[74:75], v[82:83] op_sel:[0,0,1] op_sel_hi:[1,0,0]
	v_mov_b32_e32 v87, v83
	ds_load_2addr_b64 v[82:85], v76 offset0:23 offset1:24
	v_pk_add_f32 v[46:47], v[46:47], v[88:89] neg_lo:[0,1] neg_hi:[0,1]
	v_pk_add_f32 v[48:49], v[48:49], v[86:87] neg_lo:[0,1] neg_hi:[0,1]
	s_wait_dscnt 0x0
	v_pk_mul_f32 v[86:87], v[82:83], v[72:73] op_sel:[0,1]
	s_delay_alu instid0(VALU_DEP_1) | instskip(SKIP_1) | instid1(VALU_DEP_1)
	v_pk_fma_f32 v[88:89], v[82:83], v[74:75], v[86:87] op_sel:[0,0,1] op_sel_hi:[1,1,0] neg_lo:[0,0,1] neg_hi:[0,0,1]
	v_pk_fma_f32 v[82:83], v[82:83], v[74:75], v[86:87] op_sel:[0,0,1] op_sel_hi:[1,0,0]
	v_mov_b32_e32 v89, v83
	v_pk_mul_f32 v[82:83], v[84:85], v[72:73] op_sel:[0,1]
	s_delay_alu instid0(VALU_DEP_1) | instskip(SKIP_1) | instid1(VALU_DEP_1)
	v_pk_fma_f32 v[86:87], v[84:85], v[74:75], v[82:83] op_sel:[0,0,1] op_sel_hi:[1,1,0] neg_lo:[0,0,1] neg_hi:[0,0,1]
	v_pk_fma_f32 v[82:83], v[84:85], v[74:75], v[82:83] op_sel:[0,0,1] op_sel_hi:[1,0,0]
	v_mov_b32_e32 v87, v83
	ds_load_2addr_b64 v[82:85], v76 offset0:25 offset1:26
	v_pk_add_f32 v[44:45], v[44:45], v[88:89] neg_lo:[0,1] neg_hi:[0,1]
	v_pk_add_f32 v[26:27], v[26:27], v[86:87] neg_lo:[0,1] neg_hi:[0,1]
	s_wait_dscnt 0x0
	v_dual_mul_f32 v86, v83, v73 :: v_dual_mul_f32 v88, v83, v74
	s_delay_alu instid0(VALU_DEP_1) | instskip(NEXT) | instid1(VALU_DEP_2)
	v_pk_fma_f32 v[86:87], v[82:83], v[60:61], v[86:87] op_sel_hi:[1,1,0] neg_lo:[0,0,1] neg_hi:[0,0,1]
	v_pk_fma_f32 v[82:83], v[82:83], v[60:61], v[88:89] op_sel:[1,0,0] op_sel_hi:[0,1,0]
	s_delay_alu instid0(VALU_DEP_1) | instskip(SKIP_1) | instid1(VALU_DEP_2)
	v_mov_b32_e32 v87, v83
	v_pk_mul_f32 v[82:83], v[84:85], v[72:73] op_sel:[0,1]
	v_pk_add_f32 v[18:19], v[18:19], v[86:87] neg_lo:[0,1] neg_hi:[0,1]
	s_delay_alu instid0(VALU_DEP_2) | instskip(SKIP_1) | instid1(VALU_DEP_1)
	v_pk_fma_f32 v[86:87], v[84:85], v[74:75], v[82:83] op_sel:[0,0,1] op_sel_hi:[1,1,0] neg_lo:[0,0,1] neg_hi:[0,0,1]
	v_pk_fma_f32 v[82:83], v[84:85], v[74:75], v[82:83] op_sel:[0,0,1] op_sel_hi:[1,0,0]
	v_mov_b32_e32 v87, v83
	ds_load_2addr_b64 v[82:85], v76 offset0:27 offset1:28
	v_pk_add_f32 v[24:25], v[24:25], v[86:87] neg_lo:[0,1] neg_hi:[0,1]
	s_wait_dscnt 0x0
	v_pk_mul_f32 v[86:87], v[82:83], v[72:73] op_sel:[0,1]
	s_delay_alu instid0(VALU_DEP_1) | instskip(SKIP_1) | instid1(VALU_DEP_1)
	v_pk_fma_f32 v[88:89], v[82:83], v[74:75], v[86:87] op_sel:[0,0,1] op_sel_hi:[1,1,0] neg_lo:[0,0,1] neg_hi:[0,0,1]
	v_pk_fma_f32 v[82:83], v[82:83], v[74:75], v[86:87] op_sel:[0,0,1] op_sel_hi:[1,0,0]
	v_mov_b32_e32 v89, v83
	v_pk_mul_f32 v[82:83], v[84:85], v[72:73] op_sel:[0,1]
	s_delay_alu instid0(VALU_DEP_2) | instskip(NEXT) | instid1(VALU_DEP_2)
	v_pk_add_f32 v[16:17], v[16:17], v[88:89] neg_lo:[0,1] neg_hi:[0,1]
	v_pk_fma_f32 v[86:87], v[84:85], v[74:75], v[82:83] op_sel:[0,0,1] op_sel_hi:[1,1,0] neg_lo:[0,0,1] neg_hi:[0,0,1]
	v_pk_fma_f32 v[82:83], v[84:85], v[74:75], v[82:83] op_sel:[0,0,1] op_sel_hi:[1,0,0]
	s_delay_alu instid0(VALU_DEP_1) | instskip(SKIP_4) | instid1(VALU_DEP_1)
	v_mov_b32_e32 v87, v83
	ds_load_2addr_b64 v[82:85], v76 offset0:29 offset1:30
	v_pk_add_f32 v[6:7], v[6:7], v[86:87] neg_lo:[0,1] neg_hi:[0,1]
	s_wait_dscnt 0x0
	v_pk_mul_f32 v[86:87], v[82:83], v[72:73] op_sel:[0,1]
	v_pk_fma_f32 v[88:89], v[82:83], v[74:75], v[86:87] op_sel:[0,0,1] op_sel_hi:[1,1,0] neg_lo:[0,0,1] neg_hi:[0,0,1]
	v_pk_fma_f32 v[82:83], v[82:83], v[74:75], v[86:87] op_sel:[0,0,1] op_sel_hi:[1,0,0]
	v_dual_mul_f32 v86, v85, v73 :: v_dual_mov_b32 v82, v85
	s_delay_alu instid0(VALU_DEP_2) | instskip(NEXT) | instid1(VALU_DEP_2)
	v_dual_mov_b32 v89, v83 :: v_dual_mov_b32 v83, v84
	v_pk_fma_f32 v[86:87], v[84:85], v[60:61], v[86:87] op_sel_hi:[1,1,0] neg_lo:[0,0,1] neg_hi:[0,0,1]
	v_mul_f32_e32 v84, v85, v74
	s_delay_alu instid0(VALU_DEP_3) | instskip(NEXT) | instid1(VALU_DEP_2)
	v_pk_add_f32 v[52:53], v[52:53], v[88:89] neg_lo:[0,1] neg_hi:[0,1]
	v_pk_fma_f32 v[82:83], v[82:83], v[60:61], v[84:85] op_sel_hi:[1,1,0]
	s_delay_alu instid0(VALU_DEP_1)
	v_mov_b32_e32 v87, v83
	ds_load_2addr_b64 v[82:85], v76 offset0:31 offset1:32
	v_pk_add_f32 v[42:43], v[42:43], v[86:87] neg_lo:[0,1] neg_hi:[0,1]
	s_wait_dscnt 0x0
	v_pk_mul_f32 v[86:87], v[82:83], v[72:73] op_sel:[0,1]
	v_pk_mul_f32 v[72:73], v[84:85], v[72:73] op_sel:[0,1]
	s_delay_alu instid0(VALU_DEP_2) | instskip(SKIP_1) | instid1(VALU_DEP_1)
	v_pk_fma_f32 v[88:89], v[82:83], v[74:75], v[86:87] op_sel:[0,0,1] op_sel_hi:[1,1,0] neg_lo:[0,0,1] neg_hi:[0,0,1]
	v_pk_fma_f32 v[82:83], v[82:83], v[74:75], v[86:87] op_sel:[0,0,1] op_sel_hi:[1,0,0]
	v_mov_b32_e32 v89, v83
	s_delay_alu instid0(VALU_DEP_4) | instskip(SKIP_1) | instid1(VALU_DEP_1)
	v_pk_fma_f32 v[82:83], v[84:85], v[74:75], v[72:73] op_sel:[0,0,1] op_sel_hi:[1,1,0] neg_lo:[0,0,1] neg_hi:[0,0,1]
	v_pk_fma_f32 v[72:73], v[84:85], v[74:75], v[72:73] op_sel:[0,0,1] op_sel_hi:[1,0,0]
	v_mov_b32_e32 v83, v73
	s_delay_alu instid0(VALU_DEP_4) | instskip(NEXT) | instid1(VALU_DEP_2)
	v_pk_add_f32 v[32:33], v[32:33], v[88:89] neg_lo:[0,1] neg_hi:[0,1]
	v_pk_add_f32 v[70:71], v[70:71], v[82:83] neg_lo:[0,1] neg_hi:[0,1]
.LBB64_356:
	s_or_b32 exec_lo, exec_lo, s0
	v_lshl_add_u32 v72, v80, 3, v76
	s_barrier_signal -1
	s_barrier_wait -1
	ds_store_b64 v72, v[56:57]
	s_wait_dscnt 0x0
	s_barrier_signal -1
	s_barrier_wait -1
	ds_load_b64 v[72:73], v76 offset:136
	v_mov_b32_e32 v74, 17
	s_cmp_lt_i32 s18, 19
	s_cbranch_scc1 .LBB64_359
; %bb.357:
	v_add3_u32 v75, v77, 0, 0x90
	v_mov_b32_e32 v74, 17
	s_mov_b32 s0, 18
.LBB64_358:                             ; =>This Inner Loop Header: Depth=1
	ds_load_b64 v[82:83], v75
	s_wait_dscnt 0x1
	v_cmp_gt_f32_e32 vcc_lo, 0, v72
	v_cndmask_b32_e64 v84, v72, -v72, vcc_lo
	v_cmp_gt_f32_e32 vcc_lo, 0, v73
	v_cndmask_b32_e64 v86, v73, -v73, vcc_lo
	s_wait_dscnt 0x0
	v_cmp_gt_f32_e32 vcc_lo, 0, v82
	v_cndmask_b32_e64 v85, v82, -v82, vcc_lo
	v_cmp_gt_f32_e32 vcc_lo, 0, v83
	v_cndmask_b32_e64 v87, v83, -v83, vcc_lo
	s_delay_alu instid0(VALU_DEP_1) | instskip(NEXT) | instid1(VALU_DEP_1)
	v_pk_add_f32 v[84:85], v[84:85], v[86:87]
	v_cmp_lt_f32_e32 vcc_lo, v84, v85
	v_dual_cndmask_b32 v72, v72, v82 :: v_dual_add_nc_u32 v75, 8, v75
	v_cndmask_b32_e32 v73, v73, v83, vcc_lo
	v_cndmask_b32_e64 v74, v74, s0, vcc_lo
	s_add_co_i32 s0, s0, 1
	s_delay_alu instid0(SALU_CYCLE_1)
	s_cmp_lg_u32 s18, s0
	s_cbranch_scc1 .LBB64_358
.LBB64_359:
	s_wait_dscnt 0x0
	v_cmp_eq_f32_e32 vcc_lo, 0, v72
	v_cmp_eq_f32_e64 s0, 0, v73
	s_and_b32 s0, vcc_lo, s0
	s_delay_alu instid0(SALU_CYCLE_1) | instskip(NEXT) | instid1(SALU_CYCLE_1)
	s_and_saveexec_b32 s1, s0
	s_xor_b32 s0, exec_lo, s1
; %bb.360:
	v_cmp_ne_u32_e32 vcc_lo, 0, v78
	v_cndmask_b32_e32 v78, 18, v78, vcc_lo
; %bb.361:
	s_and_not1_saveexec_b32 s0, s0
	s_cbranch_execz .LBB64_367
; %bb.362:
	v_cmp_ngt_f32_e64 s1, |v72|, |v73|
	s_and_saveexec_b32 s12, s1
	s_delay_alu instid0(SALU_CYCLE_1)
	s_xor_b32 s1, exec_lo, s12
	s_cbranch_execz .LBB64_364
; %bb.363:
	v_div_scale_f32 v75, null, v73, v73, v72
	v_div_scale_f32 v83, vcc_lo, v72, v73, v72
	s_delay_alu instid0(VALU_DEP_2) | instskip(SKIP_1) | instid1(TRANS32_DEP_1)
	v_rcp_f32_e32 v81, v75
	v_nop
	v_fma_f32 v82, -v75, v81, 1.0
	s_delay_alu instid0(VALU_DEP_1) | instskip(NEXT) | instid1(VALU_DEP_1)
	v_fmac_f32_e32 v81, v82, v81
	v_mul_f32_e32 v82, v83, v81
	s_delay_alu instid0(VALU_DEP_1) | instskip(NEXT) | instid1(VALU_DEP_1)
	v_fma_f32 v84, -v75, v82, v83
	v_fmac_f32_e32 v82, v84, v81
	s_delay_alu instid0(VALU_DEP_1) | instskip(NEXT) | instid1(VALU_DEP_1)
	v_fma_f32 v75, -v75, v82, v83
	v_div_fmas_f32 v75, v75, v81, v82
	s_delay_alu instid0(VALU_DEP_1) | instskip(NEXT) | instid1(VALU_DEP_1)
	v_div_fixup_f32 v75, v75, v73, v72
	v_fmac_f32_e32 v73, v72, v75
	s_delay_alu instid0(VALU_DEP_1) | instskip(SKIP_1) | instid1(VALU_DEP_2)
	v_div_scale_f32 v72, null, v73, v73, 1.0
	v_div_scale_f32 v83, vcc_lo, 1.0, v73, 1.0
	v_rcp_f32_e32 v81, v72
	v_nop
	s_delay_alu instid0(TRANS32_DEP_1) | instskip(NEXT) | instid1(VALU_DEP_1)
	v_fma_f32 v82, -v72, v81, 1.0
	v_fmac_f32_e32 v81, v82, v81
	s_delay_alu instid0(VALU_DEP_1) | instskip(NEXT) | instid1(VALU_DEP_1)
	v_mul_f32_e32 v82, v83, v81
	v_fma_f32 v84, -v72, v82, v83
	s_delay_alu instid0(VALU_DEP_1) | instskip(NEXT) | instid1(VALU_DEP_1)
	v_fmac_f32_e32 v82, v84, v81
	v_fma_f32 v72, -v72, v82, v83
	s_delay_alu instid0(VALU_DEP_1) | instskip(NEXT) | instid1(VALU_DEP_1)
	v_div_fmas_f32 v72, v72, v81, v82
	v_div_fixup_f32 v73, v72, v73, 1.0
	s_delay_alu instid0(VALU_DEP_1)
	v_mul_f32_e32 v72, v75, v73
	v_xor_b32_e32 v73, 0x80000000, v73
.LBB64_364:
	s_and_not1_saveexec_b32 s1, s1
	s_cbranch_execz .LBB64_366
; %bb.365:
	s_delay_alu instid0(VALU_DEP_1) | instskip(SKIP_1) | instid1(VALU_DEP_2)
	v_div_scale_f32 v75, null, v72, v72, v73
	v_div_scale_f32 v83, vcc_lo, v73, v72, v73
	v_rcp_f32_e32 v81, v75
	v_nop
	s_delay_alu instid0(TRANS32_DEP_1) | instskip(NEXT) | instid1(VALU_DEP_1)
	v_fma_f32 v82, -v75, v81, 1.0
	v_fmac_f32_e32 v81, v82, v81
	s_delay_alu instid0(VALU_DEP_1) | instskip(NEXT) | instid1(VALU_DEP_1)
	v_mul_f32_e32 v82, v83, v81
	v_fma_f32 v84, -v75, v82, v83
	s_delay_alu instid0(VALU_DEP_1) | instskip(NEXT) | instid1(VALU_DEP_1)
	v_fmac_f32_e32 v82, v84, v81
	v_fma_f32 v75, -v75, v82, v83
	s_delay_alu instid0(VALU_DEP_1) | instskip(NEXT) | instid1(VALU_DEP_1)
	v_div_fmas_f32 v75, v75, v81, v82
	v_div_fixup_f32 v75, v75, v72, v73
	s_delay_alu instid0(VALU_DEP_1) | instskip(NEXT) | instid1(VALU_DEP_1)
	v_fmac_f32_e32 v72, v73, v75
	v_div_scale_f32 v73, null, v72, v72, 1.0
	s_delay_alu instid0(VALU_DEP_1) | instskip(SKIP_1) | instid1(TRANS32_DEP_1)
	v_rcp_f32_e32 v81, v73
	v_nop
	v_fma_f32 v82, -v73, v81, 1.0
	s_delay_alu instid0(VALU_DEP_1) | instskip(SKIP_1) | instid1(VALU_DEP_1)
	v_fmac_f32_e32 v81, v82, v81
	v_div_scale_f32 v82, vcc_lo, 1.0, v72, 1.0
	v_mul_f32_e32 v83, v82, v81
	s_delay_alu instid0(VALU_DEP_1) | instskip(NEXT) | instid1(VALU_DEP_1)
	v_fma_f32 v84, -v73, v83, v82
	v_fmac_f32_e32 v83, v84, v81
	s_delay_alu instid0(VALU_DEP_1) | instskip(NEXT) | instid1(VALU_DEP_1)
	v_fma_f32 v73, -v73, v83, v82
	v_div_fmas_f32 v73, v73, v81, v83
	s_delay_alu instid0(VALU_DEP_1) | instskip(NEXT) | instid1(VALU_DEP_1)
	v_div_fixup_f32 v72, v73, v72, 1.0
	v_mul_f32_e64 v73, v75, -v72
.LBB64_366:
	s_or_b32 exec_lo, exec_lo, s1
.LBB64_367:
	s_delay_alu instid0(SALU_CYCLE_1) | instskip(NEXT) | instid1(SALU_CYCLE_1)
	s_or_b32 exec_lo, exec_lo, s0
	s_mov_b32 s0, exec_lo
	v_cmpx_ne_u32_e64 v80, v74
	s_xor_b32 s0, exec_lo, s0
	s_cbranch_execz .LBB64_373
; %bb.368:
	s_mov_b32 s1, exec_lo
	v_cmpx_eq_u32_e32 17, v80
	s_cbranch_execz .LBB64_372
; %bb.369:
	v_cmp_ne_u32_e32 vcc_lo, 17, v74
	s_xor_b32 s12, s16, -1
	s_delay_alu instid0(SALU_CYCLE_1) | instskip(NEXT) | instid1(SALU_CYCLE_1)
	s_and_b32 s13, s12, vcc_lo
	s_and_saveexec_b32 s12, s13
	s_cbranch_execz .LBB64_371
; %bb.370:
	v_ashrrev_i32_e32 v75, 31, v74
	s_delay_alu instid0(VALU_DEP_1)
	v_lshl_add_u64 v[80:81], v[74:75], 2, v[4:5]
	s_clause 0x1
	global_load_b32 v75, v[80:81], off
	global_load_b32 v79, v[4:5], off offset:68
	s_wait_loadcnt 0x1
	global_store_b32 v[4:5], v75, off offset:68
	s_wait_loadcnt 0x0
	global_store_b32 v[80:81], v79, off
.LBB64_371:
	s_wait_xcnt 0x0
	s_or_b32 exec_lo, exec_lo, s12
	v_dual_mov_b32 v80, v74 :: v_dual_mov_b32 v79, v74
.LBB64_372:
	s_or_b32 exec_lo, exec_lo, s1
.LBB64_373:
	s_and_not1_saveexec_b32 s0, s0
	s_cbranch_execz .LBB64_375
; %bb.374:
	v_dual_mov_b32 v74, v58 :: v_dual_mov_b32 v75, v59
	v_dual_mov_b32 v80, v54 :: v_dual_mov_b32 v81, v55
	ds_store_2addr_b64 v76, v[74:75], v[80:81] offset0:18 offset1:19
	v_dual_mov_b32 v74, v50 :: v_dual_mov_b32 v75, v51
	v_dual_mov_b32 v80, v46 :: v_dual_mov_b32 v81, v47
	ds_store_2addr_b64 v76, v[74:75], v[80:81] offset0:20 offset1:21
	;; [unrolled: 3-line block ×7, first 2 shown]
	ds_store_b64 v76, v[70:71] offset:256
	v_mov_b32_e32 v80, 17
.LBB64_375:
	s_or_b32 exec_lo, exec_lo, s0
	s_delay_alu instid0(SALU_CYCLE_1)
	s_mov_b32 s0, exec_lo
	s_wait_storecnt_dscnt 0x0
	s_barrier_signal -1
	s_barrier_wait -1
	v_cmpx_lt_i32_e32 17, v80
	s_cbranch_execz .LBB64_377
; %bb.376:
	v_pk_mul_f32 v[82:83], v[72:73], v[56:57] op_sel:[1,1] op_sel_hi:[0,1]
	s_delay_alu instid0(VALU_DEP_1)
	v_pk_fma_f32 v[74:75], v[72:73], v[56:57], v[82:83] op_sel_hi:[1,0,1] neg_lo:[0,0,1] neg_hi:[0,0,1]
	v_pk_fma_f32 v[72:73], v[72:73], v[56:57], v[82:83] op_sel_hi:[1,0,1]
	ds_load_2addr_b64 v[82:85], v76 offset0:18 offset1:19
	v_dual_mov_b32 v56, v74 :: v_dual_mov_b32 v57, v73
	s_wait_dscnt 0x0
	v_pk_mul_f32 v[86:87], v[82:83], v[72:73] op_sel:[0,1]
	s_delay_alu instid0(VALU_DEP_1) | instskip(SKIP_1) | instid1(VALU_DEP_1)
	v_pk_fma_f32 v[88:89], v[82:83], v[74:75], v[86:87] op_sel:[0,0,1] op_sel_hi:[1,1,0] neg_lo:[0,0,1] neg_hi:[0,0,1]
	v_pk_fma_f32 v[82:83], v[82:83], v[74:75], v[86:87] op_sel:[0,0,1] op_sel_hi:[1,0,0]
	v_mov_b32_e32 v89, v83
	v_pk_mul_f32 v[82:83], v[84:85], v[72:73] op_sel:[0,1]
	s_delay_alu instid0(VALU_DEP_1) | instskip(SKIP_1) | instid1(VALU_DEP_1)
	v_pk_fma_f32 v[86:87], v[84:85], v[74:75], v[82:83] op_sel:[0,0,1] op_sel_hi:[1,1,0] neg_lo:[0,0,1] neg_hi:[0,0,1]
	v_pk_fma_f32 v[82:83], v[84:85], v[74:75], v[82:83] op_sel:[0,0,1] op_sel_hi:[1,0,0]
	v_mov_b32_e32 v87, v83
	ds_load_2addr_b64 v[82:85], v76 offset0:20 offset1:21
	v_pk_add_f32 v[58:59], v[58:59], v[88:89] neg_lo:[0,1] neg_hi:[0,1]
	v_pk_add_f32 v[54:55], v[54:55], v[86:87] neg_lo:[0,1] neg_hi:[0,1]
	s_wait_dscnt 0x0
	v_pk_mul_f32 v[86:87], v[82:83], v[72:73] op_sel:[0,1]
	s_delay_alu instid0(VALU_DEP_1) | instskip(SKIP_2) | instid1(VALU_DEP_2)
	v_pk_fma_f32 v[88:89], v[82:83], v[74:75], v[86:87] op_sel:[0,0,1] op_sel_hi:[1,1,0] neg_lo:[0,0,1] neg_hi:[0,0,1]
	v_pk_fma_f32 v[82:83], v[82:83], v[74:75], v[86:87] op_sel:[0,0,1] op_sel_hi:[1,0,0]
	v_dual_mul_f32 v86, v85, v73 :: v_dual_mov_b32 v82, v85
	v_dual_mov_b32 v89, v83 :: v_dual_mov_b32 v83, v84
	s_delay_alu instid0(VALU_DEP_2) | instskip(SKIP_1) | instid1(VALU_DEP_3)
	v_pk_fma_f32 v[86:87], v[84:85], v[56:57], v[86:87] op_sel_hi:[1,1,0] neg_lo:[0,0,1] neg_hi:[0,0,1]
	v_mul_f32_e32 v84, v85, v74
	v_pk_add_f32 v[50:51], v[50:51], v[88:89] neg_lo:[0,1] neg_hi:[0,1]
	s_delay_alu instid0(VALU_DEP_2) | instskip(NEXT) | instid1(VALU_DEP_1)
	v_pk_fma_f32 v[82:83], v[82:83], v[56:57], v[84:85] op_sel_hi:[1,1,0]
	v_mov_b32_e32 v87, v83
	ds_load_2addr_b64 v[82:85], v76 offset0:22 offset1:23
	v_pk_add_f32 v[46:47], v[46:47], v[86:87] neg_lo:[0,1] neg_hi:[0,1]
	s_wait_dscnt 0x0
	v_pk_mul_f32 v[86:87], v[82:83], v[72:73] op_sel:[0,1]
	s_delay_alu instid0(VALU_DEP_1) | instskip(SKIP_1) | instid1(VALU_DEP_1)
	v_pk_fma_f32 v[88:89], v[82:83], v[74:75], v[86:87] op_sel:[0,0,1] op_sel_hi:[1,1,0] neg_lo:[0,0,1] neg_hi:[0,0,1]
	v_pk_fma_f32 v[82:83], v[82:83], v[74:75], v[86:87] op_sel:[0,0,1] op_sel_hi:[1,0,0]
	v_mov_b32_e32 v89, v83
	v_pk_mul_f32 v[82:83], v[84:85], v[72:73] op_sel:[0,1]
	s_delay_alu instid0(VALU_DEP_1) | instskip(SKIP_1) | instid1(VALU_DEP_1)
	v_pk_fma_f32 v[86:87], v[84:85], v[74:75], v[82:83] op_sel:[0,0,1] op_sel_hi:[1,1,0] neg_lo:[0,0,1] neg_hi:[0,0,1]
	v_pk_fma_f32 v[82:83], v[84:85], v[74:75], v[82:83] op_sel:[0,0,1] op_sel_hi:[1,0,0]
	v_mov_b32_e32 v87, v83
	ds_load_2addr_b64 v[82:85], v76 offset0:24 offset1:25
	v_pk_add_f32 v[48:49], v[48:49], v[88:89] neg_lo:[0,1] neg_hi:[0,1]
	v_pk_add_f32 v[44:45], v[44:45], v[86:87] neg_lo:[0,1] neg_hi:[0,1]
	s_wait_dscnt 0x0
	v_pk_mul_f32 v[86:87], v[82:83], v[72:73] op_sel:[0,1]
	s_delay_alu instid0(VALU_DEP_1) | instskip(SKIP_1) | instid1(VALU_DEP_1)
	v_pk_fma_f32 v[88:89], v[82:83], v[74:75], v[86:87] op_sel:[0,0,1] op_sel_hi:[1,1,0] neg_lo:[0,0,1] neg_hi:[0,0,1]
	v_pk_fma_f32 v[82:83], v[82:83], v[74:75], v[86:87] op_sel:[0,0,1] op_sel_hi:[1,0,0]
	v_mov_b32_e32 v89, v83
	v_pk_mul_f32 v[82:83], v[84:85], v[72:73] op_sel:[0,1]
	s_delay_alu instid0(VALU_DEP_1) | instskip(SKIP_1) | instid1(VALU_DEP_1)
	v_pk_fma_f32 v[86:87], v[84:85], v[74:75], v[82:83] op_sel:[0,0,1] op_sel_hi:[1,1,0] neg_lo:[0,0,1] neg_hi:[0,0,1]
	v_pk_fma_f32 v[82:83], v[84:85], v[74:75], v[82:83] op_sel:[0,0,1] op_sel_hi:[1,0,0]
	v_mov_b32_e32 v87, v83
	ds_load_2addr_b64 v[82:85], v76 offset0:26 offset1:27
	v_pk_add_f32 v[26:27], v[26:27], v[88:89] neg_lo:[0,1] neg_hi:[0,1]
	v_pk_add_f32 v[18:19], v[18:19], v[86:87] neg_lo:[0,1] neg_hi:[0,1]
	s_wait_dscnt 0x0
	v_dual_mul_f32 v86, v83, v73 :: v_dual_mul_f32 v88, v83, v74
	s_delay_alu instid0(VALU_DEP_1) | instskip(NEXT) | instid1(VALU_DEP_2)
	v_pk_fma_f32 v[86:87], v[82:83], v[56:57], v[86:87] op_sel_hi:[1,1,0] neg_lo:[0,0,1] neg_hi:[0,0,1]
	v_pk_fma_f32 v[82:83], v[82:83], v[56:57], v[88:89] op_sel:[1,0,0] op_sel_hi:[0,1,0]
	s_delay_alu instid0(VALU_DEP_1) | instskip(SKIP_1) | instid1(VALU_DEP_2)
	v_mov_b32_e32 v87, v83
	v_pk_mul_f32 v[82:83], v[84:85], v[72:73] op_sel:[0,1]
	v_pk_add_f32 v[24:25], v[24:25], v[86:87] neg_lo:[0,1] neg_hi:[0,1]
	s_delay_alu instid0(VALU_DEP_2) | instskip(SKIP_1) | instid1(VALU_DEP_1)
	v_pk_fma_f32 v[86:87], v[84:85], v[74:75], v[82:83] op_sel:[0,0,1] op_sel_hi:[1,1,0] neg_lo:[0,0,1] neg_hi:[0,0,1]
	v_pk_fma_f32 v[82:83], v[84:85], v[74:75], v[82:83] op_sel:[0,0,1] op_sel_hi:[1,0,0]
	v_mov_b32_e32 v87, v83
	ds_load_2addr_b64 v[82:85], v76 offset0:28 offset1:29
	v_pk_add_f32 v[16:17], v[16:17], v[86:87] neg_lo:[0,1] neg_hi:[0,1]
	s_wait_dscnt 0x0
	v_pk_mul_f32 v[86:87], v[82:83], v[72:73] op_sel:[0,1]
	s_delay_alu instid0(VALU_DEP_1) | instskip(SKIP_1) | instid1(VALU_DEP_1)
	v_pk_fma_f32 v[88:89], v[82:83], v[74:75], v[86:87] op_sel:[0,0,1] op_sel_hi:[1,1,0] neg_lo:[0,0,1] neg_hi:[0,0,1]
	v_pk_fma_f32 v[82:83], v[82:83], v[74:75], v[86:87] op_sel:[0,0,1] op_sel_hi:[1,0,0]
	v_mov_b32_e32 v89, v83
	v_pk_mul_f32 v[82:83], v[84:85], v[72:73] op_sel:[0,1]
	s_delay_alu instid0(VALU_DEP_2) | instskip(NEXT) | instid1(VALU_DEP_2)
	v_pk_add_f32 v[6:7], v[6:7], v[88:89] neg_lo:[0,1] neg_hi:[0,1]
	v_pk_fma_f32 v[86:87], v[84:85], v[74:75], v[82:83] op_sel:[0,0,1] op_sel_hi:[1,1,0] neg_lo:[0,0,1] neg_hi:[0,0,1]
	v_pk_fma_f32 v[82:83], v[84:85], v[74:75], v[82:83] op_sel:[0,0,1] op_sel_hi:[1,0,0]
	s_delay_alu instid0(VALU_DEP_1) | instskip(SKIP_4) | instid1(VALU_DEP_1)
	v_mov_b32_e32 v87, v83
	ds_load_2addr_b64 v[82:85], v76 offset0:30 offset1:31
	v_pk_add_f32 v[52:53], v[52:53], v[86:87] neg_lo:[0,1] neg_hi:[0,1]
	s_wait_dscnt 0x0
	v_pk_mul_f32 v[86:87], v[82:83], v[72:73] op_sel:[0,1]
	v_pk_fma_f32 v[88:89], v[82:83], v[74:75], v[86:87] op_sel:[0,0,1] op_sel_hi:[1,1,0] neg_lo:[0,0,1] neg_hi:[0,0,1]
	v_pk_fma_f32 v[82:83], v[82:83], v[74:75], v[86:87] op_sel:[0,0,1] op_sel_hi:[1,0,0]
	v_dual_mul_f32 v86, v85, v73 :: v_dual_mov_b32 v82, v85
	s_delay_alu instid0(VALU_DEP_2) | instskip(NEXT) | instid1(VALU_DEP_2)
	v_dual_mov_b32 v89, v83 :: v_dual_mov_b32 v83, v84
	v_pk_fma_f32 v[86:87], v[84:85], v[56:57], v[86:87] op_sel_hi:[1,1,0] neg_lo:[0,0,1] neg_hi:[0,0,1]
	v_mul_f32_e32 v84, v85, v74
	s_delay_alu instid0(VALU_DEP_3) | instskip(NEXT) | instid1(VALU_DEP_2)
	v_pk_add_f32 v[42:43], v[42:43], v[88:89] neg_lo:[0,1] neg_hi:[0,1]
	v_pk_fma_f32 v[82:83], v[82:83], v[56:57], v[84:85] op_sel_hi:[1,1,0]
	s_delay_alu instid0(VALU_DEP_1) | instskip(SKIP_4) | instid1(VALU_DEP_1)
	v_mov_b32_e32 v87, v83
	ds_load_b64 v[82:83], v76 offset:256
	v_pk_add_f32 v[32:33], v[32:33], v[86:87] neg_lo:[0,1] neg_hi:[0,1]
	s_wait_dscnt 0x0
	v_pk_mul_f32 v[72:73], v[82:83], v[72:73] op_sel:[0,1]
	v_pk_fma_f32 v[84:85], v[82:83], v[74:75], v[72:73] op_sel:[0,0,1] op_sel_hi:[1,1,0] neg_lo:[0,0,1] neg_hi:[0,0,1]
	v_pk_fma_f32 v[72:73], v[82:83], v[74:75], v[72:73] op_sel:[0,0,1] op_sel_hi:[1,0,0]
	s_delay_alu instid0(VALU_DEP_1) | instskip(NEXT) | instid1(VALU_DEP_1)
	v_mov_b32_e32 v85, v73
	v_pk_add_f32 v[70:71], v[70:71], v[84:85] neg_lo:[0,1] neg_hi:[0,1]
.LBB64_377:
	s_or_b32 exec_lo, exec_lo, s0
	v_lshl_add_u32 v72, v80, 3, v76
	s_barrier_signal -1
	s_barrier_wait -1
	ds_store_b64 v72, v[58:59]
	s_wait_dscnt 0x0
	s_barrier_signal -1
	s_barrier_wait -1
	ds_load_b64 v[72:73], v76 offset:144
	v_mov_b32_e32 v74, 18
	s_cmp_lt_i32 s18, 20
	s_cbranch_scc1 .LBB64_380
; %bb.378:
	v_add3_u32 v75, v77, 0, 0x98
	v_mov_b32_e32 v74, 18
	s_mov_b32 s0, 19
.LBB64_379:                             ; =>This Inner Loop Header: Depth=1
	ds_load_b64 v[82:83], v75
	s_wait_dscnt 0x1
	v_cmp_gt_f32_e32 vcc_lo, 0, v72
	v_cndmask_b32_e64 v84, v72, -v72, vcc_lo
	v_cmp_gt_f32_e32 vcc_lo, 0, v73
	v_cndmask_b32_e64 v86, v73, -v73, vcc_lo
	s_wait_dscnt 0x0
	v_cmp_gt_f32_e32 vcc_lo, 0, v82
	v_cndmask_b32_e64 v85, v82, -v82, vcc_lo
	v_cmp_gt_f32_e32 vcc_lo, 0, v83
	v_cndmask_b32_e64 v87, v83, -v83, vcc_lo
	s_delay_alu instid0(VALU_DEP_1) | instskip(NEXT) | instid1(VALU_DEP_1)
	v_pk_add_f32 v[84:85], v[84:85], v[86:87]
	v_cmp_lt_f32_e32 vcc_lo, v84, v85
	v_dual_cndmask_b32 v72, v72, v82 :: v_dual_add_nc_u32 v75, 8, v75
	v_cndmask_b32_e32 v73, v73, v83, vcc_lo
	v_cndmask_b32_e64 v74, v74, s0, vcc_lo
	s_add_co_i32 s0, s0, 1
	s_delay_alu instid0(SALU_CYCLE_1)
	s_cmp_lg_u32 s18, s0
	s_cbranch_scc1 .LBB64_379
.LBB64_380:
	s_wait_dscnt 0x0
	v_cmp_eq_f32_e32 vcc_lo, 0, v72
	v_cmp_eq_f32_e64 s0, 0, v73
	s_and_b32 s0, vcc_lo, s0
	s_delay_alu instid0(SALU_CYCLE_1) | instskip(NEXT) | instid1(SALU_CYCLE_1)
	s_and_saveexec_b32 s1, s0
	s_xor_b32 s0, exec_lo, s1
; %bb.381:
	v_cmp_ne_u32_e32 vcc_lo, 0, v78
	v_cndmask_b32_e32 v78, 19, v78, vcc_lo
; %bb.382:
	s_and_not1_saveexec_b32 s0, s0
	s_cbranch_execz .LBB64_388
; %bb.383:
	v_cmp_ngt_f32_e64 s1, |v72|, |v73|
	s_and_saveexec_b32 s12, s1
	s_delay_alu instid0(SALU_CYCLE_1)
	s_xor_b32 s1, exec_lo, s12
	s_cbranch_execz .LBB64_385
; %bb.384:
	v_div_scale_f32 v75, null, v73, v73, v72
	v_div_scale_f32 v83, vcc_lo, v72, v73, v72
	s_delay_alu instid0(VALU_DEP_2) | instskip(SKIP_1) | instid1(TRANS32_DEP_1)
	v_rcp_f32_e32 v81, v75
	v_nop
	v_fma_f32 v82, -v75, v81, 1.0
	s_delay_alu instid0(VALU_DEP_1) | instskip(NEXT) | instid1(VALU_DEP_1)
	v_fmac_f32_e32 v81, v82, v81
	v_mul_f32_e32 v82, v83, v81
	s_delay_alu instid0(VALU_DEP_1) | instskip(NEXT) | instid1(VALU_DEP_1)
	v_fma_f32 v84, -v75, v82, v83
	v_fmac_f32_e32 v82, v84, v81
	s_delay_alu instid0(VALU_DEP_1) | instskip(NEXT) | instid1(VALU_DEP_1)
	v_fma_f32 v75, -v75, v82, v83
	v_div_fmas_f32 v75, v75, v81, v82
	s_delay_alu instid0(VALU_DEP_1) | instskip(NEXT) | instid1(VALU_DEP_1)
	v_div_fixup_f32 v75, v75, v73, v72
	v_fmac_f32_e32 v73, v72, v75
	s_delay_alu instid0(VALU_DEP_1) | instskip(SKIP_1) | instid1(VALU_DEP_2)
	v_div_scale_f32 v72, null, v73, v73, 1.0
	v_div_scale_f32 v83, vcc_lo, 1.0, v73, 1.0
	v_rcp_f32_e32 v81, v72
	v_nop
	s_delay_alu instid0(TRANS32_DEP_1) | instskip(NEXT) | instid1(VALU_DEP_1)
	v_fma_f32 v82, -v72, v81, 1.0
	v_fmac_f32_e32 v81, v82, v81
	s_delay_alu instid0(VALU_DEP_1) | instskip(NEXT) | instid1(VALU_DEP_1)
	v_mul_f32_e32 v82, v83, v81
	v_fma_f32 v84, -v72, v82, v83
	s_delay_alu instid0(VALU_DEP_1) | instskip(NEXT) | instid1(VALU_DEP_1)
	v_fmac_f32_e32 v82, v84, v81
	v_fma_f32 v72, -v72, v82, v83
	s_delay_alu instid0(VALU_DEP_1) | instskip(NEXT) | instid1(VALU_DEP_1)
	v_div_fmas_f32 v72, v72, v81, v82
	v_div_fixup_f32 v73, v72, v73, 1.0
	s_delay_alu instid0(VALU_DEP_1)
	v_mul_f32_e32 v72, v75, v73
	v_xor_b32_e32 v73, 0x80000000, v73
.LBB64_385:
	s_and_not1_saveexec_b32 s1, s1
	s_cbranch_execz .LBB64_387
; %bb.386:
	s_delay_alu instid0(VALU_DEP_1) | instskip(SKIP_1) | instid1(VALU_DEP_2)
	v_div_scale_f32 v75, null, v72, v72, v73
	v_div_scale_f32 v83, vcc_lo, v73, v72, v73
	v_rcp_f32_e32 v81, v75
	v_nop
	s_delay_alu instid0(TRANS32_DEP_1) | instskip(NEXT) | instid1(VALU_DEP_1)
	v_fma_f32 v82, -v75, v81, 1.0
	v_fmac_f32_e32 v81, v82, v81
	s_delay_alu instid0(VALU_DEP_1) | instskip(NEXT) | instid1(VALU_DEP_1)
	v_mul_f32_e32 v82, v83, v81
	v_fma_f32 v84, -v75, v82, v83
	s_delay_alu instid0(VALU_DEP_1) | instskip(NEXT) | instid1(VALU_DEP_1)
	v_fmac_f32_e32 v82, v84, v81
	v_fma_f32 v75, -v75, v82, v83
	s_delay_alu instid0(VALU_DEP_1) | instskip(NEXT) | instid1(VALU_DEP_1)
	v_div_fmas_f32 v75, v75, v81, v82
	v_div_fixup_f32 v75, v75, v72, v73
	s_delay_alu instid0(VALU_DEP_1) | instskip(NEXT) | instid1(VALU_DEP_1)
	v_fmac_f32_e32 v72, v73, v75
	v_div_scale_f32 v73, null, v72, v72, 1.0
	s_delay_alu instid0(VALU_DEP_1) | instskip(SKIP_1) | instid1(TRANS32_DEP_1)
	v_rcp_f32_e32 v81, v73
	v_nop
	v_fma_f32 v82, -v73, v81, 1.0
	s_delay_alu instid0(VALU_DEP_1) | instskip(SKIP_1) | instid1(VALU_DEP_1)
	v_fmac_f32_e32 v81, v82, v81
	v_div_scale_f32 v82, vcc_lo, 1.0, v72, 1.0
	v_mul_f32_e32 v83, v82, v81
	s_delay_alu instid0(VALU_DEP_1) | instskip(NEXT) | instid1(VALU_DEP_1)
	v_fma_f32 v84, -v73, v83, v82
	v_fmac_f32_e32 v83, v84, v81
	s_delay_alu instid0(VALU_DEP_1) | instskip(NEXT) | instid1(VALU_DEP_1)
	v_fma_f32 v73, -v73, v83, v82
	v_div_fmas_f32 v73, v73, v81, v83
	s_delay_alu instid0(VALU_DEP_1) | instskip(NEXT) | instid1(VALU_DEP_1)
	v_div_fixup_f32 v72, v73, v72, 1.0
	v_mul_f32_e64 v73, v75, -v72
.LBB64_387:
	s_or_b32 exec_lo, exec_lo, s1
.LBB64_388:
	s_delay_alu instid0(SALU_CYCLE_1) | instskip(NEXT) | instid1(SALU_CYCLE_1)
	s_or_b32 exec_lo, exec_lo, s0
	s_mov_b32 s0, exec_lo
	v_cmpx_ne_u32_e64 v80, v74
	s_xor_b32 s0, exec_lo, s0
	s_cbranch_execz .LBB64_394
; %bb.389:
	s_mov_b32 s1, exec_lo
	v_cmpx_eq_u32_e32 18, v80
	s_cbranch_execz .LBB64_393
; %bb.390:
	v_cmp_ne_u32_e32 vcc_lo, 18, v74
	s_xor_b32 s12, s16, -1
	s_delay_alu instid0(SALU_CYCLE_1) | instskip(NEXT) | instid1(SALU_CYCLE_1)
	s_and_b32 s13, s12, vcc_lo
	s_and_saveexec_b32 s12, s13
	s_cbranch_execz .LBB64_392
; %bb.391:
	v_ashrrev_i32_e32 v75, 31, v74
	s_delay_alu instid0(VALU_DEP_1)
	v_lshl_add_u64 v[80:81], v[74:75], 2, v[4:5]
	s_clause 0x1
	global_load_b32 v75, v[80:81], off
	global_load_b32 v79, v[4:5], off offset:72
	s_wait_loadcnt 0x1
	global_store_b32 v[4:5], v75, off offset:72
	s_wait_loadcnt 0x0
	global_store_b32 v[80:81], v79, off
.LBB64_392:
	s_wait_xcnt 0x0
	s_or_b32 exec_lo, exec_lo, s12
	v_dual_mov_b32 v80, v74 :: v_dual_mov_b32 v79, v74
.LBB64_393:
	s_or_b32 exec_lo, exec_lo, s1
.LBB64_394:
	s_and_not1_saveexec_b32 s0, s0
	s_cbranch_execz .LBB64_396
; %bb.395:
	v_mov_b32_e32 v80, 18
	ds_store_2addr_b64 v76, v[54:55], v[50:51] offset0:19 offset1:20
	ds_store_2addr_b64 v76, v[46:47], v[48:49] offset0:21 offset1:22
	;; [unrolled: 1-line block ×7, first 2 shown]
.LBB64_396:
	s_or_b32 exec_lo, exec_lo, s0
	s_delay_alu instid0(SALU_CYCLE_1)
	s_mov_b32 s0, exec_lo
	s_wait_storecnt_dscnt 0x0
	s_barrier_signal -1
	s_barrier_wait -1
	v_cmpx_lt_i32_e32 18, v80
	s_cbranch_execz .LBB64_398
; %bb.397:
	v_pk_mul_f32 v[74:75], v[72:73], v[58:59] op_sel:[1,1] op_sel_hi:[0,1]
	s_delay_alu instid0(VALU_DEP_1)
	v_pk_fma_f32 v[82:83], v[72:73], v[58:59], v[74:75] op_sel_hi:[1,0,1] neg_lo:[0,0,1] neg_hi:[0,0,1]
	v_pk_fma_f32 v[84:85], v[72:73], v[58:59], v[74:75] op_sel_hi:[1,0,1]
	ds_load_2addr_b64 v[72:75], v76 offset0:19 offset1:20
	v_dual_mov_b32 v58, v82 :: v_dual_mov_b32 v59, v85
	s_wait_dscnt 0x0
	v_pk_mul_f32 v[86:87], v[72:73], v[84:85] op_sel:[0,1]
	s_delay_alu instid0(VALU_DEP_1) | instskip(SKIP_1) | instid1(VALU_DEP_1)
	v_pk_fma_f32 v[88:89], v[72:73], v[82:83], v[86:87] op_sel:[0,0,1] op_sel_hi:[1,1,0] neg_lo:[0,0,1] neg_hi:[0,0,1]
	v_pk_fma_f32 v[72:73], v[72:73], v[82:83], v[86:87] op_sel:[0,0,1] op_sel_hi:[1,0,0]
	v_mov_b32_e32 v89, v73
	v_pk_mul_f32 v[72:73], v[74:75], v[84:85] op_sel:[0,1]
	s_delay_alu instid0(VALU_DEP_1) | instskip(SKIP_1) | instid1(VALU_DEP_1)
	v_pk_fma_f32 v[86:87], v[74:75], v[82:83], v[72:73] op_sel:[0,0,1] op_sel_hi:[1,1,0] neg_lo:[0,0,1] neg_hi:[0,0,1]
	v_pk_fma_f32 v[72:73], v[74:75], v[82:83], v[72:73] op_sel:[0,0,1] op_sel_hi:[1,0,0]
	v_mov_b32_e32 v87, v73
	ds_load_2addr_b64 v[72:75], v76 offset0:21 offset1:22
	v_pk_add_f32 v[54:55], v[54:55], v[88:89] neg_lo:[0,1] neg_hi:[0,1]
	v_pk_add_f32 v[50:51], v[50:51], v[86:87] neg_lo:[0,1] neg_hi:[0,1]
	s_wait_dscnt 0x0
	v_pk_mul_f32 v[86:87], v[72:73], v[84:85] op_sel:[0,1]
	s_delay_alu instid0(VALU_DEP_1) | instskip(SKIP_2) | instid1(VALU_DEP_2)
	v_pk_fma_f32 v[88:89], v[72:73], v[82:83], v[86:87] op_sel:[0,0,1] op_sel_hi:[1,1,0] neg_lo:[0,0,1] neg_hi:[0,0,1]
	v_pk_fma_f32 v[72:73], v[72:73], v[82:83], v[86:87] op_sel:[0,0,1] op_sel_hi:[1,0,0]
	v_dual_mul_f32 v86, v75, v85 :: v_dual_mov_b32 v72, v75
	v_dual_mov_b32 v89, v73 :: v_dual_mov_b32 v73, v74
	s_delay_alu instid0(VALU_DEP_2) | instskip(SKIP_1) | instid1(VALU_DEP_3)
	v_pk_fma_f32 v[86:87], v[74:75], v[58:59], v[86:87] op_sel_hi:[1,1,0] neg_lo:[0,0,1] neg_hi:[0,0,1]
	v_mul_f32_e32 v74, v75, v82
	v_pk_add_f32 v[46:47], v[46:47], v[88:89] neg_lo:[0,1] neg_hi:[0,1]
	s_delay_alu instid0(VALU_DEP_2) | instskip(NEXT) | instid1(VALU_DEP_1)
	v_pk_fma_f32 v[72:73], v[72:73], v[58:59], v[74:75] op_sel_hi:[1,1,0]
	v_mov_b32_e32 v87, v73
	ds_load_2addr_b64 v[72:75], v76 offset0:23 offset1:24
	v_pk_add_f32 v[48:49], v[48:49], v[86:87] neg_lo:[0,1] neg_hi:[0,1]
	s_wait_dscnt 0x0
	v_pk_mul_f32 v[86:87], v[72:73], v[84:85] op_sel:[0,1]
	s_delay_alu instid0(VALU_DEP_1) | instskip(SKIP_1) | instid1(VALU_DEP_1)
	v_pk_fma_f32 v[88:89], v[72:73], v[82:83], v[86:87] op_sel:[0,0,1] op_sel_hi:[1,1,0] neg_lo:[0,0,1] neg_hi:[0,0,1]
	v_pk_fma_f32 v[72:73], v[72:73], v[82:83], v[86:87] op_sel:[0,0,1] op_sel_hi:[1,0,0]
	v_mov_b32_e32 v89, v73
	v_pk_mul_f32 v[72:73], v[74:75], v[84:85] op_sel:[0,1]
	s_delay_alu instid0(VALU_DEP_1) | instskip(SKIP_1) | instid1(VALU_DEP_1)
	v_pk_fma_f32 v[86:87], v[74:75], v[82:83], v[72:73] op_sel:[0,0,1] op_sel_hi:[1,1,0] neg_lo:[0,0,1] neg_hi:[0,0,1]
	v_pk_fma_f32 v[72:73], v[74:75], v[82:83], v[72:73] op_sel:[0,0,1] op_sel_hi:[1,0,0]
	v_mov_b32_e32 v87, v73
	ds_load_2addr_b64 v[72:75], v76 offset0:25 offset1:26
	v_pk_add_f32 v[44:45], v[44:45], v[88:89] neg_lo:[0,1] neg_hi:[0,1]
	v_pk_add_f32 v[26:27], v[26:27], v[86:87] neg_lo:[0,1] neg_hi:[0,1]
	s_wait_dscnt 0x0
	v_pk_mul_f32 v[86:87], v[72:73], v[84:85] op_sel:[0,1]
	s_delay_alu instid0(VALU_DEP_1) | instskip(SKIP_1) | instid1(VALU_DEP_1)
	v_pk_fma_f32 v[88:89], v[72:73], v[82:83], v[86:87] op_sel:[0,0,1] op_sel_hi:[1,1,0] neg_lo:[0,0,1] neg_hi:[0,0,1]
	v_pk_fma_f32 v[72:73], v[72:73], v[82:83], v[86:87] op_sel:[0,0,1] op_sel_hi:[1,0,0]
	v_mov_b32_e32 v89, v73
	v_pk_mul_f32 v[72:73], v[74:75], v[84:85] op_sel:[0,1]
	s_delay_alu instid0(VALU_DEP_1) | instskip(SKIP_1) | instid1(VALU_DEP_1)
	v_pk_fma_f32 v[86:87], v[74:75], v[82:83], v[72:73] op_sel:[0,0,1] op_sel_hi:[1,1,0] neg_lo:[0,0,1] neg_hi:[0,0,1]
	v_pk_fma_f32 v[72:73], v[74:75], v[82:83], v[72:73] op_sel:[0,0,1] op_sel_hi:[1,0,0]
	v_mov_b32_e32 v87, v73
	ds_load_2addr_b64 v[72:75], v76 offset0:27 offset1:28
	v_pk_add_f32 v[18:19], v[18:19], v[88:89] neg_lo:[0,1] neg_hi:[0,1]
	v_pk_add_f32 v[24:25], v[24:25], v[86:87] neg_lo:[0,1] neg_hi:[0,1]
	s_wait_dscnt 0x0
	v_dual_mul_f32 v86, v73, v85 :: v_dual_mul_f32 v88, v73, v82
	s_delay_alu instid0(VALU_DEP_1) | instskip(NEXT) | instid1(VALU_DEP_2)
	v_pk_fma_f32 v[86:87], v[72:73], v[58:59], v[86:87] op_sel_hi:[1,1,0] neg_lo:[0,0,1] neg_hi:[0,0,1]
	v_pk_fma_f32 v[72:73], v[72:73], v[58:59], v[88:89] op_sel:[1,0,0] op_sel_hi:[0,1,0]
	s_delay_alu instid0(VALU_DEP_1) | instskip(SKIP_1) | instid1(VALU_DEP_2)
	v_mov_b32_e32 v87, v73
	v_pk_mul_f32 v[72:73], v[74:75], v[84:85] op_sel:[0,1]
	v_pk_add_f32 v[16:17], v[16:17], v[86:87] neg_lo:[0,1] neg_hi:[0,1]
	s_delay_alu instid0(VALU_DEP_2) | instskip(SKIP_1) | instid1(VALU_DEP_1)
	v_pk_fma_f32 v[86:87], v[74:75], v[82:83], v[72:73] op_sel:[0,0,1] op_sel_hi:[1,1,0] neg_lo:[0,0,1] neg_hi:[0,0,1]
	v_pk_fma_f32 v[72:73], v[74:75], v[82:83], v[72:73] op_sel:[0,0,1] op_sel_hi:[1,0,0]
	v_mov_b32_e32 v87, v73
	ds_load_2addr_b64 v[72:75], v76 offset0:29 offset1:30
	v_pk_add_f32 v[6:7], v[6:7], v[86:87] neg_lo:[0,1] neg_hi:[0,1]
	s_wait_dscnt 0x0
	v_pk_mul_f32 v[86:87], v[72:73], v[84:85] op_sel:[0,1]
	s_delay_alu instid0(VALU_DEP_1) | instskip(SKIP_1) | instid1(VALU_DEP_1)
	v_pk_fma_f32 v[88:89], v[72:73], v[82:83], v[86:87] op_sel:[0,0,1] op_sel_hi:[1,1,0] neg_lo:[0,0,1] neg_hi:[0,0,1]
	v_pk_fma_f32 v[72:73], v[72:73], v[82:83], v[86:87] op_sel:[0,0,1] op_sel_hi:[1,0,0]
	v_mov_b32_e32 v89, v73
	v_pk_mul_f32 v[72:73], v[74:75], v[84:85] op_sel:[0,1]
	s_delay_alu instid0(VALU_DEP_2) | instskip(NEXT) | instid1(VALU_DEP_2)
	v_pk_add_f32 v[52:53], v[52:53], v[88:89] neg_lo:[0,1] neg_hi:[0,1]
	v_pk_fma_f32 v[86:87], v[74:75], v[82:83], v[72:73] op_sel:[0,0,1] op_sel_hi:[1,1,0] neg_lo:[0,0,1] neg_hi:[0,0,1]
	v_pk_fma_f32 v[72:73], v[74:75], v[82:83], v[72:73] op_sel:[0,0,1] op_sel_hi:[1,0,0]
	s_delay_alu instid0(VALU_DEP_1) | instskip(SKIP_4) | instid1(VALU_DEP_1)
	v_mov_b32_e32 v87, v73
	ds_load_2addr_b64 v[72:75], v76 offset0:31 offset1:32
	v_pk_add_f32 v[42:43], v[42:43], v[86:87] neg_lo:[0,1] neg_hi:[0,1]
	s_wait_dscnt 0x0
	v_pk_mul_f32 v[86:87], v[72:73], v[84:85] op_sel:[0,1]
	v_pk_fma_f32 v[88:89], v[72:73], v[82:83], v[86:87] op_sel:[0,0,1] op_sel_hi:[1,1,0] neg_lo:[0,0,1] neg_hi:[0,0,1]
	v_pk_fma_f32 v[72:73], v[72:73], v[82:83], v[86:87] op_sel:[0,0,1] op_sel_hi:[1,0,0]
	s_delay_alu instid0(VALU_DEP_1) | instskip(SKIP_1) | instid1(VALU_DEP_2)
	v_mov_b32_e32 v89, v73
	v_pk_mul_f32 v[72:73], v[74:75], v[84:85] op_sel:[0,1]
	v_pk_add_f32 v[32:33], v[32:33], v[88:89] neg_lo:[0,1] neg_hi:[0,1]
	s_delay_alu instid0(VALU_DEP_2) | instskip(SKIP_1) | instid1(VALU_DEP_1)
	v_pk_fma_f32 v[84:85], v[74:75], v[82:83], v[72:73] op_sel:[0,0,1] op_sel_hi:[1,1,0] neg_lo:[0,0,1] neg_hi:[0,0,1]
	v_pk_fma_f32 v[72:73], v[74:75], v[82:83], v[72:73] op_sel:[0,0,1] op_sel_hi:[1,0,0]
	v_mov_b32_e32 v85, v73
	s_delay_alu instid0(VALU_DEP_1)
	v_pk_add_f32 v[70:71], v[70:71], v[84:85] neg_lo:[0,1] neg_hi:[0,1]
.LBB64_398:
	s_or_b32 exec_lo, exec_lo, s0
	v_lshl_add_u32 v72, v80, 3, v76
	s_barrier_signal -1
	s_barrier_wait -1
	ds_store_b64 v72, v[54:55]
	s_wait_dscnt 0x0
	s_barrier_signal -1
	s_barrier_wait -1
	ds_load_b64 v[72:73], v76 offset:152
	v_mov_b32_e32 v74, 19
	s_cmp_lt_i32 s18, 21
	s_cbranch_scc1 .LBB64_401
; %bb.399:
	v_add3_u32 v75, v77, 0, 0xa0
	v_mov_b32_e32 v74, 19
	s_mov_b32 s0, 20
.LBB64_400:                             ; =>This Inner Loop Header: Depth=1
	ds_load_b64 v[82:83], v75
	s_wait_dscnt 0x1
	v_cmp_gt_f32_e32 vcc_lo, 0, v72
	v_cndmask_b32_e64 v84, v72, -v72, vcc_lo
	v_cmp_gt_f32_e32 vcc_lo, 0, v73
	v_cndmask_b32_e64 v86, v73, -v73, vcc_lo
	s_wait_dscnt 0x0
	v_cmp_gt_f32_e32 vcc_lo, 0, v82
	v_cndmask_b32_e64 v85, v82, -v82, vcc_lo
	v_cmp_gt_f32_e32 vcc_lo, 0, v83
	v_cndmask_b32_e64 v87, v83, -v83, vcc_lo
	s_delay_alu instid0(VALU_DEP_1) | instskip(NEXT) | instid1(VALU_DEP_1)
	v_pk_add_f32 v[84:85], v[84:85], v[86:87]
	v_cmp_lt_f32_e32 vcc_lo, v84, v85
	v_dual_cndmask_b32 v72, v72, v82 :: v_dual_add_nc_u32 v75, 8, v75
	v_cndmask_b32_e32 v73, v73, v83, vcc_lo
	v_cndmask_b32_e64 v74, v74, s0, vcc_lo
	s_add_co_i32 s0, s0, 1
	s_delay_alu instid0(SALU_CYCLE_1)
	s_cmp_lg_u32 s18, s0
	s_cbranch_scc1 .LBB64_400
.LBB64_401:
	s_wait_dscnt 0x0
	v_cmp_eq_f32_e32 vcc_lo, 0, v72
	v_cmp_eq_f32_e64 s0, 0, v73
	s_and_b32 s0, vcc_lo, s0
	s_delay_alu instid0(SALU_CYCLE_1) | instskip(NEXT) | instid1(SALU_CYCLE_1)
	s_and_saveexec_b32 s1, s0
	s_xor_b32 s0, exec_lo, s1
; %bb.402:
	v_cmp_ne_u32_e32 vcc_lo, 0, v78
	v_cndmask_b32_e32 v78, 20, v78, vcc_lo
; %bb.403:
	s_and_not1_saveexec_b32 s0, s0
	s_cbranch_execz .LBB64_409
; %bb.404:
	v_cmp_ngt_f32_e64 s1, |v72|, |v73|
	s_and_saveexec_b32 s12, s1
	s_delay_alu instid0(SALU_CYCLE_1)
	s_xor_b32 s1, exec_lo, s12
	s_cbranch_execz .LBB64_406
; %bb.405:
	v_div_scale_f32 v75, null, v73, v73, v72
	v_div_scale_f32 v83, vcc_lo, v72, v73, v72
	s_delay_alu instid0(VALU_DEP_2) | instskip(SKIP_1) | instid1(TRANS32_DEP_1)
	v_rcp_f32_e32 v81, v75
	v_nop
	v_fma_f32 v82, -v75, v81, 1.0
	s_delay_alu instid0(VALU_DEP_1) | instskip(NEXT) | instid1(VALU_DEP_1)
	v_fmac_f32_e32 v81, v82, v81
	v_mul_f32_e32 v82, v83, v81
	s_delay_alu instid0(VALU_DEP_1) | instskip(NEXT) | instid1(VALU_DEP_1)
	v_fma_f32 v84, -v75, v82, v83
	v_fmac_f32_e32 v82, v84, v81
	s_delay_alu instid0(VALU_DEP_1) | instskip(NEXT) | instid1(VALU_DEP_1)
	v_fma_f32 v75, -v75, v82, v83
	v_div_fmas_f32 v75, v75, v81, v82
	s_delay_alu instid0(VALU_DEP_1) | instskip(NEXT) | instid1(VALU_DEP_1)
	v_div_fixup_f32 v75, v75, v73, v72
	v_fmac_f32_e32 v73, v72, v75
	s_delay_alu instid0(VALU_DEP_1) | instskip(SKIP_1) | instid1(VALU_DEP_2)
	v_div_scale_f32 v72, null, v73, v73, 1.0
	v_div_scale_f32 v83, vcc_lo, 1.0, v73, 1.0
	v_rcp_f32_e32 v81, v72
	v_nop
	s_delay_alu instid0(TRANS32_DEP_1) | instskip(NEXT) | instid1(VALU_DEP_1)
	v_fma_f32 v82, -v72, v81, 1.0
	v_fmac_f32_e32 v81, v82, v81
	s_delay_alu instid0(VALU_DEP_1) | instskip(NEXT) | instid1(VALU_DEP_1)
	v_mul_f32_e32 v82, v83, v81
	v_fma_f32 v84, -v72, v82, v83
	s_delay_alu instid0(VALU_DEP_1) | instskip(NEXT) | instid1(VALU_DEP_1)
	v_fmac_f32_e32 v82, v84, v81
	v_fma_f32 v72, -v72, v82, v83
	s_delay_alu instid0(VALU_DEP_1) | instskip(NEXT) | instid1(VALU_DEP_1)
	v_div_fmas_f32 v72, v72, v81, v82
	v_div_fixup_f32 v73, v72, v73, 1.0
	s_delay_alu instid0(VALU_DEP_1)
	v_mul_f32_e32 v72, v75, v73
	v_xor_b32_e32 v73, 0x80000000, v73
.LBB64_406:
	s_and_not1_saveexec_b32 s1, s1
	s_cbranch_execz .LBB64_408
; %bb.407:
	s_delay_alu instid0(VALU_DEP_1) | instskip(SKIP_1) | instid1(VALU_DEP_2)
	v_div_scale_f32 v75, null, v72, v72, v73
	v_div_scale_f32 v83, vcc_lo, v73, v72, v73
	v_rcp_f32_e32 v81, v75
	v_nop
	s_delay_alu instid0(TRANS32_DEP_1) | instskip(NEXT) | instid1(VALU_DEP_1)
	v_fma_f32 v82, -v75, v81, 1.0
	v_fmac_f32_e32 v81, v82, v81
	s_delay_alu instid0(VALU_DEP_1) | instskip(NEXT) | instid1(VALU_DEP_1)
	v_mul_f32_e32 v82, v83, v81
	v_fma_f32 v84, -v75, v82, v83
	s_delay_alu instid0(VALU_DEP_1) | instskip(NEXT) | instid1(VALU_DEP_1)
	v_fmac_f32_e32 v82, v84, v81
	v_fma_f32 v75, -v75, v82, v83
	s_delay_alu instid0(VALU_DEP_1) | instskip(NEXT) | instid1(VALU_DEP_1)
	v_div_fmas_f32 v75, v75, v81, v82
	v_div_fixup_f32 v75, v75, v72, v73
	s_delay_alu instid0(VALU_DEP_1) | instskip(NEXT) | instid1(VALU_DEP_1)
	v_fmac_f32_e32 v72, v73, v75
	v_div_scale_f32 v73, null, v72, v72, 1.0
	s_delay_alu instid0(VALU_DEP_1) | instskip(SKIP_1) | instid1(TRANS32_DEP_1)
	v_rcp_f32_e32 v81, v73
	v_nop
	v_fma_f32 v82, -v73, v81, 1.0
	s_delay_alu instid0(VALU_DEP_1) | instskip(SKIP_1) | instid1(VALU_DEP_1)
	v_fmac_f32_e32 v81, v82, v81
	v_div_scale_f32 v82, vcc_lo, 1.0, v72, 1.0
	v_mul_f32_e32 v83, v82, v81
	s_delay_alu instid0(VALU_DEP_1) | instskip(NEXT) | instid1(VALU_DEP_1)
	v_fma_f32 v84, -v73, v83, v82
	v_fmac_f32_e32 v83, v84, v81
	s_delay_alu instid0(VALU_DEP_1) | instskip(NEXT) | instid1(VALU_DEP_1)
	v_fma_f32 v73, -v73, v83, v82
	v_div_fmas_f32 v73, v73, v81, v83
	s_delay_alu instid0(VALU_DEP_1) | instskip(NEXT) | instid1(VALU_DEP_1)
	v_div_fixup_f32 v72, v73, v72, 1.0
	v_mul_f32_e64 v73, v75, -v72
.LBB64_408:
	s_or_b32 exec_lo, exec_lo, s1
.LBB64_409:
	s_delay_alu instid0(SALU_CYCLE_1) | instskip(NEXT) | instid1(SALU_CYCLE_1)
	s_or_b32 exec_lo, exec_lo, s0
	s_mov_b32 s0, exec_lo
	v_cmpx_ne_u32_e64 v80, v74
	s_xor_b32 s0, exec_lo, s0
	s_cbranch_execz .LBB64_415
; %bb.410:
	s_mov_b32 s1, exec_lo
	v_cmpx_eq_u32_e32 19, v80
	s_cbranch_execz .LBB64_414
; %bb.411:
	v_cmp_ne_u32_e32 vcc_lo, 19, v74
	s_xor_b32 s12, s16, -1
	s_delay_alu instid0(SALU_CYCLE_1) | instskip(NEXT) | instid1(SALU_CYCLE_1)
	s_and_b32 s13, s12, vcc_lo
	s_and_saveexec_b32 s12, s13
	s_cbranch_execz .LBB64_413
; %bb.412:
	v_ashrrev_i32_e32 v75, 31, v74
	s_delay_alu instid0(VALU_DEP_1)
	v_lshl_add_u64 v[80:81], v[74:75], 2, v[4:5]
	s_clause 0x1
	global_load_b32 v75, v[80:81], off
	global_load_b32 v79, v[4:5], off offset:76
	s_wait_loadcnt 0x1
	global_store_b32 v[4:5], v75, off offset:76
	s_wait_loadcnt 0x0
	global_store_b32 v[80:81], v79, off
.LBB64_413:
	s_wait_xcnt 0x0
	s_or_b32 exec_lo, exec_lo, s12
	v_dual_mov_b32 v80, v74 :: v_dual_mov_b32 v79, v74
.LBB64_414:
	s_or_b32 exec_lo, exec_lo, s1
.LBB64_415:
	s_and_not1_saveexec_b32 s0, s0
	s_cbranch_execz .LBB64_417
; %bb.416:
	v_dual_mov_b32 v74, v50 :: v_dual_mov_b32 v75, v51
	v_dual_mov_b32 v80, v46 :: v_dual_mov_b32 v81, v47
	;; [unrolled: 1-line block ×4, first 2 shown]
	ds_store_2addr_b64 v76, v[74:75], v[80:81] offset0:20 offset1:21
	ds_store_2addr_b64 v76, v[82:83], v[84:85] offset0:22 offset1:23
	v_dual_mov_b32 v74, v26 :: v_dual_mov_b32 v75, v27
	v_dual_mov_b32 v82, v18 :: v_dual_mov_b32 v83, v19
	;; [unrolled: 1-line block ×8, first 2 shown]
	v_mov_b32_e32 v95, v33
	ds_store_2addr_b64 v76, v[74:75], v[82:83] offset0:24 offset1:25
	ds_store_2addr_b64 v76, v[84:85], v[86:87] offset0:26 offset1:27
	ds_store_2addr_b64 v76, v[88:89], v[90:91] offset0:28 offset1:29
	ds_store_2addr_b64 v76, v[92:93], v[94:95] offset0:30 offset1:31
	ds_store_b64 v76, v[70:71] offset:256
.LBB64_417:
	s_or_b32 exec_lo, exec_lo, s0
	s_delay_alu instid0(SALU_CYCLE_1)
	s_mov_b32 s0, exec_lo
	s_wait_storecnt_dscnt 0x0
	s_barrier_signal -1
	s_barrier_wait -1
	v_cmpx_lt_i32_e32 19, v80
	s_cbranch_execz .LBB64_419
; %bb.418:
	v_pk_mul_f32 v[74:75], v[72:73], v[54:55] op_sel:[1,1] op_sel_hi:[0,1]
	s_delay_alu instid0(VALU_DEP_1)
	v_pk_fma_f32 v[82:83], v[72:73], v[54:55], v[74:75] op_sel_hi:[1,0,1] neg_lo:[0,0,1] neg_hi:[0,0,1]
	v_pk_fma_f32 v[84:85], v[72:73], v[54:55], v[74:75] op_sel_hi:[1,0,1]
	ds_load_2addr_b64 v[72:75], v76 offset0:20 offset1:21
	v_dual_mov_b32 v54, v82 :: v_dual_mov_b32 v55, v85
	s_wait_dscnt 0x0
	v_pk_mul_f32 v[86:87], v[72:73], v[84:85] op_sel:[0,1]
	s_delay_alu instid0(VALU_DEP_1) | instskip(SKIP_1) | instid1(VALU_DEP_1)
	v_pk_fma_f32 v[88:89], v[72:73], v[82:83], v[86:87] op_sel:[0,0,1] op_sel_hi:[1,1,0] neg_lo:[0,0,1] neg_hi:[0,0,1]
	v_pk_fma_f32 v[72:73], v[72:73], v[82:83], v[86:87] op_sel:[0,0,1] op_sel_hi:[1,0,0]
	v_mov_b32_e32 v89, v73
	v_pk_mul_f32 v[72:73], v[74:75], v[84:85] op_sel:[0,1]
	s_delay_alu instid0(VALU_DEP_1) | instskip(SKIP_1) | instid1(VALU_DEP_1)
	v_pk_fma_f32 v[86:87], v[74:75], v[82:83], v[72:73] op_sel:[0,0,1] op_sel_hi:[1,1,0] neg_lo:[0,0,1] neg_hi:[0,0,1]
	v_pk_fma_f32 v[72:73], v[74:75], v[82:83], v[72:73] op_sel:[0,0,1] op_sel_hi:[1,0,0]
	v_mov_b32_e32 v87, v73
	ds_load_2addr_b64 v[72:75], v76 offset0:22 offset1:23
	v_pk_add_f32 v[50:51], v[50:51], v[88:89] neg_lo:[0,1] neg_hi:[0,1]
	v_pk_add_f32 v[46:47], v[46:47], v[86:87] neg_lo:[0,1] neg_hi:[0,1]
	s_wait_dscnt 0x0
	v_pk_mul_f32 v[86:87], v[72:73], v[84:85] op_sel:[0,1]
	s_delay_alu instid0(VALU_DEP_1) | instskip(SKIP_2) | instid1(VALU_DEP_2)
	v_pk_fma_f32 v[88:89], v[72:73], v[82:83], v[86:87] op_sel:[0,0,1] op_sel_hi:[1,1,0] neg_lo:[0,0,1] neg_hi:[0,0,1]
	v_pk_fma_f32 v[72:73], v[72:73], v[82:83], v[86:87] op_sel:[0,0,1] op_sel_hi:[1,0,0]
	v_dual_mul_f32 v86, v75, v85 :: v_dual_mov_b32 v72, v75
	v_dual_mov_b32 v89, v73 :: v_dual_mov_b32 v73, v74
	s_delay_alu instid0(VALU_DEP_2) | instskip(SKIP_1) | instid1(VALU_DEP_3)
	v_pk_fma_f32 v[86:87], v[74:75], v[54:55], v[86:87] op_sel_hi:[1,1,0] neg_lo:[0,0,1] neg_hi:[0,0,1]
	v_mul_f32_e32 v74, v75, v82
	v_pk_add_f32 v[48:49], v[48:49], v[88:89] neg_lo:[0,1] neg_hi:[0,1]
	s_delay_alu instid0(VALU_DEP_2) | instskip(NEXT) | instid1(VALU_DEP_1)
	v_pk_fma_f32 v[72:73], v[72:73], v[54:55], v[74:75] op_sel_hi:[1,1,0]
	v_mov_b32_e32 v87, v73
	ds_load_2addr_b64 v[72:75], v76 offset0:24 offset1:25
	v_pk_add_f32 v[44:45], v[44:45], v[86:87] neg_lo:[0,1] neg_hi:[0,1]
	s_wait_dscnt 0x0
	v_pk_mul_f32 v[86:87], v[72:73], v[84:85] op_sel:[0,1]
	s_delay_alu instid0(VALU_DEP_1) | instskip(SKIP_1) | instid1(VALU_DEP_1)
	v_pk_fma_f32 v[88:89], v[72:73], v[82:83], v[86:87] op_sel:[0,0,1] op_sel_hi:[1,1,0] neg_lo:[0,0,1] neg_hi:[0,0,1]
	v_pk_fma_f32 v[72:73], v[72:73], v[82:83], v[86:87] op_sel:[0,0,1] op_sel_hi:[1,0,0]
	v_mov_b32_e32 v89, v73
	v_pk_mul_f32 v[72:73], v[74:75], v[84:85] op_sel:[0,1]
	s_delay_alu instid0(VALU_DEP_1) | instskip(SKIP_1) | instid1(VALU_DEP_1)
	v_pk_fma_f32 v[86:87], v[74:75], v[82:83], v[72:73] op_sel:[0,0,1] op_sel_hi:[1,1,0] neg_lo:[0,0,1] neg_hi:[0,0,1]
	v_pk_fma_f32 v[72:73], v[74:75], v[82:83], v[72:73] op_sel:[0,0,1] op_sel_hi:[1,0,0]
	v_mov_b32_e32 v87, v73
	ds_load_2addr_b64 v[72:75], v76 offset0:26 offset1:27
	v_pk_add_f32 v[26:27], v[26:27], v[88:89] neg_lo:[0,1] neg_hi:[0,1]
	v_pk_add_f32 v[18:19], v[18:19], v[86:87] neg_lo:[0,1] neg_hi:[0,1]
	s_wait_dscnt 0x0
	v_pk_mul_f32 v[86:87], v[72:73], v[84:85] op_sel:[0,1]
	s_delay_alu instid0(VALU_DEP_1) | instskip(SKIP_1) | instid1(VALU_DEP_1)
	v_pk_fma_f32 v[88:89], v[72:73], v[82:83], v[86:87] op_sel:[0,0,1] op_sel_hi:[1,1,0] neg_lo:[0,0,1] neg_hi:[0,0,1]
	v_pk_fma_f32 v[72:73], v[72:73], v[82:83], v[86:87] op_sel:[0,0,1] op_sel_hi:[1,0,0]
	v_mov_b32_e32 v89, v73
	v_pk_mul_f32 v[72:73], v[74:75], v[84:85] op_sel:[0,1]
	s_delay_alu instid0(VALU_DEP_1) | instskip(SKIP_1) | instid1(VALU_DEP_1)
	v_pk_fma_f32 v[86:87], v[74:75], v[82:83], v[72:73] op_sel:[0,0,1] op_sel_hi:[1,1,0] neg_lo:[0,0,1] neg_hi:[0,0,1]
	v_pk_fma_f32 v[72:73], v[74:75], v[82:83], v[72:73] op_sel:[0,0,1] op_sel_hi:[1,0,0]
	v_mov_b32_e32 v87, v73
	ds_load_2addr_b64 v[72:75], v76 offset0:28 offset1:29
	v_pk_add_f32 v[24:25], v[24:25], v[88:89] neg_lo:[0,1] neg_hi:[0,1]
	v_pk_add_f32 v[16:17], v[16:17], v[86:87] neg_lo:[0,1] neg_hi:[0,1]
	s_wait_dscnt 0x0
	v_dual_mul_f32 v86, v73, v85 :: v_dual_mul_f32 v88, v73, v82
	s_delay_alu instid0(VALU_DEP_1) | instskip(NEXT) | instid1(VALU_DEP_2)
	v_pk_fma_f32 v[86:87], v[72:73], v[54:55], v[86:87] op_sel_hi:[1,1,0] neg_lo:[0,0,1] neg_hi:[0,0,1]
	v_pk_fma_f32 v[72:73], v[72:73], v[54:55], v[88:89] op_sel:[1,0,0] op_sel_hi:[0,1,0]
	s_delay_alu instid0(VALU_DEP_1) | instskip(SKIP_1) | instid1(VALU_DEP_2)
	v_mov_b32_e32 v87, v73
	v_pk_mul_f32 v[72:73], v[74:75], v[84:85] op_sel:[0,1]
	v_pk_add_f32 v[6:7], v[6:7], v[86:87] neg_lo:[0,1] neg_hi:[0,1]
	s_delay_alu instid0(VALU_DEP_2) | instskip(SKIP_1) | instid1(VALU_DEP_1)
	v_pk_fma_f32 v[86:87], v[74:75], v[82:83], v[72:73] op_sel:[0,0,1] op_sel_hi:[1,1,0] neg_lo:[0,0,1] neg_hi:[0,0,1]
	v_pk_fma_f32 v[72:73], v[74:75], v[82:83], v[72:73] op_sel:[0,0,1] op_sel_hi:[1,0,0]
	v_mov_b32_e32 v87, v73
	ds_load_2addr_b64 v[72:75], v76 offset0:30 offset1:31
	v_pk_add_f32 v[52:53], v[52:53], v[86:87] neg_lo:[0,1] neg_hi:[0,1]
	s_wait_dscnt 0x0
	v_pk_mul_f32 v[86:87], v[72:73], v[84:85] op_sel:[0,1]
	s_delay_alu instid0(VALU_DEP_1) | instskip(SKIP_1) | instid1(VALU_DEP_1)
	v_pk_fma_f32 v[88:89], v[72:73], v[82:83], v[86:87] op_sel:[0,0,1] op_sel_hi:[1,1,0] neg_lo:[0,0,1] neg_hi:[0,0,1]
	v_pk_fma_f32 v[72:73], v[72:73], v[82:83], v[86:87] op_sel:[0,0,1] op_sel_hi:[1,0,0]
	v_mov_b32_e32 v89, v73
	v_pk_mul_f32 v[72:73], v[74:75], v[84:85] op_sel:[0,1]
	s_delay_alu instid0(VALU_DEP_2) | instskip(NEXT) | instid1(VALU_DEP_2)
	v_pk_add_f32 v[42:43], v[42:43], v[88:89] neg_lo:[0,1] neg_hi:[0,1]
	v_pk_fma_f32 v[86:87], v[74:75], v[82:83], v[72:73] op_sel:[0,0,1] op_sel_hi:[1,1,0] neg_lo:[0,0,1] neg_hi:[0,0,1]
	v_pk_fma_f32 v[72:73], v[74:75], v[82:83], v[72:73] op_sel:[0,0,1] op_sel_hi:[1,0,0]
	s_delay_alu instid0(VALU_DEP_1) | instskip(SKIP_4) | instid1(VALU_DEP_1)
	v_mov_b32_e32 v87, v73
	ds_load_b64 v[72:73], v76 offset:256
	v_pk_add_f32 v[32:33], v[32:33], v[86:87] neg_lo:[0,1] neg_hi:[0,1]
	s_wait_dscnt 0x0
	v_pk_mul_f32 v[74:75], v[72:73], v[84:85] op_sel:[0,1]
	v_pk_fma_f32 v[84:85], v[72:73], v[82:83], v[74:75] op_sel:[0,0,1] op_sel_hi:[1,1,0] neg_lo:[0,0,1] neg_hi:[0,0,1]
	v_pk_fma_f32 v[72:73], v[72:73], v[82:83], v[74:75] op_sel:[0,0,1] op_sel_hi:[1,0,0]
	s_delay_alu instid0(VALU_DEP_1) | instskip(NEXT) | instid1(VALU_DEP_1)
	v_mov_b32_e32 v85, v73
	v_pk_add_f32 v[70:71], v[70:71], v[84:85] neg_lo:[0,1] neg_hi:[0,1]
.LBB64_419:
	s_or_b32 exec_lo, exec_lo, s0
	v_lshl_add_u32 v72, v80, 3, v76
	s_barrier_signal -1
	s_barrier_wait -1
	ds_store_b64 v72, v[50:51]
	s_wait_dscnt 0x0
	s_barrier_signal -1
	s_barrier_wait -1
	ds_load_b64 v[72:73], v76 offset:160
	v_mov_b32_e32 v74, 20
	s_cmp_lt_i32 s18, 22
	s_cbranch_scc1 .LBB64_422
; %bb.420:
	v_add3_u32 v75, v77, 0, 0xa8
	v_mov_b32_e32 v74, 20
	s_mov_b32 s0, 21
.LBB64_421:                             ; =>This Inner Loop Header: Depth=1
	ds_load_b64 v[82:83], v75
	s_wait_dscnt 0x1
	v_cmp_gt_f32_e32 vcc_lo, 0, v72
	v_cndmask_b32_e64 v84, v72, -v72, vcc_lo
	v_cmp_gt_f32_e32 vcc_lo, 0, v73
	v_cndmask_b32_e64 v86, v73, -v73, vcc_lo
	s_wait_dscnt 0x0
	v_cmp_gt_f32_e32 vcc_lo, 0, v82
	v_cndmask_b32_e64 v85, v82, -v82, vcc_lo
	v_cmp_gt_f32_e32 vcc_lo, 0, v83
	v_cndmask_b32_e64 v87, v83, -v83, vcc_lo
	s_delay_alu instid0(VALU_DEP_1) | instskip(NEXT) | instid1(VALU_DEP_1)
	v_pk_add_f32 v[84:85], v[84:85], v[86:87]
	v_cmp_lt_f32_e32 vcc_lo, v84, v85
	v_dual_cndmask_b32 v72, v72, v82 :: v_dual_add_nc_u32 v75, 8, v75
	v_cndmask_b32_e32 v73, v73, v83, vcc_lo
	v_cndmask_b32_e64 v74, v74, s0, vcc_lo
	s_add_co_i32 s0, s0, 1
	s_delay_alu instid0(SALU_CYCLE_1)
	s_cmp_lg_u32 s18, s0
	s_cbranch_scc1 .LBB64_421
.LBB64_422:
	s_wait_dscnt 0x0
	v_cmp_eq_f32_e32 vcc_lo, 0, v72
	v_cmp_eq_f32_e64 s0, 0, v73
	s_and_b32 s0, vcc_lo, s0
	s_delay_alu instid0(SALU_CYCLE_1) | instskip(NEXT) | instid1(SALU_CYCLE_1)
	s_and_saveexec_b32 s1, s0
	s_xor_b32 s0, exec_lo, s1
; %bb.423:
	v_cmp_ne_u32_e32 vcc_lo, 0, v78
	v_cndmask_b32_e32 v78, 21, v78, vcc_lo
; %bb.424:
	s_and_not1_saveexec_b32 s0, s0
	s_cbranch_execz .LBB64_430
; %bb.425:
	v_cmp_ngt_f32_e64 s1, |v72|, |v73|
	s_and_saveexec_b32 s12, s1
	s_delay_alu instid0(SALU_CYCLE_1)
	s_xor_b32 s1, exec_lo, s12
	s_cbranch_execz .LBB64_427
; %bb.426:
	v_div_scale_f32 v75, null, v73, v73, v72
	v_div_scale_f32 v83, vcc_lo, v72, v73, v72
	s_delay_alu instid0(VALU_DEP_2) | instskip(SKIP_1) | instid1(TRANS32_DEP_1)
	v_rcp_f32_e32 v81, v75
	v_nop
	v_fma_f32 v82, -v75, v81, 1.0
	s_delay_alu instid0(VALU_DEP_1) | instskip(NEXT) | instid1(VALU_DEP_1)
	v_fmac_f32_e32 v81, v82, v81
	v_mul_f32_e32 v82, v83, v81
	s_delay_alu instid0(VALU_DEP_1) | instskip(NEXT) | instid1(VALU_DEP_1)
	v_fma_f32 v84, -v75, v82, v83
	v_fmac_f32_e32 v82, v84, v81
	s_delay_alu instid0(VALU_DEP_1) | instskip(NEXT) | instid1(VALU_DEP_1)
	v_fma_f32 v75, -v75, v82, v83
	v_div_fmas_f32 v75, v75, v81, v82
	s_delay_alu instid0(VALU_DEP_1) | instskip(NEXT) | instid1(VALU_DEP_1)
	v_div_fixup_f32 v75, v75, v73, v72
	v_fmac_f32_e32 v73, v72, v75
	s_delay_alu instid0(VALU_DEP_1) | instskip(SKIP_1) | instid1(VALU_DEP_2)
	v_div_scale_f32 v72, null, v73, v73, 1.0
	v_div_scale_f32 v83, vcc_lo, 1.0, v73, 1.0
	v_rcp_f32_e32 v81, v72
	v_nop
	s_delay_alu instid0(TRANS32_DEP_1) | instskip(NEXT) | instid1(VALU_DEP_1)
	v_fma_f32 v82, -v72, v81, 1.0
	v_fmac_f32_e32 v81, v82, v81
	s_delay_alu instid0(VALU_DEP_1) | instskip(NEXT) | instid1(VALU_DEP_1)
	v_mul_f32_e32 v82, v83, v81
	v_fma_f32 v84, -v72, v82, v83
	s_delay_alu instid0(VALU_DEP_1) | instskip(NEXT) | instid1(VALU_DEP_1)
	v_fmac_f32_e32 v82, v84, v81
	v_fma_f32 v72, -v72, v82, v83
	s_delay_alu instid0(VALU_DEP_1) | instskip(NEXT) | instid1(VALU_DEP_1)
	v_div_fmas_f32 v72, v72, v81, v82
	v_div_fixup_f32 v73, v72, v73, 1.0
	s_delay_alu instid0(VALU_DEP_1)
	v_mul_f32_e32 v72, v75, v73
	v_xor_b32_e32 v73, 0x80000000, v73
.LBB64_427:
	s_and_not1_saveexec_b32 s1, s1
	s_cbranch_execz .LBB64_429
; %bb.428:
	s_delay_alu instid0(VALU_DEP_1) | instskip(SKIP_1) | instid1(VALU_DEP_2)
	v_div_scale_f32 v75, null, v72, v72, v73
	v_div_scale_f32 v83, vcc_lo, v73, v72, v73
	v_rcp_f32_e32 v81, v75
	v_nop
	s_delay_alu instid0(TRANS32_DEP_1) | instskip(NEXT) | instid1(VALU_DEP_1)
	v_fma_f32 v82, -v75, v81, 1.0
	v_fmac_f32_e32 v81, v82, v81
	s_delay_alu instid0(VALU_DEP_1) | instskip(NEXT) | instid1(VALU_DEP_1)
	v_mul_f32_e32 v82, v83, v81
	v_fma_f32 v84, -v75, v82, v83
	s_delay_alu instid0(VALU_DEP_1) | instskip(NEXT) | instid1(VALU_DEP_1)
	v_fmac_f32_e32 v82, v84, v81
	v_fma_f32 v75, -v75, v82, v83
	s_delay_alu instid0(VALU_DEP_1) | instskip(NEXT) | instid1(VALU_DEP_1)
	v_div_fmas_f32 v75, v75, v81, v82
	v_div_fixup_f32 v75, v75, v72, v73
	s_delay_alu instid0(VALU_DEP_1) | instskip(NEXT) | instid1(VALU_DEP_1)
	v_fmac_f32_e32 v72, v73, v75
	v_div_scale_f32 v73, null, v72, v72, 1.0
	s_delay_alu instid0(VALU_DEP_1) | instskip(SKIP_1) | instid1(TRANS32_DEP_1)
	v_rcp_f32_e32 v81, v73
	v_nop
	v_fma_f32 v82, -v73, v81, 1.0
	s_delay_alu instid0(VALU_DEP_1) | instskip(SKIP_1) | instid1(VALU_DEP_1)
	v_fmac_f32_e32 v81, v82, v81
	v_div_scale_f32 v82, vcc_lo, 1.0, v72, 1.0
	v_mul_f32_e32 v83, v82, v81
	s_delay_alu instid0(VALU_DEP_1) | instskip(NEXT) | instid1(VALU_DEP_1)
	v_fma_f32 v84, -v73, v83, v82
	v_fmac_f32_e32 v83, v84, v81
	s_delay_alu instid0(VALU_DEP_1) | instskip(NEXT) | instid1(VALU_DEP_1)
	v_fma_f32 v73, -v73, v83, v82
	v_div_fmas_f32 v73, v73, v81, v83
	s_delay_alu instid0(VALU_DEP_1) | instskip(NEXT) | instid1(VALU_DEP_1)
	v_div_fixup_f32 v72, v73, v72, 1.0
	v_mul_f32_e64 v73, v75, -v72
.LBB64_429:
	s_or_b32 exec_lo, exec_lo, s1
.LBB64_430:
	s_delay_alu instid0(SALU_CYCLE_1) | instskip(NEXT) | instid1(SALU_CYCLE_1)
	s_or_b32 exec_lo, exec_lo, s0
	s_mov_b32 s0, exec_lo
	v_cmpx_ne_u32_e64 v80, v74
	s_xor_b32 s0, exec_lo, s0
	s_cbranch_execz .LBB64_436
; %bb.431:
	s_mov_b32 s1, exec_lo
	v_cmpx_eq_u32_e32 20, v80
	s_cbranch_execz .LBB64_435
; %bb.432:
	v_cmp_ne_u32_e32 vcc_lo, 20, v74
	s_xor_b32 s12, s16, -1
	s_delay_alu instid0(SALU_CYCLE_1) | instskip(NEXT) | instid1(SALU_CYCLE_1)
	s_and_b32 s13, s12, vcc_lo
	s_and_saveexec_b32 s12, s13
	s_cbranch_execz .LBB64_434
; %bb.433:
	v_ashrrev_i32_e32 v75, 31, v74
	s_delay_alu instid0(VALU_DEP_1)
	v_lshl_add_u64 v[80:81], v[74:75], 2, v[4:5]
	s_clause 0x1
	global_load_b32 v75, v[80:81], off
	global_load_b32 v79, v[4:5], off offset:80
	s_wait_loadcnt 0x1
	global_store_b32 v[4:5], v75, off offset:80
	s_wait_loadcnt 0x0
	global_store_b32 v[80:81], v79, off
.LBB64_434:
	s_wait_xcnt 0x0
	s_or_b32 exec_lo, exec_lo, s12
	v_dual_mov_b32 v80, v74 :: v_dual_mov_b32 v79, v74
.LBB64_435:
	s_or_b32 exec_lo, exec_lo, s1
.LBB64_436:
	s_and_not1_saveexec_b32 s0, s0
	s_cbranch_execz .LBB64_438
; %bb.437:
	v_mov_b32_e32 v80, 20
	ds_store_2addr_b64 v76, v[46:47], v[48:49] offset0:21 offset1:22
	ds_store_2addr_b64 v76, v[44:45], v[26:27] offset0:23 offset1:24
	;; [unrolled: 1-line block ×6, first 2 shown]
.LBB64_438:
	s_or_b32 exec_lo, exec_lo, s0
	s_delay_alu instid0(SALU_CYCLE_1)
	s_mov_b32 s0, exec_lo
	s_wait_storecnt_dscnt 0x0
	s_barrier_signal -1
	s_barrier_wait -1
	v_cmpx_lt_i32_e32 20, v80
	s_cbranch_execz .LBB64_440
; %bb.439:
	v_pk_mul_f32 v[74:75], v[72:73], v[50:51] op_sel:[1,1] op_sel_hi:[0,1]
	s_delay_alu instid0(VALU_DEP_1)
	v_pk_fma_f32 v[82:83], v[72:73], v[50:51], v[74:75] op_sel_hi:[1,0,1] neg_lo:[0,0,1] neg_hi:[0,0,1]
	v_pk_fma_f32 v[84:85], v[72:73], v[50:51], v[74:75] op_sel_hi:[1,0,1]
	ds_load_2addr_b64 v[72:75], v76 offset0:21 offset1:22
	v_dual_mov_b32 v50, v82 :: v_dual_mov_b32 v51, v85
	s_wait_dscnt 0x0
	v_pk_mul_f32 v[86:87], v[72:73], v[84:85] op_sel:[0,1]
	s_delay_alu instid0(VALU_DEP_1) | instskip(SKIP_1) | instid1(VALU_DEP_1)
	v_pk_fma_f32 v[88:89], v[72:73], v[82:83], v[86:87] op_sel:[0,0,1] op_sel_hi:[1,1,0] neg_lo:[0,0,1] neg_hi:[0,0,1]
	v_pk_fma_f32 v[72:73], v[72:73], v[82:83], v[86:87] op_sel:[0,0,1] op_sel_hi:[1,0,0]
	v_mov_b32_e32 v89, v73
	v_pk_mul_f32 v[72:73], v[74:75], v[84:85] op_sel:[0,1]
	s_delay_alu instid0(VALU_DEP_1) | instskip(SKIP_1) | instid1(VALU_DEP_1)
	v_pk_fma_f32 v[86:87], v[74:75], v[82:83], v[72:73] op_sel:[0,0,1] op_sel_hi:[1,1,0] neg_lo:[0,0,1] neg_hi:[0,0,1]
	v_pk_fma_f32 v[72:73], v[74:75], v[82:83], v[72:73] op_sel:[0,0,1] op_sel_hi:[1,0,0]
	v_mov_b32_e32 v87, v73
	ds_load_2addr_b64 v[72:75], v76 offset0:23 offset1:24
	v_pk_add_f32 v[46:47], v[46:47], v[88:89] neg_lo:[0,1] neg_hi:[0,1]
	v_pk_add_f32 v[48:49], v[48:49], v[86:87] neg_lo:[0,1] neg_hi:[0,1]
	s_wait_dscnt 0x0
	v_pk_mul_f32 v[86:87], v[72:73], v[84:85] op_sel:[0,1]
	s_delay_alu instid0(VALU_DEP_1) | instskip(SKIP_2) | instid1(VALU_DEP_2)
	v_pk_fma_f32 v[88:89], v[72:73], v[82:83], v[86:87] op_sel:[0,0,1] op_sel_hi:[1,1,0] neg_lo:[0,0,1] neg_hi:[0,0,1]
	v_pk_fma_f32 v[72:73], v[72:73], v[82:83], v[86:87] op_sel:[0,0,1] op_sel_hi:[1,0,0]
	v_dual_mul_f32 v86, v75, v85 :: v_dual_mov_b32 v72, v75
	v_dual_mov_b32 v89, v73 :: v_dual_mov_b32 v73, v74
	s_delay_alu instid0(VALU_DEP_2) | instskip(SKIP_1) | instid1(VALU_DEP_3)
	v_pk_fma_f32 v[86:87], v[74:75], v[50:51], v[86:87] op_sel_hi:[1,1,0] neg_lo:[0,0,1] neg_hi:[0,0,1]
	v_mul_f32_e32 v74, v75, v82
	v_pk_add_f32 v[44:45], v[44:45], v[88:89] neg_lo:[0,1] neg_hi:[0,1]
	s_delay_alu instid0(VALU_DEP_2) | instskip(NEXT) | instid1(VALU_DEP_1)
	v_pk_fma_f32 v[72:73], v[72:73], v[50:51], v[74:75] op_sel_hi:[1,1,0]
	v_mov_b32_e32 v87, v73
	ds_load_2addr_b64 v[72:75], v76 offset0:25 offset1:26
	v_pk_add_f32 v[26:27], v[26:27], v[86:87] neg_lo:[0,1] neg_hi:[0,1]
	s_wait_dscnt 0x0
	v_pk_mul_f32 v[86:87], v[72:73], v[84:85] op_sel:[0,1]
	s_delay_alu instid0(VALU_DEP_1) | instskip(SKIP_1) | instid1(VALU_DEP_1)
	v_pk_fma_f32 v[88:89], v[72:73], v[82:83], v[86:87] op_sel:[0,0,1] op_sel_hi:[1,1,0] neg_lo:[0,0,1] neg_hi:[0,0,1]
	v_pk_fma_f32 v[72:73], v[72:73], v[82:83], v[86:87] op_sel:[0,0,1] op_sel_hi:[1,0,0]
	v_mov_b32_e32 v89, v73
	v_pk_mul_f32 v[72:73], v[74:75], v[84:85] op_sel:[0,1]
	s_delay_alu instid0(VALU_DEP_1) | instskip(SKIP_1) | instid1(VALU_DEP_1)
	v_pk_fma_f32 v[86:87], v[74:75], v[82:83], v[72:73] op_sel:[0,0,1] op_sel_hi:[1,1,0] neg_lo:[0,0,1] neg_hi:[0,0,1]
	v_pk_fma_f32 v[72:73], v[74:75], v[82:83], v[72:73] op_sel:[0,0,1] op_sel_hi:[1,0,0]
	v_mov_b32_e32 v87, v73
	ds_load_2addr_b64 v[72:75], v76 offset0:27 offset1:28
	v_pk_add_f32 v[18:19], v[18:19], v[88:89] neg_lo:[0,1] neg_hi:[0,1]
	v_pk_add_f32 v[24:25], v[24:25], v[86:87] neg_lo:[0,1] neg_hi:[0,1]
	s_wait_dscnt 0x0
	v_pk_mul_f32 v[86:87], v[72:73], v[84:85] op_sel:[0,1]
	s_delay_alu instid0(VALU_DEP_1) | instskip(SKIP_1) | instid1(VALU_DEP_1)
	v_pk_fma_f32 v[88:89], v[72:73], v[82:83], v[86:87] op_sel:[0,0,1] op_sel_hi:[1,1,0] neg_lo:[0,0,1] neg_hi:[0,0,1]
	v_pk_fma_f32 v[72:73], v[72:73], v[82:83], v[86:87] op_sel:[0,0,1] op_sel_hi:[1,0,0]
	v_mov_b32_e32 v89, v73
	v_pk_mul_f32 v[72:73], v[74:75], v[84:85] op_sel:[0,1]
	s_delay_alu instid0(VALU_DEP_1) | instskip(SKIP_1) | instid1(VALU_DEP_1)
	v_pk_fma_f32 v[86:87], v[74:75], v[82:83], v[72:73] op_sel:[0,0,1] op_sel_hi:[1,1,0] neg_lo:[0,0,1] neg_hi:[0,0,1]
	v_pk_fma_f32 v[72:73], v[74:75], v[82:83], v[72:73] op_sel:[0,0,1] op_sel_hi:[1,0,0]
	v_mov_b32_e32 v87, v73
	ds_load_2addr_b64 v[72:75], v76 offset0:29 offset1:30
	v_pk_add_f32 v[16:17], v[16:17], v[88:89] neg_lo:[0,1] neg_hi:[0,1]
	v_pk_add_f32 v[6:7], v[6:7], v[86:87] neg_lo:[0,1] neg_hi:[0,1]
	s_wait_dscnt 0x0
	v_dual_mul_f32 v86, v73, v85 :: v_dual_mul_f32 v88, v73, v82
	s_delay_alu instid0(VALU_DEP_1) | instskip(NEXT) | instid1(VALU_DEP_2)
	v_pk_fma_f32 v[86:87], v[72:73], v[50:51], v[86:87] op_sel_hi:[1,1,0] neg_lo:[0,0,1] neg_hi:[0,0,1]
	v_pk_fma_f32 v[72:73], v[72:73], v[50:51], v[88:89] op_sel:[1,0,0] op_sel_hi:[0,1,0]
	s_delay_alu instid0(VALU_DEP_1) | instskip(SKIP_1) | instid1(VALU_DEP_2)
	v_mov_b32_e32 v87, v73
	v_pk_mul_f32 v[72:73], v[74:75], v[84:85] op_sel:[0,1]
	v_pk_add_f32 v[52:53], v[52:53], v[86:87] neg_lo:[0,1] neg_hi:[0,1]
	s_delay_alu instid0(VALU_DEP_2) | instskip(SKIP_1) | instid1(VALU_DEP_1)
	v_pk_fma_f32 v[86:87], v[74:75], v[82:83], v[72:73] op_sel:[0,0,1] op_sel_hi:[1,1,0] neg_lo:[0,0,1] neg_hi:[0,0,1]
	v_pk_fma_f32 v[72:73], v[74:75], v[82:83], v[72:73] op_sel:[0,0,1] op_sel_hi:[1,0,0]
	v_mov_b32_e32 v87, v73
	ds_load_2addr_b64 v[72:75], v76 offset0:31 offset1:32
	v_pk_add_f32 v[42:43], v[42:43], v[86:87] neg_lo:[0,1] neg_hi:[0,1]
	s_wait_dscnt 0x0
	v_pk_mul_f32 v[86:87], v[72:73], v[84:85] op_sel:[0,1]
	v_mul_f32_e32 v84, v75, v85
	s_delay_alu instid0(VALU_DEP_2) | instskip(SKIP_2) | instid1(VALU_DEP_4)
	v_pk_fma_f32 v[88:89], v[72:73], v[82:83], v[86:87] op_sel:[0,0,1] op_sel_hi:[1,1,0] neg_lo:[0,0,1] neg_hi:[0,0,1]
	v_pk_fma_f32 v[72:73], v[72:73], v[82:83], v[86:87] op_sel:[0,0,1] op_sel_hi:[1,0,0]
	v_mov_b32_e32 v72, v75
	v_pk_fma_f32 v[84:85], v[74:75], v[50:51], v[84:85] op_sel_hi:[1,1,0] neg_lo:[0,0,1] neg_hi:[0,0,1]
	s_delay_alu instid0(VALU_DEP_3) | instskip(SKIP_1) | instid1(VALU_DEP_2)
	v_dual_mov_b32 v89, v73 :: v_dual_mov_b32 v73, v74
	v_mul_f32_e32 v74, v75, v82
	v_pk_add_f32 v[32:33], v[32:33], v[88:89] neg_lo:[0,1] neg_hi:[0,1]
	s_delay_alu instid0(VALU_DEP_2) | instskip(NEXT) | instid1(VALU_DEP_1)
	v_pk_fma_f32 v[72:73], v[72:73], v[50:51], v[74:75] op_sel_hi:[1,1,0]
	v_mov_b32_e32 v85, v73
	s_delay_alu instid0(VALU_DEP_1)
	v_pk_add_f32 v[70:71], v[70:71], v[84:85] neg_lo:[0,1] neg_hi:[0,1]
.LBB64_440:
	s_or_b32 exec_lo, exec_lo, s0
	v_lshl_add_u32 v72, v80, 3, v76
	s_barrier_signal -1
	s_barrier_wait -1
	ds_store_b64 v72, v[46:47]
	s_wait_dscnt 0x0
	s_barrier_signal -1
	s_barrier_wait -1
	ds_load_b64 v[72:73], v76 offset:168
	v_mov_b32_e32 v74, 21
	s_cmp_lt_i32 s18, 23
	s_cbranch_scc1 .LBB64_443
; %bb.441:
	v_add3_u32 v75, v77, 0, 0xb0
	v_mov_b32_e32 v74, 21
	s_mov_b32 s0, 22
.LBB64_442:                             ; =>This Inner Loop Header: Depth=1
	ds_load_b64 v[82:83], v75
	s_wait_dscnt 0x1
	v_cmp_gt_f32_e32 vcc_lo, 0, v72
	v_cndmask_b32_e64 v84, v72, -v72, vcc_lo
	v_cmp_gt_f32_e32 vcc_lo, 0, v73
	v_cndmask_b32_e64 v86, v73, -v73, vcc_lo
	s_wait_dscnt 0x0
	v_cmp_gt_f32_e32 vcc_lo, 0, v82
	v_cndmask_b32_e64 v85, v82, -v82, vcc_lo
	v_cmp_gt_f32_e32 vcc_lo, 0, v83
	v_cndmask_b32_e64 v87, v83, -v83, vcc_lo
	s_delay_alu instid0(VALU_DEP_1) | instskip(NEXT) | instid1(VALU_DEP_1)
	v_pk_add_f32 v[84:85], v[84:85], v[86:87]
	v_cmp_lt_f32_e32 vcc_lo, v84, v85
	v_dual_cndmask_b32 v72, v72, v82 :: v_dual_add_nc_u32 v75, 8, v75
	v_cndmask_b32_e32 v73, v73, v83, vcc_lo
	v_cndmask_b32_e64 v74, v74, s0, vcc_lo
	s_add_co_i32 s0, s0, 1
	s_delay_alu instid0(SALU_CYCLE_1)
	s_cmp_lg_u32 s18, s0
	s_cbranch_scc1 .LBB64_442
.LBB64_443:
	s_wait_dscnt 0x0
	v_cmp_eq_f32_e32 vcc_lo, 0, v72
	v_cmp_eq_f32_e64 s0, 0, v73
	s_and_b32 s0, vcc_lo, s0
	s_delay_alu instid0(SALU_CYCLE_1) | instskip(NEXT) | instid1(SALU_CYCLE_1)
	s_and_saveexec_b32 s1, s0
	s_xor_b32 s0, exec_lo, s1
; %bb.444:
	v_cmp_ne_u32_e32 vcc_lo, 0, v78
	v_cndmask_b32_e32 v78, 22, v78, vcc_lo
; %bb.445:
	s_and_not1_saveexec_b32 s0, s0
	s_cbranch_execz .LBB64_451
; %bb.446:
	v_cmp_ngt_f32_e64 s1, |v72|, |v73|
	s_and_saveexec_b32 s12, s1
	s_delay_alu instid0(SALU_CYCLE_1)
	s_xor_b32 s1, exec_lo, s12
	s_cbranch_execz .LBB64_448
; %bb.447:
	v_div_scale_f32 v75, null, v73, v73, v72
	v_div_scale_f32 v83, vcc_lo, v72, v73, v72
	s_delay_alu instid0(VALU_DEP_2) | instskip(SKIP_1) | instid1(TRANS32_DEP_1)
	v_rcp_f32_e32 v81, v75
	v_nop
	v_fma_f32 v82, -v75, v81, 1.0
	s_delay_alu instid0(VALU_DEP_1) | instskip(NEXT) | instid1(VALU_DEP_1)
	v_fmac_f32_e32 v81, v82, v81
	v_mul_f32_e32 v82, v83, v81
	s_delay_alu instid0(VALU_DEP_1) | instskip(NEXT) | instid1(VALU_DEP_1)
	v_fma_f32 v84, -v75, v82, v83
	v_fmac_f32_e32 v82, v84, v81
	s_delay_alu instid0(VALU_DEP_1) | instskip(NEXT) | instid1(VALU_DEP_1)
	v_fma_f32 v75, -v75, v82, v83
	v_div_fmas_f32 v75, v75, v81, v82
	s_delay_alu instid0(VALU_DEP_1) | instskip(NEXT) | instid1(VALU_DEP_1)
	v_div_fixup_f32 v75, v75, v73, v72
	v_fmac_f32_e32 v73, v72, v75
	s_delay_alu instid0(VALU_DEP_1) | instskip(SKIP_1) | instid1(VALU_DEP_2)
	v_div_scale_f32 v72, null, v73, v73, 1.0
	v_div_scale_f32 v83, vcc_lo, 1.0, v73, 1.0
	v_rcp_f32_e32 v81, v72
	v_nop
	s_delay_alu instid0(TRANS32_DEP_1) | instskip(NEXT) | instid1(VALU_DEP_1)
	v_fma_f32 v82, -v72, v81, 1.0
	v_fmac_f32_e32 v81, v82, v81
	s_delay_alu instid0(VALU_DEP_1) | instskip(NEXT) | instid1(VALU_DEP_1)
	v_mul_f32_e32 v82, v83, v81
	v_fma_f32 v84, -v72, v82, v83
	s_delay_alu instid0(VALU_DEP_1) | instskip(NEXT) | instid1(VALU_DEP_1)
	v_fmac_f32_e32 v82, v84, v81
	v_fma_f32 v72, -v72, v82, v83
	s_delay_alu instid0(VALU_DEP_1) | instskip(NEXT) | instid1(VALU_DEP_1)
	v_div_fmas_f32 v72, v72, v81, v82
	v_div_fixup_f32 v73, v72, v73, 1.0
	s_delay_alu instid0(VALU_DEP_1)
	v_mul_f32_e32 v72, v75, v73
	v_xor_b32_e32 v73, 0x80000000, v73
.LBB64_448:
	s_and_not1_saveexec_b32 s1, s1
	s_cbranch_execz .LBB64_450
; %bb.449:
	s_delay_alu instid0(VALU_DEP_1) | instskip(SKIP_1) | instid1(VALU_DEP_2)
	v_div_scale_f32 v75, null, v72, v72, v73
	v_div_scale_f32 v83, vcc_lo, v73, v72, v73
	v_rcp_f32_e32 v81, v75
	v_nop
	s_delay_alu instid0(TRANS32_DEP_1) | instskip(NEXT) | instid1(VALU_DEP_1)
	v_fma_f32 v82, -v75, v81, 1.0
	v_fmac_f32_e32 v81, v82, v81
	s_delay_alu instid0(VALU_DEP_1) | instskip(NEXT) | instid1(VALU_DEP_1)
	v_mul_f32_e32 v82, v83, v81
	v_fma_f32 v84, -v75, v82, v83
	s_delay_alu instid0(VALU_DEP_1) | instskip(NEXT) | instid1(VALU_DEP_1)
	v_fmac_f32_e32 v82, v84, v81
	v_fma_f32 v75, -v75, v82, v83
	s_delay_alu instid0(VALU_DEP_1) | instskip(NEXT) | instid1(VALU_DEP_1)
	v_div_fmas_f32 v75, v75, v81, v82
	v_div_fixup_f32 v75, v75, v72, v73
	s_delay_alu instid0(VALU_DEP_1) | instskip(NEXT) | instid1(VALU_DEP_1)
	v_fmac_f32_e32 v72, v73, v75
	v_div_scale_f32 v73, null, v72, v72, 1.0
	s_delay_alu instid0(VALU_DEP_1) | instskip(SKIP_1) | instid1(TRANS32_DEP_1)
	v_rcp_f32_e32 v81, v73
	v_nop
	v_fma_f32 v82, -v73, v81, 1.0
	s_delay_alu instid0(VALU_DEP_1) | instskip(SKIP_1) | instid1(VALU_DEP_1)
	v_fmac_f32_e32 v81, v82, v81
	v_div_scale_f32 v82, vcc_lo, 1.0, v72, 1.0
	v_mul_f32_e32 v83, v82, v81
	s_delay_alu instid0(VALU_DEP_1) | instskip(NEXT) | instid1(VALU_DEP_1)
	v_fma_f32 v84, -v73, v83, v82
	v_fmac_f32_e32 v83, v84, v81
	s_delay_alu instid0(VALU_DEP_1) | instskip(NEXT) | instid1(VALU_DEP_1)
	v_fma_f32 v73, -v73, v83, v82
	v_div_fmas_f32 v73, v73, v81, v83
	s_delay_alu instid0(VALU_DEP_1) | instskip(NEXT) | instid1(VALU_DEP_1)
	v_div_fixup_f32 v72, v73, v72, 1.0
	v_mul_f32_e64 v73, v75, -v72
.LBB64_450:
	s_or_b32 exec_lo, exec_lo, s1
.LBB64_451:
	s_delay_alu instid0(SALU_CYCLE_1) | instskip(NEXT) | instid1(SALU_CYCLE_1)
	s_or_b32 exec_lo, exec_lo, s0
	s_mov_b32 s0, exec_lo
	v_cmpx_ne_u32_e64 v80, v74
	s_xor_b32 s0, exec_lo, s0
	s_cbranch_execz .LBB64_457
; %bb.452:
	s_mov_b32 s1, exec_lo
	v_cmpx_eq_u32_e32 21, v80
	s_cbranch_execz .LBB64_456
; %bb.453:
	v_cmp_ne_u32_e32 vcc_lo, 21, v74
	s_xor_b32 s12, s16, -1
	s_delay_alu instid0(SALU_CYCLE_1) | instskip(NEXT) | instid1(SALU_CYCLE_1)
	s_and_b32 s13, s12, vcc_lo
	s_and_saveexec_b32 s12, s13
	s_cbranch_execz .LBB64_455
; %bb.454:
	v_ashrrev_i32_e32 v75, 31, v74
	s_delay_alu instid0(VALU_DEP_1)
	v_lshl_add_u64 v[80:81], v[74:75], 2, v[4:5]
	s_clause 0x1
	global_load_b32 v75, v[80:81], off
	global_load_b32 v79, v[4:5], off offset:84
	s_wait_loadcnt 0x1
	global_store_b32 v[4:5], v75, off offset:84
	s_wait_loadcnt 0x0
	global_store_b32 v[80:81], v79, off
.LBB64_455:
	s_wait_xcnt 0x0
	s_or_b32 exec_lo, exec_lo, s12
	v_dual_mov_b32 v80, v74 :: v_dual_mov_b32 v79, v74
.LBB64_456:
	s_or_b32 exec_lo, exec_lo, s1
.LBB64_457:
	s_and_not1_saveexec_b32 s0, s0
	s_cbranch_execz .LBB64_459
; %bb.458:
	v_dual_mov_b32 v74, v48 :: v_dual_mov_b32 v75, v49
	v_dual_mov_b32 v80, v44 :: v_dual_mov_b32 v81, v45
	ds_store_2addr_b64 v76, v[74:75], v[80:81] offset0:22 offset1:23
	v_dual_mov_b32 v74, v26 :: v_dual_mov_b32 v75, v27
	v_dual_mov_b32 v80, v18 :: v_dual_mov_b32 v81, v19
	ds_store_2addr_b64 v76, v[74:75], v[80:81] offset0:24 offset1:25
	;; [unrolled: 3-line block ×5, first 2 shown]
	ds_store_b64 v76, v[70:71] offset:256
	v_mov_b32_e32 v80, 21
.LBB64_459:
	s_or_b32 exec_lo, exec_lo, s0
	s_delay_alu instid0(SALU_CYCLE_1)
	s_mov_b32 s0, exec_lo
	s_wait_storecnt_dscnt 0x0
	s_barrier_signal -1
	s_barrier_wait -1
	v_cmpx_lt_i32_e32 21, v80
	s_cbranch_execz .LBB64_461
; %bb.460:
	v_pk_mul_f32 v[74:75], v[72:73], v[46:47] op_sel:[1,1] op_sel_hi:[0,1]
	s_delay_alu instid0(VALU_DEP_1)
	v_pk_fma_f32 v[82:83], v[72:73], v[46:47], v[74:75] op_sel_hi:[1,0,1] neg_lo:[0,0,1] neg_hi:[0,0,1]
	v_pk_fma_f32 v[84:85], v[72:73], v[46:47], v[74:75] op_sel_hi:[1,0,1]
	ds_load_2addr_b64 v[72:75], v76 offset0:22 offset1:23
	v_dual_mov_b32 v46, v82 :: v_dual_mov_b32 v47, v85
	s_wait_dscnt 0x0
	v_pk_mul_f32 v[86:87], v[72:73], v[84:85] op_sel:[0,1]
	s_delay_alu instid0(VALU_DEP_1) | instskip(SKIP_1) | instid1(VALU_DEP_1)
	v_pk_fma_f32 v[88:89], v[72:73], v[82:83], v[86:87] op_sel:[0,0,1] op_sel_hi:[1,1,0] neg_lo:[0,0,1] neg_hi:[0,0,1]
	v_pk_fma_f32 v[72:73], v[72:73], v[82:83], v[86:87] op_sel:[0,0,1] op_sel_hi:[1,0,0]
	v_mov_b32_e32 v89, v73
	v_pk_mul_f32 v[72:73], v[74:75], v[84:85] op_sel:[0,1]
	s_delay_alu instid0(VALU_DEP_1) | instskip(SKIP_1) | instid1(VALU_DEP_1)
	v_pk_fma_f32 v[86:87], v[74:75], v[82:83], v[72:73] op_sel:[0,0,1] op_sel_hi:[1,1,0] neg_lo:[0,0,1] neg_hi:[0,0,1]
	v_pk_fma_f32 v[72:73], v[74:75], v[82:83], v[72:73] op_sel:[0,0,1] op_sel_hi:[1,0,0]
	v_mov_b32_e32 v87, v73
	ds_load_2addr_b64 v[72:75], v76 offset0:24 offset1:25
	v_pk_add_f32 v[48:49], v[48:49], v[88:89] neg_lo:[0,1] neg_hi:[0,1]
	v_pk_add_f32 v[44:45], v[44:45], v[86:87] neg_lo:[0,1] neg_hi:[0,1]
	s_wait_dscnt 0x0
	v_pk_mul_f32 v[86:87], v[72:73], v[84:85] op_sel:[0,1]
	s_delay_alu instid0(VALU_DEP_1) | instskip(SKIP_2) | instid1(VALU_DEP_2)
	v_pk_fma_f32 v[88:89], v[72:73], v[82:83], v[86:87] op_sel:[0,0,1] op_sel_hi:[1,1,0] neg_lo:[0,0,1] neg_hi:[0,0,1]
	v_pk_fma_f32 v[72:73], v[72:73], v[82:83], v[86:87] op_sel:[0,0,1] op_sel_hi:[1,0,0]
	v_dual_mul_f32 v86, v75, v85 :: v_dual_mov_b32 v72, v75
	v_dual_mov_b32 v89, v73 :: v_dual_mov_b32 v73, v74
	s_delay_alu instid0(VALU_DEP_2) | instskip(SKIP_1) | instid1(VALU_DEP_3)
	v_pk_fma_f32 v[86:87], v[74:75], v[46:47], v[86:87] op_sel_hi:[1,1,0] neg_lo:[0,0,1] neg_hi:[0,0,1]
	v_mul_f32_e32 v74, v75, v82
	v_pk_add_f32 v[26:27], v[26:27], v[88:89] neg_lo:[0,1] neg_hi:[0,1]
	s_delay_alu instid0(VALU_DEP_2) | instskip(NEXT) | instid1(VALU_DEP_1)
	v_pk_fma_f32 v[72:73], v[72:73], v[46:47], v[74:75] op_sel_hi:[1,1,0]
	v_mov_b32_e32 v87, v73
	ds_load_2addr_b64 v[72:75], v76 offset0:26 offset1:27
	v_pk_add_f32 v[18:19], v[18:19], v[86:87] neg_lo:[0,1] neg_hi:[0,1]
	s_wait_dscnt 0x0
	v_pk_mul_f32 v[86:87], v[72:73], v[84:85] op_sel:[0,1]
	s_delay_alu instid0(VALU_DEP_1) | instskip(SKIP_1) | instid1(VALU_DEP_1)
	v_pk_fma_f32 v[88:89], v[72:73], v[82:83], v[86:87] op_sel:[0,0,1] op_sel_hi:[1,1,0] neg_lo:[0,0,1] neg_hi:[0,0,1]
	v_pk_fma_f32 v[72:73], v[72:73], v[82:83], v[86:87] op_sel:[0,0,1] op_sel_hi:[1,0,0]
	v_mov_b32_e32 v89, v73
	v_pk_mul_f32 v[72:73], v[74:75], v[84:85] op_sel:[0,1]
	s_delay_alu instid0(VALU_DEP_1) | instskip(SKIP_1) | instid1(VALU_DEP_1)
	v_pk_fma_f32 v[86:87], v[74:75], v[82:83], v[72:73] op_sel:[0,0,1] op_sel_hi:[1,1,0] neg_lo:[0,0,1] neg_hi:[0,0,1]
	v_pk_fma_f32 v[72:73], v[74:75], v[82:83], v[72:73] op_sel:[0,0,1] op_sel_hi:[1,0,0]
	v_mov_b32_e32 v87, v73
	ds_load_2addr_b64 v[72:75], v76 offset0:28 offset1:29
	v_pk_add_f32 v[24:25], v[24:25], v[88:89] neg_lo:[0,1] neg_hi:[0,1]
	v_pk_add_f32 v[16:17], v[16:17], v[86:87] neg_lo:[0,1] neg_hi:[0,1]
	s_wait_dscnt 0x0
	v_pk_mul_f32 v[86:87], v[72:73], v[84:85] op_sel:[0,1]
	s_delay_alu instid0(VALU_DEP_1) | instskip(SKIP_1) | instid1(VALU_DEP_1)
	v_pk_fma_f32 v[88:89], v[72:73], v[82:83], v[86:87] op_sel:[0,0,1] op_sel_hi:[1,1,0] neg_lo:[0,0,1] neg_hi:[0,0,1]
	v_pk_fma_f32 v[72:73], v[72:73], v[82:83], v[86:87] op_sel:[0,0,1] op_sel_hi:[1,0,0]
	v_mov_b32_e32 v89, v73
	v_pk_mul_f32 v[72:73], v[74:75], v[84:85] op_sel:[0,1]
	s_delay_alu instid0(VALU_DEP_1) | instskip(SKIP_1) | instid1(VALU_DEP_1)
	v_pk_fma_f32 v[86:87], v[74:75], v[82:83], v[72:73] op_sel:[0,0,1] op_sel_hi:[1,1,0] neg_lo:[0,0,1] neg_hi:[0,0,1]
	v_pk_fma_f32 v[72:73], v[74:75], v[82:83], v[72:73] op_sel:[0,0,1] op_sel_hi:[1,0,0]
	v_mov_b32_e32 v87, v73
	ds_load_2addr_b64 v[72:75], v76 offset0:30 offset1:31
	v_pk_add_f32 v[6:7], v[6:7], v[88:89] neg_lo:[0,1] neg_hi:[0,1]
	v_pk_add_f32 v[52:53], v[52:53], v[86:87] neg_lo:[0,1] neg_hi:[0,1]
	s_wait_dscnt 0x0
	v_dual_mul_f32 v86, v73, v85 :: v_dual_mul_f32 v88, v73, v82
	s_delay_alu instid0(VALU_DEP_1) | instskip(NEXT) | instid1(VALU_DEP_2)
	v_pk_fma_f32 v[86:87], v[72:73], v[46:47], v[86:87] op_sel_hi:[1,1,0] neg_lo:[0,0,1] neg_hi:[0,0,1]
	v_pk_fma_f32 v[72:73], v[72:73], v[46:47], v[88:89] op_sel:[1,0,0] op_sel_hi:[0,1,0]
	s_delay_alu instid0(VALU_DEP_1) | instskip(SKIP_1) | instid1(VALU_DEP_2)
	v_mov_b32_e32 v87, v73
	v_pk_mul_f32 v[72:73], v[74:75], v[84:85] op_sel:[0,1]
	v_pk_add_f32 v[42:43], v[42:43], v[86:87] neg_lo:[0,1] neg_hi:[0,1]
	s_delay_alu instid0(VALU_DEP_2) | instskip(SKIP_1) | instid1(VALU_DEP_1)
	v_pk_fma_f32 v[86:87], v[74:75], v[82:83], v[72:73] op_sel:[0,0,1] op_sel_hi:[1,1,0] neg_lo:[0,0,1] neg_hi:[0,0,1]
	v_pk_fma_f32 v[72:73], v[74:75], v[82:83], v[72:73] op_sel:[0,0,1] op_sel_hi:[1,0,0]
	v_mov_b32_e32 v87, v73
	ds_load_b64 v[72:73], v76 offset:256
	v_pk_add_f32 v[32:33], v[32:33], v[86:87] neg_lo:[0,1] neg_hi:[0,1]
	s_wait_dscnt 0x0
	v_pk_mul_f32 v[74:75], v[72:73], v[84:85] op_sel:[0,1]
	s_delay_alu instid0(VALU_DEP_1) | instskip(SKIP_1) | instid1(VALU_DEP_1)
	v_pk_fma_f32 v[84:85], v[72:73], v[82:83], v[74:75] op_sel:[0,0,1] op_sel_hi:[1,1,0] neg_lo:[0,0,1] neg_hi:[0,0,1]
	v_pk_fma_f32 v[72:73], v[72:73], v[82:83], v[74:75] op_sel:[0,0,1] op_sel_hi:[1,0,0]
	v_mov_b32_e32 v85, v73
	s_delay_alu instid0(VALU_DEP_1)
	v_pk_add_f32 v[70:71], v[70:71], v[84:85] neg_lo:[0,1] neg_hi:[0,1]
.LBB64_461:
	s_or_b32 exec_lo, exec_lo, s0
	v_lshl_add_u32 v72, v80, 3, v76
	s_barrier_signal -1
	s_barrier_wait -1
	ds_store_b64 v72, v[48:49]
	s_wait_dscnt 0x0
	s_barrier_signal -1
	s_barrier_wait -1
	ds_load_b64 v[72:73], v76 offset:176
	v_mov_b32_e32 v74, 22
	s_cmp_lt_i32 s18, 24
	s_cbranch_scc1 .LBB64_464
; %bb.462:
	v_add3_u32 v75, v77, 0, 0xb8
	v_mov_b32_e32 v74, 22
	s_mov_b32 s0, 23
.LBB64_463:                             ; =>This Inner Loop Header: Depth=1
	ds_load_b64 v[82:83], v75
	s_wait_dscnt 0x1
	v_cmp_gt_f32_e32 vcc_lo, 0, v72
	v_cndmask_b32_e64 v84, v72, -v72, vcc_lo
	v_cmp_gt_f32_e32 vcc_lo, 0, v73
	v_cndmask_b32_e64 v86, v73, -v73, vcc_lo
	s_wait_dscnt 0x0
	v_cmp_gt_f32_e32 vcc_lo, 0, v82
	v_cndmask_b32_e64 v85, v82, -v82, vcc_lo
	v_cmp_gt_f32_e32 vcc_lo, 0, v83
	v_cndmask_b32_e64 v87, v83, -v83, vcc_lo
	s_delay_alu instid0(VALU_DEP_1) | instskip(NEXT) | instid1(VALU_DEP_1)
	v_pk_add_f32 v[84:85], v[84:85], v[86:87]
	v_cmp_lt_f32_e32 vcc_lo, v84, v85
	v_dual_cndmask_b32 v72, v72, v82 :: v_dual_add_nc_u32 v75, 8, v75
	v_cndmask_b32_e32 v73, v73, v83, vcc_lo
	v_cndmask_b32_e64 v74, v74, s0, vcc_lo
	s_add_co_i32 s0, s0, 1
	s_delay_alu instid0(SALU_CYCLE_1)
	s_cmp_lg_u32 s18, s0
	s_cbranch_scc1 .LBB64_463
.LBB64_464:
	s_wait_dscnt 0x0
	v_cmp_eq_f32_e32 vcc_lo, 0, v72
	v_cmp_eq_f32_e64 s0, 0, v73
	s_and_b32 s0, vcc_lo, s0
	s_delay_alu instid0(SALU_CYCLE_1) | instskip(NEXT) | instid1(SALU_CYCLE_1)
	s_and_saveexec_b32 s1, s0
	s_xor_b32 s0, exec_lo, s1
; %bb.465:
	v_cmp_ne_u32_e32 vcc_lo, 0, v78
	v_cndmask_b32_e32 v78, 23, v78, vcc_lo
; %bb.466:
	s_and_not1_saveexec_b32 s0, s0
	s_cbranch_execz .LBB64_472
; %bb.467:
	v_cmp_ngt_f32_e64 s1, |v72|, |v73|
	s_and_saveexec_b32 s12, s1
	s_delay_alu instid0(SALU_CYCLE_1)
	s_xor_b32 s1, exec_lo, s12
	s_cbranch_execz .LBB64_469
; %bb.468:
	v_div_scale_f32 v75, null, v73, v73, v72
	v_div_scale_f32 v83, vcc_lo, v72, v73, v72
	s_delay_alu instid0(VALU_DEP_2) | instskip(SKIP_1) | instid1(TRANS32_DEP_1)
	v_rcp_f32_e32 v81, v75
	v_nop
	v_fma_f32 v82, -v75, v81, 1.0
	s_delay_alu instid0(VALU_DEP_1) | instskip(NEXT) | instid1(VALU_DEP_1)
	v_fmac_f32_e32 v81, v82, v81
	v_mul_f32_e32 v82, v83, v81
	s_delay_alu instid0(VALU_DEP_1) | instskip(NEXT) | instid1(VALU_DEP_1)
	v_fma_f32 v84, -v75, v82, v83
	v_fmac_f32_e32 v82, v84, v81
	s_delay_alu instid0(VALU_DEP_1) | instskip(NEXT) | instid1(VALU_DEP_1)
	v_fma_f32 v75, -v75, v82, v83
	v_div_fmas_f32 v75, v75, v81, v82
	s_delay_alu instid0(VALU_DEP_1) | instskip(NEXT) | instid1(VALU_DEP_1)
	v_div_fixup_f32 v75, v75, v73, v72
	v_fmac_f32_e32 v73, v72, v75
	s_delay_alu instid0(VALU_DEP_1) | instskip(SKIP_1) | instid1(VALU_DEP_2)
	v_div_scale_f32 v72, null, v73, v73, 1.0
	v_div_scale_f32 v83, vcc_lo, 1.0, v73, 1.0
	v_rcp_f32_e32 v81, v72
	v_nop
	s_delay_alu instid0(TRANS32_DEP_1) | instskip(NEXT) | instid1(VALU_DEP_1)
	v_fma_f32 v82, -v72, v81, 1.0
	v_fmac_f32_e32 v81, v82, v81
	s_delay_alu instid0(VALU_DEP_1) | instskip(NEXT) | instid1(VALU_DEP_1)
	v_mul_f32_e32 v82, v83, v81
	v_fma_f32 v84, -v72, v82, v83
	s_delay_alu instid0(VALU_DEP_1) | instskip(NEXT) | instid1(VALU_DEP_1)
	v_fmac_f32_e32 v82, v84, v81
	v_fma_f32 v72, -v72, v82, v83
	s_delay_alu instid0(VALU_DEP_1) | instskip(NEXT) | instid1(VALU_DEP_1)
	v_div_fmas_f32 v72, v72, v81, v82
	v_div_fixup_f32 v73, v72, v73, 1.0
	s_delay_alu instid0(VALU_DEP_1)
	v_mul_f32_e32 v72, v75, v73
	v_xor_b32_e32 v73, 0x80000000, v73
.LBB64_469:
	s_and_not1_saveexec_b32 s1, s1
	s_cbranch_execz .LBB64_471
; %bb.470:
	s_delay_alu instid0(VALU_DEP_1) | instskip(SKIP_1) | instid1(VALU_DEP_2)
	v_div_scale_f32 v75, null, v72, v72, v73
	v_div_scale_f32 v83, vcc_lo, v73, v72, v73
	v_rcp_f32_e32 v81, v75
	v_nop
	s_delay_alu instid0(TRANS32_DEP_1) | instskip(NEXT) | instid1(VALU_DEP_1)
	v_fma_f32 v82, -v75, v81, 1.0
	v_fmac_f32_e32 v81, v82, v81
	s_delay_alu instid0(VALU_DEP_1) | instskip(NEXT) | instid1(VALU_DEP_1)
	v_mul_f32_e32 v82, v83, v81
	v_fma_f32 v84, -v75, v82, v83
	s_delay_alu instid0(VALU_DEP_1) | instskip(NEXT) | instid1(VALU_DEP_1)
	v_fmac_f32_e32 v82, v84, v81
	v_fma_f32 v75, -v75, v82, v83
	s_delay_alu instid0(VALU_DEP_1) | instskip(NEXT) | instid1(VALU_DEP_1)
	v_div_fmas_f32 v75, v75, v81, v82
	v_div_fixup_f32 v75, v75, v72, v73
	s_delay_alu instid0(VALU_DEP_1) | instskip(NEXT) | instid1(VALU_DEP_1)
	v_fmac_f32_e32 v72, v73, v75
	v_div_scale_f32 v73, null, v72, v72, 1.0
	s_delay_alu instid0(VALU_DEP_1) | instskip(SKIP_1) | instid1(TRANS32_DEP_1)
	v_rcp_f32_e32 v81, v73
	v_nop
	v_fma_f32 v82, -v73, v81, 1.0
	s_delay_alu instid0(VALU_DEP_1) | instskip(SKIP_1) | instid1(VALU_DEP_1)
	v_fmac_f32_e32 v81, v82, v81
	v_div_scale_f32 v82, vcc_lo, 1.0, v72, 1.0
	v_mul_f32_e32 v83, v82, v81
	s_delay_alu instid0(VALU_DEP_1) | instskip(NEXT) | instid1(VALU_DEP_1)
	v_fma_f32 v84, -v73, v83, v82
	v_fmac_f32_e32 v83, v84, v81
	s_delay_alu instid0(VALU_DEP_1) | instskip(NEXT) | instid1(VALU_DEP_1)
	v_fma_f32 v73, -v73, v83, v82
	v_div_fmas_f32 v73, v73, v81, v83
	s_delay_alu instid0(VALU_DEP_1) | instskip(NEXT) | instid1(VALU_DEP_1)
	v_div_fixup_f32 v72, v73, v72, 1.0
	v_mul_f32_e64 v73, v75, -v72
.LBB64_471:
	s_or_b32 exec_lo, exec_lo, s1
.LBB64_472:
	s_delay_alu instid0(SALU_CYCLE_1) | instskip(NEXT) | instid1(SALU_CYCLE_1)
	s_or_b32 exec_lo, exec_lo, s0
	s_mov_b32 s0, exec_lo
	v_cmpx_ne_u32_e64 v80, v74
	s_xor_b32 s0, exec_lo, s0
	s_cbranch_execz .LBB64_478
; %bb.473:
	s_mov_b32 s1, exec_lo
	v_cmpx_eq_u32_e32 22, v80
	s_cbranch_execz .LBB64_477
; %bb.474:
	v_cmp_ne_u32_e32 vcc_lo, 22, v74
	s_xor_b32 s12, s16, -1
	s_delay_alu instid0(SALU_CYCLE_1) | instskip(NEXT) | instid1(SALU_CYCLE_1)
	s_and_b32 s13, s12, vcc_lo
	s_and_saveexec_b32 s12, s13
	s_cbranch_execz .LBB64_476
; %bb.475:
	v_ashrrev_i32_e32 v75, 31, v74
	s_delay_alu instid0(VALU_DEP_1)
	v_lshl_add_u64 v[80:81], v[74:75], 2, v[4:5]
	s_clause 0x1
	global_load_b32 v75, v[80:81], off
	global_load_b32 v79, v[4:5], off offset:88
	s_wait_loadcnt 0x1
	global_store_b32 v[4:5], v75, off offset:88
	s_wait_loadcnt 0x0
	global_store_b32 v[80:81], v79, off
.LBB64_476:
	s_wait_xcnt 0x0
	s_or_b32 exec_lo, exec_lo, s12
	v_dual_mov_b32 v80, v74 :: v_dual_mov_b32 v79, v74
.LBB64_477:
	s_or_b32 exec_lo, exec_lo, s1
.LBB64_478:
	s_and_not1_saveexec_b32 s0, s0
	s_cbranch_execz .LBB64_480
; %bb.479:
	v_mov_b32_e32 v80, 22
	ds_store_2addr_b64 v76, v[44:45], v[26:27] offset0:23 offset1:24
	ds_store_2addr_b64 v76, v[18:19], v[24:25] offset0:25 offset1:26
	;; [unrolled: 1-line block ×5, first 2 shown]
.LBB64_480:
	s_or_b32 exec_lo, exec_lo, s0
	s_delay_alu instid0(SALU_CYCLE_1)
	s_mov_b32 s0, exec_lo
	s_wait_storecnt_dscnt 0x0
	s_barrier_signal -1
	s_barrier_wait -1
	v_cmpx_lt_i32_e32 22, v80
	s_cbranch_execz .LBB64_482
; %bb.481:
	v_pk_mul_f32 v[74:75], v[72:73], v[48:49] op_sel:[1,1] op_sel_hi:[0,1]
	s_delay_alu instid0(VALU_DEP_1)
	v_pk_fma_f32 v[82:83], v[72:73], v[48:49], v[74:75] op_sel_hi:[1,0,1] neg_lo:[0,0,1] neg_hi:[0,0,1]
	v_pk_fma_f32 v[84:85], v[72:73], v[48:49], v[74:75] op_sel_hi:[1,0,1]
	ds_load_2addr_b64 v[72:75], v76 offset0:23 offset1:24
	v_dual_mov_b32 v48, v82 :: v_dual_mov_b32 v49, v85
	s_wait_dscnt 0x0
	v_pk_mul_f32 v[86:87], v[72:73], v[84:85] op_sel:[0,1]
	s_delay_alu instid0(VALU_DEP_1) | instskip(SKIP_1) | instid1(VALU_DEP_1)
	v_pk_fma_f32 v[88:89], v[72:73], v[82:83], v[86:87] op_sel:[0,0,1] op_sel_hi:[1,1,0] neg_lo:[0,0,1] neg_hi:[0,0,1]
	v_pk_fma_f32 v[72:73], v[72:73], v[82:83], v[86:87] op_sel:[0,0,1] op_sel_hi:[1,0,0]
	v_mov_b32_e32 v89, v73
	v_pk_mul_f32 v[72:73], v[74:75], v[84:85] op_sel:[0,1]
	s_delay_alu instid0(VALU_DEP_1) | instskip(SKIP_1) | instid1(VALU_DEP_1)
	v_pk_fma_f32 v[86:87], v[74:75], v[82:83], v[72:73] op_sel:[0,0,1] op_sel_hi:[1,1,0] neg_lo:[0,0,1] neg_hi:[0,0,1]
	v_pk_fma_f32 v[72:73], v[74:75], v[82:83], v[72:73] op_sel:[0,0,1] op_sel_hi:[1,0,0]
	v_mov_b32_e32 v87, v73
	ds_load_2addr_b64 v[72:75], v76 offset0:25 offset1:26
	v_pk_add_f32 v[44:45], v[44:45], v[88:89] neg_lo:[0,1] neg_hi:[0,1]
	v_pk_add_f32 v[26:27], v[26:27], v[86:87] neg_lo:[0,1] neg_hi:[0,1]
	s_wait_dscnt 0x0
	v_pk_mul_f32 v[86:87], v[72:73], v[84:85] op_sel:[0,1]
	s_delay_alu instid0(VALU_DEP_1) | instskip(SKIP_2) | instid1(VALU_DEP_2)
	v_pk_fma_f32 v[88:89], v[72:73], v[82:83], v[86:87] op_sel:[0,0,1] op_sel_hi:[1,1,0] neg_lo:[0,0,1] neg_hi:[0,0,1]
	v_pk_fma_f32 v[72:73], v[72:73], v[82:83], v[86:87] op_sel:[0,0,1] op_sel_hi:[1,0,0]
	v_dual_mul_f32 v86, v75, v85 :: v_dual_mov_b32 v72, v75
	v_dual_mov_b32 v89, v73 :: v_dual_mov_b32 v73, v74
	s_delay_alu instid0(VALU_DEP_2) | instskip(SKIP_1) | instid1(VALU_DEP_3)
	v_pk_fma_f32 v[86:87], v[74:75], v[48:49], v[86:87] op_sel_hi:[1,1,0] neg_lo:[0,0,1] neg_hi:[0,0,1]
	v_mul_f32_e32 v74, v75, v82
	v_pk_add_f32 v[18:19], v[18:19], v[88:89] neg_lo:[0,1] neg_hi:[0,1]
	s_delay_alu instid0(VALU_DEP_2) | instskip(NEXT) | instid1(VALU_DEP_1)
	v_pk_fma_f32 v[72:73], v[72:73], v[48:49], v[74:75] op_sel_hi:[1,1,0]
	v_mov_b32_e32 v87, v73
	ds_load_2addr_b64 v[72:75], v76 offset0:27 offset1:28
	v_pk_add_f32 v[24:25], v[24:25], v[86:87] neg_lo:[0,1] neg_hi:[0,1]
	s_wait_dscnt 0x0
	v_pk_mul_f32 v[86:87], v[72:73], v[84:85] op_sel:[0,1]
	s_delay_alu instid0(VALU_DEP_1) | instskip(SKIP_1) | instid1(VALU_DEP_1)
	v_pk_fma_f32 v[88:89], v[72:73], v[82:83], v[86:87] op_sel:[0,0,1] op_sel_hi:[1,1,0] neg_lo:[0,0,1] neg_hi:[0,0,1]
	v_pk_fma_f32 v[72:73], v[72:73], v[82:83], v[86:87] op_sel:[0,0,1] op_sel_hi:[1,0,0]
	v_mov_b32_e32 v89, v73
	v_pk_mul_f32 v[72:73], v[74:75], v[84:85] op_sel:[0,1]
	s_delay_alu instid0(VALU_DEP_1) | instskip(SKIP_1) | instid1(VALU_DEP_1)
	v_pk_fma_f32 v[86:87], v[74:75], v[82:83], v[72:73] op_sel:[0,0,1] op_sel_hi:[1,1,0] neg_lo:[0,0,1] neg_hi:[0,0,1]
	v_pk_fma_f32 v[72:73], v[74:75], v[82:83], v[72:73] op_sel:[0,0,1] op_sel_hi:[1,0,0]
	v_mov_b32_e32 v87, v73
	ds_load_2addr_b64 v[72:75], v76 offset0:29 offset1:30
	v_pk_add_f32 v[16:17], v[16:17], v[88:89] neg_lo:[0,1] neg_hi:[0,1]
	v_pk_add_f32 v[6:7], v[6:7], v[86:87] neg_lo:[0,1] neg_hi:[0,1]
	s_wait_dscnt 0x0
	v_pk_mul_f32 v[86:87], v[72:73], v[84:85] op_sel:[0,1]
	s_delay_alu instid0(VALU_DEP_1) | instskip(SKIP_1) | instid1(VALU_DEP_1)
	v_pk_fma_f32 v[88:89], v[72:73], v[82:83], v[86:87] op_sel:[0,0,1] op_sel_hi:[1,1,0] neg_lo:[0,0,1] neg_hi:[0,0,1]
	v_pk_fma_f32 v[72:73], v[72:73], v[82:83], v[86:87] op_sel:[0,0,1] op_sel_hi:[1,0,0]
	v_mov_b32_e32 v89, v73
	v_pk_mul_f32 v[72:73], v[74:75], v[84:85] op_sel:[0,1]
	s_delay_alu instid0(VALU_DEP_1) | instskip(SKIP_1) | instid1(VALU_DEP_1)
	v_pk_fma_f32 v[86:87], v[74:75], v[82:83], v[72:73] op_sel:[0,0,1] op_sel_hi:[1,1,0] neg_lo:[0,0,1] neg_hi:[0,0,1]
	v_pk_fma_f32 v[72:73], v[74:75], v[82:83], v[72:73] op_sel:[0,0,1] op_sel_hi:[1,0,0]
	v_mov_b32_e32 v87, v73
	ds_load_2addr_b64 v[72:75], v76 offset0:31 offset1:32
	v_pk_add_f32 v[52:53], v[52:53], v[88:89] neg_lo:[0,1] neg_hi:[0,1]
	v_pk_add_f32 v[42:43], v[42:43], v[86:87] neg_lo:[0,1] neg_hi:[0,1]
	s_wait_dscnt 0x0
	v_dual_mul_f32 v86, v73, v85 :: v_dual_mul_f32 v88, v73, v82
	s_delay_alu instid0(VALU_DEP_1) | instskip(NEXT) | instid1(VALU_DEP_2)
	v_pk_fma_f32 v[86:87], v[72:73], v[48:49], v[86:87] op_sel_hi:[1,1,0] neg_lo:[0,0,1] neg_hi:[0,0,1]
	v_pk_fma_f32 v[72:73], v[72:73], v[48:49], v[88:89] op_sel:[1,0,0] op_sel_hi:[0,1,0]
	s_delay_alu instid0(VALU_DEP_1) | instskip(SKIP_1) | instid1(VALU_DEP_1)
	v_mov_b32_e32 v87, v73
	v_pk_mul_f32 v[72:73], v[74:75], v[84:85] op_sel:[0,1]
	v_pk_fma_f32 v[84:85], v[74:75], v[82:83], v[72:73] op_sel:[0,0,1] op_sel_hi:[1,1,0] neg_lo:[0,0,1] neg_hi:[0,0,1]
	v_pk_fma_f32 v[72:73], v[74:75], v[82:83], v[72:73] op_sel:[0,0,1] op_sel_hi:[1,0,0]
	s_delay_alu instid0(VALU_DEP_1) | instskip(SKIP_1) | instid1(VALU_DEP_2)
	v_mov_b32_e32 v85, v73
	v_pk_add_f32 v[32:33], v[32:33], v[86:87] neg_lo:[0,1] neg_hi:[0,1]
	v_pk_add_f32 v[70:71], v[70:71], v[84:85] neg_lo:[0,1] neg_hi:[0,1]
.LBB64_482:
	s_or_b32 exec_lo, exec_lo, s0
	v_lshl_add_u32 v72, v80, 3, v76
	s_barrier_signal -1
	s_barrier_wait -1
	ds_store_b64 v72, v[44:45]
	s_wait_dscnt 0x0
	s_barrier_signal -1
	s_barrier_wait -1
	ds_load_b64 v[72:73], v76 offset:184
	v_mov_b32_e32 v74, 23
	s_cmp_lt_i32 s18, 25
	s_cbranch_scc1 .LBB64_485
; %bb.483:
	v_add3_u32 v75, v77, 0, 0xc0
	v_mov_b32_e32 v74, 23
	s_mov_b32 s0, 24
.LBB64_484:                             ; =>This Inner Loop Header: Depth=1
	ds_load_b64 v[82:83], v75
	s_wait_dscnt 0x1
	v_cmp_gt_f32_e32 vcc_lo, 0, v72
	v_cndmask_b32_e64 v84, v72, -v72, vcc_lo
	v_cmp_gt_f32_e32 vcc_lo, 0, v73
	v_cndmask_b32_e64 v86, v73, -v73, vcc_lo
	s_wait_dscnt 0x0
	v_cmp_gt_f32_e32 vcc_lo, 0, v82
	v_cndmask_b32_e64 v85, v82, -v82, vcc_lo
	v_cmp_gt_f32_e32 vcc_lo, 0, v83
	v_cndmask_b32_e64 v87, v83, -v83, vcc_lo
	s_delay_alu instid0(VALU_DEP_1) | instskip(NEXT) | instid1(VALU_DEP_1)
	v_pk_add_f32 v[84:85], v[84:85], v[86:87]
	v_cmp_lt_f32_e32 vcc_lo, v84, v85
	v_dual_cndmask_b32 v72, v72, v82 :: v_dual_add_nc_u32 v75, 8, v75
	v_cndmask_b32_e32 v73, v73, v83, vcc_lo
	v_cndmask_b32_e64 v74, v74, s0, vcc_lo
	s_add_co_i32 s0, s0, 1
	s_delay_alu instid0(SALU_CYCLE_1)
	s_cmp_lg_u32 s18, s0
	s_cbranch_scc1 .LBB64_484
.LBB64_485:
	s_wait_dscnt 0x0
	v_cmp_eq_f32_e32 vcc_lo, 0, v72
	v_cmp_eq_f32_e64 s0, 0, v73
	s_and_b32 s0, vcc_lo, s0
	s_delay_alu instid0(SALU_CYCLE_1) | instskip(NEXT) | instid1(SALU_CYCLE_1)
	s_and_saveexec_b32 s1, s0
	s_xor_b32 s0, exec_lo, s1
; %bb.486:
	v_cmp_ne_u32_e32 vcc_lo, 0, v78
	v_cndmask_b32_e32 v78, 24, v78, vcc_lo
; %bb.487:
	s_and_not1_saveexec_b32 s0, s0
	s_cbranch_execz .LBB64_493
; %bb.488:
	v_cmp_ngt_f32_e64 s1, |v72|, |v73|
	s_and_saveexec_b32 s12, s1
	s_delay_alu instid0(SALU_CYCLE_1)
	s_xor_b32 s1, exec_lo, s12
	s_cbranch_execz .LBB64_490
; %bb.489:
	v_div_scale_f32 v75, null, v73, v73, v72
	v_div_scale_f32 v83, vcc_lo, v72, v73, v72
	s_delay_alu instid0(VALU_DEP_2) | instskip(SKIP_1) | instid1(TRANS32_DEP_1)
	v_rcp_f32_e32 v81, v75
	v_nop
	v_fma_f32 v82, -v75, v81, 1.0
	s_delay_alu instid0(VALU_DEP_1) | instskip(NEXT) | instid1(VALU_DEP_1)
	v_fmac_f32_e32 v81, v82, v81
	v_mul_f32_e32 v82, v83, v81
	s_delay_alu instid0(VALU_DEP_1) | instskip(NEXT) | instid1(VALU_DEP_1)
	v_fma_f32 v84, -v75, v82, v83
	v_fmac_f32_e32 v82, v84, v81
	s_delay_alu instid0(VALU_DEP_1) | instskip(NEXT) | instid1(VALU_DEP_1)
	v_fma_f32 v75, -v75, v82, v83
	v_div_fmas_f32 v75, v75, v81, v82
	s_delay_alu instid0(VALU_DEP_1) | instskip(NEXT) | instid1(VALU_DEP_1)
	v_div_fixup_f32 v75, v75, v73, v72
	v_fmac_f32_e32 v73, v72, v75
	s_delay_alu instid0(VALU_DEP_1) | instskip(SKIP_1) | instid1(VALU_DEP_2)
	v_div_scale_f32 v72, null, v73, v73, 1.0
	v_div_scale_f32 v83, vcc_lo, 1.0, v73, 1.0
	v_rcp_f32_e32 v81, v72
	v_nop
	s_delay_alu instid0(TRANS32_DEP_1) | instskip(NEXT) | instid1(VALU_DEP_1)
	v_fma_f32 v82, -v72, v81, 1.0
	v_fmac_f32_e32 v81, v82, v81
	s_delay_alu instid0(VALU_DEP_1) | instskip(NEXT) | instid1(VALU_DEP_1)
	v_mul_f32_e32 v82, v83, v81
	v_fma_f32 v84, -v72, v82, v83
	s_delay_alu instid0(VALU_DEP_1) | instskip(NEXT) | instid1(VALU_DEP_1)
	v_fmac_f32_e32 v82, v84, v81
	v_fma_f32 v72, -v72, v82, v83
	s_delay_alu instid0(VALU_DEP_1) | instskip(NEXT) | instid1(VALU_DEP_1)
	v_div_fmas_f32 v72, v72, v81, v82
	v_div_fixup_f32 v73, v72, v73, 1.0
	s_delay_alu instid0(VALU_DEP_1)
	v_mul_f32_e32 v72, v75, v73
	v_xor_b32_e32 v73, 0x80000000, v73
.LBB64_490:
	s_and_not1_saveexec_b32 s1, s1
	s_cbranch_execz .LBB64_492
; %bb.491:
	s_delay_alu instid0(VALU_DEP_1) | instskip(SKIP_1) | instid1(VALU_DEP_2)
	v_div_scale_f32 v75, null, v72, v72, v73
	v_div_scale_f32 v83, vcc_lo, v73, v72, v73
	v_rcp_f32_e32 v81, v75
	v_nop
	s_delay_alu instid0(TRANS32_DEP_1) | instskip(NEXT) | instid1(VALU_DEP_1)
	v_fma_f32 v82, -v75, v81, 1.0
	v_fmac_f32_e32 v81, v82, v81
	s_delay_alu instid0(VALU_DEP_1) | instskip(NEXT) | instid1(VALU_DEP_1)
	v_mul_f32_e32 v82, v83, v81
	v_fma_f32 v84, -v75, v82, v83
	s_delay_alu instid0(VALU_DEP_1) | instskip(NEXT) | instid1(VALU_DEP_1)
	v_fmac_f32_e32 v82, v84, v81
	v_fma_f32 v75, -v75, v82, v83
	s_delay_alu instid0(VALU_DEP_1) | instskip(NEXT) | instid1(VALU_DEP_1)
	v_div_fmas_f32 v75, v75, v81, v82
	v_div_fixup_f32 v75, v75, v72, v73
	s_delay_alu instid0(VALU_DEP_1) | instskip(NEXT) | instid1(VALU_DEP_1)
	v_fmac_f32_e32 v72, v73, v75
	v_div_scale_f32 v73, null, v72, v72, 1.0
	s_delay_alu instid0(VALU_DEP_1) | instskip(SKIP_1) | instid1(TRANS32_DEP_1)
	v_rcp_f32_e32 v81, v73
	v_nop
	v_fma_f32 v82, -v73, v81, 1.0
	s_delay_alu instid0(VALU_DEP_1) | instskip(SKIP_1) | instid1(VALU_DEP_1)
	v_fmac_f32_e32 v81, v82, v81
	v_div_scale_f32 v82, vcc_lo, 1.0, v72, 1.0
	v_mul_f32_e32 v83, v82, v81
	s_delay_alu instid0(VALU_DEP_1) | instskip(NEXT) | instid1(VALU_DEP_1)
	v_fma_f32 v84, -v73, v83, v82
	v_fmac_f32_e32 v83, v84, v81
	s_delay_alu instid0(VALU_DEP_1) | instskip(NEXT) | instid1(VALU_DEP_1)
	v_fma_f32 v73, -v73, v83, v82
	v_div_fmas_f32 v73, v73, v81, v83
	s_delay_alu instid0(VALU_DEP_1) | instskip(NEXT) | instid1(VALU_DEP_1)
	v_div_fixup_f32 v72, v73, v72, 1.0
	v_mul_f32_e64 v73, v75, -v72
.LBB64_492:
	s_or_b32 exec_lo, exec_lo, s1
.LBB64_493:
	s_delay_alu instid0(SALU_CYCLE_1) | instskip(NEXT) | instid1(SALU_CYCLE_1)
	s_or_b32 exec_lo, exec_lo, s0
	s_mov_b32 s0, exec_lo
	v_cmpx_ne_u32_e64 v80, v74
	s_xor_b32 s0, exec_lo, s0
	s_cbranch_execz .LBB64_499
; %bb.494:
	s_mov_b32 s1, exec_lo
	v_cmpx_eq_u32_e32 23, v80
	s_cbranch_execz .LBB64_498
; %bb.495:
	v_cmp_ne_u32_e32 vcc_lo, 23, v74
	s_xor_b32 s12, s16, -1
	s_delay_alu instid0(SALU_CYCLE_1) | instskip(NEXT) | instid1(SALU_CYCLE_1)
	s_and_b32 s13, s12, vcc_lo
	s_and_saveexec_b32 s12, s13
	s_cbranch_execz .LBB64_497
; %bb.496:
	v_ashrrev_i32_e32 v75, 31, v74
	s_delay_alu instid0(VALU_DEP_1)
	v_lshl_add_u64 v[80:81], v[74:75], 2, v[4:5]
	s_clause 0x1
	global_load_b32 v75, v[80:81], off
	global_load_b32 v79, v[4:5], off offset:92
	s_wait_loadcnt 0x1
	global_store_b32 v[4:5], v75, off offset:92
	s_wait_loadcnt 0x0
	global_store_b32 v[80:81], v79, off
.LBB64_497:
	s_wait_xcnt 0x0
	s_or_b32 exec_lo, exec_lo, s12
	v_dual_mov_b32 v80, v74 :: v_dual_mov_b32 v79, v74
.LBB64_498:
	s_or_b32 exec_lo, exec_lo, s1
.LBB64_499:
	s_and_not1_saveexec_b32 s0, s0
	s_cbranch_execz .LBB64_501
; %bb.500:
	v_dual_mov_b32 v74, v26 :: v_dual_mov_b32 v75, v27
	v_dual_mov_b32 v82, v18 :: v_dual_mov_b32 v83, v19
	;; [unrolled: 1-line block ×8, first 2 shown]
	v_mov_b32_e32 v95, v33
	ds_store_2addr_b64 v76, v[74:75], v[82:83] offset0:24 offset1:25
	ds_store_2addr_b64 v76, v[84:85], v[86:87] offset0:26 offset1:27
	;; [unrolled: 1-line block ×4, first 2 shown]
	ds_store_b64 v76, v[70:71] offset:256
.LBB64_501:
	s_or_b32 exec_lo, exec_lo, s0
	s_delay_alu instid0(SALU_CYCLE_1)
	s_mov_b32 s0, exec_lo
	s_wait_storecnt_dscnt 0x0
	s_barrier_signal -1
	s_barrier_wait -1
	v_cmpx_lt_i32_e32 23, v80
	s_cbranch_execz .LBB64_503
; %bb.502:
	v_pk_mul_f32 v[74:75], v[72:73], v[44:45] op_sel:[1,1] op_sel_hi:[0,1]
	s_delay_alu instid0(VALU_DEP_1)
	v_pk_fma_f32 v[82:83], v[72:73], v[44:45], v[74:75] op_sel_hi:[1,0,1] neg_lo:[0,0,1] neg_hi:[0,0,1]
	v_pk_fma_f32 v[84:85], v[72:73], v[44:45], v[74:75] op_sel_hi:[1,0,1]
	ds_load_2addr_b64 v[72:75], v76 offset0:24 offset1:25
	v_dual_mov_b32 v44, v82 :: v_dual_mov_b32 v45, v85
	s_wait_dscnt 0x0
	v_pk_mul_f32 v[86:87], v[72:73], v[84:85] op_sel:[0,1]
	s_delay_alu instid0(VALU_DEP_1) | instskip(SKIP_1) | instid1(VALU_DEP_1)
	v_pk_fma_f32 v[88:89], v[72:73], v[82:83], v[86:87] op_sel:[0,0,1] op_sel_hi:[1,1,0] neg_lo:[0,0,1] neg_hi:[0,0,1]
	v_pk_fma_f32 v[72:73], v[72:73], v[82:83], v[86:87] op_sel:[0,0,1] op_sel_hi:[1,0,0]
	v_mov_b32_e32 v89, v73
	v_pk_mul_f32 v[72:73], v[74:75], v[84:85] op_sel:[0,1]
	s_delay_alu instid0(VALU_DEP_1) | instskip(SKIP_1) | instid1(VALU_DEP_1)
	v_pk_fma_f32 v[86:87], v[74:75], v[82:83], v[72:73] op_sel:[0,0,1] op_sel_hi:[1,1,0] neg_lo:[0,0,1] neg_hi:[0,0,1]
	v_pk_fma_f32 v[72:73], v[74:75], v[82:83], v[72:73] op_sel:[0,0,1] op_sel_hi:[1,0,0]
	v_mov_b32_e32 v87, v73
	ds_load_2addr_b64 v[72:75], v76 offset0:26 offset1:27
	v_pk_add_f32 v[26:27], v[26:27], v[88:89] neg_lo:[0,1] neg_hi:[0,1]
	v_pk_add_f32 v[18:19], v[18:19], v[86:87] neg_lo:[0,1] neg_hi:[0,1]
	s_wait_dscnt 0x0
	v_pk_mul_f32 v[86:87], v[72:73], v[84:85] op_sel:[0,1]
	s_delay_alu instid0(VALU_DEP_1) | instskip(SKIP_2) | instid1(VALU_DEP_2)
	v_pk_fma_f32 v[88:89], v[72:73], v[82:83], v[86:87] op_sel:[0,0,1] op_sel_hi:[1,1,0] neg_lo:[0,0,1] neg_hi:[0,0,1]
	v_pk_fma_f32 v[72:73], v[72:73], v[82:83], v[86:87] op_sel:[0,0,1] op_sel_hi:[1,0,0]
	v_dual_mul_f32 v86, v75, v85 :: v_dual_mov_b32 v72, v75
	v_dual_mov_b32 v89, v73 :: v_dual_mov_b32 v73, v74
	s_delay_alu instid0(VALU_DEP_2) | instskip(SKIP_1) | instid1(VALU_DEP_3)
	v_pk_fma_f32 v[86:87], v[74:75], v[44:45], v[86:87] op_sel_hi:[1,1,0] neg_lo:[0,0,1] neg_hi:[0,0,1]
	v_mul_f32_e32 v74, v75, v82
	v_pk_add_f32 v[24:25], v[24:25], v[88:89] neg_lo:[0,1] neg_hi:[0,1]
	s_delay_alu instid0(VALU_DEP_2) | instskip(NEXT) | instid1(VALU_DEP_1)
	v_pk_fma_f32 v[72:73], v[72:73], v[44:45], v[74:75] op_sel_hi:[1,1,0]
	v_mov_b32_e32 v87, v73
	ds_load_2addr_b64 v[72:75], v76 offset0:28 offset1:29
	v_pk_add_f32 v[16:17], v[16:17], v[86:87] neg_lo:[0,1] neg_hi:[0,1]
	s_wait_dscnt 0x0
	v_pk_mul_f32 v[86:87], v[72:73], v[84:85] op_sel:[0,1]
	s_delay_alu instid0(VALU_DEP_1) | instskip(SKIP_1) | instid1(VALU_DEP_1)
	v_pk_fma_f32 v[88:89], v[72:73], v[82:83], v[86:87] op_sel:[0,0,1] op_sel_hi:[1,1,0] neg_lo:[0,0,1] neg_hi:[0,0,1]
	v_pk_fma_f32 v[72:73], v[72:73], v[82:83], v[86:87] op_sel:[0,0,1] op_sel_hi:[1,0,0]
	v_mov_b32_e32 v89, v73
	v_pk_mul_f32 v[72:73], v[74:75], v[84:85] op_sel:[0,1]
	s_delay_alu instid0(VALU_DEP_1) | instskip(SKIP_1) | instid1(VALU_DEP_1)
	v_pk_fma_f32 v[86:87], v[74:75], v[82:83], v[72:73] op_sel:[0,0,1] op_sel_hi:[1,1,0] neg_lo:[0,0,1] neg_hi:[0,0,1]
	v_pk_fma_f32 v[72:73], v[74:75], v[82:83], v[72:73] op_sel:[0,0,1] op_sel_hi:[1,0,0]
	v_mov_b32_e32 v87, v73
	ds_load_2addr_b64 v[72:75], v76 offset0:30 offset1:31
	v_pk_add_f32 v[6:7], v[6:7], v[88:89] neg_lo:[0,1] neg_hi:[0,1]
	v_pk_add_f32 v[52:53], v[52:53], v[86:87] neg_lo:[0,1] neg_hi:[0,1]
	s_wait_dscnt 0x0
	v_pk_mul_f32 v[86:87], v[72:73], v[84:85] op_sel:[0,1]
	s_delay_alu instid0(VALU_DEP_1) | instskip(SKIP_1) | instid1(VALU_DEP_1)
	v_pk_fma_f32 v[88:89], v[72:73], v[82:83], v[86:87] op_sel:[0,0,1] op_sel_hi:[1,1,0] neg_lo:[0,0,1] neg_hi:[0,0,1]
	v_pk_fma_f32 v[72:73], v[72:73], v[82:83], v[86:87] op_sel:[0,0,1] op_sel_hi:[1,0,0]
	v_mov_b32_e32 v89, v73
	v_pk_mul_f32 v[72:73], v[74:75], v[84:85] op_sel:[0,1]
	s_delay_alu instid0(VALU_DEP_1) | instskip(SKIP_1) | instid1(VALU_DEP_1)
	v_pk_fma_f32 v[86:87], v[74:75], v[82:83], v[72:73] op_sel:[0,0,1] op_sel_hi:[1,1,0] neg_lo:[0,0,1] neg_hi:[0,0,1]
	v_pk_fma_f32 v[72:73], v[74:75], v[82:83], v[72:73] op_sel:[0,0,1] op_sel_hi:[1,0,0]
	v_mov_b32_e32 v87, v73
	ds_load_b64 v[72:73], v76 offset:256
	v_pk_add_f32 v[42:43], v[42:43], v[88:89] neg_lo:[0,1] neg_hi:[0,1]
	v_pk_add_f32 v[32:33], v[32:33], v[86:87] neg_lo:[0,1] neg_hi:[0,1]
	s_wait_dscnt 0x0
	v_pk_mul_f32 v[74:75], v[72:73], v[84:85] op_sel:[0,1]
	s_delay_alu instid0(VALU_DEP_1) | instskip(SKIP_1) | instid1(VALU_DEP_1)
	v_pk_fma_f32 v[84:85], v[72:73], v[82:83], v[74:75] op_sel:[0,0,1] op_sel_hi:[1,1,0] neg_lo:[0,0,1] neg_hi:[0,0,1]
	v_pk_fma_f32 v[72:73], v[72:73], v[82:83], v[74:75] op_sel:[0,0,1] op_sel_hi:[1,0,0]
	v_mov_b32_e32 v85, v73
	s_delay_alu instid0(VALU_DEP_1)
	v_pk_add_f32 v[70:71], v[70:71], v[84:85] neg_lo:[0,1] neg_hi:[0,1]
.LBB64_503:
	s_or_b32 exec_lo, exec_lo, s0
	v_lshl_add_u32 v72, v80, 3, v76
	s_barrier_signal -1
	s_barrier_wait -1
	ds_store_b64 v72, v[26:27]
	s_wait_dscnt 0x0
	s_barrier_signal -1
	s_barrier_wait -1
	ds_load_b64 v[72:73], v76 offset:192
	v_mov_b32_e32 v74, 24
	s_cmp_lt_i32 s18, 26
	s_cbranch_scc1 .LBB64_506
; %bb.504:
	v_add3_u32 v75, v77, 0, 0xc8
	v_mov_b32_e32 v74, 24
	s_mov_b32 s0, 25
.LBB64_505:                             ; =>This Inner Loop Header: Depth=1
	ds_load_b64 v[82:83], v75
	s_wait_dscnt 0x1
	v_cmp_gt_f32_e32 vcc_lo, 0, v72
	v_cndmask_b32_e64 v84, v72, -v72, vcc_lo
	v_cmp_gt_f32_e32 vcc_lo, 0, v73
	v_cndmask_b32_e64 v86, v73, -v73, vcc_lo
	s_wait_dscnt 0x0
	v_cmp_gt_f32_e32 vcc_lo, 0, v82
	v_cndmask_b32_e64 v85, v82, -v82, vcc_lo
	v_cmp_gt_f32_e32 vcc_lo, 0, v83
	v_cndmask_b32_e64 v87, v83, -v83, vcc_lo
	s_delay_alu instid0(VALU_DEP_1) | instskip(NEXT) | instid1(VALU_DEP_1)
	v_pk_add_f32 v[84:85], v[84:85], v[86:87]
	v_cmp_lt_f32_e32 vcc_lo, v84, v85
	v_dual_cndmask_b32 v72, v72, v82 :: v_dual_add_nc_u32 v75, 8, v75
	v_cndmask_b32_e32 v73, v73, v83, vcc_lo
	v_cndmask_b32_e64 v74, v74, s0, vcc_lo
	s_add_co_i32 s0, s0, 1
	s_delay_alu instid0(SALU_CYCLE_1)
	s_cmp_lg_u32 s18, s0
	s_cbranch_scc1 .LBB64_505
.LBB64_506:
	s_wait_dscnt 0x0
	v_cmp_eq_f32_e32 vcc_lo, 0, v72
	v_cmp_eq_f32_e64 s0, 0, v73
	s_and_b32 s0, vcc_lo, s0
	s_delay_alu instid0(SALU_CYCLE_1) | instskip(NEXT) | instid1(SALU_CYCLE_1)
	s_and_saveexec_b32 s1, s0
	s_xor_b32 s0, exec_lo, s1
; %bb.507:
	v_cmp_ne_u32_e32 vcc_lo, 0, v78
	v_cndmask_b32_e32 v78, 25, v78, vcc_lo
; %bb.508:
	s_and_not1_saveexec_b32 s0, s0
	s_cbranch_execz .LBB64_514
; %bb.509:
	v_cmp_ngt_f32_e64 s1, |v72|, |v73|
	s_and_saveexec_b32 s12, s1
	s_delay_alu instid0(SALU_CYCLE_1)
	s_xor_b32 s1, exec_lo, s12
	s_cbranch_execz .LBB64_511
; %bb.510:
	v_div_scale_f32 v75, null, v73, v73, v72
	v_div_scale_f32 v83, vcc_lo, v72, v73, v72
	s_delay_alu instid0(VALU_DEP_2) | instskip(SKIP_1) | instid1(TRANS32_DEP_1)
	v_rcp_f32_e32 v81, v75
	v_nop
	v_fma_f32 v82, -v75, v81, 1.0
	s_delay_alu instid0(VALU_DEP_1) | instskip(NEXT) | instid1(VALU_DEP_1)
	v_fmac_f32_e32 v81, v82, v81
	v_mul_f32_e32 v82, v83, v81
	s_delay_alu instid0(VALU_DEP_1) | instskip(NEXT) | instid1(VALU_DEP_1)
	v_fma_f32 v84, -v75, v82, v83
	v_fmac_f32_e32 v82, v84, v81
	s_delay_alu instid0(VALU_DEP_1) | instskip(NEXT) | instid1(VALU_DEP_1)
	v_fma_f32 v75, -v75, v82, v83
	v_div_fmas_f32 v75, v75, v81, v82
	s_delay_alu instid0(VALU_DEP_1) | instskip(NEXT) | instid1(VALU_DEP_1)
	v_div_fixup_f32 v75, v75, v73, v72
	v_fmac_f32_e32 v73, v72, v75
	s_delay_alu instid0(VALU_DEP_1) | instskip(SKIP_1) | instid1(VALU_DEP_2)
	v_div_scale_f32 v72, null, v73, v73, 1.0
	v_div_scale_f32 v83, vcc_lo, 1.0, v73, 1.0
	v_rcp_f32_e32 v81, v72
	v_nop
	s_delay_alu instid0(TRANS32_DEP_1) | instskip(NEXT) | instid1(VALU_DEP_1)
	v_fma_f32 v82, -v72, v81, 1.0
	v_fmac_f32_e32 v81, v82, v81
	s_delay_alu instid0(VALU_DEP_1) | instskip(NEXT) | instid1(VALU_DEP_1)
	v_mul_f32_e32 v82, v83, v81
	v_fma_f32 v84, -v72, v82, v83
	s_delay_alu instid0(VALU_DEP_1) | instskip(NEXT) | instid1(VALU_DEP_1)
	v_fmac_f32_e32 v82, v84, v81
	v_fma_f32 v72, -v72, v82, v83
	s_delay_alu instid0(VALU_DEP_1) | instskip(NEXT) | instid1(VALU_DEP_1)
	v_div_fmas_f32 v72, v72, v81, v82
	v_div_fixup_f32 v73, v72, v73, 1.0
	s_delay_alu instid0(VALU_DEP_1)
	v_mul_f32_e32 v72, v75, v73
	v_xor_b32_e32 v73, 0x80000000, v73
.LBB64_511:
	s_and_not1_saveexec_b32 s1, s1
	s_cbranch_execz .LBB64_513
; %bb.512:
	s_delay_alu instid0(VALU_DEP_1) | instskip(SKIP_1) | instid1(VALU_DEP_2)
	v_div_scale_f32 v75, null, v72, v72, v73
	v_div_scale_f32 v83, vcc_lo, v73, v72, v73
	v_rcp_f32_e32 v81, v75
	v_nop
	s_delay_alu instid0(TRANS32_DEP_1) | instskip(NEXT) | instid1(VALU_DEP_1)
	v_fma_f32 v82, -v75, v81, 1.0
	v_fmac_f32_e32 v81, v82, v81
	s_delay_alu instid0(VALU_DEP_1) | instskip(NEXT) | instid1(VALU_DEP_1)
	v_mul_f32_e32 v82, v83, v81
	v_fma_f32 v84, -v75, v82, v83
	s_delay_alu instid0(VALU_DEP_1) | instskip(NEXT) | instid1(VALU_DEP_1)
	v_fmac_f32_e32 v82, v84, v81
	v_fma_f32 v75, -v75, v82, v83
	s_delay_alu instid0(VALU_DEP_1) | instskip(NEXT) | instid1(VALU_DEP_1)
	v_div_fmas_f32 v75, v75, v81, v82
	v_div_fixup_f32 v75, v75, v72, v73
	s_delay_alu instid0(VALU_DEP_1) | instskip(NEXT) | instid1(VALU_DEP_1)
	v_fmac_f32_e32 v72, v73, v75
	v_div_scale_f32 v73, null, v72, v72, 1.0
	s_delay_alu instid0(VALU_DEP_1) | instskip(SKIP_1) | instid1(TRANS32_DEP_1)
	v_rcp_f32_e32 v81, v73
	v_nop
	v_fma_f32 v82, -v73, v81, 1.0
	s_delay_alu instid0(VALU_DEP_1) | instskip(SKIP_1) | instid1(VALU_DEP_1)
	v_fmac_f32_e32 v81, v82, v81
	v_div_scale_f32 v82, vcc_lo, 1.0, v72, 1.0
	v_mul_f32_e32 v83, v82, v81
	s_delay_alu instid0(VALU_DEP_1) | instskip(NEXT) | instid1(VALU_DEP_1)
	v_fma_f32 v84, -v73, v83, v82
	v_fmac_f32_e32 v83, v84, v81
	s_delay_alu instid0(VALU_DEP_1) | instskip(NEXT) | instid1(VALU_DEP_1)
	v_fma_f32 v73, -v73, v83, v82
	v_div_fmas_f32 v73, v73, v81, v83
	s_delay_alu instid0(VALU_DEP_1) | instskip(NEXT) | instid1(VALU_DEP_1)
	v_div_fixup_f32 v72, v73, v72, 1.0
	v_mul_f32_e64 v73, v75, -v72
.LBB64_513:
	s_or_b32 exec_lo, exec_lo, s1
.LBB64_514:
	s_delay_alu instid0(SALU_CYCLE_1) | instskip(NEXT) | instid1(SALU_CYCLE_1)
	s_or_b32 exec_lo, exec_lo, s0
	s_mov_b32 s0, exec_lo
	v_cmpx_ne_u32_e64 v80, v74
	s_xor_b32 s0, exec_lo, s0
	s_cbranch_execz .LBB64_520
; %bb.515:
	s_mov_b32 s1, exec_lo
	v_cmpx_eq_u32_e32 24, v80
	s_cbranch_execz .LBB64_519
; %bb.516:
	v_cmp_ne_u32_e32 vcc_lo, 24, v74
	s_xor_b32 s12, s16, -1
	s_delay_alu instid0(SALU_CYCLE_1) | instskip(NEXT) | instid1(SALU_CYCLE_1)
	s_and_b32 s13, s12, vcc_lo
	s_and_saveexec_b32 s12, s13
	s_cbranch_execz .LBB64_518
; %bb.517:
	v_ashrrev_i32_e32 v75, 31, v74
	s_delay_alu instid0(VALU_DEP_1)
	v_lshl_add_u64 v[80:81], v[74:75], 2, v[4:5]
	s_clause 0x1
	global_load_b32 v75, v[80:81], off
	global_load_b32 v79, v[4:5], off offset:96
	s_wait_loadcnt 0x1
	global_store_b32 v[4:5], v75, off offset:96
	s_wait_loadcnt 0x0
	global_store_b32 v[80:81], v79, off
.LBB64_518:
	s_wait_xcnt 0x0
	s_or_b32 exec_lo, exec_lo, s12
	v_dual_mov_b32 v80, v74 :: v_dual_mov_b32 v79, v74
.LBB64_519:
	s_or_b32 exec_lo, exec_lo, s1
.LBB64_520:
	s_and_not1_saveexec_b32 s0, s0
	s_cbranch_execz .LBB64_522
; %bb.521:
	v_mov_b32_e32 v80, 24
	ds_store_2addr_b64 v76, v[18:19], v[24:25] offset0:25 offset1:26
	ds_store_2addr_b64 v76, v[16:17], v[6:7] offset0:27 offset1:28
	;; [unrolled: 1-line block ×4, first 2 shown]
.LBB64_522:
	s_or_b32 exec_lo, exec_lo, s0
	s_delay_alu instid0(SALU_CYCLE_1)
	s_mov_b32 s0, exec_lo
	s_wait_storecnt_dscnt 0x0
	s_barrier_signal -1
	s_barrier_wait -1
	v_cmpx_lt_i32_e32 24, v80
	s_cbranch_execz .LBB64_524
; %bb.523:
	v_pk_mul_f32 v[74:75], v[72:73], v[26:27] op_sel:[1,1] op_sel_hi:[0,1]
	s_delay_alu instid0(VALU_DEP_1)
	v_pk_fma_f32 v[82:83], v[72:73], v[26:27], v[74:75] op_sel_hi:[1,0,1] neg_lo:[0,0,1] neg_hi:[0,0,1]
	v_pk_fma_f32 v[84:85], v[72:73], v[26:27], v[74:75] op_sel_hi:[1,0,1]
	ds_load_2addr_b64 v[72:75], v76 offset0:25 offset1:26
	v_dual_mov_b32 v26, v82 :: v_dual_mov_b32 v27, v85
	s_wait_dscnt 0x0
	v_pk_mul_f32 v[86:87], v[72:73], v[84:85] op_sel:[0,1]
	s_delay_alu instid0(VALU_DEP_1) | instskip(SKIP_1) | instid1(VALU_DEP_1)
	v_pk_fma_f32 v[88:89], v[72:73], v[82:83], v[86:87] op_sel:[0,0,1] op_sel_hi:[1,1,0] neg_lo:[0,0,1] neg_hi:[0,0,1]
	v_pk_fma_f32 v[72:73], v[72:73], v[82:83], v[86:87] op_sel:[0,0,1] op_sel_hi:[1,0,0]
	v_mov_b32_e32 v89, v73
	v_pk_mul_f32 v[72:73], v[74:75], v[84:85] op_sel:[0,1]
	s_delay_alu instid0(VALU_DEP_1) | instskip(SKIP_1) | instid1(VALU_DEP_1)
	v_pk_fma_f32 v[86:87], v[74:75], v[82:83], v[72:73] op_sel:[0,0,1] op_sel_hi:[1,1,0] neg_lo:[0,0,1] neg_hi:[0,0,1]
	v_pk_fma_f32 v[72:73], v[74:75], v[82:83], v[72:73] op_sel:[0,0,1] op_sel_hi:[1,0,0]
	v_mov_b32_e32 v87, v73
	ds_load_2addr_b64 v[72:75], v76 offset0:27 offset1:28
	v_pk_add_f32 v[18:19], v[18:19], v[88:89] neg_lo:[0,1] neg_hi:[0,1]
	v_pk_add_f32 v[24:25], v[24:25], v[86:87] neg_lo:[0,1] neg_hi:[0,1]
	s_wait_dscnt 0x0
	v_pk_mul_f32 v[86:87], v[72:73], v[84:85] op_sel:[0,1]
	s_delay_alu instid0(VALU_DEP_1) | instskip(SKIP_2) | instid1(VALU_DEP_2)
	v_pk_fma_f32 v[88:89], v[72:73], v[82:83], v[86:87] op_sel:[0,0,1] op_sel_hi:[1,1,0] neg_lo:[0,0,1] neg_hi:[0,0,1]
	v_pk_fma_f32 v[72:73], v[72:73], v[82:83], v[86:87] op_sel:[0,0,1] op_sel_hi:[1,0,0]
	v_dual_mul_f32 v86, v75, v85 :: v_dual_mov_b32 v72, v75
	v_dual_mov_b32 v89, v73 :: v_dual_mov_b32 v73, v74
	s_delay_alu instid0(VALU_DEP_2) | instskip(SKIP_1) | instid1(VALU_DEP_3)
	v_pk_fma_f32 v[86:87], v[74:75], v[26:27], v[86:87] op_sel_hi:[1,1,0] neg_lo:[0,0,1] neg_hi:[0,0,1]
	v_mul_f32_e32 v74, v75, v82
	v_pk_add_f32 v[16:17], v[16:17], v[88:89] neg_lo:[0,1] neg_hi:[0,1]
	s_delay_alu instid0(VALU_DEP_2) | instskip(NEXT) | instid1(VALU_DEP_1)
	v_pk_fma_f32 v[72:73], v[72:73], v[26:27], v[74:75] op_sel_hi:[1,1,0]
	v_mov_b32_e32 v87, v73
	ds_load_2addr_b64 v[72:75], v76 offset0:29 offset1:30
	v_pk_add_f32 v[6:7], v[6:7], v[86:87] neg_lo:[0,1] neg_hi:[0,1]
	s_wait_dscnt 0x0
	v_pk_mul_f32 v[86:87], v[72:73], v[84:85] op_sel:[0,1]
	s_delay_alu instid0(VALU_DEP_1) | instskip(SKIP_1) | instid1(VALU_DEP_1)
	v_pk_fma_f32 v[88:89], v[72:73], v[82:83], v[86:87] op_sel:[0,0,1] op_sel_hi:[1,1,0] neg_lo:[0,0,1] neg_hi:[0,0,1]
	v_pk_fma_f32 v[72:73], v[72:73], v[82:83], v[86:87] op_sel:[0,0,1] op_sel_hi:[1,0,0]
	v_mov_b32_e32 v89, v73
	v_pk_mul_f32 v[72:73], v[74:75], v[84:85] op_sel:[0,1]
	s_delay_alu instid0(VALU_DEP_1) | instskip(SKIP_1) | instid1(VALU_DEP_1)
	v_pk_fma_f32 v[86:87], v[74:75], v[82:83], v[72:73] op_sel:[0,0,1] op_sel_hi:[1,1,0] neg_lo:[0,0,1] neg_hi:[0,0,1]
	v_pk_fma_f32 v[72:73], v[74:75], v[82:83], v[72:73] op_sel:[0,0,1] op_sel_hi:[1,0,0]
	v_mov_b32_e32 v87, v73
	ds_load_2addr_b64 v[72:75], v76 offset0:31 offset1:32
	v_pk_add_f32 v[52:53], v[52:53], v[88:89] neg_lo:[0,1] neg_hi:[0,1]
	v_pk_add_f32 v[42:43], v[42:43], v[86:87] neg_lo:[0,1] neg_hi:[0,1]
	s_wait_dscnt 0x0
	v_pk_mul_f32 v[86:87], v[72:73], v[84:85] op_sel:[0,1]
	s_delay_alu instid0(VALU_DEP_1) | instskip(SKIP_1) | instid1(VALU_DEP_1)
	v_pk_fma_f32 v[88:89], v[72:73], v[82:83], v[86:87] op_sel:[0,0,1] op_sel_hi:[1,1,0] neg_lo:[0,0,1] neg_hi:[0,0,1]
	v_pk_fma_f32 v[72:73], v[72:73], v[82:83], v[86:87] op_sel:[0,0,1] op_sel_hi:[1,0,0]
	v_mov_b32_e32 v89, v73
	v_pk_mul_f32 v[72:73], v[74:75], v[84:85] op_sel:[0,1]
	s_delay_alu instid0(VALU_DEP_1) | instskip(SKIP_1) | instid1(VALU_DEP_1)
	v_pk_fma_f32 v[84:85], v[74:75], v[82:83], v[72:73] op_sel:[0,0,1] op_sel_hi:[1,1,0] neg_lo:[0,0,1] neg_hi:[0,0,1]
	v_pk_fma_f32 v[72:73], v[74:75], v[82:83], v[72:73] op_sel:[0,0,1] op_sel_hi:[1,0,0]
	v_mov_b32_e32 v85, v73
	v_pk_add_f32 v[32:33], v[32:33], v[88:89] neg_lo:[0,1] neg_hi:[0,1]
	s_delay_alu instid0(VALU_DEP_2)
	v_pk_add_f32 v[70:71], v[70:71], v[84:85] neg_lo:[0,1] neg_hi:[0,1]
.LBB64_524:
	s_or_b32 exec_lo, exec_lo, s0
	v_lshl_add_u32 v72, v80, 3, v76
	s_barrier_signal -1
	s_barrier_wait -1
	ds_store_b64 v72, v[18:19]
	s_wait_dscnt 0x0
	s_barrier_signal -1
	s_barrier_wait -1
	ds_load_b64 v[72:73], v76 offset:200
	v_mov_b32_e32 v74, 25
	s_cmp_lt_i32 s18, 27
	s_cbranch_scc1 .LBB64_527
; %bb.525:
	v_add3_u32 v75, v77, 0, 0xd0
	v_mov_b32_e32 v74, 25
	s_mov_b32 s0, 26
.LBB64_526:                             ; =>This Inner Loop Header: Depth=1
	ds_load_b64 v[82:83], v75
	s_wait_dscnt 0x1
	v_cmp_gt_f32_e32 vcc_lo, 0, v72
	v_cndmask_b32_e64 v84, v72, -v72, vcc_lo
	v_cmp_gt_f32_e32 vcc_lo, 0, v73
	v_cndmask_b32_e64 v86, v73, -v73, vcc_lo
	s_wait_dscnt 0x0
	v_cmp_gt_f32_e32 vcc_lo, 0, v82
	v_cndmask_b32_e64 v85, v82, -v82, vcc_lo
	v_cmp_gt_f32_e32 vcc_lo, 0, v83
	v_cndmask_b32_e64 v87, v83, -v83, vcc_lo
	s_delay_alu instid0(VALU_DEP_1) | instskip(NEXT) | instid1(VALU_DEP_1)
	v_pk_add_f32 v[84:85], v[84:85], v[86:87]
	v_cmp_lt_f32_e32 vcc_lo, v84, v85
	v_dual_cndmask_b32 v72, v72, v82 :: v_dual_add_nc_u32 v75, 8, v75
	v_cndmask_b32_e32 v73, v73, v83, vcc_lo
	v_cndmask_b32_e64 v74, v74, s0, vcc_lo
	s_add_co_i32 s0, s0, 1
	s_delay_alu instid0(SALU_CYCLE_1)
	s_cmp_lg_u32 s18, s0
	s_cbranch_scc1 .LBB64_526
.LBB64_527:
	s_wait_dscnt 0x0
	v_cmp_eq_f32_e32 vcc_lo, 0, v72
	v_cmp_eq_f32_e64 s0, 0, v73
	s_and_b32 s0, vcc_lo, s0
	s_delay_alu instid0(SALU_CYCLE_1) | instskip(NEXT) | instid1(SALU_CYCLE_1)
	s_and_saveexec_b32 s1, s0
	s_xor_b32 s0, exec_lo, s1
; %bb.528:
	v_cmp_ne_u32_e32 vcc_lo, 0, v78
	v_cndmask_b32_e32 v78, 26, v78, vcc_lo
; %bb.529:
	s_and_not1_saveexec_b32 s0, s0
	s_cbranch_execz .LBB64_535
; %bb.530:
	v_cmp_ngt_f32_e64 s1, |v72|, |v73|
	s_and_saveexec_b32 s12, s1
	s_delay_alu instid0(SALU_CYCLE_1)
	s_xor_b32 s1, exec_lo, s12
	s_cbranch_execz .LBB64_532
; %bb.531:
	v_div_scale_f32 v75, null, v73, v73, v72
	v_div_scale_f32 v83, vcc_lo, v72, v73, v72
	s_delay_alu instid0(VALU_DEP_2) | instskip(SKIP_1) | instid1(TRANS32_DEP_1)
	v_rcp_f32_e32 v81, v75
	v_nop
	v_fma_f32 v82, -v75, v81, 1.0
	s_delay_alu instid0(VALU_DEP_1) | instskip(NEXT) | instid1(VALU_DEP_1)
	v_fmac_f32_e32 v81, v82, v81
	v_mul_f32_e32 v82, v83, v81
	s_delay_alu instid0(VALU_DEP_1) | instskip(NEXT) | instid1(VALU_DEP_1)
	v_fma_f32 v84, -v75, v82, v83
	v_fmac_f32_e32 v82, v84, v81
	s_delay_alu instid0(VALU_DEP_1) | instskip(NEXT) | instid1(VALU_DEP_1)
	v_fma_f32 v75, -v75, v82, v83
	v_div_fmas_f32 v75, v75, v81, v82
	s_delay_alu instid0(VALU_DEP_1) | instskip(NEXT) | instid1(VALU_DEP_1)
	v_div_fixup_f32 v75, v75, v73, v72
	v_fmac_f32_e32 v73, v72, v75
	s_delay_alu instid0(VALU_DEP_1) | instskip(SKIP_1) | instid1(VALU_DEP_2)
	v_div_scale_f32 v72, null, v73, v73, 1.0
	v_div_scale_f32 v83, vcc_lo, 1.0, v73, 1.0
	v_rcp_f32_e32 v81, v72
	v_nop
	s_delay_alu instid0(TRANS32_DEP_1) | instskip(NEXT) | instid1(VALU_DEP_1)
	v_fma_f32 v82, -v72, v81, 1.0
	v_fmac_f32_e32 v81, v82, v81
	s_delay_alu instid0(VALU_DEP_1) | instskip(NEXT) | instid1(VALU_DEP_1)
	v_mul_f32_e32 v82, v83, v81
	v_fma_f32 v84, -v72, v82, v83
	s_delay_alu instid0(VALU_DEP_1) | instskip(NEXT) | instid1(VALU_DEP_1)
	v_fmac_f32_e32 v82, v84, v81
	v_fma_f32 v72, -v72, v82, v83
	s_delay_alu instid0(VALU_DEP_1) | instskip(NEXT) | instid1(VALU_DEP_1)
	v_div_fmas_f32 v72, v72, v81, v82
	v_div_fixup_f32 v73, v72, v73, 1.0
	s_delay_alu instid0(VALU_DEP_1)
	v_mul_f32_e32 v72, v75, v73
	v_xor_b32_e32 v73, 0x80000000, v73
.LBB64_532:
	s_and_not1_saveexec_b32 s1, s1
	s_cbranch_execz .LBB64_534
; %bb.533:
	s_delay_alu instid0(VALU_DEP_1) | instskip(SKIP_1) | instid1(VALU_DEP_2)
	v_div_scale_f32 v75, null, v72, v72, v73
	v_div_scale_f32 v83, vcc_lo, v73, v72, v73
	v_rcp_f32_e32 v81, v75
	v_nop
	s_delay_alu instid0(TRANS32_DEP_1) | instskip(NEXT) | instid1(VALU_DEP_1)
	v_fma_f32 v82, -v75, v81, 1.0
	v_fmac_f32_e32 v81, v82, v81
	s_delay_alu instid0(VALU_DEP_1) | instskip(NEXT) | instid1(VALU_DEP_1)
	v_mul_f32_e32 v82, v83, v81
	v_fma_f32 v84, -v75, v82, v83
	s_delay_alu instid0(VALU_DEP_1) | instskip(NEXT) | instid1(VALU_DEP_1)
	v_fmac_f32_e32 v82, v84, v81
	v_fma_f32 v75, -v75, v82, v83
	s_delay_alu instid0(VALU_DEP_1) | instskip(NEXT) | instid1(VALU_DEP_1)
	v_div_fmas_f32 v75, v75, v81, v82
	v_div_fixup_f32 v75, v75, v72, v73
	s_delay_alu instid0(VALU_DEP_1) | instskip(NEXT) | instid1(VALU_DEP_1)
	v_fmac_f32_e32 v72, v73, v75
	v_div_scale_f32 v73, null, v72, v72, 1.0
	s_delay_alu instid0(VALU_DEP_1) | instskip(SKIP_1) | instid1(TRANS32_DEP_1)
	v_rcp_f32_e32 v81, v73
	v_nop
	v_fma_f32 v82, -v73, v81, 1.0
	s_delay_alu instid0(VALU_DEP_1) | instskip(SKIP_1) | instid1(VALU_DEP_1)
	v_fmac_f32_e32 v81, v82, v81
	v_div_scale_f32 v82, vcc_lo, 1.0, v72, 1.0
	v_mul_f32_e32 v83, v82, v81
	s_delay_alu instid0(VALU_DEP_1) | instskip(NEXT) | instid1(VALU_DEP_1)
	v_fma_f32 v84, -v73, v83, v82
	v_fmac_f32_e32 v83, v84, v81
	s_delay_alu instid0(VALU_DEP_1) | instskip(NEXT) | instid1(VALU_DEP_1)
	v_fma_f32 v73, -v73, v83, v82
	v_div_fmas_f32 v73, v73, v81, v83
	s_delay_alu instid0(VALU_DEP_1) | instskip(NEXT) | instid1(VALU_DEP_1)
	v_div_fixup_f32 v72, v73, v72, 1.0
	v_mul_f32_e64 v73, v75, -v72
.LBB64_534:
	s_or_b32 exec_lo, exec_lo, s1
.LBB64_535:
	s_delay_alu instid0(SALU_CYCLE_1) | instskip(NEXT) | instid1(SALU_CYCLE_1)
	s_or_b32 exec_lo, exec_lo, s0
	s_mov_b32 s0, exec_lo
	v_cmpx_ne_u32_e64 v80, v74
	s_xor_b32 s0, exec_lo, s0
	s_cbranch_execz .LBB64_541
; %bb.536:
	s_mov_b32 s1, exec_lo
	v_cmpx_eq_u32_e32 25, v80
	s_cbranch_execz .LBB64_540
; %bb.537:
	v_cmp_ne_u32_e32 vcc_lo, 25, v74
	s_xor_b32 s12, s16, -1
	s_delay_alu instid0(SALU_CYCLE_1) | instskip(NEXT) | instid1(SALU_CYCLE_1)
	s_and_b32 s13, s12, vcc_lo
	s_and_saveexec_b32 s12, s13
	s_cbranch_execz .LBB64_539
; %bb.538:
	v_ashrrev_i32_e32 v75, 31, v74
	s_delay_alu instid0(VALU_DEP_1)
	v_lshl_add_u64 v[80:81], v[74:75], 2, v[4:5]
	s_clause 0x1
	global_load_b32 v75, v[80:81], off
	global_load_b32 v79, v[4:5], off offset:100
	s_wait_loadcnt 0x1
	global_store_b32 v[4:5], v75, off offset:100
	s_wait_loadcnt 0x0
	global_store_b32 v[80:81], v79, off
.LBB64_539:
	s_wait_xcnt 0x0
	s_or_b32 exec_lo, exec_lo, s12
	v_dual_mov_b32 v80, v74 :: v_dual_mov_b32 v79, v74
.LBB64_540:
	s_or_b32 exec_lo, exec_lo, s1
.LBB64_541:
	s_and_not1_saveexec_b32 s0, s0
	s_cbranch_execz .LBB64_543
; %bb.542:
	v_dual_mov_b32 v74, v24 :: v_dual_mov_b32 v75, v25
	v_dual_mov_b32 v82, v16 :: v_dual_mov_b32 v83, v17
	;; [unrolled: 1-line block ×6, first 2 shown]
	v_mov_b32_e32 v91, v33
	ds_store_2addr_b64 v76, v[74:75], v[82:83] offset0:26 offset1:27
	ds_store_2addr_b64 v76, v[84:85], v[86:87] offset0:28 offset1:29
	;; [unrolled: 1-line block ×3, first 2 shown]
	ds_store_b64 v76, v[70:71] offset:256
.LBB64_543:
	s_or_b32 exec_lo, exec_lo, s0
	s_delay_alu instid0(SALU_CYCLE_1)
	s_mov_b32 s0, exec_lo
	s_wait_storecnt_dscnt 0x0
	s_barrier_signal -1
	s_barrier_wait -1
	v_cmpx_lt_i32_e32 25, v80
	s_cbranch_execz .LBB64_545
; %bb.544:
	v_pk_mul_f32 v[74:75], v[72:73], v[18:19] op_sel:[1,1] op_sel_hi:[0,1]
	s_delay_alu instid0(VALU_DEP_1)
	v_pk_fma_f32 v[82:83], v[72:73], v[18:19], v[74:75] op_sel_hi:[1,0,1] neg_lo:[0,0,1] neg_hi:[0,0,1]
	v_pk_fma_f32 v[84:85], v[72:73], v[18:19], v[74:75] op_sel_hi:[1,0,1]
	ds_load_2addr_b64 v[72:75], v76 offset0:26 offset1:27
	v_dual_mov_b32 v18, v82 :: v_dual_mov_b32 v19, v85
	s_wait_dscnt 0x0
	v_pk_mul_f32 v[86:87], v[72:73], v[84:85] op_sel:[0,1]
	s_delay_alu instid0(VALU_DEP_1) | instskip(SKIP_1) | instid1(VALU_DEP_1)
	v_pk_fma_f32 v[88:89], v[72:73], v[82:83], v[86:87] op_sel:[0,0,1] op_sel_hi:[1,1,0] neg_lo:[0,0,1] neg_hi:[0,0,1]
	v_pk_fma_f32 v[72:73], v[72:73], v[82:83], v[86:87] op_sel:[0,0,1] op_sel_hi:[1,0,0]
	v_mov_b32_e32 v89, v73
	v_pk_mul_f32 v[72:73], v[74:75], v[84:85] op_sel:[0,1]
	s_delay_alu instid0(VALU_DEP_1) | instskip(SKIP_1) | instid1(VALU_DEP_1)
	v_pk_fma_f32 v[86:87], v[74:75], v[82:83], v[72:73] op_sel:[0,0,1] op_sel_hi:[1,1,0] neg_lo:[0,0,1] neg_hi:[0,0,1]
	v_pk_fma_f32 v[72:73], v[74:75], v[82:83], v[72:73] op_sel:[0,0,1] op_sel_hi:[1,0,0]
	v_mov_b32_e32 v87, v73
	ds_load_2addr_b64 v[72:75], v76 offset0:28 offset1:29
	v_pk_add_f32 v[24:25], v[24:25], v[88:89] neg_lo:[0,1] neg_hi:[0,1]
	v_pk_add_f32 v[16:17], v[16:17], v[86:87] neg_lo:[0,1] neg_hi:[0,1]
	s_wait_dscnt 0x0
	v_pk_mul_f32 v[86:87], v[72:73], v[84:85] op_sel:[0,1]
	s_delay_alu instid0(VALU_DEP_1) | instskip(SKIP_2) | instid1(VALU_DEP_2)
	v_pk_fma_f32 v[88:89], v[72:73], v[82:83], v[86:87] op_sel:[0,0,1] op_sel_hi:[1,1,0] neg_lo:[0,0,1] neg_hi:[0,0,1]
	v_pk_fma_f32 v[72:73], v[72:73], v[82:83], v[86:87] op_sel:[0,0,1] op_sel_hi:[1,0,0]
	v_dual_mul_f32 v86, v75, v85 :: v_dual_mov_b32 v72, v75
	v_dual_mov_b32 v89, v73 :: v_dual_mov_b32 v73, v74
	s_delay_alu instid0(VALU_DEP_2) | instskip(SKIP_1) | instid1(VALU_DEP_3)
	v_pk_fma_f32 v[86:87], v[74:75], v[18:19], v[86:87] op_sel_hi:[1,1,0] neg_lo:[0,0,1] neg_hi:[0,0,1]
	v_mul_f32_e32 v74, v75, v82
	v_pk_add_f32 v[6:7], v[6:7], v[88:89] neg_lo:[0,1] neg_hi:[0,1]
	s_delay_alu instid0(VALU_DEP_2) | instskip(NEXT) | instid1(VALU_DEP_1)
	v_pk_fma_f32 v[72:73], v[72:73], v[18:19], v[74:75] op_sel_hi:[1,1,0]
	v_mov_b32_e32 v87, v73
	ds_load_2addr_b64 v[72:75], v76 offset0:30 offset1:31
	v_pk_add_f32 v[52:53], v[52:53], v[86:87] neg_lo:[0,1] neg_hi:[0,1]
	s_wait_dscnt 0x0
	v_pk_mul_f32 v[86:87], v[72:73], v[84:85] op_sel:[0,1]
	s_delay_alu instid0(VALU_DEP_1) | instskip(SKIP_1) | instid1(VALU_DEP_1)
	v_pk_fma_f32 v[88:89], v[72:73], v[82:83], v[86:87] op_sel:[0,0,1] op_sel_hi:[1,1,0] neg_lo:[0,0,1] neg_hi:[0,0,1]
	v_pk_fma_f32 v[72:73], v[72:73], v[82:83], v[86:87] op_sel:[0,0,1] op_sel_hi:[1,0,0]
	v_mov_b32_e32 v89, v73
	v_pk_mul_f32 v[72:73], v[74:75], v[84:85] op_sel:[0,1]
	s_delay_alu instid0(VALU_DEP_1) | instskip(SKIP_1) | instid1(VALU_DEP_1)
	v_pk_fma_f32 v[86:87], v[74:75], v[82:83], v[72:73] op_sel:[0,0,1] op_sel_hi:[1,1,0] neg_lo:[0,0,1] neg_hi:[0,0,1]
	v_pk_fma_f32 v[72:73], v[74:75], v[82:83], v[72:73] op_sel:[0,0,1] op_sel_hi:[1,0,0]
	v_mov_b32_e32 v87, v73
	ds_load_b64 v[72:73], v76 offset:256
	v_pk_add_f32 v[42:43], v[42:43], v[88:89] neg_lo:[0,1] neg_hi:[0,1]
	v_pk_add_f32 v[32:33], v[32:33], v[86:87] neg_lo:[0,1] neg_hi:[0,1]
	s_wait_dscnt 0x0
	v_pk_mul_f32 v[74:75], v[72:73], v[84:85] op_sel:[0,1]
	s_delay_alu instid0(VALU_DEP_1) | instskip(SKIP_1) | instid1(VALU_DEP_1)
	v_pk_fma_f32 v[84:85], v[72:73], v[82:83], v[74:75] op_sel:[0,0,1] op_sel_hi:[1,1,0] neg_lo:[0,0,1] neg_hi:[0,0,1]
	v_pk_fma_f32 v[72:73], v[72:73], v[82:83], v[74:75] op_sel:[0,0,1] op_sel_hi:[1,0,0]
	v_mov_b32_e32 v85, v73
	s_delay_alu instid0(VALU_DEP_1)
	v_pk_add_f32 v[70:71], v[70:71], v[84:85] neg_lo:[0,1] neg_hi:[0,1]
.LBB64_545:
	s_or_b32 exec_lo, exec_lo, s0
	v_lshl_add_u32 v72, v80, 3, v76
	s_barrier_signal -1
	s_barrier_wait -1
	ds_store_b64 v72, v[24:25]
	s_wait_dscnt 0x0
	s_barrier_signal -1
	s_barrier_wait -1
	ds_load_b64 v[72:73], v76 offset:208
	v_mov_b32_e32 v74, 26
	s_cmp_lt_i32 s18, 28
	s_cbranch_scc1 .LBB64_548
; %bb.546:
	v_add3_u32 v75, v77, 0, 0xd8
	v_mov_b32_e32 v74, 26
	s_mov_b32 s0, 27
.LBB64_547:                             ; =>This Inner Loop Header: Depth=1
	ds_load_b64 v[82:83], v75
	s_wait_dscnt 0x1
	v_cmp_gt_f32_e32 vcc_lo, 0, v72
	v_cndmask_b32_e64 v84, v72, -v72, vcc_lo
	v_cmp_gt_f32_e32 vcc_lo, 0, v73
	v_cndmask_b32_e64 v86, v73, -v73, vcc_lo
	s_wait_dscnt 0x0
	v_cmp_gt_f32_e32 vcc_lo, 0, v82
	v_cndmask_b32_e64 v85, v82, -v82, vcc_lo
	v_cmp_gt_f32_e32 vcc_lo, 0, v83
	v_cndmask_b32_e64 v87, v83, -v83, vcc_lo
	s_delay_alu instid0(VALU_DEP_1) | instskip(NEXT) | instid1(VALU_DEP_1)
	v_pk_add_f32 v[84:85], v[84:85], v[86:87]
	v_cmp_lt_f32_e32 vcc_lo, v84, v85
	v_dual_cndmask_b32 v72, v72, v82 :: v_dual_add_nc_u32 v75, 8, v75
	v_cndmask_b32_e32 v73, v73, v83, vcc_lo
	v_cndmask_b32_e64 v74, v74, s0, vcc_lo
	s_add_co_i32 s0, s0, 1
	s_delay_alu instid0(SALU_CYCLE_1)
	s_cmp_lg_u32 s18, s0
	s_cbranch_scc1 .LBB64_547
.LBB64_548:
	s_wait_dscnt 0x0
	v_cmp_eq_f32_e32 vcc_lo, 0, v72
	v_cmp_eq_f32_e64 s0, 0, v73
	s_and_b32 s0, vcc_lo, s0
	s_delay_alu instid0(SALU_CYCLE_1) | instskip(NEXT) | instid1(SALU_CYCLE_1)
	s_and_saveexec_b32 s1, s0
	s_xor_b32 s0, exec_lo, s1
; %bb.549:
	v_cmp_ne_u32_e32 vcc_lo, 0, v78
	v_cndmask_b32_e32 v78, 27, v78, vcc_lo
; %bb.550:
	s_and_not1_saveexec_b32 s0, s0
	s_cbranch_execz .LBB64_556
; %bb.551:
	v_cmp_ngt_f32_e64 s1, |v72|, |v73|
	s_and_saveexec_b32 s12, s1
	s_delay_alu instid0(SALU_CYCLE_1)
	s_xor_b32 s1, exec_lo, s12
	s_cbranch_execz .LBB64_553
; %bb.552:
	v_div_scale_f32 v75, null, v73, v73, v72
	v_div_scale_f32 v83, vcc_lo, v72, v73, v72
	s_delay_alu instid0(VALU_DEP_2) | instskip(SKIP_1) | instid1(TRANS32_DEP_1)
	v_rcp_f32_e32 v81, v75
	v_nop
	v_fma_f32 v82, -v75, v81, 1.0
	s_delay_alu instid0(VALU_DEP_1) | instskip(NEXT) | instid1(VALU_DEP_1)
	v_fmac_f32_e32 v81, v82, v81
	v_mul_f32_e32 v82, v83, v81
	s_delay_alu instid0(VALU_DEP_1) | instskip(NEXT) | instid1(VALU_DEP_1)
	v_fma_f32 v84, -v75, v82, v83
	v_fmac_f32_e32 v82, v84, v81
	s_delay_alu instid0(VALU_DEP_1) | instskip(NEXT) | instid1(VALU_DEP_1)
	v_fma_f32 v75, -v75, v82, v83
	v_div_fmas_f32 v75, v75, v81, v82
	s_delay_alu instid0(VALU_DEP_1) | instskip(NEXT) | instid1(VALU_DEP_1)
	v_div_fixup_f32 v75, v75, v73, v72
	v_fmac_f32_e32 v73, v72, v75
	s_delay_alu instid0(VALU_DEP_1) | instskip(SKIP_1) | instid1(VALU_DEP_2)
	v_div_scale_f32 v72, null, v73, v73, 1.0
	v_div_scale_f32 v83, vcc_lo, 1.0, v73, 1.0
	v_rcp_f32_e32 v81, v72
	v_nop
	s_delay_alu instid0(TRANS32_DEP_1) | instskip(NEXT) | instid1(VALU_DEP_1)
	v_fma_f32 v82, -v72, v81, 1.0
	v_fmac_f32_e32 v81, v82, v81
	s_delay_alu instid0(VALU_DEP_1) | instskip(NEXT) | instid1(VALU_DEP_1)
	v_mul_f32_e32 v82, v83, v81
	v_fma_f32 v84, -v72, v82, v83
	s_delay_alu instid0(VALU_DEP_1) | instskip(NEXT) | instid1(VALU_DEP_1)
	v_fmac_f32_e32 v82, v84, v81
	v_fma_f32 v72, -v72, v82, v83
	s_delay_alu instid0(VALU_DEP_1) | instskip(NEXT) | instid1(VALU_DEP_1)
	v_div_fmas_f32 v72, v72, v81, v82
	v_div_fixup_f32 v73, v72, v73, 1.0
	s_delay_alu instid0(VALU_DEP_1)
	v_mul_f32_e32 v72, v75, v73
	v_xor_b32_e32 v73, 0x80000000, v73
.LBB64_553:
	s_and_not1_saveexec_b32 s1, s1
	s_cbranch_execz .LBB64_555
; %bb.554:
	s_delay_alu instid0(VALU_DEP_1) | instskip(SKIP_1) | instid1(VALU_DEP_2)
	v_div_scale_f32 v75, null, v72, v72, v73
	v_div_scale_f32 v83, vcc_lo, v73, v72, v73
	v_rcp_f32_e32 v81, v75
	v_nop
	s_delay_alu instid0(TRANS32_DEP_1) | instskip(NEXT) | instid1(VALU_DEP_1)
	v_fma_f32 v82, -v75, v81, 1.0
	v_fmac_f32_e32 v81, v82, v81
	s_delay_alu instid0(VALU_DEP_1) | instskip(NEXT) | instid1(VALU_DEP_1)
	v_mul_f32_e32 v82, v83, v81
	v_fma_f32 v84, -v75, v82, v83
	s_delay_alu instid0(VALU_DEP_1) | instskip(NEXT) | instid1(VALU_DEP_1)
	v_fmac_f32_e32 v82, v84, v81
	v_fma_f32 v75, -v75, v82, v83
	s_delay_alu instid0(VALU_DEP_1) | instskip(NEXT) | instid1(VALU_DEP_1)
	v_div_fmas_f32 v75, v75, v81, v82
	v_div_fixup_f32 v75, v75, v72, v73
	s_delay_alu instid0(VALU_DEP_1) | instskip(NEXT) | instid1(VALU_DEP_1)
	v_fmac_f32_e32 v72, v73, v75
	v_div_scale_f32 v73, null, v72, v72, 1.0
	s_delay_alu instid0(VALU_DEP_1) | instskip(SKIP_1) | instid1(TRANS32_DEP_1)
	v_rcp_f32_e32 v81, v73
	v_nop
	v_fma_f32 v82, -v73, v81, 1.0
	s_delay_alu instid0(VALU_DEP_1) | instskip(SKIP_1) | instid1(VALU_DEP_1)
	v_fmac_f32_e32 v81, v82, v81
	v_div_scale_f32 v82, vcc_lo, 1.0, v72, 1.0
	v_mul_f32_e32 v83, v82, v81
	s_delay_alu instid0(VALU_DEP_1) | instskip(NEXT) | instid1(VALU_DEP_1)
	v_fma_f32 v84, -v73, v83, v82
	v_fmac_f32_e32 v83, v84, v81
	s_delay_alu instid0(VALU_DEP_1) | instskip(NEXT) | instid1(VALU_DEP_1)
	v_fma_f32 v73, -v73, v83, v82
	v_div_fmas_f32 v73, v73, v81, v83
	s_delay_alu instid0(VALU_DEP_1) | instskip(NEXT) | instid1(VALU_DEP_1)
	v_div_fixup_f32 v72, v73, v72, 1.0
	v_mul_f32_e64 v73, v75, -v72
.LBB64_555:
	s_or_b32 exec_lo, exec_lo, s1
.LBB64_556:
	s_delay_alu instid0(SALU_CYCLE_1) | instskip(NEXT) | instid1(SALU_CYCLE_1)
	s_or_b32 exec_lo, exec_lo, s0
	s_mov_b32 s0, exec_lo
	v_cmpx_ne_u32_e64 v80, v74
	s_xor_b32 s0, exec_lo, s0
	s_cbranch_execz .LBB64_562
; %bb.557:
	s_mov_b32 s1, exec_lo
	v_cmpx_eq_u32_e32 26, v80
	s_cbranch_execz .LBB64_561
; %bb.558:
	v_cmp_ne_u32_e32 vcc_lo, 26, v74
	s_xor_b32 s12, s16, -1
	s_delay_alu instid0(SALU_CYCLE_1) | instskip(NEXT) | instid1(SALU_CYCLE_1)
	s_and_b32 s13, s12, vcc_lo
	s_and_saveexec_b32 s12, s13
	s_cbranch_execz .LBB64_560
; %bb.559:
	v_ashrrev_i32_e32 v75, 31, v74
	s_delay_alu instid0(VALU_DEP_1)
	v_lshl_add_u64 v[80:81], v[74:75], 2, v[4:5]
	s_clause 0x1
	global_load_b32 v75, v[80:81], off
	global_load_b32 v79, v[4:5], off offset:104
	s_wait_loadcnt 0x1
	global_store_b32 v[4:5], v75, off offset:104
	s_wait_loadcnt 0x0
	global_store_b32 v[80:81], v79, off
.LBB64_560:
	s_wait_xcnt 0x0
	s_or_b32 exec_lo, exec_lo, s12
	v_dual_mov_b32 v80, v74 :: v_dual_mov_b32 v79, v74
.LBB64_561:
	s_or_b32 exec_lo, exec_lo, s1
.LBB64_562:
	s_and_not1_saveexec_b32 s0, s0
	s_cbranch_execz .LBB64_564
; %bb.563:
	v_mov_b32_e32 v80, 26
	ds_store_2addr_b64 v76, v[16:17], v[6:7] offset0:27 offset1:28
	ds_store_2addr_b64 v76, v[52:53], v[42:43] offset0:29 offset1:30
	;; [unrolled: 1-line block ×3, first 2 shown]
.LBB64_564:
	s_or_b32 exec_lo, exec_lo, s0
	s_delay_alu instid0(SALU_CYCLE_1)
	s_mov_b32 s0, exec_lo
	s_wait_storecnt_dscnt 0x0
	s_barrier_signal -1
	s_barrier_wait -1
	v_cmpx_lt_i32_e32 26, v80
	s_cbranch_execz .LBB64_566
; %bb.565:
	v_pk_mul_f32 v[74:75], v[72:73], v[24:25] op_sel:[1,1] op_sel_hi:[0,1]
	s_delay_alu instid0(VALU_DEP_1)
	v_pk_fma_f32 v[82:83], v[72:73], v[24:25], v[74:75] op_sel_hi:[1,0,1] neg_lo:[0,0,1] neg_hi:[0,0,1]
	v_pk_fma_f32 v[84:85], v[72:73], v[24:25], v[74:75] op_sel_hi:[1,0,1]
	ds_load_2addr_b64 v[72:75], v76 offset0:27 offset1:28
	v_dual_mov_b32 v24, v82 :: v_dual_mov_b32 v25, v85
	s_wait_dscnt 0x0
	v_pk_mul_f32 v[86:87], v[72:73], v[84:85] op_sel:[0,1]
	s_delay_alu instid0(VALU_DEP_1) | instskip(SKIP_1) | instid1(VALU_DEP_1)
	v_pk_fma_f32 v[88:89], v[72:73], v[82:83], v[86:87] op_sel:[0,0,1] op_sel_hi:[1,1,0] neg_lo:[0,0,1] neg_hi:[0,0,1]
	v_pk_fma_f32 v[72:73], v[72:73], v[82:83], v[86:87] op_sel:[0,0,1] op_sel_hi:[1,0,0]
	v_mov_b32_e32 v89, v73
	v_pk_mul_f32 v[72:73], v[74:75], v[84:85] op_sel:[0,1]
	s_delay_alu instid0(VALU_DEP_1) | instskip(SKIP_1) | instid1(VALU_DEP_1)
	v_pk_fma_f32 v[86:87], v[74:75], v[82:83], v[72:73] op_sel:[0,0,1] op_sel_hi:[1,1,0] neg_lo:[0,0,1] neg_hi:[0,0,1]
	v_pk_fma_f32 v[72:73], v[74:75], v[82:83], v[72:73] op_sel:[0,0,1] op_sel_hi:[1,0,0]
	v_mov_b32_e32 v87, v73
	ds_load_2addr_b64 v[72:75], v76 offset0:29 offset1:30
	v_pk_add_f32 v[16:17], v[16:17], v[88:89] neg_lo:[0,1] neg_hi:[0,1]
	v_pk_add_f32 v[6:7], v[6:7], v[86:87] neg_lo:[0,1] neg_hi:[0,1]
	s_wait_dscnt 0x0
	v_pk_mul_f32 v[86:87], v[72:73], v[84:85] op_sel:[0,1]
	s_delay_alu instid0(VALU_DEP_1) | instskip(SKIP_2) | instid1(VALU_DEP_2)
	v_pk_fma_f32 v[88:89], v[72:73], v[82:83], v[86:87] op_sel:[0,0,1] op_sel_hi:[1,1,0] neg_lo:[0,0,1] neg_hi:[0,0,1]
	v_pk_fma_f32 v[72:73], v[72:73], v[82:83], v[86:87] op_sel:[0,0,1] op_sel_hi:[1,0,0]
	v_dual_mul_f32 v86, v75, v85 :: v_dual_mov_b32 v72, v75
	v_dual_mov_b32 v89, v73 :: v_dual_mov_b32 v73, v74
	s_delay_alu instid0(VALU_DEP_2) | instskip(SKIP_1) | instid1(VALU_DEP_3)
	v_pk_fma_f32 v[86:87], v[74:75], v[24:25], v[86:87] op_sel_hi:[1,1,0] neg_lo:[0,0,1] neg_hi:[0,0,1]
	v_mul_f32_e32 v74, v75, v82
	v_pk_add_f32 v[52:53], v[52:53], v[88:89] neg_lo:[0,1] neg_hi:[0,1]
	s_delay_alu instid0(VALU_DEP_2) | instskip(NEXT) | instid1(VALU_DEP_1)
	v_pk_fma_f32 v[72:73], v[72:73], v[24:25], v[74:75] op_sel_hi:[1,1,0]
	v_mov_b32_e32 v87, v73
	ds_load_2addr_b64 v[72:75], v76 offset0:31 offset1:32
	v_pk_add_f32 v[42:43], v[42:43], v[86:87] neg_lo:[0,1] neg_hi:[0,1]
	s_wait_dscnt 0x0
	v_pk_mul_f32 v[86:87], v[72:73], v[84:85] op_sel:[0,1]
	v_mul_f32_e32 v84, v75, v85
	s_delay_alu instid0(VALU_DEP_2) | instskip(SKIP_2) | instid1(VALU_DEP_4)
	v_pk_fma_f32 v[88:89], v[72:73], v[82:83], v[86:87] op_sel:[0,0,1] op_sel_hi:[1,1,0] neg_lo:[0,0,1] neg_hi:[0,0,1]
	v_pk_fma_f32 v[72:73], v[72:73], v[82:83], v[86:87] op_sel:[0,0,1] op_sel_hi:[1,0,0]
	v_mov_b32_e32 v72, v75
	v_pk_fma_f32 v[84:85], v[74:75], v[24:25], v[84:85] op_sel_hi:[1,1,0] neg_lo:[0,0,1] neg_hi:[0,0,1]
	s_delay_alu instid0(VALU_DEP_3) | instskip(SKIP_1) | instid1(VALU_DEP_2)
	v_dual_mov_b32 v89, v73 :: v_dual_mov_b32 v73, v74
	v_mul_f32_e32 v74, v75, v82
	v_pk_add_f32 v[32:33], v[32:33], v[88:89] neg_lo:[0,1] neg_hi:[0,1]
	s_delay_alu instid0(VALU_DEP_2) | instskip(NEXT) | instid1(VALU_DEP_1)
	v_pk_fma_f32 v[72:73], v[72:73], v[24:25], v[74:75] op_sel_hi:[1,1,0]
	v_mov_b32_e32 v85, v73
	s_delay_alu instid0(VALU_DEP_1)
	v_pk_add_f32 v[70:71], v[70:71], v[84:85] neg_lo:[0,1] neg_hi:[0,1]
.LBB64_566:
	s_or_b32 exec_lo, exec_lo, s0
	v_lshl_add_u32 v72, v80, 3, v76
	s_barrier_signal -1
	s_barrier_wait -1
	ds_store_b64 v72, v[16:17]
	s_wait_dscnt 0x0
	s_barrier_signal -1
	s_barrier_wait -1
	ds_load_b64 v[72:73], v76 offset:216
	v_mov_b32_e32 v74, 27
	s_cmp_lt_i32 s18, 29
	s_cbranch_scc1 .LBB64_569
; %bb.567:
	v_add3_u32 v75, v77, 0, 0xe0
	v_mov_b32_e32 v74, 27
	s_mov_b32 s0, 28
.LBB64_568:                             ; =>This Inner Loop Header: Depth=1
	ds_load_b64 v[82:83], v75
	s_wait_dscnt 0x1
	v_cmp_gt_f32_e32 vcc_lo, 0, v72
	v_cndmask_b32_e64 v84, v72, -v72, vcc_lo
	v_cmp_gt_f32_e32 vcc_lo, 0, v73
	v_cndmask_b32_e64 v86, v73, -v73, vcc_lo
	s_wait_dscnt 0x0
	v_cmp_gt_f32_e32 vcc_lo, 0, v82
	v_cndmask_b32_e64 v85, v82, -v82, vcc_lo
	v_cmp_gt_f32_e32 vcc_lo, 0, v83
	v_cndmask_b32_e64 v87, v83, -v83, vcc_lo
	s_delay_alu instid0(VALU_DEP_1) | instskip(NEXT) | instid1(VALU_DEP_1)
	v_pk_add_f32 v[84:85], v[84:85], v[86:87]
	v_cmp_lt_f32_e32 vcc_lo, v84, v85
	v_dual_cndmask_b32 v72, v72, v82 :: v_dual_add_nc_u32 v75, 8, v75
	v_cndmask_b32_e32 v73, v73, v83, vcc_lo
	v_cndmask_b32_e64 v74, v74, s0, vcc_lo
	s_add_co_i32 s0, s0, 1
	s_delay_alu instid0(SALU_CYCLE_1)
	s_cmp_lg_u32 s18, s0
	s_cbranch_scc1 .LBB64_568
.LBB64_569:
	s_wait_dscnt 0x0
	v_cmp_eq_f32_e32 vcc_lo, 0, v72
	v_cmp_eq_f32_e64 s0, 0, v73
	s_and_b32 s0, vcc_lo, s0
	s_delay_alu instid0(SALU_CYCLE_1) | instskip(NEXT) | instid1(SALU_CYCLE_1)
	s_and_saveexec_b32 s1, s0
	s_xor_b32 s0, exec_lo, s1
; %bb.570:
	v_cmp_ne_u32_e32 vcc_lo, 0, v78
	v_cndmask_b32_e32 v78, 28, v78, vcc_lo
; %bb.571:
	s_and_not1_saveexec_b32 s0, s0
	s_cbranch_execz .LBB64_577
; %bb.572:
	v_cmp_ngt_f32_e64 s1, |v72|, |v73|
	s_and_saveexec_b32 s12, s1
	s_delay_alu instid0(SALU_CYCLE_1)
	s_xor_b32 s1, exec_lo, s12
	s_cbranch_execz .LBB64_574
; %bb.573:
	v_div_scale_f32 v75, null, v73, v73, v72
	v_div_scale_f32 v83, vcc_lo, v72, v73, v72
	s_delay_alu instid0(VALU_DEP_2) | instskip(SKIP_1) | instid1(TRANS32_DEP_1)
	v_rcp_f32_e32 v81, v75
	v_nop
	v_fma_f32 v82, -v75, v81, 1.0
	s_delay_alu instid0(VALU_DEP_1) | instskip(NEXT) | instid1(VALU_DEP_1)
	v_fmac_f32_e32 v81, v82, v81
	v_mul_f32_e32 v82, v83, v81
	s_delay_alu instid0(VALU_DEP_1) | instskip(NEXT) | instid1(VALU_DEP_1)
	v_fma_f32 v84, -v75, v82, v83
	v_fmac_f32_e32 v82, v84, v81
	s_delay_alu instid0(VALU_DEP_1) | instskip(NEXT) | instid1(VALU_DEP_1)
	v_fma_f32 v75, -v75, v82, v83
	v_div_fmas_f32 v75, v75, v81, v82
	s_delay_alu instid0(VALU_DEP_1) | instskip(NEXT) | instid1(VALU_DEP_1)
	v_div_fixup_f32 v75, v75, v73, v72
	v_fmac_f32_e32 v73, v72, v75
	s_delay_alu instid0(VALU_DEP_1) | instskip(SKIP_1) | instid1(VALU_DEP_2)
	v_div_scale_f32 v72, null, v73, v73, 1.0
	v_div_scale_f32 v83, vcc_lo, 1.0, v73, 1.0
	v_rcp_f32_e32 v81, v72
	v_nop
	s_delay_alu instid0(TRANS32_DEP_1) | instskip(NEXT) | instid1(VALU_DEP_1)
	v_fma_f32 v82, -v72, v81, 1.0
	v_fmac_f32_e32 v81, v82, v81
	s_delay_alu instid0(VALU_DEP_1) | instskip(NEXT) | instid1(VALU_DEP_1)
	v_mul_f32_e32 v82, v83, v81
	v_fma_f32 v84, -v72, v82, v83
	s_delay_alu instid0(VALU_DEP_1) | instskip(NEXT) | instid1(VALU_DEP_1)
	v_fmac_f32_e32 v82, v84, v81
	v_fma_f32 v72, -v72, v82, v83
	s_delay_alu instid0(VALU_DEP_1) | instskip(NEXT) | instid1(VALU_DEP_1)
	v_div_fmas_f32 v72, v72, v81, v82
	v_div_fixup_f32 v73, v72, v73, 1.0
	s_delay_alu instid0(VALU_DEP_1)
	v_mul_f32_e32 v72, v75, v73
	v_xor_b32_e32 v73, 0x80000000, v73
.LBB64_574:
	s_and_not1_saveexec_b32 s1, s1
	s_cbranch_execz .LBB64_576
; %bb.575:
	s_delay_alu instid0(VALU_DEP_1) | instskip(SKIP_1) | instid1(VALU_DEP_2)
	v_div_scale_f32 v75, null, v72, v72, v73
	v_div_scale_f32 v83, vcc_lo, v73, v72, v73
	v_rcp_f32_e32 v81, v75
	v_nop
	s_delay_alu instid0(TRANS32_DEP_1) | instskip(NEXT) | instid1(VALU_DEP_1)
	v_fma_f32 v82, -v75, v81, 1.0
	v_fmac_f32_e32 v81, v82, v81
	s_delay_alu instid0(VALU_DEP_1) | instskip(NEXT) | instid1(VALU_DEP_1)
	v_mul_f32_e32 v82, v83, v81
	v_fma_f32 v84, -v75, v82, v83
	s_delay_alu instid0(VALU_DEP_1) | instskip(NEXT) | instid1(VALU_DEP_1)
	v_fmac_f32_e32 v82, v84, v81
	v_fma_f32 v75, -v75, v82, v83
	s_delay_alu instid0(VALU_DEP_1) | instskip(NEXT) | instid1(VALU_DEP_1)
	v_div_fmas_f32 v75, v75, v81, v82
	v_div_fixup_f32 v75, v75, v72, v73
	s_delay_alu instid0(VALU_DEP_1) | instskip(NEXT) | instid1(VALU_DEP_1)
	v_fmac_f32_e32 v72, v73, v75
	v_div_scale_f32 v73, null, v72, v72, 1.0
	s_delay_alu instid0(VALU_DEP_1) | instskip(SKIP_1) | instid1(TRANS32_DEP_1)
	v_rcp_f32_e32 v81, v73
	v_nop
	v_fma_f32 v82, -v73, v81, 1.0
	s_delay_alu instid0(VALU_DEP_1) | instskip(SKIP_1) | instid1(VALU_DEP_1)
	v_fmac_f32_e32 v81, v82, v81
	v_div_scale_f32 v82, vcc_lo, 1.0, v72, 1.0
	v_mul_f32_e32 v83, v82, v81
	s_delay_alu instid0(VALU_DEP_1) | instskip(NEXT) | instid1(VALU_DEP_1)
	v_fma_f32 v84, -v73, v83, v82
	v_fmac_f32_e32 v83, v84, v81
	s_delay_alu instid0(VALU_DEP_1) | instskip(NEXT) | instid1(VALU_DEP_1)
	v_fma_f32 v73, -v73, v83, v82
	v_div_fmas_f32 v73, v73, v81, v83
	s_delay_alu instid0(VALU_DEP_1) | instskip(NEXT) | instid1(VALU_DEP_1)
	v_div_fixup_f32 v72, v73, v72, 1.0
	v_mul_f32_e64 v73, v75, -v72
.LBB64_576:
	s_or_b32 exec_lo, exec_lo, s1
.LBB64_577:
	s_delay_alu instid0(SALU_CYCLE_1) | instskip(NEXT) | instid1(SALU_CYCLE_1)
	s_or_b32 exec_lo, exec_lo, s0
	s_mov_b32 s0, exec_lo
	v_cmpx_ne_u32_e64 v80, v74
	s_xor_b32 s0, exec_lo, s0
	s_cbranch_execz .LBB64_583
; %bb.578:
	s_mov_b32 s1, exec_lo
	v_cmpx_eq_u32_e32 27, v80
	s_cbranch_execz .LBB64_582
; %bb.579:
	v_cmp_ne_u32_e32 vcc_lo, 27, v74
	s_xor_b32 s12, s16, -1
	s_delay_alu instid0(SALU_CYCLE_1) | instskip(NEXT) | instid1(SALU_CYCLE_1)
	s_and_b32 s13, s12, vcc_lo
	s_and_saveexec_b32 s12, s13
	s_cbranch_execz .LBB64_581
; %bb.580:
	v_ashrrev_i32_e32 v75, 31, v74
	s_delay_alu instid0(VALU_DEP_1)
	v_lshl_add_u64 v[80:81], v[74:75], 2, v[4:5]
	s_clause 0x1
	global_load_b32 v75, v[80:81], off
	global_load_b32 v79, v[4:5], off offset:108
	s_wait_loadcnt 0x1
	global_store_b32 v[4:5], v75, off offset:108
	s_wait_loadcnt 0x0
	global_store_b32 v[80:81], v79, off
.LBB64_581:
	s_wait_xcnt 0x0
	s_or_b32 exec_lo, exec_lo, s12
	v_dual_mov_b32 v80, v74 :: v_dual_mov_b32 v79, v74
.LBB64_582:
	s_or_b32 exec_lo, exec_lo, s1
.LBB64_583:
	s_and_not1_saveexec_b32 s0, s0
	s_cbranch_execz .LBB64_585
; %bb.584:
	v_dual_mov_b32 v74, v6 :: v_dual_mov_b32 v75, v7
	v_dual_mov_b32 v82, v52 :: v_dual_mov_b32 v83, v53
	;; [unrolled: 1-line block ×4, first 2 shown]
	v_mov_b32_e32 v87, v33
	ds_store_2addr_b64 v76, v[74:75], v[82:83] offset0:28 offset1:29
	ds_store_2addr_b64 v76, v[84:85], v[86:87] offset0:30 offset1:31
	ds_store_b64 v76, v[70:71] offset:256
.LBB64_585:
	s_or_b32 exec_lo, exec_lo, s0
	s_delay_alu instid0(SALU_CYCLE_1)
	s_mov_b32 s0, exec_lo
	s_wait_storecnt_dscnt 0x0
	s_barrier_signal -1
	s_barrier_wait -1
	v_cmpx_lt_i32_e32 27, v80
	s_cbranch_execz .LBB64_587
; %bb.586:
	v_pk_mul_f32 v[74:75], v[72:73], v[16:17] op_sel:[1,1] op_sel_hi:[0,1]
	s_delay_alu instid0(VALU_DEP_1)
	v_pk_fma_f32 v[82:83], v[72:73], v[16:17], v[74:75] op_sel_hi:[1,0,1] neg_lo:[0,0,1] neg_hi:[0,0,1]
	v_pk_fma_f32 v[84:85], v[72:73], v[16:17], v[74:75] op_sel_hi:[1,0,1]
	ds_load_2addr_b64 v[72:75], v76 offset0:28 offset1:29
	v_dual_mov_b32 v16, v82 :: v_dual_mov_b32 v17, v85
	s_wait_dscnt 0x0
	v_pk_mul_f32 v[86:87], v[72:73], v[84:85] op_sel:[0,1]
	s_delay_alu instid0(VALU_DEP_1) | instskip(SKIP_1) | instid1(VALU_DEP_1)
	v_pk_fma_f32 v[88:89], v[72:73], v[82:83], v[86:87] op_sel:[0,0,1] op_sel_hi:[1,1,0] neg_lo:[0,0,1] neg_hi:[0,0,1]
	v_pk_fma_f32 v[72:73], v[72:73], v[82:83], v[86:87] op_sel:[0,0,1] op_sel_hi:[1,0,0]
	v_mov_b32_e32 v89, v73
	v_pk_mul_f32 v[72:73], v[74:75], v[84:85] op_sel:[0,1]
	s_delay_alu instid0(VALU_DEP_1) | instskip(SKIP_1) | instid1(VALU_DEP_1)
	v_pk_fma_f32 v[86:87], v[74:75], v[82:83], v[72:73] op_sel:[0,0,1] op_sel_hi:[1,1,0] neg_lo:[0,0,1] neg_hi:[0,0,1]
	v_pk_fma_f32 v[72:73], v[74:75], v[82:83], v[72:73] op_sel:[0,0,1] op_sel_hi:[1,0,0]
	v_mov_b32_e32 v87, v73
	ds_load_2addr_b64 v[72:75], v76 offset0:30 offset1:31
	v_pk_add_f32 v[6:7], v[6:7], v[88:89] neg_lo:[0,1] neg_hi:[0,1]
	v_pk_add_f32 v[52:53], v[52:53], v[86:87] neg_lo:[0,1] neg_hi:[0,1]
	s_wait_dscnt 0x0
	v_pk_mul_f32 v[86:87], v[72:73], v[84:85] op_sel:[0,1]
	s_delay_alu instid0(VALU_DEP_1) | instskip(SKIP_2) | instid1(VALU_DEP_2)
	v_pk_fma_f32 v[88:89], v[72:73], v[82:83], v[86:87] op_sel:[0,0,1] op_sel_hi:[1,1,0] neg_lo:[0,0,1] neg_hi:[0,0,1]
	v_pk_fma_f32 v[72:73], v[72:73], v[82:83], v[86:87] op_sel:[0,0,1] op_sel_hi:[1,0,0]
	v_dual_mul_f32 v86, v75, v85 :: v_dual_mov_b32 v72, v75
	v_dual_mov_b32 v89, v73 :: v_dual_mov_b32 v73, v74
	s_delay_alu instid0(VALU_DEP_2) | instskip(SKIP_1) | instid1(VALU_DEP_3)
	v_pk_fma_f32 v[86:87], v[74:75], v[16:17], v[86:87] op_sel_hi:[1,1,0] neg_lo:[0,0,1] neg_hi:[0,0,1]
	v_mul_f32_e32 v74, v75, v82
	v_pk_add_f32 v[42:43], v[42:43], v[88:89] neg_lo:[0,1] neg_hi:[0,1]
	s_delay_alu instid0(VALU_DEP_2) | instskip(NEXT) | instid1(VALU_DEP_1)
	v_pk_fma_f32 v[72:73], v[72:73], v[16:17], v[74:75] op_sel_hi:[1,1,0]
	v_mov_b32_e32 v87, v73
	ds_load_b64 v[72:73], v76 offset:256
	v_pk_add_f32 v[32:33], v[32:33], v[86:87] neg_lo:[0,1] neg_hi:[0,1]
	s_wait_dscnt 0x0
	v_pk_mul_f32 v[74:75], v[72:73], v[84:85] op_sel:[0,1]
	s_delay_alu instid0(VALU_DEP_1) | instskip(SKIP_1) | instid1(VALU_DEP_1)
	v_pk_fma_f32 v[84:85], v[72:73], v[82:83], v[74:75] op_sel:[0,0,1] op_sel_hi:[1,1,0] neg_lo:[0,0,1] neg_hi:[0,0,1]
	v_pk_fma_f32 v[72:73], v[72:73], v[82:83], v[74:75] op_sel:[0,0,1] op_sel_hi:[1,0,0]
	v_mov_b32_e32 v85, v73
	s_delay_alu instid0(VALU_DEP_1)
	v_pk_add_f32 v[70:71], v[70:71], v[84:85] neg_lo:[0,1] neg_hi:[0,1]
.LBB64_587:
	s_or_b32 exec_lo, exec_lo, s0
	v_lshl_add_u32 v72, v80, 3, v76
	s_barrier_signal -1
	s_barrier_wait -1
	ds_store_b64 v72, v[6:7]
	s_wait_dscnt 0x0
	s_barrier_signal -1
	s_barrier_wait -1
	ds_load_b64 v[72:73], v76 offset:224
	v_mov_b32_e32 v74, 28
	s_cmp_lt_i32 s18, 30
	s_cbranch_scc1 .LBB64_590
; %bb.588:
	v_add3_u32 v75, v77, 0, 0xe8
	v_mov_b32_e32 v74, 28
	s_mov_b32 s0, 29
.LBB64_589:                             ; =>This Inner Loop Header: Depth=1
	ds_load_b64 v[82:83], v75
	s_wait_dscnt 0x1
	v_cmp_gt_f32_e32 vcc_lo, 0, v72
	v_cndmask_b32_e64 v84, v72, -v72, vcc_lo
	v_cmp_gt_f32_e32 vcc_lo, 0, v73
	v_cndmask_b32_e64 v86, v73, -v73, vcc_lo
	s_wait_dscnt 0x0
	v_cmp_gt_f32_e32 vcc_lo, 0, v82
	v_cndmask_b32_e64 v85, v82, -v82, vcc_lo
	v_cmp_gt_f32_e32 vcc_lo, 0, v83
	v_cndmask_b32_e64 v87, v83, -v83, vcc_lo
	s_delay_alu instid0(VALU_DEP_1) | instskip(NEXT) | instid1(VALU_DEP_1)
	v_pk_add_f32 v[84:85], v[84:85], v[86:87]
	v_cmp_lt_f32_e32 vcc_lo, v84, v85
	v_dual_cndmask_b32 v72, v72, v82 :: v_dual_add_nc_u32 v75, 8, v75
	v_cndmask_b32_e32 v73, v73, v83, vcc_lo
	v_cndmask_b32_e64 v74, v74, s0, vcc_lo
	s_add_co_i32 s0, s0, 1
	s_delay_alu instid0(SALU_CYCLE_1)
	s_cmp_lg_u32 s18, s0
	s_cbranch_scc1 .LBB64_589
.LBB64_590:
	s_wait_dscnt 0x0
	v_cmp_eq_f32_e32 vcc_lo, 0, v72
	v_cmp_eq_f32_e64 s0, 0, v73
	s_and_b32 s0, vcc_lo, s0
	s_delay_alu instid0(SALU_CYCLE_1) | instskip(NEXT) | instid1(SALU_CYCLE_1)
	s_and_saveexec_b32 s1, s0
	s_xor_b32 s0, exec_lo, s1
; %bb.591:
	v_cmp_ne_u32_e32 vcc_lo, 0, v78
	v_cndmask_b32_e32 v78, 29, v78, vcc_lo
; %bb.592:
	s_and_not1_saveexec_b32 s0, s0
	s_cbranch_execz .LBB64_598
; %bb.593:
	v_cmp_ngt_f32_e64 s1, |v72|, |v73|
	s_and_saveexec_b32 s12, s1
	s_delay_alu instid0(SALU_CYCLE_1)
	s_xor_b32 s1, exec_lo, s12
	s_cbranch_execz .LBB64_595
; %bb.594:
	v_div_scale_f32 v75, null, v73, v73, v72
	v_div_scale_f32 v83, vcc_lo, v72, v73, v72
	s_delay_alu instid0(VALU_DEP_2) | instskip(SKIP_1) | instid1(TRANS32_DEP_1)
	v_rcp_f32_e32 v81, v75
	v_nop
	v_fma_f32 v82, -v75, v81, 1.0
	s_delay_alu instid0(VALU_DEP_1) | instskip(NEXT) | instid1(VALU_DEP_1)
	v_fmac_f32_e32 v81, v82, v81
	v_mul_f32_e32 v82, v83, v81
	s_delay_alu instid0(VALU_DEP_1) | instskip(NEXT) | instid1(VALU_DEP_1)
	v_fma_f32 v84, -v75, v82, v83
	v_fmac_f32_e32 v82, v84, v81
	s_delay_alu instid0(VALU_DEP_1) | instskip(NEXT) | instid1(VALU_DEP_1)
	v_fma_f32 v75, -v75, v82, v83
	v_div_fmas_f32 v75, v75, v81, v82
	s_delay_alu instid0(VALU_DEP_1) | instskip(NEXT) | instid1(VALU_DEP_1)
	v_div_fixup_f32 v75, v75, v73, v72
	v_fmac_f32_e32 v73, v72, v75
	s_delay_alu instid0(VALU_DEP_1) | instskip(SKIP_1) | instid1(VALU_DEP_2)
	v_div_scale_f32 v72, null, v73, v73, 1.0
	v_div_scale_f32 v83, vcc_lo, 1.0, v73, 1.0
	v_rcp_f32_e32 v81, v72
	v_nop
	s_delay_alu instid0(TRANS32_DEP_1) | instskip(NEXT) | instid1(VALU_DEP_1)
	v_fma_f32 v82, -v72, v81, 1.0
	v_fmac_f32_e32 v81, v82, v81
	s_delay_alu instid0(VALU_DEP_1) | instskip(NEXT) | instid1(VALU_DEP_1)
	v_mul_f32_e32 v82, v83, v81
	v_fma_f32 v84, -v72, v82, v83
	s_delay_alu instid0(VALU_DEP_1) | instskip(NEXT) | instid1(VALU_DEP_1)
	v_fmac_f32_e32 v82, v84, v81
	v_fma_f32 v72, -v72, v82, v83
	s_delay_alu instid0(VALU_DEP_1) | instskip(NEXT) | instid1(VALU_DEP_1)
	v_div_fmas_f32 v72, v72, v81, v82
	v_div_fixup_f32 v73, v72, v73, 1.0
	s_delay_alu instid0(VALU_DEP_1)
	v_mul_f32_e32 v72, v75, v73
	v_xor_b32_e32 v73, 0x80000000, v73
.LBB64_595:
	s_and_not1_saveexec_b32 s1, s1
	s_cbranch_execz .LBB64_597
; %bb.596:
	s_delay_alu instid0(VALU_DEP_1) | instskip(SKIP_1) | instid1(VALU_DEP_2)
	v_div_scale_f32 v75, null, v72, v72, v73
	v_div_scale_f32 v83, vcc_lo, v73, v72, v73
	v_rcp_f32_e32 v81, v75
	v_nop
	s_delay_alu instid0(TRANS32_DEP_1) | instskip(NEXT) | instid1(VALU_DEP_1)
	v_fma_f32 v82, -v75, v81, 1.0
	v_fmac_f32_e32 v81, v82, v81
	s_delay_alu instid0(VALU_DEP_1) | instskip(NEXT) | instid1(VALU_DEP_1)
	v_mul_f32_e32 v82, v83, v81
	v_fma_f32 v84, -v75, v82, v83
	s_delay_alu instid0(VALU_DEP_1) | instskip(NEXT) | instid1(VALU_DEP_1)
	v_fmac_f32_e32 v82, v84, v81
	v_fma_f32 v75, -v75, v82, v83
	s_delay_alu instid0(VALU_DEP_1) | instskip(NEXT) | instid1(VALU_DEP_1)
	v_div_fmas_f32 v75, v75, v81, v82
	v_div_fixup_f32 v75, v75, v72, v73
	s_delay_alu instid0(VALU_DEP_1) | instskip(NEXT) | instid1(VALU_DEP_1)
	v_fmac_f32_e32 v72, v73, v75
	v_div_scale_f32 v73, null, v72, v72, 1.0
	s_delay_alu instid0(VALU_DEP_1) | instskip(SKIP_1) | instid1(TRANS32_DEP_1)
	v_rcp_f32_e32 v81, v73
	v_nop
	v_fma_f32 v82, -v73, v81, 1.0
	s_delay_alu instid0(VALU_DEP_1) | instskip(SKIP_1) | instid1(VALU_DEP_1)
	v_fmac_f32_e32 v81, v82, v81
	v_div_scale_f32 v82, vcc_lo, 1.0, v72, 1.0
	v_mul_f32_e32 v83, v82, v81
	s_delay_alu instid0(VALU_DEP_1) | instskip(NEXT) | instid1(VALU_DEP_1)
	v_fma_f32 v84, -v73, v83, v82
	v_fmac_f32_e32 v83, v84, v81
	s_delay_alu instid0(VALU_DEP_1) | instskip(NEXT) | instid1(VALU_DEP_1)
	v_fma_f32 v73, -v73, v83, v82
	v_div_fmas_f32 v73, v73, v81, v83
	s_delay_alu instid0(VALU_DEP_1) | instskip(NEXT) | instid1(VALU_DEP_1)
	v_div_fixup_f32 v72, v73, v72, 1.0
	v_mul_f32_e64 v73, v75, -v72
.LBB64_597:
	s_or_b32 exec_lo, exec_lo, s1
.LBB64_598:
	s_delay_alu instid0(SALU_CYCLE_1) | instskip(NEXT) | instid1(SALU_CYCLE_1)
	s_or_b32 exec_lo, exec_lo, s0
	s_mov_b32 s0, exec_lo
	v_cmpx_ne_u32_e64 v80, v74
	s_xor_b32 s0, exec_lo, s0
	s_cbranch_execz .LBB64_604
; %bb.599:
	s_mov_b32 s1, exec_lo
	v_cmpx_eq_u32_e32 28, v80
	s_cbranch_execz .LBB64_603
; %bb.600:
	v_cmp_ne_u32_e32 vcc_lo, 28, v74
	s_xor_b32 s12, s16, -1
	s_delay_alu instid0(SALU_CYCLE_1) | instskip(NEXT) | instid1(SALU_CYCLE_1)
	s_and_b32 s13, s12, vcc_lo
	s_and_saveexec_b32 s12, s13
	s_cbranch_execz .LBB64_602
; %bb.601:
	v_ashrrev_i32_e32 v75, 31, v74
	s_delay_alu instid0(VALU_DEP_1)
	v_lshl_add_u64 v[80:81], v[74:75], 2, v[4:5]
	s_clause 0x1
	global_load_b32 v75, v[80:81], off
	global_load_b32 v79, v[4:5], off offset:112
	s_wait_loadcnt 0x1
	global_store_b32 v[4:5], v75, off offset:112
	s_wait_loadcnt 0x0
	global_store_b32 v[80:81], v79, off
.LBB64_602:
	s_wait_xcnt 0x0
	s_or_b32 exec_lo, exec_lo, s12
	v_dual_mov_b32 v80, v74 :: v_dual_mov_b32 v79, v74
.LBB64_603:
	s_or_b32 exec_lo, exec_lo, s1
.LBB64_604:
	s_and_not1_saveexec_b32 s0, s0
	s_cbranch_execz .LBB64_606
; %bb.605:
	v_mov_b32_e32 v80, 28
	ds_store_2addr_b64 v76, v[52:53], v[42:43] offset0:29 offset1:30
	ds_store_2addr_b64 v76, v[32:33], v[70:71] offset0:31 offset1:32
.LBB64_606:
	s_or_b32 exec_lo, exec_lo, s0
	s_delay_alu instid0(SALU_CYCLE_1)
	s_mov_b32 s0, exec_lo
	s_wait_storecnt_dscnt 0x0
	s_barrier_signal -1
	s_barrier_wait -1
	v_cmpx_lt_i32_e32 28, v80
	s_cbranch_execz .LBB64_608
; %bb.607:
	v_pk_mul_f32 v[74:75], v[72:73], v[6:7] op_sel:[1,1] op_sel_hi:[0,1]
	s_delay_alu instid0(VALU_DEP_1)
	v_pk_fma_f32 v[82:83], v[72:73], v[6:7], v[74:75] op_sel_hi:[1,0,1] neg_lo:[0,0,1] neg_hi:[0,0,1]
	v_pk_fma_f32 v[84:85], v[72:73], v[6:7], v[74:75] op_sel_hi:[1,0,1]
	ds_load_2addr_b64 v[72:75], v76 offset0:29 offset1:30
	v_dual_mov_b32 v6, v82 :: v_dual_mov_b32 v7, v85
	s_wait_dscnt 0x0
	v_pk_mul_f32 v[86:87], v[72:73], v[84:85] op_sel:[0,1]
	s_delay_alu instid0(VALU_DEP_1) | instskip(SKIP_1) | instid1(VALU_DEP_1)
	v_pk_fma_f32 v[88:89], v[72:73], v[82:83], v[86:87] op_sel:[0,0,1] op_sel_hi:[1,1,0] neg_lo:[0,0,1] neg_hi:[0,0,1]
	v_pk_fma_f32 v[72:73], v[72:73], v[82:83], v[86:87] op_sel:[0,0,1] op_sel_hi:[1,0,0]
	v_mov_b32_e32 v89, v73
	v_pk_mul_f32 v[72:73], v[74:75], v[84:85] op_sel:[0,1]
	s_delay_alu instid0(VALU_DEP_1) | instskip(SKIP_1) | instid1(VALU_DEP_1)
	v_pk_fma_f32 v[86:87], v[74:75], v[82:83], v[72:73] op_sel:[0,0,1] op_sel_hi:[1,1,0] neg_lo:[0,0,1] neg_hi:[0,0,1]
	v_pk_fma_f32 v[72:73], v[74:75], v[82:83], v[72:73] op_sel:[0,0,1] op_sel_hi:[1,0,0]
	v_mov_b32_e32 v87, v73
	ds_load_2addr_b64 v[72:75], v76 offset0:31 offset1:32
	v_pk_add_f32 v[52:53], v[52:53], v[88:89] neg_lo:[0,1] neg_hi:[0,1]
	v_pk_add_f32 v[42:43], v[42:43], v[86:87] neg_lo:[0,1] neg_hi:[0,1]
	s_wait_dscnt 0x0
	v_pk_mul_f32 v[86:87], v[72:73], v[84:85] op_sel:[0,1]
	s_delay_alu instid0(VALU_DEP_1) | instskip(SKIP_1) | instid1(VALU_DEP_1)
	v_pk_fma_f32 v[88:89], v[72:73], v[82:83], v[86:87] op_sel:[0,0,1] op_sel_hi:[1,1,0] neg_lo:[0,0,1] neg_hi:[0,0,1]
	v_pk_fma_f32 v[72:73], v[72:73], v[82:83], v[86:87] op_sel:[0,0,1] op_sel_hi:[1,0,0]
	v_dual_mov_b32 v72, v75 :: v_dual_mov_b32 v89, v73
	v_mov_b32_e32 v73, v74
	s_delay_alu instid0(VALU_DEP_2) | instskip(NEXT) | instid1(VALU_DEP_2)
	v_pk_add_f32 v[32:33], v[32:33], v[88:89] neg_lo:[0,1] neg_hi:[0,1]
	v_pk_mul_f32 v[72:73], v[72:73], v[84:85] op_sel:[0,1]
	s_delay_alu instid0(VALU_DEP_1) | instskip(SKIP_1) | instid1(VALU_DEP_1)
	v_pk_fma_f32 v[84:85], v[74:75], v[82:83], v[72:73] neg_lo:[0,0,1] neg_hi:[0,0,1]
	v_pk_fma_f32 v[72:73], v[74:75], v[82:83], v[72:73] op_sel_hi:[1,0,1]
	v_mov_b32_e32 v85, v73
	s_delay_alu instid0(VALU_DEP_1)
	v_pk_add_f32 v[70:71], v[70:71], v[84:85] neg_lo:[0,1] neg_hi:[0,1]
.LBB64_608:
	s_or_b32 exec_lo, exec_lo, s0
	v_lshl_add_u32 v72, v80, 3, v76
	s_barrier_signal -1
	s_barrier_wait -1
	ds_store_b64 v72, v[52:53]
	s_wait_dscnt 0x0
	s_barrier_signal -1
	s_barrier_wait -1
	ds_load_b64 v[72:73], v76 offset:232
	v_mov_b32_e32 v74, 29
	s_cmp_lt_i32 s18, 31
	s_cbranch_scc1 .LBB64_611
; %bb.609:
	v_add3_u32 v75, v77, 0, 0xf0
	v_mov_b32_e32 v74, 29
	s_mov_b32 s0, 30
.LBB64_610:                             ; =>This Inner Loop Header: Depth=1
	ds_load_b64 v[82:83], v75
	s_wait_dscnt 0x1
	v_cmp_gt_f32_e32 vcc_lo, 0, v72
	v_cndmask_b32_e64 v84, v72, -v72, vcc_lo
	v_cmp_gt_f32_e32 vcc_lo, 0, v73
	v_cndmask_b32_e64 v86, v73, -v73, vcc_lo
	s_wait_dscnt 0x0
	v_cmp_gt_f32_e32 vcc_lo, 0, v82
	v_cndmask_b32_e64 v85, v82, -v82, vcc_lo
	v_cmp_gt_f32_e32 vcc_lo, 0, v83
	v_cndmask_b32_e64 v87, v83, -v83, vcc_lo
	s_delay_alu instid0(VALU_DEP_1) | instskip(NEXT) | instid1(VALU_DEP_1)
	v_pk_add_f32 v[84:85], v[84:85], v[86:87]
	v_cmp_lt_f32_e32 vcc_lo, v84, v85
	v_dual_cndmask_b32 v72, v72, v82 :: v_dual_add_nc_u32 v75, 8, v75
	v_cndmask_b32_e32 v73, v73, v83, vcc_lo
	v_cndmask_b32_e64 v74, v74, s0, vcc_lo
	s_add_co_i32 s0, s0, 1
	s_delay_alu instid0(SALU_CYCLE_1)
	s_cmp_lg_u32 s18, s0
	s_cbranch_scc1 .LBB64_610
.LBB64_611:
	s_wait_dscnt 0x0
	v_cmp_eq_f32_e32 vcc_lo, 0, v72
	v_cmp_eq_f32_e64 s0, 0, v73
	s_and_b32 s0, vcc_lo, s0
	s_delay_alu instid0(SALU_CYCLE_1) | instskip(NEXT) | instid1(SALU_CYCLE_1)
	s_and_saveexec_b32 s1, s0
	s_xor_b32 s0, exec_lo, s1
; %bb.612:
	v_cmp_ne_u32_e32 vcc_lo, 0, v78
	v_cndmask_b32_e32 v78, 30, v78, vcc_lo
; %bb.613:
	s_and_not1_saveexec_b32 s0, s0
	s_cbranch_execz .LBB64_619
; %bb.614:
	v_cmp_ngt_f32_e64 s1, |v72|, |v73|
	s_and_saveexec_b32 s12, s1
	s_delay_alu instid0(SALU_CYCLE_1)
	s_xor_b32 s1, exec_lo, s12
	s_cbranch_execz .LBB64_616
; %bb.615:
	v_div_scale_f32 v75, null, v73, v73, v72
	v_div_scale_f32 v83, vcc_lo, v72, v73, v72
	s_delay_alu instid0(VALU_DEP_2) | instskip(SKIP_1) | instid1(TRANS32_DEP_1)
	v_rcp_f32_e32 v81, v75
	v_nop
	v_fma_f32 v82, -v75, v81, 1.0
	s_delay_alu instid0(VALU_DEP_1) | instskip(NEXT) | instid1(VALU_DEP_1)
	v_fmac_f32_e32 v81, v82, v81
	v_mul_f32_e32 v82, v83, v81
	s_delay_alu instid0(VALU_DEP_1) | instskip(NEXT) | instid1(VALU_DEP_1)
	v_fma_f32 v84, -v75, v82, v83
	v_fmac_f32_e32 v82, v84, v81
	s_delay_alu instid0(VALU_DEP_1) | instskip(NEXT) | instid1(VALU_DEP_1)
	v_fma_f32 v75, -v75, v82, v83
	v_div_fmas_f32 v75, v75, v81, v82
	s_delay_alu instid0(VALU_DEP_1) | instskip(NEXT) | instid1(VALU_DEP_1)
	v_div_fixup_f32 v75, v75, v73, v72
	v_fmac_f32_e32 v73, v72, v75
	s_delay_alu instid0(VALU_DEP_1) | instskip(SKIP_1) | instid1(VALU_DEP_2)
	v_div_scale_f32 v72, null, v73, v73, 1.0
	v_div_scale_f32 v83, vcc_lo, 1.0, v73, 1.0
	v_rcp_f32_e32 v81, v72
	v_nop
	s_delay_alu instid0(TRANS32_DEP_1) | instskip(NEXT) | instid1(VALU_DEP_1)
	v_fma_f32 v82, -v72, v81, 1.0
	v_fmac_f32_e32 v81, v82, v81
	s_delay_alu instid0(VALU_DEP_1) | instskip(NEXT) | instid1(VALU_DEP_1)
	v_mul_f32_e32 v82, v83, v81
	v_fma_f32 v84, -v72, v82, v83
	s_delay_alu instid0(VALU_DEP_1) | instskip(NEXT) | instid1(VALU_DEP_1)
	v_fmac_f32_e32 v82, v84, v81
	v_fma_f32 v72, -v72, v82, v83
	s_delay_alu instid0(VALU_DEP_1) | instskip(NEXT) | instid1(VALU_DEP_1)
	v_div_fmas_f32 v72, v72, v81, v82
	v_div_fixup_f32 v73, v72, v73, 1.0
	s_delay_alu instid0(VALU_DEP_1)
	v_mul_f32_e32 v72, v75, v73
	v_xor_b32_e32 v73, 0x80000000, v73
.LBB64_616:
	s_and_not1_saveexec_b32 s1, s1
	s_cbranch_execz .LBB64_618
; %bb.617:
	s_delay_alu instid0(VALU_DEP_1) | instskip(SKIP_1) | instid1(VALU_DEP_2)
	v_div_scale_f32 v75, null, v72, v72, v73
	v_div_scale_f32 v83, vcc_lo, v73, v72, v73
	v_rcp_f32_e32 v81, v75
	v_nop
	s_delay_alu instid0(TRANS32_DEP_1) | instskip(NEXT) | instid1(VALU_DEP_1)
	v_fma_f32 v82, -v75, v81, 1.0
	v_fmac_f32_e32 v81, v82, v81
	s_delay_alu instid0(VALU_DEP_1) | instskip(NEXT) | instid1(VALU_DEP_1)
	v_mul_f32_e32 v82, v83, v81
	v_fma_f32 v84, -v75, v82, v83
	s_delay_alu instid0(VALU_DEP_1) | instskip(NEXT) | instid1(VALU_DEP_1)
	v_fmac_f32_e32 v82, v84, v81
	v_fma_f32 v75, -v75, v82, v83
	s_delay_alu instid0(VALU_DEP_1) | instskip(NEXT) | instid1(VALU_DEP_1)
	v_div_fmas_f32 v75, v75, v81, v82
	v_div_fixup_f32 v75, v75, v72, v73
	s_delay_alu instid0(VALU_DEP_1) | instskip(NEXT) | instid1(VALU_DEP_1)
	v_fmac_f32_e32 v72, v73, v75
	v_div_scale_f32 v73, null, v72, v72, 1.0
	s_delay_alu instid0(VALU_DEP_1) | instskip(SKIP_1) | instid1(TRANS32_DEP_1)
	v_rcp_f32_e32 v81, v73
	v_nop
	v_fma_f32 v82, -v73, v81, 1.0
	s_delay_alu instid0(VALU_DEP_1) | instskip(SKIP_1) | instid1(VALU_DEP_1)
	v_fmac_f32_e32 v81, v82, v81
	v_div_scale_f32 v82, vcc_lo, 1.0, v72, 1.0
	v_mul_f32_e32 v83, v82, v81
	s_delay_alu instid0(VALU_DEP_1) | instskip(NEXT) | instid1(VALU_DEP_1)
	v_fma_f32 v84, -v73, v83, v82
	v_fmac_f32_e32 v83, v84, v81
	s_delay_alu instid0(VALU_DEP_1) | instskip(NEXT) | instid1(VALU_DEP_1)
	v_fma_f32 v73, -v73, v83, v82
	v_div_fmas_f32 v73, v73, v81, v83
	s_delay_alu instid0(VALU_DEP_1) | instskip(NEXT) | instid1(VALU_DEP_1)
	v_div_fixup_f32 v72, v73, v72, 1.0
	v_mul_f32_e64 v73, v75, -v72
.LBB64_618:
	s_or_b32 exec_lo, exec_lo, s1
.LBB64_619:
	s_delay_alu instid0(SALU_CYCLE_1) | instskip(NEXT) | instid1(SALU_CYCLE_1)
	s_or_b32 exec_lo, exec_lo, s0
	s_mov_b32 s0, exec_lo
	v_cmpx_ne_u32_e64 v80, v74
	s_xor_b32 s0, exec_lo, s0
	s_cbranch_execz .LBB64_625
; %bb.620:
	s_mov_b32 s1, exec_lo
	v_cmpx_eq_u32_e32 29, v80
	s_cbranch_execz .LBB64_624
; %bb.621:
	v_cmp_ne_u32_e32 vcc_lo, 29, v74
	s_xor_b32 s12, s16, -1
	s_delay_alu instid0(SALU_CYCLE_1) | instskip(NEXT) | instid1(SALU_CYCLE_1)
	s_and_b32 s13, s12, vcc_lo
	s_and_saveexec_b32 s12, s13
	s_cbranch_execz .LBB64_623
; %bb.622:
	v_ashrrev_i32_e32 v75, 31, v74
	s_delay_alu instid0(VALU_DEP_1)
	v_lshl_add_u64 v[80:81], v[74:75], 2, v[4:5]
	s_clause 0x1
	global_load_b32 v75, v[80:81], off
	global_load_b32 v79, v[4:5], off offset:116
	s_wait_loadcnt 0x1
	global_store_b32 v[4:5], v75, off offset:116
	s_wait_loadcnt 0x0
	global_store_b32 v[80:81], v79, off
.LBB64_623:
	s_wait_xcnt 0x0
	s_or_b32 exec_lo, exec_lo, s12
	v_dual_mov_b32 v80, v74 :: v_dual_mov_b32 v79, v74
.LBB64_624:
	s_or_b32 exec_lo, exec_lo, s1
.LBB64_625:
	s_and_not1_saveexec_b32 s0, s0
	s_cbranch_execz .LBB64_627
; %bb.626:
	v_dual_mov_b32 v74, v42 :: v_dual_mov_b32 v75, v43
	v_dual_mov_b32 v82, v32 :: v_dual_mov_b32 v83, v33
	v_mov_b32_e32 v80, 29
	ds_store_2addr_b64 v76, v[74:75], v[82:83] offset0:30 offset1:31
	ds_store_b64 v76, v[70:71] offset:256
.LBB64_627:
	s_or_b32 exec_lo, exec_lo, s0
	s_delay_alu instid0(SALU_CYCLE_1)
	s_mov_b32 s0, exec_lo
	s_wait_storecnt_dscnt 0x0
	s_barrier_signal -1
	s_barrier_wait -1
	v_cmpx_lt_i32_e32 29, v80
	s_cbranch_execz .LBB64_629
; %bb.628:
	ds_load_2addr_b64 v[82:85], v76 offset0:30 offset1:31
	ds_load_b64 v[74:75], v76 offset:256
	v_pk_mul_f32 v[86:87], v[72:73], v[52:53] op_sel:[1,1] op_sel_hi:[0,1]
	s_delay_alu instid0(VALU_DEP_1) | instskip(SKIP_2) | instid1(VALU_DEP_2)
	v_pk_fma_f32 v[88:89], v[72:73], v[52:53], v[86:87] op_sel_hi:[1,0,1]
	v_pk_fma_f32 v[52:53], v[72:73], v[52:53], v[86:87] op_sel_hi:[1,0,1] neg_lo:[0,0,1] neg_hi:[0,0,1]
	s_wait_dscnt 0x1
	v_pk_mul_f32 v[72:73], v[82:83], v[88:89] op_sel:[0,1]
	v_pk_mul_f32 v[86:87], v[84:85], v[88:89] op_sel:[0,1]
	s_wait_dscnt 0x0
	v_pk_mul_f32 v[90:91], v[74:75], v[88:89] op_sel:[1,1] op_sel_hi:[0,1]
	s_delay_alu instid0(VALU_DEP_3) | instskip(SKIP_2) | instid1(VALU_DEP_4)
	v_pk_fma_f32 v[92:93], v[82:83], v[52:53], v[72:73] op_sel:[0,0,1] op_sel_hi:[1,1,0] neg_lo:[0,0,1] neg_hi:[0,0,1]
	v_pk_fma_f32 v[72:73], v[82:83], v[52:53], v[72:73] op_sel:[0,0,1] op_sel_hi:[1,0,0]
	v_pk_fma_f32 v[82:83], v[84:85], v[52:53], v[86:87] op_sel:[0,0,1] op_sel_hi:[1,0,0]
	v_pk_fma_f32 v[94:95], v[74:75], v[52:53], v[90:91] op_sel_hi:[1,0,1]
	v_pk_fma_f32 v[84:85], v[84:85], v[52:53], v[86:87] op_sel:[0,0,1] op_sel_hi:[1,1,0] neg_lo:[0,0,1] neg_hi:[0,0,1]
	v_pk_fma_f32 v[74:75], v[74:75], v[52:53], v[90:91] neg_lo:[0,0,1] neg_hi:[0,0,1]
	s_delay_alu instid0(VALU_DEP_4) | instskip(NEXT) | instid1(VALU_DEP_4)
	v_dual_mov_b32 v93, v73 :: v_dual_mov_b32 v85, v83
	v_dual_mov_b32 v75, v95 :: v_dual_mov_b32 v53, v89
	s_delay_alu instid0(VALU_DEP_2) | instskip(NEXT) | instid1(VALU_DEP_3)
	v_pk_add_f32 v[42:43], v[42:43], v[92:93] neg_lo:[0,1] neg_hi:[0,1]
	v_pk_add_f32 v[32:33], v[32:33], v[84:85] neg_lo:[0,1] neg_hi:[0,1]
	s_delay_alu instid0(VALU_DEP_3)
	v_pk_add_f32 v[70:71], v[70:71], v[74:75] neg_lo:[0,1] neg_hi:[0,1]
.LBB64_629:
	s_or_b32 exec_lo, exec_lo, s0
	v_lshl_add_u32 v72, v80, 3, v76
	s_barrier_signal -1
	s_barrier_wait -1
	ds_store_b64 v72, v[42:43]
	s_wait_dscnt 0x0
	s_barrier_signal -1
	s_barrier_wait -1
	ds_load_b64 v[72:73], v76 offset:240
	v_mov_b32_e32 v74, 30
	s_cmp_lt_i32 s18, 32
	s_cbranch_scc1 .LBB64_632
; %bb.630:
	v_add3_u32 v75, v77, 0, 0xf8
	v_mov_b32_e32 v74, 30
	s_mov_b32 s0, 31
.LBB64_631:                             ; =>This Inner Loop Header: Depth=1
	ds_load_b64 v[82:83], v75
	s_wait_dscnt 0x1
	v_cmp_gt_f32_e32 vcc_lo, 0, v72
	v_cndmask_b32_e64 v84, v72, -v72, vcc_lo
	v_cmp_gt_f32_e32 vcc_lo, 0, v73
	v_cndmask_b32_e64 v86, v73, -v73, vcc_lo
	s_wait_dscnt 0x0
	v_cmp_gt_f32_e32 vcc_lo, 0, v82
	v_cndmask_b32_e64 v85, v82, -v82, vcc_lo
	v_cmp_gt_f32_e32 vcc_lo, 0, v83
	v_cndmask_b32_e64 v87, v83, -v83, vcc_lo
	s_delay_alu instid0(VALU_DEP_1) | instskip(NEXT) | instid1(VALU_DEP_1)
	v_pk_add_f32 v[84:85], v[84:85], v[86:87]
	v_cmp_lt_f32_e32 vcc_lo, v84, v85
	v_dual_cndmask_b32 v72, v72, v82 :: v_dual_add_nc_u32 v75, 8, v75
	v_cndmask_b32_e32 v73, v73, v83, vcc_lo
	v_cndmask_b32_e64 v74, v74, s0, vcc_lo
	s_add_co_i32 s0, s0, 1
	s_delay_alu instid0(SALU_CYCLE_1)
	s_cmp_lg_u32 s18, s0
	s_cbranch_scc1 .LBB64_631
.LBB64_632:
	s_wait_dscnt 0x0
	v_cmp_eq_f32_e32 vcc_lo, 0, v72
	v_cmp_eq_f32_e64 s0, 0, v73
	s_and_b32 s0, vcc_lo, s0
	s_delay_alu instid0(SALU_CYCLE_1) | instskip(NEXT) | instid1(SALU_CYCLE_1)
	s_and_saveexec_b32 s1, s0
	s_xor_b32 s0, exec_lo, s1
; %bb.633:
	v_cmp_ne_u32_e32 vcc_lo, 0, v78
	v_cndmask_b32_e32 v78, 31, v78, vcc_lo
; %bb.634:
	s_and_not1_saveexec_b32 s0, s0
	s_cbranch_execz .LBB64_640
; %bb.635:
	v_cmp_ngt_f32_e64 s1, |v72|, |v73|
	s_and_saveexec_b32 s12, s1
	s_delay_alu instid0(SALU_CYCLE_1)
	s_xor_b32 s1, exec_lo, s12
	s_cbranch_execz .LBB64_637
; %bb.636:
	v_div_scale_f32 v75, null, v73, v73, v72
	v_div_scale_f32 v83, vcc_lo, v72, v73, v72
	s_delay_alu instid0(VALU_DEP_2) | instskip(SKIP_1) | instid1(TRANS32_DEP_1)
	v_rcp_f32_e32 v81, v75
	v_nop
	v_fma_f32 v82, -v75, v81, 1.0
	s_delay_alu instid0(VALU_DEP_1) | instskip(NEXT) | instid1(VALU_DEP_1)
	v_fmac_f32_e32 v81, v82, v81
	v_mul_f32_e32 v82, v83, v81
	s_delay_alu instid0(VALU_DEP_1) | instskip(NEXT) | instid1(VALU_DEP_1)
	v_fma_f32 v84, -v75, v82, v83
	v_fmac_f32_e32 v82, v84, v81
	s_delay_alu instid0(VALU_DEP_1) | instskip(NEXT) | instid1(VALU_DEP_1)
	v_fma_f32 v75, -v75, v82, v83
	v_div_fmas_f32 v75, v75, v81, v82
	s_delay_alu instid0(VALU_DEP_1) | instskip(NEXT) | instid1(VALU_DEP_1)
	v_div_fixup_f32 v75, v75, v73, v72
	v_fmac_f32_e32 v73, v72, v75
	s_delay_alu instid0(VALU_DEP_1) | instskip(SKIP_1) | instid1(VALU_DEP_2)
	v_div_scale_f32 v72, null, v73, v73, 1.0
	v_div_scale_f32 v83, vcc_lo, 1.0, v73, 1.0
	v_rcp_f32_e32 v81, v72
	v_nop
	s_delay_alu instid0(TRANS32_DEP_1) | instskip(NEXT) | instid1(VALU_DEP_1)
	v_fma_f32 v82, -v72, v81, 1.0
	v_fmac_f32_e32 v81, v82, v81
	s_delay_alu instid0(VALU_DEP_1) | instskip(NEXT) | instid1(VALU_DEP_1)
	v_mul_f32_e32 v82, v83, v81
	v_fma_f32 v84, -v72, v82, v83
	s_delay_alu instid0(VALU_DEP_1) | instskip(NEXT) | instid1(VALU_DEP_1)
	v_fmac_f32_e32 v82, v84, v81
	v_fma_f32 v72, -v72, v82, v83
	s_delay_alu instid0(VALU_DEP_1) | instskip(NEXT) | instid1(VALU_DEP_1)
	v_div_fmas_f32 v72, v72, v81, v82
	v_div_fixup_f32 v73, v72, v73, 1.0
	s_delay_alu instid0(VALU_DEP_1)
	v_mul_f32_e32 v72, v75, v73
	v_xor_b32_e32 v73, 0x80000000, v73
.LBB64_637:
	s_and_not1_saveexec_b32 s1, s1
	s_cbranch_execz .LBB64_639
; %bb.638:
	s_delay_alu instid0(VALU_DEP_1) | instskip(SKIP_1) | instid1(VALU_DEP_2)
	v_div_scale_f32 v75, null, v72, v72, v73
	v_div_scale_f32 v83, vcc_lo, v73, v72, v73
	v_rcp_f32_e32 v81, v75
	v_nop
	s_delay_alu instid0(TRANS32_DEP_1) | instskip(NEXT) | instid1(VALU_DEP_1)
	v_fma_f32 v82, -v75, v81, 1.0
	v_fmac_f32_e32 v81, v82, v81
	s_delay_alu instid0(VALU_DEP_1) | instskip(NEXT) | instid1(VALU_DEP_1)
	v_mul_f32_e32 v82, v83, v81
	v_fma_f32 v84, -v75, v82, v83
	s_delay_alu instid0(VALU_DEP_1) | instskip(NEXT) | instid1(VALU_DEP_1)
	v_fmac_f32_e32 v82, v84, v81
	v_fma_f32 v75, -v75, v82, v83
	s_delay_alu instid0(VALU_DEP_1) | instskip(NEXT) | instid1(VALU_DEP_1)
	v_div_fmas_f32 v75, v75, v81, v82
	v_div_fixup_f32 v75, v75, v72, v73
	s_delay_alu instid0(VALU_DEP_1) | instskip(NEXT) | instid1(VALU_DEP_1)
	v_fmac_f32_e32 v72, v73, v75
	v_div_scale_f32 v73, null, v72, v72, 1.0
	s_delay_alu instid0(VALU_DEP_1) | instskip(SKIP_1) | instid1(TRANS32_DEP_1)
	v_rcp_f32_e32 v81, v73
	v_nop
	v_fma_f32 v82, -v73, v81, 1.0
	s_delay_alu instid0(VALU_DEP_1) | instskip(SKIP_1) | instid1(VALU_DEP_1)
	v_fmac_f32_e32 v81, v82, v81
	v_div_scale_f32 v82, vcc_lo, 1.0, v72, 1.0
	v_mul_f32_e32 v83, v82, v81
	s_delay_alu instid0(VALU_DEP_1) | instskip(NEXT) | instid1(VALU_DEP_1)
	v_fma_f32 v84, -v73, v83, v82
	v_fmac_f32_e32 v83, v84, v81
	s_delay_alu instid0(VALU_DEP_1) | instskip(NEXT) | instid1(VALU_DEP_1)
	v_fma_f32 v73, -v73, v83, v82
	v_div_fmas_f32 v73, v73, v81, v83
	s_delay_alu instid0(VALU_DEP_1) | instskip(NEXT) | instid1(VALU_DEP_1)
	v_div_fixup_f32 v72, v73, v72, 1.0
	v_mul_f32_e64 v73, v75, -v72
.LBB64_639:
	s_or_b32 exec_lo, exec_lo, s1
.LBB64_640:
	s_delay_alu instid0(SALU_CYCLE_1) | instskip(NEXT) | instid1(SALU_CYCLE_1)
	s_or_b32 exec_lo, exec_lo, s0
	s_mov_b32 s0, exec_lo
	v_cmpx_ne_u32_e64 v80, v74
	s_xor_b32 s0, exec_lo, s0
	s_cbranch_execz .LBB64_646
; %bb.641:
	s_mov_b32 s1, exec_lo
	v_cmpx_eq_u32_e32 30, v80
	s_cbranch_execz .LBB64_645
; %bb.642:
	v_cmp_ne_u32_e32 vcc_lo, 30, v74
	s_xor_b32 s12, s16, -1
	s_delay_alu instid0(SALU_CYCLE_1) | instskip(NEXT) | instid1(SALU_CYCLE_1)
	s_and_b32 s13, s12, vcc_lo
	s_and_saveexec_b32 s12, s13
	s_cbranch_execz .LBB64_644
; %bb.643:
	v_ashrrev_i32_e32 v75, 31, v74
	s_delay_alu instid0(VALU_DEP_1)
	v_lshl_add_u64 v[80:81], v[74:75], 2, v[4:5]
	s_clause 0x1
	global_load_b32 v75, v[80:81], off
	global_load_b32 v79, v[4:5], off offset:120
	s_wait_loadcnt 0x1
	global_store_b32 v[4:5], v75, off offset:120
	s_wait_loadcnt 0x0
	global_store_b32 v[80:81], v79, off
.LBB64_644:
	s_wait_xcnt 0x0
	s_or_b32 exec_lo, exec_lo, s12
	v_dual_mov_b32 v80, v74 :: v_dual_mov_b32 v79, v74
.LBB64_645:
	s_or_b32 exec_lo, exec_lo, s1
.LBB64_646:
	s_and_not1_saveexec_b32 s0, s0
; %bb.647:
	v_mov_b32_e32 v80, 30
	ds_store_2addr_b64 v76, v[32:33], v[70:71] offset0:31 offset1:32
; %bb.648:
	s_or_b32 exec_lo, exec_lo, s0
	s_delay_alu instid0(SALU_CYCLE_1)
	s_mov_b32 s0, exec_lo
	s_wait_storecnt_dscnt 0x0
	s_barrier_signal -1
	s_barrier_wait -1
	v_cmpx_lt_i32_e32 30, v80
	s_cbranch_execz .LBB64_650
; %bb.649:
	ds_load_2addr_b64 v[82:85], v76 offset0:31 offset1:32
	v_pk_mul_f32 v[74:75], v[72:73], v[42:43] op_sel:[1,1] op_sel_hi:[0,1]
	s_delay_alu instid0(VALU_DEP_1) | instskip(SKIP_3) | instid1(VALU_DEP_3)
	v_pk_fma_f32 v[86:87], v[72:73], v[42:43], v[74:75] op_sel_hi:[1,0,1]
	v_pk_fma_f32 v[42:43], v[72:73], v[42:43], v[74:75] op_sel_hi:[1,0,1] neg_lo:[0,0,1] neg_hi:[0,0,1]
	s_wait_dscnt 0x0
	v_dual_mov_b32 v88, v85 :: v_dual_mov_b32 v89, v84
	v_pk_mul_f32 v[72:73], v[82:83], v[86:87] op_sel:[0,1]
	s_delay_alu instid0(VALU_DEP_2) | instskip(NEXT) | instid1(VALU_DEP_2)
	v_pk_mul_f32 v[74:75], v[88:89], v[86:87] op_sel:[0,1]
	v_pk_fma_f32 v[88:89], v[82:83], v[42:43], v[72:73] op_sel:[0,0,1] op_sel_hi:[1,0,0]
	v_pk_fma_f32 v[72:73], v[82:83], v[42:43], v[72:73] op_sel:[0,0,1] op_sel_hi:[1,1,0] neg_lo:[0,0,1] neg_hi:[0,0,1]
	s_delay_alu instid0(VALU_DEP_3) | instskip(SKIP_1) | instid1(VALU_DEP_4)
	v_pk_fma_f32 v[90:91], v[84:85], v[42:43], v[74:75] op_sel_hi:[1,0,1]
	v_pk_fma_f32 v[74:75], v[84:85], v[42:43], v[74:75] neg_lo:[0,0,1] neg_hi:[0,0,1]
	v_dual_mov_b32 v73, v89 :: v_dual_mov_b32 v43, v87
	s_delay_alu instid0(VALU_DEP_3) | instskip(NEXT) | instid1(VALU_DEP_2)
	v_mov_b32_e32 v75, v91
	v_pk_add_f32 v[32:33], v[32:33], v[72:73] neg_lo:[0,1] neg_hi:[0,1]
	s_delay_alu instid0(VALU_DEP_2)
	v_pk_add_f32 v[70:71], v[70:71], v[74:75] neg_lo:[0,1] neg_hi:[0,1]
.LBB64_650:
	s_or_b32 exec_lo, exec_lo, s0
	v_lshl_add_u32 v72, v80, 3, v76
	s_barrier_signal -1
	s_barrier_wait -1
	ds_store_b64 v72, v[32:33]
	s_wait_dscnt 0x0
	s_barrier_signal -1
	s_barrier_wait -1
	ds_load_b64 v[72:73], v76 offset:248
	v_mov_b32_e32 v74, 31
	s_cmp_lt_i32 s18, 33
	s_cbranch_scc1 .LBB64_653
; %bb.651:
	v_add3_u32 v75, v77, 0, 0x100
	v_mov_b32_e32 v74, 31
	s_mov_b32 s0, 32
.LBB64_652:                             ; =>This Inner Loop Header: Depth=1
	ds_load_b64 v[82:83], v75
	s_wait_dscnt 0x1
	v_cmp_gt_f32_e32 vcc_lo, 0, v72
	v_cndmask_b32_e64 v84, v72, -v72, vcc_lo
	v_cmp_gt_f32_e32 vcc_lo, 0, v73
	v_cndmask_b32_e64 v86, v73, -v73, vcc_lo
	s_wait_dscnt 0x0
	v_cmp_gt_f32_e32 vcc_lo, 0, v82
	v_cndmask_b32_e64 v85, v82, -v82, vcc_lo
	v_cmp_gt_f32_e32 vcc_lo, 0, v83
	v_cndmask_b32_e64 v87, v83, -v83, vcc_lo
	s_delay_alu instid0(VALU_DEP_1) | instskip(NEXT) | instid1(VALU_DEP_1)
	v_pk_add_f32 v[84:85], v[84:85], v[86:87]
	v_cmp_lt_f32_e32 vcc_lo, v84, v85
	v_dual_cndmask_b32 v72, v72, v82 :: v_dual_add_nc_u32 v75, 8, v75
	v_cndmask_b32_e32 v73, v73, v83, vcc_lo
	v_cndmask_b32_e64 v74, v74, s0, vcc_lo
	s_add_co_i32 s0, s0, 1
	s_delay_alu instid0(SALU_CYCLE_1)
	s_cmp_lg_u32 s18, s0
	s_cbranch_scc1 .LBB64_652
.LBB64_653:
	s_wait_dscnt 0x0
	v_cmp_eq_f32_e32 vcc_lo, 0, v72
	v_cmp_eq_f32_e64 s0, 0, v73
	s_and_b32 s0, vcc_lo, s0
	s_delay_alu instid0(SALU_CYCLE_1) | instskip(NEXT) | instid1(SALU_CYCLE_1)
	s_and_saveexec_b32 s1, s0
	s_xor_b32 s0, exec_lo, s1
; %bb.654:
	v_cmp_ne_u32_e32 vcc_lo, 0, v78
	v_cndmask_b32_e32 v78, 32, v78, vcc_lo
; %bb.655:
	s_and_not1_saveexec_b32 s0, s0
	s_cbranch_execz .LBB64_661
; %bb.656:
	v_cmp_ngt_f32_e64 s1, |v72|, |v73|
	s_and_saveexec_b32 s12, s1
	s_delay_alu instid0(SALU_CYCLE_1)
	s_xor_b32 s1, exec_lo, s12
	s_cbranch_execz .LBB64_658
; %bb.657:
	v_div_scale_f32 v75, null, v73, v73, v72
	v_div_scale_f32 v83, vcc_lo, v72, v73, v72
	s_delay_alu instid0(VALU_DEP_2) | instskip(SKIP_1) | instid1(TRANS32_DEP_1)
	v_rcp_f32_e32 v81, v75
	v_nop
	v_fma_f32 v82, -v75, v81, 1.0
	s_delay_alu instid0(VALU_DEP_1) | instskip(NEXT) | instid1(VALU_DEP_1)
	v_fmac_f32_e32 v81, v82, v81
	v_mul_f32_e32 v82, v83, v81
	s_delay_alu instid0(VALU_DEP_1) | instskip(NEXT) | instid1(VALU_DEP_1)
	v_fma_f32 v84, -v75, v82, v83
	v_fmac_f32_e32 v82, v84, v81
	s_delay_alu instid0(VALU_DEP_1) | instskip(NEXT) | instid1(VALU_DEP_1)
	v_fma_f32 v75, -v75, v82, v83
	v_div_fmas_f32 v75, v75, v81, v82
	s_delay_alu instid0(VALU_DEP_1) | instskip(NEXT) | instid1(VALU_DEP_1)
	v_div_fixup_f32 v75, v75, v73, v72
	v_fmac_f32_e32 v73, v72, v75
	s_delay_alu instid0(VALU_DEP_1) | instskip(SKIP_1) | instid1(VALU_DEP_2)
	v_div_scale_f32 v72, null, v73, v73, 1.0
	v_div_scale_f32 v83, vcc_lo, 1.0, v73, 1.0
	v_rcp_f32_e32 v81, v72
	v_nop
	s_delay_alu instid0(TRANS32_DEP_1) | instskip(NEXT) | instid1(VALU_DEP_1)
	v_fma_f32 v82, -v72, v81, 1.0
	v_fmac_f32_e32 v81, v82, v81
	s_delay_alu instid0(VALU_DEP_1) | instskip(NEXT) | instid1(VALU_DEP_1)
	v_mul_f32_e32 v82, v83, v81
	v_fma_f32 v84, -v72, v82, v83
	s_delay_alu instid0(VALU_DEP_1) | instskip(NEXT) | instid1(VALU_DEP_1)
	v_fmac_f32_e32 v82, v84, v81
	v_fma_f32 v72, -v72, v82, v83
	s_delay_alu instid0(VALU_DEP_1) | instskip(NEXT) | instid1(VALU_DEP_1)
	v_div_fmas_f32 v72, v72, v81, v82
	v_div_fixup_f32 v73, v72, v73, 1.0
	s_delay_alu instid0(VALU_DEP_1)
	v_mul_f32_e32 v72, v75, v73
	v_xor_b32_e32 v73, 0x80000000, v73
.LBB64_658:
	s_and_not1_saveexec_b32 s1, s1
	s_cbranch_execz .LBB64_660
; %bb.659:
	s_delay_alu instid0(VALU_DEP_1) | instskip(SKIP_1) | instid1(VALU_DEP_2)
	v_div_scale_f32 v75, null, v72, v72, v73
	v_div_scale_f32 v83, vcc_lo, v73, v72, v73
	v_rcp_f32_e32 v81, v75
	v_nop
	s_delay_alu instid0(TRANS32_DEP_1) | instskip(NEXT) | instid1(VALU_DEP_1)
	v_fma_f32 v82, -v75, v81, 1.0
	v_fmac_f32_e32 v81, v82, v81
	s_delay_alu instid0(VALU_DEP_1) | instskip(NEXT) | instid1(VALU_DEP_1)
	v_mul_f32_e32 v82, v83, v81
	v_fma_f32 v84, -v75, v82, v83
	s_delay_alu instid0(VALU_DEP_1) | instskip(NEXT) | instid1(VALU_DEP_1)
	v_fmac_f32_e32 v82, v84, v81
	v_fma_f32 v75, -v75, v82, v83
	s_delay_alu instid0(VALU_DEP_1) | instskip(NEXT) | instid1(VALU_DEP_1)
	v_div_fmas_f32 v75, v75, v81, v82
	v_div_fixup_f32 v75, v75, v72, v73
	s_delay_alu instid0(VALU_DEP_1) | instskip(NEXT) | instid1(VALU_DEP_1)
	v_fmac_f32_e32 v72, v73, v75
	v_div_scale_f32 v73, null, v72, v72, 1.0
	s_delay_alu instid0(VALU_DEP_1) | instskip(SKIP_1) | instid1(TRANS32_DEP_1)
	v_rcp_f32_e32 v81, v73
	v_nop
	v_fma_f32 v82, -v73, v81, 1.0
	s_delay_alu instid0(VALU_DEP_1) | instskip(SKIP_1) | instid1(VALU_DEP_1)
	v_fmac_f32_e32 v81, v82, v81
	v_div_scale_f32 v82, vcc_lo, 1.0, v72, 1.0
	v_mul_f32_e32 v83, v82, v81
	s_delay_alu instid0(VALU_DEP_1) | instskip(NEXT) | instid1(VALU_DEP_1)
	v_fma_f32 v84, -v73, v83, v82
	v_fmac_f32_e32 v83, v84, v81
	s_delay_alu instid0(VALU_DEP_1) | instskip(NEXT) | instid1(VALU_DEP_1)
	v_fma_f32 v73, -v73, v83, v82
	v_div_fmas_f32 v73, v73, v81, v83
	s_delay_alu instid0(VALU_DEP_1) | instskip(NEXT) | instid1(VALU_DEP_1)
	v_div_fixup_f32 v72, v73, v72, 1.0
	v_mul_f32_e64 v73, v75, -v72
.LBB64_660:
	s_or_b32 exec_lo, exec_lo, s1
.LBB64_661:
	s_delay_alu instid0(SALU_CYCLE_1) | instskip(NEXT) | instid1(SALU_CYCLE_1)
	s_or_b32 exec_lo, exec_lo, s0
	s_mov_b32 s0, exec_lo
	v_cmpx_ne_u32_e64 v80, v74
	s_xor_b32 s0, exec_lo, s0
	s_cbranch_execz .LBB64_667
; %bb.662:
	s_mov_b32 s1, exec_lo
	v_cmpx_eq_u32_e32 31, v80
	s_cbranch_execz .LBB64_666
; %bb.663:
	v_cmp_ne_u32_e32 vcc_lo, 31, v74
	s_xor_b32 s12, s16, -1
	s_delay_alu instid0(SALU_CYCLE_1) | instskip(NEXT) | instid1(SALU_CYCLE_1)
	s_and_b32 s13, s12, vcc_lo
	s_and_saveexec_b32 s12, s13
	s_cbranch_execz .LBB64_665
; %bb.664:
	v_ashrrev_i32_e32 v75, 31, v74
	s_delay_alu instid0(VALU_DEP_1)
	v_lshl_add_u64 v[80:81], v[74:75], 2, v[4:5]
	s_clause 0x1
	global_load_b32 v75, v[80:81], off
	global_load_b32 v79, v[4:5], off offset:124
	s_wait_loadcnt 0x1
	global_store_b32 v[4:5], v75, off offset:124
	s_wait_loadcnt 0x0
	global_store_b32 v[80:81], v79, off
.LBB64_665:
	s_wait_xcnt 0x0
	s_or_b32 exec_lo, exec_lo, s12
	v_dual_mov_b32 v80, v74 :: v_dual_mov_b32 v79, v74
.LBB64_666:
	s_or_b32 exec_lo, exec_lo, s1
.LBB64_667:
	s_and_not1_saveexec_b32 s0, s0
; %bb.668:
	v_mov_b32_e32 v80, 31
	ds_store_b64 v76, v[70:71] offset:256
; %bb.669:
	s_or_b32 exec_lo, exec_lo, s0
	s_delay_alu instid0(SALU_CYCLE_1)
	s_mov_b32 s0, exec_lo
	s_wait_storecnt_dscnt 0x0
	s_barrier_signal -1
	s_barrier_wait -1
	v_cmpx_lt_i32_e32 31, v80
	s_cbranch_execz .LBB64_671
; %bb.670:
	ds_load_b64 v[74:75], v76 offset:256
	v_pk_mul_f32 v[82:83], v[72:73], v[32:33] op_sel:[1,1] op_sel_hi:[0,1]
	s_delay_alu instid0(VALU_DEP_1) | instskip(SKIP_2) | instid1(VALU_DEP_2)
	v_pk_fma_f32 v[84:85], v[72:73], v[32:33], v[82:83] op_sel_hi:[1,0,1]
	v_pk_fma_f32 v[32:33], v[72:73], v[32:33], v[82:83] op_sel_hi:[1,0,1] neg_lo:[0,0,1] neg_hi:[0,0,1]
	s_wait_dscnt 0x0
	v_pk_mul_f32 v[72:73], v[74:75], v[84:85] op_sel:[1,1] op_sel_hi:[0,1]
	s_delay_alu instid0(VALU_DEP_1) | instskip(SKIP_1) | instid1(VALU_DEP_2)
	v_pk_fma_f32 v[82:83], v[74:75], v[32:33], v[72:73] op_sel_hi:[1,0,1]
	v_pk_fma_f32 v[72:73], v[74:75], v[32:33], v[72:73] neg_lo:[0,0,1] neg_hi:[0,0,1]
	v_dual_mov_b32 v33, v85 :: v_dual_mov_b32 v73, v83
	s_delay_alu instid0(VALU_DEP_1)
	v_pk_add_f32 v[70:71], v[70:71], v[72:73] neg_lo:[0,1] neg_hi:[0,1]
.LBB64_671:
	s_or_b32 exec_lo, exec_lo, s0
	v_lshl_add_u32 v72, v80, 3, v76
	s_barrier_signal -1
	s_barrier_wait -1
	ds_store_b64 v72, v[70:71]
	s_wait_dscnt 0x0
	s_barrier_signal -1
	s_barrier_wait -1
	ds_load_b64 v[72:73], v76 offset:256
	v_mov_b32_e32 v74, 32
	s_cmp_lt_i32 s18, 34
	s_cbranch_scc1 .LBB64_674
; %bb.672:
	v_add3_u32 v75, v77, 0, 0x108
	v_mov_b32_e32 v74, 32
	s_mov_b32 s0, 33
.LBB64_673:                             ; =>This Inner Loop Header: Depth=1
	ds_load_b64 v[76:77], v75
	s_wait_dscnt 0x1
	v_cmp_gt_f32_e32 vcc_lo, 0, v72
	v_cndmask_b32_e64 v82, v72, -v72, vcc_lo
	v_cmp_gt_f32_e32 vcc_lo, 0, v73
	v_cndmask_b32_e64 v84, v73, -v73, vcc_lo
	s_wait_dscnt 0x0
	v_cmp_gt_f32_e32 vcc_lo, 0, v76
	v_cndmask_b32_e64 v83, v76, -v76, vcc_lo
	v_cmp_gt_f32_e32 vcc_lo, 0, v77
	v_cndmask_b32_e64 v85, v77, -v77, vcc_lo
	s_delay_alu instid0(VALU_DEP_1) | instskip(NEXT) | instid1(VALU_DEP_1)
	v_pk_add_f32 v[82:83], v[82:83], v[84:85]
	v_cmp_lt_f32_e32 vcc_lo, v82, v83
	v_dual_add_nc_u32 v75, 8, v75 :: v_dual_cndmask_b32 v73, v73, v77, vcc_lo
	v_cndmask_b32_e32 v72, v72, v76, vcc_lo
	v_cndmask_b32_e64 v74, v74, s0, vcc_lo
	s_add_co_i32 s0, s0, 1
	s_delay_alu instid0(SALU_CYCLE_1)
	s_cmp_lg_u32 s18, s0
	s_cbranch_scc1 .LBB64_673
.LBB64_674:
	s_wait_dscnt 0x0
	v_cmp_eq_f32_e32 vcc_lo, 0, v72
	v_cmp_eq_f32_e64 s0, 0, v73
	s_and_b32 s0, vcc_lo, s0
	s_delay_alu instid0(SALU_CYCLE_1) | instskip(NEXT) | instid1(SALU_CYCLE_1)
	s_and_saveexec_b32 s1, s0
	s_xor_b32 s0, exec_lo, s1
; %bb.675:
	v_cmp_ne_u32_e32 vcc_lo, 0, v78
	v_cndmask_b32_e32 v78, 33, v78, vcc_lo
; %bb.676:
	s_and_not1_saveexec_b32 s0, s0
	s_cbranch_execz .LBB64_682
; %bb.677:
	v_cmp_ngt_f32_e64 s1, |v72|, |v73|
	s_and_saveexec_b32 s12, s1
	s_delay_alu instid0(SALU_CYCLE_1)
	s_xor_b32 s1, exec_lo, s12
	s_cbranch_execz .LBB64_679
; %bb.678:
	v_div_scale_f32 v75, null, v73, v73, v72
	v_div_scale_f32 v81, vcc_lo, v72, v73, v72
	s_delay_alu instid0(VALU_DEP_2) | instskip(SKIP_1) | instid1(TRANS32_DEP_1)
	v_rcp_f32_e32 v76, v75
	v_nop
	v_fma_f32 v77, -v75, v76, 1.0
	s_delay_alu instid0(VALU_DEP_1) | instskip(NEXT) | instid1(VALU_DEP_1)
	v_fmac_f32_e32 v76, v77, v76
	v_mul_f32_e32 v77, v81, v76
	s_delay_alu instid0(VALU_DEP_1) | instskip(NEXT) | instid1(VALU_DEP_1)
	v_fma_f32 v82, -v75, v77, v81
	v_fmac_f32_e32 v77, v82, v76
	s_delay_alu instid0(VALU_DEP_1) | instskip(NEXT) | instid1(VALU_DEP_1)
	v_fma_f32 v75, -v75, v77, v81
	v_div_fmas_f32 v75, v75, v76, v77
	s_delay_alu instid0(VALU_DEP_1) | instskip(NEXT) | instid1(VALU_DEP_1)
	v_div_fixup_f32 v75, v75, v73, v72
	v_fmac_f32_e32 v73, v72, v75
	s_delay_alu instid0(VALU_DEP_1) | instskip(SKIP_1) | instid1(VALU_DEP_2)
	v_div_scale_f32 v72, null, v73, v73, 1.0
	v_div_scale_f32 v81, vcc_lo, 1.0, v73, 1.0
	v_rcp_f32_e32 v76, v72
	v_nop
	s_delay_alu instid0(TRANS32_DEP_1) | instskip(NEXT) | instid1(VALU_DEP_1)
	v_fma_f32 v77, -v72, v76, 1.0
	v_fmac_f32_e32 v76, v77, v76
	s_delay_alu instid0(VALU_DEP_1) | instskip(NEXT) | instid1(VALU_DEP_1)
	v_mul_f32_e32 v77, v81, v76
	v_fma_f32 v82, -v72, v77, v81
	s_delay_alu instid0(VALU_DEP_1) | instskip(NEXT) | instid1(VALU_DEP_1)
	v_fmac_f32_e32 v77, v82, v76
	v_fma_f32 v72, -v72, v77, v81
	s_delay_alu instid0(VALU_DEP_1) | instskip(NEXT) | instid1(VALU_DEP_1)
	v_div_fmas_f32 v72, v72, v76, v77
	v_div_fixup_f32 v73, v72, v73, 1.0
	s_delay_alu instid0(VALU_DEP_1)
	v_mul_f32_e32 v72, v75, v73
	v_xor_b32_e32 v73, 0x80000000, v73
.LBB64_679:
	s_and_not1_saveexec_b32 s1, s1
	s_cbranch_execz .LBB64_681
; %bb.680:
	s_delay_alu instid0(VALU_DEP_1) | instskip(SKIP_1) | instid1(VALU_DEP_2)
	v_div_scale_f32 v75, null, v72, v72, v73
	v_div_scale_f32 v81, vcc_lo, v73, v72, v73
	v_rcp_f32_e32 v76, v75
	v_nop
	s_delay_alu instid0(TRANS32_DEP_1) | instskip(NEXT) | instid1(VALU_DEP_1)
	v_fma_f32 v77, -v75, v76, 1.0
	v_fmac_f32_e32 v76, v77, v76
	s_delay_alu instid0(VALU_DEP_1) | instskip(NEXT) | instid1(VALU_DEP_1)
	v_mul_f32_e32 v77, v81, v76
	v_fma_f32 v82, -v75, v77, v81
	s_delay_alu instid0(VALU_DEP_1) | instskip(NEXT) | instid1(VALU_DEP_1)
	v_fmac_f32_e32 v77, v82, v76
	v_fma_f32 v75, -v75, v77, v81
	s_delay_alu instid0(VALU_DEP_1) | instskip(NEXT) | instid1(VALU_DEP_1)
	v_div_fmas_f32 v75, v75, v76, v77
	v_div_fixup_f32 v75, v75, v72, v73
	s_delay_alu instid0(VALU_DEP_1) | instskip(NEXT) | instid1(VALU_DEP_1)
	v_fmac_f32_e32 v72, v73, v75
	v_div_scale_f32 v73, null, v72, v72, 1.0
	s_delay_alu instid0(VALU_DEP_1) | instskip(SKIP_1) | instid1(TRANS32_DEP_1)
	v_rcp_f32_e32 v76, v73
	v_nop
	v_fma_f32 v77, -v73, v76, 1.0
	s_delay_alu instid0(VALU_DEP_1) | instskip(SKIP_1) | instid1(VALU_DEP_1)
	v_fmac_f32_e32 v76, v77, v76
	v_div_scale_f32 v77, vcc_lo, 1.0, v72, 1.0
	v_mul_f32_e32 v81, v77, v76
	s_delay_alu instid0(VALU_DEP_1) | instskip(NEXT) | instid1(VALU_DEP_1)
	v_fma_f32 v82, -v73, v81, v77
	v_fmac_f32_e32 v81, v82, v76
	s_delay_alu instid0(VALU_DEP_1) | instskip(NEXT) | instid1(VALU_DEP_1)
	v_fma_f32 v73, -v73, v81, v77
	v_div_fmas_f32 v73, v73, v76, v81
	s_delay_alu instid0(VALU_DEP_1) | instskip(NEXT) | instid1(VALU_DEP_1)
	v_div_fixup_f32 v72, v73, v72, 1.0
	v_mul_f32_e64 v73, v75, -v72
.LBB64_681:
	s_or_b32 exec_lo, exec_lo, s1
.LBB64_682:
	s_delay_alu instid0(SALU_CYCLE_1)
	s_or_b32 exec_lo, exec_lo, s0
	v_mov_b32_e32 v76, 32
	s_mov_b32 s0, exec_lo
	v_cmpx_ne_u32_e64 v80, v74
	s_cbranch_execz .LBB64_688
; %bb.683:
	s_mov_b32 s1, exec_lo
	v_cmpx_eq_u32_e32 32, v80
	s_cbranch_execz .LBB64_687
; %bb.684:
	v_cmp_ne_u32_e32 vcc_lo, 32, v74
	s_xor_b32 s12, s16, -1
	s_delay_alu instid0(SALU_CYCLE_1) | instskip(NEXT) | instid1(SALU_CYCLE_1)
	s_and_b32 s13, s12, vcc_lo
	s_and_saveexec_b32 s12, s13
	s_cbranch_execz .LBB64_686
; %bb.685:
	v_ashrrev_i32_e32 v75, 31, v74
	s_delay_alu instid0(VALU_DEP_1)
	v_lshl_add_u64 v[76:77], v[74:75], 2, v[4:5]
	s_clause 0x1
	global_load_b32 v75, v[76:77], off
	global_load_b32 v79, v[4:5], off offset:128
	s_wait_loadcnt 0x1
	global_store_b32 v[4:5], v75, off offset:128
	s_wait_loadcnt 0x0
	global_store_b32 v[76:77], v79, off
.LBB64_686:
	s_wait_xcnt 0x0
	s_or_b32 exec_lo, exec_lo, s12
	v_dual_mov_b32 v80, v74 :: v_dual_mov_b32 v79, v74
.LBB64_687:
	s_or_b32 exec_lo, exec_lo, s1
	s_delay_alu instid0(VALU_DEP_1)
	v_mov_b32_e32 v76, v80
.LBB64_688:
	s_or_b32 exec_lo, exec_lo, s0
	s_delay_alu instid0(VALU_DEP_1)
	v_ashrrev_i32_e32 v77, 31, v76
	s_mov_b32 s0, exec_lo
	s_wait_storecnt 0x0
	s_barrier_signal -1
	s_barrier_wait -1
	s_barrier_signal -1
	s_barrier_wait -1
	v_cmpx_gt_i32_e32 33, v76
	s_cbranch_execz .LBB64_690
; %bb.689:
	v_mul_u64_e32 v[4:5], s[10:11], v[2:3]
	v_add3_u32 v74, v79, s17, 1
	s_delay_alu instid0(VALU_DEP_2) | instskip(NEXT) | instid1(VALU_DEP_1)
	v_lshl_add_u64 v[4:5], v[4:5], 2, s[6:7]
	v_lshl_add_u64 v[4:5], s[8:9], 2, v[4:5]
	s_delay_alu instid0(VALU_DEP_1)
	v_lshl_add_u64 v[4:5], v[76:77], 2, v[4:5]
	global_store_b32 v[4:5], v74, off
.LBB64_690:
	s_wait_xcnt 0x0
	s_or_b32 exec_lo, exec_lo, s0
	s_delay_alu instid0(SALU_CYCLE_1)
	s_mov_b32 s1, exec_lo
	v_cmpx_eq_u32_e32 0, v76
	s_cbranch_execz .LBB64_693
; %bb.691:
	s_wait_kmcnt 0x0
	v_lshl_add_u64 v[2:3], v[2:3], 2, s[4:5]
	v_cmp_ne_u32_e64 s0, 0, v78
	global_load_b32 v4, v[2:3], off
	s_wait_loadcnt 0x0
	v_cmp_eq_u32_e32 vcc_lo, 0, v4
	s_and_b32 s0, vcc_lo, s0
	s_wait_xcnt 0x0
	s_and_b32 exec_lo, exec_lo, s0
	s_cbranch_execz .LBB64_693
; %bb.692:
	v_add_nc_u32_e32 v4, s17, v78
	global_store_b32 v[2:3], v4, off
.LBB64_693:
	s_wait_xcnt 0x0
	s_or_b32 exec_lo, exec_lo, s1
	v_add3_u32 v2, s2, s2, v76
	v_pk_mul_f32 v[86:87], v[72:73], v[70:71] op_sel:[1,1] op_sel_hi:[0,1]
	v_cmp_lt_i32_e32 vcc_lo, 32, v76
	v_lshl_add_u64 v[76:77], v[76:77], 3, v[0:1]
	s_delay_alu instid0(VALU_DEP_4) | instskip(NEXT) | instid1(VALU_DEP_4)
	v_add_nc_u32_e32 v4, s2, v2
	v_pk_fma_f32 v[90:91], v[72:73], v[70:71], v[86:87] op_sel_hi:[1,0,1]
	v_pk_fma_f32 v[72:73], v[72:73], v[70:71], v[86:87] neg_lo:[0,0,1] neg_hi:[0,0,1]
	global_store_b64 v[76:77], v[68:69], off
	s_wait_xcnt 0x0
	v_lshl_add_u64 v[68:69], s[2:3], 3, v[76:77]
	v_dual_cndmask_b32 v71, v71, v91 :: v_dual_add_nc_u32 v74, s2, v4
	s_delay_alu instid0(VALU_DEP_1) | instskip(NEXT) | instid1(VALU_DEP_1)
	v_dual_cndmask_b32 v70, v70, v72, vcc_lo :: v_dual_add_nc_u32 v78, s2, v74
	v_add_nc_u32_e32 v80, s2, v78
	s_delay_alu instid0(VALU_DEP_1) | instskip(SKIP_1) | instid1(VALU_DEP_2)
	v_dual_ashrrev_i32 v75, 31, v74 :: v_dual_add_nc_u32 v82, s2, v80
	v_ashrrev_i32_e32 v5, 31, v4
	v_dual_ashrrev_i32 v81, 31, v80 :: v_dual_add_nc_u32 v84, s2, v82
	s_delay_alu instid0(VALU_DEP_2) | instskip(NEXT) | instid1(VALU_DEP_2)
	v_lshl_add_u64 v[4:5], v[4:5], 3, v[0:1]
	v_add_nc_u32_e32 v88, s2, v84
	s_delay_alu instid0(VALU_DEP_1) | instskip(SKIP_1) | instid1(VALU_DEP_2)
	v_dual_add_nc_u32 v86, s2, v88 :: v_dual_ashrrev_i32 v83, 31, v82
	v_ashrrev_i32_e32 v85, 31, v84
	v_dual_ashrrev_i32 v89, 31, v88 :: v_dual_add_nc_u32 v72, s2, v86
	s_delay_alu instid0(VALU_DEP_1) | instskip(NEXT) | instid1(VALU_DEP_1)
	v_dual_ashrrev_i32 v3, 31, v2 :: v_dual_add_nc_u32 v90, s2, v72
	v_lshl_add_u64 v[2:3], v[2:3], 3, v[0:1]
	s_clause 0x2
	global_store_b64 v[68:69], v[66:67], off
	global_store_b64 v[2:3], v[64:65], off
	;; [unrolled: 1-line block ×3, first 2 shown]
	v_add_nc_u32_e32 v76, s2, v90
	s_wait_xcnt 0x0
	v_lshl_add_u64 v[62:63], v[74:75], 3, v[0:1]
	v_lshl_add_u64 v[66:67], v[80:81], 3, v[0:1]
	v_lshl_add_u64 v[68:69], v[82:83], 3, v[0:1]
	v_ashrrev_i32_e32 v73, 31, v72
	v_dual_add_nc_u32 v2, s2, v76 :: v_dual_ashrrev_i32 v77, 31, v76
	s_delay_alu instid0(VALU_DEP_1) | instskip(NEXT) | instid1(VALU_DEP_1)
	v_add_nc_u32_e32 v4, s2, v2
	v_dual_ashrrev_i32 v79, 31, v78 :: v_dual_add_nc_u32 v74, s2, v4
	s_delay_alu instid0(VALU_DEP_1)
	v_lshl_add_u64 v[64:65], v[78:79], 3, v[0:1]
	s_clause 0x3
	global_store_b64 v[62:63], v[14:15], off
	global_store_b64 v[64:65], v[10:11], off
	;; [unrolled: 1-line block ×4, first 2 shown]
	s_wait_xcnt 0x0
	v_add_nc_u32_e32 v8, s2, v74
	v_ashrrev_i32_e32 v87, 31, v86
	v_lshl_add_u64 v[12:13], v[84:85], 3, v[0:1]
	v_lshl_add_u64 v[14:15], v[88:89], 3, v[0:1]
	;; [unrolled: 1-line block ×3, first 2 shown]
	v_add_nc_u32_e32 v10, s2, v8
	v_lshl_add_u64 v[62:63], v[86:87], 3, v[0:1]
	s_clause 0x3
	global_store_b64 v[12:13], v[30:31], off
	global_store_b64 v[14:15], v[22:23], off
	;; [unrolled: 1-line block ×4, first 2 shown]
	v_dual_add_nc_u32 v66, s2, v10 :: v_dual_ashrrev_i32 v5, 31, v4
	s_wait_xcnt 0x2
	v_lshl_add_u64 v[22:23], v[76:77], 3, v[0:1]
	s_delay_alu instid0(VALU_DEP_2) | instskip(SKIP_3) | instid1(VALU_DEP_4)
	v_dual_ashrrev_i32 v9, 31, v8 :: v_dual_add_nc_u32 v12, s2, v66
	v_ashrrev_i32_e32 v91, 31, v90
	v_lshl_add_u64 v[4:5], v[4:5], 3, v[0:1]
	v_ashrrev_i32_e32 v11, 31, v10
	v_lshl_add_u64 v[8:9], v[8:9], 3, v[0:1]
	v_add_nc_u32_e32 v14, s2, v12
	s_wait_xcnt 0x0
	v_lshl_add_u64 v[20:21], v[90:91], 3, v[0:1]
	v_ashrrev_i32_e32 v13, 31, v12
	v_lshl_add_u64 v[10:11], v[10:11], 3, v[0:1]
	v_add_nc_u32_e32 v28, s2, v14
	v_ashrrev_i32_e32 v3, 31, v2
	v_ashrrev_i32_e32 v67, 31, v66
	v_lshl_add_u64 v[12:13], v[12:13], 3, v[0:1]
	s_delay_alu instid0(VALU_DEP_4) | instskip(NEXT) | instid1(VALU_DEP_4)
	v_ashrrev_i32_e32 v29, 31, v28
	v_lshl_add_u64 v[2:3], v[2:3], 3, v[0:1]
	s_clause 0x3
	global_store_b64 v[20:21], v[40:41], off
	global_store_b64 v[22:23], v[36:37], off
	;; [unrolled: 1-line block ×4, first 2 shown]
	s_wait_xcnt 0x1
	v_add_nc_u32_e32 v2, s2, v28
	v_lshl_add_u64 v[22:23], v[66:67], 3, v[0:1]
	s_wait_xcnt 0x0
	s_delay_alu instid0(VALU_DEP_2) | instskip(NEXT) | instid1(VALU_DEP_1)
	v_dual_add_nc_u32 v4, s2, v2 :: v_dual_ashrrev_i32 v3, 31, v2
	v_dual_ashrrev_i32 v75, 31, v74 :: v_dual_add_nc_u32 v30, s2, v4
	v_ashrrev_i32_e32 v5, 31, v4
	s_delay_alu instid0(VALU_DEP_2)
	v_lshl_add_u64 v[20:21], v[74:75], 3, v[0:1]
	s_clause 0x3
	global_store_b64 v[20:21], v[60:61], off
	global_store_b64 v[8:9], v[56:57], off
	;; [unrolled: 1-line block ×4, first 2 shown]
	s_wait_xcnt 0x2
	v_add_nc_u32_e32 v8, s2, v30
	v_ashrrev_i32_e32 v15, 31, v14
	v_lshl_add_u64 v[20:21], v[28:29], 3, v[0:1]
	v_lshl_add_u64 v[2:3], v[2:3], 3, v[0:1]
	;; [unrolled: 1-line block ×3, first 2 shown]
	s_wait_xcnt 0x1
	v_add_nc_u32_e32 v10, s2, v8
	v_lshl_add_u64 v[14:15], v[14:15], 3, v[0:1]
	s_clause 0x3
	global_store_b64 v[12:13], v[50:51], off
	global_store_b64 v[14:15], v[46:47], off
	;; [unrolled: 1-line block ×4, first 2 shown]
	s_wait_xcnt 0x4
	v_dual_add_nc_u32 v22, s2, v10 :: v_dual_ashrrev_i32 v9, 31, v8
	s_wait_xcnt 0x0
	s_delay_alu instid0(VALU_DEP_1) | instskip(NEXT) | instid1(VALU_DEP_2)
	v_add_nc_u32_e32 v2, s2, v22
	v_lshl_add_u64 v[8:9], v[8:9], 3, v[0:1]
	s_delay_alu instid0(VALU_DEP_2) | instskip(NEXT) | instid1(VALU_DEP_1)
	v_add_nc_u32_e32 v12, s2, v2
	v_dual_add_nc_u32 v20, s2, v12 :: v_dual_ashrrev_i32 v31, 31, v30
	v_ashrrev_i32_e32 v3, 31, v2
	v_dual_ashrrev_i32 v11, 31, v10 :: v_dual_ashrrev_i32 v13, 31, v12
	s_delay_alu instid0(VALU_DEP_3) | instskip(NEXT) | instid1(VALU_DEP_4)
	v_dual_ashrrev_i32 v23, 31, v22 :: v_dual_ashrrev_i32 v21, 31, v20
	v_lshl_add_u64 v[14:15], v[30:31], 3, v[0:1]
	s_delay_alu instid0(VALU_DEP_3)
	v_lshl_add_u64 v[10:11], v[10:11], 3, v[0:1]
	s_clause 0x3
	global_store_b64 v[4:5], v[26:27], off
	global_store_b64 v[14:15], v[18:19], off
	global_store_b64 v[8:9], v[24:25], off
	global_store_b64 v[10:11], v[16:17], off
	s_wait_xcnt 0x3
	v_add_nc_u32_e32 v4, s2, v20
	s_wait_xcnt 0x1
	v_lshl_add_u64 v[8:9], v[22:23], 3, v[0:1]
	v_lshl_add_u64 v[2:3], v[2:3], 3, v[0:1]
	s_wait_xcnt 0x0
	v_lshl_add_u64 v[10:11], v[12:13], 3, v[0:1]
	v_lshl_add_u64 v[12:13], v[20:21], 3, v[0:1]
	v_ashrrev_i32_e32 v5, 31, v4
	s_delay_alu instid0(VALU_DEP_1)
	v_lshl_add_u64 v[0:1], v[4:5], 3, v[0:1]
	s_clause 0x4
	global_store_b64 v[8:9], v[6:7], off
	global_store_b64 v[2:3], v[52:53], off
	;; [unrolled: 1-line block ×5, first 2 shown]
.LBB64_694:
	s_sendmsg sendmsg(MSG_DEALLOC_VGPRS)
	s_endpgm
	.section	.rodata,"a",@progbits
	.p2align	6, 0x0
	.amdhsa_kernel _ZN9rocsolver6v33100L18getf2_small_kernelILi33E19rocblas_complex_numIfEiiPS3_EEvT1_T3_lS5_lPS5_llPT2_S5_S5_S7_l
		.amdhsa_group_segment_fixed_size 0
		.amdhsa_private_segment_fixed_size 0
		.amdhsa_kernarg_size 352
		.amdhsa_user_sgpr_count 2
		.amdhsa_user_sgpr_dispatch_ptr 0
		.amdhsa_user_sgpr_queue_ptr 0
		.amdhsa_user_sgpr_kernarg_segment_ptr 1
		.amdhsa_user_sgpr_dispatch_id 0
		.amdhsa_user_sgpr_kernarg_preload_length 0
		.amdhsa_user_sgpr_kernarg_preload_offset 0
		.amdhsa_user_sgpr_private_segment_size 0
		.amdhsa_wavefront_size32 1
		.amdhsa_uses_dynamic_stack 0
		.amdhsa_enable_private_segment 0
		.amdhsa_system_sgpr_workgroup_id_x 1
		.amdhsa_system_sgpr_workgroup_id_y 1
		.amdhsa_system_sgpr_workgroup_id_z 0
		.amdhsa_system_sgpr_workgroup_info 0
		.amdhsa_system_vgpr_workitem_id 1
		.amdhsa_next_free_vgpr 96
		.amdhsa_next_free_sgpr 19
		.amdhsa_named_barrier_count 0
		.amdhsa_reserve_vcc 1
		.amdhsa_float_round_mode_32 0
		.amdhsa_float_round_mode_16_64 0
		.amdhsa_float_denorm_mode_32 3
		.amdhsa_float_denorm_mode_16_64 3
		.amdhsa_fp16_overflow 0
		.amdhsa_memory_ordered 1
		.amdhsa_forward_progress 1
		.amdhsa_inst_pref_size 255
		.amdhsa_round_robin_scheduling 0
		.amdhsa_exception_fp_ieee_invalid_op 0
		.amdhsa_exception_fp_denorm_src 0
		.amdhsa_exception_fp_ieee_div_zero 0
		.amdhsa_exception_fp_ieee_overflow 0
		.amdhsa_exception_fp_ieee_underflow 0
		.amdhsa_exception_fp_ieee_inexact 0
		.amdhsa_exception_int_div_zero 0
	.end_amdhsa_kernel
	.section	.text._ZN9rocsolver6v33100L18getf2_small_kernelILi33E19rocblas_complex_numIfEiiPS3_EEvT1_T3_lS5_lPS5_llPT2_S5_S5_S7_l,"axG",@progbits,_ZN9rocsolver6v33100L18getf2_small_kernelILi33E19rocblas_complex_numIfEiiPS3_EEvT1_T3_lS5_lPS5_llPT2_S5_S5_S7_l,comdat
.Lfunc_end64:
	.size	_ZN9rocsolver6v33100L18getf2_small_kernelILi33E19rocblas_complex_numIfEiiPS3_EEvT1_T3_lS5_lPS5_llPT2_S5_S5_S7_l, .Lfunc_end64-_ZN9rocsolver6v33100L18getf2_small_kernelILi33E19rocblas_complex_numIfEiiPS3_EEvT1_T3_lS5_lPS5_llPT2_S5_S5_S7_l
                                        ; -- End function
	.set _ZN9rocsolver6v33100L18getf2_small_kernelILi33E19rocblas_complex_numIfEiiPS3_EEvT1_T3_lS5_lPS5_llPT2_S5_S5_S7_l.num_vgpr, 96
	.set _ZN9rocsolver6v33100L18getf2_small_kernelILi33E19rocblas_complex_numIfEiiPS3_EEvT1_T3_lS5_lPS5_llPT2_S5_S5_S7_l.num_agpr, 0
	.set _ZN9rocsolver6v33100L18getf2_small_kernelILi33E19rocblas_complex_numIfEiiPS3_EEvT1_T3_lS5_lPS5_llPT2_S5_S5_S7_l.numbered_sgpr, 19
	.set _ZN9rocsolver6v33100L18getf2_small_kernelILi33E19rocblas_complex_numIfEiiPS3_EEvT1_T3_lS5_lPS5_llPT2_S5_S5_S7_l.num_named_barrier, 0
	.set _ZN9rocsolver6v33100L18getf2_small_kernelILi33E19rocblas_complex_numIfEiiPS3_EEvT1_T3_lS5_lPS5_llPT2_S5_S5_S7_l.private_seg_size, 0
	.set _ZN9rocsolver6v33100L18getf2_small_kernelILi33E19rocblas_complex_numIfEiiPS3_EEvT1_T3_lS5_lPS5_llPT2_S5_S5_S7_l.uses_vcc, 1
	.set _ZN9rocsolver6v33100L18getf2_small_kernelILi33E19rocblas_complex_numIfEiiPS3_EEvT1_T3_lS5_lPS5_llPT2_S5_S5_S7_l.uses_flat_scratch, 0
	.set _ZN9rocsolver6v33100L18getf2_small_kernelILi33E19rocblas_complex_numIfEiiPS3_EEvT1_T3_lS5_lPS5_llPT2_S5_S5_S7_l.has_dyn_sized_stack, 0
	.set _ZN9rocsolver6v33100L18getf2_small_kernelILi33E19rocblas_complex_numIfEiiPS3_EEvT1_T3_lS5_lPS5_llPT2_S5_S5_S7_l.has_recursion, 0
	.set _ZN9rocsolver6v33100L18getf2_small_kernelILi33E19rocblas_complex_numIfEiiPS3_EEvT1_T3_lS5_lPS5_llPT2_S5_S5_S7_l.has_indirect_call, 0
	.section	.AMDGPU.csdata,"",@progbits
; Kernel info:
; codeLenInByte = 63972
; TotalNumSgprs: 21
; NumVgprs: 96
; ScratchSize: 0
; MemoryBound: 0
; FloatMode: 240
; IeeeMode: 1
; LDSByteSize: 0 bytes/workgroup (compile time only)
; SGPRBlocks: 0
; VGPRBlocks: 5
; NumSGPRsForWavesPerEU: 21
; NumVGPRsForWavesPerEU: 96
; NamedBarCnt: 0
; Occupancy: 10
; WaveLimiterHint : 0
; COMPUTE_PGM_RSRC2:SCRATCH_EN: 0
; COMPUTE_PGM_RSRC2:USER_SGPR: 2
; COMPUTE_PGM_RSRC2:TRAP_HANDLER: 0
; COMPUTE_PGM_RSRC2:TGID_X_EN: 1
; COMPUTE_PGM_RSRC2:TGID_Y_EN: 1
; COMPUTE_PGM_RSRC2:TGID_Z_EN: 0
; COMPUTE_PGM_RSRC2:TIDIG_COMP_CNT: 1
	.section	.text._ZN9rocsolver6v33100L23getf2_npvt_small_kernelILi33E19rocblas_complex_numIfEiiPS3_EEvT1_T3_lS5_lPT2_S5_S5_,"axG",@progbits,_ZN9rocsolver6v33100L23getf2_npvt_small_kernelILi33E19rocblas_complex_numIfEiiPS3_EEvT1_T3_lS5_lPT2_S5_S5_,comdat
	.globl	_ZN9rocsolver6v33100L23getf2_npvt_small_kernelILi33E19rocblas_complex_numIfEiiPS3_EEvT1_T3_lS5_lPT2_S5_S5_ ; -- Begin function _ZN9rocsolver6v33100L23getf2_npvt_small_kernelILi33E19rocblas_complex_numIfEiiPS3_EEvT1_T3_lS5_lPT2_S5_S5_
	.p2align	8
	.type	_ZN9rocsolver6v33100L23getf2_npvt_small_kernelILi33E19rocblas_complex_numIfEiiPS3_EEvT1_T3_lS5_lPT2_S5_S5_,@function
_ZN9rocsolver6v33100L23getf2_npvt_small_kernelILi33E19rocblas_complex_numIfEiiPS3_EEvT1_T3_lS5_lPT2_S5_S5_: ; @_ZN9rocsolver6v33100L23getf2_npvt_small_kernelILi33E19rocblas_complex_numIfEiiPS3_EEvT1_T3_lS5_lPT2_S5_S5_
; %bb.0:
	s_clause 0x1
	s_load_u16 s14, s[0:1], 0x46
	s_load_b64 s[2:3], s[0:1], 0x30
	s_bfe_u32 s4, ttmp6, 0x40010
	s_bfe_u32 s5, ttmp6, 0x40004
	s_add_co_i32 s4, s4, 1
	s_getreg_b32 s6, hwreg(HW_REG_IB_STS2, 6, 4)
	s_mul_i32 s4, ttmp7, s4
	v_bfe_u32 v134, v0, 10, 10
	s_add_co_i32 s5, s5, s4
	s_cmp_eq_u32 s6, 0
	s_cselect_b32 s4, ttmp7, s5
	s_wait_kmcnt 0x0
	v_mad_u32 v2, s4, s14, v134
	s_delay_alu instid0(VALU_DEP_1)
	v_cmp_gt_i32_e32 vcc_lo, s2, v2
	s_and_saveexec_b32 s2, vcc_lo
	s_cbranch_execz .LBB65_300
; %bb.1:
	s_clause 0x1
	s_load_b32 s12, s[0:1], 0x18
	s_load_b128 s[8:11], s[0:1], 0x8
	v_and_b32_e32 v200, 0x3ff, v0
	s_load_b128 s[4:7], s[0:1], 0x20
	v_lshlrev_b32_e32 v135, 3, v134
	s_mulk_i32 s14, 0x108
	v_mad_u32_u24 v202, 0x108, v134, 0
	s_wait_xcnt 0x0
	v_cmp_ne_u32_e64 s1, 0, v200
	v_cmp_eq_u32_e64 s0, 0, v200
	v_add3_u32 v201, 0, s14, v135
	v_dual_ashrrev_i32 v3, 31, v2 :: v_dual_mov_b32 v13, 0
	s_wait_kmcnt 0x0
	v_add3_u32 v0, s12, s12, v200
	s_ashr_i32 s13, s12, 31
	s_delay_alu instid0(VALU_DEP_2) | instskip(NEXT) | instid1(VALU_DEP_2)
	v_mul_u64_e32 v[6:7], s[4:5], v[2:3]
	v_add_nc_u32_e32 v4, s12, v0
	s_delay_alu instid0(VALU_DEP_1) | instskip(NEXT) | instid1(VALU_DEP_1)
	v_add_nc_u32_e32 v8, s12, v4
	v_add_nc_u32_e32 v10, s12, v8
	s_delay_alu instid0(VALU_DEP_1) | instskip(NEXT) | instid1(VALU_DEP_1)
	v_add_nc_u32_e32 v16, s12, v10
	;; [unrolled: 3-line block ×3, first 2 shown]
	v_add_nc_u32_e32 v24, s12, v22
	v_lshl_add_u64 v[6:7], v[6:7], 3, s[8:9]
	v_ashrrev_i32_e32 v11, 31, v10
	s_delay_alu instid0(VALU_DEP_3) | instskip(NEXT) | instid1(VALU_DEP_3)
	v_dual_ashrrev_i32 v23, 31, v22 :: v_dual_add_nc_u32 v26, s12, v24
	v_lshl_add_u64 v[100:101], s[10:11], 3, v[6:7]
	s_delay_alu instid0(VALU_DEP_2) | instskip(NEXT) | instid1(VALU_DEP_1)
	v_add_nc_u32_e32 v28, s12, v26
	v_add_nc_u32_e32 v32, s12, v28
	s_delay_alu instid0(VALU_DEP_1) | instskip(NEXT) | instid1(VALU_DEP_1)
	v_add_nc_u32_e32 v40, s12, v32
	v_add_nc_u32_e32 v46, s12, v40
	s_delay_alu instid0(VALU_DEP_1) | instskip(SKIP_1) | instid1(VALU_DEP_2)
	v_add_nc_u32_e32 v48, s12, v46
	v_dual_ashrrev_i32 v27, 31, v26 :: v_dual_ashrrev_i32 v17, 31, v16
	v_dual_ashrrev_i32 v47, 31, v46 :: v_dual_add_nc_u32 v50, s12, v48
	v_ashrrev_i32_e32 v49, 31, v48
	v_lshlrev_b32_e32 v12, 3, v200
	v_ashrrev_i32_e32 v21, 31, v20
	s_delay_alu instid0(VALU_DEP_4) | instskip(SKIP_1) | instid1(VALU_DEP_4)
	v_lshl_add_u64 v[46:47], v[46:47], 3, v[100:101]
	v_dual_add_nc_u32 v64, s12, v50 :: v_dual_ashrrev_i32 v51, 31, v50
	v_add_nc_u64_e32 v[18:19], v[100:101], v[12:13]
	v_lshl_add_u64 v[48:49], v[48:49], 3, v[100:101]
	s_delay_alu instid0(VALU_DEP_3) | instskip(SKIP_3) | instid1(VALU_DEP_4)
	v_dual_add_nc_u32 v66, s12, v64 :: v_dual_ashrrev_i32 v65, 31, v64
	v_ashrrev_i32_e32 v1, 31, v0
	v_lshl_add_u64 v[50:51], v[50:51], 3, v[100:101]
	v_lshl_add_u64 v[30:31], s[12:13], 3, v[18:19]
	v_add_nc_u32_e32 v68, s12, v66
	v_lshl_add_u64 v[64:65], v[64:65], 3, v[100:101]
	v_lshl_add_u64 v[6:7], v[0:1], 3, v[100:101]
	;; [unrolled: 1-line block ×4, first 2 shown]
	v_dual_add_nc_u32 v70, s12, v68 :: v_dual_ashrrev_i32 v67, 31, v66
	v_ashrrev_i32_e32 v5, 31, v4
	s_delay_alu instid0(VALU_DEP_2) | instskip(SKIP_1) | instid1(VALU_DEP_3)
	v_dual_ashrrev_i32 v29, 31, v28 :: v_dual_ashrrev_i32 v71, 31, v70
	v_add_nc_u32_e32 v84, s12, v70
	v_lshl_add_u64 v[12:13], v[4:5], 3, v[100:101]
	v_lshl_add_u64 v[4:5], v[16:17], 3, v[100:101]
	v_lshl_add_u64 v[66:67], v[66:67], 3, v[100:101]
	v_lshl_add_u64 v[70:71], v[70:71], 3, v[100:101]
	v_dual_add_nc_u32 v86, s12, v84 :: v_dual_ashrrev_i32 v85, 31, v84
	v_ashrrev_i32_e32 v9, 31, v8
	s_delay_alu instid0(VALU_DEP_2) | instskip(SKIP_1) | instid1(VALU_DEP_3)
	v_dual_ashrrev_i32 v41, 31, v40 :: v_dual_ashrrev_i32 v87, 31, v86
	v_add_nc_u32_e32 v88, s12, v86
	v_lshl_add_u64 v[14:15], v[8:9], 3, v[100:101]
	v_lshl_add_u64 v[8:9], v[20:21], 3, v[100:101]
	;; [unrolled: 1-line block ×4, first 2 shown]
	v_dual_add_nc_u32 v90, s12, v88 :: v_dual_ashrrev_i32 v89, 31, v88
	v_ashrrev_i32_e32 v25, 31, v24
	v_ashrrev_i32_e32 v69, 31, v68
	v_lshl_add_u64 v[40:41], v[40:41], 3, v[100:101]
	s_delay_alu instid0(VALU_DEP_4) | instskip(NEXT) | instid1(VALU_DEP_4)
	v_dual_add_nc_u32 v92, s12, v90 :: v_dual_ashrrev_i32 v91, 31, v90
	v_lshl_add_u64 v[16:17], v[24:25], 3, v[100:101]
	v_lshl_add_u64 v[84:85], v[84:85], 3, v[100:101]
	;; [unrolled: 1-line block ×3, first 2 shown]
	s_delay_alu instid0(VALU_DEP_4)
	v_add_nc_u32_e32 v94, s12, v92
	v_ashrrev_i32_e32 v33, 31, v32
	v_lshl_add_u64 v[90:91], v[90:91], 3, v[100:101]
	v_lshl_add_u64 v[68:69], v[68:69], 3, v[100:101]
	;; [unrolled: 1-line block ×3, first 2 shown]
	v_add_nc_u32_e32 v96, s12, v94
	v_lshl_add_u64 v[28:29], v[32:33], 3, v[100:101]
	s_clause 0xb
	global_load_b64 v[24:25], v[14:15], off
	global_load_b64 v[72:73], v[0:1], off
	;; [unrolled: 1-line block ×12, first 2 shown]
	v_add_nc_u32_e32 v102, s12, v96
	s_clause 0xb
	global_load_b64 v[62:63], v[28:29], off
	global_load_b64 v[58:59], v[40:41], off
	;; [unrolled: 1-line block ×12, first 2 shown]
	v_add_nc_u32_e32 v104, s12, v102
	v_ashrrev_i32_e32 v95, 31, v94
	s_delay_alu instid0(VALU_DEP_2) | instskip(SKIP_2) | instid1(VALU_DEP_4)
	v_dual_ashrrev_i32 v103, 31, v102 :: v_dual_add_nc_u32 v106, s12, v104
	v_ashrrev_i32_e32 v93, 31, v92
	v_ashrrev_i32_e32 v97, 31, v96
	v_lshl_add_u64 v[94:95], v[94:95], 3, v[100:101]
	s_delay_alu instid0(VALU_DEP_4) | instskip(SKIP_3) | instid1(VALU_DEP_3)
	v_lshl_add_u64 v[102:103], v[102:103], 3, v[100:101]
	v_dual_add_nc_u32 v108, s12, v106 :: v_dual_ashrrev_i32 v107, 31, v106
	v_lshl_add_u64 v[92:93], v[92:93], 3, v[100:101]
	v_lshl_add_u64 v[96:97], v[96:97], 3, v[100:101]
	v_dual_add_nc_u32 v110, s12, v108 :: v_dual_ashrrev_i32 v109, 31, v108
	v_ashrrev_i32_e32 v105, 31, v104
	v_lshl_add_u64 v[106:107], v[106:107], 3, v[100:101]
	s_delay_alu instid0(VALU_DEP_3) | instskip(NEXT) | instid1(VALU_DEP_4)
	v_ashrrev_i32_e32 v111, 31, v110
	v_lshl_add_u64 v[108:109], v[108:109], 3, v[100:101]
	s_delay_alu instid0(VALU_DEP_4) | instskip(NEXT) | instid1(VALU_DEP_3)
	v_lshl_add_u64 v[104:105], v[104:105], 3, v[100:101]
	v_lshl_add_u64 v[100:101], v[110:111], 3, v[100:101]
	s_clause 0x8
	global_load_b64 v[118:119], v[90:91], off
	global_load_b64 v[112:113], v[92:93], off
	;; [unrolled: 1-line block ×9, first 2 shown]
	s_wait_xcnt 0x0
	s_and_saveexec_b32 s4, s0
	s_cbranch_execz .LBB65_8
; %bb.2:
	s_wait_loadcnt 0x1c
	ds_store_b64 v201, v[52:53]
	s_wait_loadcnt 0x1a
	ds_store_2addr_b64 v202, v[54:55], v[44:45] offset0:1 offset1:2
	s_wait_loadcnt 0x19
	ds_store_2addr_b64 v202, v[42:43], v[24:25] offset0:3 offset1:4
	ds_store_2addr_b64 v202, v[72:73], v[74:75] offset0:5 offset1:6
	s_wait_loadcnt 0x18
	ds_store_2addr_b64 v202, v[22:23], v[38:39] offset0:7 offset1:8
	s_wait_loadcnt 0x16
	;; [unrolled: 2-line block ×13, first 2 shown]
	ds_store_2addr_b64 v202, v[120:121], v[130:131] offset0:31 offset1:32
	ds_load_b64 v[134:135], v201
	s_wait_dscnt 0x0
	v_cmp_neq_f32_e32 vcc_lo, 0, v134
	v_cmp_neq_f32_e64 s2, 0, v135
	s_or_b32 s2, vcc_lo, s2
	s_delay_alu instid0(SALU_CYCLE_1)
	s_and_b32 exec_lo, exec_lo, s2
	s_cbranch_execz .LBB65_8
; %bb.3:
	v_cmp_ngt_f32_e64 s2, |v134|, |v135|
                                        ; implicit-def: $vgpr136_vgpr137
	s_and_saveexec_b32 s5, s2
	s_delay_alu instid0(SALU_CYCLE_1)
	s_xor_b32 s2, exec_lo, s5
	s_cbranch_execz .LBB65_5
; %bb.4:
	v_div_scale_f32 v136, null, v135, v135, v134
	v_div_scale_f32 v139, vcc_lo, v134, v135, v134
	s_delay_alu instid0(VALU_DEP_2) | instskip(SKIP_1) | instid1(TRANS32_DEP_1)
	v_rcp_f32_e32 v137, v136
	v_nop
	v_fma_f32 v138, -v136, v137, 1.0
	s_delay_alu instid0(VALU_DEP_1) | instskip(NEXT) | instid1(VALU_DEP_1)
	v_fmac_f32_e32 v137, v138, v137
	v_mul_f32_e32 v138, v139, v137
	s_delay_alu instid0(VALU_DEP_1) | instskip(NEXT) | instid1(VALU_DEP_1)
	v_fma_f32 v140, -v136, v138, v139
	v_fmac_f32_e32 v138, v140, v137
	s_delay_alu instid0(VALU_DEP_1) | instskip(NEXT) | instid1(VALU_DEP_1)
	v_fma_f32 v136, -v136, v138, v139
	v_div_fmas_f32 v136, v136, v137, v138
	s_delay_alu instid0(VALU_DEP_1) | instskip(NEXT) | instid1(VALU_DEP_1)
	v_div_fixup_f32 v136, v136, v135, v134
	v_fmac_f32_e32 v135, v134, v136
	s_delay_alu instid0(VALU_DEP_1) | instskip(SKIP_1) | instid1(VALU_DEP_2)
	v_div_scale_f32 v134, null, v135, v135, 1.0
	v_div_scale_f32 v139, vcc_lo, 1.0, v135, 1.0
	v_rcp_f32_e32 v137, v134
	v_nop
	s_delay_alu instid0(TRANS32_DEP_1) | instskip(NEXT) | instid1(VALU_DEP_1)
	v_fma_f32 v138, -v134, v137, 1.0
	v_fmac_f32_e32 v137, v138, v137
	s_delay_alu instid0(VALU_DEP_1) | instskip(NEXT) | instid1(VALU_DEP_1)
	v_mul_f32_e32 v138, v139, v137
	v_fma_f32 v140, -v134, v138, v139
	s_delay_alu instid0(VALU_DEP_1) | instskip(NEXT) | instid1(VALU_DEP_1)
	v_fmac_f32_e32 v138, v140, v137
	v_fma_f32 v134, -v134, v138, v139
	s_delay_alu instid0(VALU_DEP_1) | instskip(NEXT) | instid1(VALU_DEP_1)
	v_div_fmas_f32 v134, v134, v137, v138
	v_div_fixup_f32 v134, v134, v135, 1.0
	s_delay_alu instid0(VALU_DEP_1)
	v_mul_f32_e32 v136, v136, v134
	v_xor_b32_e32 v137, 0x80000000, v134
                                        ; implicit-def: $vgpr134_vgpr135
.LBB65_5:
	s_and_not1_saveexec_b32 s2, s2
	s_cbranch_execz .LBB65_7
; %bb.6:
	v_div_scale_f32 v136, null, v134, v134, v135
	v_div_scale_f32 v139, vcc_lo, v135, v134, v135
	s_delay_alu instid0(VALU_DEP_2) | instskip(SKIP_1) | instid1(TRANS32_DEP_1)
	v_rcp_f32_e32 v137, v136
	v_nop
	v_fma_f32 v138, -v136, v137, 1.0
	s_delay_alu instid0(VALU_DEP_1) | instskip(NEXT) | instid1(VALU_DEP_1)
	v_fmac_f32_e32 v137, v138, v137
	v_mul_f32_e32 v138, v139, v137
	s_delay_alu instid0(VALU_DEP_1) | instskip(NEXT) | instid1(VALU_DEP_1)
	v_fma_f32 v140, -v136, v138, v139
	v_fmac_f32_e32 v138, v140, v137
	s_delay_alu instid0(VALU_DEP_1) | instskip(NEXT) | instid1(VALU_DEP_1)
	v_fma_f32 v136, -v136, v138, v139
	v_div_fmas_f32 v136, v136, v137, v138
	s_delay_alu instid0(VALU_DEP_1) | instskip(NEXT) | instid1(VALU_DEP_1)
	v_div_fixup_f32 v137, v136, v134, v135
	v_fmac_f32_e32 v134, v135, v137
	s_delay_alu instid0(VALU_DEP_1) | instskip(NEXT) | instid1(VALU_DEP_1)
	v_div_scale_f32 v135, null, v134, v134, 1.0
	v_rcp_f32_e32 v136, v135
	v_nop
	s_delay_alu instid0(TRANS32_DEP_1) | instskip(NEXT) | instid1(VALU_DEP_1)
	v_fma_f32 v138, -v135, v136, 1.0
	v_fmac_f32_e32 v136, v138, v136
	v_div_scale_f32 v138, vcc_lo, 1.0, v134, 1.0
	s_delay_alu instid0(VALU_DEP_1) | instskip(NEXT) | instid1(VALU_DEP_1)
	v_mul_f32_e32 v139, v138, v136
	v_fma_f32 v140, -v135, v139, v138
	s_delay_alu instid0(VALU_DEP_1) | instskip(NEXT) | instid1(VALU_DEP_1)
	v_fmac_f32_e32 v139, v140, v136
	v_fma_f32 v135, -v135, v139, v138
	s_delay_alu instid0(VALU_DEP_1) | instskip(NEXT) | instid1(VALU_DEP_1)
	v_div_fmas_f32 v135, v135, v136, v139
	v_div_fixup_f32 v136, v135, v134, 1.0
	s_delay_alu instid0(VALU_DEP_1)
	v_mul_f32_e64 v137, v137, -v136
.LBB65_7:
	s_or_b32 exec_lo, exec_lo, s2
	ds_store_b64 v201, v[136:137]
.LBB65_8:
	s_or_b32 exec_lo, exec_lo, s4
	s_wait_loadcnt_dscnt 0x0
	s_barrier_signal -1
	s_barrier_wait -1
	ds_load_b64 v[134:135], v201
	s_and_saveexec_b32 s2, s1
	s_cbranch_execz .LBB65_10
; %bb.9:
	ds_load_2addr_b64 v[140:143], v202 offset0:1 offset1:2
	s_wait_dscnt 0x1
	v_pk_mul_f32 v[138:139], v[134:135], v[52:53] op_sel:[1,1] op_sel_hi:[0,1]
	s_delay_alu instid0(VALU_DEP_1) | instskip(SKIP_1) | instid1(VALU_DEP_1)
	v_pk_fma_f32 v[136:137], v[134:135], v[52:53], v[138:139] op_sel_hi:[1,0,1] neg_lo:[0,0,1] neg_hi:[0,0,1]
	v_pk_fma_f32 v[138:139], v[134:135], v[52:53], v[138:139] op_sel_hi:[1,0,1]
	v_dual_mov_b32 v52, v136 :: v_dual_mov_b32 v53, v139
	s_wait_dscnt 0x0
	s_delay_alu instid0(VALU_DEP_2) | instskip(NEXT) | instid1(VALU_DEP_1)
	v_pk_mul_f32 v[144:145], v[140:141], v[138:139] op_sel:[0,1]
	v_pk_fma_f32 v[146:147], v[140:141], v[136:137], v[144:145] op_sel:[0,0,1] op_sel_hi:[1,1,0] neg_lo:[0,0,1] neg_hi:[0,0,1]
	v_pk_fma_f32 v[140:141], v[140:141], v[136:137], v[144:145] op_sel:[0,0,1] op_sel_hi:[1,0,0]
	s_delay_alu instid0(VALU_DEP_1) | instskip(SKIP_1) | instid1(VALU_DEP_1)
	v_mov_b32_e32 v147, v141
	v_pk_mul_f32 v[140:141], v[142:143], v[138:139] op_sel:[0,1]
	v_pk_fma_f32 v[144:145], v[142:143], v[136:137], v[140:141] op_sel:[0,0,1] op_sel_hi:[1,1,0] neg_lo:[0,0,1] neg_hi:[0,0,1]
	v_pk_fma_f32 v[140:141], v[142:143], v[136:137], v[140:141] op_sel:[0,0,1] op_sel_hi:[1,0,0]
	s_delay_alu instid0(VALU_DEP_1)
	v_mov_b32_e32 v145, v141
	ds_load_2addr_b64 v[140:143], v202 offset0:3 offset1:4
	v_pk_add_f32 v[54:55], v[54:55], v[146:147] neg_lo:[0,1] neg_hi:[0,1]
	v_pk_add_f32 v[44:45], v[44:45], v[144:145] neg_lo:[0,1] neg_hi:[0,1]
	s_wait_dscnt 0x0
	v_pk_mul_f32 v[144:145], v[140:141], v[138:139] op_sel:[0,1]
	s_delay_alu instid0(VALU_DEP_1) | instskip(SKIP_2) | instid1(VALU_DEP_2)
	v_pk_fma_f32 v[146:147], v[140:141], v[136:137], v[144:145] op_sel:[0,0,1] op_sel_hi:[1,1,0] neg_lo:[0,0,1] neg_hi:[0,0,1]
	v_pk_fma_f32 v[140:141], v[140:141], v[136:137], v[144:145] op_sel:[0,0,1] op_sel_hi:[1,0,0]
	v_dual_mul_f32 v144, v143, v139 :: v_dual_mov_b32 v140, v143
	v_dual_mov_b32 v147, v141 :: v_dual_mov_b32 v141, v142
	s_delay_alu instid0(VALU_DEP_2) | instskip(SKIP_1) | instid1(VALU_DEP_3)
	v_pk_fma_f32 v[144:145], v[142:143], v[52:53], v[144:145] op_sel_hi:[1,1,0] neg_lo:[0,0,1] neg_hi:[0,0,1]
	v_mul_f32_e32 v142, v143, v136
	v_pk_add_f32 v[42:43], v[42:43], v[146:147] neg_lo:[0,1] neg_hi:[0,1]
	s_delay_alu instid0(VALU_DEP_2) | instskip(NEXT) | instid1(VALU_DEP_1)
	v_pk_fma_f32 v[140:141], v[140:141], v[52:53], v[142:143] op_sel_hi:[1,1,0]
	v_mov_b32_e32 v145, v141
	ds_load_2addr_b64 v[140:143], v202 offset0:5 offset1:6
	v_pk_add_f32 v[24:25], v[24:25], v[144:145] neg_lo:[0,1] neg_hi:[0,1]
	s_wait_dscnt 0x0
	v_pk_mul_f32 v[144:145], v[140:141], v[138:139] op_sel:[0,1]
	s_delay_alu instid0(VALU_DEP_1) | instskip(SKIP_1) | instid1(VALU_DEP_1)
	v_pk_fma_f32 v[146:147], v[140:141], v[136:137], v[144:145] op_sel:[0,0,1] op_sel_hi:[1,1,0] neg_lo:[0,0,1] neg_hi:[0,0,1]
	v_pk_fma_f32 v[140:141], v[140:141], v[136:137], v[144:145] op_sel:[0,0,1] op_sel_hi:[1,0,0]
	v_mov_b32_e32 v147, v141
	v_pk_mul_f32 v[140:141], v[142:143], v[138:139] op_sel:[0,1]
	s_delay_alu instid0(VALU_DEP_1) | instskip(SKIP_1) | instid1(VALU_DEP_1)
	v_pk_fma_f32 v[144:145], v[142:143], v[136:137], v[140:141] op_sel:[0,0,1] op_sel_hi:[1,1,0] neg_lo:[0,0,1] neg_hi:[0,0,1]
	v_pk_fma_f32 v[140:141], v[142:143], v[136:137], v[140:141] op_sel:[0,0,1] op_sel_hi:[1,0,0]
	v_mov_b32_e32 v145, v141
	ds_load_2addr_b64 v[140:143], v202 offset0:7 offset1:8
	v_pk_add_f32 v[72:73], v[72:73], v[146:147] neg_lo:[0,1] neg_hi:[0,1]
	v_pk_add_f32 v[74:75], v[74:75], v[144:145] neg_lo:[0,1] neg_hi:[0,1]
	s_wait_dscnt 0x0
	v_pk_mul_f32 v[144:145], v[140:141], v[138:139] op_sel:[0,1]
	s_delay_alu instid0(VALU_DEP_1) | instskip(SKIP_1) | instid1(VALU_DEP_1)
	v_pk_fma_f32 v[146:147], v[140:141], v[136:137], v[144:145] op_sel:[0,0,1] op_sel_hi:[1,1,0] neg_lo:[0,0,1] neg_hi:[0,0,1]
	v_pk_fma_f32 v[140:141], v[140:141], v[136:137], v[144:145] op_sel:[0,0,1] op_sel_hi:[1,0,0]
	v_mov_b32_e32 v147, v141
	v_pk_mul_f32 v[140:141], v[142:143], v[138:139] op_sel:[0,1]
	s_delay_alu instid0(VALU_DEP_1) | instskip(SKIP_1) | instid1(VALU_DEP_1)
	v_pk_fma_f32 v[144:145], v[142:143], v[136:137], v[140:141] op_sel:[0,0,1] op_sel_hi:[1,1,0] neg_lo:[0,0,1] neg_hi:[0,0,1]
	v_pk_fma_f32 v[140:141], v[142:143], v[136:137], v[140:141] op_sel:[0,0,1] op_sel_hi:[1,0,0]
	v_mov_b32_e32 v145, v141
	ds_load_2addr_b64 v[140:143], v202 offset0:9 offset1:10
	v_pk_add_f32 v[22:23], v[22:23], v[146:147] neg_lo:[0,1] neg_hi:[0,1]
	v_pk_add_f32 v[38:39], v[38:39], v[144:145] neg_lo:[0,1] neg_hi:[0,1]
	s_wait_dscnt 0x0
	v_dual_mul_f32 v144, v141, v139 :: v_dual_mul_f32 v146, v141, v136
	s_delay_alu instid0(VALU_DEP_1) | instskip(NEXT) | instid1(VALU_DEP_2)
	v_pk_fma_f32 v[144:145], v[140:141], v[52:53], v[144:145] op_sel_hi:[1,1,0] neg_lo:[0,0,1] neg_hi:[0,0,1]
	v_pk_fma_f32 v[140:141], v[140:141], v[52:53], v[146:147] op_sel:[1,0,0] op_sel_hi:[0,1,0]
	s_delay_alu instid0(VALU_DEP_1) | instskip(SKIP_1) | instid1(VALU_DEP_2)
	v_mov_b32_e32 v145, v141
	v_pk_mul_f32 v[140:141], v[142:143], v[138:139] op_sel:[0,1]
	v_pk_add_f32 v[34:35], v[34:35], v[144:145] neg_lo:[0,1] neg_hi:[0,1]
	s_delay_alu instid0(VALU_DEP_2) | instskip(SKIP_1) | instid1(VALU_DEP_1)
	v_pk_fma_f32 v[144:145], v[142:143], v[136:137], v[140:141] op_sel:[0,0,1] op_sel_hi:[1,1,0] neg_lo:[0,0,1] neg_hi:[0,0,1]
	v_pk_fma_f32 v[140:141], v[142:143], v[136:137], v[140:141] op_sel:[0,0,1] op_sel_hi:[1,0,0]
	v_mov_b32_e32 v145, v141
	ds_load_2addr_b64 v[140:143], v202 offset0:11 offset1:12
	v_pk_add_f32 v[36:37], v[36:37], v[144:145] neg_lo:[0,1] neg_hi:[0,1]
	s_wait_dscnt 0x0
	v_pk_mul_f32 v[144:145], v[140:141], v[138:139] op_sel:[0,1]
	s_delay_alu instid0(VALU_DEP_1) | instskip(SKIP_1) | instid1(VALU_DEP_1)
	v_pk_fma_f32 v[146:147], v[140:141], v[136:137], v[144:145] op_sel:[0,0,1] op_sel_hi:[1,1,0] neg_lo:[0,0,1] neg_hi:[0,0,1]
	v_pk_fma_f32 v[140:141], v[140:141], v[136:137], v[144:145] op_sel:[0,0,1] op_sel_hi:[1,0,0]
	v_mov_b32_e32 v147, v141
	v_pk_mul_f32 v[140:141], v[142:143], v[138:139] op_sel:[0,1]
	s_delay_alu instid0(VALU_DEP_2) | instskip(NEXT) | instid1(VALU_DEP_2)
	v_pk_add_f32 v[32:33], v[32:33], v[146:147] neg_lo:[0,1] neg_hi:[0,1]
	v_pk_fma_f32 v[144:145], v[142:143], v[136:137], v[140:141] op_sel:[0,0,1] op_sel_hi:[1,1,0] neg_lo:[0,0,1] neg_hi:[0,0,1]
	v_pk_fma_f32 v[140:141], v[142:143], v[136:137], v[140:141] op_sel:[0,0,1] op_sel_hi:[1,0,0]
	s_delay_alu instid0(VALU_DEP_1) | instskip(SKIP_4) | instid1(VALU_DEP_1)
	v_mov_b32_e32 v145, v141
	ds_load_2addr_b64 v[140:143], v202 offset0:13 offset1:14
	v_pk_add_f32 v[62:63], v[62:63], v[144:145] neg_lo:[0,1] neg_hi:[0,1]
	s_wait_dscnt 0x0
	v_pk_mul_f32 v[144:145], v[140:141], v[138:139] op_sel:[0,1]
	v_pk_fma_f32 v[146:147], v[140:141], v[136:137], v[144:145] op_sel:[0,0,1] op_sel_hi:[1,1,0] neg_lo:[0,0,1] neg_hi:[0,0,1]
	v_pk_fma_f32 v[140:141], v[140:141], v[136:137], v[144:145] op_sel:[0,0,1] op_sel_hi:[1,0,0]
	v_dual_mul_f32 v144, v143, v139 :: v_dual_mov_b32 v140, v143
	s_delay_alu instid0(VALU_DEP_2) | instskip(NEXT) | instid1(VALU_DEP_2)
	v_dual_mov_b32 v147, v141 :: v_dual_mov_b32 v141, v142
	v_pk_fma_f32 v[144:145], v[142:143], v[52:53], v[144:145] op_sel_hi:[1,1,0] neg_lo:[0,0,1] neg_hi:[0,0,1]
	v_mul_f32_e32 v142, v143, v136
	s_delay_alu instid0(VALU_DEP_3) | instskip(NEXT) | instid1(VALU_DEP_2)
	v_pk_add_f32 v[58:59], v[58:59], v[146:147] neg_lo:[0,1] neg_hi:[0,1]
	v_pk_fma_f32 v[140:141], v[140:141], v[52:53], v[142:143] op_sel_hi:[1,1,0]
	s_delay_alu instid0(VALU_DEP_1) | instskip(SKIP_4) | instid1(VALU_DEP_1)
	v_mov_b32_e32 v145, v141
	ds_load_2addr_b64 v[140:143], v202 offset0:15 offset1:16
	v_pk_add_f32 v[60:61], v[60:61], v[144:145] neg_lo:[0,1] neg_hi:[0,1]
	s_wait_dscnt 0x0
	v_pk_mul_f32 v[144:145], v[140:141], v[138:139] op_sel:[0,1]
	v_pk_fma_f32 v[146:147], v[140:141], v[136:137], v[144:145] op_sel:[0,0,1] op_sel_hi:[1,1,0] neg_lo:[0,0,1] neg_hi:[0,0,1]
	v_pk_fma_f32 v[140:141], v[140:141], v[136:137], v[144:145] op_sel:[0,0,1] op_sel_hi:[1,0,0]
	s_delay_alu instid0(VALU_DEP_1) | instskip(SKIP_1) | instid1(VALU_DEP_1)
	v_mov_b32_e32 v147, v141
	v_pk_mul_f32 v[140:141], v[142:143], v[138:139] op_sel:[0,1]
	v_pk_fma_f32 v[144:145], v[142:143], v[136:137], v[140:141] op_sel:[0,0,1] op_sel_hi:[1,1,0] neg_lo:[0,0,1] neg_hi:[0,0,1]
	v_pk_fma_f32 v[140:141], v[142:143], v[136:137], v[140:141] op_sel:[0,0,1] op_sel_hi:[1,0,0]
	s_delay_alu instid0(VALU_DEP_1)
	v_mov_b32_e32 v145, v141
	ds_load_2addr_b64 v[140:143], v202 offset0:17 offset1:18
	v_pk_add_f32 v[56:57], v[56:57], v[146:147] neg_lo:[0,1] neg_hi:[0,1]
	v_pk_add_f32 v[82:83], v[82:83], v[144:145] neg_lo:[0,1] neg_hi:[0,1]
	s_wait_dscnt 0x0
	v_pk_mul_f32 v[144:145], v[140:141], v[138:139] op_sel:[0,1]
	s_delay_alu instid0(VALU_DEP_1) | instskip(SKIP_1) | instid1(VALU_DEP_1)
	v_pk_fma_f32 v[146:147], v[140:141], v[136:137], v[144:145] op_sel:[0,0,1] op_sel_hi:[1,1,0] neg_lo:[0,0,1] neg_hi:[0,0,1]
	v_pk_fma_f32 v[140:141], v[140:141], v[136:137], v[144:145] op_sel:[0,0,1] op_sel_hi:[1,0,0]
	v_mov_b32_e32 v147, v141
	v_pk_mul_f32 v[140:141], v[142:143], v[138:139] op_sel:[0,1]
	s_delay_alu instid0(VALU_DEP_1) | instskip(SKIP_1) | instid1(VALU_DEP_1)
	v_pk_fma_f32 v[144:145], v[142:143], v[136:137], v[140:141] op_sel:[0,0,1] op_sel_hi:[1,1,0] neg_lo:[0,0,1] neg_hi:[0,0,1]
	v_pk_fma_f32 v[140:141], v[142:143], v[136:137], v[140:141] op_sel:[0,0,1] op_sel_hi:[1,0,0]
	v_mov_b32_e32 v145, v141
	ds_load_2addr_b64 v[140:143], v202 offset0:19 offset1:20
	v_pk_add_f32 v[78:79], v[78:79], v[146:147] neg_lo:[0,1] neg_hi:[0,1]
	v_pk_add_f32 v[80:81], v[80:81], v[144:145] neg_lo:[0,1] neg_hi:[0,1]
	s_wait_dscnt 0x0
	v_dual_mul_f32 v144, v141, v139 :: v_dual_mul_f32 v146, v141, v136
	s_delay_alu instid0(VALU_DEP_1) | instskip(NEXT) | instid1(VALU_DEP_2)
	v_pk_fma_f32 v[144:145], v[140:141], v[52:53], v[144:145] op_sel_hi:[1,1,0] neg_lo:[0,0,1] neg_hi:[0,0,1]
	v_pk_fma_f32 v[140:141], v[140:141], v[52:53], v[146:147] op_sel:[1,0,0] op_sel_hi:[0,1,0]
	s_delay_alu instid0(VALU_DEP_1) | instskip(SKIP_1) | instid1(VALU_DEP_2)
	v_mov_b32_e32 v145, v141
	v_pk_mul_f32 v[140:141], v[142:143], v[138:139] op_sel:[0,1]
	v_pk_add_f32 v[76:77], v[76:77], v[144:145] neg_lo:[0,1] neg_hi:[0,1]
	s_delay_alu instid0(VALU_DEP_2) | instskip(SKIP_1) | instid1(VALU_DEP_1)
	v_pk_fma_f32 v[144:145], v[142:143], v[136:137], v[140:141] op_sel:[0,0,1] op_sel_hi:[1,1,0] neg_lo:[0,0,1] neg_hi:[0,0,1]
	v_pk_fma_f32 v[140:141], v[142:143], v[136:137], v[140:141] op_sel:[0,0,1] op_sel_hi:[1,0,0]
	v_mov_b32_e32 v145, v141
	ds_load_2addr_b64 v[140:143], v202 offset0:21 offset1:22
	v_pk_add_f32 v[98:99], v[98:99], v[144:145] neg_lo:[0,1] neg_hi:[0,1]
	s_wait_dscnt 0x0
	v_pk_mul_f32 v[144:145], v[140:141], v[138:139] op_sel:[0,1]
	s_delay_alu instid0(VALU_DEP_1) | instskip(SKIP_1) | instid1(VALU_DEP_1)
	v_pk_fma_f32 v[146:147], v[140:141], v[136:137], v[144:145] op_sel:[0,0,1] op_sel_hi:[1,1,0] neg_lo:[0,0,1] neg_hi:[0,0,1]
	v_pk_fma_f32 v[140:141], v[140:141], v[136:137], v[144:145] op_sel:[0,0,1] op_sel_hi:[1,0,0]
	v_mov_b32_e32 v147, v141
	v_pk_mul_f32 v[140:141], v[142:143], v[138:139] op_sel:[0,1]
	s_delay_alu instid0(VALU_DEP_2) | instskip(NEXT) | instid1(VALU_DEP_2)
	v_pk_add_f32 v[132:133], v[132:133], v[146:147] neg_lo:[0,1] neg_hi:[0,1]
	v_pk_fma_f32 v[144:145], v[142:143], v[136:137], v[140:141] op_sel:[0,0,1] op_sel_hi:[1,1,0] neg_lo:[0,0,1] neg_hi:[0,0,1]
	v_pk_fma_f32 v[140:141], v[142:143], v[136:137], v[140:141] op_sel:[0,0,1] op_sel_hi:[1,0,0]
	s_delay_alu instid0(VALU_DEP_1) | instskip(SKIP_4) | instid1(VALU_DEP_1)
	v_mov_b32_e32 v145, v141
	ds_load_2addr_b64 v[140:143], v202 offset0:23 offset1:24
	v_pk_add_f32 v[128:129], v[128:129], v[144:145] neg_lo:[0,1] neg_hi:[0,1]
	s_wait_dscnt 0x0
	v_pk_mul_f32 v[144:145], v[140:141], v[138:139] op_sel:[0,1]
	v_pk_fma_f32 v[146:147], v[140:141], v[136:137], v[144:145] op_sel:[0,0,1] op_sel_hi:[1,1,0] neg_lo:[0,0,1] neg_hi:[0,0,1]
	v_pk_fma_f32 v[140:141], v[140:141], v[136:137], v[144:145] op_sel:[0,0,1] op_sel_hi:[1,0,0]
	v_dual_mul_f32 v144, v143, v139 :: v_dual_mov_b32 v140, v143
	s_delay_alu instid0(VALU_DEP_2) | instskip(NEXT) | instid1(VALU_DEP_2)
	v_dual_mov_b32 v147, v141 :: v_dual_mov_b32 v141, v142
	v_pk_fma_f32 v[144:145], v[142:143], v[52:53], v[144:145] op_sel_hi:[1,1,0] neg_lo:[0,0,1] neg_hi:[0,0,1]
	v_mul_f32_e32 v142, v143, v136
	s_delay_alu instid0(VALU_DEP_3) | instskip(NEXT) | instid1(VALU_DEP_2)
	v_pk_add_f32 v[126:127], v[126:127], v[146:147] neg_lo:[0,1] neg_hi:[0,1]
	v_pk_fma_f32 v[140:141], v[140:141], v[52:53], v[142:143] op_sel_hi:[1,1,0]
	s_delay_alu instid0(VALU_DEP_1) | instskip(SKIP_4) | instid1(VALU_DEP_1)
	v_mov_b32_e32 v145, v141
	ds_load_2addr_b64 v[140:143], v202 offset0:25 offset1:26
	v_pk_add_f32 v[118:119], v[118:119], v[144:145] neg_lo:[0,1] neg_hi:[0,1]
	s_wait_dscnt 0x0
	v_pk_mul_f32 v[144:145], v[140:141], v[138:139] op_sel:[0,1]
	v_pk_fma_f32 v[146:147], v[140:141], v[136:137], v[144:145] op_sel:[0,0,1] op_sel_hi:[1,1,0] neg_lo:[0,0,1] neg_hi:[0,0,1]
	v_pk_fma_f32 v[140:141], v[140:141], v[136:137], v[144:145] op_sel:[0,0,1] op_sel_hi:[1,0,0]
	s_delay_alu instid0(VALU_DEP_1) | instskip(SKIP_1) | instid1(VALU_DEP_1)
	v_mov_b32_e32 v147, v141
	v_pk_mul_f32 v[140:141], v[142:143], v[138:139] op_sel:[0,1]
	v_pk_fma_f32 v[144:145], v[142:143], v[136:137], v[140:141] op_sel:[0,0,1] op_sel_hi:[1,1,0] neg_lo:[0,0,1] neg_hi:[0,0,1]
	v_pk_fma_f32 v[140:141], v[142:143], v[136:137], v[140:141] op_sel:[0,0,1] op_sel_hi:[1,0,0]
	s_delay_alu instid0(VALU_DEP_1)
	v_mov_b32_e32 v145, v141
	ds_load_2addr_b64 v[140:143], v202 offset0:27 offset1:28
	v_pk_add_f32 v[112:113], v[112:113], v[146:147] neg_lo:[0,1] neg_hi:[0,1]
	v_pk_add_f32 v[116:117], v[116:117], v[144:145] neg_lo:[0,1] neg_hi:[0,1]
	s_wait_dscnt 0x0
	v_pk_mul_f32 v[144:145], v[140:141], v[138:139] op_sel:[0,1]
	s_delay_alu instid0(VALU_DEP_1) | instskip(SKIP_1) | instid1(VALU_DEP_1)
	v_pk_fma_f32 v[146:147], v[140:141], v[136:137], v[144:145] op_sel:[0,0,1] op_sel_hi:[1,1,0] neg_lo:[0,0,1] neg_hi:[0,0,1]
	v_pk_fma_f32 v[140:141], v[140:141], v[136:137], v[144:145] op_sel:[0,0,1] op_sel_hi:[1,0,0]
	v_mov_b32_e32 v147, v141
	v_pk_mul_f32 v[140:141], v[142:143], v[138:139] op_sel:[0,1]
	s_delay_alu instid0(VALU_DEP_1) | instskip(SKIP_1) | instid1(VALU_DEP_1)
	v_pk_fma_f32 v[144:145], v[142:143], v[136:137], v[140:141] op_sel:[0,0,1] op_sel_hi:[1,1,0] neg_lo:[0,0,1] neg_hi:[0,0,1]
	v_pk_fma_f32 v[140:141], v[142:143], v[136:137], v[140:141] op_sel:[0,0,1] op_sel_hi:[1,0,0]
	v_mov_b32_e32 v145, v141
	ds_load_2addr_b64 v[140:143], v202 offset0:29 offset1:30
	v_pk_add_f32 v[110:111], v[110:111], v[146:147] neg_lo:[0,1] neg_hi:[0,1]
	v_pk_add_f32 v[114:115], v[114:115], v[144:145] neg_lo:[0,1] neg_hi:[0,1]
	s_wait_dscnt 0x0
	v_dual_mul_f32 v144, v141, v139 :: v_dual_mul_f32 v146, v141, v136
	s_delay_alu instid0(VALU_DEP_1) | instskip(NEXT) | instid1(VALU_DEP_2)
	v_pk_fma_f32 v[144:145], v[140:141], v[52:53], v[144:145] op_sel_hi:[1,1,0] neg_lo:[0,0,1] neg_hi:[0,0,1]
	v_pk_fma_f32 v[140:141], v[140:141], v[52:53], v[146:147] op_sel:[1,0,0] op_sel_hi:[0,1,0]
	s_delay_alu instid0(VALU_DEP_1) | instskip(SKIP_1) | instid1(VALU_DEP_2)
	v_mov_b32_e32 v145, v141
	v_pk_mul_f32 v[140:141], v[142:143], v[138:139] op_sel:[0,1]
	v_pk_add_f32 v[124:125], v[124:125], v[144:145] neg_lo:[0,1] neg_hi:[0,1]
	s_delay_alu instid0(VALU_DEP_2) | instskip(SKIP_1) | instid1(VALU_DEP_1)
	v_pk_fma_f32 v[144:145], v[142:143], v[136:137], v[140:141] op_sel:[0,0,1] op_sel_hi:[1,1,0] neg_lo:[0,0,1] neg_hi:[0,0,1]
	v_pk_fma_f32 v[140:141], v[142:143], v[136:137], v[140:141] op_sel:[0,0,1] op_sel_hi:[1,0,0]
	v_mov_b32_e32 v145, v141
	ds_load_2addr_b64 v[140:143], v202 offset0:31 offset1:32
	v_pk_add_f32 v[122:123], v[122:123], v[144:145] neg_lo:[0,1] neg_hi:[0,1]
	s_wait_dscnt 0x0
	v_pk_mul_f32 v[144:145], v[140:141], v[138:139] op_sel:[0,1]
	v_pk_mul_f32 v[138:139], v[142:143], v[138:139] op_sel:[0,1]
	s_delay_alu instid0(VALU_DEP_2) | instskip(SKIP_1) | instid1(VALU_DEP_1)
	v_pk_fma_f32 v[146:147], v[140:141], v[136:137], v[144:145] op_sel:[0,0,1] op_sel_hi:[1,1,0] neg_lo:[0,0,1] neg_hi:[0,0,1]
	v_pk_fma_f32 v[140:141], v[140:141], v[136:137], v[144:145] op_sel:[0,0,1] op_sel_hi:[1,0,0]
	v_mov_b32_e32 v147, v141
	s_delay_alu instid0(VALU_DEP_4) | instskip(SKIP_1) | instid1(VALU_DEP_3)
	v_pk_fma_f32 v[140:141], v[142:143], v[136:137], v[138:139] op_sel:[0,0,1] op_sel_hi:[1,1,0] neg_lo:[0,0,1] neg_hi:[0,0,1]
	v_pk_fma_f32 v[136:137], v[142:143], v[136:137], v[138:139] op_sel:[0,0,1] op_sel_hi:[1,0,0]
	v_pk_add_f32 v[120:121], v[120:121], v[146:147] neg_lo:[0,1] neg_hi:[0,1]
	s_delay_alu instid0(VALU_DEP_2) | instskip(NEXT) | instid1(VALU_DEP_1)
	v_mov_b32_e32 v141, v137
	v_pk_add_f32 v[130:131], v[130:131], v[140:141] neg_lo:[0,1] neg_hi:[0,1]
.LBB65_10:
	s_or_b32 exec_lo, exec_lo, s2
	s_delay_alu instid0(SALU_CYCLE_1)
	s_mov_b32 s2, exec_lo
	s_wait_dscnt 0x0
	s_barrier_signal -1
	s_barrier_wait -1
	v_cmpx_eq_u32_e32 1, v200
	s_cbranch_execz .LBB65_17
; %bb.11:
	v_dual_mov_b32 v136, v44 :: v_dual_mov_b32 v137, v45
	v_dual_mov_b32 v138, v42 :: v_dual_mov_b32 v139, v43
	ds_store_b64 v201, v[54:55]
	ds_store_2addr_b64 v202, v[136:137], v[138:139] offset0:2 offset1:3
	v_dual_mov_b32 v136, v24 :: v_dual_mov_b32 v137, v25
	v_dual_mov_b32 v138, v72 :: v_dual_mov_b32 v139, v73
	ds_store_2addr_b64 v202, v[136:137], v[138:139] offset0:4 offset1:5
	v_dual_mov_b32 v136, v74 :: v_dual_mov_b32 v137, v75
	v_dual_mov_b32 v138, v22 :: v_dual_mov_b32 v139, v23
	;; [unrolled: 3-line block ×14, first 2 shown]
	ds_store_2addr_b64 v202, v[136:137], v[138:139] offset0:30 offset1:31
	ds_store_b64 v202, v[130:131] offset:256
	ds_load_b64 v[136:137], v201
	s_wait_dscnt 0x0
	v_cmp_neq_f32_e32 vcc_lo, 0, v136
	v_cmp_neq_f32_e64 s1, 0, v137
	s_or_b32 s1, vcc_lo, s1
	s_delay_alu instid0(SALU_CYCLE_1)
	s_and_b32 exec_lo, exec_lo, s1
	s_cbranch_execz .LBB65_17
; %bb.12:
	v_cmp_ngt_f32_e64 s1, |v136|, |v137|
                                        ; implicit-def: $vgpr138_vgpr139
	s_and_saveexec_b32 s4, s1
	s_delay_alu instid0(SALU_CYCLE_1)
	s_xor_b32 s1, exec_lo, s4
	s_cbranch_execz .LBB65_14
; %bb.13:
	v_div_scale_f32 v138, null, v137, v137, v136
	v_div_scale_f32 v141, vcc_lo, v136, v137, v136
	s_delay_alu instid0(VALU_DEP_2) | instskip(SKIP_1) | instid1(TRANS32_DEP_1)
	v_rcp_f32_e32 v139, v138
	v_nop
	v_fma_f32 v140, -v138, v139, 1.0
	s_delay_alu instid0(VALU_DEP_1) | instskip(NEXT) | instid1(VALU_DEP_1)
	v_fmac_f32_e32 v139, v140, v139
	v_mul_f32_e32 v140, v141, v139
	s_delay_alu instid0(VALU_DEP_1) | instskip(NEXT) | instid1(VALU_DEP_1)
	v_fma_f32 v142, -v138, v140, v141
	v_fmac_f32_e32 v140, v142, v139
	s_delay_alu instid0(VALU_DEP_1) | instskip(NEXT) | instid1(VALU_DEP_1)
	v_fma_f32 v138, -v138, v140, v141
	v_div_fmas_f32 v138, v138, v139, v140
	s_delay_alu instid0(VALU_DEP_1) | instskip(NEXT) | instid1(VALU_DEP_1)
	v_div_fixup_f32 v138, v138, v137, v136
	v_fmac_f32_e32 v137, v136, v138
	s_delay_alu instid0(VALU_DEP_1) | instskip(SKIP_1) | instid1(VALU_DEP_2)
	v_div_scale_f32 v136, null, v137, v137, 1.0
	v_div_scale_f32 v141, vcc_lo, 1.0, v137, 1.0
	v_rcp_f32_e32 v139, v136
	v_nop
	s_delay_alu instid0(TRANS32_DEP_1) | instskip(NEXT) | instid1(VALU_DEP_1)
	v_fma_f32 v140, -v136, v139, 1.0
	v_fmac_f32_e32 v139, v140, v139
	s_delay_alu instid0(VALU_DEP_1) | instskip(NEXT) | instid1(VALU_DEP_1)
	v_mul_f32_e32 v140, v141, v139
	v_fma_f32 v142, -v136, v140, v141
	s_delay_alu instid0(VALU_DEP_1) | instskip(NEXT) | instid1(VALU_DEP_1)
	v_fmac_f32_e32 v140, v142, v139
	v_fma_f32 v136, -v136, v140, v141
	s_delay_alu instid0(VALU_DEP_1) | instskip(NEXT) | instid1(VALU_DEP_1)
	v_div_fmas_f32 v136, v136, v139, v140
	v_div_fixup_f32 v136, v136, v137, 1.0
	s_delay_alu instid0(VALU_DEP_1)
	v_mul_f32_e32 v138, v138, v136
	v_xor_b32_e32 v139, 0x80000000, v136
                                        ; implicit-def: $vgpr136_vgpr137
.LBB65_14:
	s_and_not1_saveexec_b32 s1, s1
	s_cbranch_execz .LBB65_16
; %bb.15:
	v_div_scale_f32 v138, null, v136, v136, v137
	v_div_scale_f32 v141, vcc_lo, v137, v136, v137
	s_delay_alu instid0(VALU_DEP_2) | instskip(SKIP_1) | instid1(TRANS32_DEP_1)
	v_rcp_f32_e32 v139, v138
	v_nop
	v_fma_f32 v140, -v138, v139, 1.0
	s_delay_alu instid0(VALU_DEP_1) | instskip(NEXT) | instid1(VALU_DEP_1)
	v_fmac_f32_e32 v139, v140, v139
	v_mul_f32_e32 v140, v141, v139
	s_delay_alu instid0(VALU_DEP_1) | instskip(NEXT) | instid1(VALU_DEP_1)
	v_fma_f32 v142, -v138, v140, v141
	v_fmac_f32_e32 v140, v142, v139
	s_delay_alu instid0(VALU_DEP_1) | instskip(NEXT) | instid1(VALU_DEP_1)
	v_fma_f32 v138, -v138, v140, v141
	v_div_fmas_f32 v138, v138, v139, v140
	s_delay_alu instid0(VALU_DEP_1) | instskip(NEXT) | instid1(VALU_DEP_1)
	v_div_fixup_f32 v139, v138, v136, v137
	v_fmac_f32_e32 v136, v137, v139
	s_delay_alu instid0(VALU_DEP_1) | instskip(NEXT) | instid1(VALU_DEP_1)
	v_div_scale_f32 v137, null, v136, v136, 1.0
	v_rcp_f32_e32 v138, v137
	v_nop
	s_delay_alu instid0(TRANS32_DEP_1) | instskip(NEXT) | instid1(VALU_DEP_1)
	v_fma_f32 v140, -v137, v138, 1.0
	v_fmac_f32_e32 v138, v140, v138
	v_div_scale_f32 v140, vcc_lo, 1.0, v136, 1.0
	s_delay_alu instid0(VALU_DEP_1) | instskip(NEXT) | instid1(VALU_DEP_1)
	v_mul_f32_e32 v141, v140, v138
	v_fma_f32 v142, -v137, v141, v140
	s_delay_alu instid0(VALU_DEP_1) | instskip(NEXT) | instid1(VALU_DEP_1)
	v_fmac_f32_e32 v141, v142, v138
	v_fma_f32 v137, -v137, v141, v140
	s_delay_alu instid0(VALU_DEP_1) | instskip(NEXT) | instid1(VALU_DEP_1)
	v_div_fmas_f32 v137, v137, v138, v141
	v_div_fixup_f32 v138, v137, v136, 1.0
	s_delay_alu instid0(VALU_DEP_1)
	v_mul_f32_e64 v139, v139, -v138
.LBB65_16:
	s_or_b32 exec_lo, exec_lo, s1
	ds_store_b64 v201, v[138:139]
.LBB65_17:
	s_or_b32 exec_lo, exec_lo, s2
	s_wait_dscnt 0x0
	s_barrier_signal -1
	s_barrier_wait -1
	ds_load_b64 v[136:137], v201
	s_mov_b32 s1, exec_lo
	v_cmpx_lt_u32_e32 1, v200
	s_cbranch_execz .LBB65_19
; %bb.18:
	ds_load_2addr_b64 v[142:145], v202 offset0:2 offset1:3
	s_wait_dscnt 0x1
	v_pk_mul_f32 v[140:141], v[136:137], v[54:55] op_sel:[1,1] op_sel_hi:[0,1]
	s_delay_alu instid0(VALU_DEP_1) | instskip(SKIP_1) | instid1(VALU_DEP_1)
	v_pk_fma_f32 v[138:139], v[136:137], v[54:55], v[140:141] op_sel_hi:[1,0,1] neg_lo:[0,0,1] neg_hi:[0,0,1]
	v_pk_fma_f32 v[140:141], v[136:137], v[54:55], v[140:141] op_sel_hi:[1,0,1]
	v_dual_mov_b32 v54, v138 :: v_dual_mov_b32 v55, v141
	s_wait_dscnt 0x0
	s_delay_alu instid0(VALU_DEP_2) | instskip(NEXT) | instid1(VALU_DEP_1)
	v_pk_mul_f32 v[146:147], v[142:143], v[140:141] op_sel:[0,1]
	v_pk_fma_f32 v[148:149], v[142:143], v[138:139], v[146:147] op_sel:[0,0,1] op_sel_hi:[1,1,0] neg_lo:[0,0,1] neg_hi:[0,0,1]
	v_pk_fma_f32 v[142:143], v[142:143], v[138:139], v[146:147] op_sel:[0,0,1] op_sel_hi:[1,0,0]
	s_delay_alu instid0(VALU_DEP_1) | instskip(SKIP_1) | instid1(VALU_DEP_1)
	v_mov_b32_e32 v149, v143
	v_pk_mul_f32 v[142:143], v[144:145], v[140:141] op_sel:[0,1]
	v_pk_fma_f32 v[146:147], v[144:145], v[138:139], v[142:143] op_sel:[0,0,1] op_sel_hi:[1,1,0] neg_lo:[0,0,1] neg_hi:[0,0,1]
	v_pk_fma_f32 v[142:143], v[144:145], v[138:139], v[142:143] op_sel:[0,0,1] op_sel_hi:[1,0,0]
	s_delay_alu instid0(VALU_DEP_1)
	v_mov_b32_e32 v147, v143
	ds_load_2addr_b64 v[142:145], v202 offset0:4 offset1:5
	v_pk_add_f32 v[44:45], v[44:45], v[148:149] neg_lo:[0,1] neg_hi:[0,1]
	v_pk_add_f32 v[42:43], v[42:43], v[146:147] neg_lo:[0,1] neg_hi:[0,1]
	s_wait_dscnt 0x0
	v_pk_mul_f32 v[146:147], v[142:143], v[140:141] op_sel:[0,1]
	s_delay_alu instid0(VALU_DEP_1) | instskip(SKIP_2) | instid1(VALU_DEP_2)
	v_pk_fma_f32 v[148:149], v[142:143], v[138:139], v[146:147] op_sel:[0,0,1] op_sel_hi:[1,1,0] neg_lo:[0,0,1] neg_hi:[0,0,1]
	v_pk_fma_f32 v[142:143], v[142:143], v[138:139], v[146:147] op_sel:[0,0,1] op_sel_hi:[1,0,0]
	v_dual_mul_f32 v146, v145, v141 :: v_dual_mov_b32 v142, v145
	v_dual_mov_b32 v149, v143 :: v_dual_mov_b32 v143, v144
	s_delay_alu instid0(VALU_DEP_2) | instskip(SKIP_1) | instid1(VALU_DEP_3)
	v_pk_fma_f32 v[146:147], v[144:145], v[54:55], v[146:147] op_sel_hi:[1,1,0] neg_lo:[0,0,1] neg_hi:[0,0,1]
	v_mul_f32_e32 v144, v145, v138
	v_pk_add_f32 v[24:25], v[24:25], v[148:149] neg_lo:[0,1] neg_hi:[0,1]
	s_delay_alu instid0(VALU_DEP_2) | instskip(NEXT) | instid1(VALU_DEP_1)
	v_pk_fma_f32 v[142:143], v[142:143], v[54:55], v[144:145] op_sel_hi:[1,1,0]
	v_mov_b32_e32 v147, v143
	ds_load_2addr_b64 v[142:145], v202 offset0:6 offset1:7
	v_pk_add_f32 v[72:73], v[72:73], v[146:147] neg_lo:[0,1] neg_hi:[0,1]
	s_wait_dscnt 0x0
	v_pk_mul_f32 v[146:147], v[142:143], v[140:141] op_sel:[0,1]
	s_delay_alu instid0(VALU_DEP_1) | instskip(SKIP_1) | instid1(VALU_DEP_1)
	v_pk_fma_f32 v[148:149], v[142:143], v[138:139], v[146:147] op_sel:[0,0,1] op_sel_hi:[1,1,0] neg_lo:[0,0,1] neg_hi:[0,0,1]
	v_pk_fma_f32 v[142:143], v[142:143], v[138:139], v[146:147] op_sel:[0,0,1] op_sel_hi:[1,0,0]
	v_mov_b32_e32 v149, v143
	v_pk_mul_f32 v[142:143], v[144:145], v[140:141] op_sel:[0,1]
	s_delay_alu instid0(VALU_DEP_1) | instskip(SKIP_1) | instid1(VALU_DEP_1)
	v_pk_fma_f32 v[146:147], v[144:145], v[138:139], v[142:143] op_sel:[0,0,1] op_sel_hi:[1,1,0] neg_lo:[0,0,1] neg_hi:[0,0,1]
	v_pk_fma_f32 v[142:143], v[144:145], v[138:139], v[142:143] op_sel:[0,0,1] op_sel_hi:[1,0,0]
	v_mov_b32_e32 v147, v143
	ds_load_2addr_b64 v[142:145], v202 offset0:8 offset1:9
	v_pk_add_f32 v[74:75], v[74:75], v[148:149] neg_lo:[0,1] neg_hi:[0,1]
	v_pk_add_f32 v[22:23], v[22:23], v[146:147] neg_lo:[0,1] neg_hi:[0,1]
	s_wait_dscnt 0x0
	v_pk_mul_f32 v[146:147], v[142:143], v[140:141] op_sel:[0,1]
	s_delay_alu instid0(VALU_DEP_1) | instskip(SKIP_1) | instid1(VALU_DEP_1)
	v_pk_fma_f32 v[148:149], v[142:143], v[138:139], v[146:147] op_sel:[0,0,1] op_sel_hi:[1,1,0] neg_lo:[0,0,1] neg_hi:[0,0,1]
	v_pk_fma_f32 v[142:143], v[142:143], v[138:139], v[146:147] op_sel:[0,0,1] op_sel_hi:[1,0,0]
	v_mov_b32_e32 v149, v143
	v_pk_mul_f32 v[142:143], v[144:145], v[140:141] op_sel:[0,1]
	s_delay_alu instid0(VALU_DEP_1) | instskip(SKIP_1) | instid1(VALU_DEP_1)
	v_pk_fma_f32 v[146:147], v[144:145], v[138:139], v[142:143] op_sel:[0,0,1] op_sel_hi:[1,1,0] neg_lo:[0,0,1] neg_hi:[0,0,1]
	v_pk_fma_f32 v[142:143], v[144:145], v[138:139], v[142:143] op_sel:[0,0,1] op_sel_hi:[1,0,0]
	v_mov_b32_e32 v147, v143
	ds_load_2addr_b64 v[142:145], v202 offset0:10 offset1:11
	v_pk_add_f32 v[38:39], v[38:39], v[148:149] neg_lo:[0,1] neg_hi:[0,1]
	v_pk_add_f32 v[34:35], v[34:35], v[146:147] neg_lo:[0,1] neg_hi:[0,1]
	s_wait_dscnt 0x0
	v_dual_mul_f32 v146, v143, v141 :: v_dual_mul_f32 v148, v143, v138
	s_delay_alu instid0(VALU_DEP_1) | instskip(NEXT) | instid1(VALU_DEP_2)
	v_pk_fma_f32 v[146:147], v[142:143], v[54:55], v[146:147] op_sel_hi:[1,1,0] neg_lo:[0,0,1] neg_hi:[0,0,1]
	v_pk_fma_f32 v[142:143], v[142:143], v[54:55], v[148:149] op_sel:[1,0,0] op_sel_hi:[0,1,0]
	s_delay_alu instid0(VALU_DEP_1) | instskip(SKIP_1) | instid1(VALU_DEP_2)
	v_mov_b32_e32 v147, v143
	v_pk_mul_f32 v[142:143], v[144:145], v[140:141] op_sel:[0,1]
	v_pk_add_f32 v[36:37], v[36:37], v[146:147] neg_lo:[0,1] neg_hi:[0,1]
	s_delay_alu instid0(VALU_DEP_2) | instskip(SKIP_1) | instid1(VALU_DEP_1)
	v_pk_fma_f32 v[146:147], v[144:145], v[138:139], v[142:143] op_sel:[0,0,1] op_sel_hi:[1,1,0] neg_lo:[0,0,1] neg_hi:[0,0,1]
	v_pk_fma_f32 v[142:143], v[144:145], v[138:139], v[142:143] op_sel:[0,0,1] op_sel_hi:[1,0,0]
	v_mov_b32_e32 v147, v143
	ds_load_2addr_b64 v[142:145], v202 offset0:12 offset1:13
	v_pk_add_f32 v[32:33], v[32:33], v[146:147] neg_lo:[0,1] neg_hi:[0,1]
	s_wait_dscnt 0x0
	v_pk_mul_f32 v[146:147], v[142:143], v[140:141] op_sel:[0,1]
	s_delay_alu instid0(VALU_DEP_1) | instskip(SKIP_1) | instid1(VALU_DEP_1)
	v_pk_fma_f32 v[148:149], v[142:143], v[138:139], v[146:147] op_sel:[0,0,1] op_sel_hi:[1,1,0] neg_lo:[0,0,1] neg_hi:[0,0,1]
	v_pk_fma_f32 v[142:143], v[142:143], v[138:139], v[146:147] op_sel:[0,0,1] op_sel_hi:[1,0,0]
	v_mov_b32_e32 v149, v143
	v_pk_mul_f32 v[142:143], v[144:145], v[140:141] op_sel:[0,1]
	s_delay_alu instid0(VALU_DEP_2) | instskip(NEXT) | instid1(VALU_DEP_2)
	v_pk_add_f32 v[62:63], v[62:63], v[148:149] neg_lo:[0,1] neg_hi:[0,1]
	v_pk_fma_f32 v[146:147], v[144:145], v[138:139], v[142:143] op_sel:[0,0,1] op_sel_hi:[1,1,0] neg_lo:[0,0,1] neg_hi:[0,0,1]
	v_pk_fma_f32 v[142:143], v[144:145], v[138:139], v[142:143] op_sel:[0,0,1] op_sel_hi:[1,0,0]
	s_delay_alu instid0(VALU_DEP_1) | instskip(SKIP_4) | instid1(VALU_DEP_1)
	v_mov_b32_e32 v147, v143
	ds_load_2addr_b64 v[142:145], v202 offset0:14 offset1:15
	v_pk_add_f32 v[58:59], v[58:59], v[146:147] neg_lo:[0,1] neg_hi:[0,1]
	s_wait_dscnt 0x0
	v_pk_mul_f32 v[146:147], v[142:143], v[140:141] op_sel:[0,1]
	v_pk_fma_f32 v[148:149], v[142:143], v[138:139], v[146:147] op_sel:[0,0,1] op_sel_hi:[1,1,0] neg_lo:[0,0,1] neg_hi:[0,0,1]
	v_pk_fma_f32 v[142:143], v[142:143], v[138:139], v[146:147] op_sel:[0,0,1] op_sel_hi:[1,0,0]
	v_dual_mul_f32 v146, v145, v141 :: v_dual_mov_b32 v142, v145
	s_delay_alu instid0(VALU_DEP_2) | instskip(NEXT) | instid1(VALU_DEP_2)
	v_dual_mov_b32 v149, v143 :: v_dual_mov_b32 v143, v144
	v_pk_fma_f32 v[146:147], v[144:145], v[54:55], v[146:147] op_sel_hi:[1,1,0] neg_lo:[0,0,1] neg_hi:[0,0,1]
	v_mul_f32_e32 v144, v145, v138
	s_delay_alu instid0(VALU_DEP_3) | instskip(NEXT) | instid1(VALU_DEP_2)
	v_pk_add_f32 v[60:61], v[60:61], v[148:149] neg_lo:[0,1] neg_hi:[0,1]
	v_pk_fma_f32 v[142:143], v[142:143], v[54:55], v[144:145] op_sel_hi:[1,1,0]
	s_delay_alu instid0(VALU_DEP_1) | instskip(SKIP_4) | instid1(VALU_DEP_1)
	v_mov_b32_e32 v147, v143
	ds_load_2addr_b64 v[142:145], v202 offset0:16 offset1:17
	v_pk_add_f32 v[56:57], v[56:57], v[146:147] neg_lo:[0,1] neg_hi:[0,1]
	s_wait_dscnt 0x0
	v_pk_mul_f32 v[146:147], v[142:143], v[140:141] op_sel:[0,1]
	v_pk_fma_f32 v[148:149], v[142:143], v[138:139], v[146:147] op_sel:[0,0,1] op_sel_hi:[1,1,0] neg_lo:[0,0,1] neg_hi:[0,0,1]
	v_pk_fma_f32 v[142:143], v[142:143], v[138:139], v[146:147] op_sel:[0,0,1] op_sel_hi:[1,0,0]
	s_delay_alu instid0(VALU_DEP_1) | instskip(SKIP_1) | instid1(VALU_DEP_1)
	v_mov_b32_e32 v149, v143
	v_pk_mul_f32 v[142:143], v[144:145], v[140:141] op_sel:[0,1]
	v_pk_fma_f32 v[146:147], v[144:145], v[138:139], v[142:143] op_sel:[0,0,1] op_sel_hi:[1,1,0] neg_lo:[0,0,1] neg_hi:[0,0,1]
	v_pk_fma_f32 v[142:143], v[144:145], v[138:139], v[142:143] op_sel:[0,0,1] op_sel_hi:[1,0,0]
	s_delay_alu instid0(VALU_DEP_1)
	v_mov_b32_e32 v147, v143
	ds_load_2addr_b64 v[142:145], v202 offset0:18 offset1:19
	v_pk_add_f32 v[82:83], v[82:83], v[148:149] neg_lo:[0,1] neg_hi:[0,1]
	v_pk_add_f32 v[78:79], v[78:79], v[146:147] neg_lo:[0,1] neg_hi:[0,1]
	s_wait_dscnt 0x0
	v_pk_mul_f32 v[146:147], v[142:143], v[140:141] op_sel:[0,1]
	s_delay_alu instid0(VALU_DEP_1) | instskip(SKIP_1) | instid1(VALU_DEP_1)
	v_pk_fma_f32 v[148:149], v[142:143], v[138:139], v[146:147] op_sel:[0,0,1] op_sel_hi:[1,1,0] neg_lo:[0,0,1] neg_hi:[0,0,1]
	v_pk_fma_f32 v[142:143], v[142:143], v[138:139], v[146:147] op_sel:[0,0,1] op_sel_hi:[1,0,0]
	v_mov_b32_e32 v149, v143
	v_pk_mul_f32 v[142:143], v[144:145], v[140:141] op_sel:[0,1]
	s_delay_alu instid0(VALU_DEP_1) | instskip(SKIP_1) | instid1(VALU_DEP_1)
	v_pk_fma_f32 v[146:147], v[144:145], v[138:139], v[142:143] op_sel:[0,0,1] op_sel_hi:[1,1,0] neg_lo:[0,0,1] neg_hi:[0,0,1]
	v_pk_fma_f32 v[142:143], v[144:145], v[138:139], v[142:143] op_sel:[0,0,1] op_sel_hi:[1,0,0]
	v_mov_b32_e32 v147, v143
	ds_load_2addr_b64 v[142:145], v202 offset0:20 offset1:21
	v_pk_add_f32 v[80:81], v[80:81], v[148:149] neg_lo:[0,1] neg_hi:[0,1]
	v_pk_add_f32 v[76:77], v[76:77], v[146:147] neg_lo:[0,1] neg_hi:[0,1]
	s_wait_dscnt 0x0
	v_dual_mul_f32 v146, v143, v141 :: v_dual_mul_f32 v148, v143, v138
	s_delay_alu instid0(VALU_DEP_1) | instskip(NEXT) | instid1(VALU_DEP_2)
	v_pk_fma_f32 v[146:147], v[142:143], v[54:55], v[146:147] op_sel_hi:[1,1,0] neg_lo:[0,0,1] neg_hi:[0,0,1]
	v_pk_fma_f32 v[142:143], v[142:143], v[54:55], v[148:149] op_sel:[1,0,0] op_sel_hi:[0,1,0]
	s_delay_alu instid0(VALU_DEP_1) | instskip(SKIP_1) | instid1(VALU_DEP_2)
	v_mov_b32_e32 v147, v143
	v_pk_mul_f32 v[142:143], v[144:145], v[140:141] op_sel:[0,1]
	v_pk_add_f32 v[98:99], v[98:99], v[146:147] neg_lo:[0,1] neg_hi:[0,1]
	s_delay_alu instid0(VALU_DEP_2) | instskip(SKIP_1) | instid1(VALU_DEP_1)
	v_pk_fma_f32 v[146:147], v[144:145], v[138:139], v[142:143] op_sel:[0,0,1] op_sel_hi:[1,1,0] neg_lo:[0,0,1] neg_hi:[0,0,1]
	v_pk_fma_f32 v[142:143], v[144:145], v[138:139], v[142:143] op_sel:[0,0,1] op_sel_hi:[1,0,0]
	v_mov_b32_e32 v147, v143
	ds_load_2addr_b64 v[142:145], v202 offset0:22 offset1:23
	v_pk_add_f32 v[132:133], v[132:133], v[146:147] neg_lo:[0,1] neg_hi:[0,1]
	s_wait_dscnt 0x0
	v_pk_mul_f32 v[146:147], v[142:143], v[140:141] op_sel:[0,1]
	s_delay_alu instid0(VALU_DEP_1) | instskip(SKIP_1) | instid1(VALU_DEP_1)
	v_pk_fma_f32 v[148:149], v[142:143], v[138:139], v[146:147] op_sel:[0,0,1] op_sel_hi:[1,1,0] neg_lo:[0,0,1] neg_hi:[0,0,1]
	v_pk_fma_f32 v[142:143], v[142:143], v[138:139], v[146:147] op_sel:[0,0,1] op_sel_hi:[1,0,0]
	v_mov_b32_e32 v149, v143
	v_pk_mul_f32 v[142:143], v[144:145], v[140:141] op_sel:[0,1]
	s_delay_alu instid0(VALU_DEP_2) | instskip(NEXT) | instid1(VALU_DEP_2)
	v_pk_add_f32 v[128:129], v[128:129], v[148:149] neg_lo:[0,1] neg_hi:[0,1]
	v_pk_fma_f32 v[146:147], v[144:145], v[138:139], v[142:143] op_sel:[0,0,1] op_sel_hi:[1,1,0] neg_lo:[0,0,1] neg_hi:[0,0,1]
	v_pk_fma_f32 v[142:143], v[144:145], v[138:139], v[142:143] op_sel:[0,0,1] op_sel_hi:[1,0,0]
	s_delay_alu instid0(VALU_DEP_1) | instskip(SKIP_4) | instid1(VALU_DEP_1)
	v_mov_b32_e32 v147, v143
	ds_load_2addr_b64 v[142:145], v202 offset0:24 offset1:25
	v_pk_add_f32 v[126:127], v[126:127], v[146:147] neg_lo:[0,1] neg_hi:[0,1]
	s_wait_dscnt 0x0
	v_pk_mul_f32 v[146:147], v[142:143], v[140:141] op_sel:[0,1]
	v_pk_fma_f32 v[148:149], v[142:143], v[138:139], v[146:147] op_sel:[0,0,1] op_sel_hi:[1,1,0] neg_lo:[0,0,1] neg_hi:[0,0,1]
	v_pk_fma_f32 v[142:143], v[142:143], v[138:139], v[146:147] op_sel:[0,0,1] op_sel_hi:[1,0,0]
	v_dual_mul_f32 v146, v145, v141 :: v_dual_mov_b32 v142, v145
	s_delay_alu instid0(VALU_DEP_2) | instskip(NEXT) | instid1(VALU_DEP_2)
	v_dual_mov_b32 v149, v143 :: v_dual_mov_b32 v143, v144
	v_pk_fma_f32 v[146:147], v[144:145], v[54:55], v[146:147] op_sel_hi:[1,1,0] neg_lo:[0,0,1] neg_hi:[0,0,1]
	v_mul_f32_e32 v144, v145, v138
	s_delay_alu instid0(VALU_DEP_3) | instskip(NEXT) | instid1(VALU_DEP_2)
	v_pk_add_f32 v[118:119], v[118:119], v[148:149] neg_lo:[0,1] neg_hi:[0,1]
	v_pk_fma_f32 v[142:143], v[142:143], v[54:55], v[144:145] op_sel_hi:[1,1,0]
	s_delay_alu instid0(VALU_DEP_1) | instskip(SKIP_4) | instid1(VALU_DEP_1)
	v_mov_b32_e32 v147, v143
	ds_load_2addr_b64 v[142:145], v202 offset0:26 offset1:27
	v_pk_add_f32 v[112:113], v[112:113], v[146:147] neg_lo:[0,1] neg_hi:[0,1]
	s_wait_dscnt 0x0
	v_pk_mul_f32 v[146:147], v[142:143], v[140:141] op_sel:[0,1]
	v_pk_fma_f32 v[148:149], v[142:143], v[138:139], v[146:147] op_sel:[0,0,1] op_sel_hi:[1,1,0] neg_lo:[0,0,1] neg_hi:[0,0,1]
	v_pk_fma_f32 v[142:143], v[142:143], v[138:139], v[146:147] op_sel:[0,0,1] op_sel_hi:[1,0,0]
	s_delay_alu instid0(VALU_DEP_1) | instskip(SKIP_1) | instid1(VALU_DEP_1)
	v_mov_b32_e32 v149, v143
	v_pk_mul_f32 v[142:143], v[144:145], v[140:141] op_sel:[0,1]
	v_pk_fma_f32 v[146:147], v[144:145], v[138:139], v[142:143] op_sel:[0,0,1] op_sel_hi:[1,1,0] neg_lo:[0,0,1] neg_hi:[0,0,1]
	v_pk_fma_f32 v[142:143], v[144:145], v[138:139], v[142:143] op_sel:[0,0,1] op_sel_hi:[1,0,0]
	s_delay_alu instid0(VALU_DEP_1)
	v_mov_b32_e32 v147, v143
	ds_load_2addr_b64 v[142:145], v202 offset0:28 offset1:29
	v_pk_add_f32 v[116:117], v[116:117], v[148:149] neg_lo:[0,1] neg_hi:[0,1]
	v_pk_add_f32 v[110:111], v[110:111], v[146:147] neg_lo:[0,1] neg_hi:[0,1]
	s_wait_dscnt 0x0
	v_pk_mul_f32 v[146:147], v[142:143], v[140:141] op_sel:[0,1]
	s_delay_alu instid0(VALU_DEP_1) | instskip(SKIP_1) | instid1(VALU_DEP_1)
	v_pk_fma_f32 v[148:149], v[142:143], v[138:139], v[146:147] op_sel:[0,0,1] op_sel_hi:[1,1,0] neg_lo:[0,0,1] neg_hi:[0,0,1]
	v_pk_fma_f32 v[142:143], v[142:143], v[138:139], v[146:147] op_sel:[0,0,1] op_sel_hi:[1,0,0]
	v_mov_b32_e32 v149, v143
	v_pk_mul_f32 v[142:143], v[144:145], v[140:141] op_sel:[0,1]
	s_delay_alu instid0(VALU_DEP_1) | instskip(SKIP_1) | instid1(VALU_DEP_1)
	v_pk_fma_f32 v[146:147], v[144:145], v[138:139], v[142:143] op_sel:[0,0,1] op_sel_hi:[1,1,0] neg_lo:[0,0,1] neg_hi:[0,0,1]
	v_pk_fma_f32 v[142:143], v[144:145], v[138:139], v[142:143] op_sel:[0,0,1] op_sel_hi:[1,0,0]
	v_mov_b32_e32 v147, v143
	ds_load_2addr_b64 v[142:145], v202 offset0:30 offset1:31
	v_pk_add_f32 v[114:115], v[114:115], v[148:149] neg_lo:[0,1] neg_hi:[0,1]
	v_pk_add_f32 v[124:125], v[124:125], v[146:147] neg_lo:[0,1] neg_hi:[0,1]
	s_wait_dscnt 0x0
	v_dual_mul_f32 v146, v143, v141 :: v_dual_mul_f32 v148, v143, v138
	s_delay_alu instid0(VALU_DEP_1) | instskip(NEXT) | instid1(VALU_DEP_2)
	v_pk_fma_f32 v[146:147], v[142:143], v[54:55], v[146:147] op_sel_hi:[1,1,0] neg_lo:[0,0,1] neg_hi:[0,0,1]
	v_pk_fma_f32 v[142:143], v[142:143], v[54:55], v[148:149] op_sel:[1,0,0] op_sel_hi:[0,1,0]
	s_delay_alu instid0(VALU_DEP_1) | instskip(SKIP_1) | instid1(VALU_DEP_2)
	v_mov_b32_e32 v147, v143
	v_pk_mul_f32 v[142:143], v[144:145], v[140:141] op_sel:[0,1]
	v_pk_add_f32 v[122:123], v[122:123], v[146:147] neg_lo:[0,1] neg_hi:[0,1]
	s_delay_alu instid0(VALU_DEP_2) | instskip(SKIP_1) | instid1(VALU_DEP_1)
	v_pk_fma_f32 v[146:147], v[144:145], v[138:139], v[142:143] op_sel:[0,0,1] op_sel_hi:[1,1,0] neg_lo:[0,0,1] neg_hi:[0,0,1]
	v_pk_fma_f32 v[142:143], v[144:145], v[138:139], v[142:143] op_sel:[0,0,1] op_sel_hi:[1,0,0]
	v_mov_b32_e32 v147, v143
	ds_load_b64 v[142:143], v202 offset:256
	v_pk_add_f32 v[120:121], v[120:121], v[146:147] neg_lo:[0,1] neg_hi:[0,1]
	s_wait_dscnt 0x0
	v_pk_mul_f32 v[140:141], v[142:143], v[140:141] op_sel:[0,1]
	s_delay_alu instid0(VALU_DEP_1) | instskip(SKIP_1) | instid1(VALU_DEP_1)
	v_pk_fma_f32 v[144:145], v[142:143], v[138:139], v[140:141] op_sel:[0,0,1] op_sel_hi:[1,1,0] neg_lo:[0,0,1] neg_hi:[0,0,1]
	v_pk_fma_f32 v[138:139], v[142:143], v[138:139], v[140:141] op_sel:[0,0,1] op_sel_hi:[1,0,0]
	v_mov_b32_e32 v145, v139
	s_delay_alu instid0(VALU_DEP_1)
	v_pk_add_f32 v[130:131], v[130:131], v[144:145] neg_lo:[0,1] neg_hi:[0,1]
.LBB65_19:
	s_or_b32 exec_lo, exec_lo, s1
	s_delay_alu instid0(SALU_CYCLE_1)
	s_mov_b32 s2, exec_lo
	s_wait_dscnt 0x0
	s_barrier_signal -1
	s_barrier_wait -1
	v_cmpx_eq_u32_e32 2, v200
	s_cbranch_execz .LBB65_26
; %bb.20:
	ds_store_b64 v201, v[44:45]
	ds_store_2addr_b64 v202, v[42:43], v[24:25] offset0:3 offset1:4
	ds_store_2addr_b64 v202, v[72:73], v[74:75] offset0:5 offset1:6
	;; [unrolled: 1-line block ×15, first 2 shown]
	ds_load_b64 v[138:139], v201
	s_wait_dscnt 0x0
	v_cmp_neq_f32_e32 vcc_lo, 0, v138
	v_cmp_neq_f32_e64 s1, 0, v139
	s_or_b32 s1, vcc_lo, s1
	s_delay_alu instid0(SALU_CYCLE_1)
	s_and_b32 exec_lo, exec_lo, s1
	s_cbranch_execz .LBB65_26
; %bb.21:
	v_cmp_ngt_f32_e64 s1, |v138|, |v139|
                                        ; implicit-def: $vgpr140_vgpr141
	s_and_saveexec_b32 s4, s1
	s_delay_alu instid0(SALU_CYCLE_1)
	s_xor_b32 s1, exec_lo, s4
	s_cbranch_execz .LBB65_23
; %bb.22:
	v_div_scale_f32 v140, null, v139, v139, v138
	v_div_scale_f32 v143, vcc_lo, v138, v139, v138
	s_delay_alu instid0(VALU_DEP_2) | instskip(SKIP_1) | instid1(TRANS32_DEP_1)
	v_rcp_f32_e32 v141, v140
	v_nop
	v_fma_f32 v142, -v140, v141, 1.0
	s_delay_alu instid0(VALU_DEP_1) | instskip(NEXT) | instid1(VALU_DEP_1)
	v_fmac_f32_e32 v141, v142, v141
	v_mul_f32_e32 v142, v143, v141
	s_delay_alu instid0(VALU_DEP_1) | instskip(NEXT) | instid1(VALU_DEP_1)
	v_fma_f32 v144, -v140, v142, v143
	v_fmac_f32_e32 v142, v144, v141
	s_delay_alu instid0(VALU_DEP_1) | instskip(NEXT) | instid1(VALU_DEP_1)
	v_fma_f32 v140, -v140, v142, v143
	v_div_fmas_f32 v140, v140, v141, v142
	s_delay_alu instid0(VALU_DEP_1) | instskip(NEXT) | instid1(VALU_DEP_1)
	v_div_fixup_f32 v140, v140, v139, v138
	v_fmac_f32_e32 v139, v138, v140
	s_delay_alu instid0(VALU_DEP_1) | instskip(SKIP_1) | instid1(VALU_DEP_2)
	v_div_scale_f32 v138, null, v139, v139, 1.0
	v_div_scale_f32 v143, vcc_lo, 1.0, v139, 1.0
	v_rcp_f32_e32 v141, v138
	v_nop
	s_delay_alu instid0(TRANS32_DEP_1) | instskip(NEXT) | instid1(VALU_DEP_1)
	v_fma_f32 v142, -v138, v141, 1.0
	v_fmac_f32_e32 v141, v142, v141
	s_delay_alu instid0(VALU_DEP_1) | instskip(NEXT) | instid1(VALU_DEP_1)
	v_mul_f32_e32 v142, v143, v141
	v_fma_f32 v144, -v138, v142, v143
	s_delay_alu instid0(VALU_DEP_1) | instskip(NEXT) | instid1(VALU_DEP_1)
	v_fmac_f32_e32 v142, v144, v141
	v_fma_f32 v138, -v138, v142, v143
	s_delay_alu instid0(VALU_DEP_1) | instskip(NEXT) | instid1(VALU_DEP_1)
	v_div_fmas_f32 v138, v138, v141, v142
	v_div_fixup_f32 v138, v138, v139, 1.0
	s_delay_alu instid0(VALU_DEP_1)
	v_mul_f32_e32 v140, v140, v138
	v_xor_b32_e32 v141, 0x80000000, v138
                                        ; implicit-def: $vgpr138_vgpr139
.LBB65_23:
	s_and_not1_saveexec_b32 s1, s1
	s_cbranch_execz .LBB65_25
; %bb.24:
	v_div_scale_f32 v140, null, v138, v138, v139
	v_div_scale_f32 v143, vcc_lo, v139, v138, v139
	s_delay_alu instid0(VALU_DEP_2) | instskip(SKIP_1) | instid1(TRANS32_DEP_1)
	v_rcp_f32_e32 v141, v140
	v_nop
	v_fma_f32 v142, -v140, v141, 1.0
	s_delay_alu instid0(VALU_DEP_1) | instskip(NEXT) | instid1(VALU_DEP_1)
	v_fmac_f32_e32 v141, v142, v141
	v_mul_f32_e32 v142, v143, v141
	s_delay_alu instid0(VALU_DEP_1) | instskip(NEXT) | instid1(VALU_DEP_1)
	v_fma_f32 v144, -v140, v142, v143
	v_fmac_f32_e32 v142, v144, v141
	s_delay_alu instid0(VALU_DEP_1) | instskip(NEXT) | instid1(VALU_DEP_1)
	v_fma_f32 v140, -v140, v142, v143
	v_div_fmas_f32 v140, v140, v141, v142
	s_delay_alu instid0(VALU_DEP_1) | instskip(NEXT) | instid1(VALU_DEP_1)
	v_div_fixup_f32 v141, v140, v138, v139
	v_fmac_f32_e32 v138, v139, v141
	s_delay_alu instid0(VALU_DEP_1) | instskip(NEXT) | instid1(VALU_DEP_1)
	v_div_scale_f32 v139, null, v138, v138, 1.0
	v_rcp_f32_e32 v140, v139
	v_nop
	s_delay_alu instid0(TRANS32_DEP_1) | instskip(NEXT) | instid1(VALU_DEP_1)
	v_fma_f32 v142, -v139, v140, 1.0
	v_fmac_f32_e32 v140, v142, v140
	v_div_scale_f32 v142, vcc_lo, 1.0, v138, 1.0
	s_delay_alu instid0(VALU_DEP_1) | instskip(NEXT) | instid1(VALU_DEP_1)
	v_mul_f32_e32 v143, v142, v140
	v_fma_f32 v144, -v139, v143, v142
	s_delay_alu instid0(VALU_DEP_1) | instskip(NEXT) | instid1(VALU_DEP_1)
	v_fmac_f32_e32 v143, v144, v140
	v_fma_f32 v139, -v139, v143, v142
	s_delay_alu instid0(VALU_DEP_1) | instskip(NEXT) | instid1(VALU_DEP_1)
	v_div_fmas_f32 v139, v139, v140, v143
	v_div_fixup_f32 v140, v139, v138, 1.0
	s_delay_alu instid0(VALU_DEP_1)
	v_mul_f32_e64 v141, v141, -v140
.LBB65_25:
	s_or_b32 exec_lo, exec_lo, s1
	ds_store_b64 v201, v[140:141]
.LBB65_26:
	s_or_b32 exec_lo, exec_lo, s2
	s_wait_dscnt 0x0
	s_barrier_signal -1
	s_barrier_wait -1
	ds_load_b64 v[138:139], v201
	s_mov_b32 s1, exec_lo
	v_cmpx_lt_u32_e32 2, v200
	s_cbranch_execz .LBB65_28
; %bb.27:
	ds_load_2addr_b64 v[144:147], v202 offset0:3 offset1:4
	s_wait_dscnt 0x1
	v_pk_mul_f32 v[142:143], v[138:139], v[44:45] op_sel:[1,1] op_sel_hi:[0,1]
	s_delay_alu instid0(VALU_DEP_1) | instskip(SKIP_1) | instid1(VALU_DEP_1)
	v_pk_fma_f32 v[140:141], v[138:139], v[44:45], v[142:143] op_sel_hi:[1,0,1] neg_lo:[0,0,1] neg_hi:[0,0,1]
	v_pk_fma_f32 v[142:143], v[138:139], v[44:45], v[142:143] op_sel_hi:[1,0,1]
	v_dual_mov_b32 v44, v140 :: v_dual_mov_b32 v45, v143
	s_wait_dscnt 0x0
	s_delay_alu instid0(VALU_DEP_2) | instskip(NEXT) | instid1(VALU_DEP_1)
	v_pk_mul_f32 v[148:149], v[144:145], v[142:143] op_sel:[0,1]
	v_pk_fma_f32 v[150:151], v[144:145], v[140:141], v[148:149] op_sel:[0,0,1] op_sel_hi:[1,1,0] neg_lo:[0,0,1] neg_hi:[0,0,1]
	v_pk_fma_f32 v[144:145], v[144:145], v[140:141], v[148:149] op_sel:[0,0,1] op_sel_hi:[1,0,0]
	s_delay_alu instid0(VALU_DEP_1) | instskip(SKIP_1) | instid1(VALU_DEP_1)
	v_mov_b32_e32 v151, v145
	v_pk_mul_f32 v[144:145], v[146:147], v[142:143] op_sel:[0,1]
	v_pk_fma_f32 v[148:149], v[146:147], v[140:141], v[144:145] op_sel:[0,0,1] op_sel_hi:[1,1,0] neg_lo:[0,0,1] neg_hi:[0,0,1]
	v_pk_fma_f32 v[144:145], v[146:147], v[140:141], v[144:145] op_sel:[0,0,1] op_sel_hi:[1,0,0]
	s_delay_alu instid0(VALU_DEP_1)
	v_mov_b32_e32 v149, v145
	ds_load_2addr_b64 v[144:147], v202 offset0:5 offset1:6
	v_pk_add_f32 v[42:43], v[42:43], v[150:151] neg_lo:[0,1] neg_hi:[0,1]
	v_pk_add_f32 v[24:25], v[24:25], v[148:149] neg_lo:[0,1] neg_hi:[0,1]
	s_wait_dscnt 0x0
	v_pk_mul_f32 v[148:149], v[144:145], v[142:143] op_sel:[0,1]
	s_delay_alu instid0(VALU_DEP_1) | instskip(SKIP_2) | instid1(VALU_DEP_2)
	v_pk_fma_f32 v[150:151], v[144:145], v[140:141], v[148:149] op_sel:[0,0,1] op_sel_hi:[1,1,0] neg_lo:[0,0,1] neg_hi:[0,0,1]
	v_pk_fma_f32 v[144:145], v[144:145], v[140:141], v[148:149] op_sel:[0,0,1] op_sel_hi:[1,0,0]
	v_dual_mul_f32 v148, v147, v143 :: v_dual_mov_b32 v144, v147
	v_dual_mov_b32 v151, v145 :: v_dual_mov_b32 v145, v146
	s_delay_alu instid0(VALU_DEP_2) | instskip(SKIP_1) | instid1(VALU_DEP_3)
	v_pk_fma_f32 v[148:149], v[146:147], v[44:45], v[148:149] op_sel_hi:[1,1,0] neg_lo:[0,0,1] neg_hi:[0,0,1]
	v_mul_f32_e32 v146, v147, v140
	v_pk_add_f32 v[72:73], v[72:73], v[150:151] neg_lo:[0,1] neg_hi:[0,1]
	s_delay_alu instid0(VALU_DEP_2) | instskip(NEXT) | instid1(VALU_DEP_1)
	v_pk_fma_f32 v[144:145], v[144:145], v[44:45], v[146:147] op_sel_hi:[1,1,0]
	v_mov_b32_e32 v149, v145
	ds_load_2addr_b64 v[144:147], v202 offset0:7 offset1:8
	v_pk_add_f32 v[74:75], v[74:75], v[148:149] neg_lo:[0,1] neg_hi:[0,1]
	s_wait_dscnt 0x0
	v_pk_mul_f32 v[148:149], v[144:145], v[142:143] op_sel:[0,1]
	s_delay_alu instid0(VALU_DEP_1) | instskip(SKIP_1) | instid1(VALU_DEP_1)
	v_pk_fma_f32 v[150:151], v[144:145], v[140:141], v[148:149] op_sel:[0,0,1] op_sel_hi:[1,1,0] neg_lo:[0,0,1] neg_hi:[0,0,1]
	v_pk_fma_f32 v[144:145], v[144:145], v[140:141], v[148:149] op_sel:[0,0,1] op_sel_hi:[1,0,0]
	v_mov_b32_e32 v151, v145
	v_pk_mul_f32 v[144:145], v[146:147], v[142:143] op_sel:[0,1]
	s_delay_alu instid0(VALU_DEP_1) | instskip(SKIP_1) | instid1(VALU_DEP_1)
	v_pk_fma_f32 v[148:149], v[146:147], v[140:141], v[144:145] op_sel:[0,0,1] op_sel_hi:[1,1,0] neg_lo:[0,0,1] neg_hi:[0,0,1]
	v_pk_fma_f32 v[144:145], v[146:147], v[140:141], v[144:145] op_sel:[0,0,1] op_sel_hi:[1,0,0]
	v_mov_b32_e32 v149, v145
	ds_load_2addr_b64 v[144:147], v202 offset0:9 offset1:10
	v_pk_add_f32 v[22:23], v[22:23], v[150:151] neg_lo:[0,1] neg_hi:[0,1]
	v_pk_add_f32 v[38:39], v[38:39], v[148:149] neg_lo:[0,1] neg_hi:[0,1]
	s_wait_dscnt 0x0
	v_pk_mul_f32 v[148:149], v[144:145], v[142:143] op_sel:[0,1]
	s_delay_alu instid0(VALU_DEP_1) | instskip(SKIP_1) | instid1(VALU_DEP_1)
	v_pk_fma_f32 v[150:151], v[144:145], v[140:141], v[148:149] op_sel:[0,0,1] op_sel_hi:[1,1,0] neg_lo:[0,0,1] neg_hi:[0,0,1]
	v_pk_fma_f32 v[144:145], v[144:145], v[140:141], v[148:149] op_sel:[0,0,1] op_sel_hi:[1,0,0]
	v_mov_b32_e32 v151, v145
	v_pk_mul_f32 v[144:145], v[146:147], v[142:143] op_sel:[0,1]
	s_delay_alu instid0(VALU_DEP_1) | instskip(SKIP_1) | instid1(VALU_DEP_1)
	v_pk_fma_f32 v[148:149], v[146:147], v[140:141], v[144:145] op_sel:[0,0,1] op_sel_hi:[1,1,0] neg_lo:[0,0,1] neg_hi:[0,0,1]
	v_pk_fma_f32 v[144:145], v[146:147], v[140:141], v[144:145] op_sel:[0,0,1] op_sel_hi:[1,0,0]
	v_mov_b32_e32 v149, v145
	ds_load_2addr_b64 v[144:147], v202 offset0:11 offset1:12
	v_pk_add_f32 v[34:35], v[34:35], v[150:151] neg_lo:[0,1] neg_hi:[0,1]
	v_pk_add_f32 v[36:37], v[36:37], v[148:149] neg_lo:[0,1] neg_hi:[0,1]
	s_wait_dscnt 0x0
	v_dual_mul_f32 v148, v145, v143 :: v_dual_mul_f32 v150, v145, v140
	s_delay_alu instid0(VALU_DEP_1) | instskip(NEXT) | instid1(VALU_DEP_2)
	v_pk_fma_f32 v[148:149], v[144:145], v[44:45], v[148:149] op_sel_hi:[1,1,0] neg_lo:[0,0,1] neg_hi:[0,0,1]
	v_pk_fma_f32 v[144:145], v[144:145], v[44:45], v[150:151] op_sel:[1,0,0] op_sel_hi:[0,1,0]
	s_delay_alu instid0(VALU_DEP_1) | instskip(SKIP_1) | instid1(VALU_DEP_2)
	v_mov_b32_e32 v149, v145
	v_pk_mul_f32 v[144:145], v[146:147], v[142:143] op_sel:[0,1]
	v_pk_add_f32 v[32:33], v[32:33], v[148:149] neg_lo:[0,1] neg_hi:[0,1]
	s_delay_alu instid0(VALU_DEP_2) | instskip(SKIP_1) | instid1(VALU_DEP_1)
	v_pk_fma_f32 v[148:149], v[146:147], v[140:141], v[144:145] op_sel:[0,0,1] op_sel_hi:[1,1,0] neg_lo:[0,0,1] neg_hi:[0,0,1]
	v_pk_fma_f32 v[144:145], v[146:147], v[140:141], v[144:145] op_sel:[0,0,1] op_sel_hi:[1,0,0]
	v_mov_b32_e32 v149, v145
	ds_load_2addr_b64 v[144:147], v202 offset0:13 offset1:14
	v_pk_add_f32 v[62:63], v[62:63], v[148:149] neg_lo:[0,1] neg_hi:[0,1]
	s_wait_dscnt 0x0
	v_pk_mul_f32 v[148:149], v[144:145], v[142:143] op_sel:[0,1]
	s_delay_alu instid0(VALU_DEP_1) | instskip(SKIP_1) | instid1(VALU_DEP_1)
	v_pk_fma_f32 v[150:151], v[144:145], v[140:141], v[148:149] op_sel:[0,0,1] op_sel_hi:[1,1,0] neg_lo:[0,0,1] neg_hi:[0,0,1]
	v_pk_fma_f32 v[144:145], v[144:145], v[140:141], v[148:149] op_sel:[0,0,1] op_sel_hi:[1,0,0]
	v_mov_b32_e32 v151, v145
	v_pk_mul_f32 v[144:145], v[146:147], v[142:143] op_sel:[0,1]
	s_delay_alu instid0(VALU_DEP_2) | instskip(NEXT) | instid1(VALU_DEP_2)
	v_pk_add_f32 v[58:59], v[58:59], v[150:151] neg_lo:[0,1] neg_hi:[0,1]
	v_pk_fma_f32 v[148:149], v[146:147], v[140:141], v[144:145] op_sel:[0,0,1] op_sel_hi:[1,1,0] neg_lo:[0,0,1] neg_hi:[0,0,1]
	v_pk_fma_f32 v[144:145], v[146:147], v[140:141], v[144:145] op_sel:[0,0,1] op_sel_hi:[1,0,0]
	s_delay_alu instid0(VALU_DEP_1) | instskip(SKIP_4) | instid1(VALU_DEP_1)
	v_mov_b32_e32 v149, v145
	ds_load_2addr_b64 v[144:147], v202 offset0:15 offset1:16
	v_pk_add_f32 v[60:61], v[60:61], v[148:149] neg_lo:[0,1] neg_hi:[0,1]
	s_wait_dscnt 0x0
	v_pk_mul_f32 v[148:149], v[144:145], v[142:143] op_sel:[0,1]
	v_pk_fma_f32 v[150:151], v[144:145], v[140:141], v[148:149] op_sel:[0,0,1] op_sel_hi:[1,1,0] neg_lo:[0,0,1] neg_hi:[0,0,1]
	v_pk_fma_f32 v[144:145], v[144:145], v[140:141], v[148:149] op_sel:[0,0,1] op_sel_hi:[1,0,0]
	v_dual_mul_f32 v148, v147, v143 :: v_dual_mov_b32 v144, v147
	s_delay_alu instid0(VALU_DEP_2) | instskip(NEXT) | instid1(VALU_DEP_2)
	v_dual_mov_b32 v151, v145 :: v_dual_mov_b32 v145, v146
	v_pk_fma_f32 v[148:149], v[146:147], v[44:45], v[148:149] op_sel_hi:[1,1,0] neg_lo:[0,0,1] neg_hi:[0,0,1]
	v_mul_f32_e32 v146, v147, v140
	s_delay_alu instid0(VALU_DEP_3) | instskip(NEXT) | instid1(VALU_DEP_2)
	v_pk_add_f32 v[56:57], v[56:57], v[150:151] neg_lo:[0,1] neg_hi:[0,1]
	v_pk_fma_f32 v[144:145], v[144:145], v[44:45], v[146:147] op_sel_hi:[1,1,0]
	s_delay_alu instid0(VALU_DEP_1) | instskip(SKIP_4) | instid1(VALU_DEP_1)
	v_mov_b32_e32 v149, v145
	ds_load_2addr_b64 v[144:147], v202 offset0:17 offset1:18
	v_pk_add_f32 v[82:83], v[82:83], v[148:149] neg_lo:[0,1] neg_hi:[0,1]
	s_wait_dscnt 0x0
	v_pk_mul_f32 v[148:149], v[144:145], v[142:143] op_sel:[0,1]
	v_pk_fma_f32 v[150:151], v[144:145], v[140:141], v[148:149] op_sel:[0,0,1] op_sel_hi:[1,1,0] neg_lo:[0,0,1] neg_hi:[0,0,1]
	v_pk_fma_f32 v[144:145], v[144:145], v[140:141], v[148:149] op_sel:[0,0,1] op_sel_hi:[1,0,0]
	s_delay_alu instid0(VALU_DEP_1) | instskip(SKIP_1) | instid1(VALU_DEP_1)
	v_mov_b32_e32 v151, v145
	v_pk_mul_f32 v[144:145], v[146:147], v[142:143] op_sel:[0,1]
	v_pk_fma_f32 v[148:149], v[146:147], v[140:141], v[144:145] op_sel:[0,0,1] op_sel_hi:[1,1,0] neg_lo:[0,0,1] neg_hi:[0,0,1]
	v_pk_fma_f32 v[144:145], v[146:147], v[140:141], v[144:145] op_sel:[0,0,1] op_sel_hi:[1,0,0]
	s_delay_alu instid0(VALU_DEP_1)
	v_mov_b32_e32 v149, v145
	ds_load_2addr_b64 v[144:147], v202 offset0:19 offset1:20
	v_pk_add_f32 v[78:79], v[78:79], v[150:151] neg_lo:[0,1] neg_hi:[0,1]
	v_pk_add_f32 v[80:81], v[80:81], v[148:149] neg_lo:[0,1] neg_hi:[0,1]
	s_wait_dscnt 0x0
	v_pk_mul_f32 v[148:149], v[144:145], v[142:143] op_sel:[0,1]
	s_delay_alu instid0(VALU_DEP_1) | instskip(SKIP_1) | instid1(VALU_DEP_1)
	v_pk_fma_f32 v[150:151], v[144:145], v[140:141], v[148:149] op_sel:[0,0,1] op_sel_hi:[1,1,0] neg_lo:[0,0,1] neg_hi:[0,0,1]
	v_pk_fma_f32 v[144:145], v[144:145], v[140:141], v[148:149] op_sel:[0,0,1] op_sel_hi:[1,0,0]
	v_mov_b32_e32 v151, v145
	v_pk_mul_f32 v[144:145], v[146:147], v[142:143] op_sel:[0,1]
	s_delay_alu instid0(VALU_DEP_1) | instskip(SKIP_1) | instid1(VALU_DEP_1)
	v_pk_fma_f32 v[148:149], v[146:147], v[140:141], v[144:145] op_sel:[0,0,1] op_sel_hi:[1,1,0] neg_lo:[0,0,1] neg_hi:[0,0,1]
	v_pk_fma_f32 v[144:145], v[146:147], v[140:141], v[144:145] op_sel:[0,0,1] op_sel_hi:[1,0,0]
	v_mov_b32_e32 v149, v145
	ds_load_2addr_b64 v[144:147], v202 offset0:21 offset1:22
	v_pk_add_f32 v[76:77], v[76:77], v[150:151] neg_lo:[0,1] neg_hi:[0,1]
	v_pk_add_f32 v[98:99], v[98:99], v[148:149] neg_lo:[0,1] neg_hi:[0,1]
	s_wait_dscnt 0x0
	v_dual_mul_f32 v148, v145, v143 :: v_dual_mul_f32 v150, v145, v140
	s_delay_alu instid0(VALU_DEP_1) | instskip(NEXT) | instid1(VALU_DEP_2)
	v_pk_fma_f32 v[148:149], v[144:145], v[44:45], v[148:149] op_sel_hi:[1,1,0] neg_lo:[0,0,1] neg_hi:[0,0,1]
	v_pk_fma_f32 v[144:145], v[144:145], v[44:45], v[150:151] op_sel:[1,0,0] op_sel_hi:[0,1,0]
	s_delay_alu instid0(VALU_DEP_1) | instskip(SKIP_1) | instid1(VALU_DEP_2)
	v_mov_b32_e32 v149, v145
	v_pk_mul_f32 v[144:145], v[146:147], v[142:143] op_sel:[0,1]
	v_pk_add_f32 v[132:133], v[132:133], v[148:149] neg_lo:[0,1] neg_hi:[0,1]
	s_delay_alu instid0(VALU_DEP_2) | instskip(SKIP_1) | instid1(VALU_DEP_1)
	v_pk_fma_f32 v[148:149], v[146:147], v[140:141], v[144:145] op_sel:[0,0,1] op_sel_hi:[1,1,0] neg_lo:[0,0,1] neg_hi:[0,0,1]
	v_pk_fma_f32 v[144:145], v[146:147], v[140:141], v[144:145] op_sel:[0,0,1] op_sel_hi:[1,0,0]
	v_mov_b32_e32 v149, v145
	ds_load_2addr_b64 v[144:147], v202 offset0:23 offset1:24
	v_pk_add_f32 v[128:129], v[128:129], v[148:149] neg_lo:[0,1] neg_hi:[0,1]
	s_wait_dscnt 0x0
	v_pk_mul_f32 v[148:149], v[144:145], v[142:143] op_sel:[0,1]
	s_delay_alu instid0(VALU_DEP_1) | instskip(SKIP_1) | instid1(VALU_DEP_1)
	v_pk_fma_f32 v[150:151], v[144:145], v[140:141], v[148:149] op_sel:[0,0,1] op_sel_hi:[1,1,0] neg_lo:[0,0,1] neg_hi:[0,0,1]
	v_pk_fma_f32 v[144:145], v[144:145], v[140:141], v[148:149] op_sel:[0,0,1] op_sel_hi:[1,0,0]
	v_mov_b32_e32 v151, v145
	v_pk_mul_f32 v[144:145], v[146:147], v[142:143] op_sel:[0,1]
	s_delay_alu instid0(VALU_DEP_2) | instskip(NEXT) | instid1(VALU_DEP_2)
	v_pk_add_f32 v[126:127], v[126:127], v[150:151] neg_lo:[0,1] neg_hi:[0,1]
	v_pk_fma_f32 v[148:149], v[146:147], v[140:141], v[144:145] op_sel:[0,0,1] op_sel_hi:[1,1,0] neg_lo:[0,0,1] neg_hi:[0,0,1]
	v_pk_fma_f32 v[144:145], v[146:147], v[140:141], v[144:145] op_sel:[0,0,1] op_sel_hi:[1,0,0]
	s_delay_alu instid0(VALU_DEP_1) | instskip(SKIP_4) | instid1(VALU_DEP_1)
	v_mov_b32_e32 v149, v145
	ds_load_2addr_b64 v[144:147], v202 offset0:25 offset1:26
	v_pk_add_f32 v[118:119], v[118:119], v[148:149] neg_lo:[0,1] neg_hi:[0,1]
	s_wait_dscnt 0x0
	v_pk_mul_f32 v[148:149], v[144:145], v[142:143] op_sel:[0,1]
	v_pk_fma_f32 v[150:151], v[144:145], v[140:141], v[148:149] op_sel:[0,0,1] op_sel_hi:[1,1,0] neg_lo:[0,0,1] neg_hi:[0,0,1]
	v_pk_fma_f32 v[144:145], v[144:145], v[140:141], v[148:149] op_sel:[0,0,1] op_sel_hi:[1,0,0]
	v_dual_mul_f32 v148, v147, v143 :: v_dual_mov_b32 v144, v147
	s_delay_alu instid0(VALU_DEP_2) | instskip(NEXT) | instid1(VALU_DEP_2)
	v_dual_mov_b32 v151, v145 :: v_dual_mov_b32 v145, v146
	v_pk_fma_f32 v[148:149], v[146:147], v[44:45], v[148:149] op_sel_hi:[1,1,0] neg_lo:[0,0,1] neg_hi:[0,0,1]
	v_mul_f32_e32 v146, v147, v140
	s_delay_alu instid0(VALU_DEP_3) | instskip(NEXT) | instid1(VALU_DEP_2)
	v_pk_add_f32 v[112:113], v[112:113], v[150:151] neg_lo:[0,1] neg_hi:[0,1]
	v_pk_fma_f32 v[144:145], v[144:145], v[44:45], v[146:147] op_sel_hi:[1,1,0]
	s_delay_alu instid0(VALU_DEP_1) | instskip(SKIP_4) | instid1(VALU_DEP_1)
	v_mov_b32_e32 v149, v145
	ds_load_2addr_b64 v[144:147], v202 offset0:27 offset1:28
	v_pk_add_f32 v[116:117], v[116:117], v[148:149] neg_lo:[0,1] neg_hi:[0,1]
	s_wait_dscnt 0x0
	v_pk_mul_f32 v[148:149], v[144:145], v[142:143] op_sel:[0,1]
	v_pk_fma_f32 v[150:151], v[144:145], v[140:141], v[148:149] op_sel:[0,0,1] op_sel_hi:[1,1,0] neg_lo:[0,0,1] neg_hi:[0,0,1]
	v_pk_fma_f32 v[144:145], v[144:145], v[140:141], v[148:149] op_sel:[0,0,1] op_sel_hi:[1,0,0]
	s_delay_alu instid0(VALU_DEP_1) | instskip(SKIP_1) | instid1(VALU_DEP_1)
	v_mov_b32_e32 v151, v145
	v_pk_mul_f32 v[144:145], v[146:147], v[142:143] op_sel:[0,1]
	v_pk_fma_f32 v[148:149], v[146:147], v[140:141], v[144:145] op_sel:[0,0,1] op_sel_hi:[1,1,0] neg_lo:[0,0,1] neg_hi:[0,0,1]
	v_pk_fma_f32 v[144:145], v[146:147], v[140:141], v[144:145] op_sel:[0,0,1] op_sel_hi:[1,0,0]
	s_delay_alu instid0(VALU_DEP_1)
	v_mov_b32_e32 v149, v145
	ds_load_2addr_b64 v[144:147], v202 offset0:29 offset1:30
	v_pk_add_f32 v[110:111], v[110:111], v[150:151] neg_lo:[0,1] neg_hi:[0,1]
	v_pk_add_f32 v[114:115], v[114:115], v[148:149] neg_lo:[0,1] neg_hi:[0,1]
	s_wait_dscnt 0x0
	v_pk_mul_f32 v[148:149], v[144:145], v[142:143] op_sel:[0,1]
	s_delay_alu instid0(VALU_DEP_1) | instskip(SKIP_1) | instid1(VALU_DEP_1)
	v_pk_fma_f32 v[150:151], v[144:145], v[140:141], v[148:149] op_sel:[0,0,1] op_sel_hi:[1,1,0] neg_lo:[0,0,1] neg_hi:[0,0,1]
	v_pk_fma_f32 v[144:145], v[144:145], v[140:141], v[148:149] op_sel:[0,0,1] op_sel_hi:[1,0,0]
	v_mov_b32_e32 v151, v145
	v_pk_mul_f32 v[144:145], v[146:147], v[142:143] op_sel:[0,1]
	s_delay_alu instid0(VALU_DEP_1) | instskip(SKIP_1) | instid1(VALU_DEP_1)
	v_pk_fma_f32 v[148:149], v[146:147], v[140:141], v[144:145] op_sel:[0,0,1] op_sel_hi:[1,1,0] neg_lo:[0,0,1] neg_hi:[0,0,1]
	v_pk_fma_f32 v[144:145], v[146:147], v[140:141], v[144:145] op_sel:[0,0,1] op_sel_hi:[1,0,0]
	v_mov_b32_e32 v149, v145
	ds_load_2addr_b64 v[144:147], v202 offset0:31 offset1:32
	v_pk_add_f32 v[124:125], v[124:125], v[150:151] neg_lo:[0,1] neg_hi:[0,1]
	v_pk_add_f32 v[122:123], v[122:123], v[148:149] neg_lo:[0,1] neg_hi:[0,1]
	s_wait_dscnt 0x0
	v_mul_f32_e32 v142, v145, v143
	s_delay_alu instid0(VALU_DEP_1) | instskip(SKIP_1) | instid1(VALU_DEP_1)
	v_pk_fma_f32 v[148:149], v[144:145], v[44:45], v[142:143] op_sel_hi:[1,1,0] neg_lo:[0,0,1] neg_hi:[0,0,1]
	v_dual_mul_f32 v142, v145, v140 :: v_dual_mul_f32 v140, v147, v140
	v_pk_fma_f32 v[144:145], v[144:145], v[44:45], v[142:143] op_sel:[1,0,0] op_sel_hi:[0,1,0]
	v_dual_mov_b32 v144, v147 :: v_dual_mul_f32 v142, v147, v143
	s_delay_alu instid0(VALU_DEP_2) | instskip(NEXT) | instid1(VALU_DEP_2)
	v_dual_mov_b32 v149, v145 :: v_dual_mov_b32 v145, v146
	v_pk_fma_f32 v[142:143], v[146:147], v[44:45], v[142:143] op_sel_hi:[1,1,0] neg_lo:[0,0,1] neg_hi:[0,0,1]
	s_delay_alu instid0(VALU_DEP_2) | instskip(NEXT) | instid1(VALU_DEP_3)
	v_pk_add_f32 v[120:121], v[120:121], v[148:149] neg_lo:[0,1] neg_hi:[0,1]
	v_pk_fma_f32 v[140:141], v[144:145], v[44:45], v[140:141] op_sel_hi:[1,1,0]
	s_delay_alu instid0(VALU_DEP_1) | instskip(NEXT) | instid1(VALU_DEP_1)
	v_mov_b32_e32 v143, v141
	v_pk_add_f32 v[130:131], v[130:131], v[142:143] neg_lo:[0,1] neg_hi:[0,1]
.LBB65_28:
	s_or_b32 exec_lo, exec_lo, s1
	s_delay_alu instid0(SALU_CYCLE_1)
	s_mov_b32 s2, exec_lo
	s_wait_dscnt 0x0
	s_barrier_signal -1
	s_barrier_wait -1
	v_cmpx_eq_u32_e32 3, v200
	s_cbranch_execz .LBB65_35
; %bb.29:
	v_dual_mov_b32 v140, v24 :: v_dual_mov_b32 v141, v25
	v_dual_mov_b32 v142, v72 :: v_dual_mov_b32 v143, v73
	ds_store_b64 v201, v[42:43]
	ds_store_2addr_b64 v202, v[140:141], v[142:143] offset0:4 offset1:5
	v_dual_mov_b32 v140, v74 :: v_dual_mov_b32 v141, v75
	v_dual_mov_b32 v142, v22 :: v_dual_mov_b32 v143, v23
	ds_store_2addr_b64 v202, v[140:141], v[142:143] offset0:6 offset1:7
	v_dual_mov_b32 v140, v38 :: v_dual_mov_b32 v141, v39
	v_dual_mov_b32 v142, v34 :: v_dual_mov_b32 v143, v35
	;; [unrolled: 3-line block ×13, first 2 shown]
	ds_store_2addr_b64 v202, v[140:141], v[142:143] offset0:30 offset1:31
	ds_store_b64 v202, v[130:131] offset:256
	ds_load_b64 v[140:141], v201
	s_wait_dscnt 0x0
	v_cmp_neq_f32_e32 vcc_lo, 0, v140
	v_cmp_neq_f32_e64 s1, 0, v141
	s_or_b32 s1, vcc_lo, s1
	s_delay_alu instid0(SALU_CYCLE_1)
	s_and_b32 exec_lo, exec_lo, s1
	s_cbranch_execz .LBB65_35
; %bb.30:
	v_cmp_ngt_f32_e64 s1, |v140|, |v141|
                                        ; implicit-def: $vgpr142_vgpr143
	s_and_saveexec_b32 s4, s1
	s_delay_alu instid0(SALU_CYCLE_1)
	s_xor_b32 s1, exec_lo, s4
	s_cbranch_execz .LBB65_32
; %bb.31:
	v_div_scale_f32 v142, null, v141, v141, v140
	v_div_scale_f32 v145, vcc_lo, v140, v141, v140
	s_delay_alu instid0(VALU_DEP_2) | instskip(SKIP_1) | instid1(TRANS32_DEP_1)
	v_rcp_f32_e32 v143, v142
	v_nop
	v_fma_f32 v144, -v142, v143, 1.0
	s_delay_alu instid0(VALU_DEP_1) | instskip(NEXT) | instid1(VALU_DEP_1)
	v_fmac_f32_e32 v143, v144, v143
	v_mul_f32_e32 v144, v145, v143
	s_delay_alu instid0(VALU_DEP_1) | instskip(NEXT) | instid1(VALU_DEP_1)
	v_fma_f32 v146, -v142, v144, v145
	v_fmac_f32_e32 v144, v146, v143
	s_delay_alu instid0(VALU_DEP_1) | instskip(NEXT) | instid1(VALU_DEP_1)
	v_fma_f32 v142, -v142, v144, v145
	v_div_fmas_f32 v142, v142, v143, v144
	s_delay_alu instid0(VALU_DEP_1) | instskip(NEXT) | instid1(VALU_DEP_1)
	v_div_fixup_f32 v142, v142, v141, v140
	v_fmac_f32_e32 v141, v140, v142
	s_delay_alu instid0(VALU_DEP_1) | instskip(SKIP_1) | instid1(VALU_DEP_2)
	v_div_scale_f32 v140, null, v141, v141, 1.0
	v_div_scale_f32 v145, vcc_lo, 1.0, v141, 1.0
	v_rcp_f32_e32 v143, v140
	v_nop
	s_delay_alu instid0(TRANS32_DEP_1) | instskip(NEXT) | instid1(VALU_DEP_1)
	v_fma_f32 v144, -v140, v143, 1.0
	v_fmac_f32_e32 v143, v144, v143
	s_delay_alu instid0(VALU_DEP_1) | instskip(NEXT) | instid1(VALU_DEP_1)
	v_mul_f32_e32 v144, v145, v143
	v_fma_f32 v146, -v140, v144, v145
	s_delay_alu instid0(VALU_DEP_1) | instskip(NEXT) | instid1(VALU_DEP_1)
	v_fmac_f32_e32 v144, v146, v143
	v_fma_f32 v140, -v140, v144, v145
	s_delay_alu instid0(VALU_DEP_1) | instskip(NEXT) | instid1(VALU_DEP_1)
	v_div_fmas_f32 v140, v140, v143, v144
	v_div_fixup_f32 v140, v140, v141, 1.0
	s_delay_alu instid0(VALU_DEP_1)
	v_mul_f32_e32 v142, v142, v140
	v_xor_b32_e32 v143, 0x80000000, v140
                                        ; implicit-def: $vgpr140_vgpr141
.LBB65_32:
	s_and_not1_saveexec_b32 s1, s1
	s_cbranch_execz .LBB65_34
; %bb.33:
	v_div_scale_f32 v142, null, v140, v140, v141
	v_div_scale_f32 v145, vcc_lo, v141, v140, v141
	s_delay_alu instid0(VALU_DEP_2) | instskip(SKIP_1) | instid1(TRANS32_DEP_1)
	v_rcp_f32_e32 v143, v142
	v_nop
	v_fma_f32 v144, -v142, v143, 1.0
	s_delay_alu instid0(VALU_DEP_1) | instskip(NEXT) | instid1(VALU_DEP_1)
	v_fmac_f32_e32 v143, v144, v143
	v_mul_f32_e32 v144, v145, v143
	s_delay_alu instid0(VALU_DEP_1) | instskip(NEXT) | instid1(VALU_DEP_1)
	v_fma_f32 v146, -v142, v144, v145
	v_fmac_f32_e32 v144, v146, v143
	s_delay_alu instid0(VALU_DEP_1) | instskip(NEXT) | instid1(VALU_DEP_1)
	v_fma_f32 v142, -v142, v144, v145
	v_div_fmas_f32 v142, v142, v143, v144
	s_delay_alu instid0(VALU_DEP_1) | instskip(NEXT) | instid1(VALU_DEP_1)
	v_div_fixup_f32 v143, v142, v140, v141
	v_fmac_f32_e32 v140, v141, v143
	s_delay_alu instid0(VALU_DEP_1) | instskip(NEXT) | instid1(VALU_DEP_1)
	v_div_scale_f32 v141, null, v140, v140, 1.0
	v_rcp_f32_e32 v142, v141
	v_nop
	s_delay_alu instid0(TRANS32_DEP_1) | instskip(NEXT) | instid1(VALU_DEP_1)
	v_fma_f32 v144, -v141, v142, 1.0
	v_fmac_f32_e32 v142, v144, v142
	v_div_scale_f32 v144, vcc_lo, 1.0, v140, 1.0
	s_delay_alu instid0(VALU_DEP_1) | instskip(NEXT) | instid1(VALU_DEP_1)
	v_mul_f32_e32 v145, v144, v142
	v_fma_f32 v146, -v141, v145, v144
	s_delay_alu instid0(VALU_DEP_1) | instskip(NEXT) | instid1(VALU_DEP_1)
	v_fmac_f32_e32 v145, v146, v142
	v_fma_f32 v141, -v141, v145, v144
	s_delay_alu instid0(VALU_DEP_1) | instskip(NEXT) | instid1(VALU_DEP_1)
	v_div_fmas_f32 v141, v141, v142, v145
	v_div_fixup_f32 v142, v141, v140, 1.0
	s_delay_alu instid0(VALU_DEP_1)
	v_mul_f32_e64 v143, v143, -v142
.LBB65_34:
	s_or_b32 exec_lo, exec_lo, s1
	ds_store_b64 v201, v[142:143]
.LBB65_35:
	s_or_b32 exec_lo, exec_lo, s2
	s_wait_dscnt 0x0
	s_barrier_signal -1
	s_barrier_wait -1
	ds_load_b64 v[140:141], v201
	s_mov_b32 s1, exec_lo
	v_cmpx_lt_u32_e32 3, v200
	s_cbranch_execz .LBB65_37
; %bb.36:
	ds_load_2addr_b64 v[146:149], v202 offset0:4 offset1:5
	s_wait_dscnt 0x1
	v_pk_mul_f32 v[144:145], v[140:141], v[42:43] op_sel:[1,1] op_sel_hi:[0,1]
	s_delay_alu instid0(VALU_DEP_1) | instskip(SKIP_1) | instid1(VALU_DEP_1)
	v_pk_fma_f32 v[142:143], v[140:141], v[42:43], v[144:145] op_sel_hi:[1,0,1] neg_lo:[0,0,1] neg_hi:[0,0,1]
	v_pk_fma_f32 v[144:145], v[140:141], v[42:43], v[144:145] op_sel_hi:[1,0,1]
	v_dual_mov_b32 v42, v142 :: v_dual_mov_b32 v43, v145
	s_wait_dscnt 0x0
	s_delay_alu instid0(VALU_DEP_2) | instskip(NEXT) | instid1(VALU_DEP_1)
	v_pk_mul_f32 v[150:151], v[146:147], v[144:145] op_sel:[0,1]
	v_pk_fma_f32 v[152:153], v[146:147], v[142:143], v[150:151] op_sel:[0,0,1] op_sel_hi:[1,1,0] neg_lo:[0,0,1] neg_hi:[0,0,1]
	v_pk_fma_f32 v[146:147], v[146:147], v[142:143], v[150:151] op_sel:[0,0,1] op_sel_hi:[1,0,0]
	s_delay_alu instid0(VALU_DEP_1) | instskip(SKIP_1) | instid1(VALU_DEP_1)
	v_mov_b32_e32 v153, v147
	v_pk_mul_f32 v[146:147], v[148:149], v[144:145] op_sel:[0,1]
	v_pk_fma_f32 v[150:151], v[148:149], v[142:143], v[146:147] op_sel:[0,0,1] op_sel_hi:[1,1,0] neg_lo:[0,0,1] neg_hi:[0,0,1]
	v_pk_fma_f32 v[146:147], v[148:149], v[142:143], v[146:147] op_sel:[0,0,1] op_sel_hi:[1,0,0]
	s_delay_alu instid0(VALU_DEP_1)
	v_mov_b32_e32 v151, v147
	ds_load_2addr_b64 v[146:149], v202 offset0:6 offset1:7
	v_pk_add_f32 v[24:25], v[24:25], v[152:153] neg_lo:[0,1] neg_hi:[0,1]
	v_pk_add_f32 v[72:73], v[72:73], v[150:151] neg_lo:[0,1] neg_hi:[0,1]
	s_wait_dscnt 0x0
	v_pk_mul_f32 v[150:151], v[146:147], v[144:145] op_sel:[0,1]
	s_delay_alu instid0(VALU_DEP_1) | instskip(SKIP_2) | instid1(VALU_DEP_2)
	v_pk_fma_f32 v[152:153], v[146:147], v[142:143], v[150:151] op_sel:[0,0,1] op_sel_hi:[1,1,0] neg_lo:[0,0,1] neg_hi:[0,0,1]
	v_pk_fma_f32 v[146:147], v[146:147], v[142:143], v[150:151] op_sel:[0,0,1] op_sel_hi:[1,0,0]
	v_dual_mul_f32 v150, v149, v145 :: v_dual_mov_b32 v146, v149
	v_dual_mov_b32 v153, v147 :: v_dual_mov_b32 v147, v148
	s_delay_alu instid0(VALU_DEP_2) | instskip(SKIP_1) | instid1(VALU_DEP_3)
	v_pk_fma_f32 v[150:151], v[148:149], v[42:43], v[150:151] op_sel_hi:[1,1,0] neg_lo:[0,0,1] neg_hi:[0,0,1]
	v_mul_f32_e32 v148, v149, v142
	v_pk_add_f32 v[74:75], v[74:75], v[152:153] neg_lo:[0,1] neg_hi:[0,1]
	s_delay_alu instid0(VALU_DEP_2) | instskip(NEXT) | instid1(VALU_DEP_1)
	v_pk_fma_f32 v[146:147], v[146:147], v[42:43], v[148:149] op_sel_hi:[1,1,0]
	v_mov_b32_e32 v151, v147
	ds_load_2addr_b64 v[146:149], v202 offset0:8 offset1:9
	v_pk_add_f32 v[22:23], v[22:23], v[150:151] neg_lo:[0,1] neg_hi:[0,1]
	s_wait_dscnt 0x0
	v_pk_mul_f32 v[150:151], v[146:147], v[144:145] op_sel:[0,1]
	s_delay_alu instid0(VALU_DEP_1) | instskip(SKIP_1) | instid1(VALU_DEP_1)
	v_pk_fma_f32 v[152:153], v[146:147], v[142:143], v[150:151] op_sel:[0,0,1] op_sel_hi:[1,1,0] neg_lo:[0,0,1] neg_hi:[0,0,1]
	v_pk_fma_f32 v[146:147], v[146:147], v[142:143], v[150:151] op_sel:[0,0,1] op_sel_hi:[1,0,0]
	v_mov_b32_e32 v153, v147
	v_pk_mul_f32 v[146:147], v[148:149], v[144:145] op_sel:[0,1]
	s_delay_alu instid0(VALU_DEP_1) | instskip(SKIP_1) | instid1(VALU_DEP_1)
	v_pk_fma_f32 v[150:151], v[148:149], v[142:143], v[146:147] op_sel:[0,0,1] op_sel_hi:[1,1,0] neg_lo:[0,0,1] neg_hi:[0,0,1]
	v_pk_fma_f32 v[146:147], v[148:149], v[142:143], v[146:147] op_sel:[0,0,1] op_sel_hi:[1,0,0]
	v_mov_b32_e32 v151, v147
	ds_load_2addr_b64 v[146:149], v202 offset0:10 offset1:11
	v_pk_add_f32 v[38:39], v[38:39], v[152:153] neg_lo:[0,1] neg_hi:[0,1]
	v_pk_add_f32 v[34:35], v[34:35], v[150:151] neg_lo:[0,1] neg_hi:[0,1]
	s_wait_dscnt 0x0
	v_pk_mul_f32 v[150:151], v[146:147], v[144:145] op_sel:[0,1]
	s_delay_alu instid0(VALU_DEP_1) | instskip(SKIP_1) | instid1(VALU_DEP_1)
	v_pk_fma_f32 v[152:153], v[146:147], v[142:143], v[150:151] op_sel:[0,0,1] op_sel_hi:[1,1,0] neg_lo:[0,0,1] neg_hi:[0,0,1]
	v_pk_fma_f32 v[146:147], v[146:147], v[142:143], v[150:151] op_sel:[0,0,1] op_sel_hi:[1,0,0]
	v_mov_b32_e32 v153, v147
	v_pk_mul_f32 v[146:147], v[148:149], v[144:145] op_sel:[0,1]
	s_delay_alu instid0(VALU_DEP_1) | instskip(SKIP_1) | instid1(VALU_DEP_1)
	v_pk_fma_f32 v[150:151], v[148:149], v[142:143], v[146:147] op_sel:[0,0,1] op_sel_hi:[1,1,0] neg_lo:[0,0,1] neg_hi:[0,0,1]
	v_pk_fma_f32 v[146:147], v[148:149], v[142:143], v[146:147] op_sel:[0,0,1] op_sel_hi:[1,0,0]
	v_mov_b32_e32 v151, v147
	ds_load_2addr_b64 v[146:149], v202 offset0:12 offset1:13
	v_pk_add_f32 v[36:37], v[36:37], v[152:153] neg_lo:[0,1] neg_hi:[0,1]
	v_pk_add_f32 v[32:33], v[32:33], v[150:151] neg_lo:[0,1] neg_hi:[0,1]
	s_wait_dscnt 0x0
	v_dual_mul_f32 v150, v147, v145 :: v_dual_mul_f32 v152, v147, v142
	s_delay_alu instid0(VALU_DEP_1) | instskip(NEXT) | instid1(VALU_DEP_2)
	v_pk_fma_f32 v[150:151], v[146:147], v[42:43], v[150:151] op_sel_hi:[1,1,0] neg_lo:[0,0,1] neg_hi:[0,0,1]
	v_pk_fma_f32 v[146:147], v[146:147], v[42:43], v[152:153] op_sel:[1,0,0] op_sel_hi:[0,1,0]
	s_delay_alu instid0(VALU_DEP_1) | instskip(SKIP_1) | instid1(VALU_DEP_2)
	v_mov_b32_e32 v151, v147
	v_pk_mul_f32 v[146:147], v[148:149], v[144:145] op_sel:[0,1]
	v_pk_add_f32 v[62:63], v[62:63], v[150:151] neg_lo:[0,1] neg_hi:[0,1]
	s_delay_alu instid0(VALU_DEP_2) | instskip(SKIP_1) | instid1(VALU_DEP_1)
	v_pk_fma_f32 v[150:151], v[148:149], v[142:143], v[146:147] op_sel:[0,0,1] op_sel_hi:[1,1,0] neg_lo:[0,0,1] neg_hi:[0,0,1]
	v_pk_fma_f32 v[146:147], v[148:149], v[142:143], v[146:147] op_sel:[0,0,1] op_sel_hi:[1,0,0]
	v_mov_b32_e32 v151, v147
	ds_load_2addr_b64 v[146:149], v202 offset0:14 offset1:15
	v_pk_add_f32 v[58:59], v[58:59], v[150:151] neg_lo:[0,1] neg_hi:[0,1]
	s_wait_dscnt 0x0
	v_pk_mul_f32 v[150:151], v[146:147], v[144:145] op_sel:[0,1]
	s_delay_alu instid0(VALU_DEP_1) | instskip(SKIP_1) | instid1(VALU_DEP_1)
	v_pk_fma_f32 v[152:153], v[146:147], v[142:143], v[150:151] op_sel:[0,0,1] op_sel_hi:[1,1,0] neg_lo:[0,0,1] neg_hi:[0,0,1]
	v_pk_fma_f32 v[146:147], v[146:147], v[142:143], v[150:151] op_sel:[0,0,1] op_sel_hi:[1,0,0]
	v_mov_b32_e32 v153, v147
	v_pk_mul_f32 v[146:147], v[148:149], v[144:145] op_sel:[0,1]
	s_delay_alu instid0(VALU_DEP_2) | instskip(NEXT) | instid1(VALU_DEP_2)
	v_pk_add_f32 v[60:61], v[60:61], v[152:153] neg_lo:[0,1] neg_hi:[0,1]
	v_pk_fma_f32 v[150:151], v[148:149], v[142:143], v[146:147] op_sel:[0,0,1] op_sel_hi:[1,1,0] neg_lo:[0,0,1] neg_hi:[0,0,1]
	v_pk_fma_f32 v[146:147], v[148:149], v[142:143], v[146:147] op_sel:[0,0,1] op_sel_hi:[1,0,0]
	s_delay_alu instid0(VALU_DEP_1) | instskip(SKIP_4) | instid1(VALU_DEP_1)
	v_mov_b32_e32 v151, v147
	ds_load_2addr_b64 v[146:149], v202 offset0:16 offset1:17
	v_pk_add_f32 v[56:57], v[56:57], v[150:151] neg_lo:[0,1] neg_hi:[0,1]
	s_wait_dscnt 0x0
	v_pk_mul_f32 v[150:151], v[146:147], v[144:145] op_sel:[0,1]
	v_pk_fma_f32 v[152:153], v[146:147], v[142:143], v[150:151] op_sel:[0,0,1] op_sel_hi:[1,1,0] neg_lo:[0,0,1] neg_hi:[0,0,1]
	v_pk_fma_f32 v[146:147], v[146:147], v[142:143], v[150:151] op_sel:[0,0,1] op_sel_hi:[1,0,0]
	v_dual_mul_f32 v150, v149, v145 :: v_dual_mov_b32 v146, v149
	s_delay_alu instid0(VALU_DEP_2) | instskip(NEXT) | instid1(VALU_DEP_2)
	v_dual_mov_b32 v153, v147 :: v_dual_mov_b32 v147, v148
	v_pk_fma_f32 v[150:151], v[148:149], v[42:43], v[150:151] op_sel_hi:[1,1,0] neg_lo:[0,0,1] neg_hi:[0,0,1]
	v_mul_f32_e32 v148, v149, v142
	s_delay_alu instid0(VALU_DEP_3) | instskip(NEXT) | instid1(VALU_DEP_2)
	v_pk_add_f32 v[82:83], v[82:83], v[152:153] neg_lo:[0,1] neg_hi:[0,1]
	v_pk_fma_f32 v[146:147], v[146:147], v[42:43], v[148:149] op_sel_hi:[1,1,0]
	s_delay_alu instid0(VALU_DEP_1) | instskip(SKIP_4) | instid1(VALU_DEP_1)
	v_mov_b32_e32 v151, v147
	ds_load_2addr_b64 v[146:149], v202 offset0:18 offset1:19
	v_pk_add_f32 v[78:79], v[78:79], v[150:151] neg_lo:[0,1] neg_hi:[0,1]
	s_wait_dscnt 0x0
	v_pk_mul_f32 v[150:151], v[146:147], v[144:145] op_sel:[0,1]
	v_pk_fma_f32 v[152:153], v[146:147], v[142:143], v[150:151] op_sel:[0,0,1] op_sel_hi:[1,1,0] neg_lo:[0,0,1] neg_hi:[0,0,1]
	v_pk_fma_f32 v[146:147], v[146:147], v[142:143], v[150:151] op_sel:[0,0,1] op_sel_hi:[1,0,0]
	s_delay_alu instid0(VALU_DEP_1) | instskip(SKIP_1) | instid1(VALU_DEP_1)
	v_mov_b32_e32 v153, v147
	v_pk_mul_f32 v[146:147], v[148:149], v[144:145] op_sel:[0,1]
	v_pk_fma_f32 v[150:151], v[148:149], v[142:143], v[146:147] op_sel:[0,0,1] op_sel_hi:[1,1,0] neg_lo:[0,0,1] neg_hi:[0,0,1]
	v_pk_fma_f32 v[146:147], v[148:149], v[142:143], v[146:147] op_sel:[0,0,1] op_sel_hi:[1,0,0]
	s_delay_alu instid0(VALU_DEP_1)
	v_mov_b32_e32 v151, v147
	ds_load_2addr_b64 v[146:149], v202 offset0:20 offset1:21
	v_pk_add_f32 v[80:81], v[80:81], v[152:153] neg_lo:[0,1] neg_hi:[0,1]
	v_pk_add_f32 v[76:77], v[76:77], v[150:151] neg_lo:[0,1] neg_hi:[0,1]
	s_wait_dscnt 0x0
	v_pk_mul_f32 v[150:151], v[146:147], v[144:145] op_sel:[0,1]
	s_delay_alu instid0(VALU_DEP_1) | instskip(SKIP_1) | instid1(VALU_DEP_1)
	v_pk_fma_f32 v[152:153], v[146:147], v[142:143], v[150:151] op_sel:[0,0,1] op_sel_hi:[1,1,0] neg_lo:[0,0,1] neg_hi:[0,0,1]
	v_pk_fma_f32 v[146:147], v[146:147], v[142:143], v[150:151] op_sel:[0,0,1] op_sel_hi:[1,0,0]
	v_mov_b32_e32 v153, v147
	v_pk_mul_f32 v[146:147], v[148:149], v[144:145] op_sel:[0,1]
	s_delay_alu instid0(VALU_DEP_1) | instskip(SKIP_1) | instid1(VALU_DEP_1)
	v_pk_fma_f32 v[150:151], v[148:149], v[142:143], v[146:147] op_sel:[0,0,1] op_sel_hi:[1,1,0] neg_lo:[0,0,1] neg_hi:[0,0,1]
	v_pk_fma_f32 v[146:147], v[148:149], v[142:143], v[146:147] op_sel:[0,0,1] op_sel_hi:[1,0,0]
	v_mov_b32_e32 v151, v147
	ds_load_2addr_b64 v[146:149], v202 offset0:22 offset1:23
	v_pk_add_f32 v[98:99], v[98:99], v[152:153] neg_lo:[0,1] neg_hi:[0,1]
	v_pk_add_f32 v[132:133], v[132:133], v[150:151] neg_lo:[0,1] neg_hi:[0,1]
	s_wait_dscnt 0x0
	v_dual_mul_f32 v150, v147, v145 :: v_dual_mul_f32 v152, v147, v142
	s_delay_alu instid0(VALU_DEP_1) | instskip(NEXT) | instid1(VALU_DEP_2)
	v_pk_fma_f32 v[150:151], v[146:147], v[42:43], v[150:151] op_sel_hi:[1,1,0] neg_lo:[0,0,1] neg_hi:[0,0,1]
	v_pk_fma_f32 v[146:147], v[146:147], v[42:43], v[152:153] op_sel:[1,0,0] op_sel_hi:[0,1,0]
	s_delay_alu instid0(VALU_DEP_1) | instskip(SKIP_1) | instid1(VALU_DEP_2)
	v_mov_b32_e32 v151, v147
	v_pk_mul_f32 v[146:147], v[148:149], v[144:145] op_sel:[0,1]
	v_pk_add_f32 v[128:129], v[128:129], v[150:151] neg_lo:[0,1] neg_hi:[0,1]
	s_delay_alu instid0(VALU_DEP_2) | instskip(SKIP_1) | instid1(VALU_DEP_1)
	v_pk_fma_f32 v[150:151], v[148:149], v[142:143], v[146:147] op_sel:[0,0,1] op_sel_hi:[1,1,0] neg_lo:[0,0,1] neg_hi:[0,0,1]
	v_pk_fma_f32 v[146:147], v[148:149], v[142:143], v[146:147] op_sel:[0,0,1] op_sel_hi:[1,0,0]
	v_mov_b32_e32 v151, v147
	ds_load_2addr_b64 v[146:149], v202 offset0:24 offset1:25
	v_pk_add_f32 v[126:127], v[126:127], v[150:151] neg_lo:[0,1] neg_hi:[0,1]
	s_wait_dscnt 0x0
	v_pk_mul_f32 v[150:151], v[146:147], v[144:145] op_sel:[0,1]
	s_delay_alu instid0(VALU_DEP_1) | instskip(SKIP_1) | instid1(VALU_DEP_1)
	v_pk_fma_f32 v[152:153], v[146:147], v[142:143], v[150:151] op_sel:[0,0,1] op_sel_hi:[1,1,0] neg_lo:[0,0,1] neg_hi:[0,0,1]
	v_pk_fma_f32 v[146:147], v[146:147], v[142:143], v[150:151] op_sel:[0,0,1] op_sel_hi:[1,0,0]
	v_mov_b32_e32 v153, v147
	v_pk_mul_f32 v[146:147], v[148:149], v[144:145] op_sel:[0,1]
	s_delay_alu instid0(VALU_DEP_2) | instskip(NEXT) | instid1(VALU_DEP_2)
	v_pk_add_f32 v[118:119], v[118:119], v[152:153] neg_lo:[0,1] neg_hi:[0,1]
	v_pk_fma_f32 v[150:151], v[148:149], v[142:143], v[146:147] op_sel:[0,0,1] op_sel_hi:[1,1,0] neg_lo:[0,0,1] neg_hi:[0,0,1]
	v_pk_fma_f32 v[146:147], v[148:149], v[142:143], v[146:147] op_sel:[0,0,1] op_sel_hi:[1,0,0]
	s_delay_alu instid0(VALU_DEP_1) | instskip(SKIP_4) | instid1(VALU_DEP_1)
	v_mov_b32_e32 v151, v147
	ds_load_2addr_b64 v[146:149], v202 offset0:26 offset1:27
	v_pk_add_f32 v[112:113], v[112:113], v[150:151] neg_lo:[0,1] neg_hi:[0,1]
	s_wait_dscnt 0x0
	v_pk_mul_f32 v[150:151], v[146:147], v[144:145] op_sel:[0,1]
	v_pk_fma_f32 v[152:153], v[146:147], v[142:143], v[150:151] op_sel:[0,0,1] op_sel_hi:[1,1,0] neg_lo:[0,0,1] neg_hi:[0,0,1]
	v_pk_fma_f32 v[146:147], v[146:147], v[142:143], v[150:151] op_sel:[0,0,1] op_sel_hi:[1,0,0]
	v_dual_mul_f32 v150, v149, v145 :: v_dual_mov_b32 v146, v149
	s_delay_alu instid0(VALU_DEP_2) | instskip(NEXT) | instid1(VALU_DEP_2)
	v_dual_mov_b32 v153, v147 :: v_dual_mov_b32 v147, v148
	v_pk_fma_f32 v[150:151], v[148:149], v[42:43], v[150:151] op_sel_hi:[1,1,0] neg_lo:[0,0,1] neg_hi:[0,0,1]
	v_mul_f32_e32 v148, v149, v142
	s_delay_alu instid0(VALU_DEP_3) | instskip(NEXT) | instid1(VALU_DEP_2)
	v_pk_add_f32 v[116:117], v[116:117], v[152:153] neg_lo:[0,1] neg_hi:[0,1]
	v_pk_fma_f32 v[146:147], v[146:147], v[42:43], v[148:149] op_sel_hi:[1,1,0]
	s_delay_alu instid0(VALU_DEP_1) | instskip(SKIP_4) | instid1(VALU_DEP_1)
	v_mov_b32_e32 v151, v147
	ds_load_2addr_b64 v[146:149], v202 offset0:28 offset1:29
	v_pk_add_f32 v[110:111], v[110:111], v[150:151] neg_lo:[0,1] neg_hi:[0,1]
	s_wait_dscnt 0x0
	v_pk_mul_f32 v[150:151], v[146:147], v[144:145] op_sel:[0,1]
	v_pk_fma_f32 v[152:153], v[146:147], v[142:143], v[150:151] op_sel:[0,0,1] op_sel_hi:[1,1,0] neg_lo:[0,0,1] neg_hi:[0,0,1]
	v_pk_fma_f32 v[146:147], v[146:147], v[142:143], v[150:151] op_sel:[0,0,1] op_sel_hi:[1,0,0]
	s_delay_alu instid0(VALU_DEP_1) | instskip(SKIP_1) | instid1(VALU_DEP_1)
	v_mov_b32_e32 v153, v147
	v_pk_mul_f32 v[146:147], v[148:149], v[144:145] op_sel:[0,1]
	v_pk_fma_f32 v[150:151], v[148:149], v[142:143], v[146:147] op_sel:[0,0,1] op_sel_hi:[1,1,0] neg_lo:[0,0,1] neg_hi:[0,0,1]
	v_pk_fma_f32 v[146:147], v[148:149], v[142:143], v[146:147] op_sel:[0,0,1] op_sel_hi:[1,0,0]
	s_delay_alu instid0(VALU_DEP_1)
	v_mov_b32_e32 v151, v147
	ds_load_2addr_b64 v[146:149], v202 offset0:30 offset1:31
	v_pk_add_f32 v[114:115], v[114:115], v[152:153] neg_lo:[0,1] neg_hi:[0,1]
	v_pk_add_f32 v[124:125], v[124:125], v[150:151] neg_lo:[0,1] neg_hi:[0,1]
	s_wait_dscnt 0x0
	v_pk_mul_f32 v[150:151], v[146:147], v[144:145] op_sel:[0,1]
	s_delay_alu instid0(VALU_DEP_1) | instskip(SKIP_1) | instid1(VALU_DEP_1)
	v_pk_fma_f32 v[152:153], v[146:147], v[142:143], v[150:151] op_sel:[0,0,1] op_sel_hi:[1,1,0] neg_lo:[0,0,1] neg_hi:[0,0,1]
	v_pk_fma_f32 v[146:147], v[146:147], v[142:143], v[150:151] op_sel:[0,0,1] op_sel_hi:[1,0,0]
	v_mov_b32_e32 v153, v147
	v_pk_mul_f32 v[146:147], v[148:149], v[144:145] op_sel:[0,1]
	s_delay_alu instid0(VALU_DEP_1) | instskip(SKIP_1) | instid1(VALU_DEP_1)
	v_pk_fma_f32 v[150:151], v[148:149], v[142:143], v[146:147] op_sel:[0,0,1] op_sel_hi:[1,1,0] neg_lo:[0,0,1] neg_hi:[0,0,1]
	v_pk_fma_f32 v[146:147], v[148:149], v[142:143], v[146:147] op_sel:[0,0,1] op_sel_hi:[1,0,0]
	v_mov_b32_e32 v151, v147
	ds_load_b64 v[146:147], v202 offset:256
	v_pk_add_f32 v[122:123], v[122:123], v[152:153] neg_lo:[0,1] neg_hi:[0,1]
	v_pk_add_f32 v[120:121], v[120:121], v[150:151] neg_lo:[0,1] neg_hi:[0,1]
	s_wait_dscnt 0x0
	v_pk_mul_f32 v[144:145], v[146:147], v[144:145] op_sel:[0,1]
	s_delay_alu instid0(VALU_DEP_1) | instskip(SKIP_1) | instid1(VALU_DEP_1)
	v_pk_fma_f32 v[148:149], v[146:147], v[142:143], v[144:145] op_sel:[0,0,1] op_sel_hi:[1,1,0] neg_lo:[0,0,1] neg_hi:[0,0,1]
	v_pk_fma_f32 v[142:143], v[146:147], v[142:143], v[144:145] op_sel:[0,0,1] op_sel_hi:[1,0,0]
	v_mov_b32_e32 v149, v143
	s_delay_alu instid0(VALU_DEP_1)
	v_pk_add_f32 v[130:131], v[130:131], v[148:149] neg_lo:[0,1] neg_hi:[0,1]
.LBB65_37:
	s_or_b32 exec_lo, exec_lo, s1
	s_delay_alu instid0(SALU_CYCLE_1)
	s_mov_b32 s2, exec_lo
	s_wait_dscnt 0x0
	s_barrier_signal -1
	s_barrier_wait -1
	v_cmpx_eq_u32_e32 4, v200
	s_cbranch_execz .LBB65_44
; %bb.38:
	ds_store_b64 v201, v[24:25]
	ds_store_2addr_b64 v202, v[72:73], v[74:75] offset0:5 offset1:6
	ds_store_2addr_b64 v202, v[22:23], v[38:39] offset0:7 offset1:8
	;; [unrolled: 1-line block ×14, first 2 shown]
	ds_load_b64 v[142:143], v201
	s_wait_dscnt 0x0
	v_cmp_neq_f32_e32 vcc_lo, 0, v142
	v_cmp_neq_f32_e64 s1, 0, v143
	s_or_b32 s1, vcc_lo, s1
	s_delay_alu instid0(SALU_CYCLE_1)
	s_and_b32 exec_lo, exec_lo, s1
	s_cbranch_execz .LBB65_44
; %bb.39:
	v_cmp_ngt_f32_e64 s1, |v142|, |v143|
                                        ; implicit-def: $vgpr144_vgpr145
	s_and_saveexec_b32 s4, s1
	s_delay_alu instid0(SALU_CYCLE_1)
	s_xor_b32 s1, exec_lo, s4
	s_cbranch_execz .LBB65_41
; %bb.40:
	v_div_scale_f32 v144, null, v143, v143, v142
	v_div_scale_f32 v147, vcc_lo, v142, v143, v142
	s_delay_alu instid0(VALU_DEP_2) | instskip(SKIP_1) | instid1(TRANS32_DEP_1)
	v_rcp_f32_e32 v145, v144
	v_nop
	v_fma_f32 v146, -v144, v145, 1.0
	s_delay_alu instid0(VALU_DEP_1) | instskip(NEXT) | instid1(VALU_DEP_1)
	v_fmac_f32_e32 v145, v146, v145
	v_mul_f32_e32 v146, v147, v145
	s_delay_alu instid0(VALU_DEP_1) | instskip(NEXT) | instid1(VALU_DEP_1)
	v_fma_f32 v148, -v144, v146, v147
	v_fmac_f32_e32 v146, v148, v145
	s_delay_alu instid0(VALU_DEP_1) | instskip(NEXT) | instid1(VALU_DEP_1)
	v_fma_f32 v144, -v144, v146, v147
	v_div_fmas_f32 v144, v144, v145, v146
	s_delay_alu instid0(VALU_DEP_1) | instskip(NEXT) | instid1(VALU_DEP_1)
	v_div_fixup_f32 v144, v144, v143, v142
	v_fmac_f32_e32 v143, v142, v144
	s_delay_alu instid0(VALU_DEP_1) | instskip(SKIP_1) | instid1(VALU_DEP_2)
	v_div_scale_f32 v142, null, v143, v143, 1.0
	v_div_scale_f32 v147, vcc_lo, 1.0, v143, 1.0
	v_rcp_f32_e32 v145, v142
	v_nop
	s_delay_alu instid0(TRANS32_DEP_1) | instskip(NEXT) | instid1(VALU_DEP_1)
	v_fma_f32 v146, -v142, v145, 1.0
	v_fmac_f32_e32 v145, v146, v145
	s_delay_alu instid0(VALU_DEP_1) | instskip(NEXT) | instid1(VALU_DEP_1)
	v_mul_f32_e32 v146, v147, v145
	v_fma_f32 v148, -v142, v146, v147
	s_delay_alu instid0(VALU_DEP_1) | instskip(NEXT) | instid1(VALU_DEP_1)
	v_fmac_f32_e32 v146, v148, v145
	v_fma_f32 v142, -v142, v146, v147
	s_delay_alu instid0(VALU_DEP_1) | instskip(NEXT) | instid1(VALU_DEP_1)
	v_div_fmas_f32 v142, v142, v145, v146
	v_div_fixup_f32 v142, v142, v143, 1.0
	s_delay_alu instid0(VALU_DEP_1)
	v_mul_f32_e32 v144, v144, v142
	v_xor_b32_e32 v145, 0x80000000, v142
                                        ; implicit-def: $vgpr142_vgpr143
.LBB65_41:
	s_and_not1_saveexec_b32 s1, s1
	s_cbranch_execz .LBB65_43
; %bb.42:
	v_div_scale_f32 v144, null, v142, v142, v143
	v_div_scale_f32 v147, vcc_lo, v143, v142, v143
	s_delay_alu instid0(VALU_DEP_2) | instskip(SKIP_1) | instid1(TRANS32_DEP_1)
	v_rcp_f32_e32 v145, v144
	v_nop
	v_fma_f32 v146, -v144, v145, 1.0
	s_delay_alu instid0(VALU_DEP_1) | instskip(NEXT) | instid1(VALU_DEP_1)
	v_fmac_f32_e32 v145, v146, v145
	v_mul_f32_e32 v146, v147, v145
	s_delay_alu instid0(VALU_DEP_1) | instskip(NEXT) | instid1(VALU_DEP_1)
	v_fma_f32 v148, -v144, v146, v147
	v_fmac_f32_e32 v146, v148, v145
	s_delay_alu instid0(VALU_DEP_1) | instskip(NEXT) | instid1(VALU_DEP_1)
	v_fma_f32 v144, -v144, v146, v147
	v_div_fmas_f32 v144, v144, v145, v146
	s_delay_alu instid0(VALU_DEP_1) | instskip(NEXT) | instid1(VALU_DEP_1)
	v_div_fixup_f32 v145, v144, v142, v143
	v_fmac_f32_e32 v142, v143, v145
	s_delay_alu instid0(VALU_DEP_1) | instskip(NEXT) | instid1(VALU_DEP_1)
	v_div_scale_f32 v143, null, v142, v142, 1.0
	v_rcp_f32_e32 v144, v143
	v_nop
	s_delay_alu instid0(TRANS32_DEP_1) | instskip(NEXT) | instid1(VALU_DEP_1)
	v_fma_f32 v146, -v143, v144, 1.0
	v_fmac_f32_e32 v144, v146, v144
	v_div_scale_f32 v146, vcc_lo, 1.0, v142, 1.0
	s_delay_alu instid0(VALU_DEP_1) | instskip(NEXT) | instid1(VALU_DEP_1)
	v_mul_f32_e32 v147, v146, v144
	v_fma_f32 v148, -v143, v147, v146
	s_delay_alu instid0(VALU_DEP_1) | instskip(NEXT) | instid1(VALU_DEP_1)
	v_fmac_f32_e32 v147, v148, v144
	v_fma_f32 v143, -v143, v147, v146
	s_delay_alu instid0(VALU_DEP_1) | instskip(NEXT) | instid1(VALU_DEP_1)
	v_div_fmas_f32 v143, v143, v144, v147
	v_div_fixup_f32 v144, v143, v142, 1.0
	s_delay_alu instid0(VALU_DEP_1)
	v_mul_f32_e64 v145, v145, -v144
.LBB65_43:
	s_or_b32 exec_lo, exec_lo, s1
	ds_store_b64 v201, v[144:145]
.LBB65_44:
	s_or_b32 exec_lo, exec_lo, s2
	s_wait_dscnt 0x0
	s_barrier_signal -1
	s_barrier_wait -1
	ds_load_b64 v[142:143], v201
	s_mov_b32 s1, exec_lo
	v_cmpx_lt_u32_e32 4, v200
	s_cbranch_execz .LBB65_46
; %bb.45:
	ds_load_2addr_b64 v[148:151], v202 offset0:5 offset1:6
	s_wait_dscnt 0x1
	v_pk_mul_f32 v[146:147], v[142:143], v[24:25] op_sel:[1,1] op_sel_hi:[0,1]
	s_delay_alu instid0(VALU_DEP_1) | instskip(SKIP_1) | instid1(VALU_DEP_1)
	v_pk_fma_f32 v[144:145], v[142:143], v[24:25], v[146:147] op_sel_hi:[1,0,1] neg_lo:[0,0,1] neg_hi:[0,0,1]
	v_pk_fma_f32 v[146:147], v[142:143], v[24:25], v[146:147] op_sel_hi:[1,0,1]
	v_dual_mov_b32 v24, v144 :: v_dual_mov_b32 v25, v147
	s_wait_dscnt 0x0
	s_delay_alu instid0(VALU_DEP_2) | instskip(NEXT) | instid1(VALU_DEP_1)
	v_pk_mul_f32 v[152:153], v[148:149], v[146:147] op_sel:[0,1]
	v_pk_fma_f32 v[154:155], v[148:149], v[144:145], v[152:153] op_sel:[0,0,1] op_sel_hi:[1,1,0] neg_lo:[0,0,1] neg_hi:[0,0,1]
	v_pk_fma_f32 v[148:149], v[148:149], v[144:145], v[152:153] op_sel:[0,0,1] op_sel_hi:[1,0,0]
	s_delay_alu instid0(VALU_DEP_1) | instskip(SKIP_1) | instid1(VALU_DEP_1)
	v_mov_b32_e32 v155, v149
	v_pk_mul_f32 v[148:149], v[150:151], v[146:147] op_sel:[0,1]
	v_pk_fma_f32 v[152:153], v[150:151], v[144:145], v[148:149] op_sel:[0,0,1] op_sel_hi:[1,1,0] neg_lo:[0,0,1] neg_hi:[0,0,1]
	v_pk_fma_f32 v[148:149], v[150:151], v[144:145], v[148:149] op_sel:[0,0,1] op_sel_hi:[1,0,0]
	s_delay_alu instid0(VALU_DEP_1)
	v_mov_b32_e32 v153, v149
	ds_load_2addr_b64 v[148:151], v202 offset0:7 offset1:8
	v_pk_add_f32 v[72:73], v[72:73], v[154:155] neg_lo:[0,1] neg_hi:[0,1]
	v_pk_add_f32 v[74:75], v[74:75], v[152:153] neg_lo:[0,1] neg_hi:[0,1]
	s_wait_dscnt 0x0
	v_pk_mul_f32 v[152:153], v[148:149], v[146:147] op_sel:[0,1]
	s_delay_alu instid0(VALU_DEP_1) | instskip(SKIP_2) | instid1(VALU_DEP_2)
	v_pk_fma_f32 v[154:155], v[148:149], v[144:145], v[152:153] op_sel:[0,0,1] op_sel_hi:[1,1,0] neg_lo:[0,0,1] neg_hi:[0,0,1]
	v_pk_fma_f32 v[148:149], v[148:149], v[144:145], v[152:153] op_sel:[0,0,1] op_sel_hi:[1,0,0]
	v_dual_mul_f32 v152, v151, v147 :: v_dual_mov_b32 v148, v151
	v_dual_mov_b32 v155, v149 :: v_dual_mov_b32 v149, v150
	s_delay_alu instid0(VALU_DEP_2) | instskip(SKIP_1) | instid1(VALU_DEP_3)
	v_pk_fma_f32 v[152:153], v[150:151], v[24:25], v[152:153] op_sel_hi:[1,1,0] neg_lo:[0,0,1] neg_hi:[0,0,1]
	v_mul_f32_e32 v150, v151, v144
	v_pk_add_f32 v[22:23], v[22:23], v[154:155] neg_lo:[0,1] neg_hi:[0,1]
	s_delay_alu instid0(VALU_DEP_2) | instskip(NEXT) | instid1(VALU_DEP_1)
	v_pk_fma_f32 v[148:149], v[148:149], v[24:25], v[150:151] op_sel_hi:[1,1,0]
	v_mov_b32_e32 v153, v149
	ds_load_2addr_b64 v[148:151], v202 offset0:9 offset1:10
	v_pk_add_f32 v[38:39], v[38:39], v[152:153] neg_lo:[0,1] neg_hi:[0,1]
	s_wait_dscnt 0x0
	v_pk_mul_f32 v[152:153], v[148:149], v[146:147] op_sel:[0,1]
	s_delay_alu instid0(VALU_DEP_1) | instskip(SKIP_1) | instid1(VALU_DEP_1)
	v_pk_fma_f32 v[154:155], v[148:149], v[144:145], v[152:153] op_sel:[0,0,1] op_sel_hi:[1,1,0] neg_lo:[0,0,1] neg_hi:[0,0,1]
	v_pk_fma_f32 v[148:149], v[148:149], v[144:145], v[152:153] op_sel:[0,0,1] op_sel_hi:[1,0,0]
	v_mov_b32_e32 v155, v149
	v_pk_mul_f32 v[148:149], v[150:151], v[146:147] op_sel:[0,1]
	s_delay_alu instid0(VALU_DEP_1) | instskip(SKIP_1) | instid1(VALU_DEP_1)
	v_pk_fma_f32 v[152:153], v[150:151], v[144:145], v[148:149] op_sel:[0,0,1] op_sel_hi:[1,1,0] neg_lo:[0,0,1] neg_hi:[0,0,1]
	v_pk_fma_f32 v[148:149], v[150:151], v[144:145], v[148:149] op_sel:[0,0,1] op_sel_hi:[1,0,0]
	v_mov_b32_e32 v153, v149
	ds_load_2addr_b64 v[148:151], v202 offset0:11 offset1:12
	v_pk_add_f32 v[34:35], v[34:35], v[154:155] neg_lo:[0,1] neg_hi:[0,1]
	v_pk_add_f32 v[36:37], v[36:37], v[152:153] neg_lo:[0,1] neg_hi:[0,1]
	s_wait_dscnt 0x0
	v_pk_mul_f32 v[152:153], v[148:149], v[146:147] op_sel:[0,1]
	s_delay_alu instid0(VALU_DEP_1) | instskip(SKIP_1) | instid1(VALU_DEP_1)
	v_pk_fma_f32 v[154:155], v[148:149], v[144:145], v[152:153] op_sel:[0,0,1] op_sel_hi:[1,1,0] neg_lo:[0,0,1] neg_hi:[0,0,1]
	v_pk_fma_f32 v[148:149], v[148:149], v[144:145], v[152:153] op_sel:[0,0,1] op_sel_hi:[1,0,0]
	v_mov_b32_e32 v155, v149
	v_pk_mul_f32 v[148:149], v[150:151], v[146:147] op_sel:[0,1]
	s_delay_alu instid0(VALU_DEP_1) | instskip(SKIP_1) | instid1(VALU_DEP_1)
	v_pk_fma_f32 v[152:153], v[150:151], v[144:145], v[148:149] op_sel:[0,0,1] op_sel_hi:[1,1,0] neg_lo:[0,0,1] neg_hi:[0,0,1]
	v_pk_fma_f32 v[148:149], v[150:151], v[144:145], v[148:149] op_sel:[0,0,1] op_sel_hi:[1,0,0]
	v_mov_b32_e32 v153, v149
	ds_load_2addr_b64 v[148:151], v202 offset0:13 offset1:14
	v_pk_add_f32 v[32:33], v[32:33], v[154:155] neg_lo:[0,1] neg_hi:[0,1]
	v_pk_add_f32 v[62:63], v[62:63], v[152:153] neg_lo:[0,1] neg_hi:[0,1]
	s_wait_dscnt 0x0
	v_dual_mul_f32 v152, v149, v147 :: v_dual_mul_f32 v154, v149, v144
	s_delay_alu instid0(VALU_DEP_1) | instskip(NEXT) | instid1(VALU_DEP_2)
	v_pk_fma_f32 v[152:153], v[148:149], v[24:25], v[152:153] op_sel_hi:[1,1,0] neg_lo:[0,0,1] neg_hi:[0,0,1]
	v_pk_fma_f32 v[148:149], v[148:149], v[24:25], v[154:155] op_sel:[1,0,0] op_sel_hi:[0,1,0]
	s_delay_alu instid0(VALU_DEP_1) | instskip(SKIP_1) | instid1(VALU_DEP_2)
	v_mov_b32_e32 v153, v149
	v_pk_mul_f32 v[148:149], v[150:151], v[146:147] op_sel:[0,1]
	v_pk_add_f32 v[58:59], v[58:59], v[152:153] neg_lo:[0,1] neg_hi:[0,1]
	s_delay_alu instid0(VALU_DEP_2) | instskip(SKIP_1) | instid1(VALU_DEP_1)
	v_pk_fma_f32 v[152:153], v[150:151], v[144:145], v[148:149] op_sel:[0,0,1] op_sel_hi:[1,1,0] neg_lo:[0,0,1] neg_hi:[0,0,1]
	v_pk_fma_f32 v[148:149], v[150:151], v[144:145], v[148:149] op_sel:[0,0,1] op_sel_hi:[1,0,0]
	v_mov_b32_e32 v153, v149
	ds_load_2addr_b64 v[148:151], v202 offset0:15 offset1:16
	v_pk_add_f32 v[60:61], v[60:61], v[152:153] neg_lo:[0,1] neg_hi:[0,1]
	s_wait_dscnt 0x0
	v_pk_mul_f32 v[152:153], v[148:149], v[146:147] op_sel:[0,1]
	s_delay_alu instid0(VALU_DEP_1) | instskip(SKIP_1) | instid1(VALU_DEP_1)
	v_pk_fma_f32 v[154:155], v[148:149], v[144:145], v[152:153] op_sel:[0,0,1] op_sel_hi:[1,1,0] neg_lo:[0,0,1] neg_hi:[0,0,1]
	v_pk_fma_f32 v[148:149], v[148:149], v[144:145], v[152:153] op_sel:[0,0,1] op_sel_hi:[1,0,0]
	v_mov_b32_e32 v155, v149
	v_pk_mul_f32 v[148:149], v[150:151], v[146:147] op_sel:[0,1]
	s_delay_alu instid0(VALU_DEP_2) | instskip(NEXT) | instid1(VALU_DEP_2)
	v_pk_add_f32 v[56:57], v[56:57], v[154:155] neg_lo:[0,1] neg_hi:[0,1]
	v_pk_fma_f32 v[152:153], v[150:151], v[144:145], v[148:149] op_sel:[0,0,1] op_sel_hi:[1,1,0] neg_lo:[0,0,1] neg_hi:[0,0,1]
	v_pk_fma_f32 v[148:149], v[150:151], v[144:145], v[148:149] op_sel:[0,0,1] op_sel_hi:[1,0,0]
	s_delay_alu instid0(VALU_DEP_1) | instskip(SKIP_4) | instid1(VALU_DEP_1)
	v_mov_b32_e32 v153, v149
	ds_load_2addr_b64 v[148:151], v202 offset0:17 offset1:18
	v_pk_add_f32 v[82:83], v[82:83], v[152:153] neg_lo:[0,1] neg_hi:[0,1]
	s_wait_dscnt 0x0
	v_pk_mul_f32 v[152:153], v[148:149], v[146:147] op_sel:[0,1]
	v_pk_fma_f32 v[154:155], v[148:149], v[144:145], v[152:153] op_sel:[0,0,1] op_sel_hi:[1,1,0] neg_lo:[0,0,1] neg_hi:[0,0,1]
	v_pk_fma_f32 v[148:149], v[148:149], v[144:145], v[152:153] op_sel:[0,0,1] op_sel_hi:[1,0,0]
	v_dual_mul_f32 v152, v151, v147 :: v_dual_mov_b32 v148, v151
	s_delay_alu instid0(VALU_DEP_2) | instskip(NEXT) | instid1(VALU_DEP_2)
	v_dual_mov_b32 v155, v149 :: v_dual_mov_b32 v149, v150
	v_pk_fma_f32 v[152:153], v[150:151], v[24:25], v[152:153] op_sel_hi:[1,1,0] neg_lo:[0,0,1] neg_hi:[0,0,1]
	v_mul_f32_e32 v150, v151, v144
	s_delay_alu instid0(VALU_DEP_3) | instskip(NEXT) | instid1(VALU_DEP_2)
	v_pk_add_f32 v[78:79], v[78:79], v[154:155] neg_lo:[0,1] neg_hi:[0,1]
	v_pk_fma_f32 v[148:149], v[148:149], v[24:25], v[150:151] op_sel_hi:[1,1,0]
	s_delay_alu instid0(VALU_DEP_1) | instskip(SKIP_4) | instid1(VALU_DEP_1)
	v_mov_b32_e32 v153, v149
	ds_load_2addr_b64 v[148:151], v202 offset0:19 offset1:20
	v_pk_add_f32 v[80:81], v[80:81], v[152:153] neg_lo:[0,1] neg_hi:[0,1]
	s_wait_dscnt 0x0
	v_pk_mul_f32 v[152:153], v[148:149], v[146:147] op_sel:[0,1]
	v_pk_fma_f32 v[154:155], v[148:149], v[144:145], v[152:153] op_sel:[0,0,1] op_sel_hi:[1,1,0] neg_lo:[0,0,1] neg_hi:[0,0,1]
	v_pk_fma_f32 v[148:149], v[148:149], v[144:145], v[152:153] op_sel:[0,0,1] op_sel_hi:[1,0,0]
	s_delay_alu instid0(VALU_DEP_1) | instskip(SKIP_1) | instid1(VALU_DEP_1)
	v_mov_b32_e32 v155, v149
	v_pk_mul_f32 v[148:149], v[150:151], v[146:147] op_sel:[0,1]
	v_pk_fma_f32 v[152:153], v[150:151], v[144:145], v[148:149] op_sel:[0,0,1] op_sel_hi:[1,1,0] neg_lo:[0,0,1] neg_hi:[0,0,1]
	v_pk_fma_f32 v[148:149], v[150:151], v[144:145], v[148:149] op_sel:[0,0,1] op_sel_hi:[1,0,0]
	s_delay_alu instid0(VALU_DEP_1)
	v_mov_b32_e32 v153, v149
	ds_load_2addr_b64 v[148:151], v202 offset0:21 offset1:22
	v_pk_add_f32 v[76:77], v[76:77], v[154:155] neg_lo:[0,1] neg_hi:[0,1]
	v_pk_add_f32 v[98:99], v[98:99], v[152:153] neg_lo:[0,1] neg_hi:[0,1]
	s_wait_dscnt 0x0
	v_pk_mul_f32 v[152:153], v[148:149], v[146:147] op_sel:[0,1]
	s_delay_alu instid0(VALU_DEP_1) | instskip(SKIP_1) | instid1(VALU_DEP_1)
	v_pk_fma_f32 v[154:155], v[148:149], v[144:145], v[152:153] op_sel:[0,0,1] op_sel_hi:[1,1,0] neg_lo:[0,0,1] neg_hi:[0,0,1]
	v_pk_fma_f32 v[148:149], v[148:149], v[144:145], v[152:153] op_sel:[0,0,1] op_sel_hi:[1,0,0]
	v_mov_b32_e32 v155, v149
	v_pk_mul_f32 v[148:149], v[150:151], v[146:147] op_sel:[0,1]
	s_delay_alu instid0(VALU_DEP_1) | instskip(SKIP_1) | instid1(VALU_DEP_1)
	v_pk_fma_f32 v[152:153], v[150:151], v[144:145], v[148:149] op_sel:[0,0,1] op_sel_hi:[1,1,0] neg_lo:[0,0,1] neg_hi:[0,0,1]
	v_pk_fma_f32 v[148:149], v[150:151], v[144:145], v[148:149] op_sel:[0,0,1] op_sel_hi:[1,0,0]
	v_mov_b32_e32 v153, v149
	ds_load_2addr_b64 v[148:151], v202 offset0:23 offset1:24
	v_pk_add_f32 v[132:133], v[132:133], v[154:155] neg_lo:[0,1] neg_hi:[0,1]
	v_pk_add_f32 v[128:129], v[128:129], v[152:153] neg_lo:[0,1] neg_hi:[0,1]
	s_wait_dscnt 0x0
	v_dual_mul_f32 v152, v149, v147 :: v_dual_mul_f32 v154, v149, v144
	s_delay_alu instid0(VALU_DEP_1) | instskip(NEXT) | instid1(VALU_DEP_2)
	v_pk_fma_f32 v[152:153], v[148:149], v[24:25], v[152:153] op_sel_hi:[1,1,0] neg_lo:[0,0,1] neg_hi:[0,0,1]
	v_pk_fma_f32 v[148:149], v[148:149], v[24:25], v[154:155] op_sel:[1,0,0] op_sel_hi:[0,1,0]
	s_delay_alu instid0(VALU_DEP_1) | instskip(SKIP_1) | instid1(VALU_DEP_2)
	v_mov_b32_e32 v153, v149
	v_pk_mul_f32 v[148:149], v[150:151], v[146:147] op_sel:[0,1]
	v_pk_add_f32 v[126:127], v[126:127], v[152:153] neg_lo:[0,1] neg_hi:[0,1]
	s_delay_alu instid0(VALU_DEP_2) | instskip(SKIP_1) | instid1(VALU_DEP_1)
	v_pk_fma_f32 v[152:153], v[150:151], v[144:145], v[148:149] op_sel:[0,0,1] op_sel_hi:[1,1,0] neg_lo:[0,0,1] neg_hi:[0,0,1]
	v_pk_fma_f32 v[148:149], v[150:151], v[144:145], v[148:149] op_sel:[0,0,1] op_sel_hi:[1,0,0]
	v_mov_b32_e32 v153, v149
	ds_load_2addr_b64 v[148:151], v202 offset0:25 offset1:26
	v_pk_add_f32 v[118:119], v[118:119], v[152:153] neg_lo:[0,1] neg_hi:[0,1]
	s_wait_dscnt 0x0
	v_pk_mul_f32 v[152:153], v[148:149], v[146:147] op_sel:[0,1]
	s_delay_alu instid0(VALU_DEP_1) | instskip(SKIP_1) | instid1(VALU_DEP_1)
	v_pk_fma_f32 v[154:155], v[148:149], v[144:145], v[152:153] op_sel:[0,0,1] op_sel_hi:[1,1,0] neg_lo:[0,0,1] neg_hi:[0,0,1]
	v_pk_fma_f32 v[148:149], v[148:149], v[144:145], v[152:153] op_sel:[0,0,1] op_sel_hi:[1,0,0]
	v_mov_b32_e32 v155, v149
	v_pk_mul_f32 v[148:149], v[150:151], v[146:147] op_sel:[0,1]
	s_delay_alu instid0(VALU_DEP_2) | instskip(NEXT) | instid1(VALU_DEP_2)
	v_pk_add_f32 v[112:113], v[112:113], v[154:155] neg_lo:[0,1] neg_hi:[0,1]
	v_pk_fma_f32 v[152:153], v[150:151], v[144:145], v[148:149] op_sel:[0,0,1] op_sel_hi:[1,1,0] neg_lo:[0,0,1] neg_hi:[0,0,1]
	v_pk_fma_f32 v[148:149], v[150:151], v[144:145], v[148:149] op_sel:[0,0,1] op_sel_hi:[1,0,0]
	s_delay_alu instid0(VALU_DEP_1) | instskip(SKIP_4) | instid1(VALU_DEP_1)
	v_mov_b32_e32 v153, v149
	ds_load_2addr_b64 v[148:151], v202 offset0:27 offset1:28
	v_pk_add_f32 v[116:117], v[116:117], v[152:153] neg_lo:[0,1] neg_hi:[0,1]
	s_wait_dscnt 0x0
	v_pk_mul_f32 v[152:153], v[148:149], v[146:147] op_sel:[0,1]
	v_pk_fma_f32 v[154:155], v[148:149], v[144:145], v[152:153] op_sel:[0,0,1] op_sel_hi:[1,1,0] neg_lo:[0,0,1] neg_hi:[0,0,1]
	v_pk_fma_f32 v[148:149], v[148:149], v[144:145], v[152:153] op_sel:[0,0,1] op_sel_hi:[1,0,0]
	v_dual_mul_f32 v152, v151, v147 :: v_dual_mov_b32 v148, v151
	s_delay_alu instid0(VALU_DEP_2) | instskip(NEXT) | instid1(VALU_DEP_2)
	v_dual_mov_b32 v155, v149 :: v_dual_mov_b32 v149, v150
	v_pk_fma_f32 v[152:153], v[150:151], v[24:25], v[152:153] op_sel_hi:[1,1,0] neg_lo:[0,0,1] neg_hi:[0,0,1]
	v_mul_f32_e32 v150, v151, v144
	s_delay_alu instid0(VALU_DEP_3) | instskip(NEXT) | instid1(VALU_DEP_2)
	v_pk_add_f32 v[110:111], v[110:111], v[154:155] neg_lo:[0,1] neg_hi:[0,1]
	v_pk_fma_f32 v[148:149], v[148:149], v[24:25], v[150:151] op_sel_hi:[1,1,0]
	s_delay_alu instid0(VALU_DEP_1) | instskip(SKIP_4) | instid1(VALU_DEP_1)
	v_mov_b32_e32 v153, v149
	ds_load_2addr_b64 v[148:151], v202 offset0:29 offset1:30
	v_pk_add_f32 v[114:115], v[114:115], v[152:153] neg_lo:[0,1] neg_hi:[0,1]
	s_wait_dscnt 0x0
	v_pk_mul_f32 v[152:153], v[148:149], v[146:147] op_sel:[0,1]
	v_pk_fma_f32 v[154:155], v[148:149], v[144:145], v[152:153] op_sel:[0,0,1] op_sel_hi:[1,1,0] neg_lo:[0,0,1] neg_hi:[0,0,1]
	v_pk_fma_f32 v[148:149], v[148:149], v[144:145], v[152:153] op_sel:[0,0,1] op_sel_hi:[1,0,0]
	s_delay_alu instid0(VALU_DEP_1) | instskip(SKIP_1) | instid1(VALU_DEP_1)
	v_mov_b32_e32 v155, v149
	v_pk_mul_f32 v[148:149], v[150:151], v[146:147] op_sel:[0,1]
	v_pk_fma_f32 v[152:153], v[150:151], v[144:145], v[148:149] op_sel:[0,0,1] op_sel_hi:[1,1,0] neg_lo:[0,0,1] neg_hi:[0,0,1]
	v_pk_fma_f32 v[148:149], v[150:151], v[144:145], v[148:149] op_sel:[0,0,1] op_sel_hi:[1,0,0]
	s_delay_alu instid0(VALU_DEP_1)
	v_mov_b32_e32 v153, v149
	ds_load_2addr_b64 v[148:151], v202 offset0:31 offset1:32
	v_pk_add_f32 v[124:125], v[124:125], v[154:155] neg_lo:[0,1] neg_hi:[0,1]
	v_pk_add_f32 v[122:123], v[122:123], v[152:153] neg_lo:[0,1] neg_hi:[0,1]
	s_wait_dscnt 0x0
	v_pk_mul_f32 v[152:153], v[148:149], v[146:147] op_sel:[0,1]
	v_pk_mul_f32 v[146:147], v[150:151], v[146:147] op_sel:[0,1]
	s_delay_alu instid0(VALU_DEP_2) | instskip(SKIP_1) | instid1(VALU_DEP_1)
	v_pk_fma_f32 v[154:155], v[148:149], v[144:145], v[152:153] op_sel:[0,0,1] op_sel_hi:[1,1,0] neg_lo:[0,0,1] neg_hi:[0,0,1]
	v_pk_fma_f32 v[148:149], v[148:149], v[144:145], v[152:153] op_sel:[0,0,1] op_sel_hi:[1,0,0]
	v_mov_b32_e32 v155, v149
	s_delay_alu instid0(VALU_DEP_4) | instskip(SKIP_1) | instid1(VALU_DEP_1)
	v_pk_fma_f32 v[148:149], v[150:151], v[144:145], v[146:147] op_sel:[0,0,1] op_sel_hi:[1,1,0] neg_lo:[0,0,1] neg_hi:[0,0,1]
	v_pk_fma_f32 v[144:145], v[150:151], v[144:145], v[146:147] op_sel:[0,0,1] op_sel_hi:[1,0,0]
	v_mov_b32_e32 v149, v145
	s_delay_alu instid0(VALU_DEP_4) | instskip(NEXT) | instid1(VALU_DEP_2)
	v_pk_add_f32 v[120:121], v[120:121], v[154:155] neg_lo:[0,1] neg_hi:[0,1]
	v_pk_add_f32 v[130:131], v[130:131], v[148:149] neg_lo:[0,1] neg_hi:[0,1]
.LBB65_46:
	s_or_b32 exec_lo, exec_lo, s1
	s_delay_alu instid0(SALU_CYCLE_1)
	s_mov_b32 s2, exec_lo
	s_wait_dscnt 0x0
	s_barrier_signal -1
	s_barrier_wait -1
	v_cmpx_eq_u32_e32 5, v200
	s_cbranch_execz .LBB65_53
; %bb.47:
	v_dual_mov_b32 v144, v74 :: v_dual_mov_b32 v145, v75
	v_dual_mov_b32 v146, v22 :: v_dual_mov_b32 v147, v23
	ds_store_b64 v201, v[72:73]
	ds_store_2addr_b64 v202, v[144:145], v[146:147] offset0:6 offset1:7
	v_dual_mov_b32 v144, v38 :: v_dual_mov_b32 v145, v39
	v_dual_mov_b32 v146, v34 :: v_dual_mov_b32 v147, v35
	ds_store_2addr_b64 v202, v[144:145], v[146:147] offset0:8 offset1:9
	v_dual_mov_b32 v144, v36 :: v_dual_mov_b32 v145, v37
	v_dual_mov_b32 v146, v32 :: v_dual_mov_b32 v147, v33
	;; [unrolled: 3-line block ×12, first 2 shown]
	ds_store_2addr_b64 v202, v[144:145], v[146:147] offset0:30 offset1:31
	ds_store_b64 v202, v[130:131] offset:256
	ds_load_b64 v[144:145], v201
	s_wait_dscnt 0x0
	v_cmp_neq_f32_e32 vcc_lo, 0, v144
	v_cmp_neq_f32_e64 s1, 0, v145
	s_or_b32 s1, vcc_lo, s1
	s_delay_alu instid0(SALU_CYCLE_1)
	s_and_b32 exec_lo, exec_lo, s1
	s_cbranch_execz .LBB65_53
; %bb.48:
	v_cmp_ngt_f32_e64 s1, |v144|, |v145|
                                        ; implicit-def: $vgpr146_vgpr147
	s_and_saveexec_b32 s4, s1
	s_delay_alu instid0(SALU_CYCLE_1)
	s_xor_b32 s1, exec_lo, s4
	s_cbranch_execz .LBB65_50
; %bb.49:
	v_div_scale_f32 v146, null, v145, v145, v144
	v_div_scale_f32 v149, vcc_lo, v144, v145, v144
	s_delay_alu instid0(VALU_DEP_2) | instskip(SKIP_1) | instid1(TRANS32_DEP_1)
	v_rcp_f32_e32 v147, v146
	v_nop
	v_fma_f32 v148, -v146, v147, 1.0
	s_delay_alu instid0(VALU_DEP_1) | instskip(NEXT) | instid1(VALU_DEP_1)
	v_fmac_f32_e32 v147, v148, v147
	v_mul_f32_e32 v148, v149, v147
	s_delay_alu instid0(VALU_DEP_1) | instskip(NEXT) | instid1(VALU_DEP_1)
	v_fma_f32 v150, -v146, v148, v149
	v_fmac_f32_e32 v148, v150, v147
	s_delay_alu instid0(VALU_DEP_1) | instskip(NEXT) | instid1(VALU_DEP_1)
	v_fma_f32 v146, -v146, v148, v149
	v_div_fmas_f32 v146, v146, v147, v148
	s_delay_alu instid0(VALU_DEP_1) | instskip(NEXT) | instid1(VALU_DEP_1)
	v_div_fixup_f32 v146, v146, v145, v144
	v_fmac_f32_e32 v145, v144, v146
	s_delay_alu instid0(VALU_DEP_1) | instskip(SKIP_1) | instid1(VALU_DEP_2)
	v_div_scale_f32 v144, null, v145, v145, 1.0
	v_div_scale_f32 v149, vcc_lo, 1.0, v145, 1.0
	v_rcp_f32_e32 v147, v144
	v_nop
	s_delay_alu instid0(TRANS32_DEP_1) | instskip(NEXT) | instid1(VALU_DEP_1)
	v_fma_f32 v148, -v144, v147, 1.0
	v_fmac_f32_e32 v147, v148, v147
	s_delay_alu instid0(VALU_DEP_1) | instskip(NEXT) | instid1(VALU_DEP_1)
	v_mul_f32_e32 v148, v149, v147
	v_fma_f32 v150, -v144, v148, v149
	s_delay_alu instid0(VALU_DEP_1) | instskip(NEXT) | instid1(VALU_DEP_1)
	v_fmac_f32_e32 v148, v150, v147
	v_fma_f32 v144, -v144, v148, v149
	s_delay_alu instid0(VALU_DEP_1) | instskip(NEXT) | instid1(VALU_DEP_1)
	v_div_fmas_f32 v144, v144, v147, v148
	v_div_fixup_f32 v144, v144, v145, 1.0
	s_delay_alu instid0(VALU_DEP_1)
	v_mul_f32_e32 v146, v146, v144
	v_xor_b32_e32 v147, 0x80000000, v144
                                        ; implicit-def: $vgpr144_vgpr145
.LBB65_50:
	s_and_not1_saveexec_b32 s1, s1
	s_cbranch_execz .LBB65_52
; %bb.51:
	v_div_scale_f32 v146, null, v144, v144, v145
	v_div_scale_f32 v149, vcc_lo, v145, v144, v145
	s_delay_alu instid0(VALU_DEP_2) | instskip(SKIP_1) | instid1(TRANS32_DEP_1)
	v_rcp_f32_e32 v147, v146
	v_nop
	v_fma_f32 v148, -v146, v147, 1.0
	s_delay_alu instid0(VALU_DEP_1) | instskip(NEXT) | instid1(VALU_DEP_1)
	v_fmac_f32_e32 v147, v148, v147
	v_mul_f32_e32 v148, v149, v147
	s_delay_alu instid0(VALU_DEP_1) | instskip(NEXT) | instid1(VALU_DEP_1)
	v_fma_f32 v150, -v146, v148, v149
	v_fmac_f32_e32 v148, v150, v147
	s_delay_alu instid0(VALU_DEP_1) | instskip(NEXT) | instid1(VALU_DEP_1)
	v_fma_f32 v146, -v146, v148, v149
	v_div_fmas_f32 v146, v146, v147, v148
	s_delay_alu instid0(VALU_DEP_1) | instskip(NEXT) | instid1(VALU_DEP_1)
	v_div_fixup_f32 v147, v146, v144, v145
	v_fmac_f32_e32 v144, v145, v147
	s_delay_alu instid0(VALU_DEP_1) | instskip(NEXT) | instid1(VALU_DEP_1)
	v_div_scale_f32 v145, null, v144, v144, 1.0
	v_rcp_f32_e32 v146, v145
	v_nop
	s_delay_alu instid0(TRANS32_DEP_1) | instskip(NEXT) | instid1(VALU_DEP_1)
	v_fma_f32 v148, -v145, v146, 1.0
	v_fmac_f32_e32 v146, v148, v146
	v_div_scale_f32 v148, vcc_lo, 1.0, v144, 1.0
	s_delay_alu instid0(VALU_DEP_1) | instskip(NEXT) | instid1(VALU_DEP_1)
	v_mul_f32_e32 v149, v148, v146
	v_fma_f32 v150, -v145, v149, v148
	s_delay_alu instid0(VALU_DEP_1) | instskip(NEXT) | instid1(VALU_DEP_1)
	v_fmac_f32_e32 v149, v150, v146
	v_fma_f32 v145, -v145, v149, v148
	s_delay_alu instid0(VALU_DEP_1) | instskip(NEXT) | instid1(VALU_DEP_1)
	v_div_fmas_f32 v145, v145, v146, v149
	v_div_fixup_f32 v146, v145, v144, 1.0
	s_delay_alu instid0(VALU_DEP_1)
	v_mul_f32_e64 v147, v147, -v146
.LBB65_52:
	s_or_b32 exec_lo, exec_lo, s1
	ds_store_b64 v201, v[146:147]
.LBB65_53:
	s_or_b32 exec_lo, exec_lo, s2
	s_wait_dscnt 0x0
	s_barrier_signal -1
	s_barrier_wait -1
	ds_load_b64 v[144:145], v201
	s_mov_b32 s1, exec_lo
	v_cmpx_lt_u32_e32 5, v200
	s_cbranch_execz .LBB65_55
; %bb.54:
	ds_load_2addr_b64 v[150:153], v202 offset0:6 offset1:7
	ds_load_2addr_b64 v[154:157], v202 offset0:8 offset1:9
	;; [unrolled: 1-line block ×3, first 2 shown]
	s_wait_dscnt 0x3
	v_pk_mul_f32 v[148:149], v[144:145], v[72:73] op_sel:[1,1] op_sel_hi:[0,1]
	ds_load_2addr_b64 v[162:165], v202 offset0:12 offset1:13
	ds_load_2addr_b64 v[166:169], v202 offset0:14 offset1:15
	v_pk_fma_f32 v[146:147], v[144:145], v[72:73], v[148:149] op_sel_hi:[1,0,1] neg_lo:[0,0,1] neg_hi:[0,0,1]
	v_pk_fma_f32 v[148:149], v[144:145], v[72:73], v[148:149] op_sel_hi:[1,0,1]
	s_delay_alu instid0(VALU_DEP_1) | instskip(SKIP_1) | instid1(VALU_DEP_2)
	v_dual_mov_b32 v72, v146 :: v_dual_mov_b32 v73, v149
	s_wait_dscnt 0x4
	v_pk_mul_f32 v[170:171], v[150:151], v[148:149] op_sel:[0,1]
	v_pk_mul_f32 v[172:173], v[152:153], v[148:149] op_sel:[0,1]
	s_wait_dscnt 0x3
	v_pk_mul_f32 v[174:175], v[154:155], v[148:149] op_sel:[0,1]
	s_wait_dscnt 0x2
	v_pk_mul_f32 v[182:183], v[158:159], v[148:149] op_sel:[0,1]
	v_dual_mov_b32 v176, v157 :: v_dual_mov_b32 v177, v156
	v_pk_fma_f32 v[186:187], v[150:151], v[146:147], v[170:171] op_sel:[0,0,1] op_sel_hi:[1,1,0] neg_lo:[0,0,1] neg_hi:[0,0,1]
	v_pk_fma_f32 v[150:151], v[150:151], v[146:147], v[170:171] op_sel:[0,0,1] op_sel_hi:[1,0,0]
	v_dual_mul_f32 v178, v157, v149 :: v_dual_mul_f32 v180, v157, v146
	v_pk_mul_f32 v[184:185], v[160:161], v[148:149] op_sel:[0,1]
	v_pk_fma_f32 v[170:171], v[152:153], v[146:147], v[172:173] op_sel:[0,0,1] op_sel_hi:[1,1,0] neg_lo:[0,0,1] neg_hi:[0,0,1]
	v_pk_fma_f32 v[152:153], v[152:153], v[146:147], v[172:173] op_sel:[0,0,1] op_sel_hi:[1,0,0]
	v_pk_fma_f32 v[172:173], v[154:155], v[146:147], v[174:175] op_sel:[0,0,1] op_sel_hi:[1,1,0] neg_lo:[0,0,1] neg_hi:[0,0,1]
	v_pk_fma_f32 v[154:155], v[154:155], v[146:147], v[174:175] op_sel:[0,0,1] op_sel_hi:[1,0,0]
	v_mov_b32_e32 v187, v151
	v_pk_fma_f32 v[150:151], v[158:159], v[146:147], v[182:183] op_sel:[0,0,1] op_sel_hi:[1,0,0]
	v_pk_fma_f32 v[174:175], v[176:177], v[72:73], v[180:181] op_sel_hi:[1,1,0]
	v_pk_fma_f32 v[176:177], v[158:159], v[146:147], v[182:183] op_sel:[0,0,1] op_sel_hi:[1,1,0] neg_lo:[0,0,1] neg_hi:[0,0,1]
	v_dual_mov_b32 v171, v153 :: v_dual_mov_b32 v173, v155
	v_pk_fma_f32 v[154:155], v[160:161], v[146:147], v[184:185] op_sel:[0,0,1] op_sel_hi:[1,0,0]
	s_wait_dscnt 0x1
	v_pk_mul_f32 v[158:159], v[162:163], v[148:149] op_sel:[0,1]
	v_pk_fma_f32 v[156:157], v[156:157], v[72:73], v[178:179] op_sel_hi:[1,1,0] neg_lo:[0,0,1] neg_hi:[0,0,1]
	v_mov_b32_e32 v177, v151
	ds_load_2addr_b64 v[150:153], v202 offset0:16 offset1:17
	v_pk_fma_f32 v[160:161], v[160:161], v[146:147], v[184:185] op_sel:[0,0,1] op_sel_hi:[1,1,0] neg_lo:[0,0,1] neg_hi:[0,0,1]
	v_mov_b32_e32 v157, v175
	v_pk_add_f32 v[22:23], v[22:23], v[170:171] neg_lo:[0,1] neg_hi:[0,1]
	v_mov_b32_e32 v161, v155
	v_pk_mul_f32 v[170:171], v[164:165], v[148:149] op_sel:[0,1]
	v_pk_fma_f32 v[154:155], v[162:163], v[146:147], v[158:159] op_sel:[0,0,1] op_sel_hi:[1,0,0]
	v_pk_fma_f32 v[158:159], v[162:163], v[146:147], v[158:159] op_sel:[0,0,1] op_sel_hi:[1,1,0] neg_lo:[0,0,1] neg_hi:[0,0,1]
	v_pk_add_f32 v[34:35], v[34:35], v[156:157] neg_lo:[0,1] neg_hi:[0,1]
	v_pk_add_f32 v[32:33], v[32:33], v[160:161] neg_lo:[0,1] neg_hi:[0,1]
	v_pk_fma_f32 v[160:161], v[164:165], v[146:147], v[170:171] op_sel:[0,0,1] op_sel_hi:[1,0,0]
	v_mov_b32_e32 v159, v155
	ds_load_2addr_b64 v[154:157], v202 offset0:18 offset1:19
	v_pk_fma_f32 v[162:163], v[164:165], v[146:147], v[170:171] op_sel:[0,0,1] op_sel_hi:[1,1,0] neg_lo:[0,0,1] neg_hi:[0,0,1]
	s_wait_dscnt 0x2
	v_dual_mul_f32 v160, v167, v146 :: v_dual_mul_f32 v164, v167, v149
	v_mov_b32_e32 v163, v161
	v_pk_add_f32 v[62:63], v[62:63], v[158:159] neg_lo:[0,1] neg_hi:[0,1]
	v_pk_mul_f32 v[158:159], v[168:169], v[148:149] op_sel:[0,1]
	s_delay_alu instid0(VALU_DEP_4)
	v_pk_fma_f32 v[160:161], v[166:167], v[72:73], v[160:161] op_sel:[1,0,0] op_sel_hi:[0,1,0]
	v_pk_fma_f32 v[164:165], v[166:167], v[72:73], v[164:165] op_sel_hi:[1,1,0] neg_lo:[0,0,1] neg_hi:[0,0,1]
	v_pk_add_f32 v[58:59], v[58:59], v[162:163] neg_lo:[0,1] neg_hi:[0,1]
	s_wait_dscnt 0x1
	v_pk_mul_f32 v[162:163], v[150:151], v[148:149] op_sel:[0,1]
	v_pk_fma_f32 v[170:171], v[168:169], v[146:147], v[158:159] op_sel:[0,0,1] op_sel_hi:[1,0,0]
	v_pk_fma_f32 v[166:167], v[168:169], v[146:147], v[158:159] op_sel:[0,0,1] op_sel_hi:[1,1,0] neg_lo:[0,0,1] neg_hi:[0,0,1]
	v_mov_b32_e32 v165, v161
	ds_load_2addr_b64 v[158:161], v202 offset0:20 offset1:21
	v_pk_fma_f32 v[168:169], v[150:151], v[146:147], v[162:163] op_sel:[0,0,1] op_sel_hi:[1,0,0]
	v_mov_b32_e32 v167, v171
	v_pk_mul_f32 v[170:171], v[152:153], v[148:149] op_sel:[0,1]
	v_pk_fma_f32 v[150:151], v[150:151], v[146:147], v[162:163] op_sel:[0,0,1] op_sel_hi:[1,1,0] neg_lo:[0,0,1] neg_hi:[0,0,1]
	v_pk_add_f32 v[60:61], v[60:61], v[164:165] neg_lo:[0,1] neg_hi:[0,1]
	s_wait_dscnt 0x1
	v_pk_mul_f32 v[162:163], v[154:155], v[148:149] op_sel:[0,1]
	v_pk_add_f32 v[56:57], v[56:57], v[166:167] neg_lo:[0,1] neg_hi:[0,1]
	v_pk_fma_f32 v[164:165], v[152:153], v[146:147], v[170:171] op_sel:[0,0,1] op_sel_hi:[1,0,0]
	v_mov_b32_e32 v151, v169
	v_pk_fma_f32 v[168:169], v[152:153], v[146:147], v[170:171] op_sel:[0,0,1] op_sel_hi:[1,1,0] neg_lo:[0,0,1] neg_hi:[0,0,1]
	v_pk_fma_f32 v[166:167], v[154:155], v[146:147], v[162:163] op_sel:[0,0,1] op_sel_hi:[1,0,0]
	v_pk_fma_f32 v[154:155], v[154:155], v[146:147], v[162:163] op_sel:[0,0,1] op_sel_hi:[1,1,0] neg_lo:[0,0,1] neg_hi:[0,0,1]
	v_mov_b32_e32 v169, v165
	v_pk_add_f32 v[82:83], v[82:83], v[150:151] neg_lo:[0,1] neg_hi:[0,1]
	ds_load_2addr_b64 v[150:153], v202 offset0:22 offset1:23
	v_dual_mov_b32 v155, v167 :: v_dual_mov_b32 v162, v157
	v_dual_mov_b32 v163, v156 :: v_dual_mul_f32 v164, v157, v146
	v_pk_add_f32 v[78:79], v[78:79], v[168:169] neg_lo:[0,1] neg_hi:[0,1]
	v_mul_f32_e32 v166, v157, v149
	s_delay_alu instid0(VALU_DEP_4)
	v_pk_add_f32 v[80:81], v[80:81], v[154:155] neg_lo:[0,1] neg_hi:[0,1]
	s_wait_dscnt 0x1
	v_pk_mul_f32 v[154:155], v[158:159], v[148:149] op_sel:[0,1]
	v_pk_fma_f32 v[168:169], v[162:163], v[72:73], v[164:165] op_sel_hi:[1,1,0]
	ds_load_2addr_b64 v[162:165], v202 offset0:24 offset1:25
	v_pk_mul_f32 v[170:171], v[160:161], v[148:149] op_sel:[0,1]
	v_pk_fma_f32 v[166:167], v[156:157], v[72:73], v[166:167] op_sel_hi:[1,1,0] neg_lo:[0,0,1] neg_hi:[0,0,1]
	v_pk_add_f32 v[38:39], v[38:39], v[172:173] neg_lo:[0,1] neg_hi:[0,1]
	v_pk_fma_f32 v[172:173], v[158:159], v[146:147], v[154:155] op_sel:[0,0,1] op_sel_hi:[1,0,0]
	v_mov_b32_e32 v167, v169
	v_pk_fma_f32 v[168:169], v[160:161], v[146:147], v[170:171] op_sel:[0,0,1] op_sel_hi:[1,0,0]
	v_pk_fma_f32 v[158:159], v[158:159], v[146:147], v[154:155] op_sel:[0,0,1] op_sel_hi:[1,1,0] neg_lo:[0,0,1] neg_hi:[0,0,1]
	ds_load_2addr_b64 v[154:157], v202 offset0:26 offset1:27
	v_pk_fma_f32 v[160:161], v[160:161], v[146:147], v[170:171] op_sel:[0,0,1] op_sel_hi:[1,1,0] neg_lo:[0,0,1] neg_hi:[0,0,1]
	v_mov_b32_e32 v159, v173
	s_wait_dscnt 0x2
	v_pk_mul_f32 v[170:171], v[150:151], v[148:149] op_sel:[0,1]
	v_mov_b32_e32 v161, v169
	v_pk_mul_f32 v[168:169], v[152:153], v[148:149] op_sel:[0,1]
	v_pk_add_f32 v[76:77], v[76:77], v[166:167] neg_lo:[0,1] neg_hi:[0,1]
	v_pk_add_f32 v[98:99], v[98:99], v[158:159] neg_lo:[0,1] neg_hi:[0,1]
	v_pk_fma_f32 v[166:167], v[150:151], v[146:147], v[170:171] op_sel:[0,0,1] op_sel_hi:[1,0,0]
	v_pk_add_f32 v[74:75], v[74:75], v[186:187] neg_lo:[0,1] neg_hi:[0,1]
	v_pk_fma_f32 v[158:159], v[152:153], v[146:147], v[168:169] op_sel:[0,0,1] op_sel_hi:[1,0,0]
	v_pk_add_f32 v[36:37], v[36:37], v[176:177] neg_lo:[0,1] neg_hi:[0,1]
	s_wait_dscnt 0x1
	v_mul_f32_e32 v158, v163, v146
	v_pk_add_f32 v[132:133], v[132:133], v[160:161] neg_lo:[0,1] neg_hi:[0,1]
	v_pk_fma_f32 v[160:161], v[150:151], v[146:147], v[170:171] op_sel:[0,0,1] op_sel_hi:[1,1,0] neg_lo:[0,0,1] neg_hi:[0,0,1]
	v_mov_b32_e32 v161, v167
	v_pk_fma_f32 v[166:167], v[152:153], v[146:147], v[168:169] op_sel:[0,0,1] op_sel_hi:[1,1,0] neg_lo:[0,0,1] neg_hi:[0,0,1]
	v_mul_f32_e32 v168, v163, v149
	ds_load_2addr_b64 v[150:153], v202 offset0:28 offset1:29
	v_mov_b32_e32 v167, v159
	v_pk_fma_f32 v[158:159], v[162:163], v[72:73], v[158:159] op_sel:[1,0,0] op_sel_hi:[0,1,0]
	v_pk_add_f32 v[128:129], v[128:129], v[160:161] neg_lo:[0,1] neg_hi:[0,1]
	v_pk_mul_f32 v[160:161], v[164:165], v[148:149] op_sel:[0,1]
	v_pk_fma_f32 v[162:163], v[162:163], v[72:73], v[168:169] op_sel_hi:[1,1,0] neg_lo:[0,0,1] neg_hi:[0,0,1]
	s_wait_dscnt 0x1
	v_pk_mul_f32 v[170:171], v[156:157], v[148:149] op_sel:[0,1]
	v_mov_b32_e32 v163, v159
	v_pk_add_f32 v[126:127], v[126:127], v[166:167] neg_lo:[0,1] neg_hi:[0,1]
	v_pk_mul_f32 v[166:167], v[154:155], v[148:149] op_sel:[0,1]
	v_pk_fma_f32 v[168:169], v[164:165], v[146:147], v[160:161] op_sel:[0,0,1] op_sel_hi:[1,0,0]
	v_pk_fma_f32 v[164:165], v[164:165], v[146:147], v[160:161] op_sel:[0,0,1] op_sel_hi:[1,1,0] neg_lo:[0,0,1] neg_hi:[0,0,1]
	ds_load_2addr_b64 v[158:161], v202 offset0:30 offset1:31
	v_pk_add_f32 v[118:119], v[118:119], v[162:163] neg_lo:[0,1] neg_hi:[0,1]
	v_pk_fma_f32 v[172:173], v[154:155], v[146:147], v[166:167] op_sel:[0,0,1] op_sel_hi:[1,0,0]
	v_pk_fma_f32 v[154:155], v[154:155], v[146:147], v[166:167] op_sel:[0,0,1] op_sel_hi:[1,1,0] neg_lo:[0,0,1] neg_hi:[0,0,1]
	ds_load_b64 v[166:167], v202 offset:256
	v_mov_b32_e32 v165, v169
	v_pk_fma_f32 v[168:169], v[156:157], v[146:147], v[170:171] op_sel:[0,0,1] op_sel_hi:[1,0,0]
	v_pk_fma_f32 v[156:157], v[156:157], v[146:147], v[170:171] op_sel:[0,0,1] op_sel_hi:[1,1,0] neg_lo:[0,0,1] neg_hi:[0,0,1]
	v_mov_b32_e32 v155, v173
	s_wait_dscnt 0x2
	v_mul_f32_e32 v162, v153, v149
	v_pk_add_f32 v[112:113], v[112:113], v[164:165] neg_lo:[0,1] neg_hi:[0,1]
	v_mov_b32_e32 v157, v169
	v_pk_mul_f32 v[168:169], v[150:151], v[148:149] op_sel:[0,1]
	v_pk_add_f32 v[116:117], v[116:117], v[154:155] neg_lo:[0,1] neg_hi:[0,1]
	s_delay_alu instid0(VALU_DEP_3) | instskip(NEXT) | instid1(VALU_DEP_3)
	v_pk_add_f32 v[110:111], v[110:111], v[156:157] neg_lo:[0,1] neg_hi:[0,1]
	v_pk_fma_f32 v[154:155], v[150:151], v[146:147], v[168:169] op_sel:[0,0,1] op_sel_hi:[1,0,0]
	v_dual_mov_b32 v156, v153 :: v_dual_mov_b32 v157, v152
	v_mul_f32_e32 v154, v153, v146
	v_pk_fma_f32 v[150:151], v[150:151], v[146:147], v[168:169] op_sel:[0,0,1] op_sel_hi:[1,1,0] neg_lo:[0,0,1] neg_hi:[0,0,1]
	s_delay_alu instid0(VALU_DEP_4)
	v_mov_b32_e32 v151, v155
	s_wait_dscnt 0x1
	v_pk_mul_f32 v[164:165], v[158:159], v[148:149] op_sel:[0,1]
	v_pk_fma_f32 v[152:153], v[152:153], v[72:73], v[162:163] op_sel_hi:[1,1,0] neg_lo:[0,0,1] neg_hi:[0,0,1]
	v_pk_fma_f32 v[154:155], v[156:157], v[72:73], v[154:155] op_sel_hi:[1,1,0]
	v_pk_mul_f32 v[156:157], v[160:161], v[148:149] op_sel:[0,1]
	s_wait_dscnt 0x0
	v_pk_mul_f32 v[148:149], v[166:167], v[148:149] op_sel:[0,1]
	v_pk_fma_f32 v[162:163], v[158:159], v[146:147], v[164:165] op_sel:[0,0,1] op_sel_hi:[1,0,0]
	v_pk_fma_f32 v[158:159], v[158:159], v[146:147], v[164:165] op_sel:[0,0,1] op_sel_hi:[1,1,0] neg_lo:[0,0,1] neg_hi:[0,0,1]
	v_mov_b32_e32 v153, v155
	v_pk_fma_f32 v[154:155], v[160:161], v[146:147], v[156:157] op_sel:[0,0,1] op_sel_hi:[1,0,0]
	v_pk_fma_f32 v[164:165], v[166:167], v[146:147], v[148:149] op_sel:[0,0,1] op_sel_hi:[1,0,0]
	v_pk_fma_f32 v[156:157], v[160:161], v[146:147], v[156:157] op_sel:[0,0,1] op_sel_hi:[1,1,0] neg_lo:[0,0,1] neg_hi:[0,0,1]
	v_pk_fma_f32 v[146:147], v[166:167], v[146:147], v[148:149] op_sel:[0,0,1] op_sel_hi:[1,1,0] neg_lo:[0,0,1] neg_hi:[0,0,1]
	s_delay_alu instid0(VALU_DEP_4) | instskip(NEXT) | instid1(VALU_DEP_4)
	v_dual_mov_b32 v159, v163 :: v_dual_mov_b32 v157, v155
	v_mov_b32_e32 v147, v165
	v_pk_add_f32 v[114:115], v[114:115], v[150:151] neg_lo:[0,1] neg_hi:[0,1]
	v_pk_add_f32 v[124:125], v[124:125], v[152:153] neg_lo:[0,1] neg_hi:[0,1]
	s_delay_alu instid0(VALU_DEP_4)
	v_pk_add_f32 v[122:123], v[122:123], v[158:159] neg_lo:[0,1] neg_hi:[0,1]
	v_pk_add_f32 v[120:121], v[120:121], v[156:157] neg_lo:[0,1] neg_hi:[0,1]
	;; [unrolled: 1-line block ×3, first 2 shown]
.LBB65_55:
	s_or_b32 exec_lo, exec_lo, s1
	s_delay_alu instid0(SALU_CYCLE_1)
	s_mov_b32 s2, exec_lo
	s_wait_dscnt 0x0
	s_barrier_signal -1
	s_barrier_wait -1
	v_cmpx_eq_u32_e32 6, v200
	s_cbranch_execz .LBB65_62
; %bb.56:
	ds_store_b64 v201, v[74:75]
	ds_store_2addr_b64 v202, v[22:23], v[38:39] offset0:7 offset1:8
	ds_store_2addr_b64 v202, v[34:35], v[36:37] offset0:9 offset1:10
	;; [unrolled: 1-line block ×13, first 2 shown]
	ds_load_b64 v[146:147], v201
	s_wait_dscnt 0x0
	v_cmp_neq_f32_e32 vcc_lo, 0, v146
	v_cmp_neq_f32_e64 s1, 0, v147
	s_or_b32 s1, vcc_lo, s1
	s_delay_alu instid0(SALU_CYCLE_1)
	s_and_b32 exec_lo, exec_lo, s1
	s_cbranch_execz .LBB65_62
; %bb.57:
	v_cmp_ngt_f32_e64 s1, |v146|, |v147|
                                        ; implicit-def: $vgpr148_vgpr149
	s_and_saveexec_b32 s4, s1
	s_delay_alu instid0(SALU_CYCLE_1)
	s_xor_b32 s1, exec_lo, s4
	s_cbranch_execz .LBB65_59
; %bb.58:
	v_div_scale_f32 v148, null, v147, v147, v146
	v_div_scale_f32 v151, vcc_lo, v146, v147, v146
	s_delay_alu instid0(VALU_DEP_2) | instskip(SKIP_1) | instid1(TRANS32_DEP_1)
	v_rcp_f32_e32 v149, v148
	v_nop
	v_fma_f32 v150, -v148, v149, 1.0
	s_delay_alu instid0(VALU_DEP_1) | instskip(NEXT) | instid1(VALU_DEP_1)
	v_fmac_f32_e32 v149, v150, v149
	v_mul_f32_e32 v150, v151, v149
	s_delay_alu instid0(VALU_DEP_1) | instskip(NEXT) | instid1(VALU_DEP_1)
	v_fma_f32 v152, -v148, v150, v151
	v_fmac_f32_e32 v150, v152, v149
	s_delay_alu instid0(VALU_DEP_1) | instskip(NEXT) | instid1(VALU_DEP_1)
	v_fma_f32 v148, -v148, v150, v151
	v_div_fmas_f32 v148, v148, v149, v150
	s_delay_alu instid0(VALU_DEP_1) | instskip(NEXT) | instid1(VALU_DEP_1)
	v_div_fixup_f32 v148, v148, v147, v146
	v_fmac_f32_e32 v147, v146, v148
	s_delay_alu instid0(VALU_DEP_1) | instskip(SKIP_1) | instid1(VALU_DEP_2)
	v_div_scale_f32 v146, null, v147, v147, 1.0
	v_div_scale_f32 v151, vcc_lo, 1.0, v147, 1.0
	v_rcp_f32_e32 v149, v146
	v_nop
	s_delay_alu instid0(TRANS32_DEP_1) | instskip(NEXT) | instid1(VALU_DEP_1)
	v_fma_f32 v150, -v146, v149, 1.0
	v_fmac_f32_e32 v149, v150, v149
	s_delay_alu instid0(VALU_DEP_1) | instskip(NEXT) | instid1(VALU_DEP_1)
	v_mul_f32_e32 v150, v151, v149
	v_fma_f32 v152, -v146, v150, v151
	s_delay_alu instid0(VALU_DEP_1) | instskip(NEXT) | instid1(VALU_DEP_1)
	v_fmac_f32_e32 v150, v152, v149
	v_fma_f32 v146, -v146, v150, v151
	s_delay_alu instid0(VALU_DEP_1) | instskip(NEXT) | instid1(VALU_DEP_1)
	v_div_fmas_f32 v146, v146, v149, v150
	v_div_fixup_f32 v146, v146, v147, 1.0
	s_delay_alu instid0(VALU_DEP_1)
	v_mul_f32_e32 v148, v148, v146
	v_xor_b32_e32 v149, 0x80000000, v146
                                        ; implicit-def: $vgpr146_vgpr147
.LBB65_59:
	s_and_not1_saveexec_b32 s1, s1
	s_cbranch_execz .LBB65_61
; %bb.60:
	v_div_scale_f32 v148, null, v146, v146, v147
	v_div_scale_f32 v151, vcc_lo, v147, v146, v147
	s_delay_alu instid0(VALU_DEP_2) | instskip(SKIP_1) | instid1(TRANS32_DEP_1)
	v_rcp_f32_e32 v149, v148
	v_nop
	v_fma_f32 v150, -v148, v149, 1.0
	s_delay_alu instid0(VALU_DEP_1) | instskip(NEXT) | instid1(VALU_DEP_1)
	v_fmac_f32_e32 v149, v150, v149
	v_mul_f32_e32 v150, v151, v149
	s_delay_alu instid0(VALU_DEP_1) | instskip(NEXT) | instid1(VALU_DEP_1)
	v_fma_f32 v152, -v148, v150, v151
	v_fmac_f32_e32 v150, v152, v149
	s_delay_alu instid0(VALU_DEP_1) | instskip(NEXT) | instid1(VALU_DEP_1)
	v_fma_f32 v148, -v148, v150, v151
	v_div_fmas_f32 v148, v148, v149, v150
	s_delay_alu instid0(VALU_DEP_1) | instskip(NEXT) | instid1(VALU_DEP_1)
	v_div_fixup_f32 v149, v148, v146, v147
	v_fmac_f32_e32 v146, v147, v149
	s_delay_alu instid0(VALU_DEP_1) | instskip(NEXT) | instid1(VALU_DEP_1)
	v_div_scale_f32 v147, null, v146, v146, 1.0
	v_rcp_f32_e32 v148, v147
	v_nop
	s_delay_alu instid0(TRANS32_DEP_1) | instskip(NEXT) | instid1(VALU_DEP_1)
	v_fma_f32 v150, -v147, v148, 1.0
	v_fmac_f32_e32 v148, v150, v148
	v_div_scale_f32 v150, vcc_lo, 1.0, v146, 1.0
	s_delay_alu instid0(VALU_DEP_1) | instskip(NEXT) | instid1(VALU_DEP_1)
	v_mul_f32_e32 v151, v150, v148
	v_fma_f32 v152, -v147, v151, v150
	s_delay_alu instid0(VALU_DEP_1) | instskip(NEXT) | instid1(VALU_DEP_1)
	v_fmac_f32_e32 v151, v152, v148
	v_fma_f32 v147, -v147, v151, v150
	s_delay_alu instid0(VALU_DEP_1) | instskip(NEXT) | instid1(VALU_DEP_1)
	v_div_fmas_f32 v147, v147, v148, v151
	v_div_fixup_f32 v148, v147, v146, 1.0
	s_delay_alu instid0(VALU_DEP_1)
	v_mul_f32_e64 v149, v149, -v148
.LBB65_61:
	s_or_b32 exec_lo, exec_lo, s1
	ds_store_b64 v201, v[148:149]
.LBB65_62:
	s_or_b32 exec_lo, exec_lo, s2
	s_wait_dscnt 0x0
	s_barrier_signal -1
	s_barrier_wait -1
	ds_load_b64 v[146:147], v201
	s_mov_b32 s1, exec_lo
	v_cmpx_lt_u32_e32 6, v200
	s_cbranch_execz .LBB65_64
; %bb.63:
	ds_load_2addr_b64 v[152:155], v202 offset0:7 offset1:8
	ds_load_2addr_b64 v[156:159], v202 offset0:9 offset1:10
	;; [unrolled: 1-line block ×3, first 2 shown]
	s_wait_dscnt 0x3
	v_pk_mul_f32 v[150:151], v[146:147], v[74:75] op_sel:[1,1] op_sel_hi:[0,1]
	ds_load_2addr_b64 v[164:167], v202 offset0:13 offset1:14
	ds_load_2addr_b64 v[168:171], v202 offset0:15 offset1:16
	v_pk_fma_f32 v[148:149], v[146:147], v[74:75], v[150:151] op_sel_hi:[1,0,1] neg_lo:[0,0,1] neg_hi:[0,0,1]
	v_pk_fma_f32 v[150:151], v[146:147], v[74:75], v[150:151] op_sel_hi:[1,0,1]
	s_delay_alu instid0(VALU_DEP_1) | instskip(SKIP_1) | instid1(VALU_DEP_2)
	v_dual_mov_b32 v74, v148 :: v_dual_mov_b32 v75, v151
	s_wait_dscnt 0x4
	v_pk_mul_f32 v[172:173], v[152:153], v[150:151] op_sel:[0,1]
	v_pk_mul_f32 v[174:175], v[154:155], v[150:151] op_sel:[0,1]
	s_wait_dscnt 0x3
	v_pk_mul_f32 v[176:177], v[156:157], v[150:151] op_sel:[0,1]
	s_wait_dscnt 0x2
	v_pk_mul_f32 v[184:185], v[160:161], v[150:151] op_sel:[0,1]
	v_dual_mov_b32 v178, v159 :: v_dual_mov_b32 v179, v158
	v_pk_fma_f32 v[188:189], v[152:153], v[148:149], v[172:173] op_sel:[0,0,1] op_sel_hi:[1,1,0] neg_lo:[0,0,1] neg_hi:[0,0,1]
	v_pk_fma_f32 v[152:153], v[152:153], v[148:149], v[172:173] op_sel:[0,0,1] op_sel_hi:[1,0,0]
	v_dual_mul_f32 v180, v159, v151 :: v_dual_mul_f32 v182, v159, v148
	v_pk_mul_f32 v[186:187], v[162:163], v[150:151] op_sel:[0,1]
	v_pk_fma_f32 v[172:173], v[154:155], v[148:149], v[174:175] op_sel:[0,0,1] op_sel_hi:[1,1,0] neg_lo:[0,0,1] neg_hi:[0,0,1]
	v_pk_fma_f32 v[154:155], v[154:155], v[148:149], v[174:175] op_sel:[0,0,1] op_sel_hi:[1,0,0]
	v_pk_fma_f32 v[174:175], v[156:157], v[148:149], v[176:177] op_sel:[0,0,1] op_sel_hi:[1,1,0] neg_lo:[0,0,1] neg_hi:[0,0,1]
	v_pk_fma_f32 v[156:157], v[156:157], v[148:149], v[176:177] op_sel:[0,0,1] op_sel_hi:[1,0,0]
	v_mov_b32_e32 v189, v153
	v_pk_fma_f32 v[152:153], v[160:161], v[148:149], v[184:185] op_sel:[0,0,1] op_sel_hi:[1,0,0]
	v_pk_fma_f32 v[176:177], v[178:179], v[74:75], v[182:183] op_sel_hi:[1,1,0]
	v_pk_fma_f32 v[178:179], v[160:161], v[148:149], v[184:185] op_sel:[0,0,1] op_sel_hi:[1,1,0] neg_lo:[0,0,1] neg_hi:[0,0,1]
	v_dual_mov_b32 v173, v155 :: v_dual_mov_b32 v175, v157
	v_pk_fma_f32 v[156:157], v[162:163], v[148:149], v[186:187] op_sel:[0,0,1] op_sel_hi:[1,0,0]
	v_mov_b32_e32 v179, v153
	s_wait_dscnt 0x1
	v_pk_mul_f32 v[160:161], v[164:165], v[150:151] op_sel:[0,1]
	ds_load_2addr_b64 v[152:155], v202 offset0:17 offset1:18
	v_pk_fma_f32 v[158:159], v[158:159], v[74:75], v[180:181] op_sel_hi:[1,1,0] neg_lo:[0,0,1] neg_hi:[0,0,1]
	v_pk_fma_f32 v[162:163], v[162:163], v[148:149], v[186:187] op_sel:[0,0,1] op_sel_hi:[1,1,0] neg_lo:[0,0,1] neg_hi:[0,0,1]
	v_mov_b32_e32 v159, v177
	v_pk_add_f32 v[38:39], v[38:39], v[172:173] neg_lo:[0,1] neg_hi:[0,1]
	v_mov_b32_e32 v163, v157
	v_pk_mul_f32 v[172:173], v[166:167], v[150:151] op_sel:[0,1]
	v_pk_fma_f32 v[156:157], v[164:165], v[148:149], v[160:161] op_sel:[0,0,1] op_sel_hi:[1,0,0]
	v_pk_fma_f32 v[160:161], v[164:165], v[148:149], v[160:161] op_sel:[0,0,1] op_sel_hi:[1,1,0] neg_lo:[0,0,1] neg_hi:[0,0,1]
	v_pk_add_f32 v[36:37], v[36:37], v[158:159] neg_lo:[0,1] neg_hi:[0,1]
	v_pk_add_f32 v[62:63], v[62:63], v[162:163] neg_lo:[0,1] neg_hi:[0,1]
	v_pk_fma_f32 v[162:163], v[166:167], v[148:149], v[172:173] op_sel:[0,0,1] op_sel_hi:[1,0,0]
	v_mov_b32_e32 v161, v157
	ds_load_2addr_b64 v[156:159], v202 offset0:19 offset1:20
	v_pk_fma_f32 v[164:165], v[166:167], v[148:149], v[172:173] op_sel:[0,0,1] op_sel_hi:[1,1,0] neg_lo:[0,0,1] neg_hi:[0,0,1]
	s_wait_dscnt 0x2
	v_dual_mul_f32 v162, v169, v148 :: v_dual_mov_b32 v165, v163
	v_pk_mul_f32 v[166:167], v[170:171], v[150:151] op_sel:[0,1]
	v_pk_add_f32 v[58:59], v[58:59], v[160:161] neg_lo:[0,1] neg_hi:[0,1]
	v_mul_f32_e32 v160, v169, v151
	s_delay_alu instid0(VALU_DEP_4)
	v_pk_fma_f32 v[162:163], v[168:169], v[74:75], v[162:163] op_sel:[1,0,0] op_sel_hi:[0,1,0]
	v_pk_add_f32 v[60:61], v[60:61], v[164:165] neg_lo:[0,1] neg_hi:[0,1]
	s_wait_dscnt 0x1
	v_pk_mul_f32 v[164:165], v[152:153], v[150:151] op_sel:[0,1]
	v_pk_fma_f32 v[172:173], v[170:171], v[148:149], v[166:167] op_sel:[0,0,1] op_sel_hi:[1,0,0]
	v_pk_fma_f32 v[168:169], v[168:169], v[74:75], v[160:161] op_sel_hi:[1,1,0] neg_lo:[0,0,1] neg_hi:[0,0,1]
	v_pk_fma_f32 v[166:167], v[170:171], v[148:149], v[166:167] op_sel:[0,0,1] op_sel_hi:[1,1,0] neg_lo:[0,0,1] neg_hi:[0,0,1]
	v_mov_b32_e32 v169, v163
	v_pk_fma_f32 v[170:171], v[152:153], v[148:149], v[164:165] op_sel:[0,0,1] op_sel_hi:[1,0,0]
	v_mov_b32_e32 v167, v173
	v_pk_fma_f32 v[152:153], v[152:153], v[148:149], v[164:165] op_sel:[0,0,1] op_sel_hi:[1,1,0] neg_lo:[0,0,1] neg_hi:[0,0,1]
	v_pk_mul_f32 v[164:165], v[154:155], v[150:151] op_sel:[0,1]
	ds_load_2addr_b64 v[160:163], v202 offset0:21 offset1:22
	v_pk_add_f32 v[56:57], v[56:57], v[168:169] neg_lo:[0,1] neg_hi:[0,1]
	v_pk_add_f32 v[82:83], v[82:83], v[166:167] neg_lo:[0,1] neg_hi:[0,1]
	;; [unrolled: 1-line block ×3, first 2 shown]
	v_pk_fma_f32 v[166:167], v[154:155], v[148:149], v[164:165] op_sel:[0,0,1] op_sel_hi:[1,0,0]
	v_mov_b32_e32 v153, v171
	s_wait_dscnt 0x1
	v_pk_mul_f32 v[170:171], v[156:157], v[150:151] op_sel:[0,1]
	v_pk_fma_f32 v[164:165], v[154:155], v[148:149], v[164:165] op_sel:[0,0,1] op_sel_hi:[1,1,0] neg_lo:[0,0,1] neg_hi:[0,0,1]
	v_dual_mov_b32 v166, v159 :: v_dual_mov_b32 v165, v167
	v_pk_add_f32 v[78:79], v[78:79], v[152:153] neg_lo:[0,1] neg_hi:[0,1]
	s_delay_alu instid0(VALU_DEP_4)
	v_pk_fma_f32 v[168:169], v[156:157], v[148:149], v[170:171] op_sel:[0,0,1] op_sel_hi:[1,0,0]
	ds_load_2addr_b64 v[152:155], v202 offset0:23 offset1:24
	v_pk_fma_f32 v[156:157], v[156:157], v[148:149], v[170:171] op_sel:[0,0,1] op_sel_hi:[1,1,0] neg_lo:[0,0,1] neg_hi:[0,0,1]
	v_dual_mov_b32 v167, v158 :: v_dual_mul_f32 v168, v159, v148
	v_mov_b32_e32 v157, v169
	v_pk_add_f32 v[80:81], v[80:81], v[164:165] neg_lo:[0,1] neg_hi:[0,1]
	v_pk_add_f32 v[22:23], v[22:23], v[188:189] neg_lo:[0,1] neg_hi:[0,1]
	;; [unrolled: 1-line block ×3, first 2 shown]
	v_pk_fma_f32 v[164:165], v[166:167], v[74:75], v[168:169] op_sel_hi:[1,1,0]
	v_mul_f32_e32 v170, v159, v151
	s_wait_dscnt 0x1
	v_pk_mul_f32 v[172:173], v[160:161], v[150:151] op_sel:[0,1]
	v_pk_add_f32 v[76:77], v[76:77], v[156:157] neg_lo:[0,1] neg_hi:[0,1]
	s_delay_alu instid0(VALU_DEP_3)
	v_pk_fma_f32 v[168:169], v[158:159], v[74:75], v[170:171] op_sel_hi:[1,1,0] neg_lo:[0,0,1] neg_hi:[0,0,1]
	v_pk_mul_f32 v[170:171], v[162:163], v[150:151] op_sel:[0,1]
	ds_load_2addr_b64 v[156:159], v202 offset0:25 offset1:26
	v_pk_fma_f32 v[166:167], v[160:161], v[148:149], v[172:173] op_sel:[0,0,1] op_sel_hi:[1,0,0]
	v_pk_fma_f32 v[160:161], v[160:161], v[148:149], v[172:173] op_sel:[0,0,1] op_sel_hi:[1,1,0] neg_lo:[0,0,1] neg_hi:[0,0,1]
	v_mov_b32_e32 v169, v165
	v_pk_fma_f32 v[172:173], v[162:163], v[148:149], v[170:171] op_sel:[0,0,1] op_sel_hi:[1,0,0]
	s_wait_dscnt 0x1
	v_pk_mul_f32 v[174:175], v[152:153], v[150:151] op_sel:[0,1]
	v_pk_fma_f32 v[162:163], v[162:163], v[148:149], v[170:171] op_sel:[0,0,1] op_sel_hi:[1,1,0] neg_lo:[0,0,1] neg_hi:[0,0,1]
	v_mov_b32_e32 v161, v167
	ds_load_2addr_b64 v[164:167], v202 offset0:27 offset1:28
	v_mov_b32_e32 v163, v173
	v_pk_mul_f32 v[170:171], v[154:155], v[150:151] op_sel:[0,1]
	v_pk_add_f32 v[98:99], v[98:99], v[168:169] neg_lo:[0,1] neg_hi:[0,1]
	v_pk_fma_f32 v[168:169], v[152:153], v[148:149], v[174:175] op_sel:[0,0,1] op_sel_hi:[1,0,0]
	v_pk_add_f32 v[132:133], v[132:133], v[160:161] neg_lo:[0,1] neg_hi:[0,1]
	v_pk_add_f32 v[128:129], v[128:129], v[162:163] neg_lo:[0,1] neg_hi:[0,1]
	v_pk_fma_f32 v[162:163], v[152:153], v[148:149], v[174:175] op_sel:[0,0,1] op_sel_hi:[1,1,0] neg_lo:[0,0,1] neg_hi:[0,0,1]
	v_pk_fma_f32 v[160:161], v[154:155], v[148:149], v[170:171] op_sel:[0,0,1] op_sel_hi:[1,0,0]
	v_mov_b32_e32 v163, v169
	v_pk_fma_f32 v[168:169], v[154:155], v[148:149], v[170:171] op_sel:[0,0,1] op_sel_hi:[1,1,0] neg_lo:[0,0,1] neg_hi:[0,0,1]
	ds_load_2addr_b64 v[152:155], v202 offset0:29 offset1:30
	s_wait_dscnt 0x2
	v_mul_f32_e32 v160, v157, v148
	v_mov_b32_e32 v169, v161
	v_pk_add_f32 v[126:127], v[126:127], v[162:163] neg_lo:[0,1] neg_hi:[0,1]
	v_mul_f32_e32 v162, v157, v151
	v_pk_mul_f32 v[170:171], v[158:159], v[150:151] op_sel:[0,1]
	s_delay_alu instid0(VALU_DEP_4) | instskip(SKIP_1) | instid1(VALU_DEP_4)
	v_pk_add_f32 v[118:119], v[118:119], v[168:169] neg_lo:[0,1] neg_hi:[0,1]
	v_pk_fma_f32 v[168:169], v[156:157], v[74:75], v[160:161] op_sel:[1,0,0] op_sel_hi:[0,1,0]
	v_pk_fma_f32 v[156:157], v[156:157], v[74:75], v[162:163] op_sel_hi:[1,1,0] neg_lo:[0,0,1] neg_hi:[0,0,1]
	ds_load_2addr_b64 v[160:163], v202 offset0:31 offset1:32
	s_wait_dscnt 0x2
	v_pk_mul_f32 v[172:173], v[164:165], v[150:151] op_sel:[0,1]
	v_pk_fma_f32 v[174:175], v[158:159], v[148:149], v[170:171] op_sel:[0,0,1] op_sel_hi:[1,0,0]
	v_mov_b32_e32 v157, v169
	v_pk_fma_f32 v[158:159], v[158:159], v[148:149], v[170:171] op_sel:[0,0,1] op_sel_hi:[1,1,0] neg_lo:[0,0,1] neg_hi:[0,0,1]
	v_pk_mul_f32 v[170:171], v[166:167], v[150:151] op_sel:[0,1]
	v_pk_fma_f32 v[168:169], v[164:165], v[148:149], v[172:173] op_sel:[0,0,1] op_sel_hi:[1,0,0]
	v_mov_b32_e32 v159, v175
	v_pk_fma_f32 v[164:165], v[164:165], v[148:149], v[172:173] op_sel:[0,0,1] op_sel_hi:[1,1,0] neg_lo:[0,0,1] neg_hi:[0,0,1]
	v_pk_add_f32 v[112:113], v[112:113], v[156:157] neg_lo:[0,1] neg_hi:[0,1]
	v_pk_fma_f32 v[156:157], v[166:167], v[148:149], v[170:171] op_sel:[0,0,1] op_sel_hi:[1,0,0]
	v_mov_b32_e32 v165, v169
	s_wait_dscnt 0x1
	v_pk_mul_f32 v[168:169], v[152:153], v[150:151] op_sel:[0,1]
	v_pk_add_f32 v[116:117], v[116:117], v[158:159] neg_lo:[0,1] neg_hi:[0,1]
	v_pk_fma_f32 v[158:159], v[166:167], v[148:149], v[170:171] op_sel:[0,0,1] op_sel_hi:[1,1,0] neg_lo:[0,0,1] neg_hi:[0,0,1]
	v_mov_b32_e32 v159, v157
	v_pk_add_f32 v[110:111], v[110:111], v[164:165] neg_lo:[0,1] neg_hi:[0,1]
	v_pk_fma_f32 v[156:157], v[152:153], v[148:149], v[168:169] op_sel:[0,0,1] op_sel_hi:[1,1,0] neg_lo:[0,0,1] neg_hi:[0,0,1]
	v_pk_fma_f32 v[152:153], v[152:153], v[148:149], v[168:169] op_sel:[0,0,1] op_sel_hi:[1,0,0]
	v_dual_mov_b32 v164, v155 :: v_dual_mov_b32 v165, v154
	v_dual_mul_f32 v166, v155, v148 :: v_dual_mul_f32 v152, v155, v151
	s_wait_dscnt 0x0
	v_pk_mul_f32 v[168:169], v[160:161], v[150:151] op_sel:[0,1]
	v_pk_mul_f32 v[150:151], v[162:163], v[150:151] op_sel:[0,1]
	v_pk_add_f32 v[114:115], v[114:115], v[158:159] neg_lo:[0,1] neg_hi:[0,1]
	v_pk_fma_f32 v[164:165], v[164:165], v[74:75], v[166:167] op_sel_hi:[1,1,0]
	v_mov_b32_e32 v157, v153
	v_pk_fma_f32 v[166:167], v[160:161], v[148:149], v[168:169] op_sel:[0,0,1] op_sel_hi:[1,0,0]
	v_pk_fma_f32 v[152:153], v[154:155], v[74:75], v[152:153] op_sel_hi:[1,1,0] neg_lo:[0,0,1] neg_hi:[0,0,1]
	v_pk_fma_f32 v[154:155], v[162:163], v[148:149], v[150:151] op_sel:[0,0,1] op_sel_hi:[1,0,0]
	v_pk_fma_f32 v[160:161], v[160:161], v[148:149], v[168:169] op_sel:[0,0,1] op_sel_hi:[1,1,0] neg_lo:[0,0,1] neg_hi:[0,0,1]
	v_pk_fma_f32 v[148:149], v[162:163], v[148:149], v[150:151] op_sel:[0,0,1] op_sel_hi:[1,1,0] neg_lo:[0,0,1] neg_hi:[0,0,1]
	v_dual_mov_b32 v153, v165 :: v_dual_mov_b32 v161, v167
	s_delay_alu instid0(VALU_DEP_4) | instskip(SKIP_1) | instid1(VALU_DEP_3)
	v_mov_b32_e32 v149, v155
	v_pk_add_f32 v[124:125], v[124:125], v[156:157] neg_lo:[0,1] neg_hi:[0,1]
	v_pk_add_f32 v[122:123], v[122:123], v[152:153] neg_lo:[0,1] neg_hi:[0,1]
	s_delay_alu instid0(VALU_DEP_4) | instskip(NEXT) | instid1(VALU_DEP_4)
	v_pk_add_f32 v[120:121], v[120:121], v[160:161] neg_lo:[0,1] neg_hi:[0,1]
	v_pk_add_f32 v[130:131], v[130:131], v[148:149] neg_lo:[0,1] neg_hi:[0,1]
.LBB65_64:
	s_or_b32 exec_lo, exec_lo, s1
	s_delay_alu instid0(SALU_CYCLE_1)
	s_mov_b32 s2, exec_lo
	s_wait_dscnt 0x0
	s_barrier_signal -1
	s_barrier_wait -1
	v_cmpx_eq_u32_e32 7, v200
	s_cbranch_execz .LBB65_71
; %bb.65:
	v_dual_mov_b32 v148, v38 :: v_dual_mov_b32 v149, v39
	v_dual_mov_b32 v150, v34 :: v_dual_mov_b32 v151, v35
	;; [unrolled: 1-line block ×10, first 2 shown]
	ds_store_b64 v201, v[22:23]
	v_dual_mov_b32 v168, v80 :: v_dual_mov_b32 v169, v81
	v_dual_mov_b32 v170, v76 :: v_dual_mov_b32 v171, v77
	ds_store_2addr_b64 v202, v[148:149], v[150:151] offset0:8 offset1:9
	ds_store_2addr_b64 v202, v[152:153], v[154:155] offset0:10 offset1:11
	;; [unrolled: 1-line block ×6, first 2 shown]
	v_dual_mov_b32 v148, v98 :: v_dual_mov_b32 v149, v99
	v_dual_mov_b32 v150, v132 :: v_dual_mov_b32 v151, v133
	;; [unrolled: 1-line block ×12, first 2 shown]
	ds_store_2addr_b64 v202, v[148:149], v[150:151] offset0:20 offset1:21
	ds_store_2addr_b64 v202, v[152:153], v[154:155] offset0:22 offset1:23
	;; [unrolled: 1-line block ×6, first 2 shown]
	ds_store_b64 v202, v[130:131] offset:256
	ds_load_b64 v[148:149], v201
	s_wait_dscnt 0x0
	v_cmp_neq_f32_e32 vcc_lo, 0, v148
	v_cmp_neq_f32_e64 s1, 0, v149
	s_or_b32 s1, vcc_lo, s1
	s_delay_alu instid0(SALU_CYCLE_1)
	s_and_b32 exec_lo, exec_lo, s1
	s_cbranch_execz .LBB65_71
; %bb.66:
	v_cmp_ngt_f32_e64 s1, |v148|, |v149|
                                        ; implicit-def: $vgpr150_vgpr151
	s_and_saveexec_b32 s4, s1
	s_delay_alu instid0(SALU_CYCLE_1)
	s_xor_b32 s1, exec_lo, s4
	s_cbranch_execz .LBB65_68
; %bb.67:
	v_div_scale_f32 v150, null, v149, v149, v148
	v_div_scale_f32 v153, vcc_lo, v148, v149, v148
	s_delay_alu instid0(VALU_DEP_2) | instskip(SKIP_1) | instid1(TRANS32_DEP_1)
	v_rcp_f32_e32 v151, v150
	v_nop
	v_fma_f32 v152, -v150, v151, 1.0
	s_delay_alu instid0(VALU_DEP_1) | instskip(NEXT) | instid1(VALU_DEP_1)
	v_fmac_f32_e32 v151, v152, v151
	v_mul_f32_e32 v152, v153, v151
	s_delay_alu instid0(VALU_DEP_1) | instskip(NEXT) | instid1(VALU_DEP_1)
	v_fma_f32 v154, -v150, v152, v153
	v_fmac_f32_e32 v152, v154, v151
	s_delay_alu instid0(VALU_DEP_1) | instskip(NEXT) | instid1(VALU_DEP_1)
	v_fma_f32 v150, -v150, v152, v153
	v_div_fmas_f32 v150, v150, v151, v152
	s_delay_alu instid0(VALU_DEP_1) | instskip(NEXT) | instid1(VALU_DEP_1)
	v_div_fixup_f32 v150, v150, v149, v148
	v_fmac_f32_e32 v149, v148, v150
	s_delay_alu instid0(VALU_DEP_1) | instskip(SKIP_1) | instid1(VALU_DEP_2)
	v_div_scale_f32 v148, null, v149, v149, 1.0
	v_div_scale_f32 v153, vcc_lo, 1.0, v149, 1.0
	v_rcp_f32_e32 v151, v148
	v_nop
	s_delay_alu instid0(TRANS32_DEP_1) | instskip(NEXT) | instid1(VALU_DEP_1)
	v_fma_f32 v152, -v148, v151, 1.0
	v_fmac_f32_e32 v151, v152, v151
	s_delay_alu instid0(VALU_DEP_1) | instskip(NEXT) | instid1(VALU_DEP_1)
	v_mul_f32_e32 v152, v153, v151
	v_fma_f32 v154, -v148, v152, v153
	s_delay_alu instid0(VALU_DEP_1) | instskip(NEXT) | instid1(VALU_DEP_1)
	v_fmac_f32_e32 v152, v154, v151
	v_fma_f32 v148, -v148, v152, v153
	s_delay_alu instid0(VALU_DEP_1) | instskip(NEXT) | instid1(VALU_DEP_1)
	v_div_fmas_f32 v148, v148, v151, v152
	v_div_fixup_f32 v148, v148, v149, 1.0
	s_delay_alu instid0(VALU_DEP_1)
	v_mul_f32_e32 v150, v150, v148
	v_xor_b32_e32 v151, 0x80000000, v148
                                        ; implicit-def: $vgpr148_vgpr149
.LBB65_68:
	s_and_not1_saveexec_b32 s1, s1
	s_cbranch_execz .LBB65_70
; %bb.69:
	v_div_scale_f32 v150, null, v148, v148, v149
	v_div_scale_f32 v153, vcc_lo, v149, v148, v149
	s_delay_alu instid0(VALU_DEP_2) | instskip(SKIP_1) | instid1(TRANS32_DEP_1)
	v_rcp_f32_e32 v151, v150
	v_nop
	v_fma_f32 v152, -v150, v151, 1.0
	s_delay_alu instid0(VALU_DEP_1) | instskip(NEXT) | instid1(VALU_DEP_1)
	v_fmac_f32_e32 v151, v152, v151
	v_mul_f32_e32 v152, v153, v151
	s_delay_alu instid0(VALU_DEP_1) | instskip(NEXT) | instid1(VALU_DEP_1)
	v_fma_f32 v154, -v150, v152, v153
	v_fmac_f32_e32 v152, v154, v151
	s_delay_alu instid0(VALU_DEP_1) | instskip(NEXT) | instid1(VALU_DEP_1)
	v_fma_f32 v150, -v150, v152, v153
	v_div_fmas_f32 v150, v150, v151, v152
	s_delay_alu instid0(VALU_DEP_1) | instskip(NEXT) | instid1(VALU_DEP_1)
	v_div_fixup_f32 v151, v150, v148, v149
	v_fmac_f32_e32 v148, v149, v151
	s_delay_alu instid0(VALU_DEP_1) | instskip(NEXT) | instid1(VALU_DEP_1)
	v_div_scale_f32 v149, null, v148, v148, 1.0
	v_rcp_f32_e32 v150, v149
	v_nop
	s_delay_alu instid0(TRANS32_DEP_1) | instskip(NEXT) | instid1(VALU_DEP_1)
	v_fma_f32 v152, -v149, v150, 1.0
	v_fmac_f32_e32 v150, v152, v150
	v_div_scale_f32 v152, vcc_lo, 1.0, v148, 1.0
	s_delay_alu instid0(VALU_DEP_1) | instskip(NEXT) | instid1(VALU_DEP_1)
	v_mul_f32_e32 v153, v152, v150
	v_fma_f32 v154, -v149, v153, v152
	s_delay_alu instid0(VALU_DEP_1) | instskip(NEXT) | instid1(VALU_DEP_1)
	v_fmac_f32_e32 v153, v154, v150
	v_fma_f32 v149, -v149, v153, v152
	s_delay_alu instid0(VALU_DEP_1) | instskip(NEXT) | instid1(VALU_DEP_1)
	v_div_fmas_f32 v149, v149, v150, v153
	v_div_fixup_f32 v150, v149, v148, 1.0
	s_delay_alu instid0(VALU_DEP_1)
	v_mul_f32_e64 v151, v151, -v150
.LBB65_70:
	s_or_b32 exec_lo, exec_lo, s1
	ds_store_b64 v201, v[150:151]
.LBB65_71:
	s_or_b32 exec_lo, exec_lo, s2
	s_wait_dscnt 0x0
	s_barrier_signal -1
	s_barrier_wait -1
	ds_load_b64 v[148:149], v201
	s_mov_b32 s1, exec_lo
	v_cmpx_lt_u32_e32 7, v200
	s_cbranch_execz .LBB65_73
; %bb.72:
	ds_load_2addr_b64 v[154:157], v202 offset0:8 offset1:9
	s_wait_dscnt 0x1
	v_pk_mul_f32 v[152:153], v[148:149], v[22:23] op_sel:[1,1] op_sel_hi:[0,1]
	s_delay_alu instid0(VALU_DEP_1) | instskip(SKIP_1) | instid1(VALU_DEP_1)
	v_pk_fma_f32 v[150:151], v[148:149], v[22:23], v[152:153] op_sel_hi:[1,0,1] neg_lo:[0,0,1] neg_hi:[0,0,1]
	v_pk_fma_f32 v[152:153], v[148:149], v[22:23], v[152:153] op_sel_hi:[1,0,1]
	v_dual_mov_b32 v22, v150 :: v_dual_mov_b32 v23, v153
	s_wait_dscnt 0x0
	s_delay_alu instid0(VALU_DEP_2) | instskip(NEXT) | instid1(VALU_DEP_1)
	v_pk_mul_f32 v[158:159], v[154:155], v[152:153] op_sel:[0,1]
	v_pk_fma_f32 v[160:161], v[154:155], v[150:151], v[158:159] op_sel:[0,0,1] op_sel_hi:[1,1,0] neg_lo:[0,0,1] neg_hi:[0,0,1]
	v_pk_fma_f32 v[154:155], v[154:155], v[150:151], v[158:159] op_sel:[0,0,1] op_sel_hi:[1,0,0]
	s_delay_alu instid0(VALU_DEP_1) | instskip(SKIP_1) | instid1(VALU_DEP_1)
	v_mov_b32_e32 v161, v155
	v_pk_mul_f32 v[154:155], v[156:157], v[152:153] op_sel:[0,1]
	v_pk_fma_f32 v[158:159], v[156:157], v[150:151], v[154:155] op_sel:[0,0,1] op_sel_hi:[1,1,0] neg_lo:[0,0,1] neg_hi:[0,0,1]
	v_pk_fma_f32 v[154:155], v[156:157], v[150:151], v[154:155] op_sel:[0,0,1] op_sel_hi:[1,0,0]
	s_delay_alu instid0(VALU_DEP_1)
	v_mov_b32_e32 v159, v155
	ds_load_2addr_b64 v[154:157], v202 offset0:10 offset1:11
	v_pk_add_f32 v[38:39], v[38:39], v[160:161] neg_lo:[0,1] neg_hi:[0,1]
	v_pk_add_f32 v[34:35], v[34:35], v[158:159] neg_lo:[0,1] neg_hi:[0,1]
	s_wait_dscnt 0x0
	v_pk_mul_f32 v[158:159], v[154:155], v[152:153] op_sel:[0,1]
	s_delay_alu instid0(VALU_DEP_1) | instskip(SKIP_2) | instid1(VALU_DEP_2)
	v_pk_fma_f32 v[160:161], v[154:155], v[150:151], v[158:159] op_sel:[0,0,1] op_sel_hi:[1,1,0] neg_lo:[0,0,1] neg_hi:[0,0,1]
	v_pk_fma_f32 v[154:155], v[154:155], v[150:151], v[158:159] op_sel:[0,0,1] op_sel_hi:[1,0,0]
	v_dual_mul_f32 v158, v157, v153 :: v_dual_mov_b32 v154, v157
	v_dual_mov_b32 v161, v155 :: v_dual_mov_b32 v155, v156
	s_delay_alu instid0(VALU_DEP_2) | instskip(SKIP_1) | instid1(VALU_DEP_3)
	v_pk_fma_f32 v[158:159], v[156:157], v[22:23], v[158:159] op_sel_hi:[1,1,0] neg_lo:[0,0,1] neg_hi:[0,0,1]
	v_mul_f32_e32 v156, v157, v150
	v_pk_add_f32 v[36:37], v[36:37], v[160:161] neg_lo:[0,1] neg_hi:[0,1]
	s_delay_alu instid0(VALU_DEP_2) | instskip(NEXT) | instid1(VALU_DEP_1)
	v_pk_fma_f32 v[154:155], v[154:155], v[22:23], v[156:157] op_sel_hi:[1,1,0]
	v_mov_b32_e32 v159, v155
	ds_load_2addr_b64 v[154:157], v202 offset0:12 offset1:13
	v_pk_add_f32 v[32:33], v[32:33], v[158:159] neg_lo:[0,1] neg_hi:[0,1]
	s_wait_dscnt 0x0
	v_pk_mul_f32 v[158:159], v[154:155], v[152:153] op_sel:[0,1]
	s_delay_alu instid0(VALU_DEP_1) | instskip(SKIP_1) | instid1(VALU_DEP_1)
	v_pk_fma_f32 v[160:161], v[154:155], v[150:151], v[158:159] op_sel:[0,0,1] op_sel_hi:[1,1,0] neg_lo:[0,0,1] neg_hi:[0,0,1]
	v_pk_fma_f32 v[154:155], v[154:155], v[150:151], v[158:159] op_sel:[0,0,1] op_sel_hi:[1,0,0]
	v_mov_b32_e32 v161, v155
	v_pk_mul_f32 v[154:155], v[156:157], v[152:153] op_sel:[0,1]
	s_delay_alu instid0(VALU_DEP_1) | instskip(SKIP_1) | instid1(VALU_DEP_1)
	v_pk_fma_f32 v[158:159], v[156:157], v[150:151], v[154:155] op_sel:[0,0,1] op_sel_hi:[1,1,0] neg_lo:[0,0,1] neg_hi:[0,0,1]
	v_pk_fma_f32 v[154:155], v[156:157], v[150:151], v[154:155] op_sel:[0,0,1] op_sel_hi:[1,0,0]
	v_mov_b32_e32 v159, v155
	ds_load_2addr_b64 v[154:157], v202 offset0:14 offset1:15
	v_pk_add_f32 v[62:63], v[62:63], v[160:161] neg_lo:[0,1] neg_hi:[0,1]
	v_pk_add_f32 v[58:59], v[58:59], v[158:159] neg_lo:[0,1] neg_hi:[0,1]
	s_wait_dscnt 0x0
	v_pk_mul_f32 v[158:159], v[154:155], v[152:153] op_sel:[0,1]
	s_delay_alu instid0(VALU_DEP_1) | instskip(SKIP_1) | instid1(VALU_DEP_1)
	v_pk_fma_f32 v[160:161], v[154:155], v[150:151], v[158:159] op_sel:[0,0,1] op_sel_hi:[1,1,0] neg_lo:[0,0,1] neg_hi:[0,0,1]
	v_pk_fma_f32 v[154:155], v[154:155], v[150:151], v[158:159] op_sel:[0,0,1] op_sel_hi:[1,0,0]
	v_mov_b32_e32 v161, v155
	v_pk_mul_f32 v[154:155], v[156:157], v[152:153] op_sel:[0,1]
	s_delay_alu instid0(VALU_DEP_1) | instskip(SKIP_1) | instid1(VALU_DEP_1)
	v_pk_fma_f32 v[158:159], v[156:157], v[150:151], v[154:155] op_sel:[0,0,1] op_sel_hi:[1,1,0] neg_lo:[0,0,1] neg_hi:[0,0,1]
	v_pk_fma_f32 v[154:155], v[156:157], v[150:151], v[154:155] op_sel:[0,0,1] op_sel_hi:[1,0,0]
	v_mov_b32_e32 v159, v155
	ds_load_2addr_b64 v[154:157], v202 offset0:16 offset1:17
	v_pk_add_f32 v[60:61], v[60:61], v[160:161] neg_lo:[0,1] neg_hi:[0,1]
	v_pk_add_f32 v[56:57], v[56:57], v[158:159] neg_lo:[0,1] neg_hi:[0,1]
	s_wait_dscnt 0x0
	v_dual_mul_f32 v158, v155, v153 :: v_dual_mul_f32 v160, v155, v150
	s_delay_alu instid0(VALU_DEP_1) | instskip(NEXT) | instid1(VALU_DEP_2)
	v_pk_fma_f32 v[158:159], v[154:155], v[22:23], v[158:159] op_sel_hi:[1,1,0] neg_lo:[0,0,1] neg_hi:[0,0,1]
	v_pk_fma_f32 v[154:155], v[154:155], v[22:23], v[160:161] op_sel:[1,0,0] op_sel_hi:[0,1,0]
	s_delay_alu instid0(VALU_DEP_1) | instskip(SKIP_1) | instid1(VALU_DEP_2)
	v_mov_b32_e32 v159, v155
	v_pk_mul_f32 v[154:155], v[156:157], v[152:153] op_sel:[0,1]
	v_pk_add_f32 v[82:83], v[82:83], v[158:159] neg_lo:[0,1] neg_hi:[0,1]
	s_delay_alu instid0(VALU_DEP_2) | instskip(SKIP_1) | instid1(VALU_DEP_1)
	v_pk_fma_f32 v[158:159], v[156:157], v[150:151], v[154:155] op_sel:[0,0,1] op_sel_hi:[1,1,0] neg_lo:[0,0,1] neg_hi:[0,0,1]
	v_pk_fma_f32 v[154:155], v[156:157], v[150:151], v[154:155] op_sel:[0,0,1] op_sel_hi:[1,0,0]
	v_mov_b32_e32 v159, v155
	ds_load_2addr_b64 v[154:157], v202 offset0:18 offset1:19
	v_pk_add_f32 v[78:79], v[78:79], v[158:159] neg_lo:[0,1] neg_hi:[0,1]
	s_wait_dscnt 0x0
	v_pk_mul_f32 v[158:159], v[154:155], v[152:153] op_sel:[0,1]
	s_delay_alu instid0(VALU_DEP_1) | instskip(SKIP_1) | instid1(VALU_DEP_1)
	v_pk_fma_f32 v[160:161], v[154:155], v[150:151], v[158:159] op_sel:[0,0,1] op_sel_hi:[1,1,0] neg_lo:[0,0,1] neg_hi:[0,0,1]
	v_pk_fma_f32 v[154:155], v[154:155], v[150:151], v[158:159] op_sel:[0,0,1] op_sel_hi:[1,0,0]
	v_mov_b32_e32 v161, v155
	v_pk_mul_f32 v[154:155], v[156:157], v[152:153] op_sel:[0,1]
	s_delay_alu instid0(VALU_DEP_2) | instskip(NEXT) | instid1(VALU_DEP_2)
	v_pk_add_f32 v[80:81], v[80:81], v[160:161] neg_lo:[0,1] neg_hi:[0,1]
	v_pk_fma_f32 v[158:159], v[156:157], v[150:151], v[154:155] op_sel:[0,0,1] op_sel_hi:[1,1,0] neg_lo:[0,0,1] neg_hi:[0,0,1]
	v_pk_fma_f32 v[154:155], v[156:157], v[150:151], v[154:155] op_sel:[0,0,1] op_sel_hi:[1,0,0]
	s_delay_alu instid0(VALU_DEP_1) | instskip(SKIP_4) | instid1(VALU_DEP_1)
	v_mov_b32_e32 v159, v155
	ds_load_2addr_b64 v[154:157], v202 offset0:20 offset1:21
	v_pk_add_f32 v[76:77], v[76:77], v[158:159] neg_lo:[0,1] neg_hi:[0,1]
	s_wait_dscnt 0x0
	v_pk_mul_f32 v[158:159], v[154:155], v[152:153] op_sel:[0,1]
	v_pk_fma_f32 v[160:161], v[154:155], v[150:151], v[158:159] op_sel:[0,0,1] op_sel_hi:[1,1,0] neg_lo:[0,0,1] neg_hi:[0,0,1]
	v_pk_fma_f32 v[154:155], v[154:155], v[150:151], v[158:159] op_sel:[0,0,1] op_sel_hi:[1,0,0]
	v_dual_mul_f32 v158, v157, v153 :: v_dual_mov_b32 v154, v157
	s_delay_alu instid0(VALU_DEP_2) | instskip(NEXT) | instid1(VALU_DEP_2)
	v_dual_mov_b32 v161, v155 :: v_dual_mov_b32 v155, v156
	v_pk_fma_f32 v[158:159], v[156:157], v[22:23], v[158:159] op_sel_hi:[1,1,0] neg_lo:[0,0,1] neg_hi:[0,0,1]
	v_mul_f32_e32 v156, v157, v150
	s_delay_alu instid0(VALU_DEP_3) | instskip(NEXT) | instid1(VALU_DEP_2)
	v_pk_add_f32 v[98:99], v[98:99], v[160:161] neg_lo:[0,1] neg_hi:[0,1]
	v_pk_fma_f32 v[154:155], v[154:155], v[22:23], v[156:157] op_sel_hi:[1,1,0]
	s_delay_alu instid0(VALU_DEP_1) | instskip(SKIP_4) | instid1(VALU_DEP_1)
	v_mov_b32_e32 v159, v155
	ds_load_2addr_b64 v[154:157], v202 offset0:22 offset1:23
	v_pk_add_f32 v[132:133], v[132:133], v[158:159] neg_lo:[0,1] neg_hi:[0,1]
	s_wait_dscnt 0x0
	v_pk_mul_f32 v[158:159], v[154:155], v[152:153] op_sel:[0,1]
	v_pk_fma_f32 v[160:161], v[154:155], v[150:151], v[158:159] op_sel:[0,0,1] op_sel_hi:[1,1,0] neg_lo:[0,0,1] neg_hi:[0,0,1]
	v_pk_fma_f32 v[154:155], v[154:155], v[150:151], v[158:159] op_sel:[0,0,1] op_sel_hi:[1,0,0]
	s_delay_alu instid0(VALU_DEP_1) | instskip(SKIP_1) | instid1(VALU_DEP_1)
	v_mov_b32_e32 v161, v155
	v_pk_mul_f32 v[154:155], v[156:157], v[152:153] op_sel:[0,1]
	v_pk_fma_f32 v[158:159], v[156:157], v[150:151], v[154:155] op_sel:[0,0,1] op_sel_hi:[1,1,0] neg_lo:[0,0,1] neg_hi:[0,0,1]
	v_pk_fma_f32 v[154:155], v[156:157], v[150:151], v[154:155] op_sel:[0,0,1] op_sel_hi:[1,0,0]
	s_delay_alu instid0(VALU_DEP_1)
	v_mov_b32_e32 v159, v155
	ds_load_2addr_b64 v[154:157], v202 offset0:24 offset1:25
	v_pk_add_f32 v[128:129], v[128:129], v[160:161] neg_lo:[0,1] neg_hi:[0,1]
	v_pk_add_f32 v[126:127], v[126:127], v[158:159] neg_lo:[0,1] neg_hi:[0,1]
	s_wait_dscnt 0x0
	v_pk_mul_f32 v[158:159], v[154:155], v[152:153] op_sel:[0,1]
	s_delay_alu instid0(VALU_DEP_1) | instskip(SKIP_1) | instid1(VALU_DEP_1)
	v_pk_fma_f32 v[160:161], v[154:155], v[150:151], v[158:159] op_sel:[0,0,1] op_sel_hi:[1,1,0] neg_lo:[0,0,1] neg_hi:[0,0,1]
	v_pk_fma_f32 v[154:155], v[154:155], v[150:151], v[158:159] op_sel:[0,0,1] op_sel_hi:[1,0,0]
	v_mov_b32_e32 v161, v155
	v_pk_mul_f32 v[154:155], v[156:157], v[152:153] op_sel:[0,1]
	s_delay_alu instid0(VALU_DEP_1) | instskip(SKIP_1) | instid1(VALU_DEP_1)
	v_pk_fma_f32 v[158:159], v[156:157], v[150:151], v[154:155] op_sel:[0,0,1] op_sel_hi:[1,1,0] neg_lo:[0,0,1] neg_hi:[0,0,1]
	v_pk_fma_f32 v[154:155], v[156:157], v[150:151], v[154:155] op_sel:[0,0,1] op_sel_hi:[1,0,0]
	v_mov_b32_e32 v159, v155
	ds_load_2addr_b64 v[154:157], v202 offset0:26 offset1:27
	v_pk_add_f32 v[118:119], v[118:119], v[160:161] neg_lo:[0,1] neg_hi:[0,1]
	v_pk_add_f32 v[112:113], v[112:113], v[158:159] neg_lo:[0,1] neg_hi:[0,1]
	s_wait_dscnt 0x0
	v_dual_mul_f32 v158, v155, v153 :: v_dual_mul_f32 v160, v155, v150
	s_delay_alu instid0(VALU_DEP_1) | instskip(NEXT) | instid1(VALU_DEP_2)
	v_pk_fma_f32 v[158:159], v[154:155], v[22:23], v[158:159] op_sel_hi:[1,1,0] neg_lo:[0,0,1] neg_hi:[0,0,1]
	v_pk_fma_f32 v[154:155], v[154:155], v[22:23], v[160:161] op_sel:[1,0,0] op_sel_hi:[0,1,0]
	s_delay_alu instid0(VALU_DEP_1) | instskip(SKIP_1) | instid1(VALU_DEP_2)
	v_mov_b32_e32 v159, v155
	v_pk_mul_f32 v[154:155], v[156:157], v[152:153] op_sel:[0,1]
	v_pk_add_f32 v[116:117], v[116:117], v[158:159] neg_lo:[0,1] neg_hi:[0,1]
	s_delay_alu instid0(VALU_DEP_2) | instskip(SKIP_1) | instid1(VALU_DEP_1)
	v_pk_fma_f32 v[158:159], v[156:157], v[150:151], v[154:155] op_sel:[0,0,1] op_sel_hi:[1,1,0] neg_lo:[0,0,1] neg_hi:[0,0,1]
	v_pk_fma_f32 v[154:155], v[156:157], v[150:151], v[154:155] op_sel:[0,0,1] op_sel_hi:[1,0,0]
	v_mov_b32_e32 v159, v155
	ds_load_2addr_b64 v[154:157], v202 offset0:28 offset1:29
	v_pk_add_f32 v[110:111], v[110:111], v[158:159] neg_lo:[0,1] neg_hi:[0,1]
	s_wait_dscnt 0x0
	v_pk_mul_f32 v[158:159], v[154:155], v[152:153] op_sel:[0,1]
	s_delay_alu instid0(VALU_DEP_1) | instskip(SKIP_1) | instid1(VALU_DEP_1)
	v_pk_fma_f32 v[160:161], v[154:155], v[150:151], v[158:159] op_sel:[0,0,1] op_sel_hi:[1,1,0] neg_lo:[0,0,1] neg_hi:[0,0,1]
	v_pk_fma_f32 v[154:155], v[154:155], v[150:151], v[158:159] op_sel:[0,0,1] op_sel_hi:[1,0,0]
	v_mov_b32_e32 v161, v155
	v_pk_mul_f32 v[154:155], v[156:157], v[152:153] op_sel:[0,1]
	s_delay_alu instid0(VALU_DEP_2) | instskip(NEXT) | instid1(VALU_DEP_2)
	v_pk_add_f32 v[114:115], v[114:115], v[160:161] neg_lo:[0,1] neg_hi:[0,1]
	v_pk_fma_f32 v[158:159], v[156:157], v[150:151], v[154:155] op_sel:[0,0,1] op_sel_hi:[1,1,0] neg_lo:[0,0,1] neg_hi:[0,0,1]
	v_pk_fma_f32 v[154:155], v[156:157], v[150:151], v[154:155] op_sel:[0,0,1] op_sel_hi:[1,0,0]
	s_delay_alu instid0(VALU_DEP_1) | instskip(SKIP_4) | instid1(VALU_DEP_1)
	v_mov_b32_e32 v159, v155
	ds_load_2addr_b64 v[154:157], v202 offset0:30 offset1:31
	v_pk_add_f32 v[124:125], v[124:125], v[158:159] neg_lo:[0,1] neg_hi:[0,1]
	s_wait_dscnt 0x0
	v_pk_mul_f32 v[158:159], v[154:155], v[152:153] op_sel:[0,1]
	v_pk_fma_f32 v[160:161], v[154:155], v[150:151], v[158:159] op_sel:[0,0,1] op_sel_hi:[1,1,0] neg_lo:[0,0,1] neg_hi:[0,0,1]
	v_pk_fma_f32 v[154:155], v[154:155], v[150:151], v[158:159] op_sel:[0,0,1] op_sel_hi:[1,0,0]
	v_dual_mul_f32 v158, v157, v153 :: v_dual_mov_b32 v154, v157
	s_delay_alu instid0(VALU_DEP_2) | instskip(NEXT) | instid1(VALU_DEP_2)
	v_dual_mov_b32 v161, v155 :: v_dual_mov_b32 v155, v156
	v_pk_fma_f32 v[158:159], v[156:157], v[22:23], v[158:159] op_sel_hi:[1,1,0] neg_lo:[0,0,1] neg_hi:[0,0,1]
	v_mul_f32_e32 v156, v157, v150
	s_delay_alu instid0(VALU_DEP_3) | instskip(NEXT) | instid1(VALU_DEP_2)
	v_pk_add_f32 v[122:123], v[122:123], v[160:161] neg_lo:[0,1] neg_hi:[0,1]
	v_pk_fma_f32 v[154:155], v[154:155], v[22:23], v[156:157] op_sel_hi:[1,1,0]
	s_delay_alu instid0(VALU_DEP_1) | instskip(SKIP_4) | instid1(VALU_DEP_1)
	v_mov_b32_e32 v159, v155
	ds_load_b64 v[154:155], v202 offset:256
	v_pk_add_f32 v[120:121], v[120:121], v[158:159] neg_lo:[0,1] neg_hi:[0,1]
	s_wait_dscnt 0x0
	v_pk_mul_f32 v[152:153], v[154:155], v[152:153] op_sel:[0,1]
	v_pk_fma_f32 v[156:157], v[154:155], v[150:151], v[152:153] op_sel:[0,0,1] op_sel_hi:[1,1,0] neg_lo:[0,0,1] neg_hi:[0,0,1]
	v_pk_fma_f32 v[150:151], v[154:155], v[150:151], v[152:153] op_sel:[0,0,1] op_sel_hi:[1,0,0]
	s_delay_alu instid0(VALU_DEP_1) | instskip(NEXT) | instid1(VALU_DEP_1)
	v_mov_b32_e32 v157, v151
	v_pk_add_f32 v[130:131], v[130:131], v[156:157] neg_lo:[0,1] neg_hi:[0,1]
.LBB65_73:
	s_or_b32 exec_lo, exec_lo, s1
	s_delay_alu instid0(SALU_CYCLE_1)
	s_mov_b32 s2, exec_lo
	s_wait_dscnt 0x0
	s_barrier_signal -1
	s_barrier_wait -1
	v_cmpx_eq_u32_e32 8, v200
	s_cbranch_execz .LBB65_80
; %bb.74:
	ds_store_b64 v201, v[38:39]
	ds_store_2addr_b64 v202, v[34:35], v[36:37] offset0:9 offset1:10
	ds_store_2addr_b64 v202, v[32:33], v[62:63] offset0:11 offset1:12
	;; [unrolled: 1-line block ×12, first 2 shown]
	ds_load_b64 v[150:151], v201
	s_wait_dscnt 0x0
	v_cmp_neq_f32_e32 vcc_lo, 0, v150
	v_cmp_neq_f32_e64 s1, 0, v151
	s_or_b32 s1, vcc_lo, s1
	s_delay_alu instid0(SALU_CYCLE_1)
	s_and_b32 exec_lo, exec_lo, s1
	s_cbranch_execz .LBB65_80
; %bb.75:
	v_cmp_ngt_f32_e64 s1, |v150|, |v151|
                                        ; implicit-def: $vgpr152_vgpr153
	s_and_saveexec_b32 s4, s1
	s_delay_alu instid0(SALU_CYCLE_1)
	s_xor_b32 s1, exec_lo, s4
	s_cbranch_execz .LBB65_77
; %bb.76:
	v_div_scale_f32 v152, null, v151, v151, v150
	v_div_scale_f32 v155, vcc_lo, v150, v151, v150
	s_delay_alu instid0(VALU_DEP_2) | instskip(SKIP_1) | instid1(TRANS32_DEP_1)
	v_rcp_f32_e32 v153, v152
	v_nop
	v_fma_f32 v154, -v152, v153, 1.0
	s_delay_alu instid0(VALU_DEP_1) | instskip(NEXT) | instid1(VALU_DEP_1)
	v_fmac_f32_e32 v153, v154, v153
	v_mul_f32_e32 v154, v155, v153
	s_delay_alu instid0(VALU_DEP_1) | instskip(NEXT) | instid1(VALU_DEP_1)
	v_fma_f32 v156, -v152, v154, v155
	v_fmac_f32_e32 v154, v156, v153
	s_delay_alu instid0(VALU_DEP_1) | instskip(NEXT) | instid1(VALU_DEP_1)
	v_fma_f32 v152, -v152, v154, v155
	v_div_fmas_f32 v152, v152, v153, v154
	s_delay_alu instid0(VALU_DEP_1) | instskip(NEXT) | instid1(VALU_DEP_1)
	v_div_fixup_f32 v152, v152, v151, v150
	v_fmac_f32_e32 v151, v150, v152
	s_delay_alu instid0(VALU_DEP_1) | instskip(SKIP_1) | instid1(VALU_DEP_2)
	v_div_scale_f32 v150, null, v151, v151, 1.0
	v_div_scale_f32 v155, vcc_lo, 1.0, v151, 1.0
	v_rcp_f32_e32 v153, v150
	v_nop
	s_delay_alu instid0(TRANS32_DEP_1) | instskip(NEXT) | instid1(VALU_DEP_1)
	v_fma_f32 v154, -v150, v153, 1.0
	v_fmac_f32_e32 v153, v154, v153
	s_delay_alu instid0(VALU_DEP_1) | instskip(NEXT) | instid1(VALU_DEP_1)
	v_mul_f32_e32 v154, v155, v153
	v_fma_f32 v156, -v150, v154, v155
	s_delay_alu instid0(VALU_DEP_1) | instskip(NEXT) | instid1(VALU_DEP_1)
	v_fmac_f32_e32 v154, v156, v153
	v_fma_f32 v150, -v150, v154, v155
	s_delay_alu instid0(VALU_DEP_1) | instskip(NEXT) | instid1(VALU_DEP_1)
	v_div_fmas_f32 v150, v150, v153, v154
	v_div_fixup_f32 v150, v150, v151, 1.0
	s_delay_alu instid0(VALU_DEP_1)
	v_mul_f32_e32 v152, v152, v150
	v_xor_b32_e32 v153, 0x80000000, v150
                                        ; implicit-def: $vgpr150_vgpr151
.LBB65_77:
	s_and_not1_saveexec_b32 s1, s1
	s_cbranch_execz .LBB65_79
; %bb.78:
	v_div_scale_f32 v152, null, v150, v150, v151
	v_div_scale_f32 v155, vcc_lo, v151, v150, v151
	s_delay_alu instid0(VALU_DEP_2) | instskip(SKIP_1) | instid1(TRANS32_DEP_1)
	v_rcp_f32_e32 v153, v152
	v_nop
	v_fma_f32 v154, -v152, v153, 1.0
	s_delay_alu instid0(VALU_DEP_1) | instskip(NEXT) | instid1(VALU_DEP_1)
	v_fmac_f32_e32 v153, v154, v153
	v_mul_f32_e32 v154, v155, v153
	s_delay_alu instid0(VALU_DEP_1) | instskip(NEXT) | instid1(VALU_DEP_1)
	v_fma_f32 v156, -v152, v154, v155
	v_fmac_f32_e32 v154, v156, v153
	s_delay_alu instid0(VALU_DEP_1) | instskip(NEXT) | instid1(VALU_DEP_1)
	v_fma_f32 v152, -v152, v154, v155
	v_div_fmas_f32 v152, v152, v153, v154
	s_delay_alu instid0(VALU_DEP_1) | instskip(NEXT) | instid1(VALU_DEP_1)
	v_div_fixup_f32 v153, v152, v150, v151
	v_fmac_f32_e32 v150, v151, v153
	s_delay_alu instid0(VALU_DEP_1) | instskip(NEXT) | instid1(VALU_DEP_1)
	v_div_scale_f32 v151, null, v150, v150, 1.0
	v_rcp_f32_e32 v152, v151
	v_nop
	s_delay_alu instid0(TRANS32_DEP_1) | instskip(NEXT) | instid1(VALU_DEP_1)
	v_fma_f32 v154, -v151, v152, 1.0
	v_fmac_f32_e32 v152, v154, v152
	v_div_scale_f32 v154, vcc_lo, 1.0, v150, 1.0
	s_delay_alu instid0(VALU_DEP_1) | instskip(NEXT) | instid1(VALU_DEP_1)
	v_mul_f32_e32 v155, v154, v152
	v_fma_f32 v156, -v151, v155, v154
	s_delay_alu instid0(VALU_DEP_1) | instskip(NEXT) | instid1(VALU_DEP_1)
	v_fmac_f32_e32 v155, v156, v152
	v_fma_f32 v151, -v151, v155, v154
	s_delay_alu instid0(VALU_DEP_1) | instskip(NEXT) | instid1(VALU_DEP_1)
	v_div_fmas_f32 v151, v151, v152, v155
	v_div_fixup_f32 v152, v151, v150, 1.0
	s_delay_alu instid0(VALU_DEP_1)
	v_mul_f32_e64 v153, v153, -v152
.LBB65_79:
	s_or_b32 exec_lo, exec_lo, s1
	ds_store_b64 v201, v[152:153]
.LBB65_80:
	s_or_b32 exec_lo, exec_lo, s2
	s_wait_dscnt 0x0
	s_barrier_signal -1
	s_barrier_wait -1
	ds_load_b64 v[150:151], v201
	s_mov_b32 s1, exec_lo
	v_cmpx_lt_u32_e32 8, v200
	s_cbranch_execz .LBB65_82
; %bb.81:
	ds_load_2addr_b64 v[156:159], v202 offset0:9 offset1:10
	s_wait_dscnt 0x1
	v_pk_mul_f32 v[154:155], v[150:151], v[38:39] op_sel:[1,1] op_sel_hi:[0,1]
	s_delay_alu instid0(VALU_DEP_1) | instskip(SKIP_1) | instid1(VALU_DEP_1)
	v_pk_fma_f32 v[152:153], v[150:151], v[38:39], v[154:155] op_sel_hi:[1,0,1] neg_lo:[0,0,1] neg_hi:[0,0,1]
	v_pk_fma_f32 v[154:155], v[150:151], v[38:39], v[154:155] op_sel_hi:[1,0,1]
	v_dual_mov_b32 v38, v152 :: v_dual_mov_b32 v39, v155
	s_wait_dscnt 0x0
	s_delay_alu instid0(VALU_DEP_2) | instskip(NEXT) | instid1(VALU_DEP_1)
	v_pk_mul_f32 v[160:161], v[156:157], v[154:155] op_sel:[0,1]
	v_pk_fma_f32 v[162:163], v[156:157], v[152:153], v[160:161] op_sel:[0,0,1] op_sel_hi:[1,1,0] neg_lo:[0,0,1] neg_hi:[0,0,1]
	v_pk_fma_f32 v[156:157], v[156:157], v[152:153], v[160:161] op_sel:[0,0,1] op_sel_hi:[1,0,0]
	s_delay_alu instid0(VALU_DEP_1) | instskip(SKIP_1) | instid1(VALU_DEP_1)
	v_mov_b32_e32 v163, v157
	v_pk_mul_f32 v[156:157], v[158:159], v[154:155] op_sel:[0,1]
	v_pk_fma_f32 v[160:161], v[158:159], v[152:153], v[156:157] op_sel:[0,0,1] op_sel_hi:[1,1,0] neg_lo:[0,0,1] neg_hi:[0,0,1]
	v_pk_fma_f32 v[156:157], v[158:159], v[152:153], v[156:157] op_sel:[0,0,1] op_sel_hi:[1,0,0]
	s_delay_alu instid0(VALU_DEP_1)
	v_mov_b32_e32 v161, v157
	ds_load_2addr_b64 v[156:159], v202 offset0:11 offset1:12
	v_pk_add_f32 v[34:35], v[34:35], v[162:163] neg_lo:[0,1] neg_hi:[0,1]
	v_pk_add_f32 v[36:37], v[36:37], v[160:161] neg_lo:[0,1] neg_hi:[0,1]
	s_wait_dscnt 0x0
	v_pk_mul_f32 v[160:161], v[156:157], v[154:155] op_sel:[0,1]
	s_delay_alu instid0(VALU_DEP_1) | instskip(SKIP_2) | instid1(VALU_DEP_2)
	v_pk_fma_f32 v[162:163], v[156:157], v[152:153], v[160:161] op_sel:[0,0,1] op_sel_hi:[1,1,0] neg_lo:[0,0,1] neg_hi:[0,0,1]
	v_pk_fma_f32 v[156:157], v[156:157], v[152:153], v[160:161] op_sel:[0,0,1] op_sel_hi:[1,0,0]
	v_dual_mul_f32 v160, v159, v155 :: v_dual_mov_b32 v156, v159
	v_dual_mov_b32 v163, v157 :: v_dual_mov_b32 v157, v158
	s_delay_alu instid0(VALU_DEP_2) | instskip(SKIP_1) | instid1(VALU_DEP_3)
	v_pk_fma_f32 v[160:161], v[158:159], v[38:39], v[160:161] op_sel_hi:[1,1,0] neg_lo:[0,0,1] neg_hi:[0,0,1]
	v_mul_f32_e32 v158, v159, v152
	v_pk_add_f32 v[32:33], v[32:33], v[162:163] neg_lo:[0,1] neg_hi:[0,1]
	s_delay_alu instid0(VALU_DEP_2) | instskip(NEXT) | instid1(VALU_DEP_1)
	v_pk_fma_f32 v[156:157], v[156:157], v[38:39], v[158:159] op_sel_hi:[1,1,0]
	v_mov_b32_e32 v161, v157
	ds_load_2addr_b64 v[156:159], v202 offset0:13 offset1:14
	v_pk_add_f32 v[62:63], v[62:63], v[160:161] neg_lo:[0,1] neg_hi:[0,1]
	s_wait_dscnt 0x0
	v_pk_mul_f32 v[160:161], v[156:157], v[154:155] op_sel:[0,1]
	s_delay_alu instid0(VALU_DEP_1) | instskip(SKIP_1) | instid1(VALU_DEP_1)
	v_pk_fma_f32 v[162:163], v[156:157], v[152:153], v[160:161] op_sel:[0,0,1] op_sel_hi:[1,1,0] neg_lo:[0,0,1] neg_hi:[0,0,1]
	v_pk_fma_f32 v[156:157], v[156:157], v[152:153], v[160:161] op_sel:[0,0,1] op_sel_hi:[1,0,0]
	v_mov_b32_e32 v163, v157
	v_pk_mul_f32 v[156:157], v[158:159], v[154:155] op_sel:[0,1]
	s_delay_alu instid0(VALU_DEP_1) | instskip(SKIP_1) | instid1(VALU_DEP_1)
	v_pk_fma_f32 v[160:161], v[158:159], v[152:153], v[156:157] op_sel:[0,0,1] op_sel_hi:[1,1,0] neg_lo:[0,0,1] neg_hi:[0,0,1]
	v_pk_fma_f32 v[156:157], v[158:159], v[152:153], v[156:157] op_sel:[0,0,1] op_sel_hi:[1,0,0]
	v_mov_b32_e32 v161, v157
	ds_load_2addr_b64 v[156:159], v202 offset0:15 offset1:16
	v_pk_add_f32 v[58:59], v[58:59], v[162:163] neg_lo:[0,1] neg_hi:[0,1]
	v_pk_add_f32 v[60:61], v[60:61], v[160:161] neg_lo:[0,1] neg_hi:[0,1]
	s_wait_dscnt 0x0
	v_pk_mul_f32 v[160:161], v[156:157], v[154:155] op_sel:[0,1]
	s_delay_alu instid0(VALU_DEP_1) | instskip(SKIP_1) | instid1(VALU_DEP_1)
	v_pk_fma_f32 v[162:163], v[156:157], v[152:153], v[160:161] op_sel:[0,0,1] op_sel_hi:[1,1,0] neg_lo:[0,0,1] neg_hi:[0,0,1]
	v_pk_fma_f32 v[156:157], v[156:157], v[152:153], v[160:161] op_sel:[0,0,1] op_sel_hi:[1,0,0]
	v_mov_b32_e32 v163, v157
	v_pk_mul_f32 v[156:157], v[158:159], v[154:155] op_sel:[0,1]
	s_delay_alu instid0(VALU_DEP_1) | instskip(SKIP_1) | instid1(VALU_DEP_1)
	v_pk_fma_f32 v[160:161], v[158:159], v[152:153], v[156:157] op_sel:[0,0,1] op_sel_hi:[1,1,0] neg_lo:[0,0,1] neg_hi:[0,0,1]
	v_pk_fma_f32 v[156:157], v[158:159], v[152:153], v[156:157] op_sel:[0,0,1] op_sel_hi:[1,0,0]
	v_mov_b32_e32 v161, v157
	ds_load_2addr_b64 v[156:159], v202 offset0:17 offset1:18
	v_pk_add_f32 v[56:57], v[56:57], v[162:163] neg_lo:[0,1] neg_hi:[0,1]
	v_pk_add_f32 v[82:83], v[82:83], v[160:161] neg_lo:[0,1] neg_hi:[0,1]
	s_wait_dscnt 0x0
	v_dual_mul_f32 v160, v157, v155 :: v_dual_mul_f32 v162, v157, v152
	s_delay_alu instid0(VALU_DEP_1) | instskip(NEXT) | instid1(VALU_DEP_2)
	v_pk_fma_f32 v[160:161], v[156:157], v[38:39], v[160:161] op_sel_hi:[1,1,0] neg_lo:[0,0,1] neg_hi:[0,0,1]
	v_pk_fma_f32 v[156:157], v[156:157], v[38:39], v[162:163] op_sel:[1,0,0] op_sel_hi:[0,1,0]
	s_delay_alu instid0(VALU_DEP_1) | instskip(SKIP_1) | instid1(VALU_DEP_2)
	v_mov_b32_e32 v161, v157
	v_pk_mul_f32 v[156:157], v[158:159], v[154:155] op_sel:[0,1]
	v_pk_add_f32 v[78:79], v[78:79], v[160:161] neg_lo:[0,1] neg_hi:[0,1]
	s_delay_alu instid0(VALU_DEP_2) | instskip(SKIP_1) | instid1(VALU_DEP_1)
	v_pk_fma_f32 v[160:161], v[158:159], v[152:153], v[156:157] op_sel:[0,0,1] op_sel_hi:[1,1,0] neg_lo:[0,0,1] neg_hi:[0,0,1]
	v_pk_fma_f32 v[156:157], v[158:159], v[152:153], v[156:157] op_sel:[0,0,1] op_sel_hi:[1,0,0]
	v_mov_b32_e32 v161, v157
	ds_load_2addr_b64 v[156:159], v202 offset0:19 offset1:20
	v_pk_add_f32 v[80:81], v[80:81], v[160:161] neg_lo:[0,1] neg_hi:[0,1]
	s_wait_dscnt 0x0
	v_pk_mul_f32 v[160:161], v[156:157], v[154:155] op_sel:[0,1]
	s_delay_alu instid0(VALU_DEP_1) | instskip(SKIP_1) | instid1(VALU_DEP_1)
	v_pk_fma_f32 v[162:163], v[156:157], v[152:153], v[160:161] op_sel:[0,0,1] op_sel_hi:[1,1,0] neg_lo:[0,0,1] neg_hi:[0,0,1]
	v_pk_fma_f32 v[156:157], v[156:157], v[152:153], v[160:161] op_sel:[0,0,1] op_sel_hi:[1,0,0]
	v_mov_b32_e32 v163, v157
	v_pk_mul_f32 v[156:157], v[158:159], v[154:155] op_sel:[0,1]
	s_delay_alu instid0(VALU_DEP_2) | instskip(NEXT) | instid1(VALU_DEP_2)
	v_pk_add_f32 v[76:77], v[76:77], v[162:163] neg_lo:[0,1] neg_hi:[0,1]
	v_pk_fma_f32 v[160:161], v[158:159], v[152:153], v[156:157] op_sel:[0,0,1] op_sel_hi:[1,1,0] neg_lo:[0,0,1] neg_hi:[0,0,1]
	v_pk_fma_f32 v[156:157], v[158:159], v[152:153], v[156:157] op_sel:[0,0,1] op_sel_hi:[1,0,0]
	s_delay_alu instid0(VALU_DEP_1) | instskip(SKIP_4) | instid1(VALU_DEP_1)
	v_mov_b32_e32 v161, v157
	ds_load_2addr_b64 v[156:159], v202 offset0:21 offset1:22
	v_pk_add_f32 v[98:99], v[98:99], v[160:161] neg_lo:[0,1] neg_hi:[0,1]
	s_wait_dscnt 0x0
	v_pk_mul_f32 v[160:161], v[156:157], v[154:155] op_sel:[0,1]
	v_pk_fma_f32 v[162:163], v[156:157], v[152:153], v[160:161] op_sel:[0,0,1] op_sel_hi:[1,1,0] neg_lo:[0,0,1] neg_hi:[0,0,1]
	v_pk_fma_f32 v[156:157], v[156:157], v[152:153], v[160:161] op_sel:[0,0,1] op_sel_hi:[1,0,0]
	v_dual_mul_f32 v160, v159, v155 :: v_dual_mov_b32 v156, v159
	s_delay_alu instid0(VALU_DEP_2) | instskip(NEXT) | instid1(VALU_DEP_2)
	v_dual_mov_b32 v163, v157 :: v_dual_mov_b32 v157, v158
	v_pk_fma_f32 v[160:161], v[158:159], v[38:39], v[160:161] op_sel_hi:[1,1,0] neg_lo:[0,0,1] neg_hi:[0,0,1]
	v_mul_f32_e32 v158, v159, v152
	s_delay_alu instid0(VALU_DEP_3) | instskip(NEXT) | instid1(VALU_DEP_2)
	v_pk_add_f32 v[132:133], v[132:133], v[162:163] neg_lo:[0,1] neg_hi:[0,1]
	v_pk_fma_f32 v[156:157], v[156:157], v[38:39], v[158:159] op_sel_hi:[1,1,0]
	s_delay_alu instid0(VALU_DEP_1) | instskip(SKIP_4) | instid1(VALU_DEP_1)
	v_mov_b32_e32 v161, v157
	ds_load_2addr_b64 v[156:159], v202 offset0:23 offset1:24
	v_pk_add_f32 v[128:129], v[128:129], v[160:161] neg_lo:[0,1] neg_hi:[0,1]
	s_wait_dscnt 0x0
	v_pk_mul_f32 v[160:161], v[156:157], v[154:155] op_sel:[0,1]
	v_pk_fma_f32 v[162:163], v[156:157], v[152:153], v[160:161] op_sel:[0,0,1] op_sel_hi:[1,1,0] neg_lo:[0,0,1] neg_hi:[0,0,1]
	v_pk_fma_f32 v[156:157], v[156:157], v[152:153], v[160:161] op_sel:[0,0,1] op_sel_hi:[1,0,0]
	s_delay_alu instid0(VALU_DEP_1) | instskip(SKIP_1) | instid1(VALU_DEP_1)
	v_mov_b32_e32 v163, v157
	v_pk_mul_f32 v[156:157], v[158:159], v[154:155] op_sel:[0,1]
	v_pk_fma_f32 v[160:161], v[158:159], v[152:153], v[156:157] op_sel:[0,0,1] op_sel_hi:[1,1,0] neg_lo:[0,0,1] neg_hi:[0,0,1]
	v_pk_fma_f32 v[156:157], v[158:159], v[152:153], v[156:157] op_sel:[0,0,1] op_sel_hi:[1,0,0]
	s_delay_alu instid0(VALU_DEP_1)
	v_mov_b32_e32 v161, v157
	ds_load_2addr_b64 v[156:159], v202 offset0:25 offset1:26
	v_pk_add_f32 v[126:127], v[126:127], v[162:163] neg_lo:[0,1] neg_hi:[0,1]
	v_pk_add_f32 v[118:119], v[118:119], v[160:161] neg_lo:[0,1] neg_hi:[0,1]
	s_wait_dscnt 0x0
	v_pk_mul_f32 v[160:161], v[156:157], v[154:155] op_sel:[0,1]
	s_delay_alu instid0(VALU_DEP_1) | instskip(SKIP_1) | instid1(VALU_DEP_1)
	v_pk_fma_f32 v[162:163], v[156:157], v[152:153], v[160:161] op_sel:[0,0,1] op_sel_hi:[1,1,0] neg_lo:[0,0,1] neg_hi:[0,0,1]
	v_pk_fma_f32 v[156:157], v[156:157], v[152:153], v[160:161] op_sel:[0,0,1] op_sel_hi:[1,0,0]
	v_mov_b32_e32 v163, v157
	v_pk_mul_f32 v[156:157], v[158:159], v[154:155] op_sel:[0,1]
	s_delay_alu instid0(VALU_DEP_1) | instskip(SKIP_1) | instid1(VALU_DEP_1)
	v_pk_fma_f32 v[160:161], v[158:159], v[152:153], v[156:157] op_sel:[0,0,1] op_sel_hi:[1,1,0] neg_lo:[0,0,1] neg_hi:[0,0,1]
	v_pk_fma_f32 v[156:157], v[158:159], v[152:153], v[156:157] op_sel:[0,0,1] op_sel_hi:[1,0,0]
	v_mov_b32_e32 v161, v157
	ds_load_2addr_b64 v[156:159], v202 offset0:27 offset1:28
	v_pk_add_f32 v[112:113], v[112:113], v[162:163] neg_lo:[0,1] neg_hi:[0,1]
	v_pk_add_f32 v[116:117], v[116:117], v[160:161] neg_lo:[0,1] neg_hi:[0,1]
	s_wait_dscnt 0x0
	v_dual_mul_f32 v160, v157, v155 :: v_dual_mul_f32 v162, v157, v152
	s_delay_alu instid0(VALU_DEP_1) | instskip(NEXT) | instid1(VALU_DEP_2)
	v_pk_fma_f32 v[160:161], v[156:157], v[38:39], v[160:161] op_sel_hi:[1,1,0] neg_lo:[0,0,1] neg_hi:[0,0,1]
	v_pk_fma_f32 v[156:157], v[156:157], v[38:39], v[162:163] op_sel:[1,0,0] op_sel_hi:[0,1,0]
	s_delay_alu instid0(VALU_DEP_1) | instskip(SKIP_1) | instid1(VALU_DEP_2)
	v_mov_b32_e32 v161, v157
	v_pk_mul_f32 v[156:157], v[158:159], v[154:155] op_sel:[0,1]
	v_pk_add_f32 v[110:111], v[110:111], v[160:161] neg_lo:[0,1] neg_hi:[0,1]
	s_delay_alu instid0(VALU_DEP_2) | instskip(SKIP_1) | instid1(VALU_DEP_1)
	v_pk_fma_f32 v[160:161], v[158:159], v[152:153], v[156:157] op_sel:[0,0,1] op_sel_hi:[1,1,0] neg_lo:[0,0,1] neg_hi:[0,0,1]
	v_pk_fma_f32 v[156:157], v[158:159], v[152:153], v[156:157] op_sel:[0,0,1] op_sel_hi:[1,0,0]
	v_mov_b32_e32 v161, v157
	ds_load_2addr_b64 v[156:159], v202 offset0:29 offset1:30
	v_pk_add_f32 v[114:115], v[114:115], v[160:161] neg_lo:[0,1] neg_hi:[0,1]
	s_wait_dscnt 0x0
	v_pk_mul_f32 v[160:161], v[156:157], v[154:155] op_sel:[0,1]
	s_delay_alu instid0(VALU_DEP_1) | instskip(SKIP_1) | instid1(VALU_DEP_1)
	v_pk_fma_f32 v[162:163], v[156:157], v[152:153], v[160:161] op_sel:[0,0,1] op_sel_hi:[1,1,0] neg_lo:[0,0,1] neg_hi:[0,0,1]
	v_pk_fma_f32 v[156:157], v[156:157], v[152:153], v[160:161] op_sel:[0,0,1] op_sel_hi:[1,0,0]
	v_mov_b32_e32 v163, v157
	v_pk_mul_f32 v[156:157], v[158:159], v[154:155] op_sel:[0,1]
	s_delay_alu instid0(VALU_DEP_2) | instskip(NEXT) | instid1(VALU_DEP_2)
	v_pk_add_f32 v[124:125], v[124:125], v[162:163] neg_lo:[0,1] neg_hi:[0,1]
	v_pk_fma_f32 v[160:161], v[158:159], v[152:153], v[156:157] op_sel:[0,0,1] op_sel_hi:[1,1,0] neg_lo:[0,0,1] neg_hi:[0,0,1]
	v_pk_fma_f32 v[156:157], v[158:159], v[152:153], v[156:157] op_sel:[0,0,1] op_sel_hi:[1,0,0]
	s_delay_alu instid0(VALU_DEP_1)
	v_mov_b32_e32 v161, v157
	ds_load_2addr_b64 v[156:159], v202 offset0:31 offset1:32
	v_pk_add_f32 v[122:123], v[122:123], v[160:161] neg_lo:[0,1] neg_hi:[0,1]
	s_wait_dscnt 0x0
	v_pk_mul_f32 v[160:161], v[156:157], v[154:155] op_sel:[0,1]
	v_mul_f32_e32 v154, v159, v155
	s_delay_alu instid0(VALU_DEP_2) | instskip(SKIP_2) | instid1(VALU_DEP_4)
	v_pk_fma_f32 v[162:163], v[156:157], v[152:153], v[160:161] op_sel:[0,0,1] op_sel_hi:[1,1,0] neg_lo:[0,0,1] neg_hi:[0,0,1]
	v_pk_fma_f32 v[156:157], v[156:157], v[152:153], v[160:161] op_sel:[0,0,1] op_sel_hi:[1,0,0]
	v_dual_mov_b32 v156, v159 :: v_dual_mul_f32 v152, v159, v152
	v_pk_fma_f32 v[154:155], v[158:159], v[38:39], v[154:155] op_sel_hi:[1,1,0] neg_lo:[0,0,1] neg_hi:[0,0,1]
	s_delay_alu instid0(VALU_DEP_3) | instskip(NEXT) | instid1(VALU_DEP_1)
	v_dual_mov_b32 v163, v157 :: v_dual_mov_b32 v157, v158
	v_pk_add_f32 v[120:121], v[120:121], v[162:163] neg_lo:[0,1] neg_hi:[0,1]
	s_delay_alu instid0(VALU_DEP_2) | instskip(NEXT) | instid1(VALU_DEP_1)
	v_pk_fma_f32 v[152:153], v[156:157], v[38:39], v[152:153] op_sel_hi:[1,1,0]
	v_mov_b32_e32 v155, v153
	s_delay_alu instid0(VALU_DEP_1)
	v_pk_add_f32 v[130:131], v[130:131], v[154:155] neg_lo:[0,1] neg_hi:[0,1]
.LBB65_82:
	s_or_b32 exec_lo, exec_lo, s1
	s_delay_alu instid0(SALU_CYCLE_1)
	s_mov_b32 s2, exec_lo
	s_wait_dscnt 0x0
	s_barrier_signal -1
	s_barrier_wait -1
	v_cmpx_eq_u32_e32 9, v200
	s_cbranch_execz .LBB65_89
; %bb.83:
	v_dual_mov_b32 v152, v36 :: v_dual_mov_b32 v153, v37
	v_dual_mov_b32 v154, v32 :: v_dual_mov_b32 v155, v33
	;; [unrolled: 1-line block ×10, first 2 shown]
	ds_store_b64 v201, v[34:35]
	v_dual_mov_b32 v172, v98 :: v_dual_mov_b32 v173, v99
	v_dual_mov_b32 v174, v132 :: v_dual_mov_b32 v175, v133
	ds_store_2addr_b64 v202, v[152:153], v[154:155] offset0:10 offset1:11
	ds_store_2addr_b64 v202, v[156:157], v[158:159] offset0:12 offset1:13
	;; [unrolled: 1-line block ×6, first 2 shown]
	v_dual_mov_b32 v152, v128 :: v_dual_mov_b32 v153, v129
	v_dual_mov_b32 v154, v126 :: v_dual_mov_b32 v155, v127
	;; [unrolled: 1-line block ×10, first 2 shown]
	ds_store_2addr_b64 v202, v[152:153], v[154:155] offset0:22 offset1:23
	ds_store_2addr_b64 v202, v[156:157], v[158:159] offset0:24 offset1:25
	;; [unrolled: 1-line block ×5, first 2 shown]
	ds_store_b64 v202, v[130:131] offset:256
	ds_load_b64 v[152:153], v201
	s_wait_dscnt 0x0
	v_cmp_neq_f32_e32 vcc_lo, 0, v152
	v_cmp_neq_f32_e64 s1, 0, v153
	s_or_b32 s1, vcc_lo, s1
	s_delay_alu instid0(SALU_CYCLE_1)
	s_and_b32 exec_lo, exec_lo, s1
	s_cbranch_execz .LBB65_89
; %bb.84:
	v_cmp_ngt_f32_e64 s1, |v152|, |v153|
                                        ; implicit-def: $vgpr154_vgpr155
	s_and_saveexec_b32 s4, s1
	s_delay_alu instid0(SALU_CYCLE_1)
	s_xor_b32 s1, exec_lo, s4
	s_cbranch_execz .LBB65_86
; %bb.85:
	v_div_scale_f32 v154, null, v153, v153, v152
	v_div_scale_f32 v157, vcc_lo, v152, v153, v152
	s_delay_alu instid0(VALU_DEP_2) | instskip(SKIP_1) | instid1(TRANS32_DEP_1)
	v_rcp_f32_e32 v155, v154
	v_nop
	v_fma_f32 v156, -v154, v155, 1.0
	s_delay_alu instid0(VALU_DEP_1) | instskip(NEXT) | instid1(VALU_DEP_1)
	v_fmac_f32_e32 v155, v156, v155
	v_mul_f32_e32 v156, v157, v155
	s_delay_alu instid0(VALU_DEP_1) | instskip(NEXT) | instid1(VALU_DEP_1)
	v_fma_f32 v158, -v154, v156, v157
	v_fmac_f32_e32 v156, v158, v155
	s_delay_alu instid0(VALU_DEP_1) | instskip(NEXT) | instid1(VALU_DEP_1)
	v_fma_f32 v154, -v154, v156, v157
	v_div_fmas_f32 v154, v154, v155, v156
	s_delay_alu instid0(VALU_DEP_1) | instskip(NEXT) | instid1(VALU_DEP_1)
	v_div_fixup_f32 v154, v154, v153, v152
	v_fmac_f32_e32 v153, v152, v154
	s_delay_alu instid0(VALU_DEP_1) | instskip(SKIP_1) | instid1(VALU_DEP_2)
	v_div_scale_f32 v152, null, v153, v153, 1.0
	v_div_scale_f32 v157, vcc_lo, 1.0, v153, 1.0
	v_rcp_f32_e32 v155, v152
	v_nop
	s_delay_alu instid0(TRANS32_DEP_1) | instskip(NEXT) | instid1(VALU_DEP_1)
	v_fma_f32 v156, -v152, v155, 1.0
	v_fmac_f32_e32 v155, v156, v155
	s_delay_alu instid0(VALU_DEP_1) | instskip(NEXT) | instid1(VALU_DEP_1)
	v_mul_f32_e32 v156, v157, v155
	v_fma_f32 v158, -v152, v156, v157
	s_delay_alu instid0(VALU_DEP_1) | instskip(NEXT) | instid1(VALU_DEP_1)
	v_fmac_f32_e32 v156, v158, v155
	v_fma_f32 v152, -v152, v156, v157
	s_delay_alu instid0(VALU_DEP_1) | instskip(NEXT) | instid1(VALU_DEP_1)
	v_div_fmas_f32 v152, v152, v155, v156
	v_div_fixup_f32 v152, v152, v153, 1.0
	s_delay_alu instid0(VALU_DEP_1)
	v_mul_f32_e32 v154, v154, v152
	v_xor_b32_e32 v155, 0x80000000, v152
                                        ; implicit-def: $vgpr152_vgpr153
.LBB65_86:
	s_and_not1_saveexec_b32 s1, s1
	s_cbranch_execz .LBB65_88
; %bb.87:
	v_div_scale_f32 v154, null, v152, v152, v153
	v_div_scale_f32 v157, vcc_lo, v153, v152, v153
	s_delay_alu instid0(VALU_DEP_2) | instskip(SKIP_1) | instid1(TRANS32_DEP_1)
	v_rcp_f32_e32 v155, v154
	v_nop
	v_fma_f32 v156, -v154, v155, 1.0
	s_delay_alu instid0(VALU_DEP_1) | instskip(NEXT) | instid1(VALU_DEP_1)
	v_fmac_f32_e32 v155, v156, v155
	v_mul_f32_e32 v156, v157, v155
	s_delay_alu instid0(VALU_DEP_1) | instskip(NEXT) | instid1(VALU_DEP_1)
	v_fma_f32 v158, -v154, v156, v157
	v_fmac_f32_e32 v156, v158, v155
	s_delay_alu instid0(VALU_DEP_1) | instskip(NEXT) | instid1(VALU_DEP_1)
	v_fma_f32 v154, -v154, v156, v157
	v_div_fmas_f32 v154, v154, v155, v156
	s_delay_alu instid0(VALU_DEP_1) | instskip(NEXT) | instid1(VALU_DEP_1)
	v_div_fixup_f32 v155, v154, v152, v153
	v_fmac_f32_e32 v152, v153, v155
	s_delay_alu instid0(VALU_DEP_1) | instskip(NEXT) | instid1(VALU_DEP_1)
	v_div_scale_f32 v153, null, v152, v152, 1.0
	v_rcp_f32_e32 v154, v153
	v_nop
	s_delay_alu instid0(TRANS32_DEP_1) | instskip(NEXT) | instid1(VALU_DEP_1)
	v_fma_f32 v156, -v153, v154, 1.0
	v_fmac_f32_e32 v154, v156, v154
	v_div_scale_f32 v156, vcc_lo, 1.0, v152, 1.0
	s_delay_alu instid0(VALU_DEP_1) | instskip(NEXT) | instid1(VALU_DEP_1)
	v_mul_f32_e32 v157, v156, v154
	v_fma_f32 v158, -v153, v157, v156
	s_delay_alu instid0(VALU_DEP_1) | instskip(NEXT) | instid1(VALU_DEP_1)
	v_fmac_f32_e32 v157, v158, v154
	v_fma_f32 v153, -v153, v157, v156
	s_delay_alu instid0(VALU_DEP_1) | instskip(NEXT) | instid1(VALU_DEP_1)
	v_div_fmas_f32 v153, v153, v154, v157
	v_div_fixup_f32 v154, v153, v152, 1.0
	s_delay_alu instid0(VALU_DEP_1)
	v_mul_f32_e64 v155, v155, -v154
.LBB65_88:
	s_or_b32 exec_lo, exec_lo, s1
	ds_store_b64 v201, v[154:155]
.LBB65_89:
	s_or_b32 exec_lo, exec_lo, s2
	s_wait_dscnt 0x0
	s_barrier_signal -1
	s_barrier_wait -1
	ds_load_b64 v[152:153], v201
	s_mov_b32 s1, exec_lo
	v_cmpx_lt_u32_e32 9, v200
	s_cbranch_execz .LBB65_91
; %bb.90:
	ds_load_2addr_b64 v[158:161], v202 offset0:10 offset1:11
	s_wait_dscnt 0x1
	v_pk_mul_f32 v[156:157], v[152:153], v[34:35] op_sel:[1,1] op_sel_hi:[0,1]
	s_delay_alu instid0(VALU_DEP_1) | instskip(SKIP_1) | instid1(VALU_DEP_1)
	v_pk_fma_f32 v[154:155], v[152:153], v[34:35], v[156:157] op_sel_hi:[1,0,1] neg_lo:[0,0,1] neg_hi:[0,0,1]
	v_pk_fma_f32 v[156:157], v[152:153], v[34:35], v[156:157] op_sel_hi:[1,0,1]
	v_dual_mov_b32 v34, v154 :: v_dual_mov_b32 v35, v157
	s_wait_dscnt 0x0
	s_delay_alu instid0(VALU_DEP_2) | instskip(NEXT) | instid1(VALU_DEP_1)
	v_pk_mul_f32 v[162:163], v[158:159], v[156:157] op_sel:[0,1]
	v_pk_fma_f32 v[164:165], v[158:159], v[154:155], v[162:163] op_sel:[0,0,1] op_sel_hi:[1,1,0] neg_lo:[0,0,1] neg_hi:[0,0,1]
	v_pk_fma_f32 v[158:159], v[158:159], v[154:155], v[162:163] op_sel:[0,0,1] op_sel_hi:[1,0,0]
	s_delay_alu instid0(VALU_DEP_1) | instskip(SKIP_1) | instid1(VALU_DEP_1)
	v_mov_b32_e32 v165, v159
	v_pk_mul_f32 v[158:159], v[160:161], v[156:157] op_sel:[0,1]
	v_pk_fma_f32 v[162:163], v[160:161], v[154:155], v[158:159] op_sel:[0,0,1] op_sel_hi:[1,1,0] neg_lo:[0,0,1] neg_hi:[0,0,1]
	v_pk_fma_f32 v[158:159], v[160:161], v[154:155], v[158:159] op_sel:[0,0,1] op_sel_hi:[1,0,0]
	s_delay_alu instid0(VALU_DEP_1)
	v_mov_b32_e32 v163, v159
	ds_load_2addr_b64 v[158:161], v202 offset0:12 offset1:13
	v_pk_add_f32 v[36:37], v[36:37], v[164:165] neg_lo:[0,1] neg_hi:[0,1]
	v_pk_add_f32 v[32:33], v[32:33], v[162:163] neg_lo:[0,1] neg_hi:[0,1]
	s_wait_dscnt 0x0
	v_pk_mul_f32 v[162:163], v[158:159], v[156:157] op_sel:[0,1]
	s_delay_alu instid0(VALU_DEP_1) | instskip(SKIP_2) | instid1(VALU_DEP_2)
	v_pk_fma_f32 v[164:165], v[158:159], v[154:155], v[162:163] op_sel:[0,0,1] op_sel_hi:[1,1,0] neg_lo:[0,0,1] neg_hi:[0,0,1]
	v_pk_fma_f32 v[158:159], v[158:159], v[154:155], v[162:163] op_sel:[0,0,1] op_sel_hi:[1,0,0]
	v_dual_mul_f32 v162, v161, v157 :: v_dual_mov_b32 v158, v161
	v_dual_mov_b32 v165, v159 :: v_dual_mov_b32 v159, v160
	s_delay_alu instid0(VALU_DEP_2) | instskip(SKIP_1) | instid1(VALU_DEP_3)
	v_pk_fma_f32 v[162:163], v[160:161], v[34:35], v[162:163] op_sel_hi:[1,1,0] neg_lo:[0,0,1] neg_hi:[0,0,1]
	v_mul_f32_e32 v160, v161, v154
	v_pk_add_f32 v[62:63], v[62:63], v[164:165] neg_lo:[0,1] neg_hi:[0,1]
	s_delay_alu instid0(VALU_DEP_2) | instskip(NEXT) | instid1(VALU_DEP_1)
	v_pk_fma_f32 v[158:159], v[158:159], v[34:35], v[160:161] op_sel_hi:[1,1,0]
	v_mov_b32_e32 v163, v159
	ds_load_2addr_b64 v[158:161], v202 offset0:14 offset1:15
	v_pk_add_f32 v[58:59], v[58:59], v[162:163] neg_lo:[0,1] neg_hi:[0,1]
	s_wait_dscnt 0x0
	v_pk_mul_f32 v[162:163], v[158:159], v[156:157] op_sel:[0,1]
	s_delay_alu instid0(VALU_DEP_1) | instskip(SKIP_1) | instid1(VALU_DEP_1)
	v_pk_fma_f32 v[164:165], v[158:159], v[154:155], v[162:163] op_sel:[0,0,1] op_sel_hi:[1,1,0] neg_lo:[0,0,1] neg_hi:[0,0,1]
	v_pk_fma_f32 v[158:159], v[158:159], v[154:155], v[162:163] op_sel:[0,0,1] op_sel_hi:[1,0,0]
	v_mov_b32_e32 v165, v159
	v_pk_mul_f32 v[158:159], v[160:161], v[156:157] op_sel:[0,1]
	s_delay_alu instid0(VALU_DEP_1) | instskip(SKIP_1) | instid1(VALU_DEP_1)
	v_pk_fma_f32 v[162:163], v[160:161], v[154:155], v[158:159] op_sel:[0,0,1] op_sel_hi:[1,1,0] neg_lo:[0,0,1] neg_hi:[0,0,1]
	v_pk_fma_f32 v[158:159], v[160:161], v[154:155], v[158:159] op_sel:[0,0,1] op_sel_hi:[1,0,0]
	v_mov_b32_e32 v163, v159
	ds_load_2addr_b64 v[158:161], v202 offset0:16 offset1:17
	v_pk_add_f32 v[60:61], v[60:61], v[164:165] neg_lo:[0,1] neg_hi:[0,1]
	v_pk_add_f32 v[56:57], v[56:57], v[162:163] neg_lo:[0,1] neg_hi:[0,1]
	s_wait_dscnt 0x0
	v_pk_mul_f32 v[162:163], v[158:159], v[156:157] op_sel:[0,1]
	s_delay_alu instid0(VALU_DEP_1) | instskip(SKIP_1) | instid1(VALU_DEP_1)
	v_pk_fma_f32 v[164:165], v[158:159], v[154:155], v[162:163] op_sel:[0,0,1] op_sel_hi:[1,1,0] neg_lo:[0,0,1] neg_hi:[0,0,1]
	v_pk_fma_f32 v[158:159], v[158:159], v[154:155], v[162:163] op_sel:[0,0,1] op_sel_hi:[1,0,0]
	v_mov_b32_e32 v165, v159
	v_pk_mul_f32 v[158:159], v[160:161], v[156:157] op_sel:[0,1]
	s_delay_alu instid0(VALU_DEP_1) | instskip(SKIP_1) | instid1(VALU_DEP_1)
	v_pk_fma_f32 v[162:163], v[160:161], v[154:155], v[158:159] op_sel:[0,0,1] op_sel_hi:[1,1,0] neg_lo:[0,0,1] neg_hi:[0,0,1]
	v_pk_fma_f32 v[158:159], v[160:161], v[154:155], v[158:159] op_sel:[0,0,1] op_sel_hi:[1,0,0]
	v_mov_b32_e32 v163, v159
	ds_load_2addr_b64 v[158:161], v202 offset0:18 offset1:19
	v_pk_add_f32 v[82:83], v[82:83], v[164:165] neg_lo:[0,1] neg_hi:[0,1]
	v_pk_add_f32 v[78:79], v[78:79], v[162:163] neg_lo:[0,1] neg_hi:[0,1]
	s_wait_dscnt 0x0
	v_dual_mul_f32 v162, v159, v157 :: v_dual_mul_f32 v164, v159, v154
	s_delay_alu instid0(VALU_DEP_1) | instskip(NEXT) | instid1(VALU_DEP_2)
	v_pk_fma_f32 v[162:163], v[158:159], v[34:35], v[162:163] op_sel_hi:[1,1,0] neg_lo:[0,0,1] neg_hi:[0,0,1]
	v_pk_fma_f32 v[158:159], v[158:159], v[34:35], v[164:165] op_sel:[1,0,0] op_sel_hi:[0,1,0]
	s_delay_alu instid0(VALU_DEP_1) | instskip(SKIP_1) | instid1(VALU_DEP_2)
	v_mov_b32_e32 v163, v159
	v_pk_mul_f32 v[158:159], v[160:161], v[156:157] op_sel:[0,1]
	v_pk_add_f32 v[80:81], v[80:81], v[162:163] neg_lo:[0,1] neg_hi:[0,1]
	s_delay_alu instid0(VALU_DEP_2) | instskip(SKIP_1) | instid1(VALU_DEP_1)
	v_pk_fma_f32 v[162:163], v[160:161], v[154:155], v[158:159] op_sel:[0,0,1] op_sel_hi:[1,1,0] neg_lo:[0,0,1] neg_hi:[0,0,1]
	v_pk_fma_f32 v[158:159], v[160:161], v[154:155], v[158:159] op_sel:[0,0,1] op_sel_hi:[1,0,0]
	v_mov_b32_e32 v163, v159
	ds_load_2addr_b64 v[158:161], v202 offset0:20 offset1:21
	v_pk_add_f32 v[76:77], v[76:77], v[162:163] neg_lo:[0,1] neg_hi:[0,1]
	s_wait_dscnt 0x0
	v_pk_mul_f32 v[162:163], v[158:159], v[156:157] op_sel:[0,1]
	s_delay_alu instid0(VALU_DEP_1) | instskip(SKIP_1) | instid1(VALU_DEP_1)
	v_pk_fma_f32 v[164:165], v[158:159], v[154:155], v[162:163] op_sel:[0,0,1] op_sel_hi:[1,1,0] neg_lo:[0,0,1] neg_hi:[0,0,1]
	v_pk_fma_f32 v[158:159], v[158:159], v[154:155], v[162:163] op_sel:[0,0,1] op_sel_hi:[1,0,0]
	v_mov_b32_e32 v165, v159
	v_pk_mul_f32 v[158:159], v[160:161], v[156:157] op_sel:[0,1]
	s_delay_alu instid0(VALU_DEP_2) | instskip(NEXT) | instid1(VALU_DEP_2)
	v_pk_add_f32 v[98:99], v[98:99], v[164:165] neg_lo:[0,1] neg_hi:[0,1]
	v_pk_fma_f32 v[162:163], v[160:161], v[154:155], v[158:159] op_sel:[0,0,1] op_sel_hi:[1,1,0] neg_lo:[0,0,1] neg_hi:[0,0,1]
	v_pk_fma_f32 v[158:159], v[160:161], v[154:155], v[158:159] op_sel:[0,0,1] op_sel_hi:[1,0,0]
	s_delay_alu instid0(VALU_DEP_1) | instskip(SKIP_4) | instid1(VALU_DEP_1)
	v_mov_b32_e32 v163, v159
	ds_load_2addr_b64 v[158:161], v202 offset0:22 offset1:23
	v_pk_add_f32 v[132:133], v[132:133], v[162:163] neg_lo:[0,1] neg_hi:[0,1]
	s_wait_dscnt 0x0
	v_pk_mul_f32 v[162:163], v[158:159], v[156:157] op_sel:[0,1]
	v_pk_fma_f32 v[164:165], v[158:159], v[154:155], v[162:163] op_sel:[0,0,1] op_sel_hi:[1,1,0] neg_lo:[0,0,1] neg_hi:[0,0,1]
	v_pk_fma_f32 v[158:159], v[158:159], v[154:155], v[162:163] op_sel:[0,0,1] op_sel_hi:[1,0,0]
	v_dual_mul_f32 v162, v161, v157 :: v_dual_mov_b32 v158, v161
	s_delay_alu instid0(VALU_DEP_2) | instskip(NEXT) | instid1(VALU_DEP_2)
	v_dual_mov_b32 v165, v159 :: v_dual_mov_b32 v159, v160
	v_pk_fma_f32 v[162:163], v[160:161], v[34:35], v[162:163] op_sel_hi:[1,1,0] neg_lo:[0,0,1] neg_hi:[0,0,1]
	v_mul_f32_e32 v160, v161, v154
	s_delay_alu instid0(VALU_DEP_3) | instskip(NEXT) | instid1(VALU_DEP_2)
	v_pk_add_f32 v[128:129], v[128:129], v[164:165] neg_lo:[0,1] neg_hi:[0,1]
	v_pk_fma_f32 v[158:159], v[158:159], v[34:35], v[160:161] op_sel_hi:[1,1,0]
	s_delay_alu instid0(VALU_DEP_1) | instskip(SKIP_4) | instid1(VALU_DEP_1)
	v_mov_b32_e32 v163, v159
	ds_load_2addr_b64 v[158:161], v202 offset0:24 offset1:25
	v_pk_add_f32 v[126:127], v[126:127], v[162:163] neg_lo:[0,1] neg_hi:[0,1]
	s_wait_dscnt 0x0
	v_pk_mul_f32 v[162:163], v[158:159], v[156:157] op_sel:[0,1]
	v_pk_fma_f32 v[164:165], v[158:159], v[154:155], v[162:163] op_sel:[0,0,1] op_sel_hi:[1,1,0] neg_lo:[0,0,1] neg_hi:[0,0,1]
	v_pk_fma_f32 v[158:159], v[158:159], v[154:155], v[162:163] op_sel:[0,0,1] op_sel_hi:[1,0,0]
	s_delay_alu instid0(VALU_DEP_1) | instskip(SKIP_1) | instid1(VALU_DEP_1)
	v_mov_b32_e32 v165, v159
	v_pk_mul_f32 v[158:159], v[160:161], v[156:157] op_sel:[0,1]
	v_pk_fma_f32 v[162:163], v[160:161], v[154:155], v[158:159] op_sel:[0,0,1] op_sel_hi:[1,1,0] neg_lo:[0,0,1] neg_hi:[0,0,1]
	v_pk_fma_f32 v[158:159], v[160:161], v[154:155], v[158:159] op_sel:[0,0,1] op_sel_hi:[1,0,0]
	s_delay_alu instid0(VALU_DEP_1)
	v_mov_b32_e32 v163, v159
	ds_load_2addr_b64 v[158:161], v202 offset0:26 offset1:27
	v_pk_add_f32 v[118:119], v[118:119], v[164:165] neg_lo:[0,1] neg_hi:[0,1]
	v_pk_add_f32 v[112:113], v[112:113], v[162:163] neg_lo:[0,1] neg_hi:[0,1]
	s_wait_dscnt 0x0
	v_pk_mul_f32 v[162:163], v[158:159], v[156:157] op_sel:[0,1]
	s_delay_alu instid0(VALU_DEP_1) | instskip(SKIP_1) | instid1(VALU_DEP_1)
	v_pk_fma_f32 v[164:165], v[158:159], v[154:155], v[162:163] op_sel:[0,0,1] op_sel_hi:[1,1,0] neg_lo:[0,0,1] neg_hi:[0,0,1]
	v_pk_fma_f32 v[158:159], v[158:159], v[154:155], v[162:163] op_sel:[0,0,1] op_sel_hi:[1,0,0]
	v_mov_b32_e32 v165, v159
	v_pk_mul_f32 v[158:159], v[160:161], v[156:157] op_sel:[0,1]
	s_delay_alu instid0(VALU_DEP_1) | instskip(SKIP_1) | instid1(VALU_DEP_1)
	v_pk_fma_f32 v[162:163], v[160:161], v[154:155], v[158:159] op_sel:[0,0,1] op_sel_hi:[1,1,0] neg_lo:[0,0,1] neg_hi:[0,0,1]
	v_pk_fma_f32 v[158:159], v[160:161], v[154:155], v[158:159] op_sel:[0,0,1] op_sel_hi:[1,0,0]
	v_mov_b32_e32 v163, v159
	ds_load_2addr_b64 v[158:161], v202 offset0:28 offset1:29
	v_pk_add_f32 v[116:117], v[116:117], v[164:165] neg_lo:[0,1] neg_hi:[0,1]
	v_pk_add_f32 v[110:111], v[110:111], v[162:163] neg_lo:[0,1] neg_hi:[0,1]
	s_wait_dscnt 0x0
	v_dual_mul_f32 v162, v159, v157 :: v_dual_mul_f32 v164, v159, v154
	s_delay_alu instid0(VALU_DEP_1) | instskip(NEXT) | instid1(VALU_DEP_2)
	v_pk_fma_f32 v[162:163], v[158:159], v[34:35], v[162:163] op_sel_hi:[1,1,0] neg_lo:[0,0,1] neg_hi:[0,0,1]
	v_pk_fma_f32 v[158:159], v[158:159], v[34:35], v[164:165] op_sel:[1,0,0] op_sel_hi:[0,1,0]
	s_delay_alu instid0(VALU_DEP_1) | instskip(SKIP_1) | instid1(VALU_DEP_2)
	v_mov_b32_e32 v163, v159
	v_pk_mul_f32 v[158:159], v[160:161], v[156:157] op_sel:[0,1]
	v_pk_add_f32 v[114:115], v[114:115], v[162:163] neg_lo:[0,1] neg_hi:[0,1]
	s_delay_alu instid0(VALU_DEP_2) | instskip(SKIP_1) | instid1(VALU_DEP_1)
	v_pk_fma_f32 v[162:163], v[160:161], v[154:155], v[158:159] op_sel:[0,0,1] op_sel_hi:[1,1,0] neg_lo:[0,0,1] neg_hi:[0,0,1]
	v_pk_fma_f32 v[158:159], v[160:161], v[154:155], v[158:159] op_sel:[0,0,1] op_sel_hi:[1,0,0]
	v_mov_b32_e32 v163, v159
	ds_load_2addr_b64 v[158:161], v202 offset0:30 offset1:31
	v_pk_add_f32 v[124:125], v[124:125], v[162:163] neg_lo:[0,1] neg_hi:[0,1]
	s_wait_dscnt 0x0
	v_pk_mul_f32 v[162:163], v[158:159], v[156:157] op_sel:[0,1]
	s_delay_alu instid0(VALU_DEP_1) | instskip(SKIP_1) | instid1(VALU_DEP_1)
	v_pk_fma_f32 v[164:165], v[158:159], v[154:155], v[162:163] op_sel:[0,0,1] op_sel_hi:[1,1,0] neg_lo:[0,0,1] neg_hi:[0,0,1]
	v_pk_fma_f32 v[158:159], v[158:159], v[154:155], v[162:163] op_sel:[0,0,1] op_sel_hi:[1,0,0]
	v_mov_b32_e32 v165, v159
	v_pk_mul_f32 v[158:159], v[160:161], v[156:157] op_sel:[0,1]
	s_delay_alu instid0(VALU_DEP_2) | instskip(NEXT) | instid1(VALU_DEP_2)
	v_pk_add_f32 v[122:123], v[122:123], v[164:165] neg_lo:[0,1] neg_hi:[0,1]
	v_pk_fma_f32 v[162:163], v[160:161], v[154:155], v[158:159] op_sel:[0,0,1] op_sel_hi:[1,1,0] neg_lo:[0,0,1] neg_hi:[0,0,1]
	v_pk_fma_f32 v[158:159], v[160:161], v[154:155], v[158:159] op_sel:[0,0,1] op_sel_hi:[1,0,0]
	s_delay_alu instid0(VALU_DEP_1) | instskip(SKIP_4) | instid1(VALU_DEP_1)
	v_mov_b32_e32 v163, v159
	ds_load_b64 v[158:159], v202 offset:256
	v_pk_add_f32 v[120:121], v[120:121], v[162:163] neg_lo:[0,1] neg_hi:[0,1]
	s_wait_dscnt 0x0
	v_pk_mul_f32 v[156:157], v[158:159], v[156:157] op_sel:[0,1]
	v_pk_fma_f32 v[160:161], v[158:159], v[154:155], v[156:157] op_sel:[0,0,1] op_sel_hi:[1,1,0] neg_lo:[0,0,1] neg_hi:[0,0,1]
	v_pk_fma_f32 v[154:155], v[158:159], v[154:155], v[156:157] op_sel:[0,0,1] op_sel_hi:[1,0,0]
	s_delay_alu instid0(VALU_DEP_1) | instskip(NEXT) | instid1(VALU_DEP_1)
	v_mov_b32_e32 v161, v155
	v_pk_add_f32 v[130:131], v[130:131], v[160:161] neg_lo:[0,1] neg_hi:[0,1]
.LBB65_91:
	s_or_b32 exec_lo, exec_lo, s1
	s_delay_alu instid0(SALU_CYCLE_1)
	s_mov_b32 s2, exec_lo
	s_wait_dscnt 0x0
	s_barrier_signal -1
	s_barrier_wait -1
	v_cmpx_eq_u32_e32 10, v200
	s_cbranch_execz .LBB65_98
; %bb.92:
	ds_store_b64 v201, v[36:37]
	ds_store_2addr_b64 v202, v[32:33], v[62:63] offset0:11 offset1:12
	ds_store_2addr_b64 v202, v[58:59], v[60:61] offset0:13 offset1:14
	;; [unrolled: 1-line block ×11, first 2 shown]
	ds_load_b64 v[154:155], v201
	s_wait_dscnt 0x0
	v_cmp_neq_f32_e32 vcc_lo, 0, v154
	v_cmp_neq_f32_e64 s1, 0, v155
	s_or_b32 s1, vcc_lo, s1
	s_delay_alu instid0(SALU_CYCLE_1)
	s_and_b32 exec_lo, exec_lo, s1
	s_cbranch_execz .LBB65_98
; %bb.93:
	v_cmp_ngt_f32_e64 s1, |v154|, |v155|
                                        ; implicit-def: $vgpr156_vgpr157
	s_and_saveexec_b32 s4, s1
	s_delay_alu instid0(SALU_CYCLE_1)
	s_xor_b32 s1, exec_lo, s4
	s_cbranch_execz .LBB65_95
; %bb.94:
	v_div_scale_f32 v156, null, v155, v155, v154
	v_div_scale_f32 v159, vcc_lo, v154, v155, v154
	s_delay_alu instid0(VALU_DEP_2) | instskip(SKIP_1) | instid1(TRANS32_DEP_1)
	v_rcp_f32_e32 v157, v156
	v_nop
	v_fma_f32 v158, -v156, v157, 1.0
	s_delay_alu instid0(VALU_DEP_1) | instskip(NEXT) | instid1(VALU_DEP_1)
	v_fmac_f32_e32 v157, v158, v157
	v_mul_f32_e32 v158, v159, v157
	s_delay_alu instid0(VALU_DEP_1) | instskip(NEXT) | instid1(VALU_DEP_1)
	v_fma_f32 v160, -v156, v158, v159
	v_fmac_f32_e32 v158, v160, v157
	s_delay_alu instid0(VALU_DEP_1) | instskip(NEXT) | instid1(VALU_DEP_1)
	v_fma_f32 v156, -v156, v158, v159
	v_div_fmas_f32 v156, v156, v157, v158
	s_delay_alu instid0(VALU_DEP_1) | instskip(NEXT) | instid1(VALU_DEP_1)
	v_div_fixup_f32 v156, v156, v155, v154
	v_fmac_f32_e32 v155, v154, v156
	s_delay_alu instid0(VALU_DEP_1) | instskip(SKIP_1) | instid1(VALU_DEP_2)
	v_div_scale_f32 v154, null, v155, v155, 1.0
	v_div_scale_f32 v159, vcc_lo, 1.0, v155, 1.0
	v_rcp_f32_e32 v157, v154
	v_nop
	s_delay_alu instid0(TRANS32_DEP_1) | instskip(NEXT) | instid1(VALU_DEP_1)
	v_fma_f32 v158, -v154, v157, 1.0
	v_fmac_f32_e32 v157, v158, v157
	s_delay_alu instid0(VALU_DEP_1) | instskip(NEXT) | instid1(VALU_DEP_1)
	v_mul_f32_e32 v158, v159, v157
	v_fma_f32 v160, -v154, v158, v159
	s_delay_alu instid0(VALU_DEP_1) | instskip(NEXT) | instid1(VALU_DEP_1)
	v_fmac_f32_e32 v158, v160, v157
	v_fma_f32 v154, -v154, v158, v159
	s_delay_alu instid0(VALU_DEP_1) | instskip(NEXT) | instid1(VALU_DEP_1)
	v_div_fmas_f32 v154, v154, v157, v158
	v_div_fixup_f32 v154, v154, v155, 1.0
	s_delay_alu instid0(VALU_DEP_1)
	v_mul_f32_e32 v156, v156, v154
	v_xor_b32_e32 v157, 0x80000000, v154
                                        ; implicit-def: $vgpr154_vgpr155
.LBB65_95:
	s_and_not1_saveexec_b32 s1, s1
	s_cbranch_execz .LBB65_97
; %bb.96:
	v_div_scale_f32 v156, null, v154, v154, v155
	v_div_scale_f32 v159, vcc_lo, v155, v154, v155
	s_delay_alu instid0(VALU_DEP_2) | instskip(SKIP_1) | instid1(TRANS32_DEP_1)
	v_rcp_f32_e32 v157, v156
	v_nop
	v_fma_f32 v158, -v156, v157, 1.0
	s_delay_alu instid0(VALU_DEP_1) | instskip(NEXT) | instid1(VALU_DEP_1)
	v_fmac_f32_e32 v157, v158, v157
	v_mul_f32_e32 v158, v159, v157
	s_delay_alu instid0(VALU_DEP_1) | instskip(NEXT) | instid1(VALU_DEP_1)
	v_fma_f32 v160, -v156, v158, v159
	v_fmac_f32_e32 v158, v160, v157
	s_delay_alu instid0(VALU_DEP_1) | instskip(NEXT) | instid1(VALU_DEP_1)
	v_fma_f32 v156, -v156, v158, v159
	v_div_fmas_f32 v156, v156, v157, v158
	s_delay_alu instid0(VALU_DEP_1) | instskip(NEXT) | instid1(VALU_DEP_1)
	v_div_fixup_f32 v157, v156, v154, v155
	v_fmac_f32_e32 v154, v155, v157
	s_delay_alu instid0(VALU_DEP_1) | instskip(NEXT) | instid1(VALU_DEP_1)
	v_div_scale_f32 v155, null, v154, v154, 1.0
	v_rcp_f32_e32 v156, v155
	v_nop
	s_delay_alu instid0(TRANS32_DEP_1) | instskip(NEXT) | instid1(VALU_DEP_1)
	v_fma_f32 v158, -v155, v156, 1.0
	v_fmac_f32_e32 v156, v158, v156
	v_div_scale_f32 v158, vcc_lo, 1.0, v154, 1.0
	s_delay_alu instid0(VALU_DEP_1) | instskip(NEXT) | instid1(VALU_DEP_1)
	v_mul_f32_e32 v159, v158, v156
	v_fma_f32 v160, -v155, v159, v158
	s_delay_alu instid0(VALU_DEP_1) | instskip(NEXT) | instid1(VALU_DEP_1)
	v_fmac_f32_e32 v159, v160, v156
	v_fma_f32 v155, -v155, v159, v158
	s_delay_alu instid0(VALU_DEP_1) | instskip(NEXT) | instid1(VALU_DEP_1)
	v_div_fmas_f32 v155, v155, v156, v159
	v_div_fixup_f32 v156, v155, v154, 1.0
	s_delay_alu instid0(VALU_DEP_1)
	v_mul_f32_e64 v157, v157, -v156
.LBB65_97:
	s_or_b32 exec_lo, exec_lo, s1
	ds_store_b64 v201, v[156:157]
.LBB65_98:
	s_or_b32 exec_lo, exec_lo, s2
	s_wait_dscnt 0x0
	s_barrier_signal -1
	s_barrier_wait -1
	ds_load_b64 v[154:155], v201
	s_mov_b32 s1, exec_lo
	v_cmpx_lt_u32_e32 10, v200
	s_cbranch_execz .LBB65_100
; %bb.99:
	ds_load_2addr_b64 v[160:163], v202 offset0:11 offset1:12
	s_wait_dscnt 0x1
	v_pk_mul_f32 v[158:159], v[154:155], v[36:37] op_sel:[1,1] op_sel_hi:[0,1]
	s_delay_alu instid0(VALU_DEP_1) | instskip(SKIP_1) | instid1(VALU_DEP_1)
	v_pk_fma_f32 v[156:157], v[154:155], v[36:37], v[158:159] op_sel_hi:[1,0,1] neg_lo:[0,0,1] neg_hi:[0,0,1]
	v_pk_fma_f32 v[158:159], v[154:155], v[36:37], v[158:159] op_sel_hi:[1,0,1]
	v_dual_mov_b32 v36, v156 :: v_dual_mov_b32 v37, v159
	s_wait_dscnt 0x0
	s_delay_alu instid0(VALU_DEP_2) | instskip(NEXT) | instid1(VALU_DEP_1)
	v_pk_mul_f32 v[164:165], v[160:161], v[158:159] op_sel:[0,1]
	v_pk_fma_f32 v[166:167], v[160:161], v[156:157], v[164:165] op_sel:[0,0,1] op_sel_hi:[1,1,0] neg_lo:[0,0,1] neg_hi:[0,0,1]
	v_pk_fma_f32 v[160:161], v[160:161], v[156:157], v[164:165] op_sel:[0,0,1] op_sel_hi:[1,0,0]
	s_delay_alu instid0(VALU_DEP_1) | instskip(SKIP_1) | instid1(VALU_DEP_1)
	v_mov_b32_e32 v167, v161
	v_pk_mul_f32 v[160:161], v[162:163], v[158:159] op_sel:[0,1]
	v_pk_fma_f32 v[164:165], v[162:163], v[156:157], v[160:161] op_sel:[0,0,1] op_sel_hi:[1,1,0] neg_lo:[0,0,1] neg_hi:[0,0,1]
	v_pk_fma_f32 v[160:161], v[162:163], v[156:157], v[160:161] op_sel:[0,0,1] op_sel_hi:[1,0,0]
	s_delay_alu instid0(VALU_DEP_1)
	v_mov_b32_e32 v165, v161
	ds_load_2addr_b64 v[160:163], v202 offset0:13 offset1:14
	v_pk_add_f32 v[32:33], v[32:33], v[166:167] neg_lo:[0,1] neg_hi:[0,1]
	v_pk_add_f32 v[62:63], v[62:63], v[164:165] neg_lo:[0,1] neg_hi:[0,1]
	s_wait_dscnt 0x0
	v_pk_mul_f32 v[164:165], v[160:161], v[158:159] op_sel:[0,1]
	s_delay_alu instid0(VALU_DEP_1) | instskip(SKIP_2) | instid1(VALU_DEP_2)
	v_pk_fma_f32 v[166:167], v[160:161], v[156:157], v[164:165] op_sel:[0,0,1] op_sel_hi:[1,1,0] neg_lo:[0,0,1] neg_hi:[0,0,1]
	v_pk_fma_f32 v[160:161], v[160:161], v[156:157], v[164:165] op_sel:[0,0,1] op_sel_hi:[1,0,0]
	v_dual_mul_f32 v164, v163, v159 :: v_dual_mov_b32 v160, v163
	v_dual_mov_b32 v167, v161 :: v_dual_mov_b32 v161, v162
	s_delay_alu instid0(VALU_DEP_2) | instskip(SKIP_1) | instid1(VALU_DEP_3)
	v_pk_fma_f32 v[164:165], v[162:163], v[36:37], v[164:165] op_sel_hi:[1,1,0] neg_lo:[0,0,1] neg_hi:[0,0,1]
	v_mul_f32_e32 v162, v163, v156
	v_pk_add_f32 v[58:59], v[58:59], v[166:167] neg_lo:[0,1] neg_hi:[0,1]
	s_delay_alu instid0(VALU_DEP_2) | instskip(NEXT) | instid1(VALU_DEP_1)
	v_pk_fma_f32 v[160:161], v[160:161], v[36:37], v[162:163] op_sel_hi:[1,1,0]
	v_mov_b32_e32 v165, v161
	ds_load_2addr_b64 v[160:163], v202 offset0:15 offset1:16
	v_pk_add_f32 v[60:61], v[60:61], v[164:165] neg_lo:[0,1] neg_hi:[0,1]
	s_wait_dscnt 0x0
	v_pk_mul_f32 v[164:165], v[160:161], v[158:159] op_sel:[0,1]
	s_delay_alu instid0(VALU_DEP_1) | instskip(SKIP_1) | instid1(VALU_DEP_1)
	v_pk_fma_f32 v[166:167], v[160:161], v[156:157], v[164:165] op_sel:[0,0,1] op_sel_hi:[1,1,0] neg_lo:[0,0,1] neg_hi:[0,0,1]
	v_pk_fma_f32 v[160:161], v[160:161], v[156:157], v[164:165] op_sel:[0,0,1] op_sel_hi:[1,0,0]
	v_mov_b32_e32 v167, v161
	v_pk_mul_f32 v[160:161], v[162:163], v[158:159] op_sel:[0,1]
	s_delay_alu instid0(VALU_DEP_1) | instskip(SKIP_1) | instid1(VALU_DEP_1)
	v_pk_fma_f32 v[164:165], v[162:163], v[156:157], v[160:161] op_sel:[0,0,1] op_sel_hi:[1,1,0] neg_lo:[0,0,1] neg_hi:[0,0,1]
	v_pk_fma_f32 v[160:161], v[162:163], v[156:157], v[160:161] op_sel:[0,0,1] op_sel_hi:[1,0,0]
	v_mov_b32_e32 v165, v161
	ds_load_2addr_b64 v[160:163], v202 offset0:17 offset1:18
	v_pk_add_f32 v[56:57], v[56:57], v[166:167] neg_lo:[0,1] neg_hi:[0,1]
	v_pk_add_f32 v[82:83], v[82:83], v[164:165] neg_lo:[0,1] neg_hi:[0,1]
	s_wait_dscnt 0x0
	v_pk_mul_f32 v[164:165], v[160:161], v[158:159] op_sel:[0,1]
	s_delay_alu instid0(VALU_DEP_1) | instskip(SKIP_1) | instid1(VALU_DEP_1)
	v_pk_fma_f32 v[166:167], v[160:161], v[156:157], v[164:165] op_sel:[0,0,1] op_sel_hi:[1,1,0] neg_lo:[0,0,1] neg_hi:[0,0,1]
	v_pk_fma_f32 v[160:161], v[160:161], v[156:157], v[164:165] op_sel:[0,0,1] op_sel_hi:[1,0,0]
	v_mov_b32_e32 v167, v161
	v_pk_mul_f32 v[160:161], v[162:163], v[158:159] op_sel:[0,1]
	s_delay_alu instid0(VALU_DEP_1) | instskip(SKIP_1) | instid1(VALU_DEP_1)
	v_pk_fma_f32 v[164:165], v[162:163], v[156:157], v[160:161] op_sel:[0,0,1] op_sel_hi:[1,1,0] neg_lo:[0,0,1] neg_hi:[0,0,1]
	v_pk_fma_f32 v[160:161], v[162:163], v[156:157], v[160:161] op_sel:[0,0,1] op_sel_hi:[1,0,0]
	v_mov_b32_e32 v165, v161
	ds_load_2addr_b64 v[160:163], v202 offset0:19 offset1:20
	v_pk_add_f32 v[78:79], v[78:79], v[166:167] neg_lo:[0,1] neg_hi:[0,1]
	v_pk_add_f32 v[80:81], v[80:81], v[164:165] neg_lo:[0,1] neg_hi:[0,1]
	s_wait_dscnt 0x0
	v_dual_mul_f32 v164, v161, v159 :: v_dual_mul_f32 v166, v161, v156
	s_delay_alu instid0(VALU_DEP_1) | instskip(NEXT) | instid1(VALU_DEP_2)
	v_pk_fma_f32 v[164:165], v[160:161], v[36:37], v[164:165] op_sel_hi:[1,1,0] neg_lo:[0,0,1] neg_hi:[0,0,1]
	v_pk_fma_f32 v[160:161], v[160:161], v[36:37], v[166:167] op_sel:[1,0,0] op_sel_hi:[0,1,0]
	s_delay_alu instid0(VALU_DEP_1) | instskip(SKIP_1) | instid1(VALU_DEP_2)
	v_mov_b32_e32 v165, v161
	v_pk_mul_f32 v[160:161], v[162:163], v[158:159] op_sel:[0,1]
	v_pk_add_f32 v[76:77], v[76:77], v[164:165] neg_lo:[0,1] neg_hi:[0,1]
	s_delay_alu instid0(VALU_DEP_2) | instskip(SKIP_1) | instid1(VALU_DEP_1)
	v_pk_fma_f32 v[164:165], v[162:163], v[156:157], v[160:161] op_sel:[0,0,1] op_sel_hi:[1,1,0] neg_lo:[0,0,1] neg_hi:[0,0,1]
	v_pk_fma_f32 v[160:161], v[162:163], v[156:157], v[160:161] op_sel:[0,0,1] op_sel_hi:[1,0,0]
	v_mov_b32_e32 v165, v161
	ds_load_2addr_b64 v[160:163], v202 offset0:21 offset1:22
	v_pk_add_f32 v[98:99], v[98:99], v[164:165] neg_lo:[0,1] neg_hi:[0,1]
	s_wait_dscnt 0x0
	v_pk_mul_f32 v[164:165], v[160:161], v[158:159] op_sel:[0,1]
	s_delay_alu instid0(VALU_DEP_1) | instskip(SKIP_1) | instid1(VALU_DEP_1)
	v_pk_fma_f32 v[166:167], v[160:161], v[156:157], v[164:165] op_sel:[0,0,1] op_sel_hi:[1,1,0] neg_lo:[0,0,1] neg_hi:[0,0,1]
	v_pk_fma_f32 v[160:161], v[160:161], v[156:157], v[164:165] op_sel:[0,0,1] op_sel_hi:[1,0,0]
	v_mov_b32_e32 v167, v161
	v_pk_mul_f32 v[160:161], v[162:163], v[158:159] op_sel:[0,1]
	s_delay_alu instid0(VALU_DEP_2) | instskip(NEXT) | instid1(VALU_DEP_2)
	v_pk_add_f32 v[132:133], v[132:133], v[166:167] neg_lo:[0,1] neg_hi:[0,1]
	v_pk_fma_f32 v[164:165], v[162:163], v[156:157], v[160:161] op_sel:[0,0,1] op_sel_hi:[1,1,0] neg_lo:[0,0,1] neg_hi:[0,0,1]
	v_pk_fma_f32 v[160:161], v[162:163], v[156:157], v[160:161] op_sel:[0,0,1] op_sel_hi:[1,0,0]
	s_delay_alu instid0(VALU_DEP_1) | instskip(SKIP_4) | instid1(VALU_DEP_1)
	v_mov_b32_e32 v165, v161
	ds_load_2addr_b64 v[160:163], v202 offset0:23 offset1:24
	v_pk_add_f32 v[128:129], v[128:129], v[164:165] neg_lo:[0,1] neg_hi:[0,1]
	s_wait_dscnt 0x0
	v_pk_mul_f32 v[164:165], v[160:161], v[158:159] op_sel:[0,1]
	v_pk_fma_f32 v[166:167], v[160:161], v[156:157], v[164:165] op_sel:[0,0,1] op_sel_hi:[1,1,0] neg_lo:[0,0,1] neg_hi:[0,0,1]
	v_pk_fma_f32 v[160:161], v[160:161], v[156:157], v[164:165] op_sel:[0,0,1] op_sel_hi:[1,0,0]
	v_dual_mul_f32 v164, v163, v159 :: v_dual_mov_b32 v160, v163
	s_delay_alu instid0(VALU_DEP_2) | instskip(NEXT) | instid1(VALU_DEP_2)
	v_dual_mov_b32 v167, v161 :: v_dual_mov_b32 v161, v162
	v_pk_fma_f32 v[164:165], v[162:163], v[36:37], v[164:165] op_sel_hi:[1,1,0] neg_lo:[0,0,1] neg_hi:[0,0,1]
	v_mul_f32_e32 v162, v163, v156
	s_delay_alu instid0(VALU_DEP_3) | instskip(NEXT) | instid1(VALU_DEP_2)
	v_pk_add_f32 v[126:127], v[126:127], v[166:167] neg_lo:[0,1] neg_hi:[0,1]
	v_pk_fma_f32 v[160:161], v[160:161], v[36:37], v[162:163] op_sel_hi:[1,1,0]
	s_delay_alu instid0(VALU_DEP_1) | instskip(SKIP_4) | instid1(VALU_DEP_1)
	v_mov_b32_e32 v165, v161
	ds_load_2addr_b64 v[160:163], v202 offset0:25 offset1:26
	v_pk_add_f32 v[118:119], v[118:119], v[164:165] neg_lo:[0,1] neg_hi:[0,1]
	s_wait_dscnt 0x0
	v_pk_mul_f32 v[164:165], v[160:161], v[158:159] op_sel:[0,1]
	v_pk_fma_f32 v[166:167], v[160:161], v[156:157], v[164:165] op_sel:[0,0,1] op_sel_hi:[1,1,0] neg_lo:[0,0,1] neg_hi:[0,0,1]
	v_pk_fma_f32 v[160:161], v[160:161], v[156:157], v[164:165] op_sel:[0,0,1] op_sel_hi:[1,0,0]
	s_delay_alu instid0(VALU_DEP_1) | instskip(SKIP_1) | instid1(VALU_DEP_1)
	v_mov_b32_e32 v167, v161
	v_pk_mul_f32 v[160:161], v[162:163], v[158:159] op_sel:[0,1]
	v_pk_fma_f32 v[164:165], v[162:163], v[156:157], v[160:161] op_sel:[0,0,1] op_sel_hi:[1,1,0] neg_lo:[0,0,1] neg_hi:[0,0,1]
	v_pk_fma_f32 v[160:161], v[162:163], v[156:157], v[160:161] op_sel:[0,0,1] op_sel_hi:[1,0,0]
	s_delay_alu instid0(VALU_DEP_1)
	v_mov_b32_e32 v165, v161
	ds_load_2addr_b64 v[160:163], v202 offset0:27 offset1:28
	v_pk_add_f32 v[112:113], v[112:113], v[166:167] neg_lo:[0,1] neg_hi:[0,1]
	v_pk_add_f32 v[116:117], v[116:117], v[164:165] neg_lo:[0,1] neg_hi:[0,1]
	s_wait_dscnt 0x0
	v_pk_mul_f32 v[164:165], v[160:161], v[158:159] op_sel:[0,1]
	s_delay_alu instid0(VALU_DEP_1) | instskip(SKIP_1) | instid1(VALU_DEP_1)
	v_pk_fma_f32 v[166:167], v[160:161], v[156:157], v[164:165] op_sel:[0,0,1] op_sel_hi:[1,1,0] neg_lo:[0,0,1] neg_hi:[0,0,1]
	v_pk_fma_f32 v[160:161], v[160:161], v[156:157], v[164:165] op_sel:[0,0,1] op_sel_hi:[1,0,0]
	v_mov_b32_e32 v167, v161
	v_pk_mul_f32 v[160:161], v[162:163], v[158:159] op_sel:[0,1]
	s_delay_alu instid0(VALU_DEP_1) | instskip(SKIP_1) | instid1(VALU_DEP_1)
	v_pk_fma_f32 v[164:165], v[162:163], v[156:157], v[160:161] op_sel:[0,0,1] op_sel_hi:[1,1,0] neg_lo:[0,0,1] neg_hi:[0,0,1]
	v_pk_fma_f32 v[160:161], v[162:163], v[156:157], v[160:161] op_sel:[0,0,1] op_sel_hi:[1,0,0]
	v_mov_b32_e32 v165, v161
	ds_load_2addr_b64 v[160:163], v202 offset0:29 offset1:30
	v_pk_add_f32 v[110:111], v[110:111], v[166:167] neg_lo:[0,1] neg_hi:[0,1]
	v_pk_add_f32 v[114:115], v[114:115], v[164:165] neg_lo:[0,1] neg_hi:[0,1]
	s_wait_dscnt 0x0
	v_dual_mul_f32 v164, v161, v159 :: v_dual_mul_f32 v166, v161, v156
	s_delay_alu instid0(VALU_DEP_1) | instskip(NEXT) | instid1(VALU_DEP_2)
	v_pk_fma_f32 v[164:165], v[160:161], v[36:37], v[164:165] op_sel_hi:[1,1,0] neg_lo:[0,0,1] neg_hi:[0,0,1]
	v_pk_fma_f32 v[160:161], v[160:161], v[36:37], v[166:167] op_sel:[1,0,0] op_sel_hi:[0,1,0]
	s_delay_alu instid0(VALU_DEP_1) | instskip(SKIP_1) | instid1(VALU_DEP_2)
	v_mov_b32_e32 v165, v161
	v_pk_mul_f32 v[160:161], v[162:163], v[158:159] op_sel:[0,1]
	v_pk_add_f32 v[124:125], v[124:125], v[164:165] neg_lo:[0,1] neg_hi:[0,1]
	s_delay_alu instid0(VALU_DEP_2) | instskip(SKIP_1) | instid1(VALU_DEP_1)
	v_pk_fma_f32 v[164:165], v[162:163], v[156:157], v[160:161] op_sel:[0,0,1] op_sel_hi:[1,1,0] neg_lo:[0,0,1] neg_hi:[0,0,1]
	v_pk_fma_f32 v[160:161], v[162:163], v[156:157], v[160:161] op_sel:[0,0,1] op_sel_hi:[1,0,0]
	v_mov_b32_e32 v165, v161
	ds_load_2addr_b64 v[160:163], v202 offset0:31 offset1:32
	v_pk_add_f32 v[122:123], v[122:123], v[164:165] neg_lo:[0,1] neg_hi:[0,1]
	s_wait_dscnt 0x0
	v_pk_mul_f32 v[164:165], v[160:161], v[158:159] op_sel:[0,1]
	v_pk_mul_f32 v[158:159], v[162:163], v[158:159] op_sel:[0,1]
	s_delay_alu instid0(VALU_DEP_2) | instskip(SKIP_1) | instid1(VALU_DEP_1)
	v_pk_fma_f32 v[166:167], v[160:161], v[156:157], v[164:165] op_sel:[0,0,1] op_sel_hi:[1,1,0] neg_lo:[0,0,1] neg_hi:[0,0,1]
	v_pk_fma_f32 v[160:161], v[160:161], v[156:157], v[164:165] op_sel:[0,0,1] op_sel_hi:[1,0,0]
	v_mov_b32_e32 v167, v161
	s_delay_alu instid0(VALU_DEP_4) | instskip(SKIP_1) | instid1(VALU_DEP_3)
	v_pk_fma_f32 v[160:161], v[162:163], v[156:157], v[158:159] op_sel:[0,0,1] op_sel_hi:[1,1,0] neg_lo:[0,0,1] neg_hi:[0,0,1]
	v_pk_fma_f32 v[156:157], v[162:163], v[156:157], v[158:159] op_sel:[0,0,1] op_sel_hi:[1,0,0]
	v_pk_add_f32 v[120:121], v[120:121], v[166:167] neg_lo:[0,1] neg_hi:[0,1]
	s_delay_alu instid0(VALU_DEP_2) | instskip(NEXT) | instid1(VALU_DEP_1)
	v_mov_b32_e32 v161, v157
	v_pk_add_f32 v[130:131], v[130:131], v[160:161] neg_lo:[0,1] neg_hi:[0,1]
.LBB65_100:
	s_or_b32 exec_lo, exec_lo, s1
	s_delay_alu instid0(SALU_CYCLE_1)
	s_mov_b32 s2, exec_lo
	s_wait_dscnt 0x0
	s_barrier_signal -1
	s_barrier_wait -1
	v_cmpx_eq_u32_e32 11, v200
	s_cbranch_execz .LBB65_107
; %bb.101:
	v_dual_mov_b32 v156, v62 :: v_dual_mov_b32 v157, v63
	v_dual_mov_b32 v158, v58 :: v_dual_mov_b32 v159, v59
	;; [unrolled: 1-line block ×8, first 2 shown]
	ds_store_b64 v201, v[32:33]
	ds_store_2addr_b64 v202, v[156:157], v[158:159] offset0:12 offset1:13
	ds_store_2addr_b64 v202, v[160:161], v[162:163] offset0:14 offset1:15
	;; [unrolled: 1-line block ×4, first 2 shown]
	v_dual_mov_b32 v156, v98 :: v_dual_mov_b32 v157, v99
	v_dual_mov_b32 v158, v132 :: v_dual_mov_b32 v159, v133
	;; [unrolled: 1-line block ×12, first 2 shown]
	ds_store_2addr_b64 v202, v[156:157], v[158:159] offset0:20 offset1:21
	ds_store_2addr_b64 v202, v[160:161], v[162:163] offset0:22 offset1:23
	;; [unrolled: 1-line block ×6, first 2 shown]
	ds_store_b64 v202, v[130:131] offset:256
	ds_load_b64 v[156:157], v201
	s_wait_dscnt 0x0
	v_cmp_neq_f32_e32 vcc_lo, 0, v156
	v_cmp_neq_f32_e64 s1, 0, v157
	s_or_b32 s1, vcc_lo, s1
	s_delay_alu instid0(SALU_CYCLE_1)
	s_and_b32 exec_lo, exec_lo, s1
	s_cbranch_execz .LBB65_107
; %bb.102:
	v_cmp_ngt_f32_e64 s1, |v156|, |v157|
                                        ; implicit-def: $vgpr158_vgpr159
	s_and_saveexec_b32 s4, s1
	s_delay_alu instid0(SALU_CYCLE_1)
	s_xor_b32 s1, exec_lo, s4
	s_cbranch_execz .LBB65_104
; %bb.103:
	v_div_scale_f32 v158, null, v157, v157, v156
	v_div_scale_f32 v161, vcc_lo, v156, v157, v156
	s_delay_alu instid0(VALU_DEP_2) | instskip(SKIP_1) | instid1(TRANS32_DEP_1)
	v_rcp_f32_e32 v159, v158
	v_nop
	v_fma_f32 v160, -v158, v159, 1.0
	s_delay_alu instid0(VALU_DEP_1) | instskip(NEXT) | instid1(VALU_DEP_1)
	v_fmac_f32_e32 v159, v160, v159
	v_mul_f32_e32 v160, v161, v159
	s_delay_alu instid0(VALU_DEP_1) | instskip(NEXT) | instid1(VALU_DEP_1)
	v_fma_f32 v162, -v158, v160, v161
	v_fmac_f32_e32 v160, v162, v159
	s_delay_alu instid0(VALU_DEP_1) | instskip(NEXT) | instid1(VALU_DEP_1)
	v_fma_f32 v158, -v158, v160, v161
	v_div_fmas_f32 v158, v158, v159, v160
	s_delay_alu instid0(VALU_DEP_1) | instskip(NEXT) | instid1(VALU_DEP_1)
	v_div_fixup_f32 v158, v158, v157, v156
	v_fmac_f32_e32 v157, v156, v158
	s_delay_alu instid0(VALU_DEP_1) | instskip(SKIP_1) | instid1(VALU_DEP_2)
	v_div_scale_f32 v156, null, v157, v157, 1.0
	v_div_scale_f32 v161, vcc_lo, 1.0, v157, 1.0
	v_rcp_f32_e32 v159, v156
	v_nop
	s_delay_alu instid0(TRANS32_DEP_1) | instskip(NEXT) | instid1(VALU_DEP_1)
	v_fma_f32 v160, -v156, v159, 1.0
	v_fmac_f32_e32 v159, v160, v159
	s_delay_alu instid0(VALU_DEP_1) | instskip(NEXT) | instid1(VALU_DEP_1)
	v_mul_f32_e32 v160, v161, v159
	v_fma_f32 v162, -v156, v160, v161
	s_delay_alu instid0(VALU_DEP_1) | instskip(NEXT) | instid1(VALU_DEP_1)
	v_fmac_f32_e32 v160, v162, v159
	v_fma_f32 v156, -v156, v160, v161
	s_delay_alu instid0(VALU_DEP_1) | instskip(NEXT) | instid1(VALU_DEP_1)
	v_div_fmas_f32 v156, v156, v159, v160
	v_div_fixup_f32 v156, v156, v157, 1.0
	s_delay_alu instid0(VALU_DEP_1)
	v_mul_f32_e32 v158, v158, v156
	v_xor_b32_e32 v159, 0x80000000, v156
                                        ; implicit-def: $vgpr156_vgpr157
.LBB65_104:
	s_and_not1_saveexec_b32 s1, s1
	s_cbranch_execz .LBB65_106
; %bb.105:
	v_div_scale_f32 v158, null, v156, v156, v157
	v_div_scale_f32 v161, vcc_lo, v157, v156, v157
	s_delay_alu instid0(VALU_DEP_2) | instskip(SKIP_1) | instid1(TRANS32_DEP_1)
	v_rcp_f32_e32 v159, v158
	v_nop
	v_fma_f32 v160, -v158, v159, 1.0
	s_delay_alu instid0(VALU_DEP_1) | instskip(NEXT) | instid1(VALU_DEP_1)
	v_fmac_f32_e32 v159, v160, v159
	v_mul_f32_e32 v160, v161, v159
	s_delay_alu instid0(VALU_DEP_1) | instskip(NEXT) | instid1(VALU_DEP_1)
	v_fma_f32 v162, -v158, v160, v161
	v_fmac_f32_e32 v160, v162, v159
	s_delay_alu instid0(VALU_DEP_1) | instskip(NEXT) | instid1(VALU_DEP_1)
	v_fma_f32 v158, -v158, v160, v161
	v_div_fmas_f32 v158, v158, v159, v160
	s_delay_alu instid0(VALU_DEP_1) | instskip(NEXT) | instid1(VALU_DEP_1)
	v_div_fixup_f32 v159, v158, v156, v157
	v_fmac_f32_e32 v156, v157, v159
	s_delay_alu instid0(VALU_DEP_1) | instskip(NEXT) | instid1(VALU_DEP_1)
	v_div_scale_f32 v157, null, v156, v156, 1.0
	v_rcp_f32_e32 v158, v157
	v_nop
	s_delay_alu instid0(TRANS32_DEP_1) | instskip(NEXT) | instid1(VALU_DEP_1)
	v_fma_f32 v160, -v157, v158, 1.0
	v_fmac_f32_e32 v158, v160, v158
	v_div_scale_f32 v160, vcc_lo, 1.0, v156, 1.0
	s_delay_alu instid0(VALU_DEP_1) | instskip(NEXT) | instid1(VALU_DEP_1)
	v_mul_f32_e32 v161, v160, v158
	v_fma_f32 v162, -v157, v161, v160
	s_delay_alu instid0(VALU_DEP_1) | instskip(NEXT) | instid1(VALU_DEP_1)
	v_fmac_f32_e32 v161, v162, v158
	v_fma_f32 v157, -v157, v161, v160
	s_delay_alu instid0(VALU_DEP_1) | instskip(NEXT) | instid1(VALU_DEP_1)
	v_div_fmas_f32 v157, v157, v158, v161
	v_div_fixup_f32 v158, v157, v156, 1.0
	s_delay_alu instid0(VALU_DEP_1)
	v_mul_f32_e64 v159, v159, -v158
.LBB65_106:
	s_or_b32 exec_lo, exec_lo, s1
	ds_store_b64 v201, v[158:159]
.LBB65_107:
	s_or_b32 exec_lo, exec_lo, s2
	s_wait_dscnt 0x0
	s_barrier_signal -1
	s_barrier_wait -1
	ds_load_b64 v[156:157], v201
	s_mov_b32 s1, exec_lo
	v_cmpx_lt_u32_e32 11, v200
	s_cbranch_execz .LBB65_109
; %bb.108:
	ds_load_2addr_b64 v[162:165], v202 offset0:12 offset1:13
	s_wait_dscnt 0x1
	v_pk_mul_f32 v[160:161], v[156:157], v[32:33] op_sel:[1,1] op_sel_hi:[0,1]
	s_delay_alu instid0(VALU_DEP_1) | instskip(SKIP_1) | instid1(VALU_DEP_1)
	v_pk_fma_f32 v[158:159], v[156:157], v[32:33], v[160:161] op_sel_hi:[1,0,1] neg_lo:[0,0,1] neg_hi:[0,0,1]
	v_pk_fma_f32 v[160:161], v[156:157], v[32:33], v[160:161] op_sel_hi:[1,0,1]
	v_dual_mov_b32 v32, v158 :: v_dual_mov_b32 v33, v161
	s_wait_dscnt 0x0
	s_delay_alu instid0(VALU_DEP_2) | instskip(NEXT) | instid1(VALU_DEP_1)
	v_pk_mul_f32 v[166:167], v[162:163], v[160:161] op_sel:[0,1]
	v_pk_fma_f32 v[168:169], v[162:163], v[158:159], v[166:167] op_sel:[0,0,1] op_sel_hi:[1,1,0] neg_lo:[0,0,1] neg_hi:[0,0,1]
	v_pk_fma_f32 v[162:163], v[162:163], v[158:159], v[166:167] op_sel:[0,0,1] op_sel_hi:[1,0,0]
	s_delay_alu instid0(VALU_DEP_1) | instskip(SKIP_1) | instid1(VALU_DEP_1)
	v_mov_b32_e32 v169, v163
	v_pk_mul_f32 v[162:163], v[164:165], v[160:161] op_sel:[0,1]
	v_pk_fma_f32 v[166:167], v[164:165], v[158:159], v[162:163] op_sel:[0,0,1] op_sel_hi:[1,1,0] neg_lo:[0,0,1] neg_hi:[0,0,1]
	v_pk_fma_f32 v[162:163], v[164:165], v[158:159], v[162:163] op_sel:[0,0,1] op_sel_hi:[1,0,0]
	s_delay_alu instid0(VALU_DEP_1)
	v_mov_b32_e32 v167, v163
	ds_load_2addr_b64 v[162:165], v202 offset0:14 offset1:15
	v_pk_add_f32 v[62:63], v[62:63], v[168:169] neg_lo:[0,1] neg_hi:[0,1]
	v_pk_add_f32 v[58:59], v[58:59], v[166:167] neg_lo:[0,1] neg_hi:[0,1]
	s_wait_dscnt 0x0
	v_pk_mul_f32 v[166:167], v[162:163], v[160:161] op_sel:[0,1]
	s_delay_alu instid0(VALU_DEP_1) | instskip(SKIP_2) | instid1(VALU_DEP_2)
	v_pk_fma_f32 v[168:169], v[162:163], v[158:159], v[166:167] op_sel:[0,0,1] op_sel_hi:[1,1,0] neg_lo:[0,0,1] neg_hi:[0,0,1]
	v_pk_fma_f32 v[162:163], v[162:163], v[158:159], v[166:167] op_sel:[0,0,1] op_sel_hi:[1,0,0]
	v_dual_mul_f32 v166, v165, v161 :: v_dual_mov_b32 v162, v165
	v_dual_mov_b32 v169, v163 :: v_dual_mov_b32 v163, v164
	s_delay_alu instid0(VALU_DEP_2) | instskip(SKIP_1) | instid1(VALU_DEP_3)
	v_pk_fma_f32 v[166:167], v[164:165], v[32:33], v[166:167] op_sel_hi:[1,1,0] neg_lo:[0,0,1] neg_hi:[0,0,1]
	v_mul_f32_e32 v164, v165, v158
	v_pk_add_f32 v[60:61], v[60:61], v[168:169] neg_lo:[0,1] neg_hi:[0,1]
	s_delay_alu instid0(VALU_DEP_2) | instskip(NEXT) | instid1(VALU_DEP_1)
	v_pk_fma_f32 v[162:163], v[162:163], v[32:33], v[164:165] op_sel_hi:[1,1,0]
	v_mov_b32_e32 v167, v163
	ds_load_2addr_b64 v[162:165], v202 offset0:16 offset1:17
	v_pk_add_f32 v[56:57], v[56:57], v[166:167] neg_lo:[0,1] neg_hi:[0,1]
	s_wait_dscnt 0x0
	v_pk_mul_f32 v[166:167], v[162:163], v[160:161] op_sel:[0,1]
	s_delay_alu instid0(VALU_DEP_1) | instskip(SKIP_1) | instid1(VALU_DEP_1)
	v_pk_fma_f32 v[168:169], v[162:163], v[158:159], v[166:167] op_sel:[0,0,1] op_sel_hi:[1,1,0] neg_lo:[0,0,1] neg_hi:[0,0,1]
	v_pk_fma_f32 v[162:163], v[162:163], v[158:159], v[166:167] op_sel:[0,0,1] op_sel_hi:[1,0,0]
	v_mov_b32_e32 v169, v163
	v_pk_mul_f32 v[162:163], v[164:165], v[160:161] op_sel:[0,1]
	s_delay_alu instid0(VALU_DEP_1) | instskip(SKIP_1) | instid1(VALU_DEP_1)
	v_pk_fma_f32 v[166:167], v[164:165], v[158:159], v[162:163] op_sel:[0,0,1] op_sel_hi:[1,1,0] neg_lo:[0,0,1] neg_hi:[0,0,1]
	v_pk_fma_f32 v[162:163], v[164:165], v[158:159], v[162:163] op_sel:[0,0,1] op_sel_hi:[1,0,0]
	v_mov_b32_e32 v167, v163
	ds_load_2addr_b64 v[162:165], v202 offset0:18 offset1:19
	v_pk_add_f32 v[82:83], v[82:83], v[168:169] neg_lo:[0,1] neg_hi:[0,1]
	v_pk_add_f32 v[78:79], v[78:79], v[166:167] neg_lo:[0,1] neg_hi:[0,1]
	s_wait_dscnt 0x0
	v_pk_mul_f32 v[166:167], v[162:163], v[160:161] op_sel:[0,1]
	s_delay_alu instid0(VALU_DEP_1) | instskip(SKIP_1) | instid1(VALU_DEP_1)
	v_pk_fma_f32 v[168:169], v[162:163], v[158:159], v[166:167] op_sel:[0,0,1] op_sel_hi:[1,1,0] neg_lo:[0,0,1] neg_hi:[0,0,1]
	v_pk_fma_f32 v[162:163], v[162:163], v[158:159], v[166:167] op_sel:[0,0,1] op_sel_hi:[1,0,0]
	v_mov_b32_e32 v169, v163
	v_pk_mul_f32 v[162:163], v[164:165], v[160:161] op_sel:[0,1]
	s_delay_alu instid0(VALU_DEP_1) | instskip(SKIP_1) | instid1(VALU_DEP_1)
	v_pk_fma_f32 v[166:167], v[164:165], v[158:159], v[162:163] op_sel:[0,0,1] op_sel_hi:[1,1,0] neg_lo:[0,0,1] neg_hi:[0,0,1]
	v_pk_fma_f32 v[162:163], v[164:165], v[158:159], v[162:163] op_sel:[0,0,1] op_sel_hi:[1,0,0]
	v_mov_b32_e32 v167, v163
	ds_load_2addr_b64 v[162:165], v202 offset0:20 offset1:21
	v_pk_add_f32 v[80:81], v[80:81], v[168:169] neg_lo:[0,1] neg_hi:[0,1]
	v_pk_add_f32 v[76:77], v[76:77], v[166:167] neg_lo:[0,1] neg_hi:[0,1]
	s_wait_dscnt 0x0
	v_dual_mul_f32 v166, v163, v161 :: v_dual_mul_f32 v168, v163, v158
	s_delay_alu instid0(VALU_DEP_1) | instskip(NEXT) | instid1(VALU_DEP_2)
	v_pk_fma_f32 v[166:167], v[162:163], v[32:33], v[166:167] op_sel_hi:[1,1,0] neg_lo:[0,0,1] neg_hi:[0,0,1]
	v_pk_fma_f32 v[162:163], v[162:163], v[32:33], v[168:169] op_sel:[1,0,0] op_sel_hi:[0,1,0]
	s_delay_alu instid0(VALU_DEP_1) | instskip(SKIP_1) | instid1(VALU_DEP_2)
	v_mov_b32_e32 v167, v163
	v_pk_mul_f32 v[162:163], v[164:165], v[160:161] op_sel:[0,1]
	v_pk_add_f32 v[98:99], v[98:99], v[166:167] neg_lo:[0,1] neg_hi:[0,1]
	s_delay_alu instid0(VALU_DEP_2) | instskip(SKIP_1) | instid1(VALU_DEP_1)
	v_pk_fma_f32 v[166:167], v[164:165], v[158:159], v[162:163] op_sel:[0,0,1] op_sel_hi:[1,1,0] neg_lo:[0,0,1] neg_hi:[0,0,1]
	v_pk_fma_f32 v[162:163], v[164:165], v[158:159], v[162:163] op_sel:[0,0,1] op_sel_hi:[1,0,0]
	v_mov_b32_e32 v167, v163
	ds_load_2addr_b64 v[162:165], v202 offset0:22 offset1:23
	v_pk_add_f32 v[132:133], v[132:133], v[166:167] neg_lo:[0,1] neg_hi:[0,1]
	s_wait_dscnt 0x0
	v_pk_mul_f32 v[166:167], v[162:163], v[160:161] op_sel:[0,1]
	s_delay_alu instid0(VALU_DEP_1) | instskip(SKIP_1) | instid1(VALU_DEP_1)
	v_pk_fma_f32 v[168:169], v[162:163], v[158:159], v[166:167] op_sel:[0,0,1] op_sel_hi:[1,1,0] neg_lo:[0,0,1] neg_hi:[0,0,1]
	v_pk_fma_f32 v[162:163], v[162:163], v[158:159], v[166:167] op_sel:[0,0,1] op_sel_hi:[1,0,0]
	v_mov_b32_e32 v169, v163
	v_pk_mul_f32 v[162:163], v[164:165], v[160:161] op_sel:[0,1]
	s_delay_alu instid0(VALU_DEP_2) | instskip(NEXT) | instid1(VALU_DEP_2)
	v_pk_add_f32 v[128:129], v[128:129], v[168:169] neg_lo:[0,1] neg_hi:[0,1]
	v_pk_fma_f32 v[166:167], v[164:165], v[158:159], v[162:163] op_sel:[0,0,1] op_sel_hi:[1,1,0] neg_lo:[0,0,1] neg_hi:[0,0,1]
	v_pk_fma_f32 v[162:163], v[164:165], v[158:159], v[162:163] op_sel:[0,0,1] op_sel_hi:[1,0,0]
	s_delay_alu instid0(VALU_DEP_1) | instskip(SKIP_4) | instid1(VALU_DEP_1)
	v_mov_b32_e32 v167, v163
	ds_load_2addr_b64 v[162:165], v202 offset0:24 offset1:25
	v_pk_add_f32 v[126:127], v[126:127], v[166:167] neg_lo:[0,1] neg_hi:[0,1]
	s_wait_dscnt 0x0
	v_pk_mul_f32 v[166:167], v[162:163], v[160:161] op_sel:[0,1]
	v_pk_fma_f32 v[168:169], v[162:163], v[158:159], v[166:167] op_sel:[0,0,1] op_sel_hi:[1,1,0] neg_lo:[0,0,1] neg_hi:[0,0,1]
	v_pk_fma_f32 v[162:163], v[162:163], v[158:159], v[166:167] op_sel:[0,0,1] op_sel_hi:[1,0,0]
	v_dual_mul_f32 v166, v165, v161 :: v_dual_mov_b32 v162, v165
	s_delay_alu instid0(VALU_DEP_2) | instskip(NEXT) | instid1(VALU_DEP_2)
	v_dual_mov_b32 v169, v163 :: v_dual_mov_b32 v163, v164
	v_pk_fma_f32 v[166:167], v[164:165], v[32:33], v[166:167] op_sel_hi:[1,1,0] neg_lo:[0,0,1] neg_hi:[0,0,1]
	v_mul_f32_e32 v164, v165, v158
	s_delay_alu instid0(VALU_DEP_3) | instskip(NEXT) | instid1(VALU_DEP_2)
	v_pk_add_f32 v[118:119], v[118:119], v[168:169] neg_lo:[0,1] neg_hi:[0,1]
	v_pk_fma_f32 v[162:163], v[162:163], v[32:33], v[164:165] op_sel_hi:[1,1,0]
	s_delay_alu instid0(VALU_DEP_1) | instskip(SKIP_4) | instid1(VALU_DEP_1)
	v_mov_b32_e32 v167, v163
	ds_load_2addr_b64 v[162:165], v202 offset0:26 offset1:27
	v_pk_add_f32 v[112:113], v[112:113], v[166:167] neg_lo:[0,1] neg_hi:[0,1]
	s_wait_dscnt 0x0
	v_pk_mul_f32 v[166:167], v[162:163], v[160:161] op_sel:[0,1]
	v_pk_fma_f32 v[168:169], v[162:163], v[158:159], v[166:167] op_sel:[0,0,1] op_sel_hi:[1,1,0] neg_lo:[0,0,1] neg_hi:[0,0,1]
	v_pk_fma_f32 v[162:163], v[162:163], v[158:159], v[166:167] op_sel:[0,0,1] op_sel_hi:[1,0,0]
	s_delay_alu instid0(VALU_DEP_1) | instskip(SKIP_1) | instid1(VALU_DEP_1)
	v_mov_b32_e32 v169, v163
	v_pk_mul_f32 v[162:163], v[164:165], v[160:161] op_sel:[0,1]
	v_pk_fma_f32 v[166:167], v[164:165], v[158:159], v[162:163] op_sel:[0,0,1] op_sel_hi:[1,1,0] neg_lo:[0,0,1] neg_hi:[0,0,1]
	v_pk_fma_f32 v[162:163], v[164:165], v[158:159], v[162:163] op_sel:[0,0,1] op_sel_hi:[1,0,0]
	s_delay_alu instid0(VALU_DEP_1)
	v_mov_b32_e32 v167, v163
	ds_load_2addr_b64 v[162:165], v202 offset0:28 offset1:29
	v_pk_add_f32 v[116:117], v[116:117], v[168:169] neg_lo:[0,1] neg_hi:[0,1]
	v_pk_add_f32 v[110:111], v[110:111], v[166:167] neg_lo:[0,1] neg_hi:[0,1]
	s_wait_dscnt 0x0
	v_pk_mul_f32 v[166:167], v[162:163], v[160:161] op_sel:[0,1]
	s_delay_alu instid0(VALU_DEP_1) | instskip(SKIP_1) | instid1(VALU_DEP_1)
	v_pk_fma_f32 v[168:169], v[162:163], v[158:159], v[166:167] op_sel:[0,0,1] op_sel_hi:[1,1,0] neg_lo:[0,0,1] neg_hi:[0,0,1]
	v_pk_fma_f32 v[162:163], v[162:163], v[158:159], v[166:167] op_sel:[0,0,1] op_sel_hi:[1,0,0]
	v_mov_b32_e32 v169, v163
	v_pk_mul_f32 v[162:163], v[164:165], v[160:161] op_sel:[0,1]
	s_delay_alu instid0(VALU_DEP_1) | instskip(SKIP_1) | instid1(VALU_DEP_1)
	v_pk_fma_f32 v[166:167], v[164:165], v[158:159], v[162:163] op_sel:[0,0,1] op_sel_hi:[1,1,0] neg_lo:[0,0,1] neg_hi:[0,0,1]
	v_pk_fma_f32 v[162:163], v[164:165], v[158:159], v[162:163] op_sel:[0,0,1] op_sel_hi:[1,0,0]
	v_mov_b32_e32 v167, v163
	ds_load_2addr_b64 v[162:165], v202 offset0:30 offset1:31
	v_pk_add_f32 v[114:115], v[114:115], v[168:169] neg_lo:[0,1] neg_hi:[0,1]
	v_pk_add_f32 v[124:125], v[124:125], v[166:167] neg_lo:[0,1] neg_hi:[0,1]
	s_wait_dscnt 0x0
	v_dual_mul_f32 v166, v163, v161 :: v_dual_mul_f32 v168, v163, v158
	s_delay_alu instid0(VALU_DEP_1) | instskip(NEXT) | instid1(VALU_DEP_2)
	v_pk_fma_f32 v[166:167], v[162:163], v[32:33], v[166:167] op_sel_hi:[1,1,0] neg_lo:[0,0,1] neg_hi:[0,0,1]
	v_pk_fma_f32 v[162:163], v[162:163], v[32:33], v[168:169] op_sel:[1,0,0] op_sel_hi:[0,1,0]
	s_delay_alu instid0(VALU_DEP_1) | instskip(SKIP_1) | instid1(VALU_DEP_2)
	v_mov_b32_e32 v167, v163
	v_pk_mul_f32 v[162:163], v[164:165], v[160:161] op_sel:[0,1]
	v_pk_add_f32 v[122:123], v[122:123], v[166:167] neg_lo:[0,1] neg_hi:[0,1]
	s_delay_alu instid0(VALU_DEP_2) | instskip(SKIP_1) | instid1(VALU_DEP_1)
	v_pk_fma_f32 v[166:167], v[164:165], v[158:159], v[162:163] op_sel:[0,0,1] op_sel_hi:[1,1,0] neg_lo:[0,0,1] neg_hi:[0,0,1]
	v_pk_fma_f32 v[162:163], v[164:165], v[158:159], v[162:163] op_sel:[0,0,1] op_sel_hi:[1,0,0]
	v_mov_b32_e32 v167, v163
	ds_load_b64 v[162:163], v202 offset:256
	v_pk_add_f32 v[120:121], v[120:121], v[166:167] neg_lo:[0,1] neg_hi:[0,1]
	s_wait_dscnt 0x0
	v_pk_mul_f32 v[160:161], v[162:163], v[160:161] op_sel:[0,1]
	s_delay_alu instid0(VALU_DEP_1) | instskip(SKIP_1) | instid1(VALU_DEP_1)
	v_pk_fma_f32 v[164:165], v[162:163], v[158:159], v[160:161] op_sel:[0,0,1] op_sel_hi:[1,1,0] neg_lo:[0,0,1] neg_hi:[0,0,1]
	v_pk_fma_f32 v[158:159], v[162:163], v[158:159], v[160:161] op_sel:[0,0,1] op_sel_hi:[1,0,0]
	v_mov_b32_e32 v165, v159
	s_delay_alu instid0(VALU_DEP_1)
	v_pk_add_f32 v[130:131], v[130:131], v[164:165] neg_lo:[0,1] neg_hi:[0,1]
.LBB65_109:
	s_or_b32 exec_lo, exec_lo, s1
	s_delay_alu instid0(SALU_CYCLE_1)
	s_mov_b32 s2, exec_lo
	s_wait_dscnt 0x0
	s_barrier_signal -1
	s_barrier_wait -1
	v_cmpx_eq_u32_e32 12, v200
	s_cbranch_execz .LBB65_116
; %bb.110:
	ds_store_b64 v201, v[62:63]
	ds_store_2addr_b64 v202, v[58:59], v[60:61] offset0:13 offset1:14
	ds_store_2addr_b64 v202, v[56:57], v[82:83] offset0:15 offset1:16
	;; [unrolled: 1-line block ×10, first 2 shown]
	ds_load_b64 v[158:159], v201
	s_wait_dscnt 0x0
	v_cmp_neq_f32_e32 vcc_lo, 0, v158
	v_cmp_neq_f32_e64 s1, 0, v159
	s_or_b32 s1, vcc_lo, s1
	s_delay_alu instid0(SALU_CYCLE_1)
	s_and_b32 exec_lo, exec_lo, s1
	s_cbranch_execz .LBB65_116
; %bb.111:
	v_cmp_ngt_f32_e64 s1, |v158|, |v159|
                                        ; implicit-def: $vgpr160_vgpr161
	s_and_saveexec_b32 s4, s1
	s_delay_alu instid0(SALU_CYCLE_1)
	s_xor_b32 s1, exec_lo, s4
	s_cbranch_execz .LBB65_113
; %bb.112:
	v_div_scale_f32 v160, null, v159, v159, v158
	v_div_scale_f32 v163, vcc_lo, v158, v159, v158
	s_delay_alu instid0(VALU_DEP_2) | instskip(SKIP_1) | instid1(TRANS32_DEP_1)
	v_rcp_f32_e32 v161, v160
	v_nop
	v_fma_f32 v162, -v160, v161, 1.0
	s_delay_alu instid0(VALU_DEP_1) | instskip(NEXT) | instid1(VALU_DEP_1)
	v_fmac_f32_e32 v161, v162, v161
	v_mul_f32_e32 v162, v163, v161
	s_delay_alu instid0(VALU_DEP_1) | instskip(NEXT) | instid1(VALU_DEP_1)
	v_fma_f32 v164, -v160, v162, v163
	v_fmac_f32_e32 v162, v164, v161
	s_delay_alu instid0(VALU_DEP_1) | instskip(NEXT) | instid1(VALU_DEP_1)
	v_fma_f32 v160, -v160, v162, v163
	v_div_fmas_f32 v160, v160, v161, v162
	s_delay_alu instid0(VALU_DEP_1) | instskip(NEXT) | instid1(VALU_DEP_1)
	v_div_fixup_f32 v160, v160, v159, v158
	v_fmac_f32_e32 v159, v158, v160
	s_delay_alu instid0(VALU_DEP_1) | instskip(SKIP_1) | instid1(VALU_DEP_2)
	v_div_scale_f32 v158, null, v159, v159, 1.0
	v_div_scale_f32 v163, vcc_lo, 1.0, v159, 1.0
	v_rcp_f32_e32 v161, v158
	v_nop
	s_delay_alu instid0(TRANS32_DEP_1) | instskip(NEXT) | instid1(VALU_DEP_1)
	v_fma_f32 v162, -v158, v161, 1.0
	v_fmac_f32_e32 v161, v162, v161
	s_delay_alu instid0(VALU_DEP_1) | instskip(NEXT) | instid1(VALU_DEP_1)
	v_mul_f32_e32 v162, v163, v161
	v_fma_f32 v164, -v158, v162, v163
	s_delay_alu instid0(VALU_DEP_1) | instskip(NEXT) | instid1(VALU_DEP_1)
	v_fmac_f32_e32 v162, v164, v161
	v_fma_f32 v158, -v158, v162, v163
	s_delay_alu instid0(VALU_DEP_1) | instskip(NEXT) | instid1(VALU_DEP_1)
	v_div_fmas_f32 v158, v158, v161, v162
	v_div_fixup_f32 v158, v158, v159, 1.0
	s_delay_alu instid0(VALU_DEP_1)
	v_mul_f32_e32 v160, v160, v158
	v_xor_b32_e32 v161, 0x80000000, v158
                                        ; implicit-def: $vgpr158_vgpr159
.LBB65_113:
	s_and_not1_saveexec_b32 s1, s1
	s_cbranch_execz .LBB65_115
; %bb.114:
	v_div_scale_f32 v160, null, v158, v158, v159
	v_div_scale_f32 v163, vcc_lo, v159, v158, v159
	s_delay_alu instid0(VALU_DEP_2) | instskip(SKIP_1) | instid1(TRANS32_DEP_1)
	v_rcp_f32_e32 v161, v160
	v_nop
	v_fma_f32 v162, -v160, v161, 1.0
	s_delay_alu instid0(VALU_DEP_1) | instskip(NEXT) | instid1(VALU_DEP_1)
	v_fmac_f32_e32 v161, v162, v161
	v_mul_f32_e32 v162, v163, v161
	s_delay_alu instid0(VALU_DEP_1) | instskip(NEXT) | instid1(VALU_DEP_1)
	v_fma_f32 v164, -v160, v162, v163
	v_fmac_f32_e32 v162, v164, v161
	s_delay_alu instid0(VALU_DEP_1) | instskip(NEXT) | instid1(VALU_DEP_1)
	v_fma_f32 v160, -v160, v162, v163
	v_div_fmas_f32 v160, v160, v161, v162
	s_delay_alu instid0(VALU_DEP_1) | instskip(NEXT) | instid1(VALU_DEP_1)
	v_div_fixup_f32 v161, v160, v158, v159
	v_fmac_f32_e32 v158, v159, v161
	s_delay_alu instid0(VALU_DEP_1) | instskip(NEXT) | instid1(VALU_DEP_1)
	v_div_scale_f32 v159, null, v158, v158, 1.0
	v_rcp_f32_e32 v160, v159
	v_nop
	s_delay_alu instid0(TRANS32_DEP_1) | instskip(NEXT) | instid1(VALU_DEP_1)
	v_fma_f32 v162, -v159, v160, 1.0
	v_fmac_f32_e32 v160, v162, v160
	v_div_scale_f32 v162, vcc_lo, 1.0, v158, 1.0
	s_delay_alu instid0(VALU_DEP_1) | instskip(NEXT) | instid1(VALU_DEP_1)
	v_mul_f32_e32 v163, v162, v160
	v_fma_f32 v164, -v159, v163, v162
	s_delay_alu instid0(VALU_DEP_1) | instskip(NEXT) | instid1(VALU_DEP_1)
	v_fmac_f32_e32 v163, v164, v160
	v_fma_f32 v159, -v159, v163, v162
	s_delay_alu instid0(VALU_DEP_1) | instskip(NEXT) | instid1(VALU_DEP_1)
	v_div_fmas_f32 v159, v159, v160, v163
	v_div_fixup_f32 v160, v159, v158, 1.0
	s_delay_alu instid0(VALU_DEP_1)
	v_mul_f32_e64 v161, v161, -v160
.LBB65_115:
	s_or_b32 exec_lo, exec_lo, s1
	ds_store_b64 v201, v[160:161]
.LBB65_116:
	s_or_b32 exec_lo, exec_lo, s2
	s_wait_dscnt 0x0
	s_barrier_signal -1
	s_barrier_wait -1
	ds_load_b64 v[158:159], v201
	s_mov_b32 s1, exec_lo
	v_cmpx_lt_u32_e32 12, v200
	s_cbranch_execz .LBB65_118
; %bb.117:
	ds_load_2addr_b64 v[164:167], v202 offset0:13 offset1:14
	s_wait_dscnt 0x1
	v_pk_mul_f32 v[162:163], v[158:159], v[62:63] op_sel:[1,1] op_sel_hi:[0,1]
	s_delay_alu instid0(VALU_DEP_1) | instskip(SKIP_1) | instid1(VALU_DEP_1)
	v_pk_fma_f32 v[160:161], v[158:159], v[62:63], v[162:163] op_sel_hi:[1,0,1] neg_lo:[0,0,1] neg_hi:[0,0,1]
	v_pk_fma_f32 v[162:163], v[158:159], v[62:63], v[162:163] op_sel_hi:[1,0,1]
	v_dual_mov_b32 v62, v160 :: v_dual_mov_b32 v63, v163
	s_wait_dscnt 0x0
	s_delay_alu instid0(VALU_DEP_2) | instskip(NEXT) | instid1(VALU_DEP_1)
	v_pk_mul_f32 v[168:169], v[164:165], v[162:163] op_sel:[0,1]
	v_pk_fma_f32 v[170:171], v[164:165], v[160:161], v[168:169] op_sel:[0,0,1] op_sel_hi:[1,1,0] neg_lo:[0,0,1] neg_hi:[0,0,1]
	v_pk_fma_f32 v[164:165], v[164:165], v[160:161], v[168:169] op_sel:[0,0,1] op_sel_hi:[1,0,0]
	s_delay_alu instid0(VALU_DEP_1) | instskip(SKIP_1) | instid1(VALU_DEP_1)
	v_mov_b32_e32 v171, v165
	v_pk_mul_f32 v[164:165], v[166:167], v[162:163] op_sel:[0,1]
	v_pk_fma_f32 v[168:169], v[166:167], v[160:161], v[164:165] op_sel:[0,0,1] op_sel_hi:[1,1,0] neg_lo:[0,0,1] neg_hi:[0,0,1]
	v_pk_fma_f32 v[164:165], v[166:167], v[160:161], v[164:165] op_sel:[0,0,1] op_sel_hi:[1,0,0]
	s_delay_alu instid0(VALU_DEP_1)
	v_mov_b32_e32 v169, v165
	ds_load_2addr_b64 v[164:167], v202 offset0:15 offset1:16
	v_pk_add_f32 v[58:59], v[58:59], v[170:171] neg_lo:[0,1] neg_hi:[0,1]
	v_pk_add_f32 v[60:61], v[60:61], v[168:169] neg_lo:[0,1] neg_hi:[0,1]
	s_wait_dscnt 0x0
	v_pk_mul_f32 v[168:169], v[164:165], v[162:163] op_sel:[0,1]
	s_delay_alu instid0(VALU_DEP_1) | instskip(SKIP_2) | instid1(VALU_DEP_2)
	v_pk_fma_f32 v[170:171], v[164:165], v[160:161], v[168:169] op_sel:[0,0,1] op_sel_hi:[1,1,0] neg_lo:[0,0,1] neg_hi:[0,0,1]
	v_pk_fma_f32 v[164:165], v[164:165], v[160:161], v[168:169] op_sel:[0,0,1] op_sel_hi:[1,0,0]
	v_dual_mul_f32 v168, v167, v163 :: v_dual_mov_b32 v164, v167
	v_dual_mov_b32 v171, v165 :: v_dual_mov_b32 v165, v166
	s_delay_alu instid0(VALU_DEP_2) | instskip(SKIP_1) | instid1(VALU_DEP_3)
	v_pk_fma_f32 v[168:169], v[166:167], v[62:63], v[168:169] op_sel_hi:[1,1,0] neg_lo:[0,0,1] neg_hi:[0,0,1]
	v_mul_f32_e32 v166, v167, v160
	v_pk_add_f32 v[56:57], v[56:57], v[170:171] neg_lo:[0,1] neg_hi:[0,1]
	s_delay_alu instid0(VALU_DEP_2) | instskip(NEXT) | instid1(VALU_DEP_1)
	v_pk_fma_f32 v[164:165], v[164:165], v[62:63], v[166:167] op_sel_hi:[1,1,0]
	v_mov_b32_e32 v169, v165
	ds_load_2addr_b64 v[164:167], v202 offset0:17 offset1:18
	v_pk_add_f32 v[82:83], v[82:83], v[168:169] neg_lo:[0,1] neg_hi:[0,1]
	s_wait_dscnt 0x0
	v_pk_mul_f32 v[168:169], v[164:165], v[162:163] op_sel:[0,1]
	s_delay_alu instid0(VALU_DEP_1) | instskip(SKIP_1) | instid1(VALU_DEP_1)
	v_pk_fma_f32 v[170:171], v[164:165], v[160:161], v[168:169] op_sel:[0,0,1] op_sel_hi:[1,1,0] neg_lo:[0,0,1] neg_hi:[0,0,1]
	v_pk_fma_f32 v[164:165], v[164:165], v[160:161], v[168:169] op_sel:[0,0,1] op_sel_hi:[1,0,0]
	v_mov_b32_e32 v171, v165
	v_pk_mul_f32 v[164:165], v[166:167], v[162:163] op_sel:[0,1]
	s_delay_alu instid0(VALU_DEP_1) | instskip(SKIP_1) | instid1(VALU_DEP_1)
	v_pk_fma_f32 v[168:169], v[166:167], v[160:161], v[164:165] op_sel:[0,0,1] op_sel_hi:[1,1,0] neg_lo:[0,0,1] neg_hi:[0,0,1]
	v_pk_fma_f32 v[164:165], v[166:167], v[160:161], v[164:165] op_sel:[0,0,1] op_sel_hi:[1,0,0]
	v_mov_b32_e32 v169, v165
	ds_load_2addr_b64 v[164:167], v202 offset0:19 offset1:20
	v_pk_add_f32 v[78:79], v[78:79], v[170:171] neg_lo:[0,1] neg_hi:[0,1]
	v_pk_add_f32 v[80:81], v[80:81], v[168:169] neg_lo:[0,1] neg_hi:[0,1]
	s_wait_dscnt 0x0
	v_pk_mul_f32 v[168:169], v[164:165], v[162:163] op_sel:[0,1]
	s_delay_alu instid0(VALU_DEP_1) | instskip(SKIP_1) | instid1(VALU_DEP_1)
	v_pk_fma_f32 v[170:171], v[164:165], v[160:161], v[168:169] op_sel:[0,0,1] op_sel_hi:[1,1,0] neg_lo:[0,0,1] neg_hi:[0,0,1]
	v_pk_fma_f32 v[164:165], v[164:165], v[160:161], v[168:169] op_sel:[0,0,1] op_sel_hi:[1,0,0]
	v_mov_b32_e32 v171, v165
	v_pk_mul_f32 v[164:165], v[166:167], v[162:163] op_sel:[0,1]
	s_delay_alu instid0(VALU_DEP_1) | instskip(SKIP_1) | instid1(VALU_DEP_1)
	v_pk_fma_f32 v[168:169], v[166:167], v[160:161], v[164:165] op_sel:[0,0,1] op_sel_hi:[1,1,0] neg_lo:[0,0,1] neg_hi:[0,0,1]
	v_pk_fma_f32 v[164:165], v[166:167], v[160:161], v[164:165] op_sel:[0,0,1] op_sel_hi:[1,0,0]
	v_mov_b32_e32 v169, v165
	ds_load_2addr_b64 v[164:167], v202 offset0:21 offset1:22
	v_pk_add_f32 v[76:77], v[76:77], v[170:171] neg_lo:[0,1] neg_hi:[0,1]
	v_pk_add_f32 v[98:99], v[98:99], v[168:169] neg_lo:[0,1] neg_hi:[0,1]
	s_wait_dscnt 0x0
	v_dual_mul_f32 v168, v165, v163 :: v_dual_mul_f32 v170, v165, v160
	s_delay_alu instid0(VALU_DEP_1) | instskip(NEXT) | instid1(VALU_DEP_2)
	v_pk_fma_f32 v[168:169], v[164:165], v[62:63], v[168:169] op_sel_hi:[1,1,0] neg_lo:[0,0,1] neg_hi:[0,0,1]
	v_pk_fma_f32 v[164:165], v[164:165], v[62:63], v[170:171] op_sel:[1,0,0] op_sel_hi:[0,1,0]
	s_delay_alu instid0(VALU_DEP_1) | instskip(SKIP_1) | instid1(VALU_DEP_2)
	v_mov_b32_e32 v169, v165
	v_pk_mul_f32 v[164:165], v[166:167], v[162:163] op_sel:[0,1]
	v_pk_add_f32 v[132:133], v[132:133], v[168:169] neg_lo:[0,1] neg_hi:[0,1]
	s_delay_alu instid0(VALU_DEP_2) | instskip(SKIP_1) | instid1(VALU_DEP_1)
	v_pk_fma_f32 v[168:169], v[166:167], v[160:161], v[164:165] op_sel:[0,0,1] op_sel_hi:[1,1,0] neg_lo:[0,0,1] neg_hi:[0,0,1]
	v_pk_fma_f32 v[164:165], v[166:167], v[160:161], v[164:165] op_sel:[0,0,1] op_sel_hi:[1,0,0]
	v_mov_b32_e32 v169, v165
	ds_load_2addr_b64 v[164:167], v202 offset0:23 offset1:24
	v_pk_add_f32 v[128:129], v[128:129], v[168:169] neg_lo:[0,1] neg_hi:[0,1]
	s_wait_dscnt 0x0
	v_pk_mul_f32 v[168:169], v[164:165], v[162:163] op_sel:[0,1]
	s_delay_alu instid0(VALU_DEP_1) | instskip(SKIP_1) | instid1(VALU_DEP_1)
	v_pk_fma_f32 v[170:171], v[164:165], v[160:161], v[168:169] op_sel:[0,0,1] op_sel_hi:[1,1,0] neg_lo:[0,0,1] neg_hi:[0,0,1]
	v_pk_fma_f32 v[164:165], v[164:165], v[160:161], v[168:169] op_sel:[0,0,1] op_sel_hi:[1,0,0]
	v_mov_b32_e32 v171, v165
	v_pk_mul_f32 v[164:165], v[166:167], v[162:163] op_sel:[0,1]
	s_delay_alu instid0(VALU_DEP_2) | instskip(NEXT) | instid1(VALU_DEP_2)
	v_pk_add_f32 v[126:127], v[126:127], v[170:171] neg_lo:[0,1] neg_hi:[0,1]
	v_pk_fma_f32 v[168:169], v[166:167], v[160:161], v[164:165] op_sel:[0,0,1] op_sel_hi:[1,1,0] neg_lo:[0,0,1] neg_hi:[0,0,1]
	v_pk_fma_f32 v[164:165], v[166:167], v[160:161], v[164:165] op_sel:[0,0,1] op_sel_hi:[1,0,0]
	s_delay_alu instid0(VALU_DEP_1) | instskip(SKIP_4) | instid1(VALU_DEP_1)
	v_mov_b32_e32 v169, v165
	ds_load_2addr_b64 v[164:167], v202 offset0:25 offset1:26
	v_pk_add_f32 v[118:119], v[118:119], v[168:169] neg_lo:[0,1] neg_hi:[0,1]
	s_wait_dscnt 0x0
	v_pk_mul_f32 v[168:169], v[164:165], v[162:163] op_sel:[0,1]
	v_pk_fma_f32 v[170:171], v[164:165], v[160:161], v[168:169] op_sel:[0,0,1] op_sel_hi:[1,1,0] neg_lo:[0,0,1] neg_hi:[0,0,1]
	v_pk_fma_f32 v[164:165], v[164:165], v[160:161], v[168:169] op_sel:[0,0,1] op_sel_hi:[1,0,0]
	v_dual_mul_f32 v168, v167, v163 :: v_dual_mov_b32 v164, v167
	s_delay_alu instid0(VALU_DEP_2) | instskip(NEXT) | instid1(VALU_DEP_2)
	v_dual_mov_b32 v171, v165 :: v_dual_mov_b32 v165, v166
	v_pk_fma_f32 v[168:169], v[166:167], v[62:63], v[168:169] op_sel_hi:[1,1,0] neg_lo:[0,0,1] neg_hi:[0,0,1]
	v_mul_f32_e32 v166, v167, v160
	s_delay_alu instid0(VALU_DEP_3) | instskip(NEXT) | instid1(VALU_DEP_2)
	v_pk_add_f32 v[112:113], v[112:113], v[170:171] neg_lo:[0,1] neg_hi:[0,1]
	v_pk_fma_f32 v[164:165], v[164:165], v[62:63], v[166:167] op_sel_hi:[1,1,0]
	s_delay_alu instid0(VALU_DEP_1) | instskip(SKIP_4) | instid1(VALU_DEP_1)
	v_mov_b32_e32 v169, v165
	ds_load_2addr_b64 v[164:167], v202 offset0:27 offset1:28
	v_pk_add_f32 v[116:117], v[116:117], v[168:169] neg_lo:[0,1] neg_hi:[0,1]
	s_wait_dscnt 0x0
	v_pk_mul_f32 v[168:169], v[164:165], v[162:163] op_sel:[0,1]
	v_pk_fma_f32 v[170:171], v[164:165], v[160:161], v[168:169] op_sel:[0,0,1] op_sel_hi:[1,1,0] neg_lo:[0,0,1] neg_hi:[0,0,1]
	v_pk_fma_f32 v[164:165], v[164:165], v[160:161], v[168:169] op_sel:[0,0,1] op_sel_hi:[1,0,0]
	s_delay_alu instid0(VALU_DEP_1) | instskip(SKIP_1) | instid1(VALU_DEP_1)
	v_mov_b32_e32 v171, v165
	v_pk_mul_f32 v[164:165], v[166:167], v[162:163] op_sel:[0,1]
	v_pk_fma_f32 v[168:169], v[166:167], v[160:161], v[164:165] op_sel:[0,0,1] op_sel_hi:[1,1,0] neg_lo:[0,0,1] neg_hi:[0,0,1]
	v_pk_fma_f32 v[164:165], v[166:167], v[160:161], v[164:165] op_sel:[0,0,1] op_sel_hi:[1,0,0]
	s_delay_alu instid0(VALU_DEP_1)
	v_mov_b32_e32 v169, v165
	ds_load_2addr_b64 v[164:167], v202 offset0:29 offset1:30
	v_pk_add_f32 v[110:111], v[110:111], v[170:171] neg_lo:[0,1] neg_hi:[0,1]
	v_pk_add_f32 v[114:115], v[114:115], v[168:169] neg_lo:[0,1] neg_hi:[0,1]
	s_wait_dscnt 0x0
	v_pk_mul_f32 v[168:169], v[164:165], v[162:163] op_sel:[0,1]
	s_delay_alu instid0(VALU_DEP_1) | instskip(SKIP_1) | instid1(VALU_DEP_1)
	v_pk_fma_f32 v[170:171], v[164:165], v[160:161], v[168:169] op_sel:[0,0,1] op_sel_hi:[1,1,0] neg_lo:[0,0,1] neg_hi:[0,0,1]
	v_pk_fma_f32 v[164:165], v[164:165], v[160:161], v[168:169] op_sel:[0,0,1] op_sel_hi:[1,0,0]
	v_mov_b32_e32 v171, v165
	v_pk_mul_f32 v[164:165], v[166:167], v[162:163] op_sel:[0,1]
	s_delay_alu instid0(VALU_DEP_1) | instskip(SKIP_1) | instid1(VALU_DEP_1)
	v_pk_fma_f32 v[168:169], v[166:167], v[160:161], v[164:165] op_sel:[0,0,1] op_sel_hi:[1,1,0] neg_lo:[0,0,1] neg_hi:[0,0,1]
	v_pk_fma_f32 v[164:165], v[166:167], v[160:161], v[164:165] op_sel:[0,0,1] op_sel_hi:[1,0,0]
	v_mov_b32_e32 v169, v165
	ds_load_2addr_b64 v[164:167], v202 offset0:31 offset1:32
	v_pk_add_f32 v[124:125], v[124:125], v[170:171] neg_lo:[0,1] neg_hi:[0,1]
	v_pk_add_f32 v[122:123], v[122:123], v[168:169] neg_lo:[0,1] neg_hi:[0,1]
	s_wait_dscnt 0x0
	v_dual_mul_f32 v168, v165, v163 :: v_dual_mul_f32 v170, v165, v160
	v_pk_mul_f32 v[162:163], v[166:167], v[162:163] op_sel:[0,1]
	s_delay_alu instid0(VALU_DEP_2) | instskip(NEXT) | instid1(VALU_DEP_3)
	v_pk_fma_f32 v[168:169], v[164:165], v[62:63], v[168:169] op_sel_hi:[1,1,0] neg_lo:[0,0,1] neg_hi:[0,0,1]
	v_pk_fma_f32 v[164:165], v[164:165], v[62:63], v[170:171] op_sel:[1,0,0] op_sel_hi:[0,1,0]
	s_delay_alu instid0(VALU_DEP_1) | instskip(NEXT) | instid1(VALU_DEP_4)
	v_mov_b32_e32 v169, v165
	v_pk_fma_f32 v[164:165], v[166:167], v[160:161], v[162:163] op_sel:[0,0,1] op_sel_hi:[1,1,0] neg_lo:[0,0,1] neg_hi:[0,0,1]
	v_pk_fma_f32 v[160:161], v[166:167], v[160:161], v[162:163] op_sel:[0,0,1] op_sel_hi:[1,0,0]
	s_delay_alu instid0(VALU_DEP_1) | instskip(NEXT) | instid1(VALU_DEP_4)
	v_mov_b32_e32 v165, v161
	v_pk_add_f32 v[120:121], v[120:121], v[168:169] neg_lo:[0,1] neg_hi:[0,1]
	s_delay_alu instid0(VALU_DEP_2)
	v_pk_add_f32 v[130:131], v[130:131], v[164:165] neg_lo:[0,1] neg_hi:[0,1]
.LBB65_118:
	s_or_b32 exec_lo, exec_lo, s1
	s_delay_alu instid0(SALU_CYCLE_1)
	s_mov_b32 s2, exec_lo
	s_wait_dscnt 0x0
	s_barrier_signal -1
	s_barrier_wait -1
	v_cmpx_eq_u32_e32 13, v200
	s_cbranch_execz .LBB65_125
; %bb.119:
	v_dual_mov_b32 v160, v60 :: v_dual_mov_b32 v161, v61
	v_dual_mov_b32 v162, v56 :: v_dual_mov_b32 v163, v57
	;; [unrolled: 1-line block ×8, first 2 shown]
	ds_store_b64 v201, v[58:59]
	ds_store_2addr_b64 v202, v[160:161], v[162:163] offset0:14 offset1:15
	ds_store_2addr_b64 v202, v[164:165], v[166:167] offset0:16 offset1:17
	;; [unrolled: 1-line block ×4, first 2 shown]
	v_dual_mov_b32 v160, v128 :: v_dual_mov_b32 v161, v129
	v_dual_mov_b32 v162, v126 :: v_dual_mov_b32 v163, v127
	;; [unrolled: 1-line block ×10, first 2 shown]
	ds_store_2addr_b64 v202, v[160:161], v[162:163] offset0:22 offset1:23
	ds_store_2addr_b64 v202, v[164:165], v[166:167] offset0:24 offset1:25
	;; [unrolled: 1-line block ×5, first 2 shown]
	ds_store_b64 v202, v[130:131] offset:256
	ds_load_b64 v[160:161], v201
	s_wait_dscnt 0x0
	v_cmp_neq_f32_e32 vcc_lo, 0, v160
	v_cmp_neq_f32_e64 s1, 0, v161
	s_or_b32 s1, vcc_lo, s1
	s_delay_alu instid0(SALU_CYCLE_1)
	s_and_b32 exec_lo, exec_lo, s1
	s_cbranch_execz .LBB65_125
; %bb.120:
	v_cmp_ngt_f32_e64 s1, |v160|, |v161|
                                        ; implicit-def: $vgpr162_vgpr163
	s_and_saveexec_b32 s4, s1
	s_delay_alu instid0(SALU_CYCLE_1)
	s_xor_b32 s1, exec_lo, s4
	s_cbranch_execz .LBB65_122
; %bb.121:
	v_div_scale_f32 v162, null, v161, v161, v160
	v_div_scale_f32 v165, vcc_lo, v160, v161, v160
	s_delay_alu instid0(VALU_DEP_2) | instskip(SKIP_1) | instid1(TRANS32_DEP_1)
	v_rcp_f32_e32 v163, v162
	v_nop
	v_fma_f32 v164, -v162, v163, 1.0
	s_delay_alu instid0(VALU_DEP_1) | instskip(NEXT) | instid1(VALU_DEP_1)
	v_fmac_f32_e32 v163, v164, v163
	v_mul_f32_e32 v164, v165, v163
	s_delay_alu instid0(VALU_DEP_1) | instskip(NEXT) | instid1(VALU_DEP_1)
	v_fma_f32 v166, -v162, v164, v165
	v_fmac_f32_e32 v164, v166, v163
	s_delay_alu instid0(VALU_DEP_1) | instskip(NEXT) | instid1(VALU_DEP_1)
	v_fma_f32 v162, -v162, v164, v165
	v_div_fmas_f32 v162, v162, v163, v164
	s_delay_alu instid0(VALU_DEP_1) | instskip(NEXT) | instid1(VALU_DEP_1)
	v_div_fixup_f32 v162, v162, v161, v160
	v_fmac_f32_e32 v161, v160, v162
	s_delay_alu instid0(VALU_DEP_1) | instskip(SKIP_1) | instid1(VALU_DEP_2)
	v_div_scale_f32 v160, null, v161, v161, 1.0
	v_div_scale_f32 v165, vcc_lo, 1.0, v161, 1.0
	v_rcp_f32_e32 v163, v160
	v_nop
	s_delay_alu instid0(TRANS32_DEP_1) | instskip(NEXT) | instid1(VALU_DEP_1)
	v_fma_f32 v164, -v160, v163, 1.0
	v_fmac_f32_e32 v163, v164, v163
	s_delay_alu instid0(VALU_DEP_1) | instskip(NEXT) | instid1(VALU_DEP_1)
	v_mul_f32_e32 v164, v165, v163
	v_fma_f32 v166, -v160, v164, v165
	s_delay_alu instid0(VALU_DEP_1) | instskip(NEXT) | instid1(VALU_DEP_1)
	v_fmac_f32_e32 v164, v166, v163
	v_fma_f32 v160, -v160, v164, v165
	s_delay_alu instid0(VALU_DEP_1) | instskip(NEXT) | instid1(VALU_DEP_1)
	v_div_fmas_f32 v160, v160, v163, v164
	v_div_fixup_f32 v160, v160, v161, 1.0
	s_delay_alu instid0(VALU_DEP_1)
	v_mul_f32_e32 v162, v162, v160
	v_xor_b32_e32 v163, 0x80000000, v160
                                        ; implicit-def: $vgpr160_vgpr161
.LBB65_122:
	s_and_not1_saveexec_b32 s1, s1
	s_cbranch_execz .LBB65_124
; %bb.123:
	v_div_scale_f32 v162, null, v160, v160, v161
	v_div_scale_f32 v165, vcc_lo, v161, v160, v161
	s_delay_alu instid0(VALU_DEP_2) | instskip(SKIP_1) | instid1(TRANS32_DEP_1)
	v_rcp_f32_e32 v163, v162
	v_nop
	v_fma_f32 v164, -v162, v163, 1.0
	s_delay_alu instid0(VALU_DEP_1) | instskip(NEXT) | instid1(VALU_DEP_1)
	v_fmac_f32_e32 v163, v164, v163
	v_mul_f32_e32 v164, v165, v163
	s_delay_alu instid0(VALU_DEP_1) | instskip(NEXT) | instid1(VALU_DEP_1)
	v_fma_f32 v166, -v162, v164, v165
	v_fmac_f32_e32 v164, v166, v163
	s_delay_alu instid0(VALU_DEP_1) | instskip(NEXT) | instid1(VALU_DEP_1)
	v_fma_f32 v162, -v162, v164, v165
	v_div_fmas_f32 v162, v162, v163, v164
	s_delay_alu instid0(VALU_DEP_1) | instskip(NEXT) | instid1(VALU_DEP_1)
	v_div_fixup_f32 v163, v162, v160, v161
	v_fmac_f32_e32 v160, v161, v163
	s_delay_alu instid0(VALU_DEP_1) | instskip(NEXT) | instid1(VALU_DEP_1)
	v_div_scale_f32 v161, null, v160, v160, 1.0
	v_rcp_f32_e32 v162, v161
	v_nop
	s_delay_alu instid0(TRANS32_DEP_1) | instskip(NEXT) | instid1(VALU_DEP_1)
	v_fma_f32 v164, -v161, v162, 1.0
	v_fmac_f32_e32 v162, v164, v162
	v_div_scale_f32 v164, vcc_lo, 1.0, v160, 1.0
	s_delay_alu instid0(VALU_DEP_1) | instskip(NEXT) | instid1(VALU_DEP_1)
	v_mul_f32_e32 v165, v164, v162
	v_fma_f32 v166, -v161, v165, v164
	s_delay_alu instid0(VALU_DEP_1) | instskip(NEXT) | instid1(VALU_DEP_1)
	v_fmac_f32_e32 v165, v166, v162
	v_fma_f32 v161, -v161, v165, v164
	s_delay_alu instid0(VALU_DEP_1) | instskip(NEXT) | instid1(VALU_DEP_1)
	v_div_fmas_f32 v161, v161, v162, v165
	v_div_fixup_f32 v162, v161, v160, 1.0
	s_delay_alu instid0(VALU_DEP_1)
	v_mul_f32_e64 v163, v163, -v162
.LBB65_124:
	s_or_b32 exec_lo, exec_lo, s1
	ds_store_b64 v201, v[162:163]
.LBB65_125:
	s_or_b32 exec_lo, exec_lo, s2
	s_wait_dscnt 0x0
	s_barrier_signal -1
	s_barrier_wait -1
	ds_load_b64 v[160:161], v201
	s_mov_b32 s1, exec_lo
	v_cmpx_lt_u32_e32 13, v200
	s_cbranch_execz .LBB65_127
; %bb.126:
	ds_load_2addr_b64 v[166:169], v202 offset0:14 offset1:15
	s_wait_dscnt 0x1
	v_pk_mul_f32 v[164:165], v[160:161], v[58:59] op_sel:[1,1] op_sel_hi:[0,1]
	s_delay_alu instid0(VALU_DEP_1) | instskip(SKIP_1) | instid1(VALU_DEP_1)
	v_pk_fma_f32 v[162:163], v[160:161], v[58:59], v[164:165] op_sel_hi:[1,0,1] neg_lo:[0,0,1] neg_hi:[0,0,1]
	v_pk_fma_f32 v[164:165], v[160:161], v[58:59], v[164:165] op_sel_hi:[1,0,1]
	v_dual_mov_b32 v58, v162 :: v_dual_mov_b32 v59, v165
	s_wait_dscnt 0x0
	s_delay_alu instid0(VALU_DEP_2) | instskip(NEXT) | instid1(VALU_DEP_1)
	v_pk_mul_f32 v[170:171], v[166:167], v[164:165] op_sel:[0,1]
	v_pk_fma_f32 v[172:173], v[166:167], v[162:163], v[170:171] op_sel:[0,0,1] op_sel_hi:[1,1,0] neg_lo:[0,0,1] neg_hi:[0,0,1]
	v_pk_fma_f32 v[166:167], v[166:167], v[162:163], v[170:171] op_sel:[0,0,1] op_sel_hi:[1,0,0]
	s_delay_alu instid0(VALU_DEP_1) | instskip(SKIP_1) | instid1(VALU_DEP_1)
	v_mov_b32_e32 v173, v167
	v_pk_mul_f32 v[166:167], v[168:169], v[164:165] op_sel:[0,1]
	v_pk_fma_f32 v[170:171], v[168:169], v[162:163], v[166:167] op_sel:[0,0,1] op_sel_hi:[1,1,0] neg_lo:[0,0,1] neg_hi:[0,0,1]
	v_pk_fma_f32 v[166:167], v[168:169], v[162:163], v[166:167] op_sel:[0,0,1] op_sel_hi:[1,0,0]
	s_delay_alu instid0(VALU_DEP_1)
	v_mov_b32_e32 v171, v167
	ds_load_2addr_b64 v[166:169], v202 offset0:16 offset1:17
	v_pk_add_f32 v[60:61], v[60:61], v[172:173] neg_lo:[0,1] neg_hi:[0,1]
	v_pk_add_f32 v[56:57], v[56:57], v[170:171] neg_lo:[0,1] neg_hi:[0,1]
	s_wait_dscnt 0x0
	v_pk_mul_f32 v[170:171], v[166:167], v[164:165] op_sel:[0,1]
	s_delay_alu instid0(VALU_DEP_1) | instskip(SKIP_2) | instid1(VALU_DEP_2)
	v_pk_fma_f32 v[172:173], v[166:167], v[162:163], v[170:171] op_sel:[0,0,1] op_sel_hi:[1,1,0] neg_lo:[0,0,1] neg_hi:[0,0,1]
	v_pk_fma_f32 v[166:167], v[166:167], v[162:163], v[170:171] op_sel:[0,0,1] op_sel_hi:[1,0,0]
	v_dual_mul_f32 v170, v169, v165 :: v_dual_mov_b32 v166, v169
	v_dual_mov_b32 v173, v167 :: v_dual_mov_b32 v167, v168
	s_delay_alu instid0(VALU_DEP_2) | instskip(SKIP_1) | instid1(VALU_DEP_3)
	v_pk_fma_f32 v[170:171], v[168:169], v[58:59], v[170:171] op_sel_hi:[1,1,0] neg_lo:[0,0,1] neg_hi:[0,0,1]
	v_mul_f32_e32 v168, v169, v162
	v_pk_add_f32 v[82:83], v[82:83], v[172:173] neg_lo:[0,1] neg_hi:[0,1]
	s_delay_alu instid0(VALU_DEP_2) | instskip(NEXT) | instid1(VALU_DEP_1)
	v_pk_fma_f32 v[166:167], v[166:167], v[58:59], v[168:169] op_sel_hi:[1,1,0]
	v_mov_b32_e32 v171, v167
	ds_load_2addr_b64 v[166:169], v202 offset0:18 offset1:19
	v_pk_add_f32 v[78:79], v[78:79], v[170:171] neg_lo:[0,1] neg_hi:[0,1]
	s_wait_dscnt 0x0
	v_pk_mul_f32 v[170:171], v[166:167], v[164:165] op_sel:[0,1]
	s_delay_alu instid0(VALU_DEP_1) | instskip(SKIP_1) | instid1(VALU_DEP_1)
	v_pk_fma_f32 v[172:173], v[166:167], v[162:163], v[170:171] op_sel:[0,0,1] op_sel_hi:[1,1,0] neg_lo:[0,0,1] neg_hi:[0,0,1]
	v_pk_fma_f32 v[166:167], v[166:167], v[162:163], v[170:171] op_sel:[0,0,1] op_sel_hi:[1,0,0]
	v_mov_b32_e32 v173, v167
	v_pk_mul_f32 v[166:167], v[168:169], v[164:165] op_sel:[0,1]
	s_delay_alu instid0(VALU_DEP_1) | instskip(SKIP_1) | instid1(VALU_DEP_1)
	v_pk_fma_f32 v[170:171], v[168:169], v[162:163], v[166:167] op_sel:[0,0,1] op_sel_hi:[1,1,0] neg_lo:[0,0,1] neg_hi:[0,0,1]
	v_pk_fma_f32 v[166:167], v[168:169], v[162:163], v[166:167] op_sel:[0,0,1] op_sel_hi:[1,0,0]
	v_mov_b32_e32 v171, v167
	ds_load_2addr_b64 v[166:169], v202 offset0:20 offset1:21
	v_pk_add_f32 v[80:81], v[80:81], v[172:173] neg_lo:[0,1] neg_hi:[0,1]
	v_pk_add_f32 v[76:77], v[76:77], v[170:171] neg_lo:[0,1] neg_hi:[0,1]
	s_wait_dscnt 0x0
	v_pk_mul_f32 v[170:171], v[166:167], v[164:165] op_sel:[0,1]
	s_delay_alu instid0(VALU_DEP_1) | instskip(SKIP_1) | instid1(VALU_DEP_1)
	v_pk_fma_f32 v[172:173], v[166:167], v[162:163], v[170:171] op_sel:[0,0,1] op_sel_hi:[1,1,0] neg_lo:[0,0,1] neg_hi:[0,0,1]
	v_pk_fma_f32 v[166:167], v[166:167], v[162:163], v[170:171] op_sel:[0,0,1] op_sel_hi:[1,0,0]
	v_mov_b32_e32 v173, v167
	v_pk_mul_f32 v[166:167], v[168:169], v[164:165] op_sel:[0,1]
	s_delay_alu instid0(VALU_DEP_1) | instskip(SKIP_1) | instid1(VALU_DEP_1)
	v_pk_fma_f32 v[170:171], v[168:169], v[162:163], v[166:167] op_sel:[0,0,1] op_sel_hi:[1,1,0] neg_lo:[0,0,1] neg_hi:[0,0,1]
	v_pk_fma_f32 v[166:167], v[168:169], v[162:163], v[166:167] op_sel:[0,0,1] op_sel_hi:[1,0,0]
	v_mov_b32_e32 v171, v167
	ds_load_2addr_b64 v[166:169], v202 offset0:22 offset1:23
	v_pk_add_f32 v[98:99], v[98:99], v[172:173] neg_lo:[0,1] neg_hi:[0,1]
	v_pk_add_f32 v[132:133], v[132:133], v[170:171] neg_lo:[0,1] neg_hi:[0,1]
	s_wait_dscnt 0x0
	v_dual_mul_f32 v170, v167, v165 :: v_dual_mul_f32 v172, v167, v162
	s_delay_alu instid0(VALU_DEP_1) | instskip(NEXT) | instid1(VALU_DEP_2)
	v_pk_fma_f32 v[170:171], v[166:167], v[58:59], v[170:171] op_sel_hi:[1,1,0] neg_lo:[0,0,1] neg_hi:[0,0,1]
	v_pk_fma_f32 v[166:167], v[166:167], v[58:59], v[172:173] op_sel:[1,0,0] op_sel_hi:[0,1,0]
	s_delay_alu instid0(VALU_DEP_1) | instskip(SKIP_1) | instid1(VALU_DEP_2)
	v_mov_b32_e32 v171, v167
	v_pk_mul_f32 v[166:167], v[168:169], v[164:165] op_sel:[0,1]
	v_pk_add_f32 v[128:129], v[128:129], v[170:171] neg_lo:[0,1] neg_hi:[0,1]
	s_delay_alu instid0(VALU_DEP_2) | instskip(SKIP_1) | instid1(VALU_DEP_1)
	v_pk_fma_f32 v[170:171], v[168:169], v[162:163], v[166:167] op_sel:[0,0,1] op_sel_hi:[1,1,0] neg_lo:[0,0,1] neg_hi:[0,0,1]
	v_pk_fma_f32 v[166:167], v[168:169], v[162:163], v[166:167] op_sel:[0,0,1] op_sel_hi:[1,0,0]
	v_mov_b32_e32 v171, v167
	ds_load_2addr_b64 v[166:169], v202 offset0:24 offset1:25
	v_pk_add_f32 v[126:127], v[126:127], v[170:171] neg_lo:[0,1] neg_hi:[0,1]
	s_wait_dscnt 0x0
	v_pk_mul_f32 v[170:171], v[166:167], v[164:165] op_sel:[0,1]
	s_delay_alu instid0(VALU_DEP_1) | instskip(SKIP_1) | instid1(VALU_DEP_1)
	v_pk_fma_f32 v[172:173], v[166:167], v[162:163], v[170:171] op_sel:[0,0,1] op_sel_hi:[1,1,0] neg_lo:[0,0,1] neg_hi:[0,0,1]
	v_pk_fma_f32 v[166:167], v[166:167], v[162:163], v[170:171] op_sel:[0,0,1] op_sel_hi:[1,0,0]
	v_mov_b32_e32 v173, v167
	v_pk_mul_f32 v[166:167], v[168:169], v[164:165] op_sel:[0,1]
	s_delay_alu instid0(VALU_DEP_2) | instskip(NEXT) | instid1(VALU_DEP_2)
	v_pk_add_f32 v[118:119], v[118:119], v[172:173] neg_lo:[0,1] neg_hi:[0,1]
	v_pk_fma_f32 v[170:171], v[168:169], v[162:163], v[166:167] op_sel:[0,0,1] op_sel_hi:[1,1,0] neg_lo:[0,0,1] neg_hi:[0,0,1]
	v_pk_fma_f32 v[166:167], v[168:169], v[162:163], v[166:167] op_sel:[0,0,1] op_sel_hi:[1,0,0]
	s_delay_alu instid0(VALU_DEP_1) | instskip(SKIP_4) | instid1(VALU_DEP_1)
	v_mov_b32_e32 v171, v167
	ds_load_2addr_b64 v[166:169], v202 offset0:26 offset1:27
	v_pk_add_f32 v[112:113], v[112:113], v[170:171] neg_lo:[0,1] neg_hi:[0,1]
	s_wait_dscnt 0x0
	v_pk_mul_f32 v[170:171], v[166:167], v[164:165] op_sel:[0,1]
	v_pk_fma_f32 v[172:173], v[166:167], v[162:163], v[170:171] op_sel:[0,0,1] op_sel_hi:[1,1,0] neg_lo:[0,0,1] neg_hi:[0,0,1]
	v_pk_fma_f32 v[166:167], v[166:167], v[162:163], v[170:171] op_sel:[0,0,1] op_sel_hi:[1,0,0]
	v_dual_mul_f32 v170, v169, v165 :: v_dual_mov_b32 v166, v169
	s_delay_alu instid0(VALU_DEP_2) | instskip(NEXT) | instid1(VALU_DEP_2)
	v_dual_mov_b32 v173, v167 :: v_dual_mov_b32 v167, v168
	v_pk_fma_f32 v[170:171], v[168:169], v[58:59], v[170:171] op_sel_hi:[1,1,0] neg_lo:[0,0,1] neg_hi:[0,0,1]
	v_mul_f32_e32 v168, v169, v162
	s_delay_alu instid0(VALU_DEP_3) | instskip(NEXT) | instid1(VALU_DEP_2)
	v_pk_add_f32 v[116:117], v[116:117], v[172:173] neg_lo:[0,1] neg_hi:[0,1]
	v_pk_fma_f32 v[166:167], v[166:167], v[58:59], v[168:169] op_sel_hi:[1,1,0]
	s_delay_alu instid0(VALU_DEP_1) | instskip(SKIP_4) | instid1(VALU_DEP_1)
	v_mov_b32_e32 v171, v167
	ds_load_2addr_b64 v[166:169], v202 offset0:28 offset1:29
	v_pk_add_f32 v[110:111], v[110:111], v[170:171] neg_lo:[0,1] neg_hi:[0,1]
	s_wait_dscnt 0x0
	v_pk_mul_f32 v[170:171], v[166:167], v[164:165] op_sel:[0,1]
	v_pk_fma_f32 v[172:173], v[166:167], v[162:163], v[170:171] op_sel:[0,0,1] op_sel_hi:[1,1,0] neg_lo:[0,0,1] neg_hi:[0,0,1]
	v_pk_fma_f32 v[166:167], v[166:167], v[162:163], v[170:171] op_sel:[0,0,1] op_sel_hi:[1,0,0]
	s_delay_alu instid0(VALU_DEP_1) | instskip(SKIP_1) | instid1(VALU_DEP_1)
	v_mov_b32_e32 v173, v167
	v_pk_mul_f32 v[166:167], v[168:169], v[164:165] op_sel:[0,1]
	v_pk_fma_f32 v[170:171], v[168:169], v[162:163], v[166:167] op_sel:[0,0,1] op_sel_hi:[1,1,0] neg_lo:[0,0,1] neg_hi:[0,0,1]
	v_pk_fma_f32 v[166:167], v[168:169], v[162:163], v[166:167] op_sel:[0,0,1] op_sel_hi:[1,0,0]
	s_delay_alu instid0(VALU_DEP_1)
	v_mov_b32_e32 v171, v167
	ds_load_2addr_b64 v[166:169], v202 offset0:30 offset1:31
	v_pk_add_f32 v[114:115], v[114:115], v[172:173] neg_lo:[0,1] neg_hi:[0,1]
	v_pk_add_f32 v[124:125], v[124:125], v[170:171] neg_lo:[0,1] neg_hi:[0,1]
	s_wait_dscnt 0x0
	v_pk_mul_f32 v[170:171], v[166:167], v[164:165] op_sel:[0,1]
	s_delay_alu instid0(VALU_DEP_1) | instskip(SKIP_1) | instid1(VALU_DEP_1)
	v_pk_fma_f32 v[172:173], v[166:167], v[162:163], v[170:171] op_sel:[0,0,1] op_sel_hi:[1,1,0] neg_lo:[0,0,1] neg_hi:[0,0,1]
	v_pk_fma_f32 v[166:167], v[166:167], v[162:163], v[170:171] op_sel:[0,0,1] op_sel_hi:[1,0,0]
	v_mov_b32_e32 v173, v167
	v_pk_mul_f32 v[166:167], v[168:169], v[164:165] op_sel:[0,1]
	s_delay_alu instid0(VALU_DEP_1) | instskip(SKIP_1) | instid1(VALU_DEP_1)
	v_pk_fma_f32 v[170:171], v[168:169], v[162:163], v[166:167] op_sel:[0,0,1] op_sel_hi:[1,1,0] neg_lo:[0,0,1] neg_hi:[0,0,1]
	v_pk_fma_f32 v[166:167], v[168:169], v[162:163], v[166:167] op_sel:[0,0,1] op_sel_hi:[1,0,0]
	v_mov_b32_e32 v171, v167
	ds_load_b64 v[166:167], v202 offset:256
	v_pk_add_f32 v[122:123], v[122:123], v[172:173] neg_lo:[0,1] neg_hi:[0,1]
	v_pk_add_f32 v[120:121], v[120:121], v[170:171] neg_lo:[0,1] neg_hi:[0,1]
	s_wait_dscnt 0x0
	v_pk_mul_f32 v[164:165], v[166:167], v[164:165] op_sel:[0,1]
	s_delay_alu instid0(VALU_DEP_1) | instskip(SKIP_1) | instid1(VALU_DEP_1)
	v_pk_fma_f32 v[168:169], v[166:167], v[162:163], v[164:165] op_sel:[0,0,1] op_sel_hi:[1,1,0] neg_lo:[0,0,1] neg_hi:[0,0,1]
	v_pk_fma_f32 v[162:163], v[166:167], v[162:163], v[164:165] op_sel:[0,0,1] op_sel_hi:[1,0,0]
	v_mov_b32_e32 v169, v163
	s_delay_alu instid0(VALU_DEP_1)
	v_pk_add_f32 v[130:131], v[130:131], v[168:169] neg_lo:[0,1] neg_hi:[0,1]
.LBB65_127:
	s_or_b32 exec_lo, exec_lo, s1
	s_delay_alu instid0(SALU_CYCLE_1)
	s_mov_b32 s2, exec_lo
	s_wait_dscnt 0x0
	s_barrier_signal -1
	s_barrier_wait -1
	v_cmpx_eq_u32_e32 14, v200
	s_cbranch_execz .LBB65_134
; %bb.128:
	ds_store_b64 v201, v[60:61]
	ds_store_2addr_b64 v202, v[56:57], v[82:83] offset0:15 offset1:16
	ds_store_2addr_b64 v202, v[78:79], v[80:81] offset0:17 offset1:18
	;; [unrolled: 1-line block ×9, first 2 shown]
	ds_load_b64 v[162:163], v201
	s_wait_dscnt 0x0
	v_cmp_neq_f32_e32 vcc_lo, 0, v162
	v_cmp_neq_f32_e64 s1, 0, v163
	s_or_b32 s1, vcc_lo, s1
	s_delay_alu instid0(SALU_CYCLE_1)
	s_and_b32 exec_lo, exec_lo, s1
	s_cbranch_execz .LBB65_134
; %bb.129:
	v_cmp_ngt_f32_e64 s1, |v162|, |v163|
                                        ; implicit-def: $vgpr164_vgpr165
	s_and_saveexec_b32 s4, s1
	s_delay_alu instid0(SALU_CYCLE_1)
	s_xor_b32 s1, exec_lo, s4
	s_cbranch_execz .LBB65_131
; %bb.130:
	v_div_scale_f32 v164, null, v163, v163, v162
	v_div_scale_f32 v167, vcc_lo, v162, v163, v162
	s_delay_alu instid0(VALU_DEP_2) | instskip(SKIP_1) | instid1(TRANS32_DEP_1)
	v_rcp_f32_e32 v165, v164
	v_nop
	v_fma_f32 v166, -v164, v165, 1.0
	s_delay_alu instid0(VALU_DEP_1) | instskip(NEXT) | instid1(VALU_DEP_1)
	v_fmac_f32_e32 v165, v166, v165
	v_mul_f32_e32 v166, v167, v165
	s_delay_alu instid0(VALU_DEP_1) | instskip(NEXT) | instid1(VALU_DEP_1)
	v_fma_f32 v168, -v164, v166, v167
	v_fmac_f32_e32 v166, v168, v165
	s_delay_alu instid0(VALU_DEP_1) | instskip(NEXT) | instid1(VALU_DEP_1)
	v_fma_f32 v164, -v164, v166, v167
	v_div_fmas_f32 v164, v164, v165, v166
	s_delay_alu instid0(VALU_DEP_1) | instskip(NEXT) | instid1(VALU_DEP_1)
	v_div_fixup_f32 v164, v164, v163, v162
	v_fmac_f32_e32 v163, v162, v164
	s_delay_alu instid0(VALU_DEP_1) | instskip(SKIP_1) | instid1(VALU_DEP_2)
	v_div_scale_f32 v162, null, v163, v163, 1.0
	v_div_scale_f32 v167, vcc_lo, 1.0, v163, 1.0
	v_rcp_f32_e32 v165, v162
	v_nop
	s_delay_alu instid0(TRANS32_DEP_1) | instskip(NEXT) | instid1(VALU_DEP_1)
	v_fma_f32 v166, -v162, v165, 1.0
	v_fmac_f32_e32 v165, v166, v165
	s_delay_alu instid0(VALU_DEP_1) | instskip(NEXT) | instid1(VALU_DEP_1)
	v_mul_f32_e32 v166, v167, v165
	v_fma_f32 v168, -v162, v166, v167
	s_delay_alu instid0(VALU_DEP_1) | instskip(NEXT) | instid1(VALU_DEP_1)
	v_fmac_f32_e32 v166, v168, v165
	v_fma_f32 v162, -v162, v166, v167
	s_delay_alu instid0(VALU_DEP_1) | instskip(NEXT) | instid1(VALU_DEP_1)
	v_div_fmas_f32 v162, v162, v165, v166
	v_div_fixup_f32 v162, v162, v163, 1.0
	s_delay_alu instid0(VALU_DEP_1)
	v_mul_f32_e32 v164, v164, v162
	v_xor_b32_e32 v165, 0x80000000, v162
                                        ; implicit-def: $vgpr162_vgpr163
.LBB65_131:
	s_and_not1_saveexec_b32 s1, s1
	s_cbranch_execz .LBB65_133
; %bb.132:
	v_div_scale_f32 v164, null, v162, v162, v163
	v_div_scale_f32 v167, vcc_lo, v163, v162, v163
	s_delay_alu instid0(VALU_DEP_2) | instskip(SKIP_1) | instid1(TRANS32_DEP_1)
	v_rcp_f32_e32 v165, v164
	v_nop
	v_fma_f32 v166, -v164, v165, 1.0
	s_delay_alu instid0(VALU_DEP_1) | instskip(NEXT) | instid1(VALU_DEP_1)
	v_fmac_f32_e32 v165, v166, v165
	v_mul_f32_e32 v166, v167, v165
	s_delay_alu instid0(VALU_DEP_1) | instskip(NEXT) | instid1(VALU_DEP_1)
	v_fma_f32 v168, -v164, v166, v167
	v_fmac_f32_e32 v166, v168, v165
	s_delay_alu instid0(VALU_DEP_1) | instskip(NEXT) | instid1(VALU_DEP_1)
	v_fma_f32 v164, -v164, v166, v167
	v_div_fmas_f32 v164, v164, v165, v166
	s_delay_alu instid0(VALU_DEP_1) | instskip(NEXT) | instid1(VALU_DEP_1)
	v_div_fixup_f32 v165, v164, v162, v163
	v_fmac_f32_e32 v162, v163, v165
	s_delay_alu instid0(VALU_DEP_1) | instskip(NEXT) | instid1(VALU_DEP_1)
	v_div_scale_f32 v163, null, v162, v162, 1.0
	v_rcp_f32_e32 v164, v163
	v_nop
	s_delay_alu instid0(TRANS32_DEP_1) | instskip(NEXT) | instid1(VALU_DEP_1)
	v_fma_f32 v166, -v163, v164, 1.0
	v_fmac_f32_e32 v164, v166, v164
	v_div_scale_f32 v166, vcc_lo, 1.0, v162, 1.0
	s_delay_alu instid0(VALU_DEP_1) | instskip(NEXT) | instid1(VALU_DEP_1)
	v_mul_f32_e32 v167, v166, v164
	v_fma_f32 v168, -v163, v167, v166
	s_delay_alu instid0(VALU_DEP_1) | instskip(NEXT) | instid1(VALU_DEP_1)
	v_fmac_f32_e32 v167, v168, v164
	v_fma_f32 v163, -v163, v167, v166
	s_delay_alu instid0(VALU_DEP_1) | instskip(NEXT) | instid1(VALU_DEP_1)
	v_div_fmas_f32 v163, v163, v164, v167
	v_div_fixup_f32 v164, v163, v162, 1.0
	s_delay_alu instid0(VALU_DEP_1)
	v_mul_f32_e64 v165, v165, -v164
.LBB65_133:
	s_or_b32 exec_lo, exec_lo, s1
	ds_store_b64 v201, v[164:165]
.LBB65_134:
	s_or_b32 exec_lo, exec_lo, s2
	s_wait_dscnt 0x0
	s_barrier_signal -1
	s_barrier_wait -1
	ds_load_b64 v[162:163], v201
	s_mov_b32 s1, exec_lo
	v_cmpx_lt_u32_e32 14, v200
	s_cbranch_execz .LBB65_136
; %bb.135:
	ds_load_2addr_b64 v[168:171], v202 offset0:15 offset1:16
	s_wait_dscnt 0x1
	v_pk_mul_f32 v[166:167], v[162:163], v[60:61] op_sel:[1,1] op_sel_hi:[0,1]
	s_delay_alu instid0(VALU_DEP_1) | instskip(SKIP_1) | instid1(VALU_DEP_1)
	v_pk_fma_f32 v[164:165], v[162:163], v[60:61], v[166:167] op_sel_hi:[1,0,1] neg_lo:[0,0,1] neg_hi:[0,0,1]
	v_pk_fma_f32 v[166:167], v[162:163], v[60:61], v[166:167] op_sel_hi:[1,0,1]
	v_dual_mov_b32 v60, v164 :: v_dual_mov_b32 v61, v167
	s_wait_dscnt 0x0
	s_delay_alu instid0(VALU_DEP_2) | instskip(NEXT) | instid1(VALU_DEP_1)
	v_pk_mul_f32 v[172:173], v[168:169], v[166:167] op_sel:[0,1]
	v_pk_fma_f32 v[174:175], v[168:169], v[164:165], v[172:173] op_sel:[0,0,1] op_sel_hi:[1,1,0] neg_lo:[0,0,1] neg_hi:[0,0,1]
	v_pk_fma_f32 v[168:169], v[168:169], v[164:165], v[172:173] op_sel:[0,0,1] op_sel_hi:[1,0,0]
	s_delay_alu instid0(VALU_DEP_1) | instskip(SKIP_1) | instid1(VALU_DEP_1)
	v_mov_b32_e32 v175, v169
	v_pk_mul_f32 v[168:169], v[170:171], v[166:167] op_sel:[0,1]
	v_pk_fma_f32 v[172:173], v[170:171], v[164:165], v[168:169] op_sel:[0,0,1] op_sel_hi:[1,1,0] neg_lo:[0,0,1] neg_hi:[0,0,1]
	v_pk_fma_f32 v[168:169], v[170:171], v[164:165], v[168:169] op_sel:[0,0,1] op_sel_hi:[1,0,0]
	s_delay_alu instid0(VALU_DEP_1)
	v_mov_b32_e32 v173, v169
	ds_load_2addr_b64 v[168:171], v202 offset0:17 offset1:18
	v_pk_add_f32 v[56:57], v[56:57], v[174:175] neg_lo:[0,1] neg_hi:[0,1]
	v_pk_add_f32 v[82:83], v[82:83], v[172:173] neg_lo:[0,1] neg_hi:[0,1]
	s_wait_dscnt 0x0
	v_pk_mul_f32 v[172:173], v[168:169], v[166:167] op_sel:[0,1]
	s_delay_alu instid0(VALU_DEP_1) | instskip(SKIP_2) | instid1(VALU_DEP_2)
	v_pk_fma_f32 v[174:175], v[168:169], v[164:165], v[172:173] op_sel:[0,0,1] op_sel_hi:[1,1,0] neg_lo:[0,0,1] neg_hi:[0,0,1]
	v_pk_fma_f32 v[168:169], v[168:169], v[164:165], v[172:173] op_sel:[0,0,1] op_sel_hi:[1,0,0]
	v_dual_mul_f32 v172, v171, v167 :: v_dual_mov_b32 v168, v171
	v_dual_mov_b32 v175, v169 :: v_dual_mov_b32 v169, v170
	s_delay_alu instid0(VALU_DEP_2) | instskip(SKIP_1) | instid1(VALU_DEP_3)
	v_pk_fma_f32 v[172:173], v[170:171], v[60:61], v[172:173] op_sel_hi:[1,1,0] neg_lo:[0,0,1] neg_hi:[0,0,1]
	v_mul_f32_e32 v170, v171, v164
	v_pk_add_f32 v[78:79], v[78:79], v[174:175] neg_lo:[0,1] neg_hi:[0,1]
	s_delay_alu instid0(VALU_DEP_2) | instskip(NEXT) | instid1(VALU_DEP_1)
	v_pk_fma_f32 v[168:169], v[168:169], v[60:61], v[170:171] op_sel_hi:[1,1,0]
	v_mov_b32_e32 v173, v169
	ds_load_2addr_b64 v[168:171], v202 offset0:19 offset1:20
	v_pk_add_f32 v[80:81], v[80:81], v[172:173] neg_lo:[0,1] neg_hi:[0,1]
	s_wait_dscnt 0x0
	v_pk_mul_f32 v[172:173], v[168:169], v[166:167] op_sel:[0,1]
	s_delay_alu instid0(VALU_DEP_1) | instskip(SKIP_1) | instid1(VALU_DEP_1)
	v_pk_fma_f32 v[174:175], v[168:169], v[164:165], v[172:173] op_sel:[0,0,1] op_sel_hi:[1,1,0] neg_lo:[0,0,1] neg_hi:[0,0,1]
	v_pk_fma_f32 v[168:169], v[168:169], v[164:165], v[172:173] op_sel:[0,0,1] op_sel_hi:[1,0,0]
	v_mov_b32_e32 v175, v169
	v_pk_mul_f32 v[168:169], v[170:171], v[166:167] op_sel:[0,1]
	s_delay_alu instid0(VALU_DEP_1) | instskip(SKIP_1) | instid1(VALU_DEP_1)
	v_pk_fma_f32 v[172:173], v[170:171], v[164:165], v[168:169] op_sel:[0,0,1] op_sel_hi:[1,1,0] neg_lo:[0,0,1] neg_hi:[0,0,1]
	v_pk_fma_f32 v[168:169], v[170:171], v[164:165], v[168:169] op_sel:[0,0,1] op_sel_hi:[1,0,0]
	v_mov_b32_e32 v173, v169
	ds_load_2addr_b64 v[168:171], v202 offset0:21 offset1:22
	v_pk_add_f32 v[76:77], v[76:77], v[174:175] neg_lo:[0,1] neg_hi:[0,1]
	v_pk_add_f32 v[98:99], v[98:99], v[172:173] neg_lo:[0,1] neg_hi:[0,1]
	s_wait_dscnt 0x0
	v_pk_mul_f32 v[172:173], v[168:169], v[166:167] op_sel:[0,1]
	s_delay_alu instid0(VALU_DEP_1) | instskip(SKIP_1) | instid1(VALU_DEP_1)
	v_pk_fma_f32 v[174:175], v[168:169], v[164:165], v[172:173] op_sel:[0,0,1] op_sel_hi:[1,1,0] neg_lo:[0,0,1] neg_hi:[0,0,1]
	v_pk_fma_f32 v[168:169], v[168:169], v[164:165], v[172:173] op_sel:[0,0,1] op_sel_hi:[1,0,0]
	v_mov_b32_e32 v175, v169
	v_pk_mul_f32 v[168:169], v[170:171], v[166:167] op_sel:[0,1]
	s_delay_alu instid0(VALU_DEP_1) | instskip(SKIP_1) | instid1(VALU_DEP_1)
	v_pk_fma_f32 v[172:173], v[170:171], v[164:165], v[168:169] op_sel:[0,0,1] op_sel_hi:[1,1,0] neg_lo:[0,0,1] neg_hi:[0,0,1]
	v_pk_fma_f32 v[168:169], v[170:171], v[164:165], v[168:169] op_sel:[0,0,1] op_sel_hi:[1,0,0]
	v_mov_b32_e32 v173, v169
	ds_load_2addr_b64 v[168:171], v202 offset0:23 offset1:24
	v_pk_add_f32 v[132:133], v[132:133], v[174:175] neg_lo:[0,1] neg_hi:[0,1]
	v_pk_add_f32 v[128:129], v[128:129], v[172:173] neg_lo:[0,1] neg_hi:[0,1]
	s_wait_dscnt 0x0
	v_dual_mul_f32 v172, v169, v167 :: v_dual_mul_f32 v174, v169, v164
	s_delay_alu instid0(VALU_DEP_1) | instskip(NEXT) | instid1(VALU_DEP_2)
	v_pk_fma_f32 v[172:173], v[168:169], v[60:61], v[172:173] op_sel_hi:[1,1,0] neg_lo:[0,0,1] neg_hi:[0,0,1]
	v_pk_fma_f32 v[168:169], v[168:169], v[60:61], v[174:175] op_sel:[1,0,0] op_sel_hi:[0,1,0]
	s_delay_alu instid0(VALU_DEP_1) | instskip(SKIP_1) | instid1(VALU_DEP_2)
	v_mov_b32_e32 v173, v169
	v_pk_mul_f32 v[168:169], v[170:171], v[166:167] op_sel:[0,1]
	v_pk_add_f32 v[126:127], v[126:127], v[172:173] neg_lo:[0,1] neg_hi:[0,1]
	s_delay_alu instid0(VALU_DEP_2) | instskip(SKIP_1) | instid1(VALU_DEP_1)
	v_pk_fma_f32 v[172:173], v[170:171], v[164:165], v[168:169] op_sel:[0,0,1] op_sel_hi:[1,1,0] neg_lo:[0,0,1] neg_hi:[0,0,1]
	v_pk_fma_f32 v[168:169], v[170:171], v[164:165], v[168:169] op_sel:[0,0,1] op_sel_hi:[1,0,0]
	v_mov_b32_e32 v173, v169
	ds_load_2addr_b64 v[168:171], v202 offset0:25 offset1:26
	v_pk_add_f32 v[118:119], v[118:119], v[172:173] neg_lo:[0,1] neg_hi:[0,1]
	s_wait_dscnt 0x0
	v_pk_mul_f32 v[172:173], v[168:169], v[166:167] op_sel:[0,1]
	s_delay_alu instid0(VALU_DEP_1) | instskip(SKIP_1) | instid1(VALU_DEP_1)
	v_pk_fma_f32 v[174:175], v[168:169], v[164:165], v[172:173] op_sel:[0,0,1] op_sel_hi:[1,1,0] neg_lo:[0,0,1] neg_hi:[0,0,1]
	v_pk_fma_f32 v[168:169], v[168:169], v[164:165], v[172:173] op_sel:[0,0,1] op_sel_hi:[1,0,0]
	v_mov_b32_e32 v175, v169
	v_pk_mul_f32 v[168:169], v[170:171], v[166:167] op_sel:[0,1]
	s_delay_alu instid0(VALU_DEP_2) | instskip(NEXT) | instid1(VALU_DEP_2)
	v_pk_add_f32 v[112:113], v[112:113], v[174:175] neg_lo:[0,1] neg_hi:[0,1]
	v_pk_fma_f32 v[172:173], v[170:171], v[164:165], v[168:169] op_sel:[0,0,1] op_sel_hi:[1,1,0] neg_lo:[0,0,1] neg_hi:[0,0,1]
	v_pk_fma_f32 v[168:169], v[170:171], v[164:165], v[168:169] op_sel:[0,0,1] op_sel_hi:[1,0,0]
	s_delay_alu instid0(VALU_DEP_1) | instskip(SKIP_4) | instid1(VALU_DEP_1)
	v_mov_b32_e32 v173, v169
	ds_load_2addr_b64 v[168:171], v202 offset0:27 offset1:28
	v_pk_add_f32 v[116:117], v[116:117], v[172:173] neg_lo:[0,1] neg_hi:[0,1]
	s_wait_dscnt 0x0
	v_pk_mul_f32 v[172:173], v[168:169], v[166:167] op_sel:[0,1]
	v_pk_fma_f32 v[174:175], v[168:169], v[164:165], v[172:173] op_sel:[0,0,1] op_sel_hi:[1,1,0] neg_lo:[0,0,1] neg_hi:[0,0,1]
	v_pk_fma_f32 v[168:169], v[168:169], v[164:165], v[172:173] op_sel:[0,0,1] op_sel_hi:[1,0,0]
	v_dual_mul_f32 v172, v171, v167 :: v_dual_mov_b32 v168, v171
	s_delay_alu instid0(VALU_DEP_2) | instskip(NEXT) | instid1(VALU_DEP_2)
	v_dual_mov_b32 v175, v169 :: v_dual_mov_b32 v169, v170
	v_pk_fma_f32 v[172:173], v[170:171], v[60:61], v[172:173] op_sel_hi:[1,1,0] neg_lo:[0,0,1] neg_hi:[0,0,1]
	v_mul_f32_e32 v170, v171, v164
	s_delay_alu instid0(VALU_DEP_3) | instskip(NEXT) | instid1(VALU_DEP_2)
	v_pk_add_f32 v[110:111], v[110:111], v[174:175] neg_lo:[0,1] neg_hi:[0,1]
	v_pk_fma_f32 v[168:169], v[168:169], v[60:61], v[170:171] op_sel_hi:[1,1,0]
	s_delay_alu instid0(VALU_DEP_1) | instskip(SKIP_4) | instid1(VALU_DEP_1)
	v_mov_b32_e32 v173, v169
	ds_load_2addr_b64 v[168:171], v202 offset0:29 offset1:30
	v_pk_add_f32 v[114:115], v[114:115], v[172:173] neg_lo:[0,1] neg_hi:[0,1]
	s_wait_dscnt 0x0
	v_pk_mul_f32 v[172:173], v[168:169], v[166:167] op_sel:[0,1]
	v_pk_fma_f32 v[174:175], v[168:169], v[164:165], v[172:173] op_sel:[0,0,1] op_sel_hi:[1,1,0] neg_lo:[0,0,1] neg_hi:[0,0,1]
	v_pk_fma_f32 v[168:169], v[168:169], v[164:165], v[172:173] op_sel:[0,0,1] op_sel_hi:[1,0,0]
	s_delay_alu instid0(VALU_DEP_1) | instskip(SKIP_1) | instid1(VALU_DEP_1)
	v_mov_b32_e32 v175, v169
	v_pk_mul_f32 v[168:169], v[170:171], v[166:167] op_sel:[0,1]
	v_pk_fma_f32 v[172:173], v[170:171], v[164:165], v[168:169] op_sel:[0,0,1] op_sel_hi:[1,1,0] neg_lo:[0,0,1] neg_hi:[0,0,1]
	v_pk_fma_f32 v[168:169], v[170:171], v[164:165], v[168:169] op_sel:[0,0,1] op_sel_hi:[1,0,0]
	s_delay_alu instid0(VALU_DEP_1)
	v_mov_b32_e32 v173, v169
	ds_load_2addr_b64 v[168:171], v202 offset0:31 offset1:32
	v_pk_add_f32 v[124:125], v[124:125], v[174:175] neg_lo:[0,1] neg_hi:[0,1]
	v_pk_add_f32 v[122:123], v[122:123], v[172:173] neg_lo:[0,1] neg_hi:[0,1]
	s_wait_dscnt 0x0
	v_pk_mul_f32 v[172:173], v[168:169], v[166:167] op_sel:[0,1]
	v_mul_f32_e32 v166, v171, v167
	s_delay_alu instid0(VALU_DEP_2) | instskip(SKIP_2) | instid1(VALU_DEP_4)
	v_pk_fma_f32 v[174:175], v[168:169], v[164:165], v[172:173] op_sel:[0,0,1] op_sel_hi:[1,1,0] neg_lo:[0,0,1] neg_hi:[0,0,1]
	v_pk_fma_f32 v[168:169], v[168:169], v[164:165], v[172:173] op_sel:[0,0,1] op_sel_hi:[1,0,0]
	v_dual_mov_b32 v168, v171 :: v_dual_mul_f32 v164, v171, v164
	v_pk_fma_f32 v[166:167], v[170:171], v[60:61], v[166:167] op_sel_hi:[1,1,0] neg_lo:[0,0,1] neg_hi:[0,0,1]
	s_delay_alu instid0(VALU_DEP_3) | instskip(NEXT) | instid1(VALU_DEP_1)
	v_dual_mov_b32 v175, v169 :: v_dual_mov_b32 v169, v170
	v_pk_add_f32 v[120:121], v[120:121], v[174:175] neg_lo:[0,1] neg_hi:[0,1]
	s_delay_alu instid0(VALU_DEP_2) | instskip(NEXT) | instid1(VALU_DEP_1)
	v_pk_fma_f32 v[164:165], v[168:169], v[60:61], v[164:165] op_sel_hi:[1,1,0]
	v_mov_b32_e32 v167, v165
	s_delay_alu instid0(VALU_DEP_1)
	v_pk_add_f32 v[130:131], v[130:131], v[166:167] neg_lo:[0,1] neg_hi:[0,1]
.LBB65_136:
	s_or_b32 exec_lo, exec_lo, s1
	s_delay_alu instid0(SALU_CYCLE_1)
	s_mov_b32 s2, exec_lo
	s_wait_dscnt 0x0
	s_barrier_signal -1
	s_barrier_wait -1
	v_cmpx_eq_u32_e32 15, v200
	s_cbranch_execz .LBB65_143
; %bb.137:
	v_dual_mov_b32 v164, v82 :: v_dual_mov_b32 v165, v83
	v_dual_mov_b32 v166, v78 :: v_dual_mov_b32 v167, v79
	;; [unrolled: 1-line block ×4, first 2 shown]
	ds_store_b64 v201, v[56:57]
	ds_store_2addr_b64 v202, v[164:165], v[166:167] offset0:16 offset1:17
	ds_store_2addr_b64 v202, v[168:169], v[170:171] offset0:18 offset1:19
	v_dual_mov_b32 v164, v98 :: v_dual_mov_b32 v165, v99
	v_dual_mov_b32 v166, v132 :: v_dual_mov_b32 v167, v133
	;; [unrolled: 1-line block ×12, first 2 shown]
	ds_store_2addr_b64 v202, v[164:165], v[166:167] offset0:20 offset1:21
	ds_store_2addr_b64 v202, v[168:169], v[170:171] offset0:22 offset1:23
	ds_store_2addr_b64 v202, v[172:173], v[174:175] offset0:24 offset1:25
	ds_store_2addr_b64 v202, v[176:177], v[178:179] offset0:26 offset1:27
	ds_store_2addr_b64 v202, v[180:181], v[182:183] offset0:28 offset1:29
	ds_store_2addr_b64 v202, v[184:185], v[186:187] offset0:30 offset1:31
	ds_store_b64 v202, v[130:131] offset:256
	ds_load_b64 v[164:165], v201
	s_wait_dscnt 0x0
	v_cmp_neq_f32_e32 vcc_lo, 0, v164
	v_cmp_neq_f32_e64 s1, 0, v165
	s_or_b32 s1, vcc_lo, s1
	s_delay_alu instid0(SALU_CYCLE_1)
	s_and_b32 exec_lo, exec_lo, s1
	s_cbranch_execz .LBB65_143
; %bb.138:
	v_cmp_ngt_f32_e64 s1, |v164|, |v165|
                                        ; implicit-def: $vgpr166_vgpr167
	s_and_saveexec_b32 s4, s1
	s_delay_alu instid0(SALU_CYCLE_1)
	s_xor_b32 s1, exec_lo, s4
	s_cbranch_execz .LBB65_140
; %bb.139:
	v_div_scale_f32 v166, null, v165, v165, v164
	v_div_scale_f32 v169, vcc_lo, v164, v165, v164
	s_delay_alu instid0(VALU_DEP_2) | instskip(SKIP_1) | instid1(TRANS32_DEP_1)
	v_rcp_f32_e32 v167, v166
	v_nop
	v_fma_f32 v168, -v166, v167, 1.0
	s_delay_alu instid0(VALU_DEP_1) | instskip(NEXT) | instid1(VALU_DEP_1)
	v_fmac_f32_e32 v167, v168, v167
	v_mul_f32_e32 v168, v169, v167
	s_delay_alu instid0(VALU_DEP_1) | instskip(NEXT) | instid1(VALU_DEP_1)
	v_fma_f32 v170, -v166, v168, v169
	v_fmac_f32_e32 v168, v170, v167
	s_delay_alu instid0(VALU_DEP_1) | instskip(NEXT) | instid1(VALU_DEP_1)
	v_fma_f32 v166, -v166, v168, v169
	v_div_fmas_f32 v166, v166, v167, v168
	s_delay_alu instid0(VALU_DEP_1) | instskip(NEXT) | instid1(VALU_DEP_1)
	v_div_fixup_f32 v166, v166, v165, v164
	v_fmac_f32_e32 v165, v164, v166
	s_delay_alu instid0(VALU_DEP_1) | instskip(SKIP_1) | instid1(VALU_DEP_2)
	v_div_scale_f32 v164, null, v165, v165, 1.0
	v_div_scale_f32 v169, vcc_lo, 1.0, v165, 1.0
	v_rcp_f32_e32 v167, v164
	v_nop
	s_delay_alu instid0(TRANS32_DEP_1) | instskip(NEXT) | instid1(VALU_DEP_1)
	v_fma_f32 v168, -v164, v167, 1.0
	v_fmac_f32_e32 v167, v168, v167
	s_delay_alu instid0(VALU_DEP_1) | instskip(NEXT) | instid1(VALU_DEP_1)
	v_mul_f32_e32 v168, v169, v167
	v_fma_f32 v170, -v164, v168, v169
	s_delay_alu instid0(VALU_DEP_1) | instskip(NEXT) | instid1(VALU_DEP_1)
	v_fmac_f32_e32 v168, v170, v167
	v_fma_f32 v164, -v164, v168, v169
	s_delay_alu instid0(VALU_DEP_1) | instskip(NEXT) | instid1(VALU_DEP_1)
	v_div_fmas_f32 v164, v164, v167, v168
	v_div_fixup_f32 v164, v164, v165, 1.0
	s_delay_alu instid0(VALU_DEP_1)
	v_mul_f32_e32 v166, v166, v164
	v_xor_b32_e32 v167, 0x80000000, v164
                                        ; implicit-def: $vgpr164_vgpr165
.LBB65_140:
	s_and_not1_saveexec_b32 s1, s1
	s_cbranch_execz .LBB65_142
; %bb.141:
	v_div_scale_f32 v166, null, v164, v164, v165
	v_div_scale_f32 v169, vcc_lo, v165, v164, v165
	s_delay_alu instid0(VALU_DEP_2) | instskip(SKIP_1) | instid1(TRANS32_DEP_1)
	v_rcp_f32_e32 v167, v166
	v_nop
	v_fma_f32 v168, -v166, v167, 1.0
	s_delay_alu instid0(VALU_DEP_1) | instskip(NEXT) | instid1(VALU_DEP_1)
	v_fmac_f32_e32 v167, v168, v167
	v_mul_f32_e32 v168, v169, v167
	s_delay_alu instid0(VALU_DEP_1) | instskip(NEXT) | instid1(VALU_DEP_1)
	v_fma_f32 v170, -v166, v168, v169
	v_fmac_f32_e32 v168, v170, v167
	s_delay_alu instid0(VALU_DEP_1) | instskip(NEXT) | instid1(VALU_DEP_1)
	v_fma_f32 v166, -v166, v168, v169
	v_div_fmas_f32 v166, v166, v167, v168
	s_delay_alu instid0(VALU_DEP_1) | instskip(NEXT) | instid1(VALU_DEP_1)
	v_div_fixup_f32 v167, v166, v164, v165
	v_fmac_f32_e32 v164, v165, v167
	s_delay_alu instid0(VALU_DEP_1) | instskip(NEXT) | instid1(VALU_DEP_1)
	v_div_scale_f32 v165, null, v164, v164, 1.0
	v_rcp_f32_e32 v166, v165
	v_nop
	s_delay_alu instid0(TRANS32_DEP_1) | instskip(NEXT) | instid1(VALU_DEP_1)
	v_fma_f32 v168, -v165, v166, 1.0
	v_fmac_f32_e32 v166, v168, v166
	v_div_scale_f32 v168, vcc_lo, 1.0, v164, 1.0
	s_delay_alu instid0(VALU_DEP_1) | instskip(NEXT) | instid1(VALU_DEP_1)
	v_mul_f32_e32 v169, v168, v166
	v_fma_f32 v170, -v165, v169, v168
	s_delay_alu instid0(VALU_DEP_1) | instskip(NEXT) | instid1(VALU_DEP_1)
	v_fmac_f32_e32 v169, v170, v166
	v_fma_f32 v165, -v165, v169, v168
	s_delay_alu instid0(VALU_DEP_1) | instskip(NEXT) | instid1(VALU_DEP_1)
	v_div_fmas_f32 v165, v165, v166, v169
	v_div_fixup_f32 v166, v165, v164, 1.0
	s_delay_alu instid0(VALU_DEP_1)
	v_mul_f32_e64 v167, v167, -v166
.LBB65_142:
	s_or_b32 exec_lo, exec_lo, s1
	ds_store_b64 v201, v[166:167]
.LBB65_143:
	s_or_b32 exec_lo, exec_lo, s2
	s_wait_dscnt 0x0
	s_barrier_signal -1
	s_barrier_wait -1
	ds_load_b64 v[164:165], v201
	s_mov_b32 s1, exec_lo
	v_cmpx_lt_u32_e32 15, v200
	s_cbranch_execz .LBB65_145
; %bb.144:
	ds_load_2addr_b64 v[170:173], v202 offset0:16 offset1:17
	s_wait_dscnt 0x1
	v_pk_mul_f32 v[168:169], v[164:165], v[56:57] op_sel:[1,1] op_sel_hi:[0,1]
	s_delay_alu instid0(VALU_DEP_1) | instskip(SKIP_1) | instid1(VALU_DEP_1)
	v_pk_fma_f32 v[166:167], v[164:165], v[56:57], v[168:169] op_sel_hi:[1,0,1] neg_lo:[0,0,1] neg_hi:[0,0,1]
	v_pk_fma_f32 v[168:169], v[164:165], v[56:57], v[168:169] op_sel_hi:[1,0,1]
	v_dual_mov_b32 v56, v166 :: v_dual_mov_b32 v57, v169
	s_wait_dscnt 0x0
	s_delay_alu instid0(VALU_DEP_2) | instskip(NEXT) | instid1(VALU_DEP_1)
	v_pk_mul_f32 v[174:175], v[170:171], v[168:169] op_sel:[0,1]
	v_pk_fma_f32 v[176:177], v[170:171], v[166:167], v[174:175] op_sel:[0,0,1] op_sel_hi:[1,1,0] neg_lo:[0,0,1] neg_hi:[0,0,1]
	v_pk_fma_f32 v[170:171], v[170:171], v[166:167], v[174:175] op_sel:[0,0,1] op_sel_hi:[1,0,0]
	s_delay_alu instid0(VALU_DEP_1) | instskip(SKIP_1) | instid1(VALU_DEP_1)
	v_mov_b32_e32 v177, v171
	v_pk_mul_f32 v[170:171], v[172:173], v[168:169] op_sel:[0,1]
	v_pk_fma_f32 v[174:175], v[172:173], v[166:167], v[170:171] op_sel:[0,0,1] op_sel_hi:[1,1,0] neg_lo:[0,0,1] neg_hi:[0,0,1]
	v_pk_fma_f32 v[170:171], v[172:173], v[166:167], v[170:171] op_sel:[0,0,1] op_sel_hi:[1,0,0]
	s_delay_alu instid0(VALU_DEP_1)
	v_mov_b32_e32 v175, v171
	ds_load_2addr_b64 v[170:173], v202 offset0:18 offset1:19
	v_pk_add_f32 v[82:83], v[82:83], v[176:177] neg_lo:[0,1] neg_hi:[0,1]
	v_pk_add_f32 v[78:79], v[78:79], v[174:175] neg_lo:[0,1] neg_hi:[0,1]
	s_wait_dscnt 0x0
	v_pk_mul_f32 v[174:175], v[170:171], v[168:169] op_sel:[0,1]
	s_delay_alu instid0(VALU_DEP_1) | instskip(SKIP_2) | instid1(VALU_DEP_2)
	v_pk_fma_f32 v[176:177], v[170:171], v[166:167], v[174:175] op_sel:[0,0,1] op_sel_hi:[1,1,0] neg_lo:[0,0,1] neg_hi:[0,0,1]
	v_pk_fma_f32 v[170:171], v[170:171], v[166:167], v[174:175] op_sel:[0,0,1] op_sel_hi:[1,0,0]
	v_dual_mul_f32 v174, v173, v169 :: v_dual_mov_b32 v170, v173
	v_dual_mov_b32 v177, v171 :: v_dual_mov_b32 v171, v172
	s_delay_alu instid0(VALU_DEP_2) | instskip(SKIP_1) | instid1(VALU_DEP_3)
	v_pk_fma_f32 v[174:175], v[172:173], v[56:57], v[174:175] op_sel_hi:[1,1,0] neg_lo:[0,0,1] neg_hi:[0,0,1]
	v_mul_f32_e32 v172, v173, v166
	v_pk_add_f32 v[80:81], v[80:81], v[176:177] neg_lo:[0,1] neg_hi:[0,1]
	s_delay_alu instid0(VALU_DEP_2) | instskip(NEXT) | instid1(VALU_DEP_1)
	v_pk_fma_f32 v[170:171], v[170:171], v[56:57], v[172:173] op_sel_hi:[1,1,0]
	v_mov_b32_e32 v175, v171
	ds_load_2addr_b64 v[170:173], v202 offset0:20 offset1:21
	v_pk_add_f32 v[76:77], v[76:77], v[174:175] neg_lo:[0,1] neg_hi:[0,1]
	s_wait_dscnt 0x0
	v_pk_mul_f32 v[174:175], v[170:171], v[168:169] op_sel:[0,1]
	s_delay_alu instid0(VALU_DEP_1) | instskip(SKIP_1) | instid1(VALU_DEP_1)
	v_pk_fma_f32 v[176:177], v[170:171], v[166:167], v[174:175] op_sel:[0,0,1] op_sel_hi:[1,1,0] neg_lo:[0,0,1] neg_hi:[0,0,1]
	v_pk_fma_f32 v[170:171], v[170:171], v[166:167], v[174:175] op_sel:[0,0,1] op_sel_hi:[1,0,0]
	v_mov_b32_e32 v177, v171
	v_pk_mul_f32 v[170:171], v[172:173], v[168:169] op_sel:[0,1]
	s_delay_alu instid0(VALU_DEP_1) | instskip(SKIP_1) | instid1(VALU_DEP_1)
	v_pk_fma_f32 v[174:175], v[172:173], v[166:167], v[170:171] op_sel:[0,0,1] op_sel_hi:[1,1,0] neg_lo:[0,0,1] neg_hi:[0,0,1]
	v_pk_fma_f32 v[170:171], v[172:173], v[166:167], v[170:171] op_sel:[0,0,1] op_sel_hi:[1,0,0]
	v_mov_b32_e32 v175, v171
	ds_load_2addr_b64 v[170:173], v202 offset0:22 offset1:23
	v_pk_add_f32 v[98:99], v[98:99], v[176:177] neg_lo:[0,1] neg_hi:[0,1]
	v_pk_add_f32 v[132:133], v[132:133], v[174:175] neg_lo:[0,1] neg_hi:[0,1]
	s_wait_dscnt 0x0
	v_pk_mul_f32 v[174:175], v[170:171], v[168:169] op_sel:[0,1]
	s_delay_alu instid0(VALU_DEP_1) | instskip(SKIP_1) | instid1(VALU_DEP_1)
	v_pk_fma_f32 v[176:177], v[170:171], v[166:167], v[174:175] op_sel:[0,0,1] op_sel_hi:[1,1,0] neg_lo:[0,0,1] neg_hi:[0,0,1]
	v_pk_fma_f32 v[170:171], v[170:171], v[166:167], v[174:175] op_sel:[0,0,1] op_sel_hi:[1,0,0]
	v_mov_b32_e32 v177, v171
	v_pk_mul_f32 v[170:171], v[172:173], v[168:169] op_sel:[0,1]
	s_delay_alu instid0(VALU_DEP_1) | instskip(SKIP_1) | instid1(VALU_DEP_1)
	v_pk_fma_f32 v[174:175], v[172:173], v[166:167], v[170:171] op_sel:[0,0,1] op_sel_hi:[1,1,0] neg_lo:[0,0,1] neg_hi:[0,0,1]
	v_pk_fma_f32 v[170:171], v[172:173], v[166:167], v[170:171] op_sel:[0,0,1] op_sel_hi:[1,0,0]
	v_mov_b32_e32 v175, v171
	ds_load_2addr_b64 v[170:173], v202 offset0:24 offset1:25
	v_pk_add_f32 v[128:129], v[128:129], v[176:177] neg_lo:[0,1] neg_hi:[0,1]
	v_pk_add_f32 v[126:127], v[126:127], v[174:175] neg_lo:[0,1] neg_hi:[0,1]
	s_wait_dscnt 0x0
	v_dual_mul_f32 v174, v171, v169 :: v_dual_mul_f32 v176, v171, v166
	s_delay_alu instid0(VALU_DEP_1) | instskip(NEXT) | instid1(VALU_DEP_2)
	v_pk_fma_f32 v[174:175], v[170:171], v[56:57], v[174:175] op_sel_hi:[1,1,0] neg_lo:[0,0,1] neg_hi:[0,0,1]
	v_pk_fma_f32 v[170:171], v[170:171], v[56:57], v[176:177] op_sel:[1,0,0] op_sel_hi:[0,1,0]
	s_delay_alu instid0(VALU_DEP_1) | instskip(SKIP_1) | instid1(VALU_DEP_2)
	v_mov_b32_e32 v175, v171
	v_pk_mul_f32 v[170:171], v[172:173], v[168:169] op_sel:[0,1]
	v_pk_add_f32 v[118:119], v[118:119], v[174:175] neg_lo:[0,1] neg_hi:[0,1]
	s_delay_alu instid0(VALU_DEP_2) | instskip(SKIP_1) | instid1(VALU_DEP_1)
	v_pk_fma_f32 v[174:175], v[172:173], v[166:167], v[170:171] op_sel:[0,0,1] op_sel_hi:[1,1,0] neg_lo:[0,0,1] neg_hi:[0,0,1]
	v_pk_fma_f32 v[170:171], v[172:173], v[166:167], v[170:171] op_sel:[0,0,1] op_sel_hi:[1,0,0]
	v_mov_b32_e32 v175, v171
	ds_load_2addr_b64 v[170:173], v202 offset0:26 offset1:27
	v_pk_add_f32 v[112:113], v[112:113], v[174:175] neg_lo:[0,1] neg_hi:[0,1]
	s_wait_dscnt 0x0
	v_pk_mul_f32 v[174:175], v[170:171], v[168:169] op_sel:[0,1]
	s_delay_alu instid0(VALU_DEP_1) | instskip(SKIP_1) | instid1(VALU_DEP_1)
	v_pk_fma_f32 v[176:177], v[170:171], v[166:167], v[174:175] op_sel:[0,0,1] op_sel_hi:[1,1,0] neg_lo:[0,0,1] neg_hi:[0,0,1]
	v_pk_fma_f32 v[170:171], v[170:171], v[166:167], v[174:175] op_sel:[0,0,1] op_sel_hi:[1,0,0]
	v_mov_b32_e32 v177, v171
	v_pk_mul_f32 v[170:171], v[172:173], v[168:169] op_sel:[0,1]
	s_delay_alu instid0(VALU_DEP_2) | instskip(NEXT) | instid1(VALU_DEP_2)
	v_pk_add_f32 v[116:117], v[116:117], v[176:177] neg_lo:[0,1] neg_hi:[0,1]
	v_pk_fma_f32 v[174:175], v[172:173], v[166:167], v[170:171] op_sel:[0,0,1] op_sel_hi:[1,1,0] neg_lo:[0,0,1] neg_hi:[0,0,1]
	v_pk_fma_f32 v[170:171], v[172:173], v[166:167], v[170:171] op_sel:[0,0,1] op_sel_hi:[1,0,0]
	s_delay_alu instid0(VALU_DEP_1) | instskip(SKIP_4) | instid1(VALU_DEP_1)
	v_mov_b32_e32 v175, v171
	ds_load_2addr_b64 v[170:173], v202 offset0:28 offset1:29
	v_pk_add_f32 v[110:111], v[110:111], v[174:175] neg_lo:[0,1] neg_hi:[0,1]
	s_wait_dscnt 0x0
	v_pk_mul_f32 v[174:175], v[170:171], v[168:169] op_sel:[0,1]
	v_pk_fma_f32 v[176:177], v[170:171], v[166:167], v[174:175] op_sel:[0,0,1] op_sel_hi:[1,1,0] neg_lo:[0,0,1] neg_hi:[0,0,1]
	v_pk_fma_f32 v[170:171], v[170:171], v[166:167], v[174:175] op_sel:[0,0,1] op_sel_hi:[1,0,0]
	v_dual_mul_f32 v174, v173, v169 :: v_dual_mov_b32 v170, v173
	s_delay_alu instid0(VALU_DEP_2) | instskip(NEXT) | instid1(VALU_DEP_2)
	v_dual_mov_b32 v177, v171 :: v_dual_mov_b32 v171, v172
	v_pk_fma_f32 v[174:175], v[172:173], v[56:57], v[174:175] op_sel_hi:[1,1,0] neg_lo:[0,0,1] neg_hi:[0,0,1]
	v_mul_f32_e32 v172, v173, v166
	s_delay_alu instid0(VALU_DEP_3) | instskip(NEXT) | instid1(VALU_DEP_2)
	v_pk_add_f32 v[114:115], v[114:115], v[176:177] neg_lo:[0,1] neg_hi:[0,1]
	v_pk_fma_f32 v[170:171], v[170:171], v[56:57], v[172:173] op_sel_hi:[1,1,0]
	s_delay_alu instid0(VALU_DEP_1) | instskip(SKIP_4) | instid1(VALU_DEP_1)
	v_mov_b32_e32 v175, v171
	ds_load_2addr_b64 v[170:173], v202 offset0:30 offset1:31
	v_pk_add_f32 v[124:125], v[124:125], v[174:175] neg_lo:[0,1] neg_hi:[0,1]
	s_wait_dscnt 0x0
	v_pk_mul_f32 v[174:175], v[170:171], v[168:169] op_sel:[0,1]
	v_pk_fma_f32 v[176:177], v[170:171], v[166:167], v[174:175] op_sel:[0,0,1] op_sel_hi:[1,1,0] neg_lo:[0,0,1] neg_hi:[0,0,1]
	v_pk_fma_f32 v[170:171], v[170:171], v[166:167], v[174:175] op_sel:[0,0,1] op_sel_hi:[1,0,0]
	s_delay_alu instid0(VALU_DEP_1) | instskip(SKIP_1) | instid1(VALU_DEP_1)
	v_mov_b32_e32 v177, v171
	v_pk_mul_f32 v[170:171], v[172:173], v[168:169] op_sel:[0,1]
	v_pk_fma_f32 v[174:175], v[172:173], v[166:167], v[170:171] op_sel:[0,0,1] op_sel_hi:[1,1,0] neg_lo:[0,0,1] neg_hi:[0,0,1]
	v_pk_fma_f32 v[170:171], v[172:173], v[166:167], v[170:171] op_sel:[0,0,1] op_sel_hi:[1,0,0]
	s_delay_alu instid0(VALU_DEP_1)
	v_mov_b32_e32 v175, v171
	ds_load_b64 v[170:171], v202 offset:256
	v_pk_add_f32 v[122:123], v[122:123], v[176:177] neg_lo:[0,1] neg_hi:[0,1]
	v_pk_add_f32 v[120:121], v[120:121], v[174:175] neg_lo:[0,1] neg_hi:[0,1]
	s_wait_dscnt 0x0
	v_pk_mul_f32 v[168:169], v[170:171], v[168:169] op_sel:[0,1]
	s_delay_alu instid0(VALU_DEP_1) | instskip(SKIP_1) | instid1(VALU_DEP_1)
	v_pk_fma_f32 v[172:173], v[170:171], v[166:167], v[168:169] op_sel:[0,0,1] op_sel_hi:[1,1,0] neg_lo:[0,0,1] neg_hi:[0,0,1]
	v_pk_fma_f32 v[166:167], v[170:171], v[166:167], v[168:169] op_sel:[0,0,1] op_sel_hi:[1,0,0]
	v_mov_b32_e32 v173, v167
	s_delay_alu instid0(VALU_DEP_1)
	v_pk_add_f32 v[130:131], v[130:131], v[172:173] neg_lo:[0,1] neg_hi:[0,1]
.LBB65_145:
	s_or_b32 exec_lo, exec_lo, s1
	s_delay_alu instid0(SALU_CYCLE_1)
	s_mov_b32 s2, exec_lo
	s_wait_dscnt 0x0
	s_barrier_signal -1
	s_barrier_wait -1
	v_cmpx_eq_u32_e32 16, v200
	s_cbranch_execz .LBB65_152
; %bb.146:
	ds_store_b64 v201, v[82:83]
	ds_store_2addr_b64 v202, v[78:79], v[80:81] offset0:17 offset1:18
	ds_store_2addr_b64 v202, v[76:77], v[98:99] offset0:19 offset1:20
	;; [unrolled: 1-line block ×8, first 2 shown]
	ds_load_b64 v[166:167], v201
	s_wait_dscnt 0x0
	v_cmp_neq_f32_e32 vcc_lo, 0, v166
	v_cmp_neq_f32_e64 s1, 0, v167
	s_or_b32 s1, vcc_lo, s1
	s_delay_alu instid0(SALU_CYCLE_1)
	s_and_b32 exec_lo, exec_lo, s1
	s_cbranch_execz .LBB65_152
; %bb.147:
	v_cmp_ngt_f32_e64 s1, |v166|, |v167|
                                        ; implicit-def: $vgpr168_vgpr169
	s_and_saveexec_b32 s4, s1
	s_delay_alu instid0(SALU_CYCLE_1)
	s_xor_b32 s1, exec_lo, s4
	s_cbranch_execz .LBB65_149
; %bb.148:
	v_div_scale_f32 v168, null, v167, v167, v166
	v_div_scale_f32 v171, vcc_lo, v166, v167, v166
	s_delay_alu instid0(VALU_DEP_2) | instskip(SKIP_1) | instid1(TRANS32_DEP_1)
	v_rcp_f32_e32 v169, v168
	v_nop
	v_fma_f32 v170, -v168, v169, 1.0
	s_delay_alu instid0(VALU_DEP_1) | instskip(NEXT) | instid1(VALU_DEP_1)
	v_fmac_f32_e32 v169, v170, v169
	v_mul_f32_e32 v170, v171, v169
	s_delay_alu instid0(VALU_DEP_1) | instskip(NEXT) | instid1(VALU_DEP_1)
	v_fma_f32 v172, -v168, v170, v171
	v_fmac_f32_e32 v170, v172, v169
	s_delay_alu instid0(VALU_DEP_1) | instskip(NEXT) | instid1(VALU_DEP_1)
	v_fma_f32 v168, -v168, v170, v171
	v_div_fmas_f32 v168, v168, v169, v170
	s_delay_alu instid0(VALU_DEP_1) | instskip(NEXT) | instid1(VALU_DEP_1)
	v_div_fixup_f32 v168, v168, v167, v166
	v_fmac_f32_e32 v167, v166, v168
	s_delay_alu instid0(VALU_DEP_1) | instskip(SKIP_1) | instid1(VALU_DEP_2)
	v_div_scale_f32 v166, null, v167, v167, 1.0
	v_div_scale_f32 v171, vcc_lo, 1.0, v167, 1.0
	v_rcp_f32_e32 v169, v166
	v_nop
	s_delay_alu instid0(TRANS32_DEP_1) | instskip(NEXT) | instid1(VALU_DEP_1)
	v_fma_f32 v170, -v166, v169, 1.0
	v_fmac_f32_e32 v169, v170, v169
	s_delay_alu instid0(VALU_DEP_1) | instskip(NEXT) | instid1(VALU_DEP_1)
	v_mul_f32_e32 v170, v171, v169
	v_fma_f32 v172, -v166, v170, v171
	s_delay_alu instid0(VALU_DEP_1) | instskip(NEXT) | instid1(VALU_DEP_1)
	v_fmac_f32_e32 v170, v172, v169
	v_fma_f32 v166, -v166, v170, v171
	s_delay_alu instid0(VALU_DEP_1) | instskip(NEXT) | instid1(VALU_DEP_1)
	v_div_fmas_f32 v166, v166, v169, v170
	v_div_fixup_f32 v166, v166, v167, 1.0
	s_delay_alu instid0(VALU_DEP_1)
	v_mul_f32_e32 v168, v168, v166
	v_xor_b32_e32 v169, 0x80000000, v166
                                        ; implicit-def: $vgpr166_vgpr167
.LBB65_149:
	s_and_not1_saveexec_b32 s1, s1
	s_cbranch_execz .LBB65_151
; %bb.150:
	v_div_scale_f32 v168, null, v166, v166, v167
	v_div_scale_f32 v171, vcc_lo, v167, v166, v167
	s_delay_alu instid0(VALU_DEP_2) | instskip(SKIP_1) | instid1(TRANS32_DEP_1)
	v_rcp_f32_e32 v169, v168
	v_nop
	v_fma_f32 v170, -v168, v169, 1.0
	s_delay_alu instid0(VALU_DEP_1) | instskip(NEXT) | instid1(VALU_DEP_1)
	v_fmac_f32_e32 v169, v170, v169
	v_mul_f32_e32 v170, v171, v169
	s_delay_alu instid0(VALU_DEP_1) | instskip(NEXT) | instid1(VALU_DEP_1)
	v_fma_f32 v172, -v168, v170, v171
	v_fmac_f32_e32 v170, v172, v169
	s_delay_alu instid0(VALU_DEP_1) | instskip(NEXT) | instid1(VALU_DEP_1)
	v_fma_f32 v168, -v168, v170, v171
	v_div_fmas_f32 v168, v168, v169, v170
	s_delay_alu instid0(VALU_DEP_1) | instskip(NEXT) | instid1(VALU_DEP_1)
	v_div_fixup_f32 v169, v168, v166, v167
	v_fmac_f32_e32 v166, v167, v169
	s_delay_alu instid0(VALU_DEP_1) | instskip(NEXT) | instid1(VALU_DEP_1)
	v_div_scale_f32 v167, null, v166, v166, 1.0
	v_rcp_f32_e32 v168, v167
	v_nop
	s_delay_alu instid0(TRANS32_DEP_1) | instskip(NEXT) | instid1(VALU_DEP_1)
	v_fma_f32 v170, -v167, v168, 1.0
	v_fmac_f32_e32 v168, v170, v168
	v_div_scale_f32 v170, vcc_lo, 1.0, v166, 1.0
	s_delay_alu instid0(VALU_DEP_1) | instskip(NEXT) | instid1(VALU_DEP_1)
	v_mul_f32_e32 v171, v170, v168
	v_fma_f32 v172, -v167, v171, v170
	s_delay_alu instid0(VALU_DEP_1) | instskip(NEXT) | instid1(VALU_DEP_1)
	v_fmac_f32_e32 v171, v172, v168
	v_fma_f32 v167, -v167, v171, v170
	s_delay_alu instid0(VALU_DEP_1) | instskip(NEXT) | instid1(VALU_DEP_1)
	v_div_fmas_f32 v167, v167, v168, v171
	v_div_fixup_f32 v168, v167, v166, 1.0
	s_delay_alu instid0(VALU_DEP_1)
	v_mul_f32_e64 v169, v169, -v168
.LBB65_151:
	s_or_b32 exec_lo, exec_lo, s1
	ds_store_b64 v201, v[168:169]
.LBB65_152:
	s_or_b32 exec_lo, exec_lo, s2
	s_wait_dscnt 0x0
	s_barrier_signal -1
	s_barrier_wait -1
	ds_load_b64 v[166:167], v201
	s_mov_b32 s1, exec_lo
	v_cmpx_lt_u32_e32 16, v200
	s_cbranch_execz .LBB65_154
; %bb.153:
	ds_load_2addr_b64 v[172:175], v202 offset0:17 offset1:18
	s_wait_dscnt 0x1
	v_pk_mul_f32 v[170:171], v[166:167], v[82:83] op_sel:[1,1] op_sel_hi:[0,1]
	s_delay_alu instid0(VALU_DEP_1) | instskip(SKIP_1) | instid1(VALU_DEP_1)
	v_pk_fma_f32 v[168:169], v[166:167], v[82:83], v[170:171] op_sel_hi:[1,0,1] neg_lo:[0,0,1] neg_hi:[0,0,1]
	v_pk_fma_f32 v[170:171], v[166:167], v[82:83], v[170:171] op_sel_hi:[1,0,1]
	v_dual_mov_b32 v82, v168 :: v_dual_mov_b32 v83, v171
	s_wait_dscnt 0x0
	s_delay_alu instid0(VALU_DEP_2) | instskip(NEXT) | instid1(VALU_DEP_1)
	v_pk_mul_f32 v[176:177], v[172:173], v[170:171] op_sel:[0,1]
	v_pk_fma_f32 v[178:179], v[172:173], v[168:169], v[176:177] op_sel:[0,0,1] op_sel_hi:[1,1,0] neg_lo:[0,0,1] neg_hi:[0,0,1]
	v_pk_fma_f32 v[172:173], v[172:173], v[168:169], v[176:177] op_sel:[0,0,1] op_sel_hi:[1,0,0]
	s_delay_alu instid0(VALU_DEP_1) | instskip(SKIP_1) | instid1(VALU_DEP_1)
	v_mov_b32_e32 v179, v173
	v_pk_mul_f32 v[172:173], v[174:175], v[170:171] op_sel:[0,1]
	v_pk_fma_f32 v[176:177], v[174:175], v[168:169], v[172:173] op_sel:[0,0,1] op_sel_hi:[1,1,0] neg_lo:[0,0,1] neg_hi:[0,0,1]
	v_pk_fma_f32 v[172:173], v[174:175], v[168:169], v[172:173] op_sel:[0,0,1] op_sel_hi:[1,0,0]
	s_delay_alu instid0(VALU_DEP_1)
	v_mov_b32_e32 v177, v173
	ds_load_2addr_b64 v[172:175], v202 offset0:19 offset1:20
	v_pk_add_f32 v[78:79], v[78:79], v[178:179] neg_lo:[0,1] neg_hi:[0,1]
	v_pk_add_f32 v[80:81], v[80:81], v[176:177] neg_lo:[0,1] neg_hi:[0,1]
	s_wait_dscnt 0x0
	v_pk_mul_f32 v[176:177], v[172:173], v[170:171] op_sel:[0,1]
	s_delay_alu instid0(VALU_DEP_1) | instskip(SKIP_2) | instid1(VALU_DEP_2)
	v_pk_fma_f32 v[178:179], v[172:173], v[168:169], v[176:177] op_sel:[0,0,1] op_sel_hi:[1,1,0] neg_lo:[0,0,1] neg_hi:[0,0,1]
	v_pk_fma_f32 v[172:173], v[172:173], v[168:169], v[176:177] op_sel:[0,0,1] op_sel_hi:[1,0,0]
	v_dual_mul_f32 v176, v175, v171 :: v_dual_mov_b32 v172, v175
	v_dual_mov_b32 v179, v173 :: v_dual_mov_b32 v173, v174
	s_delay_alu instid0(VALU_DEP_2) | instskip(SKIP_1) | instid1(VALU_DEP_3)
	v_pk_fma_f32 v[176:177], v[174:175], v[82:83], v[176:177] op_sel_hi:[1,1,0] neg_lo:[0,0,1] neg_hi:[0,0,1]
	v_mul_f32_e32 v174, v175, v168
	v_pk_add_f32 v[76:77], v[76:77], v[178:179] neg_lo:[0,1] neg_hi:[0,1]
	s_delay_alu instid0(VALU_DEP_2) | instskip(NEXT) | instid1(VALU_DEP_1)
	v_pk_fma_f32 v[172:173], v[172:173], v[82:83], v[174:175] op_sel_hi:[1,1,0]
	v_mov_b32_e32 v177, v173
	ds_load_2addr_b64 v[172:175], v202 offset0:21 offset1:22
	v_pk_add_f32 v[98:99], v[98:99], v[176:177] neg_lo:[0,1] neg_hi:[0,1]
	s_wait_dscnt 0x0
	v_pk_mul_f32 v[176:177], v[172:173], v[170:171] op_sel:[0,1]
	s_delay_alu instid0(VALU_DEP_1) | instskip(SKIP_1) | instid1(VALU_DEP_1)
	v_pk_fma_f32 v[178:179], v[172:173], v[168:169], v[176:177] op_sel:[0,0,1] op_sel_hi:[1,1,0] neg_lo:[0,0,1] neg_hi:[0,0,1]
	v_pk_fma_f32 v[172:173], v[172:173], v[168:169], v[176:177] op_sel:[0,0,1] op_sel_hi:[1,0,0]
	v_mov_b32_e32 v179, v173
	v_pk_mul_f32 v[172:173], v[174:175], v[170:171] op_sel:[0,1]
	s_delay_alu instid0(VALU_DEP_1) | instskip(SKIP_1) | instid1(VALU_DEP_1)
	v_pk_fma_f32 v[176:177], v[174:175], v[168:169], v[172:173] op_sel:[0,0,1] op_sel_hi:[1,1,0] neg_lo:[0,0,1] neg_hi:[0,0,1]
	v_pk_fma_f32 v[172:173], v[174:175], v[168:169], v[172:173] op_sel:[0,0,1] op_sel_hi:[1,0,0]
	v_mov_b32_e32 v177, v173
	ds_load_2addr_b64 v[172:175], v202 offset0:23 offset1:24
	v_pk_add_f32 v[132:133], v[132:133], v[178:179] neg_lo:[0,1] neg_hi:[0,1]
	v_pk_add_f32 v[128:129], v[128:129], v[176:177] neg_lo:[0,1] neg_hi:[0,1]
	s_wait_dscnt 0x0
	v_pk_mul_f32 v[176:177], v[172:173], v[170:171] op_sel:[0,1]
	s_delay_alu instid0(VALU_DEP_1) | instskip(SKIP_1) | instid1(VALU_DEP_1)
	v_pk_fma_f32 v[178:179], v[172:173], v[168:169], v[176:177] op_sel:[0,0,1] op_sel_hi:[1,1,0] neg_lo:[0,0,1] neg_hi:[0,0,1]
	v_pk_fma_f32 v[172:173], v[172:173], v[168:169], v[176:177] op_sel:[0,0,1] op_sel_hi:[1,0,0]
	v_mov_b32_e32 v179, v173
	v_pk_mul_f32 v[172:173], v[174:175], v[170:171] op_sel:[0,1]
	s_delay_alu instid0(VALU_DEP_1) | instskip(SKIP_1) | instid1(VALU_DEP_1)
	v_pk_fma_f32 v[176:177], v[174:175], v[168:169], v[172:173] op_sel:[0,0,1] op_sel_hi:[1,1,0] neg_lo:[0,0,1] neg_hi:[0,0,1]
	v_pk_fma_f32 v[172:173], v[174:175], v[168:169], v[172:173] op_sel:[0,0,1] op_sel_hi:[1,0,0]
	v_mov_b32_e32 v177, v173
	ds_load_2addr_b64 v[172:175], v202 offset0:25 offset1:26
	v_pk_add_f32 v[126:127], v[126:127], v[178:179] neg_lo:[0,1] neg_hi:[0,1]
	v_pk_add_f32 v[118:119], v[118:119], v[176:177] neg_lo:[0,1] neg_hi:[0,1]
	s_wait_dscnt 0x0
	v_dual_mul_f32 v176, v173, v171 :: v_dual_mul_f32 v178, v173, v168
	s_delay_alu instid0(VALU_DEP_1) | instskip(NEXT) | instid1(VALU_DEP_2)
	v_pk_fma_f32 v[176:177], v[172:173], v[82:83], v[176:177] op_sel_hi:[1,1,0] neg_lo:[0,0,1] neg_hi:[0,0,1]
	v_pk_fma_f32 v[172:173], v[172:173], v[82:83], v[178:179] op_sel:[1,0,0] op_sel_hi:[0,1,0]
	s_delay_alu instid0(VALU_DEP_1) | instskip(SKIP_1) | instid1(VALU_DEP_2)
	v_mov_b32_e32 v177, v173
	v_pk_mul_f32 v[172:173], v[174:175], v[170:171] op_sel:[0,1]
	v_pk_add_f32 v[112:113], v[112:113], v[176:177] neg_lo:[0,1] neg_hi:[0,1]
	s_delay_alu instid0(VALU_DEP_2) | instskip(SKIP_1) | instid1(VALU_DEP_1)
	v_pk_fma_f32 v[176:177], v[174:175], v[168:169], v[172:173] op_sel:[0,0,1] op_sel_hi:[1,1,0] neg_lo:[0,0,1] neg_hi:[0,0,1]
	v_pk_fma_f32 v[172:173], v[174:175], v[168:169], v[172:173] op_sel:[0,0,1] op_sel_hi:[1,0,0]
	v_mov_b32_e32 v177, v173
	ds_load_2addr_b64 v[172:175], v202 offset0:27 offset1:28
	v_pk_add_f32 v[116:117], v[116:117], v[176:177] neg_lo:[0,1] neg_hi:[0,1]
	s_wait_dscnt 0x0
	v_pk_mul_f32 v[176:177], v[172:173], v[170:171] op_sel:[0,1]
	s_delay_alu instid0(VALU_DEP_1) | instskip(SKIP_1) | instid1(VALU_DEP_1)
	v_pk_fma_f32 v[178:179], v[172:173], v[168:169], v[176:177] op_sel:[0,0,1] op_sel_hi:[1,1,0] neg_lo:[0,0,1] neg_hi:[0,0,1]
	v_pk_fma_f32 v[172:173], v[172:173], v[168:169], v[176:177] op_sel:[0,0,1] op_sel_hi:[1,0,0]
	v_mov_b32_e32 v179, v173
	v_pk_mul_f32 v[172:173], v[174:175], v[170:171] op_sel:[0,1]
	s_delay_alu instid0(VALU_DEP_2) | instskip(NEXT) | instid1(VALU_DEP_2)
	v_pk_add_f32 v[110:111], v[110:111], v[178:179] neg_lo:[0,1] neg_hi:[0,1]
	v_pk_fma_f32 v[176:177], v[174:175], v[168:169], v[172:173] op_sel:[0,0,1] op_sel_hi:[1,1,0] neg_lo:[0,0,1] neg_hi:[0,0,1]
	v_pk_fma_f32 v[172:173], v[174:175], v[168:169], v[172:173] op_sel:[0,0,1] op_sel_hi:[1,0,0]
	s_delay_alu instid0(VALU_DEP_1) | instskip(SKIP_4) | instid1(VALU_DEP_1)
	v_mov_b32_e32 v177, v173
	ds_load_2addr_b64 v[172:175], v202 offset0:29 offset1:30
	v_pk_add_f32 v[114:115], v[114:115], v[176:177] neg_lo:[0,1] neg_hi:[0,1]
	s_wait_dscnt 0x0
	v_pk_mul_f32 v[176:177], v[172:173], v[170:171] op_sel:[0,1]
	v_pk_fma_f32 v[178:179], v[172:173], v[168:169], v[176:177] op_sel:[0,0,1] op_sel_hi:[1,1,0] neg_lo:[0,0,1] neg_hi:[0,0,1]
	v_pk_fma_f32 v[172:173], v[172:173], v[168:169], v[176:177] op_sel:[0,0,1] op_sel_hi:[1,0,0]
	v_dual_mul_f32 v176, v175, v171 :: v_dual_mov_b32 v172, v175
	s_delay_alu instid0(VALU_DEP_2) | instskip(NEXT) | instid1(VALU_DEP_2)
	v_dual_mov_b32 v179, v173 :: v_dual_mov_b32 v173, v174
	v_pk_fma_f32 v[176:177], v[174:175], v[82:83], v[176:177] op_sel_hi:[1,1,0] neg_lo:[0,0,1] neg_hi:[0,0,1]
	v_mul_f32_e32 v174, v175, v168
	s_delay_alu instid0(VALU_DEP_3) | instskip(NEXT) | instid1(VALU_DEP_2)
	v_pk_add_f32 v[124:125], v[124:125], v[178:179] neg_lo:[0,1] neg_hi:[0,1]
	v_pk_fma_f32 v[172:173], v[172:173], v[82:83], v[174:175] op_sel_hi:[1,1,0]
	s_delay_alu instid0(VALU_DEP_1)
	v_mov_b32_e32 v177, v173
	ds_load_2addr_b64 v[172:175], v202 offset0:31 offset1:32
	v_pk_add_f32 v[122:123], v[122:123], v[176:177] neg_lo:[0,1] neg_hi:[0,1]
	s_wait_dscnt 0x0
	v_pk_mul_f32 v[176:177], v[172:173], v[170:171] op_sel:[0,1]
	v_pk_mul_f32 v[170:171], v[174:175], v[170:171] op_sel:[0,1]
	s_delay_alu instid0(VALU_DEP_2) | instskip(SKIP_1) | instid1(VALU_DEP_1)
	v_pk_fma_f32 v[178:179], v[172:173], v[168:169], v[176:177] op_sel:[0,0,1] op_sel_hi:[1,1,0] neg_lo:[0,0,1] neg_hi:[0,0,1]
	v_pk_fma_f32 v[172:173], v[172:173], v[168:169], v[176:177] op_sel:[0,0,1] op_sel_hi:[1,0,0]
	v_mov_b32_e32 v179, v173
	s_delay_alu instid0(VALU_DEP_4) | instskip(SKIP_1) | instid1(VALU_DEP_1)
	v_pk_fma_f32 v[172:173], v[174:175], v[168:169], v[170:171] op_sel:[0,0,1] op_sel_hi:[1,1,0] neg_lo:[0,0,1] neg_hi:[0,0,1]
	v_pk_fma_f32 v[168:169], v[174:175], v[168:169], v[170:171] op_sel:[0,0,1] op_sel_hi:[1,0,0]
	v_mov_b32_e32 v173, v169
	s_delay_alu instid0(VALU_DEP_4) | instskip(NEXT) | instid1(VALU_DEP_2)
	v_pk_add_f32 v[120:121], v[120:121], v[178:179] neg_lo:[0,1] neg_hi:[0,1]
	v_pk_add_f32 v[130:131], v[130:131], v[172:173] neg_lo:[0,1] neg_hi:[0,1]
.LBB65_154:
	s_or_b32 exec_lo, exec_lo, s1
	s_delay_alu instid0(SALU_CYCLE_1)
	s_mov_b32 s2, exec_lo
	s_wait_dscnt 0x0
	s_barrier_signal -1
	s_barrier_wait -1
	v_cmpx_eq_u32_e32 17, v200
	s_cbranch_execz .LBB65_161
; %bb.155:
	v_dual_mov_b32 v168, v80 :: v_dual_mov_b32 v169, v81
	v_dual_mov_b32 v170, v76 :: v_dual_mov_b32 v171, v77
	;; [unrolled: 1-line block ×4, first 2 shown]
	ds_store_b64 v201, v[78:79]
	ds_store_2addr_b64 v202, v[168:169], v[170:171] offset0:18 offset1:19
	ds_store_2addr_b64 v202, v[172:173], v[174:175] offset0:20 offset1:21
	v_dual_mov_b32 v168, v128 :: v_dual_mov_b32 v169, v129
	v_dual_mov_b32 v170, v126 :: v_dual_mov_b32 v171, v127
	;; [unrolled: 1-line block ×10, first 2 shown]
	ds_store_2addr_b64 v202, v[168:169], v[170:171] offset0:22 offset1:23
	ds_store_2addr_b64 v202, v[172:173], v[174:175] offset0:24 offset1:25
	;; [unrolled: 1-line block ×5, first 2 shown]
	ds_store_b64 v202, v[130:131] offset:256
	ds_load_b64 v[168:169], v201
	s_wait_dscnt 0x0
	v_cmp_neq_f32_e32 vcc_lo, 0, v168
	v_cmp_neq_f32_e64 s1, 0, v169
	s_or_b32 s1, vcc_lo, s1
	s_delay_alu instid0(SALU_CYCLE_1)
	s_and_b32 exec_lo, exec_lo, s1
	s_cbranch_execz .LBB65_161
; %bb.156:
	v_cmp_ngt_f32_e64 s1, |v168|, |v169|
                                        ; implicit-def: $vgpr170_vgpr171
	s_and_saveexec_b32 s4, s1
	s_delay_alu instid0(SALU_CYCLE_1)
	s_xor_b32 s1, exec_lo, s4
	s_cbranch_execz .LBB65_158
; %bb.157:
	v_div_scale_f32 v170, null, v169, v169, v168
	v_div_scale_f32 v173, vcc_lo, v168, v169, v168
	s_delay_alu instid0(VALU_DEP_2) | instskip(SKIP_1) | instid1(TRANS32_DEP_1)
	v_rcp_f32_e32 v171, v170
	v_nop
	v_fma_f32 v172, -v170, v171, 1.0
	s_delay_alu instid0(VALU_DEP_1) | instskip(NEXT) | instid1(VALU_DEP_1)
	v_fmac_f32_e32 v171, v172, v171
	v_mul_f32_e32 v172, v173, v171
	s_delay_alu instid0(VALU_DEP_1) | instskip(NEXT) | instid1(VALU_DEP_1)
	v_fma_f32 v174, -v170, v172, v173
	v_fmac_f32_e32 v172, v174, v171
	s_delay_alu instid0(VALU_DEP_1) | instskip(NEXT) | instid1(VALU_DEP_1)
	v_fma_f32 v170, -v170, v172, v173
	v_div_fmas_f32 v170, v170, v171, v172
	s_delay_alu instid0(VALU_DEP_1) | instskip(NEXT) | instid1(VALU_DEP_1)
	v_div_fixup_f32 v170, v170, v169, v168
	v_fmac_f32_e32 v169, v168, v170
	s_delay_alu instid0(VALU_DEP_1) | instskip(SKIP_1) | instid1(VALU_DEP_2)
	v_div_scale_f32 v168, null, v169, v169, 1.0
	v_div_scale_f32 v173, vcc_lo, 1.0, v169, 1.0
	v_rcp_f32_e32 v171, v168
	v_nop
	s_delay_alu instid0(TRANS32_DEP_1) | instskip(NEXT) | instid1(VALU_DEP_1)
	v_fma_f32 v172, -v168, v171, 1.0
	v_fmac_f32_e32 v171, v172, v171
	s_delay_alu instid0(VALU_DEP_1) | instskip(NEXT) | instid1(VALU_DEP_1)
	v_mul_f32_e32 v172, v173, v171
	v_fma_f32 v174, -v168, v172, v173
	s_delay_alu instid0(VALU_DEP_1) | instskip(NEXT) | instid1(VALU_DEP_1)
	v_fmac_f32_e32 v172, v174, v171
	v_fma_f32 v168, -v168, v172, v173
	s_delay_alu instid0(VALU_DEP_1) | instskip(NEXT) | instid1(VALU_DEP_1)
	v_div_fmas_f32 v168, v168, v171, v172
	v_div_fixup_f32 v168, v168, v169, 1.0
	s_delay_alu instid0(VALU_DEP_1)
	v_mul_f32_e32 v170, v170, v168
	v_xor_b32_e32 v171, 0x80000000, v168
                                        ; implicit-def: $vgpr168_vgpr169
.LBB65_158:
	s_and_not1_saveexec_b32 s1, s1
	s_cbranch_execz .LBB65_160
; %bb.159:
	v_div_scale_f32 v170, null, v168, v168, v169
	v_div_scale_f32 v173, vcc_lo, v169, v168, v169
	s_delay_alu instid0(VALU_DEP_2) | instskip(SKIP_1) | instid1(TRANS32_DEP_1)
	v_rcp_f32_e32 v171, v170
	v_nop
	v_fma_f32 v172, -v170, v171, 1.0
	s_delay_alu instid0(VALU_DEP_1) | instskip(NEXT) | instid1(VALU_DEP_1)
	v_fmac_f32_e32 v171, v172, v171
	v_mul_f32_e32 v172, v173, v171
	s_delay_alu instid0(VALU_DEP_1) | instskip(NEXT) | instid1(VALU_DEP_1)
	v_fma_f32 v174, -v170, v172, v173
	v_fmac_f32_e32 v172, v174, v171
	s_delay_alu instid0(VALU_DEP_1) | instskip(NEXT) | instid1(VALU_DEP_1)
	v_fma_f32 v170, -v170, v172, v173
	v_div_fmas_f32 v170, v170, v171, v172
	s_delay_alu instid0(VALU_DEP_1) | instskip(NEXT) | instid1(VALU_DEP_1)
	v_div_fixup_f32 v171, v170, v168, v169
	v_fmac_f32_e32 v168, v169, v171
	s_delay_alu instid0(VALU_DEP_1) | instskip(NEXT) | instid1(VALU_DEP_1)
	v_div_scale_f32 v169, null, v168, v168, 1.0
	v_rcp_f32_e32 v170, v169
	v_nop
	s_delay_alu instid0(TRANS32_DEP_1) | instskip(NEXT) | instid1(VALU_DEP_1)
	v_fma_f32 v172, -v169, v170, 1.0
	v_fmac_f32_e32 v170, v172, v170
	v_div_scale_f32 v172, vcc_lo, 1.0, v168, 1.0
	s_delay_alu instid0(VALU_DEP_1) | instskip(NEXT) | instid1(VALU_DEP_1)
	v_mul_f32_e32 v173, v172, v170
	v_fma_f32 v174, -v169, v173, v172
	s_delay_alu instid0(VALU_DEP_1) | instskip(NEXT) | instid1(VALU_DEP_1)
	v_fmac_f32_e32 v173, v174, v170
	v_fma_f32 v169, -v169, v173, v172
	s_delay_alu instid0(VALU_DEP_1) | instskip(NEXT) | instid1(VALU_DEP_1)
	v_div_fmas_f32 v169, v169, v170, v173
	v_div_fixup_f32 v170, v169, v168, 1.0
	s_delay_alu instid0(VALU_DEP_1)
	v_mul_f32_e64 v171, v171, -v170
.LBB65_160:
	s_or_b32 exec_lo, exec_lo, s1
	ds_store_b64 v201, v[170:171]
.LBB65_161:
	s_or_b32 exec_lo, exec_lo, s2
	s_wait_dscnt 0x0
	s_barrier_signal -1
	s_barrier_wait -1
	ds_load_b64 v[168:169], v201
	s_mov_b32 s1, exec_lo
	v_cmpx_lt_u32_e32 17, v200
	s_cbranch_execz .LBB65_163
; %bb.162:
	ds_load_2addr_b64 v[174:177], v202 offset0:18 offset1:19
	s_wait_dscnt 0x1
	v_pk_mul_f32 v[172:173], v[168:169], v[78:79] op_sel:[1,1] op_sel_hi:[0,1]
	s_delay_alu instid0(VALU_DEP_1) | instskip(SKIP_1) | instid1(VALU_DEP_1)
	v_pk_fma_f32 v[170:171], v[168:169], v[78:79], v[172:173] op_sel_hi:[1,0,1] neg_lo:[0,0,1] neg_hi:[0,0,1]
	v_pk_fma_f32 v[172:173], v[168:169], v[78:79], v[172:173] op_sel_hi:[1,0,1]
	v_dual_mov_b32 v78, v170 :: v_dual_mov_b32 v79, v173
	s_wait_dscnt 0x0
	s_delay_alu instid0(VALU_DEP_2) | instskip(NEXT) | instid1(VALU_DEP_1)
	v_pk_mul_f32 v[178:179], v[174:175], v[172:173] op_sel:[0,1]
	v_pk_fma_f32 v[180:181], v[174:175], v[170:171], v[178:179] op_sel:[0,0,1] op_sel_hi:[1,1,0] neg_lo:[0,0,1] neg_hi:[0,0,1]
	v_pk_fma_f32 v[174:175], v[174:175], v[170:171], v[178:179] op_sel:[0,0,1] op_sel_hi:[1,0,0]
	s_delay_alu instid0(VALU_DEP_1) | instskip(SKIP_1) | instid1(VALU_DEP_1)
	v_mov_b32_e32 v181, v175
	v_pk_mul_f32 v[174:175], v[176:177], v[172:173] op_sel:[0,1]
	v_pk_fma_f32 v[178:179], v[176:177], v[170:171], v[174:175] op_sel:[0,0,1] op_sel_hi:[1,1,0] neg_lo:[0,0,1] neg_hi:[0,0,1]
	v_pk_fma_f32 v[174:175], v[176:177], v[170:171], v[174:175] op_sel:[0,0,1] op_sel_hi:[1,0,0]
	s_delay_alu instid0(VALU_DEP_1)
	v_mov_b32_e32 v179, v175
	ds_load_2addr_b64 v[174:177], v202 offset0:20 offset1:21
	v_pk_add_f32 v[80:81], v[80:81], v[180:181] neg_lo:[0,1] neg_hi:[0,1]
	v_pk_add_f32 v[76:77], v[76:77], v[178:179] neg_lo:[0,1] neg_hi:[0,1]
	s_wait_dscnt 0x0
	v_pk_mul_f32 v[178:179], v[174:175], v[172:173] op_sel:[0,1]
	s_delay_alu instid0(VALU_DEP_1) | instskip(SKIP_2) | instid1(VALU_DEP_2)
	v_pk_fma_f32 v[180:181], v[174:175], v[170:171], v[178:179] op_sel:[0,0,1] op_sel_hi:[1,1,0] neg_lo:[0,0,1] neg_hi:[0,0,1]
	v_pk_fma_f32 v[174:175], v[174:175], v[170:171], v[178:179] op_sel:[0,0,1] op_sel_hi:[1,0,0]
	v_dual_mul_f32 v178, v177, v173 :: v_dual_mov_b32 v174, v177
	v_dual_mov_b32 v181, v175 :: v_dual_mov_b32 v175, v176
	s_delay_alu instid0(VALU_DEP_2) | instskip(SKIP_1) | instid1(VALU_DEP_3)
	v_pk_fma_f32 v[178:179], v[176:177], v[78:79], v[178:179] op_sel_hi:[1,1,0] neg_lo:[0,0,1] neg_hi:[0,0,1]
	v_mul_f32_e32 v176, v177, v170
	v_pk_add_f32 v[98:99], v[98:99], v[180:181] neg_lo:[0,1] neg_hi:[0,1]
	s_delay_alu instid0(VALU_DEP_2) | instskip(NEXT) | instid1(VALU_DEP_1)
	v_pk_fma_f32 v[174:175], v[174:175], v[78:79], v[176:177] op_sel_hi:[1,1,0]
	v_mov_b32_e32 v179, v175
	ds_load_2addr_b64 v[174:177], v202 offset0:22 offset1:23
	v_pk_add_f32 v[132:133], v[132:133], v[178:179] neg_lo:[0,1] neg_hi:[0,1]
	s_wait_dscnt 0x0
	v_pk_mul_f32 v[178:179], v[174:175], v[172:173] op_sel:[0,1]
	s_delay_alu instid0(VALU_DEP_1) | instskip(SKIP_1) | instid1(VALU_DEP_1)
	v_pk_fma_f32 v[180:181], v[174:175], v[170:171], v[178:179] op_sel:[0,0,1] op_sel_hi:[1,1,0] neg_lo:[0,0,1] neg_hi:[0,0,1]
	v_pk_fma_f32 v[174:175], v[174:175], v[170:171], v[178:179] op_sel:[0,0,1] op_sel_hi:[1,0,0]
	v_mov_b32_e32 v181, v175
	v_pk_mul_f32 v[174:175], v[176:177], v[172:173] op_sel:[0,1]
	s_delay_alu instid0(VALU_DEP_1) | instskip(SKIP_1) | instid1(VALU_DEP_1)
	v_pk_fma_f32 v[178:179], v[176:177], v[170:171], v[174:175] op_sel:[0,0,1] op_sel_hi:[1,1,0] neg_lo:[0,0,1] neg_hi:[0,0,1]
	v_pk_fma_f32 v[174:175], v[176:177], v[170:171], v[174:175] op_sel:[0,0,1] op_sel_hi:[1,0,0]
	v_mov_b32_e32 v179, v175
	ds_load_2addr_b64 v[174:177], v202 offset0:24 offset1:25
	v_pk_add_f32 v[128:129], v[128:129], v[180:181] neg_lo:[0,1] neg_hi:[0,1]
	v_pk_add_f32 v[126:127], v[126:127], v[178:179] neg_lo:[0,1] neg_hi:[0,1]
	s_wait_dscnt 0x0
	v_pk_mul_f32 v[178:179], v[174:175], v[172:173] op_sel:[0,1]
	s_delay_alu instid0(VALU_DEP_1) | instskip(SKIP_1) | instid1(VALU_DEP_1)
	v_pk_fma_f32 v[180:181], v[174:175], v[170:171], v[178:179] op_sel:[0,0,1] op_sel_hi:[1,1,0] neg_lo:[0,0,1] neg_hi:[0,0,1]
	v_pk_fma_f32 v[174:175], v[174:175], v[170:171], v[178:179] op_sel:[0,0,1] op_sel_hi:[1,0,0]
	v_mov_b32_e32 v181, v175
	v_pk_mul_f32 v[174:175], v[176:177], v[172:173] op_sel:[0,1]
	s_delay_alu instid0(VALU_DEP_1) | instskip(SKIP_1) | instid1(VALU_DEP_1)
	v_pk_fma_f32 v[178:179], v[176:177], v[170:171], v[174:175] op_sel:[0,0,1] op_sel_hi:[1,1,0] neg_lo:[0,0,1] neg_hi:[0,0,1]
	v_pk_fma_f32 v[174:175], v[176:177], v[170:171], v[174:175] op_sel:[0,0,1] op_sel_hi:[1,0,0]
	v_mov_b32_e32 v179, v175
	ds_load_2addr_b64 v[174:177], v202 offset0:26 offset1:27
	v_pk_add_f32 v[118:119], v[118:119], v[180:181] neg_lo:[0,1] neg_hi:[0,1]
	v_pk_add_f32 v[112:113], v[112:113], v[178:179] neg_lo:[0,1] neg_hi:[0,1]
	s_wait_dscnt 0x0
	v_dual_mul_f32 v178, v175, v173 :: v_dual_mul_f32 v180, v175, v170
	s_delay_alu instid0(VALU_DEP_1) | instskip(NEXT) | instid1(VALU_DEP_2)
	v_pk_fma_f32 v[178:179], v[174:175], v[78:79], v[178:179] op_sel_hi:[1,1,0] neg_lo:[0,0,1] neg_hi:[0,0,1]
	v_pk_fma_f32 v[174:175], v[174:175], v[78:79], v[180:181] op_sel:[1,0,0] op_sel_hi:[0,1,0]
	s_delay_alu instid0(VALU_DEP_1) | instskip(SKIP_1) | instid1(VALU_DEP_2)
	v_mov_b32_e32 v179, v175
	v_pk_mul_f32 v[174:175], v[176:177], v[172:173] op_sel:[0,1]
	v_pk_add_f32 v[116:117], v[116:117], v[178:179] neg_lo:[0,1] neg_hi:[0,1]
	s_delay_alu instid0(VALU_DEP_2) | instskip(SKIP_1) | instid1(VALU_DEP_1)
	v_pk_fma_f32 v[178:179], v[176:177], v[170:171], v[174:175] op_sel:[0,0,1] op_sel_hi:[1,1,0] neg_lo:[0,0,1] neg_hi:[0,0,1]
	v_pk_fma_f32 v[174:175], v[176:177], v[170:171], v[174:175] op_sel:[0,0,1] op_sel_hi:[1,0,0]
	v_mov_b32_e32 v179, v175
	ds_load_2addr_b64 v[174:177], v202 offset0:28 offset1:29
	v_pk_add_f32 v[110:111], v[110:111], v[178:179] neg_lo:[0,1] neg_hi:[0,1]
	s_wait_dscnt 0x0
	v_pk_mul_f32 v[178:179], v[174:175], v[172:173] op_sel:[0,1]
	s_delay_alu instid0(VALU_DEP_1) | instskip(SKIP_1) | instid1(VALU_DEP_1)
	v_pk_fma_f32 v[180:181], v[174:175], v[170:171], v[178:179] op_sel:[0,0,1] op_sel_hi:[1,1,0] neg_lo:[0,0,1] neg_hi:[0,0,1]
	v_pk_fma_f32 v[174:175], v[174:175], v[170:171], v[178:179] op_sel:[0,0,1] op_sel_hi:[1,0,0]
	v_mov_b32_e32 v181, v175
	v_pk_mul_f32 v[174:175], v[176:177], v[172:173] op_sel:[0,1]
	s_delay_alu instid0(VALU_DEP_2) | instskip(NEXT) | instid1(VALU_DEP_2)
	v_pk_add_f32 v[114:115], v[114:115], v[180:181] neg_lo:[0,1] neg_hi:[0,1]
	v_pk_fma_f32 v[178:179], v[176:177], v[170:171], v[174:175] op_sel:[0,0,1] op_sel_hi:[1,1,0] neg_lo:[0,0,1] neg_hi:[0,0,1]
	v_pk_fma_f32 v[174:175], v[176:177], v[170:171], v[174:175] op_sel:[0,0,1] op_sel_hi:[1,0,0]
	s_delay_alu instid0(VALU_DEP_1) | instskip(SKIP_4) | instid1(VALU_DEP_1)
	v_mov_b32_e32 v179, v175
	ds_load_2addr_b64 v[174:177], v202 offset0:30 offset1:31
	v_pk_add_f32 v[124:125], v[124:125], v[178:179] neg_lo:[0,1] neg_hi:[0,1]
	s_wait_dscnt 0x0
	v_pk_mul_f32 v[178:179], v[174:175], v[172:173] op_sel:[0,1]
	v_pk_fma_f32 v[180:181], v[174:175], v[170:171], v[178:179] op_sel:[0,0,1] op_sel_hi:[1,1,0] neg_lo:[0,0,1] neg_hi:[0,0,1]
	v_pk_fma_f32 v[174:175], v[174:175], v[170:171], v[178:179] op_sel:[0,0,1] op_sel_hi:[1,0,0]
	v_dual_mul_f32 v178, v177, v173 :: v_dual_mov_b32 v174, v177
	s_delay_alu instid0(VALU_DEP_2) | instskip(NEXT) | instid1(VALU_DEP_2)
	v_dual_mov_b32 v181, v175 :: v_dual_mov_b32 v175, v176
	v_pk_fma_f32 v[178:179], v[176:177], v[78:79], v[178:179] op_sel_hi:[1,1,0] neg_lo:[0,0,1] neg_hi:[0,0,1]
	v_mul_f32_e32 v176, v177, v170
	s_delay_alu instid0(VALU_DEP_3) | instskip(NEXT) | instid1(VALU_DEP_2)
	v_pk_add_f32 v[122:123], v[122:123], v[180:181] neg_lo:[0,1] neg_hi:[0,1]
	v_pk_fma_f32 v[174:175], v[174:175], v[78:79], v[176:177] op_sel_hi:[1,1,0]
	s_delay_alu instid0(VALU_DEP_1) | instskip(SKIP_4) | instid1(VALU_DEP_1)
	v_mov_b32_e32 v179, v175
	ds_load_b64 v[174:175], v202 offset:256
	v_pk_add_f32 v[120:121], v[120:121], v[178:179] neg_lo:[0,1] neg_hi:[0,1]
	s_wait_dscnt 0x0
	v_pk_mul_f32 v[172:173], v[174:175], v[172:173] op_sel:[0,1]
	v_pk_fma_f32 v[176:177], v[174:175], v[170:171], v[172:173] op_sel:[0,0,1] op_sel_hi:[1,1,0] neg_lo:[0,0,1] neg_hi:[0,0,1]
	v_pk_fma_f32 v[170:171], v[174:175], v[170:171], v[172:173] op_sel:[0,0,1] op_sel_hi:[1,0,0]
	s_delay_alu instid0(VALU_DEP_1) | instskip(NEXT) | instid1(VALU_DEP_1)
	v_mov_b32_e32 v177, v171
	v_pk_add_f32 v[130:131], v[130:131], v[176:177] neg_lo:[0,1] neg_hi:[0,1]
.LBB65_163:
	s_or_b32 exec_lo, exec_lo, s1
	s_delay_alu instid0(SALU_CYCLE_1)
	s_mov_b32 s2, exec_lo
	s_wait_dscnt 0x0
	s_barrier_signal -1
	s_barrier_wait -1
	v_cmpx_eq_u32_e32 18, v200
	s_cbranch_execz .LBB65_170
; %bb.164:
	ds_store_b64 v201, v[80:81]
	ds_store_2addr_b64 v202, v[76:77], v[98:99] offset0:19 offset1:20
	ds_store_2addr_b64 v202, v[132:133], v[128:129] offset0:21 offset1:22
	;; [unrolled: 1-line block ×7, first 2 shown]
	ds_load_b64 v[170:171], v201
	s_wait_dscnt 0x0
	v_cmp_neq_f32_e32 vcc_lo, 0, v170
	v_cmp_neq_f32_e64 s1, 0, v171
	s_or_b32 s1, vcc_lo, s1
	s_delay_alu instid0(SALU_CYCLE_1)
	s_and_b32 exec_lo, exec_lo, s1
	s_cbranch_execz .LBB65_170
; %bb.165:
	v_cmp_ngt_f32_e64 s1, |v170|, |v171|
                                        ; implicit-def: $vgpr172_vgpr173
	s_and_saveexec_b32 s4, s1
	s_delay_alu instid0(SALU_CYCLE_1)
	s_xor_b32 s1, exec_lo, s4
	s_cbranch_execz .LBB65_167
; %bb.166:
	v_div_scale_f32 v172, null, v171, v171, v170
	v_div_scale_f32 v175, vcc_lo, v170, v171, v170
	s_delay_alu instid0(VALU_DEP_2) | instskip(SKIP_1) | instid1(TRANS32_DEP_1)
	v_rcp_f32_e32 v173, v172
	v_nop
	v_fma_f32 v174, -v172, v173, 1.0
	s_delay_alu instid0(VALU_DEP_1) | instskip(NEXT) | instid1(VALU_DEP_1)
	v_fmac_f32_e32 v173, v174, v173
	v_mul_f32_e32 v174, v175, v173
	s_delay_alu instid0(VALU_DEP_1) | instskip(NEXT) | instid1(VALU_DEP_1)
	v_fma_f32 v176, -v172, v174, v175
	v_fmac_f32_e32 v174, v176, v173
	s_delay_alu instid0(VALU_DEP_1) | instskip(NEXT) | instid1(VALU_DEP_1)
	v_fma_f32 v172, -v172, v174, v175
	v_div_fmas_f32 v172, v172, v173, v174
	s_delay_alu instid0(VALU_DEP_1) | instskip(NEXT) | instid1(VALU_DEP_1)
	v_div_fixup_f32 v172, v172, v171, v170
	v_fmac_f32_e32 v171, v170, v172
	s_delay_alu instid0(VALU_DEP_1) | instskip(SKIP_1) | instid1(VALU_DEP_2)
	v_div_scale_f32 v170, null, v171, v171, 1.0
	v_div_scale_f32 v175, vcc_lo, 1.0, v171, 1.0
	v_rcp_f32_e32 v173, v170
	v_nop
	s_delay_alu instid0(TRANS32_DEP_1) | instskip(NEXT) | instid1(VALU_DEP_1)
	v_fma_f32 v174, -v170, v173, 1.0
	v_fmac_f32_e32 v173, v174, v173
	s_delay_alu instid0(VALU_DEP_1) | instskip(NEXT) | instid1(VALU_DEP_1)
	v_mul_f32_e32 v174, v175, v173
	v_fma_f32 v176, -v170, v174, v175
	s_delay_alu instid0(VALU_DEP_1) | instskip(NEXT) | instid1(VALU_DEP_1)
	v_fmac_f32_e32 v174, v176, v173
	v_fma_f32 v170, -v170, v174, v175
	s_delay_alu instid0(VALU_DEP_1) | instskip(NEXT) | instid1(VALU_DEP_1)
	v_div_fmas_f32 v170, v170, v173, v174
	v_div_fixup_f32 v170, v170, v171, 1.0
	s_delay_alu instid0(VALU_DEP_1)
	v_mul_f32_e32 v172, v172, v170
	v_xor_b32_e32 v173, 0x80000000, v170
                                        ; implicit-def: $vgpr170_vgpr171
.LBB65_167:
	s_and_not1_saveexec_b32 s1, s1
	s_cbranch_execz .LBB65_169
; %bb.168:
	v_div_scale_f32 v172, null, v170, v170, v171
	v_div_scale_f32 v175, vcc_lo, v171, v170, v171
	s_delay_alu instid0(VALU_DEP_2) | instskip(SKIP_1) | instid1(TRANS32_DEP_1)
	v_rcp_f32_e32 v173, v172
	v_nop
	v_fma_f32 v174, -v172, v173, 1.0
	s_delay_alu instid0(VALU_DEP_1) | instskip(NEXT) | instid1(VALU_DEP_1)
	v_fmac_f32_e32 v173, v174, v173
	v_mul_f32_e32 v174, v175, v173
	s_delay_alu instid0(VALU_DEP_1) | instskip(NEXT) | instid1(VALU_DEP_1)
	v_fma_f32 v176, -v172, v174, v175
	v_fmac_f32_e32 v174, v176, v173
	s_delay_alu instid0(VALU_DEP_1) | instskip(NEXT) | instid1(VALU_DEP_1)
	v_fma_f32 v172, -v172, v174, v175
	v_div_fmas_f32 v172, v172, v173, v174
	s_delay_alu instid0(VALU_DEP_1) | instskip(NEXT) | instid1(VALU_DEP_1)
	v_div_fixup_f32 v173, v172, v170, v171
	v_fmac_f32_e32 v170, v171, v173
	s_delay_alu instid0(VALU_DEP_1) | instskip(NEXT) | instid1(VALU_DEP_1)
	v_div_scale_f32 v171, null, v170, v170, 1.0
	v_rcp_f32_e32 v172, v171
	v_nop
	s_delay_alu instid0(TRANS32_DEP_1) | instskip(NEXT) | instid1(VALU_DEP_1)
	v_fma_f32 v174, -v171, v172, 1.0
	v_fmac_f32_e32 v172, v174, v172
	v_div_scale_f32 v174, vcc_lo, 1.0, v170, 1.0
	s_delay_alu instid0(VALU_DEP_1) | instskip(NEXT) | instid1(VALU_DEP_1)
	v_mul_f32_e32 v175, v174, v172
	v_fma_f32 v176, -v171, v175, v174
	s_delay_alu instid0(VALU_DEP_1) | instskip(NEXT) | instid1(VALU_DEP_1)
	v_fmac_f32_e32 v175, v176, v172
	v_fma_f32 v171, -v171, v175, v174
	s_delay_alu instid0(VALU_DEP_1) | instskip(NEXT) | instid1(VALU_DEP_1)
	v_div_fmas_f32 v171, v171, v172, v175
	v_div_fixup_f32 v172, v171, v170, 1.0
	s_delay_alu instid0(VALU_DEP_1)
	v_mul_f32_e64 v173, v173, -v172
.LBB65_169:
	s_or_b32 exec_lo, exec_lo, s1
	ds_store_b64 v201, v[172:173]
.LBB65_170:
	s_or_b32 exec_lo, exec_lo, s2
	s_wait_dscnt 0x0
	s_barrier_signal -1
	s_barrier_wait -1
	ds_load_b64 v[170:171], v201
	s_mov_b32 s1, exec_lo
	v_cmpx_lt_u32_e32 18, v200
	s_cbranch_execz .LBB65_172
; %bb.171:
	s_wait_dscnt 0x0
	v_pk_mul_f32 v[172:173], v[170:171], v[80:81] op_sel:[1,1] op_sel_hi:[0,1]
	s_delay_alu instid0(VALU_DEP_1)
	v_pk_fma_f32 v[176:177], v[170:171], v[80:81], v[172:173] op_sel_hi:[1,0,1] neg_lo:[0,0,1] neg_hi:[0,0,1]
	v_pk_fma_f32 v[178:179], v[170:171], v[80:81], v[172:173] op_sel_hi:[1,0,1]
	ds_load_2addr_b64 v[172:175], v202 offset0:19 offset1:20
	v_dual_mov_b32 v80, v176 :: v_dual_mov_b32 v81, v179
	s_wait_dscnt 0x0
	v_pk_mul_f32 v[180:181], v[172:173], v[178:179] op_sel:[0,1]
	s_delay_alu instid0(VALU_DEP_1) | instskip(SKIP_1) | instid1(VALU_DEP_1)
	v_pk_fma_f32 v[182:183], v[172:173], v[176:177], v[180:181] op_sel:[0,0,1] op_sel_hi:[1,1,0] neg_lo:[0,0,1] neg_hi:[0,0,1]
	v_pk_fma_f32 v[172:173], v[172:173], v[176:177], v[180:181] op_sel:[0,0,1] op_sel_hi:[1,0,0]
	v_mov_b32_e32 v183, v173
	v_pk_mul_f32 v[172:173], v[174:175], v[178:179] op_sel:[0,1]
	s_delay_alu instid0(VALU_DEP_1) | instskip(SKIP_1) | instid1(VALU_DEP_1)
	v_pk_fma_f32 v[180:181], v[174:175], v[176:177], v[172:173] op_sel:[0,0,1] op_sel_hi:[1,1,0] neg_lo:[0,0,1] neg_hi:[0,0,1]
	v_pk_fma_f32 v[172:173], v[174:175], v[176:177], v[172:173] op_sel:[0,0,1] op_sel_hi:[1,0,0]
	v_mov_b32_e32 v181, v173
	ds_load_2addr_b64 v[172:175], v202 offset0:21 offset1:22
	v_pk_add_f32 v[76:77], v[76:77], v[182:183] neg_lo:[0,1] neg_hi:[0,1]
	v_pk_add_f32 v[98:99], v[98:99], v[180:181] neg_lo:[0,1] neg_hi:[0,1]
	s_wait_dscnt 0x0
	v_pk_mul_f32 v[180:181], v[172:173], v[178:179] op_sel:[0,1]
	s_delay_alu instid0(VALU_DEP_1) | instskip(SKIP_2) | instid1(VALU_DEP_2)
	v_pk_fma_f32 v[182:183], v[172:173], v[176:177], v[180:181] op_sel:[0,0,1] op_sel_hi:[1,1,0] neg_lo:[0,0,1] neg_hi:[0,0,1]
	v_pk_fma_f32 v[172:173], v[172:173], v[176:177], v[180:181] op_sel:[0,0,1] op_sel_hi:[1,0,0]
	v_dual_mul_f32 v180, v175, v179 :: v_dual_mov_b32 v172, v175
	v_dual_mov_b32 v183, v173 :: v_dual_mov_b32 v173, v174
	s_delay_alu instid0(VALU_DEP_2) | instskip(SKIP_1) | instid1(VALU_DEP_3)
	v_pk_fma_f32 v[180:181], v[174:175], v[80:81], v[180:181] op_sel_hi:[1,1,0] neg_lo:[0,0,1] neg_hi:[0,0,1]
	v_mul_f32_e32 v174, v175, v176
	v_pk_add_f32 v[132:133], v[132:133], v[182:183] neg_lo:[0,1] neg_hi:[0,1]
	s_delay_alu instid0(VALU_DEP_2) | instskip(NEXT) | instid1(VALU_DEP_1)
	v_pk_fma_f32 v[172:173], v[172:173], v[80:81], v[174:175] op_sel_hi:[1,1,0]
	v_mov_b32_e32 v181, v173
	ds_load_2addr_b64 v[172:175], v202 offset0:23 offset1:24
	v_pk_add_f32 v[128:129], v[128:129], v[180:181] neg_lo:[0,1] neg_hi:[0,1]
	s_wait_dscnt 0x0
	v_pk_mul_f32 v[180:181], v[172:173], v[178:179] op_sel:[0,1]
	s_delay_alu instid0(VALU_DEP_1) | instskip(SKIP_1) | instid1(VALU_DEP_1)
	v_pk_fma_f32 v[182:183], v[172:173], v[176:177], v[180:181] op_sel:[0,0,1] op_sel_hi:[1,1,0] neg_lo:[0,0,1] neg_hi:[0,0,1]
	v_pk_fma_f32 v[172:173], v[172:173], v[176:177], v[180:181] op_sel:[0,0,1] op_sel_hi:[1,0,0]
	v_mov_b32_e32 v183, v173
	v_pk_mul_f32 v[172:173], v[174:175], v[178:179] op_sel:[0,1]
	s_delay_alu instid0(VALU_DEP_1) | instskip(SKIP_1) | instid1(VALU_DEP_1)
	v_pk_fma_f32 v[180:181], v[174:175], v[176:177], v[172:173] op_sel:[0,0,1] op_sel_hi:[1,1,0] neg_lo:[0,0,1] neg_hi:[0,0,1]
	v_pk_fma_f32 v[172:173], v[174:175], v[176:177], v[172:173] op_sel:[0,0,1] op_sel_hi:[1,0,0]
	v_mov_b32_e32 v181, v173
	ds_load_2addr_b64 v[172:175], v202 offset0:25 offset1:26
	v_pk_add_f32 v[126:127], v[126:127], v[182:183] neg_lo:[0,1] neg_hi:[0,1]
	v_pk_add_f32 v[118:119], v[118:119], v[180:181] neg_lo:[0,1] neg_hi:[0,1]
	s_wait_dscnt 0x0
	v_pk_mul_f32 v[180:181], v[172:173], v[178:179] op_sel:[0,1]
	s_delay_alu instid0(VALU_DEP_1) | instskip(SKIP_1) | instid1(VALU_DEP_1)
	v_pk_fma_f32 v[182:183], v[172:173], v[176:177], v[180:181] op_sel:[0,0,1] op_sel_hi:[1,1,0] neg_lo:[0,0,1] neg_hi:[0,0,1]
	v_pk_fma_f32 v[172:173], v[172:173], v[176:177], v[180:181] op_sel:[0,0,1] op_sel_hi:[1,0,0]
	v_mov_b32_e32 v183, v173
	v_pk_mul_f32 v[172:173], v[174:175], v[178:179] op_sel:[0,1]
	s_delay_alu instid0(VALU_DEP_1) | instskip(SKIP_1) | instid1(VALU_DEP_1)
	v_pk_fma_f32 v[180:181], v[174:175], v[176:177], v[172:173] op_sel:[0,0,1] op_sel_hi:[1,1,0] neg_lo:[0,0,1] neg_hi:[0,0,1]
	v_pk_fma_f32 v[172:173], v[174:175], v[176:177], v[172:173] op_sel:[0,0,1] op_sel_hi:[1,0,0]
	v_mov_b32_e32 v181, v173
	ds_load_2addr_b64 v[172:175], v202 offset0:27 offset1:28
	v_pk_add_f32 v[112:113], v[112:113], v[182:183] neg_lo:[0,1] neg_hi:[0,1]
	v_pk_add_f32 v[116:117], v[116:117], v[180:181] neg_lo:[0,1] neg_hi:[0,1]
	s_wait_dscnt 0x0
	v_dual_mul_f32 v180, v173, v179 :: v_dual_mul_f32 v182, v173, v176
	s_delay_alu instid0(VALU_DEP_1) | instskip(NEXT) | instid1(VALU_DEP_2)
	v_pk_fma_f32 v[180:181], v[172:173], v[80:81], v[180:181] op_sel_hi:[1,1,0] neg_lo:[0,0,1] neg_hi:[0,0,1]
	v_pk_fma_f32 v[172:173], v[172:173], v[80:81], v[182:183] op_sel:[1,0,0] op_sel_hi:[0,1,0]
	s_delay_alu instid0(VALU_DEP_1) | instskip(SKIP_1) | instid1(VALU_DEP_2)
	v_mov_b32_e32 v181, v173
	v_pk_mul_f32 v[172:173], v[174:175], v[178:179] op_sel:[0,1]
	v_pk_add_f32 v[110:111], v[110:111], v[180:181] neg_lo:[0,1] neg_hi:[0,1]
	s_delay_alu instid0(VALU_DEP_2) | instskip(SKIP_1) | instid1(VALU_DEP_1)
	v_pk_fma_f32 v[180:181], v[174:175], v[176:177], v[172:173] op_sel:[0,0,1] op_sel_hi:[1,1,0] neg_lo:[0,0,1] neg_hi:[0,0,1]
	v_pk_fma_f32 v[172:173], v[174:175], v[176:177], v[172:173] op_sel:[0,0,1] op_sel_hi:[1,0,0]
	v_mov_b32_e32 v181, v173
	ds_load_2addr_b64 v[172:175], v202 offset0:29 offset1:30
	v_pk_add_f32 v[114:115], v[114:115], v[180:181] neg_lo:[0,1] neg_hi:[0,1]
	s_wait_dscnt 0x0
	v_pk_mul_f32 v[180:181], v[172:173], v[178:179] op_sel:[0,1]
	s_delay_alu instid0(VALU_DEP_1) | instskip(SKIP_1) | instid1(VALU_DEP_1)
	v_pk_fma_f32 v[182:183], v[172:173], v[176:177], v[180:181] op_sel:[0,0,1] op_sel_hi:[1,1,0] neg_lo:[0,0,1] neg_hi:[0,0,1]
	v_pk_fma_f32 v[172:173], v[172:173], v[176:177], v[180:181] op_sel:[0,0,1] op_sel_hi:[1,0,0]
	v_mov_b32_e32 v183, v173
	v_pk_mul_f32 v[172:173], v[174:175], v[178:179] op_sel:[0,1]
	s_delay_alu instid0(VALU_DEP_2) | instskip(NEXT) | instid1(VALU_DEP_2)
	v_pk_add_f32 v[124:125], v[124:125], v[182:183] neg_lo:[0,1] neg_hi:[0,1]
	v_pk_fma_f32 v[180:181], v[174:175], v[176:177], v[172:173] op_sel:[0,0,1] op_sel_hi:[1,1,0] neg_lo:[0,0,1] neg_hi:[0,0,1]
	v_pk_fma_f32 v[172:173], v[174:175], v[176:177], v[172:173] op_sel:[0,0,1] op_sel_hi:[1,0,0]
	s_delay_alu instid0(VALU_DEP_1) | instskip(SKIP_4) | instid1(VALU_DEP_1)
	v_mov_b32_e32 v181, v173
	ds_load_2addr_b64 v[172:175], v202 offset0:31 offset1:32
	v_pk_add_f32 v[122:123], v[122:123], v[180:181] neg_lo:[0,1] neg_hi:[0,1]
	s_wait_dscnt 0x0
	v_pk_mul_f32 v[180:181], v[172:173], v[178:179] op_sel:[0,1]
	v_pk_fma_f32 v[182:183], v[172:173], v[176:177], v[180:181] op_sel:[0,0,1] op_sel_hi:[1,1,0] neg_lo:[0,0,1] neg_hi:[0,0,1]
	v_pk_fma_f32 v[172:173], v[172:173], v[176:177], v[180:181] op_sel:[0,0,1] op_sel_hi:[1,0,0]
	s_delay_alu instid0(VALU_DEP_1) | instskip(SKIP_1) | instid1(VALU_DEP_2)
	v_mov_b32_e32 v183, v173
	v_pk_mul_f32 v[172:173], v[174:175], v[178:179] op_sel:[0,1]
	v_pk_add_f32 v[120:121], v[120:121], v[182:183] neg_lo:[0,1] neg_hi:[0,1]
	s_delay_alu instid0(VALU_DEP_2) | instskip(SKIP_1) | instid1(VALU_DEP_1)
	v_pk_fma_f32 v[178:179], v[174:175], v[176:177], v[172:173] op_sel:[0,0,1] op_sel_hi:[1,1,0] neg_lo:[0,0,1] neg_hi:[0,0,1]
	v_pk_fma_f32 v[172:173], v[174:175], v[176:177], v[172:173] op_sel:[0,0,1] op_sel_hi:[1,0,0]
	v_mov_b32_e32 v179, v173
	s_delay_alu instid0(VALU_DEP_1)
	v_pk_add_f32 v[130:131], v[130:131], v[178:179] neg_lo:[0,1] neg_hi:[0,1]
.LBB65_172:
	s_or_b32 exec_lo, exec_lo, s1
	s_delay_alu instid0(SALU_CYCLE_1)
	s_mov_b32 s2, exec_lo
	s_wait_dscnt 0x0
	s_barrier_signal -1
	s_barrier_wait -1
	v_cmpx_eq_u32_e32 19, v200
	s_cbranch_execz .LBB65_179
; %bb.173:
	v_dual_mov_b32 v172, v98 :: v_dual_mov_b32 v173, v99
	v_dual_mov_b32 v174, v132 :: v_dual_mov_b32 v175, v133
	ds_store_b64 v201, v[76:77]
	ds_store_2addr_b64 v202, v[172:173], v[174:175] offset0:20 offset1:21
	v_dual_mov_b32 v172, v128 :: v_dual_mov_b32 v173, v129
	v_dual_mov_b32 v174, v126 :: v_dual_mov_b32 v175, v127
	ds_store_2addr_b64 v202, v[172:173], v[174:175] offset0:22 offset1:23
	v_dual_mov_b32 v172, v118 :: v_dual_mov_b32 v173, v119
	v_dual_mov_b32 v174, v112 :: v_dual_mov_b32 v175, v113
	;; [unrolled: 3-line block ×5, first 2 shown]
	ds_store_2addr_b64 v202, v[172:173], v[174:175] offset0:30 offset1:31
	ds_store_b64 v202, v[130:131] offset:256
	ds_load_b64 v[172:173], v201
	s_wait_dscnt 0x0
	v_cmp_neq_f32_e32 vcc_lo, 0, v172
	v_cmp_neq_f32_e64 s1, 0, v173
	s_or_b32 s1, vcc_lo, s1
	s_delay_alu instid0(SALU_CYCLE_1)
	s_and_b32 exec_lo, exec_lo, s1
	s_cbranch_execz .LBB65_179
; %bb.174:
	v_cmp_ngt_f32_e64 s1, |v172|, |v173|
                                        ; implicit-def: $vgpr174_vgpr175
	s_and_saveexec_b32 s4, s1
	s_delay_alu instid0(SALU_CYCLE_1)
	s_xor_b32 s1, exec_lo, s4
	s_cbranch_execz .LBB65_176
; %bb.175:
	v_div_scale_f32 v174, null, v173, v173, v172
	v_div_scale_f32 v177, vcc_lo, v172, v173, v172
	s_delay_alu instid0(VALU_DEP_2) | instskip(SKIP_1) | instid1(TRANS32_DEP_1)
	v_rcp_f32_e32 v175, v174
	v_nop
	v_fma_f32 v176, -v174, v175, 1.0
	s_delay_alu instid0(VALU_DEP_1) | instskip(NEXT) | instid1(VALU_DEP_1)
	v_fmac_f32_e32 v175, v176, v175
	v_mul_f32_e32 v176, v177, v175
	s_delay_alu instid0(VALU_DEP_1) | instskip(NEXT) | instid1(VALU_DEP_1)
	v_fma_f32 v178, -v174, v176, v177
	v_fmac_f32_e32 v176, v178, v175
	s_delay_alu instid0(VALU_DEP_1) | instskip(NEXT) | instid1(VALU_DEP_1)
	v_fma_f32 v174, -v174, v176, v177
	v_div_fmas_f32 v174, v174, v175, v176
	s_delay_alu instid0(VALU_DEP_1) | instskip(NEXT) | instid1(VALU_DEP_1)
	v_div_fixup_f32 v174, v174, v173, v172
	v_fmac_f32_e32 v173, v172, v174
	s_delay_alu instid0(VALU_DEP_1) | instskip(SKIP_1) | instid1(VALU_DEP_2)
	v_div_scale_f32 v172, null, v173, v173, 1.0
	v_div_scale_f32 v177, vcc_lo, 1.0, v173, 1.0
	v_rcp_f32_e32 v175, v172
	v_nop
	s_delay_alu instid0(TRANS32_DEP_1) | instskip(NEXT) | instid1(VALU_DEP_1)
	v_fma_f32 v176, -v172, v175, 1.0
	v_fmac_f32_e32 v175, v176, v175
	s_delay_alu instid0(VALU_DEP_1) | instskip(NEXT) | instid1(VALU_DEP_1)
	v_mul_f32_e32 v176, v177, v175
	v_fma_f32 v178, -v172, v176, v177
	s_delay_alu instid0(VALU_DEP_1) | instskip(NEXT) | instid1(VALU_DEP_1)
	v_fmac_f32_e32 v176, v178, v175
	v_fma_f32 v172, -v172, v176, v177
	s_delay_alu instid0(VALU_DEP_1) | instskip(NEXT) | instid1(VALU_DEP_1)
	v_div_fmas_f32 v172, v172, v175, v176
	v_div_fixup_f32 v172, v172, v173, 1.0
	s_delay_alu instid0(VALU_DEP_1)
	v_mul_f32_e32 v174, v174, v172
	v_xor_b32_e32 v175, 0x80000000, v172
                                        ; implicit-def: $vgpr172_vgpr173
.LBB65_176:
	s_and_not1_saveexec_b32 s1, s1
	s_cbranch_execz .LBB65_178
; %bb.177:
	v_div_scale_f32 v174, null, v172, v172, v173
	v_div_scale_f32 v177, vcc_lo, v173, v172, v173
	s_delay_alu instid0(VALU_DEP_2) | instskip(SKIP_1) | instid1(TRANS32_DEP_1)
	v_rcp_f32_e32 v175, v174
	v_nop
	v_fma_f32 v176, -v174, v175, 1.0
	s_delay_alu instid0(VALU_DEP_1) | instskip(NEXT) | instid1(VALU_DEP_1)
	v_fmac_f32_e32 v175, v176, v175
	v_mul_f32_e32 v176, v177, v175
	s_delay_alu instid0(VALU_DEP_1) | instskip(NEXT) | instid1(VALU_DEP_1)
	v_fma_f32 v178, -v174, v176, v177
	v_fmac_f32_e32 v176, v178, v175
	s_delay_alu instid0(VALU_DEP_1) | instskip(NEXT) | instid1(VALU_DEP_1)
	v_fma_f32 v174, -v174, v176, v177
	v_div_fmas_f32 v174, v174, v175, v176
	s_delay_alu instid0(VALU_DEP_1) | instskip(NEXT) | instid1(VALU_DEP_1)
	v_div_fixup_f32 v175, v174, v172, v173
	v_fmac_f32_e32 v172, v173, v175
	s_delay_alu instid0(VALU_DEP_1) | instskip(NEXT) | instid1(VALU_DEP_1)
	v_div_scale_f32 v173, null, v172, v172, 1.0
	v_rcp_f32_e32 v174, v173
	v_nop
	s_delay_alu instid0(TRANS32_DEP_1) | instskip(NEXT) | instid1(VALU_DEP_1)
	v_fma_f32 v176, -v173, v174, 1.0
	v_fmac_f32_e32 v174, v176, v174
	v_div_scale_f32 v176, vcc_lo, 1.0, v172, 1.0
	s_delay_alu instid0(VALU_DEP_1) | instskip(NEXT) | instid1(VALU_DEP_1)
	v_mul_f32_e32 v177, v176, v174
	v_fma_f32 v178, -v173, v177, v176
	s_delay_alu instid0(VALU_DEP_1) | instskip(NEXT) | instid1(VALU_DEP_1)
	v_fmac_f32_e32 v177, v178, v174
	v_fma_f32 v173, -v173, v177, v176
	s_delay_alu instid0(VALU_DEP_1) | instskip(NEXT) | instid1(VALU_DEP_1)
	v_div_fmas_f32 v173, v173, v174, v177
	v_div_fixup_f32 v174, v173, v172, 1.0
	s_delay_alu instid0(VALU_DEP_1)
	v_mul_f32_e64 v175, v175, -v174
.LBB65_178:
	s_or_b32 exec_lo, exec_lo, s1
	ds_store_b64 v201, v[174:175]
.LBB65_179:
	s_or_b32 exec_lo, exec_lo, s2
	s_wait_dscnt 0x0
	s_barrier_signal -1
	s_barrier_wait -1
	ds_load_b64 v[172:173], v201
	s_mov_b32 s1, exec_lo
	v_cmpx_lt_u32_e32 19, v200
	s_cbranch_execz .LBB65_181
; %bb.180:
	s_wait_dscnt 0x0
	v_pk_mul_f32 v[174:175], v[172:173], v[76:77] op_sel:[1,1] op_sel_hi:[0,1]
	s_delay_alu instid0(VALU_DEP_1)
	v_pk_fma_f32 v[178:179], v[172:173], v[76:77], v[174:175] op_sel_hi:[1,0,1] neg_lo:[0,0,1] neg_hi:[0,0,1]
	v_pk_fma_f32 v[180:181], v[172:173], v[76:77], v[174:175] op_sel_hi:[1,0,1]
	ds_load_2addr_b64 v[174:177], v202 offset0:20 offset1:21
	v_dual_mov_b32 v76, v178 :: v_dual_mov_b32 v77, v181
	s_wait_dscnt 0x0
	v_pk_mul_f32 v[182:183], v[174:175], v[180:181] op_sel:[0,1]
	s_delay_alu instid0(VALU_DEP_1) | instskip(SKIP_1) | instid1(VALU_DEP_1)
	v_pk_fma_f32 v[184:185], v[174:175], v[178:179], v[182:183] op_sel:[0,0,1] op_sel_hi:[1,1,0] neg_lo:[0,0,1] neg_hi:[0,0,1]
	v_pk_fma_f32 v[174:175], v[174:175], v[178:179], v[182:183] op_sel:[0,0,1] op_sel_hi:[1,0,0]
	v_mov_b32_e32 v185, v175
	v_pk_mul_f32 v[174:175], v[176:177], v[180:181] op_sel:[0,1]
	s_delay_alu instid0(VALU_DEP_1) | instskip(SKIP_1) | instid1(VALU_DEP_1)
	v_pk_fma_f32 v[182:183], v[176:177], v[178:179], v[174:175] op_sel:[0,0,1] op_sel_hi:[1,1,0] neg_lo:[0,0,1] neg_hi:[0,0,1]
	v_pk_fma_f32 v[174:175], v[176:177], v[178:179], v[174:175] op_sel:[0,0,1] op_sel_hi:[1,0,0]
	v_mov_b32_e32 v183, v175
	ds_load_2addr_b64 v[174:177], v202 offset0:22 offset1:23
	v_pk_add_f32 v[98:99], v[98:99], v[184:185] neg_lo:[0,1] neg_hi:[0,1]
	v_pk_add_f32 v[132:133], v[132:133], v[182:183] neg_lo:[0,1] neg_hi:[0,1]
	s_wait_dscnt 0x0
	v_pk_mul_f32 v[182:183], v[174:175], v[180:181] op_sel:[0,1]
	s_delay_alu instid0(VALU_DEP_1) | instskip(SKIP_2) | instid1(VALU_DEP_2)
	v_pk_fma_f32 v[184:185], v[174:175], v[178:179], v[182:183] op_sel:[0,0,1] op_sel_hi:[1,1,0] neg_lo:[0,0,1] neg_hi:[0,0,1]
	v_pk_fma_f32 v[174:175], v[174:175], v[178:179], v[182:183] op_sel:[0,0,1] op_sel_hi:[1,0,0]
	v_dual_mul_f32 v182, v177, v181 :: v_dual_mov_b32 v174, v177
	v_dual_mov_b32 v185, v175 :: v_dual_mov_b32 v175, v176
	s_delay_alu instid0(VALU_DEP_2) | instskip(SKIP_1) | instid1(VALU_DEP_3)
	v_pk_fma_f32 v[182:183], v[176:177], v[76:77], v[182:183] op_sel_hi:[1,1,0] neg_lo:[0,0,1] neg_hi:[0,0,1]
	v_mul_f32_e32 v176, v177, v178
	v_pk_add_f32 v[128:129], v[128:129], v[184:185] neg_lo:[0,1] neg_hi:[0,1]
	s_delay_alu instid0(VALU_DEP_2) | instskip(NEXT) | instid1(VALU_DEP_1)
	v_pk_fma_f32 v[174:175], v[174:175], v[76:77], v[176:177] op_sel_hi:[1,1,0]
	v_mov_b32_e32 v183, v175
	ds_load_2addr_b64 v[174:177], v202 offset0:24 offset1:25
	v_pk_add_f32 v[126:127], v[126:127], v[182:183] neg_lo:[0,1] neg_hi:[0,1]
	s_wait_dscnt 0x0
	v_pk_mul_f32 v[182:183], v[174:175], v[180:181] op_sel:[0,1]
	s_delay_alu instid0(VALU_DEP_1) | instskip(SKIP_1) | instid1(VALU_DEP_1)
	v_pk_fma_f32 v[184:185], v[174:175], v[178:179], v[182:183] op_sel:[0,0,1] op_sel_hi:[1,1,0] neg_lo:[0,0,1] neg_hi:[0,0,1]
	v_pk_fma_f32 v[174:175], v[174:175], v[178:179], v[182:183] op_sel:[0,0,1] op_sel_hi:[1,0,0]
	v_mov_b32_e32 v185, v175
	v_pk_mul_f32 v[174:175], v[176:177], v[180:181] op_sel:[0,1]
	s_delay_alu instid0(VALU_DEP_1) | instskip(SKIP_1) | instid1(VALU_DEP_1)
	v_pk_fma_f32 v[182:183], v[176:177], v[178:179], v[174:175] op_sel:[0,0,1] op_sel_hi:[1,1,0] neg_lo:[0,0,1] neg_hi:[0,0,1]
	v_pk_fma_f32 v[174:175], v[176:177], v[178:179], v[174:175] op_sel:[0,0,1] op_sel_hi:[1,0,0]
	v_mov_b32_e32 v183, v175
	ds_load_2addr_b64 v[174:177], v202 offset0:26 offset1:27
	v_pk_add_f32 v[118:119], v[118:119], v[184:185] neg_lo:[0,1] neg_hi:[0,1]
	v_pk_add_f32 v[112:113], v[112:113], v[182:183] neg_lo:[0,1] neg_hi:[0,1]
	s_wait_dscnt 0x0
	v_pk_mul_f32 v[182:183], v[174:175], v[180:181] op_sel:[0,1]
	s_delay_alu instid0(VALU_DEP_1) | instskip(SKIP_1) | instid1(VALU_DEP_1)
	v_pk_fma_f32 v[184:185], v[174:175], v[178:179], v[182:183] op_sel:[0,0,1] op_sel_hi:[1,1,0] neg_lo:[0,0,1] neg_hi:[0,0,1]
	v_pk_fma_f32 v[174:175], v[174:175], v[178:179], v[182:183] op_sel:[0,0,1] op_sel_hi:[1,0,0]
	v_mov_b32_e32 v185, v175
	v_pk_mul_f32 v[174:175], v[176:177], v[180:181] op_sel:[0,1]
	s_delay_alu instid0(VALU_DEP_1) | instskip(SKIP_1) | instid1(VALU_DEP_1)
	v_pk_fma_f32 v[182:183], v[176:177], v[178:179], v[174:175] op_sel:[0,0,1] op_sel_hi:[1,1,0] neg_lo:[0,0,1] neg_hi:[0,0,1]
	v_pk_fma_f32 v[174:175], v[176:177], v[178:179], v[174:175] op_sel:[0,0,1] op_sel_hi:[1,0,0]
	v_mov_b32_e32 v183, v175
	ds_load_2addr_b64 v[174:177], v202 offset0:28 offset1:29
	v_pk_add_f32 v[116:117], v[116:117], v[184:185] neg_lo:[0,1] neg_hi:[0,1]
	v_pk_add_f32 v[110:111], v[110:111], v[182:183] neg_lo:[0,1] neg_hi:[0,1]
	s_wait_dscnt 0x0
	v_dual_mul_f32 v182, v175, v181 :: v_dual_mul_f32 v184, v175, v178
	s_delay_alu instid0(VALU_DEP_1) | instskip(NEXT) | instid1(VALU_DEP_2)
	v_pk_fma_f32 v[182:183], v[174:175], v[76:77], v[182:183] op_sel_hi:[1,1,0] neg_lo:[0,0,1] neg_hi:[0,0,1]
	v_pk_fma_f32 v[174:175], v[174:175], v[76:77], v[184:185] op_sel:[1,0,0] op_sel_hi:[0,1,0]
	s_delay_alu instid0(VALU_DEP_1) | instskip(SKIP_1) | instid1(VALU_DEP_2)
	v_mov_b32_e32 v183, v175
	v_pk_mul_f32 v[174:175], v[176:177], v[180:181] op_sel:[0,1]
	v_pk_add_f32 v[114:115], v[114:115], v[182:183] neg_lo:[0,1] neg_hi:[0,1]
	s_delay_alu instid0(VALU_DEP_2) | instskip(SKIP_1) | instid1(VALU_DEP_1)
	v_pk_fma_f32 v[182:183], v[176:177], v[178:179], v[174:175] op_sel:[0,0,1] op_sel_hi:[1,1,0] neg_lo:[0,0,1] neg_hi:[0,0,1]
	v_pk_fma_f32 v[174:175], v[176:177], v[178:179], v[174:175] op_sel:[0,0,1] op_sel_hi:[1,0,0]
	v_mov_b32_e32 v183, v175
	ds_load_2addr_b64 v[174:177], v202 offset0:30 offset1:31
	v_pk_add_f32 v[124:125], v[124:125], v[182:183] neg_lo:[0,1] neg_hi:[0,1]
	s_wait_dscnt 0x0
	v_pk_mul_f32 v[182:183], v[174:175], v[180:181] op_sel:[0,1]
	s_delay_alu instid0(VALU_DEP_1) | instskip(SKIP_1) | instid1(VALU_DEP_1)
	v_pk_fma_f32 v[184:185], v[174:175], v[178:179], v[182:183] op_sel:[0,0,1] op_sel_hi:[1,1,0] neg_lo:[0,0,1] neg_hi:[0,0,1]
	v_pk_fma_f32 v[174:175], v[174:175], v[178:179], v[182:183] op_sel:[0,0,1] op_sel_hi:[1,0,0]
	v_mov_b32_e32 v185, v175
	v_pk_mul_f32 v[174:175], v[176:177], v[180:181] op_sel:[0,1]
	s_delay_alu instid0(VALU_DEP_2) | instskip(NEXT) | instid1(VALU_DEP_2)
	v_pk_add_f32 v[122:123], v[122:123], v[184:185] neg_lo:[0,1] neg_hi:[0,1]
	v_pk_fma_f32 v[182:183], v[176:177], v[178:179], v[174:175] op_sel:[0,0,1] op_sel_hi:[1,1,0] neg_lo:[0,0,1] neg_hi:[0,0,1]
	v_pk_fma_f32 v[174:175], v[176:177], v[178:179], v[174:175] op_sel:[0,0,1] op_sel_hi:[1,0,0]
	s_delay_alu instid0(VALU_DEP_1) | instskip(SKIP_4) | instid1(VALU_DEP_1)
	v_mov_b32_e32 v183, v175
	ds_load_b64 v[174:175], v202 offset:256
	v_pk_add_f32 v[120:121], v[120:121], v[182:183] neg_lo:[0,1] neg_hi:[0,1]
	s_wait_dscnt 0x0
	v_pk_mul_f32 v[176:177], v[174:175], v[180:181] op_sel:[0,1]
	v_pk_fma_f32 v[180:181], v[174:175], v[178:179], v[176:177] op_sel:[0,0,1] op_sel_hi:[1,1,0] neg_lo:[0,0,1] neg_hi:[0,0,1]
	v_pk_fma_f32 v[174:175], v[174:175], v[178:179], v[176:177] op_sel:[0,0,1] op_sel_hi:[1,0,0]
	s_delay_alu instid0(VALU_DEP_1) | instskip(NEXT) | instid1(VALU_DEP_1)
	v_mov_b32_e32 v181, v175
	v_pk_add_f32 v[130:131], v[130:131], v[180:181] neg_lo:[0,1] neg_hi:[0,1]
.LBB65_181:
	s_or_b32 exec_lo, exec_lo, s1
	s_delay_alu instid0(SALU_CYCLE_1)
	s_mov_b32 s2, exec_lo
	s_wait_dscnt 0x0
	s_barrier_signal -1
	s_barrier_wait -1
	v_cmpx_eq_u32_e32 20, v200
	s_cbranch_execz .LBB65_188
; %bb.182:
	ds_store_b64 v201, v[98:99]
	ds_store_2addr_b64 v202, v[132:133], v[128:129] offset0:21 offset1:22
	ds_store_2addr_b64 v202, v[126:127], v[118:119] offset0:23 offset1:24
	;; [unrolled: 1-line block ×6, first 2 shown]
	ds_load_b64 v[174:175], v201
	s_wait_dscnt 0x0
	v_cmp_neq_f32_e32 vcc_lo, 0, v174
	v_cmp_neq_f32_e64 s1, 0, v175
	s_or_b32 s1, vcc_lo, s1
	s_delay_alu instid0(SALU_CYCLE_1)
	s_and_b32 exec_lo, exec_lo, s1
	s_cbranch_execz .LBB65_188
; %bb.183:
	v_cmp_ngt_f32_e64 s1, |v174|, |v175|
                                        ; implicit-def: $vgpr176_vgpr177
	s_and_saveexec_b32 s4, s1
	s_delay_alu instid0(SALU_CYCLE_1)
	s_xor_b32 s1, exec_lo, s4
	s_cbranch_execz .LBB65_185
; %bb.184:
	v_div_scale_f32 v176, null, v175, v175, v174
	v_div_scale_f32 v179, vcc_lo, v174, v175, v174
	s_delay_alu instid0(VALU_DEP_2) | instskip(SKIP_1) | instid1(TRANS32_DEP_1)
	v_rcp_f32_e32 v177, v176
	v_nop
	v_fma_f32 v178, -v176, v177, 1.0
	s_delay_alu instid0(VALU_DEP_1) | instskip(NEXT) | instid1(VALU_DEP_1)
	v_fmac_f32_e32 v177, v178, v177
	v_mul_f32_e32 v178, v179, v177
	s_delay_alu instid0(VALU_DEP_1) | instskip(NEXT) | instid1(VALU_DEP_1)
	v_fma_f32 v180, -v176, v178, v179
	v_fmac_f32_e32 v178, v180, v177
	s_delay_alu instid0(VALU_DEP_1) | instskip(NEXT) | instid1(VALU_DEP_1)
	v_fma_f32 v176, -v176, v178, v179
	v_div_fmas_f32 v176, v176, v177, v178
	s_delay_alu instid0(VALU_DEP_1) | instskip(NEXT) | instid1(VALU_DEP_1)
	v_div_fixup_f32 v176, v176, v175, v174
	v_fmac_f32_e32 v175, v174, v176
	s_delay_alu instid0(VALU_DEP_1) | instskip(SKIP_1) | instid1(VALU_DEP_2)
	v_div_scale_f32 v174, null, v175, v175, 1.0
	v_div_scale_f32 v179, vcc_lo, 1.0, v175, 1.0
	v_rcp_f32_e32 v177, v174
	v_nop
	s_delay_alu instid0(TRANS32_DEP_1) | instskip(NEXT) | instid1(VALU_DEP_1)
	v_fma_f32 v178, -v174, v177, 1.0
	v_fmac_f32_e32 v177, v178, v177
	s_delay_alu instid0(VALU_DEP_1) | instskip(NEXT) | instid1(VALU_DEP_1)
	v_mul_f32_e32 v178, v179, v177
	v_fma_f32 v180, -v174, v178, v179
	s_delay_alu instid0(VALU_DEP_1) | instskip(NEXT) | instid1(VALU_DEP_1)
	v_fmac_f32_e32 v178, v180, v177
	v_fma_f32 v174, -v174, v178, v179
	s_delay_alu instid0(VALU_DEP_1) | instskip(NEXT) | instid1(VALU_DEP_1)
	v_div_fmas_f32 v174, v174, v177, v178
	v_div_fixup_f32 v174, v174, v175, 1.0
	s_delay_alu instid0(VALU_DEP_1)
	v_mul_f32_e32 v176, v176, v174
	v_xor_b32_e32 v177, 0x80000000, v174
                                        ; implicit-def: $vgpr174_vgpr175
.LBB65_185:
	s_and_not1_saveexec_b32 s1, s1
	s_cbranch_execz .LBB65_187
; %bb.186:
	v_div_scale_f32 v176, null, v174, v174, v175
	v_div_scale_f32 v179, vcc_lo, v175, v174, v175
	s_delay_alu instid0(VALU_DEP_2) | instskip(SKIP_1) | instid1(TRANS32_DEP_1)
	v_rcp_f32_e32 v177, v176
	v_nop
	v_fma_f32 v178, -v176, v177, 1.0
	s_delay_alu instid0(VALU_DEP_1) | instskip(NEXT) | instid1(VALU_DEP_1)
	v_fmac_f32_e32 v177, v178, v177
	v_mul_f32_e32 v178, v179, v177
	s_delay_alu instid0(VALU_DEP_1) | instskip(NEXT) | instid1(VALU_DEP_1)
	v_fma_f32 v180, -v176, v178, v179
	v_fmac_f32_e32 v178, v180, v177
	s_delay_alu instid0(VALU_DEP_1) | instskip(NEXT) | instid1(VALU_DEP_1)
	v_fma_f32 v176, -v176, v178, v179
	v_div_fmas_f32 v176, v176, v177, v178
	s_delay_alu instid0(VALU_DEP_1) | instskip(NEXT) | instid1(VALU_DEP_1)
	v_div_fixup_f32 v177, v176, v174, v175
	v_fmac_f32_e32 v174, v175, v177
	s_delay_alu instid0(VALU_DEP_1) | instskip(NEXT) | instid1(VALU_DEP_1)
	v_div_scale_f32 v175, null, v174, v174, 1.0
	v_rcp_f32_e32 v176, v175
	v_nop
	s_delay_alu instid0(TRANS32_DEP_1) | instskip(NEXT) | instid1(VALU_DEP_1)
	v_fma_f32 v178, -v175, v176, 1.0
	v_fmac_f32_e32 v176, v178, v176
	v_div_scale_f32 v178, vcc_lo, 1.0, v174, 1.0
	s_delay_alu instid0(VALU_DEP_1) | instskip(NEXT) | instid1(VALU_DEP_1)
	v_mul_f32_e32 v179, v178, v176
	v_fma_f32 v180, -v175, v179, v178
	s_delay_alu instid0(VALU_DEP_1) | instskip(NEXT) | instid1(VALU_DEP_1)
	v_fmac_f32_e32 v179, v180, v176
	v_fma_f32 v175, -v175, v179, v178
	s_delay_alu instid0(VALU_DEP_1) | instskip(NEXT) | instid1(VALU_DEP_1)
	v_div_fmas_f32 v175, v175, v176, v179
	v_div_fixup_f32 v176, v175, v174, 1.0
	s_delay_alu instid0(VALU_DEP_1)
	v_mul_f32_e64 v177, v177, -v176
.LBB65_187:
	s_or_b32 exec_lo, exec_lo, s1
	ds_store_b64 v201, v[176:177]
.LBB65_188:
	s_or_b32 exec_lo, exec_lo, s2
	s_wait_dscnt 0x0
	s_barrier_signal -1
	s_barrier_wait -1
	ds_load_b64 v[174:175], v201
	s_mov_b32 s1, exec_lo
	v_cmpx_lt_u32_e32 20, v200
	s_cbranch_execz .LBB65_190
; %bb.189:
	s_wait_dscnt 0x0
	v_pk_mul_f32 v[176:177], v[174:175], v[98:99] op_sel:[1,1] op_sel_hi:[0,1]
	s_delay_alu instid0(VALU_DEP_1)
	v_pk_fma_f32 v[180:181], v[174:175], v[98:99], v[176:177] op_sel_hi:[1,0,1] neg_lo:[0,0,1] neg_hi:[0,0,1]
	v_pk_fma_f32 v[182:183], v[174:175], v[98:99], v[176:177] op_sel_hi:[1,0,1]
	ds_load_2addr_b64 v[176:179], v202 offset0:21 offset1:22
	v_dual_mov_b32 v98, v180 :: v_dual_mov_b32 v99, v183
	s_wait_dscnt 0x0
	v_pk_mul_f32 v[184:185], v[176:177], v[182:183] op_sel:[0,1]
	s_delay_alu instid0(VALU_DEP_1) | instskip(SKIP_1) | instid1(VALU_DEP_1)
	v_pk_fma_f32 v[186:187], v[176:177], v[180:181], v[184:185] op_sel:[0,0,1] op_sel_hi:[1,1,0] neg_lo:[0,0,1] neg_hi:[0,0,1]
	v_pk_fma_f32 v[176:177], v[176:177], v[180:181], v[184:185] op_sel:[0,0,1] op_sel_hi:[1,0,0]
	v_mov_b32_e32 v187, v177
	v_pk_mul_f32 v[176:177], v[178:179], v[182:183] op_sel:[0,1]
	s_delay_alu instid0(VALU_DEP_1) | instskip(SKIP_1) | instid1(VALU_DEP_1)
	v_pk_fma_f32 v[184:185], v[178:179], v[180:181], v[176:177] op_sel:[0,0,1] op_sel_hi:[1,1,0] neg_lo:[0,0,1] neg_hi:[0,0,1]
	v_pk_fma_f32 v[176:177], v[178:179], v[180:181], v[176:177] op_sel:[0,0,1] op_sel_hi:[1,0,0]
	v_mov_b32_e32 v185, v177
	ds_load_2addr_b64 v[176:179], v202 offset0:23 offset1:24
	v_pk_add_f32 v[132:133], v[132:133], v[186:187] neg_lo:[0,1] neg_hi:[0,1]
	v_pk_add_f32 v[128:129], v[128:129], v[184:185] neg_lo:[0,1] neg_hi:[0,1]
	s_wait_dscnt 0x0
	v_pk_mul_f32 v[184:185], v[176:177], v[182:183] op_sel:[0,1]
	s_delay_alu instid0(VALU_DEP_1) | instskip(SKIP_2) | instid1(VALU_DEP_2)
	v_pk_fma_f32 v[186:187], v[176:177], v[180:181], v[184:185] op_sel:[0,0,1] op_sel_hi:[1,1,0] neg_lo:[0,0,1] neg_hi:[0,0,1]
	v_pk_fma_f32 v[176:177], v[176:177], v[180:181], v[184:185] op_sel:[0,0,1] op_sel_hi:[1,0,0]
	v_dual_mul_f32 v184, v179, v183 :: v_dual_mov_b32 v176, v179
	v_dual_mov_b32 v187, v177 :: v_dual_mov_b32 v177, v178
	s_delay_alu instid0(VALU_DEP_2) | instskip(SKIP_1) | instid1(VALU_DEP_3)
	v_pk_fma_f32 v[184:185], v[178:179], v[98:99], v[184:185] op_sel_hi:[1,1,0] neg_lo:[0,0,1] neg_hi:[0,0,1]
	v_mul_f32_e32 v178, v179, v180
	v_pk_add_f32 v[126:127], v[126:127], v[186:187] neg_lo:[0,1] neg_hi:[0,1]
	s_delay_alu instid0(VALU_DEP_2) | instskip(NEXT) | instid1(VALU_DEP_1)
	v_pk_fma_f32 v[176:177], v[176:177], v[98:99], v[178:179] op_sel_hi:[1,1,0]
	v_mov_b32_e32 v185, v177
	ds_load_2addr_b64 v[176:179], v202 offset0:25 offset1:26
	v_pk_add_f32 v[118:119], v[118:119], v[184:185] neg_lo:[0,1] neg_hi:[0,1]
	s_wait_dscnt 0x0
	v_pk_mul_f32 v[184:185], v[176:177], v[182:183] op_sel:[0,1]
	s_delay_alu instid0(VALU_DEP_1) | instskip(SKIP_1) | instid1(VALU_DEP_1)
	v_pk_fma_f32 v[186:187], v[176:177], v[180:181], v[184:185] op_sel:[0,0,1] op_sel_hi:[1,1,0] neg_lo:[0,0,1] neg_hi:[0,0,1]
	v_pk_fma_f32 v[176:177], v[176:177], v[180:181], v[184:185] op_sel:[0,0,1] op_sel_hi:[1,0,0]
	v_mov_b32_e32 v187, v177
	v_pk_mul_f32 v[176:177], v[178:179], v[182:183] op_sel:[0,1]
	s_delay_alu instid0(VALU_DEP_1) | instskip(SKIP_1) | instid1(VALU_DEP_1)
	v_pk_fma_f32 v[184:185], v[178:179], v[180:181], v[176:177] op_sel:[0,0,1] op_sel_hi:[1,1,0] neg_lo:[0,0,1] neg_hi:[0,0,1]
	v_pk_fma_f32 v[176:177], v[178:179], v[180:181], v[176:177] op_sel:[0,0,1] op_sel_hi:[1,0,0]
	v_mov_b32_e32 v185, v177
	ds_load_2addr_b64 v[176:179], v202 offset0:27 offset1:28
	v_pk_add_f32 v[112:113], v[112:113], v[186:187] neg_lo:[0,1] neg_hi:[0,1]
	v_pk_add_f32 v[116:117], v[116:117], v[184:185] neg_lo:[0,1] neg_hi:[0,1]
	s_wait_dscnt 0x0
	v_pk_mul_f32 v[184:185], v[176:177], v[182:183] op_sel:[0,1]
	s_delay_alu instid0(VALU_DEP_1) | instskip(SKIP_1) | instid1(VALU_DEP_1)
	v_pk_fma_f32 v[186:187], v[176:177], v[180:181], v[184:185] op_sel:[0,0,1] op_sel_hi:[1,1,0] neg_lo:[0,0,1] neg_hi:[0,0,1]
	v_pk_fma_f32 v[176:177], v[176:177], v[180:181], v[184:185] op_sel:[0,0,1] op_sel_hi:[1,0,0]
	v_mov_b32_e32 v187, v177
	v_pk_mul_f32 v[176:177], v[178:179], v[182:183] op_sel:[0,1]
	s_delay_alu instid0(VALU_DEP_1) | instskip(SKIP_1) | instid1(VALU_DEP_1)
	v_pk_fma_f32 v[184:185], v[178:179], v[180:181], v[176:177] op_sel:[0,0,1] op_sel_hi:[1,1,0] neg_lo:[0,0,1] neg_hi:[0,0,1]
	v_pk_fma_f32 v[176:177], v[178:179], v[180:181], v[176:177] op_sel:[0,0,1] op_sel_hi:[1,0,0]
	v_mov_b32_e32 v185, v177
	ds_load_2addr_b64 v[176:179], v202 offset0:29 offset1:30
	v_pk_add_f32 v[110:111], v[110:111], v[186:187] neg_lo:[0,1] neg_hi:[0,1]
	v_pk_add_f32 v[114:115], v[114:115], v[184:185] neg_lo:[0,1] neg_hi:[0,1]
	s_wait_dscnt 0x0
	v_dual_mul_f32 v184, v177, v183 :: v_dual_mul_f32 v186, v177, v180
	s_delay_alu instid0(VALU_DEP_1) | instskip(NEXT) | instid1(VALU_DEP_2)
	v_pk_fma_f32 v[184:185], v[176:177], v[98:99], v[184:185] op_sel_hi:[1,1,0] neg_lo:[0,0,1] neg_hi:[0,0,1]
	v_pk_fma_f32 v[176:177], v[176:177], v[98:99], v[186:187] op_sel:[1,0,0] op_sel_hi:[0,1,0]
	s_delay_alu instid0(VALU_DEP_1) | instskip(SKIP_1) | instid1(VALU_DEP_2)
	v_mov_b32_e32 v185, v177
	v_pk_mul_f32 v[176:177], v[178:179], v[182:183] op_sel:[0,1]
	v_pk_add_f32 v[124:125], v[124:125], v[184:185] neg_lo:[0,1] neg_hi:[0,1]
	s_delay_alu instid0(VALU_DEP_2) | instskip(SKIP_1) | instid1(VALU_DEP_1)
	v_pk_fma_f32 v[184:185], v[178:179], v[180:181], v[176:177] op_sel:[0,0,1] op_sel_hi:[1,1,0] neg_lo:[0,0,1] neg_hi:[0,0,1]
	v_pk_fma_f32 v[176:177], v[178:179], v[180:181], v[176:177] op_sel:[0,0,1] op_sel_hi:[1,0,0]
	v_mov_b32_e32 v185, v177
	ds_load_2addr_b64 v[176:179], v202 offset0:31 offset1:32
	v_pk_add_f32 v[122:123], v[122:123], v[184:185] neg_lo:[0,1] neg_hi:[0,1]
	s_wait_dscnt 0x0
	v_pk_mul_f32 v[184:185], v[176:177], v[182:183] op_sel:[0,1]
	v_mul_f32_e32 v182, v179, v183
	s_delay_alu instid0(VALU_DEP_2) | instskip(SKIP_2) | instid1(VALU_DEP_4)
	v_pk_fma_f32 v[186:187], v[176:177], v[180:181], v[184:185] op_sel:[0,0,1] op_sel_hi:[1,1,0] neg_lo:[0,0,1] neg_hi:[0,0,1]
	v_pk_fma_f32 v[176:177], v[176:177], v[180:181], v[184:185] op_sel:[0,0,1] op_sel_hi:[1,0,0]
	v_mov_b32_e32 v176, v179
	v_pk_fma_f32 v[182:183], v[178:179], v[98:99], v[182:183] op_sel_hi:[1,1,0] neg_lo:[0,0,1] neg_hi:[0,0,1]
	s_delay_alu instid0(VALU_DEP_3) | instskip(SKIP_1) | instid1(VALU_DEP_2)
	v_dual_mov_b32 v187, v177 :: v_dual_mov_b32 v177, v178
	v_mul_f32_e32 v178, v179, v180
	v_pk_add_f32 v[120:121], v[120:121], v[186:187] neg_lo:[0,1] neg_hi:[0,1]
	s_delay_alu instid0(VALU_DEP_2) | instskip(NEXT) | instid1(VALU_DEP_1)
	v_pk_fma_f32 v[176:177], v[176:177], v[98:99], v[178:179] op_sel_hi:[1,1,0]
	v_mov_b32_e32 v183, v177
	s_delay_alu instid0(VALU_DEP_1)
	v_pk_add_f32 v[130:131], v[130:131], v[182:183] neg_lo:[0,1] neg_hi:[0,1]
.LBB65_190:
	s_or_b32 exec_lo, exec_lo, s1
	s_delay_alu instid0(SALU_CYCLE_1)
	s_mov_b32 s2, exec_lo
	s_wait_dscnt 0x0
	s_barrier_signal -1
	s_barrier_wait -1
	v_cmpx_eq_u32_e32 21, v200
	s_cbranch_execz .LBB65_197
; %bb.191:
	v_dual_mov_b32 v176, v128 :: v_dual_mov_b32 v177, v129
	v_dual_mov_b32 v178, v126 :: v_dual_mov_b32 v179, v127
	ds_store_b64 v201, v[132:133]
	ds_store_2addr_b64 v202, v[176:177], v[178:179] offset0:22 offset1:23
	v_dual_mov_b32 v176, v118 :: v_dual_mov_b32 v177, v119
	v_dual_mov_b32 v178, v112 :: v_dual_mov_b32 v179, v113
	ds_store_2addr_b64 v202, v[176:177], v[178:179] offset0:24 offset1:25
	v_dual_mov_b32 v176, v116 :: v_dual_mov_b32 v177, v117
	v_dual_mov_b32 v178, v110 :: v_dual_mov_b32 v179, v111
	;; [unrolled: 3-line block ×4, first 2 shown]
	ds_store_2addr_b64 v202, v[176:177], v[178:179] offset0:30 offset1:31
	ds_store_b64 v202, v[130:131] offset:256
	ds_load_b64 v[176:177], v201
	s_wait_dscnt 0x0
	v_cmp_neq_f32_e32 vcc_lo, 0, v176
	v_cmp_neq_f32_e64 s1, 0, v177
	s_or_b32 s1, vcc_lo, s1
	s_delay_alu instid0(SALU_CYCLE_1)
	s_and_b32 exec_lo, exec_lo, s1
	s_cbranch_execz .LBB65_197
; %bb.192:
	v_cmp_ngt_f32_e64 s1, |v176|, |v177|
                                        ; implicit-def: $vgpr178_vgpr179
	s_and_saveexec_b32 s4, s1
	s_delay_alu instid0(SALU_CYCLE_1)
	s_xor_b32 s1, exec_lo, s4
	s_cbranch_execz .LBB65_194
; %bb.193:
	v_div_scale_f32 v178, null, v177, v177, v176
	v_div_scale_f32 v181, vcc_lo, v176, v177, v176
	s_delay_alu instid0(VALU_DEP_2) | instskip(SKIP_1) | instid1(TRANS32_DEP_1)
	v_rcp_f32_e32 v179, v178
	v_nop
	v_fma_f32 v180, -v178, v179, 1.0
	s_delay_alu instid0(VALU_DEP_1) | instskip(NEXT) | instid1(VALU_DEP_1)
	v_fmac_f32_e32 v179, v180, v179
	v_mul_f32_e32 v180, v181, v179
	s_delay_alu instid0(VALU_DEP_1) | instskip(NEXT) | instid1(VALU_DEP_1)
	v_fma_f32 v182, -v178, v180, v181
	v_fmac_f32_e32 v180, v182, v179
	s_delay_alu instid0(VALU_DEP_1) | instskip(NEXT) | instid1(VALU_DEP_1)
	v_fma_f32 v178, -v178, v180, v181
	v_div_fmas_f32 v178, v178, v179, v180
	s_delay_alu instid0(VALU_DEP_1) | instskip(NEXT) | instid1(VALU_DEP_1)
	v_div_fixup_f32 v178, v178, v177, v176
	v_fmac_f32_e32 v177, v176, v178
	s_delay_alu instid0(VALU_DEP_1) | instskip(SKIP_1) | instid1(VALU_DEP_2)
	v_div_scale_f32 v176, null, v177, v177, 1.0
	v_div_scale_f32 v181, vcc_lo, 1.0, v177, 1.0
	v_rcp_f32_e32 v179, v176
	v_nop
	s_delay_alu instid0(TRANS32_DEP_1) | instskip(NEXT) | instid1(VALU_DEP_1)
	v_fma_f32 v180, -v176, v179, 1.0
	v_fmac_f32_e32 v179, v180, v179
	s_delay_alu instid0(VALU_DEP_1) | instskip(NEXT) | instid1(VALU_DEP_1)
	v_mul_f32_e32 v180, v181, v179
	v_fma_f32 v182, -v176, v180, v181
	s_delay_alu instid0(VALU_DEP_1) | instskip(NEXT) | instid1(VALU_DEP_1)
	v_fmac_f32_e32 v180, v182, v179
	v_fma_f32 v176, -v176, v180, v181
	s_delay_alu instid0(VALU_DEP_1) | instskip(NEXT) | instid1(VALU_DEP_1)
	v_div_fmas_f32 v176, v176, v179, v180
	v_div_fixup_f32 v176, v176, v177, 1.0
	s_delay_alu instid0(VALU_DEP_1)
	v_mul_f32_e32 v178, v178, v176
	v_xor_b32_e32 v179, 0x80000000, v176
                                        ; implicit-def: $vgpr176_vgpr177
.LBB65_194:
	s_and_not1_saveexec_b32 s1, s1
	s_cbranch_execz .LBB65_196
; %bb.195:
	v_div_scale_f32 v178, null, v176, v176, v177
	v_div_scale_f32 v181, vcc_lo, v177, v176, v177
	s_delay_alu instid0(VALU_DEP_2) | instskip(SKIP_1) | instid1(TRANS32_DEP_1)
	v_rcp_f32_e32 v179, v178
	v_nop
	v_fma_f32 v180, -v178, v179, 1.0
	s_delay_alu instid0(VALU_DEP_1) | instskip(NEXT) | instid1(VALU_DEP_1)
	v_fmac_f32_e32 v179, v180, v179
	v_mul_f32_e32 v180, v181, v179
	s_delay_alu instid0(VALU_DEP_1) | instskip(NEXT) | instid1(VALU_DEP_1)
	v_fma_f32 v182, -v178, v180, v181
	v_fmac_f32_e32 v180, v182, v179
	s_delay_alu instid0(VALU_DEP_1) | instskip(NEXT) | instid1(VALU_DEP_1)
	v_fma_f32 v178, -v178, v180, v181
	v_div_fmas_f32 v178, v178, v179, v180
	s_delay_alu instid0(VALU_DEP_1) | instskip(NEXT) | instid1(VALU_DEP_1)
	v_div_fixup_f32 v179, v178, v176, v177
	v_fmac_f32_e32 v176, v177, v179
	s_delay_alu instid0(VALU_DEP_1) | instskip(NEXT) | instid1(VALU_DEP_1)
	v_div_scale_f32 v177, null, v176, v176, 1.0
	v_rcp_f32_e32 v178, v177
	v_nop
	s_delay_alu instid0(TRANS32_DEP_1) | instskip(NEXT) | instid1(VALU_DEP_1)
	v_fma_f32 v180, -v177, v178, 1.0
	v_fmac_f32_e32 v178, v180, v178
	v_div_scale_f32 v180, vcc_lo, 1.0, v176, 1.0
	s_delay_alu instid0(VALU_DEP_1) | instskip(NEXT) | instid1(VALU_DEP_1)
	v_mul_f32_e32 v181, v180, v178
	v_fma_f32 v182, -v177, v181, v180
	s_delay_alu instid0(VALU_DEP_1) | instskip(NEXT) | instid1(VALU_DEP_1)
	v_fmac_f32_e32 v181, v182, v178
	v_fma_f32 v177, -v177, v181, v180
	s_delay_alu instid0(VALU_DEP_1) | instskip(NEXT) | instid1(VALU_DEP_1)
	v_div_fmas_f32 v177, v177, v178, v181
	v_div_fixup_f32 v178, v177, v176, 1.0
	s_delay_alu instid0(VALU_DEP_1)
	v_mul_f32_e64 v179, v179, -v178
.LBB65_196:
	s_or_b32 exec_lo, exec_lo, s1
	ds_store_b64 v201, v[178:179]
.LBB65_197:
	s_or_b32 exec_lo, exec_lo, s2
	s_wait_dscnt 0x0
	s_barrier_signal -1
	s_barrier_wait -1
	ds_load_b64 v[176:177], v201
	s_mov_b32 s1, exec_lo
	v_cmpx_lt_u32_e32 21, v200
	s_cbranch_execz .LBB65_199
; %bb.198:
	ds_load_2addr_b64 v[178:181], v202 offset0:22 offset1:23
	ds_load_2addr_b64 v[182:185], v202 offset0:24 offset1:25
	;; [unrolled: 1-line block ×3, first 2 shown]
	s_wait_dscnt 0x3
	v_pk_mul_f32 v[190:191], v[176:177], v[132:133] op_sel:[1,1] op_sel_hi:[0,1]
	s_delay_alu instid0(VALU_DEP_1)
	v_pk_fma_f32 v[198:199], v[176:177], v[132:133], v[190:191] op_sel_hi:[1,0,1] neg_lo:[0,0,1] neg_hi:[0,0,1]
	v_pk_fma_f32 v[204:205], v[176:177], v[132:133], v[190:191] op_sel_hi:[1,0,1]
	ds_load_2addr_b64 v[190:193], v202 offset0:28 offset1:29
	ds_load_2addr_b64 v[194:197], v202 offset0:30 offset1:31
	ds_load_b64 v[206:207], v202 offset:256
	v_dual_mov_b32 v132, v198 :: v_dual_mov_b32 v133, v205
	s_wait_dscnt 0x5
	v_pk_mul_f32 v[208:209], v[178:179], v[204:205] op_sel:[0,1]
	v_pk_mul_f32 v[210:211], v[180:181], v[204:205] op_sel:[0,1]
	s_wait_dscnt 0x4
	v_pk_mul_f32 v[212:213], v[182:183], v[204:205] op_sel:[0,1]
	v_dual_mov_b32 v214, v185 :: v_dual_mov_b32 v215, v184
	v_dual_mul_f32 v216, v185, v205 :: v_dual_mul_f32 v218, v185, v198
	s_wait_dscnt 0x3
	v_pk_mul_f32 v[220:221], v[186:187], v[204:205] op_sel:[0,1]
	v_pk_fma_f32 v[224:225], v[178:179], v[198:199], v[208:209] op_sel:[0,0,1] op_sel_hi:[1,1,0] neg_lo:[0,0,1] neg_hi:[0,0,1]
	v_pk_fma_f32 v[178:179], v[178:179], v[198:199], v[208:209] op_sel:[0,0,1] op_sel_hi:[1,0,0]
	v_pk_mul_f32 v[222:223], v[188:189], v[204:205] op_sel:[0,1]
	v_pk_fma_f32 v[208:209], v[180:181], v[198:199], v[210:211] op_sel:[0,0,1] op_sel_hi:[1,1,0] neg_lo:[0,0,1] neg_hi:[0,0,1]
	v_pk_fma_f32 v[180:181], v[180:181], v[198:199], v[210:211] op_sel:[0,0,1] op_sel_hi:[1,0,0]
	v_pk_fma_f32 v[210:211], v[182:183], v[198:199], v[212:213] op_sel:[0,0,1] op_sel_hi:[1,1,0] neg_lo:[0,0,1] neg_hi:[0,0,1]
	v_pk_fma_f32 v[182:183], v[182:183], v[198:199], v[212:213] op_sel:[0,0,1] op_sel_hi:[1,0,0]
	v_pk_fma_f32 v[212:213], v[214:215], v[132:133], v[218:219] op_sel_hi:[1,1,0]
	s_delay_alu instid0(VALU_DEP_4)
	v_dual_mov_b32 v225, v179 :: v_dual_mov_b32 v209, v181
	v_pk_fma_f32 v[178:179], v[186:187], v[198:199], v[220:221] op_sel:[0,0,1] op_sel_hi:[1,0,0]
	v_pk_fma_f32 v[180:181], v[188:189], v[198:199], v[222:223] op_sel:[0,0,1] op_sel_hi:[1,0,0]
	v_mov_b32_e32 v211, v183
	v_pk_fma_f32 v[182:183], v[186:187], v[198:199], v[220:221] op_sel:[0,0,1] op_sel_hi:[1,1,0] neg_lo:[0,0,1] neg_hi:[0,0,1]
	s_wait_dscnt 0x2
	v_pk_mul_f32 v[186:187], v[190:191], v[204:205] op_sel:[0,1]
	v_pk_fma_f32 v[184:185], v[184:185], v[132:133], v[216:217] op_sel_hi:[1,1,0] neg_lo:[0,0,1] neg_hi:[0,0,1]
	v_dual_mov_b32 v185, v213 :: v_dual_mov_b32 v183, v179
	v_pk_fma_f32 v[178:179], v[188:189], v[198:199], v[222:223] op_sel:[0,0,1] op_sel_hi:[1,1,0] neg_lo:[0,0,1] neg_hi:[0,0,1]
	v_mov_b32_e32 v179, v181
	v_pk_fma_f32 v[180:181], v[190:191], v[198:199], v[186:187] op_sel:[0,0,1] op_sel_hi:[1,0,0]
	s_delay_alu instid0(VALU_DEP_4)
	v_pk_add_f32 v[112:113], v[112:113], v[184:185] neg_lo:[0,1] neg_hi:[0,1]
	v_pk_mul_f32 v[184:185], v[192:193], v[204:205] op_sel:[0,1]
	v_pk_add_f32 v[116:117], v[116:117], v[182:183] neg_lo:[0,1] neg_hi:[0,1]
	v_pk_add_f32 v[110:111], v[110:111], v[178:179] neg_lo:[0,1] neg_hi:[0,1]
	v_pk_fma_f32 v[178:179], v[190:191], v[198:199], v[186:187] op_sel:[0,0,1] op_sel_hi:[1,1,0] neg_lo:[0,0,1] neg_hi:[0,0,1]
	s_wait_dscnt 0x1
	v_dual_mov_b32 v179, v181 :: v_dual_mul_f32 v182, v195, v198
	v_pk_mul_f32 v[186:187], v[196:197], v[204:205] op_sel:[0,1]
	s_wait_dscnt 0x0
	v_pk_mul_f32 v[188:189], v[206:207], v[204:205] op_sel:[0,1]
	v_pk_fma_f32 v[180:181], v[192:193], v[198:199], v[184:185] op_sel:[0,0,1] op_sel_hi:[1,1,0] neg_lo:[0,0,1] neg_hi:[0,0,1]
	v_pk_fma_f32 v[184:185], v[192:193], v[198:199], v[184:185] op_sel:[0,0,1] op_sel_hi:[1,0,0]
	v_mul_f32_e32 v184, v195, v205
	v_pk_fma_f32 v[182:183], v[194:195], v[132:133], v[182:183] op_sel:[1,0,0] op_sel_hi:[0,1,0]
	v_pk_fma_f32 v[190:191], v[196:197], v[198:199], v[186:187] op_sel:[0,0,1] op_sel_hi:[1,0,0]
	v_pk_fma_f32 v[192:193], v[206:207], v[198:199], v[188:189] op_sel:[0,0,1] op_sel_hi:[1,0,0]
	v_mov_b32_e32 v181, v185
	v_pk_fma_f32 v[184:185], v[194:195], v[132:133], v[184:185] op_sel_hi:[1,1,0] neg_lo:[0,0,1] neg_hi:[0,0,1]
	v_mov_b32_e32 v185, v183
	v_pk_fma_f32 v[182:183], v[196:197], v[198:199], v[186:187] op_sel:[0,0,1] op_sel_hi:[1,1,0] neg_lo:[0,0,1] neg_hi:[0,0,1]
	v_pk_fma_f32 v[186:187], v[206:207], v[198:199], v[188:189] op_sel:[0,0,1] op_sel_hi:[1,1,0] neg_lo:[0,0,1] neg_hi:[0,0,1]
	v_dual_mov_b32 v183, v191 :: v_dual_mov_b32 v187, v193
	v_pk_add_f32 v[128:129], v[128:129], v[224:225] neg_lo:[0,1] neg_hi:[0,1]
	v_pk_add_f32 v[126:127], v[126:127], v[208:209] neg_lo:[0,1] neg_hi:[0,1]
	;; [unrolled: 1-line block ×8, first 2 shown]
.LBB65_199:
	s_or_b32 exec_lo, exec_lo, s1
	s_delay_alu instid0(SALU_CYCLE_1)
	s_mov_b32 s2, exec_lo
	s_wait_dscnt 0x0
	s_barrier_signal -1
	s_barrier_wait -1
	v_cmpx_eq_u32_e32 22, v200
	s_cbranch_execz .LBB65_206
; %bb.200:
	ds_store_b64 v201, v[128:129]
	ds_store_2addr_b64 v202, v[126:127], v[118:119] offset0:23 offset1:24
	ds_store_2addr_b64 v202, v[112:113], v[116:117] offset0:25 offset1:26
	;; [unrolled: 1-line block ×5, first 2 shown]
	ds_load_b64 v[178:179], v201
	s_wait_dscnt 0x0
	v_cmp_neq_f32_e32 vcc_lo, 0, v178
	v_cmp_neq_f32_e64 s1, 0, v179
	s_or_b32 s1, vcc_lo, s1
	s_delay_alu instid0(SALU_CYCLE_1)
	s_and_b32 exec_lo, exec_lo, s1
	s_cbranch_execz .LBB65_206
; %bb.201:
	v_cmp_ngt_f32_e64 s1, |v178|, |v179|
                                        ; implicit-def: $vgpr180_vgpr181
	s_and_saveexec_b32 s4, s1
	s_delay_alu instid0(SALU_CYCLE_1)
	s_xor_b32 s1, exec_lo, s4
	s_cbranch_execz .LBB65_203
; %bb.202:
	v_div_scale_f32 v180, null, v179, v179, v178
	v_div_scale_f32 v183, vcc_lo, v178, v179, v178
	s_delay_alu instid0(VALU_DEP_2) | instskip(SKIP_1) | instid1(TRANS32_DEP_1)
	v_rcp_f32_e32 v181, v180
	v_nop
	v_fma_f32 v182, -v180, v181, 1.0
	s_delay_alu instid0(VALU_DEP_1) | instskip(NEXT) | instid1(VALU_DEP_1)
	v_fmac_f32_e32 v181, v182, v181
	v_mul_f32_e32 v182, v183, v181
	s_delay_alu instid0(VALU_DEP_1) | instskip(NEXT) | instid1(VALU_DEP_1)
	v_fma_f32 v184, -v180, v182, v183
	v_fmac_f32_e32 v182, v184, v181
	s_delay_alu instid0(VALU_DEP_1) | instskip(NEXT) | instid1(VALU_DEP_1)
	v_fma_f32 v180, -v180, v182, v183
	v_div_fmas_f32 v180, v180, v181, v182
	s_delay_alu instid0(VALU_DEP_1) | instskip(NEXT) | instid1(VALU_DEP_1)
	v_div_fixup_f32 v180, v180, v179, v178
	v_fmac_f32_e32 v179, v178, v180
	s_delay_alu instid0(VALU_DEP_1) | instskip(SKIP_1) | instid1(VALU_DEP_2)
	v_div_scale_f32 v178, null, v179, v179, 1.0
	v_div_scale_f32 v183, vcc_lo, 1.0, v179, 1.0
	v_rcp_f32_e32 v181, v178
	v_nop
	s_delay_alu instid0(TRANS32_DEP_1) | instskip(NEXT) | instid1(VALU_DEP_1)
	v_fma_f32 v182, -v178, v181, 1.0
	v_fmac_f32_e32 v181, v182, v181
	s_delay_alu instid0(VALU_DEP_1) | instskip(NEXT) | instid1(VALU_DEP_1)
	v_mul_f32_e32 v182, v183, v181
	v_fma_f32 v184, -v178, v182, v183
	s_delay_alu instid0(VALU_DEP_1) | instskip(NEXT) | instid1(VALU_DEP_1)
	v_fmac_f32_e32 v182, v184, v181
	v_fma_f32 v178, -v178, v182, v183
	s_delay_alu instid0(VALU_DEP_1) | instskip(NEXT) | instid1(VALU_DEP_1)
	v_div_fmas_f32 v178, v178, v181, v182
	v_div_fixup_f32 v178, v178, v179, 1.0
	s_delay_alu instid0(VALU_DEP_1)
	v_mul_f32_e32 v180, v180, v178
	v_xor_b32_e32 v181, 0x80000000, v178
                                        ; implicit-def: $vgpr178_vgpr179
.LBB65_203:
	s_and_not1_saveexec_b32 s1, s1
	s_cbranch_execz .LBB65_205
; %bb.204:
	v_div_scale_f32 v180, null, v178, v178, v179
	v_div_scale_f32 v183, vcc_lo, v179, v178, v179
	s_delay_alu instid0(VALU_DEP_2) | instskip(SKIP_1) | instid1(TRANS32_DEP_1)
	v_rcp_f32_e32 v181, v180
	v_nop
	v_fma_f32 v182, -v180, v181, 1.0
	s_delay_alu instid0(VALU_DEP_1) | instskip(NEXT) | instid1(VALU_DEP_1)
	v_fmac_f32_e32 v181, v182, v181
	v_mul_f32_e32 v182, v183, v181
	s_delay_alu instid0(VALU_DEP_1) | instskip(NEXT) | instid1(VALU_DEP_1)
	v_fma_f32 v184, -v180, v182, v183
	v_fmac_f32_e32 v182, v184, v181
	s_delay_alu instid0(VALU_DEP_1) | instskip(NEXT) | instid1(VALU_DEP_1)
	v_fma_f32 v180, -v180, v182, v183
	v_div_fmas_f32 v180, v180, v181, v182
	s_delay_alu instid0(VALU_DEP_1) | instskip(NEXT) | instid1(VALU_DEP_1)
	v_div_fixup_f32 v181, v180, v178, v179
	v_fmac_f32_e32 v178, v179, v181
	s_delay_alu instid0(VALU_DEP_1) | instskip(NEXT) | instid1(VALU_DEP_1)
	v_div_scale_f32 v179, null, v178, v178, 1.0
	v_rcp_f32_e32 v180, v179
	v_nop
	s_delay_alu instid0(TRANS32_DEP_1) | instskip(NEXT) | instid1(VALU_DEP_1)
	v_fma_f32 v182, -v179, v180, 1.0
	v_fmac_f32_e32 v180, v182, v180
	v_div_scale_f32 v182, vcc_lo, 1.0, v178, 1.0
	s_delay_alu instid0(VALU_DEP_1) | instskip(NEXT) | instid1(VALU_DEP_1)
	v_mul_f32_e32 v183, v182, v180
	v_fma_f32 v184, -v179, v183, v182
	s_delay_alu instid0(VALU_DEP_1) | instskip(NEXT) | instid1(VALU_DEP_1)
	v_fmac_f32_e32 v183, v184, v180
	v_fma_f32 v179, -v179, v183, v182
	s_delay_alu instid0(VALU_DEP_1) | instskip(NEXT) | instid1(VALU_DEP_1)
	v_div_fmas_f32 v179, v179, v180, v183
	v_div_fixup_f32 v180, v179, v178, 1.0
	s_delay_alu instid0(VALU_DEP_1)
	v_mul_f32_e64 v181, v181, -v180
.LBB65_205:
	s_or_b32 exec_lo, exec_lo, s1
	ds_store_b64 v201, v[180:181]
.LBB65_206:
	s_or_b32 exec_lo, exec_lo, s2
	s_wait_dscnt 0x0
	s_barrier_signal -1
	s_barrier_wait -1
	ds_load_b64 v[178:179], v201
	s_mov_b32 s1, exec_lo
	v_cmpx_lt_u32_e32 22, v200
	s_cbranch_execz .LBB65_208
; %bb.207:
	ds_load_2addr_b64 v[180:183], v202 offset0:23 offset1:24
	ds_load_2addr_b64 v[184:187], v202 offset0:25 offset1:26
	;; [unrolled: 1-line block ×3, first 2 shown]
	s_wait_dscnt 0x3
	v_pk_mul_f32 v[192:193], v[178:179], v[128:129] op_sel:[1,1] op_sel_hi:[0,1]
	s_delay_alu instid0(VALU_DEP_1)
	v_pk_fma_f32 v[204:205], v[178:179], v[128:129], v[192:193] op_sel_hi:[1,0,1] neg_lo:[0,0,1] neg_hi:[0,0,1]
	v_pk_fma_f32 v[206:207], v[178:179], v[128:129], v[192:193] op_sel_hi:[1,0,1]
	ds_load_2addr_b64 v[192:195], v202 offset0:29 offset1:30
	ds_load_2addr_b64 v[196:199], v202 offset0:31 offset1:32
	v_dual_mov_b32 v128, v204 :: v_dual_mov_b32 v129, v207
	s_wait_dscnt 0x4
	v_pk_mul_f32 v[208:209], v[180:181], v[206:207] op_sel:[0,1]
	v_pk_mul_f32 v[210:211], v[182:183], v[206:207] op_sel:[0,1]
	s_wait_dscnt 0x3
	v_pk_mul_f32 v[212:213], v[184:185], v[206:207] op_sel:[0,1]
	v_dual_mov_b32 v214, v187 :: v_dual_mov_b32 v215, v186
	v_dual_mul_f32 v216, v187, v207 :: v_dual_mul_f32 v218, v187, v204
	s_wait_dscnt 0x2
	v_pk_mul_f32 v[220:221], v[188:189], v[206:207] op_sel:[0,1]
	v_pk_mul_f32 v[222:223], v[190:191], v[206:207] op_sel:[0,1]
	v_pk_fma_f32 v[224:225], v[180:181], v[204:205], v[208:209] op_sel:[0,0,1] op_sel_hi:[1,1,0] neg_lo:[0,0,1] neg_hi:[0,0,1]
	v_pk_fma_f32 v[180:181], v[180:181], v[204:205], v[208:209] op_sel:[0,0,1] op_sel_hi:[1,0,0]
	v_pk_fma_f32 v[208:209], v[182:183], v[204:205], v[210:211] op_sel:[0,0,1] op_sel_hi:[1,1,0] neg_lo:[0,0,1] neg_hi:[0,0,1]
	v_pk_fma_f32 v[182:183], v[182:183], v[204:205], v[210:211] op_sel:[0,0,1] op_sel_hi:[1,0,0]
	;; [unrolled: 2-line block ×3, first 2 shown]
	v_pk_fma_f32 v[212:213], v[214:215], v[128:129], v[218:219] op_sel_hi:[1,1,0]
	v_pk_fma_f32 v[186:187], v[186:187], v[128:129], v[216:217] op_sel_hi:[1,1,0] neg_lo:[0,0,1] neg_hi:[0,0,1]
	v_pk_fma_f32 v[214:215], v[188:189], v[204:205], v[220:221] op_sel:[0,0,1] op_sel_hi:[1,1,0] neg_lo:[0,0,1] neg_hi:[0,0,1]
	v_pk_fma_f32 v[188:189], v[188:189], v[204:205], v[220:221] op_sel:[0,0,1] op_sel_hi:[1,0,0]
	v_dual_mov_b32 v225, v181 :: v_dual_mov_b32 v209, v183
	v_pk_fma_f32 v[182:183], v[190:191], v[204:205], v[222:223] op_sel:[0,0,1] op_sel_hi:[1,0,0]
	v_dual_mov_b32 v211, v185 :: v_dual_mov_b32 v187, v213
	s_wait_dscnt 0x1
	v_pk_mul_f32 v[180:181], v[192:193], v[206:207] op_sel:[0,1]
	v_pk_fma_f32 v[184:185], v[190:191], v[204:205], v[222:223] op_sel:[0,0,1] op_sel_hi:[1,1,0] neg_lo:[0,0,1] neg_hi:[0,0,1]
	v_dual_mov_b32 v215, v189 :: v_dual_mov_b32 v185, v183
	v_pk_mul_f32 v[182:183], v[194:195], v[206:207] op_sel:[0,1]
	v_pk_add_f32 v[116:117], v[116:117], v[186:187] neg_lo:[0,1] neg_hi:[0,1]
	v_pk_fma_f32 v[186:187], v[192:193], v[204:205], v[180:181] op_sel:[0,0,1] op_sel_hi:[1,0,0]
	s_wait_dscnt 0x0
	v_mul_f32_e32 v186, v197, v204
	v_pk_mul_f32 v[188:189], v[198:199], v[206:207] op_sel:[0,1]
	v_pk_fma_f32 v[190:191], v[194:195], v[204:205], v[182:183] op_sel:[0,0,1] op_sel_hi:[1,0,0]
	v_pk_fma_f32 v[180:181], v[192:193], v[204:205], v[180:181] op_sel:[0,0,1] op_sel_hi:[1,1,0] neg_lo:[0,0,1] neg_hi:[0,0,1]
	v_dual_mul_f32 v190, v197, v207 :: v_dual_mov_b32 v181, v187
	v_pk_fma_f32 v[186:187], v[196:197], v[128:129], v[186:187] op_sel:[1,0,0] op_sel_hi:[0,1,0]
	v_pk_fma_f32 v[192:193], v[198:199], v[204:205], v[188:189] op_sel:[0,0,1] op_sel_hi:[1,0,0]
	v_pk_fma_f32 v[182:183], v[194:195], v[204:205], v[182:183] op_sel:[0,0,1] op_sel_hi:[1,1,0] neg_lo:[0,0,1] neg_hi:[0,0,1]
	v_mov_b32_e32 v183, v191
	v_pk_fma_f32 v[190:191], v[196:197], v[128:129], v[190:191] op_sel_hi:[1,1,0] neg_lo:[0,0,1] neg_hi:[0,0,1]
	v_mov_b32_e32 v191, v187
	v_pk_fma_f32 v[186:187], v[198:199], v[204:205], v[188:189] op_sel:[0,0,1] op_sel_hi:[1,1,0] neg_lo:[0,0,1] neg_hi:[0,0,1]
	v_mov_b32_e32 v187, v193
	v_pk_add_f32 v[126:127], v[126:127], v[224:225] neg_lo:[0,1] neg_hi:[0,1]
	v_pk_add_f32 v[118:119], v[118:119], v[208:209] neg_lo:[0,1] neg_hi:[0,1]
	;; [unrolled: 1-line block ×9, first 2 shown]
.LBB65_208:
	s_or_b32 exec_lo, exec_lo, s1
	s_delay_alu instid0(SALU_CYCLE_1)
	s_mov_b32 s2, exec_lo
	s_wait_dscnt 0x0
	s_barrier_signal -1
	s_barrier_wait -1
	v_cmpx_eq_u32_e32 23, v200
	s_cbranch_execz .LBB65_215
; %bb.209:
	v_dual_mov_b32 v180, v118 :: v_dual_mov_b32 v181, v119
	v_dual_mov_b32 v182, v112 :: v_dual_mov_b32 v183, v113
	;; [unrolled: 1-line block ×8, first 2 shown]
	ds_store_b64 v201, v[126:127]
	ds_store_2addr_b64 v202, v[180:181], v[182:183] offset0:24 offset1:25
	ds_store_2addr_b64 v202, v[184:185], v[186:187] offset0:26 offset1:27
	;; [unrolled: 1-line block ×4, first 2 shown]
	ds_store_b64 v202, v[130:131] offset:256
	ds_load_b64 v[180:181], v201
	s_wait_dscnt 0x0
	v_cmp_neq_f32_e32 vcc_lo, 0, v180
	v_cmp_neq_f32_e64 s1, 0, v181
	s_or_b32 s1, vcc_lo, s1
	s_delay_alu instid0(SALU_CYCLE_1)
	s_and_b32 exec_lo, exec_lo, s1
	s_cbranch_execz .LBB65_215
; %bb.210:
	v_cmp_ngt_f32_e64 s1, |v180|, |v181|
                                        ; implicit-def: $vgpr182_vgpr183
	s_and_saveexec_b32 s4, s1
	s_delay_alu instid0(SALU_CYCLE_1)
	s_xor_b32 s1, exec_lo, s4
	s_cbranch_execz .LBB65_212
; %bb.211:
	v_div_scale_f32 v182, null, v181, v181, v180
	v_div_scale_f32 v185, vcc_lo, v180, v181, v180
	s_delay_alu instid0(VALU_DEP_2) | instskip(SKIP_1) | instid1(TRANS32_DEP_1)
	v_rcp_f32_e32 v183, v182
	v_nop
	v_fma_f32 v184, -v182, v183, 1.0
	s_delay_alu instid0(VALU_DEP_1) | instskip(NEXT) | instid1(VALU_DEP_1)
	v_fmac_f32_e32 v183, v184, v183
	v_mul_f32_e32 v184, v185, v183
	s_delay_alu instid0(VALU_DEP_1) | instskip(NEXT) | instid1(VALU_DEP_1)
	v_fma_f32 v186, -v182, v184, v185
	v_fmac_f32_e32 v184, v186, v183
	s_delay_alu instid0(VALU_DEP_1) | instskip(NEXT) | instid1(VALU_DEP_1)
	v_fma_f32 v182, -v182, v184, v185
	v_div_fmas_f32 v182, v182, v183, v184
	s_delay_alu instid0(VALU_DEP_1) | instskip(NEXT) | instid1(VALU_DEP_1)
	v_div_fixup_f32 v182, v182, v181, v180
	v_fmac_f32_e32 v181, v180, v182
	s_delay_alu instid0(VALU_DEP_1) | instskip(SKIP_1) | instid1(VALU_DEP_2)
	v_div_scale_f32 v180, null, v181, v181, 1.0
	v_div_scale_f32 v185, vcc_lo, 1.0, v181, 1.0
	v_rcp_f32_e32 v183, v180
	v_nop
	s_delay_alu instid0(TRANS32_DEP_1) | instskip(NEXT) | instid1(VALU_DEP_1)
	v_fma_f32 v184, -v180, v183, 1.0
	v_fmac_f32_e32 v183, v184, v183
	s_delay_alu instid0(VALU_DEP_1) | instskip(NEXT) | instid1(VALU_DEP_1)
	v_mul_f32_e32 v184, v185, v183
	v_fma_f32 v186, -v180, v184, v185
	s_delay_alu instid0(VALU_DEP_1) | instskip(NEXT) | instid1(VALU_DEP_1)
	v_fmac_f32_e32 v184, v186, v183
	v_fma_f32 v180, -v180, v184, v185
	s_delay_alu instid0(VALU_DEP_1) | instskip(NEXT) | instid1(VALU_DEP_1)
	v_div_fmas_f32 v180, v180, v183, v184
	v_div_fixup_f32 v180, v180, v181, 1.0
	s_delay_alu instid0(VALU_DEP_1)
	v_mul_f32_e32 v182, v182, v180
	v_xor_b32_e32 v183, 0x80000000, v180
                                        ; implicit-def: $vgpr180_vgpr181
.LBB65_212:
	s_and_not1_saveexec_b32 s1, s1
	s_cbranch_execz .LBB65_214
; %bb.213:
	v_div_scale_f32 v182, null, v180, v180, v181
	v_div_scale_f32 v185, vcc_lo, v181, v180, v181
	s_delay_alu instid0(VALU_DEP_2) | instskip(SKIP_1) | instid1(TRANS32_DEP_1)
	v_rcp_f32_e32 v183, v182
	v_nop
	v_fma_f32 v184, -v182, v183, 1.0
	s_delay_alu instid0(VALU_DEP_1) | instskip(NEXT) | instid1(VALU_DEP_1)
	v_fmac_f32_e32 v183, v184, v183
	v_mul_f32_e32 v184, v185, v183
	s_delay_alu instid0(VALU_DEP_1) | instskip(NEXT) | instid1(VALU_DEP_1)
	v_fma_f32 v186, -v182, v184, v185
	v_fmac_f32_e32 v184, v186, v183
	s_delay_alu instid0(VALU_DEP_1) | instskip(NEXT) | instid1(VALU_DEP_1)
	v_fma_f32 v182, -v182, v184, v185
	v_div_fmas_f32 v182, v182, v183, v184
	s_delay_alu instid0(VALU_DEP_1) | instskip(NEXT) | instid1(VALU_DEP_1)
	v_div_fixup_f32 v183, v182, v180, v181
	v_fmac_f32_e32 v180, v181, v183
	s_delay_alu instid0(VALU_DEP_1) | instskip(NEXT) | instid1(VALU_DEP_1)
	v_div_scale_f32 v181, null, v180, v180, 1.0
	v_rcp_f32_e32 v182, v181
	v_nop
	s_delay_alu instid0(TRANS32_DEP_1) | instskip(NEXT) | instid1(VALU_DEP_1)
	v_fma_f32 v184, -v181, v182, 1.0
	v_fmac_f32_e32 v182, v184, v182
	v_div_scale_f32 v184, vcc_lo, 1.0, v180, 1.0
	s_delay_alu instid0(VALU_DEP_1) | instskip(NEXT) | instid1(VALU_DEP_1)
	v_mul_f32_e32 v185, v184, v182
	v_fma_f32 v186, -v181, v185, v184
	s_delay_alu instid0(VALU_DEP_1) | instskip(NEXT) | instid1(VALU_DEP_1)
	v_fmac_f32_e32 v185, v186, v182
	v_fma_f32 v181, -v181, v185, v184
	s_delay_alu instid0(VALU_DEP_1) | instskip(NEXT) | instid1(VALU_DEP_1)
	v_div_fmas_f32 v181, v181, v182, v185
	v_div_fixup_f32 v182, v181, v180, 1.0
	s_delay_alu instid0(VALU_DEP_1)
	v_mul_f32_e64 v183, v183, -v182
.LBB65_214:
	s_or_b32 exec_lo, exec_lo, s1
	ds_store_b64 v201, v[182:183]
.LBB65_215:
	s_or_b32 exec_lo, exec_lo, s2
	s_wait_dscnt 0x0
	s_barrier_signal -1
	s_barrier_wait -1
	ds_load_b64 v[180:181], v201
	s_mov_b32 s1, exec_lo
	v_cmpx_lt_u32_e32 23, v200
	s_cbranch_execz .LBB65_217
; %bb.216:
	ds_load_2addr_b64 v[182:185], v202 offset0:24 offset1:25
	ds_load_2addr_b64 v[186:189], v202 offset0:26 offset1:27
	;; [unrolled: 1-line block ×3, first 2 shown]
	s_wait_dscnt 0x3
	v_pk_mul_f32 v[194:195], v[180:181], v[126:127] op_sel:[1,1] op_sel_hi:[0,1]
	s_delay_alu instid0(VALU_DEP_1)
	v_pk_fma_f32 v[198:199], v[180:181], v[126:127], v[194:195] op_sel_hi:[1,0,1] neg_lo:[0,0,1] neg_hi:[0,0,1]
	v_pk_fma_f32 v[204:205], v[180:181], v[126:127], v[194:195] op_sel_hi:[1,0,1]
	ds_load_2addr_b64 v[194:197], v202 offset0:30 offset1:31
	ds_load_b64 v[206:207], v202 offset:256
	v_dual_mov_b32 v126, v198 :: v_dual_mov_b32 v127, v205
	s_wait_dscnt 0x4
	v_pk_mul_f32 v[208:209], v[182:183], v[204:205] op_sel:[0,1]
	v_pk_mul_f32 v[210:211], v[184:185], v[204:205] op_sel:[0,1]
	s_wait_dscnt 0x3
	v_pk_mul_f32 v[212:213], v[186:187], v[204:205] op_sel:[0,1]
	v_dual_mov_b32 v214, v189 :: v_dual_mov_b32 v215, v188
	v_dual_mul_f32 v216, v189, v205 :: v_dual_mul_f32 v218, v189, v198
	s_wait_dscnt 0x2
	v_pk_mul_f32 v[220:221], v[190:191], v[204:205] op_sel:[0,1]
	v_pk_fma_f32 v[224:225], v[182:183], v[198:199], v[208:209] op_sel:[0,0,1] op_sel_hi:[1,1,0] neg_lo:[0,0,1] neg_hi:[0,0,1]
	v_pk_fma_f32 v[182:183], v[182:183], v[198:199], v[208:209] op_sel:[0,0,1] op_sel_hi:[1,0,0]
	v_pk_fma_f32 v[208:209], v[184:185], v[198:199], v[210:211] op_sel:[0,0,1] op_sel_hi:[1,1,0] neg_lo:[0,0,1] neg_hi:[0,0,1]
	v_pk_fma_f32 v[184:185], v[184:185], v[198:199], v[210:211] op_sel:[0,0,1] op_sel_hi:[1,0,0]
	;; [unrolled: 2-line block ×3, first 2 shown]
	v_pk_fma_f32 v[212:213], v[214:215], v[126:127], v[218:219] op_sel_hi:[1,1,0]
	v_pk_fma_f32 v[188:189], v[188:189], v[126:127], v[216:217] op_sel_hi:[1,1,0] neg_lo:[0,0,1] neg_hi:[0,0,1]
	v_pk_mul_f32 v[222:223], v[192:193], v[204:205] op_sel:[0,1]
	v_dual_mov_b32 v225, v183 :: v_dual_mov_b32 v209, v185
	s_delay_alu instid0(VALU_DEP_4)
	v_dual_mov_b32 v211, v187 :: v_dual_mov_b32 v189, v213
	v_pk_fma_f32 v[182:183], v[190:191], v[198:199], v[220:221] op_sel:[0,0,1] op_sel_hi:[1,0,0]
	v_pk_fma_f32 v[184:185], v[190:191], v[198:199], v[220:221] op_sel:[0,0,1] op_sel_hi:[1,1,0] neg_lo:[0,0,1] neg_hi:[0,0,1]
	v_pk_fma_f32 v[186:187], v[192:193], v[198:199], v[222:223] op_sel:[0,0,1] op_sel_hi:[1,0,0]
	v_pk_fma_f32 v[190:191], v[192:193], v[198:199], v[222:223] op_sel:[0,0,1] op_sel_hi:[1,1,0] neg_lo:[0,0,1] neg_hi:[0,0,1]
	v_pk_add_f32 v[110:111], v[110:111], v[188:189] neg_lo:[0,1] neg_hi:[0,1]
	v_mov_b32_e32 v185, v183
	s_wait_dscnt 0x1
	v_pk_mul_f32 v[182:183], v[194:195], v[204:205] op_sel:[0,1]
	v_pk_mul_f32 v[188:189], v[196:197], v[204:205] op_sel:[0,1]
	s_wait_dscnt 0x0
	v_pk_mul_f32 v[192:193], v[206:207], v[204:205] op_sel:[0,1]
	v_mov_b32_e32 v191, v187
	v_pk_add_f32 v[118:119], v[118:119], v[224:225] neg_lo:[0,1] neg_hi:[0,1]
	v_pk_fma_f32 v[204:205], v[194:195], v[198:199], v[182:183] op_sel:[0,0,1] op_sel_hi:[1,0,0]
	v_pk_fma_f32 v[186:187], v[196:197], v[198:199], v[188:189] op_sel:[0,0,1] op_sel_hi:[1,0,0]
	v_pk_fma_f32 v[182:183], v[194:195], v[198:199], v[182:183] op_sel:[0,0,1] op_sel_hi:[1,1,0] neg_lo:[0,0,1] neg_hi:[0,0,1]
	v_pk_fma_f32 v[194:195], v[206:207], v[198:199], v[192:193] op_sel:[0,0,1] op_sel_hi:[1,0,0]
	v_pk_fma_f32 v[188:189], v[196:197], v[198:199], v[188:189] op_sel:[0,0,1] op_sel_hi:[1,1,0] neg_lo:[0,0,1] neg_hi:[0,0,1]
	s_delay_alu instid0(VALU_DEP_4) | instskip(SKIP_1) | instid1(VALU_DEP_4)
	v_dual_mov_b32 v183, v205 :: v_dual_mov_b32 v189, v187
	v_pk_fma_f32 v[186:187], v[206:207], v[198:199], v[192:193] op_sel:[0,0,1] op_sel_hi:[1,1,0] neg_lo:[0,0,1] neg_hi:[0,0,1]
	v_mov_b32_e32 v187, v195
	v_pk_add_f32 v[112:113], v[112:113], v[208:209] neg_lo:[0,1] neg_hi:[0,1]
	v_pk_add_f32 v[116:117], v[116:117], v[210:211] neg_lo:[0,1] neg_hi:[0,1]
	;; [unrolled: 1-line block ×7, first 2 shown]
.LBB65_217:
	s_or_b32 exec_lo, exec_lo, s1
	s_delay_alu instid0(SALU_CYCLE_1)
	s_mov_b32 s2, exec_lo
	s_wait_dscnt 0x0
	s_barrier_signal -1
	s_barrier_wait -1
	v_cmpx_eq_u32_e32 24, v200
	s_cbranch_execz .LBB65_224
; %bb.218:
	ds_store_b64 v201, v[118:119]
	ds_store_2addr_b64 v202, v[112:113], v[116:117] offset0:25 offset1:26
	ds_store_2addr_b64 v202, v[110:111], v[114:115] offset0:27 offset1:28
	;; [unrolled: 1-line block ×4, first 2 shown]
	ds_load_b64 v[182:183], v201
	s_wait_dscnt 0x0
	v_cmp_neq_f32_e32 vcc_lo, 0, v182
	v_cmp_neq_f32_e64 s1, 0, v183
	s_or_b32 s1, vcc_lo, s1
	s_delay_alu instid0(SALU_CYCLE_1)
	s_and_b32 exec_lo, exec_lo, s1
	s_cbranch_execz .LBB65_224
; %bb.219:
	v_cmp_ngt_f32_e64 s1, |v182|, |v183|
                                        ; implicit-def: $vgpr184_vgpr185
	s_and_saveexec_b32 s4, s1
	s_delay_alu instid0(SALU_CYCLE_1)
	s_xor_b32 s1, exec_lo, s4
	s_cbranch_execz .LBB65_221
; %bb.220:
	v_div_scale_f32 v184, null, v183, v183, v182
	v_div_scale_f32 v187, vcc_lo, v182, v183, v182
	s_delay_alu instid0(VALU_DEP_2) | instskip(SKIP_1) | instid1(TRANS32_DEP_1)
	v_rcp_f32_e32 v185, v184
	v_nop
	v_fma_f32 v186, -v184, v185, 1.0
	s_delay_alu instid0(VALU_DEP_1) | instskip(NEXT) | instid1(VALU_DEP_1)
	v_fmac_f32_e32 v185, v186, v185
	v_mul_f32_e32 v186, v187, v185
	s_delay_alu instid0(VALU_DEP_1) | instskip(NEXT) | instid1(VALU_DEP_1)
	v_fma_f32 v188, -v184, v186, v187
	v_fmac_f32_e32 v186, v188, v185
	s_delay_alu instid0(VALU_DEP_1) | instskip(NEXT) | instid1(VALU_DEP_1)
	v_fma_f32 v184, -v184, v186, v187
	v_div_fmas_f32 v184, v184, v185, v186
	s_delay_alu instid0(VALU_DEP_1) | instskip(NEXT) | instid1(VALU_DEP_1)
	v_div_fixup_f32 v184, v184, v183, v182
	v_fmac_f32_e32 v183, v182, v184
	s_delay_alu instid0(VALU_DEP_1) | instskip(SKIP_1) | instid1(VALU_DEP_2)
	v_div_scale_f32 v182, null, v183, v183, 1.0
	v_div_scale_f32 v187, vcc_lo, 1.0, v183, 1.0
	v_rcp_f32_e32 v185, v182
	v_nop
	s_delay_alu instid0(TRANS32_DEP_1) | instskip(NEXT) | instid1(VALU_DEP_1)
	v_fma_f32 v186, -v182, v185, 1.0
	v_fmac_f32_e32 v185, v186, v185
	s_delay_alu instid0(VALU_DEP_1) | instskip(NEXT) | instid1(VALU_DEP_1)
	v_mul_f32_e32 v186, v187, v185
	v_fma_f32 v188, -v182, v186, v187
	s_delay_alu instid0(VALU_DEP_1) | instskip(NEXT) | instid1(VALU_DEP_1)
	v_fmac_f32_e32 v186, v188, v185
	v_fma_f32 v182, -v182, v186, v187
	s_delay_alu instid0(VALU_DEP_1) | instskip(NEXT) | instid1(VALU_DEP_1)
	v_div_fmas_f32 v182, v182, v185, v186
	v_div_fixup_f32 v182, v182, v183, 1.0
	s_delay_alu instid0(VALU_DEP_1)
	v_mul_f32_e32 v184, v184, v182
	v_xor_b32_e32 v185, 0x80000000, v182
                                        ; implicit-def: $vgpr182_vgpr183
.LBB65_221:
	s_and_not1_saveexec_b32 s1, s1
	s_cbranch_execz .LBB65_223
; %bb.222:
	v_div_scale_f32 v184, null, v182, v182, v183
	v_div_scale_f32 v187, vcc_lo, v183, v182, v183
	s_delay_alu instid0(VALU_DEP_2) | instskip(SKIP_1) | instid1(TRANS32_DEP_1)
	v_rcp_f32_e32 v185, v184
	v_nop
	v_fma_f32 v186, -v184, v185, 1.0
	s_delay_alu instid0(VALU_DEP_1) | instskip(NEXT) | instid1(VALU_DEP_1)
	v_fmac_f32_e32 v185, v186, v185
	v_mul_f32_e32 v186, v187, v185
	s_delay_alu instid0(VALU_DEP_1) | instskip(NEXT) | instid1(VALU_DEP_1)
	v_fma_f32 v188, -v184, v186, v187
	v_fmac_f32_e32 v186, v188, v185
	s_delay_alu instid0(VALU_DEP_1) | instskip(NEXT) | instid1(VALU_DEP_1)
	v_fma_f32 v184, -v184, v186, v187
	v_div_fmas_f32 v184, v184, v185, v186
	s_delay_alu instid0(VALU_DEP_1) | instskip(NEXT) | instid1(VALU_DEP_1)
	v_div_fixup_f32 v185, v184, v182, v183
	v_fmac_f32_e32 v182, v183, v185
	s_delay_alu instid0(VALU_DEP_1) | instskip(NEXT) | instid1(VALU_DEP_1)
	v_div_scale_f32 v183, null, v182, v182, 1.0
	v_rcp_f32_e32 v184, v183
	v_nop
	s_delay_alu instid0(TRANS32_DEP_1) | instskip(NEXT) | instid1(VALU_DEP_1)
	v_fma_f32 v186, -v183, v184, 1.0
	v_fmac_f32_e32 v184, v186, v184
	v_div_scale_f32 v186, vcc_lo, 1.0, v182, 1.0
	s_delay_alu instid0(VALU_DEP_1) | instskip(NEXT) | instid1(VALU_DEP_1)
	v_mul_f32_e32 v187, v186, v184
	v_fma_f32 v188, -v183, v187, v186
	s_delay_alu instid0(VALU_DEP_1) | instskip(NEXT) | instid1(VALU_DEP_1)
	v_fmac_f32_e32 v187, v188, v184
	v_fma_f32 v183, -v183, v187, v186
	s_delay_alu instid0(VALU_DEP_1) | instskip(NEXT) | instid1(VALU_DEP_1)
	v_div_fmas_f32 v183, v183, v184, v187
	v_div_fixup_f32 v184, v183, v182, 1.0
	s_delay_alu instid0(VALU_DEP_1)
	v_mul_f32_e64 v185, v185, -v184
.LBB65_223:
	s_or_b32 exec_lo, exec_lo, s1
	ds_store_b64 v201, v[184:185]
.LBB65_224:
	s_or_b32 exec_lo, exec_lo, s2
	s_wait_dscnt 0x0
	s_barrier_signal -1
	s_barrier_wait -1
	ds_load_b64 v[182:183], v201
	s_mov_b32 s1, exec_lo
	v_cmpx_lt_u32_e32 24, v200
	s_cbranch_execz .LBB65_226
; %bb.225:
	ds_load_2addr_b64 v[184:187], v202 offset0:25 offset1:26
	ds_load_2addr_b64 v[188:191], v202 offset0:27 offset1:28
	;; [unrolled: 1-line block ×3, first 2 shown]
	s_wait_dscnt 0x3
	v_pk_mul_f32 v[204:205], v[182:183], v[118:119] op_sel:[1,1] op_sel_hi:[0,1]
	ds_load_2addr_b64 v[196:199], v202 offset0:31 offset1:32
	v_pk_fma_f32 v[206:207], v[182:183], v[118:119], v[204:205] op_sel_hi:[1,0,1] neg_lo:[0,0,1] neg_hi:[0,0,1]
	v_pk_fma_f32 v[204:205], v[182:183], v[118:119], v[204:205] op_sel_hi:[1,0,1]
	s_delay_alu instid0(VALU_DEP_1) | instskip(SKIP_1) | instid1(VALU_DEP_2)
	v_dual_mov_b32 v118, v206 :: v_dual_mov_b32 v119, v205
	s_wait_dscnt 0x3
	v_pk_mul_f32 v[208:209], v[184:185], v[204:205] op_sel:[0,1]
	v_pk_mul_f32 v[210:211], v[186:187], v[204:205] op_sel:[0,1]
	s_wait_dscnt 0x2
	v_pk_mul_f32 v[212:213], v[188:189], v[204:205] op_sel:[0,1]
	s_wait_dscnt 0x1
	v_pk_mul_f32 v[220:221], v[192:193], v[204:205] op_sel:[0,1]
	v_dual_mov_b32 v214, v191 :: v_dual_mov_b32 v215, v190
	v_pk_fma_f32 v[226:227], v[184:185], v[206:207], v[208:209] op_sel:[0,0,1] op_sel_hi:[1,1,0] neg_lo:[0,0,1] neg_hi:[0,0,1]
	v_pk_fma_f32 v[184:185], v[184:185], v[206:207], v[208:209] op_sel:[0,0,1] op_sel_hi:[1,0,0]
	v_pk_fma_f32 v[208:209], v[186:187], v[206:207], v[210:211] op_sel:[0,0,1] op_sel_hi:[1,1,0] neg_lo:[0,0,1] neg_hi:[0,0,1]
	v_pk_fma_f32 v[186:187], v[186:187], v[206:207], v[210:211] op_sel:[0,0,1] op_sel_hi:[1,0,0]
	v_dual_mul_f32 v216, v191, v205 :: v_dual_mul_f32 v218, v191, v206
	v_pk_mul_f32 v[222:223], v[194:195], v[204:205] op_sel:[0,1]
	v_pk_fma_f32 v[210:211], v[188:189], v[206:207], v[212:213] op_sel:[0,0,1] op_sel_hi:[1,1,0] neg_lo:[0,0,1] neg_hi:[0,0,1]
	v_pk_fma_f32 v[188:189], v[188:189], v[206:207], v[212:213] op_sel:[0,0,1] op_sel_hi:[1,0,0]
	s_wait_dscnt 0x0
	v_pk_mul_f32 v[224:225], v[196:197], v[204:205] op_sel:[0,1]
	v_dual_mov_b32 v227, v185 :: v_dual_mov_b32 v209, v187
	v_pk_fma_f32 v[184:185], v[192:193], v[206:207], v[220:221] op_sel:[0,0,1] op_sel_hi:[1,0,0]
	v_pk_mul_f32 v[186:187], v[198:199], v[204:205] op_sel:[0,1]
	v_pk_fma_f32 v[212:213], v[214:215], v[118:119], v[218:219] op_sel_hi:[1,1,0]
	v_pk_fma_f32 v[214:215], v[192:193], v[206:207], v[220:221] op_sel:[0,0,1] op_sel_hi:[1,1,0] neg_lo:[0,0,1] neg_hi:[0,0,1]
	v_mov_b32_e32 v211, v189
	v_pk_fma_f32 v[188:189], v[194:195], v[206:207], v[222:223] op_sel:[0,0,1] op_sel_hi:[1,0,0]
	v_mov_b32_e32 v215, v185
	v_pk_fma_f32 v[184:185], v[196:197], v[206:207], v[224:225] op_sel:[0,0,1] op_sel_hi:[1,0,0]
	v_pk_fma_f32 v[192:193], v[194:195], v[206:207], v[222:223] op_sel:[0,0,1] op_sel_hi:[1,1,0] neg_lo:[0,0,1] neg_hi:[0,0,1]
	v_pk_fma_f32 v[194:195], v[198:199], v[206:207], v[186:187] op_sel:[0,0,1] op_sel_hi:[1,0,0]
	v_mov_b32_e32 v193, v189
	v_pk_fma_f32 v[188:189], v[196:197], v[206:207], v[224:225] op_sel:[0,0,1] op_sel_hi:[1,1,0] neg_lo:[0,0,1] neg_hi:[0,0,1]
	v_pk_fma_f32 v[190:191], v[190:191], v[118:119], v[216:217] op_sel_hi:[1,1,0] neg_lo:[0,0,1] neg_hi:[0,0,1]
	v_mov_b32_e32 v189, v185
	v_pk_fma_f32 v[184:185], v[198:199], v[206:207], v[186:187] op_sel:[0,0,1] op_sel_hi:[1,1,0] neg_lo:[0,0,1] neg_hi:[0,0,1]
	v_dual_mov_b32 v191, v213 :: v_dual_mov_b32 v185, v195
	v_pk_add_f32 v[112:113], v[112:113], v[226:227] neg_lo:[0,1] neg_hi:[0,1]
	v_pk_add_f32 v[116:117], v[116:117], v[208:209] neg_lo:[0,1] neg_hi:[0,1]
	;; [unrolled: 1-line block ×3, first 2 shown]
	s_delay_alu instid0(VALU_DEP_4)
	v_pk_add_f32 v[114:115], v[114:115], v[190:191] neg_lo:[0,1] neg_hi:[0,1]
	v_pk_add_f32 v[124:125], v[124:125], v[214:215] neg_lo:[0,1] neg_hi:[0,1]
	;; [unrolled: 1-line block ×5, first 2 shown]
.LBB65_226:
	s_or_b32 exec_lo, exec_lo, s1
	s_delay_alu instid0(SALU_CYCLE_1)
	s_mov_b32 s2, exec_lo
	s_wait_dscnt 0x0
	s_barrier_signal -1
	s_barrier_wait -1
	v_cmpx_eq_u32_e32 25, v200
	s_cbranch_execz .LBB65_233
; %bb.227:
	v_dual_mov_b32 v184, v116 :: v_dual_mov_b32 v185, v117
	v_dual_mov_b32 v186, v110 :: v_dual_mov_b32 v187, v111
	;; [unrolled: 1-line block ×6, first 2 shown]
	ds_store_b64 v201, v[112:113]
	ds_store_2addr_b64 v202, v[184:185], v[186:187] offset0:26 offset1:27
	ds_store_2addr_b64 v202, v[188:189], v[190:191] offset0:28 offset1:29
	;; [unrolled: 1-line block ×3, first 2 shown]
	ds_store_b64 v202, v[130:131] offset:256
	ds_load_b64 v[184:185], v201
	s_wait_dscnt 0x0
	v_cmp_neq_f32_e32 vcc_lo, 0, v184
	v_cmp_neq_f32_e64 s1, 0, v185
	s_or_b32 s1, vcc_lo, s1
	s_delay_alu instid0(SALU_CYCLE_1)
	s_and_b32 exec_lo, exec_lo, s1
	s_cbranch_execz .LBB65_233
; %bb.228:
	v_cmp_ngt_f32_e64 s1, |v184|, |v185|
                                        ; implicit-def: $vgpr186_vgpr187
	s_and_saveexec_b32 s4, s1
	s_delay_alu instid0(SALU_CYCLE_1)
	s_xor_b32 s1, exec_lo, s4
	s_cbranch_execz .LBB65_230
; %bb.229:
	v_div_scale_f32 v186, null, v185, v185, v184
	v_div_scale_f32 v189, vcc_lo, v184, v185, v184
	s_delay_alu instid0(VALU_DEP_2) | instskip(SKIP_1) | instid1(TRANS32_DEP_1)
	v_rcp_f32_e32 v187, v186
	v_nop
	v_fma_f32 v188, -v186, v187, 1.0
	s_delay_alu instid0(VALU_DEP_1) | instskip(NEXT) | instid1(VALU_DEP_1)
	v_fmac_f32_e32 v187, v188, v187
	v_mul_f32_e32 v188, v189, v187
	s_delay_alu instid0(VALU_DEP_1) | instskip(NEXT) | instid1(VALU_DEP_1)
	v_fma_f32 v190, -v186, v188, v189
	v_fmac_f32_e32 v188, v190, v187
	s_delay_alu instid0(VALU_DEP_1) | instskip(NEXT) | instid1(VALU_DEP_1)
	v_fma_f32 v186, -v186, v188, v189
	v_div_fmas_f32 v186, v186, v187, v188
	s_delay_alu instid0(VALU_DEP_1) | instskip(NEXT) | instid1(VALU_DEP_1)
	v_div_fixup_f32 v186, v186, v185, v184
	v_fmac_f32_e32 v185, v184, v186
	s_delay_alu instid0(VALU_DEP_1) | instskip(SKIP_1) | instid1(VALU_DEP_2)
	v_div_scale_f32 v184, null, v185, v185, 1.0
	v_div_scale_f32 v189, vcc_lo, 1.0, v185, 1.0
	v_rcp_f32_e32 v187, v184
	v_nop
	s_delay_alu instid0(TRANS32_DEP_1) | instskip(NEXT) | instid1(VALU_DEP_1)
	v_fma_f32 v188, -v184, v187, 1.0
	v_fmac_f32_e32 v187, v188, v187
	s_delay_alu instid0(VALU_DEP_1) | instskip(NEXT) | instid1(VALU_DEP_1)
	v_mul_f32_e32 v188, v189, v187
	v_fma_f32 v190, -v184, v188, v189
	s_delay_alu instid0(VALU_DEP_1) | instskip(NEXT) | instid1(VALU_DEP_1)
	v_fmac_f32_e32 v188, v190, v187
	v_fma_f32 v184, -v184, v188, v189
	s_delay_alu instid0(VALU_DEP_1) | instskip(NEXT) | instid1(VALU_DEP_1)
	v_div_fmas_f32 v184, v184, v187, v188
	v_div_fixup_f32 v184, v184, v185, 1.0
	s_delay_alu instid0(VALU_DEP_1)
	v_mul_f32_e32 v186, v186, v184
	v_xor_b32_e32 v187, 0x80000000, v184
                                        ; implicit-def: $vgpr184_vgpr185
.LBB65_230:
	s_and_not1_saveexec_b32 s1, s1
	s_cbranch_execz .LBB65_232
; %bb.231:
	v_div_scale_f32 v186, null, v184, v184, v185
	v_div_scale_f32 v189, vcc_lo, v185, v184, v185
	s_delay_alu instid0(VALU_DEP_2) | instskip(SKIP_1) | instid1(TRANS32_DEP_1)
	v_rcp_f32_e32 v187, v186
	v_nop
	v_fma_f32 v188, -v186, v187, 1.0
	s_delay_alu instid0(VALU_DEP_1) | instskip(NEXT) | instid1(VALU_DEP_1)
	v_fmac_f32_e32 v187, v188, v187
	v_mul_f32_e32 v188, v189, v187
	s_delay_alu instid0(VALU_DEP_1) | instskip(NEXT) | instid1(VALU_DEP_1)
	v_fma_f32 v190, -v186, v188, v189
	v_fmac_f32_e32 v188, v190, v187
	s_delay_alu instid0(VALU_DEP_1) | instskip(NEXT) | instid1(VALU_DEP_1)
	v_fma_f32 v186, -v186, v188, v189
	v_div_fmas_f32 v186, v186, v187, v188
	s_delay_alu instid0(VALU_DEP_1) | instskip(NEXT) | instid1(VALU_DEP_1)
	v_div_fixup_f32 v187, v186, v184, v185
	v_fmac_f32_e32 v184, v185, v187
	s_delay_alu instid0(VALU_DEP_1) | instskip(NEXT) | instid1(VALU_DEP_1)
	v_div_scale_f32 v185, null, v184, v184, 1.0
	v_rcp_f32_e32 v186, v185
	v_nop
	s_delay_alu instid0(TRANS32_DEP_1) | instskip(NEXT) | instid1(VALU_DEP_1)
	v_fma_f32 v188, -v185, v186, 1.0
	v_fmac_f32_e32 v186, v188, v186
	v_div_scale_f32 v188, vcc_lo, 1.0, v184, 1.0
	s_delay_alu instid0(VALU_DEP_1) | instskip(NEXT) | instid1(VALU_DEP_1)
	v_mul_f32_e32 v189, v188, v186
	v_fma_f32 v190, -v185, v189, v188
	s_delay_alu instid0(VALU_DEP_1) | instskip(NEXT) | instid1(VALU_DEP_1)
	v_fmac_f32_e32 v189, v190, v186
	v_fma_f32 v185, -v185, v189, v188
	s_delay_alu instid0(VALU_DEP_1) | instskip(NEXT) | instid1(VALU_DEP_1)
	v_div_fmas_f32 v185, v185, v186, v189
	v_div_fixup_f32 v186, v185, v184, 1.0
	s_delay_alu instid0(VALU_DEP_1)
	v_mul_f32_e64 v187, v187, -v186
.LBB65_232:
	s_or_b32 exec_lo, exec_lo, s1
	ds_store_b64 v201, v[186:187]
.LBB65_233:
	s_or_b32 exec_lo, exec_lo, s2
	s_wait_dscnt 0x0
	s_barrier_signal -1
	s_barrier_wait -1
	ds_load_b64 v[184:185], v201
	s_mov_b32 s1, exec_lo
	v_cmpx_lt_u32_e32 25, v200
	s_cbranch_execz .LBB65_235
; %bb.234:
	ds_load_2addr_b64 v[186:189], v202 offset0:26 offset1:27
	ds_load_2addr_b64 v[190:193], v202 offset0:28 offset1:29
	;; [unrolled: 1-line block ×3, first 2 shown]
	ds_load_b64 v[204:205], v202 offset:256
	s_wait_dscnt 0x4
	v_pk_mul_f32 v[198:199], v[184:185], v[112:113] op_sel:[1,1] op_sel_hi:[0,1]
	s_delay_alu instid0(VALU_DEP_1) | instskip(SKIP_1) | instid1(VALU_DEP_1)
	v_pk_fma_f32 v[206:207], v[184:185], v[112:113], v[198:199] op_sel_hi:[1,0,1] neg_lo:[0,0,1] neg_hi:[0,0,1]
	v_pk_fma_f32 v[198:199], v[184:185], v[112:113], v[198:199] op_sel_hi:[1,0,1]
	v_dual_mov_b32 v112, v206 :: v_dual_mov_b32 v113, v199
	s_wait_dscnt 0x3
	s_delay_alu instid0(VALU_DEP_2)
	v_pk_mul_f32 v[208:209], v[186:187], v[198:199] op_sel:[0,1]
	v_pk_mul_f32 v[210:211], v[188:189], v[198:199] op_sel:[0,1]
	s_wait_dscnt 0x2
	v_pk_mul_f32 v[212:213], v[190:191], v[198:199] op_sel:[0,1]
	v_dual_mov_b32 v214, v193 :: v_dual_mov_b32 v215, v192
	v_dual_mul_f32 v216, v193, v199 :: v_dual_mul_f32 v218, v193, v206
	s_wait_dscnt 0x1
	v_pk_mul_f32 v[220:221], v[194:195], v[198:199] op_sel:[0,1]
	v_pk_mul_f32 v[222:223], v[196:197], v[198:199] op_sel:[0,1]
	v_pk_fma_f32 v[224:225], v[186:187], v[206:207], v[208:209] op_sel:[0,0,1] op_sel_hi:[1,1,0] neg_lo:[0,0,1] neg_hi:[0,0,1]
	v_pk_fma_f32 v[186:187], v[186:187], v[206:207], v[208:209] op_sel:[0,0,1] op_sel_hi:[1,0,0]
	s_wait_dscnt 0x0
	v_pk_mul_f32 v[198:199], v[204:205], v[198:199] op_sel:[0,1]
	v_pk_fma_f32 v[208:209], v[188:189], v[206:207], v[210:211] op_sel:[0,0,1] op_sel_hi:[1,1,0] neg_lo:[0,0,1] neg_hi:[0,0,1]
	v_pk_fma_f32 v[188:189], v[188:189], v[206:207], v[210:211] op_sel:[0,0,1] op_sel_hi:[1,0,0]
	v_pk_fma_f32 v[210:211], v[190:191], v[206:207], v[212:213] op_sel:[0,0,1] op_sel_hi:[1,1,0] neg_lo:[0,0,1] neg_hi:[0,0,1]
	v_pk_fma_f32 v[190:191], v[190:191], v[206:207], v[212:213] op_sel:[0,0,1] op_sel_hi:[1,0,0]
	v_pk_fma_f32 v[212:213], v[214:215], v[112:113], v[218:219] op_sel_hi:[1,1,0]
	v_pk_fma_f32 v[214:215], v[194:195], v[206:207], v[220:221] op_sel:[0,0,1] op_sel_hi:[1,1,0] neg_lo:[0,0,1] neg_hi:[0,0,1]
	v_pk_fma_f32 v[194:195], v[194:195], v[206:207], v[220:221] op_sel:[0,0,1] op_sel_hi:[1,0,0]
	v_dual_mov_b32 v225, v187 :: v_dual_mov_b32 v209, v189
	v_pk_fma_f32 v[186:187], v[196:197], v[206:207], v[222:223] op_sel:[0,0,1] op_sel_hi:[1,0,0]
	v_pk_fma_f32 v[188:189], v[204:205], v[206:207], v[198:199] op_sel:[0,0,1] op_sel_hi:[1,0,0]
	v_mov_b32_e32 v211, v191
	v_pk_fma_f32 v[190:191], v[196:197], v[206:207], v[222:223] op_sel:[0,0,1] op_sel_hi:[1,1,0] neg_lo:[0,0,1] neg_hi:[0,0,1]
	v_pk_fma_f32 v[192:193], v[192:193], v[112:113], v[216:217] op_sel_hi:[1,1,0] neg_lo:[0,0,1] neg_hi:[0,0,1]
	v_dual_mov_b32 v215, v195 :: v_dual_mov_b32 v191, v187
	v_pk_fma_f32 v[186:187], v[204:205], v[206:207], v[198:199] op_sel:[0,0,1] op_sel_hi:[1,1,0] neg_lo:[0,0,1] neg_hi:[0,0,1]
	v_dual_mov_b32 v193, v213 :: v_dual_mov_b32 v187, v189
	v_pk_add_f32 v[116:117], v[116:117], v[224:225] neg_lo:[0,1] neg_hi:[0,1]
	v_pk_add_f32 v[110:111], v[110:111], v[208:209] neg_lo:[0,1] neg_hi:[0,1]
	v_pk_add_f32 v[114:115], v[114:115], v[210:211] neg_lo:[0,1] neg_hi:[0,1]
	s_delay_alu instid0(VALU_DEP_4)
	v_pk_add_f32 v[124:125], v[124:125], v[192:193] neg_lo:[0,1] neg_hi:[0,1]
	v_pk_add_f32 v[122:123], v[122:123], v[214:215] neg_lo:[0,1] neg_hi:[0,1]
	;; [unrolled: 1-line block ×4, first 2 shown]
.LBB65_235:
	s_or_b32 exec_lo, exec_lo, s1
	s_delay_alu instid0(SALU_CYCLE_1)
	s_mov_b32 s2, exec_lo
	s_wait_dscnt 0x0
	s_barrier_signal -1
	s_barrier_wait -1
	v_cmpx_eq_u32_e32 26, v200
	s_cbranch_execz .LBB65_242
; %bb.236:
	ds_store_b64 v201, v[116:117]
	ds_store_2addr_b64 v202, v[110:111], v[114:115] offset0:27 offset1:28
	ds_store_2addr_b64 v202, v[124:125], v[122:123] offset0:29 offset1:30
	ds_store_2addr_b64 v202, v[120:121], v[130:131] offset0:31 offset1:32
	ds_load_b64 v[186:187], v201
	s_wait_dscnt 0x0
	v_cmp_neq_f32_e32 vcc_lo, 0, v186
	v_cmp_neq_f32_e64 s1, 0, v187
	s_or_b32 s1, vcc_lo, s1
	s_delay_alu instid0(SALU_CYCLE_1)
	s_and_b32 exec_lo, exec_lo, s1
	s_cbranch_execz .LBB65_242
; %bb.237:
	v_cmp_ngt_f32_e64 s1, |v186|, |v187|
                                        ; implicit-def: $vgpr188_vgpr189
	s_and_saveexec_b32 s4, s1
	s_delay_alu instid0(SALU_CYCLE_1)
	s_xor_b32 s1, exec_lo, s4
	s_cbranch_execz .LBB65_239
; %bb.238:
	v_div_scale_f32 v188, null, v187, v187, v186
	v_div_scale_f32 v191, vcc_lo, v186, v187, v186
	s_delay_alu instid0(VALU_DEP_2) | instskip(SKIP_1) | instid1(TRANS32_DEP_1)
	v_rcp_f32_e32 v189, v188
	v_nop
	v_fma_f32 v190, -v188, v189, 1.0
	s_delay_alu instid0(VALU_DEP_1) | instskip(NEXT) | instid1(VALU_DEP_1)
	v_fmac_f32_e32 v189, v190, v189
	v_mul_f32_e32 v190, v191, v189
	s_delay_alu instid0(VALU_DEP_1) | instskip(NEXT) | instid1(VALU_DEP_1)
	v_fma_f32 v192, -v188, v190, v191
	v_fmac_f32_e32 v190, v192, v189
	s_delay_alu instid0(VALU_DEP_1) | instskip(NEXT) | instid1(VALU_DEP_1)
	v_fma_f32 v188, -v188, v190, v191
	v_div_fmas_f32 v188, v188, v189, v190
	s_delay_alu instid0(VALU_DEP_1) | instskip(NEXT) | instid1(VALU_DEP_1)
	v_div_fixup_f32 v188, v188, v187, v186
	v_fmac_f32_e32 v187, v186, v188
	s_delay_alu instid0(VALU_DEP_1) | instskip(SKIP_1) | instid1(VALU_DEP_2)
	v_div_scale_f32 v186, null, v187, v187, 1.0
	v_div_scale_f32 v191, vcc_lo, 1.0, v187, 1.0
	v_rcp_f32_e32 v189, v186
	v_nop
	s_delay_alu instid0(TRANS32_DEP_1) | instskip(NEXT) | instid1(VALU_DEP_1)
	v_fma_f32 v190, -v186, v189, 1.0
	v_fmac_f32_e32 v189, v190, v189
	s_delay_alu instid0(VALU_DEP_1) | instskip(NEXT) | instid1(VALU_DEP_1)
	v_mul_f32_e32 v190, v191, v189
	v_fma_f32 v192, -v186, v190, v191
	s_delay_alu instid0(VALU_DEP_1) | instskip(NEXT) | instid1(VALU_DEP_1)
	v_fmac_f32_e32 v190, v192, v189
	v_fma_f32 v186, -v186, v190, v191
	s_delay_alu instid0(VALU_DEP_1) | instskip(NEXT) | instid1(VALU_DEP_1)
	v_div_fmas_f32 v186, v186, v189, v190
	v_div_fixup_f32 v186, v186, v187, 1.0
	s_delay_alu instid0(VALU_DEP_1)
	v_mul_f32_e32 v188, v188, v186
	v_xor_b32_e32 v189, 0x80000000, v186
                                        ; implicit-def: $vgpr186_vgpr187
.LBB65_239:
	s_and_not1_saveexec_b32 s1, s1
	s_cbranch_execz .LBB65_241
; %bb.240:
	v_div_scale_f32 v188, null, v186, v186, v187
	v_div_scale_f32 v191, vcc_lo, v187, v186, v187
	s_delay_alu instid0(VALU_DEP_2) | instskip(SKIP_1) | instid1(TRANS32_DEP_1)
	v_rcp_f32_e32 v189, v188
	v_nop
	v_fma_f32 v190, -v188, v189, 1.0
	s_delay_alu instid0(VALU_DEP_1) | instskip(NEXT) | instid1(VALU_DEP_1)
	v_fmac_f32_e32 v189, v190, v189
	v_mul_f32_e32 v190, v191, v189
	s_delay_alu instid0(VALU_DEP_1) | instskip(NEXT) | instid1(VALU_DEP_1)
	v_fma_f32 v192, -v188, v190, v191
	v_fmac_f32_e32 v190, v192, v189
	s_delay_alu instid0(VALU_DEP_1) | instskip(NEXT) | instid1(VALU_DEP_1)
	v_fma_f32 v188, -v188, v190, v191
	v_div_fmas_f32 v188, v188, v189, v190
	s_delay_alu instid0(VALU_DEP_1) | instskip(NEXT) | instid1(VALU_DEP_1)
	v_div_fixup_f32 v189, v188, v186, v187
	v_fmac_f32_e32 v186, v187, v189
	s_delay_alu instid0(VALU_DEP_1) | instskip(NEXT) | instid1(VALU_DEP_1)
	v_div_scale_f32 v187, null, v186, v186, 1.0
	v_rcp_f32_e32 v188, v187
	v_nop
	s_delay_alu instid0(TRANS32_DEP_1) | instskip(NEXT) | instid1(VALU_DEP_1)
	v_fma_f32 v190, -v187, v188, 1.0
	v_fmac_f32_e32 v188, v190, v188
	v_div_scale_f32 v190, vcc_lo, 1.0, v186, 1.0
	s_delay_alu instid0(VALU_DEP_1) | instskip(NEXT) | instid1(VALU_DEP_1)
	v_mul_f32_e32 v191, v190, v188
	v_fma_f32 v192, -v187, v191, v190
	s_delay_alu instid0(VALU_DEP_1) | instskip(NEXT) | instid1(VALU_DEP_1)
	v_fmac_f32_e32 v191, v192, v188
	v_fma_f32 v187, -v187, v191, v190
	s_delay_alu instid0(VALU_DEP_1) | instskip(NEXT) | instid1(VALU_DEP_1)
	v_div_fmas_f32 v187, v187, v188, v191
	v_div_fixup_f32 v188, v187, v186, 1.0
	s_delay_alu instid0(VALU_DEP_1)
	v_mul_f32_e64 v189, v189, -v188
.LBB65_241:
	s_or_b32 exec_lo, exec_lo, s1
	ds_store_b64 v201, v[188:189]
.LBB65_242:
	s_or_b32 exec_lo, exec_lo, s2
	s_wait_dscnt 0x0
	s_barrier_signal -1
	s_barrier_wait -1
	ds_load_b64 v[186:187], v201
	s_mov_b32 s1, exec_lo
	v_cmpx_lt_u32_e32 26, v200
	s_cbranch_execz .LBB65_244
; %bb.243:
	ds_load_2addr_b64 v[188:191], v202 offset0:27 offset1:28
	ds_load_2addr_b64 v[192:195], v202 offset0:29 offset1:30
	;; [unrolled: 1-line block ×3, first 2 shown]
	s_wait_dscnt 0x3
	v_pk_mul_f32 v[204:205], v[186:187], v[116:117] op_sel:[1,1] op_sel_hi:[0,1]
	s_delay_alu instid0(VALU_DEP_1) | instskip(SKIP_1) | instid1(VALU_DEP_1)
	v_pk_fma_f32 v[206:207], v[186:187], v[116:117], v[204:205] op_sel_hi:[1,0,1] neg_lo:[0,0,1] neg_hi:[0,0,1]
	v_pk_fma_f32 v[204:205], v[186:187], v[116:117], v[204:205] op_sel_hi:[1,0,1]
	v_dual_mov_b32 v116, v206 :: v_dual_mov_b32 v117, v205
	s_wait_dscnt 0x2
	s_delay_alu instid0(VALU_DEP_2)
	v_pk_mul_f32 v[208:209], v[188:189], v[204:205] op_sel:[0,1]
	v_pk_mul_f32 v[210:211], v[190:191], v[204:205] op_sel:[0,1]
	s_wait_dscnt 0x1
	v_pk_mul_f32 v[212:213], v[192:193], v[204:205] op_sel:[0,1]
	v_dual_mov_b32 v214, v195 :: v_dual_mov_b32 v215, v194
	v_dual_mul_f32 v216, v195, v205 :: v_dual_mul_f32 v218, v195, v206
	s_wait_dscnt 0x0
	v_pk_mul_f32 v[220:221], v[196:197], v[204:205] op_sel:[0,1]
	v_dual_mov_b32 v222, v199 :: v_dual_mov_b32 v223, v198
	v_dual_mul_f32 v204, v199, v205 :: v_dual_mul_f32 v224, v199, v206
	v_pk_fma_f32 v[226:227], v[188:189], v[206:207], v[208:209] op_sel:[0,0,1] op_sel_hi:[1,1,0] neg_lo:[0,0,1] neg_hi:[0,0,1]
	v_pk_fma_f32 v[188:189], v[188:189], v[206:207], v[208:209] op_sel:[0,0,1] op_sel_hi:[1,0,0]
	v_pk_fma_f32 v[208:209], v[190:191], v[206:207], v[210:211] op_sel:[0,0,1] op_sel_hi:[1,1,0] neg_lo:[0,0,1] neg_hi:[0,0,1]
	v_pk_fma_f32 v[190:191], v[190:191], v[206:207], v[210:211] op_sel:[0,0,1] op_sel_hi:[1,0,0]
	;; [unrolled: 2-line block ×3, first 2 shown]
	v_pk_fma_f32 v[212:213], v[214:215], v[116:117], v[218:219] op_sel_hi:[1,1,0]
	v_pk_fma_f32 v[214:215], v[196:197], v[206:207], v[220:221] op_sel:[0,0,1] op_sel_hi:[1,1,0] neg_lo:[0,0,1] neg_hi:[0,0,1]
	v_pk_fma_f32 v[196:197], v[196:197], v[206:207], v[220:221] op_sel:[0,0,1] op_sel_hi:[1,0,0]
	v_dual_mov_b32 v227, v189 :: v_dual_mov_b32 v209, v191
	v_pk_fma_f32 v[188:189], v[222:223], v[116:117], v[224:225] op_sel_hi:[1,1,0]
	v_pk_fma_f32 v[194:195], v[194:195], v[116:117], v[216:217] op_sel_hi:[1,1,0] neg_lo:[0,0,1] neg_hi:[0,0,1]
	v_pk_fma_f32 v[190:191], v[198:199], v[116:117], v[204:205] op_sel_hi:[1,1,0] neg_lo:[0,0,1] neg_hi:[0,0,1]
	v_dual_mov_b32 v211, v193 :: v_dual_mov_b32 v195, v213
	s_delay_alu instid0(VALU_DEP_4) | instskip(SKIP_2) | instid1(VALU_DEP_4)
	v_dual_mov_b32 v215, v197 :: v_dual_mov_b32 v191, v189
	v_pk_add_f32 v[110:111], v[110:111], v[226:227] neg_lo:[0,1] neg_hi:[0,1]
	v_pk_add_f32 v[114:115], v[114:115], v[208:209] neg_lo:[0,1] neg_hi:[0,1]
	;; [unrolled: 1-line block ×6, first 2 shown]
.LBB65_244:
	s_or_b32 exec_lo, exec_lo, s1
	s_delay_alu instid0(SALU_CYCLE_1)
	s_mov_b32 s2, exec_lo
	s_wait_dscnt 0x0
	s_barrier_signal -1
	s_barrier_wait -1
	v_cmpx_eq_u32_e32 27, v200
	s_cbranch_execz .LBB65_251
; %bb.245:
	v_dual_mov_b32 v188, v114 :: v_dual_mov_b32 v189, v115
	v_dual_mov_b32 v190, v124 :: v_dual_mov_b32 v191, v125
	;; [unrolled: 1-line block ×4, first 2 shown]
	ds_store_b64 v201, v[110:111]
	ds_store_2addr_b64 v202, v[188:189], v[190:191] offset0:28 offset1:29
	ds_store_2addr_b64 v202, v[192:193], v[194:195] offset0:30 offset1:31
	ds_store_b64 v202, v[130:131] offset:256
	ds_load_b64 v[188:189], v201
	s_wait_dscnt 0x0
	v_cmp_neq_f32_e32 vcc_lo, 0, v188
	v_cmp_neq_f32_e64 s1, 0, v189
	s_or_b32 s1, vcc_lo, s1
	s_delay_alu instid0(SALU_CYCLE_1)
	s_and_b32 exec_lo, exec_lo, s1
	s_cbranch_execz .LBB65_251
; %bb.246:
	v_cmp_ngt_f32_e64 s1, |v188|, |v189|
                                        ; implicit-def: $vgpr190_vgpr191
	s_and_saveexec_b32 s4, s1
	s_delay_alu instid0(SALU_CYCLE_1)
	s_xor_b32 s1, exec_lo, s4
	s_cbranch_execz .LBB65_248
; %bb.247:
	v_div_scale_f32 v190, null, v189, v189, v188
	v_div_scale_f32 v193, vcc_lo, v188, v189, v188
	s_delay_alu instid0(VALU_DEP_2) | instskip(SKIP_1) | instid1(TRANS32_DEP_1)
	v_rcp_f32_e32 v191, v190
	v_nop
	v_fma_f32 v192, -v190, v191, 1.0
	s_delay_alu instid0(VALU_DEP_1) | instskip(NEXT) | instid1(VALU_DEP_1)
	v_fmac_f32_e32 v191, v192, v191
	v_mul_f32_e32 v192, v193, v191
	s_delay_alu instid0(VALU_DEP_1) | instskip(NEXT) | instid1(VALU_DEP_1)
	v_fma_f32 v194, -v190, v192, v193
	v_fmac_f32_e32 v192, v194, v191
	s_delay_alu instid0(VALU_DEP_1) | instskip(NEXT) | instid1(VALU_DEP_1)
	v_fma_f32 v190, -v190, v192, v193
	v_div_fmas_f32 v190, v190, v191, v192
	s_delay_alu instid0(VALU_DEP_1) | instskip(NEXT) | instid1(VALU_DEP_1)
	v_div_fixup_f32 v190, v190, v189, v188
	v_fmac_f32_e32 v189, v188, v190
	s_delay_alu instid0(VALU_DEP_1) | instskip(SKIP_1) | instid1(VALU_DEP_2)
	v_div_scale_f32 v188, null, v189, v189, 1.0
	v_div_scale_f32 v193, vcc_lo, 1.0, v189, 1.0
	v_rcp_f32_e32 v191, v188
	v_nop
	s_delay_alu instid0(TRANS32_DEP_1) | instskip(NEXT) | instid1(VALU_DEP_1)
	v_fma_f32 v192, -v188, v191, 1.0
	v_fmac_f32_e32 v191, v192, v191
	s_delay_alu instid0(VALU_DEP_1) | instskip(NEXT) | instid1(VALU_DEP_1)
	v_mul_f32_e32 v192, v193, v191
	v_fma_f32 v194, -v188, v192, v193
	s_delay_alu instid0(VALU_DEP_1) | instskip(NEXT) | instid1(VALU_DEP_1)
	v_fmac_f32_e32 v192, v194, v191
	v_fma_f32 v188, -v188, v192, v193
	s_delay_alu instid0(VALU_DEP_1) | instskip(NEXT) | instid1(VALU_DEP_1)
	v_div_fmas_f32 v188, v188, v191, v192
	v_div_fixup_f32 v188, v188, v189, 1.0
	s_delay_alu instid0(VALU_DEP_1)
	v_mul_f32_e32 v190, v190, v188
	v_xor_b32_e32 v191, 0x80000000, v188
                                        ; implicit-def: $vgpr188_vgpr189
.LBB65_248:
	s_and_not1_saveexec_b32 s1, s1
	s_cbranch_execz .LBB65_250
; %bb.249:
	v_div_scale_f32 v190, null, v188, v188, v189
	v_div_scale_f32 v193, vcc_lo, v189, v188, v189
	s_delay_alu instid0(VALU_DEP_2) | instskip(SKIP_1) | instid1(TRANS32_DEP_1)
	v_rcp_f32_e32 v191, v190
	v_nop
	v_fma_f32 v192, -v190, v191, 1.0
	s_delay_alu instid0(VALU_DEP_1) | instskip(NEXT) | instid1(VALU_DEP_1)
	v_fmac_f32_e32 v191, v192, v191
	v_mul_f32_e32 v192, v193, v191
	s_delay_alu instid0(VALU_DEP_1) | instskip(NEXT) | instid1(VALU_DEP_1)
	v_fma_f32 v194, -v190, v192, v193
	v_fmac_f32_e32 v192, v194, v191
	s_delay_alu instid0(VALU_DEP_1) | instskip(NEXT) | instid1(VALU_DEP_1)
	v_fma_f32 v190, -v190, v192, v193
	v_div_fmas_f32 v190, v190, v191, v192
	s_delay_alu instid0(VALU_DEP_1) | instskip(NEXT) | instid1(VALU_DEP_1)
	v_div_fixup_f32 v191, v190, v188, v189
	v_fmac_f32_e32 v188, v189, v191
	s_delay_alu instid0(VALU_DEP_1) | instskip(NEXT) | instid1(VALU_DEP_1)
	v_div_scale_f32 v189, null, v188, v188, 1.0
	v_rcp_f32_e32 v190, v189
	v_nop
	s_delay_alu instid0(TRANS32_DEP_1) | instskip(NEXT) | instid1(VALU_DEP_1)
	v_fma_f32 v192, -v189, v190, 1.0
	v_fmac_f32_e32 v190, v192, v190
	v_div_scale_f32 v192, vcc_lo, 1.0, v188, 1.0
	s_delay_alu instid0(VALU_DEP_1) | instskip(NEXT) | instid1(VALU_DEP_1)
	v_mul_f32_e32 v193, v192, v190
	v_fma_f32 v194, -v189, v193, v192
	s_delay_alu instid0(VALU_DEP_1) | instskip(NEXT) | instid1(VALU_DEP_1)
	v_fmac_f32_e32 v193, v194, v190
	v_fma_f32 v189, -v189, v193, v192
	s_delay_alu instid0(VALU_DEP_1) | instskip(NEXT) | instid1(VALU_DEP_1)
	v_div_fmas_f32 v189, v189, v190, v193
	v_div_fixup_f32 v190, v189, v188, 1.0
	s_delay_alu instid0(VALU_DEP_1)
	v_mul_f32_e64 v191, v191, -v190
.LBB65_250:
	s_or_b32 exec_lo, exec_lo, s1
	ds_store_b64 v201, v[190:191]
.LBB65_251:
	s_or_b32 exec_lo, exec_lo, s2
	s_wait_dscnt 0x0
	s_barrier_signal -1
	s_barrier_wait -1
	ds_load_b64 v[188:189], v201
	s_mov_b32 s1, exec_lo
	v_cmpx_lt_u32_e32 27, v200
	s_cbranch_execz .LBB65_253
; %bb.252:
	ds_load_2addr_b64 v[190:193], v202 offset0:28 offset1:29
	ds_load_2addr_b64 v[194:197], v202 offset0:30 offset1:31
	ds_load_b64 v[198:199], v202 offset:256
	s_wait_dscnt 0x3
	v_pk_mul_f32 v[204:205], v[188:189], v[110:111] op_sel:[1,1] op_sel_hi:[0,1]
	s_delay_alu instid0(VALU_DEP_1) | instskip(SKIP_1) | instid1(VALU_DEP_1)
	v_pk_fma_f32 v[206:207], v[188:189], v[110:111], v[204:205] op_sel_hi:[1,0,1] neg_lo:[0,0,1] neg_hi:[0,0,1]
	v_pk_fma_f32 v[204:205], v[188:189], v[110:111], v[204:205] op_sel_hi:[1,0,1]
	v_dual_mov_b32 v110, v206 :: v_dual_mov_b32 v111, v205
	s_wait_dscnt 0x2
	s_delay_alu instid0(VALU_DEP_2)
	v_pk_mul_f32 v[208:209], v[190:191], v[204:205] op_sel:[0,1]
	v_pk_mul_f32 v[210:211], v[192:193], v[204:205] op_sel:[0,1]
	s_wait_dscnt 0x1
	v_pk_mul_f32 v[212:213], v[194:195], v[204:205] op_sel:[0,1]
	v_dual_mov_b32 v214, v197 :: v_dual_mov_b32 v215, v196
	v_dual_mul_f32 v216, v197, v205 :: v_dual_mul_f32 v218, v197, v206
	s_wait_dscnt 0x0
	v_pk_mul_f32 v[204:205], v[198:199], v[204:205] op_sel:[0,1]
	v_pk_fma_f32 v[220:221], v[190:191], v[206:207], v[208:209] op_sel:[0,0,1] op_sel_hi:[1,1,0] neg_lo:[0,0,1] neg_hi:[0,0,1]
	v_pk_fma_f32 v[190:191], v[190:191], v[206:207], v[208:209] op_sel:[0,0,1] op_sel_hi:[1,0,0]
	v_pk_fma_f32 v[208:209], v[192:193], v[206:207], v[210:211] op_sel:[0,0,1] op_sel_hi:[1,1,0] neg_lo:[0,0,1] neg_hi:[0,0,1]
	v_pk_fma_f32 v[192:193], v[192:193], v[206:207], v[210:211] op_sel:[0,0,1] op_sel_hi:[1,0,0]
	;; [unrolled: 2-line block ×3, first 2 shown]
	v_pk_fma_f32 v[212:213], v[214:215], v[110:111], v[218:219] op_sel_hi:[1,1,0]
	v_pk_fma_f32 v[214:215], v[198:199], v[206:207], v[204:205] op_sel:[0,0,1] op_sel_hi:[1,1,0] neg_lo:[0,0,1] neg_hi:[0,0,1]
	v_pk_fma_f32 v[198:199], v[198:199], v[206:207], v[204:205] op_sel:[0,0,1] op_sel_hi:[1,0,0]
	v_pk_fma_f32 v[196:197], v[196:197], v[110:111], v[216:217] op_sel_hi:[1,1,0] neg_lo:[0,0,1] neg_hi:[0,0,1]
	v_dual_mov_b32 v221, v191 :: v_dual_mov_b32 v209, v193
	v_dual_mov_b32 v211, v195 :: v_dual_mov_b32 v197, v213
	s_delay_alu instid0(VALU_DEP_4) | instskip(NEXT) | instid1(VALU_DEP_3)
	v_mov_b32_e32 v215, v199
	v_pk_add_f32 v[114:115], v[114:115], v[220:221] neg_lo:[0,1] neg_hi:[0,1]
	s_delay_alu instid0(VALU_DEP_4) | instskip(NEXT) | instid1(VALU_DEP_4)
	v_pk_add_f32 v[124:125], v[124:125], v[208:209] neg_lo:[0,1] neg_hi:[0,1]
	v_pk_add_f32 v[122:123], v[122:123], v[210:211] neg_lo:[0,1] neg_hi:[0,1]
	;; [unrolled: 1-line block ×4, first 2 shown]
.LBB65_253:
	s_or_b32 exec_lo, exec_lo, s1
	s_delay_alu instid0(SALU_CYCLE_1)
	s_mov_b32 s2, exec_lo
	s_wait_dscnt 0x0
	s_barrier_signal -1
	s_barrier_wait -1
	v_cmpx_eq_u32_e32 28, v200
	s_cbranch_execz .LBB65_260
; %bb.254:
	ds_store_b64 v201, v[114:115]
	ds_store_2addr_b64 v202, v[124:125], v[122:123] offset0:29 offset1:30
	ds_store_2addr_b64 v202, v[120:121], v[130:131] offset0:31 offset1:32
	ds_load_b64 v[190:191], v201
	s_wait_dscnt 0x0
	v_cmp_neq_f32_e32 vcc_lo, 0, v190
	v_cmp_neq_f32_e64 s1, 0, v191
	s_or_b32 s1, vcc_lo, s1
	s_delay_alu instid0(SALU_CYCLE_1)
	s_and_b32 exec_lo, exec_lo, s1
	s_cbranch_execz .LBB65_260
; %bb.255:
	v_cmp_ngt_f32_e64 s1, |v190|, |v191|
                                        ; implicit-def: $vgpr192_vgpr193
	s_and_saveexec_b32 s4, s1
	s_delay_alu instid0(SALU_CYCLE_1)
	s_xor_b32 s1, exec_lo, s4
	s_cbranch_execz .LBB65_257
; %bb.256:
	v_div_scale_f32 v192, null, v191, v191, v190
	v_div_scale_f32 v195, vcc_lo, v190, v191, v190
	s_delay_alu instid0(VALU_DEP_2) | instskip(SKIP_1) | instid1(TRANS32_DEP_1)
	v_rcp_f32_e32 v193, v192
	v_nop
	v_fma_f32 v194, -v192, v193, 1.0
	s_delay_alu instid0(VALU_DEP_1) | instskip(NEXT) | instid1(VALU_DEP_1)
	v_fmac_f32_e32 v193, v194, v193
	v_mul_f32_e32 v194, v195, v193
	s_delay_alu instid0(VALU_DEP_1) | instskip(NEXT) | instid1(VALU_DEP_1)
	v_fma_f32 v196, -v192, v194, v195
	v_fmac_f32_e32 v194, v196, v193
	s_delay_alu instid0(VALU_DEP_1) | instskip(NEXT) | instid1(VALU_DEP_1)
	v_fma_f32 v192, -v192, v194, v195
	v_div_fmas_f32 v192, v192, v193, v194
	s_delay_alu instid0(VALU_DEP_1) | instskip(NEXT) | instid1(VALU_DEP_1)
	v_div_fixup_f32 v192, v192, v191, v190
	v_fmac_f32_e32 v191, v190, v192
	s_delay_alu instid0(VALU_DEP_1) | instskip(SKIP_1) | instid1(VALU_DEP_2)
	v_div_scale_f32 v190, null, v191, v191, 1.0
	v_div_scale_f32 v195, vcc_lo, 1.0, v191, 1.0
	v_rcp_f32_e32 v193, v190
	v_nop
	s_delay_alu instid0(TRANS32_DEP_1) | instskip(NEXT) | instid1(VALU_DEP_1)
	v_fma_f32 v194, -v190, v193, 1.0
	v_fmac_f32_e32 v193, v194, v193
	s_delay_alu instid0(VALU_DEP_1) | instskip(NEXT) | instid1(VALU_DEP_1)
	v_mul_f32_e32 v194, v195, v193
	v_fma_f32 v196, -v190, v194, v195
	s_delay_alu instid0(VALU_DEP_1) | instskip(NEXT) | instid1(VALU_DEP_1)
	v_fmac_f32_e32 v194, v196, v193
	v_fma_f32 v190, -v190, v194, v195
	s_delay_alu instid0(VALU_DEP_1) | instskip(NEXT) | instid1(VALU_DEP_1)
	v_div_fmas_f32 v190, v190, v193, v194
	v_div_fixup_f32 v190, v190, v191, 1.0
	s_delay_alu instid0(VALU_DEP_1)
	v_mul_f32_e32 v192, v192, v190
	v_xor_b32_e32 v193, 0x80000000, v190
                                        ; implicit-def: $vgpr190_vgpr191
.LBB65_257:
	s_and_not1_saveexec_b32 s1, s1
	s_cbranch_execz .LBB65_259
; %bb.258:
	v_div_scale_f32 v192, null, v190, v190, v191
	v_div_scale_f32 v195, vcc_lo, v191, v190, v191
	s_delay_alu instid0(VALU_DEP_2) | instskip(SKIP_1) | instid1(TRANS32_DEP_1)
	v_rcp_f32_e32 v193, v192
	v_nop
	v_fma_f32 v194, -v192, v193, 1.0
	s_delay_alu instid0(VALU_DEP_1) | instskip(NEXT) | instid1(VALU_DEP_1)
	v_fmac_f32_e32 v193, v194, v193
	v_mul_f32_e32 v194, v195, v193
	s_delay_alu instid0(VALU_DEP_1) | instskip(NEXT) | instid1(VALU_DEP_1)
	v_fma_f32 v196, -v192, v194, v195
	v_fmac_f32_e32 v194, v196, v193
	s_delay_alu instid0(VALU_DEP_1) | instskip(NEXT) | instid1(VALU_DEP_1)
	v_fma_f32 v192, -v192, v194, v195
	v_div_fmas_f32 v192, v192, v193, v194
	s_delay_alu instid0(VALU_DEP_1) | instskip(NEXT) | instid1(VALU_DEP_1)
	v_div_fixup_f32 v193, v192, v190, v191
	v_fmac_f32_e32 v190, v191, v193
	s_delay_alu instid0(VALU_DEP_1) | instskip(NEXT) | instid1(VALU_DEP_1)
	v_div_scale_f32 v191, null, v190, v190, 1.0
	v_rcp_f32_e32 v192, v191
	v_nop
	s_delay_alu instid0(TRANS32_DEP_1) | instskip(NEXT) | instid1(VALU_DEP_1)
	v_fma_f32 v194, -v191, v192, 1.0
	v_fmac_f32_e32 v192, v194, v192
	v_div_scale_f32 v194, vcc_lo, 1.0, v190, 1.0
	s_delay_alu instid0(VALU_DEP_1) | instskip(NEXT) | instid1(VALU_DEP_1)
	v_mul_f32_e32 v195, v194, v192
	v_fma_f32 v196, -v191, v195, v194
	s_delay_alu instid0(VALU_DEP_1) | instskip(NEXT) | instid1(VALU_DEP_1)
	v_fmac_f32_e32 v195, v196, v192
	v_fma_f32 v191, -v191, v195, v194
	s_delay_alu instid0(VALU_DEP_1) | instskip(NEXT) | instid1(VALU_DEP_1)
	v_div_fmas_f32 v191, v191, v192, v195
	v_div_fixup_f32 v192, v191, v190, 1.0
	s_delay_alu instid0(VALU_DEP_1)
	v_mul_f32_e64 v193, v193, -v192
.LBB65_259:
	s_or_b32 exec_lo, exec_lo, s1
	ds_store_b64 v201, v[192:193]
.LBB65_260:
	s_or_b32 exec_lo, exec_lo, s2
	s_wait_dscnt 0x0
	s_barrier_signal -1
	s_barrier_wait -1
	ds_load_b64 v[190:191], v201
	s_mov_b32 s1, exec_lo
	v_cmpx_lt_u32_e32 28, v200
	s_cbranch_execz .LBB65_262
; %bb.261:
	ds_load_2addr_b64 v[192:195], v202 offset0:29 offset1:30
	ds_load_2addr_b64 v[196:199], v202 offset0:31 offset1:32
	s_wait_dscnt 0x2
	v_pk_mul_f32 v[204:205], v[190:191], v[114:115] op_sel:[1,1] op_sel_hi:[0,1]
	s_delay_alu instid0(VALU_DEP_1) | instskip(SKIP_1) | instid1(VALU_DEP_1)
	v_pk_fma_f32 v[206:207], v[190:191], v[114:115], v[204:205] op_sel_hi:[1,0,1] neg_lo:[0,0,1] neg_hi:[0,0,1]
	v_pk_fma_f32 v[204:205], v[190:191], v[114:115], v[204:205] op_sel_hi:[1,0,1]
	v_dual_mov_b32 v114, v206 :: v_dual_mov_b32 v115, v205
	s_wait_dscnt 0x1
	s_delay_alu instid0(VALU_DEP_2)
	v_pk_mul_f32 v[208:209], v[192:193], v[204:205] op_sel:[0,1]
	s_wait_dscnt 0x0
	v_mov_b32_e32 v210, v199
	v_pk_mul_f32 v[212:213], v[194:195], v[204:205] op_sel:[0,1]
	v_pk_mul_f32 v[214:215], v[196:197], v[204:205] op_sel:[0,1]
	v_pk_fma_f32 v[216:217], v[192:193], v[206:207], v[208:209] op_sel:[0,0,1] op_sel_hi:[1,1,0] neg_lo:[0,0,1] neg_hi:[0,0,1]
	v_pk_fma_f32 v[192:193], v[192:193], v[206:207], v[208:209] op_sel:[0,0,1] op_sel_hi:[1,0,0]
	s_delay_alu instid0(VALU_DEP_1) | instskip(NEXT) | instid1(VALU_DEP_1)
	v_dual_mov_b32 v211, v198 :: v_dual_mov_b32 v217, v193
	v_pk_mul_f32 v[208:209], v[210:211], v[204:205] op_sel:[0,1]
	v_pk_fma_f32 v[210:211], v[194:195], v[206:207], v[212:213] op_sel:[0,0,1] op_sel_hi:[1,0,0]
	v_pk_fma_f32 v[194:195], v[194:195], v[206:207], v[212:213] op_sel:[0,0,1] op_sel_hi:[1,1,0] neg_lo:[0,0,1] neg_hi:[0,0,1]
	v_pk_fma_f32 v[212:213], v[196:197], v[206:207], v[214:215] op_sel:[0,0,1] op_sel_hi:[1,0,0]
	v_pk_fma_f32 v[196:197], v[196:197], v[206:207], v[214:215] op_sel:[0,0,1] op_sel_hi:[1,1,0] neg_lo:[0,0,1] neg_hi:[0,0,1]
	v_pk_fma_f32 v[192:193], v[198:199], v[206:207], v[208:209] op_sel_hi:[1,0,1]
	v_pk_fma_f32 v[198:199], v[198:199], v[206:207], v[208:209] neg_lo:[0,0,1] neg_hi:[0,0,1]
	s_delay_alu instid0(VALU_DEP_4) | instskip(SKIP_1) | instid1(VALU_DEP_4)
	v_dual_mov_b32 v195, v211 :: v_dual_mov_b32 v197, v213
	v_pk_add_f32 v[124:125], v[124:125], v[216:217] neg_lo:[0,1] neg_hi:[0,1]
	v_mov_b32_e32 v199, v193
	s_delay_alu instid0(VALU_DEP_3) | instskip(NEXT) | instid1(VALU_DEP_4)
	v_pk_add_f32 v[122:123], v[122:123], v[194:195] neg_lo:[0,1] neg_hi:[0,1]
	v_pk_add_f32 v[120:121], v[120:121], v[196:197] neg_lo:[0,1] neg_hi:[0,1]
	s_delay_alu instid0(VALU_DEP_3)
	v_pk_add_f32 v[130:131], v[130:131], v[198:199] neg_lo:[0,1] neg_hi:[0,1]
.LBB65_262:
	s_or_b32 exec_lo, exec_lo, s1
	s_delay_alu instid0(SALU_CYCLE_1)
	s_mov_b32 s2, exec_lo
	s_wait_dscnt 0x0
	s_barrier_signal -1
	s_barrier_wait -1
	v_cmpx_eq_u32_e32 29, v200
	s_cbranch_execz .LBB65_269
; %bb.263:
	v_dual_mov_b32 v192, v122 :: v_dual_mov_b32 v193, v123
	v_dual_mov_b32 v194, v120 :: v_dual_mov_b32 v195, v121
	ds_store_b64 v201, v[124:125]
	ds_store_2addr_b64 v202, v[192:193], v[194:195] offset0:30 offset1:31
	ds_store_b64 v202, v[130:131] offset:256
	ds_load_b64 v[192:193], v201
	s_wait_dscnt 0x0
	v_cmp_neq_f32_e32 vcc_lo, 0, v192
	v_cmp_neq_f32_e64 s1, 0, v193
	s_or_b32 s1, vcc_lo, s1
	s_delay_alu instid0(SALU_CYCLE_1)
	s_and_b32 exec_lo, exec_lo, s1
	s_cbranch_execz .LBB65_269
; %bb.264:
	v_cmp_ngt_f32_e64 s1, |v192|, |v193|
                                        ; implicit-def: $vgpr194_vgpr195
	s_and_saveexec_b32 s4, s1
	s_delay_alu instid0(SALU_CYCLE_1)
	s_xor_b32 s1, exec_lo, s4
	s_cbranch_execz .LBB65_266
; %bb.265:
	v_div_scale_f32 v194, null, v193, v193, v192
	v_div_scale_f32 v197, vcc_lo, v192, v193, v192
	s_delay_alu instid0(VALU_DEP_2) | instskip(SKIP_1) | instid1(TRANS32_DEP_1)
	v_rcp_f32_e32 v195, v194
	v_nop
	v_fma_f32 v196, -v194, v195, 1.0
	s_delay_alu instid0(VALU_DEP_1) | instskip(NEXT) | instid1(VALU_DEP_1)
	v_fmac_f32_e32 v195, v196, v195
	v_mul_f32_e32 v196, v197, v195
	s_delay_alu instid0(VALU_DEP_1) | instskip(NEXT) | instid1(VALU_DEP_1)
	v_fma_f32 v198, -v194, v196, v197
	v_fmac_f32_e32 v196, v198, v195
	s_delay_alu instid0(VALU_DEP_1) | instskip(NEXT) | instid1(VALU_DEP_1)
	v_fma_f32 v194, -v194, v196, v197
	v_div_fmas_f32 v194, v194, v195, v196
	s_delay_alu instid0(VALU_DEP_1) | instskip(NEXT) | instid1(VALU_DEP_1)
	v_div_fixup_f32 v194, v194, v193, v192
	v_fmac_f32_e32 v193, v192, v194
	s_delay_alu instid0(VALU_DEP_1) | instskip(SKIP_1) | instid1(VALU_DEP_2)
	v_div_scale_f32 v192, null, v193, v193, 1.0
	v_div_scale_f32 v197, vcc_lo, 1.0, v193, 1.0
	v_rcp_f32_e32 v195, v192
	v_nop
	s_delay_alu instid0(TRANS32_DEP_1) | instskip(NEXT) | instid1(VALU_DEP_1)
	v_fma_f32 v196, -v192, v195, 1.0
	v_fmac_f32_e32 v195, v196, v195
	s_delay_alu instid0(VALU_DEP_1) | instskip(NEXT) | instid1(VALU_DEP_1)
	v_mul_f32_e32 v196, v197, v195
	v_fma_f32 v198, -v192, v196, v197
	s_delay_alu instid0(VALU_DEP_1) | instskip(NEXT) | instid1(VALU_DEP_1)
	v_fmac_f32_e32 v196, v198, v195
	v_fma_f32 v192, -v192, v196, v197
	s_delay_alu instid0(VALU_DEP_1) | instskip(NEXT) | instid1(VALU_DEP_1)
	v_div_fmas_f32 v192, v192, v195, v196
	v_div_fixup_f32 v192, v192, v193, 1.0
	s_delay_alu instid0(VALU_DEP_1)
	v_mul_f32_e32 v194, v194, v192
	v_xor_b32_e32 v195, 0x80000000, v192
                                        ; implicit-def: $vgpr192_vgpr193
.LBB65_266:
	s_and_not1_saveexec_b32 s1, s1
	s_cbranch_execz .LBB65_268
; %bb.267:
	v_div_scale_f32 v194, null, v192, v192, v193
	v_div_scale_f32 v197, vcc_lo, v193, v192, v193
	s_delay_alu instid0(VALU_DEP_2) | instskip(SKIP_1) | instid1(TRANS32_DEP_1)
	v_rcp_f32_e32 v195, v194
	v_nop
	v_fma_f32 v196, -v194, v195, 1.0
	s_delay_alu instid0(VALU_DEP_1) | instskip(NEXT) | instid1(VALU_DEP_1)
	v_fmac_f32_e32 v195, v196, v195
	v_mul_f32_e32 v196, v197, v195
	s_delay_alu instid0(VALU_DEP_1) | instskip(NEXT) | instid1(VALU_DEP_1)
	v_fma_f32 v198, -v194, v196, v197
	v_fmac_f32_e32 v196, v198, v195
	s_delay_alu instid0(VALU_DEP_1) | instskip(NEXT) | instid1(VALU_DEP_1)
	v_fma_f32 v194, -v194, v196, v197
	v_div_fmas_f32 v194, v194, v195, v196
	s_delay_alu instid0(VALU_DEP_1) | instskip(NEXT) | instid1(VALU_DEP_1)
	v_div_fixup_f32 v195, v194, v192, v193
	v_fmac_f32_e32 v192, v193, v195
	s_delay_alu instid0(VALU_DEP_1) | instskip(NEXT) | instid1(VALU_DEP_1)
	v_div_scale_f32 v193, null, v192, v192, 1.0
	v_rcp_f32_e32 v194, v193
	v_nop
	s_delay_alu instid0(TRANS32_DEP_1) | instskip(NEXT) | instid1(VALU_DEP_1)
	v_fma_f32 v196, -v193, v194, 1.0
	v_fmac_f32_e32 v194, v196, v194
	v_div_scale_f32 v196, vcc_lo, 1.0, v192, 1.0
	s_delay_alu instid0(VALU_DEP_1) | instskip(NEXT) | instid1(VALU_DEP_1)
	v_mul_f32_e32 v197, v196, v194
	v_fma_f32 v198, -v193, v197, v196
	s_delay_alu instid0(VALU_DEP_1) | instskip(NEXT) | instid1(VALU_DEP_1)
	v_fmac_f32_e32 v197, v198, v194
	v_fma_f32 v193, -v193, v197, v196
	s_delay_alu instid0(VALU_DEP_1) | instskip(NEXT) | instid1(VALU_DEP_1)
	v_div_fmas_f32 v193, v193, v194, v197
	v_div_fixup_f32 v194, v193, v192, 1.0
	s_delay_alu instid0(VALU_DEP_1)
	v_mul_f32_e64 v195, v195, -v194
.LBB65_268:
	s_or_b32 exec_lo, exec_lo, s1
	ds_store_b64 v201, v[194:195]
.LBB65_269:
	s_or_b32 exec_lo, exec_lo, s2
	s_wait_dscnt 0x0
	s_barrier_signal -1
	s_barrier_wait -1
	ds_load_b64 v[192:193], v201
	s_mov_b32 s1, exec_lo
	v_cmpx_lt_u32_e32 29, v200
	s_cbranch_execz .LBB65_271
; %bb.270:
	ds_load_2addr_b64 v[194:197], v202 offset0:30 offset1:31
	ds_load_b64 v[198:199], v202 offset:256
	s_wait_dscnt 0x2
	v_pk_mul_f32 v[204:205], v[192:193], v[124:125] op_sel:[1,1] op_sel_hi:[0,1]
	s_delay_alu instid0(VALU_DEP_1) | instskip(SKIP_2) | instid1(VALU_DEP_2)
	v_pk_fma_f32 v[206:207], v[192:193], v[124:125], v[204:205] op_sel_hi:[1,0,1]
	v_pk_fma_f32 v[124:125], v[192:193], v[124:125], v[204:205] op_sel_hi:[1,0,1] neg_lo:[0,0,1] neg_hi:[0,0,1]
	s_wait_dscnt 0x1
	v_pk_mul_f32 v[204:205], v[194:195], v[206:207] op_sel:[0,1]
	v_pk_mul_f32 v[208:209], v[196:197], v[206:207] op_sel:[0,1]
	s_wait_dscnt 0x0
	v_pk_mul_f32 v[210:211], v[198:199], v[206:207] op_sel:[1,1] op_sel_hi:[0,1]
	s_delay_alu instid0(VALU_DEP_3) | instskip(SKIP_2) | instid1(VALU_DEP_4)
	v_pk_fma_f32 v[212:213], v[194:195], v[124:125], v[204:205] op_sel:[0,0,1] op_sel_hi:[1,1,0] neg_lo:[0,0,1] neg_hi:[0,0,1]
	v_pk_fma_f32 v[194:195], v[194:195], v[124:125], v[204:205] op_sel:[0,0,1] op_sel_hi:[1,0,0]
	v_pk_fma_f32 v[204:205], v[196:197], v[124:125], v[208:209] op_sel:[0,0,1] op_sel_hi:[1,0,0]
	v_pk_fma_f32 v[214:215], v[198:199], v[124:125], v[210:211] op_sel_hi:[1,0,1]
	v_pk_fma_f32 v[196:197], v[196:197], v[124:125], v[208:209] op_sel:[0,0,1] op_sel_hi:[1,1,0] neg_lo:[0,0,1] neg_hi:[0,0,1]
	v_pk_fma_f32 v[198:199], v[198:199], v[124:125], v[210:211] neg_lo:[0,0,1] neg_hi:[0,0,1]
	s_delay_alu instid0(VALU_DEP_4) | instskip(NEXT) | instid1(VALU_DEP_4)
	v_dual_mov_b32 v213, v195 :: v_dual_mov_b32 v197, v205
	v_dual_mov_b32 v199, v215 :: v_dual_mov_b32 v125, v207
	s_delay_alu instid0(VALU_DEP_2) | instskip(NEXT) | instid1(VALU_DEP_3)
	v_pk_add_f32 v[122:123], v[122:123], v[212:213] neg_lo:[0,1] neg_hi:[0,1]
	v_pk_add_f32 v[120:121], v[120:121], v[196:197] neg_lo:[0,1] neg_hi:[0,1]
	s_delay_alu instid0(VALU_DEP_3)
	v_pk_add_f32 v[130:131], v[130:131], v[198:199] neg_lo:[0,1] neg_hi:[0,1]
.LBB65_271:
	s_or_b32 exec_lo, exec_lo, s1
	s_delay_alu instid0(SALU_CYCLE_1)
	s_mov_b32 s2, exec_lo
	s_wait_dscnt 0x0
	s_barrier_signal -1
	s_barrier_wait -1
	v_cmpx_eq_u32_e32 30, v200
	s_cbranch_execz .LBB65_278
; %bb.272:
	ds_store_b64 v201, v[122:123]
	ds_store_2addr_b64 v202, v[120:121], v[130:131] offset0:31 offset1:32
	ds_load_b64 v[194:195], v201
	s_wait_dscnt 0x0
	v_cmp_neq_f32_e32 vcc_lo, 0, v194
	v_cmp_neq_f32_e64 s1, 0, v195
	s_or_b32 s1, vcc_lo, s1
	s_delay_alu instid0(SALU_CYCLE_1)
	s_and_b32 exec_lo, exec_lo, s1
	s_cbranch_execz .LBB65_278
; %bb.273:
	v_cmp_ngt_f32_e64 s1, |v194|, |v195|
                                        ; implicit-def: $vgpr196_vgpr197
	s_and_saveexec_b32 s4, s1
	s_delay_alu instid0(SALU_CYCLE_1)
	s_xor_b32 s1, exec_lo, s4
	s_cbranch_execz .LBB65_275
; %bb.274:
	v_div_scale_f32 v196, null, v195, v195, v194
	v_div_scale_f32 v199, vcc_lo, v194, v195, v194
	s_delay_alu instid0(VALU_DEP_2) | instskip(SKIP_1) | instid1(TRANS32_DEP_1)
	v_rcp_f32_e32 v197, v196
	v_nop
	v_fma_f32 v198, -v196, v197, 1.0
	s_delay_alu instid0(VALU_DEP_1) | instskip(NEXT) | instid1(VALU_DEP_1)
	v_fmac_f32_e32 v197, v198, v197
	v_mul_f32_e32 v198, v199, v197
	s_delay_alu instid0(VALU_DEP_1) | instskip(NEXT) | instid1(VALU_DEP_1)
	v_fma_f32 v203, -v196, v198, v199
	v_fmac_f32_e32 v198, v203, v197
	s_delay_alu instid0(VALU_DEP_1) | instskip(NEXT) | instid1(VALU_DEP_1)
	v_fma_f32 v196, -v196, v198, v199
	v_div_fmas_f32 v196, v196, v197, v198
	s_delay_alu instid0(VALU_DEP_1) | instskip(NEXT) | instid1(VALU_DEP_1)
	v_div_fixup_f32 v196, v196, v195, v194
	v_fmac_f32_e32 v195, v194, v196
	s_delay_alu instid0(VALU_DEP_1) | instskip(SKIP_1) | instid1(VALU_DEP_2)
	v_div_scale_f32 v194, null, v195, v195, 1.0
	v_div_scale_f32 v199, vcc_lo, 1.0, v195, 1.0
	v_rcp_f32_e32 v197, v194
	v_nop
	s_delay_alu instid0(TRANS32_DEP_1) | instskip(NEXT) | instid1(VALU_DEP_1)
	v_fma_f32 v198, -v194, v197, 1.0
	v_fmac_f32_e32 v197, v198, v197
	s_delay_alu instid0(VALU_DEP_1) | instskip(NEXT) | instid1(VALU_DEP_1)
	v_mul_f32_e32 v198, v199, v197
	v_fma_f32 v203, -v194, v198, v199
	s_delay_alu instid0(VALU_DEP_1) | instskip(NEXT) | instid1(VALU_DEP_1)
	v_fmac_f32_e32 v198, v203, v197
	v_fma_f32 v194, -v194, v198, v199
	s_delay_alu instid0(VALU_DEP_1) | instskip(NEXT) | instid1(VALU_DEP_1)
	v_div_fmas_f32 v194, v194, v197, v198
	v_div_fixup_f32 v194, v194, v195, 1.0
	s_delay_alu instid0(VALU_DEP_1)
	v_mul_f32_e32 v196, v196, v194
	v_xor_b32_e32 v197, 0x80000000, v194
                                        ; implicit-def: $vgpr194_vgpr195
.LBB65_275:
	s_and_not1_saveexec_b32 s1, s1
	s_cbranch_execz .LBB65_277
; %bb.276:
	v_div_scale_f32 v196, null, v194, v194, v195
	v_div_scale_f32 v199, vcc_lo, v195, v194, v195
	s_delay_alu instid0(VALU_DEP_2) | instskip(SKIP_1) | instid1(TRANS32_DEP_1)
	v_rcp_f32_e32 v197, v196
	v_nop
	v_fma_f32 v198, -v196, v197, 1.0
	s_delay_alu instid0(VALU_DEP_1) | instskip(NEXT) | instid1(VALU_DEP_1)
	v_fmac_f32_e32 v197, v198, v197
	v_mul_f32_e32 v198, v199, v197
	s_delay_alu instid0(VALU_DEP_1) | instskip(NEXT) | instid1(VALU_DEP_1)
	v_fma_f32 v203, -v196, v198, v199
	v_fmac_f32_e32 v198, v203, v197
	s_delay_alu instid0(VALU_DEP_1) | instskip(NEXT) | instid1(VALU_DEP_1)
	v_fma_f32 v196, -v196, v198, v199
	v_div_fmas_f32 v196, v196, v197, v198
	s_delay_alu instid0(VALU_DEP_1) | instskip(NEXT) | instid1(VALU_DEP_1)
	v_div_fixup_f32 v197, v196, v194, v195
	v_fmac_f32_e32 v194, v195, v197
	s_delay_alu instid0(VALU_DEP_1) | instskip(NEXT) | instid1(VALU_DEP_1)
	v_div_scale_f32 v195, null, v194, v194, 1.0
	v_rcp_f32_e32 v196, v195
	v_nop
	s_delay_alu instid0(TRANS32_DEP_1) | instskip(NEXT) | instid1(VALU_DEP_1)
	v_fma_f32 v198, -v195, v196, 1.0
	v_fmac_f32_e32 v196, v198, v196
	v_div_scale_f32 v198, vcc_lo, 1.0, v194, 1.0
	s_delay_alu instid0(VALU_DEP_1) | instskip(NEXT) | instid1(VALU_DEP_1)
	v_mul_f32_e32 v199, v198, v196
	v_fma_f32 v203, -v195, v199, v198
	s_delay_alu instid0(VALU_DEP_1) | instskip(NEXT) | instid1(VALU_DEP_1)
	v_fmac_f32_e32 v199, v203, v196
	v_fma_f32 v195, -v195, v199, v198
	s_delay_alu instid0(VALU_DEP_1) | instskip(NEXT) | instid1(VALU_DEP_1)
	v_div_fmas_f32 v195, v195, v196, v199
	v_div_fixup_f32 v196, v195, v194, 1.0
	s_delay_alu instid0(VALU_DEP_1)
	v_mul_f32_e64 v197, v197, -v196
.LBB65_277:
	s_or_b32 exec_lo, exec_lo, s1
	ds_store_b64 v201, v[196:197]
.LBB65_278:
	s_or_b32 exec_lo, exec_lo, s2
	s_wait_dscnt 0x0
	s_barrier_signal -1
	s_barrier_wait -1
	ds_load_b64 v[194:195], v201
	s_mov_b32 s1, exec_lo
	v_cmpx_lt_u32_e32 30, v200
	s_cbranch_execz .LBB65_280
; %bb.279:
	ds_load_2addr_b64 v[196:199], v202 offset0:31 offset1:32
	s_wait_dscnt 0x1
	v_pk_mul_f32 v[204:205], v[194:195], v[122:123] op_sel:[1,1] op_sel_hi:[0,1]
	s_delay_alu instid0(VALU_DEP_1) | instskip(SKIP_3) | instid1(VALU_DEP_3)
	v_pk_fma_f32 v[206:207], v[194:195], v[122:123], v[204:205] op_sel_hi:[1,0,1]
	v_pk_fma_f32 v[122:123], v[194:195], v[122:123], v[204:205] op_sel_hi:[1,0,1] neg_lo:[0,0,1] neg_hi:[0,0,1]
	s_wait_dscnt 0x0
	v_dual_mov_b32 v208, v199 :: v_dual_mov_b32 v209, v198
	v_pk_mul_f32 v[204:205], v[196:197], v[206:207] op_sel:[0,1]
	s_delay_alu instid0(VALU_DEP_2) | instskip(NEXT) | instid1(VALU_DEP_2)
	v_pk_mul_f32 v[208:209], v[208:209], v[206:207] op_sel:[0,1]
	v_pk_fma_f32 v[210:211], v[196:197], v[122:123], v[204:205] op_sel:[0,0,1] op_sel_hi:[1,0,0]
	v_pk_fma_f32 v[196:197], v[196:197], v[122:123], v[204:205] op_sel:[0,0,1] op_sel_hi:[1,1,0] neg_lo:[0,0,1] neg_hi:[0,0,1]
	s_delay_alu instid0(VALU_DEP_3) | instskip(SKIP_1) | instid1(VALU_DEP_4)
	v_pk_fma_f32 v[212:213], v[198:199], v[122:123], v[208:209] op_sel_hi:[1,0,1]
	v_pk_fma_f32 v[198:199], v[198:199], v[122:123], v[208:209] neg_lo:[0,0,1] neg_hi:[0,0,1]
	v_dual_mov_b32 v197, v211 :: v_dual_mov_b32 v123, v207
	s_delay_alu instid0(VALU_DEP_3) | instskip(NEXT) | instid1(VALU_DEP_2)
	v_mov_b32_e32 v199, v213
	v_pk_add_f32 v[120:121], v[120:121], v[196:197] neg_lo:[0,1] neg_hi:[0,1]
	s_delay_alu instid0(VALU_DEP_2)
	v_pk_add_f32 v[130:131], v[130:131], v[198:199] neg_lo:[0,1] neg_hi:[0,1]
.LBB65_280:
	s_or_b32 exec_lo, exec_lo, s1
	s_delay_alu instid0(SALU_CYCLE_1)
	s_mov_b32 s2, exec_lo
	s_wait_dscnt 0x0
	s_barrier_signal -1
	s_barrier_wait -1
	v_cmpx_eq_u32_e32 31, v200
	s_cbranch_execz .LBB65_287
; %bb.281:
	ds_store_b64 v201, v[120:121]
	ds_store_b64 v202, v[130:131] offset:256
	ds_load_b64 v[196:197], v201
	s_wait_dscnt 0x0
	v_cmp_neq_f32_e32 vcc_lo, 0, v196
	v_cmp_neq_f32_e64 s1, 0, v197
	s_or_b32 s1, vcc_lo, s1
	s_delay_alu instid0(SALU_CYCLE_1)
	s_and_b32 exec_lo, exec_lo, s1
	s_cbranch_execz .LBB65_287
; %bb.282:
	v_cmp_ngt_f32_e64 s1, |v196|, |v197|
                                        ; implicit-def: $vgpr198_vgpr199
	s_and_saveexec_b32 s4, s1
	s_delay_alu instid0(SALU_CYCLE_1)
	s_xor_b32 s1, exec_lo, s4
	s_cbranch_execz .LBB65_284
; %bb.283:
	v_div_scale_f32 v198, null, v197, v197, v196
	v_div_scale_f32 v204, vcc_lo, v196, v197, v196
	s_delay_alu instid0(VALU_DEP_2) | instskip(SKIP_1) | instid1(TRANS32_DEP_1)
	v_rcp_f32_e32 v199, v198
	v_nop
	v_fma_f32 v203, -v198, v199, 1.0
	s_delay_alu instid0(VALU_DEP_1) | instskip(NEXT) | instid1(VALU_DEP_1)
	v_fmac_f32_e32 v199, v203, v199
	v_mul_f32_e32 v203, v204, v199
	s_delay_alu instid0(VALU_DEP_1) | instskip(NEXT) | instid1(VALU_DEP_1)
	v_fma_f32 v205, -v198, v203, v204
	v_fmac_f32_e32 v203, v205, v199
	s_delay_alu instid0(VALU_DEP_1) | instskip(NEXT) | instid1(VALU_DEP_1)
	v_fma_f32 v198, -v198, v203, v204
	v_div_fmas_f32 v198, v198, v199, v203
	s_delay_alu instid0(VALU_DEP_1) | instskip(NEXT) | instid1(VALU_DEP_1)
	v_div_fixup_f32 v198, v198, v197, v196
	v_fmac_f32_e32 v197, v196, v198
	s_delay_alu instid0(VALU_DEP_1) | instskip(SKIP_1) | instid1(VALU_DEP_2)
	v_div_scale_f32 v196, null, v197, v197, 1.0
	v_div_scale_f32 v204, vcc_lo, 1.0, v197, 1.0
	v_rcp_f32_e32 v199, v196
	v_nop
	s_delay_alu instid0(TRANS32_DEP_1) | instskip(NEXT) | instid1(VALU_DEP_1)
	v_fma_f32 v203, -v196, v199, 1.0
	v_fmac_f32_e32 v199, v203, v199
	s_delay_alu instid0(VALU_DEP_1) | instskip(NEXT) | instid1(VALU_DEP_1)
	v_mul_f32_e32 v203, v204, v199
	v_fma_f32 v205, -v196, v203, v204
	s_delay_alu instid0(VALU_DEP_1) | instskip(NEXT) | instid1(VALU_DEP_1)
	v_fmac_f32_e32 v203, v205, v199
	v_fma_f32 v196, -v196, v203, v204
	s_delay_alu instid0(VALU_DEP_1) | instskip(NEXT) | instid1(VALU_DEP_1)
	v_div_fmas_f32 v196, v196, v199, v203
	v_div_fixup_f32 v196, v196, v197, 1.0
	s_delay_alu instid0(VALU_DEP_1)
	v_mul_f32_e32 v198, v198, v196
	v_xor_b32_e32 v199, 0x80000000, v196
                                        ; implicit-def: $vgpr196_vgpr197
.LBB65_284:
	s_and_not1_saveexec_b32 s1, s1
	s_cbranch_execz .LBB65_286
; %bb.285:
	v_div_scale_f32 v198, null, v196, v196, v197
	v_div_scale_f32 v204, vcc_lo, v197, v196, v197
	s_delay_alu instid0(VALU_DEP_2) | instskip(SKIP_1) | instid1(TRANS32_DEP_1)
	v_rcp_f32_e32 v199, v198
	v_nop
	v_fma_f32 v203, -v198, v199, 1.0
	s_delay_alu instid0(VALU_DEP_1) | instskip(NEXT) | instid1(VALU_DEP_1)
	v_fmac_f32_e32 v199, v203, v199
	v_mul_f32_e32 v203, v204, v199
	s_delay_alu instid0(VALU_DEP_1) | instskip(NEXT) | instid1(VALU_DEP_1)
	v_fma_f32 v205, -v198, v203, v204
	v_fmac_f32_e32 v203, v205, v199
	s_delay_alu instid0(VALU_DEP_1) | instskip(NEXT) | instid1(VALU_DEP_1)
	v_fma_f32 v198, -v198, v203, v204
	v_div_fmas_f32 v198, v198, v199, v203
	s_delay_alu instid0(VALU_DEP_1) | instskip(NEXT) | instid1(VALU_DEP_1)
	v_div_fixup_f32 v199, v198, v196, v197
	v_fmac_f32_e32 v196, v197, v199
	s_delay_alu instid0(VALU_DEP_1) | instskip(NEXT) | instid1(VALU_DEP_1)
	v_div_scale_f32 v197, null, v196, v196, 1.0
	v_rcp_f32_e32 v198, v197
	v_nop
	s_delay_alu instid0(TRANS32_DEP_1) | instskip(NEXT) | instid1(VALU_DEP_1)
	v_fma_f32 v203, -v197, v198, 1.0
	v_fmac_f32_e32 v198, v203, v198
	v_div_scale_f32 v203, vcc_lo, 1.0, v196, 1.0
	s_delay_alu instid0(VALU_DEP_1) | instskip(NEXT) | instid1(VALU_DEP_1)
	v_mul_f32_e32 v204, v203, v198
	v_fma_f32 v205, -v197, v204, v203
	s_delay_alu instid0(VALU_DEP_1) | instskip(NEXT) | instid1(VALU_DEP_1)
	v_fmac_f32_e32 v204, v205, v198
	v_fma_f32 v197, -v197, v204, v203
	s_delay_alu instid0(VALU_DEP_1) | instskip(NEXT) | instid1(VALU_DEP_1)
	v_div_fmas_f32 v197, v197, v198, v204
	v_div_fixup_f32 v198, v197, v196, 1.0
	s_delay_alu instid0(VALU_DEP_1)
	v_mul_f32_e64 v199, v199, -v198
.LBB65_286:
	s_or_b32 exec_lo, exec_lo, s1
	ds_store_b64 v201, v[198:199]
.LBB65_287:
	s_or_b32 exec_lo, exec_lo, s2
	s_wait_dscnt 0x0
	s_barrier_signal -1
	s_barrier_wait -1
	ds_load_b64 v[196:197], v201
	s_mov_b32 s1, exec_lo
	v_cmpx_lt_u32_e32 31, v200
	s_cbranch_execz .LBB65_289
; %bb.288:
	ds_load_b64 v[198:199], v202 offset:256
	s_wait_dscnt 0x1
	v_pk_mul_f32 v[202:203], v[196:197], v[120:121] op_sel:[1,1] op_sel_hi:[0,1]
	s_delay_alu instid0(VALU_DEP_1) | instskip(SKIP_2) | instid1(VALU_DEP_2)
	v_pk_fma_f32 v[204:205], v[196:197], v[120:121], v[202:203] op_sel_hi:[1,0,1]
	v_pk_fma_f32 v[120:121], v[196:197], v[120:121], v[202:203] op_sel_hi:[1,0,1] neg_lo:[0,0,1] neg_hi:[0,0,1]
	s_wait_dscnt 0x0
	v_pk_mul_f32 v[202:203], v[198:199], v[204:205] op_sel:[1,1] op_sel_hi:[0,1]
	s_delay_alu instid0(VALU_DEP_1) | instskip(SKIP_1) | instid1(VALU_DEP_2)
	v_pk_fma_f32 v[206:207], v[198:199], v[120:121], v[202:203] op_sel_hi:[1,0,1]
	v_pk_fma_f32 v[198:199], v[198:199], v[120:121], v[202:203] neg_lo:[0,0,1] neg_hi:[0,0,1]
	v_dual_mov_b32 v121, v205 :: v_dual_mov_b32 v199, v207
	s_delay_alu instid0(VALU_DEP_1)
	v_pk_add_f32 v[130:131], v[130:131], v[198:199] neg_lo:[0,1] neg_hi:[0,1]
.LBB65_289:
	s_or_b32 exec_lo, exec_lo, s1
	s_delay_alu instid0(SALU_CYCLE_1)
	s_mov_b32 s2, exec_lo
	s_wait_dscnt 0x0
	s_barrier_signal -1
	s_barrier_wait -1
	v_cmpx_eq_u32_e32 32, v200
	s_cbranch_execz .LBB65_296
; %bb.290:
	v_cmp_neq_f32_e32 vcc_lo, 0, v130
	v_cmp_neq_f32_e64 s1, 0, v131
	ds_store_b64 v201, v[130:131]
	s_or_b32 s1, vcc_lo, s1
	s_delay_alu instid0(SALU_CYCLE_1)
	s_and_b32 exec_lo, exec_lo, s1
	s_cbranch_execz .LBB65_296
; %bb.291:
	v_cmp_ngt_f32_e64 s1, |v130|, |v131|
                                        ; implicit-def: $vgpr198_vgpr199
	s_and_saveexec_b32 s4, s1
	s_delay_alu instid0(SALU_CYCLE_1)
	s_xor_b32 s1, exec_lo, s4
	s_cbranch_execz .LBB65_293
; %bb.292:
	v_div_scale_f32 v198, null, v131, v131, v130
	v_div_scale_f32 v203, vcc_lo, v130, v131, v130
	s_delay_alu instid0(VALU_DEP_2) | instskip(SKIP_1) | instid1(TRANS32_DEP_1)
	v_rcp_f32_e32 v199, v198
	v_nop
	v_fma_f32 v202, -v198, v199, 1.0
	s_delay_alu instid0(VALU_DEP_1) | instskip(NEXT) | instid1(VALU_DEP_1)
	v_fmac_f32_e32 v199, v202, v199
	v_mul_f32_e32 v202, v203, v199
	s_delay_alu instid0(VALU_DEP_1) | instskip(NEXT) | instid1(VALU_DEP_1)
	v_fma_f32 v204, -v198, v202, v203
	v_fmac_f32_e32 v202, v204, v199
	s_delay_alu instid0(VALU_DEP_1) | instskip(NEXT) | instid1(VALU_DEP_1)
	v_fma_f32 v198, -v198, v202, v203
	v_div_fmas_f32 v198, v198, v199, v202
	s_delay_alu instid0(VALU_DEP_1) | instskip(NEXT) | instid1(VALU_DEP_1)
	v_div_fixup_f32 v198, v198, v131, v130
	v_fma_f32 v199, v130, v198, v131
	s_delay_alu instid0(VALU_DEP_1) | instskip(SKIP_1) | instid1(VALU_DEP_2)
	v_div_scale_f32 v202, null, v199, v199, 1.0
	v_div_scale_f32 v205, vcc_lo, 1.0, v199, 1.0
	v_rcp_f32_e32 v203, v202
	v_nop
	s_delay_alu instid0(TRANS32_DEP_1) | instskip(NEXT) | instid1(VALU_DEP_1)
	v_fma_f32 v204, -v202, v203, 1.0
	v_fmac_f32_e32 v203, v204, v203
	s_delay_alu instid0(VALU_DEP_1) | instskip(NEXT) | instid1(VALU_DEP_1)
	v_mul_f32_e32 v204, v205, v203
	v_fma_f32 v206, -v202, v204, v205
	s_delay_alu instid0(VALU_DEP_1) | instskip(NEXT) | instid1(VALU_DEP_1)
	v_fmac_f32_e32 v204, v206, v203
	v_fma_f32 v202, -v202, v204, v205
	s_delay_alu instid0(VALU_DEP_1) | instskip(NEXT) | instid1(VALU_DEP_1)
	v_div_fmas_f32 v202, v202, v203, v204
	v_div_fixup_f32 v199, v202, v199, 1.0
	s_delay_alu instid0(VALU_DEP_1)
	v_mul_f32_e32 v198, v198, v199
	v_xor_b32_e32 v199, 0x80000000, v199
.LBB65_293:
	s_and_not1_saveexec_b32 s1, s1
	s_cbranch_execz .LBB65_295
; %bb.294:
	v_div_scale_f32 v198, null, v130, v130, v131
	v_div_scale_f32 v203, vcc_lo, v131, v130, v131
	s_delay_alu instid0(VALU_DEP_2) | instskip(SKIP_1) | instid1(TRANS32_DEP_1)
	v_rcp_f32_e32 v199, v198
	v_nop
	v_fma_f32 v202, -v198, v199, 1.0
	s_delay_alu instid0(VALU_DEP_1) | instskip(NEXT) | instid1(VALU_DEP_1)
	v_fmac_f32_e32 v199, v202, v199
	v_mul_f32_e32 v202, v203, v199
	s_delay_alu instid0(VALU_DEP_1) | instskip(NEXT) | instid1(VALU_DEP_1)
	v_fma_f32 v204, -v198, v202, v203
	v_fmac_f32_e32 v202, v204, v199
	s_delay_alu instid0(VALU_DEP_1) | instskip(NEXT) | instid1(VALU_DEP_1)
	v_fma_f32 v198, -v198, v202, v203
	v_div_fmas_f32 v198, v198, v199, v202
	s_delay_alu instid0(VALU_DEP_1) | instskip(NEXT) | instid1(VALU_DEP_1)
	v_div_fixup_f32 v199, v198, v130, v131
	v_fma_f32 v198, v131, v199, v130
	s_delay_alu instid0(VALU_DEP_1) | instskip(NEXT) | instid1(VALU_DEP_1)
	v_div_scale_f32 v202, null, v198, v198, 1.0
	v_rcp_f32_e32 v203, v202
	v_nop
	s_delay_alu instid0(TRANS32_DEP_1) | instskip(NEXT) | instid1(VALU_DEP_1)
	v_fma_f32 v204, -v202, v203, 1.0
	v_fmac_f32_e32 v203, v204, v203
	v_div_scale_f32 v204, vcc_lo, 1.0, v198, 1.0
	s_delay_alu instid0(VALU_DEP_1) | instskip(NEXT) | instid1(VALU_DEP_1)
	v_mul_f32_e32 v205, v204, v203
	v_fma_f32 v206, -v202, v205, v204
	s_delay_alu instid0(VALU_DEP_1) | instskip(NEXT) | instid1(VALU_DEP_1)
	v_fmac_f32_e32 v205, v206, v203
	v_fma_f32 v202, -v202, v205, v204
	s_delay_alu instid0(VALU_DEP_1) | instskip(NEXT) | instid1(VALU_DEP_1)
	v_div_fmas_f32 v202, v202, v203, v205
	v_div_fixup_f32 v198, v202, v198, 1.0
	s_delay_alu instid0(VALU_DEP_1)
	v_mul_f32_e64 v199, v199, -v198
.LBB65_295:
	s_or_b32 exec_lo, exec_lo, s1
	ds_store_b64 v201, v[198:199]
.LBB65_296:
	s_or_b32 exec_lo, exec_lo, s2
	s_wait_dscnt 0x0
	s_barrier_signal -1
	s_barrier_wait -1
	ds_load_b64 v[198:199], v201
	s_wait_dscnt 0x0
	s_barrier_signal -1
	s_barrier_wait -1
	s_and_saveexec_b32 s4, s0
	s_cbranch_execz .LBB65_299
; %bb.297:
	v_cmp_eq_f32_e32 vcc_lo, 0, v134
	v_cmp_eq_f32_e64 s0, 0, v135
	v_cmp_neq_f32_e64 s1, 0, v136
	v_cmp_neq_f32_e64 s2, 0, v137
	v_lshl_add_u64 v[2:3], v[2:3], 2, s[6:7]
	s_and_b32 s0, vcc_lo, s0
	s_delay_alu instid0(SALU_CYCLE_1)
	v_cndmask_b32_e64 v134, 0, 1, s0
	s_or_b32 s1, s1, s2
	global_load_b32 v135, v[2:3], off
	s_or_b32 vcc_lo, s1, s0
	v_cmp_eq_f32_e64 s0, 0, v139
	v_cndmask_b32_e32 v134, 2, v134, vcc_lo
	v_cmp_eq_f32_e32 vcc_lo, 0, v138
	s_delay_alu instid0(VALU_DEP_2) | instskip(SKIP_3) | instid1(SALU_CYCLE_1)
	v_cmp_eq_u32_e64 s1, 0, v134
	s_and_b32 s0, vcc_lo, s0
	v_cmp_eq_f32_e32 vcc_lo, 0, v140
	s_and_b32 s0, s0, s1
	v_cndmask_b32_e64 v134, v134, 3, s0
	v_cmp_eq_f32_e64 s0, 0, v141
	s_delay_alu instid0(VALU_DEP_2) | instskip(SKIP_3) | instid1(SALU_CYCLE_1)
	v_cmp_eq_u32_e64 s1, 0, v134
	s_and_b32 s0, vcc_lo, s0
	v_cmp_eq_f32_e32 vcc_lo, 0, v142
	s_and_b32 s0, s0, s1
	v_cndmask_b32_e64 v134, v134, 4, s0
	v_cmp_eq_f32_e64 s0, 0, v143
	;; [unrolled: 7-line block ×30, first 2 shown]
	s_delay_alu instid0(VALU_DEP_2) | instskip(SKIP_4) | instid1(SALU_CYCLE_1)
	v_cmp_eq_u32_e64 s1, 0, v134
	s_and_b32 s0, vcc_lo, s0
	s_wait_loadcnt 0x0
	v_cmp_eq_u32_e32 vcc_lo, 0, v135
	s_and_b32 s0, s0, s1
	v_cndmask_b32_e64 v134, v134, 33, s0
	s_delay_alu instid0(VALU_DEP_1) | instskip(SKIP_1) | instid1(SALU_CYCLE_1)
	v_cmp_ne_u32_e64 s0, 0, v134
	s_and_b32 s0, vcc_lo, s0
	s_and_b32 exec_lo, exec_lo, s0
	s_cbranch_execz .LBB65_299
; %bb.298:
	v_add_nc_u32_e32 v134, s3, v134
	global_store_b32 v[2:3], v134, off
.LBB65_299:
	s_wait_xcnt 0x0
	s_or_b32 exec_lo, exec_lo, s4
	v_pk_mul_f32 v[2:3], v[198:199], v[130:131] op_sel:[1,1] op_sel_hi:[0,1]
	s_clause 0x1
	global_store_b64 v[18:19], v[52:53], off
	global_store_b64 v[30:31], v[54:55], off
	v_cmp_lt_u32_e32 vcc_lo, 32, v200
	s_clause 0x2
	global_store_b64 v[6:7], v[44:45], off
	global_store_b64 v[12:13], v[42:43], off
	;; [unrolled: 1-line block ×3, first 2 shown]
	s_wait_xcnt 0x4
	v_pk_fma_f32 v[18:19], v[198:199], v[130:131], v[2:3] op_sel_hi:[1,0,1]
	v_pk_fma_f32 v[2:3], v[198:199], v[130:131], v[2:3] neg_lo:[0,0,1] neg_hi:[0,0,1]
	s_delay_alu instid0(VALU_DEP_1)
	v_dual_cndmask_b32 v3, v131, v19 :: v_dual_cndmask_b32 v2, v130, v2
	s_clause 0x1b
	global_store_b64 v[0:1], v[72:73], off
	global_store_b64 v[4:5], v[74:75], off
	;; [unrolled: 1-line block ×28, first 2 shown]
.LBB65_300:
	s_sendmsg sendmsg(MSG_DEALLOC_VGPRS)
	s_endpgm
	.section	.rodata,"a",@progbits
	.p2align	6, 0x0
	.amdhsa_kernel _ZN9rocsolver6v33100L23getf2_npvt_small_kernelILi33E19rocblas_complex_numIfEiiPS3_EEvT1_T3_lS5_lPT2_S5_S5_
		.amdhsa_group_segment_fixed_size 0
		.amdhsa_private_segment_fixed_size 0
		.amdhsa_kernarg_size 312
		.amdhsa_user_sgpr_count 2
		.amdhsa_user_sgpr_dispatch_ptr 0
		.amdhsa_user_sgpr_queue_ptr 0
		.amdhsa_user_sgpr_kernarg_segment_ptr 1
		.amdhsa_user_sgpr_dispatch_id 0
		.amdhsa_user_sgpr_kernarg_preload_length 0
		.amdhsa_user_sgpr_kernarg_preload_offset 0
		.amdhsa_user_sgpr_private_segment_size 0
		.amdhsa_wavefront_size32 1
		.amdhsa_uses_dynamic_stack 0
		.amdhsa_enable_private_segment 0
		.amdhsa_system_sgpr_workgroup_id_x 1
		.amdhsa_system_sgpr_workgroup_id_y 1
		.amdhsa_system_sgpr_workgroup_id_z 0
		.amdhsa_system_sgpr_workgroup_info 0
		.amdhsa_system_vgpr_workitem_id 1
		.amdhsa_next_free_vgpr 228
		.amdhsa_next_free_sgpr 15
		.amdhsa_named_barrier_count 0
		.amdhsa_reserve_vcc 1
		.amdhsa_float_round_mode_32 0
		.amdhsa_float_round_mode_16_64 0
		.amdhsa_float_denorm_mode_32 3
		.amdhsa_float_denorm_mode_16_64 3
		.amdhsa_fp16_overflow 0
		.amdhsa_memory_ordered 1
		.amdhsa_forward_progress 1
		.amdhsa_inst_pref_size 255
		.amdhsa_round_robin_scheduling 0
		.amdhsa_exception_fp_ieee_invalid_op 0
		.amdhsa_exception_fp_denorm_src 0
		.amdhsa_exception_fp_ieee_div_zero 0
		.amdhsa_exception_fp_ieee_overflow 0
		.amdhsa_exception_fp_ieee_underflow 0
		.amdhsa_exception_fp_ieee_inexact 0
		.amdhsa_exception_int_div_zero 0
	.end_amdhsa_kernel
	.section	.text._ZN9rocsolver6v33100L23getf2_npvt_small_kernelILi33E19rocblas_complex_numIfEiiPS3_EEvT1_T3_lS5_lPT2_S5_S5_,"axG",@progbits,_ZN9rocsolver6v33100L23getf2_npvt_small_kernelILi33E19rocblas_complex_numIfEiiPS3_EEvT1_T3_lS5_lPT2_S5_S5_,comdat
.Lfunc_end65:
	.size	_ZN9rocsolver6v33100L23getf2_npvt_small_kernelILi33E19rocblas_complex_numIfEiiPS3_EEvT1_T3_lS5_lPT2_S5_S5_, .Lfunc_end65-_ZN9rocsolver6v33100L23getf2_npvt_small_kernelILi33E19rocblas_complex_numIfEiiPS3_EEvT1_T3_lS5_lPT2_S5_S5_
                                        ; -- End function
	.set _ZN9rocsolver6v33100L23getf2_npvt_small_kernelILi33E19rocblas_complex_numIfEiiPS3_EEvT1_T3_lS5_lPT2_S5_S5_.num_vgpr, 228
	.set _ZN9rocsolver6v33100L23getf2_npvt_small_kernelILi33E19rocblas_complex_numIfEiiPS3_EEvT1_T3_lS5_lPT2_S5_S5_.num_agpr, 0
	.set _ZN9rocsolver6v33100L23getf2_npvt_small_kernelILi33E19rocblas_complex_numIfEiiPS3_EEvT1_T3_lS5_lPT2_S5_S5_.numbered_sgpr, 15
	.set _ZN9rocsolver6v33100L23getf2_npvt_small_kernelILi33E19rocblas_complex_numIfEiiPS3_EEvT1_T3_lS5_lPT2_S5_S5_.num_named_barrier, 0
	.set _ZN9rocsolver6v33100L23getf2_npvt_small_kernelILi33E19rocblas_complex_numIfEiiPS3_EEvT1_T3_lS5_lPT2_S5_S5_.private_seg_size, 0
	.set _ZN9rocsolver6v33100L23getf2_npvt_small_kernelILi33E19rocblas_complex_numIfEiiPS3_EEvT1_T3_lS5_lPT2_S5_S5_.uses_vcc, 1
	.set _ZN9rocsolver6v33100L23getf2_npvt_small_kernelILi33E19rocblas_complex_numIfEiiPS3_EEvT1_T3_lS5_lPT2_S5_S5_.uses_flat_scratch, 0
	.set _ZN9rocsolver6v33100L23getf2_npvt_small_kernelILi33E19rocblas_complex_numIfEiiPS3_EEvT1_T3_lS5_lPT2_S5_S5_.has_dyn_sized_stack, 0
	.set _ZN9rocsolver6v33100L23getf2_npvt_small_kernelILi33E19rocblas_complex_numIfEiiPS3_EEvT1_T3_lS5_lPT2_S5_S5_.has_recursion, 0
	.set _ZN9rocsolver6v33100L23getf2_npvt_small_kernelILi33E19rocblas_complex_numIfEiiPS3_EEvT1_T3_lS5_lPT2_S5_S5_.has_indirect_call, 0
	.section	.AMDGPU.csdata,"",@progbits
; Kernel info:
; codeLenInByte = 53392
; TotalNumSgprs: 17
; NumVgprs: 228
; ScratchSize: 0
; MemoryBound: 0
; FloatMode: 240
; IeeeMode: 1
; LDSByteSize: 0 bytes/workgroup (compile time only)
; SGPRBlocks: 0
; VGPRBlocks: 14
; NumSGPRsForWavesPerEU: 17
; NumVGPRsForWavesPerEU: 228
; NamedBarCnt: 0
; Occupancy: 4
; WaveLimiterHint : 0
; COMPUTE_PGM_RSRC2:SCRATCH_EN: 0
; COMPUTE_PGM_RSRC2:USER_SGPR: 2
; COMPUTE_PGM_RSRC2:TRAP_HANDLER: 0
; COMPUTE_PGM_RSRC2:TGID_X_EN: 1
; COMPUTE_PGM_RSRC2:TGID_Y_EN: 1
; COMPUTE_PGM_RSRC2:TGID_Z_EN: 0
; COMPUTE_PGM_RSRC2:TIDIG_COMP_CNT: 1
	.section	.text._ZN9rocsolver6v33100L18getf2_small_kernelILi34E19rocblas_complex_numIfEiiPS3_EEvT1_T3_lS5_lPS5_llPT2_S5_S5_S7_l,"axG",@progbits,_ZN9rocsolver6v33100L18getf2_small_kernelILi34E19rocblas_complex_numIfEiiPS3_EEvT1_T3_lS5_lPS5_llPT2_S5_S5_S7_l,comdat
	.globl	_ZN9rocsolver6v33100L18getf2_small_kernelILi34E19rocblas_complex_numIfEiiPS3_EEvT1_T3_lS5_lPS5_llPT2_S5_S5_S7_l ; -- Begin function _ZN9rocsolver6v33100L18getf2_small_kernelILi34E19rocblas_complex_numIfEiiPS3_EEvT1_T3_lS5_lPS5_llPT2_S5_S5_S7_l
	.p2align	8
	.type	_ZN9rocsolver6v33100L18getf2_small_kernelILi34E19rocblas_complex_numIfEiiPS3_EEvT1_T3_lS5_lPS5_llPT2_S5_S5_S7_l,@function
_ZN9rocsolver6v33100L18getf2_small_kernelILi34E19rocblas_complex_numIfEiiPS3_EEvT1_T3_lS5_lPS5_llPT2_S5_S5_S7_l: ; @_ZN9rocsolver6v33100L18getf2_small_kernelILi34E19rocblas_complex_numIfEiiPS3_EEvT1_T3_lS5_lPS5_llPT2_S5_S5_S7_l
; %bb.0:
	s_clause 0x1
	s_load_u16 s2, s[0:1], 0x6e
	s_load_b64 s[16:17], s[0:1], 0x48
	s_bfe_u32 s3, ttmp6, 0x40010
	s_bfe_u32 s4, ttmp6, 0x40004
	s_add_co_i32 s3, s3, 1
	s_getreg_b32 s5, hwreg(HW_REG_IB_STS2, 6, 4)
	s_mul_i32 s3, ttmp7, s3
	v_bfe_u32 v76, v0, 10, 10
	s_add_co_i32 s4, s4, s3
	s_cmp_eq_u32 s5, 0
	s_cselect_b32 s3, ttmp7, s4
	s_wait_kmcnt 0x0
	v_mad_u32 v2, s3, s2, v76
	s_mov_b32 s2, exec_lo
	s_delay_alu instid0(VALU_DEP_1)
	v_cmpx_gt_i32_e64 s16, v2
	s_cbranch_execz .LBB66_715
; %bb.1:
	s_load_b128 s[4:7], s[0:1], 0x50
	v_mov_b64_e32 v[4:5], 0
	v_ashrrev_i32_e32 v3, 31, v2
	s_wait_kmcnt 0x0
	s_cmp_eq_u64 s[4:5], 0
	s_cselect_b32 s16, -1, 0
	s_delay_alu instid0(SALU_CYCLE_1)
	s_and_b32 vcc_lo, exec_lo, s16
	s_cbranch_vccnz .LBB66_3
; %bb.2:
	v_mul_u64_e32 v[4:5], s[6:7], v[2:3]
	s_delay_alu instid0(VALU_DEP_1)
	v_lshl_add_u64 v[4:5], v[4:5], 2, s[4:5]
.LBB66_3:
	s_clause 0x2
	s_load_b32 s2, s[0:1], 0x18
	s_load_b128 s[12:15], s[0:1], 0x8
	s_load_b32 s18, s[0:1], 0x0
	v_and_b32_e32 v81, 0x3ff, v0
	s_load_b256 s[4:11], s[0:1], 0x20
	s_delay_alu instid0(VALU_DEP_1) | instskip(SKIP_4) | instid1(VALU_DEP_2)
	v_dual_mov_b32 v75, 0 :: v_dual_lshlrev_b32 v74, 3, v81
	s_wait_kmcnt 0x0
	v_add3_u32 v6, s2, s2, v81
	s_ashr_i32 s3, s2, 31
	v_mul_u64_e32 v[0:1], s[4:5], v[2:3]
	v_add_nc_u32_e32 v8, s2, v6
	s_max_i32 s4, s18, 34
	s_cmp_lt_i32 s18, 2
	s_delay_alu instid0(VALU_DEP_1) | instskip(NEXT) | instid1(VALU_DEP_1)
	v_add_nc_u32_e32 v10, s2, v8
	v_add_nc_u32_e32 v12, s2, v10
	s_delay_alu instid0(VALU_DEP_1) | instskip(NEXT) | instid1(VALU_DEP_1)
	v_add_nc_u32_e32 v14, s2, v12
	v_dual_ashrrev_i32 v9, 31, v8 :: v_dual_add_nc_u32 v16, s2, v14
	s_delay_alu instid0(VALU_DEP_1) | instskip(SKIP_1) | instid1(VALU_DEP_1)
	v_dual_ashrrev_i32 v15, 31, v14 :: v_dual_ashrrev_i32 v17, 31, v16
	v_dual_add_nc_u32 v18, s2, v16 :: v_dual_ashrrev_i32 v11, 31, v10
	v_dual_ashrrev_i32 v13, 31, v12 :: v_dual_add_nc_u32 v20, s2, v18
	v_lshl_add_u64 v[0:1], v[0:1], 3, s[12:13]
	s_delay_alu instid0(VALU_DEP_2) | instskip(NEXT) | instid1(VALU_DEP_2)
	v_add_nc_u32_e32 v22, s2, v20
	v_lshl_add_u64 v[0:1], s[14:15], 3, v[0:1]
	s_delay_alu instid0(VALU_DEP_2) | instskip(NEXT) | instid1(VALU_DEP_2)
	v_add_nc_u32_e32 v24, s2, v22
	v_lshl_add_u64 v[42:43], v[10:11], 3, v[0:1]
	v_add_nc_u64_e32 v[34:35], v[0:1], v[74:75]
	v_lshl_add_u64 v[12:13], v[12:13], 3, v[0:1]
	v_lshl_add_u64 v[14:15], v[14:15], 3, v[0:1]
	v_add_nc_u32_e32 v26, s2, v24
	v_lshl_add_u64 v[16:17], v[16:17], 3, v[0:1]
	v_lshl_add_u64 v[40:41], v[8:9], 3, v[0:1]
	v_ashrrev_i32_e32 v21, 31, v20
	s_delay_alu instid0(VALU_DEP_4) | instskip(SKIP_2) | instid1(VALU_DEP_4)
	v_dual_ashrrev_i32 v25, 31, v24 :: v_dual_add_nc_u32 v28, s2, v26
	v_ashrrev_i32_e32 v7, 31, v6
	v_ashrrev_i32_e32 v27, 31, v26
	v_lshl_add_u64 v[20:21], v[20:21], 3, v[0:1]
	s_delay_alu instid0(VALU_DEP_4) | instskip(NEXT) | instid1(VALU_DEP_4)
	v_add_nc_u32_e32 v30, s2, v28
	v_lshl_add_u64 v[36:37], v[6:7], 3, v[0:1]
	s_clause 0x3
	global_load_b64 v[52:53], v[42:43], off
	global_load_b64 v[8:9], v[12:13], off
	global_load_b64 v[10:11], v[14:15], off
	global_load_b64 v[6:7], v[16:17], off
	s_wait_xcnt 0x2
	v_lshl_add_u64 v[12:13], s[2:3], 3, v[34:35]
	s_clause 0x3
	global_load_b64 v[66:67], v[36:37], off
	global_load_b64 v[64:65], v[40:41], off
	;; [unrolled: 1-line block ×4, first 2 shown]
	v_add_nc_u32_e32 v32, s2, v30
	v_ashrrev_i32_e32 v19, 31, v18
	s_wait_xcnt 0x0
	v_lshl_add_u64 v[12:13], v[24:25], 3, v[0:1]
	v_ashrrev_i32_e32 v29, 31, v28
	v_add_nc_u32_e32 v38, s2, v32
	v_lshl_add_u64 v[46:47], v[18:19], 3, v[0:1]
	v_ashrrev_i32_e32 v33, 31, v32
	s_delay_alu instid0(VALU_DEP_4) | instskip(NEXT) | instid1(VALU_DEP_4)
	v_lshl_add_u64 v[28:29], v[28:29], 3, v[0:1]
	v_add_nc_u32_e32 v44, s2, v38
	v_ashrrev_i32_e32 v23, 31, v22
	v_ashrrev_i32_e32 v39, 31, v38
	v_lshl_add_u64 v[32:33], v[32:33], 3, v[0:1]
	s_delay_alu instid0(VALU_DEP_4) | instskip(NEXT) | instid1(VALU_DEP_4)
	v_add_nc_u32_e32 v48, s2, v44
	v_lshl_add_u64 v[22:23], v[22:23], 3, v[0:1]
	s_clause 0x3
	global_load_b64 v[54:55], v[46:47], off
	global_load_b64 v[16:17], v[20:21], off
	;; [unrolled: 1-line block ×4, first 2 shown]
	v_add_nc_u32_e32 v42, s2, v48
	s_wait_xcnt 0x2
	v_lshl_add_u64 v[20:21], v[26:27], 3, v[0:1]
	v_ashrrev_i32_e32 v45, 31, v44
	s_delay_alu instid0(VALU_DEP_3) | instskip(SKIP_1) | instid1(VALU_DEP_1)
	v_dual_ashrrev_i32 v49, 31, v48 :: v_dual_add_nc_u32 v34, s2, v42
	s_wait_xcnt 0x0
	v_add_nc_u32_e32 v12, s2, v34
	v_ashrrev_i32_e32 v31, 31, v30
	s_delay_alu instid0(VALU_DEP_2) | instskip(SKIP_1) | instid1(VALU_DEP_3)
	v_dual_ashrrev_i32 v35, 31, v34 :: v_dual_ashrrev_i32 v13, 31, v12
	v_add_nc_u32_e32 v22, s2, v12
	v_lshl_add_u64 v[36:37], v[30:31], 3, v[0:1]
	s_clause 0x3
	global_load_b64 v[58:59], v[20:21], off
	global_load_b64 v[26:27], v[28:29], off
	;; [unrolled: 1-line block ×4, first 2 shown]
	v_add_nc_u32_e32 v46, s2, v22
	s_wait_xcnt 0x2
	v_lshl_add_u64 v[28:29], v[38:39], 3, v[0:1]
	s_wait_xcnt 0x1
	v_lshl_add_u64 v[36:37], v[44:45], 3, v[0:1]
	v_lshl_add_u64 v[38:39], v[48:49], 3, v[0:1]
	v_lshl_add_u64 v[12:13], v[12:13], 3, v[0:1]
	v_add_nc_u32_e32 v20, s2, v46
	s_wait_xcnt 0x0
	s_delay_alu instid0(VALU_DEP_1) | instskip(NEXT) | instid1(VALU_DEP_1)
	v_dual_ashrrev_i32 v43, 31, v42 :: v_dual_add_nc_u32 v32, s2, v20
	v_lshl_add_u64 v[48:49], v[42:43], 3, v[0:1]
	s_clause 0x3
	global_load_b64 v[62:63], v[28:29], off
	global_load_b64 v[42:43], v[36:37], off
	;; [unrolled: 1-line block ×4, first 2 shown]
	s_wait_xcnt 0x0
	v_lshl_add_u64 v[48:49], v[34:35], 3, v[0:1]
	v_add_nc_u32_e32 v50, s2, v32
	v_ashrrev_i32_e32 v21, 31, v20
	s_delay_alu instid0(VALU_DEP_2) | instskip(SKIP_2) | instid1(VALU_DEP_3)
	v_dual_ashrrev_i32 v33, 31, v32 :: v_dual_add_nc_u32 v28, s2, v50
	v_ashrrev_i32_e32 v23, 31, v22
	v_ashrrev_i32_e32 v51, 31, v50
	v_lshl_add_u64 v[32:33], v[32:33], 3, v[0:1]
	s_delay_alu instid0(VALU_DEP_4) | instskip(NEXT) | instid1(VALU_DEP_4)
	v_dual_add_nc_u32 v72, s2, v28 :: v_dual_ashrrev_i32 v47, 31, v46
	v_lshl_add_u64 v[22:23], v[22:23], 3, v[0:1]
	v_ashrrev_i32_e32 v29, 31, v28
	v_lshl_add_u64 v[50:51], v[50:51], 3, v[0:1]
	s_delay_alu instid0(VALU_DEP_4)
	v_add_nc_u32_e32 v78, s2, v72
	v_lshl_add_u64 v[46:47], v[46:47], 3, v[0:1]
	s_clause 0x3
	global_load_b64 v[60:61], v[48:49], off
	global_load_b64 v[36:37], v[12:13], off
	;; [unrolled: 1-line block ×4, first 2 shown]
	s_wait_xcnt 0x0
	v_lshl_add_u64 v[46:47], v[20:21], 3, v[0:1]
	v_dual_add_nc_u32 v12, s2, v78 :: v_dual_ashrrev_i32 v79, 31, v78
	v_lshl_add_u64 v[82:83], v[28:29], 3, v[0:1]
	v_ashrrev_i32_e32 v73, 31, v72
	s_clause 0x3
	global_load_b64 v[56:57], v[46:47], off
	global_load_b64 v[22:23], v[32:33], off
	;; [unrolled: 1-line block ×4, first 2 shown]
	v_dual_add_nc_u32 v48, s2, v12 :: v_dual_ashrrev_i32 v13, 31, v12
	v_lshl_add_u64 v[78:79], v[78:79], 3, v[0:1]
	s_wait_xcnt 0x0
	v_lshl_add_u64 v[82:83], v[72:73], 3, v[0:1]
	s_delay_alu instid0(VALU_DEP_3) | instskip(SKIP_1) | instid1(VALU_DEP_2)
	v_dual_add_nc_u32 v84, s2, v48 :: v_dual_ashrrev_i32 v49, 31, v48
	v_lshl_add_u64 v[86:87], v[12:13], 3, v[0:1]
	v_dual_add_nc_u32 v32, s2, v84 :: v_dual_ashrrev_i32 v85, 31, v84
	s_delay_alu instid0(VALU_DEP_3) | instskip(NEXT) | instid1(VALU_DEP_2)
	v_lshl_add_u64 v[88:89], v[48:49], 3, v[0:1]
	v_ashrrev_i32_e32 v33, 31, v32
	s_delay_alu instid0(VALU_DEP_3) | instskip(NEXT) | instid1(VALU_DEP_2)
	v_lshl_add_u64 v[84:85], v[84:85], 3, v[0:1]
	v_lshl_add_u64 v[90:91], v[32:33], 3, v[0:1]
	s_clause 0x5
	global_load_b64 v[50:51], v[82:83], off
	global_load_b64 v[12:13], v[78:79], off
	;; [unrolled: 1-line block ×6, first 2 shown]
	s_wait_xcnt 0x4
	v_mul_lo_u32 v79, s4, v76
	s_load_b64 s[4:5], s[0:1], 0x40
	s_delay_alu instid0(VALU_DEP_1) | instskip(NEXT) | instid1(VALU_DEP_1)
	v_lshl_add_u32 v78, v79, 3, 0
	v_dual_lshlrev_b32 v79, 3, v79 :: v_dual_add_nc_u32 v74, v78, v74
	s_wait_loadcnt 0x1b
	ds_store_b64 v74, v[70:71]
	s_wait_loadcnt_dscnt 0x0
	s_barrier_signal -1
	s_barrier_wait -1
	ds_load_b64 v[76:77], v78
	s_cbranch_scc1 .LBB66_6
; %bb.4:
	v_add3_u32 v74, v79, 0, 8
	v_mov_b32_e32 v75, 0
	s_wait_xcnt 0x0
	s_mov_b32 s0, 1
.LBB66_5:                               ; =>This Inner Loop Header: Depth=1
	ds_load_b64 v[82:83], v74
	s_wait_dscnt 0x1
	v_cmp_gt_f32_e32 vcc_lo, 0, v76
	v_cndmask_b32_e64 v84, v76, -v76, vcc_lo
	v_cmp_gt_f32_e32 vcc_lo, 0, v77
	v_cndmask_b32_e64 v86, v77, -v77, vcc_lo
	s_wait_dscnt 0x0
	v_cmp_gt_f32_e32 vcc_lo, 0, v82
	v_cndmask_b32_e64 v85, v82, -v82, vcc_lo
	v_cmp_gt_f32_e32 vcc_lo, 0, v83
	v_cndmask_b32_e64 v87, v83, -v83, vcc_lo
	s_delay_alu instid0(VALU_DEP_1) | instskip(NEXT) | instid1(VALU_DEP_1)
	v_pk_add_f32 v[84:85], v[84:85], v[86:87]
	v_cmp_lt_f32_e32 vcc_lo, v84, v85
	v_dual_cndmask_b32 v77, v77, v83 :: v_dual_add_nc_u32 v74, 8, v74
	v_cndmask_b32_e32 v76, v76, v82, vcc_lo
	v_cndmask_b32_e64 v75, v75, s0, vcc_lo
	s_add_co_i32 s0, s0, 1
	s_delay_alu instid0(SALU_CYCLE_1)
	s_cmp_eq_u32 s18, s0
	s_cbranch_scc0 .LBB66_5
.LBB66_6:
	s_wait_dscnt 0x0
	v_cmp_neq_f32_e32 vcc_lo, 0, v76
	s_wait_xcnt 0x0
	v_cmp_neq_f32_e64 s0, 0, v77
	v_dual_mov_b32 v80, 1 :: v_dual_mov_b32 v83, 1
	s_or_b32 s1, vcc_lo, s0
	s_delay_alu instid0(SALU_CYCLE_1)
	s_and_saveexec_b32 s0, s1
	s_cbranch_execz .LBB66_12
; %bb.7:
	v_cmp_ngt_f32_e64 s1, |v76|, |v77|
	s_and_saveexec_b32 s12, s1
	s_delay_alu instid0(SALU_CYCLE_1)
	s_xor_b32 s1, exec_lo, s12
	s_cbranch_execz .LBB66_9
; %bb.8:
	v_div_scale_f32 v74, null, v77, v77, v76
	v_div_scale_f32 v83, vcc_lo, v76, v77, v76
	s_delay_alu instid0(VALU_DEP_2) | instskip(SKIP_1) | instid1(TRANS32_DEP_1)
	v_rcp_f32_e32 v80, v74
	v_nop
	v_fma_f32 v82, -v74, v80, 1.0
	s_delay_alu instid0(VALU_DEP_1) | instskip(NEXT) | instid1(VALU_DEP_1)
	v_fmac_f32_e32 v80, v82, v80
	v_mul_f32_e32 v82, v83, v80
	s_delay_alu instid0(VALU_DEP_1) | instskip(NEXT) | instid1(VALU_DEP_1)
	v_fma_f32 v84, -v74, v82, v83
	v_fmac_f32_e32 v82, v84, v80
	s_delay_alu instid0(VALU_DEP_1) | instskip(NEXT) | instid1(VALU_DEP_1)
	v_fma_f32 v74, -v74, v82, v83
	v_div_fmas_f32 v74, v74, v80, v82
	s_delay_alu instid0(VALU_DEP_1) | instskip(NEXT) | instid1(VALU_DEP_1)
	v_div_fixup_f32 v74, v74, v77, v76
	v_fmac_f32_e32 v77, v76, v74
	s_delay_alu instid0(VALU_DEP_1) | instskip(SKIP_1) | instid1(VALU_DEP_2)
	v_div_scale_f32 v76, null, v77, v77, 1.0
	v_div_scale_f32 v83, vcc_lo, 1.0, v77, 1.0
	v_rcp_f32_e32 v80, v76
	v_nop
	s_delay_alu instid0(TRANS32_DEP_1) | instskip(NEXT) | instid1(VALU_DEP_1)
	v_fma_f32 v82, -v76, v80, 1.0
	v_fmac_f32_e32 v80, v82, v80
	s_delay_alu instid0(VALU_DEP_1) | instskip(NEXT) | instid1(VALU_DEP_1)
	v_mul_f32_e32 v82, v83, v80
	v_fma_f32 v84, -v76, v82, v83
	s_delay_alu instid0(VALU_DEP_1) | instskip(NEXT) | instid1(VALU_DEP_1)
	v_fmac_f32_e32 v82, v84, v80
	v_fma_f32 v76, -v76, v82, v83
	s_delay_alu instid0(VALU_DEP_1) | instskip(NEXT) | instid1(VALU_DEP_1)
	v_div_fmas_f32 v76, v76, v80, v82
	v_div_fixup_f32 v77, v76, v77, 1.0
	s_delay_alu instid0(VALU_DEP_1)
	v_mul_f32_e32 v76, v74, v77
	v_xor_b32_e32 v77, 0x80000000, v77
.LBB66_9:
	s_and_not1_saveexec_b32 s1, s1
	s_cbranch_execz .LBB66_11
; %bb.10:
	s_delay_alu instid0(VALU_DEP_1) | instskip(SKIP_1) | instid1(VALU_DEP_2)
	v_div_scale_f32 v74, null, v76, v76, v77
	v_div_scale_f32 v83, vcc_lo, v77, v76, v77
	v_rcp_f32_e32 v80, v74
	v_nop
	s_delay_alu instid0(TRANS32_DEP_1) | instskip(NEXT) | instid1(VALU_DEP_1)
	v_fma_f32 v82, -v74, v80, 1.0
	v_fmac_f32_e32 v80, v82, v80
	s_delay_alu instid0(VALU_DEP_1) | instskip(NEXT) | instid1(VALU_DEP_1)
	v_mul_f32_e32 v82, v83, v80
	v_fma_f32 v84, -v74, v82, v83
	s_delay_alu instid0(VALU_DEP_1) | instskip(NEXT) | instid1(VALU_DEP_1)
	v_fmac_f32_e32 v82, v84, v80
	v_fma_f32 v74, -v74, v82, v83
	s_delay_alu instid0(VALU_DEP_1) | instskip(NEXT) | instid1(VALU_DEP_1)
	v_div_fmas_f32 v74, v74, v80, v82
	v_div_fixup_f32 v74, v74, v76, v77
	s_delay_alu instid0(VALU_DEP_1) | instskip(NEXT) | instid1(VALU_DEP_1)
	v_fmac_f32_e32 v76, v77, v74
	v_div_scale_f32 v77, null, v76, v76, 1.0
	s_delay_alu instid0(VALU_DEP_1) | instskip(SKIP_1) | instid1(TRANS32_DEP_1)
	v_rcp_f32_e32 v80, v77
	v_nop
	v_fma_f32 v82, -v77, v80, 1.0
	s_delay_alu instid0(VALU_DEP_1) | instskip(SKIP_1) | instid1(VALU_DEP_1)
	v_fmac_f32_e32 v80, v82, v80
	v_div_scale_f32 v82, vcc_lo, 1.0, v76, 1.0
	v_mul_f32_e32 v83, v82, v80
	s_delay_alu instid0(VALU_DEP_1) | instskip(NEXT) | instid1(VALU_DEP_1)
	v_fma_f32 v84, -v77, v83, v82
	v_fmac_f32_e32 v83, v84, v80
	s_delay_alu instid0(VALU_DEP_1) | instskip(NEXT) | instid1(VALU_DEP_1)
	v_fma_f32 v77, -v77, v83, v82
	v_div_fmas_f32 v77, v77, v80, v83
	s_delay_alu instid0(VALU_DEP_1) | instskip(NEXT) | instid1(VALU_DEP_1)
	v_div_fixup_f32 v76, v77, v76, 1.0
	v_mul_f32_e64 v77, v74, -v76
.LBB66_11:
	s_or_b32 exec_lo, exec_lo, s1
	v_dual_mov_b32 v83, 0 :: v_dual_mov_b32 v80, 2
.LBB66_12:
	s_or_b32 exec_lo, exec_lo, s0
	s_delay_alu instid0(SALU_CYCLE_1)
	s_mov_b32 s0, exec_lo
	v_cmpx_ne_u32_e64 v81, v75
	s_xor_b32 s0, exec_lo, s0
	s_cbranch_execz .LBB66_18
; %bb.13:
	s_mov_b32 s1, exec_lo
	v_cmpx_eq_u32_e32 0, v81
	s_cbranch_execz .LBB66_17
; %bb.14:
	v_cmp_ne_u32_e32 vcc_lo, 0, v75
	s_xor_b32 s12, s16, -1
	s_delay_alu instid0(SALU_CYCLE_1) | instskip(NEXT) | instid1(SALU_CYCLE_1)
	s_and_b32 s13, s12, vcc_lo
	s_and_saveexec_b32 s12, s13
	s_cbranch_execz .LBB66_16
; %bb.15:
	v_dual_mov_b32 v84, v75 :: v_dual_ashrrev_i32 v85, 31, v75
	s_delay_alu instid0(VALU_DEP_1)
	v_lshl_add_u64 v[84:85], v[84:85], 2, v[4:5]
	s_clause 0x1
	global_load_b32 v74, v[84:85], off
	global_load_b32 v81, v[4:5], off
	s_wait_loadcnt 0x1
	global_store_b32 v[4:5], v74, off
	s_wait_loadcnt 0x0
	global_store_b32 v[84:85], v81, off
.LBB66_16:
	s_wait_xcnt 0x0
	s_or_b32 exec_lo, exec_lo, s12
	v_mov_b32_e32 v81, v75
.LBB66_17:
	s_or_b32 exec_lo, exec_lo, s1
.LBB66_18:
	s_or_saveexec_b32 s0, s0
	s_delay_alu instid0(VALU_DEP_1)
	v_mov_b32_e32 v82, v81
	s_xor_b32 exec_lo, exec_lo, s0
	s_cbranch_execz .LBB66_20
; %bb.19:
	v_mov_b32_e32 v82, 0
	ds_store_2addr_b64 v78, v[68:69], v[66:67] offset0:1 offset1:2
	ds_store_2addr_b64 v78, v[64:65], v[52:53] offset0:3 offset1:4
	ds_store_2addr_b64 v78, v[8:9], v[10:11] offset0:5 offset1:6
	ds_store_2addr_b64 v78, v[6:7], v[54:55] offset0:7 offset1:8
	ds_store_2addr_b64 v78, v[16:17], v[18:19] offset0:9 offset1:10
	ds_store_2addr_b64 v78, v[14:15], v[58:59] offset0:11 offset1:12
	ds_store_2addr_b64 v78, v[26:27], v[30:31] offset0:13 offset1:14
	ds_store_2addr_b64 v78, v[24:25], v[62:63] offset0:15 offset1:16
	ds_store_2addr_b64 v78, v[42:43], v[44:45] offset0:17 offset1:18
	ds_store_2addr_b64 v78, v[40:41], v[60:61] offset0:19 offset1:20
	ds_store_2addr_b64 v78, v[36:37], v[38:39] offset0:21 offset1:22
	ds_store_2addr_b64 v78, v[34:35], v[56:57] offset0:23 offset1:24
	ds_store_2addr_b64 v78, v[22:23], v[28:29] offset0:25 offset1:26
	ds_store_2addr_b64 v78, v[20:21], v[50:51] offset0:27 offset1:28
	ds_store_2addr_b64 v78, v[12:13], v[48:49] offset0:29 offset1:30
	ds_store_2addr_b64 v78, v[46:47], v[32:33] offset0:31 offset1:32
	ds_store_b64 v78, v[72:73] offset:264
.LBB66_20:
	s_or_b32 exec_lo, exec_lo, s0
	s_delay_alu instid0(SALU_CYCLE_1)
	s_mov_b32 s0, exec_lo
	s_wait_storecnt_dscnt 0x0
	s_barrier_signal -1
	s_barrier_wait -1
	v_cmpx_lt_i32_e32 0, v82
	s_cbranch_execz .LBB66_22
; %bb.21:
	v_pk_mul_f32 v[84:85], v[76:77], v[70:71] op_sel:[1,1] op_sel_hi:[0,1]
	s_delay_alu instid0(VALU_DEP_1)
	v_pk_fma_f32 v[74:75], v[76:77], v[70:71], v[84:85] op_sel_hi:[1,0,1] neg_lo:[0,0,1] neg_hi:[0,0,1]
	v_pk_fma_f32 v[76:77], v[76:77], v[70:71], v[84:85] op_sel_hi:[1,0,1]
	ds_load_2addr_b64 v[84:87], v78 offset0:1 offset1:2
	v_dual_mov_b32 v70, v74 :: v_dual_mov_b32 v71, v77
	s_wait_dscnt 0x0
	v_pk_mul_f32 v[88:89], v[84:85], v[76:77] op_sel:[0,1]
	s_delay_alu instid0(VALU_DEP_1) | instskip(SKIP_1) | instid1(VALU_DEP_1)
	v_pk_fma_f32 v[90:91], v[84:85], v[74:75], v[88:89] op_sel:[0,0,1] op_sel_hi:[1,1,0] neg_lo:[0,0,1] neg_hi:[0,0,1]
	v_pk_fma_f32 v[84:85], v[84:85], v[74:75], v[88:89] op_sel:[0,0,1] op_sel_hi:[1,0,0]
	v_mov_b32_e32 v91, v85
	v_pk_mul_f32 v[84:85], v[86:87], v[76:77] op_sel:[0,1]
	s_delay_alu instid0(VALU_DEP_1) | instskip(SKIP_1) | instid1(VALU_DEP_1)
	v_pk_fma_f32 v[88:89], v[86:87], v[74:75], v[84:85] op_sel:[0,0,1] op_sel_hi:[1,1,0] neg_lo:[0,0,1] neg_hi:[0,0,1]
	v_pk_fma_f32 v[84:85], v[86:87], v[74:75], v[84:85] op_sel:[0,0,1] op_sel_hi:[1,0,0]
	v_mov_b32_e32 v89, v85
	ds_load_2addr_b64 v[84:87], v78 offset0:3 offset1:4
	v_pk_add_f32 v[68:69], v[68:69], v[90:91] neg_lo:[0,1] neg_hi:[0,1]
	v_pk_add_f32 v[66:67], v[66:67], v[88:89] neg_lo:[0,1] neg_hi:[0,1]
	s_wait_dscnt 0x0
	v_pk_mul_f32 v[88:89], v[84:85], v[76:77] op_sel:[0,1]
	s_delay_alu instid0(VALU_DEP_1) | instskip(SKIP_2) | instid1(VALU_DEP_2)
	v_pk_fma_f32 v[90:91], v[84:85], v[74:75], v[88:89] op_sel:[0,0,1] op_sel_hi:[1,1,0] neg_lo:[0,0,1] neg_hi:[0,0,1]
	v_pk_fma_f32 v[84:85], v[84:85], v[74:75], v[88:89] op_sel:[0,0,1] op_sel_hi:[1,0,0]
	v_dual_mul_f32 v88, v87, v77 :: v_dual_mov_b32 v84, v87
	v_dual_mov_b32 v91, v85 :: v_dual_mov_b32 v85, v86
	s_delay_alu instid0(VALU_DEP_2) | instskip(SKIP_1) | instid1(VALU_DEP_3)
	v_pk_fma_f32 v[88:89], v[86:87], v[70:71], v[88:89] op_sel_hi:[1,1,0] neg_lo:[0,0,1] neg_hi:[0,0,1]
	v_mul_f32_e32 v86, v87, v74
	v_pk_add_f32 v[64:65], v[64:65], v[90:91] neg_lo:[0,1] neg_hi:[0,1]
	s_delay_alu instid0(VALU_DEP_2) | instskip(NEXT) | instid1(VALU_DEP_1)
	v_pk_fma_f32 v[84:85], v[84:85], v[70:71], v[86:87] op_sel_hi:[1,1,0]
	v_mov_b32_e32 v89, v85
	ds_load_2addr_b64 v[84:87], v78 offset0:5 offset1:6
	v_pk_add_f32 v[52:53], v[52:53], v[88:89] neg_lo:[0,1] neg_hi:[0,1]
	s_wait_dscnt 0x0
	v_pk_mul_f32 v[88:89], v[84:85], v[76:77] op_sel:[0,1]
	s_delay_alu instid0(VALU_DEP_1) | instskip(SKIP_1) | instid1(VALU_DEP_1)
	v_pk_fma_f32 v[90:91], v[84:85], v[74:75], v[88:89] op_sel:[0,0,1] op_sel_hi:[1,1,0] neg_lo:[0,0,1] neg_hi:[0,0,1]
	v_pk_fma_f32 v[84:85], v[84:85], v[74:75], v[88:89] op_sel:[0,0,1] op_sel_hi:[1,0,0]
	v_mov_b32_e32 v91, v85
	v_pk_mul_f32 v[84:85], v[86:87], v[76:77] op_sel:[0,1]
	s_delay_alu instid0(VALU_DEP_1) | instskip(SKIP_1) | instid1(VALU_DEP_1)
	v_pk_fma_f32 v[88:89], v[86:87], v[74:75], v[84:85] op_sel:[0,0,1] op_sel_hi:[1,1,0] neg_lo:[0,0,1] neg_hi:[0,0,1]
	v_pk_fma_f32 v[84:85], v[86:87], v[74:75], v[84:85] op_sel:[0,0,1] op_sel_hi:[1,0,0]
	v_mov_b32_e32 v89, v85
	ds_load_2addr_b64 v[84:87], v78 offset0:7 offset1:8
	v_pk_add_f32 v[8:9], v[8:9], v[90:91] neg_lo:[0,1] neg_hi:[0,1]
	v_pk_add_f32 v[10:11], v[10:11], v[88:89] neg_lo:[0,1] neg_hi:[0,1]
	s_wait_dscnt 0x0
	v_pk_mul_f32 v[88:89], v[84:85], v[76:77] op_sel:[0,1]
	s_delay_alu instid0(VALU_DEP_1) | instskip(SKIP_1) | instid1(VALU_DEP_1)
	v_pk_fma_f32 v[90:91], v[84:85], v[74:75], v[88:89] op_sel:[0,0,1] op_sel_hi:[1,1,0] neg_lo:[0,0,1] neg_hi:[0,0,1]
	v_pk_fma_f32 v[84:85], v[84:85], v[74:75], v[88:89] op_sel:[0,0,1] op_sel_hi:[1,0,0]
	v_mov_b32_e32 v91, v85
	v_pk_mul_f32 v[84:85], v[86:87], v[76:77] op_sel:[0,1]
	s_delay_alu instid0(VALU_DEP_1) | instskip(SKIP_1) | instid1(VALU_DEP_1)
	v_pk_fma_f32 v[88:89], v[86:87], v[74:75], v[84:85] op_sel:[0,0,1] op_sel_hi:[1,1,0] neg_lo:[0,0,1] neg_hi:[0,0,1]
	v_pk_fma_f32 v[84:85], v[86:87], v[74:75], v[84:85] op_sel:[0,0,1] op_sel_hi:[1,0,0]
	v_mov_b32_e32 v89, v85
	ds_load_2addr_b64 v[84:87], v78 offset0:9 offset1:10
	v_pk_add_f32 v[6:7], v[6:7], v[90:91] neg_lo:[0,1] neg_hi:[0,1]
	v_pk_add_f32 v[54:55], v[54:55], v[88:89] neg_lo:[0,1] neg_hi:[0,1]
	s_wait_dscnt 0x0
	v_dual_mul_f32 v88, v85, v77 :: v_dual_mul_f32 v90, v85, v74
	s_delay_alu instid0(VALU_DEP_1) | instskip(NEXT) | instid1(VALU_DEP_2)
	v_pk_fma_f32 v[88:89], v[84:85], v[70:71], v[88:89] op_sel_hi:[1,1,0] neg_lo:[0,0,1] neg_hi:[0,0,1]
	v_pk_fma_f32 v[84:85], v[84:85], v[70:71], v[90:91] op_sel:[1,0,0] op_sel_hi:[0,1,0]
	s_delay_alu instid0(VALU_DEP_1) | instskip(SKIP_1) | instid1(VALU_DEP_2)
	v_mov_b32_e32 v89, v85
	v_pk_mul_f32 v[84:85], v[86:87], v[76:77] op_sel:[0,1]
	v_pk_add_f32 v[16:17], v[16:17], v[88:89] neg_lo:[0,1] neg_hi:[0,1]
	s_delay_alu instid0(VALU_DEP_2) | instskip(SKIP_1) | instid1(VALU_DEP_1)
	v_pk_fma_f32 v[88:89], v[86:87], v[74:75], v[84:85] op_sel:[0,0,1] op_sel_hi:[1,1,0] neg_lo:[0,0,1] neg_hi:[0,0,1]
	v_pk_fma_f32 v[84:85], v[86:87], v[74:75], v[84:85] op_sel:[0,0,1] op_sel_hi:[1,0,0]
	v_mov_b32_e32 v89, v85
	ds_load_2addr_b64 v[84:87], v78 offset0:11 offset1:12
	v_pk_add_f32 v[18:19], v[18:19], v[88:89] neg_lo:[0,1] neg_hi:[0,1]
	s_wait_dscnt 0x0
	v_pk_mul_f32 v[88:89], v[84:85], v[76:77] op_sel:[0,1]
	s_delay_alu instid0(VALU_DEP_1) | instskip(SKIP_1) | instid1(VALU_DEP_1)
	v_pk_fma_f32 v[90:91], v[84:85], v[74:75], v[88:89] op_sel:[0,0,1] op_sel_hi:[1,1,0] neg_lo:[0,0,1] neg_hi:[0,0,1]
	v_pk_fma_f32 v[84:85], v[84:85], v[74:75], v[88:89] op_sel:[0,0,1] op_sel_hi:[1,0,0]
	v_mov_b32_e32 v91, v85
	v_pk_mul_f32 v[84:85], v[86:87], v[76:77] op_sel:[0,1]
	s_delay_alu instid0(VALU_DEP_2) | instskip(NEXT) | instid1(VALU_DEP_2)
	v_pk_add_f32 v[14:15], v[14:15], v[90:91] neg_lo:[0,1] neg_hi:[0,1]
	v_pk_fma_f32 v[88:89], v[86:87], v[74:75], v[84:85] op_sel:[0,0,1] op_sel_hi:[1,1,0] neg_lo:[0,0,1] neg_hi:[0,0,1]
	v_pk_fma_f32 v[84:85], v[86:87], v[74:75], v[84:85] op_sel:[0,0,1] op_sel_hi:[1,0,0]
	s_delay_alu instid0(VALU_DEP_1) | instskip(SKIP_4) | instid1(VALU_DEP_1)
	v_mov_b32_e32 v89, v85
	ds_load_2addr_b64 v[84:87], v78 offset0:13 offset1:14
	v_pk_add_f32 v[58:59], v[58:59], v[88:89] neg_lo:[0,1] neg_hi:[0,1]
	s_wait_dscnt 0x0
	v_pk_mul_f32 v[88:89], v[84:85], v[76:77] op_sel:[0,1]
	v_pk_fma_f32 v[90:91], v[84:85], v[74:75], v[88:89] op_sel:[0,0,1] op_sel_hi:[1,1,0] neg_lo:[0,0,1] neg_hi:[0,0,1]
	v_pk_fma_f32 v[84:85], v[84:85], v[74:75], v[88:89] op_sel:[0,0,1] op_sel_hi:[1,0,0]
	v_dual_mul_f32 v88, v87, v77 :: v_dual_mov_b32 v84, v87
	s_delay_alu instid0(VALU_DEP_2) | instskip(NEXT) | instid1(VALU_DEP_2)
	v_dual_mov_b32 v91, v85 :: v_dual_mov_b32 v85, v86
	v_pk_fma_f32 v[88:89], v[86:87], v[70:71], v[88:89] op_sel_hi:[1,1,0] neg_lo:[0,0,1] neg_hi:[0,0,1]
	v_mul_f32_e32 v86, v87, v74
	s_delay_alu instid0(VALU_DEP_3) | instskip(NEXT) | instid1(VALU_DEP_2)
	v_pk_add_f32 v[26:27], v[26:27], v[90:91] neg_lo:[0,1] neg_hi:[0,1]
	v_pk_fma_f32 v[84:85], v[84:85], v[70:71], v[86:87] op_sel_hi:[1,1,0]
	s_delay_alu instid0(VALU_DEP_1) | instskip(SKIP_4) | instid1(VALU_DEP_1)
	v_mov_b32_e32 v89, v85
	ds_load_2addr_b64 v[84:87], v78 offset0:15 offset1:16
	v_pk_add_f32 v[30:31], v[30:31], v[88:89] neg_lo:[0,1] neg_hi:[0,1]
	s_wait_dscnt 0x0
	v_pk_mul_f32 v[88:89], v[84:85], v[76:77] op_sel:[0,1]
	v_pk_fma_f32 v[90:91], v[84:85], v[74:75], v[88:89] op_sel:[0,0,1] op_sel_hi:[1,1,0] neg_lo:[0,0,1] neg_hi:[0,0,1]
	v_pk_fma_f32 v[84:85], v[84:85], v[74:75], v[88:89] op_sel:[0,0,1] op_sel_hi:[1,0,0]
	s_delay_alu instid0(VALU_DEP_1) | instskip(SKIP_1) | instid1(VALU_DEP_1)
	v_mov_b32_e32 v91, v85
	v_pk_mul_f32 v[84:85], v[86:87], v[76:77] op_sel:[0,1]
	v_pk_fma_f32 v[88:89], v[86:87], v[74:75], v[84:85] op_sel:[0,0,1] op_sel_hi:[1,1,0] neg_lo:[0,0,1] neg_hi:[0,0,1]
	v_pk_fma_f32 v[84:85], v[86:87], v[74:75], v[84:85] op_sel:[0,0,1] op_sel_hi:[1,0,0]
	s_delay_alu instid0(VALU_DEP_1)
	v_mov_b32_e32 v89, v85
	ds_load_2addr_b64 v[84:87], v78 offset0:17 offset1:18
	v_pk_add_f32 v[24:25], v[24:25], v[90:91] neg_lo:[0,1] neg_hi:[0,1]
	v_pk_add_f32 v[62:63], v[62:63], v[88:89] neg_lo:[0,1] neg_hi:[0,1]
	s_wait_dscnt 0x0
	v_pk_mul_f32 v[88:89], v[84:85], v[76:77] op_sel:[0,1]
	s_delay_alu instid0(VALU_DEP_1) | instskip(SKIP_1) | instid1(VALU_DEP_1)
	v_pk_fma_f32 v[90:91], v[84:85], v[74:75], v[88:89] op_sel:[0,0,1] op_sel_hi:[1,1,0] neg_lo:[0,0,1] neg_hi:[0,0,1]
	v_pk_fma_f32 v[84:85], v[84:85], v[74:75], v[88:89] op_sel:[0,0,1] op_sel_hi:[1,0,0]
	v_mov_b32_e32 v91, v85
	v_pk_mul_f32 v[84:85], v[86:87], v[76:77] op_sel:[0,1]
	s_delay_alu instid0(VALU_DEP_1) | instskip(SKIP_1) | instid1(VALU_DEP_1)
	v_pk_fma_f32 v[88:89], v[86:87], v[74:75], v[84:85] op_sel:[0,0,1] op_sel_hi:[1,1,0] neg_lo:[0,0,1] neg_hi:[0,0,1]
	v_pk_fma_f32 v[84:85], v[86:87], v[74:75], v[84:85] op_sel:[0,0,1] op_sel_hi:[1,0,0]
	v_mov_b32_e32 v89, v85
	ds_load_2addr_b64 v[84:87], v78 offset0:19 offset1:20
	v_pk_add_f32 v[42:43], v[42:43], v[90:91] neg_lo:[0,1] neg_hi:[0,1]
	v_pk_add_f32 v[44:45], v[44:45], v[88:89] neg_lo:[0,1] neg_hi:[0,1]
	s_wait_dscnt 0x0
	v_dual_mul_f32 v88, v85, v77 :: v_dual_mul_f32 v90, v85, v74
	s_delay_alu instid0(VALU_DEP_1) | instskip(NEXT) | instid1(VALU_DEP_2)
	v_pk_fma_f32 v[88:89], v[84:85], v[70:71], v[88:89] op_sel_hi:[1,1,0] neg_lo:[0,0,1] neg_hi:[0,0,1]
	v_pk_fma_f32 v[84:85], v[84:85], v[70:71], v[90:91] op_sel:[1,0,0] op_sel_hi:[0,1,0]
	s_delay_alu instid0(VALU_DEP_1) | instskip(SKIP_1) | instid1(VALU_DEP_2)
	v_mov_b32_e32 v89, v85
	v_pk_mul_f32 v[84:85], v[86:87], v[76:77] op_sel:[0,1]
	v_pk_add_f32 v[40:41], v[40:41], v[88:89] neg_lo:[0,1] neg_hi:[0,1]
	s_delay_alu instid0(VALU_DEP_2) | instskip(SKIP_1) | instid1(VALU_DEP_1)
	v_pk_fma_f32 v[88:89], v[86:87], v[74:75], v[84:85] op_sel:[0,0,1] op_sel_hi:[1,1,0] neg_lo:[0,0,1] neg_hi:[0,0,1]
	v_pk_fma_f32 v[84:85], v[86:87], v[74:75], v[84:85] op_sel:[0,0,1] op_sel_hi:[1,0,0]
	v_mov_b32_e32 v89, v85
	ds_load_2addr_b64 v[84:87], v78 offset0:21 offset1:22
	v_pk_add_f32 v[60:61], v[60:61], v[88:89] neg_lo:[0,1] neg_hi:[0,1]
	s_wait_dscnt 0x0
	v_pk_mul_f32 v[88:89], v[84:85], v[76:77] op_sel:[0,1]
	s_delay_alu instid0(VALU_DEP_1) | instskip(SKIP_1) | instid1(VALU_DEP_1)
	v_pk_fma_f32 v[90:91], v[84:85], v[74:75], v[88:89] op_sel:[0,0,1] op_sel_hi:[1,1,0] neg_lo:[0,0,1] neg_hi:[0,0,1]
	v_pk_fma_f32 v[84:85], v[84:85], v[74:75], v[88:89] op_sel:[0,0,1] op_sel_hi:[1,0,0]
	v_mov_b32_e32 v91, v85
	v_pk_mul_f32 v[84:85], v[86:87], v[76:77] op_sel:[0,1]
	s_delay_alu instid0(VALU_DEP_2) | instskip(NEXT) | instid1(VALU_DEP_2)
	v_pk_add_f32 v[36:37], v[36:37], v[90:91] neg_lo:[0,1] neg_hi:[0,1]
	v_pk_fma_f32 v[88:89], v[86:87], v[74:75], v[84:85] op_sel:[0,0,1] op_sel_hi:[1,1,0] neg_lo:[0,0,1] neg_hi:[0,0,1]
	v_pk_fma_f32 v[84:85], v[86:87], v[74:75], v[84:85] op_sel:[0,0,1] op_sel_hi:[1,0,0]
	s_delay_alu instid0(VALU_DEP_1) | instskip(SKIP_4) | instid1(VALU_DEP_1)
	v_mov_b32_e32 v89, v85
	ds_load_2addr_b64 v[84:87], v78 offset0:23 offset1:24
	v_pk_add_f32 v[38:39], v[38:39], v[88:89] neg_lo:[0,1] neg_hi:[0,1]
	s_wait_dscnt 0x0
	v_pk_mul_f32 v[88:89], v[84:85], v[76:77] op_sel:[0,1]
	v_pk_fma_f32 v[90:91], v[84:85], v[74:75], v[88:89] op_sel:[0,0,1] op_sel_hi:[1,1,0] neg_lo:[0,0,1] neg_hi:[0,0,1]
	v_pk_fma_f32 v[84:85], v[84:85], v[74:75], v[88:89] op_sel:[0,0,1] op_sel_hi:[1,0,0]
	v_dual_mul_f32 v88, v87, v77 :: v_dual_mov_b32 v84, v87
	s_delay_alu instid0(VALU_DEP_2) | instskip(NEXT) | instid1(VALU_DEP_2)
	v_dual_mov_b32 v91, v85 :: v_dual_mov_b32 v85, v86
	v_pk_fma_f32 v[88:89], v[86:87], v[70:71], v[88:89] op_sel_hi:[1,1,0] neg_lo:[0,0,1] neg_hi:[0,0,1]
	v_mul_f32_e32 v86, v87, v74
	s_delay_alu instid0(VALU_DEP_3) | instskip(NEXT) | instid1(VALU_DEP_2)
	v_pk_add_f32 v[34:35], v[34:35], v[90:91] neg_lo:[0,1] neg_hi:[0,1]
	v_pk_fma_f32 v[84:85], v[84:85], v[70:71], v[86:87] op_sel_hi:[1,1,0]
	s_delay_alu instid0(VALU_DEP_1) | instskip(SKIP_4) | instid1(VALU_DEP_1)
	v_mov_b32_e32 v89, v85
	ds_load_2addr_b64 v[84:87], v78 offset0:25 offset1:26
	v_pk_add_f32 v[56:57], v[56:57], v[88:89] neg_lo:[0,1] neg_hi:[0,1]
	s_wait_dscnt 0x0
	v_pk_mul_f32 v[88:89], v[84:85], v[76:77] op_sel:[0,1]
	v_pk_fma_f32 v[90:91], v[84:85], v[74:75], v[88:89] op_sel:[0,0,1] op_sel_hi:[1,1,0] neg_lo:[0,0,1] neg_hi:[0,0,1]
	v_pk_fma_f32 v[84:85], v[84:85], v[74:75], v[88:89] op_sel:[0,0,1] op_sel_hi:[1,0,0]
	s_delay_alu instid0(VALU_DEP_1) | instskip(SKIP_1) | instid1(VALU_DEP_1)
	v_mov_b32_e32 v91, v85
	v_pk_mul_f32 v[84:85], v[86:87], v[76:77] op_sel:[0,1]
	v_pk_fma_f32 v[88:89], v[86:87], v[74:75], v[84:85] op_sel:[0,0,1] op_sel_hi:[1,1,0] neg_lo:[0,0,1] neg_hi:[0,0,1]
	v_pk_fma_f32 v[84:85], v[86:87], v[74:75], v[84:85] op_sel:[0,0,1] op_sel_hi:[1,0,0]
	s_delay_alu instid0(VALU_DEP_1)
	v_mov_b32_e32 v89, v85
	ds_load_2addr_b64 v[84:87], v78 offset0:27 offset1:28
	v_pk_add_f32 v[22:23], v[22:23], v[90:91] neg_lo:[0,1] neg_hi:[0,1]
	v_pk_add_f32 v[28:29], v[28:29], v[88:89] neg_lo:[0,1] neg_hi:[0,1]
	s_wait_dscnt 0x0
	v_pk_mul_f32 v[88:89], v[84:85], v[76:77] op_sel:[0,1]
	s_delay_alu instid0(VALU_DEP_1) | instskip(SKIP_1) | instid1(VALU_DEP_1)
	v_pk_fma_f32 v[90:91], v[84:85], v[74:75], v[88:89] op_sel:[0,0,1] op_sel_hi:[1,1,0] neg_lo:[0,0,1] neg_hi:[0,0,1]
	v_pk_fma_f32 v[84:85], v[84:85], v[74:75], v[88:89] op_sel:[0,0,1] op_sel_hi:[1,0,0]
	v_mov_b32_e32 v91, v85
	v_pk_mul_f32 v[84:85], v[86:87], v[76:77] op_sel:[0,1]
	s_delay_alu instid0(VALU_DEP_1) | instskip(SKIP_1) | instid1(VALU_DEP_1)
	v_pk_fma_f32 v[88:89], v[86:87], v[74:75], v[84:85] op_sel:[0,0,1] op_sel_hi:[1,1,0] neg_lo:[0,0,1] neg_hi:[0,0,1]
	v_pk_fma_f32 v[84:85], v[86:87], v[74:75], v[84:85] op_sel:[0,0,1] op_sel_hi:[1,0,0]
	v_mov_b32_e32 v89, v85
	ds_load_2addr_b64 v[84:87], v78 offset0:29 offset1:30
	v_pk_add_f32 v[20:21], v[20:21], v[90:91] neg_lo:[0,1] neg_hi:[0,1]
	v_pk_add_f32 v[50:51], v[50:51], v[88:89] neg_lo:[0,1] neg_hi:[0,1]
	s_wait_dscnt 0x0
	v_dual_mul_f32 v88, v85, v77 :: v_dual_mul_f32 v90, v85, v74
	s_delay_alu instid0(VALU_DEP_1) | instskip(NEXT) | instid1(VALU_DEP_2)
	v_pk_fma_f32 v[88:89], v[84:85], v[70:71], v[88:89] op_sel_hi:[1,1,0] neg_lo:[0,0,1] neg_hi:[0,0,1]
	v_pk_fma_f32 v[84:85], v[84:85], v[70:71], v[90:91] op_sel:[1,0,0] op_sel_hi:[0,1,0]
	s_delay_alu instid0(VALU_DEP_1) | instskip(SKIP_1) | instid1(VALU_DEP_2)
	v_mov_b32_e32 v89, v85
	v_pk_mul_f32 v[84:85], v[86:87], v[76:77] op_sel:[0,1]
	v_pk_add_f32 v[12:13], v[12:13], v[88:89] neg_lo:[0,1] neg_hi:[0,1]
	s_delay_alu instid0(VALU_DEP_2) | instskip(SKIP_1) | instid1(VALU_DEP_1)
	v_pk_fma_f32 v[88:89], v[86:87], v[74:75], v[84:85] op_sel:[0,0,1] op_sel_hi:[1,1,0] neg_lo:[0,0,1] neg_hi:[0,0,1]
	v_pk_fma_f32 v[84:85], v[86:87], v[74:75], v[84:85] op_sel:[0,0,1] op_sel_hi:[1,0,0]
	v_mov_b32_e32 v89, v85
	ds_load_2addr_b64 v[84:87], v78 offset0:31 offset1:32
	v_pk_add_f32 v[48:49], v[48:49], v[88:89] neg_lo:[0,1] neg_hi:[0,1]
	s_wait_dscnt 0x0
	v_pk_mul_f32 v[88:89], v[84:85], v[76:77] op_sel:[0,1]
	s_delay_alu instid0(VALU_DEP_1) | instskip(SKIP_1) | instid1(VALU_DEP_1)
	v_pk_fma_f32 v[90:91], v[84:85], v[74:75], v[88:89] op_sel:[0,0,1] op_sel_hi:[1,1,0] neg_lo:[0,0,1] neg_hi:[0,0,1]
	v_pk_fma_f32 v[84:85], v[84:85], v[74:75], v[88:89] op_sel:[0,0,1] op_sel_hi:[1,0,0]
	v_mov_b32_e32 v91, v85
	v_pk_mul_f32 v[84:85], v[86:87], v[76:77] op_sel:[0,1]
	s_delay_alu instid0(VALU_DEP_2) | instskip(NEXT) | instid1(VALU_DEP_2)
	v_pk_add_f32 v[46:47], v[46:47], v[90:91] neg_lo:[0,1] neg_hi:[0,1]
	v_pk_fma_f32 v[88:89], v[86:87], v[74:75], v[84:85] op_sel:[0,0,1] op_sel_hi:[1,1,0] neg_lo:[0,0,1] neg_hi:[0,0,1]
	v_pk_fma_f32 v[84:85], v[86:87], v[74:75], v[84:85] op_sel:[0,0,1] op_sel_hi:[1,0,0]
	s_delay_alu instid0(VALU_DEP_1) | instskip(SKIP_4) | instid1(VALU_DEP_1)
	v_mov_b32_e32 v89, v85
	ds_load_b64 v[84:85], v78 offset:264
	v_pk_add_f32 v[32:33], v[32:33], v[88:89] neg_lo:[0,1] neg_hi:[0,1]
	s_wait_dscnt 0x0
	v_pk_mul_f32 v[76:77], v[84:85], v[76:77] op_sel:[0,1]
	v_pk_fma_f32 v[86:87], v[84:85], v[74:75], v[76:77] op_sel:[0,0,1] op_sel_hi:[1,1,0] neg_lo:[0,0,1] neg_hi:[0,0,1]
	v_pk_fma_f32 v[74:75], v[84:85], v[74:75], v[76:77] op_sel:[0,0,1] op_sel_hi:[1,0,0]
	s_delay_alu instid0(VALU_DEP_1) | instskip(NEXT) | instid1(VALU_DEP_1)
	v_mov_b32_e32 v87, v75
	v_pk_add_f32 v[72:73], v[72:73], v[86:87] neg_lo:[0,1] neg_hi:[0,1]
.LBB66_22:
	s_or_b32 exec_lo, exec_lo, s0
	v_lshl_add_u32 v74, v82, 3, v78
	s_barrier_signal -1
	s_barrier_wait -1
	ds_store_b64 v74, v[68:69]
	s_wait_dscnt 0x0
	s_barrier_signal -1
	s_barrier_wait -1
	ds_load_b64 v[76:77], v78 offset:8
	v_mov_b32_e32 v74, 1
	s_cmp_lt_i32 s18, 3
	s_cbranch_scc1 .LBB66_25
; %bb.23:
	v_add3_u32 v75, v79, 0, 16
	v_mov_b32_e32 v74, 1
	s_mov_b32 s0, 2
.LBB66_24:                              ; =>This Inner Loop Header: Depth=1
	ds_load_b64 v[84:85], v75
	s_wait_dscnt 0x1
	v_cmp_gt_f32_e32 vcc_lo, 0, v76
	v_cndmask_b32_e64 v86, v76, -v76, vcc_lo
	v_cmp_gt_f32_e32 vcc_lo, 0, v77
	v_cndmask_b32_e64 v88, v77, -v77, vcc_lo
	s_wait_dscnt 0x0
	v_cmp_gt_f32_e32 vcc_lo, 0, v84
	v_cndmask_b32_e64 v87, v84, -v84, vcc_lo
	v_cmp_gt_f32_e32 vcc_lo, 0, v85
	v_cndmask_b32_e64 v89, v85, -v85, vcc_lo
	s_delay_alu instid0(VALU_DEP_1) | instskip(NEXT) | instid1(VALU_DEP_1)
	v_pk_add_f32 v[86:87], v[86:87], v[88:89]
	v_cmp_lt_f32_e32 vcc_lo, v86, v87
	v_dual_add_nc_u32 v75, 8, v75 :: v_dual_cndmask_b32 v77, v77, v85, vcc_lo
	v_cndmask_b32_e32 v76, v76, v84, vcc_lo
	v_cndmask_b32_e64 v74, v74, s0, vcc_lo
	s_add_co_i32 s0, s0, 1
	s_delay_alu instid0(SALU_CYCLE_1)
	s_cmp_lg_u32 s18, s0
	s_cbranch_scc1 .LBB66_24
.LBB66_25:
	s_wait_dscnt 0x0
	v_cmp_neq_f32_e32 vcc_lo, 0, v76
	v_cmp_neq_f32_e64 s0, 0, v77
	s_or_b32 s1, vcc_lo, s0
	s_delay_alu instid0(SALU_CYCLE_1)
	s_and_saveexec_b32 s0, s1
	s_cbranch_execz .LBB66_31
; %bb.26:
	v_cmp_ngt_f32_e64 s1, |v76|, |v77|
	s_and_saveexec_b32 s12, s1
	s_delay_alu instid0(SALU_CYCLE_1)
	s_xor_b32 s1, exec_lo, s12
	s_cbranch_execz .LBB66_28
; %bb.27:
	v_div_scale_f32 v75, null, v77, v77, v76
	v_div_scale_f32 v85, vcc_lo, v76, v77, v76
	s_delay_alu instid0(VALU_DEP_2) | instskip(SKIP_1) | instid1(TRANS32_DEP_1)
	v_rcp_f32_e32 v80, v75
	v_nop
	v_fma_f32 v84, -v75, v80, 1.0
	s_delay_alu instid0(VALU_DEP_1) | instskip(NEXT) | instid1(VALU_DEP_1)
	v_fmac_f32_e32 v80, v84, v80
	v_mul_f32_e32 v84, v85, v80
	s_delay_alu instid0(VALU_DEP_1) | instskip(NEXT) | instid1(VALU_DEP_1)
	v_fma_f32 v86, -v75, v84, v85
	v_fmac_f32_e32 v84, v86, v80
	s_delay_alu instid0(VALU_DEP_1) | instskip(NEXT) | instid1(VALU_DEP_1)
	v_fma_f32 v75, -v75, v84, v85
	v_div_fmas_f32 v75, v75, v80, v84
	s_delay_alu instid0(VALU_DEP_1) | instskip(NEXT) | instid1(VALU_DEP_1)
	v_div_fixup_f32 v75, v75, v77, v76
	v_fmac_f32_e32 v77, v76, v75
	s_delay_alu instid0(VALU_DEP_1) | instskip(SKIP_1) | instid1(VALU_DEP_2)
	v_div_scale_f32 v76, null, v77, v77, 1.0
	v_div_scale_f32 v85, vcc_lo, 1.0, v77, 1.0
	v_rcp_f32_e32 v80, v76
	v_nop
	s_delay_alu instid0(TRANS32_DEP_1) | instskip(NEXT) | instid1(VALU_DEP_1)
	v_fma_f32 v84, -v76, v80, 1.0
	v_fmac_f32_e32 v80, v84, v80
	s_delay_alu instid0(VALU_DEP_1) | instskip(NEXT) | instid1(VALU_DEP_1)
	v_mul_f32_e32 v84, v85, v80
	v_fma_f32 v86, -v76, v84, v85
	s_delay_alu instid0(VALU_DEP_1) | instskip(NEXT) | instid1(VALU_DEP_1)
	v_fmac_f32_e32 v84, v86, v80
	v_fma_f32 v76, -v76, v84, v85
	s_delay_alu instid0(VALU_DEP_1) | instskip(NEXT) | instid1(VALU_DEP_1)
	v_div_fmas_f32 v76, v76, v80, v84
	v_div_fixup_f32 v77, v76, v77, 1.0
	s_delay_alu instid0(VALU_DEP_1)
	v_mul_f32_e32 v76, v75, v77
	v_xor_b32_e32 v77, 0x80000000, v77
.LBB66_28:
	s_and_not1_saveexec_b32 s1, s1
	s_cbranch_execz .LBB66_30
; %bb.29:
	s_delay_alu instid0(VALU_DEP_1) | instskip(SKIP_1) | instid1(VALU_DEP_2)
	v_div_scale_f32 v75, null, v76, v76, v77
	v_div_scale_f32 v85, vcc_lo, v77, v76, v77
	v_rcp_f32_e32 v80, v75
	v_nop
	s_delay_alu instid0(TRANS32_DEP_1) | instskip(NEXT) | instid1(VALU_DEP_1)
	v_fma_f32 v84, -v75, v80, 1.0
	v_fmac_f32_e32 v80, v84, v80
	s_delay_alu instid0(VALU_DEP_1) | instskip(NEXT) | instid1(VALU_DEP_1)
	v_mul_f32_e32 v84, v85, v80
	v_fma_f32 v86, -v75, v84, v85
	s_delay_alu instid0(VALU_DEP_1) | instskip(NEXT) | instid1(VALU_DEP_1)
	v_fmac_f32_e32 v84, v86, v80
	v_fma_f32 v75, -v75, v84, v85
	s_delay_alu instid0(VALU_DEP_1) | instskip(NEXT) | instid1(VALU_DEP_1)
	v_div_fmas_f32 v75, v75, v80, v84
	v_div_fixup_f32 v75, v75, v76, v77
	s_delay_alu instid0(VALU_DEP_1) | instskip(NEXT) | instid1(VALU_DEP_1)
	v_fmac_f32_e32 v76, v77, v75
	v_div_scale_f32 v77, null, v76, v76, 1.0
	s_delay_alu instid0(VALU_DEP_1) | instskip(SKIP_1) | instid1(TRANS32_DEP_1)
	v_rcp_f32_e32 v80, v77
	v_nop
	v_fma_f32 v84, -v77, v80, 1.0
	s_delay_alu instid0(VALU_DEP_1) | instskip(SKIP_1) | instid1(VALU_DEP_1)
	v_fmac_f32_e32 v80, v84, v80
	v_div_scale_f32 v84, vcc_lo, 1.0, v76, 1.0
	v_mul_f32_e32 v85, v84, v80
	s_delay_alu instid0(VALU_DEP_1) | instskip(NEXT) | instid1(VALU_DEP_1)
	v_fma_f32 v86, -v77, v85, v84
	v_fmac_f32_e32 v85, v86, v80
	s_delay_alu instid0(VALU_DEP_1) | instskip(NEXT) | instid1(VALU_DEP_1)
	v_fma_f32 v77, -v77, v85, v84
	v_div_fmas_f32 v77, v77, v80, v85
	s_delay_alu instid0(VALU_DEP_1) | instskip(NEXT) | instid1(VALU_DEP_1)
	v_div_fixup_f32 v76, v77, v76, 1.0
	v_mul_f32_e64 v77, v75, -v76
.LBB66_30:
	s_or_b32 exec_lo, exec_lo, s1
	v_mov_b32_e32 v80, v83
.LBB66_31:
	s_or_b32 exec_lo, exec_lo, s0
	s_delay_alu instid0(SALU_CYCLE_1)
	s_mov_b32 s0, exec_lo
	v_cmpx_ne_u32_e64 v82, v74
	s_xor_b32 s0, exec_lo, s0
	s_cbranch_execz .LBB66_37
; %bb.32:
	s_mov_b32 s1, exec_lo
	v_cmpx_eq_u32_e32 1, v82
	s_cbranch_execz .LBB66_36
; %bb.33:
	v_cmp_ne_u32_e32 vcc_lo, 1, v74
	s_xor_b32 s12, s16, -1
	s_delay_alu instid0(SALU_CYCLE_1) | instskip(NEXT) | instid1(SALU_CYCLE_1)
	s_and_b32 s13, s12, vcc_lo
	s_and_saveexec_b32 s12, s13
	s_cbranch_execz .LBB66_35
; %bb.34:
	v_ashrrev_i32_e32 v75, 31, v74
	s_delay_alu instid0(VALU_DEP_1)
	v_lshl_add_u64 v[82:83], v[74:75], 2, v[4:5]
	s_clause 0x1
	global_load_b32 v75, v[82:83], off
	global_load_b32 v81, v[4:5], off offset:4
	s_wait_loadcnt 0x1
	global_store_b32 v[4:5], v75, off offset:4
	s_wait_loadcnt 0x0
	global_store_b32 v[82:83], v81, off
.LBB66_35:
	s_wait_xcnt 0x0
	s_or_b32 exec_lo, exec_lo, s12
	v_dual_mov_b32 v82, v74 :: v_dual_mov_b32 v81, v74
.LBB66_36:
	s_or_b32 exec_lo, exec_lo, s1
.LBB66_37:
	s_and_not1_saveexec_b32 s0, s0
	s_cbranch_execz .LBB66_39
; %bb.38:
	v_dual_mov_b32 v74, v66 :: v_dual_mov_b32 v75, v67
	v_dual_mov_b32 v82, v64 :: v_dual_mov_b32 v83, v65
	ds_store_2addr_b64 v78, v[74:75], v[82:83] offset0:2 offset1:3
	v_dual_mov_b32 v74, v52 :: v_dual_mov_b32 v75, v53
	v_dual_mov_b32 v82, v8 :: v_dual_mov_b32 v83, v9
	ds_store_2addr_b64 v78, v[74:75], v[82:83] offset0:4 offset1:5
	;; [unrolled: 3-line block ×15, first 2 shown]
	v_dual_mov_b32 v74, v32 :: v_dual_mov_b32 v75, v33
	v_mov_b32_e32 v82, 1
	ds_store_2addr_b64 v78, v[74:75], v[72:73] offset0:32 offset1:33
.LBB66_39:
	s_or_b32 exec_lo, exec_lo, s0
	s_delay_alu instid0(SALU_CYCLE_1)
	s_mov_b32 s0, exec_lo
	s_wait_storecnt_dscnt 0x0
	s_barrier_signal -1
	s_barrier_wait -1
	v_cmpx_lt_i32_e32 1, v82
	s_cbranch_execz .LBB66_41
; %bb.40:
	v_pk_mul_f32 v[84:85], v[76:77], v[68:69] op_sel:[1,1] op_sel_hi:[0,1]
	s_delay_alu instid0(VALU_DEP_1)
	v_pk_fma_f32 v[74:75], v[76:77], v[68:69], v[84:85] op_sel_hi:[1,0,1] neg_lo:[0,0,1] neg_hi:[0,0,1]
	v_pk_fma_f32 v[76:77], v[76:77], v[68:69], v[84:85] op_sel_hi:[1,0,1]
	ds_load_2addr_b64 v[84:87], v78 offset0:2 offset1:3
	v_dual_mov_b32 v68, v74 :: v_dual_mov_b32 v69, v77
	s_wait_dscnt 0x0
	v_pk_mul_f32 v[88:89], v[84:85], v[76:77] op_sel:[0,1]
	s_delay_alu instid0(VALU_DEP_1) | instskip(SKIP_1) | instid1(VALU_DEP_1)
	v_pk_fma_f32 v[90:91], v[84:85], v[74:75], v[88:89] op_sel:[0,0,1] op_sel_hi:[1,1,0] neg_lo:[0,0,1] neg_hi:[0,0,1]
	v_pk_fma_f32 v[84:85], v[84:85], v[74:75], v[88:89] op_sel:[0,0,1] op_sel_hi:[1,0,0]
	v_mov_b32_e32 v91, v85
	v_pk_mul_f32 v[84:85], v[86:87], v[76:77] op_sel:[0,1]
	s_delay_alu instid0(VALU_DEP_1) | instskip(SKIP_1) | instid1(VALU_DEP_1)
	v_pk_fma_f32 v[88:89], v[86:87], v[74:75], v[84:85] op_sel:[0,0,1] op_sel_hi:[1,1,0] neg_lo:[0,0,1] neg_hi:[0,0,1]
	v_pk_fma_f32 v[84:85], v[86:87], v[74:75], v[84:85] op_sel:[0,0,1] op_sel_hi:[1,0,0]
	v_mov_b32_e32 v89, v85
	ds_load_2addr_b64 v[84:87], v78 offset0:4 offset1:5
	v_pk_add_f32 v[66:67], v[66:67], v[90:91] neg_lo:[0,1] neg_hi:[0,1]
	v_pk_add_f32 v[64:65], v[64:65], v[88:89] neg_lo:[0,1] neg_hi:[0,1]
	s_wait_dscnt 0x0
	v_pk_mul_f32 v[88:89], v[84:85], v[76:77] op_sel:[0,1]
	s_delay_alu instid0(VALU_DEP_1) | instskip(SKIP_2) | instid1(VALU_DEP_2)
	v_pk_fma_f32 v[90:91], v[84:85], v[74:75], v[88:89] op_sel:[0,0,1] op_sel_hi:[1,1,0] neg_lo:[0,0,1] neg_hi:[0,0,1]
	v_pk_fma_f32 v[84:85], v[84:85], v[74:75], v[88:89] op_sel:[0,0,1] op_sel_hi:[1,0,0]
	v_dual_mul_f32 v88, v87, v77 :: v_dual_mov_b32 v84, v87
	v_dual_mov_b32 v91, v85 :: v_dual_mov_b32 v85, v86
	s_delay_alu instid0(VALU_DEP_2) | instskip(SKIP_1) | instid1(VALU_DEP_3)
	v_pk_fma_f32 v[88:89], v[86:87], v[68:69], v[88:89] op_sel_hi:[1,1,0] neg_lo:[0,0,1] neg_hi:[0,0,1]
	v_mul_f32_e32 v86, v87, v74
	v_pk_add_f32 v[52:53], v[52:53], v[90:91] neg_lo:[0,1] neg_hi:[0,1]
	s_delay_alu instid0(VALU_DEP_2) | instskip(NEXT) | instid1(VALU_DEP_1)
	v_pk_fma_f32 v[84:85], v[84:85], v[68:69], v[86:87] op_sel_hi:[1,1,0]
	v_mov_b32_e32 v89, v85
	ds_load_2addr_b64 v[84:87], v78 offset0:6 offset1:7
	v_pk_add_f32 v[8:9], v[8:9], v[88:89] neg_lo:[0,1] neg_hi:[0,1]
	s_wait_dscnt 0x0
	v_pk_mul_f32 v[88:89], v[84:85], v[76:77] op_sel:[0,1]
	s_delay_alu instid0(VALU_DEP_1) | instskip(SKIP_1) | instid1(VALU_DEP_1)
	v_pk_fma_f32 v[90:91], v[84:85], v[74:75], v[88:89] op_sel:[0,0,1] op_sel_hi:[1,1,0] neg_lo:[0,0,1] neg_hi:[0,0,1]
	v_pk_fma_f32 v[84:85], v[84:85], v[74:75], v[88:89] op_sel:[0,0,1] op_sel_hi:[1,0,0]
	v_mov_b32_e32 v91, v85
	v_pk_mul_f32 v[84:85], v[86:87], v[76:77] op_sel:[0,1]
	s_delay_alu instid0(VALU_DEP_1) | instskip(SKIP_1) | instid1(VALU_DEP_1)
	v_pk_fma_f32 v[88:89], v[86:87], v[74:75], v[84:85] op_sel:[0,0,1] op_sel_hi:[1,1,0] neg_lo:[0,0,1] neg_hi:[0,0,1]
	v_pk_fma_f32 v[84:85], v[86:87], v[74:75], v[84:85] op_sel:[0,0,1] op_sel_hi:[1,0,0]
	v_mov_b32_e32 v89, v85
	ds_load_2addr_b64 v[84:87], v78 offset0:8 offset1:9
	v_pk_add_f32 v[10:11], v[10:11], v[90:91] neg_lo:[0,1] neg_hi:[0,1]
	v_pk_add_f32 v[6:7], v[6:7], v[88:89] neg_lo:[0,1] neg_hi:[0,1]
	s_wait_dscnt 0x0
	v_pk_mul_f32 v[88:89], v[84:85], v[76:77] op_sel:[0,1]
	s_delay_alu instid0(VALU_DEP_1) | instskip(SKIP_1) | instid1(VALU_DEP_1)
	v_pk_fma_f32 v[90:91], v[84:85], v[74:75], v[88:89] op_sel:[0,0,1] op_sel_hi:[1,1,0] neg_lo:[0,0,1] neg_hi:[0,0,1]
	v_pk_fma_f32 v[84:85], v[84:85], v[74:75], v[88:89] op_sel:[0,0,1] op_sel_hi:[1,0,0]
	v_mov_b32_e32 v91, v85
	v_pk_mul_f32 v[84:85], v[86:87], v[76:77] op_sel:[0,1]
	s_delay_alu instid0(VALU_DEP_1) | instskip(SKIP_1) | instid1(VALU_DEP_1)
	v_pk_fma_f32 v[88:89], v[86:87], v[74:75], v[84:85] op_sel:[0,0,1] op_sel_hi:[1,1,0] neg_lo:[0,0,1] neg_hi:[0,0,1]
	v_pk_fma_f32 v[84:85], v[86:87], v[74:75], v[84:85] op_sel:[0,0,1] op_sel_hi:[1,0,0]
	v_mov_b32_e32 v89, v85
	ds_load_2addr_b64 v[84:87], v78 offset0:10 offset1:11
	v_pk_add_f32 v[54:55], v[54:55], v[90:91] neg_lo:[0,1] neg_hi:[0,1]
	v_pk_add_f32 v[16:17], v[16:17], v[88:89] neg_lo:[0,1] neg_hi:[0,1]
	s_wait_dscnt 0x0
	v_dual_mul_f32 v88, v85, v77 :: v_dual_mul_f32 v90, v85, v74
	s_delay_alu instid0(VALU_DEP_1) | instskip(NEXT) | instid1(VALU_DEP_2)
	v_pk_fma_f32 v[88:89], v[84:85], v[68:69], v[88:89] op_sel_hi:[1,1,0] neg_lo:[0,0,1] neg_hi:[0,0,1]
	v_pk_fma_f32 v[84:85], v[84:85], v[68:69], v[90:91] op_sel:[1,0,0] op_sel_hi:[0,1,0]
	s_delay_alu instid0(VALU_DEP_1) | instskip(SKIP_1) | instid1(VALU_DEP_2)
	v_mov_b32_e32 v89, v85
	v_pk_mul_f32 v[84:85], v[86:87], v[76:77] op_sel:[0,1]
	v_pk_add_f32 v[18:19], v[18:19], v[88:89] neg_lo:[0,1] neg_hi:[0,1]
	s_delay_alu instid0(VALU_DEP_2) | instskip(SKIP_1) | instid1(VALU_DEP_1)
	v_pk_fma_f32 v[88:89], v[86:87], v[74:75], v[84:85] op_sel:[0,0,1] op_sel_hi:[1,1,0] neg_lo:[0,0,1] neg_hi:[0,0,1]
	v_pk_fma_f32 v[84:85], v[86:87], v[74:75], v[84:85] op_sel:[0,0,1] op_sel_hi:[1,0,0]
	v_mov_b32_e32 v89, v85
	ds_load_2addr_b64 v[84:87], v78 offset0:12 offset1:13
	v_pk_add_f32 v[14:15], v[14:15], v[88:89] neg_lo:[0,1] neg_hi:[0,1]
	s_wait_dscnt 0x0
	v_pk_mul_f32 v[88:89], v[84:85], v[76:77] op_sel:[0,1]
	s_delay_alu instid0(VALU_DEP_1) | instskip(SKIP_1) | instid1(VALU_DEP_1)
	v_pk_fma_f32 v[90:91], v[84:85], v[74:75], v[88:89] op_sel:[0,0,1] op_sel_hi:[1,1,0] neg_lo:[0,0,1] neg_hi:[0,0,1]
	v_pk_fma_f32 v[84:85], v[84:85], v[74:75], v[88:89] op_sel:[0,0,1] op_sel_hi:[1,0,0]
	v_mov_b32_e32 v91, v85
	v_pk_mul_f32 v[84:85], v[86:87], v[76:77] op_sel:[0,1]
	s_delay_alu instid0(VALU_DEP_2) | instskip(NEXT) | instid1(VALU_DEP_2)
	v_pk_add_f32 v[58:59], v[58:59], v[90:91] neg_lo:[0,1] neg_hi:[0,1]
	v_pk_fma_f32 v[88:89], v[86:87], v[74:75], v[84:85] op_sel:[0,0,1] op_sel_hi:[1,1,0] neg_lo:[0,0,1] neg_hi:[0,0,1]
	v_pk_fma_f32 v[84:85], v[86:87], v[74:75], v[84:85] op_sel:[0,0,1] op_sel_hi:[1,0,0]
	s_delay_alu instid0(VALU_DEP_1) | instskip(SKIP_4) | instid1(VALU_DEP_1)
	v_mov_b32_e32 v89, v85
	ds_load_2addr_b64 v[84:87], v78 offset0:14 offset1:15
	v_pk_add_f32 v[26:27], v[26:27], v[88:89] neg_lo:[0,1] neg_hi:[0,1]
	s_wait_dscnt 0x0
	v_pk_mul_f32 v[88:89], v[84:85], v[76:77] op_sel:[0,1]
	v_pk_fma_f32 v[90:91], v[84:85], v[74:75], v[88:89] op_sel:[0,0,1] op_sel_hi:[1,1,0] neg_lo:[0,0,1] neg_hi:[0,0,1]
	v_pk_fma_f32 v[84:85], v[84:85], v[74:75], v[88:89] op_sel:[0,0,1] op_sel_hi:[1,0,0]
	v_dual_mul_f32 v88, v87, v77 :: v_dual_mov_b32 v84, v87
	s_delay_alu instid0(VALU_DEP_2) | instskip(NEXT) | instid1(VALU_DEP_2)
	v_dual_mov_b32 v91, v85 :: v_dual_mov_b32 v85, v86
	v_pk_fma_f32 v[88:89], v[86:87], v[68:69], v[88:89] op_sel_hi:[1,1,0] neg_lo:[0,0,1] neg_hi:[0,0,1]
	v_mul_f32_e32 v86, v87, v74
	s_delay_alu instid0(VALU_DEP_3) | instskip(NEXT) | instid1(VALU_DEP_2)
	v_pk_add_f32 v[30:31], v[30:31], v[90:91] neg_lo:[0,1] neg_hi:[0,1]
	v_pk_fma_f32 v[84:85], v[84:85], v[68:69], v[86:87] op_sel_hi:[1,1,0]
	s_delay_alu instid0(VALU_DEP_1) | instskip(SKIP_4) | instid1(VALU_DEP_1)
	v_mov_b32_e32 v89, v85
	ds_load_2addr_b64 v[84:87], v78 offset0:16 offset1:17
	v_pk_add_f32 v[24:25], v[24:25], v[88:89] neg_lo:[0,1] neg_hi:[0,1]
	s_wait_dscnt 0x0
	v_pk_mul_f32 v[88:89], v[84:85], v[76:77] op_sel:[0,1]
	v_pk_fma_f32 v[90:91], v[84:85], v[74:75], v[88:89] op_sel:[0,0,1] op_sel_hi:[1,1,0] neg_lo:[0,0,1] neg_hi:[0,0,1]
	v_pk_fma_f32 v[84:85], v[84:85], v[74:75], v[88:89] op_sel:[0,0,1] op_sel_hi:[1,0,0]
	s_delay_alu instid0(VALU_DEP_1) | instskip(SKIP_1) | instid1(VALU_DEP_1)
	v_mov_b32_e32 v91, v85
	v_pk_mul_f32 v[84:85], v[86:87], v[76:77] op_sel:[0,1]
	v_pk_fma_f32 v[88:89], v[86:87], v[74:75], v[84:85] op_sel:[0,0,1] op_sel_hi:[1,1,0] neg_lo:[0,0,1] neg_hi:[0,0,1]
	v_pk_fma_f32 v[84:85], v[86:87], v[74:75], v[84:85] op_sel:[0,0,1] op_sel_hi:[1,0,0]
	s_delay_alu instid0(VALU_DEP_1)
	v_mov_b32_e32 v89, v85
	ds_load_2addr_b64 v[84:87], v78 offset0:18 offset1:19
	v_pk_add_f32 v[62:63], v[62:63], v[90:91] neg_lo:[0,1] neg_hi:[0,1]
	v_pk_add_f32 v[42:43], v[42:43], v[88:89] neg_lo:[0,1] neg_hi:[0,1]
	s_wait_dscnt 0x0
	v_pk_mul_f32 v[88:89], v[84:85], v[76:77] op_sel:[0,1]
	s_delay_alu instid0(VALU_DEP_1) | instskip(SKIP_1) | instid1(VALU_DEP_1)
	v_pk_fma_f32 v[90:91], v[84:85], v[74:75], v[88:89] op_sel:[0,0,1] op_sel_hi:[1,1,0] neg_lo:[0,0,1] neg_hi:[0,0,1]
	v_pk_fma_f32 v[84:85], v[84:85], v[74:75], v[88:89] op_sel:[0,0,1] op_sel_hi:[1,0,0]
	v_mov_b32_e32 v91, v85
	v_pk_mul_f32 v[84:85], v[86:87], v[76:77] op_sel:[0,1]
	s_delay_alu instid0(VALU_DEP_1) | instskip(SKIP_1) | instid1(VALU_DEP_1)
	v_pk_fma_f32 v[88:89], v[86:87], v[74:75], v[84:85] op_sel:[0,0,1] op_sel_hi:[1,1,0] neg_lo:[0,0,1] neg_hi:[0,0,1]
	v_pk_fma_f32 v[84:85], v[86:87], v[74:75], v[84:85] op_sel:[0,0,1] op_sel_hi:[1,0,0]
	v_mov_b32_e32 v89, v85
	ds_load_2addr_b64 v[84:87], v78 offset0:20 offset1:21
	v_pk_add_f32 v[44:45], v[44:45], v[90:91] neg_lo:[0,1] neg_hi:[0,1]
	v_pk_add_f32 v[40:41], v[40:41], v[88:89] neg_lo:[0,1] neg_hi:[0,1]
	s_wait_dscnt 0x0
	v_dual_mul_f32 v88, v85, v77 :: v_dual_mul_f32 v90, v85, v74
	s_delay_alu instid0(VALU_DEP_1) | instskip(NEXT) | instid1(VALU_DEP_2)
	v_pk_fma_f32 v[88:89], v[84:85], v[68:69], v[88:89] op_sel_hi:[1,1,0] neg_lo:[0,0,1] neg_hi:[0,0,1]
	v_pk_fma_f32 v[84:85], v[84:85], v[68:69], v[90:91] op_sel:[1,0,0] op_sel_hi:[0,1,0]
	s_delay_alu instid0(VALU_DEP_1) | instskip(SKIP_1) | instid1(VALU_DEP_2)
	v_mov_b32_e32 v89, v85
	v_pk_mul_f32 v[84:85], v[86:87], v[76:77] op_sel:[0,1]
	v_pk_add_f32 v[60:61], v[60:61], v[88:89] neg_lo:[0,1] neg_hi:[0,1]
	s_delay_alu instid0(VALU_DEP_2) | instskip(SKIP_1) | instid1(VALU_DEP_1)
	v_pk_fma_f32 v[88:89], v[86:87], v[74:75], v[84:85] op_sel:[0,0,1] op_sel_hi:[1,1,0] neg_lo:[0,0,1] neg_hi:[0,0,1]
	v_pk_fma_f32 v[84:85], v[86:87], v[74:75], v[84:85] op_sel:[0,0,1] op_sel_hi:[1,0,0]
	v_mov_b32_e32 v89, v85
	ds_load_2addr_b64 v[84:87], v78 offset0:22 offset1:23
	v_pk_add_f32 v[36:37], v[36:37], v[88:89] neg_lo:[0,1] neg_hi:[0,1]
	s_wait_dscnt 0x0
	v_pk_mul_f32 v[88:89], v[84:85], v[76:77] op_sel:[0,1]
	s_delay_alu instid0(VALU_DEP_1) | instskip(SKIP_1) | instid1(VALU_DEP_1)
	v_pk_fma_f32 v[90:91], v[84:85], v[74:75], v[88:89] op_sel:[0,0,1] op_sel_hi:[1,1,0] neg_lo:[0,0,1] neg_hi:[0,0,1]
	v_pk_fma_f32 v[84:85], v[84:85], v[74:75], v[88:89] op_sel:[0,0,1] op_sel_hi:[1,0,0]
	v_mov_b32_e32 v91, v85
	v_pk_mul_f32 v[84:85], v[86:87], v[76:77] op_sel:[0,1]
	s_delay_alu instid0(VALU_DEP_2) | instskip(NEXT) | instid1(VALU_DEP_2)
	v_pk_add_f32 v[38:39], v[38:39], v[90:91] neg_lo:[0,1] neg_hi:[0,1]
	v_pk_fma_f32 v[88:89], v[86:87], v[74:75], v[84:85] op_sel:[0,0,1] op_sel_hi:[1,1,0] neg_lo:[0,0,1] neg_hi:[0,0,1]
	v_pk_fma_f32 v[84:85], v[86:87], v[74:75], v[84:85] op_sel:[0,0,1] op_sel_hi:[1,0,0]
	s_delay_alu instid0(VALU_DEP_1) | instskip(SKIP_4) | instid1(VALU_DEP_1)
	v_mov_b32_e32 v89, v85
	ds_load_2addr_b64 v[84:87], v78 offset0:24 offset1:25
	v_pk_add_f32 v[34:35], v[34:35], v[88:89] neg_lo:[0,1] neg_hi:[0,1]
	s_wait_dscnt 0x0
	v_pk_mul_f32 v[88:89], v[84:85], v[76:77] op_sel:[0,1]
	v_pk_fma_f32 v[90:91], v[84:85], v[74:75], v[88:89] op_sel:[0,0,1] op_sel_hi:[1,1,0] neg_lo:[0,0,1] neg_hi:[0,0,1]
	v_pk_fma_f32 v[84:85], v[84:85], v[74:75], v[88:89] op_sel:[0,0,1] op_sel_hi:[1,0,0]
	v_dual_mul_f32 v88, v87, v77 :: v_dual_mov_b32 v84, v87
	s_delay_alu instid0(VALU_DEP_2) | instskip(NEXT) | instid1(VALU_DEP_2)
	v_dual_mov_b32 v91, v85 :: v_dual_mov_b32 v85, v86
	v_pk_fma_f32 v[88:89], v[86:87], v[68:69], v[88:89] op_sel_hi:[1,1,0] neg_lo:[0,0,1] neg_hi:[0,0,1]
	v_mul_f32_e32 v86, v87, v74
	s_delay_alu instid0(VALU_DEP_3) | instskip(NEXT) | instid1(VALU_DEP_2)
	v_pk_add_f32 v[56:57], v[56:57], v[90:91] neg_lo:[0,1] neg_hi:[0,1]
	v_pk_fma_f32 v[84:85], v[84:85], v[68:69], v[86:87] op_sel_hi:[1,1,0]
	s_delay_alu instid0(VALU_DEP_1) | instskip(SKIP_4) | instid1(VALU_DEP_1)
	v_mov_b32_e32 v89, v85
	ds_load_2addr_b64 v[84:87], v78 offset0:26 offset1:27
	v_pk_add_f32 v[22:23], v[22:23], v[88:89] neg_lo:[0,1] neg_hi:[0,1]
	s_wait_dscnt 0x0
	v_pk_mul_f32 v[88:89], v[84:85], v[76:77] op_sel:[0,1]
	v_pk_fma_f32 v[90:91], v[84:85], v[74:75], v[88:89] op_sel:[0,0,1] op_sel_hi:[1,1,0] neg_lo:[0,0,1] neg_hi:[0,0,1]
	v_pk_fma_f32 v[84:85], v[84:85], v[74:75], v[88:89] op_sel:[0,0,1] op_sel_hi:[1,0,0]
	s_delay_alu instid0(VALU_DEP_1) | instskip(SKIP_1) | instid1(VALU_DEP_1)
	v_mov_b32_e32 v91, v85
	v_pk_mul_f32 v[84:85], v[86:87], v[76:77] op_sel:[0,1]
	v_pk_fma_f32 v[88:89], v[86:87], v[74:75], v[84:85] op_sel:[0,0,1] op_sel_hi:[1,1,0] neg_lo:[0,0,1] neg_hi:[0,0,1]
	v_pk_fma_f32 v[84:85], v[86:87], v[74:75], v[84:85] op_sel:[0,0,1] op_sel_hi:[1,0,0]
	s_delay_alu instid0(VALU_DEP_1)
	v_mov_b32_e32 v89, v85
	ds_load_2addr_b64 v[84:87], v78 offset0:28 offset1:29
	v_pk_add_f32 v[28:29], v[28:29], v[90:91] neg_lo:[0,1] neg_hi:[0,1]
	v_pk_add_f32 v[20:21], v[20:21], v[88:89] neg_lo:[0,1] neg_hi:[0,1]
	s_wait_dscnt 0x0
	v_pk_mul_f32 v[88:89], v[84:85], v[76:77] op_sel:[0,1]
	s_delay_alu instid0(VALU_DEP_1) | instskip(SKIP_1) | instid1(VALU_DEP_1)
	v_pk_fma_f32 v[90:91], v[84:85], v[74:75], v[88:89] op_sel:[0,0,1] op_sel_hi:[1,1,0] neg_lo:[0,0,1] neg_hi:[0,0,1]
	v_pk_fma_f32 v[84:85], v[84:85], v[74:75], v[88:89] op_sel:[0,0,1] op_sel_hi:[1,0,0]
	v_mov_b32_e32 v91, v85
	v_pk_mul_f32 v[84:85], v[86:87], v[76:77] op_sel:[0,1]
	s_delay_alu instid0(VALU_DEP_1) | instskip(SKIP_1) | instid1(VALU_DEP_1)
	v_pk_fma_f32 v[88:89], v[86:87], v[74:75], v[84:85] op_sel:[0,0,1] op_sel_hi:[1,1,0] neg_lo:[0,0,1] neg_hi:[0,0,1]
	v_pk_fma_f32 v[84:85], v[86:87], v[74:75], v[84:85] op_sel:[0,0,1] op_sel_hi:[1,0,0]
	v_mov_b32_e32 v89, v85
	ds_load_2addr_b64 v[84:87], v78 offset0:30 offset1:31
	v_pk_add_f32 v[50:51], v[50:51], v[90:91] neg_lo:[0,1] neg_hi:[0,1]
	v_pk_add_f32 v[12:13], v[12:13], v[88:89] neg_lo:[0,1] neg_hi:[0,1]
	s_wait_dscnt 0x0
	v_dual_mul_f32 v88, v85, v77 :: v_dual_mul_f32 v90, v85, v74
	s_delay_alu instid0(VALU_DEP_1) | instskip(NEXT) | instid1(VALU_DEP_2)
	v_pk_fma_f32 v[88:89], v[84:85], v[68:69], v[88:89] op_sel_hi:[1,1,0] neg_lo:[0,0,1] neg_hi:[0,0,1]
	v_pk_fma_f32 v[84:85], v[84:85], v[68:69], v[90:91] op_sel:[1,0,0] op_sel_hi:[0,1,0]
	s_delay_alu instid0(VALU_DEP_1) | instskip(SKIP_1) | instid1(VALU_DEP_2)
	v_mov_b32_e32 v89, v85
	v_pk_mul_f32 v[84:85], v[86:87], v[76:77] op_sel:[0,1]
	v_pk_add_f32 v[48:49], v[48:49], v[88:89] neg_lo:[0,1] neg_hi:[0,1]
	s_delay_alu instid0(VALU_DEP_2) | instskip(SKIP_1) | instid1(VALU_DEP_1)
	v_pk_fma_f32 v[88:89], v[86:87], v[74:75], v[84:85] op_sel:[0,0,1] op_sel_hi:[1,1,0] neg_lo:[0,0,1] neg_hi:[0,0,1]
	v_pk_fma_f32 v[84:85], v[86:87], v[74:75], v[84:85] op_sel:[0,0,1] op_sel_hi:[1,0,0]
	v_mov_b32_e32 v89, v85
	ds_load_2addr_b64 v[84:87], v78 offset0:32 offset1:33
	v_pk_add_f32 v[46:47], v[46:47], v[88:89] neg_lo:[0,1] neg_hi:[0,1]
	s_wait_dscnt 0x0
	v_pk_mul_f32 v[88:89], v[84:85], v[76:77] op_sel:[0,1]
	v_pk_mul_f32 v[76:77], v[86:87], v[76:77] op_sel:[0,1]
	s_delay_alu instid0(VALU_DEP_2) | instskip(SKIP_1) | instid1(VALU_DEP_1)
	v_pk_fma_f32 v[90:91], v[84:85], v[74:75], v[88:89] op_sel:[0,0,1] op_sel_hi:[1,1,0] neg_lo:[0,0,1] neg_hi:[0,0,1]
	v_pk_fma_f32 v[84:85], v[84:85], v[74:75], v[88:89] op_sel:[0,0,1] op_sel_hi:[1,0,0]
	v_mov_b32_e32 v91, v85
	s_delay_alu instid0(VALU_DEP_4) | instskip(SKIP_1) | instid1(VALU_DEP_3)
	v_pk_fma_f32 v[84:85], v[86:87], v[74:75], v[76:77] op_sel:[0,0,1] op_sel_hi:[1,1,0] neg_lo:[0,0,1] neg_hi:[0,0,1]
	v_pk_fma_f32 v[74:75], v[86:87], v[74:75], v[76:77] op_sel:[0,0,1] op_sel_hi:[1,0,0]
	v_pk_add_f32 v[32:33], v[32:33], v[90:91] neg_lo:[0,1] neg_hi:[0,1]
	s_delay_alu instid0(VALU_DEP_2) | instskip(NEXT) | instid1(VALU_DEP_1)
	v_mov_b32_e32 v85, v75
	v_pk_add_f32 v[72:73], v[72:73], v[84:85] neg_lo:[0,1] neg_hi:[0,1]
.LBB66_41:
	s_or_b32 exec_lo, exec_lo, s0
	v_lshl_add_u32 v74, v82, 3, v78
	s_barrier_signal -1
	s_barrier_wait -1
	ds_store_b64 v74, v[66:67]
	s_wait_dscnt 0x0
	s_barrier_signal -1
	s_barrier_wait -1
	ds_load_b64 v[76:77], v78 offset:16
	v_mov_b32_e32 v74, 2
	s_cmp_lt_i32 s18, 4
	s_mov_b32 s0, 3
	s_cbranch_scc1 .LBB66_44
; %bb.42:
	v_add3_u32 v75, v79, 0, 24
	v_mov_b32_e32 v74, 2
.LBB66_43:                              ; =>This Inner Loop Header: Depth=1
	ds_load_b64 v[84:85], v75
	s_wait_dscnt 0x1
	v_cmp_gt_f32_e32 vcc_lo, 0, v76
	v_cndmask_b32_e64 v86, v76, -v76, vcc_lo
	v_cmp_gt_f32_e32 vcc_lo, 0, v77
	v_cndmask_b32_e64 v88, v77, -v77, vcc_lo
	s_wait_dscnt 0x0
	v_cmp_gt_f32_e32 vcc_lo, 0, v84
	v_cndmask_b32_e64 v87, v84, -v84, vcc_lo
	v_cmp_gt_f32_e32 vcc_lo, 0, v85
	v_cndmask_b32_e64 v89, v85, -v85, vcc_lo
	s_delay_alu instid0(VALU_DEP_1) | instskip(NEXT) | instid1(VALU_DEP_1)
	v_pk_add_f32 v[86:87], v[86:87], v[88:89]
	v_cmp_lt_f32_e32 vcc_lo, v86, v87
	v_dual_add_nc_u32 v75, 8, v75 :: v_dual_cndmask_b32 v77, v77, v85, vcc_lo
	v_cndmask_b32_e32 v76, v76, v84, vcc_lo
	v_cndmask_b32_e64 v74, v74, s0, vcc_lo
	s_add_co_i32 s0, s0, 1
	s_delay_alu instid0(SALU_CYCLE_1)
	s_cmp_lg_u32 s18, s0
	s_cbranch_scc1 .LBB66_43
.LBB66_44:
	s_wait_dscnt 0x0
	v_cmp_eq_f32_e32 vcc_lo, 0, v76
	v_cmp_eq_f32_e64 s0, 0, v77
	s_and_b32 s0, vcc_lo, s0
	s_delay_alu instid0(SALU_CYCLE_1) | instskip(NEXT) | instid1(SALU_CYCLE_1)
	s_and_saveexec_b32 s1, s0
	s_xor_b32 s0, exec_lo, s1
; %bb.45:
	v_cmp_ne_u32_e32 vcc_lo, 0, v80
	v_cndmask_b32_e32 v80, 3, v80, vcc_lo
; %bb.46:
	s_and_not1_saveexec_b32 s0, s0
	s_cbranch_execz .LBB66_52
; %bb.47:
	v_cmp_ngt_f32_e64 s1, |v76|, |v77|
	s_and_saveexec_b32 s12, s1
	s_delay_alu instid0(SALU_CYCLE_1)
	s_xor_b32 s1, exec_lo, s12
	s_cbranch_execz .LBB66_49
; %bb.48:
	v_div_scale_f32 v75, null, v77, v77, v76
	v_div_scale_f32 v85, vcc_lo, v76, v77, v76
	s_delay_alu instid0(VALU_DEP_2) | instskip(SKIP_1) | instid1(TRANS32_DEP_1)
	v_rcp_f32_e32 v83, v75
	v_nop
	v_fma_f32 v84, -v75, v83, 1.0
	s_delay_alu instid0(VALU_DEP_1) | instskip(NEXT) | instid1(VALU_DEP_1)
	v_fmac_f32_e32 v83, v84, v83
	v_mul_f32_e32 v84, v85, v83
	s_delay_alu instid0(VALU_DEP_1) | instskip(NEXT) | instid1(VALU_DEP_1)
	v_fma_f32 v86, -v75, v84, v85
	v_fmac_f32_e32 v84, v86, v83
	s_delay_alu instid0(VALU_DEP_1) | instskip(NEXT) | instid1(VALU_DEP_1)
	v_fma_f32 v75, -v75, v84, v85
	v_div_fmas_f32 v75, v75, v83, v84
	s_delay_alu instid0(VALU_DEP_1) | instskip(NEXT) | instid1(VALU_DEP_1)
	v_div_fixup_f32 v75, v75, v77, v76
	v_fmac_f32_e32 v77, v76, v75
	s_delay_alu instid0(VALU_DEP_1) | instskip(SKIP_1) | instid1(VALU_DEP_2)
	v_div_scale_f32 v76, null, v77, v77, 1.0
	v_div_scale_f32 v85, vcc_lo, 1.0, v77, 1.0
	v_rcp_f32_e32 v83, v76
	v_nop
	s_delay_alu instid0(TRANS32_DEP_1) | instskip(NEXT) | instid1(VALU_DEP_1)
	v_fma_f32 v84, -v76, v83, 1.0
	v_fmac_f32_e32 v83, v84, v83
	s_delay_alu instid0(VALU_DEP_1) | instskip(NEXT) | instid1(VALU_DEP_1)
	v_mul_f32_e32 v84, v85, v83
	v_fma_f32 v86, -v76, v84, v85
	s_delay_alu instid0(VALU_DEP_1) | instskip(NEXT) | instid1(VALU_DEP_1)
	v_fmac_f32_e32 v84, v86, v83
	v_fma_f32 v76, -v76, v84, v85
	s_delay_alu instid0(VALU_DEP_1) | instskip(NEXT) | instid1(VALU_DEP_1)
	v_div_fmas_f32 v76, v76, v83, v84
	v_div_fixup_f32 v77, v76, v77, 1.0
	s_delay_alu instid0(VALU_DEP_1)
	v_mul_f32_e32 v76, v75, v77
	v_xor_b32_e32 v77, 0x80000000, v77
.LBB66_49:
	s_and_not1_saveexec_b32 s1, s1
	s_cbranch_execz .LBB66_51
; %bb.50:
	s_delay_alu instid0(VALU_DEP_1) | instskip(SKIP_1) | instid1(VALU_DEP_2)
	v_div_scale_f32 v75, null, v76, v76, v77
	v_div_scale_f32 v85, vcc_lo, v77, v76, v77
	v_rcp_f32_e32 v83, v75
	v_nop
	s_delay_alu instid0(TRANS32_DEP_1) | instskip(NEXT) | instid1(VALU_DEP_1)
	v_fma_f32 v84, -v75, v83, 1.0
	v_fmac_f32_e32 v83, v84, v83
	s_delay_alu instid0(VALU_DEP_1) | instskip(NEXT) | instid1(VALU_DEP_1)
	v_mul_f32_e32 v84, v85, v83
	v_fma_f32 v86, -v75, v84, v85
	s_delay_alu instid0(VALU_DEP_1) | instskip(NEXT) | instid1(VALU_DEP_1)
	v_fmac_f32_e32 v84, v86, v83
	v_fma_f32 v75, -v75, v84, v85
	s_delay_alu instid0(VALU_DEP_1) | instskip(NEXT) | instid1(VALU_DEP_1)
	v_div_fmas_f32 v75, v75, v83, v84
	v_div_fixup_f32 v75, v75, v76, v77
	s_delay_alu instid0(VALU_DEP_1) | instskip(NEXT) | instid1(VALU_DEP_1)
	v_fmac_f32_e32 v76, v77, v75
	v_div_scale_f32 v77, null, v76, v76, 1.0
	s_delay_alu instid0(VALU_DEP_1) | instskip(SKIP_1) | instid1(TRANS32_DEP_1)
	v_rcp_f32_e32 v83, v77
	v_nop
	v_fma_f32 v84, -v77, v83, 1.0
	s_delay_alu instid0(VALU_DEP_1) | instskip(SKIP_1) | instid1(VALU_DEP_1)
	v_fmac_f32_e32 v83, v84, v83
	v_div_scale_f32 v84, vcc_lo, 1.0, v76, 1.0
	v_mul_f32_e32 v85, v84, v83
	s_delay_alu instid0(VALU_DEP_1) | instskip(NEXT) | instid1(VALU_DEP_1)
	v_fma_f32 v86, -v77, v85, v84
	v_fmac_f32_e32 v85, v86, v83
	s_delay_alu instid0(VALU_DEP_1) | instskip(NEXT) | instid1(VALU_DEP_1)
	v_fma_f32 v77, -v77, v85, v84
	v_div_fmas_f32 v77, v77, v83, v85
	s_delay_alu instid0(VALU_DEP_1) | instskip(NEXT) | instid1(VALU_DEP_1)
	v_div_fixup_f32 v76, v77, v76, 1.0
	v_mul_f32_e64 v77, v75, -v76
.LBB66_51:
	s_or_b32 exec_lo, exec_lo, s1
.LBB66_52:
	s_delay_alu instid0(SALU_CYCLE_1) | instskip(NEXT) | instid1(SALU_CYCLE_1)
	s_or_b32 exec_lo, exec_lo, s0
	s_mov_b32 s0, exec_lo
	v_cmpx_ne_u32_e64 v82, v74
	s_xor_b32 s0, exec_lo, s0
	s_cbranch_execz .LBB66_58
; %bb.53:
	s_mov_b32 s1, exec_lo
	v_cmpx_eq_u32_e32 2, v82
	s_cbranch_execz .LBB66_57
; %bb.54:
	v_cmp_ne_u32_e32 vcc_lo, 2, v74
	s_xor_b32 s12, s16, -1
	s_delay_alu instid0(SALU_CYCLE_1) | instskip(NEXT) | instid1(SALU_CYCLE_1)
	s_and_b32 s13, s12, vcc_lo
	s_and_saveexec_b32 s12, s13
	s_cbranch_execz .LBB66_56
; %bb.55:
	v_ashrrev_i32_e32 v75, 31, v74
	s_delay_alu instid0(VALU_DEP_1)
	v_lshl_add_u64 v[82:83], v[74:75], 2, v[4:5]
	s_clause 0x1
	global_load_b32 v75, v[82:83], off
	global_load_b32 v81, v[4:5], off offset:8
	s_wait_loadcnt 0x1
	global_store_b32 v[4:5], v75, off offset:8
	s_wait_loadcnt 0x0
	global_store_b32 v[82:83], v81, off
.LBB66_56:
	s_wait_xcnt 0x0
	s_or_b32 exec_lo, exec_lo, s12
	v_dual_mov_b32 v82, v74 :: v_dual_mov_b32 v81, v74
.LBB66_57:
	s_or_b32 exec_lo, exec_lo, s1
.LBB66_58:
	s_and_not1_saveexec_b32 s0, s0
	s_cbranch_execz .LBB66_60
; %bb.59:
	v_mov_b32_e32 v82, 2
	ds_store_2addr_b64 v78, v[64:65], v[52:53] offset0:3 offset1:4
	ds_store_2addr_b64 v78, v[8:9], v[10:11] offset0:5 offset1:6
	;; [unrolled: 1-line block ×15, first 2 shown]
	ds_store_b64 v78, v[72:73] offset:264
.LBB66_60:
	s_or_b32 exec_lo, exec_lo, s0
	s_delay_alu instid0(SALU_CYCLE_1)
	s_mov_b32 s0, exec_lo
	s_wait_storecnt_dscnt 0x0
	s_barrier_signal -1
	s_barrier_wait -1
	v_cmpx_lt_i32_e32 2, v82
	s_cbranch_execz .LBB66_62
; %bb.61:
	v_pk_mul_f32 v[84:85], v[76:77], v[66:67] op_sel:[1,1] op_sel_hi:[0,1]
	s_delay_alu instid0(VALU_DEP_1)
	v_pk_fma_f32 v[74:75], v[76:77], v[66:67], v[84:85] op_sel_hi:[1,0,1] neg_lo:[0,0,1] neg_hi:[0,0,1]
	v_pk_fma_f32 v[76:77], v[76:77], v[66:67], v[84:85] op_sel_hi:[1,0,1]
	ds_load_2addr_b64 v[84:87], v78 offset0:3 offset1:4
	v_dual_mov_b32 v66, v74 :: v_dual_mov_b32 v67, v77
	s_wait_dscnt 0x0
	v_pk_mul_f32 v[88:89], v[84:85], v[76:77] op_sel:[0,1]
	s_delay_alu instid0(VALU_DEP_1) | instskip(SKIP_1) | instid1(VALU_DEP_1)
	v_pk_fma_f32 v[90:91], v[84:85], v[74:75], v[88:89] op_sel:[0,0,1] op_sel_hi:[1,1,0] neg_lo:[0,0,1] neg_hi:[0,0,1]
	v_pk_fma_f32 v[84:85], v[84:85], v[74:75], v[88:89] op_sel:[0,0,1] op_sel_hi:[1,0,0]
	v_mov_b32_e32 v91, v85
	v_pk_mul_f32 v[84:85], v[86:87], v[76:77] op_sel:[0,1]
	s_delay_alu instid0(VALU_DEP_1) | instskip(SKIP_1) | instid1(VALU_DEP_1)
	v_pk_fma_f32 v[88:89], v[86:87], v[74:75], v[84:85] op_sel:[0,0,1] op_sel_hi:[1,1,0] neg_lo:[0,0,1] neg_hi:[0,0,1]
	v_pk_fma_f32 v[84:85], v[86:87], v[74:75], v[84:85] op_sel:[0,0,1] op_sel_hi:[1,0,0]
	v_mov_b32_e32 v89, v85
	ds_load_2addr_b64 v[84:87], v78 offset0:5 offset1:6
	v_pk_add_f32 v[64:65], v[64:65], v[90:91] neg_lo:[0,1] neg_hi:[0,1]
	v_pk_add_f32 v[52:53], v[52:53], v[88:89] neg_lo:[0,1] neg_hi:[0,1]
	s_wait_dscnt 0x0
	v_pk_mul_f32 v[88:89], v[84:85], v[76:77] op_sel:[0,1]
	s_delay_alu instid0(VALU_DEP_1) | instskip(SKIP_2) | instid1(VALU_DEP_2)
	v_pk_fma_f32 v[90:91], v[84:85], v[74:75], v[88:89] op_sel:[0,0,1] op_sel_hi:[1,1,0] neg_lo:[0,0,1] neg_hi:[0,0,1]
	v_pk_fma_f32 v[84:85], v[84:85], v[74:75], v[88:89] op_sel:[0,0,1] op_sel_hi:[1,0,0]
	v_dual_mul_f32 v88, v87, v77 :: v_dual_mov_b32 v84, v87
	v_dual_mov_b32 v91, v85 :: v_dual_mov_b32 v85, v86
	s_delay_alu instid0(VALU_DEP_2) | instskip(SKIP_1) | instid1(VALU_DEP_3)
	v_pk_fma_f32 v[88:89], v[86:87], v[66:67], v[88:89] op_sel_hi:[1,1,0] neg_lo:[0,0,1] neg_hi:[0,0,1]
	v_mul_f32_e32 v86, v87, v74
	v_pk_add_f32 v[8:9], v[8:9], v[90:91] neg_lo:[0,1] neg_hi:[0,1]
	s_delay_alu instid0(VALU_DEP_2) | instskip(NEXT) | instid1(VALU_DEP_1)
	v_pk_fma_f32 v[84:85], v[84:85], v[66:67], v[86:87] op_sel_hi:[1,1,0]
	v_mov_b32_e32 v89, v85
	ds_load_2addr_b64 v[84:87], v78 offset0:7 offset1:8
	v_pk_add_f32 v[10:11], v[10:11], v[88:89] neg_lo:[0,1] neg_hi:[0,1]
	s_wait_dscnt 0x0
	v_pk_mul_f32 v[88:89], v[84:85], v[76:77] op_sel:[0,1]
	s_delay_alu instid0(VALU_DEP_1) | instskip(SKIP_1) | instid1(VALU_DEP_1)
	v_pk_fma_f32 v[90:91], v[84:85], v[74:75], v[88:89] op_sel:[0,0,1] op_sel_hi:[1,1,0] neg_lo:[0,0,1] neg_hi:[0,0,1]
	v_pk_fma_f32 v[84:85], v[84:85], v[74:75], v[88:89] op_sel:[0,0,1] op_sel_hi:[1,0,0]
	v_mov_b32_e32 v91, v85
	v_pk_mul_f32 v[84:85], v[86:87], v[76:77] op_sel:[0,1]
	s_delay_alu instid0(VALU_DEP_1) | instskip(SKIP_1) | instid1(VALU_DEP_1)
	v_pk_fma_f32 v[88:89], v[86:87], v[74:75], v[84:85] op_sel:[0,0,1] op_sel_hi:[1,1,0] neg_lo:[0,0,1] neg_hi:[0,0,1]
	v_pk_fma_f32 v[84:85], v[86:87], v[74:75], v[84:85] op_sel:[0,0,1] op_sel_hi:[1,0,0]
	v_mov_b32_e32 v89, v85
	ds_load_2addr_b64 v[84:87], v78 offset0:9 offset1:10
	v_pk_add_f32 v[6:7], v[6:7], v[90:91] neg_lo:[0,1] neg_hi:[0,1]
	v_pk_add_f32 v[54:55], v[54:55], v[88:89] neg_lo:[0,1] neg_hi:[0,1]
	s_wait_dscnt 0x0
	v_pk_mul_f32 v[88:89], v[84:85], v[76:77] op_sel:[0,1]
	s_delay_alu instid0(VALU_DEP_1) | instskip(SKIP_1) | instid1(VALU_DEP_1)
	v_pk_fma_f32 v[90:91], v[84:85], v[74:75], v[88:89] op_sel:[0,0,1] op_sel_hi:[1,1,0] neg_lo:[0,0,1] neg_hi:[0,0,1]
	v_pk_fma_f32 v[84:85], v[84:85], v[74:75], v[88:89] op_sel:[0,0,1] op_sel_hi:[1,0,0]
	v_mov_b32_e32 v91, v85
	v_pk_mul_f32 v[84:85], v[86:87], v[76:77] op_sel:[0,1]
	s_delay_alu instid0(VALU_DEP_1) | instskip(SKIP_1) | instid1(VALU_DEP_1)
	v_pk_fma_f32 v[88:89], v[86:87], v[74:75], v[84:85] op_sel:[0,0,1] op_sel_hi:[1,1,0] neg_lo:[0,0,1] neg_hi:[0,0,1]
	v_pk_fma_f32 v[84:85], v[86:87], v[74:75], v[84:85] op_sel:[0,0,1] op_sel_hi:[1,0,0]
	v_mov_b32_e32 v89, v85
	ds_load_2addr_b64 v[84:87], v78 offset0:11 offset1:12
	v_pk_add_f32 v[16:17], v[16:17], v[90:91] neg_lo:[0,1] neg_hi:[0,1]
	v_pk_add_f32 v[18:19], v[18:19], v[88:89] neg_lo:[0,1] neg_hi:[0,1]
	s_wait_dscnt 0x0
	v_dual_mul_f32 v88, v85, v77 :: v_dual_mul_f32 v90, v85, v74
	s_delay_alu instid0(VALU_DEP_1) | instskip(NEXT) | instid1(VALU_DEP_2)
	v_pk_fma_f32 v[88:89], v[84:85], v[66:67], v[88:89] op_sel_hi:[1,1,0] neg_lo:[0,0,1] neg_hi:[0,0,1]
	v_pk_fma_f32 v[84:85], v[84:85], v[66:67], v[90:91] op_sel:[1,0,0] op_sel_hi:[0,1,0]
	s_delay_alu instid0(VALU_DEP_1) | instskip(SKIP_1) | instid1(VALU_DEP_2)
	v_mov_b32_e32 v89, v85
	v_pk_mul_f32 v[84:85], v[86:87], v[76:77] op_sel:[0,1]
	v_pk_add_f32 v[14:15], v[14:15], v[88:89] neg_lo:[0,1] neg_hi:[0,1]
	s_delay_alu instid0(VALU_DEP_2) | instskip(SKIP_1) | instid1(VALU_DEP_1)
	v_pk_fma_f32 v[88:89], v[86:87], v[74:75], v[84:85] op_sel:[0,0,1] op_sel_hi:[1,1,0] neg_lo:[0,0,1] neg_hi:[0,0,1]
	v_pk_fma_f32 v[84:85], v[86:87], v[74:75], v[84:85] op_sel:[0,0,1] op_sel_hi:[1,0,0]
	v_mov_b32_e32 v89, v85
	ds_load_2addr_b64 v[84:87], v78 offset0:13 offset1:14
	v_pk_add_f32 v[58:59], v[58:59], v[88:89] neg_lo:[0,1] neg_hi:[0,1]
	s_wait_dscnt 0x0
	v_pk_mul_f32 v[88:89], v[84:85], v[76:77] op_sel:[0,1]
	s_delay_alu instid0(VALU_DEP_1) | instskip(SKIP_1) | instid1(VALU_DEP_1)
	v_pk_fma_f32 v[90:91], v[84:85], v[74:75], v[88:89] op_sel:[0,0,1] op_sel_hi:[1,1,0] neg_lo:[0,0,1] neg_hi:[0,0,1]
	v_pk_fma_f32 v[84:85], v[84:85], v[74:75], v[88:89] op_sel:[0,0,1] op_sel_hi:[1,0,0]
	v_mov_b32_e32 v91, v85
	v_pk_mul_f32 v[84:85], v[86:87], v[76:77] op_sel:[0,1]
	s_delay_alu instid0(VALU_DEP_2) | instskip(NEXT) | instid1(VALU_DEP_2)
	v_pk_add_f32 v[26:27], v[26:27], v[90:91] neg_lo:[0,1] neg_hi:[0,1]
	v_pk_fma_f32 v[88:89], v[86:87], v[74:75], v[84:85] op_sel:[0,0,1] op_sel_hi:[1,1,0] neg_lo:[0,0,1] neg_hi:[0,0,1]
	v_pk_fma_f32 v[84:85], v[86:87], v[74:75], v[84:85] op_sel:[0,0,1] op_sel_hi:[1,0,0]
	s_delay_alu instid0(VALU_DEP_1) | instskip(SKIP_4) | instid1(VALU_DEP_1)
	v_mov_b32_e32 v89, v85
	ds_load_2addr_b64 v[84:87], v78 offset0:15 offset1:16
	v_pk_add_f32 v[30:31], v[30:31], v[88:89] neg_lo:[0,1] neg_hi:[0,1]
	s_wait_dscnt 0x0
	v_pk_mul_f32 v[88:89], v[84:85], v[76:77] op_sel:[0,1]
	v_pk_fma_f32 v[90:91], v[84:85], v[74:75], v[88:89] op_sel:[0,0,1] op_sel_hi:[1,1,0] neg_lo:[0,0,1] neg_hi:[0,0,1]
	v_pk_fma_f32 v[84:85], v[84:85], v[74:75], v[88:89] op_sel:[0,0,1] op_sel_hi:[1,0,0]
	v_dual_mul_f32 v88, v87, v77 :: v_dual_mov_b32 v84, v87
	s_delay_alu instid0(VALU_DEP_2) | instskip(NEXT) | instid1(VALU_DEP_2)
	v_dual_mov_b32 v91, v85 :: v_dual_mov_b32 v85, v86
	v_pk_fma_f32 v[88:89], v[86:87], v[66:67], v[88:89] op_sel_hi:[1,1,0] neg_lo:[0,0,1] neg_hi:[0,0,1]
	v_mul_f32_e32 v86, v87, v74
	s_delay_alu instid0(VALU_DEP_3) | instskip(NEXT) | instid1(VALU_DEP_2)
	v_pk_add_f32 v[24:25], v[24:25], v[90:91] neg_lo:[0,1] neg_hi:[0,1]
	v_pk_fma_f32 v[84:85], v[84:85], v[66:67], v[86:87] op_sel_hi:[1,1,0]
	s_delay_alu instid0(VALU_DEP_1) | instskip(SKIP_4) | instid1(VALU_DEP_1)
	v_mov_b32_e32 v89, v85
	ds_load_2addr_b64 v[84:87], v78 offset0:17 offset1:18
	v_pk_add_f32 v[62:63], v[62:63], v[88:89] neg_lo:[0,1] neg_hi:[0,1]
	s_wait_dscnt 0x0
	v_pk_mul_f32 v[88:89], v[84:85], v[76:77] op_sel:[0,1]
	v_pk_fma_f32 v[90:91], v[84:85], v[74:75], v[88:89] op_sel:[0,0,1] op_sel_hi:[1,1,0] neg_lo:[0,0,1] neg_hi:[0,0,1]
	v_pk_fma_f32 v[84:85], v[84:85], v[74:75], v[88:89] op_sel:[0,0,1] op_sel_hi:[1,0,0]
	s_delay_alu instid0(VALU_DEP_1) | instskip(SKIP_1) | instid1(VALU_DEP_1)
	v_mov_b32_e32 v91, v85
	v_pk_mul_f32 v[84:85], v[86:87], v[76:77] op_sel:[0,1]
	v_pk_fma_f32 v[88:89], v[86:87], v[74:75], v[84:85] op_sel:[0,0,1] op_sel_hi:[1,1,0] neg_lo:[0,0,1] neg_hi:[0,0,1]
	v_pk_fma_f32 v[84:85], v[86:87], v[74:75], v[84:85] op_sel:[0,0,1] op_sel_hi:[1,0,0]
	s_delay_alu instid0(VALU_DEP_1)
	v_mov_b32_e32 v89, v85
	ds_load_2addr_b64 v[84:87], v78 offset0:19 offset1:20
	v_pk_add_f32 v[42:43], v[42:43], v[90:91] neg_lo:[0,1] neg_hi:[0,1]
	v_pk_add_f32 v[44:45], v[44:45], v[88:89] neg_lo:[0,1] neg_hi:[0,1]
	s_wait_dscnt 0x0
	v_pk_mul_f32 v[88:89], v[84:85], v[76:77] op_sel:[0,1]
	s_delay_alu instid0(VALU_DEP_1) | instskip(SKIP_1) | instid1(VALU_DEP_1)
	v_pk_fma_f32 v[90:91], v[84:85], v[74:75], v[88:89] op_sel:[0,0,1] op_sel_hi:[1,1,0] neg_lo:[0,0,1] neg_hi:[0,0,1]
	v_pk_fma_f32 v[84:85], v[84:85], v[74:75], v[88:89] op_sel:[0,0,1] op_sel_hi:[1,0,0]
	v_mov_b32_e32 v91, v85
	v_pk_mul_f32 v[84:85], v[86:87], v[76:77] op_sel:[0,1]
	s_delay_alu instid0(VALU_DEP_1) | instskip(SKIP_1) | instid1(VALU_DEP_1)
	v_pk_fma_f32 v[88:89], v[86:87], v[74:75], v[84:85] op_sel:[0,0,1] op_sel_hi:[1,1,0] neg_lo:[0,0,1] neg_hi:[0,0,1]
	v_pk_fma_f32 v[84:85], v[86:87], v[74:75], v[84:85] op_sel:[0,0,1] op_sel_hi:[1,0,0]
	v_mov_b32_e32 v89, v85
	ds_load_2addr_b64 v[84:87], v78 offset0:21 offset1:22
	v_pk_add_f32 v[40:41], v[40:41], v[90:91] neg_lo:[0,1] neg_hi:[0,1]
	v_pk_add_f32 v[60:61], v[60:61], v[88:89] neg_lo:[0,1] neg_hi:[0,1]
	s_wait_dscnt 0x0
	v_dual_mul_f32 v88, v85, v77 :: v_dual_mul_f32 v90, v85, v74
	s_delay_alu instid0(VALU_DEP_1) | instskip(NEXT) | instid1(VALU_DEP_2)
	v_pk_fma_f32 v[88:89], v[84:85], v[66:67], v[88:89] op_sel_hi:[1,1,0] neg_lo:[0,0,1] neg_hi:[0,0,1]
	v_pk_fma_f32 v[84:85], v[84:85], v[66:67], v[90:91] op_sel:[1,0,0] op_sel_hi:[0,1,0]
	s_delay_alu instid0(VALU_DEP_1) | instskip(SKIP_1) | instid1(VALU_DEP_2)
	v_mov_b32_e32 v89, v85
	v_pk_mul_f32 v[84:85], v[86:87], v[76:77] op_sel:[0,1]
	v_pk_add_f32 v[36:37], v[36:37], v[88:89] neg_lo:[0,1] neg_hi:[0,1]
	s_delay_alu instid0(VALU_DEP_2) | instskip(SKIP_1) | instid1(VALU_DEP_1)
	v_pk_fma_f32 v[88:89], v[86:87], v[74:75], v[84:85] op_sel:[0,0,1] op_sel_hi:[1,1,0] neg_lo:[0,0,1] neg_hi:[0,0,1]
	v_pk_fma_f32 v[84:85], v[86:87], v[74:75], v[84:85] op_sel:[0,0,1] op_sel_hi:[1,0,0]
	v_mov_b32_e32 v89, v85
	ds_load_2addr_b64 v[84:87], v78 offset0:23 offset1:24
	v_pk_add_f32 v[38:39], v[38:39], v[88:89] neg_lo:[0,1] neg_hi:[0,1]
	s_wait_dscnt 0x0
	v_pk_mul_f32 v[88:89], v[84:85], v[76:77] op_sel:[0,1]
	s_delay_alu instid0(VALU_DEP_1) | instskip(SKIP_1) | instid1(VALU_DEP_1)
	v_pk_fma_f32 v[90:91], v[84:85], v[74:75], v[88:89] op_sel:[0,0,1] op_sel_hi:[1,1,0] neg_lo:[0,0,1] neg_hi:[0,0,1]
	v_pk_fma_f32 v[84:85], v[84:85], v[74:75], v[88:89] op_sel:[0,0,1] op_sel_hi:[1,0,0]
	v_mov_b32_e32 v91, v85
	v_pk_mul_f32 v[84:85], v[86:87], v[76:77] op_sel:[0,1]
	s_delay_alu instid0(VALU_DEP_2) | instskip(NEXT) | instid1(VALU_DEP_2)
	v_pk_add_f32 v[34:35], v[34:35], v[90:91] neg_lo:[0,1] neg_hi:[0,1]
	v_pk_fma_f32 v[88:89], v[86:87], v[74:75], v[84:85] op_sel:[0,0,1] op_sel_hi:[1,1,0] neg_lo:[0,0,1] neg_hi:[0,0,1]
	v_pk_fma_f32 v[84:85], v[86:87], v[74:75], v[84:85] op_sel:[0,0,1] op_sel_hi:[1,0,0]
	s_delay_alu instid0(VALU_DEP_1) | instskip(SKIP_4) | instid1(VALU_DEP_1)
	v_mov_b32_e32 v89, v85
	ds_load_2addr_b64 v[84:87], v78 offset0:25 offset1:26
	v_pk_add_f32 v[56:57], v[56:57], v[88:89] neg_lo:[0,1] neg_hi:[0,1]
	s_wait_dscnt 0x0
	v_pk_mul_f32 v[88:89], v[84:85], v[76:77] op_sel:[0,1]
	v_pk_fma_f32 v[90:91], v[84:85], v[74:75], v[88:89] op_sel:[0,0,1] op_sel_hi:[1,1,0] neg_lo:[0,0,1] neg_hi:[0,0,1]
	v_pk_fma_f32 v[84:85], v[84:85], v[74:75], v[88:89] op_sel:[0,0,1] op_sel_hi:[1,0,0]
	v_dual_mul_f32 v88, v87, v77 :: v_dual_mov_b32 v84, v87
	s_delay_alu instid0(VALU_DEP_2) | instskip(NEXT) | instid1(VALU_DEP_2)
	v_dual_mov_b32 v91, v85 :: v_dual_mov_b32 v85, v86
	v_pk_fma_f32 v[88:89], v[86:87], v[66:67], v[88:89] op_sel_hi:[1,1,0] neg_lo:[0,0,1] neg_hi:[0,0,1]
	v_mul_f32_e32 v86, v87, v74
	s_delay_alu instid0(VALU_DEP_3) | instskip(NEXT) | instid1(VALU_DEP_2)
	v_pk_add_f32 v[22:23], v[22:23], v[90:91] neg_lo:[0,1] neg_hi:[0,1]
	v_pk_fma_f32 v[84:85], v[84:85], v[66:67], v[86:87] op_sel_hi:[1,1,0]
	s_delay_alu instid0(VALU_DEP_1) | instskip(SKIP_4) | instid1(VALU_DEP_1)
	v_mov_b32_e32 v89, v85
	ds_load_2addr_b64 v[84:87], v78 offset0:27 offset1:28
	v_pk_add_f32 v[28:29], v[28:29], v[88:89] neg_lo:[0,1] neg_hi:[0,1]
	s_wait_dscnt 0x0
	v_pk_mul_f32 v[88:89], v[84:85], v[76:77] op_sel:[0,1]
	v_pk_fma_f32 v[90:91], v[84:85], v[74:75], v[88:89] op_sel:[0,0,1] op_sel_hi:[1,1,0] neg_lo:[0,0,1] neg_hi:[0,0,1]
	v_pk_fma_f32 v[84:85], v[84:85], v[74:75], v[88:89] op_sel:[0,0,1] op_sel_hi:[1,0,0]
	s_delay_alu instid0(VALU_DEP_1) | instskip(SKIP_1) | instid1(VALU_DEP_1)
	v_mov_b32_e32 v91, v85
	v_pk_mul_f32 v[84:85], v[86:87], v[76:77] op_sel:[0,1]
	v_pk_fma_f32 v[88:89], v[86:87], v[74:75], v[84:85] op_sel:[0,0,1] op_sel_hi:[1,1,0] neg_lo:[0,0,1] neg_hi:[0,0,1]
	v_pk_fma_f32 v[84:85], v[86:87], v[74:75], v[84:85] op_sel:[0,0,1] op_sel_hi:[1,0,0]
	s_delay_alu instid0(VALU_DEP_1)
	v_mov_b32_e32 v89, v85
	ds_load_2addr_b64 v[84:87], v78 offset0:29 offset1:30
	v_pk_add_f32 v[20:21], v[20:21], v[90:91] neg_lo:[0,1] neg_hi:[0,1]
	v_pk_add_f32 v[50:51], v[50:51], v[88:89] neg_lo:[0,1] neg_hi:[0,1]
	s_wait_dscnt 0x0
	v_pk_mul_f32 v[88:89], v[84:85], v[76:77] op_sel:[0,1]
	s_delay_alu instid0(VALU_DEP_1) | instskip(SKIP_1) | instid1(VALU_DEP_1)
	v_pk_fma_f32 v[90:91], v[84:85], v[74:75], v[88:89] op_sel:[0,0,1] op_sel_hi:[1,1,0] neg_lo:[0,0,1] neg_hi:[0,0,1]
	v_pk_fma_f32 v[84:85], v[84:85], v[74:75], v[88:89] op_sel:[0,0,1] op_sel_hi:[1,0,0]
	v_mov_b32_e32 v91, v85
	v_pk_mul_f32 v[84:85], v[86:87], v[76:77] op_sel:[0,1]
	s_delay_alu instid0(VALU_DEP_1) | instskip(SKIP_1) | instid1(VALU_DEP_1)
	v_pk_fma_f32 v[88:89], v[86:87], v[74:75], v[84:85] op_sel:[0,0,1] op_sel_hi:[1,1,0] neg_lo:[0,0,1] neg_hi:[0,0,1]
	v_pk_fma_f32 v[84:85], v[86:87], v[74:75], v[84:85] op_sel:[0,0,1] op_sel_hi:[1,0,0]
	v_mov_b32_e32 v89, v85
	ds_load_2addr_b64 v[84:87], v78 offset0:31 offset1:32
	v_pk_add_f32 v[12:13], v[12:13], v[90:91] neg_lo:[0,1] neg_hi:[0,1]
	v_pk_add_f32 v[48:49], v[48:49], v[88:89] neg_lo:[0,1] neg_hi:[0,1]
	s_wait_dscnt 0x0
	v_dual_mul_f32 v88, v85, v77 :: v_dual_mul_f32 v90, v85, v74
	s_delay_alu instid0(VALU_DEP_1) | instskip(NEXT) | instid1(VALU_DEP_2)
	v_pk_fma_f32 v[88:89], v[84:85], v[66:67], v[88:89] op_sel_hi:[1,1,0] neg_lo:[0,0,1] neg_hi:[0,0,1]
	v_pk_fma_f32 v[84:85], v[84:85], v[66:67], v[90:91] op_sel:[1,0,0] op_sel_hi:[0,1,0]
	s_delay_alu instid0(VALU_DEP_1) | instskip(SKIP_1) | instid1(VALU_DEP_2)
	v_mov_b32_e32 v89, v85
	v_pk_mul_f32 v[84:85], v[86:87], v[76:77] op_sel:[0,1]
	v_pk_add_f32 v[46:47], v[46:47], v[88:89] neg_lo:[0,1] neg_hi:[0,1]
	s_delay_alu instid0(VALU_DEP_2) | instskip(SKIP_1) | instid1(VALU_DEP_1)
	v_pk_fma_f32 v[88:89], v[86:87], v[74:75], v[84:85] op_sel:[0,0,1] op_sel_hi:[1,1,0] neg_lo:[0,0,1] neg_hi:[0,0,1]
	v_pk_fma_f32 v[84:85], v[86:87], v[74:75], v[84:85] op_sel:[0,0,1] op_sel_hi:[1,0,0]
	v_mov_b32_e32 v89, v85
	ds_load_b64 v[84:85], v78 offset:264
	v_pk_add_f32 v[32:33], v[32:33], v[88:89] neg_lo:[0,1] neg_hi:[0,1]
	s_wait_dscnt 0x0
	v_pk_mul_f32 v[76:77], v[84:85], v[76:77] op_sel:[0,1]
	s_delay_alu instid0(VALU_DEP_1) | instskip(SKIP_1) | instid1(VALU_DEP_1)
	v_pk_fma_f32 v[86:87], v[84:85], v[74:75], v[76:77] op_sel:[0,0,1] op_sel_hi:[1,1,0] neg_lo:[0,0,1] neg_hi:[0,0,1]
	v_pk_fma_f32 v[74:75], v[84:85], v[74:75], v[76:77] op_sel:[0,0,1] op_sel_hi:[1,0,0]
	v_mov_b32_e32 v87, v75
	s_delay_alu instid0(VALU_DEP_1)
	v_pk_add_f32 v[72:73], v[72:73], v[86:87] neg_lo:[0,1] neg_hi:[0,1]
.LBB66_62:
	s_or_b32 exec_lo, exec_lo, s0
	v_lshl_add_u32 v74, v82, 3, v78
	s_barrier_signal -1
	s_barrier_wait -1
	ds_store_b64 v74, v[64:65]
	s_wait_dscnt 0x0
	s_barrier_signal -1
	s_barrier_wait -1
	ds_load_b64 v[76:77], v78 offset:24
	v_mov_b32_e32 v74, 3
	s_cmp_lt_i32 s18, 5
	s_cbranch_scc1 .LBB66_65
; %bb.63:
	v_mov_b32_e32 v74, 3
	v_add3_u32 v75, v79, 0, 32
	s_mov_b32 s0, 4
.LBB66_64:                              ; =>This Inner Loop Header: Depth=1
	ds_load_b64 v[84:85], v75
	s_wait_dscnt 0x1
	v_cmp_gt_f32_e32 vcc_lo, 0, v76
	v_cndmask_b32_e64 v86, v76, -v76, vcc_lo
	v_cmp_gt_f32_e32 vcc_lo, 0, v77
	v_cndmask_b32_e64 v88, v77, -v77, vcc_lo
	s_wait_dscnt 0x0
	v_cmp_gt_f32_e32 vcc_lo, 0, v84
	v_cndmask_b32_e64 v87, v84, -v84, vcc_lo
	v_cmp_gt_f32_e32 vcc_lo, 0, v85
	v_cndmask_b32_e64 v89, v85, -v85, vcc_lo
	s_delay_alu instid0(VALU_DEP_1) | instskip(NEXT) | instid1(VALU_DEP_1)
	v_pk_add_f32 v[86:87], v[86:87], v[88:89]
	v_cmp_lt_f32_e32 vcc_lo, v86, v87
	v_dual_add_nc_u32 v75, 8, v75 :: v_dual_cndmask_b32 v77, v77, v85, vcc_lo
	v_cndmask_b32_e32 v76, v76, v84, vcc_lo
	v_cndmask_b32_e64 v74, v74, s0, vcc_lo
	s_add_co_i32 s0, s0, 1
	s_delay_alu instid0(SALU_CYCLE_1)
	s_cmp_lg_u32 s18, s0
	s_cbranch_scc1 .LBB66_64
.LBB66_65:
	s_wait_dscnt 0x0
	v_cmp_eq_f32_e32 vcc_lo, 0, v76
	v_cmp_eq_f32_e64 s0, 0, v77
	s_and_b32 s0, vcc_lo, s0
	s_delay_alu instid0(SALU_CYCLE_1) | instskip(NEXT) | instid1(SALU_CYCLE_1)
	s_and_saveexec_b32 s1, s0
	s_xor_b32 s0, exec_lo, s1
; %bb.66:
	v_cmp_ne_u32_e32 vcc_lo, 0, v80
	v_cndmask_b32_e32 v80, 4, v80, vcc_lo
; %bb.67:
	s_and_not1_saveexec_b32 s0, s0
	s_cbranch_execz .LBB66_73
; %bb.68:
	v_cmp_ngt_f32_e64 s1, |v76|, |v77|
	s_and_saveexec_b32 s12, s1
	s_delay_alu instid0(SALU_CYCLE_1)
	s_xor_b32 s1, exec_lo, s12
	s_cbranch_execz .LBB66_70
; %bb.69:
	v_div_scale_f32 v75, null, v77, v77, v76
	v_div_scale_f32 v85, vcc_lo, v76, v77, v76
	s_delay_alu instid0(VALU_DEP_2) | instskip(SKIP_1) | instid1(TRANS32_DEP_1)
	v_rcp_f32_e32 v83, v75
	v_nop
	v_fma_f32 v84, -v75, v83, 1.0
	s_delay_alu instid0(VALU_DEP_1) | instskip(NEXT) | instid1(VALU_DEP_1)
	v_fmac_f32_e32 v83, v84, v83
	v_mul_f32_e32 v84, v85, v83
	s_delay_alu instid0(VALU_DEP_1) | instskip(NEXT) | instid1(VALU_DEP_1)
	v_fma_f32 v86, -v75, v84, v85
	v_fmac_f32_e32 v84, v86, v83
	s_delay_alu instid0(VALU_DEP_1) | instskip(NEXT) | instid1(VALU_DEP_1)
	v_fma_f32 v75, -v75, v84, v85
	v_div_fmas_f32 v75, v75, v83, v84
	s_delay_alu instid0(VALU_DEP_1) | instskip(NEXT) | instid1(VALU_DEP_1)
	v_div_fixup_f32 v75, v75, v77, v76
	v_fmac_f32_e32 v77, v76, v75
	s_delay_alu instid0(VALU_DEP_1) | instskip(SKIP_1) | instid1(VALU_DEP_2)
	v_div_scale_f32 v76, null, v77, v77, 1.0
	v_div_scale_f32 v85, vcc_lo, 1.0, v77, 1.0
	v_rcp_f32_e32 v83, v76
	v_nop
	s_delay_alu instid0(TRANS32_DEP_1) | instskip(NEXT) | instid1(VALU_DEP_1)
	v_fma_f32 v84, -v76, v83, 1.0
	v_fmac_f32_e32 v83, v84, v83
	s_delay_alu instid0(VALU_DEP_1) | instskip(NEXT) | instid1(VALU_DEP_1)
	v_mul_f32_e32 v84, v85, v83
	v_fma_f32 v86, -v76, v84, v85
	s_delay_alu instid0(VALU_DEP_1) | instskip(NEXT) | instid1(VALU_DEP_1)
	v_fmac_f32_e32 v84, v86, v83
	v_fma_f32 v76, -v76, v84, v85
	s_delay_alu instid0(VALU_DEP_1) | instskip(NEXT) | instid1(VALU_DEP_1)
	v_div_fmas_f32 v76, v76, v83, v84
	v_div_fixup_f32 v77, v76, v77, 1.0
	s_delay_alu instid0(VALU_DEP_1)
	v_mul_f32_e32 v76, v75, v77
	v_xor_b32_e32 v77, 0x80000000, v77
.LBB66_70:
	s_and_not1_saveexec_b32 s1, s1
	s_cbranch_execz .LBB66_72
; %bb.71:
	s_delay_alu instid0(VALU_DEP_1) | instskip(SKIP_1) | instid1(VALU_DEP_2)
	v_div_scale_f32 v75, null, v76, v76, v77
	v_div_scale_f32 v85, vcc_lo, v77, v76, v77
	v_rcp_f32_e32 v83, v75
	v_nop
	s_delay_alu instid0(TRANS32_DEP_1) | instskip(NEXT) | instid1(VALU_DEP_1)
	v_fma_f32 v84, -v75, v83, 1.0
	v_fmac_f32_e32 v83, v84, v83
	s_delay_alu instid0(VALU_DEP_1) | instskip(NEXT) | instid1(VALU_DEP_1)
	v_mul_f32_e32 v84, v85, v83
	v_fma_f32 v86, -v75, v84, v85
	s_delay_alu instid0(VALU_DEP_1) | instskip(NEXT) | instid1(VALU_DEP_1)
	v_fmac_f32_e32 v84, v86, v83
	v_fma_f32 v75, -v75, v84, v85
	s_delay_alu instid0(VALU_DEP_1) | instskip(NEXT) | instid1(VALU_DEP_1)
	v_div_fmas_f32 v75, v75, v83, v84
	v_div_fixup_f32 v75, v75, v76, v77
	s_delay_alu instid0(VALU_DEP_1) | instskip(NEXT) | instid1(VALU_DEP_1)
	v_fmac_f32_e32 v76, v77, v75
	v_div_scale_f32 v77, null, v76, v76, 1.0
	s_delay_alu instid0(VALU_DEP_1) | instskip(SKIP_1) | instid1(TRANS32_DEP_1)
	v_rcp_f32_e32 v83, v77
	v_nop
	v_fma_f32 v84, -v77, v83, 1.0
	s_delay_alu instid0(VALU_DEP_1) | instskip(SKIP_1) | instid1(VALU_DEP_1)
	v_fmac_f32_e32 v83, v84, v83
	v_div_scale_f32 v84, vcc_lo, 1.0, v76, 1.0
	v_mul_f32_e32 v85, v84, v83
	s_delay_alu instid0(VALU_DEP_1) | instskip(NEXT) | instid1(VALU_DEP_1)
	v_fma_f32 v86, -v77, v85, v84
	v_fmac_f32_e32 v85, v86, v83
	s_delay_alu instid0(VALU_DEP_1) | instskip(NEXT) | instid1(VALU_DEP_1)
	v_fma_f32 v77, -v77, v85, v84
	v_div_fmas_f32 v77, v77, v83, v85
	s_delay_alu instid0(VALU_DEP_1) | instskip(NEXT) | instid1(VALU_DEP_1)
	v_div_fixup_f32 v76, v77, v76, 1.0
	v_mul_f32_e64 v77, v75, -v76
.LBB66_72:
	s_or_b32 exec_lo, exec_lo, s1
.LBB66_73:
	s_delay_alu instid0(SALU_CYCLE_1) | instskip(NEXT) | instid1(SALU_CYCLE_1)
	s_or_b32 exec_lo, exec_lo, s0
	s_mov_b32 s0, exec_lo
	v_cmpx_ne_u32_e64 v82, v74
	s_xor_b32 s0, exec_lo, s0
	s_cbranch_execz .LBB66_79
; %bb.74:
	s_mov_b32 s1, exec_lo
	v_cmpx_eq_u32_e32 3, v82
	s_cbranch_execz .LBB66_78
; %bb.75:
	v_cmp_ne_u32_e32 vcc_lo, 3, v74
	s_xor_b32 s12, s16, -1
	s_delay_alu instid0(SALU_CYCLE_1) | instskip(NEXT) | instid1(SALU_CYCLE_1)
	s_and_b32 s13, s12, vcc_lo
	s_and_saveexec_b32 s12, s13
	s_cbranch_execz .LBB66_77
; %bb.76:
	v_ashrrev_i32_e32 v75, 31, v74
	s_delay_alu instid0(VALU_DEP_1)
	v_lshl_add_u64 v[82:83], v[74:75], 2, v[4:5]
	s_clause 0x1
	global_load_b32 v75, v[82:83], off
	global_load_b32 v81, v[4:5], off offset:12
	s_wait_loadcnt 0x1
	global_store_b32 v[4:5], v75, off offset:12
	s_wait_loadcnt 0x0
	global_store_b32 v[82:83], v81, off
.LBB66_77:
	s_wait_xcnt 0x0
	s_or_b32 exec_lo, exec_lo, s12
	v_dual_mov_b32 v82, v74 :: v_dual_mov_b32 v81, v74
.LBB66_78:
	s_or_b32 exec_lo, exec_lo, s1
.LBB66_79:
	s_and_not1_saveexec_b32 s0, s0
	s_cbranch_execz .LBB66_81
; %bb.80:
	v_dual_mov_b32 v74, v52 :: v_dual_mov_b32 v75, v53
	v_dual_mov_b32 v82, v8 :: v_dual_mov_b32 v83, v9
	ds_store_2addr_b64 v78, v[74:75], v[82:83] offset0:4 offset1:5
	v_dual_mov_b32 v74, v10 :: v_dual_mov_b32 v75, v11
	v_dual_mov_b32 v82, v6 :: v_dual_mov_b32 v83, v7
	ds_store_2addr_b64 v78, v[74:75], v[82:83] offset0:6 offset1:7
	;; [unrolled: 3-line block ×14, first 2 shown]
	v_dual_mov_b32 v74, v32 :: v_dual_mov_b32 v75, v33
	v_mov_b32_e32 v82, 3
	ds_store_2addr_b64 v78, v[74:75], v[72:73] offset0:32 offset1:33
.LBB66_81:
	s_or_b32 exec_lo, exec_lo, s0
	s_delay_alu instid0(SALU_CYCLE_1)
	s_mov_b32 s0, exec_lo
	s_wait_storecnt_dscnt 0x0
	s_barrier_signal -1
	s_barrier_wait -1
	v_cmpx_lt_i32_e32 3, v82
	s_cbranch_execz .LBB66_83
; %bb.82:
	v_pk_mul_f32 v[84:85], v[76:77], v[64:65] op_sel:[1,1] op_sel_hi:[0,1]
	s_delay_alu instid0(VALU_DEP_1)
	v_pk_fma_f32 v[74:75], v[76:77], v[64:65], v[84:85] op_sel_hi:[1,0,1] neg_lo:[0,0,1] neg_hi:[0,0,1]
	v_pk_fma_f32 v[76:77], v[76:77], v[64:65], v[84:85] op_sel_hi:[1,0,1]
	ds_load_2addr_b64 v[84:87], v78 offset0:4 offset1:5
	v_dual_mov_b32 v64, v74 :: v_dual_mov_b32 v65, v77
	s_wait_dscnt 0x0
	v_pk_mul_f32 v[88:89], v[84:85], v[76:77] op_sel:[0,1]
	s_delay_alu instid0(VALU_DEP_1) | instskip(SKIP_1) | instid1(VALU_DEP_1)
	v_pk_fma_f32 v[90:91], v[84:85], v[74:75], v[88:89] op_sel:[0,0,1] op_sel_hi:[1,1,0] neg_lo:[0,0,1] neg_hi:[0,0,1]
	v_pk_fma_f32 v[84:85], v[84:85], v[74:75], v[88:89] op_sel:[0,0,1] op_sel_hi:[1,0,0]
	v_mov_b32_e32 v91, v85
	v_pk_mul_f32 v[84:85], v[86:87], v[76:77] op_sel:[0,1]
	s_delay_alu instid0(VALU_DEP_1) | instskip(SKIP_1) | instid1(VALU_DEP_1)
	v_pk_fma_f32 v[88:89], v[86:87], v[74:75], v[84:85] op_sel:[0,0,1] op_sel_hi:[1,1,0] neg_lo:[0,0,1] neg_hi:[0,0,1]
	v_pk_fma_f32 v[84:85], v[86:87], v[74:75], v[84:85] op_sel:[0,0,1] op_sel_hi:[1,0,0]
	v_mov_b32_e32 v89, v85
	ds_load_2addr_b64 v[84:87], v78 offset0:6 offset1:7
	v_pk_add_f32 v[52:53], v[52:53], v[90:91] neg_lo:[0,1] neg_hi:[0,1]
	v_pk_add_f32 v[8:9], v[8:9], v[88:89] neg_lo:[0,1] neg_hi:[0,1]
	s_wait_dscnt 0x0
	v_pk_mul_f32 v[88:89], v[84:85], v[76:77] op_sel:[0,1]
	s_delay_alu instid0(VALU_DEP_1) | instskip(SKIP_2) | instid1(VALU_DEP_2)
	v_pk_fma_f32 v[90:91], v[84:85], v[74:75], v[88:89] op_sel:[0,0,1] op_sel_hi:[1,1,0] neg_lo:[0,0,1] neg_hi:[0,0,1]
	v_pk_fma_f32 v[84:85], v[84:85], v[74:75], v[88:89] op_sel:[0,0,1] op_sel_hi:[1,0,0]
	v_dual_mul_f32 v88, v87, v77 :: v_dual_mov_b32 v84, v87
	v_dual_mov_b32 v91, v85 :: v_dual_mov_b32 v85, v86
	s_delay_alu instid0(VALU_DEP_2) | instskip(SKIP_1) | instid1(VALU_DEP_3)
	v_pk_fma_f32 v[88:89], v[86:87], v[64:65], v[88:89] op_sel_hi:[1,1,0] neg_lo:[0,0,1] neg_hi:[0,0,1]
	v_mul_f32_e32 v86, v87, v74
	v_pk_add_f32 v[10:11], v[10:11], v[90:91] neg_lo:[0,1] neg_hi:[0,1]
	s_delay_alu instid0(VALU_DEP_2) | instskip(NEXT) | instid1(VALU_DEP_1)
	v_pk_fma_f32 v[84:85], v[84:85], v[64:65], v[86:87] op_sel_hi:[1,1,0]
	v_mov_b32_e32 v89, v85
	ds_load_2addr_b64 v[84:87], v78 offset0:8 offset1:9
	v_pk_add_f32 v[6:7], v[6:7], v[88:89] neg_lo:[0,1] neg_hi:[0,1]
	s_wait_dscnt 0x0
	v_pk_mul_f32 v[88:89], v[84:85], v[76:77] op_sel:[0,1]
	s_delay_alu instid0(VALU_DEP_1) | instskip(SKIP_1) | instid1(VALU_DEP_1)
	v_pk_fma_f32 v[90:91], v[84:85], v[74:75], v[88:89] op_sel:[0,0,1] op_sel_hi:[1,1,0] neg_lo:[0,0,1] neg_hi:[0,0,1]
	v_pk_fma_f32 v[84:85], v[84:85], v[74:75], v[88:89] op_sel:[0,0,1] op_sel_hi:[1,0,0]
	v_mov_b32_e32 v91, v85
	v_pk_mul_f32 v[84:85], v[86:87], v[76:77] op_sel:[0,1]
	s_delay_alu instid0(VALU_DEP_1) | instskip(SKIP_1) | instid1(VALU_DEP_1)
	v_pk_fma_f32 v[88:89], v[86:87], v[74:75], v[84:85] op_sel:[0,0,1] op_sel_hi:[1,1,0] neg_lo:[0,0,1] neg_hi:[0,0,1]
	v_pk_fma_f32 v[84:85], v[86:87], v[74:75], v[84:85] op_sel:[0,0,1] op_sel_hi:[1,0,0]
	v_mov_b32_e32 v89, v85
	ds_load_2addr_b64 v[84:87], v78 offset0:10 offset1:11
	v_pk_add_f32 v[54:55], v[54:55], v[90:91] neg_lo:[0,1] neg_hi:[0,1]
	v_pk_add_f32 v[16:17], v[16:17], v[88:89] neg_lo:[0,1] neg_hi:[0,1]
	s_wait_dscnt 0x0
	v_pk_mul_f32 v[88:89], v[84:85], v[76:77] op_sel:[0,1]
	s_delay_alu instid0(VALU_DEP_1) | instskip(SKIP_1) | instid1(VALU_DEP_1)
	v_pk_fma_f32 v[90:91], v[84:85], v[74:75], v[88:89] op_sel:[0,0,1] op_sel_hi:[1,1,0] neg_lo:[0,0,1] neg_hi:[0,0,1]
	v_pk_fma_f32 v[84:85], v[84:85], v[74:75], v[88:89] op_sel:[0,0,1] op_sel_hi:[1,0,0]
	v_mov_b32_e32 v91, v85
	v_pk_mul_f32 v[84:85], v[86:87], v[76:77] op_sel:[0,1]
	s_delay_alu instid0(VALU_DEP_1) | instskip(SKIP_1) | instid1(VALU_DEP_1)
	v_pk_fma_f32 v[88:89], v[86:87], v[74:75], v[84:85] op_sel:[0,0,1] op_sel_hi:[1,1,0] neg_lo:[0,0,1] neg_hi:[0,0,1]
	v_pk_fma_f32 v[84:85], v[86:87], v[74:75], v[84:85] op_sel:[0,0,1] op_sel_hi:[1,0,0]
	v_mov_b32_e32 v89, v85
	ds_load_2addr_b64 v[84:87], v78 offset0:12 offset1:13
	v_pk_add_f32 v[18:19], v[18:19], v[90:91] neg_lo:[0,1] neg_hi:[0,1]
	v_pk_add_f32 v[14:15], v[14:15], v[88:89] neg_lo:[0,1] neg_hi:[0,1]
	s_wait_dscnt 0x0
	v_dual_mul_f32 v88, v85, v77 :: v_dual_mul_f32 v90, v85, v74
	s_delay_alu instid0(VALU_DEP_1) | instskip(NEXT) | instid1(VALU_DEP_2)
	v_pk_fma_f32 v[88:89], v[84:85], v[64:65], v[88:89] op_sel_hi:[1,1,0] neg_lo:[0,0,1] neg_hi:[0,0,1]
	v_pk_fma_f32 v[84:85], v[84:85], v[64:65], v[90:91] op_sel:[1,0,0] op_sel_hi:[0,1,0]
	s_delay_alu instid0(VALU_DEP_1) | instskip(SKIP_1) | instid1(VALU_DEP_2)
	v_mov_b32_e32 v89, v85
	v_pk_mul_f32 v[84:85], v[86:87], v[76:77] op_sel:[0,1]
	v_pk_add_f32 v[58:59], v[58:59], v[88:89] neg_lo:[0,1] neg_hi:[0,1]
	s_delay_alu instid0(VALU_DEP_2) | instskip(SKIP_1) | instid1(VALU_DEP_1)
	v_pk_fma_f32 v[88:89], v[86:87], v[74:75], v[84:85] op_sel:[0,0,1] op_sel_hi:[1,1,0] neg_lo:[0,0,1] neg_hi:[0,0,1]
	v_pk_fma_f32 v[84:85], v[86:87], v[74:75], v[84:85] op_sel:[0,0,1] op_sel_hi:[1,0,0]
	v_mov_b32_e32 v89, v85
	ds_load_2addr_b64 v[84:87], v78 offset0:14 offset1:15
	v_pk_add_f32 v[26:27], v[26:27], v[88:89] neg_lo:[0,1] neg_hi:[0,1]
	s_wait_dscnt 0x0
	v_pk_mul_f32 v[88:89], v[84:85], v[76:77] op_sel:[0,1]
	s_delay_alu instid0(VALU_DEP_1) | instskip(SKIP_1) | instid1(VALU_DEP_1)
	v_pk_fma_f32 v[90:91], v[84:85], v[74:75], v[88:89] op_sel:[0,0,1] op_sel_hi:[1,1,0] neg_lo:[0,0,1] neg_hi:[0,0,1]
	v_pk_fma_f32 v[84:85], v[84:85], v[74:75], v[88:89] op_sel:[0,0,1] op_sel_hi:[1,0,0]
	v_mov_b32_e32 v91, v85
	v_pk_mul_f32 v[84:85], v[86:87], v[76:77] op_sel:[0,1]
	s_delay_alu instid0(VALU_DEP_2) | instskip(NEXT) | instid1(VALU_DEP_2)
	v_pk_add_f32 v[30:31], v[30:31], v[90:91] neg_lo:[0,1] neg_hi:[0,1]
	v_pk_fma_f32 v[88:89], v[86:87], v[74:75], v[84:85] op_sel:[0,0,1] op_sel_hi:[1,1,0] neg_lo:[0,0,1] neg_hi:[0,0,1]
	v_pk_fma_f32 v[84:85], v[86:87], v[74:75], v[84:85] op_sel:[0,0,1] op_sel_hi:[1,0,0]
	s_delay_alu instid0(VALU_DEP_1) | instskip(SKIP_4) | instid1(VALU_DEP_1)
	v_mov_b32_e32 v89, v85
	ds_load_2addr_b64 v[84:87], v78 offset0:16 offset1:17
	v_pk_add_f32 v[24:25], v[24:25], v[88:89] neg_lo:[0,1] neg_hi:[0,1]
	s_wait_dscnt 0x0
	v_pk_mul_f32 v[88:89], v[84:85], v[76:77] op_sel:[0,1]
	v_pk_fma_f32 v[90:91], v[84:85], v[74:75], v[88:89] op_sel:[0,0,1] op_sel_hi:[1,1,0] neg_lo:[0,0,1] neg_hi:[0,0,1]
	v_pk_fma_f32 v[84:85], v[84:85], v[74:75], v[88:89] op_sel:[0,0,1] op_sel_hi:[1,0,0]
	v_dual_mul_f32 v88, v87, v77 :: v_dual_mov_b32 v84, v87
	s_delay_alu instid0(VALU_DEP_2) | instskip(NEXT) | instid1(VALU_DEP_2)
	v_dual_mov_b32 v91, v85 :: v_dual_mov_b32 v85, v86
	v_pk_fma_f32 v[88:89], v[86:87], v[64:65], v[88:89] op_sel_hi:[1,1,0] neg_lo:[0,0,1] neg_hi:[0,0,1]
	v_mul_f32_e32 v86, v87, v74
	s_delay_alu instid0(VALU_DEP_3) | instskip(NEXT) | instid1(VALU_DEP_2)
	v_pk_add_f32 v[62:63], v[62:63], v[90:91] neg_lo:[0,1] neg_hi:[0,1]
	v_pk_fma_f32 v[84:85], v[84:85], v[64:65], v[86:87] op_sel_hi:[1,1,0]
	s_delay_alu instid0(VALU_DEP_1) | instskip(SKIP_4) | instid1(VALU_DEP_1)
	v_mov_b32_e32 v89, v85
	ds_load_2addr_b64 v[84:87], v78 offset0:18 offset1:19
	v_pk_add_f32 v[42:43], v[42:43], v[88:89] neg_lo:[0,1] neg_hi:[0,1]
	s_wait_dscnt 0x0
	v_pk_mul_f32 v[88:89], v[84:85], v[76:77] op_sel:[0,1]
	v_pk_fma_f32 v[90:91], v[84:85], v[74:75], v[88:89] op_sel:[0,0,1] op_sel_hi:[1,1,0] neg_lo:[0,0,1] neg_hi:[0,0,1]
	v_pk_fma_f32 v[84:85], v[84:85], v[74:75], v[88:89] op_sel:[0,0,1] op_sel_hi:[1,0,0]
	s_delay_alu instid0(VALU_DEP_1) | instskip(SKIP_1) | instid1(VALU_DEP_1)
	v_mov_b32_e32 v91, v85
	v_pk_mul_f32 v[84:85], v[86:87], v[76:77] op_sel:[0,1]
	v_pk_fma_f32 v[88:89], v[86:87], v[74:75], v[84:85] op_sel:[0,0,1] op_sel_hi:[1,1,0] neg_lo:[0,0,1] neg_hi:[0,0,1]
	v_pk_fma_f32 v[84:85], v[86:87], v[74:75], v[84:85] op_sel:[0,0,1] op_sel_hi:[1,0,0]
	s_delay_alu instid0(VALU_DEP_1)
	v_mov_b32_e32 v89, v85
	ds_load_2addr_b64 v[84:87], v78 offset0:20 offset1:21
	v_pk_add_f32 v[44:45], v[44:45], v[90:91] neg_lo:[0,1] neg_hi:[0,1]
	v_pk_add_f32 v[40:41], v[40:41], v[88:89] neg_lo:[0,1] neg_hi:[0,1]
	s_wait_dscnt 0x0
	v_pk_mul_f32 v[88:89], v[84:85], v[76:77] op_sel:[0,1]
	s_delay_alu instid0(VALU_DEP_1) | instskip(SKIP_1) | instid1(VALU_DEP_1)
	v_pk_fma_f32 v[90:91], v[84:85], v[74:75], v[88:89] op_sel:[0,0,1] op_sel_hi:[1,1,0] neg_lo:[0,0,1] neg_hi:[0,0,1]
	v_pk_fma_f32 v[84:85], v[84:85], v[74:75], v[88:89] op_sel:[0,0,1] op_sel_hi:[1,0,0]
	v_mov_b32_e32 v91, v85
	v_pk_mul_f32 v[84:85], v[86:87], v[76:77] op_sel:[0,1]
	s_delay_alu instid0(VALU_DEP_1) | instskip(SKIP_1) | instid1(VALU_DEP_1)
	v_pk_fma_f32 v[88:89], v[86:87], v[74:75], v[84:85] op_sel:[0,0,1] op_sel_hi:[1,1,0] neg_lo:[0,0,1] neg_hi:[0,0,1]
	v_pk_fma_f32 v[84:85], v[86:87], v[74:75], v[84:85] op_sel:[0,0,1] op_sel_hi:[1,0,0]
	v_mov_b32_e32 v89, v85
	ds_load_2addr_b64 v[84:87], v78 offset0:22 offset1:23
	v_pk_add_f32 v[60:61], v[60:61], v[90:91] neg_lo:[0,1] neg_hi:[0,1]
	v_pk_add_f32 v[36:37], v[36:37], v[88:89] neg_lo:[0,1] neg_hi:[0,1]
	s_wait_dscnt 0x0
	v_dual_mul_f32 v88, v85, v77 :: v_dual_mul_f32 v90, v85, v74
	s_delay_alu instid0(VALU_DEP_1) | instskip(NEXT) | instid1(VALU_DEP_2)
	v_pk_fma_f32 v[88:89], v[84:85], v[64:65], v[88:89] op_sel_hi:[1,1,0] neg_lo:[0,0,1] neg_hi:[0,0,1]
	v_pk_fma_f32 v[84:85], v[84:85], v[64:65], v[90:91] op_sel:[1,0,0] op_sel_hi:[0,1,0]
	s_delay_alu instid0(VALU_DEP_1) | instskip(SKIP_1) | instid1(VALU_DEP_2)
	v_mov_b32_e32 v89, v85
	v_pk_mul_f32 v[84:85], v[86:87], v[76:77] op_sel:[0,1]
	v_pk_add_f32 v[38:39], v[38:39], v[88:89] neg_lo:[0,1] neg_hi:[0,1]
	s_delay_alu instid0(VALU_DEP_2) | instskip(SKIP_1) | instid1(VALU_DEP_1)
	v_pk_fma_f32 v[88:89], v[86:87], v[74:75], v[84:85] op_sel:[0,0,1] op_sel_hi:[1,1,0] neg_lo:[0,0,1] neg_hi:[0,0,1]
	v_pk_fma_f32 v[84:85], v[86:87], v[74:75], v[84:85] op_sel:[0,0,1] op_sel_hi:[1,0,0]
	v_mov_b32_e32 v89, v85
	ds_load_2addr_b64 v[84:87], v78 offset0:24 offset1:25
	v_pk_add_f32 v[34:35], v[34:35], v[88:89] neg_lo:[0,1] neg_hi:[0,1]
	s_wait_dscnt 0x0
	v_pk_mul_f32 v[88:89], v[84:85], v[76:77] op_sel:[0,1]
	s_delay_alu instid0(VALU_DEP_1) | instskip(SKIP_1) | instid1(VALU_DEP_1)
	v_pk_fma_f32 v[90:91], v[84:85], v[74:75], v[88:89] op_sel:[0,0,1] op_sel_hi:[1,1,0] neg_lo:[0,0,1] neg_hi:[0,0,1]
	v_pk_fma_f32 v[84:85], v[84:85], v[74:75], v[88:89] op_sel:[0,0,1] op_sel_hi:[1,0,0]
	v_mov_b32_e32 v91, v85
	v_pk_mul_f32 v[84:85], v[86:87], v[76:77] op_sel:[0,1]
	s_delay_alu instid0(VALU_DEP_2) | instskip(NEXT) | instid1(VALU_DEP_2)
	v_pk_add_f32 v[56:57], v[56:57], v[90:91] neg_lo:[0,1] neg_hi:[0,1]
	v_pk_fma_f32 v[88:89], v[86:87], v[74:75], v[84:85] op_sel:[0,0,1] op_sel_hi:[1,1,0] neg_lo:[0,0,1] neg_hi:[0,0,1]
	v_pk_fma_f32 v[84:85], v[86:87], v[74:75], v[84:85] op_sel:[0,0,1] op_sel_hi:[1,0,0]
	s_delay_alu instid0(VALU_DEP_1) | instskip(SKIP_4) | instid1(VALU_DEP_1)
	v_mov_b32_e32 v89, v85
	ds_load_2addr_b64 v[84:87], v78 offset0:26 offset1:27
	v_pk_add_f32 v[22:23], v[22:23], v[88:89] neg_lo:[0,1] neg_hi:[0,1]
	s_wait_dscnt 0x0
	v_pk_mul_f32 v[88:89], v[84:85], v[76:77] op_sel:[0,1]
	v_pk_fma_f32 v[90:91], v[84:85], v[74:75], v[88:89] op_sel:[0,0,1] op_sel_hi:[1,1,0] neg_lo:[0,0,1] neg_hi:[0,0,1]
	v_pk_fma_f32 v[84:85], v[84:85], v[74:75], v[88:89] op_sel:[0,0,1] op_sel_hi:[1,0,0]
	v_dual_mul_f32 v88, v87, v77 :: v_dual_mov_b32 v84, v87
	s_delay_alu instid0(VALU_DEP_2) | instskip(NEXT) | instid1(VALU_DEP_2)
	v_dual_mov_b32 v91, v85 :: v_dual_mov_b32 v85, v86
	v_pk_fma_f32 v[88:89], v[86:87], v[64:65], v[88:89] op_sel_hi:[1,1,0] neg_lo:[0,0,1] neg_hi:[0,0,1]
	v_mul_f32_e32 v86, v87, v74
	s_delay_alu instid0(VALU_DEP_3) | instskip(NEXT) | instid1(VALU_DEP_2)
	v_pk_add_f32 v[28:29], v[28:29], v[90:91] neg_lo:[0,1] neg_hi:[0,1]
	v_pk_fma_f32 v[84:85], v[84:85], v[64:65], v[86:87] op_sel_hi:[1,1,0]
	s_delay_alu instid0(VALU_DEP_1) | instskip(SKIP_4) | instid1(VALU_DEP_1)
	v_mov_b32_e32 v89, v85
	ds_load_2addr_b64 v[84:87], v78 offset0:28 offset1:29
	v_pk_add_f32 v[20:21], v[20:21], v[88:89] neg_lo:[0,1] neg_hi:[0,1]
	s_wait_dscnt 0x0
	v_pk_mul_f32 v[88:89], v[84:85], v[76:77] op_sel:[0,1]
	v_pk_fma_f32 v[90:91], v[84:85], v[74:75], v[88:89] op_sel:[0,0,1] op_sel_hi:[1,1,0] neg_lo:[0,0,1] neg_hi:[0,0,1]
	v_pk_fma_f32 v[84:85], v[84:85], v[74:75], v[88:89] op_sel:[0,0,1] op_sel_hi:[1,0,0]
	s_delay_alu instid0(VALU_DEP_1) | instskip(SKIP_1) | instid1(VALU_DEP_1)
	v_mov_b32_e32 v91, v85
	v_pk_mul_f32 v[84:85], v[86:87], v[76:77] op_sel:[0,1]
	v_pk_fma_f32 v[88:89], v[86:87], v[74:75], v[84:85] op_sel:[0,0,1] op_sel_hi:[1,1,0] neg_lo:[0,0,1] neg_hi:[0,0,1]
	v_pk_fma_f32 v[84:85], v[86:87], v[74:75], v[84:85] op_sel:[0,0,1] op_sel_hi:[1,0,0]
	s_delay_alu instid0(VALU_DEP_1)
	v_mov_b32_e32 v89, v85
	ds_load_2addr_b64 v[84:87], v78 offset0:30 offset1:31
	v_pk_add_f32 v[50:51], v[50:51], v[90:91] neg_lo:[0,1] neg_hi:[0,1]
	v_pk_add_f32 v[12:13], v[12:13], v[88:89] neg_lo:[0,1] neg_hi:[0,1]
	s_wait_dscnt 0x0
	v_pk_mul_f32 v[88:89], v[84:85], v[76:77] op_sel:[0,1]
	s_delay_alu instid0(VALU_DEP_1) | instskip(SKIP_1) | instid1(VALU_DEP_1)
	v_pk_fma_f32 v[90:91], v[84:85], v[74:75], v[88:89] op_sel:[0,0,1] op_sel_hi:[1,1,0] neg_lo:[0,0,1] neg_hi:[0,0,1]
	v_pk_fma_f32 v[84:85], v[84:85], v[74:75], v[88:89] op_sel:[0,0,1] op_sel_hi:[1,0,0]
	v_mov_b32_e32 v91, v85
	v_pk_mul_f32 v[84:85], v[86:87], v[76:77] op_sel:[0,1]
	s_delay_alu instid0(VALU_DEP_1) | instskip(SKIP_1) | instid1(VALU_DEP_1)
	v_pk_fma_f32 v[88:89], v[86:87], v[74:75], v[84:85] op_sel:[0,0,1] op_sel_hi:[1,1,0] neg_lo:[0,0,1] neg_hi:[0,0,1]
	v_pk_fma_f32 v[84:85], v[86:87], v[74:75], v[84:85] op_sel:[0,0,1] op_sel_hi:[1,0,0]
	v_mov_b32_e32 v89, v85
	ds_load_2addr_b64 v[84:87], v78 offset0:32 offset1:33
	v_pk_add_f32 v[48:49], v[48:49], v[90:91] neg_lo:[0,1] neg_hi:[0,1]
	v_pk_add_f32 v[46:47], v[46:47], v[88:89] neg_lo:[0,1] neg_hi:[0,1]
	s_wait_dscnt 0x0
	v_mul_f32_e32 v76, v85, v77
	s_delay_alu instid0(VALU_DEP_1) | instskip(SKIP_1) | instid1(VALU_DEP_1)
	v_pk_fma_f32 v[88:89], v[84:85], v[64:65], v[76:77] op_sel_hi:[1,1,0] neg_lo:[0,0,1] neg_hi:[0,0,1]
	v_dual_mul_f32 v76, v85, v74 :: v_dual_mul_f32 v74, v87, v74
	v_pk_fma_f32 v[84:85], v[84:85], v[64:65], v[76:77] op_sel:[1,0,0] op_sel_hi:[0,1,0]
	v_dual_mov_b32 v84, v87 :: v_dual_mul_f32 v76, v87, v77
	s_delay_alu instid0(VALU_DEP_2) | instskip(NEXT) | instid1(VALU_DEP_2)
	v_dual_mov_b32 v89, v85 :: v_dual_mov_b32 v85, v86
	v_pk_fma_f32 v[76:77], v[86:87], v[64:65], v[76:77] op_sel_hi:[1,1,0] neg_lo:[0,0,1] neg_hi:[0,0,1]
	s_delay_alu instid0(VALU_DEP_2) | instskip(NEXT) | instid1(VALU_DEP_3)
	v_pk_add_f32 v[32:33], v[32:33], v[88:89] neg_lo:[0,1] neg_hi:[0,1]
	v_pk_fma_f32 v[74:75], v[84:85], v[64:65], v[74:75] op_sel_hi:[1,1,0]
	s_delay_alu instid0(VALU_DEP_1) | instskip(NEXT) | instid1(VALU_DEP_1)
	v_mov_b32_e32 v77, v75
	v_pk_add_f32 v[72:73], v[72:73], v[76:77] neg_lo:[0,1] neg_hi:[0,1]
.LBB66_83:
	s_or_b32 exec_lo, exec_lo, s0
	v_lshl_add_u32 v74, v82, 3, v78
	s_barrier_signal -1
	s_barrier_wait -1
	ds_store_b64 v74, v[52:53]
	s_wait_dscnt 0x0
	s_barrier_signal -1
	s_barrier_wait -1
	ds_load_b64 v[76:77], v78 offset:32
	v_mov_b32_e32 v74, 4
	s_cmp_lt_i32 s18, 6
	s_cbranch_scc1 .LBB66_86
; %bb.84:
	v_add3_u32 v75, v79, 0, 40
	v_mov_b32_e32 v74, 4
	s_mov_b32 s0, 5
.LBB66_85:                              ; =>This Inner Loop Header: Depth=1
	ds_load_b64 v[84:85], v75
	s_wait_dscnt 0x1
	v_cmp_gt_f32_e32 vcc_lo, 0, v76
	v_cndmask_b32_e64 v86, v76, -v76, vcc_lo
	v_cmp_gt_f32_e32 vcc_lo, 0, v77
	v_cndmask_b32_e64 v88, v77, -v77, vcc_lo
	s_wait_dscnt 0x0
	v_cmp_gt_f32_e32 vcc_lo, 0, v84
	v_cndmask_b32_e64 v87, v84, -v84, vcc_lo
	v_cmp_gt_f32_e32 vcc_lo, 0, v85
	v_cndmask_b32_e64 v89, v85, -v85, vcc_lo
	s_delay_alu instid0(VALU_DEP_1) | instskip(NEXT) | instid1(VALU_DEP_1)
	v_pk_add_f32 v[86:87], v[86:87], v[88:89]
	v_cmp_lt_f32_e32 vcc_lo, v86, v87
	v_dual_add_nc_u32 v75, 8, v75 :: v_dual_cndmask_b32 v77, v77, v85, vcc_lo
	v_cndmask_b32_e32 v76, v76, v84, vcc_lo
	v_cndmask_b32_e64 v74, v74, s0, vcc_lo
	s_add_co_i32 s0, s0, 1
	s_delay_alu instid0(SALU_CYCLE_1)
	s_cmp_lg_u32 s18, s0
	s_cbranch_scc1 .LBB66_85
.LBB66_86:
	s_wait_dscnt 0x0
	v_cmp_eq_f32_e32 vcc_lo, 0, v76
	v_cmp_eq_f32_e64 s0, 0, v77
	s_and_b32 s0, vcc_lo, s0
	s_delay_alu instid0(SALU_CYCLE_1) | instskip(NEXT) | instid1(SALU_CYCLE_1)
	s_and_saveexec_b32 s1, s0
	s_xor_b32 s0, exec_lo, s1
; %bb.87:
	v_cmp_ne_u32_e32 vcc_lo, 0, v80
	v_cndmask_b32_e32 v80, 5, v80, vcc_lo
; %bb.88:
	s_and_not1_saveexec_b32 s0, s0
	s_cbranch_execz .LBB66_94
; %bb.89:
	v_cmp_ngt_f32_e64 s1, |v76|, |v77|
	s_and_saveexec_b32 s12, s1
	s_delay_alu instid0(SALU_CYCLE_1)
	s_xor_b32 s1, exec_lo, s12
	s_cbranch_execz .LBB66_91
; %bb.90:
	v_div_scale_f32 v75, null, v77, v77, v76
	v_div_scale_f32 v85, vcc_lo, v76, v77, v76
	s_delay_alu instid0(VALU_DEP_2) | instskip(SKIP_1) | instid1(TRANS32_DEP_1)
	v_rcp_f32_e32 v83, v75
	v_nop
	v_fma_f32 v84, -v75, v83, 1.0
	s_delay_alu instid0(VALU_DEP_1) | instskip(NEXT) | instid1(VALU_DEP_1)
	v_fmac_f32_e32 v83, v84, v83
	v_mul_f32_e32 v84, v85, v83
	s_delay_alu instid0(VALU_DEP_1) | instskip(NEXT) | instid1(VALU_DEP_1)
	v_fma_f32 v86, -v75, v84, v85
	v_fmac_f32_e32 v84, v86, v83
	s_delay_alu instid0(VALU_DEP_1) | instskip(NEXT) | instid1(VALU_DEP_1)
	v_fma_f32 v75, -v75, v84, v85
	v_div_fmas_f32 v75, v75, v83, v84
	s_delay_alu instid0(VALU_DEP_1) | instskip(NEXT) | instid1(VALU_DEP_1)
	v_div_fixup_f32 v75, v75, v77, v76
	v_fmac_f32_e32 v77, v76, v75
	s_delay_alu instid0(VALU_DEP_1) | instskip(SKIP_1) | instid1(VALU_DEP_2)
	v_div_scale_f32 v76, null, v77, v77, 1.0
	v_div_scale_f32 v85, vcc_lo, 1.0, v77, 1.0
	v_rcp_f32_e32 v83, v76
	v_nop
	s_delay_alu instid0(TRANS32_DEP_1) | instskip(NEXT) | instid1(VALU_DEP_1)
	v_fma_f32 v84, -v76, v83, 1.0
	v_fmac_f32_e32 v83, v84, v83
	s_delay_alu instid0(VALU_DEP_1) | instskip(NEXT) | instid1(VALU_DEP_1)
	v_mul_f32_e32 v84, v85, v83
	v_fma_f32 v86, -v76, v84, v85
	s_delay_alu instid0(VALU_DEP_1) | instskip(NEXT) | instid1(VALU_DEP_1)
	v_fmac_f32_e32 v84, v86, v83
	v_fma_f32 v76, -v76, v84, v85
	s_delay_alu instid0(VALU_DEP_1) | instskip(NEXT) | instid1(VALU_DEP_1)
	v_div_fmas_f32 v76, v76, v83, v84
	v_div_fixup_f32 v77, v76, v77, 1.0
	s_delay_alu instid0(VALU_DEP_1)
	v_mul_f32_e32 v76, v75, v77
	v_xor_b32_e32 v77, 0x80000000, v77
.LBB66_91:
	s_and_not1_saveexec_b32 s1, s1
	s_cbranch_execz .LBB66_93
; %bb.92:
	s_delay_alu instid0(VALU_DEP_1) | instskip(SKIP_1) | instid1(VALU_DEP_2)
	v_div_scale_f32 v75, null, v76, v76, v77
	v_div_scale_f32 v85, vcc_lo, v77, v76, v77
	v_rcp_f32_e32 v83, v75
	v_nop
	s_delay_alu instid0(TRANS32_DEP_1) | instskip(NEXT) | instid1(VALU_DEP_1)
	v_fma_f32 v84, -v75, v83, 1.0
	v_fmac_f32_e32 v83, v84, v83
	s_delay_alu instid0(VALU_DEP_1) | instskip(NEXT) | instid1(VALU_DEP_1)
	v_mul_f32_e32 v84, v85, v83
	v_fma_f32 v86, -v75, v84, v85
	s_delay_alu instid0(VALU_DEP_1) | instskip(NEXT) | instid1(VALU_DEP_1)
	v_fmac_f32_e32 v84, v86, v83
	v_fma_f32 v75, -v75, v84, v85
	s_delay_alu instid0(VALU_DEP_1) | instskip(NEXT) | instid1(VALU_DEP_1)
	v_div_fmas_f32 v75, v75, v83, v84
	v_div_fixup_f32 v75, v75, v76, v77
	s_delay_alu instid0(VALU_DEP_1) | instskip(NEXT) | instid1(VALU_DEP_1)
	v_fmac_f32_e32 v76, v77, v75
	v_div_scale_f32 v77, null, v76, v76, 1.0
	s_delay_alu instid0(VALU_DEP_1) | instskip(SKIP_1) | instid1(TRANS32_DEP_1)
	v_rcp_f32_e32 v83, v77
	v_nop
	v_fma_f32 v84, -v77, v83, 1.0
	s_delay_alu instid0(VALU_DEP_1) | instskip(SKIP_1) | instid1(VALU_DEP_1)
	v_fmac_f32_e32 v83, v84, v83
	v_div_scale_f32 v84, vcc_lo, 1.0, v76, 1.0
	v_mul_f32_e32 v85, v84, v83
	s_delay_alu instid0(VALU_DEP_1) | instskip(NEXT) | instid1(VALU_DEP_1)
	v_fma_f32 v86, -v77, v85, v84
	v_fmac_f32_e32 v85, v86, v83
	s_delay_alu instid0(VALU_DEP_1) | instskip(NEXT) | instid1(VALU_DEP_1)
	v_fma_f32 v77, -v77, v85, v84
	v_div_fmas_f32 v77, v77, v83, v85
	s_delay_alu instid0(VALU_DEP_1) | instskip(NEXT) | instid1(VALU_DEP_1)
	v_div_fixup_f32 v76, v77, v76, 1.0
	v_mul_f32_e64 v77, v75, -v76
.LBB66_93:
	s_or_b32 exec_lo, exec_lo, s1
.LBB66_94:
	s_delay_alu instid0(SALU_CYCLE_1) | instskip(NEXT) | instid1(SALU_CYCLE_1)
	s_or_b32 exec_lo, exec_lo, s0
	s_mov_b32 s0, exec_lo
	v_cmpx_ne_u32_e64 v82, v74
	s_xor_b32 s0, exec_lo, s0
	s_cbranch_execz .LBB66_100
; %bb.95:
	s_mov_b32 s1, exec_lo
	v_cmpx_eq_u32_e32 4, v82
	s_cbranch_execz .LBB66_99
; %bb.96:
	v_cmp_ne_u32_e32 vcc_lo, 4, v74
	s_xor_b32 s12, s16, -1
	s_delay_alu instid0(SALU_CYCLE_1) | instskip(NEXT) | instid1(SALU_CYCLE_1)
	s_and_b32 s13, s12, vcc_lo
	s_and_saveexec_b32 s12, s13
	s_cbranch_execz .LBB66_98
; %bb.97:
	v_ashrrev_i32_e32 v75, 31, v74
	s_delay_alu instid0(VALU_DEP_1)
	v_lshl_add_u64 v[82:83], v[74:75], 2, v[4:5]
	s_clause 0x1
	global_load_b32 v75, v[82:83], off
	global_load_b32 v81, v[4:5], off offset:16
	s_wait_loadcnt 0x1
	global_store_b32 v[4:5], v75, off offset:16
	s_wait_loadcnt 0x0
	global_store_b32 v[82:83], v81, off
.LBB66_98:
	s_wait_xcnt 0x0
	s_or_b32 exec_lo, exec_lo, s12
	v_dual_mov_b32 v82, v74 :: v_dual_mov_b32 v81, v74
.LBB66_99:
	s_or_b32 exec_lo, exec_lo, s1
.LBB66_100:
	s_and_not1_saveexec_b32 s0, s0
	s_cbranch_execz .LBB66_102
; %bb.101:
	v_mov_b32_e32 v82, 4
	ds_store_2addr_b64 v78, v[8:9], v[10:11] offset0:5 offset1:6
	ds_store_2addr_b64 v78, v[6:7], v[54:55] offset0:7 offset1:8
	;; [unrolled: 1-line block ×14, first 2 shown]
	ds_store_b64 v78, v[72:73] offset:264
.LBB66_102:
	s_or_b32 exec_lo, exec_lo, s0
	s_delay_alu instid0(SALU_CYCLE_1)
	s_mov_b32 s0, exec_lo
	s_wait_storecnt_dscnt 0x0
	s_barrier_signal -1
	s_barrier_wait -1
	v_cmpx_lt_i32_e32 4, v82
	s_cbranch_execz .LBB66_104
; %bb.103:
	v_pk_mul_f32 v[84:85], v[76:77], v[52:53] op_sel:[1,1] op_sel_hi:[0,1]
	s_delay_alu instid0(VALU_DEP_1)
	v_pk_fma_f32 v[74:75], v[76:77], v[52:53], v[84:85] op_sel_hi:[1,0,1] neg_lo:[0,0,1] neg_hi:[0,0,1]
	v_pk_fma_f32 v[76:77], v[76:77], v[52:53], v[84:85] op_sel_hi:[1,0,1]
	ds_load_2addr_b64 v[84:87], v78 offset0:5 offset1:6
	v_dual_mov_b32 v52, v74 :: v_dual_mov_b32 v53, v77
	s_wait_dscnt 0x0
	v_pk_mul_f32 v[88:89], v[84:85], v[76:77] op_sel:[0,1]
	s_delay_alu instid0(VALU_DEP_1) | instskip(SKIP_1) | instid1(VALU_DEP_1)
	v_pk_fma_f32 v[90:91], v[84:85], v[74:75], v[88:89] op_sel:[0,0,1] op_sel_hi:[1,1,0] neg_lo:[0,0,1] neg_hi:[0,0,1]
	v_pk_fma_f32 v[84:85], v[84:85], v[74:75], v[88:89] op_sel:[0,0,1] op_sel_hi:[1,0,0]
	v_mov_b32_e32 v91, v85
	v_pk_mul_f32 v[84:85], v[86:87], v[76:77] op_sel:[0,1]
	s_delay_alu instid0(VALU_DEP_1) | instskip(SKIP_1) | instid1(VALU_DEP_1)
	v_pk_fma_f32 v[88:89], v[86:87], v[74:75], v[84:85] op_sel:[0,0,1] op_sel_hi:[1,1,0] neg_lo:[0,0,1] neg_hi:[0,0,1]
	v_pk_fma_f32 v[84:85], v[86:87], v[74:75], v[84:85] op_sel:[0,0,1] op_sel_hi:[1,0,0]
	v_mov_b32_e32 v89, v85
	ds_load_2addr_b64 v[84:87], v78 offset0:7 offset1:8
	v_pk_add_f32 v[8:9], v[8:9], v[90:91] neg_lo:[0,1] neg_hi:[0,1]
	v_pk_add_f32 v[10:11], v[10:11], v[88:89] neg_lo:[0,1] neg_hi:[0,1]
	s_wait_dscnt 0x0
	v_pk_mul_f32 v[88:89], v[84:85], v[76:77] op_sel:[0,1]
	s_delay_alu instid0(VALU_DEP_1) | instskip(SKIP_2) | instid1(VALU_DEP_2)
	v_pk_fma_f32 v[90:91], v[84:85], v[74:75], v[88:89] op_sel:[0,0,1] op_sel_hi:[1,1,0] neg_lo:[0,0,1] neg_hi:[0,0,1]
	v_pk_fma_f32 v[84:85], v[84:85], v[74:75], v[88:89] op_sel:[0,0,1] op_sel_hi:[1,0,0]
	v_dual_mul_f32 v88, v87, v77 :: v_dual_mov_b32 v84, v87
	v_dual_mov_b32 v91, v85 :: v_dual_mov_b32 v85, v86
	s_delay_alu instid0(VALU_DEP_2) | instskip(SKIP_1) | instid1(VALU_DEP_3)
	v_pk_fma_f32 v[88:89], v[86:87], v[52:53], v[88:89] op_sel_hi:[1,1,0] neg_lo:[0,0,1] neg_hi:[0,0,1]
	v_mul_f32_e32 v86, v87, v74
	v_pk_add_f32 v[6:7], v[6:7], v[90:91] neg_lo:[0,1] neg_hi:[0,1]
	s_delay_alu instid0(VALU_DEP_2) | instskip(NEXT) | instid1(VALU_DEP_1)
	v_pk_fma_f32 v[84:85], v[84:85], v[52:53], v[86:87] op_sel_hi:[1,1,0]
	v_mov_b32_e32 v89, v85
	ds_load_2addr_b64 v[84:87], v78 offset0:9 offset1:10
	v_pk_add_f32 v[54:55], v[54:55], v[88:89] neg_lo:[0,1] neg_hi:[0,1]
	s_wait_dscnt 0x0
	v_pk_mul_f32 v[88:89], v[84:85], v[76:77] op_sel:[0,1]
	s_delay_alu instid0(VALU_DEP_1) | instskip(SKIP_1) | instid1(VALU_DEP_1)
	v_pk_fma_f32 v[90:91], v[84:85], v[74:75], v[88:89] op_sel:[0,0,1] op_sel_hi:[1,1,0] neg_lo:[0,0,1] neg_hi:[0,0,1]
	v_pk_fma_f32 v[84:85], v[84:85], v[74:75], v[88:89] op_sel:[0,0,1] op_sel_hi:[1,0,0]
	v_mov_b32_e32 v91, v85
	v_pk_mul_f32 v[84:85], v[86:87], v[76:77] op_sel:[0,1]
	s_delay_alu instid0(VALU_DEP_1) | instskip(SKIP_1) | instid1(VALU_DEP_1)
	v_pk_fma_f32 v[88:89], v[86:87], v[74:75], v[84:85] op_sel:[0,0,1] op_sel_hi:[1,1,0] neg_lo:[0,0,1] neg_hi:[0,0,1]
	v_pk_fma_f32 v[84:85], v[86:87], v[74:75], v[84:85] op_sel:[0,0,1] op_sel_hi:[1,0,0]
	v_mov_b32_e32 v89, v85
	ds_load_2addr_b64 v[84:87], v78 offset0:11 offset1:12
	v_pk_add_f32 v[16:17], v[16:17], v[90:91] neg_lo:[0,1] neg_hi:[0,1]
	v_pk_add_f32 v[18:19], v[18:19], v[88:89] neg_lo:[0,1] neg_hi:[0,1]
	s_wait_dscnt 0x0
	v_pk_mul_f32 v[88:89], v[84:85], v[76:77] op_sel:[0,1]
	s_delay_alu instid0(VALU_DEP_1) | instskip(SKIP_1) | instid1(VALU_DEP_1)
	v_pk_fma_f32 v[90:91], v[84:85], v[74:75], v[88:89] op_sel:[0,0,1] op_sel_hi:[1,1,0] neg_lo:[0,0,1] neg_hi:[0,0,1]
	v_pk_fma_f32 v[84:85], v[84:85], v[74:75], v[88:89] op_sel:[0,0,1] op_sel_hi:[1,0,0]
	v_mov_b32_e32 v91, v85
	v_pk_mul_f32 v[84:85], v[86:87], v[76:77] op_sel:[0,1]
	s_delay_alu instid0(VALU_DEP_1) | instskip(SKIP_1) | instid1(VALU_DEP_1)
	v_pk_fma_f32 v[88:89], v[86:87], v[74:75], v[84:85] op_sel:[0,0,1] op_sel_hi:[1,1,0] neg_lo:[0,0,1] neg_hi:[0,0,1]
	v_pk_fma_f32 v[84:85], v[86:87], v[74:75], v[84:85] op_sel:[0,0,1] op_sel_hi:[1,0,0]
	v_mov_b32_e32 v89, v85
	ds_load_2addr_b64 v[84:87], v78 offset0:13 offset1:14
	v_pk_add_f32 v[14:15], v[14:15], v[90:91] neg_lo:[0,1] neg_hi:[0,1]
	v_pk_add_f32 v[58:59], v[58:59], v[88:89] neg_lo:[0,1] neg_hi:[0,1]
	s_wait_dscnt 0x0
	v_dual_mul_f32 v88, v85, v77 :: v_dual_mul_f32 v90, v85, v74
	s_delay_alu instid0(VALU_DEP_1) | instskip(NEXT) | instid1(VALU_DEP_2)
	v_pk_fma_f32 v[88:89], v[84:85], v[52:53], v[88:89] op_sel_hi:[1,1,0] neg_lo:[0,0,1] neg_hi:[0,0,1]
	v_pk_fma_f32 v[84:85], v[84:85], v[52:53], v[90:91] op_sel:[1,0,0] op_sel_hi:[0,1,0]
	s_delay_alu instid0(VALU_DEP_1) | instskip(SKIP_1) | instid1(VALU_DEP_2)
	v_mov_b32_e32 v89, v85
	v_pk_mul_f32 v[84:85], v[86:87], v[76:77] op_sel:[0,1]
	v_pk_add_f32 v[26:27], v[26:27], v[88:89] neg_lo:[0,1] neg_hi:[0,1]
	s_delay_alu instid0(VALU_DEP_2) | instskip(SKIP_1) | instid1(VALU_DEP_1)
	v_pk_fma_f32 v[88:89], v[86:87], v[74:75], v[84:85] op_sel:[0,0,1] op_sel_hi:[1,1,0] neg_lo:[0,0,1] neg_hi:[0,0,1]
	v_pk_fma_f32 v[84:85], v[86:87], v[74:75], v[84:85] op_sel:[0,0,1] op_sel_hi:[1,0,0]
	v_mov_b32_e32 v89, v85
	ds_load_2addr_b64 v[84:87], v78 offset0:15 offset1:16
	v_pk_add_f32 v[30:31], v[30:31], v[88:89] neg_lo:[0,1] neg_hi:[0,1]
	s_wait_dscnt 0x0
	v_pk_mul_f32 v[88:89], v[84:85], v[76:77] op_sel:[0,1]
	s_delay_alu instid0(VALU_DEP_1) | instskip(SKIP_1) | instid1(VALU_DEP_1)
	v_pk_fma_f32 v[90:91], v[84:85], v[74:75], v[88:89] op_sel:[0,0,1] op_sel_hi:[1,1,0] neg_lo:[0,0,1] neg_hi:[0,0,1]
	v_pk_fma_f32 v[84:85], v[84:85], v[74:75], v[88:89] op_sel:[0,0,1] op_sel_hi:[1,0,0]
	v_mov_b32_e32 v91, v85
	v_pk_mul_f32 v[84:85], v[86:87], v[76:77] op_sel:[0,1]
	s_delay_alu instid0(VALU_DEP_2) | instskip(NEXT) | instid1(VALU_DEP_2)
	v_pk_add_f32 v[24:25], v[24:25], v[90:91] neg_lo:[0,1] neg_hi:[0,1]
	v_pk_fma_f32 v[88:89], v[86:87], v[74:75], v[84:85] op_sel:[0,0,1] op_sel_hi:[1,1,0] neg_lo:[0,0,1] neg_hi:[0,0,1]
	v_pk_fma_f32 v[84:85], v[86:87], v[74:75], v[84:85] op_sel:[0,0,1] op_sel_hi:[1,0,0]
	s_delay_alu instid0(VALU_DEP_1) | instskip(SKIP_4) | instid1(VALU_DEP_1)
	v_mov_b32_e32 v89, v85
	ds_load_2addr_b64 v[84:87], v78 offset0:17 offset1:18
	v_pk_add_f32 v[62:63], v[62:63], v[88:89] neg_lo:[0,1] neg_hi:[0,1]
	s_wait_dscnt 0x0
	v_pk_mul_f32 v[88:89], v[84:85], v[76:77] op_sel:[0,1]
	v_pk_fma_f32 v[90:91], v[84:85], v[74:75], v[88:89] op_sel:[0,0,1] op_sel_hi:[1,1,0] neg_lo:[0,0,1] neg_hi:[0,0,1]
	v_pk_fma_f32 v[84:85], v[84:85], v[74:75], v[88:89] op_sel:[0,0,1] op_sel_hi:[1,0,0]
	v_dual_mul_f32 v88, v87, v77 :: v_dual_mov_b32 v84, v87
	s_delay_alu instid0(VALU_DEP_2) | instskip(NEXT) | instid1(VALU_DEP_2)
	v_dual_mov_b32 v91, v85 :: v_dual_mov_b32 v85, v86
	v_pk_fma_f32 v[88:89], v[86:87], v[52:53], v[88:89] op_sel_hi:[1,1,0] neg_lo:[0,0,1] neg_hi:[0,0,1]
	v_mul_f32_e32 v86, v87, v74
	s_delay_alu instid0(VALU_DEP_3) | instskip(NEXT) | instid1(VALU_DEP_2)
	v_pk_add_f32 v[42:43], v[42:43], v[90:91] neg_lo:[0,1] neg_hi:[0,1]
	v_pk_fma_f32 v[84:85], v[84:85], v[52:53], v[86:87] op_sel_hi:[1,1,0]
	s_delay_alu instid0(VALU_DEP_1) | instskip(SKIP_4) | instid1(VALU_DEP_1)
	v_mov_b32_e32 v89, v85
	ds_load_2addr_b64 v[84:87], v78 offset0:19 offset1:20
	v_pk_add_f32 v[44:45], v[44:45], v[88:89] neg_lo:[0,1] neg_hi:[0,1]
	s_wait_dscnt 0x0
	v_pk_mul_f32 v[88:89], v[84:85], v[76:77] op_sel:[0,1]
	v_pk_fma_f32 v[90:91], v[84:85], v[74:75], v[88:89] op_sel:[0,0,1] op_sel_hi:[1,1,0] neg_lo:[0,0,1] neg_hi:[0,0,1]
	v_pk_fma_f32 v[84:85], v[84:85], v[74:75], v[88:89] op_sel:[0,0,1] op_sel_hi:[1,0,0]
	s_delay_alu instid0(VALU_DEP_1) | instskip(SKIP_1) | instid1(VALU_DEP_1)
	v_mov_b32_e32 v91, v85
	v_pk_mul_f32 v[84:85], v[86:87], v[76:77] op_sel:[0,1]
	v_pk_fma_f32 v[88:89], v[86:87], v[74:75], v[84:85] op_sel:[0,0,1] op_sel_hi:[1,1,0] neg_lo:[0,0,1] neg_hi:[0,0,1]
	v_pk_fma_f32 v[84:85], v[86:87], v[74:75], v[84:85] op_sel:[0,0,1] op_sel_hi:[1,0,0]
	s_delay_alu instid0(VALU_DEP_1)
	v_mov_b32_e32 v89, v85
	ds_load_2addr_b64 v[84:87], v78 offset0:21 offset1:22
	v_pk_add_f32 v[40:41], v[40:41], v[90:91] neg_lo:[0,1] neg_hi:[0,1]
	v_pk_add_f32 v[60:61], v[60:61], v[88:89] neg_lo:[0,1] neg_hi:[0,1]
	s_wait_dscnt 0x0
	v_pk_mul_f32 v[88:89], v[84:85], v[76:77] op_sel:[0,1]
	s_delay_alu instid0(VALU_DEP_1) | instskip(SKIP_1) | instid1(VALU_DEP_1)
	v_pk_fma_f32 v[90:91], v[84:85], v[74:75], v[88:89] op_sel:[0,0,1] op_sel_hi:[1,1,0] neg_lo:[0,0,1] neg_hi:[0,0,1]
	v_pk_fma_f32 v[84:85], v[84:85], v[74:75], v[88:89] op_sel:[0,0,1] op_sel_hi:[1,0,0]
	v_mov_b32_e32 v91, v85
	v_pk_mul_f32 v[84:85], v[86:87], v[76:77] op_sel:[0,1]
	s_delay_alu instid0(VALU_DEP_1) | instskip(SKIP_1) | instid1(VALU_DEP_1)
	v_pk_fma_f32 v[88:89], v[86:87], v[74:75], v[84:85] op_sel:[0,0,1] op_sel_hi:[1,1,0] neg_lo:[0,0,1] neg_hi:[0,0,1]
	v_pk_fma_f32 v[84:85], v[86:87], v[74:75], v[84:85] op_sel:[0,0,1] op_sel_hi:[1,0,0]
	v_mov_b32_e32 v89, v85
	ds_load_2addr_b64 v[84:87], v78 offset0:23 offset1:24
	v_pk_add_f32 v[36:37], v[36:37], v[90:91] neg_lo:[0,1] neg_hi:[0,1]
	v_pk_add_f32 v[38:39], v[38:39], v[88:89] neg_lo:[0,1] neg_hi:[0,1]
	s_wait_dscnt 0x0
	v_dual_mul_f32 v88, v85, v77 :: v_dual_mul_f32 v90, v85, v74
	s_delay_alu instid0(VALU_DEP_1) | instskip(NEXT) | instid1(VALU_DEP_2)
	v_pk_fma_f32 v[88:89], v[84:85], v[52:53], v[88:89] op_sel_hi:[1,1,0] neg_lo:[0,0,1] neg_hi:[0,0,1]
	v_pk_fma_f32 v[84:85], v[84:85], v[52:53], v[90:91] op_sel:[1,0,0] op_sel_hi:[0,1,0]
	s_delay_alu instid0(VALU_DEP_1) | instskip(SKIP_1) | instid1(VALU_DEP_2)
	v_mov_b32_e32 v89, v85
	v_pk_mul_f32 v[84:85], v[86:87], v[76:77] op_sel:[0,1]
	v_pk_add_f32 v[34:35], v[34:35], v[88:89] neg_lo:[0,1] neg_hi:[0,1]
	s_delay_alu instid0(VALU_DEP_2) | instskip(SKIP_1) | instid1(VALU_DEP_1)
	v_pk_fma_f32 v[88:89], v[86:87], v[74:75], v[84:85] op_sel:[0,0,1] op_sel_hi:[1,1,0] neg_lo:[0,0,1] neg_hi:[0,0,1]
	v_pk_fma_f32 v[84:85], v[86:87], v[74:75], v[84:85] op_sel:[0,0,1] op_sel_hi:[1,0,0]
	v_mov_b32_e32 v89, v85
	ds_load_2addr_b64 v[84:87], v78 offset0:25 offset1:26
	v_pk_add_f32 v[56:57], v[56:57], v[88:89] neg_lo:[0,1] neg_hi:[0,1]
	s_wait_dscnt 0x0
	v_pk_mul_f32 v[88:89], v[84:85], v[76:77] op_sel:[0,1]
	s_delay_alu instid0(VALU_DEP_1) | instskip(SKIP_1) | instid1(VALU_DEP_1)
	v_pk_fma_f32 v[90:91], v[84:85], v[74:75], v[88:89] op_sel:[0,0,1] op_sel_hi:[1,1,0] neg_lo:[0,0,1] neg_hi:[0,0,1]
	v_pk_fma_f32 v[84:85], v[84:85], v[74:75], v[88:89] op_sel:[0,0,1] op_sel_hi:[1,0,0]
	v_mov_b32_e32 v91, v85
	v_pk_mul_f32 v[84:85], v[86:87], v[76:77] op_sel:[0,1]
	s_delay_alu instid0(VALU_DEP_2) | instskip(NEXT) | instid1(VALU_DEP_2)
	v_pk_add_f32 v[22:23], v[22:23], v[90:91] neg_lo:[0,1] neg_hi:[0,1]
	v_pk_fma_f32 v[88:89], v[86:87], v[74:75], v[84:85] op_sel:[0,0,1] op_sel_hi:[1,1,0] neg_lo:[0,0,1] neg_hi:[0,0,1]
	v_pk_fma_f32 v[84:85], v[86:87], v[74:75], v[84:85] op_sel:[0,0,1] op_sel_hi:[1,0,0]
	s_delay_alu instid0(VALU_DEP_1) | instskip(SKIP_4) | instid1(VALU_DEP_1)
	v_mov_b32_e32 v89, v85
	ds_load_2addr_b64 v[84:87], v78 offset0:27 offset1:28
	v_pk_add_f32 v[28:29], v[28:29], v[88:89] neg_lo:[0,1] neg_hi:[0,1]
	s_wait_dscnt 0x0
	v_pk_mul_f32 v[88:89], v[84:85], v[76:77] op_sel:[0,1]
	v_pk_fma_f32 v[90:91], v[84:85], v[74:75], v[88:89] op_sel:[0,0,1] op_sel_hi:[1,1,0] neg_lo:[0,0,1] neg_hi:[0,0,1]
	v_pk_fma_f32 v[84:85], v[84:85], v[74:75], v[88:89] op_sel:[0,0,1] op_sel_hi:[1,0,0]
	v_dual_mul_f32 v88, v87, v77 :: v_dual_mov_b32 v84, v87
	s_delay_alu instid0(VALU_DEP_2) | instskip(NEXT) | instid1(VALU_DEP_2)
	v_dual_mov_b32 v91, v85 :: v_dual_mov_b32 v85, v86
	v_pk_fma_f32 v[88:89], v[86:87], v[52:53], v[88:89] op_sel_hi:[1,1,0] neg_lo:[0,0,1] neg_hi:[0,0,1]
	v_mul_f32_e32 v86, v87, v74
	s_delay_alu instid0(VALU_DEP_3) | instskip(NEXT) | instid1(VALU_DEP_2)
	v_pk_add_f32 v[20:21], v[20:21], v[90:91] neg_lo:[0,1] neg_hi:[0,1]
	v_pk_fma_f32 v[84:85], v[84:85], v[52:53], v[86:87] op_sel_hi:[1,1,0]
	s_delay_alu instid0(VALU_DEP_1) | instskip(SKIP_4) | instid1(VALU_DEP_1)
	v_mov_b32_e32 v89, v85
	ds_load_2addr_b64 v[84:87], v78 offset0:29 offset1:30
	v_pk_add_f32 v[50:51], v[50:51], v[88:89] neg_lo:[0,1] neg_hi:[0,1]
	s_wait_dscnt 0x0
	v_pk_mul_f32 v[88:89], v[84:85], v[76:77] op_sel:[0,1]
	v_pk_fma_f32 v[90:91], v[84:85], v[74:75], v[88:89] op_sel:[0,0,1] op_sel_hi:[1,1,0] neg_lo:[0,0,1] neg_hi:[0,0,1]
	v_pk_fma_f32 v[84:85], v[84:85], v[74:75], v[88:89] op_sel:[0,0,1] op_sel_hi:[1,0,0]
	s_delay_alu instid0(VALU_DEP_1) | instskip(SKIP_1) | instid1(VALU_DEP_1)
	v_mov_b32_e32 v91, v85
	v_pk_mul_f32 v[84:85], v[86:87], v[76:77] op_sel:[0,1]
	v_pk_fma_f32 v[88:89], v[86:87], v[74:75], v[84:85] op_sel:[0,0,1] op_sel_hi:[1,1,0] neg_lo:[0,0,1] neg_hi:[0,0,1]
	v_pk_fma_f32 v[84:85], v[86:87], v[74:75], v[84:85] op_sel:[0,0,1] op_sel_hi:[1,0,0]
	s_delay_alu instid0(VALU_DEP_1)
	v_mov_b32_e32 v89, v85
	ds_load_2addr_b64 v[84:87], v78 offset0:31 offset1:32
	v_pk_add_f32 v[12:13], v[12:13], v[90:91] neg_lo:[0,1] neg_hi:[0,1]
	v_pk_add_f32 v[48:49], v[48:49], v[88:89] neg_lo:[0,1] neg_hi:[0,1]
	s_wait_dscnt 0x0
	v_pk_mul_f32 v[88:89], v[84:85], v[76:77] op_sel:[0,1]
	s_delay_alu instid0(VALU_DEP_1) | instskip(SKIP_1) | instid1(VALU_DEP_1)
	v_pk_fma_f32 v[90:91], v[84:85], v[74:75], v[88:89] op_sel:[0,0,1] op_sel_hi:[1,1,0] neg_lo:[0,0,1] neg_hi:[0,0,1]
	v_pk_fma_f32 v[84:85], v[84:85], v[74:75], v[88:89] op_sel:[0,0,1] op_sel_hi:[1,0,0]
	v_mov_b32_e32 v91, v85
	v_pk_mul_f32 v[84:85], v[86:87], v[76:77] op_sel:[0,1]
	s_delay_alu instid0(VALU_DEP_1) | instskip(SKIP_1) | instid1(VALU_DEP_1)
	v_pk_fma_f32 v[88:89], v[86:87], v[74:75], v[84:85] op_sel:[0,0,1] op_sel_hi:[1,1,0] neg_lo:[0,0,1] neg_hi:[0,0,1]
	v_pk_fma_f32 v[84:85], v[86:87], v[74:75], v[84:85] op_sel:[0,0,1] op_sel_hi:[1,0,0]
	v_mov_b32_e32 v89, v85
	ds_load_b64 v[84:85], v78 offset:264
	v_pk_add_f32 v[46:47], v[46:47], v[90:91] neg_lo:[0,1] neg_hi:[0,1]
	v_pk_add_f32 v[32:33], v[32:33], v[88:89] neg_lo:[0,1] neg_hi:[0,1]
	s_wait_dscnt 0x0
	v_pk_mul_f32 v[76:77], v[84:85], v[76:77] op_sel:[0,1]
	s_delay_alu instid0(VALU_DEP_1) | instskip(SKIP_1) | instid1(VALU_DEP_1)
	v_pk_fma_f32 v[86:87], v[84:85], v[74:75], v[76:77] op_sel:[0,0,1] op_sel_hi:[1,1,0] neg_lo:[0,0,1] neg_hi:[0,0,1]
	v_pk_fma_f32 v[74:75], v[84:85], v[74:75], v[76:77] op_sel:[0,0,1] op_sel_hi:[1,0,0]
	v_mov_b32_e32 v87, v75
	s_delay_alu instid0(VALU_DEP_1)
	v_pk_add_f32 v[72:73], v[72:73], v[86:87] neg_lo:[0,1] neg_hi:[0,1]
.LBB66_104:
	s_or_b32 exec_lo, exec_lo, s0
	v_lshl_add_u32 v74, v82, 3, v78
	s_barrier_signal -1
	s_barrier_wait -1
	ds_store_b64 v74, v[8:9]
	s_wait_dscnt 0x0
	s_barrier_signal -1
	s_barrier_wait -1
	ds_load_b64 v[76:77], v78 offset:40
	v_mov_b32_e32 v74, 5
	s_cmp_lt_i32 s18, 7
	s_cbranch_scc1 .LBB66_107
; %bb.105:
	v_add3_u32 v75, v79, 0, 48
	v_mov_b32_e32 v74, 5
	s_mov_b32 s0, 6
.LBB66_106:                             ; =>This Inner Loop Header: Depth=1
	ds_load_b64 v[84:85], v75
	s_wait_dscnt 0x1
	v_cmp_gt_f32_e32 vcc_lo, 0, v76
	v_cndmask_b32_e64 v86, v76, -v76, vcc_lo
	v_cmp_gt_f32_e32 vcc_lo, 0, v77
	v_cndmask_b32_e64 v88, v77, -v77, vcc_lo
	s_wait_dscnt 0x0
	v_cmp_gt_f32_e32 vcc_lo, 0, v84
	v_cndmask_b32_e64 v87, v84, -v84, vcc_lo
	v_cmp_gt_f32_e32 vcc_lo, 0, v85
	v_cndmask_b32_e64 v89, v85, -v85, vcc_lo
	s_delay_alu instid0(VALU_DEP_1) | instskip(NEXT) | instid1(VALU_DEP_1)
	v_pk_add_f32 v[86:87], v[86:87], v[88:89]
	v_cmp_lt_f32_e32 vcc_lo, v86, v87
	v_dual_add_nc_u32 v75, 8, v75 :: v_dual_cndmask_b32 v77, v77, v85, vcc_lo
	v_cndmask_b32_e32 v76, v76, v84, vcc_lo
	v_cndmask_b32_e64 v74, v74, s0, vcc_lo
	s_add_co_i32 s0, s0, 1
	s_delay_alu instid0(SALU_CYCLE_1)
	s_cmp_lg_u32 s18, s0
	s_cbranch_scc1 .LBB66_106
.LBB66_107:
	s_wait_dscnt 0x0
	v_cmp_eq_f32_e32 vcc_lo, 0, v76
	v_cmp_eq_f32_e64 s0, 0, v77
	s_and_b32 s0, vcc_lo, s0
	s_delay_alu instid0(SALU_CYCLE_1) | instskip(NEXT) | instid1(SALU_CYCLE_1)
	s_and_saveexec_b32 s1, s0
	s_xor_b32 s0, exec_lo, s1
; %bb.108:
	v_cmp_ne_u32_e32 vcc_lo, 0, v80
	v_cndmask_b32_e32 v80, 6, v80, vcc_lo
; %bb.109:
	s_and_not1_saveexec_b32 s0, s0
	s_cbranch_execz .LBB66_115
; %bb.110:
	v_cmp_ngt_f32_e64 s1, |v76|, |v77|
	s_and_saveexec_b32 s12, s1
	s_delay_alu instid0(SALU_CYCLE_1)
	s_xor_b32 s1, exec_lo, s12
	s_cbranch_execz .LBB66_112
; %bb.111:
	v_div_scale_f32 v75, null, v77, v77, v76
	v_div_scale_f32 v85, vcc_lo, v76, v77, v76
	s_delay_alu instid0(VALU_DEP_2) | instskip(SKIP_1) | instid1(TRANS32_DEP_1)
	v_rcp_f32_e32 v83, v75
	v_nop
	v_fma_f32 v84, -v75, v83, 1.0
	s_delay_alu instid0(VALU_DEP_1) | instskip(NEXT) | instid1(VALU_DEP_1)
	v_fmac_f32_e32 v83, v84, v83
	v_mul_f32_e32 v84, v85, v83
	s_delay_alu instid0(VALU_DEP_1) | instskip(NEXT) | instid1(VALU_DEP_1)
	v_fma_f32 v86, -v75, v84, v85
	v_fmac_f32_e32 v84, v86, v83
	s_delay_alu instid0(VALU_DEP_1) | instskip(NEXT) | instid1(VALU_DEP_1)
	v_fma_f32 v75, -v75, v84, v85
	v_div_fmas_f32 v75, v75, v83, v84
	s_delay_alu instid0(VALU_DEP_1) | instskip(NEXT) | instid1(VALU_DEP_1)
	v_div_fixup_f32 v75, v75, v77, v76
	v_fmac_f32_e32 v77, v76, v75
	s_delay_alu instid0(VALU_DEP_1) | instskip(SKIP_1) | instid1(VALU_DEP_2)
	v_div_scale_f32 v76, null, v77, v77, 1.0
	v_div_scale_f32 v85, vcc_lo, 1.0, v77, 1.0
	v_rcp_f32_e32 v83, v76
	v_nop
	s_delay_alu instid0(TRANS32_DEP_1) | instskip(NEXT) | instid1(VALU_DEP_1)
	v_fma_f32 v84, -v76, v83, 1.0
	v_fmac_f32_e32 v83, v84, v83
	s_delay_alu instid0(VALU_DEP_1) | instskip(NEXT) | instid1(VALU_DEP_1)
	v_mul_f32_e32 v84, v85, v83
	v_fma_f32 v86, -v76, v84, v85
	s_delay_alu instid0(VALU_DEP_1) | instskip(NEXT) | instid1(VALU_DEP_1)
	v_fmac_f32_e32 v84, v86, v83
	v_fma_f32 v76, -v76, v84, v85
	s_delay_alu instid0(VALU_DEP_1) | instskip(NEXT) | instid1(VALU_DEP_1)
	v_div_fmas_f32 v76, v76, v83, v84
	v_div_fixup_f32 v77, v76, v77, 1.0
	s_delay_alu instid0(VALU_DEP_1)
	v_mul_f32_e32 v76, v75, v77
	v_xor_b32_e32 v77, 0x80000000, v77
.LBB66_112:
	s_and_not1_saveexec_b32 s1, s1
	s_cbranch_execz .LBB66_114
; %bb.113:
	s_delay_alu instid0(VALU_DEP_1) | instskip(SKIP_1) | instid1(VALU_DEP_2)
	v_div_scale_f32 v75, null, v76, v76, v77
	v_div_scale_f32 v85, vcc_lo, v77, v76, v77
	v_rcp_f32_e32 v83, v75
	v_nop
	s_delay_alu instid0(TRANS32_DEP_1) | instskip(NEXT) | instid1(VALU_DEP_1)
	v_fma_f32 v84, -v75, v83, 1.0
	v_fmac_f32_e32 v83, v84, v83
	s_delay_alu instid0(VALU_DEP_1) | instskip(NEXT) | instid1(VALU_DEP_1)
	v_mul_f32_e32 v84, v85, v83
	v_fma_f32 v86, -v75, v84, v85
	s_delay_alu instid0(VALU_DEP_1) | instskip(NEXT) | instid1(VALU_DEP_1)
	v_fmac_f32_e32 v84, v86, v83
	v_fma_f32 v75, -v75, v84, v85
	s_delay_alu instid0(VALU_DEP_1) | instskip(NEXT) | instid1(VALU_DEP_1)
	v_div_fmas_f32 v75, v75, v83, v84
	v_div_fixup_f32 v75, v75, v76, v77
	s_delay_alu instid0(VALU_DEP_1) | instskip(NEXT) | instid1(VALU_DEP_1)
	v_fmac_f32_e32 v76, v77, v75
	v_div_scale_f32 v77, null, v76, v76, 1.0
	s_delay_alu instid0(VALU_DEP_1) | instskip(SKIP_1) | instid1(TRANS32_DEP_1)
	v_rcp_f32_e32 v83, v77
	v_nop
	v_fma_f32 v84, -v77, v83, 1.0
	s_delay_alu instid0(VALU_DEP_1) | instskip(SKIP_1) | instid1(VALU_DEP_1)
	v_fmac_f32_e32 v83, v84, v83
	v_div_scale_f32 v84, vcc_lo, 1.0, v76, 1.0
	v_mul_f32_e32 v85, v84, v83
	s_delay_alu instid0(VALU_DEP_1) | instskip(NEXT) | instid1(VALU_DEP_1)
	v_fma_f32 v86, -v77, v85, v84
	v_fmac_f32_e32 v85, v86, v83
	s_delay_alu instid0(VALU_DEP_1) | instskip(NEXT) | instid1(VALU_DEP_1)
	v_fma_f32 v77, -v77, v85, v84
	v_div_fmas_f32 v77, v77, v83, v85
	s_delay_alu instid0(VALU_DEP_1) | instskip(NEXT) | instid1(VALU_DEP_1)
	v_div_fixup_f32 v76, v77, v76, 1.0
	v_mul_f32_e64 v77, v75, -v76
.LBB66_114:
	s_or_b32 exec_lo, exec_lo, s1
.LBB66_115:
	s_delay_alu instid0(SALU_CYCLE_1) | instskip(NEXT) | instid1(SALU_CYCLE_1)
	s_or_b32 exec_lo, exec_lo, s0
	s_mov_b32 s0, exec_lo
	v_cmpx_ne_u32_e64 v82, v74
	s_xor_b32 s0, exec_lo, s0
	s_cbranch_execz .LBB66_121
; %bb.116:
	s_mov_b32 s1, exec_lo
	v_cmpx_eq_u32_e32 5, v82
	s_cbranch_execz .LBB66_120
; %bb.117:
	v_cmp_ne_u32_e32 vcc_lo, 5, v74
	s_xor_b32 s12, s16, -1
	s_delay_alu instid0(SALU_CYCLE_1) | instskip(NEXT) | instid1(SALU_CYCLE_1)
	s_and_b32 s13, s12, vcc_lo
	s_and_saveexec_b32 s12, s13
	s_cbranch_execz .LBB66_119
; %bb.118:
	v_ashrrev_i32_e32 v75, 31, v74
	s_delay_alu instid0(VALU_DEP_1)
	v_lshl_add_u64 v[82:83], v[74:75], 2, v[4:5]
	s_clause 0x1
	global_load_b32 v75, v[82:83], off
	global_load_b32 v81, v[4:5], off offset:20
	s_wait_loadcnt 0x1
	global_store_b32 v[4:5], v75, off offset:20
	s_wait_loadcnt 0x0
	global_store_b32 v[82:83], v81, off
.LBB66_119:
	s_wait_xcnt 0x0
	s_or_b32 exec_lo, exec_lo, s12
	v_dual_mov_b32 v82, v74 :: v_dual_mov_b32 v81, v74
.LBB66_120:
	s_or_b32 exec_lo, exec_lo, s1
.LBB66_121:
	s_and_not1_saveexec_b32 s0, s0
	s_cbranch_execz .LBB66_123
; %bb.122:
	v_dual_mov_b32 v74, v10 :: v_dual_mov_b32 v75, v11
	v_dual_mov_b32 v82, v6 :: v_dual_mov_b32 v83, v7
	ds_store_2addr_b64 v78, v[74:75], v[82:83] offset0:6 offset1:7
	v_dual_mov_b32 v74, v54 :: v_dual_mov_b32 v75, v55
	v_dual_mov_b32 v82, v16 :: v_dual_mov_b32 v83, v17
	ds_store_2addr_b64 v78, v[74:75], v[82:83] offset0:8 offset1:9
	;; [unrolled: 3-line block ×13, first 2 shown]
	v_dual_mov_b32 v74, v32 :: v_dual_mov_b32 v75, v33
	v_mov_b32_e32 v82, 5
	ds_store_2addr_b64 v78, v[74:75], v[72:73] offset0:32 offset1:33
.LBB66_123:
	s_or_b32 exec_lo, exec_lo, s0
	s_delay_alu instid0(SALU_CYCLE_1)
	s_mov_b32 s0, exec_lo
	s_wait_storecnt_dscnt 0x0
	s_barrier_signal -1
	s_barrier_wait -1
	v_cmpx_lt_i32_e32 5, v82
	s_cbranch_execz .LBB66_125
; %bb.124:
	v_pk_mul_f32 v[84:85], v[76:77], v[8:9] op_sel:[1,1] op_sel_hi:[0,1]
	s_delay_alu instid0(VALU_DEP_1)
	v_pk_fma_f32 v[74:75], v[76:77], v[8:9], v[84:85] op_sel_hi:[1,0,1] neg_lo:[0,0,1] neg_hi:[0,0,1]
	v_pk_fma_f32 v[76:77], v[76:77], v[8:9], v[84:85] op_sel_hi:[1,0,1]
	ds_load_2addr_b64 v[84:87], v78 offset0:6 offset1:7
	v_dual_mov_b32 v8, v74 :: v_dual_mov_b32 v9, v77
	s_wait_dscnt 0x0
	v_pk_mul_f32 v[88:89], v[84:85], v[76:77] op_sel:[0,1]
	s_delay_alu instid0(VALU_DEP_1) | instskip(SKIP_1) | instid1(VALU_DEP_1)
	v_pk_fma_f32 v[90:91], v[84:85], v[74:75], v[88:89] op_sel:[0,0,1] op_sel_hi:[1,1,0] neg_lo:[0,0,1] neg_hi:[0,0,1]
	v_pk_fma_f32 v[84:85], v[84:85], v[74:75], v[88:89] op_sel:[0,0,1] op_sel_hi:[1,0,0]
	v_mov_b32_e32 v91, v85
	v_pk_mul_f32 v[84:85], v[86:87], v[76:77] op_sel:[0,1]
	s_delay_alu instid0(VALU_DEP_1) | instskip(SKIP_1) | instid1(VALU_DEP_1)
	v_pk_fma_f32 v[88:89], v[86:87], v[74:75], v[84:85] op_sel:[0,0,1] op_sel_hi:[1,1,0] neg_lo:[0,0,1] neg_hi:[0,0,1]
	v_pk_fma_f32 v[84:85], v[86:87], v[74:75], v[84:85] op_sel:[0,0,1] op_sel_hi:[1,0,0]
	v_mov_b32_e32 v89, v85
	ds_load_2addr_b64 v[84:87], v78 offset0:8 offset1:9
	v_pk_add_f32 v[10:11], v[10:11], v[90:91] neg_lo:[0,1] neg_hi:[0,1]
	v_pk_add_f32 v[6:7], v[6:7], v[88:89] neg_lo:[0,1] neg_hi:[0,1]
	s_wait_dscnt 0x0
	v_pk_mul_f32 v[88:89], v[84:85], v[76:77] op_sel:[0,1]
	s_delay_alu instid0(VALU_DEP_1) | instskip(SKIP_2) | instid1(VALU_DEP_2)
	v_pk_fma_f32 v[90:91], v[84:85], v[74:75], v[88:89] op_sel:[0,0,1] op_sel_hi:[1,1,0] neg_lo:[0,0,1] neg_hi:[0,0,1]
	v_pk_fma_f32 v[84:85], v[84:85], v[74:75], v[88:89] op_sel:[0,0,1] op_sel_hi:[1,0,0]
	v_dual_mul_f32 v88, v87, v77 :: v_dual_mov_b32 v84, v87
	v_dual_mov_b32 v91, v85 :: v_dual_mov_b32 v85, v86
	s_delay_alu instid0(VALU_DEP_2) | instskip(SKIP_1) | instid1(VALU_DEP_3)
	v_pk_fma_f32 v[88:89], v[86:87], v[8:9], v[88:89] op_sel_hi:[1,1,0] neg_lo:[0,0,1] neg_hi:[0,0,1]
	v_mul_f32_e32 v86, v87, v74
	v_pk_add_f32 v[54:55], v[54:55], v[90:91] neg_lo:[0,1] neg_hi:[0,1]
	s_delay_alu instid0(VALU_DEP_2) | instskip(NEXT) | instid1(VALU_DEP_1)
	v_pk_fma_f32 v[84:85], v[84:85], v[8:9], v[86:87] op_sel_hi:[1,1,0]
	v_mov_b32_e32 v89, v85
	ds_load_2addr_b64 v[84:87], v78 offset0:10 offset1:11
	v_pk_add_f32 v[16:17], v[16:17], v[88:89] neg_lo:[0,1] neg_hi:[0,1]
	s_wait_dscnt 0x0
	v_pk_mul_f32 v[88:89], v[84:85], v[76:77] op_sel:[0,1]
	s_delay_alu instid0(VALU_DEP_1) | instskip(SKIP_1) | instid1(VALU_DEP_1)
	v_pk_fma_f32 v[90:91], v[84:85], v[74:75], v[88:89] op_sel:[0,0,1] op_sel_hi:[1,1,0] neg_lo:[0,0,1] neg_hi:[0,0,1]
	v_pk_fma_f32 v[84:85], v[84:85], v[74:75], v[88:89] op_sel:[0,0,1] op_sel_hi:[1,0,0]
	v_mov_b32_e32 v91, v85
	v_pk_mul_f32 v[84:85], v[86:87], v[76:77] op_sel:[0,1]
	s_delay_alu instid0(VALU_DEP_1) | instskip(SKIP_1) | instid1(VALU_DEP_1)
	v_pk_fma_f32 v[88:89], v[86:87], v[74:75], v[84:85] op_sel:[0,0,1] op_sel_hi:[1,1,0] neg_lo:[0,0,1] neg_hi:[0,0,1]
	v_pk_fma_f32 v[84:85], v[86:87], v[74:75], v[84:85] op_sel:[0,0,1] op_sel_hi:[1,0,0]
	v_mov_b32_e32 v89, v85
	ds_load_2addr_b64 v[84:87], v78 offset0:12 offset1:13
	v_pk_add_f32 v[18:19], v[18:19], v[90:91] neg_lo:[0,1] neg_hi:[0,1]
	v_pk_add_f32 v[14:15], v[14:15], v[88:89] neg_lo:[0,1] neg_hi:[0,1]
	s_wait_dscnt 0x0
	v_pk_mul_f32 v[88:89], v[84:85], v[76:77] op_sel:[0,1]
	s_delay_alu instid0(VALU_DEP_1) | instskip(SKIP_1) | instid1(VALU_DEP_1)
	v_pk_fma_f32 v[90:91], v[84:85], v[74:75], v[88:89] op_sel:[0,0,1] op_sel_hi:[1,1,0] neg_lo:[0,0,1] neg_hi:[0,0,1]
	v_pk_fma_f32 v[84:85], v[84:85], v[74:75], v[88:89] op_sel:[0,0,1] op_sel_hi:[1,0,0]
	v_mov_b32_e32 v91, v85
	v_pk_mul_f32 v[84:85], v[86:87], v[76:77] op_sel:[0,1]
	s_delay_alu instid0(VALU_DEP_1) | instskip(SKIP_1) | instid1(VALU_DEP_1)
	v_pk_fma_f32 v[88:89], v[86:87], v[74:75], v[84:85] op_sel:[0,0,1] op_sel_hi:[1,1,0] neg_lo:[0,0,1] neg_hi:[0,0,1]
	v_pk_fma_f32 v[84:85], v[86:87], v[74:75], v[84:85] op_sel:[0,0,1] op_sel_hi:[1,0,0]
	v_mov_b32_e32 v89, v85
	ds_load_2addr_b64 v[84:87], v78 offset0:14 offset1:15
	v_pk_add_f32 v[58:59], v[58:59], v[90:91] neg_lo:[0,1] neg_hi:[0,1]
	v_pk_add_f32 v[26:27], v[26:27], v[88:89] neg_lo:[0,1] neg_hi:[0,1]
	s_wait_dscnt 0x0
	v_dual_mul_f32 v88, v85, v77 :: v_dual_mul_f32 v90, v85, v74
	s_delay_alu instid0(VALU_DEP_1) | instskip(NEXT) | instid1(VALU_DEP_2)
	v_pk_fma_f32 v[88:89], v[84:85], v[8:9], v[88:89] op_sel_hi:[1,1,0] neg_lo:[0,0,1] neg_hi:[0,0,1]
	v_pk_fma_f32 v[84:85], v[84:85], v[8:9], v[90:91] op_sel:[1,0,0] op_sel_hi:[0,1,0]
	s_delay_alu instid0(VALU_DEP_1) | instskip(SKIP_1) | instid1(VALU_DEP_2)
	v_mov_b32_e32 v89, v85
	v_pk_mul_f32 v[84:85], v[86:87], v[76:77] op_sel:[0,1]
	v_pk_add_f32 v[30:31], v[30:31], v[88:89] neg_lo:[0,1] neg_hi:[0,1]
	s_delay_alu instid0(VALU_DEP_2) | instskip(SKIP_1) | instid1(VALU_DEP_1)
	v_pk_fma_f32 v[88:89], v[86:87], v[74:75], v[84:85] op_sel:[0,0,1] op_sel_hi:[1,1,0] neg_lo:[0,0,1] neg_hi:[0,0,1]
	v_pk_fma_f32 v[84:85], v[86:87], v[74:75], v[84:85] op_sel:[0,0,1] op_sel_hi:[1,0,0]
	v_mov_b32_e32 v89, v85
	ds_load_2addr_b64 v[84:87], v78 offset0:16 offset1:17
	v_pk_add_f32 v[24:25], v[24:25], v[88:89] neg_lo:[0,1] neg_hi:[0,1]
	s_wait_dscnt 0x0
	v_pk_mul_f32 v[88:89], v[84:85], v[76:77] op_sel:[0,1]
	s_delay_alu instid0(VALU_DEP_1) | instskip(SKIP_1) | instid1(VALU_DEP_1)
	v_pk_fma_f32 v[90:91], v[84:85], v[74:75], v[88:89] op_sel:[0,0,1] op_sel_hi:[1,1,0] neg_lo:[0,0,1] neg_hi:[0,0,1]
	v_pk_fma_f32 v[84:85], v[84:85], v[74:75], v[88:89] op_sel:[0,0,1] op_sel_hi:[1,0,0]
	v_mov_b32_e32 v91, v85
	v_pk_mul_f32 v[84:85], v[86:87], v[76:77] op_sel:[0,1]
	s_delay_alu instid0(VALU_DEP_2) | instskip(NEXT) | instid1(VALU_DEP_2)
	v_pk_add_f32 v[62:63], v[62:63], v[90:91] neg_lo:[0,1] neg_hi:[0,1]
	v_pk_fma_f32 v[88:89], v[86:87], v[74:75], v[84:85] op_sel:[0,0,1] op_sel_hi:[1,1,0] neg_lo:[0,0,1] neg_hi:[0,0,1]
	v_pk_fma_f32 v[84:85], v[86:87], v[74:75], v[84:85] op_sel:[0,0,1] op_sel_hi:[1,0,0]
	s_delay_alu instid0(VALU_DEP_1) | instskip(SKIP_4) | instid1(VALU_DEP_1)
	v_mov_b32_e32 v89, v85
	ds_load_2addr_b64 v[84:87], v78 offset0:18 offset1:19
	v_pk_add_f32 v[42:43], v[42:43], v[88:89] neg_lo:[0,1] neg_hi:[0,1]
	s_wait_dscnt 0x0
	v_pk_mul_f32 v[88:89], v[84:85], v[76:77] op_sel:[0,1]
	v_pk_fma_f32 v[90:91], v[84:85], v[74:75], v[88:89] op_sel:[0,0,1] op_sel_hi:[1,1,0] neg_lo:[0,0,1] neg_hi:[0,0,1]
	v_pk_fma_f32 v[84:85], v[84:85], v[74:75], v[88:89] op_sel:[0,0,1] op_sel_hi:[1,0,0]
	v_dual_mul_f32 v88, v87, v77 :: v_dual_mov_b32 v84, v87
	s_delay_alu instid0(VALU_DEP_2) | instskip(NEXT) | instid1(VALU_DEP_2)
	v_dual_mov_b32 v91, v85 :: v_dual_mov_b32 v85, v86
	v_pk_fma_f32 v[88:89], v[86:87], v[8:9], v[88:89] op_sel_hi:[1,1,0] neg_lo:[0,0,1] neg_hi:[0,0,1]
	v_mul_f32_e32 v86, v87, v74
	s_delay_alu instid0(VALU_DEP_3) | instskip(NEXT) | instid1(VALU_DEP_2)
	v_pk_add_f32 v[44:45], v[44:45], v[90:91] neg_lo:[0,1] neg_hi:[0,1]
	v_pk_fma_f32 v[84:85], v[84:85], v[8:9], v[86:87] op_sel_hi:[1,1,0]
	s_delay_alu instid0(VALU_DEP_1) | instskip(SKIP_4) | instid1(VALU_DEP_1)
	v_mov_b32_e32 v89, v85
	ds_load_2addr_b64 v[84:87], v78 offset0:20 offset1:21
	v_pk_add_f32 v[40:41], v[40:41], v[88:89] neg_lo:[0,1] neg_hi:[0,1]
	s_wait_dscnt 0x0
	v_pk_mul_f32 v[88:89], v[84:85], v[76:77] op_sel:[0,1]
	v_pk_fma_f32 v[90:91], v[84:85], v[74:75], v[88:89] op_sel:[0,0,1] op_sel_hi:[1,1,0] neg_lo:[0,0,1] neg_hi:[0,0,1]
	v_pk_fma_f32 v[84:85], v[84:85], v[74:75], v[88:89] op_sel:[0,0,1] op_sel_hi:[1,0,0]
	s_delay_alu instid0(VALU_DEP_1) | instskip(SKIP_1) | instid1(VALU_DEP_1)
	v_mov_b32_e32 v91, v85
	v_pk_mul_f32 v[84:85], v[86:87], v[76:77] op_sel:[0,1]
	v_pk_fma_f32 v[88:89], v[86:87], v[74:75], v[84:85] op_sel:[0,0,1] op_sel_hi:[1,1,0] neg_lo:[0,0,1] neg_hi:[0,0,1]
	v_pk_fma_f32 v[84:85], v[86:87], v[74:75], v[84:85] op_sel:[0,0,1] op_sel_hi:[1,0,0]
	s_delay_alu instid0(VALU_DEP_1)
	v_mov_b32_e32 v89, v85
	ds_load_2addr_b64 v[84:87], v78 offset0:22 offset1:23
	v_pk_add_f32 v[60:61], v[60:61], v[90:91] neg_lo:[0,1] neg_hi:[0,1]
	v_pk_add_f32 v[36:37], v[36:37], v[88:89] neg_lo:[0,1] neg_hi:[0,1]
	s_wait_dscnt 0x0
	v_pk_mul_f32 v[88:89], v[84:85], v[76:77] op_sel:[0,1]
	s_delay_alu instid0(VALU_DEP_1) | instskip(SKIP_1) | instid1(VALU_DEP_1)
	v_pk_fma_f32 v[90:91], v[84:85], v[74:75], v[88:89] op_sel:[0,0,1] op_sel_hi:[1,1,0] neg_lo:[0,0,1] neg_hi:[0,0,1]
	v_pk_fma_f32 v[84:85], v[84:85], v[74:75], v[88:89] op_sel:[0,0,1] op_sel_hi:[1,0,0]
	v_mov_b32_e32 v91, v85
	v_pk_mul_f32 v[84:85], v[86:87], v[76:77] op_sel:[0,1]
	s_delay_alu instid0(VALU_DEP_1) | instskip(SKIP_1) | instid1(VALU_DEP_1)
	v_pk_fma_f32 v[88:89], v[86:87], v[74:75], v[84:85] op_sel:[0,0,1] op_sel_hi:[1,1,0] neg_lo:[0,0,1] neg_hi:[0,0,1]
	v_pk_fma_f32 v[84:85], v[86:87], v[74:75], v[84:85] op_sel:[0,0,1] op_sel_hi:[1,0,0]
	v_mov_b32_e32 v89, v85
	ds_load_2addr_b64 v[84:87], v78 offset0:24 offset1:25
	v_pk_add_f32 v[38:39], v[38:39], v[90:91] neg_lo:[0,1] neg_hi:[0,1]
	v_pk_add_f32 v[34:35], v[34:35], v[88:89] neg_lo:[0,1] neg_hi:[0,1]
	s_wait_dscnt 0x0
	v_dual_mul_f32 v88, v85, v77 :: v_dual_mul_f32 v90, v85, v74
	s_delay_alu instid0(VALU_DEP_1) | instskip(NEXT) | instid1(VALU_DEP_2)
	v_pk_fma_f32 v[88:89], v[84:85], v[8:9], v[88:89] op_sel_hi:[1,1,0] neg_lo:[0,0,1] neg_hi:[0,0,1]
	v_pk_fma_f32 v[84:85], v[84:85], v[8:9], v[90:91] op_sel:[1,0,0] op_sel_hi:[0,1,0]
	s_delay_alu instid0(VALU_DEP_1) | instskip(SKIP_1) | instid1(VALU_DEP_2)
	v_mov_b32_e32 v89, v85
	v_pk_mul_f32 v[84:85], v[86:87], v[76:77] op_sel:[0,1]
	v_pk_add_f32 v[56:57], v[56:57], v[88:89] neg_lo:[0,1] neg_hi:[0,1]
	s_delay_alu instid0(VALU_DEP_2) | instskip(SKIP_1) | instid1(VALU_DEP_1)
	v_pk_fma_f32 v[88:89], v[86:87], v[74:75], v[84:85] op_sel:[0,0,1] op_sel_hi:[1,1,0] neg_lo:[0,0,1] neg_hi:[0,0,1]
	v_pk_fma_f32 v[84:85], v[86:87], v[74:75], v[84:85] op_sel:[0,0,1] op_sel_hi:[1,0,0]
	v_mov_b32_e32 v89, v85
	ds_load_2addr_b64 v[84:87], v78 offset0:26 offset1:27
	v_pk_add_f32 v[22:23], v[22:23], v[88:89] neg_lo:[0,1] neg_hi:[0,1]
	s_wait_dscnt 0x0
	v_pk_mul_f32 v[88:89], v[84:85], v[76:77] op_sel:[0,1]
	s_delay_alu instid0(VALU_DEP_1) | instskip(SKIP_1) | instid1(VALU_DEP_1)
	v_pk_fma_f32 v[90:91], v[84:85], v[74:75], v[88:89] op_sel:[0,0,1] op_sel_hi:[1,1,0] neg_lo:[0,0,1] neg_hi:[0,0,1]
	v_pk_fma_f32 v[84:85], v[84:85], v[74:75], v[88:89] op_sel:[0,0,1] op_sel_hi:[1,0,0]
	v_mov_b32_e32 v91, v85
	v_pk_mul_f32 v[84:85], v[86:87], v[76:77] op_sel:[0,1]
	s_delay_alu instid0(VALU_DEP_2) | instskip(NEXT) | instid1(VALU_DEP_2)
	v_pk_add_f32 v[28:29], v[28:29], v[90:91] neg_lo:[0,1] neg_hi:[0,1]
	v_pk_fma_f32 v[88:89], v[86:87], v[74:75], v[84:85] op_sel:[0,0,1] op_sel_hi:[1,1,0] neg_lo:[0,0,1] neg_hi:[0,0,1]
	v_pk_fma_f32 v[84:85], v[86:87], v[74:75], v[84:85] op_sel:[0,0,1] op_sel_hi:[1,0,0]
	s_delay_alu instid0(VALU_DEP_1) | instskip(SKIP_4) | instid1(VALU_DEP_1)
	v_mov_b32_e32 v89, v85
	ds_load_2addr_b64 v[84:87], v78 offset0:28 offset1:29
	v_pk_add_f32 v[20:21], v[20:21], v[88:89] neg_lo:[0,1] neg_hi:[0,1]
	s_wait_dscnt 0x0
	v_pk_mul_f32 v[88:89], v[84:85], v[76:77] op_sel:[0,1]
	v_pk_fma_f32 v[90:91], v[84:85], v[74:75], v[88:89] op_sel:[0,0,1] op_sel_hi:[1,1,0] neg_lo:[0,0,1] neg_hi:[0,0,1]
	v_pk_fma_f32 v[84:85], v[84:85], v[74:75], v[88:89] op_sel:[0,0,1] op_sel_hi:[1,0,0]
	v_dual_mul_f32 v88, v87, v77 :: v_dual_mov_b32 v84, v87
	s_delay_alu instid0(VALU_DEP_2) | instskip(NEXT) | instid1(VALU_DEP_2)
	v_dual_mov_b32 v91, v85 :: v_dual_mov_b32 v85, v86
	v_pk_fma_f32 v[88:89], v[86:87], v[8:9], v[88:89] op_sel_hi:[1,1,0] neg_lo:[0,0,1] neg_hi:[0,0,1]
	v_mul_f32_e32 v86, v87, v74
	s_delay_alu instid0(VALU_DEP_3) | instskip(NEXT) | instid1(VALU_DEP_2)
	v_pk_add_f32 v[50:51], v[50:51], v[90:91] neg_lo:[0,1] neg_hi:[0,1]
	v_pk_fma_f32 v[84:85], v[84:85], v[8:9], v[86:87] op_sel_hi:[1,1,0]
	s_delay_alu instid0(VALU_DEP_1) | instskip(SKIP_4) | instid1(VALU_DEP_1)
	v_mov_b32_e32 v89, v85
	ds_load_2addr_b64 v[84:87], v78 offset0:30 offset1:31
	v_pk_add_f32 v[12:13], v[12:13], v[88:89] neg_lo:[0,1] neg_hi:[0,1]
	s_wait_dscnt 0x0
	v_pk_mul_f32 v[88:89], v[84:85], v[76:77] op_sel:[0,1]
	v_pk_fma_f32 v[90:91], v[84:85], v[74:75], v[88:89] op_sel:[0,0,1] op_sel_hi:[1,1,0] neg_lo:[0,0,1] neg_hi:[0,0,1]
	v_pk_fma_f32 v[84:85], v[84:85], v[74:75], v[88:89] op_sel:[0,0,1] op_sel_hi:[1,0,0]
	s_delay_alu instid0(VALU_DEP_1) | instskip(SKIP_1) | instid1(VALU_DEP_1)
	v_mov_b32_e32 v91, v85
	v_pk_mul_f32 v[84:85], v[86:87], v[76:77] op_sel:[0,1]
	v_pk_fma_f32 v[88:89], v[86:87], v[74:75], v[84:85] op_sel:[0,0,1] op_sel_hi:[1,1,0] neg_lo:[0,0,1] neg_hi:[0,0,1]
	v_pk_fma_f32 v[84:85], v[86:87], v[74:75], v[84:85] op_sel:[0,0,1] op_sel_hi:[1,0,0]
	s_delay_alu instid0(VALU_DEP_1)
	v_mov_b32_e32 v89, v85
	ds_load_2addr_b64 v[84:87], v78 offset0:32 offset1:33
	v_pk_add_f32 v[48:49], v[48:49], v[90:91] neg_lo:[0,1] neg_hi:[0,1]
	v_pk_add_f32 v[46:47], v[46:47], v[88:89] neg_lo:[0,1] neg_hi:[0,1]
	s_wait_dscnt 0x0
	v_pk_mul_f32 v[88:89], v[84:85], v[76:77] op_sel:[0,1]
	v_pk_mul_f32 v[76:77], v[86:87], v[76:77] op_sel:[0,1]
	s_delay_alu instid0(VALU_DEP_2) | instskip(SKIP_1) | instid1(VALU_DEP_1)
	v_pk_fma_f32 v[90:91], v[84:85], v[74:75], v[88:89] op_sel:[0,0,1] op_sel_hi:[1,1,0] neg_lo:[0,0,1] neg_hi:[0,0,1]
	v_pk_fma_f32 v[84:85], v[84:85], v[74:75], v[88:89] op_sel:[0,0,1] op_sel_hi:[1,0,0]
	v_mov_b32_e32 v91, v85
	s_delay_alu instid0(VALU_DEP_4) | instskip(SKIP_1) | instid1(VALU_DEP_1)
	v_pk_fma_f32 v[84:85], v[86:87], v[74:75], v[76:77] op_sel:[0,0,1] op_sel_hi:[1,1,0] neg_lo:[0,0,1] neg_hi:[0,0,1]
	v_pk_fma_f32 v[74:75], v[86:87], v[74:75], v[76:77] op_sel:[0,0,1] op_sel_hi:[1,0,0]
	v_mov_b32_e32 v85, v75
	s_delay_alu instid0(VALU_DEP_4) | instskip(NEXT) | instid1(VALU_DEP_2)
	v_pk_add_f32 v[32:33], v[32:33], v[90:91] neg_lo:[0,1] neg_hi:[0,1]
	v_pk_add_f32 v[72:73], v[72:73], v[84:85] neg_lo:[0,1] neg_hi:[0,1]
.LBB66_125:
	s_or_b32 exec_lo, exec_lo, s0
	v_lshl_add_u32 v74, v82, 3, v78
	s_barrier_signal -1
	s_barrier_wait -1
	ds_store_b64 v74, v[10:11]
	s_wait_dscnt 0x0
	s_barrier_signal -1
	s_barrier_wait -1
	ds_load_b64 v[76:77], v78 offset:48
	v_mov_b32_e32 v74, 6
	s_cmp_lt_i32 s18, 8
	s_cbranch_scc1 .LBB66_128
; %bb.126:
	v_add3_u32 v75, v79, 0, 56
	v_mov_b32_e32 v74, 6
	s_mov_b32 s0, 7
.LBB66_127:                             ; =>This Inner Loop Header: Depth=1
	ds_load_b64 v[84:85], v75
	s_wait_dscnt 0x1
	v_cmp_gt_f32_e32 vcc_lo, 0, v76
	v_cndmask_b32_e64 v86, v76, -v76, vcc_lo
	v_cmp_gt_f32_e32 vcc_lo, 0, v77
	v_cndmask_b32_e64 v88, v77, -v77, vcc_lo
	s_wait_dscnt 0x0
	v_cmp_gt_f32_e32 vcc_lo, 0, v84
	v_cndmask_b32_e64 v87, v84, -v84, vcc_lo
	v_cmp_gt_f32_e32 vcc_lo, 0, v85
	v_cndmask_b32_e64 v89, v85, -v85, vcc_lo
	s_delay_alu instid0(VALU_DEP_1) | instskip(NEXT) | instid1(VALU_DEP_1)
	v_pk_add_f32 v[86:87], v[86:87], v[88:89]
	v_cmp_lt_f32_e32 vcc_lo, v86, v87
	v_dual_add_nc_u32 v75, 8, v75 :: v_dual_cndmask_b32 v77, v77, v85, vcc_lo
	v_cndmask_b32_e32 v76, v76, v84, vcc_lo
	v_cndmask_b32_e64 v74, v74, s0, vcc_lo
	s_add_co_i32 s0, s0, 1
	s_delay_alu instid0(SALU_CYCLE_1)
	s_cmp_lg_u32 s18, s0
	s_cbranch_scc1 .LBB66_127
.LBB66_128:
	s_wait_dscnt 0x0
	v_cmp_eq_f32_e32 vcc_lo, 0, v76
	v_cmp_eq_f32_e64 s0, 0, v77
	s_and_b32 s0, vcc_lo, s0
	s_delay_alu instid0(SALU_CYCLE_1) | instskip(NEXT) | instid1(SALU_CYCLE_1)
	s_and_saveexec_b32 s1, s0
	s_xor_b32 s0, exec_lo, s1
; %bb.129:
	v_cmp_ne_u32_e32 vcc_lo, 0, v80
	v_cndmask_b32_e32 v80, 7, v80, vcc_lo
; %bb.130:
	s_and_not1_saveexec_b32 s0, s0
	s_cbranch_execz .LBB66_136
; %bb.131:
	v_cmp_ngt_f32_e64 s1, |v76|, |v77|
	s_and_saveexec_b32 s12, s1
	s_delay_alu instid0(SALU_CYCLE_1)
	s_xor_b32 s1, exec_lo, s12
	s_cbranch_execz .LBB66_133
; %bb.132:
	v_div_scale_f32 v75, null, v77, v77, v76
	v_div_scale_f32 v85, vcc_lo, v76, v77, v76
	s_delay_alu instid0(VALU_DEP_2) | instskip(SKIP_1) | instid1(TRANS32_DEP_1)
	v_rcp_f32_e32 v83, v75
	v_nop
	v_fma_f32 v84, -v75, v83, 1.0
	s_delay_alu instid0(VALU_DEP_1) | instskip(NEXT) | instid1(VALU_DEP_1)
	v_fmac_f32_e32 v83, v84, v83
	v_mul_f32_e32 v84, v85, v83
	s_delay_alu instid0(VALU_DEP_1) | instskip(NEXT) | instid1(VALU_DEP_1)
	v_fma_f32 v86, -v75, v84, v85
	v_fmac_f32_e32 v84, v86, v83
	s_delay_alu instid0(VALU_DEP_1) | instskip(NEXT) | instid1(VALU_DEP_1)
	v_fma_f32 v75, -v75, v84, v85
	v_div_fmas_f32 v75, v75, v83, v84
	s_delay_alu instid0(VALU_DEP_1) | instskip(NEXT) | instid1(VALU_DEP_1)
	v_div_fixup_f32 v75, v75, v77, v76
	v_fmac_f32_e32 v77, v76, v75
	s_delay_alu instid0(VALU_DEP_1) | instskip(SKIP_1) | instid1(VALU_DEP_2)
	v_div_scale_f32 v76, null, v77, v77, 1.0
	v_div_scale_f32 v85, vcc_lo, 1.0, v77, 1.0
	v_rcp_f32_e32 v83, v76
	v_nop
	s_delay_alu instid0(TRANS32_DEP_1) | instskip(NEXT) | instid1(VALU_DEP_1)
	v_fma_f32 v84, -v76, v83, 1.0
	v_fmac_f32_e32 v83, v84, v83
	s_delay_alu instid0(VALU_DEP_1) | instskip(NEXT) | instid1(VALU_DEP_1)
	v_mul_f32_e32 v84, v85, v83
	v_fma_f32 v86, -v76, v84, v85
	s_delay_alu instid0(VALU_DEP_1) | instskip(NEXT) | instid1(VALU_DEP_1)
	v_fmac_f32_e32 v84, v86, v83
	v_fma_f32 v76, -v76, v84, v85
	s_delay_alu instid0(VALU_DEP_1) | instskip(NEXT) | instid1(VALU_DEP_1)
	v_div_fmas_f32 v76, v76, v83, v84
	v_div_fixup_f32 v77, v76, v77, 1.0
	s_delay_alu instid0(VALU_DEP_1)
	v_mul_f32_e32 v76, v75, v77
	v_xor_b32_e32 v77, 0x80000000, v77
.LBB66_133:
	s_and_not1_saveexec_b32 s1, s1
	s_cbranch_execz .LBB66_135
; %bb.134:
	s_delay_alu instid0(VALU_DEP_1) | instskip(SKIP_1) | instid1(VALU_DEP_2)
	v_div_scale_f32 v75, null, v76, v76, v77
	v_div_scale_f32 v85, vcc_lo, v77, v76, v77
	v_rcp_f32_e32 v83, v75
	v_nop
	s_delay_alu instid0(TRANS32_DEP_1) | instskip(NEXT) | instid1(VALU_DEP_1)
	v_fma_f32 v84, -v75, v83, 1.0
	v_fmac_f32_e32 v83, v84, v83
	s_delay_alu instid0(VALU_DEP_1) | instskip(NEXT) | instid1(VALU_DEP_1)
	v_mul_f32_e32 v84, v85, v83
	v_fma_f32 v86, -v75, v84, v85
	s_delay_alu instid0(VALU_DEP_1) | instskip(NEXT) | instid1(VALU_DEP_1)
	v_fmac_f32_e32 v84, v86, v83
	v_fma_f32 v75, -v75, v84, v85
	s_delay_alu instid0(VALU_DEP_1) | instskip(NEXT) | instid1(VALU_DEP_1)
	v_div_fmas_f32 v75, v75, v83, v84
	v_div_fixup_f32 v75, v75, v76, v77
	s_delay_alu instid0(VALU_DEP_1) | instskip(NEXT) | instid1(VALU_DEP_1)
	v_fmac_f32_e32 v76, v77, v75
	v_div_scale_f32 v77, null, v76, v76, 1.0
	s_delay_alu instid0(VALU_DEP_1) | instskip(SKIP_1) | instid1(TRANS32_DEP_1)
	v_rcp_f32_e32 v83, v77
	v_nop
	v_fma_f32 v84, -v77, v83, 1.0
	s_delay_alu instid0(VALU_DEP_1) | instskip(SKIP_1) | instid1(VALU_DEP_1)
	v_fmac_f32_e32 v83, v84, v83
	v_div_scale_f32 v84, vcc_lo, 1.0, v76, 1.0
	v_mul_f32_e32 v85, v84, v83
	s_delay_alu instid0(VALU_DEP_1) | instskip(NEXT) | instid1(VALU_DEP_1)
	v_fma_f32 v86, -v77, v85, v84
	v_fmac_f32_e32 v85, v86, v83
	s_delay_alu instid0(VALU_DEP_1) | instskip(NEXT) | instid1(VALU_DEP_1)
	v_fma_f32 v77, -v77, v85, v84
	v_div_fmas_f32 v77, v77, v83, v85
	s_delay_alu instid0(VALU_DEP_1) | instskip(NEXT) | instid1(VALU_DEP_1)
	v_div_fixup_f32 v76, v77, v76, 1.0
	v_mul_f32_e64 v77, v75, -v76
.LBB66_135:
	s_or_b32 exec_lo, exec_lo, s1
.LBB66_136:
	s_delay_alu instid0(SALU_CYCLE_1) | instskip(NEXT) | instid1(SALU_CYCLE_1)
	s_or_b32 exec_lo, exec_lo, s0
	s_mov_b32 s0, exec_lo
	v_cmpx_ne_u32_e64 v82, v74
	s_xor_b32 s0, exec_lo, s0
	s_cbranch_execz .LBB66_142
; %bb.137:
	s_mov_b32 s1, exec_lo
	v_cmpx_eq_u32_e32 6, v82
	s_cbranch_execz .LBB66_141
; %bb.138:
	v_cmp_ne_u32_e32 vcc_lo, 6, v74
	s_xor_b32 s12, s16, -1
	s_delay_alu instid0(SALU_CYCLE_1) | instskip(NEXT) | instid1(SALU_CYCLE_1)
	s_and_b32 s13, s12, vcc_lo
	s_and_saveexec_b32 s12, s13
	s_cbranch_execz .LBB66_140
; %bb.139:
	v_ashrrev_i32_e32 v75, 31, v74
	s_delay_alu instid0(VALU_DEP_1)
	v_lshl_add_u64 v[82:83], v[74:75], 2, v[4:5]
	s_clause 0x1
	global_load_b32 v75, v[82:83], off
	global_load_b32 v81, v[4:5], off offset:24
	s_wait_loadcnt 0x1
	global_store_b32 v[4:5], v75, off offset:24
	s_wait_loadcnt 0x0
	global_store_b32 v[82:83], v81, off
.LBB66_140:
	s_wait_xcnt 0x0
	s_or_b32 exec_lo, exec_lo, s12
	v_dual_mov_b32 v82, v74 :: v_dual_mov_b32 v81, v74
.LBB66_141:
	s_or_b32 exec_lo, exec_lo, s1
.LBB66_142:
	s_and_not1_saveexec_b32 s0, s0
	s_cbranch_execz .LBB66_144
; %bb.143:
	v_mov_b32_e32 v82, 6
	ds_store_2addr_b64 v78, v[6:7], v[54:55] offset0:7 offset1:8
	ds_store_2addr_b64 v78, v[16:17], v[18:19] offset0:9 offset1:10
	;; [unrolled: 1-line block ×13, first 2 shown]
	ds_store_b64 v78, v[72:73] offset:264
.LBB66_144:
	s_or_b32 exec_lo, exec_lo, s0
	s_delay_alu instid0(SALU_CYCLE_1)
	s_mov_b32 s0, exec_lo
	s_wait_storecnt_dscnt 0x0
	s_barrier_signal -1
	s_barrier_wait -1
	v_cmpx_lt_i32_e32 6, v82
	s_cbranch_execz .LBB66_146
; %bb.145:
	v_pk_mul_f32 v[84:85], v[76:77], v[10:11] op_sel:[1,1] op_sel_hi:[0,1]
	s_delay_alu instid0(VALU_DEP_1)
	v_pk_fma_f32 v[74:75], v[76:77], v[10:11], v[84:85] op_sel_hi:[1,0,1] neg_lo:[0,0,1] neg_hi:[0,0,1]
	v_pk_fma_f32 v[76:77], v[76:77], v[10:11], v[84:85] op_sel_hi:[1,0,1]
	ds_load_2addr_b64 v[84:87], v78 offset0:7 offset1:8
	v_dual_mov_b32 v10, v74 :: v_dual_mov_b32 v11, v77
	s_wait_dscnt 0x0
	v_pk_mul_f32 v[88:89], v[84:85], v[76:77] op_sel:[0,1]
	s_delay_alu instid0(VALU_DEP_1) | instskip(SKIP_1) | instid1(VALU_DEP_1)
	v_pk_fma_f32 v[90:91], v[84:85], v[74:75], v[88:89] op_sel:[0,0,1] op_sel_hi:[1,1,0] neg_lo:[0,0,1] neg_hi:[0,0,1]
	v_pk_fma_f32 v[84:85], v[84:85], v[74:75], v[88:89] op_sel:[0,0,1] op_sel_hi:[1,0,0]
	v_mov_b32_e32 v91, v85
	v_pk_mul_f32 v[84:85], v[86:87], v[76:77] op_sel:[0,1]
	s_delay_alu instid0(VALU_DEP_1) | instskip(SKIP_1) | instid1(VALU_DEP_1)
	v_pk_fma_f32 v[88:89], v[86:87], v[74:75], v[84:85] op_sel:[0,0,1] op_sel_hi:[1,1,0] neg_lo:[0,0,1] neg_hi:[0,0,1]
	v_pk_fma_f32 v[84:85], v[86:87], v[74:75], v[84:85] op_sel:[0,0,1] op_sel_hi:[1,0,0]
	v_mov_b32_e32 v89, v85
	ds_load_2addr_b64 v[84:87], v78 offset0:9 offset1:10
	v_pk_add_f32 v[6:7], v[6:7], v[90:91] neg_lo:[0,1] neg_hi:[0,1]
	v_pk_add_f32 v[54:55], v[54:55], v[88:89] neg_lo:[0,1] neg_hi:[0,1]
	s_wait_dscnt 0x0
	v_pk_mul_f32 v[88:89], v[84:85], v[76:77] op_sel:[0,1]
	s_delay_alu instid0(VALU_DEP_1) | instskip(SKIP_2) | instid1(VALU_DEP_2)
	v_pk_fma_f32 v[90:91], v[84:85], v[74:75], v[88:89] op_sel:[0,0,1] op_sel_hi:[1,1,0] neg_lo:[0,0,1] neg_hi:[0,0,1]
	v_pk_fma_f32 v[84:85], v[84:85], v[74:75], v[88:89] op_sel:[0,0,1] op_sel_hi:[1,0,0]
	v_dual_mul_f32 v88, v87, v77 :: v_dual_mov_b32 v84, v87
	v_dual_mov_b32 v91, v85 :: v_dual_mov_b32 v85, v86
	s_delay_alu instid0(VALU_DEP_2) | instskip(SKIP_1) | instid1(VALU_DEP_3)
	v_pk_fma_f32 v[88:89], v[86:87], v[10:11], v[88:89] op_sel_hi:[1,1,0] neg_lo:[0,0,1] neg_hi:[0,0,1]
	v_mul_f32_e32 v86, v87, v74
	v_pk_add_f32 v[16:17], v[16:17], v[90:91] neg_lo:[0,1] neg_hi:[0,1]
	s_delay_alu instid0(VALU_DEP_2) | instskip(NEXT) | instid1(VALU_DEP_1)
	v_pk_fma_f32 v[84:85], v[84:85], v[10:11], v[86:87] op_sel_hi:[1,1,0]
	v_mov_b32_e32 v89, v85
	ds_load_2addr_b64 v[84:87], v78 offset0:11 offset1:12
	v_pk_add_f32 v[18:19], v[18:19], v[88:89] neg_lo:[0,1] neg_hi:[0,1]
	s_wait_dscnt 0x0
	v_pk_mul_f32 v[88:89], v[84:85], v[76:77] op_sel:[0,1]
	s_delay_alu instid0(VALU_DEP_1) | instskip(SKIP_1) | instid1(VALU_DEP_1)
	v_pk_fma_f32 v[90:91], v[84:85], v[74:75], v[88:89] op_sel:[0,0,1] op_sel_hi:[1,1,0] neg_lo:[0,0,1] neg_hi:[0,0,1]
	v_pk_fma_f32 v[84:85], v[84:85], v[74:75], v[88:89] op_sel:[0,0,1] op_sel_hi:[1,0,0]
	v_mov_b32_e32 v91, v85
	v_pk_mul_f32 v[84:85], v[86:87], v[76:77] op_sel:[0,1]
	s_delay_alu instid0(VALU_DEP_1) | instskip(SKIP_1) | instid1(VALU_DEP_1)
	v_pk_fma_f32 v[88:89], v[86:87], v[74:75], v[84:85] op_sel:[0,0,1] op_sel_hi:[1,1,0] neg_lo:[0,0,1] neg_hi:[0,0,1]
	v_pk_fma_f32 v[84:85], v[86:87], v[74:75], v[84:85] op_sel:[0,0,1] op_sel_hi:[1,0,0]
	v_mov_b32_e32 v89, v85
	ds_load_2addr_b64 v[84:87], v78 offset0:13 offset1:14
	v_pk_add_f32 v[14:15], v[14:15], v[90:91] neg_lo:[0,1] neg_hi:[0,1]
	v_pk_add_f32 v[58:59], v[58:59], v[88:89] neg_lo:[0,1] neg_hi:[0,1]
	s_wait_dscnt 0x0
	v_pk_mul_f32 v[88:89], v[84:85], v[76:77] op_sel:[0,1]
	s_delay_alu instid0(VALU_DEP_1) | instskip(SKIP_1) | instid1(VALU_DEP_1)
	v_pk_fma_f32 v[90:91], v[84:85], v[74:75], v[88:89] op_sel:[0,0,1] op_sel_hi:[1,1,0] neg_lo:[0,0,1] neg_hi:[0,0,1]
	v_pk_fma_f32 v[84:85], v[84:85], v[74:75], v[88:89] op_sel:[0,0,1] op_sel_hi:[1,0,0]
	v_mov_b32_e32 v91, v85
	v_pk_mul_f32 v[84:85], v[86:87], v[76:77] op_sel:[0,1]
	s_delay_alu instid0(VALU_DEP_1) | instskip(SKIP_1) | instid1(VALU_DEP_1)
	v_pk_fma_f32 v[88:89], v[86:87], v[74:75], v[84:85] op_sel:[0,0,1] op_sel_hi:[1,1,0] neg_lo:[0,0,1] neg_hi:[0,0,1]
	v_pk_fma_f32 v[84:85], v[86:87], v[74:75], v[84:85] op_sel:[0,0,1] op_sel_hi:[1,0,0]
	v_mov_b32_e32 v89, v85
	ds_load_2addr_b64 v[84:87], v78 offset0:15 offset1:16
	v_pk_add_f32 v[26:27], v[26:27], v[90:91] neg_lo:[0,1] neg_hi:[0,1]
	v_pk_add_f32 v[30:31], v[30:31], v[88:89] neg_lo:[0,1] neg_hi:[0,1]
	s_wait_dscnt 0x0
	v_dual_mul_f32 v88, v85, v77 :: v_dual_mul_f32 v90, v85, v74
	s_delay_alu instid0(VALU_DEP_1) | instskip(NEXT) | instid1(VALU_DEP_2)
	v_pk_fma_f32 v[88:89], v[84:85], v[10:11], v[88:89] op_sel_hi:[1,1,0] neg_lo:[0,0,1] neg_hi:[0,0,1]
	v_pk_fma_f32 v[84:85], v[84:85], v[10:11], v[90:91] op_sel:[1,0,0] op_sel_hi:[0,1,0]
	s_delay_alu instid0(VALU_DEP_1) | instskip(SKIP_1) | instid1(VALU_DEP_2)
	v_mov_b32_e32 v89, v85
	v_pk_mul_f32 v[84:85], v[86:87], v[76:77] op_sel:[0,1]
	v_pk_add_f32 v[24:25], v[24:25], v[88:89] neg_lo:[0,1] neg_hi:[0,1]
	s_delay_alu instid0(VALU_DEP_2) | instskip(SKIP_1) | instid1(VALU_DEP_1)
	v_pk_fma_f32 v[88:89], v[86:87], v[74:75], v[84:85] op_sel:[0,0,1] op_sel_hi:[1,1,0] neg_lo:[0,0,1] neg_hi:[0,0,1]
	v_pk_fma_f32 v[84:85], v[86:87], v[74:75], v[84:85] op_sel:[0,0,1] op_sel_hi:[1,0,0]
	v_mov_b32_e32 v89, v85
	ds_load_2addr_b64 v[84:87], v78 offset0:17 offset1:18
	v_pk_add_f32 v[62:63], v[62:63], v[88:89] neg_lo:[0,1] neg_hi:[0,1]
	s_wait_dscnt 0x0
	v_pk_mul_f32 v[88:89], v[84:85], v[76:77] op_sel:[0,1]
	s_delay_alu instid0(VALU_DEP_1) | instskip(SKIP_1) | instid1(VALU_DEP_1)
	v_pk_fma_f32 v[90:91], v[84:85], v[74:75], v[88:89] op_sel:[0,0,1] op_sel_hi:[1,1,0] neg_lo:[0,0,1] neg_hi:[0,0,1]
	v_pk_fma_f32 v[84:85], v[84:85], v[74:75], v[88:89] op_sel:[0,0,1] op_sel_hi:[1,0,0]
	v_mov_b32_e32 v91, v85
	v_pk_mul_f32 v[84:85], v[86:87], v[76:77] op_sel:[0,1]
	s_delay_alu instid0(VALU_DEP_2) | instskip(NEXT) | instid1(VALU_DEP_2)
	v_pk_add_f32 v[42:43], v[42:43], v[90:91] neg_lo:[0,1] neg_hi:[0,1]
	v_pk_fma_f32 v[88:89], v[86:87], v[74:75], v[84:85] op_sel:[0,0,1] op_sel_hi:[1,1,0] neg_lo:[0,0,1] neg_hi:[0,0,1]
	v_pk_fma_f32 v[84:85], v[86:87], v[74:75], v[84:85] op_sel:[0,0,1] op_sel_hi:[1,0,0]
	s_delay_alu instid0(VALU_DEP_1) | instskip(SKIP_4) | instid1(VALU_DEP_1)
	v_mov_b32_e32 v89, v85
	ds_load_2addr_b64 v[84:87], v78 offset0:19 offset1:20
	v_pk_add_f32 v[44:45], v[44:45], v[88:89] neg_lo:[0,1] neg_hi:[0,1]
	s_wait_dscnt 0x0
	v_pk_mul_f32 v[88:89], v[84:85], v[76:77] op_sel:[0,1]
	v_pk_fma_f32 v[90:91], v[84:85], v[74:75], v[88:89] op_sel:[0,0,1] op_sel_hi:[1,1,0] neg_lo:[0,0,1] neg_hi:[0,0,1]
	v_pk_fma_f32 v[84:85], v[84:85], v[74:75], v[88:89] op_sel:[0,0,1] op_sel_hi:[1,0,0]
	v_dual_mul_f32 v88, v87, v77 :: v_dual_mov_b32 v84, v87
	s_delay_alu instid0(VALU_DEP_2) | instskip(NEXT) | instid1(VALU_DEP_2)
	v_dual_mov_b32 v91, v85 :: v_dual_mov_b32 v85, v86
	v_pk_fma_f32 v[88:89], v[86:87], v[10:11], v[88:89] op_sel_hi:[1,1,0] neg_lo:[0,0,1] neg_hi:[0,0,1]
	v_mul_f32_e32 v86, v87, v74
	s_delay_alu instid0(VALU_DEP_3) | instskip(NEXT) | instid1(VALU_DEP_2)
	v_pk_add_f32 v[40:41], v[40:41], v[90:91] neg_lo:[0,1] neg_hi:[0,1]
	v_pk_fma_f32 v[84:85], v[84:85], v[10:11], v[86:87] op_sel_hi:[1,1,0]
	s_delay_alu instid0(VALU_DEP_1) | instskip(SKIP_4) | instid1(VALU_DEP_1)
	v_mov_b32_e32 v89, v85
	ds_load_2addr_b64 v[84:87], v78 offset0:21 offset1:22
	v_pk_add_f32 v[60:61], v[60:61], v[88:89] neg_lo:[0,1] neg_hi:[0,1]
	s_wait_dscnt 0x0
	v_pk_mul_f32 v[88:89], v[84:85], v[76:77] op_sel:[0,1]
	v_pk_fma_f32 v[90:91], v[84:85], v[74:75], v[88:89] op_sel:[0,0,1] op_sel_hi:[1,1,0] neg_lo:[0,0,1] neg_hi:[0,0,1]
	v_pk_fma_f32 v[84:85], v[84:85], v[74:75], v[88:89] op_sel:[0,0,1] op_sel_hi:[1,0,0]
	s_delay_alu instid0(VALU_DEP_1) | instskip(SKIP_1) | instid1(VALU_DEP_1)
	v_mov_b32_e32 v91, v85
	v_pk_mul_f32 v[84:85], v[86:87], v[76:77] op_sel:[0,1]
	v_pk_fma_f32 v[88:89], v[86:87], v[74:75], v[84:85] op_sel:[0,0,1] op_sel_hi:[1,1,0] neg_lo:[0,0,1] neg_hi:[0,0,1]
	v_pk_fma_f32 v[84:85], v[86:87], v[74:75], v[84:85] op_sel:[0,0,1] op_sel_hi:[1,0,0]
	s_delay_alu instid0(VALU_DEP_1)
	v_mov_b32_e32 v89, v85
	ds_load_2addr_b64 v[84:87], v78 offset0:23 offset1:24
	v_pk_add_f32 v[36:37], v[36:37], v[90:91] neg_lo:[0,1] neg_hi:[0,1]
	v_pk_add_f32 v[38:39], v[38:39], v[88:89] neg_lo:[0,1] neg_hi:[0,1]
	s_wait_dscnt 0x0
	v_pk_mul_f32 v[88:89], v[84:85], v[76:77] op_sel:[0,1]
	s_delay_alu instid0(VALU_DEP_1) | instskip(SKIP_1) | instid1(VALU_DEP_1)
	v_pk_fma_f32 v[90:91], v[84:85], v[74:75], v[88:89] op_sel:[0,0,1] op_sel_hi:[1,1,0] neg_lo:[0,0,1] neg_hi:[0,0,1]
	v_pk_fma_f32 v[84:85], v[84:85], v[74:75], v[88:89] op_sel:[0,0,1] op_sel_hi:[1,0,0]
	v_mov_b32_e32 v91, v85
	v_pk_mul_f32 v[84:85], v[86:87], v[76:77] op_sel:[0,1]
	s_delay_alu instid0(VALU_DEP_1) | instskip(SKIP_1) | instid1(VALU_DEP_1)
	v_pk_fma_f32 v[88:89], v[86:87], v[74:75], v[84:85] op_sel:[0,0,1] op_sel_hi:[1,1,0] neg_lo:[0,0,1] neg_hi:[0,0,1]
	v_pk_fma_f32 v[84:85], v[86:87], v[74:75], v[84:85] op_sel:[0,0,1] op_sel_hi:[1,0,0]
	v_mov_b32_e32 v89, v85
	ds_load_2addr_b64 v[84:87], v78 offset0:25 offset1:26
	v_pk_add_f32 v[34:35], v[34:35], v[90:91] neg_lo:[0,1] neg_hi:[0,1]
	v_pk_add_f32 v[56:57], v[56:57], v[88:89] neg_lo:[0,1] neg_hi:[0,1]
	s_wait_dscnt 0x0
	v_dual_mul_f32 v88, v85, v77 :: v_dual_mul_f32 v90, v85, v74
	s_delay_alu instid0(VALU_DEP_1) | instskip(NEXT) | instid1(VALU_DEP_2)
	v_pk_fma_f32 v[88:89], v[84:85], v[10:11], v[88:89] op_sel_hi:[1,1,0] neg_lo:[0,0,1] neg_hi:[0,0,1]
	v_pk_fma_f32 v[84:85], v[84:85], v[10:11], v[90:91] op_sel:[1,0,0] op_sel_hi:[0,1,0]
	s_delay_alu instid0(VALU_DEP_1) | instskip(SKIP_1) | instid1(VALU_DEP_2)
	v_mov_b32_e32 v89, v85
	v_pk_mul_f32 v[84:85], v[86:87], v[76:77] op_sel:[0,1]
	v_pk_add_f32 v[22:23], v[22:23], v[88:89] neg_lo:[0,1] neg_hi:[0,1]
	s_delay_alu instid0(VALU_DEP_2) | instskip(SKIP_1) | instid1(VALU_DEP_1)
	v_pk_fma_f32 v[88:89], v[86:87], v[74:75], v[84:85] op_sel:[0,0,1] op_sel_hi:[1,1,0] neg_lo:[0,0,1] neg_hi:[0,0,1]
	v_pk_fma_f32 v[84:85], v[86:87], v[74:75], v[84:85] op_sel:[0,0,1] op_sel_hi:[1,0,0]
	v_mov_b32_e32 v89, v85
	ds_load_2addr_b64 v[84:87], v78 offset0:27 offset1:28
	v_pk_add_f32 v[28:29], v[28:29], v[88:89] neg_lo:[0,1] neg_hi:[0,1]
	s_wait_dscnt 0x0
	v_pk_mul_f32 v[88:89], v[84:85], v[76:77] op_sel:[0,1]
	s_delay_alu instid0(VALU_DEP_1) | instskip(SKIP_1) | instid1(VALU_DEP_1)
	v_pk_fma_f32 v[90:91], v[84:85], v[74:75], v[88:89] op_sel:[0,0,1] op_sel_hi:[1,1,0] neg_lo:[0,0,1] neg_hi:[0,0,1]
	v_pk_fma_f32 v[84:85], v[84:85], v[74:75], v[88:89] op_sel:[0,0,1] op_sel_hi:[1,0,0]
	v_mov_b32_e32 v91, v85
	v_pk_mul_f32 v[84:85], v[86:87], v[76:77] op_sel:[0,1]
	s_delay_alu instid0(VALU_DEP_2) | instskip(NEXT) | instid1(VALU_DEP_2)
	v_pk_add_f32 v[20:21], v[20:21], v[90:91] neg_lo:[0,1] neg_hi:[0,1]
	v_pk_fma_f32 v[88:89], v[86:87], v[74:75], v[84:85] op_sel:[0,0,1] op_sel_hi:[1,1,0] neg_lo:[0,0,1] neg_hi:[0,0,1]
	v_pk_fma_f32 v[84:85], v[86:87], v[74:75], v[84:85] op_sel:[0,0,1] op_sel_hi:[1,0,0]
	s_delay_alu instid0(VALU_DEP_1) | instskip(SKIP_4) | instid1(VALU_DEP_1)
	v_mov_b32_e32 v89, v85
	ds_load_2addr_b64 v[84:87], v78 offset0:29 offset1:30
	v_pk_add_f32 v[50:51], v[50:51], v[88:89] neg_lo:[0,1] neg_hi:[0,1]
	s_wait_dscnt 0x0
	v_pk_mul_f32 v[88:89], v[84:85], v[76:77] op_sel:[0,1]
	v_pk_fma_f32 v[90:91], v[84:85], v[74:75], v[88:89] op_sel:[0,0,1] op_sel_hi:[1,1,0] neg_lo:[0,0,1] neg_hi:[0,0,1]
	v_pk_fma_f32 v[84:85], v[84:85], v[74:75], v[88:89] op_sel:[0,0,1] op_sel_hi:[1,0,0]
	v_dual_mul_f32 v88, v87, v77 :: v_dual_mov_b32 v84, v87
	s_delay_alu instid0(VALU_DEP_2) | instskip(NEXT) | instid1(VALU_DEP_2)
	v_dual_mov_b32 v91, v85 :: v_dual_mov_b32 v85, v86
	v_pk_fma_f32 v[88:89], v[86:87], v[10:11], v[88:89] op_sel_hi:[1,1,0] neg_lo:[0,0,1] neg_hi:[0,0,1]
	v_mul_f32_e32 v86, v87, v74
	s_delay_alu instid0(VALU_DEP_3) | instskip(NEXT) | instid1(VALU_DEP_2)
	v_pk_add_f32 v[12:13], v[12:13], v[90:91] neg_lo:[0,1] neg_hi:[0,1]
	v_pk_fma_f32 v[84:85], v[84:85], v[10:11], v[86:87] op_sel_hi:[1,1,0]
	s_delay_alu instid0(VALU_DEP_1) | instskip(SKIP_4) | instid1(VALU_DEP_1)
	v_mov_b32_e32 v89, v85
	ds_load_2addr_b64 v[84:87], v78 offset0:31 offset1:32
	v_pk_add_f32 v[48:49], v[48:49], v[88:89] neg_lo:[0,1] neg_hi:[0,1]
	s_wait_dscnt 0x0
	v_pk_mul_f32 v[88:89], v[84:85], v[76:77] op_sel:[0,1]
	v_pk_fma_f32 v[90:91], v[84:85], v[74:75], v[88:89] op_sel:[0,0,1] op_sel_hi:[1,1,0] neg_lo:[0,0,1] neg_hi:[0,0,1]
	v_pk_fma_f32 v[84:85], v[84:85], v[74:75], v[88:89] op_sel:[0,0,1] op_sel_hi:[1,0,0]
	s_delay_alu instid0(VALU_DEP_1) | instskip(SKIP_1) | instid1(VALU_DEP_1)
	v_mov_b32_e32 v91, v85
	v_pk_mul_f32 v[84:85], v[86:87], v[76:77] op_sel:[0,1]
	v_pk_fma_f32 v[88:89], v[86:87], v[74:75], v[84:85] op_sel:[0,0,1] op_sel_hi:[1,1,0] neg_lo:[0,0,1] neg_hi:[0,0,1]
	v_pk_fma_f32 v[84:85], v[86:87], v[74:75], v[84:85] op_sel:[0,0,1] op_sel_hi:[1,0,0]
	s_delay_alu instid0(VALU_DEP_1)
	v_mov_b32_e32 v89, v85
	ds_load_b64 v[84:85], v78 offset:264
	v_pk_add_f32 v[46:47], v[46:47], v[90:91] neg_lo:[0,1] neg_hi:[0,1]
	v_pk_add_f32 v[32:33], v[32:33], v[88:89] neg_lo:[0,1] neg_hi:[0,1]
	s_wait_dscnt 0x0
	v_pk_mul_f32 v[76:77], v[84:85], v[76:77] op_sel:[0,1]
	s_delay_alu instid0(VALU_DEP_1) | instskip(SKIP_1) | instid1(VALU_DEP_1)
	v_pk_fma_f32 v[86:87], v[84:85], v[74:75], v[76:77] op_sel:[0,0,1] op_sel_hi:[1,1,0] neg_lo:[0,0,1] neg_hi:[0,0,1]
	v_pk_fma_f32 v[74:75], v[84:85], v[74:75], v[76:77] op_sel:[0,0,1] op_sel_hi:[1,0,0]
	v_mov_b32_e32 v87, v75
	s_delay_alu instid0(VALU_DEP_1)
	v_pk_add_f32 v[72:73], v[72:73], v[86:87] neg_lo:[0,1] neg_hi:[0,1]
.LBB66_146:
	s_or_b32 exec_lo, exec_lo, s0
	v_lshl_add_u32 v74, v82, 3, v78
	s_barrier_signal -1
	s_barrier_wait -1
	ds_store_b64 v74, v[6:7]
	s_wait_dscnt 0x0
	s_barrier_signal -1
	s_barrier_wait -1
	ds_load_b64 v[76:77], v78 offset:56
	v_mov_b32_e32 v74, 7
	s_cmp_lt_i32 s18, 9
	s_cbranch_scc1 .LBB66_149
; %bb.147:
	v_add3_u32 v75, v79, 0, 64
	v_mov_b32_e32 v74, 7
	s_mov_b32 s0, 8
.LBB66_148:                             ; =>This Inner Loop Header: Depth=1
	ds_load_b64 v[84:85], v75
	s_wait_dscnt 0x1
	v_cmp_gt_f32_e32 vcc_lo, 0, v76
	v_cndmask_b32_e64 v86, v76, -v76, vcc_lo
	v_cmp_gt_f32_e32 vcc_lo, 0, v77
	v_cndmask_b32_e64 v88, v77, -v77, vcc_lo
	s_wait_dscnt 0x0
	v_cmp_gt_f32_e32 vcc_lo, 0, v84
	v_cndmask_b32_e64 v87, v84, -v84, vcc_lo
	v_cmp_gt_f32_e32 vcc_lo, 0, v85
	v_cndmask_b32_e64 v89, v85, -v85, vcc_lo
	s_delay_alu instid0(VALU_DEP_1) | instskip(NEXT) | instid1(VALU_DEP_1)
	v_pk_add_f32 v[86:87], v[86:87], v[88:89]
	v_cmp_lt_f32_e32 vcc_lo, v86, v87
	v_dual_add_nc_u32 v75, 8, v75 :: v_dual_cndmask_b32 v77, v77, v85, vcc_lo
	v_cndmask_b32_e32 v76, v76, v84, vcc_lo
	v_cndmask_b32_e64 v74, v74, s0, vcc_lo
	s_add_co_i32 s0, s0, 1
	s_delay_alu instid0(SALU_CYCLE_1)
	s_cmp_lg_u32 s18, s0
	s_cbranch_scc1 .LBB66_148
.LBB66_149:
	s_wait_dscnt 0x0
	v_cmp_eq_f32_e32 vcc_lo, 0, v76
	v_cmp_eq_f32_e64 s0, 0, v77
	s_and_b32 s0, vcc_lo, s0
	s_delay_alu instid0(SALU_CYCLE_1) | instskip(NEXT) | instid1(SALU_CYCLE_1)
	s_and_saveexec_b32 s1, s0
	s_xor_b32 s0, exec_lo, s1
; %bb.150:
	v_cmp_ne_u32_e32 vcc_lo, 0, v80
	v_cndmask_b32_e32 v80, 8, v80, vcc_lo
; %bb.151:
	s_and_not1_saveexec_b32 s0, s0
	s_cbranch_execz .LBB66_157
; %bb.152:
	v_cmp_ngt_f32_e64 s1, |v76|, |v77|
	s_and_saveexec_b32 s12, s1
	s_delay_alu instid0(SALU_CYCLE_1)
	s_xor_b32 s1, exec_lo, s12
	s_cbranch_execz .LBB66_154
; %bb.153:
	v_div_scale_f32 v75, null, v77, v77, v76
	v_div_scale_f32 v85, vcc_lo, v76, v77, v76
	s_delay_alu instid0(VALU_DEP_2) | instskip(SKIP_1) | instid1(TRANS32_DEP_1)
	v_rcp_f32_e32 v83, v75
	v_nop
	v_fma_f32 v84, -v75, v83, 1.0
	s_delay_alu instid0(VALU_DEP_1) | instskip(NEXT) | instid1(VALU_DEP_1)
	v_fmac_f32_e32 v83, v84, v83
	v_mul_f32_e32 v84, v85, v83
	s_delay_alu instid0(VALU_DEP_1) | instskip(NEXT) | instid1(VALU_DEP_1)
	v_fma_f32 v86, -v75, v84, v85
	v_fmac_f32_e32 v84, v86, v83
	s_delay_alu instid0(VALU_DEP_1) | instskip(NEXT) | instid1(VALU_DEP_1)
	v_fma_f32 v75, -v75, v84, v85
	v_div_fmas_f32 v75, v75, v83, v84
	s_delay_alu instid0(VALU_DEP_1) | instskip(NEXT) | instid1(VALU_DEP_1)
	v_div_fixup_f32 v75, v75, v77, v76
	v_fmac_f32_e32 v77, v76, v75
	s_delay_alu instid0(VALU_DEP_1) | instskip(SKIP_1) | instid1(VALU_DEP_2)
	v_div_scale_f32 v76, null, v77, v77, 1.0
	v_div_scale_f32 v85, vcc_lo, 1.0, v77, 1.0
	v_rcp_f32_e32 v83, v76
	v_nop
	s_delay_alu instid0(TRANS32_DEP_1) | instskip(NEXT) | instid1(VALU_DEP_1)
	v_fma_f32 v84, -v76, v83, 1.0
	v_fmac_f32_e32 v83, v84, v83
	s_delay_alu instid0(VALU_DEP_1) | instskip(NEXT) | instid1(VALU_DEP_1)
	v_mul_f32_e32 v84, v85, v83
	v_fma_f32 v86, -v76, v84, v85
	s_delay_alu instid0(VALU_DEP_1) | instskip(NEXT) | instid1(VALU_DEP_1)
	v_fmac_f32_e32 v84, v86, v83
	v_fma_f32 v76, -v76, v84, v85
	s_delay_alu instid0(VALU_DEP_1) | instskip(NEXT) | instid1(VALU_DEP_1)
	v_div_fmas_f32 v76, v76, v83, v84
	v_div_fixup_f32 v77, v76, v77, 1.0
	s_delay_alu instid0(VALU_DEP_1)
	v_mul_f32_e32 v76, v75, v77
	v_xor_b32_e32 v77, 0x80000000, v77
.LBB66_154:
	s_and_not1_saveexec_b32 s1, s1
	s_cbranch_execz .LBB66_156
; %bb.155:
	s_delay_alu instid0(VALU_DEP_1) | instskip(SKIP_1) | instid1(VALU_DEP_2)
	v_div_scale_f32 v75, null, v76, v76, v77
	v_div_scale_f32 v85, vcc_lo, v77, v76, v77
	v_rcp_f32_e32 v83, v75
	v_nop
	s_delay_alu instid0(TRANS32_DEP_1) | instskip(NEXT) | instid1(VALU_DEP_1)
	v_fma_f32 v84, -v75, v83, 1.0
	v_fmac_f32_e32 v83, v84, v83
	s_delay_alu instid0(VALU_DEP_1) | instskip(NEXT) | instid1(VALU_DEP_1)
	v_mul_f32_e32 v84, v85, v83
	v_fma_f32 v86, -v75, v84, v85
	s_delay_alu instid0(VALU_DEP_1) | instskip(NEXT) | instid1(VALU_DEP_1)
	v_fmac_f32_e32 v84, v86, v83
	v_fma_f32 v75, -v75, v84, v85
	s_delay_alu instid0(VALU_DEP_1) | instskip(NEXT) | instid1(VALU_DEP_1)
	v_div_fmas_f32 v75, v75, v83, v84
	v_div_fixup_f32 v75, v75, v76, v77
	s_delay_alu instid0(VALU_DEP_1) | instskip(NEXT) | instid1(VALU_DEP_1)
	v_fmac_f32_e32 v76, v77, v75
	v_div_scale_f32 v77, null, v76, v76, 1.0
	s_delay_alu instid0(VALU_DEP_1) | instskip(SKIP_1) | instid1(TRANS32_DEP_1)
	v_rcp_f32_e32 v83, v77
	v_nop
	v_fma_f32 v84, -v77, v83, 1.0
	s_delay_alu instid0(VALU_DEP_1) | instskip(SKIP_1) | instid1(VALU_DEP_1)
	v_fmac_f32_e32 v83, v84, v83
	v_div_scale_f32 v84, vcc_lo, 1.0, v76, 1.0
	v_mul_f32_e32 v85, v84, v83
	s_delay_alu instid0(VALU_DEP_1) | instskip(NEXT) | instid1(VALU_DEP_1)
	v_fma_f32 v86, -v77, v85, v84
	v_fmac_f32_e32 v85, v86, v83
	s_delay_alu instid0(VALU_DEP_1) | instskip(NEXT) | instid1(VALU_DEP_1)
	v_fma_f32 v77, -v77, v85, v84
	v_div_fmas_f32 v77, v77, v83, v85
	s_delay_alu instid0(VALU_DEP_1) | instskip(NEXT) | instid1(VALU_DEP_1)
	v_div_fixup_f32 v76, v77, v76, 1.0
	v_mul_f32_e64 v77, v75, -v76
.LBB66_156:
	s_or_b32 exec_lo, exec_lo, s1
.LBB66_157:
	s_delay_alu instid0(SALU_CYCLE_1) | instskip(NEXT) | instid1(SALU_CYCLE_1)
	s_or_b32 exec_lo, exec_lo, s0
	s_mov_b32 s0, exec_lo
	v_cmpx_ne_u32_e64 v82, v74
	s_xor_b32 s0, exec_lo, s0
	s_cbranch_execz .LBB66_163
; %bb.158:
	s_mov_b32 s1, exec_lo
	v_cmpx_eq_u32_e32 7, v82
	s_cbranch_execz .LBB66_162
; %bb.159:
	v_cmp_ne_u32_e32 vcc_lo, 7, v74
	s_xor_b32 s12, s16, -1
	s_delay_alu instid0(SALU_CYCLE_1) | instskip(NEXT) | instid1(SALU_CYCLE_1)
	s_and_b32 s13, s12, vcc_lo
	s_and_saveexec_b32 s12, s13
	s_cbranch_execz .LBB66_161
; %bb.160:
	v_ashrrev_i32_e32 v75, 31, v74
	s_delay_alu instid0(VALU_DEP_1)
	v_lshl_add_u64 v[82:83], v[74:75], 2, v[4:5]
	s_clause 0x1
	global_load_b32 v75, v[82:83], off
	global_load_b32 v81, v[4:5], off offset:28
	s_wait_loadcnt 0x1
	global_store_b32 v[4:5], v75, off offset:28
	s_wait_loadcnt 0x0
	global_store_b32 v[82:83], v81, off
.LBB66_161:
	s_wait_xcnt 0x0
	s_or_b32 exec_lo, exec_lo, s12
	v_dual_mov_b32 v82, v74 :: v_dual_mov_b32 v81, v74
.LBB66_162:
	s_or_b32 exec_lo, exec_lo, s1
.LBB66_163:
	s_and_not1_saveexec_b32 s0, s0
	s_cbranch_execz .LBB66_165
; %bb.164:
	v_dual_mov_b32 v74, v54 :: v_dual_mov_b32 v75, v55
	v_dual_mov_b32 v82, v16 :: v_dual_mov_b32 v83, v17
	ds_store_2addr_b64 v78, v[74:75], v[82:83] offset0:8 offset1:9
	v_dual_mov_b32 v74, v18 :: v_dual_mov_b32 v75, v19
	v_dual_mov_b32 v82, v14 :: v_dual_mov_b32 v83, v15
	ds_store_2addr_b64 v78, v[74:75], v[82:83] offset0:10 offset1:11
	;; [unrolled: 3-line block ×12, first 2 shown]
	v_dual_mov_b32 v74, v32 :: v_dual_mov_b32 v75, v33
	v_mov_b32_e32 v82, 7
	ds_store_2addr_b64 v78, v[74:75], v[72:73] offset0:32 offset1:33
.LBB66_165:
	s_or_b32 exec_lo, exec_lo, s0
	s_delay_alu instid0(SALU_CYCLE_1)
	s_mov_b32 s0, exec_lo
	s_wait_storecnt_dscnt 0x0
	s_barrier_signal -1
	s_barrier_wait -1
	v_cmpx_lt_i32_e32 7, v82
	s_cbranch_execz .LBB66_167
; %bb.166:
	v_pk_mul_f32 v[84:85], v[76:77], v[6:7] op_sel:[1,1] op_sel_hi:[0,1]
	s_delay_alu instid0(VALU_DEP_1)
	v_pk_fma_f32 v[74:75], v[76:77], v[6:7], v[84:85] op_sel_hi:[1,0,1] neg_lo:[0,0,1] neg_hi:[0,0,1]
	v_pk_fma_f32 v[76:77], v[76:77], v[6:7], v[84:85] op_sel_hi:[1,0,1]
	ds_load_2addr_b64 v[84:87], v78 offset0:8 offset1:9
	v_dual_mov_b32 v6, v74 :: v_dual_mov_b32 v7, v77
	s_wait_dscnt 0x0
	v_pk_mul_f32 v[88:89], v[84:85], v[76:77] op_sel:[0,1]
	s_delay_alu instid0(VALU_DEP_1) | instskip(SKIP_1) | instid1(VALU_DEP_1)
	v_pk_fma_f32 v[90:91], v[84:85], v[74:75], v[88:89] op_sel:[0,0,1] op_sel_hi:[1,1,0] neg_lo:[0,0,1] neg_hi:[0,0,1]
	v_pk_fma_f32 v[84:85], v[84:85], v[74:75], v[88:89] op_sel:[0,0,1] op_sel_hi:[1,0,0]
	v_mov_b32_e32 v91, v85
	v_pk_mul_f32 v[84:85], v[86:87], v[76:77] op_sel:[0,1]
	s_delay_alu instid0(VALU_DEP_1) | instskip(SKIP_1) | instid1(VALU_DEP_1)
	v_pk_fma_f32 v[88:89], v[86:87], v[74:75], v[84:85] op_sel:[0,0,1] op_sel_hi:[1,1,0] neg_lo:[0,0,1] neg_hi:[0,0,1]
	v_pk_fma_f32 v[84:85], v[86:87], v[74:75], v[84:85] op_sel:[0,0,1] op_sel_hi:[1,0,0]
	v_mov_b32_e32 v89, v85
	ds_load_2addr_b64 v[84:87], v78 offset0:10 offset1:11
	v_pk_add_f32 v[54:55], v[54:55], v[90:91] neg_lo:[0,1] neg_hi:[0,1]
	v_pk_add_f32 v[16:17], v[16:17], v[88:89] neg_lo:[0,1] neg_hi:[0,1]
	s_wait_dscnt 0x0
	v_pk_mul_f32 v[88:89], v[84:85], v[76:77] op_sel:[0,1]
	s_delay_alu instid0(VALU_DEP_1) | instskip(SKIP_2) | instid1(VALU_DEP_2)
	v_pk_fma_f32 v[90:91], v[84:85], v[74:75], v[88:89] op_sel:[0,0,1] op_sel_hi:[1,1,0] neg_lo:[0,0,1] neg_hi:[0,0,1]
	v_pk_fma_f32 v[84:85], v[84:85], v[74:75], v[88:89] op_sel:[0,0,1] op_sel_hi:[1,0,0]
	v_dual_mul_f32 v88, v87, v77 :: v_dual_mov_b32 v84, v87
	v_dual_mov_b32 v91, v85 :: v_dual_mov_b32 v85, v86
	s_delay_alu instid0(VALU_DEP_2) | instskip(SKIP_1) | instid1(VALU_DEP_3)
	v_pk_fma_f32 v[88:89], v[86:87], v[6:7], v[88:89] op_sel_hi:[1,1,0] neg_lo:[0,0,1] neg_hi:[0,0,1]
	v_mul_f32_e32 v86, v87, v74
	v_pk_add_f32 v[18:19], v[18:19], v[90:91] neg_lo:[0,1] neg_hi:[0,1]
	s_delay_alu instid0(VALU_DEP_2) | instskip(NEXT) | instid1(VALU_DEP_1)
	v_pk_fma_f32 v[84:85], v[84:85], v[6:7], v[86:87] op_sel_hi:[1,1,0]
	v_mov_b32_e32 v89, v85
	ds_load_2addr_b64 v[84:87], v78 offset0:12 offset1:13
	v_pk_add_f32 v[14:15], v[14:15], v[88:89] neg_lo:[0,1] neg_hi:[0,1]
	s_wait_dscnt 0x0
	v_pk_mul_f32 v[88:89], v[84:85], v[76:77] op_sel:[0,1]
	s_delay_alu instid0(VALU_DEP_1) | instskip(SKIP_1) | instid1(VALU_DEP_1)
	v_pk_fma_f32 v[90:91], v[84:85], v[74:75], v[88:89] op_sel:[0,0,1] op_sel_hi:[1,1,0] neg_lo:[0,0,1] neg_hi:[0,0,1]
	v_pk_fma_f32 v[84:85], v[84:85], v[74:75], v[88:89] op_sel:[0,0,1] op_sel_hi:[1,0,0]
	v_mov_b32_e32 v91, v85
	v_pk_mul_f32 v[84:85], v[86:87], v[76:77] op_sel:[0,1]
	s_delay_alu instid0(VALU_DEP_1) | instskip(SKIP_1) | instid1(VALU_DEP_1)
	v_pk_fma_f32 v[88:89], v[86:87], v[74:75], v[84:85] op_sel:[0,0,1] op_sel_hi:[1,1,0] neg_lo:[0,0,1] neg_hi:[0,0,1]
	v_pk_fma_f32 v[84:85], v[86:87], v[74:75], v[84:85] op_sel:[0,0,1] op_sel_hi:[1,0,0]
	v_mov_b32_e32 v89, v85
	ds_load_2addr_b64 v[84:87], v78 offset0:14 offset1:15
	v_pk_add_f32 v[58:59], v[58:59], v[90:91] neg_lo:[0,1] neg_hi:[0,1]
	v_pk_add_f32 v[26:27], v[26:27], v[88:89] neg_lo:[0,1] neg_hi:[0,1]
	s_wait_dscnt 0x0
	v_pk_mul_f32 v[88:89], v[84:85], v[76:77] op_sel:[0,1]
	s_delay_alu instid0(VALU_DEP_1) | instskip(SKIP_1) | instid1(VALU_DEP_1)
	v_pk_fma_f32 v[90:91], v[84:85], v[74:75], v[88:89] op_sel:[0,0,1] op_sel_hi:[1,1,0] neg_lo:[0,0,1] neg_hi:[0,0,1]
	v_pk_fma_f32 v[84:85], v[84:85], v[74:75], v[88:89] op_sel:[0,0,1] op_sel_hi:[1,0,0]
	v_mov_b32_e32 v91, v85
	v_pk_mul_f32 v[84:85], v[86:87], v[76:77] op_sel:[0,1]
	s_delay_alu instid0(VALU_DEP_1) | instskip(SKIP_1) | instid1(VALU_DEP_1)
	v_pk_fma_f32 v[88:89], v[86:87], v[74:75], v[84:85] op_sel:[0,0,1] op_sel_hi:[1,1,0] neg_lo:[0,0,1] neg_hi:[0,0,1]
	v_pk_fma_f32 v[84:85], v[86:87], v[74:75], v[84:85] op_sel:[0,0,1] op_sel_hi:[1,0,0]
	v_mov_b32_e32 v89, v85
	ds_load_2addr_b64 v[84:87], v78 offset0:16 offset1:17
	v_pk_add_f32 v[30:31], v[30:31], v[90:91] neg_lo:[0,1] neg_hi:[0,1]
	v_pk_add_f32 v[24:25], v[24:25], v[88:89] neg_lo:[0,1] neg_hi:[0,1]
	s_wait_dscnt 0x0
	v_dual_mul_f32 v88, v85, v77 :: v_dual_mul_f32 v90, v85, v74
	s_delay_alu instid0(VALU_DEP_1) | instskip(NEXT) | instid1(VALU_DEP_2)
	v_pk_fma_f32 v[88:89], v[84:85], v[6:7], v[88:89] op_sel_hi:[1,1,0] neg_lo:[0,0,1] neg_hi:[0,0,1]
	v_pk_fma_f32 v[84:85], v[84:85], v[6:7], v[90:91] op_sel:[1,0,0] op_sel_hi:[0,1,0]
	s_delay_alu instid0(VALU_DEP_1) | instskip(SKIP_1) | instid1(VALU_DEP_2)
	v_mov_b32_e32 v89, v85
	v_pk_mul_f32 v[84:85], v[86:87], v[76:77] op_sel:[0,1]
	v_pk_add_f32 v[62:63], v[62:63], v[88:89] neg_lo:[0,1] neg_hi:[0,1]
	s_delay_alu instid0(VALU_DEP_2) | instskip(SKIP_1) | instid1(VALU_DEP_1)
	v_pk_fma_f32 v[88:89], v[86:87], v[74:75], v[84:85] op_sel:[0,0,1] op_sel_hi:[1,1,0] neg_lo:[0,0,1] neg_hi:[0,0,1]
	v_pk_fma_f32 v[84:85], v[86:87], v[74:75], v[84:85] op_sel:[0,0,1] op_sel_hi:[1,0,0]
	v_mov_b32_e32 v89, v85
	ds_load_2addr_b64 v[84:87], v78 offset0:18 offset1:19
	v_pk_add_f32 v[42:43], v[42:43], v[88:89] neg_lo:[0,1] neg_hi:[0,1]
	s_wait_dscnt 0x0
	v_pk_mul_f32 v[88:89], v[84:85], v[76:77] op_sel:[0,1]
	s_delay_alu instid0(VALU_DEP_1) | instskip(SKIP_1) | instid1(VALU_DEP_1)
	v_pk_fma_f32 v[90:91], v[84:85], v[74:75], v[88:89] op_sel:[0,0,1] op_sel_hi:[1,1,0] neg_lo:[0,0,1] neg_hi:[0,0,1]
	v_pk_fma_f32 v[84:85], v[84:85], v[74:75], v[88:89] op_sel:[0,0,1] op_sel_hi:[1,0,0]
	v_mov_b32_e32 v91, v85
	v_pk_mul_f32 v[84:85], v[86:87], v[76:77] op_sel:[0,1]
	s_delay_alu instid0(VALU_DEP_2) | instskip(NEXT) | instid1(VALU_DEP_2)
	v_pk_add_f32 v[44:45], v[44:45], v[90:91] neg_lo:[0,1] neg_hi:[0,1]
	v_pk_fma_f32 v[88:89], v[86:87], v[74:75], v[84:85] op_sel:[0,0,1] op_sel_hi:[1,1,0] neg_lo:[0,0,1] neg_hi:[0,0,1]
	v_pk_fma_f32 v[84:85], v[86:87], v[74:75], v[84:85] op_sel:[0,0,1] op_sel_hi:[1,0,0]
	s_delay_alu instid0(VALU_DEP_1) | instskip(SKIP_4) | instid1(VALU_DEP_1)
	v_mov_b32_e32 v89, v85
	ds_load_2addr_b64 v[84:87], v78 offset0:20 offset1:21
	v_pk_add_f32 v[40:41], v[40:41], v[88:89] neg_lo:[0,1] neg_hi:[0,1]
	s_wait_dscnt 0x0
	v_pk_mul_f32 v[88:89], v[84:85], v[76:77] op_sel:[0,1]
	v_pk_fma_f32 v[90:91], v[84:85], v[74:75], v[88:89] op_sel:[0,0,1] op_sel_hi:[1,1,0] neg_lo:[0,0,1] neg_hi:[0,0,1]
	v_pk_fma_f32 v[84:85], v[84:85], v[74:75], v[88:89] op_sel:[0,0,1] op_sel_hi:[1,0,0]
	v_dual_mul_f32 v88, v87, v77 :: v_dual_mov_b32 v84, v87
	s_delay_alu instid0(VALU_DEP_2) | instskip(NEXT) | instid1(VALU_DEP_2)
	v_dual_mov_b32 v91, v85 :: v_dual_mov_b32 v85, v86
	v_pk_fma_f32 v[88:89], v[86:87], v[6:7], v[88:89] op_sel_hi:[1,1,0] neg_lo:[0,0,1] neg_hi:[0,0,1]
	v_mul_f32_e32 v86, v87, v74
	s_delay_alu instid0(VALU_DEP_3) | instskip(NEXT) | instid1(VALU_DEP_2)
	v_pk_add_f32 v[60:61], v[60:61], v[90:91] neg_lo:[0,1] neg_hi:[0,1]
	v_pk_fma_f32 v[84:85], v[84:85], v[6:7], v[86:87] op_sel_hi:[1,1,0]
	s_delay_alu instid0(VALU_DEP_1) | instskip(SKIP_4) | instid1(VALU_DEP_1)
	v_mov_b32_e32 v89, v85
	ds_load_2addr_b64 v[84:87], v78 offset0:22 offset1:23
	v_pk_add_f32 v[36:37], v[36:37], v[88:89] neg_lo:[0,1] neg_hi:[0,1]
	s_wait_dscnt 0x0
	v_pk_mul_f32 v[88:89], v[84:85], v[76:77] op_sel:[0,1]
	v_pk_fma_f32 v[90:91], v[84:85], v[74:75], v[88:89] op_sel:[0,0,1] op_sel_hi:[1,1,0] neg_lo:[0,0,1] neg_hi:[0,0,1]
	v_pk_fma_f32 v[84:85], v[84:85], v[74:75], v[88:89] op_sel:[0,0,1] op_sel_hi:[1,0,0]
	s_delay_alu instid0(VALU_DEP_1) | instskip(SKIP_1) | instid1(VALU_DEP_1)
	v_mov_b32_e32 v91, v85
	v_pk_mul_f32 v[84:85], v[86:87], v[76:77] op_sel:[0,1]
	v_pk_fma_f32 v[88:89], v[86:87], v[74:75], v[84:85] op_sel:[0,0,1] op_sel_hi:[1,1,0] neg_lo:[0,0,1] neg_hi:[0,0,1]
	v_pk_fma_f32 v[84:85], v[86:87], v[74:75], v[84:85] op_sel:[0,0,1] op_sel_hi:[1,0,0]
	s_delay_alu instid0(VALU_DEP_1)
	v_mov_b32_e32 v89, v85
	ds_load_2addr_b64 v[84:87], v78 offset0:24 offset1:25
	v_pk_add_f32 v[38:39], v[38:39], v[90:91] neg_lo:[0,1] neg_hi:[0,1]
	v_pk_add_f32 v[34:35], v[34:35], v[88:89] neg_lo:[0,1] neg_hi:[0,1]
	s_wait_dscnt 0x0
	v_pk_mul_f32 v[88:89], v[84:85], v[76:77] op_sel:[0,1]
	s_delay_alu instid0(VALU_DEP_1) | instskip(SKIP_1) | instid1(VALU_DEP_1)
	v_pk_fma_f32 v[90:91], v[84:85], v[74:75], v[88:89] op_sel:[0,0,1] op_sel_hi:[1,1,0] neg_lo:[0,0,1] neg_hi:[0,0,1]
	v_pk_fma_f32 v[84:85], v[84:85], v[74:75], v[88:89] op_sel:[0,0,1] op_sel_hi:[1,0,0]
	v_mov_b32_e32 v91, v85
	v_pk_mul_f32 v[84:85], v[86:87], v[76:77] op_sel:[0,1]
	s_delay_alu instid0(VALU_DEP_1) | instskip(SKIP_1) | instid1(VALU_DEP_1)
	v_pk_fma_f32 v[88:89], v[86:87], v[74:75], v[84:85] op_sel:[0,0,1] op_sel_hi:[1,1,0] neg_lo:[0,0,1] neg_hi:[0,0,1]
	v_pk_fma_f32 v[84:85], v[86:87], v[74:75], v[84:85] op_sel:[0,0,1] op_sel_hi:[1,0,0]
	v_mov_b32_e32 v89, v85
	ds_load_2addr_b64 v[84:87], v78 offset0:26 offset1:27
	v_pk_add_f32 v[56:57], v[56:57], v[90:91] neg_lo:[0,1] neg_hi:[0,1]
	v_pk_add_f32 v[22:23], v[22:23], v[88:89] neg_lo:[0,1] neg_hi:[0,1]
	s_wait_dscnt 0x0
	v_dual_mul_f32 v88, v85, v77 :: v_dual_mul_f32 v90, v85, v74
	s_delay_alu instid0(VALU_DEP_1) | instskip(NEXT) | instid1(VALU_DEP_2)
	v_pk_fma_f32 v[88:89], v[84:85], v[6:7], v[88:89] op_sel_hi:[1,1,0] neg_lo:[0,0,1] neg_hi:[0,0,1]
	v_pk_fma_f32 v[84:85], v[84:85], v[6:7], v[90:91] op_sel:[1,0,0] op_sel_hi:[0,1,0]
	s_delay_alu instid0(VALU_DEP_1) | instskip(SKIP_1) | instid1(VALU_DEP_2)
	v_mov_b32_e32 v89, v85
	v_pk_mul_f32 v[84:85], v[86:87], v[76:77] op_sel:[0,1]
	v_pk_add_f32 v[28:29], v[28:29], v[88:89] neg_lo:[0,1] neg_hi:[0,1]
	s_delay_alu instid0(VALU_DEP_2) | instskip(SKIP_1) | instid1(VALU_DEP_1)
	v_pk_fma_f32 v[88:89], v[86:87], v[74:75], v[84:85] op_sel:[0,0,1] op_sel_hi:[1,1,0] neg_lo:[0,0,1] neg_hi:[0,0,1]
	v_pk_fma_f32 v[84:85], v[86:87], v[74:75], v[84:85] op_sel:[0,0,1] op_sel_hi:[1,0,0]
	v_mov_b32_e32 v89, v85
	ds_load_2addr_b64 v[84:87], v78 offset0:28 offset1:29
	v_pk_add_f32 v[20:21], v[20:21], v[88:89] neg_lo:[0,1] neg_hi:[0,1]
	s_wait_dscnt 0x0
	v_pk_mul_f32 v[88:89], v[84:85], v[76:77] op_sel:[0,1]
	s_delay_alu instid0(VALU_DEP_1) | instskip(SKIP_1) | instid1(VALU_DEP_1)
	v_pk_fma_f32 v[90:91], v[84:85], v[74:75], v[88:89] op_sel:[0,0,1] op_sel_hi:[1,1,0] neg_lo:[0,0,1] neg_hi:[0,0,1]
	v_pk_fma_f32 v[84:85], v[84:85], v[74:75], v[88:89] op_sel:[0,0,1] op_sel_hi:[1,0,0]
	v_mov_b32_e32 v91, v85
	v_pk_mul_f32 v[84:85], v[86:87], v[76:77] op_sel:[0,1]
	s_delay_alu instid0(VALU_DEP_2) | instskip(NEXT) | instid1(VALU_DEP_2)
	v_pk_add_f32 v[50:51], v[50:51], v[90:91] neg_lo:[0,1] neg_hi:[0,1]
	v_pk_fma_f32 v[88:89], v[86:87], v[74:75], v[84:85] op_sel:[0,0,1] op_sel_hi:[1,1,0] neg_lo:[0,0,1] neg_hi:[0,0,1]
	v_pk_fma_f32 v[84:85], v[86:87], v[74:75], v[84:85] op_sel:[0,0,1] op_sel_hi:[1,0,0]
	s_delay_alu instid0(VALU_DEP_1) | instskip(SKIP_4) | instid1(VALU_DEP_1)
	v_mov_b32_e32 v89, v85
	ds_load_2addr_b64 v[84:87], v78 offset0:30 offset1:31
	v_pk_add_f32 v[12:13], v[12:13], v[88:89] neg_lo:[0,1] neg_hi:[0,1]
	s_wait_dscnt 0x0
	v_pk_mul_f32 v[88:89], v[84:85], v[76:77] op_sel:[0,1]
	v_pk_fma_f32 v[90:91], v[84:85], v[74:75], v[88:89] op_sel:[0,0,1] op_sel_hi:[1,1,0] neg_lo:[0,0,1] neg_hi:[0,0,1]
	v_pk_fma_f32 v[84:85], v[84:85], v[74:75], v[88:89] op_sel:[0,0,1] op_sel_hi:[1,0,0]
	v_dual_mul_f32 v88, v87, v77 :: v_dual_mov_b32 v84, v87
	s_delay_alu instid0(VALU_DEP_2) | instskip(NEXT) | instid1(VALU_DEP_2)
	v_dual_mov_b32 v91, v85 :: v_dual_mov_b32 v85, v86
	v_pk_fma_f32 v[88:89], v[86:87], v[6:7], v[88:89] op_sel_hi:[1,1,0] neg_lo:[0,0,1] neg_hi:[0,0,1]
	v_mul_f32_e32 v86, v87, v74
	s_delay_alu instid0(VALU_DEP_3) | instskip(NEXT) | instid1(VALU_DEP_2)
	v_pk_add_f32 v[48:49], v[48:49], v[90:91] neg_lo:[0,1] neg_hi:[0,1]
	v_pk_fma_f32 v[84:85], v[84:85], v[6:7], v[86:87] op_sel_hi:[1,1,0]
	s_delay_alu instid0(VALU_DEP_1)
	v_mov_b32_e32 v89, v85
	ds_load_2addr_b64 v[84:87], v78 offset0:32 offset1:33
	v_pk_add_f32 v[46:47], v[46:47], v[88:89] neg_lo:[0,1] neg_hi:[0,1]
	s_wait_dscnt 0x0
	v_pk_mul_f32 v[88:89], v[84:85], v[76:77] op_sel:[0,1]
	v_pk_mul_f32 v[76:77], v[86:87], v[76:77] op_sel:[0,1]
	s_delay_alu instid0(VALU_DEP_2) | instskip(SKIP_1) | instid1(VALU_DEP_1)
	v_pk_fma_f32 v[90:91], v[84:85], v[74:75], v[88:89] op_sel:[0,0,1] op_sel_hi:[1,1,0] neg_lo:[0,0,1] neg_hi:[0,0,1]
	v_pk_fma_f32 v[84:85], v[84:85], v[74:75], v[88:89] op_sel:[0,0,1] op_sel_hi:[1,0,0]
	v_mov_b32_e32 v91, v85
	s_delay_alu instid0(VALU_DEP_4) | instskip(SKIP_1) | instid1(VALU_DEP_1)
	v_pk_fma_f32 v[84:85], v[86:87], v[74:75], v[76:77] op_sel:[0,0,1] op_sel_hi:[1,1,0] neg_lo:[0,0,1] neg_hi:[0,0,1]
	v_pk_fma_f32 v[74:75], v[86:87], v[74:75], v[76:77] op_sel:[0,0,1] op_sel_hi:[1,0,0]
	v_mov_b32_e32 v85, v75
	s_delay_alu instid0(VALU_DEP_4) | instskip(NEXT) | instid1(VALU_DEP_2)
	v_pk_add_f32 v[32:33], v[32:33], v[90:91] neg_lo:[0,1] neg_hi:[0,1]
	v_pk_add_f32 v[72:73], v[72:73], v[84:85] neg_lo:[0,1] neg_hi:[0,1]
.LBB66_167:
	s_or_b32 exec_lo, exec_lo, s0
	v_lshl_add_u32 v74, v82, 3, v78
	s_barrier_signal -1
	s_barrier_wait -1
	ds_store_b64 v74, v[54:55]
	s_wait_dscnt 0x0
	s_barrier_signal -1
	s_barrier_wait -1
	ds_load_b64 v[76:77], v78 offset:64
	v_mov_b32_e32 v74, 8
	s_cmp_lt_i32 s18, 10
	s_cbranch_scc1 .LBB66_170
; %bb.168:
	v_add3_u32 v75, v79, 0, 0x48
	v_mov_b32_e32 v74, 8
	s_mov_b32 s0, 9
.LBB66_169:                             ; =>This Inner Loop Header: Depth=1
	ds_load_b64 v[84:85], v75
	s_wait_dscnt 0x1
	v_cmp_gt_f32_e32 vcc_lo, 0, v76
	v_cndmask_b32_e64 v86, v76, -v76, vcc_lo
	v_cmp_gt_f32_e32 vcc_lo, 0, v77
	v_cndmask_b32_e64 v88, v77, -v77, vcc_lo
	s_wait_dscnt 0x0
	v_cmp_gt_f32_e32 vcc_lo, 0, v84
	v_cndmask_b32_e64 v87, v84, -v84, vcc_lo
	v_cmp_gt_f32_e32 vcc_lo, 0, v85
	v_cndmask_b32_e64 v89, v85, -v85, vcc_lo
	s_delay_alu instid0(VALU_DEP_1) | instskip(NEXT) | instid1(VALU_DEP_1)
	v_pk_add_f32 v[86:87], v[86:87], v[88:89]
	v_cmp_lt_f32_e32 vcc_lo, v86, v87
	v_dual_add_nc_u32 v75, 8, v75 :: v_dual_cndmask_b32 v77, v77, v85, vcc_lo
	v_cndmask_b32_e32 v76, v76, v84, vcc_lo
	v_cndmask_b32_e64 v74, v74, s0, vcc_lo
	s_add_co_i32 s0, s0, 1
	s_delay_alu instid0(SALU_CYCLE_1)
	s_cmp_lg_u32 s18, s0
	s_cbranch_scc1 .LBB66_169
.LBB66_170:
	s_wait_dscnt 0x0
	v_cmp_eq_f32_e32 vcc_lo, 0, v76
	v_cmp_eq_f32_e64 s0, 0, v77
	s_and_b32 s0, vcc_lo, s0
	s_delay_alu instid0(SALU_CYCLE_1) | instskip(NEXT) | instid1(SALU_CYCLE_1)
	s_and_saveexec_b32 s1, s0
	s_xor_b32 s0, exec_lo, s1
; %bb.171:
	v_cmp_ne_u32_e32 vcc_lo, 0, v80
	v_cndmask_b32_e32 v80, 9, v80, vcc_lo
; %bb.172:
	s_and_not1_saveexec_b32 s0, s0
	s_cbranch_execz .LBB66_178
; %bb.173:
	v_cmp_ngt_f32_e64 s1, |v76|, |v77|
	s_and_saveexec_b32 s12, s1
	s_delay_alu instid0(SALU_CYCLE_1)
	s_xor_b32 s1, exec_lo, s12
	s_cbranch_execz .LBB66_175
; %bb.174:
	v_div_scale_f32 v75, null, v77, v77, v76
	v_div_scale_f32 v85, vcc_lo, v76, v77, v76
	s_delay_alu instid0(VALU_DEP_2) | instskip(SKIP_1) | instid1(TRANS32_DEP_1)
	v_rcp_f32_e32 v83, v75
	v_nop
	v_fma_f32 v84, -v75, v83, 1.0
	s_delay_alu instid0(VALU_DEP_1) | instskip(NEXT) | instid1(VALU_DEP_1)
	v_fmac_f32_e32 v83, v84, v83
	v_mul_f32_e32 v84, v85, v83
	s_delay_alu instid0(VALU_DEP_1) | instskip(NEXT) | instid1(VALU_DEP_1)
	v_fma_f32 v86, -v75, v84, v85
	v_fmac_f32_e32 v84, v86, v83
	s_delay_alu instid0(VALU_DEP_1) | instskip(NEXT) | instid1(VALU_DEP_1)
	v_fma_f32 v75, -v75, v84, v85
	v_div_fmas_f32 v75, v75, v83, v84
	s_delay_alu instid0(VALU_DEP_1) | instskip(NEXT) | instid1(VALU_DEP_1)
	v_div_fixup_f32 v75, v75, v77, v76
	v_fmac_f32_e32 v77, v76, v75
	s_delay_alu instid0(VALU_DEP_1) | instskip(SKIP_1) | instid1(VALU_DEP_2)
	v_div_scale_f32 v76, null, v77, v77, 1.0
	v_div_scale_f32 v85, vcc_lo, 1.0, v77, 1.0
	v_rcp_f32_e32 v83, v76
	v_nop
	s_delay_alu instid0(TRANS32_DEP_1) | instskip(NEXT) | instid1(VALU_DEP_1)
	v_fma_f32 v84, -v76, v83, 1.0
	v_fmac_f32_e32 v83, v84, v83
	s_delay_alu instid0(VALU_DEP_1) | instskip(NEXT) | instid1(VALU_DEP_1)
	v_mul_f32_e32 v84, v85, v83
	v_fma_f32 v86, -v76, v84, v85
	s_delay_alu instid0(VALU_DEP_1) | instskip(NEXT) | instid1(VALU_DEP_1)
	v_fmac_f32_e32 v84, v86, v83
	v_fma_f32 v76, -v76, v84, v85
	s_delay_alu instid0(VALU_DEP_1) | instskip(NEXT) | instid1(VALU_DEP_1)
	v_div_fmas_f32 v76, v76, v83, v84
	v_div_fixup_f32 v77, v76, v77, 1.0
	s_delay_alu instid0(VALU_DEP_1)
	v_mul_f32_e32 v76, v75, v77
	v_xor_b32_e32 v77, 0x80000000, v77
.LBB66_175:
	s_and_not1_saveexec_b32 s1, s1
	s_cbranch_execz .LBB66_177
; %bb.176:
	s_delay_alu instid0(VALU_DEP_1) | instskip(SKIP_1) | instid1(VALU_DEP_2)
	v_div_scale_f32 v75, null, v76, v76, v77
	v_div_scale_f32 v85, vcc_lo, v77, v76, v77
	v_rcp_f32_e32 v83, v75
	v_nop
	s_delay_alu instid0(TRANS32_DEP_1) | instskip(NEXT) | instid1(VALU_DEP_1)
	v_fma_f32 v84, -v75, v83, 1.0
	v_fmac_f32_e32 v83, v84, v83
	s_delay_alu instid0(VALU_DEP_1) | instskip(NEXT) | instid1(VALU_DEP_1)
	v_mul_f32_e32 v84, v85, v83
	v_fma_f32 v86, -v75, v84, v85
	s_delay_alu instid0(VALU_DEP_1) | instskip(NEXT) | instid1(VALU_DEP_1)
	v_fmac_f32_e32 v84, v86, v83
	v_fma_f32 v75, -v75, v84, v85
	s_delay_alu instid0(VALU_DEP_1) | instskip(NEXT) | instid1(VALU_DEP_1)
	v_div_fmas_f32 v75, v75, v83, v84
	v_div_fixup_f32 v75, v75, v76, v77
	s_delay_alu instid0(VALU_DEP_1) | instskip(NEXT) | instid1(VALU_DEP_1)
	v_fmac_f32_e32 v76, v77, v75
	v_div_scale_f32 v77, null, v76, v76, 1.0
	s_delay_alu instid0(VALU_DEP_1) | instskip(SKIP_1) | instid1(TRANS32_DEP_1)
	v_rcp_f32_e32 v83, v77
	v_nop
	v_fma_f32 v84, -v77, v83, 1.0
	s_delay_alu instid0(VALU_DEP_1) | instskip(SKIP_1) | instid1(VALU_DEP_1)
	v_fmac_f32_e32 v83, v84, v83
	v_div_scale_f32 v84, vcc_lo, 1.0, v76, 1.0
	v_mul_f32_e32 v85, v84, v83
	s_delay_alu instid0(VALU_DEP_1) | instskip(NEXT) | instid1(VALU_DEP_1)
	v_fma_f32 v86, -v77, v85, v84
	v_fmac_f32_e32 v85, v86, v83
	s_delay_alu instid0(VALU_DEP_1) | instskip(NEXT) | instid1(VALU_DEP_1)
	v_fma_f32 v77, -v77, v85, v84
	v_div_fmas_f32 v77, v77, v83, v85
	s_delay_alu instid0(VALU_DEP_1) | instskip(NEXT) | instid1(VALU_DEP_1)
	v_div_fixup_f32 v76, v77, v76, 1.0
	v_mul_f32_e64 v77, v75, -v76
.LBB66_177:
	s_or_b32 exec_lo, exec_lo, s1
.LBB66_178:
	s_delay_alu instid0(SALU_CYCLE_1) | instskip(NEXT) | instid1(SALU_CYCLE_1)
	s_or_b32 exec_lo, exec_lo, s0
	s_mov_b32 s0, exec_lo
	v_cmpx_ne_u32_e64 v82, v74
	s_xor_b32 s0, exec_lo, s0
	s_cbranch_execz .LBB66_184
; %bb.179:
	s_mov_b32 s1, exec_lo
	v_cmpx_eq_u32_e32 8, v82
	s_cbranch_execz .LBB66_183
; %bb.180:
	v_cmp_ne_u32_e32 vcc_lo, 8, v74
	s_xor_b32 s12, s16, -1
	s_delay_alu instid0(SALU_CYCLE_1) | instskip(NEXT) | instid1(SALU_CYCLE_1)
	s_and_b32 s13, s12, vcc_lo
	s_and_saveexec_b32 s12, s13
	s_cbranch_execz .LBB66_182
; %bb.181:
	v_ashrrev_i32_e32 v75, 31, v74
	s_delay_alu instid0(VALU_DEP_1)
	v_lshl_add_u64 v[82:83], v[74:75], 2, v[4:5]
	s_clause 0x1
	global_load_b32 v75, v[82:83], off
	global_load_b32 v81, v[4:5], off offset:32
	s_wait_loadcnt 0x1
	global_store_b32 v[4:5], v75, off offset:32
	s_wait_loadcnt 0x0
	global_store_b32 v[82:83], v81, off
.LBB66_182:
	s_wait_xcnt 0x0
	s_or_b32 exec_lo, exec_lo, s12
	v_dual_mov_b32 v82, v74 :: v_dual_mov_b32 v81, v74
.LBB66_183:
	s_or_b32 exec_lo, exec_lo, s1
.LBB66_184:
	s_and_not1_saveexec_b32 s0, s0
	s_cbranch_execz .LBB66_186
; %bb.185:
	v_mov_b32_e32 v82, 8
	ds_store_2addr_b64 v78, v[16:17], v[18:19] offset0:9 offset1:10
	ds_store_2addr_b64 v78, v[14:15], v[58:59] offset0:11 offset1:12
	;; [unrolled: 1-line block ×12, first 2 shown]
	ds_store_b64 v78, v[72:73] offset:264
.LBB66_186:
	s_or_b32 exec_lo, exec_lo, s0
	s_delay_alu instid0(SALU_CYCLE_1)
	s_mov_b32 s0, exec_lo
	s_wait_storecnt_dscnt 0x0
	s_barrier_signal -1
	s_barrier_wait -1
	v_cmpx_lt_i32_e32 8, v82
	s_cbranch_execz .LBB66_188
; %bb.187:
	v_pk_mul_f32 v[84:85], v[76:77], v[54:55] op_sel:[1,1] op_sel_hi:[0,1]
	s_delay_alu instid0(VALU_DEP_1)
	v_pk_fma_f32 v[74:75], v[76:77], v[54:55], v[84:85] op_sel_hi:[1,0,1] neg_lo:[0,0,1] neg_hi:[0,0,1]
	v_pk_fma_f32 v[76:77], v[76:77], v[54:55], v[84:85] op_sel_hi:[1,0,1]
	ds_load_2addr_b64 v[84:87], v78 offset0:9 offset1:10
	v_dual_mov_b32 v54, v74 :: v_dual_mov_b32 v55, v77
	s_wait_dscnt 0x0
	v_pk_mul_f32 v[88:89], v[84:85], v[76:77] op_sel:[0,1]
	s_delay_alu instid0(VALU_DEP_1) | instskip(SKIP_1) | instid1(VALU_DEP_1)
	v_pk_fma_f32 v[90:91], v[84:85], v[74:75], v[88:89] op_sel:[0,0,1] op_sel_hi:[1,1,0] neg_lo:[0,0,1] neg_hi:[0,0,1]
	v_pk_fma_f32 v[84:85], v[84:85], v[74:75], v[88:89] op_sel:[0,0,1] op_sel_hi:[1,0,0]
	v_mov_b32_e32 v91, v85
	v_pk_mul_f32 v[84:85], v[86:87], v[76:77] op_sel:[0,1]
	s_delay_alu instid0(VALU_DEP_1) | instskip(SKIP_1) | instid1(VALU_DEP_1)
	v_pk_fma_f32 v[88:89], v[86:87], v[74:75], v[84:85] op_sel:[0,0,1] op_sel_hi:[1,1,0] neg_lo:[0,0,1] neg_hi:[0,0,1]
	v_pk_fma_f32 v[84:85], v[86:87], v[74:75], v[84:85] op_sel:[0,0,1] op_sel_hi:[1,0,0]
	v_mov_b32_e32 v89, v85
	ds_load_2addr_b64 v[84:87], v78 offset0:11 offset1:12
	v_pk_add_f32 v[16:17], v[16:17], v[90:91] neg_lo:[0,1] neg_hi:[0,1]
	v_pk_add_f32 v[18:19], v[18:19], v[88:89] neg_lo:[0,1] neg_hi:[0,1]
	s_wait_dscnt 0x0
	v_pk_mul_f32 v[88:89], v[84:85], v[76:77] op_sel:[0,1]
	s_delay_alu instid0(VALU_DEP_1) | instskip(SKIP_2) | instid1(VALU_DEP_2)
	v_pk_fma_f32 v[90:91], v[84:85], v[74:75], v[88:89] op_sel:[0,0,1] op_sel_hi:[1,1,0] neg_lo:[0,0,1] neg_hi:[0,0,1]
	v_pk_fma_f32 v[84:85], v[84:85], v[74:75], v[88:89] op_sel:[0,0,1] op_sel_hi:[1,0,0]
	v_dual_mul_f32 v88, v87, v77 :: v_dual_mov_b32 v84, v87
	v_dual_mov_b32 v91, v85 :: v_dual_mov_b32 v85, v86
	s_delay_alu instid0(VALU_DEP_2) | instskip(SKIP_1) | instid1(VALU_DEP_3)
	v_pk_fma_f32 v[88:89], v[86:87], v[54:55], v[88:89] op_sel_hi:[1,1,0] neg_lo:[0,0,1] neg_hi:[0,0,1]
	v_mul_f32_e32 v86, v87, v74
	v_pk_add_f32 v[14:15], v[14:15], v[90:91] neg_lo:[0,1] neg_hi:[0,1]
	s_delay_alu instid0(VALU_DEP_2) | instskip(NEXT) | instid1(VALU_DEP_1)
	v_pk_fma_f32 v[84:85], v[84:85], v[54:55], v[86:87] op_sel_hi:[1,1,0]
	v_mov_b32_e32 v89, v85
	ds_load_2addr_b64 v[84:87], v78 offset0:13 offset1:14
	v_pk_add_f32 v[58:59], v[58:59], v[88:89] neg_lo:[0,1] neg_hi:[0,1]
	s_wait_dscnt 0x0
	v_pk_mul_f32 v[88:89], v[84:85], v[76:77] op_sel:[0,1]
	s_delay_alu instid0(VALU_DEP_1) | instskip(SKIP_1) | instid1(VALU_DEP_1)
	v_pk_fma_f32 v[90:91], v[84:85], v[74:75], v[88:89] op_sel:[0,0,1] op_sel_hi:[1,1,0] neg_lo:[0,0,1] neg_hi:[0,0,1]
	v_pk_fma_f32 v[84:85], v[84:85], v[74:75], v[88:89] op_sel:[0,0,1] op_sel_hi:[1,0,0]
	v_mov_b32_e32 v91, v85
	v_pk_mul_f32 v[84:85], v[86:87], v[76:77] op_sel:[0,1]
	s_delay_alu instid0(VALU_DEP_1) | instskip(SKIP_1) | instid1(VALU_DEP_1)
	v_pk_fma_f32 v[88:89], v[86:87], v[74:75], v[84:85] op_sel:[0,0,1] op_sel_hi:[1,1,0] neg_lo:[0,0,1] neg_hi:[0,0,1]
	v_pk_fma_f32 v[84:85], v[86:87], v[74:75], v[84:85] op_sel:[0,0,1] op_sel_hi:[1,0,0]
	v_mov_b32_e32 v89, v85
	ds_load_2addr_b64 v[84:87], v78 offset0:15 offset1:16
	v_pk_add_f32 v[26:27], v[26:27], v[90:91] neg_lo:[0,1] neg_hi:[0,1]
	v_pk_add_f32 v[30:31], v[30:31], v[88:89] neg_lo:[0,1] neg_hi:[0,1]
	s_wait_dscnt 0x0
	v_pk_mul_f32 v[88:89], v[84:85], v[76:77] op_sel:[0,1]
	s_delay_alu instid0(VALU_DEP_1) | instskip(SKIP_1) | instid1(VALU_DEP_1)
	v_pk_fma_f32 v[90:91], v[84:85], v[74:75], v[88:89] op_sel:[0,0,1] op_sel_hi:[1,1,0] neg_lo:[0,0,1] neg_hi:[0,0,1]
	v_pk_fma_f32 v[84:85], v[84:85], v[74:75], v[88:89] op_sel:[0,0,1] op_sel_hi:[1,0,0]
	v_mov_b32_e32 v91, v85
	v_pk_mul_f32 v[84:85], v[86:87], v[76:77] op_sel:[0,1]
	s_delay_alu instid0(VALU_DEP_1) | instskip(SKIP_1) | instid1(VALU_DEP_1)
	v_pk_fma_f32 v[88:89], v[86:87], v[74:75], v[84:85] op_sel:[0,0,1] op_sel_hi:[1,1,0] neg_lo:[0,0,1] neg_hi:[0,0,1]
	v_pk_fma_f32 v[84:85], v[86:87], v[74:75], v[84:85] op_sel:[0,0,1] op_sel_hi:[1,0,0]
	v_mov_b32_e32 v89, v85
	ds_load_2addr_b64 v[84:87], v78 offset0:17 offset1:18
	v_pk_add_f32 v[24:25], v[24:25], v[90:91] neg_lo:[0,1] neg_hi:[0,1]
	v_pk_add_f32 v[62:63], v[62:63], v[88:89] neg_lo:[0,1] neg_hi:[0,1]
	s_wait_dscnt 0x0
	v_dual_mul_f32 v88, v85, v77 :: v_dual_mul_f32 v90, v85, v74
	s_delay_alu instid0(VALU_DEP_1) | instskip(NEXT) | instid1(VALU_DEP_2)
	v_pk_fma_f32 v[88:89], v[84:85], v[54:55], v[88:89] op_sel_hi:[1,1,0] neg_lo:[0,0,1] neg_hi:[0,0,1]
	v_pk_fma_f32 v[84:85], v[84:85], v[54:55], v[90:91] op_sel:[1,0,0] op_sel_hi:[0,1,0]
	s_delay_alu instid0(VALU_DEP_1) | instskip(SKIP_1) | instid1(VALU_DEP_2)
	v_mov_b32_e32 v89, v85
	v_pk_mul_f32 v[84:85], v[86:87], v[76:77] op_sel:[0,1]
	v_pk_add_f32 v[42:43], v[42:43], v[88:89] neg_lo:[0,1] neg_hi:[0,1]
	s_delay_alu instid0(VALU_DEP_2) | instskip(SKIP_1) | instid1(VALU_DEP_1)
	v_pk_fma_f32 v[88:89], v[86:87], v[74:75], v[84:85] op_sel:[0,0,1] op_sel_hi:[1,1,0] neg_lo:[0,0,1] neg_hi:[0,0,1]
	v_pk_fma_f32 v[84:85], v[86:87], v[74:75], v[84:85] op_sel:[0,0,1] op_sel_hi:[1,0,0]
	v_mov_b32_e32 v89, v85
	ds_load_2addr_b64 v[84:87], v78 offset0:19 offset1:20
	v_pk_add_f32 v[44:45], v[44:45], v[88:89] neg_lo:[0,1] neg_hi:[0,1]
	s_wait_dscnt 0x0
	v_pk_mul_f32 v[88:89], v[84:85], v[76:77] op_sel:[0,1]
	s_delay_alu instid0(VALU_DEP_1) | instskip(SKIP_1) | instid1(VALU_DEP_1)
	v_pk_fma_f32 v[90:91], v[84:85], v[74:75], v[88:89] op_sel:[0,0,1] op_sel_hi:[1,1,0] neg_lo:[0,0,1] neg_hi:[0,0,1]
	v_pk_fma_f32 v[84:85], v[84:85], v[74:75], v[88:89] op_sel:[0,0,1] op_sel_hi:[1,0,0]
	v_mov_b32_e32 v91, v85
	v_pk_mul_f32 v[84:85], v[86:87], v[76:77] op_sel:[0,1]
	s_delay_alu instid0(VALU_DEP_2) | instskip(NEXT) | instid1(VALU_DEP_2)
	v_pk_add_f32 v[40:41], v[40:41], v[90:91] neg_lo:[0,1] neg_hi:[0,1]
	v_pk_fma_f32 v[88:89], v[86:87], v[74:75], v[84:85] op_sel:[0,0,1] op_sel_hi:[1,1,0] neg_lo:[0,0,1] neg_hi:[0,0,1]
	v_pk_fma_f32 v[84:85], v[86:87], v[74:75], v[84:85] op_sel:[0,0,1] op_sel_hi:[1,0,0]
	s_delay_alu instid0(VALU_DEP_1) | instskip(SKIP_4) | instid1(VALU_DEP_1)
	v_mov_b32_e32 v89, v85
	ds_load_2addr_b64 v[84:87], v78 offset0:21 offset1:22
	v_pk_add_f32 v[60:61], v[60:61], v[88:89] neg_lo:[0,1] neg_hi:[0,1]
	s_wait_dscnt 0x0
	v_pk_mul_f32 v[88:89], v[84:85], v[76:77] op_sel:[0,1]
	v_pk_fma_f32 v[90:91], v[84:85], v[74:75], v[88:89] op_sel:[0,0,1] op_sel_hi:[1,1,0] neg_lo:[0,0,1] neg_hi:[0,0,1]
	v_pk_fma_f32 v[84:85], v[84:85], v[74:75], v[88:89] op_sel:[0,0,1] op_sel_hi:[1,0,0]
	v_dual_mul_f32 v88, v87, v77 :: v_dual_mov_b32 v84, v87
	s_delay_alu instid0(VALU_DEP_2) | instskip(NEXT) | instid1(VALU_DEP_2)
	v_dual_mov_b32 v91, v85 :: v_dual_mov_b32 v85, v86
	v_pk_fma_f32 v[88:89], v[86:87], v[54:55], v[88:89] op_sel_hi:[1,1,0] neg_lo:[0,0,1] neg_hi:[0,0,1]
	v_mul_f32_e32 v86, v87, v74
	s_delay_alu instid0(VALU_DEP_3) | instskip(NEXT) | instid1(VALU_DEP_2)
	v_pk_add_f32 v[36:37], v[36:37], v[90:91] neg_lo:[0,1] neg_hi:[0,1]
	v_pk_fma_f32 v[84:85], v[84:85], v[54:55], v[86:87] op_sel_hi:[1,1,0]
	s_delay_alu instid0(VALU_DEP_1) | instskip(SKIP_4) | instid1(VALU_DEP_1)
	v_mov_b32_e32 v89, v85
	ds_load_2addr_b64 v[84:87], v78 offset0:23 offset1:24
	v_pk_add_f32 v[38:39], v[38:39], v[88:89] neg_lo:[0,1] neg_hi:[0,1]
	s_wait_dscnt 0x0
	v_pk_mul_f32 v[88:89], v[84:85], v[76:77] op_sel:[0,1]
	v_pk_fma_f32 v[90:91], v[84:85], v[74:75], v[88:89] op_sel:[0,0,1] op_sel_hi:[1,1,0] neg_lo:[0,0,1] neg_hi:[0,0,1]
	v_pk_fma_f32 v[84:85], v[84:85], v[74:75], v[88:89] op_sel:[0,0,1] op_sel_hi:[1,0,0]
	s_delay_alu instid0(VALU_DEP_1) | instskip(SKIP_1) | instid1(VALU_DEP_1)
	v_mov_b32_e32 v91, v85
	v_pk_mul_f32 v[84:85], v[86:87], v[76:77] op_sel:[0,1]
	v_pk_fma_f32 v[88:89], v[86:87], v[74:75], v[84:85] op_sel:[0,0,1] op_sel_hi:[1,1,0] neg_lo:[0,0,1] neg_hi:[0,0,1]
	v_pk_fma_f32 v[84:85], v[86:87], v[74:75], v[84:85] op_sel:[0,0,1] op_sel_hi:[1,0,0]
	s_delay_alu instid0(VALU_DEP_1)
	v_mov_b32_e32 v89, v85
	ds_load_2addr_b64 v[84:87], v78 offset0:25 offset1:26
	v_pk_add_f32 v[34:35], v[34:35], v[90:91] neg_lo:[0,1] neg_hi:[0,1]
	v_pk_add_f32 v[56:57], v[56:57], v[88:89] neg_lo:[0,1] neg_hi:[0,1]
	s_wait_dscnt 0x0
	v_pk_mul_f32 v[88:89], v[84:85], v[76:77] op_sel:[0,1]
	s_delay_alu instid0(VALU_DEP_1) | instskip(SKIP_1) | instid1(VALU_DEP_1)
	v_pk_fma_f32 v[90:91], v[84:85], v[74:75], v[88:89] op_sel:[0,0,1] op_sel_hi:[1,1,0] neg_lo:[0,0,1] neg_hi:[0,0,1]
	v_pk_fma_f32 v[84:85], v[84:85], v[74:75], v[88:89] op_sel:[0,0,1] op_sel_hi:[1,0,0]
	v_mov_b32_e32 v91, v85
	v_pk_mul_f32 v[84:85], v[86:87], v[76:77] op_sel:[0,1]
	s_delay_alu instid0(VALU_DEP_1) | instskip(SKIP_1) | instid1(VALU_DEP_1)
	v_pk_fma_f32 v[88:89], v[86:87], v[74:75], v[84:85] op_sel:[0,0,1] op_sel_hi:[1,1,0] neg_lo:[0,0,1] neg_hi:[0,0,1]
	v_pk_fma_f32 v[84:85], v[86:87], v[74:75], v[84:85] op_sel:[0,0,1] op_sel_hi:[1,0,0]
	v_mov_b32_e32 v89, v85
	ds_load_2addr_b64 v[84:87], v78 offset0:27 offset1:28
	v_pk_add_f32 v[22:23], v[22:23], v[90:91] neg_lo:[0,1] neg_hi:[0,1]
	v_pk_add_f32 v[28:29], v[28:29], v[88:89] neg_lo:[0,1] neg_hi:[0,1]
	s_wait_dscnt 0x0
	v_dual_mul_f32 v88, v85, v77 :: v_dual_mul_f32 v90, v85, v74
	s_delay_alu instid0(VALU_DEP_1) | instskip(NEXT) | instid1(VALU_DEP_2)
	v_pk_fma_f32 v[88:89], v[84:85], v[54:55], v[88:89] op_sel_hi:[1,1,0] neg_lo:[0,0,1] neg_hi:[0,0,1]
	v_pk_fma_f32 v[84:85], v[84:85], v[54:55], v[90:91] op_sel:[1,0,0] op_sel_hi:[0,1,0]
	s_delay_alu instid0(VALU_DEP_1) | instskip(SKIP_1) | instid1(VALU_DEP_2)
	v_mov_b32_e32 v89, v85
	v_pk_mul_f32 v[84:85], v[86:87], v[76:77] op_sel:[0,1]
	v_pk_add_f32 v[20:21], v[20:21], v[88:89] neg_lo:[0,1] neg_hi:[0,1]
	s_delay_alu instid0(VALU_DEP_2) | instskip(SKIP_1) | instid1(VALU_DEP_1)
	v_pk_fma_f32 v[88:89], v[86:87], v[74:75], v[84:85] op_sel:[0,0,1] op_sel_hi:[1,1,0] neg_lo:[0,0,1] neg_hi:[0,0,1]
	v_pk_fma_f32 v[84:85], v[86:87], v[74:75], v[84:85] op_sel:[0,0,1] op_sel_hi:[1,0,0]
	v_mov_b32_e32 v89, v85
	ds_load_2addr_b64 v[84:87], v78 offset0:29 offset1:30
	v_pk_add_f32 v[50:51], v[50:51], v[88:89] neg_lo:[0,1] neg_hi:[0,1]
	s_wait_dscnt 0x0
	v_pk_mul_f32 v[88:89], v[84:85], v[76:77] op_sel:[0,1]
	s_delay_alu instid0(VALU_DEP_1) | instskip(SKIP_1) | instid1(VALU_DEP_1)
	v_pk_fma_f32 v[90:91], v[84:85], v[74:75], v[88:89] op_sel:[0,0,1] op_sel_hi:[1,1,0] neg_lo:[0,0,1] neg_hi:[0,0,1]
	v_pk_fma_f32 v[84:85], v[84:85], v[74:75], v[88:89] op_sel:[0,0,1] op_sel_hi:[1,0,0]
	v_mov_b32_e32 v91, v85
	v_pk_mul_f32 v[84:85], v[86:87], v[76:77] op_sel:[0,1]
	s_delay_alu instid0(VALU_DEP_2) | instskip(NEXT) | instid1(VALU_DEP_2)
	v_pk_add_f32 v[12:13], v[12:13], v[90:91] neg_lo:[0,1] neg_hi:[0,1]
	v_pk_fma_f32 v[88:89], v[86:87], v[74:75], v[84:85] op_sel:[0,0,1] op_sel_hi:[1,1,0] neg_lo:[0,0,1] neg_hi:[0,0,1]
	v_pk_fma_f32 v[84:85], v[86:87], v[74:75], v[84:85] op_sel:[0,0,1] op_sel_hi:[1,0,0]
	s_delay_alu instid0(VALU_DEP_1) | instskip(SKIP_4) | instid1(VALU_DEP_1)
	v_mov_b32_e32 v89, v85
	ds_load_2addr_b64 v[84:87], v78 offset0:31 offset1:32
	v_pk_add_f32 v[48:49], v[48:49], v[88:89] neg_lo:[0,1] neg_hi:[0,1]
	s_wait_dscnt 0x0
	v_pk_mul_f32 v[88:89], v[84:85], v[76:77] op_sel:[0,1]
	v_pk_fma_f32 v[90:91], v[84:85], v[74:75], v[88:89] op_sel:[0,0,1] op_sel_hi:[1,1,0] neg_lo:[0,0,1] neg_hi:[0,0,1]
	v_pk_fma_f32 v[84:85], v[84:85], v[74:75], v[88:89] op_sel:[0,0,1] op_sel_hi:[1,0,0]
	v_dual_mul_f32 v88, v87, v77 :: v_dual_mov_b32 v84, v87
	s_delay_alu instid0(VALU_DEP_2) | instskip(NEXT) | instid1(VALU_DEP_2)
	v_dual_mov_b32 v91, v85 :: v_dual_mov_b32 v85, v86
	v_pk_fma_f32 v[88:89], v[86:87], v[54:55], v[88:89] op_sel_hi:[1,1,0] neg_lo:[0,0,1] neg_hi:[0,0,1]
	v_mul_f32_e32 v86, v87, v74
	s_delay_alu instid0(VALU_DEP_3) | instskip(NEXT) | instid1(VALU_DEP_2)
	v_pk_add_f32 v[46:47], v[46:47], v[90:91] neg_lo:[0,1] neg_hi:[0,1]
	v_pk_fma_f32 v[84:85], v[84:85], v[54:55], v[86:87] op_sel_hi:[1,1,0]
	s_delay_alu instid0(VALU_DEP_1) | instskip(SKIP_4) | instid1(VALU_DEP_1)
	v_mov_b32_e32 v89, v85
	ds_load_b64 v[84:85], v78 offset:264
	v_pk_add_f32 v[32:33], v[32:33], v[88:89] neg_lo:[0,1] neg_hi:[0,1]
	s_wait_dscnt 0x0
	v_pk_mul_f32 v[76:77], v[84:85], v[76:77] op_sel:[0,1]
	v_pk_fma_f32 v[86:87], v[84:85], v[74:75], v[76:77] op_sel:[0,0,1] op_sel_hi:[1,1,0] neg_lo:[0,0,1] neg_hi:[0,0,1]
	v_pk_fma_f32 v[74:75], v[84:85], v[74:75], v[76:77] op_sel:[0,0,1] op_sel_hi:[1,0,0]
	s_delay_alu instid0(VALU_DEP_1) | instskip(NEXT) | instid1(VALU_DEP_1)
	v_mov_b32_e32 v87, v75
	v_pk_add_f32 v[72:73], v[72:73], v[86:87] neg_lo:[0,1] neg_hi:[0,1]
.LBB66_188:
	s_or_b32 exec_lo, exec_lo, s0
	v_lshl_add_u32 v74, v82, 3, v78
	s_barrier_signal -1
	s_barrier_wait -1
	ds_store_b64 v74, v[16:17]
	s_wait_dscnt 0x0
	s_barrier_signal -1
	s_barrier_wait -1
	ds_load_b64 v[76:77], v78 offset:72
	v_mov_b32_e32 v74, 9
	s_cmp_lt_i32 s18, 11
	s_cbranch_scc1 .LBB66_191
; %bb.189:
	v_add3_u32 v75, v79, 0, 0x50
	v_mov_b32_e32 v74, 9
	s_mov_b32 s0, 10
.LBB66_190:                             ; =>This Inner Loop Header: Depth=1
	ds_load_b64 v[84:85], v75
	s_wait_dscnt 0x1
	v_cmp_gt_f32_e32 vcc_lo, 0, v76
	v_cndmask_b32_e64 v86, v76, -v76, vcc_lo
	v_cmp_gt_f32_e32 vcc_lo, 0, v77
	v_cndmask_b32_e64 v88, v77, -v77, vcc_lo
	s_wait_dscnt 0x0
	v_cmp_gt_f32_e32 vcc_lo, 0, v84
	v_cndmask_b32_e64 v87, v84, -v84, vcc_lo
	v_cmp_gt_f32_e32 vcc_lo, 0, v85
	v_cndmask_b32_e64 v89, v85, -v85, vcc_lo
	s_delay_alu instid0(VALU_DEP_1) | instskip(NEXT) | instid1(VALU_DEP_1)
	v_pk_add_f32 v[86:87], v[86:87], v[88:89]
	v_cmp_lt_f32_e32 vcc_lo, v86, v87
	v_dual_add_nc_u32 v75, 8, v75 :: v_dual_cndmask_b32 v77, v77, v85, vcc_lo
	v_cndmask_b32_e32 v76, v76, v84, vcc_lo
	v_cndmask_b32_e64 v74, v74, s0, vcc_lo
	s_add_co_i32 s0, s0, 1
	s_delay_alu instid0(SALU_CYCLE_1)
	s_cmp_lg_u32 s18, s0
	s_cbranch_scc1 .LBB66_190
.LBB66_191:
	s_wait_dscnt 0x0
	v_cmp_eq_f32_e32 vcc_lo, 0, v76
	v_cmp_eq_f32_e64 s0, 0, v77
	s_and_b32 s0, vcc_lo, s0
	s_delay_alu instid0(SALU_CYCLE_1) | instskip(NEXT) | instid1(SALU_CYCLE_1)
	s_and_saveexec_b32 s1, s0
	s_xor_b32 s0, exec_lo, s1
; %bb.192:
	v_cmp_ne_u32_e32 vcc_lo, 0, v80
	v_cndmask_b32_e32 v80, 10, v80, vcc_lo
; %bb.193:
	s_and_not1_saveexec_b32 s0, s0
	s_cbranch_execz .LBB66_199
; %bb.194:
	v_cmp_ngt_f32_e64 s1, |v76|, |v77|
	s_and_saveexec_b32 s12, s1
	s_delay_alu instid0(SALU_CYCLE_1)
	s_xor_b32 s1, exec_lo, s12
	s_cbranch_execz .LBB66_196
; %bb.195:
	v_div_scale_f32 v75, null, v77, v77, v76
	v_div_scale_f32 v85, vcc_lo, v76, v77, v76
	s_delay_alu instid0(VALU_DEP_2) | instskip(SKIP_1) | instid1(TRANS32_DEP_1)
	v_rcp_f32_e32 v83, v75
	v_nop
	v_fma_f32 v84, -v75, v83, 1.0
	s_delay_alu instid0(VALU_DEP_1) | instskip(NEXT) | instid1(VALU_DEP_1)
	v_fmac_f32_e32 v83, v84, v83
	v_mul_f32_e32 v84, v85, v83
	s_delay_alu instid0(VALU_DEP_1) | instskip(NEXT) | instid1(VALU_DEP_1)
	v_fma_f32 v86, -v75, v84, v85
	v_fmac_f32_e32 v84, v86, v83
	s_delay_alu instid0(VALU_DEP_1) | instskip(NEXT) | instid1(VALU_DEP_1)
	v_fma_f32 v75, -v75, v84, v85
	v_div_fmas_f32 v75, v75, v83, v84
	s_delay_alu instid0(VALU_DEP_1) | instskip(NEXT) | instid1(VALU_DEP_1)
	v_div_fixup_f32 v75, v75, v77, v76
	v_fmac_f32_e32 v77, v76, v75
	s_delay_alu instid0(VALU_DEP_1) | instskip(SKIP_1) | instid1(VALU_DEP_2)
	v_div_scale_f32 v76, null, v77, v77, 1.0
	v_div_scale_f32 v85, vcc_lo, 1.0, v77, 1.0
	v_rcp_f32_e32 v83, v76
	v_nop
	s_delay_alu instid0(TRANS32_DEP_1) | instskip(NEXT) | instid1(VALU_DEP_1)
	v_fma_f32 v84, -v76, v83, 1.0
	v_fmac_f32_e32 v83, v84, v83
	s_delay_alu instid0(VALU_DEP_1) | instskip(NEXT) | instid1(VALU_DEP_1)
	v_mul_f32_e32 v84, v85, v83
	v_fma_f32 v86, -v76, v84, v85
	s_delay_alu instid0(VALU_DEP_1) | instskip(NEXT) | instid1(VALU_DEP_1)
	v_fmac_f32_e32 v84, v86, v83
	v_fma_f32 v76, -v76, v84, v85
	s_delay_alu instid0(VALU_DEP_1) | instskip(NEXT) | instid1(VALU_DEP_1)
	v_div_fmas_f32 v76, v76, v83, v84
	v_div_fixup_f32 v77, v76, v77, 1.0
	s_delay_alu instid0(VALU_DEP_1)
	v_mul_f32_e32 v76, v75, v77
	v_xor_b32_e32 v77, 0x80000000, v77
.LBB66_196:
	s_and_not1_saveexec_b32 s1, s1
	s_cbranch_execz .LBB66_198
; %bb.197:
	s_delay_alu instid0(VALU_DEP_1) | instskip(SKIP_1) | instid1(VALU_DEP_2)
	v_div_scale_f32 v75, null, v76, v76, v77
	v_div_scale_f32 v85, vcc_lo, v77, v76, v77
	v_rcp_f32_e32 v83, v75
	v_nop
	s_delay_alu instid0(TRANS32_DEP_1) | instskip(NEXT) | instid1(VALU_DEP_1)
	v_fma_f32 v84, -v75, v83, 1.0
	v_fmac_f32_e32 v83, v84, v83
	s_delay_alu instid0(VALU_DEP_1) | instskip(NEXT) | instid1(VALU_DEP_1)
	v_mul_f32_e32 v84, v85, v83
	v_fma_f32 v86, -v75, v84, v85
	s_delay_alu instid0(VALU_DEP_1) | instskip(NEXT) | instid1(VALU_DEP_1)
	v_fmac_f32_e32 v84, v86, v83
	v_fma_f32 v75, -v75, v84, v85
	s_delay_alu instid0(VALU_DEP_1) | instskip(NEXT) | instid1(VALU_DEP_1)
	v_div_fmas_f32 v75, v75, v83, v84
	v_div_fixup_f32 v75, v75, v76, v77
	s_delay_alu instid0(VALU_DEP_1) | instskip(NEXT) | instid1(VALU_DEP_1)
	v_fmac_f32_e32 v76, v77, v75
	v_div_scale_f32 v77, null, v76, v76, 1.0
	s_delay_alu instid0(VALU_DEP_1) | instskip(SKIP_1) | instid1(TRANS32_DEP_1)
	v_rcp_f32_e32 v83, v77
	v_nop
	v_fma_f32 v84, -v77, v83, 1.0
	s_delay_alu instid0(VALU_DEP_1) | instskip(SKIP_1) | instid1(VALU_DEP_1)
	v_fmac_f32_e32 v83, v84, v83
	v_div_scale_f32 v84, vcc_lo, 1.0, v76, 1.0
	v_mul_f32_e32 v85, v84, v83
	s_delay_alu instid0(VALU_DEP_1) | instskip(NEXT) | instid1(VALU_DEP_1)
	v_fma_f32 v86, -v77, v85, v84
	v_fmac_f32_e32 v85, v86, v83
	s_delay_alu instid0(VALU_DEP_1) | instskip(NEXT) | instid1(VALU_DEP_1)
	v_fma_f32 v77, -v77, v85, v84
	v_div_fmas_f32 v77, v77, v83, v85
	s_delay_alu instid0(VALU_DEP_1) | instskip(NEXT) | instid1(VALU_DEP_1)
	v_div_fixup_f32 v76, v77, v76, 1.0
	v_mul_f32_e64 v77, v75, -v76
.LBB66_198:
	s_or_b32 exec_lo, exec_lo, s1
.LBB66_199:
	s_delay_alu instid0(SALU_CYCLE_1) | instskip(NEXT) | instid1(SALU_CYCLE_1)
	s_or_b32 exec_lo, exec_lo, s0
	s_mov_b32 s0, exec_lo
	v_cmpx_ne_u32_e64 v82, v74
	s_xor_b32 s0, exec_lo, s0
	s_cbranch_execz .LBB66_205
; %bb.200:
	s_mov_b32 s1, exec_lo
	v_cmpx_eq_u32_e32 9, v82
	s_cbranch_execz .LBB66_204
; %bb.201:
	v_cmp_ne_u32_e32 vcc_lo, 9, v74
	s_xor_b32 s12, s16, -1
	s_delay_alu instid0(SALU_CYCLE_1) | instskip(NEXT) | instid1(SALU_CYCLE_1)
	s_and_b32 s13, s12, vcc_lo
	s_and_saveexec_b32 s12, s13
	s_cbranch_execz .LBB66_203
; %bb.202:
	v_ashrrev_i32_e32 v75, 31, v74
	s_delay_alu instid0(VALU_DEP_1)
	v_lshl_add_u64 v[82:83], v[74:75], 2, v[4:5]
	s_clause 0x1
	global_load_b32 v75, v[82:83], off
	global_load_b32 v81, v[4:5], off offset:36
	s_wait_loadcnt 0x1
	global_store_b32 v[4:5], v75, off offset:36
	s_wait_loadcnt 0x0
	global_store_b32 v[82:83], v81, off
.LBB66_203:
	s_wait_xcnt 0x0
	s_or_b32 exec_lo, exec_lo, s12
	v_dual_mov_b32 v82, v74 :: v_dual_mov_b32 v81, v74
.LBB66_204:
	s_or_b32 exec_lo, exec_lo, s1
.LBB66_205:
	s_and_not1_saveexec_b32 s0, s0
	s_cbranch_execz .LBB66_207
; %bb.206:
	v_dual_mov_b32 v74, v18 :: v_dual_mov_b32 v75, v19
	v_dual_mov_b32 v82, v14 :: v_dual_mov_b32 v83, v15
	ds_store_2addr_b64 v78, v[74:75], v[82:83] offset0:10 offset1:11
	v_dual_mov_b32 v74, v58 :: v_dual_mov_b32 v75, v59
	v_dual_mov_b32 v82, v26 :: v_dual_mov_b32 v83, v27
	ds_store_2addr_b64 v78, v[74:75], v[82:83] offset0:12 offset1:13
	;; [unrolled: 3-line block ×11, first 2 shown]
	v_dual_mov_b32 v74, v32 :: v_dual_mov_b32 v75, v33
	v_mov_b32_e32 v82, 9
	ds_store_2addr_b64 v78, v[74:75], v[72:73] offset0:32 offset1:33
.LBB66_207:
	s_or_b32 exec_lo, exec_lo, s0
	s_delay_alu instid0(SALU_CYCLE_1)
	s_mov_b32 s0, exec_lo
	s_wait_storecnt_dscnt 0x0
	s_barrier_signal -1
	s_barrier_wait -1
	v_cmpx_lt_i32_e32 9, v82
	s_cbranch_execz .LBB66_209
; %bb.208:
	v_pk_mul_f32 v[84:85], v[76:77], v[16:17] op_sel:[1,1] op_sel_hi:[0,1]
	s_delay_alu instid0(VALU_DEP_1)
	v_pk_fma_f32 v[74:75], v[76:77], v[16:17], v[84:85] op_sel_hi:[1,0,1] neg_lo:[0,0,1] neg_hi:[0,0,1]
	v_pk_fma_f32 v[76:77], v[76:77], v[16:17], v[84:85] op_sel_hi:[1,0,1]
	ds_load_2addr_b64 v[84:87], v78 offset0:10 offset1:11
	v_dual_mov_b32 v16, v74 :: v_dual_mov_b32 v17, v77
	s_wait_dscnt 0x0
	v_pk_mul_f32 v[88:89], v[84:85], v[76:77] op_sel:[0,1]
	s_delay_alu instid0(VALU_DEP_1) | instskip(SKIP_1) | instid1(VALU_DEP_1)
	v_pk_fma_f32 v[90:91], v[84:85], v[74:75], v[88:89] op_sel:[0,0,1] op_sel_hi:[1,1,0] neg_lo:[0,0,1] neg_hi:[0,0,1]
	v_pk_fma_f32 v[84:85], v[84:85], v[74:75], v[88:89] op_sel:[0,0,1] op_sel_hi:[1,0,0]
	v_mov_b32_e32 v91, v85
	v_pk_mul_f32 v[84:85], v[86:87], v[76:77] op_sel:[0,1]
	s_delay_alu instid0(VALU_DEP_1) | instskip(SKIP_1) | instid1(VALU_DEP_1)
	v_pk_fma_f32 v[88:89], v[86:87], v[74:75], v[84:85] op_sel:[0,0,1] op_sel_hi:[1,1,0] neg_lo:[0,0,1] neg_hi:[0,0,1]
	v_pk_fma_f32 v[84:85], v[86:87], v[74:75], v[84:85] op_sel:[0,0,1] op_sel_hi:[1,0,0]
	v_mov_b32_e32 v89, v85
	ds_load_2addr_b64 v[84:87], v78 offset0:12 offset1:13
	v_pk_add_f32 v[18:19], v[18:19], v[90:91] neg_lo:[0,1] neg_hi:[0,1]
	v_pk_add_f32 v[14:15], v[14:15], v[88:89] neg_lo:[0,1] neg_hi:[0,1]
	s_wait_dscnt 0x0
	v_pk_mul_f32 v[88:89], v[84:85], v[76:77] op_sel:[0,1]
	s_delay_alu instid0(VALU_DEP_1) | instskip(SKIP_2) | instid1(VALU_DEP_2)
	v_pk_fma_f32 v[90:91], v[84:85], v[74:75], v[88:89] op_sel:[0,0,1] op_sel_hi:[1,1,0] neg_lo:[0,0,1] neg_hi:[0,0,1]
	v_pk_fma_f32 v[84:85], v[84:85], v[74:75], v[88:89] op_sel:[0,0,1] op_sel_hi:[1,0,0]
	v_dual_mul_f32 v88, v87, v77 :: v_dual_mov_b32 v84, v87
	v_dual_mov_b32 v91, v85 :: v_dual_mov_b32 v85, v86
	s_delay_alu instid0(VALU_DEP_2) | instskip(SKIP_1) | instid1(VALU_DEP_3)
	v_pk_fma_f32 v[88:89], v[86:87], v[16:17], v[88:89] op_sel_hi:[1,1,0] neg_lo:[0,0,1] neg_hi:[0,0,1]
	v_mul_f32_e32 v86, v87, v74
	v_pk_add_f32 v[58:59], v[58:59], v[90:91] neg_lo:[0,1] neg_hi:[0,1]
	s_delay_alu instid0(VALU_DEP_2) | instskip(NEXT) | instid1(VALU_DEP_1)
	v_pk_fma_f32 v[84:85], v[84:85], v[16:17], v[86:87] op_sel_hi:[1,1,0]
	v_mov_b32_e32 v89, v85
	ds_load_2addr_b64 v[84:87], v78 offset0:14 offset1:15
	v_pk_add_f32 v[26:27], v[26:27], v[88:89] neg_lo:[0,1] neg_hi:[0,1]
	s_wait_dscnt 0x0
	v_pk_mul_f32 v[88:89], v[84:85], v[76:77] op_sel:[0,1]
	s_delay_alu instid0(VALU_DEP_1) | instskip(SKIP_1) | instid1(VALU_DEP_1)
	v_pk_fma_f32 v[90:91], v[84:85], v[74:75], v[88:89] op_sel:[0,0,1] op_sel_hi:[1,1,0] neg_lo:[0,0,1] neg_hi:[0,0,1]
	v_pk_fma_f32 v[84:85], v[84:85], v[74:75], v[88:89] op_sel:[0,0,1] op_sel_hi:[1,0,0]
	v_mov_b32_e32 v91, v85
	v_pk_mul_f32 v[84:85], v[86:87], v[76:77] op_sel:[0,1]
	s_delay_alu instid0(VALU_DEP_1) | instskip(SKIP_1) | instid1(VALU_DEP_1)
	v_pk_fma_f32 v[88:89], v[86:87], v[74:75], v[84:85] op_sel:[0,0,1] op_sel_hi:[1,1,0] neg_lo:[0,0,1] neg_hi:[0,0,1]
	v_pk_fma_f32 v[84:85], v[86:87], v[74:75], v[84:85] op_sel:[0,0,1] op_sel_hi:[1,0,0]
	v_mov_b32_e32 v89, v85
	ds_load_2addr_b64 v[84:87], v78 offset0:16 offset1:17
	v_pk_add_f32 v[30:31], v[30:31], v[90:91] neg_lo:[0,1] neg_hi:[0,1]
	v_pk_add_f32 v[24:25], v[24:25], v[88:89] neg_lo:[0,1] neg_hi:[0,1]
	s_wait_dscnt 0x0
	v_pk_mul_f32 v[88:89], v[84:85], v[76:77] op_sel:[0,1]
	s_delay_alu instid0(VALU_DEP_1) | instskip(SKIP_1) | instid1(VALU_DEP_1)
	v_pk_fma_f32 v[90:91], v[84:85], v[74:75], v[88:89] op_sel:[0,0,1] op_sel_hi:[1,1,0] neg_lo:[0,0,1] neg_hi:[0,0,1]
	v_pk_fma_f32 v[84:85], v[84:85], v[74:75], v[88:89] op_sel:[0,0,1] op_sel_hi:[1,0,0]
	v_mov_b32_e32 v91, v85
	v_pk_mul_f32 v[84:85], v[86:87], v[76:77] op_sel:[0,1]
	s_delay_alu instid0(VALU_DEP_1) | instskip(SKIP_1) | instid1(VALU_DEP_1)
	v_pk_fma_f32 v[88:89], v[86:87], v[74:75], v[84:85] op_sel:[0,0,1] op_sel_hi:[1,1,0] neg_lo:[0,0,1] neg_hi:[0,0,1]
	v_pk_fma_f32 v[84:85], v[86:87], v[74:75], v[84:85] op_sel:[0,0,1] op_sel_hi:[1,0,0]
	v_mov_b32_e32 v89, v85
	ds_load_2addr_b64 v[84:87], v78 offset0:18 offset1:19
	v_pk_add_f32 v[62:63], v[62:63], v[90:91] neg_lo:[0,1] neg_hi:[0,1]
	v_pk_add_f32 v[42:43], v[42:43], v[88:89] neg_lo:[0,1] neg_hi:[0,1]
	s_wait_dscnt 0x0
	v_dual_mul_f32 v88, v85, v77 :: v_dual_mul_f32 v90, v85, v74
	s_delay_alu instid0(VALU_DEP_1) | instskip(NEXT) | instid1(VALU_DEP_2)
	v_pk_fma_f32 v[88:89], v[84:85], v[16:17], v[88:89] op_sel_hi:[1,1,0] neg_lo:[0,0,1] neg_hi:[0,0,1]
	v_pk_fma_f32 v[84:85], v[84:85], v[16:17], v[90:91] op_sel:[1,0,0] op_sel_hi:[0,1,0]
	s_delay_alu instid0(VALU_DEP_1) | instskip(SKIP_1) | instid1(VALU_DEP_2)
	v_mov_b32_e32 v89, v85
	v_pk_mul_f32 v[84:85], v[86:87], v[76:77] op_sel:[0,1]
	v_pk_add_f32 v[44:45], v[44:45], v[88:89] neg_lo:[0,1] neg_hi:[0,1]
	s_delay_alu instid0(VALU_DEP_2) | instskip(SKIP_1) | instid1(VALU_DEP_1)
	v_pk_fma_f32 v[88:89], v[86:87], v[74:75], v[84:85] op_sel:[0,0,1] op_sel_hi:[1,1,0] neg_lo:[0,0,1] neg_hi:[0,0,1]
	v_pk_fma_f32 v[84:85], v[86:87], v[74:75], v[84:85] op_sel:[0,0,1] op_sel_hi:[1,0,0]
	v_mov_b32_e32 v89, v85
	ds_load_2addr_b64 v[84:87], v78 offset0:20 offset1:21
	v_pk_add_f32 v[40:41], v[40:41], v[88:89] neg_lo:[0,1] neg_hi:[0,1]
	s_wait_dscnt 0x0
	v_pk_mul_f32 v[88:89], v[84:85], v[76:77] op_sel:[0,1]
	s_delay_alu instid0(VALU_DEP_1) | instskip(SKIP_1) | instid1(VALU_DEP_1)
	v_pk_fma_f32 v[90:91], v[84:85], v[74:75], v[88:89] op_sel:[0,0,1] op_sel_hi:[1,1,0] neg_lo:[0,0,1] neg_hi:[0,0,1]
	v_pk_fma_f32 v[84:85], v[84:85], v[74:75], v[88:89] op_sel:[0,0,1] op_sel_hi:[1,0,0]
	v_mov_b32_e32 v91, v85
	v_pk_mul_f32 v[84:85], v[86:87], v[76:77] op_sel:[0,1]
	s_delay_alu instid0(VALU_DEP_2) | instskip(NEXT) | instid1(VALU_DEP_2)
	v_pk_add_f32 v[60:61], v[60:61], v[90:91] neg_lo:[0,1] neg_hi:[0,1]
	v_pk_fma_f32 v[88:89], v[86:87], v[74:75], v[84:85] op_sel:[0,0,1] op_sel_hi:[1,1,0] neg_lo:[0,0,1] neg_hi:[0,0,1]
	v_pk_fma_f32 v[84:85], v[86:87], v[74:75], v[84:85] op_sel:[0,0,1] op_sel_hi:[1,0,0]
	s_delay_alu instid0(VALU_DEP_1) | instskip(SKIP_4) | instid1(VALU_DEP_1)
	v_mov_b32_e32 v89, v85
	ds_load_2addr_b64 v[84:87], v78 offset0:22 offset1:23
	v_pk_add_f32 v[36:37], v[36:37], v[88:89] neg_lo:[0,1] neg_hi:[0,1]
	s_wait_dscnt 0x0
	v_pk_mul_f32 v[88:89], v[84:85], v[76:77] op_sel:[0,1]
	v_pk_fma_f32 v[90:91], v[84:85], v[74:75], v[88:89] op_sel:[0,0,1] op_sel_hi:[1,1,0] neg_lo:[0,0,1] neg_hi:[0,0,1]
	v_pk_fma_f32 v[84:85], v[84:85], v[74:75], v[88:89] op_sel:[0,0,1] op_sel_hi:[1,0,0]
	v_dual_mul_f32 v88, v87, v77 :: v_dual_mov_b32 v84, v87
	s_delay_alu instid0(VALU_DEP_2) | instskip(NEXT) | instid1(VALU_DEP_2)
	v_dual_mov_b32 v91, v85 :: v_dual_mov_b32 v85, v86
	v_pk_fma_f32 v[88:89], v[86:87], v[16:17], v[88:89] op_sel_hi:[1,1,0] neg_lo:[0,0,1] neg_hi:[0,0,1]
	v_mul_f32_e32 v86, v87, v74
	s_delay_alu instid0(VALU_DEP_3) | instskip(NEXT) | instid1(VALU_DEP_2)
	v_pk_add_f32 v[38:39], v[38:39], v[90:91] neg_lo:[0,1] neg_hi:[0,1]
	v_pk_fma_f32 v[84:85], v[84:85], v[16:17], v[86:87] op_sel_hi:[1,1,0]
	s_delay_alu instid0(VALU_DEP_1) | instskip(SKIP_4) | instid1(VALU_DEP_1)
	v_mov_b32_e32 v89, v85
	ds_load_2addr_b64 v[84:87], v78 offset0:24 offset1:25
	v_pk_add_f32 v[34:35], v[34:35], v[88:89] neg_lo:[0,1] neg_hi:[0,1]
	s_wait_dscnt 0x0
	v_pk_mul_f32 v[88:89], v[84:85], v[76:77] op_sel:[0,1]
	v_pk_fma_f32 v[90:91], v[84:85], v[74:75], v[88:89] op_sel:[0,0,1] op_sel_hi:[1,1,0] neg_lo:[0,0,1] neg_hi:[0,0,1]
	v_pk_fma_f32 v[84:85], v[84:85], v[74:75], v[88:89] op_sel:[0,0,1] op_sel_hi:[1,0,0]
	s_delay_alu instid0(VALU_DEP_1) | instskip(SKIP_1) | instid1(VALU_DEP_1)
	v_mov_b32_e32 v91, v85
	v_pk_mul_f32 v[84:85], v[86:87], v[76:77] op_sel:[0,1]
	v_pk_fma_f32 v[88:89], v[86:87], v[74:75], v[84:85] op_sel:[0,0,1] op_sel_hi:[1,1,0] neg_lo:[0,0,1] neg_hi:[0,0,1]
	v_pk_fma_f32 v[84:85], v[86:87], v[74:75], v[84:85] op_sel:[0,0,1] op_sel_hi:[1,0,0]
	s_delay_alu instid0(VALU_DEP_1)
	v_mov_b32_e32 v89, v85
	ds_load_2addr_b64 v[84:87], v78 offset0:26 offset1:27
	v_pk_add_f32 v[56:57], v[56:57], v[90:91] neg_lo:[0,1] neg_hi:[0,1]
	v_pk_add_f32 v[22:23], v[22:23], v[88:89] neg_lo:[0,1] neg_hi:[0,1]
	s_wait_dscnt 0x0
	v_pk_mul_f32 v[88:89], v[84:85], v[76:77] op_sel:[0,1]
	s_delay_alu instid0(VALU_DEP_1) | instskip(SKIP_1) | instid1(VALU_DEP_1)
	v_pk_fma_f32 v[90:91], v[84:85], v[74:75], v[88:89] op_sel:[0,0,1] op_sel_hi:[1,1,0] neg_lo:[0,0,1] neg_hi:[0,0,1]
	v_pk_fma_f32 v[84:85], v[84:85], v[74:75], v[88:89] op_sel:[0,0,1] op_sel_hi:[1,0,0]
	v_mov_b32_e32 v91, v85
	v_pk_mul_f32 v[84:85], v[86:87], v[76:77] op_sel:[0,1]
	s_delay_alu instid0(VALU_DEP_1) | instskip(SKIP_1) | instid1(VALU_DEP_1)
	v_pk_fma_f32 v[88:89], v[86:87], v[74:75], v[84:85] op_sel:[0,0,1] op_sel_hi:[1,1,0] neg_lo:[0,0,1] neg_hi:[0,0,1]
	v_pk_fma_f32 v[84:85], v[86:87], v[74:75], v[84:85] op_sel:[0,0,1] op_sel_hi:[1,0,0]
	v_mov_b32_e32 v89, v85
	ds_load_2addr_b64 v[84:87], v78 offset0:28 offset1:29
	v_pk_add_f32 v[28:29], v[28:29], v[90:91] neg_lo:[0,1] neg_hi:[0,1]
	v_pk_add_f32 v[20:21], v[20:21], v[88:89] neg_lo:[0,1] neg_hi:[0,1]
	s_wait_dscnt 0x0
	v_dual_mul_f32 v88, v85, v77 :: v_dual_mul_f32 v90, v85, v74
	s_delay_alu instid0(VALU_DEP_1) | instskip(NEXT) | instid1(VALU_DEP_2)
	v_pk_fma_f32 v[88:89], v[84:85], v[16:17], v[88:89] op_sel_hi:[1,1,0] neg_lo:[0,0,1] neg_hi:[0,0,1]
	v_pk_fma_f32 v[84:85], v[84:85], v[16:17], v[90:91] op_sel:[1,0,0] op_sel_hi:[0,1,0]
	s_delay_alu instid0(VALU_DEP_1) | instskip(SKIP_1) | instid1(VALU_DEP_2)
	v_mov_b32_e32 v89, v85
	v_pk_mul_f32 v[84:85], v[86:87], v[76:77] op_sel:[0,1]
	v_pk_add_f32 v[50:51], v[50:51], v[88:89] neg_lo:[0,1] neg_hi:[0,1]
	s_delay_alu instid0(VALU_DEP_2) | instskip(SKIP_1) | instid1(VALU_DEP_1)
	v_pk_fma_f32 v[88:89], v[86:87], v[74:75], v[84:85] op_sel:[0,0,1] op_sel_hi:[1,1,0] neg_lo:[0,0,1] neg_hi:[0,0,1]
	v_pk_fma_f32 v[84:85], v[86:87], v[74:75], v[84:85] op_sel:[0,0,1] op_sel_hi:[1,0,0]
	v_mov_b32_e32 v89, v85
	ds_load_2addr_b64 v[84:87], v78 offset0:30 offset1:31
	v_pk_add_f32 v[12:13], v[12:13], v[88:89] neg_lo:[0,1] neg_hi:[0,1]
	s_wait_dscnt 0x0
	v_pk_mul_f32 v[88:89], v[84:85], v[76:77] op_sel:[0,1]
	s_delay_alu instid0(VALU_DEP_1) | instskip(SKIP_1) | instid1(VALU_DEP_1)
	v_pk_fma_f32 v[90:91], v[84:85], v[74:75], v[88:89] op_sel:[0,0,1] op_sel_hi:[1,1,0] neg_lo:[0,0,1] neg_hi:[0,0,1]
	v_pk_fma_f32 v[84:85], v[84:85], v[74:75], v[88:89] op_sel:[0,0,1] op_sel_hi:[1,0,0]
	v_mov_b32_e32 v91, v85
	v_pk_mul_f32 v[84:85], v[86:87], v[76:77] op_sel:[0,1]
	s_delay_alu instid0(VALU_DEP_2) | instskip(NEXT) | instid1(VALU_DEP_2)
	v_pk_add_f32 v[48:49], v[48:49], v[90:91] neg_lo:[0,1] neg_hi:[0,1]
	v_pk_fma_f32 v[88:89], v[86:87], v[74:75], v[84:85] op_sel:[0,0,1] op_sel_hi:[1,1,0] neg_lo:[0,0,1] neg_hi:[0,0,1]
	v_pk_fma_f32 v[84:85], v[86:87], v[74:75], v[84:85] op_sel:[0,0,1] op_sel_hi:[1,0,0]
	s_delay_alu instid0(VALU_DEP_1)
	v_mov_b32_e32 v89, v85
	ds_load_2addr_b64 v[84:87], v78 offset0:32 offset1:33
	v_pk_add_f32 v[46:47], v[46:47], v[88:89] neg_lo:[0,1] neg_hi:[0,1]
	s_wait_dscnt 0x0
	v_pk_mul_f32 v[88:89], v[84:85], v[76:77] op_sel:[0,1]
	v_mul_f32_e32 v76, v87, v77
	s_delay_alu instid0(VALU_DEP_2) | instskip(SKIP_2) | instid1(VALU_DEP_4)
	v_pk_fma_f32 v[90:91], v[84:85], v[74:75], v[88:89] op_sel:[0,0,1] op_sel_hi:[1,1,0] neg_lo:[0,0,1] neg_hi:[0,0,1]
	v_pk_fma_f32 v[84:85], v[84:85], v[74:75], v[88:89] op_sel:[0,0,1] op_sel_hi:[1,0,0]
	v_dual_mov_b32 v84, v87 :: v_dual_mul_f32 v74, v87, v74
	v_pk_fma_f32 v[76:77], v[86:87], v[16:17], v[76:77] op_sel_hi:[1,1,0] neg_lo:[0,0,1] neg_hi:[0,0,1]
	s_delay_alu instid0(VALU_DEP_3) | instskip(NEXT) | instid1(VALU_DEP_1)
	v_dual_mov_b32 v91, v85 :: v_dual_mov_b32 v85, v86
	v_pk_add_f32 v[32:33], v[32:33], v[90:91] neg_lo:[0,1] neg_hi:[0,1]
	s_delay_alu instid0(VALU_DEP_2) | instskip(NEXT) | instid1(VALU_DEP_1)
	v_pk_fma_f32 v[74:75], v[84:85], v[16:17], v[74:75] op_sel_hi:[1,1,0]
	v_mov_b32_e32 v77, v75
	s_delay_alu instid0(VALU_DEP_1)
	v_pk_add_f32 v[72:73], v[72:73], v[76:77] neg_lo:[0,1] neg_hi:[0,1]
.LBB66_209:
	s_or_b32 exec_lo, exec_lo, s0
	v_lshl_add_u32 v74, v82, 3, v78
	s_barrier_signal -1
	s_barrier_wait -1
	ds_store_b64 v74, v[18:19]
	s_wait_dscnt 0x0
	s_barrier_signal -1
	s_barrier_wait -1
	ds_load_b64 v[76:77], v78 offset:80
	v_mov_b32_e32 v74, 10
	s_cmp_lt_i32 s18, 12
	s_cbranch_scc1 .LBB66_212
; %bb.210:
	v_add3_u32 v75, v79, 0, 0x58
	v_mov_b32_e32 v74, 10
	s_mov_b32 s0, 11
.LBB66_211:                             ; =>This Inner Loop Header: Depth=1
	ds_load_b64 v[84:85], v75
	s_wait_dscnt 0x1
	v_cmp_gt_f32_e32 vcc_lo, 0, v76
	v_cndmask_b32_e64 v86, v76, -v76, vcc_lo
	v_cmp_gt_f32_e32 vcc_lo, 0, v77
	v_cndmask_b32_e64 v88, v77, -v77, vcc_lo
	s_wait_dscnt 0x0
	v_cmp_gt_f32_e32 vcc_lo, 0, v84
	v_cndmask_b32_e64 v87, v84, -v84, vcc_lo
	v_cmp_gt_f32_e32 vcc_lo, 0, v85
	v_cndmask_b32_e64 v89, v85, -v85, vcc_lo
	s_delay_alu instid0(VALU_DEP_1) | instskip(NEXT) | instid1(VALU_DEP_1)
	v_pk_add_f32 v[86:87], v[86:87], v[88:89]
	v_cmp_lt_f32_e32 vcc_lo, v86, v87
	v_dual_add_nc_u32 v75, 8, v75 :: v_dual_cndmask_b32 v77, v77, v85, vcc_lo
	v_cndmask_b32_e32 v76, v76, v84, vcc_lo
	v_cndmask_b32_e64 v74, v74, s0, vcc_lo
	s_add_co_i32 s0, s0, 1
	s_delay_alu instid0(SALU_CYCLE_1)
	s_cmp_lg_u32 s18, s0
	s_cbranch_scc1 .LBB66_211
.LBB66_212:
	s_wait_dscnt 0x0
	v_cmp_eq_f32_e32 vcc_lo, 0, v76
	v_cmp_eq_f32_e64 s0, 0, v77
	s_and_b32 s0, vcc_lo, s0
	s_delay_alu instid0(SALU_CYCLE_1) | instskip(NEXT) | instid1(SALU_CYCLE_1)
	s_and_saveexec_b32 s1, s0
	s_xor_b32 s0, exec_lo, s1
; %bb.213:
	v_cmp_ne_u32_e32 vcc_lo, 0, v80
	v_cndmask_b32_e32 v80, 11, v80, vcc_lo
; %bb.214:
	s_and_not1_saveexec_b32 s0, s0
	s_cbranch_execz .LBB66_220
; %bb.215:
	v_cmp_ngt_f32_e64 s1, |v76|, |v77|
	s_and_saveexec_b32 s12, s1
	s_delay_alu instid0(SALU_CYCLE_1)
	s_xor_b32 s1, exec_lo, s12
	s_cbranch_execz .LBB66_217
; %bb.216:
	v_div_scale_f32 v75, null, v77, v77, v76
	v_div_scale_f32 v85, vcc_lo, v76, v77, v76
	s_delay_alu instid0(VALU_DEP_2) | instskip(SKIP_1) | instid1(TRANS32_DEP_1)
	v_rcp_f32_e32 v83, v75
	v_nop
	v_fma_f32 v84, -v75, v83, 1.0
	s_delay_alu instid0(VALU_DEP_1) | instskip(NEXT) | instid1(VALU_DEP_1)
	v_fmac_f32_e32 v83, v84, v83
	v_mul_f32_e32 v84, v85, v83
	s_delay_alu instid0(VALU_DEP_1) | instskip(NEXT) | instid1(VALU_DEP_1)
	v_fma_f32 v86, -v75, v84, v85
	v_fmac_f32_e32 v84, v86, v83
	s_delay_alu instid0(VALU_DEP_1) | instskip(NEXT) | instid1(VALU_DEP_1)
	v_fma_f32 v75, -v75, v84, v85
	v_div_fmas_f32 v75, v75, v83, v84
	s_delay_alu instid0(VALU_DEP_1) | instskip(NEXT) | instid1(VALU_DEP_1)
	v_div_fixup_f32 v75, v75, v77, v76
	v_fmac_f32_e32 v77, v76, v75
	s_delay_alu instid0(VALU_DEP_1) | instskip(SKIP_1) | instid1(VALU_DEP_2)
	v_div_scale_f32 v76, null, v77, v77, 1.0
	v_div_scale_f32 v85, vcc_lo, 1.0, v77, 1.0
	v_rcp_f32_e32 v83, v76
	v_nop
	s_delay_alu instid0(TRANS32_DEP_1) | instskip(NEXT) | instid1(VALU_DEP_1)
	v_fma_f32 v84, -v76, v83, 1.0
	v_fmac_f32_e32 v83, v84, v83
	s_delay_alu instid0(VALU_DEP_1) | instskip(NEXT) | instid1(VALU_DEP_1)
	v_mul_f32_e32 v84, v85, v83
	v_fma_f32 v86, -v76, v84, v85
	s_delay_alu instid0(VALU_DEP_1) | instskip(NEXT) | instid1(VALU_DEP_1)
	v_fmac_f32_e32 v84, v86, v83
	v_fma_f32 v76, -v76, v84, v85
	s_delay_alu instid0(VALU_DEP_1) | instskip(NEXT) | instid1(VALU_DEP_1)
	v_div_fmas_f32 v76, v76, v83, v84
	v_div_fixup_f32 v77, v76, v77, 1.0
	s_delay_alu instid0(VALU_DEP_1)
	v_mul_f32_e32 v76, v75, v77
	v_xor_b32_e32 v77, 0x80000000, v77
.LBB66_217:
	s_and_not1_saveexec_b32 s1, s1
	s_cbranch_execz .LBB66_219
; %bb.218:
	s_delay_alu instid0(VALU_DEP_1) | instskip(SKIP_1) | instid1(VALU_DEP_2)
	v_div_scale_f32 v75, null, v76, v76, v77
	v_div_scale_f32 v85, vcc_lo, v77, v76, v77
	v_rcp_f32_e32 v83, v75
	v_nop
	s_delay_alu instid0(TRANS32_DEP_1) | instskip(NEXT) | instid1(VALU_DEP_1)
	v_fma_f32 v84, -v75, v83, 1.0
	v_fmac_f32_e32 v83, v84, v83
	s_delay_alu instid0(VALU_DEP_1) | instskip(NEXT) | instid1(VALU_DEP_1)
	v_mul_f32_e32 v84, v85, v83
	v_fma_f32 v86, -v75, v84, v85
	s_delay_alu instid0(VALU_DEP_1) | instskip(NEXT) | instid1(VALU_DEP_1)
	v_fmac_f32_e32 v84, v86, v83
	v_fma_f32 v75, -v75, v84, v85
	s_delay_alu instid0(VALU_DEP_1) | instskip(NEXT) | instid1(VALU_DEP_1)
	v_div_fmas_f32 v75, v75, v83, v84
	v_div_fixup_f32 v75, v75, v76, v77
	s_delay_alu instid0(VALU_DEP_1) | instskip(NEXT) | instid1(VALU_DEP_1)
	v_fmac_f32_e32 v76, v77, v75
	v_div_scale_f32 v77, null, v76, v76, 1.0
	s_delay_alu instid0(VALU_DEP_1) | instskip(SKIP_1) | instid1(TRANS32_DEP_1)
	v_rcp_f32_e32 v83, v77
	v_nop
	v_fma_f32 v84, -v77, v83, 1.0
	s_delay_alu instid0(VALU_DEP_1) | instskip(SKIP_1) | instid1(VALU_DEP_1)
	v_fmac_f32_e32 v83, v84, v83
	v_div_scale_f32 v84, vcc_lo, 1.0, v76, 1.0
	v_mul_f32_e32 v85, v84, v83
	s_delay_alu instid0(VALU_DEP_1) | instskip(NEXT) | instid1(VALU_DEP_1)
	v_fma_f32 v86, -v77, v85, v84
	v_fmac_f32_e32 v85, v86, v83
	s_delay_alu instid0(VALU_DEP_1) | instskip(NEXT) | instid1(VALU_DEP_1)
	v_fma_f32 v77, -v77, v85, v84
	v_div_fmas_f32 v77, v77, v83, v85
	s_delay_alu instid0(VALU_DEP_1) | instskip(NEXT) | instid1(VALU_DEP_1)
	v_div_fixup_f32 v76, v77, v76, 1.0
	v_mul_f32_e64 v77, v75, -v76
.LBB66_219:
	s_or_b32 exec_lo, exec_lo, s1
.LBB66_220:
	s_delay_alu instid0(SALU_CYCLE_1) | instskip(NEXT) | instid1(SALU_CYCLE_1)
	s_or_b32 exec_lo, exec_lo, s0
	s_mov_b32 s0, exec_lo
	v_cmpx_ne_u32_e64 v82, v74
	s_xor_b32 s0, exec_lo, s0
	s_cbranch_execz .LBB66_226
; %bb.221:
	s_mov_b32 s1, exec_lo
	v_cmpx_eq_u32_e32 10, v82
	s_cbranch_execz .LBB66_225
; %bb.222:
	v_cmp_ne_u32_e32 vcc_lo, 10, v74
	s_xor_b32 s12, s16, -1
	s_delay_alu instid0(SALU_CYCLE_1) | instskip(NEXT) | instid1(SALU_CYCLE_1)
	s_and_b32 s13, s12, vcc_lo
	s_and_saveexec_b32 s12, s13
	s_cbranch_execz .LBB66_224
; %bb.223:
	v_ashrrev_i32_e32 v75, 31, v74
	s_delay_alu instid0(VALU_DEP_1)
	v_lshl_add_u64 v[82:83], v[74:75], 2, v[4:5]
	s_clause 0x1
	global_load_b32 v75, v[82:83], off
	global_load_b32 v81, v[4:5], off offset:40
	s_wait_loadcnt 0x1
	global_store_b32 v[4:5], v75, off offset:40
	s_wait_loadcnt 0x0
	global_store_b32 v[82:83], v81, off
.LBB66_224:
	s_wait_xcnt 0x0
	s_or_b32 exec_lo, exec_lo, s12
	v_dual_mov_b32 v82, v74 :: v_dual_mov_b32 v81, v74
.LBB66_225:
	s_or_b32 exec_lo, exec_lo, s1
.LBB66_226:
	s_and_not1_saveexec_b32 s0, s0
	s_cbranch_execz .LBB66_228
; %bb.227:
	v_mov_b32_e32 v82, 10
	ds_store_2addr_b64 v78, v[14:15], v[58:59] offset0:11 offset1:12
	ds_store_2addr_b64 v78, v[26:27], v[30:31] offset0:13 offset1:14
	;; [unrolled: 1-line block ×11, first 2 shown]
	ds_store_b64 v78, v[72:73] offset:264
.LBB66_228:
	s_or_b32 exec_lo, exec_lo, s0
	s_delay_alu instid0(SALU_CYCLE_1)
	s_mov_b32 s0, exec_lo
	s_wait_storecnt_dscnt 0x0
	s_barrier_signal -1
	s_barrier_wait -1
	v_cmpx_lt_i32_e32 10, v82
	s_cbranch_execz .LBB66_230
; %bb.229:
	v_pk_mul_f32 v[84:85], v[76:77], v[18:19] op_sel:[1,1] op_sel_hi:[0,1]
	s_delay_alu instid0(VALU_DEP_1)
	v_pk_fma_f32 v[74:75], v[76:77], v[18:19], v[84:85] op_sel_hi:[1,0,1] neg_lo:[0,0,1] neg_hi:[0,0,1]
	v_pk_fma_f32 v[76:77], v[76:77], v[18:19], v[84:85] op_sel_hi:[1,0,1]
	ds_load_2addr_b64 v[84:87], v78 offset0:11 offset1:12
	v_dual_mov_b32 v18, v74 :: v_dual_mov_b32 v19, v77
	s_wait_dscnt 0x0
	v_pk_mul_f32 v[88:89], v[84:85], v[76:77] op_sel:[0,1]
	s_delay_alu instid0(VALU_DEP_1) | instskip(SKIP_1) | instid1(VALU_DEP_1)
	v_pk_fma_f32 v[90:91], v[84:85], v[74:75], v[88:89] op_sel:[0,0,1] op_sel_hi:[1,1,0] neg_lo:[0,0,1] neg_hi:[0,0,1]
	v_pk_fma_f32 v[84:85], v[84:85], v[74:75], v[88:89] op_sel:[0,0,1] op_sel_hi:[1,0,0]
	v_mov_b32_e32 v91, v85
	v_pk_mul_f32 v[84:85], v[86:87], v[76:77] op_sel:[0,1]
	s_delay_alu instid0(VALU_DEP_1) | instskip(SKIP_1) | instid1(VALU_DEP_1)
	v_pk_fma_f32 v[88:89], v[86:87], v[74:75], v[84:85] op_sel:[0,0,1] op_sel_hi:[1,1,0] neg_lo:[0,0,1] neg_hi:[0,0,1]
	v_pk_fma_f32 v[84:85], v[86:87], v[74:75], v[84:85] op_sel:[0,0,1] op_sel_hi:[1,0,0]
	v_mov_b32_e32 v89, v85
	ds_load_2addr_b64 v[84:87], v78 offset0:13 offset1:14
	v_pk_add_f32 v[14:15], v[14:15], v[90:91] neg_lo:[0,1] neg_hi:[0,1]
	v_pk_add_f32 v[58:59], v[58:59], v[88:89] neg_lo:[0,1] neg_hi:[0,1]
	s_wait_dscnt 0x0
	v_pk_mul_f32 v[88:89], v[84:85], v[76:77] op_sel:[0,1]
	s_delay_alu instid0(VALU_DEP_1) | instskip(SKIP_2) | instid1(VALU_DEP_2)
	v_pk_fma_f32 v[90:91], v[84:85], v[74:75], v[88:89] op_sel:[0,0,1] op_sel_hi:[1,1,0] neg_lo:[0,0,1] neg_hi:[0,0,1]
	v_pk_fma_f32 v[84:85], v[84:85], v[74:75], v[88:89] op_sel:[0,0,1] op_sel_hi:[1,0,0]
	v_dual_mul_f32 v88, v87, v77 :: v_dual_mov_b32 v84, v87
	v_dual_mov_b32 v91, v85 :: v_dual_mov_b32 v85, v86
	s_delay_alu instid0(VALU_DEP_2) | instskip(SKIP_1) | instid1(VALU_DEP_3)
	v_pk_fma_f32 v[88:89], v[86:87], v[18:19], v[88:89] op_sel_hi:[1,1,0] neg_lo:[0,0,1] neg_hi:[0,0,1]
	v_mul_f32_e32 v86, v87, v74
	v_pk_add_f32 v[26:27], v[26:27], v[90:91] neg_lo:[0,1] neg_hi:[0,1]
	s_delay_alu instid0(VALU_DEP_2) | instskip(NEXT) | instid1(VALU_DEP_1)
	v_pk_fma_f32 v[84:85], v[84:85], v[18:19], v[86:87] op_sel_hi:[1,1,0]
	v_mov_b32_e32 v89, v85
	ds_load_2addr_b64 v[84:87], v78 offset0:15 offset1:16
	v_pk_add_f32 v[30:31], v[30:31], v[88:89] neg_lo:[0,1] neg_hi:[0,1]
	s_wait_dscnt 0x0
	v_pk_mul_f32 v[88:89], v[84:85], v[76:77] op_sel:[0,1]
	s_delay_alu instid0(VALU_DEP_1) | instskip(SKIP_1) | instid1(VALU_DEP_1)
	v_pk_fma_f32 v[90:91], v[84:85], v[74:75], v[88:89] op_sel:[0,0,1] op_sel_hi:[1,1,0] neg_lo:[0,0,1] neg_hi:[0,0,1]
	v_pk_fma_f32 v[84:85], v[84:85], v[74:75], v[88:89] op_sel:[0,0,1] op_sel_hi:[1,0,0]
	v_mov_b32_e32 v91, v85
	v_pk_mul_f32 v[84:85], v[86:87], v[76:77] op_sel:[0,1]
	s_delay_alu instid0(VALU_DEP_1) | instskip(SKIP_1) | instid1(VALU_DEP_1)
	v_pk_fma_f32 v[88:89], v[86:87], v[74:75], v[84:85] op_sel:[0,0,1] op_sel_hi:[1,1,0] neg_lo:[0,0,1] neg_hi:[0,0,1]
	v_pk_fma_f32 v[84:85], v[86:87], v[74:75], v[84:85] op_sel:[0,0,1] op_sel_hi:[1,0,0]
	v_mov_b32_e32 v89, v85
	ds_load_2addr_b64 v[84:87], v78 offset0:17 offset1:18
	v_pk_add_f32 v[24:25], v[24:25], v[90:91] neg_lo:[0,1] neg_hi:[0,1]
	v_pk_add_f32 v[62:63], v[62:63], v[88:89] neg_lo:[0,1] neg_hi:[0,1]
	s_wait_dscnt 0x0
	v_pk_mul_f32 v[88:89], v[84:85], v[76:77] op_sel:[0,1]
	s_delay_alu instid0(VALU_DEP_1) | instskip(SKIP_1) | instid1(VALU_DEP_1)
	v_pk_fma_f32 v[90:91], v[84:85], v[74:75], v[88:89] op_sel:[0,0,1] op_sel_hi:[1,1,0] neg_lo:[0,0,1] neg_hi:[0,0,1]
	v_pk_fma_f32 v[84:85], v[84:85], v[74:75], v[88:89] op_sel:[0,0,1] op_sel_hi:[1,0,0]
	v_mov_b32_e32 v91, v85
	v_pk_mul_f32 v[84:85], v[86:87], v[76:77] op_sel:[0,1]
	s_delay_alu instid0(VALU_DEP_1) | instskip(SKIP_1) | instid1(VALU_DEP_1)
	v_pk_fma_f32 v[88:89], v[86:87], v[74:75], v[84:85] op_sel:[0,0,1] op_sel_hi:[1,1,0] neg_lo:[0,0,1] neg_hi:[0,0,1]
	v_pk_fma_f32 v[84:85], v[86:87], v[74:75], v[84:85] op_sel:[0,0,1] op_sel_hi:[1,0,0]
	v_mov_b32_e32 v89, v85
	ds_load_2addr_b64 v[84:87], v78 offset0:19 offset1:20
	v_pk_add_f32 v[42:43], v[42:43], v[90:91] neg_lo:[0,1] neg_hi:[0,1]
	v_pk_add_f32 v[44:45], v[44:45], v[88:89] neg_lo:[0,1] neg_hi:[0,1]
	s_wait_dscnt 0x0
	v_dual_mul_f32 v88, v85, v77 :: v_dual_mul_f32 v90, v85, v74
	s_delay_alu instid0(VALU_DEP_1) | instskip(NEXT) | instid1(VALU_DEP_2)
	v_pk_fma_f32 v[88:89], v[84:85], v[18:19], v[88:89] op_sel_hi:[1,1,0] neg_lo:[0,0,1] neg_hi:[0,0,1]
	v_pk_fma_f32 v[84:85], v[84:85], v[18:19], v[90:91] op_sel:[1,0,0] op_sel_hi:[0,1,0]
	s_delay_alu instid0(VALU_DEP_1) | instskip(SKIP_1) | instid1(VALU_DEP_2)
	v_mov_b32_e32 v89, v85
	v_pk_mul_f32 v[84:85], v[86:87], v[76:77] op_sel:[0,1]
	v_pk_add_f32 v[40:41], v[40:41], v[88:89] neg_lo:[0,1] neg_hi:[0,1]
	s_delay_alu instid0(VALU_DEP_2) | instskip(SKIP_1) | instid1(VALU_DEP_1)
	v_pk_fma_f32 v[88:89], v[86:87], v[74:75], v[84:85] op_sel:[0,0,1] op_sel_hi:[1,1,0] neg_lo:[0,0,1] neg_hi:[0,0,1]
	v_pk_fma_f32 v[84:85], v[86:87], v[74:75], v[84:85] op_sel:[0,0,1] op_sel_hi:[1,0,0]
	v_mov_b32_e32 v89, v85
	ds_load_2addr_b64 v[84:87], v78 offset0:21 offset1:22
	v_pk_add_f32 v[60:61], v[60:61], v[88:89] neg_lo:[0,1] neg_hi:[0,1]
	s_wait_dscnt 0x0
	v_pk_mul_f32 v[88:89], v[84:85], v[76:77] op_sel:[0,1]
	s_delay_alu instid0(VALU_DEP_1) | instskip(SKIP_1) | instid1(VALU_DEP_1)
	v_pk_fma_f32 v[90:91], v[84:85], v[74:75], v[88:89] op_sel:[0,0,1] op_sel_hi:[1,1,0] neg_lo:[0,0,1] neg_hi:[0,0,1]
	v_pk_fma_f32 v[84:85], v[84:85], v[74:75], v[88:89] op_sel:[0,0,1] op_sel_hi:[1,0,0]
	v_mov_b32_e32 v91, v85
	v_pk_mul_f32 v[84:85], v[86:87], v[76:77] op_sel:[0,1]
	s_delay_alu instid0(VALU_DEP_2) | instskip(NEXT) | instid1(VALU_DEP_2)
	v_pk_add_f32 v[36:37], v[36:37], v[90:91] neg_lo:[0,1] neg_hi:[0,1]
	v_pk_fma_f32 v[88:89], v[86:87], v[74:75], v[84:85] op_sel:[0,0,1] op_sel_hi:[1,1,0] neg_lo:[0,0,1] neg_hi:[0,0,1]
	v_pk_fma_f32 v[84:85], v[86:87], v[74:75], v[84:85] op_sel:[0,0,1] op_sel_hi:[1,0,0]
	s_delay_alu instid0(VALU_DEP_1) | instskip(SKIP_4) | instid1(VALU_DEP_1)
	v_mov_b32_e32 v89, v85
	ds_load_2addr_b64 v[84:87], v78 offset0:23 offset1:24
	v_pk_add_f32 v[38:39], v[38:39], v[88:89] neg_lo:[0,1] neg_hi:[0,1]
	s_wait_dscnt 0x0
	v_pk_mul_f32 v[88:89], v[84:85], v[76:77] op_sel:[0,1]
	v_pk_fma_f32 v[90:91], v[84:85], v[74:75], v[88:89] op_sel:[0,0,1] op_sel_hi:[1,1,0] neg_lo:[0,0,1] neg_hi:[0,0,1]
	v_pk_fma_f32 v[84:85], v[84:85], v[74:75], v[88:89] op_sel:[0,0,1] op_sel_hi:[1,0,0]
	v_dual_mul_f32 v88, v87, v77 :: v_dual_mov_b32 v84, v87
	s_delay_alu instid0(VALU_DEP_2) | instskip(NEXT) | instid1(VALU_DEP_2)
	v_dual_mov_b32 v91, v85 :: v_dual_mov_b32 v85, v86
	v_pk_fma_f32 v[88:89], v[86:87], v[18:19], v[88:89] op_sel_hi:[1,1,0] neg_lo:[0,0,1] neg_hi:[0,0,1]
	v_mul_f32_e32 v86, v87, v74
	s_delay_alu instid0(VALU_DEP_3) | instskip(NEXT) | instid1(VALU_DEP_2)
	v_pk_add_f32 v[34:35], v[34:35], v[90:91] neg_lo:[0,1] neg_hi:[0,1]
	v_pk_fma_f32 v[84:85], v[84:85], v[18:19], v[86:87] op_sel_hi:[1,1,0]
	s_delay_alu instid0(VALU_DEP_1) | instskip(SKIP_4) | instid1(VALU_DEP_1)
	v_mov_b32_e32 v89, v85
	ds_load_2addr_b64 v[84:87], v78 offset0:25 offset1:26
	v_pk_add_f32 v[56:57], v[56:57], v[88:89] neg_lo:[0,1] neg_hi:[0,1]
	s_wait_dscnt 0x0
	v_pk_mul_f32 v[88:89], v[84:85], v[76:77] op_sel:[0,1]
	v_pk_fma_f32 v[90:91], v[84:85], v[74:75], v[88:89] op_sel:[0,0,1] op_sel_hi:[1,1,0] neg_lo:[0,0,1] neg_hi:[0,0,1]
	v_pk_fma_f32 v[84:85], v[84:85], v[74:75], v[88:89] op_sel:[0,0,1] op_sel_hi:[1,0,0]
	s_delay_alu instid0(VALU_DEP_1) | instskip(SKIP_1) | instid1(VALU_DEP_1)
	v_mov_b32_e32 v91, v85
	v_pk_mul_f32 v[84:85], v[86:87], v[76:77] op_sel:[0,1]
	v_pk_fma_f32 v[88:89], v[86:87], v[74:75], v[84:85] op_sel:[0,0,1] op_sel_hi:[1,1,0] neg_lo:[0,0,1] neg_hi:[0,0,1]
	v_pk_fma_f32 v[84:85], v[86:87], v[74:75], v[84:85] op_sel:[0,0,1] op_sel_hi:[1,0,0]
	s_delay_alu instid0(VALU_DEP_1)
	v_mov_b32_e32 v89, v85
	ds_load_2addr_b64 v[84:87], v78 offset0:27 offset1:28
	v_pk_add_f32 v[22:23], v[22:23], v[90:91] neg_lo:[0,1] neg_hi:[0,1]
	v_pk_add_f32 v[28:29], v[28:29], v[88:89] neg_lo:[0,1] neg_hi:[0,1]
	s_wait_dscnt 0x0
	v_pk_mul_f32 v[88:89], v[84:85], v[76:77] op_sel:[0,1]
	s_delay_alu instid0(VALU_DEP_1) | instskip(SKIP_1) | instid1(VALU_DEP_1)
	v_pk_fma_f32 v[90:91], v[84:85], v[74:75], v[88:89] op_sel:[0,0,1] op_sel_hi:[1,1,0] neg_lo:[0,0,1] neg_hi:[0,0,1]
	v_pk_fma_f32 v[84:85], v[84:85], v[74:75], v[88:89] op_sel:[0,0,1] op_sel_hi:[1,0,0]
	v_mov_b32_e32 v91, v85
	v_pk_mul_f32 v[84:85], v[86:87], v[76:77] op_sel:[0,1]
	s_delay_alu instid0(VALU_DEP_1) | instskip(SKIP_1) | instid1(VALU_DEP_1)
	v_pk_fma_f32 v[88:89], v[86:87], v[74:75], v[84:85] op_sel:[0,0,1] op_sel_hi:[1,1,0] neg_lo:[0,0,1] neg_hi:[0,0,1]
	v_pk_fma_f32 v[84:85], v[86:87], v[74:75], v[84:85] op_sel:[0,0,1] op_sel_hi:[1,0,0]
	v_mov_b32_e32 v89, v85
	ds_load_2addr_b64 v[84:87], v78 offset0:29 offset1:30
	v_pk_add_f32 v[20:21], v[20:21], v[90:91] neg_lo:[0,1] neg_hi:[0,1]
	v_pk_add_f32 v[50:51], v[50:51], v[88:89] neg_lo:[0,1] neg_hi:[0,1]
	s_wait_dscnt 0x0
	v_dual_mul_f32 v88, v85, v77 :: v_dual_mul_f32 v90, v85, v74
	s_delay_alu instid0(VALU_DEP_1) | instskip(NEXT) | instid1(VALU_DEP_2)
	v_pk_fma_f32 v[88:89], v[84:85], v[18:19], v[88:89] op_sel_hi:[1,1,0] neg_lo:[0,0,1] neg_hi:[0,0,1]
	v_pk_fma_f32 v[84:85], v[84:85], v[18:19], v[90:91] op_sel:[1,0,0] op_sel_hi:[0,1,0]
	s_delay_alu instid0(VALU_DEP_1) | instskip(SKIP_1) | instid1(VALU_DEP_2)
	v_mov_b32_e32 v89, v85
	v_pk_mul_f32 v[84:85], v[86:87], v[76:77] op_sel:[0,1]
	v_pk_add_f32 v[12:13], v[12:13], v[88:89] neg_lo:[0,1] neg_hi:[0,1]
	s_delay_alu instid0(VALU_DEP_2) | instskip(SKIP_1) | instid1(VALU_DEP_1)
	v_pk_fma_f32 v[88:89], v[86:87], v[74:75], v[84:85] op_sel:[0,0,1] op_sel_hi:[1,1,0] neg_lo:[0,0,1] neg_hi:[0,0,1]
	v_pk_fma_f32 v[84:85], v[86:87], v[74:75], v[84:85] op_sel:[0,0,1] op_sel_hi:[1,0,0]
	v_mov_b32_e32 v89, v85
	ds_load_2addr_b64 v[84:87], v78 offset0:31 offset1:32
	v_pk_add_f32 v[48:49], v[48:49], v[88:89] neg_lo:[0,1] neg_hi:[0,1]
	s_wait_dscnt 0x0
	v_pk_mul_f32 v[88:89], v[84:85], v[76:77] op_sel:[0,1]
	s_delay_alu instid0(VALU_DEP_1) | instskip(SKIP_1) | instid1(VALU_DEP_1)
	v_pk_fma_f32 v[90:91], v[84:85], v[74:75], v[88:89] op_sel:[0,0,1] op_sel_hi:[1,1,0] neg_lo:[0,0,1] neg_hi:[0,0,1]
	v_pk_fma_f32 v[84:85], v[84:85], v[74:75], v[88:89] op_sel:[0,0,1] op_sel_hi:[1,0,0]
	v_mov_b32_e32 v91, v85
	v_pk_mul_f32 v[84:85], v[86:87], v[76:77] op_sel:[0,1]
	s_delay_alu instid0(VALU_DEP_2) | instskip(NEXT) | instid1(VALU_DEP_2)
	v_pk_add_f32 v[46:47], v[46:47], v[90:91] neg_lo:[0,1] neg_hi:[0,1]
	v_pk_fma_f32 v[88:89], v[86:87], v[74:75], v[84:85] op_sel:[0,0,1] op_sel_hi:[1,1,0] neg_lo:[0,0,1] neg_hi:[0,0,1]
	v_pk_fma_f32 v[84:85], v[86:87], v[74:75], v[84:85] op_sel:[0,0,1] op_sel_hi:[1,0,0]
	s_delay_alu instid0(VALU_DEP_1) | instskip(SKIP_4) | instid1(VALU_DEP_1)
	v_mov_b32_e32 v89, v85
	ds_load_b64 v[84:85], v78 offset:264
	v_pk_add_f32 v[32:33], v[32:33], v[88:89] neg_lo:[0,1] neg_hi:[0,1]
	s_wait_dscnt 0x0
	v_pk_mul_f32 v[76:77], v[84:85], v[76:77] op_sel:[0,1]
	v_pk_fma_f32 v[86:87], v[84:85], v[74:75], v[76:77] op_sel:[0,0,1] op_sel_hi:[1,1,0] neg_lo:[0,0,1] neg_hi:[0,0,1]
	v_pk_fma_f32 v[74:75], v[84:85], v[74:75], v[76:77] op_sel:[0,0,1] op_sel_hi:[1,0,0]
	s_delay_alu instid0(VALU_DEP_1) | instskip(NEXT) | instid1(VALU_DEP_1)
	v_mov_b32_e32 v87, v75
	v_pk_add_f32 v[72:73], v[72:73], v[86:87] neg_lo:[0,1] neg_hi:[0,1]
.LBB66_230:
	s_or_b32 exec_lo, exec_lo, s0
	v_lshl_add_u32 v74, v82, 3, v78
	s_barrier_signal -1
	s_barrier_wait -1
	ds_store_b64 v74, v[14:15]
	s_wait_dscnt 0x0
	s_barrier_signal -1
	s_barrier_wait -1
	ds_load_b64 v[76:77], v78 offset:88
	v_mov_b32_e32 v74, 11
	s_cmp_lt_i32 s18, 13
	s_cbranch_scc1 .LBB66_233
; %bb.231:
	v_add3_u32 v75, v79, 0, 0x60
	v_mov_b32_e32 v74, 11
	s_mov_b32 s0, 12
.LBB66_232:                             ; =>This Inner Loop Header: Depth=1
	ds_load_b64 v[84:85], v75
	s_wait_dscnt 0x1
	v_cmp_gt_f32_e32 vcc_lo, 0, v76
	v_cndmask_b32_e64 v86, v76, -v76, vcc_lo
	v_cmp_gt_f32_e32 vcc_lo, 0, v77
	v_cndmask_b32_e64 v88, v77, -v77, vcc_lo
	s_wait_dscnt 0x0
	v_cmp_gt_f32_e32 vcc_lo, 0, v84
	v_cndmask_b32_e64 v87, v84, -v84, vcc_lo
	v_cmp_gt_f32_e32 vcc_lo, 0, v85
	v_cndmask_b32_e64 v89, v85, -v85, vcc_lo
	s_delay_alu instid0(VALU_DEP_1) | instskip(NEXT) | instid1(VALU_DEP_1)
	v_pk_add_f32 v[86:87], v[86:87], v[88:89]
	v_cmp_lt_f32_e32 vcc_lo, v86, v87
	v_dual_add_nc_u32 v75, 8, v75 :: v_dual_cndmask_b32 v77, v77, v85, vcc_lo
	v_cndmask_b32_e32 v76, v76, v84, vcc_lo
	v_cndmask_b32_e64 v74, v74, s0, vcc_lo
	s_add_co_i32 s0, s0, 1
	s_delay_alu instid0(SALU_CYCLE_1)
	s_cmp_lg_u32 s18, s0
	s_cbranch_scc1 .LBB66_232
.LBB66_233:
	s_wait_dscnt 0x0
	v_cmp_eq_f32_e32 vcc_lo, 0, v76
	v_cmp_eq_f32_e64 s0, 0, v77
	s_and_b32 s0, vcc_lo, s0
	s_delay_alu instid0(SALU_CYCLE_1) | instskip(NEXT) | instid1(SALU_CYCLE_1)
	s_and_saveexec_b32 s1, s0
	s_xor_b32 s0, exec_lo, s1
; %bb.234:
	v_cmp_ne_u32_e32 vcc_lo, 0, v80
	v_cndmask_b32_e32 v80, 12, v80, vcc_lo
; %bb.235:
	s_and_not1_saveexec_b32 s0, s0
	s_cbranch_execz .LBB66_241
; %bb.236:
	v_cmp_ngt_f32_e64 s1, |v76|, |v77|
	s_and_saveexec_b32 s12, s1
	s_delay_alu instid0(SALU_CYCLE_1)
	s_xor_b32 s1, exec_lo, s12
	s_cbranch_execz .LBB66_238
; %bb.237:
	v_div_scale_f32 v75, null, v77, v77, v76
	v_div_scale_f32 v85, vcc_lo, v76, v77, v76
	s_delay_alu instid0(VALU_DEP_2) | instskip(SKIP_1) | instid1(TRANS32_DEP_1)
	v_rcp_f32_e32 v83, v75
	v_nop
	v_fma_f32 v84, -v75, v83, 1.0
	s_delay_alu instid0(VALU_DEP_1) | instskip(NEXT) | instid1(VALU_DEP_1)
	v_fmac_f32_e32 v83, v84, v83
	v_mul_f32_e32 v84, v85, v83
	s_delay_alu instid0(VALU_DEP_1) | instskip(NEXT) | instid1(VALU_DEP_1)
	v_fma_f32 v86, -v75, v84, v85
	v_fmac_f32_e32 v84, v86, v83
	s_delay_alu instid0(VALU_DEP_1) | instskip(NEXT) | instid1(VALU_DEP_1)
	v_fma_f32 v75, -v75, v84, v85
	v_div_fmas_f32 v75, v75, v83, v84
	s_delay_alu instid0(VALU_DEP_1) | instskip(NEXT) | instid1(VALU_DEP_1)
	v_div_fixup_f32 v75, v75, v77, v76
	v_fmac_f32_e32 v77, v76, v75
	s_delay_alu instid0(VALU_DEP_1) | instskip(SKIP_1) | instid1(VALU_DEP_2)
	v_div_scale_f32 v76, null, v77, v77, 1.0
	v_div_scale_f32 v85, vcc_lo, 1.0, v77, 1.0
	v_rcp_f32_e32 v83, v76
	v_nop
	s_delay_alu instid0(TRANS32_DEP_1) | instskip(NEXT) | instid1(VALU_DEP_1)
	v_fma_f32 v84, -v76, v83, 1.0
	v_fmac_f32_e32 v83, v84, v83
	s_delay_alu instid0(VALU_DEP_1) | instskip(NEXT) | instid1(VALU_DEP_1)
	v_mul_f32_e32 v84, v85, v83
	v_fma_f32 v86, -v76, v84, v85
	s_delay_alu instid0(VALU_DEP_1) | instskip(NEXT) | instid1(VALU_DEP_1)
	v_fmac_f32_e32 v84, v86, v83
	v_fma_f32 v76, -v76, v84, v85
	s_delay_alu instid0(VALU_DEP_1) | instskip(NEXT) | instid1(VALU_DEP_1)
	v_div_fmas_f32 v76, v76, v83, v84
	v_div_fixup_f32 v77, v76, v77, 1.0
	s_delay_alu instid0(VALU_DEP_1)
	v_mul_f32_e32 v76, v75, v77
	v_xor_b32_e32 v77, 0x80000000, v77
.LBB66_238:
	s_and_not1_saveexec_b32 s1, s1
	s_cbranch_execz .LBB66_240
; %bb.239:
	s_delay_alu instid0(VALU_DEP_1) | instskip(SKIP_1) | instid1(VALU_DEP_2)
	v_div_scale_f32 v75, null, v76, v76, v77
	v_div_scale_f32 v85, vcc_lo, v77, v76, v77
	v_rcp_f32_e32 v83, v75
	v_nop
	s_delay_alu instid0(TRANS32_DEP_1) | instskip(NEXT) | instid1(VALU_DEP_1)
	v_fma_f32 v84, -v75, v83, 1.0
	v_fmac_f32_e32 v83, v84, v83
	s_delay_alu instid0(VALU_DEP_1) | instskip(NEXT) | instid1(VALU_DEP_1)
	v_mul_f32_e32 v84, v85, v83
	v_fma_f32 v86, -v75, v84, v85
	s_delay_alu instid0(VALU_DEP_1) | instskip(NEXT) | instid1(VALU_DEP_1)
	v_fmac_f32_e32 v84, v86, v83
	v_fma_f32 v75, -v75, v84, v85
	s_delay_alu instid0(VALU_DEP_1) | instskip(NEXT) | instid1(VALU_DEP_1)
	v_div_fmas_f32 v75, v75, v83, v84
	v_div_fixup_f32 v75, v75, v76, v77
	s_delay_alu instid0(VALU_DEP_1) | instskip(NEXT) | instid1(VALU_DEP_1)
	v_fmac_f32_e32 v76, v77, v75
	v_div_scale_f32 v77, null, v76, v76, 1.0
	s_delay_alu instid0(VALU_DEP_1) | instskip(SKIP_1) | instid1(TRANS32_DEP_1)
	v_rcp_f32_e32 v83, v77
	v_nop
	v_fma_f32 v84, -v77, v83, 1.0
	s_delay_alu instid0(VALU_DEP_1) | instskip(SKIP_1) | instid1(VALU_DEP_1)
	v_fmac_f32_e32 v83, v84, v83
	v_div_scale_f32 v84, vcc_lo, 1.0, v76, 1.0
	v_mul_f32_e32 v85, v84, v83
	s_delay_alu instid0(VALU_DEP_1) | instskip(NEXT) | instid1(VALU_DEP_1)
	v_fma_f32 v86, -v77, v85, v84
	v_fmac_f32_e32 v85, v86, v83
	s_delay_alu instid0(VALU_DEP_1) | instskip(NEXT) | instid1(VALU_DEP_1)
	v_fma_f32 v77, -v77, v85, v84
	v_div_fmas_f32 v77, v77, v83, v85
	s_delay_alu instid0(VALU_DEP_1) | instskip(NEXT) | instid1(VALU_DEP_1)
	v_div_fixup_f32 v76, v77, v76, 1.0
	v_mul_f32_e64 v77, v75, -v76
.LBB66_240:
	s_or_b32 exec_lo, exec_lo, s1
.LBB66_241:
	s_delay_alu instid0(SALU_CYCLE_1) | instskip(NEXT) | instid1(SALU_CYCLE_1)
	s_or_b32 exec_lo, exec_lo, s0
	s_mov_b32 s0, exec_lo
	v_cmpx_ne_u32_e64 v82, v74
	s_xor_b32 s0, exec_lo, s0
	s_cbranch_execz .LBB66_247
; %bb.242:
	s_mov_b32 s1, exec_lo
	v_cmpx_eq_u32_e32 11, v82
	s_cbranch_execz .LBB66_246
; %bb.243:
	v_cmp_ne_u32_e32 vcc_lo, 11, v74
	s_xor_b32 s12, s16, -1
	s_delay_alu instid0(SALU_CYCLE_1) | instskip(NEXT) | instid1(SALU_CYCLE_1)
	s_and_b32 s13, s12, vcc_lo
	s_and_saveexec_b32 s12, s13
	s_cbranch_execz .LBB66_245
; %bb.244:
	v_ashrrev_i32_e32 v75, 31, v74
	s_delay_alu instid0(VALU_DEP_1)
	v_lshl_add_u64 v[82:83], v[74:75], 2, v[4:5]
	s_clause 0x1
	global_load_b32 v75, v[82:83], off
	global_load_b32 v81, v[4:5], off offset:44
	s_wait_loadcnt 0x1
	global_store_b32 v[4:5], v75, off offset:44
	s_wait_loadcnt 0x0
	global_store_b32 v[82:83], v81, off
.LBB66_245:
	s_wait_xcnt 0x0
	s_or_b32 exec_lo, exec_lo, s12
	v_dual_mov_b32 v82, v74 :: v_dual_mov_b32 v81, v74
.LBB66_246:
	s_or_b32 exec_lo, exec_lo, s1
.LBB66_247:
	s_and_not1_saveexec_b32 s0, s0
	s_cbranch_execz .LBB66_249
; %bb.248:
	v_dual_mov_b32 v74, v58 :: v_dual_mov_b32 v75, v59
	v_dual_mov_b32 v82, v26 :: v_dual_mov_b32 v83, v27
	ds_store_2addr_b64 v78, v[74:75], v[82:83] offset0:12 offset1:13
	v_dual_mov_b32 v74, v30 :: v_dual_mov_b32 v75, v31
	v_dual_mov_b32 v82, v24 :: v_dual_mov_b32 v83, v25
	ds_store_2addr_b64 v78, v[74:75], v[82:83] offset0:14 offset1:15
	;; [unrolled: 3-line block ×10, first 2 shown]
	v_dual_mov_b32 v74, v32 :: v_dual_mov_b32 v75, v33
	v_mov_b32_e32 v82, 11
	ds_store_2addr_b64 v78, v[74:75], v[72:73] offset0:32 offset1:33
.LBB66_249:
	s_or_b32 exec_lo, exec_lo, s0
	s_delay_alu instid0(SALU_CYCLE_1)
	s_mov_b32 s0, exec_lo
	s_wait_storecnt_dscnt 0x0
	s_barrier_signal -1
	s_barrier_wait -1
	v_cmpx_lt_i32_e32 11, v82
	s_cbranch_execz .LBB66_251
; %bb.250:
	v_pk_mul_f32 v[84:85], v[76:77], v[14:15] op_sel:[1,1] op_sel_hi:[0,1]
	s_delay_alu instid0(VALU_DEP_1)
	v_pk_fma_f32 v[74:75], v[76:77], v[14:15], v[84:85] op_sel_hi:[1,0,1] neg_lo:[0,0,1] neg_hi:[0,0,1]
	v_pk_fma_f32 v[76:77], v[76:77], v[14:15], v[84:85] op_sel_hi:[1,0,1]
	ds_load_2addr_b64 v[84:87], v78 offset0:12 offset1:13
	v_dual_mov_b32 v14, v74 :: v_dual_mov_b32 v15, v77
	s_wait_dscnt 0x0
	v_pk_mul_f32 v[88:89], v[84:85], v[76:77] op_sel:[0,1]
	s_delay_alu instid0(VALU_DEP_1) | instskip(SKIP_1) | instid1(VALU_DEP_1)
	v_pk_fma_f32 v[90:91], v[84:85], v[74:75], v[88:89] op_sel:[0,0,1] op_sel_hi:[1,1,0] neg_lo:[0,0,1] neg_hi:[0,0,1]
	v_pk_fma_f32 v[84:85], v[84:85], v[74:75], v[88:89] op_sel:[0,0,1] op_sel_hi:[1,0,0]
	v_mov_b32_e32 v91, v85
	v_pk_mul_f32 v[84:85], v[86:87], v[76:77] op_sel:[0,1]
	s_delay_alu instid0(VALU_DEP_1) | instskip(SKIP_1) | instid1(VALU_DEP_1)
	v_pk_fma_f32 v[88:89], v[86:87], v[74:75], v[84:85] op_sel:[0,0,1] op_sel_hi:[1,1,0] neg_lo:[0,0,1] neg_hi:[0,0,1]
	v_pk_fma_f32 v[84:85], v[86:87], v[74:75], v[84:85] op_sel:[0,0,1] op_sel_hi:[1,0,0]
	v_mov_b32_e32 v89, v85
	ds_load_2addr_b64 v[84:87], v78 offset0:14 offset1:15
	v_pk_add_f32 v[58:59], v[58:59], v[90:91] neg_lo:[0,1] neg_hi:[0,1]
	v_pk_add_f32 v[26:27], v[26:27], v[88:89] neg_lo:[0,1] neg_hi:[0,1]
	s_wait_dscnt 0x0
	v_pk_mul_f32 v[88:89], v[84:85], v[76:77] op_sel:[0,1]
	s_delay_alu instid0(VALU_DEP_1) | instskip(SKIP_2) | instid1(VALU_DEP_2)
	v_pk_fma_f32 v[90:91], v[84:85], v[74:75], v[88:89] op_sel:[0,0,1] op_sel_hi:[1,1,0] neg_lo:[0,0,1] neg_hi:[0,0,1]
	v_pk_fma_f32 v[84:85], v[84:85], v[74:75], v[88:89] op_sel:[0,0,1] op_sel_hi:[1,0,0]
	v_dual_mul_f32 v88, v87, v77 :: v_dual_mov_b32 v84, v87
	v_dual_mov_b32 v91, v85 :: v_dual_mov_b32 v85, v86
	s_delay_alu instid0(VALU_DEP_2) | instskip(SKIP_1) | instid1(VALU_DEP_3)
	v_pk_fma_f32 v[88:89], v[86:87], v[14:15], v[88:89] op_sel_hi:[1,1,0] neg_lo:[0,0,1] neg_hi:[0,0,1]
	v_mul_f32_e32 v86, v87, v74
	v_pk_add_f32 v[30:31], v[30:31], v[90:91] neg_lo:[0,1] neg_hi:[0,1]
	s_delay_alu instid0(VALU_DEP_2) | instskip(NEXT) | instid1(VALU_DEP_1)
	v_pk_fma_f32 v[84:85], v[84:85], v[14:15], v[86:87] op_sel_hi:[1,1,0]
	v_mov_b32_e32 v89, v85
	ds_load_2addr_b64 v[84:87], v78 offset0:16 offset1:17
	v_pk_add_f32 v[24:25], v[24:25], v[88:89] neg_lo:[0,1] neg_hi:[0,1]
	s_wait_dscnt 0x0
	v_pk_mul_f32 v[88:89], v[84:85], v[76:77] op_sel:[0,1]
	s_delay_alu instid0(VALU_DEP_1) | instskip(SKIP_1) | instid1(VALU_DEP_1)
	v_pk_fma_f32 v[90:91], v[84:85], v[74:75], v[88:89] op_sel:[0,0,1] op_sel_hi:[1,1,0] neg_lo:[0,0,1] neg_hi:[0,0,1]
	v_pk_fma_f32 v[84:85], v[84:85], v[74:75], v[88:89] op_sel:[0,0,1] op_sel_hi:[1,0,0]
	v_mov_b32_e32 v91, v85
	v_pk_mul_f32 v[84:85], v[86:87], v[76:77] op_sel:[0,1]
	s_delay_alu instid0(VALU_DEP_1) | instskip(SKIP_1) | instid1(VALU_DEP_1)
	v_pk_fma_f32 v[88:89], v[86:87], v[74:75], v[84:85] op_sel:[0,0,1] op_sel_hi:[1,1,0] neg_lo:[0,0,1] neg_hi:[0,0,1]
	v_pk_fma_f32 v[84:85], v[86:87], v[74:75], v[84:85] op_sel:[0,0,1] op_sel_hi:[1,0,0]
	v_mov_b32_e32 v89, v85
	ds_load_2addr_b64 v[84:87], v78 offset0:18 offset1:19
	v_pk_add_f32 v[62:63], v[62:63], v[90:91] neg_lo:[0,1] neg_hi:[0,1]
	v_pk_add_f32 v[42:43], v[42:43], v[88:89] neg_lo:[0,1] neg_hi:[0,1]
	s_wait_dscnt 0x0
	v_pk_mul_f32 v[88:89], v[84:85], v[76:77] op_sel:[0,1]
	s_delay_alu instid0(VALU_DEP_1) | instskip(SKIP_1) | instid1(VALU_DEP_1)
	v_pk_fma_f32 v[90:91], v[84:85], v[74:75], v[88:89] op_sel:[0,0,1] op_sel_hi:[1,1,0] neg_lo:[0,0,1] neg_hi:[0,0,1]
	v_pk_fma_f32 v[84:85], v[84:85], v[74:75], v[88:89] op_sel:[0,0,1] op_sel_hi:[1,0,0]
	v_mov_b32_e32 v91, v85
	v_pk_mul_f32 v[84:85], v[86:87], v[76:77] op_sel:[0,1]
	s_delay_alu instid0(VALU_DEP_1) | instskip(SKIP_1) | instid1(VALU_DEP_1)
	v_pk_fma_f32 v[88:89], v[86:87], v[74:75], v[84:85] op_sel:[0,0,1] op_sel_hi:[1,1,0] neg_lo:[0,0,1] neg_hi:[0,0,1]
	v_pk_fma_f32 v[84:85], v[86:87], v[74:75], v[84:85] op_sel:[0,0,1] op_sel_hi:[1,0,0]
	v_mov_b32_e32 v89, v85
	ds_load_2addr_b64 v[84:87], v78 offset0:20 offset1:21
	v_pk_add_f32 v[44:45], v[44:45], v[90:91] neg_lo:[0,1] neg_hi:[0,1]
	v_pk_add_f32 v[40:41], v[40:41], v[88:89] neg_lo:[0,1] neg_hi:[0,1]
	s_wait_dscnt 0x0
	v_dual_mul_f32 v88, v85, v77 :: v_dual_mul_f32 v90, v85, v74
	s_delay_alu instid0(VALU_DEP_1) | instskip(NEXT) | instid1(VALU_DEP_2)
	v_pk_fma_f32 v[88:89], v[84:85], v[14:15], v[88:89] op_sel_hi:[1,1,0] neg_lo:[0,0,1] neg_hi:[0,0,1]
	v_pk_fma_f32 v[84:85], v[84:85], v[14:15], v[90:91] op_sel:[1,0,0] op_sel_hi:[0,1,0]
	s_delay_alu instid0(VALU_DEP_1) | instskip(SKIP_1) | instid1(VALU_DEP_2)
	v_mov_b32_e32 v89, v85
	v_pk_mul_f32 v[84:85], v[86:87], v[76:77] op_sel:[0,1]
	v_pk_add_f32 v[60:61], v[60:61], v[88:89] neg_lo:[0,1] neg_hi:[0,1]
	s_delay_alu instid0(VALU_DEP_2) | instskip(SKIP_1) | instid1(VALU_DEP_1)
	v_pk_fma_f32 v[88:89], v[86:87], v[74:75], v[84:85] op_sel:[0,0,1] op_sel_hi:[1,1,0] neg_lo:[0,0,1] neg_hi:[0,0,1]
	v_pk_fma_f32 v[84:85], v[86:87], v[74:75], v[84:85] op_sel:[0,0,1] op_sel_hi:[1,0,0]
	v_mov_b32_e32 v89, v85
	ds_load_2addr_b64 v[84:87], v78 offset0:22 offset1:23
	v_pk_add_f32 v[36:37], v[36:37], v[88:89] neg_lo:[0,1] neg_hi:[0,1]
	s_wait_dscnt 0x0
	v_pk_mul_f32 v[88:89], v[84:85], v[76:77] op_sel:[0,1]
	s_delay_alu instid0(VALU_DEP_1) | instskip(SKIP_1) | instid1(VALU_DEP_1)
	v_pk_fma_f32 v[90:91], v[84:85], v[74:75], v[88:89] op_sel:[0,0,1] op_sel_hi:[1,1,0] neg_lo:[0,0,1] neg_hi:[0,0,1]
	v_pk_fma_f32 v[84:85], v[84:85], v[74:75], v[88:89] op_sel:[0,0,1] op_sel_hi:[1,0,0]
	v_mov_b32_e32 v91, v85
	v_pk_mul_f32 v[84:85], v[86:87], v[76:77] op_sel:[0,1]
	s_delay_alu instid0(VALU_DEP_2) | instskip(NEXT) | instid1(VALU_DEP_2)
	v_pk_add_f32 v[38:39], v[38:39], v[90:91] neg_lo:[0,1] neg_hi:[0,1]
	v_pk_fma_f32 v[88:89], v[86:87], v[74:75], v[84:85] op_sel:[0,0,1] op_sel_hi:[1,1,0] neg_lo:[0,0,1] neg_hi:[0,0,1]
	v_pk_fma_f32 v[84:85], v[86:87], v[74:75], v[84:85] op_sel:[0,0,1] op_sel_hi:[1,0,0]
	s_delay_alu instid0(VALU_DEP_1) | instskip(SKIP_4) | instid1(VALU_DEP_1)
	v_mov_b32_e32 v89, v85
	ds_load_2addr_b64 v[84:87], v78 offset0:24 offset1:25
	v_pk_add_f32 v[34:35], v[34:35], v[88:89] neg_lo:[0,1] neg_hi:[0,1]
	s_wait_dscnt 0x0
	v_pk_mul_f32 v[88:89], v[84:85], v[76:77] op_sel:[0,1]
	v_pk_fma_f32 v[90:91], v[84:85], v[74:75], v[88:89] op_sel:[0,0,1] op_sel_hi:[1,1,0] neg_lo:[0,0,1] neg_hi:[0,0,1]
	v_pk_fma_f32 v[84:85], v[84:85], v[74:75], v[88:89] op_sel:[0,0,1] op_sel_hi:[1,0,0]
	v_dual_mul_f32 v88, v87, v77 :: v_dual_mov_b32 v84, v87
	s_delay_alu instid0(VALU_DEP_2) | instskip(NEXT) | instid1(VALU_DEP_2)
	v_dual_mov_b32 v91, v85 :: v_dual_mov_b32 v85, v86
	v_pk_fma_f32 v[88:89], v[86:87], v[14:15], v[88:89] op_sel_hi:[1,1,0] neg_lo:[0,0,1] neg_hi:[0,0,1]
	v_mul_f32_e32 v86, v87, v74
	s_delay_alu instid0(VALU_DEP_3) | instskip(NEXT) | instid1(VALU_DEP_2)
	v_pk_add_f32 v[56:57], v[56:57], v[90:91] neg_lo:[0,1] neg_hi:[0,1]
	v_pk_fma_f32 v[84:85], v[84:85], v[14:15], v[86:87] op_sel_hi:[1,1,0]
	s_delay_alu instid0(VALU_DEP_1) | instskip(SKIP_4) | instid1(VALU_DEP_1)
	v_mov_b32_e32 v89, v85
	ds_load_2addr_b64 v[84:87], v78 offset0:26 offset1:27
	v_pk_add_f32 v[22:23], v[22:23], v[88:89] neg_lo:[0,1] neg_hi:[0,1]
	s_wait_dscnt 0x0
	v_pk_mul_f32 v[88:89], v[84:85], v[76:77] op_sel:[0,1]
	v_pk_fma_f32 v[90:91], v[84:85], v[74:75], v[88:89] op_sel:[0,0,1] op_sel_hi:[1,1,0] neg_lo:[0,0,1] neg_hi:[0,0,1]
	v_pk_fma_f32 v[84:85], v[84:85], v[74:75], v[88:89] op_sel:[0,0,1] op_sel_hi:[1,0,0]
	s_delay_alu instid0(VALU_DEP_1) | instskip(SKIP_1) | instid1(VALU_DEP_1)
	v_mov_b32_e32 v91, v85
	v_pk_mul_f32 v[84:85], v[86:87], v[76:77] op_sel:[0,1]
	v_pk_fma_f32 v[88:89], v[86:87], v[74:75], v[84:85] op_sel:[0,0,1] op_sel_hi:[1,1,0] neg_lo:[0,0,1] neg_hi:[0,0,1]
	v_pk_fma_f32 v[84:85], v[86:87], v[74:75], v[84:85] op_sel:[0,0,1] op_sel_hi:[1,0,0]
	s_delay_alu instid0(VALU_DEP_1)
	v_mov_b32_e32 v89, v85
	ds_load_2addr_b64 v[84:87], v78 offset0:28 offset1:29
	v_pk_add_f32 v[28:29], v[28:29], v[90:91] neg_lo:[0,1] neg_hi:[0,1]
	v_pk_add_f32 v[20:21], v[20:21], v[88:89] neg_lo:[0,1] neg_hi:[0,1]
	s_wait_dscnt 0x0
	v_pk_mul_f32 v[88:89], v[84:85], v[76:77] op_sel:[0,1]
	s_delay_alu instid0(VALU_DEP_1) | instskip(SKIP_1) | instid1(VALU_DEP_1)
	v_pk_fma_f32 v[90:91], v[84:85], v[74:75], v[88:89] op_sel:[0,0,1] op_sel_hi:[1,1,0] neg_lo:[0,0,1] neg_hi:[0,0,1]
	v_pk_fma_f32 v[84:85], v[84:85], v[74:75], v[88:89] op_sel:[0,0,1] op_sel_hi:[1,0,0]
	v_mov_b32_e32 v91, v85
	v_pk_mul_f32 v[84:85], v[86:87], v[76:77] op_sel:[0,1]
	s_delay_alu instid0(VALU_DEP_1) | instskip(SKIP_1) | instid1(VALU_DEP_1)
	v_pk_fma_f32 v[88:89], v[86:87], v[74:75], v[84:85] op_sel:[0,0,1] op_sel_hi:[1,1,0] neg_lo:[0,0,1] neg_hi:[0,0,1]
	v_pk_fma_f32 v[84:85], v[86:87], v[74:75], v[84:85] op_sel:[0,0,1] op_sel_hi:[1,0,0]
	v_mov_b32_e32 v89, v85
	ds_load_2addr_b64 v[84:87], v78 offset0:30 offset1:31
	v_pk_add_f32 v[50:51], v[50:51], v[90:91] neg_lo:[0,1] neg_hi:[0,1]
	v_pk_add_f32 v[12:13], v[12:13], v[88:89] neg_lo:[0,1] neg_hi:[0,1]
	s_wait_dscnt 0x0
	v_dual_mul_f32 v88, v85, v77 :: v_dual_mul_f32 v90, v85, v74
	s_delay_alu instid0(VALU_DEP_1) | instskip(NEXT) | instid1(VALU_DEP_2)
	v_pk_fma_f32 v[88:89], v[84:85], v[14:15], v[88:89] op_sel_hi:[1,1,0] neg_lo:[0,0,1] neg_hi:[0,0,1]
	v_pk_fma_f32 v[84:85], v[84:85], v[14:15], v[90:91] op_sel:[1,0,0] op_sel_hi:[0,1,0]
	s_delay_alu instid0(VALU_DEP_1) | instskip(SKIP_1) | instid1(VALU_DEP_2)
	v_mov_b32_e32 v89, v85
	v_pk_mul_f32 v[84:85], v[86:87], v[76:77] op_sel:[0,1]
	v_pk_add_f32 v[48:49], v[48:49], v[88:89] neg_lo:[0,1] neg_hi:[0,1]
	s_delay_alu instid0(VALU_DEP_2) | instskip(SKIP_1) | instid1(VALU_DEP_1)
	v_pk_fma_f32 v[88:89], v[86:87], v[74:75], v[84:85] op_sel:[0,0,1] op_sel_hi:[1,1,0] neg_lo:[0,0,1] neg_hi:[0,0,1]
	v_pk_fma_f32 v[84:85], v[86:87], v[74:75], v[84:85] op_sel:[0,0,1] op_sel_hi:[1,0,0]
	v_mov_b32_e32 v89, v85
	ds_load_2addr_b64 v[84:87], v78 offset0:32 offset1:33
	v_pk_add_f32 v[46:47], v[46:47], v[88:89] neg_lo:[0,1] neg_hi:[0,1]
	s_wait_dscnt 0x0
	v_pk_mul_f32 v[88:89], v[84:85], v[76:77] op_sel:[0,1]
	v_pk_mul_f32 v[76:77], v[86:87], v[76:77] op_sel:[0,1]
	s_delay_alu instid0(VALU_DEP_2) | instskip(SKIP_1) | instid1(VALU_DEP_1)
	v_pk_fma_f32 v[90:91], v[84:85], v[74:75], v[88:89] op_sel:[0,0,1] op_sel_hi:[1,1,0] neg_lo:[0,0,1] neg_hi:[0,0,1]
	v_pk_fma_f32 v[84:85], v[84:85], v[74:75], v[88:89] op_sel:[0,0,1] op_sel_hi:[1,0,0]
	v_mov_b32_e32 v91, v85
	s_delay_alu instid0(VALU_DEP_4) | instskip(SKIP_1) | instid1(VALU_DEP_3)
	v_pk_fma_f32 v[84:85], v[86:87], v[74:75], v[76:77] op_sel:[0,0,1] op_sel_hi:[1,1,0] neg_lo:[0,0,1] neg_hi:[0,0,1]
	v_pk_fma_f32 v[74:75], v[86:87], v[74:75], v[76:77] op_sel:[0,0,1] op_sel_hi:[1,0,0]
	v_pk_add_f32 v[32:33], v[32:33], v[90:91] neg_lo:[0,1] neg_hi:[0,1]
	s_delay_alu instid0(VALU_DEP_2) | instskip(NEXT) | instid1(VALU_DEP_1)
	v_mov_b32_e32 v85, v75
	v_pk_add_f32 v[72:73], v[72:73], v[84:85] neg_lo:[0,1] neg_hi:[0,1]
.LBB66_251:
	s_or_b32 exec_lo, exec_lo, s0
	v_lshl_add_u32 v74, v82, 3, v78
	s_barrier_signal -1
	s_barrier_wait -1
	ds_store_b64 v74, v[58:59]
	s_wait_dscnt 0x0
	s_barrier_signal -1
	s_barrier_wait -1
	ds_load_b64 v[76:77], v78 offset:96
	v_mov_b32_e32 v74, 12
	s_cmp_lt_i32 s18, 14
	s_cbranch_scc1 .LBB66_254
; %bb.252:
	v_add3_u32 v75, v79, 0, 0x68
	v_mov_b32_e32 v74, 12
	s_mov_b32 s0, 13
.LBB66_253:                             ; =>This Inner Loop Header: Depth=1
	ds_load_b64 v[84:85], v75
	s_wait_dscnt 0x1
	v_cmp_gt_f32_e32 vcc_lo, 0, v76
	v_cndmask_b32_e64 v86, v76, -v76, vcc_lo
	v_cmp_gt_f32_e32 vcc_lo, 0, v77
	v_cndmask_b32_e64 v88, v77, -v77, vcc_lo
	s_wait_dscnt 0x0
	v_cmp_gt_f32_e32 vcc_lo, 0, v84
	v_cndmask_b32_e64 v87, v84, -v84, vcc_lo
	v_cmp_gt_f32_e32 vcc_lo, 0, v85
	v_cndmask_b32_e64 v89, v85, -v85, vcc_lo
	s_delay_alu instid0(VALU_DEP_1) | instskip(NEXT) | instid1(VALU_DEP_1)
	v_pk_add_f32 v[86:87], v[86:87], v[88:89]
	v_cmp_lt_f32_e32 vcc_lo, v86, v87
	v_dual_add_nc_u32 v75, 8, v75 :: v_dual_cndmask_b32 v77, v77, v85, vcc_lo
	v_cndmask_b32_e32 v76, v76, v84, vcc_lo
	v_cndmask_b32_e64 v74, v74, s0, vcc_lo
	s_add_co_i32 s0, s0, 1
	s_delay_alu instid0(SALU_CYCLE_1)
	s_cmp_lg_u32 s18, s0
	s_cbranch_scc1 .LBB66_253
.LBB66_254:
	s_wait_dscnt 0x0
	v_cmp_eq_f32_e32 vcc_lo, 0, v76
	v_cmp_eq_f32_e64 s0, 0, v77
	s_and_b32 s0, vcc_lo, s0
	s_delay_alu instid0(SALU_CYCLE_1) | instskip(NEXT) | instid1(SALU_CYCLE_1)
	s_and_saveexec_b32 s1, s0
	s_xor_b32 s0, exec_lo, s1
; %bb.255:
	v_cmp_ne_u32_e32 vcc_lo, 0, v80
	v_cndmask_b32_e32 v80, 13, v80, vcc_lo
; %bb.256:
	s_and_not1_saveexec_b32 s0, s0
	s_cbranch_execz .LBB66_262
; %bb.257:
	v_cmp_ngt_f32_e64 s1, |v76|, |v77|
	s_and_saveexec_b32 s12, s1
	s_delay_alu instid0(SALU_CYCLE_1)
	s_xor_b32 s1, exec_lo, s12
	s_cbranch_execz .LBB66_259
; %bb.258:
	v_div_scale_f32 v75, null, v77, v77, v76
	v_div_scale_f32 v85, vcc_lo, v76, v77, v76
	s_delay_alu instid0(VALU_DEP_2) | instskip(SKIP_1) | instid1(TRANS32_DEP_1)
	v_rcp_f32_e32 v83, v75
	v_nop
	v_fma_f32 v84, -v75, v83, 1.0
	s_delay_alu instid0(VALU_DEP_1) | instskip(NEXT) | instid1(VALU_DEP_1)
	v_fmac_f32_e32 v83, v84, v83
	v_mul_f32_e32 v84, v85, v83
	s_delay_alu instid0(VALU_DEP_1) | instskip(NEXT) | instid1(VALU_DEP_1)
	v_fma_f32 v86, -v75, v84, v85
	v_fmac_f32_e32 v84, v86, v83
	s_delay_alu instid0(VALU_DEP_1) | instskip(NEXT) | instid1(VALU_DEP_1)
	v_fma_f32 v75, -v75, v84, v85
	v_div_fmas_f32 v75, v75, v83, v84
	s_delay_alu instid0(VALU_DEP_1) | instskip(NEXT) | instid1(VALU_DEP_1)
	v_div_fixup_f32 v75, v75, v77, v76
	v_fmac_f32_e32 v77, v76, v75
	s_delay_alu instid0(VALU_DEP_1) | instskip(SKIP_1) | instid1(VALU_DEP_2)
	v_div_scale_f32 v76, null, v77, v77, 1.0
	v_div_scale_f32 v85, vcc_lo, 1.0, v77, 1.0
	v_rcp_f32_e32 v83, v76
	v_nop
	s_delay_alu instid0(TRANS32_DEP_1) | instskip(NEXT) | instid1(VALU_DEP_1)
	v_fma_f32 v84, -v76, v83, 1.0
	v_fmac_f32_e32 v83, v84, v83
	s_delay_alu instid0(VALU_DEP_1) | instskip(NEXT) | instid1(VALU_DEP_1)
	v_mul_f32_e32 v84, v85, v83
	v_fma_f32 v86, -v76, v84, v85
	s_delay_alu instid0(VALU_DEP_1) | instskip(NEXT) | instid1(VALU_DEP_1)
	v_fmac_f32_e32 v84, v86, v83
	v_fma_f32 v76, -v76, v84, v85
	s_delay_alu instid0(VALU_DEP_1) | instskip(NEXT) | instid1(VALU_DEP_1)
	v_div_fmas_f32 v76, v76, v83, v84
	v_div_fixup_f32 v77, v76, v77, 1.0
	s_delay_alu instid0(VALU_DEP_1)
	v_mul_f32_e32 v76, v75, v77
	v_xor_b32_e32 v77, 0x80000000, v77
.LBB66_259:
	s_and_not1_saveexec_b32 s1, s1
	s_cbranch_execz .LBB66_261
; %bb.260:
	s_delay_alu instid0(VALU_DEP_1) | instskip(SKIP_1) | instid1(VALU_DEP_2)
	v_div_scale_f32 v75, null, v76, v76, v77
	v_div_scale_f32 v85, vcc_lo, v77, v76, v77
	v_rcp_f32_e32 v83, v75
	v_nop
	s_delay_alu instid0(TRANS32_DEP_1) | instskip(NEXT) | instid1(VALU_DEP_1)
	v_fma_f32 v84, -v75, v83, 1.0
	v_fmac_f32_e32 v83, v84, v83
	s_delay_alu instid0(VALU_DEP_1) | instskip(NEXT) | instid1(VALU_DEP_1)
	v_mul_f32_e32 v84, v85, v83
	v_fma_f32 v86, -v75, v84, v85
	s_delay_alu instid0(VALU_DEP_1) | instskip(NEXT) | instid1(VALU_DEP_1)
	v_fmac_f32_e32 v84, v86, v83
	v_fma_f32 v75, -v75, v84, v85
	s_delay_alu instid0(VALU_DEP_1) | instskip(NEXT) | instid1(VALU_DEP_1)
	v_div_fmas_f32 v75, v75, v83, v84
	v_div_fixup_f32 v75, v75, v76, v77
	s_delay_alu instid0(VALU_DEP_1) | instskip(NEXT) | instid1(VALU_DEP_1)
	v_fmac_f32_e32 v76, v77, v75
	v_div_scale_f32 v77, null, v76, v76, 1.0
	s_delay_alu instid0(VALU_DEP_1) | instskip(SKIP_1) | instid1(TRANS32_DEP_1)
	v_rcp_f32_e32 v83, v77
	v_nop
	v_fma_f32 v84, -v77, v83, 1.0
	s_delay_alu instid0(VALU_DEP_1) | instskip(SKIP_1) | instid1(VALU_DEP_1)
	v_fmac_f32_e32 v83, v84, v83
	v_div_scale_f32 v84, vcc_lo, 1.0, v76, 1.0
	v_mul_f32_e32 v85, v84, v83
	s_delay_alu instid0(VALU_DEP_1) | instskip(NEXT) | instid1(VALU_DEP_1)
	v_fma_f32 v86, -v77, v85, v84
	v_fmac_f32_e32 v85, v86, v83
	s_delay_alu instid0(VALU_DEP_1) | instskip(NEXT) | instid1(VALU_DEP_1)
	v_fma_f32 v77, -v77, v85, v84
	v_div_fmas_f32 v77, v77, v83, v85
	s_delay_alu instid0(VALU_DEP_1) | instskip(NEXT) | instid1(VALU_DEP_1)
	v_div_fixup_f32 v76, v77, v76, 1.0
	v_mul_f32_e64 v77, v75, -v76
.LBB66_261:
	s_or_b32 exec_lo, exec_lo, s1
.LBB66_262:
	s_delay_alu instid0(SALU_CYCLE_1) | instskip(NEXT) | instid1(SALU_CYCLE_1)
	s_or_b32 exec_lo, exec_lo, s0
	s_mov_b32 s0, exec_lo
	v_cmpx_ne_u32_e64 v82, v74
	s_xor_b32 s0, exec_lo, s0
	s_cbranch_execz .LBB66_268
; %bb.263:
	s_mov_b32 s1, exec_lo
	v_cmpx_eq_u32_e32 12, v82
	s_cbranch_execz .LBB66_267
; %bb.264:
	v_cmp_ne_u32_e32 vcc_lo, 12, v74
	s_xor_b32 s12, s16, -1
	s_delay_alu instid0(SALU_CYCLE_1) | instskip(NEXT) | instid1(SALU_CYCLE_1)
	s_and_b32 s13, s12, vcc_lo
	s_and_saveexec_b32 s12, s13
	s_cbranch_execz .LBB66_266
; %bb.265:
	v_ashrrev_i32_e32 v75, 31, v74
	s_delay_alu instid0(VALU_DEP_1)
	v_lshl_add_u64 v[82:83], v[74:75], 2, v[4:5]
	s_clause 0x1
	global_load_b32 v75, v[82:83], off
	global_load_b32 v81, v[4:5], off offset:48
	s_wait_loadcnt 0x1
	global_store_b32 v[4:5], v75, off offset:48
	s_wait_loadcnt 0x0
	global_store_b32 v[82:83], v81, off
.LBB66_266:
	s_wait_xcnt 0x0
	s_or_b32 exec_lo, exec_lo, s12
	v_dual_mov_b32 v82, v74 :: v_dual_mov_b32 v81, v74
.LBB66_267:
	s_or_b32 exec_lo, exec_lo, s1
.LBB66_268:
	s_and_not1_saveexec_b32 s0, s0
	s_cbranch_execz .LBB66_270
; %bb.269:
	v_mov_b32_e32 v82, 12
	ds_store_2addr_b64 v78, v[26:27], v[30:31] offset0:13 offset1:14
	ds_store_2addr_b64 v78, v[24:25], v[62:63] offset0:15 offset1:16
	;; [unrolled: 1-line block ×10, first 2 shown]
	ds_store_b64 v78, v[72:73] offset:264
.LBB66_270:
	s_or_b32 exec_lo, exec_lo, s0
	s_delay_alu instid0(SALU_CYCLE_1)
	s_mov_b32 s0, exec_lo
	s_wait_storecnt_dscnt 0x0
	s_barrier_signal -1
	s_barrier_wait -1
	v_cmpx_lt_i32_e32 12, v82
	s_cbranch_execz .LBB66_272
; %bb.271:
	v_pk_mul_f32 v[84:85], v[76:77], v[58:59] op_sel:[1,1] op_sel_hi:[0,1]
	s_delay_alu instid0(VALU_DEP_1)
	v_pk_fma_f32 v[74:75], v[76:77], v[58:59], v[84:85] op_sel_hi:[1,0,1] neg_lo:[0,0,1] neg_hi:[0,0,1]
	v_pk_fma_f32 v[76:77], v[76:77], v[58:59], v[84:85] op_sel_hi:[1,0,1]
	ds_load_2addr_b64 v[84:87], v78 offset0:13 offset1:14
	v_dual_mov_b32 v58, v74 :: v_dual_mov_b32 v59, v77
	s_wait_dscnt 0x0
	v_pk_mul_f32 v[88:89], v[84:85], v[76:77] op_sel:[0,1]
	s_delay_alu instid0(VALU_DEP_1) | instskip(SKIP_1) | instid1(VALU_DEP_1)
	v_pk_fma_f32 v[90:91], v[84:85], v[74:75], v[88:89] op_sel:[0,0,1] op_sel_hi:[1,1,0] neg_lo:[0,0,1] neg_hi:[0,0,1]
	v_pk_fma_f32 v[84:85], v[84:85], v[74:75], v[88:89] op_sel:[0,0,1] op_sel_hi:[1,0,0]
	v_mov_b32_e32 v91, v85
	v_pk_mul_f32 v[84:85], v[86:87], v[76:77] op_sel:[0,1]
	s_delay_alu instid0(VALU_DEP_1) | instskip(SKIP_1) | instid1(VALU_DEP_1)
	v_pk_fma_f32 v[88:89], v[86:87], v[74:75], v[84:85] op_sel:[0,0,1] op_sel_hi:[1,1,0] neg_lo:[0,0,1] neg_hi:[0,0,1]
	v_pk_fma_f32 v[84:85], v[86:87], v[74:75], v[84:85] op_sel:[0,0,1] op_sel_hi:[1,0,0]
	v_mov_b32_e32 v89, v85
	ds_load_2addr_b64 v[84:87], v78 offset0:15 offset1:16
	v_pk_add_f32 v[26:27], v[26:27], v[90:91] neg_lo:[0,1] neg_hi:[0,1]
	v_pk_add_f32 v[30:31], v[30:31], v[88:89] neg_lo:[0,1] neg_hi:[0,1]
	s_wait_dscnt 0x0
	v_pk_mul_f32 v[88:89], v[84:85], v[76:77] op_sel:[0,1]
	s_delay_alu instid0(VALU_DEP_1) | instskip(SKIP_2) | instid1(VALU_DEP_2)
	v_pk_fma_f32 v[90:91], v[84:85], v[74:75], v[88:89] op_sel:[0,0,1] op_sel_hi:[1,1,0] neg_lo:[0,0,1] neg_hi:[0,0,1]
	v_pk_fma_f32 v[84:85], v[84:85], v[74:75], v[88:89] op_sel:[0,0,1] op_sel_hi:[1,0,0]
	v_dual_mul_f32 v88, v87, v77 :: v_dual_mov_b32 v84, v87
	v_dual_mov_b32 v91, v85 :: v_dual_mov_b32 v85, v86
	s_delay_alu instid0(VALU_DEP_2) | instskip(SKIP_1) | instid1(VALU_DEP_3)
	v_pk_fma_f32 v[88:89], v[86:87], v[58:59], v[88:89] op_sel_hi:[1,1,0] neg_lo:[0,0,1] neg_hi:[0,0,1]
	v_mul_f32_e32 v86, v87, v74
	v_pk_add_f32 v[24:25], v[24:25], v[90:91] neg_lo:[0,1] neg_hi:[0,1]
	s_delay_alu instid0(VALU_DEP_2) | instskip(NEXT) | instid1(VALU_DEP_1)
	v_pk_fma_f32 v[84:85], v[84:85], v[58:59], v[86:87] op_sel_hi:[1,1,0]
	v_mov_b32_e32 v89, v85
	ds_load_2addr_b64 v[84:87], v78 offset0:17 offset1:18
	v_pk_add_f32 v[62:63], v[62:63], v[88:89] neg_lo:[0,1] neg_hi:[0,1]
	s_wait_dscnt 0x0
	v_pk_mul_f32 v[88:89], v[84:85], v[76:77] op_sel:[0,1]
	s_delay_alu instid0(VALU_DEP_1) | instskip(SKIP_1) | instid1(VALU_DEP_1)
	v_pk_fma_f32 v[90:91], v[84:85], v[74:75], v[88:89] op_sel:[0,0,1] op_sel_hi:[1,1,0] neg_lo:[0,0,1] neg_hi:[0,0,1]
	v_pk_fma_f32 v[84:85], v[84:85], v[74:75], v[88:89] op_sel:[0,0,1] op_sel_hi:[1,0,0]
	v_mov_b32_e32 v91, v85
	v_pk_mul_f32 v[84:85], v[86:87], v[76:77] op_sel:[0,1]
	s_delay_alu instid0(VALU_DEP_1) | instskip(SKIP_1) | instid1(VALU_DEP_1)
	v_pk_fma_f32 v[88:89], v[86:87], v[74:75], v[84:85] op_sel:[0,0,1] op_sel_hi:[1,1,0] neg_lo:[0,0,1] neg_hi:[0,0,1]
	v_pk_fma_f32 v[84:85], v[86:87], v[74:75], v[84:85] op_sel:[0,0,1] op_sel_hi:[1,0,0]
	v_mov_b32_e32 v89, v85
	ds_load_2addr_b64 v[84:87], v78 offset0:19 offset1:20
	v_pk_add_f32 v[42:43], v[42:43], v[90:91] neg_lo:[0,1] neg_hi:[0,1]
	v_pk_add_f32 v[44:45], v[44:45], v[88:89] neg_lo:[0,1] neg_hi:[0,1]
	s_wait_dscnt 0x0
	v_pk_mul_f32 v[88:89], v[84:85], v[76:77] op_sel:[0,1]
	s_delay_alu instid0(VALU_DEP_1) | instskip(SKIP_1) | instid1(VALU_DEP_1)
	v_pk_fma_f32 v[90:91], v[84:85], v[74:75], v[88:89] op_sel:[0,0,1] op_sel_hi:[1,1,0] neg_lo:[0,0,1] neg_hi:[0,0,1]
	v_pk_fma_f32 v[84:85], v[84:85], v[74:75], v[88:89] op_sel:[0,0,1] op_sel_hi:[1,0,0]
	v_mov_b32_e32 v91, v85
	v_pk_mul_f32 v[84:85], v[86:87], v[76:77] op_sel:[0,1]
	s_delay_alu instid0(VALU_DEP_1) | instskip(SKIP_1) | instid1(VALU_DEP_1)
	v_pk_fma_f32 v[88:89], v[86:87], v[74:75], v[84:85] op_sel:[0,0,1] op_sel_hi:[1,1,0] neg_lo:[0,0,1] neg_hi:[0,0,1]
	v_pk_fma_f32 v[84:85], v[86:87], v[74:75], v[84:85] op_sel:[0,0,1] op_sel_hi:[1,0,0]
	v_mov_b32_e32 v89, v85
	ds_load_2addr_b64 v[84:87], v78 offset0:21 offset1:22
	v_pk_add_f32 v[40:41], v[40:41], v[90:91] neg_lo:[0,1] neg_hi:[0,1]
	v_pk_add_f32 v[60:61], v[60:61], v[88:89] neg_lo:[0,1] neg_hi:[0,1]
	s_wait_dscnt 0x0
	v_dual_mul_f32 v88, v85, v77 :: v_dual_mul_f32 v90, v85, v74
	s_delay_alu instid0(VALU_DEP_1) | instskip(NEXT) | instid1(VALU_DEP_2)
	v_pk_fma_f32 v[88:89], v[84:85], v[58:59], v[88:89] op_sel_hi:[1,1,0] neg_lo:[0,0,1] neg_hi:[0,0,1]
	v_pk_fma_f32 v[84:85], v[84:85], v[58:59], v[90:91] op_sel:[1,0,0] op_sel_hi:[0,1,0]
	s_delay_alu instid0(VALU_DEP_1) | instskip(SKIP_1) | instid1(VALU_DEP_2)
	v_mov_b32_e32 v89, v85
	v_pk_mul_f32 v[84:85], v[86:87], v[76:77] op_sel:[0,1]
	v_pk_add_f32 v[36:37], v[36:37], v[88:89] neg_lo:[0,1] neg_hi:[0,1]
	s_delay_alu instid0(VALU_DEP_2) | instskip(SKIP_1) | instid1(VALU_DEP_1)
	v_pk_fma_f32 v[88:89], v[86:87], v[74:75], v[84:85] op_sel:[0,0,1] op_sel_hi:[1,1,0] neg_lo:[0,0,1] neg_hi:[0,0,1]
	v_pk_fma_f32 v[84:85], v[86:87], v[74:75], v[84:85] op_sel:[0,0,1] op_sel_hi:[1,0,0]
	v_mov_b32_e32 v89, v85
	ds_load_2addr_b64 v[84:87], v78 offset0:23 offset1:24
	v_pk_add_f32 v[38:39], v[38:39], v[88:89] neg_lo:[0,1] neg_hi:[0,1]
	s_wait_dscnt 0x0
	v_pk_mul_f32 v[88:89], v[84:85], v[76:77] op_sel:[0,1]
	s_delay_alu instid0(VALU_DEP_1) | instskip(SKIP_1) | instid1(VALU_DEP_1)
	v_pk_fma_f32 v[90:91], v[84:85], v[74:75], v[88:89] op_sel:[0,0,1] op_sel_hi:[1,1,0] neg_lo:[0,0,1] neg_hi:[0,0,1]
	v_pk_fma_f32 v[84:85], v[84:85], v[74:75], v[88:89] op_sel:[0,0,1] op_sel_hi:[1,0,0]
	v_mov_b32_e32 v91, v85
	v_pk_mul_f32 v[84:85], v[86:87], v[76:77] op_sel:[0,1]
	s_delay_alu instid0(VALU_DEP_2) | instskip(NEXT) | instid1(VALU_DEP_2)
	v_pk_add_f32 v[34:35], v[34:35], v[90:91] neg_lo:[0,1] neg_hi:[0,1]
	v_pk_fma_f32 v[88:89], v[86:87], v[74:75], v[84:85] op_sel:[0,0,1] op_sel_hi:[1,1,0] neg_lo:[0,0,1] neg_hi:[0,0,1]
	v_pk_fma_f32 v[84:85], v[86:87], v[74:75], v[84:85] op_sel:[0,0,1] op_sel_hi:[1,0,0]
	s_delay_alu instid0(VALU_DEP_1) | instskip(SKIP_4) | instid1(VALU_DEP_1)
	v_mov_b32_e32 v89, v85
	ds_load_2addr_b64 v[84:87], v78 offset0:25 offset1:26
	v_pk_add_f32 v[56:57], v[56:57], v[88:89] neg_lo:[0,1] neg_hi:[0,1]
	s_wait_dscnt 0x0
	v_pk_mul_f32 v[88:89], v[84:85], v[76:77] op_sel:[0,1]
	v_pk_fma_f32 v[90:91], v[84:85], v[74:75], v[88:89] op_sel:[0,0,1] op_sel_hi:[1,1,0] neg_lo:[0,0,1] neg_hi:[0,0,1]
	v_pk_fma_f32 v[84:85], v[84:85], v[74:75], v[88:89] op_sel:[0,0,1] op_sel_hi:[1,0,0]
	v_dual_mul_f32 v88, v87, v77 :: v_dual_mov_b32 v84, v87
	s_delay_alu instid0(VALU_DEP_2) | instskip(NEXT) | instid1(VALU_DEP_2)
	v_dual_mov_b32 v91, v85 :: v_dual_mov_b32 v85, v86
	v_pk_fma_f32 v[88:89], v[86:87], v[58:59], v[88:89] op_sel_hi:[1,1,0] neg_lo:[0,0,1] neg_hi:[0,0,1]
	v_mul_f32_e32 v86, v87, v74
	s_delay_alu instid0(VALU_DEP_3) | instskip(NEXT) | instid1(VALU_DEP_2)
	v_pk_add_f32 v[22:23], v[22:23], v[90:91] neg_lo:[0,1] neg_hi:[0,1]
	v_pk_fma_f32 v[84:85], v[84:85], v[58:59], v[86:87] op_sel_hi:[1,1,0]
	s_delay_alu instid0(VALU_DEP_1) | instskip(SKIP_4) | instid1(VALU_DEP_1)
	v_mov_b32_e32 v89, v85
	ds_load_2addr_b64 v[84:87], v78 offset0:27 offset1:28
	v_pk_add_f32 v[28:29], v[28:29], v[88:89] neg_lo:[0,1] neg_hi:[0,1]
	s_wait_dscnt 0x0
	v_pk_mul_f32 v[88:89], v[84:85], v[76:77] op_sel:[0,1]
	v_pk_fma_f32 v[90:91], v[84:85], v[74:75], v[88:89] op_sel:[0,0,1] op_sel_hi:[1,1,0] neg_lo:[0,0,1] neg_hi:[0,0,1]
	v_pk_fma_f32 v[84:85], v[84:85], v[74:75], v[88:89] op_sel:[0,0,1] op_sel_hi:[1,0,0]
	s_delay_alu instid0(VALU_DEP_1) | instskip(SKIP_1) | instid1(VALU_DEP_1)
	v_mov_b32_e32 v91, v85
	v_pk_mul_f32 v[84:85], v[86:87], v[76:77] op_sel:[0,1]
	v_pk_fma_f32 v[88:89], v[86:87], v[74:75], v[84:85] op_sel:[0,0,1] op_sel_hi:[1,1,0] neg_lo:[0,0,1] neg_hi:[0,0,1]
	v_pk_fma_f32 v[84:85], v[86:87], v[74:75], v[84:85] op_sel:[0,0,1] op_sel_hi:[1,0,0]
	s_delay_alu instid0(VALU_DEP_1)
	v_mov_b32_e32 v89, v85
	ds_load_2addr_b64 v[84:87], v78 offset0:29 offset1:30
	v_pk_add_f32 v[20:21], v[20:21], v[90:91] neg_lo:[0,1] neg_hi:[0,1]
	v_pk_add_f32 v[50:51], v[50:51], v[88:89] neg_lo:[0,1] neg_hi:[0,1]
	s_wait_dscnt 0x0
	v_pk_mul_f32 v[88:89], v[84:85], v[76:77] op_sel:[0,1]
	s_delay_alu instid0(VALU_DEP_1) | instskip(SKIP_1) | instid1(VALU_DEP_1)
	v_pk_fma_f32 v[90:91], v[84:85], v[74:75], v[88:89] op_sel:[0,0,1] op_sel_hi:[1,1,0] neg_lo:[0,0,1] neg_hi:[0,0,1]
	v_pk_fma_f32 v[84:85], v[84:85], v[74:75], v[88:89] op_sel:[0,0,1] op_sel_hi:[1,0,0]
	v_mov_b32_e32 v91, v85
	v_pk_mul_f32 v[84:85], v[86:87], v[76:77] op_sel:[0,1]
	s_delay_alu instid0(VALU_DEP_1) | instskip(SKIP_1) | instid1(VALU_DEP_1)
	v_pk_fma_f32 v[88:89], v[86:87], v[74:75], v[84:85] op_sel:[0,0,1] op_sel_hi:[1,1,0] neg_lo:[0,0,1] neg_hi:[0,0,1]
	v_pk_fma_f32 v[84:85], v[86:87], v[74:75], v[84:85] op_sel:[0,0,1] op_sel_hi:[1,0,0]
	v_mov_b32_e32 v89, v85
	ds_load_2addr_b64 v[84:87], v78 offset0:31 offset1:32
	v_pk_add_f32 v[12:13], v[12:13], v[90:91] neg_lo:[0,1] neg_hi:[0,1]
	v_pk_add_f32 v[48:49], v[48:49], v[88:89] neg_lo:[0,1] neg_hi:[0,1]
	s_wait_dscnt 0x0
	v_dual_mul_f32 v88, v85, v77 :: v_dual_mul_f32 v90, v85, v74
	s_delay_alu instid0(VALU_DEP_1) | instskip(NEXT) | instid1(VALU_DEP_2)
	v_pk_fma_f32 v[88:89], v[84:85], v[58:59], v[88:89] op_sel_hi:[1,1,0] neg_lo:[0,0,1] neg_hi:[0,0,1]
	v_pk_fma_f32 v[84:85], v[84:85], v[58:59], v[90:91] op_sel:[1,0,0] op_sel_hi:[0,1,0]
	s_delay_alu instid0(VALU_DEP_1) | instskip(SKIP_1) | instid1(VALU_DEP_2)
	v_mov_b32_e32 v89, v85
	v_pk_mul_f32 v[84:85], v[86:87], v[76:77] op_sel:[0,1]
	v_pk_add_f32 v[46:47], v[46:47], v[88:89] neg_lo:[0,1] neg_hi:[0,1]
	s_delay_alu instid0(VALU_DEP_2) | instskip(SKIP_1) | instid1(VALU_DEP_1)
	v_pk_fma_f32 v[88:89], v[86:87], v[74:75], v[84:85] op_sel:[0,0,1] op_sel_hi:[1,1,0] neg_lo:[0,0,1] neg_hi:[0,0,1]
	v_pk_fma_f32 v[84:85], v[86:87], v[74:75], v[84:85] op_sel:[0,0,1] op_sel_hi:[1,0,0]
	v_mov_b32_e32 v89, v85
	ds_load_b64 v[84:85], v78 offset:264
	v_pk_add_f32 v[32:33], v[32:33], v[88:89] neg_lo:[0,1] neg_hi:[0,1]
	s_wait_dscnt 0x0
	v_pk_mul_f32 v[76:77], v[84:85], v[76:77] op_sel:[0,1]
	s_delay_alu instid0(VALU_DEP_1) | instskip(SKIP_1) | instid1(VALU_DEP_1)
	v_pk_fma_f32 v[86:87], v[84:85], v[74:75], v[76:77] op_sel:[0,0,1] op_sel_hi:[1,1,0] neg_lo:[0,0,1] neg_hi:[0,0,1]
	v_pk_fma_f32 v[74:75], v[84:85], v[74:75], v[76:77] op_sel:[0,0,1] op_sel_hi:[1,0,0]
	v_mov_b32_e32 v87, v75
	s_delay_alu instid0(VALU_DEP_1)
	v_pk_add_f32 v[72:73], v[72:73], v[86:87] neg_lo:[0,1] neg_hi:[0,1]
.LBB66_272:
	s_or_b32 exec_lo, exec_lo, s0
	v_lshl_add_u32 v74, v82, 3, v78
	s_barrier_signal -1
	s_barrier_wait -1
	ds_store_b64 v74, v[26:27]
	s_wait_dscnt 0x0
	s_barrier_signal -1
	s_barrier_wait -1
	ds_load_b64 v[76:77], v78 offset:104
	v_mov_b32_e32 v74, 13
	s_cmp_lt_i32 s18, 15
	s_cbranch_scc1 .LBB66_275
; %bb.273:
	v_add3_u32 v75, v79, 0, 0x70
	v_mov_b32_e32 v74, 13
	s_mov_b32 s0, 14
.LBB66_274:                             ; =>This Inner Loop Header: Depth=1
	ds_load_b64 v[84:85], v75
	s_wait_dscnt 0x1
	v_cmp_gt_f32_e32 vcc_lo, 0, v76
	v_cndmask_b32_e64 v86, v76, -v76, vcc_lo
	v_cmp_gt_f32_e32 vcc_lo, 0, v77
	v_cndmask_b32_e64 v88, v77, -v77, vcc_lo
	s_wait_dscnt 0x0
	v_cmp_gt_f32_e32 vcc_lo, 0, v84
	v_cndmask_b32_e64 v87, v84, -v84, vcc_lo
	v_cmp_gt_f32_e32 vcc_lo, 0, v85
	v_cndmask_b32_e64 v89, v85, -v85, vcc_lo
	s_delay_alu instid0(VALU_DEP_1) | instskip(NEXT) | instid1(VALU_DEP_1)
	v_pk_add_f32 v[86:87], v[86:87], v[88:89]
	v_cmp_lt_f32_e32 vcc_lo, v86, v87
	v_dual_add_nc_u32 v75, 8, v75 :: v_dual_cndmask_b32 v77, v77, v85, vcc_lo
	v_cndmask_b32_e32 v76, v76, v84, vcc_lo
	v_cndmask_b32_e64 v74, v74, s0, vcc_lo
	s_add_co_i32 s0, s0, 1
	s_delay_alu instid0(SALU_CYCLE_1)
	s_cmp_lg_u32 s18, s0
	s_cbranch_scc1 .LBB66_274
.LBB66_275:
	s_wait_dscnt 0x0
	v_cmp_eq_f32_e32 vcc_lo, 0, v76
	v_cmp_eq_f32_e64 s0, 0, v77
	s_and_b32 s0, vcc_lo, s0
	s_delay_alu instid0(SALU_CYCLE_1) | instskip(NEXT) | instid1(SALU_CYCLE_1)
	s_and_saveexec_b32 s1, s0
	s_xor_b32 s0, exec_lo, s1
; %bb.276:
	v_cmp_ne_u32_e32 vcc_lo, 0, v80
	v_cndmask_b32_e32 v80, 14, v80, vcc_lo
; %bb.277:
	s_and_not1_saveexec_b32 s0, s0
	s_cbranch_execz .LBB66_283
; %bb.278:
	v_cmp_ngt_f32_e64 s1, |v76|, |v77|
	s_and_saveexec_b32 s12, s1
	s_delay_alu instid0(SALU_CYCLE_1)
	s_xor_b32 s1, exec_lo, s12
	s_cbranch_execz .LBB66_280
; %bb.279:
	v_div_scale_f32 v75, null, v77, v77, v76
	v_div_scale_f32 v85, vcc_lo, v76, v77, v76
	s_delay_alu instid0(VALU_DEP_2) | instskip(SKIP_1) | instid1(TRANS32_DEP_1)
	v_rcp_f32_e32 v83, v75
	v_nop
	v_fma_f32 v84, -v75, v83, 1.0
	s_delay_alu instid0(VALU_DEP_1) | instskip(NEXT) | instid1(VALU_DEP_1)
	v_fmac_f32_e32 v83, v84, v83
	v_mul_f32_e32 v84, v85, v83
	s_delay_alu instid0(VALU_DEP_1) | instskip(NEXT) | instid1(VALU_DEP_1)
	v_fma_f32 v86, -v75, v84, v85
	v_fmac_f32_e32 v84, v86, v83
	s_delay_alu instid0(VALU_DEP_1) | instskip(NEXT) | instid1(VALU_DEP_1)
	v_fma_f32 v75, -v75, v84, v85
	v_div_fmas_f32 v75, v75, v83, v84
	s_delay_alu instid0(VALU_DEP_1) | instskip(NEXT) | instid1(VALU_DEP_1)
	v_div_fixup_f32 v75, v75, v77, v76
	v_fmac_f32_e32 v77, v76, v75
	s_delay_alu instid0(VALU_DEP_1) | instskip(SKIP_1) | instid1(VALU_DEP_2)
	v_div_scale_f32 v76, null, v77, v77, 1.0
	v_div_scale_f32 v85, vcc_lo, 1.0, v77, 1.0
	v_rcp_f32_e32 v83, v76
	v_nop
	s_delay_alu instid0(TRANS32_DEP_1) | instskip(NEXT) | instid1(VALU_DEP_1)
	v_fma_f32 v84, -v76, v83, 1.0
	v_fmac_f32_e32 v83, v84, v83
	s_delay_alu instid0(VALU_DEP_1) | instskip(NEXT) | instid1(VALU_DEP_1)
	v_mul_f32_e32 v84, v85, v83
	v_fma_f32 v86, -v76, v84, v85
	s_delay_alu instid0(VALU_DEP_1) | instskip(NEXT) | instid1(VALU_DEP_1)
	v_fmac_f32_e32 v84, v86, v83
	v_fma_f32 v76, -v76, v84, v85
	s_delay_alu instid0(VALU_DEP_1) | instskip(NEXT) | instid1(VALU_DEP_1)
	v_div_fmas_f32 v76, v76, v83, v84
	v_div_fixup_f32 v77, v76, v77, 1.0
	s_delay_alu instid0(VALU_DEP_1)
	v_mul_f32_e32 v76, v75, v77
	v_xor_b32_e32 v77, 0x80000000, v77
.LBB66_280:
	s_and_not1_saveexec_b32 s1, s1
	s_cbranch_execz .LBB66_282
; %bb.281:
	s_delay_alu instid0(VALU_DEP_1) | instskip(SKIP_1) | instid1(VALU_DEP_2)
	v_div_scale_f32 v75, null, v76, v76, v77
	v_div_scale_f32 v85, vcc_lo, v77, v76, v77
	v_rcp_f32_e32 v83, v75
	v_nop
	s_delay_alu instid0(TRANS32_DEP_1) | instskip(NEXT) | instid1(VALU_DEP_1)
	v_fma_f32 v84, -v75, v83, 1.0
	v_fmac_f32_e32 v83, v84, v83
	s_delay_alu instid0(VALU_DEP_1) | instskip(NEXT) | instid1(VALU_DEP_1)
	v_mul_f32_e32 v84, v85, v83
	v_fma_f32 v86, -v75, v84, v85
	s_delay_alu instid0(VALU_DEP_1) | instskip(NEXT) | instid1(VALU_DEP_1)
	v_fmac_f32_e32 v84, v86, v83
	v_fma_f32 v75, -v75, v84, v85
	s_delay_alu instid0(VALU_DEP_1) | instskip(NEXT) | instid1(VALU_DEP_1)
	v_div_fmas_f32 v75, v75, v83, v84
	v_div_fixup_f32 v75, v75, v76, v77
	s_delay_alu instid0(VALU_DEP_1) | instskip(NEXT) | instid1(VALU_DEP_1)
	v_fmac_f32_e32 v76, v77, v75
	v_div_scale_f32 v77, null, v76, v76, 1.0
	s_delay_alu instid0(VALU_DEP_1) | instskip(SKIP_1) | instid1(TRANS32_DEP_1)
	v_rcp_f32_e32 v83, v77
	v_nop
	v_fma_f32 v84, -v77, v83, 1.0
	s_delay_alu instid0(VALU_DEP_1) | instskip(SKIP_1) | instid1(VALU_DEP_1)
	v_fmac_f32_e32 v83, v84, v83
	v_div_scale_f32 v84, vcc_lo, 1.0, v76, 1.0
	v_mul_f32_e32 v85, v84, v83
	s_delay_alu instid0(VALU_DEP_1) | instskip(NEXT) | instid1(VALU_DEP_1)
	v_fma_f32 v86, -v77, v85, v84
	v_fmac_f32_e32 v85, v86, v83
	s_delay_alu instid0(VALU_DEP_1) | instskip(NEXT) | instid1(VALU_DEP_1)
	v_fma_f32 v77, -v77, v85, v84
	v_div_fmas_f32 v77, v77, v83, v85
	s_delay_alu instid0(VALU_DEP_1) | instskip(NEXT) | instid1(VALU_DEP_1)
	v_div_fixup_f32 v76, v77, v76, 1.0
	v_mul_f32_e64 v77, v75, -v76
.LBB66_282:
	s_or_b32 exec_lo, exec_lo, s1
.LBB66_283:
	s_delay_alu instid0(SALU_CYCLE_1) | instskip(NEXT) | instid1(SALU_CYCLE_1)
	s_or_b32 exec_lo, exec_lo, s0
	s_mov_b32 s0, exec_lo
	v_cmpx_ne_u32_e64 v82, v74
	s_xor_b32 s0, exec_lo, s0
	s_cbranch_execz .LBB66_289
; %bb.284:
	s_mov_b32 s1, exec_lo
	v_cmpx_eq_u32_e32 13, v82
	s_cbranch_execz .LBB66_288
; %bb.285:
	v_cmp_ne_u32_e32 vcc_lo, 13, v74
	s_xor_b32 s12, s16, -1
	s_delay_alu instid0(SALU_CYCLE_1) | instskip(NEXT) | instid1(SALU_CYCLE_1)
	s_and_b32 s13, s12, vcc_lo
	s_and_saveexec_b32 s12, s13
	s_cbranch_execz .LBB66_287
; %bb.286:
	v_ashrrev_i32_e32 v75, 31, v74
	s_delay_alu instid0(VALU_DEP_1)
	v_lshl_add_u64 v[82:83], v[74:75], 2, v[4:5]
	s_clause 0x1
	global_load_b32 v75, v[82:83], off
	global_load_b32 v81, v[4:5], off offset:52
	s_wait_loadcnt 0x1
	global_store_b32 v[4:5], v75, off offset:52
	s_wait_loadcnt 0x0
	global_store_b32 v[82:83], v81, off
.LBB66_287:
	s_wait_xcnt 0x0
	s_or_b32 exec_lo, exec_lo, s12
	v_dual_mov_b32 v82, v74 :: v_dual_mov_b32 v81, v74
.LBB66_288:
	s_or_b32 exec_lo, exec_lo, s1
.LBB66_289:
	s_and_not1_saveexec_b32 s0, s0
	s_cbranch_execz .LBB66_291
; %bb.290:
	v_dual_mov_b32 v74, v30 :: v_dual_mov_b32 v75, v31
	v_dual_mov_b32 v82, v24 :: v_dual_mov_b32 v83, v25
	ds_store_2addr_b64 v78, v[74:75], v[82:83] offset0:14 offset1:15
	v_dual_mov_b32 v74, v62 :: v_dual_mov_b32 v75, v63
	v_dual_mov_b32 v82, v42 :: v_dual_mov_b32 v83, v43
	ds_store_2addr_b64 v78, v[74:75], v[82:83] offset0:16 offset1:17
	;; [unrolled: 3-line block ×9, first 2 shown]
	v_dual_mov_b32 v74, v32 :: v_dual_mov_b32 v75, v33
	v_mov_b32_e32 v82, 13
	ds_store_2addr_b64 v78, v[74:75], v[72:73] offset0:32 offset1:33
.LBB66_291:
	s_or_b32 exec_lo, exec_lo, s0
	s_delay_alu instid0(SALU_CYCLE_1)
	s_mov_b32 s0, exec_lo
	s_wait_storecnt_dscnt 0x0
	s_barrier_signal -1
	s_barrier_wait -1
	v_cmpx_lt_i32_e32 13, v82
	s_cbranch_execz .LBB66_293
; %bb.292:
	v_pk_mul_f32 v[84:85], v[76:77], v[26:27] op_sel:[1,1] op_sel_hi:[0,1]
	s_delay_alu instid0(VALU_DEP_1)
	v_pk_fma_f32 v[74:75], v[76:77], v[26:27], v[84:85] op_sel_hi:[1,0,1] neg_lo:[0,0,1] neg_hi:[0,0,1]
	v_pk_fma_f32 v[76:77], v[76:77], v[26:27], v[84:85] op_sel_hi:[1,0,1]
	ds_load_2addr_b64 v[84:87], v78 offset0:14 offset1:15
	v_dual_mov_b32 v26, v74 :: v_dual_mov_b32 v27, v77
	s_wait_dscnt 0x0
	v_pk_mul_f32 v[88:89], v[84:85], v[76:77] op_sel:[0,1]
	s_delay_alu instid0(VALU_DEP_1) | instskip(SKIP_1) | instid1(VALU_DEP_1)
	v_pk_fma_f32 v[90:91], v[84:85], v[74:75], v[88:89] op_sel:[0,0,1] op_sel_hi:[1,1,0] neg_lo:[0,0,1] neg_hi:[0,0,1]
	v_pk_fma_f32 v[84:85], v[84:85], v[74:75], v[88:89] op_sel:[0,0,1] op_sel_hi:[1,0,0]
	v_mov_b32_e32 v91, v85
	v_pk_mul_f32 v[84:85], v[86:87], v[76:77] op_sel:[0,1]
	s_delay_alu instid0(VALU_DEP_1) | instskip(SKIP_1) | instid1(VALU_DEP_1)
	v_pk_fma_f32 v[88:89], v[86:87], v[74:75], v[84:85] op_sel:[0,0,1] op_sel_hi:[1,1,0] neg_lo:[0,0,1] neg_hi:[0,0,1]
	v_pk_fma_f32 v[84:85], v[86:87], v[74:75], v[84:85] op_sel:[0,0,1] op_sel_hi:[1,0,0]
	v_mov_b32_e32 v89, v85
	ds_load_2addr_b64 v[84:87], v78 offset0:16 offset1:17
	v_pk_add_f32 v[30:31], v[30:31], v[90:91] neg_lo:[0,1] neg_hi:[0,1]
	v_pk_add_f32 v[24:25], v[24:25], v[88:89] neg_lo:[0,1] neg_hi:[0,1]
	s_wait_dscnt 0x0
	v_pk_mul_f32 v[88:89], v[84:85], v[76:77] op_sel:[0,1]
	s_delay_alu instid0(VALU_DEP_1) | instskip(SKIP_2) | instid1(VALU_DEP_2)
	v_pk_fma_f32 v[90:91], v[84:85], v[74:75], v[88:89] op_sel:[0,0,1] op_sel_hi:[1,1,0] neg_lo:[0,0,1] neg_hi:[0,0,1]
	v_pk_fma_f32 v[84:85], v[84:85], v[74:75], v[88:89] op_sel:[0,0,1] op_sel_hi:[1,0,0]
	v_dual_mul_f32 v88, v87, v77 :: v_dual_mov_b32 v84, v87
	v_dual_mov_b32 v91, v85 :: v_dual_mov_b32 v85, v86
	s_delay_alu instid0(VALU_DEP_2) | instskip(SKIP_1) | instid1(VALU_DEP_3)
	v_pk_fma_f32 v[88:89], v[86:87], v[26:27], v[88:89] op_sel_hi:[1,1,0] neg_lo:[0,0,1] neg_hi:[0,0,1]
	v_mul_f32_e32 v86, v87, v74
	v_pk_add_f32 v[62:63], v[62:63], v[90:91] neg_lo:[0,1] neg_hi:[0,1]
	s_delay_alu instid0(VALU_DEP_2) | instskip(NEXT) | instid1(VALU_DEP_1)
	v_pk_fma_f32 v[84:85], v[84:85], v[26:27], v[86:87] op_sel_hi:[1,1,0]
	v_mov_b32_e32 v89, v85
	ds_load_2addr_b64 v[84:87], v78 offset0:18 offset1:19
	v_pk_add_f32 v[42:43], v[42:43], v[88:89] neg_lo:[0,1] neg_hi:[0,1]
	s_wait_dscnt 0x0
	v_pk_mul_f32 v[88:89], v[84:85], v[76:77] op_sel:[0,1]
	s_delay_alu instid0(VALU_DEP_1) | instskip(SKIP_1) | instid1(VALU_DEP_1)
	v_pk_fma_f32 v[90:91], v[84:85], v[74:75], v[88:89] op_sel:[0,0,1] op_sel_hi:[1,1,0] neg_lo:[0,0,1] neg_hi:[0,0,1]
	v_pk_fma_f32 v[84:85], v[84:85], v[74:75], v[88:89] op_sel:[0,0,1] op_sel_hi:[1,0,0]
	v_mov_b32_e32 v91, v85
	v_pk_mul_f32 v[84:85], v[86:87], v[76:77] op_sel:[0,1]
	s_delay_alu instid0(VALU_DEP_1) | instskip(SKIP_1) | instid1(VALU_DEP_1)
	v_pk_fma_f32 v[88:89], v[86:87], v[74:75], v[84:85] op_sel:[0,0,1] op_sel_hi:[1,1,0] neg_lo:[0,0,1] neg_hi:[0,0,1]
	v_pk_fma_f32 v[84:85], v[86:87], v[74:75], v[84:85] op_sel:[0,0,1] op_sel_hi:[1,0,0]
	v_mov_b32_e32 v89, v85
	ds_load_2addr_b64 v[84:87], v78 offset0:20 offset1:21
	v_pk_add_f32 v[44:45], v[44:45], v[90:91] neg_lo:[0,1] neg_hi:[0,1]
	v_pk_add_f32 v[40:41], v[40:41], v[88:89] neg_lo:[0,1] neg_hi:[0,1]
	s_wait_dscnt 0x0
	v_pk_mul_f32 v[88:89], v[84:85], v[76:77] op_sel:[0,1]
	s_delay_alu instid0(VALU_DEP_1) | instskip(SKIP_1) | instid1(VALU_DEP_1)
	v_pk_fma_f32 v[90:91], v[84:85], v[74:75], v[88:89] op_sel:[0,0,1] op_sel_hi:[1,1,0] neg_lo:[0,0,1] neg_hi:[0,0,1]
	v_pk_fma_f32 v[84:85], v[84:85], v[74:75], v[88:89] op_sel:[0,0,1] op_sel_hi:[1,0,0]
	v_mov_b32_e32 v91, v85
	v_pk_mul_f32 v[84:85], v[86:87], v[76:77] op_sel:[0,1]
	s_delay_alu instid0(VALU_DEP_1) | instskip(SKIP_1) | instid1(VALU_DEP_1)
	v_pk_fma_f32 v[88:89], v[86:87], v[74:75], v[84:85] op_sel:[0,0,1] op_sel_hi:[1,1,0] neg_lo:[0,0,1] neg_hi:[0,0,1]
	v_pk_fma_f32 v[84:85], v[86:87], v[74:75], v[84:85] op_sel:[0,0,1] op_sel_hi:[1,0,0]
	v_mov_b32_e32 v89, v85
	ds_load_2addr_b64 v[84:87], v78 offset0:22 offset1:23
	v_pk_add_f32 v[60:61], v[60:61], v[90:91] neg_lo:[0,1] neg_hi:[0,1]
	v_pk_add_f32 v[36:37], v[36:37], v[88:89] neg_lo:[0,1] neg_hi:[0,1]
	s_wait_dscnt 0x0
	v_dual_mul_f32 v88, v85, v77 :: v_dual_mul_f32 v90, v85, v74
	s_delay_alu instid0(VALU_DEP_1) | instskip(NEXT) | instid1(VALU_DEP_2)
	v_pk_fma_f32 v[88:89], v[84:85], v[26:27], v[88:89] op_sel_hi:[1,1,0] neg_lo:[0,0,1] neg_hi:[0,0,1]
	v_pk_fma_f32 v[84:85], v[84:85], v[26:27], v[90:91] op_sel:[1,0,0] op_sel_hi:[0,1,0]
	s_delay_alu instid0(VALU_DEP_1) | instskip(SKIP_1) | instid1(VALU_DEP_2)
	v_mov_b32_e32 v89, v85
	v_pk_mul_f32 v[84:85], v[86:87], v[76:77] op_sel:[0,1]
	v_pk_add_f32 v[38:39], v[38:39], v[88:89] neg_lo:[0,1] neg_hi:[0,1]
	s_delay_alu instid0(VALU_DEP_2) | instskip(SKIP_1) | instid1(VALU_DEP_1)
	v_pk_fma_f32 v[88:89], v[86:87], v[74:75], v[84:85] op_sel:[0,0,1] op_sel_hi:[1,1,0] neg_lo:[0,0,1] neg_hi:[0,0,1]
	v_pk_fma_f32 v[84:85], v[86:87], v[74:75], v[84:85] op_sel:[0,0,1] op_sel_hi:[1,0,0]
	v_mov_b32_e32 v89, v85
	ds_load_2addr_b64 v[84:87], v78 offset0:24 offset1:25
	v_pk_add_f32 v[34:35], v[34:35], v[88:89] neg_lo:[0,1] neg_hi:[0,1]
	s_wait_dscnt 0x0
	v_pk_mul_f32 v[88:89], v[84:85], v[76:77] op_sel:[0,1]
	s_delay_alu instid0(VALU_DEP_1) | instskip(SKIP_1) | instid1(VALU_DEP_1)
	v_pk_fma_f32 v[90:91], v[84:85], v[74:75], v[88:89] op_sel:[0,0,1] op_sel_hi:[1,1,0] neg_lo:[0,0,1] neg_hi:[0,0,1]
	v_pk_fma_f32 v[84:85], v[84:85], v[74:75], v[88:89] op_sel:[0,0,1] op_sel_hi:[1,0,0]
	v_mov_b32_e32 v91, v85
	v_pk_mul_f32 v[84:85], v[86:87], v[76:77] op_sel:[0,1]
	s_delay_alu instid0(VALU_DEP_2) | instskip(NEXT) | instid1(VALU_DEP_2)
	v_pk_add_f32 v[56:57], v[56:57], v[90:91] neg_lo:[0,1] neg_hi:[0,1]
	v_pk_fma_f32 v[88:89], v[86:87], v[74:75], v[84:85] op_sel:[0,0,1] op_sel_hi:[1,1,0] neg_lo:[0,0,1] neg_hi:[0,0,1]
	v_pk_fma_f32 v[84:85], v[86:87], v[74:75], v[84:85] op_sel:[0,0,1] op_sel_hi:[1,0,0]
	s_delay_alu instid0(VALU_DEP_1) | instskip(SKIP_4) | instid1(VALU_DEP_1)
	v_mov_b32_e32 v89, v85
	ds_load_2addr_b64 v[84:87], v78 offset0:26 offset1:27
	v_pk_add_f32 v[22:23], v[22:23], v[88:89] neg_lo:[0,1] neg_hi:[0,1]
	s_wait_dscnt 0x0
	v_pk_mul_f32 v[88:89], v[84:85], v[76:77] op_sel:[0,1]
	v_pk_fma_f32 v[90:91], v[84:85], v[74:75], v[88:89] op_sel:[0,0,1] op_sel_hi:[1,1,0] neg_lo:[0,0,1] neg_hi:[0,0,1]
	v_pk_fma_f32 v[84:85], v[84:85], v[74:75], v[88:89] op_sel:[0,0,1] op_sel_hi:[1,0,0]
	v_dual_mul_f32 v88, v87, v77 :: v_dual_mov_b32 v84, v87
	s_delay_alu instid0(VALU_DEP_2) | instskip(NEXT) | instid1(VALU_DEP_2)
	v_dual_mov_b32 v91, v85 :: v_dual_mov_b32 v85, v86
	v_pk_fma_f32 v[88:89], v[86:87], v[26:27], v[88:89] op_sel_hi:[1,1,0] neg_lo:[0,0,1] neg_hi:[0,0,1]
	v_mul_f32_e32 v86, v87, v74
	s_delay_alu instid0(VALU_DEP_3) | instskip(NEXT) | instid1(VALU_DEP_2)
	v_pk_add_f32 v[28:29], v[28:29], v[90:91] neg_lo:[0,1] neg_hi:[0,1]
	v_pk_fma_f32 v[84:85], v[84:85], v[26:27], v[86:87] op_sel_hi:[1,1,0]
	s_delay_alu instid0(VALU_DEP_1) | instskip(SKIP_4) | instid1(VALU_DEP_1)
	v_mov_b32_e32 v89, v85
	ds_load_2addr_b64 v[84:87], v78 offset0:28 offset1:29
	v_pk_add_f32 v[20:21], v[20:21], v[88:89] neg_lo:[0,1] neg_hi:[0,1]
	s_wait_dscnt 0x0
	v_pk_mul_f32 v[88:89], v[84:85], v[76:77] op_sel:[0,1]
	v_pk_fma_f32 v[90:91], v[84:85], v[74:75], v[88:89] op_sel:[0,0,1] op_sel_hi:[1,1,0] neg_lo:[0,0,1] neg_hi:[0,0,1]
	v_pk_fma_f32 v[84:85], v[84:85], v[74:75], v[88:89] op_sel:[0,0,1] op_sel_hi:[1,0,0]
	s_delay_alu instid0(VALU_DEP_1) | instskip(SKIP_1) | instid1(VALU_DEP_1)
	v_mov_b32_e32 v91, v85
	v_pk_mul_f32 v[84:85], v[86:87], v[76:77] op_sel:[0,1]
	v_pk_fma_f32 v[88:89], v[86:87], v[74:75], v[84:85] op_sel:[0,0,1] op_sel_hi:[1,1,0] neg_lo:[0,0,1] neg_hi:[0,0,1]
	v_pk_fma_f32 v[84:85], v[86:87], v[74:75], v[84:85] op_sel:[0,0,1] op_sel_hi:[1,0,0]
	s_delay_alu instid0(VALU_DEP_1)
	v_mov_b32_e32 v89, v85
	ds_load_2addr_b64 v[84:87], v78 offset0:30 offset1:31
	v_pk_add_f32 v[50:51], v[50:51], v[90:91] neg_lo:[0,1] neg_hi:[0,1]
	v_pk_add_f32 v[12:13], v[12:13], v[88:89] neg_lo:[0,1] neg_hi:[0,1]
	s_wait_dscnt 0x0
	v_pk_mul_f32 v[88:89], v[84:85], v[76:77] op_sel:[0,1]
	s_delay_alu instid0(VALU_DEP_1) | instskip(SKIP_1) | instid1(VALU_DEP_1)
	v_pk_fma_f32 v[90:91], v[84:85], v[74:75], v[88:89] op_sel:[0,0,1] op_sel_hi:[1,1,0] neg_lo:[0,0,1] neg_hi:[0,0,1]
	v_pk_fma_f32 v[84:85], v[84:85], v[74:75], v[88:89] op_sel:[0,0,1] op_sel_hi:[1,0,0]
	v_mov_b32_e32 v91, v85
	v_pk_mul_f32 v[84:85], v[86:87], v[76:77] op_sel:[0,1]
	s_delay_alu instid0(VALU_DEP_1) | instskip(SKIP_1) | instid1(VALU_DEP_1)
	v_pk_fma_f32 v[88:89], v[86:87], v[74:75], v[84:85] op_sel:[0,0,1] op_sel_hi:[1,1,0] neg_lo:[0,0,1] neg_hi:[0,0,1]
	v_pk_fma_f32 v[84:85], v[86:87], v[74:75], v[84:85] op_sel:[0,0,1] op_sel_hi:[1,0,0]
	v_mov_b32_e32 v89, v85
	ds_load_2addr_b64 v[84:87], v78 offset0:32 offset1:33
	v_pk_add_f32 v[48:49], v[48:49], v[90:91] neg_lo:[0,1] neg_hi:[0,1]
	v_pk_add_f32 v[46:47], v[46:47], v[88:89] neg_lo:[0,1] neg_hi:[0,1]
	s_wait_dscnt 0x0
	v_dual_mul_f32 v88, v85, v77 :: v_dual_mul_f32 v90, v85, v74
	v_pk_mul_f32 v[76:77], v[86:87], v[76:77] op_sel:[0,1]
	s_delay_alu instid0(VALU_DEP_2) | instskip(NEXT) | instid1(VALU_DEP_3)
	v_pk_fma_f32 v[88:89], v[84:85], v[26:27], v[88:89] op_sel_hi:[1,1,0] neg_lo:[0,0,1] neg_hi:[0,0,1]
	v_pk_fma_f32 v[84:85], v[84:85], v[26:27], v[90:91] op_sel:[1,0,0] op_sel_hi:[0,1,0]
	s_delay_alu instid0(VALU_DEP_1) | instskip(NEXT) | instid1(VALU_DEP_4)
	v_mov_b32_e32 v89, v85
	v_pk_fma_f32 v[84:85], v[86:87], v[74:75], v[76:77] op_sel:[0,0,1] op_sel_hi:[1,1,0] neg_lo:[0,0,1] neg_hi:[0,0,1]
	v_pk_fma_f32 v[74:75], v[86:87], v[74:75], v[76:77] op_sel:[0,0,1] op_sel_hi:[1,0,0]
	s_delay_alu instid0(VALU_DEP_1) | instskip(NEXT) | instid1(VALU_DEP_4)
	v_mov_b32_e32 v85, v75
	v_pk_add_f32 v[32:33], v[32:33], v[88:89] neg_lo:[0,1] neg_hi:[0,1]
	s_delay_alu instid0(VALU_DEP_2)
	v_pk_add_f32 v[72:73], v[72:73], v[84:85] neg_lo:[0,1] neg_hi:[0,1]
.LBB66_293:
	s_or_b32 exec_lo, exec_lo, s0
	v_lshl_add_u32 v74, v82, 3, v78
	s_barrier_signal -1
	s_barrier_wait -1
	ds_store_b64 v74, v[30:31]
	s_wait_dscnt 0x0
	s_barrier_signal -1
	s_barrier_wait -1
	ds_load_b64 v[76:77], v78 offset:112
	v_mov_b32_e32 v74, 14
	s_cmp_lt_i32 s18, 16
	s_cbranch_scc1 .LBB66_296
; %bb.294:
	v_add3_u32 v75, v79, 0, 0x78
	v_mov_b32_e32 v74, 14
	s_mov_b32 s0, 15
.LBB66_295:                             ; =>This Inner Loop Header: Depth=1
	ds_load_b64 v[84:85], v75
	s_wait_dscnt 0x1
	v_cmp_gt_f32_e32 vcc_lo, 0, v76
	v_cndmask_b32_e64 v86, v76, -v76, vcc_lo
	v_cmp_gt_f32_e32 vcc_lo, 0, v77
	v_cndmask_b32_e64 v88, v77, -v77, vcc_lo
	s_wait_dscnt 0x0
	v_cmp_gt_f32_e32 vcc_lo, 0, v84
	v_cndmask_b32_e64 v87, v84, -v84, vcc_lo
	v_cmp_gt_f32_e32 vcc_lo, 0, v85
	v_cndmask_b32_e64 v89, v85, -v85, vcc_lo
	s_delay_alu instid0(VALU_DEP_1) | instskip(NEXT) | instid1(VALU_DEP_1)
	v_pk_add_f32 v[86:87], v[86:87], v[88:89]
	v_cmp_lt_f32_e32 vcc_lo, v86, v87
	v_dual_add_nc_u32 v75, 8, v75 :: v_dual_cndmask_b32 v77, v77, v85, vcc_lo
	v_cndmask_b32_e32 v76, v76, v84, vcc_lo
	v_cndmask_b32_e64 v74, v74, s0, vcc_lo
	s_add_co_i32 s0, s0, 1
	s_delay_alu instid0(SALU_CYCLE_1)
	s_cmp_lg_u32 s18, s0
	s_cbranch_scc1 .LBB66_295
.LBB66_296:
	s_wait_dscnt 0x0
	v_cmp_eq_f32_e32 vcc_lo, 0, v76
	v_cmp_eq_f32_e64 s0, 0, v77
	s_and_b32 s0, vcc_lo, s0
	s_delay_alu instid0(SALU_CYCLE_1) | instskip(NEXT) | instid1(SALU_CYCLE_1)
	s_and_saveexec_b32 s1, s0
	s_xor_b32 s0, exec_lo, s1
; %bb.297:
	v_cmp_ne_u32_e32 vcc_lo, 0, v80
	v_cndmask_b32_e32 v80, 15, v80, vcc_lo
; %bb.298:
	s_and_not1_saveexec_b32 s0, s0
	s_cbranch_execz .LBB66_304
; %bb.299:
	v_cmp_ngt_f32_e64 s1, |v76|, |v77|
	s_and_saveexec_b32 s12, s1
	s_delay_alu instid0(SALU_CYCLE_1)
	s_xor_b32 s1, exec_lo, s12
	s_cbranch_execz .LBB66_301
; %bb.300:
	v_div_scale_f32 v75, null, v77, v77, v76
	v_div_scale_f32 v85, vcc_lo, v76, v77, v76
	s_delay_alu instid0(VALU_DEP_2) | instskip(SKIP_1) | instid1(TRANS32_DEP_1)
	v_rcp_f32_e32 v83, v75
	v_nop
	v_fma_f32 v84, -v75, v83, 1.0
	s_delay_alu instid0(VALU_DEP_1) | instskip(NEXT) | instid1(VALU_DEP_1)
	v_fmac_f32_e32 v83, v84, v83
	v_mul_f32_e32 v84, v85, v83
	s_delay_alu instid0(VALU_DEP_1) | instskip(NEXT) | instid1(VALU_DEP_1)
	v_fma_f32 v86, -v75, v84, v85
	v_fmac_f32_e32 v84, v86, v83
	s_delay_alu instid0(VALU_DEP_1) | instskip(NEXT) | instid1(VALU_DEP_1)
	v_fma_f32 v75, -v75, v84, v85
	v_div_fmas_f32 v75, v75, v83, v84
	s_delay_alu instid0(VALU_DEP_1) | instskip(NEXT) | instid1(VALU_DEP_1)
	v_div_fixup_f32 v75, v75, v77, v76
	v_fmac_f32_e32 v77, v76, v75
	s_delay_alu instid0(VALU_DEP_1) | instskip(SKIP_1) | instid1(VALU_DEP_2)
	v_div_scale_f32 v76, null, v77, v77, 1.0
	v_div_scale_f32 v85, vcc_lo, 1.0, v77, 1.0
	v_rcp_f32_e32 v83, v76
	v_nop
	s_delay_alu instid0(TRANS32_DEP_1) | instskip(NEXT) | instid1(VALU_DEP_1)
	v_fma_f32 v84, -v76, v83, 1.0
	v_fmac_f32_e32 v83, v84, v83
	s_delay_alu instid0(VALU_DEP_1) | instskip(NEXT) | instid1(VALU_DEP_1)
	v_mul_f32_e32 v84, v85, v83
	v_fma_f32 v86, -v76, v84, v85
	s_delay_alu instid0(VALU_DEP_1) | instskip(NEXT) | instid1(VALU_DEP_1)
	v_fmac_f32_e32 v84, v86, v83
	v_fma_f32 v76, -v76, v84, v85
	s_delay_alu instid0(VALU_DEP_1) | instskip(NEXT) | instid1(VALU_DEP_1)
	v_div_fmas_f32 v76, v76, v83, v84
	v_div_fixup_f32 v77, v76, v77, 1.0
	s_delay_alu instid0(VALU_DEP_1)
	v_mul_f32_e32 v76, v75, v77
	v_xor_b32_e32 v77, 0x80000000, v77
.LBB66_301:
	s_and_not1_saveexec_b32 s1, s1
	s_cbranch_execz .LBB66_303
; %bb.302:
	s_delay_alu instid0(VALU_DEP_1) | instskip(SKIP_1) | instid1(VALU_DEP_2)
	v_div_scale_f32 v75, null, v76, v76, v77
	v_div_scale_f32 v85, vcc_lo, v77, v76, v77
	v_rcp_f32_e32 v83, v75
	v_nop
	s_delay_alu instid0(TRANS32_DEP_1) | instskip(NEXT) | instid1(VALU_DEP_1)
	v_fma_f32 v84, -v75, v83, 1.0
	v_fmac_f32_e32 v83, v84, v83
	s_delay_alu instid0(VALU_DEP_1) | instskip(NEXT) | instid1(VALU_DEP_1)
	v_mul_f32_e32 v84, v85, v83
	v_fma_f32 v86, -v75, v84, v85
	s_delay_alu instid0(VALU_DEP_1) | instskip(NEXT) | instid1(VALU_DEP_1)
	v_fmac_f32_e32 v84, v86, v83
	v_fma_f32 v75, -v75, v84, v85
	s_delay_alu instid0(VALU_DEP_1) | instskip(NEXT) | instid1(VALU_DEP_1)
	v_div_fmas_f32 v75, v75, v83, v84
	v_div_fixup_f32 v75, v75, v76, v77
	s_delay_alu instid0(VALU_DEP_1) | instskip(NEXT) | instid1(VALU_DEP_1)
	v_fmac_f32_e32 v76, v77, v75
	v_div_scale_f32 v77, null, v76, v76, 1.0
	s_delay_alu instid0(VALU_DEP_1) | instskip(SKIP_1) | instid1(TRANS32_DEP_1)
	v_rcp_f32_e32 v83, v77
	v_nop
	v_fma_f32 v84, -v77, v83, 1.0
	s_delay_alu instid0(VALU_DEP_1) | instskip(SKIP_1) | instid1(VALU_DEP_1)
	v_fmac_f32_e32 v83, v84, v83
	v_div_scale_f32 v84, vcc_lo, 1.0, v76, 1.0
	v_mul_f32_e32 v85, v84, v83
	s_delay_alu instid0(VALU_DEP_1) | instskip(NEXT) | instid1(VALU_DEP_1)
	v_fma_f32 v86, -v77, v85, v84
	v_fmac_f32_e32 v85, v86, v83
	s_delay_alu instid0(VALU_DEP_1) | instskip(NEXT) | instid1(VALU_DEP_1)
	v_fma_f32 v77, -v77, v85, v84
	v_div_fmas_f32 v77, v77, v83, v85
	s_delay_alu instid0(VALU_DEP_1) | instskip(NEXT) | instid1(VALU_DEP_1)
	v_div_fixup_f32 v76, v77, v76, 1.0
	v_mul_f32_e64 v77, v75, -v76
.LBB66_303:
	s_or_b32 exec_lo, exec_lo, s1
.LBB66_304:
	s_delay_alu instid0(SALU_CYCLE_1) | instskip(NEXT) | instid1(SALU_CYCLE_1)
	s_or_b32 exec_lo, exec_lo, s0
	s_mov_b32 s0, exec_lo
	v_cmpx_ne_u32_e64 v82, v74
	s_xor_b32 s0, exec_lo, s0
	s_cbranch_execz .LBB66_310
; %bb.305:
	s_mov_b32 s1, exec_lo
	v_cmpx_eq_u32_e32 14, v82
	s_cbranch_execz .LBB66_309
; %bb.306:
	v_cmp_ne_u32_e32 vcc_lo, 14, v74
	s_xor_b32 s12, s16, -1
	s_delay_alu instid0(SALU_CYCLE_1) | instskip(NEXT) | instid1(SALU_CYCLE_1)
	s_and_b32 s13, s12, vcc_lo
	s_and_saveexec_b32 s12, s13
	s_cbranch_execz .LBB66_308
; %bb.307:
	v_ashrrev_i32_e32 v75, 31, v74
	s_delay_alu instid0(VALU_DEP_1)
	v_lshl_add_u64 v[82:83], v[74:75], 2, v[4:5]
	s_clause 0x1
	global_load_b32 v75, v[82:83], off
	global_load_b32 v81, v[4:5], off offset:56
	s_wait_loadcnt 0x1
	global_store_b32 v[4:5], v75, off offset:56
	s_wait_loadcnt 0x0
	global_store_b32 v[82:83], v81, off
.LBB66_308:
	s_wait_xcnt 0x0
	s_or_b32 exec_lo, exec_lo, s12
	v_dual_mov_b32 v82, v74 :: v_dual_mov_b32 v81, v74
.LBB66_309:
	s_or_b32 exec_lo, exec_lo, s1
.LBB66_310:
	s_and_not1_saveexec_b32 s0, s0
	s_cbranch_execz .LBB66_312
; %bb.311:
	v_mov_b32_e32 v82, 14
	ds_store_2addr_b64 v78, v[24:25], v[62:63] offset0:15 offset1:16
	ds_store_2addr_b64 v78, v[42:43], v[44:45] offset0:17 offset1:18
	;; [unrolled: 1-line block ×9, first 2 shown]
	ds_store_b64 v78, v[72:73] offset:264
.LBB66_312:
	s_or_b32 exec_lo, exec_lo, s0
	s_delay_alu instid0(SALU_CYCLE_1)
	s_mov_b32 s0, exec_lo
	s_wait_storecnt_dscnt 0x0
	s_barrier_signal -1
	s_barrier_wait -1
	v_cmpx_lt_i32_e32 14, v82
	s_cbranch_execz .LBB66_314
; %bb.313:
	v_pk_mul_f32 v[84:85], v[76:77], v[30:31] op_sel:[1,1] op_sel_hi:[0,1]
	s_delay_alu instid0(VALU_DEP_1)
	v_pk_fma_f32 v[74:75], v[76:77], v[30:31], v[84:85] op_sel_hi:[1,0,1] neg_lo:[0,0,1] neg_hi:[0,0,1]
	v_pk_fma_f32 v[76:77], v[76:77], v[30:31], v[84:85] op_sel_hi:[1,0,1]
	ds_load_2addr_b64 v[84:87], v78 offset0:15 offset1:16
	v_dual_mov_b32 v30, v74 :: v_dual_mov_b32 v31, v77
	s_wait_dscnt 0x0
	v_pk_mul_f32 v[88:89], v[84:85], v[76:77] op_sel:[0,1]
	s_delay_alu instid0(VALU_DEP_1) | instskip(SKIP_1) | instid1(VALU_DEP_1)
	v_pk_fma_f32 v[90:91], v[84:85], v[74:75], v[88:89] op_sel:[0,0,1] op_sel_hi:[1,1,0] neg_lo:[0,0,1] neg_hi:[0,0,1]
	v_pk_fma_f32 v[84:85], v[84:85], v[74:75], v[88:89] op_sel:[0,0,1] op_sel_hi:[1,0,0]
	v_mov_b32_e32 v91, v85
	v_pk_mul_f32 v[84:85], v[86:87], v[76:77] op_sel:[0,1]
	s_delay_alu instid0(VALU_DEP_1) | instskip(SKIP_1) | instid1(VALU_DEP_1)
	v_pk_fma_f32 v[88:89], v[86:87], v[74:75], v[84:85] op_sel:[0,0,1] op_sel_hi:[1,1,0] neg_lo:[0,0,1] neg_hi:[0,0,1]
	v_pk_fma_f32 v[84:85], v[86:87], v[74:75], v[84:85] op_sel:[0,0,1] op_sel_hi:[1,0,0]
	v_mov_b32_e32 v89, v85
	ds_load_2addr_b64 v[84:87], v78 offset0:17 offset1:18
	v_pk_add_f32 v[24:25], v[24:25], v[90:91] neg_lo:[0,1] neg_hi:[0,1]
	v_pk_add_f32 v[62:63], v[62:63], v[88:89] neg_lo:[0,1] neg_hi:[0,1]
	s_wait_dscnt 0x0
	v_pk_mul_f32 v[88:89], v[84:85], v[76:77] op_sel:[0,1]
	s_delay_alu instid0(VALU_DEP_1) | instskip(SKIP_2) | instid1(VALU_DEP_2)
	v_pk_fma_f32 v[90:91], v[84:85], v[74:75], v[88:89] op_sel:[0,0,1] op_sel_hi:[1,1,0] neg_lo:[0,0,1] neg_hi:[0,0,1]
	v_pk_fma_f32 v[84:85], v[84:85], v[74:75], v[88:89] op_sel:[0,0,1] op_sel_hi:[1,0,0]
	v_dual_mul_f32 v88, v87, v77 :: v_dual_mov_b32 v84, v87
	v_dual_mov_b32 v91, v85 :: v_dual_mov_b32 v85, v86
	s_delay_alu instid0(VALU_DEP_2) | instskip(SKIP_1) | instid1(VALU_DEP_3)
	v_pk_fma_f32 v[88:89], v[86:87], v[30:31], v[88:89] op_sel_hi:[1,1,0] neg_lo:[0,0,1] neg_hi:[0,0,1]
	v_mul_f32_e32 v86, v87, v74
	v_pk_add_f32 v[42:43], v[42:43], v[90:91] neg_lo:[0,1] neg_hi:[0,1]
	s_delay_alu instid0(VALU_DEP_2) | instskip(NEXT) | instid1(VALU_DEP_1)
	v_pk_fma_f32 v[84:85], v[84:85], v[30:31], v[86:87] op_sel_hi:[1,1,0]
	v_mov_b32_e32 v89, v85
	ds_load_2addr_b64 v[84:87], v78 offset0:19 offset1:20
	v_pk_add_f32 v[44:45], v[44:45], v[88:89] neg_lo:[0,1] neg_hi:[0,1]
	s_wait_dscnt 0x0
	v_pk_mul_f32 v[88:89], v[84:85], v[76:77] op_sel:[0,1]
	s_delay_alu instid0(VALU_DEP_1) | instskip(SKIP_1) | instid1(VALU_DEP_1)
	v_pk_fma_f32 v[90:91], v[84:85], v[74:75], v[88:89] op_sel:[0,0,1] op_sel_hi:[1,1,0] neg_lo:[0,0,1] neg_hi:[0,0,1]
	v_pk_fma_f32 v[84:85], v[84:85], v[74:75], v[88:89] op_sel:[0,0,1] op_sel_hi:[1,0,0]
	v_mov_b32_e32 v91, v85
	v_pk_mul_f32 v[84:85], v[86:87], v[76:77] op_sel:[0,1]
	s_delay_alu instid0(VALU_DEP_1) | instskip(SKIP_1) | instid1(VALU_DEP_1)
	v_pk_fma_f32 v[88:89], v[86:87], v[74:75], v[84:85] op_sel:[0,0,1] op_sel_hi:[1,1,0] neg_lo:[0,0,1] neg_hi:[0,0,1]
	v_pk_fma_f32 v[84:85], v[86:87], v[74:75], v[84:85] op_sel:[0,0,1] op_sel_hi:[1,0,0]
	v_mov_b32_e32 v89, v85
	ds_load_2addr_b64 v[84:87], v78 offset0:21 offset1:22
	v_pk_add_f32 v[40:41], v[40:41], v[90:91] neg_lo:[0,1] neg_hi:[0,1]
	v_pk_add_f32 v[60:61], v[60:61], v[88:89] neg_lo:[0,1] neg_hi:[0,1]
	s_wait_dscnt 0x0
	v_pk_mul_f32 v[88:89], v[84:85], v[76:77] op_sel:[0,1]
	s_delay_alu instid0(VALU_DEP_1) | instskip(SKIP_1) | instid1(VALU_DEP_1)
	v_pk_fma_f32 v[90:91], v[84:85], v[74:75], v[88:89] op_sel:[0,0,1] op_sel_hi:[1,1,0] neg_lo:[0,0,1] neg_hi:[0,0,1]
	v_pk_fma_f32 v[84:85], v[84:85], v[74:75], v[88:89] op_sel:[0,0,1] op_sel_hi:[1,0,0]
	v_mov_b32_e32 v91, v85
	v_pk_mul_f32 v[84:85], v[86:87], v[76:77] op_sel:[0,1]
	s_delay_alu instid0(VALU_DEP_1) | instskip(SKIP_1) | instid1(VALU_DEP_1)
	v_pk_fma_f32 v[88:89], v[86:87], v[74:75], v[84:85] op_sel:[0,0,1] op_sel_hi:[1,1,0] neg_lo:[0,0,1] neg_hi:[0,0,1]
	v_pk_fma_f32 v[84:85], v[86:87], v[74:75], v[84:85] op_sel:[0,0,1] op_sel_hi:[1,0,0]
	v_mov_b32_e32 v89, v85
	ds_load_2addr_b64 v[84:87], v78 offset0:23 offset1:24
	v_pk_add_f32 v[36:37], v[36:37], v[90:91] neg_lo:[0,1] neg_hi:[0,1]
	v_pk_add_f32 v[38:39], v[38:39], v[88:89] neg_lo:[0,1] neg_hi:[0,1]
	s_wait_dscnt 0x0
	v_dual_mul_f32 v88, v85, v77 :: v_dual_mul_f32 v90, v85, v74
	s_delay_alu instid0(VALU_DEP_1) | instskip(NEXT) | instid1(VALU_DEP_2)
	v_pk_fma_f32 v[88:89], v[84:85], v[30:31], v[88:89] op_sel_hi:[1,1,0] neg_lo:[0,0,1] neg_hi:[0,0,1]
	v_pk_fma_f32 v[84:85], v[84:85], v[30:31], v[90:91] op_sel:[1,0,0] op_sel_hi:[0,1,0]
	s_delay_alu instid0(VALU_DEP_1) | instskip(SKIP_1) | instid1(VALU_DEP_2)
	v_mov_b32_e32 v89, v85
	v_pk_mul_f32 v[84:85], v[86:87], v[76:77] op_sel:[0,1]
	v_pk_add_f32 v[34:35], v[34:35], v[88:89] neg_lo:[0,1] neg_hi:[0,1]
	s_delay_alu instid0(VALU_DEP_2) | instskip(SKIP_1) | instid1(VALU_DEP_1)
	v_pk_fma_f32 v[88:89], v[86:87], v[74:75], v[84:85] op_sel:[0,0,1] op_sel_hi:[1,1,0] neg_lo:[0,0,1] neg_hi:[0,0,1]
	v_pk_fma_f32 v[84:85], v[86:87], v[74:75], v[84:85] op_sel:[0,0,1] op_sel_hi:[1,0,0]
	v_mov_b32_e32 v89, v85
	ds_load_2addr_b64 v[84:87], v78 offset0:25 offset1:26
	v_pk_add_f32 v[56:57], v[56:57], v[88:89] neg_lo:[0,1] neg_hi:[0,1]
	s_wait_dscnt 0x0
	v_pk_mul_f32 v[88:89], v[84:85], v[76:77] op_sel:[0,1]
	s_delay_alu instid0(VALU_DEP_1) | instskip(SKIP_1) | instid1(VALU_DEP_1)
	v_pk_fma_f32 v[90:91], v[84:85], v[74:75], v[88:89] op_sel:[0,0,1] op_sel_hi:[1,1,0] neg_lo:[0,0,1] neg_hi:[0,0,1]
	v_pk_fma_f32 v[84:85], v[84:85], v[74:75], v[88:89] op_sel:[0,0,1] op_sel_hi:[1,0,0]
	v_mov_b32_e32 v91, v85
	v_pk_mul_f32 v[84:85], v[86:87], v[76:77] op_sel:[0,1]
	s_delay_alu instid0(VALU_DEP_2) | instskip(NEXT) | instid1(VALU_DEP_2)
	v_pk_add_f32 v[22:23], v[22:23], v[90:91] neg_lo:[0,1] neg_hi:[0,1]
	v_pk_fma_f32 v[88:89], v[86:87], v[74:75], v[84:85] op_sel:[0,0,1] op_sel_hi:[1,1,0] neg_lo:[0,0,1] neg_hi:[0,0,1]
	v_pk_fma_f32 v[84:85], v[86:87], v[74:75], v[84:85] op_sel:[0,0,1] op_sel_hi:[1,0,0]
	s_delay_alu instid0(VALU_DEP_1) | instskip(SKIP_4) | instid1(VALU_DEP_1)
	v_mov_b32_e32 v89, v85
	ds_load_2addr_b64 v[84:87], v78 offset0:27 offset1:28
	v_pk_add_f32 v[28:29], v[28:29], v[88:89] neg_lo:[0,1] neg_hi:[0,1]
	s_wait_dscnt 0x0
	v_pk_mul_f32 v[88:89], v[84:85], v[76:77] op_sel:[0,1]
	v_pk_fma_f32 v[90:91], v[84:85], v[74:75], v[88:89] op_sel:[0,0,1] op_sel_hi:[1,1,0] neg_lo:[0,0,1] neg_hi:[0,0,1]
	v_pk_fma_f32 v[84:85], v[84:85], v[74:75], v[88:89] op_sel:[0,0,1] op_sel_hi:[1,0,0]
	v_dual_mul_f32 v88, v87, v77 :: v_dual_mov_b32 v84, v87
	s_delay_alu instid0(VALU_DEP_2) | instskip(NEXT) | instid1(VALU_DEP_2)
	v_dual_mov_b32 v91, v85 :: v_dual_mov_b32 v85, v86
	v_pk_fma_f32 v[88:89], v[86:87], v[30:31], v[88:89] op_sel_hi:[1,1,0] neg_lo:[0,0,1] neg_hi:[0,0,1]
	v_mul_f32_e32 v86, v87, v74
	s_delay_alu instid0(VALU_DEP_3) | instskip(NEXT) | instid1(VALU_DEP_2)
	v_pk_add_f32 v[20:21], v[20:21], v[90:91] neg_lo:[0,1] neg_hi:[0,1]
	v_pk_fma_f32 v[84:85], v[84:85], v[30:31], v[86:87] op_sel_hi:[1,1,0]
	s_delay_alu instid0(VALU_DEP_1) | instskip(SKIP_4) | instid1(VALU_DEP_1)
	v_mov_b32_e32 v89, v85
	ds_load_2addr_b64 v[84:87], v78 offset0:29 offset1:30
	v_pk_add_f32 v[50:51], v[50:51], v[88:89] neg_lo:[0,1] neg_hi:[0,1]
	s_wait_dscnt 0x0
	v_pk_mul_f32 v[88:89], v[84:85], v[76:77] op_sel:[0,1]
	v_pk_fma_f32 v[90:91], v[84:85], v[74:75], v[88:89] op_sel:[0,0,1] op_sel_hi:[1,1,0] neg_lo:[0,0,1] neg_hi:[0,0,1]
	v_pk_fma_f32 v[84:85], v[84:85], v[74:75], v[88:89] op_sel:[0,0,1] op_sel_hi:[1,0,0]
	s_delay_alu instid0(VALU_DEP_1) | instskip(SKIP_1) | instid1(VALU_DEP_1)
	v_mov_b32_e32 v91, v85
	v_pk_mul_f32 v[84:85], v[86:87], v[76:77] op_sel:[0,1]
	v_pk_fma_f32 v[88:89], v[86:87], v[74:75], v[84:85] op_sel:[0,0,1] op_sel_hi:[1,1,0] neg_lo:[0,0,1] neg_hi:[0,0,1]
	v_pk_fma_f32 v[84:85], v[86:87], v[74:75], v[84:85] op_sel:[0,0,1] op_sel_hi:[1,0,0]
	s_delay_alu instid0(VALU_DEP_1)
	v_mov_b32_e32 v89, v85
	ds_load_2addr_b64 v[84:87], v78 offset0:31 offset1:32
	v_pk_add_f32 v[12:13], v[12:13], v[90:91] neg_lo:[0,1] neg_hi:[0,1]
	v_pk_add_f32 v[48:49], v[48:49], v[88:89] neg_lo:[0,1] neg_hi:[0,1]
	s_wait_dscnt 0x0
	v_pk_mul_f32 v[88:89], v[84:85], v[76:77] op_sel:[0,1]
	s_delay_alu instid0(VALU_DEP_1) | instskip(SKIP_1) | instid1(VALU_DEP_1)
	v_pk_fma_f32 v[90:91], v[84:85], v[74:75], v[88:89] op_sel:[0,0,1] op_sel_hi:[1,1,0] neg_lo:[0,0,1] neg_hi:[0,0,1]
	v_pk_fma_f32 v[84:85], v[84:85], v[74:75], v[88:89] op_sel:[0,0,1] op_sel_hi:[1,0,0]
	v_mov_b32_e32 v91, v85
	v_pk_mul_f32 v[84:85], v[86:87], v[76:77] op_sel:[0,1]
	s_delay_alu instid0(VALU_DEP_1) | instskip(SKIP_1) | instid1(VALU_DEP_1)
	v_pk_fma_f32 v[88:89], v[86:87], v[74:75], v[84:85] op_sel:[0,0,1] op_sel_hi:[1,1,0] neg_lo:[0,0,1] neg_hi:[0,0,1]
	v_pk_fma_f32 v[84:85], v[86:87], v[74:75], v[84:85] op_sel:[0,0,1] op_sel_hi:[1,0,0]
	v_mov_b32_e32 v89, v85
	ds_load_b64 v[84:85], v78 offset:264
	v_pk_add_f32 v[46:47], v[46:47], v[90:91] neg_lo:[0,1] neg_hi:[0,1]
	v_pk_add_f32 v[32:33], v[32:33], v[88:89] neg_lo:[0,1] neg_hi:[0,1]
	s_wait_dscnt 0x0
	v_pk_mul_f32 v[76:77], v[84:85], v[76:77] op_sel:[0,1]
	s_delay_alu instid0(VALU_DEP_1) | instskip(SKIP_1) | instid1(VALU_DEP_1)
	v_pk_fma_f32 v[86:87], v[84:85], v[74:75], v[76:77] op_sel:[0,0,1] op_sel_hi:[1,1,0] neg_lo:[0,0,1] neg_hi:[0,0,1]
	v_pk_fma_f32 v[74:75], v[84:85], v[74:75], v[76:77] op_sel:[0,0,1] op_sel_hi:[1,0,0]
	v_mov_b32_e32 v87, v75
	s_delay_alu instid0(VALU_DEP_1)
	v_pk_add_f32 v[72:73], v[72:73], v[86:87] neg_lo:[0,1] neg_hi:[0,1]
.LBB66_314:
	s_or_b32 exec_lo, exec_lo, s0
	v_lshl_add_u32 v74, v82, 3, v78
	s_barrier_signal -1
	s_barrier_wait -1
	ds_store_b64 v74, v[24:25]
	s_wait_dscnt 0x0
	s_barrier_signal -1
	s_barrier_wait -1
	ds_load_b64 v[74:75], v78 offset:120
	v_mov_b32_e32 v76, 15
	s_cmp_lt_i32 s18, 17
	s_cbranch_scc1 .LBB66_317
; %bb.315:
	v_add3_u32 v77, v79, 0, 0x80
	v_mov_b32_e32 v76, 15
	s_mov_b32 s0, 16
.LBB66_316:                             ; =>This Inner Loop Header: Depth=1
	ds_load_b64 v[84:85], v77
	s_wait_dscnt 0x1
	v_cmp_gt_f32_e32 vcc_lo, 0, v74
	v_cndmask_b32_e64 v86, v74, -v74, vcc_lo
	v_cmp_gt_f32_e32 vcc_lo, 0, v75
	v_cndmask_b32_e64 v88, v75, -v75, vcc_lo
	s_wait_dscnt 0x0
	v_cmp_gt_f32_e32 vcc_lo, 0, v84
	v_cndmask_b32_e64 v87, v84, -v84, vcc_lo
	v_cmp_gt_f32_e32 vcc_lo, 0, v85
	v_cndmask_b32_e64 v89, v85, -v85, vcc_lo
	s_delay_alu instid0(VALU_DEP_1) | instskip(NEXT) | instid1(VALU_DEP_1)
	v_pk_add_f32 v[86:87], v[86:87], v[88:89]
	v_cmp_lt_f32_e32 vcc_lo, v86, v87
	v_dual_cndmask_b32 v74, v74, v84 :: v_dual_add_nc_u32 v77, 8, v77
	v_cndmask_b32_e32 v75, v75, v85, vcc_lo
	v_cndmask_b32_e64 v76, v76, s0, vcc_lo
	s_add_co_i32 s0, s0, 1
	s_delay_alu instid0(SALU_CYCLE_1)
	s_cmp_lg_u32 s18, s0
	s_cbranch_scc1 .LBB66_316
.LBB66_317:
	s_wait_dscnt 0x0
	v_cmp_eq_f32_e32 vcc_lo, 0, v74
	v_cmp_eq_f32_e64 s0, 0, v75
	s_and_b32 s0, vcc_lo, s0
	s_delay_alu instid0(SALU_CYCLE_1) | instskip(NEXT) | instid1(SALU_CYCLE_1)
	s_and_saveexec_b32 s1, s0
	s_xor_b32 s0, exec_lo, s1
; %bb.318:
	v_cmp_ne_u32_e32 vcc_lo, 0, v80
	v_cndmask_b32_e32 v80, 16, v80, vcc_lo
; %bb.319:
	s_and_not1_saveexec_b32 s0, s0
	s_cbranch_execz .LBB66_325
; %bb.320:
	v_cmp_ngt_f32_e64 s1, |v74|, |v75|
	s_and_saveexec_b32 s12, s1
	s_delay_alu instid0(SALU_CYCLE_1)
	s_xor_b32 s1, exec_lo, s12
	s_cbranch_execz .LBB66_322
; %bb.321:
	v_div_scale_f32 v77, null, v75, v75, v74
	v_div_scale_f32 v85, vcc_lo, v74, v75, v74
	s_delay_alu instid0(VALU_DEP_2) | instskip(SKIP_1) | instid1(TRANS32_DEP_1)
	v_rcp_f32_e32 v83, v77
	v_nop
	v_fma_f32 v84, -v77, v83, 1.0
	s_delay_alu instid0(VALU_DEP_1) | instskip(NEXT) | instid1(VALU_DEP_1)
	v_fmac_f32_e32 v83, v84, v83
	v_mul_f32_e32 v84, v85, v83
	s_delay_alu instid0(VALU_DEP_1) | instskip(NEXT) | instid1(VALU_DEP_1)
	v_fma_f32 v86, -v77, v84, v85
	v_fmac_f32_e32 v84, v86, v83
	s_delay_alu instid0(VALU_DEP_1) | instskip(NEXT) | instid1(VALU_DEP_1)
	v_fma_f32 v77, -v77, v84, v85
	v_div_fmas_f32 v77, v77, v83, v84
	s_delay_alu instid0(VALU_DEP_1) | instskip(NEXT) | instid1(VALU_DEP_1)
	v_div_fixup_f32 v77, v77, v75, v74
	v_fmac_f32_e32 v75, v74, v77
	s_delay_alu instid0(VALU_DEP_1) | instskip(SKIP_1) | instid1(VALU_DEP_2)
	v_div_scale_f32 v74, null, v75, v75, 1.0
	v_div_scale_f32 v85, vcc_lo, 1.0, v75, 1.0
	v_rcp_f32_e32 v83, v74
	v_nop
	s_delay_alu instid0(TRANS32_DEP_1) | instskip(NEXT) | instid1(VALU_DEP_1)
	v_fma_f32 v84, -v74, v83, 1.0
	v_fmac_f32_e32 v83, v84, v83
	s_delay_alu instid0(VALU_DEP_1) | instskip(NEXT) | instid1(VALU_DEP_1)
	v_mul_f32_e32 v84, v85, v83
	v_fma_f32 v86, -v74, v84, v85
	s_delay_alu instid0(VALU_DEP_1) | instskip(NEXT) | instid1(VALU_DEP_1)
	v_fmac_f32_e32 v84, v86, v83
	v_fma_f32 v74, -v74, v84, v85
	s_delay_alu instid0(VALU_DEP_1) | instskip(NEXT) | instid1(VALU_DEP_1)
	v_div_fmas_f32 v74, v74, v83, v84
	v_div_fixup_f32 v75, v74, v75, 1.0
	s_delay_alu instid0(VALU_DEP_1)
	v_mul_f32_e32 v74, v77, v75
	v_xor_b32_e32 v75, 0x80000000, v75
.LBB66_322:
	s_and_not1_saveexec_b32 s1, s1
	s_cbranch_execz .LBB66_324
; %bb.323:
	s_delay_alu instid0(VALU_DEP_1) | instskip(SKIP_1) | instid1(VALU_DEP_2)
	v_div_scale_f32 v77, null, v74, v74, v75
	v_div_scale_f32 v85, vcc_lo, v75, v74, v75
	v_rcp_f32_e32 v83, v77
	v_nop
	s_delay_alu instid0(TRANS32_DEP_1) | instskip(NEXT) | instid1(VALU_DEP_1)
	v_fma_f32 v84, -v77, v83, 1.0
	v_fmac_f32_e32 v83, v84, v83
	s_delay_alu instid0(VALU_DEP_1) | instskip(NEXT) | instid1(VALU_DEP_1)
	v_mul_f32_e32 v84, v85, v83
	v_fma_f32 v86, -v77, v84, v85
	s_delay_alu instid0(VALU_DEP_1) | instskip(NEXT) | instid1(VALU_DEP_1)
	v_fmac_f32_e32 v84, v86, v83
	v_fma_f32 v77, -v77, v84, v85
	s_delay_alu instid0(VALU_DEP_1) | instskip(NEXT) | instid1(VALU_DEP_1)
	v_div_fmas_f32 v77, v77, v83, v84
	v_div_fixup_f32 v77, v77, v74, v75
	s_delay_alu instid0(VALU_DEP_1) | instskip(NEXT) | instid1(VALU_DEP_1)
	v_fmac_f32_e32 v74, v75, v77
	v_div_scale_f32 v75, null, v74, v74, 1.0
	s_delay_alu instid0(VALU_DEP_1) | instskip(SKIP_1) | instid1(TRANS32_DEP_1)
	v_rcp_f32_e32 v83, v75
	v_nop
	v_fma_f32 v84, -v75, v83, 1.0
	s_delay_alu instid0(VALU_DEP_1) | instskip(SKIP_1) | instid1(VALU_DEP_1)
	v_fmac_f32_e32 v83, v84, v83
	v_div_scale_f32 v84, vcc_lo, 1.0, v74, 1.0
	v_mul_f32_e32 v85, v84, v83
	s_delay_alu instid0(VALU_DEP_1) | instskip(NEXT) | instid1(VALU_DEP_1)
	v_fma_f32 v86, -v75, v85, v84
	v_fmac_f32_e32 v85, v86, v83
	s_delay_alu instid0(VALU_DEP_1) | instskip(NEXT) | instid1(VALU_DEP_1)
	v_fma_f32 v75, -v75, v85, v84
	v_div_fmas_f32 v75, v75, v83, v85
	s_delay_alu instid0(VALU_DEP_1) | instskip(NEXT) | instid1(VALU_DEP_1)
	v_div_fixup_f32 v74, v75, v74, 1.0
	v_mul_f32_e64 v75, v77, -v74
.LBB66_324:
	s_or_b32 exec_lo, exec_lo, s1
.LBB66_325:
	s_delay_alu instid0(SALU_CYCLE_1) | instskip(NEXT) | instid1(SALU_CYCLE_1)
	s_or_b32 exec_lo, exec_lo, s0
	s_mov_b32 s0, exec_lo
	v_cmpx_ne_u32_e64 v82, v76
	s_xor_b32 s0, exec_lo, s0
	s_cbranch_execz .LBB66_331
; %bb.326:
	s_mov_b32 s1, exec_lo
	v_cmpx_eq_u32_e32 15, v82
	s_cbranch_execz .LBB66_330
; %bb.327:
	v_cmp_ne_u32_e32 vcc_lo, 15, v76
	s_xor_b32 s12, s16, -1
	s_delay_alu instid0(SALU_CYCLE_1) | instskip(NEXT) | instid1(SALU_CYCLE_1)
	s_and_b32 s13, s12, vcc_lo
	s_and_saveexec_b32 s12, s13
	s_cbranch_execz .LBB66_329
; %bb.328:
	v_ashrrev_i32_e32 v77, 31, v76
	s_delay_alu instid0(VALU_DEP_1)
	v_lshl_add_u64 v[82:83], v[76:77], 2, v[4:5]
	s_clause 0x1
	global_load_b32 v77, v[82:83], off
	global_load_b32 v81, v[4:5], off offset:60
	s_wait_loadcnt 0x1
	global_store_b32 v[4:5], v77, off offset:60
	s_wait_loadcnt 0x0
	global_store_b32 v[82:83], v81, off
.LBB66_329:
	s_wait_xcnt 0x0
	s_or_b32 exec_lo, exec_lo, s12
	v_dual_mov_b32 v82, v76 :: v_dual_mov_b32 v81, v76
.LBB66_330:
	s_or_b32 exec_lo, exec_lo, s1
.LBB66_331:
	s_and_not1_saveexec_b32 s0, s0
	s_cbranch_execz .LBB66_333
; %bb.332:
	v_dual_mov_b32 v76, v62 :: v_dual_mov_b32 v77, v63
	v_dual_mov_b32 v82, v42 :: v_dual_mov_b32 v83, v43
	ds_store_2addr_b64 v78, v[76:77], v[82:83] offset0:16 offset1:17
	v_dual_mov_b32 v76, v44 :: v_dual_mov_b32 v77, v45
	v_dual_mov_b32 v82, v40 :: v_dual_mov_b32 v83, v41
	ds_store_2addr_b64 v78, v[76:77], v[82:83] offset0:18 offset1:19
	;; [unrolled: 3-line block ×8, first 2 shown]
	v_dual_mov_b32 v76, v32 :: v_dual_mov_b32 v77, v33
	v_mov_b32_e32 v82, 15
	ds_store_2addr_b64 v78, v[76:77], v[72:73] offset0:32 offset1:33
.LBB66_333:
	s_or_b32 exec_lo, exec_lo, s0
	s_delay_alu instid0(SALU_CYCLE_1)
	s_mov_b32 s0, exec_lo
	s_wait_storecnt_dscnt 0x0
	s_barrier_signal -1
	s_barrier_wait -1
	v_cmpx_lt_i32_e32 15, v82
	s_cbranch_execz .LBB66_335
; %bb.334:
	v_pk_mul_f32 v[84:85], v[74:75], v[24:25] op_sel:[1,1] op_sel_hi:[0,1]
	s_delay_alu instid0(VALU_DEP_1)
	v_pk_fma_f32 v[76:77], v[74:75], v[24:25], v[84:85] op_sel_hi:[1,0,1] neg_lo:[0,0,1] neg_hi:[0,0,1]
	v_pk_fma_f32 v[74:75], v[74:75], v[24:25], v[84:85] op_sel_hi:[1,0,1]
	ds_load_2addr_b64 v[84:87], v78 offset0:16 offset1:17
	v_dual_mov_b32 v24, v76 :: v_dual_mov_b32 v25, v75
	s_wait_dscnt 0x0
	v_pk_mul_f32 v[88:89], v[84:85], v[74:75] op_sel:[0,1]
	s_delay_alu instid0(VALU_DEP_1) | instskip(SKIP_1) | instid1(VALU_DEP_1)
	v_pk_fma_f32 v[90:91], v[84:85], v[76:77], v[88:89] op_sel:[0,0,1] op_sel_hi:[1,1,0] neg_lo:[0,0,1] neg_hi:[0,0,1]
	v_pk_fma_f32 v[84:85], v[84:85], v[76:77], v[88:89] op_sel:[0,0,1] op_sel_hi:[1,0,0]
	v_mov_b32_e32 v91, v85
	v_pk_mul_f32 v[84:85], v[86:87], v[74:75] op_sel:[0,1]
	s_delay_alu instid0(VALU_DEP_1) | instskip(SKIP_1) | instid1(VALU_DEP_1)
	v_pk_fma_f32 v[88:89], v[86:87], v[76:77], v[84:85] op_sel:[0,0,1] op_sel_hi:[1,1,0] neg_lo:[0,0,1] neg_hi:[0,0,1]
	v_pk_fma_f32 v[84:85], v[86:87], v[76:77], v[84:85] op_sel:[0,0,1] op_sel_hi:[1,0,0]
	v_mov_b32_e32 v89, v85
	ds_load_2addr_b64 v[84:87], v78 offset0:18 offset1:19
	v_pk_add_f32 v[62:63], v[62:63], v[90:91] neg_lo:[0,1] neg_hi:[0,1]
	v_pk_add_f32 v[42:43], v[42:43], v[88:89] neg_lo:[0,1] neg_hi:[0,1]
	s_wait_dscnt 0x0
	v_pk_mul_f32 v[88:89], v[84:85], v[74:75] op_sel:[0,1]
	s_delay_alu instid0(VALU_DEP_1) | instskip(SKIP_2) | instid1(VALU_DEP_2)
	v_pk_fma_f32 v[90:91], v[84:85], v[76:77], v[88:89] op_sel:[0,0,1] op_sel_hi:[1,1,0] neg_lo:[0,0,1] neg_hi:[0,0,1]
	v_pk_fma_f32 v[84:85], v[84:85], v[76:77], v[88:89] op_sel:[0,0,1] op_sel_hi:[1,0,0]
	v_dual_mul_f32 v88, v87, v75 :: v_dual_mov_b32 v84, v87
	v_dual_mov_b32 v91, v85 :: v_dual_mov_b32 v85, v86
	s_delay_alu instid0(VALU_DEP_2) | instskip(SKIP_1) | instid1(VALU_DEP_3)
	v_pk_fma_f32 v[88:89], v[86:87], v[24:25], v[88:89] op_sel_hi:[1,1,0] neg_lo:[0,0,1] neg_hi:[0,0,1]
	v_mul_f32_e32 v86, v87, v76
	v_pk_add_f32 v[44:45], v[44:45], v[90:91] neg_lo:[0,1] neg_hi:[0,1]
	s_delay_alu instid0(VALU_DEP_2) | instskip(NEXT) | instid1(VALU_DEP_1)
	v_pk_fma_f32 v[84:85], v[84:85], v[24:25], v[86:87] op_sel_hi:[1,1,0]
	v_mov_b32_e32 v89, v85
	ds_load_2addr_b64 v[84:87], v78 offset0:20 offset1:21
	v_pk_add_f32 v[40:41], v[40:41], v[88:89] neg_lo:[0,1] neg_hi:[0,1]
	s_wait_dscnt 0x0
	v_pk_mul_f32 v[88:89], v[84:85], v[74:75] op_sel:[0,1]
	s_delay_alu instid0(VALU_DEP_1) | instskip(SKIP_1) | instid1(VALU_DEP_1)
	v_pk_fma_f32 v[90:91], v[84:85], v[76:77], v[88:89] op_sel:[0,0,1] op_sel_hi:[1,1,0] neg_lo:[0,0,1] neg_hi:[0,0,1]
	v_pk_fma_f32 v[84:85], v[84:85], v[76:77], v[88:89] op_sel:[0,0,1] op_sel_hi:[1,0,0]
	v_mov_b32_e32 v91, v85
	v_pk_mul_f32 v[84:85], v[86:87], v[74:75] op_sel:[0,1]
	s_delay_alu instid0(VALU_DEP_1) | instskip(SKIP_1) | instid1(VALU_DEP_1)
	v_pk_fma_f32 v[88:89], v[86:87], v[76:77], v[84:85] op_sel:[0,0,1] op_sel_hi:[1,1,0] neg_lo:[0,0,1] neg_hi:[0,0,1]
	v_pk_fma_f32 v[84:85], v[86:87], v[76:77], v[84:85] op_sel:[0,0,1] op_sel_hi:[1,0,0]
	v_mov_b32_e32 v89, v85
	ds_load_2addr_b64 v[84:87], v78 offset0:22 offset1:23
	v_pk_add_f32 v[60:61], v[60:61], v[90:91] neg_lo:[0,1] neg_hi:[0,1]
	v_pk_add_f32 v[36:37], v[36:37], v[88:89] neg_lo:[0,1] neg_hi:[0,1]
	s_wait_dscnt 0x0
	v_pk_mul_f32 v[88:89], v[84:85], v[74:75] op_sel:[0,1]
	s_delay_alu instid0(VALU_DEP_1) | instskip(SKIP_1) | instid1(VALU_DEP_1)
	v_pk_fma_f32 v[90:91], v[84:85], v[76:77], v[88:89] op_sel:[0,0,1] op_sel_hi:[1,1,0] neg_lo:[0,0,1] neg_hi:[0,0,1]
	v_pk_fma_f32 v[84:85], v[84:85], v[76:77], v[88:89] op_sel:[0,0,1] op_sel_hi:[1,0,0]
	v_mov_b32_e32 v91, v85
	v_pk_mul_f32 v[84:85], v[86:87], v[74:75] op_sel:[0,1]
	s_delay_alu instid0(VALU_DEP_1) | instskip(SKIP_1) | instid1(VALU_DEP_1)
	v_pk_fma_f32 v[88:89], v[86:87], v[76:77], v[84:85] op_sel:[0,0,1] op_sel_hi:[1,1,0] neg_lo:[0,0,1] neg_hi:[0,0,1]
	v_pk_fma_f32 v[84:85], v[86:87], v[76:77], v[84:85] op_sel:[0,0,1] op_sel_hi:[1,0,0]
	v_mov_b32_e32 v89, v85
	ds_load_2addr_b64 v[84:87], v78 offset0:24 offset1:25
	v_pk_add_f32 v[38:39], v[38:39], v[90:91] neg_lo:[0,1] neg_hi:[0,1]
	v_pk_add_f32 v[34:35], v[34:35], v[88:89] neg_lo:[0,1] neg_hi:[0,1]
	s_wait_dscnt 0x0
	v_dual_mul_f32 v88, v85, v75 :: v_dual_mul_f32 v90, v85, v76
	s_delay_alu instid0(VALU_DEP_1) | instskip(NEXT) | instid1(VALU_DEP_2)
	v_pk_fma_f32 v[88:89], v[84:85], v[24:25], v[88:89] op_sel_hi:[1,1,0] neg_lo:[0,0,1] neg_hi:[0,0,1]
	v_pk_fma_f32 v[84:85], v[84:85], v[24:25], v[90:91] op_sel:[1,0,0] op_sel_hi:[0,1,0]
	s_delay_alu instid0(VALU_DEP_1) | instskip(SKIP_1) | instid1(VALU_DEP_2)
	v_mov_b32_e32 v89, v85
	v_pk_mul_f32 v[84:85], v[86:87], v[74:75] op_sel:[0,1]
	v_pk_add_f32 v[56:57], v[56:57], v[88:89] neg_lo:[0,1] neg_hi:[0,1]
	s_delay_alu instid0(VALU_DEP_2) | instskip(SKIP_1) | instid1(VALU_DEP_1)
	v_pk_fma_f32 v[88:89], v[86:87], v[76:77], v[84:85] op_sel:[0,0,1] op_sel_hi:[1,1,0] neg_lo:[0,0,1] neg_hi:[0,0,1]
	v_pk_fma_f32 v[84:85], v[86:87], v[76:77], v[84:85] op_sel:[0,0,1] op_sel_hi:[1,0,0]
	v_mov_b32_e32 v89, v85
	ds_load_2addr_b64 v[84:87], v78 offset0:26 offset1:27
	v_pk_add_f32 v[22:23], v[22:23], v[88:89] neg_lo:[0,1] neg_hi:[0,1]
	s_wait_dscnt 0x0
	v_pk_mul_f32 v[88:89], v[84:85], v[74:75] op_sel:[0,1]
	s_delay_alu instid0(VALU_DEP_1) | instskip(SKIP_1) | instid1(VALU_DEP_1)
	v_pk_fma_f32 v[90:91], v[84:85], v[76:77], v[88:89] op_sel:[0,0,1] op_sel_hi:[1,1,0] neg_lo:[0,0,1] neg_hi:[0,0,1]
	v_pk_fma_f32 v[84:85], v[84:85], v[76:77], v[88:89] op_sel:[0,0,1] op_sel_hi:[1,0,0]
	v_mov_b32_e32 v91, v85
	v_pk_mul_f32 v[84:85], v[86:87], v[74:75] op_sel:[0,1]
	s_delay_alu instid0(VALU_DEP_2) | instskip(NEXT) | instid1(VALU_DEP_2)
	v_pk_add_f32 v[28:29], v[28:29], v[90:91] neg_lo:[0,1] neg_hi:[0,1]
	v_pk_fma_f32 v[88:89], v[86:87], v[76:77], v[84:85] op_sel:[0,0,1] op_sel_hi:[1,1,0] neg_lo:[0,0,1] neg_hi:[0,0,1]
	v_pk_fma_f32 v[84:85], v[86:87], v[76:77], v[84:85] op_sel:[0,0,1] op_sel_hi:[1,0,0]
	s_delay_alu instid0(VALU_DEP_1) | instskip(SKIP_4) | instid1(VALU_DEP_1)
	v_mov_b32_e32 v89, v85
	ds_load_2addr_b64 v[84:87], v78 offset0:28 offset1:29
	v_pk_add_f32 v[20:21], v[20:21], v[88:89] neg_lo:[0,1] neg_hi:[0,1]
	s_wait_dscnt 0x0
	v_pk_mul_f32 v[88:89], v[84:85], v[74:75] op_sel:[0,1]
	v_pk_fma_f32 v[90:91], v[84:85], v[76:77], v[88:89] op_sel:[0,0,1] op_sel_hi:[1,1,0] neg_lo:[0,0,1] neg_hi:[0,0,1]
	v_pk_fma_f32 v[84:85], v[84:85], v[76:77], v[88:89] op_sel:[0,0,1] op_sel_hi:[1,0,0]
	v_dual_mul_f32 v88, v87, v75 :: v_dual_mov_b32 v84, v87
	s_delay_alu instid0(VALU_DEP_2) | instskip(NEXT) | instid1(VALU_DEP_2)
	v_dual_mov_b32 v91, v85 :: v_dual_mov_b32 v85, v86
	v_pk_fma_f32 v[88:89], v[86:87], v[24:25], v[88:89] op_sel_hi:[1,1,0] neg_lo:[0,0,1] neg_hi:[0,0,1]
	v_mul_f32_e32 v86, v87, v76
	s_delay_alu instid0(VALU_DEP_3) | instskip(NEXT) | instid1(VALU_DEP_2)
	v_pk_add_f32 v[50:51], v[50:51], v[90:91] neg_lo:[0,1] neg_hi:[0,1]
	v_pk_fma_f32 v[84:85], v[84:85], v[24:25], v[86:87] op_sel_hi:[1,1,0]
	s_delay_alu instid0(VALU_DEP_1) | instskip(SKIP_4) | instid1(VALU_DEP_1)
	v_mov_b32_e32 v89, v85
	ds_load_2addr_b64 v[84:87], v78 offset0:30 offset1:31
	v_pk_add_f32 v[12:13], v[12:13], v[88:89] neg_lo:[0,1] neg_hi:[0,1]
	s_wait_dscnt 0x0
	v_pk_mul_f32 v[88:89], v[84:85], v[74:75] op_sel:[0,1]
	v_pk_fma_f32 v[90:91], v[84:85], v[76:77], v[88:89] op_sel:[0,0,1] op_sel_hi:[1,1,0] neg_lo:[0,0,1] neg_hi:[0,0,1]
	v_pk_fma_f32 v[84:85], v[84:85], v[76:77], v[88:89] op_sel:[0,0,1] op_sel_hi:[1,0,0]
	s_delay_alu instid0(VALU_DEP_1) | instskip(SKIP_1) | instid1(VALU_DEP_1)
	v_mov_b32_e32 v91, v85
	v_pk_mul_f32 v[84:85], v[86:87], v[74:75] op_sel:[0,1]
	v_pk_fma_f32 v[88:89], v[86:87], v[76:77], v[84:85] op_sel:[0,0,1] op_sel_hi:[1,1,0] neg_lo:[0,0,1] neg_hi:[0,0,1]
	v_pk_fma_f32 v[84:85], v[86:87], v[76:77], v[84:85] op_sel:[0,0,1] op_sel_hi:[1,0,0]
	s_delay_alu instid0(VALU_DEP_1)
	v_mov_b32_e32 v89, v85
	ds_load_2addr_b64 v[84:87], v78 offset0:32 offset1:33
	v_pk_add_f32 v[48:49], v[48:49], v[90:91] neg_lo:[0,1] neg_hi:[0,1]
	v_pk_add_f32 v[46:47], v[46:47], v[88:89] neg_lo:[0,1] neg_hi:[0,1]
	s_wait_dscnt 0x0
	v_pk_mul_f32 v[88:89], v[84:85], v[74:75] op_sel:[0,1]
	v_mul_f32_e32 v74, v87, v75
	s_delay_alu instid0(VALU_DEP_2) | instskip(SKIP_2) | instid1(VALU_DEP_4)
	v_pk_fma_f32 v[90:91], v[84:85], v[76:77], v[88:89] op_sel:[0,0,1] op_sel_hi:[1,1,0] neg_lo:[0,0,1] neg_hi:[0,0,1]
	v_pk_fma_f32 v[84:85], v[84:85], v[76:77], v[88:89] op_sel:[0,0,1] op_sel_hi:[1,0,0]
	v_dual_mov_b32 v84, v87 :: v_dual_mul_f32 v76, v87, v76
	v_pk_fma_f32 v[74:75], v[86:87], v[24:25], v[74:75] op_sel_hi:[1,1,0] neg_lo:[0,0,1] neg_hi:[0,0,1]
	s_delay_alu instid0(VALU_DEP_3) | instskip(NEXT) | instid1(VALU_DEP_1)
	v_dual_mov_b32 v91, v85 :: v_dual_mov_b32 v85, v86
	v_pk_add_f32 v[32:33], v[32:33], v[90:91] neg_lo:[0,1] neg_hi:[0,1]
	s_delay_alu instid0(VALU_DEP_2) | instskip(NEXT) | instid1(VALU_DEP_1)
	v_pk_fma_f32 v[76:77], v[84:85], v[24:25], v[76:77] op_sel_hi:[1,1,0]
	v_mov_b32_e32 v75, v77
	s_delay_alu instid0(VALU_DEP_1)
	v_pk_add_f32 v[72:73], v[72:73], v[74:75] neg_lo:[0,1] neg_hi:[0,1]
.LBB66_335:
	s_or_b32 exec_lo, exec_lo, s0
	v_lshl_add_u32 v74, v82, 3, v78
	s_barrier_signal -1
	s_barrier_wait -1
	ds_store_b64 v74, v[62:63]
	s_wait_dscnt 0x0
	s_barrier_signal -1
	s_barrier_wait -1
	ds_load_b64 v[74:75], v78 offset:128
	v_mov_b32_e32 v76, 16
	s_cmp_lt_i32 s18, 18
	s_cbranch_scc1 .LBB66_338
; %bb.336:
	v_add3_u32 v77, v79, 0, 0x88
	v_mov_b32_e32 v76, 16
	s_mov_b32 s0, 17
.LBB66_337:                             ; =>This Inner Loop Header: Depth=1
	ds_load_b64 v[84:85], v77
	s_wait_dscnt 0x1
	v_cmp_gt_f32_e32 vcc_lo, 0, v74
	v_cndmask_b32_e64 v86, v74, -v74, vcc_lo
	v_cmp_gt_f32_e32 vcc_lo, 0, v75
	v_cndmask_b32_e64 v88, v75, -v75, vcc_lo
	s_wait_dscnt 0x0
	v_cmp_gt_f32_e32 vcc_lo, 0, v84
	v_cndmask_b32_e64 v87, v84, -v84, vcc_lo
	v_cmp_gt_f32_e32 vcc_lo, 0, v85
	v_cndmask_b32_e64 v89, v85, -v85, vcc_lo
	s_delay_alu instid0(VALU_DEP_1) | instskip(NEXT) | instid1(VALU_DEP_1)
	v_pk_add_f32 v[86:87], v[86:87], v[88:89]
	v_cmp_lt_f32_e32 vcc_lo, v86, v87
	v_dual_cndmask_b32 v74, v74, v84 :: v_dual_add_nc_u32 v77, 8, v77
	v_cndmask_b32_e32 v75, v75, v85, vcc_lo
	v_cndmask_b32_e64 v76, v76, s0, vcc_lo
	s_add_co_i32 s0, s0, 1
	s_delay_alu instid0(SALU_CYCLE_1)
	s_cmp_lg_u32 s18, s0
	s_cbranch_scc1 .LBB66_337
.LBB66_338:
	s_wait_dscnt 0x0
	v_cmp_eq_f32_e32 vcc_lo, 0, v74
	v_cmp_eq_f32_e64 s0, 0, v75
	s_and_b32 s0, vcc_lo, s0
	s_delay_alu instid0(SALU_CYCLE_1) | instskip(NEXT) | instid1(SALU_CYCLE_1)
	s_and_saveexec_b32 s1, s0
	s_xor_b32 s0, exec_lo, s1
; %bb.339:
	v_cmp_ne_u32_e32 vcc_lo, 0, v80
	v_cndmask_b32_e32 v80, 17, v80, vcc_lo
; %bb.340:
	s_and_not1_saveexec_b32 s0, s0
	s_cbranch_execz .LBB66_346
; %bb.341:
	v_cmp_ngt_f32_e64 s1, |v74|, |v75|
	s_and_saveexec_b32 s12, s1
	s_delay_alu instid0(SALU_CYCLE_1)
	s_xor_b32 s1, exec_lo, s12
	s_cbranch_execz .LBB66_343
; %bb.342:
	v_div_scale_f32 v77, null, v75, v75, v74
	v_div_scale_f32 v85, vcc_lo, v74, v75, v74
	s_delay_alu instid0(VALU_DEP_2) | instskip(SKIP_1) | instid1(TRANS32_DEP_1)
	v_rcp_f32_e32 v83, v77
	v_nop
	v_fma_f32 v84, -v77, v83, 1.0
	s_delay_alu instid0(VALU_DEP_1) | instskip(NEXT) | instid1(VALU_DEP_1)
	v_fmac_f32_e32 v83, v84, v83
	v_mul_f32_e32 v84, v85, v83
	s_delay_alu instid0(VALU_DEP_1) | instskip(NEXT) | instid1(VALU_DEP_1)
	v_fma_f32 v86, -v77, v84, v85
	v_fmac_f32_e32 v84, v86, v83
	s_delay_alu instid0(VALU_DEP_1) | instskip(NEXT) | instid1(VALU_DEP_1)
	v_fma_f32 v77, -v77, v84, v85
	v_div_fmas_f32 v77, v77, v83, v84
	s_delay_alu instid0(VALU_DEP_1) | instskip(NEXT) | instid1(VALU_DEP_1)
	v_div_fixup_f32 v77, v77, v75, v74
	v_fmac_f32_e32 v75, v74, v77
	s_delay_alu instid0(VALU_DEP_1) | instskip(SKIP_1) | instid1(VALU_DEP_2)
	v_div_scale_f32 v74, null, v75, v75, 1.0
	v_div_scale_f32 v85, vcc_lo, 1.0, v75, 1.0
	v_rcp_f32_e32 v83, v74
	v_nop
	s_delay_alu instid0(TRANS32_DEP_1) | instskip(NEXT) | instid1(VALU_DEP_1)
	v_fma_f32 v84, -v74, v83, 1.0
	v_fmac_f32_e32 v83, v84, v83
	s_delay_alu instid0(VALU_DEP_1) | instskip(NEXT) | instid1(VALU_DEP_1)
	v_mul_f32_e32 v84, v85, v83
	v_fma_f32 v86, -v74, v84, v85
	s_delay_alu instid0(VALU_DEP_1) | instskip(NEXT) | instid1(VALU_DEP_1)
	v_fmac_f32_e32 v84, v86, v83
	v_fma_f32 v74, -v74, v84, v85
	s_delay_alu instid0(VALU_DEP_1) | instskip(NEXT) | instid1(VALU_DEP_1)
	v_div_fmas_f32 v74, v74, v83, v84
	v_div_fixup_f32 v75, v74, v75, 1.0
	s_delay_alu instid0(VALU_DEP_1)
	v_mul_f32_e32 v74, v77, v75
	v_xor_b32_e32 v75, 0x80000000, v75
.LBB66_343:
	s_and_not1_saveexec_b32 s1, s1
	s_cbranch_execz .LBB66_345
; %bb.344:
	s_delay_alu instid0(VALU_DEP_1) | instskip(SKIP_1) | instid1(VALU_DEP_2)
	v_div_scale_f32 v77, null, v74, v74, v75
	v_div_scale_f32 v85, vcc_lo, v75, v74, v75
	v_rcp_f32_e32 v83, v77
	v_nop
	s_delay_alu instid0(TRANS32_DEP_1) | instskip(NEXT) | instid1(VALU_DEP_1)
	v_fma_f32 v84, -v77, v83, 1.0
	v_fmac_f32_e32 v83, v84, v83
	s_delay_alu instid0(VALU_DEP_1) | instskip(NEXT) | instid1(VALU_DEP_1)
	v_mul_f32_e32 v84, v85, v83
	v_fma_f32 v86, -v77, v84, v85
	s_delay_alu instid0(VALU_DEP_1) | instskip(NEXT) | instid1(VALU_DEP_1)
	v_fmac_f32_e32 v84, v86, v83
	v_fma_f32 v77, -v77, v84, v85
	s_delay_alu instid0(VALU_DEP_1) | instskip(NEXT) | instid1(VALU_DEP_1)
	v_div_fmas_f32 v77, v77, v83, v84
	v_div_fixup_f32 v77, v77, v74, v75
	s_delay_alu instid0(VALU_DEP_1) | instskip(NEXT) | instid1(VALU_DEP_1)
	v_fmac_f32_e32 v74, v75, v77
	v_div_scale_f32 v75, null, v74, v74, 1.0
	s_delay_alu instid0(VALU_DEP_1) | instskip(SKIP_1) | instid1(TRANS32_DEP_1)
	v_rcp_f32_e32 v83, v75
	v_nop
	v_fma_f32 v84, -v75, v83, 1.0
	s_delay_alu instid0(VALU_DEP_1) | instskip(SKIP_1) | instid1(VALU_DEP_1)
	v_fmac_f32_e32 v83, v84, v83
	v_div_scale_f32 v84, vcc_lo, 1.0, v74, 1.0
	v_mul_f32_e32 v85, v84, v83
	s_delay_alu instid0(VALU_DEP_1) | instskip(NEXT) | instid1(VALU_DEP_1)
	v_fma_f32 v86, -v75, v85, v84
	v_fmac_f32_e32 v85, v86, v83
	s_delay_alu instid0(VALU_DEP_1) | instskip(NEXT) | instid1(VALU_DEP_1)
	v_fma_f32 v75, -v75, v85, v84
	v_div_fmas_f32 v75, v75, v83, v85
	s_delay_alu instid0(VALU_DEP_1) | instskip(NEXT) | instid1(VALU_DEP_1)
	v_div_fixup_f32 v74, v75, v74, 1.0
	v_mul_f32_e64 v75, v77, -v74
.LBB66_345:
	s_or_b32 exec_lo, exec_lo, s1
.LBB66_346:
	s_delay_alu instid0(SALU_CYCLE_1) | instskip(NEXT) | instid1(SALU_CYCLE_1)
	s_or_b32 exec_lo, exec_lo, s0
	s_mov_b32 s0, exec_lo
	v_cmpx_ne_u32_e64 v82, v76
	s_xor_b32 s0, exec_lo, s0
	s_cbranch_execz .LBB66_352
; %bb.347:
	s_mov_b32 s1, exec_lo
	v_cmpx_eq_u32_e32 16, v82
	s_cbranch_execz .LBB66_351
; %bb.348:
	v_cmp_ne_u32_e32 vcc_lo, 16, v76
	s_xor_b32 s12, s16, -1
	s_delay_alu instid0(SALU_CYCLE_1) | instskip(NEXT) | instid1(SALU_CYCLE_1)
	s_and_b32 s13, s12, vcc_lo
	s_and_saveexec_b32 s12, s13
	s_cbranch_execz .LBB66_350
; %bb.349:
	v_ashrrev_i32_e32 v77, 31, v76
	s_delay_alu instid0(VALU_DEP_1)
	v_lshl_add_u64 v[82:83], v[76:77], 2, v[4:5]
	s_clause 0x1
	global_load_b32 v77, v[82:83], off
	global_load_b32 v81, v[4:5], off offset:64
	s_wait_loadcnt 0x1
	global_store_b32 v[4:5], v77, off offset:64
	s_wait_loadcnt 0x0
	global_store_b32 v[82:83], v81, off
.LBB66_350:
	s_wait_xcnt 0x0
	s_or_b32 exec_lo, exec_lo, s12
	v_dual_mov_b32 v82, v76 :: v_dual_mov_b32 v81, v76
.LBB66_351:
	s_or_b32 exec_lo, exec_lo, s1
.LBB66_352:
	s_and_not1_saveexec_b32 s0, s0
	s_cbranch_execz .LBB66_354
; %bb.353:
	v_mov_b32_e32 v82, 16
	ds_store_2addr_b64 v78, v[42:43], v[44:45] offset0:17 offset1:18
	ds_store_2addr_b64 v78, v[40:41], v[60:61] offset0:19 offset1:20
	;; [unrolled: 1-line block ×8, first 2 shown]
	ds_store_b64 v78, v[72:73] offset:264
.LBB66_354:
	s_or_b32 exec_lo, exec_lo, s0
	s_delay_alu instid0(SALU_CYCLE_1)
	s_mov_b32 s0, exec_lo
	s_wait_storecnt_dscnt 0x0
	s_barrier_signal -1
	s_barrier_wait -1
	v_cmpx_lt_i32_e32 16, v82
	s_cbranch_execz .LBB66_356
; %bb.355:
	v_pk_mul_f32 v[84:85], v[74:75], v[62:63] op_sel:[1,1] op_sel_hi:[0,1]
	s_delay_alu instid0(VALU_DEP_1)
	v_pk_fma_f32 v[76:77], v[74:75], v[62:63], v[84:85] op_sel_hi:[1,0,1] neg_lo:[0,0,1] neg_hi:[0,0,1]
	v_pk_fma_f32 v[74:75], v[74:75], v[62:63], v[84:85] op_sel_hi:[1,0,1]
	ds_load_2addr_b64 v[84:87], v78 offset0:17 offset1:18
	v_dual_mov_b32 v62, v76 :: v_dual_mov_b32 v63, v75
	s_wait_dscnt 0x0
	v_pk_mul_f32 v[88:89], v[84:85], v[74:75] op_sel:[0,1]
	s_delay_alu instid0(VALU_DEP_1) | instskip(SKIP_1) | instid1(VALU_DEP_1)
	v_pk_fma_f32 v[90:91], v[84:85], v[76:77], v[88:89] op_sel:[0,0,1] op_sel_hi:[1,1,0] neg_lo:[0,0,1] neg_hi:[0,0,1]
	v_pk_fma_f32 v[84:85], v[84:85], v[76:77], v[88:89] op_sel:[0,0,1] op_sel_hi:[1,0,0]
	v_mov_b32_e32 v91, v85
	v_pk_mul_f32 v[84:85], v[86:87], v[74:75] op_sel:[0,1]
	s_delay_alu instid0(VALU_DEP_1) | instskip(SKIP_1) | instid1(VALU_DEP_1)
	v_pk_fma_f32 v[88:89], v[86:87], v[76:77], v[84:85] op_sel:[0,0,1] op_sel_hi:[1,1,0] neg_lo:[0,0,1] neg_hi:[0,0,1]
	v_pk_fma_f32 v[84:85], v[86:87], v[76:77], v[84:85] op_sel:[0,0,1] op_sel_hi:[1,0,0]
	v_mov_b32_e32 v89, v85
	ds_load_2addr_b64 v[84:87], v78 offset0:19 offset1:20
	v_pk_add_f32 v[42:43], v[42:43], v[90:91] neg_lo:[0,1] neg_hi:[0,1]
	v_pk_add_f32 v[44:45], v[44:45], v[88:89] neg_lo:[0,1] neg_hi:[0,1]
	s_wait_dscnt 0x0
	v_pk_mul_f32 v[88:89], v[84:85], v[74:75] op_sel:[0,1]
	s_delay_alu instid0(VALU_DEP_1) | instskip(SKIP_2) | instid1(VALU_DEP_2)
	v_pk_fma_f32 v[90:91], v[84:85], v[76:77], v[88:89] op_sel:[0,0,1] op_sel_hi:[1,1,0] neg_lo:[0,0,1] neg_hi:[0,0,1]
	v_pk_fma_f32 v[84:85], v[84:85], v[76:77], v[88:89] op_sel:[0,0,1] op_sel_hi:[1,0,0]
	v_dual_mul_f32 v88, v87, v75 :: v_dual_mov_b32 v84, v87
	v_dual_mov_b32 v91, v85 :: v_dual_mov_b32 v85, v86
	s_delay_alu instid0(VALU_DEP_2) | instskip(SKIP_1) | instid1(VALU_DEP_3)
	v_pk_fma_f32 v[88:89], v[86:87], v[62:63], v[88:89] op_sel_hi:[1,1,0] neg_lo:[0,0,1] neg_hi:[0,0,1]
	v_mul_f32_e32 v86, v87, v76
	v_pk_add_f32 v[40:41], v[40:41], v[90:91] neg_lo:[0,1] neg_hi:[0,1]
	s_delay_alu instid0(VALU_DEP_2) | instskip(NEXT) | instid1(VALU_DEP_1)
	v_pk_fma_f32 v[84:85], v[84:85], v[62:63], v[86:87] op_sel_hi:[1,1,0]
	v_mov_b32_e32 v89, v85
	ds_load_2addr_b64 v[84:87], v78 offset0:21 offset1:22
	v_pk_add_f32 v[60:61], v[60:61], v[88:89] neg_lo:[0,1] neg_hi:[0,1]
	s_wait_dscnt 0x0
	v_pk_mul_f32 v[88:89], v[84:85], v[74:75] op_sel:[0,1]
	s_delay_alu instid0(VALU_DEP_1) | instskip(SKIP_1) | instid1(VALU_DEP_1)
	v_pk_fma_f32 v[90:91], v[84:85], v[76:77], v[88:89] op_sel:[0,0,1] op_sel_hi:[1,1,0] neg_lo:[0,0,1] neg_hi:[0,0,1]
	v_pk_fma_f32 v[84:85], v[84:85], v[76:77], v[88:89] op_sel:[0,0,1] op_sel_hi:[1,0,0]
	v_mov_b32_e32 v91, v85
	v_pk_mul_f32 v[84:85], v[86:87], v[74:75] op_sel:[0,1]
	s_delay_alu instid0(VALU_DEP_1) | instskip(SKIP_1) | instid1(VALU_DEP_1)
	v_pk_fma_f32 v[88:89], v[86:87], v[76:77], v[84:85] op_sel:[0,0,1] op_sel_hi:[1,1,0] neg_lo:[0,0,1] neg_hi:[0,0,1]
	v_pk_fma_f32 v[84:85], v[86:87], v[76:77], v[84:85] op_sel:[0,0,1] op_sel_hi:[1,0,0]
	v_mov_b32_e32 v89, v85
	ds_load_2addr_b64 v[84:87], v78 offset0:23 offset1:24
	v_pk_add_f32 v[36:37], v[36:37], v[90:91] neg_lo:[0,1] neg_hi:[0,1]
	v_pk_add_f32 v[38:39], v[38:39], v[88:89] neg_lo:[0,1] neg_hi:[0,1]
	s_wait_dscnt 0x0
	v_pk_mul_f32 v[88:89], v[84:85], v[74:75] op_sel:[0,1]
	s_delay_alu instid0(VALU_DEP_1) | instskip(SKIP_1) | instid1(VALU_DEP_1)
	v_pk_fma_f32 v[90:91], v[84:85], v[76:77], v[88:89] op_sel:[0,0,1] op_sel_hi:[1,1,0] neg_lo:[0,0,1] neg_hi:[0,0,1]
	v_pk_fma_f32 v[84:85], v[84:85], v[76:77], v[88:89] op_sel:[0,0,1] op_sel_hi:[1,0,0]
	v_mov_b32_e32 v91, v85
	v_pk_mul_f32 v[84:85], v[86:87], v[74:75] op_sel:[0,1]
	s_delay_alu instid0(VALU_DEP_1) | instskip(SKIP_1) | instid1(VALU_DEP_1)
	v_pk_fma_f32 v[88:89], v[86:87], v[76:77], v[84:85] op_sel:[0,0,1] op_sel_hi:[1,1,0] neg_lo:[0,0,1] neg_hi:[0,0,1]
	v_pk_fma_f32 v[84:85], v[86:87], v[76:77], v[84:85] op_sel:[0,0,1] op_sel_hi:[1,0,0]
	v_mov_b32_e32 v89, v85
	ds_load_2addr_b64 v[84:87], v78 offset0:25 offset1:26
	v_pk_add_f32 v[34:35], v[34:35], v[90:91] neg_lo:[0,1] neg_hi:[0,1]
	v_pk_add_f32 v[56:57], v[56:57], v[88:89] neg_lo:[0,1] neg_hi:[0,1]
	s_wait_dscnt 0x0
	v_dual_mul_f32 v88, v85, v75 :: v_dual_mul_f32 v90, v85, v76
	s_delay_alu instid0(VALU_DEP_1) | instskip(NEXT) | instid1(VALU_DEP_2)
	v_pk_fma_f32 v[88:89], v[84:85], v[62:63], v[88:89] op_sel_hi:[1,1,0] neg_lo:[0,0,1] neg_hi:[0,0,1]
	v_pk_fma_f32 v[84:85], v[84:85], v[62:63], v[90:91] op_sel:[1,0,0] op_sel_hi:[0,1,0]
	s_delay_alu instid0(VALU_DEP_1) | instskip(SKIP_1) | instid1(VALU_DEP_2)
	v_mov_b32_e32 v89, v85
	v_pk_mul_f32 v[84:85], v[86:87], v[74:75] op_sel:[0,1]
	v_pk_add_f32 v[22:23], v[22:23], v[88:89] neg_lo:[0,1] neg_hi:[0,1]
	s_delay_alu instid0(VALU_DEP_2) | instskip(SKIP_1) | instid1(VALU_DEP_1)
	v_pk_fma_f32 v[88:89], v[86:87], v[76:77], v[84:85] op_sel:[0,0,1] op_sel_hi:[1,1,0] neg_lo:[0,0,1] neg_hi:[0,0,1]
	v_pk_fma_f32 v[84:85], v[86:87], v[76:77], v[84:85] op_sel:[0,0,1] op_sel_hi:[1,0,0]
	v_mov_b32_e32 v89, v85
	ds_load_2addr_b64 v[84:87], v78 offset0:27 offset1:28
	v_pk_add_f32 v[28:29], v[28:29], v[88:89] neg_lo:[0,1] neg_hi:[0,1]
	s_wait_dscnt 0x0
	v_pk_mul_f32 v[88:89], v[84:85], v[74:75] op_sel:[0,1]
	s_delay_alu instid0(VALU_DEP_1) | instskip(SKIP_1) | instid1(VALU_DEP_1)
	v_pk_fma_f32 v[90:91], v[84:85], v[76:77], v[88:89] op_sel:[0,0,1] op_sel_hi:[1,1,0] neg_lo:[0,0,1] neg_hi:[0,0,1]
	v_pk_fma_f32 v[84:85], v[84:85], v[76:77], v[88:89] op_sel:[0,0,1] op_sel_hi:[1,0,0]
	v_mov_b32_e32 v91, v85
	v_pk_mul_f32 v[84:85], v[86:87], v[74:75] op_sel:[0,1]
	s_delay_alu instid0(VALU_DEP_2) | instskip(NEXT) | instid1(VALU_DEP_2)
	v_pk_add_f32 v[20:21], v[20:21], v[90:91] neg_lo:[0,1] neg_hi:[0,1]
	v_pk_fma_f32 v[88:89], v[86:87], v[76:77], v[84:85] op_sel:[0,0,1] op_sel_hi:[1,1,0] neg_lo:[0,0,1] neg_hi:[0,0,1]
	v_pk_fma_f32 v[84:85], v[86:87], v[76:77], v[84:85] op_sel:[0,0,1] op_sel_hi:[1,0,0]
	s_delay_alu instid0(VALU_DEP_1) | instskip(SKIP_4) | instid1(VALU_DEP_1)
	v_mov_b32_e32 v89, v85
	ds_load_2addr_b64 v[84:87], v78 offset0:29 offset1:30
	v_pk_add_f32 v[50:51], v[50:51], v[88:89] neg_lo:[0,1] neg_hi:[0,1]
	s_wait_dscnt 0x0
	v_pk_mul_f32 v[88:89], v[84:85], v[74:75] op_sel:[0,1]
	v_pk_fma_f32 v[90:91], v[84:85], v[76:77], v[88:89] op_sel:[0,0,1] op_sel_hi:[1,1,0] neg_lo:[0,0,1] neg_hi:[0,0,1]
	v_pk_fma_f32 v[84:85], v[84:85], v[76:77], v[88:89] op_sel:[0,0,1] op_sel_hi:[1,0,0]
	v_dual_mul_f32 v88, v87, v75 :: v_dual_mov_b32 v84, v87
	s_delay_alu instid0(VALU_DEP_2) | instskip(NEXT) | instid1(VALU_DEP_2)
	v_dual_mov_b32 v91, v85 :: v_dual_mov_b32 v85, v86
	v_pk_fma_f32 v[88:89], v[86:87], v[62:63], v[88:89] op_sel_hi:[1,1,0] neg_lo:[0,0,1] neg_hi:[0,0,1]
	v_mul_f32_e32 v86, v87, v76
	s_delay_alu instid0(VALU_DEP_3) | instskip(NEXT) | instid1(VALU_DEP_2)
	v_pk_add_f32 v[12:13], v[12:13], v[90:91] neg_lo:[0,1] neg_hi:[0,1]
	v_pk_fma_f32 v[84:85], v[84:85], v[62:63], v[86:87] op_sel_hi:[1,1,0]
	s_delay_alu instid0(VALU_DEP_1) | instskip(SKIP_4) | instid1(VALU_DEP_1)
	v_mov_b32_e32 v89, v85
	ds_load_2addr_b64 v[84:87], v78 offset0:31 offset1:32
	v_pk_add_f32 v[48:49], v[48:49], v[88:89] neg_lo:[0,1] neg_hi:[0,1]
	s_wait_dscnt 0x0
	v_pk_mul_f32 v[88:89], v[84:85], v[74:75] op_sel:[0,1]
	v_pk_fma_f32 v[90:91], v[84:85], v[76:77], v[88:89] op_sel:[0,0,1] op_sel_hi:[1,1,0] neg_lo:[0,0,1] neg_hi:[0,0,1]
	v_pk_fma_f32 v[84:85], v[84:85], v[76:77], v[88:89] op_sel:[0,0,1] op_sel_hi:[1,0,0]
	s_delay_alu instid0(VALU_DEP_1) | instskip(SKIP_1) | instid1(VALU_DEP_1)
	v_mov_b32_e32 v91, v85
	v_pk_mul_f32 v[84:85], v[86:87], v[74:75] op_sel:[0,1]
	v_pk_fma_f32 v[88:89], v[86:87], v[76:77], v[84:85] op_sel:[0,0,1] op_sel_hi:[1,1,0] neg_lo:[0,0,1] neg_hi:[0,0,1]
	v_pk_fma_f32 v[84:85], v[86:87], v[76:77], v[84:85] op_sel:[0,0,1] op_sel_hi:[1,0,0]
	s_delay_alu instid0(VALU_DEP_1)
	v_mov_b32_e32 v89, v85
	ds_load_b64 v[84:85], v78 offset:264
	v_pk_add_f32 v[46:47], v[46:47], v[90:91] neg_lo:[0,1] neg_hi:[0,1]
	v_pk_add_f32 v[32:33], v[32:33], v[88:89] neg_lo:[0,1] neg_hi:[0,1]
	s_wait_dscnt 0x0
	v_pk_mul_f32 v[74:75], v[84:85], v[74:75] op_sel:[0,1]
	s_delay_alu instid0(VALU_DEP_1) | instskip(SKIP_1) | instid1(VALU_DEP_1)
	v_pk_fma_f32 v[86:87], v[84:85], v[76:77], v[74:75] op_sel:[0,0,1] op_sel_hi:[1,1,0] neg_lo:[0,0,1] neg_hi:[0,0,1]
	v_pk_fma_f32 v[74:75], v[84:85], v[76:77], v[74:75] op_sel:[0,0,1] op_sel_hi:[1,0,0]
	v_mov_b32_e32 v87, v75
	s_delay_alu instid0(VALU_DEP_1)
	v_pk_add_f32 v[72:73], v[72:73], v[86:87] neg_lo:[0,1] neg_hi:[0,1]
.LBB66_356:
	s_or_b32 exec_lo, exec_lo, s0
	v_lshl_add_u32 v74, v82, 3, v78
	s_barrier_signal -1
	s_barrier_wait -1
	ds_store_b64 v74, v[42:43]
	s_wait_dscnt 0x0
	s_barrier_signal -1
	s_barrier_wait -1
	ds_load_b64 v[74:75], v78 offset:136
	v_mov_b32_e32 v76, 17
	s_cmp_lt_i32 s18, 19
	s_cbranch_scc1 .LBB66_359
; %bb.357:
	v_add3_u32 v77, v79, 0, 0x90
	v_mov_b32_e32 v76, 17
	s_mov_b32 s0, 18
.LBB66_358:                             ; =>This Inner Loop Header: Depth=1
	ds_load_b64 v[84:85], v77
	s_wait_dscnt 0x1
	v_cmp_gt_f32_e32 vcc_lo, 0, v74
	v_cndmask_b32_e64 v86, v74, -v74, vcc_lo
	v_cmp_gt_f32_e32 vcc_lo, 0, v75
	v_cndmask_b32_e64 v88, v75, -v75, vcc_lo
	s_wait_dscnt 0x0
	v_cmp_gt_f32_e32 vcc_lo, 0, v84
	v_cndmask_b32_e64 v87, v84, -v84, vcc_lo
	v_cmp_gt_f32_e32 vcc_lo, 0, v85
	v_cndmask_b32_e64 v89, v85, -v85, vcc_lo
	s_delay_alu instid0(VALU_DEP_1) | instskip(NEXT) | instid1(VALU_DEP_1)
	v_pk_add_f32 v[86:87], v[86:87], v[88:89]
	v_cmp_lt_f32_e32 vcc_lo, v86, v87
	v_dual_cndmask_b32 v74, v74, v84 :: v_dual_add_nc_u32 v77, 8, v77
	v_cndmask_b32_e32 v75, v75, v85, vcc_lo
	v_cndmask_b32_e64 v76, v76, s0, vcc_lo
	s_add_co_i32 s0, s0, 1
	s_delay_alu instid0(SALU_CYCLE_1)
	s_cmp_lg_u32 s18, s0
	s_cbranch_scc1 .LBB66_358
.LBB66_359:
	s_wait_dscnt 0x0
	v_cmp_eq_f32_e32 vcc_lo, 0, v74
	v_cmp_eq_f32_e64 s0, 0, v75
	s_and_b32 s0, vcc_lo, s0
	s_delay_alu instid0(SALU_CYCLE_1) | instskip(NEXT) | instid1(SALU_CYCLE_1)
	s_and_saveexec_b32 s1, s0
	s_xor_b32 s0, exec_lo, s1
; %bb.360:
	v_cmp_ne_u32_e32 vcc_lo, 0, v80
	v_cndmask_b32_e32 v80, 18, v80, vcc_lo
; %bb.361:
	s_and_not1_saveexec_b32 s0, s0
	s_cbranch_execz .LBB66_367
; %bb.362:
	v_cmp_ngt_f32_e64 s1, |v74|, |v75|
	s_and_saveexec_b32 s12, s1
	s_delay_alu instid0(SALU_CYCLE_1)
	s_xor_b32 s1, exec_lo, s12
	s_cbranch_execz .LBB66_364
; %bb.363:
	v_div_scale_f32 v77, null, v75, v75, v74
	v_div_scale_f32 v85, vcc_lo, v74, v75, v74
	s_delay_alu instid0(VALU_DEP_2) | instskip(SKIP_1) | instid1(TRANS32_DEP_1)
	v_rcp_f32_e32 v83, v77
	v_nop
	v_fma_f32 v84, -v77, v83, 1.0
	s_delay_alu instid0(VALU_DEP_1) | instskip(NEXT) | instid1(VALU_DEP_1)
	v_fmac_f32_e32 v83, v84, v83
	v_mul_f32_e32 v84, v85, v83
	s_delay_alu instid0(VALU_DEP_1) | instskip(NEXT) | instid1(VALU_DEP_1)
	v_fma_f32 v86, -v77, v84, v85
	v_fmac_f32_e32 v84, v86, v83
	s_delay_alu instid0(VALU_DEP_1) | instskip(NEXT) | instid1(VALU_DEP_1)
	v_fma_f32 v77, -v77, v84, v85
	v_div_fmas_f32 v77, v77, v83, v84
	s_delay_alu instid0(VALU_DEP_1) | instskip(NEXT) | instid1(VALU_DEP_1)
	v_div_fixup_f32 v77, v77, v75, v74
	v_fmac_f32_e32 v75, v74, v77
	s_delay_alu instid0(VALU_DEP_1) | instskip(SKIP_1) | instid1(VALU_DEP_2)
	v_div_scale_f32 v74, null, v75, v75, 1.0
	v_div_scale_f32 v85, vcc_lo, 1.0, v75, 1.0
	v_rcp_f32_e32 v83, v74
	v_nop
	s_delay_alu instid0(TRANS32_DEP_1) | instskip(NEXT) | instid1(VALU_DEP_1)
	v_fma_f32 v84, -v74, v83, 1.0
	v_fmac_f32_e32 v83, v84, v83
	s_delay_alu instid0(VALU_DEP_1) | instskip(NEXT) | instid1(VALU_DEP_1)
	v_mul_f32_e32 v84, v85, v83
	v_fma_f32 v86, -v74, v84, v85
	s_delay_alu instid0(VALU_DEP_1) | instskip(NEXT) | instid1(VALU_DEP_1)
	v_fmac_f32_e32 v84, v86, v83
	v_fma_f32 v74, -v74, v84, v85
	s_delay_alu instid0(VALU_DEP_1) | instskip(NEXT) | instid1(VALU_DEP_1)
	v_div_fmas_f32 v74, v74, v83, v84
	v_div_fixup_f32 v75, v74, v75, 1.0
	s_delay_alu instid0(VALU_DEP_1)
	v_mul_f32_e32 v74, v77, v75
	v_xor_b32_e32 v75, 0x80000000, v75
.LBB66_364:
	s_and_not1_saveexec_b32 s1, s1
	s_cbranch_execz .LBB66_366
; %bb.365:
	s_delay_alu instid0(VALU_DEP_1) | instskip(SKIP_1) | instid1(VALU_DEP_2)
	v_div_scale_f32 v77, null, v74, v74, v75
	v_div_scale_f32 v85, vcc_lo, v75, v74, v75
	v_rcp_f32_e32 v83, v77
	v_nop
	s_delay_alu instid0(TRANS32_DEP_1) | instskip(NEXT) | instid1(VALU_DEP_1)
	v_fma_f32 v84, -v77, v83, 1.0
	v_fmac_f32_e32 v83, v84, v83
	s_delay_alu instid0(VALU_DEP_1) | instskip(NEXT) | instid1(VALU_DEP_1)
	v_mul_f32_e32 v84, v85, v83
	v_fma_f32 v86, -v77, v84, v85
	s_delay_alu instid0(VALU_DEP_1) | instskip(NEXT) | instid1(VALU_DEP_1)
	v_fmac_f32_e32 v84, v86, v83
	v_fma_f32 v77, -v77, v84, v85
	s_delay_alu instid0(VALU_DEP_1) | instskip(NEXT) | instid1(VALU_DEP_1)
	v_div_fmas_f32 v77, v77, v83, v84
	v_div_fixup_f32 v77, v77, v74, v75
	s_delay_alu instid0(VALU_DEP_1) | instskip(NEXT) | instid1(VALU_DEP_1)
	v_fmac_f32_e32 v74, v75, v77
	v_div_scale_f32 v75, null, v74, v74, 1.0
	s_delay_alu instid0(VALU_DEP_1) | instskip(SKIP_1) | instid1(TRANS32_DEP_1)
	v_rcp_f32_e32 v83, v75
	v_nop
	v_fma_f32 v84, -v75, v83, 1.0
	s_delay_alu instid0(VALU_DEP_1) | instskip(SKIP_1) | instid1(VALU_DEP_1)
	v_fmac_f32_e32 v83, v84, v83
	v_div_scale_f32 v84, vcc_lo, 1.0, v74, 1.0
	v_mul_f32_e32 v85, v84, v83
	s_delay_alu instid0(VALU_DEP_1) | instskip(NEXT) | instid1(VALU_DEP_1)
	v_fma_f32 v86, -v75, v85, v84
	v_fmac_f32_e32 v85, v86, v83
	s_delay_alu instid0(VALU_DEP_1) | instskip(NEXT) | instid1(VALU_DEP_1)
	v_fma_f32 v75, -v75, v85, v84
	v_div_fmas_f32 v75, v75, v83, v85
	s_delay_alu instid0(VALU_DEP_1) | instskip(NEXT) | instid1(VALU_DEP_1)
	v_div_fixup_f32 v74, v75, v74, 1.0
	v_mul_f32_e64 v75, v77, -v74
.LBB66_366:
	s_or_b32 exec_lo, exec_lo, s1
.LBB66_367:
	s_delay_alu instid0(SALU_CYCLE_1) | instskip(NEXT) | instid1(SALU_CYCLE_1)
	s_or_b32 exec_lo, exec_lo, s0
	s_mov_b32 s0, exec_lo
	v_cmpx_ne_u32_e64 v82, v76
	s_xor_b32 s0, exec_lo, s0
	s_cbranch_execz .LBB66_373
; %bb.368:
	s_mov_b32 s1, exec_lo
	v_cmpx_eq_u32_e32 17, v82
	s_cbranch_execz .LBB66_372
; %bb.369:
	v_cmp_ne_u32_e32 vcc_lo, 17, v76
	s_xor_b32 s12, s16, -1
	s_delay_alu instid0(SALU_CYCLE_1) | instskip(NEXT) | instid1(SALU_CYCLE_1)
	s_and_b32 s13, s12, vcc_lo
	s_and_saveexec_b32 s12, s13
	s_cbranch_execz .LBB66_371
; %bb.370:
	v_ashrrev_i32_e32 v77, 31, v76
	s_delay_alu instid0(VALU_DEP_1)
	v_lshl_add_u64 v[82:83], v[76:77], 2, v[4:5]
	s_clause 0x1
	global_load_b32 v77, v[82:83], off
	global_load_b32 v81, v[4:5], off offset:68
	s_wait_loadcnt 0x1
	global_store_b32 v[4:5], v77, off offset:68
	s_wait_loadcnt 0x0
	global_store_b32 v[82:83], v81, off
.LBB66_371:
	s_wait_xcnt 0x0
	s_or_b32 exec_lo, exec_lo, s12
	v_dual_mov_b32 v82, v76 :: v_dual_mov_b32 v81, v76
.LBB66_372:
	s_or_b32 exec_lo, exec_lo, s1
.LBB66_373:
	s_and_not1_saveexec_b32 s0, s0
	s_cbranch_execz .LBB66_375
; %bb.374:
	v_dual_mov_b32 v76, v44 :: v_dual_mov_b32 v77, v45
	v_dual_mov_b32 v82, v40 :: v_dual_mov_b32 v83, v41
	;; [unrolled: 1-line block ×8, first 2 shown]
	ds_store_2addr_b64 v78, v[76:77], v[82:83] offset0:18 offset1:19
	ds_store_2addr_b64 v78, v[84:85], v[86:87] offset0:20 offset1:21
	;; [unrolled: 1-line block ×4, first 2 shown]
	v_dual_mov_b32 v76, v28 :: v_dual_mov_b32 v77, v29
	v_dual_mov_b32 v84, v20 :: v_dual_mov_b32 v85, v21
	v_dual_mov_b32 v82, 17 :: v_dual_mov_b32 v86, v50
	v_dual_mov_b32 v87, v51 :: v_dual_mov_b32 v88, v12
	v_dual_mov_b32 v89, v13 :: v_dual_mov_b32 v90, v48
	v_dual_mov_b32 v91, v49 :: v_dual_mov_b32 v92, v46
	v_dual_mov_b32 v93, v47 :: v_dual_mov_b32 v94, v32
	v_mov_b32_e32 v95, v33
	ds_store_2addr_b64 v78, v[76:77], v[84:85] offset0:26 offset1:27
	ds_store_2addr_b64 v78, v[86:87], v[88:89] offset0:28 offset1:29
	;; [unrolled: 1-line block ×4, first 2 shown]
.LBB66_375:
	s_or_b32 exec_lo, exec_lo, s0
	s_delay_alu instid0(SALU_CYCLE_1)
	s_mov_b32 s0, exec_lo
	s_wait_storecnt_dscnt 0x0
	s_barrier_signal -1
	s_barrier_wait -1
	v_cmpx_lt_i32_e32 17, v82
	s_cbranch_execz .LBB66_377
; %bb.376:
	v_pk_mul_f32 v[84:85], v[74:75], v[42:43] op_sel:[1,1] op_sel_hi:[0,1]
	s_delay_alu instid0(VALU_DEP_1)
	v_pk_fma_f32 v[76:77], v[74:75], v[42:43], v[84:85] op_sel_hi:[1,0,1] neg_lo:[0,0,1] neg_hi:[0,0,1]
	v_pk_fma_f32 v[74:75], v[74:75], v[42:43], v[84:85] op_sel_hi:[1,0,1]
	ds_load_2addr_b64 v[84:87], v78 offset0:18 offset1:19
	v_dual_mov_b32 v42, v76 :: v_dual_mov_b32 v43, v75
	s_wait_dscnt 0x0
	v_pk_mul_f32 v[88:89], v[84:85], v[74:75] op_sel:[0,1]
	s_delay_alu instid0(VALU_DEP_1) | instskip(SKIP_1) | instid1(VALU_DEP_1)
	v_pk_fma_f32 v[90:91], v[84:85], v[76:77], v[88:89] op_sel:[0,0,1] op_sel_hi:[1,1,0] neg_lo:[0,0,1] neg_hi:[0,0,1]
	v_pk_fma_f32 v[84:85], v[84:85], v[76:77], v[88:89] op_sel:[0,0,1] op_sel_hi:[1,0,0]
	v_mov_b32_e32 v91, v85
	v_pk_mul_f32 v[84:85], v[86:87], v[74:75] op_sel:[0,1]
	s_delay_alu instid0(VALU_DEP_1) | instskip(SKIP_1) | instid1(VALU_DEP_1)
	v_pk_fma_f32 v[88:89], v[86:87], v[76:77], v[84:85] op_sel:[0,0,1] op_sel_hi:[1,1,0] neg_lo:[0,0,1] neg_hi:[0,0,1]
	v_pk_fma_f32 v[84:85], v[86:87], v[76:77], v[84:85] op_sel:[0,0,1] op_sel_hi:[1,0,0]
	v_mov_b32_e32 v89, v85
	ds_load_2addr_b64 v[84:87], v78 offset0:20 offset1:21
	v_pk_add_f32 v[44:45], v[44:45], v[90:91] neg_lo:[0,1] neg_hi:[0,1]
	v_pk_add_f32 v[40:41], v[40:41], v[88:89] neg_lo:[0,1] neg_hi:[0,1]
	s_wait_dscnt 0x0
	v_pk_mul_f32 v[88:89], v[84:85], v[74:75] op_sel:[0,1]
	s_delay_alu instid0(VALU_DEP_1) | instskip(SKIP_2) | instid1(VALU_DEP_2)
	v_pk_fma_f32 v[90:91], v[84:85], v[76:77], v[88:89] op_sel:[0,0,1] op_sel_hi:[1,1,0] neg_lo:[0,0,1] neg_hi:[0,0,1]
	v_pk_fma_f32 v[84:85], v[84:85], v[76:77], v[88:89] op_sel:[0,0,1] op_sel_hi:[1,0,0]
	v_dual_mul_f32 v88, v87, v75 :: v_dual_mov_b32 v84, v87
	v_dual_mov_b32 v91, v85 :: v_dual_mov_b32 v85, v86
	s_delay_alu instid0(VALU_DEP_2) | instskip(SKIP_1) | instid1(VALU_DEP_3)
	v_pk_fma_f32 v[88:89], v[86:87], v[42:43], v[88:89] op_sel_hi:[1,1,0] neg_lo:[0,0,1] neg_hi:[0,0,1]
	v_mul_f32_e32 v86, v87, v76
	v_pk_add_f32 v[60:61], v[60:61], v[90:91] neg_lo:[0,1] neg_hi:[0,1]
	s_delay_alu instid0(VALU_DEP_2) | instskip(NEXT) | instid1(VALU_DEP_1)
	v_pk_fma_f32 v[84:85], v[84:85], v[42:43], v[86:87] op_sel_hi:[1,1,0]
	v_mov_b32_e32 v89, v85
	ds_load_2addr_b64 v[84:87], v78 offset0:22 offset1:23
	v_pk_add_f32 v[36:37], v[36:37], v[88:89] neg_lo:[0,1] neg_hi:[0,1]
	s_wait_dscnt 0x0
	v_pk_mul_f32 v[88:89], v[84:85], v[74:75] op_sel:[0,1]
	s_delay_alu instid0(VALU_DEP_1) | instskip(SKIP_1) | instid1(VALU_DEP_1)
	v_pk_fma_f32 v[90:91], v[84:85], v[76:77], v[88:89] op_sel:[0,0,1] op_sel_hi:[1,1,0] neg_lo:[0,0,1] neg_hi:[0,0,1]
	v_pk_fma_f32 v[84:85], v[84:85], v[76:77], v[88:89] op_sel:[0,0,1] op_sel_hi:[1,0,0]
	v_mov_b32_e32 v91, v85
	v_pk_mul_f32 v[84:85], v[86:87], v[74:75] op_sel:[0,1]
	s_delay_alu instid0(VALU_DEP_1) | instskip(SKIP_1) | instid1(VALU_DEP_1)
	v_pk_fma_f32 v[88:89], v[86:87], v[76:77], v[84:85] op_sel:[0,0,1] op_sel_hi:[1,1,0] neg_lo:[0,0,1] neg_hi:[0,0,1]
	v_pk_fma_f32 v[84:85], v[86:87], v[76:77], v[84:85] op_sel:[0,0,1] op_sel_hi:[1,0,0]
	v_mov_b32_e32 v89, v85
	ds_load_2addr_b64 v[84:87], v78 offset0:24 offset1:25
	v_pk_add_f32 v[38:39], v[38:39], v[90:91] neg_lo:[0,1] neg_hi:[0,1]
	v_pk_add_f32 v[34:35], v[34:35], v[88:89] neg_lo:[0,1] neg_hi:[0,1]
	s_wait_dscnt 0x0
	v_pk_mul_f32 v[88:89], v[84:85], v[74:75] op_sel:[0,1]
	s_delay_alu instid0(VALU_DEP_1) | instskip(SKIP_1) | instid1(VALU_DEP_1)
	v_pk_fma_f32 v[90:91], v[84:85], v[76:77], v[88:89] op_sel:[0,0,1] op_sel_hi:[1,1,0] neg_lo:[0,0,1] neg_hi:[0,0,1]
	v_pk_fma_f32 v[84:85], v[84:85], v[76:77], v[88:89] op_sel:[0,0,1] op_sel_hi:[1,0,0]
	v_mov_b32_e32 v91, v85
	v_pk_mul_f32 v[84:85], v[86:87], v[74:75] op_sel:[0,1]
	s_delay_alu instid0(VALU_DEP_1) | instskip(SKIP_1) | instid1(VALU_DEP_1)
	v_pk_fma_f32 v[88:89], v[86:87], v[76:77], v[84:85] op_sel:[0,0,1] op_sel_hi:[1,1,0] neg_lo:[0,0,1] neg_hi:[0,0,1]
	v_pk_fma_f32 v[84:85], v[86:87], v[76:77], v[84:85] op_sel:[0,0,1] op_sel_hi:[1,0,0]
	v_mov_b32_e32 v89, v85
	ds_load_2addr_b64 v[84:87], v78 offset0:26 offset1:27
	v_pk_add_f32 v[56:57], v[56:57], v[90:91] neg_lo:[0,1] neg_hi:[0,1]
	v_pk_add_f32 v[22:23], v[22:23], v[88:89] neg_lo:[0,1] neg_hi:[0,1]
	s_wait_dscnt 0x0
	v_dual_mul_f32 v88, v85, v75 :: v_dual_mul_f32 v90, v85, v76
	s_delay_alu instid0(VALU_DEP_1) | instskip(NEXT) | instid1(VALU_DEP_2)
	v_pk_fma_f32 v[88:89], v[84:85], v[42:43], v[88:89] op_sel_hi:[1,1,0] neg_lo:[0,0,1] neg_hi:[0,0,1]
	v_pk_fma_f32 v[84:85], v[84:85], v[42:43], v[90:91] op_sel:[1,0,0] op_sel_hi:[0,1,0]
	s_delay_alu instid0(VALU_DEP_1) | instskip(SKIP_1) | instid1(VALU_DEP_2)
	v_mov_b32_e32 v89, v85
	v_pk_mul_f32 v[84:85], v[86:87], v[74:75] op_sel:[0,1]
	v_pk_add_f32 v[28:29], v[28:29], v[88:89] neg_lo:[0,1] neg_hi:[0,1]
	s_delay_alu instid0(VALU_DEP_2) | instskip(SKIP_1) | instid1(VALU_DEP_1)
	v_pk_fma_f32 v[88:89], v[86:87], v[76:77], v[84:85] op_sel:[0,0,1] op_sel_hi:[1,1,0] neg_lo:[0,0,1] neg_hi:[0,0,1]
	v_pk_fma_f32 v[84:85], v[86:87], v[76:77], v[84:85] op_sel:[0,0,1] op_sel_hi:[1,0,0]
	v_mov_b32_e32 v89, v85
	ds_load_2addr_b64 v[84:87], v78 offset0:28 offset1:29
	v_pk_add_f32 v[20:21], v[20:21], v[88:89] neg_lo:[0,1] neg_hi:[0,1]
	s_wait_dscnt 0x0
	v_pk_mul_f32 v[88:89], v[84:85], v[74:75] op_sel:[0,1]
	s_delay_alu instid0(VALU_DEP_1) | instskip(SKIP_1) | instid1(VALU_DEP_1)
	v_pk_fma_f32 v[90:91], v[84:85], v[76:77], v[88:89] op_sel:[0,0,1] op_sel_hi:[1,1,0] neg_lo:[0,0,1] neg_hi:[0,0,1]
	v_pk_fma_f32 v[84:85], v[84:85], v[76:77], v[88:89] op_sel:[0,0,1] op_sel_hi:[1,0,0]
	v_mov_b32_e32 v91, v85
	v_pk_mul_f32 v[84:85], v[86:87], v[74:75] op_sel:[0,1]
	s_delay_alu instid0(VALU_DEP_2) | instskip(NEXT) | instid1(VALU_DEP_2)
	v_pk_add_f32 v[50:51], v[50:51], v[90:91] neg_lo:[0,1] neg_hi:[0,1]
	v_pk_fma_f32 v[88:89], v[86:87], v[76:77], v[84:85] op_sel:[0,0,1] op_sel_hi:[1,1,0] neg_lo:[0,0,1] neg_hi:[0,0,1]
	v_pk_fma_f32 v[84:85], v[86:87], v[76:77], v[84:85] op_sel:[0,0,1] op_sel_hi:[1,0,0]
	s_delay_alu instid0(VALU_DEP_1) | instskip(SKIP_4) | instid1(VALU_DEP_1)
	v_mov_b32_e32 v89, v85
	ds_load_2addr_b64 v[84:87], v78 offset0:30 offset1:31
	v_pk_add_f32 v[12:13], v[12:13], v[88:89] neg_lo:[0,1] neg_hi:[0,1]
	s_wait_dscnt 0x0
	v_pk_mul_f32 v[88:89], v[84:85], v[74:75] op_sel:[0,1]
	v_pk_fma_f32 v[90:91], v[84:85], v[76:77], v[88:89] op_sel:[0,0,1] op_sel_hi:[1,1,0] neg_lo:[0,0,1] neg_hi:[0,0,1]
	v_pk_fma_f32 v[84:85], v[84:85], v[76:77], v[88:89] op_sel:[0,0,1] op_sel_hi:[1,0,0]
	v_dual_mul_f32 v88, v87, v75 :: v_dual_mov_b32 v84, v87
	s_delay_alu instid0(VALU_DEP_2) | instskip(NEXT) | instid1(VALU_DEP_2)
	v_dual_mov_b32 v91, v85 :: v_dual_mov_b32 v85, v86
	v_pk_fma_f32 v[88:89], v[86:87], v[42:43], v[88:89] op_sel_hi:[1,1,0] neg_lo:[0,0,1] neg_hi:[0,0,1]
	v_mul_f32_e32 v86, v87, v76
	s_delay_alu instid0(VALU_DEP_3) | instskip(NEXT) | instid1(VALU_DEP_2)
	v_pk_add_f32 v[48:49], v[48:49], v[90:91] neg_lo:[0,1] neg_hi:[0,1]
	v_pk_fma_f32 v[84:85], v[84:85], v[42:43], v[86:87] op_sel_hi:[1,1,0]
	s_delay_alu instid0(VALU_DEP_1)
	v_mov_b32_e32 v89, v85
	ds_load_2addr_b64 v[84:87], v78 offset0:32 offset1:33
	v_pk_add_f32 v[46:47], v[46:47], v[88:89] neg_lo:[0,1] neg_hi:[0,1]
	s_wait_dscnt 0x0
	v_pk_mul_f32 v[88:89], v[84:85], v[74:75] op_sel:[0,1]
	v_pk_mul_f32 v[74:75], v[86:87], v[74:75] op_sel:[0,1]
	s_delay_alu instid0(VALU_DEP_2) | instskip(SKIP_1) | instid1(VALU_DEP_1)
	v_pk_fma_f32 v[90:91], v[84:85], v[76:77], v[88:89] op_sel:[0,0,1] op_sel_hi:[1,1,0] neg_lo:[0,0,1] neg_hi:[0,0,1]
	v_pk_fma_f32 v[84:85], v[84:85], v[76:77], v[88:89] op_sel:[0,0,1] op_sel_hi:[1,0,0]
	v_mov_b32_e32 v91, v85
	s_delay_alu instid0(VALU_DEP_4) | instskip(SKIP_1) | instid1(VALU_DEP_1)
	v_pk_fma_f32 v[84:85], v[86:87], v[76:77], v[74:75] op_sel:[0,0,1] op_sel_hi:[1,1,0] neg_lo:[0,0,1] neg_hi:[0,0,1]
	v_pk_fma_f32 v[74:75], v[86:87], v[76:77], v[74:75] op_sel:[0,0,1] op_sel_hi:[1,0,0]
	v_mov_b32_e32 v85, v75
	s_delay_alu instid0(VALU_DEP_4) | instskip(NEXT) | instid1(VALU_DEP_2)
	v_pk_add_f32 v[32:33], v[32:33], v[90:91] neg_lo:[0,1] neg_hi:[0,1]
	v_pk_add_f32 v[72:73], v[72:73], v[84:85] neg_lo:[0,1] neg_hi:[0,1]
.LBB66_377:
	s_or_b32 exec_lo, exec_lo, s0
	v_lshl_add_u32 v74, v82, 3, v78
	s_barrier_signal -1
	s_barrier_wait -1
	ds_store_b64 v74, v[44:45]
	s_wait_dscnt 0x0
	s_barrier_signal -1
	s_barrier_wait -1
	ds_load_b64 v[74:75], v78 offset:144
	v_mov_b32_e32 v76, 18
	s_cmp_lt_i32 s18, 20
	s_cbranch_scc1 .LBB66_380
; %bb.378:
	v_add3_u32 v77, v79, 0, 0x98
	v_mov_b32_e32 v76, 18
	s_mov_b32 s0, 19
.LBB66_379:                             ; =>This Inner Loop Header: Depth=1
	ds_load_b64 v[84:85], v77
	s_wait_dscnt 0x1
	v_cmp_gt_f32_e32 vcc_lo, 0, v74
	v_cndmask_b32_e64 v86, v74, -v74, vcc_lo
	v_cmp_gt_f32_e32 vcc_lo, 0, v75
	v_cndmask_b32_e64 v88, v75, -v75, vcc_lo
	s_wait_dscnt 0x0
	v_cmp_gt_f32_e32 vcc_lo, 0, v84
	v_cndmask_b32_e64 v87, v84, -v84, vcc_lo
	v_cmp_gt_f32_e32 vcc_lo, 0, v85
	v_cndmask_b32_e64 v89, v85, -v85, vcc_lo
	s_delay_alu instid0(VALU_DEP_1) | instskip(NEXT) | instid1(VALU_DEP_1)
	v_pk_add_f32 v[86:87], v[86:87], v[88:89]
	v_cmp_lt_f32_e32 vcc_lo, v86, v87
	v_dual_cndmask_b32 v74, v74, v84 :: v_dual_add_nc_u32 v77, 8, v77
	v_cndmask_b32_e32 v75, v75, v85, vcc_lo
	v_cndmask_b32_e64 v76, v76, s0, vcc_lo
	s_add_co_i32 s0, s0, 1
	s_delay_alu instid0(SALU_CYCLE_1)
	s_cmp_lg_u32 s18, s0
	s_cbranch_scc1 .LBB66_379
.LBB66_380:
	s_wait_dscnt 0x0
	v_cmp_eq_f32_e32 vcc_lo, 0, v74
	v_cmp_eq_f32_e64 s0, 0, v75
	s_and_b32 s0, vcc_lo, s0
	s_delay_alu instid0(SALU_CYCLE_1) | instskip(NEXT) | instid1(SALU_CYCLE_1)
	s_and_saveexec_b32 s1, s0
	s_xor_b32 s0, exec_lo, s1
; %bb.381:
	v_cmp_ne_u32_e32 vcc_lo, 0, v80
	v_cndmask_b32_e32 v80, 19, v80, vcc_lo
; %bb.382:
	s_and_not1_saveexec_b32 s0, s0
	s_cbranch_execz .LBB66_388
; %bb.383:
	v_cmp_ngt_f32_e64 s1, |v74|, |v75|
	s_and_saveexec_b32 s12, s1
	s_delay_alu instid0(SALU_CYCLE_1)
	s_xor_b32 s1, exec_lo, s12
	s_cbranch_execz .LBB66_385
; %bb.384:
	v_div_scale_f32 v77, null, v75, v75, v74
	v_div_scale_f32 v85, vcc_lo, v74, v75, v74
	s_delay_alu instid0(VALU_DEP_2) | instskip(SKIP_1) | instid1(TRANS32_DEP_1)
	v_rcp_f32_e32 v83, v77
	v_nop
	v_fma_f32 v84, -v77, v83, 1.0
	s_delay_alu instid0(VALU_DEP_1) | instskip(NEXT) | instid1(VALU_DEP_1)
	v_fmac_f32_e32 v83, v84, v83
	v_mul_f32_e32 v84, v85, v83
	s_delay_alu instid0(VALU_DEP_1) | instskip(NEXT) | instid1(VALU_DEP_1)
	v_fma_f32 v86, -v77, v84, v85
	v_fmac_f32_e32 v84, v86, v83
	s_delay_alu instid0(VALU_DEP_1) | instskip(NEXT) | instid1(VALU_DEP_1)
	v_fma_f32 v77, -v77, v84, v85
	v_div_fmas_f32 v77, v77, v83, v84
	s_delay_alu instid0(VALU_DEP_1) | instskip(NEXT) | instid1(VALU_DEP_1)
	v_div_fixup_f32 v77, v77, v75, v74
	v_fmac_f32_e32 v75, v74, v77
	s_delay_alu instid0(VALU_DEP_1) | instskip(SKIP_1) | instid1(VALU_DEP_2)
	v_div_scale_f32 v74, null, v75, v75, 1.0
	v_div_scale_f32 v85, vcc_lo, 1.0, v75, 1.0
	v_rcp_f32_e32 v83, v74
	v_nop
	s_delay_alu instid0(TRANS32_DEP_1) | instskip(NEXT) | instid1(VALU_DEP_1)
	v_fma_f32 v84, -v74, v83, 1.0
	v_fmac_f32_e32 v83, v84, v83
	s_delay_alu instid0(VALU_DEP_1) | instskip(NEXT) | instid1(VALU_DEP_1)
	v_mul_f32_e32 v84, v85, v83
	v_fma_f32 v86, -v74, v84, v85
	s_delay_alu instid0(VALU_DEP_1) | instskip(NEXT) | instid1(VALU_DEP_1)
	v_fmac_f32_e32 v84, v86, v83
	v_fma_f32 v74, -v74, v84, v85
	s_delay_alu instid0(VALU_DEP_1) | instskip(NEXT) | instid1(VALU_DEP_1)
	v_div_fmas_f32 v74, v74, v83, v84
	v_div_fixup_f32 v75, v74, v75, 1.0
	s_delay_alu instid0(VALU_DEP_1)
	v_mul_f32_e32 v74, v77, v75
	v_xor_b32_e32 v75, 0x80000000, v75
.LBB66_385:
	s_and_not1_saveexec_b32 s1, s1
	s_cbranch_execz .LBB66_387
; %bb.386:
	s_delay_alu instid0(VALU_DEP_1) | instskip(SKIP_1) | instid1(VALU_DEP_2)
	v_div_scale_f32 v77, null, v74, v74, v75
	v_div_scale_f32 v85, vcc_lo, v75, v74, v75
	v_rcp_f32_e32 v83, v77
	v_nop
	s_delay_alu instid0(TRANS32_DEP_1) | instskip(NEXT) | instid1(VALU_DEP_1)
	v_fma_f32 v84, -v77, v83, 1.0
	v_fmac_f32_e32 v83, v84, v83
	s_delay_alu instid0(VALU_DEP_1) | instskip(NEXT) | instid1(VALU_DEP_1)
	v_mul_f32_e32 v84, v85, v83
	v_fma_f32 v86, -v77, v84, v85
	s_delay_alu instid0(VALU_DEP_1) | instskip(NEXT) | instid1(VALU_DEP_1)
	v_fmac_f32_e32 v84, v86, v83
	v_fma_f32 v77, -v77, v84, v85
	s_delay_alu instid0(VALU_DEP_1) | instskip(NEXT) | instid1(VALU_DEP_1)
	v_div_fmas_f32 v77, v77, v83, v84
	v_div_fixup_f32 v77, v77, v74, v75
	s_delay_alu instid0(VALU_DEP_1) | instskip(NEXT) | instid1(VALU_DEP_1)
	v_fmac_f32_e32 v74, v75, v77
	v_div_scale_f32 v75, null, v74, v74, 1.0
	s_delay_alu instid0(VALU_DEP_1) | instskip(SKIP_1) | instid1(TRANS32_DEP_1)
	v_rcp_f32_e32 v83, v75
	v_nop
	v_fma_f32 v84, -v75, v83, 1.0
	s_delay_alu instid0(VALU_DEP_1) | instskip(SKIP_1) | instid1(VALU_DEP_1)
	v_fmac_f32_e32 v83, v84, v83
	v_div_scale_f32 v84, vcc_lo, 1.0, v74, 1.0
	v_mul_f32_e32 v85, v84, v83
	s_delay_alu instid0(VALU_DEP_1) | instskip(NEXT) | instid1(VALU_DEP_1)
	v_fma_f32 v86, -v75, v85, v84
	v_fmac_f32_e32 v85, v86, v83
	s_delay_alu instid0(VALU_DEP_1) | instskip(NEXT) | instid1(VALU_DEP_1)
	v_fma_f32 v75, -v75, v85, v84
	v_div_fmas_f32 v75, v75, v83, v85
	s_delay_alu instid0(VALU_DEP_1) | instskip(NEXT) | instid1(VALU_DEP_1)
	v_div_fixup_f32 v74, v75, v74, 1.0
	v_mul_f32_e64 v75, v77, -v74
.LBB66_387:
	s_or_b32 exec_lo, exec_lo, s1
.LBB66_388:
	s_delay_alu instid0(SALU_CYCLE_1) | instskip(NEXT) | instid1(SALU_CYCLE_1)
	s_or_b32 exec_lo, exec_lo, s0
	s_mov_b32 s0, exec_lo
	v_cmpx_ne_u32_e64 v82, v76
	s_xor_b32 s0, exec_lo, s0
	s_cbranch_execz .LBB66_394
; %bb.389:
	s_mov_b32 s1, exec_lo
	v_cmpx_eq_u32_e32 18, v82
	s_cbranch_execz .LBB66_393
; %bb.390:
	v_cmp_ne_u32_e32 vcc_lo, 18, v76
	s_xor_b32 s12, s16, -1
	s_delay_alu instid0(SALU_CYCLE_1) | instskip(NEXT) | instid1(SALU_CYCLE_1)
	s_and_b32 s13, s12, vcc_lo
	s_and_saveexec_b32 s12, s13
	s_cbranch_execz .LBB66_392
; %bb.391:
	v_ashrrev_i32_e32 v77, 31, v76
	s_delay_alu instid0(VALU_DEP_1)
	v_lshl_add_u64 v[82:83], v[76:77], 2, v[4:5]
	s_clause 0x1
	global_load_b32 v77, v[82:83], off
	global_load_b32 v81, v[4:5], off offset:72
	s_wait_loadcnt 0x1
	global_store_b32 v[4:5], v77, off offset:72
	s_wait_loadcnt 0x0
	global_store_b32 v[82:83], v81, off
.LBB66_392:
	s_wait_xcnt 0x0
	s_or_b32 exec_lo, exec_lo, s12
	v_dual_mov_b32 v82, v76 :: v_dual_mov_b32 v81, v76
.LBB66_393:
	s_or_b32 exec_lo, exec_lo, s1
.LBB66_394:
	s_and_not1_saveexec_b32 s0, s0
	s_cbranch_execz .LBB66_396
; %bb.395:
	v_mov_b32_e32 v82, 18
	ds_store_2addr_b64 v78, v[40:41], v[60:61] offset0:19 offset1:20
	ds_store_2addr_b64 v78, v[36:37], v[38:39] offset0:21 offset1:22
	;; [unrolled: 1-line block ×7, first 2 shown]
	ds_store_b64 v78, v[72:73] offset:264
.LBB66_396:
	s_or_b32 exec_lo, exec_lo, s0
	s_delay_alu instid0(SALU_CYCLE_1)
	s_mov_b32 s0, exec_lo
	s_wait_storecnt_dscnt 0x0
	s_barrier_signal -1
	s_barrier_wait -1
	v_cmpx_lt_i32_e32 18, v82
	s_cbranch_execz .LBB66_398
; %bb.397:
	v_pk_mul_f32 v[84:85], v[74:75], v[44:45] op_sel:[1,1] op_sel_hi:[0,1]
	s_delay_alu instid0(VALU_DEP_1)
	v_pk_fma_f32 v[76:77], v[74:75], v[44:45], v[84:85] op_sel_hi:[1,0,1] neg_lo:[0,0,1] neg_hi:[0,0,1]
	v_pk_fma_f32 v[74:75], v[74:75], v[44:45], v[84:85] op_sel_hi:[1,0,1]
	ds_load_2addr_b64 v[84:87], v78 offset0:19 offset1:20
	v_dual_mov_b32 v44, v76 :: v_dual_mov_b32 v45, v75
	s_wait_dscnt 0x0
	v_pk_mul_f32 v[88:89], v[84:85], v[74:75] op_sel:[0,1]
	s_delay_alu instid0(VALU_DEP_1) | instskip(SKIP_1) | instid1(VALU_DEP_1)
	v_pk_fma_f32 v[90:91], v[84:85], v[76:77], v[88:89] op_sel:[0,0,1] op_sel_hi:[1,1,0] neg_lo:[0,0,1] neg_hi:[0,0,1]
	v_pk_fma_f32 v[84:85], v[84:85], v[76:77], v[88:89] op_sel:[0,0,1] op_sel_hi:[1,0,0]
	v_mov_b32_e32 v91, v85
	v_pk_mul_f32 v[84:85], v[86:87], v[74:75] op_sel:[0,1]
	s_delay_alu instid0(VALU_DEP_1) | instskip(SKIP_1) | instid1(VALU_DEP_1)
	v_pk_fma_f32 v[88:89], v[86:87], v[76:77], v[84:85] op_sel:[0,0,1] op_sel_hi:[1,1,0] neg_lo:[0,0,1] neg_hi:[0,0,1]
	v_pk_fma_f32 v[84:85], v[86:87], v[76:77], v[84:85] op_sel:[0,0,1] op_sel_hi:[1,0,0]
	v_mov_b32_e32 v89, v85
	ds_load_2addr_b64 v[84:87], v78 offset0:21 offset1:22
	v_pk_add_f32 v[40:41], v[40:41], v[90:91] neg_lo:[0,1] neg_hi:[0,1]
	v_pk_add_f32 v[60:61], v[60:61], v[88:89] neg_lo:[0,1] neg_hi:[0,1]
	s_wait_dscnt 0x0
	v_pk_mul_f32 v[88:89], v[84:85], v[74:75] op_sel:[0,1]
	s_delay_alu instid0(VALU_DEP_1) | instskip(SKIP_2) | instid1(VALU_DEP_2)
	v_pk_fma_f32 v[90:91], v[84:85], v[76:77], v[88:89] op_sel:[0,0,1] op_sel_hi:[1,1,0] neg_lo:[0,0,1] neg_hi:[0,0,1]
	v_pk_fma_f32 v[84:85], v[84:85], v[76:77], v[88:89] op_sel:[0,0,1] op_sel_hi:[1,0,0]
	v_dual_mul_f32 v88, v87, v75 :: v_dual_mov_b32 v84, v87
	v_dual_mov_b32 v91, v85 :: v_dual_mov_b32 v85, v86
	s_delay_alu instid0(VALU_DEP_2) | instskip(SKIP_1) | instid1(VALU_DEP_3)
	v_pk_fma_f32 v[88:89], v[86:87], v[44:45], v[88:89] op_sel_hi:[1,1,0] neg_lo:[0,0,1] neg_hi:[0,0,1]
	v_mul_f32_e32 v86, v87, v76
	v_pk_add_f32 v[36:37], v[36:37], v[90:91] neg_lo:[0,1] neg_hi:[0,1]
	s_delay_alu instid0(VALU_DEP_2) | instskip(NEXT) | instid1(VALU_DEP_1)
	v_pk_fma_f32 v[84:85], v[84:85], v[44:45], v[86:87] op_sel_hi:[1,1,0]
	v_mov_b32_e32 v89, v85
	ds_load_2addr_b64 v[84:87], v78 offset0:23 offset1:24
	v_pk_add_f32 v[38:39], v[38:39], v[88:89] neg_lo:[0,1] neg_hi:[0,1]
	s_wait_dscnt 0x0
	v_pk_mul_f32 v[88:89], v[84:85], v[74:75] op_sel:[0,1]
	s_delay_alu instid0(VALU_DEP_1) | instskip(SKIP_1) | instid1(VALU_DEP_1)
	v_pk_fma_f32 v[90:91], v[84:85], v[76:77], v[88:89] op_sel:[0,0,1] op_sel_hi:[1,1,0] neg_lo:[0,0,1] neg_hi:[0,0,1]
	v_pk_fma_f32 v[84:85], v[84:85], v[76:77], v[88:89] op_sel:[0,0,1] op_sel_hi:[1,0,0]
	v_mov_b32_e32 v91, v85
	v_pk_mul_f32 v[84:85], v[86:87], v[74:75] op_sel:[0,1]
	s_delay_alu instid0(VALU_DEP_1) | instskip(SKIP_1) | instid1(VALU_DEP_1)
	v_pk_fma_f32 v[88:89], v[86:87], v[76:77], v[84:85] op_sel:[0,0,1] op_sel_hi:[1,1,0] neg_lo:[0,0,1] neg_hi:[0,0,1]
	v_pk_fma_f32 v[84:85], v[86:87], v[76:77], v[84:85] op_sel:[0,0,1] op_sel_hi:[1,0,0]
	v_mov_b32_e32 v89, v85
	ds_load_2addr_b64 v[84:87], v78 offset0:25 offset1:26
	v_pk_add_f32 v[34:35], v[34:35], v[90:91] neg_lo:[0,1] neg_hi:[0,1]
	v_pk_add_f32 v[56:57], v[56:57], v[88:89] neg_lo:[0,1] neg_hi:[0,1]
	s_wait_dscnt 0x0
	v_pk_mul_f32 v[88:89], v[84:85], v[74:75] op_sel:[0,1]
	s_delay_alu instid0(VALU_DEP_1) | instskip(SKIP_1) | instid1(VALU_DEP_1)
	v_pk_fma_f32 v[90:91], v[84:85], v[76:77], v[88:89] op_sel:[0,0,1] op_sel_hi:[1,1,0] neg_lo:[0,0,1] neg_hi:[0,0,1]
	v_pk_fma_f32 v[84:85], v[84:85], v[76:77], v[88:89] op_sel:[0,0,1] op_sel_hi:[1,0,0]
	v_mov_b32_e32 v91, v85
	v_pk_mul_f32 v[84:85], v[86:87], v[74:75] op_sel:[0,1]
	s_delay_alu instid0(VALU_DEP_1) | instskip(SKIP_1) | instid1(VALU_DEP_1)
	v_pk_fma_f32 v[88:89], v[86:87], v[76:77], v[84:85] op_sel:[0,0,1] op_sel_hi:[1,1,0] neg_lo:[0,0,1] neg_hi:[0,0,1]
	v_pk_fma_f32 v[84:85], v[86:87], v[76:77], v[84:85] op_sel:[0,0,1] op_sel_hi:[1,0,0]
	v_mov_b32_e32 v89, v85
	ds_load_2addr_b64 v[84:87], v78 offset0:27 offset1:28
	v_pk_add_f32 v[22:23], v[22:23], v[90:91] neg_lo:[0,1] neg_hi:[0,1]
	v_pk_add_f32 v[28:29], v[28:29], v[88:89] neg_lo:[0,1] neg_hi:[0,1]
	s_wait_dscnt 0x0
	v_dual_mul_f32 v88, v85, v75 :: v_dual_mul_f32 v90, v85, v76
	s_delay_alu instid0(VALU_DEP_1) | instskip(NEXT) | instid1(VALU_DEP_2)
	v_pk_fma_f32 v[88:89], v[84:85], v[44:45], v[88:89] op_sel_hi:[1,1,0] neg_lo:[0,0,1] neg_hi:[0,0,1]
	v_pk_fma_f32 v[84:85], v[84:85], v[44:45], v[90:91] op_sel:[1,0,0] op_sel_hi:[0,1,0]
	s_delay_alu instid0(VALU_DEP_1) | instskip(SKIP_1) | instid1(VALU_DEP_2)
	v_mov_b32_e32 v89, v85
	v_pk_mul_f32 v[84:85], v[86:87], v[74:75] op_sel:[0,1]
	v_pk_add_f32 v[20:21], v[20:21], v[88:89] neg_lo:[0,1] neg_hi:[0,1]
	s_delay_alu instid0(VALU_DEP_2) | instskip(SKIP_1) | instid1(VALU_DEP_1)
	v_pk_fma_f32 v[88:89], v[86:87], v[76:77], v[84:85] op_sel:[0,0,1] op_sel_hi:[1,1,0] neg_lo:[0,0,1] neg_hi:[0,0,1]
	v_pk_fma_f32 v[84:85], v[86:87], v[76:77], v[84:85] op_sel:[0,0,1] op_sel_hi:[1,0,0]
	v_mov_b32_e32 v89, v85
	ds_load_2addr_b64 v[84:87], v78 offset0:29 offset1:30
	v_pk_add_f32 v[50:51], v[50:51], v[88:89] neg_lo:[0,1] neg_hi:[0,1]
	s_wait_dscnt 0x0
	v_pk_mul_f32 v[88:89], v[84:85], v[74:75] op_sel:[0,1]
	s_delay_alu instid0(VALU_DEP_1) | instskip(SKIP_1) | instid1(VALU_DEP_1)
	v_pk_fma_f32 v[90:91], v[84:85], v[76:77], v[88:89] op_sel:[0,0,1] op_sel_hi:[1,1,0] neg_lo:[0,0,1] neg_hi:[0,0,1]
	v_pk_fma_f32 v[84:85], v[84:85], v[76:77], v[88:89] op_sel:[0,0,1] op_sel_hi:[1,0,0]
	v_mov_b32_e32 v91, v85
	v_pk_mul_f32 v[84:85], v[86:87], v[74:75] op_sel:[0,1]
	s_delay_alu instid0(VALU_DEP_2) | instskip(NEXT) | instid1(VALU_DEP_2)
	v_pk_add_f32 v[12:13], v[12:13], v[90:91] neg_lo:[0,1] neg_hi:[0,1]
	v_pk_fma_f32 v[88:89], v[86:87], v[76:77], v[84:85] op_sel:[0,0,1] op_sel_hi:[1,1,0] neg_lo:[0,0,1] neg_hi:[0,0,1]
	v_pk_fma_f32 v[84:85], v[86:87], v[76:77], v[84:85] op_sel:[0,0,1] op_sel_hi:[1,0,0]
	s_delay_alu instid0(VALU_DEP_1) | instskip(SKIP_4) | instid1(VALU_DEP_1)
	v_mov_b32_e32 v89, v85
	ds_load_2addr_b64 v[84:87], v78 offset0:31 offset1:32
	v_pk_add_f32 v[48:49], v[48:49], v[88:89] neg_lo:[0,1] neg_hi:[0,1]
	s_wait_dscnt 0x0
	v_pk_mul_f32 v[88:89], v[84:85], v[74:75] op_sel:[0,1]
	v_pk_fma_f32 v[90:91], v[84:85], v[76:77], v[88:89] op_sel:[0,0,1] op_sel_hi:[1,1,0] neg_lo:[0,0,1] neg_hi:[0,0,1]
	v_pk_fma_f32 v[84:85], v[84:85], v[76:77], v[88:89] op_sel:[0,0,1] op_sel_hi:[1,0,0]
	v_dual_mul_f32 v88, v87, v75 :: v_dual_mov_b32 v84, v87
	s_delay_alu instid0(VALU_DEP_2) | instskip(NEXT) | instid1(VALU_DEP_2)
	v_dual_mov_b32 v91, v85 :: v_dual_mov_b32 v85, v86
	v_pk_fma_f32 v[88:89], v[86:87], v[44:45], v[88:89] op_sel_hi:[1,1,0] neg_lo:[0,0,1] neg_hi:[0,0,1]
	v_mul_f32_e32 v86, v87, v76
	s_delay_alu instid0(VALU_DEP_3) | instskip(NEXT) | instid1(VALU_DEP_2)
	v_pk_add_f32 v[46:47], v[46:47], v[90:91] neg_lo:[0,1] neg_hi:[0,1]
	v_pk_fma_f32 v[84:85], v[84:85], v[44:45], v[86:87] op_sel_hi:[1,1,0]
	s_delay_alu instid0(VALU_DEP_1) | instskip(SKIP_4) | instid1(VALU_DEP_1)
	v_mov_b32_e32 v89, v85
	ds_load_b64 v[84:85], v78 offset:264
	v_pk_add_f32 v[32:33], v[32:33], v[88:89] neg_lo:[0,1] neg_hi:[0,1]
	s_wait_dscnt 0x0
	v_pk_mul_f32 v[74:75], v[84:85], v[74:75] op_sel:[0,1]
	v_pk_fma_f32 v[86:87], v[84:85], v[76:77], v[74:75] op_sel:[0,0,1] op_sel_hi:[1,1,0] neg_lo:[0,0,1] neg_hi:[0,0,1]
	v_pk_fma_f32 v[74:75], v[84:85], v[76:77], v[74:75] op_sel:[0,0,1] op_sel_hi:[1,0,0]
	s_delay_alu instid0(VALU_DEP_1) | instskip(NEXT) | instid1(VALU_DEP_1)
	v_mov_b32_e32 v87, v75
	v_pk_add_f32 v[72:73], v[72:73], v[86:87] neg_lo:[0,1] neg_hi:[0,1]
.LBB66_398:
	s_or_b32 exec_lo, exec_lo, s0
	v_lshl_add_u32 v74, v82, 3, v78
	s_barrier_signal -1
	s_barrier_wait -1
	ds_store_b64 v74, v[40:41]
	s_wait_dscnt 0x0
	s_barrier_signal -1
	s_barrier_wait -1
	ds_load_b64 v[74:75], v78 offset:152
	v_mov_b32_e32 v76, 19
	s_cmp_lt_i32 s18, 21
	s_cbranch_scc1 .LBB66_401
; %bb.399:
	v_add3_u32 v77, v79, 0, 0xa0
	v_mov_b32_e32 v76, 19
	s_mov_b32 s0, 20
.LBB66_400:                             ; =>This Inner Loop Header: Depth=1
	ds_load_b64 v[84:85], v77
	s_wait_dscnt 0x1
	v_cmp_gt_f32_e32 vcc_lo, 0, v74
	v_cndmask_b32_e64 v86, v74, -v74, vcc_lo
	v_cmp_gt_f32_e32 vcc_lo, 0, v75
	v_cndmask_b32_e64 v88, v75, -v75, vcc_lo
	s_wait_dscnt 0x0
	v_cmp_gt_f32_e32 vcc_lo, 0, v84
	v_cndmask_b32_e64 v87, v84, -v84, vcc_lo
	v_cmp_gt_f32_e32 vcc_lo, 0, v85
	v_cndmask_b32_e64 v89, v85, -v85, vcc_lo
	s_delay_alu instid0(VALU_DEP_1) | instskip(NEXT) | instid1(VALU_DEP_1)
	v_pk_add_f32 v[86:87], v[86:87], v[88:89]
	v_cmp_lt_f32_e32 vcc_lo, v86, v87
	v_dual_cndmask_b32 v74, v74, v84 :: v_dual_add_nc_u32 v77, 8, v77
	v_cndmask_b32_e32 v75, v75, v85, vcc_lo
	v_cndmask_b32_e64 v76, v76, s0, vcc_lo
	s_add_co_i32 s0, s0, 1
	s_delay_alu instid0(SALU_CYCLE_1)
	s_cmp_lg_u32 s18, s0
	s_cbranch_scc1 .LBB66_400
.LBB66_401:
	s_wait_dscnt 0x0
	v_cmp_eq_f32_e32 vcc_lo, 0, v74
	v_cmp_eq_f32_e64 s0, 0, v75
	s_and_b32 s0, vcc_lo, s0
	s_delay_alu instid0(SALU_CYCLE_1) | instskip(NEXT) | instid1(SALU_CYCLE_1)
	s_and_saveexec_b32 s1, s0
	s_xor_b32 s0, exec_lo, s1
; %bb.402:
	v_cmp_ne_u32_e32 vcc_lo, 0, v80
	v_cndmask_b32_e32 v80, 20, v80, vcc_lo
; %bb.403:
	s_and_not1_saveexec_b32 s0, s0
	s_cbranch_execz .LBB66_409
; %bb.404:
	v_cmp_ngt_f32_e64 s1, |v74|, |v75|
	s_and_saveexec_b32 s12, s1
	s_delay_alu instid0(SALU_CYCLE_1)
	s_xor_b32 s1, exec_lo, s12
	s_cbranch_execz .LBB66_406
; %bb.405:
	v_div_scale_f32 v77, null, v75, v75, v74
	v_div_scale_f32 v85, vcc_lo, v74, v75, v74
	s_delay_alu instid0(VALU_DEP_2) | instskip(SKIP_1) | instid1(TRANS32_DEP_1)
	v_rcp_f32_e32 v83, v77
	v_nop
	v_fma_f32 v84, -v77, v83, 1.0
	s_delay_alu instid0(VALU_DEP_1) | instskip(NEXT) | instid1(VALU_DEP_1)
	v_fmac_f32_e32 v83, v84, v83
	v_mul_f32_e32 v84, v85, v83
	s_delay_alu instid0(VALU_DEP_1) | instskip(NEXT) | instid1(VALU_DEP_1)
	v_fma_f32 v86, -v77, v84, v85
	v_fmac_f32_e32 v84, v86, v83
	s_delay_alu instid0(VALU_DEP_1) | instskip(NEXT) | instid1(VALU_DEP_1)
	v_fma_f32 v77, -v77, v84, v85
	v_div_fmas_f32 v77, v77, v83, v84
	s_delay_alu instid0(VALU_DEP_1) | instskip(NEXT) | instid1(VALU_DEP_1)
	v_div_fixup_f32 v77, v77, v75, v74
	v_fmac_f32_e32 v75, v74, v77
	s_delay_alu instid0(VALU_DEP_1) | instskip(SKIP_1) | instid1(VALU_DEP_2)
	v_div_scale_f32 v74, null, v75, v75, 1.0
	v_div_scale_f32 v85, vcc_lo, 1.0, v75, 1.0
	v_rcp_f32_e32 v83, v74
	v_nop
	s_delay_alu instid0(TRANS32_DEP_1) | instskip(NEXT) | instid1(VALU_DEP_1)
	v_fma_f32 v84, -v74, v83, 1.0
	v_fmac_f32_e32 v83, v84, v83
	s_delay_alu instid0(VALU_DEP_1) | instskip(NEXT) | instid1(VALU_DEP_1)
	v_mul_f32_e32 v84, v85, v83
	v_fma_f32 v86, -v74, v84, v85
	s_delay_alu instid0(VALU_DEP_1) | instskip(NEXT) | instid1(VALU_DEP_1)
	v_fmac_f32_e32 v84, v86, v83
	v_fma_f32 v74, -v74, v84, v85
	s_delay_alu instid0(VALU_DEP_1) | instskip(NEXT) | instid1(VALU_DEP_1)
	v_div_fmas_f32 v74, v74, v83, v84
	v_div_fixup_f32 v75, v74, v75, 1.0
	s_delay_alu instid0(VALU_DEP_1)
	v_mul_f32_e32 v74, v77, v75
	v_xor_b32_e32 v75, 0x80000000, v75
.LBB66_406:
	s_and_not1_saveexec_b32 s1, s1
	s_cbranch_execz .LBB66_408
; %bb.407:
	s_delay_alu instid0(VALU_DEP_1) | instskip(SKIP_1) | instid1(VALU_DEP_2)
	v_div_scale_f32 v77, null, v74, v74, v75
	v_div_scale_f32 v85, vcc_lo, v75, v74, v75
	v_rcp_f32_e32 v83, v77
	v_nop
	s_delay_alu instid0(TRANS32_DEP_1) | instskip(NEXT) | instid1(VALU_DEP_1)
	v_fma_f32 v84, -v77, v83, 1.0
	v_fmac_f32_e32 v83, v84, v83
	s_delay_alu instid0(VALU_DEP_1) | instskip(NEXT) | instid1(VALU_DEP_1)
	v_mul_f32_e32 v84, v85, v83
	v_fma_f32 v86, -v77, v84, v85
	s_delay_alu instid0(VALU_DEP_1) | instskip(NEXT) | instid1(VALU_DEP_1)
	v_fmac_f32_e32 v84, v86, v83
	v_fma_f32 v77, -v77, v84, v85
	s_delay_alu instid0(VALU_DEP_1) | instskip(NEXT) | instid1(VALU_DEP_1)
	v_div_fmas_f32 v77, v77, v83, v84
	v_div_fixup_f32 v77, v77, v74, v75
	s_delay_alu instid0(VALU_DEP_1) | instskip(NEXT) | instid1(VALU_DEP_1)
	v_fmac_f32_e32 v74, v75, v77
	v_div_scale_f32 v75, null, v74, v74, 1.0
	s_delay_alu instid0(VALU_DEP_1) | instskip(SKIP_1) | instid1(TRANS32_DEP_1)
	v_rcp_f32_e32 v83, v75
	v_nop
	v_fma_f32 v84, -v75, v83, 1.0
	s_delay_alu instid0(VALU_DEP_1) | instskip(SKIP_1) | instid1(VALU_DEP_1)
	v_fmac_f32_e32 v83, v84, v83
	v_div_scale_f32 v84, vcc_lo, 1.0, v74, 1.0
	v_mul_f32_e32 v85, v84, v83
	s_delay_alu instid0(VALU_DEP_1) | instskip(NEXT) | instid1(VALU_DEP_1)
	v_fma_f32 v86, -v75, v85, v84
	v_fmac_f32_e32 v85, v86, v83
	s_delay_alu instid0(VALU_DEP_1) | instskip(NEXT) | instid1(VALU_DEP_1)
	v_fma_f32 v75, -v75, v85, v84
	v_div_fmas_f32 v75, v75, v83, v85
	s_delay_alu instid0(VALU_DEP_1) | instskip(NEXT) | instid1(VALU_DEP_1)
	v_div_fixup_f32 v74, v75, v74, 1.0
	v_mul_f32_e64 v75, v77, -v74
.LBB66_408:
	s_or_b32 exec_lo, exec_lo, s1
.LBB66_409:
	s_delay_alu instid0(SALU_CYCLE_1) | instskip(NEXT) | instid1(SALU_CYCLE_1)
	s_or_b32 exec_lo, exec_lo, s0
	s_mov_b32 s0, exec_lo
	v_cmpx_ne_u32_e64 v82, v76
	s_xor_b32 s0, exec_lo, s0
	s_cbranch_execz .LBB66_415
; %bb.410:
	s_mov_b32 s1, exec_lo
	v_cmpx_eq_u32_e32 19, v82
	s_cbranch_execz .LBB66_414
; %bb.411:
	v_cmp_ne_u32_e32 vcc_lo, 19, v76
	s_xor_b32 s12, s16, -1
	s_delay_alu instid0(SALU_CYCLE_1) | instskip(NEXT) | instid1(SALU_CYCLE_1)
	s_and_b32 s13, s12, vcc_lo
	s_and_saveexec_b32 s12, s13
	s_cbranch_execz .LBB66_413
; %bb.412:
	v_ashrrev_i32_e32 v77, 31, v76
	s_delay_alu instid0(VALU_DEP_1)
	v_lshl_add_u64 v[82:83], v[76:77], 2, v[4:5]
	s_clause 0x1
	global_load_b32 v77, v[82:83], off
	global_load_b32 v81, v[4:5], off offset:76
	s_wait_loadcnt 0x1
	global_store_b32 v[4:5], v77, off offset:76
	s_wait_loadcnt 0x0
	global_store_b32 v[82:83], v81, off
.LBB66_413:
	s_wait_xcnt 0x0
	s_or_b32 exec_lo, exec_lo, s12
	v_dual_mov_b32 v82, v76 :: v_dual_mov_b32 v81, v76
.LBB66_414:
	s_or_b32 exec_lo, exec_lo, s1
.LBB66_415:
	s_and_not1_saveexec_b32 s0, s0
	s_cbranch_execz .LBB66_417
; %bb.416:
	v_dual_mov_b32 v76, v60 :: v_dual_mov_b32 v77, v61
	v_dual_mov_b32 v82, v36 :: v_dual_mov_b32 v83, v37
	ds_store_2addr_b64 v78, v[76:77], v[82:83] offset0:20 offset1:21
	v_dual_mov_b32 v76, v38 :: v_dual_mov_b32 v77, v39
	v_dual_mov_b32 v82, v34 :: v_dual_mov_b32 v83, v35
	ds_store_2addr_b64 v78, v[76:77], v[82:83] offset0:22 offset1:23
	;; [unrolled: 3-line block ×6, first 2 shown]
	v_dual_mov_b32 v76, v32 :: v_dual_mov_b32 v77, v33
	v_mov_b32_e32 v82, 19
	ds_store_2addr_b64 v78, v[76:77], v[72:73] offset0:32 offset1:33
.LBB66_417:
	s_or_b32 exec_lo, exec_lo, s0
	s_delay_alu instid0(SALU_CYCLE_1)
	s_mov_b32 s0, exec_lo
	s_wait_storecnt_dscnt 0x0
	s_barrier_signal -1
	s_barrier_wait -1
	v_cmpx_lt_i32_e32 19, v82
	s_cbranch_execz .LBB66_419
; %bb.418:
	v_pk_mul_f32 v[76:77], v[74:75], v[40:41] op_sel:[1,1] op_sel_hi:[0,1]
	s_delay_alu instid0(VALU_DEP_1)
	v_pk_fma_f32 v[84:85], v[74:75], v[40:41], v[76:77] op_sel_hi:[1,0,1] neg_lo:[0,0,1] neg_hi:[0,0,1]
	v_pk_fma_f32 v[86:87], v[74:75], v[40:41], v[76:77] op_sel_hi:[1,0,1]
	ds_load_2addr_b64 v[74:77], v78 offset0:20 offset1:21
	v_dual_mov_b32 v40, v84 :: v_dual_mov_b32 v41, v87
	s_wait_dscnt 0x0
	v_pk_mul_f32 v[88:89], v[74:75], v[86:87] op_sel:[0,1]
	s_delay_alu instid0(VALU_DEP_1) | instskip(SKIP_1) | instid1(VALU_DEP_1)
	v_pk_fma_f32 v[90:91], v[74:75], v[84:85], v[88:89] op_sel:[0,0,1] op_sel_hi:[1,1,0] neg_lo:[0,0,1] neg_hi:[0,0,1]
	v_pk_fma_f32 v[74:75], v[74:75], v[84:85], v[88:89] op_sel:[0,0,1] op_sel_hi:[1,0,0]
	v_mov_b32_e32 v91, v75
	v_pk_mul_f32 v[74:75], v[76:77], v[86:87] op_sel:[0,1]
	s_delay_alu instid0(VALU_DEP_1) | instskip(SKIP_1) | instid1(VALU_DEP_1)
	v_pk_fma_f32 v[88:89], v[76:77], v[84:85], v[74:75] op_sel:[0,0,1] op_sel_hi:[1,1,0] neg_lo:[0,0,1] neg_hi:[0,0,1]
	v_pk_fma_f32 v[74:75], v[76:77], v[84:85], v[74:75] op_sel:[0,0,1] op_sel_hi:[1,0,0]
	v_mov_b32_e32 v89, v75
	ds_load_2addr_b64 v[74:77], v78 offset0:22 offset1:23
	v_pk_add_f32 v[60:61], v[60:61], v[90:91] neg_lo:[0,1] neg_hi:[0,1]
	v_pk_add_f32 v[36:37], v[36:37], v[88:89] neg_lo:[0,1] neg_hi:[0,1]
	s_wait_dscnt 0x0
	v_pk_mul_f32 v[88:89], v[74:75], v[86:87] op_sel:[0,1]
	s_delay_alu instid0(VALU_DEP_1) | instskip(SKIP_2) | instid1(VALU_DEP_2)
	v_pk_fma_f32 v[90:91], v[74:75], v[84:85], v[88:89] op_sel:[0,0,1] op_sel_hi:[1,1,0] neg_lo:[0,0,1] neg_hi:[0,0,1]
	v_pk_fma_f32 v[74:75], v[74:75], v[84:85], v[88:89] op_sel:[0,0,1] op_sel_hi:[1,0,0]
	v_dual_mul_f32 v88, v77, v87 :: v_dual_mov_b32 v74, v77
	v_dual_mov_b32 v91, v75 :: v_dual_mov_b32 v75, v76
	s_delay_alu instid0(VALU_DEP_2) | instskip(SKIP_1) | instid1(VALU_DEP_3)
	v_pk_fma_f32 v[88:89], v[76:77], v[40:41], v[88:89] op_sel_hi:[1,1,0] neg_lo:[0,0,1] neg_hi:[0,0,1]
	v_mul_f32_e32 v76, v77, v84
	v_pk_add_f32 v[38:39], v[38:39], v[90:91] neg_lo:[0,1] neg_hi:[0,1]
	s_delay_alu instid0(VALU_DEP_2) | instskip(NEXT) | instid1(VALU_DEP_1)
	v_pk_fma_f32 v[74:75], v[74:75], v[40:41], v[76:77] op_sel_hi:[1,1,0]
	v_mov_b32_e32 v89, v75
	ds_load_2addr_b64 v[74:77], v78 offset0:24 offset1:25
	v_pk_add_f32 v[34:35], v[34:35], v[88:89] neg_lo:[0,1] neg_hi:[0,1]
	s_wait_dscnt 0x0
	v_pk_mul_f32 v[88:89], v[74:75], v[86:87] op_sel:[0,1]
	s_delay_alu instid0(VALU_DEP_1) | instskip(SKIP_1) | instid1(VALU_DEP_1)
	v_pk_fma_f32 v[90:91], v[74:75], v[84:85], v[88:89] op_sel:[0,0,1] op_sel_hi:[1,1,0] neg_lo:[0,0,1] neg_hi:[0,0,1]
	v_pk_fma_f32 v[74:75], v[74:75], v[84:85], v[88:89] op_sel:[0,0,1] op_sel_hi:[1,0,0]
	v_mov_b32_e32 v91, v75
	v_pk_mul_f32 v[74:75], v[76:77], v[86:87] op_sel:[0,1]
	s_delay_alu instid0(VALU_DEP_1) | instskip(SKIP_1) | instid1(VALU_DEP_1)
	v_pk_fma_f32 v[88:89], v[76:77], v[84:85], v[74:75] op_sel:[0,0,1] op_sel_hi:[1,1,0] neg_lo:[0,0,1] neg_hi:[0,0,1]
	v_pk_fma_f32 v[74:75], v[76:77], v[84:85], v[74:75] op_sel:[0,0,1] op_sel_hi:[1,0,0]
	v_mov_b32_e32 v89, v75
	ds_load_2addr_b64 v[74:77], v78 offset0:26 offset1:27
	v_pk_add_f32 v[56:57], v[56:57], v[90:91] neg_lo:[0,1] neg_hi:[0,1]
	v_pk_add_f32 v[22:23], v[22:23], v[88:89] neg_lo:[0,1] neg_hi:[0,1]
	s_wait_dscnt 0x0
	v_pk_mul_f32 v[88:89], v[74:75], v[86:87] op_sel:[0,1]
	s_delay_alu instid0(VALU_DEP_1) | instskip(SKIP_1) | instid1(VALU_DEP_1)
	v_pk_fma_f32 v[90:91], v[74:75], v[84:85], v[88:89] op_sel:[0,0,1] op_sel_hi:[1,1,0] neg_lo:[0,0,1] neg_hi:[0,0,1]
	v_pk_fma_f32 v[74:75], v[74:75], v[84:85], v[88:89] op_sel:[0,0,1] op_sel_hi:[1,0,0]
	v_mov_b32_e32 v91, v75
	v_pk_mul_f32 v[74:75], v[76:77], v[86:87] op_sel:[0,1]
	s_delay_alu instid0(VALU_DEP_1) | instskip(SKIP_1) | instid1(VALU_DEP_1)
	v_pk_fma_f32 v[88:89], v[76:77], v[84:85], v[74:75] op_sel:[0,0,1] op_sel_hi:[1,1,0] neg_lo:[0,0,1] neg_hi:[0,0,1]
	v_pk_fma_f32 v[74:75], v[76:77], v[84:85], v[74:75] op_sel:[0,0,1] op_sel_hi:[1,0,0]
	v_mov_b32_e32 v89, v75
	ds_load_2addr_b64 v[74:77], v78 offset0:28 offset1:29
	v_pk_add_f32 v[28:29], v[28:29], v[90:91] neg_lo:[0,1] neg_hi:[0,1]
	v_pk_add_f32 v[20:21], v[20:21], v[88:89] neg_lo:[0,1] neg_hi:[0,1]
	s_wait_dscnt 0x0
	v_dual_mul_f32 v88, v75, v87 :: v_dual_mul_f32 v90, v75, v84
	s_delay_alu instid0(VALU_DEP_1) | instskip(NEXT) | instid1(VALU_DEP_2)
	v_pk_fma_f32 v[88:89], v[74:75], v[40:41], v[88:89] op_sel_hi:[1,1,0] neg_lo:[0,0,1] neg_hi:[0,0,1]
	v_pk_fma_f32 v[74:75], v[74:75], v[40:41], v[90:91] op_sel:[1,0,0] op_sel_hi:[0,1,0]
	s_delay_alu instid0(VALU_DEP_1) | instskip(SKIP_1) | instid1(VALU_DEP_2)
	v_mov_b32_e32 v89, v75
	v_pk_mul_f32 v[74:75], v[76:77], v[86:87] op_sel:[0,1]
	v_pk_add_f32 v[50:51], v[50:51], v[88:89] neg_lo:[0,1] neg_hi:[0,1]
	s_delay_alu instid0(VALU_DEP_2) | instskip(SKIP_1) | instid1(VALU_DEP_1)
	v_pk_fma_f32 v[88:89], v[76:77], v[84:85], v[74:75] op_sel:[0,0,1] op_sel_hi:[1,1,0] neg_lo:[0,0,1] neg_hi:[0,0,1]
	v_pk_fma_f32 v[74:75], v[76:77], v[84:85], v[74:75] op_sel:[0,0,1] op_sel_hi:[1,0,0]
	v_mov_b32_e32 v89, v75
	ds_load_2addr_b64 v[74:77], v78 offset0:30 offset1:31
	v_pk_add_f32 v[12:13], v[12:13], v[88:89] neg_lo:[0,1] neg_hi:[0,1]
	s_wait_dscnt 0x0
	v_pk_mul_f32 v[88:89], v[74:75], v[86:87] op_sel:[0,1]
	s_delay_alu instid0(VALU_DEP_1) | instskip(SKIP_1) | instid1(VALU_DEP_1)
	v_pk_fma_f32 v[90:91], v[74:75], v[84:85], v[88:89] op_sel:[0,0,1] op_sel_hi:[1,1,0] neg_lo:[0,0,1] neg_hi:[0,0,1]
	v_pk_fma_f32 v[74:75], v[74:75], v[84:85], v[88:89] op_sel:[0,0,1] op_sel_hi:[1,0,0]
	v_mov_b32_e32 v91, v75
	v_pk_mul_f32 v[74:75], v[76:77], v[86:87] op_sel:[0,1]
	s_delay_alu instid0(VALU_DEP_2) | instskip(NEXT) | instid1(VALU_DEP_2)
	v_pk_add_f32 v[48:49], v[48:49], v[90:91] neg_lo:[0,1] neg_hi:[0,1]
	v_pk_fma_f32 v[88:89], v[76:77], v[84:85], v[74:75] op_sel:[0,0,1] op_sel_hi:[1,1,0] neg_lo:[0,0,1] neg_hi:[0,0,1]
	v_pk_fma_f32 v[74:75], v[76:77], v[84:85], v[74:75] op_sel:[0,0,1] op_sel_hi:[1,0,0]
	s_delay_alu instid0(VALU_DEP_1) | instskip(SKIP_4) | instid1(VALU_DEP_1)
	v_mov_b32_e32 v89, v75
	ds_load_2addr_b64 v[74:77], v78 offset0:32 offset1:33
	v_pk_add_f32 v[46:47], v[46:47], v[88:89] neg_lo:[0,1] neg_hi:[0,1]
	s_wait_dscnt 0x0
	v_pk_mul_f32 v[88:89], v[74:75], v[86:87] op_sel:[0,1]
	v_pk_fma_f32 v[90:91], v[74:75], v[84:85], v[88:89] op_sel:[0,0,1] op_sel_hi:[1,1,0] neg_lo:[0,0,1] neg_hi:[0,0,1]
	v_pk_fma_f32 v[74:75], v[74:75], v[84:85], v[88:89] op_sel:[0,0,1] op_sel_hi:[1,0,0]
	s_delay_alu instid0(VALU_DEP_1) | instskip(SKIP_1) | instid1(VALU_DEP_2)
	v_mov_b32_e32 v91, v75
	v_pk_mul_f32 v[74:75], v[76:77], v[86:87] op_sel:[0,1]
	v_pk_add_f32 v[32:33], v[32:33], v[90:91] neg_lo:[0,1] neg_hi:[0,1]
	s_delay_alu instid0(VALU_DEP_2) | instskip(SKIP_1) | instid1(VALU_DEP_1)
	v_pk_fma_f32 v[86:87], v[76:77], v[84:85], v[74:75] op_sel:[0,0,1] op_sel_hi:[1,1,0] neg_lo:[0,0,1] neg_hi:[0,0,1]
	v_pk_fma_f32 v[74:75], v[76:77], v[84:85], v[74:75] op_sel:[0,0,1] op_sel_hi:[1,0,0]
	v_mov_b32_e32 v87, v75
	s_delay_alu instid0(VALU_DEP_1)
	v_pk_add_f32 v[72:73], v[72:73], v[86:87] neg_lo:[0,1] neg_hi:[0,1]
.LBB66_419:
	s_or_b32 exec_lo, exec_lo, s0
	v_lshl_add_u32 v74, v82, 3, v78
	s_barrier_signal -1
	s_barrier_wait -1
	ds_store_b64 v74, v[60:61]
	s_wait_dscnt 0x0
	s_barrier_signal -1
	s_barrier_wait -1
	ds_load_b64 v[74:75], v78 offset:160
	v_mov_b32_e32 v76, 20
	s_cmp_lt_i32 s18, 22
	s_cbranch_scc1 .LBB66_422
; %bb.420:
	v_add3_u32 v77, v79, 0, 0xa8
	v_mov_b32_e32 v76, 20
	s_mov_b32 s0, 21
.LBB66_421:                             ; =>This Inner Loop Header: Depth=1
	ds_load_b64 v[84:85], v77
	s_wait_dscnt 0x1
	v_cmp_gt_f32_e32 vcc_lo, 0, v74
	v_cndmask_b32_e64 v86, v74, -v74, vcc_lo
	v_cmp_gt_f32_e32 vcc_lo, 0, v75
	v_cndmask_b32_e64 v88, v75, -v75, vcc_lo
	s_wait_dscnt 0x0
	v_cmp_gt_f32_e32 vcc_lo, 0, v84
	v_cndmask_b32_e64 v87, v84, -v84, vcc_lo
	v_cmp_gt_f32_e32 vcc_lo, 0, v85
	v_cndmask_b32_e64 v89, v85, -v85, vcc_lo
	s_delay_alu instid0(VALU_DEP_1) | instskip(NEXT) | instid1(VALU_DEP_1)
	v_pk_add_f32 v[86:87], v[86:87], v[88:89]
	v_cmp_lt_f32_e32 vcc_lo, v86, v87
	v_dual_cndmask_b32 v74, v74, v84 :: v_dual_add_nc_u32 v77, 8, v77
	v_cndmask_b32_e32 v75, v75, v85, vcc_lo
	v_cndmask_b32_e64 v76, v76, s0, vcc_lo
	s_add_co_i32 s0, s0, 1
	s_delay_alu instid0(SALU_CYCLE_1)
	s_cmp_lg_u32 s18, s0
	s_cbranch_scc1 .LBB66_421
.LBB66_422:
	s_wait_dscnt 0x0
	v_cmp_eq_f32_e32 vcc_lo, 0, v74
	v_cmp_eq_f32_e64 s0, 0, v75
	s_and_b32 s0, vcc_lo, s0
	s_delay_alu instid0(SALU_CYCLE_1) | instskip(NEXT) | instid1(SALU_CYCLE_1)
	s_and_saveexec_b32 s1, s0
	s_xor_b32 s0, exec_lo, s1
; %bb.423:
	v_cmp_ne_u32_e32 vcc_lo, 0, v80
	v_cndmask_b32_e32 v80, 21, v80, vcc_lo
; %bb.424:
	s_and_not1_saveexec_b32 s0, s0
	s_cbranch_execz .LBB66_430
; %bb.425:
	v_cmp_ngt_f32_e64 s1, |v74|, |v75|
	s_and_saveexec_b32 s12, s1
	s_delay_alu instid0(SALU_CYCLE_1)
	s_xor_b32 s1, exec_lo, s12
	s_cbranch_execz .LBB66_427
; %bb.426:
	v_div_scale_f32 v77, null, v75, v75, v74
	v_div_scale_f32 v85, vcc_lo, v74, v75, v74
	s_delay_alu instid0(VALU_DEP_2) | instskip(SKIP_1) | instid1(TRANS32_DEP_1)
	v_rcp_f32_e32 v83, v77
	v_nop
	v_fma_f32 v84, -v77, v83, 1.0
	s_delay_alu instid0(VALU_DEP_1) | instskip(NEXT) | instid1(VALU_DEP_1)
	v_fmac_f32_e32 v83, v84, v83
	v_mul_f32_e32 v84, v85, v83
	s_delay_alu instid0(VALU_DEP_1) | instskip(NEXT) | instid1(VALU_DEP_1)
	v_fma_f32 v86, -v77, v84, v85
	v_fmac_f32_e32 v84, v86, v83
	s_delay_alu instid0(VALU_DEP_1) | instskip(NEXT) | instid1(VALU_DEP_1)
	v_fma_f32 v77, -v77, v84, v85
	v_div_fmas_f32 v77, v77, v83, v84
	s_delay_alu instid0(VALU_DEP_1) | instskip(NEXT) | instid1(VALU_DEP_1)
	v_div_fixup_f32 v77, v77, v75, v74
	v_fmac_f32_e32 v75, v74, v77
	s_delay_alu instid0(VALU_DEP_1) | instskip(SKIP_1) | instid1(VALU_DEP_2)
	v_div_scale_f32 v74, null, v75, v75, 1.0
	v_div_scale_f32 v85, vcc_lo, 1.0, v75, 1.0
	v_rcp_f32_e32 v83, v74
	v_nop
	s_delay_alu instid0(TRANS32_DEP_1) | instskip(NEXT) | instid1(VALU_DEP_1)
	v_fma_f32 v84, -v74, v83, 1.0
	v_fmac_f32_e32 v83, v84, v83
	s_delay_alu instid0(VALU_DEP_1) | instskip(NEXT) | instid1(VALU_DEP_1)
	v_mul_f32_e32 v84, v85, v83
	v_fma_f32 v86, -v74, v84, v85
	s_delay_alu instid0(VALU_DEP_1) | instskip(NEXT) | instid1(VALU_DEP_1)
	v_fmac_f32_e32 v84, v86, v83
	v_fma_f32 v74, -v74, v84, v85
	s_delay_alu instid0(VALU_DEP_1) | instskip(NEXT) | instid1(VALU_DEP_1)
	v_div_fmas_f32 v74, v74, v83, v84
	v_div_fixup_f32 v75, v74, v75, 1.0
	s_delay_alu instid0(VALU_DEP_1)
	v_mul_f32_e32 v74, v77, v75
	v_xor_b32_e32 v75, 0x80000000, v75
.LBB66_427:
	s_and_not1_saveexec_b32 s1, s1
	s_cbranch_execz .LBB66_429
; %bb.428:
	s_delay_alu instid0(VALU_DEP_1) | instskip(SKIP_1) | instid1(VALU_DEP_2)
	v_div_scale_f32 v77, null, v74, v74, v75
	v_div_scale_f32 v85, vcc_lo, v75, v74, v75
	v_rcp_f32_e32 v83, v77
	v_nop
	s_delay_alu instid0(TRANS32_DEP_1) | instskip(NEXT) | instid1(VALU_DEP_1)
	v_fma_f32 v84, -v77, v83, 1.0
	v_fmac_f32_e32 v83, v84, v83
	s_delay_alu instid0(VALU_DEP_1) | instskip(NEXT) | instid1(VALU_DEP_1)
	v_mul_f32_e32 v84, v85, v83
	v_fma_f32 v86, -v77, v84, v85
	s_delay_alu instid0(VALU_DEP_1) | instskip(NEXT) | instid1(VALU_DEP_1)
	v_fmac_f32_e32 v84, v86, v83
	v_fma_f32 v77, -v77, v84, v85
	s_delay_alu instid0(VALU_DEP_1) | instskip(NEXT) | instid1(VALU_DEP_1)
	v_div_fmas_f32 v77, v77, v83, v84
	v_div_fixup_f32 v77, v77, v74, v75
	s_delay_alu instid0(VALU_DEP_1) | instskip(NEXT) | instid1(VALU_DEP_1)
	v_fmac_f32_e32 v74, v75, v77
	v_div_scale_f32 v75, null, v74, v74, 1.0
	s_delay_alu instid0(VALU_DEP_1) | instskip(SKIP_1) | instid1(TRANS32_DEP_1)
	v_rcp_f32_e32 v83, v75
	v_nop
	v_fma_f32 v84, -v75, v83, 1.0
	s_delay_alu instid0(VALU_DEP_1) | instskip(SKIP_1) | instid1(VALU_DEP_1)
	v_fmac_f32_e32 v83, v84, v83
	v_div_scale_f32 v84, vcc_lo, 1.0, v74, 1.0
	v_mul_f32_e32 v85, v84, v83
	s_delay_alu instid0(VALU_DEP_1) | instskip(NEXT) | instid1(VALU_DEP_1)
	v_fma_f32 v86, -v75, v85, v84
	v_fmac_f32_e32 v85, v86, v83
	s_delay_alu instid0(VALU_DEP_1) | instskip(NEXT) | instid1(VALU_DEP_1)
	v_fma_f32 v75, -v75, v85, v84
	v_div_fmas_f32 v75, v75, v83, v85
	s_delay_alu instid0(VALU_DEP_1) | instskip(NEXT) | instid1(VALU_DEP_1)
	v_div_fixup_f32 v74, v75, v74, 1.0
	v_mul_f32_e64 v75, v77, -v74
.LBB66_429:
	s_or_b32 exec_lo, exec_lo, s1
.LBB66_430:
	s_delay_alu instid0(SALU_CYCLE_1) | instskip(NEXT) | instid1(SALU_CYCLE_1)
	s_or_b32 exec_lo, exec_lo, s0
	s_mov_b32 s0, exec_lo
	v_cmpx_ne_u32_e64 v82, v76
	s_xor_b32 s0, exec_lo, s0
	s_cbranch_execz .LBB66_436
; %bb.431:
	s_mov_b32 s1, exec_lo
	v_cmpx_eq_u32_e32 20, v82
	s_cbranch_execz .LBB66_435
; %bb.432:
	v_cmp_ne_u32_e32 vcc_lo, 20, v76
	s_xor_b32 s12, s16, -1
	s_delay_alu instid0(SALU_CYCLE_1) | instskip(NEXT) | instid1(SALU_CYCLE_1)
	s_and_b32 s13, s12, vcc_lo
	s_and_saveexec_b32 s12, s13
	s_cbranch_execz .LBB66_434
; %bb.433:
	v_ashrrev_i32_e32 v77, 31, v76
	s_delay_alu instid0(VALU_DEP_1)
	v_lshl_add_u64 v[82:83], v[76:77], 2, v[4:5]
	s_clause 0x1
	global_load_b32 v77, v[82:83], off
	global_load_b32 v81, v[4:5], off offset:80
	s_wait_loadcnt 0x1
	global_store_b32 v[4:5], v77, off offset:80
	s_wait_loadcnt 0x0
	global_store_b32 v[82:83], v81, off
.LBB66_434:
	s_wait_xcnt 0x0
	s_or_b32 exec_lo, exec_lo, s12
	v_dual_mov_b32 v82, v76 :: v_dual_mov_b32 v81, v76
.LBB66_435:
	s_or_b32 exec_lo, exec_lo, s1
.LBB66_436:
	s_and_not1_saveexec_b32 s0, s0
	s_cbranch_execz .LBB66_438
; %bb.437:
	v_mov_b32_e32 v82, 20
	ds_store_2addr_b64 v78, v[36:37], v[38:39] offset0:21 offset1:22
	ds_store_2addr_b64 v78, v[34:35], v[56:57] offset0:23 offset1:24
	;; [unrolled: 1-line block ×6, first 2 shown]
	ds_store_b64 v78, v[72:73] offset:264
.LBB66_438:
	s_or_b32 exec_lo, exec_lo, s0
	s_delay_alu instid0(SALU_CYCLE_1)
	s_mov_b32 s0, exec_lo
	s_wait_storecnt_dscnt 0x0
	s_barrier_signal -1
	s_barrier_wait -1
	v_cmpx_lt_i32_e32 20, v82
	s_cbranch_execz .LBB66_440
; %bb.439:
	v_pk_mul_f32 v[76:77], v[74:75], v[60:61] op_sel:[1,1] op_sel_hi:[0,1]
	s_delay_alu instid0(VALU_DEP_1)
	v_pk_fma_f32 v[84:85], v[74:75], v[60:61], v[76:77] op_sel_hi:[1,0,1] neg_lo:[0,0,1] neg_hi:[0,0,1]
	v_pk_fma_f32 v[86:87], v[74:75], v[60:61], v[76:77] op_sel_hi:[1,0,1]
	ds_load_2addr_b64 v[74:77], v78 offset0:21 offset1:22
	v_dual_mov_b32 v60, v84 :: v_dual_mov_b32 v61, v87
	s_wait_dscnt 0x0
	v_pk_mul_f32 v[88:89], v[74:75], v[86:87] op_sel:[0,1]
	s_delay_alu instid0(VALU_DEP_1) | instskip(SKIP_1) | instid1(VALU_DEP_1)
	v_pk_fma_f32 v[90:91], v[74:75], v[84:85], v[88:89] op_sel:[0,0,1] op_sel_hi:[1,1,0] neg_lo:[0,0,1] neg_hi:[0,0,1]
	v_pk_fma_f32 v[74:75], v[74:75], v[84:85], v[88:89] op_sel:[0,0,1] op_sel_hi:[1,0,0]
	v_mov_b32_e32 v91, v75
	v_pk_mul_f32 v[74:75], v[76:77], v[86:87] op_sel:[0,1]
	s_delay_alu instid0(VALU_DEP_1) | instskip(SKIP_1) | instid1(VALU_DEP_1)
	v_pk_fma_f32 v[88:89], v[76:77], v[84:85], v[74:75] op_sel:[0,0,1] op_sel_hi:[1,1,0] neg_lo:[0,0,1] neg_hi:[0,0,1]
	v_pk_fma_f32 v[74:75], v[76:77], v[84:85], v[74:75] op_sel:[0,0,1] op_sel_hi:[1,0,0]
	v_mov_b32_e32 v89, v75
	ds_load_2addr_b64 v[74:77], v78 offset0:23 offset1:24
	v_pk_add_f32 v[36:37], v[36:37], v[90:91] neg_lo:[0,1] neg_hi:[0,1]
	v_pk_add_f32 v[38:39], v[38:39], v[88:89] neg_lo:[0,1] neg_hi:[0,1]
	s_wait_dscnt 0x0
	v_pk_mul_f32 v[88:89], v[74:75], v[86:87] op_sel:[0,1]
	s_delay_alu instid0(VALU_DEP_1) | instskip(SKIP_2) | instid1(VALU_DEP_2)
	v_pk_fma_f32 v[90:91], v[74:75], v[84:85], v[88:89] op_sel:[0,0,1] op_sel_hi:[1,1,0] neg_lo:[0,0,1] neg_hi:[0,0,1]
	v_pk_fma_f32 v[74:75], v[74:75], v[84:85], v[88:89] op_sel:[0,0,1] op_sel_hi:[1,0,0]
	v_dual_mul_f32 v88, v77, v87 :: v_dual_mov_b32 v74, v77
	v_dual_mov_b32 v91, v75 :: v_dual_mov_b32 v75, v76
	s_delay_alu instid0(VALU_DEP_2) | instskip(SKIP_1) | instid1(VALU_DEP_3)
	v_pk_fma_f32 v[88:89], v[76:77], v[60:61], v[88:89] op_sel_hi:[1,1,0] neg_lo:[0,0,1] neg_hi:[0,0,1]
	v_mul_f32_e32 v76, v77, v84
	v_pk_add_f32 v[34:35], v[34:35], v[90:91] neg_lo:[0,1] neg_hi:[0,1]
	s_delay_alu instid0(VALU_DEP_2) | instskip(NEXT) | instid1(VALU_DEP_1)
	v_pk_fma_f32 v[74:75], v[74:75], v[60:61], v[76:77] op_sel_hi:[1,1,0]
	v_mov_b32_e32 v89, v75
	ds_load_2addr_b64 v[74:77], v78 offset0:25 offset1:26
	v_pk_add_f32 v[56:57], v[56:57], v[88:89] neg_lo:[0,1] neg_hi:[0,1]
	s_wait_dscnt 0x0
	v_pk_mul_f32 v[88:89], v[74:75], v[86:87] op_sel:[0,1]
	s_delay_alu instid0(VALU_DEP_1) | instskip(SKIP_1) | instid1(VALU_DEP_1)
	v_pk_fma_f32 v[90:91], v[74:75], v[84:85], v[88:89] op_sel:[0,0,1] op_sel_hi:[1,1,0] neg_lo:[0,0,1] neg_hi:[0,0,1]
	v_pk_fma_f32 v[74:75], v[74:75], v[84:85], v[88:89] op_sel:[0,0,1] op_sel_hi:[1,0,0]
	v_mov_b32_e32 v91, v75
	v_pk_mul_f32 v[74:75], v[76:77], v[86:87] op_sel:[0,1]
	s_delay_alu instid0(VALU_DEP_1) | instskip(SKIP_1) | instid1(VALU_DEP_1)
	v_pk_fma_f32 v[88:89], v[76:77], v[84:85], v[74:75] op_sel:[0,0,1] op_sel_hi:[1,1,0] neg_lo:[0,0,1] neg_hi:[0,0,1]
	v_pk_fma_f32 v[74:75], v[76:77], v[84:85], v[74:75] op_sel:[0,0,1] op_sel_hi:[1,0,0]
	v_mov_b32_e32 v89, v75
	ds_load_2addr_b64 v[74:77], v78 offset0:27 offset1:28
	v_pk_add_f32 v[22:23], v[22:23], v[90:91] neg_lo:[0,1] neg_hi:[0,1]
	v_pk_add_f32 v[28:29], v[28:29], v[88:89] neg_lo:[0,1] neg_hi:[0,1]
	s_wait_dscnt 0x0
	v_pk_mul_f32 v[88:89], v[74:75], v[86:87] op_sel:[0,1]
	s_delay_alu instid0(VALU_DEP_1) | instskip(SKIP_1) | instid1(VALU_DEP_1)
	v_pk_fma_f32 v[90:91], v[74:75], v[84:85], v[88:89] op_sel:[0,0,1] op_sel_hi:[1,1,0] neg_lo:[0,0,1] neg_hi:[0,0,1]
	v_pk_fma_f32 v[74:75], v[74:75], v[84:85], v[88:89] op_sel:[0,0,1] op_sel_hi:[1,0,0]
	v_mov_b32_e32 v91, v75
	v_pk_mul_f32 v[74:75], v[76:77], v[86:87] op_sel:[0,1]
	s_delay_alu instid0(VALU_DEP_1) | instskip(SKIP_1) | instid1(VALU_DEP_1)
	v_pk_fma_f32 v[88:89], v[76:77], v[84:85], v[74:75] op_sel:[0,0,1] op_sel_hi:[1,1,0] neg_lo:[0,0,1] neg_hi:[0,0,1]
	v_pk_fma_f32 v[74:75], v[76:77], v[84:85], v[74:75] op_sel:[0,0,1] op_sel_hi:[1,0,0]
	v_mov_b32_e32 v89, v75
	ds_load_2addr_b64 v[74:77], v78 offset0:29 offset1:30
	v_pk_add_f32 v[20:21], v[20:21], v[90:91] neg_lo:[0,1] neg_hi:[0,1]
	v_pk_add_f32 v[50:51], v[50:51], v[88:89] neg_lo:[0,1] neg_hi:[0,1]
	s_wait_dscnt 0x0
	v_dual_mul_f32 v88, v75, v87 :: v_dual_mul_f32 v90, v75, v84
	s_delay_alu instid0(VALU_DEP_1) | instskip(NEXT) | instid1(VALU_DEP_2)
	v_pk_fma_f32 v[88:89], v[74:75], v[60:61], v[88:89] op_sel_hi:[1,1,0] neg_lo:[0,0,1] neg_hi:[0,0,1]
	v_pk_fma_f32 v[74:75], v[74:75], v[60:61], v[90:91] op_sel:[1,0,0] op_sel_hi:[0,1,0]
	s_delay_alu instid0(VALU_DEP_1) | instskip(SKIP_1) | instid1(VALU_DEP_2)
	v_mov_b32_e32 v89, v75
	v_pk_mul_f32 v[74:75], v[76:77], v[86:87] op_sel:[0,1]
	v_pk_add_f32 v[12:13], v[12:13], v[88:89] neg_lo:[0,1] neg_hi:[0,1]
	s_delay_alu instid0(VALU_DEP_2) | instskip(SKIP_1) | instid1(VALU_DEP_1)
	v_pk_fma_f32 v[88:89], v[76:77], v[84:85], v[74:75] op_sel:[0,0,1] op_sel_hi:[1,1,0] neg_lo:[0,0,1] neg_hi:[0,0,1]
	v_pk_fma_f32 v[74:75], v[76:77], v[84:85], v[74:75] op_sel:[0,0,1] op_sel_hi:[1,0,0]
	v_mov_b32_e32 v89, v75
	ds_load_2addr_b64 v[74:77], v78 offset0:31 offset1:32
	v_pk_add_f32 v[48:49], v[48:49], v[88:89] neg_lo:[0,1] neg_hi:[0,1]
	s_wait_dscnt 0x0
	v_pk_mul_f32 v[88:89], v[74:75], v[86:87] op_sel:[0,1]
	s_delay_alu instid0(VALU_DEP_1) | instskip(SKIP_1) | instid1(VALU_DEP_1)
	v_pk_fma_f32 v[90:91], v[74:75], v[84:85], v[88:89] op_sel:[0,0,1] op_sel_hi:[1,1,0] neg_lo:[0,0,1] neg_hi:[0,0,1]
	v_pk_fma_f32 v[74:75], v[74:75], v[84:85], v[88:89] op_sel:[0,0,1] op_sel_hi:[1,0,0]
	v_mov_b32_e32 v91, v75
	v_pk_mul_f32 v[74:75], v[76:77], v[86:87] op_sel:[0,1]
	s_delay_alu instid0(VALU_DEP_2) | instskip(NEXT) | instid1(VALU_DEP_2)
	v_pk_add_f32 v[46:47], v[46:47], v[90:91] neg_lo:[0,1] neg_hi:[0,1]
	v_pk_fma_f32 v[88:89], v[76:77], v[84:85], v[74:75] op_sel:[0,0,1] op_sel_hi:[1,1,0] neg_lo:[0,0,1] neg_hi:[0,0,1]
	v_pk_fma_f32 v[74:75], v[76:77], v[84:85], v[74:75] op_sel:[0,0,1] op_sel_hi:[1,0,0]
	s_delay_alu instid0(VALU_DEP_1) | instskip(SKIP_4) | instid1(VALU_DEP_1)
	v_mov_b32_e32 v89, v75
	ds_load_b64 v[74:75], v78 offset:264
	v_pk_add_f32 v[32:33], v[32:33], v[88:89] neg_lo:[0,1] neg_hi:[0,1]
	s_wait_dscnt 0x0
	v_pk_mul_f32 v[76:77], v[74:75], v[86:87] op_sel:[0,1]
	v_pk_fma_f32 v[86:87], v[74:75], v[84:85], v[76:77] op_sel:[0,0,1] op_sel_hi:[1,1,0] neg_lo:[0,0,1] neg_hi:[0,0,1]
	v_pk_fma_f32 v[74:75], v[74:75], v[84:85], v[76:77] op_sel:[0,0,1] op_sel_hi:[1,0,0]
	s_delay_alu instid0(VALU_DEP_1) | instskip(NEXT) | instid1(VALU_DEP_1)
	v_mov_b32_e32 v87, v75
	v_pk_add_f32 v[72:73], v[72:73], v[86:87] neg_lo:[0,1] neg_hi:[0,1]
.LBB66_440:
	s_or_b32 exec_lo, exec_lo, s0
	v_lshl_add_u32 v74, v82, 3, v78
	s_barrier_signal -1
	s_barrier_wait -1
	ds_store_b64 v74, v[36:37]
	s_wait_dscnt 0x0
	s_barrier_signal -1
	s_barrier_wait -1
	ds_load_b64 v[74:75], v78 offset:168
	v_mov_b32_e32 v76, 21
	s_cmp_lt_i32 s18, 23
	s_cbranch_scc1 .LBB66_443
; %bb.441:
	v_add3_u32 v77, v79, 0, 0xb0
	v_mov_b32_e32 v76, 21
	s_mov_b32 s0, 22
.LBB66_442:                             ; =>This Inner Loop Header: Depth=1
	ds_load_b64 v[84:85], v77
	s_wait_dscnt 0x1
	v_cmp_gt_f32_e32 vcc_lo, 0, v74
	v_cndmask_b32_e64 v86, v74, -v74, vcc_lo
	v_cmp_gt_f32_e32 vcc_lo, 0, v75
	v_cndmask_b32_e64 v88, v75, -v75, vcc_lo
	s_wait_dscnt 0x0
	v_cmp_gt_f32_e32 vcc_lo, 0, v84
	v_cndmask_b32_e64 v87, v84, -v84, vcc_lo
	v_cmp_gt_f32_e32 vcc_lo, 0, v85
	v_cndmask_b32_e64 v89, v85, -v85, vcc_lo
	s_delay_alu instid0(VALU_DEP_1) | instskip(NEXT) | instid1(VALU_DEP_1)
	v_pk_add_f32 v[86:87], v[86:87], v[88:89]
	v_cmp_lt_f32_e32 vcc_lo, v86, v87
	v_dual_cndmask_b32 v74, v74, v84 :: v_dual_add_nc_u32 v77, 8, v77
	v_cndmask_b32_e32 v75, v75, v85, vcc_lo
	v_cndmask_b32_e64 v76, v76, s0, vcc_lo
	s_add_co_i32 s0, s0, 1
	s_delay_alu instid0(SALU_CYCLE_1)
	s_cmp_lg_u32 s18, s0
	s_cbranch_scc1 .LBB66_442
.LBB66_443:
	s_wait_dscnt 0x0
	v_cmp_eq_f32_e32 vcc_lo, 0, v74
	v_cmp_eq_f32_e64 s0, 0, v75
	s_and_b32 s0, vcc_lo, s0
	s_delay_alu instid0(SALU_CYCLE_1) | instskip(NEXT) | instid1(SALU_CYCLE_1)
	s_and_saveexec_b32 s1, s0
	s_xor_b32 s0, exec_lo, s1
; %bb.444:
	v_cmp_ne_u32_e32 vcc_lo, 0, v80
	v_cndmask_b32_e32 v80, 22, v80, vcc_lo
; %bb.445:
	s_and_not1_saveexec_b32 s0, s0
	s_cbranch_execz .LBB66_451
; %bb.446:
	v_cmp_ngt_f32_e64 s1, |v74|, |v75|
	s_and_saveexec_b32 s12, s1
	s_delay_alu instid0(SALU_CYCLE_1)
	s_xor_b32 s1, exec_lo, s12
	s_cbranch_execz .LBB66_448
; %bb.447:
	v_div_scale_f32 v77, null, v75, v75, v74
	v_div_scale_f32 v85, vcc_lo, v74, v75, v74
	s_delay_alu instid0(VALU_DEP_2) | instskip(SKIP_1) | instid1(TRANS32_DEP_1)
	v_rcp_f32_e32 v83, v77
	v_nop
	v_fma_f32 v84, -v77, v83, 1.0
	s_delay_alu instid0(VALU_DEP_1) | instskip(NEXT) | instid1(VALU_DEP_1)
	v_fmac_f32_e32 v83, v84, v83
	v_mul_f32_e32 v84, v85, v83
	s_delay_alu instid0(VALU_DEP_1) | instskip(NEXT) | instid1(VALU_DEP_1)
	v_fma_f32 v86, -v77, v84, v85
	v_fmac_f32_e32 v84, v86, v83
	s_delay_alu instid0(VALU_DEP_1) | instskip(NEXT) | instid1(VALU_DEP_1)
	v_fma_f32 v77, -v77, v84, v85
	v_div_fmas_f32 v77, v77, v83, v84
	s_delay_alu instid0(VALU_DEP_1) | instskip(NEXT) | instid1(VALU_DEP_1)
	v_div_fixup_f32 v77, v77, v75, v74
	v_fmac_f32_e32 v75, v74, v77
	s_delay_alu instid0(VALU_DEP_1) | instskip(SKIP_1) | instid1(VALU_DEP_2)
	v_div_scale_f32 v74, null, v75, v75, 1.0
	v_div_scale_f32 v85, vcc_lo, 1.0, v75, 1.0
	v_rcp_f32_e32 v83, v74
	v_nop
	s_delay_alu instid0(TRANS32_DEP_1) | instskip(NEXT) | instid1(VALU_DEP_1)
	v_fma_f32 v84, -v74, v83, 1.0
	v_fmac_f32_e32 v83, v84, v83
	s_delay_alu instid0(VALU_DEP_1) | instskip(NEXT) | instid1(VALU_DEP_1)
	v_mul_f32_e32 v84, v85, v83
	v_fma_f32 v86, -v74, v84, v85
	s_delay_alu instid0(VALU_DEP_1) | instskip(NEXT) | instid1(VALU_DEP_1)
	v_fmac_f32_e32 v84, v86, v83
	v_fma_f32 v74, -v74, v84, v85
	s_delay_alu instid0(VALU_DEP_1) | instskip(NEXT) | instid1(VALU_DEP_1)
	v_div_fmas_f32 v74, v74, v83, v84
	v_div_fixup_f32 v75, v74, v75, 1.0
	s_delay_alu instid0(VALU_DEP_1)
	v_mul_f32_e32 v74, v77, v75
	v_xor_b32_e32 v75, 0x80000000, v75
.LBB66_448:
	s_and_not1_saveexec_b32 s1, s1
	s_cbranch_execz .LBB66_450
; %bb.449:
	s_delay_alu instid0(VALU_DEP_1) | instskip(SKIP_1) | instid1(VALU_DEP_2)
	v_div_scale_f32 v77, null, v74, v74, v75
	v_div_scale_f32 v85, vcc_lo, v75, v74, v75
	v_rcp_f32_e32 v83, v77
	v_nop
	s_delay_alu instid0(TRANS32_DEP_1) | instskip(NEXT) | instid1(VALU_DEP_1)
	v_fma_f32 v84, -v77, v83, 1.0
	v_fmac_f32_e32 v83, v84, v83
	s_delay_alu instid0(VALU_DEP_1) | instskip(NEXT) | instid1(VALU_DEP_1)
	v_mul_f32_e32 v84, v85, v83
	v_fma_f32 v86, -v77, v84, v85
	s_delay_alu instid0(VALU_DEP_1) | instskip(NEXT) | instid1(VALU_DEP_1)
	v_fmac_f32_e32 v84, v86, v83
	v_fma_f32 v77, -v77, v84, v85
	s_delay_alu instid0(VALU_DEP_1) | instskip(NEXT) | instid1(VALU_DEP_1)
	v_div_fmas_f32 v77, v77, v83, v84
	v_div_fixup_f32 v77, v77, v74, v75
	s_delay_alu instid0(VALU_DEP_1) | instskip(NEXT) | instid1(VALU_DEP_1)
	v_fmac_f32_e32 v74, v75, v77
	v_div_scale_f32 v75, null, v74, v74, 1.0
	s_delay_alu instid0(VALU_DEP_1) | instskip(SKIP_1) | instid1(TRANS32_DEP_1)
	v_rcp_f32_e32 v83, v75
	v_nop
	v_fma_f32 v84, -v75, v83, 1.0
	s_delay_alu instid0(VALU_DEP_1) | instskip(SKIP_1) | instid1(VALU_DEP_1)
	v_fmac_f32_e32 v83, v84, v83
	v_div_scale_f32 v84, vcc_lo, 1.0, v74, 1.0
	v_mul_f32_e32 v85, v84, v83
	s_delay_alu instid0(VALU_DEP_1) | instskip(NEXT) | instid1(VALU_DEP_1)
	v_fma_f32 v86, -v75, v85, v84
	v_fmac_f32_e32 v85, v86, v83
	s_delay_alu instid0(VALU_DEP_1) | instskip(NEXT) | instid1(VALU_DEP_1)
	v_fma_f32 v75, -v75, v85, v84
	v_div_fmas_f32 v75, v75, v83, v85
	s_delay_alu instid0(VALU_DEP_1) | instskip(NEXT) | instid1(VALU_DEP_1)
	v_div_fixup_f32 v74, v75, v74, 1.0
	v_mul_f32_e64 v75, v77, -v74
.LBB66_450:
	s_or_b32 exec_lo, exec_lo, s1
.LBB66_451:
	s_delay_alu instid0(SALU_CYCLE_1) | instskip(NEXT) | instid1(SALU_CYCLE_1)
	s_or_b32 exec_lo, exec_lo, s0
	s_mov_b32 s0, exec_lo
	v_cmpx_ne_u32_e64 v82, v76
	s_xor_b32 s0, exec_lo, s0
	s_cbranch_execz .LBB66_457
; %bb.452:
	s_mov_b32 s1, exec_lo
	v_cmpx_eq_u32_e32 21, v82
	s_cbranch_execz .LBB66_456
; %bb.453:
	v_cmp_ne_u32_e32 vcc_lo, 21, v76
	s_xor_b32 s12, s16, -1
	s_delay_alu instid0(SALU_CYCLE_1) | instskip(NEXT) | instid1(SALU_CYCLE_1)
	s_and_b32 s13, s12, vcc_lo
	s_and_saveexec_b32 s12, s13
	s_cbranch_execz .LBB66_455
; %bb.454:
	v_ashrrev_i32_e32 v77, 31, v76
	s_delay_alu instid0(VALU_DEP_1)
	v_lshl_add_u64 v[82:83], v[76:77], 2, v[4:5]
	s_clause 0x1
	global_load_b32 v77, v[82:83], off
	global_load_b32 v81, v[4:5], off offset:84
	s_wait_loadcnt 0x1
	global_store_b32 v[4:5], v77, off offset:84
	s_wait_loadcnt 0x0
	global_store_b32 v[82:83], v81, off
.LBB66_455:
	s_wait_xcnt 0x0
	s_or_b32 exec_lo, exec_lo, s12
	v_dual_mov_b32 v82, v76 :: v_dual_mov_b32 v81, v76
.LBB66_456:
	s_or_b32 exec_lo, exec_lo, s1
.LBB66_457:
	s_and_not1_saveexec_b32 s0, s0
	s_cbranch_execz .LBB66_459
; %bb.458:
	v_dual_mov_b32 v76, v38 :: v_dual_mov_b32 v77, v39
	v_dual_mov_b32 v82, v34 :: v_dual_mov_b32 v83, v35
	;; [unrolled: 1-line block ×4, first 2 shown]
	ds_store_2addr_b64 v78, v[76:77], v[82:83] offset0:22 offset1:23
	ds_store_2addr_b64 v78, v[84:85], v[86:87] offset0:24 offset1:25
	v_dual_mov_b32 v76, v28 :: v_dual_mov_b32 v77, v29
	v_dual_mov_b32 v84, v20 :: v_dual_mov_b32 v85, v21
	;; [unrolled: 1-line block ×7, first 2 shown]
	v_mov_b32_e32 v95, v33
	ds_store_2addr_b64 v78, v[76:77], v[84:85] offset0:26 offset1:27
	ds_store_2addr_b64 v78, v[86:87], v[88:89] offset0:28 offset1:29
	;; [unrolled: 1-line block ×4, first 2 shown]
.LBB66_459:
	s_or_b32 exec_lo, exec_lo, s0
	s_delay_alu instid0(SALU_CYCLE_1)
	s_mov_b32 s0, exec_lo
	s_wait_storecnt_dscnt 0x0
	s_barrier_signal -1
	s_barrier_wait -1
	v_cmpx_lt_i32_e32 21, v82
	s_cbranch_execz .LBB66_461
; %bb.460:
	v_pk_mul_f32 v[76:77], v[74:75], v[36:37] op_sel:[1,1] op_sel_hi:[0,1]
	s_delay_alu instid0(VALU_DEP_1)
	v_pk_fma_f32 v[84:85], v[74:75], v[36:37], v[76:77] op_sel_hi:[1,0,1] neg_lo:[0,0,1] neg_hi:[0,0,1]
	v_pk_fma_f32 v[86:87], v[74:75], v[36:37], v[76:77] op_sel_hi:[1,0,1]
	ds_load_2addr_b64 v[74:77], v78 offset0:22 offset1:23
	v_dual_mov_b32 v36, v84 :: v_dual_mov_b32 v37, v87
	s_wait_dscnt 0x0
	v_pk_mul_f32 v[88:89], v[74:75], v[86:87] op_sel:[0,1]
	s_delay_alu instid0(VALU_DEP_1) | instskip(SKIP_1) | instid1(VALU_DEP_1)
	v_pk_fma_f32 v[90:91], v[74:75], v[84:85], v[88:89] op_sel:[0,0,1] op_sel_hi:[1,1,0] neg_lo:[0,0,1] neg_hi:[0,0,1]
	v_pk_fma_f32 v[74:75], v[74:75], v[84:85], v[88:89] op_sel:[0,0,1] op_sel_hi:[1,0,0]
	v_mov_b32_e32 v91, v75
	v_pk_mul_f32 v[74:75], v[76:77], v[86:87] op_sel:[0,1]
	s_delay_alu instid0(VALU_DEP_1) | instskip(SKIP_1) | instid1(VALU_DEP_1)
	v_pk_fma_f32 v[88:89], v[76:77], v[84:85], v[74:75] op_sel:[0,0,1] op_sel_hi:[1,1,0] neg_lo:[0,0,1] neg_hi:[0,0,1]
	v_pk_fma_f32 v[74:75], v[76:77], v[84:85], v[74:75] op_sel:[0,0,1] op_sel_hi:[1,0,0]
	v_mov_b32_e32 v89, v75
	ds_load_2addr_b64 v[74:77], v78 offset0:24 offset1:25
	v_pk_add_f32 v[38:39], v[38:39], v[90:91] neg_lo:[0,1] neg_hi:[0,1]
	v_pk_add_f32 v[34:35], v[34:35], v[88:89] neg_lo:[0,1] neg_hi:[0,1]
	s_wait_dscnt 0x0
	v_pk_mul_f32 v[88:89], v[74:75], v[86:87] op_sel:[0,1]
	s_delay_alu instid0(VALU_DEP_1) | instskip(SKIP_2) | instid1(VALU_DEP_2)
	v_pk_fma_f32 v[90:91], v[74:75], v[84:85], v[88:89] op_sel:[0,0,1] op_sel_hi:[1,1,0] neg_lo:[0,0,1] neg_hi:[0,0,1]
	v_pk_fma_f32 v[74:75], v[74:75], v[84:85], v[88:89] op_sel:[0,0,1] op_sel_hi:[1,0,0]
	v_dual_mul_f32 v88, v77, v87 :: v_dual_mov_b32 v74, v77
	v_dual_mov_b32 v91, v75 :: v_dual_mov_b32 v75, v76
	s_delay_alu instid0(VALU_DEP_2) | instskip(SKIP_1) | instid1(VALU_DEP_3)
	v_pk_fma_f32 v[88:89], v[76:77], v[36:37], v[88:89] op_sel_hi:[1,1,0] neg_lo:[0,0,1] neg_hi:[0,0,1]
	v_mul_f32_e32 v76, v77, v84
	v_pk_add_f32 v[56:57], v[56:57], v[90:91] neg_lo:[0,1] neg_hi:[0,1]
	s_delay_alu instid0(VALU_DEP_2) | instskip(NEXT) | instid1(VALU_DEP_1)
	v_pk_fma_f32 v[74:75], v[74:75], v[36:37], v[76:77] op_sel_hi:[1,1,0]
	v_mov_b32_e32 v89, v75
	ds_load_2addr_b64 v[74:77], v78 offset0:26 offset1:27
	v_pk_add_f32 v[22:23], v[22:23], v[88:89] neg_lo:[0,1] neg_hi:[0,1]
	s_wait_dscnt 0x0
	v_pk_mul_f32 v[88:89], v[74:75], v[86:87] op_sel:[0,1]
	s_delay_alu instid0(VALU_DEP_1) | instskip(SKIP_1) | instid1(VALU_DEP_1)
	v_pk_fma_f32 v[90:91], v[74:75], v[84:85], v[88:89] op_sel:[0,0,1] op_sel_hi:[1,1,0] neg_lo:[0,0,1] neg_hi:[0,0,1]
	v_pk_fma_f32 v[74:75], v[74:75], v[84:85], v[88:89] op_sel:[0,0,1] op_sel_hi:[1,0,0]
	v_mov_b32_e32 v91, v75
	v_pk_mul_f32 v[74:75], v[76:77], v[86:87] op_sel:[0,1]
	s_delay_alu instid0(VALU_DEP_1) | instskip(SKIP_1) | instid1(VALU_DEP_1)
	v_pk_fma_f32 v[88:89], v[76:77], v[84:85], v[74:75] op_sel:[0,0,1] op_sel_hi:[1,1,0] neg_lo:[0,0,1] neg_hi:[0,0,1]
	v_pk_fma_f32 v[74:75], v[76:77], v[84:85], v[74:75] op_sel:[0,0,1] op_sel_hi:[1,0,0]
	v_mov_b32_e32 v89, v75
	ds_load_2addr_b64 v[74:77], v78 offset0:28 offset1:29
	v_pk_add_f32 v[28:29], v[28:29], v[90:91] neg_lo:[0,1] neg_hi:[0,1]
	v_pk_add_f32 v[20:21], v[20:21], v[88:89] neg_lo:[0,1] neg_hi:[0,1]
	s_wait_dscnt 0x0
	v_pk_mul_f32 v[88:89], v[74:75], v[86:87] op_sel:[0,1]
	s_delay_alu instid0(VALU_DEP_1) | instskip(SKIP_1) | instid1(VALU_DEP_1)
	v_pk_fma_f32 v[90:91], v[74:75], v[84:85], v[88:89] op_sel:[0,0,1] op_sel_hi:[1,1,0] neg_lo:[0,0,1] neg_hi:[0,0,1]
	v_pk_fma_f32 v[74:75], v[74:75], v[84:85], v[88:89] op_sel:[0,0,1] op_sel_hi:[1,0,0]
	v_mov_b32_e32 v91, v75
	v_pk_mul_f32 v[74:75], v[76:77], v[86:87] op_sel:[0,1]
	s_delay_alu instid0(VALU_DEP_1) | instskip(SKIP_1) | instid1(VALU_DEP_1)
	v_pk_fma_f32 v[88:89], v[76:77], v[84:85], v[74:75] op_sel:[0,0,1] op_sel_hi:[1,1,0] neg_lo:[0,0,1] neg_hi:[0,0,1]
	v_pk_fma_f32 v[74:75], v[76:77], v[84:85], v[74:75] op_sel:[0,0,1] op_sel_hi:[1,0,0]
	v_mov_b32_e32 v89, v75
	ds_load_2addr_b64 v[74:77], v78 offset0:30 offset1:31
	v_pk_add_f32 v[50:51], v[50:51], v[90:91] neg_lo:[0,1] neg_hi:[0,1]
	v_pk_add_f32 v[12:13], v[12:13], v[88:89] neg_lo:[0,1] neg_hi:[0,1]
	s_wait_dscnt 0x0
	v_dual_mul_f32 v88, v75, v87 :: v_dual_mul_f32 v90, v75, v84
	s_delay_alu instid0(VALU_DEP_1) | instskip(NEXT) | instid1(VALU_DEP_2)
	v_pk_fma_f32 v[88:89], v[74:75], v[36:37], v[88:89] op_sel_hi:[1,1,0] neg_lo:[0,0,1] neg_hi:[0,0,1]
	v_pk_fma_f32 v[74:75], v[74:75], v[36:37], v[90:91] op_sel:[1,0,0] op_sel_hi:[0,1,0]
	s_delay_alu instid0(VALU_DEP_1) | instskip(SKIP_1) | instid1(VALU_DEP_2)
	v_mov_b32_e32 v89, v75
	v_pk_mul_f32 v[74:75], v[76:77], v[86:87] op_sel:[0,1]
	v_pk_add_f32 v[48:49], v[48:49], v[88:89] neg_lo:[0,1] neg_hi:[0,1]
	s_delay_alu instid0(VALU_DEP_2) | instskip(SKIP_1) | instid1(VALU_DEP_1)
	v_pk_fma_f32 v[88:89], v[76:77], v[84:85], v[74:75] op_sel:[0,0,1] op_sel_hi:[1,1,0] neg_lo:[0,0,1] neg_hi:[0,0,1]
	v_pk_fma_f32 v[74:75], v[76:77], v[84:85], v[74:75] op_sel:[0,0,1] op_sel_hi:[1,0,0]
	v_mov_b32_e32 v89, v75
	ds_load_2addr_b64 v[74:77], v78 offset0:32 offset1:33
	v_pk_add_f32 v[46:47], v[46:47], v[88:89] neg_lo:[0,1] neg_hi:[0,1]
	s_wait_dscnt 0x0
	v_pk_mul_f32 v[88:89], v[74:75], v[86:87] op_sel:[0,1]
	v_mul_f32_e32 v86, v77, v87
	s_delay_alu instid0(VALU_DEP_2) | instskip(SKIP_2) | instid1(VALU_DEP_4)
	v_pk_fma_f32 v[90:91], v[74:75], v[84:85], v[88:89] op_sel:[0,0,1] op_sel_hi:[1,1,0] neg_lo:[0,0,1] neg_hi:[0,0,1]
	v_pk_fma_f32 v[74:75], v[74:75], v[84:85], v[88:89] op_sel:[0,0,1] op_sel_hi:[1,0,0]
	v_mov_b32_e32 v74, v77
	v_pk_fma_f32 v[86:87], v[76:77], v[36:37], v[86:87] op_sel_hi:[1,1,0] neg_lo:[0,0,1] neg_hi:[0,0,1]
	s_delay_alu instid0(VALU_DEP_3) | instskip(SKIP_1) | instid1(VALU_DEP_2)
	v_dual_mov_b32 v91, v75 :: v_dual_mov_b32 v75, v76
	v_mul_f32_e32 v76, v77, v84
	v_pk_add_f32 v[32:33], v[32:33], v[90:91] neg_lo:[0,1] neg_hi:[0,1]
	s_delay_alu instid0(VALU_DEP_2) | instskip(NEXT) | instid1(VALU_DEP_1)
	v_pk_fma_f32 v[74:75], v[74:75], v[36:37], v[76:77] op_sel_hi:[1,1,0]
	v_mov_b32_e32 v87, v75
	s_delay_alu instid0(VALU_DEP_1)
	v_pk_add_f32 v[72:73], v[72:73], v[86:87] neg_lo:[0,1] neg_hi:[0,1]
.LBB66_461:
	s_or_b32 exec_lo, exec_lo, s0
	v_lshl_add_u32 v74, v82, 3, v78
	s_barrier_signal -1
	s_barrier_wait -1
	ds_store_b64 v74, v[38:39]
	s_wait_dscnt 0x0
	s_barrier_signal -1
	s_barrier_wait -1
	ds_load_b64 v[74:75], v78 offset:176
	v_mov_b32_e32 v76, 22
	s_cmp_lt_i32 s18, 24
	s_cbranch_scc1 .LBB66_464
; %bb.462:
	v_add3_u32 v77, v79, 0, 0xb8
	v_mov_b32_e32 v76, 22
	s_mov_b32 s0, 23
.LBB66_463:                             ; =>This Inner Loop Header: Depth=1
	ds_load_b64 v[84:85], v77
	s_wait_dscnt 0x1
	v_cmp_gt_f32_e32 vcc_lo, 0, v74
	v_cndmask_b32_e64 v86, v74, -v74, vcc_lo
	v_cmp_gt_f32_e32 vcc_lo, 0, v75
	v_cndmask_b32_e64 v88, v75, -v75, vcc_lo
	s_wait_dscnt 0x0
	v_cmp_gt_f32_e32 vcc_lo, 0, v84
	v_cndmask_b32_e64 v87, v84, -v84, vcc_lo
	v_cmp_gt_f32_e32 vcc_lo, 0, v85
	v_cndmask_b32_e64 v89, v85, -v85, vcc_lo
	s_delay_alu instid0(VALU_DEP_1) | instskip(NEXT) | instid1(VALU_DEP_1)
	v_pk_add_f32 v[86:87], v[86:87], v[88:89]
	v_cmp_lt_f32_e32 vcc_lo, v86, v87
	v_dual_cndmask_b32 v74, v74, v84 :: v_dual_add_nc_u32 v77, 8, v77
	v_cndmask_b32_e32 v75, v75, v85, vcc_lo
	v_cndmask_b32_e64 v76, v76, s0, vcc_lo
	s_add_co_i32 s0, s0, 1
	s_delay_alu instid0(SALU_CYCLE_1)
	s_cmp_lg_u32 s18, s0
	s_cbranch_scc1 .LBB66_463
.LBB66_464:
	s_wait_dscnt 0x0
	v_cmp_eq_f32_e32 vcc_lo, 0, v74
	v_cmp_eq_f32_e64 s0, 0, v75
	s_and_b32 s0, vcc_lo, s0
	s_delay_alu instid0(SALU_CYCLE_1) | instskip(NEXT) | instid1(SALU_CYCLE_1)
	s_and_saveexec_b32 s1, s0
	s_xor_b32 s0, exec_lo, s1
; %bb.465:
	v_cmp_ne_u32_e32 vcc_lo, 0, v80
	v_cndmask_b32_e32 v80, 23, v80, vcc_lo
; %bb.466:
	s_and_not1_saveexec_b32 s0, s0
	s_cbranch_execz .LBB66_472
; %bb.467:
	v_cmp_ngt_f32_e64 s1, |v74|, |v75|
	s_and_saveexec_b32 s12, s1
	s_delay_alu instid0(SALU_CYCLE_1)
	s_xor_b32 s1, exec_lo, s12
	s_cbranch_execz .LBB66_469
; %bb.468:
	v_div_scale_f32 v77, null, v75, v75, v74
	v_div_scale_f32 v85, vcc_lo, v74, v75, v74
	s_delay_alu instid0(VALU_DEP_2) | instskip(SKIP_1) | instid1(TRANS32_DEP_1)
	v_rcp_f32_e32 v83, v77
	v_nop
	v_fma_f32 v84, -v77, v83, 1.0
	s_delay_alu instid0(VALU_DEP_1) | instskip(NEXT) | instid1(VALU_DEP_1)
	v_fmac_f32_e32 v83, v84, v83
	v_mul_f32_e32 v84, v85, v83
	s_delay_alu instid0(VALU_DEP_1) | instskip(NEXT) | instid1(VALU_DEP_1)
	v_fma_f32 v86, -v77, v84, v85
	v_fmac_f32_e32 v84, v86, v83
	s_delay_alu instid0(VALU_DEP_1) | instskip(NEXT) | instid1(VALU_DEP_1)
	v_fma_f32 v77, -v77, v84, v85
	v_div_fmas_f32 v77, v77, v83, v84
	s_delay_alu instid0(VALU_DEP_1) | instskip(NEXT) | instid1(VALU_DEP_1)
	v_div_fixup_f32 v77, v77, v75, v74
	v_fmac_f32_e32 v75, v74, v77
	s_delay_alu instid0(VALU_DEP_1) | instskip(SKIP_1) | instid1(VALU_DEP_2)
	v_div_scale_f32 v74, null, v75, v75, 1.0
	v_div_scale_f32 v85, vcc_lo, 1.0, v75, 1.0
	v_rcp_f32_e32 v83, v74
	v_nop
	s_delay_alu instid0(TRANS32_DEP_1) | instskip(NEXT) | instid1(VALU_DEP_1)
	v_fma_f32 v84, -v74, v83, 1.0
	v_fmac_f32_e32 v83, v84, v83
	s_delay_alu instid0(VALU_DEP_1) | instskip(NEXT) | instid1(VALU_DEP_1)
	v_mul_f32_e32 v84, v85, v83
	v_fma_f32 v86, -v74, v84, v85
	s_delay_alu instid0(VALU_DEP_1) | instskip(NEXT) | instid1(VALU_DEP_1)
	v_fmac_f32_e32 v84, v86, v83
	v_fma_f32 v74, -v74, v84, v85
	s_delay_alu instid0(VALU_DEP_1) | instskip(NEXT) | instid1(VALU_DEP_1)
	v_div_fmas_f32 v74, v74, v83, v84
	v_div_fixup_f32 v75, v74, v75, 1.0
	s_delay_alu instid0(VALU_DEP_1)
	v_mul_f32_e32 v74, v77, v75
	v_xor_b32_e32 v75, 0x80000000, v75
.LBB66_469:
	s_and_not1_saveexec_b32 s1, s1
	s_cbranch_execz .LBB66_471
; %bb.470:
	s_delay_alu instid0(VALU_DEP_1) | instskip(SKIP_1) | instid1(VALU_DEP_2)
	v_div_scale_f32 v77, null, v74, v74, v75
	v_div_scale_f32 v85, vcc_lo, v75, v74, v75
	v_rcp_f32_e32 v83, v77
	v_nop
	s_delay_alu instid0(TRANS32_DEP_1) | instskip(NEXT) | instid1(VALU_DEP_1)
	v_fma_f32 v84, -v77, v83, 1.0
	v_fmac_f32_e32 v83, v84, v83
	s_delay_alu instid0(VALU_DEP_1) | instskip(NEXT) | instid1(VALU_DEP_1)
	v_mul_f32_e32 v84, v85, v83
	v_fma_f32 v86, -v77, v84, v85
	s_delay_alu instid0(VALU_DEP_1) | instskip(NEXT) | instid1(VALU_DEP_1)
	v_fmac_f32_e32 v84, v86, v83
	v_fma_f32 v77, -v77, v84, v85
	s_delay_alu instid0(VALU_DEP_1) | instskip(NEXT) | instid1(VALU_DEP_1)
	v_div_fmas_f32 v77, v77, v83, v84
	v_div_fixup_f32 v77, v77, v74, v75
	s_delay_alu instid0(VALU_DEP_1) | instskip(NEXT) | instid1(VALU_DEP_1)
	v_fmac_f32_e32 v74, v75, v77
	v_div_scale_f32 v75, null, v74, v74, 1.0
	s_delay_alu instid0(VALU_DEP_1) | instskip(SKIP_1) | instid1(TRANS32_DEP_1)
	v_rcp_f32_e32 v83, v75
	v_nop
	v_fma_f32 v84, -v75, v83, 1.0
	s_delay_alu instid0(VALU_DEP_1) | instskip(SKIP_1) | instid1(VALU_DEP_1)
	v_fmac_f32_e32 v83, v84, v83
	v_div_scale_f32 v84, vcc_lo, 1.0, v74, 1.0
	v_mul_f32_e32 v85, v84, v83
	s_delay_alu instid0(VALU_DEP_1) | instskip(NEXT) | instid1(VALU_DEP_1)
	v_fma_f32 v86, -v75, v85, v84
	v_fmac_f32_e32 v85, v86, v83
	s_delay_alu instid0(VALU_DEP_1) | instskip(NEXT) | instid1(VALU_DEP_1)
	v_fma_f32 v75, -v75, v85, v84
	v_div_fmas_f32 v75, v75, v83, v85
	s_delay_alu instid0(VALU_DEP_1) | instskip(NEXT) | instid1(VALU_DEP_1)
	v_div_fixup_f32 v74, v75, v74, 1.0
	v_mul_f32_e64 v75, v77, -v74
.LBB66_471:
	s_or_b32 exec_lo, exec_lo, s1
.LBB66_472:
	s_delay_alu instid0(SALU_CYCLE_1) | instskip(NEXT) | instid1(SALU_CYCLE_1)
	s_or_b32 exec_lo, exec_lo, s0
	s_mov_b32 s0, exec_lo
	v_cmpx_ne_u32_e64 v82, v76
	s_xor_b32 s0, exec_lo, s0
	s_cbranch_execz .LBB66_478
; %bb.473:
	s_mov_b32 s1, exec_lo
	v_cmpx_eq_u32_e32 22, v82
	s_cbranch_execz .LBB66_477
; %bb.474:
	v_cmp_ne_u32_e32 vcc_lo, 22, v76
	s_xor_b32 s12, s16, -1
	s_delay_alu instid0(SALU_CYCLE_1) | instskip(NEXT) | instid1(SALU_CYCLE_1)
	s_and_b32 s13, s12, vcc_lo
	s_and_saveexec_b32 s12, s13
	s_cbranch_execz .LBB66_476
; %bb.475:
	v_ashrrev_i32_e32 v77, 31, v76
	s_delay_alu instid0(VALU_DEP_1)
	v_lshl_add_u64 v[82:83], v[76:77], 2, v[4:5]
	s_clause 0x1
	global_load_b32 v77, v[82:83], off
	global_load_b32 v81, v[4:5], off offset:88
	s_wait_loadcnt 0x1
	global_store_b32 v[4:5], v77, off offset:88
	s_wait_loadcnt 0x0
	global_store_b32 v[82:83], v81, off
.LBB66_476:
	s_wait_xcnt 0x0
	s_or_b32 exec_lo, exec_lo, s12
	v_dual_mov_b32 v82, v76 :: v_dual_mov_b32 v81, v76
.LBB66_477:
	s_or_b32 exec_lo, exec_lo, s1
.LBB66_478:
	s_and_not1_saveexec_b32 s0, s0
	s_cbranch_execz .LBB66_480
; %bb.479:
	v_mov_b32_e32 v82, 22
	ds_store_2addr_b64 v78, v[34:35], v[56:57] offset0:23 offset1:24
	ds_store_2addr_b64 v78, v[22:23], v[28:29] offset0:25 offset1:26
	;; [unrolled: 1-line block ×5, first 2 shown]
	ds_store_b64 v78, v[72:73] offset:264
.LBB66_480:
	s_or_b32 exec_lo, exec_lo, s0
	s_delay_alu instid0(SALU_CYCLE_1)
	s_mov_b32 s0, exec_lo
	s_wait_storecnt_dscnt 0x0
	s_barrier_signal -1
	s_barrier_wait -1
	v_cmpx_lt_i32_e32 22, v82
	s_cbranch_execz .LBB66_482
; %bb.481:
	v_pk_mul_f32 v[76:77], v[74:75], v[38:39] op_sel:[1,1] op_sel_hi:[0,1]
	s_delay_alu instid0(VALU_DEP_1)
	v_pk_fma_f32 v[84:85], v[74:75], v[38:39], v[76:77] op_sel_hi:[1,0,1] neg_lo:[0,0,1] neg_hi:[0,0,1]
	v_pk_fma_f32 v[86:87], v[74:75], v[38:39], v[76:77] op_sel_hi:[1,0,1]
	ds_load_2addr_b64 v[74:77], v78 offset0:23 offset1:24
	v_dual_mov_b32 v38, v84 :: v_dual_mov_b32 v39, v87
	s_wait_dscnt 0x0
	v_pk_mul_f32 v[88:89], v[74:75], v[86:87] op_sel:[0,1]
	s_delay_alu instid0(VALU_DEP_1) | instskip(SKIP_1) | instid1(VALU_DEP_1)
	v_pk_fma_f32 v[90:91], v[74:75], v[84:85], v[88:89] op_sel:[0,0,1] op_sel_hi:[1,1,0] neg_lo:[0,0,1] neg_hi:[0,0,1]
	v_pk_fma_f32 v[74:75], v[74:75], v[84:85], v[88:89] op_sel:[0,0,1] op_sel_hi:[1,0,0]
	v_mov_b32_e32 v91, v75
	v_pk_mul_f32 v[74:75], v[76:77], v[86:87] op_sel:[0,1]
	s_delay_alu instid0(VALU_DEP_1) | instskip(SKIP_1) | instid1(VALU_DEP_1)
	v_pk_fma_f32 v[88:89], v[76:77], v[84:85], v[74:75] op_sel:[0,0,1] op_sel_hi:[1,1,0] neg_lo:[0,0,1] neg_hi:[0,0,1]
	v_pk_fma_f32 v[74:75], v[76:77], v[84:85], v[74:75] op_sel:[0,0,1] op_sel_hi:[1,0,0]
	v_mov_b32_e32 v89, v75
	ds_load_2addr_b64 v[74:77], v78 offset0:25 offset1:26
	v_pk_add_f32 v[34:35], v[34:35], v[90:91] neg_lo:[0,1] neg_hi:[0,1]
	v_pk_add_f32 v[56:57], v[56:57], v[88:89] neg_lo:[0,1] neg_hi:[0,1]
	s_wait_dscnt 0x0
	v_pk_mul_f32 v[88:89], v[74:75], v[86:87] op_sel:[0,1]
	s_delay_alu instid0(VALU_DEP_1) | instskip(SKIP_2) | instid1(VALU_DEP_2)
	v_pk_fma_f32 v[90:91], v[74:75], v[84:85], v[88:89] op_sel:[0,0,1] op_sel_hi:[1,1,0] neg_lo:[0,0,1] neg_hi:[0,0,1]
	v_pk_fma_f32 v[74:75], v[74:75], v[84:85], v[88:89] op_sel:[0,0,1] op_sel_hi:[1,0,0]
	v_dual_mul_f32 v88, v77, v87 :: v_dual_mov_b32 v74, v77
	v_dual_mov_b32 v91, v75 :: v_dual_mov_b32 v75, v76
	s_delay_alu instid0(VALU_DEP_2) | instskip(SKIP_1) | instid1(VALU_DEP_3)
	v_pk_fma_f32 v[88:89], v[76:77], v[38:39], v[88:89] op_sel_hi:[1,1,0] neg_lo:[0,0,1] neg_hi:[0,0,1]
	v_mul_f32_e32 v76, v77, v84
	v_pk_add_f32 v[22:23], v[22:23], v[90:91] neg_lo:[0,1] neg_hi:[0,1]
	s_delay_alu instid0(VALU_DEP_2) | instskip(NEXT) | instid1(VALU_DEP_1)
	v_pk_fma_f32 v[74:75], v[74:75], v[38:39], v[76:77] op_sel_hi:[1,1,0]
	v_mov_b32_e32 v89, v75
	ds_load_2addr_b64 v[74:77], v78 offset0:27 offset1:28
	v_pk_add_f32 v[28:29], v[28:29], v[88:89] neg_lo:[0,1] neg_hi:[0,1]
	s_wait_dscnt 0x0
	v_pk_mul_f32 v[88:89], v[74:75], v[86:87] op_sel:[0,1]
	s_delay_alu instid0(VALU_DEP_1) | instskip(SKIP_1) | instid1(VALU_DEP_1)
	v_pk_fma_f32 v[90:91], v[74:75], v[84:85], v[88:89] op_sel:[0,0,1] op_sel_hi:[1,1,0] neg_lo:[0,0,1] neg_hi:[0,0,1]
	v_pk_fma_f32 v[74:75], v[74:75], v[84:85], v[88:89] op_sel:[0,0,1] op_sel_hi:[1,0,0]
	v_mov_b32_e32 v91, v75
	v_pk_mul_f32 v[74:75], v[76:77], v[86:87] op_sel:[0,1]
	s_delay_alu instid0(VALU_DEP_1) | instskip(SKIP_1) | instid1(VALU_DEP_1)
	v_pk_fma_f32 v[88:89], v[76:77], v[84:85], v[74:75] op_sel:[0,0,1] op_sel_hi:[1,1,0] neg_lo:[0,0,1] neg_hi:[0,0,1]
	v_pk_fma_f32 v[74:75], v[76:77], v[84:85], v[74:75] op_sel:[0,0,1] op_sel_hi:[1,0,0]
	v_mov_b32_e32 v89, v75
	ds_load_2addr_b64 v[74:77], v78 offset0:29 offset1:30
	v_pk_add_f32 v[20:21], v[20:21], v[90:91] neg_lo:[0,1] neg_hi:[0,1]
	v_pk_add_f32 v[50:51], v[50:51], v[88:89] neg_lo:[0,1] neg_hi:[0,1]
	s_wait_dscnt 0x0
	v_pk_mul_f32 v[88:89], v[74:75], v[86:87] op_sel:[0,1]
	s_delay_alu instid0(VALU_DEP_1) | instskip(SKIP_1) | instid1(VALU_DEP_1)
	v_pk_fma_f32 v[90:91], v[74:75], v[84:85], v[88:89] op_sel:[0,0,1] op_sel_hi:[1,1,0] neg_lo:[0,0,1] neg_hi:[0,0,1]
	v_pk_fma_f32 v[74:75], v[74:75], v[84:85], v[88:89] op_sel:[0,0,1] op_sel_hi:[1,0,0]
	v_mov_b32_e32 v91, v75
	v_pk_mul_f32 v[74:75], v[76:77], v[86:87] op_sel:[0,1]
	s_delay_alu instid0(VALU_DEP_1) | instskip(SKIP_1) | instid1(VALU_DEP_1)
	v_pk_fma_f32 v[88:89], v[76:77], v[84:85], v[74:75] op_sel:[0,0,1] op_sel_hi:[1,1,0] neg_lo:[0,0,1] neg_hi:[0,0,1]
	v_pk_fma_f32 v[74:75], v[76:77], v[84:85], v[74:75] op_sel:[0,0,1] op_sel_hi:[1,0,0]
	v_mov_b32_e32 v89, v75
	ds_load_2addr_b64 v[74:77], v78 offset0:31 offset1:32
	v_pk_add_f32 v[12:13], v[12:13], v[90:91] neg_lo:[0,1] neg_hi:[0,1]
	v_pk_add_f32 v[48:49], v[48:49], v[88:89] neg_lo:[0,1] neg_hi:[0,1]
	s_wait_dscnt 0x0
	v_dual_mul_f32 v88, v75, v87 :: v_dual_mul_f32 v90, v75, v84
	s_delay_alu instid0(VALU_DEP_1) | instskip(NEXT) | instid1(VALU_DEP_2)
	v_pk_fma_f32 v[88:89], v[74:75], v[38:39], v[88:89] op_sel_hi:[1,1,0] neg_lo:[0,0,1] neg_hi:[0,0,1]
	v_pk_fma_f32 v[74:75], v[74:75], v[38:39], v[90:91] op_sel:[1,0,0] op_sel_hi:[0,1,0]
	s_delay_alu instid0(VALU_DEP_1) | instskip(SKIP_1) | instid1(VALU_DEP_2)
	v_mov_b32_e32 v89, v75
	v_pk_mul_f32 v[74:75], v[76:77], v[86:87] op_sel:[0,1]
	v_pk_add_f32 v[46:47], v[46:47], v[88:89] neg_lo:[0,1] neg_hi:[0,1]
	s_delay_alu instid0(VALU_DEP_2) | instskip(SKIP_1) | instid1(VALU_DEP_1)
	v_pk_fma_f32 v[88:89], v[76:77], v[84:85], v[74:75] op_sel:[0,0,1] op_sel_hi:[1,1,0] neg_lo:[0,0,1] neg_hi:[0,0,1]
	v_pk_fma_f32 v[74:75], v[76:77], v[84:85], v[74:75] op_sel:[0,0,1] op_sel_hi:[1,0,0]
	v_mov_b32_e32 v89, v75
	ds_load_b64 v[74:75], v78 offset:264
	v_pk_add_f32 v[32:33], v[32:33], v[88:89] neg_lo:[0,1] neg_hi:[0,1]
	s_wait_dscnt 0x0
	v_pk_mul_f32 v[76:77], v[74:75], v[86:87] op_sel:[0,1]
	s_delay_alu instid0(VALU_DEP_1) | instskip(SKIP_1) | instid1(VALU_DEP_1)
	v_pk_fma_f32 v[86:87], v[74:75], v[84:85], v[76:77] op_sel:[0,0,1] op_sel_hi:[1,1,0] neg_lo:[0,0,1] neg_hi:[0,0,1]
	v_pk_fma_f32 v[74:75], v[74:75], v[84:85], v[76:77] op_sel:[0,0,1] op_sel_hi:[1,0,0]
	v_mov_b32_e32 v87, v75
	s_delay_alu instid0(VALU_DEP_1)
	v_pk_add_f32 v[72:73], v[72:73], v[86:87] neg_lo:[0,1] neg_hi:[0,1]
.LBB66_482:
	s_or_b32 exec_lo, exec_lo, s0
	v_lshl_add_u32 v74, v82, 3, v78
	s_barrier_signal -1
	s_barrier_wait -1
	ds_store_b64 v74, v[34:35]
	s_wait_dscnt 0x0
	s_barrier_signal -1
	s_barrier_wait -1
	ds_load_b64 v[74:75], v78 offset:184
	v_mov_b32_e32 v76, 23
	s_cmp_lt_i32 s18, 25
	s_cbranch_scc1 .LBB66_485
; %bb.483:
	v_add3_u32 v77, v79, 0, 0xc0
	v_mov_b32_e32 v76, 23
	s_mov_b32 s0, 24
.LBB66_484:                             ; =>This Inner Loop Header: Depth=1
	ds_load_b64 v[84:85], v77
	s_wait_dscnt 0x1
	v_cmp_gt_f32_e32 vcc_lo, 0, v74
	v_cndmask_b32_e64 v86, v74, -v74, vcc_lo
	v_cmp_gt_f32_e32 vcc_lo, 0, v75
	v_cndmask_b32_e64 v88, v75, -v75, vcc_lo
	s_wait_dscnt 0x0
	v_cmp_gt_f32_e32 vcc_lo, 0, v84
	v_cndmask_b32_e64 v87, v84, -v84, vcc_lo
	v_cmp_gt_f32_e32 vcc_lo, 0, v85
	v_cndmask_b32_e64 v89, v85, -v85, vcc_lo
	s_delay_alu instid0(VALU_DEP_1) | instskip(NEXT) | instid1(VALU_DEP_1)
	v_pk_add_f32 v[86:87], v[86:87], v[88:89]
	v_cmp_lt_f32_e32 vcc_lo, v86, v87
	v_dual_cndmask_b32 v74, v74, v84 :: v_dual_add_nc_u32 v77, 8, v77
	v_cndmask_b32_e32 v75, v75, v85, vcc_lo
	v_cndmask_b32_e64 v76, v76, s0, vcc_lo
	s_add_co_i32 s0, s0, 1
	s_delay_alu instid0(SALU_CYCLE_1)
	s_cmp_lg_u32 s18, s0
	s_cbranch_scc1 .LBB66_484
.LBB66_485:
	s_wait_dscnt 0x0
	v_cmp_eq_f32_e32 vcc_lo, 0, v74
	v_cmp_eq_f32_e64 s0, 0, v75
	s_and_b32 s0, vcc_lo, s0
	s_delay_alu instid0(SALU_CYCLE_1) | instskip(NEXT) | instid1(SALU_CYCLE_1)
	s_and_saveexec_b32 s1, s0
	s_xor_b32 s0, exec_lo, s1
; %bb.486:
	v_cmp_ne_u32_e32 vcc_lo, 0, v80
	v_cndmask_b32_e32 v80, 24, v80, vcc_lo
; %bb.487:
	s_and_not1_saveexec_b32 s0, s0
	s_cbranch_execz .LBB66_493
; %bb.488:
	v_cmp_ngt_f32_e64 s1, |v74|, |v75|
	s_and_saveexec_b32 s12, s1
	s_delay_alu instid0(SALU_CYCLE_1)
	s_xor_b32 s1, exec_lo, s12
	s_cbranch_execz .LBB66_490
; %bb.489:
	v_div_scale_f32 v77, null, v75, v75, v74
	v_div_scale_f32 v85, vcc_lo, v74, v75, v74
	s_delay_alu instid0(VALU_DEP_2) | instskip(SKIP_1) | instid1(TRANS32_DEP_1)
	v_rcp_f32_e32 v83, v77
	v_nop
	v_fma_f32 v84, -v77, v83, 1.0
	s_delay_alu instid0(VALU_DEP_1) | instskip(NEXT) | instid1(VALU_DEP_1)
	v_fmac_f32_e32 v83, v84, v83
	v_mul_f32_e32 v84, v85, v83
	s_delay_alu instid0(VALU_DEP_1) | instskip(NEXT) | instid1(VALU_DEP_1)
	v_fma_f32 v86, -v77, v84, v85
	v_fmac_f32_e32 v84, v86, v83
	s_delay_alu instid0(VALU_DEP_1) | instskip(NEXT) | instid1(VALU_DEP_1)
	v_fma_f32 v77, -v77, v84, v85
	v_div_fmas_f32 v77, v77, v83, v84
	s_delay_alu instid0(VALU_DEP_1) | instskip(NEXT) | instid1(VALU_DEP_1)
	v_div_fixup_f32 v77, v77, v75, v74
	v_fmac_f32_e32 v75, v74, v77
	s_delay_alu instid0(VALU_DEP_1) | instskip(SKIP_1) | instid1(VALU_DEP_2)
	v_div_scale_f32 v74, null, v75, v75, 1.0
	v_div_scale_f32 v85, vcc_lo, 1.0, v75, 1.0
	v_rcp_f32_e32 v83, v74
	v_nop
	s_delay_alu instid0(TRANS32_DEP_1) | instskip(NEXT) | instid1(VALU_DEP_1)
	v_fma_f32 v84, -v74, v83, 1.0
	v_fmac_f32_e32 v83, v84, v83
	s_delay_alu instid0(VALU_DEP_1) | instskip(NEXT) | instid1(VALU_DEP_1)
	v_mul_f32_e32 v84, v85, v83
	v_fma_f32 v86, -v74, v84, v85
	s_delay_alu instid0(VALU_DEP_1) | instskip(NEXT) | instid1(VALU_DEP_1)
	v_fmac_f32_e32 v84, v86, v83
	v_fma_f32 v74, -v74, v84, v85
	s_delay_alu instid0(VALU_DEP_1) | instskip(NEXT) | instid1(VALU_DEP_1)
	v_div_fmas_f32 v74, v74, v83, v84
	v_div_fixup_f32 v75, v74, v75, 1.0
	s_delay_alu instid0(VALU_DEP_1)
	v_mul_f32_e32 v74, v77, v75
	v_xor_b32_e32 v75, 0x80000000, v75
.LBB66_490:
	s_and_not1_saveexec_b32 s1, s1
	s_cbranch_execz .LBB66_492
; %bb.491:
	s_delay_alu instid0(VALU_DEP_1) | instskip(SKIP_1) | instid1(VALU_DEP_2)
	v_div_scale_f32 v77, null, v74, v74, v75
	v_div_scale_f32 v85, vcc_lo, v75, v74, v75
	v_rcp_f32_e32 v83, v77
	v_nop
	s_delay_alu instid0(TRANS32_DEP_1) | instskip(NEXT) | instid1(VALU_DEP_1)
	v_fma_f32 v84, -v77, v83, 1.0
	v_fmac_f32_e32 v83, v84, v83
	s_delay_alu instid0(VALU_DEP_1) | instskip(NEXT) | instid1(VALU_DEP_1)
	v_mul_f32_e32 v84, v85, v83
	v_fma_f32 v86, -v77, v84, v85
	s_delay_alu instid0(VALU_DEP_1) | instskip(NEXT) | instid1(VALU_DEP_1)
	v_fmac_f32_e32 v84, v86, v83
	v_fma_f32 v77, -v77, v84, v85
	s_delay_alu instid0(VALU_DEP_1) | instskip(NEXT) | instid1(VALU_DEP_1)
	v_div_fmas_f32 v77, v77, v83, v84
	v_div_fixup_f32 v77, v77, v74, v75
	s_delay_alu instid0(VALU_DEP_1) | instskip(NEXT) | instid1(VALU_DEP_1)
	v_fmac_f32_e32 v74, v75, v77
	v_div_scale_f32 v75, null, v74, v74, 1.0
	s_delay_alu instid0(VALU_DEP_1) | instskip(SKIP_1) | instid1(TRANS32_DEP_1)
	v_rcp_f32_e32 v83, v75
	v_nop
	v_fma_f32 v84, -v75, v83, 1.0
	s_delay_alu instid0(VALU_DEP_1) | instskip(SKIP_1) | instid1(VALU_DEP_1)
	v_fmac_f32_e32 v83, v84, v83
	v_div_scale_f32 v84, vcc_lo, 1.0, v74, 1.0
	v_mul_f32_e32 v85, v84, v83
	s_delay_alu instid0(VALU_DEP_1) | instskip(NEXT) | instid1(VALU_DEP_1)
	v_fma_f32 v86, -v75, v85, v84
	v_fmac_f32_e32 v85, v86, v83
	s_delay_alu instid0(VALU_DEP_1) | instskip(NEXT) | instid1(VALU_DEP_1)
	v_fma_f32 v75, -v75, v85, v84
	v_div_fmas_f32 v75, v75, v83, v85
	s_delay_alu instid0(VALU_DEP_1) | instskip(NEXT) | instid1(VALU_DEP_1)
	v_div_fixup_f32 v74, v75, v74, 1.0
	v_mul_f32_e64 v75, v77, -v74
.LBB66_492:
	s_or_b32 exec_lo, exec_lo, s1
.LBB66_493:
	s_delay_alu instid0(SALU_CYCLE_1) | instskip(NEXT) | instid1(SALU_CYCLE_1)
	s_or_b32 exec_lo, exec_lo, s0
	s_mov_b32 s0, exec_lo
	v_cmpx_ne_u32_e64 v82, v76
	s_xor_b32 s0, exec_lo, s0
	s_cbranch_execz .LBB66_499
; %bb.494:
	s_mov_b32 s1, exec_lo
	v_cmpx_eq_u32_e32 23, v82
	s_cbranch_execz .LBB66_498
; %bb.495:
	v_cmp_ne_u32_e32 vcc_lo, 23, v76
	s_xor_b32 s12, s16, -1
	s_delay_alu instid0(SALU_CYCLE_1) | instskip(NEXT) | instid1(SALU_CYCLE_1)
	s_and_b32 s13, s12, vcc_lo
	s_and_saveexec_b32 s12, s13
	s_cbranch_execz .LBB66_497
; %bb.496:
	v_ashrrev_i32_e32 v77, 31, v76
	s_delay_alu instid0(VALU_DEP_1)
	v_lshl_add_u64 v[82:83], v[76:77], 2, v[4:5]
	s_clause 0x1
	global_load_b32 v77, v[82:83], off
	global_load_b32 v81, v[4:5], off offset:92
	s_wait_loadcnt 0x1
	global_store_b32 v[4:5], v77, off offset:92
	s_wait_loadcnt 0x0
	global_store_b32 v[82:83], v81, off
.LBB66_497:
	s_wait_xcnt 0x0
	s_or_b32 exec_lo, exec_lo, s12
	v_dual_mov_b32 v82, v76 :: v_dual_mov_b32 v81, v76
.LBB66_498:
	s_or_b32 exec_lo, exec_lo, s1
.LBB66_499:
	s_and_not1_saveexec_b32 s0, s0
	s_cbranch_execz .LBB66_501
; %bb.500:
	v_dual_mov_b32 v76, v56 :: v_dual_mov_b32 v77, v57
	v_dual_mov_b32 v82, v22 :: v_dual_mov_b32 v83, v23
	ds_store_2addr_b64 v78, v[76:77], v[82:83] offset0:24 offset1:25
	v_dual_mov_b32 v76, v28 :: v_dual_mov_b32 v77, v29
	v_dual_mov_b32 v82, v20 :: v_dual_mov_b32 v83, v21
	ds_store_2addr_b64 v78, v[76:77], v[82:83] offset0:26 offset1:27
	;; [unrolled: 3-line block ×4, first 2 shown]
	v_dual_mov_b32 v76, v32 :: v_dual_mov_b32 v77, v33
	v_mov_b32_e32 v82, 23
	ds_store_2addr_b64 v78, v[76:77], v[72:73] offset0:32 offset1:33
.LBB66_501:
	s_or_b32 exec_lo, exec_lo, s0
	s_delay_alu instid0(SALU_CYCLE_1)
	s_mov_b32 s0, exec_lo
	s_wait_storecnt_dscnt 0x0
	s_barrier_signal -1
	s_barrier_wait -1
	v_cmpx_lt_i32_e32 23, v82
	s_cbranch_execz .LBB66_503
; %bb.502:
	v_pk_mul_f32 v[76:77], v[74:75], v[34:35] op_sel:[1,1] op_sel_hi:[0,1]
	s_delay_alu instid0(VALU_DEP_1)
	v_pk_fma_f32 v[84:85], v[74:75], v[34:35], v[76:77] op_sel_hi:[1,0,1] neg_lo:[0,0,1] neg_hi:[0,0,1]
	v_pk_fma_f32 v[86:87], v[74:75], v[34:35], v[76:77] op_sel_hi:[1,0,1]
	ds_load_2addr_b64 v[74:77], v78 offset0:24 offset1:25
	v_dual_mov_b32 v34, v84 :: v_dual_mov_b32 v35, v87
	s_wait_dscnt 0x0
	v_pk_mul_f32 v[88:89], v[74:75], v[86:87] op_sel:[0,1]
	s_delay_alu instid0(VALU_DEP_1) | instskip(SKIP_1) | instid1(VALU_DEP_1)
	v_pk_fma_f32 v[90:91], v[74:75], v[84:85], v[88:89] op_sel:[0,0,1] op_sel_hi:[1,1,0] neg_lo:[0,0,1] neg_hi:[0,0,1]
	v_pk_fma_f32 v[74:75], v[74:75], v[84:85], v[88:89] op_sel:[0,0,1] op_sel_hi:[1,0,0]
	v_mov_b32_e32 v91, v75
	v_pk_mul_f32 v[74:75], v[76:77], v[86:87] op_sel:[0,1]
	s_delay_alu instid0(VALU_DEP_1) | instskip(SKIP_1) | instid1(VALU_DEP_1)
	v_pk_fma_f32 v[88:89], v[76:77], v[84:85], v[74:75] op_sel:[0,0,1] op_sel_hi:[1,1,0] neg_lo:[0,0,1] neg_hi:[0,0,1]
	v_pk_fma_f32 v[74:75], v[76:77], v[84:85], v[74:75] op_sel:[0,0,1] op_sel_hi:[1,0,0]
	v_mov_b32_e32 v89, v75
	ds_load_2addr_b64 v[74:77], v78 offset0:26 offset1:27
	v_pk_add_f32 v[56:57], v[56:57], v[90:91] neg_lo:[0,1] neg_hi:[0,1]
	v_pk_add_f32 v[22:23], v[22:23], v[88:89] neg_lo:[0,1] neg_hi:[0,1]
	s_wait_dscnt 0x0
	v_pk_mul_f32 v[88:89], v[74:75], v[86:87] op_sel:[0,1]
	s_delay_alu instid0(VALU_DEP_1) | instskip(SKIP_2) | instid1(VALU_DEP_2)
	v_pk_fma_f32 v[90:91], v[74:75], v[84:85], v[88:89] op_sel:[0,0,1] op_sel_hi:[1,1,0] neg_lo:[0,0,1] neg_hi:[0,0,1]
	v_pk_fma_f32 v[74:75], v[74:75], v[84:85], v[88:89] op_sel:[0,0,1] op_sel_hi:[1,0,0]
	v_dual_mul_f32 v88, v77, v87 :: v_dual_mov_b32 v74, v77
	v_dual_mov_b32 v91, v75 :: v_dual_mov_b32 v75, v76
	s_delay_alu instid0(VALU_DEP_2) | instskip(SKIP_1) | instid1(VALU_DEP_3)
	v_pk_fma_f32 v[88:89], v[76:77], v[34:35], v[88:89] op_sel_hi:[1,1,0] neg_lo:[0,0,1] neg_hi:[0,0,1]
	v_mul_f32_e32 v76, v77, v84
	v_pk_add_f32 v[28:29], v[28:29], v[90:91] neg_lo:[0,1] neg_hi:[0,1]
	s_delay_alu instid0(VALU_DEP_2) | instskip(NEXT) | instid1(VALU_DEP_1)
	v_pk_fma_f32 v[74:75], v[74:75], v[34:35], v[76:77] op_sel_hi:[1,1,0]
	v_mov_b32_e32 v89, v75
	ds_load_2addr_b64 v[74:77], v78 offset0:28 offset1:29
	v_pk_add_f32 v[20:21], v[20:21], v[88:89] neg_lo:[0,1] neg_hi:[0,1]
	s_wait_dscnt 0x0
	v_pk_mul_f32 v[88:89], v[74:75], v[86:87] op_sel:[0,1]
	s_delay_alu instid0(VALU_DEP_1) | instskip(SKIP_1) | instid1(VALU_DEP_1)
	v_pk_fma_f32 v[90:91], v[74:75], v[84:85], v[88:89] op_sel:[0,0,1] op_sel_hi:[1,1,0] neg_lo:[0,0,1] neg_hi:[0,0,1]
	v_pk_fma_f32 v[74:75], v[74:75], v[84:85], v[88:89] op_sel:[0,0,1] op_sel_hi:[1,0,0]
	v_mov_b32_e32 v91, v75
	v_pk_mul_f32 v[74:75], v[76:77], v[86:87] op_sel:[0,1]
	s_delay_alu instid0(VALU_DEP_1) | instskip(SKIP_1) | instid1(VALU_DEP_1)
	v_pk_fma_f32 v[88:89], v[76:77], v[84:85], v[74:75] op_sel:[0,0,1] op_sel_hi:[1,1,0] neg_lo:[0,0,1] neg_hi:[0,0,1]
	v_pk_fma_f32 v[74:75], v[76:77], v[84:85], v[74:75] op_sel:[0,0,1] op_sel_hi:[1,0,0]
	v_mov_b32_e32 v89, v75
	ds_load_2addr_b64 v[74:77], v78 offset0:30 offset1:31
	v_pk_add_f32 v[50:51], v[50:51], v[90:91] neg_lo:[0,1] neg_hi:[0,1]
	v_pk_add_f32 v[12:13], v[12:13], v[88:89] neg_lo:[0,1] neg_hi:[0,1]
	s_wait_dscnt 0x0
	v_pk_mul_f32 v[88:89], v[74:75], v[86:87] op_sel:[0,1]
	s_delay_alu instid0(VALU_DEP_1) | instskip(SKIP_1) | instid1(VALU_DEP_1)
	v_pk_fma_f32 v[90:91], v[74:75], v[84:85], v[88:89] op_sel:[0,0,1] op_sel_hi:[1,1,0] neg_lo:[0,0,1] neg_hi:[0,0,1]
	v_pk_fma_f32 v[74:75], v[74:75], v[84:85], v[88:89] op_sel:[0,0,1] op_sel_hi:[1,0,0]
	v_mov_b32_e32 v91, v75
	v_pk_mul_f32 v[74:75], v[76:77], v[86:87] op_sel:[0,1]
	s_delay_alu instid0(VALU_DEP_1) | instskip(SKIP_1) | instid1(VALU_DEP_1)
	v_pk_fma_f32 v[88:89], v[76:77], v[84:85], v[74:75] op_sel:[0,0,1] op_sel_hi:[1,1,0] neg_lo:[0,0,1] neg_hi:[0,0,1]
	v_pk_fma_f32 v[74:75], v[76:77], v[84:85], v[74:75] op_sel:[0,0,1] op_sel_hi:[1,0,0]
	v_mov_b32_e32 v89, v75
	ds_load_2addr_b64 v[74:77], v78 offset0:32 offset1:33
	v_pk_add_f32 v[48:49], v[48:49], v[90:91] neg_lo:[0,1] neg_hi:[0,1]
	v_pk_add_f32 v[46:47], v[46:47], v[88:89] neg_lo:[0,1] neg_hi:[0,1]
	s_wait_dscnt 0x0
	v_dual_mul_f32 v88, v75, v87 :: v_dual_mul_f32 v90, v75, v84
	s_delay_alu instid0(VALU_DEP_1) | instskip(NEXT) | instid1(VALU_DEP_2)
	v_pk_fma_f32 v[88:89], v[74:75], v[34:35], v[88:89] op_sel_hi:[1,1,0] neg_lo:[0,0,1] neg_hi:[0,0,1]
	v_pk_fma_f32 v[74:75], v[74:75], v[34:35], v[90:91] op_sel:[1,0,0] op_sel_hi:[0,1,0]
	s_delay_alu instid0(VALU_DEP_1) | instskip(SKIP_1) | instid1(VALU_DEP_1)
	v_mov_b32_e32 v89, v75
	v_pk_mul_f32 v[74:75], v[76:77], v[86:87] op_sel:[0,1]
	v_pk_fma_f32 v[86:87], v[76:77], v[84:85], v[74:75] op_sel:[0,0,1] op_sel_hi:[1,1,0] neg_lo:[0,0,1] neg_hi:[0,0,1]
	v_pk_fma_f32 v[74:75], v[76:77], v[84:85], v[74:75] op_sel:[0,0,1] op_sel_hi:[1,0,0]
	s_delay_alu instid0(VALU_DEP_1) | instskip(SKIP_1) | instid1(VALU_DEP_2)
	v_mov_b32_e32 v87, v75
	v_pk_add_f32 v[32:33], v[32:33], v[88:89] neg_lo:[0,1] neg_hi:[0,1]
	v_pk_add_f32 v[72:73], v[72:73], v[86:87] neg_lo:[0,1] neg_hi:[0,1]
.LBB66_503:
	s_or_b32 exec_lo, exec_lo, s0
	v_lshl_add_u32 v74, v82, 3, v78
	s_barrier_signal -1
	s_barrier_wait -1
	ds_store_b64 v74, v[56:57]
	s_wait_dscnt 0x0
	s_barrier_signal -1
	s_barrier_wait -1
	ds_load_b64 v[74:75], v78 offset:192
	v_mov_b32_e32 v76, 24
	s_cmp_lt_i32 s18, 26
	s_cbranch_scc1 .LBB66_506
; %bb.504:
	v_add3_u32 v77, v79, 0, 0xc8
	v_mov_b32_e32 v76, 24
	s_mov_b32 s0, 25
.LBB66_505:                             ; =>This Inner Loop Header: Depth=1
	ds_load_b64 v[84:85], v77
	s_wait_dscnt 0x1
	v_cmp_gt_f32_e32 vcc_lo, 0, v74
	v_cndmask_b32_e64 v86, v74, -v74, vcc_lo
	v_cmp_gt_f32_e32 vcc_lo, 0, v75
	v_cndmask_b32_e64 v88, v75, -v75, vcc_lo
	s_wait_dscnt 0x0
	v_cmp_gt_f32_e32 vcc_lo, 0, v84
	v_cndmask_b32_e64 v87, v84, -v84, vcc_lo
	v_cmp_gt_f32_e32 vcc_lo, 0, v85
	v_cndmask_b32_e64 v89, v85, -v85, vcc_lo
	s_delay_alu instid0(VALU_DEP_1) | instskip(NEXT) | instid1(VALU_DEP_1)
	v_pk_add_f32 v[86:87], v[86:87], v[88:89]
	v_cmp_lt_f32_e32 vcc_lo, v86, v87
	v_dual_cndmask_b32 v74, v74, v84 :: v_dual_add_nc_u32 v77, 8, v77
	v_cndmask_b32_e32 v75, v75, v85, vcc_lo
	v_cndmask_b32_e64 v76, v76, s0, vcc_lo
	s_add_co_i32 s0, s0, 1
	s_delay_alu instid0(SALU_CYCLE_1)
	s_cmp_lg_u32 s18, s0
	s_cbranch_scc1 .LBB66_505
.LBB66_506:
	s_wait_dscnt 0x0
	v_cmp_eq_f32_e32 vcc_lo, 0, v74
	v_cmp_eq_f32_e64 s0, 0, v75
	s_and_b32 s0, vcc_lo, s0
	s_delay_alu instid0(SALU_CYCLE_1) | instskip(NEXT) | instid1(SALU_CYCLE_1)
	s_and_saveexec_b32 s1, s0
	s_xor_b32 s0, exec_lo, s1
; %bb.507:
	v_cmp_ne_u32_e32 vcc_lo, 0, v80
	v_cndmask_b32_e32 v80, 25, v80, vcc_lo
; %bb.508:
	s_and_not1_saveexec_b32 s0, s0
	s_cbranch_execz .LBB66_514
; %bb.509:
	v_cmp_ngt_f32_e64 s1, |v74|, |v75|
	s_and_saveexec_b32 s12, s1
	s_delay_alu instid0(SALU_CYCLE_1)
	s_xor_b32 s1, exec_lo, s12
	s_cbranch_execz .LBB66_511
; %bb.510:
	v_div_scale_f32 v77, null, v75, v75, v74
	v_div_scale_f32 v85, vcc_lo, v74, v75, v74
	s_delay_alu instid0(VALU_DEP_2) | instskip(SKIP_1) | instid1(TRANS32_DEP_1)
	v_rcp_f32_e32 v83, v77
	v_nop
	v_fma_f32 v84, -v77, v83, 1.0
	s_delay_alu instid0(VALU_DEP_1) | instskip(NEXT) | instid1(VALU_DEP_1)
	v_fmac_f32_e32 v83, v84, v83
	v_mul_f32_e32 v84, v85, v83
	s_delay_alu instid0(VALU_DEP_1) | instskip(NEXT) | instid1(VALU_DEP_1)
	v_fma_f32 v86, -v77, v84, v85
	v_fmac_f32_e32 v84, v86, v83
	s_delay_alu instid0(VALU_DEP_1) | instskip(NEXT) | instid1(VALU_DEP_1)
	v_fma_f32 v77, -v77, v84, v85
	v_div_fmas_f32 v77, v77, v83, v84
	s_delay_alu instid0(VALU_DEP_1) | instskip(NEXT) | instid1(VALU_DEP_1)
	v_div_fixup_f32 v77, v77, v75, v74
	v_fmac_f32_e32 v75, v74, v77
	s_delay_alu instid0(VALU_DEP_1) | instskip(SKIP_1) | instid1(VALU_DEP_2)
	v_div_scale_f32 v74, null, v75, v75, 1.0
	v_div_scale_f32 v85, vcc_lo, 1.0, v75, 1.0
	v_rcp_f32_e32 v83, v74
	v_nop
	s_delay_alu instid0(TRANS32_DEP_1) | instskip(NEXT) | instid1(VALU_DEP_1)
	v_fma_f32 v84, -v74, v83, 1.0
	v_fmac_f32_e32 v83, v84, v83
	s_delay_alu instid0(VALU_DEP_1) | instskip(NEXT) | instid1(VALU_DEP_1)
	v_mul_f32_e32 v84, v85, v83
	v_fma_f32 v86, -v74, v84, v85
	s_delay_alu instid0(VALU_DEP_1) | instskip(NEXT) | instid1(VALU_DEP_1)
	v_fmac_f32_e32 v84, v86, v83
	v_fma_f32 v74, -v74, v84, v85
	s_delay_alu instid0(VALU_DEP_1) | instskip(NEXT) | instid1(VALU_DEP_1)
	v_div_fmas_f32 v74, v74, v83, v84
	v_div_fixup_f32 v75, v74, v75, 1.0
	s_delay_alu instid0(VALU_DEP_1)
	v_mul_f32_e32 v74, v77, v75
	v_xor_b32_e32 v75, 0x80000000, v75
.LBB66_511:
	s_and_not1_saveexec_b32 s1, s1
	s_cbranch_execz .LBB66_513
; %bb.512:
	s_delay_alu instid0(VALU_DEP_1) | instskip(SKIP_1) | instid1(VALU_DEP_2)
	v_div_scale_f32 v77, null, v74, v74, v75
	v_div_scale_f32 v85, vcc_lo, v75, v74, v75
	v_rcp_f32_e32 v83, v77
	v_nop
	s_delay_alu instid0(TRANS32_DEP_1) | instskip(NEXT) | instid1(VALU_DEP_1)
	v_fma_f32 v84, -v77, v83, 1.0
	v_fmac_f32_e32 v83, v84, v83
	s_delay_alu instid0(VALU_DEP_1) | instskip(NEXT) | instid1(VALU_DEP_1)
	v_mul_f32_e32 v84, v85, v83
	v_fma_f32 v86, -v77, v84, v85
	s_delay_alu instid0(VALU_DEP_1) | instskip(NEXT) | instid1(VALU_DEP_1)
	v_fmac_f32_e32 v84, v86, v83
	v_fma_f32 v77, -v77, v84, v85
	s_delay_alu instid0(VALU_DEP_1) | instskip(NEXT) | instid1(VALU_DEP_1)
	v_div_fmas_f32 v77, v77, v83, v84
	v_div_fixup_f32 v77, v77, v74, v75
	s_delay_alu instid0(VALU_DEP_1) | instskip(NEXT) | instid1(VALU_DEP_1)
	v_fmac_f32_e32 v74, v75, v77
	v_div_scale_f32 v75, null, v74, v74, 1.0
	s_delay_alu instid0(VALU_DEP_1) | instskip(SKIP_1) | instid1(TRANS32_DEP_1)
	v_rcp_f32_e32 v83, v75
	v_nop
	v_fma_f32 v84, -v75, v83, 1.0
	s_delay_alu instid0(VALU_DEP_1) | instskip(SKIP_1) | instid1(VALU_DEP_1)
	v_fmac_f32_e32 v83, v84, v83
	v_div_scale_f32 v84, vcc_lo, 1.0, v74, 1.0
	v_mul_f32_e32 v85, v84, v83
	s_delay_alu instid0(VALU_DEP_1) | instskip(NEXT) | instid1(VALU_DEP_1)
	v_fma_f32 v86, -v75, v85, v84
	v_fmac_f32_e32 v85, v86, v83
	s_delay_alu instid0(VALU_DEP_1) | instskip(NEXT) | instid1(VALU_DEP_1)
	v_fma_f32 v75, -v75, v85, v84
	v_div_fmas_f32 v75, v75, v83, v85
	s_delay_alu instid0(VALU_DEP_1) | instskip(NEXT) | instid1(VALU_DEP_1)
	v_div_fixup_f32 v74, v75, v74, 1.0
	v_mul_f32_e64 v75, v77, -v74
.LBB66_513:
	s_or_b32 exec_lo, exec_lo, s1
.LBB66_514:
	s_delay_alu instid0(SALU_CYCLE_1) | instskip(NEXT) | instid1(SALU_CYCLE_1)
	s_or_b32 exec_lo, exec_lo, s0
	s_mov_b32 s0, exec_lo
	v_cmpx_ne_u32_e64 v82, v76
	s_xor_b32 s0, exec_lo, s0
	s_cbranch_execz .LBB66_520
; %bb.515:
	s_mov_b32 s1, exec_lo
	v_cmpx_eq_u32_e32 24, v82
	s_cbranch_execz .LBB66_519
; %bb.516:
	v_cmp_ne_u32_e32 vcc_lo, 24, v76
	s_xor_b32 s12, s16, -1
	s_delay_alu instid0(SALU_CYCLE_1) | instskip(NEXT) | instid1(SALU_CYCLE_1)
	s_and_b32 s13, s12, vcc_lo
	s_and_saveexec_b32 s12, s13
	s_cbranch_execz .LBB66_518
; %bb.517:
	v_ashrrev_i32_e32 v77, 31, v76
	s_delay_alu instid0(VALU_DEP_1)
	v_lshl_add_u64 v[82:83], v[76:77], 2, v[4:5]
	s_clause 0x1
	global_load_b32 v77, v[82:83], off
	global_load_b32 v81, v[4:5], off offset:96
	s_wait_loadcnt 0x1
	global_store_b32 v[4:5], v77, off offset:96
	s_wait_loadcnt 0x0
	global_store_b32 v[82:83], v81, off
.LBB66_518:
	s_wait_xcnt 0x0
	s_or_b32 exec_lo, exec_lo, s12
	v_dual_mov_b32 v82, v76 :: v_dual_mov_b32 v81, v76
.LBB66_519:
	s_or_b32 exec_lo, exec_lo, s1
.LBB66_520:
	s_and_not1_saveexec_b32 s0, s0
	s_cbranch_execz .LBB66_522
; %bb.521:
	v_mov_b32_e32 v82, 24
	ds_store_2addr_b64 v78, v[22:23], v[28:29] offset0:25 offset1:26
	ds_store_2addr_b64 v78, v[20:21], v[50:51] offset0:27 offset1:28
	;; [unrolled: 1-line block ×4, first 2 shown]
	ds_store_b64 v78, v[72:73] offset:264
.LBB66_522:
	s_or_b32 exec_lo, exec_lo, s0
	s_delay_alu instid0(SALU_CYCLE_1)
	s_mov_b32 s0, exec_lo
	s_wait_storecnt_dscnt 0x0
	s_barrier_signal -1
	s_barrier_wait -1
	v_cmpx_lt_i32_e32 24, v82
	s_cbranch_execz .LBB66_524
; %bb.523:
	v_pk_mul_f32 v[76:77], v[74:75], v[56:57] op_sel:[1,1] op_sel_hi:[0,1]
	s_delay_alu instid0(VALU_DEP_1)
	v_pk_fma_f32 v[84:85], v[74:75], v[56:57], v[76:77] op_sel_hi:[1,0,1] neg_lo:[0,0,1] neg_hi:[0,0,1]
	v_pk_fma_f32 v[86:87], v[74:75], v[56:57], v[76:77] op_sel_hi:[1,0,1]
	ds_load_2addr_b64 v[74:77], v78 offset0:25 offset1:26
	v_dual_mov_b32 v56, v84 :: v_dual_mov_b32 v57, v87
	s_wait_dscnt 0x0
	v_pk_mul_f32 v[88:89], v[74:75], v[86:87] op_sel:[0,1]
	s_delay_alu instid0(VALU_DEP_1) | instskip(SKIP_1) | instid1(VALU_DEP_1)
	v_pk_fma_f32 v[90:91], v[74:75], v[84:85], v[88:89] op_sel:[0,0,1] op_sel_hi:[1,1,0] neg_lo:[0,0,1] neg_hi:[0,0,1]
	v_pk_fma_f32 v[74:75], v[74:75], v[84:85], v[88:89] op_sel:[0,0,1] op_sel_hi:[1,0,0]
	v_mov_b32_e32 v91, v75
	v_pk_mul_f32 v[74:75], v[76:77], v[86:87] op_sel:[0,1]
	s_delay_alu instid0(VALU_DEP_1) | instskip(SKIP_1) | instid1(VALU_DEP_1)
	v_pk_fma_f32 v[88:89], v[76:77], v[84:85], v[74:75] op_sel:[0,0,1] op_sel_hi:[1,1,0] neg_lo:[0,0,1] neg_hi:[0,0,1]
	v_pk_fma_f32 v[74:75], v[76:77], v[84:85], v[74:75] op_sel:[0,0,1] op_sel_hi:[1,0,0]
	v_mov_b32_e32 v89, v75
	ds_load_2addr_b64 v[74:77], v78 offset0:27 offset1:28
	v_pk_add_f32 v[22:23], v[22:23], v[90:91] neg_lo:[0,1] neg_hi:[0,1]
	v_pk_add_f32 v[28:29], v[28:29], v[88:89] neg_lo:[0,1] neg_hi:[0,1]
	s_wait_dscnt 0x0
	v_pk_mul_f32 v[88:89], v[74:75], v[86:87] op_sel:[0,1]
	s_delay_alu instid0(VALU_DEP_1) | instskip(SKIP_2) | instid1(VALU_DEP_2)
	v_pk_fma_f32 v[90:91], v[74:75], v[84:85], v[88:89] op_sel:[0,0,1] op_sel_hi:[1,1,0] neg_lo:[0,0,1] neg_hi:[0,0,1]
	v_pk_fma_f32 v[74:75], v[74:75], v[84:85], v[88:89] op_sel:[0,0,1] op_sel_hi:[1,0,0]
	v_dual_mul_f32 v88, v77, v87 :: v_dual_mov_b32 v74, v77
	v_dual_mov_b32 v91, v75 :: v_dual_mov_b32 v75, v76
	s_delay_alu instid0(VALU_DEP_2) | instskip(SKIP_1) | instid1(VALU_DEP_3)
	v_pk_fma_f32 v[88:89], v[76:77], v[56:57], v[88:89] op_sel_hi:[1,1,0] neg_lo:[0,0,1] neg_hi:[0,0,1]
	v_mul_f32_e32 v76, v77, v84
	v_pk_add_f32 v[20:21], v[20:21], v[90:91] neg_lo:[0,1] neg_hi:[0,1]
	s_delay_alu instid0(VALU_DEP_2) | instskip(NEXT) | instid1(VALU_DEP_1)
	v_pk_fma_f32 v[74:75], v[74:75], v[56:57], v[76:77] op_sel_hi:[1,1,0]
	v_mov_b32_e32 v89, v75
	ds_load_2addr_b64 v[74:77], v78 offset0:29 offset1:30
	v_pk_add_f32 v[50:51], v[50:51], v[88:89] neg_lo:[0,1] neg_hi:[0,1]
	s_wait_dscnt 0x0
	v_pk_mul_f32 v[88:89], v[74:75], v[86:87] op_sel:[0,1]
	s_delay_alu instid0(VALU_DEP_1) | instskip(SKIP_1) | instid1(VALU_DEP_1)
	v_pk_fma_f32 v[90:91], v[74:75], v[84:85], v[88:89] op_sel:[0,0,1] op_sel_hi:[1,1,0] neg_lo:[0,0,1] neg_hi:[0,0,1]
	v_pk_fma_f32 v[74:75], v[74:75], v[84:85], v[88:89] op_sel:[0,0,1] op_sel_hi:[1,0,0]
	v_mov_b32_e32 v91, v75
	v_pk_mul_f32 v[74:75], v[76:77], v[86:87] op_sel:[0,1]
	s_delay_alu instid0(VALU_DEP_1) | instskip(SKIP_1) | instid1(VALU_DEP_1)
	v_pk_fma_f32 v[88:89], v[76:77], v[84:85], v[74:75] op_sel:[0,0,1] op_sel_hi:[1,1,0] neg_lo:[0,0,1] neg_hi:[0,0,1]
	v_pk_fma_f32 v[74:75], v[76:77], v[84:85], v[74:75] op_sel:[0,0,1] op_sel_hi:[1,0,0]
	v_mov_b32_e32 v89, v75
	ds_load_2addr_b64 v[74:77], v78 offset0:31 offset1:32
	v_pk_add_f32 v[12:13], v[12:13], v[90:91] neg_lo:[0,1] neg_hi:[0,1]
	v_pk_add_f32 v[48:49], v[48:49], v[88:89] neg_lo:[0,1] neg_hi:[0,1]
	s_wait_dscnt 0x0
	v_pk_mul_f32 v[88:89], v[74:75], v[86:87] op_sel:[0,1]
	s_delay_alu instid0(VALU_DEP_1) | instskip(SKIP_1) | instid1(VALU_DEP_1)
	v_pk_fma_f32 v[90:91], v[74:75], v[84:85], v[88:89] op_sel:[0,0,1] op_sel_hi:[1,1,0] neg_lo:[0,0,1] neg_hi:[0,0,1]
	v_pk_fma_f32 v[74:75], v[74:75], v[84:85], v[88:89] op_sel:[0,0,1] op_sel_hi:[1,0,0]
	v_mov_b32_e32 v91, v75
	v_pk_mul_f32 v[74:75], v[76:77], v[86:87] op_sel:[0,1]
	s_delay_alu instid0(VALU_DEP_1) | instskip(SKIP_1) | instid1(VALU_DEP_1)
	v_pk_fma_f32 v[88:89], v[76:77], v[84:85], v[74:75] op_sel:[0,0,1] op_sel_hi:[1,1,0] neg_lo:[0,0,1] neg_hi:[0,0,1]
	v_pk_fma_f32 v[74:75], v[76:77], v[84:85], v[74:75] op_sel:[0,0,1] op_sel_hi:[1,0,0]
	v_mov_b32_e32 v89, v75
	ds_load_b64 v[74:75], v78 offset:264
	v_pk_add_f32 v[46:47], v[46:47], v[90:91] neg_lo:[0,1] neg_hi:[0,1]
	v_pk_add_f32 v[32:33], v[32:33], v[88:89] neg_lo:[0,1] neg_hi:[0,1]
	s_wait_dscnt 0x0
	v_pk_mul_f32 v[76:77], v[74:75], v[86:87] op_sel:[0,1]
	s_delay_alu instid0(VALU_DEP_1) | instskip(SKIP_1) | instid1(VALU_DEP_1)
	v_pk_fma_f32 v[86:87], v[74:75], v[84:85], v[76:77] op_sel:[0,0,1] op_sel_hi:[1,1,0] neg_lo:[0,0,1] neg_hi:[0,0,1]
	v_pk_fma_f32 v[74:75], v[74:75], v[84:85], v[76:77] op_sel:[0,0,1] op_sel_hi:[1,0,0]
	v_mov_b32_e32 v87, v75
	s_delay_alu instid0(VALU_DEP_1)
	v_pk_add_f32 v[72:73], v[72:73], v[86:87] neg_lo:[0,1] neg_hi:[0,1]
.LBB66_524:
	s_or_b32 exec_lo, exec_lo, s0
	v_lshl_add_u32 v74, v82, 3, v78
	s_barrier_signal -1
	s_barrier_wait -1
	ds_store_b64 v74, v[22:23]
	s_wait_dscnt 0x0
	s_barrier_signal -1
	s_barrier_wait -1
	ds_load_b64 v[74:75], v78 offset:200
	v_mov_b32_e32 v76, 25
	s_cmp_lt_i32 s18, 27
	s_cbranch_scc1 .LBB66_527
; %bb.525:
	v_add3_u32 v77, v79, 0, 0xd0
	v_mov_b32_e32 v76, 25
	s_mov_b32 s0, 26
.LBB66_526:                             ; =>This Inner Loop Header: Depth=1
	ds_load_b64 v[84:85], v77
	s_wait_dscnt 0x1
	v_cmp_gt_f32_e32 vcc_lo, 0, v74
	v_cndmask_b32_e64 v86, v74, -v74, vcc_lo
	v_cmp_gt_f32_e32 vcc_lo, 0, v75
	v_cndmask_b32_e64 v88, v75, -v75, vcc_lo
	s_wait_dscnt 0x0
	v_cmp_gt_f32_e32 vcc_lo, 0, v84
	v_cndmask_b32_e64 v87, v84, -v84, vcc_lo
	v_cmp_gt_f32_e32 vcc_lo, 0, v85
	v_cndmask_b32_e64 v89, v85, -v85, vcc_lo
	s_delay_alu instid0(VALU_DEP_1) | instskip(NEXT) | instid1(VALU_DEP_1)
	v_pk_add_f32 v[86:87], v[86:87], v[88:89]
	v_cmp_lt_f32_e32 vcc_lo, v86, v87
	v_dual_cndmask_b32 v74, v74, v84 :: v_dual_add_nc_u32 v77, 8, v77
	v_cndmask_b32_e32 v75, v75, v85, vcc_lo
	v_cndmask_b32_e64 v76, v76, s0, vcc_lo
	s_add_co_i32 s0, s0, 1
	s_delay_alu instid0(SALU_CYCLE_1)
	s_cmp_lg_u32 s18, s0
	s_cbranch_scc1 .LBB66_526
.LBB66_527:
	s_wait_dscnt 0x0
	v_cmp_eq_f32_e32 vcc_lo, 0, v74
	v_cmp_eq_f32_e64 s0, 0, v75
	s_and_b32 s0, vcc_lo, s0
	s_delay_alu instid0(SALU_CYCLE_1) | instskip(NEXT) | instid1(SALU_CYCLE_1)
	s_and_saveexec_b32 s1, s0
	s_xor_b32 s0, exec_lo, s1
; %bb.528:
	v_cmp_ne_u32_e32 vcc_lo, 0, v80
	v_cndmask_b32_e32 v80, 26, v80, vcc_lo
; %bb.529:
	s_and_not1_saveexec_b32 s0, s0
	s_cbranch_execz .LBB66_535
; %bb.530:
	v_cmp_ngt_f32_e64 s1, |v74|, |v75|
	s_and_saveexec_b32 s12, s1
	s_delay_alu instid0(SALU_CYCLE_1)
	s_xor_b32 s1, exec_lo, s12
	s_cbranch_execz .LBB66_532
; %bb.531:
	v_div_scale_f32 v77, null, v75, v75, v74
	v_div_scale_f32 v85, vcc_lo, v74, v75, v74
	s_delay_alu instid0(VALU_DEP_2) | instskip(SKIP_1) | instid1(TRANS32_DEP_1)
	v_rcp_f32_e32 v83, v77
	v_nop
	v_fma_f32 v84, -v77, v83, 1.0
	s_delay_alu instid0(VALU_DEP_1) | instskip(NEXT) | instid1(VALU_DEP_1)
	v_fmac_f32_e32 v83, v84, v83
	v_mul_f32_e32 v84, v85, v83
	s_delay_alu instid0(VALU_DEP_1) | instskip(NEXT) | instid1(VALU_DEP_1)
	v_fma_f32 v86, -v77, v84, v85
	v_fmac_f32_e32 v84, v86, v83
	s_delay_alu instid0(VALU_DEP_1) | instskip(NEXT) | instid1(VALU_DEP_1)
	v_fma_f32 v77, -v77, v84, v85
	v_div_fmas_f32 v77, v77, v83, v84
	s_delay_alu instid0(VALU_DEP_1) | instskip(NEXT) | instid1(VALU_DEP_1)
	v_div_fixup_f32 v77, v77, v75, v74
	v_fmac_f32_e32 v75, v74, v77
	s_delay_alu instid0(VALU_DEP_1) | instskip(SKIP_1) | instid1(VALU_DEP_2)
	v_div_scale_f32 v74, null, v75, v75, 1.0
	v_div_scale_f32 v85, vcc_lo, 1.0, v75, 1.0
	v_rcp_f32_e32 v83, v74
	v_nop
	s_delay_alu instid0(TRANS32_DEP_1) | instskip(NEXT) | instid1(VALU_DEP_1)
	v_fma_f32 v84, -v74, v83, 1.0
	v_fmac_f32_e32 v83, v84, v83
	s_delay_alu instid0(VALU_DEP_1) | instskip(NEXT) | instid1(VALU_DEP_1)
	v_mul_f32_e32 v84, v85, v83
	v_fma_f32 v86, -v74, v84, v85
	s_delay_alu instid0(VALU_DEP_1) | instskip(NEXT) | instid1(VALU_DEP_1)
	v_fmac_f32_e32 v84, v86, v83
	v_fma_f32 v74, -v74, v84, v85
	s_delay_alu instid0(VALU_DEP_1) | instskip(NEXT) | instid1(VALU_DEP_1)
	v_div_fmas_f32 v74, v74, v83, v84
	v_div_fixup_f32 v75, v74, v75, 1.0
	s_delay_alu instid0(VALU_DEP_1)
	v_mul_f32_e32 v74, v77, v75
	v_xor_b32_e32 v75, 0x80000000, v75
.LBB66_532:
	s_and_not1_saveexec_b32 s1, s1
	s_cbranch_execz .LBB66_534
; %bb.533:
	s_delay_alu instid0(VALU_DEP_1) | instskip(SKIP_1) | instid1(VALU_DEP_2)
	v_div_scale_f32 v77, null, v74, v74, v75
	v_div_scale_f32 v85, vcc_lo, v75, v74, v75
	v_rcp_f32_e32 v83, v77
	v_nop
	s_delay_alu instid0(TRANS32_DEP_1) | instskip(NEXT) | instid1(VALU_DEP_1)
	v_fma_f32 v84, -v77, v83, 1.0
	v_fmac_f32_e32 v83, v84, v83
	s_delay_alu instid0(VALU_DEP_1) | instskip(NEXT) | instid1(VALU_DEP_1)
	v_mul_f32_e32 v84, v85, v83
	v_fma_f32 v86, -v77, v84, v85
	s_delay_alu instid0(VALU_DEP_1) | instskip(NEXT) | instid1(VALU_DEP_1)
	v_fmac_f32_e32 v84, v86, v83
	v_fma_f32 v77, -v77, v84, v85
	s_delay_alu instid0(VALU_DEP_1) | instskip(NEXT) | instid1(VALU_DEP_1)
	v_div_fmas_f32 v77, v77, v83, v84
	v_div_fixup_f32 v77, v77, v74, v75
	s_delay_alu instid0(VALU_DEP_1) | instskip(NEXT) | instid1(VALU_DEP_1)
	v_fmac_f32_e32 v74, v75, v77
	v_div_scale_f32 v75, null, v74, v74, 1.0
	s_delay_alu instid0(VALU_DEP_1) | instskip(SKIP_1) | instid1(TRANS32_DEP_1)
	v_rcp_f32_e32 v83, v75
	v_nop
	v_fma_f32 v84, -v75, v83, 1.0
	s_delay_alu instid0(VALU_DEP_1) | instskip(SKIP_1) | instid1(VALU_DEP_1)
	v_fmac_f32_e32 v83, v84, v83
	v_div_scale_f32 v84, vcc_lo, 1.0, v74, 1.0
	v_mul_f32_e32 v85, v84, v83
	s_delay_alu instid0(VALU_DEP_1) | instskip(NEXT) | instid1(VALU_DEP_1)
	v_fma_f32 v86, -v75, v85, v84
	v_fmac_f32_e32 v85, v86, v83
	s_delay_alu instid0(VALU_DEP_1) | instskip(NEXT) | instid1(VALU_DEP_1)
	v_fma_f32 v75, -v75, v85, v84
	v_div_fmas_f32 v75, v75, v83, v85
	s_delay_alu instid0(VALU_DEP_1) | instskip(NEXT) | instid1(VALU_DEP_1)
	v_div_fixup_f32 v74, v75, v74, 1.0
	v_mul_f32_e64 v75, v77, -v74
.LBB66_534:
	s_or_b32 exec_lo, exec_lo, s1
.LBB66_535:
	s_delay_alu instid0(SALU_CYCLE_1) | instskip(NEXT) | instid1(SALU_CYCLE_1)
	s_or_b32 exec_lo, exec_lo, s0
	s_mov_b32 s0, exec_lo
	v_cmpx_ne_u32_e64 v82, v76
	s_xor_b32 s0, exec_lo, s0
	s_cbranch_execz .LBB66_541
; %bb.536:
	s_mov_b32 s1, exec_lo
	v_cmpx_eq_u32_e32 25, v82
	s_cbranch_execz .LBB66_540
; %bb.537:
	v_cmp_ne_u32_e32 vcc_lo, 25, v76
	s_xor_b32 s12, s16, -1
	s_delay_alu instid0(SALU_CYCLE_1) | instskip(NEXT) | instid1(SALU_CYCLE_1)
	s_and_b32 s13, s12, vcc_lo
	s_and_saveexec_b32 s12, s13
	s_cbranch_execz .LBB66_539
; %bb.538:
	v_ashrrev_i32_e32 v77, 31, v76
	s_delay_alu instid0(VALU_DEP_1)
	v_lshl_add_u64 v[82:83], v[76:77], 2, v[4:5]
	s_clause 0x1
	global_load_b32 v77, v[82:83], off
	global_load_b32 v81, v[4:5], off offset:100
	s_wait_loadcnt 0x1
	global_store_b32 v[4:5], v77, off offset:100
	s_wait_loadcnt 0x0
	global_store_b32 v[82:83], v81, off
.LBB66_539:
	s_wait_xcnt 0x0
	s_or_b32 exec_lo, exec_lo, s12
	v_dual_mov_b32 v82, v76 :: v_dual_mov_b32 v81, v76
.LBB66_540:
	s_or_b32 exec_lo, exec_lo, s1
.LBB66_541:
	s_and_not1_saveexec_b32 s0, s0
	s_cbranch_execz .LBB66_543
; %bb.542:
	v_dual_mov_b32 v76, v28 :: v_dual_mov_b32 v77, v29
	v_dual_mov_b32 v84, v20 :: v_dual_mov_b32 v85, v21
	;; [unrolled: 1-line block ×7, first 2 shown]
	v_mov_b32_e32 v95, v33
	ds_store_2addr_b64 v78, v[76:77], v[84:85] offset0:26 offset1:27
	ds_store_2addr_b64 v78, v[86:87], v[88:89] offset0:28 offset1:29
	ds_store_2addr_b64 v78, v[90:91], v[92:93] offset0:30 offset1:31
	ds_store_2addr_b64 v78, v[94:95], v[72:73] offset0:32 offset1:33
.LBB66_543:
	s_or_b32 exec_lo, exec_lo, s0
	s_delay_alu instid0(SALU_CYCLE_1)
	s_mov_b32 s0, exec_lo
	s_wait_storecnt_dscnt 0x0
	s_barrier_signal -1
	s_barrier_wait -1
	v_cmpx_lt_i32_e32 25, v82
	s_cbranch_execz .LBB66_545
; %bb.544:
	v_pk_mul_f32 v[76:77], v[74:75], v[22:23] op_sel:[1,1] op_sel_hi:[0,1]
	s_delay_alu instid0(VALU_DEP_1)
	v_pk_fma_f32 v[84:85], v[74:75], v[22:23], v[76:77] op_sel_hi:[1,0,1] neg_lo:[0,0,1] neg_hi:[0,0,1]
	v_pk_fma_f32 v[86:87], v[74:75], v[22:23], v[76:77] op_sel_hi:[1,0,1]
	ds_load_2addr_b64 v[74:77], v78 offset0:26 offset1:27
	v_dual_mov_b32 v22, v84 :: v_dual_mov_b32 v23, v87
	s_wait_dscnt 0x0
	v_pk_mul_f32 v[88:89], v[74:75], v[86:87] op_sel:[0,1]
	s_delay_alu instid0(VALU_DEP_1) | instskip(SKIP_1) | instid1(VALU_DEP_1)
	v_pk_fma_f32 v[90:91], v[74:75], v[84:85], v[88:89] op_sel:[0,0,1] op_sel_hi:[1,1,0] neg_lo:[0,0,1] neg_hi:[0,0,1]
	v_pk_fma_f32 v[74:75], v[74:75], v[84:85], v[88:89] op_sel:[0,0,1] op_sel_hi:[1,0,0]
	v_mov_b32_e32 v91, v75
	v_pk_mul_f32 v[74:75], v[76:77], v[86:87] op_sel:[0,1]
	s_delay_alu instid0(VALU_DEP_1) | instskip(SKIP_1) | instid1(VALU_DEP_1)
	v_pk_fma_f32 v[88:89], v[76:77], v[84:85], v[74:75] op_sel:[0,0,1] op_sel_hi:[1,1,0] neg_lo:[0,0,1] neg_hi:[0,0,1]
	v_pk_fma_f32 v[74:75], v[76:77], v[84:85], v[74:75] op_sel:[0,0,1] op_sel_hi:[1,0,0]
	v_mov_b32_e32 v89, v75
	ds_load_2addr_b64 v[74:77], v78 offset0:28 offset1:29
	v_pk_add_f32 v[28:29], v[28:29], v[90:91] neg_lo:[0,1] neg_hi:[0,1]
	v_pk_add_f32 v[20:21], v[20:21], v[88:89] neg_lo:[0,1] neg_hi:[0,1]
	s_wait_dscnt 0x0
	v_pk_mul_f32 v[88:89], v[74:75], v[86:87] op_sel:[0,1]
	s_delay_alu instid0(VALU_DEP_1) | instskip(SKIP_2) | instid1(VALU_DEP_2)
	v_pk_fma_f32 v[90:91], v[74:75], v[84:85], v[88:89] op_sel:[0,0,1] op_sel_hi:[1,1,0] neg_lo:[0,0,1] neg_hi:[0,0,1]
	v_pk_fma_f32 v[74:75], v[74:75], v[84:85], v[88:89] op_sel:[0,0,1] op_sel_hi:[1,0,0]
	v_dual_mul_f32 v88, v77, v87 :: v_dual_mov_b32 v74, v77
	v_dual_mov_b32 v91, v75 :: v_dual_mov_b32 v75, v76
	s_delay_alu instid0(VALU_DEP_2) | instskip(SKIP_1) | instid1(VALU_DEP_3)
	v_pk_fma_f32 v[88:89], v[76:77], v[22:23], v[88:89] op_sel_hi:[1,1,0] neg_lo:[0,0,1] neg_hi:[0,0,1]
	v_mul_f32_e32 v76, v77, v84
	v_pk_add_f32 v[50:51], v[50:51], v[90:91] neg_lo:[0,1] neg_hi:[0,1]
	s_delay_alu instid0(VALU_DEP_2) | instskip(NEXT) | instid1(VALU_DEP_1)
	v_pk_fma_f32 v[74:75], v[74:75], v[22:23], v[76:77] op_sel_hi:[1,1,0]
	v_mov_b32_e32 v89, v75
	ds_load_2addr_b64 v[74:77], v78 offset0:30 offset1:31
	v_pk_add_f32 v[12:13], v[12:13], v[88:89] neg_lo:[0,1] neg_hi:[0,1]
	s_wait_dscnt 0x0
	v_pk_mul_f32 v[88:89], v[74:75], v[86:87] op_sel:[0,1]
	s_delay_alu instid0(VALU_DEP_1) | instskip(SKIP_1) | instid1(VALU_DEP_1)
	v_pk_fma_f32 v[90:91], v[74:75], v[84:85], v[88:89] op_sel:[0,0,1] op_sel_hi:[1,1,0] neg_lo:[0,0,1] neg_hi:[0,0,1]
	v_pk_fma_f32 v[74:75], v[74:75], v[84:85], v[88:89] op_sel:[0,0,1] op_sel_hi:[1,0,0]
	v_mov_b32_e32 v91, v75
	v_pk_mul_f32 v[74:75], v[76:77], v[86:87] op_sel:[0,1]
	s_delay_alu instid0(VALU_DEP_1) | instskip(SKIP_1) | instid1(VALU_DEP_1)
	v_pk_fma_f32 v[88:89], v[76:77], v[84:85], v[74:75] op_sel:[0,0,1] op_sel_hi:[1,1,0] neg_lo:[0,0,1] neg_hi:[0,0,1]
	v_pk_fma_f32 v[74:75], v[76:77], v[84:85], v[74:75] op_sel:[0,0,1] op_sel_hi:[1,0,0]
	v_mov_b32_e32 v89, v75
	ds_load_2addr_b64 v[74:77], v78 offset0:32 offset1:33
	v_pk_add_f32 v[48:49], v[48:49], v[90:91] neg_lo:[0,1] neg_hi:[0,1]
	v_pk_add_f32 v[46:47], v[46:47], v[88:89] neg_lo:[0,1] neg_hi:[0,1]
	s_wait_dscnt 0x0
	v_pk_mul_f32 v[88:89], v[74:75], v[86:87] op_sel:[0,1]
	s_delay_alu instid0(VALU_DEP_1) | instskip(SKIP_1) | instid1(VALU_DEP_1)
	v_pk_fma_f32 v[90:91], v[74:75], v[84:85], v[88:89] op_sel:[0,0,1] op_sel_hi:[1,1,0] neg_lo:[0,0,1] neg_hi:[0,0,1]
	v_pk_fma_f32 v[74:75], v[74:75], v[84:85], v[88:89] op_sel:[0,0,1] op_sel_hi:[1,0,0]
	v_mov_b32_e32 v91, v75
	v_pk_mul_f32 v[74:75], v[76:77], v[86:87] op_sel:[0,1]
	s_delay_alu instid0(VALU_DEP_1) | instskip(SKIP_1) | instid1(VALU_DEP_1)
	v_pk_fma_f32 v[86:87], v[76:77], v[84:85], v[74:75] op_sel:[0,0,1] op_sel_hi:[1,1,0] neg_lo:[0,0,1] neg_hi:[0,0,1]
	v_pk_fma_f32 v[74:75], v[76:77], v[84:85], v[74:75] op_sel:[0,0,1] op_sel_hi:[1,0,0]
	v_mov_b32_e32 v87, v75
	v_pk_add_f32 v[32:33], v[32:33], v[90:91] neg_lo:[0,1] neg_hi:[0,1]
	s_delay_alu instid0(VALU_DEP_2)
	v_pk_add_f32 v[72:73], v[72:73], v[86:87] neg_lo:[0,1] neg_hi:[0,1]
.LBB66_545:
	s_or_b32 exec_lo, exec_lo, s0
	v_lshl_add_u32 v74, v82, 3, v78
	s_barrier_signal -1
	s_barrier_wait -1
	ds_store_b64 v74, v[28:29]
	s_wait_dscnt 0x0
	s_barrier_signal -1
	s_barrier_wait -1
	ds_load_b64 v[74:75], v78 offset:208
	v_mov_b32_e32 v76, 26
	s_cmp_lt_i32 s18, 28
	s_cbranch_scc1 .LBB66_548
; %bb.546:
	v_add3_u32 v77, v79, 0, 0xd8
	v_mov_b32_e32 v76, 26
	s_mov_b32 s0, 27
.LBB66_547:                             ; =>This Inner Loop Header: Depth=1
	ds_load_b64 v[84:85], v77
	s_wait_dscnt 0x1
	v_cmp_gt_f32_e32 vcc_lo, 0, v74
	v_cndmask_b32_e64 v86, v74, -v74, vcc_lo
	v_cmp_gt_f32_e32 vcc_lo, 0, v75
	v_cndmask_b32_e64 v88, v75, -v75, vcc_lo
	s_wait_dscnt 0x0
	v_cmp_gt_f32_e32 vcc_lo, 0, v84
	v_cndmask_b32_e64 v87, v84, -v84, vcc_lo
	v_cmp_gt_f32_e32 vcc_lo, 0, v85
	v_cndmask_b32_e64 v89, v85, -v85, vcc_lo
	s_delay_alu instid0(VALU_DEP_1) | instskip(NEXT) | instid1(VALU_DEP_1)
	v_pk_add_f32 v[86:87], v[86:87], v[88:89]
	v_cmp_lt_f32_e32 vcc_lo, v86, v87
	v_dual_cndmask_b32 v74, v74, v84 :: v_dual_add_nc_u32 v77, 8, v77
	v_cndmask_b32_e32 v75, v75, v85, vcc_lo
	v_cndmask_b32_e64 v76, v76, s0, vcc_lo
	s_add_co_i32 s0, s0, 1
	s_delay_alu instid0(SALU_CYCLE_1)
	s_cmp_lg_u32 s18, s0
	s_cbranch_scc1 .LBB66_547
.LBB66_548:
	s_wait_dscnt 0x0
	v_cmp_eq_f32_e32 vcc_lo, 0, v74
	v_cmp_eq_f32_e64 s0, 0, v75
	s_and_b32 s0, vcc_lo, s0
	s_delay_alu instid0(SALU_CYCLE_1) | instskip(NEXT) | instid1(SALU_CYCLE_1)
	s_and_saveexec_b32 s1, s0
	s_xor_b32 s0, exec_lo, s1
; %bb.549:
	v_cmp_ne_u32_e32 vcc_lo, 0, v80
	v_cndmask_b32_e32 v80, 27, v80, vcc_lo
; %bb.550:
	s_and_not1_saveexec_b32 s0, s0
	s_cbranch_execz .LBB66_556
; %bb.551:
	v_cmp_ngt_f32_e64 s1, |v74|, |v75|
	s_and_saveexec_b32 s12, s1
	s_delay_alu instid0(SALU_CYCLE_1)
	s_xor_b32 s1, exec_lo, s12
	s_cbranch_execz .LBB66_553
; %bb.552:
	v_div_scale_f32 v77, null, v75, v75, v74
	v_div_scale_f32 v85, vcc_lo, v74, v75, v74
	s_delay_alu instid0(VALU_DEP_2) | instskip(SKIP_1) | instid1(TRANS32_DEP_1)
	v_rcp_f32_e32 v83, v77
	v_nop
	v_fma_f32 v84, -v77, v83, 1.0
	s_delay_alu instid0(VALU_DEP_1) | instskip(NEXT) | instid1(VALU_DEP_1)
	v_fmac_f32_e32 v83, v84, v83
	v_mul_f32_e32 v84, v85, v83
	s_delay_alu instid0(VALU_DEP_1) | instskip(NEXT) | instid1(VALU_DEP_1)
	v_fma_f32 v86, -v77, v84, v85
	v_fmac_f32_e32 v84, v86, v83
	s_delay_alu instid0(VALU_DEP_1) | instskip(NEXT) | instid1(VALU_DEP_1)
	v_fma_f32 v77, -v77, v84, v85
	v_div_fmas_f32 v77, v77, v83, v84
	s_delay_alu instid0(VALU_DEP_1) | instskip(NEXT) | instid1(VALU_DEP_1)
	v_div_fixup_f32 v77, v77, v75, v74
	v_fmac_f32_e32 v75, v74, v77
	s_delay_alu instid0(VALU_DEP_1) | instskip(SKIP_1) | instid1(VALU_DEP_2)
	v_div_scale_f32 v74, null, v75, v75, 1.0
	v_div_scale_f32 v85, vcc_lo, 1.0, v75, 1.0
	v_rcp_f32_e32 v83, v74
	v_nop
	s_delay_alu instid0(TRANS32_DEP_1) | instskip(NEXT) | instid1(VALU_DEP_1)
	v_fma_f32 v84, -v74, v83, 1.0
	v_fmac_f32_e32 v83, v84, v83
	s_delay_alu instid0(VALU_DEP_1) | instskip(NEXT) | instid1(VALU_DEP_1)
	v_mul_f32_e32 v84, v85, v83
	v_fma_f32 v86, -v74, v84, v85
	s_delay_alu instid0(VALU_DEP_1) | instskip(NEXT) | instid1(VALU_DEP_1)
	v_fmac_f32_e32 v84, v86, v83
	v_fma_f32 v74, -v74, v84, v85
	s_delay_alu instid0(VALU_DEP_1) | instskip(NEXT) | instid1(VALU_DEP_1)
	v_div_fmas_f32 v74, v74, v83, v84
	v_div_fixup_f32 v75, v74, v75, 1.0
	s_delay_alu instid0(VALU_DEP_1)
	v_mul_f32_e32 v74, v77, v75
	v_xor_b32_e32 v75, 0x80000000, v75
.LBB66_553:
	s_and_not1_saveexec_b32 s1, s1
	s_cbranch_execz .LBB66_555
; %bb.554:
	s_delay_alu instid0(VALU_DEP_1) | instskip(SKIP_1) | instid1(VALU_DEP_2)
	v_div_scale_f32 v77, null, v74, v74, v75
	v_div_scale_f32 v85, vcc_lo, v75, v74, v75
	v_rcp_f32_e32 v83, v77
	v_nop
	s_delay_alu instid0(TRANS32_DEP_1) | instskip(NEXT) | instid1(VALU_DEP_1)
	v_fma_f32 v84, -v77, v83, 1.0
	v_fmac_f32_e32 v83, v84, v83
	s_delay_alu instid0(VALU_DEP_1) | instskip(NEXT) | instid1(VALU_DEP_1)
	v_mul_f32_e32 v84, v85, v83
	v_fma_f32 v86, -v77, v84, v85
	s_delay_alu instid0(VALU_DEP_1) | instskip(NEXT) | instid1(VALU_DEP_1)
	v_fmac_f32_e32 v84, v86, v83
	v_fma_f32 v77, -v77, v84, v85
	s_delay_alu instid0(VALU_DEP_1) | instskip(NEXT) | instid1(VALU_DEP_1)
	v_div_fmas_f32 v77, v77, v83, v84
	v_div_fixup_f32 v77, v77, v74, v75
	s_delay_alu instid0(VALU_DEP_1) | instskip(NEXT) | instid1(VALU_DEP_1)
	v_fmac_f32_e32 v74, v75, v77
	v_div_scale_f32 v75, null, v74, v74, 1.0
	s_delay_alu instid0(VALU_DEP_1) | instskip(SKIP_1) | instid1(TRANS32_DEP_1)
	v_rcp_f32_e32 v83, v75
	v_nop
	v_fma_f32 v84, -v75, v83, 1.0
	s_delay_alu instid0(VALU_DEP_1) | instskip(SKIP_1) | instid1(VALU_DEP_1)
	v_fmac_f32_e32 v83, v84, v83
	v_div_scale_f32 v84, vcc_lo, 1.0, v74, 1.0
	v_mul_f32_e32 v85, v84, v83
	s_delay_alu instid0(VALU_DEP_1) | instskip(NEXT) | instid1(VALU_DEP_1)
	v_fma_f32 v86, -v75, v85, v84
	v_fmac_f32_e32 v85, v86, v83
	s_delay_alu instid0(VALU_DEP_1) | instskip(NEXT) | instid1(VALU_DEP_1)
	v_fma_f32 v75, -v75, v85, v84
	v_div_fmas_f32 v75, v75, v83, v85
	s_delay_alu instid0(VALU_DEP_1) | instskip(NEXT) | instid1(VALU_DEP_1)
	v_div_fixup_f32 v74, v75, v74, 1.0
	v_mul_f32_e64 v75, v77, -v74
.LBB66_555:
	s_or_b32 exec_lo, exec_lo, s1
.LBB66_556:
	s_delay_alu instid0(SALU_CYCLE_1) | instskip(NEXT) | instid1(SALU_CYCLE_1)
	s_or_b32 exec_lo, exec_lo, s0
	s_mov_b32 s0, exec_lo
	v_cmpx_ne_u32_e64 v82, v76
	s_xor_b32 s0, exec_lo, s0
	s_cbranch_execz .LBB66_562
; %bb.557:
	s_mov_b32 s1, exec_lo
	v_cmpx_eq_u32_e32 26, v82
	s_cbranch_execz .LBB66_561
; %bb.558:
	v_cmp_ne_u32_e32 vcc_lo, 26, v76
	s_xor_b32 s12, s16, -1
	s_delay_alu instid0(SALU_CYCLE_1) | instskip(NEXT) | instid1(SALU_CYCLE_1)
	s_and_b32 s13, s12, vcc_lo
	s_and_saveexec_b32 s12, s13
	s_cbranch_execz .LBB66_560
; %bb.559:
	v_ashrrev_i32_e32 v77, 31, v76
	s_delay_alu instid0(VALU_DEP_1)
	v_lshl_add_u64 v[82:83], v[76:77], 2, v[4:5]
	s_clause 0x1
	global_load_b32 v77, v[82:83], off
	global_load_b32 v81, v[4:5], off offset:104
	s_wait_loadcnt 0x1
	global_store_b32 v[4:5], v77, off offset:104
	s_wait_loadcnt 0x0
	global_store_b32 v[82:83], v81, off
.LBB66_560:
	s_wait_xcnt 0x0
	s_or_b32 exec_lo, exec_lo, s12
	v_dual_mov_b32 v82, v76 :: v_dual_mov_b32 v81, v76
.LBB66_561:
	s_or_b32 exec_lo, exec_lo, s1
.LBB66_562:
	s_and_not1_saveexec_b32 s0, s0
	s_cbranch_execz .LBB66_564
; %bb.563:
	v_mov_b32_e32 v82, 26
	ds_store_2addr_b64 v78, v[20:21], v[50:51] offset0:27 offset1:28
	ds_store_2addr_b64 v78, v[12:13], v[48:49] offset0:29 offset1:30
	;; [unrolled: 1-line block ×3, first 2 shown]
	ds_store_b64 v78, v[72:73] offset:264
.LBB66_564:
	s_or_b32 exec_lo, exec_lo, s0
	s_delay_alu instid0(SALU_CYCLE_1)
	s_mov_b32 s0, exec_lo
	s_wait_storecnt_dscnt 0x0
	s_barrier_signal -1
	s_barrier_wait -1
	v_cmpx_lt_i32_e32 26, v82
	s_cbranch_execz .LBB66_566
; %bb.565:
	v_pk_mul_f32 v[76:77], v[74:75], v[28:29] op_sel:[1,1] op_sel_hi:[0,1]
	s_delay_alu instid0(VALU_DEP_1)
	v_pk_fma_f32 v[84:85], v[74:75], v[28:29], v[76:77] op_sel_hi:[1,0,1] neg_lo:[0,0,1] neg_hi:[0,0,1]
	v_pk_fma_f32 v[86:87], v[74:75], v[28:29], v[76:77] op_sel_hi:[1,0,1]
	ds_load_2addr_b64 v[74:77], v78 offset0:27 offset1:28
	v_dual_mov_b32 v28, v84 :: v_dual_mov_b32 v29, v87
	s_wait_dscnt 0x0
	v_pk_mul_f32 v[88:89], v[74:75], v[86:87] op_sel:[0,1]
	s_delay_alu instid0(VALU_DEP_1) | instskip(SKIP_1) | instid1(VALU_DEP_1)
	v_pk_fma_f32 v[90:91], v[74:75], v[84:85], v[88:89] op_sel:[0,0,1] op_sel_hi:[1,1,0] neg_lo:[0,0,1] neg_hi:[0,0,1]
	v_pk_fma_f32 v[74:75], v[74:75], v[84:85], v[88:89] op_sel:[0,0,1] op_sel_hi:[1,0,0]
	v_mov_b32_e32 v91, v75
	v_pk_mul_f32 v[74:75], v[76:77], v[86:87] op_sel:[0,1]
	s_delay_alu instid0(VALU_DEP_1) | instskip(SKIP_1) | instid1(VALU_DEP_1)
	v_pk_fma_f32 v[88:89], v[76:77], v[84:85], v[74:75] op_sel:[0,0,1] op_sel_hi:[1,1,0] neg_lo:[0,0,1] neg_hi:[0,0,1]
	v_pk_fma_f32 v[74:75], v[76:77], v[84:85], v[74:75] op_sel:[0,0,1] op_sel_hi:[1,0,0]
	v_mov_b32_e32 v89, v75
	ds_load_2addr_b64 v[74:77], v78 offset0:29 offset1:30
	v_pk_add_f32 v[20:21], v[20:21], v[90:91] neg_lo:[0,1] neg_hi:[0,1]
	v_pk_add_f32 v[50:51], v[50:51], v[88:89] neg_lo:[0,1] neg_hi:[0,1]
	s_wait_dscnt 0x0
	v_pk_mul_f32 v[88:89], v[74:75], v[86:87] op_sel:[0,1]
	s_delay_alu instid0(VALU_DEP_1) | instskip(SKIP_2) | instid1(VALU_DEP_2)
	v_pk_fma_f32 v[90:91], v[74:75], v[84:85], v[88:89] op_sel:[0,0,1] op_sel_hi:[1,1,0] neg_lo:[0,0,1] neg_hi:[0,0,1]
	v_pk_fma_f32 v[74:75], v[74:75], v[84:85], v[88:89] op_sel:[0,0,1] op_sel_hi:[1,0,0]
	v_dual_mul_f32 v88, v77, v87 :: v_dual_mov_b32 v74, v77
	v_dual_mov_b32 v91, v75 :: v_dual_mov_b32 v75, v76
	s_delay_alu instid0(VALU_DEP_2) | instskip(SKIP_1) | instid1(VALU_DEP_3)
	v_pk_fma_f32 v[88:89], v[76:77], v[28:29], v[88:89] op_sel_hi:[1,1,0] neg_lo:[0,0,1] neg_hi:[0,0,1]
	v_mul_f32_e32 v76, v77, v84
	v_pk_add_f32 v[12:13], v[12:13], v[90:91] neg_lo:[0,1] neg_hi:[0,1]
	s_delay_alu instid0(VALU_DEP_2) | instskip(NEXT) | instid1(VALU_DEP_1)
	v_pk_fma_f32 v[74:75], v[74:75], v[28:29], v[76:77] op_sel_hi:[1,1,0]
	v_mov_b32_e32 v89, v75
	ds_load_2addr_b64 v[74:77], v78 offset0:31 offset1:32
	v_pk_add_f32 v[48:49], v[48:49], v[88:89] neg_lo:[0,1] neg_hi:[0,1]
	s_wait_dscnt 0x0
	v_pk_mul_f32 v[88:89], v[74:75], v[86:87] op_sel:[0,1]
	s_delay_alu instid0(VALU_DEP_1) | instskip(SKIP_1) | instid1(VALU_DEP_1)
	v_pk_fma_f32 v[90:91], v[74:75], v[84:85], v[88:89] op_sel:[0,0,1] op_sel_hi:[1,1,0] neg_lo:[0,0,1] neg_hi:[0,0,1]
	v_pk_fma_f32 v[74:75], v[74:75], v[84:85], v[88:89] op_sel:[0,0,1] op_sel_hi:[1,0,0]
	v_mov_b32_e32 v91, v75
	v_pk_mul_f32 v[74:75], v[76:77], v[86:87] op_sel:[0,1]
	s_delay_alu instid0(VALU_DEP_1) | instskip(SKIP_1) | instid1(VALU_DEP_1)
	v_pk_fma_f32 v[88:89], v[76:77], v[84:85], v[74:75] op_sel:[0,0,1] op_sel_hi:[1,1,0] neg_lo:[0,0,1] neg_hi:[0,0,1]
	v_pk_fma_f32 v[74:75], v[76:77], v[84:85], v[74:75] op_sel:[0,0,1] op_sel_hi:[1,0,0]
	v_mov_b32_e32 v89, v75
	ds_load_b64 v[74:75], v78 offset:264
	v_pk_add_f32 v[46:47], v[46:47], v[90:91] neg_lo:[0,1] neg_hi:[0,1]
	v_pk_add_f32 v[32:33], v[32:33], v[88:89] neg_lo:[0,1] neg_hi:[0,1]
	s_wait_dscnt 0x0
	v_pk_mul_f32 v[76:77], v[74:75], v[86:87] op_sel:[0,1]
	s_delay_alu instid0(VALU_DEP_1) | instskip(SKIP_1) | instid1(VALU_DEP_1)
	v_pk_fma_f32 v[86:87], v[74:75], v[84:85], v[76:77] op_sel:[0,0,1] op_sel_hi:[1,1,0] neg_lo:[0,0,1] neg_hi:[0,0,1]
	v_pk_fma_f32 v[74:75], v[74:75], v[84:85], v[76:77] op_sel:[0,0,1] op_sel_hi:[1,0,0]
	v_mov_b32_e32 v87, v75
	s_delay_alu instid0(VALU_DEP_1)
	v_pk_add_f32 v[72:73], v[72:73], v[86:87] neg_lo:[0,1] neg_hi:[0,1]
.LBB66_566:
	s_or_b32 exec_lo, exec_lo, s0
	v_lshl_add_u32 v74, v82, 3, v78
	s_barrier_signal -1
	s_barrier_wait -1
	ds_store_b64 v74, v[20:21]
	s_wait_dscnt 0x0
	s_barrier_signal -1
	s_barrier_wait -1
	ds_load_b64 v[74:75], v78 offset:216
	v_mov_b32_e32 v76, 27
	s_cmp_lt_i32 s18, 29
	s_cbranch_scc1 .LBB66_569
; %bb.567:
	v_add3_u32 v77, v79, 0, 0xe0
	v_mov_b32_e32 v76, 27
	s_mov_b32 s0, 28
.LBB66_568:                             ; =>This Inner Loop Header: Depth=1
	ds_load_b64 v[84:85], v77
	s_wait_dscnt 0x1
	v_cmp_gt_f32_e32 vcc_lo, 0, v74
	v_cndmask_b32_e64 v86, v74, -v74, vcc_lo
	v_cmp_gt_f32_e32 vcc_lo, 0, v75
	v_cndmask_b32_e64 v88, v75, -v75, vcc_lo
	s_wait_dscnt 0x0
	v_cmp_gt_f32_e32 vcc_lo, 0, v84
	v_cndmask_b32_e64 v87, v84, -v84, vcc_lo
	v_cmp_gt_f32_e32 vcc_lo, 0, v85
	v_cndmask_b32_e64 v89, v85, -v85, vcc_lo
	s_delay_alu instid0(VALU_DEP_1) | instskip(NEXT) | instid1(VALU_DEP_1)
	v_pk_add_f32 v[86:87], v[86:87], v[88:89]
	v_cmp_lt_f32_e32 vcc_lo, v86, v87
	v_dual_cndmask_b32 v74, v74, v84 :: v_dual_add_nc_u32 v77, 8, v77
	v_cndmask_b32_e32 v75, v75, v85, vcc_lo
	v_cndmask_b32_e64 v76, v76, s0, vcc_lo
	s_add_co_i32 s0, s0, 1
	s_delay_alu instid0(SALU_CYCLE_1)
	s_cmp_lg_u32 s18, s0
	s_cbranch_scc1 .LBB66_568
.LBB66_569:
	s_wait_dscnt 0x0
	v_cmp_eq_f32_e32 vcc_lo, 0, v74
	v_cmp_eq_f32_e64 s0, 0, v75
	s_and_b32 s0, vcc_lo, s0
	s_delay_alu instid0(SALU_CYCLE_1) | instskip(NEXT) | instid1(SALU_CYCLE_1)
	s_and_saveexec_b32 s1, s0
	s_xor_b32 s0, exec_lo, s1
; %bb.570:
	v_cmp_ne_u32_e32 vcc_lo, 0, v80
	v_cndmask_b32_e32 v80, 28, v80, vcc_lo
; %bb.571:
	s_and_not1_saveexec_b32 s0, s0
	s_cbranch_execz .LBB66_577
; %bb.572:
	v_cmp_ngt_f32_e64 s1, |v74|, |v75|
	s_and_saveexec_b32 s12, s1
	s_delay_alu instid0(SALU_CYCLE_1)
	s_xor_b32 s1, exec_lo, s12
	s_cbranch_execz .LBB66_574
; %bb.573:
	v_div_scale_f32 v77, null, v75, v75, v74
	v_div_scale_f32 v85, vcc_lo, v74, v75, v74
	s_delay_alu instid0(VALU_DEP_2) | instskip(SKIP_1) | instid1(TRANS32_DEP_1)
	v_rcp_f32_e32 v83, v77
	v_nop
	v_fma_f32 v84, -v77, v83, 1.0
	s_delay_alu instid0(VALU_DEP_1) | instskip(NEXT) | instid1(VALU_DEP_1)
	v_fmac_f32_e32 v83, v84, v83
	v_mul_f32_e32 v84, v85, v83
	s_delay_alu instid0(VALU_DEP_1) | instskip(NEXT) | instid1(VALU_DEP_1)
	v_fma_f32 v86, -v77, v84, v85
	v_fmac_f32_e32 v84, v86, v83
	s_delay_alu instid0(VALU_DEP_1) | instskip(NEXT) | instid1(VALU_DEP_1)
	v_fma_f32 v77, -v77, v84, v85
	v_div_fmas_f32 v77, v77, v83, v84
	s_delay_alu instid0(VALU_DEP_1) | instskip(NEXT) | instid1(VALU_DEP_1)
	v_div_fixup_f32 v77, v77, v75, v74
	v_fmac_f32_e32 v75, v74, v77
	s_delay_alu instid0(VALU_DEP_1) | instskip(SKIP_1) | instid1(VALU_DEP_2)
	v_div_scale_f32 v74, null, v75, v75, 1.0
	v_div_scale_f32 v85, vcc_lo, 1.0, v75, 1.0
	v_rcp_f32_e32 v83, v74
	v_nop
	s_delay_alu instid0(TRANS32_DEP_1) | instskip(NEXT) | instid1(VALU_DEP_1)
	v_fma_f32 v84, -v74, v83, 1.0
	v_fmac_f32_e32 v83, v84, v83
	s_delay_alu instid0(VALU_DEP_1) | instskip(NEXT) | instid1(VALU_DEP_1)
	v_mul_f32_e32 v84, v85, v83
	v_fma_f32 v86, -v74, v84, v85
	s_delay_alu instid0(VALU_DEP_1) | instskip(NEXT) | instid1(VALU_DEP_1)
	v_fmac_f32_e32 v84, v86, v83
	v_fma_f32 v74, -v74, v84, v85
	s_delay_alu instid0(VALU_DEP_1) | instskip(NEXT) | instid1(VALU_DEP_1)
	v_div_fmas_f32 v74, v74, v83, v84
	v_div_fixup_f32 v75, v74, v75, 1.0
	s_delay_alu instid0(VALU_DEP_1)
	v_mul_f32_e32 v74, v77, v75
	v_xor_b32_e32 v75, 0x80000000, v75
.LBB66_574:
	s_and_not1_saveexec_b32 s1, s1
	s_cbranch_execz .LBB66_576
; %bb.575:
	s_delay_alu instid0(VALU_DEP_1) | instskip(SKIP_1) | instid1(VALU_DEP_2)
	v_div_scale_f32 v77, null, v74, v74, v75
	v_div_scale_f32 v85, vcc_lo, v75, v74, v75
	v_rcp_f32_e32 v83, v77
	v_nop
	s_delay_alu instid0(TRANS32_DEP_1) | instskip(NEXT) | instid1(VALU_DEP_1)
	v_fma_f32 v84, -v77, v83, 1.0
	v_fmac_f32_e32 v83, v84, v83
	s_delay_alu instid0(VALU_DEP_1) | instskip(NEXT) | instid1(VALU_DEP_1)
	v_mul_f32_e32 v84, v85, v83
	v_fma_f32 v86, -v77, v84, v85
	s_delay_alu instid0(VALU_DEP_1) | instskip(NEXT) | instid1(VALU_DEP_1)
	v_fmac_f32_e32 v84, v86, v83
	v_fma_f32 v77, -v77, v84, v85
	s_delay_alu instid0(VALU_DEP_1) | instskip(NEXT) | instid1(VALU_DEP_1)
	v_div_fmas_f32 v77, v77, v83, v84
	v_div_fixup_f32 v77, v77, v74, v75
	s_delay_alu instid0(VALU_DEP_1) | instskip(NEXT) | instid1(VALU_DEP_1)
	v_fmac_f32_e32 v74, v75, v77
	v_div_scale_f32 v75, null, v74, v74, 1.0
	s_delay_alu instid0(VALU_DEP_1) | instskip(SKIP_1) | instid1(TRANS32_DEP_1)
	v_rcp_f32_e32 v83, v75
	v_nop
	v_fma_f32 v84, -v75, v83, 1.0
	s_delay_alu instid0(VALU_DEP_1) | instskip(SKIP_1) | instid1(VALU_DEP_1)
	v_fmac_f32_e32 v83, v84, v83
	v_div_scale_f32 v84, vcc_lo, 1.0, v74, 1.0
	v_mul_f32_e32 v85, v84, v83
	s_delay_alu instid0(VALU_DEP_1) | instskip(NEXT) | instid1(VALU_DEP_1)
	v_fma_f32 v86, -v75, v85, v84
	v_fmac_f32_e32 v85, v86, v83
	s_delay_alu instid0(VALU_DEP_1) | instskip(NEXT) | instid1(VALU_DEP_1)
	v_fma_f32 v75, -v75, v85, v84
	v_div_fmas_f32 v75, v75, v83, v85
	s_delay_alu instid0(VALU_DEP_1) | instskip(NEXT) | instid1(VALU_DEP_1)
	v_div_fixup_f32 v74, v75, v74, 1.0
	v_mul_f32_e64 v75, v77, -v74
.LBB66_576:
	s_or_b32 exec_lo, exec_lo, s1
.LBB66_577:
	s_delay_alu instid0(SALU_CYCLE_1) | instskip(NEXT) | instid1(SALU_CYCLE_1)
	s_or_b32 exec_lo, exec_lo, s0
	s_mov_b32 s0, exec_lo
	v_cmpx_ne_u32_e64 v82, v76
	s_xor_b32 s0, exec_lo, s0
	s_cbranch_execz .LBB66_583
; %bb.578:
	s_mov_b32 s1, exec_lo
	v_cmpx_eq_u32_e32 27, v82
	s_cbranch_execz .LBB66_582
; %bb.579:
	v_cmp_ne_u32_e32 vcc_lo, 27, v76
	s_xor_b32 s12, s16, -1
	s_delay_alu instid0(SALU_CYCLE_1) | instskip(NEXT) | instid1(SALU_CYCLE_1)
	s_and_b32 s13, s12, vcc_lo
	s_and_saveexec_b32 s12, s13
	s_cbranch_execz .LBB66_581
; %bb.580:
	v_ashrrev_i32_e32 v77, 31, v76
	s_delay_alu instid0(VALU_DEP_1)
	v_lshl_add_u64 v[82:83], v[76:77], 2, v[4:5]
	s_clause 0x1
	global_load_b32 v77, v[82:83], off
	global_load_b32 v81, v[4:5], off offset:108
	s_wait_loadcnt 0x1
	global_store_b32 v[4:5], v77, off offset:108
	s_wait_loadcnt 0x0
	global_store_b32 v[82:83], v81, off
.LBB66_581:
	s_wait_xcnt 0x0
	s_or_b32 exec_lo, exec_lo, s12
	v_dual_mov_b32 v82, v76 :: v_dual_mov_b32 v81, v76
.LBB66_582:
	s_or_b32 exec_lo, exec_lo, s1
.LBB66_583:
	s_and_not1_saveexec_b32 s0, s0
	s_cbranch_execz .LBB66_585
; %bb.584:
	v_dual_mov_b32 v76, v50 :: v_dual_mov_b32 v77, v51
	v_dual_mov_b32 v84, v12 :: v_dual_mov_b32 v85, v13
	;; [unrolled: 1-line block ×5, first 2 shown]
	v_mov_b32_e32 v91, v33
	ds_store_2addr_b64 v78, v[76:77], v[84:85] offset0:28 offset1:29
	ds_store_2addr_b64 v78, v[86:87], v[88:89] offset0:30 offset1:31
	;; [unrolled: 1-line block ×3, first 2 shown]
.LBB66_585:
	s_or_b32 exec_lo, exec_lo, s0
	s_delay_alu instid0(SALU_CYCLE_1)
	s_mov_b32 s0, exec_lo
	s_wait_storecnt_dscnt 0x0
	s_barrier_signal -1
	s_barrier_wait -1
	v_cmpx_lt_i32_e32 27, v82
	s_cbranch_execz .LBB66_587
; %bb.586:
	v_pk_mul_f32 v[76:77], v[74:75], v[20:21] op_sel:[1,1] op_sel_hi:[0,1]
	s_delay_alu instid0(VALU_DEP_1)
	v_pk_fma_f32 v[84:85], v[74:75], v[20:21], v[76:77] op_sel_hi:[1,0,1] neg_lo:[0,0,1] neg_hi:[0,0,1]
	v_pk_fma_f32 v[86:87], v[74:75], v[20:21], v[76:77] op_sel_hi:[1,0,1]
	ds_load_2addr_b64 v[74:77], v78 offset0:28 offset1:29
	v_dual_mov_b32 v20, v84 :: v_dual_mov_b32 v21, v87
	s_wait_dscnt 0x0
	v_pk_mul_f32 v[88:89], v[74:75], v[86:87] op_sel:[0,1]
	s_delay_alu instid0(VALU_DEP_1) | instskip(SKIP_1) | instid1(VALU_DEP_1)
	v_pk_fma_f32 v[90:91], v[74:75], v[84:85], v[88:89] op_sel:[0,0,1] op_sel_hi:[1,1,0] neg_lo:[0,0,1] neg_hi:[0,0,1]
	v_pk_fma_f32 v[74:75], v[74:75], v[84:85], v[88:89] op_sel:[0,0,1] op_sel_hi:[1,0,0]
	v_mov_b32_e32 v91, v75
	v_pk_mul_f32 v[74:75], v[76:77], v[86:87] op_sel:[0,1]
	s_delay_alu instid0(VALU_DEP_1) | instskip(SKIP_1) | instid1(VALU_DEP_1)
	v_pk_fma_f32 v[88:89], v[76:77], v[84:85], v[74:75] op_sel:[0,0,1] op_sel_hi:[1,1,0] neg_lo:[0,0,1] neg_hi:[0,0,1]
	v_pk_fma_f32 v[74:75], v[76:77], v[84:85], v[74:75] op_sel:[0,0,1] op_sel_hi:[1,0,0]
	v_mov_b32_e32 v89, v75
	ds_load_2addr_b64 v[74:77], v78 offset0:30 offset1:31
	v_pk_add_f32 v[50:51], v[50:51], v[90:91] neg_lo:[0,1] neg_hi:[0,1]
	v_pk_add_f32 v[12:13], v[12:13], v[88:89] neg_lo:[0,1] neg_hi:[0,1]
	s_wait_dscnt 0x0
	v_pk_mul_f32 v[88:89], v[74:75], v[86:87] op_sel:[0,1]
	s_delay_alu instid0(VALU_DEP_1) | instskip(SKIP_2) | instid1(VALU_DEP_2)
	v_pk_fma_f32 v[90:91], v[74:75], v[84:85], v[88:89] op_sel:[0,0,1] op_sel_hi:[1,1,0] neg_lo:[0,0,1] neg_hi:[0,0,1]
	v_pk_fma_f32 v[74:75], v[74:75], v[84:85], v[88:89] op_sel:[0,0,1] op_sel_hi:[1,0,0]
	v_dual_mul_f32 v88, v77, v87 :: v_dual_mov_b32 v74, v77
	v_dual_mov_b32 v91, v75 :: v_dual_mov_b32 v75, v76
	s_delay_alu instid0(VALU_DEP_2) | instskip(SKIP_1) | instid1(VALU_DEP_3)
	v_pk_fma_f32 v[88:89], v[76:77], v[20:21], v[88:89] op_sel_hi:[1,1,0] neg_lo:[0,0,1] neg_hi:[0,0,1]
	v_mul_f32_e32 v76, v77, v84
	v_pk_add_f32 v[48:49], v[48:49], v[90:91] neg_lo:[0,1] neg_hi:[0,1]
	s_delay_alu instid0(VALU_DEP_2) | instskip(NEXT) | instid1(VALU_DEP_1)
	v_pk_fma_f32 v[74:75], v[74:75], v[20:21], v[76:77] op_sel_hi:[1,1,0]
	v_mov_b32_e32 v89, v75
	ds_load_2addr_b64 v[74:77], v78 offset0:32 offset1:33
	v_pk_add_f32 v[46:47], v[46:47], v[88:89] neg_lo:[0,1] neg_hi:[0,1]
	s_wait_dscnt 0x0
	v_pk_mul_f32 v[88:89], v[74:75], v[86:87] op_sel:[0,1]
	v_mul_f32_e32 v86, v77, v87
	s_delay_alu instid0(VALU_DEP_2) | instskip(SKIP_2) | instid1(VALU_DEP_4)
	v_pk_fma_f32 v[90:91], v[74:75], v[84:85], v[88:89] op_sel:[0,0,1] op_sel_hi:[1,1,0] neg_lo:[0,0,1] neg_hi:[0,0,1]
	v_pk_fma_f32 v[74:75], v[74:75], v[84:85], v[88:89] op_sel:[0,0,1] op_sel_hi:[1,0,0]
	v_mov_b32_e32 v74, v77
	v_pk_fma_f32 v[86:87], v[76:77], v[20:21], v[86:87] op_sel_hi:[1,1,0] neg_lo:[0,0,1] neg_hi:[0,0,1]
	s_delay_alu instid0(VALU_DEP_3) | instskip(SKIP_1) | instid1(VALU_DEP_2)
	v_dual_mov_b32 v91, v75 :: v_dual_mov_b32 v75, v76
	v_mul_f32_e32 v76, v77, v84
	v_pk_add_f32 v[32:33], v[32:33], v[90:91] neg_lo:[0,1] neg_hi:[0,1]
	s_delay_alu instid0(VALU_DEP_2) | instskip(NEXT) | instid1(VALU_DEP_1)
	v_pk_fma_f32 v[74:75], v[74:75], v[20:21], v[76:77] op_sel_hi:[1,1,0]
	v_mov_b32_e32 v87, v75
	s_delay_alu instid0(VALU_DEP_1)
	v_pk_add_f32 v[72:73], v[72:73], v[86:87] neg_lo:[0,1] neg_hi:[0,1]
.LBB66_587:
	s_or_b32 exec_lo, exec_lo, s0
	v_lshl_add_u32 v74, v82, 3, v78
	s_barrier_signal -1
	s_barrier_wait -1
	ds_store_b64 v74, v[50:51]
	s_wait_dscnt 0x0
	s_barrier_signal -1
	s_barrier_wait -1
	ds_load_b64 v[74:75], v78 offset:224
	v_mov_b32_e32 v76, 28
	s_cmp_lt_i32 s18, 30
	s_cbranch_scc1 .LBB66_590
; %bb.588:
	v_add3_u32 v77, v79, 0, 0xe8
	v_mov_b32_e32 v76, 28
	s_mov_b32 s0, 29
.LBB66_589:                             ; =>This Inner Loop Header: Depth=1
	ds_load_b64 v[84:85], v77
	s_wait_dscnt 0x1
	v_cmp_gt_f32_e32 vcc_lo, 0, v74
	v_cndmask_b32_e64 v86, v74, -v74, vcc_lo
	v_cmp_gt_f32_e32 vcc_lo, 0, v75
	v_cndmask_b32_e64 v88, v75, -v75, vcc_lo
	s_wait_dscnt 0x0
	v_cmp_gt_f32_e32 vcc_lo, 0, v84
	v_cndmask_b32_e64 v87, v84, -v84, vcc_lo
	v_cmp_gt_f32_e32 vcc_lo, 0, v85
	v_cndmask_b32_e64 v89, v85, -v85, vcc_lo
	s_delay_alu instid0(VALU_DEP_1) | instskip(NEXT) | instid1(VALU_DEP_1)
	v_pk_add_f32 v[86:87], v[86:87], v[88:89]
	v_cmp_lt_f32_e32 vcc_lo, v86, v87
	v_dual_cndmask_b32 v74, v74, v84 :: v_dual_add_nc_u32 v77, 8, v77
	v_cndmask_b32_e32 v75, v75, v85, vcc_lo
	v_cndmask_b32_e64 v76, v76, s0, vcc_lo
	s_add_co_i32 s0, s0, 1
	s_delay_alu instid0(SALU_CYCLE_1)
	s_cmp_lg_u32 s18, s0
	s_cbranch_scc1 .LBB66_589
.LBB66_590:
	s_wait_dscnt 0x0
	v_cmp_eq_f32_e32 vcc_lo, 0, v74
	v_cmp_eq_f32_e64 s0, 0, v75
	s_and_b32 s0, vcc_lo, s0
	s_delay_alu instid0(SALU_CYCLE_1) | instskip(NEXT) | instid1(SALU_CYCLE_1)
	s_and_saveexec_b32 s1, s0
	s_xor_b32 s0, exec_lo, s1
; %bb.591:
	v_cmp_ne_u32_e32 vcc_lo, 0, v80
	v_cndmask_b32_e32 v80, 29, v80, vcc_lo
; %bb.592:
	s_and_not1_saveexec_b32 s0, s0
	s_cbranch_execz .LBB66_598
; %bb.593:
	v_cmp_ngt_f32_e64 s1, |v74|, |v75|
	s_and_saveexec_b32 s12, s1
	s_delay_alu instid0(SALU_CYCLE_1)
	s_xor_b32 s1, exec_lo, s12
	s_cbranch_execz .LBB66_595
; %bb.594:
	v_div_scale_f32 v77, null, v75, v75, v74
	v_div_scale_f32 v85, vcc_lo, v74, v75, v74
	s_delay_alu instid0(VALU_DEP_2) | instskip(SKIP_1) | instid1(TRANS32_DEP_1)
	v_rcp_f32_e32 v83, v77
	v_nop
	v_fma_f32 v84, -v77, v83, 1.0
	s_delay_alu instid0(VALU_DEP_1) | instskip(NEXT) | instid1(VALU_DEP_1)
	v_fmac_f32_e32 v83, v84, v83
	v_mul_f32_e32 v84, v85, v83
	s_delay_alu instid0(VALU_DEP_1) | instskip(NEXT) | instid1(VALU_DEP_1)
	v_fma_f32 v86, -v77, v84, v85
	v_fmac_f32_e32 v84, v86, v83
	s_delay_alu instid0(VALU_DEP_1) | instskip(NEXT) | instid1(VALU_DEP_1)
	v_fma_f32 v77, -v77, v84, v85
	v_div_fmas_f32 v77, v77, v83, v84
	s_delay_alu instid0(VALU_DEP_1) | instskip(NEXT) | instid1(VALU_DEP_1)
	v_div_fixup_f32 v77, v77, v75, v74
	v_fmac_f32_e32 v75, v74, v77
	s_delay_alu instid0(VALU_DEP_1) | instskip(SKIP_1) | instid1(VALU_DEP_2)
	v_div_scale_f32 v74, null, v75, v75, 1.0
	v_div_scale_f32 v85, vcc_lo, 1.0, v75, 1.0
	v_rcp_f32_e32 v83, v74
	v_nop
	s_delay_alu instid0(TRANS32_DEP_1) | instskip(NEXT) | instid1(VALU_DEP_1)
	v_fma_f32 v84, -v74, v83, 1.0
	v_fmac_f32_e32 v83, v84, v83
	s_delay_alu instid0(VALU_DEP_1) | instskip(NEXT) | instid1(VALU_DEP_1)
	v_mul_f32_e32 v84, v85, v83
	v_fma_f32 v86, -v74, v84, v85
	s_delay_alu instid0(VALU_DEP_1) | instskip(NEXT) | instid1(VALU_DEP_1)
	v_fmac_f32_e32 v84, v86, v83
	v_fma_f32 v74, -v74, v84, v85
	s_delay_alu instid0(VALU_DEP_1) | instskip(NEXT) | instid1(VALU_DEP_1)
	v_div_fmas_f32 v74, v74, v83, v84
	v_div_fixup_f32 v75, v74, v75, 1.0
	s_delay_alu instid0(VALU_DEP_1)
	v_mul_f32_e32 v74, v77, v75
	v_xor_b32_e32 v75, 0x80000000, v75
.LBB66_595:
	s_and_not1_saveexec_b32 s1, s1
	s_cbranch_execz .LBB66_597
; %bb.596:
	s_delay_alu instid0(VALU_DEP_1) | instskip(SKIP_1) | instid1(VALU_DEP_2)
	v_div_scale_f32 v77, null, v74, v74, v75
	v_div_scale_f32 v85, vcc_lo, v75, v74, v75
	v_rcp_f32_e32 v83, v77
	v_nop
	s_delay_alu instid0(TRANS32_DEP_1) | instskip(NEXT) | instid1(VALU_DEP_1)
	v_fma_f32 v84, -v77, v83, 1.0
	v_fmac_f32_e32 v83, v84, v83
	s_delay_alu instid0(VALU_DEP_1) | instskip(NEXT) | instid1(VALU_DEP_1)
	v_mul_f32_e32 v84, v85, v83
	v_fma_f32 v86, -v77, v84, v85
	s_delay_alu instid0(VALU_DEP_1) | instskip(NEXT) | instid1(VALU_DEP_1)
	v_fmac_f32_e32 v84, v86, v83
	v_fma_f32 v77, -v77, v84, v85
	s_delay_alu instid0(VALU_DEP_1) | instskip(NEXT) | instid1(VALU_DEP_1)
	v_div_fmas_f32 v77, v77, v83, v84
	v_div_fixup_f32 v77, v77, v74, v75
	s_delay_alu instid0(VALU_DEP_1) | instskip(NEXT) | instid1(VALU_DEP_1)
	v_fmac_f32_e32 v74, v75, v77
	v_div_scale_f32 v75, null, v74, v74, 1.0
	s_delay_alu instid0(VALU_DEP_1) | instskip(SKIP_1) | instid1(TRANS32_DEP_1)
	v_rcp_f32_e32 v83, v75
	v_nop
	v_fma_f32 v84, -v75, v83, 1.0
	s_delay_alu instid0(VALU_DEP_1) | instskip(SKIP_1) | instid1(VALU_DEP_1)
	v_fmac_f32_e32 v83, v84, v83
	v_div_scale_f32 v84, vcc_lo, 1.0, v74, 1.0
	v_mul_f32_e32 v85, v84, v83
	s_delay_alu instid0(VALU_DEP_1) | instskip(NEXT) | instid1(VALU_DEP_1)
	v_fma_f32 v86, -v75, v85, v84
	v_fmac_f32_e32 v85, v86, v83
	s_delay_alu instid0(VALU_DEP_1) | instskip(NEXT) | instid1(VALU_DEP_1)
	v_fma_f32 v75, -v75, v85, v84
	v_div_fmas_f32 v75, v75, v83, v85
	s_delay_alu instid0(VALU_DEP_1) | instskip(NEXT) | instid1(VALU_DEP_1)
	v_div_fixup_f32 v74, v75, v74, 1.0
	v_mul_f32_e64 v75, v77, -v74
.LBB66_597:
	s_or_b32 exec_lo, exec_lo, s1
.LBB66_598:
	s_delay_alu instid0(SALU_CYCLE_1) | instskip(NEXT) | instid1(SALU_CYCLE_1)
	s_or_b32 exec_lo, exec_lo, s0
	s_mov_b32 s0, exec_lo
	v_cmpx_ne_u32_e64 v82, v76
	s_xor_b32 s0, exec_lo, s0
	s_cbranch_execz .LBB66_604
; %bb.599:
	s_mov_b32 s1, exec_lo
	v_cmpx_eq_u32_e32 28, v82
	s_cbranch_execz .LBB66_603
; %bb.600:
	v_cmp_ne_u32_e32 vcc_lo, 28, v76
	s_xor_b32 s12, s16, -1
	s_delay_alu instid0(SALU_CYCLE_1) | instskip(NEXT) | instid1(SALU_CYCLE_1)
	s_and_b32 s13, s12, vcc_lo
	s_and_saveexec_b32 s12, s13
	s_cbranch_execz .LBB66_602
; %bb.601:
	v_ashrrev_i32_e32 v77, 31, v76
	s_delay_alu instid0(VALU_DEP_1)
	v_lshl_add_u64 v[82:83], v[76:77], 2, v[4:5]
	s_clause 0x1
	global_load_b32 v77, v[82:83], off
	global_load_b32 v81, v[4:5], off offset:112
	s_wait_loadcnt 0x1
	global_store_b32 v[4:5], v77, off offset:112
	s_wait_loadcnt 0x0
	global_store_b32 v[82:83], v81, off
.LBB66_602:
	s_wait_xcnt 0x0
	s_or_b32 exec_lo, exec_lo, s12
	v_dual_mov_b32 v82, v76 :: v_dual_mov_b32 v81, v76
.LBB66_603:
	s_or_b32 exec_lo, exec_lo, s1
.LBB66_604:
	s_and_not1_saveexec_b32 s0, s0
	s_cbranch_execz .LBB66_606
; %bb.605:
	v_mov_b32_e32 v82, 28
	ds_store_2addr_b64 v78, v[12:13], v[48:49] offset0:29 offset1:30
	ds_store_2addr_b64 v78, v[46:47], v[32:33] offset0:31 offset1:32
	ds_store_b64 v78, v[72:73] offset:264
.LBB66_606:
	s_or_b32 exec_lo, exec_lo, s0
	s_delay_alu instid0(SALU_CYCLE_1)
	s_mov_b32 s0, exec_lo
	s_wait_storecnt_dscnt 0x0
	s_barrier_signal -1
	s_barrier_wait -1
	v_cmpx_lt_i32_e32 28, v82
	s_cbranch_execz .LBB66_608
; %bb.607:
	v_pk_mul_f32 v[76:77], v[74:75], v[50:51] op_sel:[1,1] op_sel_hi:[0,1]
	s_delay_alu instid0(VALU_DEP_1)
	v_pk_fma_f32 v[84:85], v[74:75], v[50:51], v[76:77] op_sel_hi:[1,0,1] neg_lo:[0,0,1] neg_hi:[0,0,1]
	v_pk_fma_f32 v[86:87], v[74:75], v[50:51], v[76:77] op_sel_hi:[1,0,1]
	ds_load_2addr_b64 v[74:77], v78 offset0:29 offset1:30
	v_dual_mov_b32 v50, v84 :: v_dual_mov_b32 v51, v87
	s_wait_dscnt 0x0
	v_pk_mul_f32 v[88:89], v[74:75], v[86:87] op_sel:[0,1]
	s_delay_alu instid0(VALU_DEP_1) | instskip(SKIP_1) | instid1(VALU_DEP_1)
	v_pk_fma_f32 v[90:91], v[74:75], v[84:85], v[88:89] op_sel:[0,0,1] op_sel_hi:[1,1,0] neg_lo:[0,0,1] neg_hi:[0,0,1]
	v_pk_fma_f32 v[74:75], v[74:75], v[84:85], v[88:89] op_sel:[0,0,1] op_sel_hi:[1,0,0]
	v_mov_b32_e32 v91, v75
	v_pk_mul_f32 v[74:75], v[76:77], v[86:87] op_sel:[0,1]
	s_delay_alu instid0(VALU_DEP_1) | instskip(SKIP_1) | instid1(VALU_DEP_1)
	v_pk_fma_f32 v[88:89], v[76:77], v[84:85], v[74:75] op_sel:[0,0,1] op_sel_hi:[1,1,0] neg_lo:[0,0,1] neg_hi:[0,0,1]
	v_pk_fma_f32 v[74:75], v[76:77], v[84:85], v[74:75] op_sel:[0,0,1] op_sel_hi:[1,0,0]
	v_mov_b32_e32 v89, v75
	ds_load_2addr_b64 v[74:77], v78 offset0:31 offset1:32
	v_pk_add_f32 v[12:13], v[12:13], v[90:91] neg_lo:[0,1] neg_hi:[0,1]
	v_pk_add_f32 v[48:49], v[48:49], v[88:89] neg_lo:[0,1] neg_hi:[0,1]
	s_wait_dscnt 0x0
	v_pk_mul_f32 v[88:89], v[74:75], v[86:87] op_sel:[0,1]
	s_delay_alu instid0(VALU_DEP_1) | instskip(SKIP_2) | instid1(VALU_DEP_2)
	v_pk_fma_f32 v[90:91], v[74:75], v[84:85], v[88:89] op_sel:[0,0,1] op_sel_hi:[1,1,0] neg_lo:[0,0,1] neg_hi:[0,0,1]
	v_pk_fma_f32 v[74:75], v[74:75], v[84:85], v[88:89] op_sel:[0,0,1] op_sel_hi:[1,0,0]
	v_dual_mul_f32 v88, v77, v87 :: v_dual_mov_b32 v74, v77
	v_dual_mov_b32 v91, v75 :: v_dual_mov_b32 v75, v76
	s_delay_alu instid0(VALU_DEP_2) | instskip(SKIP_1) | instid1(VALU_DEP_3)
	v_pk_fma_f32 v[88:89], v[76:77], v[50:51], v[88:89] op_sel_hi:[1,1,0] neg_lo:[0,0,1] neg_hi:[0,0,1]
	v_mul_f32_e32 v76, v77, v84
	v_pk_add_f32 v[46:47], v[46:47], v[90:91] neg_lo:[0,1] neg_hi:[0,1]
	s_delay_alu instid0(VALU_DEP_2) | instskip(NEXT) | instid1(VALU_DEP_1)
	v_pk_fma_f32 v[74:75], v[74:75], v[50:51], v[76:77] op_sel_hi:[1,1,0]
	v_mov_b32_e32 v89, v75
	ds_load_b64 v[74:75], v78 offset:264
	v_pk_add_f32 v[32:33], v[32:33], v[88:89] neg_lo:[0,1] neg_hi:[0,1]
	s_wait_dscnt 0x0
	v_pk_mul_f32 v[76:77], v[74:75], v[86:87] op_sel:[0,1]
	s_delay_alu instid0(VALU_DEP_1) | instskip(SKIP_1) | instid1(VALU_DEP_1)
	v_pk_fma_f32 v[86:87], v[74:75], v[84:85], v[76:77] op_sel:[0,0,1] op_sel_hi:[1,1,0] neg_lo:[0,0,1] neg_hi:[0,0,1]
	v_pk_fma_f32 v[74:75], v[74:75], v[84:85], v[76:77] op_sel:[0,0,1] op_sel_hi:[1,0,0]
	v_mov_b32_e32 v87, v75
	s_delay_alu instid0(VALU_DEP_1)
	v_pk_add_f32 v[72:73], v[72:73], v[86:87] neg_lo:[0,1] neg_hi:[0,1]
.LBB66_608:
	s_or_b32 exec_lo, exec_lo, s0
	v_lshl_add_u32 v74, v82, 3, v78
	s_barrier_signal -1
	s_barrier_wait -1
	ds_store_b64 v74, v[12:13]
	s_wait_dscnt 0x0
	s_barrier_signal -1
	s_barrier_wait -1
	ds_load_b64 v[74:75], v78 offset:232
	v_mov_b32_e32 v76, 29
	s_cmp_lt_i32 s18, 31
	s_cbranch_scc1 .LBB66_611
; %bb.609:
	v_add3_u32 v77, v79, 0, 0xf0
	v_mov_b32_e32 v76, 29
	s_mov_b32 s0, 30
.LBB66_610:                             ; =>This Inner Loop Header: Depth=1
	ds_load_b64 v[84:85], v77
	s_wait_dscnt 0x1
	v_cmp_gt_f32_e32 vcc_lo, 0, v74
	v_cndmask_b32_e64 v86, v74, -v74, vcc_lo
	v_cmp_gt_f32_e32 vcc_lo, 0, v75
	v_cndmask_b32_e64 v88, v75, -v75, vcc_lo
	s_wait_dscnt 0x0
	v_cmp_gt_f32_e32 vcc_lo, 0, v84
	v_cndmask_b32_e64 v87, v84, -v84, vcc_lo
	v_cmp_gt_f32_e32 vcc_lo, 0, v85
	v_cndmask_b32_e64 v89, v85, -v85, vcc_lo
	s_delay_alu instid0(VALU_DEP_1) | instskip(NEXT) | instid1(VALU_DEP_1)
	v_pk_add_f32 v[86:87], v[86:87], v[88:89]
	v_cmp_lt_f32_e32 vcc_lo, v86, v87
	v_dual_cndmask_b32 v74, v74, v84 :: v_dual_add_nc_u32 v77, 8, v77
	v_cndmask_b32_e32 v75, v75, v85, vcc_lo
	v_cndmask_b32_e64 v76, v76, s0, vcc_lo
	s_add_co_i32 s0, s0, 1
	s_delay_alu instid0(SALU_CYCLE_1)
	s_cmp_lg_u32 s18, s0
	s_cbranch_scc1 .LBB66_610
.LBB66_611:
	s_wait_dscnt 0x0
	v_cmp_eq_f32_e32 vcc_lo, 0, v74
	v_cmp_eq_f32_e64 s0, 0, v75
	s_and_b32 s0, vcc_lo, s0
	s_delay_alu instid0(SALU_CYCLE_1) | instskip(NEXT) | instid1(SALU_CYCLE_1)
	s_and_saveexec_b32 s1, s0
	s_xor_b32 s0, exec_lo, s1
; %bb.612:
	v_cmp_ne_u32_e32 vcc_lo, 0, v80
	v_cndmask_b32_e32 v80, 30, v80, vcc_lo
; %bb.613:
	s_and_not1_saveexec_b32 s0, s0
	s_cbranch_execz .LBB66_619
; %bb.614:
	v_cmp_ngt_f32_e64 s1, |v74|, |v75|
	s_and_saveexec_b32 s12, s1
	s_delay_alu instid0(SALU_CYCLE_1)
	s_xor_b32 s1, exec_lo, s12
	s_cbranch_execz .LBB66_616
; %bb.615:
	v_div_scale_f32 v77, null, v75, v75, v74
	v_div_scale_f32 v85, vcc_lo, v74, v75, v74
	s_delay_alu instid0(VALU_DEP_2) | instskip(SKIP_1) | instid1(TRANS32_DEP_1)
	v_rcp_f32_e32 v83, v77
	v_nop
	v_fma_f32 v84, -v77, v83, 1.0
	s_delay_alu instid0(VALU_DEP_1) | instskip(NEXT) | instid1(VALU_DEP_1)
	v_fmac_f32_e32 v83, v84, v83
	v_mul_f32_e32 v84, v85, v83
	s_delay_alu instid0(VALU_DEP_1) | instskip(NEXT) | instid1(VALU_DEP_1)
	v_fma_f32 v86, -v77, v84, v85
	v_fmac_f32_e32 v84, v86, v83
	s_delay_alu instid0(VALU_DEP_1) | instskip(NEXT) | instid1(VALU_DEP_1)
	v_fma_f32 v77, -v77, v84, v85
	v_div_fmas_f32 v77, v77, v83, v84
	s_delay_alu instid0(VALU_DEP_1) | instskip(NEXT) | instid1(VALU_DEP_1)
	v_div_fixup_f32 v77, v77, v75, v74
	v_fmac_f32_e32 v75, v74, v77
	s_delay_alu instid0(VALU_DEP_1) | instskip(SKIP_1) | instid1(VALU_DEP_2)
	v_div_scale_f32 v74, null, v75, v75, 1.0
	v_div_scale_f32 v85, vcc_lo, 1.0, v75, 1.0
	v_rcp_f32_e32 v83, v74
	v_nop
	s_delay_alu instid0(TRANS32_DEP_1) | instskip(NEXT) | instid1(VALU_DEP_1)
	v_fma_f32 v84, -v74, v83, 1.0
	v_fmac_f32_e32 v83, v84, v83
	s_delay_alu instid0(VALU_DEP_1) | instskip(NEXT) | instid1(VALU_DEP_1)
	v_mul_f32_e32 v84, v85, v83
	v_fma_f32 v86, -v74, v84, v85
	s_delay_alu instid0(VALU_DEP_1) | instskip(NEXT) | instid1(VALU_DEP_1)
	v_fmac_f32_e32 v84, v86, v83
	v_fma_f32 v74, -v74, v84, v85
	s_delay_alu instid0(VALU_DEP_1) | instskip(NEXT) | instid1(VALU_DEP_1)
	v_div_fmas_f32 v74, v74, v83, v84
	v_div_fixup_f32 v75, v74, v75, 1.0
	s_delay_alu instid0(VALU_DEP_1)
	v_mul_f32_e32 v74, v77, v75
	v_xor_b32_e32 v75, 0x80000000, v75
.LBB66_616:
	s_and_not1_saveexec_b32 s1, s1
	s_cbranch_execz .LBB66_618
; %bb.617:
	s_delay_alu instid0(VALU_DEP_1) | instskip(SKIP_1) | instid1(VALU_DEP_2)
	v_div_scale_f32 v77, null, v74, v74, v75
	v_div_scale_f32 v85, vcc_lo, v75, v74, v75
	v_rcp_f32_e32 v83, v77
	v_nop
	s_delay_alu instid0(TRANS32_DEP_1) | instskip(NEXT) | instid1(VALU_DEP_1)
	v_fma_f32 v84, -v77, v83, 1.0
	v_fmac_f32_e32 v83, v84, v83
	s_delay_alu instid0(VALU_DEP_1) | instskip(NEXT) | instid1(VALU_DEP_1)
	v_mul_f32_e32 v84, v85, v83
	v_fma_f32 v86, -v77, v84, v85
	s_delay_alu instid0(VALU_DEP_1) | instskip(NEXT) | instid1(VALU_DEP_1)
	v_fmac_f32_e32 v84, v86, v83
	v_fma_f32 v77, -v77, v84, v85
	s_delay_alu instid0(VALU_DEP_1) | instskip(NEXT) | instid1(VALU_DEP_1)
	v_div_fmas_f32 v77, v77, v83, v84
	v_div_fixup_f32 v77, v77, v74, v75
	s_delay_alu instid0(VALU_DEP_1) | instskip(NEXT) | instid1(VALU_DEP_1)
	v_fmac_f32_e32 v74, v75, v77
	v_div_scale_f32 v75, null, v74, v74, 1.0
	s_delay_alu instid0(VALU_DEP_1) | instskip(SKIP_1) | instid1(TRANS32_DEP_1)
	v_rcp_f32_e32 v83, v75
	v_nop
	v_fma_f32 v84, -v75, v83, 1.0
	s_delay_alu instid0(VALU_DEP_1) | instskip(SKIP_1) | instid1(VALU_DEP_1)
	v_fmac_f32_e32 v83, v84, v83
	v_div_scale_f32 v84, vcc_lo, 1.0, v74, 1.0
	v_mul_f32_e32 v85, v84, v83
	s_delay_alu instid0(VALU_DEP_1) | instskip(NEXT) | instid1(VALU_DEP_1)
	v_fma_f32 v86, -v75, v85, v84
	v_fmac_f32_e32 v85, v86, v83
	s_delay_alu instid0(VALU_DEP_1) | instskip(NEXT) | instid1(VALU_DEP_1)
	v_fma_f32 v75, -v75, v85, v84
	v_div_fmas_f32 v75, v75, v83, v85
	s_delay_alu instid0(VALU_DEP_1) | instskip(NEXT) | instid1(VALU_DEP_1)
	v_div_fixup_f32 v74, v75, v74, 1.0
	v_mul_f32_e64 v75, v77, -v74
.LBB66_618:
	s_or_b32 exec_lo, exec_lo, s1
.LBB66_619:
	s_delay_alu instid0(SALU_CYCLE_1) | instskip(NEXT) | instid1(SALU_CYCLE_1)
	s_or_b32 exec_lo, exec_lo, s0
	s_mov_b32 s0, exec_lo
	v_cmpx_ne_u32_e64 v82, v76
	s_xor_b32 s0, exec_lo, s0
	s_cbranch_execz .LBB66_625
; %bb.620:
	s_mov_b32 s1, exec_lo
	v_cmpx_eq_u32_e32 29, v82
	s_cbranch_execz .LBB66_624
; %bb.621:
	v_cmp_ne_u32_e32 vcc_lo, 29, v76
	s_xor_b32 s12, s16, -1
	s_delay_alu instid0(SALU_CYCLE_1) | instskip(NEXT) | instid1(SALU_CYCLE_1)
	s_and_b32 s13, s12, vcc_lo
	s_and_saveexec_b32 s12, s13
	s_cbranch_execz .LBB66_623
; %bb.622:
	v_ashrrev_i32_e32 v77, 31, v76
	s_delay_alu instid0(VALU_DEP_1)
	v_lshl_add_u64 v[82:83], v[76:77], 2, v[4:5]
	s_clause 0x1
	global_load_b32 v77, v[82:83], off
	global_load_b32 v81, v[4:5], off offset:116
	s_wait_loadcnt 0x1
	global_store_b32 v[4:5], v77, off offset:116
	s_wait_loadcnt 0x0
	global_store_b32 v[82:83], v81, off
.LBB66_623:
	s_wait_xcnt 0x0
	s_or_b32 exec_lo, exec_lo, s12
	v_dual_mov_b32 v82, v76 :: v_dual_mov_b32 v81, v76
.LBB66_624:
	s_or_b32 exec_lo, exec_lo, s1
.LBB66_625:
	s_and_not1_saveexec_b32 s0, s0
	s_cbranch_execz .LBB66_627
; %bb.626:
	v_dual_mov_b32 v76, v48 :: v_dual_mov_b32 v77, v49
	v_dual_mov_b32 v84, v46 :: v_dual_mov_b32 v85, v47
	;; [unrolled: 1-line block ×3, first 2 shown]
	v_mov_b32_e32 v87, v33
	ds_store_2addr_b64 v78, v[76:77], v[84:85] offset0:30 offset1:31
	ds_store_2addr_b64 v78, v[86:87], v[72:73] offset0:32 offset1:33
.LBB66_627:
	s_or_b32 exec_lo, exec_lo, s0
	s_delay_alu instid0(SALU_CYCLE_1)
	s_mov_b32 s0, exec_lo
	s_wait_storecnt_dscnt 0x0
	s_barrier_signal -1
	s_barrier_wait -1
	v_cmpx_lt_i32_e32 29, v82
	s_cbranch_execz .LBB66_629
; %bb.628:
	v_pk_mul_f32 v[76:77], v[74:75], v[12:13] op_sel:[1,1] op_sel_hi:[0,1]
	s_delay_alu instid0(VALU_DEP_1)
	v_pk_fma_f32 v[84:85], v[74:75], v[12:13], v[76:77] op_sel_hi:[1,0,1] neg_lo:[0,0,1] neg_hi:[0,0,1]
	v_pk_fma_f32 v[86:87], v[74:75], v[12:13], v[76:77] op_sel_hi:[1,0,1]
	ds_load_2addr_b64 v[74:77], v78 offset0:30 offset1:31
	v_dual_mov_b32 v12, v84 :: v_dual_mov_b32 v13, v87
	s_wait_dscnt 0x0
	v_pk_mul_f32 v[88:89], v[74:75], v[86:87] op_sel:[0,1]
	s_delay_alu instid0(VALU_DEP_1) | instskip(SKIP_1) | instid1(VALU_DEP_1)
	v_pk_fma_f32 v[90:91], v[74:75], v[84:85], v[88:89] op_sel:[0,0,1] op_sel_hi:[1,1,0] neg_lo:[0,0,1] neg_hi:[0,0,1]
	v_pk_fma_f32 v[74:75], v[74:75], v[84:85], v[88:89] op_sel:[0,0,1] op_sel_hi:[1,0,0]
	v_mov_b32_e32 v91, v75
	v_pk_mul_f32 v[74:75], v[76:77], v[86:87] op_sel:[0,1]
	s_delay_alu instid0(VALU_DEP_1) | instskip(SKIP_1) | instid1(VALU_DEP_1)
	v_pk_fma_f32 v[88:89], v[76:77], v[84:85], v[74:75] op_sel:[0,0,1] op_sel_hi:[1,1,0] neg_lo:[0,0,1] neg_hi:[0,0,1]
	v_pk_fma_f32 v[74:75], v[76:77], v[84:85], v[74:75] op_sel:[0,0,1] op_sel_hi:[1,0,0]
	v_mov_b32_e32 v89, v75
	ds_load_2addr_b64 v[74:77], v78 offset0:32 offset1:33
	v_pk_add_f32 v[48:49], v[48:49], v[90:91] neg_lo:[0,1] neg_hi:[0,1]
	v_pk_add_f32 v[46:47], v[46:47], v[88:89] neg_lo:[0,1] neg_hi:[0,1]
	s_wait_dscnt 0x0
	v_pk_mul_f32 v[88:89], v[74:75], v[86:87] op_sel:[0,1]
	s_delay_alu instid0(VALU_DEP_1) | instskip(SKIP_1) | instid1(VALU_DEP_1)
	v_pk_fma_f32 v[90:91], v[74:75], v[84:85], v[88:89] op_sel:[0,0,1] op_sel_hi:[1,1,0] neg_lo:[0,0,1] neg_hi:[0,0,1]
	v_pk_fma_f32 v[74:75], v[74:75], v[84:85], v[88:89] op_sel:[0,0,1] op_sel_hi:[1,0,0]
	v_dual_mov_b32 v74, v77 :: v_dual_mov_b32 v91, v75
	v_mov_b32_e32 v75, v76
	s_delay_alu instid0(VALU_DEP_2) | instskip(NEXT) | instid1(VALU_DEP_2)
	v_pk_add_f32 v[32:33], v[32:33], v[90:91] neg_lo:[0,1] neg_hi:[0,1]
	v_pk_mul_f32 v[74:75], v[74:75], v[86:87] op_sel:[0,1]
	s_delay_alu instid0(VALU_DEP_1) | instskip(SKIP_1) | instid1(VALU_DEP_1)
	v_pk_fma_f32 v[86:87], v[76:77], v[84:85], v[74:75] neg_lo:[0,0,1] neg_hi:[0,0,1]
	v_pk_fma_f32 v[74:75], v[76:77], v[84:85], v[74:75] op_sel_hi:[1,0,1]
	v_mov_b32_e32 v87, v75
	s_delay_alu instid0(VALU_DEP_1)
	v_pk_add_f32 v[72:73], v[72:73], v[86:87] neg_lo:[0,1] neg_hi:[0,1]
.LBB66_629:
	s_or_b32 exec_lo, exec_lo, s0
	v_lshl_add_u32 v74, v82, 3, v78
	s_barrier_signal -1
	s_barrier_wait -1
	ds_store_b64 v74, v[48:49]
	s_wait_dscnt 0x0
	s_barrier_signal -1
	s_barrier_wait -1
	ds_load_b64 v[74:75], v78 offset:240
	v_mov_b32_e32 v76, 30
	s_cmp_lt_i32 s18, 32
	s_cbranch_scc1 .LBB66_632
; %bb.630:
	v_add3_u32 v77, v79, 0, 0xf8
	v_mov_b32_e32 v76, 30
	s_mov_b32 s0, 31
.LBB66_631:                             ; =>This Inner Loop Header: Depth=1
	ds_load_b64 v[84:85], v77
	s_wait_dscnt 0x1
	v_cmp_gt_f32_e32 vcc_lo, 0, v74
	v_cndmask_b32_e64 v86, v74, -v74, vcc_lo
	v_cmp_gt_f32_e32 vcc_lo, 0, v75
	v_cndmask_b32_e64 v88, v75, -v75, vcc_lo
	s_wait_dscnt 0x0
	v_cmp_gt_f32_e32 vcc_lo, 0, v84
	v_cndmask_b32_e64 v87, v84, -v84, vcc_lo
	v_cmp_gt_f32_e32 vcc_lo, 0, v85
	v_cndmask_b32_e64 v89, v85, -v85, vcc_lo
	s_delay_alu instid0(VALU_DEP_1) | instskip(NEXT) | instid1(VALU_DEP_1)
	v_pk_add_f32 v[86:87], v[86:87], v[88:89]
	v_cmp_lt_f32_e32 vcc_lo, v86, v87
	v_dual_cndmask_b32 v74, v74, v84 :: v_dual_add_nc_u32 v77, 8, v77
	v_cndmask_b32_e32 v75, v75, v85, vcc_lo
	v_cndmask_b32_e64 v76, v76, s0, vcc_lo
	s_add_co_i32 s0, s0, 1
	s_delay_alu instid0(SALU_CYCLE_1)
	s_cmp_lg_u32 s18, s0
	s_cbranch_scc1 .LBB66_631
.LBB66_632:
	s_wait_dscnt 0x0
	v_cmp_eq_f32_e32 vcc_lo, 0, v74
	v_cmp_eq_f32_e64 s0, 0, v75
	s_and_b32 s0, vcc_lo, s0
	s_delay_alu instid0(SALU_CYCLE_1) | instskip(NEXT) | instid1(SALU_CYCLE_1)
	s_and_saveexec_b32 s1, s0
	s_xor_b32 s0, exec_lo, s1
; %bb.633:
	v_cmp_ne_u32_e32 vcc_lo, 0, v80
	v_cndmask_b32_e32 v80, 31, v80, vcc_lo
; %bb.634:
	s_and_not1_saveexec_b32 s0, s0
	s_cbranch_execz .LBB66_640
; %bb.635:
	v_cmp_ngt_f32_e64 s1, |v74|, |v75|
	s_and_saveexec_b32 s12, s1
	s_delay_alu instid0(SALU_CYCLE_1)
	s_xor_b32 s1, exec_lo, s12
	s_cbranch_execz .LBB66_637
; %bb.636:
	v_div_scale_f32 v77, null, v75, v75, v74
	v_div_scale_f32 v85, vcc_lo, v74, v75, v74
	s_delay_alu instid0(VALU_DEP_2) | instskip(SKIP_1) | instid1(TRANS32_DEP_1)
	v_rcp_f32_e32 v83, v77
	v_nop
	v_fma_f32 v84, -v77, v83, 1.0
	s_delay_alu instid0(VALU_DEP_1) | instskip(NEXT) | instid1(VALU_DEP_1)
	v_fmac_f32_e32 v83, v84, v83
	v_mul_f32_e32 v84, v85, v83
	s_delay_alu instid0(VALU_DEP_1) | instskip(NEXT) | instid1(VALU_DEP_1)
	v_fma_f32 v86, -v77, v84, v85
	v_fmac_f32_e32 v84, v86, v83
	s_delay_alu instid0(VALU_DEP_1) | instskip(NEXT) | instid1(VALU_DEP_1)
	v_fma_f32 v77, -v77, v84, v85
	v_div_fmas_f32 v77, v77, v83, v84
	s_delay_alu instid0(VALU_DEP_1) | instskip(NEXT) | instid1(VALU_DEP_1)
	v_div_fixup_f32 v77, v77, v75, v74
	v_fmac_f32_e32 v75, v74, v77
	s_delay_alu instid0(VALU_DEP_1) | instskip(SKIP_1) | instid1(VALU_DEP_2)
	v_div_scale_f32 v74, null, v75, v75, 1.0
	v_div_scale_f32 v85, vcc_lo, 1.0, v75, 1.0
	v_rcp_f32_e32 v83, v74
	v_nop
	s_delay_alu instid0(TRANS32_DEP_1) | instskip(NEXT) | instid1(VALU_DEP_1)
	v_fma_f32 v84, -v74, v83, 1.0
	v_fmac_f32_e32 v83, v84, v83
	s_delay_alu instid0(VALU_DEP_1) | instskip(NEXT) | instid1(VALU_DEP_1)
	v_mul_f32_e32 v84, v85, v83
	v_fma_f32 v86, -v74, v84, v85
	s_delay_alu instid0(VALU_DEP_1) | instskip(NEXT) | instid1(VALU_DEP_1)
	v_fmac_f32_e32 v84, v86, v83
	v_fma_f32 v74, -v74, v84, v85
	s_delay_alu instid0(VALU_DEP_1) | instskip(NEXT) | instid1(VALU_DEP_1)
	v_div_fmas_f32 v74, v74, v83, v84
	v_div_fixup_f32 v75, v74, v75, 1.0
	s_delay_alu instid0(VALU_DEP_1)
	v_mul_f32_e32 v74, v77, v75
	v_xor_b32_e32 v75, 0x80000000, v75
.LBB66_637:
	s_and_not1_saveexec_b32 s1, s1
	s_cbranch_execz .LBB66_639
; %bb.638:
	s_delay_alu instid0(VALU_DEP_1) | instskip(SKIP_1) | instid1(VALU_DEP_2)
	v_div_scale_f32 v77, null, v74, v74, v75
	v_div_scale_f32 v85, vcc_lo, v75, v74, v75
	v_rcp_f32_e32 v83, v77
	v_nop
	s_delay_alu instid0(TRANS32_DEP_1) | instskip(NEXT) | instid1(VALU_DEP_1)
	v_fma_f32 v84, -v77, v83, 1.0
	v_fmac_f32_e32 v83, v84, v83
	s_delay_alu instid0(VALU_DEP_1) | instskip(NEXT) | instid1(VALU_DEP_1)
	v_mul_f32_e32 v84, v85, v83
	v_fma_f32 v86, -v77, v84, v85
	s_delay_alu instid0(VALU_DEP_1) | instskip(NEXT) | instid1(VALU_DEP_1)
	v_fmac_f32_e32 v84, v86, v83
	v_fma_f32 v77, -v77, v84, v85
	s_delay_alu instid0(VALU_DEP_1) | instskip(NEXT) | instid1(VALU_DEP_1)
	v_div_fmas_f32 v77, v77, v83, v84
	v_div_fixup_f32 v77, v77, v74, v75
	s_delay_alu instid0(VALU_DEP_1) | instskip(NEXT) | instid1(VALU_DEP_1)
	v_fmac_f32_e32 v74, v75, v77
	v_div_scale_f32 v75, null, v74, v74, 1.0
	s_delay_alu instid0(VALU_DEP_1) | instskip(SKIP_1) | instid1(TRANS32_DEP_1)
	v_rcp_f32_e32 v83, v75
	v_nop
	v_fma_f32 v84, -v75, v83, 1.0
	s_delay_alu instid0(VALU_DEP_1) | instskip(SKIP_1) | instid1(VALU_DEP_1)
	v_fmac_f32_e32 v83, v84, v83
	v_div_scale_f32 v84, vcc_lo, 1.0, v74, 1.0
	v_mul_f32_e32 v85, v84, v83
	s_delay_alu instid0(VALU_DEP_1) | instskip(NEXT) | instid1(VALU_DEP_1)
	v_fma_f32 v86, -v75, v85, v84
	v_fmac_f32_e32 v85, v86, v83
	s_delay_alu instid0(VALU_DEP_1) | instskip(NEXT) | instid1(VALU_DEP_1)
	v_fma_f32 v75, -v75, v85, v84
	v_div_fmas_f32 v75, v75, v83, v85
	s_delay_alu instid0(VALU_DEP_1) | instskip(NEXT) | instid1(VALU_DEP_1)
	v_div_fixup_f32 v74, v75, v74, 1.0
	v_mul_f32_e64 v75, v77, -v74
.LBB66_639:
	s_or_b32 exec_lo, exec_lo, s1
.LBB66_640:
	s_delay_alu instid0(SALU_CYCLE_1) | instskip(NEXT) | instid1(SALU_CYCLE_1)
	s_or_b32 exec_lo, exec_lo, s0
	s_mov_b32 s0, exec_lo
	v_cmpx_ne_u32_e64 v82, v76
	s_xor_b32 s0, exec_lo, s0
	s_cbranch_execz .LBB66_646
; %bb.641:
	s_mov_b32 s1, exec_lo
	v_cmpx_eq_u32_e32 30, v82
	s_cbranch_execz .LBB66_645
; %bb.642:
	v_cmp_ne_u32_e32 vcc_lo, 30, v76
	s_xor_b32 s12, s16, -1
	s_delay_alu instid0(SALU_CYCLE_1) | instskip(NEXT) | instid1(SALU_CYCLE_1)
	s_and_b32 s13, s12, vcc_lo
	s_and_saveexec_b32 s12, s13
	s_cbranch_execz .LBB66_644
; %bb.643:
	v_ashrrev_i32_e32 v77, 31, v76
	s_delay_alu instid0(VALU_DEP_1)
	v_lshl_add_u64 v[82:83], v[76:77], 2, v[4:5]
	s_clause 0x1
	global_load_b32 v77, v[82:83], off
	global_load_b32 v81, v[4:5], off offset:120
	s_wait_loadcnt 0x1
	global_store_b32 v[4:5], v77, off offset:120
	s_wait_loadcnt 0x0
	global_store_b32 v[82:83], v81, off
.LBB66_644:
	s_wait_xcnt 0x0
	s_or_b32 exec_lo, exec_lo, s12
	v_dual_mov_b32 v82, v76 :: v_dual_mov_b32 v81, v76
.LBB66_645:
	s_or_b32 exec_lo, exec_lo, s1
.LBB66_646:
	s_and_not1_saveexec_b32 s0, s0
	s_cbranch_execz .LBB66_648
; %bb.647:
	v_mov_b32_e32 v82, 30
	ds_store_2addr_b64 v78, v[46:47], v[32:33] offset0:31 offset1:32
	ds_store_b64 v78, v[72:73] offset:264
.LBB66_648:
	s_or_b32 exec_lo, exec_lo, s0
	s_delay_alu instid0(SALU_CYCLE_1)
	s_mov_b32 s0, exec_lo
	s_wait_storecnt_dscnt 0x0
	s_barrier_signal -1
	s_barrier_wait -1
	v_cmpx_lt_i32_e32 30, v82
	s_cbranch_execz .LBB66_650
; %bb.649:
	ds_load_2addr_b64 v[84:87], v78 offset0:31 offset1:32
	ds_load_b64 v[76:77], v78 offset:264
	v_pk_mul_f32 v[88:89], v[74:75], v[48:49] op_sel:[1,1] op_sel_hi:[0,1]
	s_delay_alu instid0(VALU_DEP_1) | instskip(SKIP_2) | instid1(VALU_DEP_2)
	v_pk_fma_f32 v[90:91], v[74:75], v[48:49], v[88:89] op_sel_hi:[1,0,1]
	v_pk_fma_f32 v[48:49], v[74:75], v[48:49], v[88:89] op_sel_hi:[1,0,1] neg_lo:[0,0,1] neg_hi:[0,0,1]
	s_wait_dscnt 0x1
	v_pk_mul_f32 v[74:75], v[84:85], v[90:91] op_sel:[0,1]
	v_pk_mul_f32 v[88:89], v[86:87], v[90:91] op_sel:[0,1]
	s_wait_dscnt 0x0
	v_pk_mul_f32 v[92:93], v[76:77], v[90:91] op_sel:[1,1] op_sel_hi:[0,1]
	s_delay_alu instid0(VALU_DEP_3) | instskip(SKIP_2) | instid1(VALU_DEP_4)
	v_pk_fma_f32 v[94:95], v[84:85], v[48:49], v[74:75] op_sel:[0,0,1] op_sel_hi:[1,1,0] neg_lo:[0,0,1] neg_hi:[0,0,1]
	v_pk_fma_f32 v[74:75], v[84:85], v[48:49], v[74:75] op_sel:[0,0,1] op_sel_hi:[1,0,0]
	v_pk_fma_f32 v[84:85], v[86:87], v[48:49], v[88:89] op_sel:[0,0,1] op_sel_hi:[1,0,0]
	v_pk_fma_f32 v[96:97], v[76:77], v[48:49], v[92:93] op_sel_hi:[1,0,1]
	v_pk_fma_f32 v[86:87], v[86:87], v[48:49], v[88:89] op_sel:[0,0,1] op_sel_hi:[1,1,0] neg_lo:[0,0,1] neg_hi:[0,0,1]
	v_pk_fma_f32 v[76:77], v[76:77], v[48:49], v[92:93] neg_lo:[0,0,1] neg_hi:[0,0,1]
	s_delay_alu instid0(VALU_DEP_4) | instskip(NEXT) | instid1(VALU_DEP_4)
	v_dual_mov_b32 v95, v75 :: v_dual_mov_b32 v87, v85
	v_dual_mov_b32 v77, v97 :: v_dual_mov_b32 v49, v91
	s_delay_alu instid0(VALU_DEP_2) | instskip(NEXT) | instid1(VALU_DEP_3)
	v_pk_add_f32 v[46:47], v[46:47], v[94:95] neg_lo:[0,1] neg_hi:[0,1]
	v_pk_add_f32 v[32:33], v[32:33], v[86:87] neg_lo:[0,1] neg_hi:[0,1]
	s_delay_alu instid0(VALU_DEP_3)
	v_pk_add_f32 v[72:73], v[72:73], v[76:77] neg_lo:[0,1] neg_hi:[0,1]
.LBB66_650:
	s_or_b32 exec_lo, exec_lo, s0
	v_lshl_add_u32 v74, v82, 3, v78
	s_barrier_signal -1
	s_barrier_wait -1
	ds_store_b64 v74, v[46:47]
	s_wait_dscnt 0x0
	s_barrier_signal -1
	s_barrier_wait -1
	ds_load_b64 v[74:75], v78 offset:248
	v_mov_b32_e32 v76, 31
	s_cmp_lt_i32 s18, 33
	s_cbranch_scc1 .LBB66_653
; %bb.651:
	v_add3_u32 v77, v79, 0, 0x100
	v_mov_b32_e32 v76, 31
	s_mov_b32 s0, 32
.LBB66_652:                             ; =>This Inner Loop Header: Depth=1
	ds_load_b64 v[84:85], v77
	s_wait_dscnt 0x1
	v_cmp_gt_f32_e32 vcc_lo, 0, v74
	v_cndmask_b32_e64 v86, v74, -v74, vcc_lo
	v_cmp_gt_f32_e32 vcc_lo, 0, v75
	v_cndmask_b32_e64 v88, v75, -v75, vcc_lo
	s_wait_dscnt 0x0
	v_cmp_gt_f32_e32 vcc_lo, 0, v84
	v_cndmask_b32_e64 v87, v84, -v84, vcc_lo
	v_cmp_gt_f32_e32 vcc_lo, 0, v85
	v_cndmask_b32_e64 v89, v85, -v85, vcc_lo
	s_delay_alu instid0(VALU_DEP_1) | instskip(NEXT) | instid1(VALU_DEP_1)
	v_pk_add_f32 v[86:87], v[86:87], v[88:89]
	v_cmp_lt_f32_e32 vcc_lo, v86, v87
	v_dual_cndmask_b32 v74, v74, v84 :: v_dual_add_nc_u32 v77, 8, v77
	v_cndmask_b32_e32 v75, v75, v85, vcc_lo
	v_cndmask_b32_e64 v76, v76, s0, vcc_lo
	s_add_co_i32 s0, s0, 1
	s_delay_alu instid0(SALU_CYCLE_1)
	s_cmp_lg_u32 s18, s0
	s_cbranch_scc1 .LBB66_652
.LBB66_653:
	s_wait_dscnt 0x0
	v_cmp_eq_f32_e32 vcc_lo, 0, v74
	v_cmp_eq_f32_e64 s0, 0, v75
	s_and_b32 s0, vcc_lo, s0
	s_delay_alu instid0(SALU_CYCLE_1) | instskip(NEXT) | instid1(SALU_CYCLE_1)
	s_and_saveexec_b32 s1, s0
	s_xor_b32 s0, exec_lo, s1
; %bb.654:
	v_cmp_ne_u32_e32 vcc_lo, 0, v80
	v_cndmask_b32_e32 v80, 32, v80, vcc_lo
; %bb.655:
	s_and_not1_saveexec_b32 s0, s0
	s_cbranch_execz .LBB66_661
; %bb.656:
	v_cmp_ngt_f32_e64 s1, |v74|, |v75|
	s_and_saveexec_b32 s12, s1
	s_delay_alu instid0(SALU_CYCLE_1)
	s_xor_b32 s1, exec_lo, s12
	s_cbranch_execz .LBB66_658
; %bb.657:
	v_div_scale_f32 v77, null, v75, v75, v74
	v_div_scale_f32 v85, vcc_lo, v74, v75, v74
	s_delay_alu instid0(VALU_DEP_2) | instskip(SKIP_1) | instid1(TRANS32_DEP_1)
	v_rcp_f32_e32 v83, v77
	v_nop
	v_fma_f32 v84, -v77, v83, 1.0
	s_delay_alu instid0(VALU_DEP_1) | instskip(NEXT) | instid1(VALU_DEP_1)
	v_fmac_f32_e32 v83, v84, v83
	v_mul_f32_e32 v84, v85, v83
	s_delay_alu instid0(VALU_DEP_1) | instskip(NEXT) | instid1(VALU_DEP_1)
	v_fma_f32 v86, -v77, v84, v85
	v_fmac_f32_e32 v84, v86, v83
	s_delay_alu instid0(VALU_DEP_1) | instskip(NEXT) | instid1(VALU_DEP_1)
	v_fma_f32 v77, -v77, v84, v85
	v_div_fmas_f32 v77, v77, v83, v84
	s_delay_alu instid0(VALU_DEP_1) | instskip(NEXT) | instid1(VALU_DEP_1)
	v_div_fixup_f32 v77, v77, v75, v74
	v_fmac_f32_e32 v75, v74, v77
	s_delay_alu instid0(VALU_DEP_1) | instskip(SKIP_1) | instid1(VALU_DEP_2)
	v_div_scale_f32 v74, null, v75, v75, 1.0
	v_div_scale_f32 v85, vcc_lo, 1.0, v75, 1.0
	v_rcp_f32_e32 v83, v74
	v_nop
	s_delay_alu instid0(TRANS32_DEP_1) | instskip(NEXT) | instid1(VALU_DEP_1)
	v_fma_f32 v84, -v74, v83, 1.0
	v_fmac_f32_e32 v83, v84, v83
	s_delay_alu instid0(VALU_DEP_1) | instskip(NEXT) | instid1(VALU_DEP_1)
	v_mul_f32_e32 v84, v85, v83
	v_fma_f32 v86, -v74, v84, v85
	s_delay_alu instid0(VALU_DEP_1) | instskip(NEXT) | instid1(VALU_DEP_1)
	v_fmac_f32_e32 v84, v86, v83
	v_fma_f32 v74, -v74, v84, v85
	s_delay_alu instid0(VALU_DEP_1) | instskip(NEXT) | instid1(VALU_DEP_1)
	v_div_fmas_f32 v74, v74, v83, v84
	v_div_fixup_f32 v75, v74, v75, 1.0
	s_delay_alu instid0(VALU_DEP_1)
	v_mul_f32_e32 v74, v77, v75
	v_xor_b32_e32 v75, 0x80000000, v75
.LBB66_658:
	s_and_not1_saveexec_b32 s1, s1
	s_cbranch_execz .LBB66_660
; %bb.659:
	s_delay_alu instid0(VALU_DEP_1) | instskip(SKIP_1) | instid1(VALU_DEP_2)
	v_div_scale_f32 v77, null, v74, v74, v75
	v_div_scale_f32 v85, vcc_lo, v75, v74, v75
	v_rcp_f32_e32 v83, v77
	v_nop
	s_delay_alu instid0(TRANS32_DEP_1) | instskip(NEXT) | instid1(VALU_DEP_1)
	v_fma_f32 v84, -v77, v83, 1.0
	v_fmac_f32_e32 v83, v84, v83
	s_delay_alu instid0(VALU_DEP_1) | instskip(NEXT) | instid1(VALU_DEP_1)
	v_mul_f32_e32 v84, v85, v83
	v_fma_f32 v86, -v77, v84, v85
	s_delay_alu instid0(VALU_DEP_1) | instskip(NEXT) | instid1(VALU_DEP_1)
	v_fmac_f32_e32 v84, v86, v83
	v_fma_f32 v77, -v77, v84, v85
	s_delay_alu instid0(VALU_DEP_1) | instskip(NEXT) | instid1(VALU_DEP_1)
	v_div_fmas_f32 v77, v77, v83, v84
	v_div_fixup_f32 v77, v77, v74, v75
	s_delay_alu instid0(VALU_DEP_1) | instskip(NEXT) | instid1(VALU_DEP_1)
	v_fmac_f32_e32 v74, v75, v77
	v_div_scale_f32 v75, null, v74, v74, 1.0
	s_delay_alu instid0(VALU_DEP_1) | instskip(SKIP_1) | instid1(TRANS32_DEP_1)
	v_rcp_f32_e32 v83, v75
	v_nop
	v_fma_f32 v84, -v75, v83, 1.0
	s_delay_alu instid0(VALU_DEP_1) | instskip(SKIP_1) | instid1(VALU_DEP_1)
	v_fmac_f32_e32 v83, v84, v83
	v_div_scale_f32 v84, vcc_lo, 1.0, v74, 1.0
	v_mul_f32_e32 v85, v84, v83
	s_delay_alu instid0(VALU_DEP_1) | instskip(NEXT) | instid1(VALU_DEP_1)
	v_fma_f32 v86, -v75, v85, v84
	v_fmac_f32_e32 v85, v86, v83
	s_delay_alu instid0(VALU_DEP_1) | instskip(NEXT) | instid1(VALU_DEP_1)
	v_fma_f32 v75, -v75, v85, v84
	v_div_fmas_f32 v75, v75, v83, v85
	s_delay_alu instid0(VALU_DEP_1) | instskip(NEXT) | instid1(VALU_DEP_1)
	v_div_fixup_f32 v74, v75, v74, 1.0
	v_mul_f32_e64 v75, v77, -v74
.LBB66_660:
	s_or_b32 exec_lo, exec_lo, s1
.LBB66_661:
	s_delay_alu instid0(SALU_CYCLE_1) | instskip(NEXT) | instid1(SALU_CYCLE_1)
	s_or_b32 exec_lo, exec_lo, s0
	s_mov_b32 s0, exec_lo
	v_cmpx_ne_u32_e64 v82, v76
	s_xor_b32 s0, exec_lo, s0
	s_cbranch_execz .LBB66_667
; %bb.662:
	s_mov_b32 s1, exec_lo
	v_cmpx_eq_u32_e32 31, v82
	s_cbranch_execz .LBB66_666
; %bb.663:
	v_cmp_ne_u32_e32 vcc_lo, 31, v76
	s_xor_b32 s12, s16, -1
	s_delay_alu instid0(SALU_CYCLE_1) | instskip(NEXT) | instid1(SALU_CYCLE_1)
	s_and_b32 s13, s12, vcc_lo
	s_and_saveexec_b32 s12, s13
	s_cbranch_execz .LBB66_665
; %bb.664:
	v_ashrrev_i32_e32 v77, 31, v76
	s_delay_alu instid0(VALU_DEP_1)
	v_lshl_add_u64 v[82:83], v[76:77], 2, v[4:5]
	s_clause 0x1
	global_load_b32 v77, v[82:83], off
	global_load_b32 v81, v[4:5], off offset:124
	s_wait_loadcnt 0x1
	global_store_b32 v[4:5], v77, off offset:124
	s_wait_loadcnt 0x0
	global_store_b32 v[82:83], v81, off
.LBB66_665:
	s_wait_xcnt 0x0
	s_or_b32 exec_lo, exec_lo, s12
	v_dual_mov_b32 v82, v76 :: v_dual_mov_b32 v81, v76
.LBB66_666:
	s_or_b32 exec_lo, exec_lo, s1
.LBB66_667:
	s_and_not1_saveexec_b32 s0, s0
; %bb.668:
	v_dual_mov_b32 v76, v32 :: v_dual_mov_b32 v77, v33
	v_mov_b32_e32 v82, 31
	ds_store_2addr_b64 v78, v[76:77], v[72:73] offset0:32 offset1:33
; %bb.669:
	s_or_b32 exec_lo, exec_lo, s0
	s_delay_alu instid0(SALU_CYCLE_1)
	s_mov_b32 s0, exec_lo
	s_wait_storecnt_dscnt 0x0
	s_barrier_signal -1
	s_barrier_wait -1
	v_cmpx_lt_i32_e32 31, v82
	s_cbranch_execz .LBB66_671
; %bb.670:
	ds_load_2addr_b64 v[84:87], v78 offset0:32 offset1:33
	v_pk_mul_f32 v[76:77], v[74:75], v[46:47] op_sel:[1,1] op_sel_hi:[0,1]
	s_delay_alu instid0(VALU_DEP_1) | instskip(SKIP_3) | instid1(VALU_DEP_3)
	v_pk_fma_f32 v[88:89], v[74:75], v[46:47], v[76:77] op_sel_hi:[1,0,1]
	v_pk_fma_f32 v[46:47], v[74:75], v[46:47], v[76:77] op_sel_hi:[1,0,1] neg_lo:[0,0,1] neg_hi:[0,0,1]
	s_wait_dscnt 0x0
	v_dual_mov_b32 v90, v87 :: v_dual_mov_b32 v91, v86
	v_pk_mul_f32 v[74:75], v[84:85], v[88:89] op_sel:[0,1]
	s_delay_alu instid0(VALU_DEP_2) | instskip(NEXT) | instid1(VALU_DEP_2)
	v_pk_mul_f32 v[76:77], v[90:91], v[88:89] op_sel:[0,1]
	v_pk_fma_f32 v[90:91], v[84:85], v[46:47], v[74:75] op_sel:[0,0,1] op_sel_hi:[1,0,0]
	v_pk_fma_f32 v[74:75], v[84:85], v[46:47], v[74:75] op_sel:[0,0,1] op_sel_hi:[1,1,0] neg_lo:[0,0,1] neg_hi:[0,0,1]
	s_delay_alu instid0(VALU_DEP_3) | instskip(SKIP_1) | instid1(VALU_DEP_4)
	v_pk_fma_f32 v[92:93], v[86:87], v[46:47], v[76:77] op_sel_hi:[1,0,1]
	v_pk_fma_f32 v[76:77], v[86:87], v[46:47], v[76:77] neg_lo:[0,0,1] neg_hi:[0,0,1]
	v_dual_mov_b32 v75, v91 :: v_dual_mov_b32 v47, v89
	s_delay_alu instid0(VALU_DEP_3) | instskip(NEXT) | instid1(VALU_DEP_2)
	v_mov_b32_e32 v77, v93
	v_pk_add_f32 v[32:33], v[32:33], v[74:75] neg_lo:[0,1] neg_hi:[0,1]
	s_delay_alu instid0(VALU_DEP_2)
	v_pk_add_f32 v[72:73], v[72:73], v[76:77] neg_lo:[0,1] neg_hi:[0,1]
.LBB66_671:
	s_or_b32 exec_lo, exec_lo, s0
	v_lshl_add_u32 v74, v82, 3, v78
	s_barrier_signal -1
	s_barrier_wait -1
	ds_store_b64 v74, v[32:33]
	s_wait_dscnt 0x0
	s_barrier_signal -1
	s_barrier_wait -1
	ds_load_b64 v[74:75], v78 offset:256
	v_mov_b32_e32 v76, 32
	s_cmp_lt_i32 s18, 34
	s_cbranch_scc1 .LBB66_674
; %bb.672:
	v_add3_u32 v77, v79, 0, 0x108
	v_mov_b32_e32 v76, 32
	s_mov_b32 s0, 33
.LBB66_673:                             ; =>This Inner Loop Header: Depth=1
	ds_load_b64 v[84:85], v77
	s_wait_dscnt 0x1
	v_cmp_gt_f32_e32 vcc_lo, 0, v74
	v_cndmask_b32_e64 v86, v74, -v74, vcc_lo
	v_cmp_gt_f32_e32 vcc_lo, 0, v75
	v_cndmask_b32_e64 v88, v75, -v75, vcc_lo
	s_wait_dscnt 0x0
	v_cmp_gt_f32_e32 vcc_lo, 0, v84
	v_cndmask_b32_e64 v87, v84, -v84, vcc_lo
	v_cmp_gt_f32_e32 vcc_lo, 0, v85
	v_cndmask_b32_e64 v89, v85, -v85, vcc_lo
	s_delay_alu instid0(VALU_DEP_1) | instskip(NEXT) | instid1(VALU_DEP_1)
	v_pk_add_f32 v[86:87], v[86:87], v[88:89]
	v_cmp_lt_f32_e32 vcc_lo, v86, v87
	v_dual_cndmask_b32 v74, v74, v84 :: v_dual_add_nc_u32 v77, 8, v77
	v_cndmask_b32_e32 v75, v75, v85, vcc_lo
	v_cndmask_b32_e64 v76, v76, s0, vcc_lo
	s_add_co_i32 s0, s0, 1
	s_delay_alu instid0(SALU_CYCLE_1)
	s_cmp_lg_u32 s18, s0
	s_cbranch_scc1 .LBB66_673
.LBB66_674:
	s_wait_dscnt 0x0
	v_cmp_eq_f32_e32 vcc_lo, 0, v74
	v_cmp_eq_f32_e64 s0, 0, v75
	s_and_b32 s0, vcc_lo, s0
	s_delay_alu instid0(SALU_CYCLE_1) | instskip(NEXT) | instid1(SALU_CYCLE_1)
	s_and_saveexec_b32 s1, s0
	s_xor_b32 s0, exec_lo, s1
; %bb.675:
	v_cmp_ne_u32_e32 vcc_lo, 0, v80
	v_cndmask_b32_e32 v80, 33, v80, vcc_lo
; %bb.676:
	s_and_not1_saveexec_b32 s0, s0
	s_cbranch_execz .LBB66_682
; %bb.677:
	v_cmp_ngt_f32_e64 s1, |v74|, |v75|
	s_and_saveexec_b32 s12, s1
	s_delay_alu instid0(SALU_CYCLE_1)
	s_xor_b32 s1, exec_lo, s12
	s_cbranch_execz .LBB66_679
; %bb.678:
	v_div_scale_f32 v77, null, v75, v75, v74
	v_div_scale_f32 v85, vcc_lo, v74, v75, v74
	s_delay_alu instid0(VALU_DEP_2) | instskip(SKIP_1) | instid1(TRANS32_DEP_1)
	v_rcp_f32_e32 v83, v77
	v_nop
	v_fma_f32 v84, -v77, v83, 1.0
	s_delay_alu instid0(VALU_DEP_1) | instskip(NEXT) | instid1(VALU_DEP_1)
	v_fmac_f32_e32 v83, v84, v83
	v_mul_f32_e32 v84, v85, v83
	s_delay_alu instid0(VALU_DEP_1) | instskip(NEXT) | instid1(VALU_DEP_1)
	v_fma_f32 v86, -v77, v84, v85
	v_fmac_f32_e32 v84, v86, v83
	s_delay_alu instid0(VALU_DEP_1) | instskip(NEXT) | instid1(VALU_DEP_1)
	v_fma_f32 v77, -v77, v84, v85
	v_div_fmas_f32 v77, v77, v83, v84
	s_delay_alu instid0(VALU_DEP_1) | instskip(NEXT) | instid1(VALU_DEP_1)
	v_div_fixup_f32 v77, v77, v75, v74
	v_fmac_f32_e32 v75, v74, v77
	s_delay_alu instid0(VALU_DEP_1) | instskip(SKIP_1) | instid1(VALU_DEP_2)
	v_div_scale_f32 v74, null, v75, v75, 1.0
	v_div_scale_f32 v85, vcc_lo, 1.0, v75, 1.0
	v_rcp_f32_e32 v83, v74
	v_nop
	s_delay_alu instid0(TRANS32_DEP_1) | instskip(NEXT) | instid1(VALU_DEP_1)
	v_fma_f32 v84, -v74, v83, 1.0
	v_fmac_f32_e32 v83, v84, v83
	s_delay_alu instid0(VALU_DEP_1) | instskip(NEXT) | instid1(VALU_DEP_1)
	v_mul_f32_e32 v84, v85, v83
	v_fma_f32 v86, -v74, v84, v85
	s_delay_alu instid0(VALU_DEP_1) | instskip(NEXT) | instid1(VALU_DEP_1)
	v_fmac_f32_e32 v84, v86, v83
	v_fma_f32 v74, -v74, v84, v85
	s_delay_alu instid0(VALU_DEP_1) | instskip(NEXT) | instid1(VALU_DEP_1)
	v_div_fmas_f32 v74, v74, v83, v84
	v_div_fixup_f32 v75, v74, v75, 1.0
	s_delay_alu instid0(VALU_DEP_1)
	v_mul_f32_e32 v74, v77, v75
	v_xor_b32_e32 v75, 0x80000000, v75
.LBB66_679:
	s_and_not1_saveexec_b32 s1, s1
	s_cbranch_execz .LBB66_681
; %bb.680:
	s_delay_alu instid0(VALU_DEP_1) | instskip(SKIP_1) | instid1(VALU_DEP_2)
	v_div_scale_f32 v77, null, v74, v74, v75
	v_div_scale_f32 v85, vcc_lo, v75, v74, v75
	v_rcp_f32_e32 v83, v77
	v_nop
	s_delay_alu instid0(TRANS32_DEP_1) | instskip(NEXT) | instid1(VALU_DEP_1)
	v_fma_f32 v84, -v77, v83, 1.0
	v_fmac_f32_e32 v83, v84, v83
	s_delay_alu instid0(VALU_DEP_1) | instskip(NEXT) | instid1(VALU_DEP_1)
	v_mul_f32_e32 v84, v85, v83
	v_fma_f32 v86, -v77, v84, v85
	s_delay_alu instid0(VALU_DEP_1) | instskip(NEXT) | instid1(VALU_DEP_1)
	v_fmac_f32_e32 v84, v86, v83
	v_fma_f32 v77, -v77, v84, v85
	s_delay_alu instid0(VALU_DEP_1) | instskip(NEXT) | instid1(VALU_DEP_1)
	v_div_fmas_f32 v77, v77, v83, v84
	v_div_fixup_f32 v77, v77, v74, v75
	s_delay_alu instid0(VALU_DEP_1) | instskip(NEXT) | instid1(VALU_DEP_1)
	v_fmac_f32_e32 v74, v75, v77
	v_div_scale_f32 v75, null, v74, v74, 1.0
	s_delay_alu instid0(VALU_DEP_1) | instskip(SKIP_1) | instid1(TRANS32_DEP_1)
	v_rcp_f32_e32 v83, v75
	v_nop
	v_fma_f32 v84, -v75, v83, 1.0
	s_delay_alu instid0(VALU_DEP_1) | instskip(SKIP_1) | instid1(VALU_DEP_1)
	v_fmac_f32_e32 v83, v84, v83
	v_div_scale_f32 v84, vcc_lo, 1.0, v74, 1.0
	v_mul_f32_e32 v85, v84, v83
	s_delay_alu instid0(VALU_DEP_1) | instskip(NEXT) | instid1(VALU_DEP_1)
	v_fma_f32 v86, -v75, v85, v84
	v_fmac_f32_e32 v85, v86, v83
	s_delay_alu instid0(VALU_DEP_1) | instskip(NEXT) | instid1(VALU_DEP_1)
	v_fma_f32 v75, -v75, v85, v84
	v_div_fmas_f32 v75, v75, v83, v85
	s_delay_alu instid0(VALU_DEP_1) | instskip(NEXT) | instid1(VALU_DEP_1)
	v_div_fixup_f32 v74, v75, v74, 1.0
	v_mul_f32_e64 v75, v77, -v74
.LBB66_681:
	s_or_b32 exec_lo, exec_lo, s1
.LBB66_682:
	s_delay_alu instid0(SALU_CYCLE_1) | instskip(NEXT) | instid1(SALU_CYCLE_1)
	s_or_b32 exec_lo, exec_lo, s0
	s_mov_b32 s0, exec_lo
	v_cmpx_ne_u32_e64 v82, v76
	s_xor_b32 s0, exec_lo, s0
	s_cbranch_execz .LBB66_688
; %bb.683:
	s_mov_b32 s1, exec_lo
	v_cmpx_eq_u32_e32 32, v82
	s_cbranch_execz .LBB66_687
; %bb.684:
	v_cmp_ne_u32_e32 vcc_lo, 32, v76
	s_xor_b32 s12, s16, -1
	s_delay_alu instid0(SALU_CYCLE_1) | instskip(NEXT) | instid1(SALU_CYCLE_1)
	s_and_b32 s13, s12, vcc_lo
	s_and_saveexec_b32 s12, s13
	s_cbranch_execz .LBB66_686
; %bb.685:
	v_ashrrev_i32_e32 v77, 31, v76
	s_delay_alu instid0(VALU_DEP_1)
	v_lshl_add_u64 v[82:83], v[76:77], 2, v[4:5]
	s_clause 0x1
	global_load_b32 v77, v[82:83], off
	global_load_b32 v81, v[4:5], off offset:128
	s_wait_loadcnt 0x1
	global_store_b32 v[4:5], v77, off offset:128
	s_wait_loadcnt 0x0
	global_store_b32 v[82:83], v81, off
.LBB66_686:
	s_wait_xcnt 0x0
	s_or_b32 exec_lo, exec_lo, s12
	v_dual_mov_b32 v82, v76 :: v_dual_mov_b32 v81, v76
.LBB66_687:
	s_or_b32 exec_lo, exec_lo, s1
.LBB66_688:
	s_and_not1_saveexec_b32 s0, s0
; %bb.689:
	v_mov_b32_e32 v82, 32
	ds_store_b64 v78, v[72:73] offset:264
; %bb.690:
	s_or_b32 exec_lo, exec_lo, s0
	s_delay_alu instid0(SALU_CYCLE_1)
	s_mov_b32 s0, exec_lo
	s_wait_storecnt_dscnt 0x0
	s_barrier_signal -1
	s_barrier_wait -1
	v_cmpx_lt_i32_e32 32, v82
	s_cbranch_execz .LBB66_692
; %bb.691:
	ds_load_b64 v[76:77], v78 offset:264
	v_pk_mul_f32 v[84:85], v[74:75], v[32:33] op_sel:[1,1] op_sel_hi:[0,1]
	s_delay_alu instid0(VALU_DEP_1) | instskip(SKIP_2) | instid1(VALU_DEP_2)
	v_pk_fma_f32 v[86:87], v[74:75], v[32:33], v[84:85] op_sel_hi:[1,0,1]
	v_pk_fma_f32 v[32:33], v[74:75], v[32:33], v[84:85] op_sel_hi:[1,0,1] neg_lo:[0,0,1] neg_hi:[0,0,1]
	s_wait_dscnt 0x0
	v_pk_mul_f32 v[74:75], v[76:77], v[86:87] op_sel:[1,1] op_sel_hi:[0,1]
	s_delay_alu instid0(VALU_DEP_1) | instskip(SKIP_1) | instid1(VALU_DEP_2)
	v_pk_fma_f32 v[84:85], v[76:77], v[32:33], v[74:75] op_sel_hi:[1,0,1]
	v_pk_fma_f32 v[74:75], v[76:77], v[32:33], v[74:75] neg_lo:[0,0,1] neg_hi:[0,0,1]
	v_dual_mov_b32 v33, v87 :: v_dual_mov_b32 v75, v85
	s_delay_alu instid0(VALU_DEP_1)
	v_pk_add_f32 v[72:73], v[72:73], v[74:75] neg_lo:[0,1] neg_hi:[0,1]
.LBB66_692:
	s_or_b32 exec_lo, exec_lo, s0
	v_lshl_add_u32 v74, v82, 3, v78
	s_barrier_signal -1
	s_barrier_wait -1
	ds_store_b64 v74, v[72:73]
	s_wait_dscnt 0x0
	s_barrier_signal -1
	s_barrier_wait -1
	ds_load_b64 v[74:75], v78 offset:264
	v_mov_b32_e32 v76, 33
	s_cmp_lt_i32 s18, 35
	s_cbranch_scc1 .LBB66_695
; %bb.693:
	v_add3_u32 v77, v79, 0, 0x110
	v_mov_b32_e32 v76, 33
	s_mov_b32 s0, 34
.LBB66_694:                             ; =>This Inner Loop Header: Depth=1
	ds_load_b64 v[78:79], v77
	s_wait_dscnt 0x1
	v_cmp_gt_f32_e32 vcc_lo, 0, v74
	v_cndmask_b32_e64 v84, v74, -v74, vcc_lo
	v_cmp_gt_f32_e32 vcc_lo, 0, v75
	v_cndmask_b32_e64 v86, v75, -v75, vcc_lo
	s_wait_dscnt 0x0
	v_cmp_gt_f32_e32 vcc_lo, 0, v78
	v_cndmask_b32_e64 v85, v78, -v78, vcc_lo
	v_cmp_gt_f32_e32 vcc_lo, 0, v79
	v_cndmask_b32_e64 v87, v79, -v79, vcc_lo
	s_delay_alu instid0(VALU_DEP_1) | instskip(NEXT) | instid1(VALU_DEP_1)
	v_pk_add_f32 v[84:85], v[84:85], v[86:87]
	v_cmp_lt_f32_e32 vcc_lo, v84, v85
	v_dual_add_nc_u32 v77, 8, v77 :: v_dual_cndmask_b32 v75, v75, v79, vcc_lo
	v_cndmask_b32_e32 v74, v74, v78, vcc_lo
	v_cndmask_b32_e64 v76, v76, s0, vcc_lo
	s_add_co_i32 s0, s0, 1
	s_delay_alu instid0(SALU_CYCLE_1)
	s_cmp_lg_u32 s18, s0
	s_cbranch_scc1 .LBB66_694
.LBB66_695:
	s_wait_dscnt 0x0
	v_cmp_eq_f32_e32 vcc_lo, 0, v74
	v_cmp_eq_f32_e64 s0, 0, v75
	s_and_b32 s0, vcc_lo, s0
	s_delay_alu instid0(SALU_CYCLE_1) | instskip(NEXT) | instid1(SALU_CYCLE_1)
	s_and_saveexec_b32 s1, s0
	s_xor_b32 s0, exec_lo, s1
; %bb.696:
	v_cmp_ne_u32_e32 vcc_lo, 0, v80
	v_cndmask_b32_e32 v80, 34, v80, vcc_lo
; %bb.697:
	s_and_not1_saveexec_b32 s0, s0
	s_cbranch_execz .LBB66_703
; %bb.698:
	v_cmp_ngt_f32_e64 s1, |v74|, |v75|
	s_and_saveexec_b32 s12, s1
	s_delay_alu instid0(SALU_CYCLE_1)
	s_xor_b32 s1, exec_lo, s12
	s_cbranch_execz .LBB66_700
; %bb.699:
	v_div_scale_f32 v77, null, v75, v75, v74
	v_div_scale_f32 v83, vcc_lo, v74, v75, v74
	s_delay_alu instid0(VALU_DEP_2) | instskip(SKIP_1) | instid1(TRANS32_DEP_1)
	v_rcp_f32_e32 v78, v77
	v_nop
	v_fma_f32 v79, -v77, v78, 1.0
	s_delay_alu instid0(VALU_DEP_1) | instskip(NEXT) | instid1(VALU_DEP_1)
	v_fmac_f32_e32 v78, v79, v78
	v_mul_f32_e32 v79, v83, v78
	s_delay_alu instid0(VALU_DEP_1) | instskip(NEXT) | instid1(VALU_DEP_1)
	v_fma_f32 v84, -v77, v79, v83
	v_fmac_f32_e32 v79, v84, v78
	s_delay_alu instid0(VALU_DEP_1) | instskip(NEXT) | instid1(VALU_DEP_1)
	v_fma_f32 v77, -v77, v79, v83
	v_div_fmas_f32 v77, v77, v78, v79
	s_delay_alu instid0(VALU_DEP_1) | instskip(NEXT) | instid1(VALU_DEP_1)
	v_div_fixup_f32 v77, v77, v75, v74
	v_fmac_f32_e32 v75, v74, v77
	s_delay_alu instid0(VALU_DEP_1) | instskip(SKIP_1) | instid1(VALU_DEP_2)
	v_div_scale_f32 v74, null, v75, v75, 1.0
	v_div_scale_f32 v83, vcc_lo, 1.0, v75, 1.0
	v_rcp_f32_e32 v78, v74
	v_nop
	s_delay_alu instid0(TRANS32_DEP_1) | instskip(NEXT) | instid1(VALU_DEP_1)
	v_fma_f32 v79, -v74, v78, 1.0
	v_fmac_f32_e32 v78, v79, v78
	s_delay_alu instid0(VALU_DEP_1) | instskip(NEXT) | instid1(VALU_DEP_1)
	v_mul_f32_e32 v79, v83, v78
	v_fma_f32 v84, -v74, v79, v83
	s_delay_alu instid0(VALU_DEP_1) | instskip(NEXT) | instid1(VALU_DEP_1)
	v_fmac_f32_e32 v79, v84, v78
	v_fma_f32 v74, -v74, v79, v83
	s_delay_alu instid0(VALU_DEP_1) | instskip(NEXT) | instid1(VALU_DEP_1)
	v_div_fmas_f32 v74, v74, v78, v79
	v_div_fixup_f32 v75, v74, v75, 1.0
	s_delay_alu instid0(VALU_DEP_1)
	v_mul_f32_e32 v74, v77, v75
	v_xor_b32_e32 v75, 0x80000000, v75
.LBB66_700:
	s_and_not1_saveexec_b32 s1, s1
	s_cbranch_execz .LBB66_702
; %bb.701:
	s_delay_alu instid0(VALU_DEP_1) | instskip(SKIP_1) | instid1(VALU_DEP_2)
	v_div_scale_f32 v77, null, v74, v74, v75
	v_div_scale_f32 v83, vcc_lo, v75, v74, v75
	v_rcp_f32_e32 v78, v77
	v_nop
	s_delay_alu instid0(TRANS32_DEP_1) | instskip(NEXT) | instid1(VALU_DEP_1)
	v_fma_f32 v79, -v77, v78, 1.0
	v_fmac_f32_e32 v78, v79, v78
	s_delay_alu instid0(VALU_DEP_1) | instskip(NEXT) | instid1(VALU_DEP_1)
	v_mul_f32_e32 v79, v83, v78
	v_fma_f32 v84, -v77, v79, v83
	s_delay_alu instid0(VALU_DEP_1) | instskip(NEXT) | instid1(VALU_DEP_1)
	v_fmac_f32_e32 v79, v84, v78
	v_fma_f32 v77, -v77, v79, v83
	s_delay_alu instid0(VALU_DEP_1) | instskip(NEXT) | instid1(VALU_DEP_1)
	v_div_fmas_f32 v77, v77, v78, v79
	v_div_fixup_f32 v77, v77, v74, v75
	s_delay_alu instid0(VALU_DEP_1) | instskip(NEXT) | instid1(VALU_DEP_1)
	v_fmac_f32_e32 v74, v75, v77
	v_div_scale_f32 v75, null, v74, v74, 1.0
	s_delay_alu instid0(VALU_DEP_1) | instskip(SKIP_1) | instid1(TRANS32_DEP_1)
	v_rcp_f32_e32 v78, v75
	v_nop
	v_fma_f32 v79, -v75, v78, 1.0
	s_delay_alu instid0(VALU_DEP_1) | instskip(SKIP_1) | instid1(VALU_DEP_1)
	v_fmac_f32_e32 v78, v79, v78
	v_div_scale_f32 v79, vcc_lo, 1.0, v74, 1.0
	v_mul_f32_e32 v83, v79, v78
	s_delay_alu instid0(VALU_DEP_1) | instskip(NEXT) | instid1(VALU_DEP_1)
	v_fma_f32 v84, -v75, v83, v79
	v_fmac_f32_e32 v83, v84, v78
	s_delay_alu instid0(VALU_DEP_1) | instskip(NEXT) | instid1(VALU_DEP_1)
	v_fma_f32 v75, -v75, v83, v79
	v_div_fmas_f32 v75, v75, v78, v83
	s_delay_alu instid0(VALU_DEP_1) | instskip(NEXT) | instid1(VALU_DEP_1)
	v_div_fixup_f32 v74, v75, v74, 1.0
	v_mul_f32_e64 v75, v77, -v74
.LBB66_702:
	s_or_b32 exec_lo, exec_lo, s1
.LBB66_703:
	s_delay_alu instid0(SALU_CYCLE_1)
	s_or_b32 exec_lo, exec_lo, s0
	v_mov_b32_e32 v78, 33
	s_mov_b32 s0, exec_lo
	v_cmpx_ne_u32_e64 v82, v76
	s_cbranch_execz .LBB66_709
; %bb.704:
	s_mov_b32 s1, exec_lo
	v_cmpx_eq_u32_e32 33, v82
	s_cbranch_execz .LBB66_708
; %bb.705:
	v_cmp_ne_u32_e32 vcc_lo, 33, v76
	s_xor_b32 s12, s16, -1
	s_delay_alu instid0(SALU_CYCLE_1) | instskip(NEXT) | instid1(SALU_CYCLE_1)
	s_and_b32 s13, s12, vcc_lo
	s_and_saveexec_b32 s12, s13
	s_cbranch_execz .LBB66_707
; %bb.706:
	v_ashrrev_i32_e32 v77, 31, v76
	s_delay_alu instid0(VALU_DEP_1)
	v_lshl_add_u64 v[78:79], v[76:77], 2, v[4:5]
	s_clause 0x1
	global_load_b32 v77, v[78:79], off
	global_load_b32 v81, v[4:5], off offset:132
	s_wait_loadcnt 0x1
	global_store_b32 v[4:5], v77, off offset:132
	s_wait_loadcnt 0x0
	global_store_b32 v[78:79], v81, off
.LBB66_707:
	s_wait_xcnt 0x0
	s_or_b32 exec_lo, exec_lo, s12
	v_dual_mov_b32 v82, v76 :: v_dual_mov_b32 v81, v76
.LBB66_708:
	s_or_b32 exec_lo, exec_lo, s1
	s_delay_alu instid0(VALU_DEP_1)
	v_mov_b32_e32 v78, v82
.LBB66_709:
	s_or_b32 exec_lo, exec_lo, s0
	s_delay_alu instid0(VALU_DEP_1)
	v_ashrrev_i32_e32 v79, 31, v78
	s_mov_b32 s0, exec_lo
	s_wait_storecnt 0x0
	s_barrier_signal -1
	s_barrier_wait -1
	s_barrier_signal -1
	s_barrier_wait -1
	v_cmpx_gt_i32_e32 34, v78
	s_cbranch_execz .LBB66_711
; %bb.710:
	v_mul_u64_e32 v[4:5], s[10:11], v[2:3]
	v_add3_u32 v76, v81, s17, 1
	s_delay_alu instid0(VALU_DEP_2) | instskip(NEXT) | instid1(VALU_DEP_1)
	v_lshl_add_u64 v[4:5], v[4:5], 2, s[6:7]
	v_lshl_add_u64 v[4:5], s[8:9], 2, v[4:5]
	s_delay_alu instid0(VALU_DEP_1)
	v_lshl_add_u64 v[4:5], v[78:79], 2, v[4:5]
	global_store_b32 v[4:5], v76, off
.LBB66_711:
	s_wait_xcnt 0x0
	s_or_b32 exec_lo, exec_lo, s0
	s_delay_alu instid0(SALU_CYCLE_1)
	s_mov_b32 s1, exec_lo
	v_cmpx_eq_u32_e32 0, v78
	s_cbranch_execz .LBB66_714
; %bb.712:
	s_wait_kmcnt 0x0
	v_lshl_add_u64 v[2:3], v[2:3], 2, s[4:5]
	v_cmp_ne_u32_e64 s0, 0, v80
	global_load_b32 v4, v[2:3], off
	s_wait_loadcnt 0x0
	v_cmp_eq_u32_e32 vcc_lo, 0, v4
	s_and_b32 s0, vcc_lo, s0
	s_wait_xcnt 0x0
	s_and_b32 exec_lo, exec_lo, s0
	s_cbranch_execz .LBB66_714
; %bb.713:
	v_add_nc_u32_e32 v4, s17, v80
	global_store_b32 v[2:3], v4, off
.LBB66_714:
	s_wait_xcnt 0x0
	s_or_b32 exec_lo, exec_lo, s1
	v_add3_u32 v2, s2, s2, v78
	v_pk_mul_f32 v[86:87], v[74:75], v[72:73] op_sel:[1,1] op_sel_hi:[0,1]
	v_cmp_lt_i32_e32 vcc_lo, 33, v78
	s_delay_alu instid0(VALU_DEP_3) | instskip(NEXT) | instid1(VALU_DEP_3)
	v_add_nc_u32_e32 v4, s2, v2
	v_pk_fma_f32 v[90:91], v[74:75], v[72:73], v[86:87] op_sel_hi:[1,0,1]
	v_pk_fma_f32 v[74:75], v[74:75], v[72:73], v[86:87] neg_lo:[0,0,1] neg_hi:[0,0,1]
	s_delay_alu instid0(VALU_DEP_2) | instskip(NEXT) | instid1(VALU_DEP_2)
	v_dual_cndmask_b32 v73, v73, v91 :: v_dual_add_nc_u32 v76, s2, v4
	v_cndmask_b32_e32 v72, v72, v74, vcc_lo
	v_lshl_add_u64 v[74:75], v[78:79], 3, v[0:1]
	s_delay_alu instid0(VALU_DEP_3)
	v_add_nc_u32_e32 v80, s2, v76
	v_ashrrev_i32_e32 v5, 31, v4
	global_store_b64 v[74:75], v[70:71], off
	s_wait_xcnt 0x0
	v_lshl_add_u64 v[74:75], s[2:3], 3, v[74:75]
	v_dual_add_nc_u32 v82, s2, v80 :: v_dual_ashrrev_i32 v81, 31, v80
	v_lshl_add_u64 v[4:5], v[4:5], 3, v[0:1]
	global_store_b64 v[74:75], v[68:69], off
	v_dual_add_nc_u32 v84, s2, v82 :: v_dual_ashrrev_i32 v83, 31, v82
	v_ashrrev_i32_e32 v77, 31, v76
	s_delay_alu instid0(VALU_DEP_2) | instskip(SKIP_1) | instid1(VALU_DEP_2)
	v_add_nc_u32_e32 v88, s2, v84
	s_wait_xcnt 0x0
	v_lshl_add_u64 v[74:75], v[76:77], 3, v[0:1]
	s_delay_alu instid0(VALU_DEP_2) | instskip(NEXT) | instid1(VALU_DEP_1)
	v_add_nc_u32_e32 v86, s2, v88
	v_add_nc_u32_e32 v78, s2, v86
	s_delay_alu instid0(VALU_DEP_1) | instskip(SKIP_2) | instid1(VALU_DEP_3)
	v_dual_add_nc_u32 v70, s2, v78 :: v_dual_ashrrev_i32 v89, 31, v88
	v_ashrrev_i32_e32 v87, 31, v86
	v_ashrrev_i32_e32 v79, 31, v78
	v_dual_add_nc_u32 v90, s2, v70 :: v_dual_ashrrev_i32 v71, 31, v70
	s_delay_alu instid0(VALU_DEP_1) | instskip(NEXT) | instid1(VALU_DEP_1)
	v_add_nc_u32_e32 v68, s2, v90
	v_dual_ashrrev_i32 v3, 31, v2 :: v_dual_add_nc_u32 v76, s2, v68
	s_delay_alu instid0(VALU_DEP_1)
	v_lshl_add_u64 v[2:3], v[2:3], 3, v[0:1]
	s_clause 0x2
	global_store_b64 v[2:3], v[66:67], off
	global_store_b64 v[4:5], v[64:65], off
	;; [unrolled: 1-line block ×3, first 2 shown]
	s_wait_xcnt 0x2
	v_add_nc_u32_e32 v2, s2, v76
	v_ashrrev_i32_e32 v85, 31, v84
	s_wait_xcnt 0x0
	v_lshl_add_u64 v[52:53], v[80:81], 3, v[0:1]
	v_lshl_add_u64 v[64:65], v[82:83], 3, v[0:1]
	v_lshl_add_u64 v[74:75], v[88:89], 3, v[0:1]
	v_add_nc_u32_e32 v4, s2, v2
	v_lshl_add_u64 v[66:67], v[84:85], 3, v[0:1]
	s_clause 0x3
	global_store_b64 v[52:53], v[8:9], off
	global_store_b64 v[64:65], v[10:11], off
	;; [unrolled: 1-line block ×4, first 2 shown]
	v_add_nc_u32_e32 v80, s2, v4
	s_wait_xcnt 0x2
	v_lshl_add_u64 v[10:11], v[86:87], 3, v[0:1]
	v_lshl_add_u64 v[52:53], v[78:79], 3, v[0:1]
	v_dual_ashrrev_i32 v3, 31, v2 :: v_dual_ashrrev_i32 v5, 31, v4
	s_wait_xcnt 0x1
	v_add_nc_u32_e32 v6, s2, v80
	v_ashrrev_i32_e32 v69, 31, v68
	s_wait_xcnt 0x0
	v_lshl_add_u64 v[54:55], v[70:71], 3, v[0:1]
	v_lshl_add_u64 v[2:3], v[2:3], 3, v[0:1]
	;; [unrolled: 1-line block ×3, first 2 shown]
	v_add_nc_u32_e32 v8, s2, v6
	v_ashrrev_i32_e32 v91, 31, v90
	v_dual_ashrrev_i32 v7, 31, v6 :: v_dual_ashrrev_i32 v77, 31, v76
	v_ashrrev_i32_e32 v81, 31, v80
	s_delay_alu instid0(VALU_DEP_4) | instskip(NEXT) | instid1(VALU_DEP_4)
	v_add_nc_u32_e32 v66, s2, v8
	v_lshl_add_u64 v[64:65], v[90:91], 3, v[0:1]
	s_clause 0x3
	global_store_b64 v[10:11], v[16:17], off
	global_store_b64 v[52:53], v[18:19], off
	;; [unrolled: 1-line block ×4, first 2 shown]
	s_wait_xcnt 0x3
	v_lshl_add_u64 v[16:17], v[68:69], 3, v[0:1]
	v_add_nc_u32_e32 v10, s2, v66
	s_wait_xcnt 0x2
	v_lshl_add_u64 v[18:19], v[76:77], 3, v[0:1]
	s_clause 0x3
	global_store_b64 v[16:17], v[26:27], off
	global_store_b64 v[18:19], v[30:31], off
	;; [unrolled: 1-line block ×4, first 2 shown]
	s_wait_xcnt 0x5
	v_dual_add_nc_u32 v14, s2, v10 :: v_dual_ashrrev_i32 v9, 31, v8
	v_lshl_add_u64 v[6:7], v[6:7], 3, v[0:1]
	s_wait_xcnt 0x3
	v_lshl_add_u64 v[16:17], v[80:81], 3, v[0:1]
	s_delay_alu instid0(VALU_DEP_3) | instskip(SKIP_1) | instid1(VALU_DEP_2)
	v_add_nc_u32_e32 v52, s2, v14
	v_lshl_add_u64 v[8:9], v[8:9], 3, v[0:1]
	v_dual_ashrrev_i32 v11, 31, v10 :: v_dual_ashrrev_i32 v53, 31, v52
	s_wait_xcnt 0x1
	v_add_nc_u32_e32 v2, s2, v52
	s_delay_alu instid0(VALU_DEP_2) | instskip(SKIP_1) | instid1(VALU_DEP_2)
	v_lshl_add_u64 v[10:11], v[10:11], 3, v[0:1]
	s_wait_xcnt 0x0
	v_add_nc_u32_e32 v4, s2, v2
	s_delay_alu instid0(VALU_DEP_1) | instskip(NEXT) | instid1(VALU_DEP_1)
	v_dual_ashrrev_i32 v67, 31, v66 :: v_dual_add_nc_u32 v24, s2, v4
	v_lshl_add_u64 v[18:19], v[66:67], 3, v[0:1]
	s_clause 0x3
	global_store_b64 v[16:17], v[42:43], off
	global_store_b64 v[6:7], v[44:45], off
	global_store_b64 v[8:9], v[40:41], off
	global_store_b64 v[18:19], v[60:61], off
	s_wait_xcnt 0x3
	v_lshl_add_u64 v[16:17], v[52:53], 3, v[0:1]
	s_wait_xcnt 0x2
	v_dual_add_nc_u32 v6, s2, v24 :: v_dual_ashrrev_i32 v25, 31, v24
	v_dual_ashrrev_i32 v3, 31, v2 :: v_dual_ashrrev_i32 v5, 31, v4
	s_wait_xcnt 0x1
	s_delay_alu instid0(VALU_DEP_2) | instskip(SKIP_1) | instid1(VALU_DEP_3)
	v_add_nc_u32_e32 v8, s2, v6
	v_ashrrev_i32_e32 v15, 31, v14
	v_lshl_add_u64 v[2:3], v[2:3], 3, v[0:1]
	v_lshl_add_u64 v[4:5], v[4:5], 3, v[0:1]
	s_wait_xcnt 0x0
	v_add_nc_u32_e32 v18, s2, v8
	v_lshl_add_u64 v[14:15], v[14:15], 3, v[0:1]
	s_clause 0x3
	global_store_b64 v[10:11], v[36:37], off
	global_store_b64 v[14:15], v[38:39], off
	;; [unrolled: 1-line block ×4, first 2 shown]
	s_wait_xcnt 0x0
	v_dual_add_nc_u32 v2, s2, v18 :: v_dual_ashrrev_i32 v9, 31, v8
	v_lshl_add_u64 v[14:15], v[24:25], 3, v[0:1]
	s_delay_alu instid0(VALU_DEP_2) | instskip(NEXT) | instid1(VALU_DEP_3)
	v_dual_add_nc_u32 v10, s2, v2 :: v_dual_ashrrev_i32 v3, 31, v2
	v_lshl_add_u64 v[8:9], v[8:9], 3, v[0:1]
	s_delay_alu instid0(VALU_DEP_2) | instskip(SKIP_3) | instid1(VALU_DEP_4)
	v_dual_add_nc_u32 v16, s2, v10 :: v_dual_ashrrev_i32 v11, 31, v10
	v_ashrrev_i32_e32 v7, 31, v6
	v_ashrrev_i32_e32 v19, 31, v18
	v_lshl_add_u64 v[2:3], v[2:3], 3, v[0:1]
	v_ashrrev_i32_e32 v17, 31, v16
	s_delay_alu instid0(VALU_DEP_4)
	v_lshl_add_u64 v[6:7], v[6:7], 3, v[0:1]
	s_clause 0x3
	global_store_b64 v[4:5], v[22:23], off
	global_store_b64 v[14:15], v[28:29], off
	;; [unrolled: 1-line block ×4, first 2 shown]
	s_wait_xcnt 0x3
	v_add_nc_u32_e32 v4, s2, v16
	s_wait_xcnt 0x1
	v_lshl_add_u64 v[6:7], v[18:19], 3, v[0:1]
	s_wait_xcnt 0x0
	v_lshl_add_u64 v[8:9], v[10:11], 3, v[0:1]
	v_lshl_add_u64 v[10:11], v[16:17], 3, v[0:1]
	v_ashrrev_i32_e32 v5, 31, v4
	s_delay_alu instid0(VALU_DEP_1)
	v_lshl_add_u64 v[0:1], v[4:5], 3, v[0:1]
	s_clause 0x4
	global_store_b64 v[6:7], v[12:13], off
	global_store_b64 v[2:3], v[48:49], off
	;; [unrolled: 1-line block ×5, first 2 shown]
.LBB66_715:
	s_sendmsg sendmsg(MSG_DEALLOC_VGPRS)
	s_endpgm
	.section	.rodata,"a",@progbits
	.p2align	6, 0x0
	.amdhsa_kernel _ZN9rocsolver6v33100L18getf2_small_kernelILi34E19rocblas_complex_numIfEiiPS3_EEvT1_T3_lS5_lPS5_llPT2_S5_S5_S7_l
		.amdhsa_group_segment_fixed_size 0
		.amdhsa_private_segment_fixed_size 0
		.amdhsa_kernarg_size 352
		.amdhsa_user_sgpr_count 2
		.amdhsa_user_sgpr_dispatch_ptr 0
		.amdhsa_user_sgpr_queue_ptr 0
		.amdhsa_user_sgpr_kernarg_segment_ptr 1
		.amdhsa_user_sgpr_dispatch_id 0
		.amdhsa_user_sgpr_kernarg_preload_length 0
		.amdhsa_user_sgpr_kernarg_preload_offset 0
		.amdhsa_user_sgpr_private_segment_size 0
		.amdhsa_wavefront_size32 1
		.amdhsa_uses_dynamic_stack 0
		.amdhsa_enable_private_segment 0
		.amdhsa_system_sgpr_workgroup_id_x 1
		.amdhsa_system_sgpr_workgroup_id_y 1
		.amdhsa_system_sgpr_workgroup_id_z 0
		.amdhsa_system_sgpr_workgroup_info 0
		.amdhsa_system_vgpr_workitem_id 1
		.amdhsa_next_free_vgpr 98
		.amdhsa_next_free_sgpr 19
		.amdhsa_named_barrier_count 0
		.amdhsa_reserve_vcc 1
		.amdhsa_float_round_mode_32 0
		.amdhsa_float_round_mode_16_64 0
		.amdhsa_float_denorm_mode_32 3
		.amdhsa_float_denorm_mode_16_64 3
		.amdhsa_fp16_overflow 0
		.amdhsa_memory_ordered 1
		.amdhsa_forward_progress 1
		.amdhsa_inst_pref_size 255
		.amdhsa_round_robin_scheduling 0
		.amdhsa_exception_fp_ieee_invalid_op 0
		.amdhsa_exception_fp_denorm_src 0
		.amdhsa_exception_fp_ieee_div_zero 0
		.amdhsa_exception_fp_ieee_overflow 0
		.amdhsa_exception_fp_ieee_underflow 0
		.amdhsa_exception_fp_ieee_inexact 0
		.amdhsa_exception_int_div_zero 0
	.end_amdhsa_kernel
	.section	.text._ZN9rocsolver6v33100L18getf2_small_kernelILi34E19rocblas_complex_numIfEiiPS3_EEvT1_T3_lS5_lPS5_llPT2_S5_S5_S7_l,"axG",@progbits,_ZN9rocsolver6v33100L18getf2_small_kernelILi34E19rocblas_complex_numIfEiiPS3_EEvT1_T3_lS5_lPS5_llPT2_S5_S5_S7_l,comdat
.Lfunc_end66:
	.size	_ZN9rocsolver6v33100L18getf2_small_kernelILi34E19rocblas_complex_numIfEiiPS3_EEvT1_T3_lS5_lPS5_llPT2_S5_S5_S7_l, .Lfunc_end66-_ZN9rocsolver6v33100L18getf2_small_kernelILi34E19rocblas_complex_numIfEiiPS3_EEvT1_T3_lS5_lPS5_llPT2_S5_S5_S7_l
                                        ; -- End function
	.set _ZN9rocsolver6v33100L18getf2_small_kernelILi34E19rocblas_complex_numIfEiiPS3_EEvT1_T3_lS5_lPS5_llPT2_S5_S5_S7_l.num_vgpr, 98
	.set _ZN9rocsolver6v33100L18getf2_small_kernelILi34E19rocblas_complex_numIfEiiPS3_EEvT1_T3_lS5_lPS5_llPT2_S5_S5_S7_l.num_agpr, 0
	.set _ZN9rocsolver6v33100L18getf2_small_kernelILi34E19rocblas_complex_numIfEiiPS3_EEvT1_T3_lS5_lPS5_llPT2_S5_S5_S7_l.numbered_sgpr, 19
	.set _ZN9rocsolver6v33100L18getf2_small_kernelILi34E19rocblas_complex_numIfEiiPS3_EEvT1_T3_lS5_lPS5_llPT2_S5_S5_S7_l.num_named_barrier, 0
	.set _ZN9rocsolver6v33100L18getf2_small_kernelILi34E19rocblas_complex_numIfEiiPS3_EEvT1_T3_lS5_lPS5_llPT2_S5_S5_S7_l.private_seg_size, 0
	.set _ZN9rocsolver6v33100L18getf2_small_kernelILi34E19rocblas_complex_numIfEiiPS3_EEvT1_T3_lS5_lPS5_llPT2_S5_S5_S7_l.uses_vcc, 1
	.set _ZN9rocsolver6v33100L18getf2_small_kernelILi34E19rocblas_complex_numIfEiiPS3_EEvT1_T3_lS5_lPS5_llPT2_S5_S5_S7_l.uses_flat_scratch, 0
	.set _ZN9rocsolver6v33100L18getf2_small_kernelILi34E19rocblas_complex_numIfEiiPS3_EEvT1_T3_lS5_lPS5_llPT2_S5_S5_S7_l.has_dyn_sized_stack, 0
	.set _ZN9rocsolver6v33100L18getf2_small_kernelILi34E19rocblas_complex_numIfEiiPS3_EEvT1_T3_lS5_lPS5_llPT2_S5_S5_S7_l.has_recursion, 0
	.set _ZN9rocsolver6v33100L18getf2_small_kernelILi34E19rocblas_complex_numIfEiiPS3_EEvT1_T3_lS5_lPS5_llPT2_S5_S5_S7_l.has_indirect_call, 0
	.section	.AMDGPU.csdata,"",@progbits
; Kernel info:
; codeLenInByte = 66872
; TotalNumSgprs: 21
; NumVgprs: 98
; ScratchSize: 0
; MemoryBound: 0
; FloatMode: 240
; IeeeMode: 1
; LDSByteSize: 0 bytes/workgroup (compile time only)
; SGPRBlocks: 0
; VGPRBlocks: 6
; NumSGPRsForWavesPerEU: 21
; NumVGPRsForWavesPerEU: 98
; NamedBarCnt: 0
; Occupancy: 9
; WaveLimiterHint : 0
; COMPUTE_PGM_RSRC2:SCRATCH_EN: 0
; COMPUTE_PGM_RSRC2:USER_SGPR: 2
; COMPUTE_PGM_RSRC2:TRAP_HANDLER: 0
; COMPUTE_PGM_RSRC2:TGID_X_EN: 1
; COMPUTE_PGM_RSRC2:TGID_Y_EN: 1
; COMPUTE_PGM_RSRC2:TGID_Z_EN: 0
; COMPUTE_PGM_RSRC2:TIDIG_COMP_CNT: 1
	.section	.text._ZN9rocsolver6v33100L23getf2_npvt_small_kernelILi34E19rocblas_complex_numIfEiiPS3_EEvT1_T3_lS5_lPT2_S5_S5_,"axG",@progbits,_ZN9rocsolver6v33100L23getf2_npvt_small_kernelILi34E19rocblas_complex_numIfEiiPS3_EEvT1_T3_lS5_lPT2_S5_S5_,comdat
	.globl	_ZN9rocsolver6v33100L23getf2_npvt_small_kernelILi34E19rocblas_complex_numIfEiiPS3_EEvT1_T3_lS5_lPT2_S5_S5_ ; -- Begin function _ZN9rocsolver6v33100L23getf2_npvt_small_kernelILi34E19rocblas_complex_numIfEiiPS3_EEvT1_T3_lS5_lPT2_S5_S5_
	.p2align	8
	.type	_ZN9rocsolver6v33100L23getf2_npvt_small_kernelILi34E19rocblas_complex_numIfEiiPS3_EEvT1_T3_lS5_lPT2_S5_S5_,@function
_ZN9rocsolver6v33100L23getf2_npvt_small_kernelILi34E19rocblas_complex_numIfEiiPS3_EEvT1_T3_lS5_lPT2_S5_S5_: ; @_ZN9rocsolver6v33100L23getf2_npvt_small_kernelILi34E19rocblas_complex_numIfEiiPS3_EEvT1_T3_lS5_lPT2_S5_S5_
; %bb.0:
	s_clause 0x1
	s_load_u16 s14, s[0:1], 0x46
	s_load_b64 s[2:3], s[0:1], 0x30
	s_bfe_u32 s4, ttmp6, 0x40010
	s_bfe_u32 s5, ttmp6, 0x40004
	s_add_co_i32 s4, s4, 1
	s_getreg_b32 s6, hwreg(HW_REG_IB_STS2, 6, 4)
	s_mul_i32 s4, ttmp7, s4
	v_bfe_u32 v138, v0, 10, 10
	s_add_co_i32 s5, s5, s4
	s_cmp_eq_u32 s6, 0
	s_cselect_b32 s4, ttmp7, s5
	s_wait_kmcnt 0x0
	v_mad_u32 v2, s4, s14, v138
	s_delay_alu instid0(VALU_DEP_1)
	v_cmp_gt_i32_e32 vcc_lo, s2, v2
	s_and_saveexec_b32 s2, vcc_lo
	s_cbranch_execz .LBB67_309
; %bb.1:
	s_clause 0x1
	s_load_b32 s12, s[0:1], 0x18
	s_load_b128 s[8:11], s[0:1], 0x8
	v_and_b32_e32 v206, 0x3ff, v0
	s_load_b128 s[4:7], s[0:1], 0x20
	v_lshlrev_b32_e32 v139, 3, v138
	s_mulk_i32 s14, 0x110
	v_mad_u32_u24 v208, 0x110, v138, 0
	s_wait_xcnt 0x0
	v_cmp_ne_u32_e64 s1, 0, v206
	v_cmp_eq_u32_e64 s0, 0, v206
	v_add3_u32 v207, 0, s14, v139
	v_dual_ashrrev_i32 v3, 31, v2 :: v_dual_mov_b32 v13, 0
	v_lshlrev_b32_e32 v12, 3, v206
	s_wait_kmcnt 0x0
	v_add3_u32 v0, s12, s12, v206
	s_ashr_i32 s13, s12, 31
	v_mul_u64_e32 v[6:7], s[4:5], v[2:3]
	s_delay_alu instid0(VALU_DEP_2) | instskip(NEXT) | instid1(VALU_DEP_1)
	v_add_nc_u32_e32 v4, s12, v0
	v_add_nc_u32_e32 v8, s12, v4
	s_delay_alu instid0(VALU_DEP_1) | instskip(NEXT) | instid1(VALU_DEP_1)
	v_add_nc_u32_e32 v10, s12, v8
	v_add_nc_u32_e32 v16, s12, v10
	s_delay_alu instid0(VALU_DEP_1) | instskip(NEXT) | instid1(VALU_DEP_1)
	v_add_nc_u32_e32 v20, s12, v16
	v_add_nc_u32_e32 v22, s12, v20
	s_delay_alu instid0(VALU_DEP_1) | instskip(SKIP_3) | instid1(VALU_DEP_3)
	v_dual_ashrrev_i32 v17, 31, v16 :: v_dual_ashrrev_i32 v23, 31, v22
	v_dual_add_nc_u32 v24, s12, v22 :: v_dual_ashrrev_i32 v5, 31, v4
	v_ashrrev_i32_e32 v11, 31, v10
	v_lshl_add_u64 v[6:7], v[6:7], 3, s[8:9]
	v_add_nc_u32_e32 v28, s12, v24
	s_delay_alu instid0(VALU_DEP_2) | instskip(NEXT) | instid1(VALU_DEP_2)
	v_lshl_add_u64 v[98:99], s[10:11], 3, v[6:7]
	v_add_nc_u32_e32 v30, s12, v28
	s_delay_alu instid0(VALU_DEP_2) | instskip(SKIP_1) | instid1(VALU_DEP_3)
	v_add_nc_u64_e32 v[18:19], v[98:99], v[12:13]
	v_lshl_add_u64 v[12:13], v[4:5], 3, v[98:99]
	v_dual_add_nc_u32 v34, s12, v30 :: v_dual_ashrrev_i32 v29, 31, v28
	v_lshl_add_u64 v[4:5], v[16:17], 3, v[98:99]
	s_delay_alu instid0(VALU_DEP_2) | instskip(SKIP_3) | instid1(VALU_DEP_4)
	v_dual_add_nc_u32 v42, s12, v34 :: v_dual_ashrrev_i32 v1, 31, v0
	v_ashrrev_i32_e32 v35, 31, v34
	v_lshl_add_u64 v[32:33], s[12:13], 3, v[18:19]
	v_ashrrev_i32_e32 v31, 31, v30
	v_dual_add_nc_u32 v46, s12, v42 :: v_dual_ashrrev_i32 v9, 31, v8
	v_lshl_add_u64 v[6:7], v[0:1], 3, v[98:99]
	v_lshl_add_u64 v[0:1], v[10:11], 3, v[98:99]
	;; [unrolled: 1-line block ×3, first 2 shown]
	s_delay_alu instid0(VALU_DEP_4) | instskip(SKIP_1) | instid1(VALU_DEP_2)
	v_add_nc_u32_e32 v48, s12, v46
	v_lshl_add_u64 v[14:15], v[8:9], 3, v[98:99]
	v_dual_ashrrev_i32 v43, 31, v42 :: v_dual_add_nc_u32 v50, s12, v48
	v_ashrrev_i32_e32 v21, 31, v20
	s_delay_alu instid0(VALU_DEP_2) | instskip(NEXT) | instid1(VALU_DEP_3)
	v_lshl_add_u64 v[42:43], v[42:43], 3, v[98:99]
	v_dual_ashrrev_i32 v49, 31, v48 :: v_dual_add_nc_u32 v64, s12, v50
	v_ashrrev_i32_e32 v51, 31, v50
	s_delay_alu instid0(VALU_DEP_4)
	v_lshl_add_u64 v[8:9], v[20:21], 3, v[98:99]
	v_lshl_add_u64 v[20:21], v[28:29], 3, v[98:99]
	;; [unrolled: 1-line block ×3, first 2 shown]
	v_add_nc_u32_e32 v66, s12, v64
	v_ashrrev_i32_e32 v25, 31, v24
	v_ashrrev_i32_e32 v65, 31, v64
	v_lshl_add_u64 v[30:31], v[34:35], 3, v[98:99]
	v_lshl_add_u64 v[50:51], v[50:51], 3, v[98:99]
	v_add_nc_u32_e32 v68, s12, v66
	v_lshl_add_u64 v[16:17], v[24:25], 3, v[98:99]
	v_lshl_add_u64 v[64:65], v[64:65], 3, v[98:99]
	s_clause 0x7
	global_load_b64 v[74:75], v[14:15], off
	global_load_b64 v[24:25], v[0:1], off
	;; [unrolled: 1-line block ×8, first 2 shown]
	v_add_nc_u32_e32 v70, s12, v68
	s_clause 0x3
	global_load_b64 v[40:41], v[10:11], off
	global_load_b64 v[36:37], v[16:17], off
	;; [unrolled: 1-line block ×4, first 2 shown]
	v_lshl_add_u64 v[48:49], v[48:49], 3, v[98:99]
	v_dual_ashrrev_i32 v69, 31, v68 :: v_dual_ashrrev_i32 v67, 31, v66
	v_add_nc_u32_e32 v82, s12, v70
	s_delay_alu instid0(VALU_DEP_2) | instskip(NEXT) | instid1(VALU_DEP_3)
	v_lshl_add_u64 v[68:69], v[68:69], 3, v[98:99]
	v_lshl_add_u64 v[66:67], v[66:67], 3, v[98:99]
	s_delay_alu instid0(VALU_DEP_3) | instskip(NEXT) | instid1(VALU_DEP_1)
	v_add_nc_u32_e32 v84, s12, v82
	v_dual_ashrrev_i32 v47, 31, v46 :: v_dual_add_nc_u32 v86, s12, v84
	v_ashrrev_i32_e32 v85, 31, v84
	s_delay_alu instid0(VALU_DEP_2)
	v_lshl_add_u64 v[46:47], v[46:47], 3, v[98:99]
	s_clause 0x3
	global_load_b64 v[62:63], v[30:31], off
	global_load_b64 v[58:59], v[42:43], off
	;; [unrolled: 1-line block ×4, first 2 shown]
	v_add_nc_u32_e32 v88, s12, v86
	v_ashrrev_i32_e32 v83, 31, v82
	s_clause 0x3
	global_load_b64 v[80:81], v[50:51], off
	global_load_b64 v[76:77], v[64:65], off
	global_load_b64 v[78:79], v[66:67], off
	global_load_b64 v[114:115], v[68:69], off
	v_lshl_add_u64 v[84:85], v[84:85], 3, v[98:99]
	v_dual_add_nc_u32 v90, s12, v88 :: v_dual_ashrrev_i32 v89, 31, v88
	v_lshl_add_u64 v[82:83], v[82:83], 3, v[98:99]
	s_delay_alu instid0(VALU_DEP_2) | instskip(SKIP_3) | instid1(VALU_DEP_4)
	v_add_nc_u32_e32 v92, s12, v90
	v_ashrrev_i32_e32 v71, 31, v70
	v_ashrrev_i32_e32 v91, 31, v90
	v_lshl_add_u64 v[88:89], v[88:89], 3, v[98:99]
	v_dual_add_nc_u32 v94, s12, v92 :: v_dual_ashrrev_i32 v93, 31, v92
	s_delay_alu instid0(VALU_DEP_4) | instskip(NEXT) | instid1(VALU_DEP_4)
	v_lshl_add_u64 v[70:71], v[70:71], 3, v[98:99]
	v_lshl_add_u64 v[90:91], v[90:91], 3, v[98:99]
	s_delay_alu instid0(VALU_DEP_3) | instskip(SKIP_2) | instid1(VALU_DEP_3)
	v_add_nc_u32_e32 v96, s12, v94
	v_ashrrev_i32_e32 v87, 31, v86
	v_lshl_add_u64 v[92:93], v[92:93], 3, v[98:99]
	v_add_nc_u32_e32 v106, s12, v96
	s_delay_alu instid0(VALU_DEP_3)
	v_lshl_add_u64 v[86:87], v[86:87], 3, v[98:99]
	s_clause 0x3
	global_load_b64 v[128:129], v[70:71], off
	global_load_b64 v[126:127], v[82:83], off
	;; [unrolled: 1-line block ×4, first 2 shown]
	v_add_nc_u32_e32 v108, s12, v106
	s_delay_alu instid0(VALU_DEP_1) | instskip(SKIP_1) | instid1(VALU_DEP_2)
	v_add_nc_u32_e32 v110, s12, v108
	v_ashrrev_i32_e32 v97, 31, v96
	v_dual_ashrrev_i32 v109, 31, v108 :: v_dual_add_nc_u32 v112, s12, v110
	v_ashrrev_i32_e32 v95, 31, v94
	v_ashrrev_i32_e32 v107, 31, v106
	s_delay_alu instid0(VALU_DEP_4) | instskip(NEXT) | instid1(VALU_DEP_4)
	v_lshl_add_u64 v[96:97], v[96:97], 3, v[98:99]
	v_lshl_add_u64 v[108:109], v[108:109], 3, v[98:99]
	v_dual_add_nc_u32 v116, s12, v112 :: v_dual_ashrrev_i32 v111, 31, v110
	v_ashrrev_i32_e32 v113, 31, v112
	v_lshl_add_u64 v[106:107], v[106:107], 3, v[98:99]
	v_lshl_add_u64 v[94:95], v[94:95], 3, v[98:99]
	s_delay_alu instid0(VALU_DEP_4)
	v_ashrrev_i32_e32 v117, 31, v116
	v_lshl_add_u64 v[110:111], v[110:111], 3, v[98:99]
	v_lshl_add_u64 v[112:113], v[112:113], 3, v[98:99]
	s_clause 0x3
	global_load_b64 v[132:133], v[88:89], off
	global_load_b64 v[102:103], v[90:91], off
	;; [unrolled: 1-line block ×4, first 2 shown]
	v_lshl_add_u64 v[98:99], v[116:117], 3, v[98:99]
	s_clause 0x5
	global_load_b64 v[118:119], v[96:97], off
	global_load_b64 v[116:117], v[106:107], off
	;; [unrolled: 1-line block ×6, first 2 shown]
	s_wait_xcnt 0x0
	s_and_saveexec_b32 s4, s0
	s_cbranch_execz .LBB67_8
; %bb.2:
	s_wait_loadcnt 0x1d
	ds_store_b64 v207, v[52:53]
	s_wait_loadcnt 0x1b
	ds_store_2addr_b64 v208, v[54:55], v[44:45] offset0:1 offset1:2
	s_wait_loadcnt 0x1a
	ds_store_2addr_b64 v208, v[72:73], v[74:75] offset0:3 offset1:4
	ds_store_2addr_b64 v208, v[24:25], v[26:27] offset0:5 offset1:6
	s_wait_loadcnt 0x19
	ds_store_2addr_b64 v208, v[22:23], v[40:41] offset0:7 offset1:8
	s_wait_loadcnt 0x17
	;; [unrolled: 2-line block ×14, first 2 shown]
	ds_store_b64 v208, v[134:135] offset:264
	ds_load_b64 v[138:139], v207
	s_wait_dscnt 0x0
	v_cmp_neq_f32_e32 vcc_lo, 0, v138
	v_cmp_neq_f32_e64 s2, 0, v139
	s_or_b32 s2, vcc_lo, s2
	s_delay_alu instid0(SALU_CYCLE_1)
	s_and_b32 exec_lo, exec_lo, s2
	s_cbranch_execz .LBB67_8
; %bb.3:
	v_cmp_ngt_f32_e64 s2, |v138|, |v139|
                                        ; implicit-def: $vgpr140_vgpr141
	s_and_saveexec_b32 s5, s2
	s_delay_alu instid0(SALU_CYCLE_1)
	s_xor_b32 s2, exec_lo, s5
	s_cbranch_execz .LBB67_5
; %bb.4:
	v_div_scale_f32 v140, null, v139, v139, v138
	v_div_scale_f32 v143, vcc_lo, v138, v139, v138
	s_delay_alu instid0(VALU_DEP_2) | instskip(SKIP_1) | instid1(TRANS32_DEP_1)
	v_rcp_f32_e32 v141, v140
	v_nop
	v_fma_f32 v142, -v140, v141, 1.0
	s_delay_alu instid0(VALU_DEP_1) | instskip(NEXT) | instid1(VALU_DEP_1)
	v_fmac_f32_e32 v141, v142, v141
	v_mul_f32_e32 v142, v143, v141
	s_delay_alu instid0(VALU_DEP_1) | instskip(NEXT) | instid1(VALU_DEP_1)
	v_fma_f32 v144, -v140, v142, v143
	v_fmac_f32_e32 v142, v144, v141
	s_delay_alu instid0(VALU_DEP_1) | instskip(NEXT) | instid1(VALU_DEP_1)
	v_fma_f32 v140, -v140, v142, v143
	v_div_fmas_f32 v140, v140, v141, v142
	s_delay_alu instid0(VALU_DEP_1) | instskip(NEXT) | instid1(VALU_DEP_1)
	v_div_fixup_f32 v140, v140, v139, v138
	v_fmac_f32_e32 v139, v138, v140
	s_delay_alu instid0(VALU_DEP_1) | instskip(SKIP_1) | instid1(VALU_DEP_2)
	v_div_scale_f32 v138, null, v139, v139, 1.0
	v_div_scale_f32 v143, vcc_lo, 1.0, v139, 1.0
	v_rcp_f32_e32 v141, v138
	v_nop
	s_delay_alu instid0(TRANS32_DEP_1) | instskip(NEXT) | instid1(VALU_DEP_1)
	v_fma_f32 v142, -v138, v141, 1.0
	v_fmac_f32_e32 v141, v142, v141
	s_delay_alu instid0(VALU_DEP_1) | instskip(NEXT) | instid1(VALU_DEP_1)
	v_mul_f32_e32 v142, v143, v141
	v_fma_f32 v144, -v138, v142, v143
	s_delay_alu instid0(VALU_DEP_1) | instskip(NEXT) | instid1(VALU_DEP_1)
	v_fmac_f32_e32 v142, v144, v141
	v_fma_f32 v138, -v138, v142, v143
	s_delay_alu instid0(VALU_DEP_1) | instskip(NEXT) | instid1(VALU_DEP_1)
	v_div_fmas_f32 v138, v138, v141, v142
	v_div_fixup_f32 v138, v138, v139, 1.0
	s_delay_alu instid0(VALU_DEP_1)
	v_mul_f32_e32 v140, v140, v138
	v_xor_b32_e32 v141, 0x80000000, v138
                                        ; implicit-def: $vgpr138_vgpr139
.LBB67_5:
	s_and_not1_saveexec_b32 s2, s2
	s_cbranch_execz .LBB67_7
; %bb.6:
	v_div_scale_f32 v140, null, v138, v138, v139
	v_div_scale_f32 v143, vcc_lo, v139, v138, v139
	s_delay_alu instid0(VALU_DEP_2) | instskip(SKIP_1) | instid1(TRANS32_DEP_1)
	v_rcp_f32_e32 v141, v140
	v_nop
	v_fma_f32 v142, -v140, v141, 1.0
	s_delay_alu instid0(VALU_DEP_1) | instskip(NEXT) | instid1(VALU_DEP_1)
	v_fmac_f32_e32 v141, v142, v141
	v_mul_f32_e32 v142, v143, v141
	s_delay_alu instid0(VALU_DEP_1) | instskip(NEXT) | instid1(VALU_DEP_1)
	v_fma_f32 v144, -v140, v142, v143
	v_fmac_f32_e32 v142, v144, v141
	s_delay_alu instid0(VALU_DEP_1) | instskip(NEXT) | instid1(VALU_DEP_1)
	v_fma_f32 v140, -v140, v142, v143
	v_div_fmas_f32 v140, v140, v141, v142
	s_delay_alu instid0(VALU_DEP_1) | instskip(NEXT) | instid1(VALU_DEP_1)
	v_div_fixup_f32 v141, v140, v138, v139
	v_fmac_f32_e32 v138, v139, v141
	s_delay_alu instid0(VALU_DEP_1) | instskip(NEXT) | instid1(VALU_DEP_1)
	v_div_scale_f32 v139, null, v138, v138, 1.0
	v_rcp_f32_e32 v140, v139
	v_nop
	s_delay_alu instid0(TRANS32_DEP_1) | instskip(NEXT) | instid1(VALU_DEP_1)
	v_fma_f32 v142, -v139, v140, 1.0
	v_fmac_f32_e32 v140, v142, v140
	v_div_scale_f32 v142, vcc_lo, 1.0, v138, 1.0
	s_delay_alu instid0(VALU_DEP_1) | instskip(NEXT) | instid1(VALU_DEP_1)
	v_mul_f32_e32 v143, v142, v140
	v_fma_f32 v144, -v139, v143, v142
	s_delay_alu instid0(VALU_DEP_1) | instskip(NEXT) | instid1(VALU_DEP_1)
	v_fmac_f32_e32 v143, v144, v140
	v_fma_f32 v139, -v139, v143, v142
	s_delay_alu instid0(VALU_DEP_1) | instskip(NEXT) | instid1(VALU_DEP_1)
	v_div_fmas_f32 v139, v139, v140, v143
	v_div_fixup_f32 v140, v139, v138, 1.0
	s_delay_alu instid0(VALU_DEP_1)
	v_mul_f32_e64 v141, v141, -v140
.LBB67_7:
	s_or_b32 exec_lo, exec_lo, s2
	ds_store_b64 v207, v[140:141]
.LBB67_8:
	s_or_b32 exec_lo, exec_lo, s4
	s_wait_loadcnt_dscnt 0x0
	s_barrier_signal -1
	s_barrier_wait -1
	ds_load_b64 v[138:139], v207
	s_and_saveexec_b32 s2, s1
	s_cbranch_execz .LBB67_10
; %bb.9:
	ds_load_2addr_b64 v[144:147], v208 offset0:1 offset1:2
	s_wait_dscnt 0x1
	v_pk_mul_f32 v[142:143], v[138:139], v[52:53] op_sel:[1,1] op_sel_hi:[0,1]
	s_delay_alu instid0(VALU_DEP_1) | instskip(SKIP_1) | instid1(VALU_DEP_1)
	v_pk_fma_f32 v[140:141], v[138:139], v[52:53], v[142:143] op_sel_hi:[1,0,1] neg_lo:[0,0,1] neg_hi:[0,0,1]
	v_pk_fma_f32 v[142:143], v[138:139], v[52:53], v[142:143] op_sel_hi:[1,0,1]
	v_dual_mov_b32 v52, v140 :: v_dual_mov_b32 v53, v143
	s_wait_dscnt 0x0
	s_delay_alu instid0(VALU_DEP_2) | instskip(NEXT) | instid1(VALU_DEP_1)
	v_pk_mul_f32 v[148:149], v[144:145], v[142:143] op_sel:[0,1]
	v_pk_fma_f32 v[150:151], v[144:145], v[140:141], v[148:149] op_sel:[0,0,1] op_sel_hi:[1,1,0] neg_lo:[0,0,1] neg_hi:[0,0,1]
	v_pk_fma_f32 v[144:145], v[144:145], v[140:141], v[148:149] op_sel:[0,0,1] op_sel_hi:[1,0,0]
	s_delay_alu instid0(VALU_DEP_1) | instskip(SKIP_1) | instid1(VALU_DEP_1)
	v_mov_b32_e32 v151, v145
	v_pk_mul_f32 v[144:145], v[146:147], v[142:143] op_sel:[0,1]
	v_pk_fma_f32 v[148:149], v[146:147], v[140:141], v[144:145] op_sel:[0,0,1] op_sel_hi:[1,1,0] neg_lo:[0,0,1] neg_hi:[0,0,1]
	v_pk_fma_f32 v[144:145], v[146:147], v[140:141], v[144:145] op_sel:[0,0,1] op_sel_hi:[1,0,0]
	s_delay_alu instid0(VALU_DEP_1)
	v_mov_b32_e32 v149, v145
	ds_load_2addr_b64 v[144:147], v208 offset0:3 offset1:4
	v_pk_add_f32 v[54:55], v[54:55], v[150:151] neg_lo:[0,1] neg_hi:[0,1]
	v_pk_add_f32 v[44:45], v[44:45], v[148:149] neg_lo:[0,1] neg_hi:[0,1]
	s_wait_dscnt 0x0
	v_pk_mul_f32 v[148:149], v[144:145], v[142:143] op_sel:[0,1]
	s_delay_alu instid0(VALU_DEP_1) | instskip(SKIP_2) | instid1(VALU_DEP_2)
	v_pk_fma_f32 v[150:151], v[144:145], v[140:141], v[148:149] op_sel:[0,0,1] op_sel_hi:[1,1,0] neg_lo:[0,0,1] neg_hi:[0,0,1]
	v_pk_fma_f32 v[144:145], v[144:145], v[140:141], v[148:149] op_sel:[0,0,1] op_sel_hi:[1,0,0]
	v_dual_mul_f32 v148, v147, v143 :: v_dual_mov_b32 v144, v147
	v_dual_mov_b32 v151, v145 :: v_dual_mov_b32 v145, v146
	s_delay_alu instid0(VALU_DEP_2) | instskip(SKIP_1) | instid1(VALU_DEP_3)
	v_pk_fma_f32 v[148:149], v[146:147], v[52:53], v[148:149] op_sel_hi:[1,1,0] neg_lo:[0,0,1] neg_hi:[0,0,1]
	v_mul_f32_e32 v146, v147, v140
	v_pk_add_f32 v[72:73], v[72:73], v[150:151] neg_lo:[0,1] neg_hi:[0,1]
	s_delay_alu instid0(VALU_DEP_2) | instskip(NEXT) | instid1(VALU_DEP_1)
	v_pk_fma_f32 v[144:145], v[144:145], v[52:53], v[146:147] op_sel_hi:[1,1,0]
	v_mov_b32_e32 v149, v145
	ds_load_2addr_b64 v[144:147], v208 offset0:5 offset1:6
	v_pk_add_f32 v[74:75], v[74:75], v[148:149] neg_lo:[0,1] neg_hi:[0,1]
	s_wait_dscnt 0x0
	v_pk_mul_f32 v[148:149], v[144:145], v[142:143] op_sel:[0,1]
	s_delay_alu instid0(VALU_DEP_1) | instskip(SKIP_1) | instid1(VALU_DEP_1)
	v_pk_fma_f32 v[150:151], v[144:145], v[140:141], v[148:149] op_sel:[0,0,1] op_sel_hi:[1,1,0] neg_lo:[0,0,1] neg_hi:[0,0,1]
	v_pk_fma_f32 v[144:145], v[144:145], v[140:141], v[148:149] op_sel:[0,0,1] op_sel_hi:[1,0,0]
	v_mov_b32_e32 v151, v145
	v_pk_mul_f32 v[144:145], v[146:147], v[142:143] op_sel:[0,1]
	s_delay_alu instid0(VALU_DEP_1) | instskip(SKIP_1) | instid1(VALU_DEP_1)
	v_pk_fma_f32 v[148:149], v[146:147], v[140:141], v[144:145] op_sel:[0,0,1] op_sel_hi:[1,1,0] neg_lo:[0,0,1] neg_hi:[0,0,1]
	v_pk_fma_f32 v[144:145], v[146:147], v[140:141], v[144:145] op_sel:[0,0,1] op_sel_hi:[1,0,0]
	v_mov_b32_e32 v149, v145
	ds_load_2addr_b64 v[144:147], v208 offset0:7 offset1:8
	v_pk_add_f32 v[24:25], v[24:25], v[150:151] neg_lo:[0,1] neg_hi:[0,1]
	v_pk_add_f32 v[26:27], v[26:27], v[148:149] neg_lo:[0,1] neg_hi:[0,1]
	s_wait_dscnt 0x0
	v_pk_mul_f32 v[148:149], v[144:145], v[142:143] op_sel:[0,1]
	s_delay_alu instid0(VALU_DEP_1) | instskip(SKIP_1) | instid1(VALU_DEP_1)
	v_pk_fma_f32 v[150:151], v[144:145], v[140:141], v[148:149] op_sel:[0,0,1] op_sel_hi:[1,1,0] neg_lo:[0,0,1] neg_hi:[0,0,1]
	v_pk_fma_f32 v[144:145], v[144:145], v[140:141], v[148:149] op_sel:[0,0,1] op_sel_hi:[1,0,0]
	v_mov_b32_e32 v151, v145
	v_pk_mul_f32 v[144:145], v[146:147], v[142:143] op_sel:[0,1]
	s_delay_alu instid0(VALU_DEP_1) | instskip(SKIP_1) | instid1(VALU_DEP_1)
	v_pk_fma_f32 v[148:149], v[146:147], v[140:141], v[144:145] op_sel:[0,0,1] op_sel_hi:[1,1,0] neg_lo:[0,0,1] neg_hi:[0,0,1]
	v_pk_fma_f32 v[144:145], v[146:147], v[140:141], v[144:145] op_sel:[0,0,1] op_sel_hi:[1,0,0]
	v_mov_b32_e32 v149, v145
	ds_load_2addr_b64 v[144:147], v208 offset0:9 offset1:10
	v_pk_add_f32 v[22:23], v[22:23], v[150:151] neg_lo:[0,1] neg_hi:[0,1]
	v_pk_add_f32 v[40:41], v[40:41], v[148:149] neg_lo:[0,1] neg_hi:[0,1]
	s_wait_dscnt 0x0
	v_dual_mul_f32 v148, v145, v143 :: v_dual_mul_f32 v150, v145, v140
	s_delay_alu instid0(VALU_DEP_1) | instskip(NEXT) | instid1(VALU_DEP_2)
	v_pk_fma_f32 v[148:149], v[144:145], v[52:53], v[148:149] op_sel_hi:[1,1,0] neg_lo:[0,0,1] neg_hi:[0,0,1]
	v_pk_fma_f32 v[144:145], v[144:145], v[52:53], v[150:151] op_sel:[1,0,0] op_sel_hi:[0,1,0]
	s_delay_alu instid0(VALU_DEP_1) | instskip(SKIP_1) | instid1(VALU_DEP_2)
	v_mov_b32_e32 v149, v145
	v_pk_mul_f32 v[144:145], v[146:147], v[142:143] op_sel:[0,1]
	v_pk_add_f32 v[36:37], v[36:37], v[148:149] neg_lo:[0,1] neg_hi:[0,1]
	s_delay_alu instid0(VALU_DEP_2) | instskip(SKIP_1) | instid1(VALU_DEP_1)
	v_pk_fma_f32 v[148:149], v[146:147], v[140:141], v[144:145] op_sel:[0,0,1] op_sel_hi:[1,1,0] neg_lo:[0,0,1] neg_hi:[0,0,1]
	v_pk_fma_f32 v[144:145], v[146:147], v[140:141], v[144:145] op_sel:[0,0,1] op_sel_hi:[1,0,0]
	v_mov_b32_e32 v149, v145
	ds_load_2addr_b64 v[144:147], v208 offset0:11 offset1:12
	v_pk_add_f32 v[38:39], v[38:39], v[148:149] neg_lo:[0,1] neg_hi:[0,1]
	s_wait_dscnt 0x0
	v_pk_mul_f32 v[148:149], v[144:145], v[142:143] op_sel:[0,1]
	s_delay_alu instid0(VALU_DEP_1) | instskip(SKIP_1) | instid1(VALU_DEP_1)
	v_pk_fma_f32 v[150:151], v[144:145], v[140:141], v[148:149] op_sel:[0,0,1] op_sel_hi:[1,1,0] neg_lo:[0,0,1] neg_hi:[0,0,1]
	v_pk_fma_f32 v[144:145], v[144:145], v[140:141], v[148:149] op_sel:[0,0,1] op_sel_hi:[1,0,0]
	v_mov_b32_e32 v151, v145
	v_pk_mul_f32 v[144:145], v[146:147], v[142:143] op_sel:[0,1]
	s_delay_alu instid0(VALU_DEP_2) | instskip(NEXT) | instid1(VALU_DEP_2)
	v_pk_add_f32 v[34:35], v[34:35], v[150:151] neg_lo:[0,1] neg_hi:[0,1]
	v_pk_fma_f32 v[148:149], v[146:147], v[140:141], v[144:145] op_sel:[0,0,1] op_sel_hi:[1,1,0] neg_lo:[0,0,1] neg_hi:[0,0,1]
	v_pk_fma_f32 v[144:145], v[146:147], v[140:141], v[144:145] op_sel:[0,0,1] op_sel_hi:[1,0,0]
	s_delay_alu instid0(VALU_DEP_1) | instskip(SKIP_4) | instid1(VALU_DEP_1)
	v_mov_b32_e32 v149, v145
	ds_load_2addr_b64 v[144:147], v208 offset0:13 offset1:14
	v_pk_add_f32 v[62:63], v[62:63], v[148:149] neg_lo:[0,1] neg_hi:[0,1]
	s_wait_dscnt 0x0
	v_pk_mul_f32 v[148:149], v[144:145], v[142:143] op_sel:[0,1]
	v_pk_fma_f32 v[150:151], v[144:145], v[140:141], v[148:149] op_sel:[0,0,1] op_sel_hi:[1,1,0] neg_lo:[0,0,1] neg_hi:[0,0,1]
	v_pk_fma_f32 v[144:145], v[144:145], v[140:141], v[148:149] op_sel:[0,0,1] op_sel_hi:[1,0,0]
	v_dual_mul_f32 v148, v147, v143 :: v_dual_mov_b32 v144, v147
	s_delay_alu instid0(VALU_DEP_2) | instskip(NEXT) | instid1(VALU_DEP_2)
	v_dual_mov_b32 v151, v145 :: v_dual_mov_b32 v145, v146
	v_pk_fma_f32 v[148:149], v[146:147], v[52:53], v[148:149] op_sel_hi:[1,1,0] neg_lo:[0,0,1] neg_hi:[0,0,1]
	v_mul_f32_e32 v146, v147, v140
	s_delay_alu instid0(VALU_DEP_3) | instskip(NEXT) | instid1(VALU_DEP_2)
	v_pk_add_f32 v[58:59], v[58:59], v[150:151] neg_lo:[0,1] neg_hi:[0,1]
	v_pk_fma_f32 v[144:145], v[144:145], v[52:53], v[146:147] op_sel_hi:[1,1,0]
	s_delay_alu instid0(VALU_DEP_1) | instskip(SKIP_4) | instid1(VALU_DEP_1)
	v_mov_b32_e32 v149, v145
	ds_load_2addr_b64 v[144:147], v208 offset0:15 offset1:16
	v_pk_add_f32 v[60:61], v[60:61], v[148:149] neg_lo:[0,1] neg_hi:[0,1]
	s_wait_dscnt 0x0
	v_pk_mul_f32 v[148:149], v[144:145], v[142:143] op_sel:[0,1]
	v_pk_fma_f32 v[150:151], v[144:145], v[140:141], v[148:149] op_sel:[0,0,1] op_sel_hi:[1,1,0] neg_lo:[0,0,1] neg_hi:[0,0,1]
	v_pk_fma_f32 v[144:145], v[144:145], v[140:141], v[148:149] op_sel:[0,0,1] op_sel_hi:[1,0,0]
	s_delay_alu instid0(VALU_DEP_1) | instskip(SKIP_1) | instid1(VALU_DEP_1)
	v_mov_b32_e32 v151, v145
	v_pk_mul_f32 v[144:145], v[146:147], v[142:143] op_sel:[0,1]
	v_pk_fma_f32 v[148:149], v[146:147], v[140:141], v[144:145] op_sel:[0,0,1] op_sel_hi:[1,1,0] neg_lo:[0,0,1] neg_hi:[0,0,1]
	v_pk_fma_f32 v[144:145], v[146:147], v[140:141], v[144:145] op_sel:[0,0,1] op_sel_hi:[1,0,0]
	s_delay_alu instid0(VALU_DEP_1)
	v_mov_b32_e32 v149, v145
	ds_load_2addr_b64 v[144:147], v208 offset0:17 offset1:18
	v_pk_add_f32 v[56:57], v[56:57], v[150:151] neg_lo:[0,1] neg_hi:[0,1]
	v_pk_add_f32 v[80:81], v[80:81], v[148:149] neg_lo:[0,1] neg_hi:[0,1]
	s_wait_dscnt 0x0
	v_pk_mul_f32 v[148:149], v[144:145], v[142:143] op_sel:[0,1]
	s_delay_alu instid0(VALU_DEP_1) | instskip(SKIP_1) | instid1(VALU_DEP_1)
	v_pk_fma_f32 v[150:151], v[144:145], v[140:141], v[148:149] op_sel:[0,0,1] op_sel_hi:[1,1,0] neg_lo:[0,0,1] neg_hi:[0,0,1]
	v_pk_fma_f32 v[144:145], v[144:145], v[140:141], v[148:149] op_sel:[0,0,1] op_sel_hi:[1,0,0]
	v_mov_b32_e32 v151, v145
	v_pk_mul_f32 v[144:145], v[146:147], v[142:143] op_sel:[0,1]
	s_delay_alu instid0(VALU_DEP_1) | instskip(SKIP_1) | instid1(VALU_DEP_1)
	v_pk_fma_f32 v[148:149], v[146:147], v[140:141], v[144:145] op_sel:[0,0,1] op_sel_hi:[1,1,0] neg_lo:[0,0,1] neg_hi:[0,0,1]
	v_pk_fma_f32 v[144:145], v[146:147], v[140:141], v[144:145] op_sel:[0,0,1] op_sel_hi:[1,0,0]
	v_mov_b32_e32 v149, v145
	ds_load_2addr_b64 v[144:147], v208 offset0:19 offset1:20
	v_pk_add_f32 v[76:77], v[76:77], v[150:151] neg_lo:[0,1] neg_hi:[0,1]
	v_pk_add_f32 v[78:79], v[78:79], v[148:149] neg_lo:[0,1] neg_hi:[0,1]
	s_wait_dscnt 0x0
	v_dual_mul_f32 v148, v145, v143 :: v_dual_mul_f32 v150, v145, v140
	s_delay_alu instid0(VALU_DEP_1) | instskip(NEXT) | instid1(VALU_DEP_2)
	v_pk_fma_f32 v[148:149], v[144:145], v[52:53], v[148:149] op_sel_hi:[1,1,0] neg_lo:[0,0,1] neg_hi:[0,0,1]
	v_pk_fma_f32 v[144:145], v[144:145], v[52:53], v[150:151] op_sel:[1,0,0] op_sel_hi:[0,1,0]
	s_delay_alu instid0(VALU_DEP_1) | instskip(SKIP_1) | instid1(VALU_DEP_2)
	v_mov_b32_e32 v149, v145
	v_pk_mul_f32 v[144:145], v[146:147], v[142:143] op_sel:[0,1]
	v_pk_add_f32 v[114:115], v[114:115], v[148:149] neg_lo:[0,1] neg_hi:[0,1]
	s_delay_alu instid0(VALU_DEP_2) | instskip(SKIP_1) | instid1(VALU_DEP_1)
	v_pk_fma_f32 v[148:149], v[146:147], v[140:141], v[144:145] op_sel:[0,0,1] op_sel_hi:[1,1,0] neg_lo:[0,0,1] neg_hi:[0,0,1]
	v_pk_fma_f32 v[144:145], v[146:147], v[140:141], v[144:145] op_sel:[0,0,1] op_sel_hi:[1,0,0]
	v_mov_b32_e32 v149, v145
	ds_load_2addr_b64 v[144:147], v208 offset0:21 offset1:22
	v_pk_add_f32 v[128:129], v[128:129], v[148:149] neg_lo:[0,1] neg_hi:[0,1]
	s_wait_dscnt 0x0
	v_pk_mul_f32 v[148:149], v[144:145], v[142:143] op_sel:[0,1]
	s_delay_alu instid0(VALU_DEP_1) | instskip(SKIP_1) | instid1(VALU_DEP_1)
	v_pk_fma_f32 v[150:151], v[144:145], v[140:141], v[148:149] op_sel:[0,0,1] op_sel_hi:[1,1,0] neg_lo:[0,0,1] neg_hi:[0,0,1]
	v_pk_fma_f32 v[144:145], v[144:145], v[140:141], v[148:149] op_sel:[0,0,1] op_sel_hi:[1,0,0]
	v_mov_b32_e32 v151, v145
	v_pk_mul_f32 v[144:145], v[146:147], v[142:143] op_sel:[0,1]
	s_delay_alu instid0(VALU_DEP_2) | instskip(NEXT) | instid1(VALU_DEP_2)
	v_pk_add_f32 v[126:127], v[126:127], v[150:151] neg_lo:[0,1] neg_hi:[0,1]
	v_pk_fma_f32 v[148:149], v[146:147], v[140:141], v[144:145] op_sel:[0,0,1] op_sel_hi:[1,1,0] neg_lo:[0,0,1] neg_hi:[0,0,1]
	v_pk_fma_f32 v[144:145], v[146:147], v[140:141], v[144:145] op_sel:[0,0,1] op_sel_hi:[1,0,0]
	s_delay_alu instid0(VALU_DEP_1) | instskip(SKIP_4) | instid1(VALU_DEP_1)
	v_mov_b32_e32 v149, v145
	ds_load_2addr_b64 v[144:147], v208 offset0:23 offset1:24
	v_pk_add_f32 v[136:137], v[136:137], v[148:149] neg_lo:[0,1] neg_hi:[0,1]
	s_wait_dscnt 0x0
	v_pk_mul_f32 v[148:149], v[144:145], v[142:143] op_sel:[0,1]
	v_pk_fma_f32 v[150:151], v[144:145], v[140:141], v[148:149] op_sel:[0,0,1] op_sel_hi:[1,1,0] neg_lo:[0,0,1] neg_hi:[0,0,1]
	v_pk_fma_f32 v[144:145], v[144:145], v[140:141], v[148:149] op_sel:[0,0,1] op_sel_hi:[1,0,0]
	v_dual_mul_f32 v148, v147, v143 :: v_dual_mov_b32 v144, v147
	s_delay_alu instid0(VALU_DEP_2) | instskip(NEXT) | instid1(VALU_DEP_2)
	v_dual_mov_b32 v151, v145 :: v_dual_mov_b32 v145, v146
	v_pk_fma_f32 v[148:149], v[146:147], v[52:53], v[148:149] op_sel_hi:[1,1,0] neg_lo:[0,0,1] neg_hi:[0,0,1]
	v_mul_f32_e32 v146, v147, v140
	s_delay_alu instid0(VALU_DEP_3) | instskip(NEXT) | instid1(VALU_DEP_2)
	v_pk_add_f32 v[124:125], v[124:125], v[150:151] neg_lo:[0,1] neg_hi:[0,1]
	v_pk_fma_f32 v[144:145], v[144:145], v[52:53], v[146:147] op_sel_hi:[1,1,0]
	s_delay_alu instid0(VALU_DEP_1) | instskip(SKIP_4) | instid1(VALU_DEP_1)
	v_mov_b32_e32 v149, v145
	ds_load_2addr_b64 v[144:147], v208 offset0:25 offset1:26
	v_pk_add_f32 v[132:133], v[132:133], v[148:149] neg_lo:[0,1] neg_hi:[0,1]
	s_wait_dscnt 0x0
	v_pk_mul_f32 v[148:149], v[144:145], v[142:143] op_sel:[0,1]
	v_pk_fma_f32 v[150:151], v[144:145], v[140:141], v[148:149] op_sel:[0,0,1] op_sel_hi:[1,1,0] neg_lo:[0,0,1] neg_hi:[0,0,1]
	v_pk_fma_f32 v[144:145], v[144:145], v[140:141], v[148:149] op_sel:[0,0,1] op_sel_hi:[1,0,0]
	s_delay_alu instid0(VALU_DEP_1) | instskip(SKIP_1) | instid1(VALU_DEP_1)
	v_mov_b32_e32 v151, v145
	v_pk_mul_f32 v[144:145], v[146:147], v[142:143] op_sel:[0,1]
	v_pk_fma_f32 v[148:149], v[146:147], v[140:141], v[144:145] op_sel:[0,0,1] op_sel_hi:[1,1,0] neg_lo:[0,0,1] neg_hi:[0,0,1]
	v_pk_fma_f32 v[144:145], v[146:147], v[140:141], v[144:145] op_sel:[0,0,1] op_sel_hi:[1,0,0]
	s_delay_alu instid0(VALU_DEP_1)
	v_mov_b32_e32 v149, v145
	ds_load_2addr_b64 v[144:147], v208 offset0:27 offset1:28
	v_pk_add_f32 v[102:103], v[102:103], v[150:151] neg_lo:[0,1] neg_hi:[0,1]
	v_pk_add_f32 v[104:105], v[104:105], v[148:149] neg_lo:[0,1] neg_hi:[0,1]
	s_wait_dscnt 0x0
	v_pk_mul_f32 v[148:149], v[144:145], v[142:143] op_sel:[0,1]
	s_delay_alu instid0(VALU_DEP_1) | instskip(SKIP_1) | instid1(VALU_DEP_1)
	v_pk_fma_f32 v[150:151], v[144:145], v[140:141], v[148:149] op_sel:[0,0,1] op_sel_hi:[1,1,0] neg_lo:[0,0,1] neg_hi:[0,0,1]
	v_pk_fma_f32 v[144:145], v[144:145], v[140:141], v[148:149] op_sel:[0,0,1] op_sel_hi:[1,0,0]
	v_mov_b32_e32 v151, v145
	v_pk_mul_f32 v[144:145], v[146:147], v[142:143] op_sel:[0,1]
	s_delay_alu instid0(VALU_DEP_1) | instskip(SKIP_1) | instid1(VALU_DEP_1)
	v_pk_fma_f32 v[148:149], v[146:147], v[140:141], v[144:145] op_sel:[0,0,1] op_sel_hi:[1,1,0] neg_lo:[0,0,1] neg_hi:[0,0,1]
	v_pk_fma_f32 v[144:145], v[146:147], v[140:141], v[144:145] op_sel:[0,0,1] op_sel_hi:[1,0,0]
	v_mov_b32_e32 v149, v145
	ds_load_2addr_b64 v[144:147], v208 offset0:29 offset1:30
	v_pk_add_f32 v[100:101], v[100:101], v[150:151] neg_lo:[0,1] neg_hi:[0,1]
	v_pk_add_f32 v[118:119], v[118:119], v[148:149] neg_lo:[0,1] neg_hi:[0,1]
	s_wait_dscnt 0x0
	v_dual_mul_f32 v148, v145, v143 :: v_dual_mul_f32 v150, v145, v140
	s_delay_alu instid0(VALU_DEP_1) | instskip(NEXT) | instid1(VALU_DEP_2)
	v_pk_fma_f32 v[148:149], v[144:145], v[52:53], v[148:149] op_sel_hi:[1,1,0] neg_lo:[0,0,1] neg_hi:[0,0,1]
	v_pk_fma_f32 v[144:145], v[144:145], v[52:53], v[150:151] op_sel:[1,0,0] op_sel_hi:[0,1,0]
	s_delay_alu instid0(VALU_DEP_1) | instskip(SKIP_1) | instid1(VALU_DEP_2)
	v_mov_b32_e32 v149, v145
	v_pk_mul_f32 v[144:145], v[146:147], v[142:143] op_sel:[0,1]
	v_pk_add_f32 v[116:117], v[116:117], v[148:149] neg_lo:[0,1] neg_hi:[0,1]
	s_delay_alu instid0(VALU_DEP_2) | instskip(SKIP_1) | instid1(VALU_DEP_1)
	v_pk_fma_f32 v[148:149], v[146:147], v[140:141], v[144:145] op_sel:[0,0,1] op_sel_hi:[1,1,0] neg_lo:[0,0,1] neg_hi:[0,0,1]
	v_pk_fma_f32 v[144:145], v[146:147], v[140:141], v[144:145] op_sel:[0,0,1] op_sel_hi:[1,0,0]
	v_mov_b32_e32 v149, v145
	ds_load_2addr_b64 v[144:147], v208 offset0:31 offset1:32
	v_pk_add_f32 v[130:131], v[130:131], v[148:149] neg_lo:[0,1] neg_hi:[0,1]
	s_wait_dscnt 0x0
	v_pk_mul_f32 v[148:149], v[144:145], v[142:143] op_sel:[0,1]
	s_delay_alu instid0(VALU_DEP_1) | instskip(SKIP_1) | instid1(VALU_DEP_1)
	v_pk_fma_f32 v[150:151], v[144:145], v[140:141], v[148:149] op_sel:[0,0,1] op_sel_hi:[1,1,0] neg_lo:[0,0,1] neg_hi:[0,0,1]
	v_pk_fma_f32 v[144:145], v[144:145], v[140:141], v[148:149] op_sel:[0,0,1] op_sel_hi:[1,0,0]
	v_mov_b32_e32 v151, v145
	v_pk_mul_f32 v[144:145], v[146:147], v[142:143] op_sel:[0,1]
	s_delay_alu instid0(VALU_DEP_2) | instskip(NEXT) | instid1(VALU_DEP_2)
	v_pk_add_f32 v[122:123], v[122:123], v[150:151] neg_lo:[0,1] neg_hi:[0,1]
	v_pk_fma_f32 v[148:149], v[146:147], v[140:141], v[144:145] op_sel:[0,0,1] op_sel_hi:[1,1,0] neg_lo:[0,0,1] neg_hi:[0,0,1]
	v_pk_fma_f32 v[144:145], v[146:147], v[140:141], v[144:145] op_sel:[0,0,1] op_sel_hi:[1,0,0]
	s_delay_alu instid0(VALU_DEP_1) | instskip(SKIP_4) | instid1(VALU_DEP_1)
	v_mov_b32_e32 v149, v145
	ds_load_b64 v[144:145], v208 offset:264
	v_pk_add_f32 v[120:121], v[120:121], v[148:149] neg_lo:[0,1] neg_hi:[0,1]
	s_wait_dscnt 0x0
	v_pk_mul_f32 v[142:143], v[144:145], v[142:143] op_sel:[0,1]
	v_pk_fma_f32 v[146:147], v[144:145], v[140:141], v[142:143] op_sel:[0,0,1] op_sel_hi:[1,1,0] neg_lo:[0,0,1] neg_hi:[0,0,1]
	v_pk_fma_f32 v[140:141], v[144:145], v[140:141], v[142:143] op_sel:[0,0,1] op_sel_hi:[1,0,0]
	s_delay_alu instid0(VALU_DEP_1) | instskip(NEXT) | instid1(VALU_DEP_1)
	v_mov_b32_e32 v147, v141
	v_pk_add_f32 v[134:135], v[134:135], v[146:147] neg_lo:[0,1] neg_hi:[0,1]
.LBB67_10:
	s_or_b32 exec_lo, exec_lo, s2
	s_delay_alu instid0(SALU_CYCLE_1)
	s_mov_b32 s2, exec_lo
	s_wait_dscnt 0x0
	s_barrier_signal -1
	s_barrier_wait -1
	v_cmpx_eq_u32_e32 1, v206
	s_cbranch_execz .LBB67_17
; %bb.11:
	v_dual_mov_b32 v140, v44 :: v_dual_mov_b32 v141, v45
	v_dual_mov_b32 v142, v72 :: v_dual_mov_b32 v143, v73
	ds_store_b64 v207, v[54:55]
	ds_store_2addr_b64 v208, v[140:141], v[142:143] offset0:2 offset1:3
	v_dual_mov_b32 v140, v74 :: v_dual_mov_b32 v141, v75
	v_dual_mov_b32 v142, v24 :: v_dual_mov_b32 v143, v25
	ds_store_2addr_b64 v208, v[140:141], v[142:143] offset0:4 offset1:5
	v_dual_mov_b32 v140, v26 :: v_dual_mov_b32 v141, v27
	v_dual_mov_b32 v142, v22 :: v_dual_mov_b32 v143, v23
	;; [unrolled: 3-line block ×14, first 2 shown]
	ds_store_2addr_b64 v208, v[140:141], v[142:143] offset0:30 offset1:31
	v_dual_mov_b32 v140, v120 :: v_dual_mov_b32 v141, v121
	ds_store_2addr_b64 v208, v[140:141], v[134:135] offset0:32 offset1:33
	ds_load_b64 v[140:141], v207
	s_wait_dscnt 0x0
	v_cmp_neq_f32_e32 vcc_lo, 0, v140
	v_cmp_neq_f32_e64 s1, 0, v141
	s_or_b32 s1, vcc_lo, s1
	s_delay_alu instid0(SALU_CYCLE_1)
	s_and_b32 exec_lo, exec_lo, s1
	s_cbranch_execz .LBB67_17
; %bb.12:
	v_cmp_ngt_f32_e64 s1, |v140|, |v141|
                                        ; implicit-def: $vgpr142_vgpr143
	s_and_saveexec_b32 s4, s1
	s_delay_alu instid0(SALU_CYCLE_1)
	s_xor_b32 s1, exec_lo, s4
	s_cbranch_execz .LBB67_14
; %bb.13:
	v_div_scale_f32 v142, null, v141, v141, v140
	v_div_scale_f32 v145, vcc_lo, v140, v141, v140
	s_delay_alu instid0(VALU_DEP_2) | instskip(SKIP_1) | instid1(TRANS32_DEP_1)
	v_rcp_f32_e32 v143, v142
	v_nop
	v_fma_f32 v144, -v142, v143, 1.0
	s_delay_alu instid0(VALU_DEP_1) | instskip(NEXT) | instid1(VALU_DEP_1)
	v_fmac_f32_e32 v143, v144, v143
	v_mul_f32_e32 v144, v145, v143
	s_delay_alu instid0(VALU_DEP_1) | instskip(NEXT) | instid1(VALU_DEP_1)
	v_fma_f32 v146, -v142, v144, v145
	v_fmac_f32_e32 v144, v146, v143
	s_delay_alu instid0(VALU_DEP_1) | instskip(NEXT) | instid1(VALU_DEP_1)
	v_fma_f32 v142, -v142, v144, v145
	v_div_fmas_f32 v142, v142, v143, v144
	s_delay_alu instid0(VALU_DEP_1) | instskip(NEXT) | instid1(VALU_DEP_1)
	v_div_fixup_f32 v142, v142, v141, v140
	v_fmac_f32_e32 v141, v140, v142
	s_delay_alu instid0(VALU_DEP_1) | instskip(SKIP_1) | instid1(VALU_DEP_2)
	v_div_scale_f32 v140, null, v141, v141, 1.0
	v_div_scale_f32 v145, vcc_lo, 1.0, v141, 1.0
	v_rcp_f32_e32 v143, v140
	v_nop
	s_delay_alu instid0(TRANS32_DEP_1) | instskip(NEXT) | instid1(VALU_DEP_1)
	v_fma_f32 v144, -v140, v143, 1.0
	v_fmac_f32_e32 v143, v144, v143
	s_delay_alu instid0(VALU_DEP_1) | instskip(NEXT) | instid1(VALU_DEP_1)
	v_mul_f32_e32 v144, v145, v143
	v_fma_f32 v146, -v140, v144, v145
	s_delay_alu instid0(VALU_DEP_1) | instskip(NEXT) | instid1(VALU_DEP_1)
	v_fmac_f32_e32 v144, v146, v143
	v_fma_f32 v140, -v140, v144, v145
	s_delay_alu instid0(VALU_DEP_1) | instskip(NEXT) | instid1(VALU_DEP_1)
	v_div_fmas_f32 v140, v140, v143, v144
	v_div_fixup_f32 v140, v140, v141, 1.0
	s_delay_alu instid0(VALU_DEP_1)
	v_mul_f32_e32 v142, v142, v140
	v_xor_b32_e32 v143, 0x80000000, v140
                                        ; implicit-def: $vgpr140_vgpr141
.LBB67_14:
	s_and_not1_saveexec_b32 s1, s1
	s_cbranch_execz .LBB67_16
; %bb.15:
	v_div_scale_f32 v142, null, v140, v140, v141
	v_div_scale_f32 v145, vcc_lo, v141, v140, v141
	s_delay_alu instid0(VALU_DEP_2) | instskip(SKIP_1) | instid1(TRANS32_DEP_1)
	v_rcp_f32_e32 v143, v142
	v_nop
	v_fma_f32 v144, -v142, v143, 1.0
	s_delay_alu instid0(VALU_DEP_1) | instskip(NEXT) | instid1(VALU_DEP_1)
	v_fmac_f32_e32 v143, v144, v143
	v_mul_f32_e32 v144, v145, v143
	s_delay_alu instid0(VALU_DEP_1) | instskip(NEXT) | instid1(VALU_DEP_1)
	v_fma_f32 v146, -v142, v144, v145
	v_fmac_f32_e32 v144, v146, v143
	s_delay_alu instid0(VALU_DEP_1) | instskip(NEXT) | instid1(VALU_DEP_1)
	v_fma_f32 v142, -v142, v144, v145
	v_div_fmas_f32 v142, v142, v143, v144
	s_delay_alu instid0(VALU_DEP_1) | instskip(NEXT) | instid1(VALU_DEP_1)
	v_div_fixup_f32 v143, v142, v140, v141
	v_fmac_f32_e32 v140, v141, v143
	s_delay_alu instid0(VALU_DEP_1) | instskip(NEXT) | instid1(VALU_DEP_1)
	v_div_scale_f32 v141, null, v140, v140, 1.0
	v_rcp_f32_e32 v142, v141
	v_nop
	s_delay_alu instid0(TRANS32_DEP_1) | instskip(NEXT) | instid1(VALU_DEP_1)
	v_fma_f32 v144, -v141, v142, 1.0
	v_fmac_f32_e32 v142, v144, v142
	v_div_scale_f32 v144, vcc_lo, 1.0, v140, 1.0
	s_delay_alu instid0(VALU_DEP_1) | instskip(NEXT) | instid1(VALU_DEP_1)
	v_mul_f32_e32 v145, v144, v142
	v_fma_f32 v146, -v141, v145, v144
	s_delay_alu instid0(VALU_DEP_1) | instskip(NEXT) | instid1(VALU_DEP_1)
	v_fmac_f32_e32 v145, v146, v142
	v_fma_f32 v141, -v141, v145, v144
	s_delay_alu instid0(VALU_DEP_1) | instskip(NEXT) | instid1(VALU_DEP_1)
	v_div_fmas_f32 v141, v141, v142, v145
	v_div_fixup_f32 v142, v141, v140, 1.0
	s_delay_alu instid0(VALU_DEP_1)
	v_mul_f32_e64 v143, v143, -v142
.LBB67_16:
	s_or_b32 exec_lo, exec_lo, s1
	ds_store_b64 v207, v[142:143]
.LBB67_17:
	s_or_b32 exec_lo, exec_lo, s2
	s_wait_dscnt 0x0
	s_barrier_signal -1
	s_barrier_wait -1
	ds_load_b64 v[140:141], v207
	s_mov_b32 s1, exec_lo
	v_cmpx_lt_u32_e32 1, v206
	s_cbranch_execz .LBB67_19
; %bb.18:
	ds_load_2addr_b64 v[146:149], v208 offset0:2 offset1:3
	s_wait_dscnt 0x1
	v_pk_mul_f32 v[144:145], v[140:141], v[54:55] op_sel:[1,1] op_sel_hi:[0,1]
	s_delay_alu instid0(VALU_DEP_1) | instskip(SKIP_1) | instid1(VALU_DEP_1)
	v_pk_fma_f32 v[142:143], v[140:141], v[54:55], v[144:145] op_sel_hi:[1,0,1] neg_lo:[0,0,1] neg_hi:[0,0,1]
	v_pk_fma_f32 v[144:145], v[140:141], v[54:55], v[144:145] op_sel_hi:[1,0,1]
	v_dual_mov_b32 v54, v142 :: v_dual_mov_b32 v55, v145
	s_wait_dscnt 0x0
	s_delay_alu instid0(VALU_DEP_2) | instskip(NEXT) | instid1(VALU_DEP_1)
	v_pk_mul_f32 v[150:151], v[146:147], v[144:145] op_sel:[0,1]
	v_pk_fma_f32 v[152:153], v[146:147], v[142:143], v[150:151] op_sel:[0,0,1] op_sel_hi:[1,1,0] neg_lo:[0,0,1] neg_hi:[0,0,1]
	v_pk_fma_f32 v[146:147], v[146:147], v[142:143], v[150:151] op_sel:[0,0,1] op_sel_hi:[1,0,0]
	s_delay_alu instid0(VALU_DEP_1) | instskip(SKIP_1) | instid1(VALU_DEP_1)
	v_mov_b32_e32 v153, v147
	v_pk_mul_f32 v[146:147], v[148:149], v[144:145] op_sel:[0,1]
	v_pk_fma_f32 v[150:151], v[148:149], v[142:143], v[146:147] op_sel:[0,0,1] op_sel_hi:[1,1,0] neg_lo:[0,0,1] neg_hi:[0,0,1]
	v_pk_fma_f32 v[146:147], v[148:149], v[142:143], v[146:147] op_sel:[0,0,1] op_sel_hi:[1,0,0]
	s_delay_alu instid0(VALU_DEP_1)
	v_mov_b32_e32 v151, v147
	ds_load_2addr_b64 v[146:149], v208 offset0:4 offset1:5
	v_pk_add_f32 v[44:45], v[44:45], v[152:153] neg_lo:[0,1] neg_hi:[0,1]
	v_pk_add_f32 v[72:73], v[72:73], v[150:151] neg_lo:[0,1] neg_hi:[0,1]
	s_wait_dscnt 0x0
	v_pk_mul_f32 v[150:151], v[146:147], v[144:145] op_sel:[0,1]
	s_delay_alu instid0(VALU_DEP_1) | instskip(SKIP_2) | instid1(VALU_DEP_2)
	v_pk_fma_f32 v[152:153], v[146:147], v[142:143], v[150:151] op_sel:[0,0,1] op_sel_hi:[1,1,0] neg_lo:[0,0,1] neg_hi:[0,0,1]
	v_pk_fma_f32 v[146:147], v[146:147], v[142:143], v[150:151] op_sel:[0,0,1] op_sel_hi:[1,0,0]
	v_dual_mul_f32 v150, v149, v145 :: v_dual_mov_b32 v146, v149
	v_dual_mov_b32 v153, v147 :: v_dual_mov_b32 v147, v148
	s_delay_alu instid0(VALU_DEP_2) | instskip(SKIP_1) | instid1(VALU_DEP_3)
	v_pk_fma_f32 v[150:151], v[148:149], v[54:55], v[150:151] op_sel_hi:[1,1,0] neg_lo:[0,0,1] neg_hi:[0,0,1]
	v_mul_f32_e32 v148, v149, v142
	v_pk_add_f32 v[74:75], v[74:75], v[152:153] neg_lo:[0,1] neg_hi:[0,1]
	s_delay_alu instid0(VALU_DEP_2) | instskip(NEXT) | instid1(VALU_DEP_1)
	v_pk_fma_f32 v[146:147], v[146:147], v[54:55], v[148:149] op_sel_hi:[1,1,0]
	v_mov_b32_e32 v151, v147
	ds_load_2addr_b64 v[146:149], v208 offset0:6 offset1:7
	v_pk_add_f32 v[24:25], v[24:25], v[150:151] neg_lo:[0,1] neg_hi:[0,1]
	s_wait_dscnt 0x0
	v_pk_mul_f32 v[150:151], v[146:147], v[144:145] op_sel:[0,1]
	s_delay_alu instid0(VALU_DEP_1) | instskip(SKIP_1) | instid1(VALU_DEP_1)
	v_pk_fma_f32 v[152:153], v[146:147], v[142:143], v[150:151] op_sel:[0,0,1] op_sel_hi:[1,1,0] neg_lo:[0,0,1] neg_hi:[0,0,1]
	v_pk_fma_f32 v[146:147], v[146:147], v[142:143], v[150:151] op_sel:[0,0,1] op_sel_hi:[1,0,0]
	v_mov_b32_e32 v153, v147
	v_pk_mul_f32 v[146:147], v[148:149], v[144:145] op_sel:[0,1]
	s_delay_alu instid0(VALU_DEP_1) | instskip(SKIP_1) | instid1(VALU_DEP_1)
	v_pk_fma_f32 v[150:151], v[148:149], v[142:143], v[146:147] op_sel:[0,0,1] op_sel_hi:[1,1,0] neg_lo:[0,0,1] neg_hi:[0,0,1]
	v_pk_fma_f32 v[146:147], v[148:149], v[142:143], v[146:147] op_sel:[0,0,1] op_sel_hi:[1,0,0]
	v_mov_b32_e32 v151, v147
	ds_load_2addr_b64 v[146:149], v208 offset0:8 offset1:9
	v_pk_add_f32 v[26:27], v[26:27], v[152:153] neg_lo:[0,1] neg_hi:[0,1]
	v_pk_add_f32 v[22:23], v[22:23], v[150:151] neg_lo:[0,1] neg_hi:[0,1]
	s_wait_dscnt 0x0
	v_pk_mul_f32 v[150:151], v[146:147], v[144:145] op_sel:[0,1]
	s_delay_alu instid0(VALU_DEP_1) | instskip(SKIP_1) | instid1(VALU_DEP_1)
	v_pk_fma_f32 v[152:153], v[146:147], v[142:143], v[150:151] op_sel:[0,0,1] op_sel_hi:[1,1,0] neg_lo:[0,0,1] neg_hi:[0,0,1]
	v_pk_fma_f32 v[146:147], v[146:147], v[142:143], v[150:151] op_sel:[0,0,1] op_sel_hi:[1,0,0]
	v_mov_b32_e32 v153, v147
	v_pk_mul_f32 v[146:147], v[148:149], v[144:145] op_sel:[0,1]
	s_delay_alu instid0(VALU_DEP_1) | instskip(SKIP_1) | instid1(VALU_DEP_1)
	v_pk_fma_f32 v[150:151], v[148:149], v[142:143], v[146:147] op_sel:[0,0,1] op_sel_hi:[1,1,0] neg_lo:[0,0,1] neg_hi:[0,0,1]
	v_pk_fma_f32 v[146:147], v[148:149], v[142:143], v[146:147] op_sel:[0,0,1] op_sel_hi:[1,0,0]
	v_mov_b32_e32 v151, v147
	ds_load_2addr_b64 v[146:149], v208 offset0:10 offset1:11
	v_pk_add_f32 v[40:41], v[40:41], v[152:153] neg_lo:[0,1] neg_hi:[0,1]
	v_pk_add_f32 v[36:37], v[36:37], v[150:151] neg_lo:[0,1] neg_hi:[0,1]
	s_wait_dscnt 0x0
	v_dual_mul_f32 v150, v147, v145 :: v_dual_mul_f32 v152, v147, v142
	s_delay_alu instid0(VALU_DEP_1) | instskip(NEXT) | instid1(VALU_DEP_2)
	v_pk_fma_f32 v[150:151], v[146:147], v[54:55], v[150:151] op_sel_hi:[1,1,0] neg_lo:[0,0,1] neg_hi:[0,0,1]
	v_pk_fma_f32 v[146:147], v[146:147], v[54:55], v[152:153] op_sel:[1,0,0] op_sel_hi:[0,1,0]
	s_delay_alu instid0(VALU_DEP_1) | instskip(SKIP_1) | instid1(VALU_DEP_2)
	v_mov_b32_e32 v151, v147
	v_pk_mul_f32 v[146:147], v[148:149], v[144:145] op_sel:[0,1]
	v_pk_add_f32 v[38:39], v[38:39], v[150:151] neg_lo:[0,1] neg_hi:[0,1]
	s_delay_alu instid0(VALU_DEP_2) | instskip(SKIP_1) | instid1(VALU_DEP_1)
	v_pk_fma_f32 v[150:151], v[148:149], v[142:143], v[146:147] op_sel:[0,0,1] op_sel_hi:[1,1,0] neg_lo:[0,0,1] neg_hi:[0,0,1]
	v_pk_fma_f32 v[146:147], v[148:149], v[142:143], v[146:147] op_sel:[0,0,1] op_sel_hi:[1,0,0]
	v_mov_b32_e32 v151, v147
	ds_load_2addr_b64 v[146:149], v208 offset0:12 offset1:13
	v_pk_add_f32 v[34:35], v[34:35], v[150:151] neg_lo:[0,1] neg_hi:[0,1]
	s_wait_dscnt 0x0
	v_pk_mul_f32 v[150:151], v[146:147], v[144:145] op_sel:[0,1]
	s_delay_alu instid0(VALU_DEP_1) | instskip(SKIP_1) | instid1(VALU_DEP_1)
	v_pk_fma_f32 v[152:153], v[146:147], v[142:143], v[150:151] op_sel:[0,0,1] op_sel_hi:[1,1,0] neg_lo:[0,0,1] neg_hi:[0,0,1]
	v_pk_fma_f32 v[146:147], v[146:147], v[142:143], v[150:151] op_sel:[0,0,1] op_sel_hi:[1,0,0]
	v_mov_b32_e32 v153, v147
	v_pk_mul_f32 v[146:147], v[148:149], v[144:145] op_sel:[0,1]
	s_delay_alu instid0(VALU_DEP_2) | instskip(NEXT) | instid1(VALU_DEP_2)
	v_pk_add_f32 v[62:63], v[62:63], v[152:153] neg_lo:[0,1] neg_hi:[0,1]
	v_pk_fma_f32 v[150:151], v[148:149], v[142:143], v[146:147] op_sel:[0,0,1] op_sel_hi:[1,1,0] neg_lo:[0,0,1] neg_hi:[0,0,1]
	v_pk_fma_f32 v[146:147], v[148:149], v[142:143], v[146:147] op_sel:[0,0,1] op_sel_hi:[1,0,0]
	s_delay_alu instid0(VALU_DEP_1) | instskip(SKIP_4) | instid1(VALU_DEP_1)
	v_mov_b32_e32 v151, v147
	ds_load_2addr_b64 v[146:149], v208 offset0:14 offset1:15
	v_pk_add_f32 v[58:59], v[58:59], v[150:151] neg_lo:[0,1] neg_hi:[0,1]
	s_wait_dscnt 0x0
	v_pk_mul_f32 v[150:151], v[146:147], v[144:145] op_sel:[0,1]
	v_pk_fma_f32 v[152:153], v[146:147], v[142:143], v[150:151] op_sel:[0,0,1] op_sel_hi:[1,1,0] neg_lo:[0,0,1] neg_hi:[0,0,1]
	v_pk_fma_f32 v[146:147], v[146:147], v[142:143], v[150:151] op_sel:[0,0,1] op_sel_hi:[1,0,0]
	v_dual_mul_f32 v150, v149, v145 :: v_dual_mov_b32 v146, v149
	s_delay_alu instid0(VALU_DEP_2) | instskip(NEXT) | instid1(VALU_DEP_2)
	v_dual_mov_b32 v153, v147 :: v_dual_mov_b32 v147, v148
	v_pk_fma_f32 v[150:151], v[148:149], v[54:55], v[150:151] op_sel_hi:[1,1,0] neg_lo:[0,0,1] neg_hi:[0,0,1]
	v_mul_f32_e32 v148, v149, v142
	s_delay_alu instid0(VALU_DEP_3) | instskip(NEXT) | instid1(VALU_DEP_2)
	v_pk_add_f32 v[60:61], v[60:61], v[152:153] neg_lo:[0,1] neg_hi:[0,1]
	v_pk_fma_f32 v[146:147], v[146:147], v[54:55], v[148:149] op_sel_hi:[1,1,0]
	s_delay_alu instid0(VALU_DEP_1) | instskip(SKIP_4) | instid1(VALU_DEP_1)
	v_mov_b32_e32 v151, v147
	ds_load_2addr_b64 v[146:149], v208 offset0:16 offset1:17
	v_pk_add_f32 v[56:57], v[56:57], v[150:151] neg_lo:[0,1] neg_hi:[0,1]
	s_wait_dscnt 0x0
	v_pk_mul_f32 v[150:151], v[146:147], v[144:145] op_sel:[0,1]
	v_pk_fma_f32 v[152:153], v[146:147], v[142:143], v[150:151] op_sel:[0,0,1] op_sel_hi:[1,1,0] neg_lo:[0,0,1] neg_hi:[0,0,1]
	v_pk_fma_f32 v[146:147], v[146:147], v[142:143], v[150:151] op_sel:[0,0,1] op_sel_hi:[1,0,0]
	s_delay_alu instid0(VALU_DEP_1) | instskip(SKIP_1) | instid1(VALU_DEP_1)
	v_mov_b32_e32 v153, v147
	v_pk_mul_f32 v[146:147], v[148:149], v[144:145] op_sel:[0,1]
	v_pk_fma_f32 v[150:151], v[148:149], v[142:143], v[146:147] op_sel:[0,0,1] op_sel_hi:[1,1,0] neg_lo:[0,0,1] neg_hi:[0,0,1]
	v_pk_fma_f32 v[146:147], v[148:149], v[142:143], v[146:147] op_sel:[0,0,1] op_sel_hi:[1,0,0]
	s_delay_alu instid0(VALU_DEP_1)
	v_mov_b32_e32 v151, v147
	ds_load_2addr_b64 v[146:149], v208 offset0:18 offset1:19
	v_pk_add_f32 v[80:81], v[80:81], v[152:153] neg_lo:[0,1] neg_hi:[0,1]
	v_pk_add_f32 v[76:77], v[76:77], v[150:151] neg_lo:[0,1] neg_hi:[0,1]
	s_wait_dscnt 0x0
	v_pk_mul_f32 v[150:151], v[146:147], v[144:145] op_sel:[0,1]
	s_delay_alu instid0(VALU_DEP_1) | instskip(SKIP_1) | instid1(VALU_DEP_1)
	v_pk_fma_f32 v[152:153], v[146:147], v[142:143], v[150:151] op_sel:[0,0,1] op_sel_hi:[1,1,0] neg_lo:[0,0,1] neg_hi:[0,0,1]
	v_pk_fma_f32 v[146:147], v[146:147], v[142:143], v[150:151] op_sel:[0,0,1] op_sel_hi:[1,0,0]
	v_mov_b32_e32 v153, v147
	v_pk_mul_f32 v[146:147], v[148:149], v[144:145] op_sel:[0,1]
	s_delay_alu instid0(VALU_DEP_1) | instskip(SKIP_1) | instid1(VALU_DEP_1)
	v_pk_fma_f32 v[150:151], v[148:149], v[142:143], v[146:147] op_sel:[0,0,1] op_sel_hi:[1,1,0] neg_lo:[0,0,1] neg_hi:[0,0,1]
	v_pk_fma_f32 v[146:147], v[148:149], v[142:143], v[146:147] op_sel:[0,0,1] op_sel_hi:[1,0,0]
	v_mov_b32_e32 v151, v147
	ds_load_2addr_b64 v[146:149], v208 offset0:20 offset1:21
	v_pk_add_f32 v[78:79], v[78:79], v[152:153] neg_lo:[0,1] neg_hi:[0,1]
	v_pk_add_f32 v[114:115], v[114:115], v[150:151] neg_lo:[0,1] neg_hi:[0,1]
	s_wait_dscnt 0x0
	v_dual_mul_f32 v150, v147, v145 :: v_dual_mul_f32 v152, v147, v142
	s_delay_alu instid0(VALU_DEP_1) | instskip(NEXT) | instid1(VALU_DEP_2)
	v_pk_fma_f32 v[150:151], v[146:147], v[54:55], v[150:151] op_sel_hi:[1,1,0] neg_lo:[0,0,1] neg_hi:[0,0,1]
	v_pk_fma_f32 v[146:147], v[146:147], v[54:55], v[152:153] op_sel:[1,0,0] op_sel_hi:[0,1,0]
	s_delay_alu instid0(VALU_DEP_1) | instskip(SKIP_1) | instid1(VALU_DEP_2)
	v_mov_b32_e32 v151, v147
	v_pk_mul_f32 v[146:147], v[148:149], v[144:145] op_sel:[0,1]
	v_pk_add_f32 v[128:129], v[128:129], v[150:151] neg_lo:[0,1] neg_hi:[0,1]
	s_delay_alu instid0(VALU_DEP_2) | instskip(SKIP_1) | instid1(VALU_DEP_1)
	v_pk_fma_f32 v[150:151], v[148:149], v[142:143], v[146:147] op_sel:[0,0,1] op_sel_hi:[1,1,0] neg_lo:[0,0,1] neg_hi:[0,0,1]
	v_pk_fma_f32 v[146:147], v[148:149], v[142:143], v[146:147] op_sel:[0,0,1] op_sel_hi:[1,0,0]
	v_mov_b32_e32 v151, v147
	ds_load_2addr_b64 v[146:149], v208 offset0:22 offset1:23
	v_pk_add_f32 v[126:127], v[126:127], v[150:151] neg_lo:[0,1] neg_hi:[0,1]
	s_wait_dscnt 0x0
	v_pk_mul_f32 v[150:151], v[146:147], v[144:145] op_sel:[0,1]
	s_delay_alu instid0(VALU_DEP_1) | instskip(SKIP_1) | instid1(VALU_DEP_1)
	v_pk_fma_f32 v[152:153], v[146:147], v[142:143], v[150:151] op_sel:[0,0,1] op_sel_hi:[1,1,0] neg_lo:[0,0,1] neg_hi:[0,0,1]
	v_pk_fma_f32 v[146:147], v[146:147], v[142:143], v[150:151] op_sel:[0,0,1] op_sel_hi:[1,0,0]
	v_mov_b32_e32 v153, v147
	v_pk_mul_f32 v[146:147], v[148:149], v[144:145] op_sel:[0,1]
	s_delay_alu instid0(VALU_DEP_2) | instskip(NEXT) | instid1(VALU_DEP_2)
	v_pk_add_f32 v[136:137], v[136:137], v[152:153] neg_lo:[0,1] neg_hi:[0,1]
	v_pk_fma_f32 v[150:151], v[148:149], v[142:143], v[146:147] op_sel:[0,0,1] op_sel_hi:[1,1,0] neg_lo:[0,0,1] neg_hi:[0,0,1]
	v_pk_fma_f32 v[146:147], v[148:149], v[142:143], v[146:147] op_sel:[0,0,1] op_sel_hi:[1,0,0]
	s_delay_alu instid0(VALU_DEP_1) | instskip(SKIP_4) | instid1(VALU_DEP_1)
	v_mov_b32_e32 v151, v147
	ds_load_2addr_b64 v[146:149], v208 offset0:24 offset1:25
	v_pk_add_f32 v[124:125], v[124:125], v[150:151] neg_lo:[0,1] neg_hi:[0,1]
	s_wait_dscnt 0x0
	v_pk_mul_f32 v[150:151], v[146:147], v[144:145] op_sel:[0,1]
	v_pk_fma_f32 v[152:153], v[146:147], v[142:143], v[150:151] op_sel:[0,0,1] op_sel_hi:[1,1,0] neg_lo:[0,0,1] neg_hi:[0,0,1]
	v_pk_fma_f32 v[146:147], v[146:147], v[142:143], v[150:151] op_sel:[0,0,1] op_sel_hi:[1,0,0]
	v_dual_mul_f32 v150, v149, v145 :: v_dual_mov_b32 v146, v149
	s_delay_alu instid0(VALU_DEP_2) | instskip(NEXT) | instid1(VALU_DEP_2)
	v_dual_mov_b32 v153, v147 :: v_dual_mov_b32 v147, v148
	v_pk_fma_f32 v[150:151], v[148:149], v[54:55], v[150:151] op_sel_hi:[1,1,0] neg_lo:[0,0,1] neg_hi:[0,0,1]
	v_mul_f32_e32 v148, v149, v142
	s_delay_alu instid0(VALU_DEP_3) | instskip(NEXT) | instid1(VALU_DEP_2)
	v_pk_add_f32 v[132:133], v[132:133], v[152:153] neg_lo:[0,1] neg_hi:[0,1]
	v_pk_fma_f32 v[146:147], v[146:147], v[54:55], v[148:149] op_sel_hi:[1,1,0]
	s_delay_alu instid0(VALU_DEP_1) | instskip(SKIP_4) | instid1(VALU_DEP_1)
	v_mov_b32_e32 v151, v147
	ds_load_2addr_b64 v[146:149], v208 offset0:26 offset1:27
	v_pk_add_f32 v[102:103], v[102:103], v[150:151] neg_lo:[0,1] neg_hi:[0,1]
	s_wait_dscnt 0x0
	v_pk_mul_f32 v[150:151], v[146:147], v[144:145] op_sel:[0,1]
	v_pk_fma_f32 v[152:153], v[146:147], v[142:143], v[150:151] op_sel:[0,0,1] op_sel_hi:[1,1,0] neg_lo:[0,0,1] neg_hi:[0,0,1]
	v_pk_fma_f32 v[146:147], v[146:147], v[142:143], v[150:151] op_sel:[0,0,1] op_sel_hi:[1,0,0]
	s_delay_alu instid0(VALU_DEP_1) | instskip(SKIP_1) | instid1(VALU_DEP_1)
	v_mov_b32_e32 v153, v147
	v_pk_mul_f32 v[146:147], v[148:149], v[144:145] op_sel:[0,1]
	v_pk_fma_f32 v[150:151], v[148:149], v[142:143], v[146:147] op_sel:[0,0,1] op_sel_hi:[1,1,0] neg_lo:[0,0,1] neg_hi:[0,0,1]
	v_pk_fma_f32 v[146:147], v[148:149], v[142:143], v[146:147] op_sel:[0,0,1] op_sel_hi:[1,0,0]
	s_delay_alu instid0(VALU_DEP_1)
	v_mov_b32_e32 v151, v147
	ds_load_2addr_b64 v[146:149], v208 offset0:28 offset1:29
	v_pk_add_f32 v[104:105], v[104:105], v[152:153] neg_lo:[0,1] neg_hi:[0,1]
	v_pk_add_f32 v[100:101], v[100:101], v[150:151] neg_lo:[0,1] neg_hi:[0,1]
	s_wait_dscnt 0x0
	v_pk_mul_f32 v[150:151], v[146:147], v[144:145] op_sel:[0,1]
	s_delay_alu instid0(VALU_DEP_1) | instskip(SKIP_1) | instid1(VALU_DEP_1)
	v_pk_fma_f32 v[152:153], v[146:147], v[142:143], v[150:151] op_sel:[0,0,1] op_sel_hi:[1,1,0] neg_lo:[0,0,1] neg_hi:[0,0,1]
	v_pk_fma_f32 v[146:147], v[146:147], v[142:143], v[150:151] op_sel:[0,0,1] op_sel_hi:[1,0,0]
	v_mov_b32_e32 v153, v147
	v_pk_mul_f32 v[146:147], v[148:149], v[144:145] op_sel:[0,1]
	s_delay_alu instid0(VALU_DEP_1) | instskip(SKIP_1) | instid1(VALU_DEP_1)
	v_pk_fma_f32 v[150:151], v[148:149], v[142:143], v[146:147] op_sel:[0,0,1] op_sel_hi:[1,1,0] neg_lo:[0,0,1] neg_hi:[0,0,1]
	v_pk_fma_f32 v[146:147], v[148:149], v[142:143], v[146:147] op_sel:[0,0,1] op_sel_hi:[1,0,0]
	v_mov_b32_e32 v151, v147
	ds_load_2addr_b64 v[146:149], v208 offset0:30 offset1:31
	v_pk_add_f32 v[118:119], v[118:119], v[152:153] neg_lo:[0,1] neg_hi:[0,1]
	v_pk_add_f32 v[116:117], v[116:117], v[150:151] neg_lo:[0,1] neg_hi:[0,1]
	s_wait_dscnt 0x0
	v_dual_mul_f32 v150, v147, v145 :: v_dual_mul_f32 v152, v147, v142
	s_delay_alu instid0(VALU_DEP_1) | instskip(NEXT) | instid1(VALU_DEP_2)
	v_pk_fma_f32 v[150:151], v[146:147], v[54:55], v[150:151] op_sel_hi:[1,1,0] neg_lo:[0,0,1] neg_hi:[0,0,1]
	v_pk_fma_f32 v[146:147], v[146:147], v[54:55], v[152:153] op_sel:[1,0,0] op_sel_hi:[0,1,0]
	s_delay_alu instid0(VALU_DEP_1) | instskip(SKIP_1) | instid1(VALU_DEP_2)
	v_mov_b32_e32 v151, v147
	v_pk_mul_f32 v[146:147], v[148:149], v[144:145] op_sel:[0,1]
	v_pk_add_f32 v[130:131], v[130:131], v[150:151] neg_lo:[0,1] neg_hi:[0,1]
	s_delay_alu instid0(VALU_DEP_2) | instskip(SKIP_1) | instid1(VALU_DEP_1)
	v_pk_fma_f32 v[150:151], v[148:149], v[142:143], v[146:147] op_sel:[0,0,1] op_sel_hi:[1,1,0] neg_lo:[0,0,1] neg_hi:[0,0,1]
	v_pk_fma_f32 v[146:147], v[148:149], v[142:143], v[146:147] op_sel:[0,0,1] op_sel_hi:[1,0,0]
	v_mov_b32_e32 v151, v147
	ds_load_2addr_b64 v[146:149], v208 offset0:32 offset1:33
	v_pk_add_f32 v[122:123], v[122:123], v[150:151] neg_lo:[0,1] neg_hi:[0,1]
	s_wait_dscnt 0x0
	v_pk_mul_f32 v[150:151], v[146:147], v[144:145] op_sel:[0,1]
	v_pk_mul_f32 v[144:145], v[148:149], v[144:145] op_sel:[0,1]
	s_delay_alu instid0(VALU_DEP_2) | instskip(SKIP_1) | instid1(VALU_DEP_1)
	v_pk_fma_f32 v[152:153], v[146:147], v[142:143], v[150:151] op_sel:[0,0,1] op_sel_hi:[1,1,0] neg_lo:[0,0,1] neg_hi:[0,0,1]
	v_pk_fma_f32 v[146:147], v[146:147], v[142:143], v[150:151] op_sel:[0,0,1] op_sel_hi:[1,0,0]
	v_mov_b32_e32 v153, v147
	s_delay_alu instid0(VALU_DEP_4) | instskip(SKIP_1) | instid1(VALU_DEP_3)
	v_pk_fma_f32 v[146:147], v[148:149], v[142:143], v[144:145] op_sel:[0,0,1] op_sel_hi:[1,1,0] neg_lo:[0,0,1] neg_hi:[0,0,1]
	v_pk_fma_f32 v[142:143], v[148:149], v[142:143], v[144:145] op_sel:[0,0,1] op_sel_hi:[1,0,0]
	v_pk_add_f32 v[120:121], v[120:121], v[152:153] neg_lo:[0,1] neg_hi:[0,1]
	s_delay_alu instid0(VALU_DEP_2) | instskip(NEXT) | instid1(VALU_DEP_1)
	v_mov_b32_e32 v147, v143
	v_pk_add_f32 v[134:135], v[134:135], v[146:147] neg_lo:[0,1] neg_hi:[0,1]
.LBB67_19:
	s_or_b32 exec_lo, exec_lo, s1
	s_delay_alu instid0(SALU_CYCLE_1)
	s_mov_b32 s2, exec_lo
	s_wait_dscnt 0x0
	s_barrier_signal -1
	s_barrier_wait -1
	v_cmpx_eq_u32_e32 2, v206
	s_cbranch_execz .LBB67_26
; %bb.20:
	ds_store_b64 v207, v[44:45]
	ds_store_2addr_b64 v208, v[72:73], v[74:75] offset0:3 offset1:4
	ds_store_2addr_b64 v208, v[24:25], v[26:27] offset0:5 offset1:6
	;; [unrolled: 1-line block ×15, first 2 shown]
	ds_store_b64 v208, v[134:135] offset:264
	ds_load_b64 v[142:143], v207
	s_wait_dscnt 0x0
	v_cmp_neq_f32_e32 vcc_lo, 0, v142
	v_cmp_neq_f32_e64 s1, 0, v143
	s_or_b32 s1, vcc_lo, s1
	s_delay_alu instid0(SALU_CYCLE_1)
	s_and_b32 exec_lo, exec_lo, s1
	s_cbranch_execz .LBB67_26
; %bb.21:
	v_cmp_ngt_f32_e64 s1, |v142|, |v143|
                                        ; implicit-def: $vgpr144_vgpr145
	s_and_saveexec_b32 s4, s1
	s_delay_alu instid0(SALU_CYCLE_1)
	s_xor_b32 s1, exec_lo, s4
	s_cbranch_execz .LBB67_23
; %bb.22:
	v_div_scale_f32 v144, null, v143, v143, v142
	v_div_scale_f32 v147, vcc_lo, v142, v143, v142
	s_delay_alu instid0(VALU_DEP_2) | instskip(SKIP_1) | instid1(TRANS32_DEP_1)
	v_rcp_f32_e32 v145, v144
	v_nop
	v_fma_f32 v146, -v144, v145, 1.0
	s_delay_alu instid0(VALU_DEP_1) | instskip(NEXT) | instid1(VALU_DEP_1)
	v_fmac_f32_e32 v145, v146, v145
	v_mul_f32_e32 v146, v147, v145
	s_delay_alu instid0(VALU_DEP_1) | instskip(NEXT) | instid1(VALU_DEP_1)
	v_fma_f32 v148, -v144, v146, v147
	v_fmac_f32_e32 v146, v148, v145
	s_delay_alu instid0(VALU_DEP_1) | instskip(NEXT) | instid1(VALU_DEP_1)
	v_fma_f32 v144, -v144, v146, v147
	v_div_fmas_f32 v144, v144, v145, v146
	s_delay_alu instid0(VALU_DEP_1) | instskip(NEXT) | instid1(VALU_DEP_1)
	v_div_fixup_f32 v144, v144, v143, v142
	v_fmac_f32_e32 v143, v142, v144
	s_delay_alu instid0(VALU_DEP_1) | instskip(SKIP_1) | instid1(VALU_DEP_2)
	v_div_scale_f32 v142, null, v143, v143, 1.0
	v_div_scale_f32 v147, vcc_lo, 1.0, v143, 1.0
	v_rcp_f32_e32 v145, v142
	v_nop
	s_delay_alu instid0(TRANS32_DEP_1) | instskip(NEXT) | instid1(VALU_DEP_1)
	v_fma_f32 v146, -v142, v145, 1.0
	v_fmac_f32_e32 v145, v146, v145
	s_delay_alu instid0(VALU_DEP_1) | instskip(NEXT) | instid1(VALU_DEP_1)
	v_mul_f32_e32 v146, v147, v145
	v_fma_f32 v148, -v142, v146, v147
	s_delay_alu instid0(VALU_DEP_1) | instskip(NEXT) | instid1(VALU_DEP_1)
	v_fmac_f32_e32 v146, v148, v145
	v_fma_f32 v142, -v142, v146, v147
	s_delay_alu instid0(VALU_DEP_1) | instskip(NEXT) | instid1(VALU_DEP_1)
	v_div_fmas_f32 v142, v142, v145, v146
	v_div_fixup_f32 v142, v142, v143, 1.0
	s_delay_alu instid0(VALU_DEP_1)
	v_mul_f32_e32 v144, v144, v142
	v_xor_b32_e32 v145, 0x80000000, v142
                                        ; implicit-def: $vgpr142_vgpr143
.LBB67_23:
	s_and_not1_saveexec_b32 s1, s1
	s_cbranch_execz .LBB67_25
; %bb.24:
	v_div_scale_f32 v144, null, v142, v142, v143
	v_div_scale_f32 v147, vcc_lo, v143, v142, v143
	s_delay_alu instid0(VALU_DEP_2) | instskip(SKIP_1) | instid1(TRANS32_DEP_1)
	v_rcp_f32_e32 v145, v144
	v_nop
	v_fma_f32 v146, -v144, v145, 1.0
	s_delay_alu instid0(VALU_DEP_1) | instskip(NEXT) | instid1(VALU_DEP_1)
	v_fmac_f32_e32 v145, v146, v145
	v_mul_f32_e32 v146, v147, v145
	s_delay_alu instid0(VALU_DEP_1) | instskip(NEXT) | instid1(VALU_DEP_1)
	v_fma_f32 v148, -v144, v146, v147
	v_fmac_f32_e32 v146, v148, v145
	s_delay_alu instid0(VALU_DEP_1) | instskip(NEXT) | instid1(VALU_DEP_1)
	v_fma_f32 v144, -v144, v146, v147
	v_div_fmas_f32 v144, v144, v145, v146
	s_delay_alu instid0(VALU_DEP_1) | instskip(NEXT) | instid1(VALU_DEP_1)
	v_div_fixup_f32 v145, v144, v142, v143
	v_fmac_f32_e32 v142, v143, v145
	s_delay_alu instid0(VALU_DEP_1) | instskip(NEXT) | instid1(VALU_DEP_1)
	v_div_scale_f32 v143, null, v142, v142, 1.0
	v_rcp_f32_e32 v144, v143
	v_nop
	s_delay_alu instid0(TRANS32_DEP_1) | instskip(NEXT) | instid1(VALU_DEP_1)
	v_fma_f32 v146, -v143, v144, 1.0
	v_fmac_f32_e32 v144, v146, v144
	v_div_scale_f32 v146, vcc_lo, 1.0, v142, 1.0
	s_delay_alu instid0(VALU_DEP_1) | instskip(NEXT) | instid1(VALU_DEP_1)
	v_mul_f32_e32 v147, v146, v144
	v_fma_f32 v148, -v143, v147, v146
	s_delay_alu instid0(VALU_DEP_1) | instskip(NEXT) | instid1(VALU_DEP_1)
	v_fmac_f32_e32 v147, v148, v144
	v_fma_f32 v143, -v143, v147, v146
	s_delay_alu instid0(VALU_DEP_1) | instskip(NEXT) | instid1(VALU_DEP_1)
	v_div_fmas_f32 v143, v143, v144, v147
	v_div_fixup_f32 v144, v143, v142, 1.0
	s_delay_alu instid0(VALU_DEP_1)
	v_mul_f32_e64 v145, v145, -v144
.LBB67_25:
	s_or_b32 exec_lo, exec_lo, s1
	ds_store_b64 v207, v[144:145]
.LBB67_26:
	s_or_b32 exec_lo, exec_lo, s2
	s_wait_dscnt 0x0
	s_barrier_signal -1
	s_barrier_wait -1
	ds_load_b64 v[142:143], v207
	s_mov_b32 s1, exec_lo
	v_cmpx_lt_u32_e32 2, v206
	s_cbranch_execz .LBB67_28
; %bb.27:
	ds_load_2addr_b64 v[148:151], v208 offset0:3 offset1:4
	s_wait_dscnt 0x1
	v_pk_mul_f32 v[146:147], v[142:143], v[44:45] op_sel:[1,1] op_sel_hi:[0,1]
	s_delay_alu instid0(VALU_DEP_1) | instskip(SKIP_1) | instid1(VALU_DEP_1)
	v_pk_fma_f32 v[144:145], v[142:143], v[44:45], v[146:147] op_sel_hi:[1,0,1] neg_lo:[0,0,1] neg_hi:[0,0,1]
	v_pk_fma_f32 v[146:147], v[142:143], v[44:45], v[146:147] op_sel_hi:[1,0,1]
	v_dual_mov_b32 v44, v144 :: v_dual_mov_b32 v45, v147
	s_wait_dscnt 0x0
	s_delay_alu instid0(VALU_DEP_2) | instskip(NEXT) | instid1(VALU_DEP_1)
	v_pk_mul_f32 v[152:153], v[148:149], v[146:147] op_sel:[0,1]
	v_pk_fma_f32 v[154:155], v[148:149], v[144:145], v[152:153] op_sel:[0,0,1] op_sel_hi:[1,1,0] neg_lo:[0,0,1] neg_hi:[0,0,1]
	v_pk_fma_f32 v[148:149], v[148:149], v[144:145], v[152:153] op_sel:[0,0,1] op_sel_hi:[1,0,0]
	s_delay_alu instid0(VALU_DEP_1) | instskip(SKIP_1) | instid1(VALU_DEP_1)
	v_mov_b32_e32 v155, v149
	v_pk_mul_f32 v[148:149], v[150:151], v[146:147] op_sel:[0,1]
	v_pk_fma_f32 v[152:153], v[150:151], v[144:145], v[148:149] op_sel:[0,0,1] op_sel_hi:[1,1,0] neg_lo:[0,0,1] neg_hi:[0,0,1]
	v_pk_fma_f32 v[148:149], v[150:151], v[144:145], v[148:149] op_sel:[0,0,1] op_sel_hi:[1,0,0]
	s_delay_alu instid0(VALU_DEP_1)
	v_mov_b32_e32 v153, v149
	ds_load_2addr_b64 v[148:151], v208 offset0:5 offset1:6
	v_pk_add_f32 v[72:73], v[72:73], v[154:155] neg_lo:[0,1] neg_hi:[0,1]
	v_pk_add_f32 v[74:75], v[74:75], v[152:153] neg_lo:[0,1] neg_hi:[0,1]
	s_wait_dscnt 0x0
	v_pk_mul_f32 v[152:153], v[148:149], v[146:147] op_sel:[0,1]
	s_delay_alu instid0(VALU_DEP_1) | instskip(SKIP_2) | instid1(VALU_DEP_2)
	v_pk_fma_f32 v[154:155], v[148:149], v[144:145], v[152:153] op_sel:[0,0,1] op_sel_hi:[1,1,0] neg_lo:[0,0,1] neg_hi:[0,0,1]
	v_pk_fma_f32 v[148:149], v[148:149], v[144:145], v[152:153] op_sel:[0,0,1] op_sel_hi:[1,0,0]
	v_dual_mul_f32 v152, v151, v147 :: v_dual_mov_b32 v148, v151
	v_dual_mov_b32 v155, v149 :: v_dual_mov_b32 v149, v150
	s_delay_alu instid0(VALU_DEP_2) | instskip(SKIP_1) | instid1(VALU_DEP_3)
	v_pk_fma_f32 v[152:153], v[150:151], v[44:45], v[152:153] op_sel_hi:[1,1,0] neg_lo:[0,0,1] neg_hi:[0,0,1]
	v_mul_f32_e32 v150, v151, v144
	v_pk_add_f32 v[24:25], v[24:25], v[154:155] neg_lo:[0,1] neg_hi:[0,1]
	s_delay_alu instid0(VALU_DEP_2) | instskip(NEXT) | instid1(VALU_DEP_1)
	v_pk_fma_f32 v[148:149], v[148:149], v[44:45], v[150:151] op_sel_hi:[1,1,0]
	v_mov_b32_e32 v153, v149
	ds_load_2addr_b64 v[148:151], v208 offset0:7 offset1:8
	v_pk_add_f32 v[26:27], v[26:27], v[152:153] neg_lo:[0,1] neg_hi:[0,1]
	s_wait_dscnt 0x0
	v_pk_mul_f32 v[152:153], v[148:149], v[146:147] op_sel:[0,1]
	s_delay_alu instid0(VALU_DEP_1) | instskip(SKIP_1) | instid1(VALU_DEP_1)
	v_pk_fma_f32 v[154:155], v[148:149], v[144:145], v[152:153] op_sel:[0,0,1] op_sel_hi:[1,1,0] neg_lo:[0,0,1] neg_hi:[0,0,1]
	v_pk_fma_f32 v[148:149], v[148:149], v[144:145], v[152:153] op_sel:[0,0,1] op_sel_hi:[1,0,0]
	v_mov_b32_e32 v155, v149
	v_pk_mul_f32 v[148:149], v[150:151], v[146:147] op_sel:[0,1]
	s_delay_alu instid0(VALU_DEP_1) | instskip(SKIP_1) | instid1(VALU_DEP_1)
	v_pk_fma_f32 v[152:153], v[150:151], v[144:145], v[148:149] op_sel:[0,0,1] op_sel_hi:[1,1,0] neg_lo:[0,0,1] neg_hi:[0,0,1]
	v_pk_fma_f32 v[148:149], v[150:151], v[144:145], v[148:149] op_sel:[0,0,1] op_sel_hi:[1,0,0]
	v_mov_b32_e32 v153, v149
	ds_load_2addr_b64 v[148:151], v208 offset0:9 offset1:10
	v_pk_add_f32 v[22:23], v[22:23], v[154:155] neg_lo:[0,1] neg_hi:[0,1]
	v_pk_add_f32 v[40:41], v[40:41], v[152:153] neg_lo:[0,1] neg_hi:[0,1]
	s_wait_dscnt 0x0
	v_pk_mul_f32 v[152:153], v[148:149], v[146:147] op_sel:[0,1]
	s_delay_alu instid0(VALU_DEP_1) | instskip(SKIP_1) | instid1(VALU_DEP_1)
	v_pk_fma_f32 v[154:155], v[148:149], v[144:145], v[152:153] op_sel:[0,0,1] op_sel_hi:[1,1,0] neg_lo:[0,0,1] neg_hi:[0,0,1]
	v_pk_fma_f32 v[148:149], v[148:149], v[144:145], v[152:153] op_sel:[0,0,1] op_sel_hi:[1,0,0]
	v_mov_b32_e32 v155, v149
	v_pk_mul_f32 v[148:149], v[150:151], v[146:147] op_sel:[0,1]
	s_delay_alu instid0(VALU_DEP_1) | instskip(SKIP_1) | instid1(VALU_DEP_1)
	v_pk_fma_f32 v[152:153], v[150:151], v[144:145], v[148:149] op_sel:[0,0,1] op_sel_hi:[1,1,0] neg_lo:[0,0,1] neg_hi:[0,0,1]
	v_pk_fma_f32 v[148:149], v[150:151], v[144:145], v[148:149] op_sel:[0,0,1] op_sel_hi:[1,0,0]
	v_mov_b32_e32 v153, v149
	ds_load_2addr_b64 v[148:151], v208 offset0:11 offset1:12
	v_pk_add_f32 v[36:37], v[36:37], v[154:155] neg_lo:[0,1] neg_hi:[0,1]
	v_pk_add_f32 v[38:39], v[38:39], v[152:153] neg_lo:[0,1] neg_hi:[0,1]
	s_wait_dscnt 0x0
	v_dual_mul_f32 v152, v149, v147 :: v_dual_mul_f32 v154, v149, v144
	s_delay_alu instid0(VALU_DEP_1) | instskip(NEXT) | instid1(VALU_DEP_2)
	v_pk_fma_f32 v[152:153], v[148:149], v[44:45], v[152:153] op_sel_hi:[1,1,0] neg_lo:[0,0,1] neg_hi:[0,0,1]
	v_pk_fma_f32 v[148:149], v[148:149], v[44:45], v[154:155] op_sel:[1,0,0] op_sel_hi:[0,1,0]
	s_delay_alu instid0(VALU_DEP_1) | instskip(SKIP_1) | instid1(VALU_DEP_2)
	v_mov_b32_e32 v153, v149
	v_pk_mul_f32 v[148:149], v[150:151], v[146:147] op_sel:[0,1]
	v_pk_add_f32 v[34:35], v[34:35], v[152:153] neg_lo:[0,1] neg_hi:[0,1]
	s_delay_alu instid0(VALU_DEP_2) | instskip(SKIP_1) | instid1(VALU_DEP_1)
	v_pk_fma_f32 v[152:153], v[150:151], v[144:145], v[148:149] op_sel:[0,0,1] op_sel_hi:[1,1,0] neg_lo:[0,0,1] neg_hi:[0,0,1]
	v_pk_fma_f32 v[148:149], v[150:151], v[144:145], v[148:149] op_sel:[0,0,1] op_sel_hi:[1,0,0]
	v_mov_b32_e32 v153, v149
	ds_load_2addr_b64 v[148:151], v208 offset0:13 offset1:14
	v_pk_add_f32 v[62:63], v[62:63], v[152:153] neg_lo:[0,1] neg_hi:[0,1]
	s_wait_dscnt 0x0
	v_pk_mul_f32 v[152:153], v[148:149], v[146:147] op_sel:[0,1]
	s_delay_alu instid0(VALU_DEP_1) | instskip(SKIP_1) | instid1(VALU_DEP_1)
	v_pk_fma_f32 v[154:155], v[148:149], v[144:145], v[152:153] op_sel:[0,0,1] op_sel_hi:[1,1,0] neg_lo:[0,0,1] neg_hi:[0,0,1]
	v_pk_fma_f32 v[148:149], v[148:149], v[144:145], v[152:153] op_sel:[0,0,1] op_sel_hi:[1,0,0]
	v_mov_b32_e32 v155, v149
	v_pk_mul_f32 v[148:149], v[150:151], v[146:147] op_sel:[0,1]
	s_delay_alu instid0(VALU_DEP_2) | instskip(NEXT) | instid1(VALU_DEP_2)
	v_pk_add_f32 v[58:59], v[58:59], v[154:155] neg_lo:[0,1] neg_hi:[0,1]
	v_pk_fma_f32 v[152:153], v[150:151], v[144:145], v[148:149] op_sel:[0,0,1] op_sel_hi:[1,1,0] neg_lo:[0,0,1] neg_hi:[0,0,1]
	v_pk_fma_f32 v[148:149], v[150:151], v[144:145], v[148:149] op_sel:[0,0,1] op_sel_hi:[1,0,0]
	s_delay_alu instid0(VALU_DEP_1) | instskip(SKIP_4) | instid1(VALU_DEP_1)
	v_mov_b32_e32 v153, v149
	ds_load_2addr_b64 v[148:151], v208 offset0:15 offset1:16
	v_pk_add_f32 v[60:61], v[60:61], v[152:153] neg_lo:[0,1] neg_hi:[0,1]
	s_wait_dscnt 0x0
	v_pk_mul_f32 v[152:153], v[148:149], v[146:147] op_sel:[0,1]
	v_pk_fma_f32 v[154:155], v[148:149], v[144:145], v[152:153] op_sel:[0,0,1] op_sel_hi:[1,1,0] neg_lo:[0,0,1] neg_hi:[0,0,1]
	v_pk_fma_f32 v[148:149], v[148:149], v[144:145], v[152:153] op_sel:[0,0,1] op_sel_hi:[1,0,0]
	v_dual_mul_f32 v152, v151, v147 :: v_dual_mov_b32 v148, v151
	s_delay_alu instid0(VALU_DEP_2) | instskip(NEXT) | instid1(VALU_DEP_2)
	v_dual_mov_b32 v155, v149 :: v_dual_mov_b32 v149, v150
	v_pk_fma_f32 v[152:153], v[150:151], v[44:45], v[152:153] op_sel_hi:[1,1,0] neg_lo:[0,0,1] neg_hi:[0,0,1]
	v_mul_f32_e32 v150, v151, v144
	s_delay_alu instid0(VALU_DEP_3) | instskip(NEXT) | instid1(VALU_DEP_2)
	v_pk_add_f32 v[56:57], v[56:57], v[154:155] neg_lo:[0,1] neg_hi:[0,1]
	v_pk_fma_f32 v[148:149], v[148:149], v[44:45], v[150:151] op_sel_hi:[1,1,0]
	s_delay_alu instid0(VALU_DEP_1) | instskip(SKIP_4) | instid1(VALU_DEP_1)
	v_mov_b32_e32 v153, v149
	ds_load_2addr_b64 v[148:151], v208 offset0:17 offset1:18
	v_pk_add_f32 v[80:81], v[80:81], v[152:153] neg_lo:[0,1] neg_hi:[0,1]
	s_wait_dscnt 0x0
	v_pk_mul_f32 v[152:153], v[148:149], v[146:147] op_sel:[0,1]
	v_pk_fma_f32 v[154:155], v[148:149], v[144:145], v[152:153] op_sel:[0,0,1] op_sel_hi:[1,1,0] neg_lo:[0,0,1] neg_hi:[0,0,1]
	v_pk_fma_f32 v[148:149], v[148:149], v[144:145], v[152:153] op_sel:[0,0,1] op_sel_hi:[1,0,0]
	s_delay_alu instid0(VALU_DEP_1) | instskip(SKIP_1) | instid1(VALU_DEP_1)
	v_mov_b32_e32 v155, v149
	v_pk_mul_f32 v[148:149], v[150:151], v[146:147] op_sel:[0,1]
	v_pk_fma_f32 v[152:153], v[150:151], v[144:145], v[148:149] op_sel:[0,0,1] op_sel_hi:[1,1,0] neg_lo:[0,0,1] neg_hi:[0,0,1]
	v_pk_fma_f32 v[148:149], v[150:151], v[144:145], v[148:149] op_sel:[0,0,1] op_sel_hi:[1,0,0]
	s_delay_alu instid0(VALU_DEP_1)
	v_mov_b32_e32 v153, v149
	ds_load_2addr_b64 v[148:151], v208 offset0:19 offset1:20
	v_pk_add_f32 v[76:77], v[76:77], v[154:155] neg_lo:[0,1] neg_hi:[0,1]
	v_pk_add_f32 v[78:79], v[78:79], v[152:153] neg_lo:[0,1] neg_hi:[0,1]
	s_wait_dscnt 0x0
	v_pk_mul_f32 v[152:153], v[148:149], v[146:147] op_sel:[0,1]
	s_delay_alu instid0(VALU_DEP_1) | instskip(SKIP_1) | instid1(VALU_DEP_1)
	v_pk_fma_f32 v[154:155], v[148:149], v[144:145], v[152:153] op_sel:[0,0,1] op_sel_hi:[1,1,0] neg_lo:[0,0,1] neg_hi:[0,0,1]
	v_pk_fma_f32 v[148:149], v[148:149], v[144:145], v[152:153] op_sel:[0,0,1] op_sel_hi:[1,0,0]
	v_mov_b32_e32 v155, v149
	v_pk_mul_f32 v[148:149], v[150:151], v[146:147] op_sel:[0,1]
	s_delay_alu instid0(VALU_DEP_1) | instskip(SKIP_1) | instid1(VALU_DEP_1)
	v_pk_fma_f32 v[152:153], v[150:151], v[144:145], v[148:149] op_sel:[0,0,1] op_sel_hi:[1,1,0] neg_lo:[0,0,1] neg_hi:[0,0,1]
	v_pk_fma_f32 v[148:149], v[150:151], v[144:145], v[148:149] op_sel:[0,0,1] op_sel_hi:[1,0,0]
	v_mov_b32_e32 v153, v149
	ds_load_2addr_b64 v[148:151], v208 offset0:21 offset1:22
	v_pk_add_f32 v[114:115], v[114:115], v[154:155] neg_lo:[0,1] neg_hi:[0,1]
	v_pk_add_f32 v[128:129], v[128:129], v[152:153] neg_lo:[0,1] neg_hi:[0,1]
	s_wait_dscnt 0x0
	v_dual_mul_f32 v152, v149, v147 :: v_dual_mul_f32 v154, v149, v144
	s_delay_alu instid0(VALU_DEP_1) | instskip(NEXT) | instid1(VALU_DEP_2)
	v_pk_fma_f32 v[152:153], v[148:149], v[44:45], v[152:153] op_sel_hi:[1,1,0] neg_lo:[0,0,1] neg_hi:[0,0,1]
	v_pk_fma_f32 v[148:149], v[148:149], v[44:45], v[154:155] op_sel:[1,0,0] op_sel_hi:[0,1,0]
	s_delay_alu instid0(VALU_DEP_1) | instskip(SKIP_1) | instid1(VALU_DEP_2)
	v_mov_b32_e32 v153, v149
	v_pk_mul_f32 v[148:149], v[150:151], v[146:147] op_sel:[0,1]
	v_pk_add_f32 v[126:127], v[126:127], v[152:153] neg_lo:[0,1] neg_hi:[0,1]
	s_delay_alu instid0(VALU_DEP_2) | instskip(SKIP_1) | instid1(VALU_DEP_1)
	v_pk_fma_f32 v[152:153], v[150:151], v[144:145], v[148:149] op_sel:[0,0,1] op_sel_hi:[1,1,0] neg_lo:[0,0,1] neg_hi:[0,0,1]
	v_pk_fma_f32 v[148:149], v[150:151], v[144:145], v[148:149] op_sel:[0,0,1] op_sel_hi:[1,0,0]
	v_mov_b32_e32 v153, v149
	ds_load_2addr_b64 v[148:151], v208 offset0:23 offset1:24
	v_pk_add_f32 v[136:137], v[136:137], v[152:153] neg_lo:[0,1] neg_hi:[0,1]
	s_wait_dscnt 0x0
	v_pk_mul_f32 v[152:153], v[148:149], v[146:147] op_sel:[0,1]
	s_delay_alu instid0(VALU_DEP_1) | instskip(SKIP_1) | instid1(VALU_DEP_1)
	v_pk_fma_f32 v[154:155], v[148:149], v[144:145], v[152:153] op_sel:[0,0,1] op_sel_hi:[1,1,0] neg_lo:[0,0,1] neg_hi:[0,0,1]
	v_pk_fma_f32 v[148:149], v[148:149], v[144:145], v[152:153] op_sel:[0,0,1] op_sel_hi:[1,0,0]
	v_mov_b32_e32 v155, v149
	v_pk_mul_f32 v[148:149], v[150:151], v[146:147] op_sel:[0,1]
	s_delay_alu instid0(VALU_DEP_2) | instskip(NEXT) | instid1(VALU_DEP_2)
	v_pk_add_f32 v[124:125], v[124:125], v[154:155] neg_lo:[0,1] neg_hi:[0,1]
	v_pk_fma_f32 v[152:153], v[150:151], v[144:145], v[148:149] op_sel:[0,0,1] op_sel_hi:[1,1,0] neg_lo:[0,0,1] neg_hi:[0,0,1]
	v_pk_fma_f32 v[148:149], v[150:151], v[144:145], v[148:149] op_sel:[0,0,1] op_sel_hi:[1,0,0]
	s_delay_alu instid0(VALU_DEP_1) | instskip(SKIP_4) | instid1(VALU_DEP_1)
	v_mov_b32_e32 v153, v149
	ds_load_2addr_b64 v[148:151], v208 offset0:25 offset1:26
	v_pk_add_f32 v[132:133], v[132:133], v[152:153] neg_lo:[0,1] neg_hi:[0,1]
	s_wait_dscnt 0x0
	v_pk_mul_f32 v[152:153], v[148:149], v[146:147] op_sel:[0,1]
	v_pk_fma_f32 v[154:155], v[148:149], v[144:145], v[152:153] op_sel:[0,0,1] op_sel_hi:[1,1,0] neg_lo:[0,0,1] neg_hi:[0,0,1]
	v_pk_fma_f32 v[148:149], v[148:149], v[144:145], v[152:153] op_sel:[0,0,1] op_sel_hi:[1,0,0]
	v_dual_mul_f32 v152, v151, v147 :: v_dual_mov_b32 v148, v151
	s_delay_alu instid0(VALU_DEP_2) | instskip(NEXT) | instid1(VALU_DEP_2)
	v_dual_mov_b32 v155, v149 :: v_dual_mov_b32 v149, v150
	v_pk_fma_f32 v[152:153], v[150:151], v[44:45], v[152:153] op_sel_hi:[1,1,0] neg_lo:[0,0,1] neg_hi:[0,0,1]
	v_mul_f32_e32 v150, v151, v144
	s_delay_alu instid0(VALU_DEP_3) | instskip(NEXT) | instid1(VALU_DEP_2)
	v_pk_add_f32 v[102:103], v[102:103], v[154:155] neg_lo:[0,1] neg_hi:[0,1]
	v_pk_fma_f32 v[148:149], v[148:149], v[44:45], v[150:151] op_sel_hi:[1,1,0]
	s_delay_alu instid0(VALU_DEP_1) | instskip(SKIP_4) | instid1(VALU_DEP_1)
	v_mov_b32_e32 v153, v149
	ds_load_2addr_b64 v[148:151], v208 offset0:27 offset1:28
	v_pk_add_f32 v[104:105], v[104:105], v[152:153] neg_lo:[0,1] neg_hi:[0,1]
	s_wait_dscnt 0x0
	v_pk_mul_f32 v[152:153], v[148:149], v[146:147] op_sel:[0,1]
	v_pk_fma_f32 v[154:155], v[148:149], v[144:145], v[152:153] op_sel:[0,0,1] op_sel_hi:[1,1,0] neg_lo:[0,0,1] neg_hi:[0,0,1]
	v_pk_fma_f32 v[148:149], v[148:149], v[144:145], v[152:153] op_sel:[0,0,1] op_sel_hi:[1,0,0]
	s_delay_alu instid0(VALU_DEP_1) | instskip(SKIP_1) | instid1(VALU_DEP_1)
	v_mov_b32_e32 v155, v149
	v_pk_mul_f32 v[148:149], v[150:151], v[146:147] op_sel:[0,1]
	v_pk_fma_f32 v[152:153], v[150:151], v[144:145], v[148:149] op_sel:[0,0,1] op_sel_hi:[1,1,0] neg_lo:[0,0,1] neg_hi:[0,0,1]
	v_pk_fma_f32 v[148:149], v[150:151], v[144:145], v[148:149] op_sel:[0,0,1] op_sel_hi:[1,0,0]
	s_delay_alu instid0(VALU_DEP_1)
	v_mov_b32_e32 v153, v149
	ds_load_2addr_b64 v[148:151], v208 offset0:29 offset1:30
	v_pk_add_f32 v[100:101], v[100:101], v[154:155] neg_lo:[0,1] neg_hi:[0,1]
	v_pk_add_f32 v[118:119], v[118:119], v[152:153] neg_lo:[0,1] neg_hi:[0,1]
	s_wait_dscnt 0x0
	v_pk_mul_f32 v[152:153], v[148:149], v[146:147] op_sel:[0,1]
	s_delay_alu instid0(VALU_DEP_1) | instskip(SKIP_1) | instid1(VALU_DEP_1)
	v_pk_fma_f32 v[154:155], v[148:149], v[144:145], v[152:153] op_sel:[0,0,1] op_sel_hi:[1,1,0] neg_lo:[0,0,1] neg_hi:[0,0,1]
	v_pk_fma_f32 v[148:149], v[148:149], v[144:145], v[152:153] op_sel:[0,0,1] op_sel_hi:[1,0,0]
	v_mov_b32_e32 v155, v149
	v_pk_mul_f32 v[148:149], v[150:151], v[146:147] op_sel:[0,1]
	s_delay_alu instid0(VALU_DEP_1) | instskip(SKIP_1) | instid1(VALU_DEP_1)
	v_pk_fma_f32 v[152:153], v[150:151], v[144:145], v[148:149] op_sel:[0,0,1] op_sel_hi:[1,1,0] neg_lo:[0,0,1] neg_hi:[0,0,1]
	v_pk_fma_f32 v[148:149], v[150:151], v[144:145], v[148:149] op_sel:[0,0,1] op_sel_hi:[1,0,0]
	v_mov_b32_e32 v153, v149
	ds_load_2addr_b64 v[148:151], v208 offset0:31 offset1:32
	v_pk_add_f32 v[116:117], v[116:117], v[154:155] neg_lo:[0,1] neg_hi:[0,1]
	v_pk_add_f32 v[130:131], v[130:131], v[152:153] neg_lo:[0,1] neg_hi:[0,1]
	s_wait_dscnt 0x0
	v_dual_mul_f32 v152, v149, v147 :: v_dual_mul_f32 v154, v149, v144
	s_delay_alu instid0(VALU_DEP_1) | instskip(NEXT) | instid1(VALU_DEP_2)
	v_pk_fma_f32 v[152:153], v[148:149], v[44:45], v[152:153] op_sel_hi:[1,1,0] neg_lo:[0,0,1] neg_hi:[0,0,1]
	v_pk_fma_f32 v[148:149], v[148:149], v[44:45], v[154:155] op_sel:[1,0,0] op_sel_hi:[0,1,0]
	s_delay_alu instid0(VALU_DEP_1) | instskip(SKIP_1) | instid1(VALU_DEP_2)
	v_mov_b32_e32 v153, v149
	v_pk_mul_f32 v[148:149], v[150:151], v[146:147] op_sel:[0,1]
	v_pk_add_f32 v[122:123], v[122:123], v[152:153] neg_lo:[0,1] neg_hi:[0,1]
	s_delay_alu instid0(VALU_DEP_2) | instskip(SKIP_1) | instid1(VALU_DEP_1)
	v_pk_fma_f32 v[152:153], v[150:151], v[144:145], v[148:149] op_sel:[0,0,1] op_sel_hi:[1,1,0] neg_lo:[0,0,1] neg_hi:[0,0,1]
	v_pk_fma_f32 v[148:149], v[150:151], v[144:145], v[148:149] op_sel:[0,0,1] op_sel_hi:[1,0,0]
	v_mov_b32_e32 v153, v149
	ds_load_b64 v[148:149], v208 offset:264
	v_pk_add_f32 v[120:121], v[120:121], v[152:153] neg_lo:[0,1] neg_hi:[0,1]
	s_wait_dscnt 0x0
	v_pk_mul_f32 v[146:147], v[148:149], v[146:147] op_sel:[0,1]
	s_delay_alu instid0(VALU_DEP_1) | instskip(SKIP_1) | instid1(VALU_DEP_1)
	v_pk_fma_f32 v[150:151], v[148:149], v[144:145], v[146:147] op_sel:[0,0,1] op_sel_hi:[1,1,0] neg_lo:[0,0,1] neg_hi:[0,0,1]
	v_pk_fma_f32 v[144:145], v[148:149], v[144:145], v[146:147] op_sel:[0,0,1] op_sel_hi:[1,0,0]
	v_mov_b32_e32 v151, v145
	s_delay_alu instid0(VALU_DEP_1)
	v_pk_add_f32 v[134:135], v[134:135], v[150:151] neg_lo:[0,1] neg_hi:[0,1]
.LBB67_28:
	s_or_b32 exec_lo, exec_lo, s1
	s_delay_alu instid0(SALU_CYCLE_1)
	s_mov_b32 s2, exec_lo
	s_wait_dscnt 0x0
	s_barrier_signal -1
	s_barrier_wait -1
	v_cmpx_eq_u32_e32 3, v206
	s_cbranch_execz .LBB67_35
; %bb.29:
	v_dual_mov_b32 v144, v74 :: v_dual_mov_b32 v145, v75
	v_dual_mov_b32 v146, v24 :: v_dual_mov_b32 v147, v25
	ds_store_b64 v207, v[72:73]
	ds_store_2addr_b64 v208, v[144:145], v[146:147] offset0:4 offset1:5
	v_dual_mov_b32 v144, v26 :: v_dual_mov_b32 v145, v27
	v_dual_mov_b32 v146, v22 :: v_dual_mov_b32 v147, v23
	ds_store_2addr_b64 v208, v[144:145], v[146:147] offset0:6 offset1:7
	v_dual_mov_b32 v144, v40 :: v_dual_mov_b32 v145, v41
	v_dual_mov_b32 v146, v36 :: v_dual_mov_b32 v147, v37
	;; [unrolled: 3-line block ×13, first 2 shown]
	ds_store_2addr_b64 v208, v[144:145], v[146:147] offset0:30 offset1:31
	v_dual_mov_b32 v144, v120 :: v_dual_mov_b32 v145, v121
	ds_store_2addr_b64 v208, v[144:145], v[134:135] offset0:32 offset1:33
	ds_load_b64 v[144:145], v207
	s_wait_dscnt 0x0
	v_cmp_neq_f32_e32 vcc_lo, 0, v144
	v_cmp_neq_f32_e64 s1, 0, v145
	s_or_b32 s1, vcc_lo, s1
	s_delay_alu instid0(SALU_CYCLE_1)
	s_and_b32 exec_lo, exec_lo, s1
	s_cbranch_execz .LBB67_35
; %bb.30:
	v_cmp_ngt_f32_e64 s1, |v144|, |v145|
                                        ; implicit-def: $vgpr146_vgpr147
	s_and_saveexec_b32 s4, s1
	s_delay_alu instid0(SALU_CYCLE_1)
	s_xor_b32 s1, exec_lo, s4
	s_cbranch_execz .LBB67_32
; %bb.31:
	v_div_scale_f32 v146, null, v145, v145, v144
	v_div_scale_f32 v149, vcc_lo, v144, v145, v144
	s_delay_alu instid0(VALU_DEP_2) | instskip(SKIP_1) | instid1(TRANS32_DEP_1)
	v_rcp_f32_e32 v147, v146
	v_nop
	v_fma_f32 v148, -v146, v147, 1.0
	s_delay_alu instid0(VALU_DEP_1) | instskip(NEXT) | instid1(VALU_DEP_1)
	v_fmac_f32_e32 v147, v148, v147
	v_mul_f32_e32 v148, v149, v147
	s_delay_alu instid0(VALU_DEP_1) | instskip(NEXT) | instid1(VALU_DEP_1)
	v_fma_f32 v150, -v146, v148, v149
	v_fmac_f32_e32 v148, v150, v147
	s_delay_alu instid0(VALU_DEP_1) | instskip(NEXT) | instid1(VALU_DEP_1)
	v_fma_f32 v146, -v146, v148, v149
	v_div_fmas_f32 v146, v146, v147, v148
	s_delay_alu instid0(VALU_DEP_1) | instskip(NEXT) | instid1(VALU_DEP_1)
	v_div_fixup_f32 v146, v146, v145, v144
	v_fmac_f32_e32 v145, v144, v146
	s_delay_alu instid0(VALU_DEP_1) | instskip(SKIP_1) | instid1(VALU_DEP_2)
	v_div_scale_f32 v144, null, v145, v145, 1.0
	v_div_scale_f32 v149, vcc_lo, 1.0, v145, 1.0
	v_rcp_f32_e32 v147, v144
	v_nop
	s_delay_alu instid0(TRANS32_DEP_1) | instskip(NEXT) | instid1(VALU_DEP_1)
	v_fma_f32 v148, -v144, v147, 1.0
	v_fmac_f32_e32 v147, v148, v147
	s_delay_alu instid0(VALU_DEP_1) | instskip(NEXT) | instid1(VALU_DEP_1)
	v_mul_f32_e32 v148, v149, v147
	v_fma_f32 v150, -v144, v148, v149
	s_delay_alu instid0(VALU_DEP_1) | instskip(NEXT) | instid1(VALU_DEP_1)
	v_fmac_f32_e32 v148, v150, v147
	v_fma_f32 v144, -v144, v148, v149
	s_delay_alu instid0(VALU_DEP_1) | instskip(NEXT) | instid1(VALU_DEP_1)
	v_div_fmas_f32 v144, v144, v147, v148
	v_div_fixup_f32 v144, v144, v145, 1.0
	s_delay_alu instid0(VALU_DEP_1)
	v_mul_f32_e32 v146, v146, v144
	v_xor_b32_e32 v147, 0x80000000, v144
                                        ; implicit-def: $vgpr144_vgpr145
.LBB67_32:
	s_and_not1_saveexec_b32 s1, s1
	s_cbranch_execz .LBB67_34
; %bb.33:
	v_div_scale_f32 v146, null, v144, v144, v145
	v_div_scale_f32 v149, vcc_lo, v145, v144, v145
	s_delay_alu instid0(VALU_DEP_2) | instskip(SKIP_1) | instid1(TRANS32_DEP_1)
	v_rcp_f32_e32 v147, v146
	v_nop
	v_fma_f32 v148, -v146, v147, 1.0
	s_delay_alu instid0(VALU_DEP_1) | instskip(NEXT) | instid1(VALU_DEP_1)
	v_fmac_f32_e32 v147, v148, v147
	v_mul_f32_e32 v148, v149, v147
	s_delay_alu instid0(VALU_DEP_1) | instskip(NEXT) | instid1(VALU_DEP_1)
	v_fma_f32 v150, -v146, v148, v149
	v_fmac_f32_e32 v148, v150, v147
	s_delay_alu instid0(VALU_DEP_1) | instskip(NEXT) | instid1(VALU_DEP_1)
	v_fma_f32 v146, -v146, v148, v149
	v_div_fmas_f32 v146, v146, v147, v148
	s_delay_alu instid0(VALU_DEP_1) | instskip(NEXT) | instid1(VALU_DEP_1)
	v_div_fixup_f32 v147, v146, v144, v145
	v_fmac_f32_e32 v144, v145, v147
	s_delay_alu instid0(VALU_DEP_1) | instskip(NEXT) | instid1(VALU_DEP_1)
	v_div_scale_f32 v145, null, v144, v144, 1.0
	v_rcp_f32_e32 v146, v145
	v_nop
	s_delay_alu instid0(TRANS32_DEP_1) | instskip(NEXT) | instid1(VALU_DEP_1)
	v_fma_f32 v148, -v145, v146, 1.0
	v_fmac_f32_e32 v146, v148, v146
	v_div_scale_f32 v148, vcc_lo, 1.0, v144, 1.0
	s_delay_alu instid0(VALU_DEP_1) | instskip(NEXT) | instid1(VALU_DEP_1)
	v_mul_f32_e32 v149, v148, v146
	v_fma_f32 v150, -v145, v149, v148
	s_delay_alu instid0(VALU_DEP_1) | instskip(NEXT) | instid1(VALU_DEP_1)
	v_fmac_f32_e32 v149, v150, v146
	v_fma_f32 v145, -v145, v149, v148
	s_delay_alu instid0(VALU_DEP_1) | instskip(NEXT) | instid1(VALU_DEP_1)
	v_div_fmas_f32 v145, v145, v146, v149
	v_div_fixup_f32 v146, v145, v144, 1.0
	s_delay_alu instid0(VALU_DEP_1)
	v_mul_f32_e64 v147, v147, -v146
.LBB67_34:
	s_or_b32 exec_lo, exec_lo, s1
	ds_store_b64 v207, v[146:147]
.LBB67_35:
	s_or_b32 exec_lo, exec_lo, s2
	s_wait_dscnt 0x0
	s_barrier_signal -1
	s_barrier_wait -1
	ds_load_b64 v[144:145], v207
	s_mov_b32 s1, exec_lo
	v_cmpx_lt_u32_e32 3, v206
	s_cbranch_execz .LBB67_37
; %bb.36:
	ds_load_2addr_b64 v[150:153], v208 offset0:4 offset1:5
	ds_load_2addr_b64 v[154:157], v208 offset0:6 offset1:7
	;; [unrolled: 1-line block ×3, first 2 shown]
	s_wait_dscnt 0x3
	v_pk_mul_f32 v[146:147], v[144:145], v[72:73] op_sel:[1,1] op_sel_hi:[0,1]
	ds_load_2addr_b64 v[162:165], v208 offset0:10 offset1:11
	ds_load_2addr_b64 v[166:169], v208 offset0:12 offset1:13
	v_pk_fma_f32 v[148:149], v[144:145], v[72:73], v[146:147] op_sel_hi:[1,0,1] neg_lo:[0,0,1] neg_hi:[0,0,1]
	v_pk_fma_f32 v[146:147], v[144:145], v[72:73], v[146:147] op_sel_hi:[1,0,1]
	s_delay_alu instid0(VALU_DEP_1) | instskip(SKIP_1) | instid1(VALU_DEP_2)
	v_dual_mov_b32 v72, v148 :: v_dual_mov_b32 v73, v147
	s_wait_dscnt 0x4
	v_pk_mul_f32 v[170:171], v[150:151], v[146:147] op_sel:[0,1]
	v_pk_mul_f32 v[172:173], v[152:153], v[146:147] op_sel:[0,1]
	s_wait_dscnt 0x3
	v_pk_mul_f32 v[174:175], v[154:155], v[146:147] op_sel:[0,1]
	v_dual_mov_b32 v176, v157 :: v_dual_mov_b32 v177, v156
	v_pk_fma_f32 v[188:189], v[150:151], v[148:149], v[170:171] op_sel:[0,0,1] op_sel_hi:[1,1,0] neg_lo:[0,0,1] neg_hi:[0,0,1]
	v_pk_fma_f32 v[150:151], v[150:151], v[148:149], v[170:171] op_sel:[0,0,1] op_sel_hi:[1,0,0]
	v_pk_fma_f32 v[170:171], v[152:153], v[148:149], v[172:173] op_sel:[0,0,1] op_sel_hi:[1,1,0] neg_lo:[0,0,1] neg_hi:[0,0,1]
	v_pk_fma_f32 v[152:153], v[152:153], v[148:149], v[172:173] op_sel:[0,0,1] op_sel_hi:[1,0,0]
	v_dual_mul_f32 v178, v157, v147 :: v_dual_mul_f32 v180, v157, v148
	s_wait_dscnt 0x2
	v_pk_mul_f32 v[182:183], v[158:159], v[146:147] op_sel:[0,1]
	v_pk_fma_f32 v[172:173], v[154:155], v[148:149], v[174:175] op_sel:[0,0,1] op_sel_hi:[1,1,0] neg_lo:[0,0,1] neg_hi:[0,0,1]
	v_pk_fma_f32 v[154:155], v[154:155], v[148:149], v[174:175] op_sel:[0,0,1] op_sel_hi:[1,0,0]
	v_pk_mul_f32 v[184:185], v[160:161], v[146:147] op_sel:[0,1]
	v_dual_mov_b32 v189, v151 :: v_dual_mov_b32 v171, v153
	v_pk_fma_f32 v[174:175], v[176:177], v[72:73], v[180:181] op_sel_hi:[1,1,0]
	s_delay_alu instid0(VALU_DEP_4)
	v_mov_b32_e32 v173, v155
	v_pk_fma_f32 v[154:155], v[158:159], v[148:149], v[182:183] op_sel:[0,0,1] op_sel_hi:[1,0,0]
	s_wait_dscnt 0x1
	v_pk_mul_f32 v[186:187], v[162:163], v[146:147] op_sel:[0,1]
	v_pk_add_f32 v[24:25], v[24:25], v[170:171] neg_lo:[0,1] neg_hi:[0,1]
	v_pk_fma_f32 v[170:171], v[160:161], v[148:149], v[184:185] op_sel:[0,0,1] op_sel_hi:[1,0,0]
	ds_load_2addr_b64 v[150:153], v208 offset0:14 offset1:15
	v_pk_fma_f32 v[158:159], v[158:159], v[148:149], v[182:183] op_sel:[0,0,1] op_sel_hi:[1,1,0] neg_lo:[0,0,1] neg_hi:[0,0,1]
	v_pk_fma_f32 v[156:157], v[156:157], v[72:73], v[178:179] op_sel_hi:[1,1,0] neg_lo:[0,0,1] neg_hi:[0,0,1]
	v_mov_b32_e32 v159, v155
	v_pk_fma_f32 v[154:155], v[160:161], v[148:149], v[184:185] op_sel:[0,0,1] op_sel_hi:[1,1,0] neg_lo:[0,0,1] neg_hi:[0,0,1]
	v_mov_b32_e32 v157, v175
	v_pk_add_f32 v[26:27], v[26:27], v[172:173] neg_lo:[0,1] neg_hi:[0,1]
	v_pk_fma_f32 v[172:173], v[162:163], v[148:149], v[186:187] op_sel:[0,0,1] op_sel_hi:[1,0,0]
	v_mov_b32_e32 v155, v171
	v_pk_fma_f32 v[160:161], v[162:163], v[148:149], v[186:187] op_sel:[0,0,1] op_sel_hi:[1,1,0] neg_lo:[0,0,1] neg_hi:[0,0,1]
	v_pk_add_f32 v[22:23], v[22:23], v[156:157] neg_lo:[0,1] neg_hi:[0,1]
	v_pk_mul_f32 v[156:157], v[164:165], v[146:147] op_sel:[0,1]
	v_mov_b32_e32 v161, v173
	v_pk_add_f32 v[36:37], v[36:37], v[154:155] neg_lo:[0,1] neg_hi:[0,1]
	s_wait_dscnt 0x1
	v_mul_f32_e32 v154, v167, v148
	v_pk_add_f32 v[40:41], v[40:41], v[158:159] neg_lo:[0,1] neg_hi:[0,1]
	v_pk_fma_f32 v[162:163], v[164:165], v[148:149], v[156:157] op_sel:[0,0,1] op_sel_hi:[1,1,0] neg_lo:[0,0,1] neg_hi:[0,0,1]
	v_pk_fma_f32 v[158:159], v[164:165], v[148:149], v[156:157] op_sel:[0,0,1] op_sel_hi:[1,0,0]
	v_pk_add_f32 v[38:39], v[38:39], v[160:161] neg_lo:[0,1] neg_hi:[0,1]
	v_pk_fma_f32 v[164:165], v[166:167], v[72:73], v[154:155] op_sel:[1,0,0] op_sel_hi:[0,1,0]
	ds_load_2addr_b64 v[154:157], v208 offset0:16 offset1:17
	v_mul_f32_e32 v158, v167, v147
	v_pk_mul_f32 v[160:161], v[168:169], v[146:147] op_sel:[0,1]
	s_wait_dscnt 0x1
	v_pk_mul_f32 v[170:171], v[150:151], v[146:147] op_sel:[0,1]
	v_pk_add_f32 v[74:75], v[74:75], v[188:189] neg_lo:[0,1] neg_hi:[0,1]
	v_pk_fma_f32 v[166:167], v[166:167], v[72:73], v[158:159] op_sel_hi:[1,1,0] neg_lo:[0,0,1] neg_hi:[0,0,1]
	v_pk_fma_f32 v[172:173], v[168:169], v[148:149], v[160:161] op_sel:[0,0,1] op_sel_hi:[1,0,0]
	v_mov_b32_e32 v167, v165
	v_pk_fma_f32 v[164:165], v[168:169], v[148:149], v[160:161] op_sel:[0,0,1] op_sel_hi:[1,1,0] neg_lo:[0,0,1] neg_hi:[0,0,1]
	v_pk_fma_f32 v[168:169], v[150:151], v[148:149], v[170:171] op_sel:[0,0,1] op_sel_hi:[1,0,0]
	s_delay_alu instid0(VALU_DEP_4)
	v_dual_mov_b32 v163, v159 :: v_dual_mov_b32 v165, v173
	v_pk_fma_f32 v[150:151], v[150:151], v[148:149], v[170:171] op_sel:[0,0,1] op_sel_hi:[1,1,0] neg_lo:[0,0,1] neg_hi:[0,0,1]
	v_pk_mul_f32 v[170:171], v[152:153], v[146:147] op_sel:[0,1]
	ds_load_2addr_b64 v[158:161], v208 offset0:18 offset1:19
	v_mov_b32_e32 v151, v169
	v_pk_add_f32 v[62:63], v[62:63], v[166:167] neg_lo:[0,1] neg_hi:[0,1]
	v_pk_add_f32 v[34:35], v[34:35], v[162:163] neg_lo:[0,1] neg_hi:[0,1]
	v_pk_fma_f32 v[166:167], v[152:153], v[148:149], v[170:171] op_sel:[0,0,1] op_sel_hi:[1,0,0]
	v_pk_add_f32 v[58:59], v[58:59], v[164:165] neg_lo:[0,1] neg_hi:[0,1]
	ds_load_2addr_b64 v[162:165], v208 offset0:20 offset1:21
	s_wait_dscnt 0x2
	v_mov_b32_e32 v166, v157
	v_pk_add_f32 v[60:61], v[60:61], v[150:151] neg_lo:[0,1] neg_hi:[0,1]
	v_pk_fma_f32 v[150:151], v[152:153], v[148:149], v[170:171] op_sel:[0,0,1] op_sel_hi:[1,1,0] neg_lo:[0,0,1] neg_hi:[0,0,1]
	v_pk_mul_f32 v[152:153], v[154:155], v[146:147] op_sel:[0,1]
	v_dual_mov_b32 v151, v167 :: v_dual_mov_b32 v167, v156
	v_mul_f32_e32 v168, v157, v148
	s_delay_alu instid0(VALU_DEP_3) | instskip(NEXT) | instid1(VALU_DEP_3)
	v_pk_fma_f32 v[170:171], v[154:155], v[148:149], v[152:153] op_sel:[0,0,1] op_sel_hi:[1,0,0]
	v_pk_add_f32 v[56:57], v[56:57], v[150:151] neg_lo:[0,1] neg_hi:[0,1]
	v_mul_f32_e32 v150, v157, v147
	v_pk_fma_f32 v[154:155], v[154:155], v[148:149], v[152:153] op_sel:[0,0,1] op_sel_hi:[1,1,0] neg_lo:[0,0,1] neg_hi:[0,0,1]
	v_pk_fma_f32 v[166:167], v[166:167], v[72:73], v[168:169] op_sel_hi:[1,1,0]
	v_mov_b32_e32 v155, v171
	s_wait_dscnt 0x1
	v_pk_mul_f32 v[168:169], v[158:159], v[146:147] op_sel:[0,1]
	v_pk_fma_f32 v[156:157], v[156:157], v[72:73], v[150:151] op_sel_hi:[1,1,0] neg_lo:[0,0,1] neg_hi:[0,0,1]
	ds_load_2addr_b64 v[150:153], v208 offset0:22 offset1:23
	v_mov_b32_e32 v157, v167
	v_pk_add_f32 v[80:81], v[80:81], v[154:155] neg_lo:[0,1] neg_hi:[0,1]
	v_pk_fma_f32 v[154:155], v[158:159], v[148:149], v[168:169] op_sel:[0,0,1] op_sel_hi:[1,0,0]
	v_pk_mul_f32 v[166:167], v[160:161], v[146:147] op_sel:[0,1]
	s_wait_dscnt 0x1
	v_pk_mul_f32 v[170:171], v[162:163], v[146:147] op_sel:[0,1]
	v_pk_fma_f32 v[158:159], v[158:159], v[148:149], v[168:169] op_sel:[0,0,1] op_sel_hi:[1,1,0] neg_lo:[0,0,1] neg_hi:[0,0,1]
	v_pk_add_f32 v[76:77], v[76:77], v[156:157] neg_lo:[0,1] neg_hi:[0,1]
	v_pk_fma_f32 v[168:169], v[160:161], v[148:149], v[166:167] op_sel:[0,0,1] op_sel_hi:[1,0,0]
	v_mov_b32_e32 v159, v155
	ds_load_2addr_b64 v[154:157], v208 offset0:24 offset1:25
	v_pk_fma_f32 v[172:173], v[162:163], v[148:149], v[170:171] op_sel:[0,0,1] op_sel_hi:[1,0,0]
	v_pk_fma_f32 v[160:161], v[160:161], v[148:149], v[166:167] op_sel:[0,0,1] op_sel_hi:[1,1,0] neg_lo:[0,0,1] neg_hi:[0,0,1]
	v_pk_mul_f32 v[166:167], v[164:165], v[146:147] op_sel:[0,1]
	v_pk_fma_f32 v[162:163], v[162:163], v[148:149], v[170:171] op_sel:[0,0,1] op_sel_hi:[1,1,0] neg_lo:[0,0,1] neg_hi:[0,0,1]
	s_delay_alu instid0(VALU_DEP_4) | instskip(SKIP_1) | instid1(VALU_DEP_4)
	v_dual_mov_b32 v161, v169 :: v_dual_mov_b32 v163, v173
	v_pk_add_f32 v[78:79], v[78:79], v[158:159] neg_lo:[0,1] neg_hi:[0,1]
	v_pk_fma_f32 v[158:159], v[164:165], v[148:149], v[166:167] op_sel:[0,0,1] op_sel_hi:[1,0,0]
	s_wait_dscnt 0x1
	v_mul_f32_e32 v158, v151, v148
	v_pk_add_f32 v[114:115], v[114:115], v[160:161] neg_lo:[0,1] neg_hi:[0,1]
	v_pk_add_f32 v[128:129], v[128:129], v[162:163] neg_lo:[0,1] neg_hi:[0,1]
	v_pk_fma_f32 v[162:163], v[164:165], v[148:149], v[166:167] op_sel:[0,0,1] op_sel_hi:[1,1,0] neg_lo:[0,0,1] neg_hi:[0,0,1]
	v_mul_f32_e32 v164, v151, v147
	v_pk_fma_f32 v[166:167], v[150:151], v[72:73], v[158:159] op_sel:[1,0,0] op_sel_hi:[0,1,0]
	v_mov_b32_e32 v163, v159
	ds_load_2addr_b64 v[158:161], v208 offset0:26 offset1:27
	v_pk_mul_f32 v[168:169], v[152:153], v[146:147] op_sel:[0,1]
	v_pk_fma_f32 v[150:151], v[150:151], v[72:73], v[164:165] op_sel_hi:[1,1,0] neg_lo:[0,0,1] neg_hi:[0,0,1]
	v_mov_b32_e32 v151, v167
	s_wait_dscnt 0x1
	v_pk_mul_f32 v[166:167], v[154:155], v[146:147] op_sel:[0,1]
	v_pk_add_f32 v[126:127], v[126:127], v[162:163] neg_lo:[0,1] neg_hi:[0,1]
	v_pk_fma_f32 v[170:171], v[152:153], v[148:149], v[168:169] op_sel:[0,0,1] op_sel_hi:[1,0,0]
	v_pk_mul_f32 v[172:173], v[156:157], v[146:147] op_sel:[0,1]
	ds_load_2addr_b64 v[162:165], v208 offset0:28 offset1:29
	v_pk_add_f32 v[136:137], v[136:137], v[150:151] neg_lo:[0,1] neg_hi:[0,1]
	v_pk_fma_f32 v[150:151], v[154:155], v[148:149], v[166:167] op_sel:[0,0,1] op_sel_hi:[1,0,0]
	v_pk_fma_f32 v[152:153], v[152:153], v[148:149], v[168:169] op_sel:[0,0,1] op_sel_hi:[1,1,0] neg_lo:[0,0,1] neg_hi:[0,0,1]
	v_pk_fma_f32 v[168:169], v[156:157], v[148:149], v[172:173] op_sel:[0,0,1] op_sel_hi:[1,0,0]
	v_mov_b32_e32 v153, v171
	v_pk_fma_f32 v[154:155], v[154:155], v[148:149], v[166:167] op_sel:[0,0,1] op_sel_hi:[1,1,0] neg_lo:[0,0,1] neg_hi:[0,0,1]
	v_mov_b32_e32 v155, v151
	v_pk_fma_f32 v[156:157], v[156:157], v[148:149], v[172:173] op_sel:[0,0,1] op_sel_hi:[1,1,0] neg_lo:[0,0,1] neg_hi:[0,0,1]
	v_mov_b32_e32 v157, v169
	v_pk_add_f32 v[124:125], v[124:125], v[152:153] neg_lo:[0,1] neg_hi:[0,1]
	ds_load_2addr_b64 v[150:153], v208 offset0:30 offset1:31
	v_pk_add_f32 v[132:133], v[132:133], v[154:155] neg_lo:[0,1] neg_hi:[0,1]
	s_wait_dscnt 0x2
	v_pk_mul_f32 v[154:155], v[158:159], v[146:147] op_sel:[0,1]
	v_pk_add_f32 v[102:103], v[102:103], v[156:157] neg_lo:[0,1] neg_hi:[0,1]
	v_dual_mov_b32 v156, v161 :: v_dual_mov_b32 v157, v160
	v_mul_f32_e32 v166, v161, v148
	s_delay_alu instid0(VALU_DEP_4)
	v_pk_fma_f32 v[168:169], v[158:159], v[148:149], v[154:155] op_sel:[0,0,1] op_sel_hi:[1,1,0] neg_lo:[0,0,1] neg_hi:[0,0,1]
	v_pk_fma_f32 v[158:159], v[158:159], v[148:149], v[154:155] op_sel:[0,0,1] op_sel_hi:[1,0,0]
	v_mul_f32_e32 v158, v161, v147
	s_wait_dscnt 0x1
	v_pk_mul_f32 v[170:171], v[162:163], v[146:147] op_sel:[0,1]
	v_pk_fma_f32 v[166:167], v[156:157], v[72:73], v[166:167] op_sel_hi:[1,1,0]
	ds_load_2addr_b64 v[154:157], v208 offset0:32 offset1:33
	v_mov_b32_e32 v169, v159
	v_pk_fma_f32 v[158:159], v[160:161], v[72:73], v[158:159] op_sel_hi:[1,1,0] neg_lo:[0,0,1] neg_hi:[0,0,1]
	v_pk_fma_f32 v[172:173], v[162:163], v[148:149], v[170:171] op_sel:[0,0,1] op_sel_hi:[1,0,0]
	v_mov_b32_e32 v159, v167
	v_pk_fma_f32 v[160:161], v[162:163], v[148:149], v[170:171] op_sel:[0,0,1] op_sel_hi:[1,1,0] neg_lo:[0,0,1] neg_hi:[0,0,1]
	v_pk_mul_f32 v[162:163], v[164:165], v[146:147] op_sel:[0,1]
	v_pk_add_f32 v[104:105], v[104:105], v[168:169] neg_lo:[0,1] neg_hi:[0,1]
	s_wait_dscnt 0x1
	v_pk_mul_f32 v[166:167], v[150:151], v[146:147] op_sel:[0,1]
	v_pk_add_f32 v[100:101], v[100:101], v[158:159] neg_lo:[0,1] neg_hi:[0,1]
	v_pk_mul_f32 v[168:169], v[152:153], v[146:147] op_sel:[0,1]
	v_pk_fma_f32 v[158:159], v[164:165], v[148:149], v[162:163] op_sel:[0,0,1] op_sel_hi:[1,0,0]
	v_mov_b32_e32 v161, v173
	v_pk_fma_f32 v[162:163], v[164:165], v[148:149], v[162:163] op_sel:[0,0,1] op_sel_hi:[1,1,0] neg_lo:[0,0,1] neg_hi:[0,0,1]
	s_delay_alu instid0(VALU_DEP_3) | instskip(NEXT) | instid1(VALU_DEP_3)
	v_mov_b32_e32 v163, v159
	v_pk_add_f32 v[118:119], v[118:119], v[160:161] neg_lo:[0,1] neg_hi:[0,1]
	v_pk_fma_f32 v[160:161], v[150:151], v[148:149], v[166:167] op_sel:[0,0,1] op_sel_hi:[1,0,0]
	v_pk_fma_f32 v[150:151], v[150:151], v[148:149], v[166:167] op_sel:[0,0,1] op_sel_hi:[1,1,0] neg_lo:[0,0,1] neg_hi:[0,0,1]
	s_wait_dscnt 0x0
	v_dual_mul_f32 v146, v155, v148 :: v_dual_mov_b32 v160, v157
	v_mul_f32_e32 v164, v157, v148
	v_dual_mov_b32 v151, v161 :: v_dual_mov_b32 v161, v156
	v_pk_fma_f32 v[158:159], v[152:153], v[148:149], v[168:169] op_sel:[0,0,1] op_sel_hi:[1,1,0] neg_lo:[0,0,1] neg_hi:[0,0,1]
	v_pk_fma_f32 v[148:149], v[152:153], v[148:149], v[168:169] op_sel:[0,0,1] op_sel_hi:[1,0,0]
	v_mul_f32_e32 v148, v155, v147
	v_pk_fma_f32 v[152:153], v[154:155], v[72:73], v[146:147] op_sel:[1,0,0] op_sel_hi:[0,1,0]
	v_mul_f32_e32 v146, v157, v147
	v_pk_fma_f32 v[160:161], v[160:161], v[72:73], v[164:165] op_sel_hi:[1,1,0]
	v_mov_b32_e32 v159, v149
	v_pk_fma_f32 v[148:149], v[154:155], v[72:73], v[148:149] op_sel_hi:[1,1,0] neg_lo:[0,0,1] neg_hi:[0,0,1]
	v_mov_b32_e32 v149, v153
	v_pk_fma_f32 v[146:147], v[156:157], v[72:73], v[146:147] op_sel_hi:[1,1,0] neg_lo:[0,0,1] neg_hi:[0,0,1]
	v_mov_b32_e32 v147, v161
	v_pk_add_f32 v[116:117], v[116:117], v[162:163] neg_lo:[0,1] neg_hi:[0,1]
	v_pk_add_f32 v[130:131], v[130:131], v[150:151] neg_lo:[0,1] neg_hi:[0,1]
	;; [unrolled: 1-line block ×5, first 2 shown]
.LBB67_37:
	s_or_b32 exec_lo, exec_lo, s1
	s_delay_alu instid0(SALU_CYCLE_1)
	s_mov_b32 s2, exec_lo
	s_wait_dscnt 0x0
	s_barrier_signal -1
	s_barrier_wait -1
	v_cmpx_eq_u32_e32 4, v206
	s_cbranch_execz .LBB67_44
; %bb.38:
	ds_store_b64 v207, v[74:75]
	ds_store_2addr_b64 v208, v[24:25], v[26:27] offset0:5 offset1:6
	ds_store_2addr_b64 v208, v[22:23], v[40:41] offset0:7 offset1:8
	;; [unrolled: 1-line block ×14, first 2 shown]
	ds_store_b64 v208, v[134:135] offset:264
	ds_load_b64 v[146:147], v207
	s_wait_dscnt 0x0
	v_cmp_neq_f32_e32 vcc_lo, 0, v146
	v_cmp_neq_f32_e64 s1, 0, v147
	s_or_b32 s1, vcc_lo, s1
	s_delay_alu instid0(SALU_CYCLE_1)
	s_and_b32 exec_lo, exec_lo, s1
	s_cbranch_execz .LBB67_44
; %bb.39:
	v_cmp_ngt_f32_e64 s1, |v146|, |v147|
                                        ; implicit-def: $vgpr148_vgpr149
	s_and_saveexec_b32 s4, s1
	s_delay_alu instid0(SALU_CYCLE_1)
	s_xor_b32 s1, exec_lo, s4
	s_cbranch_execz .LBB67_41
; %bb.40:
	v_div_scale_f32 v148, null, v147, v147, v146
	v_div_scale_f32 v151, vcc_lo, v146, v147, v146
	s_delay_alu instid0(VALU_DEP_2) | instskip(SKIP_1) | instid1(TRANS32_DEP_1)
	v_rcp_f32_e32 v149, v148
	v_nop
	v_fma_f32 v150, -v148, v149, 1.0
	s_delay_alu instid0(VALU_DEP_1) | instskip(NEXT) | instid1(VALU_DEP_1)
	v_fmac_f32_e32 v149, v150, v149
	v_mul_f32_e32 v150, v151, v149
	s_delay_alu instid0(VALU_DEP_1) | instskip(NEXT) | instid1(VALU_DEP_1)
	v_fma_f32 v152, -v148, v150, v151
	v_fmac_f32_e32 v150, v152, v149
	s_delay_alu instid0(VALU_DEP_1) | instskip(NEXT) | instid1(VALU_DEP_1)
	v_fma_f32 v148, -v148, v150, v151
	v_div_fmas_f32 v148, v148, v149, v150
	s_delay_alu instid0(VALU_DEP_1) | instskip(NEXT) | instid1(VALU_DEP_1)
	v_div_fixup_f32 v148, v148, v147, v146
	v_fmac_f32_e32 v147, v146, v148
	s_delay_alu instid0(VALU_DEP_1) | instskip(SKIP_1) | instid1(VALU_DEP_2)
	v_div_scale_f32 v146, null, v147, v147, 1.0
	v_div_scale_f32 v151, vcc_lo, 1.0, v147, 1.0
	v_rcp_f32_e32 v149, v146
	v_nop
	s_delay_alu instid0(TRANS32_DEP_1) | instskip(NEXT) | instid1(VALU_DEP_1)
	v_fma_f32 v150, -v146, v149, 1.0
	v_fmac_f32_e32 v149, v150, v149
	s_delay_alu instid0(VALU_DEP_1) | instskip(NEXT) | instid1(VALU_DEP_1)
	v_mul_f32_e32 v150, v151, v149
	v_fma_f32 v152, -v146, v150, v151
	s_delay_alu instid0(VALU_DEP_1) | instskip(NEXT) | instid1(VALU_DEP_1)
	v_fmac_f32_e32 v150, v152, v149
	v_fma_f32 v146, -v146, v150, v151
	s_delay_alu instid0(VALU_DEP_1) | instskip(NEXT) | instid1(VALU_DEP_1)
	v_div_fmas_f32 v146, v146, v149, v150
	v_div_fixup_f32 v146, v146, v147, 1.0
	s_delay_alu instid0(VALU_DEP_1)
	v_mul_f32_e32 v148, v148, v146
	v_xor_b32_e32 v149, 0x80000000, v146
                                        ; implicit-def: $vgpr146_vgpr147
.LBB67_41:
	s_and_not1_saveexec_b32 s1, s1
	s_cbranch_execz .LBB67_43
; %bb.42:
	v_div_scale_f32 v148, null, v146, v146, v147
	v_div_scale_f32 v151, vcc_lo, v147, v146, v147
	s_delay_alu instid0(VALU_DEP_2) | instskip(SKIP_1) | instid1(TRANS32_DEP_1)
	v_rcp_f32_e32 v149, v148
	v_nop
	v_fma_f32 v150, -v148, v149, 1.0
	s_delay_alu instid0(VALU_DEP_1) | instskip(NEXT) | instid1(VALU_DEP_1)
	v_fmac_f32_e32 v149, v150, v149
	v_mul_f32_e32 v150, v151, v149
	s_delay_alu instid0(VALU_DEP_1) | instskip(NEXT) | instid1(VALU_DEP_1)
	v_fma_f32 v152, -v148, v150, v151
	v_fmac_f32_e32 v150, v152, v149
	s_delay_alu instid0(VALU_DEP_1) | instskip(NEXT) | instid1(VALU_DEP_1)
	v_fma_f32 v148, -v148, v150, v151
	v_div_fmas_f32 v148, v148, v149, v150
	s_delay_alu instid0(VALU_DEP_1) | instskip(NEXT) | instid1(VALU_DEP_1)
	v_div_fixup_f32 v149, v148, v146, v147
	v_fmac_f32_e32 v146, v147, v149
	s_delay_alu instid0(VALU_DEP_1) | instskip(NEXT) | instid1(VALU_DEP_1)
	v_div_scale_f32 v147, null, v146, v146, 1.0
	v_rcp_f32_e32 v148, v147
	v_nop
	s_delay_alu instid0(TRANS32_DEP_1) | instskip(NEXT) | instid1(VALU_DEP_1)
	v_fma_f32 v150, -v147, v148, 1.0
	v_fmac_f32_e32 v148, v150, v148
	v_div_scale_f32 v150, vcc_lo, 1.0, v146, 1.0
	s_delay_alu instid0(VALU_DEP_1) | instskip(NEXT) | instid1(VALU_DEP_1)
	v_mul_f32_e32 v151, v150, v148
	v_fma_f32 v152, -v147, v151, v150
	s_delay_alu instid0(VALU_DEP_1) | instskip(NEXT) | instid1(VALU_DEP_1)
	v_fmac_f32_e32 v151, v152, v148
	v_fma_f32 v147, -v147, v151, v150
	s_delay_alu instid0(VALU_DEP_1) | instskip(NEXT) | instid1(VALU_DEP_1)
	v_div_fmas_f32 v147, v147, v148, v151
	v_div_fixup_f32 v148, v147, v146, 1.0
	s_delay_alu instid0(VALU_DEP_1)
	v_mul_f32_e64 v149, v149, -v148
.LBB67_43:
	s_or_b32 exec_lo, exec_lo, s1
	ds_store_b64 v207, v[148:149]
.LBB67_44:
	s_or_b32 exec_lo, exec_lo, s2
	s_wait_dscnt 0x0
	s_barrier_signal -1
	s_barrier_wait -1
	ds_load_b64 v[146:147], v207
	s_mov_b32 s1, exec_lo
	v_cmpx_lt_u32_e32 4, v206
	s_cbranch_execz .LBB67_46
; %bb.45:
	ds_load_2addr_b64 v[152:155], v208 offset0:5 offset1:6
	ds_load_2addr_b64 v[156:159], v208 offset0:7 offset1:8
	;; [unrolled: 1-line block ×3, first 2 shown]
	s_wait_dscnt 0x3
	v_pk_mul_f32 v[150:151], v[146:147], v[74:75] op_sel:[1,1] op_sel_hi:[0,1]
	ds_load_2addr_b64 v[164:167], v208 offset0:11 offset1:12
	ds_load_2addr_b64 v[168:171], v208 offset0:13 offset1:14
	v_pk_fma_f32 v[148:149], v[146:147], v[74:75], v[150:151] op_sel_hi:[1,0,1] neg_lo:[0,0,1] neg_hi:[0,0,1]
	v_pk_fma_f32 v[150:151], v[146:147], v[74:75], v[150:151] op_sel_hi:[1,0,1]
	s_delay_alu instid0(VALU_DEP_1) | instskip(SKIP_1) | instid1(VALU_DEP_2)
	v_dual_mov_b32 v74, v148 :: v_dual_mov_b32 v75, v151
	s_wait_dscnt 0x4
	v_pk_mul_f32 v[172:173], v[152:153], v[150:151] op_sel:[0,1]
	v_pk_mul_f32 v[174:175], v[154:155], v[150:151] op_sel:[0,1]
	s_wait_dscnt 0x3
	v_pk_mul_f32 v[176:177], v[156:157], v[150:151] op_sel:[0,1]
	v_dual_mov_b32 v178, v159 :: v_dual_mov_b32 v179, v158
	v_dual_mul_f32 v180, v159, v151 :: v_dual_mul_f32 v182, v159, v148
	s_wait_dscnt 0x2
	v_pk_mul_f32 v[184:185], v[160:161], v[150:151] op_sel:[0,1]
	v_pk_mul_f32 v[186:187], v[162:163], v[150:151] op_sel:[0,1]
	v_pk_fma_f32 v[188:189], v[152:153], v[148:149], v[172:173] op_sel:[0,0,1] op_sel_hi:[1,1,0] neg_lo:[0,0,1] neg_hi:[0,0,1]
	v_pk_fma_f32 v[152:153], v[152:153], v[148:149], v[172:173] op_sel:[0,0,1] op_sel_hi:[1,0,0]
	v_pk_fma_f32 v[172:173], v[154:155], v[148:149], v[174:175] op_sel:[0,0,1] op_sel_hi:[1,1,0] neg_lo:[0,0,1] neg_hi:[0,0,1]
	v_pk_fma_f32 v[154:155], v[154:155], v[148:149], v[174:175] op_sel:[0,0,1] op_sel_hi:[1,0,0]
	;; [unrolled: 2-line block ×3, first 2 shown]
	v_pk_fma_f32 v[176:177], v[178:179], v[74:75], v[182:183] op_sel_hi:[1,1,0]
	v_pk_fma_f32 v[178:179], v[160:161], v[148:149], v[184:185] op_sel:[0,0,1] op_sel_hi:[1,1,0] neg_lo:[0,0,1] neg_hi:[0,0,1]
	v_pk_fma_f32 v[160:161], v[160:161], v[148:149], v[184:185] op_sel:[0,0,1] op_sel_hi:[1,0,0]
	v_dual_mov_b32 v189, v153 :: v_dual_mov_b32 v173, v155
	v_pk_fma_f32 v[152:153], v[162:163], v[148:149], v[186:187] op_sel:[0,0,1] op_sel_hi:[1,0,0]
	v_pk_fma_f32 v[154:155], v[162:163], v[148:149], v[186:187] op_sel:[0,0,1] op_sel_hi:[1,1,0] neg_lo:[0,0,1] neg_hi:[0,0,1]
	s_delay_alu instid0(VALU_DEP_4)
	v_mov_b32_e32 v179, v161
	v_pk_fma_f32 v[158:159], v[158:159], v[74:75], v[180:181] op_sel_hi:[1,1,0] neg_lo:[0,0,1] neg_hi:[0,0,1]
	v_dual_mov_b32 v175, v157 :: v_dual_mov_b32 v159, v177
	v_mov_b32_e32 v155, v153
	s_wait_dscnt 0x1
	v_pk_mul_f32 v[156:157], v[164:165], v[150:151] op_sel:[0,1]
	v_pk_add_f32 v[26:27], v[26:27], v[172:173] neg_lo:[0,1] neg_hi:[0,1]
	s_wait_dscnt 0x0
	v_pk_mul_f32 v[172:173], v[170:171], v[150:151] op_sel:[0,1]
	v_pk_add_f32 v[40:41], v[40:41], v[158:159] neg_lo:[0,1] neg_hi:[0,1]
	v_pk_add_f32 v[38:39], v[38:39], v[154:155] neg_lo:[0,1] neg_hi:[0,1]
	ds_load_2addr_b64 v[152:155], v208 offset0:15 offset1:16
	v_pk_fma_f32 v[160:161], v[164:165], v[148:149], v[156:157] op_sel:[0,0,1] op_sel_hi:[1,0,0]
	v_pk_fma_f32 v[162:163], v[164:165], v[148:149], v[156:157] op_sel:[0,0,1] op_sel_hi:[1,1,0] neg_lo:[0,0,1] neg_hi:[0,0,1]
	v_pk_mul_f32 v[164:165], v[166:167], v[150:151] op_sel:[0,1]
	ds_load_2addr_b64 v[156:159], v208 offset0:17 offset1:18
	v_mul_f32_e32 v160, v169, v148
	v_pk_add_f32 v[22:23], v[22:23], v[174:175] neg_lo:[0,1] neg_hi:[0,1]
	v_pk_add_f32 v[36:37], v[36:37], v[178:179] neg_lo:[0,1] neg_hi:[0,1]
	v_pk_fma_f32 v[174:175], v[166:167], v[148:149], v[164:165] op_sel:[0,0,1] op_sel_hi:[1,0,0]
	v_mul_f32_e32 v174, v169, v151
	v_mov_b32_e32 v163, v161
	v_pk_fma_f32 v[160:161], v[168:169], v[74:75], v[160:161] op_sel:[1,0,0] op_sel_hi:[0,1,0]
	v_pk_fma_f32 v[164:165], v[166:167], v[148:149], v[164:165] op_sel:[0,0,1] op_sel_hi:[1,1,0] neg_lo:[0,0,1] neg_hi:[0,0,1]
	v_pk_fma_f32 v[166:167], v[170:171], v[148:149], v[172:173] op_sel:[0,0,1] op_sel_hi:[1,0,0]
	v_mov_b32_e32 v165, v175
	v_pk_fma_f32 v[168:169], v[168:169], v[74:75], v[174:175] op_sel_hi:[1,1,0] neg_lo:[0,0,1] neg_hi:[0,0,1]
	v_mov_b32_e32 v169, v161
	v_pk_fma_f32 v[160:161], v[170:171], v[148:149], v[172:173] op_sel:[0,0,1] op_sel_hi:[1,1,0] neg_lo:[0,0,1] neg_hi:[0,0,1]
	v_mov_b32_e32 v161, v167
	v_pk_add_f32 v[62:63], v[62:63], v[164:165] neg_lo:[0,1] neg_hi:[0,1]
	s_wait_dscnt 0x1
	v_pk_mul_f32 v[164:165], v[152:153], v[150:151] op_sel:[0,1]
	v_pk_add_f32 v[34:35], v[34:35], v[162:163] neg_lo:[0,1] neg_hi:[0,1]
	v_pk_add_f32 v[58:59], v[58:59], v[168:169] neg_lo:[0,1] neg_hi:[0,1]
	;; [unrolled: 1-line block ×3, first 2 shown]
	ds_load_2addr_b64 v[160:163], v208 offset0:19 offset1:20
	s_wait_dscnt 0x1
	v_pk_mul_f32 v[170:171], v[156:157], v[150:151] op_sel:[0,1]
	v_pk_mul_f32 v[168:169], v[154:155], v[150:151] op_sel:[0,1]
	v_pk_fma_f32 v[172:173], v[152:153], v[148:149], v[164:165] op_sel:[0,0,1] op_sel_hi:[1,0,0]
	v_pk_fma_f32 v[152:153], v[152:153], v[148:149], v[164:165] op_sel:[0,0,1] op_sel_hi:[1,1,0] neg_lo:[0,0,1] neg_hi:[0,0,1]
	ds_load_2addr_b64 v[164:167], v208 offset0:21 offset1:22
	v_pk_fma_f32 v[176:177], v[156:157], v[148:149], v[170:171] op_sel:[0,0,1] op_sel_hi:[1,0,0]
	v_pk_fma_f32 v[174:175], v[154:155], v[148:149], v[168:169] op_sel:[0,0,1] op_sel_hi:[1,0,0]
	v_pk_fma_f32 v[156:157], v[156:157], v[148:149], v[170:171] op_sel:[0,0,1] op_sel_hi:[1,1,0] neg_lo:[0,0,1] neg_hi:[0,0,1]
	v_pk_fma_f32 v[154:155], v[154:155], v[148:149], v[168:169] op_sel:[0,0,1] op_sel_hi:[1,1,0] neg_lo:[0,0,1] neg_hi:[0,0,1]
	s_delay_alu instid0(VALU_DEP_4) | instskip(SKIP_2) | instid1(VALU_DEP_3)
	v_dual_mov_b32 v168, v159 :: v_dual_mov_b32 v157, v177
	v_dual_mov_b32 v169, v158 :: v_dual_mul_f32 v170, v159, v148
	v_dual_mov_b32 v153, v173 :: v_dual_mov_b32 v155, v175
	v_pk_add_f32 v[76:77], v[76:77], v[156:157] neg_lo:[0,1] neg_hi:[0,1]
	v_pk_add_f32 v[24:25], v[24:25], v[188:189] neg_lo:[0,1] neg_hi:[0,1]
	s_delay_alu instid0(VALU_DEP_4)
	v_pk_fma_f32 v[168:169], v[168:169], v[74:75], v[170:171] op_sel_hi:[1,1,0]
	v_mul_f32_e32 v156, v159, v151
	v_pk_add_f32 v[56:57], v[56:57], v[152:153] neg_lo:[0,1] neg_hi:[0,1]
	v_pk_add_f32 v[80:81], v[80:81], v[154:155] neg_lo:[0,1] neg_hi:[0,1]
	ds_load_2addr_b64 v[152:155], v208 offset0:23 offset1:24
	s_wait_dscnt 0x2
	v_pk_mul_f32 v[170:171], v[160:161], v[150:151] op_sel:[0,1]
	v_pk_mul_f32 v[172:173], v[162:163], v[150:151] op_sel:[0,1]
	v_pk_fma_f32 v[174:175], v[158:159], v[74:75], v[156:157] op_sel_hi:[1,1,0] neg_lo:[0,0,1] neg_hi:[0,0,1]
	v_mov_b32_e32 v175, v169
	s_wait_dscnt 0x1
	v_pk_mul_f32 v[168:169], v[164:165], v[150:151] op_sel:[0,1]
	ds_load_2addr_b64 v[156:159], v208 offset0:25 offset1:26
	v_pk_fma_f32 v[176:177], v[160:161], v[148:149], v[170:171] op_sel:[0,0,1] op_sel_hi:[1,0,0]
	v_pk_fma_f32 v[178:179], v[162:163], v[148:149], v[172:173] op_sel:[0,0,1] op_sel_hi:[1,0,0]
	v_pk_fma_f32 v[160:161], v[160:161], v[148:149], v[170:171] op_sel:[0,0,1] op_sel_hi:[1,1,0] neg_lo:[0,0,1] neg_hi:[0,0,1]
	v_pk_fma_f32 v[170:171], v[164:165], v[148:149], v[168:169] op_sel:[0,0,1] op_sel_hi:[1,0,0]
	v_pk_fma_f32 v[162:163], v[162:163], v[148:149], v[172:173] op_sel:[0,0,1] op_sel_hi:[1,1,0] neg_lo:[0,0,1] neg_hi:[0,0,1]
	s_delay_alu instid0(VALU_DEP_4) | instskip(SKIP_1) | instid1(VALU_DEP_4)
	v_dual_mov_b32 v161, v177 :: v_dual_mov_b32 v163, v179
	v_pk_fma_f32 v[164:165], v[164:165], v[148:149], v[168:169] op_sel:[0,0,1] op_sel_hi:[1,1,0] neg_lo:[0,0,1] neg_hi:[0,0,1]
	v_mov_b32_e32 v165, v171
	v_pk_mul_f32 v[168:169], v[166:167], v[150:151] op_sel:[0,1]
	s_delay_alu instid0(VALU_DEP_4)
	v_pk_add_f32 v[114:115], v[114:115], v[160:161] neg_lo:[0,1] neg_hi:[0,1]
	v_pk_add_f32 v[128:129], v[128:129], v[162:163] neg_lo:[0,1] neg_hi:[0,1]
	ds_load_2addr_b64 v[160:163], v208 offset0:27 offset1:28
	s_wait_dscnt 0x2
	v_mul_f32_e32 v170, v153, v148
	v_pk_add_f32 v[126:127], v[126:127], v[164:165] neg_lo:[0,1] neg_hi:[0,1]
	v_pk_fma_f32 v[164:165], v[166:167], v[148:149], v[168:169] op_sel:[0,0,1] op_sel_hi:[1,1,0] neg_lo:[0,0,1] neg_hi:[0,0,1]
	v_pk_fma_f32 v[166:167], v[166:167], v[148:149], v[168:169] op_sel:[0,0,1] op_sel_hi:[1,0,0]
	v_mul_f32_e32 v166, v153, v151
	v_pk_mul_f32 v[168:169], v[154:155], v[150:151] op_sel:[0,1]
	v_pk_add_f32 v[78:79], v[78:79], v[174:175] neg_lo:[0,1] neg_hi:[0,1]
	v_pk_fma_f32 v[170:171], v[152:153], v[74:75], v[170:171] op_sel:[1,0,0] op_sel_hi:[0,1,0]
	s_wait_dscnt 0x1
	v_pk_mul_f32 v[172:173], v[156:157], v[150:151] op_sel:[0,1]
	v_mov_b32_e32 v165, v167
	v_pk_fma_f32 v[174:175], v[154:155], v[148:149], v[168:169] op_sel:[0,0,1] op_sel_hi:[1,0,0]
	v_pk_fma_f32 v[166:167], v[152:153], v[74:75], v[166:167] op_sel_hi:[1,1,0] neg_lo:[0,0,1] neg_hi:[0,0,1]
	v_pk_fma_f32 v[168:169], v[154:155], v[148:149], v[168:169] op_sel:[0,0,1] op_sel_hi:[1,1,0] neg_lo:[0,0,1] neg_hi:[0,0,1]
	ds_load_2addr_b64 v[152:155], v208 offset0:29 offset1:30
	v_dual_mov_b32 v167, v171 :: v_dual_mov_b32 v169, v175
	v_pk_fma_f32 v[170:171], v[156:157], v[148:149], v[172:173] op_sel:[0,0,1] op_sel_hi:[1,0,0]
	v_pk_fma_f32 v[156:157], v[156:157], v[148:149], v[172:173] op_sel:[0,0,1] op_sel_hi:[1,1,0] neg_lo:[0,0,1] neg_hi:[0,0,1]
	v_pk_add_f32 v[136:137], v[136:137], v[164:165] neg_lo:[0,1] neg_hi:[0,1]
	s_delay_alu instid0(VALU_DEP_4)
	v_pk_add_f32 v[124:125], v[124:125], v[166:167] neg_lo:[0,1] neg_hi:[0,1]
	v_pk_add_f32 v[132:133], v[132:133], v[168:169] neg_lo:[0,1] neg_hi:[0,1]
	v_mov_b32_e32 v157, v171
	v_pk_mul_f32 v[170:171], v[158:159], v[150:151] op_sel:[0,1]
	s_wait_dscnt 0x1
	v_pk_mul_f32 v[168:169], v[160:161], v[150:151] op_sel:[0,1]
	ds_load_b64 v[172:173], v208 offset:264
	v_pk_fma_f32 v[166:167], v[158:159], v[148:149], v[170:171] op_sel:[0,0,1] op_sel_hi:[1,0,0]
	v_pk_fma_f32 v[164:165], v[158:159], v[148:149], v[170:171] op_sel:[0,0,1] op_sel_hi:[1,1,0] neg_lo:[0,0,1] neg_hi:[0,0,1]
	v_mov_b32_e32 v170, v163
	v_pk_add_f32 v[102:103], v[102:103], v[156:157] neg_lo:[0,1] neg_hi:[0,1]
	ds_load_2addr_b64 v[156:159], v208 offset0:31 offset1:32
	v_pk_fma_f32 v[174:175], v[160:161], v[148:149], v[168:169] op_sel:[0,0,1] op_sel_hi:[1,0,0]
	v_mov_b32_e32 v165, v167
	v_pk_fma_f32 v[160:161], v[160:161], v[148:149], v[168:169] op_sel:[0,0,1] op_sel_hi:[1,1,0] neg_lo:[0,0,1] neg_hi:[0,0,1]
	s_wait_dscnt 0x2
	v_pk_mul_f32 v[168:169], v[152:153], v[150:151] op_sel:[0,1]
	v_dual_mov_b32 v171, v162 :: v_dual_mul_f32 v166, v163, v148
	v_mov_b32_e32 v161, v175
	v_pk_add_f32 v[104:105], v[104:105], v[164:165] neg_lo:[0,1] neg_hi:[0,1]
	s_delay_alu instid0(VALU_DEP_4)
	v_pk_fma_f32 v[164:165], v[152:153], v[148:149], v[168:169] op_sel:[0,0,1] op_sel_hi:[1,0,0]
	v_mul_f32_e32 v174, v163, v151
	v_pk_fma_f32 v[166:167], v[170:171], v[74:75], v[166:167] op_sel_hi:[1,1,0]
	v_pk_add_f32 v[100:101], v[100:101], v[160:161] neg_lo:[0,1] neg_hi:[0,1]
	v_pk_mul_f32 v[160:161], v[154:155], v[150:151] op_sel:[0,1]
	v_pk_fma_f32 v[152:153], v[152:153], v[148:149], v[168:169] op_sel:[0,0,1] op_sel_hi:[1,1,0] neg_lo:[0,0,1] neg_hi:[0,0,1]
	v_mov_b32_e32 v153, v165
	v_pk_fma_f32 v[162:163], v[162:163], v[74:75], v[174:175] op_sel_hi:[1,1,0] neg_lo:[0,0,1] neg_hi:[0,0,1]
	s_delay_alu instid0(VALU_DEP_4)
	v_pk_fma_f32 v[164:165], v[154:155], v[148:149], v[160:161] op_sel:[0,0,1] op_sel_hi:[1,0,0]
	v_mov_b32_e32 v163, v167
	v_pk_fma_f32 v[154:155], v[154:155], v[148:149], v[160:161] op_sel:[0,0,1] op_sel_hi:[1,1,0] neg_lo:[0,0,1] neg_hi:[0,0,1]
	s_wait_dscnt 0x0
	v_pk_mul_f32 v[166:167], v[158:159], v[150:151] op_sel:[0,1]
	v_pk_add_f32 v[116:117], v[116:117], v[152:153] neg_lo:[0,1] neg_hi:[0,1]
	v_mov_b32_e32 v155, v165
	v_pk_add_f32 v[118:119], v[118:119], v[162:163] neg_lo:[0,1] neg_hi:[0,1]
	v_pk_mul_f32 v[162:163], v[156:157], v[150:151] op_sel:[0,1]
	v_pk_mul_f32 v[150:151], v[172:173], v[150:151] op_sel:[0,1]
	v_pk_fma_f32 v[164:165], v[158:159], v[148:149], v[166:167] op_sel:[0,0,1] op_sel_hi:[1,0,0]
	v_pk_fma_f32 v[158:159], v[158:159], v[148:149], v[166:167] op_sel:[0,0,1] op_sel_hi:[1,1,0] neg_lo:[0,0,1] neg_hi:[0,0,1]
	v_pk_add_f32 v[130:131], v[130:131], v[154:155] neg_lo:[0,1] neg_hi:[0,1]
	v_pk_fma_f32 v[160:161], v[156:157], v[148:149], v[162:163] op_sel:[0,0,1] op_sel_hi:[1,0,0]
	v_pk_fma_f32 v[156:157], v[156:157], v[148:149], v[162:163] op_sel:[0,0,1] op_sel_hi:[1,1,0] neg_lo:[0,0,1] neg_hi:[0,0,1]
	v_pk_fma_f32 v[162:163], v[172:173], v[148:149], v[150:151] op_sel:[0,0,1] op_sel_hi:[1,0,0]
	v_pk_fma_f32 v[148:149], v[172:173], v[148:149], v[150:151] op_sel:[0,0,1] op_sel_hi:[1,1,0] neg_lo:[0,0,1] neg_hi:[0,0,1]
	s_delay_alu instid0(VALU_DEP_4) | instskip(NEXT) | instid1(VALU_DEP_3)
	v_dual_mov_b32 v159, v165 :: v_dual_mov_b32 v157, v161
	v_mov_b32_e32 v149, v163
	s_delay_alu instid0(VALU_DEP_2) | instskip(NEXT) | instid1(VALU_DEP_3)
	v_pk_add_f32 v[120:121], v[120:121], v[158:159] neg_lo:[0,1] neg_hi:[0,1]
	v_pk_add_f32 v[122:123], v[122:123], v[156:157] neg_lo:[0,1] neg_hi:[0,1]
	s_delay_alu instid0(VALU_DEP_3)
	v_pk_add_f32 v[134:135], v[134:135], v[148:149] neg_lo:[0,1] neg_hi:[0,1]
.LBB67_46:
	s_or_b32 exec_lo, exec_lo, s1
	s_delay_alu instid0(SALU_CYCLE_1)
	s_mov_b32 s2, exec_lo
	s_wait_dscnt 0x0
	s_barrier_signal -1
	s_barrier_wait -1
	v_cmpx_eq_u32_e32 5, v206
	s_cbranch_execz .LBB67_53
; %bb.47:
	v_dual_mov_b32 v148, v26 :: v_dual_mov_b32 v149, v27
	v_dual_mov_b32 v150, v22 :: v_dual_mov_b32 v151, v23
	;; [unrolled: 1-line block ×4, first 2 shown]
	ds_store_b64 v207, v[24:25]
	ds_store_2addr_b64 v208, v[148:149], v[150:151] offset0:6 offset1:7
	ds_store_2addr_b64 v208, v[152:153], v[154:155] offset0:8 offset1:9
	v_dual_mov_b32 v148, v38 :: v_dual_mov_b32 v149, v39
	v_dual_mov_b32 v150, v34 :: v_dual_mov_b32 v151, v35
	;; [unrolled: 1-line block ×12, first 2 shown]
	ds_store_2addr_b64 v208, v[148:149], v[150:151] offset0:10 offset1:11
	ds_store_2addr_b64 v208, v[152:153], v[154:155] offset0:12 offset1:13
	;; [unrolled: 1-line block ×6, first 2 shown]
	v_dual_mov_b32 v148, v136 :: v_dual_mov_b32 v149, v137
	v_dual_mov_b32 v150, v124 :: v_dual_mov_b32 v151, v125
	;; [unrolled: 1-line block ×11, first 2 shown]
	ds_store_2addr_b64 v208, v[148:149], v[150:151] offset0:22 offset1:23
	ds_store_2addr_b64 v208, v[152:153], v[154:155] offset0:24 offset1:25
	;; [unrolled: 1-line block ×6, first 2 shown]
	ds_load_b64 v[148:149], v207
	s_wait_dscnt 0x0
	v_cmp_neq_f32_e32 vcc_lo, 0, v148
	v_cmp_neq_f32_e64 s1, 0, v149
	s_or_b32 s1, vcc_lo, s1
	s_delay_alu instid0(SALU_CYCLE_1)
	s_and_b32 exec_lo, exec_lo, s1
	s_cbranch_execz .LBB67_53
; %bb.48:
	v_cmp_ngt_f32_e64 s1, |v148|, |v149|
                                        ; implicit-def: $vgpr150_vgpr151
	s_and_saveexec_b32 s4, s1
	s_delay_alu instid0(SALU_CYCLE_1)
	s_xor_b32 s1, exec_lo, s4
	s_cbranch_execz .LBB67_50
; %bb.49:
	v_div_scale_f32 v150, null, v149, v149, v148
	v_div_scale_f32 v153, vcc_lo, v148, v149, v148
	s_delay_alu instid0(VALU_DEP_2) | instskip(SKIP_1) | instid1(TRANS32_DEP_1)
	v_rcp_f32_e32 v151, v150
	v_nop
	v_fma_f32 v152, -v150, v151, 1.0
	s_delay_alu instid0(VALU_DEP_1) | instskip(NEXT) | instid1(VALU_DEP_1)
	v_fmac_f32_e32 v151, v152, v151
	v_mul_f32_e32 v152, v153, v151
	s_delay_alu instid0(VALU_DEP_1) | instskip(NEXT) | instid1(VALU_DEP_1)
	v_fma_f32 v154, -v150, v152, v153
	v_fmac_f32_e32 v152, v154, v151
	s_delay_alu instid0(VALU_DEP_1) | instskip(NEXT) | instid1(VALU_DEP_1)
	v_fma_f32 v150, -v150, v152, v153
	v_div_fmas_f32 v150, v150, v151, v152
	s_delay_alu instid0(VALU_DEP_1) | instskip(NEXT) | instid1(VALU_DEP_1)
	v_div_fixup_f32 v150, v150, v149, v148
	v_fmac_f32_e32 v149, v148, v150
	s_delay_alu instid0(VALU_DEP_1) | instskip(SKIP_1) | instid1(VALU_DEP_2)
	v_div_scale_f32 v148, null, v149, v149, 1.0
	v_div_scale_f32 v153, vcc_lo, 1.0, v149, 1.0
	v_rcp_f32_e32 v151, v148
	v_nop
	s_delay_alu instid0(TRANS32_DEP_1) | instskip(NEXT) | instid1(VALU_DEP_1)
	v_fma_f32 v152, -v148, v151, 1.0
	v_fmac_f32_e32 v151, v152, v151
	s_delay_alu instid0(VALU_DEP_1) | instskip(NEXT) | instid1(VALU_DEP_1)
	v_mul_f32_e32 v152, v153, v151
	v_fma_f32 v154, -v148, v152, v153
	s_delay_alu instid0(VALU_DEP_1) | instskip(NEXT) | instid1(VALU_DEP_1)
	v_fmac_f32_e32 v152, v154, v151
	v_fma_f32 v148, -v148, v152, v153
	s_delay_alu instid0(VALU_DEP_1) | instskip(NEXT) | instid1(VALU_DEP_1)
	v_div_fmas_f32 v148, v148, v151, v152
	v_div_fixup_f32 v148, v148, v149, 1.0
	s_delay_alu instid0(VALU_DEP_1)
	v_mul_f32_e32 v150, v150, v148
	v_xor_b32_e32 v151, 0x80000000, v148
                                        ; implicit-def: $vgpr148_vgpr149
.LBB67_50:
	s_and_not1_saveexec_b32 s1, s1
	s_cbranch_execz .LBB67_52
; %bb.51:
	v_div_scale_f32 v150, null, v148, v148, v149
	v_div_scale_f32 v153, vcc_lo, v149, v148, v149
	s_delay_alu instid0(VALU_DEP_2) | instskip(SKIP_1) | instid1(TRANS32_DEP_1)
	v_rcp_f32_e32 v151, v150
	v_nop
	v_fma_f32 v152, -v150, v151, 1.0
	s_delay_alu instid0(VALU_DEP_1) | instskip(NEXT) | instid1(VALU_DEP_1)
	v_fmac_f32_e32 v151, v152, v151
	v_mul_f32_e32 v152, v153, v151
	s_delay_alu instid0(VALU_DEP_1) | instskip(NEXT) | instid1(VALU_DEP_1)
	v_fma_f32 v154, -v150, v152, v153
	v_fmac_f32_e32 v152, v154, v151
	s_delay_alu instid0(VALU_DEP_1) | instskip(NEXT) | instid1(VALU_DEP_1)
	v_fma_f32 v150, -v150, v152, v153
	v_div_fmas_f32 v150, v150, v151, v152
	s_delay_alu instid0(VALU_DEP_1) | instskip(NEXT) | instid1(VALU_DEP_1)
	v_div_fixup_f32 v151, v150, v148, v149
	v_fmac_f32_e32 v148, v149, v151
	s_delay_alu instid0(VALU_DEP_1) | instskip(NEXT) | instid1(VALU_DEP_1)
	v_div_scale_f32 v149, null, v148, v148, 1.0
	v_rcp_f32_e32 v150, v149
	v_nop
	s_delay_alu instid0(TRANS32_DEP_1) | instskip(NEXT) | instid1(VALU_DEP_1)
	v_fma_f32 v152, -v149, v150, 1.0
	v_fmac_f32_e32 v150, v152, v150
	v_div_scale_f32 v152, vcc_lo, 1.0, v148, 1.0
	s_delay_alu instid0(VALU_DEP_1) | instskip(NEXT) | instid1(VALU_DEP_1)
	v_mul_f32_e32 v153, v152, v150
	v_fma_f32 v154, -v149, v153, v152
	s_delay_alu instid0(VALU_DEP_1) | instskip(NEXT) | instid1(VALU_DEP_1)
	v_fmac_f32_e32 v153, v154, v150
	v_fma_f32 v149, -v149, v153, v152
	s_delay_alu instid0(VALU_DEP_1) | instskip(NEXT) | instid1(VALU_DEP_1)
	v_div_fmas_f32 v149, v149, v150, v153
	v_div_fixup_f32 v150, v149, v148, 1.0
	s_delay_alu instid0(VALU_DEP_1)
	v_mul_f32_e64 v151, v151, -v150
.LBB67_52:
	s_or_b32 exec_lo, exec_lo, s1
	ds_store_b64 v207, v[150:151]
.LBB67_53:
	s_or_b32 exec_lo, exec_lo, s2
	s_wait_dscnt 0x0
	s_barrier_signal -1
	s_barrier_wait -1
	ds_load_b64 v[148:149], v207
	s_mov_b32 s1, exec_lo
	v_cmpx_lt_u32_e32 5, v206
	s_cbranch_execz .LBB67_55
; %bb.54:
	ds_load_2addr_b64 v[154:157], v208 offset0:6 offset1:7
	s_wait_dscnt 0x1
	v_pk_mul_f32 v[152:153], v[148:149], v[24:25] op_sel:[1,1] op_sel_hi:[0,1]
	s_delay_alu instid0(VALU_DEP_1) | instskip(SKIP_1) | instid1(VALU_DEP_1)
	v_pk_fma_f32 v[150:151], v[148:149], v[24:25], v[152:153] op_sel_hi:[1,0,1] neg_lo:[0,0,1] neg_hi:[0,0,1]
	v_pk_fma_f32 v[152:153], v[148:149], v[24:25], v[152:153] op_sel_hi:[1,0,1]
	v_dual_mov_b32 v24, v150 :: v_dual_mov_b32 v25, v153
	s_wait_dscnt 0x0
	s_delay_alu instid0(VALU_DEP_2) | instskip(NEXT) | instid1(VALU_DEP_1)
	v_pk_mul_f32 v[158:159], v[154:155], v[152:153] op_sel:[0,1]
	v_pk_fma_f32 v[160:161], v[154:155], v[150:151], v[158:159] op_sel:[0,0,1] op_sel_hi:[1,1,0] neg_lo:[0,0,1] neg_hi:[0,0,1]
	v_pk_fma_f32 v[154:155], v[154:155], v[150:151], v[158:159] op_sel:[0,0,1] op_sel_hi:[1,0,0]
	s_delay_alu instid0(VALU_DEP_1) | instskip(SKIP_1) | instid1(VALU_DEP_1)
	v_mov_b32_e32 v161, v155
	v_pk_mul_f32 v[154:155], v[156:157], v[152:153] op_sel:[0,1]
	v_pk_fma_f32 v[158:159], v[156:157], v[150:151], v[154:155] op_sel:[0,0,1] op_sel_hi:[1,1,0] neg_lo:[0,0,1] neg_hi:[0,0,1]
	v_pk_fma_f32 v[154:155], v[156:157], v[150:151], v[154:155] op_sel:[0,0,1] op_sel_hi:[1,0,0]
	s_delay_alu instid0(VALU_DEP_1)
	v_mov_b32_e32 v159, v155
	ds_load_2addr_b64 v[154:157], v208 offset0:8 offset1:9
	v_pk_add_f32 v[26:27], v[26:27], v[160:161] neg_lo:[0,1] neg_hi:[0,1]
	v_pk_add_f32 v[22:23], v[22:23], v[158:159] neg_lo:[0,1] neg_hi:[0,1]
	s_wait_dscnt 0x0
	v_pk_mul_f32 v[158:159], v[154:155], v[152:153] op_sel:[0,1]
	s_delay_alu instid0(VALU_DEP_1) | instskip(SKIP_2) | instid1(VALU_DEP_2)
	v_pk_fma_f32 v[160:161], v[154:155], v[150:151], v[158:159] op_sel:[0,0,1] op_sel_hi:[1,1,0] neg_lo:[0,0,1] neg_hi:[0,0,1]
	v_pk_fma_f32 v[154:155], v[154:155], v[150:151], v[158:159] op_sel:[0,0,1] op_sel_hi:[1,0,0]
	v_dual_mul_f32 v158, v157, v153 :: v_dual_mov_b32 v154, v157
	v_dual_mov_b32 v161, v155 :: v_dual_mov_b32 v155, v156
	s_delay_alu instid0(VALU_DEP_2) | instskip(SKIP_1) | instid1(VALU_DEP_3)
	v_pk_fma_f32 v[158:159], v[156:157], v[24:25], v[158:159] op_sel_hi:[1,1,0] neg_lo:[0,0,1] neg_hi:[0,0,1]
	v_mul_f32_e32 v156, v157, v150
	v_pk_add_f32 v[40:41], v[40:41], v[160:161] neg_lo:[0,1] neg_hi:[0,1]
	s_delay_alu instid0(VALU_DEP_2) | instskip(NEXT) | instid1(VALU_DEP_1)
	v_pk_fma_f32 v[154:155], v[154:155], v[24:25], v[156:157] op_sel_hi:[1,1,0]
	v_mov_b32_e32 v159, v155
	ds_load_2addr_b64 v[154:157], v208 offset0:10 offset1:11
	v_pk_add_f32 v[36:37], v[36:37], v[158:159] neg_lo:[0,1] neg_hi:[0,1]
	s_wait_dscnt 0x0
	v_pk_mul_f32 v[158:159], v[154:155], v[152:153] op_sel:[0,1]
	s_delay_alu instid0(VALU_DEP_1) | instskip(SKIP_1) | instid1(VALU_DEP_1)
	v_pk_fma_f32 v[160:161], v[154:155], v[150:151], v[158:159] op_sel:[0,0,1] op_sel_hi:[1,1,0] neg_lo:[0,0,1] neg_hi:[0,0,1]
	v_pk_fma_f32 v[154:155], v[154:155], v[150:151], v[158:159] op_sel:[0,0,1] op_sel_hi:[1,0,0]
	v_mov_b32_e32 v161, v155
	v_pk_mul_f32 v[154:155], v[156:157], v[152:153] op_sel:[0,1]
	s_delay_alu instid0(VALU_DEP_1) | instskip(SKIP_1) | instid1(VALU_DEP_1)
	v_pk_fma_f32 v[158:159], v[156:157], v[150:151], v[154:155] op_sel:[0,0,1] op_sel_hi:[1,1,0] neg_lo:[0,0,1] neg_hi:[0,0,1]
	v_pk_fma_f32 v[154:155], v[156:157], v[150:151], v[154:155] op_sel:[0,0,1] op_sel_hi:[1,0,0]
	v_mov_b32_e32 v159, v155
	ds_load_2addr_b64 v[154:157], v208 offset0:12 offset1:13
	v_pk_add_f32 v[38:39], v[38:39], v[160:161] neg_lo:[0,1] neg_hi:[0,1]
	v_pk_add_f32 v[34:35], v[34:35], v[158:159] neg_lo:[0,1] neg_hi:[0,1]
	s_wait_dscnt 0x0
	v_pk_mul_f32 v[158:159], v[154:155], v[152:153] op_sel:[0,1]
	s_delay_alu instid0(VALU_DEP_1) | instskip(SKIP_1) | instid1(VALU_DEP_1)
	v_pk_fma_f32 v[160:161], v[154:155], v[150:151], v[158:159] op_sel:[0,0,1] op_sel_hi:[1,1,0] neg_lo:[0,0,1] neg_hi:[0,0,1]
	v_pk_fma_f32 v[154:155], v[154:155], v[150:151], v[158:159] op_sel:[0,0,1] op_sel_hi:[1,0,0]
	v_mov_b32_e32 v161, v155
	v_pk_mul_f32 v[154:155], v[156:157], v[152:153] op_sel:[0,1]
	s_delay_alu instid0(VALU_DEP_1) | instskip(SKIP_1) | instid1(VALU_DEP_1)
	v_pk_fma_f32 v[158:159], v[156:157], v[150:151], v[154:155] op_sel:[0,0,1] op_sel_hi:[1,1,0] neg_lo:[0,0,1] neg_hi:[0,0,1]
	v_pk_fma_f32 v[154:155], v[156:157], v[150:151], v[154:155] op_sel:[0,0,1] op_sel_hi:[1,0,0]
	v_mov_b32_e32 v159, v155
	ds_load_2addr_b64 v[154:157], v208 offset0:14 offset1:15
	v_pk_add_f32 v[62:63], v[62:63], v[160:161] neg_lo:[0,1] neg_hi:[0,1]
	v_pk_add_f32 v[58:59], v[58:59], v[158:159] neg_lo:[0,1] neg_hi:[0,1]
	s_wait_dscnt 0x0
	v_dual_mul_f32 v158, v155, v153 :: v_dual_mul_f32 v160, v155, v150
	s_delay_alu instid0(VALU_DEP_1) | instskip(NEXT) | instid1(VALU_DEP_2)
	v_pk_fma_f32 v[158:159], v[154:155], v[24:25], v[158:159] op_sel_hi:[1,1,0] neg_lo:[0,0,1] neg_hi:[0,0,1]
	v_pk_fma_f32 v[154:155], v[154:155], v[24:25], v[160:161] op_sel:[1,0,0] op_sel_hi:[0,1,0]
	s_delay_alu instid0(VALU_DEP_1) | instskip(SKIP_1) | instid1(VALU_DEP_2)
	v_mov_b32_e32 v159, v155
	v_pk_mul_f32 v[154:155], v[156:157], v[152:153] op_sel:[0,1]
	v_pk_add_f32 v[60:61], v[60:61], v[158:159] neg_lo:[0,1] neg_hi:[0,1]
	s_delay_alu instid0(VALU_DEP_2) | instskip(SKIP_1) | instid1(VALU_DEP_1)
	v_pk_fma_f32 v[158:159], v[156:157], v[150:151], v[154:155] op_sel:[0,0,1] op_sel_hi:[1,1,0] neg_lo:[0,0,1] neg_hi:[0,0,1]
	v_pk_fma_f32 v[154:155], v[156:157], v[150:151], v[154:155] op_sel:[0,0,1] op_sel_hi:[1,0,0]
	v_mov_b32_e32 v159, v155
	ds_load_2addr_b64 v[154:157], v208 offset0:16 offset1:17
	v_pk_add_f32 v[56:57], v[56:57], v[158:159] neg_lo:[0,1] neg_hi:[0,1]
	s_wait_dscnt 0x0
	v_pk_mul_f32 v[158:159], v[154:155], v[152:153] op_sel:[0,1]
	s_delay_alu instid0(VALU_DEP_1) | instskip(SKIP_1) | instid1(VALU_DEP_1)
	v_pk_fma_f32 v[160:161], v[154:155], v[150:151], v[158:159] op_sel:[0,0,1] op_sel_hi:[1,1,0] neg_lo:[0,0,1] neg_hi:[0,0,1]
	v_pk_fma_f32 v[154:155], v[154:155], v[150:151], v[158:159] op_sel:[0,0,1] op_sel_hi:[1,0,0]
	v_mov_b32_e32 v161, v155
	v_pk_mul_f32 v[154:155], v[156:157], v[152:153] op_sel:[0,1]
	s_delay_alu instid0(VALU_DEP_2) | instskip(NEXT) | instid1(VALU_DEP_2)
	v_pk_add_f32 v[80:81], v[80:81], v[160:161] neg_lo:[0,1] neg_hi:[0,1]
	v_pk_fma_f32 v[158:159], v[156:157], v[150:151], v[154:155] op_sel:[0,0,1] op_sel_hi:[1,1,0] neg_lo:[0,0,1] neg_hi:[0,0,1]
	v_pk_fma_f32 v[154:155], v[156:157], v[150:151], v[154:155] op_sel:[0,0,1] op_sel_hi:[1,0,0]
	s_delay_alu instid0(VALU_DEP_1) | instskip(SKIP_4) | instid1(VALU_DEP_1)
	v_mov_b32_e32 v159, v155
	ds_load_2addr_b64 v[154:157], v208 offset0:18 offset1:19
	v_pk_add_f32 v[76:77], v[76:77], v[158:159] neg_lo:[0,1] neg_hi:[0,1]
	s_wait_dscnt 0x0
	v_pk_mul_f32 v[158:159], v[154:155], v[152:153] op_sel:[0,1]
	v_pk_fma_f32 v[160:161], v[154:155], v[150:151], v[158:159] op_sel:[0,0,1] op_sel_hi:[1,1,0] neg_lo:[0,0,1] neg_hi:[0,0,1]
	v_pk_fma_f32 v[154:155], v[154:155], v[150:151], v[158:159] op_sel:[0,0,1] op_sel_hi:[1,0,0]
	v_dual_mul_f32 v158, v157, v153 :: v_dual_mov_b32 v154, v157
	s_delay_alu instid0(VALU_DEP_2) | instskip(NEXT) | instid1(VALU_DEP_2)
	v_dual_mov_b32 v161, v155 :: v_dual_mov_b32 v155, v156
	v_pk_fma_f32 v[158:159], v[156:157], v[24:25], v[158:159] op_sel_hi:[1,1,0] neg_lo:[0,0,1] neg_hi:[0,0,1]
	v_mul_f32_e32 v156, v157, v150
	s_delay_alu instid0(VALU_DEP_3) | instskip(NEXT) | instid1(VALU_DEP_2)
	v_pk_add_f32 v[78:79], v[78:79], v[160:161] neg_lo:[0,1] neg_hi:[0,1]
	v_pk_fma_f32 v[154:155], v[154:155], v[24:25], v[156:157] op_sel_hi:[1,1,0]
	s_delay_alu instid0(VALU_DEP_1) | instskip(SKIP_4) | instid1(VALU_DEP_1)
	v_mov_b32_e32 v159, v155
	ds_load_2addr_b64 v[154:157], v208 offset0:20 offset1:21
	v_pk_add_f32 v[114:115], v[114:115], v[158:159] neg_lo:[0,1] neg_hi:[0,1]
	s_wait_dscnt 0x0
	v_pk_mul_f32 v[158:159], v[154:155], v[152:153] op_sel:[0,1]
	v_pk_fma_f32 v[160:161], v[154:155], v[150:151], v[158:159] op_sel:[0,0,1] op_sel_hi:[1,1,0] neg_lo:[0,0,1] neg_hi:[0,0,1]
	v_pk_fma_f32 v[154:155], v[154:155], v[150:151], v[158:159] op_sel:[0,0,1] op_sel_hi:[1,0,0]
	s_delay_alu instid0(VALU_DEP_1) | instskip(SKIP_1) | instid1(VALU_DEP_1)
	v_mov_b32_e32 v161, v155
	v_pk_mul_f32 v[154:155], v[156:157], v[152:153] op_sel:[0,1]
	v_pk_fma_f32 v[158:159], v[156:157], v[150:151], v[154:155] op_sel:[0,0,1] op_sel_hi:[1,1,0] neg_lo:[0,0,1] neg_hi:[0,0,1]
	v_pk_fma_f32 v[154:155], v[156:157], v[150:151], v[154:155] op_sel:[0,0,1] op_sel_hi:[1,0,0]
	s_delay_alu instid0(VALU_DEP_1)
	v_mov_b32_e32 v159, v155
	ds_load_2addr_b64 v[154:157], v208 offset0:22 offset1:23
	v_pk_add_f32 v[128:129], v[128:129], v[160:161] neg_lo:[0,1] neg_hi:[0,1]
	v_pk_add_f32 v[126:127], v[126:127], v[158:159] neg_lo:[0,1] neg_hi:[0,1]
	s_wait_dscnt 0x0
	v_pk_mul_f32 v[158:159], v[154:155], v[152:153] op_sel:[0,1]
	s_delay_alu instid0(VALU_DEP_1) | instskip(SKIP_1) | instid1(VALU_DEP_1)
	v_pk_fma_f32 v[160:161], v[154:155], v[150:151], v[158:159] op_sel:[0,0,1] op_sel_hi:[1,1,0] neg_lo:[0,0,1] neg_hi:[0,0,1]
	v_pk_fma_f32 v[154:155], v[154:155], v[150:151], v[158:159] op_sel:[0,0,1] op_sel_hi:[1,0,0]
	v_mov_b32_e32 v161, v155
	v_pk_mul_f32 v[154:155], v[156:157], v[152:153] op_sel:[0,1]
	s_delay_alu instid0(VALU_DEP_1) | instskip(SKIP_1) | instid1(VALU_DEP_1)
	v_pk_fma_f32 v[158:159], v[156:157], v[150:151], v[154:155] op_sel:[0,0,1] op_sel_hi:[1,1,0] neg_lo:[0,0,1] neg_hi:[0,0,1]
	v_pk_fma_f32 v[154:155], v[156:157], v[150:151], v[154:155] op_sel:[0,0,1] op_sel_hi:[1,0,0]
	v_mov_b32_e32 v159, v155
	ds_load_2addr_b64 v[154:157], v208 offset0:24 offset1:25
	v_pk_add_f32 v[136:137], v[136:137], v[160:161] neg_lo:[0,1] neg_hi:[0,1]
	v_pk_add_f32 v[124:125], v[124:125], v[158:159] neg_lo:[0,1] neg_hi:[0,1]
	s_wait_dscnt 0x0
	v_dual_mul_f32 v158, v155, v153 :: v_dual_mul_f32 v160, v155, v150
	s_delay_alu instid0(VALU_DEP_1) | instskip(NEXT) | instid1(VALU_DEP_2)
	v_pk_fma_f32 v[158:159], v[154:155], v[24:25], v[158:159] op_sel_hi:[1,1,0] neg_lo:[0,0,1] neg_hi:[0,0,1]
	v_pk_fma_f32 v[154:155], v[154:155], v[24:25], v[160:161] op_sel:[1,0,0] op_sel_hi:[0,1,0]
	s_delay_alu instid0(VALU_DEP_1) | instskip(SKIP_1) | instid1(VALU_DEP_2)
	v_mov_b32_e32 v159, v155
	v_pk_mul_f32 v[154:155], v[156:157], v[152:153] op_sel:[0,1]
	v_pk_add_f32 v[132:133], v[132:133], v[158:159] neg_lo:[0,1] neg_hi:[0,1]
	s_delay_alu instid0(VALU_DEP_2) | instskip(SKIP_1) | instid1(VALU_DEP_1)
	v_pk_fma_f32 v[158:159], v[156:157], v[150:151], v[154:155] op_sel:[0,0,1] op_sel_hi:[1,1,0] neg_lo:[0,0,1] neg_hi:[0,0,1]
	v_pk_fma_f32 v[154:155], v[156:157], v[150:151], v[154:155] op_sel:[0,0,1] op_sel_hi:[1,0,0]
	v_mov_b32_e32 v159, v155
	ds_load_2addr_b64 v[154:157], v208 offset0:26 offset1:27
	v_pk_add_f32 v[102:103], v[102:103], v[158:159] neg_lo:[0,1] neg_hi:[0,1]
	s_wait_dscnt 0x0
	v_pk_mul_f32 v[158:159], v[154:155], v[152:153] op_sel:[0,1]
	s_delay_alu instid0(VALU_DEP_1) | instskip(SKIP_1) | instid1(VALU_DEP_1)
	v_pk_fma_f32 v[160:161], v[154:155], v[150:151], v[158:159] op_sel:[0,0,1] op_sel_hi:[1,1,0] neg_lo:[0,0,1] neg_hi:[0,0,1]
	v_pk_fma_f32 v[154:155], v[154:155], v[150:151], v[158:159] op_sel:[0,0,1] op_sel_hi:[1,0,0]
	v_mov_b32_e32 v161, v155
	v_pk_mul_f32 v[154:155], v[156:157], v[152:153] op_sel:[0,1]
	s_delay_alu instid0(VALU_DEP_2) | instskip(NEXT) | instid1(VALU_DEP_2)
	v_pk_add_f32 v[104:105], v[104:105], v[160:161] neg_lo:[0,1] neg_hi:[0,1]
	v_pk_fma_f32 v[158:159], v[156:157], v[150:151], v[154:155] op_sel:[0,0,1] op_sel_hi:[1,1,0] neg_lo:[0,0,1] neg_hi:[0,0,1]
	v_pk_fma_f32 v[154:155], v[156:157], v[150:151], v[154:155] op_sel:[0,0,1] op_sel_hi:[1,0,0]
	s_delay_alu instid0(VALU_DEP_1) | instskip(SKIP_4) | instid1(VALU_DEP_1)
	v_mov_b32_e32 v159, v155
	ds_load_2addr_b64 v[154:157], v208 offset0:28 offset1:29
	v_pk_add_f32 v[100:101], v[100:101], v[158:159] neg_lo:[0,1] neg_hi:[0,1]
	s_wait_dscnt 0x0
	v_pk_mul_f32 v[158:159], v[154:155], v[152:153] op_sel:[0,1]
	v_pk_fma_f32 v[160:161], v[154:155], v[150:151], v[158:159] op_sel:[0,0,1] op_sel_hi:[1,1,0] neg_lo:[0,0,1] neg_hi:[0,0,1]
	v_pk_fma_f32 v[154:155], v[154:155], v[150:151], v[158:159] op_sel:[0,0,1] op_sel_hi:[1,0,0]
	v_dual_mul_f32 v158, v157, v153 :: v_dual_mov_b32 v154, v157
	s_delay_alu instid0(VALU_DEP_2) | instskip(NEXT) | instid1(VALU_DEP_2)
	v_dual_mov_b32 v161, v155 :: v_dual_mov_b32 v155, v156
	v_pk_fma_f32 v[158:159], v[156:157], v[24:25], v[158:159] op_sel_hi:[1,1,0] neg_lo:[0,0,1] neg_hi:[0,0,1]
	v_mul_f32_e32 v156, v157, v150
	s_delay_alu instid0(VALU_DEP_3) | instskip(NEXT) | instid1(VALU_DEP_2)
	v_pk_add_f32 v[118:119], v[118:119], v[160:161] neg_lo:[0,1] neg_hi:[0,1]
	v_pk_fma_f32 v[154:155], v[154:155], v[24:25], v[156:157] op_sel_hi:[1,1,0]
	s_delay_alu instid0(VALU_DEP_1) | instskip(SKIP_4) | instid1(VALU_DEP_1)
	v_mov_b32_e32 v159, v155
	ds_load_2addr_b64 v[154:157], v208 offset0:30 offset1:31
	v_pk_add_f32 v[116:117], v[116:117], v[158:159] neg_lo:[0,1] neg_hi:[0,1]
	s_wait_dscnt 0x0
	v_pk_mul_f32 v[158:159], v[154:155], v[152:153] op_sel:[0,1]
	v_pk_fma_f32 v[160:161], v[154:155], v[150:151], v[158:159] op_sel:[0,0,1] op_sel_hi:[1,1,0] neg_lo:[0,0,1] neg_hi:[0,0,1]
	v_pk_fma_f32 v[154:155], v[154:155], v[150:151], v[158:159] op_sel:[0,0,1] op_sel_hi:[1,0,0]
	s_delay_alu instid0(VALU_DEP_1) | instskip(SKIP_1) | instid1(VALU_DEP_1)
	v_mov_b32_e32 v161, v155
	v_pk_mul_f32 v[154:155], v[156:157], v[152:153] op_sel:[0,1]
	v_pk_fma_f32 v[158:159], v[156:157], v[150:151], v[154:155] op_sel:[0,0,1] op_sel_hi:[1,1,0] neg_lo:[0,0,1] neg_hi:[0,0,1]
	v_pk_fma_f32 v[154:155], v[156:157], v[150:151], v[154:155] op_sel:[0,0,1] op_sel_hi:[1,0,0]
	s_delay_alu instid0(VALU_DEP_1)
	v_mov_b32_e32 v159, v155
	ds_load_2addr_b64 v[154:157], v208 offset0:32 offset1:33
	v_pk_add_f32 v[130:131], v[130:131], v[160:161] neg_lo:[0,1] neg_hi:[0,1]
	v_pk_add_f32 v[122:123], v[122:123], v[158:159] neg_lo:[0,1] neg_hi:[0,1]
	s_wait_dscnt 0x0
	v_pk_mul_f32 v[158:159], v[154:155], v[152:153] op_sel:[0,1]
	v_pk_mul_f32 v[152:153], v[156:157], v[152:153] op_sel:[0,1]
	s_delay_alu instid0(VALU_DEP_2) | instskip(SKIP_1) | instid1(VALU_DEP_1)
	v_pk_fma_f32 v[160:161], v[154:155], v[150:151], v[158:159] op_sel:[0,0,1] op_sel_hi:[1,1,0] neg_lo:[0,0,1] neg_hi:[0,0,1]
	v_pk_fma_f32 v[154:155], v[154:155], v[150:151], v[158:159] op_sel:[0,0,1] op_sel_hi:[1,0,0]
	v_mov_b32_e32 v161, v155
	s_delay_alu instid0(VALU_DEP_4) | instskip(SKIP_1) | instid1(VALU_DEP_1)
	v_pk_fma_f32 v[154:155], v[156:157], v[150:151], v[152:153] op_sel:[0,0,1] op_sel_hi:[1,1,0] neg_lo:[0,0,1] neg_hi:[0,0,1]
	v_pk_fma_f32 v[150:151], v[156:157], v[150:151], v[152:153] op_sel:[0,0,1] op_sel_hi:[1,0,0]
	v_mov_b32_e32 v155, v151
	s_delay_alu instid0(VALU_DEP_4) | instskip(NEXT) | instid1(VALU_DEP_2)
	v_pk_add_f32 v[120:121], v[120:121], v[160:161] neg_lo:[0,1] neg_hi:[0,1]
	v_pk_add_f32 v[134:135], v[134:135], v[154:155] neg_lo:[0,1] neg_hi:[0,1]
.LBB67_55:
	s_or_b32 exec_lo, exec_lo, s1
	s_delay_alu instid0(SALU_CYCLE_1)
	s_mov_b32 s2, exec_lo
	s_wait_dscnt 0x0
	s_barrier_signal -1
	s_barrier_wait -1
	v_cmpx_eq_u32_e32 6, v206
	s_cbranch_execz .LBB67_62
; %bb.56:
	ds_store_b64 v207, v[26:27]
	ds_store_2addr_b64 v208, v[22:23], v[40:41] offset0:7 offset1:8
	ds_store_2addr_b64 v208, v[36:37], v[38:39] offset0:9 offset1:10
	;; [unrolled: 1-line block ×13, first 2 shown]
	ds_store_b64 v208, v[134:135] offset:264
	ds_load_b64 v[150:151], v207
	s_wait_dscnt 0x0
	v_cmp_neq_f32_e32 vcc_lo, 0, v150
	v_cmp_neq_f32_e64 s1, 0, v151
	s_or_b32 s1, vcc_lo, s1
	s_delay_alu instid0(SALU_CYCLE_1)
	s_and_b32 exec_lo, exec_lo, s1
	s_cbranch_execz .LBB67_62
; %bb.57:
	v_cmp_ngt_f32_e64 s1, |v150|, |v151|
                                        ; implicit-def: $vgpr152_vgpr153
	s_and_saveexec_b32 s4, s1
	s_delay_alu instid0(SALU_CYCLE_1)
	s_xor_b32 s1, exec_lo, s4
	s_cbranch_execz .LBB67_59
; %bb.58:
	v_div_scale_f32 v152, null, v151, v151, v150
	v_div_scale_f32 v155, vcc_lo, v150, v151, v150
	s_delay_alu instid0(VALU_DEP_2) | instskip(SKIP_1) | instid1(TRANS32_DEP_1)
	v_rcp_f32_e32 v153, v152
	v_nop
	v_fma_f32 v154, -v152, v153, 1.0
	s_delay_alu instid0(VALU_DEP_1) | instskip(NEXT) | instid1(VALU_DEP_1)
	v_fmac_f32_e32 v153, v154, v153
	v_mul_f32_e32 v154, v155, v153
	s_delay_alu instid0(VALU_DEP_1) | instskip(NEXT) | instid1(VALU_DEP_1)
	v_fma_f32 v156, -v152, v154, v155
	v_fmac_f32_e32 v154, v156, v153
	s_delay_alu instid0(VALU_DEP_1) | instskip(NEXT) | instid1(VALU_DEP_1)
	v_fma_f32 v152, -v152, v154, v155
	v_div_fmas_f32 v152, v152, v153, v154
	s_delay_alu instid0(VALU_DEP_1) | instskip(NEXT) | instid1(VALU_DEP_1)
	v_div_fixup_f32 v152, v152, v151, v150
	v_fmac_f32_e32 v151, v150, v152
	s_delay_alu instid0(VALU_DEP_1) | instskip(SKIP_1) | instid1(VALU_DEP_2)
	v_div_scale_f32 v150, null, v151, v151, 1.0
	v_div_scale_f32 v155, vcc_lo, 1.0, v151, 1.0
	v_rcp_f32_e32 v153, v150
	v_nop
	s_delay_alu instid0(TRANS32_DEP_1) | instskip(NEXT) | instid1(VALU_DEP_1)
	v_fma_f32 v154, -v150, v153, 1.0
	v_fmac_f32_e32 v153, v154, v153
	s_delay_alu instid0(VALU_DEP_1) | instskip(NEXT) | instid1(VALU_DEP_1)
	v_mul_f32_e32 v154, v155, v153
	v_fma_f32 v156, -v150, v154, v155
	s_delay_alu instid0(VALU_DEP_1) | instskip(NEXT) | instid1(VALU_DEP_1)
	v_fmac_f32_e32 v154, v156, v153
	v_fma_f32 v150, -v150, v154, v155
	s_delay_alu instid0(VALU_DEP_1) | instskip(NEXT) | instid1(VALU_DEP_1)
	v_div_fmas_f32 v150, v150, v153, v154
	v_div_fixup_f32 v150, v150, v151, 1.0
	s_delay_alu instid0(VALU_DEP_1)
	v_mul_f32_e32 v152, v152, v150
	v_xor_b32_e32 v153, 0x80000000, v150
                                        ; implicit-def: $vgpr150_vgpr151
.LBB67_59:
	s_and_not1_saveexec_b32 s1, s1
	s_cbranch_execz .LBB67_61
; %bb.60:
	v_div_scale_f32 v152, null, v150, v150, v151
	v_div_scale_f32 v155, vcc_lo, v151, v150, v151
	s_delay_alu instid0(VALU_DEP_2) | instskip(SKIP_1) | instid1(TRANS32_DEP_1)
	v_rcp_f32_e32 v153, v152
	v_nop
	v_fma_f32 v154, -v152, v153, 1.0
	s_delay_alu instid0(VALU_DEP_1) | instskip(NEXT) | instid1(VALU_DEP_1)
	v_fmac_f32_e32 v153, v154, v153
	v_mul_f32_e32 v154, v155, v153
	s_delay_alu instid0(VALU_DEP_1) | instskip(NEXT) | instid1(VALU_DEP_1)
	v_fma_f32 v156, -v152, v154, v155
	v_fmac_f32_e32 v154, v156, v153
	s_delay_alu instid0(VALU_DEP_1) | instskip(NEXT) | instid1(VALU_DEP_1)
	v_fma_f32 v152, -v152, v154, v155
	v_div_fmas_f32 v152, v152, v153, v154
	s_delay_alu instid0(VALU_DEP_1) | instskip(NEXT) | instid1(VALU_DEP_1)
	v_div_fixup_f32 v153, v152, v150, v151
	v_fmac_f32_e32 v150, v151, v153
	s_delay_alu instid0(VALU_DEP_1) | instskip(NEXT) | instid1(VALU_DEP_1)
	v_div_scale_f32 v151, null, v150, v150, 1.0
	v_rcp_f32_e32 v152, v151
	v_nop
	s_delay_alu instid0(TRANS32_DEP_1) | instskip(NEXT) | instid1(VALU_DEP_1)
	v_fma_f32 v154, -v151, v152, 1.0
	v_fmac_f32_e32 v152, v154, v152
	v_div_scale_f32 v154, vcc_lo, 1.0, v150, 1.0
	s_delay_alu instid0(VALU_DEP_1) | instskip(NEXT) | instid1(VALU_DEP_1)
	v_mul_f32_e32 v155, v154, v152
	v_fma_f32 v156, -v151, v155, v154
	s_delay_alu instid0(VALU_DEP_1) | instskip(NEXT) | instid1(VALU_DEP_1)
	v_fmac_f32_e32 v155, v156, v152
	v_fma_f32 v151, -v151, v155, v154
	s_delay_alu instid0(VALU_DEP_1) | instskip(NEXT) | instid1(VALU_DEP_1)
	v_div_fmas_f32 v151, v151, v152, v155
	v_div_fixup_f32 v152, v151, v150, 1.0
	s_delay_alu instid0(VALU_DEP_1)
	v_mul_f32_e64 v153, v153, -v152
.LBB67_61:
	s_or_b32 exec_lo, exec_lo, s1
	ds_store_b64 v207, v[152:153]
.LBB67_62:
	s_or_b32 exec_lo, exec_lo, s2
	s_wait_dscnt 0x0
	s_barrier_signal -1
	s_barrier_wait -1
	ds_load_b64 v[150:151], v207
	s_mov_b32 s1, exec_lo
	v_cmpx_lt_u32_e32 6, v206
	s_cbranch_execz .LBB67_64
; %bb.63:
	ds_load_2addr_b64 v[156:159], v208 offset0:7 offset1:8
	s_wait_dscnt 0x1
	v_pk_mul_f32 v[154:155], v[150:151], v[26:27] op_sel:[1,1] op_sel_hi:[0,1]
	s_delay_alu instid0(VALU_DEP_1) | instskip(SKIP_1) | instid1(VALU_DEP_1)
	v_pk_fma_f32 v[152:153], v[150:151], v[26:27], v[154:155] op_sel_hi:[1,0,1] neg_lo:[0,0,1] neg_hi:[0,0,1]
	v_pk_fma_f32 v[154:155], v[150:151], v[26:27], v[154:155] op_sel_hi:[1,0,1]
	v_dual_mov_b32 v26, v152 :: v_dual_mov_b32 v27, v155
	s_wait_dscnt 0x0
	s_delay_alu instid0(VALU_DEP_2) | instskip(NEXT) | instid1(VALU_DEP_1)
	v_pk_mul_f32 v[160:161], v[156:157], v[154:155] op_sel:[0,1]
	v_pk_fma_f32 v[162:163], v[156:157], v[152:153], v[160:161] op_sel:[0,0,1] op_sel_hi:[1,1,0] neg_lo:[0,0,1] neg_hi:[0,0,1]
	v_pk_fma_f32 v[156:157], v[156:157], v[152:153], v[160:161] op_sel:[0,0,1] op_sel_hi:[1,0,0]
	s_delay_alu instid0(VALU_DEP_1) | instskip(SKIP_1) | instid1(VALU_DEP_1)
	v_mov_b32_e32 v163, v157
	v_pk_mul_f32 v[156:157], v[158:159], v[154:155] op_sel:[0,1]
	v_pk_fma_f32 v[160:161], v[158:159], v[152:153], v[156:157] op_sel:[0,0,1] op_sel_hi:[1,1,0] neg_lo:[0,0,1] neg_hi:[0,0,1]
	v_pk_fma_f32 v[156:157], v[158:159], v[152:153], v[156:157] op_sel:[0,0,1] op_sel_hi:[1,0,0]
	s_delay_alu instid0(VALU_DEP_1)
	v_mov_b32_e32 v161, v157
	ds_load_2addr_b64 v[156:159], v208 offset0:9 offset1:10
	v_pk_add_f32 v[22:23], v[22:23], v[162:163] neg_lo:[0,1] neg_hi:[0,1]
	v_pk_add_f32 v[40:41], v[40:41], v[160:161] neg_lo:[0,1] neg_hi:[0,1]
	s_wait_dscnt 0x0
	v_pk_mul_f32 v[160:161], v[156:157], v[154:155] op_sel:[0,1]
	s_delay_alu instid0(VALU_DEP_1) | instskip(SKIP_2) | instid1(VALU_DEP_2)
	v_pk_fma_f32 v[162:163], v[156:157], v[152:153], v[160:161] op_sel:[0,0,1] op_sel_hi:[1,1,0] neg_lo:[0,0,1] neg_hi:[0,0,1]
	v_pk_fma_f32 v[156:157], v[156:157], v[152:153], v[160:161] op_sel:[0,0,1] op_sel_hi:[1,0,0]
	v_dual_mul_f32 v160, v159, v155 :: v_dual_mov_b32 v156, v159
	v_dual_mov_b32 v163, v157 :: v_dual_mov_b32 v157, v158
	s_delay_alu instid0(VALU_DEP_2) | instskip(SKIP_1) | instid1(VALU_DEP_3)
	v_pk_fma_f32 v[160:161], v[158:159], v[26:27], v[160:161] op_sel_hi:[1,1,0] neg_lo:[0,0,1] neg_hi:[0,0,1]
	v_mul_f32_e32 v158, v159, v152
	v_pk_add_f32 v[36:37], v[36:37], v[162:163] neg_lo:[0,1] neg_hi:[0,1]
	s_delay_alu instid0(VALU_DEP_2) | instskip(NEXT) | instid1(VALU_DEP_1)
	v_pk_fma_f32 v[156:157], v[156:157], v[26:27], v[158:159] op_sel_hi:[1,1,0]
	v_mov_b32_e32 v161, v157
	ds_load_2addr_b64 v[156:159], v208 offset0:11 offset1:12
	v_pk_add_f32 v[38:39], v[38:39], v[160:161] neg_lo:[0,1] neg_hi:[0,1]
	s_wait_dscnt 0x0
	v_pk_mul_f32 v[160:161], v[156:157], v[154:155] op_sel:[0,1]
	s_delay_alu instid0(VALU_DEP_1) | instskip(SKIP_1) | instid1(VALU_DEP_1)
	v_pk_fma_f32 v[162:163], v[156:157], v[152:153], v[160:161] op_sel:[0,0,1] op_sel_hi:[1,1,0] neg_lo:[0,0,1] neg_hi:[0,0,1]
	v_pk_fma_f32 v[156:157], v[156:157], v[152:153], v[160:161] op_sel:[0,0,1] op_sel_hi:[1,0,0]
	v_mov_b32_e32 v163, v157
	v_pk_mul_f32 v[156:157], v[158:159], v[154:155] op_sel:[0,1]
	s_delay_alu instid0(VALU_DEP_1) | instskip(SKIP_1) | instid1(VALU_DEP_1)
	v_pk_fma_f32 v[160:161], v[158:159], v[152:153], v[156:157] op_sel:[0,0,1] op_sel_hi:[1,1,0] neg_lo:[0,0,1] neg_hi:[0,0,1]
	v_pk_fma_f32 v[156:157], v[158:159], v[152:153], v[156:157] op_sel:[0,0,1] op_sel_hi:[1,0,0]
	v_mov_b32_e32 v161, v157
	ds_load_2addr_b64 v[156:159], v208 offset0:13 offset1:14
	v_pk_add_f32 v[34:35], v[34:35], v[162:163] neg_lo:[0,1] neg_hi:[0,1]
	v_pk_add_f32 v[62:63], v[62:63], v[160:161] neg_lo:[0,1] neg_hi:[0,1]
	s_wait_dscnt 0x0
	v_pk_mul_f32 v[160:161], v[156:157], v[154:155] op_sel:[0,1]
	s_delay_alu instid0(VALU_DEP_1) | instskip(SKIP_1) | instid1(VALU_DEP_1)
	v_pk_fma_f32 v[162:163], v[156:157], v[152:153], v[160:161] op_sel:[0,0,1] op_sel_hi:[1,1,0] neg_lo:[0,0,1] neg_hi:[0,0,1]
	v_pk_fma_f32 v[156:157], v[156:157], v[152:153], v[160:161] op_sel:[0,0,1] op_sel_hi:[1,0,0]
	v_mov_b32_e32 v163, v157
	v_pk_mul_f32 v[156:157], v[158:159], v[154:155] op_sel:[0,1]
	s_delay_alu instid0(VALU_DEP_1) | instskip(SKIP_1) | instid1(VALU_DEP_1)
	v_pk_fma_f32 v[160:161], v[158:159], v[152:153], v[156:157] op_sel:[0,0,1] op_sel_hi:[1,1,0] neg_lo:[0,0,1] neg_hi:[0,0,1]
	v_pk_fma_f32 v[156:157], v[158:159], v[152:153], v[156:157] op_sel:[0,0,1] op_sel_hi:[1,0,0]
	v_mov_b32_e32 v161, v157
	ds_load_2addr_b64 v[156:159], v208 offset0:15 offset1:16
	v_pk_add_f32 v[58:59], v[58:59], v[162:163] neg_lo:[0,1] neg_hi:[0,1]
	v_pk_add_f32 v[60:61], v[60:61], v[160:161] neg_lo:[0,1] neg_hi:[0,1]
	s_wait_dscnt 0x0
	v_dual_mul_f32 v160, v157, v155 :: v_dual_mul_f32 v162, v157, v152
	s_delay_alu instid0(VALU_DEP_1) | instskip(NEXT) | instid1(VALU_DEP_2)
	v_pk_fma_f32 v[160:161], v[156:157], v[26:27], v[160:161] op_sel_hi:[1,1,0] neg_lo:[0,0,1] neg_hi:[0,0,1]
	v_pk_fma_f32 v[156:157], v[156:157], v[26:27], v[162:163] op_sel:[1,0,0] op_sel_hi:[0,1,0]
	s_delay_alu instid0(VALU_DEP_1) | instskip(SKIP_1) | instid1(VALU_DEP_2)
	v_mov_b32_e32 v161, v157
	v_pk_mul_f32 v[156:157], v[158:159], v[154:155] op_sel:[0,1]
	v_pk_add_f32 v[56:57], v[56:57], v[160:161] neg_lo:[0,1] neg_hi:[0,1]
	s_delay_alu instid0(VALU_DEP_2) | instskip(SKIP_1) | instid1(VALU_DEP_1)
	v_pk_fma_f32 v[160:161], v[158:159], v[152:153], v[156:157] op_sel:[0,0,1] op_sel_hi:[1,1,0] neg_lo:[0,0,1] neg_hi:[0,0,1]
	v_pk_fma_f32 v[156:157], v[158:159], v[152:153], v[156:157] op_sel:[0,0,1] op_sel_hi:[1,0,0]
	v_mov_b32_e32 v161, v157
	ds_load_2addr_b64 v[156:159], v208 offset0:17 offset1:18
	v_pk_add_f32 v[80:81], v[80:81], v[160:161] neg_lo:[0,1] neg_hi:[0,1]
	s_wait_dscnt 0x0
	v_pk_mul_f32 v[160:161], v[156:157], v[154:155] op_sel:[0,1]
	s_delay_alu instid0(VALU_DEP_1) | instskip(SKIP_1) | instid1(VALU_DEP_1)
	v_pk_fma_f32 v[162:163], v[156:157], v[152:153], v[160:161] op_sel:[0,0,1] op_sel_hi:[1,1,0] neg_lo:[0,0,1] neg_hi:[0,0,1]
	v_pk_fma_f32 v[156:157], v[156:157], v[152:153], v[160:161] op_sel:[0,0,1] op_sel_hi:[1,0,0]
	v_mov_b32_e32 v163, v157
	v_pk_mul_f32 v[156:157], v[158:159], v[154:155] op_sel:[0,1]
	s_delay_alu instid0(VALU_DEP_2) | instskip(NEXT) | instid1(VALU_DEP_2)
	v_pk_add_f32 v[76:77], v[76:77], v[162:163] neg_lo:[0,1] neg_hi:[0,1]
	v_pk_fma_f32 v[160:161], v[158:159], v[152:153], v[156:157] op_sel:[0,0,1] op_sel_hi:[1,1,0] neg_lo:[0,0,1] neg_hi:[0,0,1]
	v_pk_fma_f32 v[156:157], v[158:159], v[152:153], v[156:157] op_sel:[0,0,1] op_sel_hi:[1,0,0]
	s_delay_alu instid0(VALU_DEP_1) | instskip(SKIP_4) | instid1(VALU_DEP_1)
	v_mov_b32_e32 v161, v157
	ds_load_2addr_b64 v[156:159], v208 offset0:19 offset1:20
	v_pk_add_f32 v[78:79], v[78:79], v[160:161] neg_lo:[0,1] neg_hi:[0,1]
	s_wait_dscnt 0x0
	v_pk_mul_f32 v[160:161], v[156:157], v[154:155] op_sel:[0,1]
	v_pk_fma_f32 v[162:163], v[156:157], v[152:153], v[160:161] op_sel:[0,0,1] op_sel_hi:[1,1,0] neg_lo:[0,0,1] neg_hi:[0,0,1]
	v_pk_fma_f32 v[156:157], v[156:157], v[152:153], v[160:161] op_sel:[0,0,1] op_sel_hi:[1,0,0]
	v_dual_mul_f32 v160, v159, v155 :: v_dual_mov_b32 v156, v159
	s_delay_alu instid0(VALU_DEP_2) | instskip(NEXT) | instid1(VALU_DEP_2)
	v_dual_mov_b32 v163, v157 :: v_dual_mov_b32 v157, v158
	v_pk_fma_f32 v[160:161], v[158:159], v[26:27], v[160:161] op_sel_hi:[1,1,0] neg_lo:[0,0,1] neg_hi:[0,0,1]
	v_mul_f32_e32 v158, v159, v152
	s_delay_alu instid0(VALU_DEP_3) | instskip(NEXT) | instid1(VALU_DEP_2)
	v_pk_add_f32 v[114:115], v[114:115], v[162:163] neg_lo:[0,1] neg_hi:[0,1]
	v_pk_fma_f32 v[156:157], v[156:157], v[26:27], v[158:159] op_sel_hi:[1,1,0]
	s_delay_alu instid0(VALU_DEP_1) | instskip(SKIP_4) | instid1(VALU_DEP_1)
	v_mov_b32_e32 v161, v157
	ds_load_2addr_b64 v[156:159], v208 offset0:21 offset1:22
	v_pk_add_f32 v[128:129], v[128:129], v[160:161] neg_lo:[0,1] neg_hi:[0,1]
	s_wait_dscnt 0x0
	v_pk_mul_f32 v[160:161], v[156:157], v[154:155] op_sel:[0,1]
	v_pk_fma_f32 v[162:163], v[156:157], v[152:153], v[160:161] op_sel:[0,0,1] op_sel_hi:[1,1,0] neg_lo:[0,0,1] neg_hi:[0,0,1]
	v_pk_fma_f32 v[156:157], v[156:157], v[152:153], v[160:161] op_sel:[0,0,1] op_sel_hi:[1,0,0]
	s_delay_alu instid0(VALU_DEP_1) | instskip(SKIP_1) | instid1(VALU_DEP_1)
	v_mov_b32_e32 v163, v157
	v_pk_mul_f32 v[156:157], v[158:159], v[154:155] op_sel:[0,1]
	v_pk_fma_f32 v[160:161], v[158:159], v[152:153], v[156:157] op_sel:[0,0,1] op_sel_hi:[1,1,0] neg_lo:[0,0,1] neg_hi:[0,0,1]
	v_pk_fma_f32 v[156:157], v[158:159], v[152:153], v[156:157] op_sel:[0,0,1] op_sel_hi:[1,0,0]
	s_delay_alu instid0(VALU_DEP_1)
	v_mov_b32_e32 v161, v157
	ds_load_2addr_b64 v[156:159], v208 offset0:23 offset1:24
	v_pk_add_f32 v[126:127], v[126:127], v[162:163] neg_lo:[0,1] neg_hi:[0,1]
	v_pk_add_f32 v[136:137], v[136:137], v[160:161] neg_lo:[0,1] neg_hi:[0,1]
	s_wait_dscnt 0x0
	v_pk_mul_f32 v[160:161], v[156:157], v[154:155] op_sel:[0,1]
	s_delay_alu instid0(VALU_DEP_1) | instskip(SKIP_1) | instid1(VALU_DEP_1)
	v_pk_fma_f32 v[162:163], v[156:157], v[152:153], v[160:161] op_sel:[0,0,1] op_sel_hi:[1,1,0] neg_lo:[0,0,1] neg_hi:[0,0,1]
	v_pk_fma_f32 v[156:157], v[156:157], v[152:153], v[160:161] op_sel:[0,0,1] op_sel_hi:[1,0,0]
	v_mov_b32_e32 v163, v157
	v_pk_mul_f32 v[156:157], v[158:159], v[154:155] op_sel:[0,1]
	s_delay_alu instid0(VALU_DEP_1) | instskip(SKIP_1) | instid1(VALU_DEP_1)
	v_pk_fma_f32 v[160:161], v[158:159], v[152:153], v[156:157] op_sel:[0,0,1] op_sel_hi:[1,1,0] neg_lo:[0,0,1] neg_hi:[0,0,1]
	v_pk_fma_f32 v[156:157], v[158:159], v[152:153], v[156:157] op_sel:[0,0,1] op_sel_hi:[1,0,0]
	v_mov_b32_e32 v161, v157
	ds_load_2addr_b64 v[156:159], v208 offset0:25 offset1:26
	v_pk_add_f32 v[124:125], v[124:125], v[162:163] neg_lo:[0,1] neg_hi:[0,1]
	v_pk_add_f32 v[132:133], v[132:133], v[160:161] neg_lo:[0,1] neg_hi:[0,1]
	s_wait_dscnt 0x0
	v_dual_mul_f32 v160, v157, v155 :: v_dual_mul_f32 v162, v157, v152
	s_delay_alu instid0(VALU_DEP_1) | instskip(NEXT) | instid1(VALU_DEP_2)
	v_pk_fma_f32 v[160:161], v[156:157], v[26:27], v[160:161] op_sel_hi:[1,1,0] neg_lo:[0,0,1] neg_hi:[0,0,1]
	v_pk_fma_f32 v[156:157], v[156:157], v[26:27], v[162:163] op_sel:[1,0,0] op_sel_hi:[0,1,0]
	s_delay_alu instid0(VALU_DEP_1) | instskip(SKIP_1) | instid1(VALU_DEP_2)
	v_mov_b32_e32 v161, v157
	v_pk_mul_f32 v[156:157], v[158:159], v[154:155] op_sel:[0,1]
	v_pk_add_f32 v[102:103], v[102:103], v[160:161] neg_lo:[0,1] neg_hi:[0,1]
	s_delay_alu instid0(VALU_DEP_2) | instskip(SKIP_1) | instid1(VALU_DEP_1)
	v_pk_fma_f32 v[160:161], v[158:159], v[152:153], v[156:157] op_sel:[0,0,1] op_sel_hi:[1,1,0] neg_lo:[0,0,1] neg_hi:[0,0,1]
	v_pk_fma_f32 v[156:157], v[158:159], v[152:153], v[156:157] op_sel:[0,0,1] op_sel_hi:[1,0,0]
	v_mov_b32_e32 v161, v157
	ds_load_2addr_b64 v[156:159], v208 offset0:27 offset1:28
	v_pk_add_f32 v[104:105], v[104:105], v[160:161] neg_lo:[0,1] neg_hi:[0,1]
	s_wait_dscnt 0x0
	v_pk_mul_f32 v[160:161], v[156:157], v[154:155] op_sel:[0,1]
	s_delay_alu instid0(VALU_DEP_1) | instskip(SKIP_1) | instid1(VALU_DEP_1)
	v_pk_fma_f32 v[162:163], v[156:157], v[152:153], v[160:161] op_sel:[0,0,1] op_sel_hi:[1,1,0] neg_lo:[0,0,1] neg_hi:[0,0,1]
	v_pk_fma_f32 v[156:157], v[156:157], v[152:153], v[160:161] op_sel:[0,0,1] op_sel_hi:[1,0,0]
	v_mov_b32_e32 v163, v157
	v_pk_mul_f32 v[156:157], v[158:159], v[154:155] op_sel:[0,1]
	s_delay_alu instid0(VALU_DEP_2) | instskip(NEXT) | instid1(VALU_DEP_2)
	v_pk_add_f32 v[100:101], v[100:101], v[162:163] neg_lo:[0,1] neg_hi:[0,1]
	v_pk_fma_f32 v[160:161], v[158:159], v[152:153], v[156:157] op_sel:[0,0,1] op_sel_hi:[1,1,0] neg_lo:[0,0,1] neg_hi:[0,0,1]
	v_pk_fma_f32 v[156:157], v[158:159], v[152:153], v[156:157] op_sel:[0,0,1] op_sel_hi:[1,0,0]
	s_delay_alu instid0(VALU_DEP_1) | instskip(SKIP_4) | instid1(VALU_DEP_1)
	v_mov_b32_e32 v161, v157
	ds_load_2addr_b64 v[156:159], v208 offset0:29 offset1:30
	v_pk_add_f32 v[118:119], v[118:119], v[160:161] neg_lo:[0,1] neg_hi:[0,1]
	s_wait_dscnt 0x0
	v_pk_mul_f32 v[160:161], v[156:157], v[154:155] op_sel:[0,1]
	v_pk_fma_f32 v[162:163], v[156:157], v[152:153], v[160:161] op_sel:[0,0,1] op_sel_hi:[1,1,0] neg_lo:[0,0,1] neg_hi:[0,0,1]
	v_pk_fma_f32 v[156:157], v[156:157], v[152:153], v[160:161] op_sel:[0,0,1] op_sel_hi:[1,0,0]
	v_dual_mul_f32 v160, v159, v155 :: v_dual_mov_b32 v156, v159
	s_delay_alu instid0(VALU_DEP_2) | instskip(NEXT) | instid1(VALU_DEP_2)
	v_dual_mov_b32 v163, v157 :: v_dual_mov_b32 v157, v158
	v_pk_fma_f32 v[160:161], v[158:159], v[26:27], v[160:161] op_sel_hi:[1,1,0] neg_lo:[0,0,1] neg_hi:[0,0,1]
	v_mul_f32_e32 v158, v159, v152
	s_delay_alu instid0(VALU_DEP_3) | instskip(NEXT) | instid1(VALU_DEP_2)
	v_pk_add_f32 v[116:117], v[116:117], v[162:163] neg_lo:[0,1] neg_hi:[0,1]
	v_pk_fma_f32 v[156:157], v[156:157], v[26:27], v[158:159] op_sel_hi:[1,1,0]
	s_delay_alu instid0(VALU_DEP_1) | instskip(SKIP_4) | instid1(VALU_DEP_1)
	v_mov_b32_e32 v161, v157
	ds_load_2addr_b64 v[156:159], v208 offset0:31 offset1:32
	v_pk_add_f32 v[130:131], v[130:131], v[160:161] neg_lo:[0,1] neg_hi:[0,1]
	s_wait_dscnt 0x0
	v_pk_mul_f32 v[160:161], v[156:157], v[154:155] op_sel:[0,1]
	v_pk_fma_f32 v[162:163], v[156:157], v[152:153], v[160:161] op_sel:[0,0,1] op_sel_hi:[1,1,0] neg_lo:[0,0,1] neg_hi:[0,0,1]
	v_pk_fma_f32 v[156:157], v[156:157], v[152:153], v[160:161] op_sel:[0,0,1] op_sel_hi:[1,0,0]
	s_delay_alu instid0(VALU_DEP_1) | instskip(SKIP_1) | instid1(VALU_DEP_1)
	v_mov_b32_e32 v163, v157
	v_pk_mul_f32 v[156:157], v[158:159], v[154:155] op_sel:[0,1]
	v_pk_fma_f32 v[160:161], v[158:159], v[152:153], v[156:157] op_sel:[0,0,1] op_sel_hi:[1,1,0] neg_lo:[0,0,1] neg_hi:[0,0,1]
	v_pk_fma_f32 v[156:157], v[158:159], v[152:153], v[156:157] op_sel:[0,0,1] op_sel_hi:[1,0,0]
	s_delay_alu instid0(VALU_DEP_1)
	v_mov_b32_e32 v161, v157
	ds_load_b64 v[156:157], v208 offset:264
	v_pk_add_f32 v[122:123], v[122:123], v[162:163] neg_lo:[0,1] neg_hi:[0,1]
	v_pk_add_f32 v[120:121], v[120:121], v[160:161] neg_lo:[0,1] neg_hi:[0,1]
	s_wait_dscnt 0x0
	v_pk_mul_f32 v[154:155], v[156:157], v[154:155] op_sel:[0,1]
	s_delay_alu instid0(VALU_DEP_1) | instskip(SKIP_1) | instid1(VALU_DEP_1)
	v_pk_fma_f32 v[158:159], v[156:157], v[152:153], v[154:155] op_sel:[0,0,1] op_sel_hi:[1,1,0] neg_lo:[0,0,1] neg_hi:[0,0,1]
	v_pk_fma_f32 v[152:153], v[156:157], v[152:153], v[154:155] op_sel:[0,0,1] op_sel_hi:[1,0,0]
	v_mov_b32_e32 v159, v153
	s_delay_alu instid0(VALU_DEP_1)
	v_pk_add_f32 v[134:135], v[134:135], v[158:159] neg_lo:[0,1] neg_hi:[0,1]
.LBB67_64:
	s_or_b32 exec_lo, exec_lo, s1
	s_delay_alu instid0(SALU_CYCLE_1)
	s_mov_b32 s2, exec_lo
	s_wait_dscnt 0x0
	s_barrier_signal -1
	s_barrier_wait -1
	v_cmpx_eq_u32_e32 7, v206
	s_cbranch_execz .LBB67_71
; %bb.65:
	v_dual_mov_b32 v152, v40 :: v_dual_mov_b32 v153, v41
	v_dual_mov_b32 v154, v36 :: v_dual_mov_b32 v155, v37
	;; [unrolled: 1-line block ×4, first 2 shown]
	ds_store_b64 v207, v[22:23]
	ds_store_2addr_b64 v208, v[152:153], v[154:155] offset0:8 offset1:9
	ds_store_2addr_b64 v208, v[156:157], v[158:159] offset0:10 offset1:11
	v_dual_mov_b32 v152, v62 :: v_dual_mov_b32 v153, v63
	v_dual_mov_b32 v154, v58 :: v_dual_mov_b32 v155, v59
	;; [unrolled: 1-line block ×12, first 2 shown]
	ds_store_2addr_b64 v208, v[152:153], v[154:155] offset0:12 offset1:13
	ds_store_2addr_b64 v208, v[156:157], v[158:159] offset0:14 offset1:15
	;; [unrolled: 1-line block ×6, first 2 shown]
	v_dual_mov_b32 v152, v132 :: v_dual_mov_b32 v153, v133
	v_dual_mov_b32 v154, v102 :: v_dual_mov_b32 v155, v103
	;; [unrolled: 1-line block ×9, first 2 shown]
	ds_store_2addr_b64 v208, v[152:153], v[154:155] offset0:24 offset1:25
	ds_store_2addr_b64 v208, v[156:157], v[158:159] offset0:26 offset1:27
	;; [unrolled: 1-line block ×5, first 2 shown]
	ds_load_b64 v[152:153], v207
	s_wait_dscnt 0x0
	v_cmp_neq_f32_e32 vcc_lo, 0, v152
	v_cmp_neq_f32_e64 s1, 0, v153
	s_or_b32 s1, vcc_lo, s1
	s_delay_alu instid0(SALU_CYCLE_1)
	s_and_b32 exec_lo, exec_lo, s1
	s_cbranch_execz .LBB67_71
; %bb.66:
	v_cmp_ngt_f32_e64 s1, |v152|, |v153|
                                        ; implicit-def: $vgpr154_vgpr155
	s_and_saveexec_b32 s4, s1
	s_delay_alu instid0(SALU_CYCLE_1)
	s_xor_b32 s1, exec_lo, s4
	s_cbranch_execz .LBB67_68
; %bb.67:
	v_div_scale_f32 v154, null, v153, v153, v152
	v_div_scale_f32 v157, vcc_lo, v152, v153, v152
	s_delay_alu instid0(VALU_DEP_2) | instskip(SKIP_1) | instid1(TRANS32_DEP_1)
	v_rcp_f32_e32 v155, v154
	v_nop
	v_fma_f32 v156, -v154, v155, 1.0
	s_delay_alu instid0(VALU_DEP_1) | instskip(NEXT) | instid1(VALU_DEP_1)
	v_fmac_f32_e32 v155, v156, v155
	v_mul_f32_e32 v156, v157, v155
	s_delay_alu instid0(VALU_DEP_1) | instskip(NEXT) | instid1(VALU_DEP_1)
	v_fma_f32 v158, -v154, v156, v157
	v_fmac_f32_e32 v156, v158, v155
	s_delay_alu instid0(VALU_DEP_1) | instskip(NEXT) | instid1(VALU_DEP_1)
	v_fma_f32 v154, -v154, v156, v157
	v_div_fmas_f32 v154, v154, v155, v156
	s_delay_alu instid0(VALU_DEP_1) | instskip(NEXT) | instid1(VALU_DEP_1)
	v_div_fixup_f32 v154, v154, v153, v152
	v_fmac_f32_e32 v153, v152, v154
	s_delay_alu instid0(VALU_DEP_1) | instskip(SKIP_1) | instid1(VALU_DEP_2)
	v_div_scale_f32 v152, null, v153, v153, 1.0
	v_div_scale_f32 v157, vcc_lo, 1.0, v153, 1.0
	v_rcp_f32_e32 v155, v152
	v_nop
	s_delay_alu instid0(TRANS32_DEP_1) | instskip(NEXT) | instid1(VALU_DEP_1)
	v_fma_f32 v156, -v152, v155, 1.0
	v_fmac_f32_e32 v155, v156, v155
	s_delay_alu instid0(VALU_DEP_1) | instskip(NEXT) | instid1(VALU_DEP_1)
	v_mul_f32_e32 v156, v157, v155
	v_fma_f32 v158, -v152, v156, v157
	s_delay_alu instid0(VALU_DEP_1) | instskip(NEXT) | instid1(VALU_DEP_1)
	v_fmac_f32_e32 v156, v158, v155
	v_fma_f32 v152, -v152, v156, v157
	s_delay_alu instid0(VALU_DEP_1) | instskip(NEXT) | instid1(VALU_DEP_1)
	v_div_fmas_f32 v152, v152, v155, v156
	v_div_fixup_f32 v152, v152, v153, 1.0
	s_delay_alu instid0(VALU_DEP_1)
	v_mul_f32_e32 v154, v154, v152
	v_xor_b32_e32 v155, 0x80000000, v152
                                        ; implicit-def: $vgpr152_vgpr153
.LBB67_68:
	s_and_not1_saveexec_b32 s1, s1
	s_cbranch_execz .LBB67_70
; %bb.69:
	v_div_scale_f32 v154, null, v152, v152, v153
	v_div_scale_f32 v157, vcc_lo, v153, v152, v153
	s_delay_alu instid0(VALU_DEP_2) | instskip(SKIP_1) | instid1(TRANS32_DEP_1)
	v_rcp_f32_e32 v155, v154
	v_nop
	v_fma_f32 v156, -v154, v155, 1.0
	s_delay_alu instid0(VALU_DEP_1) | instskip(NEXT) | instid1(VALU_DEP_1)
	v_fmac_f32_e32 v155, v156, v155
	v_mul_f32_e32 v156, v157, v155
	s_delay_alu instid0(VALU_DEP_1) | instskip(NEXT) | instid1(VALU_DEP_1)
	v_fma_f32 v158, -v154, v156, v157
	v_fmac_f32_e32 v156, v158, v155
	s_delay_alu instid0(VALU_DEP_1) | instskip(NEXT) | instid1(VALU_DEP_1)
	v_fma_f32 v154, -v154, v156, v157
	v_div_fmas_f32 v154, v154, v155, v156
	s_delay_alu instid0(VALU_DEP_1) | instskip(NEXT) | instid1(VALU_DEP_1)
	v_div_fixup_f32 v155, v154, v152, v153
	v_fmac_f32_e32 v152, v153, v155
	s_delay_alu instid0(VALU_DEP_1) | instskip(NEXT) | instid1(VALU_DEP_1)
	v_div_scale_f32 v153, null, v152, v152, 1.0
	v_rcp_f32_e32 v154, v153
	v_nop
	s_delay_alu instid0(TRANS32_DEP_1) | instskip(NEXT) | instid1(VALU_DEP_1)
	v_fma_f32 v156, -v153, v154, 1.0
	v_fmac_f32_e32 v154, v156, v154
	v_div_scale_f32 v156, vcc_lo, 1.0, v152, 1.0
	s_delay_alu instid0(VALU_DEP_1) | instskip(NEXT) | instid1(VALU_DEP_1)
	v_mul_f32_e32 v157, v156, v154
	v_fma_f32 v158, -v153, v157, v156
	s_delay_alu instid0(VALU_DEP_1) | instskip(NEXT) | instid1(VALU_DEP_1)
	v_fmac_f32_e32 v157, v158, v154
	v_fma_f32 v153, -v153, v157, v156
	s_delay_alu instid0(VALU_DEP_1) | instskip(NEXT) | instid1(VALU_DEP_1)
	v_div_fmas_f32 v153, v153, v154, v157
	v_div_fixup_f32 v154, v153, v152, 1.0
	s_delay_alu instid0(VALU_DEP_1)
	v_mul_f32_e64 v155, v155, -v154
.LBB67_70:
	s_or_b32 exec_lo, exec_lo, s1
	ds_store_b64 v207, v[154:155]
.LBB67_71:
	s_or_b32 exec_lo, exec_lo, s2
	s_wait_dscnt 0x0
	s_barrier_signal -1
	s_barrier_wait -1
	ds_load_b64 v[152:153], v207
	s_mov_b32 s1, exec_lo
	v_cmpx_lt_u32_e32 7, v206
	s_cbranch_execz .LBB67_73
; %bb.72:
	ds_load_2addr_b64 v[158:161], v208 offset0:8 offset1:9
	s_wait_dscnt 0x1
	v_pk_mul_f32 v[156:157], v[152:153], v[22:23] op_sel:[1,1] op_sel_hi:[0,1]
	s_delay_alu instid0(VALU_DEP_1) | instskip(SKIP_1) | instid1(VALU_DEP_1)
	v_pk_fma_f32 v[154:155], v[152:153], v[22:23], v[156:157] op_sel_hi:[1,0,1] neg_lo:[0,0,1] neg_hi:[0,0,1]
	v_pk_fma_f32 v[156:157], v[152:153], v[22:23], v[156:157] op_sel_hi:[1,0,1]
	v_dual_mov_b32 v22, v154 :: v_dual_mov_b32 v23, v157
	s_wait_dscnt 0x0
	s_delay_alu instid0(VALU_DEP_2) | instskip(NEXT) | instid1(VALU_DEP_1)
	v_pk_mul_f32 v[162:163], v[158:159], v[156:157] op_sel:[0,1]
	v_pk_fma_f32 v[164:165], v[158:159], v[154:155], v[162:163] op_sel:[0,0,1] op_sel_hi:[1,1,0] neg_lo:[0,0,1] neg_hi:[0,0,1]
	v_pk_fma_f32 v[158:159], v[158:159], v[154:155], v[162:163] op_sel:[0,0,1] op_sel_hi:[1,0,0]
	s_delay_alu instid0(VALU_DEP_1) | instskip(SKIP_1) | instid1(VALU_DEP_1)
	v_mov_b32_e32 v165, v159
	v_pk_mul_f32 v[158:159], v[160:161], v[156:157] op_sel:[0,1]
	v_pk_fma_f32 v[162:163], v[160:161], v[154:155], v[158:159] op_sel:[0,0,1] op_sel_hi:[1,1,0] neg_lo:[0,0,1] neg_hi:[0,0,1]
	v_pk_fma_f32 v[158:159], v[160:161], v[154:155], v[158:159] op_sel:[0,0,1] op_sel_hi:[1,0,0]
	s_delay_alu instid0(VALU_DEP_1)
	v_mov_b32_e32 v163, v159
	ds_load_2addr_b64 v[158:161], v208 offset0:10 offset1:11
	v_pk_add_f32 v[40:41], v[40:41], v[164:165] neg_lo:[0,1] neg_hi:[0,1]
	v_pk_add_f32 v[36:37], v[36:37], v[162:163] neg_lo:[0,1] neg_hi:[0,1]
	s_wait_dscnt 0x0
	v_pk_mul_f32 v[162:163], v[158:159], v[156:157] op_sel:[0,1]
	s_delay_alu instid0(VALU_DEP_1) | instskip(SKIP_2) | instid1(VALU_DEP_2)
	v_pk_fma_f32 v[164:165], v[158:159], v[154:155], v[162:163] op_sel:[0,0,1] op_sel_hi:[1,1,0] neg_lo:[0,0,1] neg_hi:[0,0,1]
	v_pk_fma_f32 v[158:159], v[158:159], v[154:155], v[162:163] op_sel:[0,0,1] op_sel_hi:[1,0,0]
	v_dual_mul_f32 v162, v161, v157 :: v_dual_mov_b32 v158, v161
	v_dual_mov_b32 v165, v159 :: v_dual_mov_b32 v159, v160
	s_delay_alu instid0(VALU_DEP_2) | instskip(SKIP_1) | instid1(VALU_DEP_3)
	v_pk_fma_f32 v[162:163], v[160:161], v[22:23], v[162:163] op_sel_hi:[1,1,0] neg_lo:[0,0,1] neg_hi:[0,0,1]
	v_mul_f32_e32 v160, v161, v154
	v_pk_add_f32 v[38:39], v[38:39], v[164:165] neg_lo:[0,1] neg_hi:[0,1]
	s_delay_alu instid0(VALU_DEP_2) | instskip(NEXT) | instid1(VALU_DEP_1)
	v_pk_fma_f32 v[158:159], v[158:159], v[22:23], v[160:161] op_sel_hi:[1,1,0]
	v_mov_b32_e32 v163, v159
	ds_load_2addr_b64 v[158:161], v208 offset0:12 offset1:13
	v_pk_add_f32 v[34:35], v[34:35], v[162:163] neg_lo:[0,1] neg_hi:[0,1]
	s_wait_dscnt 0x0
	v_pk_mul_f32 v[162:163], v[158:159], v[156:157] op_sel:[0,1]
	s_delay_alu instid0(VALU_DEP_1) | instskip(SKIP_1) | instid1(VALU_DEP_1)
	v_pk_fma_f32 v[164:165], v[158:159], v[154:155], v[162:163] op_sel:[0,0,1] op_sel_hi:[1,1,0] neg_lo:[0,0,1] neg_hi:[0,0,1]
	v_pk_fma_f32 v[158:159], v[158:159], v[154:155], v[162:163] op_sel:[0,0,1] op_sel_hi:[1,0,0]
	v_mov_b32_e32 v165, v159
	v_pk_mul_f32 v[158:159], v[160:161], v[156:157] op_sel:[0,1]
	s_delay_alu instid0(VALU_DEP_1) | instskip(SKIP_1) | instid1(VALU_DEP_1)
	v_pk_fma_f32 v[162:163], v[160:161], v[154:155], v[158:159] op_sel:[0,0,1] op_sel_hi:[1,1,0] neg_lo:[0,0,1] neg_hi:[0,0,1]
	v_pk_fma_f32 v[158:159], v[160:161], v[154:155], v[158:159] op_sel:[0,0,1] op_sel_hi:[1,0,0]
	v_mov_b32_e32 v163, v159
	ds_load_2addr_b64 v[158:161], v208 offset0:14 offset1:15
	v_pk_add_f32 v[62:63], v[62:63], v[164:165] neg_lo:[0,1] neg_hi:[0,1]
	v_pk_add_f32 v[58:59], v[58:59], v[162:163] neg_lo:[0,1] neg_hi:[0,1]
	s_wait_dscnt 0x0
	v_pk_mul_f32 v[162:163], v[158:159], v[156:157] op_sel:[0,1]
	s_delay_alu instid0(VALU_DEP_1) | instskip(SKIP_1) | instid1(VALU_DEP_1)
	v_pk_fma_f32 v[164:165], v[158:159], v[154:155], v[162:163] op_sel:[0,0,1] op_sel_hi:[1,1,0] neg_lo:[0,0,1] neg_hi:[0,0,1]
	v_pk_fma_f32 v[158:159], v[158:159], v[154:155], v[162:163] op_sel:[0,0,1] op_sel_hi:[1,0,0]
	v_mov_b32_e32 v165, v159
	v_pk_mul_f32 v[158:159], v[160:161], v[156:157] op_sel:[0,1]
	s_delay_alu instid0(VALU_DEP_1) | instskip(SKIP_1) | instid1(VALU_DEP_1)
	v_pk_fma_f32 v[162:163], v[160:161], v[154:155], v[158:159] op_sel:[0,0,1] op_sel_hi:[1,1,0] neg_lo:[0,0,1] neg_hi:[0,0,1]
	v_pk_fma_f32 v[158:159], v[160:161], v[154:155], v[158:159] op_sel:[0,0,1] op_sel_hi:[1,0,0]
	v_mov_b32_e32 v163, v159
	ds_load_2addr_b64 v[158:161], v208 offset0:16 offset1:17
	v_pk_add_f32 v[60:61], v[60:61], v[164:165] neg_lo:[0,1] neg_hi:[0,1]
	v_pk_add_f32 v[56:57], v[56:57], v[162:163] neg_lo:[0,1] neg_hi:[0,1]
	s_wait_dscnt 0x0
	v_dual_mul_f32 v162, v159, v157 :: v_dual_mul_f32 v164, v159, v154
	s_delay_alu instid0(VALU_DEP_1) | instskip(NEXT) | instid1(VALU_DEP_2)
	v_pk_fma_f32 v[162:163], v[158:159], v[22:23], v[162:163] op_sel_hi:[1,1,0] neg_lo:[0,0,1] neg_hi:[0,0,1]
	v_pk_fma_f32 v[158:159], v[158:159], v[22:23], v[164:165] op_sel:[1,0,0] op_sel_hi:[0,1,0]
	s_delay_alu instid0(VALU_DEP_1) | instskip(SKIP_1) | instid1(VALU_DEP_2)
	v_mov_b32_e32 v163, v159
	v_pk_mul_f32 v[158:159], v[160:161], v[156:157] op_sel:[0,1]
	v_pk_add_f32 v[80:81], v[80:81], v[162:163] neg_lo:[0,1] neg_hi:[0,1]
	s_delay_alu instid0(VALU_DEP_2) | instskip(SKIP_1) | instid1(VALU_DEP_1)
	v_pk_fma_f32 v[162:163], v[160:161], v[154:155], v[158:159] op_sel:[0,0,1] op_sel_hi:[1,1,0] neg_lo:[0,0,1] neg_hi:[0,0,1]
	v_pk_fma_f32 v[158:159], v[160:161], v[154:155], v[158:159] op_sel:[0,0,1] op_sel_hi:[1,0,0]
	v_mov_b32_e32 v163, v159
	ds_load_2addr_b64 v[158:161], v208 offset0:18 offset1:19
	v_pk_add_f32 v[76:77], v[76:77], v[162:163] neg_lo:[0,1] neg_hi:[0,1]
	s_wait_dscnt 0x0
	v_pk_mul_f32 v[162:163], v[158:159], v[156:157] op_sel:[0,1]
	s_delay_alu instid0(VALU_DEP_1) | instskip(SKIP_1) | instid1(VALU_DEP_1)
	v_pk_fma_f32 v[164:165], v[158:159], v[154:155], v[162:163] op_sel:[0,0,1] op_sel_hi:[1,1,0] neg_lo:[0,0,1] neg_hi:[0,0,1]
	v_pk_fma_f32 v[158:159], v[158:159], v[154:155], v[162:163] op_sel:[0,0,1] op_sel_hi:[1,0,0]
	v_mov_b32_e32 v165, v159
	v_pk_mul_f32 v[158:159], v[160:161], v[156:157] op_sel:[0,1]
	s_delay_alu instid0(VALU_DEP_2) | instskip(NEXT) | instid1(VALU_DEP_2)
	v_pk_add_f32 v[78:79], v[78:79], v[164:165] neg_lo:[0,1] neg_hi:[0,1]
	v_pk_fma_f32 v[162:163], v[160:161], v[154:155], v[158:159] op_sel:[0,0,1] op_sel_hi:[1,1,0] neg_lo:[0,0,1] neg_hi:[0,0,1]
	v_pk_fma_f32 v[158:159], v[160:161], v[154:155], v[158:159] op_sel:[0,0,1] op_sel_hi:[1,0,0]
	s_delay_alu instid0(VALU_DEP_1) | instskip(SKIP_4) | instid1(VALU_DEP_1)
	v_mov_b32_e32 v163, v159
	ds_load_2addr_b64 v[158:161], v208 offset0:20 offset1:21
	v_pk_add_f32 v[114:115], v[114:115], v[162:163] neg_lo:[0,1] neg_hi:[0,1]
	s_wait_dscnt 0x0
	v_pk_mul_f32 v[162:163], v[158:159], v[156:157] op_sel:[0,1]
	v_pk_fma_f32 v[164:165], v[158:159], v[154:155], v[162:163] op_sel:[0,0,1] op_sel_hi:[1,1,0] neg_lo:[0,0,1] neg_hi:[0,0,1]
	v_pk_fma_f32 v[158:159], v[158:159], v[154:155], v[162:163] op_sel:[0,0,1] op_sel_hi:[1,0,0]
	v_dual_mul_f32 v162, v161, v157 :: v_dual_mov_b32 v158, v161
	s_delay_alu instid0(VALU_DEP_2) | instskip(NEXT) | instid1(VALU_DEP_2)
	v_dual_mov_b32 v165, v159 :: v_dual_mov_b32 v159, v160
	v_pk_fma_f32 v[162:163], v[160:161], v[22:23], v[162:163] op_sel_hi:[1,1,0] neg_lo:[0,0,1] neg_hi:[0,0,1]
	v_mul_f32_e32 v160, v161, v154
	s_delay_alu instid0(VALU_DEP_3) | instskip(NEXT) | instid1(VALU_DEP_2)
	v_pk_add_f32 v[128:129], v[128:129], v[164:165] neg_lo:[0,1] neg_hi:[0,1]
	v_pk_fma_f32 v[158:159], v[158:159], v[22:23], v[160:161] op_sel_hi:[1,1,0]
	s_delay_alu instid0(VALU_DEP_1) | instskip(SKIP_4) | instid1(VALU_DEP_1)
	v_mov_b32_e32 v163, v159
	ds_load_2addr_b64 v[158:161], v208 offset0:22 offset1:23
	v_pk_add_f32 v[126:127], v[126:127], v[162:163] neg_lo:[0,1] neg_hi:[0,1]
	s_wait_dscnt 0x0
	v_pk_mul_f32 v[162:163], v[158:159], v[156:157] op_sel:[0,1]
	v_pk_fma_f32 v[164:165], v[158:159], v[154:155], v[162:163] op_sel:[0,0,1] op_sel_hi:[1,1,0] neg_lo:[0,0,1] neg_hi:[0,0,1]
	v_pk_fma_f32 v[158:159], v[158:159], v[154:155], v[162:163] op_sel:[0,0,1] op_sel_hi:[1,0,0]
	s_delay_alu instid0(VALU_DEP_1) | instskip(SKIP_1) | instid1(VALU_DEP_1)
	v_mov_b32_e32 v165, v159
	v_pk_mul_f32 v[158:159], v[160:161], v[156:157] op_sel:[0,1]
	v_pk_fma_f32 v[162:163], v[160:161], v[154:155], v[158:159] op_sel:[0,0,1] op_sel_hi:[1,1,0] neg_lo:[0,0,1] neg_hi:[0,0,1]
	v_pk_fma_f32 v[158:159], v[160:161], v[154:155], v[158:159] op_sel:[0,0,1] op_sel_hi:[1,0,0]
	s_delay_alu instid0(VALU_DEP_1)
	v_mov_b32_e32 v163, v159
	ds_load_2addr_b64 v[158:161], v208 offset0:24 offset1:25
	v_pk_add_f32 v[136:137], v[136:137], v[164:165] neg_lo:[0,1] neg_hi:[0,1]
	v_pk_add_f32 v[124:125], v[124:125], v[162:163] neg_lo:[0,1] neg_hi:[0,1]
	s_wait_dscnt 0x0
	v_pk_mul_f32 v[162:163], v[158:159], v[156:157] op_sel:[0,1]
	s_delay_alu instid0(VALU_DEP_1) | instskip(SKIP_1) | instid1(VALU_DEP_1)
	v_pk_fma_f32 v[164:165], v[158:159], v[154:155], v[162:163] op_sel:[0,0,1] op_sel_hi:[1,1,0] neg_lo:[0,0,1] neg_hi:[0,0,1]
	v_pk_fma_f32 v[158:159], v[158:159], v[154:155], v[162:163] op_sel:[0,0,1] op_sel_hi:[1,0,0]
	v_mov_b32_e32 v165, v159
	v_pk_mul_f32 v[158:159], v[160:161], v[156:157] op_sel:[0,1]
	s_delay_alu instid0(VALU_DEP_1) | instskip(SKIP_1) | instid1(VALU_DEP_1)
	v_pk_fma_f32 v[162:163], v[160:161], v[154:155], v[158:159] op_sel:[0,0,1] op_sel_hi:[1,1,0] neg_lo:[0,0,1] neg_hi:[0,0,1]
	v_pk_fma_f32 v[158:159], v[160:161], v[154:155], v[158:159] op_sel:[0,0,1] op_sel_hi:[1,0,0]
	v_mov_b32_e32 v163, v159
	ds_load_2addr_b64 v[158:161], v208 offset0:26 offset1:27
	v_pk_add_f32 v[132:133], v[132:133], v[164:165] neg_lo:[0,1] neg_hi:[0,1]
	v_pk_add_f32 v[102:103], v[102:103], v[162:163] neg_lo:[0,1] neg_hi:[0,1]
	s_wait_dscnt 0x0
	v_dual_mul_f32 v162, v159, v157 :: v_dual_mul_f32 v164, v159, v154
	s_delay_alu instid0(VALU_DEP_1) | instskip(NEXT) | instid1(VALU_DEP_2)
	v_pk_fma_f32 v[162:163], v[158:159], v[22:23], v[162:163] op_sel_hi:[1,1,0] neg_lo:[0,0,1] neg_hi:[0,0,1]
	v_pk_fma_f32 v[158:159], v[158:159], v[22:23], v[164:165] op_sel:[1,0,0] op_sel_hi:[0,1,0]
	s_delay_alu instid0(VALU_DEP_1) | instskip(SKIP_1) | instid1(VALU_DEP_2)
	v_mov_b32_e32 v163, v159
	v_pk_mul_f32 v[158:159], v[160:161], v[156:157] op_sel:[0,1]
	v_pk_add_f32 v[104:105], v[104:105], v[162:163] neg_lo:[0,1] neg_hi:[0,1]
	s_delay_alu instid0(VALU_DEP_2) | instskip(SKIP_1) | instid1(VALU_DEP_1)
	v_pk_fma_f32 v[162:163], v[160:161], v[154:155], v[158:159] op_sel:[0,0,1] op_sel_hi:[1,1,0] neg_lo:[0,0,1] neg_hi:[0,0,1]
	v_pk_fma_f32 v[158:159], v[160:161], v[154:155], v[158:159] op_sel:[0,0,1] op_sel_hi:[1,0,0]
	v_mov_b32_e32 v163, v159
	ds_load_2addr_b64 v[158:161], v208 offset0:28 offset1:29
	v_pk_add_f32 v[100:101], v[100:101], v[162:163] neg_lo:[0,1] neg_hi:[0,1]
	s_wait_dscnt 0x0
	v_pk_mul_f32 v[162:163], v[158:159], v[156:157] op_sel:[0,1]
	s_delay_alu instid0(VALU_DEP_1) | instskip(SKIP_1) | instid1(VALU_DEP_1)
	v_pk_fma_f32 v[164:165], v[158:159], v[154:155], v[162:163] op_sel:[0,0,1] op_sel_hi:[1,1,0] neg_lo:[0,0,1] neg_hi:[0,0,1]
	v_pk_fma_f32 v[158:159], v[158:159], v[154:155], v[162:163] op_sel:[0,0,1] op_sel_hi:[1,0,0]
	v_mov_b32_e32 v165, v159
	v_pk_mul_f32 v[158:159], v[160:161], v[156:157] op_sel:[0,1]
	s_delay_alu instid0(VALU_DEP_2) | instskip(NEXT) | instid1(VALU_DEP_2)
	v_pk_add_f32 v[118:119], v[118:119], v[164:165] neg_lo:[0,1] neg_hi:[0,1]
	v_pk_fma_f32 v[162:163], v[160:161], v[154:155], v[158:159] op_sel:[0,0,1] op_sel_hi:[1,1,0] neg_lo:[0,0,1] neg_hi:[0,0,1]
	v_pk_fma_f32 v[158:159], v[160:161], v[154:155], v[158:159] op_sel:[0,0,1] op_sel_hi:[1,0,0]
	s_delay_alu instid0(VALU_DEP_1) | instskip(SKIP_4) | instid1(VALU_DEP_1)
	v_mov_b32_e32 v163, v159
	ds_load_2addr_b64 v[158:161], v208 offset0:30 offset1:31
	v_pk_add_f32 v[116:117], v[116:117], v[162:163] neg_lo:[0,1] neg_hi:[0,1]
	s_wait_dscnt 0x0
	v_pk_mul_f32 v[162:163], v[158:159], v[156:157] op_sel:[0,1]
	v_pk_fma_f32 v[164:165], v[158:159], v[154:155], v[162:163] op_sel:[0,0,1] op_sel_hi:[1,1,0] neg_lo:[0,0,1] neg_hi:[0,0,1]
	v_pk_fma_f32 v[158:159], v[158:159], v[154:155], v[162:163] op_sel:[0,0,1] op_sel_hi:[1,0,0]
	v_dual_mul_f32 v162, v161, v157 :: v_dual_mov_b32 v158, v161
	s_delay_alu instid0(VALU_DEP_2) | instskip(NEXT) | instid1(VALU_DEP_2)
	v_dual_mov_b32 v165, v159 :: v_dual_mov_b32 v159, v160
	v_pk_fma_f32 v[162:163], v[160:161], v[22:23], v[162:163] op_sel_hi:[1,1,0] neg_lo:[0,0,1] neg_hi:[0,0,1]
	v_mul_f32_e32 v160, v161, v154
	s_delay_alu instid0(VALU_DEP_3) | instskip(NEXT) | instid1(VALU_DEP_2)
	v_pk_add_f32 v[130:131], v[130:131], v[164:165] neg_lo:[0,1] neg_hi:[0,1]
	v_pk_fma_f32 v[158:159], v[158:159], v[22:23], v[160:161] op_sel_hi:[1,1,0]
	s_delay_alu instid0(VALU_DEP_1)
	v_mov_b32_e32 v163, v159
	ds_load_2addr_b64 v[158:161], v208 offset0:32 offset1:33
	v_pk_add_f32 v[122:123], v[122:123], v[162:163] neg_lo:[0,1] neg_hi:[0,1]
	s_wait_dscnt 0x0
	v_pk_mul_f32 v[162:163], v[158:159], v[156:157] op_sel:[0,1]
	v_pk_mul_f32 v[156:157], v[160:161], v[156:157] op_sel:[0,1]
	s_delay_alu instid0(VALU_DEP_2) | instskip(SKIP_1) | instid1(VALU_DEP_1)
	v_pk_fma_f32 v[164:165], v[158:159], v[154:155], v[162:163] op_sel:[0,0,1] op_sel_hi:[1,1,0] neg_lo:[0,0,1] neg_hi:[0,0,1]
	v_pk_fma_f32 v[158:159], v[158:159], v[154:155], v[162:163] op_sel:[0,0,1] op_sel_hi:[1,0,0]
	v_mov_b32_e32 v165, v159
	s_delay_alu instid0(VALU_DEP_4) | instskip(SKIP_1) | instid1(VALU_DEP_1)
	v_pk_fma_f32 v[158:159], v[160:161], v[154:155], v[156:157] op_sel:[0,0,1] op_sel_hi:[1,1,0] neg_lo:[0,0,1] neg_hi:[0,0,1]
	v_pk_fma_f32 v[154:155], v[160:161], v[154:155], v[156:157] op_sel:[0,0,1] op_sel_hi:[1,0,0]
	v_mov_b32_e32 v159, v155
	s_delay_alu instid0(VALU_DEP_4) | instskip(NEXT) | instid1(VALU_DEP_2)
	v_pk_add_f32 v[120:121], v[120:121], v[164:165] neg_lo:[0,1] neg_hi:[0,1]
	v_pk_add_f32 v[134:135], v[134:135], v[158:159] neg_lo:[0,1] neg_hi:[0,1]
.LBB67_73:
	s_or_b32 exec_lo, exec_lo, s1
	s_delay_alu instid0(SALU_CYCLE_1)
	s_mov_b32 s2, exec_lo
	s_wait_dscnt 0x0
	s_barrier_signal -1
	s_barrier_wait -1
	v_cmpx_eq_u32_e32 8, v206
	s_cbranch_execz .LBB67_80
; %bb.74:
	ds_store_b64 v207, v[40:41]
	ds_store_2addr_b64 v208, v[36:37], v[38:39] offset0:9 offset1:10
	ds_store_2addr_b64 v208, v[34:35], v[62:63] offset0:11 offset1:12
	;; [unrolled: 1-line block ×12, first 2 shown]
	ds_store_b64 v208, v[134:135] offset:264
	ds_load_b64 v[154:155], v207
	s_wait_dscnt 0x0
	v_cmp_neq_f32_e32 vcc_lo, 0, v154
	v_cmp_neq_f32_e64 s1, 0, v155
	s_or_b32 s1, vcc_lo, s1
	s_delay_alu instid0(SALU_CYCLE_1)
	s_and_b32 exec_lo, exec_lo, s1
	s_cbranch_execz .LBB67_80
; %bb.75:
	v_cmp_ngt_f32_e64 s1, |v154|, |v155|
                                        ; implicit-def: $vgpr156_vgpr157
	s_and_saveexec_b32 s4, s1
	s_delay_alu instid0(SALU_CYCLE_1)
	s_xor_b32 s1, exec_lo, s4
	s_cbranch_execz .LBB67_77
; %bb.76:
	v_div_scale_f32 v156, null, v155, v155, v154
	v_div_scale_f32 v159, vcc_lo, v154, v155, v154
	s_delay_alu instid0(VALU_DEP_2) | instskip(SKIP_1) | instid1(TRANS32_DEP_1)
	v_rcp_f32_e32 v157, v156
	v_nop
	v_fma_f32 v158, -v156, v157, 1.0
	s_delay_alu instid0(VALU_DEP_1) | instskip(NEXT) | instid1(VALU_DEP_1)
	v_fmac_f32_e32 v157, v158, v157
	v_mul_f32_e32 v158, v159, v157
	s_delay_alu instid0(VALU_DEP_1) | instskip(NEXT) | instid1(VALU_DEP_1)
	v_fma_f32 v160, -v156, v158, v159
	v_fmac_f32_e32 v158, v160, v157
	s_delay_alu instid0(VALU_DEP_1) | instskip(NEXT) | instid1(VALU_DEP_1)
	v_fma_f32 v156, -v156, v158, v159
	v_div_fmas_f32 v156, v156, v157, v158
	s_delay_alu instid0(VALU_DEP_1) | instskip(NEXT) | instid1(VALU_DEP_1)
	v_div_fixup_f32 v156, v156, v155, v154
	v_fmac_f32_e32 v155, v154, v156
	s_delay_alu instid0(VALU_DEP_1) | instskip(SKIP_1) | instid1(VALU_DEP_2)
	v_div_scale_f32 v154, null, v155, v155, 1.0
	v_div_scale_f32 v159, vcc_lo, 1.0, v155, 1.0
	v_rcp_f32_e32 v157, v154
	v_nop
	s_delay_alu instid0(TRANS32_DEP_1) | instskip(NEXT) | instid1(VALU_DEP_1)
	v_fma_f32 v158, -v154, v157, 1.0
	v_fmac_f32_e32 v157, v158, v157
	s_delay_alu instid0(VALU_DEP_1) | instskip(NEXT) | instid1(VALU_DEP_1)
	v_mul_f32_e32 v158, v159, v157
	v_fma_f32 v160, -v154, v158, v159
	s_delay_alu instid0(VALU_DEP_1) | instskip(NEXT) | instid1(VALU_DEP_1)
	v_fmac_f32_e32 v158, v160, v157
	v_fma_f32 v154, -v154, v158, v159
	s_delay_alu instid0(VALU_DEP_1) | instskip(NEXT) | instid1(VALU_DEP_1)
	v_div_fmas_f32 v154, v154, v157, v158
	v_div_fixup_f32 v154, v154, v155, 1.0
	s_delay_alu instid0(VALU_DEP_1)
	v_mul_f32_e32 v156, v156, v154
	v_xor_b32_e32 v157, 0x80000000, v154
                                        ; implicit-def: $vgpr154_vgpr155
.LBB67_77:
	s_and_not1_saveexec_b32 s1, s1
	s_cbranch_execz .LBB67_79
; %bb.78:
	v_div_scale_f32 v156, null, v154, v154, v155
	v_div_scale_f32 v159, vcc_lo, v155, v154, v155
	s_delay_alu instid0(VALU_DEP_2) | instskip(SKIP_1) | instid1(TRANS32_DEP_1)
	v_rcp_f32_e32 v157, v156
	v_nop
	v_fma_f32 v158, -v156, v157, 1.0
	s_delay_alu instid0(VALU_DEP_1) | instskip(NEXT) | instid1(VALU_DEP_1)
	v_fmac_f32_e32 v157, v158, v157
	v_mul_f32_e32 v158, v159, v157
	s_delay_alu instid0(VALU_DEP_1) | instskip(NEXT) | instid1(VALU_DEP_1)
	v_fma_f32 v160, -v156, v158, v159
	v_fmac_f32_e32 v158, v160, v157
	s_delay_alu instid0(VALU_DEP_1) | instskip(NEXT) | instid1(VALU_DEP_1)
	v_fma_f32 v156, -v156, v158, v159
	v_div_fmas_f32 v156, v156, v157, v158
	s_delay_alu instid0(VALU_DEP_1) | instskip(NEXT) | instid1(VALU_DEP_1)
	v_div_fixup_f32 v157, v156, v154, v155
	v_fmac_f32_e32 v154, v155, v157
	s_delay_alu instid0(VALU_DEP_1) | instskip(NEXT) | instid1(VALU_DEP_1)
	v_div_scale_f32 v155, null, v154, v154, 1.0
	v_rcp_f32_e32 v156, v155
	v_nop
	s_delay_alu instid0(TRANS32_DEP_1) | instskip(NEXT) | instid1(VALU_DEP_1)
	v_fma_f32 v158, -v155, v156, 1.0
	v_fmac_f32_e32 v156, v158, v156
	v_div_scale_f32 v158, vcc_lo, 1.0, v154, 1.0
	s_delay_alu instid0(VALU_DEP_1) | instskip(NEXT) | instid1(VALU_DEP_1)
	v_mul_f32_e32 v159, v158, v156
	v_fma_f32 v160, -v155, v159, v158
	s_delay_alu instid0(VALU_DEP_1) | instskip(NEXT) | instid1(VALU_DEP_1)
	v_fmac_f32_e32 v159, v160, v156
	v_fma_f32 v155, -v155, v159, v158
	s_delay_alu instid0(VALU_DEP_1) | instskip(NEXT) | instid1(VALU_DEP_1)
	v_div_fmas_f32 v155, v155, v156, v159
	v_div_fixup_f32 v156, v155, v154, 1.0
	s_delay_alu instid0(VALU_DEP_1)
	v_mul_f32_e64 v157, v157, -v156
.LBB67_79:
	s_or_b32 exec_lo, exec_lo, s1
	ds_store_b64 v207, v[156:157]
.LBB67_80:
	s_or_b32 exec_lo, exec_lo, s2
	s_wait_dscnt 0x0
	s_barrier_signal -1
	s_barrier_wait -1
	ds_load_b64 v[154:155], v207
	s_mov_b32 s1, exec_lo
	v_cmpx_lt_u32_e32 8, v206
	s_cbranch_execz .LBB67_82
; %bb.81:
	ds_load_2addr_b64 v[160:163], v208 offset0:9 offset1:10
	s_wait_dscnt 0x1
	v_pk_mul_f32 v[158:159], v[154:155], v[40:41] op_sel:[1,1] op_sel_hi:[0,1]
	s_delay_alu instid0(VALU_DEP_1) | instskip(SKIP_1) | instid1(VALU_DEP_1)
	v_pk_fma_f32 v[156:157], v[154:155], v[40:41], v[158:159] op_sel_hi:[1,0,1] neg_lo:[0,0,1] neg_hi:[0,0,1]
	v_pk_fma_f32 v[158:159], v[154:155], v[40:41], v[158:159] op_sel_hi:[1,0,1]
	v_dual_mov_b32 v40, v156 :: v_dual_mov_b32 v41, v159
	s_wait_dscnt 0x0
	s_delay_alu instid0(VALU_DEP_2) | instskip(NEXT) | instid1(VALU_DEP_1)
	v_pk_mul_f32 v[164:165], v[160:161], v[158:159] op_sel:[0,1]
	v_pk_fma_f32 v[166:167], v[160:161], v[156:157], v[164:165] op_sel:[0,0,1] op_sel_hi:[1,1,0] neg_lo:[0,0,1] neg_hi:[0,0,1]
	v_pk_fma_f32 v[160:161], v[160:161], v[156:157], v[164:165] op_sel:[0,0,1] op_sel_hi:[1,0,0]
	s_delay_alu instid0(VALU_DEP_1) | instskip(SKIP_1) | instid1(VALU_DEP_1)
	v_mov_b32_e32 v167, v161
	v_pk_mul_f32 v[160:161], v[162:163], v[158:159] op_sel:[0,1]
	v_pk_fma_f32 v[164:165], v[162:163], v[156:157], v[160:161] op_sel:[0,0,1] op_sel_hi:[1,1,0] neg_lo:[0,0,1] neg_hi:[0,0,1]
	v_pk_fma_f32 v[160:161], v[162:163], v[156:157], v[160:161] op_sel:[0,0,1] op_sel_hi:[1,0,0]
	s_delay_alu instid0(VALU_DEP_1)
	v_mov_b32_e32 v165, v161
	ds_load_2addr_b64 v[160:163], v208 offset0:11 offset1:12
	v_pk_add_f32 v[36:37], v[36:37], v[166:167] neg_lo:[0,1] neg_hi:[0,1]
	v_pk_add_f32 v[38:39], v[38:39], v[164:165] neg_lo:[0,1] neg_hi:[0,1]
	s_wait_dscnt 0x0
	v_pk_mul_f32 v[164:165], v[160:161], v[158:159] op_sel:[0,1]
	s_delay_alu instid0(VALU_DEP_1) | instskip(SKIP_2) | instid1(VALU_DEP_2)
	v_pk_fma_f32 v[166:167], v[160:161], v[156:157], v[164:165] op_sel:[0,0,1] op_sel_hi:[1,1,0] neg_lo:[0,0,1] neg_hi:[0,0,1]
	v_pk_fma_f32 v[160:161], v[160:161], v[156:157], v[164:165] op_sel:[0,0,1] op_sel_hi:[1,0,0]
	v_dual_mul_f32 v164, v163, v159 :: v_dual_mov_b32 v160, v163
	v_dual_mov_b32 v167, v161 :: v_dual_mov_b32 v161, v162
	s_delay_alu instid0(VALU_DEP_2) | instskip(SKIP_1) | instid1(VALU_DEP_3)
	v_pk_fma_f32 v[164:165], v[162:163], v[40:41], v[164:165] op_sel_hi:[1,1,0] neg_lo:[0,0,1] neg_hi:[0,0,1]
	v_mul_f32_e32 v162, v163, v156
	v_pk_add_f32 v[34:35], v[34:35], v[166:167] neg_lo:[0,1] neg_hi:[0,1]
	s_delay_alu instid0(VALU_DEP_2) | instskip(NEXT) | instid1(VALU_DEP_1)
	v_pk_fma_f32 v[160:161], v[160:161], v[40:41], v[162:163] op_sel_hi:[1,1,0]
	v_mov_b32_e32 v165, v161
	ds_load_2addr_b64 v[160:163], v208 offset0:13 offset1:14
	v_pk_add_f32 v[62:63], v[62:63], v[164:165] neg_lo:[0,1] neg_hi:[0,1]
	s_wait_dscnt 0x0
	v_pk_mul_f32 v[164:165], v[160:161], v[158:159] op_sel:[0,1]
	s_delay_alu instid0(VALU_DEP_1) | instskip(SKIP_1) | instid1(VALU_DEP_1)
	v_pk_fma_f32 v[166:167], v[160:161], v[156:157], v[164:165] op_sel:[0,0,1] op_sel_hi:[1,1,0] neg_lo:[0,0,1] neg_hi:[0,0,1]
	v_pk_fma_f32 v[160:161], v[160:161], v[156:157], v[164:165] op_sel:[0,0,1] op_sel_hi:[1,0,0]
	v_mov_b32_e32 v167, v161
	v_pk_mul_f32 v[160:161], v[162:163], v[158:159] op_sel:[0,1]
	s_delay_alu instid0(VALU_DEP_1) | instskip(SKIP_1) | instid1(VALU_DEP_1)
	v_pk_fma_f32 v[164:165], v[162:163], v[156:157], v[160:161] op_sel:[0,0,1] op_sel_hi:[1,1,0] neg_lo:[0,0,1] neg_hi:[0,0,1]
	v_pk_fma_f32 v[160:161], v[162:163], v[156:157], v[160:161] op_sel:[0,0,1] op_sel_hi:[1,0,0]
	v_mov_b32_e32 v165, v161
	ds_load_2addr_b64 v[160:163], v208 offset0:15 offset1:16
	v_pk_add_f32 v[58:59], v[58:59], v[166:167] neg_lo:[0,1] neg_hi:[0,1]
	v_pk_add_f32 v[60:61], v[60:61], v[164:165] neg_lo:[0,1] neg_hi:[0,1]
	s_wait_dscnt 0x0
	v_pk_mul_f32 v[164:165], v[160:161], v[158:159] op_sel:[0,1]
	s_delay_alu instid0(VALU_DEP_1) | instskip(SKIP_1) | instid1(VALU_DEP_1)
	v_pk_fma_f32 v[166:167], v[160:161], v[156:157], v[164:165] op_sel:[0,0,1] op_sel_hi:[1,1,0] neg_lo:[0,0,1] neg_hi:[0,0,1]
	v_pk_fma_f32 v[160:161], v[160:161], v[156:157], v[164:165] op_sel:[0,0,1] op_sel_hi:[1,0,0]
	v_mov_b32_e32 v167, v161
	v_pk_mul_f32 v[160:161], v[162:163], v[158:159] op_sel:[0,1]
	s_delay_alu instid0(VALU_DEP_1) | instskip(SKIP_1) | instid1(VALU_DEP_1)
	v_pk_fma_f32 v[164:165], v[162:163], v[156:157], v[160:161] op_sel:[0,0,1] op_sel_hi:[1,1,0] neg_lo:[0,0,1] neg_hi:[0,0,1]
	v_pk_fma_f32 v[160:161], v[162:163], v[156:157], v[160:161] op_sel:[0,0,1] op_sel_hi:[1,0,0]
	v_mov_b32_e32 v165, v161
	ds_load_2addr_b64 v[160:163], v208 offset0:17 offset1:18
	v_pk_add_f32 v[56:57], v[56:57], v[166:167] neg_lo:[0,1] neg_hi:[0,1]
	v_pk_add_f32 v[80:81], v[80:81], v[164:165] neg_lo:[0,1] neg_hi:[0,1]
	s_wait_dscnt 0x0
	v_dual_mul_f32 v164, v161, v159 :: v_dual_mul_f32 v166, v161, v156
	s_delay_alu instid0(VALU_DEP_1) | instskip(NEXT) | instid1(VALU_DEP_2)
	v_pk_fma_f32 v[164:165], v[160:161], v[40:41], v[164:165] op_sel_hi:[1,1,0] neg_lo:[0,0,1] neg_hi:[0,0,1]
	v_pk_fma_f32 v[160:161], v[160:161], v[40:41], v[166:167] op_sel:[1,0,0] op_sel_hi:[0,1,0]
	s_delay_alu instid0(VALU_DEP_1) | instskip(SKIP_1) | instid1(VALU_DEP_2)
	v_mov_b32_e32 v165, v161
	v_pk_mul_f32 v[160:161], v[162:163], v[158:159] op_sel:[0,1]
	v_pk_add_f32 v[76:77], v[76:77], v[164:165] neg_lo:[0,1] neg_hi:[0,1]
	s_delay_alu instid0(VALU_DEP_2) | instskip(SKIP_1) | instid1(VALU_DEP_1)
	v_pk_fma_f32 v[164:165], v[162:163], v[156:157], v[160:161] op_sel:[0,0,1] op_sel_hi:[1,1,0] neg_lo:[0,0,1] neg_hi:[0,0,1]
	v_pk_fma_f32 v[160:161], v[162:163], v[156:157], v[160:161] op_sel:[0,0,1] op_sel_hi:[1,0,0]
	v_mov_b32_e32 v165, v161
	ds_load_2addr_b64 v[160:163], v208 offset0:19 offset1:20
	v_pk_add_f32 v[78:79], v[78:79], v[164:165] neg_lo:[0,1] neg_hi:[0,1]
	s_wait_dscnt 0x0
	v_pk_mul_f32 v[164:165], v[160:161], v[158:159] op_sel:[0,1]
	s_delay_alu instid0(VALU_DEP_1) | instskip(SKIP_1) | instid1(VALU_DEP_1)
	v_pk_fma_f32 v[166:167], v[160:161], v[156:157], v[164:165] op_sel:[0,0,1] op_sel_hi:[1,1,0] neg_lo:[0,0,1] neg_hi:[0,0,1]
	v_pk_fma_f32 v[160:161], v[160:161], v[156:157], v[164:165] op_sel:[0,0,1] op_sel_hi:[1,0,0]
	v_mov_b32_e32 v167, v161
	v_pk_mul_f32 v[160:161], v[162:163], v[158:159] op_sel:[0,1]
	s_delay_alu instid0(VALU_DEP_2) | instskip(NEXT) | instid1(VALU_DEP_2)
	v_pk_add_f32 v[114:115], v[114:115], v[166:167] neg_lo:[0,1] neg_hi:[0,1]
	v_pk_fma_f32 v[164:165], v[162:163], v[156:157], v[160:161] op_sel:[0,0,1] op_sel_hi:[1,1,0] neg_lo:[0,0,1] neg_hi:[0,0,1]
	v_pk_fma_f32 v[160:161], v[162:163], v[156:157], v[160:161] op_sel:[0,0,1] op_sel_hi:[1,0,0]
	s_delay_alu instid0(VALU_DEP_1) | instskip(SKIP_4) | instid1(VALU_DEP_1)
	v_mov_b32_e32 v165, v161
	ds_load_2addr_b64 v[160:163], v208 offset0:21 offset1:22
	v_pk_add_f32 v[128:129], v[128:129], v[164:165] neg_lo:[0,1] neg_hi:[0,1]
	s_wait_dscnt 0x0
	v_pk_mul_f32 v[164:165], v[160:161], v[158:159] op_sel:[0,1]
	v_pk_fma_f32 v[166:167], v[160:161], v[156:157], v[164:165] op_sel:[0,0,1] op_sel_hi:[1,1,0] neg_lo:[0,0,1] neg_hi:[0,0,1]
	v_pk_fma_f32 v[160:161], v[160:161], v[156:157], v[164:165] op_sel:[0,0,1] op_sel_hi:[1,0,0]
	v_dual_mul_f32 v164, v163, v159 :: v_dual_mov_b32 v160, v163
	s_delay_alu instid0(VALU_DEP_2) | instskip(NEXT) | instid1(VALU_DEP_2)
	v_dual_mov_b32 v167, v161 :: v_dual_mov_b32 v161, v162
	v_pk_fma_f32 v[164:165], v[162:163], v[40:41], v[164:165] op_sel_hi:[1,1,0] neg_lo:[0,0,1] neg_hi:[0,0,1]
	v_mul_f32_e32 v162, v163, v156
	s_delay_alu instid0(VALU_DEP_3) | instskip(NEXT) | instid1(VALU_DEP_2)
	v_pk_add_f32 v[126:127], v[126:127], v[166:167] neg_lo:[0,1] neg_hi:[0,1]
	v_pk_fma_f32 v[160:161], v[160:161], v[40:41], v[162:163] op_sel_hi:[1,1,0]
	s_delay_alu instid0(VALU_DEP_1) | instskip(SKIP_4) | instid1(VALU_DEP_1)
	v_mov_b32_e32 v165, v161
	ds_load_2addr_b64 v[160:163], v208 offset0:23 offset1:24
	v_pk_add_f32 v[136:137], v[136:137], v[164:165] neg_lo:[0,1] neg_hi:[0,1]
	s_wait_dscnt 0x0
	v_pk_mul_f32 v[164:165], v[160:161], v[158:159] op_sel:[0,1]
	v_pk_fma_f32 v[166:167], v[160:161], v[156:157], v[164:165] op_sel:[0,0,1] op_sel_hi:[1,1,0] neg_lo:[0,0,1] neg_hi:[0,0,1]
	v_pk_fma_f32 v[160:161], v[160:161], v[156:157], v[164:165] op_sel:[0,0,1] op_sel_hi:[1,0,0]
	s_delay_alu instid0(VALU_DEP_1) | instskip(SKIP_1) | instid1(VALU_DEP_1)
	v_mov_b32_e32 v167, v161
	v_pk_mul_f32 v[160:161], v[162:163], v[158:159] op_sel:[0,1]
	v_pk_fma_f32 v[164:165], v[162:163], v[156:157], v[160:161] op_sel:[0,0,1] op_sel_hi:[1,1,0] neg_lo:[0,0,1] neg_hi:[0,0,1]
	v_pk_fma_f32 v[160:161], v[162:163], v[156:157], v[160:161] op_sel:[0,0,1] op_sel_hi:[1,0,0]
	s_delay_alu instid0(VALU_DEP_1)
	v_mov_b32_e32 v165, v161
	ds_load_2addr_b64 v[160:163], v208 offset0:25 offset1:26
	v_pk_add_f32 v[124:125], v[124:125], v[166:167] neg_lo:[0,1] neg_hi:[0,1]
	v_pk_add_f32 v[132:133], v[132:133], v[164:165] neg_lo:[0,1] neg_hi:[0,1]
	s_wait_dscnt 0x0
	v_pk_mul_f32 v[164:165], v[160:161], v[158:159] op_sel:[0,1]
	s_delay_alu instid0(VALU_DEP_1) | instskip(SKIP_1) | instid1(VALU_DEP_1)
	v_pk_fma_f32 v[166:167], v[160:161], v[156:157], v[164:165] op_sel:[0,0,1] op_sel_hi:[1,1,0] neg_lo:[0,0,1] neg_hi:[0,0,1]
	v_pk_fma_f32 v[160:161], v[160:161], v[156:157], v[164:165] op_sel:[0,0,1] op_sel_hi:[1,0,0]
	v_mov_b32_e32 v167, v161
	v_pk_mul_f32 v[160:161], v[162:163], v[158:159] op_sel:[0,1]
	s_delay_alu instid0(VALU_DEP_1) | instskip(SKIP_1) | instid1(VALU_DEP_1)
	v_pk_fma_f32 v[164:165], v[162:163], v[156:157], v[160:161] op_sel:[0,0,1] op_sel_hi:[1,1,0] neg_lo:[0,0,1] neg_hi:[0,0,1]
	v_pk_fma_f32 v[160:161], v[162:163], v[156:157], v[160:161] op_sel:[0,0,1] op_sel_hi:[1,0,0]
	v_mov_b32_e32 v165, v161
	ds_load_2addr_b64 v[160:163], v208 offset0:27 offset1:28
	v_pk_add_f32 v[102:103], v[102:103], v[166:167] neg_lo:[0,1] neg_hi:[0,1]
	v_pk_add_f32 v[104:105], v[104:105], v[164:165] neg_lo:[0,1] neg_hi:[0,1]
	s_wait_dscnt 0x0
	v_dual_mul_f32 v164, v161, v159 :: v_dual_mul_f32 v166, v161, v156
	s_delay_alu instid0(VALU_DEP_1) | instskip(NEXT) | instid1(VALU_DEP_2)
	v_pk_fma_f32 v[164:165], v[160:161], v[40:41], v[164:165] op_sel_hi:[1,1,0] neg_lo:[0,0,1] neg_hi:[0,0,1]
	v_pk_fma_f32 v[160:161], v[160:161], v[40:41], v[166:167] op_sel:[1,0,0] op_sel_hi:[0,1,0]
	s_delay_alu instid0(VALU_DEP_1) | instskip(SKIP_1) | instid1(VALU_DEP_2)
	v_mov_b32_e32 v165, v161
	v_pk_mul_f32 v[160:161], v[162:163], v[158:159] op_sel:[0,1]
	v_pk_add_f32 v[100:101], v[100:101], v[164:165] neg_lo:[0,1] neg_hi:[0,1]
	s_delay_alu instid0(VALU_DEP_2) | instskip(SKIP_1) | instid1(VALU_DEP_1)
	v_pk_fma_f32 v[164:165], v[162:163], v[156:157], v[160:161] op_sel:[0,0,1] op_sel_hi:[1,1,0] neg_lo:[0,0,1] neg_hi:[0,0,1]
	v_pk_fma_f32 v[160:161], v[162:163], v[156:157], v[160:161] op_sel:[0,0,1] op_sel_hi:[1,0,0]
	v_mov_b32_e32 v165, v161
	ds_load_2addr_b64 v[160:163], v208 offset0:29 offset1:30
	v_pk_add_f32 v[118:119], v[118:119], v[164:165] neg_lo:[0,1] neg_hi:[0,1]
	s_wait_dscnt 0x0
	v_pk_mul_f32 v[164:165], v[160:161], v[158:159] op_sel:[0,1]
	s_delay_alu instid0(VALU_DEP_1) | instskip(SKIP_1) | instid1(VALU_DEP_1)
	v_pk_fma_f32 v[166:167], v[160:161], v[156:157], v[164:165] op_sel:[0,0,1] op_sel_hi:[1,1,0] neg_lo:[0,0,1] neg_hi:[0,0,1]
	v_pk_fma_f32 v[160:161], v[160:161], v[156:157], v[164:165] op_sel:[0,0,1] op_sel_hi:[1,0,0]
	v_mov_b32_e32 v167, v161
	v_pk_mul_f32 v[160:161], v[162:163], v[158:159] op_sel:[0,1]
	s_delay_alu instid0(VALU_DEP_2) | instskip(NEXT) | instid1(VALU_DEP_2)
	v_pk_add_f32 v[116:117], v[116:117], v[166:167] neg_lo:[0,1] neg_hi:[0,1]
	v_pk_fma_f32 v[164:165], v[162:163], v[156:157], v[160:161] op_sel:[0,0,1] op_sel_hi:[1,1,0] neg_lo:[0,0,1] neg_hi:[0,0,1]
	v_pk_fma_f32 v[160:161], v[162:163], v[156:157], v[160:161] op_sel:[0,0,1] op_sel_hi:[1,0,0]
	s_delay_alu instid0(VALU_DEP_1) | instskip(SKIP_4) | instid1(VALU_DEP_1)
	v_mov_b32_e32 v165, v161
	ds_load_2addr_b64 v[160:163], v208 offset0:31 offset1:32
	v_pk_add_f32 v[130:131], v[130:131], v[164:165] neg_lo:[0,1] neg_hi:[0,1]
	s_wait_dscnt 0x0
	v_pk_mul_f32 v[164:165], v[160:161], v[158:159] op_sel:[0,1]
	v_pk_fma_f32 v[166:167], v[160:161], v[156:157], v[164:165] op_sel:[0,0,1] op_sel_hi:[1,1,0] neg_lo:[0,0,1] neg_hi:[0,0,1]
	v_pk_fma_f32 v[160:161], v[160:161], v[156:157], v[164:165] op_sel:[0,0,1] op_sel_hi:[1,0,0]
	v_dual_mul_f32 v164, v163, v159 :: v_dual_mov_b32 v160, v163
	s_delay_alu instid0(VALU_DEP_2) | instskip(NEXT) | instid1(VALU_DEP_2)
	v_dual_mov_b32 v167, v161 :: v_dual_mov_b32 v161, v162
	v_pk_fma_f32 v[164:165], v[162:163], v[40:41], v[164:165] op_sel_hi:[1,1,0] neg_lo:[0,0,1] neg_hi:[0,0,1]
	v_mul_f32_e32 v162, v163, v156
	s_delay_alu instid0(VALU_DEP_3) | instskip(NEXT) | instid1(VALU_DEP_2)
	v_pk_add_f32 v[122:123], v[122:123], v[166:167] neg_lo:[0,1] neg_hi:[0,1]
	v_pk_fma_f32 v[160:161], v[160:161], v[40:41], v[162:163] op_sel_hi:[1,1,0]
	s_delay_alu instid0(VALU_DEP_1) | instskip(SKIP_4) | instid1(VALU_DEP_1)
	v_mov_b32_e32 v165, v161
	ds_load_b64 v[160:161], v208 offset:264
	v_pk_add_f32 v[120:121], v[120:121], v[164:165] neg_lo:[0,1] neg_hi:[0,1]
	s_wait_dscnt 0x0
	v_pk_mul_f32 v[158:159], v[160:161], v[158:159] op_sel:[0,1]
	v_pk_fma_f32 v[162:163], v[160:161], v[156:157], v[158:159] op_sel:[0,0,1] op_sel_hi:[1,1,0] neg_lo:[0,0,1] neg_hi:[0,0,1]
	v_pk_fma_f32 v[156:157], v[160:161], v[156:157], v[158:159] op_sel:[0,0,1] op_sel_hi:[1,0,0]
	s_delay_alu instid0(VALU_DEP_1) | instskip(NEXT) | instid1(VALU_DEP_1)
	v_mov_b32_e32 v163, v157
	v_pk_add_f32 v[134:135], v[134:135], v[162:163] neg_lo:[0,1] neg_hi:[0,1]
.LBB67_82:
	s_or_b32 exec_lo, exec_lo, s1
	s_delay_alu instid0(SALU_CYCLE_1)
	s_mov_b32 s2, exec_lo
	s_wait_dscnt 0x0
	s_barrier_signal -1
	s_barrier_wait -1
	v_cmpx_eq_u32_e32 9, v206
	s_cbranch_execz .LBB67_89
; %bb.83:
	v_dual_mov_b32 v156, v38 :: v_dual_mov_b32 v157, v39
	v_dual_mov_b32 v158, v34 :: v_dual_mov_b32 v159, v35
	;; [unrolled: 1-line block ×10, first 2 shown]
	ds_store_b64 v207, v[36:37]
	v_dual_mov_b32 v176, v128 :: v_dual_mov_b32 v177, v129
	v_dual_mov_b32 v178, v126 :: v_dual_mov_b32 v179, v127
	ds_store_2addr_b64 v208, v[156:157], v[158:159] offset0:10 offset1:11
	ds_store_2addr_b64 v208, v[160:161], v[162:163] offset0:12 offset1:13
	;; [unrolled: 1-line block ×6, first 2 shown]
	v_dual_mov_b32 v156, v136 :: v_dual_mov_b32 v157, v137
	v_dual_mov_b32 v158, v124 :: v_dual_mov_b32 v159, v125
	;; [unrolled: 1-line block ×11, first 2 shown]
	ds_store_2addr_b64 v208, v[156:157], v[158:159] offset0:22 offset1:23
	ds_store_2addr_b64 v208, v[160:161], v[162:163] offset0:24 offset1:25
	;; [unrolled: 1-line block ×6, first 2 shown]
	ds_load_b64 v[156:157], v207
	s_wait_dscnt 0x0
	v_cmp_neq_f32_e32 vcc_lo, 0, v156
	v_cmp_neq_f32_e64 s1, 0, v157
	s_or_b32 s1, vcc_lo, s1
	s_delay_alu instid0(SALU_CYCLE_1)
	s_and_b32 exec_lo, exec_lo, s1
	s_cbranch_execz .LBB67_89
; %bb.84:
	v_cmp_ngt_f32_e64 s1, |v156|, |v157|
                                        ; implicit-def: $vgpr158_vgpr159
	s_and_saveexec_b32 s4, s1
	s_delay_alu instid0(SALU_CYCLE_1)
	s_xor_b32 s1, exec_lo, s4
	s_cbranch_execz .LBB67_86
; %bb.85:
	v_div_scale_f32 v158, null, v157, v157, v156
	v_div_scale_f32 v161, vcc_lo, v156, v157, v156
	s_delay_alu instid0(VALU_DEP_2) | instskip(SKIP_1) | instid1(TRANS32_DEP_1)
	v_rcp_f32_e32 v159, v158
	v_nop
	v_fma_f32 v160, -v158, v159, 1.0
	s_delay_alu instid0(VALU_DEP_1) | instskip(NEXT) | instid1(VALU_DEP_1)
	v_fmac_f32_e32 v159, v160, v159
	v_mul_f32_e32 v160, v161, v159
	s_delay_alu instid0(VALU_DEP_1) | instskip(NEXT) | instid1(VALU_DEP_1)
	v_fma_f32 v162, -v158, v160, v161
	v_fmac_f32_e32 v160, v162, v159
	s_delay_alu instid0(VALU_DEP_1) | instskip(NEXT) | instid1(VALU_DEP_1)
	v_fma_f32 v158, -v158, v160, v161
	v_div_fmas_f32 v158, v158, v159, v160
	s_delay_alu instid0(VALU_DEP_1) | instskip(NEXT) | instid1(VALU_DEP_1)
	v_div_fixup_f32 v158, v158, v157, v156
	v_fmac_f32_e32 v157, v156, v158
	s_delay_alu instid0(VALU_DEP_1) | instskip(SKIP_1) | instid1(VALU_DEP_2)
	v_div_scale_f32 v156, null, v157, v157, 1.0
	v_div_scale_f32 v161, vcc_lo, 1.0, v157, 1.0
	v_rcp_f32_e32 v159, v156
	v_nop
	s_delay_alu instid0(TRANS32_DEP_1) | instskip(NEXT) | instid1(VALU_DEP_1)
	v_fma_f32 v160, -v156, v159, 1.0
	v_fmac_f32_e32 v159, v160, v159
	s_delay_alu instid0(VALU_DEP_1) | instskip(NEXT) | instid1(VALU_DEP_1)
	v_mul_f32_e32 v160, v161, v159
	v_fma_f32 v162, -v156, v160, v161
	s_delay_alu instid0(VALU_DEP_1) | instskip(NEXT) | instid1(VALU_DEP_1)
	v_fmac_f32_e32 v160, v162, v159
	v_fma_f32 v156, -v156, v160, v161
	s_delay_alu instid0(VALU_DEP_1) | instskip(NEXT) | instid1(VALU_DEP_1)
	v_div_fmas_f32 v156, v156, v159, v160
	v_div_fixup_f32 v156, v156, v157, 1.0
	s_delay_alu instid0(VALU_DEP_1)
	v_mul_f32_e32 v158, v158, v156
	v_xor_b32_e32 v159, 0x80000000, v156
                                        ; implicit-def: $vgpr156_vgpr157
.LBB67_86:
	s_and_not1_saveexec_b32 s1, s1
	s_cbranch_execz .LBB67_88
; %bb.87:
	v_div_scale_f32 v158, null, v156, v156, v157
	v_div_scale_f32 v161, vcc_lo, v157, v156, v157
	s_delay_alu instid0(VALU_DEP_2) | instskip(SKIP_1) | instid1(TRANS32_DEP_1)
	v_rcp_f32_e32 v159, v158
	v_nop
	v_fma_f32 v160, -v158, v159, 1.0
	s_delay_alu instid0(VALU_DEP_1) | instskip(NEXT) | instid1(VALU_DEP_1)
	v_fmac_f32_e32 v159, v160, v159
	v_mul_f32_e32 v160, v161, v159
	s_delay_alu instid0(VALU_DEP_1) | instskip(NEXT) | instid1(VALU_DEP_1)
	v_fma_f32 v162, -v158, v160, v161
	v_fmac_f32_e32 v160, v162, v159
	s_delay_alu instid0(VALU_DEP_1) | instskip(NEXT) | instid1(VALU_DEP_1)
	v_fma_f32 v158, -v158, v160, v161
	v_div_fmas_f32 v158, v158, v159, v160
	s_delay_alu instid0(VALU_DEP_1) | instskip(NEXT) | instid1(VALU_DEP_1)
	v_div_fixup_f32 v159, v158, v156, v157
	v_fmac_f32_e32 v156, v157, v159
	s_delay_alu instid0(VALU_DEP_1) | instskip(NEXT) | instid1(VALU_DEP_1)
	v_div_scale_f32 v157, null, v156, v156, 1.0
	v_rcp_f32_e32 v158, v157
	v_nop
	s_delay_alu instid0(TRANS32_DEP_1) | instskip(NEXT) | instid1(VALU_DEP_1)
	v_fma_f32 v160, -v157, v158, 1.0
	v_fmac_f32_e32 v158, v160, v158
	v_div_scale_f32 v160, vcc_lo, 1.0, v156, 1.0
	s_delay_alu instid0(VALU_DEP_1) | instskip(NEXT) | instid1(VALU_DEP_1)
	v_mul_f32_e32 v161, v160, v158
	v_fma_f32 v162, -v157, v161, v160
	s_delay_alu instid0(VALU_DEP_1) | instskip(NEXT) | instid1(VALU_DEP_1)
	v_fmac_f32_e32 v161, v162, v158
	v_fma_f32 v157, -v157, v161, v160
	s_delay_alu instid0(VALU_DEP_1) | instskip(NEXT) | instid1(VALU_DEP_1)
	v_div_fmas_f32 v157, v157, v158, v161
	v_div_fixup_f32 v158, v157, v156, 1.0
	s_delay_alu instid0(VALU_DEP_1)
	v_mul_f32_e64 v159, v159, -v158
.LBB67_88:
	s_or_b32 exec_lo, exec_lo, s1
	ds_store_b64 v207, v[158:159]
.LBB67_89:
	s_or_b32 exec_lo, exec_lo, s2
	s_wait_dscnt 0x0
	s_barrier_signal -1
	s_barrier_wait -1
	ds_load_b64 v[156:157], v207
	s_mov_b32 s1, exec_lo
	v_cmpx_lt_u32_e32 9, v206
	s_cbranch_execz .LBB67_91
; %bb.90:
	ds_load_2addr_b64 v[162:165], v208 offset0:10 offset1:11
	s_wait_dscnt 0x1
	v_pk_mul_f32 v[160:161], v[156:157], v[36:37] op_sel:[1,1] op_sel_hi:[0,1]
	s_delay_alu instid0(VALU_DEP_1) | instskip(SKIP_1) | instid1(VALU_DEP_1)
	v_pk_fma_f32 v[158:159], v[156:157], v[36:37], v[160:161] op_sel_hi:[1,0,1] neg_lo:[0,0,1] neg_hi:[0,0,1]
	v_pk_fma_f32 v[160:161], v[156:157], v[36:37], v[160:161] op_sel_hi:[1,0,1]
	v_dual_mov_b32 v36, v158 :: v_dual_mov_b32 v37, v161
	s_wait_dscnt 0x0
	s_delay_alu instid0(VALU_DEP_2) | instskip(NEXT) | instid1(VALU_DEP_1)
	v_pk_mul_f32 v[166:167], v[162:163], v[160:161] op_sel:[0,1]
	v_pk_fma_f32 v[168:169], v[162:163], v[158:159], v[166:167] op_sel:[0,0,1] op_sel_hi:[1,1,0] neg_lo:[0,0,1] neg_hi:[0,0,1]
	v_pk_fma_f32 v[162:163], v[162:163], v[158:159], v[166:167] op_sel:[0,0,1] op_sel_hi:[1,0,0]
	s_delay_alu instid0(VALU_DEP_1) | instskip(SKIP_1) | instid1(VALU_DEP_1)
	v_mov_b32_e32 v169, v163
	v_pk_mul_f32 v[162:163], v[164:165], v[160:161] op_sel:[0,1]
	v_pk_fma_f32 v[166:167], v[164:165], v[158:159], v[162:163] op_sel:[0,0,1] op_sel_hi:[1,1,0] neg_lo:[0,0,1] neg_hi:[0,0,1]
	v_pk_fma_f32 v[162:163], v[164:165], v[158:159], v[162:163] op_sel:[0,0,1] op_sel_hi:[1,0,0]
	s_delay_alu instid0(VALU_DEP_1)
	v_mov_b32_e32 v167, v163
	ds_load_2addr_b64 v[162:165], v208 offset0:12 offset1:13
	v_pk_add_f32 v[38:39], v[38:39], v[168:169] neg_lo:[0,1] neg_hi:[0,1]
	v_pk_add_f32 v[34:35], v[34:35], v[166:167] neg_lo:[0,1] neg_hi:[0,1]
	s_wait_dscnt 0x0
	v_pk_mul_f32 v[166:167], v[162:163], v[160:161] op_sel:[0,1]
	s_delay_alu instid0(VALU_DEP_1) | instskip(SKIP_2) | instid1(VALU_DEP_2)
	v_pk_fma_f32 v[168:169], v[162:163], v[158:159], v[166:167] op_sel:[0,0,1] op_sel_hi:[1,1,0] neg_lo:[0,0,1] neg_hi:[0,0,1]
	v_pk_fma_f32 v[162:163], v[162:163], v[158:159], v[166:167] op_sel:[0,0,1] op_sel_hi:[1,0,0]
	v_dual_mul_f32 v166, v165, v161 :: v_dual_mov_b32 v162, v165
	v_dual_mov_b32 v169, v163 :: v_dual_mov_b32 v163, v164
	s_delay_alu instid0(VALU_DEP_2) | instskip(SKIP_1) | instid1(VALU_DEP_3)
	v_pk_fma_f32 v[166:167], v[164:165], v[36:37], v[166:167] op_sel_hi:[1,1,0] neg_lo:[0,0,1] neg_hi:[0,0,1]
	v_mul_f32_e32 v164, v165, v158
	v_pk_add_f32 v[62:63], v[62:63], v[168:169] neg_lo:[0,1] neg_hi:[0,1]
	s_delay_alu instid0(VALU_DEP_2) | instskip(NEXT) | instid1(VALU_DEP_1)
	v_pk_fma_f32 v[162:163], v[162:163], v[36:37], v[164:165] op_sel_hi:[1,1,0]
	v_mov_b32_e32 v167, v163
	ds_load_2addr_b64 v[162:165], v208 offset0:14 offset1:15
	v_pk_add_f32 v[58:59], v[58:59], v[166:167] neg_lo:[0,1] neg_hi:[0,1]
	s_wait_dscnt 0x0
	v_pk_mul_f32 v[166:167], v[162:163], v[160:161] op_sel:[0,1]
	s_delay_alu instid0(VALU_DEP_1) | instskip(SKIP_1) | instid1(VALU_DEP_1)
	v_pk_fma_f32 v[168:169], v[162:163], v[158:159], v[166:167] op_sel:[0,0,1] op_sel_hi:[1,1,0] neg_lo:[0,0,1] neg_hi:[0,0,1]
	v_pk_fma_f32 v[162:163], v[162:163], v[158:159], v[166:167] op_sel:[0,0,1] op_sel_hi:[1,0,0]
	v_mov_b32_e32 v169, v163
	v_pk_mul_f32 v[162:163], v[164:165], v[160:161] op_sel:[0,1]
	s_delay_alu instid0(VALU_DEP_1) | instskip(SKIP_1) | instid1(VALU_DEP_1)
	v_pk_fma_f32 v[166:167], v[164:165], v[158:159], v[162:163] op_sel:[0,0,1] op_sel_hi:[1,1,0] neg_lo:[0,0,1] neg_hi:[0,0,1]
	v_pk_fma_f32 v[162:163], v[164:165], v[158:159], v[162:163] op_sel:[0,0,1] op_sel_hi:[1,0,0]
	v_mov_b32_e32 v167, v163
	ds_load_2addr_b64 v[162:165], v208 offset0:16 offset1:17
	v_pk_add_f32 v[60:61], v[60:61], v[168:169] neg_lo:[0,1] neg_hi:[0,1]
	v_pk_add_f32 v[56:57], v[56:57], v[166:167] neg_lo:[0,1] neg_hi:[0,1]
	s_wait_dscnt 0x0
	v_pk_mul_f32 v[166:167], v[162:163], v[160:161] op_sel:[0,1]
	s_delay_alu instid0(VALU_DEP_1) | instskip(SKIP_1) | instid1(VALU_DEP_1)
	v_pk_fma_f32 v[168:169], v[162:163], v[158:159], v[166:167] op_sel:[0,0,1] op_sel_hi:[1,1,0] neg_lo:[0,0,1] neg_hi:[0,0,1]
	v_pk_fma_f32 v[162:163], v[162:163], v[158:159], v[166:167] op_sel:[0,0,1] op_sel_hi:[1,0,0]
	v_mov_b32_e32 v169, v163
	v_pk_mul_f32 v[162:163], v[164:165], v[160:161] op_sel:[0,1]
	s_delay_alu instid0(VALU_DEP_1) | instskip(SKIP_1) | instid1(VALU_DEP_1)
	v_pk_fma_f32 v[166:167], v[164:165], v[158:159], v[162:163] op_sel:[0,0,1] op_sel_hi:[1,1,0] neg_lo:[0,0,1] neg_hi:[0,0,1]
	v_pk_fma_f32 v[162:163], v[164:165], v[158:159], v[162:163] op_sel:[0,0,1] op_sel_hi:[1,0,0]
	v_mov_b32_e32 v167, v163
	ds_load_2addr_b64 v[162:165], v208 offset0:18 offset1:19
	v_pk_add_f32 v[80:81], v[80:81], v[168:169] neg_lo:[0,1] neg_hi:[0,1]
	v_pk_add_f32 v[76:77], v[76:77], v[166:167] neg_lo:[0,1] neg_hi:[0,1]
	s_wait_dscnt 0x0
	v_dual_mul_f32 v166, v163, v161 :: v_dual_mul_f32 v168, v163, v158
	s_delay_alu instid0(VALU_DEP_1) | instskip(NEXT) | instid1(VALU_DEP_2)
	v_pk_fma_f32 v[166:167], v[162:163], v[36:37], v[166:167] op_sel_hi:[1,1,0] neg_lo:[0,0,1] neg_hi:[0,0,1]
	v_pk_fma_f32 v[162:163], v[162:163], v[36:37], v[168:169] op_sel:[1,0,0] op_sel_hi:[0,1,0]
	s_delay_alu instid0(VALU_DEP_1) | instskip(SKIP_1) | instid1(VALU_DEP_2)
	v_mov_b32_e32 v167, v163
	v_pk_mul_f32 v[162:163], v[164:165], v[160:161] op_sel:[0,1]
	v_pk_add_f32 v[78:79], v[78:79], v[166:167] neg_lo:[0,1] neg_hi:[0,1]
	s_delay_alu instid0(VALU_DEP_2) | instskip(SKIP_1) | instid1(VALU_DEP_1)
	v_pk_fma_f32 v[166:167], v[164:165], v[158:159], v[162:163] op_sel:[0,0,1] op_sel_hi:[1,1,0] neg_lo:[0,0,1] neg_hi:[0,0,1]
	v_pk_fma_f32 v[162:163], v[164:165], v[158:159], v[162:163] op_sel:[0,0,1] op_sel_hi:[1,0,0]
	v_mov_b32_e32 v167, v163
	ds_load_2addr_b64 v[162:165], v208 offset0:20 offset1:21
	v_pk_add_f32 v[114:115], v[114:115], v[166:167] neg_lo:[0,1] neg_hi:[0,1]
	s_wait_dscnt 0x0
	v_pk_mul_f32 v[166:167], v[162:163], v[160:161] op_sel:[0,1]
	s_delay_alu instid0(VALU_DEP_1) | instskip(SKIP_1) | instid1(VALU_DEP_1)
	v_pk_fma_f32 v[168:169], v[162:163], v[158:159], v[166:167] op_sel:[0,0,1] op_sel_hi:[1,1,0] neg_lo:[0,0,1] neg_hi:[0,0,1]
	v_pk_fma_f32 v[162:163], v[162:163], v[158:159], v[166:167] op_sel:[0,0,1] op_sel_hi:[1,0,0]
	v_mov_b32_e32 v169, v163
	v_pk_mul_f32 v[162:163], v[164:165], v[160:161] op_sel:[0,1]
	s_delay_alu instid0(VALU_DEP_2) | instskip(NEXT) | instid1(VALU_DEP_2)
	v_pk_add_f32 v[128:129], v[128:129], v[168:169] neg_lo:[0,1] neg_hi:[0,1]
	v_pk_fma_f32 v[166:167], v[164:165], v[158:159], v[162:163] op_sel:[0,0,1] op_sel_hi:[1,1,0] neg_lo:[0,0,1] neg_hi:[0,0,1]
	v_pk_fma_f32 v[162:163], v[164:165], v[158:159], v[162:163] op_sel:[0,0,1] op_sel_hi:[1,0,0]
	s_delay_alu instid0(VALU_DEP_1) | instskip(SKIP_4) | instid1(VALU_DEP_1)
	v_mov_b32_e32 v167, v163
	ds_load_2addr_b64 v[162:165], v208 offset0:22 offset1:23
	v_pk_add_f32 v[126:127], v[126:127], v[166:167] neg_lo:[0,1] neg_hi:[0,1]
	s_wait_dscnt 0x0
	v_pk_mul_f32 v[166:167], v[162:163], v[160:161] op_sel:[0,1]
	v_pk_fma_f32 v[168:169], v[162:163], v[158:159], v[166:167] op_sel:[0,0,1] op_sel_hi:[1,1,0] neg_lo:[0,0,1] neg_hi:[0,0,1]
	v_pk_fma_f32 v[162:163], v[162:163], v[158:159], v[166:167] op_sel:[0,0,1] op_sel_hi:[1,0,0]
	v_dual_mul_f32 v166, v165, v161 :: v_dual_mov_b32 v162, v165
	s_delay_alu instid0(VALU_DEP_2) | instskip(NEXT) | instid1(VALU_DEP_2)
	v_dual_mov_b32 v169, v163 :: v_dual_mov_b32 v163, v164
	v_pk_fma_f32 v[166:167], v[164:165], v[36:37], v[166:167] op_sel_hi:[1,1,0] neg_lo:[0,0,1] neg_hi:[0,0,1]
	v_mul_f32_e32 v164, v165, v158
	s_delay_alu instid0(VALU_DEP_3) | instskip(NEXT) | instid1(VALU_DEP_2)
	v_pk_add_f32 v[136:137], v[136:137], v[168:169] neg_lo:[0,1] neg_hi:[0,1]
	v_pk_fma_f32 v[162:163], v[162:163], v[36:37], v[164:165] op_sel_hi:[1,1,0]
	s_delay_alu instid0(VALU_DEP_1) | instskip(SKIP_4) | instid1(VALU_DEP_1)
	v_mov_b32_e32 v167, v163
	ds_load_2addr_b64 v[162:165], v208 offset0:24 offset1:25
	v_pk_add_f32 v[124:125], v[124:125], v[166:167] neg_lo:[0,1] neg_hi:[0,1]
	s_wait_dscnt 0x0
	v_pk_mul_f32 v[166:167], v[162:163], v[160:161] op_sel:[0,1]
	v_pk_fma_f32 v[168:169], v[162:163], v[158:159], v[166:167] op_sel:[0,0,1] op_sel_hi:[1,1,0] neg_lo:[0,0,1] neg_hi:[0,0,1]
	v_pk_fma_f32 v[162:163], v[162:163], v[158:159], v[166:167] op_sel:[0,0,1] op_sel_hi:[1,0,0]
	s_delay_alu instid0(VALU_DEP_1) | instskip(SKIP_1) | instid1(VALU_DEP_1)
	v_mov_b32_e32 v169, v163
	v_pk_mul_f32 v[162:163], v[164:165], v[160:161] op_sel:[0,1]
	v_pk_fma_f32 v[166:167], v[164:165], v[158:159], v[162:163] op_sel:[0,0,1] op_sel_hi:[1,1,0] neg_lo:[0,0,1] neg_hi:[0,0,1]
	v_pk_fma_f32 v[162:163], v[164:165], v[158:159], v[162:163] op_sel:[0,0,1] op_sel_hi:[1,0,0]
	s_delay_alu instid0(VALU_DEP_1)
	v_mov_b32_e32 v167, v163
	ds_load_2addr_b64 v[162:165], v208 offset0:26 offset1:27
	v_pk_add_f32 v[132:133], v[132:133], v[168:169] neg_lo:[0,1] neg_hi:[0,1]
	v_pk_add_f32 v[102:103], v[102:103], v[166:167] neg_lo:[0,1] neg_hi:[0,1]
	s_wait_dscnt 0x0
	v_pk_mul_f32 v[166:167], v[162:163], v[160:161] op_sel:[0,1]
	s_delay_alu instid0(VALU_DEP_1) | instskip(SKIP_1) | instid1(VALU_DEP_1)
	v_pk_fma_f32 v[168:169], v[162:163], v[158:159], v[166:167] op_sel:[0,0,1] op_sel_hi:[1,1,0] neg_lo:[0,0,1] neg_hi:[0,0,1]
	v_pk_fma_f32 v[162:163], v[162:163], v[158:159], v[166:167] op_sel:[0,0,1] op_sel_hi:[1,0,0]
	v_mov_b32_e32 v169, v163
	v_pk_mul_f32 v[162:163], v[164:165], v[160:161] op_sel:[0,1]
	s_delay_alu instid0(VALU_DEP_1) | instskip(SKIP_1) | instid1(VALU_DEP_1)
	v_pk_fma_f32 v[166:167], v[164:165], v[158:159], v[162:163] op_sel:[0,0,1] op_sel_hi:[1,1,0] neg_lo:[0,0,1] neg_hi:[0,0,1]
	v_pk_fma_f32 v[162:163], v[164:165], v[158:159], v[162:163] op_sel:[0,0,1] op_sel_hi:[1,0,0]
	v_mov_b32_e32 v167, v163
	ds_load_2addr_b64 v[162:165], v208 offset0:28 offset1:29
	v_pk_add_f32 v[104:105], v[104:105], v[168:169] neg_lo:[0,1] neg_hi:[0,1]
	v_pk_add_f32 v[100:101], v[100:101], v[166:167] neg_lo:[0,1] neg_hi:[0,1]
	s_wait_dscnt 0x0
	v_dual_mul_f32 v166, v163, v161 :: v_dual_mul_f32 v168, v163, v158
	s_delay_alu instid0(VALU_DEP_1) | instskip(NEXT) | instid1(VALU_DEP_2)
	v_pk_fma_f32 v[166:167], v[162:163], v[36:37], v[166:167] op_sel_hi:[1,1,0] neg_lo:[0,0,1] neg_hi:[0,0,1]
	v_pk_fma_f32 v[162:163], v[162:163], v[36:37], v[168:169] op_sel:[1,0,0] op_sel_hi:[0,1,0]
	s_delay_alu instid0(VALU_DEP_1) | instskip(SKIP_1) | instid1(VALU_DEP_2)
	v_mov_b32_e32 v167, v163
	v_pk_mul_f32 v[162:163], v[164:165], v[160:161] op_sel:[0,1]
	v_pk_add_f32 v[118:119], v[118:119], v[166:167] neg_lo:[0,1] neg_hi:[0,1]
	s_delay_alu instid0(VALU_DEP_2) | instskip(SKIP_1) | instid1(VALU_DEP_1)
	v_pk_fma_f32 v[166:167], v[164:165], v[158:159], v[162:163] op_sel:[0,0,1] op_sel_hi:[1,1,0] neg_lo:[0,0,1] neg_hi:[0,0,1]
	v_pk_fma_f32 v[162:163], v[164:165], v[158:159], v[162:163] op_sel:[0,0,1] op_sel_hi:[1,0,0]
	v_mov_b32_e32 v167, v163
	ds_load_2addr_b64 v[162:165], v208 offset0:30 offset1:31
	v_pk_add_f32 v[116:117], v[116:117], v[166:167] neg_lo:[0,1] neg_hi:[0,1]
	s_wait_dscnt 0x0
	v_pk_mul_f32 v[166:167], v[162:163], v[160:161] op_sel:[0,1]
	s_delay_alu instid0(VALU_DEP_1) | instskip(SKIP_1) | instid1(VALU_DEP_1)
	v_pk_fma_f32 v[168:169], v[162:163], v[158:159], v[166:167] op_sel:[0,0,1] op_sel_hi:[1,1,0] neg_lo:[0,0,1] neg_hi:[0,0,1]
	v_pk_fma_f32 v[162:163], v[162:163], v[158:159], v[166:167] op_sel:[0,0,1] op_sel_hi:[1,0,0]
	v_mov_b32_e32 v169, v163
	v_pk_mul_f32 v[162:163], v[164:165], v[160:161] op_sel:[0,1]
	s_delay_alu instid0(VALU_DEP_2) | instskip(NEXT) | instid1(VALU_DEP_2)
	v_pk_add_f32 v[130:131], v[130:131], v[168:169] neg_lo:[0,1] neg_hi:[0,1]
	v_pk_fma_f32 v[166:167], v[164:165], v[158:159], v[162:163] op_sel:[0,0,1] op_sel_hi:[1,1,0] neg_lo:[0,0,1] neg_hi:[0,0,1]
	v_pk_fma_f32 v[162:163], v[164:165], v[158:159], v[162:163] op_sel:[0,0,1] op_sel_hi:[1,0,0]
	s_delay_alu instid0(VALU_DEP_1)
	v_mov_b32_e32 v167, v163
	ds_load_2addr_b64 v[162:165], v208 offset0:32 offset1:33
	v_pk_add_f32 v[122:123], v[122:123], v[166:167] neg_lo:[0,1] neg_hi:[0,1]
	s_wait_dscnt 0x0
	v_pk_mul_f32 v[166:167], v[162:163], v[160:161] op_sel:[0,1]
	v_mul_f32_e32 v160, v165, v161
	s_delay_alu instid0(VALU_DEP_2) | instskip(SKIP_2) | instid1(VALU_DEP_4)
	v_pk_fma_f32 v[168:169], v[162:163], v[158:159], v[166:167] op_sel:[0,0,1] op_sel_hi:[1,1,0] neg_lo:[0,0,1] neg_hi:[0,0,1]
	v_pk_fma_f32 v[162:163], v[162:163], v[158:159], v[166:167] op_sel:[0,0,1] op_sel_hi:[1,0,0]
	v_dual_mov_b32 v162, v165 :: v_dual_mul_f32 v158, v165, v158
	v_pk_fma_f32 v[160:161], v[164:165], v[36:37], v[160:161] op_sel_hi:[1,1,0] neg_lo:[0,0,1] neg_hi:[0,0,1]
	s_delay_alu instid0(VALU_DEP_3) | instskip(NEXT) | instid1(VALU_DEP_1)
	v_dual_mov_b32 v169, v163 :: v_dual_mov_b32 v163, v164
	v_pk_add_f32 v[120:121], v[120:121], v[168:169] neg_lo:[0,1] neg_hi:[0,1]
	s_delay_alu instid0(VALU_DEP_2) | instskip(NEXT) | instid1(VALU_DEP_1)
	v_pk_fma_f32 v[158:159], v[162:163], v[36:37], v[158:159] op_sel_hi:[1,1,0]
	v_mov_b32_e32 v161, v159
	s_delay_alu instid0(VALU_DEP_1)
	v_pk_add_f32 v[134:135], v[134:135], v[160:161] neg_lo:[0,1] neg_hi:[0,1]
.LBB67_91:
	s_or_b32 exec_lo, exec_lo, s1
	s_delay_alu instid0(SALU_CYCLE_1)
	s_mov_b32 s2, exec_lo
	s_wait_dscnt 0x0
	s_barrier_signal -1
	s_barrier_wait -1
	v_cmpx_eq_u32_e32 10, v206
	s_cbranch_execz .LBB67_98
; %bb.92:
	ds_store_b64 v207, v[38:39]
	ds_store_2addr_b64 v208, v[34:35], v[62:63] offset0:11 offset1:12
	ds_store_2addr_b64 v208, v[58:59], v[60:61] offset0:13 offset1:14
	;; [unrolled: 1-line block ×11, first 2 shown]
	ds_store_b64 v208, v[134:135] offset:264
	ds_load_b64 v[158:159], v207
	s_wait_dscnt 0x0
	v_cmp_neq_f32_e32 vcc_lo, 0, v158
	v_cmp_neq_f32_e64 s1, 0, v159
	s_or_b32 s1, vcc_lo, s1
	s_delay_alu instid0(SALU_CYCLE_1)
	s_and_b32 exec_lo, exec_lo, s1
	s_cbranch_execz .LBB67_98
; %bb.93:
	v_cmp_ngt_f32_e64 s1, |v158|, |v159|
                                        ; implicit-def: $vgpr160_vgpr161
	s_and_saveexec_b32 s4, s1
	s_delay_alu instid0(SALU_CYCLE_1)
	s_xor_b32 s1, exec_lo, s4
	s_cbranch_execz .LBB67_95
; %bb.94:
	v_div_scale_f32 v160, null, v159, v159, v158
	v_div_scale_f32 v163, vcc_lo, v158, v159, v158
	s_delay_alu instid0(VALU_DEP_2) | instskip(SKIP_1) | instid1(TRANS32_DEP_1)
	v_rcp_f32_e32 v161, v160
	v_nop
	v_fma_f32 v162, -v160, v161, 1.0
	s_delay_alu instid0(VALU_DEP_1) | instskip(NEXT) | instid1(VALU_DEP_1)
	v_fmac_f32_e32 v161, v162, v161
	v_mul_f32_e32 v162, v163, v161
	s_delay_alu instid0(VALU_DEP_1) | instskip(NEXT) | instid1(VALU_DEP_1)
	v_fma_f32 v164, -v160, v162, v163
	v_fmac_f32_e32 v162, v164, v161
	s_delay_alu instid0(VALU_DEP_1) | instskip(NEXT) | instid1(VALU_DEP_1)
	v_fma_f32 v160, -v160, v162, v163
	v_div_fmas_f32 v160, v160, v161, v162
	s_delay_alu instid0(VALU_DEP_1) | instskip(NEXT) | instid1(VALU_DEP_1)
	v_div_fixup_f32 v160, v160, v159, v158
	v_fmac_f32_e32 v159, v158, v160
	s_delay_alu instid0(VALU_DEP_1) | instskip(SKIP_1) | instid1(VALU_DEP_2)
	v_div_scale_f32 v158, null, v159, v159, 1.0
	v_div_scale_f32 v163, vcc_lo, 1.0, v159, 1.0
	v_rcp_f32_e32 v161, v158
	v_nop
	s_delay_alu instid0(TRANS32_DEP_1) | instskip(NEXT) | instid1(VALU_DEP_1)
	v_fma_f32 v162, -v158, v161, 1.0
	v_fmac_f32_e32 v161, v162, v161
	s_delay_alu instid0(VALU_DEP_1) | instskip(NEXT) | instid1(VALU_DEP_1)
	v_mul_f32_e32 v162, v163, v161
	v_fma_f32 v164, -v158, v162, v163
	s_delay_alu instid0(VALU_DEP_1) | instskip(NEXT) | instid1(VALU_DEP_1)
	v_fmac_f32_e32 v162, v164, v161
	v_fma_f32 v158, -v158, v162, v163
	s_delay_alu instid0(VALU_DEP_1) | instskip(NEXT) | instid1(VALU_DEP_1)
	v_div_fmas_f32 v158, v158, v161, v162
	v_div_fixup_f32 v158, v158, v159, 1.0
	s_delay_alu instid0(VALU_DEP_1)
	v_mul_f32_e32 v160, v160, v158
	v_xor_b32_e32 v161, 0x80000000, v158
                                        ; implicit-def: $vgpr158_vgpr159
.LBB67_95:
	s_and_not1_saveexec_b32 s1, s1
	s_cbranch_execz .LBB67_97
; %bb.96:
	v_div_scale_f32 v160, null, v158, v158, v159
	v_div_scale_f32 v163, vcc_lo, v159, v158, v159
	s_delay_alu instid0(VALU_DEP_2) | instskip(SKIP_1) | instid1(TRANS32_DEP_1)
	v_rcp_f32_e32 v161, v160
	v_nop
	v_fma_f32 v162, -v160, v161, 1.0
	s_delay_alu instid0(VALU_DEP_1) | instskip(NEXT) | instid1(VALU_DEP_1)
	v_fmac_f32_e32 v161, v162, v161
	v_mul_f32_e32 v162, v163, v161
	s_delay_alu instid0(VALU_DEP_1) | instskip(NEXT) | instid1(VALU_DEP_1)
	v_fma_f32 v164, -v160, v162, v163
	v_fmac_f32_e32 v162, v164, v161
	s_delay_alu instid0(VALU_DEP_1) | instskip(NEXT) | instid1(VALU_DEP_1)
	v_fma_f32 v160, -v160, v162, v163
	v_div_fmas_f32 v160, v160, v161, v162
	s_delay_alu instid0(VALU_DEP_1) | instskip(NEXT) | instid1(VALU_DEP_1)
	v_div_fixup_f32 v161, v160, v158, v159
	v_fmac_f32_e32 v158, v159, v161
	s_delay_alu instid0(VALU_DEP_1) | instskip(NEXT) | instid1(VALU_DEP_1)
	v_div_scale_f32 v159, null, v158, v158, 1.0
	v_rcp_f32_e32 v160, v159
	v_nop
	s_delay_alu instid0(TRANS32_DEP_1) | instskip(NEXT) | instid1(VALU_DEP_1)
	v_fma_f32 v162, -v159, v160, 1.0
	v_fmac_f32_e32 v160, v162, v160
	v_div_scale_f32 v162, vcc_lo, 1.0, v158, 1.0
	s_delay_alu instid0(VALU_DEP_1) | instskip(NEXT) | instid1(VALU_DEP_1)
	v_mul_f32_e32 v163, v162, v160
	v_fma_f32 v164, -v159, v163, v162
	s_delay_alu instid0(VALU_DEP_1) | instskip(NEXT) | instid1(VALU_DEP_1)
	v_fmac_f32_e32 v163, v164, v160
	v_fma_f32 v159, -v159, v163, v162
	s_delay_alu instid0(VALU_DEP_1) | instskip(NEXT) | instid1(VALU_DEP_1)
	v_div_fmas_f32 v159, v159, v160, v163
	v_div_fixup_f32 v160, v159, v158, 1.0
	s_delay_alu instid0(VALU_DEP_1)
	v_mul_f32_e64 v161, v161, -v160
.LBB67_97:
	s_or_b32 exec_lo, exec_lo, s1
	ds_store_b64 v207, v[160:161]
.LBB67_98:
	s_or_b32 exec_lo, exec_lo, s2
	s_wait_dscnt 0x0
	s_barrier_signal -1
	s_barrier_wait -1
	ds_load_b64 v[158:159], v207
	s_mov_b32 s1, exec_lo
	v_cmpx_lt_u32_e32 10, v206
	s_cbranch_execz .LBB67_100
; %bb.99:
	ds_load_2addr_b64 v[164:167], v208 offset0:11 offset1:12
	s_wait_dscnt 0x1
	v_pk_mul_f32 v[162:163], v[158:159], v[38:39] op_sel:[1,1] op_sel_hi:[0,1]
	s_delay_alu instid0(VALU_DEP_1) | instskip(SKIP_1) | instid1(VALU_DEP_1)
	v_pk_fma_f32 v[160:161], v[158:159], v[38:39], v[162:163] op_sel_hi:[1,0,1] neg_lo:[0,0,1] neg_hi:[0,0,1]
	v_pk_fma_f32 v[162:163], v[158:159], v[38:39], v[162:163] op_sel_hi:[1,0,1]
	v_dual_mov_b32 v38, v160 :: v_dual_mov_b32 v39, v163
	s_wait_dscnt 0x0
	s_delay_alu instid0(VALU_DEP_2) | instskip(NEXT) | instid1(VALU_DEP_1)
	v_pk_mul_f32 v[168:169], v[164:165], v[162:163] op_sel:[0,1]
	v_pk_fma_f32 v[170:171], v[164:165], v[160:161], v[168:169] op_sel:[0,0,1] op_sel_hi:[1,1,0] neg_lo:[0,0,1] neg_hi:[0,0,1]
	v_pk_fma_f32 v[164:165], v[164:165], v[160:161], v[168:169] op_sel:[0,0,1] op_sel_hi:[1,0,0]
	s_delay_alu instid0(VALU_DEP_1) | instskip(SKIP_1) | instid1(VALU_DEP_1)
	v_mov_b32_e32 v171, v165
	v_pk_mul_f32 v[164:165], v[166:167], v[162:163] op_sel:[0,1]
	v_pk_fma_f32 v[168:169], v[166:167], v[160:161], v[164:165] op_sel:[0,0,1] op_sel_hi:[1,1,0] neg_lo:[0,0,1] neg_hi:[0,0,1]
	v_pk_fma_f32 v[164:165], v[166:167], v[160:161], v[164:165] op_sel:[0,0,1] op_sel_hi:[1,0,0]
	s_delay_alu instid0(VALU_DEP_1)
	v_mov_b32_e32 v169, v165
	ds_load_2addr_b64 v[164:167], v208 offset0:13 offset1:14
	v_pk_add_f32 v[34:35], v[34:35], v[170:171] neg_lo:[0,1] neg_hi:[0,1]
	v_pk_add_f32 v[62:63], v[62:63], v[168:169] neg_lo:[0,1] neg_hi:[0,1]
	s_wait_dscnt 0x0
	v_pk_mul_f32 v[168:169], v[164:165], v[162:163] op_sel:[0,1]
	s_delay_alu instid0(VALU_DEP_1) | instskip(SKIP_2) | instid1(VALU_DEP_2)
	v_pk_fma_f32 v[170:171], v[164:165], v[160:161], v[168:169] op_sel:[0,0,1] op_sel_hi:[1,1,0] neg_lo:[0,0,1] neg_hi:[0,0,1]
	v_pk_fma_f32 v[164:165], v[164:165], v[160:161], v[168:169] op_sel:[0,0,1] op_sel_hi:[1,0,0]
	v_dual_mul_f32 v168, v167, v163 :: v_dual_mov_b32 v164, v167
	v_dual_mov_b32 v171, v165 :: v_dual_mov_b32 v165, v166
	s_delay_alu instid0(VALU_DEP_2) | instskip(SKIP_1) | instid1(VALU_DEP_3)
	v_pk_fma_f32 v[168:169], v[166:167], v[38:39], v[168:169] op_sel_hi:[1,1,0] neg_lo:[0,0,1] neg_hi:[0,0,1]
	v_mul_f32_e32 v166, v167, v160
	v_pk_add_f32 v[58:59], v[58:59], v[170:171] neg_lo:[0,1] neg_hi:[0,1]
	s_delay_alu instid0(VALU_DEP_2) | instskip(NEXT) | instid1(VALU_DEP_1)
	v_pk_fma_f32 v[164:165], v[164:165], v[38:39], v[166:167] op_sel_hi:[1,1,0]
	v_mov_b32_e32 v169, v165
	ds_load_2addr_b64 v[164:167], v208 offset0:15 offset1:16
	v_pk_add_f32 v[60:61], v[60:61], v[168:169] neg_lo:[0,1] neg_hi:[0,1]
	s_wait_dscnt 0x0
	v_pk_mul_f32 v[168:169], v[164:165], v[162:163] op_sel:[0,1]
	s_delay_alu instid0(VALU_DEP_1) | instskip(SKIP_1) | instid1(VALU_DEP_1)
	v_pk_fma_f32 v[170:171], v[164:165], v[160:161], v[168:169] op_sel:[0,0,1] op_sel_hi:[1,1,0] neg_lo:[0,0,1] neg_hi:[0,0,1]
	v_pk_fma_f32 v[164:165], v[164:165], v[160:161], v[168:169] op_sel:[0,0,1] op_sel_hi:[1,0,0]
	v_mov_b32_e32 v171, v165
	v_pk_mul_f32 v[164:165], v[166:167], v[162:163] op_sel:[0,1]
	s_delay_alu instid0(VALU_DEP_1) | instskip(SKIP_1) | instid1(VALU_DEP_1)
	v_pk_fma_f32 v[168:169], v[166:167], v[160:161], v[164:165] op_sel:[0,0,1] op_sel_hi:[1,1,0] neg_lo:[0,0,1] neg_hi:[0,0,1]
	v_pk_fma_f32 v[164:165], v[166:167], v[160:161], v[164:165] op_sel:[0,0,1] op_sel_hi:[1,0,0]
	v_mov_b32_e32 v169, v165
	ds_load_2addr_b64 v[164:167], v208 offset0:17 offset1:18
	v_pk_add_f32 v[56:57], v[56:57], v[170:171] neg_lo:[0,1] neg_hi:[0,1]
	v_pk_add_f32 v[80:81], v[80:81], v[168:169] neg_lo:[0,1] neg_hi:[0,1]
	s_wait_dscnt 0x0
	v_pk_mul_f32 v[168:169], v[164:165], v[162:163] op_sel:[0,1]
	s_delay_alu instid0(VALU_DEP_1) | instskip(SKIP_1) | instid1(VALU_DEP_1)
	v_pk_fma_f32 v[170:171], v[164:165], v[160:161], v[168:169] op_sel:[0,0,1] op_sel_hi:[1,1,0] neg_lo:[0,0,1] neg_hi:[0,0,1]
	v_pk_fma_f32 v[164:165], v[164:165], v[160:161], v[168:169] op_sel:[0,0,1] op_sel_hi:[1,0,0]
	v_mov_b32_e32 v171, v165
	v_pk_mul_f32 v[164:165], v[166:167], v[162:163] op_sel:[0,1]
	s_delay_alu instid0(VALU_DEP_1) | instskip(SKIP_1) | instid1(VALU_DEP_1)
	v_pk_fma_f32 v[168:169], v[166:167], v[160:161], v[164:165] op_sel:[0,0,1] op_sel_hi:[1,1,0] neg_lo:[0,0,1] neg_hi:[0,0,1]
	v_pk_fma_f32 v[164:165], v[166:167], v[160:161], v[164:165] op_sel:[0,0,1] op_sel_hi:[1,0,0]
	v_mov_b32_e32 v169, v165
	ds_load_2addr_b64 v[164:167], v208 offset0:19 offset1:20
	v_pk_add_f32 v[76:77], v[76:77], v[170:171] neg_lo:[0,1] neg_hi:[0,1]
	v_pk_add_f32 v[78:79], v[78:79], v[168:169] neg_lo:[0,1] neg_hi:[0,1]
	s_wait_dscnt 0x0
	v_dual_mul_f32 v168, v165, v163 :: v_dual_mul_f32 v170, v165, v160
	s_delay_alu instid0(VALU_DEP_1) | instskip(NEXT) | instid1(VALU_DEP_2)
	v_pk_fma_f32 v[168:169], v[164:165], v[38:39], v[168:169] op_sel_hi:[1,1,0] neg_lo:[0,0,1] neg_hi:[0,0,1]
	v_pk_fma_f32 v[164:165], v[164:165], v[38:39], v[170:171] op_sel:[1,0,0] op_sel_hi:[0,1,0]
	s_delay_alu instid0(VALU_DEP_1) | instskip(SKIP_1) | instid1(VALU_DEP_2)
	v_mov_b32_e32 v169, v165
	v_pk_mul_f32 v[164:165], v[166:167], v[162:163] op_sel:[0,1]
	v_pk_add_f32 v[114:115], v[114:115], v[168:169] neg_lo:[0,1] neg_hi:[0,1]
	s_delay_alu instid0(VALU_DEP_2) | instskip(SKIP_1) | instid1(VALU_DEP_1)
	v_pk_fma_f32 v[168:169], v[166:167], v[160:161], v[164:165] op_sel:[0,0,1] op_sel_hi:[1,1,0] neg_lo:[0,0,1] neg_hi:[0,0,1]
	v_pk_fma_f32 v[164:165], v[166:167], v[160:161], v[164:165] op_sel:[0,0,1] op_sel_hi:[1,0,0]
	v_mov_b32_e32 v169, v165
	ds_load_2addr_b64 v[164:167], v208 offset0:21 offset1:22
	v_pk_add_f32 v[128:129], v[128:129], v[168:169] neg_lo:[0,1] neg_hi:[0,1]
	s_wait_dscnt 0x0
	v_pk_mul_f32 v[168:169], v[164:165], v[162:163] op_sel:[0,1]
	s_delay_alu instid0(VALU_DEP_1) | instskip(SKIP_1) | instid1(VALU_DEP_1)
	v_pk_fma_f32 v[170:171], v[164:165], v[160:161], v[168:169] op_sel:[0,0,1] op_sel_hi:[1,1,0] neg_lo:[0,0,1] neg_hi:[0,0,1]
	v_pk_fma_f32 v[164:165], v[164:165], v[160:161], v[168:169] op_sel:[0,0,1] op_sel_hi:[1,0,0]
	v_mov_b32_e32 v171, v165
	v_pk_mul_f32 v[164:165], v[166:167], v[162:163] op_sel:[0,1]
	s_delay_alu instid0(VALU_DEP_2) | instskip(NEXT) | instid1(VALU_DEP_2)
	v_pk_add_f32 v[126:127], v[126:127], v[170:171] neg_lo:[0,1] neg_hi:[0,1]
	v_pk_fma_f32 v[168:169], v[166:167], v[160:161], v[164:165] op_sel:[0,0,1] op_sel_hi:[1,1,0] neg_lo:[0,0,1] neg_hi:[0,0,1]
	v_pk_fma_f32 v[164:165], v[166:167], v[160:161], v[164:165] op_sel:[0,0,1] op_sel_hi:[1,0,0]
	s_delay_alu instid0(VALU_DEP_1) | instskip(SKIP_4) | instid1(VALU_DEP_1)
	v_mov_b32_e32 v169, v165
	ds_load_2addr_b64 v[164:167], v208 offset0:23 offset1:24
	v_pk_add_f32 v[136:137], v[136:137], v[168:169] neg_lo:[0,1] neg_hi:[0,1]
	s_wait_dscnt 0x0
	v_pk_mul_f32 v[168:169], v[164:165], v[162:163] op_sel:[0,1]
	v_pk_fma_f32 v[170:171], v[164:165], v[160:161], v[168:169] op_sel:[0,0,1] op_sel_hi:[1,1,0] neg_lo:[0,0,1] neg_hi:[0,0,1]
	v_pk_fma_f32 v[164:165], v[164:165], v[160:161], v[168:169] op_sel:[0,0,1] op_sel_hi:[1,0,0]
	v_dual_mul_f32 v168, v167, v163 :: v_dual_mov_b32 v164, v167
	s_delay_alu instid0(VALU_DEP_2) | instskip(NEXT) | instid1(VALU_DEP_2)
	v_dual_mov_b32 v171, v165 :: v_dual_mov_b32 v165, v166
	v_pk_fma_f32 v[168:169], v[166:167], v[38:39], v[168:169] op_sel_hi:[1,1,0] neg_lo:[0,0,1] neg_hi:[0,0,1]
	v_mul_f32_e32 v166, v167, v160
	s_delay_alu instid0(VALU_DEP_3) | instskip(NEXT) | instid1(VALU_DEP_2)
	v_pk_add_f32 v[124:125], v[124:125], v[170:171] neg_lo:[0,1] neg_hi:[0,1]
	v_pk_fma_f32 v[164:165], v[164:165], v[38:39], v[166:167] op_sel_hi:[1,1,0]
	s_delay_alu instid0(VALU_DEP_1) | instskip(SKIP_4) | instid1(VALU_DEP_1)
	v_mov_b32_e32 v169, v165
	ds_load_2addr_b64 v[164:167], v208 offset0:25 offset1:26
	v_pk_add_f32 v[132:133], v[132:133], v[168:169] neg_lo:[0,1] neg_hi:[0,1]
	s_wait_dscnt 0x0
	v_pk_mul_f32 v[168:169], v[164:165], v[162:163] op_sel:[0,1]
	v_pk_fma_f32 v[170:171], v[164:165], v[160:161], v[168:169] op_sel:[0,0,1] op_sel_hi:[1,1,0] neg_lo:[0,0,1] neg_hi:[0,0,1]
	v_pk_fma_f32 v[164:165], v[164:165], v[160:161], v[168:169] op_sel:[0,0,1] op_sel_hi:[1,0,0]
	s_delay_alu instid0(VALU_DEP_1) | instskip(SKIP_1) | instid1(VALU_DEP_1)
	v_mov_b32_e32 v171, v165
	v_pk_mul_f32 v[164:165], v[166:167], v[162:163] op_sel:[0,1]
	v_pk_fma_f32 v[168:169], v[166:167], v[160:161], v[164:165] op_sel:[0,0,1] op_sel_hi:[1,1,0] neg_lo:[0,0,1] neg_hi:[0,0,1]
	v_pk_fma_f32 v[164:165], v[166:167], v[160:161], v[164:165] op_sel:[0,0,1] op_sel_hi:[1,0,0]
	s_delay_alu instid0(VALU_DEP_1)
	v_mov_b32_e32 v169, v165
	ds_load_2addr_b64 v[164:167], v208 offset0:27 offset1:28
	v_pk_add_f32 v[102:103], v[102:103], v[170:171] neg_lo:[0,1] neg_hi:[0,1]
	v_pk_add_f32 v[104:105], v[104:105], v[168:169] neg_lo:[0,1] neg_hi:[0,1]
	s_wait_dscnt 0x0
	v_pk_mul_f32 v[168:169], v[164:165], v[162:163] op_sel:[0,1]
	s_delay_alu instid0(VALU_DEP_1) | instskip(SKIP_1) | instid1(VALU_DEP_1)
	v_pk_fma_f32 v[170:171], v[164:165], v[160:161], v[168:169] op_sel:[0,0,1] op_sel_hi:[1,1,0] neg_lo:[0,0,1] neg_hi:[0,0,1]
	v_pk_fma_f32 v[164:165], v[164:165], v[160:161], v[168:169] op_sel:[0,0,1] op_sel_hi:[1,0,0]
	v_mov_b32_e32 v171, v165
	v_pk_mul_f32 v[164:165], v[166:167], v[162:163] op_sel:[0,1]
	s_delay_alu instid0(VALU_DEP_1) | instskip(SKIP_1) | instid1(VALU_DEP_1)
	v_pk_fma_f32 v[168:169], v[166:167], v[160:161], v[164:165] op_sel:[0,0,1] op_sel_hi:[1,1,0] neg_lo:[0,0,1] neg_hi:[0,0,1]
	v_pk_fma_f32 v[164:165], v[166:167], v[160:161], v[164:165] op_sel:[0,0,1] op_sel_hi:[1,0,0]
	v_mov_b32_e32 v169, v165
	ds_load_2addr_b64 v[164:167], v208 offset0:29 offset1:30
	v_pk_add_f32 v[100:101], v[100:101], v[170:171] neg_lo:[0,1] neg_hi:[0,1]
	v_pk_add_f32 v[118:119], v[118:119], v[168:169] neg_lo:[0,1] neg_hi:[0,1]
	s_wait_dscnt 0x0
	v_dual_mul_f32 v168, v165, v163 :: v_dual_mul_f32 v170, v165, v160
	s_delay_alu instid0(VALU_DEP_1) | instskip(NEXT) | instid1(VALU_DEP_2)
	v_pk_fma_f32 v[168:169], v[164:165], v[38:39], v[168:169] op_sel_hi:[1,1,0] neg_lo:[0,0,1] neg_hi:[0,0,1]
	v_pk_fma_f32 v[164:165], v[164:165], v[38:39], v[170:171] op_sel:[1,0,0] op_sel_hi:[0,1,0]
	s_delay_alu instid0(VALU_DEP_1) | instskip(SKIP_1) | instid1(VALU_DEP_2)
	v_mov_b32_e32 v169, v165
	v_pk_mul_f32 v[164:165], v[166:167], v[162:163] op_sel:[0,1]
	v_pk_add_f32 v[116:117], v[116:117], v[168:169] neg_lo:[0,1] neg_hi:[0,1]
	s_delay_alu instid0(VALU_DEP_2) | instskip(SKIP_1) | instid1(VALU_DEP_1)
	v_pk_fma_f32 v[168:169], v[166:167], v[160:161], v[164:165] op_sel:[0,0,1] op_sel_hi:[1,1,0] neg_lo:[0,0,1] neg_hi:[0,0,1]
	v_pk_fma_f32 v[164:165], v[166:167], v[160:161], v[164:165] op_sel:[0,0,1] op_sel_hi:[1,0,0]
	v_mov_b32_e32 v169, v165
	ds_load_2addr_b64 v[164:167], v208 offset0:31 offset1:32
	v_pk_add_f32 v[130:131], v[130:131], v[168:169] neg_lo:[0,1] neg_hi:[0,1]
	s_wait_dscnt 0x0
	v_pk_mul_f32 v[168:169], v[164:165], v[162:163] op_sel:[0,1]
	s_delay_alu instid0(VALU_DEP_1) | instskip(SKIP_1) | instid1(VALU_DEP_1)
	v_pk_fma_f32 v[170:171], v[164:165], v[160:161], v[168:169] op_sel:[0,0,1] op_sel_hi:[1,1,0] neg_lo:[0,0,1] neg_hi:[0,0,1]
	v_pk_fma_f32 v[164:165], v[164:165], v[160:161], v[168:169] op_sel:[0,0,1] op_sel_hi:[1,0,0]
	v_mov_b32_e32 v171, v165
	v_pk_mul_f32 v[164:165], v[166:167], v[162:163] op_sel:[0,1]
	s_delay_alu instid0(VALU_DEP_2) | instskip(NEXT) | instid1(VALU_DEP_2)
	v_pk_add_f32 v[122:123], v[122:123], v[170:171] neg_lo:[0,1] neg_hi:[0,1]
	v_pk_fma_f32 v[168:169], v[166:167], v[160:161], v[164:165] op_sel:[0,0,1] op_sel_hi:[1,1,0] neg_lo:[0,0,1] neg_hi:[0,0,1]
	v_pk_fma_f32 v[164:165], v[166:167], v[160:161], v[164:165] op_sel:[0,0,1] op_sel_hi:[1,0,0]
	s_delay_alu instid0(VALU_DEP_1) | instskip(SKIP_4) | instid1(VALU_DEP_1)
	v_mov_b32_e32 v169, v165
	ds_load_b64 v[164:165], v208 offset:264
	v_pk_add_f32 v[120:121], v[120:121], v[168:169] neg_lo:[0,1] neg_hi:[0,1]
	s_wait_dscnt 0x0
	v_pk_mul_f32 v[162:163], v[164:165], v[162:163] op_sel:[0,1]
	v_pk_fma_f32 v[166:167], v[164:165], v[160:161], v[162:163] op_sel:[0,0,1] op_sel_hi:[1,1,0] neg_lo:[0,0,1] neg_hi:[0,0,1]
	v_pk_fma_f32 v[160:161], v[164:165], v[160:161], v[162:163] op_sel:[0,0,1] op_sel_hi:[1,0,0]
	s_delay_alu instid0(VALU_DEP_1) | instskip(NEXT) | instid1(VALU_DEP_1)
	v_mov_b32_e32 v167, v161
	v_pk_add_f32 v[134:135], v[134:135], v[166:167] neg_lo:[0,1] neg_hi:[0,1]
.LBB67_100:
	s_or_b32 exec_lo, exec_lo, s1
	s_delay_alu instid0(SALU_CYCLE_1)
	s_mov_b32 s2, exec_lo
	s_wait_dscnt 0x0
	s_barrier_signal -1
	s_barrier_wait -1
	v_cmpx_eq_u32_e32 11, v206
	s_cbranch_execz .LBB67_107
; %bb.101:
	v_dual_mov_b32 v160, v62 :: v_dual_mov_b32 v161, v63
	v_dual_mov_b32 v162, v58 :: v_dual_mov_b32 v163, v59
	v_dual_mov_b32 v164, v60 :: v_dual_mov_b32 v165, v61
	v_dual_mov_b32 v166, v56 :: v_dual_mov_b32 v167, v57
	v_dual_mov_b32 v168, v80 :: v_dual_mov_b32 v169, v81
	v_dual_mov_b32 v170, v76 :: v_dual_mov_b32 v171, v77
	v_dual_mov_b32 v172, v78 :: v_dual_mov_b32 v173, v79
	v_dual_mov_b32 v174, v114 :: v_dual_mov_b32 v175, v115
	v_dual_mov_b32 v176, v128 :: v_dual_mov_b32 v177, v129
	v_dual_mov_b32 v178, v126 :: v_dual_mov_b32 v179, v127
	ds_store_b64 v207, v[34:35]
	v_dual_mov_b32 v180, v136 :: v_dual_mov_b32 v181, v137
	v_dual_mov_b32 v182, v124 :: v_dual_mov_b32 v183, v125
	ds_store_2addr_b64 v208, v[160:161], v[162:163] offset0:12 offset1:13
	ds_store_2addr_b64 v208, v[164:165], v[166:167] offset0:14 offset1:15
	;; [unrolled: 1-line block ×6, first 2 shown]
	v_dual_mov_b32 v160, v132 :: v_dual_mov_b32 v161, v133
	v_dual_mov_b32 v162, v102 :: v_dual_mov_b32 v163, v103
	v_dual_mov_b32 v164, v104 :: v_dual_mov_b32 v165, v105
	v_dual_mov_b32 v166, v100 :: v_dual_mov_b32 v167, v101
	v_dual_mov_b32 v168, v118 :: v_dual_mov_b32 v169, v119
	v_dual_mov_b32 v170, v116 :: v_dual_mov_b32 v171, v117
	v_dual_mov_b32 v172, v130 :: v_dual_mov_b32 v173, v131
	v_dual_mov_b32 v174, v122 :: v_dual_mov_b32 v175, v123
	v_dual_mov_b32 v176, v120 :: v_dual_mov_b32 v177, v121
	ds_store_2addr_b64 v208, v[160:161], v[162:163] offset0:24 offset1:25
	ds_store_2addr_b64 v208, v[164:165], v[166:167] offset0:26 offset1:27
	;; [unrolled: 1-line block ×5, first 2 shown]
	ds_load_b64 v[160:161], v207
	s_wait_dscnt 0x0
	v_cmp_neq_f32_e32 vcc_lo, 0, v160
	v_cmp_neq_f32_e64 s1, 0, v161
	s_or_b32 s1, vcc_lo, s1
	s_delay_alu instid0(SALU_CYCLE_1)
	s_and_b32 exec_lo, exec_lo, s1
	s_cbranch_execz .LBB67_107
; %bb.102:
	v_cmp_ngt_f32_e64 s1, |v160|, |v161|
                                        ; implicit-def: $vgpr162_vgpr163
	s_and_saveexec_b32 s4, s1
	s_delay_alu instid0(SALU_CYCLE_1)
	s_xor_b32 s1, exec_lo, s4
	s_cbranch_execz .LBB67_104
; %bb.103:
	v_div_scale_f32 v162, null, v161, v161, v160
	v_div_scale_f32 v165, vcc_lo, v160, v161, v160
	s_delay_alu instid0(VALU_DEP_2) | instskip(SKIP_1) | instid1(TRANS32_DEP_1)
	v_rcp_f32_e32 v163, v162
	v_nop
	v_fma_f32 v164, -v162, v163, 1.0
	s_delay_alu instid0(VALU_DEP_1) | instskip(NEXT) | instid1(VALU_DEP_1)
	v_fmac_f32_e32 v163, v164, v163
	v_mul_f32_e32 v164, v165, v163
	s_delay_alu instid0(VALU_DEP_1) | instskip(NEXT) | instid1(VALU_DEP_1)
	v_fma_f32 v166, -v162, v164, v165
	v_fmac_f32_e32 v164, v166, v163
	s_delay_alu instid0(VALU_DEP_1) | instskip(NEXT) | instid1(VALU_DEP_1)
	v_fma_f32 v162, -v162, v164, v165
	v_div_fmas_f32 v162, v162, v163, v164
	s_delay_alu instid0(VALU_DEP_1) | instskip(NEXT) | instid1(VALU_DEP_1)
	v_div_fixup_f32 v162, v162, v161, v160
	v_fmac_f32_e32 v161, v160, v162
	s_delay_alu instid0(VALU_DEP_1) | instskip(SKIP_1) | instid1(VALU_DEP_2)
	v_div_scale_f32 v160, null, v161, v161, 1.0
	v_div_scale_f32 v165, vcc_lo, 1.0, v161, 1.0
	v_rcp_f32_e32 v163, v160
	v_nop
	s_delay_alu instid0(TRANS32_DEP_1) | instskip(NEXT) | instid1(VALU_DEP_1)
	v_fma_f32 v164, -v160, v163, 1.0
	v_fmac_f32_e32 v163, v164, v163
	s_delay_alu instid0(VALU_DEP_1) | instskip(NEXT) | instid1(VALU_DEP_1)
	v_mul_f32_e32 v164, v165, v163
	v_fma_f32 v166, -v160, v164, v165
	s_delay_alu instid0(VALU_DEP_1) | instskip(NEXT) | instid1(VALU_DEP_1)
	v_fmac_f32_e32 v164, v166, v163
	v_fma_f32 v160, -v160, v164, v165
	s_delay_alu instid0(VALU_DEP_1) | instskip(NEXT) | instid1(VALU_DEP_1)
	v_div_fmas_f32 v160, v160, v163, v164
	v_div_fixup_f32 v160, v160, v161, 1.0
	s_delay_alu instid0(VALU_DEP_1)
	v_mul_f32_e32 v162, v162, v160
	v_xor_b32_e32 v163, 0x80000000, v160
                                        ; implicit-def: $vgpr160_vgpr161
.LBB67_104:
	s_and_not1_saveexec_b32 s1, s1
	s_cbranch_execz .LBB67_106
; %bb.105:
	v_div_scale_f32 v162, null, v160, v160, v161
	v_div_scale_f32 v165, vcc_lo, v161, v160, v161
	s_delay_alu instid0(VALU_DEP_2) | instskip(SKIP_1) | instid1(TRANS32_DEP_1)
	v_rcp_f32_e32 v163, v162
	v_nop
	v_fma_f32 v164, -v162, v163, 1.0
	s_delay_alu instid0(VALU_DEP_1) | instskip(NEXT) | instid1(VALU_DEP_1)
	v_fmac_f32_e32 v163, v164, v163
	v_mul_f32_e32 v164, v165, v163
	s_delay_alu instid0(VALU_DEP_1) | instskip(NEXT) | instid1(VALU_DEP_1)
	v_fma_f32 v166, -v162, v164, v165
	v_fmac_f32_e32 v164, v166, v163
	s_delay_alu instid0(VALU_DEP_1) | instskip(NEXT) | instid1(VALU_DEP_1)
	v_fma_f32 v162, -v162, v164, v165
	v_div_fmas_f32 v162, v162, v163, v164
	s_delay_alu instid0(VALU_DEP_1) | instskip(NEXT) | instid1(VALU_DEP_1)
	v_div_fixup_f32 v163, v162, v160, v161
	v_fmac_f32_e32 v160, v161, v163
	s_delay_alu instid0(VALU_DEP_1) | instskip(NEXT) | instid1(VALU_DEP_1)
	v_div_scale_f32 v161, null, v160, v160, 1.0
	v_rcp_f32_e32 v162, v161
	v_nop
	s_delay_alu instid0(TRANS32_DEP_1) | instskip(NEXT) | instid1(VALU_DEP_1)
	v_fma_f32 v164, -v161, v162, 1.0
	v_fmac_f32_e32 v162, v164, v162
	v_div_scale_f32 v164, vcc_lo, 1.0, v160, 1.0
	s_delay_alu instid0(VALU_DEP_1) | instskip(NEXT) | instid1(VALU_DEP_1)
	v_mul_f32_e32 v165, v164, v162
	v_fma_f32 v166, -v161, v165, v164
	s_delay_alu instid0(VALU_DEP_1) | instskip(NEXT) | instid1(VALU_DEP_1)
	v_fmac_f32_e32 v165, v166, v162
	v_fma_f32 v161, -v161, v165, v164
	s_delay_alu instid0(VALU_DEP_1) | instskip(NEXT) | instid1(VALU_DEP_1)
	v_div_fmas_f32 v161, v161, v162, v165
	v_div_fixup_f32 v162, v161, v160, 1.0
	s_delay_alu instid0(VALU_DEP_1)
	v_mul_f32_e64 v163, v163, -v162
.LBB67_106:
	s_or_b32 exec_lo, exec_lo, s1
	ds_store_b64 v207, v[162:163]
.LBB67_107:
	s_or_b32 exec_lo, exec_lo, s2
	s_wait_dscnt 0x0
	s_barrier_signal -1
	s_barrier_wait -1
	ds_load_b64 v[160:161], v207
	s_mov_b32 s1, exec_lo
	v_cmpx_lt_u32_e32 11, v206
	s_cbranch_execz .LBB67_109
; %bb.108:
	ds_load_2addr_b64 v[166:169], v208 offset0:12 offset1:13
	s_wait_dscnt 0x1
	v_pk_mul_f32 v[164:165], v[160:161], v[34:35] op_sel:[1,1] op_sel_hi:[0,1]
	s_delay_alu instid0(VALU_DEP_1) | instskip(SKIP_1) | instid1(VALU_DEP_1)
	v_pk_fma_f32 v[162:163], v[160:161], v[34:35], v[164:165] op_sel_hi:[1,0,1] neg_lo:[0,0,1] neg_hi:[0,0,1]
	v_pk_fma_f32 v[164:165], v[160:161], v[34:35], v[164:165] op_sel_hi:[1,0,1]
	v_dual_mov_b32 v34, v162 :: v_dual_mov_b32 v35, v165
	s_wait_dscnt 0x0
	s_delay_alu instid0(VALU_DEP_2) | instskip(NEXT) | instid1(VALU_DEP_1)
	v_pk_mul_f32 v[170:171], v[166:167], v[164:165] op_sel:[0,1]
	v_pk_fma_f32 v[172:173], v[166:167], v[162:163], v[170:171] op_sel:[0,0,1] op_sel_hi:[1,1,0] neg_lo:[0,0,1] neg_hi:[0,0,1]
	v_pk_fma_f32 v[166:167], v[166:167], v[162:163], v[170:171] op_sel:[0,0,1] op_sel_hi:[1,0,0]
	s_delay_alu instid0(VALU_DEP_1) | instskip(SKIP_1) | instid1(VALU_DEP_1)
	v_mov_b32_e32 v173, v167
	v_pk_mul_f32 v[166:167], v[168:169], v[164:165] op_sel:[0,1]
	v_pk_fma_f32 v[170:171], v[168:169], v[162:163], v[166:167] op_sel:[0,0,1] op_sel_hi:[1,1,0] neg_lo:[0,0,1] neg_hi:[0,0,1]
	v_pk_fma_f32 v[166:167], v[168:169], v[162:163], v[166:167] op_sel:[0,0,1] op_sel_hi:[1,0,0]
	s_delay_alu instid0(VALU_DEP_1)
	v_mov_b32_e32 v171, v167
	ds_load_2addr_b64 v[166:169], v208 offset0:14 offset1:15
	v_pk_add_f32 v[62:63], v[62:63], v[172:173] neg_lo:[0,1] neg_hi:[0,1]
	v_pk_add_f32 v[58:59], v[58:59], v[170:171] neg_lo:[0,1] neg_hi:[0,1]
	s_wait_dscnt 0x0
	v_pk_mul_f32 v[170:171], v[166:167], v[164:165] op_sel:[0,1]
	s_delay_alu instid0(VALU_DEP_1) | instskip(SKIP_2) | instid1(VALU_DEP_2)
	v_pk_fma_f32 v[172:173], v[166:167], v[162:163], v[170:171] op_sel:[0,0,1] op_sel_hi:[1,1,0] neg_lo:[0,0,1] neg_hi:[0,0,1]
	v_pk_fma_f32 v[166:167], v[166:167], v[162:163], v[170:171] op_sel:[0,0,1] op_sel_hi:[1,0,0]
	v_dual_mul_f32 v170, v169, v165 :: v_dual_mov_b32 v166, v169
	v_dual_mov_b32 v173, v167 :: v_dual_mov_b32 v167, v168
	s_delay_alu instid0(VALU_DEP_2) | instskip(SKIP_1) | instid1(VALU_DEP_3)
	v_pk_fma_f32 v[170:171], v[168:169], v[34:35], v[170:171] op_sel_hi:[1,1,0] neg_lo:[0,0,1] neg_hi:[0,0,1]
	v_mul_f32_e32 v168, v169, v162
	v_pk_add_f32 v[60:61], v[60:61], v[172:173] neg_lo:[0,1] neg_hi:[0,1]
	s_delay_alu instid0(VALU_DEP_2) | instskip(NEXT) | instid1(VALU_DEP_1)
	v_pk_fma_f32 v[166:167], v[166:167], v[34:35], v[168:169] op_sel_hi:[1,1,0]
	v_mov_b32_e32 v171, v167
	ds_load_2addr_b64 v[166:169], v208 offset0:16 offset1:17
	v_pk_add_f32 v[56:57], v[56:57], v[170:171] neg_lo:[0,1] neg_hi:[0,1]
	s_wait_dscnt 0x0
	v_pk_mul_f32 v[170:171], v[166:167], v[164:165] op_sel:[0,1]
	s_delay_alu instid0(VALU_DEP_1) | instskip(SKIP_1) | instid1(VALU_DEP_1)
	v_pk_fma_f32 v[172:173], v[166:167], v[162:163], v[170:171] op_sel:[0,0,1] op_sel_hi:[1,1,0] neg_lo:[0,0,1] neg_hi:[0,0,1]
	v_pk_fma_f32 v[166:167], v[166:167], v[162:163], v[170:171] op_sel:[0,0,1] op_sel_hi:[1,0,0]
	v_mov_b32_e32 v173, v167
	v_pk_mul_f32 v[166:167], v[168:169], v[164:165] op_sel:[0,1]
	s_delay_alu instid0(VALU_DEP_1) | instskip(SKIP_1) | instid1(VALU_DEP_1)
	v_pk_fma_f32 v[170:171], v[168:169], v[162:163], v[166:167] op_sel:[0,0,1] op_sel_hi:[1,1,0] neg_lo:[0,0,1] neg_hi:[0,0,1]
	v_pk_fma_f32 v[166:167], v[168:169], v[162:163], v[166:167] op_sel:[0,0,1] op_sel_hi:[1,0,0]
	v_mov_b32_e32 v171, v167
	ds_load_2addr_b64 v[166:169], v208 offset0:18 offset1:19
	v_pk_add_f32 v[80:81], v[80:81], v[172:173] neg_lo:[0,1] neg_hi:[0,1]
	v_pk_add_f32 v[76:77], v[76:77], v[170:171] neg_lo:[0,1] neg_hi:[0,1]
	s_wait_dscnt 0x0
	v_pk_mul_f32 v[170:171], v[166:167], v[164:165] op_sel:[0,1]
	s_delay_alu instid0(VALU_DEP_1) | instskip(SKIP_1) | instid1(VALU_DEP_1)
	v_pk_fma_f32 v[172:173], v[166:167], v[162:163], v[170:171] op_sel:[0,0,1] op_sel_hi:[1,1,0] neg_lo:[0,0,1] neg_hi:[0,0,1]
	v_pk_fma_f32 v[166:167], v[166:167], v[162:163], v[170:171] op_sel:[0,0,1] op_sel_hi:[1,0,0]
	v_mov_b32_e32 v173, v167
	v_pk_mul_f32 v[166:167], v[168:169], v[164:165] op_sel:[0,1]
	s_delay_alu instid0(VALU_DEP_1) | instskip(SKIP_1) | instid1(VALU_DEP_1)
	v_pk_fma_f32 v[170:171], v[168:169], v[162:163], v[166:167] op_sel:[0,0,1] op_sel_hi:[1,1,0] neg_lo:[0,0,1] neg_hi:[0,0,1]
	v_pk_fma_f32 v[166:167], v[168:169], v[162:163], v[166:167] op_sel:[0,0,1] op_sel_hi:[1,0,0]
	v_mov_b32_e32 v171, v167
	ds_load_2addr_b64 v[166:169], v208 offset0:20 offset1:21
	v_pk_add_f32 v[78:79], v[78:79], v[172:173] neg_lo:[0,1] neg_hi:[0,1]
	v_pk_add_f32 v[114:115], v[114:115], v[170:171] neg_lo:[0,1] neg_hi:[0,1]
	s_wait_dscnt 0x0
	v_dual_mul_f32 v170, v167, v165 :: v_dual_mul_f32 v172, v167, v162
	s_delay_alu instid0(VALU_DEP_1) | instskip(NEXT) | instid1(VALU_DEP_2)
	v_pk_fma_f32 v[170:171], v[166:167], v[34:35], v[170:171] op_sel_hi:[1,1,0] neg_lo:[0,0,1] neg_hi:[0,0,1]
	v_pk_fma_f32 v[166:167], v[166:167], v[34:35], v[172:173] op_sel:[1,0,0] op_sel_hi:[0,1,0]
	s_delay_alu instid0(VALU_DEP_1) | instskip(SKIP_1) | instid1(VALU_DEP_2)
	v_mov_b32_e32 v171, v167
	v_pk_mul_f32 v[166:167], v[168:169], v[164:165] op_sel:[0,1]
	v_pk_add_f32 v[128:129], v[128:129], v[170:171] neg_lo:[0,1] neg_hi:[0,1]
	s_delay_alu instid0(VALU_DEP_2) | instskip(SKIP_1) | instid1(VALU_DEP_1)
	v_pk_fma_f32 v[170:171], v[168:169], v[162:163], v[166:167] op_sel:[0,0,1] op_sel_hi:[1,1,0] neg_lo:[0,0,1] neg_hi:[0,0,1]
	v_pk_fma_f32 v[166:167], v[168:169], v[162:163], v[166:167] op_sel:[0,0,1] op_sel_hi:[1,0,0]
	v_mov_b32_e32 v171, v167
	ds_load_2addr_b64 v[166:169], v208 offset0:22 offset1:23
	v_pk_add_f32 v[126:127], v[126:127], v[170:171] neg_lo:[0,1] neg_hi:[0,1]
	s_wait_dscnt 0x0
	v_pk_mul_f32 v[170:171], v[166:167], v[164:165] op_sel:[0,1]
	s_delay_alu instid0(VALU_DEP_1) | instskip(SKIP_1) | instid1(VALU_DEP_1)
	v_pk_fma_f32 v[172:173], v[166:167], v[162:163], v[170:171] op_sel:[0,0,1] op_sel_hi:[1,1,0] neg_lo:[0,0,1] neg_hi:[0,0,1]
	v_pk_fma_f32 v[166:167], v[166:167], v[162:163], v[170:171] op_sel:[0,0,1] op_sel_hi:[1,0,0]
	v_mov_b32_e32 v173, v167
	v_pk_mul_f32 v[166:167], v[168:169], v[164:165] op_sel:[0,1]
	s_delay_alu instid0(VALU_DEP_2) | instskip(NEXT) | instid1(VALU_DEP_2)
	v_pk_add_f32 v[136:137], v[136:137], v[172:173] neg_lo:[0,1] neg_hi:[0,1]
	v_pk_fma_f32 v[170:171], v[168:169], v[162:163], v[166:167] op_sel:[0,0,1] op_sel_hi:[1,1,0] neg_lo:[0,0,1] neg_hi:[0,0,1]
	v_pk_fma_f32 v[166:167], v[168:169], v[162:163], v[166:167] op_sel:[0,0,1] op_sel_hi:[1,0,0]
	s_delay_alu instid0(VALU_DEP_1) | instskip(SKIP_4) | instid1(VALU_DEP_1)
	v_mov_b32_e32 v171, v167
	ds_load_2addr_b64 v[166:169], v208 offset0:24 offset1:25
	v_pk_add_f32 v[124:125], v[124:125], v[170:171] neg_lo:[0,1] neg_hi:[0,1]
	s_wait_dscnt 0x0
	v_pk_mul_f32 v[170:171], v[166:167], v[164:165] op_sel:[0,1]
	v_pk_fma_f32 v[172:173], v[166:167], v[162:163], v[170:171] op_sel:[0,0,1] op_sel_hi:[1,1,0] neg_lo:[0,0,1] neg_hi:[0,0,1]
	v_pk_fma_f32 v[166:167], v[166:167], v[162:163], v[170:171] op_sel:[0,0,1] op_sel_hi:[1,0,0]
	v_dual_mul_f32 v170, v169, v165 :: v_dual_mov_b32 v166, v169
	s_delay_alu instid0(VALU_DEP_2) | instskip(NEXT) | instid1(VALU_DEP_2)
	v_dual_mov_b32 v173, v167 :: v_dual_mov_b32 v167, v168
	v_pk_fma_f32 v[170:171], v[168:169], v[34:35], v[170:171] op_sel_hi:[1,1,0] neg_lo:[0,0,1] neg_hi:[0,0,1]
	v_mul_f32_e32 v168, v169, v162
	s_delay_alu instid0(VALU_DEP_3) | instskip(NEXT) | instid1(VALU_DEP_2)
	v_pk_add_f32 v[132:133], v[132:133], v[172:173] neg_lo:[0,1] neg_hi:[0,1]
	v_pk_fma_f32 v[166:167], v[166:167], v[34:35], v[168:169] op_sel_hi:[1,1,0]
	s_delay_alu instid0(VALU_DEP_1) | instskip(SKIP_4) | instid1(VALU_DEP_1)
	v_mov_b32_e32 v171, v167
	ds_load_2addr_b64 v[166:169], v208 offset0:26 offset1:27
	v_pk_add_f32 v[102:103], v[102:103], v[170:171] neg_lo:[0,1] neg_hi:[0,1]
	s_wait_dscnt 0x0
	v_pk_mul_f32 v[170:171], v[166:167], v[164:165] op_sel:[0,1]
	v_pk_fma_f32 v[172:173], v[166:167], v[162:163], v[170:171] op_sel:[0,0,1] op_sel_hi:[1,1,0] neg_lo:[0,0,1] neg_hi:[0,0,1]
	v_pk_fma_f32 v[166:167], v[166:167], v[162:163], v[170:171] op_sel:[0,0,1] op_sel_hi:[1,0,0]
	s_delay_alu instid0(VALU_DEP_1) | instskip(SKIP_1) | instid1(VALU_DEP_1)
	v_mov_b32_e32 v173, v167
	v_pk_mul_f32 v[166:167], v[168:169], v[164:165] op_sel:[0,1]
	v_pk_fma_f32 v[170:171], v[168:169], v[162:163], v[166:167] op_sel:[0,0,1] op_sel_hi:[1,1,0] neg_lo:[0,0,1] neg_hi:[0,0,1]
	v_pk_fma_f32 v[166:167], v[168:169], v[162:163], v[166:167] op_sel:[0,0,1] op_sel_hi:[1,0,0]
	s_delay_alu instid0(VALU_DEP_1)
	v_mov_b32_e32 v171, v167
	ds_load_2addr_b64 v[166:169], v208 offset0:28 offset1:29
	v_pk_add_f32 v[104:105], v[104:105], v[172:173] neg_lo:[0,1] neg_hi:[0,1]
	v_pk_add_f32 v[100:101], v[100:101], v[170:171] neg_lo:[0,1] neg_hi:[0,1]
	s_wait_dscnt 0x0
	v_pk_mul_f32 v[170:171], v[166:167], v[164:165] op_sel:[0,1]
	s_delay_alu instid0(VALU_DEP_1) | instskip(SKIP_1) | instid1(VALU_DEP_1)
	v_pk_fma_f32 v[172:173], v[166:167], v[162:163], v[170:171] op_sel:[0,0,1] op_sel_hi:[1,1,0] neg_lo:[0,0,1] neg_hi:[0,0,1]
	v_pk_fma_f32 v[166:167], v[166:167], v[162:163], v[170:171] op_sel:[0,0,1] op_sel_hi:[1,0,0]
	v_mov_b32_e32 v173, v167
	v_pk_mul_f32 v[166:167], v[168:169], v[164:165] op_sel:[0,1]
	s_delay_alu instid0(VALU_DEP_1) | instskip(SKIP_1) | instid1(VALU_DEP_1)
	v_pk_fma_f32 v[170:171], v[168:169], v[162:163], v[166:167] op_sel:[0,0,1] op_sel_hi:[1,1,0] neg_lo:[0,0,1] neg_hi:[0,0,1]
	v_pk_fma_f32 v[166:167], v[168:169], v[162:163], v[166:167] op_sel:[0,0,1] op_sel_hi:[1,0,0]
	v_mov_b32_e32 v171, v167
	ds_load_2addr_b64 v[166:169], v208 offset0:30 offset1:31
	v_pk_add_f32 v[118:119], v[118:119], v[172:173] neg_lo:[0,1] neg_hi:[0,1]
	v_pk_add_f32 v[116:117], v[116:117], v[170:171] neg_lo:[0,1] neg_hi:[0,1]
	s_wait_dscnt 0x0
	v_dual_mul_f32 v170, v167, v165 :: v_dual_mul_f32 v172, v167, v162
	s_delay_alu instid0(VALU_DEP_1) | instskip(NEXT) | instid1(VALU_DEP_2)
	v_pk_fma_f32 v[170:171], v[166:167], v[34:35], v[170:171] op_sel_hi:[1,1,0] neg_lo:[0,0,1] neg_hi:[0,0,1]
	v_pk_fma_f32 v[166:167], v[166:167], v[34:35], v[172:173] op_sel:[1,0,0] op_sel_hi:[0,1,0]
	s_delay_alu instid0(VALU_DEP_1) | instskip(SKIP_1) | instid1(VALU_DEP_2)
	v_mov_b32_e32 v171, v167
	v_pk_mul_f32 v[166:167], v[168:169], v[164:165] op_sel:[0,1]
	v_pk_add_f32 v[130:131], v[130:131], v[170:171] neg_lo:[0,1] neg_hi:[0,1]
	s_delay_alu instid0(VALU_DEP_2) | instskip(SKIP_1) | instid1(VALU_DEP_1)
	v_pk_fma_f32 v[170:171], v[168:169], v[162:163], v[166:167] op_sel:[0,0,1] op_sel_hi:[1,1,0] neg_lo:[0,0,1] neg_hi:[0,0,1]
	v_pk_fma_f32 v[166:167], v[168:169], v[162:163], v[166:167] op_sel:[0,0,1] op_sel_hi:[1,0,0]
	v_mov_b32_e32 v171, v167
	ds_load_2addr_b64 v[166:169], v208 offset0:32 offset1:33
	v_pk_add_f32 v[122:123], v[122:123], v[170:171] neg_lo:[0,1] neg_hi:[0,1]
	s_wait_dscnt 0x0
	v_pk_mul_f32 v[170:171], v[166:167], v[164:165] op_sel:[0,1]
	v_pk_mul_f32 v[164:165], v[168:169], v[164:165] op_sel:[0,1]
	s_delay_alu instid0(VALU_DEP_2) | instskip(SKIP_1) | instid1(VALU_DEP_1)
	v_pk_fma_f32 v[172:173], v[166:167], v[162:163], v[170:171] op_sel:[0,0,1] op_sel_hi:[1,1,0] neg_lo:[0,0,1] neg_hi:[0,0,1]
	v_pk_fma_f32 v[166:167], v[166:167], v[162:163], v[170:171] op_sel:[0,0,1] op_sel_hi:[1,0,0]
	v_mov_b32_e32 v173, v167
	s_delay_alu instid0(VALU_DEP_4) | instskip(SKIP_1) | instid1(VALU_DEP_3)
	v_pk_fma_f32 v[166:167], v[168:169], v[162:163], v[164:165] op_sel:[0,0,1] op_sel_hi:[1,1,0] neg_lo:[0,0,1] neg_hi:[0,0,1]
	v_pk_fma_f32 v[162:163], v[168:169], v[162:163], v[164:165] op_sel:[0,0,1] op_sel_hi:[1,0,0]
	v_pk_add_f32 v[120:121], v[120:121], v[172:173] neg_lo:[0,1] neg_hi:[0,1]
	s_delay_alu instid0(VALU_DEP_2) | instskip(NEXT) | instid1(VALU_DEP_1)
	v_mov_b32_e32 v167, v163
	v_pk_add_f32 v[134:135], v[134:135], v[166:167] neg_lo:[0,1] neg_hi:[0,1]
.LBB67_109:
	s_or_b32 exec_lo, exec_lo, s1
	s_delay_alu instid0(SALU_CYCLE_1)
	s_mov_b32 s2, exec_lo
	s_wait_dscnt 0x0
	s_barrier_signal -1
	s_barrier_wait -1
	v_cmpx_eq_u32_e32 12, v206
	s_cbranch_execz .LBB67_116
; %bb.110:
	ds_store_b64 v207, v[62:63]
	ds_store_2addr_b64 v208, v[58:59], v[60:61] offset0:13 offset1:14
	ds_store_2addr_b64 v208, v[56:57], v[80:81] offset0:15 offset1:16
	;; [unrolled: 1-line block ×10, first 2 shown]
	ds_store_b64 v208, v[134:135] offset:264
	ds_load_b64 v[162:163], v207
	s_wait_dscnt 0x0
	v_cmp_neq_f32_e32 vcc_lo, 0, v162
	v_cmp_neq_f32_e64 s1, 0, v163
	s_or_b32 s1, vcc_lo, s1
	s_delay_alu instid0(SALU_CYCLE_1)
	s_and_b32 exec_lo, exec_lo, s1
	s_cbranch_execz .LBB67_116
; %bb.111:
	v_cmp_ngt_f32_e64 s1, |v162|, |v163|
                                        ; implicit-def: $vgpr164_vgpr165
	s_and_saveexec_b32 s4, s1
	s_delay_alu instid0(SALU_CYCLE_1)
	s_xor_b32 s1, exec_lo, s4
	s_cbranch_execz .LBB67_113
; %bb.112:
	v_div_scale_f32 v164, null, v163, v163, v162
	v_div_scale_f32 v167, vcc_lo, v162, v163, v162
	s_delay_alu instid0(VALU_DEP_2) | instskip(SKIP_1) | instid1(TRANS32_DEP_1)
	v_rcp_f32_e32 v165, v164
	v_nop
	v_fma_f32 v166, -v164, v165, 1.0
	s_delay_alu instid0(VALU_DEP_1) | instskip(NEXT) | instid1(VALU_DEP_1)
	v_fmac_f32_e32 v165, v166, v165
	v_mul_f32_e32 v166, v167, v165
	s_delay_alu instid0(VALU_DEP_1) | instskip(NEXT) | instid1(VALU_DEP_1)
	v_fma_f32 v168, -v164, v166, v167
	v_fmac_f32_e32 v166, v168, v165
	s_delay_alu instid0(VALU_DEP_1) | instskip(NEXT) | instid1(VALU_DEP_1)
	v_fma_f32 v164, -v164, v166, v167
	v_div_fmas_f32 v164, v164, v165, v166
	s_delay_alu instid0(VALU_DEP_1) | instskip(NEXT) | instid1(VALU_DEP_1)
	v_div_fixup_f32 v164, v164, v163, v162
	v_fmac_f32_e32 v163, v162, v164
	s_delay_alu instid0(VALU_DEP_1) | instskip(SKIP_1) | instid1(VALU_DEP_2)
	v_div_scale_f32 v162, null, v163, v163, 1.0
	v_div_scale_f32 v167, vcc_lo, 1.0, v163, 1.0
	v_rcp_f32_e32 v165, v162
	v_nop
	s_delay_alu instid0(TRANS32_DEP_1) | instskip(NEXT) | instid1(VALU_DEP_1)
	v_fma_f32 v166, -v162, v165, 1.0
	v_fmac_f32_e32 v165, v166, v165
	s_delay_alu instid0(VALU_DEP_1) | instskip(NEXT) | instid1(VALU_DEP_1)
	v_mul_f32_e32 v166, v167, v165
	v_fma_f32 v168, -v162, v166, v167
	s_delay_alu instid0(VALU_DEP_1) | instskip(NEXT) | instid1(VALU_DEP_1)
	v_fmac_f32_e32 v166, v168, v165
	v_fma_f32 v162, -v162, v166, v167
	s_delay_alu instid0(VALU_DEP_1) | instskip(NEXT) | instid1(VALU_DEP_1)
	v_div_fmas_f32 v162, v162, v165, v166
	v_div_fixup_f32 v162, v162, v163, 1.0
	s_delay_alu instid0(VALU_DEP_1)
	v_mul_f32_e32 v164, v164, v162
	v_xor_b32_e32 v165, 0x80000000, v162
                                        ; implicit-def: $vgpr162_vgpr163
.LBB67_113:
	s_and_not1_saveexec_b32 s1, s1
	s_cbranch_execz .LBB67_115
; %bb.114:
	v_div_scale_f32 v164, null, v162, v162, v163
	v_div_scale_f32 v167, vcc_lo, v163, v162, v163
	s_delay_alu instid0(VALU_DEP_2) | instskip(SKIP_1) | instid1(TRANS32_DEP_1)
	v_rcp_f32_e32 v165, v164
	v_nop
	v_fma_f32 v166, -v164, v165, 1.0
	s_delay_alu instid0(VALU_DEP_1) | instskip(NEXT) | instid1(VALU_DEP_1)
	v_fmac_f32_e32 v165, v166, v165
	v_mul_f32_e32 v166, v167, v165
	s_delay_alu instid0(VALU_DEP_1) | instskip(NEXT) | instid1(VALU_DEP_1)
	v_fma_f32 v168, -v164, v166, v167
	v_fmac_f32_e32 v166, v168, v165
	s_delay_alu instid0(VALU_DEP_1) | instskip(NEXT) | instid1(VALU_DEP_1)
	v_fma_f32 v164, -v164, v166, v167
	v_div_fmas_f32 v164, v164, v165, v166
	s_delay_alu instid0(VALU_DEP_1) | instskip(NEXT) | instid1(VALU_DEP_1)
	v_div_fixup_f32 v165, v164, v162, v163
	v_fmac_f32_e32 v162, v163, v165
	s_delay_alu instid0(VALU_DEP_1) | instskip(NEXT) | instid1(VALU_DEP_1)
	v_div_scale_f32 v163, null, v162, v162, 1.0
	v_rcp_f32_e32 v164, v163
	v_nop
	s_delay_alu instid0(TRANS32_DEP_1) | instskip(NEXT) | instid1(VALU_DEP_1)
	v_fma_f32 v166, -v163, v164, 1.0
	v_fmac_f32_e32 v164, v166, v164
	v_div_scale_f32 v166, vcc_lo, 1.0, v162, 1.0
	s_delay_alu instid0(VALU_DEP_1) | instskip(NEXT) | instid1(VALU_DEP_1)
	v_mul_f32_e32 v167, v166, v164
	v_fma_f32 v168, -v163, v167, v166
	s_delay_alu instid0(VALU_DEP_1) | instskip(NEXT) | instid1(VALU_DEP_1)
	v_fmac_f32_e32 v167, v168, v164
	v_fma_f32 v163, -v163, v167, v166
	s_delay_alu instid0(VALU_DEP_1) | instskip(NEXT) | instid1(VALU_DEP_1)
	v_div_fmas_f32 v163, v163, v164, v167
	v_div_fixup_f32 v164, v163, v162, 1.0
	s_delay_alu instid0(VALU_DEP_1)
	v_mul_f32_e64 v165, v165, -v164
.LBB67_115:
	s_or_b32 exec_lo, exec_lo, s1
	ds_store_b64 v207, v[164:165]
.LBB67_116:
	s_or_b32 exec_lo, exec_lo, s2
	s_wait_dscnt 0x0
	s_barrier_signal -1
	s_barrier_wait -1
	ds_load_b64 v[162:163], v207
	s_mov_b32 s1, exec_lo
	v_cmpx_lt_u32_e32 12, v206
	s_cbranch_execz .LBB67_118
; %bb.117:
	ds_load_2addr_b64 v[168:171], v208 offset0:13 offset1:14
	s_wait_dscnt 0x1
	v_pk_mul_f32 v[166:167], v[162:163], v[62:63] op_sel:[1,1] op_sel_hi:[0,1]
	s_delay_alu instid0(VALU_DEP_1) | instskip(SKIP_1) | instid1(VALU_DEP_1)
	v_pk_fma_f32 v[164:165], v[162:163], v[62:63], v[166:167] op_sel_hi:[1,0,1] neg_lo:[0,0,1] neg_hi:[0,0,1]
	v_pk_fma_f32 v[166:167], v[162:163], v[62:63], v[166:167] op_sel_hi:[1,0,1]
	v_dual_mov_b32 v62, v164 :: v_dual_mov_b32 v63, v167
	s_wait_dscnt 0x0
	s_delay_alu instid0(VALU_DEP_2) | instskip(NEXT) | instid1(VALU_DEP_1)
	v_pk_mul_f32 v[172:173], v[168:169], v[166:167] op_sel:[0,1]
	v_pk_fma_f32 v[174:175], v[168:169], v[164:165], v[172:173] op_sel:[0,0,1] op_sel_hi:[1,1,0] neg_lo:[0,0,1] neg_hi:[0,0,1]
	v_pk_fma_f32 v[168:169], v[168:169], v[164:165], v[172:173] op_sel:[0,0,1] op_sel_hi:[1,0,0]
	s_delay_alu instid0(VALU_DEP_1) | instskip(SKIP_1) | instid1(VALU_DEP_1)
	v_mov_b32_e32 v175, v169
	v_pk_mul_f32 v[168:169], v[170:171], v[166:167] op_sel:[0,1]
	v_pk_fma_f32 v[172:173], v[170:171], v[164:165], v[168:169] op_sel:[0,0,1] op_sel_hi:[1,1,0] neg_lo:[0,0,1] neg_hi:[0,0,1]
	v_pk_fma_f32 v[168:169], v[170:171], v[164:165], v[168:169] op_sel:[0,0,1] op_sel_hi:[1,0,0]
	s_delay_alu instid0(VALU_DEP_1)
	v_mov_b32_e32 v173, v169
	ds_load_2addr_b64 v[168:171], v208 offset0:15 offset1:16
	v_pk_add_f32 v[58:59], v[58:59], v[174:175] neg_lo:[0,1] neg_hi:[0,1]
	v_pk_add_f32 v[60:61], v[60:61], v[172:173] neg_lo:[0,1] neg_hi:[0,1]
	s_wait_dscnt 0x0
	v_pk_mul_f32 v[172:173], v[168:169], v[166:167] op_sel:[0,1]
	s_delay_alu instid0(VALU_DEP_1) | instskip(SKIP_2) | instid1(VALU_DEP_2)
	v_pk_fma_f32 v[174:175], v[168:169], v[164:165], v[172:173] op_sel:[0,0,1] op_sel_hi:[1,1,0] neg_lo:[0,0,1] neg_hi:[0,0,1]
	v_pk_fma_f32 v[168:169], v[168:169], v[164:165], v[172:173] op_sel:[0,0,1] op_sel_hi:[1,0,0]
	v_dual_mul_f32 v172, v171, v167 :: v_dual_mov_b32 v168, v171
	v_dual_mov_b32 v175, v169 :: v_dual_mov_b32 v169, v170
	s_delay_alu instid0(VALU_DEP_2) | instskip(SKIP_1) | instid1(VALU_DEP_3)
	v_pk_fma_f32 v[172:173], v[170:171], v[62:63], v[172:173] op_sel_hi:[1,1,0] neg_lo:[0,0,1] neg_hi:[0,0,1]
	v_mul_f32_e32 v170, v171, v164
	v_pk_add_f32 v[56:57], v[56:57], v[174:175] neg_lo:[0,1] neg_hi:[0,1]
	s_delay_alu instid0(VALU_DEP_2) | instskip(NEXT) | instid1(VALU_DEP_1)
	v_pk_fma_f32 v[168:169], v[168:169], v[62:63], v[170:171] op_sel_hi:[1,1,0]
	v_mov_b32_e32 v173, v169
	ds_load_2addr_b64 v[168:171], v208 offset0:17 offset1:18
	v_pk_add_f32 v[80:81], v[80:81], v[172:173] neg_lo:[0,1] neg_hi:[0,1]
	s_wait_dscnt 0x0
	v_pk_mul_f32 v[172:173], v[168:169], v[166:167] op_sel:[0,1]
	s_delay_alu instid0(VALU_DEP_1) | instskip(SKIP_1) | instid1(VALU_DEP_1)
	v_pk_fma_f32 v[174:175], v[168:169], v[164:165], v[172:173] op_sel:[0,0,1] op_sel_hi:[1,1,0] neg_lo:[0,0,1] neg_hi:[0,0,1]
	v_pk_fma_f32 v[168:169], v[168:169], v[164:165], v[172:173] op_sel:[0,0,1] op_sel_hi:[1,0,0]
	v_mov_b32_e32 v175, v169
	v_pk_mul_f32 v[168:169], v[170:171], v[166:167] op_sel:[0,1]
	s_delay_alu instid0(VALU_DEP_1) | instskip(SKIP_1) | instid1(VALU_DEP_1)
	v_pk_fma_f32 v[172:173], v[170:171], v[164:165], v[168:169] op_sel:[0,0,1] op_sel_hi:[1,1,0] neg_lo:[0,0,1] neg_hi:[0,0,1]
	v_pk_fma_f32 v[168:169], v[170:171], v[164:165], v[168:169] op_sel:[0,0,1] op_sel_hi:[1,0,0]
	v_mov_b32_e32 v173, v169
	ds_load_2addr_b64 v[168:171], v208 offset0:19 offset1:20
	v_pk_add_f32 v[76:77], v[76:77], v[174:175] neg_lo:[0,1] neg_hi:[0,1]
	v_pk_add_f32 v[78:79], v[78:79], v[172:173] neg_lo:[0,1] neg_hi:[0,1]
	s_wait_dscnt 0x0
	v_pk_mul_f32 v[172:173], v[168:169], v[166:167] op_sel:[0,1]
	s_delay_alu instid0(VALU_DEP_1) | instskip(SKIP_1) | instid1(VALU_DEP_1)
	v_pk_fma_f32 v[174:175], v[168:169], v[164:165], v[172:173] op_sel:[0,0,1] op_sel_hi:[1,1,0] neg_lo:[0,0,1] neg_hi:[0,0,1]
	v_pk_fma_f32 v[168:169], v[168:169], v[164:165], v[172:173] op_sel:[0,0,1] op_sel_hi:[1,0,0]
	v_mov_b32_e32 v175, v169
	v_pk_mul_f32 v[168:169], v[170:171], v[166:167] op_sel:[0,1]
	s_delay_alu instid0(VALU_DEP_1) | instskip(SKIP_1) | instid1(VALU_DEP_1)
	v_pk_fma_f32 v[172:173], v[170:171], v[164:165], v[168:169] op_sel:[0,0,1] op_sel_hi:[1,1,0] neg_lo:[0,0,1] neg_hi:[0,0,1]
	v_pk_fma_f32 v[168:169], v[170:171], v[164:165], v[168:169] op_sel:[0,0,1] op_sel_hi:[1,0,0]
	v_mov_b32_e32 v173, v169
	ds_load_2addr_b64 v[168:171], v208 offset0:21 offset1:22
	v_pk_add_f32 v[114:115], v[114:115], v[174:175] neg_lo:[0,1] neg_hi:[0,1]
	v_pk_add_f32 v[128:129], v[128:129], v[172:173] neg_lo:[0,1] neg_hi:[0,1]
	s_wait_dscnt 0x0
	v_dual_mul_f32 v172, v169, v167 :: v_dual_mul_f32 v174, v169, v164
	s_delay_alu instid0(VALU_DEP_1) | instskip(NEXT) | instid1(VALU_DEP_2)
	v_pk_fma_f32 v[172:173], v[168:169], v[62:63], v[172:173] op_sel_hi:[1,1,0] neg_lo:[0,0,1] neg_hi:[0,0,1]
	v_pk_fma_f32 v[168:169], v[168:169], v[62:63], v[174:175] op_sel:[1,0,0] op_sel_hi:[0,1,0]
	s_delay_alu instid0(VALU_DEP_1) | instskip(SKIP_1) | instid1(VALU_DEP_2)
	v_mov_b32_e32 v173, v169
	v_pk_mul_f32 v[168:169], v[170:171], v[166:167] op_sel:[0,1]
	v_pk_add_f32 v[126:127], v[126:127], v[172:173] neg_lo:[0,1] neg_hi:[0,1]
	s_delay_alu instid0(VALU_DEP_2) | instskip(SKIP_1) | instid1(VALU_DEP_1)
	v_pk_fma_f32 v[172:173], v[170:171], v[164:165], v[168:169] op_sel:[0,0,1] op_sel_hi:[1,1,0] neg_lo:[0,0,1] neg_hi:[0,0,1]
	v_pk_fma_f32 v[168:169], v[170:171], v[164:165], v[168:169] op_sel:[0,0,1] op_sel_hi:[1,0,0]
	v_mov_b32_e32 v173, v169
	ds_load_2addr_b64 v[168:171], v208 offset0:23 offset1:24
	v_pk_add_f32 v[136:137], v[136:137], v[172:173] neg_lo:[0,1] neg_hi:[0,1]
	s_wait_dscnt 0x0
	v_pk_mul_f32 v[172:173], v[168:169], v[166:167] op_sel:[0,1]
	s_delay_alu instid0(VALU_DEP_1) | instskip(SKIP_1) | instid1(VALU_DEP_1)
	v_pk_fma_f32 v[174:175], v[168:169], v[164:165], v[172:173] op_sel:[0,0,1] op_sel_hi:[1,1,0] neg_lo:[0,0,1] neg_hi:[0,0,1]
	v_pk_fma_f32 v[168:169], v[168:169], v[164:165], v[172:173] op_sel:[0,0,1] op_sel_hi:[1,0,0]
	v_mov_b32_e32 v175, v169
	v_pk_mul_f32 v[168:169], v[170:171], v[166:167] op_sel:[0,1]
	s_delay_alu instid0(VALU_DEP_2) | instskip(NEXT) | instid1(VALU_DEP_2)
	v_pk_add_f32 v[124:125], v[124:125], v[174:175] neg_lo:[0,1] neg_hi:[0,1]
	v_pk_fma_f32 v[172:173], v[170:171], v[164:165], v[168:169] op_sel:[0,0,1] op_sel_hi:[1,1,0] neg_lo:[0,0,1] neg_hi:[0,0,1]
	v_pk_fma_f32 v[168:169], v[170:171], v[164:165], v[168:169] op_sel:[0,0,1] op_sel_hi:[1,0,0]
	s_delay_alu instid0(VALU_DEP_1) | instskip(SKIP_4) | instid1(VALU_DEP_1)
	v_mov_b32_e32 v173, v169
	ds_load_2addr_b64 v[168:171], v208 offset0:25 offset1:26
	v_pk_add_f32 v[132:133], v[132:133], v[172:173] neg_lo:[0,1] neg_hi:[0,1]
	s_wait_dscnt 0x0
	v_pk_mul_f32 v[172:173], v[168:169], v[166:167] op_sel:[0,1]
	v_pk_fma_f32 v[174:175], v[168:169], v[164:165], v[172:173] op_sel:[0,0,1] op_sel_hi:[1,1,0] neg_lo:[0,0,1] neg_hi:[0,0,1]
	v_pk_fma_f32 v[168:169], v[168:169], v[164:165], v[172:173] op_sel:[0,0,1] op_sel_hi:[1,0,0]
	v_dual_mul_f32 v172, v171, v167 :: v_dual_mov_b32 v168, v171
	s_delay_alu instid0(VALU_DEP_2) | instskip(NEXT) | instid1(VALU_DEP_2)
	v_dual_mov_b32 v175, v169 :: v_dual_mov_b32 v169, v170
	v_pk_fma_f32 v[172:173], v[170:171], v[62:63], v[172:173] op_sel_hi:[1,1,0] neg_lo:[0,0,1] neg_hi:[0,0,1]
	v_mul_f32_e32 v170, v171, v164
	s_delay_alu instid0(VALU_DEP_3) | instskip(NEXT) | instid1(VALU_DEP_2)
	v_pk_add_f32 v[102:103], v[102:103], v[174:175] neg_lo:[0,1] neg_hi:[0,1]
	v_pk_fma_f32 v[168:169], v[168:169], v[62:63], v[170:171] op_sel_hi:[1,1,0]
	s_delay_alu instid0(VALU_DEP_1) | instskip(SKIP_4) | instid1(VALU_DEP_1)
	v_mov_b32_e32 v173, v169
	ds_load_2addr_b64 v[168:171], v208 offset0:27 offset1:28
	v_pk_add_f32 v[104:105], v[104:105], v[172:173] neg_lo:[0,1] neg_hi:[0,1]
	s_wait_dscnt 0x0
	v_pk_mul_f32 v[172:173], v[168:169], v[166:167] op_sel:[0,1]
	v_pk_fma_f32 v[174:175], v[168:169], v[164:165], v[172:173] op_sel:[0,0,1] op_sel_hi:[1,1,0] neg_lo:[0,0,1] neg_hi:[0,0,1]
	v_pk_fma_f32 v[168:169], v[168:169], v[164:165], v[172:173] op_sel:[0,0,1] op_sel_hi:[1,0,0]
	s_delay_alu instid0(VALU_DEP_1) | instskip(SKIP_1) | instid1(VALU_DEP_1)
	v_mov_b32_e32 v175, v169
	v_pk_mul_f32 v[168:169], v[170:171], v[166:167] op_sel:[0,1]
	v_pk_fma_f32 v[172:173], v[170:171], v[164:165], v[168:169] op_sel:[0,0,1] op_sel_hi:[1,1,0] neg_lo:[0,0,1] neg_hi:[0,0,1]
	v_pk_fma_f32 v[168:169], v[170:171], v[164:165], v[168:169] op_sel:[0,0,1] op_sel_hi:[1,0,0]
	s_delay_alu instid0(VALU_DEP_1)
	v_mov_b32_e32 v173, v169
	ds_load_2addr_b64 v[168:171], v208 offset0:29 offset1:30
	v_pk_add_f32 v[100:101], v[100:101], v[174:175] neg_lo:[0,1] neg_hi:[0,1]
	v_pk_add_f32 v[118:119], v[118:119], v[172:173] neg_lo:[0,1] neg_hi:[0,1]
	s_wait_dscnt 0x0
	v_pk_mul_f32 v[172:173], v[168:169], v[166:167] op_sel:[0,1]
	s_delay_alu instid0(VALU_DEP_1) | instskip(SKIP_1) | instid1(VALU_DEP_1)
	v_pk_fma_f32 v[174:175], v[168:169], v[164:165], v[172:173] op_sel:[0,0,1] op_sel_hi:[1,1,0] neg_lo:[0,0,1] neg_hi:[0,0,1]
	v_pk_fma_f32 v[168:169], v[168:169], v[164:165], v[172:173] op_sel:[0,0,1] op_sel_hi:[1,0,0]
	v_mov_b32_e32 v175, v169
	v_pk_mul_f32 v[168:169], v[170:171], v[166:167] op_sel:[0,1]
	s_delay_alu instid0(VALU_DEP_1) | instskip(SKIP_1) | instid1(VALU_DEP_1)
	v_pk_fma_f32 v[172:173], v[170:171], v[164:165], v[168:169] op_sel:[0,0,1] op_sel_hi:[1,1,0] neg_lo:[0,0,1] neg_hi:[0,0,1]
	v_pk_fma_f32 v[168:169], v[170:171], v[164:165], v[168:169] op_sel:[0,0,1] op_sel_hi:[1,0,0]
	v_mov_b32_e32 v173, v169
	ds_load_2addr_b64 v[168:171], v208 offset0:31 offset1:32
	v_pk_add_f32 v[116:117], v[116:117], v[174:175] neg_lo:[0,1] neg_hi:[0,1]
	v_pk_add_f32 v[130:131], v[130:131], v[172:173] neg_lo:[0,1] neg_hi:[0,1]
	s_wait_dscnt 0x0
	v_dual_mul_f32 v172, v169, v167 :: v_dual_mul_f32 v174, v169, v164
	s_delay_alu instid0(VALU_DEP_1) | instskip(NEXT) | instid1(VALU_DEP_2)
	v_pk_fma_f32 v[172:173], v[168:169], v[62:63], v[172:173] op_sel_hi:[1,1,0] neg_lo:[0,0,1] neg_hi:[0,0,1]
	v_pk_fma_f32 v[168:169], v[168:169], v[62:63], v[174:175] op_sel:[1,0,0] op_sel_hi:[0,1,0]
	s_delay_alu instid0(VALU_DEP_1) | instskip(SKIP_1) | instid1(VALU_DEP_2)
	v_mov_b32_e32 v173, v169
	v_pk_mul_f32 v[168:169], v[170:171], v[166:167] op_sel:[0,1]
	v_pk_add_f32 v[122:123], v[122:123], v[172:173] neg_lo:[0,1] neg_hi:[0,1]
	s_delay_alu instid0(VALU_DEP_2) | instskip(SKIP_1) | instid1(VALU_DEP_1)
	v_pk_fma_f32 v[172:173], v[170:171], v[164:165], v[168:169] op_sel:[0,0,1] op_sel_hi:[1,1,0] neg_lo:[0,0,1] neg_hi:[0,0,1]
	v_pk_fma_f32 v[168:169], v[170:171], v[164:165], v[168:169] op_sel:[0,0,1] op_sel_hi:[1,0,0]
	v_mov_b32_e32 v173, v169
	ds_load_b64 v[168:169], v208 offset:264
	v_pk_add_f32 v[120:121], v[120:121], v[172:173] neg_lo:[0,1] neg_hi:[0,1]
	s_wait_dscnt 0x0
	v_pk_mul_f32 v[166:167], v[168:169], v[166:167] op_sel:[0,1]
	s_delay_alu instid0(VALU_DEP_1) | instskip(SKIP_1) | instid1(VALU_DEP_1)
	v_pk_fma_f32 v[170:171], v[168:169], v[164:165], v[166:167] op_sel:[0,0,1] op_sel_hi:[1,1,0] neg_lo:[0,0,1] neg_hi:[0,0,1]
	v_pk_fma_f32 v[164:165], v[168:169], v[164:165], v[166:167] op_sel:[0,0,1] op_sel_hi:[1,0,0]
	v_mov_b32_e32 v171, v165
	s_delay_alu instid0(VALU_DEP_1)
	v_pk_add_f32 v[134:135], v[134:135], v[170:171] neg_lo:[0,1] neg_hi:[0,1]
.LBB67_118:
	s_or_b32 exec_lo, exec_lo, s1
	s_delay_alu instid0(SALU_CYCLE_1)
	s_mov_b32 s2, exec_lo
	s_wait_dscnt 0x0
	s_barrier_signal -1
	s_barrier_wait -1
	v_cmpx_eq_u32_e32 13, v206
	s_cbranch_execz .LBB67_125
; %bb.119:
	v_dual_mov_b32 v164, v60 :: v_dual_mov_b32 v165, v61
	v_dual_mov_b32 v166, v56 :: v_dual_mov_b32 v167, v57
	;; [unrolled: 1-line block ×8, first 2 shown]
	ds_store_b64 v207, v[58:59]
	ds_store_2addr_b64 v208, v[164:165], v[166:167] offset0:14 offset1:15
	ds_store_2addr_b64 v208, v[168:169], v[170:171] offset0:16 offset1:17
	;; [unrolled: 1-line block ×4, first 2 shown]
	v_dual_mov_b32 v164, v136 :: v_dual_mov_b32 v165, v137
	v_dual_mov_b32 v166, v124 :: v_dual_mov_b32 v167, v125
	;; [unrolled: 1-line block ×11, first 2 shown]
	ds_store_2addr_b64 v208, v[164:165], v[166:167] offset0:22 offset1:23
	ds_store_2addr_b64 v208, v[168:169], v[170:171] offset0:24 offset1:25
	;; [unrolled: 1-line block ×6, first 2 shown]
	ds_load_b64 v[164:165], v207
	s_wait_dscnt 0x0
	v_cmp_neq_f32_e32 vcc_lo, 0, v164
	v_cmp_neq_f32_e64 s1, 0, v165
	s_or_b32 s1, vcc_lo, s1
	s_delay_alu instid0(SALU_CYCLE_1)
	s_and_b32 exec_lo, exec_lo, s1
	s_cbranch_execz .LBB67_125
; %bb.120:
	v_cmp_ngt_f32_e64 s1, |v164|, |v165|
                                        ; implicit-def: $vgpr166_vgpr167
	s_and_saveexec_b32 s4, s1
	s_delay_alu instid0(SALU_CYCLE_1)
	s_xor_b32 s1, exec_lo, s4
	s_cbranch_execz .LBB67_122
; %bb.121:
	v_div_scale_f32 v166, null, v165, v165, v164
	v_div_scale_f32 v169, vcc_lo, v164, v165, v164
	s_delay_alu instid0(VALU_DEP_2) | instskip(SKIP_1) | instid1(TRANS32_DEP_1)
	v_rcp_f32_e32 v167, v166
	v_nop
	v_fma_f32 v168, -v166, v167, 1.0
	s_delay_alu instid0(VALU_DEP_1) | instskip(NEXT) | instid1(VALU_DEP_1)
	v_fmac_f32_e32 v167, v168, v167
	v_mul_f32_e32 v168, v169, v167
	s_delay_alu instid0(VALU_DEP_1) | instskip(NEXT) | instid1(VALU_DEP_1)
	v_fma_f32 v170, -v166, v168, v169
	v_fmac_f32_e32 v168, v170, v167
	s_delay_alu instid0(VALU_DEP_1) | instskip(NEXT) | instid1(VALU_DEP_1)
	v_fma_f32 v166, -v166, v168, v169
	v_div_fmas_f32 v166, v166, v167, v168
	s_delay_alu instid0(VALU_DEP_1) | instskip(NEXT) | instid1(VALU_DEP_1)
	v_div_fixup_f32 v166, v166, v165, v164
	v_fmac_f32_e32 v165, v164, v166
	s_delay_alu instid0(VALU_DEP_1) | instskip(SKIP_1) | instid1(VALU_DEP_2)
	v_div_scale_f32 v164, null, v165, v165, 1.0
	v_div_scale_f32 v169, vcc_lo, 1.0, v165, 1.0
	v_rcp_f32_e32 v167, v164
	v_nop
	s_delay_alu instid0(TRANS32_DEP_1) | instskip(NEXT) | instid1(VALU_DEP_1)
	v_fma_f32 v168, -v164, v167, 1.0
	v_fmac_f32_e32 v167, v168, v167
	s_delay_alu instid0(VALU_DEP_1) | instskip(NEXT) | instid1(VALU_DEP_1)
	v_mul_f32_e32 v168, v169, v167
	v_fma_f32 v170, -v164, v168, v169
	s_delay_alu instid0(VALU_DEP_1) | instskip(NEXT) | instid1(VALU_DEP_1)
	v_fmac_f32_e32 v168, v170, v167
	v_fma_f32 v164, -v164, v168, v169
	s_delay_alu instid0(VALU_DEP_1) | instskip(NEXT) | instid1(VALU_DEP_1)
	v_div_fmas_f32 v164, v164, v167, v168
	v_div_fixup_f32 v164, v164, v165, 1.0
	s_delay_alu instid0(VALU_DEP_1)
	v_mul_f32_e32 v166, v166, v164
	v_xor_b32_e32 v167, 0x80000000, v164
                                        ; implicit-def: $vgpr164_vgpr165
.LBB67_122:
	s_and_not1_saveexec_b32 s1, s1
	s_cbranch_execz .LBB67_124
; %bb.123:
	v_div_scale_f32 v166, null, v164, v164, v165
	v_div_scale_f32 v169, vcc_lo, v165, v164, v165
	s_delay_alu instid0(VALU_DEP_2) | instskip(SKIP_1) | instid1(TRANS32_DEP_1)
	v_rcp_f32_e32 v167, v166
	v_nop
	v_fma_f32 v168, -v166, v167, 1.0
	s_delay_alu instid0(VALU_DEP_1) | instskip(NEXT) | instid1(VALU_DEP_1)
	v_fmac_f32_e32 v167, v168, v167
	v_mul_f32_e32 v168, v169, v167
	s_delay_alu instid0(VALU_DEP_1) | instskip(NEXT) | instid1(VALU_DEP_1)
	v_fma_f32 v170, -v166, v168, v169
	v_fmac_f32_e32 v168, v170, v167
	s_delay_alu instid0(VALU_DEP_1) | instskip(NEXT) | instid1(VALU_DEP_1)
	v_fma_f32 v166, -v166, v168, v169
	v_div_fmas_f32 v166, v166, v167, v168
	s_delay_alu instid0(VALU_DEP_1) | instskip(NEXT) | instid1(VALU_DEP_1)
	v_div_fixup_f32 v167, v166, v164, v165
	v_fmac_f32_e32 v164, v165, v167
	s_delay_alu instid0(VALU_DEP_1) | instskip(NEXT) | instid1(VALU_DEP_1)
	v_div_scale_f32 v165, null, v164, v164, 1.0
	v_rcp_f32_e32 v166, v165
	v_nop
	s_delay_alu instid0(TRANS32_DEP_1) | instskip(NEXT) | instid1(VALU_DEP_1)
	v_fma_f32 v168, -v165, v166, 1.0
	v_fmac_f32_e32 v166, v168, v166
	v_div_scale_f32 v168, vcc_lo, 1.0, v164, 1.0
	s_delay_alu instid0(VALU_DEP_1) | instskip(NEXT) | instid1(VALU_DEP_1)
	v_mul_f32_e32 v169, v168, v166
	v_fma_f32 v170, -v165, v169, v168
	s_delay_alu instid0(VALU_DEP_1) | instskip(NEXT) | instid1(VALU_DEP_1)
	v_fmac_f32_e32 v169, v170, v166
	v_fma_f32 v165, -v165, v169, v168
	s_delay_alu instid0(VALU_DEP_1) | instskip(NEXT) | instid1(VALU_DEP_1)
	v_div_fmas_f32 v165, v165, v166, v169
	v_div_fixup_f32 v166, v165, v164, 1.0
	s_delay_alu instid0(VALU_DEP_1)
	v_mul_f32_e64 v167, v167, -v166
.LBB67_124:
	s_or_b32 exec_lo, exec_lo, s1
	ds_store_b64 v207, v[166:167]
.LBB67_125:
	s_or_b32 exec_lo, exec_lo, s2
	s_wait_dscnt 0x0
	s_barrier_signal -1
	s_barrier_wait -1
	ds_load_b64 v[164:165], v207
	s_mov_b32 s1, exec_lo
	v_cmpx_lt_u32_e32 13, v206
	s_cbranch_execz .LBB67_127
; %bb.126:
	ds_load_2addr_b64 v[170:173], v208 offset0:14 offset1:15
	s_wait_dscnt 0x1
	v_pk_mul_f32 v[168:169], v[164:165], v[58:59] op_sel:[1,1] op_sel_hi:[0,1]
	s_delay_alu instid0(VALU_DEP_1) | instskip(SKIP_1) | instid1(VALU_DEP_1)
	v_pk_fma_f32 v[166:167], v[164:165], v[58:59], v[168:169] op_sel_hi:[1,0,1] neg_lo:[0,0,1] neg_hi:[0,0,1]
	v_pk_fma_f32 v[168:169], v[164:165], v[58:59], v[168:169] op_sel_hi:[1,0,1]
	v_dual_mov_b32 v58, v166 :: v_dual_mov_b32 v59, v169
	s_wait_dscnt 0x0
	s_delay_alu instid0(VALU_DEP_2) | instskip(NEXT) | instid1(VALU_DEP_1)
	v_pk_mul_f32 v[174:175], v[170:171], v[168:169] op_sel:[0,1]
	v_pk_fma_f32 v[176:177], v[170:171], v[166:167], v[174:175] op_sel:[0,0,1] op_sel_hi:[1,1,0] neg_lo:[0,0,1] neg_hi:[0,0,1]
	v_pk_fma_f32 v[170:171], v[170:171], v[166:167], v[174:175] op_sel:[0,0,1] op_sel_hi:[1,0,0]
	s_delay_alu instid0(VALU_DEP_1) | instskip(SKIP_1) | instid1(VALU_DEP_1)
	v_mov_b32_e32 v177, v171
	v_pk_mul_f32 v[170:171], v[172:173], v[168:169] op_sel:[0,1]
	v_pk_fma_f32 v[174:175], v[172:173], v[166:167], v[170:171] op_sel:[0,0,1] op_sel_hi:[1,1,0] neg_lo:[0,0,1] neg_hi:[0,0,1]
	v_pk_fma_f32 v[170:171], v[172:173], v[166:167], v[170:171] op_sel:[0,0,1] op_sel_hi:[1,0,0]
	s_delay_alu instid0(VALU_DEP_1)
	v_mov_b32_e32 v175, v171
	ds_load_2addr_b64 v[170:173], v208 offset0:16 offset1:17
	v_pk_add_f32 v[60:61], v[60:61], v[176:177] neg_lo:[0,1] neg_hi:[0,1]
	v_pk_add_f32 v[56:57], v[56:57], v[174:175] neg_lo:[0,1] neg_hi:[0,1]
	s_wait_dscnt 0x0
	v_pk_mul_f32 v[174:175], v[170:171], v[168:169] op_sel:[0,1]
	s_delay_alu instid0(VALU_DEP_1) | instskip(SKIP_2) | instid1(VALU_DEP_2)
	v_pk_fma_f32 v[176:177], v[170:171], v[166:167], v[174:175] op_sel:[0,0,1] op_sel_hi:[1,1,0] neg_lo:[0,0,1] neg_hi:[0,0,1]
	v_pk_fma_f32 v[170:171], v[170:171], v[166:167], v[174:175] op_sel:[0,0,1] op_sel_hi:[1,0,0]
	v_dual_mul_f32 v174, v173, v169 :: v_dual_mov_b32 v170, v173
	v_dual_mov_b32 v177, v171 :: v_dual_mov_b32 v171, v172
	s_delay_alu instid0(VALU_DEP_2) | instskip(SKIP_1) | instid1(VALU_DEP_3)
	v_pk_fma_f32 v[174:175], v[172:173], v[58:59], v[174:175] op_sel_hi:[1,1,0] neg_lo:[0,0,1] neg_hi:[0,0,1]
	v_mul_f32_e32 v172, v173, v166
	v_pk_add_f32 v[80:81], v[80:81], v[176:177] neg_lo:[0,1] neg_hi:[0,1]
	s_delay_alu instid0(VALU_DEP_2) | instskip(NEXT) | instid1(VALU_DEP_1)
	v_pk_fma_f32 v[170:171], v[170:171], v[58:59], v[172:173] op_sel_hi:[1,1,0]
	v_mov_b32_e32 v175, v171
	ds_load_2addr_b64 v[170:173], v208 offset0:18 offset1:19
	v_pk_add_f32 v[76:77], v[76:77], v[174:175] neg_lo:[0,1] neg_hi:[0,1]
	s_wait_dscnt 0x0
	v_pk_mul_f32 v[174:175], v[170:171], v[168:169] op_sel:[0,1]
	s_delay_alu instid0(VALU_DEP_1) | instskip(SKIP_1) | instid1(VALU_DEP_1)
	v_pk_fma_f32 v[176:177], v[170:171], v[166:167], v[174:175] op_sel:[0,0,1] op_sel_hi:[1,1,0] neg_lo:[0,0,1] neg_hi:[0,0,1]
	v_pk_fma_f32 v[170:171], v[170:171], v[166:167], v[174:175] op_sel:[0,0,1] op_sel_hi:[1,0,0]
	v_mov_b32_e32 v177, v171
	v_pk_mul_f32 v[170:171], v[172:173], v[168:169] op_sel:[0,1]
	s_delay_alu instid0(VALU_DEP_1) | instskip(SKIP_1) | instid1(VALU_DEP_1)
	v_pk_fma_f32 v[174:175], v[172:173], v[166:167], v[170:171] op_sel:[0,0,1] op_sel_hi:[1,1,0] neg_lo:[0,0,1] neg_hi:[0,0,1]
	v_pk_fma_f32 v[170:171], v[172:173], v[166:167], v[170:171] op_sel:[0,0,1] op_sel_hi:[1,0,0]
	v_mov_b32_e32 v175, v171
	ds_load_2addr_b64 v[170:173], v208 offset0:20 offset1:21
	v_pk_add_f32 v[78:79], v[78:79], v[176:177] neg_lo:[0,1] neg_hi:[0,1]
	v_pk_add_f32 v[114:115], v[114:115], v[174:175] neg_lo:[0,1] neg_hi:[0,1]
	s_wait_dscnt 0x0
	v_pk_mul_f32 v[174:175], v[170:171], v[168:169] op_sel:[0,1]
	s_delay_alu instid0(VALU_DEP_1) | instskip(SKIP_1) | instid1(VALU_DEP_1)
	v_pk_fma_f32 v[176:177], v[170:171], v[166:167], v[174:175] op_sel:[0,0,1] op_sel_hi:[1,1,0] neg_lo:[0,0,1] neg_hi:[0,0,1]
	v_pk_fma_f32 v[170:171], v[170:171], v[166:167], v[174:175] op_sel:[0,0,1] op_sel_hi:[1,0,0]
	v_mov_b32_e32 v177, v171
	v_pk_mul_f32 v[170:171], v[172:173], v[168:169] op_sel:[0,1]
	s_delay_alu instid0(VALU_DEP_1) | instskip(SKIP_1) | instid1(VALU_DEP_1)
	v_pk_fma_f32 v[174:175], v[172:173], v[166:167], v[170:171] op_sel:[0,0,1] op_sel_hi:[1,1,0] neg_lo:[0,0,1] neg_hi:[0,0,1]
	v_pk_fma_f32 v[170:171], v[172:173], v[166:167], v[170:171] op_sel:[0,0,1] op_sel_hi:[1,0,0]
	v_mov_b32_e32 v175, v171
	ds_load_2addr_b64 v[170:173], v208 offset0:22 offset1:23
	v_pk_add_f32 v[128:129], v[128:129], v[176:177] neg_lo:[0,1] neg_hi:[0,1]
	v_pk_add_f32 v[126:127], v[126:127], v[174:175] neg_lo:[0,1] neg_hi:[0,1]
	s_wait_dscnt 0x0
	v_dual_mul_f32 v174, v171, v169 :: v_dual_mul_f32 v176, v171, v166
	s_delay_alu instid0(VALU_DEP_1) | instskip(NEXT) | instid1(VALU_DEP_2)
	v_pk_fma_f32 v[174:175], v[170:171], v[58:59], v[174:175] op_sel_hi:[1,1,0] neg_lo:[0,0,1] neg_hi:[0,0,1]
	v_pk_fma_f32 v[170:171], v[170:171], v[58:59], v[176:177] op_sel:[1,0,0] op_sel_hi:[0,1,0]
	s_delay_alu instid0(VALU_DEP_1) | instskip(SKIP_1) | instid1(VALU_DEP_2)
	v_mov_b32_e32 v175, v171
	v_pk_mul_f32 v[170:171], v[172:173], v[168:169] op_sel:[0,1]
	v_pk_add_f32 v[136:137], v[136:137], v[174:175] neg_lo:[0,1] neg_hi:[0,1]
	s_delay_alu instid0(VALU_DEP_2) | instskip(SKIP_1) | instid1(VALU_DEP_1)
	v_pk_fma_f32 v[174:175], v[172:173], v[166:167], v[170:171] op_sel:[0,0,1] op_sel_hi:[1,1,0] neg_lo:[0,0,1] neg_hi:[0,0,1]
	v_pk_fma_f32 v[170:171], v[172:173], v[166:167], v[170:171] op_sel:[0,0,1] op_sel_hi:[1,0,0]
	v_mov_b32_e32 v175, v171
	ds_load_2addr_b64 v[170:173], v208 offset0:24 offset1:25
	v_pk_add_f32 v[124:125], v[124:125], v[174:175] neg_lo:[0,1] neg_hi:[0,1]
	s_wait_dscnt 0x0
	v_pk_mul_f32 v[174:175], v[170:171], v[168:169] op_sel:[0,1]
	s_delay_alu instid0(VALU_DEP_1) | instskip(SKIP_1) | instid1(VALU_DEP_1)
	v_pk_fma_f32 v[176:177], v[170:171], v[166:167], v[174:175] op_sel:[0,0,1] op_sel_hi:[1,1,0] neg_lo:[0,0,1] neg_hi:[0,0,1]
	v_pk_fma_f32 v[170:171], v[170:171], v[166:167], v[174:175] op_sel:[0,0,1] op_sel_hi:[1,0,0]
	v_mov_b32_e32 v177, v171
	v_pk_mul_f32 v[170:171], v[172:173], v[168:169] op_sel:[0,1]
	s_delay_alu instid0(VALU_DEP_2) | instskip(NEXT) | instid1(VALU_DEP_2)
	v_pk_add_f32 v[132:133], v[132:133], v[176:177] neg_lo:[0,1] neg_hi:[0,1]
	v_pk_fma_f32 v[174:175], v[172:173], v[166:167], v[170:171] op_sel:[0,0,1] op_sel_hi:[1,1,0] neg_lo:[0,0,1] neg_hi:[0,0,1]
	v_pk_fma_f32 v[170:171], v[172:173], v[166:167], v[170:171] op_sel:[0,0,1] op_sel_hi:[1,0,0]
	s_delay_alu instid0(VALU_DEP_1) | instskip(SKIP_4) | instid1(VALU_DEP_1)
	v_mov_b32_e32 v175, v171
	ds_load_2addr_b64 v[170:173], v208 offset0:26 offset1:27
	v_pk_add_f32 v[102:103], v[102:103], v[174:175] neg_lo:[0,1] neg_hi:[0,1]
	s_wait_dscnt 0x0
	v_pk_mul_f32 v[174:175], v[170:171], v[168:169] op_sel:[0,1]
	v_pk_fma_f32 v[176:177], v[170:171], v[166:167], v[174:175] op_sel:[0,0,1] op_sel_hi:[1,1,0] neg_lo:[0,0,1] neg_hi:[0,0,1]
	v_pk_fma_f32 v[170:171], v[170:171], v[166:167], v[174:175] op_sel:[0,0,1] op_sel_hi:[1,0,0]
	v_dual_mul_f32 v174, v173, v169 :: v_dual_mov_b32 v170, v173
	s_delay_alu instid0(VALU_DEP_2) | instskip(NEXT) | instid1(VALU_DEP_2)
	v_dual_mov_b32 v177, v171 :: v_dual_mov_b32 v171, v172
	v_pk_fma_f32 v[174:175], v[172:173], v[58:59], v[174:175] op_sel_hi:[1,1,0] neg_lo:[0,0,1] neg_hi:[0,0,1]
	v_mul_f32_e32 v172, v173, v166
	s_delay_alu instid0(VALU_DEP_3) | instskip(NEXT) | instid1(VALU_DEP_2)
	v_pk_add_f32 v[104:105], v[104:105], v[176:177] neg_lo:[0,1] neg_hi:[0,1]
	v_pk_fma_f32 v[170:171], v[170:171], v[58:59], v[172:173] op_sel_hi:[1,1,0]
	s_delay_alu instid0(VALU_DEP_1) | instskip(SKIP_4) | instid1(VALU_DEP_1)
	v_mov_b32_e32 v175, v171
	ds_load_2addr_b64 v[170:173], v208 offset0:28 offset1:29
	v_pk_add_f32 v[100:101], v[100:101], v[174:175] neg_lo:[0,1] neg_hi:[0,1]
	s_wait_dscnt 0x0
	v_pk_mul_f32 v[174:175], v[170:171], v[168:169] op_sel:[0,1]
	v_pk_fma_f32 v[176:177], v[170:171], v[166:167], v[174:175] op_sel:[0,0,1] op_sel_hi:[1,1,0] neg_lo:[0,0,1] neg_hi:[0,0,1]
	v_pk_fma_f32 v[170:171], v[170:171], v[166:167], v[174:175] op_sel:[0,0,1] op_sel_hi:[1,0,0]
	s_delay_alu instid0(VALU_DEP_1) | instskip(SKIP_1) | instid1(VALU_DEP_1)
	v_mov_b32_e32 v177, v171
	v_pk_mul_f32 v[170:171], v[172:173], v[168:169] op_sel:[0,1]
	v_pk_fma_f32 v[174:175], v[172:173], v[166:167], v[170:171] op_sel:[0,0,1] op_sel_hi:[1,1,0] neg_lo:[0,0,1] neg_hi:[0,0,1]
	v_pk_fma_f32 v[170:171], v[172:173], v[166:167], v[170:171] op_sel:[0,0,1] op_sel_hi:[1,0,0]
	s_delay_alu instid0(VALU_DEP_1)
	v_mov_b32_e32 v175, v171
	ds_load_2addr_b64 v[170:173], v208 offset0:30 offset1:31
	v_pk_add_f32 v[118:119], v[118:119], v[176:177] neg_lo:[0,1] neg_hi:[0,1]
	v_pk_add_f32 v[116:117], v[116:117], v[174:175] neg_lo:[0,1] neg_hi:[0,1]
	s_wait_dscnt 0x0
	v_pk_mul_f32 v[174:175], v[170:171], v[168:169] op_sel:[0,1]
	s_delay_alu instid0(VALU_DEP_1) | instskip(SKIP_1) | instid1(VALU_DEP_1)
	v_pk_fma_f32 v[176:177], v[170:171], v[166:167], v[174:175] op_sel:[0,0,1] op_sel_hi:[1,1,0] neg_lo:[0,0,1] neg_hi:[0,0,1]
	v_pk_fma_f32 v[170:171], v[170:171], v[166:167], v[174:175] op_sel:[0,0,1] op_sel_hi:[1,0,0]
	v_mov_b32_e32 v177, v171
	v_pk_mul_f32 v[170:171], v[172:173], v[168:169] op_sel:[0,1]
	s_delay_alu instid0(VALU_DEP_1) | instskip(SKIP_1) | instid1(VALU_DEP_1)
	v_pk_fma_f32 v[174:175], v[172:173], v[166:167], v[170:171] op_sel:[0,0,1] op_sel_hi:[1,1,0] neg_lo:[0,0,1] neg_hi:[0,0,1]
	v_pk_fma_f32 v[170:171], v[172:173], v[166:167], v[170:171] op_sel:[0,0,1] op_sel_hi:[1,0,0]
	v_mov_b32_e32 v175, v171
	ds_load_2addr_b64 v[170:173], v208 offset0:32 offset1:33
	v_pk_add_f32 v[130:131], v[130:131], v[176:177] neg_lo:[0,1] neg_hi:[0,1]
	v_pk_add_f32 v[122:123], v[122:123], v[174:175] neg_lo:[0,1] neg_hi:[0,1]
	s_wait_dscnt 0x0
	v_dual_mul_f32 v174, v171, v169 :: v_dual_mul_f32 v176, v171, v166
	v_pk_mul_f32 v[168:169], v[172:173], v[168:169] op_sel:[0,1]
	s_delay_alu instid0(VALU_DEP_2) | instskip(NEXT) | instid1(VALU_DEP_3)
	v_pk_fma_f32 v[174:175], v[170:171], v[58:59], v[174:175] op_sel_hi:[1,1,0] neg_lo:[0,0,1] neg_hi:[0,0,1]
	v_pk_fma_f32 v[170:171], v[170:171], v[58:59], v[176:177] op_sel:[1,0,0] op_sel_hi:[0,1,0]
	s_delay_alu instid0(VALU_DEP_1) | instskip(NEXT) | instid1(VALU_DEP_4)
	v_mov_b32_e32 v175, v171
	v_pk_fma_f32 v[170:171], v[172:173], v[166:167], v[168:169] op_sel:[0,0,1] op_sel_hi:[1,1,0] neg_lo:[0,0,1] neg_hi:[0,0,1]
	v_pk_fma_f32 v[166:167], v[172:173], v[166:167], v[168:169] op_sel:[0,0,1] op_sel_hi:[1,0,0]
	s_delay_alu instid0(VALU_DEP_1) | instskip(NEXT) | instid1(VALU_DEP_4)
	v_mov_b32_e32 v171, v167
	v_pk_add_f32 v[120:121], v[120:121], v[174:175] neg_lo:[0,1] neg_hi:[0,1]
	s_delay_alu instid0(VALU_DEP_2)
	v_pk_add_f32 v[134:135], v[134:135], v[170:171] neg_lo:[0,1] neg_hi:[0,1]
.LBB67_127:
	s_or_b32 exec_lo, exec_lo, s1
	s_delay_alu instid0(SALU_CYCLE_1)
	s_mov_b32 s2, exec_lo
	s_wait_dscnt 0x0
	s_barrier_signal -1
	s_barrier_wait -1
	v_cmpx_eq_u32_e32 14, v206
	s_cbranch_execz .LBB67_134
; %bb.128:
	ds_store_b64 v207, v[60:61]
	ds_store_2addr_b64 v208, v[56:57], v[80:81] offset0:15 offset1:16
	ds_store_2addr_b64 v208, v[76:77], v[78:79] offset0:17 offset1:18
	;; [unrolled: 1-line block ×9, first 2 shown]
	ds_store_b64 v208, v[134:135] offset:264
	ds_load_b64 v[166:167], v207
	s_wait_dscnt 0x0
	v_cmp_neq_f32_e32 vcc_lo, 0, v166
	v_cmp_neq_f32_e64 s1, 0, v167
	s_or_b32 s1, vcc_lo, s1
	s_delay_alu instid0(SALU_CYCLE_1)
	s_and_b32 exec_lo, exec_lo, s1
	s_cbranch_execz .LBB67_134
; %bb.129:
	v_cmp_ngt_f32_e64 s1, |v166|, |v167|
                                        ; implicit-def: $vgpr168_vgpr169
	s_and_saveexec_b32 s4, s1
	s_delay_alu instid0(SALU_CYCLE_1)
	s_xor_b32 s1, exec_lo, s4
	s_cbranch_execz .LBB67_131
; %bb.130:
	v_div_scale_f32 v168, null, v167, v167, v166
	v_div_scale_f32 v171, vcc_lo, v166, v167, v166
	s_delay_alu instid0(VALU_DEP_2) | instskip(SKIP_1) | instid1(TRANS32_DEP_1)
	v_rcp_f32_e32 v169, v168
	v_nop
	v_fma_f32 v170, -v168, v169, 1.0
	s_delay_alu instid0(VALU_DEP_1) | instskip(NEXT) | instid1(VALU_DEP_1)
	v_fmac_f32_e32 v169, v170, v169
	v_mul_f32_e32 v170, v171, v169
	s_delay_alu instid0(VALU_DEP_1) | instskip(NEXT) | instid1(VALU_DEP_1)
	v_fma_f32 v172, -v168, v170, v171
	v_fmac_f32_e32 v170, v172, v169
	s_delay_alu instid0(VALU_DEP_1) | instskip(NEXT) | instid1(VALU_DEP_1)
	v_fma_f32 v168, -v168, v170, v171
	v_div_fmas_f32 v168, v168, v169, v170
	s_delay_alu instid0(VALU_DEP_1) | instskip(NEXT) | instid1(VALU_DEP_1)
	v_div_fixup_f32 v168, v168, v167, v166
	v_fmac_f32_e32 v167, v166, v168
	s_delay_alu instid0(VALU_DEP_1) | instskip(SKIP_1) | instid1(VALU_DEP_2)
	v_div_scale_f32 v166, null, v167, v167, 1.0
	v_div_scale_f32 v171, vcc_lo, 1.0, v167, 1.0
	v_rcp_f32_e32 v169, v166
	v_nop
	s_delay_alu instid0(TRANS32_DEP_1) | instskip(NEXT) | instid1(VALU_DEP_1)
	v_fma_f32 v170, -v166, v169, 1.0
	v_fmac_f32_e32 v169, v170, v169
	s_delay_alu instid0(VALU_DEP_1) | instskip(NEXT) | instid1(VALU_DEP_1)
	v_mul_f32_e32 v170, v171, v169
	v_fma_f32 v172, -v166, v170, v171
	s_delay_alu instid0(VALU_DEP_1) | instskip(NEXT) | instid1(VALU_DEP_1)
	v_fmac_f32_e32 v170, v172, v169
	v_fma_f32 v166, -v166, v170, v171
	s_delay_alu instid0(VALU_DEP_1) | instskip(NEXT) | instid1(VALU_DEP_1)
	v_div_fmas_f32 v166, v166, v169, v170
	v_div_fixup_f32 v166, v166, v167, 1.0
	s_delay_alu instid0(VALU_DEP_1)
	v_mul_f32_e32 v168, v168, v166
	v_xor_b32_e32 v169, 0x80000000, v166
                                        ; implicit-def: $vgpr166_vgpr167
.LBB67_131:
	s_and_not1_saveexec_b32 s1, s1
	s_cbranch_execz .LBB67_133
; %bb.132:
	v_div_scale_f32 v168, null, v166, v166, v167
	v_div_scale_f32 v171, vcc_lo, v167, v166, v167
	s_delay_alu instid0(VALU_DEP_2) | instskip(SKIP_1) | instid1(TRANS32_DEP_1)
	v_rcp_f32_e32 v169, v168
	v_nop
	v_fma_f32 v170, -v168, v169, 1.0
	s_delay_alu instid0(VALU_DEP_1) | instskip(NEXT) | instid1(VALU_DEP_1)
	v_fmac_f32_e32 v169, v170, v169
	v_mul_f32_e32 v170, v171, v169
	s_delay_alu instid0(VALU_DEP_1) | instskip(NEXT) | instid1(VALU_DEP_1)
	v_fma_f32 v172, -v168, v170, v171
	v_fmac_f32_e32 v170, v172, v169
	s_delay_alu instid0(VALU_DEP_1) | instskip(NEXT) | instid1(VALU_DEP_1)
	v_fma_f32 v168, -v168, v170, v171
	v_div_fmas_f32 v168, v168, v169, v170
	s_delay_alu instid0(VALU_DEP_1) | instskip(NEXT) | instid1(VALU_DEP_1)
	v_div_fixup_f32 v169, v168, v166, v167
	v_fmac_f32_e32 v166, v167, v169
	s_delay_alu instid0(VALU_DEP_1) | instskip(NEXT) | instid1(VALU_DEP_1)
	v_div_scale_f32 v167, null, v166, v166, 1.0
	v_rcp_f32_e32 v168, v167
	v_nop
	s_delay_alu instid0(TRANS32_DEP_1) | instskip(NEXT) | instid1(VALU_DEP_1)
	v_fma_f32 v170, -v167, v168, 1.0
	v_fmac_f32_e32 v168, v170, v168
	v_div_scale_f32 v170, vcc_lo, 1.0, v166, 1.0
	s_delay_alu instid0(VALU_DEP_1) | instskip(NEXT) | instid1(VALU_DEP_1)
	v_mul_f32_e32 v171, v170, v168
	v_fma_f32 v172, -v167, v171, v170
	s_delay_alu instid0(VALU_DEP_1) | instskip(NEXT) | instid1(VALU_DEP_1)
	v_fmac_f32_e32 v171, v172, v168
	v_fma_f32 v167, -v167, v171, v170
	s_delay_alu instid0(VALU_DEP_1) | instskip(NEXT) | instid1(VALU_DEP_1)
	v_div_fmas_f32 v167, v167, v168, v171
	v_div_fixup_f32 v168, v167, v166, 1.0
	s_delay_alu instid0(VALU_DEP_1)
	v_mul_f32_e64 v169, v169, -v168
.LBB67_133:
	s_or_b32 exec_lo, exec_lo, s1
	ds_store_b64 v207, v[168:169]
.LBB67_134:
	s_or_b32 exec_lo, exec_lo, s2
	s_wait_dscnt 0x0
	s_barrier_signal -1
	s_barrier_wait -1
	ds_load_b64 v[166:167], v207
	s_mov_b32 s1, exec_lo
	v_cmpx_lt_u32_e32 14, v206
	s_cbranch_execz .LBB67_136
; %bb.135:
	ds_load_2addr_b64 v[172:175], v208 offset0:15 offset1:16
	s_wait_dscnt 0x1
	v_pk_mul_f32 v[170:171], v[166:167], v[60:61] op_sel:[1,1] op_sel_hi:[0,1]
	s_delay_alu instid0(VALU_DEP_1) | instskip(SKIP_1) | instid1(VALU_DEP_1)
	v_pk_fma_f32 v[168:169], v[166:167], v[60:61], v[170:171] op_sel_hi:[1,0,1] neg_lo:[0,0,1] neg_hi:[0,0,1]
	v_pk_fma_f32 v[170:171], v[166:167], v[60:61], v[170:171] op_sel_hi:[1,0,1]
	v_dual_mov_b32 v60, v168 :: v_dual_mov_b32 v61, v171
	s_wait_dscnt 0x0
	s_delay_alu instid0(VALU_DEP_2) | instskip(NEXT) | instid1(VALU_DEP_1)
	v_pk_mul_f32 v[176:177], v[172:173], v[170:171] op_sel:[0,1]
	v_pk_fma_f32 v[178:179], v[172:173], v[168:169], v[176:177] op_sel:[0,0,1] op_sel_hi:[1,1,0] neg_lo:[0,0,1] neg_hi:[0,0,1]
	v_pk_fma_f32 v[172:173], v[172:173], v[168:169], v[176:177] op_sel:[0,0,1] op_sel_hi:[1,0,0]
	s_delay_alu instid0(VALU_DEP_1) | instskip(SKIP_1) | instid1(VALU_DEP_1)
	v_mov_b32_e32 v179, v173
	v_pk_mul_f32 v[172:173], v[174:175], v[170:171] op_sel:[0,1]
	v_pk_fma_f32 v[176:177], v[174:175], v[168:169], v[172:173] op_sel:[0,0,1] op_sel_hi:[1,1,0] neg_lo:[0,0,1] neg_hi:[0,0,1]
	v_pk_fma_f32 v[172:173], v[174:175], v[168:169], v[172:173] op_sel:[0,0,1] op_sel_hi:[1,0,0]
	s_delay_alu instid0(VALU_DEP_1)
	v_mov_b32_e32 v177, v173
	ds_load_2addr_b64 v[172:175], v208 offset0:17 offset1:18
	v_pk_add_f32 v[56:57], v[56:57], v[178:179] neg_lo:[0,1] neg_hi:[0,1]
	v_pk_add_f32 v[80:81], v[80:81], v[176:177] neg_lo:[0,1] neg_hi:[0,1]
	s_wait_dscnt 0x0
	v_pk_mul_f32 v[176:177], v[172:173], v[170:171] op_sel:[0,1]
	s_delay_alu instid0(VALU_DEP_1) | instskip(SKIP_2) | instid1(VALU_DEP_2)
	v_pk_fma_f32 v[178:179], v[172:173], v[168:169], v[176:177] op_sel:[0,0,1] op_sel_hi:[1,1,0] neg_lo:[0,0,1] neg_hi:[0,0,1]
	v_pk_fma_f32 v[172:173], v[172:173], v[168:169], v[176:177] op_sel:[0,0,1] op_sel_hi:[1,0,0]
	v_dual_mul_f32 v176, v175, v171 :: v_dual_mov_b32 v172, v175
	v_dual_mov_b32 v179, v173 :: v_dual_mov_b32 v173, v174
	s_delay_alu instid0(VALU_DEP_2) | instskip(SKIP_1) | instid1(VALU_DEP_3)
	v_pk_fma_f32 v[176:177], v[174:175], v[60:61], v[176:177] op_sel_hi:[1,1,0] neg_lo:[0,0,1] neg_hi:[0,0,1]
	v_mul_f32_e32 v174, v175, v168
	v_pk_add_f32 v[76:77], v[76:77], v[178:179] neg_lo:[0,1] neg_hi:[0,1]
	s_delay_alu instid0(VALU_DEP_2) | instskip(NEXT) | instid1(VALU_DEP_1)
	v_pk_fma_f32 v[172:173], v[172:173], v[60:61], v[174:175] op_sel_hi:[1,1,0]
	v_mov_b32_e32 v177, v173
	ds_load_2addr_b64 v[172:175], v208 offset0:19 offset1:20
	v_pk_add_f32 v[78:79], v[78:79], v[176:177] neg_lo:[0,1] neg_hi:[0,1]
	s_wait_dscnt 0x0
	v_pk_mul_f32 v[176:177], v[172:173], v[170:171] op_sel:[0,1]
	s_delay_alu instid0(VALU_DEP_1) | instskip(SKIP_1) | instid1(VALU_DEP_1)
	v_pk_fma_f32 v[178:179], v[172:173], v[168:169], v[176:177] op_sel:[0,0,1] op_sel_hi:[1,1,0] neg_lo:[0,0,1] neg_hi:[0,0,1]
	v_pk_fma_f32 v[172:173], v[172:173], v[168:169], v[176:177] op_sel:[0,0,1] op_sel_hi:[1,0,0]
	v_mov_b32_e32 v179, v173
	v_pk_mul_f32 v[172:173], v[174:175], v[170:171] op_sel:[0,1]
	s_delay_alu instid0(VALU_DEP_1) | instskip(SKIP_1) | instid1(VALU_DEP_1)
	v_pk_fma_f32 v[176:177], v[174:175], v[168:169], v[172:173] op_sel:[0,0,1] op_sel_hi:[1,1,0] neg_lo:[0,0,1] neg_hi:[0,0,1]
	v_pk_fma_f32 v[172:173], v[174:175], v[168:169], v[172:173] op_sel:[0,0,1] op_sel_hi:[1,0,0]
	v_mov_b32_e32 v177, v173
	ds_load_2addr_b64 v[172:175], v208 offset0:21 offset1:22
	v_pk_add_f32 v[114:115], v[114:115], v[178:179] neg_lo:[0,1] neg_hi:[0,1]
	v_pk_add_f32 v[128:129], v[128:129], v[176:177] neg_lo:[0,1] neg_hi:[0,1]
	s_wait_dscnt 0x0
	v_pk_mul_f32 v[176:177], v[172:173], v[170:171] op_sel:[0,1]
	s_delay_alu instid0(VALU_DEP_1) | instskip(SKIP_1) | instid1(VALU_DEP_1)
	v_pk_fma_f32 v[178:179], v[172:173], v[168:169], v[176:177] op_sel:[0,0,1] op_sel_hi:[1,1,0] neg_lo:[0,0,1] neg_hi:[0,0,1]
	v_pk_fma_f32 v[172:173], v[172:173], v[168:169], v[176:177] op_sel:[0,0,1] op_sel_hi:[1,0,0]
	v_mov_b32_e32 v179, v173
	v_pk_mul_f32 v[172:173], v[174:175], v[170:171] op_sel:[0,1]
	s_delay_alu instid0(VALU_DEP_1) | instskip(SKIP_1) | instid1(VALU_DEP_1)
	v_pk_fma_f32 v[176:177], v[174:175], v[168:169], v[172:173] op_sel:[0,0,1] op_sel_hi:[1,1,0] neg_lo:[0,0,1] neg_hi:[0,0,1]
	v_pk_fma_f32 v[172:173], v[174:175], v[168:169], v[172:173] op_sel:[0,0,1] op_sel_hi:[1,0,0]
	v_mov_b32_e32 v177, v173
	ds_load_2addr_b64 v[172:175], v208 offset0:23 offset1:24
	v_pk_add_f32 v[126:127], v[126:127], v[178:179] neg_lo:[0,1] neg_hi:[0,1]
	v_pk_add_f32 v[136:137], v[136:137], v[176:177] neg_lo:[0,1] neg_hi:[0,1]
	s_wait_dscnt 0x0
	v_dual_mul_f32 v176, v173, v171 :: v_dual_mul_f32 v178, v173, v168
	s_delay_alu instid0(VALU_DEP_1) | instskip(NEXT) | instid1(VALU_DEP_2)
	v_pk_fma_f32 v[176:177], v[172:173], v[60:61], v[176:177] op_sel_hi:[1,1,0] neg_lo:[0,0,1] neg_hi:[0,0,1]
	v_pk_fma_f32 v[172:173], v[172:173], v[60:61], v[178:179] op_sel:[1,0,0] op_sel_hi:[0,1,0]
	s_delay_alu instid0(VALU_DEP_1) | instskip(SKIP_1) | instid1(VALU_DEP_2)
	v_mov_b32_e32 v177, v173
	v_pk_mul_f32 v[172:173], v[174:175], v[170:171] op_sel:[0,1]
	v_pk_add_f32 v[124:125], v[124:125], v[176:177] neg_lo:[0,1] neg_hi:[0,1]
	s_delay_alu instid0(VALU_DEP_2) | instskip(SKIP_1) | instid1(VALU_DEP_1)
	v_pk_fma_f32 v[176:177], v[174:175], v[168:169], v[172:173] op_sel:[0,0,1] op_sel_hi:[1,1,0] neg_lo:[0,0,1] neg_hi:[0,0,1]
	v_pk_fma_f32 v[172:173], v[174:175], v[168:169], v[172:173] op_sel:[0,0,1] op_sel_hi:[1,0,0]
	v_mov_b32_e32 v177, v173
	ds_load_2addr_b64 v[172:175], v208 offset0:25 offset1:26
	v_pk_add_f32 v[132:133], v[132:133], v[176:177] neg_lo:[0,1] neg_hi:[0,1]
	s_wait_dscnt 0x0
	v_pk_mul_f32 v[176:177], v[172:173], v[170:171] op_sel:[0,1]
	s_delay_alu instid0(VALU_DEP_1) | instskip(SKIP_1) | instid1(VALU_DEP_1)
	v_pk_fma_f32 v[178:179], v[172:173], v[168:169], v[176:177] op_sel:[0,0,1] op_sel_hi:[1,1,0] neg_lo:[0,0,1] neg_hi:[0,0,1]
	v_pk_fma_f32 v[172:173], v[172:173], v[168:169], v[176:177] op_sel:[0,0,1] op_sel_hi:[1,0,0]
	v_mov_b32_e32 v179, v173
	v_pk_mul_f32 v[172:173], v[174:175], v[170:171] op_sel:[0,1]
	s_delay_alu instid0(VALU_DEP_2) | instskip(NEXT) | instid1(VALU_DEP_2)
	v_pk_add_f32 v[102:103], v[102:103], v[178:179] neg_lo:[0,1] neg_hi:[0,1]
	v_pk_fma_f32 v[176:177], v[174:175], v[168:169], v[172:173] op_sel:[0,0,1] op_sel_hi:[1,1,0] neg_lo:[0,0,1] neg_hi:[0,0,1]
	v_pk_fma_f32 v[172:173], v[174:175], v[168:169], v[172:173] op_sel:[0,0,1] op_sel_hi:[1,0,0]
	s_delay_alu instid0(VALU_DEP_1) | instskip(SKIP_4) | instid1(VALU_DEP_1)
	v_mov_b32_e32 v177, v173
	ds_load_2addr_b64 v[172:175], v208 offset0:27 offset1:28
	v_pk_add_f32 v[104:105], v[104:105], v[176:177] neg_lo:[0,1] neg_hi:[0,1]
	s_wait_dscnt 0x0
	v_pk_mul_f32 v[176:177], v[172:173], v[170:171] op_sel:[0,1]
	v_pk_fma_f32 v[178:179], v[172:173], v[168:169], v[176:177] op_sel:[0,0,1] op_sel_hi:[1,1,0] neg_lo:[0,0,1] neg_hi:[0,0,1]
	v_pk_fma_f32 v[172:173], v[172:173], v[168:169], v[176:177] op_sel:[0,0,1] op_sel_hi:[1,0,0]
	v_dual_mul_f32 v176, v175, v171 :: v_dual_mov_b32 v172, v175
	s_delay_alu instid0(VALU_DEP_2) | instskip(NEXT) | instid1(VALU_DEP_2)
	v_dual_mov_b32 v179, v173 :: v_dual_mov_b32 v173, v174
	v_pk_fma_f32 v[176:177], v[174:175], v[60:61], v[176:177] op_sel_hi:[1,1,0] neg_lo:[0,0,1] neg_hi:[0,0,1]
	v_mul_f32_e32 v174, v175, v168
	s_delay_alu instid0(VALU_DEP_3) | instskip(NEXT) | instid1(VALU_DEP_2)
	v_pk_add_f32 v[100:101], v[100:101], v[178:179] neg_lo:[0,1] neg_hi:[0,1]
	v_pk_fma_f32 v[172:173], v[172:173], v[60:61], v[174:175] op_sel_hi:[1,1,0]
	s_delay_alu instid0(VALU_DEP_1) | instskip(SKIP_4) | instid1(VALU_DEP_1)
	v_mov_b32_e32 v177, v173
	ds_load_2addr_b64 v[172:175], v208 offset0:29 offset1:30
	v_pk_add_f32 v[118:119], v[118:119], v[176:177] neg_lo:[0,1] neg_hi:[0,1]
	s_wait_dscnt 0x0
	v_pk_mul_f32 v[176:177], v[172:173], v[170:171] op_sel:[0,1]
	v_pk_fma_f32 v[178:179], v[172:173], v[168:169], v[176:177] op_sel:[0,0,1] op_sel_hi:[1,1,0] neg_lo:[0,0,1] neg_hi:[0,0,1]
	v_pk_fma_f32 v[172:173], v[172:173], v[168:169], v[176:177] op_sel:[0,0,1] op_sel_hi:[1,0,0]
	s_delay_alu instid0(VALU_DEP_1) | instskip(SKIP_1) | instid1(VALU_DEP_1)
	v_mov_b32_e32 v179, v173
	v_pk_mul_f32 v[172:173], v[174:175], v[170:171] op_sel:[0,1]
	v_pk_fma_f32 v[176:177], v[174:175], v[168:169], v[172:173] op_sel:[0,0,1] op_sel_hi:[1,1,0] neg_lo:[0,0,1] neg_hi:[0,0,1]
	v_pk_fma_f32 v[172:173], v[174:175], v[168:169], v[172:173] op_sel:[0,0,1] op_sel_hi:[1,0,0]
	s_delay_alu instid0(VALU_DEP_1)
	v_mov_b32_e32 v177, v173
	ds_load_2addr_b64 v[172:175], v208 offset0:31 offset1:32
	v_pk_add_f32 v[116:117], v[116:117], v[178:179] neg_lo:[0,1] neg_hi:[0,1]
	v_pk_add_f32 v[130:131], v[130:131], v[176:177] neg_lo:[0,1] neg_hi:[0,1]
	s_wait_dscnt 0x0
	v_pk_mul_f32 v[176:177], v[172:173], v[170:171] op_sel:[0,1]
	s_delay_alu instid0(VALU_DEP_1) | instskip(SKIP_1) | instid1(VALU_DEP_1)
	v_pk_fma_f32 v[178:179], v[172:173], v[168:169], v[176:177] op_sel:[0,0,1] op_sel_hi:[1,1,0] neg_lo:[0,0,1] neg_hi:[0,0,1]
	v_pk_fma_f32 v[172:173], v[172:173], v[168:169], v[176:177] op_sel:[0,0,1] op_sel_hi:[1,0,0]
	v_mov_b32_e32 v179, v173
	v_pk_mul_f32 v[172:173], v[174:175], v[170:171] op_sel:[0,1]
	s_delay_alu instid0(VALU_DEP_1) | instskip(SKIP_1) | instid1(VALU_DEP_1)
	v_pk_fma_f32 v[176:177], v[174:175], v[168:169], v[172:173] op_sel:[0,0,1] op_sel_hi:[1,1,0] neg_lo:[0,0,1] neg_hi:[0,0,1]
	v_pk_fma_f32 v[172:173], v[174:175], v[168:169], v[172:173] op_sel:[0,0,1] op_sel_hi:[1,0,0]
	v_mov_b32_e32 v177, v173
	ds_load_b64 v[172:173], v208 offset:264
	v_pk_add_f32 v[122:123], v[122:123], v[178:179] neg_lo:[0,1] neg_hi:[0,1]
	v_pk_add_f32 v[120:121], v[120:121], v[176:177] neg_lo:[0,1] neg_hi:[0,1]
	s_wait_dscnt 0x0
	v_pk_mul_f32 v[170:171], v[172:173], v[170:171] op_sel:[0,1]
	s_delay_alu instid0(VALU_DEP_1) | instskip(SKIP_1) | instid1(VALU_DEP_1)
	v_pk_fma_f32 v[174:175], v[172:173], v[168:169], v[170:171] op_sel:[0,0,1] op_sel_hi:[1,1,0] neg_lo:[0,0,1] neg_hi:[0,0,1]
	v_pk_fma_f32 v[168:169], v[172:173], v[168:169], v[170:171] op_sel:[0,0,1] op_sel_hi:[1,0,0]
	v_mov_b32_e32 v175, v169
	s_delay_alu instid0(VALU_DEP_1)
	v_pk_add_f32 v[134:135], v[134:135], v[174:175] neg_lo:[0,1] neg_hi:[0,1]
.LBB67_136:
	s_or_b32 exec_lo, exec_lo, s1
	s_delay_alu instid0(SALU_CYCLE_1)
	s_mov_b32 s2, exec_lo
	s_wait_dscnt 0x0
	s_barrier_signal -1
	s_barrier_wait -1
	v_cmpx_eq_u32_e32 15, v206
	s_cbranch_execz .LBB67_143
; %bb.137:
	v_dual_mov_b32 v168, v80 :: v_dual_mov_b32 v169, v81
	v_dual_mov_b32 v170, v76 :: v_dual_mov_b32 v171, v77
	v_dual_mov_b32 v172, v78 :: v_dual_mov_b32 v173, v79
	v_dual_mov_b32 v174, v114 :: v_dual_mov_b32 v175, v115
	v_dual_mov_b32 v176, v128 :: v_dual_mov_b32 v177, v129
	v_dual_mov_b32 v178, v126 :: v_dual_mov_b32 v179, v127
	v_dual_mov_b32 v180, v136 :: v_dual_mov_b32 v181, v137
	v_dual_mov_b32 v182, v124 :: v_dual_mov_b32 v183, v125
	ds_store_b64 v207, v[56:57]
	ds_store_2addr_b64 v208, v[168:169], v[170:171] offset0:16 offset1:17
	ds_store_2addr_b64 v208, v[172:173], v[174:175] offset0:18 offset1:19
	;; [unrolled: 1-line block ×4, first 2 shown]
	v_dual_mov_b32 v168, v132 :: v_dual_mov_b32 v169, v133
	v_dual_mov_b32 v170, v102 :: v_dual_mov_b32 v171, v103
	;; [unrolled: 1-line block ×9, first 2 shown]
	ds_store_2addr_b64 v208, v[168:169], v[170:171] offset0:24 offset1:25
	ds_store_2addr_b64 v208, v[172:173], v[174:175] offset0:26 offset1:27
	;; [unrolled: 1-line block ×5, first 2 shown]
	ds_load_b64 v[168:169], v207
	s_wait_dscnt 0x0
	v_cmp_neq_f32_e32 vcc_lo, 0, v168
	v_cmp_neq_f32_e64 s1, 0, v169
	s_or_b32 s1, vcc_lo, s1
	s_delay_alu instid0(SALU_CYCLE_1)
	s_and_b32 exec_lo, exec_lo, s1
	s_cbranch_execz .LBB67_143
; %bb.138:
	v_cmp_ngt_f32_e64 s1, |v168|, |v169|
                                        ; implicit-def: $vgpr170_vgpr171
	s_and_saveexec_b32 s4, s1
	s_delay_alu instid0(SALU_CYCLE_1)
	s_xor_b32 s1, exec_lo, s4
	s_cbranch_execz .LBB67_140
; %bb.139:
	v_div_scale_f32 v170, null, v169, v169, v168
	v_div_scale_f32 v173, vcc_lo, v168, v169, v168
	s_delay_alu instid0(VALU_DEP_2) | instskip(SKIP_1) | instid1(TRANS32_DEP_1)
	v_rcp_f32_e32 v171, v170
	v_nop
	v_fma_f32 v172, -v170, v171, 1.0
	s_delay_alu instid0(VALU_DEP_1) | instskip(NEXT) | instid1(VALU_DEP_1)
	v_fmac_f32_e32 v171, v172, v171
	v_mul_f32_e32 v172, v173, v171
	s_delay_alu instid0(VALU_DEP_1) | instskip(NEXT) | instid1(VALU_DEP_1)
	v_fma_f32 v174, -v170, v172, v173
	v_fmac_f32_e32 v172, v174, v171
	s_delay_alu instid0(VALU_DEP_1) | instskip(NEXT) | instid1(VALU_DEP_1)
	v_fma_f32 v170, -v170, v172, v173
	v_div_fmas_f32 v170, v170, v171, v172
	s_delay_alu instid0(VALU_DEP_1) | instskip(NEXT) | instid1(VALU_DEP_1)
	v_div_fixup_f32 v170, v170, v169, v168
	v_fmac_f32_e32 v169, v168, v170
	s_delay_alu instid0(VALU_DEP_1) | instskip(SKIP_1) | instid1(VALU_DEP_2)
	v_div_scale_f32 v168, null, v169, v169, 1.0
	v_div_scale_f32 v173, vcc_lo, 1.0, v169, 1.0
	v_rcp_f32_e32 v171, v168
	v_nop
	s_delay_alu instid0(TRANS32_DEP_1) | instskip(NEXT) | instid1(VALU_DEP_1)
	v_fma_f32 v172, -v168, v171, 1.0
	v_fmac_f32_e32 v171, v172, v171
	s_delay_alu instid0(VALU_DEP_1) | instskip(NEXT) | instid1(VALU_DEP_1)
	v_mul_f32_e32 v172, v173, v171
	v_fma_f32 v174, -v168, v172, v173
	s_delay_alu instid0(VALU_DEP_1) | instskip(NEXT) | instid1(VALU_DEP_1)
	v_fmac_f32_e32 v172, v174, v171
	v_fma_f32 v168, -v168, v172, v173
	s_delay_alu instid0(VALU_DEP_1) | instskip(NEXT) | instid1(VALU_DEP_1)
	v_div_fmas_f32 v168, v168, v171, v172
	v_div_fixup_f32 v168, v168, v169, 1.0
	s_delay_alu instid0(VALU_DEP_1)
	v_mul_f32_e32 v170, v170, v168
	v_xor_b32_e32 v171, 0x80000000, v168
                                        ; implicit-def: $vgpr168_vgpr169
.LBB67_140:
	s_and_not1_saveexec_b32 s1, s1
	s_cbranch_execz .LBB67_142
; %bb.141:
	v_div_scale_f32 v170, null, v168, v168, v169
	v_div_scale_f32 v173, vcc_lo, v169, v168, v169
	s_delay_alu instid0(VALU_DEP_2) | instskip(SKIP_1) | instid1(TRANS32_DEP_1)
	v_rcp_f32_e32 v171, v170
	v_nop
	v_fma_f32 v172, -v170, v171, 1.0
	s_delay_alu instid0(VALU_DEP_1) | instskip(NEXT) | instid1(VALU_DEP_1)
	v_fmac_f32_e32 v171, v172, v171
	v_mul_f32_e32 v172, v173, v171
	s_delay_alu instid0(VALU_DEP_1) | instskip(NEXT) | instid1(VALU_DEP_1)
	v_fma_f32 v174, -v170, v172, v173
	v_fmac_f32_e32 v172, v174, v171
	s_delay_alu instid0(VALU_DEP_1) | instskip(NEXT) | instid1(VALU_DEP_1)
	v_fma_f32 v170, -v170, v172, v173
	v_div_fmas_f32 v170, v170, v171, v172
	s_delay_alu instid0(VALU_DEP_1) | instskip(NEXT) | instid1(VALU_DEP_1)
	v_div_fixup_f32 v171, v170, v168, v169
	v_fmac_f32_e32 v168, v169, v171
	s_delay_alu instid0(VALU_DEP_1) | instskip(NEXT) | instid1(VALU_DEP_1)
	v_div_scale_f32 v169, null, v168, v168, 1.0
	v_rcp_f32_e32 v170, v169
	v_nop
	s_delay_alu instid0(TRANS32_DEP_1) | instskip(NEXT) | instid1(VALU_DEP_1)
	v_fma_f32 v172, -v169, v170, 1.0
	v_fmac_f32_e32 v170, v172, v170
	v_div_scale_f32 v172, vcc_lo, 1.0, v168, 1.0
	s_delay_alu instid0(VALU_DEP_1) | instskip(NEXT) | instid1(VALU_DEP_1)
	v_mul_f32_e32 v173, v172, v170
	v_fma_f32 v174, -v169, v173, v172
	s_delay_alu instid0(VALU_DEP_1) | instskip(NEXT) | instid1(VALU_DEP_1)
	v_fmac_f32_e32 v173, v174, v170
	v_fma_f32 v169, -v169, v173, v172
	s_delay_alu instid0(VALU_DEP_1) | instskip(NEXT) | instid1(VALU_DEP_1)
	v_div_fmas_f32 v169, v169, v170, v173
	v_div_fixup_f32 v170, v169, v168, 1.0
	s_delay_alu instid0(VALU_DEP_1)
	v_mul_f32_e64 v171, v171, -v170
.LBB67_142:
	s_or_b32 exec_lo, exec_lo, s1
	ds_store_b64 v207, v[170:171]
.LBB67_143:
	s_or_b32 exec_lo, exec_lo, s2
	s_wait_dscnt 0x0
	s_barrier_signal -1
	s_barrier_wait -1
	ds_load_b64 v[168:169], v207
	s_mov_b32 s1, exec_lo
	v_cmpx_lt_u32_e32 15, v206
	s_cbranch_execz .LBB67_145
; %bb.144:
	ds_load_2addr_b64 v[174:177], v208 offset0:16 offset1:17
	s_wait_dscnt 0x1
	v_pk_mul_f32 v[172:173], v[168:169], v[56:57] op_sel:[1,1] op_sel_hi:[0,1]
	s_delay_alu instid0(VALU_DEP_1) | instskip(SKIP_1) | instid1(VALU_DEP_1)
	v_pk_fma_f32 v[170:171], v[168:169], v[56:57], v[172:173] op_sel_hi:[1,0,1] neg_lo:[0,0,1] neg_hi:[0,0,1]
	v_pk_fma_f32 v[172:173], v[168:169], v[56:57], v[172:173] op_sel_hi:[1,0,1]
	v_dual_mov_b32 v56, v170 :: v_dual_mov_b32 v57, v173
	s_wait_dscnt 0x0
	s_delay_alu instid0(VALU_DEP_2) | instskip(NEXT) | instid1(VALU_DEP_1)
	v_pk_mul_f32 v[178:179], v[174:175], v[172:173] op_sel:[0,1]
	v_pk_fma_f32 v[180:181], v[174:175], v[170:171], v[178:179] op_sel:[0,0,1] op_sel_hi:[1,1,0] neg_lo:[0,0,1] neg_hi:[0,0,1]
	v_pk_fma_f32 v[174:175], v[174:175], v[170:171], v[178:179] op_sel:[0,0,1] op_sel_hi:[1,0,0]
	s_delay_alu instid0(VALU_DEP_1) | instskip(SKIP_1) | instid1(VALU_DEP_1)
	v_mov_b32_e32 v181, v175
	v_pk_mul_f32 v[174:175], v[176:177], v[172:173] op_sel:[0,1]
	v_pk_fma_f32 v[178:179], v[176:177], v[170:171], v[174:175] op_sel:[0,0,1] op_sel_hi:[1,1,0] neg_lo:[0,0,1] neg_hi:[0,0,1]
	v_pk_fma_f32 v[174:175], v[176:177], v[170:171], v[174:175] op_sel:[0,0,1] op_sel_hi:[1,0,0]
	s_delay_alu instid0(VALU_DEP_1)
	v_mov_b32_e32 v179, v175
	ds_load_2addr_b64 v[174:177], v208 offset0:18 offset1:19
	v_pk_add_f32 v[80:81], v[80:81], v[180:181] neg_lo:[0,1] neg_hi:[0,1]
	v_pk_add_f32 v[76:77], v[76:77], v[178:179] neg_lo:[0,1] neg_hi:[0,1]
	s_wait_dscnt 0x0
	v_pk_mul_f32 v[178:179], v[174:175], v[172:173] op_sel:[0,1]
	s_delay_alu instid0(VALU_DEP_1) | instskip(SKIP_2) | instid1(VALU_DEP_2)
	v_pk_fma_f32 v[180:181], v[174:175], v[170:171], v[178:179] op_sel:[0,0,1] op_sel_hi:[1,1,0] neg_lo:[0,0,1] neg_hi:[0,0,1]
	v_pk_fma_f32 v[174:175], v[174:175], v[170:171], v[178:179] op_sel:[0,0,1] op_sel_hi:[1,0,0]
	v_dual_mul_f32 v178, v177, v173 :: v_dual_mov_b32 v174, v177
	v_dual_mov_b32 v181, v175 :: v_dual_mov_b32 v175, v176
	s_delay_alu instid0(VALU_DEP_2) | instskip(SKIP_1) | instid1(VALU_DEP_3)
	v_pk_fma_f32 v[178:179], v[176:177], v[56:57], v[178:179] op_sel_hi:[1,1,0] neg_lo:[0,0,1] neg_hi:[0,0,1]
	v_mul_f32_e32 v176, v177, v170
	v_pk_add_f32 v[78:79], v[78:79], v[180:181] neg_lo:[0,1] neg_hi:[0,1]
	s_delay_alu instid0(VALU_DEP_2) | instskip(NEXT) | instid1(VALU_DEP_1)
	v_pk_fma_f32 v[174:175], v[174:175], v[56:57], v[176:177] op_sel_hi:[1,1,0]
	v_mov_b32_e32 v179, v175
	ds_load_2addr_b64 v[174:177], v208 offset0:20 offset1:21
	v_pk_add_f32 v[114:115], v[114:115], v[178:179] neg_lo:[0,1] neg_hi:[0,1]
	s_wait_dscnt 0x0
	v_pk_mul_f32 v[178:179], v[174:175], v[172:173] op_sel:[0,1]
	s_delay_alu instid0(VALU_DEP_1) | instskip(SKIP_1) | instid1(VALU_DEP_1)
	v_pk_fma_f32 v[180:181], v[174:175], v[170:171], v[178:179] op_sel:[0,0,1] op_sel_hi:[1,1,0] neg_lo:[0,0,1] neg_hi:[0,0,1]
	v_pk_fma_f32 v[174:175], v[174:175], v[170:171], v[178:179] op_sel:[0,0,1] op_sel_hi:[1,0,0]
	v_mov_b32_e32 v181, v175
	v_pk_mul_f32 v[174:175], v[176:177], v[172:173] op_sel:[0,1]
	s_delay_alu instid0(VALU_DEP_1) | instskip(SKIP_1) | instid1(VALU_DEP_1)
	v_pk_fma_f32 v[178:179], v[176:177], v[170:171], v[174:175] op_sel:[0,0,1] op_sel_hi:[1,1,0] neg_lo:[0,0,1] neg_hi:[0,0,1]
	v_pk_fma_f32 v[174:175], v[176:177], v[170:171], v[174:175] op_sel:[0,0,1] op_sel_hi:[1,0,0]
	v_mov_b32_e32 v179, v175
	ds_load_2addr_b64 v[174:177], v208 offset0:22 offset1:23
	v_pk_add_f32 v[128:129], v[128:129], v[180:181] neg_lo:[0,1] neg_hi:[0,1]
	v_pk_add_f32 v[126:127], v[126:127], v[178:179] neg_lo:[0,1] neg_hi:[0,1]
	s_wait_dscnt 0x0
	v_pk_mul_f32 v[178:179], v[174:175], v[172:173] op_sel:[0,1]
	s_delay_alu instid0(VALU_DEP_1) | instskip(SKIP_1) | instid1(VALU_DEP_1)
	v_pk_fma_f32 v[180:181], v[174:175], v[170:171], v[178:179] op_sel:[0,0,1] op_sel_hi:[1,1,0] neg_lo:[0,0,1] neg_hi:[0,0,1]
	v_pk_fma_f32 v[174:175], v[174:175], v[170:171], v[178:179] op_sel:[0,0,1] op_sel_hi:[1,0,0]
	v_mov_b32_e32 v181, v175
	v_pk_mul_f32 v[174:175], v[176:177], v[172:173] op_sel:[0,1]
	s_delay_alu instid0(VALU_DEP_1) | instskip(SKIP_1) | instid1(VALU_DEP_1)
	v_pk_fma_f32 v[178:179], v[176:177], v[170:171], v[174:175] op_sel:[0,0,1] op_sel_hi:[1,1,0] neg_lo:[0,0,1] neg_hi:[0,0,1]
	v_pk_fma_f32 v[174:175], v[176:177], v[170:171], v[174:175] op_sel:[0,0,1] op_sel_hi:[1,0,0]
	v_mov_b32_e32 v179, v175
	ds_load_2addr_b64 v[174:177], v208 offset0:24 offset1:25
	v_pk_add_f32 v[136:137], v[136:137], v[180:181] neg_lo:[0,1] neg_hi:[0,1]
	v_pk_add_f32 v[124:125], v[124:125], v[178:179] neg_lo:[0,1] neg_hi:[0,1]
	s_wait_dscnt 0x0
	v_dual_mul_f32 v178, v175, v173 :: v_dual_mul_f32 v180, v175, v170
	s_delay_alu instid0(VALU_DEP_1) | instskip(NEXT) | instid1(VALU_DEP_2)
	v_pk_fma_f32 v[178:179], v[174:175], v[56:57], v[178:179] op_sel_hi:[1,1,0] neg_lo:[0,0,1] neg_hi:[0,0,1]
	v_pk_fma_f32 v[174:175], v[174:175], v[56:57], v[180:181] op_sel:[1,0,0] op_sel_hi:[0,1,0]
	s_delay_alu instid0(VALU_DEP_1) | instskip(SKIP_1) | instid1(VALU_DEP_2)
	v_mov_b32_e32 v179, v175
	v_pk_mul_f32 v[174:175], v[176:177], v[172:173] op_sel:[0,1]
	v_pk_add_f32 v[132:133], v[132:133], v[178:179] neg_lo:[0,1] neg_hi:[0,1]
	s_delay_alu instid0(VALU_DEP_2) | instskip(SKIP_1) | instid1(VALU_DEP_1)
	v_pk_fma_f32 v[178:179], v[176:177], v[170:171], v[174:175] op_sel:[0,0,1] op_sel_hi:[1,1,0] neg_lo:[0,0,1] neg_hi:[0,0,1]
	v_pk_fma_f32 v[174:175], v[176:177], v[170:171], v[174:175] op_sel:[0,0,1] op_sel_hi:[1,0,0]
	v_mov_b32_e32 v179, v175
	ds_load_2addr_b64 v[174:177], v208 offset0:26 offset1:27
	v_pk_add_f32 v[102:103], v[102:103], v[178:179] neg_lo:[0,1] neg_hi:[0,1]
	s_wait_dscnt 0x0
	v_pk_mul_f32 v[178:179], v[174:175], v[172:173] op_sel:[0,1]
	s_delay_alu instid0(VALU_DEP_1) | instskip(SKIP_1) | instid1(VALU_DEP_1)
	v_pk_fma_f32 v[180:181], v[174:175], v[170:171], v[178:179] op_sel:[0,0,1] op_sel_hi:[1,1,0] neg_lo:[0,0,1] neg_hi:[0,0,1]
	v_pk_fma_f32 v[174:175], v[174:175], v[170:171], v[178:179] op_sel:[0,0,1] op_sel_hi:[1,0,0]
	v_mov_b32_e32 v181, v175
	v_pk_mul_f32 v[174:175], v[176:177], v[172:173] op_sel:[0,1]
	s_delay_alu instid0(VALU_DEP_2) | instskip(NEXT) | instid1(VALU_DEP_2)
	v_pk_add_f32 v[104:105], v[104:105], v[180:181] neg_lo:[0,1] neg_hi:[0,1]
	v_pk_fma_f32 v[178:179], v[176:177], v[170:171], v[174:175] op_sel:[0,0,1] op_sel_hi:[1,1,0] neg_lo:[0,0,1] neg_hi:[0,0,1]
	v_pk_fma_f32 v[174:175], v[176:177], v[170:171], v[174:175] op_sel:[0,0,1] op_sel_hi:[1,0,0]
	s_delay_alu instid0(VALU_DEP_1) | instskip(SKIP_4) | instid1(VALU_DEP_1)
	v_mov_b32_e32 v179, v175
	ds_load_2addr_b64 v[174:177], v208 offset0:28 offset1:29
	v_pk_add_f32 v[100:101], v[100:101], v[178:179] neg_lo:[0,1] neg_hi:[0,1]
	s_wait_dscnt 0x0
	v_pk_mul_f32 v[178:179], v[174:175], v[172:173] op_sel:[0,1]
	v_pk_fma_f32 v[180:181], v[174:175], v[170:171], v[178:179] op_sel:[0,0,1] op_sel_hi:[1,1,0] neg_lo:[0,0,1] neg_hi:[0,0,1]
	v_pk_fma_f32 v[174:175], v[174:175], v[170:171], v[178:179] op_sel:[0,0,1] op_sel_hi:[1,0,0]
	v_dual_mul_f32 v178, v177, v173 :: v_dual_mov_b32 v174, v177
	s_delay_alu instid0(VALU_DEP_2) | instskip(NEXT) | instid1(VALU_DEP_2)
	v_dual_mov_b32 v181, v175 :: v_dual_mov_b32 v175, v176
	v_pk_fma_f32 v[178:179], v[176:177], v[56:57], v[178:179] op_sel_hi:[1,1,0] neg_lo:[0,0,1] neg_hi:[0,0,1]
	v_mul_f32_e32 v176, v177, v170
	s_delay_alu instid0(VALU_DEP_3) | instskip(NEXT) | instid1(VALU_DEP_2)
	v_pk_add_f32 v[118:119], v[118:119], v[180:181] neg_lo:[0,1] neg_hi:[0,1]
	v_pk_fma_f32 v[174:175], v[174:175], v[56:57], v[176:177] op_sel_hi:[1,1,0]
	s_delay_alu instid0(VALU_DEP_1) | instskip(SKIP_4) | instid1(VALU_DEP_1)
	v_mov_b32_e32 v179, v175
	ds_load_2addr_b64 v[174:177], v208 offset0:30 offset1:31
	v_pk_add_f32 v[116:117], v[116:117], v[178:179] neg_lo:[0,1] neg_hi:[0,1]
	s_wait_dscnt 0x0
	v_pk_mul_f32 v[178:179], v[174:175], v[172:173] op_sel:[0,1]
	v_pk_fma_f32 v[180:181], v[174:175], v[170:171], v[178:179] op_sel:[0,0,1] op_sel_hi:[1,1,0] neg_lo:[0,0,1] neg_hi:[0,0,1]
	v_pk_fma_f32 v[174:175], v[174:175], v[170:171], v[178:179] op_sel:[0,0,1] op_sel_hi:[1,0,0]
	s_delay_alu instid0(VALU_DEP_1) | instskip(SKIP_1) | instid1(VALU_DEP_1)
	v_mov_b32_e32 v181, v175
	v_pk_mul_f32 v[174:175], v[176:177], v[172:173] op_sel:[0,1]
	v_pk_fma_f32 v[178:179], v[176:177], v[170:171], v[174:175] op_sel:[0,0,1] op_sel_hi:[1,1,0] neg_lo:[0,0,1] neg_hi:[0,0,1]
	v_pk_fma_f32 v[174:175], v[176:177], v[170:171], v[174:175] op_sel:[0,0,1] op_sel_hi:[1,0,0]
	s_delay_alu instid0(VALU_DEP_1)
	v_mov_b32_e32 v179, v175
	ds_load_2addr_b64 v[174:177], v208 offset0:32 offset1:33
	v_pk_add_f32 v[130:131], v[130:131], v[180:181] neg_lo:[0,1] neg_hi:[0,1]
	v_pk_add_f32 v[122:123], v[122:123], v[178:179] neg_lo:[0,1] neg_hi:[0,1]
	s_wait_dscnt 0x0
	v_pk_mul_f32 v[178:179], v[174:175], v[172:173] op_sel:[0,1]
	v_mul_f32_e32 v172, v177, v173
	s_delay_alu instid0(VALU_DEP_2) | instskip(SKIP_2) | instid1(VALU_DEP_4)
	v_pk_fma_f32 v[180:181], v[174:175], v[170:171], v[178:179] op_sel:[0,0,1] op_sel_hi:[1,1,0] neg_lo:[0,0,1] neg_hi:[0,0,1]
	v_pk_fma_f32 v[174:175], v[174:175], v[170:171], v[178:179] op_sel:[0,0,1] op_sel_hi:[1,0,0]
	v_dual_mov_b32 v174, v177 :: v_dual_mul_f32 v170, v177, v170
	v_pk_fma_f32 v[172:173], v[176:177], v[56:57], v[172:173] op_sel_hi:[1,1,0] neg_lo:[0,0,1] neg_hi:[0,0,1]
	s_delay_alu instid0(VALU_DEP_3) | instskip(NEXT) | instid1(VALU_DEP_1)
	v_dual_mov_b32 v181, v175 :: v_dual_mov_b32 v175, v176
	v_pk_add_f32 v[120:121], v[120:121], v[180:181] neg_lo:[0,1] neg_hi:[0,1]
	s_delay_alu instid0(VALU_DEP_2) | instskip(NEXT) | instid1(VALU_DEP_1)
	v_pk_fma_f32 v[170:171], v[174:175], v[56:57], v[170:171] op_sel_hi:[1,1,0]
	v_mov_b32_e32 v173, v171
	s_delay_alu instid0(VALU_DEP_1)
	v_pk_add_f32 v[134:135], v[134:135], v[172:173] neg_lo:[0,1] neg_hi:[0,1]
.LBB67_145:
	s_or_b32 exec_lo, exec_lo, s1
	s_delay_alu instid0(SALU_CYCLE_1)
	s_mov_b32 s2, exec_lo
	s_wait_dscnt 0x0
	s_barrier_signal -1
	s_barrier_wait -1
	v_cmpx_eq_u32_e32 16, v206
	s_cbranch_execz .LBB67_152
; %bb.146:
	ds_store_b64 v207, v[80:81]
	ds_store_2addr_b64 v208, v[76:77], v[78:79] offset0:17 offset1:18
	ds_store_2addr_b64 v208, v[114:115], v[128:129] offset0:19 offset1:20
	;; [unrolled: 1-line block ×8, first 2 shown]
	ds_store_b64 v208, v[134:135] offset:264
	ds_load_b64 v[170:171], v207
	s_wait_dscnt 0x0
	v_cmp_neq_f32_e32 vcc_lo, 0, v170
	v_cmp_neq_f32_e64 s1, 0, v171
	s_or_b32 s1, vcc_lo, s1
	s_delay_alu instid0(SALU_CYCLE_1)
	s_and_b32 exec_lo, exec_lo, s1
	s_cbranch_execz .LBB67_152
; %bb.147:
	v_cmp_ngt_f32_e64 s1, |v170|, |v171|
                                        ; implicit-def: $vgpr172_vgpr173
	s_and_saveexec_b32 s4, s1
	s_delay_alu instid0(SALU_CYCLE_1)
	s_xor_b32 s1, exec_lo, s4
	s_cbranch_execz .LBB67_149
; %bb.148:
	v_div_scale_f32 v172, null, v171, v171, v170
	v_div_scale_f32 v175, vcc_lo, v170, v171, v170
	s_delay_alu instid0(VALU_DEP_2) | instskip(SKIP_1) | instid1(TRANS32_DEP_1)
	v_rcp_f32_e32 v173, v172
	v_nop
	v_fma_f32 v174, -v172, v173, 1.0
	s_delay_alu instid0(VALU_DEP_1) | instskip(NEXT) | instid1(VALU_DEP_1)
	v_fmac_f32_e32 v173, v174, v173
	v_mul_f32_e32 v174, v175, v173
	s_delay_alu instid0(VALU_DEP_1) | instskip(NEXT) | instid1(VALU_DEP_1)
	v_fma_f32 v176, -v172, v174, v175
	v_fmac_f32_e32 v174, v176, v173
	s_delay_alu instid0(VALU_DEP_1) | instskip(NEXT) | instid1(VALU_DEP_1)
	v_fma_f32 v172, -v172, v174, v175
	v_div_fmas_f32 v172, v172, v173, v174
	s_delay_alu instid0(VALU_DEP_1) | instskip(NEXT) | instid1(VALU_DEP_1)
	v_div_fixup_f32 v172, v172, v171, v170
	v_fmac_f32_e32 v171, v170, v172
	s_delay_alu instid0(VALU_DEP_1) | instskip(SKIP_1) | instid1(VALU_DEP_2)
	v_div_scale_f32 v170, null, v171, v171, 1.0
	v_div_scale_f32 v175, vcc_lo, 1.0, v171, 1.0
	v_rcp_f32_e32 v173, v170
	v_nop
	s_delay_alu instid0(TRANS32_DEP_1) | instskip(NEXT) | instid1(VALU_DEP_1)
	v_fma_f32 v174, -v170, v173, 1.0
	v_fmac_f32_e32 v173, v174, v173
	s_delay_alu instid0(VALU_DEP_1) | instskip(NEXT) | instid1(VALU_DEP_1)
	v_mul_f32_e32 v174, v175, v173
	v_fma_f32 v176, -v170, v174, v175
	s_delay_alu instid0(VALU_DEP_1) | instskip(NEXT) | instid1(VALU_DEP_1)
	v_fmac_f32_e32 v174, v176, v173
	v_fma_f32 v170, -v170, v174, v175
	s_delay_alu instid0(VALU_DEP_1) | instskip(NEXT) | instid1(VALU_DEP_1)
	v_div_fmas_f32 v170, v170, v173, v174
	v_div_fixup_f32 v170, v170, v171, 1.0
	s_delay_alu instid0(VALU_DEP_1)
	v_mul_f32_e32 v172, v172, v170
	v_xor_b32_e32 v173, 0x80000000, v170
                                        ; implicit-def: $vgpr170_vgpr171
.LBB67_149:
	s_and_not1_saveexec_b32 s1, s1
	s_cbranch_execz .LBB67_151
; %bb.150:
	v_div_scale_f32 v172, null, v170, v170, v171
	v_div_scale_f32 v175, vcc_lo, v171, v170, v171
	s_delay_alu instid0(VALU_DEP_2) | instskip(SKIP_1) | instid1(TRANS32_DEP_1)
	v_rcp_f32_e32 v173, v172
	v_nop
	v_fma_f32 v174, -v172, v173, 1.0
	s_delay_alu instid0(VALU_DEP_1) | instskip(NEXT) | instid1(VALU_DEP_1)
	v_fmac_f32_e32 v173, v174, v173
	v_mul_f32_e32 v174, v175, v173
	s_delay_alu instid0(VALU_DEP_1) | instskip(NEXT) | instid1(VALU_DEP_1)
	v_fma_f32 v176, -v172, v174, v175
	v_fmac_f32_e32 v174, v176, v173
	s_delay_alu instid0(VALU_DEP_1) | instskip(NEXT) | instid1(VALU_DEP_1)
	v_fma_f32 v172, -v172, v174, v175
	v_div_fmas_f32 v172, v172, v173, v174
	s_delay_alu instid0(VALU_DEP_1) | instskip(NEXT) | instid1(VALU_DEP_1)
	v_div_fixup_f32 v173, v172, v170, v171
	v_fmac_f32_e32 v170, v171, v173
	s_delay_alu instid0(VALU_DEP_1) | instskip(NEXT) | instid1(VALU_DEP_1)
	v_div_scale_f32 v171, null, v170, v170, 1.0
	v_rcp_f32_e32 v172, v171
	v_nop
	s_delay_alu instid0(TRANS32_DEP_1) | instskip(NEXT) | instid1(VALU_DEP_1)
	v_fma_f32 v174, -v171, v172, 1.0
	v_fmac_f32_e32 v172, v174, v172
	v_div_scale_f32 v174, vcc_lo, 1.0, v170, 1.0
	s_delay_alu instid0(VALU_DEP_1) | instskip(NEXT) | instid1(VALU_DEP_1)
	v_mul_f32_e32 v175, v174, v172
	v_fma_f32 v176, -v171, v175, v174
	s_delay_alu instid0(VALU_DEP_1) | instskip(NEXT) | instid1(VALU_DEP_1)
	v_fmac_f32_e32 v175, v176, v172
	v_fma_f32 v171, -v171, v175, v174
	s_delay_alu instid0(VALU_DEP_1) | instskip(NEXT) | instid1(VALU_DEP_1)
	v_div_fmas_f32 v171, v171, v172, v175
	v_div_fixup_f32 v172, v171, v170, 1.0
	s_delay_alu instid0(VALU_DEP_1)
	v_mul_f32_e64 v173, v173, -v172
.LBB67_151:
	s_or_b32 exec_lo, exec_lo, s1
	ds_store_b64 v207, v[172:173]
.LBB67_152:
	s_or_b32 exec_lo, exec_lo, s2
	s_wait_dscnt 0x0
	s_barrier_signal -1
	s_barrier_wait -1
	ds_load_b64 v[170:171], v207
	s_mov_b32 s1, exec_lo
	v_cmpx_lt_u32_e32 16, v206
	s_cbranch_execz .LBB67_154
; %bb.153:
	ds_load_2addr_b64 v[176:179], v208 offset0:17 offset1:18
	s_wait_dscnt 0x1
	v_pk_mul_f32 v[174:175], v[170:171], v[80:81] op_sel:[1,1] op_sel_hi:[0,1]
	s_delay_alu instid0(VALU_DEP_1) | instskip(SKIP_1) | instid1(VALU_DEP_1)
	v_pk_fma_f32 v[172:173], v[170:171], v[80:81], v[174:175] op_sel_hi:[1,0,1] neg_lo:[0,0,1] neg_hi:[0,0,1]
	v_pk_fma_f32 v[174:175], v[170:171], v[80:81], v[174:175] op_sel_hi:[1,0,1]
	v_dual_mov_b32 v80, v172 :: v_dual_mov_b32 v81, v175
	s_wait_dscnt 0x0
	s_delay_alu instid0(VALU_DEP_2) | instskip(NEXT) | instid1(VALU_DEP_1)
	v_pk_mul_f32 v[180:181], v[176:177], v[174:175] op_sel:[0,1]
	v_pk_fma_f32 v[182:183], v[176:177], v[172:173], v[180:181] op_sel:[0,0,1] op_sel_hi:[1,1,0] neg_lo:[0,0,1] neg_hi:[0,0,1]
	v_pk_fma_f32 v[176:177], v[176:177], v[172:173], v[180:181] op_sel:[0,0,1] op_sel_hi:[1,0,0]
	s_delay_alu instid0(VALU_DEP_1) | instskip(SKIP_1) | instid1(VALU_DEP_1)
	v_mov_b32_e32 v183, v177
	v_pk_mul_f32 v[176:177], v[178:179], v[174:175] op_sel:[0,1]
	v_pk_fma_f32 v[180:181], v[178:179], v[172:173], v[176:177] op_sel:[0,0,1] op_sel_hi:[1,1,0] neg_lo:[0,0,1] neg_hi:[0,0,1]
	v_pk_fma_f32 v[176:177], v[178:179], v[172:173], v[176:177] op_sel:[0,0,1] op_sel_hi:[1,0,0]
	s_delay_alu instid0(VALU_DEP_1)
	v_mov_b32_e32 v181, v177
	ds_load_2addr_b64 v[176:179], v208 offset0:19 offset1:20
	v_pk_add_f32 v[76:77], v[76:77], v[182:183] neg_lo:[0,1] neg_hi:[0,1]
	v_pk_add_f32 v[78:79], v[78:79], v[180:181] neg_lo:[0,1] neg_hi:[0,1]
	s_wait_dscnt 0x0
	v_pk_mul_f32 v[180:181], v[176:177], v[174:175] op_sel:[0,1]
	s_delay_alu instid0(VALU_DEP_1) | instskip(SKIP_2) | instid1(VALU_DEP_2)
	v_pk_fma_f32 v[182:183], v[176:177], v[172:173], v[180:181] op_sel:[0,0,1] op_sel_hi:[1,1,0] neg_lo:[0,0,1] neg_hi:[0,0,1]
	v_pk_fma_f32 v[176:177], v[176:177], v[172:173], v[180:181] op_sel:[0,0,1] op_sel_hi:[1,0,0]
	v_dual_mul_f32 v180, v179, v175 :: v_dual_mov_b32 v176, v179
	v_dual_mov_b32 v183, v177 :: v_dual_mov_b32 v177, v178
	s_delay_alu instid0(VALU_DEP_2) | instskip(SKIP_1) | instid1(VALU_DEP_3)
	v_pk_fma_f32 v[180:181], v[178:179], v[80:81], v[180:181] op_sel_hi:[1,1,0] neg_lo:[0,0,1] neg_hi:[0,0,1]
	v_mul_f32_e32 v178, v179, v172
	v_pk_add_f32 v[114:115], v[114:115], v[182:183] neg_lo:[0,1] neg_hi:[0,1]
	s_delay_alu instid0(VALU_DEP_2) | instskip(NEXT) | instid1(VALU_DEP_1)
	v_pk_fma_f32 v[176:177], v[176:177], v[80:81], v[178:179] op_sel_hi:[1,1,0]
	v_mov_b32_e32 v181, v177
	ds_load_2addr_b64 v[176:179], v208 offset0:21 offset1:22
	v_pk_add_f32 v[128:129], v[128:129], v[180:181] neg_lo:[0,1] neg_hi:[0,1]
	s_wait_dscnt 0x0
	v_pk_mul_f32 v[180:181], v[176:177], v[174:175] op_sel:[0,1]
	s_delay_alu instid0(VALU_DEP_1) | instskip(SKIP_1) | instid1(VALU_DEP_1)
	v_pk_fma_f32 v[182:183], v[176:177], v[172:173], v[180:181] op_sel:[0,0,1] op_sel_hi:[1,1,0] neg_lo:[0,0,1] neg_hi:[0,0,1]
	v_pk_fma_f32 v[176:177], v[176:177], v[172:173], v[180:181] op_sel:[0,0,1] op_sel_hi:[1,0,0]
	v_mov_b32_e32 v183, v177
	v_pk_mul_f32 v[176:177], v[178:179], v[174:175] op_sel:[0,1]
	s_delay_alu instid0(VALU_DEP_1) | instskip(SKIP_1) | instid1(VALU_DEP_1)
	v_pk_fma_f32 v[180:181], v[178:179], v[172:173], v[176:177] op_sel:[0,0,1] op_sel_hi:[1,1,0] neg_lo:[0,0,1] neg_hi:[0,0,1]
	v_pk_fma_f32 v[176:177], v[178:179], v[172:173], v[176:177] op_sel:[0,0,1] op_sel_hi:[1,0,0]
	v_mov_b32_e32 v181, v177
	ds_load_2addr_b64 v[176:179], v208 offset0:23 offset1:24
	v_pk_add_f32 v[126:127], v[126:127], v[182:183] neg_lo:[0,1] neg_hi:[0,1]
	v_pk_add_f32 v[136:137], v[136:137], v[180:181] neg_lo:[0,1] neg_hi:[0,1]
	s_wait_dscnt 0x0
	v_pk_mul_f32 v[180:181], v[176:177], v[174:175] op_sel:[0,1]
	s_delay_alu instid0(VALU_DEP_1) | instskip(SKIP_1) | instid1(VALU_DEP_1)
	v_pk_fma_f32 v[182:183], v[176:177], v[172:173], v[180:181] op_sel:[0,0,1] op_sel_hi:[1,1,0] neg_lo:[0,0,1] neg_hi:[0,0,1]
	v_pk_fma_f32 v[176:177], v[176:177], v[172:173], v[180:181] op_sel:[0,0,1] op_sel_hi:[1,0,0]
	v_mov_b32_e32 v183, v177
	v_pk_mul_f32 v[176:177], v[178:179], v[174:175] op_sel:[0,1]
	s_delay_alu instid0(VALU_DEP_1) | instskip(SKIP_1) | instid1(VALU_DEP_1)
	v_pk_fma_f32 v[180:181], v[178:179], v[172:173], v[176:177] op_sel:[0,0,1] op_sel_hi:[1,1,0] neg_lo:[0,0,1] neg_hi:[0,0,1]
	v_pk_fma_f32 v[176:177], v[178:179], v[172:173], v[176:177] op_sel:[0,0,1] op_sel_hi:[1,0,0]
	v_mov_b32_e32 v181, v177
	ds_load_2addr_b64 v[176:179], v208 offset0:25 offset1:26
	v_pk_add_f32 v[124:125], v[124:125], v[182:183] neg_lo:[0,1] neg_hi:[0,1]
	v_pk_add_f32 v[132:133], v[132:133], v[180:181] neg_lo:[0,1] neg_hi:[0,1]
	s_wait_dscnt 0x0
	v_dual_mul_f32 v180, v177, v175 :: v_dual_mul_f32 v182, v177, v172
	s_delay_alu instid0(VALU_DEP_1) | instskip(NEXT) | instid1(VALU_DEP_2)
	v_pk_fma_f32 v[180:181], v[176:177], v[80:81], v[180:181] op_sel_hi:[1,1,0] neg_lo:[0,0,1] neg_hi:[0,0,1]
	v_pk_fma_f32 v[176:177], v[176:177], v[80:81], v[182:183] op_sel:[1,0,0] op_sel_hi:[0,1,0]
	s_delay_alu instid0(VALU_DEP_1) | instskip(SKIP_1) | instid1(VALU_DEP_2)
	v_mov_b32_e32 v181, v177
	v_pk_mul_f32 v[176:177], v[178:179], v[174:175] op_sel:[0,1]
	v_pk_add_f32 v[102:103], v[102:103], v[180:181] neg_lo:[0,1] neg_hi:[0,1]
	s_delay_alu instid0(VALU_DEP_2) | instskip(SKIP_1) | instid1(VALU_DEP_1)
	v_pk_fma_f32 v[180:181], v[178:179], v[172:173], v[176:177] op_sel:[0,0,1] op_sel_hi:[1,1,0] neg_lo:[0,0,1] neg_hi:[0,0,1]
	v_pk_fma_f32 v[176:177], v[178:179], v[172:173], v[176:177] op_sel:[0,0,1] op_sel_hi:[1,0,0]
	v_mov_b32_e32 v181, v177
	ds_load_2addr_b64 v[176:179], v208 offset0:27 offset1:28
	v_pk_add_f32 v[104:105], v[104:105], v[180:181] neg_lo:[0,1] neg_hi:[0,1]
	s_wait_dscnt 0x0
	v_pk_mul_f32 v[180:181], v[176:177], v[174:175] op_sel:[0,1]
	s_delay_alu instid0(VALU_DEP_1) | instskip(SKIP_1) | instid1(VALU_DEP_1)
	v_pk_fma_f32 v[182:183], v[176:177], v[172:173], v[180:181] op_sel:[0,0,1] op_sel_hi:[1,1,0] neg_lo:[0,0,1] neg_hi:[0,0,1]
	v_pk_fma_f32 v[176:177], v[176:177], v[172:173], v[180:181] op_sel:[0,0,1] op_sel_hi:[1,0,0]
	v_mov_b32_e32 v183, v177
	v_pk_mul_f32 v[176:177], v[178:179], v[174:175] op_sel:[0,1]
	s_delay_alu instid0(VALU_DEP_2) | instskip(NEXT) | instid1(VALU_DEP_2)
	v_pk_add_f32 v[100:101], v[100:101], v[182:183] neg_lo:[0,1] neg_hi:[0,1]
	v_pk_fma_f32 v[180:181], v[178:179], v[172:173], v[176:177] op_sel:[0,0,1] op_sel_hi:[1,1,0] neg_lo:[0,0,1] neg_hi:[0,0,1]
	v_pk_fma_f32 v[176:177], v[178:179], v[172:173], v[176:177] op_sel:[0,0,1] op_sel_hi:[1,0,0]
	s_delay_alu instid0(VALU_DEP_1) | instskip(SKIP_4) | instid1(VALU_DEP_1)
	v_mov_b32_e32 v181, v177
	ds_load_2addr_b64 v[176:179], v208 offset0:29 offset1:30
	v_pk_add_f32 v[118:119], v[118:119], v[180:181] neg_lo:[0,1] neg_hi:[0,1]
	s_wait_dscnt 0x0
	v_pk_mul_f32 v[180:181], v[176:177], v[174:175] op_sel:[0,1]
	v_pk_fma_f32 v[182:183], v[176:177], v[172:173], v[180:181] op_sel:[0,0,1] op_sel_hi:[1,1,0] neg_lo:[0,0,1] neg_hi:[0,0,1]
	v_pk_fma_f32 v[176:177], v[176:177], v[172:173], v[180:181] op_sel:[0,0,1] op_sel_hi:[1,0,0]
	v_dual_mul_f32 v180, v179, v175 :: v_dual_mov_b32 v176, v179
	s_delay_alu instid0(VALU_DEP_2) | instskip(NEXT) | instid1(VALU_DEP_2)
	v_dual_mov_b32 v183, v177 :: v_dual_mov_b32 v177, v178
	v_pk_fma_f32 v[180:181], v[178:179], v[80:81], v[180:181] op_sel_hi:[1,1,0] neg_lo:[0,0,1] neg_hi:[0,0,1]
	v_mul_f32_e32 v178, v179, v172
	s_delay_alu instid0(VALU_DEP_3) | instskip(NEXT) | instid1(VALU_DEP_2)
	v_pk_add_f32 v[116:117], v[116:117], v[182:183] neg_lo:[0,1] neg_hi:[0,1]
	v_pk_fma_f32 v[176:177], v[176:177], v[80:81], v[178:179] op_sel_hi:[1,1,0]
	s_delay_alu instid0(VALU_DEP_1) | instskip(SKIP_4) | instid1(VALU_DEP_1)
	v_mov_b32_e32 v181, v177
	ds_load_2addr_b64 v[176:179], v208 offset0:31 offset1:32
	v_pk_add_f32 v[130:131], v[130:131], v[180:181] neg_lo:[0,1] neg_hi:[0,1]
	s_wait_dscnt 0x0
	v_pk_mul_f32 v[180:181], v[176:177], v[174:175] op_sel:[0,1]
	v_pk_fma_f32 v[182:183], v[176:177], v[172:173], v[180:181] op_sel:[0,0,1] op_sel_hi:[1,1,0] neg_lo:[0,0,1] neg_hi:[0,0,1]
	v_pk_fma_f32 v[176:177], v[176:177], v[172:173], v[180:181] op_sel:[0,0,1] op_sel_hi:[1,0,0]
	s_delay_alu instid0(VALU_DEP_1) | instskip(SKIP_1) | instid1(VALU_DEP_1)
	v_mov_b32_e32 v183, v177
	v_pk_mul_f32 v[176:177], v[178:179], v[174:175] op_sel:[0,1]
	v_pk_fma_f32 v[180:181], v[178:179], v[172:173], v[176:177] op_sel:[0,0,1] op_sel_hi:[1,1,0] neg_lo:[0,0,1] neg_hi:[0,0,1]
	v_pk_fma_f32 v[176:177], v[178:179], v[172:173], v[176:177] op_sel:[0,0,1] op_sel_hi:[1,0,0]
	s_delay_alu instid0(VALU_DEP_1)
	v_mov_b32_e32 v181, v177
	ds_load_b64 v[176:177], v208 offset:264
	v_pk_add_f32 v[122:123], v[122:123], v[182:183] neg_lo:[0,1] neg_hi:[0,1]
	v_pk_add_f32 v[120:121], v[120:121], v[180:181] neg_lo:[0,1] neg_hi:[0,1]
	s_wait_dscnt 0x0
	v_pk_mul_f32 v[174:175], v[176:177], v[174:175] op_sel:[0,1]
	s_delay_alu instid0(VALU_DEP_1) | instskip(SKIP_1) | instid1(VALU_DEP_1)
	v_pk_fma_f32 v[178:179], v[176:177], v[172:173], v[174:175] op_sel:[0,0,1] op_sel_hi:[1,1,0] neg_lo:[0,0,1] neg_hi:[0,0,1]
	v_pk_fma_f32 v[172:173], v[176:177], v[172:173], v[174:175] op_sel:[0,0,1] op_sel_hi:[1,0,0]
	v_mov_b32_e32 v179, v173
	s_delay_alu instid0(VALU_DEP_1)
	v_pk_add_f32 v[134:135], v[134:135], v[178:179] neg_lo:[0,1] neg_hi:[0,1]
.LBB67_154:
	s_or_b32 exec_lo, exec_lo, s1
	s_delay_alu instid0(SALU_CYCLE_1)
	s_mov_b32 s2, exec_lo
	s_wait_dscnt 0x0
	s_barrier_signal -1
	s_barrier_wait -1
	v_cmpx_eq_u32_e32 17, v206
	s_cbranch_execz .LBB67_161
; %bb.155:
	v_dual_mov_b32 v172, v78 :: v_dual_mov_b32 v173, v79
	v_dual_mov_b32 v174, v114 :: v_dual_mov_b32 v175, v115
	ds_store_b64 v207, v[76:77]
	ds_store_2addr_b64 v208, v[172:173], v[174:175] offset0:18 offset1:19
	v_dual_mov_b32 v172, v128 :: v_dual_mov_b32 v173, v129
	v_dual_mov_b32 v174, v126 :: v_dual_mov_b32 v175, v127
	ds_store_2addr_b64 v208, v[172:173], v[174:175] offset0:20 offset1:21
	v_dual_mov_b32 v172, v136 :: v_dual_mov_b32 v173, v137
	v_dual_mov_b32 v174, v124 :: v_dual_mov_b32 v175, v125
	;; [unrolled: 3-line block ×6, first 2 shown]
	ds_store_2addr_b64 v208, v[172:173], v[174:175] offset0:30 offset1:31
	v_dual_mov_b32 v172, v120 :: v_dual_mov_b32 v173, v121
	ds_store_2addr_b64 v208, v[172:173], v[134:135] offset0:32 offset1:33
	ds_load_b64 v[172:173], v207
	s_wait_dscnt 0x0
	v_cmp_neq_f32_e32 vcc_lo, 0, v172
	v_cmp_neq_f32_e64 s1, 0, v173
	s_or_b32 s1, vcc_lo, s1
	s_delay_alu instid0(SALU_CYCLE_1)
	s_and_b32 exec_lo, exec_lo, s1
	s_cbranch_execz .LBB67_161
; %bb.156:
	v_cmp_ngt_f32_e64 s1, |v172|, |v173|
                                        ; implicit-def: $vgpr174_vgpr175
	s_and_saveexec_b32 s4, s1
	s_delay_alu instid0(SALU_CYCLE_1)
	s_xor_b32 s1, exec_lo, s4
	s_cbranch_execz .LBB67_158
; %bb.157:
	v_div_scale_f32 v174, null, v173, v173, v172
	v_div_scale_f32 v177, vcc_lo, v172, v173, v172
	s_delay_alu instid0(VALU_DEP_2) | instskip(SKIP_1) | instid1(TRANS32_DEP_1)
	v_rcp_f32_e32 v175, v174
	v_nop
	v_fma_f32 v176, -v174, v175, 1.0
	s_delay_alu instid0(VALU_DEP_1) | instskip(NEXT) | instid1(VALU_DEP_1)
	v_fmac_f32_e32 v175, v176, v175
	v_mul_f32_e32 v176, v177, v175
	s_delay_alu instid0(VALU_DEP_1) | instskip(NEXT) | instid1(VALU_DEP_1)
	v_fma_f32 v178, -v174, v176, v177
	v_fmac_f32_e32 v176, v178, v175
	s_delay_alu instid0(VALU_DEP_1) | instskip(NEXT) | instid1(VALU_DEP_1)
	v_fma_f32 v174, -v174, v176, v177
	v_div_fmas_f32 v174, v174, v175, v176
	s_delay_alu instid0(VALU_DEP_1) | instskip(NEXT) | instid1(VALU_DEP_1)
	v_div_fixup_f32 v174, v174, v173, v172
	v_fmac_f32_e32 v173, v172, v174
	s_delay_alu instid0(VALU_DEP_1) | instskip(SKIP_1) | instid1(VALU_DEP_2)
	v_div_scale_f32 v172, null, v173, v173, 1.0
	v_div_scale_f32 v177, vcc_lo, 1.0, v173, 1.0
	v_rcp_f32_e32 v175, v172
	v_nop
	s_delay_alu instid0(TRANS32_DEP_1) | instskip(NEXT) | instid1(VALU_DEP_1)
	v_fma_f32 v176, -v172, v175, 1.0
	v_fmac_f32_e32 v175, v176, v175
	s_delay_alu instid0(VALU_DEP_1) | instskip(NEXT) | instid1(VALU_DEP_1)
	v_mul_f32_e32 v176, v177, v175
	v_fma_f32 v178, -v172, v176, v177
	s_delay_alu instid0(VALU_DEP_1) | instskip(NEXT) | instid1(VALU_DEP_1)
	v_fmac_f32_e32 v176, v178, v175
	v_fma_f32 v172, -v172, v176, v177
	s_delay_alu instid0(VALU_DEP_1) | instskip(NEXT) | instid1(VALU_DEP_1)
	v_div_fmas_f32 v172, v172, v175, v176
	v_div_fixup_f32 v172, v172, v173, 1.0
	s_delay_alu instid0(VALU_DEP_1)
	v_mul_f32_e32 v174, v174, v172
	v_xor_b32_e32 v175, 0x80000000, v172
                                        ; implicit-def: $vgpr172_vgpr173
.LBB67_158:
	s_and_not1_saveexec_b32 s1, s1
	s_cbranch_execz .LBB67_160
; %bb.159:
	v_div_scale_f32 v174, null, v172, v172, v173
	v_div_scale_f32 v177, vcc_lo, v173, v172, v173
	s_delay_alu instid0(VALU_DEP_2) | instskip(SKIP_1) | instid1(TRANS32_DEP_1)
	v_rcp_f32_e32 v175, v174
	v_nop
	v_fma_f32 v176, -v174, v175, 1.0
	s_delay_alu instid0(VALU_DEP_1) | instskip(NEXT) | instid1(VALU_DEP_1)
	v_fmac_f32_e32 v175, v176, v175
	v_mul_f32_e32 v176, v177, v175
	s_delay_alu instid0(VALU_DEP_1) | instskip(NEXT) | instid1(VALU_DEP_1)
	v_fma_f32 v178, -v174, v176, v177
	v_fmac_f32_e32 v176, v178, v175
	s_delay_alu instid0(VALU_DEP_1) | instskip(NEXT) | instid1(VALU_DEP_1)
	v_fma_f32 v174, -v174, v176, v177
	v_div_fmas_f32 v174, v174, v175, v176
	s_delay_alu instid0(VALU_DEP_1) | instskip(NEXT) | instid1(VALU_DEP_1)
	v_div_fixup_f32 v175, v174, v172, v173
	v_fmac_f32_e32 v172, v173, v175
	s_delay_alu instid0(VALU_DEP_1) | instskip(NEXT) | instid1(VALU_DEP_1)
	v_div_scale_f32 v173, null, v172, v172, 1.0
	v_rcp_f32_e32 v174, v173
	v_nop
	s_delay_alu instid0(TRANS32_DEP_1) | instskip(NEXT) | instid1(VALU_DEP_1)
	v_fma_f32 v176, -v173, v174, 1.0
	v_fmac_f32_e32 v174, v176, v174
	v_div_scale_f32 v176, vcc_lo, 1.0, v172, 1.0
	s_delay_alu instid0(VALU_DEP_1) | instskip(NEXT) | instid1(VALU_DEP_1)
	v_mul_f32_e32 v177, v176, v174
	v_fma_f32 v178, -v173, v177, v176
	s_delay_alu instid0(VALU_DEP_1) | instskip(NEXT) | instid1(VALU_DEP_1)
	v_fmac_f32_e32 v177, v178, v174
	v_fma_f32 v173, -v173, v177, v176
	s_delay_alu instid0(VALU_DEP_1) | instskip(NEXT) | instid1(VALU_DEP_1)
	v_div_fmas_f32 v173, v173, v174, v177
	v_div_fixup_f32 v174, v173, v172, 1.0
	s_delay_alu instid0(VALU_DEP_1)
	v_mul_f32_e64 v175, v175, -v174
.LBB67_160:
	s_or_b32 exec_lo, exec_lo, s1
	ds_store_b64 v207, v[174:175]
.LBB67_161:
	s_or_b32 exec_lo, exec_lo, s2
	s_wait_dscnt 0x0
	s_barrier_signal -1
	s_barrier_wait -1
	ds_load_b64 v[172:173], v207
	s_mov_b32 s1, exec_lo
	v_cmpx_lt_u32_e32 17, v206
	s_cbranch_execz .LBB67_163
; %bb.162:
	ds_load_2addr_b64 v[178:181], v208 offset0:18 offset1:19
	s_wait_dscnt 0x1
	v_pk_mul_f32 v[176:177], v[172:173], v[76:77] op_sel:[1,1] op_sel_hi:[0,1]
	s_delay_alu instid0(VALU_DEP_1) | instskip(SKIP_1) | instid1(VALU_DEP_1)
	v_pk_fma_f32 v[174:175], v[172:173], v[76:77], v[176:177] op_sel_hi:[1,0,1] neg_lo:[0,0,1] neg_hi:[0,0,1]
	v_pk_fma_f32 v[176:177], v[172:173], v[76:77], v[176:177] op_sel_hi:[1,0,1]
	v_dual_mov_b32 v76, v174 :: v_dual_mov_b32 v77, v177
	s_wait_dscnt 0x0
	s_delay_alu instid0(VALU_DEP_2) | instskip(NEXT) | instid1(VALU_DEP_1)
	v_pk_mul_f32 v[182:183], v[178:179], v[176:177] op_sel:[0,1]
	v_pk_fma_f32 v[184:185], v[178:179], v[174:175], v[182:183] op_sel:[0,0,1] op_sel_hi:[1,1,0] neg_lo:[0,0,1] neg_hi:[0,0,1]
	v_pk_fma_f32 v[178:179], v[178:179], v[174:175], v[182:183] op_sel:[0,0,1] op_sel_hi:[1,0,0]
	s_delay_alu instid0(VALU_DEP_1) | instskip(SKIP_1) | instid1(VALU_DEP_1)
	v_mov_b32_e32 v185, v179
	v_pk_mul_f32 v[178:179], v[180:181], v[176:177] op_sel:[0,1]
	v_pk_fma_f32 v[182:183], v[180:181], v[174:175], v[178:179] op_sel:[0,0,1] op_sel_hi:[1,1,0] neg_lo:[0,0,1] neg_hi:[0,0,1]
	v_pk_fma_f32 v[178:179], v[180:181], v[174:175], v[178:179] op_sel:[0,0,1] op_sel_hi:[1,0,0]
	s_delay_alu instid0(VALU_DEP_1)
	v_mov_b32_e32 v183, v179
	ds_load_2addr_b64 v[178:181], v208 offset0:20 offset1:21
	v_pk_add_f32 v[78:79], v[78:79], v[184:185] neg_lo:[0,1] neg_hi:[0,1]
	v_pk_add_f32 v[114:115], v[114:115], v[182:183] neg_lo:[0,1] neg_hi:[0,1]
	s_wait_dscnt 0x0
	v_pk_mul_f32 v[182:183], v[178:179], v[176:177] op_sel:[0,1]
	s_delay_alu instid0(VALU_DEP_1) | instskip(SKIP_2) | instid1(VALU_DEP_2)
	v_pk_fma_f32 v[184:185], v[178:179], v[174:175], v[182:183] op_sel:[0,0,1] op_sel_hi:[1,1,0] neg_lo:[0,0,1] neg_hi:[0,0,1]
	v_pk_fma_f32 v[178:179], v[178:179], v[174:175], v[182:183] op_sel:[0,0,1] op_sel_hi:[1,0,0]
	v_dual_mul_f32 v182, v181, v177 :: v_dual_mov_b32 v178, v181
	v_dual_mov_b32 v185, v179 :: v_dual_mov_b32 v179, v180
	s_delay_alu instid0(VALU_DEP_2) | instskip(SKIP_1) | instid1(VALU_DEP_3)
	v_pk_fma_f32 v[182:183], v[180:181], v[76:77], v[182:183] op_sel_hi:[1,1,0] neg_lo:[0,0,1] neg_hi:[0,0,1]
	v_mul_f32_e32 v180, v181, v174
	v_pk_add_f32 v[128:129], v[128:129], v[184:185] neg_lo:[0,1] neg_hi:[0,1]
	s_delay_alu instid0(VALU_DEP_2) | instskip(NEXT) | instid1(VALU_DEP_1)
	v_pk_fma_f32 v[178:179], v[178:179], v[76:77], v[180:181] op_sel_hi:[1,1,0]
	v_mov_b32_e32 v183, v179
	ds_load_2addr_b64 v[178:181], v208 offset0:22 offset1:23
	v_pk_add_f32 v[126:127], v[126:127], v[182:183] neg_lo:[0,1] neg_hi:[0,1]
	s_wait_dscnt 0x0
	v_pk_mul_f32 v[182:183], v[178:179], v[176:177] op_sel:[0,1]
	s_delay_alu instid0(VALU_DEP_1) | instskip(SKIP_1) | instid1(VALU_DEP_1)
	v_pk_fma_f32 v[184:185], v[178:179], v[174:175], v[182:183] op_sel:[0,0,1] op_sel_hi:[1,1,0] neg_lo:[0,0,1] neg_hi:[0,0,1]
	v_pk_fma_f32 v[178:179], v[178:179], v[174:175], v[182:183] op_sel:[0,0,1] op_sel_hi:[1,0,0]
	v_mov_b32_e32 v185, v179
	v_pk_mul_f32 v[178:179], v[180:181], v[176:177] op_sel:[0,1]
	s_delay_alu instid0(VALU_DEP_1) | instskip(SKIP_1) | instid1(VALU_DEP_1)
	v_pk_fma_f32 v[182:183], v[180:181], v[174:175], v[178:179] op_sel:[0,0,1] op_sel_hi:[1,1,0] neg_lo:[0,0,1] neg_hi:[0,0,1]
	v_pk_fma_f32 v[178:179], v[180:181], v[174:175], v[178:179] op_sel:[0,0,1] op_sel_hi:[1,0,0]
	v_mov_b32_e32 v183, v179
	ds_load_2addr_b64 v[178:181], v208 offset0:24 offset1:25
	v_pk_add_f32 v[136:137], v[136:137], v[184:185] neg_lo:[0,1] neg_hi:[0,1]
	v_pk_add_f32 v[124:125], v[124:125], v[182:183] neg_lo:[0,1] neg_hi:[0,1]
	s_wait_dscnt 0x0
	v_pk_mul_f32 v[182:183], v[178:179], v[176:177] op_sel:[0,1]
	s_delay_alu instid0(VALU_DEP_1) | instskip(SKIP_1) | instid1(VALU_DEP_1)
	v_pk_fma_f32 v[184:185], v[178:179], v[174:175], v[182:183] op_sel:[0,0,1] op_sel_hi:[1,1,0] neg_lo:[0,0,1] neg_hi:[0,0,1]
	v_pk_fma_f32 v[178:179], v[178:179], v[174:175], v[182:183] op_sel:[0,0,1] op_sel_hi:[1,0,0]
	v_mov_b32_e32 v185, v179
	v_pk_mul_f32 v[178:179], v[180:181], v[176:177] op_sel:[0,1]
	s_delay_alu instid0(VALU_DEP_1) | instskip(SKIP_1) | instid1(VALU_DEP_1)
	v_pk_fma_f32 v[182:183], v[180:181], v[174:175], v[178:179] op_sel:[0,0,1] op_sel_hi:[1,1,0] neg_lo:[0,0,1] neg_hi:[0,0,1]
	v_pk_fma_f32 v[178:179], v[180:181], v[174:175], v[178:179] op_sel:[0,0,1] op_sel_hi:[1,0,0]
	v_mov_b32_e32 v183, v179
	ds_load_2addr_b64 v[178:181], v208 offset0:26 offset1:27
	v_pk_add_f32 v[132:133], v[132:133], v[184:185] neg_lo:[0,1] neg_hi:[0,1]
	v_pk_add_f32 v[102:103], v[102:103], v[182:183] neg_lo:[0,1] neg_hi:[0,1]
	s_wait_dscnt 0x0
	v_dual_mul_f32 v182, v179, v177 :: v_dual_mul_f32 v184, v179, v174
	s_delay_alu instid0(VALU_DEP_1) | instskip(NEXT) | instid1(VALU_DEP_2)
	v_pk_fma_f32 v[182:183], v[178:179], v[76:77], v[182:183] op_sel_hi:[1,1,0] neg_lo:[0,0,1] neg_hi:[0,0,1]
	v_pk_fma_f32 v[178:179], v[178:179], v[76:77], v[184:185] op_sel:[1,0,0] op_sel_hi:[0,1,0]
	s_delay_alu instid0(VALU_DEP_1) | instskip(SKIP_1) | instid1(VALU_DEP_2)
	v_mov_b32_e32 v183, v179
	v_pk_mul_f32 v[178:179], v[180:181], v[176:177] op_sel:[0,1]
	v_pk_add_f32 v[104:105], v[104:105], v[182:183] neg_lo:[0,1] neg_hi:[0,1]
	s_delay_alu instid0(VALU_DEP_2) | instskip(SKIP_1) | instid1(VALU_DEP_1)
	v_pk_fma_f32 v[182:183], v[180:181], v[174:175], v[178:179] op_sel:[0,0,1] op_sel_hi:[1,1,0] neg_lo:[0,0,1] neg_hi:[0,0,1]
	v_pk_fma_f32 v[178:179], v[180:181], v[174:175], v[178:179] op_sel:[0,0,1] op_sel_hi:[1,0,0]
	v_mov_b32_e32 v183, v179
	ds_load_2addr_b64 v[178:181], v208 offset0:28 offset1:29
	v_pk_add_f32 v[100:101], v[100:101], v[182:183] neg_lo:[0,1] neg_hi:[0,1]
	s_wait_dscnt 0x0
	v_pk_mul_f32 v[182:183], v[178:179], v[176:177] op_sel:[0,1]
	s_delay_alu instid0(VALU_DEP_1) | instskip(SKIP_1) | instid1(VALU_DEP_1)
	v_pk_fma_f32 v[184:185], v[178:179], v[174:175], v[182:183] op_sel:[0,0,1] op_sel_hi:[1,1,0] neg_lo:[0,0,1] neg_hi:[0,0,1]
	v_pk_fma_f32 v[178:179], v[178:179], v[174:175], v[182:183] op_sel:[0,0,1] op_sel_hi:[1,0,0]
	v_mov_b32_e32 v185, v179
	v_pk_mul_f32 v[178:179], v[180:181], v[176:177] op_sel:[0,1]
	s_delay_alu instid0(VALU_DEP_2) | instskip(NEXT) | instid1(VALU_DEP_2)
	v_pk_add_f32 v[118:119], v[118:119], v[184:185] neg_lo:[0,1] neg_hi:[0,1]
	v_pk_fma_f32 v[182:183], v[180:181], v[174:175], v[178:179] op_sel:[0,0,1] op_sel_hi:[1,1,0] neg_lo:[0,0,1] neg_hi:[0,0,1]
	v_pk_fma_f32 v[178:179], v[180:181], v[174:175], v[178:179] op_sel:[0,0,1] op_sel_hi:[1,0,0]
	s_delay_alu instid0(VALU_DEP_1) | instskip(SKIP_4) | instid1(VALU_DEP_1)
	v_mov_b32_e32 v183, v179
	ds_load_2addr_b64 v[178:181], v208 offset0:30 offset1:31
	v_pk_add_f32 v[116:117], v[116:117], v[182:183] neg_lo:[0,1] neg_hi:[0,1]
	s_wait_dscnt 0x0
	v_pk_mul_f32 v[182:183], v[178:179], v[176:177] op_sel:[0,1]
	v_pk_fma_f32 v[184:185], v[178:179], v[174:175], v[182:183] op_sel:[0,0,1] op_sel_hi:[1,1,0] neg_lo:[0,0,1] neg_hi:[0,0,1]
	v_pk_fma_f32 v[178:179], v[178:179], v[174:175], v[182:183] op_sel:[0,0,1] op_sel_hi:[1,0,0]
	v_dual_mul_f32 v182, v181, v177 :: v_dual_mov_b32 v178, v181
	s_delay_alu instid0(VALU_DEP_2) | instskip(NEXT) | instid1(VALU_DEP_2)
	v_dual_mov_b32 v185, v179 :: v_dual_mov_b32 v179, v180
	v_pk_fma_f32 v[182:183], v[180:181], v[76:77], v[182:183] op_sel_hi:[1,1,0] neg_lo:[0,0,1] neg_hi:[0,0,1]
	v_mul_f32_e32 v180, v181, v174
	s_delay_alu instid0(VALU_DEP_3) | instskip(NEXT) | instid1(VALU_DEP_2)
	v_pk_add_f32 v[130:131], v[130:131], v[184:185] neg_lo:[0,1] neg_hi:[0,1]
	v_pk_fma_f32 v[178:179], v[178:179], v[76:77], v[180:181] op_sel_hi:[1,1,0]
	s_delay_alu instid0(VALU_DEP_1)
	v_mov_b32_e32 v183, v179
	ds_load_2addr_b64 v[178:181], v208 offset0:32 offset1:33
	v_pk_add_f32 v[122:123], v[122:123], v[182:183] neg_lo:[0,1] neg_hi:[0,1]
	s_wait_dscnt 0x0
	v_pk_mul_f32 v[182:183], v[178:179], v[176:177] op_sel:[0,1]
	v_pk_mul_f32 v[176:177], v[180:181], v[176:177] op_sel:[0,1]
	s_delay_alu instid0(VALU_DEP_2) | instskip(SKIP_1) | instid1(VALU_DEP_1)
	v_pk_fma_f32 v[184:185], v[178:179], v[174:175], v[182:183] op_sel:[0,0,1] op_sel_hi:[1,1,0] neg_lo:[0,0,1] neg_hi:[0,0,1]
	v_pk_fma_f32 v[178:179], v[178:179], v[174:175], v[182:183] op_sel:[0,0,1] op_sel_hi:[1,0,0]
	v_mov_b32_e32 v185, v179
	s_delay_alu instid0(VALU_DEP_4) | instskip(SKIP_1) | instid1(VALU_DEP_1)
	v_pk_fma_f32 v[178:179], v[180:181], v[174:175], v[176:177] op_sel:[0,0,1] op_sel_hi:[1,1,0] neg_lo:[0,0,1] neg_hi:[0,0,1]
	v_pk_fma_f32 v[174:175], v[180:181], v[174:175], v[176:177] op_sel:[0,0,1] op_sel_hi:[1,0,0]
	v_mov_b32_e32 v179, v175
	s_delay_alu instid0(VALU_DEP_4) | instskip(NEXT) | instid1(VALU_DEP_2)
	v_pk_add_f32 v[120:121], v[120:121], v[184:185] neg_lo:[0,1] neg_hi:[0,1]
	v_pk_add_f32 v[134:135], v[134:135], v[178:179] neg_lo:[0,1] neg_hi:[0,1]
.LBB67_163:
	s_or_b32 exec_lo, exec_lo, s1
	s_delay_alu instid0(SALU_CYCLE_1)
	s_mov_b32 s2, exec_lo
	s_wait_dscnt 0x0
	s_barrier_signal -1
	s_barrier_wait -1
	v_cmpx_eq_u32_e32 18, v206
	s_cbranch_execz .LBB67_170
; %bb.164:
	ds_store_b64 v207, v[78:79]
	ds_store_2addr_b64 v208, v[114:115], v[128:129] offset0:19 offset1:20
	ds_store_2addr_b64 v208, v[126:127], v[136:137] offset0:21 offset1:22
	;; [unrolled: 1-line block ×7, first 2 shown]
	ds_store_b64 v208, v[134:135] offset:264
	ds_load_b64 v[174:175], v207
	s_wait_dscnt 0x0
	v_cmp_neq_f32_e32 vcc_lo, 0, v174
	v_cmp_neq_f32_e64 s1, 0, v175
	s_or_b32 s1, vcc_lo, s1
	s_delay_alu instid0(SALU_CYCLE_1)
	s_and_b32 exec_lo, exec_lo, s1
	s_cbranch_execz .LBB67_170
; %bb.165:
	v_cmp_ngt_f32_e64 s1, |v174|, |v175|
                                        ; implicit-def: $vgpr176_vgpr177
	s_and_saveexec_b32 s4, s1
	s_delay_alu instid0(SALU_CYCLE_1)
	s_xor_b32 s1, exec_lo, s4
	s_cbranch_execz .LBB67_167
; %bb.166:
	v_div_scale_f32 v176, null, v175, v175, v174
	v_div_scale_f32 v179, vcc_lo, v174, v175, v174
	s_delay_alu instid0(VALU_DEP_2) | instskip(SKIP_1) | instid1(TRANS32_DEP_1)
	v_rcp_f32_e32 v177, v176
	v_nop
	v_fma_f32 v178, -v176, v177, 1.0
	s_delay_alu instid0(VALU_DEP_1) | instskip(NEXT) | instid1(VALU_DEP_1)
	v_fmac_f32_e32 v177, v178, v177
	v_mul_f32_e32 v178, v179, v177
	s_delay_alu instid0(VALU_DEP_1) | instskip(NEXT) | instid1(VALU_DEP_1)
	v_fma_f32 v180, -v176, v178, v179
	v_fmac_f32_e32 v178, v180, v177
	s_delay_alu instid0(VALU_DEP_1) | instskip(NEXT) | instid1(VALU_DEP_1)
	v_fma_f32 v176, -v176, v178, v179
	v_div_fmas_f32 v176, v176, v177, v178
	s_delay_alu instid0(VALU_DEP_1) | instskip(NEXT) | instid1(VALU_DEP_1)
	v_div_fixup_f32 v176, v176, v175, v174
	v_fmac_f32_e32 v175, v174, v176
	s_delay_alu instid0(VALU_DEP_1) | instskip(SKIP_1) | instid1(VALU_DEP_2)
	v_div_scale_f32 v174, null, v175, v175, 1.0
	v_div_scale_f32 v179, vcc_lo, 1.0, v175, 1.0
	v_rcp_f32_e32 v177, v174
	v_nop
	s_delay_alu instid0(TRANS32_DEP_1) | instskip(NEXT) | instid1(VALU_DEP_1)
	v_fma_f32 v178, -v174, v177, 1.0
	v_fmac_f32_e32 v177, v178, v177
	s_delay_alu instid0(VALU_DEP_1) | instskip(NEXT) | instid1(VALU_DEP_1)
	v_mul_f32_e32 v178, v179, v177
	v_fma_f32 v180, -v174, v178, v179
	s_delay_alu instid0(VALU_DEP_1) | instskip(NEXT) | instid1(VALU_DEP_1)
	v_fmac_f32_e32 v178, v180, v177
	v_fma_f32 v174, -v174, v178, v179
	s_delay_alu instid0(VALU_DEP_1) | instskip(NEXT) | instid1(VALU_DEP_1)
	v_div_fmas_f32 v174, v174, v177, v178
	v_div_fixup_f32 v174, v174, v175, 1.0
	s_delay_alu instid0(VALU_DEP_1)
	v_mul_f32_e32 v176, v176, v174
	v_xor_b32_e32 v177, 0x80000000, v174
                                        ; implicit-def: $vgpr174_vgpr175
.LBB67_167:
	s_and_not1_saveexec_b32 s1, s1
	s_cbranch_execz .LBB67_169
; %bb.168:
	v_div_scale_f32 v176, null, v174, v174, v175
	v_div_scale_f32 v179, vcc_lo, v175, v174, v175
	s_delay_alu instid0(VALU_DEP_2) | instskip(SKIP_1) | instid1(TRANS32_DEP_1)
	v_rcp_f32_e32 v177, v176
	v_nop
	v_fma_f32 v178, -v176, v177, 1.0
	s_delay_alu instid0(VALU_DEP_1) | instskip(NEXT) | instid1(VALU_DEP_1)
	v_fmac_f32_e32 v177, v178, v177
	v_mul_f32_e32 v178, v179, v177
	s_delay_alu instid0(VALU_DEP_1) | instskip(NEXT) | instid1(VALU_DEP_1)
	v_fma_f32 v180, -v176, v178, v179
	v_fmac_f32_e32 v178, v180, v177
	s_delay_alu instid0(VALU_DEP_1) | instskip(NEXT) | instid1(VALU_DEP_1)
	v_fma_f32 v176, -v176, v178, v179
	v_div_fmas_f32 v176, v176, v177, v178
	s_delay_alu instid0(VALU_DEP_1) | instskip(NEXT) | instid1(VALU_DEP_1)
	v_div_fixup_f32 v177, v176, v174, v175
	v_fmac_f32_e32 v174, v175, v177
	s_delay_alu instid0(VALU_DEP_1) | instskip(NEXT) | instid1(VALU_DEP_1)
	v_div_scale_f32 v175, null, v174, v174, 1.0
	v_rcp_f32_e32 v176, v175
	v_nop
	s_delay_alu instid0(TRANS32_DEP_1) | instskip(NEXT) | instid1(VALU_DEP_1)
	v_fma_f32 v178, -v175, v176, 1.0
	v_fmac_f32_e32 v176, v178, v176
	v_div_scale_f32 v178, vcc_lo, 1.0, v174, 1.0
	s_delay_alu instid0(VALU_DEP_1) | instskip(NEXT) | instid1(VALU_DEP_1)
	v_mul_f32_e32 v179, v178, v176
	v_fma_f32 v180, -v175, v179, v178
	s_delay_alu instid0(VALU_DEP_1) | instskip(NEXT) | instid1(VALU_DEP_1)
	v_fmac_f32_e32 v179, v180, v176
	v_fma_f32 v175, -v175, v179, v178
	s_delay_alu instid0(VALU_DEP_1) | instskip(NEXT) | instid1(VALU_DEP_1)
	v_div_fmas_f32 v175, v175, v176, v179
	v_div_fixup_f32 v176, v175, v174, 1.0
	s_delay_alu instid0(VALU_DEP_1)
	v_mul_f32_e64 v177, v177, -v176
.LBB67_169:
	s_or_b32 exec_lo, exec_lo, s1
	ds_store_b64 v207, v[176:177]
.LBB67_170:
	s_or_b32 exec_lo, exec_lo, s2
	s_wait_dscnt 0x0
	s_barrier_signal -1
	s_barrier_wait -1
	ds_load_b64 v[174:175], v207
	s_mov_b32 s1, exec_lo
	v_cmpx_lt_u32_e32 18, v206
	s_cbranch_execz .LBB67_172
; %bb.171:
	ds_load_2addr_b64 v[180:183], v208 offset0:19 offset1:20
	s_wait_dscnt 0x1
	v_pk_mul_f32 v[178:179], v[174:175], v[78:79] op_sel:[1,1] op_sel_hi:[0,1]
	s_delay_alu instid0(VALU_DEP_1) | instskip(SKIP_1) | instid1(VALU_DEP_1)
	v_pk_fma_f32 v[176:177], v[174:175], v[78:79], v[178:179] op_sel_hi:[1,0,1] neg_lo:[0,0,1] neg_hi:[0,0,1]
	v_pk_fma_f32 v[178:179], v[174:175], v[78:79], v[178:179] op_sel_hi:[1,0,1]
	v_dual_mov_b32 v78, v176 :: v_dual_mov_b32 v79, v179
	s_wait_dscnt 0x0
	s_delay_alu instid0(VALU_DEP_2) | instskip(NEXT) | instid1(VALU_DEP_1)
	v_pk_mul_f32 v[184:185], v[180:181], v[178:179] op_sel:[0,1]
	v_pk_fma_f32 v[186:187], v[180:181], v[176:177], v[184:185] op_sel:[0,0,1] op_sel_hi:[1,1,0] neg_lo:[0,0,1] neg_hi:[0,0,1]
	v_pk_fma_f32 v[180:181], v[180:181], v[176:177], v[184:185] op_sel:[0,0,1] op_sel_hi:[1,0,0]
	s_delay_alu instid0(VALU_DEP_1) | instskip(SKIP_1) | instid1(VALU_DEP_1)
	v_mov_b32_e32 v187, v181
	v_pk_mul_f32 v[180:181], v[182:183], v[178:179] op_sel:[0,1]
	v_pk_fma_f32 v[184:185], v[182:183], v[176:177], v[180:181] op_sel:[0,0,1] op_sel_hi:[1,1,0] neg_lo:[0,0,1] neg_hi:[0,0,1]
	v_pk_fma_f32 v[180:181], v[182:183], v[176:177], v[180:181] op_sel:[0,0,1] op_sel_hi:[1,0,0]
	s_delay_alu instid0(VALU_DEP_1)
	v_mov_b32_e32 v185, v181
	ds_load_2addr_b64 v[180:183], v208 offset0:21 offset1:22
	v_pk_add_f32 v[114:115], v[114:115], v[186:187] neg_lo:[0,1] neg_hi:[0,1]
	v_pk_add_f32 v[128:129], v[128:129], v[184:185] neg_lo:[0,1] neg_hi:[0,1]
	s_wait_dscnt 0x0
	v_pk_mul_f32 v[184:185], v[180:181], v[178:179] op_sel:[0,1]
	s_delay_alu instid0(VALU_DEP_1) | instskip(SKIP_2) | instid1(VALU_DEP_2)
	v_pk_fma_f32 v[186:187], v[180:181], v[176:177], v[184:185] op_sel:[0,0,1] op_sel_hi:[1,1,0] neg_lo:[0,0,1] neg_hi:[0,0,1]
	v_pk_fma_f32 v[180:181], v[180:181], v[176:177], v[184:185] op_sel:[0,0,1] op_sel_hi:[1,0,0]
	v_dual_mul_f32 v184, v183, v179 :: v_dual_mov_b32 v180, v183
	v_dual_mov_b32 v187, v181 :: v_dual_mov_b32 v181, v182
	s_delay_alu instid0(VALU_DEP_2) | instskip(SKIP_1) | instid1(VALU_DEP_3)
	v_pk_fma_f32 v[184:185], v[182:183], v[78:79], v[184:185] op_sel_hi:[1,1,0] neg_lo:[0,0,1] neg_hi:[0,0,1]
	v_mul_f32_e32 v182, v183, v176
	v_pk_add_f32 v[126:127], v[126:127], v[186:187] neg_lo:[0,1] neg_hi:[0,1]
	s_delay_alu instid0(VALU_DEP_2) | instskip(NEXT) | instid1(VALU_DEP_1)
	v_pk_fma_f32 v[180:181], v[180:181], v[78:79], v[182:183] op_sel_hi:[1,1,0]
	v_mov_b32_e32 v185, v181
	ds_load_2addr_b64 v[180:183], v208 offset0:23 offset1:24
	v_pk_add_f32 v[136:137], v[136:137], v[184:185] neg_lo:[0,1] neg_hi:[0,1]
	s_wait_dscnt 0x0
	v_pk_mul_f32 v[184:185], v[180:181], v[178:179] op_sel:[0,1]
	s_delay_alu instid0(VALU_DEP_1) | instskip(SKIP_1) | instid1(VALU_DEP_1)
	v_pk_fma_f32 v[186:187], v[180:181], v[176:177], v[184:185] op_sel:[0,0,1] op_sel_hi:[1,1,0] neg_lo:[0,0,1] neg_hi:[0,0,1]
	v_pk_fma_f32 v[180:181], v[180:181], v[176:177], v[184:185] op_sel:[0,0,1] op_sel_hi:[1,0,0]
	v_mov_b32_e32 v187, v181
	v_pk_mul_f32 v[180:181], v[182:183], v[178:179] op_sel:[0,1]
	s_delay_alu instid0(VALU_DEP_1) | instskip(SKIP_1) | instid1(VALU_DEP_1)
	v_pk_fma_f32 v[184:185], v[182:183], v[176:177], v[180:181] op_sel:[0,0,1] op_sel_hi:[1,1,0] neg_lo:[0,0,1] neg_hi:[0,0,1]
	v_pk_fma_f32 v[180:181], v[182:183], v[176:177], v[180:181] op_sel:[0,0,1] op_sel_hi:[1,0,0]
	v_mov_b32_e32 v185, v181
	ds_load_2addr_b64 v[180:183], v208 offset0:25 offset1:26
	v_pk_add_f32 v[124:125], v[124:125], v[186:187] neg_lo:[0,1] neg_hi:[0,1]
	v_pk_add_f32 v[132:133], v[132:133], v[184:185] neg_lo:[0,1] neg_hi:[0,1]
	s_wait_dscnt 0x0
	v_pk_mul_f32 v[184:185], v[180:181], v[178:179] op_sel:[0,1]
	s_delay_alu instid0(VALU_DEP_1) | instskip(SKIP_1) | instid1(VALU_DEP_1)
	v_pk_fma_f32 v[186:187], v[180:181], v[176:177], v[184:185] op_sel:[0,0,1] op_sel_hi:[1,1,0] neg_lo:[0,0,1] neg_hi:[0,0,1]
	v_pk_fma_f32 v[180:181], v[180:181], v[176:177], v[184:185] op_sel:[0,0,1] op_sel_hi:[1,0,0]
	v_mov_b32_e32 v187, v181
	v_pk_mul_f32 v[180:181], v[182:183], v[178:179] op_sel:[0,1]
	s_delay_alu instid0(VALU_DEP_1) | instskip(SKIP_1) | instid1(VALU_DEP_1)
	v_pk_fma_f32 v[184:185], v[182:183], v[176:177], v[180:181] op_sel:[0,0,1] op_sel_hi:[1,1,0] neg_lo:[0,0,1] neg_hi:[0,0,1]
	v_pk_fma_f32 v[180:181], v[182:183], v[176:177], v[180:181] op_sel:[0,0,1] op_sel_hi:[1,0,0]
	v_mov_b32_e32 v185, v181
	ds_load_2addr_b64 v[180:183], v208 offset0:27 offset1:28
	v_pk_add_f32 v[102:103], v[102:103], v[186:187] neg_lo:[0,1] neg_hi:[0,1]
	v_pk_add_f32 v[104:105], v[104:105], v[184:185] neg_lo:[0,1] neg_hi:[0,1]
	s_wait_dscnt 0x0
	v_dual_mul_f32 v184, v181, v179 :: v_dual_mul_f32 v186, v181, v176
	s_delay_alu instid0(VALU_DEP_1) | instskip(NEXT) | instid1(VALU_DEP_2)
	v_pk_fma_f32 v[184:185], v[180:181], v[78:79], v[184:185] op_sel_hi:[1,1,0] neg_lo:[0,0,1] neg_hi:[0,0,1]
	v_pk_fma_f32 v[180:181], v[180:181], v[78:79], v[186:187] op_sel:[1,0,0] op_sel_hi:[0,1,0]
	s_delay_alu instid0(VALU_DEP_1) | instskip(SKIP_1) | instid1(VALU_DEP_2)
	v_mov_b32_e32 v185, v181
	v_pk_mul_f32 v[180:181], v[182:183], v[178:179] op_sel:[0,1]
	v_pk_add_f32 v[100:101], v[100:101], v[184:185] neg_lo:[0,1] neg_hi:[0,1]
	s_delay_alu instid0(VALU_DEP_2) | instskip(SKIP_1) | instid1(VALU_DEP_1)
	v_pk_fma_f32 v[184:185], v[182:183], v[176:177], v[180:181] op_sel:[0,0,1] op_sel_hi:[1,1,0] neg_lo:[0,0,1] neg_hi:[0,0,1]
	v_pk_fma_f32 v[180:181], v[182:183], v[176:177], v[180:181] op_sel:[0,0,1] op_sel_hi:[1,0,0]
	v_mov_b32_e32 v185, v181
	ds_load_2addr_b64 v[180:183], v208 offset0:29 offset1:30
	v_pk_add_f32 v[118:119], v[118:119], v[184:185] neg_lo:[0,1] neg_hi:[0,1]
	s_wait_dscnt 0x0
	v_pk_mul_f32 v[184:185], v[180:181], v[178:179] op_sel:[0,1]
	s_delay_alu instid0(VALU_DEP_1) | instskip(SKIP_1) | instid1(VALU_DEP_1)
	v_pk_fma_f32 v[186:187], v[180:181], v[176:177], v[184:185] op_sel:[0,0,1] op_sel_hi:[1,1,0] neg_lo:[0,0,1] neg_hi:[0,0,1]
	v_pk_fma_f32 v[180:181], v[180:181], v[176:177], v[184:185] op_sel:[0,0,1] op_sel_hi:[1,0,0]
	v_mov_b32_e32 v187, v181
	v_pk_mul_f32 v[180:181], v[182:183], v[178:179] op_sel:[0,1]
	s_delay_alu instid0(VALU_DEP_2) | instskip(NEXT) | instid1(VALU_DEP_2)
	v_pk_add_f32 v[116:117], v[116:117], v[186:187] neg_lo:[0,1] neg_hi:[0,1]
	v_pk_fma_f32 v[184:185], v[182:183], v[176:177], v[180:181] op_sel:[0,0,1] op_sel_hi:[1,1,0] neg_lo:[0,0,1] neg_hi:[0,0,1]
	v_pk_fma_f32 v[180:181], v[182:183], v[176:177], v[180:181] op_sel:[0,0,1] op_sel_hi:[1,0,0]
	s_delay_alu instid0(VALU_DEP_1) | instskip(SKIP_4) | instid1(VALU_DEP_1)
	v_mov_b32_e32 v185, v181
	ds_load_2addr_b64 v[180:183], v208 offset0:31 offset1:32
	v_pk_add_f32 v[130:131], v[130:131], v[184:185] neg_lo:[0,1] neg_hi:[0,1]
	s_wait_dscnt 0x0
	v_pk_mul_f32 v[184:185], v[180:181], v[178:179] op_sel:[0,1]
	v_pk_fma_f32 v[186:187], v[180:181], v[176:177], v[184:185] op_sel:[0,0,1] op_sel_hi:[1,1,0] neg_lo:[0,0,1] neg_hi:[0,0,1]
	v_pk_fma_f32 v[180:181], v[180:181], v[176:177], v[184:185] op_sel:[0,0,1] op_sel_hi:[1,0,0]
	v_dual_mul_f32 v184, v183, v179 :: v_dual_mov_b32 v180, v183
	s_delay_alu instid0(VALU_DEP_2) | instskip(NEXT) | instid1(VALU_DEP_2)
	v_dual_mov_b32 v187, v181 :: v_dual_mov_b32 v181, v182
	v_pk_fma_f32 v[184:185], v[182:183], v[78:79], v[184:185] op_sel_hi:[1,1,0] neg_lo:[0,0,1] neg_hi:[0,0,1]
	v_mul_f32_e32 v182, v183, v176
	s_delay_alu instid0(VALU_DEP_3) | instskip(NEXT) | instid1(VALU_DEP_2)
	v_pk_add_f32 v[122:123], v[122:123], v[186:187] neg_lo:[0,1] neg_hi:[0,1]
	v_pk_fma_f32 v[180:181], v[180:181], v[78:79], v[182:183] op_sel_hi:[1,1,0]
	s_delay_alu instid0(VALU_DEP_1) | instskip(SKIP_4) | instid1(VALU_DEP_1)
	v_mov_b32_e32 v185, v181
	ds_load_b64 v[180:181], v208 offset:264
	v_pk_add_f32 v[120:121], v[120:121], v[184:185] neg_lo:[0,1] neg_hi:[0,1]
	s_wait_dscnt 0x0
	v_pk_mul_f32 v[178:179], v[180:181], v[178:179] op_sel:[0,1]
	v_pk_fma_f32 v[182:183], v[180:181], v[176:177], v[178:179] op_sel:[0,0,1] op_sel_hi:[1,1,0] neg_lo:[0,0,1] neg_hi:[0,0,1]
	v_pk_fma_f32 v[176:177], v[180:181], v[176:177], v[178:179] op_sel:[0,0,1] op_sel_hi:[1,0,0]
	s_delay_alu instid0(VALU_DEP_1) | instskip(NEXT) | instid1(VALU_DEP_1)
	v_mov_b32_e32 v183, v177
	v_pk_add_f32 v[134:135], v[134:135], v[182:183] neg_lo:[0,1] neg_hi:[0,1]
.LBB67_172:
	s_or_b32 exec_lo, exec_lo, s1
	s_delay_alu instid0(SALU_CYCLE_1)
	s_mov_b32 s2, exec_lo
	s_wait_dscnt 0x0
	s_barrier_signal -1
	s_barrier_wait -1
	v_cmpx_eq_u32_e32 19, v206
	s_cbranch_execz .LBB67_179
; %bb.173:
	v_dual_mov_b32 v176, v128 :: v_dual_mov_b32 v177, v129
	v_dual_mov_b32 v178, v126 :: v_dual_mov_b32 v179, v127
	ds_store_b64 v207, v[114:115]
	ds_store_2addr_b64 v208, v[176:177], v[178:179] offset0:20 offset1:21
	v_dual_mov_b32 v176, v136 :: v_dual_mov_b32 v177, v137
	v_dual_mov_b32 v178, v124 :: v_dual_mov_b32 v179, v125
	ds_store_2addr_b64 v208, v[176:177], v[178:179] offset0:22 offset1:23
	v_dual_mov_b32 v176, v132 :: v_dual_mov_b32 v177, v133
	v_dual_mov_b32 v178, v102 :: v_dual_mov_b32 v179, v103
	;; [unrolled: 3-line block ×5, first 2 shown]
	ds_store_2addr_b64 v208, v[176:177], v[178:179] offset0:30 offset1:31
	v_dual_mov_b32 v176, v120 :: v_dual_mov_b32 v177, v121
	ds_store_2addr_b64 v208, v[176:177], v[134:135] offset0:32 offset1:33
	ds_load_b64 v[176:177], v207
	s_wait_dscnt 0x0
	v_cmp_neq_f32_e32 vcc_lo, 0, v176
	v_cmp_neq_f32_e64 s1, 0, v177
	s_or_b32 s1, vcc_lo, s1
	s_delay_alu instid0(SALU_CYCLE_1)
	s_and_b32 exec_lo, exec_lo, s1
	s_cbranch_execz .LBB67_179
; %bb.174:
	v_cmp_ngt_f32_e64 s1, |v176|, |v177|
                                        ; implicit-def: $vgpr178_vgpr179
	s_and_saveexec_b32 s4, s1
	s_delay_alu instid0(SALU_CYCLE_1)
	s_xor_b32 s1, exec_lo, s4
	s_cbranch_execz .LBB67_176
; %bb.175:
	v_div_scale_f32 v178, null, v177, v177, v176
	v_div_scale_f32 v181, vcc_lo, v176, v177, v176
	s_delay_alu instid0(VALU_DEP_2) | instskip(SKIP_1) | instid1(TRANS32_DEP_1)
	v_rcp_f32_e32 v179, v178
	v_nop
	v_fma_f32 v180, -v178, v179, 1.0
	s_delay_alu instid0(VALU_DEP_1) | instskip(NEXT) | instid1(VALU_DEP_1)
	v_fmac_f32_e32 v179, v180, v179
	v_mul_f32_e32 v180, v181, v179
	s_delay_alu instid0(VALU_DEP_1) | instskip(NEXT) | instid1(VALU_DEP_1)
	v_fma_f32 v182, -v178, v180, v181
	v_fmac_f32_e32 v180, v182, v179
	s_delay_alu instid0(VALU_DEP_1) | instskip(NEXT) | instid1(VALU_DEP_1)
	v_fma_f32 v178, -v178, v180, v181
	v_div_fmas_f32 v178, v178, v179, v180
	s_delay_alu instid0(VALU_DEP_1) | instskip(NEXT) | instid1(VALU_DEP_1)
	v_div_fixup_f32 v178, v178, v177, v176
	v_fmac_f32_e32 v177, v176, v178
	s_delay_alu instid0(VALU_DEP_1) | instskip(SKIP_1) | instid1(VALU_DEP_2)
	v_div_scale_f32 v176, null, v177, v177, 1.0
	v_div_scale_f32 v181, vcc_lo, 1.0, v177, 1.0
	v_rcp_f32_e32 v179, v176
	v_nop
	s_delay_alu instid0(TRANS32_DEP_1) | instskip(NEXT) | instid1(VALU_DEP_1)
	v_fma_f32 v180, -v176, v179, 1.0
	v_fmac_f32_e32 v179, v180, v179
	s_delay_alu instid0(VALU_DEP_1) | instskip(NEXT) | instid1(VALU_DEP_1)
	v_mul_f32_e32 v180, v181, v179
	v_fma_f32 v182, -v176, v180, v181
	s_delay_alu instid0(VALU_DEP_1) | instskip(NEXT) | instid1(VALU_DEP_1)
	v_fmac_f32_e32 v180, v182, v179
	v_fma_f32 v176, -v176, v180, v181
	s_delay_alu instid0(VALU_DEP_1) | instskip(NEXT) | instid1(VALU_DEP_1)
	v_div_fmas_f32 v176, v176, v179, v180
	v_div_fixup_f32 v176, v176, v177, 1.0
	s_delay_alu instid0(VALU_DEP_1)
	v_mul_f32_e32 v178, v178, v176
	v_xor_b32_e32 v179, 0x80000000, v176
                                        ; implicit-def: $vgpr176_vgpr177
.LBB67_176:
	s_and_not1_saveexec_b32 s1, s1
	s_cbranch_execz .LBB67_178
; %bb.177:
	v_div_scale_f32 v178, null, v176, v176, v177
	v_div_scale_f32 v181, vcc_lo, v177, v176, v177
	s_delay_alu instid0(VALU_DEP_2) | instskip(SKIP_1) | instid1(TRANS32_DEP_1)
	v_rcp_f32_e32 v179, v178
	v_nop
	v_fma_f32 v180, -v178, v179, 1.0
	s_delay_alu instid0(VALU_DEP_1) | instskip(NEXT) | instid1(VALU_DEP_1)
	v_fmac_f32_e32 v179, v180, v179
	v_mul_f32_e32 v180, v181, v179
	s_delay_alu instid0(VALU_DEP_1) | instskip(NEXT) | instid1(VALU_DEP_1)
	v_fma_f32 v182, -v178, v180, v181
	v_fmac_f32_e32 v180, v182, v179
	s_delay_alu instid0(VALU_DEP_1) | instskip(NEXT) | instid1(VALU_DEP_1)
	v_fma_f32 v178, -v178, v180, v181
	v_div_fmas_f32 v178, v178, v179, v180
	s_delay_alu instid0(VALU_DEP_1) | instskip(NEXT) | instid1(VALU_DEP_1)
	v_div_fixup_f32 v179, v178, v176, v177
	v_fmac_f32_e32 v176, v177, v179
	s_delay_alu instid0(VALU_DEP_1) | instskip(NEXT) | instid1(VALU_DEP_1)
	v_div_scale_f32 v177, null, v176, v176, 1.0
	v_rcp_f32_e32 v178, v177
	v_nop
	s_delay_alu instid0(TRANS32_DEP_1) | instskip(NEXT) | instid1(VALU_DEP_1)
	v_fma_f32 v180, -v177, v178, 1.0
	v_fmac_f32_e32 v178, v180, v178
	v_div_scale_f32 v180, vcc_lo, 1.0, v176, 1.0
	s_delay_alu instid0(VALU_DEP_1) | instskip(NEXT) | instid1(VALU_DEP_1)
	v_mul_f32_e32 v181, v180, v178
	v_fma_f32 v182, -v177, v181, v180
	s_delay_alu instid0(VALU_DEP_1) | instskip(NEXT) | instid1(VALU_DEP_1)
	v_fmac_f32_e32 v181, v182, v178
	v_fma_f32 v177, -v177, v181, v180
	s_delay_alu instid0(VALU_DEP_1) | instskip(NEXT) | instid1(VALU_DEP_1)
	v_div_fmas_f32 v177, v177, v178, v181
	v_div_fixup_f32 v178, v177, v176, 1.0
	s_delay_alu instid0(VALU_DEP_1)
	v_mul_f32_e64 v179, v179, -v178
.LBB67_178:
	s_or_b32 exec_lo, exec_lo, s1
	ds_store_b64 v207, v[178:179]
.LBB67_179:
	s_or_b32 exec_lo, exec_lo, s2
	s_wait_dscnt 0x0
	s_barrier_signal -1
	s_barrier_wait -1
	ds_load_b64 v[176:177], v207
	s_mov_b32 s1, exec_lo
	v_cmpx_lt_u32_e32 19, v206
	s_cbranch_execz .LBB67_181
; %bb.180:
	ds_load_2addr_b64 v[178:181], v208 offset0:20 offset1:21
	ds_load_2addr_b64 v[182:185], v208 offset0:22 offset1:23
	;; [unrolled: 1-line block ×3, first 2 shown]
	s_wait_dscnt 0x3
	v_pk_mul_f32 v[190:191], v[176:177], v[114:115] op_sel:[1,1] op_sel_hi:[0,1]
	s_delay_alu instid0(VALU_DEP_1)
	v_pk_fma_f32 v[200:201], v[176:177], v[114:115], v[190:191] op_sel_hi:[1,0,1]
	v_pk_fma_f32 v[198:199], v[176:177], v[114:115], v[190:191] op_sel_hi:[1,0,1] neg_lo:[0,0,1] neg_hi:[0,0,1]
	ds_load_2addr_b64 v[190:193], v208 offset0:26 offset1:27
	ds_load_2addr_b64 v[194:197], v208 offset0:28 offset1:29
	v_dual_mov_b32 v115, v201 :: v_dual_mov_b32 v114, v198
	s_wait_dscnt 0x4
	v_pk_mul_f32 v[202:203], v[178:179], v[200:201] op_sel:[0,1]
	v_pk_mul_f32 v[204:205], v[180:181], v[200:201] op_sel:[0,1]
	s_wait_dscnt 0x3
	v_pk_mul_f32 v[210:211], v[182:183], v[200:201] op_sel:[0,1]
	v_dual_mov_b32 v212, v185 :: v_dual_mov_b32 v213, v184
	v_dual_mul_f32 v214, v185, v201 :: v_dual_mul_f32 v216, v185, v198
	s_wait_dscnt 0x2
	v_pk_mul_f32 v[218:219], v[186:187], v[200:201] op_sel:[0,1]
	v_pk_mul_f32 v[220:221], v[188:189], v[200:201] op_sel:[0,1]
	v_pk_fma_f32 v[222:223], v[178:179], v[198:199], v[202:203] op_sel:[0,0,1] op_sel_hi:[1,1,0] neg_lo:[0,0,1] neg_hi:[0,0,1]
	v_pk_fma_f32 v[178:179], v[178:179], v[198:199], v[202:203] op_sel:[0,0,1] op_sel_hi:[1,0,0]
	v_pk_fma_f32 v[202:203], v[180:181], v[198:199], v[204:205] op_sel:[0,0,1] op_sel_hi:[1,1,0] neg_lo:[0,0,1] neg_hi:[0,0,1]
	v_pk_fma_f32 v[180:181], v[180:181], v[198:199], v[204:205] op_sel:[0,0,1] op_sel_hi:[1,0,0]
	;; [unrolled: 2-line block ×3, first 2 shown]
	v_pk_fma_f32 v[210:211], v[212:213], v[114:115], v[216:217] op_sel_hi:[1,1,0]
	v_pk_fma_f32 v[212:213], v[186:187], v[198:199], v[218:219] op_sel:[0,0,1] op_sel_hi:[1,0,0]
	v_dual_mov_b32 v223, v179 :: v_dual_mov_b32 v203, v181
	v_pk_fma_f32 v[178:179], v[188:189], v[198:199], v[220:221] op_sel:[0,0,1] op_sel_hi:[1,0,0]
	v_mov_b32_e32 v205, v183
	v_pk_fma_f32 v[182:183], v[186:187], v[198:199], v[218:219] op_sel:[0,0,1] op_sel_hi:[1,1,0] neg_lo:[0,0,1] neg_hi:[0,0,1]
	v_pk_fma_f32 v[186:187], v[188:189], v[198:199], v[220:221] op_sel:[0,0,1] op_sel_hi:[1,1,0] neg_lo:[0,0,1] neg_hi:[0,0,1]
	s_delay_alu instid0(VALU_DEP_4)
	v_dual_mov_b32 v183, v213 :: v_dual_mov_b32 v187, v179
	ds_load_2addr_b64 v[178:181], v208 offset0:30 offset1:31
	v_pk_fma_f32 v[184:185], v[184:185], v[114:115], v[214:215] op_sel_hi:[1,1,0] neg_lo:[0,0,1] neg_hi:[0,0,1]
	s_wait_dscnt 0x2
	v_pk_mul_f32 v[188:189], v[190:191], v[200:201] op_sel:[0,1]
	v_mov_b32_e32 v185, v211
	v_pk_add_f32 v[126:127], v[126:127], v[202:203] neg_lo:[0,1] neg_hi:[0,1]
	v_pk_add_f32 v[102:103], v[102:103], v[186:187] neg_lo:[0,1] neg_hi:[0,1]
	v_pk_mul_f32 v[202:203], v[192:193], v[200:201] op_sel:[0,1]
	v_pk_fma_f32 v[186:187], v[190:191], v[198:199], v[188:189] op_sel:[0,0,1] op_sel_hi:[1,0,0]
	v_pk_add_f32 v[124:125], v[124:125], v[184:185] neg_lo:[0,1] neg_hi:[0,1]
	v_pk_add_f32 v[132:133], v[132:133], v[182:183] neg_lo:[0,1] neg_hi:[0,1]
	ds_load_2addr_b64 v[182:185], v208 offset0:32 offset1:33
	v_pk_fma_f32 v[188:189], v[190:191], v[198:199], v[188:189] op_sel:[0,0,1] op_sel_hi:[1,1,0] neg_lo:[0,0,1] neg_hi:[0,0,1]
	s_wait_dscnt 0x2
	v_mul_f32_e32 v186, v195, v198
	v_pk_fma_f32 v[190:191], v[192:193], v[198:199], v[202:203] op_sel:[0,0,1] op_sel_hi:[1,0,0]
	v_mov_b32_e32 v189, v187
	v_mul_f32_e32 v190, v195, v201
	v_pk_fma_f32 v[192:193], v[192:193], v[198:199], v[202:203] op_sel:[0,0,1] op_sel_hi:[1,1,0] neg_lo:[0,0,1] neg_hi:[0,0,1]
	v_pk_fma_f32 v[186:187], v[194:195], v[114:115], v[186:187] op_sel:[1,0,0] op_sel_hi:[0,1,0]
	v_mov_b32_e32 v193, v191
	v_pk_add_f32 v[104:105], v[104:105], v[188:189] neg_lo:[0,1] neg_hi:[0,1]
	s_wait_dscnt 0x1
	v_pk_mul_f32 v[188:189], v[178:179], v[200:201] op_sel:[0,1]
	v_pk_mul_f32 v[202:203], v[196:197], v[200:201] op_sel:[0,1]
	v_pk_fma_f32 v[190:191], v[194:195], v[114:115], v[190:191] op_sel_hi:[1,1,0] neg_lo:[0,0,1] neg_hi:[0,0,1]
	v_pk_add_f32 v[100:101], v[100:101], v[192:193] neg_lo:[0,1] neg_hi:[0,1]
	v_pk_add_f32 v[128:129], v[128:129], v[222:223] neg_lo:[0,1] neg_hi:[0,1]
	v_pk_fma_f32 v[192:193], v[178:179], v[198:199], v[188:189] op_sel:[0,0,1] op_sel_hi:[1,0,0]
	v_mov_b32_e32 v191, v187
	v_pk_fma_f32 v[186:187], v[196:197], v[198:199], v[202:203] op_sel:[0,0,1] op_sel_hi:[1,0,0]
	v_pk_fma_f32 v[178:179], v[178:179], v[198:199], v[188:189] op_sel:[0,0,1] op_sel_hi:[1,1,0] neg_lo:[0,0,1] neg_hi:[0,0,1]
	v_pk_add_f32 v[136:137], v[136:137], v[204:205] neg_lo:[0,1] neg_hi:[0,1]
	v_mov_b32_e32 v179, v193
	v_pk_add_f32 v[118:119], v[118:119], v[190:191] neg_lo:[0,1] neg_hi:[0,1]
	v_pk_fma_f32 v[190:191], v[196:197], v[198:199], v[202:203] op_sel:[0,0,1] op_sel_hi:[1,1,0] neg_lo:[0,0,1] neg_hi:[0,0,1]
	v_mov_b32_e32 v191, v187
	v_pk_mul_f32 v[186:187], v[180:181], v[200:201] op_sel:[0,1]
	s_wait_dscnt 0x0
	v_pk_mul_f32 v[194:195], v[182:183], v[200:201] op_sel:[0,1]
	v_pk_mul_f32 v[188:189], v[184:185], v[200:201] op_sel:[0,1]
	v_pk_add_f32 v[130:131], v[130:131], v[178:179] neg_lo:[0,1] neg_hi:[0,1]
	v_pk_fma_f32 v[196:197], v[180:181], v[198:199], v[186:187] op_sel:[0,0,1] op_sel_hi:[1,0,0]
	s_delay_alu instid0(VALU_DEP_4)
	v_pk_fma_f32 v[192:193], v[182:183], v[198:199], v[194:195] op_sel:[0,0,1] op_sel_hi:[1,0,0]
	v_pk_fma_f32 v[180:181], v[180:181], v[198:199], v[186:187] op_sel:[0,0,1] op_sel_hi:[1,1,0] neg_lo:[0,0,1] neg_hi:[0,0,1]
	v_pk_fma_f32 v[186:187], v[184:185], v[198:199], v[188:189] op_sel:[0,0,1] op_sel_hi:[1,0,0]
	v_pk_fma_f32 v[182:183], v[182:183], v[198:199], v[194:195] op_sel:[0,0,1] op_sel_hi:[1,1,0] neg_lo:[0,0,1] neg_hi:[0,0,1]
	v_pk_fma_f32 v[184:185], v[184:185], v[198:199], v[188:189] op_sel:[0,0,1] op_sel_hi:[1,1,0] neg_lo:[0,0,1] neg_hi:[0,0,1]
	v_dual_mov_b32 v181, v197 :: v_dual_mov_b32 v183, v193
	s_delay_alu instid0(VALU_DEP_4) | instskip(SKIP_1) | instid1(VALU_DEP_3)
	v_mov_b32_e32 v185, v187
	v_pk_add_f32 v[116:117], v[116:117], v[190:191] neg_lo:[0,1] neg_hi:[0,1]
	v_pk_add_f32 v[122:123], v[122:123], v[180:181] neg_lo:[0,1] neg_hi:[0,1]
	s_delay_alu instid0(VALU_DEP_4) | instskip(NEXT) | instid1(VALU_DEP_4)
	v_pk_add_f32 v[120:121], v[120:121], v[182:183] neg_lo:[0,1] neg_hi:[0,1]
	v_pk_add_f32 v[134:135], v[134:135], v[184:185] neg_lo:[0,1] neg_hi:[0,1]
.LBB67_181:
	s_or_b32 exec_lo, exec_lo, s1
	s_delay_alu instid0(SALU_CYCLE_1)
	s_mov_b32 s2, exec_lo
	s_wait_dscnt 0x0
	s_barrier_signal -1
	s_barrier_wait -1
	v_cmpx_eq_u32_e32 20, v206
	s_cbranch_execz .LBB67_188
; %bb.182:
	ds_store_b64 v207, v[128:129]
	ds_store_2addr_b64 v208, v[126:127], v[136:137] offset0:21 offset1:22
	ds_store_2addr_b64 v208, v[124:125], v[132:133] offset0:23 offset1:24
	;; [unrolled: 1-line block ×6, first 2 shown]
	ds_store_b64 v208, v[134:135] offset:264
	ds_load_b64 v[178:179], v207
	s_wait_dscnt 0x0
	v_cmp_neq_f32_e32 vcc_lo, 0, v178
	v_cmp_neq_f32_e64 s1, 0, v179
	s_or_b32 s1, vcc_lo, s1
	s_delay_alu instid0(SALU_CYCLE_1)
	s_and_b32 exec_lo, exec_lo, s1
	s_cbranch_execz .LBB67_188
; %bb.183:
	v_cmp_ngt_f32_e64 s1, |v178|, |v179|
                                        ; implicit-def: $vgpr180_vgpr181
	s_and_saveexec_b32 s4, s1
	s_delay_alu instid0(SALU_CYCLE_1)
	s_xor_b32 s1, exec_lo, s4
	s_cbranch_execz .LBB67_185
; %bb.184:
	v_div_scale_f32 v180, null, v179, v179, v178
	v_div_scale_f32 v183, vcc_lo, v178, v179, v178
	s_delay_alu instid0(VALU_DEP_2) | instskip(SKIP_1) | instid1(TRANS32_DEP_1)
	v_rcp_f32_e32 v181, v180
	v_nop
	v_fma_f32 v182, -v180, v181, 1.0
	s_delay_alu instid0(VALU_DEP_1) | instskip(NEXT) | instid1(VALU_DEP_1)
	v_fmac_f32_e32 v181, v182, v181
	v_mul_f32_e32 v182, v183, v181
	s_delay_alu instid0(VALU_DEP_1) | instskip(NEXT) | instid1(VALU_DEP_1)
	v_fma_f32 v184, -v180, v182, v183
	v_fmac_f32_e32 v182, v184, v181
	s_delay_alu instid0(VALU_DEP_1) | instskip(NEXT) | instid1(VALU_DEP_1)
	v_fma_f32 v180, -v180, v182, v183
	v_div_fmas_f32 v180, v180, v181, v182
	s_delay_alu instid0(VALU_DEP_1) | instskip(NEXT) | instid1(VALU_DEP_1)
	v_div_fixup_f32 v180, v180, v179, v178
	v_fmac_f32_e32 v179, v178, v180
	s_delay_alu instid0(VALU_DEP_1) | instskip(SKIP_1) | instid1(VALU_DEP_2)
	v_div_scale_f32 v178, null, v179, v179, 1.0
	v_div_scale_f32 v183, vcc_lo, 1.0, v179, 1.0
	v_rcp_f32_e32 v181, v178
	v_nop
	s_delay_alu instid0(TRANS32_DEP_1) | instskip(NEXT) | instid1(VALU_DEP_1)
	v_fma_f32 v182, -v178, v181, 1.0
	v_fmac_f32_e32 v181, v182, v181
	s_delay_alu instid0(VALU_DEP_1) | instskip(NEXT) | instid1(VALU_DEP_1)
	v_mul_f32_e32 v182, v183, v181
	v_fma_f32 v184, -v178, v182, v183
	s_delay_alu instid0(VALU_DEP_1) | instskip(NEXT) | instid1(VALU_DEP_1)
	v_fmac_f32_e32 v182, v184, v181
	v_fma_f32 v178, -v178, v182, v183
	s_delay_alu instid0(VALU_DEP_1) | instskip(NEXT) | instid1(VALU_DEP_1)
	v_div_fmas_f32 v178, v178, v181, v182
	v_div_fixup_f32 v178, v178, v179, 1.0
	s_delay_alu instid0(VALU_DEP_1)
	v_mul_f32_e32 v180, v180, v178
	v_xor_b32_e32 v181, 0x80000000, v178
                                        ; implicit-def: $vgpr178_vgpr179
.LBB67_185:
	s_and_not1_saveexec_b32 s1, s1
	s_cbranch_execz .LBB67_187
; %bb.186:
	v_div_scale_f32 v180, null, v178, v178, v179
	v_div_scale_f32 v183, vcc_lo, v179, v178, v179
	s_delay_alu instid0(VALU_DEP_2) | instskip(SKIP_1) | instid1(TRANS32_DEP_1)
	v_rcp_f32_e32 v181, v180
	v_nop
	v_fma_f32 v182, -v180, v181, 1.0
	s_delay_alu instid0(VALU_DEP_1) | instskip(NEXT) | instid1(VALU_DEP_1)
	v_fmac_f32_e32 v181, v182, v181
	v_mul_f32_e32 v182, v183, v181
	s_delay_alu instid0(VALU_DEP_1) | instskip(NEXT) | instid1(VALU_DEP_1)
	v_fma_f32 v184, -v180, v182, v183
	v_fmac_f32_e32 v182, v184, v181
	s_delay_alu instid0(VALU_DEP_1) | instskip(NEXT) | instid1(VALU_DEP_1)
	v_fma_f32 v180, -v180, v182, v183
	v_div_fmas_f32 v180, v180, v181, v182
	s_delay_alu instid0(VALU_DEP_1) | instskip(NEXT) | instid1(VALU_DEP_1)
	v_div_fixup_f32 v181, v180, v178, v179
	v_fmac_f32_e32 v178, v179, v181
	s_delay_alu instid0(VALU_DEP_1) | instskip(NEXT) | instid1(VALU_DEP_1)
	v_div_scale_f32 v179, null, v178, v178, 1.0
	v_rcp_f32_e32 v180, v179
	v_nop
	s_delay_alu instid0(TRANS32_DEP_1) | instskip(NEXT) | instid1(VALU_DEP_1)
	v_fma_f32 v182, -v179, v180, 1.0
	v_fmac_f32_e32 v180, v182, v180
	v_div_scale_f32 v182, vcc_lo, 1.0, v178, 1.0
	s_delay_alu instid0(VALU_DEP_1) | instskip(NEXT) | instid1(VALU_DEP_1)
	v_mul_f32_e32 v183, v182, v180
	v_fma_f32 v184, -v179, v183, v182
	s_delay_alu instid0(VALU_DEP_1) | instskip(NEXT) | instid1(VALU_DEP_1)
	v_fmac_f32_e32 v183, v184, v180
	v_fma_f32 v179, -v179, v183, v182
	s_delay_alu instid0(VALU_DEP_1) | instskip(NEXT) | instid1(VALU_DEP_1)
	v_div_fmas_f32 v179, v179, v180, v183
	v_div_fixup_f32 v180, v179, v178, 1.0
	s_delay_alu instid0(VALU_DEP_1)
	v_mul_f32_e64 v181, v181, -v180
.LBB67_187:
	s_or_b32 exec_lo, exec_lo, s1
	ds_store_b64 v207, v[180:181]
.LBB67_188:
	s_or_b32 exec_lo, exec_lo, s2
	s_wait_dscnt 0x0
	s_barrier_signal -1
	s_barrier_wait -1
	ds_load_b64 v[178:179], v207
	s_mov_b32 s1, exec_lo
	v_cmpx_lt_u32_e32 20, v206
	s_cbranch_execz .LBB67_190
; %bb.189:
	ds_load_2addr_b64 v[180:183], v208 offset0:21 offset1:22
	ds_load_2addr_b64 v[184:187], v208 offset0:23 offset1:24
	ds_load_2addr_b64 v[188:191], v208 offset0:25 offset1:26
	s_wait_dscnt 0x3
	v_pk_mul_f32 v[192:193], v[178:179], v[128:129] op_sel:[1,1] op_sel_hi:[0,1]
	s_delay_alu instid0(VALU_DEP_1)
	v_pk_fma_f32 v[200:201], v[178:179], v[128:129], v[192:193] op_sel_hi:[1,0,1] neg_lo:[0,0,1] neg_hi:[0,0,1]
	v_pk_fma_f32 v[202:203], v[178:179], v[128:129], v[192:193] op_sel_hi:[1,0,1]
	ds_load_2addr_b64 v[192:195], v208 offset0:27 offset1:28
	ds_load_2addr_b64 v[196:199], v208 offset0:29 offset1:30
	v_dual_mov_b32 v128, v200 :: v_dual_mov_b32 v129, v203
	s_wait_dscnt 0x4
	v_pk_mul_f32 v[204:205], v[180:181], v[202:203] op_sel:[0,1]
	v_pk_mul_f32 v[210:211], v[182:183], v[202:203] op_sel:[0,1]
	s_wait_dscnt 0x3
	v_pk_mul_f32 v[212:213], v[184:185], v[202:203] op_sel:[0,1]
	v_dual_mov_b32 v214, v187 :: v_dual_mov_b32 v215, v186
	v_dual_mul_f32 v216, v187, v203 :: v_dual_mul_f32 v218, v187, v200
	s_wait_dscnt 0x2
	v_pk_mul_f32 v[220:221], v[188:189], v[202:203] op_sel:[0,1]
	v_pk_fma_f32 v[224:225], v[180:181], v[200:201], v[204:205] op_sel:[0,0,1] op_sel_hi:[1,1,0] neg_lo:[0,0,1] neg_hi:[0,0,1]
	v_pk_fma_f32 v[180:181], v[180:181], v[200:201], v[204:205] op_sel:[0,0,1] op_sel_hi:[1,0,0]
	v_pk_fma_f32 v[204:205], v[182:183], v[200:201], v[210:211] op_sel:[0,0,1] op_sel_hi:[1,1,0] neg_lo:[0,0,1] neg_hi:[0,0,1]
	v_pk_fma_f32 v[182:183], v[182:183], v[200:201], v[210:211] op_sel:[0,0,1] op_sel_hi:[1,0,0]
	;; [unrolled: 2-line block ×3, first 2 shown]
	v_pk_fma_f32 v[212:213], v[214:215], v[128:129], v[218:219] op_sel_hi:[1,1,0]
	v_pk_fma_f32 v[186:187], v[186:187], v[128:129], v[216:217] op_sel_hi:[1,1,0] neg_lo:[0,0,1] neg_hi:[0,0,1]
	v_pk_mul_f32 v[222:223], v[190:191], v[202:203] op_sel:[0,1]
	v_dual_mov_b32 v225, v181 :: v_dual_mov_b32 v205, v183
	s_delay_alu instid0(VALU_DEP_4)
	v_dual_mov_b32 v211, v185 :: v_dual_mov_b32 v187, v213
	v_pk_fma_f32 v[180:181], v[188:189], v[200:201], v[220:221] op_sel:[0,0,1] op_sel_hi:[1,0,0]
	v_pk_fma_f32 v[184:185], v[188:189], v[200:201], v[220:221] op_sel:[0,0,1] op_sel_hi:[1,1,0] neg_lo:[0,0,1] neg_hi:[0,0,1]
	v_pk_fma_f32 v[188:189], v[190:191], v[200:201], v[222:223] op_sel:[0,0,1] op_sel_hi:[1,1,0] neg_lo:[0,0,1] neg_hi:[0,0,1]
	v_pk_add_f32 v[136:137], v[136:137], v[204:205] neg_lo:[0,1] neg_hi:[0,1]
	v_pk_add_f32 v[132:133], v[132:133], v[186:187] neg_lo:[0,1] neg_hi:[0,1]
	v_pk_fma_f32 v[186:187], v[190:191], v[200:201], v[222:223] op_sel:[0,0,1] op_sel_hi:[1,0,0]
	v_mov_b32_e32 v185, v181
	s_wait_dscnt 0x1
	v_pk_mul_f32 v[190:191], v[192:193], v[202:203] op_sel:[0,1]
	ds_load_2addr_b64 v[180:183], v208 offset0:31 offset1:32
	v_pk_add_f32 v[126:127], v[126:127], v[224:225] neg_lo:[0,1] neg_hi:[0,1]
	v_mov_b32_e32 v189, v187
	v_pk_add_f32 v[102:103], v[102:103], v[184:185] neg_lo:[0,1] neg_hi:[0,1]
	ds_load_b64 v[184:185], v208 offset:264
	v_pk_mul_f32 v[186:187], v[194:195], v[202:203] op_sel:[0,1]
	v_pk_fma_f32 v[204:205], v[192:193], v[200:201], v[190:191] op_sel:[0,0,1] op_sel_hi:[1,0,0]
	v_pk_add_f32 v[104:105], v[104:105], v[188:189] neg_lo:[0,1] neg_hi:[0,1]
	v_pk_fma_f32 v[190:191], v[192:193], v[200:201], v[190:191] op_sel:[0,0,1] op_sel_hi:[1,1,0] neg_lo:[0,0,1] neg_hi:[0,0,1]
	s_wait_dscnt 0x2
	v_mul_f32_e32 v192, v197, v203
	v_pk_fma_f32 v[188:189], v[194:195], v[200:201], v[186:187] op_sel:[0,0,1] op_sel_hi:[1,0,0]
	v_mul_f32_e32 v188, v197, v200
	v_mov_b32_e32 v191, v205
	v_pk_fma_f32 v[186:187], v[194:195], v[200:201], v[186:187] op_sel:[0,0,1] op_sel_hi:[1,1,0] neg_lo:[0,0,1] neg_hi:[0,0,1]
	v_pk_add_f32 v[124:125], v[124:125], v[210:211] neg_lo:[0,1] neg_hi:[0,1]
	v_mov_b32_e32 v187, v189
	v_pk_fma_f32 v[188:189], v[196:197], v[128:129], v[188:189] op_sel:[1,0,0] op_sel_hi:[0,1,0]
	v_pk_add_f32 v[100:101], v[100:101], v[190:191] neg_lo:[0,1] neg_hi:[0,1]
	v_pk_mul_f32 v[190:191], v[198:199], v[202:203] op_sel:[0,1]
	s_delay_alu instid0(VALU_DEP_4)
	v_pk_add_f32 v[118:119], v[118:119], v[186:187] neg_lo:[0,1] neg_hi:[0,1]
	v_pk_fma_f32 v[186:187], v[196:197], v[128:129], v[192:193] op_sel_hi:[1,1,0] neg_lo:[0,0,1] neg_hi:[0,0,1]
	s_wait_dscnt 0x1
	v_pk_mul_f32 v[194:195], v[182:183], v[202:203] op_sel:[0,1]
	v_pk_fma_f32 v[192:193], v[198:199], v[200:201], v[190:191] op_sel:[0,0,1] op_sel_hi:[1,0,0]
	v_mov_b32_e32 v187, v189
	v_pk_mul_f32 v[188:189], v[180:181], v[202:203] op_sel:[0,1]
	s_wait_dscnt 0x0
	v_pk_mul_f32 v[196:197], v[184:185], v[202:203] op_sel:[0,1]
	v_pk_fma_f32 v[190:191], v[198:199], v[200:201], v[190:191] op_sel:[0,0,1] op_sel_hi:[1,1,0] neg_lo:[0,0,1] neg_hi:[0,0,1]
	v_mov_b32_e32 v191, v193
	v_pk_fma_f32 v[192:193], v[182:183], v[200:201], v[194:195] op_sel:[0,0,1] op_sel_hi:[1,0,0]
	v_pk_fma_f32 v[198:199], v[180:181], v[200:201], v[188:189] op_sel:[0,0,1] op_sel_hi:[1,0,0]
	v_pk_fma_f32 v[180:181], v[180:181], v[200:201], v[188:189] op_sel:[0,0,1] op_sel_hi:[1,1,0] neg_lo:[0,0,1] neg_hi:[0,0,1]
	v_pk_fma_f32 v[188:189], v[184:185], v[200:201], v[196:197] op_sel:[0,0,1] op_sel_hi:[1,0,0]
	v_pk_fma_f32 v[182:183], v[182:183], v[200:201], v[194:195] op_sel:[0,0,1] op_sel_hi:[1,1,0] neg_lo:[0,0,1] neg_hi:[0,0,1]
	v_pk_fma_f32 v[184:185], v[184:185], v[200:201], v[196:197] op_sel:[0,0,1] op_sel_hi:[1,1,0] neg_lo:[0,0,1] neg_hi:[0,0,1]
	v_dual_mov_b32 v181, v199 :: v_dual_mov_b32 v183, v193
	s_delay_alu instid0(VALU_DEP_4) | instskip(SKIP_2) | instid1(VALU_DEP_4)
	v_mov_b32_e32 v185, v189
	v_pk_add_f32 v[116:117], v[116:117], v[186:187] neg_lo:[0,1] neg_hi:[0,1]
	v_pk_add_f32 v[130:131], v[130:131], v[190:191] neg_lo:[0,1] neg_hi:[0,1]
	;; [unrolled: 1-line block ×5, first 2 shown]
.LBB67_190:
	s_or_b32 exec_lo, exec_lo, s1
	s_delay_alu instid0(SALU_CYCLE_1)
	s_mov_b32 s2, exec_lo
	s_wait_dscnt 0x0
	s_barrier_signal -1
	s_barrier_wait -1
	v_cmpx_eq_u32_e32 21, v206
	s_cbranch_execz .LBB67_197
; %bb.191:
	v_dual_mov_b32 v180, v136 :: v_dual_mov_b32 v181, v137
	v_dual_mov_b32 v182, v124 :: v_dual_mov_b32 v183, v125
	;; [unrolled: 1-line block ×10, first 2 shown]
	ds_store_b64 v207, v[126:127]
	v_dual_mov_b32 v200, v120 :: v_dual_mov_b32 v201, v121
	ds_store_2addr_b64 v208, v[180:181], v[182:183] offset0:22 offset1:23
	ds_store_2addr_b64 v208, v[184:185], v[186:187] offset0:24 offset1:25
	;; [unrolled: 1-line block ×6, first 2 shown]
	ds_load_b64 v[180:181], v207
	s_wait_dscnt 0x0
	v_cmp_neq_f32_e32 vcc_lo, 0, v180
	v_cmp_neq_f32_e64 s1, 0, v181
	s_or_b32 s1, vcc_lo, s1
	s_delay_alu instid0(SALU_CYCLE_1)
	s_and_b32 exec_lo, exec_lo, s1
	s_cbranch_execz .LBB67_197
; %bb.192:
	v_cmp_ngt_f32_e64 s1, |v180|, |v181|
                                        ; implicit-def: $vgpr182_vgpr183
	s_and_saveexec_b32 s4, s1
	s_delay_alu instid0(SALU_CYCLE_1)
	s_xor_b32 s1, exec_lo, s4
	s_cbranch_execz .LBB67_194
; %bb.193:
	v_div_scale_f32 v182, null, v181, v181, v180
	v_div_scale_f32 v185, vcc_lo, v180, v181, v180
	s_delay_alu instid0(VALU_DEP_2) | instskip(SKIP_1) | instid1(TRANS32_DEP_1)
	v_rcp_f32_e32 v183, v182
	v_nop
	v_fma_f32 v184, -v182, v183, 1.0
	s_delay_alu instid0(VALU_DEP_1) | instskip(NEXT) | instid1(VALU_DEP_1)
	v_fmac_f32_e32 v183, v184, v183
	v_mul_f32_e32 v184, v185, v183
	s_delay_alu instid0(VALU_DEP_1) | instskip(NEXT) | instid1(VALU_DEP_1)
	v_fma_f32 v186, -v182, v184, v185
	v_fmac_f32_e32 v184, v186, v183
	s_delay_alu instid0(VALU_DEP_1) | instskip(NEXT) | instid1(VALU_DEP_1)
	v_fma_f32 v182, -v182, v184, v185
	v_div_fmas_f32 v182, v182, v183, v184
	s_delay_alu instid0(VALU_DEP_1) | instskip(NEXT) | instid1(VALU_DEP_1)
	v_div_fixup_f32 v182, v182, v181, v180
	v_fmac_f32_e32 v181, v180, v182
	s_delay_alu instid0(VALU_DEP_1) | instskip(SKIP_1) | instid1(VALU_DEP_2)
	v_div_scale_f32 v180, null, v181, v181, 1.0
	v_div_scale_f32 v185, vcc_lo, 1.0, v181, 1.0
	v_rcp_f32_e32 v183, v180
	v_nop
	s_delay_alu instid0(TRANS32_DEP_1) | instskip(NEXT) | instid1(VALU_DEP_1)
	v_fma_f32 v184, -v180, v183, 1.0
	v_fmac_f32_e32 v183, v184, v183
	s_delay_alu instid0(VALU_DEP_1) | instskip(NEXT) | instid1(VALU_DEP_1)
	v_mul_f32_e32 v184, v185, v183
	v_fma_f32 v186, -v180, v184, v185
	s_delay_alu instid0(VALU_DEP_1) | instskip(NEXT) | instid1(VALU_DEP_1)
	v_fmac_f32_e32 v184, v186, v183
	v_fma_f32 v180, -v180, v184, v185
	s_delay_alu instid0(VALU_DEP_1) | instskip(NEXT) | instid1(VALU_DEP_1)
	v_div_fmas_f32 v180, v180, v183, v184
	v_div_fixup_f32 v180, v180, v181, 1.0
	s_delay_alu instid0(VALU_DEP_1)
	v_mul_f32_e32 v182, v182, v180
	v_xor_b32_e32 v183, 0x80000000, v180
                                        ; implicit-def: $vgpr180_vgpr181
.LBB67_194:
	s_and_not1_saveexec_b32 s1, s1
	s_cbranch_execz .LBB67_196
; %bb.195:
	v_div_scale_f32 v182, null, v180, v180, v181
	v_div_scale_f32 v185, vcc_lo, v181, v180, v181
	s_delay_alu instid0(VALU_DEP_2) | instskip(SKIP_1) | instid1(TRANS32_DEP_1)
	v_rcp_f32_e32 v183, v182
	v_nop
	v_fma_f32 v184, -v182, v183, 1.0
	s_delay_alu instid0(VALU_DEP_1) | instskip(NEXT) | instid1(VALU_DEP_1)
	v_fmac_f32_e32 v183, v184, v183
	v_mul_f32_e32 v184, v185, v183
	s_delay_alu instid0(VALU_DEP_1) | instskip(NEXT) | instid1(VALU_DEP_1)
	v_fma_f32 v186, -v182, v184, v185
	v_fmac_f32_e32 v184, v186, v183
	s_delay_alu instid0(VALU_DEP_1) | instskip(NEXT) | instid1(VALU_DEP_1)
	v_fma_f32 v182, -v182, v184, v185
	v_div_fmas_f32 v182, v182, v183, v184
	s_delay_alu instid0(VALU_DEP_1) | instskip(NEXT) | instid1(VALU_DEP_1)
	v_div_fixup_f32 v183, v182, v180, v181
	v_fmac_f32_e32 v180, v181, v183
	s_delay_alu instid0(VALU_DEP_1) | instskip(NEXT) | instid1(VALU_DEP_1)
	v_div_scale_f32 v181, null, v180, v180, 1.0
	v_rcp_f32_e32 v182, v181
	v_nop
	s_delay_alu instid0(TRANS32_DEP_1) | instskip(NEXT) | instid1(VALU_DEP_1)
	v_fma_f32 v184, -v181, v182, 1.0
	v_fmac_f32_e32 v182, v184, v182
	v_div_scale_f32 v184, vcc_lo, 1.0, v180, 1.0
	s_delay_alu instid0(VALU_DEP_1) | instskip(NEXT) | instid1(VALU_DEP_1)
	v_mul_f32_e32 v185, v184, v182
	v_fma_f32 v186, -v181, v185, v184
	s_delay_alu instid0(VALU_DEP_1) | instskip(NEXT) | instid1(VALU_DEP_1)
	v_fmac_f32_e32 v185, v186, v182
	v_fma_f32 v181, -v181, v185, v184
	s_delay_alu instid0(VALU_DEP_1) | instskip(NEXT) | instid1(VALU_DEP_1)
	v_div_fmas_f32 v181, v181, v182, v185
	v_div_fixup_f32 v182, v181, v180, 1.0
	s_delay_alu instid0(VALU_DEP_1)
	v_mul_f32_e64 v183, v183, -v182
.LBB67_196:
	s_or_b32 exec_lo, exec_lo, s1
	ds_store_b64 v207, v[182:183]
.LBB67_197:
	s_or_b32 exec_lo, exec_lo, s2
	s_wait_dscnt 0x0
	s_barrier_signal -1
	s_barrier_wait -1
	ds_load_b64 v[180:181], v207
	s_mov_b32 s1, exec_lo
	v_cmpx_lt_u32_e32 21, v206
	s_cbranch_execz .LBB67_199
; %bb.198:
	ds_load_2addr_b64 v[182:185], v208 offset0:22 offset1:23
	ds_load_2addr_b64 v[186:189], v208 offset0:24 offset1:25
	;; [unrolled: 1-line block ×3, first 2 shown]
	s_wait_dscnt 0x3
	v_pk_mul_f32 v[194:195], v[180:181], v[126:127] op_sel:[1,1] op_sel_hi:[0,1]
	s_delay_alu instid0(VALU_DEP_1)
	v_pk_fma_f32 v[204:205], v[180:181], v[126:127], v[194:195] op_sel_hi:[1,0,1]
	v_pk_fma_f32 v[202:203], v[180:181], v[126:127], v[194:195] op_sel_hi:[1,0,1] neg_lo:[0,0,1] neg_hi:[0,0,1]
	ds_load_2addr_b64 v[194:197], v208 offset0:28 offset1:29
	ds_load_2addr_b64 v[198:201], v208 offset0:30 offset1:31
	v_dual_mov_b32 v127, v205 :: v_dual_mov_b32 v126, v202
	s_wait_dscnt 0x4
	v_pk_mul_f32 v[210:211], v[182:183], v[204:205] op_sel:[0,1]
	v_pk_mul_f32 v[212:213], v[184:185], v[204:205] op_sel:[0,1]
	s_wait_dscnt 0x3
	v_pk_mul_f32 v[214:215], v[186:187], v[204:205] op_sel:[0,1]
	s_wait_dscnt 0x2
	v_pk_mul_f32 v[222:223], v[190:191], v[204:205] op_sel:[0,1]
	v_dual_mov_b32 v216, v189 :: v_dual_mov_b32 v217, v188
	v_pk_fma_f32 v[226:227], v[182:183], v[202:203], v[210:211] op_sel:[0,0,1] op_sel_hi:[1,1,0] neg_lo:[0,0,1] neg_hi:[0,0,1]
	v_pk_fma_f32 v[182:183], v[182:183], v[202:203], v[210:211] op_sel:[0,0,1] op_sel_hi:[1,0,0]
	v_dual_mul_f32 v218, v189, v205 :: v_dual_mul_f32 v220, v189, v202
	v_pk_mul_f32 v[224:225], v[192:193], v[204:205] op_sel:[0,1]
	v_pk_fma_f32 v[210:211], v[184:185], v[202:203], v[212:213] op_sel:[0,0,1] op_sel_hi:[1,1,0] neg_lo:[0,0,1] neg_hi:[0,0,1]
	v_pk_fma_f32 v[184:185], v[184:185], v[202:203], v[212:213] op_sel:[0,0,1] op_sel_hi:[1,0,0]
	v_pk_fma_f32 v[212:213], v[186:187], v[202:203], v[214:215] op_sel:[0,0,1] op_sel_hi:[1,1,0] neg_lo:[0,0,1] neg_hi:[0,0,1]
	v_pk_fma_f32 v[186:187], v[186:187], v[202:203], v[214:215] op_sel:[0,0,1] op_sel_hi:[1,0,0]
	v_mov_b32_e32 v227, v183
	v_pk_fma_f32 v[182:183], v[190:191], v[202:203], v[222:223] op_sel:[0,0,1] op_sel_hi:[1,0,0]
	v_pk_fma_f32 v[214:215], v[216:217], v[126:127], v[220:221] op_sel_hi:[1,1,0]
	v_pk_fma_f32 v[216:217], v[190:191], v[202:203], v[222:223] op_sel:[0,0,1] op_sel_hi:[1,1,0] neg_lo:[0,0,1] neg_hi:[0,0,1]
	v_dual_mov_b32 v211, v185 :: v_dual_mov_b32 v213, v187
	v_pk_fma_f32 v[186:187], v[192:193], v[202:203], v[224:225] op_sel:[0,0,1] op_sel_hi:[1,0,0]
	v_mov_b32_e32 v217, v183
	ds_load_2addr_b64 v[182:185], v208 offset0:32 offset1:33
	v_pk_fma_f32 v[188:189], v[188:189], v[126:127], v[218:219] op_sel_hi:[1,1,0] neg_lo:[0,0,1] neg_hi:[0,0,1]
	v_mov_b32_e32 v189, v215
	s_wait_dscnt 0x2
	v_pk_mul_f32 v[190:191], v[194:195], v[204:205] op_sel:[0,1]
	v_pk_add_f32 v[136:137], v[136:137], v[226:227] neg_lo:[0,1] neg_hi:[0,1]
	v_pk_add_f32 v[124:125], v[124:125], v[210:211] neg_lo:[0,1] neg_hi:[0,1]
	;; [unrolled: 1-line block ×4, first 2 shown]
	v_pk_fma_f32 v[188:189], v[192:193], v[202:203], v[224:225] op_sel:[0,0,1] op_sel_hi:[1,1,0] neg_lo:[0,0,1] neg_hi:[0,0,1]
	v_pk_fma_f32 v[192:193], v[194:195], v[202:203], v[190:191] op_sel:[0,0,1] op_sel_hi:[1,0,0]
	v_mov_b32_e32 v189, v187
	v_pk_mul_f32 v[186:187], v[196:197], v[204:205] op_sel:[0,1]
	s_wait_dscnt 0x1
	v_mul_f32_e32 v192, v199, v202
	v_pk_fma_f32 v[190:191], v[194:195], v[202:203], v[190:191] op_sel:[0,0,1] op_sel_hi:[1,1,0] neg_lo:[0,0,1] neg_hi:[0,0,1]
	v_mov_b32_e32 v191, v193
	v_pk_add_f32 v[100:101], v[100:101], v[188:189] neg_lo:[0,1] neg_hi:[0,1]
	v_pk_fma_f32 v[188:189], v[196:197], v[202:203], v[186:187] op_sel:[0,0,1] op_sel_hi:[1,0,0]
	v_mul_f32_e32 v188, v199, v205
	v_pk_fma_f32 v[192:193], v[198:199], v[126:127], v[192:193] op_sel:[1,0,0] op_sel_hi:[0,1,0]
	v_pk_add_f32 v[118:119], v[118:119], v[190:191] neg_lo:[0,1] neg_hi:[0,1]
	v_pk_fma_f32 v[186:187], v[196:197], v[202:203], v[186:187] op_sel:[0,0,1] op_sel_hi:[1,1,0] neg_lo:[0,0,1] neg_hi:[0,0,1]
	v_pk_mul_f32 v[190:191], v[200:201], v[204:205] op_sel:[0,1]
	v_mov_b32_e32 v187, v189
	v_pk_fma_f32 v[188:189], v[198:199], v[126:127], v[188:189] op_sel_hi:[1,1,0] neg_lo:[0,0,1] neg_hi:[0,0,1]
	s_wait_dscnt 0x0
	v_dual_mov_b32 v189, v193 :: v_dual_mov_b32 v194, v185
	v_pk_mul_f32 v[192:193], v[182:183], v[204:205] op_sel:[0,1]
	v_dual_mov_b32 v195, v184 :: v_dual_mul_f32 v196, v185, v202
	v_pk_fma_f32 v[198:199], v[200:201], v[202:203], v[190:191] op_sel:[0,0,1] op_sel_hi:[1,0,0]
	v_mul_f32_e32 v198, v185, v205
	v_pk_fma_f32 v[190:191], v[200:201], v[202:203], v[190:191] op_sel:[0,0,1] op_sel_hi:[1,1,0] neg_lo:[0,0,1] neg_hi:[0,0,1]
	v_pk_fma_f32 v[200:201], v[182:183], v[202:203], v[192:193] op_sel:[0,0,1] op_sel_hi:[1,0,0]
	v_pk_fma_f32 v[194:195], v[194:195], v[126:127], v[196:197] op_sel_hi:[1,1,0]
	v_mov_b32_e32 v191, v199
	v_pk_fma_f32 v[182:183], v[182:183], v[202:203], v[192:193] op_sel:[0,0,1] op_sel_hi:[1,1,0] neg_lo:[0,0,1] neg_hi:[0,0,1]
	v_pk_fma_f32 v[184:185], v[184:185], v[126:127], v[198:199] op_sel_hi:[1,1,0] neg_lo:[0,0,1] neg_hi:[0,0,1]
	s_delay_alu instid0(VALU_DEP_4)
	v_dual_mov_b32 v183, v201 :: v_dual_mov_b32 v185, v195
	v_pk_add_f32 v[104:105], v[104:105], v[216:217] neg_lo:[0,1] neg_hi:[0,1]
	v_pk_add_f32 v[116:117], v[116:117], v[186:187] neg_lo:[0,1] neg_hi:[0,1]
	;; [unrolled: 1-line block ×6, first 2 shown]
.LBB67_199:
	s_or_b32 exec_lo, exec_lo, s1
	s_delay_alu instid0(SALU_CYCLE_1)
	s_mov_b32 s2, exec_lo
	s_wait_dscnt 0x0
	s_barrier_signal -1
	s_barrier_wait -1
	v_cmpx_eq_u32_e32 22, v206
	s_cbranch_execz .LBB67_206
; %bb.200:
	ds_store_b64 v207, v[136:137]
	ds_store_2addr_b64 v208, v[124:125], v[132:133] offset0:23 offset1:24
	ds_store_2addr_b64 v208, v[102:103], v[104:105] offset0:25 offset1:26
	;; [unrolled: 1-line block ×5, first 2 shown]
	ds_store_b64 v208, v[134:135] offset:264
	ds_load_b64 v[182:183], v207
	s_wait_dscnt 0x0
	v_cmp_neq_f32_e32 vcc_lo, 0, v182
	v_cmp_neq_f32_e64 s1, 0, v183
	s_or_b32 s1, vcc_lo, s1
	s_delay_alu instid0(SALU_CYCLE_1)
	s_and_b32 exec_lo, exec_lo, s1
	s_cbranch_execz .LBB67_206
; %bb.201:
	v_cmp_ngt_f32_e64 s1, |v182|, |v183|
                                        ; implicit-def: $vgpr184_vgpr185
	s_and_saveexec_b32 s4, s1
	s_delay_alu instid0(SALU_CYCLE_1)
	s_xor_b32 s1, exec_lo, s4
	s_cbranch_execz .LBB67_203
; %bb.202:
	v_div_scale_f32 v184, null, v183, v183, v182
	v_div_scale_f32 v187, vcc_lo, v182, v183, v182
	s_delay_alu instid0(VALU_DEP_2) | instskip(SKIP_1) | instid1(TRANS32_DEP_1)
	v_rcp_f32_e32 v185, v184
	v_nop
	v_fma_f32 v186, -v184, v185, 1.0
	s_delay_alu instid0(VALU_DEP_1) | instskip(NEXT) | instid1(VALU_DEP_1)
	v_fmac_f32_e32 v185, v186, v185
	v_mul_f32_e32 v186, v187, v185
	s_delay_alu instid0(VALU_DEP_1) | instskip(NEXT) | instid1(VALU_DEP_1)
	v_fma_f32 v188, -v184, v186, v187
	v_fmac_f32_e32 v186, v188, v185
	s_delay_alu instid0(VALU_DEP_1) | instskip(NEXT) | instid1(VALU_DEP_1)
	v_fma_f32 v184, -v184, v186, v187
	v_div_fmas_f32 v184, v184, v185, v186
	s_delay_alu instid0(VALU_DEP_1) | instskip(NEXT) | instid1(VALU_DEP_1)
	v_div_fixup_f32 v184, v184, v183, v182
	v_fmac_f32_e32 v183, v182, v184
	s_delay_alu instid0(VALU_DEP_1) | instskip(SKIP_1) | instid1(VALU_DEP_2)
	v_div_scale_f32 v182, null, v183, v183, 1.0
	v_div_scale_f32 v187, vcc_lo, 1.0, v183, 1.0
	v_rcp_f32_e32 v185, v182
	v_nop
	s_delay_alu instid0(TRANS32_DEP_1) | instskip(NEXT) | instid1(VALU_DEP_1)
	v_fma_f32 v186, -v182, v185, 1.0
	v_fmac_f32_e32 v185, v186, v185
	s_delay_alu instid0(VALU_DEP_1) | instskip(NEXT) | instid1(VALU_DEP_1)
	v_mul_f32_e32 v186, v187, v185
	v_fma_f32 v188, -v182, v186, v187
	s_delay_alu instid0(VALU_DEP_1) | instskip(NEXT) | instid1(VALU_DEP_1)
	v_fmac_f32_e32 v186, v188, v185
	v_fma_f32 v182, -v182, v186, v187
	s_delay_alu instid0(VALU_DEP_1) | instskip(NEXT) | instid1(VALU_DEP_1)
	v_div_fmas_f32 v182, v182, v185, v186
	v_div_fixup_f32 v182, v182, v183, 1.0
	s_delay_alu instid0(VALU_DEP_1)
	v_mul_f32_e32 v184, v184, v182
	v_xor_b32_e32 v185, 0x80000000, v182
                                        ; implicit-def: $vgpr182_vgpr183
.LBB67_203:
	s_and_not1_saveexec_b32 s1, s1
	s_cbranch_execz .LBB67_205
; %bb.204:
	v_div_scale_f32 v184, null, v182, v182, v183
	v_div_scale_f32 v187, vcc_lo, v183, v182, v183
	s_delay_alu instid0(VALU_DEP_2) | instskip(SKIP_1) | instid1(TRANS32_DEP_1)
	v_rcp_f32_e32 v185, v184
	v_nop
	v_fma_f32 v186, -v184, v185, 1.0
	s_delay_alu instid0(VALU_DEP_1) | instskip(NEXT) | instid1(VALU_DEP_1)
	v_fmac_f32_e32 v185, v186, v185
	v_mul_f32_e32 v186, v187, v185
	s_delay_alu instid0(VALU_DEP_1) | instskip(NEXT) | instid1(VALU_DEP_1)
	v_fma_f32 v188, -v184, v186, v187
	v_fmac_f32_e32 v186, v188, v185
	s_delay_alu instid0(VALU_DEP_1) | instskip(NEXT) | instid1(VALU_DEP_1)
	v_fma_f32 v184, -v184, v186, v187
	v_div_fmas_f32 v184, v184, v185, v186
	s_delay_alu instid0(VALU_DEP_1) | instskip(NEXT) | instid1(VALU_DEP_1)
	v_div_fixup_f32 v185, v184, v182, v183
	v_fmac_f32_e32 v182, v183, v185
	s_delay_alu instid0(VALU_DEP_1) | instskip(NEXT) | instid1(VALU_DEP_1)
	v_div_scale_f32 v183, null, v182, v182, 1.0
	v_rcp_f32_e32 v184, v183
	v_nop
	s_delay_alu instid0(TRANS32_DEP_1) | instskip(NEXT) | instid1(VALU_DEP_1)
	v_fma_f32 v186, -v183, v184, 1.0
	v_fmac_f32_e32 v184, v186, v184
	v_div_scale_f32 v186, vcc_lo, 1.0, v182, 1.0
	s_delay_alu instid0(VALU_DEP_1) | instskip(NEXT) | instid1(VALU_DEP_1)
	v_mul_f32_e32 v187, v186, v184
	v_fma_f32 v188, -v183, v187, v186
	s_delay_alu instid0(VALU_DEP_1) | instskip(NEXT) | instid1(VALU_DEP_1)
	v_fmac_f32_e32 v187, v188, v184
	v_fma_f32 v183, -v183, v187, v186
	s_delay_alu instid0(VALU_DEP_1) | instskip(NEXT) | instid1(VALU_DEP_1)
	v_div_fmas_f32 v183, v183, v184, v187
	v_div_fixup_f32 v184, v183, v182, 1.0
	s_delay_alu instid0(VALU_DEP_1)
	v_mul_f32_e64 v185, v185, -v184
.LBB67_205:
	s_or_b32 exec_lo, exec_lo, s1
	ds_store_b64 v207, v[184:185]
.LBB67_206:
	s_or_b32 exec_lo, exec_lo, s2
	s_wait_dscnt 0x0
	s_barrier_signal -1
	s_barrier_wait -1
	ds_load_b64 v[182:183], v207
	s_mov_b32 s1, exec_lo
	v_cmpx_lt_u32_e32 22, v206
	s_cbranch_execz .LBB67_208
; %bb.207:
	ds_load_2addr_b64 v[184:187], v208 offset0:23 offset1:24
	ds_load_2addr_b64 v[188:191], v208 offset0:25 offset1:26
	;; [unrolled: 1-line block ×3, first 2 shown]
	s_wait_dscnt 0x3
	v_pk_mul_f32 v[196:197], v[182:183], v[136:137] op_sel:[1,1] op_sel_hi:[0,1]
	s_delay_alu instid0(VALU_DEP_1)
	v_pk_fma_f32 v[204:205], v[182:183], v[136:137], v[196:197] op_sel_hi:[1,0,1] neg_lo:[0,0,1] neg_hi:[0,0,1]
	v_pk_fma_f32 v[210:211], v[182:183], v[136:137], v[196:197] op_sel_hi:[1,0,1]
	ds_load_2addr_b64 v[196:199], v208 offset0:29 offset1:30
	ds_load_2addr_b64 v[200:203], v208 offset0:31 offset1:32
	ds_load_b64 v[212:213], v208 offset:264
	v_dual_mov_b32 v136, v204 :: v_dual_mov_b32 v137, v211
	s_wait_dscnt 0x5
	v_pk_mul_f32 v[214:215], v[184:185], v[210:211] op_sel:[0,1]
	v_pk_mul_f32 v[216:217], v[186:187], v[210:211] op_sel:[0,1]
	s_wait_dscnt 0x4
	v_pk_mul_f32 v[218:219], v[188:189], v[210:211] op_sel:[0,1]
	v_dual_mov_b32 v220, v191 :: v_dual_mov_b32 v221, v190
	v_dual_mul_f32 v222, v191, v211 :: v_dual_mul_f32 v224, v191, v204
	s_wait_dscnt 0x3
	v_pk_mul_f32 v[226:227], v[192:193], v[210:211] op_sel:[0,1]
	v_pk_fma_f32 v[230:231], v[184:185], v[204:205], v[214:215] op_sel:[0,0,1] op_sel_hi:[1,1,0] neg_lo:[0,0,1] neg_hi:[0,0,1]
	v_pk_fma_f32 v[184:185], v[184:185], v[204:205], v[214:215] op_sel:[0,0,1] op_sel_hi:[1,0,0]
	v_pk_mul_f32 v[228:229], v[194:195], v[210:211] op_sel:[0,1]
	v_pk_fma_f32 v[214:215], v[186:187], v[204:205], v[216:217] op_sel:[0,0,1] op_sel_hi:[1,1,0] neg_lo:[0,0,1] neg_hi:[0,0,1]
	v_pk_fma_f32 v[186:187], v[186:187], v[204:205], v[216:217] op_sel:[0,0,1] op_sel_hi:[1,0,0]
	v_pk_fma_f32 v[216:217], v[188:189], v[204:205], v[218:219] op_sel:[0,0,1] op_sel_hi:[1,1,0] neg_lo:[0,0,1] neg_hi:[0,0,1]
	v_pk_fma_f32 v[188:189], v[188:189], v[204:205], v[218:219] op_sel:[0,0,1] op_sel_hi:[1,0,0]
	v_pk_fma_f32 v[218:219], v[220:221], v[136:137], v[224:225] op_sel_hi:[1,1,0]
	s_delay_alu instid0(VALU_DEP_4)
	v_dual_mov_b32 v231, v185 :: v_dual_mov_b32 v215, v187
	v_pk_fma_f32 v[184:185], v[192:193], v[204:205], v[226:227] op_sel:[0,0,1] op_sel_hi:[1,0,0]
	v_pk_fma_f32 v[186:187], v[194:195], v[204:205], v[228:229] op_sel:[0,0,1] op_sel_hi:[1,0,0]
	v_mov_b32_e32 v217, v189
	v_pk_fma_f32 v[188:189], v[192:193], v[204:205], v[226:227] op_sel:[0,0,1] op_sel_hi:[1,1,0] neg_lo:[0,0,1] neg_hi:[0,0,1]
	s_wait_dscnt 0x2
	v_pk_mul_f32 v[192:193], v[196:197], v[210:211] op_sel:[0,1]
	v_pk_fma_f32 v[190:191], v[190:191], v[136:137], v[222:223] op_sel_hi:[1,1,0] neg_lo:[0,0,1] neg_hi:[0,0,1]
	v_dual_mov_b32 v191, v219 :: v_dual_mov_b32 v189, v185
	v_pk_fma_f32 v[184:185], v[194:195], v[204:205], v[228:229] op_sel:[0,0,1] op_sel_hi:[1,1,0] neg_lo:[0,0,1] neg_hi:[0,0,1]
	v_mov_b32_e32 v185, v187
	v_pk_fma_f32 v[186:187], v[196:197], v[204:205], v[192:193] op_sel:[0,0,1] op_sel_hi:[1,0,0]
	s_delay_alu instid0(VALU_DEP_4)
	v_pk_add_f32 v[104:105], v[104:105], v[190:191] neg_lo:[0,1] neg_hi:[0,1]
	v_pk_mul_f32 v[190:191], v[198:199], v[210:211] op_sel:[0,1]
	v_pk_add_f32 v[100:101], v[100:101], v[188:189] neg_lo:[0,1] neg_hi:[0,1]
	v_pk_add_f32 v[118:119], v[118:119], v[184:185] neg_lo:[0,1] neg_hi:[0,1]
	v_pk_fma_f32 v[184:185], v[196:197], v[204:205], v[192:193] op_sel:[0,0,1] op_sel_hi:[1,1,0] neg_lo:[0,0,1] neg_hi:[0,0,1]
	s_wait_dscnt 0x1
	v_dual_mov_b32 v185, v187 :: v_dual_mul_f32 v188, v201, v204
	v_pk_mul_f32 v[192:193], v[202:203], v[210:211] op_sel:[0,1]
	s_wait_dscnt 0x0
	v_pk_mul_f32 v[194:195], v[212:213], v[210:211] op_sel:[0,1]
	v_pk_fma_f32 v[186:187], v[198:199], v[204:205], v[190:191] op_sel:[0,0,1] op_sel_hi:[1,1,0] neg_lo:[0,0,1] neg_hi:[0,0,1]
	v_pk_fma_f32 v[190:191], v[198:199], v[204:205], v[190:191] op_sel:[0,0,1] op_sel_hi:[1,0,0]
	v_mul_f32_e32 v190, v201, v211
	v_pk_fma_f32 v[188:189], v[200:201], v[136:137], v[188:189] op_sel:[1,0,0] op_sel_hi:[0,1,0]
	v_pk_fma_f32 v[196:197], v[202:203], v[204:205], v[192:193] op_sel:[0,0,1] op_sel_hi:[1,0,0]
	;; [unrolled: 1-line block ×3, first 2 shown]
	v_mov_b32_e32 v187, v191
	v_pk_fma_f32 v[190:191], v[200:201], v[136:137], v[190:191] op_sel_hi:[1,1,0] neg_lo:[0,0,1] neg_hi:[0,0,1]
	v_mov_b32_e32 v191, v189
	v_pk_fma_f32 v[188:189], v[202:203], v[204:205], v[192:193] op_sel:[0,0,1] op_sel_hi:[1,1,0] neg_lo:[0,0,1] neg_hi:[0,0,1]
	v_pk_fma_f32 v[192:193], v[212:213], v[204:205], v[194:195] op_sel:[0,0,1] op_sel_hi:[1,1,0] neg_lo:[0,0,1] neg_hi:[0,0,1]
	v_dual_mov_b32 v189, v197 :: v_dual_mov_b32 v193, v199
	v_pk_add_f32 v[124:125], v[124:125], v[230:231] neg_lo:[0,1] neg_hi:[0,1]
	v_pk_add_f32 v[132:133], v[132:133], v[214:215] neg_lo:[0,1] neg_hi:[0,1]
	;; [unrolled: 1-line block ×8, first 2 shown]
.LBB67_208:
	s_or_b32 exec_lo, exec_lo, s1
	s_delay_alu instid0(SALU_CYCLE_1)
	s_mov_b32 s2, exec_lo
	s_wait_dscnt 0x0
	s_barrier_signal -1
	s_barrier_wait -1
	v_cmpx_eq_u32_e32 23, v206
	s_cbranch_execz .LBB67_215
; %bb.209:
	v_dual_mov_b32 v184, v132 :: v_dual_mov_b32 v185, v133
	v_dual_mov_b32 v186, v102 :: v_dual_mov_b32 v187, v103
	;; [unrolled: 1-line block ×9, first 2 shown]
	ds_store_b64 v207, v[124:125]
	ds_store_2addr_b64 v208, v[184:185], v[186:187] offset0:24 offset1:25
	ds_store_2addr_b64 v208, v[188:189], v[190:191] offset0:26 offset1:27
	;; [unrolled: 1-line block ×5, first 2 shown]
	ds_load_b64 v[184:185], v207
	s_wait_dscnt 0x0
	v_cmp_neq_f32_e32 vcc_lo, 0, v184
	v_cmp_neq_f32_e64 s1, 0, v185
	s_or_b32 s1, vcc_lo, s1
	s_delay_alu instid0(SALU_CYCLE_1)
	s_and_b32 exec_lo, exec_lo, s1
	s_cbranch_execz .LBB67_215
; %bb.210:
	v_cmp_ngt_f32_e64 s1, |v184|, |v185|
                                        ; implicit-def: $vgpr186_vgpr187
	s_and_saveexec_b32 s4, s1
	s_delay_alu instid0(SALU_CYCLE_1)
	s_xor_b32 s1, exec_lo, s4
	s_cbranch_execz .LBB67_212
; %bb.211:
	v_div_scale_f32 v186, null, v185, v185, v184
	v_div_scale_f32 v189, vcc_lo, v184, v185, v184
	s_delay_alu instid0(VALU_DEP_2) | instskip(SKIP_1) | instid1(TRANS32_DEP_1)
	v_rcp_f32_e32 v187, v186
	v_nop
	v_fma_f32 v188, -v186, v187, 1.0
	s_delay_alu instid0(VALU_DEP_1) | instskip(NEXT) | instid1(VALU_DEP_1)
	v_fmac_f32_e32 v187, v188, v187
	v_mul_f32_e32 v188, v189, v187
	s_delay_alu instid0(VALU_DEP_1) | instskip(NEXT) | instid1(VALU_DEP_1)
	v_fma_f32 v190, -v186, v188, v189
	v_fmac_f32_e32 v188, v190, v187
	s_delay_alu instid0(VALU_DEP_1) | instskip(NEXT) | instid1(VALU_DEP_1)
	v_fma_f32 v186, -v186, v188, v189
	v_div_fmas_f32 v186, v186, v187, v188
	s_delay_alu instid0(VALU_DEP_1) | instskip(NEXT) | instid1(VALU_DEP_1)
	v_div_fixup_f32 v186, v186, v185, v184
	v_fmac_f32_e32 v185, v184, v186
	s_delay_alu instid0(VALU_DEP_1) | instskip(SKIP_1) | instid1(VALU_DEP_2)
	v_div_scale_f32 v184, null, v185, v185, 1.0
	v_div_scale_f32 v189, vcc_lo, 1.0, v185, 1.0
	v_rcp_f32_e32 v187, v184
	v_nop
	s_delay_alu instid0(TRANS32_DEP_1) | instskip(NEXT) | instid1(VALU_DEP_1)
	v_fma_f32 v188, -v184, v187, 1.0
	v_fmac_f32_e32 v187, v188, v187
	s_delay_alu instid0(VALU_DEP_1) | instskip(NEXT) | instid1(VALU_DEP_1)
	v_mul_f32_e32 v188, v189, v187
	v_fma_f32 v190, -v184, v188, v189
	s_delay_alu instid0(VALU_DEP_1) | instskip(NEXT) | instid1(VALU_DEP_1)
	v_fmac_f32_e32 v188, v190, v187
	v_fma_f32 v184, -v184, v188, v189
	s_delay_alu instid0(VALU_DEP_1) | instskip(NEXT) | instid1(VALU_DEP_1)
	v_div_fmas_f32 v184, v184, v187, v188
	v_div_fixup_f32 v184, v184, v185, 1.0
	s_delay_alu instid0(VALU_DEP_1)
	v_mul_f32_e32 v186, v186, v184
	v_xor_b32_e32 v187, 0x80000000, v184
                                        ; implicit-def: $vgpr184_vgpr185
.LBB67_212:
	s_and_not1_saveexec_b32 s1, s1
	s_cbranch_execz .LBB67_214
; %bb.213:
	v_div_scale_f32 v186, null, v184, v184, v185
	v_div_scale_f32 v189, vcc_lo, v185, v184, v185
	s_delay_alu instid0(VALU_DEP_2) | instskip(SKIP_1) | instid1(TRANS32_DEP_1)
	v_rcp_f32_e32 v187, v186
	v_nop
	v_fma_f32 v188, -v186, v187, 1.0
	s_delay_alu instid0(VALU_DEP_1) | instskip(NEXT) | instid1(VALU_DEP_1)
	v_fmac_f32_e32 v187, v188, v187
	v_mul_f32_e32 v188, v189, v187
	s_delay_alu instid0(VALU_DEP_1) | instskip(NEXT) | instid1(VALU_DEP_1)
	v_fma_f32 v190, -v186, v188, v189
	v_fmac_f32_e32 v188, v190, v187
	s_delay_alu instid0(VALU_DEP_1) | instskip(NEXT) | instid1(VALU_DEP_1)
	v_fma_f32 v186, -v186, v188, v189
	v_div_fmas_f32 v186, v186, v187, v188
	s_delay_alu instid0(VALU_DEP_1) | instskip(NEXT) | instid1(VALU_DEP_1)
	v_div_fixup_f32 v187, v186, v184, v185
	v_fmac_f32_e32 v184, v185, v187
	s_delay_alu instid0(VALU_DEP_1) | instskip(NEXT) | instid1(VALU_DEP_1)
	v_div_scale_f32 v185, null, v184, v184, 1.0
	v_rcp_f32_e32 v186, v185
	v_nop
	s_delay_alu instid0(TRANS32_DEP_1) | instskip(NEXT) | instid1(VALU_DEP_1)
	v_fma_f32 v188, -v185, v186, 1.0
	v_fmac_f32_e32 v186, v188, v186
	v_div_scale_f32 v188, vcc_lo, 1.0, v184, 1.0
	s_delay_alu instid0(VALU_DEP_1) | instskip(NEXT) | instid1(VALU_DEP_1)
	v_mul_f32_e32 v189, v188, v186
	v_fma_f32 v190, -v185, v189, v188
	s_delay_alu instid0(VALU_DEP_1) | instskip(NEXT) | instid1(VALU_DEP_1)
	v_fmac_f32_e32 v189, v190, v186
	v_fma_f32 v185, -v185, v189, v188
	s_delay_alu instid0(VALU_DEP_1) | instskip(NEXT) | instid1(VALU_DEP_1)
	v_div_fmas_f32 v185, v185, v186, v189
	v_div_fixup_f32 v186, v185, v184, 1.0
	s_delay_alu instid0(VALU_DEP_1)
	v_mul_f32_e64 v187, v187, -v186
.LBB67_214:
	s_or_b32 exec_lo, exec_lo, s1
	ds_store_b64 v207, v[186:187]
.LBB67_215:
	s_or_b32 exec_lo, exec_lo, s2
	s_wait_dscnt 0x0
	s_barrier_signal -1
	s_barrier_wait -1
	ds_load_b64 v[184:185], v207
	s_mov_b32 s1, exec_lo
	v_cmpx_lt_u32_e32 23, v206
	s_cbranch_execz .LBB67_217
; %bb.216:
	ds_load_2addr_b64 v[186:189], v208 offset0:24 offset1:25
	ds_load_2addr_b64 v[190:193], v208 offset0:26 offset1:27
	;; [unrolled: 1-line block ×3, first 2 shown]
	s_wait_dscnt 0x3
	v_pk_mul_f32 v[198:199], v[184:185], v[124:125] op_sel:[1,1] op_sel_hi:[0,1]
	s_delay_alu instid0(VALU_DEP_1)
	v_pk_fma_f32 v[210:211], v[184:185], v[124:125], v[198:199] op_sel_hi:[1,0,1] neg_lo:[0,0,1] neg_hi:[0,0,1]
	v_pk_fma_f32 v[212:213], v[184:185], v[124:125], v[198:199] op_sel_hi:[1,0,1]
	ds_load_2addr_b64 v[198:201], v208 offset0:30 offset1:31
	ds_load_2addr_b64 v[202:205], v208 offset0:32 offset1:33
	v_dual_mov_b32 v124, v210 :: v_dual_mov_b32 v125, v213
	s_wait_dscnt 0x4
	v_pk_mul_f32 v[214:215], v[186:187], v[212:213] op_sel:[0,1]
	v_pk_mul_f32 v[216:217], v[188:189], v[212:213] op_sel:[0,1]
	s_wait_dscnt 0x3
	v_pk_mul_f32 v[218:219], v[190:191], v[212:213] op_sel:[0,1]
	v_dual_mov_b32 v220, v193 :: v_dual_mov_b32 v221, v192
	v_dual_mul_f32 v222, v193, v213 :: v_dual_mul_f32 v224, v193, v210
	s_wait_dscnt 0x2
	v_pk_mul_f32 v[226:227], v[194:195], v[212:213] op_sel:[0,1]
	v_pk_mul_f32 v[228:229], v[196:197], v[212:213] op_sel:[0,1]
	v_pk_fma_f32 v[230:231], v[186:187], v[210:211], v[214:215] op_sel:[0,0,1] op_sel_hi:[1,1,0] neg_lo:[0,0,1] neg_hi:[0,0,1]
	v_pk_fma_f32 v[186:187], v[186:187], v[210:211], v[214:215] op_sel:[0,0,1] op_sel_hi:[1,0,0]
	v_pk_fma_f32 v[214:215], v[188:189], v[210:211], v[216:217] op_sel:[0,0,1] op_sel_hi:[1,1,0] neg_lo:[0,0,1] neg_hi:[0,0,1]
	v_pk_fma_f32 v[188:189], v[188:189], v[210:211], v[216:217] op_sel:[0,0,1] op_sel_hi:[1,0,0]
	;; [unrolled: 2-line block ×3, first 2 shown]
	v_pk_fma_f32 v[218:219], v[220:221], v[124:125], v[224:225] op_sel_hi:[1,1,0]
	v_pk_fma_f32 v[192:193], v[192:193], v[124:125], v[222:223] op_sel_hi:[1,1,0] neg_lo:[0,0,1] neg_hi:[0,0,1]
	v_pk_fma_f32 v[220:221], v[194:195], v[210:211], v[226:227] op_sel:[0,0,1] op_sel_hi:[1,1,0] neg_lo:[0,0,1] neg_hi:[0,0,1]
	v_pk_fma_f32 v[194:195], v[194:195], v[210:211], v[226:227] op_sel:[0,0,1] op_sel_hi:[1,0,0]
	v_dual_mov_b32 v231, v187 :: v_dual_mov_b32 v215, v189
	v_pk_fma_f32 v[188:189], v[196:197], v[210:211], v[228:229] op_sel:[0,0,1] op_sel_hi:[1,0,0]
	v_dual_mov_b32 v217, v191 :: v_dual_mov_b32 v193, v219
	s_wait_dscnt 0x1
	v_pk_mul_f32 v[186:187], v[198:199], v[212:213] op_sel:[0,1]
	v_pk_fma_f32 v[190:191], v[196:197], v[210:211], v[228:229] op_sel:[0,0,1] op_sel_hi:[1,1,0] neg_lo:[0,0,1] neg_hi:[0,0,1]
	v_dual_mov_b32 v221, v195 :: v_dual_mov_b32 v191, v189
	v_pk_mul_f32 v[188:189], v[200:201], v[212:213] op_sel:[0,1]
	v_pk_add_f32 v[100:101], v[100:101], v[192:193] neg_lo:[0,1] neg_hi:[0,1]
	v_pk_fma_f32 v[192:193], v[198:199], v[210:211], v[186:187] op_sel:[0,0,1] op_sel_hi:[1,0,0]
	s_wait_dscnt 0x0
	v_mul_f32_e32 v192, v203, v210
	v_pk_mul_f32 v[194:195], v[204:205], v[212:213] op_sel:[0,1]
	v_pk_fma_f32 v[196:197], v[200:201], v[210:211], v[188:189] op_sel:[0,0,1] op_sel_hi:[1,0,0]
	v_pk_fma_f32 v[186:187], v[198:199], v[210:211], v[186:187] op_sel:[0,0,1] op_sel_hi:[1,1,0] neg_lo:[0,0,1] neg_hi:[0,0,1]
	v_dual_mul_f32 v196, v203, v213 :: v_dual_mov_b32 v187, v193
	v_pk_fma_f32 v[192:193], v[202:203], v[124:125], v[192:193] op_sel:[1,0,0] op_sel_hi:[0,1,0]
	v_pk_fma_f32 v[198:199], v[204:205], v[210:211], v[194:195] op_sel:[0,0,1] op_sel_hi:[1,0,0]
	v_pk_fma_f32 v[188:189], v[200:201], v[210:211], v[188:189] op_sel:[0,0,1] op_sel_hi:[1,1,0] neg_lo:[0,0,1] neg_hi:[0,0,1]
	v_mov_b32_e32 v189, v197
	v_pk_fma_f32 v[196:197], v[202:203], v[124:125], v[196:197] op_sel_hi:[1,1,0] neg_lo:[0,0,1] neg_hi:[0,0,1]
	v_mov_b32_e32 v197, v193
	v_pk_fma_f32 v[192:193], v[204:205], v[210:211], v[194:195] op_sel:[0,0,1] op_sel_hi:[1,1,0] neg_lo:[0,0,1] neg_hi:[0,0,1]
	v_mov_b32_e32 v193, v199
	v_pk_add_f32 v[132:133], v[132:133], v[230:231] neg_lo:[0,1] neg_hi:[0,1]
	v_pk_add_f32 v[102:103], v[102:103], v[214:215] neg_lo:[0,1] neg_hi:[0,1]
	;; [unrolled: 1-line block ×9, first 2 shown]
.LBB67_217:
	s_or_b32 exec_lo, exec_lo, s1
	s_delay_alu instid0(SALU_CYCLE_1)
	s_mov_b32 s2, exec_lo
	s_wait_dscnt 0x0
	s_barrier_signal -1
	s_barrier_wait -1
	v_cmpx_eq_u32_e32 24, v206
	s_cbranch_execz .LBB67_224
; %bb.218:
	ds_store_b64 v207, v[132:133]
	ds_store_2addr_b64 v208, v[102:103], v[104:105] offset0:25 offset1:26
	ds_store_2addr_b64 v208, v[100:101], v[118:119] offset0:27 offset1:28
	;; [unrolled: 1-line block ×4, first 2 shown]
	ds_store_b64 v208, v[134:135] offset:264
	ds_load_b64 v[186:187], v207
	s_wait_dscnt 0x0
	v_cmp_neq_f32_e32 vcc_lo, 0, v186
	v_cmp_neq_f32_e64 s1, 0, v187
	s_or_b32 s1, vcc_lo, s1
	s_delay_alu instid0(SALU_CYCLE_1)
	s_and_b32 exec_lo, exec_lo, s1
	s_cbranch_execz .LBB67_224
; %bb.219:
	v_cmp_ngt_f32_e64 s1, |v186|, |v187|
                                        ; implicit-def: $vgpr188_vgpr189
	s_and_saveexec_b32 s4, s1
	s_delay_alu instid0(SALU_CYCLE_1)
	s_xor_b32 s1, exec_lo, s4
	s_cbranch_execz .LBB67_221
; %bb.220:
	v_div_scale_f32 v188, null, v187, v187, v186
	v_div_scale_f32 v191, vcc_lo, v186, v187, v186
	s_delay_alu instid0(VALU_DEP_2) | instskip(SKIP_1) | instid1(TRANS32_DEP_1)
	v_rcp_f32_e32 v189, v188
	v_nop
	v_fma_f32 v190, -v188, v189, 1.0
	s_delay_alu instid0(VALU_DEP_1) | instskip(NEXT) | instid1(VALU_DEP_1)
	v_fmac_f32_e32 v189, v190, v189
	v_mul_f32_e32 v190, v191, v189
	s_delay_alu instid0(VALU_DEP_1) | instskip(NEXT) | instid1(VALU_DEP_1)
	v_fma_f32 v192, -v188, v190, v191
	v_fmac_f32_e32 v190, v192, v189
	s_delay_alu instid0(VALU_DEP_1) | instskip(NEXT) | instid1(VALU_DEP_1)
	v_fma_f32 v188, -v188, v190, v191
	v_div_fmas_f32 v188, v188, v189, v190
	s_delay_alu instid0(VALU_DEP_1) | instskip(NEXT) | instid1(VALU_DEP_1)
	v_div_fixup_f32 v188, v188, v187, v186
	v_fmac_f32_e32 v187, v186, v188
	s_delay_alu instid0(VALU_DEP_1) | instskip(SKIP_1) | instid1(VALU_DEP_2)
	v_div_scale_f32 v186, null, v187, v187, 1.0
	v_div_scale_f32 v191, vcc_lo, 1.0, v187, 1.0
	v_rcp_f32_e32 v189, v186
	v_nop
	s_delay_alu instid0(TRANS32_DEP_1) | instskip(NEXT) | instid1(VALU_DEP_1)
	v_fma_f32 v190, -v186, v189, 1.0
	v_fmac_f32_e32 v189, v190, v189
	s_delay_alu instid0(VALU_DEP_1) | instskip(NEXT) | instid1(VALU_DEP_1)
	v_mul_f32_e32 v190, v191, v189
	v_fma_f32 v192, -v186, v190, v191
	s_delay_alu instid0(VALU_DEP_1) | instskip(NEXT) | instid1(VALU_DEP_1)
	v_fmac_f32_e32 v190, v192, v189
	v_fma_f32 v186, -v186, v190, v191
	s_delay_alu instid0(VALU_DEP_1) | instskip(NEXT) | instid1(VALU_DEP_1)
	v_div_fmas_f32 v186, v186, v189, v190
	v_div_fixup_f32 v186, v186, v187, 1.0
	s_delay_alu instid0(VALU_DEP_1)
	v_mul_f32_e32 v188, v188, v186
	v_xor_b32_e32 v189, 0x80000000, v186
                                        ; implicit-def: $vgpr186_vgpr187
.LBB67_221:
	s_and_not1_saveexec_b32 s1, s1
	s_cbranch_execz .LBB67_223
; %bb.222:
	v_div_scale_f32 v188, null, v186, v186, v187
	v_div_scale_f32 v191, vcc_lo, v187, v186, v187
	s_delay_alu instid0(VALU_DEP_2) | instskip(SKIP_1) | instid1(TRANS32_DEP_1)
	v_rcp_f32_e32 v189, v188
	v_nop
	v_fma_f32 v190, -v188, v189, 1.0
	s_delay_alu instid0(VALU_DEP_1) | instskip(NEXT) | instid1(VALU_DEP_1)
	v_fmac_f32_e32 v189, v190, v189
	v_mul_f32_e32 v190, v191, v189
	s_delay_alu instid0(VALU_DEP_1) | instskip(NEXT) | instid1(VALU_DEP_1)
	v_fma_f32 v192, -v188, v190, v191
	v_fmac_f32_e32 v190, v192, v189
	s_delay_alu instid0(VALU_DEP_1) | instskip(NEXT) | instid1(VALU_DEP_1)
	v_fma_f32 v188, -v188, v190, v191
	v_div_fmas_f32 v188, v188, v189, v190
	s_delay_alu instid0(VALU_DEP_1) | instskip(NEXT) | instid1(VALU_DEP_1)
	v_div_fixup_f32 v189, v188, v186, v187
	v_fmac_f32_e32 v186, v187, v189
	s_delay_alu instid0(VALU_DEP_1) | instskip(NEXT) | instid1(VALU_DEP_1)
	v_div_scale_f32 v187, null, v186, v186, 1.0
	v_rcp_f32_e32 v188, v187
	v_nop
	s_delay_alu instid0(TRANS32_DEP_1) | instskip(NEXT) | instid1(VALU_DEP_1)
	v_fma_f32 v190, -v187, v188, 1.0
	v_fmac_f32_e32 v188, v190, v188
	v_div_scale_f32 v190, vcc_lo, 1.0, v186, 1.0
	s_delay_alu instid0(VALU_DEP_1) | instskip(NEXT) | instid1(VALU_DEP_1)
	v_mul_f32_e32 v191, v190, v188
	v_fma_f32 v192, -v187, v191, v190
	s_delay_alu instid0(VALU_DEP_1) | instskip(NEXT) | instid1(VALU_DEP_1)
	v_fmac_f32_e32 v191, v192, v188
	v_fma_f32 v187, -v187, v191, v190
	s_delay_alu instid0(VALU_DEP_1) | instskip(NEXT) | instid1(VALU_DEP_1)
	v_div_fmas_f32 v187, v187, v188, v191
	v_div_fixup_f32 v188, v187, v186, 1.0
	s_delay_alu instid0(VALU_DEP_1)
	v_mul_f32_e64 v189, v189, -v188
.LBB67_223:
	s_or_b32 exec_lo, exec_lo, s1
	ds_store_b64 v207, v[188:189]
.LBB67_224:
	s_or_b32 exec_lo, exec_lo, s2
	s_wait_dscnt 0x0
	s_barrier_signal -1
	s_barrier_wait -1
	ds_load_b64 v[186:187], v207
	s_mov_b32 s1, exec_lo
	v_cmpx_lt_u32_e32 24, v206
	s_cbranch_execz .LBB67_226
; %bb.225:
	ds_load_2addr_b64 v[188:191], v208 offset0:25 offset1:26
	ds_load_2addr_b64 v[192:195], v208 offset0:27 offset1:28
	;; [unrolled: 1-line block ×3, first 2 shown]
	s_wait_dscnt 0x3
	v_pk_mul_f32 v[200:201], v[186:187], v[132:133] op_sel:[1,1] op_sel_hi:[0,1]
	s_delay_alu instid0(VALU_DEP_1)
	v_pk_fma_f32 v[204:205], v[186:187], v[132:133], v[200:201] op_sel_hi:[1,0,1] neg_lo:[0,0,1] neg_hi:[0,0,1]
	v_pk_fma_f32 v[210:211], v[186:187], v[132:133], v[200:201] op_sel_hi:[1,0,1]
	ds_load_2addr_b64 v[200:203], v208 offset0:31 offset1:32
	ds_load_b64 v[212:213], v208 offset:264
	v_dual_mov_b32 v132, v204 :: v_dual_mov_b32 v133, v211
	s_wait_dscnt 0x4
	v_pk_mul_f32 v[214:215], v[188:189], v[210:211] op_sel:[0,1]
	v_pk_mul_f32 v[216:217], v[190:191], v[210:211] op_sel:[0,1]
	s_wait_dscnt 0x3
	v_pk_mul_f32 v[218:219], v[192:193], v[210:211] op_sel:[0,1]
	v_dual_mov_b32 v220, v195 :: v_dual_mov_b32 v221, v194
	v_dual_mul_f32 v222, v195, v211 :: v_dual_mul_f32 v224, v195, v204
	s_wait_dscnt 0x2
	v_pk_mul_f32 v[226:227], v[196:197], v[210:211] op_sel:[0,1]
	v_pk_fma_f32 v[230:231], v[188:189], v[204:205], v[214:215] op_sel:[0,0,1] op_sel_hi:[1,1,0] neg_lo:[0,0,1] neg_hi:[0,0,1]
	v_pk_fma_f32 v[188:189], v[188:189], v[204:205], v[214:215] op_sel:[0,0,1] op_sel_hi:[1,0,0]
	v_pk_fma_f32 v[214:215], v[190:191], v[204:205], v[216:217] op_sel:[0,0,1] op_sel_hi:[1,1,0] neg_lo:[0,0,1] neg_hi:[0,0,1]
	v_pk_fma_f32 v[190:191], v[190:191], v[204:205], v[216:217] op_sel:[0,0,1] op_sel_hi:[1,0,0]
	;; [unrolled: 2-line block ×3, first 2 shown]
	v_pk_fma_f32 v[218:219], v[220:221], v[132:133], v[224:225] op_sel_hi:[1,1,0]
	v_pk_fma_f32 v[194:195], v[194:195], v[132:133], v[222:223] op_sel_hi:[1,1,0] neg_lo:[0,0,1] neg_hi:[0,0,1]
	v_pk_mul_f32 v[228:229], v[198:199], v[210:211] op_sel:[0,1]
	v_dual_mov_b32 v231, v189 :: v_dual_mov_b32 v215, v191
	s_delay_alu instid0(VALU_DEP_4)
	v_dual_mov_b32 v217, v193 :: v_dual_mov_b32 v195, v219
	v_pk_fma_f32 v[188:189], v[196:197], v[204:205], v[226:227] op_sel:[0,0,1] op_sel_hi:[1,0,0]
	v_pk_fma_f32 v[190:191], v[196:197], v[204:205], v[226:227] op_sel:[0,0,1] op_sel_hi:[1,1,0] neg_lo:[0,0,1] neg_hi:[0,0,1]
	v_pk_fma_f32 v[192:193], v[198:199], v[204:205], v[228:229] op_sel:[0,0,1] op_sel_hi:[1,0,0]
	v_pk_fma_f32 v[196:197], v[198:199], v[204:205], v[228:229] op_sel:[0,0,1] op_sel_hi:[1,1,0] neg_lo:[0,0,1] neg_hi:[0,0,1]
	v_pk_add_f32 v[118:119], v[118:119], v[194:195] neg_lo:[0,1] neg_hi:[0,1]
	v_mov_b32_e32 v191, v189
	s_wait_dscnt 0x1
	v_pk_mul_f32 v[188:189], v[200:201], v[210:211] op_sel:[0,1]
	v_pk_mul_f32 v[194:195], v[202:203], v[210:211] op_sel:[0,1]
	s_wait_dscnt 0x0
	v_pk_mul_f32 v[198:199], v[212:213], v[210:211] op_sel:[0,1]
	v_mov_b32_e32 v197, v193
	v_pk_add_f32 v[102:103], v[102:103], v[230:231] neg_lo:[0,1] neg_hi:[0,1]
	v_pk_fma_f32 v[210:211], v[200:201], v[204:205], v[188:189] op_sel:[0,0,1] op_sel_hi:[1,0,0]
	v_pk_fma_f32 v[192:193], v[202:203], v[204:205], v[194:195] op_sel:[0,0,1] op_sel_hi:[1,0,0]
	v_pk_fma_f32 v[188:189], v[200:201], v[204:205], v[188:189] op_sel:[0,0,1] op_sel_hi:[1,1,0] neg_lo:[0,0,1] neg_hi:[0,0,1]
	v_pk_fma_f32 v[200:201], v[212:213], v[204:205], v[198:199] op_sel:[0,0,1] op_sel_hi:[1,0,0]
	v_pk_fma_f32 v[194:195], v[202:203], v[204:205], v[194:195] op_sel:[0,0,1] op_sel_hi:[1,1,0] neg_lo:[0,0,1] neg_hi:[0,0,1]
	s_delay_alu instid0(VALU_DEP_4) | instskip(SKIP_1) | instid1(VALU_DEP_4)
	v_dual_mov_b32 v189, v211 :: v_dual_mov_b32 v195, v193
	v_pk_fma_f32 v[192:193], v[212:213], v[204:205], v[198:199] op_sel:[0,0,1] op_sel_hi:[1,1,0] neg_lo:[0,0,1] neg_hi:[0,0,1]
	v_mov_b32_e32 v193, v201
	v_pk_add_f32 v[104:105], v[104:105], v[214:215] neg_lo:[0,1] neg_hi:[0,1]
	v_pk_add_f32 v[100:101], v[100:101], v[216:217] neg_lo:[0,1] neg_hi:[0,1]
	;; [unrolled: 1-line block ×7, first 2 shown]
.LBB67_226:
	s_or_b32 exec_lo, exec_lo, s1
	s_delay_alu instid0(SALU_CYCLE_1)
	s_mov_b32 s2, exec_lo
	s_wait_dscnt 0x0
	s_barrier_signal -1
	s_barrier_wait -1
	v_cmpx_eq_u32_e32 25, v206
	s_cbranch_execz .LBB67_233
; %bb.227:
	v_dual_mov_b32 v188, v104 :: v_dual_mov_b32 v189, v105
	v_dual_mov_b32 v190, v100 :: v_dual_mov_b32 v191, v101
	;; [unrolled: 1-line block ×7, first 2 shown]
	ds_store_b64 v207, v[102:103]
	ds_store_2addr_b64 v208, v[188:189], v[190:191] offset0:26 offset1:27
	ds_store_2addr_b64 v208, v[192:193], v[194:195] offset0:28 offset1:29
	;; [unrolled: 1-line block ×4, first 2 shown]
	ds_load_b64 v[188:189], v207
	s_wait_dscnt 0x0
	v_cmp_neq_f32_e32 vcc_lo, 0, v188
	v_cmp_neq_f32_e64 s1, 0, v189
	s_or_b32 s1, vcc_lo, s1
	s_delay_alu instid0(SALU_CYCLE_1)
	s_and_b32 exec_lo, exec_lo, s1
	s_cbranch_execz .LBB67_233
; %bb.228:
	v_cmp_ngt_f32_e64 s1, |v188|, |v189|
                                        ; implicit-def: $vgpr190_vgpr191
	s_and_saveexec_b32 s4, s1
	s_delay_alu instid0(SALU_CYCLE_1)
	s_xor_b32 s1, exec_lo, s4
	s_cbranch_execz .LBB67_230
; %bb.229:
	v_div_scale_f32 v190, null, v189, v189, v188
	v_div_scale_f32 v193, vcc_lo, v188, v189, v188
	s_delay_alu instid0(VALU_DEP_2) | instskip(SKIP_1) | instid1(TRANS32_DEP_1)
	v_rcp_f32_e32 v191, v190
	v_nop
	v_fma_f32 v192, -v190, v191, 1.0
	s_delay_alu instid0(VALU_DEP_1) | instskip(NEXT) | instid1(VALU_DEP_1)
	v_fmac_f32_e32 v191, v192, v191
	v_mul_f32_e32 v192, v193, v191
	s_delay_alu instid0(VALU_DEP_1) | instskip(NEXT) | instid1(VALU_DEP_1)
	v_fma_f32 v194, -v190, v192, v193
	v_fmac_f32_e32 v192, v194, v191
	s_delay_alu instid0(VALU_DEP_1) | instskip(NEXT) | instid1(VALU_DEP_1)
	v_fma_f32 v190, -v190, v192, v193
	v_div_fmas_f32 v190, v190, v191, v192
	s_delay_alu instid0(VALU_DEP_1) | instskip(NEXT) | instid1(VALU_DEP_1)
	v_div_fixup_f32 v190, v190, v189, v188
	v_fmac_f32_e32 v189, v188, v190
	s_delay_alu instid0(VALU_DEP_1) | instskip(SKIP_1) | instid1(VALU_DEP_2)
	v_div_scale_f32 v188, null, v189, v189, 1.0
	v_div_scale_f32 v193, vcc_lo, 1.0, v189, 1.0
	v_rcp_f32_e32 v191, v188
	v_nop
	s_delay_alu instid0(TRANS32_DEP_1) | instskip(NEXT) | instid1(VALU_DEP_1)
	v_fma_f32 v192, -v188, v191, 1.0
	v_fmac_f32_e32 v191, v192, v191
	s_delay_alu instid0(VALU_DEP_1) | instskip(NEXT) | instid1(VALU_DEP_1)
	v_mul_f32_e32 v192, v193, v191
	v_fma_f32 v194, -v188, v192, v193
	s_delay_alu instid0(VALU_DEP_1) | instskip(NEXT) | instid1(VALU_DEP_1)
	v_fmac_f32_e32 v192, v194, v191
	v_fma_f32 v188, -v188, v192, v193
	s_delay_alu instid0(VALU_DEP_1) | instskip(NEXT) | instid1(VALU_DEP_1)
	v_div_fmas_f32 v188, v188, v191, v192
	v_div_fixup_f32 v188, v188, v189, 1.0
	s_delay_alu instid0(VALU_DEP_1)
	v_mul_f32_e32 v190, v190, v188
	v_xor_b32_e32 v191, 0x80000000, v188
                                        ; implicit-def: $vgpr188_vgpr189
.LBB67_230:
	s_and_not1_saveexec_b32 s1, s1
	s_cbranch_execz .LBB67_232
; %bb.231:
	v_div_scale_f32 v190, null, v188, v188, v189
	v_div_scale_f32 v193, vcc_lo, v189, v188, v189
	s_delay_alu instid0(VALU_DEP_2) | instskip(SKIP_1) | instid1(TRANS32_DEP_1)
	v_rcp_f32_e32 v191, v190
	v_nop
	v_fma_f32 v192, -v190, v191, 1.0
	s_delay_alu instid0(VALU_DEP_1) | instskip(NEXT) | instid1(VALU_DEP_1)
	v_fmac_f32_e32 v191, v192, v191
	v_mul_f32_e32 v192, v193, v191
	s_delay_alu instid0(VALU_DEP_1) | instskip(NEXT) | instid1(VALU_DEP_1)
	v_fma_f32 v194, -v190, v192, v193
	v_fmac_f32_e32 v192, v194, v191
	s_delay_alu instid0(VALU_DEP_1) | instskip(NEXT) | instid1(VALU_DEP_1)
	v_fma_f32 v190, -v190, v192, v193
	v_div_fmas_f32 v190, v190, v191, v192
	s_delay_alu instid0(VALU_DEP_1) | instskip(NEXT) | instid1(VALU_DEP_1)
	v_div_fixup_f32 v191, v190, v188, v189
	v_fmac_f32_e32 v188, v189, v191
	s_delay_alu instid0(VALU_DEP_1) | instskip(NEXT) | instid1(VALU_DEP_1)
	v_div_scale_f32 v189, null, v188, v188, 1.0
	v_rcp_f32_e32 v190, v189
	v_nop
	s_delay_alu instid0(TRANS32_DEP_1) | instskip(NEXT) | instid1(VALU_DEP_1)
	v_fma_f32 v192, -v189, v190, 1.0
	v_fmac_f32_e32 v190, v192, v190
	v_div_scale_f32 v192, vcc_lo, 1.0, v188, 1.0
	s_delay_alu instid0(VALU_DEP_1) | instskip(NEXT) | instid1(VALU_DEP_1)
	v_mul_f32_e32 v193, v192, v190
	v_fma_f32 v194, -v189, v193, v192
	s_delay_alu instid0(VALU_DEP_1) | instskip(NEXT) | instid1(VALU_DEP_1)
	v_fmac_f32_e32 v193, v194, v190
	v_fma_f32 v189, -v189, v193, v192
	s_delay_alu instid0(VALU_DEP_1) | instskip(NEXT) | instid1(VALU_DEP_1)
	v_div_fmas_f32 v189, v189, v190, v193
	v_div_fixup_f32 v190, v189, v188, 1.0
	s_delay_alu instid0(VALU_DEP_1)
	v_mul_f32_e64 v191, v191, -v190
.LBB67_232:
	s_or_b32 exec_lo, exec_lo, s1
	ds_store_b64 v207, v[190:191]
.LBB67_233:
	s_or_b32 exec_lo, exec_lo, s2
	s_wait_dscnt 0x0
	s_barrier_signal -1
	s_barrier_wait -1
	ds_load_b64 v[188:189], v207
	s_mov_b32 s1, exec_lo
	v_cmpx_lt_u32_e32 25, v206
	s_cbranch_execz .LBB67_235
; %bb.234:
	ds_load_2addr_b64 v[190:193], v208 offset0:26 offset1:27
	ds_load_2addr_b64 v[194:197], v208 offset0:28 offset1:29
	;; [unrolled: 1-line block ×3, first 2 shown]
	s_wait_dscnt 0x3
	v_pk_mul_f32 v[210:211], v[188:189], v[102:103] op_sel:[1,1] op_sel_hi:[0,1]
	ds_load_2addr_b64 v[202:205], v208 offset0:32 offset1:33
	v_pk_fma_f32 v[212:213], v[188:189], v[102:103], v[210:211] op_sel_hi:[1,0,1] neg_lo:[0,0,1] neg_hi:[0,0,1]
	v_pk_fma_f32 v[210:211], v[188:189], v[102:103], v[210:211] op_sel_hi:[1,0,1]
	s_delay_alu instid0(VALU_DEP_1) | instskip(SKIP_1) | instid1(VALU_DEP_2)
	v_dual_mov_b32 v102, v212 :: v_dual_mov_b32 v103, v211
	s_wait_dscnt 0x3
	v_pk_mul_f32 v[214:215], v[190:191], v[210:211] op_sel:[0,1]
	v_pk_mul_f32 v[216:217], v[192:193], v[210:211] op_sel:[0,1]
	s_wait_dscnt 0x2
	v_pk_mul_f32 v[218:219], v[194:195], v[210:211] op_sel:[0,1]
	s_wait_dscnt 0x1
	v_pk_mul_f32 v[226:227], v[198:199], v[210:211] op_sel:[0,1]
	v_dual_mov_b32 v220, v197 :: v_dual_mov_b32 v221, v196
	v_pk_fma_f32 v[232:233], v[190:191], v[212:213], v[214:215] op_sel:[0,0,1] op_sel_hi:[1,1,0] neg_lo:[0,0,1] neg_hi:[0,0,1]
	v_pk_fma_f32 v[190:191], v[190:191], v[212:213], v[214:215] op_sel:[0,0,1] op_sel_hi:[1,0,0]
	v_pk_fma_f32 v[214:215], v[192:193], v[212:213], v[216:217] op_sel:[0,0,1] op_sel_hi:[1,1,0] neg_lo:[0,0,1] neg_hi:[0,0,1]
	v_pk_fma_f32 v[192:193], v[192:193], v[212:213], v[216:217] op_sel:[0,0,1] op_sel_hi:[1,0,0]
	v_dual_mul_f32 v222, v197, v211 :: v_dual_mul_f32 v224, v197, v212
	v_pk_mul_f32 v[228:229], v[200:201], v[210:211] op_sel:[0,1]
	v_pk_fma_f32 v[216:217], v[194:195], v[212:213], v[218:219] op_sel:[0,0,1] op_sel_hi:[1,1,0] neg_lo:[0,0,1] neg_hi:[0,0,1]
	v_pk_fma_f32 v[194:195], v[194:195], v[212:213], v[218:219] op_sel:[0,0,1] op_sel_hi:[1,0,0]
	s_wait_dscnt 0x0
	v_pk_mul_f32 v[230:231], v[202:203], v[210:211] op_sel:[0,1]
	v_dual_mov_b32 v233, v191 :: v_dual_mov_b32 v215, v193
	v_pk_fma_f32 v[190:191], v[198:199], v[212:213], v[226:227] op_sel:[0,0,1] op_sel_hi:[1,0,0]
	v_pk_mul_f32 v[192:193], v[204:205], v[210:211] op_sel:[0,1]
	v_pk_fma_f32 v[218:219], v[220:221], v[102:103], v[224:225] op_sel_hi:[1,1,0]
	v_pk_fma_f32 v[220:221], v[198:199], v[212:213], v[226:227] op_sel:[0,0,1] op_sel_hi:[1,1,0] neg_lo:[0,0,1] neg_hi:[0,0,1]
	v_mov_b32_e32 v217, v195
	v_pk_fma_f32 v[194:195], v[200:201], v[212:213], v[228:229] op_sel:[0,0,1] op_sel_hi:[1,0,0]
	v_mov_b32_e32 v221, v191
	v_pk_fma_f32 v[190:191], v[202:203], v[212:213], v[230:231] op_sel:[0,0,1] op_sel_hi:[1,0,0]
	v_pk_fma_f32 v[198:199], v[200:201], v[212:213], v[228:229] op_sel:[0,0,1] op_sel_hi:[1,1,0] neg_lo:[0,0,1] neg_hi:[0,0,1]
	v_pk_fma_f32 v[200:201], v[204:205], v[212:213], v[192:193] op_sel:[0,0,1] op_sel_hi:[1,0,0]
	v_mov_b32_e32 v199, v195
	v_pk_fma_f32 v[194:195], v[202:203], v[212:213], v[230:231] op_sel:[0,0,1] op_sel_hi:[1,1,0] neg_lo:[0,0,1] neg_hi:[0,0,1]
	v_pk_fma_f32 v[196:197], v[196:197], v[102:103], v[222:223] op_sel_hi:[1,1,0] neg_lo:[0,0,1] neg_hi:[0,0,1]
	v_mov_b32_e32 v195, v191
	v_pk_fma_f32 v[190:191], v[204:205], v[212:213], v[192:193] op_sel:[0,0,1] op_sel_hi:[1,1,0] neg_lo:[0,0,1] neg_hi:[0,0,1]
	v_dual_mov_b32 v197, v219 :: v_dual_mov_b32 v191, v201
	v_pk_add_f32 v[104:105], v[104:105], v[232:233] neg_lo:[0,1] neg_hi:[0,1]
	v_pk_add_f32 v[100:101], v[100:101], v[214:215] neg_lo:[0,1] neg_hi:[0,1]
	;; [unrolled: 1-line block ×3, first 2 shown]
	s_delay_alu instid0(VALU_DEP_4)
	v_pk_add_f32 v[116:117], v[116:117], v[196:197] neg_lo:[0,1] neg_hi:[0,1]
	v_pk_add_f32 v[130:131], v[130:131], v[220:221] neg_lo:[0,1] neg_hi:[0,1]
	;; [unrolled: 1-line block ×5, first 2 shown]
.LBB67_235:
	s_or_b32 exec_lo, exec_lo, s1
	s_delay_alu instid0(SALU_CYCLE_1)
	s_mov_b32 s2, exec_lo
	s_wait_dscnt 0x0
	s_barrier_signal -1
	s_barrier_wait -1
	v_cmpx_eq_u32_e32 26, v206
	s_cbranch_execz .LBB67_242
; %bb.236:
	ds_store_b64 v207, v[104:105]
	ds_store_2addr_b64 v208, v[100:101], v[118:119] offset0:27 offset1:28
	ds_store_2addr_b64 v208, v[116:117], v[130:131] offset0:29 offset1:30
	;; [unrolled: 1-line block ×3, first 2 shown]
	ds_store_b64 v208, v[134:135] offset:264
	ds_load_b64 v[190:191], v207
	s_wait_dscnt 0x0
	v_cmp_neq_f32_e32 vcc_lo, 0, v190
	v_cmp_neq_f32_e64 s1, 0, v191
	s_or_b32 s1, vcc_lo, s1
	s_delay_alu instid0(SALU_CYCLE_1)
	s_and_b32 exec_lo, exec_lo, s1
	s_cbranch_execz .LBB67_242
; %bb.237:
	v_cmp_ngt_f32_e64 s1, |v190|, |v191|
                                        ; implicit-def: $vgpr192_vgpr193
	s_and_saveexec_b32 s4, s1
	s_delay_alu instid0(SALU_CYCLE_1)
	s_xor_b32 s1, exec_lo, s4
	s_cbranch_execz .LBB67_239
; %bb.238:
	v_div_scale_f32 v192, null, v191, v191, v190
	v_div_scale_f32 v195, vcc_lo, v190, v191, v190
	s_delay_alu instid0(VALU_DEP_2) | instskip(SKIP_1) | instid1(TRANS32_DEP_1)
	v_rcp_f32_e32 v193, v192
	v_nop
	v_fma_f32 v194, -v192, v193, 1.0
	s_delay_alu instid0(VALU_DEP_1) | instskip(NEXT) | instid1(VALU_DEP_1)
	v_fmac_f32_e32 v193, v194, v193
	v_mul_f32_e32 v194, v195, v193
	s_delay_alu instid0(VALU_DEP_1) | instskip(NEXT) | instid1(VALU_DEP_1)
	v_fma_f32 v196, -v192, v194, v195
	v_fmac_f32_e32 v194, v196, v193
	s_delay_alu instid0(VALU_DEP_1) | instskip(NEXT) | instid1(VALU_DEP_1)
	v_fma_f32 v192, -v192, v194, v195
	v_div_fmas_f32 v192, v192, v193, v194
	s_delay_alu instid0(VALU_DEP_1) | instskip(NEXT) | instid1(VALU_DEP_1)
	v_div_fixup_f32 v192, v192, v191, v190
	v_fmac_f32_e32 v191, v190, v192
	s_delay_alu instid0(VALU_DEP_1) | instskip(SKIP_1) | instid1(VALU_DEP_2)
	v_div_scale_f32 v190, null, v191, v191, 1.0
	v_div_scale_f32 v195, vcc_lo, 1.0, v191, 1.0
	v_rcp_f32_e32 v193, v190
	v_nop
	s_delay_alu instid0(TRANS32_DEP_1) | instskip(NEXT) | instid1(VALU_DEP_1)
	v_fma_f32 v194, -v190, v193, 1.0
	v_fmac_f32_e32 v193, v194, v193
	s_delay_alu instid0(VALU_DEP_1) | instskip(NEXT) | instid1(VALU_DEP_1)
	v_mul_f32_e32 v194, v195, v193
	v_fma_f32 v196, -v190, v194, v195
	s_delay_alu instid0(VALU_DEP_1) | instskip(NEXT) | instid1(VALU_DEP_1)
	v_fmac_f32_e32 v194, v196, v193
	v_fma_f32 v190, -v190, v194, v195
	s_delay_alu instid0(VALU_DEP_1) | instskip(NEXT) | instid1(VALU_DEP_1)
	v_div_fmas_f32 v190, v190, v193, v194
	v_div_fixup_f32 v190, v190, v191, 1.0
	s_delay_alu instid0(VALU_DEP_1)
	v_mul_f32_e32 v192, v192, v190
	v_xor_b32_e32 v193, 0x80000000, v190
                                        ; implicit-def: $vgpr190_vgpr191
.LBB67_239:
	s_and_not1_saveexec_b32 s1, s1
	s_cbranch_execz .LBB67_241
; %bb.240:
	v_div_scale_f32 v192, null, v190, v190, v191
	v_div_scale_f32 v195, vcc_lo, v191, v190, v191
	s_delay_alu instid0(VALU_DEP_2) | instskip(SKIP_1) | instid1(TRANS32_DEP_1)
	v_rcp_f32_e32 v193, v192
	v_nop
	v_fma_f32 v194, -v192, v193, 1.0
	s_delay_alu instid0(VALU_DEP_1) | instskip(NEXT) | instid1(VALU_DEP_1)
	v_fmac_f32_e32 v193, v194, v193
	v_mul_f32_e32 v194, v195, v193
	s_delay_alu instid0(VALU_DEP_1) | instskip(NEXT) | instid1(VALU_DEP_1)
	v_fma_f32 v196, -v192, v194, v195
	v_fmac_f32_e32 v194, v196, v193
	s_delay_alu instid0(VALU_DEP_1) | instskip(NEXT) | instid1(VALU_DEP_1)
	v_fma_f32 v192, -v192, v194, v195
	v_div_fmas_f32 v192, v192, v193, v194
	s_delay_alu instid0(VALU_DEP_1) | instskip(NEXT) | instid1(VALU_DEP_1)
	v_div_fixup_f32 v193, v192, v190, v191
	v_fmac_f32_e32 v190, v191, v193
	s_delay_alu instid0(VALU_DEP_1) | instskip(NEXT) | instid1(VALU_DEP_1)
	v_div_scale_f32 v191, null, v190, v190, 1.0
	v_rcp_f32_e32 v192, v191
	v_nop
	s_delay_alu instid0(TRANS32_DEP_1) | instskip(NEXT) | instid1(VALU_DEP_1)
	v_fma_f32 v194, -v191, v192, 1.0
	v_fmac_f32_e32 v192, v194, v192
	v_div_scale_f32 v194, vcc_lo, 1.0, v190, 1.0
	s_delay_alu instid0(VALU_DEP_1) | instskip(NEXT) | instid1(VALU_DEP_1)
	v_mul_f32_e32 v195, v194, v192
	v_fma_f32 v196, -v191, v195, v194
	s_delay_alu instid0(VALU_DEP_1) | instskip(NEXT) | instid1(VALU_DEP_1)
	v_fmac_f32_e32 v195, v196, v192
	v_fma_f32 v191, -v191, v195, v194
	s_delay_alu instid0(VALU_DEP_1) | instskip(NEXT) | instid1(VALU_DEP_1)
	v_div_fmas_f32 v191, v191, v192, v195
	v_div_fixup_f32 v192, v191, v190, 1.0
	s_delay_alu instid0(VALU_DEP_1)
	v_mul_f32_e64 v193, v193, -v192
.LBB67_241:
	s_or_b32 exec_lo, exec_lo, s1
	ds_store_b64 v207, v[192:193]
.LBB67_242:
	s_or_b32 exec_lo, exec_lo, s2
	s_wait_dscnt 0x0
	s_barrier_signal -1
	s_barrier_wait -1
	ds_load_b64 v[190:191], v207
	s_mov_b32 s1, exec_lo
	v_cmpx_lt_u32_e32 26, v206
	s_cbranch_execz .LBB67_244
; %bb.243:
	ds_load_2addr_b64 v[192:195], v208 offset0:27 offset1:28
	ds_load_2addr_b64 v[196:199], v208 offset0:29 offset1:30
	;; [unrolled: 1-line block ×3, first 2 shown]
	ds_load_b64 v[210:211], v208 offset:264
	s_wait_dscnt 0x4
	v_pk_mul_f32 v[204:205], v[190:191], v[104:105] op_sel:[1,1] op_sel_hi:[0,1]
	s_delay_alu instid0(VALU_DEP_1) | instskip(SKIP_1) | instid1(VALU_DEP_1)
	v_pk_fma_f32 v[212:213], v[190:191], v[104:105], v[204:205] op_sel_hi:[1,0,1] neg_lo:[0,0,1] neg_hi:[0,0,1]
	v_pk_fma_f32 v[204:205], v[190:191], v[104:105], v[204:205] op_sel_hi:[1,0,1]
	v_dual_mov_b32 v104, v212 :: v_dual_mov_b32 v105, v205
	s_wait_dscnt 0x3
	s_delay_alu instid0(VALU_DEP_2)
	v_pk_mul_f32 v[214:215], v[192:193], v[204:205] op_sel:[0,1]
	v_pk_mul_f32 v[216:217], v[194:195], v[204:205] op_sel:[0,1]
	s_wait_dscnt 0x2
	v_pk_mul_f32 v[218:219], v[196:197], v[204:205] op_sel:[0,1]
	v_dual_mov_b32 v220, v199 :: v_dual_mov_b32 v221, v198
	v_dual_mul_f32 v222, v199, v205 :: v_dual_mul_f32 v224, v199, v212
	s_wait_dscnt 0x1
	v_pk_mul_f32 v[226:227], v[200:201], v[204:205] op_sel:[0,1]
	v_pk_mul_f32 v[228:229], v[202:203], v[204:205] op_sel:[0,1]
	v_pk_fma_f32 v[230:231], v[192:193], v[212:213], v[214:215] op_sel:[0,0,1] op_sel_hi:[1,1,0] neg_lo:[0,0,1] neg_hi:[0,0,1]
	v_pk_fma_f32 v[192:193], v[192:193], v[212:213], v[214:215] op_sel:[0,0,1] op_sel_hi:[1,0,0]
	s_wait_dscnt 0x0
	v_pk_mul_f32 v[204:205], v[210:211], v[204:205] op_sel:[0,1]
	v_pk_fma_f32 v[214:215], v[194:195], v[212:213], v[216:217] op_sel:[0,0,1] op_sel_hi:[1,1,0] neg_lo:[0,0,1] neg_hi:[0,0,1]
	v_pk_fma_f32 v[194:195], v[194:195], v[212:213], v[216:217] op_sel:[0,0,1] op_sel_hi:[1,0,0]
	v_pk_fma_f32 v[216:217], v[196:197], v[212:213], v[218:219] op_sel:[0,0,1] op_sel_hi:[1,1,0] neg_lo:[0,0,1] neg_hi:[0,0,1]
	v_pk_fma_f32 v[196:197], v[196:197], v[212:213], v[218:219] op_sel:[0,0,1] op_sel_hi:[1,0,0]
	v_pk_fma_f32 v[218:219], v[220:221], v[104:105], v[224:225] op_sel_hi:[1,1,0]
	v_pk_fma_f32 v[220:221], v[200:201], v[212:213], v[226:227] op_sel:[0,0,1] op_sel_hi:[1,1,0] neg_lo:[0,0,1] neg_hi:[0,0,1]
	v_pk_fma_f32 v[200:201], v[200:201], v[212:213], v[226:227] op_sel:[0,0,1] op_sel_hi:[1,0,0]
	v_dual_mov_b32 v231, v193 :: v_dual_mov_b32 v215, v195
	v_pk_fma_f32 v[192:193], v[202:203], v[212:213], v[228:229] op_sel:[0,0,1] op_sel_hi:[1,0,0]
	v_pk_fma_f32 v[194:195], v[210:211], v[212:213], v[204:205] op_sel:[0,0,1] op_sel_hi:[1,0,0]
	v_mov_b32_e32 v217, v197
	v_pk_fma_f32 v[196:197], v[202:203], v[212:213], v[228:229] op_sel:[0,0,1] op_sel_hi:[1,1,0] neg_lo:[0,0,1] neg_hi:[0,0,1]
	v_pk_fma_f32 v[198:199], v[198:199], v[104:105], v[222:223] op_sel_hi:[1,1,0] neg_lo:[0,0,1] neg_hi:[0,0,1]
	v_dual_mov_b32 v221, v201 :: v_dual_mov_b32 v197, v193
	v_pk_fma_f32 v[192:193], v[210:211], v[212:213], v[204:205] op_sel:[0,0,1] op_sel_hi:[1,1,0] neg_lo:[0,0,1] neg_hi:[0,0,1]
	v_dual_mov_b32 v199, v219 :: v_dual_mov_b32 v193, v195
	v_pk_add_f32 v[100:101], v[100:101], v[230:231] neg_lo:[0,1] neg_hi:[0,1]
	v_pk_add_f32 v[118:119], v[118:119], v[214:215] neg_lo:[0,1] neg_hi:[0,1]
	;; [unrolled: 1-line block ×3, first 2 shown]
	s_delay_alu instid0(VALU_DEP_4)
	v_pk_add_f32 v[130:131], v[130:131], v[198:199] neg_lo:[0,1] neg_hi:[0,1]
	v_pk_add_f32 v[122:123], v[122:123], v[220:221] neg_lo:[0,1] neg_hi:[0,1]
	;; [unrolled: 1-line block ×4, first 2 shown]
.LBB67_244:
	s_or_b32 exec_lo, exec_lo, s1
	s_delay_alu instid0(SALU_CYCLE_1)
	s_mov_b32 s2, exec_lo
	s_wait_dscnt 0x0
	s_barrier_signal -1
	s_barrier_wait -1
	v_cmpx_eq_u32_e32 27, v206
	s_cbranch_execz .LBB67_251
; %bb.245:
	v_dual_mov_b32 v192, v118 :: v_dual_mov_b32 v193, v119
	v_dual_mov_b32 v194, v116 :: v_dual_mov_b32 v195, v117
	;; [unrolled: 1-line block ×5, first 2 shown]
	ds_store_b64 v207, v[100:101]
	ds_store_2addr_b64 v208, v[192:193], v[194:195] offset0:28 offset1:29
	ds_store_2addr_b64 v208, v[196:197], v[198:199] offset0:30 offset1:31
	;; [unrolled: 1-line block ×3, first 2 shown]
	ds_load_b64 v[192:193], v207
	s_wait_dscnt 0x0
	v_cmp_neq_f32_e32 vcc_lo, 0, v192
	v_cmp_neq_f32_e64 s1, 0, v193
	s_or_b32 s1, vcc_lo, s1
	s_delay_alu instid0(SALU_CYCLE_1)
	s_and_b32 exec_lo, exec_lo, s1
	s_cbranch_execz .LBB67_251
; %bb.246:
	v_cmp_ngt_f32_e64 s1, |v192|, |v193|
                                        ; implicit-def: $vgpr194_vgpr195
	s_and_saveexec_b32 s4, s1
	s_delay_alu instid0(SALU_CYCLE_1)
	s_xor_b32 s1, exec_lo, s4
	s_cbranch_execz .LBB67_248
; %bb.247:
	v_div_scale_f32 v194, null, v193, v193, v192
	v_div_scale_f32 v197, vcc_lo, v192, v193, v192
	s_delay_alu instid0(VALU_DEP_2) | instskip(SKIP_1) | instid1(TRANS32_DEP_1)
	v_rcp_f32_e32 v195, v194
	v_nop
	v_fma_f32 v196, -v194, v195, 1.0
	s_delay_alu instid0(VALU_DEP_1) | instskip(NEXT) | instid1(VALU_DEP_1)
	v_fmac_f32_e32 v195, v196, v195
	v_mul_f32_e32 v196, v197, v195
	s_delay_alu instid0(VALU_DEP_1) | instskip(NEXT) | instid1(VALU_DEP_1)
	v_fma_f32 v198, -v194, v196, v197
	v_fmac_f32_e32 v196, v198, v195
	s_delay_alu instid0(VALU_DEP_1) | instskip(NEXT) | instid1(VALU_DEP_1)
	v_fma_f32 v194, -v194, v196, v197
	v_div_fmas_f32 v194, v194, v195, v196
	s_delay_alu instid0(VALU_DEP_1) | instskip(NEXT) | instid1(VALU_DEP_1)
	v_div_fixup_f32 v194, v194, v193, v192
	v_fmac_f32_e32 v193, v192, v194
	s_delay_alu instid0(VALU_DEP_1) | instskip(SKIP_1) | instid1(VALU_DEP_2)
	v_div_scale_f32 v192, null, v193, v193, 1.0
	v_div_scale_f32 v197, vcc_lo, 1.0, v193, 1.0
	v_rcp_f32_e32 v195, v192
	v_nop
	s_delay_alu instid0(TRANS32_DEP_1) | instskip(NEXT) | instid1(VALU_DEP_1)
	v_fma_f32 v196, -v192, v195, 1.0
	v_fmac_f32_e32 v195, v196, v195
	s_delay_alu instid0(VALU_DEP_1) | instskip(NEXT) | instid1(VALU_DEP_1)
	v_mul_f32_e32 v196, v197, v195
	v_fma_f32 v198, -v192, v196, v197
	s_delay_alu instid0(VALU_DEP_1) | instskip(NEXT) | instid1(VALU_DEP_1)
	v_fmac_f32_e32 v196, v198, v195
	v_fma_f32 v192, -v192, v196, v197
	s_delay_alu instid0(VALU_DEP_1) | instskip(NEXT) | instid1(VALU_DEP_1)
	v_div_fmas_f32 v192, v192, v195, v196
	v_div_fixup_f32 v192, v192, v193, 1.0
	s_delay_alu instid0(VALU_DEP_1)
	v_mul_f32_e32 v194, v194, v192
	v_xor_b32_e32 v195, 0x80000000, v192
                                        ; implicit-def: $vgpr192_vgpr193
.LBB67_248:
	s_and_not1_saveexec_b32 s1, s1
	s_cbranch_execz .LBB67_250
; %bb.249:
	v_div_scale_f32 v194, null, v192, v192, v193
	v_div_scale_f32 v197, vcc_lo, v193, v192, v193
	s_delay_alu instid0(VALU_DEP_2) | instskip(SKIP_1) | instid1(TRANS32_DEP_1)
	v_rcp_f32_e32 v195, v194
	v_nop
	v_fma_f32 v196, -v194, v195, 1.0
	s_delay_alu instid0(VALU_DEP_1) | instskip(NEXT) | instid1(VALU_DEP_1)
	v_fmac_f32_e32 v195, v196, v195
	v_mul_f32_e32 v196, v197, v195
	s_delay_alu instid0(VALU_DEP_1) | instskip(NEXT) | instid1(VALU_DEP_1)
	v_fma_f32 v198, -v194, v196, v197
	v_fmac_f32_e32 v196, v198, v195
	s_delay_alu instid0(VALU_DEP_1) | instskip(NEXT) | instid1(VALU_DEP_1)
	v_fma_f32 v194, -v194, v196, v197
	v_div_fmas_f32 v194, v194, v195, v196
	s_delay_alu instid0(VALU_DEP_1) | instskip(NEXT) | instid1(VALU_DEP_1)
	v_div_fixup_f32 v195, v194, v192, v193
	v_fmac_f32_e32 v192, v193, v195
	s_delay_alu instid0(VALU_DEP_1) | instskip(NEXT) | instid1(VALU_DEP_1)
	v_div_scale_f32 v193, null, v192, v192, 1.0
	v_rcp_f32_e32 v194, v193
	v_nop
	s_delay_alu instid0(TRANS32_DEP_1) | instskip(NEXT) | instid1(VALU_DEP_1)
	v_fma_f32 v196, -v193, v194, 1.0
	v_fmac_f32_e32 v194, v196, v194
	v_div_scale_f32 v196, vcc_lo, 1.0, v192, 1.0
	s_delay_alu instid0(VALU_DEP_1) | instskip(NEXT) | instid1(VALU_DEP_1)
	v_mul_f32_e32 v197, v196, v194
	v_fma_f32 v198, -v193, v197, v196
	s_delay_alu instid0(VALU_DEP_1) | instskip(NEXT) | instid1(VALU_DEP_1)
	v_fmac_f32_e32 v197, v198, v194
	v_fma_f32 v193, -v193, v197, v196
	s_delay_alu instid0(VALU_DEP_1) | instskip(NEXT) | instid1(VALU_DEP_1)
	v_div_fmas_f32 v193, v193, v194, v197
	v_div_fixup_f32 v194, v193, v192, 1.0
	s_delay_alu instid0(VALU_DEP_1)
	v_mul_f32_e64 v195, v195, -v194
.LBB67_250:
	s_or_b32 exec_lo, exec_lo, s1
	ds_store_b64 v207, v[194:195]
.LBB67_251:
	s_or_b32 exec_lo, exec_lo, s2
	s_wait_dscnt 0x0
	s_barrier_signal -1
	s_barrier_wait -1
	ds_load_b64 v[192:193], v207
	s_mov_b32 s1, exec_lo
	v_cmpx_lt_u32_e32 27, v206
	s_cbranch_execz .LBB67_253
; %bb.252:
	ds_load_2addr_b64 v[194:197], v208 offset0:28 offset1:29
	ds_load_2addr_b64 v[198:201], v208 offset0:30 offset1:31
	;; [unrolled: 1-line block ×3, first 2 shown]
	s_wait_dscnt 0x3
	v_pk_mul_f32 v[210:211], v[192:193], v[100:101] op_sel:[1,1] op_sel_hi:[0,1]
	s_delay_alu instid0(VALU_DEP_1) | instskip(SKIP_1) | instid1(VALU_DEP_1)
	v_pk_fma_f32 v[212:213], v[192:193], v[100:101], v[210:211] op_sel_hi:[1,0,1] neg_lo:[0,0,1] neg_hi:[0,0,1]
	v_pk_fma_f32 v[210:211], v[192:193], v[100:101], v[210:211] op_sel_hi:[1,0,1]
	v_dual_mov_b32 v100, v212 :: v_dual_mov_b32 v101, v211
	s_wait_dscnt 0x2
	s_delay_alu instid0(VALU_DEP_2)
	v_pk_mul_f32 v[214:215], v[194:195], v[210:211] op_sel:[0,1]
	v_pk_mul_f32 v[216:217], v[196:197], v[210:211] op_sel:[0,1]
	s_wait_dscnt 0x1
	v_pk_mul_f32 v[218:219], v[198:199], v[210:211] op_sel:[0,1]
	v_dual_mov_b32 v220, v201 :: v_dual_mov_b32 v221, v200
	v_dual_mul_f32 v222, v201, v211 :: v_dual_mul_f32 v224, v201, v212
	s_wait_dscnt 0x0
	v_pk_mul_f32 v[226:227], v[202:203], v[210:211] op_sel:[0,1]
	v_dual_mov_b32 v228, v205 :: v_dual_mov_b32 v229, v204
	v_dual_mul_f32 v210, v205, v211 :: v_dual_mul_f32 v230, v205, v212
	v_pk_fma_f32 v[232:233], v[194:195], v[212:213], v[214:215] op_sel:[0,0,1] op_sel_hi:[1,1,0] neg_lo:[0,0,1] neg_hi:[0,0,1]
	v_pk_fma_f32 v[194:195], v[194:195], v[212:213], v[214:215] op_sel:[0,0,1] op_sel_hi:[1,0,0]
	v_pk_fma_f32 v[214:215], v[196:197], v[212:213], v[216:217] op_sel:[0,0,1] op_sel_hi:[1,1,0] neg_lo:[0,0,1] neg_hi:[0,0,1]
	v_pk_fma_f32 v[196:197], v[196:197], v[212:213], v[216:217] op_sel:[0,0,1] op_sel_hi:[1,0,0]
	;; [unrolled: 2-line block ×3, first 2 shown]
	v_pk_fma_f32 v[218:219], v[220:221], v[100:101], v[224:225] op_sel_hi:[1,1,0]
	v_pk_fma_f32 v[220:221], v[202:203], v[212:213], v[226:227] op_sel:[0,0,1] op_sel_hi:[1,1,0] neg_lo:[0,0,1] neg_hi:[0,0,1]
	v_pk_fma_f32 v[202:203], v[202:203], v[212:213], v[226:227] op_sel:[0,0,1] op_sel_hi:[1,0,0]
	v_dual_mov_b32 v233, v195 :: v_dual_mov_b32 v215, v197
	v_pk_fma_f32 v[194:195], v[228:229], v[100:101], v[230:231] op_sel_hi:[1,1,0]
	v_pk_fma_f32 v[200:201], v[200:201], v[100:101], v[222:223] op_sel_hi:[1,1,0] neg_lo:[0,0,1] neg_hi:[0,0,1]
	v_pk_fma_f32 v[196:197], v[204:205], v[100:101], v[210:211] op_sel_hi:[1,1,0] neg_lo:[0,0,1] neg_hi:[0,0,1]
	v_dual_mov_b32 v217, v199 :: v_dual_mov_b32 v201, v219
	s_delay_alu instid0(VALU_DEP_4) | instskip(SKIP_2) | instid1(VALU_DEP_4)
	v_dual_mov_b32 v221, v203 :: v_dual_mov_b32 v197, v195
	v_pk_add_f32 v[118:119], v[118:119], v[232:233] neg_lo:[0,1] neg_hi:[0,1]
	v_pk_add_f32 v[116:117], v[116:117], v[214:215] neg_lo:[0,1] neg_hi:[0,1]
	;; [unrolled: 1-line block ×6, first 2 shown]
.LBB67_253:
	s_or_b32 exec_lo, exec_lo, s1
	s_delay_alu instid0(SALU_CYCLE_1)
	s_mov_b32 s2, exec_lo
	s_wait_dscnt 0x0
	s_barrier_signal -1
	s_barrier_wait -1
	v_cmpx_eq_u32_e32 28, v206
	s_cbranch_execz .LBB67_260
; %bb.254:
	ds_store_b64 v207, v[118:119]
	ds_store_2addr_b64 v208, v[116:117], v[130:131] offset0:29 offset1:30
	ds_store_2addr_b64 v208, v[122:123], v[120:121] offset0:31 offset1:32
	ds_store_b64 v208, v[134:135] offset:264
	ds_load_b64 v[194:195], v207
	s_wait_dscnt 0x0
	v_cmp_neq_f32_e32 vcc_lo, 0, v194
	v_cmp_neq_f32_e64 s1, 0, v195
	s_or_b32 s1, vcc_lo, s1
	s_delay_alu instid0(SALU_CYCLE_1)
	s_and_b32 exec_lo, exec_lo, s1
	s_cbranch_execz .LBB67_260
; %bb.255:
	v_cmp_ngt_f32_e64 s1, |v194|, |v195|
                                        ; implicit-def: $vgpr196_vgpr197
	s_and_saveexec_b32 s4, s1
	s_delay_alu instid0(SALU_CYCLE_1)
	s_xor_b32 s1, exec_lo, s4
	s_cbranch_execz .LBB67_257
; %bb.256:
	v_div_scale_f32 v196, null, v195, v195, v194
	v_div_scale_f32 v199, vcc_lo, v194, v195, v194
	s_delay_alu instid0(VALU_DEP_2) | instskip(SKIP_1) | instid1(TRANS32_DEP_1)
	v_rcp_f32_e32 v197, v196
	v_nop
	v_fma_f32 v198, -v196, v197, 1.0
	s_delay_alu instid0(VALU_DEP_1) | instskip(NEXT) | instid1(VALU_DEP_1)
	v_fmac_f32_e32 v197, v198, v197
	v_mul_f32_e32 v198, v199, v197
	s_delay_alu instid0(VALU_DEP_1) | instskip(NEXT) | instid1(VALU_DEP_1)
	v_fma_f32 v200, -v196, v198, v199
	v_fmac_f32_e32 v198, v200, v197
	s_delay_alu instid0(VALU_DEP_1) | instskip(NEXT) | instid1(VALU_DEP_1)
	v_fma_f32 v196, -v196, v198, v199
	v_div_fmas_f32 v196, v196, v197, v198
	s_delay_alu instid0(VALU_DEP_1) | instskip(NEXT) | instid1(VALU_DEP_1)
	v_div_fixup_f32 v196, v196, v195, v194
	v_fmac_f32_e32 v195, v194, v196
	s_delay_alu instid0(VALU_DEP_1) | instskip(SKIP_1) | instid1(VALU_DEP_2)
	v_div_scale_f32 v194, null, v195, v195, 1.0
	v_div_scale_f32 v199, vcc_lo, 1.0, v195, 1.0
	v_rcp_f32_e32 v197, v194
	v_nop
	s_delay_alu instid0(TRANS32_DEP_1) | instskip(NEXT) | instid1(VALU_DEP_1)
	v_fma_f32 v198, -v194, v197, 1.0
	v_fmac_f32_e32 v197, v198, v197
	s_delay_alu instid0(VALU_DEP_1) | instskip(NEXT) | instid1(VALU_DEP_1)
	v_mul_f32_e32 v198, v199, v197
	v_fma_f32 v200, -v194, v198, v199
	s_delay_alu instid0(VALU_DEP_1) | instskip(NEXT) | instid1(VALU_DEP_1)
	v_fmac_f32_e32 v198, v200, v197
	v_fma_f32 v194, -v194, v198, v199
	s_delay_alu instid0(VALU_DEP_1) | instskip(NEXT) | instid1(VALU_DEP_1)
	v_div_fmas_f32 v194, v194, v197, v198
	v_div_fixup_f32 v194, v194, v195, 1.0
	s_delay_alu instid0(VALU_DEP_1)
	v_mul_f32_e32 v196, v196, v194
	v_xor_b32_e32 v197, 0x80000000, v194
                                        ; implicit-def: $vgpr194_vgpr195
.LBB67_257:
	s_and_not1_saveexec_b32 s1, s1
	s_cbranch_execz .LBB67_259
; %bb.258:
	v_div_scale_f32 v196, null, v194, v194, v195
	v_div_scale_f32 v199, vcc_lo, v195, v194, v195
	s_delay_alu instid0(VALU_DEP_2) | instskip(SKIP_1) | instid1(TRANS32_DEP_1)
	v_rcp_f32_e32 v197, v196
	v_nop
	v_fma_f32 v198, -v196, v197, 1.0
	s_delay_alu instid0(VALU_DEP_1) | instskip(NEXT) | instid1(VALU_DEP_1)
	v_fmac_f32_e32 v197, v198, v197
	v_mul_f32_e32 v198, v199, v197
	s_delay_alu instid0(VALU_DEP_1) | instskip(NEXT) | instid1(VALU_DEP_1)
	v_fma_f32 v200, -v196, v198, v199
	v_fmac_f32_e32 v198, v200, v197
	s_delay_alu instid0(VALU_DEP_1) | instskip(NEXT) | instid1(VALU_DEP_1)
	v_fma_f32 v196, -v196, v198, v199
	v_div_fmas_f32 v196, v196, v197, v198
	s_delay_alu instid0(VALU_DEP_1) | instskip(NEXT) | instid1(VALU_DEP_1)
	v_div_fixup_f32 v197, v196, v194, v195
	v_fmac_f32_e32 v194, v195, v197
	s_delay_alu instid0(VALU_DEP_1) | instskip(NEXT) | instid1(VALU_DEP_1)
	v_div_scale_f32 v195, null, v194, v194, 1.0
	v_rcp_f32_e32 v196, v195
	v_nop
	s_delay_alu instid0(TRANS32_DEP_1) | instskip(NEXT) | instid1(VALU_DEP_1)
	v_fma_f32 v198, -v195, v196, 1.0
	v_fmac_f32_e32 v196, v198, v196
	v_div_scale_f32 v198, vcc_lo, 1.0, v194, 1.0
	s_delay_alu instid0(VALU_DEP_1) | instskip(NEXT) | instid1(VALU_DEP_1)
	v_mul_f32_e32 v199, v198, v196
	v_fma_f32 v200, -v195, v199, v198
	s_delay_alu instid0(VALU_DEP_1) | instskip(NEXT) | instid1(VALU_DEP_1)
	v_fmac_f32_e32 v199, v200, v196
	v_fma_f32 v195, -v195, v199, v198
	s_delay_alu instid0(VALU_DEP_1) | instskip(NEXT) | instid1(VALU_DEP_1)
	v_div_fmas_f32 v195, v195, v196, v199
	v_div_fixup_f32 v196, v195, v194, 1.0
	s_delay_alu instid0(VALU_DEP_1)
	v_mul_f32_e64 v197, v197, -v196
.LBB67_259:
	s_or_b32 exec_lo, exec_lo, s1
	ds_store_b64 v207, v[196:197]
.LBB67_260:
	s_or_b32 exec_lo, exec_lo, s2
	s_wait_dscnt 0x0
	s_barrier_signal -1
	s_barrier_wait -1
	ds_load_b64 v[194:195], v207
	s_mov_b32 s1, exec_lo
	v_cmpx_lt_u32_e32 28, v206
	s_cbranch_execz .LBB67_262
; %bb.261:
	ds_load_2addr_b64 v[196:199], v208 offset0:29 offset1:30
	ds_load_2addr_b64 v[200:203], v208 offset0:31 offset1:32
	ds_load_b64 v[204:205], v208 offset:264
	s_wait_dscnt 0x3
	v_pk_mul_f32 v[210:211], v[194:195], v[118:119] op_sel:[1,1] op_sel_hi:[0,1]
	s_delay_alu instid0(VALU_DEP_1) | instskip(SKIP_1) | instid1(VALU_DEP_1)
	v_pk_fma_f32 v[212:213], v[194:195], v[118:119], v[210:211] op_sel_hi:[1,0,1] neg_lo:[0,0,1] neg_hi:[0,0,1]
	v_pk_fma_f32 v[210:211], v[194:195], v[118:119], v[210:211] op_sel_hi:[1,0,1]
	v_dual_mov_b32 v118, v212 :: v_dual_mov_b32 v119, v211
	s_wait_dscnt 0x2
	s_delay_alu instid0(VALU_DEP_2)
	v_pk_mul_f32 v[214:215], v[196:197], v[210:211] op_sel:[0,1]
	v_pk_mul_f32 v[216:217], v[198:199], v[210:211] op_sel:[0,1]
	s_wait_dscnt 0x1
	v_pk_mul_f32 v[218:219], v[200:201], v[210:211] op_sel:[0,1]
	v_dual_mov_b32 v220, v203 :: v_dual_mov_b32 v221, v202
	v_dual_mul_f32 v222, v203, v211 :: v_dual_mul_f32 v224, v203, v212
	s_wait_dscnt 0x0
	v_pk_mul_f32 v[210:211], v[204:205], v[210:211] op_sel:[0,1]
	v_pk_fma_f32 v[226:227], v[196:197], v[212:213], v[214:215] op_sel:[0,0,1] op_sel_hi:[1,1,0] neg_lo:[0,0,1] neg_hi:[0,0,1]
	v_pk_fma_f32 v[196:197], v[196:197], v[212:213], v[214:215] op_sel:[0,0,1] op_sel_hi:[1,0,0]
	v_pk_fma_f32 v[214:215], v[198:199], v[212:213], v[216:217] op_sel:[0,0,1] op_sel_hi:[1,1,0] neg_lo:[0,0,1] neg_hi:[0,0,1]
	v_pk_fma_f32 v[198:199], v[198:199], v[212:213], v[216:217] op_sel:[0,0,1] op_sel_hi:[1,0,0]
	;; [unrolled: 2-line block ×3, first 2 shown]
	v_pk_fma_f32 v[218:219], v[220:221], v[118:119], v[224:225] op_sel_hi:[1,1,0]
	v_pk_fma_f32 v[220:221], v[204:205], v[212:213], v[210:211] op_sel:[0,0,1] op_sel_hi:[1,1,0] neg_lo:[0,0,1] neg_hi:[0,0,1]
	v_pk_fma_f32 v[204:205], v[204:205], v[212:213], v[210:211] op_sel:[0,0,1] op_sel_hi:[1,0,0]
	v_pk_fma_f32 v[202:203], v[202:203], v[118:119], v[222:223] op_sel_hi:[1,1,0] neg_lo:[0,0,1] neg_hi:[0,0,1]
	v_dual_mov_b32 v227, v197 :: v_dual_mov_b32 v215, v199
	v_dual_mov_b32 v217, v201 :: v_dual_mov_b32 v203, v219
	s_delay_alu instid0(VALU_DEP_4) | instskip(NEXT) | instid1(VALU_DEP_3)
	v_mov_b32_e32 v221, v205
	v_pk_add_f32 v[116:117], v[116:117], v[226:227] neg_lo:[0,1] neg_hi:[0,1]
	s_delay_alu instid0(VALU_DEP_4) | instskip(NEXT) | instid1(VALU_DEP_4)
	v_pk_add_f32 v[130:131], v[130:131], v[214:215] neg_lo:[0,1] neg_hi:[0,1]
	v_pk_add_f32 v[122:123], v[122:123], v[216:217] neg_lo:[0,1] neg_hi:[0,1]
	;; [unrolled: 1-line block ×4, first 2 shown]
.LBB67_262:
	s_or_b32 exec_lo, exec_lo, s1
	s_delay_alu instid0(SALU_CYCLE_1)
	s_mov_b32 s2, exec_lo
	s_wait_dscnt 0x0
	s_barrier_signal -1
	s_barrier_wait -1
	v_cmpx_eq_u32_e32 29, v206
	s_cbranch_execz .LBB67_269
; %bb.263:
	v_dual_mov_b32 v196, v130 :: v_dual_mov_b32 v197, v131
	v_dual_mov_b32 v198, v122 :: v_dual_mov_b32 v199, v123
	;; [unrolled: 1-line block ×3, first 2 shown]
	ds_store_b64 v207, v[116:117]
	ds_store_2addr_b64 v208, v[196:197], v[198:199] offset0:30 offset1:31
	ds_store_2addr_b64 v208, v[200:201], v[134:135] offset0:32 offset1:33
	ds_load_b64 v[196:197], v207
	s_wait_dscnt 0x0
	v_cmp_neq_f32_e32 vcc_lo, 0, v196
	v_cmp_neq_f32_e64 s1, 0, v197
	s_or_b32 s1, vcc_lo, s1
	s_delay_alu instid0(SALU_CYCLE_1)
	s_and_b32 exec_lo, exec_lo, s1
	s_cbranch_execz .LBB67_269
; %bb.264:
	v_cmp_ngt_f32_e64 s1, |v196|, |v197|
                                        ; implicit-def: $vgpr198_vgpr199
	s_and_saveexec_b32 s4, s1
	s_delay_alu instid0(SALU_CYCLE_1)
	s_xor_b32 s1, exec_lo, s4
	s_cbranch_execz .LBB67_266
; %bb.265:
	v_div_scale_f32 v198, null, v197, v197, v196
	v_div_scale_f32 v201, vcc_lo, v196, v197, v196
	s_delay_alu instid0(VALU_DEP_2) | instskip(SKIP_1) | instid1(TRANS32_DEP_1)
	v_rcp_f32_e32 v199, v198
	v_nop
	v_fma_f32 v200, -v198, v199, 1.0
	s_delay_alu instid0(VALU_DEP_1) | instskip(NEXT) | instid1(VALU_DEP_1)
	v_fmac_f32_e32 v199, v200, v199
	v_mul_f32_e32 v200, v201, v199
	s_delay_alu instid0(VALU_DEP_1) | instskip(NEXT) | instid1(VALU_DEP_1)
	v_fma_f32 v202, -v198, v200, v201
	v_fmac_f32_e32 v200, v202, v199
	s_delay_alu instid0(VALU_DEP_1) | instskip(NEXT) | instid1(VALU_DEP_1)
	v_fma_f32 v198, -v198, v200, v201
	v_div_fmas_f32 v198, v198, v199, v200
	s_delay_alu instid0(VALU_DEP_1) | instskip(NEXT) | instid1(VALU_DEP_1)
	v_div_fixup_f32 v198, v198, v197, v196
	v_fmac_f32_e32 v197, v196, v198
	s_delay_alu instid0(VALU_DEP_1) | instskip(SKIP_1) | instid1(VALU_DEP_2)
	v_div_scale_f32 v196, null, v197, v197, 1.0
	v_div_scale_f32 v201, vcc_lo, 1.0, v197, 1.0
	v_rcp_f32_e32 v199, v196
	v_nop
	s_delay_alu instid0(TRANS32_DEP_1) | instskip(NEXT) | instid1(VALU_DEP_1)
	v_fma_f32 v200, -v196, v199, 1.0
	v_fmac_f32_e32 v199, v200, v199
	s_delay_alu instid0(VALU_DEP_1) | instskip(NEXT) | instid1(VALU_DEP_1)
	v_mul_f32_e32 v200, v201, v199
	v_fma_f32 v202, -v196, v200, v201
	s_delay_alu instid0(VALU_DEP_1) | instskip(NEXT) | instid1(VALU_DEP_1)
	v_fmac_f32_e32 v200, v202, v199
	v_fma_f32 v196, -v196, v200, v201
	s_delay_alu instid0(VALU_DEP_1) | instskip(NEXT) | instid1(VALU_DEP_1)
	v_div_fmas_f32 v196, v196, v199, v200
	v_div_fixup_f32 v196, v196, v197, 1.0
	s_delay_alu instid0(VALU_DEP_1)
	v_mul_f32_e32 v198, v198, v196
	v_xor_b32_e32 v199, 0x80000000, v196
                                        ; implicit-def: $vgpr196_vgpr197
.LBB67_266:
	s_and_not1_saveexec_b32 s1, s1
	s_cbranch_execz .LBB67_268
; %bb.267:
	v_div_scale_f32 v198, null, v196, v196, v197
	v_div_scale_f32 v201, vcc_lo, v197, v196, v197
	s_delay_alu instid0(VALU_DEP_2) | instskip(SKIP_1) | instid1(TRANS32_DEP_1)
	v_rcp_f32_e32 v199, v198
	v_nop
	v_fma_f32 v200, -v198, v199, 1.0
	s_delay_alu instid0(VALU_DEP_1) | instskip(NEXT) | instid1(VALU_DEP_1)
	v_fmac_f32_e32 v199, v200, v199
	v_mul_f32_e32 v200, v201, v199
	s_delay_alu instid0(VALU_DEP_1) | instskip(NEXT) | instid1(VALU_DEP_1)
	v_fma_f32 v202, -v198, v200, v201
	v_fmac_f32_e32 v200, v202, v199
	s_delay_alu instid0(VALU_DEP_1) | instskip(NEXT) | instid1(VALU_DEP_1)
	v_fma_f32 v198, -v198, v200, v201
	v_div_fmas_f32 v198, v198, v199, v200
	s_delay_alu instid0(VALU_DEP_1) | instskip(NEXT) | instid1(VALU_DEP_1)
	v_div_fixup_f32 v199, v198, v196, v197
	v_fmac_f32_e32 v196, v197, v199
	s_delay_alu instid0(VALU_DEP_1) | instskip(NEXT) | instid1(VALU_DEP_1)
	v_div_scale_f32 v197, null, v196, v196, 1.0
	v_rcp_f32_e32 v198, v197
	v_nop
	s_delay_alu instid0(TRANS32_DEP_1) | instskip(NEXT) | instid1(VALU_DEP_1)
	v_fma_f32 v200, -v197, v198, 1.0
	v_fmac_f32_e32 v198, v200, v198
	v_div_scale_f32 v200, vcc_lo, 1.0, v196, 1.0
	s_delay_alu instid0(VALU_DEP_1) | instskip(NEXT) | instid1(VALU_DEP_1)
	v_mul_f32_e32 v201, v200, v198
	v_fma_f32 v202, -v197, v201, v200
	s_delay_alu instid0(VALU_DEP_1) | instskip(NEXT) | instid1(VALU_DEP_1)
	v_fmac_f32_e32 v201, v202, v198
	v_fma_f32 v197, -v197, v201, v200
	s_delay_alu instid0(VALU_DEP_1) | instskip(NEXT) | instid1(VALU_DEP_1)
	v_div_fmas_f32 v197, v197, v198, v201
	v_div_fixup_f32 v198, v197, v196, 1.0
	s_delay_alu instid0(VALU_DEP_1)
	v_mul_f32_e64 v199, v199, -v198
.LBB67_268:
	s_or_b32 exec_lo, exec_lo, s1
	ds_store_b64 v207, v[198:199]
.LBB67_269:
	s_or_b32 exec_lo, exec_lo, s2
	s_wait_dscnt 0x0
	s_barrier_signal -1
	s_barrier_wait -1
	ds_load_b64 v[196:197], v207
	s_mov_b32 s1, exec_lo
	v_cmpx_lt_u32_e32 29, v206
	s_cbranch_execz .LBB67_271
; %bb.270:
	ds_load_2addr_b64 v[198:201], v208 offset0:30 offset1:31
	ds_load_2addr_b64 v[202:205], v208 offset0:32 offset1:33
	s_wait_dscnt 0x2
	v_pk_mul_f32 v[210:211], v[196:197], v[116:117] op_sel:[1,1] op_sel_hi:[0,1]
	s_delay_alu instid0(VALU_DEP_1) | instskip(SKIP_1) | instid1(VALU_DEP_1)
	v_pk_fma_f32 v[212:213], v[196:197], v[116:117], v[210:211] op_sel_hi:[1,0,1] neg_lo:[0,0,1] neg_hi:[0,0,1]
	v_pk_fma_f32 v[210:211], v[196:197], v[116:117], v[210:211] op_sel_hi:[1,0,1]
	v_dual_mov_b32 v116, v212 :: v_dual_mov_b32 v117, v211
	s_wait_dscnt 0x1
	s_delay_alu instid0(VALU_DEP_2)
	v_pk_mul_f32 v[214:215], v[198:199], v[210:211] op_sel:[0,1]
	s_wait_dscnt 0x0
	v_mov_b32_e32 v216, v205
	v_pk_mul_f32 v[218:219], v[200:201], v[210:211] op_sel:[0,1]
	v_pk_mul_f32 v[220:221], v[202:203], v[210:211] op_sel:[0,1]
	v_pk_fma_f32 v[222:223], v[198:199], v[212:213], v[214:215] op_sel:[0,0,1] op_sel_hi:[1,1,0] neg_lo:[0,0,1] neg_hi:[0,0,1]
	v_pk_fma_f32 v[198:199], v[198:199], v[212:213], v[214:215] op_sel:[0,0,1] op_sel_hi:[1,0,0]
	s_delay_alu instid0(VALU_DEP_1) | instskip(NEXT) | instid1(VALU_DEP_1)
	v_dual_mov_b32 v217, v204 :: v_dual_mov_b32 v223, v199
	v_pk_mul_f32 v[214:215], v[216:217], v[210:211] op_sel:[0,1]
	v_pk_fma_f32 v[216:217], v[200:201], v[212:213], v[218:219] op_sel:[0,0,1] op_sel_hi:[1,0,0]
	v_pk_fma_f32 v[200:201], v[200:201], v[212:213], v[218:219] op_sel:[0,0,1] op_sel_hi:[1,1,0] neg_lo:[0,0,1] neg_hi:[0,0,1]
	v_pk_fma_f32 v[218:219], v[202:203], v[212:213], v[220:221] op_sel:[0,0,1] op_sel_hi:[1,0,0]
	v_pk_fma_f32 v[202:203], v[202:203], v[212:213], v[220:221] op_sel:[0,0,1] op_sel_hi:[1,1,0] neg_lo:[0,0,1] neg_hi:[0,0,1]
	v_pk_fma_f32 v[198:199], v[204:205], v[212:213], v[214:215] op_sel_hi:[1,0,1]
	v_pk_fma_f32 v[204:205], v[204:205], v[212:213], v[214:215] neg_lo:[0,0,1] neg_hi:[0,0,1]
	s_delay_alu instid0(VALU_DEP_4) | instskip(SKIP_1) | instid1(VALU_DEP_4)
	v_dual_mov_b32 v201, v217 :: v_dual_mov_b32 v203, v219
	v_pk_add_f32 v[130:131], v[130:131], v[222:223] neg_lo:[0,1] neg_hi:[0,1]
	v_mov_b32_e32 v205, v199
	s_delay_alu instid0(VALU_DEP_3) | instskip(NEXT) | instid1(VALU_DEP_4)
	v_pk_add_f32 v[122:123], v[122:123], v[200:201] neg_lo:[0,1] neg_hi:[0,1]
	v_pk_add_f32 v[120:121], v[120:121], v[202:203] neg_lo:[0,1] neg_hi:[0,1]
	s_delay_alu instid0(VALU_DEP_3)
	v_pk_add_f32 v[134:135], v[134:135], v[204:205] neg_lo:[0,1] neg_hi:[0,1]
.LBB67_271:
	s_or_b32 exec_lo, exec_lo, s1
	s_delay_alu instid0(SALU_CYCLE_1)
	s_mov_b32 s2, exec_lo
	s_wait_dscnt 0x0
	s_barrier_signal -1
	s_barrier_wait -1
	v_cmpx_eq_u32_e32 30, v206
	s_cbranch_execz .LBB67_278
; %bb.272:
	ds_store_b64 v207, v[130:131]
	ds_store_2addr_b64 v208, v[122:123], v[120:121] offset0:31 offset1:32
	ds_store_b64 v208, v[134:135] offset:264
	ds_load_b64 v[198:199], v207
	s_wait_dscnt 0x0
	v_cmp_neq_f32_e32 vcc_lo, 0, v198
	v_cmp_neq_f32_e64 s1, 0, v199
	s_or_b32 s1, vcc_lo, s1
	s_delay_alu instid0(SALU_CYCLE_1)
	s_and_b32 exec_lo, exec_lo, s1
	s_cbranch_execz .LBB67_278
; %bb.273:
	v_cmp_ngt_f32_e64 s1, |v198|, |v199|
                                        ; implicit-def: $vgpr200_vgpr201
	s_and_saveexec_b32 s4, s1
	s_delay_alu instid0(SALU_CYCLE_1)
	s_xor_b32 s1, exec_lo, s4
	s_cbranch_execz .LBB67_275
; %bb.274:
	v_div_scale_f32 v200, null, v199, v199, v198
	v_div_scale_f32 v203, vcc_lo, v198, v199, v198
	s_delay_alu instid0(VALU_DEP_2) | instskip(SKIP_1) | instid1(TRANS32_DEP_1)
	v_rcp_f32_e32 v201, v200
	v_nop
	v_fma_f32 v202, -v200, v201, 1.0
	s_delay_alu instid0(VALU_DEP_1) | instskip(NEXT) | instid1(VALU_DEP_1)
	v_fmac_f32_e32 v201, v202, v201
	v_mul_f32_e32 v202, v203, v201
	s_delay_alu instid0(VALU_DEP_1) | instskip(NEXT) | instid1(VALU_DEP_1)
	v_fma_f32 v204, -v200, v202, v203
	v_fmac_f32_e32 v202, v204, v201
	s_delay_alu instid0(VALU_DEP_1) | instskip(NEXT) | instid1(VALU_DEP_1)
	v_fma_f32 v200, -v200, v202, v203
	v_div_fmas_f32 v200, v200, v201, v202
	s_delay_alu instid0(VALU_DEP_1) | instskip(NEXT) | instid1(VALU_DEP_1)
	v_div_fixup_f32 v200, v200, v199, v198
	v_fmac_f32_e32 v199, v198, v200
	s_delay_alu instid0(VALU_DEP_1) | instskip(SKIP_1) | instid1(VALU_DEP_2)
	v_div_scale_f32 v198, null, v199, v199, 1.0
	v_div_scale_f32 v203, vcc_lo, 1.0, v199, 1.0
	v_rcp_f32_e32 v201, v198
	v_nop
	s_delay_alu instid0(TRANS32_DEP_1) | instskip(NEXT) | instid1(VALU_DEP_1)
	v_fma_f32 v202, -v198, v201, 1.0
	v_fmac_f32_e32 v201, v202, v201
	s_delay_alu instid0(VALU_DEP_1) | instskip(NEXT) | instid1(VALU_DEP_1)
	v_mul_f32_e32 v202, v203, v201
	v_fma_f32 v204, -v198, v202, v203
	s_delay_alu instid0(VALU_DEP_1) | instskip(NEXT) | instid1(VALU_DEP_1)
	v_fmac_f32_e32 v202, v204, v201
	v_fma_f32 v198, -v198, v202, v203
	s_delay_alu instid0(VALU_DEP_1) | instskip(NEXT) | instid1(VALU_DEP_1)
	v_div_fmas_f32 v198, v198, v201, v202
	v_div_fixup_f32 v198, v198, v199, 1.0
	s_delay_alu instid0(VALU_DEP_1)
	v_mul_f32_e32 v200, v200, v198
	v_xor_b32_e32 v201, 0x80000000, v198
                                        ; implicit-def: $vgpr198_vgpr199
.LBB67_275:
	s_and_not1_saveexec_b32 s1, s1
	s_cbranch_execz .LBB67_277
; %bb.276:
	v_div_scale_f32 v200, null, v198, v198, v199
	v_div_scale_f32 v203, vcc_lo, v199, v198, v199
	s_delay_alu instid0(VALU_DEP_2) | instskip(SKIP_1) | instid1(TRANS32_DEP_1)
	v_rcp_f32_e32 v201, v200
	v_nop
	v_fma_f32 v202, -v200, v201, 1.0
	s_delay_alu instid0(VALU_DEP_1) | instskip(NEXT) | instid1(VALU_DEP_1)
	v_fmac_f32_e32 v201, v202, v201
	v_mul_f32_e32 v202, v203, v201
	s_delay_alu instid0(VALU_DEP_1) | instskip(NEXT) | instid1(VALU_DEP_1)
	v_fma_f32 v204, -v200, v202, v203
	v_fmac_f32_e32 v202, v204, v201
	s_delay_alu instid0(VALU_DEP_1) | instskip(NEXT) | instid1(VALU_DEP_1)
	v_fma_f32 v200, -v200, v202, v203
	v_div_fmas_f32 v200, v200, v201, v202
	s_delay_alu instid0(VALU_DEP_1) | instskip(NEXT) | instid1(VALU_DEP_1)
	v_div_fixup_f32 v201, v200, v198, v199
	v_fmac_f32_e32 v198, v199, v201
	s_delay_alu instid0(VALU_DEP_1) | instskip(NEXT) | instid1(VALU_DEP_1)
	v_div_scale_f32 v199, null, v198, v198, 1.0
	v_rcp_f32_e32 v200, v199
	v_nop
	s_delay_alu instid0(TRANS32_DEP_1) | instskip(NEXT) | instid1(VALU_DEP_1)
	v_fma_f32 v202, -v199, v200, 1.0
	v_fmac_f32_e32 v200, v202, v200
	v_div_scale_f32 v202, vcc_lo, 1.0, v198, 1.0
	s_delay_alu instid0(VALU_DEP_1) | instskip(NEXT) | instid1(VALU_DEP_1)
	v_mul_f32_e32 v203, v202, v200
	v_fma_f32 v204, -v199, v203, v202
	s_delay_alu instid0(VALU_DEP_1) | instskip(NEXT) | instid1(VALU_DEP_1)
	v_fmac_f32_e32 v203, v204, v200
	v_fma_f32 v199, -v199, v203, v202
	s_delay_alu instid0(VALU_DEP_1) | instskip(NEXT) | instid1(VALU_DEP_1)
	v_div_fmas_f32 v199, v199, v200, v203
	v_div_fixup_f32 v200, v199, v198, 1.0
	s_delay_alu instid0(VALU_DEP_1)
	v_mul_f32_e64 v201, v201, -v200
.LBB67_277:
	s_or_b32 exec_lo, exec_lo, s1
	ds_store_b64 v207, v[200:201]
.LBB67_278:
	s_or_b32 exec_lo, exec_lo, s2
	s_wait_dscnt 0x0
	s_barrier_signal -1
	s_barrier_wait -1
	ds_load_b64 v[198:199], v207
	s_mov_b32 s1, exec_lo
	v_cmpx_lt_u32_e32 30, v206
	s_cbranch_execz .LBB67_280
; %bb.279:
	ds_load_2addr_b64 v[200:203], v208 offset0:31 offset1:32
	ds_load_b64 v[204:205], v208 offset:264
	s_wait_dscnt 0x2
	v_pk_mul_f32 v[210:211], v[198:199], v[130:131] op_sel:[1,1] op_sel_hi:[0,1]
	s_delay_alu instid0(VALU_DEP_1) | instskip(SKIP_2) | instid1(VALU_DEP_2)
	v_pk_fma_f32 v[212:213], v[198:199], v[130:131], v[210:211] op_sel_hi:[1,0,1]
	v_pk_fma_f32 v[130:131], v[198:199], v[130:131], v[210:211] op_sel_hi:[1,0,1] neg_lo:[0,0,1] neg_hi:[0,0,1]
	s_wait_dscnt 0x1
	v_pk_mul_f32 v[210:211], v[200:201], v[212:213] op_sel:[0,1]
	v_pk_mul_f32 v[214:215], v[202:203], v[212:213] op_sel:[0,1]
	s_wait_dscnt 0x0
	v_pk_mul_f32 v[216:217], v[204:205], v[212:213] op_sel:[1,1] op_sel_hi:[0,1]
	s_delay_alu instid0(VALU_DEP_3) | instskip(SKIP_2) | instid1(VALU_DEP_4)
	v_pk_fma_f32 v[218:219], v[200:201], v[130:131], v[210:211] op_sel:[0,0,1] op_sel_hi:[1,1,0] neg_lo:[0,0,1] neg_hi:[0,0,1]
	v_pk_fma_f32 v[200:201], v[200:201], v[130:131], v[210:211] op_sel:[0,0,1] op_sel_hi:[1,0,0]
	v_pk_fma_f32 v[210:211], v[202:203], v[130:131], v[214:215] op_sel:[0,0,1] op_sel_hi:[1,0,0]
	v_pk_fma_f32 v[220:221], v[204:205], v[130:131], v[216:217] op_sel_hi:[1,0,1]
	v_pk_fma_f32 v[202:203], v[202:203], v[130:131], v[214:215] op_sel:[0,0,1] op_sel_hi:[1,1,0] neg_lo:[0,0,1] neg_hi:[0,0,1]
	v_pk_fma_f32 v[204:205], v[204:205], v[130:131], v[216:217] neg_lo:[0,0,1] neg_hi:[0,0,1]
	s_delay_alu instid0(VALU_DEP_4) | instskip(NEXT) | instid1(VALU_DEP_4)
	v_dual_mov_b32 v219, v201 :: v_dual_mov_b32 v203, v211
	v_dual_mov_b32 v205, v221 :: v_dual_mov_b32 v131, v213
	s_delay_alu instid0(VALU_DEP_2) | instskip(NEXT) | instid1(VALU_DEP_3)
	v_pk_add_f32 v[122:123], v[122:123], v[218:219] neg_lo:[0,1] neg_hi:[0,1]
	v_pk_add_f32 v[120:121], v[120:121], v[202:203] neg_lo:[0,1] neg_hi:[0,1]
	s_delay_alu instid0(VALU_DEP_3)
	v_pk_add_f32 v[134:135], v[134:135], v[204:205] neg_lo:[0,1] neg_hi:[0,1]
.LBB67_280:
	s_or_b32 exec_lo, exec_lo, s1
	s_delay_alu instid0(SALU_CYCLE_1)
	s_mov_b32 s2, exec_lo
	s_wait_dscnt 0x0
	s_barrier_signal -1
	s_barrier_wait -1
	v_cmpx_eq_u32_e32 31, v206
	s_cbranch_execz .LBB67_287
; %bb.281:
	v_dual_mov_b32 v200, v120 :: v_dual_mov_b32 v201, v121
	ds_store_b64 v207, v[122:123]
	ds_store_2addr_b64 v208, v[200:201], v[134:135] offset0:32 offset1:33
	ds_load_b64 v[200:201], v207
	s_wait_dscnt 0x0
	v_cmp_neq_f32_e32 vcc_lo, 0, v200
	v_cmp_neq_f32_e64 s1, 0, v201
	s_or_b32 s1, vcc_lo, s1
	s_delay_alu instid0(SALU_CYCLE_1)
	s_and_b32 exec_lo, exec_lo, s1
	s_cbranch_execz .LBB67_287
; %bb.282:
	v_cmp_ngt_f32_e64 s1, |v200|, |v201|
                                        ; implicit-def: $vgpr202_vgpr203
	s_and_saveexec_b32 s4, s1
	s_delay_alu instid0(SALU_CYCLE_1)
	s_xor_b32 s1, exec_lo, s4
	s_cbranch_execz .LBB67_284
; %bb.283:
	v_div_scale_f32 v202, null, v201, v201, v200
	v_div_scale_f32 v205, vcc_lo, v200, v201, v200
	s_delay_alu instid0(VALU_DEP_2) | instskip(SKIP_1) | instid1(TRANS32_DEP_1)
	v_rcp_f32_e32 v203, v202
	v_nop
	v_fma_f32 v204, -v202, v203, 1.0
	s_delay_alu instid0(VALU_DEP_1) | instskip(NEXT) | instid1(VALU_DEP_1)
	v_fmac_f32_e32 v203, v204, v203
	v_mul_f32_e32 v204, v205, v203
	s_delay_alu instid0(VALU_DEP_1) | instskip(NEXT) | instid1(VALU_DEP_1)
	v_fma_f32 v209, -v202, v204, v205
	v_fmac_f32_e32 v204, v209, v203
	s_delay_alu instid0(VALU_DEP_1) | instskip(NEXT) | instid1(VALU_DEP_1)
	v_fma_f32 v202, -v202, v204, v205
	v_div_fmas_f32 v202, v202, v203, v204
	s_delay_alu instid0(VALU_DEP_1) | instskip(NEXT) | instid1(VALU_DEP_1)
	v_div_fixup_f32 v202, v202, v201, v200
	v_fmac_f32_e32 v201, v200, v202
	s_delay_alu instid0(VALU_DEP_1) | instskip(SKIP_1) | instid1(VALU_DEP_2)
	v_div_scale_f32 v200, null, v201, v201, 1.0
	v_div_scale_f32 v205, vcc_lo, 1.0, v201, 1.0
	v_rcp_f32_e32 v203, v200
	v_nop
	s_delay_alu instid0(TRANS32_DEP_1) | instskip(NEXT) | instid1(VALU_DEP_1)
	v_fma_f32 v204, -v200, v203, 1.0
	v_fmac_f32_e32 v203, v204, v203
	s_delay_alu instid0(VALU_DEP_1) | instskip(NEXT) | instid1(VALU_DEP_1)
	v_mul_f32_e32 v204, v205, v203
	v_fma_f32 v209, -v200, v204, v205
	s_delay_alu instid0(VALU_DEP_1) | instskip(NEXT) | instid1(VALU_DEP_1)
	v_fmac_f32_e32 v204, v209, v203
	v_fma_f32 v200, -v200, v204, v205
	s_delay_alu instid0(VALU_DEP_1) | instskip(NEXT) | instid1(VALU_DEP_1)
	v_div_fmas_f32 v200, v200, v203, v204
	v_div_fixup_f32 v200, v200, v201, 1.0
	s_delay_alu instid0(VALU_DEP_1)
	v_mul_f32_e32 v202, v202, v200
	v_xor_b32_e32 v203, 0x80000000, v200
                                        ; implicit-def: $vgpr200_vgpr201
.LBB67_284:
	s_and_not1_saveexec_b32 s1, s1
	s_cbranch_execz .LBB67_286
; %bb.285:
	v_div_scale_f32 v202, null, v200, v200, v201
	v_div_scale_f32 v205, vcc_lo, v201, v200, v201
	s_delay_alu instid0(VALU_DEP_2) | instskip(SKIP_1) | instid1(TRANS32_DEP_1)
	v_rcp_f32_e32 v203, v202
	v_nop
	v_fma_f32 v204, -v202, v203, 1.0
	s_delay_alu instid0(VALU_DEP_1) | instskip(NEXT) | instid1(VALU_DEP_1)
	v_fmac_f32_e32 v203, v204, v203
	v_mul_f32_e32 v204, v205, v203
	s_delay_alu instid0(VALU_DEP_1) | instskip(NEXT) | instid1(VALU_DEP_1)
	v_fma_f32 v209, -v202, v204, v205
	v_fmac_f32_e32 v204, v209, v203
	s_delay_alu instid0(VALU_DEP_1) | instskip(NEXT) | instid1(VALU_DEP_1)
	v_fma_f32 v202, -v202, v204, v205
	v_div_fmas_f32 v202, v202, v203, v204
	s_delay_alu instid0(VALU_DEP_1) | instskip(NEXT) | instid1(VALU_DEP_1)
	v_div_fixup_f32 v203, v202, v200, v201
	v_fmac_f32_e32 v200, v201, v203
	s_delay_alu instid0(VALU_DEP_1) | instskip(NEXT) | instid1(VALU_DEP_1)
	v_div_scale_f32 v201, null, v200, v200, 1.0
	v_rcp_f32_e32 v202, v201
	v_nop
	s_delay_alu instid0(TRANS32_DEP_1) | instskip(NEXT) | instid1(VALU_DEP_1)
	v_fma_f32 v204, -v201, v202, 1.0
	v_fmac_f32_e32 v202, v204, v202
	v_div_scale_f32 v204, vcc_lo, 1.0, v200, 1.0
	s_delay_alu instid0(VALU_DEP_1) | instskip(NEXT) | instid1(VALU_DEP_1)
	v_mul_f32_e32 v205, v204, v202
	v_fma_f32 v209, -v201, v205, v204
	s_delay_alu instid0(VALU_DEP_1) | instskip(NEXT) | instid1(VALU_DEP_1)
	v_fmac_f32_e32 v205, v209, v202
	v_fma_f32 v201, -v201, v205, v204
	s_delay_alu instid0(VALU_DEP_1) | instskip(NEXT) | instid1(VALU_DEP_1)
	v_div_fmas_f32 v201, v201, v202, v205
	v_div_fixup_f32 v202, v201, v200, 1.0
	s_delay_alu instid0(VALU_DEP_1)
	v_mul_f32_e64 v203, v203, -v202
.LBB67_286:
	s_or_b32 exec_lo, exec_lo, s1
	ds_store_b64 v207, v[202:203]
.LBB67_287:
	s_or_b32 exec_lo, exec_lo, s2
	s_wait_dscnt 0x0
	s_barrier_signal -1
	s_barrier_wait -1
	ds_load_b64 v[200:201], v207
	s_mov_b32 s1, exec_lo
	v_cmpx_lt_u32_e32 31, v206
	s_cbranch_execz .LBB67_289
; %bb.288:
	ds_load_2addr_b64 v[202:205], v208 offset0:32 offset1:33
	s_wait_dscnt 0x1
	v_pk_mul_f32 v[210:211], v[200:201], v[122:123] op_sel:[1,1] op_sel_hi:[0,1]
	s_delay_alu instid0(VALU_DEP_1) | instskip(SKIP_3) | instid1(VALU_DEP_3)
	v_pk_fma_f32 v[212:213], v[200:201], v[122:123], v[210:211] op_sel_hi:[1,0,1]
	v_pk_fma_f32 v[122:123], v[200:201], v[122:123], v[210:211] op_sel_hi:[1,0,1] neg_lo:[0,0,1] neg_hi:[0,0,1]
	s_wait_dscnt 0x0
	v_dual_mov_b32 v214, v205 :: v_dual_mov_b32 v215, v204
	v_pk_mul_f32 v[210:211], v[202:203], v[212:213] op_sel:[0,1]
	s_delay_alu instid0(VALU_DEP_2) | instskip(NEXT) | instid1(VALU_DEP_2)
	v_pk_mul_f32 v[214:215], v[214:215], v[212:213] op_sel:[0,1]
	v_pk_fma_f32 v[216:217], v[202:203], v[122:123], v[210:211] op_sel:[0,0,1] op_sel_hi:[1,0,0]
	v_pk_fma_f32 v[202:203], v[202:203], v[122:123], v[210:211] op_sel:[0,0,1] op_sel_hi:[1,1,0] neg_lo:[0,0,1] neg_hi:[0,0,1]
	s_delay_alu instid0(VALU_DEP_3) | instskip(SKIP_1) | instid1(VALU_DEP_4)
	v_pk_fma_f32 v[218:219], v[204:205], v[122:123], v[214:215] op_sel_hi:[1,0,1]
	v_pk_fma_f32 v[204:205], v[204:205], v[122:123], v[214:215] neg_lo:[0,0,1] neg_hi:[0,0,1]
	v_dual_mov_b32 v203, v217 :: v_dual_mov_b32 v123, v213
	s_delay_alu instid0(VALU_DEP_3) | instskip(NEXT) | instid1(VALU_DEP_2)
	v_mov_b32_e32 v205, v219
	v_pk_add_f32 v[120:121], v[120:121], v[202:203] neg_lo:[0,1] neg_hi:[0,1]
	s_delay_alu instid0(VALU_DEP_2)
	v_pk_add_f32 v[134:135], v[134:135], v[204:205] neg_lo:[0,1] neg_hi:[0,1]
.LBB67_289:
	s_or_b32 exec_lo, exec_lo, s1
	s_delay_alu instid0(SALU_CYCLE_1)
	s_mov_b32 s2, exec_lo
	s_wait_dscnt 0x0
	s_barrier_signal -1
	s_barrier_wait -1
	v_cmpx_eq_u32_e32 32, v206
	s_cbranch_execz .LBB67_296
; %bb.290:
	ds_store_b64 v207, v[120:121]
	ds_store_b64 v208, v[134:135] offset:264
	ds_load_b64 v[202:203], v207
	s_wait_dscnt 0x0
	v_cmp_neq_f32_e32 vcc_lo, 0, v202
	v_cmp_neq_f32_e64 s1, 0, v203
	s_or_b32 s1, vcc_lo, s1
	s_delay_alu instid0(SALU_CYCLE_1)
	s_and_b32 exec_lo, exec_lo, s1
	s_cbranch_execz .LBB67_296
; %bb.291:
	v_cmp_ngt_f32_e64 s1, |v202|, |v203|
                                        ; implicit-def: $vgpr204_vgpr205
	s_and_saveexec_b32 s4, s1
	s_delay_alu instid0(SALU_CYCLE_1)
	s_xor_b32 s1, exec_lo, s4
	s_cbranch_execz .LBB67_293
; %bb.292:
	v_div_scale_f32 v204, null, v203, v203, v202
	v_div_scale_f32 v210, vcc_lo, v202, v203, v202
	s_delay_alu instid0(VALU_DEP_2) | instskip(SKIP_1) | instid1(TRANS32_DEP_1)
	v_rcp_f32_e32 v205, v204
	v_nop
	v_fma_f32 v209, -v204, v205, 1.0
	s_delay_alu instid0(VALU_DEP_1) | instskip(NEXT) | instid1(VALU_DEP_1)
	v_fmac_f32_e32 v205, v209, v205
	v_mul_f32_e32 v209, v210, v205
	s_delay_alu instid0(VALU_DEP_1) | instskip(NEXT) | instid1(VALU_DEP_1)
	v_fma_f32 v211, -v204, v209, v210
	v_fmac_f32_e32 v209, v211, v205
	s_delay_alu instid0(VALU_DEP_1) | instskip(NEXT) | instid1(VALU_DEP_1)
	v_fma_f32 v204, -v204, v209, v210
	v_div_fmas_f32 v204, v204, v205, v209
	s_delay_alu instid0(VALU_DEP_1) | instskip(NEXT) | instid1(VALU_DEP_1)
	v_div_fixup_f32 v204, v204, v203, v202
	v_fmac_f32_e32 v203, v202, v204
	s_delay_alu instid0(VALU_DEP_1) | instskip(SKIP_1) | instid1(VALU_DEP_2)
	v_div_scale_f32 v202, null, v203, v203, 1.0
	v_div_scale_f32 v210, vcc_lo, 1.0, v203, 1.0
	v_rcp_f32_e32 v205, v202
	v_nop
	s_delay_alu instid0(TRANS32_DEP_1) | instskip(NEXT) | instid1(VALU_DEP_1)
	v_fma_f32 v209, -v202, v205, 1.0
	v_fmac_f32_e32 v205, v209, v205
	s_delay_alu instid0(VALU_DEP_1) | instskip(NEXT) | instid1(VALU_DEP_1)
	v_mul_f32_e32 v209, v210, v205
	v_fma_f32 v211, -v202, v209, v210
	s_delay_alu instid0(VALU_DEP_1) | instskip(NEXT) | instid1(VALU_DEP_1)
	v_fmac_f32_e32 v209, v211, v205
	v_fma_f32 v202, -v202, v209, v210
	s_delay_alu instid0(VALU_DEP_1) | instskip(NEXT) | instid1(VALU_DEP_1)
	v_div_fmas_f32 v202, v202, v205, v209
	v_div_fixup_f32 v202, v202, v203, 1.0
	s_delay_alu instid0(VALU_DEP_1)
	v_mul_f32_e32 v204, v204, v202
	v_xor_b32_e32 v205, 0x80000000, v202
                                        ; implicit-def: $vgpr202_vgpr203
.LBB67_293:
	s_and_not1_saveexec_b32 s1, s1
	s_cbranch_execz .LBB67_295
; %bb.294:
	v_div_scale_f32 v204, null, v202, v202, v203
	v_div_scale_f32 v210, vcc_lo, v203, v202, v203
	s_delay_alu instid0(VALU_DEP_2) | instskip(SKIP_1) | instid1(TRANS32_DEP_1)
	v_rcp_f32_e32 v205, v204
	v_nop
	v_fma_f32 v209, -v204, v205, 1.0
	s_delay_alu instid0(VALU_DEP_1) | instskip(NEXT) | instid1(VALU_DEP_1)
	v_fmac_f32_e32 v205, v209, v205
	v_mul_f32_e32 v209, v210, v205
	s_delay_alu instid0(VALU_DEP_1) | instskip(NEXT) | instid1(VALU_DEP_1)
	v_fma_f32 v211, -v204, v209, v210
	v_fmac_f32_e32 v209, v211, v205
	s_delay_alu instid0(VALU_DEP_1) | instskip(NEXT) | instid1(VALU_DEP_1)
	v_fma_f32 v204, -v204, v209, v210
	v_div_fmas_f32 v204, v204, v205, v209
	s_delay_alu instid0(VALU_DEP_1) | instskip(NEXT) | instid1(VALU_DEP_1)
	v_div_fixup_f32 v205, v204, v202, v203
	v_fmac_f32_e32 v202, v203, v205
	s_delay_alu instid0(VALU_DEP_1) | instskip(NEXT) | instid1(VALU_DEP_1)
	v_div_scale_f32 v203, null, v202, v202, 1.0
	v_rcp_f32_e32 v204, v203
	v_nop
	s_delay_alu instid0(TRANS32_DEP_1) | instskip(NEXT) | instid1(VALU_DEP_1)
	v_fma_f32 v209, -v203, v204, 1.0
	v_fmac_f32_e32 v204, v209, v204
	v_div_scale_f32 v209, vcc_lo, 1.0, v202, 1.0
	s_delay_alu instid0(VALU_DEP_1) | instskip(NEXT) | instid1(VALU_DEP_1)
	v_mul_f32_e32 v210, v209, v204
	v_fma_f32 v211, -v203, v210, v209
	s_delay_alu instid0(VALU_DEP_1) | instskip(NEXT) | instid1(VALU_DEP_1)
	v_fmac_f32_e32 v210, v211, v204
	v_fma_f32 v203, -v203, v210, v209
	s_delay_alu instid0(VALU_DEP_1) | instskip(NEXT) | instid1(VALU_DEP_1)
	v_div_fmas_f32 v203, v203, v204, v210
	v_div_fixup_f32 v204, v203, v202, 1.0
	s_delay_alu instid0(VALU_DEP_1)
	v_mul_f32_e64 v205, v205, -v204
.LBB67_295:
	s_or_b32 exec_lo, exec_lo, s1
	ds_store_b64 v207, v[204:205]
.LBB67_296:
	s_or_b32 exec_lo, exec_lo, s2
	s_wait_dscnt 0x0
	s_barrier_signal -1
	s_barrier_wait -1
	ds_load_b64 v[202:203], v207
	s_mov_b32 s1, exec_lo
	v_cmpx_lt_u32_e32 32, v206
	s_cbranch_execz .LBB67_298
; %bb.297:
	ds_load_b64 v[204:205], v208 offset:264
	s_wait_dscnt 0x1
	v_pk_mul_f32 v[208:209], v[202:203], v[120:121] op_sel:[1,1] op_sel_hi:[0,1]
	s_delay_alu instid0(VALU_DEP_1) | instskip(SKIP_2) | instid1(VALU_DEP_2)
	v_pk_fma_f32 v[210:211], v[202:203], v[120:121], v[208:209] op_sel_hi:[1,0,1]
	v_pk_fma_f32 v[120:121], v[202:203], v[120:121], v[208:209] op_sel_hi:[1,0,1] neg_lo:[0,0,1] neg_hi:[0,0,1]
	s_wait_dscnt 0x0
	v_pk_mul_f32 v[208:209], v[204:205], v[210:211] op_sel:[1,1] op_sel_hi:[0,1]
	s_delay_alu instid0(VALU_DEP_1) | instskip(SKIP_1) | instid1(VALU_DEP_2)
	v_pk_fma_f32 v[212:213], v[204:205], v[120:121], v[208:209] op_sel_hi:[1,0,1]
	v_pk_fma_f32 v[204:205], v[204:205], v[120:121], v[208:209] neg_lo:[0,0,1] neg_hi:[0,0,1]
	v_dual_mov_b32 v121, v211 :: v_dual_mov_b32 v205, v213
	s_delay_alu instid0(VALU_DEP_1)
	v_pk_add_f32 v[134:135], v[134:135], v[204:205] neg_lo:[0,1] neg_hi:[0,1]
.LBB67_298:
	s_or_b32 exec_lo, exec_lo, s1
	s_delay_alu instid0(SALU_CYCLE_1)
	s_mov_b32 s2, exec_lo
	s_wait_dscnt 0x0
	s_barrier_signal -1
	s_barrier_wait -1
	v_cmpx_eq_u32_e32 33, v206
	s_cbranch_execz .LBB67_305
; %bb.299:
	v_cmp_neq_f32_e32 vcc_lo, 0, v134
	v_cmp_neq_f32_e64 s1, 0, v135
	ds_store_b64 v207, v[134:135]
	s_or_b32 s1, vcc_lo, s1
	s_delay_alu instid0(SALU_CYCLE_1)
	s_and_b32 exec_lo, exec_lo, s1
	s_cbranch_execz .LBB67_305
; %bb.300:
	v_cmp_ngt_f32_e64 s1, |v134|, |v135|
                                        ; implicit-def: $vgpr204_vgpr205
	s_and_saveexec_b32 s4, s1
	s_delay_alu instid0(SALU_CYCLE_1)
	s_xor_b32 s1, exec_lo, s4
	s_cbranch_execz .LBB67_302
; %bb.301:
	v_div_scale_f32 v204, null, v135, v135, v134
	v_div_scale_f32 v209, vcc_lo, v134, v135, v134
	s_delay_alu instid0(VALU_DEP_2) | instskip(SKIP_1) | instid1(TRANS32_DEP_1)
	v_rcp_f32_e32 v205, v204
	v_nop
	v_fma_f32 v208, -v204, v205, 1.0
	s_delay_alu instid0(VALU_DEP_1) | instskip(NEXT) | instid1(VALU_DEP_1)
	v_fmac_f32_e32 v205, v208, v205
	v_mul_f32_e32 v208, v209, v205
	s_delay_alu instid0(VALU_DEP_1) | instskip(NEXT) | instid1(VALU_DEP_1)
	v_fma_f32 v210, -v204, v208, v209
	v_fmac_f32_e32 v208, v210, v205
	s_delay_alu instid0(VALU_DEP_1) | instskip(NEXT) | instid1(VALU_DEP_1)
	v_fma_f32 v204, -v204, v208, v209
	v_div_fmas_f32 v204, v204, v205, v208
	s_delay_alu instid0(VALU_DEP_1) | instskip(NEXT) | instid1(VALU_DEP_1)
	v_div_fixup_f32 v204, v204, v135, v134
	v_fma_f32 v205, v134, v204, v135
	s_delay_alu instid0(VALU_DEP_1) | instskip(SKIP_1) | instid1(VALU_DEP_2)
	v_div_scale_f32 v208, null, v205, v205, 1.0
	v_div_scale_f32 v211, vcc_lo, 1.0, v205, 1.0
	v_rcp_f32_e32 v209, v208
	v_nop
	s_delay_alu instid0(TRANS32_DEP_1) | instskip(NEXT) | instid1(VALU_DEP_1)
	v_fma_f32 v210, -v208, v209, 1.0
	v_fmac_f32_e32 v209, v210, v209
	s_delay_alu instid0(VALU_DEP_1) | instskip(NEXT) | instid1(VALU_DEP_1)
	v_mul_f32_e32 v210, v211, v209
	v_fma_f32 v212, -v208, v210, v211
	s_delay_alu instid0(VALU_DEP_1) | instskip(NEXT) | instid1(VALU_DEP_1)
	v_fmac_f32_e32 v210, v212, v209
	v_fma_f32 v208, -v208, v210, v211
	s_delay_alu instid0(VALU_DEP_1) | instskip(NEXT) | instid1(VALU_DEP_1)
	v_div_fmas_f32 v208, v208, v209, v210
	v_div_fixup_f32 v205, v208, v205, 1.0
	s_delay_alu instid0(VALU_DEP_1)
	v_mul_f32_e32 v204, v204, v205
	v_xor_b32_e32 v205, 0x80000000, v205
.LBB67_302:
	s_and_not1_saveexec_b32 s1, s1
	s_cbranch_execz .LBB67_304
; %bb.303:
	v_div_scale_f32 v204, null, v134, v134, v135
	v_div_scale_f32 v209, vcc_lo, v135, v134, v135
	s_delay_alu instid0(VALU_DEP_2) | instskip(SKIP_1) | instid1(TRANS32_DEP_1)
	v_rcp_f32_e32 v205, v204
	v_nop
	v_fma_f32 v208, -v204, v205, 1.0
	s_delay_alu instid0(VALU_DEP_1) | instskip(NEXT) | instid1(VALU_DEP_1)
	v_fmac_f32_e32 v205, v208, v205
	v_mul_f32_e32 v208, v209, v205
	s_delay_alu instid0(VALU_DEP_1) | instskip(NEXT) | instid1(VALU_DEP_1)
	v_fma_f32 v210, -v204, v208, v209
	v_fmac_f32_e32 v208, v210, v205
	s_delay_alu instid0(VALU_DEP_1) | instskip(NEXT) | instid1(VALU_DEP_1)
	v_fma_f32 v204, -v204, v208, v209
	v_div_fmas_f32 v204, v204, v205, v208
	s_delay_alu instid0(VALU_DEP_1) | instskip(NEXT) | instid1(VALU_DEP_1)
	v_div_fixup_f32 v205, v204, v134, v135
	v_fma_f32 v204, v135, v205, v134
	s_delay_alu instid0(VALU_DEP_1) | instskip(NEXT) | instid1(VALU_DEP_1)
	v_div_scale_f32 v208, null, v204, v204, 1.0
	v_rcp_f32_e32 v209, v208
	v_nop
	s_delay_alu instid0(TRANS32_DEP_1) | instskip(NEXT) | instid1(VALU_DEP_1)
	v_fma_f32 v210, -v208, v209, 1.0
	v_fmac_f32_e32 v209, v210, v209
	v_div_scale_f32 v210, vcc_lo, 1.0, v204, 1.0
	s_delay_alu instid0(VALU_DEP_1) | instskip(NEXT) | instid1(VALU_DEP_1)
	v_mul_f32_e32 v211, v210, v209
	v_fma_f32 v212, -v208, v211, v210
	s_delay_alu instid0(VALU_DEP_1) | instskip(NEXT) | instid1(VALU_DEP_1)
	v_fmac_f32_e32 v211, v212, v209
	v_fma_f32 v208, -v208, v211, v210
	s_delay_alu instid0(VALU_DEP_1) | instskip(NEXT) | instid1(VALU_DEP_1)
	v_div_fmas_f32 v208, v208, v209, v211
	v_div_fixup_f32 v204, v208, v204, 1.0
	s_delay_alu instid0(VALU_DEP_1)
	v_mul_f32_e64 v205, v205, -v204
.LBB67_304:
	s_or_b32 exec_lo, exec_lo, s1
	ds_store_b64 v207, v[204:205]
.LBB67_305:
	s_or_b32 exec_lo, exec_lo, s2
	s_wait_dscnt 0x0
	s_barrier_signal -1
	s_barrier_wait -1
	ds_load_b64 v[204:205], v207
	s_wait_dscnt 0x0
	s_barrier_signal -1
	s_barrier_wait -1
	s_and_saveexec_b32 s4, s0
	s_cbranch_execz .LBB67_308
; %bb.306:
	v_cmp_eq_f32_e32 vcc_lo, 0, v138
	v_cmp_eq_f32_e64 s0, 0, v139
	v_cmp_neq_f32_e64 s1, 0, v140
	v_cmp_neq_f32_e64 s2, 0, v141
	v_lshl_add_u64 v[2:3], v[2:3], 2, s[6:7]
	s_and_b32 s0, vcc_lo, s0
	s_delay_alu instid0(SALU_CYCLE_1)
	v_cndmask_b32_e64 v138, 0, 1, s0
	s_or_b32 s1, s1, s2
	global_load_b32 v139, v[2:3], off
	s_or_b32 vcc_lo, s1, s0
	v_cmp_eq_f32_e64 s0, 0, v143
	v_cndmask_b32_e32 v138, 2, v138, vcc_lo
	v_cmp_eq_f32_e32 vcc_lo, 0, v142
	s_delay_alu instid0(VALU_DEP_2) | instskip(SKIP_3) | instid1(SALU_CYCLE_1)
	v_cmp_eq_u32_e64 s1, 0, v138
	s_and_b32 s0, vcc_lo, s0
	v_cmp_eq_f32_e32 vcc_lo, 0, v144
	s_and_b32 s0, s0, s1
	v_cndmask_b32_e64 v138, v138, 3, s0
	v_cmp_eq_f32_e64 s0, 0, v145
	s_delay_alu instid0(VALU_DEP_2) | instskip(SKIP_3) | instid1(SALU_CYCLE_1)
	v_cmp_eq_u32_e64 s1, 0, v138
	s_and_b32 s0, vcc_lo, s0
	v_cmp_eq_f32_e32 vcc_lo, 0, v146
	s_and_b32 s0, s0, s1
	v_cndmask_b32_e64 v138, v138, 4, s0
	v_cmp_eq_f32_e64 s0, 0, v147
	;; [unrolled: 7-line block ×31, first 2 shown]
	s_delay_alu instid0(VALU_DEP_2) | instskip(SKIP_4) | instid1(SALU_CYCLE_1)
	v_cmp_eq_u32_e64 s1, 0, v138
	s_and_b32 s0, vcc_lo, s0
	s_wait_loadcnt 0x0
	v_cmp_eq_u32_e32 vcc_lo, 0, v139
	s_and_b32 s0, s0, s1
	v_cndmask_b32_e64 v138, v138, 34, s0
	s_delay_alu instid0(VALU_DEP_1) | instskip(SKIP_1) | instid1(SALU_CYCLE_1)
	v_cmp_ne_u32_e64 s0, 0, v138
	s_and_b32 s0, vcc_lo, s0
	s_and_b32 exec_lo, exec_lo, s0
	s_cbranch_execz .LBB67_308
; %bb.307:
	v_add_nc_u32_e32 v138, s3, v138
	global_store_b32 v[2:3], v138, off
.LBB67_308:
	s_wait_xcnt 0x0
	s_or_b32 exec_lo, exec_lo, s4
	v_pk_mul_f32 v[2:3], v[204:205], v[134:135] op_sel:[1,1] op_sel_hi:[0,1]
	s_clause 0x1
	global_store_b64 v[18:19], v[52:53], off
	global_store_b64 v[32:33], v[54:55], off
	v_cmp_lt_u32_e32 vcc_lo, 33, v206
	s_clause 0x2
	global_store_b64 v[6:7], v[44:45], off
	global_store_b64 v[12:13], v[72:73], off
	;; [unrolled: 1-line block ×3, first 2 shown]
	s_wait_xcnt 0x4
	v_pk_fma_f32 v[18:19], v[204:205], v[134:135], v[2:3] op_sel_hi:[1,0,1]
	v_pk_fma_f32 v[2:3], v[204:205], v[134:135], v[2:3] neg_lo:[0,0,1] neg_hi:[0,0,1]
	s_delay_alu instid0(VALU_DEP_1)
	v_dual_cndmask_b32 v3, v135, v19 :: v_dual_cndmask_b32 v2, v134, v2
	s_clause 0x1c
	global_store_b64 v[0:1], v[24:25], off
	global_store_b64 v[4:5], v[26:27], off
	;; [unrolled: 1-line block ×29, first 2 shown]
.LBB67_309:
	s_sendmsg sendmsg(MSG_DEALLOC_VGPRS)
	s_endpgm
	.section	.rodata,"a",@progbits
	.p2align	6, 0x0
	.amdhsa_kernel _ZN9rocsolver6v33100L23getf2_npvt_small_kernelILi34E19rocblas_complex_numIfEiiPS3_EEvT1_T3_lS5_lPT2_S5_S5_
		.amdhsa_group_segment_fixed_size 0
		.amdhsa_private_segment_fixed_size 0
		.amdhsa_kernarg_size 312
		.amdhsa_user_sgpr_count 2
		.amdhsa_user_sgpr_dispatch_ptr 0
		.amdhsa_user_sgpr_queue_ptr 0
		.amdhsa_user_sgpr_kernarg_segment_ptr 1
		.amdhsa_user_sgpr_dispatch_id 0
		.amdhsa_user_sgpr_kernarg_preload_length 0
		.amdhsa_user_sgpr_kernarg_preload_offset 0
		.amdhsa_user_sgpr_private_segment_size 0
		.amdhsa_wavefront_size32 1
		.amdhsa_uses_dynamic_stack 0
		.amdhsa_enable_private_segment 0
		.amdhsa_system_sgpr_workgroup_id_x 1
		.amdhsa_system_sgpr_workgroup_id_y 1
		.amdhsa_system_sgpr_workgroup_id_z 0
		.amdhsa_system_sgpr_workgroup_info 0
		.amdhsa_system_vgpr_workitem_id 1
		.amdhsa_next_free_vgpr 234
		.amdhsa_next_free_sgpr 15
		.amdhsa_named_barrier_count 0
		.amdhsa_reserve_vcc 1
		.amdhsa_float_round_mode_32 0
		.amdhsa_float_round_mode_16_64 0
		.amdhsa_float_denorm_mode_32 3
		.amdhsa_float_denorm_mode_16_64 3
		.amdhsa_fp16_overflow 0
		.amdhsa_memory_ordered 1
		.amdhsa_forward_progress 1
		.amdhsa_inst_pref_size 255
		.amdhsa_round_robin_scheduling 0
		.amdhsa_exception_fp_ieee_invalid_op 0
		.amdhsa_exception_fp_denorm_src 0
		.amdhsa_exception_fp_ieee_div_zero 0
		.amdhsa_exception_fp_ieee_overflow 0
		.amdhsa_exception_fp_ieee_underflow 0
		.amdhsa_exception_fp_ieee_inexact 0
		.amdhsa_exception_int_div_zero 0
	.end_amdhsa_kernel
	.section	.text._ZN9rocsolver6v33100L23getf2_npvt_small_kernelILi34E19rocblas_complex_numIfEiiPS3_EEvT1_T3_lS5_lPT2_S5_S5_,"axG",@progbits,_ZN9rocsolver6v33100L23getf2_npvt_small_kernelILi34E19rocblas_complex_numIfEiiPS3_EEvT1_T3_lS5_lPT2_S5_S5_,comdat
.Lfunc_end67:
	.size	_ZN9rocsolver6v33100L23getf2_npvt_small_kernelILi34E19rocblas_complex_numIfEiiPS3_EEvT1_T3_lS5_lPT2_S5_S5_, .Lfunc_end67-_ZN9rocsolver6v33100L23getf2_npvt_small_kernelILi34E19rocblas_complex_numIfEiiPS3_EEvT1_T3_lS5_lPT2_S5_S5_
                                        ; -- End function
	.set _ZN9rocsolver6v33100L23getf2_npvt_small_kernelILi34E19rocblas_complex_numIfEiiPS3_EEvT1_T3_lS5_lPT2_S5_S5_.num_vgpr, 234
	.set _ZN9rocsolver6v33100L23getf2_npvt_small_kernelILi34E19rocblas_complex_numIfEiiPS3_EEvT1_T3_lS5_lPT2_S5_S5_.num_agpr, 0
	.set _ZN9rocsolver6v33100L23getf2_npvt_small_kernelILi34E19rocblas_complex_numIfEiiPS3_EEvT1_T3_lS5_lPT2_S5_S5_.numbered_sgpr, 15
	.set _ZN9rocsolver6v33100L23getf2_npvt_small_kernelILi34E19rocblas_complex_numIfEiiPS3_EEvT1_T3_lS5_lPT2_S5_S5_.num_named_barrier, 0
	.set _ZN9rocsolver6v33100L23getf2_npvt_small_kernelILi34E19rocblas_complex_numIfEiiPS3_EEvT1_T3_lS5_lPT2_S5_S5_.private_seg_size, 0
	.set _ZN9rocsolver6v33100L23getf2_npvt_small_kernelILi34E19rocblas_complex_numIfEiiPS3_EEvT1_T3_lS5_lPT2_S5_S5_.uses_vcc, 1
	.set _ZN9rocsolver6v33100L23getf2_npvt_small_kernelILi34E19rocblas_complex_numIfEiiPS3_EEvT1_T3_lS5_lPT2_S5_S5_.uses_flat_scratch, 0
	.set _ZN9rocsolver6v33100L23getf2_npvt_small_kernelILi34E19rocblas_complex_numIfEiiPS3_EEvT1_T3_lS5_lPT2_S5_S5_.has_dyn_sized_stack, 0
	.set _ZN9rocsolver6v33100L23getf2_npvt_small_kernelILi34E19rocblas_complex_numIfEiiPS3_EEvT1_T3_lS5_lPT2_S5_S5_.has_recursion, 0
	.set _ZN9rocsolver6v33100L23getf2_npvt_small_kernelILi34E19rocblas_complex_numIfEiiPS3_EEvT1_T3_lS5_lPT2_S5_S5_.has_indirect_call, 0
	.section	.AMDGPU.csdata,"",@progbits
; Kernel info:
; codeLenInByte = 55840
; TotalNumSgprs: 17
; NumVgprs: 234
; ScratchSize: 0
; MemoryBound: 0
; FloatMode: 240
; IeeeMode: 1
; LDSByteSize: 0 bytes/workgroup (compile time only)
; SGPRBlocks: 0
; VGPRBlocks: 14
; NumSGPRsForWavesPerEU: 17
; NumVGPRsForWavesPerEU: 234
; NamedBarCnt: 0
; Occupancy: 4
; WaveLimiterHint : 0
; COMPUTE_PGM_RSRC2:SCRATCH_EN: 0
; COMPUTE_PGM_RSRC2:USER_SGPR: 2
; COMPUTE_PGM_RSRC2:TRAP_HANDLER: 0
; COMPUTE_PGM_RSRC2:TGID_X_EN: 1
; COMPUTE_PGM_RSRC2:TGID_Y_EN: 1
; COMPUTE_PGM_RSRC2:TGID_Z_EN: 0
; COMPUTE_PGM_RSRC2:TIDIG_COMP_CNT: 1
	.section	.text._ZN9rocsolver6v33100L18getf2_small_kernelILi35E19rocblas_complex_numIfEiiPS3_EEvT1_T3_lS5_lPS5_llPT2_S5_S5_S7_l,"axG",@progbits,_ZN9rocsolver6v33100L18getf2_small_kernelILi35E19rocblas_complex_numIfEiiPS3_EEvT1_T3_lS5_lPS5_llPT2_S5_S5_S7_l,comdat
	.globl	_ZN9rocsolver6v33100L18getf2_small_kernelILi35E19rocblas_complex_numIfEiiPS3_EEvT1_T3_lS5_lPS5_llPT2_S5_S5_S7_l ; -- Begin function _ZN9rocsolver6v33100L18getf2_small_kernelILi35E19rocblas_complex_numIfEiiPS3_EEvT1_T3_lS5_lPS5_llPT2_S5_S5_S7_l
	.p2align	8
	.type	_ZN9rocsolver6v33100L18getf2_small_kernelILi35E19rocblas_complex_numIfEiiPS3_EEvT1_T3_lS5_lPS5_llPT2_S5_S5_S7_l,@function
_ZN9rocsolver6v33100L18getf2_small_kernelILi35E19rocblas_complex_numIfEiiPS3_EEvT1_T3_lS5_lPS5_llPT2_S5_S5_S7_l: ; @_ZN9rocsolver6v33100L18getf2_small_kernelILi35E19rocblas_complex_numIfEiiPS3_EEvT1_T3_lS5_lPS5_llPT2_S5_S5_S7_l
; %bb.0:
	s_clause 0x1
	s_load_u16 s2, s[0:1], 0x6e
	s_load_b64 s[12:13], s[0:1], 0x48
	s_bfe_u32 s3, ttmp6, 0x40010
	s_bfe_u32 s4, ttmp6, 0x40004
	s_add_co_i32 s3, s3, 1
	s_getreg_b32 s5, hwreg(HW_REG_IB_STS2, 6, 4)
	s_mul_i32 s3, ttmp7, s3
	v_bfe_u32 v78, v0, 10, 10
	s_add_co_i32 s4, s4, s3
	s_cmp_eq_u32 s5, 0
	s_cselect_b32 s3, ttmp7, s4
	s_wait_kmcnt 0x0
	v_mad_u32 v2, s3, s2, v78
	s_mov_b32 s2, exec_lo
	s_delay_alu instid0(VALU_DEP_1)
	v_cmpx_gt_i32_e64 s12, v2
	s_cbranch_execz .LBB68_736
; %bb.1:
	s_load_b128 s[4:7], s[0:1], 0x50
	v_mov_b64_e32 v[4:5], 0
	v_ashrrev_i32_e32 v3, 31, v2
	s_wait_kmcnt 0x0
	s_cmp_eq_u64 s[4:5], 0
	s_cselect_b32 s12, -1, 0
	s_delay_alu instid0(SALU_CYCLE_1)
	s_and_b32 vcc_lo, exec_lo, s12
	s_cbranch_vccnz .LBB68_3
; %bb.2:
	v_mul_u64_e32 v[4:5], s[6:7], v[2:3]
	s_delay_alu instid0(VALU_DEP_1)
	v_lshl_add_u64 v[4:5], v[4:5], 2, s[4:5]
.LBB68_3:
	s_clause 0x2
	s_load_b32 s2, s[0:1], 0x18
	s_load_b128 s[16:19], s[0:1], 0x8
	s_load_b32 s14, s[0:1], 0x0
	v_and_b32_e32 v83, 0x3ff, v0
	s_load_b256 s[4:11], s[0:1], 0x20
	v_mov_b32_e32 v77, 0
	s_wait_kmcnt 0x0
	s_delay_alu instid0(VALU_DEP_2) | instskip(SKIP_2) | instid1(VALU_DEP_2)
	v_add3_u32 v6, s2, s2, v83
	s_ashr_i32 s3, s2, 31
	v_mul_u64_e32 v[0:1], s[4:5], v[2:3]
	v_add_nc_u32_e32 v8, s2, v6
	s_max_i32 s4, s14, 35
	s_cmp_lt_i32 s14, 2
	s_delay_alu instid0(VALU_DEP_1) | instskip(NEXT) | instid1(VALU_DEP_1)
	v_add_nc_u32_e32 v10, s2, v8
	v_add_nc_u32_e32 v12, s2, v10
	s_delay_alu instid0(VALU_DEP_1) | instskip(NEXT) | instid1(VALU_DEP_1)
	v_dual_add_nc_u32 v14, s2, v12 :: v_dual_ashrrev_i32 v7, 31, v6
	v_dual_ashrrev_i32 v9, 31, v8 :: v_dual_add_nc_u32 v16, s2, v14
	s_delay_alu instid0(VALU_DEP_1) | instskip(SKIP_1) | instid1(VALU_DEP_2)
	v_dual_add_nc_u32 v18, s2, v16 :: v_dual_ashrrev_i32 v11, 31, v10
	v_ashrrev_i32_e32 v13, 31, v12
	v_dual_ashrrev_i32 v17, 31, v16 :: v_dual_add_nc_u32 v20, s2, v18
	v_lshl_add_u64 v[0:1], v[0:1], 3, s[16:17]
	s_delay_alu instid0(VALU_DEP_2) | instskip(NEXT) | instid1(VALU_DEP_2)
	v_add_nc_u32_e32 v22, s2, v20
	v_lshl_add_u64 v[0:1], s[18:19], 3, v[0:1]
	s_delay_alu instid0(VALU_DEP_2) | instskip(NEXT) | instid1(VALU_DEP_2)
	v_add_nc_u32_e32 v24, s2, v22
	v_lshl_add_u64 v[10:11], v[10:11], 3, v[0:1]
	v_lshl_add_u64 v[12:13], v[12:13], 3, v[0:1]
	;; [unrolled: 1-line block ×4, first 2 shown]
	v_dual_add_nc_u32 v30, s2, v24 :: v_dual_ashrrev_i32 v19, 31, v18
	v_ashrrev_i32_e32 v21, 31, v20
	v_lshl_add_u64 v[16:17], v[16:17], 3, v[0:1]
	s_delay_alu instid0(VALU_DEP_3) | instskip(SKIP_3) | instid1(VALU_DEP_4)
	v_dual_ashrrev_i32 v25, 31, v24 :: v_dual_add_nc_u32 v32, s2, v30
	v_dual_lshlrev_b32 v76, 3, v83 :: v_dual_ashrrev_i32 v23, 31, v22
	v_lshl_add_u64 v[48:49], v[18:19], 3, v[0:1]
	v_lshl_add_u64 v[50:51], v[20:21], 3, v[0:1]
	v_add_nc_u32_e32 v34, s2, v32
	s_delay_alu instid0(VALU_DEP_4) | instskip(SKIP_1) | instid1(VALU_DEP_3)
	v_add_nc_u64_e32 v[26:27], v[0:1], v[76:77]
	v_dual_ashrrev_i32 v31, 31, v30 :: v_dual_ashrrev_i32 v33, 31, v32
	v_add_nc_u32_e32 v36, s2, v34
	v_ashrrev_i32_e32 v15, 31, v14
	s_delay_alu instid0(VALU_DEP_2) | instskip(SKIP_1) | instid1(VALU_DEP_3)
	v_dual_ashrrev_i32 v35, 31, v34 :: v_dual_ashrrev_i32 v37, 31, v36
	v_add_nc_u32_e32 v40, s2, v36
	v_lshl_add_u64 v[14:15], v[14:15], 3, v[0:1]
	s_clause 0x3
	global_load_b64 v[20:21], v[10:11], off
	global_load_b64 v[18:19], v[12:13], off
	;; [unrolled: 1-line block ×4, first 2 shown]
	v_add_nc_u32_e32 v42, s2, v40
	s_wait_xcnt 0x3
	v_lshl_add_u64 v[10:11], s[2:3], 3, v[26:27]
	s_clause 0x3
	global_load_b64 v[56:57], v[28:29], off
	global_load_b64 v[38:39], v[44:45], off
	global_load_b64 v[72:73], v[26:27], off
	global_load_b64 v[70:71], v[10:11], off
	s_wait_xcnt 0x5
	v_lshl_add_u64 v[14:15], v[22:23], 3, v[0:1]
	v_add_nc_u32_e32 v46, s2, v42
	v_lshl_add_u64 v[22:23], v[30:31], 3, v[0:1]
	s_wait_xcnt 0x4
	v_lshl_add_u64 v[16:17], v[24:25], 3, v[0:1]
	s_clause 0x3
	global_load_b64 v[28:29], v[48:49], off
	global_load_b64 v[26:27], v[50:51], off
	;; [unrolled: 1-line block ×4, first 2 shown]
	v_add_nc_u32_e32 v52, s2, v46
	s_wait_xcnt 0x3
	v_lshl_add_u64 v[48:49], v[36:37], 3, v[0:1]
	v_lshl_add_u64 v[24:25], v[32:33], 3, v[0:1]
	;; [unrolled: 1-line block ×3, first 2 shown]
	s_clause 0x3
	global_load_b64 v[36:37], v[22:23], off
	global_load_b64 v[34:35], v[24:25], off
	;; [unrolled: 1-line block ×4, first 2 shown]
	v_add_nc_u32_e32 v54, s2, v52
	s_delay_alu instid0(VALU_DEP_1) | instskip(SKIP_2) | instid1(VALU_DEP_2)
	v_dual_ashrrev_i32 v41, 31, v40 :: v_dual_add_nc_u32 v44, s2, v54
	v_ashrrev_i32_e32 v47, 31, v46
	s_wait_xcnt 0x1
	v_lshl_add_u64 v[32:33], v[40:41], 3, v[0:1]
	s_delay_alu instid0(VALU_DEP_3) | instskip(SKIP_3) | instid1(VALU_DEP_4)
	v_add_nc_u32_e32 v58, s2, v44
	v_ashrrev_i32_e32 v53, 31, v52
	v_ashrrev_i32_e32 v45, 31, v44
	v_lshl_add_u64 v[46:47], v[46:47], 3, v[0:1]
	v_add_nc_u32_e32 v30, s2, v58
	s_delay_alu instid0(VALU_DEP_4) | instskip(NEXT) | instid1(VALU_DEP_4)
	v_lshl_add_u64 v[52:53], v[52:53], 3, v[0:1]
	v_lshl_add_u64 v[44:45], v[44:45], 3, v[0:1]
	s_delay_alu instid0(VALU_DEP_3) | instskip(NEXT) | instid1(VALU_DEP_1)
	v_dual_add_nc_u32 v62, s2, v30 :: v_dual_ashrrev_i32 v31, 31, v30
	v_add_nc_u32_e32 v64, s2, v62
	v_ashrrev_i32_e32 v43, 31, v42
	s_delay_alu instid0(VALU_DEP_3) | instskip(NEXT) | instid1(VALU_DEP_3)
	v_lshl_add_u64 v[68:69], v[30:31], 3, v[0:1]
	v_add_nc_u32_e32 v40, s2, v64
	s_delay_alu instid0(VALU_DEP_3)
	v_lshl_add_u64 v[42:43], v[42:43], 3, v[0:1]
	s_clause 0x3
	global_load_b64 v[50:51], v[32:33], off
	global_load_b64 v[48:49], v[42:43], off
	;; [unrolled: 1-line block ×4, first 2 shown]
	v_add_nc_u32_e32 v66, s2, v40
	v_dual_ashrrev_i32 v65, 31, v64 :: v_dual_ashrrev_i32 v59, 31, v58
	s_wait_xcnt 0x1
	s_delay_alu instid0(VALU_DEP_2) | instskip(NEXT) | instid1(VALU_DEP_1)
	v_dual_ashrrev_i32 v41, 31, v40 :: v_dual_add_nc_u32 v46, s2, v66
	v_lshl_add_u64 v[80:81], v[40:41], 3, v[0:1]
	s_wait_xcnt 0x0
	s_delay_alu instid0(VALU_DEP_2) | instskip(SKIP_1) | instid1(VALU_DEP_2)
	v_dual_add_nc_u32 v52, s2, v46 :: v_dual_ashrrev_i32 v47, 31, v46
	v_ashrrev_i32_e32 v55, 31, v54
	v_dual_ashrrev_i32 v63, 31, v62 :: v_dual_ashrrev_i32 v53, 31, v52
	v_add_nc_u32_e32 v74, s2, v52
	s_delay_alu instid0(VALU_DEP_3)
	v_lshl_add_u64 v[42:43], v[54:55], 3, v[0:1]
	v_lshl_add_u64 v[54:55], v[58:59], 3, v[0:1]
	s_clause 0x3
	global_load_b64 v[60:61], v[42:43], off
	global_load_b64 v[58:59], v[44:45], off
	;; [unrolled: 1-line block ×4, first 2 shown]
	s_wait_xcnt 0x2
	v_add_nc_u32_e32 v44, s2, v74
	s_wait_xcnt 0x1
	v_lshl_add_u64 v[54:55], v[62:63], 3, v[0:1]
	v_lshl_add_u64 v[62:63], v[64:65], 3, v[0:1]
	s_delay_alu instid0(VALU_DEP_3) | instskip(NEXT) | instid1(VALU_DEP_1)
	v_dual_ashrrev_i32 v75, 31, v74 :: v_dual_add_nc_u32 v64, s2, v44
	v_lshl_add_u64 v[88:89], v[74:75], 3, v[0:1]
	s_delay_alu instid0(VALU_DEP_2) | instskip(SKIP_1) | instid1(VALU_DEP_2)
	v_dual_add_nc_u32 v86, s2, v64 :: v_dual_ashrrev_i32 v67, 31, v66
	v_ashrrev_i32_e32 v45, 31, v44
	v_dual_ashrrev_i32 v65, 31, v64 :: v_dual_ashrrev_i32 v87, 31, v86
	s_delay_alu instid0(VALU_DEP_3)
	v_lshl_add_u64 v[84:85], v[66:67], 3, v[0:1]
	s_clause 0x3
	global_load_b64 v[68:69], v[54:55], off
	global_load_b64 v[66:67], v[62:63], off
	;; [unrolled: 1-line block ×4, first 2 shown]
	s_wait_xcnt 0x1
	v_lshl_add_u64 v[80:81], v[46:47], 3, v[0:1]
	v_add_nc_u32_e32 v46, s2, v86
	s_wait_xcnt 0x0
	v_lshl_add_u64 v[84:85], v[52:53], 3, v[0:1]
	v_lshl_add_u64 v[90:91], v[44:45], 3, v[0:1]
	;; [unrolled: 1-line block ×4, first 2 shown]
	v_ashrrev_i32_e32 v47, 31, v46
	s_delay_alu instid0(VALU_DEP_1)
	v_lshl_add_u64 v[94:95], v[46:47], 3, v[0:1]
	s_clause 0x6
	global_load_b64 v[64:65], v[80:81], off
	global_load_b64 v[62:63], v[84:85], off
	;; [unrolled: 1-line block ×7, first 2 shown]
	s_wait_xcnt 0x6
	v_mul_lo_u32 v81, s4, v78
	s_load_b64 s[4:5], s[0:1], 0x40
	s_delay_alu instid0(VALU_DEP_1) | instskip(NEXT) | instid1(VALU_DEP_1)
	v_lshl_add_u32 v80, v81, 3, 0
	v_dual_lshlrev_b32 v81, 3, v81 :: v_dual_add_nc_u32 v76, v80, v76
	s_wait_loadcnt 0x1c
	ds_store_b64 v76, v[72:73]
	s_wait_loadcnt_dscnt 0x0
	s_barrier_signal -1
	s_barrier_wait -1
	ds_load_b64 v[78:79], v80
	s_cbranch_scc1 .LBB68_6
; %bb.4:
	v_add3_u32 v76, v81, 0, 8
	v_mov_b32_e32 v77, 0
	s_wait_xcnt 0x0
	s_mov_b32 s0, 1
.LBB68_5:                               ; =>This Inner Loop Header: Depth=1
	ds_load_b64 v[84:85], v76
	s_wait_dscnt 0x1
	v_cmp_gt_f32_e32 vcc_lo, 0, v78
	v_cndmask_b32_e64 v86, v78, -v78, vcc_lo
	v_cmp_gt_f32_e32 vcc_lo, 0, v79
	v_cndmask_b32_e64 v88, v79, -v79, vcc_lo
	s_wait_dscnt 0x0
	v_cmp_gt_f32_e32 vcc_lo, 0, v84
	v_cndmask_b32_e64 v87, v84, -v84, vcc_lo
	v_cmp_gt_f32_e32 vcc_lo, 0, v85
	v_cndmask_b32_e64 v89, v85, -v85, vcc_lo
	s_delay_alu instid0(VALU_DEP_1) | instskip(NEXT) | instid1(VALU_DEP_1)
	v_pk_add_f32 v[86:87], v[86:87], v[88:89]
	v_cmp_lt_f32_e32 vcc_lo, v86, v87
	v_dual_cndmask_b32 v79, v79, v85 :: v_dual_add_nc_u32 v76, 8, v76
	v_cndmask_b32_e32 v78, v78, v84, vcc_lo
	v_cndmask_b32_e64 v77, v77, s0, vcc_lo
	s_add_co_i32 s0, s0, 1
	s_delay_alu instid0(SALU_CYCLE_1)
	s_cmp_eq_u32 s14, s0
	s_cbranch_scc0 .LBB68_5
.LBB68_6:
	s_wait_dscnt 0x0
	v_cmp_neq_f32_e32 vcc_lo, 0, v78
	s_wait_xcnt 0x0
	v_cmp_neq_f32_e64 s0, 0, v79
	v_dual_mov_b32 v82, 1 :: v_dual_mov_b32 v85, 1
	s_or_b32 s1, vcc_lo, s0
	s_delay_alu instid0(SALU_CYCLE_1)
	s_and_saveexec_b32 s0, s1
	s_cbranch_execz .LBB68_12
; %bb.7:
	v_cmp_ngt_f32_e64 s1, |v78|, |v79|
	s_and_saveexec_b32 s15, s1
	s_delay_alu instid0(SALU_CYCLE_1)
	s_xor_b32 s1, exec_lo, s15
	s_cbranch_execz .LBB68_9
; %bb.8:
	v_div_scale_f32 v76, null, v79, v79, v78
	v_div_scale_f32 v85, vcc_lo, v78, v79, v78
	s_delay_alu instid0(VALU_DEP_2) | instskip(SKIP_1) | instid1(TRANS32_DEP_1)
	v_rcp_f32_e32 v82, v76
	v_nop
	v_fma_f32 v84, -v76, v82, 1.0
	s_delay_alu instid0(VALU_DEP_1) | instskip(NEXT) | instid1(VALU_DEP_1)
	v_fmac_f32_e32 v82, v84, v82
	v_mul_f32_e32 v84, v85, v82
	s_delay_alu instid0(VALU_DEP_1) | instskip(NEXT) | instid1(VALU_DEP_1)
	v_fma_f32 v86, -v76, v84, v85
	v_fmac_f32_e32 v84, v86, v82
	s_delay_alu instid0(VALU_DEP_1) | instskip(NEXT) | instid1(VALU_DEP_1)
	v_fma_f32 v76, -v76, v84, v85
	v_div_fmas_f32 v76, v76, v82, v84
	s_delay_alu instid0(VALU_DEP_1) | instskip(NEXT) | instid1(VALU_DEP_1)
	v_div_fixup_f32 v76, v76, v79, v78
	v_fmac_f32_e32 v79, v78, v76
	s_delay_alu instid0(VALU_DEP_1) | instskip(SKIP_1) | instid1(VALU_DEP_2)
	v_div_scale_f32 v78, null, v79, v79, 1.0
	v_div_scale_f32 v85, vcc_lo, 1.0, v79, 1.0
	v_rcp_f32_e32 v82, v78
	v_nop
	s_delay_alu instid0(TRANS32_DEP_1) | instskip(NEXT) | instid1(VALU_DEP_1)
	v_fma_f32 v84, -v78, v82, 1.0
	v_fmac_f32_e32 v82, v84, v82
	s_delay_alu instid0(VALU_DEP_1) | instskip(NEXT) | instid1(VALU_DEP_1)
	v_mul_f32_e32 v84, v85, v82
	v_fma_f32 v86, -v78, v84, v85
	s_delay_alu instid0(VALU_DEP_1) | instskip(NEXT) | instid1(VALU_DEP_1)
	v_fmac_f32_e32 v84, v86, v82
	v_fma_f32 v78, -v78, v84, v85
	s_delay_alu instid0(VALU_DEP_1) | instskip(NEXT) | instid1(VALU_DEP_1)
	v_div_fmas_f32 v78, v78, v82, v84
	v_div_fixup_f32 v79, v78, v79, 1.0
	s_delay_alu instid0(VALU_DEP_1)
	v_mul_f32_e32 v78, v76, v79
	v_xor_b32_e32 v79, 0x80000000, v79
.LBB68_9:
	s_and_not1_saveexec_b32 s1, s1
	s_cbranch_execz .LBB68_11
; %bb.10:
	s_delay_alu instid0(VALU_DEP_1) | instskip(SKIP_1) | instid1(VALU_DEP_2)
	v_div_scale_f32 v76, null, v78, v78, v79
	v_div_scale_f32 v85, vcc_lo, v79, v78, v79
	v_rcp_f32_e32 v82, v76
	v_nop
	s_delay_alu instid0(TRANS32_DEP_1) | instskip(NEXT) | instid1(VALU_DEP_1)
	v_fma_f32 v84, -v76, v82, 1.0
	v_fmac_f32_e32 v82, v84, v82
	s_delay_alu instid0(VALU_DEP_1) | instskip(NEXT) | instid1(VALU_DEP_1)
	v_mul_f32_e32 v84, v85, v82
	v_fma_f32 v86, -v76, v84, v85
	s_delay_alu instid0(VALU_DEP_1) | instskip(NEXT) | instid1(VALU_DEP_1)
	v_fmac_f32_e32 v84, v86, v82
	v_fma_f32 v76, -v76, v84, v85
	s_delay_alu instid0(VALU_DEP_1) | instskip(NEXT) | instid1(VALU_DEP_1)
	v_div_fmas_f32 v76, v76, v82, v84
	v_div_fixup_f32 v76, v76, v78, v79
	s_delay_alu instid0(VALU_DEP_1) | instskip(NEXT) | instid1(VALU_DEP_1)
	v_fmac_f32_e32 v78, v79, v76
	v_div_scale_f32 v79, null, v78, v78, 1.0
	s_delay_alu instid0(VALU_DEP_1) | instskip(SKIP_1) | instid1(TRANS32_DEP_1)
	v_rcp_f32_e32 v82, v79
	v_nop
	v_fma_f32 v84, -v79, v82, 1.0
	s_delay_alu instid0(VALU_DEP_1) | instskip(SKIP_1) | instid1(VALU_DEP_1)
	v_fmac_f32_e32 v82, v84, v82
	v_div_scale_f32 v84, vcc_lo, 1.0, v78, 1.0
	v_mul_f32_e32 v85, v84, v82
	s_delay_alu instid0(VALU_DEP_1) | instskip(NEXT) | instid1(VALU_DEP_1)
	v_fma_f32 v86, -v79, v85, v84
	v_fmac_f32_e32 v85, v86, v82
	s_delay_alu instid0(VALU_DEP_1) | instskip(NEXT) | instid1(VALU_DEP_1)
	v_fma_f32 v79, -v79, v85, v84
	v_div_fmas_f32 v79, v79, v82, v85
	s_delay_alu instid0(VALU_DEP_1) | instskip(NEXT) | instid1(VALU_DEP_1)
	v_div_fixup_f32 v78, v79, v78, 1.0
	v_mul_f32_e64 v79, v76, -v78
.LBB68_11:
	s_or_b32 exec_lo, exec_lo, s1
	v_dual_mov_b32 v85, 0 :: v_dual_mov_b32 v82, 2
.LBB68_12:
	s_or_b32 exec_lo, exec_lo, s0
	s_delay_alu instid0(SALU_CYCLE_1)
	s_mov_b32 s0, exec_lo
	v_cmpx_ne_u32_e64 v83, v77
	s_xor_b32 s0, exec_lo, s0
	s_cbranch_execz .LBB68_18
; %bb.13:
	s_mov_b32 s1, exec_lo
	v_cmpx_eq_u32_e32 0, v83
	s_cbranch_execz .LBB68_17
; %bb.14:
	v_cmp_ne_u32_e32 vcc_lo, 0, v77
	s_xor_b32 s15, s12, -1
	s_delay_alu instid0(SALU_CYCLE_1) | instskip(NEXT) | instid1(SALU_CYCLE_1)
	s_and_b32 s16, s15, vcc_lo
	s_and_saveexec_b32 s15, s16
	s_cbranch_execz .LBB68_16
; %bb.15:
	v_dual_mov_b32 v86, v77 :: v_dual_ashrrev_i32 v87, 31, v77
	s_delay_alu instid0(VALU_DEP_1)
	v_lshl_add_u64 v[86:87], v[86:87], 2, v[4:5]
	s_clause 0x1
	global_load_b32 v76, v[86:87], off
	global_load_b32 v83, v[4:5], off
	s_wait_loadcnt 0x1
	global_store_b32 v[4:5], v76, off
	s_wait_loadcnt 0x0
	global_store_b32 v[86:87], v83, off
.LBB68_16:
	s_wait_xcnt 0x0
	s_or_b32 exec_lo, exec_lo, s15
	v_mov_b32_e32 v83, v77
.LBB68_17:
	s_or_b32 exec_lo, exec_lo, s1
.LBB68_18:
	s_or_saveexec_b32 s0, s0
	s_delay_alu instid0(VALU_DEP_1)
	v_mov_b32_e32 v84, v83
	s_xor_b32 exec_lo, exec_lo, s0
	s_cbranch_execz .LBB68_20
; %bb.19:
	v_mov_b32_e32 v84, 0
	ds_store_2addr_b64 v80, v[70:71], v[56:57] offset0:1 offset1:2
	ds_store_2addr_b64 v80, v[38:39], v[20:21] offset0:3 offset1:4
	;; [unrolled: 1-line block ×17, first 2 shown]
.LBB68_20:
	s_or_b32 exec_lo, exec_lo, s0
	s_delay_alu instid0(SALU_CYCLE_1)
	s_mov_b32 s0, exec_lo
	s_wait_storecnt_dscnt 0x0
	s_barrier_signal -1
	s_barrier_wait -1
	v_cmpx_lt_i32_e32 0, v84
	s_cbranch_execz .LBB68_22
; %bb.21:
	v_pk_mul_f32 v[86:87], v[78:79], v[72:73] op_sel:[1,1] op_sel_hi:[0,1]
	s_delay_alu instid0(VALU_DEP_1)
	v_pk_fma_f32 v[76:77], v[78:79], v[72:73], v[86:87] op_sel_hi:[1,0,1] neg_lo:[0,0,1] neg_hi:[0,0,1]
	v_pk_fma_f32 v[78:79], v[78:79], v[72:73], v[86:87] op_sel_hi:[1,0,1]
	ds_load_2addr_b64 v[86:89], v80 offset0:1 offset1:2
	v_dual_mov_b32 v72, v76 :: v_dual_mov_b32 v73, v79
	s_wait_dscnt 0x0
	v_pk_mul_f32 v[90:91], v[86:87], v[78:79] op_sel:[0,1]
	s_delay_alu instid0(VALU_DEP_1) | instskip(SKIP_1) | instid1(VALU_DEP_1)
	v_pk_fma_f32 v[92:93], v[86:87], v[76:77], v[90:91] op_sel:[0,0,1] op_sel_hi:[1,1,0] neg_lo:[0,0,1] neg_hi:[0,0,1]
	v_pk_fma_f32 v[86:87], v[86:87], v[76:77], v[90:91] op_sel:[0,0,1] op_sel_hi:[1,0,0]
	v_mov_b32_e32 v93, v87
	v_pk_mul_f32 v[86:87], v[88:89], v[78:79] op_sel:[0,1]
	s_delay_alu instid0(VALU_DEP_1) | instskip(SKIP_1) | instid1(VALU_DEP_1)
	v_pk_fma_f32 v[90:91], v[88:89], v[76:77], v[86:87] op_sel:[0,0,1] op_sel_hi:[1,1,0] neg_lo:[0,0,1] neg_hi:[0,0,1]
	v_pk_fma_f32 v[86:87], v[88:89], v[76:77], v[86:87] op_sel:[0,0,1] op_sel_hi:[1,0,0]
	v_mov_b32_e32 v91, v87
	ds_load_2addr_b64 v[86:89], v80 offset0:3 offset1:4
	v_pk_add_f32 v[70:71], v[70:71], v[92:93] neg_lo:[0,1] neg_hi:[0,1]
	v_pk_add_f32 v[56:57], v[56:57], v[90:91] neg_lo:[0,1] neg_hi:[0,1]
	s_wait_dscnt 0x0
	v_pk_mul_f32 v[90:91], v[86:87], v[78:79] op_sel:[0,1]
	s_delay_alu instid0(VALU_DEP_1) | instskip(SKIP_2) | instid1(VALU_DEP_2)
	v_pk_fma_f32 v[92:93], v[86:87], v[76:77], v[90:91] op_sel:[0,0,1] op_sel_hi:[1,1,0] neg_lo:[0,0,1] neg_hi:[0,0,1]
	v_pk_fma_f32 v[86:87], v[86:87], v[76:77], v[90:91] op_sel:[0,0,1] op_sel_hi:[1,0,0]
	v_dual_mul_f32 v90, v89, v79 :: v_dual_mov_b32 v86, v89
	v_dual_mov_b32 v93, v87 :: v_dual_mov_b32 v87, v88
	s_delay_alu instid0(VALU_DEP_2) | instskip(SKIP_1) | instid1(VALU_DEP_3)
	v_pk_fma_f32 v[90:91], v[88:89], v[72:73], v[90:91] op_sel_hi:[1,1,0] neg_lo:[0,0,1] neg_hi:[0,0,1]
	v_mul_f32_e32 v88, v89, v76
	v_pk_add_f32 v[38:39], v[38:39], v[92:93] neg_lo:[0,1] neg_hi:[0,1]
	s_delay_alu instid0(VALU_DEP_2) | instskip(NEXT) | instid1(VALU_DEP_1)
	v_pk_fma_f32 v[86:87], v[86:87], v[72:73], v[88:89] op_sel_hi:[1,1,0]
	v_mov_b32_e32 v91, v87
	ds_load_2addr_b64 v[86:89], v80 offset0:5 offset1:6
	v_pk_add_f32 v[20:21], v[20:21], v[90:91] neg_lo:[0,1] neg_hi:[0,1]
	s_wait_dscnt 0x0
	v_pk_mul_f32 v[90:91], v[86:87], v[78:79] op_sel:[0,1]
	s_delay_alu instid0(VALU_DEP_1) | instskip(SKIP_1) | instid1(VALU_DEP_1)
	v_pk_fma_f32 v[92:93], v[86:87], v[76:77], v[90:91] op_sel:[0,0,1] op_sel_hi:[1,1,0] neg_lo:[0,0,1] neg_hi:[0,0,1]
	v_pk_fma_f32 v[86:87], v[86:87], v[76:77], v[90:91] op_sel:[0,0,1] op_sel_hi:[1,0,0]
	v_mov_b32_e32 v93, v87
	v_pk_mul_f32 v[86:87], v[88:89], v[78:79] op_sel:[0,1]
	s_delay_alu instid0(VALU_DEP_1) | instskip(SKIP_1) | instid1(VALU_DEP_1)
	v_pk_fma_f32 v[90:91], v[88:89], v[76:77], v[86:87] op_sel:[0,0,1] op_sel_hi:[1,1,0] neg_lo:[0,0,1] neg_hi:[0,0,1]
	v_pk_fma_f32 v[86:87], v[88:89], v[76:77], v[86:87] op_sel:[0,0,1] op_sel_hi:[1,0,0]
	v_mov_b32_e32 v91, v87
	ds_load_2addr_b64 v[86:89], v80 offset0:7 offset1:8
	v_pk_add_f32 v[18:19], v[18:19], v[92:93] neg_lo:[0,1] neg_hi:[0,1]
	v_pk_add_f32 v[8:9], v[8:9], v[90:91] neg_lo:[0,1] neg_hi:[0,1]
	s_wait_dscnt 0x0
	v_pk_mul_f32 v[90:91], v[86:87], v[78:79] op_sel:[0,1]
	s_delay_alu instid0(VALU_DEP_1) | instskip(SKIP_1) | instid1(VALU_DEP_1)
	v_pk_fma_f32 v[92:93], v[86:87], v[76:77], v[90:91] op_sel:[0,0,1] op_sel_hi:[1,1,0] neg_lo:[0,0,1] neg_hi:[0,0,1]
	v_pk_fma_f32 v[86:87], v[86:87], v[76:77], v[90:91] op_sel:[0,0,1] op_sel_hi:[1,0,0]
	v_mov_b32_e32 v93, v87
	v_pk_mul_f32 v[86:87], v[88:89], v[78:79] op_sel:[0,1]
	s_delay_alu instid0(VALU_DEP_1) | instskip(SKIP_1) | instid1(VALU_DEP_1)
	v_pk_fma_f32 v[90:91], v[88:89], v[76:77], v[86:87] op_sel:[0,0,1] op_sel_hi:[1,1,0] neg_lo:[0,0,1] neg_hi:[0,0,1]
	v_pk_fma_f32 v[86:87], v[88:89], v[76:77], v[86:87] op_sel:[0,0,1] op_sel_hi:[1,0,0]
	v_mov_b32_e32 v91, v87
	ds_load_2addr_b64 v[86:89], v80 offset0:9 offset1:10
	v_pk_add_f32 v[6:7], v[6:7], v[92:93] neg_lo:[0,1] neg_hi:[0,1]
	v_pk_add_f32 v[28:29], v[28:29], v[90:91] neg_lo:[0,1] neg_hi:[0,1]
	s_wait_dscnt 0x0
	v_dual_mul_f32 v90, v87, v79 :: v_dual_mul_f32 v92, v87, v76
	s_delay_alu instid0(VALU_DEP_1) | instskip(NEXT) | instid1(VALU_DEP_2)
	v_pk_fma_f32 v[90:91], v[86:87], v[72:73], v[90:91] op_sel_hi:[1,1,0] neg_lo:[0,0,1] neg_hi:[0,0,1]
	v_pk_fma_f32 v[86:87], v[86:87], v[72:73], v[92:93] op_sel:[1,0,0] op_sel_hi:[0,1,0]
	s_delay_alu instid0(VALU_DEP_1) | instskip(SKIP_1) | instid1(VALU_DEP_2)
	v_mov_b32_e32 v91, v87
	v_pk_mul_f32 v[86:87], v[88:89], v[78:79] op_sel:[0,1]
	v_pk_add_f32 v[26:27], v[26:27], v[90:91] neg_lo:[0,1] neg_hi:[0,1]
	s_delay_alu instid0(VALU_DEP_2) | instskip(SKIP_1) | instid1(VALU_DEP_1)
	v_pk_fma_f32 v[90:91], v[88:89], v[76:77], v[86:87] op_sel:[0,0,1] op_sel_hi:[1,1,0] neg_lo:[0,0,1] neg_hi:[0,0,1]
	v_pk_fma_f32 v[86:87], v[88:89], v[76:77], v[86:87] op_sel:[0,0,1] op_sel_hi:[1,0,0]
	v_mov_b32_e32 v91, v87
	ds_load_2addr_b64 v[86:89], v80 offset0:11 offset1:12
	v_pk_add_f32 v[12:13], v[12:13], v[90:91] neg_lo:[0,1] neg_hi:[0,1]
	s_wait_dscnt 0x0
	v_pk_mul_f32 v[90:91], v[86:87], v[78:79] op_sel:[0,1]
	s_delay_alu instid0(VALU_DEP_1) | instskip(SKIP_1) | instid1(VALU_DEP_1)
	v_pk_fma_f32 v[92:93], v[86:87], v[76:77], v[90:91] op_sel:[0,0,1] op_sel_hi:[1,1,0] neg_lo:[0,0,1] neg_hi:[0,0,1]
	v_pk_fma_f32 v[86:87], v[86:87], v[76:77], v[90:91] op_sel:[0,0,1] op_sel_hi:[1,0,0]
	v_mov_b32_e32 v93, v87
	v_pk_mul_f32 v[86:87], v[88:89], v[78:79] op_sel:[0,1]
	s_delay_alu instid0(VALU_DEP_2) | instskip(NEXT) | instid1(VALU_DEP_2)
	v_pk_add_f32 v[10:11], v[10:11], v[92:93] neg_lo:[0,1] neg_hi:[0,1]
	v_pk_fma_f32 v[90:91], v[88:89], v[76:77], v[86:87] op_sel:[0,0,1] op_sel_hi:[1,1,0] neg_lo:[0,0,1] neg_hi:[0,0,1]
	v_pk_fma_f32 v[86:87], v[88:89], v[76:77], v[86:87] op_sel:[0,0,1] op_sel_hi:[1,0,0]
	s_delay_alu instid0(VALU_DEP_1) | instskip(SKIP_4) | instid1(VALU_DEP_1)
	v_mov_b32_e32 v91, v87
	ds_load_2addr_b64 v[86:89], v80 offset0:13 offset1:14
	v_pk_add_f32 v[36:37], v[36:37], v[90:91] neg_lo:[0,1] neg_hi:[0,1]
	s_wait_dscnt 0x0
	v_pk_mul_f32 v[90:91], v[86:87], v[78:79] op_sel:[0,1]
	v_pk_fma_f32 v[92:93], v[86:87], v[76:77], v[90:91] op_sel:[0,0,1] op_sel_hi:[1,1,0] neg_lo:[0,0,1] neg_hi:[0,0,1]
	v_pk_fma_f32 v[86:87], v[86:87], v[76:77], v[90:91] op_sel:[0,0,1] op_sel_hi:[1,0,0]
	v_dual_mul_f32 v90, v89, v79 :: v_dual_mov_b32 v86, v89
	s_delay_alu instid0(VALU_DEP_2) | instskip(NEXT) | instid1(VALU_DEP_2)
	v_dual_mov_b32 v93, v87 :: v_dual_mov_b32 v87, v88
	v_pk_fma_f32 v[90:91], v[88:89], v[72:73], v[90:91] op_sel_hi:[1,1,0] neg_lo:[0,0,1] neg_hi:[0,0,1]
	v_mul_f32_e32 v88, v89, v76
	s_delay_alu instid0(VALU_DEP_3) | instskip(NEXT) | instid1(VALU_DEP_2)
	v_pk_add_f32 v[34:35], v[34:35], v[92:93] neg_lo:[0,1] neg_hi:[0,1]
	v_pk_fma_f32 v[86:87], v[86:87], v[72:73], v[88:89] op_sel_hi:[1,1,0]
	s_delay_alu instid0(VALU_DEP_1) | instskip(SKIP_4) | instid1(VALU_DEP_1)
	v_mov_b32_e32 v91, v87
	ds_load_2addr_b64 v[86:89], v80 offset0:15 offset1:16
	v_pk_add_f32 v[16:17], v[16:17], v[90:91] neg_lo:[0,1] neg_hi:[0,1]
	s_wait_dscnt 0x0
	v_pk_mul_f32 v[90:91], v[86:87], v[78:79] op_sel:[0,1]
	v_pk_fma_f32 v[92:93], v[86:87], v[76:77], v[90:91] op_sel:[0,0,1] op_sel_hi:[1,1,0] neg_lo:[0,0,1] neg_hi:[0,0,1]
	v_pk_fma_f32 v[86:87], v[86:87], v[76:77], v[90:91] op_sel:[0,0,1] op_sel_hi:[1,0,0]
	s_delay_alu instid0(VALU_DEP_1) | instskip(SKIP_1) | instid1(VALU_DEP_1)
	v_mov_b32_e32 v93, v87
	v_pk_mul_f32 v[86:87], v[88:89], v[78:79] op_sel:[0,1]
	v_pk_fma_f32 v[90:91], v[88:89], v[76:77], v[86:87] op_sel:[0,0,1] op_sel_hi:[1,1,0] neg_lo:[0,0,1] neg_hi:[0,0,1]
	v_pk_fma_f32 v[86:87], v[88:89], v[76:77], v[86:87] op_sel:[0,0,1] op_sel_hi:[1,0,0]
	s_delay_alu instid0(VALU_DEP_1)
	v_mov_b32_e32 v91, v87
	ds_load_2addr_b64 v[86:89], v80 offset0:17 offset1:18
	v_pk_add_f32 v[14:15], v[14:15], v[92:93] neg_lo:[0,1] neg_hi:[0,1]
	v_pk_add_f32 v[50:51], v[50:51], v[90:91] neg_lo:[0,1] neg_hi:[0,1]
	s_wait_dscnt 0x0
	v_pk_mul_f32 v[90:91], v[86:87], v[78:79] op_sel:[0,1]
	s_delay_alu instid0(VALU_DEP_1) | instskip(SKIP_1) | instid1(VALU_DEP_1)
	v_pk_fma_f32 v[92:93], v[86:87], v[76:77], v[90:91] op_sel:[0,0,1] op_sel_hi:[1,1,0] neg_lo:[0,0,1] neg_hi:[0,0,1]
	v_pk_fma_f32 v[86:87], v[86:87], v[76:77], v[90:91] op_sel:[0,0,1] op_sel_hi:[1,0,0]
	v_mov_b32_e32 v93, v87
	v_pk_mul_f32 v[86:87], v[88:89], v[78:79] op_sel:[0,1]
	s_delay_alu instid0(VALU_DEP_1) | instskip(SKIP_1) | instid1(VALU_DEP_1)
	v_pk_fma_f32 v[90:91], v[88:89], v[76:77], v[86:87] op_sel:[0,0,1] op_sel_hi:[1,1,0] neg_lo:[0,0,1] neg_hi:[0,0,1]
	v_pk_fma_f32 v[86:87], v[88:89], v[76:77], v[86:87] op_sel:[0,0,1] op_sel_hi:[1,0,0]
	v_mov_b32_e32 v91, v87
	ds_load_2addr_b64 v[86:89], v80 offset0:19 offset1:20
	v_pk_add_f32 v[48:49], v[48:49], v[92:93] neg_lo:[0,1] neg_hi:[0,1]
	v_pk_add_f32 v[24:25], v[24:25], v[90:91] neg_lo:[0,1] neg_hi:[0,1]
	s_wait_dscnt 0x0
	v_dual_mul_f32 v90, v87, v79 :: v_dual_mul_f32 v92, v87, v76
	s_delay_alu instid0(VALU_DEP_1) | instskip(NEXT) | instid1(VALU_DEP_2)
	v_pk_fma_f32 v[90:91], v[86:87], v[72:73], v[90:91] op_sel_hi:[1,1,0] neg_lo:[0,0,1] neg_hi:[0,0,1]
	v_pk_fma_f32 v[86:87], v[86:87], v[72:73], v[92:93] op_sel:[1,0,0] op_sel_hi:[0,1,0]
	s_delay_alu instid0(VALU_DEP_1) | instskip(SKIP_1) | instid1(VALU_DEP_2)
	v_mov_b32_e32 v91, v87
	v_pk_mul_f32 v[86:87], v[88:89], v[78:79] op_sel:[0,1]
	v_pk_add_f32 v[22:23], v[22:23], v[90:91] neg_lo:[0,1] neg_hi:[0,1]
	s_delay_alu instid0(VALU_DEP_2) | instskip(SKIP_1) | instid1(VALU_DEP_1)
	v_pk_fma_f32 v[90:91], v[88:89], v[76:77], v[86:87] op_sel:[0,0,1] op_sel_hi:[1,1,0] neg_lo:[0,0,1] neg_hi:[0,0,1]
	v_pk_fma_f32 v[86:87], v[88:89], v[76:77], v[86:87] op_sel:[0,0,1] op_sel_hi:[1,0,0]
	v_mov_b32_e32 v91, v87
	ds_load_2addr_b64 v[86:89], v80 offset0:21 offset1:22
	v_pk_add_f32 v[60:61], v[60:61], v[90:91] neg_lo:[0,1] neg_hi:[0,1]
	s_wait_dscnt 0x0
	v_pk_mul_f32 v[90:91], v[86:87], v[78:79] op_sel:[0,1]
	s_delay_alu instid0(VALU_DEP_1) | instskip(SKIP_1) | instid1(VALU_DEP_1)
	v_pk_fma_f32 v[92:93], v[86:87], v[76:77], v[90:91] op_sel:[0,0,1] op_sel_hi:[1,1,0] neg_lo:[0,0,1] neg_hi:[0,0,1]
	v_pk_fma_f32 v[86:87], v[86:87], v[76:77], v[90:91] op_sel:[0,0,1] op_sel_hi:[1,0,0]
	v_mov_b32_e32 v93, v87
	v_pk_mul_f32 v[86:87], v[88:89], v[78:79] op_sel:[0,1]
	s_delay_alu instid0(VALU_DEP_2) | instskip(NEXT) | instid1(VALU_DEP_2)
	v_pk_add_f32 v[58:59], v[58:59], v[92:93] neg_lo:[0,1] neg_hi:[0,1]
	v_pk_fma_f32 v[90:91], v[88:89], v[76:77], v[86:87] op_sel:[0,0,1] op_sel_hi:[1,1,0] neg_lo:[0,0,1] neg_hi:[0,0,1]
	v_pk_fma_f32 v[86:87], v[88:89], v[76:77], v[86:87] op_sel:[0,0,1] op_sel_hi:[1,0,0]
	s_delay_alu instid0(VALU_DEP_1) | instskip(SKIP_4) | instid1(VALU_DEP_1)
	v_mov_b32_e32 v91, v87
	ds_load_2addr_b64 v[86:89], v80 offset0:23 offset1:24
	v_pk_add_f32 v[32:33], v[32:33], v[90:91] neg_lo:[0,1] neg_hi:[0,1]
	s_wait_dscnt 0x0
	v_pk_mul_f32 v[90:91], v[86:87], v[78:79] op_sel:[0,1]
	v_pk_fma_f32 v[92:93], v[86:87], v[76:77], v[90:91] op_sel:[0,0,1] op_sel_hi:[1,1,0] neg_lo:[0,0,1] neg_hi:[0,0,1]
	v_pk_fma_f32 v[86:87], v[86:87], v[76:77], v[90:91] op_sel:[0,0,1] op_sel_hi:[1,0,0]
	v_dual_mul_f32 v90, v89, v79 :: v_dual_mov_b32 v86, v89
	s_delay_alu instid0(VALU_DEP_2) | instskip(NEXT) | instid1(VALU_DEP_2)
	v_dual_mov_b32 v93, v87 :: v_dual_mov_b32 v87, v88
	v_pk_fma_f32 v[90:91], v[88:89], v[72:73], v[90:91] op_sel_hi:[1,1,0] neg_lo:[0,0,1] neg_hi:[0,0,1]
	v_mul_f32_e32 v88, v89, v76
	s_delay_alu instid0(VALU_DEP_3) | instskip(NEXT) | instid1(VALU_DEP_2)
	v_pk_add_f32 v[30:31], v[30:31], v[92:93] neg_lo:[0,1] neg_hi:[0,1]
	v_pk_fma_f32 v[86:87], v[86:87], v[72:73], v[88:89] op_sel_hi:[1,1,0]
	s_delay_alu instid0(VALU_DEP_1) | instskip(SKIP_4) | instid1(VALU_DEP_1)
	v_mov_b32_e32 v91, v87
	ds_load_2addr_b64 v[86:89], v80 offset0:25 offset1:26
	v_pk_add_f32 v[68:69], v[68:69], v[90:91] neg_lo:[0,1] neg_hi:[0,1]
	s_wait_dscnt 0x0
	v_pk_mul_f32 v[90:91], v[86:87], v[78:79] op_sel:[0,1]
	v_pk_fma_f32 v[92:93], v[86:87], v[76:77], v[90:91] op_sel:[0,0,1] op_sel_hi:[1,1,0] neg_lo:[0,0,1] neg_hi:[0,0,1]
	v_pk_fma_f32 v[86:87], v[86:87], v[76:77], v[90:91] op_sel:[0,0,1] op_sel_hi:[1,0,0]
	s_delay_alu instid0(VALU_DEP_1) | instskip(SKIP_1) | instid1(VALU_DEP_1)
	v_mov_b32_e32 v93, v87
	v_pk_mul_f32 v[86:87], v[88:89], v[78:79] op_sel:[0,1]
	v_pk_fma_f32 v[90:91], v[88:89], v[76:77], v[86:87] op_sel:[0,0,1] op_sel_hi:[1,1,0] neg_lo:[0,0,1] neg_hi:[0,0,1]
	v_pk_fma_f32 v[86:87], v[88:89], v[76:77], v[86:87] op_sel:[0,0,1] op_sel_hi:[1,0,0]
	s_delay_alu instid0(VALU_DEP_1)
	v_mov_b32_e32 v91, v87
	ds_load_2addr_b64 v[86:89], v80 offset0:27 offset1:28
	v_pk_add_f32 v[66:67], v[66:67], v[92:93] neg_lo:[0,1] neg_hi:[0,1]
	v_pk_add_f32 v[42:43], v[42:43], v[90:91] neg_lo:[0,1] neg_hi:[0,1]
	s_wait_dscnt 0x0
	v_pk_mul_f32 v[90:91], v[86:87], v[78:79] op_sel:[0,1]
	s_delay_alu instid0(VALU_DEP_1) | instskip(SKIP_1) | instid1(VALU_DEP_1)
	v_pk_fma_f32 v[92:93], v[86:87], v[76:77], v[90:91] op_sel:[0,0,1] op_sel_hi:[1,1,0] neg_lo:[0,0,1] neg_hi:[0,0,1]
	v_pk_fma_f32 v[86:87], v[86:87], v[76:77], v[90:91] op_sel:[0,0,1] op_sel_hi:[1,0,0]
	v_mov_b32_e32 v93, v87
	v_pk_mul_f32 v[86:87], v[88:89], v[78:79] op_sel:[0,1]
	s_delay_alu instid0(VALU_DEP_1) | instskip(SKIP_1) | instid1(VALU_DEP_1)
	v_pk_fma_f32 v[90:91], v[88:89], v[76:77], v[86:87] op_sel:[0,0,1] op_sel_hi:[1,1,0] neg_lo:[0,0,1] neg_hi:[0,0,1]
	v_pk_fma_f32 v[86:87], v[88:89], v[76:77], v[86:87] op_sel:[0,0,1] op_sel_hi:[1,0,0]
	v_mov_b32_e32 v91, v87
	ds_load_2addr_b64 v[86:89], v80 offset0:29 offset1:30
	v_pk_add_f32 v[40:41], v[40:41], v[92:93] neg_lo:[0,1] neg_hi:[0,1]
	v_pk_add_f32 v[64:65], v[64:65], v[90:91] neg_lo:[0,1] neg_hi:[0,1]
	s_wait_dscnt 0x0
	v_dual_mul_f32 v90, v87, v79 :: v_dual_mul_f32 v92, v87, v76
	s_delay_alu instid0(VALU_DEP_1) | instskip(NEXT) | instid1(VALU_DEP_2)
	v_pk_fma_f32 v[90:91], v[86:87], v[72:73], v[90:91] op_sel_hi:[1,1,0] neg_lo:[0,0,1] neg_hi:[0,0,1]
	v_pk_fma_f32 v[86:87], v[86:87], v[72:73], v[92:93] op_sel:[1,0,0] op_sel_hi:[0,1,0]
	s_delay_alu instid0(VALU_DEP_1) | instskip(SKIP_1) | instid1(VALU_DEP_2)
	v_mov_b32_e32 v91, v87
	v_pk_mul_f32 v[86:87], v[88:89], v[78:79] op_sel:[0,1]
	v_pk_add_f32 v[62:63], v[62:63], v[90:91] neg_lo:[0,1] neg_hi:[0,1]
	s_delay_alu instid0(VALU_DEP_2) | instskip(SKIP_1) | instid1(VALU_DEP_1)
	v_pk_fma_f32 v[90:91], v[88:89], v[76:77], v[86:87] op_sel:[0,0,1] op_sel_hi:[1,1,0] neg_lo:[0,0,1] neg_hi:[0,0,1]
	v_pk_fma_f32 v[86:87], v[88:89], v[76:77], v[86:87] op_sel:[0,0,1] op_sel_hi:[1,0,0]
	v_mov_b32_e32 v91, v87
	ds_load_2addr_b64 v[86:89], v80 offset0:31 offset1:32
	v_pk_add_f32 v[46:47], v[46:47], v[90:91] neg_lo:[0,1] neg_hi:[0,1]
	s_wait_dscnt 0x0
	v_pk_mul_f32 v[90:91], v[86:87], v[78:79] op_sel:[0,1]
	s_delay_alu instid0(VALU_DEP_1) | instskip(SKIP_1) | instid1(VALU_DEP_1)
	v_pk_fma_f32 v[92:93], v[86:87], v[76:77], v[90:91] op_sel:[0,0,1] op_sel_hi:[1,1,0] neg_lo:[0,0,1] neg_hi:[0,0,1]
	v_pk_fma_f32 v[86:87], v[86:87], v[76:77], v[90:91] op_sel:[0,0,1] op_sel_hi:[1,0,0]
	v_mov_b32_e32 v93, v87
	v_pk_mul_f32 v[86:87], v[88:89], v[78:79] op_sel:[0,1]
	s_delay_alu instid0(VALU_DEP_2) | instskip(NEXT) | instid1(VALU_DEP_2)
	v_pk_add_f32 v[44:45], v[44:45], v[92:93] neg_lo:[0,1] neg_hi:[0,1]
	v_pk_fma_f32 v[90:91], v[88:89], v[76:77], v[86:87] op_sel:[0,0,1] op_sel_hi:[1,1,0] neg_lo:[0,0,1] neg_hi:[0,0,1]
	v_pk_fma_f32 v[86:87], v[88:89], v[76:77], v[86:87] op_sel:[0,0,1] op_sel_hi:[1,0,0]
	s_delay_alu instid0(VALU_DEP_1)
	v_mov_b32_e32 v91, v87
	ds_load_2addr_b64 v[86:89], v80 offset0:33 offset1:34
	v_pk_add_f32 v[54:55], v[54:55], v[90:91] neg_lo:[0,1] neg_hi:[0,1]
	s_wait_dscnt 0x0
	v_pk_mul_f32 v[90:91], v[86:87], v[78:79] op_sel:[0,1]
	v_pk_mul_f32 v[78:79], v[88:89], v[78:79] op_sel:[0,1]
	s_delay_alu instid0(VALU_DEP_2) | instskip(SKIP_1) | instid1(VALU_DEP_1)
	v_pk_fma_f32 v[92:93], v[86:87], v[76:77], v[90:91] op_sel:[0,0,1] op_sel_hi:[1,1,0] neg_lo:[0,0,1] neg_hi:[0,0,1]
	v_pk_fma_f32 v[86:87], v[86:87], v[76:77], v[90:91] op_sel:[0,0,1] op_sel_hi:[1,0,0]
	v_mov_b32_e32 v93, v87
	s_delay_alu instid0(VALU_DEP_4) | instskip(SKIP_1) | instid1(VALU_DEP_3)
	v_pk_fma_f32 v[86:87], v[88:89], v[76:77], v[78:79] op_sel:[0,0,1] op_sel_hi:[1,1,0] neg_lo:[0,0,1] neg_hi:[0,0,1]
	v_pk_fma_f32 v[76:77], v[88:89], v[76:77], v[78:79] op_sel:[0,0,1] op_sel_hi:[1,0,0]
	v_pk_add_f32 v[52:53], v[52:53], v[92:93] neg_lo:[0,1] neg_hi:[0,1]
	s_delay_alu instid0(VALU_DEP_2) | instskip(NEXT) | instid1(VALU_DEP_1)
	v_mov_b32_e32 v87, v77
	v_pk_add_f32 v[74:75], v[74:75], v[86:87] neg_lo:[0,1] neg_hi:[0,1]
.LBB68_22:
	s_or_b32 exec_lo, exec_lo, s0
	v_lshl_add_u32 v76, v84, 3, v80
	s_barrier_signal -1
	s_barrier_wait -1
	ds_store_b64 v76, v[70:71]
	s_wait_dscnt 0x0
	s_barrier_signal -1
	s_barrier_wait -1
	ds_load_b64 v[78:79], v80 offset:8
	v_mov_b32_e32 v76, 1
	s_cmp_lt_i32 s14, 3
	s_cbranch_scc1 .LBB68_25
; %bb.23:
	v_add3_u32 v77, v81, 0, 16
	v_mov_b32_e32 v76, 1
	s_mov_b32 s0, 2
.LBB68_24:                              ; =>This Inner Loop Header: Depth=1
	ds_load_b64 v[86:87], v77
	s_wait_dscnt 0x1
	v_cmp_gt_f32_e32 vcc_lo, 0, v78
	v_cndmask_b32_e64 v88, v78, -v78, vcc_lo
	v_cmp_gt_f32_e32 vcc_lo, 0, v79
	v_cndmask_b32_e64 v90, v79, -v79, vcc_lo
	s_wait_dscnt 0x0
	v_cmp_gt_f32_e32 vcc_lo, 0, v86
	v_cndmask_b32_e64 v89, v86, -v86, vcc_lo
	v_cmp_gt_f32_e32 vcc_lo, 0, v87
	v_cndmask_b32_e64 v91, v87, -v87, vcc_lo
	s_delay_alu instid0(VALU_DEP_1) | instskip(NEXT) | instid1(VALU_DEP_1)
	v_pk_add_f32 v[88:89], v[88:89], v[90:91]
	v_cmp_lt_f32_e32 vcc_lo, v88, v89
	v_dual_add_nc_u32 v77, 8, v77 :: v_dual_cndmask_b32 v79, v79, v87, vcc_lo
	v_cndmask_b32_e32 v78, v78, v86, vcc_lo
	v_cndmask_b32_e64 v76, v76, s0, vcc_lo
	s_add_co_i32 s0, s0, 1
	s_delay_alu instid0(SALU_CYCLE_1)
	s_cmp_lg_u32 s14, s0
	s_cbranch_scc1 .LBB68_24
.LBB68_25:
	s_wait_dscnt 0x0
	v_cmp_neq_f32_e32 vcc_lo, 0, v78
	v_cmp_neq_f32_e64 s0, 0, v79
	s_or_b32 s1, vcc_lo, s0
	s_delay_alu instid0(SALU_CYCLE_1)
	s_and_saveexec_b32 s0, s1
	s_cbranch_execz .LBB68_31
; %bb.26:
	v_cmp_ngt_f32_e64 s1, |v78|, |v79|
	s_and_saveexec_b32 s15, s1
	s_delay_alu instid0(SALU_CYCLE_1)
	s_xor_b32 s1, exec_lo, s15
	s_cbranch_execz .LBB68_28
; %bb.27:
	v_div_scale_f32 v77, null, v79, v79, v78
	v_div_scale_f32 v87, vcc_lo, v78, v79, v78
	s_delay_alu instid0(VALU_DEP_2) | instskip(SKIP_1) | instid1(TRANS32_DEP_1)
	v_rcp_f32_e32 v82, v77
	v_nop
	v_fma_f32 v86, -v77, v82, 1.0
	s_delay_alu instid0(VALU_DEP_1) | instskip(NEXT) | instid1(VALU_DEP_1)
	v_fmac_f32_e32 v82, v86, v82
	v_mul_f32_e32 v86, v87, v82
	s_delay_alu instid0(VALU_DEP_1) | instskip(NEXT) | instid1(VALU_DEP_1)
	v_fma_f32 v88, -v77, v86, v87
	v_fmac_f32_e32 v86, v88, v82
	s_delay_alu instid0(VALU_DEP_1) | instskip(NEXT) | instid1(VALU_DEP_1)
	v_fma_f32 v77, -v77, v86, v87
	v_div_fmas_f32 v77, v77, v82, v86
	s_delay_alu instid0(VALU_DEP_1) | instskip(NEXT) | instid1(VALU_DEP_1)
	v_div_fixup_f32 v77, v77, v79, v78
	v_fmac_f32_e32 v79, v78, v77
	s_delay_alu instid0(VALU_DEP_1) | instskip(SKIP_1) | instid1(VALU_DEP_2)
	v_div_scale_f32 v78, null, v79, v79, 1.0
	v_div_scale_f32 v87, vcc_lo, 1.0, v79, 1.0
	v_rcp_f32_e32 v82, v78
	v_nop
	s_delay_alu instid0(TRANS32_DEP_1) | instskip(NEXT) | instid1(VALU_DEP_1)
	v_fma_f32 v86, -v78, v82, 1.0
	v_fmac_f32_e32 v82, v86, v82
	s_delay_alu instid0(VALU_DEP_1) | instskip(NEXT) | instid1(VALU_DEP_1)
	v_mul_f32_e32 v86, v87, v82
	v_fma_f32 v88, -v78, v86, v87
	s_delay_alu instid0(VALU_DEP_1) | instskip(NEXT) | instid1(VALU_DEP_1)
	v_fmac_f32_e32 v86, v88, v82
	v_fma_f32 v78, -v78, v86, v87
	s_delay_alu instid0(VALU_DEP_1) | instskip(NEXT) | instid1(VALU_DEP_1)
	v_div_fmas_f32 v78, v78, v82, v86
	v_div_fixup_f32 v79, v78, v79, 1.0
	s_delay_alu instid0(VALU_DEP_1)
	v_mul_f32_e32 v78, v77, v79
	v_xor_b32_e32 v79, 0x80000000, v79
.LBB68_28:
	s_and_not1_saveexec_b32 s1, s1
	s_cbranch_execz .LBB68_30
; %bb.29:
	s_delay_alu instid0(VALU_DEP_1) | instskip(SKIP_1) | instid1(VALU_DEP_2)
	v_div_scale_f32 v77, null, v78, v78, v79
	v_div_scale_f32 v87, vcc_lo, v79, v78, v79
	v_rcp_f32_e32 v82, v77
	v_nop
	s_delay_alu instid0(TRANS32_DEP_1) | instskip(NEXT) | instid1(VALU_DEP_1)
	v_fma_f32 v86, -v77, v82, 1.0
	v_fmac_f32_e32 v82, v86, v82
	s_delay_alu instid0(VALU_DEP_1) | instskip(NEXT) | instid1(VALU_DEP_1)
	v_mul_f32_e32 v86, v87, v82
	v_fma_f32 v88, -v77, v86, v87
	s_delay_alu instid0(VALU_DEP_1) | instskip(NEXT) | instid1(VALU_DEP_1)
	v_fmac_f32_e32 v86, v88, v82
	v_fma_f32 v77, -v77, v86, v87
	s_delay_alu instid0(VALU_DEP_1) | instskip(NEXT) | instid1(VALU_DEP_1)
	v_div_fmas_f32 v77, v77, v82, v86
	v_div_fixup_f32 v77, v77, v78, v79
	s_delay_alu instid0(VALU_DEP_1) | instskip(NEXT) | instid1(VALU_DEP_1)
	v_fmac_f32_e32 v78, v79, v77
	v_div_scale_f32 v79, null, v78, v78, 1.0
	s_delay_alu instid0(VALU_DEP_1) | instskip(SKIP_1) | instid1(TRANS32_DEP_1)
	v_rcp_f32_e32 v82, v79
	v_nop
	v_fma_f32 v86, -v79, v82, 1.0
	s_delay_alu instid0(VALU_DEP_1) | instskip(SKIP_1) | instid1(VALU_DEP_1)
	v_fmac_f32_e32 v82, v86, v82
	v_div_scale_f32 v86, vcc_lo, 1.0, v78, 1.0
	v_mul_f32_e32 v87, v86, v82
	s_delay_alu instid0(VALU_DEP_1) | instskip(NEXT) | instid1(VALU_DEP_1)
	v_fma_f32 v88, -v79, v87, v86
	v_fmac_f32_e32 v87, v88, v82
	s_delay_alu instid0(VALU_DEP_1) | instskip(NEXT) | instid1(VALU_DEP_1)
	v_fma_f32 v79, -v79, v87, v86
	v_div_fmas_f32 v79, v79, v82, v87
	s_delay_alu instid0(VALU_DEP_1) | instskip(NEXT) | instid1(VALU_DEP_1)
	v_div_fixup_f32 v78, v79, v78, 1.0
	v_mul_f32_e64 v79, v77, -v78
.LBB68_30:
	s_or_b32 exec_lo, exec_lo, s1
	v_mov_b32_e32 v82, v85
.LBB68_31:
	s_or_b32 exec_lo, exec_lo, s0
	s_delay_alu instid0(SALU_CYCLE_1)
	s_mov_b32 s0, exec_lo
	v_cmpx_ne_u32_e64 v84, v76
	s_xor_b32 s0, exec_lo, s0
	s_cbranch_execz .LBB68_37
; %bb.32:
	s_mov_b32 s1, exec_lo
	v_cmpx_eq_u32_e32 1, v84
	s_cbranch_execz .LBB68_36
; %bb.33:
	v_cmp_ne_u32_e32 vcc_lo, 1, v76
	s_xor_b32 s15, s12, -1
	s_delay_alu instid0(SALU_CYCLE_1) | instskip(NEXT) | instid1(SALU_CYCLE_1)
	s_and_b32 s16, s15, vcc_lo
	s_and_saveexec_b32 s15, s16
	s_cbranch_execz .LBB68_35
; %bb.34:
	v_ashrrev_i32_e32 v77, 31, v76
	s_delay_alu instid0(VALU_DEP_1)
	v_lshl_add_u64 v[84:85], v[76:77], 2, v[4:5]
	s_clause 0x1
	global_load_b32 v77, v[84:85], off
	global_load_b32 v83, v[4:5], off offset:4
	s_wait_loadcnt 0x1
	global_store_b32 v[4:5], v77, off offset:4
	s_wait_loadcnt 0x0
	global_store_b32 v[84:85], v83, off
.LBB68_35:
	s_wait_xcnt 0x0
	s_or_b32 exec_lo, exec_lo, s15
	v_dual_mov_b32 v84, v76 :: v_dual_mov_b32 v83, v76
.LBB68_36:
	s_or_b32 exec_lo, exec_lo, s1
.LBB68_37:
	s_and_not1_saveexec_b32 s0, s0
	s_cbranch_execz .LBB68_39
; %bb.38:
	v_dual_mov_b32 v76, v56 :: v_dual_mov_b32 v77, v57
	v_dual_mov_b32 v84, v38 :: v_dual_mov_b32 v85, v39
	ds_store_2addr_b64 v80, v[76:77], v[84:85] offset0:2 offset1:3
	v_dual_mov_b32 v76, v20 :: v_dual_mov_b32 v77, v21
	v_dual_mov_b32 v84, v18 :: v_dual_mov_b32 v85, v19
	ds_store_2addr_b64 v80, v[76:77], v[84:85] offset0:4 offset1:5
	;; [unrolled: 3-line block ×16, first 2 shown]
	ds_store_b64 v80, v[74:75] offset:272
	v_mov_b32_e32 v84, 1
.LBB68_39:
	s_or_b32 exec_lo, exec_lo, s0
	s_delay_alu instid0(SALU_CYCLE_1)
	s_mov_b32 s0, exec_lo
	s_wait_storecnt_dscnt 0x0
	s_barrier_signal -1
	s_barrier_wait -1
	v_cmpx_lt_i32_e32 1, v84
	s_cbranch_execz .LBB68_41
; %bb.40:
	v_pk_mul_f32 v[86:87], v[78:79], v[70:71] op_sel:[1,1] op_sel_hi:[0,1]
	s_delay_alu instid0(VALU_DEP_1)
	v_pk_fma_f32 v[76:77], v[78:79], v[70:71], v[86:87] op_sel_hi:[1,0,1] neg_lo:[0,0,1] neg_hi:[0,0,1]
	v_pk_fma_f32 v[78:79], v[78:79], v[70:71], v[86:87] op_sel_hi:[1,0,1]
	ds_load_2addr_b64 v[86:89], v80 offset0:2 offset1:3
	v_dual_mov_b32 v70, v76 :: v_dual_mov_b32 v71, v79
	s_wait_dscnt 0x0
	v_pk_mul_f32 v[90:91], v[86:87], v[78:79] op_sel:[0,1]
	s_delay_alu instid0(VALU_DEP_1) | instskip(SKIP_1) | instid1(VALU_DEP_1)
	v_pk_fma_f32 v[92:93], v[86:87], v[76:77], v[90:91] op_sel:[0,0,1] op_sel_hi:[1,1,0] neg_lo:[0,0,1] neg_hi:[0,0,1]
	v_pk_fma_f32 v[86:87], v[86:87], v[76:77], v[90:91] op_sel:[0,0,1] op_sel_hi:[1,0,0]
	v_mov_b32_e32 v93, v87
	v_pk_mul_f32 v[86:87], v[88:89], v[78:79] op_sel:[0,1]
	s_delay_alu instid0(VALU_DEP_1) | instskip(SKIP_1) | instid1(VALU_DEP_1)
	v_pk_fma_f32 v[90:91], v[88:89], v[76:77], v[86:87] op_sel:[0,0,1] op_sel_hi:[1,1,0] neg_lo:[0,0,1] neg_hi:[0,0,1]
	v_pk_fma_f32 v[86:87], v[88:89], v[76:77], v[86:87] op_sel:[0,0,1] op_sel_hi:[1,0,0]
	v_mov_b32_e32 v91, v87
	ds_load_2addr_b64 v[86:89], v80 offset0:4 offset1:5
	v_pk_add_f32 v[56:57], v[56:57], v[92:93] neg_lo:[0,1] neg_hi:[0,1]
	v_pk_add_f32 v[38:39], v[38:39], v[90:91] neg_lo:[0,1] neg_hi:[0,1]
	s_wait_dscnt 0x0
	v_pk_mul_f32 v[90:91], v[86:87], v[78:79] op_sel:[0,1]
	s_delay_alu instid0(VALU_DEP_1) | instskip(SKIP_2) | instid1(VALU_DEP_2)
	v_pk_fma_f32 v[92:93], v[86:87], v[76:77], v[90:91] op_sel:[0,0,1] op_sel_hi:[1,1,0] neg_lo:[0,0,1] neg_hi:[0,0,1]
	v_pk_fma_f32 v[86:87], v[86:87], v[76:77], v[90:91] op_sel:[0,0,1] op_sel_hi:[1,0,0]
	v_dual_mul_f32 v90, v89, v79 :: v_dual_mov_b32 v86, v89
	v_dual_mov_b32 v93, v87 :: v_dual_mov_b32 v87, v88
	s_delay_alu instid0(VALU_DEP_2) | instskip(SKIP_1) | instid1(VALU_DEP_3)
	v_pk_fma_f32 v[90:91], v[88:89], v[70:71], v[90:91] op_sel_hi:[1,1,0] neg_lo:[0,0,1] neg_hi:[0,0,1]
	v_mul_f32_e32 v88, v89, v76
	v_pk_add_f32 v[20:21], v[20:21], v[92:93] neg_lo:[0,1] neg_hi:[0,1]
	s_delay_alu instid0(VALU_DEP_2) | instskip(NEXT) | instid1(VALU_DEP_1)
	v_pk_fma_f32 v[86:87], v[86:87], v[70:71], v[88:89] op_sel_hi:[1,1,0]
	v_mov_b32_e32 v91, v87
	ds_load_2addr_b64 v[86:89], v80 offset0:6 offset1:7
	v_pk_add_f32 v[18:19], v[18:19], v[90:91] neg_lo:[0,1] neg_hi:[0,1]
	s_wait_dscnt 0x0
	v_pk_mul_f32 v[90:91], v[86:87], v[78:79] op_sel:[0,1]
	s_delay_alu instid0(VALU_DEP_1) | instskip(SKIP_1) | instid1(VALU_DEP_1)
	v_pk_fma_f32 v[92:93], v[86:87], v[76:77], v[90:91] op_sel:[0,0,1] op_sel_hi:[1,1,0] neg_lo:[0,0,1] neg_hi:[0,0,1]
	v_pk_fma_f32 v[86:87], v[86:87], v[76:77], v[90:91] op_sel:[0,0,1] op_sel_hi:[1,0,0]
	v_mov_b32_e32 v93, v87
	v_pk_mul_f32 v[86:87], v[88:89], v[78:79] op_sel:[0,1]
	s_delay_alu instid0(VALU_DEP_1) | instskip(SKIP_1) | instid1(VALU_DEP_1)
	v_pk_fma_f32 v[90:91], v[88:89], v[76:77], v[86:87] op_sel:[0,0,1] op_sel_hi:[1,1,0] neg_lo:[0,0,1] neg_hi:[0,0,1]
	v_pk_fma_f32 v[86:87], v[88:89], v[76:77], v[86:87] op_sel:[0,0,1] op_sel_hi:[1,0,0]
	v_mov_b32_e32 v91, v87
	ds_load_2addr_b64 v[86:89], v80 offset0:8 offset1:9
	v_pk_add_f32 v[8:9], v[8:9], v[92:93] neg_lo:[0,1] neg_hi:[0,1]
	v_pk_add_f32 v[6:7], v[6:7], v[90:91] neg_lo:[0,1] neg_hi:[0,1]
	s_wait_dscnt 0x0
	v_pk_mul_f32 v[90:91], v[86:87], v[78:79] op_sel:[0,1]
	s_delay_alu instid0(VALU_DEP_1) | instskip(SKIP_1) | instid1(VALU_DEP_1)
	v_pk_fma_f32 v[92:93], v[86:87], v[76:77], v[90:91] op_sel:[0,0,1] op_sel_hi:[1,1,0] neg_lo:[0,0,1] neg_hi:[0,0,1]
	v_pk_fma_f32 v[86:87], v[86:87], v[76:77], v[90:91] op_sel:[0,0,1] op_sel_hi:[1,0,0]
	v_mov_b32_e32 v93, v87
	v_pk_mul_f32 v[86:87], v[88:89], v[78:79] op_sel:[0,1]
	s_delay_alu instid0(VALU_DEP_1) | instskip(SKIP_1) | instid1(VALU_DEP_1)
	v_pk_fma_f32 v[90:91], v[88:89], v[76:77], v[86:87] op_sel:[0,0,1] op_sel_hi:[1,1,0] neg_lo:[0,0,1] neg_hi:[0,0,1]
	v_pk_fma_f32 v[86:87], v[88:89], v[76:77], v[86:87] op_sel:[0,0,1] op_sel_hi:[1,0,0]
	v_mov_b32_e32 v91, v87
	ds_load_2addr_b64 v[86:89], v80 offset0:10 offset1:11
	v_pk_add_f32 v[28:29], v[28:29], v[92:93] neg_lo:[0,1] neg_hi:[0,1]
	v_pk_add_f32 v[26:27], v[26:27], v[90:91] neg_lo:[0,1] neg_hi:[0,1]
	s_wait_dscnt 0x0
	v_dual_mul_f32 v90, v87, v79 :: v_dual_mul_f32 v92, v87, v76
	s_delay_alu instid0(VALU_DEP_1) | instskip(NEXT) | instid1(VALU_DEP_2)
	v_pk_fma_f32 v[90:91], v[86:87], v[70:71], v[90:91] op_sel_hi:[1,1,0] neg_lo:[0,0,1] neg_hi:[0,0,1]
	v_pk_fma_f32 v[86:87], v[86:87], v[70:71], v[92:93] op_sel:[1,0,0] op_sel_hi:[0,1,0]
	s_delay_alu instid0(VALU_DEP_1) | instskip(SKIP_1) | instid1(VALU_DEP_2)
	v_mov_b32_e32 v91, v87
	v_pk_mul_f32 v[86:87], v[88:89], v[78:79] op_sel:[0,1]
	v_pk_add_f32 v[12:13], v[12:13], v[90:91] neg_lo:[0,1] neg_hi:[0,1]
	s_delay_alu instid0(VALU_DEP_2) | instskip(SKIP_1) | instid1(VALU_DEP_1)
	v_pk_fma_f32 v[90:91], v[88:89], v[76:77], v[86:87] op_sel:[0,0,1] op_sel_hi:[1,1,0] neg_lo:[0,0,1] neg_hi:[0,0,1]
	v_pk_fma_f32 v[86:87], v[88:89], v[76:77], v[86:87] op_sel:[0,0,1] op_sel_hi:[1,0,0]
	v_mov_b32_e32 v91, v87
	ds_load_2addr_b64 v[86:89], v80 offset0:12 offset1:13
	v_pk_add_f32 v[10:11], v[10:11], v[90:91] neg_lo:[0,1] neg_hi:[0,1]
	s_wait_dscnt 0x0
	v_pk_mul_f32 v[90:91], v[86:87], v[78:79] op_sel:[0,1]
	s_delay_alu instid0(VALU_DEP_1) | instskip(SKIP_1) | instid1(VALU_DEP_1)
	v_pk_fma_f32 v[92:93], v[86:87], v[76:77], v[90:91] op_sel:[0,0,1] op_sel_hi:[1,1,0] neg_lo:[0,0,1] neg_hi:[0,0,1]
	v_pk_fma_f32 v[86:87], v[86:87], v[76:77], v[90:91] op_sel:[0,0,1] op_sel_hi:[1,0,0]
	v_mov_b32_e32 v93, v87
	v_pk_mul_f32 v[86:87], v[88:89], v[78:79] op_sel:[0,1]
	s_delay_alu instid0(VALU_DEP_2) | instskip(NEXT) | instid1(VALU_DEP_2)
	v_pk_add_f32 v[36:37], v[36:37], v[92:93] neg_lo:[0,1] neg_hi:[0,1]
	v_pk_fma_f32 v[90:91], v[88:89], v[76:77], v[86:87] op_sel:[0,0,1] op_sel_hi:[1,1,0] neg_lo:[0,0,1] neg_hi:[0,0,1]
	v_pk_fma_f32 v[86:87], v[88:89], v[76:77], v[86:87] op_sel:[0,0,1] op_sel_hi:[1,0,0]
	s_delay_alu instid0(VALU_DEP_1) | instskip(SKIP_4) | instid1(VALU_DEP_1)
	v_mov_b32_e32 v91, v87
	ds_load_2addr_b64 v[86:89], v80 offset0:14 offset1:15
	v_pk_add_f32 v[34:35], v[34:35], v[90:91] neg_lo:[0,1] neg_hi:[0,1]
	s_wait_dscnt 0x0
	v_pk_mul_f32 v[90:91], v[86:87], v[78:79] op_sel:[0,1]
	v_pk_fma_f32 v[92:93], v[86:87], v[76:77], v[90:91] op_sel:[0,0,1] op_sel_hi:[1,1,0] neg_lo:[0,0,1] neg_hi:[0,0,1]
	v_pk_fma_f32 v[86:87], v[86:87], v[76:77], v[90:91] op_sel:[0,0,1] op_sel_hi:[1,0,0]
	v_dual_mul_f32 v90, v89, v79 :: v_dual_mov_b32 v86, v89
	s_delay_alu instid0(VALU_DEP_2) | instskip(NEXT) | instid1(VALU_DEP_2)
	v_dual_mov_b32 v93, v87 :: v_dual_mov_b32 v87, v88
	v_pk_fma_f32 v[90:91], v[88:89], v[70:71], v[90:91] op_sel_hi:[1,1,0] neg_lo:[0,0,1] neg_hi:[0,0,1]
	v_mul_f32_e32 v88, v89, v76
	s_delay_alu instid0(VALU_DEP_3) | instskip(NEXT) | instid1(VALU_DEP_2)
	v_pk_add_f32 v[16:17], v[16:17], v[92:93] neg_lo:[0,1] neg_hi:[0,1]
	v_pk_fma_f32 v[86:87], v[86:87], v[70:71], v[88:89] op_sel_hi:[1,1,0]
	s_delay_alu instid0(VALU_DEP_1) | instskip(SKIP_4) | instid1(VALU_DEP_1)
	v_mov_b32_e32 v91, v87
	ds_load_2addr_b64 v[86:89], v80 offset0:16 offset1:17
	v_pk_add_f32 v[14:15], v[14:15], v[90:91] neg_lo:[0,1] neg_hi:[0,1]
	s_wait_dscnt 0x0
	v_pk_mul_f32 v[90:91], v[86:87], v[78:79] op_sel:[0,1]
	v_pk_fma_f32 v[92:93], v[86:87], v[76:77], v[90:91] op_sel:[0,0,1] op_sel_hi:[1,1,0] neg_lo:[0,0,1] neg_hi:[0,0,1]
	v_pk_fma_f32 v[86:87], v[86:87], v[76:77], v[90:91] op_sel:[0,0,1] op_sel_hi:[1,0,0]
	s_delay_alu instid0(VALU_DEP_1) | instskip(SKIP_1) | instid1(VALU_DEP_1)
	v_mov_b32_e32 v93, v87
	v_pk_mul_f32 v[86:87], v[88:89], v[78:79] op_sel:[0,1]
	v_pk_fma_f32 v[90:91], v[88:89], v[76:77], v[86:87] op_sel:[0,0,1] op_sel_hi:[1,1,0] neg_lo:[0,0,1] neg_hi:[0,0,1]
	v_pk_fma_f32 v[86:87], v[88:89], v[76:77], v[86:87] op_sel:[0,0,1] op_sel_hi:[1,0,0]
	s_delay_alu instid0(VALU_DEP_1)
	v_mov_b32_e32 v91, v87
	ds_load_2addr_b64 v[86:89], v80 offset0:18 offset1:19
	v_pk_add_f32 v[50:51], v[50:51], v[92:93] neg_lo:[0,1] neg_hi:[0,1]
	v_pk_add_f32 v[48:49], v[48:49], v[90:91] neg_lo:[0,1] neg_hi:[0,1]
	s_wait_dscnt 0x0
	v_pk_mul_f32 v[90:91], v[86:87], v[78:79] op_sel:[0,1]
	s_delay_alu instid0(VALU_DEP_1) | instskip(SKIP_1) | instid1(VALU_DEP_1)
	v_pk_fma_f32 v[92:93], v[86:87], v[76:77], v[90:91] op_sel:[0,0,1] op_sel_hi:[1,1,0] neg_lo:[0,0,1] neg_hi:[0,0,1]
	v_pk_fma_f32 v[86:87], v[86:87], v[76:77], v[90:91] op_sel:[0,0,1] op_sel_hi:[1,0,0]
	v_mov_b32_e32 v93, v87
	v_pk_mul_f32 v[86:87], v[88:89], v[78:79] op_sel:[0,1]
	s_delay_alu instid0(VALU_DEP_1) | instskip(SKIP_1) | instid1(VALU_DEP_1)
	v_pk_fma_f32 v[90:91], v[88:89], v[76:77], v[86:87] op_sel:[0,0,1] op_sel_hi:[1,1,0] neg_lo:[0,0,1] neg_hi:[0,0,1]
	v_pk_fma_f32 v[86:87], v[88:89], v[76:77], v[86:87] op_sel:[0,0,1] op_sel_hi:[1,0,0]
	v_mov_b32_e32 v91, v87
	ds_load_2addr_b64 v[86:89], v80 offset0:20 offset1:21
	v_pk_add_f32 v[24:25], v[24:25], v[92:93] neg_lo:[0,1] neg_hi:[0,1]
	v_pk_add_f32 v[22:23], v[22:23], v[90:91] neg_lo:[0,1] neg_hi:[0,1]
	s_wait_dscnt 0x0
	v_dual_mul_f32 v90, v87, v79 :: v_dual_mul_f32 v92, v87, v76
	s_delay_alu instid0(VALU_DEP_1) | instskip(NEXT) | instid1(VALU_DEP_2)
	v_pk_fma_f32 v[90:91], v[86:87], v[70:71], v[90:91] op_sel_hi:[1,1,0] neg_lo:[0,0,1] neg_hi:[0,0,1]
	v_pk_fma_f32 v[86:87], v[86:87], v[70:71], v[92:93] op_sel:[1,0,0] op_sel_hi:[0,1,0]
	s_delay_alu instid0(VALU_DEP_1) | instskip(SKIP_1) | instid1(VALU_DEP_2)
	v_mov_b32_e32 v91, v87
	v_pk_mul_f32 v[86:87], v[88:89], v[78:79] op_sel:[0,1]
	v_pk_add_f32 v[60:61], v[60:61], v[90:91] neg_lo:[0,1] neg_hi:[0,1]
	s_delay_alu instid0(VALU_DEP_2) | instskip(SKIP_1) | instid1(VALU_DEP_1)
	v_pk_fma_f32 v[90:91], v[88:89], v[76:77], v[86:87] op_sel:[0,0,1] op_sel_hi:[1,1,0] neg_lo:[0,0,1] neg_hi:[0,0,1]
	v_pk_fma_f32 v[86:87], v[88:89], v[76:77], v[86:87] op_sel:[0,0,1] op_sel_hi:[1,0,0]
	v_mov_b32_e32 v91, v87
	ds_load_2addr_b64 v[86:89], v80 offset0:22 offset1:23
	v_pk_add_f32 v[58:59], v[58:59], v[90:91] neg_lo:[0,1] neg_hi:[0,1]
	s_wait_dscnt 0x0
	v_pk_mul_f32 v[90:91], v[86:87], v[78:79] op_sel:[0,1]
	s_delay_alu instid0(VALU_DEP_1) | instskip(SKIP_1) | instid1(VALU_DEP_1)
	v_pk_fma_f32 v[92:93], v[86:87], v[76:77], v[90:91] op_sel:[0,0,1] op_sel_hi:[1,1,0] neg_lo:[0,0,1] neg_hi:[0,0,1]
	v_pk_fma_f32 v[86:87], v[86:87], v[76:77], v[90:91] op_sel:[0,0,1] op_sel_hi:[1,0,0]
	v_mov_b32_e32 v93, v87
	v_pk_mul_f32 v[86:87], v[88:89], v[78:79] op_sel:[0,1]
	s_delay_alu instid0(VALU_DEP_2) | instskip(NEXT) | instid1(VALU_DEP_2)
	v_pk_add_f32 v[32:33], v[32:33], v[92:93] neg_lo:[0,1] neg_hi:[0,1]
	v_pk_fma_f32 v[90:91], v[88:89], v[76:77], v[86:87] op_sel:[0,0,1] op_sel_hi:[1,1,0] neg_lo:[0,0,1] neg_hi:[0,0,1]
	v_pk_fma_f32 v[86:87], v[88:89], v[76:77], v[86:87] op_sel:[0,0,1] op_sel_hi:[1,0,0]
	s_delay_alu instid0(VALU_DEP_1) | instskip(SKIP_4) | instid1(VALU_DEP_1)
	v_mov_b32_e32 v91, v87
	ds_load_2addr_b64 v[86:89], v80 offset0:24 offset1:25
	v_pk_add_f32 v[30:31], v[30:31], v[90:91] neg_lo:[0,1] neg_hi:[0,1]
	s_wait_dscnt 0x0
	v_pk_mul_f32 v[90:91], v[86:87], v[78:79] op_sel:[0,1]
	v_pk_fma_f32 v[92:93], v[86:87], v[76:77], v[90:91] op_sel:[0,0,1] op_sel_hi:[1,1,0] neg_lo:[0,0,1] neg_hi:[0,0,1]
	v_pk_fma_f32 v[86:87], v[86:87], v[76:77], v[90:91] op_sel:[0,0,1] op_sel_hi:[1,0,0]
	v_dual_mul_f32 v90, v89, v79 :: v_dual_mov_b32 v86, v89
	s_delay_alu instid0(VALU_DEP_2) | instskip(NEXT) | instid1(VALU_DEP_2)
	v_dual_mov_b32 v93, v87 :: v_dual_mov_b32 v87, v88
	v_pk_fma_f32 v[90:91], v[88:89], v[70:71], v[90:91] op_sel_hi:[1,1,0] neg_lo:[0,0,1] neg_hi:[0,0,1]
	v_mul_f32_e32 v88, v89, v76
	s_delay_alu instid0(VALU_DEP_3) | instskip(NEXT) | instid1(VALU_DEP_2)
	v_pk_add_f32 v[68:69], v[68:69], v[92:93] neg_lo:[0,1] neg_hi:[0,1]
	v_pk_fma_f32 v[86:87], v[86:87], v[70:71], v[88:89] op_sel_hi:[1,1,0]
	s_delay_alu instid0(VALU_DEP_1) | instskip(SKIP_4) | instid1(VALU_DEP_1)
	v_mov_b32_e32 v91, v87
	ds_load_2addr_b64 v[86:89], v80 offset0:26 offset1:27
	v_pk_add_f32 v[66:67], v[66:67], v[90:91] neg_lo:[0,1] neg_hi:[0,1]
	s_wait_dscnt 0x0
	v_pk_mul_f32 v[90:91], v[86:87], v[78:79] op_sel:[0,1]
	v_pk_fma_f32 v[92:93], v[86:87], v[76:77], v[90:91] op_sel:[0,0,1] op_sel_hi:[1,1,0] neg_lo:[0,0,1] neg_hi:[0,0,1]
	v_pk_fma_f32 v[86:87], v[86:87], v[76:77], v[90:91] op_sel:[0,0,1] op_sel_hi:[1,0,0]
	s_delay_alu instid0(VALU_DEP_1) | instskip(SKIP_1) | instid1(VALU_DEP_1)
	v_mov_b32_e32 v93, v87
	v_pk_mul_f32 v[86:87], v[88:89], v[78:79] op_sel:[0,1]
	v_pk_fma_f32 v[90:91], v[88:89], v[76:77], v[86:87] op_sel:[0,0,1] op_sel_hi:[1,1,0] neg_lo:[0,0,1] neg_hi:[0,0,1]
	v_pk_fma_f32 v[86:87], v[88:89], v[76:77], v[86:87] op_sel:[0,0,1] op_sel_hi:[1,0,0]
	s_delay_alu instid0(VALU_DEP_1)
	v_mov_b32_e32 v91, v87
	ds_load_2addr_b64 v[86:89], v80 offset0:28 offset1:29
	v_pk_add_f32 v[42:43], v[42:43], v[92:93] neg_lo:[0,1] neg_hi:[0,1]
	v_pk_add_f32 v[40:41], v[40:41], v[90:91] neg_lo:[0,1] neg_hi:[0,1]
	s_wait_dscnt 0x0
	v_pk_mul_f32 v[90:91], v[86:87], v[78:79] op_sel:[0,1]
	s_delay_alu instid0(VALU_DEP_1) | instskip(SKIP_1) | instid1(VALU_DEP_1)
	v_pk_fma_f32 v[92:93], v[86:87], v[76:77], v[90:91] op_sel:[0,0,1] op_sel_hi:[1,1,0] neg_lo:[0,0,1] neg_hi:[0,0,1]
	v_pk_fma_f32 v[86:87], v[86:87], v[76:77], v[90:91] op_sel:[0,0,1] op_sel_hi:[1,0,0]
	v_mov_b32_e32 v93, v87
	v_pk_mul_f32 v[86:87], v[88:89], v[78:79] op_sel:[0,1]
	s_delay_alu instid0(VALU_DEP_1) | instskip(SKIP_1) | instid1(VALU_DEP_1)
	v_pk_fma_f32 v[90:91], v[88:89], v[76:77], v[86:87] op_sel:[0,0,1] op_sel_hi:[1,1,0] neg_lo:[0,0,1] neg_hi:[0,0,1]
	v_pk_fma_f32 v[86:87], v[88:89], v[76:77], v[86:87] op_sel:[0,0,1] op_sel_hi:[1,0,0]
	v_mov_b32_e32 v91, v87
	ds_load_2addr_b64 v[86:89], v80 offset0:30 offset1:31
	v_pk_add_f32 v[64:65], v[64:65], v[92:93] neg_lo:[0,1] neg_hi:[0,1]
	v_pk_add_f32 v[62:63], v[62:63], v[90:91] neg_lo:[0,1] neg_hi:[0,1]
	s_wait_dscnt 0x0
	v_dual_mul_f32 v90, v87, v79 :: v_dual_mul_f32 v92, v87, v76
	s_delay_alu instid0(VALU_DEP_1) | instskip(NEXT) | instid1(VALU_DEP_2)
	v_pk_fma_f32 v[90:91], v[86:87], v[70:71], v[90:91] op_sel_hi:[1,1,0] neg_lo:[0,0,1] neg_hi:[0,0,1]
	v_pk_fma_f32 v[86:87], v[86:87], v[70:71], v[92:93] op_sel:[1,0,0] op_sel_hi:[0,1,0]
	s_delay_alu instid0(VALU_DEP_1) | instskip(SKIP_1) | instid1(VALU_DEP_2)
	v_mov_b32_e32 v91, v87
	v_pk_mul_f32 v[86:87], v[88:89], v[78:79] op_sel:[0,1]
	v_pk_add_f32 v[46:47], v[46:47], v[90:91] neg_lo:[0,1] neg_hi:[0,1]
	s_delay_alu instid0(VALU_DEP_2) | instskip(SKIP_1) | instid1(VALU_DEP_1)
	v_pk_fma_f32 v[90:91], v[88:89], v[76:77], v[86:87] op_sel:[0,0,1] op_sel_hi:[1,1,0] neg_lo:[0,0,1] neg_hi:[0,0,1]
	v_pk_fma_f32 v[86:87], v[88:89], v[76:77], v[86:87] op_sel:[0,0,1] op_sel_hi:[1,0,0]
	v_mov_b32_e32 v91, v87
	ds_load_2addr_b64 v[86:89], v80 offset0:32 offset1:33
	v_pk_add_f32 v[44:45], v[44:45], v[90:91] neg_lo:[0,1] neg_hi:[0,1]
	s_wait_dscnt 0x0
	v_pk_mul_f32 v[90:91], v[86:87], v[78:79] op_sel:[0,1]
	s_delay_alu instid0(VALU_DEP_1) | instskip(SKIP_1) | instid1(VALU_DEP_1)
	v_pk_fma_f32 v[92:93], v[86:87], v[76:77], v[90:91] op_sel:[0,0,1] op_sel_hi:[1,1,0] neg_lo:[0,0,1] neg_hi:[0,0,1]
	v_pk_fma_f32 v[86:87], v[86:87], v[76:77], v[90:91] op_sel:[0,0,1] op_sel_hi:[1,0,0]
	v_mov_b32_e32 v93, v87
	v_pk_mul_f32 v[86:87], v[88:89], v[78:79] op_sel:[0,1]
	s_delay_alu instid0(VALU_DEP_2) | instskip(NEXT) | instid1(VALU_DEP_2)
	v_pk_add_f32 v[54:55], v[54:55], v[92:93] neg_lo:[0,1] neg_hi:[0,1]
	v_pk_fma_f32 v[90:91], v[88:89], v[76:77], v[86:87] op_sel:[0,0,1] op_sel_hi:[1,1,0] neg_lo:[0,0,1] neg_hi:[0,0,1]
	v_pk_fma_f32 v[86:87], v[88:89], v[76:77], v[86:87] op_sel:[0,0,1] op_sel_hi:[1,0,0]
	s_delay_alu instid0(VALU_DEP_1) | instskip(SKIP_4) | instid1(VALU_DEP_1)
	v_mov_b32_e32 v91, v87
	ds_load_b64 v[86:87], v80 offset:272
	v_pk_add_f32 v[52:53], v[52:53], v[90:91] neg_lo:[0,1] neg_hi:[0,1]
	s_wait_dscnt 0x0
	v_pk_mul_f32 v[78:79], v[86:87], v[78:79] op_sel:[0,1]
	v_pk_fma_f32 v[88:89], v[86:87], v[76:77], v[78:79] op_sel:[0,0,1] op_sel_hi:[1,1,0] neg_lo:[0,0,1] neg_hi:[0,0,1]
	v_pk_fma_f32 v[76:77], v[86:87], v[76:77], v[78:79] op_sel:[0,0,1] op_sel_hi:[1,0,0]
	s_delay_alu instid0(VALU_DEP_1) | instskip(NEXT) | instid1(VALU_DEP_1)
	v_mov_b32_e32 v89, v77
	v_pk_add_f32 v[74:75], v[74:75], v[88:89] neg_lo:[0,1] neg_hi:[0,1]
.LBB68_41:
	s_or_b32 exec_lo, exec_lo, s0
	v_lshl_add_u32 v76, v84, 3, v80
	s_barrier_signal -1
	s_barrier_wait -1
	ds_store_b64 v76, v[56:57]
	s_wait_dscnt 0x0
	s_barrier_signal -1
	s_barrier_wait -1
	ds_load_b64 v[78:79], v80 offset:16
	v_mov_b32_e32 v76, 2
	s_cmp_lt_i32 s14, 4
	s_mov_b32 s0, 3
	s_cbranch_scc1 .LBB68_44
; %bb.42:
	v_add3_u32 v77, v81, 0, 24
	v_mov_b32_e32 v76, 2
.LBB68_43:                              ; =>This Inner Loop Header: Depth=1
	ds_load_b64 v[86:87], v77
	s_wait_dscnt 0x1
	v_cmp_gt_f32_e32 vcc_lo, 0, v78
	v_cndmask_b32_e64 v88, v78, -v78, vcc_lo
	v_cmp_gt_f32_e32 vcc_lo, 0, v79
	v_cndmask_b32_e64 v90, v79, -v79, vcc_lo
	s_wait_dscnt 0x0
	v_cmp_gt_f32_e32 vcc_lo, 0, v86
	v_cndmask_b32_e64 v89, v86, -v86, vcc_lo
	v_cmp_gt_f32_e32 vcc_lo, 0, v87
	v_cndmask_b32_e64 v91, v87, -v87, vcc_lo
	s_delay_alu instid0(VALU_DEP_1) | instskip(NEXT) | instid1(VALU_DEP_1)
	v_pk_add_f32 v[88:89], v[88:89], v[90:91]
	v_cmp_lt_f32_e32 vcc_lo, v88, v89
	v_dual_add_nc_u32 v77, 8, v77 :: v_dual_cndmask_b32 v79, v79, v87, vcc_lo
	v_cndmask_b32_e32 v78, v78, v86, vcc_lo
	v_cndmask_b32_e64 v76, v76, s0, vcc_lo
	s_add_co_i32 s0, s0, 1
	s_delay_alu instid0(SALU_CYCLE_1)
	s_cmp_lg_u32 s14, s0
	s_cbranch_scc1 .LBB68_43
.LBB68_44:
	s_wait_dscnt 0x0
	v_cmp_eq_f32_e32 vcc_lo, 0, v78
	v_cmp_eq_f32_e64 s0, 0, v79
	s_and_b32 s0, vcc_lo, s0
	s_delay_alu instid0(SALU_CYCLE_1) | instskip(NEXT) | instid1(SALU_CYCLE_1)
	s_and_saveexec_b32 s1, s0
	s_xor_b32 s0, exec_lo, s1
; %bb.45:
	v_cmp_ne_u32_e32 vcc_lo, 0, v82
	v_cndmask_b32_e32 v82, 3, v82, vcc_lo
; %bb.46:
	s_and_not1_saveexec_b32 s0, s0
	s_cbranch_execz .LBB68_52
; %bb.47:
	v_cmp_ngt_f32_e64 s1, |v78|, |v79|
	s_and_saveexec_b32 s15, s1
	s_delay_alu instid0(SALU_CYCLE_1)
	s_xor_b32 s1, exec_lo, s15
	s_cbranch_execz .LBB68_49
; %bb.48:
	v_div_scale_f32 v77, null, v79, v79, v78
	v_div_scale_f32 v87, vcc_lo, v78, v79, v78
	s_delay_alu instid0(VALU_DEP_2) | instskip(SKIP_1) | instid1(TRANS32_DEP_1)
	v_rcp_f32_e32 v85, v77
	v_nop
	v_fma_f32 v86, -v77, v85, 1.0
	s_delay_alu instid0(VALU_DEP_1) | instskip(NEXT) | instid1(VALU_DEP_1)
	v_fmac_f32_e32 v85, v86, v85
	v_mul_f32_e32 v86, v87, v85
	s_delay_alu instid0(VALU_DEP_1) | instskip(NEXT) | instid1(VALU_DEP_1)
	v_fma_f32 v88, -v77, v86, v87
	v_fmac_f32_e32 v86, v88, v85
	s_delay_alu instid0(VALU_DEP_1) | instskip(NEXT) | instid1(VALU_DEP_1)
	v_fma_f32 v77, -v77, v86, v87
	v_div_fmas_f32 v77, v77, v85, v86
	s_delay_alu instid0(VALU_DEP_1) | instskip(NEXT) | instid1(VALU_DEP_1)
	v_div_fixup_f32 v77, v77, v79, v78
	v_fmac_f32_e32 v79, v78, v77
	s_delay_alu instid0(VALU_DEP_1) | instskip(SKIP_1) | instid1(VALU_DEP_2)
	v_div_scale_f32 v78, null, v79, v79, 1.0
	v_div_scale_f32 v87, vcc_lo, 1.0, v79, 1.0
	v_rcp_f32_e32 v85, v78
	v_nop
	s_delay_alu instid0(TRANS32_DEP_1) | instskip(NEXT) | instid1(VALU_DEP_1)
	v_fma_f32 v86, -v78, v85, 1.0
	v_fmac_f32_e32 v85, v86, v85
	s_delay_alu instid0(VALU_DEP_1) | instskip(NEXT) | instid1(VALU_DEP_1)
	v_mul_f32_e32 v86, v87, v85
	v_fma_f32 v88, -v78, v86, v87
	s_delay_alu instid0(VALU_DEP_1) | instskip(NEXT) | instid1(VALU_DEP_1)
	v_fmac_f32_e32 v86, v88, v85
	v_fma_f32 v78, -v78, v86, v87
	s_delay_alu instid0(VALU_DEP_1) | instskip(NEXT) | instid1(VALU_DEP_1)
	v_div_fmas_f32 v78, v78, v85, v86
	v_div_fixup_f32 v79, v78, v79, 1.0
	s_delay_alu instid0(VALU_DEP_1)
	v_mul_f32_e32 v78, v77, v79
	v_xor_b32_e32 v79, 0x80000000, v79
.LBB68_49:
	s_and_not1_saveexec_b32 s1, s1
	s_cbranch_execz .LBB68_51
; %bb.50:
	s_delay_alu instid0(VALU_DEP_1) | instskip(SKIP_1) | instid1(VALU_DEP_2)
	v_div_scale_f32 v77, null, v78, v78, v79
	v_div_scale_f32 v87, vcc_lo, v79, v78, v79
	v_rcp_f32_e32 v85, v77
	v_nop
	s_delay_alu instid0(TRANS32_DEP_1) | instskip(NEXT) | instid1(VALU_DEP_1)
	v_fma_f32 v86, -v77, v85, 1.0
	v_fmac_f32_e32 v85, v86, v85
	s_delay_alu instid0(VALU_DEP_1) | instskip(NEXT) | instid1(VALU_DEP_1)
	v_mul_f32_e32 v86, v87, v85
	v_fma_f32 v88, -v77, v86, v87
	s_delay_alu instid0(VALU_DEP_1) | instskip(NEXT) | instid1(VALU_DEP_1)
	v_fmac_f32_e32 v86, v88, v85
	v_fma_f32 v77, -v77, v86, v87
	s_delay_alu instid0(VALU_DEP_1) | instskip(NEXT) | instid1(VALU_DEP_1)
	v_div_fmas_f32 v77, v77, v85, v86
	v_div_fixup_f32 v77, v77, v78, v79
	s_delay_alu instid0(VALU_DEP_1) | instskip(NEXT) | instid1(VALU_DEP_1)
	v_fmac_f32_e32 v78, v79, v77
	v_div_scale_f32 v79, null, v78, v78, 1.0
	s_delay_alu instid0(VALU_DEP_1) | instskip(SKIP_1) | instid1(TRANS32_DEP_1)
	v_rcp_f32_e32 v85, v79
	v_nop
	v_fma_f32 v86, -v79, v85, 1.0
	s_delay_alu instid0(VALU_DEP_1) | instskip(SKIP_1) | instid1(VALU_DEP_1)
	v_fmac_f32_e32 v85, v86, v85
	v_div_scale_f32 v86, vcc_lo, 1.0, v78, 1.0
	v_mul_f32_e32 v87, v86, v85
	s_delay_alu instid0(VALU_DEP_1) | instskip(NEXT) | instid1(VALU_DEP_1)
	v_fma_f32 v88, -v79, v87, v86
	v_fmac_f32_e32 v87, v88, v85
	s_delay_alu instid0(VALU_DEP_1) | instskip(NEXT) | instid1(VALU_DEP_1)
	v_fma_f32 v79, -v79, v87, v86
	v_div_fmas_f32 v79, v79, v85, v87
	s_delay_alu instid0(VALU_DEP_1) | instskip(NEXT) | instid1(VALU_DEP_1)
	v_div_fixup_f32 v78, v79, v78, 1.0
	v_mul_f32_e64 v79, v77, -v78
.LBB68_51:
	s_or_b32 exec_lo, exec_lo, s1
.LBB68_52:
	s_delay_alu instid0(SALU_CYCLE_1) | instskip(NEXT) | instid1(SALU_CYCLE_1)
	s_or_b32 exec_lo, exec_lo, s0
	s_mov_b32 s0, exec_lo
	v_cmpx_ne_u32_e64 v84, v76
	s_xor_b32 s0, exec_lo, s0
	s_cbranch_execz .LBB68_58
; %bb.53:
	s_mov_b32 s1, exec_lo
	v_cmpx_eq_u32_e32 2, v84
	s_cbranch_execz .LBB68_57
; %bb.54:
	v_cmp_ne_u32_e32 vcc_lo, 2, v76
	s_xor_b32 s15, s12, -1
	s_delay_alu instid0(SALU_CYCLE_1) | instskip(NEXT) | instid1(SALU_CYCLE_1)
	s_and_b32 s16, s15, vcc_lo
	s_and_saveexec_b32 s15, s16
	s_cbranch_execz .LBB68_56
; %bb.55:
	v_ashrrev_i32_e32 v77, 31, v76
	s_delay_alu instid0(VALU_DEP_1)
	v_lshl_add_u64 v[84:85], v[76:77], 2, v[4:5]
	s_clause 0x1
	global_load_b32 v77, v[84:85], off
	global_load_b32 v83, v[4:5], off offset:8
	s_wait_loadcnt 0x1
	global_store_b32 v[4:5], v77, off offset:8
	s_wait_loadcnt 0x0
	global_store_b32 v[84:85], v83, off
.LBB68_56:
	s_wait_xcnt 0x0
	s_or_b32 exec_lo, exec_lo, s15
	v_dual_mov_b32 v84, v76 :: v_dual_mov_b32 v83, v76
.LBB68_57:
	s_or_b32 exec_lo, exec_lo, s1
.LBB68_58:
	s_and_not1_saveexec_b32 s0, s0
	s_cbranch_execz .LBB68_60
; %bb.59:
	v_mov_b32_e32 v84, 2
	ds_store_2addr_b64 v80, v[38:39], v[20:21] offset0:3 offset1:4
	ds_store_2addr_b64 v80, v[18:19], v[8:9] offset0:5 offset1:6
	;; [unrolled: 1-line block ×16, first 2 shown]
.LBB68_60:
	s_or_b32 exec_lo, exec_lo, s0
	s_delay_alu instid0(SALU_CYCLE_1)
	s_mov_b32 s0, exec_lo
	s_wait_storecnt_dscnt 0x0
	s_barrier_signal -1
	s_barrier_wait -1
	v_cmpx_lt_i32_e32 2, v84
	s_cbranch_execz .LBB68_62
; %bb.61:
	v_pk_mul_f32 v[86:87], v[78:79], v[56:57] op_sel:[1,1] op_sel_hi:[0,1]
	s_delay_alu instid0(VALU_DEP_1)
	v_pk_fma_f32 v[76:77], v[78:79], v[56:57], v[86:87] op_sel_hi:[1,0,1] neg_lo:[0,0,1] neg_hi:[0,0,1]
	v_pk_fma_f32 v[78:79], v[78:79], v[56:57], v[86:87] op_sel_hi:[1,0,1]
	ds_load_2addr_b64 v[86:89], v80 offset0:3 offset1:4
	v_dual_mov_b32 v56, v76 :: v_dual_mov_b32 v57, v79
	s_wait_dscnt 0x0
	v_pk_mul_f32 v[90:91], v[86:87], v[78:79] op_sel:[0,1]
	s_delay_alu instid0(VALU_DEP_1) | instskip(SKIP_1) | instid1(VALU_DEP_1)
	v_pk_fma_f32 v[92:93], v[86:87], v[76:77], v[90:91] op_sel:[0,0,1] op_sel_hi:[1,1,0] neg_lo:[0,0,1] neg_hi:[0,0,1]
	v_pk_fma_f32 v[86:87], v[86:87], v[76:77], v[90:91] op_sel:[0,0,1] op_sel_hi:[1,0,0]
	v_mov_b32_e32 v93, v87
	v_pk_mul_f32 v[86:87], v[88:89], v[78:79] op_sel:[0,1]
	s_delay_alu instid0(VALU_DEP_1) | instskip(SKIP_1) | instid1(VALU_DEP_1)
	v_pk_fma_f32 v[90:91], v[88:89], v[76:77], v[86:87] op_sel:[0,0,1] op_sel_hi:[1,1,0] neg_lo:[0,0,1] neg_hi:[0,0,1]
	v_pk_fma_f32 v[86:87], v[88:89], v[76:77], v[86:87] op_sel:[0,0,1] op_sel_hi:[1,0,0]
	v_mov_b32_e32 v91, v87
	ds_load_2addr_b64 v[86:89], v80 offset0:5 offset1:6
	v_pk_add_f32 v[38:39], v[38:39], v[92:93] neg_lo:[0,1] neg_hi:[0,1]
	v_pk_add_f32 v[20:21], v[20:21], v[90:91] neg_lo:[0,1] neg_hi:[0,1]
	s_wait_dscnt 0x0
	v_pk_mul_f32 v[90:91], v[86:87], v[78:79] op_sel:[0,1]
	s_delay_alu instid0(VALU_DEP_1) | instskip(SKIP_2) | instid1(VALU_DEP_2)
	v_pk_fma_f32 v[92:93], v[86:87], v[76:77], v[90:91] op_sel:[0,0,1] op_sel_hi:[1,1,0] neg_lo:[0,0,1] neg_hi:[0,0,1]
	v_pk_fma_f32 v[86:87], v[86:87], v[76:77], v[90:91] op_sel:[0,0,1] op_sel_hi:[1,0,0]
	v_dual_mul_f32 v90, v89, v79 :: v_dual_mov_b32 v86, v89
	v_dual_mov_b32 v93, v87 :: v_dual_mov_b32 v87, v88
	s_delay_alu instid0(VALU_DEP_2) | instskip(SKIP_1) | instid1(VALU_DEP_3)
	v_pk_fma_f32 v[90:91], v[88:89], v[56:57], v[90:91] op_sel_hi:[1,1,0] neg_lo:[0,0,1] neg_hi:[0,0,1]
	v_mul_f32_e32 v88, v89, v76
	v_pk_add_f32 v[18:19], v[18:19], v[92:93] neg_lo:[0,1] neg_hi:[0,1]
	s_delay_alu instid0(VALU_DEP_2) | instskip(NEXT) | instid1(VALU_DEP_1)
	v_pk_fma_f32 v[86:87], v[86:87], v[56:57], v[88:89] op_sel_hi:[1,1,0]
	v_mov_b32_e32 v91, v87
	ds_load_2addr_b64 v[86:89], v80 offset0:7 offset1:8
	v_pk_add_f32 v[8:9], v[8:9], v[90:91] neg_lo:[0,1] neg_hi:[0,1]
	s_wait_dscnt 0x0
	v_pk_mul_f32 v[90:91], v[86:87], v[78:79] op_sel:[0,1]
	s_delay_alu instid0(VALU_DEP_1) | instskip(SKIP_1) | instid1(VALU_DEP_1)
	v_pk_fma_f32 v[92:93], v[86:87], v[76:77], v[90:91] op_sel:[0,0,1] op_sel_hi:[1,1,0] neg_lo:[0,0,1] neg_hi:[0,0,1]
	v_pk_fma_f32 v[86:87], v[86:87], v[76:77], v[90:91] op_sel:[0,0,1] op_sel_hi:[1,0,0]
	v_mov_b32_e32 v93, v87
	v_pk_mul_f32 v[86:87], v[88:89], v[78:79] op_sel:[0,1]
	s_delay_alu instid0(VALU_DEP_1) | instskip(SKIP_1) | instid1(VALU_DEP_1)
	v_pk_fma_f32 v[90:91], v[88:89], v[76:77], v[86:87] op_sel:[0,0,1] op_sel_hi:[1,1,0] neg_lo:[0,0,1] neg_hi:[0,0,1]
	v_pk_fma_f32 v[86:87], v[88:89], v[76:77], v[86:87] op_sel:[0,0,1] op_sel_hi:[1,0,0]
	v_mov_b32_e32 v91, v87
	ds_load_2addr_b64 v[86:89], v80 offset0:9 offset1:10
	v_pk_add_f32 v[6:7], v[6:7], v[92:93] neg_lo:[0,1] neg_hi:[0,1]
	v_pk_add_f32 v[28:29], v[28:29], v[90:91] neg_lo:[0,1] neg_hi:[0,1]
	s_wait_dscnt 0x0
	v_pk_mul_f32 v[90:91], v[86:87], v[78:79] op_sel:[0,1]
	s_delay_alu instid0(VALU_DEP_1) | instskip(SKIP_1) | instid1(VALU_DEP_1)
	v_pk_fma_f32 v[92:93], v[86:87], v[76:77], v[90:91] op_sel:[0,0,1] op_sel_hi:[1,1,0] neg_lo:[0,0,1] neg_hi:[0,0,1]
	v_pk_fma_f32 v[86:87], v[86:87], v[76:77], v[90:91] op_sel:[0,0,1] op_sel_hi:[1,0,0]
	v_mov_b32_e32 v93, v87
	v_pk_mul_f32 v[86:87], v[88:89], v[78:79] op_sel:[0,1]
	s_delay_alu instid0(VALU_DEP_1) | instskip(SKIP_1) | instid1(VALU_DEP_1)
	v_pk_fma_f32 v[90:91], v[88:89], v[76:77], v[86:87] op_sel:[0,0,1] op_sel_hi:[1,1,0] neg_lo:[0,0,1] neg_hi:[0,0,1]
	v_pk_fma_f32 v[86:87], v[88:89], v[76:77], v[86:87] op_sel:[0,0,1] op_sel_hi:[1,0,0]
	v_mov_b32_e32 v91, v87
	ds_load_2addr_b64 v[86:89], v80 offset0:11 offset1:12
	v_pk_add_f32 v[26:27], v[26:27], v[92:93] neg_lo:[0,1] neg_hi:[0,1]
	v_pk_add_f32 v[12:13], v[12:13], v[90:91] neg_lo:[0,1] neg_hi:[0,1]
	s_wait_dscnt 0x0
	v_dual_mul_f32 v90, v87, v79 :: v_dual_mul_f32 v92, v87, v76
	s_delay_alu instid0(VALU_DEP_1) | instskip(NEXT) | instid1(VALU_DEP_2)
	v_pk_fma_f32 v[90:91], v[86:87], v[56:57], v[90:91] op_sel_hi:[1,1,0] neg_lo:[0,0,1] neg_hi:[0,0,1]
	v_pk_fma_f32 v[86:87], v[86:87], v[56:57], v[92:93] op_sel:[1,0,0] op_sel_hi:[0,1,0]
	s_delay_alu instid0(VALU_DEP_1) | instskip(SKIP_1) | instid1(VALU_DEP_2)
	v_mov_b32_e32 v91, v87
	v_pk_mul_f32 v[86:87], v[88:89], v[78:79] op_sel:[0,1]
	v_pk_add_f32 v[10:11], v[10:11], v[90:91] neg_lo:[0,1] neg_hi:[0,1]
	s_delay_alu instid0(VALU_DEP_2) | instskip(SKIP_1) | instid1(VALU_DEP_1)
	v_pk_fma_f32 v[90:91], v[88:89], v[76:77], v[86:87] op_sel:[0,0,1] op_sel_hi:[1,1,0] neg_lo:[0,0,1] neg_hi:[0,0,1]
	v_pk_fma_f32 v[86:87], v[88:89], v[76:77], v[86:87] op_sel:[0,0,1] op_sel_hi:[1,0,0]
	v_mov_b32_e32 v91, v87
	ds_load_2addr_b64 v[86:89], v80 offset0:13 offset1:14
	v_pk_add_f32 v[36:37], v[36:37], v[90:91] neg_lo:[0,1] neg_hi:[0,1]
	s_wait_dscnt 0x0
	v_pk_mul_f32 v[90:91], v[86:87], v[78:79] op_sel:[0,1]
	s_delay_alu instid0(VALU_DEP_1) | instskip(SKIP_1) | instid1(VALU_DEP_1)
	v_pk_fma_f32 v[92:93], v[86:87], v[76:77], v[90:91] op_sel:[0,0,1] op_sel_hi:[1,1,0] neg_lo:[0,0,1] neg_hi:[0,0,1]
	v_pk_fma_f32 v[86:87], v[86:87], v[76:77], v[90:91] op_sel:[0,0,1] op_sel_hi:[1,0,0]
	v_mov_b32_e32 v93, v87
	v_pk_mul_f32 v[86:87], v[88:89], v[78:79] op_sel:[0,1]
	s_delay_alu instid0(VALU_DEP_2) | instskip(NEXT) | instid1(VALU_DEP_2)
	v_pk_add_f32 v[34:35], v[34:35], v[92:93] neg_lo:[0,1] neg_hi:[0,1]
	v_pk_fma_f32 v[90:91], v[88:89], v[76:77], v[86:87] op_sel:[0,0,1] op_sel_hi:[1,1,0] neg_lo:[0,0,1] neg_hi:[0,0,1]
	v_pk_fma_f32 v[86:87], v[88:89], v[76:77], v[86:87] op_sel:[0,0,1] op_sel_hi:[1,0,0]
	s_delay_alu instid0(VALU_DEP_1) | instskip(SKIP_4) | instid1(VALU_DEP_1)
	v_mov_b32_e32 v91, v87
	ds_load_2addr_b64 v[86:89], v80 offset0:15 offset1:16
	v_pk_add_f32 v[16:17], v[16:17], v[90:91] neg_lo:[0,1] neg_hi:[0,1]
	s_wait_dscnt 0x0
	v_pk_mul_f32 v[90:91], v[86:87], v[78:79] op_sel:[0,1]
	v_pk_fma_f32 v[92:93], v[86:87], v[76:77], v[90:91] op_sel:[0,0,1] op_sel_hi:[1,1,0] neg_lo:[0,0,1] neg_hi:[0,0,1]
	v_pk_fma_f32 v[86:87], v[86:87], v[76:77], v[90:91] op_sel:[0,0,1] op_sel_hi:[1,0,0]
	v_dual_mul_f32 v90, v89, v79 :: v_dual_mov_b32 v86, v89
	s_delay_alu instid0(VALU_DEP_2) | instskip(NEXT) | instid1(VALU_DEP_2)
	v_dual_mov_b32 v93, v87 :: v_dual_mov_b32 v87, v88
	v_pk_fma_f32 v[90:91], v[88:89], v[56:57], v[90:91] op_sel_hi:[1,1,0] neg_lo:[0,0,1] neg_hi:[0,0,1]
	v_mul_f32_e32 v88, v89, v76
	s_delay_alu instid0(VALU_DEP_3) | instskip(NEXT) | instid1(VALU_DEP_2)
	v_pk_add_f32 v[14:15], v[14:15], v[92:93] neg_lo:[0,1] neg_hi:[0,1]
	v_pk_fma_f32 v[86:87], v[86:87], v[56:57], v[88:89] op_sel_hi:[1,1,0]
	s_delay_alu instid0(VALU_DEP_1) | instskip(SKIP_4) | instid1(VALU_DEP_1)
	v_mov_b32_e32 v91, v87
	ds_load_2addr_b64 v[86:89], v80 offset0:17 offset1:18
	v_pk_add_f32 v[50:51], v[50:51], v[90:91] neg_lo:[0,1] neg_hi:[0,1]
	s_wait_dscnt 0x0
	v_pk_mul_f32 v[90:91], v[86:87], v[78:79] op_sel:[0,1]
	v_pk_fma_f32 v[92:93], v[86:87], v[76:77], v[90:91] op_sel:[0,0,1] op_sel_hi:[1,1,0] neg_lo:[0,0,1] neg_hi:[0,0,1]
	v_pk_fma_f32 v[86:87], v[86:87], v[76:77], v[90:91] op_sel:[0,0,1] op_sel_hi:[1,0,0]
	s_delay_alu instid0(VALU_DEP_1) | instskip(SKIP_1) | instid1(VALU_DEP_1)
	v_mov_b32_e32 v93, v87
	v_pk_mul_f32 v[86:87], v[88:89], v[78:79] op_sel:[0,1]
	v_pk_fma_f32 v[90:91], v[88:89], v[76:77], v[86:87] op_sel:[0,0,1] op_sel_hi:[1,1,0] neg_lo:[0,0,1] neg_hi:[0,0,1]
	v_pk_fma_f32 v[86:87], v[88:89], v[76:77], v[86:87] op_sel:[0,0,1] op_sel_hi:[1,0,0]
	s_delay_alu instid0(VALU_DEP_1)
	v_mov_b32_e32 v91, v87
	ds_load_2addr_b64 v[86:89], v80 offset0:19 offset1:20
	v_pk_add_f32 v[48:49], v[48:49], v[92:93] neg_lo:[0,1] neg_hi:[0,1]
	v_pk_add_f32 v[24:25], v[24:25], v[90:91] neg_lo:[0,1] neg_hi:[0,1]
	s_wait_dscnt 0x0
	v_pk_mul_f32 v[90:91], v[86:87], v[78:79] op_sel:[0,1]
	s_delay_alu instid0(VALU_DEP_1) | instskip(SKIP_1) | instid1(VALU_DEP_1)
	v_pk_fma_f32 v[92:93], v[86:87], v[76:77], v[90:91] op_sel:[0,0,1] op_sel_hi:[1,1,0] neg_lo:[0,0,1] neg_hi:[0,0,1]
	v_pk_fma_f32 v[86:87], v[86:87], v[76:77], v[90:91] op_sel:[0,0,1] op_sel_hi:[1,0,0]
	v_mov_b32_e32 v93, v87
	v_pk_mul_f32 v[86:87], v[88:89], v[78:79] op_sel:[0,1]
	s_delay_alu instid0(VALU_DEP_1) | instskip(SKIP_1) | instid1(VALU_DEP_1)
	v_pk_fma_f32 v[90:91], v[88:89], v[76:77], v[86:87] op_sel:[0,0,1] op_sel_hi:[1,1,0] neg_lo:[0,0,1] neg_hi:[0,0,1]
	v_pk_fma_f32 v[86:87], v[88:89], v[76:77], v[86:87] op_sel:[0,0,1] op_sel_hi:[1,0,0]
	v_mov_b32_e32 v91, v87
	ds_load_2addr_b64 v[86:89], v80 offset0:21 offset1:22
	v_pk_add_f32 v[22:23], v[22:23], v[92:93] neg_lo:[0,1] neg_hi:[0,1]
	v_pk_add_f32 v[60:61], v[60:61], v[90:91] neg_lo:[0,1] neg_hi:[0,1]
	s_wait_dscnt 0x0
	v_dual_mul_f32 v90, v87, v79 :: v_dual_mul_f32 v92, v87, v76
	s_delay_alu instid0(VALU_DEP_1) | instskip(NEXT) | instid1(VALU_DEP_2)
	v_pk_fma_f32 v[90:91], v[86:87], v[56:57], v[90:91] op_sel_hi:[1,1,0] neg_lo:[0,0,1] neg_hi:[0,0,1]
	v_pk_fma_f32 v[86:87], v[86:87], v[56:57], v[92:93] op_sel:[1,0,0] op_sel_hi:[0,1,0]
	s_delay_alu instid0(VALU_DEP_1) | instskip(SKIP_1) | instid1(VALU_DEP_2)
	v_mov_b32_e32 v91, v87
	v_pk_mul_f32 v[86:87], v[88:89], v[78:79] op_sel:[0,1]
	v_pk_add_f32 v[58:59], v[58:59], v[90:91] neg_lo:[0,1] neg_hi:[0,1]
	s_delay_alu instid0(VALU_DEP_2) | instskip(SKIP_1) | instid1(VALU_DEP_1)
	v_pk_fma_f32 v[90:91], v[88:89], v[76:77], v[86:87] op_sel:[0,0,1] op_sel_hi:[1,1,0] neg_lo:[0,0,1] neg_hi:[0,0,1]
	v_pk_fma_f32 v[86:87], v[88:89], v[76:77], v[86:87] op_sel:[0,0,1] op_sel_hi:[1,0,0]
	v_mov_b32_e32 v91, v87
	ds_load_2addr_b64 v[86:89], v80 offset0:23 offset1:24
	v_pk_add_f32 v[32:33], v[32:33], v[90:91] neg_lo:[0,1] neg_hi:[0,1]
	s_wait_dscnt 0x0
	v_pk_mul_f32 v[90:91], v[86:87], v[78:79] op_sel:[0,1]
	s_delay_alu instid0(VALU_DEP_1) | instskip(SKIP_1) | instid1(VALU_DEP_1)
	v_pk_fma_f32 v[92:93], v[86:87], v[76:77], v[90:91] op_sel:[0,0,1] op_sel_hi:[1,1,0] neg_lo:[0,0,1] neg_hi:[0,0,1]
	v_pk_fma_f32 v[86:87], v[86:87], v[76:77], v[90:91] op_sel:[0,0,1] op_sel_hi:[1,0,0]
	v_mov_b32_e32 v93, v87
	v_pk_mul_f32 v[86:87], v[88:89], v[78:79] op_sel:[0,1]
	s_delay_alu instid0(VALU_DEP_2) | instskip(NEXT) | instid1(VALU_DEP_2)
	v_pk_add_f32 v[30:31], v[30:31], v[92:93] neg_lo:[0,1] neg_hi:[0,1]
	v_pk_fma_f32 v[90:91], v[88:89], v[76:77], v[86:87] op_sel:[0,0,1] op_sel_hi:[1,1,0] neg_lo:[0,0,1] neg_hi:[0,0,1]
	v_pk_fma_f32 v[86:87], v[88:89], v[76:77], v[86:87] op_sel:[0,0,1] op_sel_hi:[1,0,0]
	s_delay_alu instid0(VALU_DEP_1) | instskip(SKIP_4) | instid1(VALU_DEP_1)
	v_mov_b32_e32 v91, v87
	ds_load_2addr_b64 v[86:89], v80 offset0:25 offset1:26
	v_pk_add_f32 v[68:69], v[68:69], v[90:91] neg_lo:[0,1] neg_hi:[0,1]
	s_wait_dscnt 0x0
	v_pk_mul_f32 v[90:91], v[86:87], v[78:79] op_sel:[0,1]
	v_pk_fma_f32 v[92:93], v[86:87], v[76:77], v[90:91] op_sel:[0,0,1] op_sel_hi:[1,1,0] neg_lo:[0,0,1] neg_hi:[0,0,1]
	v_pk_fma_f32 v[86:87], v[86:87], v[76:77], v[90:91] op_sel:[0,0,1] op_sel_hi:[1,0,0]
	v_dual_mul_f32 v90, v89, v79 :: v_dual_mov_b32 v86, v89
	s_delay_alu instid0(VALU_DEP_2) | instskip(NEXT) | instid1(VALU_DEP_2)
	v_dual_mov_b32 v93, v87 :: v_dual_mov_b32 v87, v88
	v_pk_fma_f32 v[90:91], v[88:89], v[56:57], v[90:91] op_sel_hi:[1,1,0] neg_lo:[0,0,1] neg_hi:[0,0,1]
	v_mul_f32_e32 v88, v89, v76
	s_delay_alu instid0(VALU_DEP_3) | instskip(NEXT) | instid1(VALU_DEP_2)
	v_pk_add_f32 v[66:67], v[66:67], v[92:93] neg_lo:[0,1] neg_hi:[0,1]
	v_pk_fma_f32 v[86:87], v[86:87], v[56:57], v[88:89] op_sel_hi:[1,1,0]
	s_delay_alu instid0(VALU_DEP_1) | instskip(SKIP_4) | instid1(VALU_DEP_1)
	v_mov_b32_e32 v91, v87
	ds_load_2addr_b64 v[86:89], v80 offset0:27 offset1:28
	v_pk_add_f32 v[42:43], v[42:43], v[90:91] neg_lo:[0,1] neg_hi:[0,1]
	s_wait_dscnt 0x0
	v_pk_mul_f32 v[90:91], v[86:87], v[78:79] op_sel:[0,1]
	v_pk_fma_f32 v[92:93], v[86:87], v[76:77], v[90:91] op_sel:[0,0,1] op_sel_hi:[1,1,0] neg_lo:[0,0,1] neg_hi:[0,0,1]
	v_pk_fma_f32 v[86:87], v[86:87], v[76:77], v[90:91] op_sel:[0,0,1] op_sel_hi:[1,0,0]
	s_delay_alu instid0(VALU_DEP_1) | instskip(SKIP_1) | instid1(VALU_DEP_1)
	v_mov_b32_e32 v93, v87
	v_pk_mul_f32 v[86:87], v[88:89], v[78:79] op_sel:[0,1]
	v_pk_fma_f32 v[90:91], v[88:89], v[76:77], v[86:87] op_sel:[0,0,1] op_sel_hi:[1,1,0] neg_lo:[0,0,1] neg_hi:[0,0,1]
	v_pk_fma_f32 v[86:87], v[88:89], v[76:77], v[86:87] op_sel:[0,0,1] op_sel_hi:[1,0,0]
	s_delay_alu instid0(VALU_DEP_1)
	v_mov_b32_e32 v91, v87
	ds_load_2addr_b64 v[86:89], v80 offset0:29 offset1:30
	v_pk_add_f32 v[40:41], v[40:41], v[92:93] neg_lo:[0,1] neg_hi:[0,1]
	v_pk_add_f32 v[64:65], v[64:65], v[90:91] neg_lo:[0,1] neg_hi:[0,1]
	s_wait_dscnt 0x0
	v_pk_mul_f32 v[90:91], v[86:87], v[78:79] op_sel:[0,1]
	s_delay_alu instid0(VALU_DEP_1) | instskip(SKIP_1) | instid1(VALU_DEP_1)
	v_pk_fma_f32 v[92:93], v[86:87], v[76:77], v[90:91] op_sel:[0,0,1] op_sel_hi:[1,1,0] neg_lo:[0,0,1] neg_hi:[0,0,1]
	v_pk_fma_f32 v[86:87], v[86:87], v[76:77], v[90:91] op_sel:[0,0,1] op_sel_hi:[1,0,0]
	v_mov_b32_e32 v93, v87
	v_pk_mul_f32 v[86:87], v[88:89], v[78:79] op_sel:[0,1]
	s_delay_alu instid0(VALU_DEP_1) | instskip(SKIP_1) | instid1(VALU_DEP_1)
	v_pk_fma_f32 v[90:91], v[88:89], v[76:77], v[86:87] op_sel:[0,0,1] op_sel_hi:[1,1,0] neg_lo:[0,0,1] neg_hi:[0,0,1]
	v_pk_fma_f32 v[86:87], v[88:89], v[76:77], v[86:87] op_sel:[0,0,1] op_sel_hi:[1,0,0]
	v_mov_b32_e32 v91, v87
	ds_load_2addr_b64 v[86:89], v80 offset0:31 offset1:32
	v_pk_add_f32 v[62:63], v[62:63], v[92:93] neg_lo:[0,1] neg_hi:[0,1]
	v_pk_add_f32 v[46:47], v[46:47], v[90:91] neg_lo:[0,1] neg_hi:[0,1]
	s_wait_dscnt 0x0
	v_dual_mul_f32 v90, v87, v79 :: v_dual_mul_f32 v92, v87, v76
	s_delay_alu instid0(VALU_DEP_1) | instskip(NEXT) | instid1(VALU_DEP_2)
	v_pk_fma_f32 v[90:91], v[86:87], v[56:57], v[90:91] op_sel_hi:[1,1,0] neg_lo:[0,0,1] neg_hi:[0,0,1]
	v_pk_fma_f32 v[86:87], v[86:87], v[56:57], v[92:93] op_sel:[1,0,0] op_sel_hi:[0,1,0]
	s_delay_alu instid0(VALU_DEP_1) | instskip(SKIP_1) | instid1(VALU_DEP_2)
	v_mov_b32_e32 v91, v87
	v_pk_mul_f32 v[86:87], v[88:89], v[78:79] op_sel:[0,1]
	v_pk_add_f32 v[44:45], v[44:45], v[90:91] neg_lo:[0,1] neg_hi:[0,1]
	s_delay_alu instid0(VALU_DEP_2) | instskip(SKIP_1) | instid1(VALU_DEP_1)
	v_pk_fma_f32 v[90:91], v[88:89], v[76:77], v[86:87] op_sel:[0,0,1] op_sel_hi:[1,1,0] neg_lo:[0,0,1] neg_hi:[0,0,1]
	v_pk_fma_f32 v[86:87], v[88:89], v[76:77], v[86:87] op_sel:[0,0,1] op_sel_hi:[1,0,0]
	v_mov_b32_e32 v91, v87
	ds_load_2addr_b64 v[86:89], v80 offset0:33 offset1:34
	v_pk_add_f32 v[54:55], v[54:55], v[90:91] neg_lo:[0,1] neg_hi:[0,1]
	s_wait_dscnt 0x0
	v_pk_mul_f32 v[90:91], v[86:87], v[78:79] op_sel:[0,1]
	v_pk_mul_f32 v[78:79], v[88:89], v[78:79] op_sel:[0,1]
	s_delay_alu instid0(VALU_DEP_2) | instskip(SKIP_1) | instid1(VALU_DEP_1)
	v_pk_fma_f32 v[92:93], v[86:87], v[76:77], v[90:91] op_sel:[0,0,1] op_sel_hi:[1,1,0] neg_lo:[0,0,1] neg_hi:[0,0,1]
	v_pk_fma_f32 v[86:87], v[86:87], v[76:77], v[90:91] op_sel:[0,0,1] op_sel_hi:[1,0,0]
	v_mov_b32_e32 v93, v87
	s_delay_alu instid0(VALU_DEP_4) | instskip(SKIP_1) | instid1(VALU_DEP_3)
	v_pk_fma_f32 v[86:87], v[88:89], v[76:77], v[78:79] op_sel:[0,0,1] op_sel_hi:[1,1,0] neg_lo:[0,0,1] neg_hi:[0,0,1]
	v_pk_fma_f32 v[76:77], v[88:89], v[76:77], v[78:79] op_sel:[0,0,1] op_sel_hi:[1,0,0]
	v_pk_add_f32 v[52:53], v[52:53], v[92:93] neg_lo:[0,1] neg_hi:[0,1]
	s_delay_alu instid0(VALU_DEP_2) | instskip(NEXT) | instid1(VALU_DEP_1)
	v_mov_b32_e32 v87, v77
	v_pk_add_f32 v[74:75], v[74:75], v[86:87] neg_lo:[0,1] neg_hi:[0,1]
.LBB68_62:
	s_or_b32 exec_lo, exec_lo, s0
	v_lshl_add_u32 v76, v84, 3, v80
	s_barrier_signal -1
	s_barrier_wait -1
	ds_store_b64 v76, v[38:39]
	s_wait_dscnt 0x0
	s_barrier_signal -1
	s_barrier_wait -1
	ds_load_b64 v[78:79], v80 offset:24
	v_mov_b32_e32 v76, 3
	s_cmp_lt_i32 s14, 5
	s_cbranch_scc1 .LBB68_65
; %bb.63:
	v_mov_b32_e32 v76, 3
	v_add3_u32 v77, v81, 0, 32
	s_mov_b32 s0, 4
.LBB68_64:                              ; =>This Inner Loop Header: Depth=1
	ds_load_b64 v[86:87], v77
	s_wait_dscnt 0x1
	v_cmp_gt_f32_e32 vcc_lo, 0, v78
	v_cndmask_b32_e64 v88, v78, -v78, vcc_lo
	v_cmp_gt_f32_e32 vcc_lo, 0, v79
	v_cndmask_b32_e64 v90, v79, -v79, vcc_lo
	s_wait_dscnt 0x0
	v_cmp_gt_f32_e32 vcc_lo, 0, v86
	v_cndmask_b32_e64 v89, v86, -v86, vcc_lo
	v_cmp_gt_f32_e32 vcc_lo, 0, v87
	v_cndmask_b32_e64 v91, v87, -v87, vcc_lo
	s_delay_alu instid0(VALU_DEP_1) | instskip(NEXT) | instid1(VALU_DEP_1)
	v_pk_add_f32 v[88:89], v[88:89], v[90:91]
	v_cmp_lt_f32_e32 vcc_lo, v88, v89
	v_dual_add_nc_u32 v77, 8, v77 :: v_dual_cndmask_b32 v79, v79, v87, vcc_lo
	v_cndmask_b32_e32 v78, v78, v86, vcc_lo
	v_cndmask_b32_e64 v76, v76, s0, vcc_lo
	s_add_co_i32 s0, s0, 1
	s_delay_alu instid0(SALU_CYCLE_1)
	s_cmp_lg_u32 s14, s0
	s_cbranch_scc1 .LBB68_64
.LBB68_65:
	s_wait_dscnt 0x0
	v_cmp_eq_f32_e32 vcc_lo, 0, v78
	v_cmp_eq_f32_e64 s0, 0, v79
	s_and_b32 s0, vcc_lo, s0
	s_delay_alu instid0(SALU_CYCLE_1) | instskip(NEXT) | instid1(SALU_CYCLE_1)
	s_and_saveexec_b32 s1, s0
	s_xor_b32 s0, exec_lo, s1
; %bb.66:
	v_cmp_ne_u32_e32 vcc_lo, 0, v82
	v_cndmask_b32_e32 v82, 4, v82, vcc_lo
; %bb.67:
	s_and_not1_saveexec_b32 s0, s0
	s_cbranch_execz .LBB68_73
; %bb.68:
	v_cmp_ngt_f32_e64 s1, |v78|, |v79|
	s_and_saveexec_b32 s15, s1
	s_delay_alu instid0(SALU_CYCLE_1)
	s_xor_b32 s1, exec_lo, s15
	s_cbranch_execz .LBB68_70
; %bb.69:
	v_div_scale_f32 v77, null, v79, v79, v78
	v_div_scale_f32 v87, vcc_lo, v78, v79, v78
	s_delay_alu instid0(VALU_DEP_2) | instskip(SKIP_1) | instid1(TRANS32_DEP_1)
	v_rcp_f32_e32 v85, v77
	v_nop
	v_fma_f32 v86, -v77, v85, 1.0
	s_delay_alu instid0(VALU_DEP_1) | instskip(NEXT) | instid1(VALU_DEP_1)
	v_fmac_f32_e32 v85, v86, v85
	v_mul_f32_e32 v86, v87, v85
	s_delay_alu instid0(VALU_DEP_1) | instskip(NEXT) | instid1(VALU_DEP_1)
	v_fma_f32 v88, -v77, v86, v87
	v_fmac_f32_e32 v86, v88, v85
	s_delay_alu instid0(VALU_DEP_1) | instskip(NEXT) | instid1(VALU_DEP_1)
	v_fma_f32 v77, -v77, v86, v87
	v_div_fmas_f32 v77, v77, v85, v86
	s_delay_alu instid0(VALU_DEP_1) | instskip(NEXT) | instid1(VALU_DEP_1)
	v_div_fixup_f32 v77, v77, v79, v78
	v_fmac_f32_e32 v79, v78, v77
	s_delay_alu instid0(VALU_DEP_1) | instskip(SKIP_1) | instid1(VALU_DEP_2)
	v_div_scale_f32 v78, null, v79, v79, 1.0
	v_div_scale_f32 v87, vcc_lo, 1.0, v79, 1.0
	v_rcp_f32_e32 v85, v78
	v_nop
	s_delay_alu instid0(TRANS32_DEP_1) | instskip(NEXT) | instid1(VALU_DEP_1)
	v_fma_f32 v86, -v78, v85, 1.0
	v_fmac_f32_e32 v85, v86, v85
	s_delay_alu instid0(VALU_DEP_1) | instskip(NEXT) | instid1(VALU_DEP_1)
	v_mul_f32_e32 v86, v87, v85
	v_fma_f32 v88, -v78, v86, v87
	s_delay_alu instid0(VALU_DEP_1) | instskip(NEXT) | instid1(VALU_DEP_1)
	v_fmac_f32_e32 v86, v88, v85
	v_fma_f32 v78, -v78, v86, v87
	s_delay_alu instid0(VALU_DEP_1) | instskip(NEXT) | instid1(VALU_DEP_1)
	v_div_fmas_f32 v78, v78, v85, v86
	v_div_fixup_f32 v79, v78, v79, 1.0
	s_delay_alu instid0(VALU_DEP_1)
	v_mul_f32_e32 v78, v77, v79
	v_xor_b32_e32 v79, 0x80000000, v79
.LBB68_70:
	s_and_not1_saveexec_b32 s1, s1
	s_cbranch_execz .LBB68_72
; %bb.71:
	s_delay_alu instid0(VALU_DEP_1) | instskip(SKIP_1) | instid1(VALU_DEP_2)
	v_div_scale_f32 v77, null, v78, v78, v79
	v_div_scale_f32 v87, vcc_lo, v79, v78, v79
	v_rcp_f32_e32 v85, v77
	v_nop
	s_delay_alu instid0(TRANS32_DEP_1) | instskip(NEXT) | instid1(VALU_DEP_1)
	v_fma_f32 v86, -v77, v85, 1.0
	v_fmac_f32_e32 v85, v86, v85
	s_delay_alu instid0(VALU_DEP_1) | instskip(NEXT) | instid1(VALU_DEP_1)
	v_mul_f32_e32 v86, v87, v85
	v_fma_f32 v88, -v77, v86, v87
	s_delay_alu instid0(VALU_DEP_1) | instskip(NEXT) | instid1(VALU_DEP_1)
	v_fmac_f32_e32 v86, v88, v85
	v_fma_f32 v77, -v77, v86, v87
	s_delay_alu instid0(VALU_DEP_1) | instskip(NEXT) | instid1(VALU_DEP_1)
	v_div_fmas_f32 v77, v77, v85, v86
	v_div_fixup_f32 v77, v77, v78, v79
	s_delay_alu instid0(VALU_DEP_1) | instskip(NEXT) | instid1(VALU_DEP_1)
	v_fmac_f32_e32 v78, v79, v77
	v_div_scale_f32 v79, null, v78, v78, 1.0
	s_delay_alu instid0(VALU_DEP_1) | instskip(SKIP_1) | instid1(TRANS32_DEP_1)
	v_rcp_f32_e32 v85, v79
	v_nop
	v_fma_f32 v86, -v79, v85, 1.0
	s_delay_alu instid0(VALU_DEP_1) | instskip(SKIP_1) | instid1(VALU_DEP_1)
	v_fmac_f32_e32 v85, v86, v85
	v_div_scale_f32 v86, vcc_lo, 1.0, v78, 1.0
	v_mul_f32_e32 v87, v86, v85
	s_delay_alu instid0(VALU_DEP_1) | instskip(NEXT) | instid1(VALU_DEP_1)
	v_fma_f32 v88, -v79, v87, v86
	v_fmac_f32_e32 v87, v88, v85
	s_delay_alu instid0(VALU_DEP_1) | instskip(NEXT) | instid1(VALU_DEP_1)
	v_fma_f32 v79, -v79, v87, v86
	v_div_fmas_f32 v79, v79, v85, v87
	s_delay_alu instid0(VALU_DEP_1) | instskip(NEXT) | instid1(VALU_DEP_1)
	v_div_fixup_f32 v78, v79, v78, 1.0
	v_mul_f32_e64 v79, v77, -v78
.LBB68_72:
	s_or_b32 exec_lo, exec_lo, s1
.LBB68_73:
	s_delay_alu instid0(SALU_CYCLE_1) | instskip(NEXT) | instid1(SALU_CYCLE_1)
	s_or_b32 exec_lo, exec_lo, s0
	s_mov_b32 s0, exec_lo
	v_cmpx_ne_u32_e64 v84, v76
	s_xor_b32 s0, exec_lo, s0
	s_cbranch_execz .LBB68_79
; %bb.74:
	s_mov_b32 s1, exec_lo
	v_cmpx_eq_u32_e32 3, v84
	s_cbranch_execz .LBB68_78
; %bb.75:
	v_cmp_ne_u32_e32 vcc_lo, 3, v76
	s_xor_b32 s15, s12, -1
	s_delay_alu instid0(SALU_CYCLE_1) | instskip(NEXT) | instid1(SALU_CYCLE_1)
	s_and_b32 s16, s15, vcc_lo
	s_and_saveexec_b32 s15, s16
	s_cbranch_execz .LBB68_77
; %bb.76:
	v_ashrrev_i32_e32 v77, 31, v76
	s_delay_alu instid0(VALU_DEP_1)
	v_lshl_add_u64 v[84:85], v[76:77], 2, v[4:5]
	s_clause 0x1
	global_load_b32 v77, v[84:85], off
	global_load_b32 v83, v[4:5], off offset:12
	s_wait_loadcnt 0x1
	global_store_b32 v[4:5], v77, off offset:12
	s_wait_loadcnt 0x0
	global_store_b32 v[84:85], v83, off
.LBB68_77:
	s_wait_xcnt 0x0
	s_or_b32 exec_lo, exec_lo, s15
	v_dual_mov_b32 v84, v76 :: v_dual_mov_b32 v83, v76
.LBB68_78:
	s_or_b32 exec_lo, exec_lo, s1
.LBB68_79:
	s_and_not1_saveexec_b32 s0, s0
	s_cbranch_execz .LBB68_81
; %bb.80:
	v_dual_mov_b32 v76, v20 :: v_dual_mov_b32 v77, v21
	v_dual_mov_b32 v84, v18 :: v_dual_mov_b32 v85, v19
	ds_store_2addr_b64 v80, v[76:77], v[84:85] offset0:4 offset1:5
	v_dual_mov_b32 v76, v8 :: v_dual_mov_b32 v77, v9
	v_dual_mov_b32 v84, v6 :: v_dual_mov_b32 v85, v7
	ds_store_2addr_b64 v80, v[76:77], v[84:85] offset0:6 offset1:7
	;; [unrolled: 3-line block ×15, first 2 shown]
	ds_store_b64 v80, v[74:75] offset:272
	v_mov_b32_e32 v84, 3
.LBB68_81:
	s_or_b32 exec_lo, exec_lo, s0
	s_delay_alu instid0(SALU_CYCLE_1)
	s_mov_b32 s0, exec_lo
	s_wait_storecnt_dscnt 0x0
	s_barrier_signal -1
	s_barrier_wait -1
	v_cmpx_lt_i32_e32 3, v84
	s_cbranch_execz .LBB68_83
; %bb.82:
	v_pk_mul_f32 v[86:87], v[78:79], v[38:39] op_sel:[1,1] op_sel_hi:[0,1]
	s_delay_alu instid0(VALU_DEP_1)
	v_pk_fma_f32 v[76:77], v[78:79], v[38:39], v[86:87] op_sel_hi:[1,0,1] neg_lo:[0,0,1] neg_hi:[0,0,1]
	v_pk_fma_f32 v[78:79], v[78:79], v[38:39], v[86:87] op_sel_hi:[1,0,1]
	ds_load_2addr_b64 v[86:89], v80 offset0:4 offset1:5
	v_dual_mov_b32 v38, v76 :: v_dual_mov_b32 v39, v79
	s_wait_dscnt 0x0
	v_pk_mul_f32 v[90:91], v[86:87], v[78:79] op_sel:[0,1]
	s_delay_alu instid0(VALU_DEP_1) | instskip(SKIP_1) | instid1(VALU_DEP_1)
	v_pk_fma_f32 v[92:93], v[86:87], v[76:77], v[90:91] op_sel:[0,0,1] op_sel_hi:[1,1,0] neg_lo:[0,0,1] neg_hi:[0,0,1]
	v_pk_fma_f32 v[86:87], v[86:87], v[76:77], v[90:91] op_sel:[0,0,1] op_sel_hi:[1,0,0]
	v_mov_b32_e32 v93, v87
	v_pk_mul_f32 v[86:87], v[88:89], v[78:79] op_sel:[0,1]
	s_delay_alu instid0(VALU_DEP_1) | instskip(SKIP_1) | instid1(VALU_DEP_1)
	v_pk_fma_f32 v[90:91], v[88:89], v[76:77], v[86:87] op_sel:[0,0,1] op_sel_hi:[1,1,0] neg_lo:[0,0,1] neg_hi:[0,0,1]
	v_pk_fma_f32 v[86:87], v[88:89], v[76:77], v[86:87] op_sel:[0,0,1] op_sel_hi:[1,0,0]
	v_mov_b32_e32 v91, v87
	ds_load_2addr_b64 v[86:89], v80 offset0:6 offset1:7
	v_pk_add_f32 v[20:21], v[20:21], v[92:93] neg_lo:[0,1] neg_hi:[0,1]
	v_pk_add_f32 v[18:19], v[18:19], v[90:91] neg_lo:[0,1] neg_hi:[0,1]
	s_wait_dscnt 0x0
	v_pk_mul_f32 v[90:91], v[86:87], v[78:79] op_sel:[0,1]
	s_delay_alu instid0(VALU_DEP_1) | instskip(SKIP_2) | instid1(VALU_DEP_2)
	v_pk_fma_f32 v[92:93], v[86:87], v[76:77], v[90:91] op_sel:[0,0,1] op_sel_hi:[1,1,0] neg_lo:[0,0,1] neg_hi:[0,0,1]
	v_pk_fma_f32 v[86:87], v[86:87], v[76:77], v[90:91] op_sel:[0,0,1] op_sel_hi:[1,0,0]
	v_dual_mul_f32 v90, v89, v79 :: v_dual_mov_b32 v86, v89
	v_dual_mov_b32 v93, v87 :: v_dual_mov_b32 v87, v88
	s_delay_alu instid0(VALU_DEP_2) | instskip(SKIP_1) | instid1(VALU_DEP_3)
	v_pk_fma_f32 v[90:91], v[88:89], v[38:39], v[90:91] op_sel_hi:[1,1,0] neg_lo:[0,0,1] neg_hi:[0,0,1]
	v_mul_f32_e32 v88, v89, v76
	v_pk_add_f32 v[8:9], v[8:9], v[92:93] neg_lo:[0,1] neg_hi:[0,1]
	s_delay_alu instid0(VALU_DEP_2) | instskip(NEXT) | instid1(VALU_DEP_1)
	v_pk_fma_f32 v[86:87], v[86:87], v[38:39], v[88:89] op_sel_hi:[1,1,0]
	v_mov_b32_e32 v91, v87
	ds_load_2addr_b64 v[86:89], v80 offset0:8 offset1:9
	v_pk_add_f32 v[6:7], v[6:7], v[90:91] neg_lo:[0,1] neg_hi:[0,1]
	s_wait_dscnt 0x0
	v_pk_mul_f32 v[90:91], v[86:87], v[78:79] op_sel:[0,1]
	s_delay_alu instid0(VALU_DEP_1) | instskip(SKIP_1) | instid1(VALU_DEP_1)
	v_pk_fma_f32 v[92:93], v[86:87], v[76:77], v[90:91] op_sel:[0,0,1] op_sel_hi:[1,1,0] neg_lo:[0,0,1] neg_hi:[0,0,1]
	v_pk_fma_f32 v[86:87], v[86:87], v[76:77], v[90:91] op_sel:[0,0,1] op_sel_hi:[1,0,0]
	v_mov_b32_e32 v93, v87
	v_pk_mul_f32 v[86:87], v[88:89], v[78:79] op_sel:[0,1]
	s_delay_alu instid0(VALU_DEP_1) | instskip(SKIP_1) | instid1(VALU_DEP_1)
	v_pk_fma_f32 v[90:91], v[88:89], v[76:77], v[86:87] op_sel:[0,0,1] op_sel_hi:[1,1,0] neg_lo:[0,0,1] neg_hi:[0,0,1]
	v_pk_fma_f32 v[86:87], v[88:89], v[76:77], v[86:87] op_sel:[0,0,1] op_sel_hi:[1,0,0]
	v_mov_b32_e32 v91, v87
	ds_load_2addr_b64 v[86:89], v80 offset0:10 offset1:11
	v_pk_add_f32 v[28:29], v[28:29], v[92:93] neg_lo:[0,1] neg_hi:[0,1]
	v_pk_add_f32 v[26:27], v[26:27], v[90:91] neg_lo:[0,1] neg_hi:[0,1]
	s_wait_dscnt 0x0
	v_pk_mul_f32 v[90:91], v[86:87], v[78:79] op_sel:[0,1]
	s_delay_alu instid0(VALU_DEP_1) | instskip(SKIP_1) | instid1(VALU_DEP_1)
	v_pk_fma_f32 v[92:93], v[86:87], v[76:77], v[90:91] op_sel:[0,0,1] op_sel_hi:[1,1,0] neg_lo:[0,0,1] neg_hi:[0,0,1]
	v_pk_fma_f32 v[86:87], v[86:87], v[76:77], v[90:91] op_sel:[0,0,1] op_sel_hi:[1,0,0]
	v_mov_b32_e32 v93, v87
	v_pk_mul_f32 v[86:87], v[88:89], v[78:79] op_sel:[0,1]
	s_delay_alu instid0(VALU_DEP_1) | instskip(SKIP_1) | instid1(VALU_DEP_1)
	v_pk_fma_f32 v[90:91], v[88:89], v[76:77], v[86:87] op_sel:[0,0,1] op_sel_hi:[1,1,0] neg_lo:[0,0,1] neg_hi:[0,0,1]
	v_pk_fma_f32 v[86:87], v[88:89], v[76:77], v[86:87] op_sel:[0,0,1] op_sel_hi:[1,0,0]
	v_mov_b32_e32 v91, v87
	ds_load_2addr_b64 v[86:89], v80 offset0:12 offset1:13
	v_pk_add_f32 v[12:13], v[12:13], v[92:93] neg_lo:[0,1] neg_hi:[0,1]
	v_pk_add_f32 v[10:11], v[10:11], v[90:91] neg_lo:[0,1] neg_hi:[0,1]
	s_wait_dscnt 0x0
	v_dual_mul_f32 v90, v87, v79 :: v_dual_mul_f32 v92, v87, v76
	s_delay_alu instid0(VALU_DEP_1) | instskip(NEXT) | instid1(VALU_DEP_2)
	v_pk_fma_f32 v[90:91], v[86:87], v[38:39], v[90:91] op_sel_hi:[1,1,0] neg_lo:[0,0,1] neg_hi:[0,0,1]
	v_pk_fma_f32 v[86:87], v[86:87], v[38:39], v[92:93] op_sel:[1,0,0] op_sel_hi:[0,1,0]
	s_delay_alu instid0(VALU_DEP_1) | instskip(SKIP_1) | instid1(VALU_DEP_2)
	v_mov_b32_e32 v91, v87
	v_pk_mul_f32 v[86:87], v[88:89], v[78:79] op_sel:[0,1]
	v_pk_add_f32 v[36:37], v[36:37], v[90:91] neg_lo:[0,1] neg_hi:[0,1]
	s_delay_alu instid0(VALU_DEP_2) | instskip(SKIP_1) | instid1(VALU_DEP_1)
	v_pk_fma_f32 v[90:91], v[88:89], v[76:77], v[86:87] op_sel:[0,0,1] op_sel_hi:[1,1,0] neg_lo:[0,0,1] neg_hi:[0,0,1]
	v_pk_fma_f32 v[86:87], v[88:89], v[76:77], v[86:87] op_sel:[0,0,1] op_sel_hi:[1,0,0]
	v_mov_b32_e32 v91, v87
	ds_load_2addr_b64 v[86:89], v80 offset0:14 offset1:15
	v_pk_add_f32 v[34:35], v[34:35], v[90:91] neg_lo:[0,1] neg_hi:[0,1]
	s_wait_dscnt 0x0
	v_pk_mul_f32 v[90:91], v[86:87], v[78:79] op_sel:[0,1]
	s_delay_alu instid0(VALU_DEP_1) | instskip(SKIP_1) | instid1(VALU_DEP_1)
	v_pk_fma_f32 v[92:93], v[86:87], v[76:77], v[90:91] op_sel:[0,0,1] op_sel_hi:[1,1,0] neg_lo:[0,0,1] neg_hi:[0,0,1]
	v_pk_fma_f32 v[86:87], v[86:87], v[76:77], v[90:91] op_sel:[0,0,1] op_sel_hi:[1,0,0]
	v_mov_b32_e32 v93, v87
	v_pk_mul_f32 v[86:87], v[88:89], v[78:79] op_sel:[0,1]
	s_delay_alu instid0(VALU_DEP_2) | instskip(NEXT) | instid1(VALU_DEP_2)
	v_pk_add_f32 v[16:17], v[16:17], v[92:93] neg_lo:[0,1] neg_hi:[0,1]
	v_pk_fma_f32 v[90:91], v[88:89], v[76:77], v[86:87] op_sel:[0,0,1] op_sel_hi:[1,1,0] neg_lo:[0,0,1] neg_hi:[0,0,1]
	v_pk_fma_f32 v[86:87], v[88:89], v[76:77], v[86:87] op_sel:[0,0,1] op_sel_hi:[1,0,0]
	s_delay_alu instid0(VALU_DEP_1) | instskip(SKIP_4) | instid1(VALU_DEP_1)
	v_mov_b32_e32 v91, v87
	ds_load_2addr_b64 v[86:89], v80 offset0:16 offset1:17
	v_pk_add_f32 v[14:15], v[14:15], v[90:91] neg_lo:[0,1] neg_hi:[0,1]
	s_wait_dscnt 0x0
	v_pk_mul_f32 v[90:91], v[86:87], v[78:79] op_sel:[0,1]
	v_pk_fma_f32 v[92:93], v[86:87], v[76:77], v[90:91] op_sel:[0,0,1] op_sel_hi:[1,1,0] neg_lo:[0,0,1] neg_hi:[0,0,1]
	v_pk_fma_f32 v[86:87], v[86:87], v[76:77], v[90:91] op_sel:[0,0,1] op_sel_hi:[1,0,0]
	v_dual_mul_f32 v90, v89, v79 :: v_dual_mov_b32 v86, v89
	s_delay_alu instid0(VALU_DEP_2) | instskip(NEXT) | instid1(VALU_DEP_2)
	v_dual_mov_b32 v93, v87 :: v_dual_mov_b32 v87, v88
	v_pk_fma_f32 v[90:91], v[88:89], v[38:39], v[90:91] op_sel_hi:[1,1,0] neg_lo:[0,0,1] neg_hi:[0,0,1]
	v_mul_f32_e32 v88, v89, v76
	s_delay_alu instid0(VALU_DEP_3) | instskip(NEXT) | instid1(VALU_DEP_2)
	v_pk_add_f32 v[50:51], v[50:51], v[92:93] neg_lo:[0,1] neg_hi:[0,1]
	v_pk_fma_f32 v[86:87], v[86:87], v[38:39], v[88:89] op_sel_hi:[1,1,0]
	s_delay_alu instid0(VALU_DEP_1) | instskip(SKIP_4) | instid1(VALU_DEP_1)
	v_mov_b32_e32 v91, v87
	ds_load_2addr_b64 v[86:89], v80 offset0:18 offset1:19
	v_pk_add_f32 v[48:49], v[48:49], v[90:91] neg_lo:[0,1] neg_hi:[0,1]
	s_wait_dscnt 0x0
	v_pk_mul_f32 v[90:91], v[86:87], v[78:79] op_sel:[0,1]
	v_pk_fma_f32 v[92:93], v[86:87], v[76:77], v[90:91] op_sel:[0,0,1] op_sel_hi:[1,1,0] neg_lo:[0,0,1] neg_hi:[0,0,1]
	v_pk_fma_f32 v[86:87], v[86:87], v[76:77], v[90:91] op_sel:[0,0,1] op_sel_hi:[1,0,0]
	s_delay_alu instid0(VALU_DEP_1) | instskip(SKIP_1) | instid1(VALU_DEP_1)
	v_mov_b32_e32 v93, v87
	v_pk_mul_f32 v[86:87], v[88:89], v[78:79] op_sel:[0,1]
	v_pk_fma_f32 v[90:91], v[88:89], v[76:77], v[86:87] op_sel:[0,0,1] op_sel_hi:[1,1,0] neg_lo:[0,0,1] neg_hi:[0,0,1]
	v_pk_fma_f32 v[86:87], v[88:89], v[76:77], v[86:87] op_sel:[0,0,1] op_sel_hi:[1,0,0]
	s_delay_alu instid0(VALU_DEP_1)
	v_mov_b32_e32 v91, v87
	ds_load_2addr_b64 v[86:89], v80 offset0:20 offset1:21
	v_pk_add_f32 v[24:25], v[24:25], v[92:93] neg_lo:[0,1] neg_hi:[0,1]
	v_pk_add_f32 v[22:23], v[22:23], v[90:91] neg_lo:[0,1] neg_hi:[0,1]
	s_wait_dscnt 0x0
	v_pk_mul_f32 v[90:91], v[86:87], v[78:79] op_sel:[0,1]
	s_delay_alu instid0(VALU_DEP_1) | instskip(SKIP_1) | instid1(VALU_DEP_1)
	v_pk_fma_f32 v[92:93], v[86:87], v[76:77], v[90:91] op_sel:[0,0,1] op_sel_hi:[1,1,0] neg_lo:[0,0,1] neg_hi:[0,0,1]
	v_pk_fma_f32 v[86:87], v[86:87], v[76:77], v[90:91] op_sel:[0,0,1] op_sel_hi:[1,0,0]
	v_mov_b32_e32 v93, v87
	v_pk_mul_f32 v[86:87], v[88:89], v[78:79] op_sel:[0,1]
	s_delay_alu instid0(VALU_DEP_1) | instskip(SKIP_1) | instid1(VALU_DEP_1)
	v_pk_fma_f32 v[90:91], v[88:89], v[76:77], v[86:87] op_sel:[0,0,1] op_sel_hi:[1,1,0] neg_lo:[0,0,1] neg_hi:[0,0,1]
	v_pk_fma_f32 v[86:87], v[88:89], v[76:77], v[86:87] op_sel:[0,0,1] op_sel_hi:[1,0,0]
	v_mov_b32_e32 v91, v87
	ds_load_2addr_b64 v[86:89], v80 offset0:22 offset1:23
	v_pk_add_f32 v[60:61], v[60:61], v[92:93] neg_lo:[0,1] neg_hi:[0,1]
	v_pk_add_f32 v[58:59], v[58:59], v[90:91] neg_lo:[0,1] neg_hi:[0,1]
	s_wait_dscnt 0x0
	v_dual_mul_f32 v90, v87, v79 :: v_dual_mul_f32 v92, v87, v76
	s_delay_alu instid0(VALU_DEP_1) | instskip(NEXT) | instid1(VALU_DEP_2)
	v_pk_fma_f32 v[90:91], v[86:87], v[38:39], v[90:91] op_sel_hi:[1,1,0] neg_lo:[0,0,1] neg_hi:[0,0,1]
	v_pk_fma_f32 v[86:87], v[86:87], v[38:39], v[92:93] op_sel:[1,0,0] op_sel_hi:[0,1,0]
	s_delay_alu instid0(VALU_DEP_1) | instskip(SKIP_1) | instid1(VALU_DEP_2)
	v_mov_b32_e32 v91, v87
	v_pk_mul_f32 v[86:87], v[88:89], v[78:79] op_sel:[0,1]
	v_pk_add_f32 v[32:33], v[32:33], v[90:91] neg_lo:[0,1] neg_hi:[0,1]
	s_delay_alu instid0(VALU_DEP_2) | instskip(SKIP_1) | instid1(VALU_DEP_1)
	v_pk_fma_f32 v[90:91], v[88:89], v[76:77], v[86:87] op_sel:[0,0,1] op_sel_hi:[1,1,0] neg_lo:[0,0,1] neg_hi:[0,0,1]
	v_pk_fma_f32 v[86:87], v[88:89], v[76:77], v[86:87] op_sel:[0,0,1] op_sel_hi:[1,0,0]
	v_mov_b32_e32 v91, v87
	ds_load_2addr_b64 v[86:89], v80 offset0:24 offset1:25
	v_pk_add_f32 v[30:31], v[30:31], v[90:91] neg_lo:[0,1] neg_hi:[0,1]
	s_wait_dscnt 0x0
	v_pk_mul_f32 v[90:91], v[86:87], v[78:79] op_sel:[0,1]
	s_delay_alu instid0(VALU_DEP_1) | instskip(SKIP_1) | instid1(VALU_DEP_1)
	v_pk_fma_f32 v[92:93], v[86:87], v[76:77], v[90:91] op_sel:[0,0,1] op_sel_hi:[1,1,0] neg_lo:[0,0,1] neg_hi:[0,0,1]
	v_pk_fma_f32 v[86:87], v[86:87], v[76:77], v[90:91] op_sel:[0,0,1] op_sel_hi:[1,0,0]
	v_mov_b32_e32 v93, v87
	v_pk_mul_f32 v[86:87], v[88:89], v[78:79] op_sel:[0,1]
	s_delay_alu instid0(VALU_DEP_2) | instskip(NEXT) | instid1(VALU_DEP_2)
	v_pk_add_f32 v[68:69], v[68:69], v[92:93] neg_lo:[0,1] neg_hi:[0,1]
	v_pk_fma_f32 v[90:91], v[88:89], v[76:77], v[86:87] op_sel:[0,0,1] op_sel_hi:[1,1,0] neg_lo:[0,0,1] neg_hi:[0,0,1]
	v_pk_fma_f32 v[86:87], v[88:89], v[76:77], v[86:87] op_sel:[0,0,1] op_sel_hi:[1,0,0]
	s_delay_alu instid0(VALU_DEP_1) | instskip(SKIP_4) | instid1(VALU_DEP_1)
	v_mov_b32_e32 v91, v87
	ds_load_2addr_b64 v[86:89], v80 offset0:26 offset1:27
	v_pk_add_f32 v[66:67], v[66:67], v[90:91] neg_lo:[0,1] neg_hi:[0,1]
	s_wait_dscnt 0x0
	v_pk_mul_f32 v[90:91], v[86:87], v[78:79] op_sel:[0,1]
	v_pk_fma_f32 v[92:93], v[86:87], v[76:77], v[90:91] op_sel:[0,0,1] op_sel_hi:[1,1,0] neg_lo:[0,0,1] neg_hi:[0,0,1]
	v_pk_fma_f32 v[86:87], v[86:87], v[76:77], v[90:91] op_sel:[0,0,1] op_sel_hi:[1,0,0]
	v_dual_mul_f32 v90, v89, v79 :: v_dual_mov_b32 v86, v89
	s_delay_alu instid0(VALU_DEP_2) | instskip(NEXT) | instid1(VALU_DEP_2)
	v_dual_mov_b32 v93, v87 :: v_dual_mov_b32 v87, v88
	v_pk_fma_f32 v[90:91], v[88:89], v[38:39], v[90:91] op_sel_hi:[1,1,0] neg_lo:[0,0,1] neg_hi:[0,0,1]
	v_mul_f32_e32 v88, v89, v76
	s_delay_alu instid0(VALU_DEP_3) | instskip(NEXT) | instid1(VALU_DEP_2)
	v_pk_add_f32 v[42:43], v[42:43], v[92:93] neg_lo:[0,1] neg_hi:[0,1]
	v_pk_fma_f32 v[86:87], v[86:87], v[38:39], v[88:89] op_sel_hi:[1,1,0]
	s_delay_alu instid0(VALU_DEP_1) | instskip(SKIP_4) | instid1(VALU_DEP_1)
	v_mov_b32_e32 v91, v87
	ds_load_2addr_b64 v[86:89], v80 offset0:28 offset1:29
	v_pk_add_f32 v[40:41], v[40:41], v[90:91] neg_lo:[0,1] neg_hi:[0,1]
	s_wait_dscnt 0x0
	v_pk_mul_f32 v[90:91], v[86:87], v[78:79] op_sel:[0,1]
	v_pk_fma_f32 v[92:93], v[86:87], v[76:77], v[90:91] op_sel:[0,0,1] op_sel_hi:[1,1,0] neg_lo:[0,0,1] neg_hi:[0,0,1]
	v_pk_fma_f32 v[86:87], v[86:87], v[76:77], v[90:91] op_sel:[0,0,1] op_sel_hi:[1,0,0]
	s_delay_alu instid0(VALU_DEP_1) | instskip(SKIP_1) | instid1(VALU_DEP_1)
	v_mov_b32_e32 v93, v87
	v_pk_mul_f32 v[86:87], v[88:89], v[78:79] op_sel:[0,1]
	v_pk_fma_f32 v[90:91], v[88:89], v[76:77], v[86:87] op_sel:[0,0,1] op_sel_hi:[1,1,0] neg_lo:[0,0,1] neg_hi:[0,0,1]
	v_pk_fma_f32 v[86:87], v[88:89], v[76:77], v[86:87] op_sel:[0,0,1] op_sel_hi:[1,0,0]
	s_delay_alu instid0(VALU_DEP_1)
	v_mov_b32_e32 v91, v87
	ds_load_2addr_b64 v[86:89], v80 offset0:30 offset1:31
	v_pk_add_f32 v[64:65], v[64:65], v[92:93] neg_lo:[0,1] neg_hi:[0,1]
	v_pk_add_f32 v[62:63], v[62:63], v[90:91] neg_lo:[0,1] neg_hi:[0,1]
	s_wait_dscnt 0x0
	v_pk_mul_f32 v[90:91], v[86:87], v[78:79] op_sel:[0,1]
	s_delay_alu instid0(VALU_DEP_1) | instskip(SKIP_1) | instid1(VALU_DEP_1)
	v_pk_fma_f32 v[92:93], v[86:87], v[76:77], v[90:91] op_sel:[0,0,1] op_sel_hi:[1,1,0] neg_lo:[0,0,1] neg_hi:[0,0,1]
	v_pk_fma_f32 v[86:87], v[86:87], v[76:77], v[90:91] op_sel:[0,0,1] op_sel_hi:[1,0,0]
	v_mov_b32_e32 v93, v87
	v_pk_mul_f32 v[86:87], v[88:89], v[78:79] op_sel:[0,1]
	s_delay_alu instid0(VALU_DEP_1) | instskip(SKIP_1) | instid1(VALU_DEP_1)
	v_pk_fma_f32 v[90:91], v[88:89], v[76:77], v[86:87] op_sel:[0,0,1] op_sel_hi:[1,1,0] neg_lo:[0,0,1] neg_hi:[0,0,1]
	v_pk_fma_f32 v[86:87], v[88:89], v[76:77], v[86:87] op_sel:[0,0,1] op_sel_hi:[1,0,0]
	v_mov_b32_e32 v91, v87
	ds_load_2addr_b64 v[86:89], v80 offset0:32 offset1:33
	v_pk_add_f32 v[46:47], v[46:47], v[92:93] neg_lo:[0,1] neg_hi:[0,1]
	v_pk_add_f32 v[44:45], v[44:45], v[90:91] neg_lo:[0,1] neg_hi:[0,1]
	s_wait_dscnt 0x0
	v_dual_mul_f32 v90, v87, v79 :: v_dual_mul_f32 v92, v87, v76
	s_delay_alu instid0(VALU_DEP_1) | instskip(NEXT) | instid1(VALU_DEP_2)
	v_pk_fma_f32 v[90:91], v[86:87], v[38:39], v[90:91] op_sel_hi:[1,1,0] neg_lo:[0,0,1] neg_hi:[0,0,1]
	v_pk_fma_f32 v[86:87], v[86:87], v[38:39], v[92:93] op_sel:[1,0,0] op_sel_hi:[0,1,0]
	s_delay_alu instid0(VALU_DEP_1) | instskip(SKIP_1) | instid1(VALU_DEP_2)
	v_mov_b32_e32 v91, v87
	v_pk_mul_f32 v[86:87], v[88:89], v[78:79] op_sel:[0,1]
	v_pk_add_f32 v[54:55], v[54:55], v[90:91] neg_lo:[0,1] neg_hi:[0,1]
	s_delay_alu instid0(VALU_DEP_2) | instskip(SKIP_1) | instid1(VALU_DEP_1)
	v_pk_fma_f32 v[90:91], v[88:89], v[76:77], v[86:87] op_sel:[0,0,1] op_sel_hi:[1,1,0] neg_lo:[0,0,1] neg_hi:[0,0,1]
	v_pk_fma_f32 v[86:87], v[88:89], v[76:77], v[86:87] op_sel:[0,0,1] op_sel_hi:[1,0,0]
	v_mov_b32_e32 v91, v87
	ds_load_b64 v[86:87], v80 offset:272
	v_pk_add_f32 v[52:53], v[52:53], v[90:91] neg_lo:[0,1] neg_hi:[0,1]
	s_wait_dscnt 0x0
	v_pk_mul_f32 v[78:79], v[86:87], v[78:79] op_sel:[0,1]
	s_delay_alu instid0(VALU_DEP_1) | instskip(SKIP_1) | instid1(VALU_DEP_1)
	v_pk_fma_f32 v[88:89], v[86:87], v[76:77], v[78:79] op_sel:[0,0,1] op_sel_hi:[1,1,0] neg_lo:[0,0,1] neg_hi:[0,0,1]
	v_pk_fma_f32 v[76:77], v[86:87], v[76:77], v[78:79] op_sel:[0,0,1] op_sel_hi:[1,0,0]
	v_mov_b32_e32 v89, v77
	s_delay_alu instid0(VALU_DEP_1)
	v_pk_add_f32 v[74:75], v[74:75], v[88:89] neg_lo:[0,1] neg_hi:[0,1]
.LBB68_83:
	s_or_b32 exec_lo, exec_lo, s0
	v_lshl_add_u32 v76, v84, 3, v80
	s_barrier_signal -1
	s_barrier_wait -1
	ds_store_b64 v76, v[20:21]
	s_wait_dscnt 0x0
	s_barrier_signal -1
	s_barrier_wait -1
	ds_load_b64 v[78:79], v80 offset:32
	v_mov_b32_e32 v76, 4
	s_cmp_lt_i32 s14, 6
	s_cbranch_scc1 .LBB68_86
; %bb.84:
	v_add3_u32 v77, v81, 0, 40
	v_mov_b32_e32 v76, 4
	s_mov_b32 s0, 5
.LBB68_85:                              ; =>This Inner Loop Header: Depth=1
	ds_load_b64 v[86:87], v77
	s_wait_dscnt 0x1
	v_cmp_gt_f32_e32 vcc_lo, 0, v78
	v_cndmask_b32_e64 v88, v78, -v78, vcc_lo
	v_cmp_gt_f32_e32 vcc_lo, 0, v79
	v_cndmask_b32_e64 v90, v79, -v79, vcc_lo
	s_wait_dscnt 0x0
	v_cmp_gt_f32_e32 vcc_lo, 0, v86
	v_cndmask_b32_e64 v89, v86, -v86, vcc_lo
	v_cmp_gt_f32_e32 vcc_lo, 0, v87
	v_cndmask_b32_e64 v91, v87, -v87, vcc_lo
	s_delay_alu instid0(VALU_DEP_1) | instskip(NEXT) | instid1(VALU_DEP_1)
	v_pk_add_f32 v[88:89], v[88:89], v[90:91]
	v_cmp_lt_f32_e32 vcc_lo, v88, v89
	v_dual_add_nc_u32 v77, 8, v77 :: v_dual_cndmask_b32 v79, v79, v87, vcc_lo
	v_cndmask_b32_e32 v78, v78, v86, vcc_lo
	v_cndmask_b32_e64 v76, v76, s0, vcc_lo
	s_add_co_i32 s0, s0, 1
	s_delay_alu instid0(SALU_CYCLE_1)
	s_cmp_lg_u32 s14, s0
	s_cbranch_scc1 .LBB68_85
.LBB68_86:
	s_wait_dscnt 0x0
	v_cmp_eq_f32_e32 vcc_lo, 0, v78
	v_cmp_eq_f32_e64 s0, 0, v79
	s_and_b32 s0, vcc_lo, s0
	s_delay_alu instid0(SALU_CYCLE_1) | instskip(NEXT) | instid1(SALU_CYCLE_1)
	s_and_saveexec_b32 s1, s0
	s_xor_b32 s0, exec_lo, s1
; %bb.87:
	v_cmp_ne_u32_e32 vcc_lo, 0, v82
	v_cndmask_b32_e32 v82, 5, v82, vcc_lo
; %bb.88:
	s_and_not1_saveexec_b32 s0, s0
	s_cbranch_execz .LBB68_94
; %bb.89:
	v_cmp_ngt_f32_e64 s1, |v78|, |v79|
	s_and_saveexec_b32 s15, s1
	s_delay_alu instid0(SALU_CYCLE_1)
	s_xor_b32 s1, exec_lo, s15
	s_cbranch_execz .LBB68_91
; %bb.90:
	v_div_scale_f32 v77, null, v79, v79, v78
	v_div_scale_f32 v87, vcc_lo, v78, v79, v78
	s_delay_alu instid0(VALU_DEP_2) | instskip(SKIP_1) | instid1(TRANS32_DEP_1)
	v_rcp_f32_e32 v85, v77
	v_nop
	v_fma_f32 v86, -v77, v85, 1.0
	s_delay_alu instid0(VALU_DEP_1) | instskip(NEXT) | instid1(VALU_DEP_1)
	v_fmac_f32_e32 v85, v86, v85
	v_mul_f32_e32 v86, v87, v85
	s_delay_alu instid0(VALU_DEP_1) | instskip(NEXT) | instid1(VALU_DEP_1)
	v_fma_f32 v88, -v77, v86, v87
	v_fmac_f32_e32 v86, v88, v85
	s_delay_alu instid0(VALU_DEP_1) | instskip(NEXT) | instid1(VALU_DEP_1)
	v_fma_f32 v77, -v77, v86, v87
	v_div_fmas_f32 v77, v77, v85, v86
	s_delay_alu instid0(VALU_DEP_1) | instskip(NEXT) | instid1(VALU_DEP_1)
	v_div_fixup_f32 v77, v77, v79, v78
	v_fmac_f32_e32 v79, v78, v77
	s_delay_alu instid0(VALU_DEP_1) | instskip(SKIP_1) | instid1(VALU_DEP_2)
	v_div_scale_f32 v78, null, v79, v79, 1.0
	v_div_scale_f32 v87, vcc_lo, 1.0, v79, 1.0
	v_rcp_f32_e32 v85, v78
	v_nop
	s_delay_alu instid0(TRANS32_DEP_1) | instskip(NEXT) | instid1(VALU_DEP_1)
	v_fma_f32 v86, -v78, v85, 1.0
	v_fmac_f32_e32 v85, v86, v85
	s_delay_alu instid0(VALU_DEP_1) | instskip(NEXT) | instid1(VALU_DEP_1)
	v_mul_f32_e32 v86, v87, v85
	v_fma_f32 v88, -v78, v86, v87
	s_delay_alu instid0(VALU_DEP_1) | instskip(NEXT) | instid1(VALU_DEP_1)
	v_fmac_f32_e32 v86, v88, v85
	v_fma_f32 v78, -v78, v86, v87
	s_delay_alu instid0(VALU_DEP_1) | instskip(NEXT) | instid1(VALU_DEP_1)
	v_div_fmas_f32 v78, v78, v85, v86
	v_div_fixup_f32 v79, v78, v79, 1.0
	s_delay_alu instid0(VALU_DEP_1)
	v_mul_f32_e32 v78, v77, v79
	v_xor_b32_e32 v79, 0x80000000, v79
.LBB68_91:
	s_and_not1_saveexec_b32 s1, s1
	s_cbranch_execz .LBB68_93
; %bb.92:
	s_delay_alu instid0(VALU_DEP_1) | instskip(SKIP_1) | instid1(VALU_DEP_2)
	v_div_scale_f32 v77, null, v78, v78, v79
	v_div_scale_f32 v87, vcc_lo, v79, v78, v79
	v_rcp_f32_e32 v85, v77
	v_nop
	s_delay_alu instid0(TRANS32_DEP_1) | instskip(NEXT) | instid1(VALU_DEP_1)
	v_fma_f32 v86, -v77, v85, 1.0
	v_fmac_f32_e32 v85, v86, v85
	s_delay_alu instid0(VALU_DEP_1) | instskip(NEXT) | instid1(VALU_DEP_1)
	v_mul_f32_e32 v86, v87, v85
	v_fma_f32 v88, -v77, v86, v87
	s_delay_alu instid0(VALU_DEP_1) | instskip(NEXT) | instid1(VALU_DEP_1)
	v_fmac_f32_e32 v86, v88, v85
	v_fma_f32 v77, -v77, v86, v87
	s_delay_alu instid0(VALU_DEP_1) | instskip(NEXT) | instid1(VALU_DEP_1)
	v_div_fmas_f32 v77, v77, v85, v86
	v_div_fixup_f32 v77, v77, v78, v79
	s_delay_alu instid0(VALU_DEP_1) | instskip(NEXT) | instid1(VALU_DEP_1)
	v_fmac_f32_e32 v78, v79, v77
	v_div_scale_f32 v79, null, v78, v78, 1.0
	s_delay_alu instid0(VALU_DEP_1) | instskip(SKIP_1) | instid1(TRANS32_DEP_1)
	v_rcp_f32_e32 v85, v79
	v_nop
	v_fma_f32 v86, -v79, v85, 1.0
	s_delay_alu instid0(VALU_DEP_1) | instskip(SKIP_1) | instid1(VALU_DEP_1)
	v_fmac_f32_e32 v85, v86, v85
	v_div_scale_f32 v86, vcc_lo, 1.0, v78, 1.0
	v_mul_f32_e32 v87, v86, v85
	s_delay_alu instid0(VALU_DEP_1) | instskip(NEXT) | instid1(VALU_DEP_1)
	v_fma_f32 v88, -v79, v87, v86
	v_fmac_f32_e32 v87, v88, v85
	s_delay_alu instid0(VALU_DEP_1) | instskip(NEXT) | instid1(VALU_DEP_1)
	v_fma_f32 v79, -v79, v87, v86
	v_div_fmas_f32 v79, v79, v85, v87
	s_delay_alu instid0(VALU_DEP_1) | instskip(NEXT) | instid1(VALU_DEP_1)
	v_div_fixup_f32 v78, v79, v78, 1.0
	v_mul_f32_e64 v79, v77, -v78
.LBB68_93:
	s_or_b32 exec_lo, exec_lo, s1
.LBB68_94:
	s_delay_alu instid0(SALU_CYCLE_1) | instskip(NEXT) | instid1(SALU_CYCLE_1)
	s_or_b32 exec_lo, exec_lo, s0
	s_mov_b32 s0, exec_lo
	v_cmpx_ne_u32_e64 v84, v76
	s_xor_b32 s0, exec_lo, s0
	s_cbranch_execz .LBB68_100
; %bb.95:
	s_mov_b32 s1, exec_lo
	v_cmpx_eq_u32_e32 4, v84
	s_cbranch_execz .LBB68_99
; %bb.96:
	v_cmp_ne_u32_e32 vcc_lo, 4, v76
	s_xor_b32 s15, s12, -1
	s_delay_alu instid0(SALU_CYCLE_1) | instskip(NEXT) | instid1(SALU_CYCLE_1)
	s_and_b32 s16, s15, vcc_lo
	s_and_saveexec_b32 s15, s16
	s_cbranch_execz .LBB68_98
; %bb.97:
	v_ashrrev_i32_e32 v77, 31, v76
	s_delay_alu instid0(VALU_DEP_1)
	v_lshl_add_u64 v[84:85], v[76:77], 2, v[4:5]
	s_clause 0x1
	global_load_b32 v77, v[84:85], off
	global_load_b32 v83, v[4:5], off offset:16
	s_wait_loadcnt 0x1
	global_store_b32 v[4:5], v77, off offset:16
	s_wait_loadcnt 0x0
	global_store_b32 v[84:85], v83, off
.LBB68_98:
	s_wait_xcnt 0x0
	s_or_b32 exec_lo, exec_lo, s15
	v_dual_mov_b32 v84, v76 :: v_dual_mov_b32 v83, v76
.LBB68_99:
	s_or_b32 exec_lo, exec_lo, s1
.LBB68_100:
	s_and_not1_saveexec_b32 s0, s0
	s_cbranch_execz .LBB68_102
; %bb.101:
	v_mov_b32_e32 v84, 4
	ds_store_2addr_b64 v80, v[18:19], v[8:9] offset0:5 offset1:6
	ds_store_2addr_b64 v80, v[6:7], v[28:29] offset0:7 offset1:8
	;; [unrolled: 1-line block ×15, first 2 shown]
.LBB68_102:
	s_or_b32 exec_lo, exec_lo, s0
	s_delay_alu instid0(SALU_CYCLE_1)
	s_mov_b32 s0, exec_lo
	s_wait_storecnt_dscnt 0x0
	s_barrier_signal -1
	s_barrier_wait -1
	v_cmpx_lt_i32_e32 4, v84
	s_cbranch_execz .LBB68_104
; %bb.103:
	v_pk_mul_f32 v[86:87], v[78:79], v[20:21] op_sel:[1,1] op_sel_hi:[0,1]
	s_delay_alu instid0(VALU_DEP_1)
	v_pk_fma_f32 v[76:77], v[78:79], v[20:21], v[86:87] op_sel_hi:[1,0,1] neg_lo:[0,0,1] neg_hi:[0,0,1]
	v_pk_fma_f32 v[78:79], v[78:79], v[20:21], v[86:87] op_sel_hi:[1,0,1]
	ds_load_2addr_b64 v[86:89], v80 offset0:5 offset1:6
	v_dual_mov_b32 v20, v76 :: v_dual_mov_b32 v21, v79
	s_wait_dscnt 0x0
	v_pk_mul_f32 v[90:91], v[86:87], v[78:79] op_sel:[0,1]
	s_delay_alu instid0(VALU_DEP_1) | instskip(SKIP_1) | instid1(VALU_DEP_1)
	v_pk_fma_f32 v[92:93], v[86:87], v[76:77], v[90:91] op_sel:[0,0,1] op_sel_hi:[1,1,0] neg_lo:[0,0,1] neg_hi:[0,0,1]
	v_pk_fma_f32 v[86:87], v[86:87], v[76:77], v[90:91] op_sel:[0,0,1] op_sel_hi:[1,0,0]
	v_mov_b32_e32 v93, v87
	v_pk_mul_f32 v[86:87], v[88:89], v[78:79] op_sel:[0,1]
	s_delay_alu instid0(VALU_DEP_1) | instskip(SKIP_1) | instid1(VALU_DEP_1)
	v_pk_fma_f32 v[90:91], v[88:89], v[76:77], v[86:87] op_sel:[0,0,1] op_sel_hi:[1,1,0] neg_lo:[0,0,1] neg_hi:[0,0,1]
	v_pk_fma_f32 v[86:87], v[88:89], v[76:77], v[86:87] op_sel:[0,0,1] op_sel_hi:[1,0,0]
	v_mov_b32_e32 v91, v87
	ds_load_2addr_b64 v[86:89], v80 offset0:7 offset1:8
	v_pk_add_f32 v[18:19], v[18:19], v[92:93] neg_lo:[0,1] neg_hi:[0,1]
	v_pk_add_f32 v[8:9], v[8:9], v[90:91] neg_lo:[0,1] neg_hi:[0,1]
	s_wait_dscnt 0x0
	v_pk_mul_f32 v[90:91], v[86:87], v[78:79] op_sel:[0,1]
	s_delay_alu instid0(VALU_DEP_1) | instskip(SKIP_2) | instid1(VALU_DEP_2)
	v_pk_fma_f32 v[92:93], v[86:87], v[76:77], v[90:91] op_sel:[0,0,1] op_sel_hi:[1,1,0] neg_lo:[0,0,1] neg_hi:[0,0,1]
	v_pk_fma_f32 v[86:87], v[86:87], v[76:77], v[90:91] op_sel:[0,0,1] op_sel_hi:[1,0,0]
	v_dual_mul_f32 v90, v89, v79 :: v_dual_mov_b32 v86, v89
	v_dual_mov_b32 v93, v87 :: v_dual_mov_b32 v87, v88
	s_delay_alu instid0(VALU_DEP_2) | instskip(SKIP_1) | instid1(VALU_DEP_3)
	v_pk_fma_f32 v[90:91], v[88:89], v[20:21], v[90:91] op_sel_hi:[1,1,0] neg_lo:[0,0,1] neg_hi:[0,0,1]
	v_mul_f32_e32 v88, v89, v76
	v_pk_add_f32 v[6:7], v[6:7], v[92:93] neg_lo:[0,1] neg_hi:[0,1]
	s_delay_alu instid0(VALU_DEP_2) | instskip(NEXT) | instid1(VALU_DEP_1)
	v_pk_fma_f32 v[86:87], v[86:87], v[20:21], v[88:89] op_sel_hi:[1,1,0]
	v_mov_b32_e32 v91, v87
	ds_load_2addr_b64 v[86:89], v80 offset0:9 offset1:10
	v_pk_add_f32 v[28:29], v[28:29], v[90:91] neg_lo:[0,1] neg_hi:[0,1]
	s_wait_dscnt 0x0
	v_pk_mul_f32 v[90:91], v[86:87], v[78:79] op_sel:[0,1]
	s_delay_alu instid0(VALU_DEP_1) | instskip(SKIP_1) | instid1(VALU_DEP_1)
	v_pk_fma_f32 v[92:93], v[86:87], v[76:77], v[90:91] op_sel:[0,0,1] op_sel_hi:[1,1,0] neg_lo:[0,0,1] neg_hi:[0,0,1]
	v_pk_fma_f32 v[86:87], v[86:87], v[76:77], v[90:91] op_sel:[0,0,1] op_sel_hi:[1,0,0]
	v_mov_b32_e32 v93, v87
	v_pk_mul_f32 v[86:87], v[88:89], v[78:79] op_sel:[0,1]
	s_delay_alu instid0(VALU_DEP_1) | instskip(SKIP_1) | instid1(VALU_DEP_1)
	v_pk_fma_f32 v[90:91], v[88:89], v[76:77], v[86:87] op_sel:[0,0,1] op_sel_hi:[1,1,0] neg_lo:[0,0,1] neg_hi:[0,0,1]
	v_pk_fma_f32 v[86:87], v[88:89], v[76:77], v[86:87] op_sel:[0,0,1] op_sel_hi:[1,0,0]
	v_mov_b32_e32 v91, v87
	ds_load_2addr_b64 v[86:89], v80 offset0:11 offset1:12
	v_pk_add_f32 v[26:27], v[26:27], v[92:93] neg_lo:[0,1] neg_hi:[0,1]
	v_pk_add_f32 v[12:13], v[12:13], v[90:91] neg_lo:[0,1] neg_hi:[0,1]
	s_wait_dscnt 0x0
	v_pk_mul_f32 v[90:91], v[86:87], v[78:79] op_sel:[0,1]
	s_delay_alu instid0(VALU_DEP_1) | instskip(SKIP_1) | instid1(VALU_DEP_1)
	v_pk_fma_f32 v[92:93], v[86:87], v[76:77], v[90:91] op_sel:[0,0,1] op_sel_hi:[1,1,0] neg_lo:[0,0,1] neg_hi:[0,0,1]
	v_pk_fma_f32 v[86:87], v[86:87], v[76:77], v[90:91] op_sel:[0,0,1] op_sel_hi:[1,0,0]
	v_mov_b32_e32 v93, v87
	v_pk_mul_f32 v[86:87], v[88:89], v[78:79] op_sel:[0,1]
	s_delay_alu instid0(VALU_DEP_1) | instskip(SKIP_1) | instid1(VALU_DEP_1)
	v_pk_fma_f32 v[90:91], v[88:89], v[76:77], v[86:87] op_sel:[0,0,1] op_sel_hi:[1,1,0] neg_lo:[0,0,1] neg_hi:[0,0,1]
	v_pk_fma_f32 v[86:87], v[88:89], v[76:77], v[86:87] op_sel:[0,0,1] op_sel_hi:[1,0,0]
	v_mov_b32_e32 v91, v87
	ds_load_2addr_b64 v[86:89], v80 offset0:13 offset1:14
	v_pk_add_f32 v[10:11], v[10:11], v[92:93] neg_lo:[0,1] neg_hi:[0,1]
	v_pk_add_f32 v[36:37], v[36:37], v[90:91] neg_lo:[0,1] neg_hi:[0,1]
	s_wait_dscnt 0x0
	v_dual_mul_f32 v90, v87, v79 :: v_dual_mul_f32 v92, v87, v76
	s_delay_alu instid0(VALU_DEP_1) | instskip(NEXT) | instid1(VALU_DEP_2)
	v_pk_fma_f32 v[90:91], v[86:87], v[20:21], v[90:91] op_sel_hi:[1,1,0] neg_lo:[0,0,1] neg_hi:[0,0,1]
	v_pk_fma_f32 v[86:87], v[86:87], v[20:21], v[92:93] op_sel:[1,0,0] op_sel_hi:[0,1,0]
	s_delay_alu instid0(VALU_DEP_1) | instskip(SKIP_1) | instid1(VALU_DEP_2)
	v_mov_b32_e32 v91, v87
	v_pk_mul_f32 v[86:87], v[88:89], v[78:79] op_sel:[0,1]
	v_pk_add_f32 v[34:35], v[34:35], v[90:91] neg_lo:[0,1] neg_hi:[0,1]
	s_delay_alu instid0(VALU_DEP_2) | instskip(SKIP_1) | instid1(VALU_DEP_1)
	v_pk_fma_f32 v[90:91], v[88:89], v[76:77], v[86:87] op_sel:[0,0,1] op_sel_hi:[1,1,0] neg_lo:[0,0,1] neg_hi:[0,0,1]
	v_pk_fma_f32 v[86:87], v[88:89], v[76:77], v[86:87] op_sel:[0,0,1] op_sel_hi:[1,0,0]
	v_mov_b32_e32 v91, v87
	ds_load_2addr_b64 v[86:89], v80 offset0:15 offset1:16
	v_pk_add_f32 v[16:17], v[16:17], v[90:91] neg_lo:[0,1] neg_hi:[0,1]
	s_wait_dscnt 0x0
	v_pk_mul_f32 v[90:91], v[86:87], v[78:79] op_sel:[0,1]
	s_delay_alu instid0(VALU_DEP_1) | instskip(SKIP_1) | instid1(VALU_DEP_1)
	v_pk_fma_f32 v[92:93], v[86:87], v[76:77], v[90:91] op_sel:[0,0,1] op_sel_hi:[1,1,0] neg_lo:[0,0,1] neg_hi:[0,0,1]
	v_pk_fma_f32 v[86:87], v[86:87], v[76:77], v[90:91] op_sel:[0,0,1] op_sel_hi:[1,0,0]
	v_mov_b32_e32 v93, v87
	v_pk_mul_f32 v[86:87], v[88:89], v[78:79] op_sel:[0,1]
	s_delay_alu instid0(VALU_DEP_2) | instskip(NEXT) | instid1(VALU_DEP_2)
	v_pk_add_f32 v[14:15], v[14:15], v[92:93] neg_lo:[0,1] neg_hi:[0,1]
	v_pk_fma_f32 v[90:91], v[88:89], v[76:77], v[86:87] op_sel:[0,0,1] op_sel_hi:[1,1,0] neg_lo:[0,0,1] neg_hi:[0,0,1]
	v_pk_fma_f32 v[86:87], v[88:89], v[76:77], v[86:87] op_sel:[0,0,1] op_sel_hi:[1,0,0]
	s_delay_alu instid0(VALU_DEP_1) | instskip(SKIP_4) | instid1(VALU_DEP_1)
	v_mov_b32_e32 v91, v87
	ds_load_2addr_b64 v[86:89], v80 offset0:17 offset1:18
	v_pk_add_f32 v[50:51], v[50:51], v[90:91] neg_lo:[0,1] neg_hi:[0,1]
	s_wait_dscnt 0x0
	v_pk_mul_f32 v[90:91], v[86:87], v[78:79] op_sel:[0,1]
	v_pk_fma_f32 v[92:93], v[86:87], v[76:77], v[90:91] op_sel:[0,0,1] op_sel_hi:[1,1,0] neg_lo:[0,0,1] neg_hi:[0,0,1]
	v_pk_fma_f32 v[86:87], v[86:87], v[76:77], v[90:91] op_sel:[0,0,1] op_sel_hi:[1,0,0]
	v_dual_mul_f32 v90, v89, v79 :: v_dual_mov_b32 v86, v89
	s_delay_alu instid0(VALU_DEP_2) | instskip(NEXT) | instid1(VALU_DEP_2)
	v_dual_mov_b32 v93, v87 :: v_dual_mov_b32 v87, v88
	v_pk_fma_f32 v[90:91], v[88:89], v[20:21], v[90:91] op_sel_hi:[1,1,0] neg_lo:[0,0,1] neg_hi:[0,0,1]
	v_mul_f32_e32 v88, v89, v76
	s_delay_alu instid0(VALU_DEP_3) | instskip(NEXT) | instid1(VALU_DEP_2)
	v_pk_add_f32 v[48:49], v[48:49], v[92:93] neg_lo:[0,1] neg_hi:[0,1]
	v_pk_fma_f32 v[86:87], v[86:87], v[20:21], v[88:89] op_sel_hi:[1,1,0]
	s_delay_alu instid0(VALU_DEP_1) | instskip(SKIP_4) | instid1(VALU_DEP_1)
	v_mov_b32_e32 v91, v87
	ds_load_2addr_b64 v[86:89], v80 offset0:19 offset1:20
	v_pk_add_f32 v[24:25], v[24:25], v[90:91] neg_lo:[0,1] neg_hi:[0,1]
	s_wait_dscnt 0x0
	v_pk_mul_f32 v[90:91], v[86:87], v[78:79] op_sel:[0,1]
	v_pk_fma_f32 v[92:93], v[86:87], v[76:77], v[90:91] op_sel:[0,0,1] op_sel_hi:[1,1,0] neg_lo:[0,0,1] neg_hi:[0,0,1]
	v_pk_fma_f32 v[86:87], v[86:87], v[76:77], v[90:91] op_sel:[0,0,1] op_sel_hi:[1,0,0]
	s_delay_alu instid0(VALU_DEP_1) | instskip(SKIP_1) | instid1(VALU_DEP_1)
	v_mov_b32_e32 v93, v87
	v_pk_mul_f32 v[86:87], v[88:89], v[78:79] op_sel:[0,1]
	v_pk_fma_f32 v[90:91], v[88:89], v[76:77], v[86:87] op_sel:[0,0,1] op_sel_hi:[1,1,0] neg_lo:[0,0,1] neg_hi:[0,0,1]
	v_pk_fma_f32 v[86:87], v[88:89], v[76:77], v[86:87] op_sel:[0,0,1] op_sel_hi:[1,0,0]
	s_delay_alu instid0(VALU_DEP_1)
	v_mov_b32_e32 v91, v87
	ds_load_2addr_b64 v[86:89], v80 offset0:21 offset1:22
	v_pk_add_f32 v[22:23], v[22:23], v[92:93] neg_lo:[0,1] neg_hi:[0,1]
	v_pk_add_f32 v[60:61], v[60:61], v[90:91] neg_lo:[0,1] neg_hi:[0,1]
	s_wait_dscnt 0x0
	v_pk_mul_f32 v[90:91], v[86:87], v[78:79] op_sel:[0,1]
	s_delay_alu instid0(VALU_DEP_1) | instskip(SKIP_1) | instid1(VALU_DEP_1)
	v_pk_fma_f32 v[92:93], v[86:87], v[76:77], v[90:91] op_sel:[0,0,1] op_sel_hi:[1,1,0] neg_lo:[0,0,1] neg_hi:[0,0,1]
	v_pk_fma_f32 v[86:87], v[86:87], v[76:77], v[90:91] op_sel:[0,0,1] op_sel_hi:[1,0,0]
	v_mov_b32_e32 v93, v87
	v_pk_mul_f32 v[86:87], v[88:89], v[78:79] op_sel:[0,1]
	s_delay_alu instid0(VALU_DEP_1) | instskip(SKIP_1) | instid1(VALU_DEP_1)
	v_pk_fma_f32 v[90:91], v[88:89], v[76:77], v[86:87] op_sel:[0,0,1] op_sel_hi:[1,1,0] neg_lo:[0,0,1] neg_hi:[0,0,1]
	v_pk_fma_f32 v[86:87], v[88:89], v[76:77], v[86:87] op_sel:[0,0,1] op_sel_hi:[1,0,0]
	v_mov_b32_e32 v91, v87
	ds_load_2addr_b64 v[86:89], v80 offset0:23 offset1:24
	v_pk_add_f32 v[58:59], v[58:59], v[92:93] neg_lo:[0,1] neg_hi:[0,1]
	v_pk_add_f32 v[32:33], v[32:33], v[90:91] neg_lo:[0,1] neg_hi:[0,1]
	s_wait_dscnt 0x0
	v_dual_mul_f32 v90, v87, v79 :: v_dual_mul_f32 v92, v87, v76
	s_delay_alu instid0(VALU_DEP_1) | instskip(NEXT) | instid1(VALU_DEP_2)
	v_pk_fma_f32 v[90:91], v[86:87], v[20:21], v[90:91] op_sel_hi:[1,1,0] neg_lo:[0,0,1] neg_hi:[0,0,1]
	v_pk_fma_f32 v[86:87], v[86:87], v[20:21], v[92:93] op_sel:[1,0,0] op_sel_hi:[0,1,0]
	s_delay_alu instid0(VALU_DEP_1) | instskip(SKIP_1) | instid1(VALU_DEP_2)
	v_mov_b32_e32 v91, v87
	v_pk_mul_f32 v[86:87], v[88:89], v[78:79] op_sel:[0,1]
	v_pk_add_f32 v[30:31], v[30:31], v[90:91] neg_lo:[0,1] neg_hi:[0,1]
	s_delay_alu instid0(VALU_DEP_2) | instskip(SKIP_1) | instid1(VALU_DEP_1)
	v_pk_fma_f32 v[90:91], v[88:89], v[76:77], v[86:87] op_sel:[0,0,1] op_sel_hi:[1,1,0] neg_lo:[0,0,1] neg_hi:[0,0,1]
	v_pk_fma_f32 v[86:87], v[88:89], v[76:77], v[86:87] op_sel:[0,0,1] op_sel_hi:[1,0,0]
	v_mov_b32_e32 v91, v87
	ds_load_2addr_b64 v[86:89], v80 offset0:25 offset1:26
	v_pk_add_f32 v[68:69], v[68:69], v[90:91] neg_lo:[0,1] neg_hi:[0,1]
	s_wait_dscnt 0x0
	v_pk_mul_f32 v[90:91], v[86:87], v[78:79] op_sel:[0,1]
	s_delay_alu instid0(VALU_DEP_1) | instskip(SKIP_1) | instid1(VALU_DEP_1)
	v_pk_fma_f32 v[92:93], v[86:87], v[76:77], v[90:91] op_sel:[0,0,1] op_sel_hi:[1,1,0] neg_lo:[0,0,1] neg_hi:[0,0,1]
	v_pk_fma_f32 v[86:87], v[86:87], v[76:77], v[90:91] op_sel:[0,0,1] op_sel_hi:[1,0,0]
	v_mov_b32_e32 v93, v87
	v_pk_mul_f32 v[86:87], v[88:89], v[78:79] op_sel:[0,1]
	s_delay_alu instid0(VALU_DEP_2) | instskip(NEXT) | instid1(VALU_DEP_2)
	v_pk_add_f32 v[66:67], v[66:67], v[92:93] neg_lo:[0,1] neg_hi:[0,1]
	v_pk_fma_f32 v[90:91], v[88:89], v[76:77], v[86:87] op_sel:[0,0,1] op_sel_hi:[1,1,0] neg_lo:[0,0,1] neg_hi:[0,0,1]
	v_pk_fma_f32 v[86:87], v[88:89], v[76:77], v[86:87] op_sel:[0,0,1] op_sel_hi:[1,0,0]
	s_delay_alu instid0(VALU_DEP_1) | instskip(SKIP_4) | instid1(VALU_DEP_1)
	v_mov_b32_e32 v91, v87
	ds_load_2addr_b64 v[86:89], v80 offset0:27 offset1:28
	v_pk_add_f32 v[42:43], v[42:43], v[90:91] neg_lo:[0,1] neg_hi:[0,1]
	s_wait_dscnt 0x0
	v_pk_mul_f32 v[90:91], v[86:87], v[78:79] op_sel:[0,1]
	v_pk_fma_f32 v[92:93], v[86:87], v[76:77], v[90:91] op_sel:[0,0,1] op_sel_hi:[1,1,0] neg_lo:[0,0,1] neg_hi:[0,0,1]
	v_pk_fma_f32 v[86:87], v[86:87], v[76:77], v[90:91] op_sel:[0,0,1] op_sel_hi:[1,0,0]
	v_dual_mul_f32 v90, v89, v79 :: v_dual_mov_b32 v86, v89
	s_delay_alu instid0(VALU_DEP_2) | instskip(NEXT) | instid1(VALU_DEP_2)
	v_dual_mov_b32 v93, v87 :: v_dual_mov_b32 v87, v88
	v_pk_fma_f32 v[90:91], v[88:89], v[20:21], v[90:91] op_sel_hi:[1,1,0] neg_lo:[0,0,1] neg_hi:[0,0,1]
	v_mul_f32_e32 v88, v89, v76
	s_delay_alu instid0(VALU_DEP_3) | instskip(NEXT) | instid1(VALU_DEP_2)
	v_pk_add_f32 v[40:41], v[40:41], v[92:93] neg_lo:[0,1] neg_hi:[0,1]
	v_pk_fma_f32 v[86:87], v[86:87], v[20:21], v[88:89] op_sel_hi:[1,1,0]
	s_delay_alu instid0(VALU_DEP_1) | instskip(SKIP_4) | instid1(VALU_DEP_1)
	v_mov_b32_e32 v91, v87
	ds_load_2addr_b64 v[86:89], v80 offset0:29 offset1:30
	v_pk_add_f32 v[64:65], v[64:65], v[90:91] neg_lo:[0,1] neg_hi:[0,1]
	s_wait_dscnt 0x0
	v_pk_mul_f32 v[90:91], v[86:87], v[78:79] op_sel:[0,1]
	v_pk_fma_f32 v[92:93], v[86:87], v[76:77], v[90:91] op_sel:[0,0,1] op_sel_hi:[1,1,0] neg_lo:[0,0,1] neg_hi:[0,0,1]
	v_pk_fma_f32 v[86:87], v[86:87], v[76:77], v[90:91] op_sel:[0,0,1] op_sel_hi:[1,0,0]
	s_delay_alu instid0(VALU_DEP_1) | instskip(SKIP_1) | instid1(VALU_DEP_1)
	v_mov_b32_e32 v93, v87
	v_pk_mul_f32 v[86:87], v[88:89], v[78:79] op_sel:[0,1]
	v_pk_fma_f32 v[90:91], v[88:89], v[76:77], v[86:87] op_sel:[0,0,1] op_sel_hi:[1,1,0] neg_lo:[0,0,1] neg_hi:[0,0,1]
	v_pk_fma_f32 v[86:87], v[88:89], v[76:77], v[86:87] op_sel:[0,0,1] op_sel_hi:[1,0,0]
	s_delay_alu instid0(VALU_DEP_1)
	v_mov_b32_e32 v91, v87
	ds_load_2addr_b64 v[86:89], v80 offset0:31 offset1:32
	v_pk_add_f32 v[62:63], v[62:63], v[92:93] neg_lo:[0,1] neg_hi:[0,1]
	v_pk_add_f32 v[46:47], v[46:47], v[90:91] neg_lo:[0,1] neg_hi:[0,1]
	s_wait_dscnt 0x0
	v_pk_mul_f32 v[90:91], v[86:87], v[78:79] op_sel:[0,1]
	s_delay_alu instid0(VALU_DEP_1) | instskip(SKIP_1) | instid1(VALU_DEP_1)
	v_pk_fma_f32 v[92:93], v[86:87], v[76:77], v[90:91] op_sel:[0,0,1] op_sel_hi:[1,1,0] neg_lo:[0,0,1] neg_hi:[0,0,1]
	v_pk_fma_f32 v[86:87], v[86:87], v[76:77], v[90:91] op_sel:[0,0,1] op_sel_hi:[1,0,0]
	v_mov_b32_e32 v93, v87
	v_pk_mul_f32 v[86:87], v[88:89], v[78:79] op_sel:[0,1]
	s_delay_alu instid0(VALU_DEP_1) | instskip(SKIP_1) | instid1(VALU_DEP_1)
	v_pk_fma_f32 v[90:91], v[88:89], v[76:77], v[86:87] op_sel:[0,0,1] op_sel_hi:[1,1,0] neg_lo:[0,0,1] neg_hi:[0,0,1]
	v_pk_fma_f32 v[86:87], v[88:89], v[76:77], v[86:87] op_sel:[0,0,1] op_sel_hi:[1,0,0]
	v_mov_b32_e32 v91, v87
	ds_load_2addr_b64 v[86:89], v80 offset0:33 offset1:34
	v_pk_add_f32 v[44:45], v[44:45], v[92:93] neg_lo:[0,1] neg_hi:[0,1]
	v_pk_add_f32 v[54:55], v[54:55], v[90:91] neg_lo:[0,1] neg_hi:[0,1]
	s_wait_dscnt 0x0
	v_mul_f32_e32 v78, v87, v79
	s_delay_alu instid0(VALU_DEP_1) | instskip(SKIP_1) | instid1(VALU_DEP_1)
	v_pk_fma_f32 v[90:91], v[86:87], v[20:21], v[78:79] op_sel_hi:[1,1,0] neg_lo:[0,0,1] neg_hi:[0,0,1]
	v_dual_mul_f32 v78, v87, v76 :: v_dual_mul_f32 v76, v89, v76
	v_pk_fma_f32 v[86:87], v[86:87], v[20:21], v[78:79] op_sel:[1,0,0] op_sel_hi:[0,1,0]
	v_dual_mov_b32 v86, v89 :: v_dual_mul_f32 v78, v89, v79
	s_delay_alu instid0(VALU_DEP_2) | instskip(NEXT) | instid1(VALU_DEP_2)
	v_dual_mov_b32 v91, v87 :: v_dual_mov_b32 v87, v88
	v_pk_fma_f32 v[78:79], v[88:89], v[20:21], v[78:79] op_sel_hi:[1,1,0] neg_lo:[0,0,1] neg_hi:[0,0,1]
	s_delay_alu instid0(VALU_DEP_2) | instskip(NEXT) | instid1(VALU_DEP_3)
	v_pk_add_f32 v[52:53], v[52:53], v[90:91] neg_lo:[0,1] neg_hi:[0,1]
	v_pk_fma_f32 v[76:77], v[86:87], v[20:21], v[76:77] op_sel_hi:[1,1,0]
	s_delay_alu instid0(VALU_DEP_1) | instskip(NEXT) | instid1(VALU_DEP_1)
	v_mov_b32_e32 v79, v77
	v_pk_add_f32 v[74:75], v[74:75], v[78:79] neg_lo:[0,1] neg_hi:[0,1]
.LBB68_104:
	s_or_b32 exec_lo, exec_lo, s0
	v_lshl_add_u32 v76, v84, 3, v80
	s_barrier_signal -1
	s_barrier_wait -1
	ds_store_b64 v76, v[18:19]
	s_wait_dscnt 0x0
	s_barrier_signal -1
	s_barrier_wait -1
	ds_load_b64 v[78:79], v80 offset:40
	v_mov_b32_e32 v76, 5
	s_cmp_lt_i32 s14, 7
	s_cbranch_scc1 .LBB68_107
; %bb.105:
	v_add3_u32 v77, v81, 0, 48
	v_mov_b32_e32 v76, 5
	s_mov_b32 s0, 6
.LBB68_106:                             ; =>This Inner Loop Header: Depth=1
	ds_load_b64 v[86:87], v77
	s_wait_dscnt 0x1
	v_cmp_gt_f32_e32 vcc_lo, 0, v78
	v_cndmask_b32_e64 v88, v78, -v78, vcc_lo
	v_cmp_gt_f32_e32 vcc_lo, 0, v79
	v_cndmask_b32_e64 v90, v79, -v79, vcc_lo
	s_wait_dscnt 0x0
	v_cmp_gt_f32_e32 vcc_lo, 0, v86
	v_cndmask_b32_e64 v89, v86, -v86, vcc_lo
	v_cmp_gt_f32_e32 vcc_lo, 0, v87
	v_cndmask_b32_e64 v91, v87, -v87, vcc_lo
	s_delay_alu instid0(VALU_DEP_1) | instskip(NEXT) | instid1(VALU_DEP_1)
	v_pk_add_f32 v[88:89], v[88:89], v[90:91]
	v_cmp_lt_f32_e32 vcc_lo, v88, v89
	v_dual_add_nc_u32 v77, 8, v77 :: v_dual_cndmask_b32 v79, v79, v87, vcc_lo
	v_cndmask_b32_e32 v78, v78, v86, vcc_lo
	v_cndmask_b32_e64 v76, v76, s0, vcc_lo
	s_add_co_i32 s0, s0, 1
	s_delay_alu instid0(SALU_CYCLE_1)
	s_cmp_lg_u32 s14, s0
	s_cbranch_scc1 .LBB68_106
.LBB68_107:
	s_wait_dscnt 0x0
	v_cmp_eq_f32_e32 vcc_lo, 0, v78
	v_cmp_eq_f32_e64 s0, 0, v79
	s_and_b32 s0, vcc_lo, s0
	s_delay_alu instid0(SALU_CYCLE_1) | instskip(NEXT) | instid1(SALU_CYCLE_1)
	s_and_saveexec_b32 s1, s0
	s_xor_b32 s0, exec_lo, s1
; %bb.108:
	v_cmp_ne_u32_e32 vcc_lo, 0, v82
	v_cndmask_b32_e32 v82, 6, v82, vcc_lo
; %bb.109:
	s_and_not1_saveexec_b32 s0, s0
	s_cbranch_execz .LBB68_115
; %bb.110:
	v_cmp_ngt_f32_e64 s1, |v78|, |v79|
	s_and_saveexec_b32 s15, s1
	s_delay_alu instid0(SALU_CYCLE_1)
	s_xor_b32 s1, exec_lo, s15
	s_cbranch_execz .LBB68_112
; %bb.111:
	v_div_scale_f32 v77, null, v79, v79, v78
	v_div_scale_f32 v87, vcc_lo, v78, v79, v78
	s_delay_alu instid0(VALU_DEP_2) | instskip(SKIP_1) | instid1(TRANS32_DEP_1)
	v_rcp_f32_e32 v85, v77
	v_nop
	v_fma_f32 v86, -v77, v85, 1.0
	s_delay_alu instid0(VALU_DEP_1) | instskip(NEXT) | instid1(VALU_DEP_1)
	v_fmac_f32_e32 v85, v86, v85
	v_mul_f32_e32 v86, v87, v85
	s_delay_alu instid0(VALU_DEP_1) | instskip(NEXT) | instid1(VALU_DEP_1)
	v_fma_f32 v88, -v77, v86, v87
	v_fmac_f32_e32 v86, v88, v85
	s_delay_alu instid0(VALU_DEP_1) | instskip(NEXT) | instid1(VALU_DEP_1)
	v_fma_f32 v77, -v77, v86, v87
	v_div_fmas_f32 v77, v77, v85, v86
	s_delay_alu instid0(VALU_DEP_1) | instskip(NEXT) | instid1(VALU_DEP_1)
	v_div_fixup_f32 v77, v77, v79, v78
	v_fmac_f32_e32 v79, v78, v77
	s_delay_alu instid0(VALU_DEP_1) | instskip(SKIP_1) | instid1(VALU_DEP_2)
	v_div_scale_f32 v78, null, v79, v79, 1.0
	v_div_scale_f32 v87, vcc_lo, 1.0, v79, 1.0
	v_rcp_f32_e32 v85, v78
	v_nop
	s_delay_alu instid0(TRANS32_DEP_1) | instskip(NEXT) | instid1(VALU_DEP_1)
	v_fma_f32 v86, -v78, v85, 1.0
	v_fmac_f32_e32 v85, v86, v85
	s_delay_alu instid0(VALU_DEP_1) | instskip(NEXT) | instid1(VALU_DEP_1)
	v_mul_f32_e32 v86, v87, v85
	v_fma_f32 v88, -v78, v86, v87
	s_delay_alu instid0(VALU_DEP_1) | instskip(NEXT) | instid1(VALU_DEP_1)
	v_fmac_f32_e32 v86, v88, v85
	v_fma_f32 v78, -v78, v86, v87
	s_delay_alu instid0(VALU_DEP_1) | instskip(NEXT) | instid1(VALU_DEP_1)
	v_div_fmas_f32 v78, v78, v85, v86
	v_div_fixup_f32 v79, v78, v79, 1.0
	s_delay_alu instid0(VALU_DEP_1)
	v_mul_f32_e32 v78, v77, v79
	v_xor_b32_e32 v79, 0x80000000, v79
.LBB68_112:
	s_and_not1_saveexec_b32 s1, s1
	s_cbranch_execz .LBB68_114
; %bb.113:
	s_delay_alu instid0(VALU_DEP_1) | instskip(SKIP_1) | instid1(VALU_DEP_2)
	v_div_scale_f32 v77, null, v78, v78, v79
	v_div_scale_f32 v87, vcc_lo, v79, v78, v79
	v_rcp_f32_e32 v85, v77
	v_nop
	s_delay_alu instid0(TRANS32_DEP_1) | instskip(NEXT) | instid1(VALU_DEP_1)
	v_fma_f32 v86, -v77, v85, 1.0
	v_fmac_f32_e32 v85, v86, v85
	s_delay_alu instid0(VALU_DEP_1) | instskip(NEXT) | instid1(VALU_DEP_1)
	v_mul_f32_e32 v86, v87, v85
	v_fma_f32 v88, -v77, v86, v87
	s_delay_alu instid0(VALU_DEP_1) | instskip(NEXT) | instid1(VALU_DEP_1)
	v_fmac_f32_e32 v86, v88, v85
	v_fma_f32 v77, -v77, v86, v87
	s_delay_alu instid0(VALU_DEP_1) | instskip(NEXT) | instid1(VALU_DEP_1)
	v_div_fmas_f32 v77, v77, v85, v86
	v_div_fixup_f32 v77, v77, v78, v79
	s_delay_alu instid0(VALU_DEP_1) | instskip(NEXT) | instid1(VALU_DEP_1)
	v_fmac_f32_e32 v78, v79, v77
	v_div_scale_f32 v79, null, v78, v78, 1.0
	s_delay_alu instid0(VALU_DEP_1) | instskip(SKIP_1) | instid1(TRANS32_DEP_1)
	v_rcp_f32_e32 v85, v79
	v_nop
	v_fma_f32 v86, -v79, v85, 1.0
	s_delay_alu instid0(VALU_DEP_1) | instskip(SKIP_1) | instid1(VALU_DEP_1)
	v_fmac_f32_e32 v85, v86, v85
	v_div_scale_f32 v86, vcc_lo, 1.0, v78, 1.0
	v_mul_f32_e32 v87, v86, v85
	s_delay_alu instid0(VALU_DEP_1) | instskip(NEXT) | instid1(VALU_DEP_1)
	v_fma_f32 v88, -v79, v87, v86
	v_fmac_f32_e32 v87, v88, v85
	s_delay_alu instid0(VALU_DEP_1) | instskip(NEXT) | instid1(VALU_DEP_1)
	v_fma_f32 v79, -v79, v87, v86
	v_div_fmas_f32 v79, v79, v85, v87
	s_delay_alu instid0(VALU_DEP_1) | instskip(NEXT) | instid1(VALU_DEP_1)
	v_div_fixup_f32 v78, v79, v78, 1.0
	v_mul_f32_e64 v79, v77, -v78
.LBB68_114:
	s_or_b32 exec_lo, exec_lo, s1
.LBB68_115:
	s_delay_alu instid0(SALU_CYCLE_1) | instskip(NEXT) | instid1(SALU_CYCLE_1)
	s_or_b32 exec_lo, exec_lo, s0
	s_mov_b32 s0, exec_lo
	v_cmpx_ne_u32_e64 v84, v76
	s_xor_b32 s0, exec_lo, s0
	s_cbranch_execz .LBB68_121
; %bb.116:
	s_mov_b32 s1, exec_lo
	v_cmpx_eq_u32_e32 5, v84
	s_cbranch_execz .LBB68_120
; %bb.117:
	v_cmp_ne_u32_e32 vcc_lo, 5, v76
	s_xor_b32 s15, s12, -1
	s_delay_alu instid0(SALU_CYCLE_1) | instskip(NEXT) | instid1(SALU_CYCLE_1)
	s_and_b32 s16, s15, vcc_lo
	s_and_saveexec_b32 s15, s16
	s_cbranch_execz .LBB68_119
; %bb.118:
	v_ashrrev_i32_e32 v77, 31, v76
	s_delay_alu instid0(VALU_DEP_1)
	v_lshl_add_u64 v[84:85], v[76:77], 2, v[4:5]
	s_clause 0x1
	global_load_b32 v77, v[84:85], off
	global_load_b32 v83, v[4:5], off offset:20
	s_wait_loadcnt 0x1
	global_store_b32 v[4:5], v77, off offset:20
	s_wait_loadcnt 0x0
	global_store_b32 v[84:85], v83, off
.LBB68_119:
	s_wait_xcnt 0x0
	s_or_b32 exec_lo, exec_lo, s15
	v_dual_mov_b32 v84, v76 :: v_dual_mov_b32 v83, v76
.LBB68_120:
	s_or_b32 exec_lo, exec_lo, s1
.LBB68_121:
	s_and_not1_saveexec_b32 s0, s0
	s_cbranch_execz .LBB68_123
; %bb.122:
	v_dual_mov_b32 v76, v8 :: v_dual_mov_b32 v77, v9
	v_dual_mov_b32 v84, v6 :: v_dual_mov_b32 v85, v7
	ds_store_2addr_b64 v80, v[76:77], v[84:85] offset0:6 offset1:7
	v_dual_mov_b32 v76, v28 :: v_dual_mov_b32 v77, v29
	v_dual_mov_b32 v84, v26 :: v_dual_mov_b32 v85, v27
	ds_store_2addr_b64 v80, v[76:77], v[84:85] offset0:8 offset1:9
	;; [unrolled: 3-line block ×14, first 2 shown]
	ds_store_b64 v80, v[74:75] offset:272
	v_mov_b32_e32 v84, 5
.LBB68_123:
	s_or_b32 exec_lo, exec_lo, s0
	s_delay_alu instid0(SALU_CYCLE_1)
	s_mov_b32 s0, exec_lo
	s_wait_storecnt_dscnt 0x0
	s_barrier_signal -1
	s_barrier_wait -1
	v_cmpx_lt_i32_e32 5, v84
	s_cbranch_execz .LBB68_125
; %bb.124:
	v_pk_mul_f32 v[86:87], v[78:79], v[18:19] op_sel:[1,1] op_sel_hi:[0,1]
	s_delay_alu instid0(VALU_DEP_1)
	v_pk_fma_f32 v[76:77], v[78:79], v[18:19], v[86:87] op_sel_hi:[1,0,1] neg_lo:[0,0,1] neg_hi:[0,0,1]
	v_pk_fma_f32 v[78:79], v[78:79], v[18:19], v[86:87] op_sel_hi:[1,0,1]
	ds_load_2addr_b64 v[86:89], v80 offset0:6 offset1:7
	v_dual_mov_b32 v18, v76 :: v_dual_mov_b32 v19, v79
	s_wait_dscnt 0x0
	v_pk_mul_f32 v[90:91], v[86:87], v[78:79] op_sel:[0,1]
	s_delay_alu instid0(VALU_DEP_1) | instskip(SKIP_1) | instid1(VALU_DEP_1)
	v_pk_fma_f32 v[92:93], v[86:87], v[76:77], v[90:91] op_sel:[0,0,1] op_sel_hi:[1,1,0] neg_lo:[0,0,1] neg_hi:[0,0,1]
	v_pk_fma_f32 v[86:87], v[86:87], v[76:77], v[90:91] op_sel:[0,0,1] op_sel_hi:[1,0,0]
	v_mov_b32_e32 v93, v87
	v_pk_mul_f32 v[86:87], v[88:89], v[78:79] op_sel:[0,1]
	s_delay_alu instid0(VALU_DEP_1) | instskip(SKIP_1) | instid1(VALU_DEP_1)
	v_pk_fma_f32 v[90:91], v[88:89], v[76:77], v[86:87] op_sel:[0,0,1] op_sel_hi:[1,1,0] neg_lo:[0,0,1] neg_hi:[0,0,1]
	v_pk_fma_f32 v[86:87], v[88:89], v[76:77], v[86:87] op_sel:[0,0,1] op_sel_hi:[1,0,0]
	v_mov_b32_e32 v91, v87
	ds_load_2addr_b64 v[86:89], v80 offset0:8 offset1:9
	v_pk_add_f32 v[8:9], v[8:9], v[92:93] neg_lo:[0,1] neg_hi:[0,1]
	v_pk_add_f32 v[6:7], v[6:7], v[90:91] neg_lo:[0,1] neg_hi:[0,1]
	s_wait_dscnt 0x0
	v_pk_mul_f32 v[90:91], v[86:87], v[78:79] op_sel:[0,1]
	s_delay_alu instid0(VALU_DEP_1) | instskip(SKIP_2) | instid1(VALU_DEP_2)
	v_pk_fma_f32 v[92:93], v[86:87], v[76:77], v[90:91] op_sel:[0,0,1] op_sel_hi:[1,1,0] neg_lo:[0,0,1] neg_hi:[0,0,1]
	v_pk_fma_f32 v[86:87], v[86:87], v[76:77], v[90:91] op_sel:[0,0,1] op_sel_hi:[1,0,0]
	v_dual_mul_f32 v90, v89, v79 :: v_dual_mov_b32 v86, v89
	v_dual_mov_b32 v93, v87 :: v_dual_mov_b32 v87, v88
	s_delay_alu instid0(VALU_DEP_2) | instskip(SKIP_1) | instid1(VALU_DEP_3)
	v_pk_fma_f32 v[90:91], v[88:89], v[18:19], v[90:91] op_sel_hi:[1,1,0] neg_lo:[0,0,1] neg_hi:[0,0,1]
	v_mul_f32_e32 v88, v89, v76
	v_pk_add_f32 v[28:29], v[28:29], v[92:93] neg_lo:[0,1] neg_hi:[0,1]
	s_delay_alu instid0(VALU_DEP_2) | instskip(NEXT) | instid1(VALU_DEP_1)
	v_pk_fma_f32 v[86:87], v[86:87], v[18:19], v[88:89] op_sel_hi:[1,1,0]
	v_mov_b32_e32 v91, v87
	ds_load_2addr_b64 v[86:89], v80 offset0:10 offset1:11
	v_pk_add_f32 v[26:27], v[26:27], v[90:91] neg_lo:[0,1] neg_hi:[0,1]
	s_wait_dscnt 0x0
	v_pk_mul_f32 v[90:91], v[86:87], v[78:79] op_sel:[0,1]
	s_delay_alu instid0(VALU_DEP_1) | instskip(SKIP_1) | instid1(VALU_DEP_1)
	v_pk_fma_f32 v[92:93], v[86:87], v[76:77], v[90:91] op_sel:[0,0,1] op_sel_hi:[1,1,0] neg_lo:[0,0,1] neg_hi:[0,0,1]
	v_pk_fma_f32 v[86:87], v[86:87], v[76:77], v[90:91] op_sel:[0,0,1] op_sel_hi:[1,0,0]
	v_mov_b32_e32 v93, v87
	v_pk_mul_f32 v[86:87], v[88:89], v[78:79] op_sel:[0,1]
	s_delay_alu instid0(VALU_DEP_1) | instskip(SKIP_1) | instid1(VALU_DEP_1)
	v_pk_fma_f32 v[90:91], v[88:89], v[76:77], v[86:87] op_sel:[0,0,1] op_sel_hi:[1,1,0] neg_lo:[0,0,1] neg_hi:[0,0,1]
	v_pk_fma_f32 v[86:87], v[88:89], v[76:77], v[86:87] op_sel:[0,0,1] op_sel_hi:[1,0,0]
	v_mov_b32_e32 v91, v87
	ds_load_2addr_b64 v[86:89], v80 offset0:12 offset1:13
	v_pk_add_f32 v[12:13], v[12:13], v[92:93] neg_lo:[0,1] neg_hi:[0,1]
	v_pk_add_f32 v[10:11], v[10:11], v[90:91] neg_lo:[0,1] neg_hi:[0,1]
	s_wait_dscnt 0x0
	v_pk_mul_f32 v[90:91], v[86:87], v[78:79] op_sel:[0,1]
	s_delay_alu instid0(VALU_DEP_1) | instskip(SKIP_1) | instid1(VALU_DEP_1)
	v_pk_fma_f32 v[92:93], v[86:87], v[76:77], v[90:91] op_sel:[0,0,1] op_sel_hi:[1,1,0] neg_lo:[0,0,1] neg_hi:[0,0,1]
	v_pk_fma_f32 v[86:87], v[86:87], v[76:77], v[90:91] op_sel:[0,0,1] op_sel_hi:[1,0,0]
	v_mov_b32_e32 v93, v87
	v_pk_mul_f32 v[86:87], v[88:89], v[78:79] op_sel:[0,1]
	s_delay_alu instid0(VALU_DEP_1) | instskip(SKIP_1) | instid1(VALU_DEP_1)
	v_pk_fma_f32 v[90:91], v[88:89], v[76:77], v[86:87] op_sel:[0,0,1] op_sel_hi:[1,1,0] neg_lo:[0,0,1] neg_hi:[0,0,1]
	v_pk_fma_f32 v[86:87], v[88:89], v[76:77], v[86:87] op_sel:[0,0,1] op_sel_hi:[1,0,0]
	v_mov_b32_e32 v91, v87
	ds_load_2addr_b64 v[86:89], v80 offset0:14 offset1:15
	v_pk_add_f32 v[36:37], v[36:37], v[92:93] neg_lo:[0,1] neg_hi:[0,1]
	v_pk_add_f32 v[34:35], v[34:35], v[90:91] neg_lo:[0,1] neg_hi:[0,1]
	s_wait_dscnt 0x0
	v_dual_mul_f32 v90, v87, v79 :: v_dual_mul_f32 v92, v87, v76
	s_delay_alu instid0(VALU_DEP_1) | instskip(NEXT) | instid1(VALU_DEP_2)
	v_pk_fma_f32 v[90:91], v[86:87], v[18:19], v[90:91] op_sel_hi:[1,1,0] neg_lo:[0,0,1] neg_hi:[0,0,1]
	v_pk_fma_f32 v[86:87], v[86:87], v[18:19], v[92:93] op_sel:[1,0,0] op_sel_hi:[0,1,0]
	s_delay_alu instid0(VALU_DEP_1) | instskip(SKIP_1) | instid1(VALU_DEP_2)
	v_mov_b32_e32 v91, v87
	v_pk_mul_f32 v[86:87], v[88:89], v[78:79] op_sel:[0,1]
	v_pk_add_f32 v[16:17], v[16:17], v[90:91] neg_lo:[0,1] neg_hi:[0,1]
	s_delay_alu instid0(VALU_DEP_2) | instskip(SKIP_1) | instid1(VALU_DEP_1)
	v_pk_fma_f32 v[90:91], v[88:89], v[76:77], v[86:87] op_sel:[0,0,1] op_sel_hi:[1,1,0] neg_lo:[0,0,1] neg_hi:[0,0,1]
	v_pk_fma_f32 v[86:87], v[88:89], v[76:77], v[86:87] op_sel:[0,0,1] op_sel_hi:[1,0,0]
	v_mov_b32_e32 v91, v87
	ds_load_2addr_b64 v[86:89], v80 offset0:16 offset1:17
	v_pk_add_f32 v[14:15], v[14:15], v[90:91] neg_lo:[0,1] neg_hi:[0,1]
	s_wait_dscnt 0x0
	v_pk_mul_f32 v[90:91], v[86:87], v[78:79] op_sel:[0,1]
	s_delay_alu instid0(VALU_DEP_1) | instskip(SKIP_1) | instid1(VALU_DEP_1)
	v_pk_fma_f32 v[92:93], v[86:87], v[76:77], v[90:91] op_sel:[0,0,1] op_sel_hi:[1,1,0] neg_lo:[0,0,1] neg_hi:[0,0,1]
	v_pk_fma_f32 v[86:87], v[86:87], v[76:77], v[90:91] op_sel:[0,0,1] op_sel_hi:[1,0,0]
	v_mov_b32_e32 v93, v87
	v_pk_mul_f32 v[86:87], v[88:89], v[78:79] op_sel:[0,1]
	s_delay_alu instid0(VALU_DEP_2) | instskip(NEXT) | instid1(VALU_DEP_2)
	v_pk_add_f32 v[50:51], v[50:51], v[92:93] neg_lo:[0,1] neg_hi:[0,1]
	v_pk_fma_f32 v[90:91], v[88:89], v[76:77], v[86:87] op_sel:[0,0,1] op_sel_hi:[1,1,0] neg_lo:[0,0,1] neg_hi:[0,0,1]
	v_pk_fma_f32 v[86:87], v[88:89], v[76:77], v[86:87] op_sel:[0,0,1] op_sel_hi:[1,0,0]
	s_delay_alu instid0(VALU_DEP_1) | instskip(SKIP_4) | instid1(VALU_DEP_1)
	v_mov_b32_e32 v91, v87
	ds_load_2addr_b64 v[86:89], v80 offset0:18 offset1:19
	v_pk_add_f32 v[48:49], v[48:49], v[90:91] neg_lo:[0,1] neg_hi:[0,1]
	s_wait_dscnt 0x0
	v_pk_mul_f32 v[90:91], v[86:87], v[78:79] op_sel:[0,1]
	v_pk_fma_f32 v[92:93], v[86:87], v[76:77], v[90:91] op_sel:[0,0,1] op_sel_hi:[1,1,0] neg_lo:[0,0,1] neg_hi:[0,0,1]
	v_pk_fma_f32 v[86:87], v[86:87], v[76:77], v[90:91] op_sel:[0,0,1] op_sel_hi:[1,0,0]
	v_dual_mul_f32 v90, v89, v79 :: v_dual_mov_b32 v86, v89
	s_delay_alu instid0(VALU_DEP_2) | instskip(NEXT) | instid1(VALU_DEP_2)
	v_dual_mov_b32 v93, v87 :: v_dual_mov_b32 v87, v88
	v_pk_fma_f32 v[90:91], v[88:89], v[18:19], v[90:91] op_sel_hi:[1,1,0] neg_lo:[0,0,1] neg_hi:[0,0,1]
	v_mul_f32_e32 v88, v89, v76
	s_delay_alu instid0(VALU_DEP_3) | instskip(NEXT) | instid1(VALU_DEP_2)
	v_pk_add_f32 v[24:25], v[24:25], v[92:93] neg_lo:[0,1] neg_hi:[0,1]
	v_pk_fma_f32 v[86:87], v[86:87], v[18:19], v[88:89] op_sel_hi:[1,1,0]
	s_delay_alu instid0(VALU_DEP_1) | instskip(SKIP_4) | instid1(VALU_DEP_1)
	v_mov_b32_e32 v91, v87
	ds_load_2addr_b64 v[86:89], v80 offset0:20 offset1:21
	v_pk_add_f32 v[22:23], v[22:23], v[90:91] neg_lo:[0,1] neg_hi:[0,1]
	s_wait_dscnt 0x0
	v_pk_mul_f32 v[90:91], v[86:87], v[78:79] op_sel:[0,1]
	v_pk_fma_f32 v[92:93], v[86:87], v[76:77], v[90:91] op_sel:[0,0,1] op_sel_hi:[1,1,0] neg_lo:[0,0,1] neg_hi:[0,0,1]
	v_pk_fma_f32 v[86:87], v[86:87], v[76:77], v[90:91] op_sel:[0,0,1] op_sel_hi:[1,0,0]
	s_delay_alu instid0(VALU_DEP_1) | instskip(SKIP_1) | instid1(VALU_DEP_1)
	v_mov_b32_e32 v93, v87
	v_pk_mul_f32 v[86:87], v[88:89], v[78:79] op_sel:[0,1]
	v_pk_fma_f32 v[90:91], v[88:89], v[76:77], v[86:87] op_sel:[0,0,1] op_sel_hi:[1,1,0] neg_lo:[0,0,1] neg_hi:[0,0,1]
	v_pk_fma_f32 v[86:87], v[88:89], v[76:77], v[86:87] op_sel:[0,0,1] op_sel_hi:[1,0,0]
	s_delay_alu instid0(VALU_DEP_1)
	v_mov_b32_e32 v91, v87
	ds_load_2addr_b64 v[86:89], v80 offset0:22 offset1:23
	v_pk_add_f32 v[60:61], v[60:61], v[92:93] neg_lo:[0,1] neg_hi:[0,1]
	v_pk_add_f32 v[58:59], v[58:59], v[90:91] neg_lo:[0,1] neg_hi:[0,1]
	s_wait_dscnt 0x0
	v_pk_mul_f32 v[90:91], v[86:87], v[78:79] op_sel:[0,1]
	s_delay_alu instid0(VALU_DEP_1) | instskip(SKIP_1) | instid1(VALU_DEP_1)
	v_pk_fma_f32 v[92:93], v[86:87], v[76:77], v[90:91] op_sel:[0,0,1] op_sel_hi:[1,1,0] neg_lo:[0,0,1] neg_hi:[0,0,1]
	v_pk_fma_f32 v[86:87], v[86:87], v[76:77], v[90:91] op_sel:[0,0,1] op_sel_hi:[1,0,0]
	v_mov_b32_e32 v93, v87
	v_pk_mul_f32 v[86:87], v[88:89], v[78:79] op_sel:[0,1]
	s_delay_alu instid0(VALU_DEP_1) | instskip(SKIP_1) | instid1(VALU_DEP_1)
	v_pk_fma_f32 v[90:91], v[88:89], v[76:77], v[86:87] op_sel:[0,0,1] op_sel_hi:[1,1,0] neg_lo:[0,0,1] neg_hi:[0,0,1]
	v_pk_fma_f32 v[86:87], v[88:89], v[76:77], v[86:87] op_sel:[0,0,1] op_sel_hi:[1,0,0]
	v_mov_b32_e32 v91, v87
	ds_load_2addr_b64 v[86:89], v80 offset0:24 offset1:25
	v_pk_add_f32 v[32:33], v[32:33], v[92:93] neg_lo:[0,1] neg_hi:[0,1]
	v_pk_add_f32 v[30:31], v[30:31], v[90:91] neg_lo:[0,1] neg_hi:[0,1]
	s_wait_dscnt 0x0
	v_dual_mul_f32 v90, v87, v79 :: v_dual_mul_f32 v92, v87, v76
	s_delay_alu instid0(VALU_DEP_1) | instskip(NEXT) | instid1(VALU_DEP_2)
	v_pk_fma_f32 v[90:91], v[86:87], v[18:19], v[90:91] op_sel_hi:[1,1,0] neg_lo:[0,0,1] neg_hi:[0,0,1]
	v_pk_fma_f32 v[86:87], v[86:87], v[18:19], v[92:93] op_sel:[1,0,0] op_sel_hi:[0,1,0]
	s_delay_alu instid0(VALU_DEP_1) | instskip(SKIP_1) | instid1(VALU_DEP_2)
	v_mov_b32_e32 v91, v87
	v_pk_mul_f32 v[86:87], v[88:89], v[78:79] op_sel:[0,1]
	v_pk_add_f32 v[68:69], v[68:69], v[90:91] neg_lo:[0,1] neg_hi:[0,1]
	s_delay_alu instid0(VALU_DEP_2) | instskip(SKIP_1) | instid1(VALU_DEP_1)
	v_pk_fma_f32 v[90:91], v[88:89], v[76:77], v[86:87] op_sel:[0,0,1] op_sel_hi:[1,1,0] neg_lo:[0,0,1] neg_hi:[0,0,1]
	v_pk_fma_f32 v[86:87], v[88:89], v[76:77], v[86:87] op_sel:[0,0,1] op_sel_hi:[1,0,0]
	v_mov_b32_e32 v91, v87
	ds_load_2addr_b64 v[86:89], v80 offset0:26 offset1:27
	v_pk_add_f32 v[66:67], v[66:67], v[90:91] neg_lo:[0,1] neg_hi:[0,1]
	s_wait_dscnt 0x0
	v_pk_mul_f32 v[90:91], v[86:87], v[78:79] op_sel:[0,1]
	s_delay_alu instid0(VALU_DEP_1) | instskip(SKIP_1) | instid1(VALU_DEP_1)
	v_pk_fma_f32 v[92:93], v[86:87], v[76:77], v[90:91] op_sel:[0,0,1] op_sel_hi:[1,1,0] neg_lo:[0,0,1] neg_hi:[0,0,1]
	v_pk_fma_f32 v[86:87], v[86:87], v[76:77], v[90:91] op_sel:[0,0,1] op_sel_hi:[1,0,0]
	v_mov_b32_e32 v93, v87
	v_pk_mul_f32 v[86:87], v[88:89], v[78:79] op_sel:[0,1]
	s_delay_alu instid0(VALU_DEP_2) | instskip(NEXT) | instid1(VALU_DEP_2)
	v_pk_add_f32 v[42:43], v[42:43], v[92:93] neg_lo:[0,1] neg_hi:[0,1]
	v_pk_fma_f32 v[90:91], v[88:89], v[76:77], v[86:87] op_sel:[0,0,1] op_sel_hi:[1,1,0] neg_lo:[0,0,1] neg_hi:[0,0,1]
	v_pk_fma_f32 v[86:87], v[88:89], v[76:77], v[86:87] op_sel:[0,0,1] op_sel_hi:[1,0,0]
	s_delay_alu instid0(VALU_DEP_1) | instskip(SKIP_4) | instid1(VALU_DEP_1)
	v_mov_b32_e32 v91, v87
	ds_load_2addr_b64 v[86:89], v80 offset0:28 offset1:29
	v_pk_add_f32 v[40:41], v[40:41], v[90:91] neg_lo:[0,1] neg_hi:[0,1]
	s_wait_dscnt 0x0
	v_pk_mul_f32 v[90:91], v[86:87], v[78:79] op_sel:[0,1]
	v_pk_fma_f32 v[92:93], v[86:87], v[76:77], v[90:91] op_sel:[0,0,1] op_sel_hi:[1,1,0] neg_lo:[0,0,1] neg_hi:[0,0,1]
	v_pk_fma_f32 v[86:87], v[86:87], v[76:77], v[90:91] op_sel:[0,0,1] op_sel_hi:[1,0,0]
	v_dual_mul_f32 v90, v89, v79 :: v_dual_mov_b32 v86, v89
	s_delay_alu instid0(VALU_DEP_2) | instskip(NEXT) | instid1(VALU_DEP_2)
	v_dual_mov_b32 v93, v87 :: v_dual_mov_b32 v87, v88
	v_pk_fma_f32 v[90:91], v[88:89], v[18:19], v[90:91] op_sel_hi:[1,1,0] neg_lo:[0,0,1] neg_hi:[0,0,1]
	v_mul_f32_e32 v88, v89, v76
	s_delay_alu instid0(VALU_DEP_3) | instskip(NEXT) | instid1(VALU_DEP_2)
	v_pk_add_f32 v[64:65], v[64:65], v[92:93] neg_lo:[0,1] neg_hi:[0,1]
	v_pk_fma_f32 v[86:87], v[86:87], v[18:19], v[88:89] op_sel_hi:[1,1,0]
	s_delay_alu instid0(VALU_DEP_1) | instskip(SKIP_4) | instid1(VALU_DEP_1)
	v_mov_b32_e32 v91, v87
	ds_load_2addr_b64 v[86:89], v80 offset0:30 offset1:31
	v_pk_add_f32 v[62:63], v[62:63], v[90:91] neg_lo:[0,1] neg_hi:[0,1]
	s_wait_dscnt 0x0
	v_pk_mul_f32 v[90:91], v[86:87], v[78:79] op_sel:[0,1]
	v_pk_fma_f32 v[92:93], v[86:87], v[76:77], v[90:91] op_sel:[0,0,1] op_sel_hi:[1,1,0] neg_lo:[0,0,1] neg_hi:[0,0,1]
	v_pk_fma_f32 v[86:87], v[86:87], v[76:77], v[90:91] op_sel:[0,0,1] op_sel_hi:[1,0,0]
	s_delay_alu instid0(VALU_DEP_1) | instskip(SKIP_1) | instid1(VALU_DEP_1)
	v_mov_b32_e32 v93, v87
	v_pk_mul_f32 v[86:87], v[88:89], v[78:79] op_sel:[0,1]
	v_pk_fma_f32 v[90:91], v[88:89], v[76:77], v[86:87] op_sel:[0,0,1] op_sel_hi:[1,1,0] neg_lo:[0,0,1] neg_hi:[0,0,1]
	v_pk_fma_f32 v[86:87], v[88:89], v[76:77], v[86:87] op_sel:[0,0,1] op_sel_hi:[1,0,0]
	s_delay_alu instid0(VALU_DEP_1)
	v_mov_b32_e32 v91, v87
	ds_load_2addr_b64 v[86:89], v80 offset0:32 offset1:33
	v_pk_add_f32 v[46:47], v[46:47], v[92:93] neg_lo:[0,1] neg_hi:[0,1]
	v_pk_add_f32 v[44:45], v[44:45], v[90:91] neg_lo:[0,1] neg_hi:[0,1]
	s_wait_dscnt 0x0
	v_pk_mul_f32 v[90:91], v[86:87], v[78:79] op_sel:[0,1]
	s_delay_alu instid0(VALU_DEP_1) | instskip(SKIP_1) | instid1(VALU_DEP_1)
	v_pk_fma_f32 v[92:93], v[86:87], v[76:77], v[90:91] op_sel:[0,0,1] op_sel_hi:[1,1,0] neg_lo:[0,0,1] neg_hi:[0,0,1]
	v_pk_fma_f32 v[86:87], v[86:87], v[76:77], v[90:91] op_sel:[0,0,1] op_sel_hi:[1,0,0]
	v_mov_b32_e32 v93, v87
	v_pk_mul_f32 v[86:87], v[88:89], v[78:79] op_sel:[0,1]
	s_delay_alu instid0(VALU_DEP_1) | instskip(SKIP_1) | instid1(VALU_DEP_1)
	v_pk_fma_f32 v[90:91], v[88:89], v[76:77], v[86:87] op_sel:[0,0,1] op_sel_hi:[1,1,0] neg_lo:[0,0,1] neg_hi:[0,0,1]
	v_pk_fma_f32 v[86:87], v[88:89], v[76:77], v[86:87] op_sel:[0,0,1] op_sel_hi:[1,0,0]
	v_mov_b32_e32 v91, v87
	ds_load_b64 v[86:87], v80 offset:272
	v_pk_add_f32 v[54:55], v[54:55], v[92:93] neg_lo:[0,1] neg_hi:[0,1]
	v_pk_add_f32 v[52:53], v[52:53], v[90:91] neg_lo:[0,1] neg_hi:[0,1]
	s_wait_dscnt 0x0
	v_pk_mul_f32 v[78:79], v[86:87], v[78:79] op_sel:[0,1]
	s_delay_alu instid0(VALU_DEP_1) | instskip(SKIP_1) | instid1(VALU_DEP_1)
	v_pk_fma_f32 v[88:89], v[86:87], v[76:77], v[78:79] op_sel:[0,0,1] op_sel_hi:[1,1,0] neg_lo:[0,0,1] neg_hi:[0,0,1]
	v_pk_fma_f32 v[76:77], v[86:87], v[76:77], v[78:79] op_sel:[0,0,1] op_sel_hi:[1,0,0]
	v_mov_b32_e32 v89, v77
	s_delay_alu instid0(VALU_DEP_1)
	v_pk_add_f32 v[74:75], v[74:75], v[88:89] neg_lo:[0,1] neg_hi:[0,1]
.LBB68_125:
	s_or_b32 exec_lo, exec_lo, s0
	v_lshl_add_u32 v76, v84, 3, v80
	s_barrier_signal -1
	s_barrier_wait -1
	ds_store_b64 v76, v[8:9]
	s_wait_dscnt 0x0
	s_barrier_signal -1
	s_barrier_wait -1
	ds_load_b64 v[78:79], v80 offset:48
	v_mov_b32_e32 v76, 6
	s_cmp_lt_i32 s14, 8
	s_cbranch_scc1 .LBB68_128
; %bb.126:
	v_add3_u32 v77, v81, 0, 56
	v_mov_b32_e32 v76, 6
	s_mov_b32 s0, 7
.LBB68_127:                             ; =>This Inner Loop Header: Depth=1
	ds_load_b64 v[86:87], v77
	s_wait_dscnt 0x1
	v_cmp_gt_f32_e32 vcc_lo, 0, v78
	v_cndmask_b32_e64 v88, v78, -v78, vcc_lo
	v_cmp_gt_f32_e32 vcc_lo, 0, v79
	v_cndmask_b32_e64 v90, v79, -v79, vcc_lo
	s_wait_dscnt 0x0
	v_cmp_gt_f32_e32 vcc_lo, 0, v86
	v_cndmask_b32_e64 v89, v86, -v86, vcc_lo
	v_cmp_gt_f32_e32 vcc_lo, 0, v87
	v_cndmask_b32_e64 v91, v87, -v87, vcc_lo
	s_delay_alu instid0(VALU_DEP_1) | instskip(NEXT) | instid1(VALU_DEP_1)
	v_pk_add_f32 v[88:89], v[88:89], v[90:91]
	v_cmp_lt_f32_e32 vcc_lo, v88, v89
	v_dual_add_nc_u32 v77, 8, v77 :: v_dual_cndmask_b32 v79, v79, v87, vcc_lo
	v_cndmask_b32_e32 v78, v78, v86, vcc_lo
	v_cndmask_b32_e64 v76, v76, s0, vcc_lo
	s_add_co_i32 s0, s0, 1
	s_delay_alu instid0(SALU_CYCLE_1)
	s_cmp_lg_u32 s14, s0
	s_cbranch_scc1 .LBB68_127
.LBB68_128:
	s_wait_dscnt 0x0
	v_cmp_eq_f32_e32 vcc_lo, 0, v78
	v_cmp_eq_f32_e64 s0, 0, v79
	s_and_b32 s0, vcc_lo, s0
	s_delay_alu instid0(SALU_CYCLE_1) | instskip(NEXT) | instid1(SALU_CYCLE_1)
	s_and_saveexec_b32 s1, s0
	s_xor_b32 s0, exec_lo, s1
; %bb.129:
	v_cmp_ne_u32_e32 vcc_lo, 0, v82
	v_cndmask_b32_e32 v82, 7, v82, vcc_lo
; %bb.130:
	s_and_not1_saveexec_b32 s0, s0
	s_cbranch_execz .LBB68_136
; %bb.131:
	v_cmp_ngt_f32_e64 s1, |v78|, |v79|
	s_and_saveexec_b32 s15, s1
	s_delay_alu instid0(SALU_CYCLE_1)
	s_xor_b32 s1, exec_lo, s15
	s_cbranch_execz .LBB68_133
; %bb.132:
	v_div_scale_f32 v77, null, v79, v79, v78
	v_div_scale_f32 v87, vcc_lo, v78, v79, v78
	s_delay_alu instid0(VALU_DEP_2) | instskip(SKIP_1) | instid1(TRANS32_DEP_1)
	v_rcp_f32_e32 v85, v77
	v_nop
	v_fma_f32 v86, -v77, v85, 1.0
	s_delay_alu instid0(VALU_DEP_1) | instskip(NEXT) | instid1(VALU_DEP_1)
	v_fmac_f32_e32 v85, v86, v85
	v_mul_f32_e32 v86, v87, v85
	s_delay_alu instid0(VALU_DEP_1) | instskip(NEXT) | instid1(VALU_DEP_1)
	v_fma_f32 v88, -v77, v86, v87
	v_fmac_f32_e32 v86, v88, v85
	s_delay_alu instid0(VALU_DEP_1) | instskip(NEXT) | instid1(VALU_DEP_1)
	v_fma_f32 v77, -v77, v86, v87
	v_div_fmas_f32 v77, v77, v85, v86
	s_delay_alu instid0(VALU_DEP_1) | instskip(NEXT) | instid1(VALU_DEP_1)
	v_div_fixup_f32 v77, v77, v79, v78
	v_fmac_f32_e32 v79, v78, v77
	s_delay_alu instid0(VALU_DEP_1) | instskip(SKIP_1) | instid1(VALU_DEP_2)
	v_div_scale_f32 v78, null, v79, v79, 1.0
	v_div_scale_f32 v87, vcc_lo, 1.0, v79, 1.0
	v_rcp_f32_e32 v85, v78
	v_nop
	s_delay_alu instid0(TRANS32_DEP_1) | instskip(NEXT) | instid1(VALU_DEP_1)
	v_fma_f32 v86, -v78, v85, 1.0
	v_fmac_f32_e32 v85, v86, v85
	s_delay_alu instid0(VALU_DEP_1) | instskip(NEXT) | instid1(VALU_DEP_1)
	v_mul_f32_e32 v86, v87, v85
	v_fma_f32 v88, -v78, v86, v87
	s_delay_alu instid0(VALU_DEP_1) | instskip(NEXT) | instid1(VALU_DEP_1)
	v_fmac_f32_e32 v86, v88, v85
	v_fma_f32 v78, -v78, v86, v87
	s_delay_alu instid0(VALU_DEP_1) | instskip(NEXT) | instid1(VALU_DEP_1)
	v_div_fmas_f32 v78, v78, v85, v86
	v_div_fixup_f32 v79, v78, v79, 1.0
	s_delay_alu instid0(VALU_DEP_1)
	v_mul_f32_e32 v78, v77, v79
	v_xor_b32_e32 v79, 0x80000000, v79
.LBB68_133:
	s_and_not1_saveexec_b32 s1, s1
	s_cbranch_execz .LBB68_135
; %bb.134:
	s_delay_alu instid0(VALU_DEP_1) | instskip(SKIP_1) | instid1(VALU_DEP_2)
	v_div_scale_f32 v77, null, v78, v78, v79
	v_div_scale_f32 v87, vcc_lo, v79, v78, v79
	v_rcp_f32_e32 v85, v77
	v_nop
	s_delay_alu instid0(TRANS32_DEP_1) | instskip(NEXT) | instid1(VALU_DEP_1)
	v_fma_f32 v86, -v77, v85, 1.0
	v_fmac_f32_e32 v85, v86, v85
	s_delay_alu instid0(VALU_DEP_1) | instskip(NEXT) | instid1(VALU_DEP_1)
	v_mul_f32_e32 v86, v87, v85
	v_fma_f32 v88, -v77, v86, v87
	s_delay_alu instid0(VALU_DEP_1) | instskip(NEXT) | instid1(VALU_DEP_1)
	v_fmac_f32_e32 v86, v88, v85
	v_fma_f32 v77, -v77, v86, v87
	s_delay_alu instid0(VALU_DEP_1) | instskip(NEXT) | instid1(VALU_DEP_1)
	v_div_fmas_f32 v77, v77, v85, v86
	v_div_fixup_f32 v77, v77, v78, v79
	s_delay_alu instid0(VALU_DEP_1) | instskip(NEXT) | instid1(VALU_DEP_1)
	v_fmac_f32_e32 v78, v79, v77
	v_div_scale_f32 v79, null, v78, v78, 1.0
	s_delay_alu instid0(VALU_DEP_1) | instskip(SKIP_1) | instid1(TRANS32_DEP_1)
	v_rcp_f32_e32 v85, v79
	v_nop
	v_fma_f32 v86, -v79, v85, 1.0
	s_delay_alu instid0(VALU_DEP_1) | instskip(SKIP_1) | instid1(VALU_DEP_1)
	v_fmac_f32_e32 v85, v86, v85
	v_div_scale_f32 v86, vcc_lo, 1.0, v78, 1.0
	v_mul_f32_e32 v87, v86, v85
	s_delay_alu instid0(VALU_DEP_1) | instskip(NEXT) | instid1(VALU_DEP_1)
	v_fma_f32 v88, -v79, v87, v86
	v_fmac_f32_e32 v87, v88, v85
	s_delay_alu instid0(VALU_DEP_1) | instskip(NEXT) | instid1(VALU_DEP_1)
	v_fma_f32 v79, -v79, v87, v86
	v_div_fmas_f32 v79, v79, v85, v87
	s_delay_alu instid0(VALU_DEP_1) | instskip(NEXT) | instid1(VALU_DEP_1)
	v_div_fixup_f32 v78, v79, v78, 1.0
	v_mul_f32_e64 v79, v77, -v78
.LBB68_135:
	s_or_b32 exec_lo, exec_lo, s1
.LBB68_136:
	s_delay_alu instid0(SALU_CYCLE_1) | instskip(NEXT) | instid1(SALU_CYCLE_1)
	s_or_b32 exec_lo, exec_lo, s0
	s_mov_b32 s0, exec_lo
	v_cmpx_ne_u32_e64 v84, v76
	s_xor_b32 s0, exec_lo, s0
	s_cbranch_execz .LBB68_142
; %bb.137:
	s_mov_b32 s1, exec_lo
	v_cmpx_eq_u32_e32 6, v84
	s_cbranch_execz .LBB68_141
; %bb.138:
	v_cmp_ne_u32_e32 vcc_lo, 6, v76
	s_xor_b32 s15, s12, -1
	s_delay_alu instid0(SALU_CYCLE_1) | instskip(NEXT) | instid1(SALU_CYCLE_1)
	s_and_b32 s16, s15, vcc_lo
	s_and_saveexec_b32 s15, s16
	s_cbranch_execz .LBB68_140
; %bb.139:
	v_ashrrev_i32_e32 v77, 31, v76
	s_delay_alu instid0(VALU_DEP_1)
	v_lshl_add_u64 v[84:85], v[76:77], 2, v[4:5]
	s_clause 0x1
	global_load_b32 v77, v[84:85], off
	global_load_b32 v83, v[4:5], off offset:24
	s_wait_loadcnt 0x1
	global_store_b32 v[4:5], v77, off offset:24
	s_wait_loadcnt 0x0
	global_store_b32 v[84:85], v83, off
.LBB68_140:
	s_wait_xcnt 0x0
	s_or_b32 exec_lo, exec_lo, s15
	v_dual_mov_b32 v84, v76 :: v_dual_mov_b32 v83, v76
.LBB68_141:
	s_or_b32 exec_lo, exec_lo, s1
.LBB68_142:
	s_and_not1_saveexec_b32 s0, s0
	s_cbranch_execz .LBB68_144
; %bb.143:
	v_mov_b32_e32 v84, 6
	ds_store_2addr_b64 v80, v[6:7], v[28:29] offset0:7 offset1:8
	ds_store_2addr_b64 v80, v[26:27], v[12:13] offset0:9 offset1:10
	;; [unrolled: 1-line block ×14, first 2 shown]
.LBB68_144:
	s_or_b32 exec_lo, exec_lo, s0
	s_delay_alu instid0(SALU_CYCLE_1)
	s_mov_b32 s0, exec_lo
	s_wait_storecnt_dscnt 0x0
	s_barrier_signal -1
	s_barrier_wait -1
	v_cmpx_lt_i32_e32 6, v84
	s_cbranch_execz .LBB68_146
; %bb.145:
	v_pk_mul_f32 v[86:87], v[78:79], v[8:9] op_sel:[1,1] op_sel_hi:[0,1]
	s_delay_alu instid0(VALU_DEP_1)
	v_pk_fma_f32 v[76:77], v[78:79], v[8:9], v[86:87] op_sel_hi:[1,0,1] neg_lo:[0,0,1] neg_hi:[0,0,1]
	v_pk_fma_f32 v[78:79], v[78:79], v[8:9], v[86:87] op_sel_hi:[1,0,1]
	ds_load_2addr_b64 v[86:89], v80 offset0:7 offset1:8
	v_dual_mov_b32 v8, v76 :: v_dual_mov_b32 v9, v79
	s_wait_dscnt 0x0
	v_pk_mul_f32 v[90:91], v[86:87], v[78:79] op_sel:[0,1]
	s_delay_alu instid0(VALU_DEP_1) | instskip(SKIP_1) | instid1(VALU_DEP_1)
	v_pk_fma_f32 v[92:93], v[86:87], v[76:77], v[90:91] op_sel:[0,0,1] op_sel_hi:[1,1,0] neg_lo:[0,0,1] neg_hi:[0,0,1]
	v_pk_fma_f32 v[86:87], v[86:87], v[76:77], v[90:91] op_sel:[0,0,1] op_sel_hi:[1,0,0]
	v_mov_b32_e32 v93, v87
	v_pk_mul_f32 v[86:87], v[88:89], v[78:79] op_sel:[0,1]
	s_delay_alu instid0(VALU_DEP_1) | instskip(SKIP_1) | instid1(VALU_DEP_1)
	v_pk_fma_f32 v[90:91], v[88:89], v[76:77], v[86:87] op_sel:[0,0,1] op_sel_hi:[1,1,0] neg_lo:[0,0,1] neg_hi:[0,0,1]
	v_pk_fma_f32 v[86:87], v[88:89], v[76:77], v[86:87] op_sel:[0,0,1] op_sel_hi:[1,0,0]
	v_mov_b32_e32 v91, v87
	ds_load_2addr_b64 v[86:89], v80 offset0:9 offset1:10
	v_pk_add_f32 v[6:7], v[6:7], v[92:93] neg_lo:[0,1] neg_hi:[0,1]
	v_pk_add_f32 v[28:29], v[28:29], v[90:91] neg_lo:[0,1] neg_hi:[0,1]
	s_wait_dscnt 0x0
	v_pk_mul_f32 v[90:91], v[86:87], v[78:79] op_sel:[0,1]
	s_delay_alu instid0(VALU_DEP_1) | instskip(SKIP_2) | instid1(VALU_DEP_2)
	v_pk_fma_f32 v[92:93], v[86:87], v[76:77], v[90:91] op_sel:[0,0,1] op_sel_hi:[1,1,0] neg_lo:[0,0,1] neg_hi:[0,0,1]
	v_pk_fma_f32 v[86:87], v[86:87], v[76:77], v[90:91] op_sel:[0,0,1] op_sel_hi:[1,0,0]
	v_dual_mul_f32 v90, v89, v79 :: v_dual_mov_b32 v86, v89
	v_dual_mov_b32 v93, v87 :: v_dual_mov_b32 v87, v88
	s_delay_alu instid0(VALU_DEP_2) | instskip(SKIP_1) | instid1(VALU_DEP_3)
	v_pk_fma_f32 v[90:91], v[88:89], v[8:9], v[90:91] op_sel_hi:[1,1,0] neg_lo:[0,0,1] neg_hi:[0,0,1]
	v_mul_f32_e32 v88, v89, v76
	v_pk_add_f32 v[26:27], v[26:27], v[92:93] neg_lo:[0,1] neg_hi:[0,1]
	s_delay_alu instid0(VALU_DEP_2) | instskip(NEXT) | instid1(VALU_DEP_1)
	v_pk_fma_f32 v[86:87], v[86:87], v[8:9], v[88:89] op_sel_hi:[1,1,0]
	v_mov_b32_e32 v91, v87
	ds_load_2addr_b64 v[86:89], v80 offset0:11 offset1:12
	v_pk_add_f32 v[12:13], v[12:13], v[90:91] neg_lo:[0,1] neg_hi:[0,1]
	s_wait_dscnt 0x0
	v_pk_mul_f32 v[90:91], v[86:87], v[78:79] op_sel:[0,1]
	s_delay_alu instid0(VALU_DEP_1) | instskip(SKIP_1) | instid1(VALU_DEP_1)
	v_pk_fma_f32 v[92:93], v[86:87], v[76:77], v[90:91] op_sel:[0,0,1] op_sel_hi:[1,1,0] neg_lo:[0,0,1] neg_hi:[0,0,1]
	v_pk_fma_f32 v[86:87], v[86:87], v[76:77], v[90:91] op_sel:[0,0,1] op_sel_hi:[1,0,0]
	v_mov_b32_e32 v93, v87
	v_pk_mul_f32 v[86:87], v[88:89], v[78:79] op_sel:[0,1]
	s_delay_alu instid0(VALU_DEP_1) | instskip(SKIP_1) | instid1(VALU_DEP_1)
	v_pk_fma_f32 v[90:91], v[88:89], v[76:77], v[86:87] op_sel:[0,0,1] op_sel_hi:[1,1,0] neg_lo:[0,0,1] neg_hi:[0,0,1]
	v_pk_fma_f32 v[86:87], v[88:89], v[76:77], v[86:87] op_sel:[0,0,1] op_sel_hi:[1,0,0]
	v_mov_b32_e32 v91, v87
	ds_load_2addr_b64 v[86:89], v80 offset0:13 offset1:14
	v_pk_add_f32 v[10:11], v[10:11], v[92:93] neg_lo:[0,1] neg_hi:[0,1]
	v_pk_add_f32 v[36:37], v[36:37], v[90:91] neg_lo:[0,1] neg_hi:[0,1]
	s_wait_dscnt 0x0
	v_pk_mul_f32 v[90:91], v[86:87], v[78:79] op_sel:[0,1]
	s_delay_alu instid0(VALU_DEP_1) | instskip(SKIP_1) | instid1(VALU_DEP_1)
	v_pk_fma_f32 v[92:93], v[86:87], v[76:77], v[90:91] op_sel:[0,0,1] op_sel_hi:[1,1,0] neg_lo:[0,0,1] neg_hi:[0,0,1]
	v_pk_fma_f32 v[86:87], v[86:87], v[76:77], v[90:91] op_sel:[0,0,1] op_sel_hi:[1,0,0]
	v_mov_b32_e32 v93, v87
	v_pk_mul_f32 v[86:87], v[88:89], v[78:79] op_sel:[0,1]
	s_delay_alu instid0(VALU_DEP_1) | instskip(SKIP_1) | instid1(VALU_DEP_1)
	v_pk_fma_f32 v[90:91], v[88:89], v[76:77], v[86:87] op_sel:[0,0,1] op_sel_hi:[1,1,0] neg_lo:[0,0,1] neg_hi:[0,0,1]
	v_pk_fma_f32 v[86:87], v[88:89], v[76:77], v[86:87] op_sel:[0,0,1] op_sel_hi:[1,0,0]
	v_mov_b32_e32 v91, v87
	ds_load_2addr_b64 v[86:89], v80 offset0:15 offset1:16
	v_pk_add_f32 v[34:35], v[34:35], v[92:93] neg_lo:[0,1] neg_hi:[0,1]
	v_pk_add_f32 v[16:17], v[16:17], v[90:91] neg_lo:[0,1] neg_hi:[0,1]
	s_wait_dscnt 0x0
	v_dual_mul_f32 v90, v87, v79 :: v_dual_mul_f32 v92, v87, v76
	s_delay_alu instid0(VALU_DEP_1) | instskip(NEXT) | instid1(VALU_DEP_2)
	v_pk_fma_f32 v[90:91], v[86:87], v[8:9], v[90:91] op_sel_hi:[1,1,0] neg_lo:[0,0,1] neg_hi:[0,0,1]
	v_pk_fma_f32 v[86:87], v[86:87], v[8:9], v[92:93] op_sel:[1,0,0] op_sel_hi:[0,1,0]
	s_delay_alu instid0(VALU_DEP_1) | instskip(SKIP_1) | instid1(VALU_DEP_2)
	v_mov_b32_e32 v91, v87
	v_pk_mul_f32 v[86:87], v[88:89], v[78:79] op_sel:[0,1]
	v_pk_add_f32 v[14:15], v[14:15], v[90:91] neg_lo:[0,1] neg_hi:[0,1]
	s_delay_alu instid0(VALU_DEP_2) | instskip(SKIP_1) | instid1(VALU_DEP_1)
	v_pk_fma_f32 v[90:91], v[88:89], v[76:77], v[86:87] op_sel:[0,0,1] op_sel_hi:[1,1,0] neg_lo:[0,0,1] neg_hi:[0,0,1]
	v_pk_fma_f32 v[86:87], v[88:89], v[76:77], v[86:87] op_sel:[0,0,1] op_sel_hi:[1,0,0]
	v_mov_b32_e32 v91, v87
	ds_load_2addr_b64 v[86:89], v80 offset0:17 offset1:18
	v_pk_add_f32 v[50:51], v[50:51], v[90:91] neg_lo:[0,1] neg_hi:[0,1]
	s_wait_dscnt 0x0
	v_pk_mul_f32 v[90:91], v[86:87], v[78:79] op_sel:[0,1]
	s_delay_alu instid0(VALU_DEP_1) | instskip(SKIP_1) | instid1(VALU_DEP_1)
	v_pk_fma_f32 v[92:93], v[86:87], v[76:77], v[90:91] op_sel:[0,0,1] op_sel_hi:[1,1,0] neg_lo:[0,0,1] neg_hi:[0,0,1]
	v_pk_fma_f32 v[86:87], v[86:87], v[76:77], v[90:91] op_sel:[0,0,1] op_sel_hi:[1,0,0]
	v_mov_b32_e32 v93, v87
	v_pk_mul_f32 v[86:87], v[88:89], v[78:79] op_sel:[0,1]
	s_delay_alu instid0(VALU_DEP_2) | instskip(NEXT) | instid1(VALU_DEP_2)
	v_pk_add_f32 v[48:49], v[48:49], v[92:93] neg_lo:[0,1] neg_hi:[0,1]
	v_pk_fma_f32 v[90:91], v[88:89], v[76:77], v[86:87] op_sel:[0,0,1] op_sel_hi:[1,1,0] neg_lo:[0,0,1] neg_hi:[0,0,1]
	v_pk_fma_f32 v[86:87], v[88:89], v[76:77], v[86:87] op_sel:[0,0,1] op_sel_hi:[1,0,0]
	s_delay_alu instid0(VALU_DEP_1) | instskip(SKIP_4) | instid1(VALU_DEP_1)
	v_mov_b32_e32 v91, v87
	ds_load_2addr_b64 v[86:89], v80 offset0:19 offset1:20
	v_pk_add_f32 v[24:25], v[24:25], v[90:91] neg_lo:[0,1] neg_hi:[0,1]
	s_wait_dscnt 0x0
	v_pk_mul_f32 v[90:91], v[86:87], v[78:79] op_sel:[0,1]
	v_pk_fma_f32 v[92:93], v[86:87], v[76:77], v[90:91] op_sel:[0,0,1] op_sel_hi:[1,1,0] neg_lo:[0,0,1] neg_hi:[0,0,1]
	v_pk_fma_f32 v[86:87], v[86:87], v[76:77], v[90:91] op_sel:[0,0,1] op_sel_hi:[1,0,0]
	v_dual_mul_f32 v90, v89, v79 :: v_dual_mov_b32 v86, v89
	s_delay_alu instid0(VALU_DEP_2) | instskip(NEXT) | instid1(VALU_DEP_2)
	v_dual_mov_b32 v93, v87 :: v_dual_mov_b32 v87, v88
	v_pk_fma_f32 v[90:91], v[88:89], v[8:9], v[90:91] op_sel_hi:[1,1,0] neg_lo:[0,0,1] neg_hi:[0,0,1]
	v_mul_f32_e32 v88, v89, v76
	s_delay_alu instid0(VALU_DEP_3) | instskip(NEXT) | instid1(VALU_DEP_2)
	v_pk_add_f32 v[22:23], v[22:23], v[92:93] neg_lo:[0,1] neg_hi:[0,1]
	v_pk_fma_f32 v[86:87], v[86:87], v[8:9], v[88:89] op_sel_hi:[1,1,0]
	s_delay_alu instid0(VALU_DEP_1) | instskip(SKIP_4) | instid1(VALU_DEP_1)
	v_mov_b32_e32 v91, v87
	ds_load_2addr_b64 v[86:89], v80 offset0:21 offset1:22
	v_pk_add_f32 v[60:61], v[60:61], v[90:91] neg_lo:[0,1] neg_hi:[0,1]
	s_wait_dscnt 0x0
	v_pk_mul_f32 v[90:91], v[86:87], v[78:79] op_sel:[0,1]
	v_pk_fma_f32 v[92:93], v[86:87], v[76:77], v[90:91] op_sel:[0,0,1] op_sel_hi:[1,1,0] neg_lo:[0,0,1] neg_hi:[0,0,1]
	v_pk_fma_f32 v[86:87], v[86:87], v[76:77], v[90:91] op_sel:[0,0,1] op_sel_hi:[1,0,0]
	s_delay_alu instid0(VALU_DEP_1) | instskip(SKIP_1) | instid1(VALU_DEP_1)
	v_mov_b32_e32 v93, v87
	v_pk_mul_f32 v[86:87], v[88:89], v[78:79] op_sel:[0,1]
	v_pk_fma_f32 v[90:91], v[88:89], v[76:77], v[86:87] op_sel:[0,0,1] op_sel_hi:[1,1,0] neg_lo:[0,0,1] neg_hi:[0,0,1]
	v_pk_fma_f32 v[86:87], v[88:89], v[76:77], v[86:87] op_sel:[0,0,1] op_sel_hi:[1,0,0]
	s_delay_alu instid0(VALU_DEP_1)
	v_mov_b32_e32 v91, v87
	ds_load_2addr_b64 v[86:89], v80 offset0:23 offset1:24
	v_pk_add_f32 v[58:59], v[58:59], v[92:93] neg_lo:[0,1] neg_hi:[0,1]
	v_pk_add_f32 v[32:33], v[32:33], v[90:91] neg_lo:[0,1] neg_hi:[0,1]
	s_wait_dscnt 0x0
	v_pk_mul_f32 v[90:91], v[86:87], v[78:79] op_sel:[0,1]
	s_delay_alu instid0(VALU_DEP_1) | instskip(SKIP_1) | instid1(VALU_DEP_1)
	v_pk_fma_f32 v[92:93], v[86:87], v[76:77], v[90:91] op_sel:[0,0,1] op_sel_hi:[1,1,0] neg_lo:[0,0,1] neg_hi:[0,0,1]
	v_pk_fma_f32 v[86:87], v[86:87], v[76:77], v[90:91] op_sel:[0,0,1] op_sel_hi:[1,0,0]
	v_mov_b32_e32 v93, v87
	v_pk_mul_f32 v[86:87], v[88:89], v[78:79] op_sel:[0,1]
	s_delay_alu instid0(VALU_DEP_1) | instskip(SKIP_1) | instid1(VALU_DEP_1)
	v_pk_fma_f32 v[90:91], v[88:89], v[76:77], v[86:87] op_sel:[0,0,1] op_sel_hi:[1,1,0] neg_lo:[0,0,1] neg_hi:[0,0,1]
	v_pk_fma_f32 v[86:87], v[88:89], v[76:77], v[86:87] op_sel:[0,0,1] op_sel_hi:[1,0,0]
	v_mov_b32_e32 v91, v87
	ds_load_2addr_b64 v[86:89], v80 offset0:25 offset1:26
	v_pk_add_f32 v[30:31], v[30:31], v[92:93] neg_lo:[0,1] neg_hi:[0,1]
	v_pk_add_f32 v[68:69], v[68:69], v[90:91] neg_lo:[0,1] neg_hi:[0,1]
	s_wait_dscnt 0x0
	v_dual_mul_f32 v90, v87, v79 :: v_dual_mul_f32 v92, v87, v76
	s_delay_alu instid0(VALU_DEP_1) | instskip(NEXT) | instid1(VALU_DEP_2)
	v_pk_fma_f32 v[90:91], v[86:87], v[8:9], v[90:91] op_sel_hi:[1,1,0] neg_lo:[0,0,1] neg_hi:[0,0,1]
	v_pk_fma_f32 v[86:87], v[86:87], v[8:9], v[92:93] op_sel:[1,0,0] op_sel_hi:[0,1,0]
	s_delay_alu instid0(VALU_DEP_1) | instskip(SKIP_1) | instid1(VALU_DEP_2)
	v_mov_b32_e32 v91, v87
	v_pk_mul_f32 v[86:87], v[88:89], v[78:79] op_sel:[0,1]
	v_pk_add_f32 v[66:67], v[66:67], v[90:91] neg_lo:[0,1] neg_hi:[0,1]
	s_delay_alu instid0(VALU_DEP_2) | instskip(SKIP_1) | instid1(VALU_DEP_1)
	v_pk_fma_f32 v[90:91], v[88:89], v[76:77], v[86:87] op_sel:[0,0,1] op_sel_hi:[1,1,0] neg_lo:[0,0,1] neg_hi:[0,0,1]
	v_pk_fma_f32 v[86:87], v[88:89], v[76:77], v[86:87] op_sel:[0,0,1] op_sel_hi:[1,0,0]
	v_mov_b32_e32 v91, v87
	ds_load_2addr_b64 v[86:89], v80 offset0:27 offset1:28
	v_pk_add_f32 v[42:43], v[42:43], v[90:91] neg_lo:[0,1] neg_hi:[0,1]
	s_wait_dscnt 0x0
	v_pk_mul_f32 v[90:91], v[86:87], v[78:79] op_sel:[0,1]
	s_delay_alu instid0(VALU_DEP_1) | instskip(SKIP_1) | instid1(VALU_DEP_1)
	v_pk_fma_f32 v[92:93], v[86:87], v[76:77], v[90:91] op_sel:[0,0,1] op_sel_hi:[1,1,0] neg_lo:[0,0,1] neg_hi:[0,0,1]
	v_pk_fma_f32 v[86:87], v[86:87], v[76:77], v[90:91] op_sel:[0,0,1] op_sel_hi:[1,0,0]
	v_mov_b32_e32 v93, v87
	v_pk_mul_f32 v[86:87], v[88:89], v[78:79] op_sel:[0,1]
	s_delay_alu instid0(VALU_DEP_2) | instskip(NEXT) | instid1(VALU_DEP_2)
	v_pk_add_f32 v[40:41], v[40:41], v[92:93] neg_lo:[0,1] neg_hi:[0,1]
	v_pk_fma_f32 v[90:91], v[88:89], v[76:77], v[86:87] op_sel:[0,0,1] op_sel_hi:[1,1,0] neg_lo:[0,0,1] neg_hi:[0,0,1]
	v_pk_fma_f32 v[86:87], v[88:89], v[76:77], v[86:87] op_sel:[0,0,1] op_sel_hi:[1,0,0]
	s_delay_alu instid0(VALU_DEP_1) | instskip(SKIP_4) | instid1(VALU_DEP_1)
	v_mov_b32_e32 v91, v87
	ds_load_2addr_b64 v[86:89], v80 offset0:29 offset1:30
	v_pk_add_f32 v[64:65], v[64:65], v[90:91] neg_lo:[0,1] neg_hi:[0,1]
	s_wait_dscnt 0x0
	v_pk_mul_f32 v[90:91], v[86:87], v[78:79] op_sel:[0,1]
	v_pk_fma_f32 v[92:93], v[86:87], v[76:77], v[90:91] op_sel:[0,0,1] op_sel_hi:[1,1,0] neg_lo:[0,0,1] neg_hi:[0,0,1]
	v_pk_fma_f32 v[86:87], v[86:87], v[76:77], v[90:91] op_sel:[0,0,1] op_sel_hi:[1,0,0]
	v_dual_mul_f32 v90, v89, v79 :: v_dual_mov_b32 v86, v89
	s_delay_alu instid0(VALU_DEP_2) | instskip(NEXT) | instid1(VALU_DEP_2)
	v_dual_mov_b32 v93, v87 :: v_dual_mov_b32 v87, v88
	v_pk_fma_f32 v[90:91], v[88:89], v[8:9], v[90:91] op_sel_hi:[1,1,0] neg_lo:[0,0,1] neg_hi:[0,0,1]
	v_mul_f32_e32 v88, v89, v76
	s_delay_alu instid0(VALU_DEP_3) | instskip(NEXT) | instid1(VALU_DEP_2)
	v_pk_add_f32 v[62:63], v[62:63], v[92:93] neg_lo:[0,1] neg_hi:[0,1]
	v_pk_fma_f32 v[86:87], v[86:87], v[8:9], v[88:89] op_sel_hi:[1,1,0]
	s_delay_alu instid0(VALU_DEP_1) | instskip(SKIP_4) | instid1(VALU_DEP_1)
	v_mov_b32_e32 v91, v87
	ds_load_2addr_b64 v[86:89], v80 offset0:31 offset1:32
	v_pk_add_f32 v[46:47], v[46:47], v[90:91] neg_lo:[0,1] neg_hi:[0,1]
	s_wait_dscnt 0x0
	v_pk_mul_f32 v[90:91], v[86:87], v[78:79] op_sel:[0,1]
	v_pk_fma_f32 v[92:93], v[86:87], v[76:77], v[90:91] op_sel:[0,0,1] op_sel_hi:[1,1,0] neg_lo:[0,0,1] neg_hi:[0,0,1]
	v_pk_fma_f32 v[86:87], v[86:87], v[76:77], v[90:91] op_sel:[0,0,1] op_sel_hi:[1,0,0]
	s_delay_alu instid0(VALU_DEP_1) | instskip(SKIP_1) | instid1(VALU_DEP_1)
	v_mov_b32_e32 v93, v87
	v_pk_mul_f32 v[86:87], v[88:89], v[78:79] op_sel:[0,1]
	v_pk_fma_f32 v[90:91], v[88:89], v[76:77], v[86:87] op_sel:[0,0,1] op_sel_hi:[1,1,0] neg_lo:[0,0,1] neg_hi:[0,0,1]
	v_pk_fma_f32 v[86:87], v[88:89], v[76:77], v[86:87] op_sel:[0,0,1] op_sel_hi:[1,0,0]
	s_delay_alu instid0(VALU_DEP_1)
	v_mov_b32_e32 v91, v87
	ds_load_2addr_b64 v[86:89], v80 offset0:33 offset1:34
	v_pk_add_f32 v[44:45], v[44:45], v[92:93] neg_lo:[0,1] neg_hi:[0,1]
	v_pk_add_f32 v[54:55], v[54:55], v[90:91] neg_lo:[0,1] neg_hi:[0,1]
	s_wait_dscnt 0x0
	v_pk_mul_f32 v[90:91], v[86:87], v[78:79] op_sel:[0,1]
	v_pk_mul_f32 v[78:79], v[88:89], v[78:79] op_sel:[0,1]
	s_delay_alu instid0(VALU_DEP_2) | instskip(SKIP_1) | instid1(VALU_DEP_1)
	v_pk_fma_f32 v[92:93], v[86:87], v[76:77], v[90:91] op_sel:[0,0,1] op_sel_hi:[1,1,0] neg_lo:[0,0,1] neg_hi:[0,0,1]
	v_pk_fma_f32 v[86:87], v[86:87], v[76:77], v[90:91] op_sel:[0,0,1] op_sel_hi:[1,0,0]
	v_mov_b32_e32 v93, v87
	s_delay_alu instid0(VALU_DEP_4) | instskip(SKIP_1) | instid1(VALU_DEP_1)
	v_pk_fma_f32 v[86:87], v[88:89], v[76:77], v[78:79] op_sel:[0,0,1] op_sel_hi:[1,1,0] neg_lo:[0,0,1] neg_hi:[0,0,1]
	v_pk_fma_f32 v[76:77], v[88:89], v[76:77], v[78:79] op_sel:[0,0,1] op_sel_hi:[1,0,0]
	v_mov_b32_e32 v87, v77
	s_delay_alu instid0(VALU_DEP_4) | instskip(NEXT) | instid1(VALU_DEP_2)
	v_pk_add_f32 v[52:53], v[52:53], v[92:93] neg_lo:[0,1] neg_hi:[0,1]
	v_pk_add_f32 v[74:75], v[74:75], v[86:87] neg_lo:[0,1] neg_hi:[0,1]
.LBB68_146:
	s_or_b32 exec_lo, exec_lo, s0
	v_lshl_add_u32 v76, v84, 3, v80
	s_barrier_signal -1
	s_barrier_wait -1
	ds_store_b64 v76, v[6:7]
	s_wait_dscnt 0x0
	s_barrier_signal -1
	s_barrier_wait -1
	ds_load_b64 v[78:79], v80 offset:56
	v_mov_b32_e32 v76, 7
	s_cmp_lt_i32 s14, 9
	s_cbranch_scc1 .LBB68_149
; %bb.147:
	v_add3_u32 v77, v81, 0, 64
	v_mov_b32_e32 v76, 7
	s_mov_b32 s0, 8
.LBB68_148:                             ; =>This Inner Loop Header: Depth=1
	ds_load_b64 v[86:87], v77
	s_wait_dscnt 0x1
	v_cmp_gt_f32_e32 vcc_lo, 0, v78
	v_cndmask_b32_e64 v88, v78, -v78, vcc_lo
	v_cmp_gt_f32_e32 vcc_lo, 0, v79
	v_cndmask_b32_e64 v90, v79, -v79, vcc_lo
	s_wait_dscnt 0x0
	v_cmp_gt_f32_e32 vcc_lo, 0, v86
	v_cndmask_b32_e64 v89, v86, -v86, vcc_lo
	v_cmp_gt_f32_e32 vcc_lo, 0, v87
	v_cndmask_b32_e64 v91, v87, -v87, vcc_lo
	s_delay_alu instid0(VALU_DEP_1) | instskip(NEXT) | instid1(VALU_DEP_1)
	v_pk_add_f32 v[88:89], v[88:89], v[90:91]
	v_cmp_lt_f32_e32 vcc_lo, v88, v89
	v_dual_add_nc_u32 v77, 8, v77 :: v_dual_cndmask_b32 v79, v79, v87, vcc_lo
	v_cndmask_b32_e32 v78, v78, v86, vcc_lo
	v_cndmask_b32_e64 v76, v76, s0, vcc_lo
	s_add_co_i32 s0, s0, 1
	s_delay_alu instid0(SALU_CYCLE_1)
	s_cmp_lg_u32 s14, s0
	s_cbranch_scc1 .LBB68_148
.LBB68_149:
	s_wait_dscnt 0x0
	v_cmp_eq_f32_e32 vcc_lo, 0, v78
	v_cmp_eq_f32_e64 s0, 0, v79
	s_and_b32 s0, vcc_lo, s0
	s_delay_alu instid0(SALU_CYCLE_1) | instskip(NEXT) | instid1(SALU_CYCLE_1)
	s_and_saveexec_b32 s1, s0
	s_xor_b32 s0, exec_lo, s1
; %bb.150:
	v_cmp_ne_u32_e32 vcc_lo, 0, v82
	v_cndmask_b32_e32 v82, 8, v82, vcc_lo
; %bb.151:
	s_and_not1_saveexec_b32 s0, s0
	s_cbranch_execz .LBB68_157
; %bb.152:
	v_cmp_ngt_f32_e64 s1, |v78|, |v79|
	s_and_saveexec_b32 s15, s1
	s_delay_alu instid0(SALU_CYCLE_1)
	s_xor_b32 s1, exec_lo, s15
	s_cbranch_execz .LBB68_154
; %bb.153:
	v_div_scale_f32 v77, null, v79, v79, v78
	v_div_scale_f32 v87, vcc_lo, v78, v79, v78
	s_delay_alu instid0(VALU_DEP_2) | instskip(SKIP_1) | instid1(TRANS32_DEP_1)
	v_rcp_f32_e32 v85, v77
	v_nop
	v_fma_f32 v86, -v77, v85, 1.0
	s_delay_alu instid0(VALU_DEP_1) | instskip(NEXT) | instid1(VALU_DEP_1)
	v_fmac_f32_e32 v85, v86, v85
	v_mul_f32_e32 v86, v87, v85
	s_delay_alu instid0(VALU_DEP_1) | instskip(NEXT) | instid1(VALU_DEP_1)
	v_fma_f32 v88, -v77, v86, v87
	v_fmac_f32_e32 v86, v88, v85
	s_delay_alu instid0(VALU_DEP_1) | instskip(NEXT) | instid1(VALU_DEP_1)
	v_fma_f32 v77, -v77, v86, v87
	v_div_fmas_f32 v77, v77, v85, v86
	s_delay_alu instid0(VALU_DEP_1) | instskip(NEXT) | instid1(VALU_DEP_1)
	v_div_fixup_f32 v77, v77, v79, v78
	v_fmac_f32_e32 v79, v78, v77
	s_delay_alu instid0(VALU_DEP_1) | instskip(SKIP_1) | instid1(VALU_DEP_2)
	v_div_scale_f32 v78, null, v79, v79, 1.0
	v_div_scale_f32 v87, vcc_lo, 1.0, v79, 1.0
	v_rcp_f32_e32 v85, v78
	v_nop
	s_delay_alu instid0(TRANS32_DEP_1) | instskip(NEXT) | instid1(VALU_DEP_1)
	v_fma_f32 v86, -v78, v85, 1.0
	v_fmac_f32_e32 v85, v86, v85
	s_delay_alu instid0(VALU_DEP_1) | instskip(NEXT) | instid1(VALU_DEP_1)
	v_mul_f32_e32 v86, v87, v85
	v_fma_f32 v88, -v78, v86, v87
	s_delay_alu instid0(VALU_DEP_1) | instskip(NEXT) | instid1(VALU_DEP_1)
	v_fmac_f32_e32 v86, v88, v85
	v_fma_f32 v78, -v78, v86, v87
	s_delay_alu instid0(VALU_DEP_1) | instskip(NEXT) | instid1(VALU_DEP_1)
	v_div_fmas_f32 v78, v78, v85, v86
	v_div_fixup_f32 v79, v78, v79, 1.0
	s_delay_alu instid0(VALU_DEP_1)
	v_mul_f32_e32 v78, v77, v79
	v_xor_b32_e32 v79, 0x80000000, v79
.LBB68_154:
	s_and_not1_saveexec_b32 s1, s1
	s_cbranch_execz .LBB68_156
; %bb.155:
	s_delay_alu instid0(VALU_DEP_1) | instskip(SKIP_1) | instid1(VALU_DEP_2)
	v_div_scale_f32 v77, null, v78, v78, v79
	v_div_scale_f32 v87, vcc_lo, v79, v78, v79
	v_rcp_f32_e32 v85, v77
	v_nop
	s_delay_alu instid0(TRANS32_DEP_1) | instskip(NEXT) | instid1(VALU_DEP_1)
	v_fma_f32 v86, -v77, v85, 1.0
	v_fmac_f32_e32 v85, v86, v85
	s_delay_alu instid0(VALU_DEP_1) | instskip(NEXT) | instid1(VALU_DEP_1)
	v_mul_f32_e32 v86, v87, v85
	v_fma_f32 v88, -v77, v86, v87
	s_delay_alu instid0(VALU_DEP_1) | instskip(NEXT) | instid1(VALU_DEP_1)
	v_fmac_f32_e32 v86, v88, v85
	v_fma_f32 v77, -v77, v86, v87
	s_delay_alu instid0(VALU_DEP_1) | instskip(NEXT) | instid1(VALU_DEP_1)
	v_div_fmas_f32 v77, v77, v85, v86
	v_div_fixup_f32 v77, v77, v78, v79
	s_delay_alu instid0(VALU_DEP_1) | instskip(NEXT) | instid1(VALU_DEP_1)
	v_fmac_f32_e32 v78, v79, v77
	v_div_scale_f32 v79, null, v78, v78, 1.0
	s_delay_alu instid0(VALU_DEP_1) | instskip(SKIP_1) | instid1(TRANS32_DEP_1)
	v_rcp_f32_e32 v85, v79
	v_nop
	v_fma_f32 v86, -v79, v85, 1.0
	s_delay_alu instid0(VALU_DEP_1) | instskip(SKIP_1) | instid1(VALU_DEP_1)
	v_fmac_f32_e32 v85, v86, v85
	v_div_scale_f32 v86, vcc_lo, 1.0, v78, 1.0
	v_mul_f32_e32 v87, v86, v85
	s_delay_alu instid0(VALU_DEP_1) | instskip(NEXT) | instid1(VALU_DEP_1)
	v_fma_f32 v88, -v79, v87, v86
	v_fmac_f32_e32 v87, v88, v85
	s_delay_alu instid0(VALU_DEP_1) | instskip(NEXT) | instid1(VALU_DEP_1)
	v_fma_f32 v79, -v79, v87, v86
	v_div_fmas_f32 v79, v79, v85, v87
	s_delay_alu instid0(VALU_DEP_1) | instskip(NEXT) | instid1(VALU_DEP_1)
	v_div_fixup_f32 v78, v79, v78, 1.0
	v_mul_f32_e64 v79, v77, -v78
.LBB68_156:
	s_or_b32 exec_lo, exec_lo, s1
.LBB68_157:
	s_delay_alu instid0(SALU_CYCLE_1) | instskip(NEXT) | instid1(SALU_CYCLE_1)
	s_or_b32 exec_lo, exec_lo, s0
	s_mov_b32 s0, exec_lo
	v_cmpx_ne_u32_e64 v84, v76
	s_xor_b32 s0, exec_lo, s0
	s_cbranch_execz .LBB68_163
; %bb.158:
	s_mov_b32 s1, exec_lo
	v_cmpx_eq_u32_e32 7, v84
	s_cbranch_execz .LBB68_162
; %bb.159:
	v_cmp_ne_u32_e32 vcc_lo, 7, v76
	s_xor_b32 s15, s12, -1
	s_delay_alu instid0(SALU_CYCLE_1) | instskip(NEXT) | instid1(SALU_CYCLE_1)
	s_and_b32 s16, s15, vcc_lo
	s_and_saveexec_b32 s15, s16
	s_cbranch_execz .LBB68_161
; %bb.160:
	v_ashrrev_i32_e32 v77, 31, v76
	s_delay_alu instid0(VALU_DEP_1)
	v_lshl_add_u64 v[84:85], v[76:77], 2, v[4:5]
	s_clause 0x1
	global_load_b32 v77, v[84:85], off
	global_load_b32 v83, v[4:5], off offset:28
	s_wait_loadcnt 0x1
	global_store_b32 v[4:5], v77, off offset:28
	s_wait_loadcnt 0x0
	global_store_b32 v[84:85], v83, off
.LBB68_161:
	s_wait_xcnt 0x0
	s_or_b32 exec_lo, exec_lo, s15
	v_dual_mov_b32 v84, v76 :: v_dual_mov_b32 v83, v76
.LBB68_162:
	s_or_b32 exec_lo, exec_lo, s1
.LBB68_163:
	s_and_not1_saveexec_b32 s0, s0
	s_cbranch_execz .LBB68_165
; %bb.164:
	v_dual_mov_b32 v76, v28 :: v_dual_mov_b32 v77, v29
	v_dual_mov_b32 v84, v26 :: v_dual_mov_b32 v85, v27
	ds_store_2addr_b64 v80, v[76:77], v[84:85] offset0:8 offset1:9
	v_dual_mov_b32 v76, v12 :: v_dual_mov_b32 v77, v13
	v_dual_mov_b32 v84, v10 :: v_dual_mov_b32 v85, v11
	ds_store_2addr_b64 v80, v[76:77], v[84:85] offset0:10 offset1:11
	;; [unrolled: 3-line block ×13, first 2 shown]
	ds_store_b64 v80, v[74:75] offset:272
	v_mov_b32_e32 v84, 7
.LBB68_165:
	s_or_b32 exec_lo, exec_lo, s0
	s_delay_alu instid0(SALU_CYCLE_1)
	s_mov_b32 s0, exec_lo
	s_wait_storecnt_dscnt 0x0
	s_barrier_signal -1
	s_barrier_wait -1
	v_cmpx_lt_i32_e32 7, v84
	s_cbranch_execz .LBB68_167
; %bb.166:
	v_pk_mul_f32 v[86:87], v[78:79], v[6:7] op_sel:[1,1] op_sel_hi:[0,1]
	s_delay_alu instid0(VALU_DEP_1)
	v_pk_fma_f32 v[76:77], v[78:79], v[6:7], v[86:87] op_sel_hi:[1,0,1] neg_lo:[0,0,1] neg_hi:[0,0,1]
	v_pk_fma_f32 v[78:79], v[78:79], v[6:7], v[86:87] op_sel_hi:[1,0,1]
	ds_load_2addr_b64 v[86:89], v80 offset0:8 offset1:9
	v_dual_mov_b32 v6, v76 :: v_dual_mov_b32 v7, v79
	s_wait_dscnt 0x0
	v_pk_mul_f32 v[90:91], v[86:87], v[78:79] op_sel:[0,1]
	s_delay_alu instid0(VALU_DEP_1) | instskip(SKIP_1) | instid1(VALU_DEP_1)
	v_pk_fma_f32 v[92:93], v[86:87], v[76:77], v[90:91] op_sel:[0,0,1] op_sel_hi:[1,1,0] neg_lo:[0,0,1] neg_hi:[0,0,1]
	v_pk_fma_f32 v[86:87], v[86:87], v[76:77], v[90:91] op_sel:[0,0,1] op_sel_hi:[1,0,0]
	v_mov_b32_e32 v93, v87
	v_pk_mul_f32 v[86:87], v[88:89], v[78:79] op_sel:[0,1]
	s_delay_alu instid0(VALU_DEP_1) | instskip(SKIP_1) | instid1(VALU_DEP_1)
	v_pk_fma_f32 v[90:91], v[88:89], v[76:77], v[86:87] op_sel:[0,0,1] op_sel_hi:[1,1,0] neg_lo:[0,0,1] neg_hi:[0,0,1]
	v_pk_fma_f32 v[86:87], v[88:89], v[76:77], v[86:87] op_sel:[0,0,1] op_sel_hi:[1,0,0]
	v_mov_b32_e32 v91, v87
	ds_load_2addr_b64 v[86:89], v80 offset0:10 offset1:11
	v_pk_add_f32 v[28:29], v[28:29], v[92:93] neg_lo:[0,1] neg_hi:[0,1]
	v_pk_add_f32 v[26:27], v[26:27], v[90:91] neg_lo:[0,1] neg_hi:[0,1]
	s_wait_dscnt 0x0
	v_pk_mul_f32 v[90:91], v[86:87], v[78:79] op_sel:[0,1]
	s_delay_alu instid0(VALU_DEP_1) | instskip(SKIP_2) | instid1(VALU_DEP_2)
	v_pk_fma_f32 v[92:93], v[86:87], v[76:77], v[90:91] op_sel:[0,0,1] op_sel_hi:[1,1,0] neg_lo:[0,0,1] neg_hi:[0,0,1]
	v_pk_fma_f32 v[86:87], v[86:87], v[76:77], v[90:91] op_sel:[0,0,1] op_sel_hi:[1,0,0]
	v_dual_mul_f32 v90, v89, v79 :: v_dual_mov_b32 v86, v89
	v_dual_mov_b32 v93, v87 :: v_dual_mov_b32 v87, v88
	s_delay_alu instid0(VALU_DEP_2) | instskip(SKIP_1) | instid1(VALU_DEP_3)
	v_pk_fma_f32 v[90:91], v[88:89], v[6:7], v[90:91] op_sel_hi:[1,1,0] neg_lo:[0,0,1] neg_hi:[0,0,1]
	v_mul_f32_e32 v88, v89, v76
	v_pk_add_f32 v[12:13], v[12:13], v[92:93] neg_lo:[0,1] neg_hi:[0,1]
	s_delay_alu instid0(VALU_DEP_2) | instskip(NEXT) | instid1(VALU_DEP_1)
	v_pk_fma_f32 v[86:87], v[86:87], v[6:7], v[88:89] op_sel_hi:[1,1,0]
	v_mov_b32_e32 v91, v87
	ds_load_2addr_b64 v[86:89], v80 offset0:12 offset1:13
	v_pk_add_f32 v[10:11], v[10:11], v[90:91] neg_lo:[0,1] neg_hi:[0,1]
	s_wait_dscnt 0x0
	v_pk_mul_f32 v[90:91], v[86:87], v[78:79] op_sel:[0,1]
	s_delay_alu instid0(VALU_DEP_1) | instskip(SKIP_1) | instid1(VALU_DEP_1)
	v_pk_fma_f32 v[92:93], v[86:87], v[76:77], v[90:91] op_sel:[0,0,1] op_sel_hi:[1,1,0] neg_lo:[0,0,1] neg_hi:[0,0,1]
	v_pk_fma_f32 v[86:87], v[86:87], v[76:77], v[90:91] op_sel:[0,0,1] op_sel_hi:[1,0,0]
	v_mov_b32_e32 v93, v87
	v_pk_mul_f32 v[86:87], v[88:89], v[78:79] op_sel:[0,1]
	s_delay_alu instid0(VALU_DEP_1) | instskip(SKIP_1) | instid1(VALU_DEP_1)
	v_pk_fma_f32 v[90:91], v[88:89], v[76:77], v[86:87] op_sel:[0,0,1] op_sel_hi:[1,1,0] neg_lo:[0,0,1] neg_hi:[0,0,1]
	v_pk_fma_f32 v[86:87], v[88:89], v[76:77], v[86:87] op_sel:[0,0,1] op_sel_hi:[1,0,0]
	v_mov_b32_e32 v91, v87
	ds_load_2addr_b64 v[86:89], v80 offset0:14 offset1:15
	v_pk_add_f32 v[36:37], v[36:37], v[92:93] neg_lo:[0,1] neg_hi:[0,1]
	v_pk_add_f32 v[34:35], v[34:35], v[90:91] neg_lo:[0,1] neg_hi:[0,1]
	s_wait_dscnt 0x0
	v_pk_mul_f32 v[90:91], v[86:87], v[78:79] op_sel:[0,1]
	s_delay_alu instid0(VALU_DEP_1) | instskip(SKIP_1) | instid1(VALU_DEP_1)
	v_pk_fma_f32 v[92:93], v[86:87], v[76:77], v[90:91] op_sel:[0,0,1] op_sel_hi:[1,1,0] neg_lo:[0,0,1] neg_hi:[0,0,1]
	v_pk_fma_f32 v[86:87], v[86:87], v[76:77], v[90:91] op_sel:[0,0,1] op_sel_hi:[1,0,0]
	v_mov_b32_e32 v93, v87
	v_pk_mul_f32 v[86:87], v[88:89], v[78:79] op_sel:[0,1]
	s_delay_alu instid0(VALU_DEP_1) | instskip(SKIP_1) | instid1(VALU_DEP_1)
	v_pk_fma_f32 v[90:91], v[88:89], v[76:77], v[86:87] op_sel:[0,0,1] op_sel_hi:[1,1,0] neg_lo:[0,0,1] neg_hi:[0,0,1]
	v_pk_fma_f32 v[86:87], v[88:89], v[76:77], v[86:87] op_sel:[0,0,1] op_sel_hi:[1,0,0]
	v_mov_b32_e32 v91, v87
	ds_load_2addr_b64 v[86:89], v80 offset0:16 offset1:17
	v_pk_add_f32 v[16:17], v[16:17], v[92:93] neg_lo:[0,1] neg_hi:[0,1]
	v_pk_add_f32 v[14:15], v[14:15], v[90:91] neg_lo:[0,1] neg_hi:[0,1]
	s_wait_dscnt 0x0
	v_dual_mul_f32 v90, v87, v79 :: v_dual_mul_f32 v92, v87, v76
	s_delay_alu instid0(VALU_DEP_1) | instskip(NEXT) | instid1(VALU_DEP_2)
	v_pk_fma_f32 v[90:91], v[86:87], v[6:7], v[90:91] op_sel_hi:[1,1,0] neg_lo:[0,0,1] neg_hi:[0,0,1]
	v_pk_fma_f32 v[86:87], v[86:87], v[6:7], v[92:93] op_sel:[1,0,0] op_sel_hi:[0,1,0]
	s_delay_alu instid0(VALU_DEP_1) | instskip(SKIP_1) | instid1(VALU_DEP_2)
	v_mov_b32_e32 v91, v87
	v_pk_mul_f32 v[86:87], v[88:89], v[78:79] op_sel:[0,1]
	v_pk_add_f32 v[50:51], v[50:51], v[90:91] neg_lo:[0,1] neg_hi:[0,1]
	s_delay_alu instid0(VALU_DEP_2) | instskip(SKIP_1) | instid1(VALU_DEP_1)
	v_pk_fma_f32 v[90:91], v[88:89], v[76:77], v[86:87] op_sel:[0,0,1] op_sel_hi:[1,1,0] neg_lo:[0,0,1] neg_hi:[0,0,1]
	v_pk_fma_f32 v[86:87], v[88:89], v[76:77], v[86:87] op_sel:[0,0,1] op_sel_hi:[1,0,0]
	v_mov_b32_e32 v91, v87
	ds_load_2addr_b64 v[86:89], v80 offset0:18 offset1:19
	v_pk_add_f32 v[48:49], v[48:49], v[90:91] neg_lo:[0,1] neg_hi:[0,1]
	s_wait_dscnt 0x0
	v_pk_mul_f32 v[90:91], v[86:87], v[78:79] op_sel:[0,1]
	s_delay_alu instid0(VALU_DEP_1) | instskip(SKIP_1) | instid1(VALU_DEP_1)
	v_pk_fma_f32 v[92:93], v[86:87], v[76:77], v[90:91] op_sel:[0,0,1] op_sel_hi:[1,1,0] neg_lo:[0,0,1] neg_hi:[0,0,1]
	v_pk_fma_f32 v[86:87], v[86:87], v[76:77], v[90:91] op_sel:[0,0,1] op_sel_hi:[1,0,0]
	v_mov_b32_e32 v93, v87
	v_pk_mul_f32 v[86:87], v[88:89], v[78:79] op_sel:[0,1]
	s_delay_alu instid0(VALU_DEP_2) | instskip(NEXT) | instid1(VALU_DEP_2)
	v_pk_add_f32 v[24:25], v[24:25], v[92:93] neg_lo:[0,1] neg_hi:[0,1]
	v_pk_fma_f32 v[90:91], v[88:89], v[76:77], v[86:87] op_sel:[0,0,1] op_sel_hi:[1,1,0] neg_lo:[0,0,1] neg_hi:[0,0,1]
	v_pk_fma_f32 v[86:87], v[88:89], v[76:77], v[86:87] op_sel:[0,0,1] op_sel_hi:[1,0,0]
	s_delay_alu instid0(VALU_DEP_1) | instskip(SKIP_4) | instid1(VALU_DEP_1)
	v_mov_b32_e32 v91, v87
	ds_load_2addr_b64 v[86:89], v80 offset0:20 offset1:21
	v_pk_add_f32 v[22:23], v[22:23], v[90:91] neg_lo:[0,1] neg_hi:[0,1]
	s_wait_dscnt 0x0
	v_pk_mul_f32 v[90:91], v[86:87], v[78:79] op_sel:[0,1]
	v_pk_fma_f32 v[92:93], v[86:87], v[76:77], v[90:91] op_sel:[0,0,1] op_sel_hi:[1,1,0] neg_lo:[0,0,1] neg_hi:[0,0,1]
	v_pk_fma_f32 v[86:87], v[86:87], v[76:77], v[90:91] op_sel:[0,0,1] op_sel_hi:[1,0,0]
	v_dual_mul_f32 v90, v89, v79 :: v_dual_mov_b32 v86, v89
	s_delay_alu instid0(VALU_DEP_2) | instskip(NEXT) | instid1(VALU_DEP_2)
	v_dual_mov_b32 v93, v87 :: v_dual_mov_b32 v87, v88
	v_pk_fma_f32 v[90:91], v[88:89], v[6:7], v[90:91] op_sel_hi:[1,1,0] neg_lo:[0,0,1] neg_hi:[0,0,1]
	v_mul_f32_e32 v88, v89, v76
	s_delay_alu instid0(VALU_DEP_3) | instskip(NEXT) | instid1(VALU_DEP_2)
	v_pk_add_f32 v[60:61], v[60:61], v[92:93] neg_lo:[0,1] neg_hi:[0,1]
	v_pk_fma_f32 v[86:87], v[86:87], v[6:7], v[88:89] op_sel_hi:[1,1,0]
	s_delay_alu instid0(VALU_DEP_1) | instskip(SKIP_4) | instid1(VALU_DEP_1)
	v_mov_b32_e32 v91, v87
	ds_load_2addr_b64 v[86:89], v80 offset0:22 offset1:23
	v_pk_add_f32 v[58:59], v[58:59], v[90:91] neg_lo:[0,1] neg_hi:[0,1]
	s_wait_dscnt 0x0
	v_pk_mul_f32 v[90:91], v[86:87], v[78:79] op_sel:[0,1]
	v_pk_fma_f32 v[92:93], v[86:87], v[76:77], v[90:91] op_sel:[0,0,1] op_sel_hi:[1,1,0] neg_lo:[0,0,1] neg_hi:[0,0,1]
	v_pk_fma_f32 v[86:87], v[86:87], v[76:77], v[90:91] op_sel:[0,0,1] op_sel_hi:[1,0,0]
	s_delay_alu instid0(VALU_DEP_1) | instskip(SKIP_1) | instid1(VALU_DEP_1)
	v_mov_b32_e32 v93, v87
	v_pk_mul_f32 v[86:87], v[88:89], v[78:79] op_sel:[0,1]
	v_pk_fma_f32 v[90:91], v[88:89], v[76:77], v[86:87] op_sel:[0,0,1] op_sel_hi:[1,1,0] neg_lo:[0,0,1] neg_hi:[0,0,1]
	v_pk_fma_f32 v[86:87], v[88:89], v[76:77], v[86:87] op_sel:[0,0,1] op_sel_hi:[1,0,0]
	s_delay_alu instid0(VALU_DEP_1)
	v_mov_b32_e32 v91, v87
	ds_load_2addr_b64 v[86:89], v80 offset0:24 offset1:25
	v_pk_add_f32 v[32:33], v[32:33], v[92:93] neg_lo:[0,1] neg_hi:[0,1]
	v_pk_add_f32 v[30:31], v[30:31], v[90:91] neg_lo:[0,1] neg_hi:[0,1]
	s_wait_dscnt 0x0
	v_pk_mul_f32 v[90:91], v[86:87], v[78:79] op_sel:[0,1]
	s_delay_alu instid0(VALU_DEP_1) | instskip(SKIP_1) | instid1(VALU_DEP_1)
	v_pk_fma_f32 v[92:93], v[86:87], v[76:77], v[90:91] op_sel:[0,0,1] op_sel_hi:[1,1,0] neg_lo:[0,0,1] neg_hi:[0,0,1]
	v_pk_fma_f32 v[86:87], v[86:87], v[76:77], v[90:91] op_sel:[0,0,1] op_sel_hi:[1,0,0]
	v_mov_b32_e32 v93, v87
	v_pk_mul_f32 v[86:87], v[88:89], v[78:79] op_sel:[0,1]
	s_delay_alu instid0(VALU_DEP_1) | instskip(SKIP_1) | instid1(VALU_DEP_1)
	v_pk_fma_f32 v[90:91], v[88:89], v[76:77], v[86:87] op_sel:[0,0,1] op_sel_hi:[1,1,0] neg_lo:[0,0,1] neg_hi:[0,0,1]
	v_pk_fma_f32 v[86:87], v[88:89], v[76:77], v[86:87] op_sel:[0,0,1] op_sel_hi:[1,0,0]
	v_mov_b32_e32 v91, v87
	ds_load_2addr_b64 v[86:89], v80 offset0:26 offset1:27
	v_pk_add_f32 v[68:69], v[68:69], v[92:93] neg_lo:[0,1] neg_hi:[0,1]
	v_pk_add_f32 v[66:67], v[66:67], v[90:91] neg_lo:[0,1] neg_hi:[0,1]
	s_wait_dscnt 0x0
	v_dual_mul_f32 v90, v87, v79 :: v_dual_mul_f32 v92, v87, v76
	s_delay_alu instid0(VALU_DEP_1) | instskip(NEXT) | instid1(VALU_DEP_2)
	v_pk_fma_f32 v[90:91], v[86:87], v[6:7], v[90:91] op_sel_hi:[1,1,0] neg_lo:[0,0,1] neg_hi:[0,0,1]
	v_pk_fma_f32 v[86:87], v[86:87], v[6:7], v[92:93] op_sel:[1,0,0] op_sel_hi:[0,1,0]
	s_delay_alu instid0(VALU_DEP_1) | instskip(SKIP_1) | instid1(VALU_DEP_2)
	v_mov_b32_e32 v91, v87
	v_pk_mul_f32 v[86:87], v[88:89], v[78:79] op_sel:[0,1]
	v_pk_add_f32 v[42:43], v[42:43], v[90:91] neg_lo:[0,1] neg_hi:[0,1]
	s_delay_alu instid0(VALU_DEP_2) | instskip(SKIP_1) | instid1(VALU_DEP_1)
	v_pk_fma_f32 v[90:91], v[88:89], v[76:77], v[86:87] op_sel:[0,0,1] op_sel_hi:[1,1,0] neg_lo:[0,0,1] neg_hi:[0,0,1]
	v_pk_fma_f32 v[86:87], v[88:89], v[76:77], v[86:87] op_sel:[0,0,1] op_sel_hi:[1,0,0]
	v_mov_b32_e32 v91, v87
	ds_load_2addr_b64 v[86:89], v80 offset0:28 offset1:29
	v_pk_add_f32 v[40:41], v[40:41], v[90:91] neg_lo:[0,1] neg_hi:[0,1]
	s_wait_dscnt 0x0
	v_pk_mul_f32 v[90:91], v[86:87], v[78:79] op_sel:[0,1]
	s_delay_alu instid0(VALU_DEP_1) | instskip(SKIP_1) | instid1(VALU_DEP_1)
	v_pk_fma_f32 v[92:93], v[86:87], v[76:77], v[90:91] op_sel:[0,0,1] op_sel_hi:[1,1,0] neg_lo:[0,0,1] neg_hi:[0,0,1]
	v_pk_fma_f32 v[86:87], v[86:87], v[76:77], v[90:91] op_sel:[0,0,1] op_sel_hi:[1,0,0]
	v_mov_b32_e32 v93, v87
	v_pk_mul_f32 v[86:87], v[88:89], v[78:79] op_sel:[0,1]
	s_delay_alu instid0(VALU_DEP_2) | instskip(NEXT) | instid1(VALU_DEP_2)
	v_pk_add_f32 v[64:65], v[64:65], v[92:93] neg_lo:[0,1] neg_hi:[0,1]
	v_pk_fma_f32 v[90:91], v[88:89], v[76:77], v[86:87] op_sel:[0,0,1] op_sel_hi:[1,1,0] neg_lo:[0,0,1] neg_hi:[0,0,1]
	v_pk_fma_f32 v[86:87], v[88:89], v[76:77], v[86:87] op_sel:[0,0,1] op_sel_hi:[1,0,0]
	s_delay_alu instid0(VALU_DEP_1) | instskip(SKIP_4) | instid1(VALU_DEP_1)
	v_mov_b32_e32 v91, v87
	ds_load_2addr_b64 v[86:89], v80 offset0:30 offset1:31
	v_pk_add_f32 v[62:63], v[62:63], v[90:91] neg_lo:[0,1] neg_hi:[0,1]
	s_wait_dscnt 0x0
	v_pk_mul_f32 v[90:91], v[86:87], v[78:79] op_sel:[0,1]
	v_pk_fma_f32 v[92:93], v[86:87], v[76:77], v[90:91] op_sel:[0,0,1] op_sel_hi:[1,1,0] neg_lo:[0,0,1] neg_hi:[0,0,1]
	v_pk_fma_f32 v[86:87], v[86:87], v[76:77], v[90:91] op_sel:[0,0,1] op_sel_hi:[1,0,0]
	v_dual_mul_f32 v90, v89, v79 :: v_dual_mov_b32 v86, v89
	s_delay_alu instid0(VALU_DEP_2) | instskip(NEXT) | instid1(VALU_DEP_2)
	v_dual_mov_b32 v93, v87 :: v_dual_mov_b32 v87, v88
	v_pk_fma_f32 v[90:91], v[88:89], v[6:7], v[90:91] op_sel_hi:[1,1,0] neg_lo:[0,0,1] neg_hi:[0,0,1]
	v_mul_f32_e32 v88, v89, v76
	s_delay_alu instid0(VALU_DEP_3) | instskip(NEXT) | instid1(VALU_DEP_2)
	v_pk_add_f32 v[46:47], v[46:47], v[92:93] neg_lo:[0,1] neg_hi:[0,1]
	v_pk_fma_f32 v[86:87], v[86:87], v[6:7], v[88:89] op_sel_hi:[1,1,0]
	s_delay_alu instid0(VALU_DEP_1) | instskip(SKIP_4) | instid1(VALU_DEP_1)
	v_mov_b32_e32 v91, v87
	ds_load_2addr_b64 v[86:89], v80 offset0:32 offset1:33
	v_pk_add_f32 v[44:45], v[44:45], v[90:91] neg_lo:[0,1] neg_hi:[0,1]
	s_wait_dscnt 0x0
	v_pk_mul_f32 v[90:91], v[86:87], v[78:79] op_sel:[0,1]
	v_pk_fma_f32 v[92:93], v[86:87], v[76:77], v[90:91] op_sel:[0,0,1] op_sel_hi:[1,1,0] neg_lo:[0,0,1] neg_hi:[0,0,1]
	v_pk_fma_f32 v[86:87], v[86:87], v[76:77], v[90:91] op_sel:[0,0,1] op_sel_hi:[1,0,0]
	s_delay_alu instid0(VALU_DEP_1) | instskip(SKIP_1) | instid1(VALU_DEP_1)
	v_mov_b32_e32 v93, v87
	v_pk_mul_f32 v[86:87], v[88:89], v[78:79] op_sel:[0,1]
	v_pk_fma_f32 v[90:91], v[88:89], v[76:77], v[86:87] op_sel:[0,0,1] op_sel_hi:[1,1,0] neg_lo:[0,0,1] neg_hi:[0,0,1]
	v_pk_fma_f32 v[86:87], v[88:89], v[76:77], v[86:87] op_sel:[0,0,1] op_sel_hi:[1,0,0]
	s_delay_alu instid0(VALU_DEP_1)
	v_mov_b32_e32 v91, v87
	ds_load_b64 v[86:87], v80 offset:272
	v_pk_add_f32 v[54:55], v[54:55], v[92:93] neg_lo:[0,1] neg_hi:[0,1]
	v_pk_add_f32 v[52:53], v[52:53], v[90:91] neg_lo:[0,1] neg_hi:[0,1]
	s_wait_dscnt 0x0
	v_pk_mul_f32 v[78:79], v[86:87], v[78:79] op_sel:[0,1]
	s_delay_alu instid0(VALU_DEP_1) | instskip(SKIP_1) | instid1(VALU_DEP_1)
	v_pk_fma_f32 v[88:89], v[86:87], v[76:77], v[78:79] op_sel:[0,0,1] op_sel_hi:[1,1,0] neg_lo:[0,0,1] neg_hi:[0,0,1]
	v_pk_fma_f32 v[76:77], v[86:87], v[76:77], v[78:79] op_sel:[0,0,1] op_sel_hi:[1,0,0]
	v_mov_b32_e32 v89, v77
	s_delay_alu instid0(VALU_DEP_1)
	v_pk_add_f32 v[74:75], v[74:75], v[88:89] neg_lo:[0,1] neg_hi:[0,1]
.LBB68_167:
	s_or_b32 exec_lo, exec_lo, s0
	v_lshl_add_u32 v76, v84, 3, v80
	s_barrier_signal -1
	s_barrier_wait -1
	ds_store_b64 v76, v[28:29]
	s_wait_dscnt 0x0
	s_barrier_signal -1
	s_barrier_wait -1
	ds_load_b64 v[78:79], v80 offset:64
	v_mov_b32_e32 v76, 8
	s_cmp_lt_i32 s14, 10
	s_cbranch_scc1 .LBB68_170
; %bb.168:
	v_add3_u32 v77, v81, 0, 0x48
	v_mov_b32_e32 v76, 8
	s_mov_b32 s0, 9
.LBB68_169:                             ; =>This Inner Loop Header: Depth=1
	ds_load_b64 v[86:87], v77
	s_wait_dscnt 0x1
	v_cmp_gt_f32_e32 vcc_lo, 0, v78
	v_cndmask_b32_e64 v88, v78, -v78, vcc_lo
	v_cmp_gt_f32_e32 vcc_lo, 0, v79
	v_cndmask_b32_e64 v90, v79, -v79, vcc_lo
	s_wait_dscnt 0x0
	v_cmp_gt_f32_e32 vcc_lo, 0, v86
	v_cndmask_b32_e64 v89, v86, -v86, vcc_lo
	v_cmp_gt_f32_e32 vcc_lo, 0, v87
	v_cndmask_b32_e64 v91, v87, -v87, vcc_lo
	s_delay_alu instid0(VALU_DEP_1) | instskip(NEXT) | instid1(VALU_DEP_1)
	v_pk_add_f32 v[88:89], v[88:89], v[90:91]
	v_cmp_lt_f32_e32 vcc_lo, v88, v89
	v_dual_add_nc_u32 v77, 8, v77 :: v_dual_cndmask_b32 v79, v79, v87, vcc_lo
	v_cndmask_b32_e32 v78, v78, v86, vcc_lo
	v_cndmask_b32_e64 v76, v76, s0, vcc_lo
	s_add_co_i32 s0, s0, 1
	s_delay_alu instid0(SALU_CYCLE_1)
	s_cmp_lg_u32 s14, s0
	s_cbranch_scc1 .LBB68_169
.LBB68_170:
	s_wait_dscnt 0x0
	v_cmp_eq_f32_e32 vcc_lo, 0, v78
	v_cmp_eq_f32_e64 s0, 0, v79
	s_and_b32 s0, vcc_lo, s0
	s_delay_alu instid0(SALU_CYCLE_1) | instskip(NEXT) | instid1(SALU_CYCLE_1)
	s_and_saveexec_b32 s1, s0
	s_xor_b32 s0, exec_lo, s1
; %bb.171:
	v_cmp_ne_u32_e32 vcc_lo, 0, v82
	v_cndmask_b32_e32 v82, 9, v82, vcc_lo
; %bb.172:
	s_and_not1_saveexec_b32 s0, s0
	s_cbranch_execz .LBB68_178
; %bb.173:
	v_cmp_ngt_f32_e64 s1, |v78|, |v79|
	s_and_saveexec_b32 s15, s1
	s_delay_alu instid0(SALU_CYCLE_1)
	s_xor_b32 s1, exec_lo, s15
	s_cbranch_execz .LBB68_175
; %bb.174:
	v_div_scale_f32 v77, null, v79, v79, v78
	v_div_scale_f32 v87, vcc_lo, v78, v79, v78
	s_delay_alu instid0(VALU_DEP_2) | instskip(SKIP_1) | instid1(TRANS32_DEP_1)
	v_rcp_f32_e32 v85, v77
	v_nop
	v_fma_f32 v86, -v77, v85, 1.0
	s_delay_alu instid0(VALU_DEP_1) | instskip(NEXT) | instid1(VALU_DEP_1)
	v_fmac_f32_e32 v85, v86, v85
	v_mul_f32_e32 v86, v87, v85
	s_delay_alu instid0(VALU_DEP_1) | instskip(NEXT) | instid1(VALU_DEP_1)
	v_fma_f32 v88, -v77, v86, v87
	v_fmac_f32_e32 v86, v88, v85
	s_delay_alu instid0(VALU_DEP_1) | instskip(NEXT) | instid1(VALU_DEP_1)
	v_fma_f32 v77, -v77, v86, v87
	v_div_fmas_f32 v77, v77, v85, v86
	s_delay_alu instid0(VALU_DEP_1) | instskip(NEXT) | instid1(VALU_DEP_1)
	v_div_fixup_f32 v77, v77, v79, v78
	v_fmac_f32_e32 v79, v78, v77
	s_delay_alu instid0(VALU_DEP_1) | instskip(SKIP_1) | instid1(VALU_DEP_2)
	v_div_scale_f32 v78, null, v79, v79, 1.0
	v_div_scale_f32 v87, vcc_lo, 1.0, v79, 1.0
	v_rcp_f32_e32 v85, v78
	v_nop
	s_delay_alu instid0(TRANS32_DEP_1) | instskip(NEXT) | instid1(VALU_DEP_1)
	v_fma_f32 v86, -v78, v85, 1.0
	v_fmac_f32_e32 v85, v86, v85
	s_delay_alu instid0(VALU_DEP_1) | instskip(NEXT) | instid1(VALU_DEP_1)
	v_mul_f32_e32 v86, v87, v85
	v_fma_f32 v88, -v78, v86, v87
	s_delay_alu instid0(VALU_DEP_1) | instskip(NEXT) | instid1(VALU_DEP_1)
	v_fmac_f32_e32 v86, v88, v85
	v_fma_f32 v78, -v78, v86, v87
	s_delay_alu instid0(VALU_DEP_1) | instskip(NEXT) | instid1(VALU_DEP_1)
	v_div_fmas_f32 v78, v78, v85, v86
	v_div_fixup_f32 v79, v78, v79, 1.0
	s_delay_alu instid0(VALU_DEP_1)
	v_mul_f32_e32 v78, v77, v79
	v_xor_b32_e32 v79, 0x80000000, v79
.LBB68_175:
	s_and_not1_saveexec_b32 s1, s1
	s_cbranch_execz .LBB68_177
; %bb.176:
	s_delay_alu instid0(VALU_DEP_1) | instskip(SKIP_1) | instid1(VALU_DEP_2)
	v_div_scale_f32 v77, null, v78, v78, v79
	v_div_scale_f32 v87, vcc_lo, v79, v78, v79
	v_rcp_f32_e32 v85, v77
	v_nop
	s_delay_alu instid0(TRANS32_DEP_1) | instskip(NEXT) | instid1(VALU_DEP_1)
	v_fma_f32 v86, -v77, v85, 1.0
	v_fmac_f32_e32 v85, v86, v85
	s_delay_alu instid0(VALU_DEP_1) | instskip(NEXT) | instid1(VALU_DEP_1)
	v_mul_f32_e32 v86, v87, v85
	v_fma_f32 v88, -v77, v86, v87
	s_delay_alu instid0(VALU_DEP_1) | instskip(NEXT) | instid1(VALU_DEP_1)
	v_fmac_f32_e32 v86, v88, v85
	v_fma_f32 v77, -v77, v86, v87
	s_delay_alu instid0(VALU_DEP_1) | instskip(NEXT) | instid1(VALU_DEP_1)
	v_div_fmas_f32 v77, v77, v85, v86
	v_div_fixup_f32 v77, v77, v78, v79
	s_delay_alu instid0(VALU_DEP_1) | instskip(NEXT) | instid1(VALU_DEP_1)
	v_fmac_f32_e32 v78, v79, v77
	v_div_scale_f32 v79, null, v78, v78, 1.0
	s_delay_alu instid0(VALU_DEP_1) | instskip(SKIP_1) | instid1(TRANS32_DEP_1)
	v_rcp_f32_e32 v85, v79
	v_nop
	v_fma_f32 v86, -v79, v85, 1.0
	s_delay_alu instid0(VALU_DEP_1) | instskip(SKIP_1) | instid1(VALU_DEP_1)
	v_fmac_f32_e32 v85, v86, v85
	v_div_scale_f32 v86, vcc_lo, 1.0, v78, 1.0
	v_mul_f32_e32 v87, v86, v85
	s_delay_alu instid0(VALU_DEP_1) | instskip(NEXT) | instid1(VALU_DEP_1)
	v_fma_f32 v88, -v79, v87, v86
	v_fmac_f32_e32 v87, v88, v85
	s_delay_alu instid0(VALU_DEP_1) | instskip(NEXT) | instid1(VALU_DEP_1)
	v_fma_f32 v79, -v79, v87, v86
	v_div_fmas_f32 v79, v79, v85, v87
	s_delay_alu instid0(VALU_DEP_1) | instskip(NEXT) | instid1(VALU_DEP_1)
	v_div_fixup_f32 v78, v79, v78, 1.0
	v_mul_f32_e64 v79, v77, -v78
.LBB68_177:
	s_or_b32 exec_lo, exec_lo, s1
.LBB68_178:
	s_delay_alu instid0(SALU_CYCLE_1) | instskip(NEXT) | instid1(SALU_CYCLE_1)
	s_or_b32 exec_lo, exec_lo, s0
	s_mov_b32 s0, exec_lo
	v_cmpx_ne_u32_e64 v84, v76
	s_xor_b32 s0, exec_lo, s0
	s_cbranch_execz .LBB68_184
; %bb.179:
	s_mov_b32 s1, exec_lo
	v_cmpx_eq_u32_e32 8, v84
	s_cbranch_execz .LBB68_183
; %bb.180:
	v_cmp_ne_u32_e32 vcc_lo, 8, v76
	s_xor_b32 s15, s12, -1
	s_delay_alu instid0(SALU_CYCLE_1) | instskip(NEXT) | instid1(SALU_CYCLE_1)
	s_and_b32 s16, s15, vcc_lo
	s_and_saveexec_b32 s15, s16
	s_cbranch_execz .LBB68_182
; %bb.181:
	v_ashrrev_i32_e32 v77, 31, v76
	s_delay_alu instid0(VALU_DEP_1)
	v_lshl_add_u64 v[84:85], v[76:77], 2, v[4:5]
	s_clause 0x1
	global_load_b32 v77, v[84:85], off
	global_load_b32 v83, v[4:5], off offset:32
	s_wait_loadcnt 0x1
	global_store_b32 v[4:5], v77, off offset:32
	s_wait_loadcnt 0x0
	global_store_b32 v[84:85], v83, off
.LBB68_182:
	s_wait_xcnt 0x0
	s_or_b32 exec_lo, exec_lo, s15
	v_dual_mov_b32 v84, v76 :: v_dual_mov_b32 v83, v76
.LBB68_183:
	s_or_b32 exec_lo, exec_lo, s1
.LBB68_184:
	s_and_not1_saveexec_b32 s0, s0
	s_cbranch_execz .LBB68_186
; %bb.185:
	v_mov_b32_e32 v84, 8
	ds_store_2addr_b64 v80, v[26:27], v[12:13] offset0:9 offset1:10
	ds_store_2addr_b64 v80, v[10:11], v[36:37] offset0:11 offset1:12
	;; [unrolled: 1-line block ×13, first 2 shown]
.LBB68_186:
	s_or_b32 exec_lo, exec_lo, s0
	s_delay_alu instid0(SALU_CYCLE_1)
	s_mov_b32 s0, exec_lo
	s_wait_storecnt_dscnt 0x0
	s_barrier_signal -1
	s_barrier_wait -1
	v_cmpx_lt_i32_e32 8, v84
	s_cbranch_execz .LBB68_188
; %bb.187:
	v_pk_mul_f32 v[86:87], v[78:79], v[28:29] op_sel:[1,1] op_sel_hi:[0,1]
	s_delay_alu instid0(VALU_DEP_1)
	v_pk_fma_f32 v[76:77], v[78:79], v[28:29], v[86:87] op_sel_hi:[1,0,1] neg_lo:[0,0,1] neg_hi:[0,0,1]
	v_pk_fma_f32 v[78:79], v[78:79], v[28:29], v[86:87] op_sel_hi:[1,0,1]
	ds_load_2addr_b64 v[86:89], v80 offset0:9 offset1:10
	v_dual_mov_b32 v28, v76 :: v_dual_mov_b32 v29, v79
	s_wait_dscnt 0x0
	v_pk_mul_f32 v[90:91], v[86:87], v[78:79] op_sel:[0,1]
	s_delay_alu instid0(VALU_DEP_1) | instskip(SKIP_1) | instid1(VALU_DEP_1)
	v_pk_fma_f32 v[92:93], v[86:87], v[76:77], v[90:91] op_sel:[0,0,1] op_sel_hi:[1,1,0] neg_lo:[0,0,1] neg_hi:[0,0,1]
	v_pk_fma_f32 v[86:87], v[86:87], v[76:77], v[90:91] op_sel:[0,0,1] op_sel_hi:[1,0,0]
	v_mov_b32_e32 v93, v87
	v_pk_mul_f32 v[86:87], v[88:89], v[78:79] op_sel:[0,1]
	s_delay_alu instid0(VALU_DEP_1) | instskip(SKIP_1) | instid1(VALU_DEP_1)
	v_pk_fma_f32 v[90:91], v[88:89], v[76:77], v[86:87] op_sel:[0,0,1] op_sel_hi:[1,1,0] neg_lo:[0,0,1] neg_hi:[0,0,1]
	v_pk_fma_f32 v[86:87], v[88:89], v[76:77], v[86:87] op_sel:[0,0,1] op_sel_hi:[1,0,0]
	v_mov_b32_e32 v91, v87
	ds_load_2addr_b64 v[86:89], v80 offset0:11 offset1:12
	v_pk_add_f32 v[26:27], v[26:27], v[92:93] neg_lo:[0,1] neg_hi:[0,1]
	v_pk_add_f32 v[12:13], v[12:13], v[90:91] neg_lo:[0,1] neg_hi:[0,1]
	s_wait_dscnt 0x0
	v_pk_mul_f32 v[90:91], v[86:87], v[78:79] op_sel:[0,1]
	s_delay_alu instid0(VALU_DEP_1) | instskip(SKIP_2) | instid1(VALU_DEP_2)
	v_pk_fma_f32 v[92:93], v[86:87], v[76:77], v[90:91] op_sel:[0,0,1] op_sel_hi:[1,1,0] neg_lo:[0,0,1] neg_hi:[0,0,1]
	v_pk_fma_f32 v[86:87], v[86:87], v[76:77], v[90:91] op_sel:[0,0,1] op_sel_hi:[1,0,0]
	v_dual_mul_f32 v90, v89, v79 :: v_dual_mov_b32 v86, v89
	v_dual_mov_b32 v93, v87 :: v_dual_mov_b32 v87, v88
	s_delay_alu instid0(VALU_DEP_2) | instskip(SKIP_1) | instid1(VALU_DEP_3)
	v_pk_fma_f32 v[90:91], v[88:89], v[28:29], v[90:91] op_sel_hi:[1,1,0] neg_lo:[0,0,1] neg_hi:[0,0,1]
	v_mul_f32_e32 v88, v89, v76
	v_pk_add_f32 v[10:11], v[10:11], v[92:93] neg_lo:[0,1] neg_hi:[0,1]
	s_delay_alu instid0(VALU_DEP_2) | instskip(NEXT) | instid1(VALU_DEP_1)
	v_pk_fma_f32 v[86:87], v[86:87], v[28:29], v[88:89] op_sel_hi:[1,1,0]
	v_mov_b32_e32 v91, v87
	ds_load_2addr_b64 v[86:89], v80 offset0:13 offset1:14
	v_pk_add_f32 v[36:37], v[36:37], v[90:91] neg_lo:[0,1] neg_hi:[0,1]
	s_wait_dscnt 0x0
	v_pk_mul_f32 v[90:91], v[86:87], v[78:79] op_sel:[0,1]
	s_delay_alu instid0(VALU_DEP_1) | instskip(SKIP_1) | instid1(VALU_DEP_1)
	v_pk_fma_f32 v[92:93], v[86:87], v[76:77], v[90:91] op_sel:[0,0,1] op_sel_hi:[1,1,0] neg_lo:[0,0,1] neg_hi:[0,0,1]
	v_pk_fma_f32 v[86:87], v[86:87], v[76:77], v[90:91] op_sel:[0,0,1] op_sel_hi:[1,0,0]
	v_mov_b32_e32 v93, v87
	v_pk_mul_f32 v[86:87], v[88:89], v[78:79] op_sel:[0,1]
	s_delay_alu instid0(VALU_DEP_1) | instskip(SKIP_1) | instid1(VALU_DEP_1)
	v_pk_fma_f32 v[90:91], v[88:89], v[76:77], v[86:87] op_sel:[0,0,1] op_sel_hi:[1,1,0] neg_lo:[0,0,1] neg_hi:[0,0,1]
	v_pk_fma_f32 v[86:87], v[88:89], v[76:77], v[86:87] op_sel:[0,0,1] op_sel_hi:[1,0,0]
	v_mov_b32_e32 v91, v87
	ds_load_2addr_b64 v[86:89], v80 offset0:15 offset1:16
	v_pk_add_f32 v[34:35], v[34:35], v[92:93] neg_lo:[0,1] neg_hi:[0,1]
	v_pk_add_f32 v[16:17], v[16:17], v[90:91] neg_lo:[0,1] neg_hi:[0,1]
	s_wait_dscnt 0x0
	v_pk_mul_f32 v[90:91], v[86:87], v[78:79] op_sel:[0,1]
	s_delay_alu instid0(VALU_DEP_1) | instskip(SKIP_1) | instid1(VALU_DEP_1)
	v_pk_fma_f32 v[92:93], v[86:87], v[76:77], v[90:91] op_sel:[0,0,1] op_sel_hi:[1,1,0] neg_lo:[0,0,1] neg_hi:[0,0,1]
	v_pk_fma_f32 v[86:87], v[86:87], v[76:77], v[90:91] op_sel:[0,0,1] op_sel_hi:[1,0,0]
	v_mov_b32_e32 v93, v87
	v_pk_mul_f32 v[86:87], v[88:89], v[78:79] op_sel:[0,1]
	s_delay_alu instid0(VALU_DEP_1) | instskip(SKIP_1) | instid1(VALU_DEP_1)
	v_pk_fma_f32 v[90:91], v[88:89], v[76:77], v[86:87] op_sel:[0,0,1] op_sel_hi:[1,1,0] neg_lo:[0,0,1] neg_hi:[0,0,1]
	v_pk_fma_f32 v[86:87], v[88:89], v[76:77], v[86:87] op_sel:[0,0,1] op_sel_hi:[1,0,0]
	v_mov_b32_e32 v91, v87
	ds_load_2addr_b64 v[86:89], v80 offset0:17 offset1:18
	v_pk_add_f32 v[14:15], v[14:15], v[92:93] neg_lo:[0,1] neg_hi:[0,1]
	v_pk_add_f32 v[50:51], v[50:51], v[90:91] neg_lo:[0,1] neg_hi:[0,1]
	s_wait_dscnt 0x0
	v_dual_mul_f32 v90, v87, v79 :: v_dual_mul_f32 v92, v87, v76
	s_delay_alu instid0(VALU_DEP_1) | instskip(NEXT) | instid1(VALU_DEP_2)
	v_pk_fma_f32 v[90:91], v[86:87], v[28:29], v[90:91] op_sel_hi:[1,1,0] neg_lo:[0,0,1] neg_hi:[0,0,1]
	v_pk_fma_f32 v[86:87], v[86:87], v[28:29], v[92:93] op_sel:[1,0,0] op_sel_hi:[0,1,0]
	s_delay_alu instid0(VALU_DEP_1) | instskip(SKIP_1) | instid1(VALU_DEP_2)
	v_mov_b32_e32 v91, v87
	v_pk_mul_f32 v[86:87], v[88:89], v[78:79] op_sel:[0,1]
	v_pk_add_f32 v[48:49], v[48:49], v[90:91] neg_lo:[0,1] neg_hi:[0,1]
	s_delay_alu instid0(VALU_DEP_2) | instskip(SKIP_1) | instid1(VALU_DEP_1)
	v_pk_fma_f32 v[90:91], v[88:89], v[76:77], v[86:87] op_sel:[0,0,1] op_sel_hi:[1,1,0] neg_lo:[0,0,1] neg_hi:[0,0,1]
	v_pk_fma_f32 v[86:87], v[88:89], v[76:77], v[86:87] op_sel:[0,0,1] op_sel_hi:[1,0,0]
	v_mov_b32_e32 v91, v87
	ds_load_2addr_b64 v[86:89], v80 offset0:19 offset1:20
	v_pk_add_f32 v[24:25], v[24:25], v[90:91] neg_lo:[0,1] neg_hi:[0,1]
	s_wait_dscnt 0x0
	v_pk_mul_f32 v[90:91], v[86:87], v[78:79] op_sel:[0,1]
	s_delay_alu instid0(VALU_DEP_1) | instskip(SKIP_1) | instid1(VALU_DEP_1)
	v_pk_fma_f32 v[92:93], v[86:87], v[76:77], v[90:91] op_sel:[0,0,1] op_sel_hi:[1,1,0] neg_lo:[0,0,1] neg_hi:[0,0,1]
	v_pk_fma_f32 v[86:87], v[86:87], v[76:77], v[90:91] op_sel:[0,0,1] op_sel_hi:[1,0,0]
	v_mov_b32_e32 v93, v87
	v_pk_mul_f32 v[86:87], v[88:89], v[78:79] op_sel:[0,1]
	s_delay_alu instid0(VALU_DEP_2) | instskip(NEXT) | instid1(VALU_DEP_2)
	v_pk_add_f32 v[22:23], v[22:23], v[92:93] neg_lo:[0,1] neg_hi:[0,1]
	v_pk_fma_f32 v[90:91], v[88:89], v[76:77], v[86:87] op_sel:[0,0,1] op_sel_hi:[1,1,0] neg_lo:[0,0,1] neg_hi:[0,0,1]
	v_pk_fma_f32 v[86:87], v[88:89], v[76:77], v[86:87] op_sel:[0,0,1] op_sel_hi:[1,0,0]
	s_delay_alu instid0(VALU_DEP_1) | instskip(SKIP_4) | instid1(VALU_DEP_1)
	v_mov_b32_e32 v91, v87
	ds_load_2addr_b64 v[86:89], v80 offset0:21 offset1:22
	v_pk_add_f32 v[60:61], v[60:61], v[90:91] neg_lo:[0,1] neg_hi:[0,1]
	s_wait_dscnt 0x0
	v_pk_mul_f32 v[90:91], v[86:87], v[78:79] op_sel:[0,1]
	v_pk_fma_f32 v[92:93], v[86:87], v[76:77], v[90:91] op_sel:[0,0,1] op_sel_hi:[1,1,0] neg_lo:[0,0,1] neg_hi:[0,0,1]
	v_pk_fma_f32 v[86:87], v[86:87], v[76:77], v[90:91] op_sel:[0,0,1] op_sel_hi:[1,0,0]
	v_dual_mul_f32 v90, v89, v79 :: v_dual_mov_b32 v86, v89
	s_delay_alu instid0(VALU_DEP_2) | instskip(NEXT) | instid1(VALU_DEP_2)
	v_dual_mov_b32 v93, v87 :: v_dual_mov_b32 v87, v88
	v_pk_fma_f32 v[90:91], v[88:89], v[28:29], v[90:91] op_sel_hi:[1,1,0] neg_lo:[0,0,1] neg_hi:[0,0,1]
	v_mul_f32_e32 v88, v89, v76
	s_delay_alu instid0(VALU_DEP_3) | instskip(NEXT) | instid1(VALU_DEP_2)
	v_pk_add_f32 v[58:59], v[58:59], v[92:93] neg_lo:[0,1] neg_hi:[0,1]
	v_pk_fma_f32 v[86:87], v[86:87], v[28:29], v[88:89] op_sel_hi:[1,1,0]
	s_delay_alu instid0(VALU_DEP_1) | instskip(SKIP_4) | instid1(VALU_DEP_1)
	v_mov_b32_e32 v91, v87
	ds_load_2addr_b64 v[86:89], v80 offset0:23 offset1:24
	v_pk_add_f32 v[32:33], v[32:33], v[90:91] neg_lo:[0,1] neg_hi:[0,1]
	s_wait_dscnt 0x0
	v_pk_mul_f32 v[90:91], v[86:87], v[78:79] op_sel:[0,1]
	v_pk_fma_f32 v[92:93], v[86:87], v[76:77], v[90:91] op_sel:[0,0,1] op_sel_hi:[1,1,0] neg_lo:[0,0,1] neg_hi:[0,0,1]
	v_pk_fma_f32 v[86:87], v[86:87], v[76:77], v[90:91] op_sel:[0,0,1] op_sel_hi:[1,0,0]
	s_delay_alu instid0(VALU_DEP_1) | instskip(SKIP_1) | instid1(VALU_DEP_1)
	v_mov_b32_e32 v93, v87
	v_pk_mul_f32 v[86:87], v[88:89], v[78:79] op_sel:[0,1]
	v_pk_fma_f32 v[90:91], v[88:89], v[76:77], v[86:87] op_sel:[0,0,1] op_sel_hi:[1,1,0] neg_lo:[0,0,1] neg_hi:[0,0,1]
	v_pk_fma_f32 v[86:87], v[88:89], v[76:77], v[86:87] op_sel:[0,0,1] op_sel_hi:[1,0,0]
	s_delay_alu instid0(VALU_DEP_1)
	v_mov_b32_e32 v91, v87
	ds_load_2addr_b64 v[86:89], v80 offset0:25 offset1:26
	v_pk_add_f32 v[30:31], v[30:31], v[92:93] neg_lo:[0,1] neg_hi:[0,1]
	v_pk_add_f32 v[68:69], v[68:69], v[90:91] neg_lo:[0,1] neg_hi:[0,1]
	s_wait_dscnt 0x0
	v_pk_mul_f32 v[90:91], v[86:87], v[78:79] op_sel:[0,1]
	s_delay_alu instid0(VALU_DEP_1) | instskip(SKIP_1) | instid1(VALU_DEP_1)
	v_pk_fma_f32 v[92:93], v[86:87], v[76:77], v[90:91] op_sel:[0,0,1] op_sel_hi:[1,1,0] neg_lo:[0,0,1] neg_hi:[0,0,1]
	v_pk_fma_f32 v[86:87], v[86:87], v[76:77], v[90:91] op_sel:[0,0,1] op_sel_hi:[1,0,0]
	v_mov_b32_e32 v93, v87
	v_pk_mul_f32 v[86:87], v[88:89], v[78:79] op_sel:[0,1]
	s_delay_alu instid0(VALU_DEP_1) | instskip(SKIP_1) | instid1(VALU_DEP_1)
	v_pk_fma_f32 v[90:91], v[88:89], v[76:77], v[86:87] op_sel:[0,0,1] op_sel_hi:[1,1,0] neg_lo:[0,0,1] neg_hi:[0,0,1]
	v_pk_fma_f32 v[86:87], v[88:89], v[76:77], v[86:87] op_sel:[0,0,1] op_sel_hi:[1,0,0]
	v_mov_b32_e32 v91, v87
	ds_load_2addr_b64 v[86:89], v80 offset0:27 offset1:28
	v_pk_add_f32 v[66:67], v[66:67], v[92:93] neg_lo:[0,1] neg_hi:[0,1]
	v_pk_add_f32 v[42:43], v[42:43], v[90:91] neg_lo:[0,1] neg_hi:[0,1]
	s_wait_dscnt 0x0
	v_dual_mul_f32 v90, v87, v79 :: v_dual_mul_f32 v92, v87, v76
	s_delay_alu instid0(VALU_DEP_1) | instskip(NEXT) | instid1(VALU_DEP_2)
	v_pk_fma_f32 v[90:91], v[86:87], v[28:29], v[90:91] op_sel_hi:[1,1,0] neg_lo:[0,0,1] neg_hi:[0,0,1]
	v_pk_fma_f32 v[86:87], v[86:87], v[28:29], v[92:93] op_sel:[1,0,0] op_sel_hi:[0,1,0]
	s_delay_alu instid0(VALU_DEP_1) | instskip(SKIP_1) | instid1(VALU_DEP_2)
	v_mov_b32_e32 v91, v87
	v_pk_mul_f32 v[86:87], v[88:89], v[78:79] op_sel:[0,1]
	v_pk_add_f32 v[40:41], v[40:41], v[90:91] neg_lo:[0,1] neg_hi:[0,1]
	s_delay_alu instid0(VALU_DEP_2) | instskip(SKIP_1) | instid1(VALU_DEP_1)
	v_pk_fma_f32 v[90:91], v[88:89], v[76:77], v[86:87] op_sel:[0,0,1] op_sel_hi:[1,1,0] neg_lo:[0,0,1] neg_hi:[0,0,1]
	v_pk_fma_f32 v[86:87], v[88:89], v[76:77], v[86:87] op_sel:[0,0,1] op_sel_hi:[1,0,0]
	v_mov_b32_e32 v91, v87
	ds_load_2addr_b64 v[86:89], v80 offset0:29 offset1:30
	v_pk_add_f32 v[64:65], v[64:65], v[90:91] neg_lo:[0,1] neg_hi:[0,1]
	s_wait_dscnt 0x0
	v_pk_mul_f32 v[90:91], v[86:87], v[78:79] op_sel:[0,1]
	s_delay_alu instid0(VALU_DEP_1) | instskip(SKIP_1) | instid1(VALU_DEP_1)
	v_pk_fma_f32 v[92:93], v[86:87], v[76:77], v[90:91] op_sel:[0,0,1] op_sel_hi:[1,1,0] neg_lo:[0,0,1] neg_hi:[0,0,1]
	v_pk_fma_f32 v[86:87], v[86:87], v[76:77], v[90:91] op_sel:[0,0,1] op_sel_hi:[1,0,0]
	v_mov_b32_e32 v93, v87
	v_pk_mul_f32 v[86:87], v[88:89], v[78:79] op_sel:[0,1]
	s_delay_alu instid0(VALU_DEP_2) | instskip(NEXT) | instid1(VALU_DEP_2)
	v_pk_add_f32 v[62:63], v[62:63], v[92:93] neg_lo:[0,1] neg_hi:[0,1]
	v_pk_fma_f32 v[90:91], v[88:89], v[76:77], v[86:87] op_sel:[0,0,1] op_sel_hi:[1,1,0] neg_lo:[0,0,1] neg_hi:[0,0,1]
	v_pk_fma_f32 v[86:87], v[88:89], v[76:77], v[86:87] op_sel:[0,0,1] op_sel_hi:[1,0,0]
	s_delay_alu instid0(VALU_DEP_1) | instskip(SKIP_4) | instid1(VALU_DEP_1)
	v_mov_b32_e32 v91, v87
	ds_load_2addr_b64 v[86:89], v80 offset0:31 offset1:32
	v_pk_add_f32 v[46:47], v[46:47], v[90:91] neg_lo:[0,1] neg_hi:[0,1]
	s_wait_dscnt 0x0
	v_pk_mul_f32 v[90:91], v[86:87], v[78:79] op_sel:[0,1]
	v_pk_fma_f32 v[92:93], v[86:87], v[76:77], v[90:91] op_sel:[0,0,1] op_sel_hi:[1,1,0] neg_lo:[0,0,1] neg_hi:[0,0,1]
	v_pk_fma_f32 v[86:87], v[86:87], v[76:77], v[90:91] op_sel:[0,0,1] op_sel_hi:[1,0,0]
	v_dual_mul_f32 v90, v89, v79 :: v_dual_mov_b32 v86, v89
	s_delay_alu instid0(VALU_DEP_2) | instskip(NEXT) | instid1(VALU_DEP_2)
	v_dual_mov_b32 v93, v87 :: v_dual_mov_b32 v87, v88
	v_pk_fma_f32 v[90:91], v[88:89], v[28:29], v[90:91] op_sel_hi:[1,1,0] neg_lo:[0,0,1] neg_hi:[0,0,1]
	v_mul_f32_e32 v88, v89, v76
	s_delay_alu instid0(VALU_DEP_3) | instskip(NEXT) | instid1(VALU_DEP_2)
	v_pk_add_f32 v[44:45], v[44:45], v[92:93] neg_lo:[0,1] neg_hi:[0,1]
	v_pk_fma_f32 v[86:87], v[86:87], v[28:29], v[88:89] op_sel_hi:[1,1,0]
	s_delay_alu instid0(VALU_DEP_1)
	v_mov_b32_e32 v91, v87
	ds_load_2addr_b64 v[86:89], v80 offset0:33 offset1:34
	v_pk_add_f32 v[54:55], v[54:55], v[90:91] neg_lo:[0,1] neg_hi:[0,1]
	s_wait_dscnt 0x0
	v_pk_mul_f32 v[90:91], v[86:87], v[78:79] op_sel:[0,1]
	v_pk_mul_f32 v[78:79], v[88:89], v[78:79] op_sel:[0,1]
	s_delay_alu instid0(VALU_DEP_2) | instskip(SKIP_1) | instid1(VALU_DEP_1)
	v_pk_fma_f32 v[92:93], v[86:87], v[76:77], v[90:91] op_sel:[0,0,1] op_sel_hi:[1,1,0] neg_lo:[0,0,1] neg_hi:[0,0,1]
	v_pk_fma_f32 v[86:87], v[86:87], v[76:77], v[90:91] op_sel:[0,0,1] op_sel_hi:[1,0,0]
	v_mov_b32_e32 v93, v87
	s_delay_alu instid0(VALU_DEP_4) | instskip(SKIP_1) | instid1(VALU_DEP_1)
	v_pk_fma_f32 v[86:87], v[88:89], v[76:77], v[78:79] op_sel:[0,0,1] op_sel_hi:[1,1,0] neg_lo:[0,0,1] neg_hi:[0,0,1]
	v_pk_fma_f32 v[76:77], v[88:89], v[76:77], v[78:79] op_sel:[0,0,1] op_sel_hi:[1,0,0]
	v_mov_b32_e32 v87, v77
	s_delay_alu instid0(VALU_DEP_4) | instskip(NEXT) | instid1(VALU_DEP_2)
	v_pk_add_f32 v[52:53], v[52:53], v[92:93] neg_lo:[0,1] neg_hi:[0,1]
	v_pk_add_f32 v[74:75], v[74:75], v[86:87] neg_lo:[0,1] neg_hi:[0,1]
.LBB68_188:
	s_or_b32 exec_lo, exec_lo, s0
	v_lshl_add_u32 v76, v84, 3, v80
	s_barrier_signal -1
	s_barrier_wait -1
	ds_store_b64 v76, v[26:27]
	s_wait_dscnt 0x0
	s_barrier_signal -1
	s_barrier_wait -1
	ds_load_b64 v[78:79], v80 offset:72
	v_mov_b32_e32 v76, 9
	s_cmp_lt_i32 s14, 11
	s_cbranch_scc1 .LBB68_191
; %bb.189:
	v_add3_u32 v77, v81, 0, 0x50
	v_mov_b32_e32 v76, 9
	s_mov_b32 s0, 10
.LBB68_190:                             ; =>This Inner Loop Header: Depth=1
	ds_load_b64 v[86:87], v77
	s_wait_dscnt 0x1
	v_cmp_gt_f32_e32 vcc_lo, 0, v78
	v_cndmask_b32_e64 v88, v78, -v78, vcc_lo
	v_cmp_gt_f32_e32 vcc_lo, 0, v79
	v_cndmask_b32_e64 v90, v79, -v79, vcc_lo
	s_wait_dscnt 0x0
	v_cmp_gt_f32_e32 vcc_lo, 0, v86
	v_cndmask_b32_e64 v89, v86, -v86, vcc_lo
	v_cmp_gt_f32_e32 vcc_lo, 0, v87
	v_cndmask_b32_e64 v91, v87, -v87, vcc_lo
	s_delay_alu instid0(VALU_DEP_1) | instskip(NEXT) | instid1(VALU_DEP_1)
	v_pk_add_f32 v[88:89], v[88:89], v[90:91]
	v_cmp_lt_f32_e32 vcc_lo, v88, v89
	v_dual_add_nc_u32 v77, 8, v77 :: v_dual_cndmask_b32 v79, v79, v87, vcc_lo
	v_cndmask_b32_e32 v78, v78, v86, vcc_lo
	v_cndmask_b32_e64 v76, v76, s0, vcc_lo
	s_add_co_i32 s0, s0, 1
	s_delay_alu instid0(SALU_CYCLE_1)
	s_cmp_lg_u32 s14, s0
	s_cbranch_scc1 .LBB68_190
.LBB68_191:
	s_wait_dscnt 0x0
	v_cmp_eq_f32_e32 vcc_lo, 0, v78
	v_cmp_eq_f32_e64 s0, 0, v79
	s_and_b32 s0, vcc_lo, s0
	s_delay_alu instid0(SALU_CYCLE_1) | instskip(NEXT) | instid1(SALU_CYCLE_1)
	s_and_saveexec_b32 s1, s0
	s_xor_b32 s0, exec_lo, s1
; %bb.192:
	v_cmp_ne_u32_e32 vcc_lo, 0, v82
	v_cndmask_b32_e32 v82, 10, v82, vcc_lo
; %bb.193:
	s_and_not1_saveexec_b32 s0, s0
	s_cbranch_execz .LBB68_199
; %bb.194:
	v_cmp_ngt_f32_e64 s1, |v78|, |v79|
	s_and_saveexec_b32 s15, s1
	s_delay_alu instid0(SALU_CYCLE_1)
	s_xor_b32 s1, exec_lo, s15
	s_cbranch_execz .LBB68_196
; %bb.195:
	v_div_scale_f32 v77, null, v79, v79, v78
	v_div_scale_f32 v87, vcc_lo, v78, v79, v78
	s_delay_alu instid0(VALU_DEP_2) | instskip(SKIP_1) | instid1(TRANS32_DEP_1)
	v_rcp_f32_e32 v85, v77
	v_nop
	v_fma_f32 v86, -v77, v85, 1.0
	s_delay_alu instid0(VALU_DEP_1) | instskip(NEXT) | instid1(VALU_DEP_1)
	v_fmac_f32_e32 v85, v86, v85
	v_mul_f32_e32 v86, v87, v85
	s_delay_alu instid0(VALU_DEP_1) | instskip(NEXT) | instid1(VALU_DEP_1)
	v_fma_f32 v88, -v77, v86, v87
	v_fmac_f32_e32 v86, v88, v85
	s_delay_alu instid0(VALU_DEP_1) | instskip(NEXT) | instid1(VALU_DEP_1)
	v_fma_f32 v77, -v77, v86, v87
	v_div_fmas_f32 v77, v77, v85, v86
	s_delay_alu instid0(VALU_DEP_1) | instskip(NEXT) | instid1(VALU_DEP_1)
	v_div_fixup_f32 v77, v77, v79, v78
	v_fmac_f32_e32 v79, v78, v77
	s_delay_alu instid0(VALU_DEP_1) | instskip(SKIP_1) | instid1(VALU_DEP_2)
	v_div_scale_f32 v78, null, v79, v79, 1.0
	v_div_scale_f32 v87, vcc_lo, 1.0, v79, 1.0
	v_rcp_f32_e32 v85, v78
	v_nop
	s_delay_alu instid0(TRANS32_DEP_1) | instskip(NEXT) | instid1(VALU_DEP_1)
	v_fma_f32 v86, -v78, v85, 1.0
	v_fmac_f32_e32 v85, v86, v85
	s_delay_alu instid0(VALU_DEP_1) | instskip(NEXT) | instid1(VALU_DEP_1)
	v_mul_f32_e32 v86, v87, v85
	v_fma_f32 v88, -v78, v86, v87
	s_delay_alu instid0(VALU_DEP_1) | instskip(NEXT) | instid1(VALU_DEP_1)
	v_fmac_f32_e32 v86, v88, v85
	v_fma_f32 v78, -v78, v86, v87
	s_delay_alu instid0(VALU_DEP_1) | instskip(NEXT) | instid1(VALU_DEP_1)
	v_div_fmas_f32 v78, v78, v85, v86
	v_div_fixup_f32 v79, v78, v79, 1.0
	s_delay_alu instid0(VALU_DEP_1)
	v_mul_f32_e32 v78, v77, v79
	v_xor_b32_e32 v79, 0x80000000, v79
.LBB68_196:
	s_and_not1_saveexec_b32 s1, s1
	s_cbranch_execz .LBB68_198
; %bb.197:
	s_delay_alu instid0(VALU_DEP_1) | instskip(SKIP_1) | instid1(VALU_DEP_2)
	v_div_scale_f32 v77, null, v78, v78, v79
	v_div_scale_f32 v87, vcc_lo, v79, v78, v79
	v_rcp_f32_e32 v85, v77
	v_nop
	s_delay_alu instid0(TRANS32_DEP_1) | instskip(NEXT) | instid1(VALU_DEP_1)
	v_fma_f32 v86, -v77, v85, 1.0
	v_fmac_f32_e32 v85, v86, v85
	s_delay_alu instid0(VALU_DEP_1) | instskip(NEXT) | instid1(VALU_DEP_1)
	v_mul_f32_e32 v86, v87, v85
	v_fma_f32 v88, -v77, v86, v87
	s_delay_alu instid0(VALU_DEP_1) | instskip(NEXT) | instid1(VALU_DEP_1)
	v_fmac_f32_e32 v86, v88, v85
	v_fma_f32 v77, -v77, v86, v87
	s_delay_alu instid0(VALU_DEP_1) | instskip(NEXT) | instid1(VALU_DEP_1)
	v_div_fmas_f32 v77, v77, v85, v86
	v_div_fixup_f32 v77, v77, v78, v79
	s_delay_alu instid0(VALU_DEP_1) | instskip(NEXT) | instid1(VALU_DEP_1)
	v_fmac_f32_e32 v78, v79, v77
	v_div_scale_f32 v79, null, v78, v78, 1.0
	s_delay_alu instid0(VALU_DEP_1) | instskip(SKIP_1) | instid1(TRANS32_DEP_1)
	v_rcp_f32_e32 v85, v79
	v_nop
	v_fma_f32 v86, -v79, v85, 1.0
	s_delay_alu instid0(VALU_DEP_1) | instskip(SKIP_1) | instid1(VALU_DEP_1)
	v_fmac_f32_e32 v85, v86, v85
	v_div_scale_f32 v86, vcc_lo, 1.0, v78, 1.0
	v_mul_f32_e32 v87, v86, v85
	s_delay_alu instid0(VALU_DEP_1) | instskip(NEXT) | instid1(VALU_DEP_1)
	v_fma_f32 v88, -v79, v87, v86
	v_fmac_f32_e32 v87, v88, v85
	s_delay_alu instid0(VALU_DEP_1) | instskip(NEXT) | instid1(VALU_DEP_1)
	v_fma_f32 v79, -v79, v87, v86
	v_div_fmas_f32 v79, v79, v85, v87
	s_delay_alu instid0(VALU_DEP_1) | instskip(NEXT) | instid1(VALU_DEP_1)
	v_div_fixup_f32 v78, v79, v78, 1.0
	v_mul_f32_e64 v79, v77, -v78
.LBB68_198:
	s_or_b32 exec_lo, exec_lo, s1
.LBB68_199:
	s_delay_alu instid0(SALU_CYCLE_1) | instskip(NEXT) | instid1(SALU_CYCLE_1)
	s_or_b32 exec_lo, exec_lo, s0
	s_mov_b32 s0, exec_lo
	v_cmpx_ne_u32_e64 v84, v76
	s_xor_b32 s0, exec_lo, s0
	s_cbranch_execz .LBB68_205
; %bb.200:
	s_mov_b32 s1, exec_lo
	v_cmpx_eq_u32_e32 9, v84
	s_cbranch_execz .LBB68_204
; %bb.201:
	v_cmp_ne_u32_e32 vcc_lo, 9, v76
	s_xor_b32 s15, s12, -1
	s_delay_alu instid0(SALU_CYCLE_1) | instskip(NEXT) | instid1(SALU_CYCLE_1)
	s_and_b32 s16, s15, vcc_lo
	s_and_saveexec_b32 s15, s16
	s_cbranch_execz .LBB68_203
; %bb.202:
	v_ashrrev_i32_e32 v77, 31, v76
	s_delay_alu instid0(VALU_DEP_1)
	v_lshl_add_u64 v[84:85], v[76:77], 2, v[4:5]
	s_clause 0x1
	global_load_b32 v77, v[84:85], off
	global_load_b32 v83, v[4:5], off offset:36
	s_wait_loadcnt 0x1
	global_store_b32 v[4:5], v77, off offset:36
	s_wait_loadcnt 0x0
	global_store_b32 v[84:85], v83, off
.LBB68_203:
	s_wait_xcnt 0x0
	s_or_b32 exec_lo, exec_lo, s15
	v_dual_mov_b32 v84, v76 :: v_dual_mov_b32 v83, v76
.LBB68_204:
	s_or_b32 exec_lo, exec_lo, s1
.LBB68_205:
	s_and_not1_saveexec_b32 s0, s0
	s_cbranch_execz .LBB68_207
; %bb.206:
	v_dual_mov_b32 v76, v12 :: v_dual_mov_b32 v77, v13
	v_dual_mov_b32 v84, v10 :: v_dual_mov_b32 v85, v11
	ds_store_2addr_b64 v80, v[76:77], v[84:85] offset0:10 offset1:11
	v_dual_mov_b32 v76, v36 :: v_dual_mov_b32 v77, v37
	v_dual_mov_b32 v84, v34 :: v_dual_mov_b32 v85, v35
	ds_store_2addr_b64 v80, v[76:77], v[84:85] offset0:12 offset1:13
	;; [unrolled: 3-line block ×12, first 2 shown]
	ds_store_b64 v80, v[74:75] offset:272
	v_mov_b32_e32 v84, 9
.LBB68_207:
	s_or_b32 exec_lo, exec_lo, s0
	s_delay_alu instid0(SALU_CYCLE_1)
	s_mov_b32 s0, exec_lo
	s_wait_storecnt_dscnt 0x0
	s_barrier_signal -1
	s_barrier_wait -1
	v_cmpx_lt_i32_e32 9, v84
	s_cbranch_execz .LBB68_209
; %bb.208:
	v_pk_mul_f32 v[86:87], v[78:79], v[26:27] op_sel:[1,1] op_sel_hi:[0,1]
	s_delay_alu instid0(VALU_DEP_1)
	v_pk_fma_f32 v[76:77], v[78:79], v[26:27], v[86:87] op_sel_hi:[1,0,1] neg_lo:[0,0,1] neg_hi:[0,0,1]
	v_pk_fma_f32 v[78:79], v[78:79], v[26:27], v[86:87] op_sel_hi:[1,0,1]
	ds_load_2addr_b64 v[86:89], v80 offset0:10 offset1:11
	v_dual_mov_b32 v26, v76 :: v_dual_mov_b32 v27, v79
	s_wait_dscnt 0x0
	v_pk_mul_f32 v[90:91], v[86:87], v[78:79] op_sel:[0,1]
	s_delay_alu instid0(VALU_DEP_1) | instskip(SKIP_1) | instid1(VALU_DEP_1)
	v_pk_fma_f32 v[92:93], v[86:87], v[76:77], v[90:91] op_sel:[0,0,1] op_sel_hi:[1,1,0] neg_lo:[0,0,1] neg_hi:[0,0,1]
	v_pk_fma_f32 v[86:87], v[86:87], v[76:77], v[90:91] op_sel:[0,0,1] op_sel_hi:[1,0,0]
	v_mov_b32_e32 v93, v87
	v_pk_mul_f32 v[86:87], v[88:89], v[78:79] op_sel:[0,1]
	s_delay_alu instid0(VALU_DEP_1) | instskip(SKIP_1) | instid1(VALU_DEP_1)
	v_pk_fma_f32 v[90:91], v[88:89], v[76:77], v[86:87] op_sel:[0,0,1] op_sel_hi:[1,1,0] neg_lo:[0,0,1] neg_hi:[0,0,1]
	v_pk_fma_f32 v[86:87], v[88:89], v[76:77], v[86:87] op_sel:[0,0,1] op_sel_hi:[1,0,0]
	v_mov_b32_e32 v91, v87
	ds_load_2addr_b64 v[86:89], v80 offset0:12 offset1:13
	v_pk_add_f32 v[12:13], v[12:13], v[92:93] neg_lo:[0,1] neg_hi:[0,1]
	v_pk_add_f32 v[10:11], v[10:11], v[90:91] neg_lo:[0,1] neg_hi:[0,1]
	s_wait_dscnt 0x0
	v_pk_mul_f32 v[90:91], v[86:87], v[78:79] op_sel:[0,1]
	s_delay_alu instid0(VALU_DEP_1) | instskip(SKIP_2) | instid1(VALU_DEP_2)
	v_pk_fma_f32 v[92:93], v[86:87], v[76:77], v[90:91] op_sel:[0,0,1] op_sel_hi:[1,1,0] neg_lo:[0,0,1] neg_hi:[0,0,1]
	v_pk_fma_f32 v[86:87], v[86:87], v[76:77], v[90:91] op_sel:[0,0,1] op_sel_hi:[1,0,0]
	v_dual_mul_f32 v90, v89, v79 :: v_dual_mov_b32 v86, v89
	v_dual_mov_b32 v93, v87 :: v_dual_mov_b32 v87, v88
	s_delay_alu instid0(VALU_DEP_2) | instskip(SKIP_1) | instid1(VALU_DEP_3)
	v_pk_fma_f32 v[90:91], v[88:89], v[26:27], v[90:91] op_sel_hi:[1,1,0] neg_lo:[0,0,1] neg_hi:[0,0,1]
	v_mul_f32_e32 v88, v89, v76
	v_pk_add_f32 v[36:37], v[36:37], v[92:93] neg_lo:[0,1] neg_hi:[0,1]
	s_delay_alu instid0(VALU_DEP_2) | instskip(NEXT) | instid1(VALU_DEP_1)
	v_pk_fma_f32 v[86:87], v[86:87], v[26:27], v[88:89] op_sel_hi:[1,1,0]
	v_mov_b32_e32 v91, v87
	ds_load_2addr_b64 v[86:89], v80 offset0:14 offset1:15
	v_pk_add_f32 v[34:35], v[34:35], v[90:91] neg_lo:[0,1] neg_hi:[0,1]
	s_wait_dscnt 0x0
	v_pk_mul_f32 v[90:91], v[86:87], v[78:79] op_sel:[0,1]
	s_delay_alu instid0(VALU_DEP_1) | instskip(SKIP_1) | instid1(VALU_DEP_1)
	v_pk_fma_f32 v[92:93], v[86:87], v[76:77], v[90:91] op_sel:[0,0,1] op_sel_hi:[1,1,0] neg_lo:[0,0,1] neg_hi:[0,0,1]
	v_pk_fma_f32 v[86:87], v[86:87], v[76:77], v[90:91] op_sel:[0,0,1] op_sel_hi:[1,0,0]
	v_mov_b32_e32 v93, v87
	v_pk_mul_f32 v[86:87], v[88:89], v[78:79] op_sel:[0,1]
	s_delay_alu instid0(VALU_DEP_1) | instskip(SKIP_1) | instid1(VALU_DEP_1)
	v_pk_fma_f32 v[90:91], v[88:89], v[76:77], v[86:87] op_sel:[0,0,1] op_sel_hi:[1,1,0] neg_lo:[0,0,1] neg_hi:[0,0,1]
	v_pk_fma_f32 v[86:87], v[88:89], v[76:77], v[86:87] op_sel:[0,0,1] op_sel_hi:[1,0,0]
	v_mov_b32_e32 v91, v87
	ds_load_2addr_b64 v[86:89], v80 offset0:16 offset1:17
	v_pk_add_f32 v[16:17], v[16:17], v[92:93] neg_lo:[0,1] neg_hi:[0,1]
	v_pk_add_f32 v[14:15], v[14:15], v[90:91] neg_lo:[0,1] neg_hi:[0,1]
	s_wait_dscnt 0x0
	v_pk_mul_f32 v[90:91], v[86:87], v[78:79] op_sel:[0,1]
	s_delay_alu instid0(VALU_DEP_1) | instskip(SKIP_1) | instid1(VALU_DEP_1)
	v_pk_fma_f32 v[92:93], v[86:87], v[76:77], v[90:91] op_sel:[0,0,1] op_sel_hi:[1,1,0] neg_lo:[0,0,1] neg_hi:[0,0,1]
	v_pk_fma_f32 v[86:87], v[86:87], v[76:77], v[90:91] op_sel:[0,0,1] op_sel_hi:[1,0,0]
	v_mov_b32_e32 v93, v87
	v_pk_mul_f32 v[86:87], v[88:89], v[78:79] op_sel:[0,1]
	s_delay_alu instid0(VALU_DEP_1) | instskip(SKIP_1) | instid1(VALU_DEP_1)
	v_pk_fma_f32 v[90:91], v[88:89], v[76:77], v[86:87] op_sel:[0,0,1] op_sel_hi:[1,1,0] neg_lo:[0,0,1] neg_hi:[0,0,1]
	v_pk_fma_f32 v[86:87], v[88:89], v[76:77], v[86:87] op_sel:[0,0,1] op_sel_hi:[1,0,0]
	v_mov_b32_e32 v91, v87
	ds_load_2addr_b64 v[86:89], v80 offset0:18 offset1:19
	v_pk_add_f32 v[50:51], v[50:51], v[92:93] neg_lo:[0,1] neg_hi:[0,1]
	v_pk_add_f32 v[48:49], v[48:49], v[90:91] neg_lo:[0,1] neg_hi:[0,1]
	s_wait_dscnt 0x0
	v_dual_mul_f32 v90, v87, v79 :: v_dual_mul_f32 v92, v87, v76
	s_delay_alu instid0(VALU_DEP_1) | instskip(NEXT) | instid1(VALU_DEP_2)
	v_pk_fma_f32 v[90:91], v[86:87], v[26:27], v[90:91] op_sel_hi:[1,1,0] neg_lo:[0,0,1] neg_hi:[0,0,1]
	v_pk_fma_f32 v[86:87], v[86:87], v[26:27], v[92:93] op_sel:[1,0,0] op_sel_hi:[0,1,0]
	s_delay_alu instid0(VALU_DEP_1) | instskip(SKIP_1) | instid1(VALU_DEP_2)
	v_mov_b32_e32 v91, v87
	v_pk_mul_f32 v[86:87], v[88:89], v[78:79] op_sel:[0,1]
	v_pk_add_f32 v[24:25], v[24:25], v[90:91] neg_lo:[0,1] neg_hi:[0,1]
	s_delay_alu instid0(VALU_DEP_2) | instskip(SKIP_1) | instid1(VALU_DEP_1)
	v_pk_fma_f32 v[90:91], v[88:89], v[76:77], v[86:87] op_sel:[0,0,1] op_sel_hi:[1,1,0] neg_lo:[0,0,1] neg_hi:[0,0,1]
	v_pk_fma_f32 v[86:87], v[88:89], v[76:77], v[86:87] op_sel:[0,0,1] op_sel_hi:[1,0,0]
	v_mov_b32_e32 v91, v87
	ds_load_2addr_b64 v[86:89], v80 offset0:20 offset1:21
	v_pk_add_f32 v[22:23], v[22:23], v[90:91] neg_lo:[0,1] neg_hi:[0,1]
	s_wait_dscnt 0x0
	v_pk_mul_f32 v[90:91], v[86:87], v[78:79] op_sel:[0,1]
	s_delay_alu instid0(VALU_DEP_1) | instskip(SKIP_1) | instid1(VALU_DEP_1)
	v_pk_fma_f32 v[92:93], v[86:87], v[76:77], v[90:91] op_sel:[0,0,1] op_sel_hi:[1,1,0] neg_lo:[0,0,1] neg_hi:[0,0,1]
	v_pk_fma_f32 v[86:87], v[86:87], v[76:77], v[90:91] op_sel:[0,0,1] op_sel_hi:[1,0,0]
	v_mov_b32_e32 v93, v87
	v_pk_mul_f32 v[86:87], v[88:89], v[78:79] op_sel:[0,1]
	s_delay_alu instid0(VALU_DEP_2) | instskip(NEXT) | instid1(VALU_DEP_2)
	v_pk_add_f32 v[60:61], v[60:61], v[92:93] neg_lo:[0,1] neg_hi:[0,1]
	v_pk_fma_f32 v[90:91], v[88:89], v[76:77], v[86:87] op_sel:[0,0,1] op_sel_hi:[1,1,0] neg_lo:[0,0,1] neg_hi:[0,0,1]
	v_pk_fma_f32 v[86:87], v[88:89], v[76:77], v[86:87] op_sel:[0,0,1] op_sel_hi:[1,0,0]
	s_delay_alu instid0(VALU_DEP_1) | instskip(SKIP_4) | instid1(VALU_DEP_1)
	v_mov_b32_e32 v91, v87
	ds_load_2addr_b64 v[86:89], v80 offset0:22 offset1:23
	v_pk_add_f32 v[58:59], v[58:59], v[90:91] neg_lo:[0,1] neg_hi:[0,1]
	s_wait_dscnt 0x0
	v_pk_mul_f32 v[90:91], v[86:87], v[78:79] op_sel:[0,1]
	v_pk_fma_f32 v[92:93], v[86:87], v[76:77], v[90:91] op_sel:[0,0,1] op_sel_hi:[1,1,0] neg_lo:[0,0,1] neg_hi:[0,0,1]
	v_pk_fma_f32 v[86:87], v[86:87], v[76:77], v[90:91] op_sel:[0,0,1] op_sel_hi:[1,0,0]
	v_dual_mul_f32 v90, v89, v79 :: v_dual_mov_b32 v86, v89
	s_delay_alu instid0(VALU_DEP_2) | instskip(NEXT) | instid1(VALU_DEP_2)
	v_dual_mov_b32 v93, v87 :: v_dual_mov_b32 v87, v88
	v_pk_fma_f32 v[90:91], v[88:89], v[26:27], v[90:91] op_sel_hi:[1,1,0] neg_lo:[0,0,1] neg_hi:[0,0,1]
	v_mul_f32_e32 v88, v89, v76
	s_delay_alu instid0(VALU_DEP_3) | instskip(NEXT) | instid1(VALU_DEP_2)
	v_pk_add_f32 v[32:33], v[32:33], v[92:93] neg_lo:[0,1] neg_hi:[0,1]
	v_pk_fma_f32 v[86:87], v[86:87], v[26:27], v[88:89] op_sel_hi:[1,1,0]
	s_delay_alu instid0(VALU_DEP_1) | instskip(SKIP_4) | instid1(VALU_DEP_1)
	v_mov_b32_e32 v91, v87
	ds_load_2addr_b64 v[86:89], v80 offset0:24 offset1:25
	v_pk_add_f32 v[30:31], v[30:31], v[90:91] neg_lo:[0,1] neg_hi:[0,1]
	s_wait_dscnt 0x0
	v_pk_mul_f32 v[90:91], v[86:87], v[78:79] op_sel:[0,1]
	v_pk_fma_f32 v[92:93], v[86:87], v[76:77], v[90:91] op_sel:[0,0,1] op_sel_hi:[1,1,0] neg_lo:[0,0,1] neg_hi:[0,0,1]
	v_pk_fma_f32 v[86:87], v[86:87], v[76:77], v[90:91] op_sel:[0,0,1] op_sel_hi:[1,0,0]
	s_delay_alu instid0(VALU_DEP_1) | instskip(SKIP_1) | instid1(VALU_DEP_1)
	v_mov_b32_e32 v93, v87
	v_pk_mul_f32 v[86:87], v[88:89], v[78:79] op_sel:[0,1]
	v_pk_fma_f32 v[90:91], v[88:89], v[76:77], v[86:87] op_sel:[0,0,1] op_sel_hi:[1,1,0] neg_lo:[0,0,1] neg_hi:[0,0,1]
	v_pk_fma_f32 v[86:87], v[88:89], v[76:77], v[86:87] op_sel:[0,0,1] op_sel_hi:[1,0,0]
	s_delay_alu instid0(VALU_DEP_1)
	v_mov_b32_e32 v91, v87
	ds_load_2addr_b64 v[86:89], v80 offset0:26 offset1:27
	v_pk_add_f32 v[68:69], v[68:69], v[92:93] neg_lo:[0,1] neg_hi:[0,1]
	v_pk_add_f32 v[66:67], v[66:67], v[90:91] neg_lo:[0,1] neg_hi:[0,1]
	s_wait_dscnt 0x0
	v_pk_mul_f32 v[90:91], v[86:87], v[78:79] op_sel:[0,1]
	s_delay_alu instid0(VALU_DEP_1) | instskip(SKIP_1) | instid1(VALU_DEP_1)
	v_pk_fma_f32 v[92:93], v[86:87], v[76:77], v[90:91] op_sel:[0,0,1] op_sel_hi:[1,1,0] neg_lo:[0,0,1] neg_hi:[0,0,1]
	v_pk_fma_f32 v[86:87], v[86:87], v[76:77], v[90:91] op_sel:[0,0,1] op_sel_hi:[1,0,0]
	v_mov_b32_e32 v93, v87
	v_pk_mul_f32 v[86:87], v[88:89], v[78:79] op_sel:[0,1]
	s_delay_alu instid0(VALU_DEP_1) | instskip(SKIP_1) | instid1(VALU_DEP_1)
	v_pk_fma_f32 v[90:91], v[88:89], v[76:77], v[86:87] op_sel:[0,0,1] op_sel_hi:[1,1,0] neg_lo:[0,0,1] neg_hi:[0,0,1]
	v_pk_fma_f32 v[86:87], v[88:89], v[76:77], v[86:87] op_sel:[0,0,1] op_sel_hi:[1,0,0]
	v_mov_b32_e32 v91, v87
	ds_load_2addr_b64 v[86:89], v80 offset0:28 offset1:29
	v_pk_add_f32 v[42:43], v[42:43], v[92:93] neg_lo:[0,1] neg_hi:[0,1]
	v_pk_add_f32 v[40:41], v[40:41], v[90:91] neg_lo:[0,1] neg_hi:[0,1]
	s_wait_dscnt 0x0
	v_dual_mul_f32 v90, v87, v79 :: v_dual_mul_f32 v92, v87, v76
	s_delay_alu instid0(VALU_DEP_1) | instskip(NEXT) | instid1(VALU_DEP_2)
	v_pk_fma_f32 v[90:91], v[86:87], v[26:27], v[90:91] op_sel_hi:[1,1,0] neg_lo:[0,0,1] neg_hi:[0,0,1]
	v_pk_fma_f32 v[86:87], v[86:87], v[26:27], v[92:93] op_sel:[1,0,0] op_sel_hi:[0,1,0]
	s_delay_alu instid0(VALU_DEP_1) | instskip(SKIP_1) | instid1(VALU_DEP_2)
	v_mov_b32_e32 v91, v87
	v_pk_mul_f32 v[86:87], v[88:89], v[78:79] op_sel:[0,1]
	v_pk_add_f32 v[64:65], v[64:65], v[90:91] neg_lo:[0,1] neg_hi:[0,1]
	s_delay_alu instid0(VALU_DEP_2) | instskip(SKIP_1) | instid1(VALU_DEP_1)
	v_pk_fma_f32 v[90:91], v[88:89], v[76:77], v[86:87] op_sel:[0,0,1] op_sel_hi:[1,1,0] neg_lo:[0,0,1] neg_hi:[0,0,1]
	v_pk_fma_f32 v[86:87], v[88:89], v[76:77], v[86:87] op_sel:[0,0,1] op_sel_hi:[1,0,0]
	v_mov_b32_e32 v91, v87
	ds_load_2addr_b64 v[86:89], v80 offset0:30 offset1:31
	v_pk_add_f32 v[62:63], v[62:63], v[90:91] neg_lo:[0,1] neg_hi:[0,1]
	s_wait_dscnt 0x0
	v_pk_mul_f32 v[90:91], v[86:87], v[78:79] op_sel:[0,1]
	s_delay_alu instid0(VALU_DEP_1) | instskip(SKIP_1) | instid1(VALU_DEP_1)
	v_pk_fma_f32 v[92:93], v[86:87], v[76:77], v[90:91] op_sel:[0,0,1] op_sel_hi:[1,1,0] neg_lo:[0,0,1] neg_hi:[0,0,1]
	v_pk_fma_f32 v[86:87], v[86:87], v[76:77], v[90:91] op_sel:[0,0,1] op_sel_hi:[1,0,0]
	v_mov_b32_e32 v93, v87
	v_pk_mul_f32 v[86:87], v[88:89], v[78:79] op_sel:[0,1]
	s_delay_alu instid0(VALU_DEP_2) | instskip(NEXT) | instid1(VALU_DEP_2)
	v_pk_add_f32 v[46:47], v[46:47], v[92:93] neg_lo:[0,1] neg_hi:[0,1]
	v_pk_fma_f32 v[90:91], v[88:89], v[76:77], v[86:87] op_sel:[0,0,1] op_sel_hi:[1,1,0] neg_lo:[0,0,1] neg_hi:[0,0,1]
	v_pk_fma_f32 v[86:87], v[88:89], v[76:77], v[86:87] op_sel:[0,0,1] op_sel_hi:[1,0,0]
	s_delay_alu instid0(VALU_DEP_1) | instskip(SKIP_4) | instid1(VALU_DEP_1)
	v_mov_b32_e32 v91, v87
	ds_load_2addr_b64 v[86:89], v80 offset0:32 offset1:33
	v_pk_add_f32 v[44:45], v[44:45], v[90:91] neg_lo:[0,1] neg_hi:[0,1]
	s_wait_dscnt 0x0
	v_pk_mul_f32 v[90:91], v[86:87], v[78:79] op_sel:[0,1]
	v_pk_fma_f32 v[92:93], v[86:87], v[76:77], v[90:91] op_sel:[0,0,1] op_sel_hi:[1,1,0] neg_lo:[0,0,1] neg_hi:[0,0,1]
	v_pk_fma_f32 v[86:87], v[86:87], v[76:77], v[90:91] op_sel:[0,0,1] op_sel_hi:[1,0,0]
	v_dual_mul_f32 v90, v89, v79 :: v_dual_mov_b32 v86, v89
	s_delay_alu instid0(VALU_DEP_2) | instskip(NEXT) | instid1(VALU_DEP_2)
	v_dual_mov_b32 v93, v87 :: v_dual_mov_b32 v87, v88
	v_pk_fma_f32 v[90:91], v[88:89], v[26:27], v[90:91] op_sel_hi:[1,1,0] neg_lo:[0,0,1] neg_hi:[0,0,1]
	v_mul_f32_e32 v88, v89, v76
	s_delay_alu instid0(VALU_DEP_3) | instskip(NEXT) | instid1(VALU_DEP_2)
	v_pk_add_f32 v[54:55], v[54:55], v[92:93] neg_lo:[0,1] neg_hi:[0,1]
	v_pk_fma_f32 v[86:87], v[86:87], v[26:27], v[88:89] op_sel_hi:[1,1,0]
	s_delay_alu instid0(VALU_DEP_1) | instskip(SKIP_4) | instid1(VALU_DEP_1)
	v_mov_b32_e32 v91, v87
	ds_load_b64 v[86:87], v80 offset:272
	v_pk_add_f32 v[52:53], v[52:53], v[90:91] neg_lo:[0,1] neg_hi:[0,1]
	s_wait_dscnt 0x0
	v_pk_mul_f32 v[78:79], v[86:87], v[78:79] op_sel:[0,1]
	v_pk_fma_f32 v[88:89], v[86:87], v[76:77], v[78:79] op_sel:[0,0,1] op_sel_hi:[1,1,0] neg_lo:[0,0,1] neg_hi:[0,0,1]
	v_pk_fma_f32 v[76:77], v[86:87], v[76:77], v[78:79] op_sel:[0,0,1] op_sel_hi:[1,0,0]
	s_delay_alu instid0(VALU_DEP_1) | instskip(NEXT) | instid1(VALU_DEP_1)
	v_mov_b32_e32 v89, v77
	v_pk_add_f32 v[74:75], v[74:75], v[88:89] neg_lo:[0,1] neg_hi:[0,1]
.LBB68_209:
	s_or_b32 exec_lo, exec_lo, s0
	v_lshl_add_u32 v76, v84, 3, v80
	s_barrier_signal -1
	s_barrier_wait -1
	ds_store_b64 v76, v[12:13]
	s_wait_dscnt 0x0
	s_barrier_signal -1
	s_barrier_wait -1
	ds_load_b64 v[78:79], v80 offset:80
	v_mov_b32_e32 v76, 10
	s_cmp_lt_i32 s14, 12
	s_cbranch_scc1 .LBB68_212
; %bb.210:
	v_add3_u32 v77, v81, 0, 0x58
	v_mov_b32_e32 v76, 10
	s_mov_b32 s0, 11
.LBB68_211:                             ; =>This Inner Loop Header: Depth=1
	ds_load_b64 v[86:87], v77
	s_wait_dscnt 0x1
	v_cmp_gt_f32_e32 vcc_lo, 0, v78
	v_cndmask_b32_e64 v88, v78, -v78, vcc_lo
	v_cmp_gt_f32_e32 vcc_lo, 0, v79
	v_cndmask_b32_e64 v90, v79, -v79, vcc_lo
	s_wait_dscnt 0x0
	v_cmp_gt_f32_e32 vcc_lo, 0, v86
	v_cndmask_b32_e64 v89, v86, -v86, vcc_lo
	v_cmp_gt_f32_e32 vcc_lo, 0, v87
	v_cndmask_b32_e64 v91, v87, -v87, vcc_lo
	s_delay_alu instid0(VALU_DEP_1) | instskip(NEXT) | instid1(VALU_DEP_1)
	v_pk_add_f32 v[88:89], v[88:89], v[90:91]
	v_cmp_lt_f32_e32 vcc_lo, v88, v89
	v_dual_add_nc_u32 v77, 8, v77 :: v_dual_cndmask_b32 v79, v79, v87, vcc_lo
	v_cndmask_b32_e32 v78, v78, v86, vcc_lo
	v_cndmask_b32_e64 v76, v76, s0, vcc_lo
	s_add_co_i32 s0, s0, 1
	s_delay_alu instid0(SALU_CYCLE_1)
	s_cmp_lg_u32 s14, s0
	s_cbranch_scc1 .LBB68_211
.LBB68_212:
	s_wait_dscnt 0x0
	v_cmp_eq_f32_e32 vcc_lo, 0, v78
	v_cmp_eq_f32_e64 s0, 0, v79
	s_and_b32 s0, vcc_lo, s0
	s_delay_alu instid0(SALU_CYCLE_1) | instskip(NEXT) | instid1(SALU_CYCLE_1)
	s_and_saveexec_b32 s1, s0
	s_xor_b32 s0, exec_lo, s1
; %bb.213:
	v_cmp_ne_u32_e32 vcc_lo, 0, v82
	v_cndmask_b32_e32 v82, 11, v82, vcc_lo
; %bb.214:
	s_and_not1_saveexec_b32 s0, s0
	s_cbranch_execz .LBB68_220
; %bb.215:
	v_cmp_ngt_f32_e64 s1, |v78|, |v79|
	s_and_saveexec_b32 s15, s1
	s_delay_alu instid0(SALU_CYCLE_1)
	s_xor_b32 s1, exec_lo, s15
	s_cbranch_execz .LBB68_217
; %bb.216:
	v_div_scale_f32 v77, null, v79, v79, v78
	v_div_scale_f32 v87, vcc_lo, v78, v79, v78
	s_delay_alu instid0(VALU_DEP_2) | instskip(SKIP_1) | instid1(TRANS32_DEP_1)
	v_rcp_f32_e32 v85, v77
	v_nop
	v_fma_f32 v86, -v77, v85, 1.0
	s_delay_alu instid0(VALU_DEP_1) | instskip(NEXT) | instid1(VALU_DEP_1)
	v_fmac_f32_e32 v85, v86, v85
	v_mul_f32_e32 v86, v87, v85
	s_delay_alu instid0(VALU_DEP_1) | instskip(NEXT) | instid1(VALU_DEP_1)
	v_fma_f32 v88, -v77, v86, v87
	v_fmac_f32_e32 v86, v88, v85
	s_delay_alu instid0(VALU_DEP_1) | instskip(NEXT) | instid1(VALU_DEP_1)
	v_fma_f32 v77, -v77, v86, v87
	v_div_fmas_f32 v77, v77, v85, v86
	s_delay_alu instid0(VALU_DEP_1) | instskip(NEXT) | instid1(VALU_DEP_1)
	v_div_fixup_f32 v77, v77, v79, v78
	v_fmac_f32_e32 v79, v78, v77
	s_delay_alu instid0(VALU_DEP_1) | instskip(SKIP_1) | instid1(VALU_DEP_2)
	v_div_scale_f32 v78, null, v79, v79, 1.0
	v_div_scale_f32 v87, vcc_lo, 1.0, v79, 1.0
	v_rcp_f32_e32 v85, v78
	v_nop
	s_delay_alu instid0(TRANS32_DEP_1) | instskip(NEXT) | instid1(VALU_DEP_1)
	v_fma_f32 v86, -v78, v85, 1.0
	v_fmac_f32_e32 v85, v86, v85
	s_delay_alu instid0(VALU_DEP_1) | instskip(NEXT) | instid1(VALU_DEP_1)
	v_mul_f32_e32 v86, v87, v85
	v_fma_f32 v88, -v78, v86, v87
	s_delay_alu instid0(VALU_DEP_1) | instskip(NEXT) | instid1(VALU_DEP_1)
	v_fmac_f32_e32 v86, v88, v85
	v_fma_f32 v78, -v78, v86, v87
	s_delay_alu instid0(VALU_DEP_1) | instskip(NEXT) | instid1(VALU_DEP_1)
	v_div_fmas_f32 v78, v78, v85, v86
	v_div_fixup_f32 v79, v78, v79, 1.0
	s_delay_alu instid0(VALU_DEP_1)
	v_mul_f32_e32 v78, v77, v79
	v_xor_b32_e32 v79, 0x80000000, v79
.LBB68_217:
	s_and_not1_saveexec_b32 s1, s1
	s_cbranch_execz .LBB68_219
; %bb.218:
	s_delay_alu instid0(VALU_DEP_1) | instskip(SKIP_1) | instid1(VALU_DEP_2)
	v_div_scale_f32 v77, null, v78, v78, v79
	v_div_scale_f32 v87, vcc_lo, v79, v78, v79
	v_rcp_f32_e32 v85, v77
	v_nop
	s_delay_alu instid0(TRANS32_DEP_1) | instskip(NEXT) | instid1(VALU_DEP_1)
	v_fma_f32 v86, -v77, v85, 1.0
	v_fmac_f32_e32 v85, v86, v85
	s_delay_alu instid0(VALU_DEP_1) | instskip(NEXT) | instid1(VALU_DEP_1)
	v_mul_f32_e32 v86, v87, v85
	v_fma_f32 v88, -v77, v86, v87
	s_delay_alu instid0(VALU_DEP_1) | instskip(NEXT) | instid1(VALU_DEP_1)
	v_fmac_f32_e32 v86, v88, v85
	v_fma_f32 v77, -v77, v86, v87
	s_delay_alu instid0(VALU_DEP_1) | instskip(NEXT) | instid1(VALU_DEP_1)
	v_div_fmas_f32 v77, v77, v85, v86
	v_div_fixup_f32 v77, v77, v78, v79
	s_delay_alu instid0(VALU_DEP_1) | instskip(NEXT) | instid1(VALU_DEP_1)
	v_fmac_f32_e32 v78, v79, v77
	v_div_scale_f32 v79, null, v78, v78, 1.0
	s_delay_alu instid0(VALU_DEP_1) | instskip(SKIP_1) | instid1(TRANS32_DEP_1)
	v_rcp_f32_e32 v85, v79
	v_nop
	v_fma_f32 v86, -v79, v85, 1.0
	s_delay_alu instid0(VALU_DEP_1) | instskip(SKIP_1) | instid1(VALU_DEP_1)
	v_fmac_f32_e32 v85, v86, v85
	v_div_scale_f32 v86, vcc_lo, 1.0, v78, 1.0
	v_mul_f32_e32 v87, v86, v85
	s_delay_alu instid0(VALU_DEP_1) | instskip(NEXT) | instid1(VALU_DEP_1)
	v_fma_f32 v88, -v79, v87, v86
	v_fmac_f32_e32 v87, v88, v85
	s_delay_alu instid0(VALU_DEP_1) | instskip(NEXT) | instid1(VALU_DEP_1)
	v_fma_f32 v79, -v79, v87, v86
	v_div_fmas_f32 v79, v79, v85, v87
	s_delay_alu instid0(VALU_DEP_1) | instskip(NEXT) | instid1(VALU_DEP_1)
	v_div_fixup_f32 v78, v79, v78, 1.0
	v_mul_f32_e64 v79, v77, -v78
.LBB68_219:
	s_or_b32 exec_lo, exec_lo, s1
.LBB68_220:
	s_delay_alu instid0(SALU_CYCLE_1) | instskip(NEXT) | instid1(SALU_CYCLE_1)
	s_or_b32 exec_lo, exec_lo, s0
	s_mov_b32 s0, exec_lo
	v_cmpx_ne_u32_e64 v84, v76
	s_xor_b32 s0, exec_lo, s0
	s_cbranch_execz .LBB68_226
; %bb.221:
	s_mov_b32 s1, exec_lo
	v_cmpx_eq_u32_e32 10, v84
	s_cbranch_execz .LBB68_225
; %bb.222:
	v_cmp_ne_u32_e32 vcc_lo, 10, v76
	s_xor_b32 s15, s12, -1
	s_delay_alu instid0(SALU_CYCLE_1) | instskip(NEXT) | instid1(SALU_CYCLE_1)
	s_and_b32 s16, s15, vcc_lo
	s_and_saveexec_b32 s15, s16
	s_cbranch_execz .LBB68_224
; %bb.223:
	v_ashrrev_i32_e32 v77, 31, v76
	s_delay_alu instid0(VALU_DEP_1)
	v_lshl_add_u64 v[84:85], v[76:77], 2, v[4:5]
	s_clause 0x1
	global_load_b32 v77, v[84:85], off
	global_load_b32 v83, v[4:5], off offset:40
	s_wait_loadcnt 0x1
	global_store_b32 v[4:5], v77, off offset:40
	s_wait_loadcnt 0x0
	global_store_b32 v[84:85], v83, off
.LBB68_224:
	s_wait_xcnt 0x0
	s_or_b32 exec_lo, exec_lo, s15
	v_dual_mov_b32 v84, v76 :: v_dual_mov_b32 v83, v76
.LBB68_225:
	s_or_b32 exec_lo, exec_lo, s1
.LBB68_226:
	s_and_not1_saveexec_b32 s0, s0
	s_cbranch_execz .LBB68_228
; %bb.227:
	v_mov_b32_e32 v84, 10
	ds_store_2addr_b64 v80, v[10:11], v[36:37] offset0:11 offset1:12
	ds_store_2addr_b64 v80, v[34:35], v[16:17] offset0:13 offset1:14
	;; [unrolled: 1-line block ×12, first 2 shown]
.LBB68_228:
	s_or_b32 exec_lo, exec_lo, s0
	s_delay_alu instid0(SALU_CYCLE_1)
	s_mov_b32 s0, exec_lo
	s_wait_storecnt_dscnt 0x0
	s_barrier_signal -1
	s_barrier_wait -1
	v_cmpx_lt_i32_e32 10, v84
	s_cbranch_execz .LBB68_230
; %bb.229:
	v_pk_mul_f32 v[86:87], v[78:79], v[12:13] op_sel:[1,1] op_sel_hi:[0,1]
	s_delay_alu instid0(VALU_DEP_1)
	v_pk_fma_f32 v[76:77], v[78:79], v[12:13], v[86:87] op_sel_hi:[1,0,1] neg_lo:[0,0,1] neg_hi:[0,0,1]
	v_pk_fma_f32 v[78:79], v[78:79], v[12:13], v[86:87] op_sel_hi:[1,0,1]
	ds_load_2addr_b64 v[86:89], v80 offset0:11 offset1:12
	v_dual_mov_b32 v12, v76 :: v_dual_mov_b32 v13, v79
	s_wait_dscnt 0x0
	v_pk_mul_f32 v[90:91], v[86:87], v[78:79] op_sel:[0,1]
	s_delay_alu instid0(VALU_DEP_1) | instskip(SKIP_1) | instid1(VALU_DEP_1)
	v_pk_fma_f32 v[92:93], v[86:87], v[76:77], v[90:91] op_sel:[0,0,1] op_sel_hi:[1,1,0] neg_lo:[0,0,1] neg_hi:[0,0,1]
	v_pk_fma_f32 v[86:87], v[86:87], v[76:77], v[90:91] op_sel:[0,0,1] op_sel_hi:[1,0,0]
	v_mov_b32_e32 v93, v87
	v_pk_mul_f32 v[86:87], v[88:89], v[78:79] op_sel:[0,1]
	s_delay_alu instid0(VALU_DEP_1) | instskip(SKIP_1) | instid1(VALU_DEP_1)
	v_pk_fma_f32 v[90:91], v[88:89], v[76:77], v[86:87] op_sel:[0,0,1] op_sel_hi:[1,1,0] neg_lo:[0,0,1] neg_hi:[0,0,1]
	v_pk_fma_f32 v[86:87], v[88:89], v[76:77], v[86:87] op_sel:[0,0,1] op_sel_hi:[1,0,0]
	v_mov_b32_e32 v91, v87
	ds_load_2addr_b64 v[86:89], v80 offset0:13 offset1:14
	v_pk_add_f32 v[10:11], v[10:11], v[92:93] neg_lo:[0,1] neg_hi:[0,1]
	v_pk_add_f32 v[36:37], v[36:37], v[90:91] neg_lo:[0,1] neg_hi:[0,1]
	s_wait_dscnt 0x0
	v_pk_mul_f32 v[90:91], v[86:87], v[78:79] op_sel:[0,1]
	s_delay_alu instid0(VALU_DEP_1) | instskip(SKIP_2) | instid1(VALU_DEP_2)
	v_pk_fma_f32 v[92:93], v[86:87], v[76:77], v[90:91] op_sel:[0,0,1] op_sel_hi:[1,1,0] neg_lo:[0,0,1] neg_hi:[0,0,1]
	v_pk_fma_f32 v[86:87], v[86:87], v[76:77], v[90:91] op_sel:[0,0,1] op_sel_hi:[1,0,0]
	v_dual_mul_f32 v90, v89, v79 :: v_dual_mov_b32 v86, v89
	v_dual_mov_b32 v93, v87 :: v_dual_mov_b32 v87, v88
	s_delay_alu instid0(VALU_DEP_2) | instskip(SKIP_1) | instid1(VALU_DEP_3)
	v_pk_fma_f32 v[90:91], v[88:89], v[12:13], v[90:91] op_sel_hi:[1,1,0] neg_lo:[0,0,1] neg_hi:[0,0,1]
	v_mul_f32_e32 v88, v89, v76
	v_pk_add_f32 v[34:35], v[34:35], v[92:93] neg_lo:[0,1] neg_hi:[0,1]
	s_delay_alu instid0(VALU_DEP_2) | instskip(NEXT) | instid1(VALU_DEP_1)
	v_pk_fma_f32 v[86:87], v[86:87], v[12:13], v[88:89] op_sel_hi:[1,1,0]
	v_mov_b32_e32 v91, v87
	ds_load_2addr_b64 v[86:89], v80 offset0:15 offset1:16
	v_pk_add_f32 v[16:17], v[16:17], v[90:91] neg_lo:[0,1] neg_hi:[0,1]
	s_wait_dscnt 0x0
	v_pk_mul_f32 v[90:91], v[86:87], v[78:79] op_sel:[0,1]
	s_delay_alu instid0(VALU_DEP_1) | instskip(SKIP_1) | instid1(VALU_DEP_1)
	v_pk_fma_f32 v[92:93], v[86:87], v[76:77], v[90:91] op_sel:[0,0,1] op_sel_hi:[1,1,0] neg_lo:[0,0,1] neg_hi:[0,0,1]
	v_pk_fma_f32 v[86:87], v[86:87], v[76:77], v[90:91] op_sel:[0,0,1] op_sel_hi:[1,0,0]
	v_mov_b32_e32 v93, v87
	v_pk_mul_f32 v[86:87], v[88:89], v[78:79] op_sel:[0,1]
	s_delay_alu instid0(VALU_DEP_1) | instskip(SKIP_1) | instid1(VALU_DEP_1)
	v_pk_fma_f32 v[90:91], v[88:89], v[76:77], v[86:87] op_sel:[0,0,1] op_sel_hi:[1,1,0] neg_lo:[0,0,1] neg_hi:[0,0,1]
	v_pk_fma_f32 v[86:87], v[88:89], v[76:77], v[86:87] op_sel:[0,0,1] op_sel_hi:[1,0,0]
	v_mov_b32_e32 v91, v87
	ds_load_2addr_b64 v[86:89], v80 offset0:17 offset1:18
	v_pk_add_f32 v[14:15], v[14:15], v[92:93] neg_lo:[0,1] neg_hi:[0,1]
	v_pk_add_f32 v[50:51], v[50:51], v[90:91] neg_lo:[0,1] neg_hi:[0,1]
	s_wait_dscnt 0x0
	v_pk_mul_f32 v[90:91], v[86:87], v[78:79] op_sel:[0,1]
	s_delay_alu instid0(VALU_DEP_1) | instskip(SKIP_1) | instid1(VALU_DEP_1)
	v_pk_fma_f32 v[92:93], v[86:87], v[76:77], v[90:91] op_sel:[0,0,1] op_sel_hi:[1,1,0] neg_lo:[0,0,1] neg_hi:[0,0,1]
	v_pk_fma_f32 v[86:87], v[86:87], v[76:77], v[90:91] op_sel:[0,0,1] op_sel_hi:[1,0,0]
	v_mov_b32_e32 v93, v87
	v_pk_mul_f32 v[86:87], v[88:89], v[78:79] op_sel:[0,1]
	s_delay_alu instid0(VALU_DEP_1) | instskip(SKIP_1) | instid1(VALU_DEP_1)
	v_pk_fma_f32 v[90:91], v[88:89], v[76:77], v[86:87] op_sel:[0,0,1] op_sel_hi:[1,1,0] neg_lo:[0,0,1] neg_hi:[0,0,1]
	v_pk_fma_f32 v[86:87], v[88:89], v[76:77], v[86:87] op_sel:[0,0,1] op_sel_hi:[1,0,0]
	v_mov_b32_e32 v91, v87
	ds_load_2addr_b64 v[86:89], v80 offset0:19 offset1:20
	v_pk_add_f32 v[48:49], v[48:49], v[92:93] neg_lo:[0,1] neg_hi:[0,1]
	v_pk_add_f32 v[24:25], v[24:25], v[90:91] neg_lo:[0,1] neg_hi:[0,1]
	s_wait_dscnt 0x0
	v_dual_mul_f32 v90, v87, v79 :: v_dual_mul_f32 v92, v87, v76
	s_delay_alu instid0(VALU_DEP_1) | instskip(NEXT) | instid1(VALU_DEP_2)
	v_pk_fma_f32 v[90:91], v[86:87], v[12:13], v[90:91] op_sel_hi:[1,1,0] neg_lo:[0,0,1] neg_hi:[0,0,1]
	v_pk_fma_f32 v[86:87], v[86:87], v[12:13], v[92:93] op_sel:[1,0,0] op_sel_hi:[0,1,0]
	s_delay_alu instid0(VALU_DEP_1) | instskip(SKIP_1) | instid1(VALU_DEP_2)
	v_mov_b32_e32 v91, v87
	v_pk_mul_f32 v[86:87], v[88:89], v[78:79] op_sel:[0,1]
	v_pk_add_f32 v[22:23], v[22:23], v[90:91] neg_lo:[0,1] neg_hi:[0,1]
	s_delay_alu instid0(VALU_DEP_2) | instskip(SKIP_1) | instid1(VALU_DEP_1)
	v_pk_fma_f32 v[90:91], v[88:89], v[76:77], v[86:87] op_sel:[0,0,1] op_sel_hi:[1,1,0] neg_lo:[0,0,1] neg_hi:[0,0,1]
	v_pk_fma_f32 v[86:87], v[88:89], v[76:77], v[86:87] op_sel:[0,0,1] op_sel_hi:[1,0,0]
	v_mov_b32_e32 v91, v87
	ds_load_2addr_b64 v[86:89], v80 offset0:21 offset1:22
	v_pk_add_f32 v[60:61], v[60:61], v[90:91] neg_lo:[0,1] neg_hi:[0,1]
	s_wait_dscnt 0x0
	v_pk_mul_f32 v[90:91], v[86:87], v[78:79] op_sel:[0,1]
	s_delay_alu instid0(VALU_DEP_1) | instskip(SKIP_1) | instid1(VALU_DEP_1)
	v_pk_fma_f32 v[92:93], v[86:87], v[76:77], v[90:91] op_sel:[0,0,1] op_sel_hi:[1,1,0] neg_lo:[0,0,1] neg_hi:[0,0,1]
	v_pk_fma_f32 v[86:87], v[86:87], v[76:77], v[90:91] op_sel:[0,0,1] op_sel_hi:[1,0,0]
	v_mov_b32_e32 v93, v87
	v_pk_mul_f32 v[86:87], v[88:89], v[78:79] op_sel:[0,1]
	s_delay_alu instid0(VALU_DEP_2) | instskip(NEXT) | instid1(VALU_DEP_2)
	v_pk_add_f32 v[58:59], v[58:59], v[92:93] neg_lo:[0,1] neg_hi:[0,1]
	v_pk_fma_f32 v[90:91], v[88:89], v[76:77], v[86:87] op_sel:[0,0,1] op_sel_hi:[1,1,0] neg_lo:[0,0,1] neg_hi:[0,0,1]
	v_pk_fma_f32 v[86:87], v[88:89], v[76:77], v[86:87] op_sel:[0,0,1] op_sel_hi:[1,0,0]
	s_delay_alu instid0(VALU_DEP_1) | instskip(SKIP_4) | instid1(VALU_DEP_1)
	v_mov_b32_e32 v91, v87
	ds_load_2addr_b64 v[86:89], v80 offset0:23 offset1:24
	v_pk_add_f32 v[32:33], v[32:33], v[90:91] neg_lo:[0,1] neg_hi:[0,1]
	s_wait_dscnt 0x0
	v_pk_mul_f32 v[90:91], v[86:87], v[78:79] op_sel:[0,1]
	v_pk_fma_f32 v[92:93], v[86:87], v[76:77], v[90:91] op_sel:[0,0,1] op_sel_hi:[1,1,0] neg_lo:[0,0,1] neg_hi:[0,0,1]
	v_pk_fma_f32 v[86:87], v[86:87], v[76:77], v[90:91] op_sel:[0,0,1] op_sel_hi:[1,0,0]
	v_dual_mul_f32 v90, v89, v79 :: v_dual_mov_b32 v86, v89
	s_delay_alu instid0(VALU_DEP_2) | instskip(NEXT) | instid1(VALU_DEP_2)
	v_dual_mov_b32 v93, v87 :: v_dual_mov_b32 v87, v88
	v_pk_fma_f32 v[90:91], v[88:89], v[12:13], v[90:91] op_sel_hi:[1,1,0] neg_lo:[0,0,1] neg_hi:[0,0,1]
	v_mul_f32_e32 v88, v89, v76
	s_delay_alu instid0(VALU_DEP_3) | instskip(NEXT) | instid1(VALU_DEP_2)
	v_pk_add_f32 v[30:31], v[30:31], v[92:93] neg_lo:[0,1] neg_hi:[0,1]
	v_pk_fma_f32 v[86:87], v[86:87], v[12:13], v[88:89] op_sel_hi:[1,1,0]
	s_delay_alu instid0(VALU_DEP_1) | instskip(SKIP_4) | instid1(VALU_DEP_1)
	v_mov_b32_e32 v91, v87
	ds_load_2addr_b64 v[86:89], v80 offset0:25 offset1:26
	v_pk_add_f32 v[68:69], v[68:69], v[90:91] neg_lo:[0,1] neg_hi:[0,1]
	s_wait_dscnt 0x0
	v_pk_mul_f32 v[90:91], v[86:87], v[78:79] op_sel:[0,1]
	v_pk_fma_f32 v[92:93], v[86:87], v[76:77], v[90:91] op_sel:[0,0,1] op_sel_hi:[1,1,0] neg_lo:[0,0,1] neg_hi:[0,0,1]
	v_pk_fma_f32 v[86:87], v[86:87], v[76:77], v[90:91] op_sel:[0,0,1] op_sel_hi:[1,0,0]
	s_delay_alu instid0(VALU_DEP_1) | instskip(SKIP_1) | instid1(VALU_DEP_1)
	v_mov_b32_e32 v93, v87
	v_pk_mul_f32 v[86:87], v[88:89], v[78:79] op_sel:[0,1]
	v_pk_fma_f32 v[90:91], v[88:89], v[76:77], v[86:87] op_sel:[0,0,1] op_sel_hi:[1,1,0] neg_lo:[0,0,1] neg_hi:[0,0,1]
	v_pk_fma_f32 v[86:87], v[88:89], v[76:77], v[86:87] op_sel:[0,0,1] op_sel_hi:[1,0,0]
	s_delay_alu instid0(VALU_DEP_1)
	v_mov_b32_e32 v91, v87
	ds_load_2addr_b64 v[86:89], v80 offset0:27 offset1:28
	v_pk_add_f32 v[66:67], v[66:67], v[92:93] neg_lo:[0,1] neg_hi:[0,1]
	v_pk_add_f32 v[42:43], v[42:43], v[90:91] neg_lo:[0,1] neg_hi:[0,1]
	s_wait_dscnt 0x0
	v_pk_mul_f32 v[90:91], v[86:87], v[78:79] op_sel:[0,1]
	s_delay_alu instid0(VALU_DEP_1) | instskip(SKIP_1) | instid1(VALU_DEP_1)
	v_pk_fma_f32 v[92:93], v[86:87], v[76:77], v[90:91] op_sel:[0,0,1] op_sel_hi:[1,1,0] neg_lo:[0,0,1] neg_hi:[0,0,1]
	v_pk_fma_f32 v[86:87], v[86:87], v[76:77], v[90:91] op_sel:[0,0,1] op_sel_hi:[1,0,0]
	v_mov_b32_e32 v93, v87
	v_pk_mul_f32 v[86:87], v[88:89], v[78:79] op_sel:[0,1]
	s_delay_alu instid0(VALU_DEP_1) | instskip(SKIP_1) | instid1(VALU_DEP_1)
	v_pk_fma_f32 v[90:91], v[88:89], v[76:77], v[86:87] op_sel:[0,0,1] op_sel_hi:[1,1,0] neg_lo:[0,0,1] neg_hi:[0,0,1]
	v_pk_fma_f32 v[86:87], v[88:89], v[76:77], v[86:87] op_sel:[0,0,1] op_sel_hi:[1,0,0]
	v_mov_b32_e32 v91, v87
	ds_load_2addr_b64 v[86:89], v80 offset0:29 offset1:30
	v_pk_add_f32 v[40:41], v[40:41], v[92:93] neg_lo:[0,1] neg_hi:[0,1]
	v_pk_add_f32 v[64:65], v[64:65], v[90:91] neg_lo:[0,1] neg_hi:[0,1]
	s_wait_dscnt 0x0
	v_dual_mul_f32 v90, v87, v79 :: v_dual_mul_f32 v92, v87, v76
	s_delay_alu instid0(VALU_DEP_1) | instskip(NEXT) | instid1(VALU_DEP_2)
	v_pk_fma_f32 v[90:91], v[86:87], v[12:13], v[90:91] op_sel_hi:[1,1,0] neg_lo:[0,0,1] neg_hi:[0,0,1]
	v_pk_fma_f32 v[86:87], v[86:87], v[12:13], v[92:93] op_sel:[1,0,0] op_sel_hi:[0,1,0]
	s_delay_alu instid0(VALU_DEP_1) | instskip(SKIP_1) | instid1(VALU_DEP_2)
	v_mov_b32_e32 v91, v87
	v_pk_mul_f32 v[86:87], v[88:89], v[78:79] op_sel:[0,1]
	v_pk_add_f32 v[62:63], v[62:63], v[90:91] neg_lo:[0,1] neg_hi:[0,1]
	s_delay_alu instid0(VALU_DEP_2) | instskip(SKIP_1) | instid1(VALU_DEP_1)
	v_pk_fma_f32 v[90:91], v[88:89], v[76:77], v[86:87] op_sel:[0,0,1] op_sel_hi:[1,1,0] neg_lo:[0,0,1] neg_hi:[0,0,1]
	v_pk_fma_f32 v[86:87], v[88:89], v[76:77], v[86:87] op_sel:[0,0,1] op_sel_hi:[1,0,0]
	v_mov_b32_e32 v91, v87
	ds_load_2addr_b64 v[86:89], v80 offset0:31 offset1:32
	v_pk_add_f32 v[46:47], v[46:47], v[90:91] neg_lo:[0,1] neg_hi:[0,1]
	s_wait_dscnt 0x0
	v_pk_mul_f32 v[90:91], v[86:87], v[78:79] op_sel:[0,1]
	s_delay_alu instid0(VALU_DEP_1) | instskip(SKIP_1) | instid1(VALU_DEP_1)
	v_pk_fma_f32 v[92:93], v[86:87], v[76:77], v[90:91] op_sel:[0,0,1] op_sel_hi:[1,1,0] neg_lo:[0,0,1] neg_hi:[0,0,1]
	v_pk_fma_f32 v[86:87], v[86:87], v[76:77], v[90:91] op_sel:[0,0,1] op_sel_hi:[1,0,0]
	v_mov_b32_e32 v93, v87
	v_pk_mul_f32 v[86:87], v[88:89], v[78:79] op_sel:[0,1]
	s_delay_alu instid0(VALU_DEP_2) | instskip(NEXT) | instid1(VALU_DEP_2)
	v_pk_add_f32 v[44:45], v[44:45], v[92:93] neg_lo:[0,1] neg_hi:[0,1]
	v_pk_fma_f32 v[90:91], v[88:89], v[76:77], v[86:87] op_sel:[0,0,1] op_sel_hi:[1,1,0] neg_lo:[0,0,1] neg_hi:[0,0,1]
	v_pk_fma_f32 v[86:87], v[88:89], v[76:77], v[86:87] op_sel:[0,0,1] op_sel_hi:[1,0,0]
	s_delay_alu instid0(VALU_DEP_1)
	v_mov_b32_e32 v91, v87
	ds_load_2addr_b64 v[86:89], v80 offset0:33 offset1:34
	v_pk_add_f32 v[54:55], v[54:55], v[90:91] neg_lo:[0,1] neg_hi:[0,1]
	s_wait_dscnt 0x0
	v_pk_mul_f32 v[90:91], v[86:87], v[78:79] op_sel:[0,1]
	v_mul_f32_e32 v78, v89, v79
	s_delay_alu instid0(VALU_DEP_2) | instskip(SKIP_2) | instid1(VALU_DEP_4)
	v_pk_fma_f32 v[92:93], v[86:87], v[76:77], v[90:91] op_sel:[0,0,1] op_sel_hi:[1,1,0] neg_lo:[0,0,1] neg_hi:[0,0,1]
	v_pk_fma_f32 v[86:87], v[86:87], v[76:77], v[90:91] op_sel:[0,0,1] op_sel_hi:[1,0,0]
	v_dual_mov_b32 v86, v89 :: v_dual_mul_f32 v76, v89, v76
	v_pk_fma_f32 v[78:79], v[88:89], v[12:13], v[78:79] op_sel_hi:[1,1,0] neg_lo:[0,0,1] neg_hi:[0,0,1]
	s_delay_alu instid0(VALU_DEP_3) | instskip(NEXT) | instid1(VALU_DEP_1)
	v_dual_mov_b32 v93, v87 :: v_dual_mov_b32 v87, v88
	v_pk_add_f32 v[52:53], v[52:53], v[92:93] neg_lo:[0,1] neg_hi:[0,1]
	s_delay_alu instid0(VALU_DEP_2) | instskip(NEXT) | instid1(VALU_DEP_1)
	v_pk_fma_f32 v[76:77], v[86:87], v[12:13], v[76:77] op_sel_hi:[1,1,0]
	v_mov_b32_e32 v79, v77
	s_delay_alu instid0(VALU_DEP_1)
	v_pk_add_f32 v[74:75], v[74:75], v[78:79] neg_lo:[0,1] neg_hi:[0,1]
.LBB68_230:
	s_or_b32 exec_lo, exec_lo, s0
	v_lshl_add_u32 v76, v84, 3, v80
	s_barrier_signal -1
	s_barrier_wait -1
	ds_store_b64 v76, v[10:11]
	s_wait_dscnt 0x0
	s_barrier_signal -1
	s_barrier_wait -1
	ds_load_b64 v[78:79], v80 offset:88
	v_mov_b32_e32 v76, 11
	s_cmp_lt_i32 s14, 13
	s_cbranch_scc1 .LBB68_233
; %bb.231:
	v_add3_u32 v77, v81, 0, 0x60
	v_mov_b32_e32 v76, 11
	s_mov_b32 s0, 12
.LBB68_232:                             ; =>This Inner Loop Header: Depth=1
	ds_load_b64 v[86:87], v77
	s_wait_dscnt 0x1
	v_cmp_gt_f32_e32 vcc_lo, 0, v78
	v_cndmask_b32_e64 v88, v78, -v78, vcc_lo
	v_cmp_gt_f32_e32 vcc_lo, 0, v79
	v_cndmask_b32_e64 v90, v79, -v79, vcc_lo
	s_wait_dscnt 0x0
	v_cmp_gt_f32_e32 vcc_lo, 0, v86
	v_cndmask_b32_e64 v89, v86, -v86, vcc_lo
	v_cmp_gt_f32_e32 vcc_lo, 0, v87
	v_cndmask_b32_e64 v91, v87, -v87, vcc_lo
	s_delay_alu instid0(VALU_DEP_1) | instskip(NEXT) | instid1(VALU_DEP_1)
	v_pk_add_f32 v[88:89], v[88:89], v[90:91]
	v_cmp_lt_f32_e32 vcc_lo, v88, v89
	v_dual_add_nc_u32 v77, 8, v77 :: v_dual_cndmask_b32 v79, v79, v87, vcc_lo
	v_cndmask_b32_e32 v78, v78, v86, vcc_lo
	v_cndmask_b32_e64 v76, v76, s0, vcc_lo
	s_add_co_i32 s0, s0, 1
	s_delay_alu instid0(SALU_CYCLE_1)
	s_cmp_lg_u32 s14, s0
	s_cbranch_scc1 .LBB68_232
.LBB68_233:
	s_wait_dscnt 0x0
	v_cmp_eq_f32_e32 vcc_lo, 0, v78
	v_cmp_eq_f32_e64 s0, 0, v79
	s_and_b32 s0, vcc_lo, s0
	s_delay_alu instid0(SALU_CYCLE_1) | instskip(NEXT) | instid1(SALU_CYCLE_1)
	s_and_saveexec_b32 s1, s0
	s_xor_b32 s0, exec_lo, s1
; %bb.234:
	v_cmp_ne_u32_e32 vcc_lo, 0, v82
	v_cndmask_b32_e32 v82, 12, v82, vcc_lo
; %bb.235:
	s_and_not1_saveexec_b32 s0, s0
	s_cbranch_execz .LBB68_241
; %bb.236:
	v_cmp_ngt_f32_e64 s1, |v78|, |v79|
	s_and_saveexec_b32 s15, s1
	s_delay_alu instid0(SALU_CYCLE_1)
	s_xor_b32 s1, exec_lo, s15
	s_cbranch_execz .LBB68_238
; %bb.237:
	v_div_scale_f32 v77, null, v79, v79, v78
	v_div_scale_f32 v87, vcc_lo, v78, v79, v78
	s_delay_alu instid0(VALU_DEP_2) | instskip(SKIP_1) | instid1(TRANS32_DEP_1)
	v_rcp_f32_e32 v85, v77
	v_nop
	v_fma_f32 v86, -v77, v85, 1.0
	s_delay_alu instid0(VALU_DEP_1) | instskip(NEXT) | instid1(VALU_DEP_1)
	v_fmac_f32_e32 v85, v86, v85
	v_mul_f32_e32 v86, v87, v85
	s_delay_alu instid0(VALU_DEP_1) | instskip(NEXT) | instid1(VALU_DEP_1)
	v_fma_f32 v88, -v77, v86, v87
	v_fmac_f32_e32 v86, v88, v85
	s_delay_alu instid0(VALU_DEP_1) | instskip(NEXT) | instid1(VALU_DEP_1)
	v_fma_f32 v77, -v77, v86, v87
	v_div_fmas_f32 v77, v77, v85, v86
	s_delay_alu instid0(VALU_DEP_1) | instskip(NEXT) | instid1(VALU_DEP_1)
	v_div_fixup_f32 v77, v77, v79, v78
	v_fmac_f32_e32 v79, v78, v77
	s_delay_alu instid0(VALU_DEP_1) | instskip(SKIP_1) | instid1(VALU_DEP_2)
	v_div_scale_f32 v78, null, v79, v79, 1.0
	v_div_scale_f32 v87, vcc_lo, 1.0, v79, 1.0
	v_rcp_f32_e32 v85, v78
	v_nop
	s_delay_alu instid0(TRANS32_DEP_1) | instskip(NEXT) | instid1(VALU_DEP_1)
	v_fma_f32 v86, -v78, v85, 1.0
	v_fmac_f32_e32 v85, v86, v85
	s_delay_alu instid0(VALU_DEP_1) | instskip(NEXT) | instid1(VALU_DEP_1)
	v_mul_f32_e32 v86, v87, v85
	v_fma_f32 v88, -v78, v86, v87
	s_delay_alu instid0(VALU_DEP_1) | instskip(NEXT) | instid1(VALU_DEP_1)
	v_fmac_f32_e32 v86, v88, v85
	v_fma_f32 v78, -v78, v86, v87
	s_delay_alu instid0(VALU_DEP_1) | instskip(NEXT) | instid1(VALU_DEP_1)
	v_div_fmas_f32 v78, v78, v85, v86
	v_div_fixup_f32 v79, v78, v79, 1.0
	s_delay_alu instid0(VALU_DEP_1)
	v_mul_f32_e32 v78, v77, v79
	v_xor_b32_e32 v79, 0x80000000, v79
.LBB68_238:
	s_and_not1_saveexec_b32 s1, s1
	s_cbranch_execz .LBB68_240
; %bb.239:
	s_delay_alu instid0(VALU_DEP_1) | instskip(SKIP_1) | instid1(VALU_DEP_2)
	v_div_scale_f32 v77, null, v78, v78, v79
	v_div_scale_f32 v87, vcc_lo, v79, v78, v79
	v_rcp_f32_e32 v85, v77
	v_nop
	s_delay_alu instid0(TRANS32_DEP_1) | instskip(NEXT) | instid1(VALU_DEP_1)
	v_fma_f32 v86, -v77, v85, 1.0
	v_fmac_f32_e32 v85, v86, v85
	s_delay_alu instid0(VALU_DEP_1) | instskip(NEXT) | instid1(VALU_DEP_1)
	v_mul_f32_e32 v86, v87, v85
	v_fma_f32 v88, -v77, v86, v87
	s_delay_alu instid0(VALU_DEP_1) | instskip(NEXT) | instid1(VALU_DEP_1)
	v_fmac_f32_e32 v86, v88, v85
	v_fma_f32 v77, -v77, v86, v87
	s_delay_alu instid0(VALU_DEP_1) | instskip(NEXT) | instid1(VALU_DEP_1)
	v_div_fmas_f32 v77, v77, v85, v86
	v_div_fixup_f32 v77, v77, v78, v79
	s_delay_alu instid0(VALU_DEP_1) | instskip(NEXT) | instid1(VALU_DEP_1)
	v_fmac_f32_e32 v78, v79, v77
	v_div_scale_f32 v79, null, v78, v78, 1.0
	s_delay_alu instid0(VALU_DEP_1) | instskip(SKIP_1) | instid1(TRANS32_DEP_1)
	v_rcp_f32_e32 v85, v79
	v_nop
	v_fma_f32 v86, -v79, v85, 1.0
	s_delay_alu instid0(VALU_DEP_1) | instskip(SKIP_1) | instid1(VALU_DEP_1)
	v_fmac_f32_e32 v85, v86, v85
	v_div_scale_f32 v86, vcc_lo, 1.0, v78, 1.0
	v_mul_f32_e32 v87, v86, v85
	s_delay_alu instid0(VALU_DEP_1) | instskip(NEXT) | instid1(VALU_DEP_1)
	v_fma_f32 v88, -v79, v87, v86
	v_fmac_f32_e32 v87, v88, v85
	s_delay_alu instid0(VALU_DEP_1) | instskip(NEXT) | instid1(VALU_DEP_1)
	v_fma_f32 v79, -v79, v87, v86
	v_div_fmas_f32 v79, v79, v85, v87
	s_delay_alu instid0(VALU_DEP_1) | instskip(NEXT) | instid1(VALU_DEP_1)
	v_div_fixup_f32 v78, v79, v78, 1.0
	v_mul_f32_e64 v79, v77, -v78
.LBB68_240:
	s_or_b32 exec_lo, exec_lo, s1
.LBB68_241:
	s_delay_alu instid0(SALU_CYCLE_1) | instskip(NEXT) | instid1(SALU_CYCLE_1)
	s_or_b32 exec_lo, exec_lo, s0
	s_mov_b32 s0, exec_lo
	v_cmpx_ne_u32_e64 v84, v76
	s_xor_b32 s0, exec_lo, s0
	s_cbranch_execz .LBB68_247
; %bb.242:
	s_mov_b32 s1, exec_lo
	v_cmpx_eq_u32_e32 11, v84
	s_cbranch_execz .LBB68_246
; %bb.243:
	v_cmp_ne_u32_e32 vcc_lo, 11, v76
	s_xor_b32 s15, s12, -1
	s_delay_alu instid0(SALU_CYCLE_1) | instskip(NEXT) | instid1(SALU_CYCLE_1)
	s_and_b32 s16, s15, vcc_lo
	s_and_saveexec_b32 s15, s16
	s_cbranch_execz .LBB68_245
; %bb.244:
	v_ashrrev_i32_e32 v77, 31, v76
	s_delay_alu instid0(VALU_DEP_1)
	v_lshl_add_u64 v[84:85], v[76:77], 2, v[4:5]
	s_clause 0x1
	global_load_b32 v77, v[84:85], off
	global_load_b32 v83, v[4:5], off offset:44
	s_wait_loadcnt 0x1
	global_store_b32 v[4:5], v77, off offset:44
	s_wait_loadcnt 0x0
	global_store_b32 v[84:85], v83, off
.LBB68_245:
	s_wait_xcnt 0x0
	s_or_b32 exec_lo, exec_lo, s15
	v_dual_mov_b32 v84, v76 :: v_dual_mov_b32 v83, v76
.LBB68_246:
	s_or_b32 exec_lo, exec_lo, s1
.LBB68_247:
	s_and_not1_saveexec_b32 s0, s0
	s_cbranch_execz .LBB68_249
; %bb.248:
	v_dual_mov_b32 v76, v36 :: v_dual_mov_b32 v77, v37
	v_dual_mov_b32 v84, v34 :: v_dual_mov_b32 v85, v35
	ds_store_2addr_b64 v80, v[76:77], v[84:85] offset0:12 offset1:13
	v_dual_mov_b32 v76, v16 :: v_dual_mov_b32 v77, v17
	v_dual_mov_b32 v84, v14 :: v_dual_mov_b32 v85, v15
	ds_store_2addr_b64 v80, v[76:77], v[84:85] offset0:14 offset1:15
	;; [unrolled: 3-line block ×11, first 2 shown]
	ds_store_b64 v80, v[74:75] offset:272
	v_mov_b32_e32 v84, 11
.LBB68_249:
	s_or_b32 exec_lo, exec_lo, s0
	s_delay_alu instid0(SALU_CYCLE_1)
	s_mov_b32 s0, exec_lo
	s_wait_storecnt_dscnt 0x0
	s_barrier_signal -1
	s_barrier_wait -1
	v_cmpx_lt_i32_e32 11, v84
	s_cbranch_execz .LBB68_251
; %bb.250:
	v_pk_mul_f32 v[86:87], v[78:79], v[10:11] op_sel:[1,1] op_sel_hi:[0,1]
	s_delay_alu instid0(VALU_DEP_1)
	v_pk_fma_f32 v[76:77], v[78:79], v[10:11], v[86:87] op_sel_hi:[1,0,1] neg_lo:[0,0,1] neg_hi:[0,0,1]
	v_pk_fma_f32 v[78:79], v[78:79], v[10:11], v[86:87] op_sel_hi:[1,0,1]
	ds_load_2addr_b64 v[86:89], v80 offset0:12 offset1:13
	v_dual_mov_b32 v10, v76 :: v_dual_mov_b32 v11, v79
	s_wait_dscnt 0x0
	v_pk_mul_f32 v[90:91], v[86:87], v[78:79] op_sel:[0,1]
	s_delay_alu instid0(VALU_DEP_1) | instskip(SKIP_1) | instid1(VALU_DEP_1)
	v_pk_fma_f32 v[92:93], v[86:87], v[76:77], v[90:91] op_sel:[0,0,1] op_sel_hi:[1,1,0] neg_lo:[0,0,1] neg_hi:[0,0,1]
	v_pk_fma_f32 v[86:87], v[86:87], v[76:77], v[90:91] op_sel:[0,0,1] op_sel_hi:[1,0,0]
	v_mov_b32_e32 v93, v87
	v_pk_mul_f32 v[86:87], v[88:89], v[78:79] op_sel:[0,1]
	s_delay_alu instid0(VALU_DEP_1) | instskip(SKIP_1) | instid1(VALU_DEP_1)
	v_pk_fma_f32 v[90:91], v[88:89], v[76:77], v[86:87] op_sel:[0,0,1] op_sel_hi:[1,1,0] neg_lo:[0,0,1] neg_hi:[0,0,1]
	v_pk_fma_f32 v[86:87], v[88:89], v[76:77], v[86:87] op_sel:[0,0,1] op_sel_hi:[1,0,0]
	v_mov_b32_e32 v91, v87
	ds_load_2addr_b64 v[86:89], v80 offset0:14 offset1:15
	v_pk_add_f32 v[36:37], v[36:37], v[92:93] neg_lo:[0,1] neg_hi:[0,1]
	v_pk_add_f32 v[34:35], v[34:35], v[90:91] neg_lo:[0,1] neg_hi:[0,1]
	s_wait_dscnt 0x0
	v_pk_mul_f32 v[90:91], v[86:87], v[78:79] op_sel:[0,1]
	s_delay_alu instid0(VALU_DEP_1) | instskip(SKIP_2) | instid1(VALU_DEP_2)
	v_pk_fma_f32 v[92:93], v[86:87], v[76:77], v[90:91] op_sel:[0,0,1] op_sel_hi:[1,1,0] neg_lo:[0,0,1] neg_hi:[0,0,1]
	v_pk_fma_f32 v[86:87], v[86:87], v[76:77], v[90:91] op_sel:[0,0,1] op_sel_hi:[1,0,0]
	v_dual_mul_f32 v90, v89, v79 :: v_dual_mov_b32 v86, v89
	v_dual_mov_b32 v93, v87 :: v_dual_mov_b32 v87, v88
	s_delay_alu instid0(VALU_DEP_2) | instskip(SKIP_1) | instid1(VALU_DEP_3)
	v_pk_fma_f32 v[90:91], v[88:89], v[10:11], v[90:91] op_sel_hi:[1,1,0] neg_lo:[0,0,1] neg_hi:[0,0,1]
	v_mul_f32_e32 v88, v89, v76
	v_pk_add_f32 v[16:17], v[16:17], v[92:93] neg_lo:[0,1] neg_hi:[0,1]
	s_delay_alu instid0(VALU_DEP_2) | instskip(NEXT) | instid1(VALU_DEP_1)
	v_pk_fma_f32 v[86:87], v[86:87], v[10:11], v[88:89] op_sel_hi:[1,1,0]
	v_mov_b32_e32 v91, v87
	ds_load_2addr_b64 v[86:89], v80 offset0:16 offset1:17
	v_pk_add_f32 v[14:15], v[14:15], v[90:91] neg_lo:[0,1] neg_hi:[0,1]
	s_wait_dscnt 0x0
	v_pk_mul_f32 v[90:91], v[86:87], v[78:79] op_sel:[0,1]
	s_delay_alu instid0(VALU_DEP_1) | instskip(SKIP_1) | instid1(VALU_DEP_1)
	v_pk_fma_f32 v[92:93], v[86:87], v[76:77], v[90:91] op_sel:[0,0,1] op_sel_hi:[1,1,0] neg_lo:[0,0,1] neg_hi:[0,0,1]
	v_pk_fma_f32 v[86:87], v[86:87], v[76:77], v[90:91] op_sel:[0,0,1] op_sel_hi:[1,0,0]
	v_mov_b32_e32 v93, v87
	v_pk_mul_f32 v[86:87], v[88:89], v[78:79] op_sel:[0,1]
	s_delay_alu instid0(VALU_DEP_1) | instskip(SKIP_1) | instid1(VALU_DEP_1)
	v_pk_fma_f32 v[90:91], v[88:89], v[76:77], v[86:87] op_sel:[0,0,1] op_sel_hi:[1,1,0] neg_lo:[0,0,1] neg_hi:[0,0,1]
	v_pk_fma_f32 v[86:87], v[88:89], v[76:77], v[86:87] op_sel:[0,0,1] op_sel_hi:[1,0,0]
	v_mov_b32_e32 v91, v87
	ds_load_2addr_b64 v[86:89], v80 offset0:18 offset1:19
	v_pk_add_f32 v[50:51], v[50:51], v[92:93] neg_lo:[0,1] neg_hi:[0,1]
	v_pk_add_f32 v[48:49], v[48:49], v[90:91] neg_lo:[0,1] neg_hi:[0,1]
	s_wait_dscnt 0x0
	v_pk_mul_f32 v[90:91], v[86:87], v[78:79] op_sel:[0,1]
	s_delay_alu instid0(VALU_DEP_1) | instskip(SKIP_1) | instid1(VALU_DEP_1)
	v_pk_fma_f32 v[92:93], v[86:87], v[76:77], v[90:91] op_sel:[0,0,1] op_sel_hi:[1,1,0] neg_lo:[0,0,1] neg_hi:[0,0,1]
	v_pk_fma_f32 v[86:87], v[86:87], v[76:77], v[90:91] op_sel:[0,0,1] op_sel_hi:[1,0,0]
	v_mov_b32_e32 v93, v87
	v_pk_mul_f32 v[86:87], v[88:89], v[78:79] op_sel:[0,1]
	s_delay_alu instid0(VALU_DEP_1) | instskip(SKIP_1) | instid1(VALU_DEP_1)
	v_pk_fma_f32 v[90:91], v[88:89], v[76:77], v[86:87] op_sel:[0,0,1] op_sel_hi:[1,1,0] neg_lo:[0,0,1] neg_hi:[0,0,1]
	v_pk_fma_f32 v[86:87], v[88:89], v[76:77], v[86:87] op_sel:[0,0,1] op_sel_hi:[1,0,0]
	v_mov_b32_e32 v91, v87
	ds_load_2addr_b64 v[86:89], v80 offset0:20 offset1:21
	v_pk_add_f32 v[24:25], v[24:25], v[92:93] neg_lo:[0,1] neg_hi:[0,1]
	v_pk_add_f32 v[22:23], v[22:23], v[90:91] neg_lo:[0,1] neg_hi:[0,1]
	s_wait_dscnt 0x0
	v_dual_mul_f32 v90, v87, v79 :: v_dual_mul_f32 v92, v87, v76
	s_delay_alu instid0(VALU_DEP_1) | instskip(NEXT) | instid1(VALU_DEP_2)
	v_pk_fma_f32 v[90:91], v[86:87], v[10:11], v[90:91] op_sel_hi:[1,1,0] neg_lo:[0,0,1] neg_hi:[0,0,1]
	v_pk_fma_f32 v[86:87], v[86:87], v[10:11], v[92:93] op_sel:[1,0,0] op_sel_hi:[0,1,0]
	s_delay_alu instid0(VALU_DEP_1) | instskip(SKIP_1) | instid1(VALU_DEP_2)
	v_mov_b32_e32 v91, v87
	v_pk_mul_f32 v[86:87], v[88:89], v[78:79] op_sel:[0,1]
	v_pk_add_f32 v[60:61], v[60:61], v[90:91] neg_lo:[0,1] neg_hi:[0,1]
	s_delay_alu instid0(VALU_DEP_2) | instskip(SKIP_1) | instid1(VALU_DEP_1)
	v_pk_fma_f32 v[90:91], v[88:89], v[76:77], v[86:87] op_sel:[0,0,1] op_sel_hi:[1,1,0] neg_lo:[0,0,1] neg_hi:[0,0,1]
	v_pk_fma_f32 v[86:87], v[88:89], v[76:77], v[86:87] op_sel:[0,0,1] op_sel_hi:[1,0,0]
	v_mov_b32_e32 v91, v87
	ds_load_2addr_b64 v[86:89], v80 offset0:22 offset1:23
	v_pk_add_f32 v[58:59], v[58:59], v[90:91] neg_lo:[0,1] neg_hi:[0,1]
	s_wait_dscnt 0x0
	v_pk_mul_f32 v[90:91], v[86:87], v[78:79] op_sel:[0,1]
	s_delay_alu instid0(VALU_DEP_1) | instskip(SKIP_1) | instid1(VALU_DEP_1)
	v_pk_fma_f32 v[92:93], v[86:87], v[76:77], v[90:91] op_sel:[0,0,1] op_sel_hi:[1,1,0] neg_lo:[0,0,1] neg_hi:[0,0,1]
	v_pk_fma_f32 v[86:87], v[86:87], v[76:77], v[90:91] op_sel:[0,0,1] op_sel_hi:[1,0,0]
	v_mov_b32_e32 v93, v87
	v_pk_mul_f32 v[86:87], v[88:89], v[78:79] op_sel:[0,1]
	s_delay_alu instid0(VALU_DEP_2) | instskip(NEXT) | instid1(VALU_DEP_2)
	v_pk_add_f32 v[32:33], v[32:33], v[92:93] neg_lo:[0,1] neg_hi:[0,1]
	v_pk_fma_f32 v[90:91], v[88:89], v[76:77], v[86:87] op_sel:[0,0,1] op_sel_hi:[1,1,0] neg_lo:[0,0,1] neg_hi:[0,0,1]
	v_pk_fma_f32 v[86:87], v[88:89], v[76:77], v[86:87] op_sel:[0,0,1] op_sel_hi:[1,0,0]
	s_delay_alu instid0(VALU_DEP_1) | instskip(SKIP_4) | instid1(VALU_DEP_1)
	v_mov_b32_e32 v91, v87
	ds_load_2addr_b64 v[86:89], v80 offset0:24 offset1:25
	v_pk_add_f32 v[30:31], v[30:31], v[90:91] neg_lo:[0,1] neg_hi:[0,1]
	s_wait_dscnt 0x0
	v_pk_mul_f32 v[90:91], v[86:87], v[78:79] op_sel:[0,1]
	v_pk_fma_f32 v[92:93], v[86:87], v[76:77], v[90:91] op_sel:[0,0,1] op_sel_hi:[1,1,0] neg_lo:[0,0,1] neg_hi:[0,0,1]
	v_pk_fma_f32 v[86:87], v[86:87], v[76:77], v[90:91] op_sel:[0,0,1] op_sel_hi:[1,0,0]
	v_dual_mul_f32 v90, v89, v79 :: v_dual_mov_b32 v86, v89
	s_delay_alu instid0(VALU_DEP_2) | instskip(NEXT) | instid1(VALU_DEP_2)
	v_dual_mov_b32 v93, v87 :: v_dual_mov_b32 v87, v88
	v_pk_fma_f32 v[90:91], v[88:89], v[10:11], v[90:91] op_sel_hi:[1,1,0] neg_lo:[0,0,1] neg_hi:[0,0,1]
	v_mul_f32_e32 v88, v89, v76
	s_delay_alu instid0(VALU_DEP_3) | instskip(NEXT) | instid1(VALU_DEP_2)
	v_pk_add_f32 v[68:69], v[68:69], v[92:93] neg_lo:[0,1] neg_hi:[0,1]
	v_pk_fma_f32 v[86:87], v[86:87], v[10:11], v[88:89] op_sel_hi:[1,1,0]
	s_delay_alu instid0(VALU_DEP_1) | instskip(SKIP_4) | instid1(VALU_DEP_1)
	v_mov_b32_e32 v91, v87
	ds_load_2addr_b64 v[86:89], v80 offset0:26 offset1:27
	v_pk_add_f32 v[66:67], v[66:67], v[90:91] neg_lo:[0,1] neg_hi:[0,1]
	s_wait_dscnt 0x0
	v_pk_mul_f32 v[90:91], v[86:87], v[78:79] op_sel:[0,1]
	v_pk_fma_f32 v[92:93], v[86:87], v[76:77], v[90:91] op_sel:[0,0,1] op_sel_hi:[1,1,0] neg_lo:[0,0,1] neg_hi:[0,0,1]
	v_pk_fma_f32 v[86:87], v[86:87], v[76:77], v[90:91] op_sel:[0,0,1] op_sel_hi:[1,0,0]
	s_delay_alu instid0(VALU_DEP_1) | instskip(SKIP_1) | instid1(VALU_DEP_1)
	v_mov_b32_e32 v93, v87
	v_pk_mul_f32 v[86:87], v[88:89], v[78:79] op_sel:[0,1]
	v_pk_fma_f32 v[90:91], v[88:89], v[76:77], v[86:87] op_sel:[0,0,1] op_sel_hi:[1,1,0] neg_lo:[0,0,1] neg_hi:[0,0,1]
	v_pk_fma_f32 v[86:87], v[88:89], v[76:77], v[86:87] op_sel:[0,0,1] op_sel_hi:[1,0,0]
	s_delay_alu instid0(VALU_DEP_1)
	v_mov_b32_e32 v91, v87
	ds_load_2addr_b64 v[86:89], v80 offset0:28 offset1:29
	v_pk_add_f32 v[42:43], v[42:43], v[92:93] neg_lo:[0,1] neg_hi:[0,1]
	v_pk_add_f32 v[40:41], v[40:41], v[90:91] neg_lo:[0,1] neg_hi:[0,1]
	s_wait_dscnt 0x0
	v_pk_mul_f32 v[90:91], v[86:87], v[78:79] op_sel:[0,1]
	s_delay_alu instid0(VALU_DEP_1) | instskip(SKIP_1) | instid1(VALU_DEP_1)
	v_pk_fma_f32 v[92:93], v[86:87], v[76:77], v[90:91] op_sel:[0,0,1] op_sel_hi:[1,1,0] neg_lo:[0,0,1] neg_hi:[0,0,1]
	v_pk_fma_f32 v[86:87], v[86:87], v[76:77], v[90:91] op_sel:[0,0,1] op_sel_hi:[1,0,0]
	v_mov_b32_e32 v93, v87
	v_pk_mul_f32 v[86:87], v[88:89], v[78:79] op_sel:[0,1]
	s_delay_alu instid0(VALU_DEP_1) | instskip(SKIP_1) | instid1(VALU_DEP_1)
	v_pk_fma_f32 v[90:91], v[88:89], v[76:77], v[86:87] op_sel:[0,0,1] op_sel_hi:[1,1,0] neg_lo:[0,0,1] neg_hi:[0,0,1]
	v_pk_fma_f32 v[86:87], v[88:89], v[76:77], v[86:87] op_sel:[0,0,1] op_sel_hi:[1,0,0]
	v_mov_b32_e32 v91, v87
	ds_load_2addr_b64 v[86:89], v80 offset0:30 offset1:31
	v_pk_add_f32 v[64:65], v[64:65], v[92:93] neg_lo:[0,1] neg_hi:[0,1]
	v_pk_add_f32 v[62:63], v[62:63], v[90:91] neg_lo:[0,1] neg_hi:[0,1]
	s_wait_dscnt 0x0
	v_dual_mul_f32 v90, v87, v79 :: v_dual_mul_f32 v92, v87, v76
	s_delay_alu instid0(VALU_DEP_1) | instskip(NEXT) | instid1(VALU_DEP_2)
	v_pk_fma_f32 v[90:91], v[86:87], v[10:11], v[90:91] op_sel_hi:[1,1,0] neg_lo:[0,0,1] neg_hi:[0,0,1]
	v_pk_fma_f32 v[86:87], v[86:87], v[10:11], v[92:93] op_sel:[1,0,0] op_sel_hi:[0,1,0]
	s_delay_alu instid0(VALU_DEP_1) | instskip(SKIP_1) | instid1(VALU_DEP_2)
	v_mov_b32_e32 v91, v87
	v_pk_mul_f32 v[86:87], v[88:89], v[78:79] op_sel:[0,1]
	v_pk_add_f32 v[46:47], v[46:47], v[90:91] neg_lo:[0,1] neg_hi:[0,1]
	s_delay_alu instid0(VALU_DEP_2) | instskip(SKIP_1) | instid1(VALU_DEP_1)
	v_pk_fma_f32 v[90:91], v[88:89], v[76:77], v[86:87] op_sel:[0,0,1] op_sel_hi:[1,1,0] neg_lo:[0,0,1] neg_hi:[0,0,1]
	v_pk_fma_f32 v[86:87], v[88:89], v[76:77], v[86:87] op_sel:[0,0,1] op_sel_hi:[1,0,0]
	v_mov_b32_e32 v91, v87
	ds_load_2addr_b64 v[86:89], v80 offset0:32 offset1:33
	v_pk_add_f32 v[44:45], v[44:45], v[90:91] neg_lo:[0,1] neg_hi:[0,1]
	s_wait_dscnt 0x0
	v_pk_mul_f32 v[90:91], v[86:87], v[78:79] op_sel:[0,1]
	s_delay_alu instid0(VALU_DEP_1) | instskip(SKIP_1) | instid1(VALU_DEP_1)
	v_pk_fma_f32 v[92:93], v[86:87], v[76:77], v[90:91] op_sel:[0,0,1] op_sel_hi:[1,1,0] neg_lo:[0,0,1] neg_hi:[0,0,1]
	v_pk_fma_f32 v[86:87], v[86:87], v[76:77], v[90:91] op_sel:[0,0,1] op_sel_hi:[1,0,0]
	v_mov_b32_e32 v93, v87
	v_pk_mul_f32 v[86:87], v[88:89], v[78:79] op_sel:[0,1]
	s_delay_alu instid0(VALU_DEP_2) | instskip(NEXT) | instid1(VALU_DEP_2)
	v_pk_add_f32 v[54:55], v[54:55], v[92:93] neg_lo:[0,1] neg_hi:[0,1]
	v_pk_fma_f32 v[90:91], v[88:89], v[76:77], v[86:87] op_sel:[0,0,1] op_sel_hi:[1,1,0] neg_lo:[0,0,1] neg_hi:[0,0,1]
	v_pk_fma_f32 v[86:87], v[88:89], v[76:77], v[86:87] op_sel:[0,0,1] op_sel_hi:[1,0,0]
	s_delay_alu instid0(VALU_DEP_1) | instskip(SKIP_4) | instid1(VALU_DEP_1)
	v_mov_b32_e32 v91, v87
	ds_load_b64 v[86:87], v80 offset:272
	v_pk_add_f32 v[52:53], v[52:53], v[90:91] neg_lo:[0,1] neg_hi:[0,1]
	s_wait_dscnt 0x0
	v_pk_mul_f32 v[78:79], v[86:87], v[78:79] op_sel:[0,1]
	v_pk_fma_f32 v[88:89], v[86:87], v[76:77], v[78:79] op_sel:[0,0,1] op_sel_hi:[1,1,0] neg_lo:[0,0,1] neg_hi:[0,0,1]
	v_pk_fma_f32 v[76:77], v[86:87], v[76:77], v[78:79] op_sel:[0,0,1] op_sel_hi:[1,0,0]
	s_delay_alu instid0(VALU_DEP_1) | instskip(NEXT) | instid1(VALU_DEP_1)
	v_mov_b32_e32 v89, v77
	v_pk_add_f32 v[74:75], v[74:75], v[88:89] neg_lo:[0,1] neg_hi:[0,1]
.LBB68_251:
	s_or_b32 exec_lo, exec_lo, s0
	v_lshl_add_u32 v76, v84, 3, v80
	s_barrier_signal -1
	s_barrier_wait -1
	ds_store_b64 v76, v[36:37]
	s_wait_dscnt 0x0
	s_barrier_signal -1
	s_barrier_wait -1
	ds_load_b64 v[78:79], v80 offset:96
	v_mov_b32_e32 v76, 12
	s_cmp_lt_i32 s14, 14
	s_cbranch_scc1 .LBB68_254
; %bb.252:
	v_add3_u32 v77, v81, 0, 0x68
	v_mov_b32_e32 v76, 12
	s_mov_b32 s0, 13
.LBB68_253:                             ; =>This Inner Loop Header: Depth=1
	ds_load_b64 v[86:87], v77
	s_wait_dscnt 0x1
	v_cmp_gt_f32_e32 vcc_lo, 0, v78
	v_cndmask_b32_e64 v88, v78, -v78, vcc_lo
	v_cmp_gt_f32_e32 vcc_lo, 0, v79
	v_cndmask_b32_e64 v90, v79, -v79, vcc_lo
	s_wait_dscnt 0x0
	v_cmp_gt_f32_e32 vcc_lo, 0, v86
	v_cndmask_b32_e64 v89, v86, -v86, vcc_lo
	v_cmp_gt_f32_e32 vcc_lo, 0, v87
	v_cndmask_b32_e64 v91, v87, -v87, vcc_lo
	s_delay_alu instid0(VALU_DEP_1) | instskip(NEXT) | instid1(VALU_DEP_1)
	v_pk_add_f32 v[88:89], v[88:89], v[90:91]
	v_cmp_lt_f32_e32 vcc_lo, v88, v89
	v_dual_add_nc_u32 v77, 8, v77 :: v_dual_cndmask_b32 v79, v79, v87, vcc_lo
	v_cndmask_b32_e32 v78, v78, v86, vcc_lo
	v_cndmask_b32_e64 v76, v76, s0, vcc_lo
	s_add_co_i32 s0, s0, 1
	s_delay_alu instid0(SALU_CYCLE_1)
	s_cmp_lg_u32 s14, s0
	s_cbranch_scc1 .LBB68_253
.LBB68_254:
	s_wait_dscnt 0x0
	v_cmp_eq_f32_e32 vcc_lo, 0, v78
	v_cmp_eq_f32_e64 s0, 0, v79
	s_and_b32 s0, vcc_lo, s0
	s_delay_alu instid0(SALU_CYCLE_1) | instskip(NEXT) | instid1(SALU_CYCLE_1)
	s_and_saveexec_b32 s1, s0
	s_xor_b32 s0, exec_lo, s1
; %bb.255:
	v_cmp_ne_u32_e32 vcc_lo, 0, v82
	v_cndmask_b32_e32 v82, 13, v82, vcc_lo
; %bb.256:
	s_and_not1_saveexec_b32 s0, s0
	s_cbranch_execz .LBB68_262
; %bb.257:
	v_cmp_ngt_f32_e64 s1, |v78|, |v79|
	s_and_saveexec_b32 s15, s1
	s_delay_alu instid0(SALU_CYCLE_1)
	s_xor_b32 s1, exec_lo, s15
	s_cbranch_execz .LBB68_259
; %bb.258:
	v_div_scale_f32 v77, null, v79, v79, v78
	v_div_scale_f32 v87, vcc_lo, v78, v79, v78
	s_delay_alu instid0(VALU_DEP_2) | instskip(SKIP_1) | instid1(TRANS32_DEP_1)
	v_rcp_f32_e32 v85, v77
	v_nop
	v_fma_f32 v86, -v77, v85, 1.0
	s_delay_alu instid0(VALU_DEP_1) | instskip(NEXT) | instid1(VALU_DEP_1)
	v_fmac_f32_e32 v85, v86, v85
	v_mul_f32_e32 v86, v87, v85
	s_delay_alu instid0(VALU_DEP_1) | instskip(NEXT) | instid1(VALU_DEP_1)
	v_fma_f32 v88, -v77, v86, v87
	v_fmac_f32_e32 v86, v88, v85
	s_delay_alu instid0(VALU_DEP_1) | instskip(NEXT) | instid1(VALU_DEP_1)
	v_fma_f32 v77, -v77, v86, v87
	v_div_fmas_f32 v77, v77, v85, v86
	s_delay_alu instid0(VALU_DEP_1) | instskip(NEXT) | instid1(VALU_DEP_1)
	v_div_fixup_f32 v77, v77, v79, v78
	v_fmac_f32_e32 v79, v78, v77
	s_delay_alu instid0(VALU_DEP_1) | instskip(SKIP_1) | instid1(VALU_DEP_2)
	v_div_scale_f32 v78, null, v79, v79, 1.0
	v_div_scale_f32 v87, vcc_lo, 1.0, v79, 1.0
	v_rcp_f32_e32 v85, v78
	v_nop
	s_delay_alu instid0(TRANS32_DEP_1) | instskip(NEXT) | instid1(VALU_DEP_1)
	v_fma_f32 v86, -v78, v85, 1.0
	v_fmac_f32_e32 v85, v86, v85
	s_delay_alu instid0(VALU_DEP_1) | instskip(NEXT) | instid1(VALU_DEP_1)
	v_mul_f32_e32 v86, v87, v85
	v_fma_f32 v88, -v78, v86, v87
	s_delay_alu instid0(VALU_DEP_1) | instskip(NEXT) | instid1(VALU_DEP_1)
	v_fmac_f32_e32 v86, v88, v85
	v_fma_f32 v78, -v78, v86, v87
	s_delay_alu instid0(VALU_DEP_1) | instskip(NEXT) | instid1(VALU_DEP_1)
	v_div_fmas_f32 v78, v78, v85, v86
	v_div_fixup_f32 v79, v78, v79, 1.0
	s_delay_alu instid0(VALU_DEP_1)
	v_mul_f32_e32 v78, v77, v79
	v_xor_b32_e32 v79, 0x80000000, v79
.LBB68_259:
	s_and_not1_saveexec_b32 s1, s1
	s_cbranch_execz .LBB68_261
; %bb.260:
	s_delay_alu instid0(VALU_DEP_1) | instskip(SKIP_1) | instid1(VALU_DEP_2)
	v_div_scale_f32 v77, null, v78, v78, v79
	v_div_scale_f32 v87, vcc_lo, v79, v78, v79
	v_rcp_f32_e32 v85, v77
	v_nop
	s_delay_alu instid0(TRANS32_DEP_1) | instskip(NEXT) | instid1(VALU_DEP_1)
	v_fma_f32 v86, -v77, v85, 1.0
	v_fmac_f32_e32 v85, v86, v85
	s_delay_alu instid0(VALU_DEP_1) | instskip(NEXT) | instid1(VALU_DEP_1)
	v_mul_f32_e32 v86, v87, v85
	v_fma_f32 v88, -v77, v86, v87
	s_delay_alu instid0(VALU_DEP_1) | instskip(NEXT) | instid1(VALU_DEP_1)
	v_fmac_f32_e32 v86, v88, v85
	v_fma_f32 v77, -v77, v86, v87
	s_delay_alu instid0(VALU_DEP_1) | instskip(NEXT) | instid1(VALU_DEP_1)
	v_div_fmas_f32 v77, v77, v85, v86
	v_div_fixup_f32 v77, v77, v78, v79
	s_delay_alu instid0(VALU_DEP_1) | instskip(NEXT) | instid1(VALU_DEP_1)
	v_fmac_f32_e32 v78, v79, v77
	v_div_scale_f32 v79, null, v78, v78, 1.0
	s_delay_alu instid0(VALU_DEP_1) | instskip(SKIP_1) | instid1(TRANS32_DEP_1)
	v_rcp_f32_e32 v85, v79
	v_nop
	v_fma_f32 v86, -v79, v85, 1.0
	s_delay_alu instid0(VALU_DEP_1) | instskip(SKIP_1) | instid1(VALU_DEP_1)
	v_fmac_f32_e32 v85, v86, v85
	v_div_scale_f32 v86, vcc_lo, 1.0, v78, 1.0
	v_mul_f32_e32 v87, v86, v85
	s_delay_alu instid0(VALU_DEP_1) | instskip(NEXT) | instid1(VALU_DEP_1)
	v_fma_f32 v88, -v79, v87, v86
	v_fmac_f32_e32 v87, v88, v85
	s_delay_alu instid0(VALU_DEP_1) | instskip(NEXT) | instid1(VALU_DEP_1)
	v_fma_f32 v79, -v79, v87, v86
	v_div_fmas_f32 v79, v79, v85, v87
	s_delay_alu instid0(VALU_DEP_1) | instskip(NEXT) | instid1(VALU_DEP_1)
	v_div_fixup_f32 v78, v79, v78, 1.0
	v_mul_f32_e64 v79, v77, -v78
.LBB68_261:
	s_or_b32 exec_lo, exec_lo, s1
.LBB68_262:
	s_delay_alu instid0(SALU_CYCLE_1) | instskip(NEXT) | instid1(SALU_CYCLE_1)
	s_or_b32 exec_lo, exec_lo, s0
	s_mov_b32 s0, exec_lo
	v_cmpx_ne_u32_e64 v84, v76
	s_xor_b32 s0, exec_lo, s0
	s_cbranch_execz .LBB68_268
; %bb.263:
	s_mov_b32 s1, exec_lo
	v_cmpx_eq_u32_e32 12, v84
	s_cbranch_execz .LBB68_267
; %bb.264:
	v_cmp_ne_u32_e32 vcc_lo, 12, v76
	s_xor_b32 s15, s12, -1
	s_delay_alu instid0(SALU_CYCLE_1) | instskip(NEXT) | instid1(SALU_CYCLE_1)
	s_and_b32 s16, s15, vcc_lo
	s_and_saveexec_b32 s15, s16
	s_cbranch_execz .LBB68_266
; %bb.265:
	v_ashrrev_i32_e32 v77, 31, v76
	s_delay_alu instid0(VALU_DEP_1)
	v_lshl_add_u64 v[84:85], v[76:77], 2, v[4:5]
	s_clause 0x1
	global_load_b32 v77, v[84:85], off
	global_load_b32 v83, v[4:5], off offset:48
	s_wait_loadcnt 0x1
	global_store_b32 v[4:5], v77, off offset:48
	s_wait_loadcnt 0x0
	global_store_b32 v[84:85], v83, off
.LBB68_266:
	s_wait_xcnt 0x0
	s_or_b32 exec_lo, exec_lo, s15
	v_dual_mov_b32 v84, v76 :: v_dual_mov_b32 v83, v76
.LBB68_267:
	s_or_b32 exec_lo, exec_lo, s1
.LBB68_268:
	s_and_not1_saveexec_b32 s0, s0
	s_cbranch_execz .LBB68_270
; %bb.269:
	v_mov_b32_e32 v84, 12
	ds_store_2addr_b64 v80, v[34:35], v[16:17] offset0:13 offset1:14
	ds_store_2addr_b64 v80, v[14:15], v[50:51] offset0:15 offset1:16
	;; [unrolled: 1-line block ×11, first 2 shown]
.LBB68_270:
	s_or_b32 exec_lo, exec_lo, s0
	s_delay_alu instid0(SALU_CYCLE_1)
	s_mov_b32 s0, exec_lo
	s_wait_storecnt_dscnt 0x0
	s_barrier_signal -1
	s_barrier_wait -1
	v_cmpx_lt_i32_e32 12, v84
	s_cbranch_execz .LBB68_272
; %bb.271:
	v_pk_mul_f32 v[86:87], v[78:79], v[36:37] op_sel:[1,1] op_sel_hi:[0,1]
	s_delay_alu instid0(VALU_DEP_1)
	v_pk_fma_f32 v[76:77], v[78:79], v[36:37], v[86:87] op_sel_hi:[1,0,1] neg_lo:[0,0,1] neg_hi:[0,0,1]
	v_pk_fma_f32 v[78:79], v[78:79], v[36:37], v[86:87] op_sel_hi:[1,0,1]
	ds_load_2addr_b64 v[86:89], v80 offset0:13 offset1:14
	v_dual_mov_b32 v36, v76 :: v_dual_mov_b32 v37, v79
	s_wait_dscnt 0x0
	v_pk_mul_f32 v[90:91], v[86:87], v[78:79] op_sel:[0,1]
	s_delay_alu instid0(VALU_DEP_1) | instskip(SKIP_1) | instid1(VALU_DEP_1)
	v_pk_fma_f32 v[92:93], v[86:87], v[76:77], v[90:91] op_sel:[0,0,1] op_sel_hi:[1,1,0] neg_lo:[0,0,1] neg_hi:[0,0,1]
	v_pk_fma_f32 v[86:87], v[86:87], v[76:77], v[90:91] op_sel:[0,0,1] op_sel_hi:[1,0,0]
	v_mov_b32_e32 v93, v87
	v_pk_mul_f32 v[86:87], v[88:89], v[78:79] op_sel:[0,1]
	s_delay_alu instid0(VALU_DEP_1) | instskip(SKIP_1) | instid1(VALU_DEP_1)
	v_pk_fma_f32 v[90:91], v[88:89], v[76:77], v[86:87] op_sel:[0,0,1] op_sel_hi:[1,1,0] neg_lo:[0,0,1] neg_hi:[0,0,1]
	v_pk_fma_f32 v[86:87], v[88:89], v[76:77], v[86:87] op_sel:[0,0,1] op_sel_hi:[1,0,0]
	v_mov_b32_e32 v91, v87
	ds_load_2addr_b64 v[86:89], v80 offset0:15 offset1:16
	v_pk_add_f32 v[34:35], v[34:35], v[92:93] neg_lo:[0,1] neg_hi:[0,1]
	v_pk_add_f32 v[16:17], v[16:17], v[90:91] neg_lo:[0,1] neg_hi:[0,1]
	s_wait_dscnt 0x0
	v_pk_mul_f32 v[90:91], v[86:87], v[78:79] op_sel:[0,1]
	s_delay_alu instid0(VALU_DEP_1) | instskip(SKIP_2) | instid1(VALU_DEP_2)
	v_pk_fma_f32 v[92:93], v[86:87], v[76:77], v[90:91] op_sel:[0,0,1] op_sel_hi:[1,1,0] neg_lo:[0,0,1] neg_hi:[0,0,1]
	v_pk_fma_f32 v[86:87], v[86:87], v[76:77], v[90:91] op_sel:[0,0,1] op_sel_hi:[1,0,0]
	v_dual_mul_f32 v90, v89, v79 :: v_dual_mov_b32 v86, v89
	v_dual_mov_b32 v93, v87 :: v_dual_mov_b32 v87, v88
	s_delay_alu instid0(VALU_DEP_2) | instskip(SKIP_1) | instid1(VALU_DEP_3)
	v_pk_fma_f32 v[90:91], v[88:89], v[36:37], v[90:91] op_sel_hi:[1,1,0] neg_lo:[0,0,1] neg_hi:[0,0,1]
	v_mul_f32_e32 v88, v89, v76
	v_pk_add_f32 v[14:15], v[14:15], v[92:93] neg_lo:[0,1] neg_hi:[0,1]
	s_delay_alu instid0(VALU_DEP_2) | instskip(NEXT) | instid1(VALU_DEP_1)
	v_pk_fma_f32 v[86:87], v[86:87], v[36:37], v[88:89] op_sel_hi:[1,1,0]
	v_mov_b32_e32 v91, v87
	ds_load_2addr_b64 v[86:89], v80 offset0:17 offset1:18
	v_pk_add_f32 v[50:51], v[50:51], v[90:91] neg_lo:[0,1] neg_hi:[0,1]
	s_wait_dscnt 0x0
	v_pk_mul_f32 v[90:91], v[86:87], v[78:79] op_sel:[0,1]
	s_delay_alu instid0(VALU_DEP_1) | instskip(SKIP_1) | instid1(VALU_DEP_1)
	v_pk_fma_f32 v[92:93], v[86:87], v[76:77], v[90:91] op_sel:[0,0,1] op_sel_hi:[1,1,0] neg_lo:[0,0,1] neg_hi:[0,0,1]
	v_pk_fma_f32 v[86:87], v[86:87], v[76:77], v[90:91] op_sel:[0,0,1] op_sel_hi:[1,0,0]
	v_mov_b32_e32 v93, v87
	v_pk_mul_f32 v[86:87], v[88:89], v[78:79] op_sel:[0,1]
	s_delay_alu instid0(VALU_DEP_1) | instskip(SKIP_1) | instid1(VALU_DEP_1)
	v_pk_fma_f32 v[90:91], v[88:89], v[76:77], v[86:87] op_sel:[0,0,1] op_sel_hi:[1,1,0] neg_lo:[0,0,1] neg_hi:[0,0,1]
	v_pk_fma_f32 v[86:87], v[88:89], v[76:77], v[86:87] op_sel:[0,0,1] op_sel_hi:[1,0,0]
	v_mov_b32_e32 v91, v87
	ds_load_2addr_b64 v[86:89], v80 offset0:19 offset1:20
	v_pk_add_f32 v[48:49], v[48:49], v[92:93] neg_lo:[0,1] neg_hi:[0,1]
	v_pk_add_f32 v[24:25], v[24:25], v[90:91] neg_lo:[0,1] neg_hi:[0,1]
	s_wait_dscnt 0x0
	v_pk_mul_f32 v[90:91], v[86:87], v[78:79] op_sel:[0,1]
	s_delay_alu instid0(VALU_DEP_1) | instskip(SKIP_1) | instid1(VALU_DEP_1)
	v_pk_fma_f32 v[92:93], v[86:87], v[76:77], v[90:91] op_sel:[0,0,1] op_sel_hi:[1,1,0] neg_lo:[0,0,1] neg_hi:[0,0,1]
	v_pk_fma_f32 v[86:87], v[86:87], v[76:77], v[90:91] op_sel:[0,0,1] op_sel_hi:[1,0,0]
	v_mov_b32_e32 v93, v87
	v_pk_mul_f32 v[86:87], v[88:89], v[78:79] op_sel:[0,1]
	s_delay_alu instid0(VALU_DEP_1) | instskip(SKIP_1) | instid1(VALU_DEP_1)
	v_pk_fma_f32 v[90:91], v[88:89], v[76:77], v[86:87] op_sel:[0,0,1] op_sel_hi:[1,1,0] neg_lo:[0,0,1] neg_hi:[0,0,1]
	v_pk_fma_f32 v[86:87], v[88:89], v[76:77], v[86:87] op_sel:[0,0,1] op_sel_hi:[1,0,0]
	v_mov_b32_e32 v91, v87
	ds_load_2addr_b64 v[86:89], v80 offset0:21 offset1:22
	v_pk_add_f32 v[22:23], v[22:23], v[92:93] neg_lo:[0,1] neg_hi:[0,1]
	v_pk_add_f32 v[60:61], v[60:61], v[90:91] neg_lo:[0,1] neg_hi:[0,1]
	s_wait_dscnt 0x0
	v_dual_mul_f32 v90, v87, v79 :: v_dual_mul_f32 v92, v87, v76
	s_delay_alu instid0(VALU_DEP_1) | instskip(NEXT) | instid1(VALU_DEP_2)
	v_pk_fma_f32 v[90:91], v[86:87], v[36:37], v[90:91] op_sel_hi:[1,1,0] neg_lo:[0,0,1] neg_hi:[0,0,1]
	v_pk_fma_f32 v[86:87], v[86:87], v[36:37], v[92:93] op_sel:[1,0,0] op_sel_hi:[0,1,0]
	s_delay_alu instid0(VALU_DEP_1) | instskip(SKIP_1) | instid1(VALU_DEP_2)
	v_mov_b32_e32 v91, v87
	v_pk_mul_f32 v[86:87], v[88:89], v[78:79] op_sel:[0,1]
	v_pk_add_f32 v[58:59], v[58:59], v[90:91] neg_lo:[0,1] neg_hi:[0,1]
	s_delay_alu instid0(VALU_DEP_2) | instskip(SKIP_1) | instid1(VALU_DEP_1)
	v_pk_fma_f32 v[90:91], v[88:89], v[76:77], v[86:87] op_sel:[0,0,1] op_sel_hi:[1,1,0] neg_lo:[0,0,1] neg_hi:[0,0,1]
	v_pk_fma_f32 v[86:87], v[88:89], v[76:77], v[86:87] op_sel:[0,0,1] op_sel_hi:[1,0,0]
	v_mov_b32_e32 v91, v87
	ds_load_2addr_b64 v[86:89], v80 offset0:23 offset1:24
	v_pk_add_f32 v[32:33], v[32:33], v[90:91] neg_lo:[0,1] neg_hi:[0,1]
	s_wait_dscnt 0x0
	v_pk_mul_f32 v[90:91], v[86:87], v[78:79] op_sel:[0,1]
	s_delay_alu instid0(VALU_DEP_1) | instskip(SKIP_1) | instid1(VALU_DEP_1)
	v_pk_fma_f32 v[92:93], v[86:87], v[76:77], v[90:91] op_sel:[0,0,1] op_sel_hi:[1,1,0] neg_lo:[0,0,1] neg_hi:[0,0,1]
	v_pk_fma_f32 v[86:87], v[86:87], v[76:77], v[90:91] op_sel:[0,0,1] op_sel_hi:[1,0,0]
	v_mov_b32_e32 v93, v87
	v_pk_mul_f32 v[86:87], v[88:89], v[78:79] op_sel:[0,1]
	s_delay_alu instid0(VALU_DEP_2) | instskip(NEXT) | instid1(VALU_DEP_2)
	v_pk_add_f32 v[30:31], v[30:31], v[92:93] neg_lo:[0,1] neg_hi:[0,1]
	v_pk_fma_f32 v[90:91], v[88:89], v[76:77], v[86:87] op_sel:[0,0,1] op_sel_hi:[1,1,0] neg_lo:[0,0,1] neg_hi:[0,0,1]
	v_pk_fma_f32 v[86:87], v[88:89], v[76:77], v[86:87] op_sel:[0,0,1] op_sel_hi:[1,0,0]
	s_delay_alu instid0(VALU_DEP_1) | instskip(SKIP_4) | instid1(VALU_DEP_1)
	v_mov_b32_e32 v91, v87
	ds_load_2addr_b64 v[86:89], v80 offset0:25 offset1:26
	v_pk_add_f32 v[68:69], v[68:69], v[90:91] neg_lo:[0,1] neg_hi:[0,1]
	s_wait_dscnt 0x0
	v_pk_mul_f32 v[90:91], v[86:87], v[78:79] op_sel:[0,1]
	v_pk_fma_f32 v[92:93], v[86:87], v[76:77], v[90:91] op_sel:[0,0,1] op_sel_hi:[1,1,0] neg_lo:[0,0,1] neg_hi:[0,0,1]
	v_pk_fma_f32 v[86:87], v[86:87], v[76:77], v[90:91] op_sel:[0,0,1] op_sel_hi:[1,0,0]
	v_dual_mul_f32 v90, v89, v79 :: v_dual_mov_b32 v86, v89
	s_delay_alu instid0(VALU_DEP_2) | instskip(NEXT) | instid1(VALU_DEP_2)
	v_dual_mov_b32 v93, v87 :: v_dual_mov_b32 v87, v88
	v_pk_fma_f32 v[90:91], v[88:89], v[36:37], v[90:91] op_sel_hi:[1,1,0] neg_lo:[0,0,1] neg_hi:[0,0,1]
	v_mul_f32_e32 v88, v89, v76
	s_delay_alu instid0(VALU_DEP_3) | instskip(NEXT) | instid1(VALU_DEP_2)
	v_pk_add_f32 v[66:67], v[66:67], v[92:93] neg_lo:[0,1] neg_hi:[0,1]
	v_pk_fma_f32 v[86:87], v[86:87], v[36:37], v[88:89] op_sel_hi:[1,1,0]
	s_delay_alu instid0(VALU_DEP_1) | instskip(SKIP_4) | instid1(VALU_DEP_1)
	v_mov_b32_e32 v91, v87
	ds_load_2addr_b64 v[86:89], v80 offset0:27 offset1:28
	v_pk_add_f32 v[42:43], v[42:43], v[90:91] neg_lo:[0,1] neg_hi:[0,1]
	s_wait_dscnt 0x0
	v_pk_mul_f32 v[90:91], v[86:87], v[78:79] op_sel:[0,1]
	v_pk_fma_f32 v[92:93], v[86:87], v[76:77], v[90:91] op_sel:[0,0,1] op_sel_hi:[1,1,0] neg_lo:[0,0,1] neg_hi:[0,0,1]
	v_pk_fma_f32 v[86:87], v[86:87], v[76:77], v[90:91] op_sel:[0,0,1] op_sel_hi:[1,0,0]
	s_delay_alu instid0(VALU_DEP_1) | instskip(SKIP_1) | instid1(VALU_DEP_1)
	v_mov_b32_e32 v93, v87
	v_pk_mul_f32 v[86:87], v[88:89], v[78:79] op_sel:[0,1]
	v_pk_fma_f32 v[90:91], v[88:89], v[76:77], v[86:87] op_sel:[0,0,1] op_sel_hi:[1,1,0] neg_lo:[0,0,1] neg_hi:[0,0,1]
	v_pk_fma_f32 v[86:87], v[88:89], v[76:77], v[86:87] op_sel:[0,0,1] op_sel_hi:[1,0,0]
	s_delay_alu instid0(VALU_DEP_1)
	v_mov_b32_e32 v91, v87
	ds_load_2addr_b64 v[86:89], v80 offset0:29 offset1:30
	v_pk_add_f32 v[40:41], v[40:41], v[92:93] neg_lo:[0,1] neg_hi:[0,1]
	v_pk_add_f32 v[64:65], v[64:65], v[90:91] neg_lo:[0,1] neg_hi:[0,1]
	s_wait_dscnt 0x0
	v_pk_mul_f32 v[90:91], v[86:87], v[78:79] op_sel:[0,1]
	s_delay_alu instid0(VALU_DEP_1) | instskip(SKIP_1) | instid1(VALU_DEP_1)
	v_pk_fma_f32 v[92:93], v[86:87], v[76:77], v[90:91] op_sel:[0,0,1] op_sel_hi:[1,1,0] neg_lo:[0,0,1] neg_hi:[0,0,1]
	v_pk_fma_f32 v[86:87], v[86:87], v[76:77], v[90:91] op_sel:[0,0,1] op_sel_hi:[1,0,0]
	v_mov_b32_e32 v93, v87
	v_pk_mul_f32 v[86:87], v[88:89], v[78:79] op_sel:[0,1]
	s_delay_alu instid0(VALU_DEP_1) | instskip(SKIP_1) | instid1(VALU_DEP_1)
	v_pk_fma_f32 v[90:91], v[88:89], v[76:77], v[86:87] op_sel:[0,0,1] op_sel_hi:[1,1,0] neg_lo:[0,0,1] neg_hi:[0,0,1]
	v_pk_fma_f32 v[86:87], v[88:89], v[76:77], v[86:87] op_sel:[0,0,1] op_sel_hi:[1,0,0]
	v_mov_b32_e32 v91, v87
	ds_load_2addr_b64 v[86:89], v80 offset0:31 offset1:32
	v_pk_add_f32 v[62:63], v[62:63], v[92:93] neg_lo:[0,1] neg_hi:[0,1]
	v_pk_add_f32 v[46:47], v[46:47], v[90:91] neg_lo:[0,1] neg_hi:[0,1]
	s_wait_dscnt 0x0
	v_dual_mul_f32 v90, v87, v79 :: v_dual_mul_f32 v92, v87, v76
	s_delay_alu instid0(VALU_DEP_1) | instskip(NEXT) | instid1(VALU_DEP_2)
	v_pk_fma_f32 v[90:91], v[86:87], v[36:37], v[90:91] op_sel_hi:[1,1,0] neg_lo:[0,0,1] neg_hi:[0,0,1]
	v_pk_fma_f32 v[86:87], v[86:87], v[36:37], v[92:93] op_sel:[1,0,0] op_sel_hi:[0,1,0]
	s_delay_alu instid0(VALU_DEP_1) | instskip(SKIP_1) | instid1(VALU_DEP_2)
	v_mov_b32_e32 v91, v87
	v_pk_mul_f32 v[86:87], v[88:89], v[78:79] op_sel:[0,1]
	v_pk_add_f32 v[44:45], v[44:45], v[90:91] neg_lo:[0,1] neg_hi:[0,1]
	s_delay_alu instid0(VALU_DEP_2) | instskip(SKIP_1) | instid1(VALU_DEP_1)
	v_pk_fma_f32 v[90:91], v[88:89], v[76:77], v[86:87] op_sel:[0,0,1] op_sel_hi:[1,1,0] neg_lo:[0,0,1] neg_hi:[0,0,1]
	v_pk_fma_f32 v[86:87], v[88:89], v[76:77], v[86:87] op_sel:[0,0,1] op_sel_hi:[1,0,0]
	v_mov_b32_e32 v91, v87
	ds_load_2addr_b64 v[86:89], v80 offset0:33 offset1:34
	v_pk_add_f32 v[54:55], v[54:55], v[90:91] neg_lo:[0,1] neg_hi:[0,1]
	s_wait_dscnt 0x0
	v_pk_mul_f32 v[90:91], v[86:87], v[78:79] op_sel:[0,1]
	v_pk_mul_f32 v[78:79], v[88:89], v[78:79] op_sel:[0,1]
	s_delay_alu instid0(VALU_DEP_2) | instskip(SKIP_1) | instid1(VALU_DEP_1)
	v_pk_fma_f32 v[92:93], v[86:87], v[76:77], v[90:91] op_sel:[0,0,1] op_sel_hi:[1,1,0] neg_lo:[0,0,1] neg_hi:[0,0,1]
	v_pk_fma_f32 v[86:87], v[86:87], v[76:77], v[90:91] op_sel:[0,0,1] op_sel_hi:[1,0,0]
	v_mov_b32_e32 v93, v87
	s_delay_alu instid0(VALU_DEP_4) | instskip(SKIP_1) | instid1(VALU_DEP_3)
	v_pk_fma_f32 v[86:87], v[88:89], v[76:77], v[78:79] op_sel:[0,0,1] op_sel_hi:[1,1,0] neg_lo:[0,0,1] neg_hi:[0,0,1]
	v_pk_fma_f32 v[76:77], v[88:89], v[76:77], v[78:79] op_sel:[0,0,1] op_sel_hi:[1,0,0]
	v_pk_add_f32 v[52:53], v[52:53], v[92:93] neg_lo:[0,1] neg_hi:[0,1]
	s_delay_alu instid0(VALU_DEP_2) | instskip(NEXT) | instid1(VALU_DEP_1)
	v_mov_b32_e32 v87, v77
	v_pk_add_f32 v[74:75], v[74:75], v[86:87] neg_lo:[0,1] neg_hi:[0,1]
.LBB68_272:
	s_or_b32 exec_lo, exec_lo, s0
	v_lshl_add_u32 v76, v84, 3, v80
	s_barrier_signal -1
	s_barrier_wait -1
	ds_store_b64 v76, v[34:35]
	s_wait_dscnt 0x0
	s_barrier_signal -1
	s_barrier_wait -1
	ds_load_b64 v[78:79], v80 offset:104
	v_mov_b32_e32 v76, 13
	s_cmp_lt_i32 s14, 15
	s_cbranch_scc1 .LBB68_275
; %bb.273:
	v_add3_u32 v77, v81, 0, 0x70
	v_mov_b32_e32 v76, 13
	s_mov_b32 s0, 14
.LBB68_274:                             ; =>This Inner Loop Header: Depth=1
	ds_load_b64 v[86:87], v77
	s_wait_dscnt 0x1
	v_cmp_gt_f32_e32 vcc_lo, 0, v78
	v_cndmask_b32_e64 v88, v78, -v78, vcc_lo
	v_cmp_gt_f32_e32 vcc_lo, 0, v79
	v_cndmask_b32_e64 v90, v79, -v79, vcc_lo
	s_wait_dscnt 0x0
	v_cmp_gt_f32_e32 vcc_lo, 0, v86
	v_cndmask_b32_e64 v89, v86, -v86, vcc_lo
	v_cmp_gt_f32_e32 vcc_lo, 0, v87
	v_cndmask_b32_e64 v91, v87, -v87, vcc_lo
	s_delay_alu instid0(VALU_DEP_1) | instskip(NEXT) | instid1(VALU_DEP_1)
	v_pk_add_f32 v[88:89], v[88:89], v[90:91]
	v_cmp_lt_f32_e32 vcc_lo, v88, v89
	v_dual_add_nc_u32 v77, 8, v77 :: v_dual_cndmask_b32 v79, v79, v87, vcc_lo
	v_cndmask_b32_e32 v78, v78, v86, vcc_lo
	v_cndmask_b32_e64 v76, v76, s0, vcc_lo
	s_add_co_i32 s0, s0, 1
	s_delay_alu instid0(SALU_CYCLE_1)
	s_cmp_lg_u32 s14, s0
	s_cbranch_scc1 .LBB68_274
.LBB68_275:
	s_wait_dscnt 0x0
	v_cmp_eq_f32_e32 vcc_lo, 0, v78
	v_cmp_eq_f32_e64 s0, 0, v79
	s_and_b32 s0, vcc_lo, s0
	s_delay_alu instid0(SALU_CYCLE_1) | instskip(NEXT) | instid1(SALU_CYCLE_1)
	s_and_saveexec_b32 s1, s0
	s_xor_b32 s0, exec_lo, s1
; %bb.276:
	v_cmp_ne_u32_e32 vcc_lo, 0, v82
	v_cndmask_b32_e32 v82, 14, v82, vcc_lo
; %bb.277:
	s_and_not1_saveexec_b32 s0, s0
	s_cbranch_execz .LBB68_283
; %bb.278:
	v_cmp_ngt_f32_e64 s1, |v78|, |v79|
	s_and_saveexec_b32 s15, s1
	s_delay_alu instid0(SALU_CYCLE_1)
	s_xor_b32 s1, exec_lo, s15
	s_cbranch_execz .LBB68_280
; %bb.279:
	v_div_scale_f32 v77, null, v79, v79, v78
	v_div_scale_f32 v87, vcc_lo, v78, v79, v78
	s_delay_alu instid0(VALU_DEP_2) | instskip(SKIP_1) | instid1(TRANS32_DEP_1)
	v_rcp_f32_e32 v85, v77
	v_nop
	v_fma_f32 v86, -v77, v85, 1.0
	s_delay_alu instid0(VALU_DEP_1) | instskip(NEXT) | instid1(VALU_DEP_1)
	v_fmac_f32_e32 v85, v86, v85
	v_mul_f32_e32 v86, v87, v85
	s_delay_alu instid0(VALU_DEP_1) | instskip(NEXT) | instid1(VALU_DEP_1)
	v_fma_f32 v88, -v77, v86, v87
	v_fmac_f32_e32 v86, v88, v85
	s_delay_alu instid0(VALU_DEP_1) | instskip(NEXT) | instid1(VALU_DEP_1)
	v_fma_f32 v77, -v77, v86, v87
	v_div_fmas_f32 v77, v77, v85, v86
	s_delay_alu instid0(VALU_DEP_1) | instskip(NEXT) | instid1(VALU_DEP_1)
	v_div_fixup_f32 v77, v77, v79, v78
	v_fmac_f32_e32 v79, v78, v77
	s_delay_alu instid0(VALU_DEP_1) | instskip(SKIP_1) | instid1(VALU_DEP_2)
	v_div_scale_f32 v78, null, v79, v79, 1.0
	v_div_scale_f32 v87, vcc_lo, 1.0, v79, 1.0
	v_rcp_f32_e32 v85, v78
	v_nop
	s_delay_alu instid0(TRANS32_DEP_1) | instskip(NEXT) | instid1(VALU_DEP_1)
	v_fma_f32 v86, -v78, v85, 1.0
	v_fmac_f32_e32 v85, v86, v85
	s_delay_alu instid0(VALU_DEP_1) | instskip(NEXT) | instid1(VALU_DEP_1)
	v_mul_f32_e32 v86, v87, v85
	v_fma_f32 v88, -v78, v86, v87
	s_delay_alu instid0(VALU_DEP_1) | instskip(NEXT) | instid1(VALU_DEP_1)
	v_fmac_f32_e32 v86, v88, v85
	v_fma_f32 v78, -v78, v86, v87
	s_delay_alu instid0(VALU_DEP_1) | instskip(NEXT) | instid1(VALU_DEP_1)
	v_div_fmas_f32 v78, v78, v85, v86
	v_div_fixup_f32 v79, v78, v79, 1.0
	s_delay_alu instid0(VALU_DEP_1)
	v_mul_f32_e32 v78, v77, v79
	v_xor_b32_e32 v79, 0x80000000, v79
.LBB68_280:
	s_and_not1_saveexec_b32 s1, s1
	s_cbranch_execz .LBB68_282
; %bb.281:
	s_delay_alu instid0(VALU_DEP_1) | instskip(SKIP_1) | instid1(VALU_DEP_2)
	v_div_scale_f32 v77, null, v78, v78, v79
	v_div_scale_f32 v87, vcc_lo, v79, v78, v79
	v_rcp_f32_e32 v85, v77
	v_nop
	s_delay_alu instid0(TRANS32_DEP_1) | instskip(NEXT) | instid1(VALU_DEP_1)
	v_fma_f32 v86, -v77, v85, 1.0
	v_fmac_f32_e32 v85, v86, v85
	s_delay_alu instid0(VALU_DEP_1) | instskip(NEXT) | instid1(VALU_DEP_1)
	v_mul_f32_e32 v86, v87, v85
	v_fma_f32 v88, -v77, v86, v87
	s_delay_alu instid0(VALU_DEP_1) | instskip(NEXT) | instid1(VALU_DEP_1)
	v_fmac_f32_e32 v86, v88, v85
	v_fma_f32 v77, -v77, v86, v87
	s_delay_alu instid0(VALU_DEP_1) | instskip(NEXT) | instid1(VALU_DEP_1)
	v_div_fmas_f32 v77, v77, v85, v86
	v_div_fixup_f32 v77, v77, v78, v79
	s_delay_alu instid0(VALU_DEP_1) | instskip(NEXT) | instid1(VALU_DEP_1)
	v_fmac_f32_e32 v78, v79, v77
	v_div_scale_f32 v79, null, v78, v78, 1.0
	s_delay_alu instid0(VALU_DEP_1) | instskip(SKIP_1) | instid1(TRANS32_DEP_1)
	v_rcp_f32_e32 v85, v79
	v_nop
	v_fma_f32 v86, -v79, v85, 1.0
	s_delay_alu instid0(VALU_DEP_1) | instskip(SKIP_1) | instid1(VALU_DEP_1)
	v_fmac_f32_e32 v85, v86, v85
	v_div_scale_f32 v86, vcc_lo, 1.0, v78, 1.0
	v_mul_f32_e32 v87, v86, v85
	s_delay_alu instid0(VALU_DEP_1) | instskip(NEXT) | instid1(VALU_DEP_1)
	v_fma_f32 v88, -v79, v87, v86
	v_fmac_f32_e32 v87, v88, v85
	s_delay_alu instid0(VALU_DEP_1) | instskip(NEXT) | instid1(VALU_DEP_1)
	v_fma_f32 v79, -v79, v87, v86
	v_div_fmas_f32 v79, v79, v85, v87
	s_delay_alu instid0(VALU_DEP_1) | instskip(NEXT) | instid1(VALU_DEP_1)
	v_div_fixup_f32 v78, v79, v78, 1.0
	v_mul_f32_e64 v79, v77, -v78
.LBB68_282:
	s_or_b32 exec_lo, exec_lo, s1
.LBB68_283:
	s_delay_alu instid0(SALU_CYCLE_1) | instskip(NEXT) | instid1(SALU_CYCLE_1)
	s_or_b32 exec_lo, exec_lo, s0
	s_mov_b32 s0, exec_lo
	v_cmpx_ne_u32_e64 v84, v76
	s_xor_b32 s0, exec_lo, s0
	s_cbranch_execz .LBB68_289
; %bb.284:
	s_mov_b32 s1, exec_lo
	v_cmpx_eq_u32_e32 13, v84
	s_cbranch_execz .LBB68_288
; %bb.285:
	v_cmp_ne_u32_e32 vcc_lo, 13, v76
	s_xor_b32 s15, s12, -1
	s_delay_alu instid0(SALU_CYCLE_1) | instskip(NEXT) | instid1(SALU_CYCLE_1)
	s_and_b32 s16, s15, vcc_lo
	s_and_saveexec_b32 s15, s16
	s_cbranch_execz .LBB68_287
; %bb.286:
	v_ashrrev_i32_e32 v77, 31, v76
	s_delay_alu instid0(VALU_DEP_1)
	v_lshl_add_u64 v[84:85], v[76:77], 2, v[4:5]
	s_clause 0x1
	global_load_b32 v77, v[84:85], off
	global_load_b32 v83, v[4:5], off offset:52
	s_wait_loadcnt 0x1
	global_store_b32 v[4:5], v77, off offset:52
	s_wait_loadcnt 0x0
	global_store_b32 v[84:85], v83, off
.LBB68_287:
	s_wait_xcnt 0x0
	s_or_b32 exec_lo, exec_lo, s15
	v_dual_mov_b32 v84, v76 :: v_dual_mov_b32 v83, v76
.LBB68_288:
	s_or_b32 exec_lo, exec_lo, s1
.LBB68_289:
	s_and_not1_saveexec_b32 s0, s0
	s_cbranch_execz .LBB68_291
; %bb.290:
	v_dual_mov_b32 v76, v16 :: v_dual_mov_b32 v77, v17
	v_dual_mov_b32 v84, v14 :: v_dual_mov_b32 v85, v15
	ds_store_2addr_b64 v80, v[76:77], v[84:85] offset0:14 offset1:15
	v_dual_mov_b32 v76, v50 :: v_dual_mov_b32 v77, v51
	v_dual_mov_b32 v84, v48 :: v_dual_mov_b32 v85, v49
	ds_store_2addr_b64 v80, v[76:77], v[84:85] offset0:16 offset1:17
	;; [unrolled: 3-line block ×10, first 2 shown]
	ds_store_b64 v80, v[74:75] offset:272
	v_mov_b32_e32 v84, 13
.LBB68_291:
	s_or_b32 exec_lo, exec_lo, s0
	s_delay_alu instid0(SALU_CYCLE_1)
	s_mov_b32 s0, exec_lo
	s_wait_storecnt_dscnt 0x0
	s_barrier_signal -1
	s_barrier_wait -1
	v_cmpx_lt_i32_e32 13, v84
	s_cbranch_execz .LBB68_293
; %bb.292:
	v_pk_mul_f32 v[86:87], v[78:79], v[34:35] op_sel:[1,1] op_sel_hi:[0,1]
	s_delay_alu instid0(VALU_DEP_1)
	v_pk_fma_f32 v[76:77], v[78:79], v[34:35], v[86:87] op_sel_hi:[1,0,1] neg_lo:[0,0,1] neg_hi:[0,0,1]
	v_pk_fma_f32 v[78:79], v[78:79], v[34:35], v[86:87] op_sel_hi:[1,0,1]
	ds_load_2addr_b64 v[86:89], v80 offset0:14 offset1:15
	v_dual_mov_b32 v34, v76 :: v_dual_mov_b32 v35, v79
	s_wait_dscnt 0x0
	v_pk_mul_f32 v[90:91], v[86:87], v[78:79] op_sel:[0,1]
	s_delay_alu instid0(VALU_DEP_1) | instskip(SKIP_1) | instid1(VALU_DEP_1)
	v_pk_fma_f32 v[92:93], v[86:87], v[76:77], v[90:91] op_sel:[0,0,1] op_sel_hi:[1,1,0] neg_lo:[0,0,1] neg_hi:[0,0,1]
	v_pk_fma_f32 v[86:87], v[86:87], v[76:77], v[90:91] op_sel:[0,0,1] op_sel_hi:[1,0,0]
	v_mov_b32_e32 v93, v87
	v_pk_mul_f32 v[86:87], v[88:89], v[78:79] op_sel:[0,1]
	s_delay_alu instid0(VALU_DEP_1) | instskip(SKIP_1) | instid1(VALU_DEP_1)
	v_pk_fma_f32 v[90:91], v[88:89], v[76:77], v[86:87] op_sel:[0,0,1] op_sel_hi:[1,1,0] neg_lo:[0,0,1] neg_hi:[0,0,1]
	v_pk_fma_f32 v[86:87], v[88:89], v[76:77], v[86:87] op_sel:[0,0,1] op_sel_hi:[1,0,0]
	v_mov_b32_e32 v91, v87
	ds_load_2addr_b64 v[86:89], v80 offset0:16 offset1:17
	v_pk_add_f32 v[16:17], v[16:17], v[92:93] neg_lo:[0,1] neg_hi:[0,1]
	v_pk_add_f32 v[14:15], v[14:15], v[90:91] neg_lo:[0,1] neg_hi:[0,1]
	s_wait_dscnt 0x0
	v_pk_mul_f32 v[90:91], v[86:87], v[78:79] op_sel:[0,1]
	s_delay_alu instid0(VALU_DEP_1) | instskip(SKIP_2) | instid1(VALU_DEP_2)
	v_pk_fma_f32 v[92:93], v[86:87], v[76:77], v[90:91] op_sel:[0,0,1] op_sel_hi:[1,1,0] neg_lo:[0,0,1] neg_hi:[0,0,1]
	v_pk_fma_f32 v[86:87], v[86:87], v[76:77], v[90:91] op_sel:[0,0,1] op_sel_hi:[1,0,0]
	v_dual_mul_f32 v90, v89, v79 :: v_dual_mov_b32 v86, v89
	v_dual_mov_b32 v93, v87 :: v_dual_mov_b32 v87, v88
	s_delay_alu instid0(VALU_DEP_2) | instskip(SKIP_1) | instid1(VALU_DEP_3)
	v_pk_fma_f32 v[90:91], v[88:89], v[34:35], v[90:91] op_sel_hi:[1,1,0] neg_lo:[0,0,1] neg_hi:[0,0,1]
	v_mul_f32_e32 v88, v89, v76
	v_pk_add_f32 v[50:51], v[50:51], v[92:93] neg_lo:[0,1] neg_hi:[0,1]
	s_delay_alu instid0(VALU_DEP_2) | instskip(NEXT) | instid1(VALU_DEP_1)
	v_pk_fma_f32 v[86:87], v[86:87], v[34:35], v[88:89] op_sel_hi:[1,1,0]
	v_mov_b32_e32 v91, v87
	ds_load_2addr_b64 v[86:89], v80 offset0:18 offset1:19
	v_pk_add_f32 v[48:49], v[48:49], v[90:91] neg_lo:[0,1] neg_hi:[0,1]
	s_wait_dscnt 0x0
	v_pk_mul_f32 v[90:91], v[86:87], v[78:79] op_sel:[0,1]
	s_delay_alu instid0(VALU_DEP_1) | instskip(SKIP_1) | instid1(VALU_DEP_1)
	v_pk_fma_f32 v[92:93], v[86:87], v[76:77], v[90:91] op_sel:[0,0,1] op_sel_hi:[1,1,0] neg_lo:[0,0,1] neg_hi:[0,0,1]
	v_pk_fma_f32 v[86:87], v[86:87], v[76:77], v[90:91] op_sel:[0,0,1] op_sel_hi:[1,0,0]
	v_mov_b32_e32 v93, v87
	v_pk_mul_f32 v[86:87], v[88:89], v[78:79] op_sel:[0,1]
	s_delay_alu instid0(VALU_DEP_1) | instskip(SKIP_1) | instid1(VALU_DEP_1)
	v_pk_fma_f32 v[90:91], v[88:89], v[76:77], v[86:87] op_sel:[0,0,1] op_sel_hi:[1,1,0] neg_lo:[0,0,1] neg_hi:[0,0,1]
	v_pk_fma_f32 v[86:87], v[88:89], v[76:77], v[86:87] op_sel:[0,0,1] op_sel_hi:[1,0,0]
	v_mov_b32_e32 v91, v87
	ds_load_2addr_b64 v[86:89], v80 offset0:20 offset1:21
	v_pk_add_f32 v[24:25], v[24:25], v[92:93] neg_lo:[0,1] neg_hi:[0,1]
	v_pk_add_f32 v[22:23], v[22:23], v[90:91] neg_lo:[0,1] neg_hi:[0,1]
	s_wait_dscnt 0x0
	v_pk_mul_f32 v[90:91], v[86:87], v[78:79] op_sel:[0,1]
	s_delay_alu instid0(VALU_DEP_1) | instskip(SKIP_1) | instid1(VALU_DEP_1)
	v_pk_fma_f32 v[92:93], v[86:87], v[76:77], v[90:91] op_sel:[0,0,1] op_sel_hi:[1,1,0] neg_lo:[0,0,1] neg_hi:[0,0,1]
	v_pk_fma_f32 v[86:87], v[86:87], v[76:77], v[90:91] op_sel:[0,0,1] op_sel_hi:[1,0,0]
	v_mov_b32_e32 v93, v87
	v_pk_mul_f32 v[86:87], v[88:89], v[78:79] op_sel:[0,1]
	s_delay_alu instid0(VALU_DEP_1) | instskip(SKIP_1) | instid1(VALU_DEP_1)
	v_pk_fma_f32 v[90:91], v[88:89], v[76:77], v[86:87] op_sel:[0,0,1] op_sel_hi:[1,1,0] neg_lo:[0,0,1] neg_hi:[0,0,1]
	v_pk_fma_f32 v[86:87], v[88:89], v[76:77], v[86:87] op_sel:[0,0,1] op_sel_hi:[1,0,0]
	v_mov_b32_e32 v91, v87
	ds_load_2addr_b64 v[86:89], v80 offset0:22 offset1:23
	v_pk_add_f32 v[60:61], v[60:61], v[92:93] neg_lo:[0,1] neg_hi:[0,1]
	v_pk_add_f32 v[58:59], v[58:59], v[90:91] neg_lo:[0,1] neg_hi:[0,1]
	s_wait_dscnt 0x0
	v_dual_mul_f32 v90, v87, v79 :: v_dual_mul_f32 v92, v87, v76
	s_delay_alu instid0(VALU_DEP_1) | instskip(NEXT) | instid1(VALU_DEP_2)
	v_pk_fma_f32 v[90:91], v[86:87], v[34:35], v[90:91] op_sel_hi:[1,1,0] neg_lo:[0,0,1] neg_hi:[0,0,1]
	v_pk_fma_f32 v[86:87], v[86:87], v[34:35], v[92:93] op_sel:[1,0,0] op_sel_hi:[0,1,0]
	s_delay_alu instid0(VALU_DEP_1) | instskip(SKIP_1) | instid1(VALU_DEP_2)
	v_mov_b32_e32 v91, v87
	v_pk_mul_f32 v[86:87], v[88:89], v[78:79] op_sel:[0,1]
	v_pk_add_f32 v[32:33], v[32:33], v[90:91] neg_lo:[0,1] neg_hi:[0,1]
	s_delay_alu instid0(VALU_DEP_2) | instskip(SKIP_1) | instid1(VALU_DEP_1)
	v_pk_fma_f32 v[90:91], v[88:89], v[76:77], v[86:87] op_sel:[0,0,1] op_sel_hi:[1,1,0] neg_lo:[0,0,1] neg_hi:[0,0,1]
	v_pk_fma_f32 v[86:87], v[88:89], v[76:77], v[86:87] op_sel:[0,0,1] op_sel_hi:[1,0,0]
	v_mov_b32_e32 v91, v87
	ds_load_2addr_b64 v[86:89], v80 offset0:24 offset1:25
	v_pk_add_f32 v[30:31], v[30:31], v[90:91] neg_lo:[0,1] neg_hi:[0,1]
	s_wait_dscnt 0x0
	v_pk_mul_f32 v[90:91], v[86:87], v[78:79] op_sel:[0,1]
	s_delay_alu instid0(VALU_DEP_1) | instskip(SKIP_1) | instid1(VALU_DEP_1)
	v_pk_fma_f32 v[92:93], v[86:87], v[76:77], v[90:91] op_sel:[0,0,1] op_sel_hi:[1,1,0] neg_lo:[0,0,1] neg_hi:[0,0,1]
	v_pk_fma_f32 v[86:87], v[86:87], v[76:77], v[90:91] op_sel:[0,0,1] op_sel_hi:[1,0,0]
	v_mov_b32_e32 v93, v87
	v_pk_mul_f32 v[86:87], v[88:89], v[78:79] op_sel:[0,1]
	s_delay_alu instid0(VALU_DEP_2) | instskip(NEXT) | instid1(VALU_DEP_2)
	v_pk_add_f32 v[68:69], v[68:69], v[92:93] neg_lo:[0,1] neg_hi:[0,1]
	v_pk_fma_f32 v[90:91], v[88:89], v[76:77], v[86:87] op_sel:[0,0,1] op_sel_hi:[1,1,0] neg_lo:[0,0,1] neg_hi:[0,0,1]
	v_pk_fma_f32 v[86:87], v[88:89], v[76:77], v[86:87] op_sel:[0,0,1] op_sel_hi:[1,0,0]
	s_delay_alu instid0(VALU_DEP_1) | instskip(SKIP_4) | instid1(VALU_DEP_1)
	v_mov_b32_e32 v91, v87
	ds_load_2addr_b64 v[86:89], v80 offset0:26 offset1:27
	v_pk_add_f32 v[66:67], v[66:67], v[90:91] neg_lo:[0,1] neg_hi:[0,1]
	s_wait_dscnt 0x0
	v_pk_mul_f32 v[90:91], v[86:87], v[78:79] op_sel:[0,1]
	v_pk_fma_f32 v[92:93], v[86:87], v[76:77], v[90:91] op_sel:[0,0,1] op_sel_hi:[1,1,0] neg_lo:[0,0,1] neg_hi:[0,0,1]
	v_pk_fma_f32 v[86:87], v[86:87], v[76:77], v[90:91] op_sel:[0,0,1] op_sel_hi:[1,0,0]
	v_dual_mul_f32 v90, v89, v79 :: v_dual_mov_b32 v86, v89
	s_delay_alu instid0(VALU_DEP_2) | instskip(NEXT) | instid1(VALU_DEP_2)
	v_dual_mov_b32 v93, v87 :: v_dual_mov_b32 v87, v88
	v_pk_fma_f32 v[90:91], v[88:89], v[34:35], v[90:91] op_sel_hi:[1,1,0] neg_lo:[0,0,1] neg_hi:[0,0,1]
	v_mul_f32_e32 v88, v89, v76
	s_delay_alu instid0(VALU_DEP_3) | instskip(NEXT) | instid1(VALU_DEP_2)
	v_pk_add_f32 v[42:43], v[42:43], v[92:93] neg_lo:[0,1] neg_hi:[0,1]
	v_pk_fma_f32 v[86:87], v[86:87], v[34:35], v[88:89] op_sel_hi:[1,1,0]
	s_delay_alu instid0(VALU_DEP_1) | instskip(SKIP_4) | instid1(VALU_DEP_1)
	v_mov_b32_e32 v91, v87
	ds_load_2addr_b64 v[86:89], v80 offset0:28 offset1:29
	v_pk_add_f32 v[40:41], v[40:41], v[90:91] neg_lo:[0,1] neg_hi:[0,1]
	s_wait_dscnt 0x0
	v_pk_mul_f32 v[90:91], v[86:87], v[78:79] op_sel:[0,1]
	v_pk_fma_f32 v[92:93], v[86:87], v[76:77], v[90:91] op_sel:[0,0,1] op_sel_hi:[1,1,0] neg_lo:[0,0,1] neg_hi:[0,0,1]
	v_pk_fma_f32 v[86:87], v[86:87], v[76:77], v[90:91] op_sel:[0,0,1] op_sel_hi:[1,0,0]
	s_delay_alu instid0(VALU_DEP_1) | instskip(SKIP_1) | instid1(VALU_DEP_1)
	v_mov_b32_e32 v93, v87
	v_pk_mul_f32 v[86:87], v[88:89], v[78:79] op_sel:[0,1]
	v_pk_fma_f32 v[90:91], v[88:89], v[76:77], v[86:87] op_sel:[0,0,1] op_sel_hi:[1,1,0] neg_lo:[0,0,1] neg_hi:[0,0,1]
	v_pk_fma_f32 v[86:87], v[88:89], v[76:77], v[86:87] op_sel:[0,0,1] op_sel_hi:[1,0,0]
	s_delay_alu instid0(VALU_DEP_1)
	v_mov_b32_e32 v91, v87
	ds_load_2addr_b64 v[86:89], v80 offset0:30 offset1:31
	v_pk_add_f32 v[64:65], v[64:65], v[92:93] neg_lo:[0,1] neg_hi:[0,1]
	v_pk_add_f32 v[62:63], v[62:63], v[90:91] neg_lo:[0,1] neg_hi:[0,1]
	s_wait_dscnt 0x0
	v_pk_mul_f32 v[90:91], v[86:87], v[78:79] op_sel:[0,1]
	s_delay_alu instid0(VALU_DEP_1) | instskip(SKIP_1) | instid1(VALU_DEP_1)
	v_pk_fma_f32 v[92:93], v[86:87], v[76:77], v[90:91] op_sel:[0,0,1] op_sel_hi:[1,1,0] neg_lo:[0,0,1] neg_hi:[0,0,1]
	v_pk_fma_f32 v[86:87], v[86:87], v[76:77], v[90:91] op_sel:[0,0,1] op_sel_hi:[1,0,0]
	v_mov_b32_e32 v93, v87
	v_pk_mul_f32 v[86:87], v[88:89], v[78:79] op_sel:[0,1]
	s_delay_alu instid0(VALU_DEP_1) | instskip(SKIP_1) | instid1(VALU_DEP_1)
	v_pk_fma_f32 v[90:91], v[88:89], v[76:77], v[86:87] op_sel:[0,0,1] op_sel_hi:[1,1,0] neg_lo:[0,0,1] neg_hi:[0,0,1]
	v_pk_fma_f32 v[86:87], v[88:89], v[76:77], v[86:87] op_sel:[0,0,1] op_sel_hi:[1,0,0]
	v_mov_b32_e32 v91, v87
	ds_load_2addr_b64 v[86:89], v80 offset0:32 offset1:33
	v_pk_add_f32 v[46:47], v[46:47], v[92:93] neg_lo:[0,1] neg_hi:[0,1]
	v_pk_add_f32 v[44:45], v[44:45], v[90:91] neg_lo:[0,1] neg_hi:[0,1]
	s_wait_dscnt 0x0
	v_dual_mul_f32 v90, v87, v79 :: v_dual_mul_f32 v92, v87, v76
	s_delay_alu instid0(VALU_DEP_1) | instskip(NEXT) | instid1(VALU_DEP_2)
	v_pk_fma_f32 v[90:91], v[86:87], v[34:35], v[90:91] op_sel_hi:[1,1,0] neg_lo:[0,0,1] neg_hi:[0,0,1]
	v_pk_fma_f32 v[86:87], v[86:87], v[34:35], v[92:93] op_sel:[1,0,0] op_sel_hi:[0,1,0]
	s_delay_alu instid0(VALU_DEP_1) | instskip(SKIP_1) | instid1(VALU_DEP_2)
	v_mov_b32_e32 v91, v87
	v_pk_mul_f32 v[86:87], v[88:89], v[78:79] op_sel:[0,1]
	v_pk_add_f32 v[54:55], v[54:55], v[90:91] neg_lo:[0,1] neg_hi:[0,1]
	s_delay_alu instid0(VALU_DEP_2) | instskip(SKIP_1) | instid1(VALU_DEP_1)
	v_pk_fma_f32 v[90:91], v[88:89], v[76:77], v[86:87] op_sel:[0,0,1] op_sel_hi:[1,1,0] neg_lo:[0,0,1] neg_hi:[0,0,1]
	v_pk_fma_f32 v[86:87], v[88:89], v[76:77], v[86:87] op_sel:[0,0,1] op_sel_hi:[1,0,0]
	v_mov_b32_e32 v91, v87
	ds_load_b64 v[86:87], v80 offset:272
	v_pk_add_f32 v[52:53], v[52:53], v[90:91] neg_lo:[0,1] neg_hi:[0,1]
	s_wait_dscnt 0x0
	v_pk_mul_f32 v[78:79], v[86:87], v[78:79] op_sel:[0,1]
	s_delay_alu instid0(VALU_DEP_1) | instskip(SKIP_1) | instid1(VALU_DEP_1)
	v_pk_fma_f32 v[88:89], v[86:87], v[76:77], v[78:79] op_sel:[0,0,1] op_sel_hi:[1,1,0] neg_lo:[0,0,1] neg_hi:[0,0,1]
	v_pk_fma_f32 v[76:77], v[86:87], v[76:77], v[78:79] op_sel:[0,0,1] op_sel_hi:[1,0,0]
	v_mov_b32_e32 v89, v77
	s_delay_alu instid0(VALU_DEP_1)
	v_pk_add_f32 v[74:75], v[74:75], v[88:89] neg_lo:[0,1] neg_hi:[0,1]
.LBB68_293:
	s_or_b32 exec_lo, exec_lo, s0
	v_lshl_add_u32 v76, v84, 3, v80
	s_barrier_signal -1
	s_barrier_wait -1
	ds_store_b64 v76, v[16:17]
	s_wait_dscnt 0x0
	s_barrier_signal -1
	s_barrier_wait -1
	ds_load_b64 v[78:79], v80 offset:112
	v_mov_b32_e32 v76, 14
	s_cmp_lt_i32 s14, 16
	s_cbranch_scc1 .LBB68_296
; %bb.294:
	v_add3_u32 v77, v81, 0, 0x78
	v_mov_b32_e32 v76, 14
	s_mov_b32 s0, 15
.LBB68_295:                             ; =>This Inner Loop Header: Depth=1
	ds_load_b64 v[86:87], v77
	s_wait_dscnt 0x1
	v_cmp_gt_f32_e32 vcc_lo, 0, v78
	v_cndmask_b32_e64 v88, v78, -v78, vcc_lo
	v_cmp_gt_f32_e32 vcc_lo, 0, v79
	v_cndmask_b32_e64 v90, v79, -v79, vcc_lo
	s_wait_dscnt 0x0
	v_cmp_gt_f32_e32 vcc_lo, 0, v86
	v_cndmask_b32_e64 v89, v86, -v86, vcc_lo
	v_cmp_gt_f32_e32 vcc_lo, 0, v87
	v_cndmask_b32_e64 v91, v87, -v87, vcc_lo
	s_delay_alu instid0(VALU_DEP_1) | instskip(NEXT) | instid1(VALU_DEP_1)
	v_pk_add_f32 v[88:89], v[88:89], v[90:91]
	v_cmp_lt_f32_e32 vcc_lo, v88, v89
	v_dual_add_nc_u32 v77, 8, v77 :: v_dual_cndmask_b32 v79, v79, v87, vcc_lo
	v_cndmask_b32_e32 v78, v78, v86, vcc_lo
	v_cndmask_b32_e64 v76, v76, s0, vcc_lo
	s_add_co_i32 s0, s0, 1
	s_delay_alu instid0(SALU_CYCLE_1)
	s_cmp_lg_u32 s14, s0
	s_cbranch_scc1 .LBB68_295
.LBB68_296:
	s_wait_dscnt 0x0
	v_cmp_eq_f32_e32 vcc_lo, 0, v78
	v_cmp_eq_f32_e64 s0, 0, v79
	s_and_b32 s0, vcc_lo, s0
	s_delay_alu instid0(SALU_CYCLE_1) | instskip(NEXT) | instid1(SALU_CYCLE_1)
	s_and_saveexec_b32 s1, s0
	s_xor_b32 s0, exec_lo, s1
; %bb.297:
	v_cmp_ne_u32_e32 vcc_lo, 0, v82
	v_cndmask_b32_e32 v82, 15, v82, vcc_lo
; %bb.298:
	s_and_not1_saveexec_b32 s0, s0
	s_cbranch_execz .LBB68_304
; %bb.299:
	v_cmp_ngt_f32_e64 s1, |v78|, |v79|
	s_and_saveexec_b32 s15, s1
	s_delay_alu instid0(SALU_CYCLE_1)
	s_xor_b32 s1, exec_lo, s15
	s_cbranch_execz .LBB68_301
; %bb.300:
	v_div_scale_f32 v77, null, v79, v79, v78
	v_div_scale_f32 v87, vcc_lo, v78, v79, v78
	s_delay_alu instid0(VALU_DEP_2) | instskip(SKIP_1) | instid1(TRANS32_DEP_1)
	v_rcp_f32_e32 v85, v77
	v_nop
	v_fma_f32 v86, -v77, v85, 1.0
	s_delay_alu instid0(VALU_DEP_1) | instskip(NEXT) | instid1(VALU_DEP_1)
	v_fmac_f32_e32 v85, v86, v85
	v_mul_f32_e32 v86, v87, v85
	s_delay_alu instid0(VALU_DEP_1) | instskip(NEXT) | instid1(VALU_DEP_1)
	v_fma_f32 v88, -v77, v86, v87
	v_fmac_f32_e32 v86, v88, v85
	s_delay_alu instid0(VALU_DEP_1) | instskip(NEXT) | instid1(VALU_DEP_1)
	v_fma_f32 v77, -v77, v86, v87
	v_div_fmas_f32 v77, v77, v85, v86
	s_delay_alu instid0(VALU_DEP_1) | instskip(NEXT) | instid1(VALU_DEP_1)
	v_div_fixup_f32 v77, v77, v79, v78
	v_fmac_f32_e32 v79, v78, v77
	s_delay_alu instid0(VALU_DEP_1) | instskip(SKIP_1) | instid1(VALU_DEP_2)
	v_div_scale_f32 v78, null, v79, v79, 1.0
	v_div_scale_f32 v87, vcc_lo, 1.0, v79, 1.0
	v_rcp_f32_e32 v85, v78
	v_nop
	s_delay_alu instid0(TRANS32_DEP_1) | instskip(NEXT) | instid1(VALU_DEP_1)
	v_fma_f32 v86, -v78, v85, 1.0
	v_fmac_f32_e32 v85, v86, v85
	s_delay_alu instid0(VALU_DEP_1) | instskip(NEXT) | instid1(VALU_DEP_1)
	v_mul_f32_e32 v86, v87, v85
	v_fma_f32 v88, -v78, v86, v87
	s_delay_alu instid0(VALU_DEP_1) | instskip(NEXT) | instid1(VALU_DEP_1)
	v_fmac_f32_e32 v86, v88, v85
	v_fma_f32 v78, -v78, v86, v87
	s_delay_alu instid0(VALU_DEP_1) | instskip(NEXT) | instid1(VALU_DEP_1)
	v_div_fmas_f32 v78, v78, v85, v86
	v_div_fixup_f32 v79, v78, v79, 1.0
	s_delay_alu instid0(VALU_DEP_1)
	v_mul_f32_e32 v78, v77, v79
	v_xor_b32_e32 v79, 0x80000000, v79
.LBB68_301:
	s_and_not1_saveexec_b32 s1, s1
	s_cbranch_execz .LBB68_303
; %bb.302:
	s_delay_alu instid0(VALU_DEP_1) | instskip(SKIP_1) | instid1(VALU_DEP_2)
	v_div_scale_f32 v77, null, v78, v78, v79
	v_div_scale_f32 v87, vcc_lo, v79, v78, v79
	v_rcp_f32_e32 v85, v77
	v_nop
	s_delay_alu instid0(TRANS32_DEP_1) | instskip(NEXT) | instid1(VALU_DEP_1)
	v_fma_f32 v86, -v77, v85, 1.0
	v_fmac_f32_e32 v85, v86, v85
	s_delay_alu instid0(VALU_DEP_1) | instskip(NEXT) | instid1(VALU_DEP_1)
	v_mul_f32_e32 v86, v87, v85
	v_fma_f32 v88, -v77, v86, v87
	s_delay_alu instid0(VALU_DEP_1) | instskip(NEXT) | instid1(VALU_DEP_1)
	v_fmac_f32_e32 v86, v88, v85
	v_fma_f32 v77, -v77, v86, v87
	s_delay_alu instid0(VALU_DEP_1) | instskip(NEXT) | instid1(VALU_DEP_1)
	v_div_fmas_f32 v77, v77, v85, v86
	v_div_fixup_f32 v77, v77, v78, v79
	s_delay_alu instid0(VALU_DEP_1) | instskip(NEXT) | instid1(VALU_DEP_1)
	v_fmac_f32_e32 v78, v79, v77
	v_div_scale_f32 v79, null, v78, v78, 1.0
	s_delay_alu instid0(VALU_DEP_1) | instskip(SKIP_1) | instid1(TRANS32_DEP_1)
	v_rcp_f32_e32 v85, v79
	v_nop
	v_fma_f32 v86, -v79, v85, 1.0
	s_delay_alu instid0(VALU_DEP_1) | instskip(SKIP_1) | instid1(VALU_DEP_1)
	v_fmac_f32_e32 v85, v86, v85
	v_div_scale_f32 v86, vcc_lo, 1.0, v78, 1.0
	v_mul_f32_e32 v87, v86, v85
	s_delay_alu instid0(VALU_DEP_1) | instskip(NEXT) | instid1(VALU_DEP_1)
	v_fma_f32 v88, -v79, v87, v86
	v_fmac_f32_e32 v87, v88, v85
	s_delay_alu instid0(VALU_DEP_1) | instskip(NEXT) | instid1(VALU_DEP_1)
	v_fma_f32 v79, -v79, v87, v86
	v_div_fmas_f32 v79, v79, v85, v87
	s_delay_alu instid0(VALU_DEP_1) | instskip(NEXT) | instid1(VALU_DEP_1)
	v_div_fixup_f32 v78, v79, v78, 1.0
	v_mul_f32_e64 v79, v77, -v78
.LBB68_303:
	s_or_b32 exec_lo, exec_lo, s1
.LBB68_304:
	s_delay_alu instid0(SALU_CYCLE_1) | instskip(NEXT) | instid1(SALU_CYCLE_1)
	s_or_b32 exec_lo, exec_lo, s0
	s_mov_b32 s0, exec_lo
	v_cmpx_ne_u32_e64 v84, v76
	s_xor_b32 s0, exec_lo, s0
	s_cbranch_execz .LBB68_310
; %bb.305:
	s_mov_b32 s1, exec_lo
	v_cmpx_eq_u32_e32 14, v84
	s_cbranch_execz .LBB68_309
; %bb.306:
	v_cmp_ne_u32_e32 vcc_lo, 14, v76
	s_xor_b32 s15, s12, -1
	s_delay_alu instid0(SALU_CYCLE_1) | instskip(NEXT) | instid1(SALU_CYCLE_1)
	s_and_b32 s16, s15, vcc_lo
	s_and_saveexec_b32 s15, s16
	s_cbranch_execz .LBB68_308
; %bb.307:
	v_ashrrev_i32_e32 v77, 31, v76
	s_delay_alu instid0(VALU_DEP_1)
	v_lshl_add_u64 v[84:85], v[76:77], 2, v[4:5]
	s_clause 0x1
	global_load_b32 v77, v[84:85], off
	global_load_b32 v83, v[4:5], off offset:56
	s_wait_loadcnt 0x1
	global_store_b32 v[4:5], v77, off offset:56
	s_wait_loadcnt 0x0
	global_store_b32 v[84:85], v83, off
.LBB68_308:
	s_wait_xcnt 0x0
	s_or_b32 exec_lo, exec_lo, s15
	v_dual_mov_b32 v84, v76 :: v_dual_mov_b32 v83, v76
.LBB68_309:
	s_or_b32 exec_lo, exec_lo, s1
.LBB68_310:
	s_and_not1_saveexec_b32 s0, s0
	s_cbranch_execz .LBB68_312
; %bb.311:
	v_mov_b32_e32 v84, 14
	ds_store_2addr_b64 v80, v[14:15], v[50:51] offset0:15 offset1:16
	ds_store_2addr_b64 v80, v[48:49], v[24:25] offset0:17 offset1:18
	;; [unrolled: 1-line block ×10, first 2 shown]
.LBB68_312:
	s_or_b32 exec_lo, exec_lo, s0
	s_delay_alu instid0(SALU_CYCLE_1)
	s_mov_b32 s0, exec_lo
	s_wait_storecnt_dscnt 0x0
	s_barrier_signal -1
	s_barrier_wait -1
	v_cmpx_lt_i32_e32 14, v84
	s_cbranch_execz .LBB68_314
; %bb.313:
	v_pk_mul_f32 v[86:87], v[78:79], v[16:17] op_sel:[1,1] op_sel_hi:[0,1]
	s_delay_alu instid0(VALU_DEP_1)
	v_pk_fma_f32 v[76:77], v[78:79], v[16:17], v[86:87] op_sel_hi:[1,0,1] neg_lo:[0,0,1] neg_hi:[0,0,1]
	v_pk_fma_f32 v[78:79], v[78:79], v[16:17], v[86:87] op_sel_hi:[1,0,1]
	ds_load_2addr_b64 v[86:89], v80 offset0:15 offset1:16
	v_dual_mov_b32 v16, v76 :: v_dual_mov_b32 v17, v79
	s_wait_dscnt 0x0
	v_pk_mul_f32 v[90:91], v[86:87], v[78:79] op_sel:[0,1]
	s_delay_alu instid0(VALU_DEP_1) | instskip(SKIP_1) | instid1(VALU_DEP_1)
	v_pk_fma_f32 v[92:93], v[86:87], v[76:77], v[90:91] op_sel:[0,0,1] op_sel_hi:[1,1,0] neg_lo:[0,0,1] neg_hi:[0,0,1]
	v_pk_fma_f32 v[86:87], v[86:87], v[76:77], v[90:91] op_sel:[0,0,1] op_sel_hi:[1,0,0]
	v_mov_b32_e32 v93, v87
	v_pk_mul_f32 v[86:87], v[88:89], v[78:79] op_sel:[0,1]
	s_delay_alu instid0(VALU_DEP_1) | instskip(SKIP_1) | instid1(VALU_DEP_1)
	v_pk_fma_f32 v[90:91], v[88:89], v[76:77], v[86:87] op_sel:[0,0,1] op_sel_hi:[1,1,0] neg_lo:[0,0,1] neg_hi:[0,0,1]
	v_pk_fma_f32 v[86:87], v[88:89], v[76:77], v[86:87] op_sel:[0,0,1] op_sel_hi:[1,0,0]
	v_mov_b32_e32 v91, v87
	ds_load_2addr_b64 v[86:89], v80 offset0:17 offset1:18
	v_pk_add_f32 v[14:15], v[14:15], v[92:93] neg_lo:[0,1] neg_hi:[0,1]
	v_pk_add_f32 v[50:51], v[50:51], v[90:91] neg_lo:[0,1] neg_hi:[0,1]
	s_wait_dscnt 0x0
	v_pk_mul_f32 v[90:91], v[86:87], v[78:79] op_sel:[0,1]
	s_delay_alu instid0(VALU_DEP_1) | instskip(SKIP_2) | instid1(VALU_DEP_2)
	v_pk_fma_f32 v[92:93], v[86:87], v[76:77], v[90:91] op_sel:[0,0,1] op_sel_hi:[1,1,0] neg_lo:[0,0,1] neg_hi:[0,0,1]
	v_pk_fma_f32 v[86:87], v[86:87], v[76:77], v[90:91] op_sel:[0,0,1] op_sel_hi:[1,0,0]
	v_dual_mul_f32 v90, v89, v79 :: v_dual_mov_b32 v86, v89
	v_dual_mov_b32 v93, v87 :: v_dual_mov_b32 v87, v88
	s_delay_alu instid0(VALU_DEP_2) | instskip(SKIP_1) | instid1(VALU_DEP_3)
	v_pk_fma_f32 v[90:91], v[88:89], v[16:17], v[90:91] op_sel_hi:[1,1,0] neg_lo:[0,0,1] neg_hi:[0,0,1]
	v_mul_f32_e32 v88, v89, v76
	v_pk_add_f32 v[48:49], v[48:49], v[92:93] neg_lo:[0,1] neg_hi:[0,1]
	s_delay_alu instid0(VALU_DEP_2) | instskip(NEXT) | instid1(VALU_DEP_1)
	v_pk_fma_f32 v[86:87], v[86:87], v[16:17], v[88:89] op_sel_hi:[1,1,0]
	v_mov_b32_e32 v91, v87
	ds_load_2addr_b64 v[86:89], v80 offset0:19 offset1:20
	v_pk_add_f32 v[24:25], v[24:25], v[90:91] neg_lo:[0,1] neg_hi:[0,1]
	s_wait_dscnt 0x0
	v_pk_mul_f32 v[90:91], v[86:87], v[78:79] op_sel:[0,1]
	s_delay_alu instid0(VALU_DEP_1) | instskip(SKIP_1) | instid1(VALU_DEP_1)
	v_pk_fma_f32 v[92:93], v[86:87], v[76:77], v[90:91] op_sel:[0,0,1] op_sel_hi:[1,1,0] neg_lo:[0,0,1] neg_hi:[0,0,1]
	v_pk_fma_f32 v[86:87], v[86:87], v[76:77], v[90:91] op_sel:[0,0,1] op_sel_hi:[1,0,0]
	v_mov_b32_e32 v93, v87
	v_pk_mul_f32 v[86:87], v[88:89], v[78:79] op_sel:[0,1]
	s_delay_alu instid0(VALU_DEP_1) | instskip(SKIP_1) | instid1(VALU_DEP_1)
	v_pk_fma_f32 v[90:91], v[88:89], v[76:77], v[86:87] op_sel:[0,0,1] op_sel_hi:[1,1,0] neg_lo:[0,0,1] neg_hi:[0,0,1]
	v_pk_fma_f32 v[86:87], v[88:89], v[76:77], v[86:87] op_sel:[0,0,1] op_sel_hi:[1,0,0]
	v_mov_b32_e32 v91, v87
	ds_load_2addr_b64 v[86:89], v80 offset0:21 offset1:22
	v_pk_add_f32 v[22:23], v[22:23], v[92:93] neg_lo:[0,1] neg_hi:[0,1]
	v_pk_add_f32 v[60:61], v[60:61], v[90:91] neg_lo:[0,1] neg_hi:[0,1]
	s_wait_dscnt 0x0
	v_pk_mul_f32 v[90:91], v[86:87], v[78:79] op_sel:[0,1]
	s_delay_alu instid0(VALU_DEP_1) | instskip(SKIP_1) | instid1(VALU_DEP_1)
	v_pk_fma_f32 v[92:93], v[86:87], v[76:77], v[90:91] op_sel:[0,0,1] op_sel_hi:[1,1,0] neg_lo:[0,0,1] neg_hi:[0,0,1]
	v_pk_fma_f32 v[86:87], v[86:87], v[76:77], v[90:91] op_sel:[0,0,1] op_sel_hi:[1,0,0]
	v_mov_b32_e32 v93, v87
	v_pk_mul_f32 v[86:87], v[88:89], v[78:79] op_sel:[0,1]
	s_delay_alu instid0(VALU_DEP_1) | instskip(SKIP_1) | instid1(VALU_DEP_1)
	v_pk_fma_f32 v[90:91], v[88:89], v[76:77], v[86:87] op_sel:[0,0,1] op_sel_hi:[1,1,0] neg_lo:[0,0,1] neg_hi:[0,0,1]
	v_pk_fma_f32 v[86:87], v[88:89], v[76:77], v[86:87] op_sel:[0,0,1] op_sel_hi:[1,0,0]
	v_mov_b32_e32 v91, v87
	ds_load_2addr_b64 v[86:89], v80 offset0:23 offset1:24
	v_pk_add_f32 v[58:59], v[58:59], v[92:93] neg_lo:[0,1] neg_hi:[0,1]
	v_pk_add_f32 v[32:33], v[32:33], v[90:91] neg_lo:[0,1] neg_hi:[0,1]
	s_wait_dscnt 0x0
	v_dual_mul_f32 v90, v87, v79 :: v_dual_mul_f32 v92, v87, v76
	s_delay_alu instid0(VALU_DEP_1) | instskip(NEXT) | instid1(VALU_DEP_2)
	v_pk_fma_f32 v[90:91], v[86:87], v[16:17], v[90:91] op_sel_hi:[1,1,0] neg_lo:[0,0,1] neg_hi:[0,0,1]
	v_pk_fma_f32 v[86:87], v[86:87], v[16:17], v[92:93] op_sel:[1,0,0] op_sel_hi:[0,1,0]
	s_delay_alu instid0(VALU_DEP_1) | instskip(SKIP_1) | instid1(VALU_DEP_2)
	v_mov_b32_e32 v91, v87
	v_pk_mul_f32 v[86:87], v[88:89], v[78:79] op_sel:[0,1]
	v_pk_add_f32 v[30:31], v[30:31], v[90:91] neg_lo:[0,1] neg_hi:[0,1]
	s_delay_alu instid0(VALU_DEP_2) | instskip(SKIP_1) | instid1(VALU_DEP_1)
	v_pk_fma_f32 v[90:91], v[88:89], v[76:77], v[86:87] op_sel:[0,0,1] op_sel_hi:[1,1,0] neg_lo:[0,0,1] neg_hi:[0,0,1]
	v_pk_fma_f32 v[86:87], v[88:89], v[76:77], v[86:87] op_sel:[0,0,1] op_sel_hi:[1,0,0]
	v_mov_b32_e32 v91, v87
	ds_load_2addr_b64 v[86:89], v80 offset0:25 offset1:26
	v_pk_add_f32 v[68:69], v[68:69], v[90:91] neg_lo:[0,1] neg_hi:[0,1]
	s_wait_dscnt 0x0
	v_pk_mul_f32 v[90:91], v[86:87], v[78:79] op_sel:[0,1]
	s_delay_alu instid0(VALU_DEP_1) | instskip(SKIP_1) | instid1(VALU_DEP_1)
	v_pk_fma_f32 v[92:93], v[86:87], v[76:77], v[90:91] op_sel:[0,0,1] op_sel_hi:[1,1,0] neg_lo:[0,0,1] neg_hi:[0,0,1]
	v_pk_fma_f32 v[86:87], v[86:87], v[76:77], v[90:91] op_sel:[0,0,1] op_sel_hi:[1,0,0]
	v_mov_b32_e32 v93, v87
	v_pk_mul_f32 v[86:87], v[88:89], v[78:79] op_sel:[0,1]
	s_delay_alu instid0(VALU_DEP_2) | instskip(NEXT) | instid1(VALU_DEP_2)
	v_pk_add_f32 v[66:67], v[66:67], v[92:93] neg_lo:[0,1] neg_hi:[0,1]
	v_pk_fma_f32 v[90:91], v[88:89], v[76:77], v[86:87] op_sel:[0,0,1] op_sel_hi:[1,1,0] neg_lo:[0,0,1] neg_hi:[0,0,1]
	v_pk_fma_f32 v[86:87], v[88:89], v[76:77], v[86:87] op_sel:[0,0,1] op_sel_hi:[1,0,0]
	s_delay_alu instid0(VALU_DEP_1) | instskip(SKIP_4) | instid1(VALU_DEP_1)
	v_mov_b32_e32 v91, v87
	ds_load_2addr_b64 v[86:89], v80 offset0:27 offset1:28
	v_pk_add_f32 v[42:43], v[42:43], v[90:91] neg_lo:[0,1] neg_hi:[0,1]
	s_wait_dscnt 0x0
	v_pk_mul_f32 v[90:91], v[86:87], v[78:79] op_sel:[0,1]
	v_pk_fma_f32 v[92:93], v[86:87], v[76:77], v[90:91] op_sel:[0,0,1] op_sel_hi:[1,1,0] neg_lo:[0,0,1] neg_hi:[0,0,1]
	v_pk_fma_f32 v[86:87], v[86:87], v[76:77], v[90:91] op_sel:[0,0,1] op_sel_hi:[1,0,0]
	v_dual_mul_f32 v90, v89, v79 :: v_dual_mov_b32 v86, v89
	s_delay_alu instid0(VALU_DEP_2) | instskip(NEXT) | instid1(VALU_DEP_2)
	v_dual_mov_b32 v93, v87 :: v_dual_mov_b32 v87, v88
	v_pk_fma_f32 v[90:91], v[88:89], v[16:17], v[90:91] op_sel_hi:[1,1,0] neg_lo:[0,0,1] neg_hi:[0,0,1]
	v_mul_f32_e32 v88, v89, v76
	s_delay_alu instid0(VALU_DEP_3) | instskip(NEXT) | instid1(VALU_DEP_2)
	v_pk_add_f32 v[40:41], v[40:41], v[92:93] neg_lo:[0,1] neg_hi:[0,1]
	v_pk_fma_f32 v[86:87], v[86:87], v[16:17], v[88:89] op_sel_hi:[1,1,0]
	s_delay_alu instid0(VALU_DEP_1) | instskip(SKIP_4) | instid1(VALU_DEP_1)
	v_mov_b32_e32 v91, v87
	ds_load_2addr_b64 v[86:89], v80 offset0:29 offset1:30
	v_pk_add_f32 v[64:65], v[64:65], v[90:91] neg_lo:[0,1] neg_hi:[0,1]
	s_wait_dscnt 0x0
	v_pk_mul_f32 v[90:91], v[86:87], v[78:79] op_sel:[0,1]
	v_pk_fma_f32 v[92:93], v[86:87], v[76:77], v[90:91] op_sel:[0,0,1] op_sel_hi:[1,1,0] neg_lo:[0,0,1] neg_hi:[0,0,1]
	v_pk_fma_f32 v[86:87], v[86:87], v[76:77], v[90:91] op_sel:[0,0,1] op_sel_hi:[1,0,0]
	s_delay_alu instid0(VALU_DEP_1) | instskip(SKIP_1) | instid1(VALU_DEP_1)
	v_mov_b32_e32 v93, v87
	v_pk_mul_f32 v[86:87], v[88:89], v[78:79] op_sel:[0,1]
	v_pk_fma_f32 v[90:91], v[88:89], v[76:77], v[86:87] op_sel:[0,0,1] op_sel_hi:[1,1,0] neg_lo:[0,0,1] neg_hi:[0,0,1]
	v_pk_fma_f32 v[86:87], v[88:89], v[76:77], v[86:87] op_sel:[0,0,1] op_sel_hi:[1,0,0]
	s_delay_alu instid0(VALU_DEP_1)
	v_mov_b32_e32 v91, v87
	ds_load_2addr_b64 v[86:89], v80 offset0:31 offset1:32
	v_pk_add_f32 v[62:63], v[62:63], v[92:93] neg_lo:[0,1] neg_hi:[0,1]
	v_pk_add_f32 v[46:47], v[46:47], v[90:91] neg_lo:[0,1] neg_hi:[0,1]
	s_wait_dscnt 0x0
	v_pk_mul_f32 v[90:91], v[86:87], v[78:79] op_sel:[0,1]
	s_delay_alu instid0(VALU_DEP_1) | instskip(SKIP_1) | instid1(VALU_DEP_1)
	v_pk_fma_f32 v[92:93], v[86:87], v[76:77], v[90:91] op_sel:[0,0,1] op_sel_hi:[1,1,0] neg_lo:[0,0,1] neg_hi:[0,0,1]
	v_pk_fma_f32 v[86:87], v[86:87], v[76:77], v[90:91] op_sel:[0,0,1] op_sel_hi:[1,0,0]
	v_mov_b32_e32 v93, v87
	v_pk_mul_f32 v[86:87], v[88:89], v[78:79] op_sel:[0,1]
	s_delay_alu instid0(VALU_DEP_1) | instskip(SKIP_1) | instid1(VALU_DEP_1)
	v_pk_fma_f32 v[90:91], v[88:89], v[76:77], v[86:87] op_sel:[0,0,1] op_sel_hi:[1,1,0] neg_lo:[0,0,1] neg_hi:[0,0,1]
	v_pk_fma_f32 v[86:87], v[88:89], v[76:77], v[86:87] op_sel:[0,0,1] op_sel_hi:[1,0,0]
	v_mov_b32_e32 v91, v87
	ds_load_2addr_b64 v[86:89], v80 offset0:33 offset1:34
	v_pk_add_f32 v[44:45], v[44:45], v[92:93] neg_lo:[0,1] neg_hi:[0,1]
	v_pk_add_f32 v[54:55], v[54:55], v[90:91] neg_lo:[0,1] neg_hi:[0,1]
	s_wait_dscnt 0x0
	v_dual_mul_f32 v90, v87, v79 :: v_dual_mul_f32 v92, v87, v76
	v_pk_mul_f32 v[78:79], v[88:89], v[78:79] op_sel:[0,1]
	s_delay_alu instid0(VALU_DEP_2) | instskip(NEXT) | instid1(VALU_DEP_3)
	v_pk_fma_f32 v[90:91], v[86:87], v[16:17], v[90:91] op_sel_hi:[1,1,0] neg_lo:[0,0,1] neg_hi:[0,0,1]
	v_pk_fma_f32 v[86:87], v[86:87], v[16:17], v[92:93] op_sel:[1,0,0] op_sel_hi:[0,1,0]
	s_delay_alu instid0(VALU_DEP_1) | instskip(NEXT) | instid1(VALU_DEP_4)
	v_mov_b32_e32 v91, v87
	v_pk_fma_f32 v[86:87], v[88:89], v[76:77], v[78:79] op_sel:[0,0,1] op_sel_hi:[1,1,0] neg_lo:[0,0,1] neg_hi:[0,0,1]
	v_pk_fma_f32 v[76:77], v[88:89], v[76:77], v[78:79] op_sel:[0,0,1] op_sel_hi:[1,0,0]
	s_delay_alu instid0(VALU_DEP_1) | instskip(NEXT) | instid1(VALU_DEP_4)
	v_mov_b32_e32 v87, v77
	v_pk_add_f32 v[52:53], v[52:53], v[90:91] neg_lo:[0,1] neg_hi:[0,1]
	s_delay_alu instid0(VALU_DEP_2)
	v_pk_add_f32 v[74:75], v[74:75], v[86:87] neg_lo:[0,1] neg_hi:[0,1]
.LBB68_314:
	s_or_b32 exec_lo, exec_lo, s0
	v_lshl_add_u32 v76, v84, 3, v80
	s_barrier_signal -1
	s_barrier_wait -1
	ds_store_b64 v76, v[14:15]
	s_wait_dscnt 0x0
	s_barrier_signal -1
	s_barrier_wait -1
	ds_load_b64 v[76:77], v80 offset:120
	v_mov_b32_e32 v78, 15
	s_cmp_lt_i32 s14, 17
	s_cbranch_scc1 .LBB68_317
; %bb.315:
	v_add3_u32 v79, v81, 0, 0x80
	v_mov_b32_e32 v78, 15
	s_mov_b32 s0, 16
.LBB68_316:                             ; =>This Inner Loop Header: Depth=1
	ds_load_b64 v[86:87], v79
	s_wait_dscnt 0x1
	v_cmp_gt_f32_e32 vcc_lo, 0, v76
	v_cndmask_b32_e64 v88, v76, -v76, vcc_lo
	v_cmp_gt_f32_e32 vcc_lo, 0, v77
	v_cndmask_b32_e64 v90, v77, -v77, vcc_lo
	s_wait_dscnt 0x0
	v_cmp_gt_f32_e32 vcc_lo, 0, v86
	v_cndmask_b32_e64 v89, v86, -v86, vcc_lo
	v_cmp_gt_f32_e32 vcc_lo, 0, v87
	v_cndmask_b32_e64 v91, v87, -v87, vcc_lo
	s_delay_alu instid0(VALU_DEP_1) | instskip(NEXT) | instid1(VALU_DEP_1)
	v_pk_add_f32 v[88:89], v[88:89], v[90:91]
	v_cmp_lt_f32_e32 vcc_lo, v88, v89
	v_dual_cndmask_b32 v76, v76, v86 :: v_dual_add_nc_u32 v79, 8, v79
	v_cndmask_b32_e32 v77, v77, v87, vcc_lo
	v_cndmask_b32_e64 v78, v78, s0, vcc_lo
	s_add_co_i32 s0, s0, 1
	s_delay_alu instid0(SALU_CYCLE_1)
	s_cmp_lg_u32 s14, s0
	s_cbranch_scc1 .LBB68_316
.LBB68_317:
	s_wait_dscnt 0x0
	v_cmp_eq_f32_e32 vcc_lo, 0, v76
	v_cmp_eq_f32_e64 s0, 0, v77
	s_and_b32 s0, vcc_lo, s0
	s_delay_alu instid0(SALU_CYCLE_1) | instskip(NEXT) | instid1(SALU_CYCLE_1)
	s_and_saveexec_b32 s1, s0
	s_xor_b32 s0, exec_lo, s1
; %bb.318:
	v_cmp_ne_u32_e32 vcc_lo, 0, v82
	v_cndmask_b32_e32 v82, 16, v82, vcc_lo
; %bb.319:
	s_and_not1_saveexec_b32 s0, s0
	s_cbranch_execz .LBB68_325
; %bb.320:
	v_cmp_ngt_f32_e64 s1, |v76|, |v77|
	s_and_saveexec_b32 s15, s1
	s_delay_alu instid0(SALU_CYCLE_1)
	s_xor_b32 s1, exec_lo, s15
	s_cbranch_execz .LBB68_322
; %bb.321:
	v_div_scale_f32 v79, null, v77, v77, v76
	v_div_scale_f32 v87, vcc_lo, v76, v77, v76
	s_delay_alu instid0(VALU_DEP_2) | instskip(SKIP_1) | instid1(TRANS32_DEP_1)
	v_rcp_f32_e32 v85, v79
	v_nop
	v_fma_f32 v86, -v79, v85, 1.0
	s_delay_alu instid0(VALU_DEP_1) | instskip(NEXT) | instid1(VALU_DEP_1)
	v_fmac_f32_e32 v85, v86, v85
	v_mul_f32_e32 v86, v87, v85
	s_delay_alu instid0(VALU_DEP_1) | instskip(NEXT) | instid1(VALU_DEP_1)
	v_fma_f32 v88, -v79, v86, v87
	v_fmac_f32_e32 v86, v88, v85
	s_delay_alu instid0(VALU_DEP_1) | instskip(NEXT) | instid1(VALU_DEP_1)
	v_fma_f32 v79, -v79, v86, v87
	v_div_fmas_f32 v79, v79, v85, v86
	s_delay_alu instid0(VALU_DEP_1) | instskip(NEXT) | instid1(VALU_DEP_1)
	v_div_fixup_f32 v79, v79, v77, v76
	v_fmac_f32_e32 v77, v76, v79
	s_delay_alu instid0(VALU_DEP_1) | instskip(SKIP_1) | instid1(VALU_DEP_2)
	v_div_scale_f32 v76, null, v77, v77, 1.0
	v_div_scale_f32 v87, vcc_lo, 1.0, v77, 1.0
	v_rcp_f32_e32 v85, v76
	v_nop
	s_delay_alu instid0(TRANS32_DEP_1) | instskip(NEXT) | instid1(VALU_DEP_1)
	v_fma_f32 v86, -v76, v85, 1.0
	v_fmac_f32_e32 v85, v86, v85
	s_delay_alu instid0(VALU_DEP_1) | instskip(NEXT) | instid1(VALU_DEP_1)
	v_mul_f32_e32 v86, v87, v85
	v_fma_f32 v88, -v76, v86, v87
	s_delay_alu instid0(VALU_DEP_1) | instskip(NEXT) | instid1(VALU_DEP_1)
	v_fmac_f32_e32 v86, v88, v85
	v_fma_f32 v76, -v76, v86, v87
	s_delay_alu instid0(VALU_DEP_1) | instskip(NEXT) | instid1(VALU_DEP_1)
	v_div_fmas_f32 v76, v76, v85, v86
	v_div_fixup_f32 v77, v76, v77, 1.0
	s_delay_alu instid0(VALU_DEP_1)
	v_mul_f32_e32 v76, v79, v77
	v_xor_b32_e32 v77, 0x80000000, v77
.LBB68_322:
	s_and_not1_saveexec_b32 s1, s1
	s_cbranch_execz .LBB68_324
; %bb.323:
	s_delay_alu instid0(VALU_DEP_1) | instskip(SKIP_1) | instid1(VALU_DEP_2)
	v_div_scale_f32 v79, null, v76, v76, v77
	v_div_scale_f32 v87, vcc_lo, v77, v76, v77
	v_rcp_f32_e32 v85, v79
	v_nop
	s_delay_alu instid0(TRANS32_DEP_1) | instskip(NEXT) | instid1(VALU_DEP_1)
	v_fma_f32 v86, -v79, v85, 1.0
	v_fmac_f32_e32 v85, v86, v85
	s_delay_alu instid0(VALU_DEP_1) | instskip(NEXT) | instid1(VALU_DEP_1)
	v_mul_f32_e32 v86, v87, v85
	v_fma_f32 v88, -v79, v86, v87
	s_delay_alu instid0(VALU_DEP_1) | instskip(NEXT) | instid1(VALU_DEP_1)
	v_fmac_f32_e32 v86, v88, v85
	v_fma_f32 v79, -v79, v86, v87
	s_delay_alu instid0(VALU_DEP_1) | instskip(NEXT) | instid1(VALU_DEP_1)
	v_div_fmas_f32 v79, v79, v85, v86
	v_div_fixup_f32 v79, v79, v76, v77
	s_delay_alu instid0(VALU_DEP_1) | instskip(NEXT) | instid1(VALU_DEP_1)
	v_fmac_f32_e32 v76, v77, v79
	v_div_scale_f32 v77, null, v76, v76, 1.0
	s_delay_alu instid0(VALU_DEP_1) | instskip(SKIP_1) | instid1(TRANS32_DEP_1)
	v_rcp_f32_e32 v85, v77
	v_nop
	v_fma_f32 v86, -v77, v85, 1.0
	s_delay_alu instid0(VALU_DEP_1) | instskip(SKIP_1) | instid1(VALU_DEP_1)
	v_fmac_f32_e32 v85, v86, v85
	v_div_scale_f32 v86, vcc_lo, 1.0, v76, 1.0
	v_mul_f32_e32 v87, v86, v85
	s_delay_alu instid0(VALU_DEP_1) | instskip(NEXT) | instid1(VALU_DEP_1)
	v_fma_f32 v88, -v77, v87, v86
	v_fmac_f32_e32 v87, v88, v85
	s_delay_alu instid0(VALU_DEP_1) | instskip(NEXT) | instid1(VALU_DEP_1)
	v_fma_f32 v77, -v77, v87, v86
	v_div_fmas_f32 v77, v77, v85, v87
	s_delay_alu instid0(VALU_DEP_1) | instskip(NEXT) | instid1(VALU_DEP_1)
	v_div_fixup_f32 v76, v77, v76, 1.0
	v_mul_f32_e64 v77, v79, -v76
.LBB68_324:
	s_or_b32 exec_lo, exec_lo, s1
.LBB68_325:
	s_delay_alu instid0(SALU_CYCLE_1) | instskip(NEXT) | instid1(SALU_CYCLE_1)
	s_or_b32 exec_lo, exec_lo, s0
	s_mov_b32 s0, exec_lo
	v_cmpx_ne_u32_e64 v84, v78
	s_xor_b32 s0, exec_lo, s0
	s_cbranch_execz .LBB68_331
; %bb.326:
	s_mov_b32 s1, exec_lo
	v_cmpx_eq_u32_e32 15, v84
	s_cbranch_execz .LBB68_330
; %bb.327:
	v_cmp_ne_u32_e32 vcc_lo, 15, v78
	s_xor_b32 s15, s12, -1
	s_delay_alu instid0(SALU_CYCLE_1) | instskip(NEXT) | instid1(SALU_CYCLE_1)
	s_and_b32 s16, s15, vcc_lo
	s_and_saveexec_b32 s15, s16
	s_cbranch_execz .LBB68_329
; %bb.328:
	v_ashrrev_i32_e32 v79, 31, v78
	s_delay_alu instid0(VALU_DEP_1)
	v_lshl_add_u64 v[84:85], v[78:79], 2, v[4:5]
	s_clause 0x1
	global_load_b32 v79, v[84:85], off
	global_load_b32 v83, v[4:5], off offset:60
	s_wait_loadcnt 0x1
	global_store_b32 v[4:5], v79, off offset:60
	s_wait_loadcnt 0x0
	global_store_b32 v[84:85], v83, off
.LBB68_329:
	s_wait_xcnt 0x0
	s_or_b32 exec_lo, exec_lo, s15
	v_dual_mov_b32 v84, v78 :: v_dual_mov_b32 v83, v78
.LBB68_330:
	s_or_b32 exec_lo, exec_lo, s1
.LBB68_331:
	s_and_not1_saveexec_b32 s0, s0
	s_cbranch_execz .LBB68_333
; %bb.332:
	v_dual_mov_b32 v78, v50 :: v_dual_mov_b32 v79, v51
	v_dual_mov_b32 v84, v48 :: v_dual_mov_b32 v85, v49
	ds_store_2addr_b64 v80, v[78:79], v[84:85] offset0:16 offset1:17
	v_dual_mov_b32 v78, v24 :: v_dual_mov_b32 v79, v25
	v_dual_mov_b32 v84, v22 :: v_dual_mov_b32 v85, v23
	ds_store_2addr_b64 v80, v[78:79], v[84:85] offset0:18 offset1:19
	;; [unrolled: 3-line block ×9, first 2 shown]
	ds_store_b64 v80, v[74:75] offset:272
	v_mov_b32_e32 v84, 15
.LBB68_333:
	s_or_b32 exec_lo, exec_lo, s0
	s_delay_alu instid0(SALU_CYCLE_1)
	s_mov_b32 s0, exec_lo
	s_wait_storecnt_dscnt 0x0
	s_barrier_signal -1
	s_barrier_wait -1
	v_cmpx_lt_i32_e32 15, v84
	s_cbranch_execz .LBB68_335
; %bb.334:
	v_pk_mul_f32 v[86:87], v[76:77], v[14:15] op_sel:[1,1] op_sel_hi:[0,1]
	s_delay_alu instid0(VALU_DEP_1)
	v_pk_fma_f32 v[78:79], v[76:77], v[14:15], v[86:87] op_sel_hi:[1,0,1] neg_lo:[0,0,1] neg_hi:[0,0,1]
	v_pk_fma_f32 v[76:77], v[76:77], v[14:15], v[86:87] op_sel_hi:[1,0,1]
	ds_load_2addr_b64 v[86:89], v80 offset0:16 offset1:17
	v_dual_mov_b32 v14, v78 :: v_dual_mov_b32 v15, v77
	s_wait_dscnt 0x0
	v_pk_mul_f32 v[90:91], v[86:87], v[76:77] op_sel:[0,1]
	s_delay_alu instid0(VALU_DEP_1) | instskip(SKIP_1) | instid1(VALU_DEP_1)
	v_pk_fma_f32 v[92:93], v[86:87], v[78:79], v[90:91] op_sel:[0,0,1] op_sel_hi:[1,1,0] neg_lo:[0,0,1] neg_hi:[0,0,1]
	v_pk_fma_f32 v[86:87], v[86:87], v[78:79], v[90:91] op_sel:[0,0,1] op_sel_hi:[1,0,0]
	v_mov_b32_e32 v93, v87
	v_pk_mul_f32 v[86:87], v[88:89], v[76:77] op_sel:[0,1]
	s_delay_alu instid0(VALU_DEP_1) | instskip(SKIP_1) | instid1(VALU_DEP_1)
	v_pk_fma_f32 v[90:91], v[88:89], v[78:79], v[86:87] op_sel:[0,0,1] op_sel_hi:[1,1,0] neg_lo:[0,0,1] neg_hi:[0,0,1]
	v_pk_fma_f32 v[86:87], v[88:89], v[78:79], v[86:87] op_sel:[0,0,1] op_sel_hi:[1,0,0]
	v_mov_b32_e32 v91, v87
	ds_load_2addr_b64 v[86:89], v80 offset0:18 offset1:19
	v_pk_add_f32 v[50:51], v[50:51], v[92:93] neg_lo:[0,1] neg_hi:[0,1]
	v_pk_add_f32 v[48:49], v[48:49], v[90:91] neg_lo:[0,1] neg_hi:[0,1]
	s_wait_dscnt 0x0
	v_pk_mul_f32 v[90:91], v[86:87], v[76:77] op_sel:[0,1]
	s_delay_alu instid0(VALU_DEP_1) | instskip(SKIP_2) | instid1(VALU_DEP_2)
	v_pk_fma_f32 v[92:93], v[86:87], v[78:79], v[90:91] op_sel:[0,0,1] op_sel_hi:[1,1,0] neg_lo:[0,0,1] neg_hi:[0,0,1]
	v_pk_fma_f32 v[86:87], v[86:87], v[78:79], v[90:91] op_sel:[0,0,1] op_sel_hi:[1,0,0]
	v_dual_mul_f32 v90, v89, v77 :: v_dual_mov_b32 v86, v89
	v_dual_mov_b32 v93, v87 :: v_dual_mov_b32 v87, v88
	s_delay_alu instid0(VALU_DEP_2) | instskip(SKIP_1) | instid1(VALU_DEP_3)
	v_pk_fma_f32 v[90:91], v[88:89], v[14:15], v[90:91] op_sel_hi:[1,1,0] neg_lo:[0,0,1] neg_hi:[0,0,1]
	v_mul_f32_e32 v88, v89, v78
	v_pk_add_f32 v[24:25], v[24:25], v[92:93] neg_lo:[0,1] neg_hi:[0,1]
	s_delay_alu instid0(VALU_DEP_2) | instskip(NEXT) | instid1(VALU_DEP_1)
	v_pk_fma_f32 v[86:87], v[86:87], v[14:15], v[88:89] op_sel_hi:[1,1,0]
	v_mov_b32_e32 v91, v87
	ds_load_2addr_b64 v[86:89], v80 offset0:20 offset1:21
	v_pk_add_f32 v[22:23], v[22:23], v[90:91] neg_lo:[0,1] neg_hi:[0,1]
	s_wait_dscnt 0x0
	v_pk_mul_f32 v[90:91], v[86:87], v[76:77] op_sel:[0,1]
	s_delay_alu instid0(VALU_DEP_1) | instskip(SKIP_1) | instid1(VALU_DEP_1)
	v_pk_fma_f32 v[92:93], v[86:87], v[78:79], v[90:91] op_sel:[0,0,1] op_sel_hi:[1,1,0] neg_lo:[0,0,1] neg_hi:[0,0,1]
	v_pk_fma_f32 v[86:87], v[86:87], v[78:79], v[90:91] op_sel:[0,0,1] op_sel_hi:[1,0,0]
	v_mov_b32_e32 v93, v87
	v_pk_mul_f32 v[86:87], v[88:89], v[76:77] op_sel:[0,1]
	s_delay_alu instid0(VALU_DEP_1) | instskip(SKIP_1) | instid1(VALU_DEP_1)
	v_pk_fma_f32 v[90:91], v[88:89], v[78:79], v[86:87] op_sel:[0,0,1] op_sel_hi:[1,1,0] neg_lo:[0,0,1] neg_hi:[0,0,1]
	v_pk_fma_f32 v[86:87], v[88:89], v[78:79], v[86:87] op_sel:[0,0,1] op_sel_hi:[1,0,0]
	v_mov_b32_e32 v91, v87
	ds_load_2addr_b64 v[86:89], v80 offset0:22 offset1:23
	v_pk_add_f32 v[60:61], v[60:61], v[92:93] neg_lo:[0,1] neg_hi:[0,1]
	v_pk_add_f32 v[58:59], v[58:59], v[90:91] neg_lo:[0,1] neg_hi:[0,1]
	s_wait_dscnt 0x0
	v_pk_mul_f32 v[90:91], v[86:87], v[76:77] op_sel:[0,1]
	s_delay_alu instid0(VALU_DEP_1) | instskip(SKIP_1) | instid1(VALU_DEP_1)
	v_pk_fma_f32 v[92:93], v[86:87], v[78:79], v[90:91] op_sel:[0,0,1] op_sel_hi:[1,1,0] neg_lo:[0,0,1] neg_hi:[0,0,1]
	v_pk_fma_f32 v[86:87], v[86:87], v[78:79], v[90:91] op_sel:[0,0,1] op_sel_hi:[1,0,0]
	v_mov_b32_e32 v93, v87
	v_pk_mul_f32 v[86:87], v[88:89], v[76:77] op_sel:[0,1]
	s_delay_alu instid0(VALU_DEP_1) | instskip(SKIP_1) | instid1(VALU_DEP_1)
	v_pk_fma_f32 v[90:91], v[88:89], v[78:79], v[86:87] op_sel:[0,0,1] op_sel_hi:[1,1,0] neg_lo:[0,0,1] neg_hi:[0,0,1]
	v_pk_fma_f32 v[86:87], v[88:89], v[78:79], v[86:87] op_sel:[0,0,1] op_sel_hi:[1,0,0]
	v_mov_b32_e32 v91, v87
	ds_load_2addr_b64 v[86:89], v80 offset0:24 offset1:25
	v_pk_add_f32 v[32:33], v[32:33], v[92:93] neg_lo:[0,1] neg_hi:[0,1]
	v_pk_add_f32 v[30:31], v[30:31], v[90:91] neg_lo:[0,1] neg_hi:[0,1]
	s_wait_dscnt 0x0
	v_dual_mul_f32 v90, v87, v77 :: v_dual_mul_f32 v92, v87, v78
	s_delay_alu instid0(VALU_DEP_1) | instskip(NEXT) | instid1(VALU_DEP_2)
	v_pk_fma_f32 v[90:91], v[86:87], v[14:15], v[90:91] op_sel_hi:[1,1,0] neg_lo:[0,0,1] neg_hi:[0,0,1]
	v_pk_fma_f32 v[86:87], v[86:87], v[14:15], v[92:93] op_sel:[1,0,0] op_sel_hi:[0,1,0]
	s_delay_alu instid0(VALU_DEP_1) | instskip(SKIP_1) | instid1(VALU_DEP_2)
	v_mov_b32_e32 v91, v87
	v_pk_mul_f32 v[86:87], v[88:89], v[76:77] op_sel:[0,1]
	v_pk_add_f32 v[68:69], v[68:69], v[90:91] neg_lo:[0,1] neg_hi:[0,1]
	s_delay_alu instid0(VALU_DEP_2) | instskip(SKIP_1) | instid1(VALU_DEP_1)
	v_pk_fma_f32 v[90:91], v[88:89], v[78:79], v[86:87] op_sel:[0,0,1] op_sel_hi:[1,1,0] neg_lo:[0,0,1] neg_hi:[0,0,1]
	v_pk_fma_f32 v[86:87], v[88:89], v[78:79], v[86:87] op_sel:[0,0,1] op_sel_hi:[1,0,0]
	v_mov_b32_e32 v91, v87
	ds_load_2addr_b64 v[86:89], v80 offset0:26 offset1:27
	v_pk_add_f32 v[66:67], v[66:67], v[90:91] neg_lo:[0,1] neg_hi:[0,1]
	s_wait_dscnt 0x0
	v_pk_mul_f32 v[90:91], v[86:87], v[76:77] op_sel:[0,1]
	s_delay_alu instid0(VALU_DEP_1) | instskip(SKIP_1) | instid1(VALU_DEP_1)
	v_pk_fma_f32 v[92:93], v[86:87], v[78:79], v[90:91] op_sel:[0,0,1] op_sel_hi:[1,1,0] neg_lo:[0,0,1] neg_hi:[0,0,1]
	v_pk_fma_f32 v[86:87], v[86:87], v[78:79], v[90:91] op_sel:[0,0,1] op_sel_hi:[1,0,0]
	v_mov_b32_e32 v93, v87
	v_pk_mul_f32 v[86:87], v[88:89], v[76:77] op_sel:[0,1]
	s_delay_alu instid0(VALU_DEP_2) | instskip(NEXT) | instid1(VALU_DEP_2)
	v_pk_add_f32 v[42:43], v[42:43], v[92:93] neg_lo:[0,1] neg_hi:[0,1]
	v_pk_fma_f32 v[90:91], v[88:89], v[78:79], v[86:87] op_sel:[0,0,1] op_sel_hi:[1,1,0] neg_lo:[0,0,1] neg_hi:[0,0,1]
	v_pk_fma_f32 v[86:87], v[88:89], v[78:79], v[86:87] op_sel:[0,0,1] op_sel_hi:[1,0,0]
	s_delay_alu instid0(VALU_DEP_1) | instskip(SKIP_4) | instid1(VALU_DEP_1)
	v_mov_b32_e32 v91, v87
	ds_load_2addr_b64 v[86:89], v80 offset0:28 offset1:29
	v_pk_add_f32 v[40:41], v[40:41], v[90:91] neg_lo:[0,1] neg_hi:[0,1]
	s_wait_dscnt 0x0
	v_pk_mul_f32 v[90:91], v[86:87], v[76:77] op_sel:[0,1]
	v_pk_fma_f32 v[92:93], v[86:87], v[78:79], v[90:91] op_sel:[0,0,1] op_sel_hi:[1,1,0] neg_lo:[0,0,1] neg_hi:[0,0,1]
	v_pk_fma_f32 v[86:87], v[86:87], v[78:79], v[90:91] op_sel:[0,0,1] op_sel_hi:[1,0,0]
	v_dual_mul_f32 v90, v89, v77 :: v_dual_mov_b32 v86, v89
	s_delay_alu instid0(VALU_DEP_2) | instskip(NEXT) | instid1(VALU_DEP_2)
	v_dual_mov_b32 v93, v87 :: v_dual_mov_b32 v87, v88
	v_pk_fma_f32 v[90:91], v[88:89], v[14:15], v[90:91] op_sel_hi:[1,1,0] neg_lo:[0,0,1] neg_hi:[0,0,1]
	v_mul_f32_e32 v88, v89, v78
	s_delay_alu instid0(VALU_DEP_3) | instskip(NEXT) | instid1(VALU_DEP_2)
	v_pk_add_f32 v[64:65], v[64:65], v[92:93] neg_lo:[0,1] neg_hi:[0,1]
	v_pk_fma_f32 v[86:87], v[86:87], v[14:15], v[88:89] op_sel_hi:[1,1,0]
	s_delay_alu instid0(VALU_DEP_1) | instskip(SKIP_4) | instid1(VALU_DEP_1)
	v_mov_b32_e32 v91, v87
	ds_load_2addr_b64 v[86:89], v80 offset0:30 offset1:31
	v_pk_add_f32 v[62:63], v[62:63], v[90:91] neg_lo:[0,1] neg_hi:[0,1]
	s_wait_dscnt 0x0
	v_pk_mul_f32 v[90:91], v[86:87], v[76:77] op_sel:[0,1]
	v_pk_fma_f32 v[92:93], v[86:87], v[78:79], v[90:91] op_sel:[0,0,1] op_sel_hi:[1,1,0] neg_lo:[0,0,1] neg_hi:[0,0,1]
	v_pk_fma_f32 v[86:87], v[86:87], v[78:79], v[90:91] op_sel:[0,0,1] op_sel_hi:[1,0,0]
	s_delay_alu instid0(VALU_DEP_1) | instskip(SKIP_1) | instid1(VALU_DEP_1)
	v_mov_b32_e32 v93, v87
	v_pk_mul_f32 v[86:87], v[88:89], v[76:77] op_sel:[0,1]
	v_pk_fma_f32 v[90:91], v[88:89], v[78:79], v[86:87] op_sel:[0,0,1] op_sel_hi:[1,1,0] neg_lo:[0,0,1] neg_hi:[0,0,1]
	v_pk_fma_f32 v[86:87], v[88:89], v[78:79], v[86:87] op_sel:[0,0,1] op_sel_hi:[1,0,0]
	s_delay_alu instid0(VALU_DEP_1)
	v_mov_b32_e32 v91, v87
	ds_load_2addr_b64 v[86:89], v80 offset0:32 offset1:33
	v_pk_add_f32 v[46:47], v[46:47], v[92:93] neg_lo:[0,1] neg_hi:[0,1]
	v_pk_add_f32 v[44:45], v[44:45], v[90:91] neg_lo:[0,1] neg_hi:[0,1]
	s_wait_dscnt 0x0
	v_pk_mul_f32 v[90:91], v[86:87], v[76:77] op_sel:[0,1]
	s_delay_alu instid0(VALU_DEP_1) | instskip(SKIP_1) | instid1(VALU_DEP_1)
	v_pk_fma_f32 v[92:93], v[86:87], v[78:79], v[90:91] op_sel:[0,0,1] op_sel_hi:[1,1,0] neg_lo:[0,0,1] neg_hi:[0,0,1]
	v_pk_fma_f32 v[86:87], v[86:87], v[78:79], v[90:91] op_sel:[0,0,1] op_sel_hi:[1,0,0]
	v_mov_b32_e32 v93, v87
	v_pk_mul_f32 v[86:87], v[88:89], v[76:77] op_sel:[0,1]
	s_delay_alu instid0(VALU_DEP_1) | instskip(SKIP_1) | instid1(VALU_DEP_1)
	v_pk_fma_f32 v[90:91], v[88:89], v[78:79], v[86:87] op_sel:[0,0,1] op_sel_hi:[1,1,0] neg_lo:[0,0,1] neg_hi:[0,0,1]
	v_pk_fma_f32 v[86:87], v[88:89], v[78:79], v[86:87] op_sel:[0,0,1] op_sel_hi:[1,0,0]
	v_mov_b32_e32 v91, v87
	ds_load_b64 v[86:87], v80 offset:272
	v_pk_add_f32 v[54:55], v[54:55], v[92:93] neg_lo:[0,1] neg_hi:[0,1]
	v_pk_add_f32 v[52:53], v[52:53], v[90:91] neg_lo:[0,1] neg_hi:[0,1]
	s_wait_dscnt 0x0
	v_pk_mul_f32 v[76:77], v[86:87], v[76:77] op_sel:[0,1]
	s_delay_alu instid0(VALU_DEP_1) | instskip(SKIP_1) | instid1(VALU_DEP_1)
	v_pk_fma_f32 v[88:89], v[86:87], v[78:79], v[76:77] op_sel:[0,0,1] op_sel_hi:[1,1,0] neg_lo:[0,0,1] neg_hi:[0,0,1]
	v_pk_fma_f32 v[76:77], v[86:87], v[78:79], v[76:77] op_sel:[0,0,1] op_sel_hi:[1,0,0]
	v_mov_b32_e32 v89, v77
	s_delay_alu instid0(VALU_DEP_1)
	v_pk_add_f32 v[74:75], v[74:75], v[88:89] neg_lo:[0,1] neg_hi:[0,1]
.LBB68_335:
	s_or_b32 exec_lo, exec_lo, s0
	v_lshl_add_u32 v76, v84, 3, v80
	s_barrier_signal -1
	s_barrier_wait -1
	ds_store_b64 v76, v[50:51]
	s_wait_dscnt 0x0
	s_barrier_signal -1
	s_barrier_wait -1
	ds_load_b64 v[76:77], v80 offset:128
	v_mov_b32_e32 v78, 16
	s_cmp_lt_i32 s14, 18
	s_cbranch_scc1 .LBB68_338
; %bb.336:
	v_add3_u32 v79, v81, 0, 0x88
	v_mov_b32_e32 v78, 16
	s_mov_b32 s0, 17
.LBB68_337:                             ; =>This Inner Loop Header: Depth=1
	ds_load_b64 v[86:87], v79
	s_wait_dscnt 0x1
	v_cmp_gt_f32_e32 vcc_lo, 0, v76
	v_cndmask_b32_e64 v88, v76, -v76, vcc_lo
	v_cmp_gt_f32_e32 vcc_lo, 0, v77
	v_cndmask_b32_e64 v90, v77, -v77, vcc_lo
	s_wait_dscnt 0x0
	v_cmp_gt_f32_e32 vcc_lo, 0, v86
	v_cndmask_b32_e64 v89, v86, -v86, vcc_lo
	v_cmp_gt_f32_e32 vcc_lo, 0, v87
	v_cndmask_b32_e64 v91, v87, -v87, vcc_lo
	s_delay_alu instid0(VALU_DEP_1) | instskip(NEXT) | instid1(VALU_DEP_1)
	v_pk_add_f32 v[88:89], v[88:89], v[90:91]
	v_cmp_lt_f32_e32 vcc_lo, v88, v89
	v_dual_cndmask_b32 v76, v76, v86 :: v_dual_add_nc_u32 v79, 8, v79
	v_cndmask_b32_e32 v77, v77, v87, vcc_lo
	v_cndmask_b32_e64 v78, v78, s0, vcc_lo
	s_add_co_i32 s0, s0, 1
	s_delay_alu instid0(SALU_CYCLE_1)
	s_cmp_lg_u32 s14, s0
	s_cbranch_scc1 .LBB68_337
.LBB68_338:
	s_wait_dscnt 0x0
	v_cmp_eq_f32_e32 vcc_lo, 0, v76
	v_cmp_eq_f32_e64 s0, 0, v77
	s_and_b32 s0, vcc_lo, s0
	s_delay_alu instid0(SALU_CYCLE_1) | instskip(NEXT) | instid1(SALU_CYCLE_1)
	s_and_saveexec_b32 s1, s0
	s_xor_b32 s0, exec_lo, s1
; %bb.339:
	v_cmp_ne_u32_e32 vcc_lo, 0, v82
	v_cndmask_b32_e32 v82, 17, v82, vcc_lo
; %bb.340:
	s_and_not1_saveexec_b32 s0, s0
	s_cbranch_execz .LBB68_346
; %bb.341:
	v_cmp_ngt_f32_e64 s1, |v76|, |v77|
	s_and_saveexec_b32 s15, s1
	s_delay_alu instid0(SALU_CYCLE_1)
	s_xor_b32 s1, exec_lo, s15
	s_cbranch_execz .LBB68_343
; %bb.342:
	v_div_scale_f32 v79, null, v77, v77, v76
	v_div_scale_f32 v87, vcc_lo, v76, v77, v76
	s_delay_alu instid0(VALU_DEP_2) | instskip(SKIP_1) | instid1(TRANS32_DEP_1)
	v_rcp_f32_e32 v85, v79
	v_nop
	v_fma_f32 v86, -v79, v85, 1.0
	s_delay_alu instid0(VALU_DEP_1) | instskip(NEXT) | instid1(VALU_DEP_1)
	v_fmac_f32_e32 v85, v86, v85
	v_mul_f32_e32 v86, v87, v85
	s_delay_alu instid0(VALU_DEP_1) | instskip(NEXT) | instid1(VALU_DEP_1)
	v_fma_f32 v88, -v79, v86, v87
	v_fmac_f32_e32 v86, v88, v85
	s_delay_alu instid0(VALU_DEP_1) | instskip(NEXT) | instid1(VALU_DEP_1)
	v_fma_f32 v79, -v79, v86, v87
	v_div_fmas_f32 v79, v79, v85, v86
	s_delay_alu instid0(VALU_DEP_1) | instskip(NEXT) | instid1(VALU_DEP_1)
	v_div_fixup_f32 v79, v79, v77, v76
	v_fmac_f32_e32 v77, v76, v79
	s_delay_alu instid0(VALU_DEP_1) | instskip(SKIP_1) | instid1(VALU_DEP_2)
	v_div_scale_f32 v76, null, v77, v77, 1.0
	v_div_scale_f32 v87, vcc_lo, 1.0, v77, 1.0
	v_rcp_f32_e32 v85, v76
	v_nop
	s_delay_alu instid0(TRANS32_DEP_1) | instskip(NEXT) | instid1(VALU_DEP_1)
	v_fma_f32 v86, -v76, v85, 1.0
	v_fmac_f32_e32 v85, v86, v85
	s_delay_alu instid0(VALU_DEP_1) | instskip(NEXT) | instid1(VALU_DEP_1)
	v_mul_f32_e32 v86, v87, v85
	v_fma_f32 v88, -v76, v86, v87
	s_delay_alu instid0(VALU_DEP_1) | instskip(NEXT) | instid1(VALU_DEP_1)
	v_fmac_f32_e32 v86, v88, v85
	v_fma_f32 v76, -v76, v86, v87
	s_delay_alu instid0(VALU_DEP_1) | instskip(NEXT) | instid1(VALU_DEP_1)
	v_div_fmas_f32 v76, v76, v85, v86
	v_div_fixup_f32 v77, v76, v77, 1.0
	s_delay_alu instid0(VALU_DEP_1)
	v_mul_f32_e32 v76, v79, v77
	v_xor_b32_e32 v77, 0x80000000, v77
.LBB68_343:
	s_and_not1_saveexec_b32 s1, s1
	s_cbranch_execz .LBB68_345
; %bb.344:
	s_delay_alu instid0(VALU_DEP_1) | instskip(SKIP_1) | instid1(VALU_DEP_2)
	v_div_scale_f32 v79, null, v76, v76, v77
	v_div_scale_f32 v87, vcc_lo, v77, v76, v77
	v_rcp_f32_e32 v85, v79
	v_nop
	s_delay_alu instid0(TRANS32_DEP_1) | instskip(NEXT) | instid1(VALU_DEP_1)
	v_fma_f32 v86, -v79, v85, 1.0
	v_fmac_f32_e32 v85, v86, v85
	s_delay_alu instid0(VALU_DEP_1) | instskip(NEXT) | instid1(VALU_DEP_1)
	v_mul_f32_e32 v86, v87, v85
	v_fma_f32 v88, -v79, v86, v87
	s_delay_alu instid0(VALU_DEP_1) | instskip(NEXT) | instid1(VALU_DEP_1)
	v_fmac_f32_e32 v86, v88, v85
	v_fma_f32 v79, -v79, v86, v87
	s_delay_alu instid0(VALU_DEP_1) | instskip(NEXT) | instid1(VALU_DEP_1)
	v_div_fmas_f32 v79, v79, v85, v86
	v_div_fixup_f32 v79, v79, v76, v77
	s_delay_alu instid0(VALU_DEP_1) | instskip(NEXT) | instid1(VALU_DEP_1)
	v_fmac_f32_e32 v76, v77, v79
	v_div_scale_f32 v77, null, v76, v76, 1.0
	s_delay_alu instid0(VALU_DEP_1) | instskip(SKIP_1) | instid1(TRANS32_DEP_1)
	v_rcp_f32_e32 v85, v77
	v_nop
	v_fma_f32 v86, -v77, v85, 1.0
	s_delay_alu instid0(VALU_DEP_1) | instskip(SKIP_1) | instid1(VALU_DEP_1)
	v_fmac_f32_e32 v85, v86, v85
	v_div_scale_f32 v86, vcc_lo, 1.0, v76, 1.0
	v_mul_f32_e32 v87, v86, v85
	s_delay_alu instid0(VALU_DEP_1) | instskip(NEXT) | instid1(VALU_DEP_1)
	v_fma_f32 v88, -v77, v87, v86
	v_fmac_f32_e32 v87, v88, v85
	s_delay_alu instid0(VALU_DEP_1) | instskip(NEXT) | instid1(VALU_DEP_1)
	v_fma_f32 v77, -v77, v87, v86
	v_div_fmas_f32 v77, v77, v85, v87
	s_delay_alu instid0(VALU_DEP_1) | instskip(NEXT) | instid1(VALU_DEP_1)
	v_div_fixup_f32 v76, v77, v76, 1.0
	v_mul_f32_e64 v77, v79, -v76
.LBB68_345:
	s_or_b32 exec_lo, exec_lo, s1
.LBB68_346:
	s_delay_alu instid0(SALU_CYCLE_1) | instskip(NEXT) | instid1(SALU_CYCLE_1)
	s_or_b32 exec_lo, exec_lo, s0
	s_mov_b32 s0, exec_lo
	v_cmpx_ne_u32_e64 v84, v78
	s_xor_b32 s0, exec_lo, s0
	s_cbranch_execz .LBB68_352
; %bb.347:
	s_mov_b32 s1, exec_lo
	v_cmpx_eq_u32_e32 16, v84
	s_cbranch_execz .LBB68_351
; %bb.348:
	v_cmp_ne_u32_e32 vcc_lo, 16, v78
	s_xor_b32 s15, s12, -1
	s_delay_alu instid0(SALU_CYCLE_1) | instskip(NEXT) | instid1(SALU_CYCLE_1)
	s_and_b32 s16, s15, vcc_lo
	s_and_saveexec_b32 s15, s16
	s_cbranch_execz .LBB68_350
; %bb.349:
	v_ashrrev_i32_e32 v79, 31, v78
	s_delay_alu instid0(VALU_DEP_1)
	v_lshl_add_u64 v[84:85], v[78:79], 2, v[4:5]
	s_clause 0x1
	global_load_b32 v79, v[84:85], off
	global_load_b32 v83, v[4:5], off offset:64
	s_wait_loadcnt 0x1
	global_store_b32 v[4:5], v79, off offset:64
	s_wait_loadcnt 0x0
	global_store_b32 v[84:85], v83, off
.LBB68_350:
	s_wait_xcnt 0x0
	s_or_b32 exec_lo, exec_lo, s15
	v_dual_mov_b32 v84, v78 :: v_dual_mov_b32 v83, v78
.LBB68_351:
	s_or_b32 exec_lo, exec_lo, s1
.LBB68_352:
	s_and_not1_saveexec_b32 s0, s0
	s_cbranch_execz .LBB68_354
; %bb.353:
	v_mov_b32_e32 v84, 16
	ds_store_2addr_b64 v80, v[48:49], v[24:25] offset0:17 offset1:18
	ds_store_2addr_b64 v80, v[22:23], v[60:61] offset0:19 offset1:20
	;; [unrolled: 1-line block ×9, first 2 shown]
.LBB68_354:
	s_or_b32 exec_lo, exec_lo, s0
	s_delay_alu instid0(SALU_CYCLE_1)
	s_mov_b32 s0, exec_lo
	s_wait_storecnt_dscnt 0x0
	s_barrier_signal -1
	s_barrier_wait -1
	v_cmpx_lt_i32_e32 16, v84
	s_cbranch_execz .LBB68_356
; %bb.355:
	v_pk_mul_f32 v[86:87], v[76:77], v[50:51] op_sel:[1,1] op_sel_hi:[0,1]
	s_delay_alu instid0(VALU_DEP_1)
	v_pk_fma_f32 v[78:79], v[76:77], v[50:51], v[86:87] op_sel_hi:[1,0,1] neg_lo:[0,0,1] neg_hi:[0,0,1]
	v_pk_fma_f32 v[76:77], v[76:77], v[50:51], v[86:87] op_sel_hi:[1,0,1]
	ds_load_2addr_b64 v[86:89], v80 offset0:17 offset1:18
	v_dual_mov_b32 v50, v78 :: v_dual_mov_b32 v51, v77
	s_wait_dscnt 0x0
	v_pk_mul_f32 v[90:91], v[86:87], v[76:77] op_sel:[0,1]
	s_delay_alu instid0(VALU_DEP_1) | instskip(SKIP_1) | instid1(VALU_DEP_1)
	v_pk_fma_f32 v[92:93], v[86:87], v[78:79], v[90:91] op_sel:[0,0,1] op_sel_hi:[1,1,0] neg_lo:[0,0,1] neg_hi:[0,0,1]
	v_pk_fma_f32 v[86:87], v[86:87], v[78:79], v[90:91] op_sel:[0,0,1] op_sel_hi:[1,0,0]
	v_mov_b32_e32 v93, v87
	v_pk_mul_f32 v[86:87], v[88:89], v[76:77] op_sel:[0,1]
	s_delay_alu instid0(VALU_DEP_1) | instskip(SKIP_1) | instid1(VALU_DEP_1)
	v_pk_fma_f32 v[90:91], v[88:89], v[78:79], v[86:87] op_sel:[0,0,1] op_sel_hi:[1,1,0] neg_lo:[0,0,1] neg_hi:[0,0,1]
	v_pk_fma_f32 v[86:87], v[88:89], v[78:79], v[86:87] op_sel:[0,0,1] op_sel_hi:[1,0,0]
	v_mov_b32_e32 v91, v87
	ds_load_2addr_b64 v[86:89], v80 offset0:19 offset1:20
	v_pk_add_f32 v[48:49], v[48:49], v[92:93] neg_lo:[0,1] neg_hi:[0,1]
	v_pk_add_f32 v[24:25], v[24:25], v[90:91] neg_lo:[0,1] neg_hi:[0,1]
	s_wait_dscnt 0x0
	v_pk_mul_f32 v[90:91], v[86:87], v[76:77] op_sel:[0,1]
	s_delay_alu instid0(VALU_DEP_1) | instskip(SKIP_2) | instid1(VALU_DEP_2)
	v_pk_fma_f32 v[92:93], v[86:87], v[78:79], v[90:91] op_sel:[0,0,1] op_sel_hi:[1,1,0] neg_lo:[0,0,1] neg_hi:[0,0,1]
	v_pk_fma_f32 v[86:87], v[86:87], v[78:79], v[90:91] op_sel:[0,0,1] op_sel_hi:[1,0,0]
	v_dual_mul_f32 v90, v89, v77 :: v_dual_mov_b32 v86, v89
	v_dual_mov_b32 v93, v87 :: v_dual_mov_b32 v87, v88
	s_delay_alu instid0(VALU_DEP_2) | instskip(SKIP_1) | instid1(VALU_DEP_3)
	v_pk_fma_f32 v[90:91], v[88:89], v[50:51], v[90:91] op_sel_hi:[1,1,0] neg_lo:[0,0,1] neg_hi:[0,0,1]
	v_mul_f32_e32 v88, v89, v78
	v_pk_add_f32 v[22:23], v[22:23], v[92:93] neg_lo:[0,1] neg_hi:[0,1]
	s_delay_alu instid0(VALU_DEP_2) | instskip(NEXT) | instid1(VALU_DEP_1)
	v_pk_fma_f32 v[86:87], v[86:87], v[50:51], v[88:89] op_sel_hi:[1,1,0]
	v_mov_b32_e32 v91, v87
	ds_load_2addr_b64 v[86:89], v80 offset0:21 offset1:22
	v_pk_add_f32 v[60:61], v[60:61], v[90:91] neg_lo:[0,1] neg_hi:[0,1]
	s_wait_dscnt 0x0
	v_pk_mul_f32 v[90:91], v[86:87], v[76:77] op_sel:[0,1]
	s_delay_alu instid0(VALU_DEP_1) | instskip(SKIP_1) | instid1(VALU_DEP_1)
	v_pk_fma_f32 v[92:93], v[86:87], v[78:79], v[90:91] op_sel:[0,0,1] op_sel_hi:[1,1,0] neg_lo:[0,0,1] neg_hi:[0,0,1]
	v_pk_fma_f32 v[86:87], v[86:87], v[78:79], v[90:91] op_sel:[0,0,1] op_sel_hi:[1,0,0]
	v_mov_b32_e32 v93, v87
	v_pk_mul_f32 v[86:87], v[88:89], v[76:77] op_sel:[0,1]
	s_delay_alu instid0(VALU_DEP_1) | instskip(SKIP_1) | instid1(VALU_DEP_1)
	v_pk_fma_f32 v[90:91], v[88:89], v[78:79], v[86:87] op_sel:[0,0,1] op_sel_hi:[1,1,0] neg_lo:[0,0,1] neg_hi:[0,0,1]
	v_pk_fma_f32 v[86:87], v[88:89], v[78:79], v[86:87] op_sel:[0,0,1] op_sel_hi:[1,0,0]
	v_mov_b32_e32 v91, v87
	ds_load_2addr_b64 v[86:89], v80 offset0:23 offset1:24
	v_pk_add_f32 v[58:59], v[58:59], v[92:93] neg_lo:[0,1] neg_hi:[0,1]
	v_pk_add_f32 v[32:33], v[32:33], v[90:91] neg_lo:[0,1] neg_hi:[0,1]
	s_wait_dscnt 0x0
	v_pk_mul_f32 v[90:91], v[86:87], v[76:77] op_sel:[0,1]
	s_delay_alu instid0(VALU_DEP_1) | instskip(SKIP_1) | instid1(VALU_DEP_1)
	v_pk_fma_f32 v[92:93], v[86:87], v[78:79], v[90:91] op_sel:[0,0,1] op_sel_hi:[1,1,0] neg_lo:[0,0,1] neg_hi:[0,0,1]
	v_pk_fma_f32 v[86:87], v[86:87], v[78:79], v[90:91] op_sel:[0,0,1] op_sel_hi:[1,0,0]
	v_mov_b32_e32 v93, v87
	v_pk_mul_f32 v[86:87], v[88:89], v[76:77] op_sel:[0,1]
	s_delay_alu instid0(VALU_DEP_1) | instskip(SKIP_1) | instid1(VALU_DEP_1)
	v_pk_fma_f32 v[90:91], v[88:89], v[78:79], v[86:87] op_sel:[0,0,1] op_sel_hi:[1,1,0] neg_lo:[0,0,1] neg_hi:[0,0,1]
	v_pk_fma_f32 v[86:87], v[88:89], v[78:79], v[86:87] op_sel:[0,0,1] op_sel_hi:[1,0,0]
	v_mov_b32_e32 v91, v87
	ds_load_2addr_b64 v[86:89], v80 offset0:25 offset1:26
	v_pk_add_f32 v[30:31], v[30:31], v[92:93] neg_lo:[0,1] neg_hi:[0,1]
	v_pk_add_f32 v[68:69], v[68:69], v[90:91] neg_lo:[0,1] neg_hi:[0,1]
	s_wait_dscnt 0x0
	v_dual_mul_f32 v90, v87, v77 :: v_dual_mul_f32 v92, v87, v78
	s_delay_alu instid0(VALU_DEP_1) | instskip(NEXT) | instid1(VALU_DEP_2)
	v_pk_fma_f32 v[90:91], v[86:87], v[50:51], v[90:91] op_sel_hi:[1,1,0] neg_lo:[0,0,1] neg_hi:[0,0,1]
	v_pk_fma_f32 v[86:87], v[86:87], v[50:51], v[92:93] op_sel:[1,0,0] op_sel_hi:[0,1,0]
	s_delay_alu instid0(VALU_DEP_1) | instskip(SKIP_1) | instid1(VALU_DEP_2)
	v_mov_b32_e32 v91, v87
	v_pk_mul_f32 v[86:87], v[88:89], v[76:77] op_sel:[0,1]
	v_pk_add_f32 v[66:67], v[66:67], v[90:91] neg_lo:[0,1] neg_hi:[0,1]
	s_delay_alu instid0(VALU_DEP_2) | instskip(SKIP_1) | instid1(VALU_DEP_1)
	v_pk_fma_f32 v[90:91], v[88:89], v[78:79], v[86:87] op_sel:[0,0,1] op_sel_hi:[1,1,0] neg_lo:[0,0,1] neg_hi:[0,0,1]
	v_pk_fma_f32 v[86:87], v[88:89], v[78:79], v[86:87] op_sel:[0,0,1] op_sel_hi:[1,0,0]
	v_mov_b32_e32 v91, v87
	ds_load_2addr_b64 v[86:89], v80 offset0:27 offset1:28
	v_pk_add_f32 v[42:43], v[42:43], v[90:91] neg_lo:[0,1] neg_hi:[0,1]
	s_wait_dscnt 0x0
	v_pk_mul_f32 v[90:91], v[86:87], v[76:77] op_sel:[0,1]
	s_delay_alu instid0(VALU_DEP_1) | instskip(SKIP_1) | instid1(VALU_DEP_1)
	v_pk_fma_f32 v[92:93], v[86:87], v[78:79], v[90:91] op_sel:[0,0,1] op_sel_hi:[1,1,0] neg_lo:[0,0,1] neg_hi:[0,0,1]
	v_pk_fma_f32 v[86:87], v[86:87], v[78:79], v[90:91] op_sel:[0,0,1] op_sel_hi:[1,0,0]
	v_mov_b32_e32 v93, v87
	v_pk_mul_f32 v[86:87], v[88:89], v[76:77] op_sel:[0,1]
	s_delay_alu instid0(VALU_DEP_2) | instskip(NEXT) | instid1(VALU_DEP_2)
	v_pk_add_f32 v[40:41], v[40:41], v[92:93] neg_lo:[0,1] neg_hi:[0,1]
	v_pk_fma_f32 v[90:91], v[88:89], v[78:79], v[86:87] op_sel:[0,0,1] op_sel_hi:[1,1,0] neg_lo:[0,0,1] neg_hi:[0,0,1]
	v_pk_fma_f32 v[86:87], v[88:89], v[78:79], v[86:87] op_sel:[0,0,1] op_sel_hi:[1,0,0]
	s_delay_alu instid0(VALU_DEP_1) | instskip(SKIP_4) | instid1(VALU_DEP_1)
	v_mov_b32_e32 v91, v87
	ds_load_2addr_b64 v[86:89], v80 offset0:29 offset1:30
	v_pk_add_f32 v[64:65], v[64:65], v[90:91] neg_lo:[0,1] neg_hi:[0,1]
	s_wait_dscnt 0x0
	v_pk_mul_f32 v[90:91], v[86:87], v[76:77] op_sel:[0,1]
	v_pk_fma_f32 v[92:93], v[86:87], v[78:79], v[90:91] op_sel:[0,0,1] op_sel_hi:[1,1,0] neg_lo:[0,0,1] neg_hi:[0,0,1]
	v_pk_fma_f32 v[86:87], v[86:87], v[78:79], v[90:91] op_sel:[0,0,1] op_sel_hi:[1,0,0]
	v_dual_mul_f32 v90, v89, v77 :: v_dual_mov_b32 v86, v89
	s_delay_alu instid0(VALU_DEP_2) | instskip(NEXT) | instid1(VALU_DEP_2)
	v_dual_mov_b32 v93, v87 :: v_dual_mov_b32 v87, v88
	v_pk_fma_f32 v[90:91], v[88:89], v[50:51], v[90:91] op_sel_hi:[1,1,0] neg_lo:[0,0,1] neg_hi:[0,0,1]
	v_mul_f32_e32 v88, v89, v78
	s_delay_alu instid0(VALU_DEP_3) | instskip(NEXT) | instid1(VALU_DEP_2)
	v_pk_add_f32 v[62:63], v[62:63], v[92:93] neg_lo:[0,1] neg_hi:[0,1]
	v_pk_fma_f32 v[86:87], v[86:87], v[50:51], v[88:89] op_sel_hi:[1,1,0]
	s_delay_alu instid0(VALU_DEP_1) | instskip(SKIP_4) | instid1(VALU_DEP_1)
	v_mov_b32_e32 v91, v87
	ds_load_2addr_b64 v[86:89], v80 offset0:31 offset1:32
	v_pk_add_f32 v[46:47], v[46:47], v[90:91] neg_lo:[0,1] neg_hi:[0,1]
	s_wait_dscnt 0x0
	v_pk_mul_f32 v[90:91], v[86:87], v[76:77] op_sel:[0,1]
	v_pk_fma_f32 v[92:93], v[86:87], v[78:79], v[90:91] op_sel:[0,0,1] op_sel_hi:[1,1,0] neg_lo:[0,0,1] neg_hi:[0,0,1]
	v_pk_fma_f32 v[86:87], v[86:87], v[78:79], v[90:91] op_sel:[0,0,1] op_sel_hi:[1,0,0]
	s_delay_alu instid0(VALU_DEP_1) | instskip(SKIP_1) | instid1(VALU_DEP_1)
	v_mov_b32_e32 v93, v87
	v_pk_mul_f32 v[86:87], v[88:89], v[76:77] op_sel:[0,1]
	v_pk_fma_f32 v[90:91], v[88:89], v[78:79], v[86:87] op_sel:[0,0,1] op_sel_hi:[1,1,0] neg_lo:[0,0,1] neg_hi:[0,0,1]
	v_pk_fma_f32 v[86:87], v[88:89], v[78:79], v[86:87] op_sel:[0,0,1] op_sel_hi:[1,0,0]
	s_delay_alu instid0(VALU_DEP_1)
	v_mov_b32_e32 v91, v87
	ds_load_2addr_b64 v[86:89], v80 offset0:33 offset1:34
	v_pk_add_f32 v[44:45], v[44:45], v[92:93] neg_lo:[0,1] neg_hi:[0,1]
	v_pk_add_f32 v[54:55], v[54:55], v[90:91] neg_lo:[0,1] neg_hi:[0,1]
	s_wait_dscnt 0x0
	v_pk_mul_f32 v[90:91], v[86:87], v[76:77] op_sel:[0,1]
	v_mul_f32_e32 v76, v89, v77
	s_delay_alu instid0(VALU_DEP_2) | instskip(SKIP_2) | instid1(VALU_DEP_4)
	v_pk_fma_f32 v[92:93], v[86:87], v[78:79], v[90:91] op_sel:[0,0,1] op_sel_hi:[1,1,0] neg_lo:[0,0,1] neg_hi:[0,0,1]
	v_pk_fma_f32 v[86:87], v[86:87], v[78:79], v[90:91] op_sel:[0,0,1] op_sel_hi:[1,0,0]
	v_dual_mov_b32 v86, v89 :: v_dual_mul_f32 v78, v89, v78
	v_pk_fma_f32 v[76:77], v[88:89], v[50:51], v[76:77] op_sel_hi:[1,1,0] neg_lo:[0,0,1] neg_hi:[0,0,1]
	s_delay_alu instid0(VALU_DEP_3) | instskip(NEXT) | instid1(VALU_DEP_1)
	v_dual_mov_b32 v93, v87 :: v_dual_mov_b32 v87, v88
	v_pk_add_f32 v[52:53], v[52:53], v[92:93] neg_lo:[0,1] neg_hi:[0,1]
	s_delay_alu instid0(VALU_DEP_2) | instskip(NEXT) | instid1(VALU_DEP_1)
	v_pk_fma_f32 v[78:79], v[86:87], v[50:51], v[78:79] op_sel_hi:[1,1,0]
	v_mov_b32_e32 v77, v79
	s_delay_alu instid0(VALU_DEP_1)
	v_pk_add_f32 v[74:75], v[74:75], v[76:77] neg_lo:[0,1] neg_hi:[0,1]
.LBB68_356:
	s_or_b32 exec_lo, exec_lo, s0
	v_lshl_add_u32 v76, v84, 3, v80
	s_barrier_signal -1
	s_barrier_wait -1
	ds_store_b64 v76, v[48:49]
	s_wait_dscnt 0x0
	s_barrier_signal -1
	s_barrier_wait -1
	ds_load_b64 v[76:77], v80 offset:136
	v_mov_b32_e32 v78, 17
	s_cmp_lt_i32 s14, 19
	s_cbranch_scc1 .LBB68_359
; %bb.357:
	v_add3_u32 v79, v81, 0, 0x90
	v_mov_b32_e32 v78, 17
	s_mov_b32 s0, 18
.LBB68_358:                             ; =>This Inner Loop Header: Depth=1
	ds_load_b64 v[86:87], v79
	s_wait_dscnt 0x1
	v_cmp_gt_f32_e32 vcc_lo, 0, v76
	v_cndmask_b32_e64 v88, v76, -v76, vcc_lo
	v_cmp_gt_f32_e32 vcc_lo, 0, v77
	v_cndmask_b32_e64 v90, v77, -v77, vcc_lo
	s_wait_dscnt 0x0
	v_cmp_gt_f32_e32 vcc_lo, 0, v86
	v_cndmask_b32_e64 v89, v86, -v86, vcc_lo
	v_cmp_gt_f32_e32 vcc_lo, 0, v87
	v_cndmask_b32_e64 v91, v87, -v87, vcc_lo
	s_delay_alu instid0(VALU_DEP_1) | instskip(NEXT) | instid1(VALU_DEP_1)
	v_pk_add_f32 v[88:89], v[88:89], v[90:91]
	v_cmp_lt_f32_e32 vcc_lo, v88, v89
	v_dual_cndmask_b32 v76, v76, v86 :: v_dual_add_nc_u32 v79, 8, v79
	v_cndmask_b32_e32 v77, v77, v87, vcc_lo
	v_cndmask_b32_e64 v78, v78, s0, vcc_lo
	s_add_co_i32 s0, s0, 1
	s_delay_alu instid0(SALU_CYCLE_1)
	s_cmp_lg_u32 s14, s0
	s_cbranch_scc1 .LBB68_358
.LBB68_359:
	s_wait_dscnt 0x0
	v_cmp_eq_f32_e32 vcc_lo, 0, v76
	v_cmp_eq_f32_e64 s0, 0, v77
	s_and_b32 s0, vcc_lo, s0
	s_delay_alu instid0(SALU_CYCLE_1) | instskip(NEXT) | instid1(SALU_CYCLE_1)
	s_and_saveexec_b32 s1, s0
	s_xor_b32 s0, exec_lo, s1
; %bb.360:
	v_cmp_ne_u32_e32 vcc_lo, 0, v82
	v_cndmask_b32_e32 v82, 18, v82, vcc_lo
; %bb.361:
	s_and_not1_saveexec_b32 s0, s0
	s_cbranch_execz .LBB68_367
; %bb.362:
	v_cmp_ngt_f32_e64 s1, |v76|, |v77|
	s_and_saveexec_b32 s15, s1
	s_delay_alu instid0(SALU_CYCLE_1)
	s_xor_b32 s1, exec_lo, s15
	s_cbranch_execz .LBB68_364
; %bb.363:
	v_div_scale_f32 v79, null, v77, v77, v76
	v_div_scale_f32 v87, vcc_lo, v76, v77, v76
	s_delay_alu instid0(VALU_DEP_2) | instskip(SKIP_1) | instid1(TRANS32_DEP_1)
	v_rcp_f32_e32 v85, v79
	v_nop
	v_fma_f32 v86, -v79, v85, 1.0
	s_delay_alu instid0(VALU_DEP_1) | instskip(NEXT) | instid1(VALU_DEP_1)
	v_fmac_f32_e32 v85, v86, v85
	v_mul_f32_e32 v86, v87, v85
	s_delay_alu instid0(VALU_DEP_1) | instskip(NEXT) | instid1(VALU_DEP_1)
	v_fma_f32 v88, -v79, v86, v87
	v_fmac_f32_e32 v86, v88, v85
	s_delay_alu instid0(VALU_DEP_1) | instskip(NEXT) | instid1(VALU_DEP_1)
	v_fma_f32 v79, -v79, v86, v87
	v_div_fmas_f32 v79, v79, v85, v86
	s_delay_alu instid0(VALU_DEP_1) | instskip(NEXT) | instid1(VALU_DEP_1)
	v_div_fixup_f32 v79, v79, v77, v76
	v_fmac_f32_e32 v77, v76, v79
	s_delay_alu instid0(VALU_DEP_1) | instskip(SKIP_1) | instid1(VALU_DEP_2)
	v_div_scale_f32 v76, null, v77, v77, 1.0
	v_div_scale_f32 v87, vcc_lo, 1.0, v77, 1.0
	v_rcp_f32_e32 v85, v76
	v_nop
	s_delay_alu instid0(TRANS32_DEP_1) | instskip(NEXT) | instid1(VALU_DEP_1)
	v_fma_f32 v86, -v76, v85, 1.0
	v_fmac_f32_e32 v85, v86, v85
	s_delay_alu instid0(VALU_DEP_1) | instskip(NEXT) | instid1(VALU_DEP_1)
	v_mul_f32_e32 v86, v87, v85
	v_fma_f32 v88, -v76, v86, v87
	s_delay_alu instid0(VALU_DEP_1) | instskip(NEXT) | instid1(VALU_DEP_1)
	v_fmac_f32_e32 v86, v88, v85
	v_fma_f32 v76, -v76, v86, v87
	s_delay_alu instid0(VALU_DEP_1) | instskip(NEXT) | instid1(VALU_DEP_1)
	v_div_fmas_f32 v76, v76, v85, v86
	v_div_fixup_f32 v77, v76, v77, 1.0
	s_delay_alu instid0(VALU_DEP_1)
	v_mul_f32_e32 v76, v79, v77
	v_xor_b32_e32 v77, 0x80000000, v77
.LBB68_364:
	s_and_not1_saveexec_b32 s1, s1
	s_cbranch_execz .LBB68_366
; %bb.365:
	s_delay_alu instid0(VALU_DEP_1) | instskip(SKIP_1) | instid1(VALU_DEP_2)
	v_div_scale_f32 v79, null, v76, v76, v77
	v_div_scale_f32 v87, vcc_lo, v77, v76, v77
	v_rcp_f32_e32 v85, v79
	v_nop
	s_delay_alu instid0(TRANS32_DEP_1) | instskip(NEXT) | instid1(VALU_DEP_1)
	v_fma_f32 v86, -v79, v85, 1.0
	v_fmac_f32_e32 v85, v86, v85
	s_delay_alu instid0(VALU_DEP_1) | instskip(NEXT) | instid1(VALU_DEP_1)
	v_mul_f32_e32 v86, v87, v85
	v_fma_f32 v88, -v79, v86, v87
	s_delay_alu instid0(VALU_DEP_1) | instskip(NEXT) | instid1(VALU_DEP_1)
	v_fmac_f32_e32 v86, v88, v85
	v_fma_f32 v79, -v79, v86, v87
	s_delay_alu instid0(VALU_DEP_1) | instskip(NEXT) | instid1(VALU_DEP_1)
	v_div_fmas_f32 v79, v79, v85, v86
	v_div_fixup_f32 v79, v79, v76, v77
	s_delay_alu instid0(VALU_DEP_1) | instskip(NEXT) | instid1(VALU_DEP_1)
	v_fmac_f32_e32 v76, v77, v79
	v_div_scale_f32 v77, null, v76, v76, 1.0
	s_delay_alu instid0(VALU_DEP_1) | instskip(SKIP_1) | instid1(TRANS32_DEP_1)
	v_rcp_f32_e32 v85, v77
	v_nop
	v_fma_f32 v86, -v77, v85, 1.0
	s_delay_alu instid0(VALU_DEP_1) | instskip(SKIP_1) | instid1(VALU_DEP_1)
	v_fmac_f32_e32 v85, v86, v85
	v_div_scale_f32 v86, vcc_lo, 1.0, v76, 1.0
	v_mul_f32_e32 v87, v86, v85
	s_delay_alu instid0(VALU_DEP_1) | instskip(NEXT) | instid1(VALU_DEP_1)
	v_fma_f32 v88, -v77, v87, v86
	v_fmac_f32_e32 v87, v88, v85
	s_delay_alu instid0(VALU_DEP_1) | instskip(NEXT) | instid1(VALU_DEP_1)
	v_fma_f32 v77, -v77, v87, v86
	v_div_fmas_f32 v77, v77, v85, v87
	s_delay_alu instid0(VALU_DEP_1) | instskip(NEXT) | instid1(VALU_DEP_1)
	v_div_fixup_f32 v76, v77, v76, 1.0
	v_mul_f32_e64 v77, v79, -v76
.LBB68_366:
	s_or_b32 exec_lo, exec_lo, s1
.LBB68_367:
	s_delay_alu instid0(SALU_CYCLE_1) | instskip(NEXT) | instid1(SALU_CYCLE_1)
	s_or_b32 exec_lo, exec_lo, s0
	s_mov_b32 s0, exec_lo
	v_cmpx_ne_u32_e64 v84, v78
	s_xor_b32 s0, exec_lo, s0
	s_cbranch_execz .LBB68_373
; %bb.368:
	s_mov_b32 s1, exec_lo
	v_cmpx_eq_u32_e32 17, v84
	s_cbranch_execz .LBB68_372
; %bb.369:
	v_cmp_ne_u32_e32 vcc_lo, 17, v78
	s_xor_b32 s15, s12, -1
	s_delay_alu instid0(SALU_CYCLE_1) | instskip(NEXT) | instid1(SALU_CYCLE_1)
	s_and_b32 s16, s15, vcc_lo
	s_and_saveexec_b32 s15, s16
	s_cbranch_execz .LBB68_371
; %bb.370:
	v_ashrrev_i32_e32 v79, 31, v78
	s_delay_alu instid0(VALU_DEP_1)
	v_lshl_add_u64 v[84:85], v[78:79], 2, v[4:5]
	s_clause 0x1
	global_load_b32 v79, v[84:85], off
	global_load_b32 v83, v[4:5], off offset:68
	s_wait_loadcnt 0x1
	global_store_b32 v[4:5], v79, off offset:68
	s_wait_loadcnt 0x0
	global_store_b32 v[84:85], v83, off
.LBB68_371:
	s_wait_xcnt 0x0
	s_or_b32 exec_lo, exec_lo, s15
	v_dual_mov_b32 v84, v78 :: v_dual_mov_b32 v83, v78
.LBB68_372:
	s_or_b32 exec_lo, exec_lo, s1
.LBB68_373:
	s_and_not1_saveexec_b32 s0, s0
	s_cbranch_execz .LBB68_375
; %bb.374:
	v_dual_mov_b32 v78, v24 :: v_dual_mov_b32 v79, v25
	v_dual_mov_b32 v84, v22 :: v_dual_mov_b32 v85, v23
	ds_store_2addr_b64 v80, v[78:79], v[84:85] offset0:18 offset1:19
	v_dual_mov_b32 v78, v60 :: v_dual_mov_b32 v79, v61
	v_dual_mov_b32 v84, v58 :: v_dual_mov_b32 v85, v59
	ds_store_2addr_b64 v80, v[78:79], v[84:85] offset0:20 offset1:21
	;; [unrolled: 3-line block ×8, first 2 shown]
	ds_store_b64 v80, v[74:75] offset:272
	v_mov_b32_e32 v84, 17
.LBB68_375:
	s_or_b32 exec_lo, exec_lo, s0
	s_delay_alu instid0(SALU_CYCLE_1)
	s_mov_b32 s0, exec_lo
	s_wait_storecnt_dscnt 0x0
	s_barrier_signal -1
	s_barrier_wait -1
	v_cmpx_lt_i32_e32 17, v84
	s_cbranch_execz .LBB68_377
; %bb.376:
	v_pk_mul_f32 v[86:87], v[76:77], v[48:49] op_sel:[1,1] op_sel_hi:[0,1]
	s_delay_alu instid0(VALU_DEP_1)
	v_pk_fma_f32 v[78:79], v[76:77], v[48:49], v[86:87] op_sel_hi:[1,0,1] neg_lo:[0,0,1] neg_hi:[0,0,1]
	v_pk_fma_f32 v[76:77], v[76:77], v[48:49], v[86:87] op_sel_hi:[1,0,1]
	ds_load_2addr_b64 v[86:89], v80 offset0:18 offset1:19
	v_dual_mov_b32 v48, v78 :: v_dual_mov_b32 v49, v77
	s_wait_dscnt 0x0
	v_pk_mul_f32 v[90:91], v[86:87], v[76:77] op_sel:[0,1]
	s_delay_alu instid0(VALU_DEP_1) | instskip(SKIP_1) | instid1(VALU_DEP_1)
	v_pk_fma_f32 v[92:93], v[86:87], v[78:79], v[90:91] op_sel:[0,0,1] op_sel_hi:[1,1,0] neg_lo:[0,0,1] neg_hi:[0,0,1]
	v_pk_fma_f32 v[86:87], v[86:87], v[78:79], v[90:91] op_sel:[0,0,1] op_sel_hi:[1,0,0]
	v_mov_b32_e32 v93, v87
	v_pk_mul_f32 v[86:87], v[88:89], v[76:77] op_sel:[0,1]
	s_delay_alu instid0(VALU_DEP_1) | instskip(SKIP_1) | instid1(VALU_DEP_1)
	v_pk_fma_f32 v[90:91], v[88:89], v[78:79], v[86:87] op_sel:[0,0,1] op_sel_hi:[1,1,0] neg_lo:[0,0,1] neg_hi:[0,0,1]
	v_pk_fma_f32 v[86:87], v[88:89], v[78:79], v[86:87] op_sel:[0,0,1] op_sel_hi:[1,0,0]
	v_mov_b32_e32 v91, v87
	ds_load_2addr_b64 v[86:89], v80 offset0:20 offset1:21
	v_pk_add_f32 v[24:25], v[24:25], v[92:93] neg_lo:[0,1] neg_hi:[0,1]
	v_pk_add_f32 v[22:23], v[22:23], v[90:91] neg_lo:[0,1] neg_hi:[0,1]
	s_wait_dscnt 0x0
	v_pk_mul_f32 v[90:91], v[86:87], v[76:77] op_sel:[0,1]
	s_delay_alu instid0(VALU_DEP_1) | instskip(SKIP_2) | instid1(VALU_DEP_2)
	v_pk_fma_f32 v[92:93], v[86:87], v[78:79], v[90:91] op_sel:[0,0,1] op_sel_hi:[1,1,0] neg_lo:[0,0,1] neg_hi:[0,0,1]
	v_pk_fma_f32 v[86:87], v[86:87], v[78:79], v[90:91] op_sel:[0,0,1] op_sel_hi:[1,0,0]
	v_dual_mul_f32 v90, v89, v77 :: v_dual_mov_b32 v86, v89
	v_dual_mov_b32 v93, v87 :: v_dual_mov_b32 v87, v88
	s_delay_alu instid0(VALU_DEP_2) | instskip(SKIP_1) | instid1(VALU_DEP_3)
	v_pk_fma_f32 v[90:91], v[88:89], v[48:49], v[90:91] op_sel_hi:[1,1,0] neg_lo:[0,0,1] neg_hi:[0,0,1]
	v_mul_f32_e32 v88, v89, v78
	v_pk_add_f32 v[60:61], v[60:61], v[92:93] neg_lo:[0,1] neg_hi:[0,1]
	s_delay_alu instid0(VALU_DEP_2) | instskip(NEXT) | instid1(VALU_DEP_1)
	v_pk_fma_f32 v[86:87], v[86:87], v[48:49], v[88:89] op_sel_hi:[1,1,0]
	v_mov_b32_e32 v91, v87
	ds_load_2addr_b64 v[86:89], v80 offset0:22 offset1:23
	v_pk_add_f32 v[58:59], v[58:59], v[90:91] neg_lo:[0,1] neg_hi:[0,1]
	s_wait_dscnt 0x0
	v_pk_mul_f32 v[90:91], v[86:87], v[76:77] op_sel:[0,1]
	s_delay_alu instid0(VALU_DEP_1) | instskip(SKIP_1) | instid1(VALU_DEP_1)
	v_pk_fma_f32 v[92:93], v[86:87], v[78:79], v[90:91] op_sel:[0,0,1] op_sel_hi:[1,1,0] neg_lo:[0,0,1] neg_hi:[0,0,1]
	v_pk_fma_f32 v[86:87], v[86:87], v[78:79], v[90:91] op_sel:[0,0,1] op_sel_hi:[1,0,0]
	v_mov_b32_e32 v93, v87
	v_pk_mul_f32 v[86:87], v[88:89], v[76:77] op_sel:[0,1]
	s_delay_alu instid0(VALU_DEP_1) | instskip(SKIP_1) | instid1(VALU_DEP_1)
	v_pk_fma_f32 v[90:91], v[88:89], v[78:79], v[86:87] op_sel:[0,0,1] op_sel_hi:[1,1,0] neg_lo:[0,0,1] neg_hi:[0,0,1]
	v_pk_fma_f32 v[86:87], v[88:89], v[78:79], v[86:87] op_sel:[0,0,1] op_sel_hi:[1,0,0]
	v_mov_b32_e32 v91, v87
	ds_load_2addr_b64 v[86:89], v80 offset0:24 offset1:25
	v_pk_add_f32 v[32:33], v[32:33], v[92:93] neg_lo:[0,1] neg_hi:[0,1]
	v_pk_add_f32 v[30:31], v[30:31], v[90:91] neg_lo:[0,1] neg_hi:[0,1]
	s_wait_dscnt 0x0
	v_pk_mul_f32 v[90:91], v[86:87], v[76:77] op_sel:[0,1]
	s_delay_alu instid0(VALU_DEP_1) | instskip(SKIP_1) | instid1(VALU_DEP_1)
	v_pk_fma_f32 v[92:93], v[86:87], v[78:79], v[90:91] op_sel:[0,0,1] op_sel_hi:[1,1,0] neg_lo:[0,0,1] neg_hi:[0,0,1]
	v_pk_fma_f32 v[86:87], v[86:87], v[78:79], v[90:91] op_sel:[0,0,1] op_sel_hi:[1,0,0]
	v_mov_b32_e32 v93, v87
	v_pk_mul_f32 v[86:87], v[88:89], v[76:77] op_sel:[0,1]
	s_delay_alu instid0(VALU_DEP_1) | instskip(SKIP_1) | instid1(VALU_DEP_1)
	v_pk_fma_f32 v[90:91], v[88:89], v[78:79], v[86:87] op_sel:[0,0,1] op_sel_hi:[1,1,0] neg_lo:[0,0,1] neg_hi:[0,0,1]
	v_pk_fma_f32 v[86:87], v[88:89], v[78:79], v[86:87] op_sel:[0,0,1] op_sel_hi:[1,0,0]
	v_mov_b32_e32 v91, v87
	ds_load_2addr_b64 v[86:89], v80 offset0:26 offset1:27
	v_pk_add_f32 v[68:69], v[68:69], v[92:93] neg_lo:[0,1] neg_hi:[0,1]
	v_pk_add_f32 v[66:67], v[66:67], v[90:91] neg_lo:[0,1] neg_hi:[0,1]
	s_wait_dscnt 0x0
	v_dual_mul_f32 v90, v87, v77 :: v_dual_mul_f32 v92, v87, v78
	s_delay_alu instid0(VALU_DEP_1) | instskip(NEXT) | instid1(VALU_DEP_2)
	v_pk_fma_f32 v[90:91], v[86:87], v[48:49], v[90:91] op_sel_hi:[1,1,0] neg_lo:[0,0,1] neg_hi:[0,0,1]
	v_pk_fma_f32 v[86:87], v[86:87], v[48:49], v[92:93] op_sel:[1,0,0] op_sel_hi:[0,1,0]
	s_delay_alu instid0(VALU_DEP_1) | instskip(SKIP_1) | instid1(VALU_DEP_2)
	v_mov_b32_e32 v91, v87
	v_pk_mul_f32 v[86:87], v[88:89], v[76:77] op_sel:[0,1]
	v_pk_add_f32 v[42:43], v[42:43], v[90:91] neg_lo:[0,1] neg_hi:[0,1]
	s_delay_alu instid0(VALU_DEP_2) | instskip(SKIP_1) | instid1(VALU_DEP_1)
	v_pk_fma_f32 v[90:91], v[88:89], v[78:79], v[86:87] op_sel:[0,0,1] op_sel_hi:[1,1,0] neg_lo:[0,0,1] neg_hi:[0,0,1]
	v_pk_fma_f32 v[86:87], v[88:89], v[78:79], v[86:87] op_sel:[0,0,1] op_sel_hi:[1,0,0]
	v_mov_b32_e32 v91, v87
	ds_load_2addr_b64 v[86:89], v80 offset0:28 offset1:29
	v_pk_add_f32 v[40:41], v[40:41], v[90:91] neg_lo:[0,1] neg_hi:[0,1]
	s_wait_dscnt 0x0
	v_pk_mul_f32 v[90:91], v[86:87], v[76:77] op_sel:[0,1]
	s_delay_alu instid0(VALU_DEP_1) | instskip(SKIP_1) | instid1(VALU_DEP_1)
	v_pk_fma_f32 v[92:93], v[86:87], v[78:79], v[90:91] op_sel:[0,0,1] op_sel_hi:[1,1,0] neg_lo:[0,0,1] neg_hi:[0,0,1]
	v_pk_fma_f32 v[86:87], v[86:87], v[78:79], v[90:91] op_sel:[0,0,1] op_sel_hi:[1,0,0]
	v_mov_b32_e32 v93, v87
	v_pk_mul_f32 v[86:87], v[88:89], v[76:77] op_sel:[0,1]
	s_delay_alu instid0(VALU_DEP_2) | instskip(NEXT) | instid1(VALU_DEP_2)
	v_pk_add_f32 v[64:65], v[64:65], v[92:93] neg_lo:[0,1] neg_hi:[0,1]
	v_pk_fma_f32 v[90:91], v[88:89], v[78:79], v[86:87] op_sel:[0,0,1] op_sel_hi:[1,1,0] neg_lo:[0,0,1] neg_hi:[0,0,1]
	v_pk_fma_f32 v[86:87], v[88:89], v[78:79], v[86:87] op_sel:[0,0,1] op_sel_hi:[1,0,0]
	s_delay_alu instid0(VALU_DEP_1) | instskip(SKIP_4) | instid1(VALU_DEP_1)
	v_mov_b32_e32 v91, v87
	ds_load_2addr_b64 v[86:89], v80 offset0:30 offset1:31
	v_pk_add_f32 v[62:63], v[62:63], v[90:91] neg_lo:[0,1] neg_hi:[0,1]
	s_wait_dscnt 0x0
	v_pk_mul_f32 v[90:91], v[86:87], v[76:77] op_sel:[0,1]
	v_pk_fma_f32 v[92:93], v[86:87], v[78:79], v[90:91] op_sel:[0,0,1] op_sel_hi:[1,1,0] neg_lo:[0,0,1] neg_hi:[0,0,1]
	v_pk_fma_f32 v[86:87], v[86:87], v[78:79], v[90:91] op_sel:[0,0,1] op_sel_hi:[1,0,0]
	v_dual_mul_f32 v90, v89, v77 :: v_dual_mov_b32 v86, v89
	s_delay_alu instid0(VALU_DEP_2) | instskip(NEXT) | instid1(VALU_DEP_2)
	v_dual_mov_b32 v93, v87 :: v_dual_mov_b32 v87, v88
	v_pk_fma_f32 v[90:91], v[88:89], v[48:49], v[90:91] op_sel_hi:[1,1,0] neg_lo:[0,0,1] neg_hi:[0,0,1]
	v_mul_f32_e32 v88, v89, v78
	s_delay_alu instid0(VALU_DEP_3) | instskip(NEXT) | instid1(VALU_DEP_2)
	v_pk_add_f32 v[46:47], v[46:47], v[92:93] neg_lo:[0,1] neg_hi:[0,1]
	v_pk_fma_f32 v[86:87], v[86:87], v[48:49], v[88:89] op_sel_hi:[1,1,0]
	s_delay_alu instid0(VALU_DEP_1) | instskip(SKIP_4) | instid1(VALU_DEP_1)
	v_mov_b32_e32 v91, v87
	ds_load_2addr_b64 v[86:89], v80 offset0:32 offset1:33
	v_pk_add_f32 v[44:45], v[44:45], v[90:91] neg_lo:[0,1] neg_hi:[0,1]
	s_wait_dscnt 0x0
	v_pk_mul_f32 v[90:91], v[86:87], v[76:77] op_sel:[0,1]
	v_pk_fma_f32 v[92:93], v[86:87], v[78:79], v[90:91] op_sel:[0,0,1] op_sel_hi:[1,1,0] neg_lo:[0,0,1] neg_hi:[0,0,1]
	v_pk_fma_f32 v[86:87], v[86:87], v[78:79], v[90:91] op_sel:[0,0,1] op_sel_hi:[1,0,0]
	s_delay_alu instid0(VALU_DEP_1) | instskip(SKIP_1) | instid1(VALU_DEP_1)
	v_mov_b32_e32 v93, v87
	v_pk_mul_f32 v[86:87], v[88:89], v[76:77] op_sel:[0,1]
	v_pk_fma_f32 v[90:91], v[88:89], v[78:79], v[86:87] op_sel:[0,0,1] op_sel_hi:[1,1,0] neg_lo:[0,0,1] neg_hi:[0,0,1]
	v_pk_fma_f32 v[86:87], v[88:89], v[78:79], v[86:87] op_sel:[0,0,1] op_sel_hi:[1,0,0]
	s_delay_alu instid0(VALU_DEP_1)
	v_mov_b32_e32 v91, v87
	ds_load_b64 v[86:87], v80 offset:272
	v_pk_add_f32 v[54:55], v[54:55], v[92:93] neg_lo:[0,1] neg_hi:[0,1]
	v_pk_add_f32 v[52:53], v[52:53], v[90:91] neg_lo:[0,1] neg_hi:[0,1]
	s_wait_dscnt 0x0
	v_pk_mul_f32 v[76:77], v[86:87], v[76:77] op_sel:[0,1]
	s_delay_alu instid0(VALU_DEP_1) | instskip(SKIP_1) | instid1(VALU_DEP_1)
	v_pk_fma_f32 v[88:89], v[86:87], v[78:79], v[76:77] op_sel:[0,0,1] op_sel_hi:[1,1,0] neg_lo:[0,0,1] neg_hi:[0,0,1]
	v_pk_fma_f32 v[76:77], v[86:87], v[78:79], v[76:77] op_sel:[0,0,1] op_sel_hi:[1,0,0]
	v_mov_b32_e32 v89, v77
	s_delay_alu instid0(VALU_DEP_1)
	v_pk_add_f32 v[74:75], v[74:75], v[88:89] neg_lo:[0,1] neg_hi:[0,1]
.LBB68_377:
	s_or_b32 exec_lo, exec_lo, s0
	v_lshl_add_u32 v76, v84, 3, v80
	s_barrier_signal -1
	s_barrier_wait -1
	ds_store_b64 v76, v[24:25]
	s_wait_dscnt 0x0
	s_barrier_signal -1
	s_barrier_wait -1
	ds_load_b64 v[76:77], v80 offset:144
	v_mov_b32_e32 v78, 18
	s_cmp_lt_i32 s14, 20
	s_cbranch_scc1 .LBB68_380
; %bb.378:
	v_add3_u32 v79, v81, 0, 0x98
	v_mov_b32_e32 v78, 18
	s_mov_b32 s0, 19
.LBB68_379:                             ; =>This Inner Loop Header: Depth=1
	ds_load_b64 v[86:87], v79
	s_wait_dscnt 0x1
	v_cmp_gt_f32_e32 vcc_lo, 0, v76
	v_cndmask_b32_e64 v88, v76, -v76, vcc_lo
	v_cmp_gt_f32_e32 vcc_lo, 0, v77
	v_cndmask_b32_e64 v90, v77, -v77, vcc_lo
	s_wait_dscnt 0x0
	v_cmp_gt_f32_e32 vcc_lo, 0, v86
	v_cndmask_b32_e64 v89, v86, -v86, vcc_lo
	v_cmp_gt_f32_e32 vcc_lo, 0, v87
	v_cndmask_b32_e64 v91, v87, -v87, vcc_lo
	s_delay_alu instid0(VALU_DEP_1) | instskip(NEXT) | instid1(VALU_DEP_1)
	v_pk_add_f32 v[88:89], v[88:89], v[90:91]
	v_cmp_lt_f32_e32 vcc_lo, v88, v89
	v_dual_cndmask_b32 v76, v76, v86 :: v_dual_add_nc_u32 v79, 8, v79
	v_cndmask_b32_e32 v77, v77, v87, vcc_lo
	v_cndmask_b32_e64 v78, v78, s0, vcc_lo
	s_add_co_i32 s0, s0, 1
	s_delay_alu instid0(SALU_CYCLE_1)
	s_cmp_lg_u32 s14, s0
	s_cbranch_scc1 .LBB68_379
.LBB68_380:
	s_wait_dscnt 0x0
	v_cmp_eq_f32_e32 vcc_lo, 0, v76
	v_cmp_eq_f32_e64 s0, 0, v77
	s_and_b32 s0, vcc_lo, s0
	s_delay_alu instid0(SALU_CYCLE_1) | instskip(NEXT) | instid1(SALU_CYCLE_1)
	s_and_saveexec_b32 s1, s0
	s_xor_b32 s0, exec_lo, s1
; %bb.381:
	v_cmp_ne_u32_e32 vcc_lo, 0, v82
	v_cndmask_b32_e32 v82, 19, v82, vcc_lo
; %bb.382:
	s_and_not1_saveexec_b32 s0, s0
	s_cbranch_execz .LBB68_388
; %bb.383:
	v_cmp_ngt_f32_e64 s1, |v76|, |v77|
	s_and_saveexec_b32 s15, s1
	s_delay_alu instid0(SALU_CYCLE_1)
	s_xor_b32 s1, exec_lo, s15
	s_cbranch_execz .LBB68_385
; %bb.384:
	v_div_scale_f32 v79, null, v77, v77, v76
	v_div_scale_f32 v87, vcc_lo, v76, v77, v76
	s_delay_alu instid0(VALU_DEP_2) | instskip(SKIP_1) | instid1(TRANS32_DEP_1)
	v_rcp_f32_e32 v85, v79
	v_nop
	v_fma_f32 v86, -v79, v85, 1.0
	s_delay_alu instid0(VALU_DEP_1) | instskip(NEXT) | instid1(VALU_DEP_1)
	v_fmac_f32_e32 v85, v86, v85
	v_mul_f32_e32 v86, v87, v85
	s_delay_alu instid0(VALU_DEP_1) | instskip(NEXT) | instid1(VALU_DEP_1)
	v_fma_f32 v88, -v79, v86, v87
	v_fmac_f32_e32 v86, v88, v85
	s_delay_alu instid0(VALU_DEP_1) | instskip(NEXT) | instid1(VALU_DEP_1)
	v_fma_f32 v79, -v79, v86, v87
	v_div_fmas_f32 v79, v79, v85, v86
	s_delay_alu instid0(VALU_DEP_1) | instskip(NEXT) | instid1(VALU_DEP_1)
	v_div_fixup_f32 v79, v79, v77, v76
	v_fmac_f32_e32 v77, v76, v79
	s_delay_alu instid0(VALU_DEP_1) | instskip(SKIP_1) | instid1(VALU_DEP_2)
	v_div_scale_f32 v76, null, v77, v77, 1.0
	v_div_scale_f32 v87, vcc_lo, 1.0, v77, 1.0
	v_rcp_f32_e32 v85, v76
	v_nop
	s_delay_alu instid0(TRANS32_DEP_1) | instskip(NEXT) | instid1(VALU_DEP_1)
	v_fma_f32 v86, -v76, v85, 1.0
	v_fmac_f32_e32 v85, v86, v85
	s_delay_alu instid0(VALU_DEP_1) | instskip(NEXT) | instid1(VALU_DEP_1)
	v_mul_f32_e32 v86, v87, v85
	v_fma_f32 v88, -v76, v86, v87
	s_delay_alu instid0(VALU_DEP_1) | instskip(NEXT) | instid1(VALU_DEP_1)
	v_fmac_f32_e32 v86, v88, v85
	v_fma_f32 v76, -v76, v86, v87
	s_delay_alu instid0(VALU_DEP_1) | instskip(NEXT) | instid1(VALU_DEP_1)
	v_div_fmas_f32 v76, v76, v85, v86
	v_div_fixup_f32 v77, v76, v77, 1.0
	s_delay_alu instid0(VALU_DEP_1)
	v_mul_f32_e32 v76, v79, v77
	v_xor_b32_e32 v77, 0x80000000, v77
.LBB68_385:
	s_and_not1_saveexec_b32 s1, s1
	s_cbranch_execz .LBB68_387
; %bb.386:
	s_delay_alu instid0(VALU_DEP_1) | instskip(SKIP_1) | instid1(VALU_DEP_2)
	v_div_scale_f32 v79, null, v76, v76, v77
	v_div_scale_f32 v87, vcc_lo, v77, v76, v77
	v_rcp_f32_e32 v85, v79
	v_nop
	s_delay_alu instid0(TRANS32_DEP_1) | instskip(NEXT) | instid1(VALU_DEP_1)
	v_fma_f32 v86, -v79, v85, 1.0
	v_fmac_f32_e32 v85, v86, v85
	s_delay_alu instid0(VALU_DEP_1) | instskip(NEXT) | instid1(VALU_DEP_1)
	v_mul_f32_e32 v86, v87, v85
	v_fma_f32 v88, -v79, v86, v87
	s_delay_alu instid0(VALU_DEP_1) | instskip(NEXT) | instid1(VALU_DEP_1)
	v_fmac_f32_e32 v86, v88, v85
	v_fma_f32 v79, -v79, v86, v87
	s_delay_alu instid0(VALU_DEP_1) | instskip(NEXT) | instid1(VALU_DEP_1)
	v_div_fmas_f32 v79, v79, v85, v86
	v_div_fixup_f32 v79, v79, v76, v77
	s_delay_alu instid0(VALU_DEP_1) | instskip(NEXT) | instid1(VALU_DEP_1)
	v_fmac_f32_e32 v76, v77, v79
	v_div_scale_f32 v77, null, v76, v76, 1.0
	s_delay_alu instid0(VALU_DEP_1) | instskip(SKIP_1) | instid1(TRANS32_DEP_1)
	v_rcp_f32_e32 v85, v77
	v_nop
	v_fma_f32 v86, -v77, v85, 1.0
	s_delay_alu instid0(VALU_DEP_1) | instskip(SKIP_1) | instid1(VALU_DEP_1)
	v_fmac_f32_e32 v85, v86, v85
	v_div_scale_f32 v86, vcc_lo, 1.0, v76, 1.0
	v_mul_f32_e32 v87, v86, v85
	s_delay_alu instid0(VALU_DEP_1) | instskip(NEXT) | instid1(VALU_DEP_1)
	v_fma_f32 v88, -v77, v87, v86
	v_fmac_f32_e32 v87, v88, v85
	s_delay_alu instid0(VALU_DEP_1) | instskip(NEXT) | instid1(VALU_DEP_1)
	v_fma_f32 v77, -v77, v87, v86
	v_div_fmas_f32 v77, v77, v85, v87
	s_delay_alu instid0(VALU_DEP_1) | instskip(NEXT) | instid1(VALU_DEP_1)
	v_div_fixup_f32 v76, v77, v76, 1.0
	v_mul_f32_e64 v77, v79, -v76
.LBB68_387:
	s_or_b32 exec_lo, exec_lo, s1
.LBB68_388:
	s_delay_alu instid0(SALU_CYCLE_1) | instskip(NEXT) | instid1(SALU_CYCLE_1)
	s_or_b32 exec_lo, exec_lo, s0
	s_mov_b32 s0, exec_lo
	v_cmpx_ne_u32_e64 v84, v78
	s_xor_b32 s0, exec_lo, s0
	s_cbranch_execz .LBB68_394
; %bb.389:
	s_mov_b32 s1, exec_lo
	v_cmpx_eq_u32_e32 18, v84
	s_cbranch_execz .LBB68_393
; %bb.390:
	v_cmp_ne_u32_e32 vcc_lo, 18, v78
	s_xor_b32 s15, s12, -1
	s_delay_alu instid0(SALU_CYCLE_1) | instskip(NEXT) | instid1(SALU_CYCLE_1)
	s_and_b32 s16, s15, vcc_lo
	s_and_saveexec_b32 s15, s16
	s_cbranch_execz .LBB68_392
; %bb.391:
	v_ashrrev_i32_e32 v79, 31, v78
	s_delay_alu instid0(VALU_DEP_1)
	v_lshl_add_u64 v[84:85], v[78:79], 2, v[4:5]
	s_clause 0x1
	global_load_b32 v79, v[84:85], off
	global_load_b32 v83, v[4:5], off offset:72
	s_wait_loadcnt 0x1
	global_store_b32 v[4:5], v79, off offset:72
	s_wait_loadcnt 0x0
	global_store_b32 v[84:85], v83, off
.LBB68_392:
	s_wait_xcnt 0x0
	s_or_b32 exec_lo, exec_lo, s15
	v_dual_mov_b32 v84, v78 :: v_dual_mov_b32 v83, v78
.LBB68_393:
	s_or_b32 exec_lo, exec_lo, s1
.LBB68_394:
	s_and_not1_saveexec_b32 s0, s0
	s_cbranch_execz .LBB68_396
; %bb.395:
	v_mov_b32_e32 v84, 18
	ds_store_2addr_b64 v80, v[22:23], v[60:61] offset0:19 offset1:20
	ds_store_2addr_b64 v80, v[58:59], v[32:33] offset0:21 offset1:22
	;; [unrolled: 1-line block ×8, first 2 shown]
.LBB68_396:
	s_or_b32 exec_lo, exec_lo, s0
	s_delay_alu instid0(SALU_CYCLE_1)
	s_mov_b32 s0, exec_lo
	s_wait_storecnt_dscnt 0x0
	s_barrier_signal -1
	s_barrier_wait -1
	v_cmpx_lt_i32_e32 18, v84
	s_cbranch_execz .LBB68_398
; %bb.397:
	v_pk_mul_f32 v[86:87], v[76:77], v[24:25] op_sel:[1,1] op_sel_hi:[0,1]
	s_delay_alu instid0(VALU_DEP_1)
	v_pk_fma_f32 v[78:79], v[76:77], v[24:25], v[86:87] op_sel_hi:[1,0,1] neg_lo:[0,0,1] neg_hi:[0,0,1]
	v_pk_fma_f32 v[76:77], v[76:77], v[24:25], v[86:87] op_sel_hi:[1,0,1]
	ds_load_2addr_b64 v[86:89], v80 offset0:19 offset1:20
	v_dual_mov_b32 v24, v78 :: v_dual_mov_b32 v25, v77
	s_wait_dscnt 0x0
	v_pk_mul_f32 v[90:91], v[86:87], v[76:77] op_sel:[0,1]
	s_delay_alu instid0(VALU_DEP_1) | instskip(SKIP_1) | instid1(VALU_DEP_1)
	v_pk_fma_f32 v[92:93], v[86:87], v[78:79], v[90:91] op_sel:[0,0,1] op_sel_hi:[1,1,0] neg_lo:[0,0,1] neg_hi:[0,0,1]
	v_pk_fma_f32 v[86:87], v[86:87], v[78:79], v[90:91] op_sel:[0,0,1] op_sel_hi:[1,0,0]
	v_mov_b32_e32 v93, v87
	v_pk_mul_f32 v[86:87], v[88:89], v[76:77] op_sel:[0,1]
	s_delay_alu instid0(VALU_DEP_1) | instskip(SKIP_1) | instid1(VALU_DEP_1)
	v_pk_fma_f32 v[90:91], v[88:89], v[78:79], v[86:87] op_sel:[0,0,1] op_sel_hi:[1,1,0] neg_lo:[0,0,1] neg_hi:[0,0,1]
	v_pk_fma_f32 v[86:87], v[88:89], v[78:79], v[86:87] op_sel:[0,0,1] op_sel_hi:[1,0,0]
	v_mov_b32_e32 v91, v87
	ds_load_2addr_b64 v[86:89], v80 offset0:21 offset1:22
	v_pk_add_f32 v[22:23], v[22:23], v[92:93] neg_lo:[0,1] neg_hi:[0,1]
	v_pk_add_f32 v[60:61], v[60:61], v[90:91] neg_lo:[0,1] neg_hi:[0,1]
	s_wait_dscnt 0x0
	v_pk_mul_f32 v[90:91], v[86:87], v[76:77] op_sel:[0,1]
	s_delay_alu instid0(VALU_DEP_1) | instskip(SKIP_2) | instid1(VALU_DEP_2)
	v_pk_fma_f32 v[92:93], v[86:87], v[78:79], v[90:91] op_sel:[0,0,1] op_sel_hi:[1,1,0] neg_lo:[0,0,1] neg_hi:[0,0,1]
	v_pk_fma_f32 v[86:87], v[86:87], v[78:79], v[90:91] op_sel:[0,0,1] op_sel_hi:[1,0,0]
	v_dual_mul_f32 v90, v89, v77 :: v_dual_mov_b32 v86, v89
	v_dual_mov_b32 v93, v87 :: v_dual_mov_b32 v87, v88
	s_delay_alu instid0(VALU_DEP_2) | instskip(SKIP_1) | instid1(VALU_DEP_3)
	v_pk_fma_f32 v[90:91], v[88:89], v[24:25], v[90:91] op_sel_hi:[1,1,0] neg_lo:[0,0,1] neg_hi:[0,0,1]
	v_mul_f32_e32 v88, v89, v78
	v_pk_add_f32 v[58:59], v[58:59], v[92:93] neg_lo:[0,1] neg_hi:[0,1]
	s_delay_alu instid0(VALU_DEP_2) | instskip(NEXT) | instid1(VALU_DEP_1)
	v_pk_fma_f32 v[86:87], v[86:87], v[24:25], v[88:89] op_sel_hi:[1,1,0]
	v_mov_b32_e32 v91, v87
	ds_load_2addr_b64 v[86:89], v80 offset0:23 offset1:24
	v_pk_add_f32 v[32:33], v[32:33], v[90:91] neg_lo:[0,1] neg_hi:[0,1]
	s_wait_dscnt 0x0
	v_pk_mul_f32 v[90:91], v[86:87], v[76:77] op_sel:[0,1]
	s_delay_alu instid0(VALU_DEP_1) | instskip(SKIP_1) | instid1(VALU_DEP_1)
	v_pk_fma_f32 v[92:93], v[86:87], v[78:79], v[90:91] op_sel:[0,0,1] op_sel_hi:[1,1,0] neg_lo:[0,0,1] neg_hi:[0,0,1]
	v_pk_fma_f32 v[86:87], v[86:87], v[78:79], v[90:91] op_sel:[0,0,1] op_sel_hi:[1,0,0]
	v_mov_b32_e32 v93, v87
	v_pk_mul_f32 v[86:87], v[88:89], v[76:77] op_sel:[0,1]
	s_delay_alu instid0(VALU_DEP_1) | instskip(SKIP_1) | instid1(VALU_DEP_1)
	v_pk_fma_f32 v[90:91], v[88:89], v[78:79], v[86:87] op_sel:[0,0,1] op_sel_hi:[1,1,0] neg_lo:[0,0,1] neg_hi:[0,0,1]
	v_pk_fma_f32 v[86:87], v[88:89], v[78:79], v[86:87] op_sel:[0,0,1] op_sel_hi:[1,0,0]
	v_mov_b32_e32 v91, v87
	ds_load_2addr_b64 v[86:89], v80 offset0:25 offset1:26
	v_pk_add_f32 v[30:31], v[30:31], v[92:93] neg_lo:[0,1] neg_hi:[0,1]
	v_pk_add_f32 v[68:69], v[68:69], v[90:91] neg_lo:[0,1] neg_hi:[0,1]
	s_wait_dscnt 0x0
	v_pk_mul_f32 v[90:91], v[86:87], v[76:77] op_sel:[0,1]
	s_delay_alu instid0(VALU_DEP_1) | instskip(SKIP_1) | instid1(VALU_DEP_1)
	v_pk_fma_f32 v[92:93], v[86:87], v[78:79], v[90:91] op_sel:[0,0,1] op_sel_hi:[1,1,0] neg_lo:[0,0,1] neg_hi:[0,0,1]
	v_pk_fma_f32 v[86:87], v[86:87], v[78:79], v[90:91] op_sel:[0,0,1] op_sel_hi:[1,0,0]
	v_mov_b32_e32 v93, v87
	v_pk_mul_f32 v[86:87], v[88:89], v[76:77] op_sel:[0,1]
	s_delay_alu instid0(VALU_DEP_1) | instskip(SKIP_1) | instid1(VALU_DEP_1)
	v_pk_fma_f32 v[90:91], v[88:89], v[78:79], v[86:87] op_sel:[0,0,1] op_sel_hi:[1,1,0] neg_lo:[0,0,1] neg_hi:[0,0,1]
	v_pk_fma_f32 v[86:87], v[88:89], v[78:79], v[86:87] op_sel:[0,0,1] op_sel_hi:[1,0,0]
	v_mov_b32_e32 v91, v87
	ds_load_2addr_b64 v[86:89], v80 offset0:27 offset1:28
	v_pk_add_f32 v[66:67], v[66:67], v[92:93] neg_lo:[0,1] neg_hi:[0,1]
	v_pk_add_f32 v[42:43], v[42:43], v[90:91] neg_lo:[0,1] neg_hi:[0,1]
	s_wait_dscnt 0x0
	v_dual_mul_f32 v90, v87, v77 :: v_dual_mul_f32 v92, v87, v78
	s_delay_alu instid0(VALU_DEP_1) | instskip(NEXT) | instid1(VALU_DEP_2)
	v_pk_fma_f32 v[90:91], v[86:87], v[24:25], v[90:91] op_sel_hi:[1,1,0] neg_lo:[0,0,1] neg_hi:[0,0,1]
	v_pk_fma_f32 v[86:87], v[86:87], v[24:25], v[92:93] op_sel:[1,0,0] op_sel_hi:[0,1,0]
	s_delay_alu instid0(VALU_DEP_1) | instskip(SKIP_1) | instid1(VALU_DEP_2)
	v_mov_b32_e32 v91, v87
	v_pk_mul_f32 v[86:87], v[88:89], v[76:77] op_sel:[0,1]
	v_pk_add_f32 v[40:41], v[40:41], v[90:91] neg_lo:[0,1] neg_hi:[0,1]
	s_delay_alu instid0(VALU_DEP_2) | instskip(SKIP_1) | instid1(VALU_DEP_1)
	v_pk_fma_f32 v[90:91], v[88:89], v[78:79], v[86:87] op_sel:[0,0,1] op_sel_hi:[1,1,0] neg_lo:[0,0,1] neg_hi:[0,0,1]
	v_pk_fma_f32 v[86:87], v[88:89], v[78:79], v[86:87] op_sel:[0,0,1] op_sel_hi:[1,0,0]
	v_mov_b32_e32 v91, v87
	ds_load_2addr_b64 v[86:89], v80 offset0:29 offset1:30
	v_pk_add_f32 v[64:65], v[64:65], v[90:91] neg_lo:[0,1] neg_hi:[0,1]
	s_wait_dscnt 0x0
	v_pk_mul_f32 v[90:91], v[86:87], v[76:77] op_sel:[0,1]
	s_delay_alu instid0(VALU_DEP_1) | instskip(SKIP_1) | instid1(VALU_DEP_1)
	v_pk_fma_f32 v[92:93], v[86:87], v[78:79], v[90:91] op_sel:[0,0,1] op_sel_hi:[1,1,0] neg_lo:[0,0,1] neg_hi:[0,0,1]
	v_pk_fma_f32 v[86:87], v[86:87], v[78:79], v[90:91] op_sel:[0,0,1] op_sel_hi:[1,0,0]
	v_mov_b32_e32 v93, v87
	v_pk_mul_f32 v[86:87], v[88:89], v[76:77] op_sel:[0,1]
	s_delay_alu instid0(VALU_DEP_2) | instskip(NEXT) | instid1(VALU_DEP_2)
	v_pk_add_f32 v[62:63], v[62:63], v[92:93] neg_lo:[0,1] neg_hi:[0,1]
	v_pk_fma_f32 v[90:91], v[88:89], v[78:79], v[86:87] op_sel:[0,0,1] op_sel_hi:[1,1,0] neg_lo:[0,0,1] neg_hi:[0,0,1]
	v_pk_fma_f32 v[86:87], v[88:89], v[78:79], v[86:87] op_sel:[0,0,1] op_sel_hi:[1,0,0]
	s_delay_alu instid0(VALU_DEP_1) | instskip(SKIP_4) | instid1(VALU_DEP_1)
	v_mov_b32_e32 v91, v87
	ds_load_2addr_b64 v[86:89], v80 offset0:31 offset1:32
	v_pk_add_f32 v[46:47], v[46:47], v[90:91] neg_lo:[0,1] neg_hi:[0,1]
	s_wait_dscnt 0x0
	v_pk_mul_f32 v[90:91], v[86:87], v[76:77] op_sel:[0,1]
	v_pk_fma_f32 v[92:93], v[86:87], v[78:79], v[90:91] op_sel:[0,0,1] op_sel_hi:[1,1,0] neg_lo:[0,0,1] neg_hi:[0,0,1]
	v_pk_fma_f32 v[86:87], v[86:87], v[78:79], v[90:91] op_sel:[0,0,1] op_sel_hi:[1,0,0]
	v_dual_mul_f32 v90, v89, v77 :: v_dual_mov_b32 v86, v89
	s_delay_alu instid0(VALU_DEP_2) | instskip(NEXT) | instid1(VALU_DEP_2)
	v_dual_mov_b32 v93, v87 :: v_dual_mov_b32 v87, v88
	v_pk_fma_f32 v[90:91], v[88:89], v[24:25], v[90:91] op_sel_hi:[1,1,0] neg_lo:[0,0,1] neg_hi:[0,0,1]
	v_mul_f32_e32 v88, v89, v78
	s_delay_alu instid0(VALU_DEP_3) | instskip(NEXT) | instid1(VALU_DEP_2)
	v_pk_add_f32 v[44:45], v[44:45], v[92:93] neg_lo:[0,1] neg_hi:[0,1]
	v_pk_fma_f32 v[86:87], v[86:87], v[24:25], v[88:89] op_sel_hi:[1,1,0]
	s_delay_alu instid0(VALU_DEP_1)
	v_mov_b32_e32 v91, v87
	ds_load_2addr_b64 v[86:89], v80 offset0:33 offset1:34
	v_pk_add_f32 v[54:55], v[54:55], v[90:91] neg_lo:[0,1] neg_hi:[0,1]
	s_wait_dscnt 0x0
	v_pk_mul_f32 v[90:91], v[86:87], v[76:77] op_sel:[0,1]
	v_pk_mul_f32 v[76:77], v[88:89], v[76:77] op_sel:[0,1]
	s_delay_alu instid0(VALU_DEP_2) | instskip(SKIP_1) | instid1(VALU_DEP_1)
	v_pk_fma_f32 v[92:93], v[86:87], v[78:79], v[90:91] op_sel:[0,0,1] op_sel_hi:[1,1,0] neg_lo:[0,0,1] neg_hi:[0,0,1]
	v_pk_fma_f32 v[86:87], v[86:87], v[78:79], v[90:91] op_sel:[0,0,1] op_sel_hi:[1,0,0]
	v_mov_b32_e32 v93, v87
	s_delay_alu instid0(VALU_DEP_4) | instskip(SKIP_1) | instid1(VALU_DEP_1)
	v_pk_fma_f32 v[86:87], v[88:89], v[78:79], v[76:77] op_sel:[0,0,1] op_sel_hi:[1,1,0] neg_lo:[0,0,1] neg_hi:[0,0,1]
	v_pk_fma_f32 v[76:77], v[88:89], v[78:79], v[76:77] op_sel:[0,0,1] op_sel_hi:[1,0,0]
	v_mov_b32_e32 v87, v77
	s_delay_alu instid0(VALU_DEP_4) | instskip(NEXT) | instid1(VALU_DEP_2)
	v_pk_add_f32 v[52:53], v[52:53], v[92:93] neg_lo:[0,1] neg_hi:[0,1]
	v_pk_add_f32 v[74:75], v[74:75], v[86:87] neg_lo:[0,1] neg_hi:[0,1]
.LBB68_398:
	s_or_b32 exec_lo, exec_lo, s0
	v_lshl_add_u32 v76, v84, 3, v80
	s_barrier_signal -1
	s_barrier_wait -1
	ds_store_b64 v76, v[22:23]
	s_wait_dscnt 0x0
	s_barrier_signal -1
	s_barrier_wait -1
	ds_load_b64 v[76:77], v80 offset:152
	v_mov_b32_e32 v78, 19
	s_cmp_lt_i32 s14, 21
	s_cbranch_scc1 .LBB68_401
; %bb.399:
	v_add3_u32 v79, v81, 0, 0xa0
	v_mov_b32_e32 v78, 19
	s_mov_b32 s0, 20
.LBB68_400:                             ; =>This Inner Loop Header: Depth=1
	ds_load_b64 v[86:87], v79
	s_wait_dscnt 0x1
	v_cmp_gt_f32_e32 vcc_lo, 0, v76
	v_cndmask_b32_e64 v88, v76, -v76, vcc_lo
	v_cmp_gt_f32_e32 vcc_lo, 0, v77
	v_cndmask_b32_e64 v90, v77, -v77, vcc_lo
	s_wait_dscnt 0x0
	v_cmp_gt_f32_e32 vcc_lo, 0, v86
	v_cndmask_b32_e64 v89, v86, -v86, vcc_lo
	v_cmp_gt_f32_e32 vcc_lo, 0, v87
	v_cndmask_b32_e64 v91, v87, -v87, vcc_lo
	s_delay_alu instid0(VALU_DEP_1) | instskip(NEXT) | instid1(VALU_DEP_1)
	v_pk_add_f32 v[88:89], v[88:89], v[90:91]
	v_cmp_lt_f32_e32 vcc_lo, v88, v89
	v_dual_cndmask_b32 v76, v76, v86 :: v_dual_add_nc_u32 v79, 8, v79
	v_cndmask_b32_e32 v77, v77, v87, vcc_lo
	v_cndmask_b32_e64 v78, v78, s0, vcc_lo
	s_add_co_i32 s0, s0, 1
	s_delay_alu instid0(SALU_CYCLE_1)
	s_cmp_lg_u32 s14, s0
	s_cbranch_scc1 .LBB68_400
.LBB68_401:
	s_wait_dscnt 0x0
	v_cmp_eq_f32_e32 vcc_lo, 0, v76
	v_cmp_eq_f32_e64 s0, 0, v77
	s_and_b32 s0, vcc_lo, s0
	s_delay_alu instid0(SALU_CYCLE_1) | instskip(NEXT) | instid1(SALU_CYCLE_1)
	s_and_saveexec_b32 s1, s0
	s_xor_b32 s0, exec_lo, s1
; %bb.402:
	v_cmp_ne_u32_e32 vcc_lo, 0, v82
	v_cndmask_b32_e32 v82, 20, v82, vcc_lo
; %bb.403:
	s_and_not1_saveexec_b32 s0, s0
	s_cbranch_execz .LBB68_409
; %bb.404:
	v_cmp_ngt_f32_e64 s1, |v76|, |v77|
	s_and_saveexec_b32 s15, s1
	s_delay_alu instid0(SALU_CYCLE_1)
	s_xor_b32 s1, exec_lo, s15
	s_cbranch_execz .LBB68_406
; %bb.405:
	v_div_scale_f32 v79, null, v77, v77, v76
	v_div_scale_f32 v87, vcc_lo, v76, v77, v76
	s_delay_alu instid0(VALU_DEP_2) | instskip(SKIP_1) | instid1(TRANS32_DEP_1)
	v_rcp_f32_e32 v85, v79
	v_nop
	v_fma_f32 v86, -v79, v85, 1.0
	s_delay_alu instid0(VALU_DEP_1) | instskip(NEXT) | instid1(VALU_DEP_1)
	v_fmac_f32_e32 v85, v86, v85
	v_mul_f32_e32 v86, v87, v85
	s_delay_alu instid0(VALU_DEP_1) | instskip(NEXT) | instid1(VALU_DEP_1)
	v_fma_f32 v88, -v79, v86, v87
	v_fmac_f32_e32 v86, v88, v85
	s_delay_alu instid0(VALU_DEP_1) | instskip(NEXT) | instid1(VALU_DEP_1)
	v_fma_f32 v79, -v79, v86, v87
	v_div_fmas_f32 v79, v79, v85, v86
	s_delay_alu instid0(VALU_DEP_1) | instskip(NEXT) | instid1(VALU_DEP_1)
	v_div_fixup_f32 v79, v79, v77, v76
	v_fmac_f32_e32 v77, v76, v79
	s_delay_alu instid0(VALU_DEP_1) | instskip(SKIP_1) | instid1(VALU_DEP_2)
	v_div_scale_f32 v76, null, v77, v77, 1.0
	v_div_scale_f32 v87, vcc_lo, 1.0, v77, 1.0
	v_rcp_f32_e32 v85, v76
	v_nop
	s_delay_alu instid0(TRANS32_DEP_1) | instskip(NEXT) | instid1(VALU_DEP_1)
	v_fma_f32 v86, -v76, v85, 1.0
	v_fmac_f32_e32 v85, v86, v85
	s_delay_alu instid0(VALU_DEP_1) | instskip(NEXT) | instid1(VALU_DEP_1)
	v_mul_f32_e32 v86, v87, v85
	v_fma_f32 v88, -v76, v86, v87
	s_delay_alu instid0(VALU_DEP_1) | instskip(NEXT) | instid1(VALU_DEP_1)
	v_fmac_f32_e32 v86, v88, v85
	v_fma_f32 v76, -v76, v86, v87
	s_delay_alu instid0(VALU_DEP_1) | instskip(NEXT) | instid1(VALU_DEP_1)
	v_div_fmas_f32 v76, v76, v85, v86
	v_div_fixup_f32 v77, v76, v77, 1.0
	s_delay_alu instid0(VALU_DEP_1)
	v_mul_f32_e32 v76, v79, v77
	v_xor_b32_e32 v77, 0x80000000, v77
.LBB68_406:
	s_and_not1_saveexec_b32 s1, s1
	s_cbranch_execz .LBB68_408
; %bb.407:
	s_delay_alu instid0(VALU_DEP_1) | instskip(SKIP_1) | instid1(VALU_DEP_2)
	v_div_scale_f32 v79, null, v76, v76, v77
	v_div_scale_f32 v87, vcc_lo, v77, v76, v77
	v_rcp_f32_e32 v85, v79
	v_nop
	s_delay_alu instid0(TRANS32_DEP_1) | instskip(NEXT) | instid1(VALU_DEP_1)
	v_fma_f32 v86, -v79, v85, 1.0
	v_fmac_f32_e32 v85, v86, v85
	s_delay_alu instid0(VALU_DEP_1) | instskip(NEXT) | instid1(VALU_DEP_1)
	v_mul_f32_e32 v86, v87, v85
	v_fma_f32 v88, -v79, v86, v87
	s_delay_alu instid0(VALU_DEP_1) | instskip(NEXT) | instid1(VALU_DEP_1)
	v_fmac_f32_e32 v86, v88, v85
	v_fma_f32 v79, -v79, v86, v87
	s_delay_alu instid0(VALU_DEP_1) | instskip(NEXT) | instid1(VALU_DEP_1)
	v_div_fmas_f32 v79, v79, v85, v86
	v_div_fixup_f32 v79, v79, v76, v77
	s_delay_alu instid0(VALU_DEP_1) | instskip(NEXT) | instid1(VALU_DEP_1)
	v_fmac_f32_e32 v76, v77, v79
	v_div_scale_f32 v77, null, v76, v76, 1.0
	s_delay_alu instid0(VALU_DEP_1) | instskip(SKIP_1) | instid1(TRANS32_DEP_1)
	v_rcp_f32_e32 v85, v77
	v_nop
	v_fma_f32 v86, -v77, v85, 1.0
	s_delay_alu instid0(VALU_DEP_1) | instskip(SKIP_1) | instid1(VALU_DEP_1)
	v_fmac_f32_e32 v85, v86, v85
	v_div_scale_f32 v86, vcc_lo, 1.0, v76, 1.0
	v_mul_f32_e32 v87, v86, v85
	s_delay_alu instid0(VALU_DEP_1) | instskip(NEXT) | instid1(VALU_DEP_1)
	v_fma_f32 v88, -v77, v87, v86
	v_fmac_f32_e32 v87, v88, v85
	s_delay_alu instid0(VALU_DEP_1) | instskip(NEXT) | instid1(VALU_DEP_1)
	v_fma_f32 v77, -v77, v87, v86
	v_div_fmas_f32 v77, v77, v85, v87
	s_delay_alu instid0(VALU_DEP_1) | instskip(NEXT) | instid1(VALU_DEP_1)
	v_div_fixup_f32 v76, v77, v76, 1.0
	v_mul_f32_e64 v77, v79, -v76
.LBB68_408:
	s_or_b32 exec_lo, exec_lo, s1
.LBB68_409:
	s_delay_alu instid0(SALU_CYCLE_1) | instskip(NEXT) | instid1(SALU_CYCLE_1)
	s_or_b32 exec_lo, exec_lo, s0
	s_mov_b32 s0, exec_lo
	v_cmpx_ne_u32_e64 v84, v78
	s_xor_b32 s0, exec_lo, s0
	s_cbranch_execz .LBB68_415
; %bb.410:
	s_mov_b32 s1, exec_lo
	v_cmpx_eq_u32_e32 19, v84
	s_cbranch_execz .LBB68_414
; %bb.411:
	v_cmp_ne_u32_e32 vcc_lo, 19, v78
	s_xor_b32 s15, s12, -1
	s_delay_alu instid0(SALU_CYCLE_1) | instskip(NEXT) | instid1(SALU_CYCLE_1)
	s_and_b32 s16, s15, vcc_lo
	s_and_saveexec_b32 s15, s16
	s_cbranch_execz .LBB68_413
; %bb.412:
	v_ashrrev_i32_e32 v79, 31, v78
	s_delay_alu instid0(VALU_DEP_1)
	v_lshl_add_u64 v[84:85], v[78:79], 2, v[4:5]
	s_clause 0x1
	global_load_b32 v79, v[84:85], off
	global_load_b32 v83, v[4:5], off offset:76
	s_wait_loadcnt 0x1
	global_store_b32 v[4:5], v79, off offset:76
	s_wait_loadcnt 0x0
	global_store_b32 v[84:85], v83, off
.LBB68_413:
	s_wait_xcnt 0x0
	s_or_b32 exec_lo, exec_lo, s15
	v_dual_mov_b32 v84, v78 :: v_dual_mov_b32 v83, v78
.LBB68_414:
	s_or_b32 exec_lo, exec_lo, s1
.LBB68_415:
	s_and_not1_saveexec_b32 s0, s0
	s_cbranch_execz .LBB68_417
; %bb.416:
	v_dual_mov_b32 v78, v60 :: v_dual_mov_b32 v79, v61
	v_dual_mov_b32 v84, v58 :: v_dual_mov_b32 v85, v59
	ds_store_2addr_b64 v80, v[78:79], v[84:85] offset0:20 offset1:21
	v_dual_mov_b32 v78, v32 :: v_dual_mov_b32 v79, v33
	v_dual_mov_b32 v84, v30 :: v_dual_mov_b32 v85, v31
	ds_store_2addr_b64 v80, v[78:79], v[84:85] offset0:22 offset1:23
	;; [unrolled: 3-line block ×7, first 2 shown]
	ds_store_b64 v80, v[74:75] offset:272
	v_mov_b32_e32 v84, 19
.LBB68_417:
	s_or_b32 exec_lo, exec_lo, s0
	s_delay_alu instid0(SALU_CYCLE_1)
	s_mov_b32 s0, exec_lo
	s_wait_storecnt_dscnt 0x0
	s_barrier_signal -1
	s_barrier_wait -1
	v_cmpx_lt_i32_e32 19, v84
	s_cbranch_execz .LBB68_419
; %bb.418:
	v_pk_mul_f32 v[86:87], v[76:77], v[22:23] op_sel:[1,1] op_sel_hi:[0,1]
	s_delay_alu instid0(VALU_DEP_1)
	v_pk_fma_f32 v[78:79], v[76:77], v[22:23], v[86:87] op_sel_hi:[1,0,1] neg_lo:[0,0,1] neg_hi:[0,0,1]
	v_pk_fma_f32 v[76:77], v[76:77], v[22:23], v[86:87] op_sel_hi:[1,0,1]
	ds_load_2addr_b64 v[86:89], v80 offset0:20 offset1:21
	v_dual_mov_b32 v22, v78 :: v_dual_mov_b32 v23, v77
	s_wait_dscnt 0x0
	v_pk_mul_f32 v[90:91], v[86:87], v[76:77] op_sel:[0,1]
	s_delay_alu instid0(VALU_DEP_1) | instskip(SKIP_1) | instid1(VALU_DEP_1)
	v_pk_fma_f32 v[92:93], v[86:87], v[78:79], v[90:91] op_sel:[0,0,1] op_sel_hi:[1,1,0] neg_lo:[0,0,1] neg_hi:[0,0,1]
	v_pk_fma_f32 v[86:87], v[86:87], v[78:79], v[90:91] op_sel:[0,0,1] op_sel_hi:[1,0,0]
	v_mov_b32_e32 v93, v87
	v_pk_mul_f32 v[86:87], v[88:89], v[76:77] op_sel:[0,1]
	s_delay_alu instid0(VALU_DEP_1) | instskip(SKIP_1) | instid1(VALU_DEP_1)
	v_pk_fma_f32 v[90:91], v[88:89], v[78:79], v[86:87] op_sel:[0,0,1] op_sel_hi:[1,1,0] neg_lo:[0,0,1] neg_hi:[0,0,1]
	v_pk_fma_f32 v[86:87], v[88:89], v[78:79], v[86:87] op_sel:[0,0,1] op_sel_hi:[1,0,0]
	v_mov_b32_e32 v91, v87
	ds_load_2addr_b64 v[86:89], v80 offset0:22 offset1:23
	v_pk_add_f32 v[60:61], v[60:61], v[92:93] neg_lo:[0,1] neg_hi:[0,1]
	v_pk_add_f32 v[58:59], v[58:59], v[90:91] neg_lo:[0,1] neg_hi:[0,1]
	s_wait_dscnt 0x0
	v_pk_mul_f32 v[90:91], v[86:87], v[76:77] op_sel:[0,1]
	s_delay_alu instid0(VALU_DEP_1) | instskip(SKIP_2) | instid1(VALU_DEP_2)
	v_pk_fma_f32 v[92:93], v[86:87], v[78:79], v[90:91] op_sel:[0,0,1] op_sel_hi:[1,1,0] neg_lo:[0,0,1] neg_hi:[0,0,1]
	v_pk_fma_f32 v[86:87], v[86:87], v[78:79], v[90:91] op_sel:[0,0,1] op_sel_hi:[1,0,0]
	v_dual_mul_f32 v90, v89, v77 :: v_dual_mov_b32 v86, v89
	v_dual_mov_b32 v93, v87 :: v_dual_mov_b32 v87, v88
	s_delay_alu instid0(VALU_DEP_2) | instskip(SKIP_1) | instid1(VALU_DEP_3)
	v_pk_fma_f32 v[90:91], v[88:89], v[22:23], v[90:91] op_sel_hi:[1,1,0] neg_lo:[0,0,1] neg_hi:[0,0,1]
	v_mul_f32_e32 v88, v89, v78
	v_pk_add_f32 v[32:33], v[32:33], v[92:93] neg_lo:[0,1] neg_hi:[0,1]
	s_delay_alu instid0(VALU_DEP_2) | instskip(NEXT) | instid1(VALU_DEP_1)
	v_pk_fma_f32 v[86:87], v[86:87], v[22:23], v[88:89] op_sel_hi:[1,1,0]
	v_mov_b32_e32 v91, v87
	ds_load_2addr_b64 v[86:89], v80 offset0:24 offset1:25
	v_pk_add_f32 v[30:31], v[30:31], v[90:91] neg_lo:[0,1] neg_hi:[0,1]
	s_wait_dscnt 0x0
	v_pk_mul_f32 v[90:91], v[86:87], v[76:77] op_sel:[0,1]
	s_delay_alu instid0(VALU_DEP_1) | instskip(SKIP_1) | instid1(VALU_DEP_1)
	v_pk_fma_f32 v[92:93], v[86:87], v[78:79], v[90:91] op_sel:[0,0,1] op_sel_hi:[1,1,0] neg_lo:[0,0,1] neg_hi:[0,0,1]
	v_pk_fma_f32 v[86:87], v[86:87], v[78:79], v[90:91] op_sel:[0,0,1] op_sel_hi:[1,0,0]
	v_mov_b32_e32 v93, v87
	v_pk_mul_f32 v[86:87], v[88:89], v[76:77] op_sel:[0,1]
	s_delay_alu instid0(VALU_DEP_1) | instskip(SKIP_1) | instid1(VALU_DEP_1)
	v_pk_fma_f32 v[90:91], v[88:89], v[78:79], v[86:87] op_sel:[0,0,1] op_sel_hi:[1,1,0] neg_lo:[0,0,1] neg_hi:[0,0,1]
	v_pk_fma_f32 v[86:87], v[88:89], v[78:79], v[86:87] op_sel:[0,0,1] op_sel_hi:[1,0,0]
	v_mov_b32_e32 v91, v87
	ds_load_2addr_b64 v[86:89], v80 offset0:26 offset1:27
	v_pk_add_f32 v[68:69], v[68:69], v[92:93] neg_lo:[0,1] neg_hi:[0,1]
	v_pk_add_f32 v[66:67], v[66:67], v[90:91] neg_lo:[0,1] neg_hi:[0,1]
	s_wait_dscnt 0x0
	v_pk_mul_f32 v[90:91], v[86:87], v[76:77] op_sel:[0,1]
	s_delay_alu instid0(VALU_DEP_1) | instskip(SKIP_1) | instid1(VALU_DEP_1)
	v_pk_fma_f32 v[92:93], v[86:87], v[78:79], v[90:91] op_sel:[0,0,1] op_sel_hi:[1,1,0] neg_lo:[0,0,1] neg_hi:[0,0,1]
	v_pk_fma_f32 v[86:87], v[86:87], v[78:79], v[90:91] op_sel:[0,0,1] op_sel_hi:[1,0,0]
	v_mov_b32_e32 v93, v87
	v_pk_mul_f32 v[86:87], v[88:89], v[76:77] op_sel:[0,1]
	s_delay_alu instid0(VALU_DEP_1) | instskip(SKIP_1) | instid1(VALU_DEP_1)
	v_pk_fma_f32 v[90:91], v[88:89], v[78:79], v[86:87] op_sel:[0,0,1] op_sel_hi:[1,1,0] neg_lo:[0,0,1] neg_hi:[0,0,1]
	v_pk_fma_f32 v[86:87], v[88:89], v[78:79], v[86:87] op_sel:[0,0,1] op_sel_hi:[1,0,0]
	v_mov_b32_e32 v91, v87
	ds_load_2addr_b64 v[86:89], v80 offset0:28 offset1:29
	v_pk_add_f32 v[42:43], v[42:43], v[92:93] neg_lo:[0,1] neg_hi:[0,1]
	v_pk_add_f32 v[40:41], v[40:41], v[90:91] neg_lo:[0,1] neg_hi:[0,1]
	s_wait_dscnt 0x0
	v_dual_mul_f32 v90, v87, v77 :: v_dual_mul_f32 v92, v87, v78
	s_delay_alu instid0(VALU_DEP_1) | instskip(NEXT) | instid1(VALU_DEP_2)
	v_pk_fma_f32 v[90:91], v[86:87], v[22:23], v[90:91] op_sel_hi:[1,1,0] neg_lo:[0,0,1] neg_hi:[0,0,1]
	v_pk_fma_f32 v[86:87], v[86:87], v[22:23], v[92:93] op_sel:[1,0,0] op_sel_hi:[0,1,0]
	s_delay_alu instid0(VALU_DEP_1) | instskip(SKIP_1) | instid1(VALU_DEP_2)
	v_mov_b32_e32 v91, v87
	v_pk_mul_f32 v[86:87], v[88:89], v[76:77] op_sel:[0,1]
	v_pk_add_f32 v[64:65], v[64:65], v[90:91] neg_lo:[0,1] neg_hi:[0,1]
	s_delay_alu instid0(VALU_DEP_2) | instskip(SKIP_1) | instid1(VALU_DEP_1)
	v_pk_fma_f32 v[90:91], v[88:89], v[78:79], v[86:87] op_sel:[0,0,1] op_sel_hi:[1,1,0] neg_lo:[0,0,1] neg_hi:[0,0,1]
	v_pk_fma_f32 v[86:87], v[88:89], v[78:79], v[86:87] op_sel:[0,0,1] op_sel_hi:[1,0,0]
	v_mov_b32_e32 v91, v87
	ds_load_2addr_b64 v[86:89], v80 offset0:30 offset1:31
	v_pk_add_f32 v[62:63], v[62:63], v[90:91] neg_lo:[0,1] neg_hi:[0,1]
	s_wait_dscnt 0x0
	v_pk_mul_f32 v[90:91], v[86:87], v[76:77] op_sel:[0,1]
	s_delay_alu instid0(VALU_DEP_1) | instskip(SKIP_1) | instid1(VALU_DEP_1)
	v_pk_fma_f32 v[92:93], v[86:87], v[78:79], v[90:91] op_sel:[0,0,1] op_sel_hi:[1,1,0] neg_lo:[0,0,1] neg_hi:[0,0,1]
	v_pk_fma_f32 v[86:87], v[86:87], v[78:79], v[90:91] op_sel:[0,0,1] op_sel_hi:[1,0,0]
	v_mov_b32_e32 v93, v87
	v_pk_mul_f32 v[86:87], v[88:89], v[76:77] op_sel:[0,1]
	s_delay_alu instid0(VALU_DEP_2) | instskip(NEXT) | instid1(VALU_DEP_2)
	v_pk_add_f32 v[46:47], v[46:47], v[92:93] neg_lo:[0,1] neg_hi:[0,1]
	v_pk_fma_f32 v[90:91], v[88:89], v[78:79], v[86:87] op_sel:[0,0,1] op_sel_hi:[1,1,0] neg_lo:[0,0,1] neg_hi:[0,0,1]
	v_pk_fma_f32 v[86:87], v[88:89], v[78:79], v[86:87] op_sel:[0,0,1] op_sel_hi:[1,0,0]
	s_delay_alu instid0(VALU_DEP_1) | instskip(SKIP_4) | instid1(VALU_DEP_1)
	v_mov_b32_e32 v91, v87
	ds_load_2addr_b64 v[86:89], v80 offset0:32 offset1:33
	v_pk_add_f32 v[44:45], v[44:45], v[90:91] neg_lo:[0,1] neg_hi:[0,1]
	s_wait_dscnt 0x0
	v_pk_mul_f32 v[90:91], v[86:87], v[76:77] op_sel:[0,1]
	v_pk_fma_f32 v[92:93], v[86:87], v[78:79], v[90:91] op_sel:[0,0,1] op_sel_hi:[1,1,0] neg_lo:[0,0,1] neg_hi:[0,0,1]
	v_pk_fma_f32 v[86:87], v[86:87], v[78:79], v[90:91] op_sel:[0,0,1] op_sel_hi:[1,0,0]
	v_dual_mul_f32 v90, v89, v77 :: v_dual_mov_b32 v86, v89
	s_delay_alu instid0(VALU_DEP_2) | instskip(NEXT) | instid1(VALU_DEP_2)
	v_dual_mov_b32 v93, v87 :: v_dual_mov_b32 v87, v88
	v_pk_fma_f32 v[90:91], v[88:89], v[22:23], v[90:91] op_sel_hi:[1,1,0] neg_lo:[0,0,1] neg_hi:[0,0,1]
	v_mul_f32_e32 v88, v89, v78
	s_delay_alu instid0(VALU_DEP_3) | instskip(NEXT) | instid1(VALU_DEP_2)
	v_pk_add_f32 v[54:55], v[54:55], v[92:93] neg_lo:[0,1] neg_hi:[0,1]
	v_pk_fma_f32 v[86:87], v[86:87], v[22:23], v[88:89] op_sel_hi:[1,1,0]
	s_delay_alu instid0(VALU_DEP_1) | instskip(SKIP_4) | instid1(VALU_DEP_1)
	v_mov_b32_e32 v91, v87
	ds_load_b64 v[86:87], v80 offset:272
	v_pk_add_f32 v[52:53], v[52:53], v[90:91] neg_lo:[0,1] neg_hi:[0,1]
	s_wait_dscnt 0x0
	v_pk_mul_f32 v[76:77], v[86:87], v[76:77] op_sel:[0,1]
	v_pk_fma_f32 v[88:89], v[86:87], v[78:79], v[76:77] op_sel:[0,0,1] op_sel_hi:[1,1,0] neg_lo:[0,0,1] neg_hi:[0,0,1]
	v_pk_fma_f32 v[76:77], v[86:87], v[78:79], v[76:77] op_sel:[0,0,1] op_sel_hi:[1,0,0]
	s_delay_alu instid0(VALU_DEP_1) | instskip(NEXT) | instid1(VALU_DEP_1)
	v_mov_b32_e32 v89, v77
	v_pk_add_f32 v[74:75], v[74:75], v[88:89] neg_lo:[0,1] neg_hi:[0,1]
.LBB68_419:
	s_or_b32 exec_lo, exec_lo, s0
	v_lshl_add_u32 v76, v84, 3, v80
	s_barrier_signal -1
	s_barrier_wait -1
	ds_store_b64 v76, v[60:61]
	s_wait_dscnt 0x0
	s_barrier_signal -1
	s_barrier_wait -1
	ds_load_b64 v[76:77], v80 offset:160
	v_mov_b32_e32 v78, 20
	s_cmp_lt_i32 s14, 22
	s_cbranch_scc1 .LBB68_422
; %bb.420:
	v_add3_u32 v79, v81, 0, 0xa8
	v_mov_b32_e32 v78, 20
	s_mov_b32 s0, 21
.LBB68_421:                             ; =>This Inner Loop Header: Depth=1
	ds_load_b64 v[86:87], v79
	s_wait_dscnt 0x1
	v_cmp_gt_f32_e32 vcc_lo, 0, v76
	v_cndmask_b32_e64 v88, v76, -v76, vcc_lo
	v_cmp_gt_f32_e32 vcc_lo, 0, v77
	v_cndmask_b32_e64 v90, v77, -v77, vcc_lo
	s_wait_dscnt 0x0
	v_cmp_gt_f32_e32 vcc_lo, 0, v86
	v_cndmask_b32_e64 v89, v86, -v86, vcc_lo
	v_cmp_gt_f32_e32 vcc_lo, 0, v87
	v_cndmask_b32_e64 v91, v87, -v87, vcc_lo
	s_delay_alu instid0(VALU_DEP_1) | instskip(NEXT) | instid1(VALU_DEP_1)
	v_pk_add_f32 v[88:89], v[88:89], v[90:91]
	v_cmp_lt_f32_e32 vcc_lo, v88, v89
	v_dual_cndmask_b32 v76, v76, v86 :: v_dual_add_nc_u32 v79, 8, v79
	v_cndmask_b32_e32 v77, v77, v87, vcc_lo
	v_cndmask_b32_e64 v78, v78, s0, vcc_lo
	s_add_co_i32 s0, s0, 1
	s_delay_alu instid0(SALU_CYCLE_1)
	s_cmp_lg_u32 s14, s0
	s_cbranch_scc1 .LBB68_421
.LBB68_422:
	s_wait_dscnt 0x0
	v_cmp_eq_f32_e32 vcc_lo, 0, v76
	v_cmp_eq_f32_e64 s0, 0, v77
	s_and_b32 s0, vcc_lo, s0
	s_delay_alu instid0(SALU_CYCLE_1) | instskip(NEXT) | instid1(SALU_CYCLE_1)
	s_and_saveexec_b32 s1, s0
	s_xor_b32 s0, exec_lo, s1
; %bb.423:
	v_cmp_ne_u32_e32 vcc_lo, 0, v82
	v_cndmask_b32_e32 v82, 21, v82, vcc_lo
; %bb.424:
	s_and_not1_saveexec_b32 s0, s0
	s_cbranch_execz .LBB68_430
; %bb.425:
	v_cmp_ngt_f32_e64 s1, |v76|, |v77|
	s_and_saveexec_b32 s15, s1
	s_delay_alu instid0(SALU_CYCLE_1)
	s_xor_b32 s1, exec_lo, s15
	s_cbranch_execz .LBB68_427
; %bb.426:
	v_div_scale_f32 v79, null, v77, v77, v76
	v_div_scale_f32 v87, vcc_lo, v76, v77, v76
	s_delay_alu instid0(VALU_DEP_2) | instskip(SKIP_1) | instid1(TRANS32_DEP_1)
	v_rcp_f32_e32 v85, v79
	v_nop
	v_fma_f32 v86, -v79, v85, 1.0
	s_delay_alu instid0(VALU_DEP_1) | instskip(NEXT) | instid1(VALU_DEP_1)
	v_fmac_f32_e32 v85, v86, v85
	v_mul_f32_e32 v86, v87, v85
	s_delay_alu instid0(VALU_DEP_1) | instskip(NEXT) | instid1(VALU_DEP_1)
	v_fma_f32 v88, -v79, v86, v87
	v_fmac_f32_e32 v86, v88, v85
	s_delay_alu instid0(VALU_DEP_1) | instskip(NEXT) | instid1(VALU_DEP_1)
	v_fma_f32 v79, -v79, v86, v87
	v_div_fmas_f32 v79, v79, v85, v86
	s_delay_alu instid0(VALU_DEP_1) | instskip(NEXT) | instid1(VALU_DEP_1)
	v_div_fixup_f32 v79, v79, v77, v76
	v_fmac_f32_e32 v77, v76, v79
	s_delay_alu instid0(VALU_DEP_1) | instskip(SKIP_1) | instid1(VALU_DEP_2)
	v_div_scale_f32 v76, null, v77, v77, 1.0
	v_div_scale_f32 v87, vcc_lo, 1.0, v77, 1.0
	v_rcp_f32_e32 v85, v76
	v_nop
	s_delay_alu instid0(TRANS32_DEP_1) | instskip(NEXT) | instid1(VALU_DEP_1)
	v_fma_f32 v86, -v76, v85, 1.0
	v_fmac_f32_e32 v85, v86, v85
	s_delay_alu instid0(VALU_DEP_1) | instskip(NEXT) | instid1(VALU_DEP_1)
	v_mul_f32_e32 v86, v87, v85
	v_fma_f32 v88, -v76, v86, v87
	s_delay_alu instid0(VALU_DEP_1) | instskip(NEXT) | instid1(VALU_DEP_1)
	v_fmac_f32_e32 v86, v88, v85
	v_fma_f32 v76, -v76, v86, v87
	s_delay_alu instid0(VALU_DEP_1) | instskip(NEXT) | instid1(VALU_DEP_1)
	v_div_fmas_f32 v76, v76, v85, v86
	v_div_fixup_f32 v77, v76, v77, 1.0
	s_delay_alu instid0(VALU_DEP_1)
	v_mul_f32_e32 v76, v79, v77
	v_xor_b32_e32 v77, 0x80000000, v77
.LBB68_427:
	s_and_not1_saveexec_b32 s1, s1
	s_cbranch_execz .LBB68_429
; %bb.428:
	s_delay_alu instid0(VALU_DEP_1) | instskip(SKIP_1) | instid1(VALU_DEP_2)
	v_div_scale_f32 v79, null, v76, v76, v77
	v_div_scale_f32 v87, vcc_lo, v77, v76, v77
	v_rcp_f32_e32 v85, v79
	v_nop
	s_delay_alu instid0(TRANS32_DEP_1) | instskip(NEXT) | instid1(VALU_DEP_1)
	v_fma_f32 v86, -v79, v85, 1.0
	v_fmac_f32_e32 v85, v86, v85
	s_delay_alu instid0(VALU_DEP_1) | instskip(NEXT) | instid1(VALU_DEP_1)
	v_mul_f32_e32 v86, v87, v85
	v_fma_f32 v88, -v79, v86, v87
	s_delay_alu instid0(VALU_DEP_1) | instskip(NEXT) | instid1(VALU_DEP_1)
	v_fmac_f32_e32 v86, v88, v85
	v_fma_f32 v79, -v79, v86, v87
	s_delay_alu instid0(VALU_DEP_1) | instskip(NEXT) | instid1(VALU_DEP_1)
	v_div_fmas_f32 v79, v79, v85, v86
	v_div_fixup_f32 v79, v79, v76, v77
	s_delay_alu instid0(VALU_DEP_1) | instskip(NEXT) | instid1(VALU_DEP_1)
	v_fmac_f32_e32 v76, v77, v79
	v_div_scale_f32 v77, null, v76, v76, 1.0
	s_delay_alu instid0(VALU_DEP_1) | instskip(SKIP_1) | instid1(TRANS32_DEP_1)
	v_rcp_f32_e32 v85, v77
	v_nop
	v_fma_f32 v86, -v77, v85, 1.0
	s_delay_alu instid0(VALU_DEP_1) | instskip(SKIP_1) | instid1(VALU_DEP_1)
	v_fmac_f32_e32 v85, v86, v85
	v_div_scale_f32 v86, vcc_lo, 1.0, v76, 1.0
	v_mul_f32_e32 v87, v86, v85
	s_delay_alu instid0(VALU_DEP_1) | instskip(NEXT) | instid1(VALU_DEP_1)
	v_fma_f32 v88, -v77, v87, v86
	v_fmac_f32_e32 v87, v88, v85
	s_delay_alu instid0(VALU_DEP_1) | instskip(NEXT) | instid1(VALU_DEP_1)
	v_fma_f32 v77, -v77, v87, v86
	v_div_fmas_f32 v77, v77, v85, v87
	s_delay_alu instid0(VALU_DEP_1) | instskip(NEXT) | instid1(VALU_DEP_1)
	v_div_fixup_f32 v76, v77, v76, 1.0
	v_mul_f32_e64 v77, v79, -v76
.LBB68_429:
	s_or_b32 exec_lo, exec_lo, s1
.LBB68_430:
	s_delay_alu instid0(SALU_CYCLE_1) | instskip(NEXT) | instid1(SALU_CYCLE_1)
	s_or_b32 exec_lo, exec_lo, s0
	s_mov_b32 s0, exec_lo
	v_cmpx_ne_u32_e64 v84, v78
	s_xor_b32 s0, exec_lo, s0
	s_cbranch_execz .LBB68_436
; %bb.431:
	s_mov_b32 s1, exec_lo
	v_cmpx_eq_u32_e32 20, v84
	s_cbranch_execz .LBB68_435
; %bb.432:
	v_cmp_ne_u32_e32 vcc_lo, 20, v78
	s_xor_b32 s15, s12, -1
	s_delay_alu instid0(SALU_CYCLE_1) | instskip(NEXT) | instid1(SALU_CYCLE_1)
	s_and_b32 s16, s15, vcc_lo
	s_and_saveexec_b32 s15, s16
	s_cbranch_execz .LBB68_434
; %bb.433:
	v_ashrrev_i32_e32 v79, 31, v78
	s_delay_alu instid0(VALU_DEP_1)
	v_lshl_add_u64 v[84:85], v[78:79], 2, v[4:5]
	s_clause 0x1
	global_load_b32 v79, v[84:85], off
	global_load_b32 v83, v[4:5], off offset:80
	s_wait_loadcnt 0x1
	global_store_b32 v[4:5], v79, off offset:80
	s_wait_loadcnt 0x0
	global_store_b32 v[84:85], v83, off
.LBB68_434:
	s_wait_xcnt 0x0
	s_or_b32 exec_lo, exec_lo, s15
	v_dual_mov_b32 v84, v78 :: v_dual_mov_b32 v83, v78
.LBB68_435:
	s_or_b32 exec_lo, exec_lo, s1
.LBB68_436:
	s_and_not1_saveexec_b32 s0, s0
	s_cbranch_execz .LBB68_438
; %bb.437:
	v_mov_b32_e32 v84, 20
	ds_store_2addr_b64 v80, v[58:59], v[32:33] offset0:21 offset1:22
	ds_store_2addr_b64 v80, v[30:31], v[68:69] offset0:23 offset1:24
	;; [unrolled: 1-line block ×7, first 2 shown]
.LBB68_438:
	s_or_b32 exec_lo, exec_lo, s0
	s_delay_alu instid0(SALU_CYCLE_1)
	s_mov_b32 s0, exec_lo
	s_wait_storecnt_dscnt 0x0
	s_barrier_signal -1
	s_barrier_wait -1
	v_cmpx_lt_i32_e32 20, v84
	s_cbranch_execz .LBB68_440
; %bb.439:
	v_pk_mul_f32 v[78:79], v[76:77], v[60:61] op_sel:[1,1] op_sel_hi:[0,1]
	s_delay_alu instid0(VALU_DEP_1)
	v_pk_fma_f32 v[86:87], v[76:77], v[60:61], v[78:79] op_sel_hi:[1,0,1] neg_lo:[0,0,1] neg_hi:[0,0,1]
	v_pk_fma_f32 v[88:89], v[76:77], v[60:61], v[78:79] op_sel_hi:[1,0,1]
	ds_load_2addr_b64 v[76:79], v80 offset0:21 offset1:22
	v_dual_mov_b32 v60, v86 :: v_dual_mov_b32 v61, v89
	s_wait_dscnt 0x0
	v_pk_mul_f32 v[90:91], v[76:77], v[88:89] op_sel:[0,1]
	s_delay_alu instid0(VALU_DEP_1) | instskip(SKIP_1) | instid1(VALU_DEP_1)
	v_pk_fma_f32 v[92:93], v[76:77], v[86:87], v[90:91] op_sel:[0,0,1] op_sel_hi:[1,1,0] neg_lo:[0,0,1] neg_hi:[0,0,1]
	v_pk_fma_f32 v[76:77], v[76:77], v[86:87], v[90:91] op_sel:[0,0,1] op_sel_hi:[1,0,0]
	v_mov_b32_e32 v93, v77
	v_pk_mul_f32 v[76:77], v[78:79], v[88:89] op_sel:[0,1]
	s_delay_alu instid0(VALU_DEP_1) | instskip(SKIP_1) | instid1(VALU_DEP_1)
	v_pk_fma_f32 v[90:91], v[78:79], v[86:87], v[76:77] op_sel:[0,0,1] op_sel_hi:[1,1,0] neg_lo:[0,0,1] neg_hi:[0,0,1]
	v_pk_fma_f32 v[76:77], v[78:79], v[86:87], v[76:77] op_sel:[0,0,1] op_sel_hi:[1,0,0]
	v_mov_b32_e32 v91, v77
	ds_load_2addr_b64 v[76:79], v80 offset0:23 offset1:24
	v_pk_add_f32 v[58:59], v[58:59], v[92:93] neg_lo:[0,1] neg_hi:[0,1]
	v_pk_add_f32 v[32:33], v[32:33], v[90:91] neg_lo:[0,1] neg_hi:[0,1]
	s_wait_dscnt 0x0
	v_pk_mul_f32 v[90:91], v[76:77], v[88:89] op_sel:[0,1]
	s_delay_alu instid0(VALU_DEP_1) | instskip(SKIP_2) | instid1(VALU_DEP_2)
	v_pk_fma_f32 v[92:93], v[76:77], v[86:87], v[90:91] op_sel:[0,0,1] op_sel_hi:[1,1,0] neg_lo:[0,0,1] neg_hi:[0,0,1]
	v_pk_fma_f32 v[76:77], v[76:77], v[86:87], v[90:91] op_sel:[0,0,1] op_sel_hi:[1,0,0]
	v_dual_mul_f32 v90, v79, v89 :: v_dual_mov_b32 v76, v79
	v_dual_mov_b32 v93, v77 :: v_dual_mov_b32 v77, v78
	s_delay_alu instid0(VALU_DEP_2) | instskip(SKIP_1) | instid1(VALU_DEP_3)
	v_pk_fma_f32 v[90:91], v[78:79], v[60:61], v[90:91] op_sel_hi:[1,1,0] neg_lo:[0,0,1] neg_hi:[0,0,1]
	v_mul_f32_e32 v78, v79, v86
	v_pk_add_f32 v[30:31], v[30:31], v[92:93] neg_lo:[0,1] neg_hi:[0,1]
	s_delay_alu instid0(VALU_DEP_2) | instskip(NEXT) | instid1(VALU_DEP_1)
	v_pk_fma_f32 v[76:77], v[76:77], v[60:61], v[78:79] op_sel_hi:[1,1,0]
	v_mov_b32_e32 v91, v77
	ds_load_2addr_b64 v[76:79], v80 offset0:25 offset1:26
	v_pk_add_f32 v[68:69], v[68:69], v[90:91] neg_lo:[0,1] neg_hi:[0,1]
	s_wait_dscnt 0x0
	v_pk_mul_f32 v[90:91], v[76:77], v[88:89] op_sel:[0,1]
	s_delay_alu instid0(VALU_DEP_1) | instskip(SKIP_1) | instid1(VALU_DEP_1)
	v_pk_fma_f32 v[92:93], v[76:77], v[86:87], v[90:91] op_sel:[0,0,1] op_sel_hi:[1,1,0] neg_lo:[0,0,1] neg_hi:[0,0,1]
	v_pk_fma_f32 v[76:77], v[76:77], v[86:87], v[90:91] op_sel:[0,0,1] op_sel_hi:[1,0,0]
	v_mov_b32_e32 v93, v77
	v_pk_mul_f32 v[76:77], v[78:79], v[88:89] op_sel:[0,1]
	s_delay_alu instid0(VALU_DEP_1) | instskip(SKIP_1) | instid1(VALU_DEP_1)
	v_pk_fma_f32 v[90:91], v[78:79], v[86:87], v[76:77] op_sel:[0,0,1] op_sel_hi:[1,1,0] neg_lo:[0,0,1] neg_hi:[0,0,1]
	v_pk_fma_f32 v[76:77], v[78:79], v[86:87], v[76:77] op_sel:[0,0,1] op_sel_hi:[1,0,0]
	v_mov_b32_e32 v91, v77
	ds_load_2addr_b64 v[76:79], v80 offset0:27 offset1:28
	v_pk_add_f32 v[66:67], v[66:67], v[92:93] neg_lo:[0,1] neg_hi:[0,1]
	v_pk_add_f32 v[42:43], v[42:43], v[90:91] neg_lo:[0,1] neg_hi:[0,1]
	s_wait_dscnt 0x0
	v_pk_mul_f32 v[90:91], v[76:77], v[88:89] op_sel:[0,1]
	s_delay_alu instid0(VALU_DEP_1) | instskip(SKIP_1) | instid1(VALU_DEP_1)
	v_pk_fma_f32 v[92:93], v[76:77], v[86:87], v[90:91] op_sel:[0,0,1] op_sel_hi:[1,1,0] neg_lo:[0,0,1] neg_hi:[0,0,1]
	v_pk_fma_f32 v[76:77], v[76:77], v[86:87], v[90:91] op_sel:[0,0,1] op_sel_hi:[1,0,0]
	v_mov_b32_e32 v93, v77
	v_pk_mul_f32 v[76:77], v[78:79], v[88:89] op_sel:[0,1]
	s_delay_alu instid0(VALU_DEP_1) | instskip(SKIP_1) | instid1(VALU_DEP_1)
	v_pk_fma_f32 v[90:91], v[78:79], v[86:87], v[76:77] op_sel:[0,0,1] op_sel_hi:[1,1,0] neg_lo:[0,0,1] neg_hi:[0,0,1]
	v_pk_fma_f32 v[76:77], v[78:79], v[86:87], v[76:77] op_sel:[0,0,1] op_sel_hi:[1,0,0]
	v_mov_b32_e32 v91, v77
	ds_load_2addr_b64 v[76:79], v80 offset0:29 offset1:30
	v_pk_add_f32 v[40:41], v[40:41], v[92:93] neg_lo:[0,1] neg_hi:[0,1]
	v_pk_add_f32 v[64:65], v[64:65], v[90:91] neg_lo:[0,1] neg_hi:[0,1]
	s_wait_dscnt 0x0
	v_dual_mul_f32 v90, v77, v89 :: v_dual_mul_f32 v92, v77, v86
	s_delay_alu instid0(VALU_DEP_1) | instskip(NEXT) | instid1(VALU_DEP_2)
	v_pk_fma_f32 v[90:91], v[76:77], v[60:61], v[90:91] op_sel_hi:[1,1,0] neg_lo:[0,0,1] neg_hi:[0,0,1]
	v_pk_fma_f32 v[76:77], v[76:77], v[60:61], v[92:93] op_sel:[1,0,0] op_sel_hi:[0,1,0]
	s_delay_alu instid0(VALU_DEP_1) | instskip(SKIP_1) | instid1(VALU_DEP_2)
	v_mov_b32_e32 v91, v77
	v_pk_mul_f32 v[76:77], v[78:79], v[88:89] op_sel:[0,1]
	v_pk_add_f32 v[62:63], v[62:63], v[90:91] neg_lo:[0,1] neg_hi:[0,1]
	s_delay_alu instid0(VALU_DEP_2) | instskip(SKIP_1) | instid1(VALU_DEP_1)
	v_pk_fma_f32 v[90:91], v[78:79], v[86:87], v[76:77] op_sel:[0,0,1] op_sel_hi:[1,1,0] neg_lo:[0,0,1] neg_hi:[0,0,1]
	v_pk_fma_f32 v[76:77], v[78:79], v[86:87], v[76:77] op_sel:[0,0,1] op_sel_hi:[1,0,0]
	v_mov_b32_e32 v91, v77
	ds_load_2addr_b64 v[76:79], v80 offset0:31 offset1:32
	v_pk_add_f32 v[46:47], v[46:47], v[90:91] neg_lo:[0,1] neg_hi:[0,1]
	s_wait_dscnt 0x0
	v_pk_mul_f32 v[90:91], v[76:77], v[88:89] op_sel:[0,1]
	s_delay_alu instid0(VALU_DEP_1) | instskip(SKIP_1) | instid1(VALU_DEP_1)
	v_pk_fma_f32 v[92:93], v[76:77], v[86:87], v[90:91] op_sel:[0,0,1] op_sel_hi:[1,1,0] neg_lo:[0,0,1] neg_hi:[0,0,1]
	v_pk_fma_f32 v[76:77], v[76:77], v[86:87], v[90:91] op_sel:[0,0,1] op_sel_hi:[1,0,0]
	v_mov_b32_e32 v93, v77
	v_pk_mul_f32 v[76:77], v[78:79], v[88:89] op_sel:[0,1]
	s_delay_alu instid0(VALU_DEP_2) | instskip(NEXT) | instid1(VALU_DEP_2)
	v_pk_add_f32 v[44:45], v[44:45], v[92:93] neg_lo:[0,1] neg_hi:[0,1]
	v_pk_fma_f32 v[90:91], v[78:79], v[86:87], v[76:77] op_sel:[0,0,1] op_sel_hi:[1,1,0] neg_lo:[0,0,1] neg_hi:[0,0,1]
	v_pk_fma_f32 v[76:77], v[78:79], v[86:87], v[76:77] op_sel:[0,0,1] op_sel_hi:[1,0,0]
	s_delay_alu instid0(VALU_DEP_1) | instskip(SKIP_4) | instid1(VALU_DEP_1)
	v_mov_b32_e32 v91, v77
	ds_load_2addr_b64 v[76:79], v80 offset0:33 offset1:34
	v_pk_add_f32 v[54:55], v[54:55], v[90:91] neg_lo:[0,1] neg_hi:[0,1]
	s_wait_dscnt 0x0
	v_pk_mul_f32 v[90:91], v[76:77], v[88:89] op_sel:[0,1]
	v_pk_fma_f32 v[92:93], v[76:77], v[86:87], v[90:91] op_sel:[0,0,1] op_sel_hi:[1,1,0] neg_lo:[0,0,1] neg_hi:[0,0,1]
	v_pk_fma_f32 v[76:77], v[76:77], v[86:87], v[90:91] op_sel:[0,0,1] op_sel_hi:[1,0,0]
	s_delay_alu instid0(VALU_DEP_1) | instskip(SKIP_1) | instid1(VALU_DEP_2)
	v_mov_b32_e32 v93, v77
	v_pk_mul_f32 v[76:77], v[78:79], v[88:89] op_sel:[0,1]
	v_pk_add_f32 v[52:53], v[52:53], v[92:93] neg_lo:[0,1] neg_hi:[0,1]
	s_delay_alu instid0(VALU_DEP_2) | instskip(SKIP_1) | instid1(VALU_DEP_1)
	v_pk_fma_f32 v[88:89], v[78:79], v[86:87], v[76:77] op_sel:[0,0,1] op_sel_hi:[1,1,0] neg_lo:[0,0,1] neg_hi:[0,0,1]
	v_pk_fma_f32 v[76:77], v[78:79], v[86:87], v[76:77] op_sel:[0,0,1] op_sel_hi:[1,0,0]
	v_mov_b32_e32 v89, v77
	s_delay_alu instid0(VALU_DEP_1)
	v_pk_add_f32 v[74:75], v[74:75], v[88:89] neg_lo:[0,1] neg_hi:[0,1]
.LBB68_440:
	s_or_b32 exec_lo, exec_lo, s0
	v_lshl_add_u32 v76, v84, 3, v80
	s_barrier_signal -1
	s_barrier_wait -1
	ds_store_b64 v76, v[58:59]
	s_wait_dscnt 0x0
	s_barrier_signal -1
	s_barrier_wait -1
	ds_load_b64 v[76:77], v80 offset:168
	v_mov_b32_e32 v78, 21
	s_cmp_lt_i32 s14, 23
	s_cbranch_scc1 .LBB68_443
; %bb.441:
	v_add3_u32 v79, v81, 0, 0xb0
	v_mov_b32_e32 v78, 21
	s_mov_b32 s0, 22
.LBB68_442:                             ; =>This Inner Loop Header: Depth=1
	ds_load_b64 v[86:87], v79
	s_wait_dscnt 0x1
	v_cmp_gt_f32_e32 vcc_lo, 0, v76
	v_cndmask_b32_e64 v88, v76, -v76, vcc_lo
	v_cmp_gt_f32_e32 vcc_lo, 0, v77
	v_cndmask_b32_e64 v90, v77, -v77, vcc_lo
	s_wait_dscnt 0x0
	v_cmp_gt_f32_e32 vcc_lo, 0, v86
	v_cndmask_b32_e64 v89, v86, -v86, vcc_lo
	v_cmp_gt_f32_e32 vcc_lo, 0, v87
	v_cndmask_b32_e64 v91, v87, -v87, vcc_lo
	s_delay_alu instid0(VALU_DEP_1) | instskip(NEXT) | instid1(VALU_DEP_1)
	v_pk_add_f32 v[88:89], v[88:89], v[90:91]
	v_cmp_lt_f32_e32 vcc_lo, v88, v89
	v_dual_cndmask_b32 v76, v76, v86 :: v_dual_add_nc_u32 v79, 8, v79
	v_cndmask_b32_e32 v77, v77, v87, vcc_lo
	v_cndmask_b32_e64 v78, v78, s0, vcc_lo
	s_add_co_i32 s0, s0, 1
	s_delay_alu instid0(SALU_CYCLE_1)
	s_cmp_lg_u32 s14, s0
	s_cbranch_scc1 .LBB68_442
.LBB68_443:
	s_wait_dscnt 0x0
	v_cmp_eq_f32_e32 vcc_lo, 0, v76
	v_cmp_eq_f32_e64 s0, 0, v77
	s_and_b32 s0, vcc_lo, s0
	s_delay_alu instid0(SALU_CYCLE_1) | instskip(NEXT) | instid1(SALU_CYCLE_1)
	s_and_saveexec_b32 s1, s0
	s_xor_b32 s0, exec_lo, s1
; %bb.444:
	v_cmp_ne_u32_e32 vcc_lo, 0, v82
	v_cndmask_b32_e32 v82, 22, v82, vcc_lo
; %bb.445:
	s_and_not1_saveexec_b32 s0, s0
	s_cbranch_execz .LBB68_451
; %bb.446:
	v_cmp_ngt_f32_e64 s1, |v76|, |v77|
	s_and_saveexec_b32 s15, s1
	s_delay_alu instid0(SALU_CYCLE_1)
	s_xor_b32 s1, exec_lo, s15
	s_cbranch_execz .LBB68_448
; %bb.447:
	v_div_scale_f32 v79, null, v77, v77, v76
	v_div_scale_f32 v87, vcc_lo, v76, v77, v76
	s_delay_alu instid0(VALU_DEP_2) | instskip(SKIP_1) | instid1(TRANS32_DEP_1)
	v_rcp_f32_e32 v85, v79
	v_nop
	v_fma_f32 v86, -v79, v85, 1.0
	s_delay_alu instid0(VALU_DEP_1) | instskip(NEXT) | instid1(VALU_DEP_1)
	v_fmac_f32_e32 v85, v86, v85
	v_mul_f32_e32 v86, v87, v85
	s_delay_alu instid0(VALU_DEP_1) | instskip(NEXT) | instid1(VALU_DEP_1)
	v_fma_f32 v88, -v79, v86, v87
	v_fmac_f32_e32 v86, v88, v85
	s_delay_alu instid0(VALU_DEP_1) | instskip(NEXT) | instid1(VALU_DEP_1)
	v_fma_f32 v79, -v79, v86, v87
	v_div_fmas_f32 v79, v79, v85, v86
	s_delay_alu instid0(VALU_DEP_1) | instskip(NEXT) | instid1(VALU_DEP_1)
	v_div_fixup_f32 v79, v79, v77, v76
	v_fmac_f32_e32 v77, v76, v79
	s_delay_alu instid0(VALU_DEP_1) | instskip(SKIP_1) | instid1(VALU_DEP_2)
	v_div_scale_f32 v76, null, v77, v77, 1.0
	v_div_scale_f32 v87, vcc_lo, 1.0, v77, 1.0
	v_rcp_f32_e32 v85, v76
	v_nop
	s_delay_alu instid0(TRANS32_DEP_1) | instskip(NEXT) | instid1(VALU_DEP_1)
	v_fma_f32 v86, -v76, v85, 1.0
	v_fmac_f32_e32 v85, v86, v85
	s_delay_alu instid0(VALU_DEP_1) | instskip(NEXT) | instid1(VALU_DEP_1)
	v_mul_f32_e32 v86, v87, v85
	v_fma_f32 v88, -v76, v86, v87
	s_delay_alu instid0(VALU_DEP_1) | instskip(NEXT) | instid1(VALU_DEP_1)
	v_fmac_f32_e32 v86, v88, v85
	v_fma_f32 v76, -v76, v86, v87
	s_delay_alu instid0(VALU_DEP_1) | instskip(NEXT) | instid1(VALU_DEP_1)
	v_div_fmas_f32 v76, v76, v85, v86
	v_div_fixup_f32 v77, v76, v77, 1.0
	s_delay_alu instid0(VALU_DEP_1)
	v_mul_f32_e32 v76, v79, v77
	v_xor_b32_e32 v77, 0x80000000, v77
.LBB68_448:
	s_and_not1_saveexec_b32 s1, s1
	s_cbranch_execz .LBB68_450
; %bb.449:
	s_delay_alu instid0(VALU_DEP_1) | instskip(SKIP_1) | instid1(VALU_DEP_2)
	v_div_scale_f32 v79, null, v76, v76, v77
	v_div_scale_f32 v87, vcc_lo, v77, v76, v77
	v_rcp_f32_e32 v85, v79
	v_nop
	s_delay_alu instid0(TRANS32_DEP_1) | instskip(NEXT) | instid1(VALU_DEP_1)
	v_fma_f32 v86, -v79, v85, 1.0
	v_fmac_f32_e32 v85, v86, v85
	s_delay_alu instid0(VALU_DEP_1) | instskip(NEXT) | instid1(VALU_DEP_1)
	v_mul_f32_e32 v86, v87, v85
	v_fma_f32 v88, -v79, v86, v87
	s_delay_alu instid0(VALU_DEP_1) | instskip(NEXT) | instid1(VALU_DEP_1)
	v_fmac_f32_e32 v86, v88, v85
	v_fma_f32 v79, -v79, v86, v87
	s_delay_alu instid0(VALU_DEP_1) | instskip(NEXT) | instid1(VALU_DEP_1)
	v_div_fmas_f32 v79, v79, v85, v86
	v_div_fixup_f32 v79, v79, v76, v77
	s_delay_alu instid0(VALU_DEP_1) | instskip(NEXT) | instid1(VALU_DEP_1)
	v_fmac_f32_e32 v76, v77, v79
	v_div_scale_f32 v77, null, v76, v76, 1.0
	s_delay_alu instid0(VALU_DEP_1) | instskip(SKIP_1) | instid1(TRANS32_DEP_1)
	v_rcp_f32_e32 v85, v77
	v_nop
	v_fma_f32 v86, -v77, v85, 1.0
	s_delay_alu instid0(VALU_DEP_1) | instskip(SKIP_1) | instid1(VALU_DEP_1)
	v_fmac_f32_e32 v85, v86, v85
	v_div_scale_f32 v86, vcc_lo, 1.0, v76, 1.0
	v_mul_f32_e32 v87, v86, v85
	s_delay_alu instid0(VALU_DEP_1) | instskip(NEXT) | instid1(VALU_DEP_1)
	v_fma_f32 v88, -v77, v87, v86
	v_fmac_f32_e32 v87, v88, v85
	s_delay_alu instid0(VALU_DEP_1) | instskip(NEXT) | instid1(VALU_DEP_1)
	v_fma_f32 v77, -v77, v87, v86
	v_div_fmas_f32 v77, v77, v85, v87
	s_delay_alu instid0(VALU_DEP_1) | instskip(NEXT) | instid1(VALU_DEP_1)
	v_div_fixup_f32 v76, v77, v76, 1.0
	v_mul_f32_e64 v77, v79, -v76
.LBB68_450:
	s_or_b32 exec_lo, exec_lo, s1
.LBB68_451:
	s_delay_alu instid0(SALU_CYCLE_1) | instskip(NEXT) | instid1(SALU_CYCLE_1)
	s_or_b32 exec_lo, exec_lo, s0
	s_mov_b32 s0, exec_lo
	v_cmpx_ne_u32_e64 v84, v78
	s_xor_b32 s0, exec_lo, s0
	s_cbranch_execz .LBB68_457
; %bb.452:
	s_mov_b32 s1, exec_lo
	v_cmpx_eq_u32_e32 21, v84
	s_cbranch_execz .LBB68_456
; %bb.453:
	v_cmp_ne_u32_e32 vcc_lo, 21, v78
	s_xor_b32 s15, s12, -1
	s_delay_alu instid0(SALU_CYCLE_1) | instskip(NEXT) | instid1(SALU_CYCLE_1)
	s_and_b32 s16, s15, vcc_lo
	s_and_saveexec_b32 s15, s16
	s_cbranch_execz .LBB68_455
; %bb.454:
	v_ashrrev_i32_e32 v79, 31, v78
	s_delay_alu instid0(VALU_DEP_1)
	v_lshl_add_u64 v[84:85], v[78:79], 2, v[4:5]
	s_clause 0x1
	global_load_b32 v79, v[84:85], off
	global_load_b32 v83, v[4:5], off offset:84
	s_wait_loadcnt 0x1
	global_store_b32 v[4:5], v79, off offset:84
	s_wait_loadcnt 0x0
	global_store_b32 v[84:85], v83, off
.LBB68_455:
	s_wait_xcnt 0x0
	s_or_b32 exec_lo, exec_lo, s15
	v_dual_mov_b32 v84, v78 :: v_dual_mov_b32 v83, v78
.LBB68_456:
	s_or_b32 exec_lo, exec_lo, s1
.LBB68_457:
	s_and_not1_saveexec_b32 s0, s0
	s_cbranch_execz .LBB68_459
; %bb.458:
	v_dual_mov_b32 v78, v32 :: v_dual_mov_b32 v79, v33
	v_dual_mov_b32 v84, v30 :: v_dual_mov_b32 v85, v31
	ds_store_2addr_b64 v80, v[78:79], v[84:85] offset0:22 offset1:23
	v_dual_mov_b32 v78, v68 :: v_dual_mov_b32 v79, v69
	v_dual_mov_b32 v84, v66 :: v_dual_mov_b32 v85, v67
	ds_store_2addr_b64 v80, v[78:79], v[84:85] offset0:24 offset1:25
	;; [unrolled: 3-line block ×6, first 2 shown]
	ds_store_b64 v80, v[74:75] offset:272
	v_mov_b32_e32 v84, 21
.LBB68_459:
	s_or_b32 exec_lo, exec_lo, s0
	s_delay_alu instid0(SALU_CYCLE_1)
	s_mov_b32 s0, exec_lo
	s_wait_storecnt_dscnt 0x0
	s_barrier_signal -1
	s_barrier_wait -1
	v_cmpx_lt_i32_e32 21, v84
	s_cbranch_execz .LBB68_461
; %bb.460:
	v_pk_mul_f32 v[78:79], v[76:77], v[58:59] op_sel:[1,1] op_sel_hi:[0,1]
	s_delay_alu instid0(VALU_DEP_1)
	v_pk_fma_f32 v[86:87], v[76:77], v[58:59], v[78:79] op_sel_hi:[1,0,1] neg_lo:[0,0,1] neg_hi:[0,0,1]
	v_pk_fma_f32 v[88:89], v[76:77], v[58:59], v[78:79] op_sel_hi:[1,0,1]
	ds_load_2addr_b64 v[76:79], v80 offset0:22 offset1:23
	v_dual_mov_b32 v58, v86 :: v_dual_mov_b32 v59, v89
	s_wait_dscnt 0x0
	v_pk_mul_f32 v[90:91], v[76:77], v[88:89] op_sel:[0,1]
	s_delay_alu instid0(VALU_DEP_1) | instskip(SKIP_1) | instid1(VALU_DEP_1)
	v_pk_fma_f32 v[92:93], v[76:77], v[86:87], v[90:91] op_sel:[0,0,1] op_sel_hi:[1,1,0] neg_lo:[0,0,1] neg_hi:[0,0,1]
	v_pk_fma_f32 v[76:77], v[76:77], v[86:87], v[90:91] op_sel:[0,0,1] op_sel_hi:[1,0,0]
	v_mov_b32_e32 v93, v77
	v_pk_mul_f32 v[76:77], v[78:79], v[88:89] op_sel:[0,1]
	s_delay_alu instid0(VALU_DEP_1) | instskip(SKIP_1) | instid1(VALU_DEP_1)
	v_pk_fma_f32 v[90:91], v[78:79], v[86:87], v[76:77] op_sel:[0,0,1] op_sel_hi:[1,1,0] neg_lo:[0,0,1] neg_hi:[0,0,1]
	v_pk_fma_f32 v[76:77], v[78:79], v[86:87], v[76:77] op_sel:[0,0,1] op_sel_hi:[1,0,0]
	v_mov_b32_e32 v91, v77
	ds_load_2addr_b64 v[76:79], v80 offset0:24 offset1:25
	v_pk_add_f32 v[32:33], v[32:33], v[92:93] neg_lo:[0,1] neg_hi:[0,1]
	v_pk_add_f32 v[30:31], v[30:31], v[90:91] neg_lo:[0,1] neg_hi:[0,1]
	s_wait_dscnt 0x0
	v_pk_mul_f32 v[90:91], v[76:77], v[88:89] op_sel:[0,1]
	s_delay_alu instid0(VALU_DEP_1) | instskip(SKIP_2) | instid1(VALU_DEP_2)
	v_pk_fma_f32 v[92:93], v[76:77], v[86:87], v[90:91] op_sel:[0,0,1] op_sel_hi:[1,1,0] neg_lo:[0,0,1] neg_hi:[0,0,1]
	v_pk_fma_f32 v[76:77], v[76:77], v[86:87], v[90:91] op_sel:[0,0,1] op_sel_hi:[1,0,0]
	v_dual_mul_f32 v90, v79, v89 :: v_dual_mov_b32 v76, v79
	v_dual_mov_b32 v93, v77 :: v_dual_mov_b32 v77, v78
	s_delay_alu instid0(VALU_DEP_2) | instskip(SKIP_1) | instid1(VALU_DEP_3)
	v_pk_fma_f32 v[90:91], v[78:79], v[58:59], v[90:91] op_sel_hi:[1,1,0] neg_lo:[0,0,1] neg_hi:[0,0,1]
	v_mul_f32_e32 v78, v79, v86
	v_pk_add_f32 v[68:69], v[68:69], v[92:93] neg_lo:[0,1] neg_hi:[0,1]
	s_delay_alu instid0(VALU_DEP_2) | instskip(NEXT) | instid1(VALU_DEP_1)
	v_pk_fma_f32 v[76:77], v[76:77], v[58:59], v[78:79] op_sel_hi:[1,1,0]
	v_mov_b32_e32 v91, v77
	ds_load_2addr_b64 v[76:79], v80 offset0:26 offset1:27
	v_pk_add_f32 v[66:67], v[66:67], v[90:91] neg_lo:[0,1] neg_hi:[0,1]
	s_wait_dscnt 0x0
	v_pk_mul_f32 v[90:91], v[76:77], v[88:89] op_sel:[0,1]
	s_delay_alu instid0(VALU_DEP_1) | instskip(SKIP_1) | instid1(VALU_DEP_1)
	v_pk_fma_f32 v[92:93], v[76:77], v[86:87], v[90:91] op_sel:[0,0,1] op_sel_hi:[1,1,0] neg_lo:[0,0,1] neg_hi:[0,0,1]
	v_pk_fma_f32 v[76:77], v[76:77], v[86:87], v[90:91] op_sel:[0,0,1] op_sel_hi:[1,0,0]
	v_mov_b32_e32 v93, v77
	v_pk_mul_f32 v[76:77], v[78:79], v[88:89] op_sel:[0,1]
	s_delay_alu instid0(VALU_DEP_1) | instskip(SKIP_1) | instid1(VALU_DEP_1)
	v_pk_fma_f32 v[90:91], v[78:79], v[86:87], v[76:77] op_sel:[0,0,1] op_sel_hi:[1,1,0] neg_lo:[0,0,1] neg_hi:[0,0,1]
	v_pk_fma_f32 v[76:77], v[78:79], v[86:87], v[76:77] op_sel:[0,0,1] op_sel_hi:[1,0,0]
	v_mov_b32_e32 v91, v77
	ds_load_2addr_b64 v[76:79], v80 offset0:28 offset1:29
	v_pk_add_f32 v[42:43], v[42:43], v[92:93] neg_lo:[0,1] neg_hi:[0,1]
	v_pk_add_f32 v[40:41], v[40:41], v[90:91] neg_lo:[0,1] neg_hi:[0,1]
	s_wait_dscnt 0x0
	v_pk_mul_f32 v[90:91], v[76:77], v[88:89] op_sel:[0,1]
	s_delay_alu instid0(VALU_DEP_1) | instskip(SKIP_1) | instid1(VALU_DEP_1)
	v_pk_fma_f32 v[92:93], v[76:77], v[86:87], v[90:91] op_sel:[0,0,1] op_sel_hi:[1,1,0] neg_lo:[0,0,1] neg_hi:[0,0,1]
	v_pk_fma_f32 v[76:77], v[76:77], v[86:87], v[90:91] op_sel:[0,0,1] op_sel_hi:[1,0,0]
	v_mov_b32_e32 v93, v77
	v_pk_mul_f32 v[76:77], v[78:79], v[88:89] op_sel:[0,1]
	s_delay_alu instid0(VALU_DEP_1) | instskip(SKIP_1) | instid1(VALU_DEP_1)
	v_pk_fma_f32 v[90:91], v[78:79], v[86:87], v[76:77] op_sel:[0,0,1] op_sel_hi:[1,1,0] neg_lo:[0,0,1] neg_hi:[0,0,1]
	v_pk_fma_f32 v[76:77], v[78:79], v[86:87], v[76:77] op_sel:[0,0,1] op_sel_hi:[1,0,0]
	v_mov_b32_e32 v91, v77
	ds_load_2addr_b64 v[76:79], v80 offset0:30 offset1:31
	v_pk_add_f32 v[64:65], v[64:65], v[92:93] neg_lo:[0,1] neg_hi:[0,1]
	v_pk_add_f32 v[62:63], v[62:63], v[90:91] neg_lo:[0,1] neg_hi:[0,1]
	s_wait_dscnt 0x0
	v_dual_mul_f32 v90, v77, v89 :: v_dual_mul_f32 v92, v77, v86
	s_delay_alu instid0(VALU_DEP_1) | instskip(NEXT) | instid1(VALU_DEP_2)
	v_pk_fma_f32 v[90:91], v[76:77], v[58:59], v[90:91] op_sel_hi:[1,1,0] neg_lo:[0,0,1] neg_hi:[0,0,1]
	v_pk_fma_f32 v[76:77], v[76:77], v[58:59], v[92:93] op_sel:[1,0,0] op_sel_hi:[0,1,0]
	s_delay_alu instid0(VALU_DEP_1) | instskip(SKIP_1) | instid1(VALU_DEP_2)
	v_mov_b32_e32 v91, v77
	v_pk_mul_f32 v[76:77], v[78:79], v[88:89] op_sel:[0,1]
	v_pk_add_f32 v[46:47], v[46:47], v[90:91] neg_lo:[0,1] neg_hi:[0,1]
	s_delay_alu instid0(VALU_DEP_2) | instskip(SKIP_1) | instid1(VALU_DEP_1)
	v_pk_fma_f32 v[90:91], v[78:79], v[86:87], v[76:77] op_sel:[0,0,1] op_sel_hi:[1,1,0] neg_lo:[0,0,1] neg_hi:[0,0,1]
	v_pk_fma_f32 v[76:77], v[78:79], v[86:87], v[76:77] op_sel:[0,0,1] op_sel_hi:[1,0,0]
	v_mov_b32_e32 v91, v77
	ds_load_2addr_b64 v[76:79], v80 offset0:32 offset1:33
	v_pk_add_f32 v[44:45], v[44:45], v[90:91] neg_lo:[0,1] neg_hi:[0,1]
	s_wait_dscnt 0x0
	v_pk_mul_f32 v[90:91], v[76:77], v[88:89] op_sel:[0,1]
	s_delay_alu instid0(VALU_DEP_1) | instskip(SKIP_1) | instid1(VALU_DEP_1)
	v_pk_fma_f32 v[92:93], v[76:77], v[86:87], v[90:91] op_sel:[0,0,1] op_sel_hi:[1,1,0] neg_lo:[0,0,1] neg_hi:[0,0,1]
	v_pk_fma_f32 v[76:77], v[76:77], v[86:87], v[90:91] op_sel:[0,0,1] op_sel_hi:[1,0,0]
	v_mov_b32_e32 v93, v77
	v_pk_mul_f32 v[76:77], v[78:79], v[88:89] op_sel:[0,1]
	s_delay_alu instid0(VALU_DEP_2) | instskip(NEXT) | instid1(VALU_DEP_2)
	v_pk_add_f32 v[54:55], v[54:55], v[92:93] neg_lo:[0,1] neg_hi:[0,1]
	v_pk_fma_f32 v[90:91], v[78:79], v[86:87], v[76:77] op_sel:[0,0,1] op_sel_hi:[1,1,0] neg_lo:[0,0,1] neg_hi:[0,0,1]
	v_pk_fma_f32 v[76:77], v[78:79], v[86:87], v[76:77] op_sel:[0,0,1] op_sel_hi:[1,0,0]
	s_delay_alu instid0(VALU_DEP_1) | instskip(SKIP_4) | instid1(VALU_DEP_1)
	v_mov_b32_e32 v91, v77
	ds_load_b64 v[76:77], v80 offset:272
	v_pk_add_f32 v[52:53], v[52:53], v[90:91] neg_lo:[0,1] neg_hi:[0,1]
	s_wait_dscnt 0x0
	v_pk_mul_f32 v[78:79], v[76:77], v[88:89] op_sel:[0,1]
	v_pk_fma_f32 v[88:89], v[76:77], v[86:87], v[78:79] op_sel:[0,0,1] op_sel_hi:[1,1,0] neg_lo:[0,0,1] neg_hi:[0,0,1]
	v_pk_fma_f32 v[76:77], v[76:77], v[86:87], v[78:79] op_sel:[0,0,1] op_sel_hi:[1,0,0]
	s_delay_alu instid0(VALU_DEP_1) | instskip(NEXT) | instid1(VALU_DEP_1)
	v_mov_b32_e32 v89, v77
	v_pk_add_f32 v[74:75], v[74:75], v[88:89] neg_lo:[0,1] neg_hi:[0,1]
.LBB68_461:
	s_or_b32 exec_lo, exec_lo, s0
	v_lshl_add_u32 v76, v84, 3, v80
	s_barrier_signal -1
	s_barrier_wait -1
	ds_store_b64 v76, v[32:33]
	s_wait_dscnt 0x0
	s_barrier_signal -1
	s_barrier_wait -1
	ds_load_b64 v[76:77], v80 offset:176
	v_mov_b32_e32 v78, 22
	s_cmp_lt_i32 s14, 24
	s_cbranch_scc1 .LBB68_464
; %bb.462:
	v_add3_u32 v79, v81, 0, 0xb8
	v_mov_b32_e32 v78, 22
	s_mov_b32 s0, 23
.LBB68_463:                             ; =>This Inner Loop Header: Depth=1
	ds_load_b64 v[86:87], v79
	s_wait_dscnt 0x1
	v_cmp_gt_f32_e32 vcc_lo, 0, v76
	v_cndmask_b32_e64 v88, v76, -v76, vcc_lo
	v_cmp_gt_f32_e32 vcc_lo, 0, v77
	v_cndmask_b32_e64 v90, v77, -v77, vcc_lo
	s_wait_dscnt 0x0
	v_cmp_gt_f32_e32 vcc_lo, 0, v86
	v_cndmask_b32_e64 v89, v86, -v86, vcc_lo
	v_cmp_gt_f32_e32 vcc_lo, 0, v87
	v_cndmask_b32_e64 v91, v87, -v87, vcc_lo
	s_delay_alu instid0(VALU_DEP_1) | instskip(NEXT) | instid1(VALU_DEP_1)
	v_pk_add_f32 v[88:89], v[88:89], v[90:91]
	v_cmp_lt_f32_e32 vcc_lo, v88, v89
	v_dual_cndmask_b32 v76, v76, v86 :: v_dual_add_nc_u32 v79, 8, v79
	v_cndmask_b32_e32 v77, v77, v87, vcc_lo
	v_cndmask_b32_e64 v78, v78, s0, vcc_lo
	s_add_co_i32 s0, s0, 1
	s_delay_alu instid0(SALU_CYCLE_1)
	s_cmp_lg_u32 s14, s0
	s_cbranch_scc1 .LBB68_463
.LBB68_464:
	s_wait_dscnt 0x0
	v_cmp_eq_f32_e32 vcc_lo, 0, v76
	v_cmp_eq_f32_e64 s0, 0, v77
	s_and_b32 s0, vcc_lo, s0
	s_delay_alu instid0(SALU_CYCLE_1) | instskip(NEXT) | instid1(SALU_CYCLE_1)
	s_and_saveexec_b32 s1, s0
	s_xor_b32 s0, exec_lo, s1
; %bb.465:
	v_cmp_ne_u32_e32 vcc_lo, 0, v82
	v_cndmask_b32_e32 v82, 23, v82, vcc_lo
; %bb.466:
	s_and_not1_saveexec_b32 s0, s0
	s_cbranch_execz .LBB68_472
; %bb.467:
	v_cmp_ngt_f32_e64 s1, |v76|, |v77|
	s_and_saveexec_b32 s15, s1
	s_delay_alu instid0(SALU_CYCLE_1)
	s_xor_b32 s1, exec_lo, s15
	s_cbranch_execz .LBB68_469
; %bb.468:
	v_div_scale_f32 v79, null, v77, v77, v76
	v_div_scale_f32 v87, vcc_lo, v76, v77, v76
	s_delay_alu instid0(VALU_DEP_2) | instskip(SKIP_1) | instid1(TRANS32_DEP_1)
	v_rcp_f32_e32 v85, v79
	v_nop
	v_fma_f32 v86, -v79, v85, 1.0
	s_delay_alu instid0(VALU_DEP_1) | instskip(NEXT) | instid1(VALU_DEP_1)
	v_fmac_f32_e32 v85, v86, v85
	v_mul_f32_e32 v86, v87, v85
	s_delay_alu instid0(VALU_DEP_1) | instskip(NEXT) | instid1(VALU_DEP_1)
	v_fma_f32 v88, -v79, v86, v87
	v_fmac_f32_e32 v86, v88, v85
	s_delay_alu instid0(VALU_DEP_1) | instskip(NEXT) | instid1(VALU_DEP_1)
	v_fma_f32 v79, -v79, v86, v87
	v_div_fmas_f32 v79, v79, v85, v86
	s_delay_alu instid0(VALU_DEP_1) | instskip(NEXT) | instid1(VALU_DEP_1)
	v_div_fixup_f32 v79, v79, v77, v76
	v_fmac_f32_e32 v77, v76, v79
	s_delay_alu instid0(VALU_DEP_1) | instskip(SKIP_1) | instid1(VALU_DEP_2)
	v_div_scale_f32 v76, null, v77, v77, 1.0
	v_div_scale_f32 v87, vcc_lo, 1.0, v77, 1.0
	v_rcp_f32_e32 v85, v76
	v_nop
	s_delay_alu instid0(TRANS32_DEP_1) | instskip(NEXT) | instid1(VALU_DEP_1)
	v_fma_f32 v86, -v76, v85, 1.0
	v_fmac_f32_e32 v85, v86, v85
	s_delay_alu instid0(VALU_DEP_1) | instskip(NEXT) | instid1(VALU_DEP_1)
	v_mul_f32_e32 v86, v87, v85
	v_fma_f32 v88, -v76, v86, v87
	s_delay_alu instid0(VALU_DEP_1) | instskip(NEXT) | instid1(VALU_DEP_1)
	v_fmac_f32_e32 v86, v88, v85
	v_fma_f32 v76, -v76, v86, v87
	s_delay_alu instid0(VALU_DEP_1) | instskip(NEXT) | instid1(VALU_DEP_1)
	v_div_fmas_f32 v76, v76, v85, v86
	v_div_fixup_f32 v77, v76, v77, 1.0
	s_delay_alu instid0(VALU_DEP_1)
	v_mul_f32_e32 v76, v79, v77
	v_xor_b32_e32 v77, 0x80000000, v77
.LBB68_469:
	s_and_not1_saveexec_b32 s1, s1
	s_cbranch_execz .LBB68_471
; %bb.470:
	s_delay_alu instid0(VALU_DEP_1) | instskip(SKIP_1) | instid1(VALU_DEP_2)
	v_div_scale_f32 v79, null, v76, v76, v77
	v_div_scale_f32 v87, vcc_lo, v77, v76, v77
	v_rcp_f32_e32 v85, v79
	v_nop
	s_delay_alu instid0(TRANS32_DEP_1) | instskip(NEXT) | instid1(VALU_DEP_1)
	v_fma_f32 v86, -v79, v85, 1.0
	v_fmac_f32_e32 v85, v86, v85
	s_delay_alu instid0(VALU_DEP_1) | instskip(NEXT) | instid1(VALU_DEP_1)
	v_mul_f32_e32 v86, v87, v85
	v_fma_f32 v88, -v79, v86, v87
	s_delay_alu instid0(VALU_DEP_1) | instskip(NEXT) | instid1(VALU_DEP_1)
	v_fmac_f32_e32 v86, v88, v85
	v_fma_f32 v79, -v79, v86, v87
	s_delay_alu instid0(VALU_DEP_1) | instskip(NEXT) | instid1(VALU_DEP_1)
	v_div_fmas_f32 v79, v79, v85, v86
	v_div_fixup_f32 v79, v79, v76, v77
	s_delay_alu instid0(VALU_DEP_1) | instskip(NEXT) | instid1(VALU_DEP_1)
	v_fmac_f32_e32 v76, v77, v79
	v_div_scale_f32 v77, null, v76, v76, 1.0
	s_delay_alu instid0(VALU_DEP_1) | instskip(SKIP_1) | instid1(TRANS32_DEP_1)
	v_rcp_f32_e32 v85, v77
	v_nop
	v_fma_f32 v86, -v77, v85, 1.0
	s_delay_alu instid0(VALU_DEP_1) | instskip(SKIP_1) | instid1(VALU_DEP_1)
	v_fmac_f32_e32 v85, v86, v85
	v_div_scale_f32 v86, vcc_lo, 1.0, v76, 1.0
	v_mul_f32_e32 v87, v86, v85
	s_delay_alu instid0(VALU_DEP_1) | instskip(NEXT) | instid1(VALU_DEP_1)
	v_fma_f32 v88, -v77, v87, v86
	v_fmac_f32_e32 v87, v88, v85
	s_delay_alu instid0(VALU_DEP_1) | instskip(NEXT) | instid1(VALU_DEP_1)
	v_fma_f32 v77, -v77, v87, v86
	v_div_fmas_f32 v77, v77, v85, v87
	s_delay_alu instid0(VALU_DEP_1) | instskip(NEXT) | instid1(VALU_DEP_1)
	v_div_fixup_f32 v76, v77, v76, 1.0
	v_mul_f32_e64 v77, v79, -v76
.LBB68_471:
	s_or_b32 exec_lo, exec_lo, s1
.LBB68_472:
	s_delay_alu instid0(SALU_CYCLE_1) | instskip(NEXT) | instid1(SALU_CYCLE_1)
	s_or_b32 exec_lo, exec_lo, s0
	s_mov_b32 s0, exec_lo
	v_cmpx_ne_u32_e64 v84, v78
	s_xor_b32 s0, exec_lo, s0
	s_cbranch_execz .LBB68_478
; %bb.473:
	s_mov_b32 s1, exec_lo
	v_cmpx_eq_u32_e32 22, v84
	s_cbranch_execz .LBB68_477
; %bb.474:
	v_cmp_ne_u32_e32 vcc_lo, 22, v78
	s_xor_b32 s15, s12, -1
	s_delay_alu instid0(SALU_CYCLE_1) | instskip(NEXT) | instid1(SALU_CYCLE_1)
	s_and_b32 s16, s15, vcc_lo
	s_and_saveexec_b32 s15, s16
	s_cbranch_execz .LBB68_476
; %bb.475:
	v_ashrrev_i32_e32 v79, 31, v78
	s_delay_alu instid0(VALU_DEP_1)
	v_lshl_add_u64 v[84:85], v[78:79], 2, v[4:5]
	s_clause 0x1
	global_load_b32 v79, v[84:85], off
	global_load_b32 v83, v[4:5], off offset:88
	s_wait_loadcnt 0x1
	global_store_b32 v[4:5], v79, off offset:88
	s_wait_loadcnt 0x0
	global_store_b32 v[84:85], v83, off
.LBB68_476:
	s_wait_xcnt 0x0
	s_or_b32 exec_lo, exec_lo, s15
	v_dual_mov_b32 v84, v78 :: v_dual_mov_b32 v83, v78
.LBB68_477:
	s_or_b32 exec_lo, exec_lo, s1
.LBB68_478:
	s_and_not1_saveexec_b32 s0, s0
	s_cbranch_execz .LBB68_480
; %bb.479:
	v_mov_b32_e32 v84, 22
	ds_store_2addr_b64 v80, v[30:31], v[68:69] offset0:23 offset1:24
	ds_store_2addr_b64 v80, v[66:67], v[42:43] offset0:25 offset1:26
	;; [unrolled: 1-line block ×6, first 2 shown]
.LBB68_480:
	s_or_b32 exec_lo, exec_lo, s0
	s_delay_alu instid0(SALU_CYCLE_1)
	s_mov_b32 s0, exec_lo
	s_wait_storecnt_dscnt 0x0
	s_barrier_signal -1
	s_barrier_wait -1
	v_cmpx_lt_i32_e32 22, v84
	s_cbranch_execz .LBB68_482
; %bb.481:
	v_pk_mul_f32 v[78:79], v[76:77], v[32:33] op_sel:[1,1] op_sel_hi:[0,1]
	s_delay_alu instid0(VALU_DEP_1)
	v_pk_fma_f32 v[86:87], v[76:77], v[32:33], v[78:79] op_sel_hi:[1,0,1] neg_lo:[0,0,1] neg_hi:[0,0,1]
	v_pk_fma_f32 v[88:89], v[76:77], v[32:33], v[78:79] op_sel_hi:[1,0,1]
	ds_load_2addr_b64 v[76:79], v80 offset0:23 offset1:24
	v_dual_mov_b32 v32, v86 :: v_dual_mov_b32 v33, v89
	s_wait_dscnt 0x0
	v_pk_mul_f32 v[90:91], v[76:77], v[88:89] op_sel:[0,1]
	s_delay_alu instid0(VALU_DEP_1) | instskip(SKIP_1) | instid1(VALU_DEP_1)
	v_pk_fma_f32 v[92:93], v[76:77], v[86:87], v[90:91] op_sel:[0,0,1] op_sel_hi:[1,1,0] neg_lo:[0,0,1] neg_hi:[0,0,1]
	v_pk_fma_f32 v[76:77], v[76:77], v[86:87], v[90:91] op_sel:[0,0,1] op_sel_hi:[1,0,0]
	v_mov_b32_e32 v93, v77
	v_pk_mul_f32 v[76:77], v[78:79], v[88:89] op_sel:[0,1]
	s_delay_alu instid0(VALU_DEP_1) | instskip(SKIP_1) | instid1(VALU_DEP_1)
	v_pk_fma_f32 v[90:91], v[78:79], v[86:87], v[76:77] op_sel:[0,0,1] op_sel_hi:[1,1,0] neg_lo:[0,0,1] neg_hi:[0,0,1]
	v_pk_fma_f32 v[76:77], v[78:79], v[86:87], v[76:77] op_sel:[0,0,1] op_sel_hi:[1,0,0]
	v_mov_b32_e32 v91, v77
	ds_load_2addr_b64 v[76:79], v80 offset0:25 offset1:26
	v_pk_add_f32 v[30:31], v[30:31], v[92:93] neg_lo:[0,1] neg_hi:[0,1]
	v_pk_add_f32 v[68:69], v[68:69], v[90:91] neg_lo:[0,1] neg_hi:[0,1]
	s_wait_dscnt 0x0
	v_pk_mul_f32 v[90:91], v[76:77], v[88:89] op_sel:[0,1]
	s_delay_alu instid0(VALU_DEP_1) | instskip(SKIP_2) | instid1(VALU_DEP_2)
	v_pk_fma_f32 v[92:93], v[76:77], v[86:87], v[90:91] op_sel:[0,0,1] op_sel_hi:[1,1,0] neg_lo:[0,0,1] neg_hi:[0,0,1]
	v_pk_fma_f32 v[76:77], v[76:77], v[86:87], v[90:91] op_sel:[0,0,1] op_sel_hi:[1,0,0]
	v_dual_mul_f32 v90, v79, v89 :: v_dual_mov_b32 v76, v79
	v_dual_mov_b32 v93, v77 :: v_dual_mov_b32 v77, v78
	s_delay_alu instid0(VALU_DEP_2) | instskip(SKIP_1) | instid1(VALU_DEP_3)
	v_pk_fma_f32 v[90:91], v[78:79], v[32:33], v[90:91] op_sel_hi:[1,1,0] neg_lo:[0,0,1] neg_hi:[0,0,1]
	v_mul_f32_e32 v78, v79, v86
	v_pk_add_f32 v[66:67], v[66:67], v[92:93] neg_lo:[0,1] neg_hi:[0,1]
	s_delay_alu instid0(VALU_DEP_2) | instskip(NEXT) | instid1(VALU_DEP_1)
	v_pk_fma_f32 v[76:77], v[76:77], v[32:33], v[78:79] op_sel_hi:[1,1,0]
	v_mov_b32_e32 v91, v77
	ds_load_2addr_b64 v[76:79], v80 offset0:27 offset1:28
	v_pk_add_f32 v[42:43], v[42:43], v[90:91] neg_lo:[0,1] neg_hi:[0,1]
	s_wait_dscnt 0x0
	v_pk_mul_f32 v[90:91], v[76:77], v[88:89] op_sel:[0,1]
	s_delay_alu instid0(VALU_DEP_1) | instskip(SKIP_1) | instid1(VALU_DEP_1)
	v_pk_fma_f32 v[92:93], v[76:77], v[86:87], v[90:91] op_sel:[0,0,1] op_sel_hi:[1,1,0] neg_lo:[0,0,1] neg_hi:[0,0,1]
	v_pk_fma_f32 v[76:77], v[76:77], v[86:87], v[90:91] op_sel:[0,0,1] op_sel_hi:[1,0,0]
	v_mov_b32_e32 v93, v77
	v_pk_mul_f32 v[76:77], v[78:79], v[88:89] op_sel:[0,1]
	s_delay_alu instid0(VALU_DEP_1) | instskip(SKIP_1) | instid1(VALU_DEP_1)
	v_pk_fma_f32 v[90:91], v[78:79], v[86:87], v[76:77] op_sel:[0,0,1] op_sel_hi:[1,1,0] neg_lo:[0,0,1] neg_hi:[0,0,1]
	v_pk_fma_f32 v[76:77], v[78:79], v[86:87], v[76:77] op_sel:[0,0,1] op_sel_hi:[1,0,0]
	v_mov_b32_e32 v91, v77
	ds_load_2addr_b64 v[76:79], v80 offset0:29 offset1:30
	v_pk_add_f32 v[40:41], v[40:41], v[92:93] neg_lo:[0,1] neg_hi:[0,1]
	v_pk_add_f32 v[64:65], v[64:65], v[90:91] neg_lo:[0,1] neg_hi:[0,1]
	s_wait_dscnt 0x0
	v_pk_mul_f32 v[90:91], v[76:77], v[88:89] op_sel:[0,1]
	s_delay_alu instid0(VALU_DEP_1) | instskip(SKIP_1) | instid1(VALU_DEP_1)
	v_pk_fma_f32 v[92:93], v[76:77], v[86:87], v[90:91] op_sel:[0,0,1] op_sel_hi:[1,1,0] neg_lo:[0,0,1] neg_hi:[0,0,1]
	v_pk_fma_f32 v[76:77], v[76:77], v[86:87], v[90:91] op_sel:[0,0,1] op_sel_hi:[1,0,0]
	v_mov_b32_e32 v93, v77
	v_pk_mul_f32 v[76:77], v[78:79], v[88:89] op_sel:[0,1]
	s_delay_alu instid0(VALU_DEP_1) | instskip(SKIP_1) | instid1(VALU_DEP_1)
	v_pk_fma_f32 v[90:91], v[78:79], v[86:87], v[76:77] op_sel:[0,0,1] op_sel_hi:[1,1,0] neg_lo:[0,0,1] neg_hi:[0,0,1]
	v_pk_fma_f32 v[76:77], v[78:79], v[86:87], v[76:77] op_sel:[0,0,1] op_sel_hi:[1,0,0]
	v_mov_b32_e32 v91, v77
	ds_load_2addr_b64 v[76:79], v80 offset0:31 offset1:32
	v_pk_add_f32 v[62:63], v[62:63], v[92:93] neg_lo:[0,1] neg_hi:[0,1]
	v_pk_add_f32 v[46:47], v[46:47], v[90:91] neg_lo:[0,1] neg_hi:[0,1]
	s_wait_dscnt 0x0
	v_dual_mul_f32 v90, v77, v89 :: v_dual_mul_f32 v92, v77, v86
	s_delay_alu instid0(VALU_DEP_1) | instskip(NEXT) | instid1(VALU_DEP_2)
	v_pk_fma_f32 v[90:91], v[76:77], v[32:33], v[90:91] op_sel_hi:[1,1,0] neg_lo:[0,0,1] neg_hi:[0,0,1]
	v_pk_fma_f32 v[76:77], v[76:77], v[32:33], v[92:93] op_sel:[1,0,0] op_sel_hi:[0,1,0]
	s_delay_alu instid0(VALU_DEP_1) | instskip(SKIP_1) | instid1(VALU_DEP_2)
	v_mov_b32_e32 v91, v77
	v_pk_mul_f32 v[76:77], v[78:79], v[88:89] op_sel:[0,1]
	v_pk_add_f32 v[44:45], v[44:45], v[90:91] neg_lo:[0,1] neg_hi:[0,1]
	s_delay_alu instid0(VALU_DEP_2) | instskip(SKIP_1) | instid1(VALU_DEP_1)
	v_pk_fma_f32 v[90:91], v[78:79], v[86:87], v[76:77] op_sel:[0,0,1] op_sel_hi:[1,1,0] neg_lo:[0,0,1] neg_hi:[0,0,1]
	v_pk_fma_f32 v[76:77], v[78:79], v[86:87], v[76:77] op_sel:[0,0,1] op_sel_hi:[1,0,0]
	v_mov_b32_e32 v91, v77
	ds_load_2addr_b64 v[76:79], v80 offset0:33 offset1:34
	v_pk_add_f32 v[54:55], v[54:55], v[90:91] neg_lo:[0,1] neg_hi:[0,1]
	s_wait_dscnt 0x0
	v_pk_mul_f32 v[90:91], v[76:77], v[88:89] op_sel:[0,1]
	v_mul_f32_e32 v88, v79, v89
	s_delay_alu instid0(VALU_DEP_2) | instskip(SKIP_2) | instid1(VALU_DEP_4)
	v_pk_fma_f32 v[92:93], v[76:77], v[86:87], v[90:91] op_sel:[0,0,1] op_sel_hi:[1,1,0] neg_lo:[0,0,1] neg_hi:[0,0,1]
	v_pk_fma_f32 v[76:77], v[76:77], v[86:87], v[90:91] op_sel:[0,0,1] op_sel_hi:[1,0,0]
	v_mov_b32_e32 v76, v79
	v_pk_fma_f32 v[88:89], v[78:79], v[32:33], v[88:89] op_sel_hi:[1,1,0] neg_lo:[0,0,1] neg_hi:[0,0,1]
	s_delay_alu instid0(VALU_DEP_3) | instskip(SKIP_1) | instid1(VALU_DEP_2)
	v_dual_mov_b32 v93, v77 :: v_dual_mov_b32 v77, v78
	v_mul_f32_e32 v78, v79, v86
	v_pk_add_f32 v[52:53], v[52:53], v[92:93] neg_lo:[0,1] neg_hi:[0,1]
	s_delay_alu instid0(VALU_DEP_2) | instskip(NEXT) | instid1(VALU_DEP_1)
	v_pk_fma_f32 v[76:77], v[76:77], v[32:33], v[78:79] op_sel_hi:[1,1,0]
	v_mov_b32_e32 v89, v77
	s_delay_alu instid0(VALU_DEP_1)
	v_pk_add_f32 v[74:75], v[74:75], v[88:89] neg_lo:[0,1] neg_hi:[0,1]
.LBB68_482:
	s_or_b32 exec_lo, exec_lo, s0
	v_lshl_add_u32 v76, v84, 3, v80
	s_barrier_signal -1
	s_barrier_wait -1
	ds_store_b64 v76, v[30:31]
	s_wait_dscnt 0x0
	s_barrier_signal -1
	s_barrier_wait -1
	ds_load_b64 v[76:77], v80 offset:184
	v_mov_b32_e32 v78, 23
	s_cmp_lt_i32 s14, 25
	s_cbranch_scc1 .LBB68_485
; %bb.483:
	v_add3_u32 v79, v81, 0, 0xc0
	v_mov_b32_e32 v78, 23
	s_mov_b32 s0, 24
.LBB68_484:                             ; =>This Inner Loop Header: Depth=1
	ds_load_b64 v[86:87], v79
	s_wait_dscnt 0x1
	v_cmp_gt_f32_e32 vcc_lo, 0, v76
	v_cndmask_b32_e64 v88, v76, -v76, vcc_lo
	v_cmp_gt_f32_e32 vcc_lo, 0, v77
	v_cndmask_b32_e64 v90, v77, -v77, vcc_lo
	s_wait_dscnt 0x0
	v_cmp_gt_f32_e32 vcc_lo, 0, v86
	v_cndmask_b32_e64 v89, v86, -v86, vcc_lo
	v_cmp_gt_f32_e32 vcc_lo, 0, v87
	v_cndmask_b32_e64 v91, v87, -v87, vcc_lo
	s_delay_alu instid0(VALU_DEP_1) | instskip(NEXT) | instid1(VALU_DEP_1)
	v_pk_add_f32 v[88:89], v[88:89], v[90:91]
	v_cmp_lt_f32_e32 vcc_lo, v88, v89
	v_dual_cndmask_b32 v76, v76, v86 :: v_dual_add_nc_u32 v79, 8, v79
	v_cndmask_b32_e32 v77, v77, v87, vcc_lo
	v_cndmask_b32_e64 v78, v78, s0, vcc_lo
	s_add_co_i32 s0, s0, 1
	s_delay_alu instid0(SALU_CYCLE_1)
	s_cmp_lg_u32 s14, s0
	s_cbranch_scc1 .LBB68_484
.LBB68_485:
	s_wait_dscnt 0x0
	v_cmp_eq_f32_e32 vcc_lo, 0, v76
	v_cmp_eq_f32_e64 s0, 0, v77
	s_and_b32 s0, vcc_lo, s0
	s_delay_alu instid0(SALU_CYCLE_1) | instskip(NEXT) | instid1(SALU_CYCLE_1)
	s_and_saveexec_b32 s1, s0
	s_xor_b32 s0, exec_lo, s1
; %bb.486:
	v_cmp_ne_u32_e32 vcc_lo, 0, v82
	v_cndmask_b32_e32 v82, 24, v82, vcc_lo
; %bb.487:
	s_and_not1_saveexec_b32 s0, s0
	s_cbranch_execz .LBB68_493
; %bb.488:
	v_cmp_ngt_f32_e64 s1, |v76|, |v77|
	s_and_saveexec_b32 s15, s1
	s_delay_alu instid0(SALU_CYCLE_1)
	s_xor_b32 s1, exec_lo, s15
	s_cbranch_execz .LBB68_490
; %bb.489:
	v_div_scale_f32 v79, null, v77, v77, v76
	v_div_scale_f32 v87, vcc_lo, v76, v77, v76
	s_delay_alu instid0(VALU_DEP_2) | instskip(SKIP_1) | instid1(TRANS32_DEP_1)
	v_rcp_f32_e32 v85, v79
	v_nop
	v_fma_f32 v86, -v79, v85, 1.0
	s_delay_alu instid0(VALU_DEP_1) | instskip(NEXT) | instid1(VALU_DEP_1)
	v_fmac_f32_e32 v85, v86, v85
	v_mul_f32_e32 v86, v87, v85
	s_delay_alu instid0(VALU_DEP_1) | instskip(NEXT) | instid1(VALU_DEP_1)
	v_fma_f32 v88, -v79, v86, v87
	v_fmac_f32_e32 v86, v88, v85
	s_delay_alu instid0(VALU_DEP_1) | instskip(NEXT) | instid1(VALU_DEP_1)
	v_fma_f32 v79, -v79, v86, v87
	v_div_fmas_f32 v79, v79, v85, v86
	s_delay_alu instid0(VALU_DEP_1) | instskip(NEXT) | instid1(VALU_DEP_1)
	v_div_fixup_f32 v79, v79, v77, v76
	v_fmac_f32_e32 v77, v76, v79
	s_delay_alu instid0(VALU_DEP_1) | instskip(SKIP_1) | instid1(VALU_DEP_2)
	v_div_scale_f32 v76, null, v77, v77, 1.0
	v_div_scale_f32 v87, vcc_lo, 1.0, v77, 1.0
	v_rcp_f32_e32 v85, v76
	v_nop
	s_delay_alu instid0(TRANS32_DEP_1) | instskip(NEXT) | instid1(VALU_DEP_1)
	v_fma_f32 v86, -v76, v85, 1.0
	v_fmac_f32_e32 v85, v86, v85
	s_delay_alu instid0(VALU_DEP_1) | instskip(NEXT) | instid1(VALU_DEP_1)
	v_mul_f32_e32 v86, v87, v85
	v_fma_f32 v88, -v76, v86, v87
	s_delay_alu instid0(VALU_DEP_1) | instskip(NEXT) | instid1(VALU_DEP_1)
	v_fmac_f32_e32 v86, v88, v85
	v_fma_f32 v76, -v76, v86, v87
	s_delay_alu instid0(VALU_DEP_1) | instskip(NEXT) | instid1(VALU_DEP_1)
	v_div_fmas_f32 v76, v76, v85, v86
	v_div_fixup_f32 v77, v76, v77, 1.0
	s_delay_alu instid0(VALU_DEP_1)
	v_mul_f32_e32 v76, v79, v77
	v_xor_b32_e32 v77, 0x80000000, v77
.LBB68_490:
	s_and_not1_saveexec_b32 s1, s1
	s_cbranch_execz .LBB68_492
; %bb.491:
	s_delay_alu instid0(VALU_DEP_1) | instskip(SKIP_1) | instid1(VALU_DEP_2)
	v_div_scale_f32 v79, null, v76, v76, v77
	v_div_scale_f32 v87, vcc_lo, v77, v76, v77
	v_rcp_f32_e32 v85, v79
	v_nop
	s_delay_alu instid0(TRANS32_DEP_1) | instskip(NEXT) | instid1(VALU_DEP_1)
	v_fma_f32 v86, -v79, v85, 1.0
	v_fmac_f32_e32 v85, v86, v85
	s_delay_alu instid0(VALU_DEP_1) | instskip(NEXT) | instid1(VALU_DEP_1)
	v_mul_f32_e32 v86, v87, v85
	v_fma_f32 v88, -v79, v86, v87
	s_delay_alu instid0(VALU_DEP_1) | instskip(NEXT) | instid1(VALU_DEP_1)
	v_fmac_f32_e32 v86, v88, v85
	v_fma_f32 v79, -v79, v86, v87
	s_delay_alu instid0(VALU_DEP_1) | instskip(NEXT) | instid1(VALU_DEP_1)
	v_div_fmas_f32 v79, v79, v85, v86
	v_div_fixup_f32 v79, v79, v76, v77
	s_delay_alu instid0(VALU_DEP_1) | instskip(NEXT) | instid1(VALU_DEP_1)
	v_fmac_f32_e32 v76, v77, v79
	v_div_scale_f32 v77, null, v76, v76, 1.0
	s_delay_alu instid0(VALU_DEP_1) | instskip(SKIP_1) | instid1(TRANS32_DEP_1)
	v_rcp_f32_e32 v85, v77
	v_nop
	v_fma_f32 v86, -v77, v85, 1.0
	s_delay_alu instid0(VALU_DEP_1) | instskip(SKIP_1) | instid1(VALU_DEP_1)
	v_fmac_f32_e32 v85, v86, v85
	v_div_scale_f32 v86, vcc_lo, 1.0, v76, 1.0
	v_mul_f32_e32 v87, v86, v85
	s_delay_alu instid0(VALU_DEP_1) | instskip(NEXT) | instid1(VALU_DEP_1)
	v_fma_f32 v88, -v77, v87, v86
	v_fmac_f32_e32 v87, v88, v85
	s_delay_alu instid0(VALU_DEP_1) | instskip(NEXT) | instid1(VALU_DEP_1)
	v_fma_f32 v77, -v77, v87, v86
	v_div_fmas_f32 v77, v77, v85, v87
	s_delay_alu instid0(VALU_DEP_1) | instskip(NEXT) | instid1(VALU_DEP_1)
	v_div_fixup_f32 v76, v77, v76, 1.0
	v_mul_f32_e64 v77, v79, -v76
.LBB68_492:
	s_or_b32 exec_lo, exec_lo, s1
.LBB68_493:
	s_delay_alu instid0(SALU_CYCLE_1) | instskip(NEXT) | instid1(SALU_CYCLE_1)
	s_or_b32 exec_lo, exec_lo, s0
	s_mov_b32 s0, exec_lo
	v_cmpx_ne_u32_e64 v84, v78
	s_xor_b32 s0, exec_lo, s0
	s_cbranch_execz .LBB68_499
; %bb.494:
	s_mov_b32 s1, exec_lo
	v_cmpx_eq_u32_e32 23, v84
	s_cbranch_execz .LBB68_498
; %bb.495:
	v_cmp_ne_u32_e32 vcc_lo, 23, v78
	s_xor_b32 s15, s12, -1
	s_delay_alu instid0(SALU_CYCLE_1) | instskip(NEXT) | instid1(SALU_CYCLE_1)
	s_and_b32 s16, s15, vcc_lo
	s_and_saveexec_b32 s15, s16
	s_cbranch_execz .LBB68_497
; %bb.496:
	v_ashrrev_i32_e32 v79, 31, v78
	s_delay_alu instid0(VALU_DEP_1)
	v_lshl_add_u64 v[84:85], v[78:79], 2, v[4:5]
	s_clause 0x1
	global_load_b32 v79, v[84:85], off
	global_load_b32 v83, v[4:5], off offset:92
	s_wait_loadcnt 0x1
	global_store_b32 v[4:5], v79, off offset:92
	s_wait_loadcnt 0x0
	global_store_b32 v[84:85], v83, off
.LBB68_497:
	s_wait_xcnt 0x0
	s_or_b32 exec_lo, exec_lo, s15
	v_dual_mov_b32 v84, v78 :: v_dual_mov_b32 v83, v78
.LBB68_498:
	s_or_b32 exec_lo, exec_lo, s1
.LBB68_499:
	s_and_not1_saveexec_b32 s0, s0
	s_cbranch_execz .LBB68_501
; %bb.500:
	v_dual_mov_b32 v78, v68 :: v_dual_mov_b32 v79, v69
	v_dual_mov_b32 v84, v66 :: v_dual_mov_b32 v85, v67
	ds_store_2addr_b64 v80, v[78:79], v[84:85] offset0:24 offset1:25
	v_dual_mov_b32 v78, v42 :: v_dual_mov_b32 v79, v43
	v_dual_mov_b32 v84, v40 :: v_dual_mov_b32 v85, v41
	ds_store_2addr_b64 v80, v[78:79], v[84:85] offset0:26 offset1:27
	v_dual_mov_b32 v78, v64 :: v_dual_mov_b32 v79, v65
	v_dual_mov_b32 v84, v62 :: v_dual_mov_b32 v85, v63
	ds_store_2addr_b64 v80, v[78:79], v[84:85] offset0:28 offset1:29
	v_dual_mov_b32 v78, v46 :: v_dual_mov_b32 v79, v47
	v_dual_mov_b32 v84, v44 :: v_dual_mov_b32 v85, v45
	ds_store_2addr_b64 v80, v[78:79], v[84:85] offset0:30 offset1:31
	v_dual_mov_b32 v78, v54 :: v_dual_mov_b32 v79, v55
	v_dual_mov_b32 v84, v52 :: v_dual_mov_b32 v85, v53
	ds_store_2addr_b64 v80, v[78:79], v[84:85] offset0:32 offset1:33
	ds_store_b64 v80, v[74:75] offset:272
	v_mov_b32_e32 v84, 23
.LBB68_501:
	s_or_b32 exec_lo, exec_lo, s0
	s_delay_alu instid0(SALU_CYCLE_1)
	s_mov_b32 s0, exec_lo
	s_wait_storecnt_dscnt 0x0
	s_barrier_signal -1
	s_barrier_wait -1
	v_cmpx_lt_i32_e32 23, v84
	s_cbranch_execz .LBB68_503
; %bb.502:
	v_pk_mul_f32 v[78:79], v[76:77], v[30:31] op_sel:[1,1] op_sel_hi:[0,1]
	s_delay_alu instid0(VALU_DEP_1)
	v_pk_fma_f32 v[86:87], v[76:77], v[30:31], v[78:79] op_sel_hi:[1,0,1] neg_lo:[0,0,1] neg_hi:[0,0,1]
	v_pk_fma_f32 v[88:89], v[76:77], v[30:31], v[78:79] op_sel_hi:[1,0,1]
	ds_load_2addr_b64 v[76:79], v80 offset0:24 offset1:25
	v_dual_mov_b32 v30, v86 :: v_dual_mov_b32 v31, v89
	s_wait_dscnt 0x0
	v_pk_mul_f32 v[90:91], v[76:77], v[88:89] op_sel:[0,1]
	s_delay_alu instid0(VALU_DEP_1) | instskip(SKIP_1) | instid1(VALU_DEP_1)
	v_pk_fma_f32 v[92:93], v[76:77], v[86:87], v[90:91] op_sel:[0,0,1] op_sel_hi:[1,1,0] neg_lo:[0,0,1] neg_hi:[0,0,1]
	v_pk_fma_f32 v[76:77], v[76:77], v[86:87], v[90:91] op_sel:[0,0,1] op_sel_hi:[1,0,0]
	v_mov_b32_e32 v93, v77
	v_pk_mul_f32 v[76:77], v[78:79], v[88:89] op_sel:[0,1]
	s_delay_alu instid0(VALU_DEP_1) | instskip(SKIP_1) | instid1(VALU_DEP_1)
	v_pk_fma_f32 v[90:91], v[78:79], v[86:87], v[76:77] op_sel:[0,0,1] op_sel_hi:[1,1,0] neg_lo:[0,0,1] neg_hi:[0,0,1]
	v_pk_fma_f32 v[76:77], v[78:79], v[86:87], v[76:77] op_sel:[0,0,1] op_sel_hi:[1,0,0]
	v_mov_b32_e32 v91, v77
	ds_load_2addr_b64 v[76:79], v80 offset0:26 offset1:27
	v_pk_add_f32 v[68:69], v[68:69], v[92:93] neg_lo:[0,1] neg_hi:[0,1]
	v_pk_add_f32 v[66:67], v[66:67], v[90:91] neg_lo:[0,1] neg_hi:[0,1]
	s_wait_dscnt 0x0
	v_pk_mul_f32 v[90:91], v[76:77], v[88:89] op_sel:[0,1]
	s_delay_alu instid0(VALU_DEP_1) | instskip(SKIP_2) | instid1(VALU_DEP_2)
	v_pk_fma_f32 v[92:93], v[76:77], v[86:87], v[90:91] op_sel:[0,0,1] op_sel_hi:[1,1,0] neg_lo:[0,0,1] neg_hi:[0,0,1]
	v_pk_fma_f32 v[76:77], v[76:77], v[86:87], v[90:91] op_sel:[0,0,1] op_sel_hi:[1,0,0]
	v_dual_mul_f32 v90, v79, v89 :: v_dual_mov_b32 v76, v79
	v_dual_mov_b32 v93, v77 :: v_dual_mov_b32 v77, v78
	s_delay_alu instid0(VALU_DEP_2) | instskip(SKIP_1) | instid1(VALU_DEP_3)
	v_pk_fma_f32 v[90:91], v[78:79], v[30:31], v[90:91] op_sel_hi:[1,1,0] neg_lo:[0,0,1] neg_hi:[0,0,1]
	v_mul_f32_e32 v78, v79, v86
	v_pk_add_f32 v[42:43], v[42:43], v[92:93] neg_lo:[0,1] neg_hi:[0,1]
	s_delay_alu instid0(VALU_DEP_2) | instskip(NEXT) | instid1(VALU_DEP_1)
	v_pk_fma_f32 v[76:77], v[76:77], v[30:31], v[78:79] op_sel_hi:[1,1,0]
	v_mov_b32_e32 v91, v77
	ds_load_2addr_b64 v[76:79], v80 offset0:28 offset1:29
	v_pk_add_f32 v[40:41], v[40:41], v[90:91] neg_lo:[0,1] neg_hi:[0,1]
	s_wait_dscnt 0x0
	v_pk_mul_f32 v[90:91], v[76:77], v[88:89] op_sel:[0,1]
	s_delay_alu instid0(VALU_DEP_1) | instskip(SKIP_1) | instid1(VALU_DEP_1)
	v_pk_fma_f32 v[92:93], v[76:77], v[86:87], v[90:91] op_sel:[0,0,1] op_sel_hi:[1,1,0] neg_lo:[0,0,1] neg_hi:[0,0,1]
	v_pk_fma_f32 v[76:77], v[76:77], v[86:87], v[90:91] op_sel:[0,0,1] op_sel_hi:[1,0,0]
	v_mov_b32_e32 v93, v77
	v_pk_mul_f32 v[76:77], v[78:79], v[88:89] op_sel:[0,1]
	s_delay_alu instid0(VALU_DEP_1) | instskip(SKIP_1) | instid1(VALU_DEP_1)
	v_pk_fma_f32 v[90:91], v[78:79], v[86:87], v[76:77] op_sel:[0,0,1] op_sel_hi:[1,1,0] neg_lo:[0,0,1] neg_hi:[0,0,1]
	v_pk_fma_f32 v[76:77], v[78:79], v[86:87], v[76:77] op_sel:[0,0,1] op_sel_hi:[1,0,0]
	v_mov_b32_e32 v91, v77
	ds_load_2addr_b64 v[76:79], v80 offset0:30 offset1:31
	v_pk_add_f32 v[64:65], v[64:65], v[92:93] neg_lo:[0,1] neg_hi:[0,1]
	v_pk_add_f32 v[62:63], v[62:63], v[90:91] neg_lo:[0,1] neg_hi:[0,1]
	s_wait_dscnt 0x0
	v_pk_mul_f32 v[90:91], v[76:77], v[88:89] op_sel:[0,1]
	s_delay_alu instid0(VALU_DEP_1) | instskip(SKIP_1) | instid1(VALU_DEP_1)
	v_pk_fma_f32 v[92:93], v[76:77], v[86:87], v[90:91] op_sel:[0,0,1] op_sel_hi:[1,1,0] neg_lo:[0,0,1] neg_hi:[0,0,1]
	v_pk_fma_f32 v[76:77], v[76:77], v[86:87], v[90:91] op_sel:[0,0,1] op_sel_hi:[1,0,0]
	v_mov_b32_e32 v93, v77
	v_pk_mul_f32 v[76:77], v[78:79], v[88:89] op_sel:[0,1]
	s_delay_alu instid0(VALU_DEP_1) | instskip(SKIP_1) | instid1(VALU_DEP_1)
	v_pk_fma_f32 v[90:91], v[78:79], v[86:87], v[76:77] op_sel:[0,0,1] op_sel_hi:[1,1,0] neg_lo:[0,0,1] neg_hi:[0,0,1]
	v_pk_fma_f32 v[76:77], v[78:79], v[86:87], v[76:77] op_sel:[0,0,1] op_sel_hi:[1,0,0]
	v_mov_b32_e32 v91, v77
	ds_load_2addr_b64 v[76:79], v80 offset0:32 offset1:33
	v_pk_add_f32 v[46:47], v[46:47], v[92:93] neg_lo:[0,1] neg_hi:[0,1]
	v_pk_add_f32 v[44:45], v[44:45], v[90:91] neg_lo:[0,1] neg_hi:[0,1]
	s_wait_dscnt 0x0
	v_dual_mul_f32 v90, v77, v89 :: v_dual_mul_f32 v92, v77, v86
	s_delay_alu instid0(VALU_DEP_1) | instskip(NEXT) | instid1(VALU_DEP_2)
	v_pk_fma_f32 v[90:91], v[76:77], v[30:31], v[90:91] op_sel_hi:[1,1,0] neg_lo:[0,0,1] neg_hi:[0,0,1]
	v_pk_fma_f32 v[76:77], v[76:77], v[30:31], v[92:93] op_sel:[1,0,0] op_sel_hi:[0,1,0]
	s_delay_alu instid0(VALU_DEP_1) | instskip(SKIP_1) | instid1(VALU_DEP_2)
	v_mov_b32_e32 v91, v77
	v_pk_mul_f32 v[76:77], v[78:79], v[88:89] op_sel:[0,1]
	v_pk_add_f32 v[54:55], v[54:55], v[90:91] neg_lo:[0,1] neg_hi:[0,1]
	s_delay_alu instid0(VALU_DEP_2) | instskip(SKIP_1) | instid1(VALU_DEP_1)
	v_pk_fma_f32 v[90:91], v[78:79], v[86:87], v[76:77] op_sel:[0,0,1] op_sel_hi:[1,1,0] neg_lo:[0,0,1] neg_hi:[0,0,1]
	v_pk_fma_f32 v[76:77], v[78:79], v[86:87], v[76:77] op_sel:[0,0,1] op_sel_hi:[1,0,0]
	v_mov_b32_e32 v91, v77
	ds_load_b64 v[76:77], v80 offset:272
	v_pk_add_f32 v[52:53], v[52:53], v[90:91] neg_lo:[0,1] neg_hi:[0,1]
	s_wait_dscnt 0x0
	v_pk_mul_f32 v[78:79], v[76:77], v[88:89] op_sel:[0,1]
	s_delay_alu instid0(VALU_DEP_1) | instskip(SKIP_1) | instid1(VALU_DEP_1)
	v_pk_fma_f32 v[88:89], v[76:77], v[86:87], v[78:79] op_sel:[0,0,1] op_sel_hi:[1,1,0] neg_lo:[0,0,1] neg_hi:[0,0,1]
	v_pk_fma_f32 v[76:77], v[76:77], v[86:87], v[78:79] op_sel:[0,0,1] op_sel_hi:[1,0,0]
	v_mov_b32_e32 v89, v77
	s_delay_alu instid0(VALU_DEP_1)
	v_pk_add_f32 v[74:75], v[74:75], v[88:89] neg_lo:[0,1] neg_hi:[0,1]
.LBB68_503:
	s_or_b32 exec_lo, exec_lo, s0
	v_lshl_add_u32 v76, v84, 3, v80
	s_barrier_signal -1
	s_barrier_wait -1
	ds_store_b64 v76, v[68:69]
	s_wait_dscnt 0x0
	s_barrier_signal -1
	s_barrier_wait -1
	ds_load_b64 v[76:77], v80 offset:192
	v_mov_b32_e32 v78, 24
	s_cmp_lt_i32 s14, 26
	s_cbranch_scc1 .LBB68_506
; %bb.504:
	v_add3_u32 v79, v81, 0, 0xc8
	v_mov_b32_e32 v78, 24
	s_mov_b32 s0, 25
.LBB68_505:                             ; =>This Inner Loop Header: Depth=1
	ds_load_b64 v[86:87], v79
	s_wait_dscnt 0x1
	v_cmp_gt_f32_e32 vcc_lo, 0, v76
	v_cndmask_b32_e64 v88, v76, -v76, vcc_lo
	v_cmp_gt_f32_e32 vcc_lo, 0, v77
	v_cndmask_b32_e64 v90, v77, -v77, vcc_lo
	s_wait_dscnt 0x0
	v_cmp_gt_f32_e32 vcc_lo, 0, v86
	v_cndmask_b32_e64 v89, v86, -v86, vcc_lo
	v_cmp_gt_f32_e32 vcc_lo, 0, v87
	v_cndmask_b32_e64 v91, v87, -v87, vcc_lo
	s_delay_alu instid0(VALU_DEP_1) | instskip(NEXT) | instid1(VALU_DEP_1)
	v_pk_add_f32 v[88:89], v[88:89], v[90:91]
	v_cmp_lt_f32_e32 vcc_lo, v88, v89
	v_dual_cndmask_b32 v76, v76, v86 :: v_dual_add_nc_u32 v79, 8, v79
	v_cndmask_b32_e32 v77, v77, v87, vcc_lo
	v_cndmask_b32_e64 v78, v78, s0, vcc_lo
	s_add_co_i32 s0, s0, 1
	s_delay_alu instid0(SALU_CYCLE_1)
	s_cmp_lg_u32 s14, s0
	s_cbranch_scc1 .LBB68_505
.LBB68_506:
	s_wait_dscnt 0x0
	v_cmp_eq_f32_e32 vcc_lo, 0, v76
	v_cmp_eq_f32_e64 s0, 0, v77
	s_and_b32 s0, vcc_lo, s0
	s_delay_alu instid0(SALU_CYCLE_1) | instskip(NEXT) | instid1(SALU_CYCLE_1)
	s_and_saveexec_b32 s1, s0
	s_xor_b32 s0, exec_lo, s1
; %bb.507:
	v_cmp_ne_u32_e32 vcc_lo, 0, v82
	v_cndmask_b32_e32 v82, 25, v82, vcc_lo
; %bb.508:
	s_and_not1_saveexec_b32 s0, s0
	s_cbranch_execz .LBB68_514
; %bb.509:
	v_cmp_ngt_f32_e64 s1, |v76|, |v77|
	s_and_saveexec_b32 s15, s1
	s_delay_alu instid0(SALU_CYCLE_1)
	s_xor_b32 s1, exec_lo, s15
	s_cbranch_execz .LBB68_511
; %bb.510:
	v_div_scale_f32 v79, null, v77, v77, v76
	v_div_scale_f32 v87, vcc_lo, v76, v77, v76
	s_delay_alu instid0(VALU_DEP_2) | instskip(SKIP_1) | instid1(TRANS32_DEP_1)
	v_rcp_f32_e32 v85, v79
	v_nop
	v_fma_f32 v86, -v79, v85, 1.0
	s_delay_alu instid0(VALU_DEP_1) | instskip(NEXT) | instid1(VALU_DEP_1)
	v_fmac_f32_e32 v85, v86, v85
	v_mul_f32_e32 v86, v87, v85
	s_delay_alu instid0(VALU_DEP_1) | instskip(NEXT) | instid1(VALU_DEP_1)
	v_fma_f32 v88, -v79, v86, v87
	v_fmac_f32_e32 v86, v88, v85
	s_delay_alu instid0(VALU_DEP_1) | instskip(NEXT) | instid1(VALU_DEP_1)
	v_fma_f32 v79, -v79, v86, v87
	v_div_fmas_f32 v79, v79, v85, v86
	s_delay_alu instid0(VALU_DEP_1) | instskip(NEXT) | instid1(VALU_DEP_1)
	v_div_fixup_f32 v79, v79, v77, v76
	v_fmac_f32_e32 v77, v76, v79
	s_delay_alu instid0(VALU_DEP_1) | instskip(SKIP_1) | instid1(VALU_DEP_2)
	v_div_scale_f32 v76, null, v77, v77, 1.0
	v_div_scale_f32 v87, vcc_lo, 1.0, v77, 1.0
	v_rcp_f32_e32 v85, v76
	v_nop
	s_delay_alu instid0(TRANS32_DEP_1) | instskip(NEXT) | instid1(VALU_DEP_1)
	v_fma_f32 v86, -v76, v85, 1.0
	v_fmac_f32_e32 v85, v86, v85
	s_delay_alu instid0(VALU_DEP_1) | instskip(NEXT) | instid1(VALU_DEP_1)
	v_mul_f32_e32 v86, v87, v85
	v_fma_f32 v88, -v76, v86, v87
	s_delay_alu instid0(VALU_DEP_1) | instskip(NEXT) | instid1(VALU_DEP_1)
	v_fmac_f32_e32 v86, v88, v85
	v_fma_f32 v76, -v76, v86, v87
	s_delay_alu instid0(VALU_DEP_1) | instskip(NEXT) | instid1(VALU_DEP_1)
	v_div_fmas_f32 v76, v76, v85, v86
	v_div_fixup_f32 v77, v76, v77, 1.0
	s_delay_alu instid0(VALU_DEP_1)
	v_mul_f32_e32 v76, v79, v77
	v_xor_b32_e32 v77, 0x80000000, v77
.LBB68_511:
	s_and_not1_saveexec_b32 s1, s1
	s_cbranch_execz .LBB68_513
; %bb.512:
	s_delay_alu instid0(VALU_DEP_1) | instskip(SKIP_1) | instid1(VALU_DEP_2)
	v_div_scale_f32 v79, null, v76, v76, v77
	v_div_scale_f32 v87, vcc_lo, v77, v76, v77
	v_rcp_f32_e32 v85, v79
	v_nop
	s_delay_alu instid0(TRANS32_DEP_1) | instskip(NEXT) | instid1(VALU_DEP_1)
	v_fma_f32 v86, -v79, v85, 1.0
	v_fmac_f32_e32 v85, v86, v85
	s_delay_alu instid0(VALU_DEP_1) | instskip(NEXT) | instid1(VALU_DEP_1)
	v_mul_f32_e32 v86, v87, v85
	v_fma_f32 v88, -v79, v86, v87
	s_delay_alu instid0(VALU_DEP_1) | instskip(NEXT) | instid1(VALU_DEP_1)
	v_fmac_f32_e32 v86, v88, v85
	v_fma_f32 v79, -v79, v86, v87
	s_delay_alu instid0(VALU_DEP_1) | instskip(NEXT) | instid1(VALU_DEP_1)
	v_div_fmas_f32 v79, v79, v85, v86
	v_div_fixup_f32 v79, v79, v76, v77
	s_delay_alu instid0(VALU_DEP_1) | instskip(NEXT) | instid1(VALU_DEP_1)
	v_fmac_f32_e32 v76, v77, v79
	v_div_scale_f32 v77, null, v76, v76, 1.0
	s_delay_alu instid0(VALU_DEP_1) | instskip(SKIP_1) | instid1(TRANS32_DEP_1)
	v_rcp_f32_e32 v85, v77
	v_nop
	v_fma_f32 v86, -v77, v85, 1.0
	s_delay_alu instid0(VALU_DEP_1) | instskip(SKIP_1) | instid1(VALU_DEP_1)
	v_fmac_f32_e32 v85, v86, v85
	v_div_scale_f32 v86, vcc_lo, 1.0, v76, 1.0
	v_mul_f32_e32 v87, v86, v85
	s_delay_alu instid0(VALU_DEP_1) | instskip(NEXT) | instid1(VALU_DEP_1)
	v_fma_f32 v88, -v77, v87, v86
	v_fmac_f32_e32 v87, v88, v85
	s_delay_alu instid0(VALU_DEP_1) | instskip(NEXT) | instid1(VALU_DEP_1)
	v_fma_f32 v77, -v77, v87, v86
	v_div_fmas_f32 v77, v77, v85, v87
	s_delay_alu instid0(VALU_DEP_1) | instskip(NEXT) | instid1(VALU_DEP_1)
	v_div_fixup_f32 v76, v77, v76, 1.0
	v_mul_f32_e64 v77, v79, -v76
.LBB68_513:
	s_or_b32 exec_lo, exec_lo, s1
.LBB68_514:
	s_delay_alu instid0(SALU_CYCLE_1) | instskip(NEXT) | instid1(SALU_CYCLE_1)
	s_or_b32 exec_lo, exec_lo, s0
	s_mov_b32 s0, exec_lo
	v_cmpx_ne_u32_e64 v84, v78
	s_xor_b32 s0, exec_lo, s0
	s_cbranch_execz .LBB68_520
; %bb.515:
	s_mov_b32 s1, exec_lo
	v_cmpx_eq_u32_e32 24, v84
	s_cbranch_execz .LBB68_519
; %bb.516:
	v_cmp_ne_u32_e32 vcc_lo, 24, v78
	s_xor_b32 s15, s12, -1
	s_delay_alu instid0(SALU_CYCLE_1) | instskip(NEXT) | instid1(SALU_CYCLE_1)
	s_and_b32 s16, s15, vcc_lo
	s_and_saveexec_b32 s15, s16
	s_cbranch_execz .LBB68_518
; %bb.517:
	v_ashrrev_i32_e32 v79, 31, v78
	s_delay_alu instid0(VALU_DEP_1)
	v_lshl_add_u64 v[84:85], v[78:79], 2, v[4:5]
	s_clause 0x1
	global_load_b32 v79, v[84:85], off
	global_load_b32 v83, v[4:5], off offset:96
	s_wait_loadcnt 0x1
	global_store_b32 v[4:5], v79, off offset:96
	s_wait_loadcnt 0x0
	global_store_b32 v[84:85], v83, off
.LBB68_518:
	s_wait_xcnt 0x0
	s_or_b32 exec_lo, exec_lo, s15
	v_dual_mov_b32 v84, v78 :: v_dual_mov_b32 v83, v78
.LBB68_519:
	s_or_b32 exec_lo, exec_lo, s1
.LBB68_520:
	s_and_not1_saveexec_b32 s0, s0
	s_cbranch_execz .LBB68_522
; %bb.521:
	v_mov_b32_e32 v84, 24
	ds_store_2addr_b64 v80, v[66:67], v[42:43] offset0:25 offset1:26
	ds_store_2addr_b64 v80, v[40:41], v[64:65] offset0:27 offset1:28
	;; [unrolled: 1-line block ×5, first 2 shown]
.LBB68_522:
	s_or_b32 exec_lo, exec_lo, s0
	s_delay_alu instid0(SALU_CYCLE_1)
	s_mov_b32 s0, exec_lo
	s_wait_storecnt_dscnt 0x0
	s_barrier_signal -1
	s_barrier_wait -1
	v_cmpx_lt_i32_e32 24, v84
	s_cbranch_execz .LBB68_524
; %bb.523:
	v_pk_mul_f32 v[78:79], v[76:77], v[68:69] op_sel:[1,1] op_sel_hi:[0,1]
	s_delay_alu instid0(VALU_DEP_1)
	v_pk_fma_f32 v[86:87], v[76:77], v[68:69], v[78:79] op_sel_hi:[1,0,1] neg_lo:[0,0,1] neg_hi:[0,0,1]
	v_pk_fma_f32 v[88:89], v[76:77], v[68:69], v[78:79] op_sel_hi:[1,0,1]
	ds_load_2addr_b64 v[76:79], v80 offset0:25 offset1:26
	v_dual_mov_b32 v68, v86 :: v_dual_mov_b32 v69, v89
	s_wait_dscnt 0x0
	v_pk_mul_f32 v[90:91], v[76:77], v[88:89] op_sel:[0,1]
	s_delay_alu instid0(VALU_DEP_1) | instskip(SKIP_1) | instid1(VALU_DEP_1)
	v_pk_fma_f32 v[92:93], v[76:77], v[86:87], v[90:91] op_sel:[0,0,1] op_sel_hi:[1,1,0] neg_lo:[0,0,1] neg_hi:[0,0,1]
	v_pk_fma_f32 v[76:77], v[76:77], v[86:87], v[90:91] op_sel:[0,0,1] op_sel_hi:[1,0,0]
	v_mov_b32_e32 v93, v77
	v_pk_mul_f32 v[76:77], v[78:79], v[88:89] op_sel:[0,1]
	s_delay_alu instid0(VALU_DEP_1) | instskip(SKIP_1) | instid1(VALU_DEP_1)
	v_pk_fma_f32 v[90:91], v[78:79], v[86:87], v[76:77] op_sel:[0,0,1] op_sel_hi:[1,1,0] neg_lo:[0,0,1] neg_hi:[0,0,1]
	v_pk_fma_f32 v[76:77], v[78:79], v[86:87], v[76:77] op_sel:[0,0,1] op_sel_hi:[1,0,0]
	v_mov_b32_e32 v91, v77
	ds_load_2addr_b64 v[76:79], v80 offset0:27 offset1:28
	v_pk_add_f32 v[66:67], v[66:67], v[92:93] neg_lo:[0,1] neg_hi:[0,1]
	v_pk_add_f32 v[42:43], v[42:43], v[90:91] neg_lo:[0,1] neg_hi:[0,1]
	s_wait_dscnt 0x0
	v_pk_mul_f32 v[90:91], v[76:77], v[88:89] op_sel:[0,1]
	s_delay_alu instid0(VALU_DEP_1) | instskip(SKIP_2) | instid1(VALU_DEP_2)
	v_pk_fma_f32 v[92:93], v[76:77], v[86:87], v[90:91] op_sel:[0,0,1] op_sel_hi:[1,1,0] neg_lo:[0,0,1] neg_hi:[0,0,1]
	v_pk_fma_f32 v[76:77], v[76:77], v[86:87], v[90:91] op_sel:[0,0,1] op_sel_hi:[1,0,0]
	v_dual_mul_f32 v90, v79, v89 :: v_dual_mov_b32 v76, v79
	v_dual_mov_b32 v93, v77 :: v_dual_mov_b32 v77, v78
	s_delay_alu instid0(VALU_DEP_2) | instskip(SKIP_1) | instid1(VALU_DEP_3)
	v_pk_fma_f32 v[90:91], v[78:79], v[68:69], v[90:91] op_sel_hi:[1,1,0] neg_lo:[0,0,1] neg_hi:[0,0,1]
	v_mul_f32_e32 v78, v79, v86
	v_pk_add_f32 v[40:41], v[40:41], v[92:93] neg_lo:[0,1] neg_hi:[0,1]
	s_delay_alu instid0(VALU_DEP_2) | instskip(NEXT) | instid1(VALU_DEP_1)
	v_pk_fma_f32 v[76:77], v[76:77], v[68:69], v[78:79] op_sel_hi:[1,1,0]
	v_mov_b32_e32 v91, v77
	ds_load_2addr_b64 v[76:79], v80 offset0:29 offset1:30
	v_pk_add_f32 v[64:65], v[64:65], v[90:91] neg_lo:[0,1] neg_hi:[0,1]
	s_wait_dscnt 0x0
	v_pk_mul_f32 v[90:91], v[76:77], v[88:89] op_sel:[0,1]
	s_delay_alu instid0(VALU_DEP_1) | instskip(SKIP_1) | instid1(VALU_DEP_1)
	v_pk_fma_f32 v[92:93], v[76:77], v[86:87], v[90:91] op_sel:[0,0,1] op_sel_hi:[1,1,0] neg_lo:[0,0,1] neg_hi:[0,0,1]
	v_pk_fma_f32 v[76:77], v[76:77], v[86:87], v[90:91] op_sel:[0,0,1] op_sel_hi:[1,0,0]
	v_mov_b32_e32 v93, v77
	v_pk_mul_f32 v[76:77], v[78:79], v[88:89] op_sel:[0,1]
	s_delay_alu instid0(VALU_DEP_1) | instskip(SKIP_1) | instid1(VALU_DEP_1)
	v_pk_fma_f32 v[90:91], v[78:79], v[86:87], v[76:77] op_sel:[0,0,1] op_sel_hi:[1,1,0] neg_lo:[0,0,1] neg_hi:[0,0,1]
	v_pk_fma_f32 v[76:77], v[78:79], v[86:87], v[76:77] op_sel:[0,0,1] op_sel_hi:[1,0,0]
	v_mov_b32_e32 v91, v77
	ds_load_2addr_b64 v[76:79], v80 offset0:31 offset1:32
	v_pk_add_f32 v[62:63], v[62:63], v[92:93] neg_lo:[0,1] neg_hi:[0,1]
	v_pk_add_f32 v[46:47], v[46:47], v[90:91] neg_lo:[0,1] neg_hi:[0,1]
	s_wait_dscnt 0x0
	v_pk_mul_f32 v[90:91], v[76:77], v[88:89] op_sel:[0,1]
	s_delay_alu instid0(VALU_DEP_1) | instskip(SKIP_1) | instid1(VALU_DEP_1)
	v_pk_fma_f32 v[92:93], v[76:77], v[86:87], v[90:91] op_sel:[0,0,1] op_sel_hi:[1,1,0] neg_lo:[0,0,1] neg_hi:[0,0,1]
	v_pk_fma_f32 v[76:77], v[76:77], v[86:87], v[90:91] op_sel:[0,0,1] op_sel_hi:[1,0,0]
	v_mov_b32_e32 v93, v77
	v_pk_mul_f32 v[76:77], v[78:79], v[88:89] op_sel:[0,1]
	s_delay_alu instid0(VALU_DEP_1) | instskip(SKIP_1) | instid1(VALU_DEP_1)
	v_pk_fma_f32 v[90:91], v[78:79], v[86:87], v[76:77] op_sel:[0,0,1] op_sel_hi:[1,1,0] neg_lo:[0,0,1] neg_hi:[0,0,1]
	v_pk_fma_f32 v[76:77], v[78:79], v[86:87], v[76:77] op_sel:[0,0,1] op_sel_hi:[1,0,0]
	v_mov_b32_e32 v91, v77
	ds_load_2addr_b64 v[76:79], v80 offset0:33 offset1:34
	v_pk_add_f32 v[44:45], v[44:45], v[92:93] neg_lo:[0,1] neg_hi:[0,1]
	v_pk_add_f32 v[54:55], v[54:55], v[90:91] neg_lo:[0,1] neg_hi:[0,1]
	s_wait_dscnt 0x0
	v_dual_mul_f32 v90, v77, v89 :: v_dual_mul_f32 v92, v77, v86
	s_delay_alu instid0(VALU_DEP_1) | instskip(NEXT) | instid1(VALU_DEP_2)
	v_pk_fma_f32 v[90:91], v[76:77], v[68:69], v[90:91] op_sel_hi:[1,1,0] neg_lo:[0,0,1] neg_hi:[0,0,1]
	v_pk_fma_f32 v[76:77], v[76:77], v[68:69], v[92:93] op_sel:[1,0,0] op_sel_hi:[0,1,0]
	s_delay_alu instid0(VALU_DEP_1) | instskip(SKIP_1) | instid1(VALU_DEP_1)
	v_mov_b32_e32 v91, v77
	v_pk_mul_f32 v[76:77], v[78:79], v[88:89] op_sel:[0,1]
	v_pk_fma_f32 v[88:89], v[78:79], v[86:87], v[76:77] op_sel:[0,0,1] op_sel_hi:[1,1,0] neg_lo:[0,0,1] neg_hi:[0,0,1]
	v_pk_fma_f32 v[76:77], v[78:79], v[86:87], v[76:77] op_sel:[0,0,1] op_sel_hi:[1,0,0]
	s_delay_alu instid0(VALU_DEP_1) | instskip(SKIP_1) | instid1(VALU_DEP_2)
	v_mov_b32_e32 v89, v77
	v_pk_add_f32 v[52:53], v[52:53], v[90:91] neg_lo:[0,1] neg_hi:[0,1]
	v_pk_add_f32 v[74:75], v[74:75], v[88:89] neg_lo:[0,1] neg_hi:[0,1]
.LBB68_524:
	s_or_b32 exec_lo, exec_lo, s0
	v_lshl_add_u32 v76, v84, 3, v80
	s_barrier_signal -1
	s_barrier_wait -1
	ds_store_b64 v76, v[66:67]
	s_wait_dscnt 0x0
	s_barrier_signal -1
	s_barrier_wait -1
	ds_load_b64 v[76:77], v80 offset:200
	v_mov_b32_e32 v78, 25
	s_cmp_lt_i32 s14, 27
	s_cbranch_scc1 .LBB68_527
; %bb.525:
	v_add3_u32 v79, v81, 0, 0xd0
	v_mov_b32_e32 v78, 25
	s_mov_b32 s0, 26
.LBB68_526:                             ; =>This Inner Loop Header: Depth=1
	ds_load_b64 v[86:87], v79
	s_wait_dscnt 0x1
	v_cmp_gt_f32_e32 vcc_lo, 0, v76
	v_cndmask_b32_e64 v88, v76, -v76, vcc_lo
	v_cmp_gt_f32_e32 vcc_lo, 0, v77
	v_cndmask_b32_e64 v90, v77, -v77, vcc_lo
	s_wait_dscnt 0x0
	v_cmp_gt_f32_e32 vcc_lo, 0, v86
	v_cndmask_b32_e64 v89, v86, -v86, vcc_lo
	v_cmp_gt_f32_e32 vcc_lo, 0, v87
	v_cndmask_b32_e64 v91, v87, -v87, vcc_lo
	s_delay_alu instid0(VALU_DEP_1) | instskip(NEXT) | instid1(VALU_DEP_1)
	v_pk_add_f32 v[88:89], v[88:89], v[90:91]
	v_cmp_lt_f32_e32 vcc_lo, v88, v89
	v_dual_cndmask_b32 v76, v76, v86 :: v_dual_add_nc_u32 v79, 8, v79
	v_cndmask_b32_e32 v77, v77, v87, vcc_lo
	v_cndmask_b32_e64 v78, v78, s0, vcc_lo
	s_add_co_i32 s0, s0, 1
	s_delay_alu instid0(SALU_CYCLE_1)
	s_cmp_lg_u32 s14, s0
	s_cbranch_scc1 .LBB68_526
.LBB68_527:
	s_wait_dscnt 0x0
	v_cmp_eq_f32_e32 vcc_lo, 0, v76
	v_cmp_eq_f32_e64 s0, 0, v77
	s_and_b32 s0, vcc_lo, s0
	s_delay_alu instid0(SALU_CYCLE_1) | instskip(NEXT) | instid1(SALU_CYCLE_1)
	s_and_saveexec_b32 s1, s0
	s_xor_b32 s0, exec_lo, s1
; %bb.528:
	v_cmp_ne_u32_e32 vcc_lo, 0, v82
	v_cndmask_b32_e32 v82, 26, v82, vcc_lo
; %bb.529:
	s_and_not1_saveexec_b32 s0, s0
	s_cbranch_execz .LBB68_535
; %bb.530:
	v_cmp_ngt_f32_e64 s1, |v76|, |v77|
	s_and_saveexec_b32 s15, s1
	s_delay_alu instid0(SALU_CYCLE_1)
	s_xor_b32 s1, exec_lo, s15
	s_cbranch_execz .LBB68_532
; %bb.531:
	v_div_scale_f32 v79, null, v77, v77, v76
	v_div_scale_f32 v87, vcc_lo, v76, v77, v76
	s_delay_alu instid0(VALU_DEP_2) | instskip(SKIP_1) | instid1(TRANS32_DEP_1)
	v_rcp_f32_e32 v85, v79
	v_nop
	v_fma_f32 v86, -v79, v85, 1.0
	s_delay_alu instid0(VALU_DEP_1) | instskip(NEXT) | instid1(VALU_DEP_1)
	v_fmac_f32_e32 v85, v86, v85
	v_mul_f32_e32 v86, v87, v85
	s_delay_alu instid0(VALU_DEP_1) | instskip(NEXT) | instid1(VALU_DEP_1)
	v_fma_f32 v88, -v79, v86, v87
	v_fmac_f32_e32 v86, v88, v85
	s_delay_alu instid0(VALU_DEP_1) | instskip(NEXT) | instid1(VALU_DEP_1)
	v_fma_f32 v79, -v79, v86, v87
	v_div_fmas_f32 v79, v79, v85, v86
	s_delay_alu instid0(VALU_DEP_1) | instskip(NEXT) | instid1(VALU_DEP_1)
	v_div_fixup_f32 v79, v79, v77, v76
	v_fmac_f32_e32 v77, v76, v79
	s_delay_alu instid0(VALU_DEP_1) | instskip(SKIP_1) | instid1(VALU_DEP_2)
	v_div_scale_f32 v76, null, v77, v77, 1.0
	v_div_scale_f32 v87, vcc_lo, 1.0, v77, 1.0
	v_rcp_f32_e32 v85, v76
	v_nop
	s_delay_alu instid0(TRANS32_DEP_1) | instskip(NEXT) | instid1(VALU_DEP_1)
	v_fma_f32 v86, -v76, v85, 1.0
	v_fmac_f32_e32 v85, v86, v85
	s_delay_alu instid0(VALU_DEP_1) | instskip(NEXT) | instid1(VALU_DEP_1)
	v_mul_f32_e32 v86, v87, v85
	v_fma_f32 v88, -v76, v86, v87
	s_delay_alu instid0(VALU_DEP_1) | instskip(NEXT) | instid1(VALU_DEP_1)
	v_fmac_f32_e32 v86, v88, v85
	v_fma_f32 v76, -v76, v86, v87
	s_delay_alu instid0(VALU_DEP_1) | instskip(NEXT) | instid1(VALU_DEP_1)
	v_div_fmas_f32 v76, v76, v85, v86
	v_div_fixup_f32 v77, v76, v77, 1.0
	s_delay_alu instid0(VALU_DEP_1)
	v_mul_f32_e32 v76, v79, v77
	v_xor_b32_e32 v77, 0x80000000, v77
.LBB68_532:
	s_and_not1_saveexec_b32 s1, s1
	s_cbranch_execz .LBB68_534
; %bb.533:
	s_delay_alu instid0(VALU_DEP_1) | instskip(SKIP_1) | instid1(VALU_DEP_2)
	v_div_scale_f32 v79, null, v76, v76, v77
	v_div_scale_f32 v87, vcc_lo, v77, v76, v77
	v_rcp_f32_e32 v85, v79
	v_nop
	s_delay_alu instid0(TRANS32_DEP_1) | instskip(NEXT) | instid1(VALU_DEP_1)
	v_fma_f32 v86, -v79, v85, 1.0
	v_fmac_f32_e32 v85, v86, v85
	s_delay_alu instid0(VALU_DEP_1) | instskip(NEXT) | instid1(VALU_DEP_1)
	v_mul_f32_e32 v86, v87, v85
	v_fma_f32 v88, -v79, v86, v87
	s_delay_alu instid0(VALU_DEP_1) | instskip(NEXT) | instid1(VALU_DEP_1)
	v_fmac_f32_e32 v86, v88, v85
	v_fma_f32 v79, -v79, v86, v87
	s_delay_alu instid0(VALU_DEP_1) | instskip(NEXT) | instid1(VALU_DEP_1)
	v_div_fmas_f32 v79, v79, v85, v86
	v_div_fixup_f32 v79, v79, v76, v77
	s_delay_alu instid0(VALU_DEP_1) | instskip(NEXT) | instid1(VALU_DEP_1)
	v_fmac_f32_e32 v76, v77, v79
	v_div_scale_f32 v77, null, v76, v76, 1.0
	s_delay_alu instid0(VALU_DEP_1) | instskip(SKIP_1) | instid1(TRANS32_DEP_1)
	v_rcp_f32_e32 v85, v77
	v_nop
	v_fma_f32 v86, -v77, v85, 1.0
	s_delay_alu instid0(VALU_DEP_1) | instskip(SKIP_1) | instid1(VALU_DEP_1)
	v_fmac_f32_e32 v85, v86, v85
	v_div_scale_f32 v86, vcc_lo, 1.0, v76, 1.0
	v_mul_f32_e32 v87, v86, v85
	s_delay_alu instid0(VALU_DEP_1) | instskip(NEXT) | instid1(VALU_DEP_1)
	v_fma_f32 v88, -v77, v87, v86
	v_fmac_f32_e32 v87, v88, v85
	s_delay_alu instid0(VALU_DEP_1) | instskip(NEXT) | instid1(VALU_DEP_1)
	v_fma_f32 v77, -v77, v87, v86
	v_div_fmas_f32 v77, v77, v85, v87
	s_delay_alu instid0(VALU_DEP_1) | instskip(NEXT) | instid1(VALU_DEP_1)
	v_div_fixup_f32 v76, v77, v76, 1.0
	v_mul_f32_e64 v77, v79, -v76
.LBB68_534:
	s_or_b32 exec_lo, exec_lo, s1
.LBB68_535:
	s_delay_alu instid0(SALU_CYCLE_1) | instskip(NEXT) | instid1(SALU_CYCLE_1)
	s_or_b32 exec_lo, exec_lo, s0
	s_mov_b32 s0, exec_lo
	v_cmpx_ne_u32_e64 v84, v78
	s_xor_b32 s0, exec_lo, s0
	s_cbranch_execz .LBB68_541
; %bb.536:
	s_mov_b32 s1, exec_lo
	v_cmpx_eq_u32_e32 25, v84
	s_cbranch_execz .LBB68_540
; %bb.537:
	v_cmp_ne_u32_e32 vcc_lo, 25, v78
	s_xor_b32 s15, s12, -1
	s_delay_alu instid0(SALU_CYCLE_1) | instskip(NEXT) | instid1(SALU_CYCLE_1)
	s_and_b32 s16, s15, vcc_lo
	s_and_saveexec_b32 s15, s16
	s_cbranch_execz .LBB68_539
; %bb.538:
	v_ashrrev_i32_e32 v79, 31, v78
	s_delay_alu instid0(VALU_DEP_1)
	v_lshl_add_u64 v[84:85], v[78:79], 2, v[4:5]
	s_clause 0x1
	global_load_b32 v79, v[84:85], off
	global_load_b32 v83, v[4:5], off offset:100
	s_wait_loadcnt 0x1
	global_store_b32 v[4:5], v79, off offset:100
	s_wait_loadcnt 0x0
	global_store_b32 v[84:85], v83, off
.LBB68_539:
	s_wait_xcnt 0x0
	s_or_b32 exec_lo, exec_lo, s15
	v_dual_mov_b32 v84, v78 :: v_dual_mov_b32 v83, v78
.LBB68_540:
	s_or_b32 exec_lo, exec_lo, s1
.LBB68_541:
	s_and_not1_saveexec_b32 s0, s0
	s_cbranch_execz .LBB68_543
; %bb.542:
	v_dual_mov_b32 v78, v42 :: v_dual_mov_b32 v79, v43
	v_dual_mov_b32 v84, v40 :: v_dual_mov_b32 v85, v41
	ds_store_2addr_b64 v80, v[78:79], v[84:85] offset0:26 offset1:27
	v_dual_mov_b32 v78, v64 :: v_dual_mov_b32 v79, v65
	v_dual_mov_b32 v84, v62 :: v_dual_mov_b32 v85, v63
	ds_store_2addr_b64 v80, v[78:79], v[84:85] offset0:28 offset1:29
	;; [unrolled: 3-line block ×4, first 2 shown]
	ds_store_b64 v80, v[74:75] offset:272
	v_mov_b32_e32 v84, 25
.LBB68_543:
	s_or_b32 exec_lo, exec_lo, s0
	s_delay_alu instid0(SALU_CYCLE_1)
	s_mov_b32 s0, exec_lo
	s_wait_storecnt_dscnt 0x0
	s_barrier_signal -1
	s_barrier_wait -1
	v_cmpx_lt_i32_e32 25, v84
	s_cbranch_execz .LBB68_545
; %bb.544:
	v_pk_mul_f32 v[78:79], v[76:77], v[66:67] op_sel:[1,1] op_sel_hi:[0,1]
	s_delay_alu instid0(VALU_DEP_1)
	v_pk_fma_f32 v[86:87], v[76:77], v[66:67], v[78:79] op_sel_hi:[1,0,1] neg_lo:[0,0,1] neg_hi:[0,0,1]
	v_pk_fma_f32 v[88:89], v[76:77], v[66:67], v[78:79] op_sel_hi:[1,0,1]
	ds_load_2addr_b64 v[76:79], v80 offset0:26 offset1:27
	v_dual_mov_b32 v66, v86 :: v_dual_mov_b32 v67, v89
	s_wait_dscnt 0x0
	v_pk_mul_f32 v[90:91], v[76:77], v[88:89] op_sel:[0,1]
	s_delay_alu instid0(VALU_DEP_1) | instskip(SKIP_1) | instid1(VALU_DEP_1)
	v_pk_fma_f32 v[92:93], v[76:77], v[86:87], v[90:91] op_sel:[0,0,1] op_sel_hi:[1,1,0] neg_lo:[0,0,1] neg_hi:[0,0,1]
	v_pk_fma_f32 v[76:77], v[76:77], v[86:87], v[90:91] op_sel:[0,0,1] op_sel_hi:[1,0,0]
	v_mov_b32_e32 v93, v77
	v_pk_mul_f32 v[76:77], v[78:79], v[88:89] op_sel:[0,1]
	s_delay_alu instid0(VALU_DEP_1) | instskip(SKIP_1) | instid1(VALU_DEP_1)
	v_pk_fma_f32 v[90:91], v[78:79], v[86:87], v[76:77] op_sel:[0,0,1] op_sel_hi:[1,1,0] neg_lo:[0,0,1] neg_hi:[0,0,1]
	v_pk_fma_f32 v[76:77], v[78:79], v[86:87], v[76:77] op_sel:[0,0,1] op_sel_hi:[1,0,0]
	v_mov_b32_e32 v91, v77
	ds_load_2addr_b64 v[76:79], v80 offset0:28 offset1:29
	v_pk_add_f32 v[42:43], v[42:43], v[92:93] neg_lo:[0,1] neg_hi:[0,1]
	v_pk_add_f32 v[40:41], v[40:41], v[90:91] neg_lo:[0,1] neg_hi:[0,1]
	s_wait_dscnt 0x0
	v_pk_mul_f32 v[90:91], v[76:77], v[88:89] op_sel:[0,1]
	s_delay_alu instid0(VALU_DEP_1) | instskip(SKIP_2) | instid1(VALU_DEP_2)
	v_pk_fma_f32 v[92:93], v[76:77], v[86:87], v[90:91] op_sel:[0,0,1] op_sel_hi:[1,1,0] neg_lo:[0,0,1] neg_hi:[0,0,1]
	v_pk_fma_f32 v[76:77], v[76:77], v[86:87], v[90:91] op_sel:[0,0,1] op_sel_hi:[1,0,0]
	v_dual_mul_f32 v90, v79, v89 :: v_dual_mov_b32 v76, v79
	v_dual_mov_b32 v93, v77 :: v_dual_mov_b32 v77, v78
	s_delay_alu instid0(VALU_DEP_2) | instskip(SKIP_1) | instid1(VALU_DEP_3)
	v_pk_fma_f32 v[90:91], v[78:79], v[66:67], v[90:91] op_sel_hi:[1,1,0] neg_lo:[0,0,1] neg_hi:[0,0,1]
	v_mul_f32_e32 v78, v79, v86
	v_pk_add_f32 v[64:65], v[64:65], v[92:93] neg_lo:[0,1] neg_hi:[0,1]
	s_delay_alu instid0(VALU_DEP_2) | instskip(NEXT) | instid1(VALU_DEP_1)
	v_pk_fma_f32 v[76:77], v[76:77], v[66:67], v[78:79] op_sel_hi:[1,1,0]
	v_mov_b32_e32 v91, v77
	ds_load_2addr_b64 v[76:79], v80 offset0:30 offset1:31
	v_pk_add_f32 v[62:63], v[62:63], v[90:91] neg_lo:[0,1] neg_hi:[0,1]
	s_wait_dscnt 0x0
	v_pk_mul_f32 v[90:91], v[76:77], v[88:89] op_sel:[0,1]
	s_delay_alu instid0(VALU_DEP_1) | instskip(SKIP_1) | instid1(VALU_DEP_1)
	v_pk_fma_f32 v[92:93], v[76:77], v[86:87], v[90:91] op_sel:[0,0,1] op_sel_hi:[1,1,0] neg_lo:[0,0,1] neg_hi:[0,0,1]
	v_pk_fma_f32 v[76:77], v[76:77], v[86:87], v[90:91] op_sel:[0,0,1] op_sel_hi:[1,0,0]
	v_mov_b32_e32 v93, v77
	v_pk_mul_f32 v[76:77], v[78:79], v[88:89] op_sel:[0,1]
	s_delay_alu instid0(VALU_DEP_1) | instskip(SKIP_1) | instid1(VALU_DEP_1)
	v_pk_fma_f32 v[90:91], v[78:79], v[86:87], v[76:77] op_sel:[0,0,1] op_sel_hi:[1,1,0] neg_lo:[0,0,1] neg_hi:[0,0,1]
	v_pk_fma_f32 v[76:77], v[78:79], v[86:87], v[76:77] op_sel:[0,0,1] op_sel_hi:[1,0,0]
	v_mov_b32_e32 v91, v77
	ds_load_2addr_b64 v[76:79], v80 offset0:32 offset1:33
	v_pk_add_f32 v[46:47], v[46:47], v[92:93] neg_lo:[0,1] neg_hi:[0,1]
	v_pk_add_f32 v[44:45], v[44:45], v[90:91] neg_lo:[0,1] neg_hi:[0,1]
	s_wait_dscnt 0x0
	v_pk_mul_f32 v[90:91], v[76:77], v[88:89] op_sel:[0,1]
	s_delay_alu instid0(VALU_DEP_1) | instskip(SKIP_1) | instid1(VALU_DEP_1)
	v_pk_fma_f32 v[92:93], v[76:77], v[86:87], v[90:91] op_sel:[0,0,1] op_sel_hi:[1,1,0] neg_lo:[0,0,1] neg_hi:[0,0,1]
	v_pk_fma_f32 v[76:77], v[76:77], v[86:87], v[90:91] op_sel:[0,0,1] op_sel_hi:[1,0,0]
	v_mov_b32_e32 v93, v77
	v_pk_mul_f32 v[76:77], v[78:79], v[88:89] op_sel:[0,1]
	s_delay_alu instid0(VALU_DEP_1) | instskip(SKIP_1) | instid1(VALU_DEP_1)
	v_pk_fma_f32 v[90:91], v[78:79], v[86:87], v[76:77] op_sel:[0,0,1] op_sel_hi:[1,1,0] neg_lo:[0,0,1] neg_hi:[0,0,1]
	v_pk_fma_f32 v[76:77], v[78:79], v[86:87], v[76:77] op_sel:[0,0,1] op_sel_hi:[1,0,0]
	v_mov_b32_e32 v91, v77
	ds_load_b64 v[76:77], v80 offset:272
	v_pk_add_f32 v[54:55], v[54:55], v[92:93] neg_lo:[0,1] neg_hi:[0,1]
	v_pk_add_f32 v[52:53], v[52:53], v[90:91] neg_lo:[0,1] neg_hi:[0,1]
	s_wait_dscnt 0x0
	v_pk_mul_f32 v[78:79], v[76:77], v[88:89] op_sel:[0,1]
	s_delay_alu instid0(VALU_DEP_1) | instskip(SKIP_1) | instid1(VALU_DEP_1)
	v_pk_fma_f32 v[88:89], v[76:77], v[86:87], v[78:79] op_sel:[0,0,1] op_sel_hi:[1,1,0] neg_lo:[0,0,1] neg_hi:[0,0,1]
	v_pk_fma_f32 v[76:77], v[76:77], v[86:87], v[78:79] op_sel:[0,0,1] op_sel_hi:[1,0,0]
	v_mov_b32_e32 v89, v77
	s_delay_alu instid0(VALU_DEP_1)
	v_pk_add_f32 v[74:75], v[74:75], v[88:89] neg_lo:[0,1] neg_hi:[0,1]
.LBB68_545:
	s_or_b32 exec_lo, exec_lo, s0
	v_lshl_add_u32 v76, v84, 3, v80
	s_barrier_signal -1
	s_barrier_wait -1
	ds_store_b64 v76, v[42:43]
	s_wait_dscnt 0x0
	s_barrier_signal -1
	s_barrier_wait -1
	ds_load_b64 v[76:77], v80 offset:208
	v_mov_b32_e32 v78, 26
	s_cmp_lt_i32 s14, 28
	s_cbranch_scc1 .LBB68_548
; %bb.546:
	v_add3_u32 v79, v81, 0, 0xd8
	v_mov_b32_e32 v78, 26
	s_mov_b32 s0, 27
.LBB68_547:                             ; =>This Inner Loop Header: Depth=1
	ds_load_b64 v[86:87], v79
	s_wait_dscnt 0x1
	v_cmp_gt_f32_e32 vcc_lo, 0, v76
	v_cndmask_b32_e64 v88, v76, -v76, vcc_lo
	v_cmp_gt_f32_e32 vcc_lo, 0, v77
	v_cndmask_b32_e64 v90, v77, -v77, vcc_lo
	s_wait_dscnt 0x0
	v_cmp_gt_f32_e32 vcc_lo, 0, v86
	v_cndmask_b32_e64 v89, v86, -v86, vcc_lo
	v_cmp_gt_f32_e32 vcc_lo, 0, v87
	v_cndmask_b32_e64 v91, v87, -v87, vcc_lo
	s_delay_alu instid0(VALU_DEP_1) | instskip(NEXT) | instid1(VALU_DEP_1)
	v_pk_add_f32 v[88:89], v[88:89], v[90:91]
	v_cmp_lt_f32_e32 vcc_lo, v88, v89
	v_dual_cndmask_b32 v76, v76, v86 :: v_dual_add_nc_u32 v79, 8, v79
	v_cndmask_b32_e32 v77, v77, v87, vcc_lo
	v_cndmask_b32_e64 v78, v78, s0, vcc_lo
	s_add_co_i32 s0, s0, 1
	s_delay_alu instid0(SALU_CYCLE_1)
	s_cmp_lg_u32 s14, s0
	s_cbranch_scc1 .LBB68_547
.LBB68_548:
	s_wait_dscnt 0x0
	v_cmp_eq_f32_e32 vcc_lo, 0, v76
	v_cmp_eq_f32_e64 s0, 0, v77
	s_and_b32 s0, vcc_lo, s0
	s_delay_alu instid0(SALU_CYCLE_1) | instskip(NEXT) | instid1(SALU_CYCLE_1)
	s_and_saveexec_b32 s1, s0
	s_xor_b32 s0, exec_lo, s1
; %bb.549:
	v_cmp_ne_u32_e32 vcc_lo, 0, v82
	v_cndmask_b32_e32 v82, 27, v82, vcc_lo
; %bb.550:
	s_and_not1_saveexec_b32 s0, s0
	s_cbranch_execz .LBB68_556
; %bb.551:
	v_cmp_ngt_f32_e64 s1, |v76|, |v77|
	s_and_saveexec_b32 s15, s1
	s_delay_alu instid0(SALU_CYCLE_1)
	s_xor_b32 s1, exec_lo, s15
	s_cbranch_execz .LBB68_553
; %bb.552:
	v_div_scale_f32 v79, null, v77, v77, v76
	v_div_scale_f32 v87, vcc_lo, v76, v77, v76
	s_delay_alu instid0(VALU_DEP_2) | instskip(SKIP_1) | instid1(TRANS32_DEP_1)
	v_rcp_f32_e32 v85, v79
	v_nop
	v_fma_f32 v86, -v79, v85, 1.0
	s_delay_alu instid0(VALU_DEP_1) | instskip(NEXT) | instid1(VALU_DEP_1)
	v_fmac_f32_e32 v85, v86, v85
	v_mul_f32_e32 v86, v87, v85
	s_delay_alu instid0(VALU_DEP_1) | instskip(NEXT) | instid1(VALU_DEP_1)
	v_fma_f32 v88, -v79, v86, v87
	v_fmac_f32_e32 v86, v88, v85
	s_delay_alu instid0(VALU_DEP_1) | instskip(NEXT) | instid1(VALU_DEP_1)
	v_fma_f32 v79, -v79, v86, v87
	v_div_fmas_f32 v79, v79, v85, v86
	s_delay_alu instid0(VALU_DEP_1) | instskip(NEXT) | instid1(VALU_DEP_1)
	v_div_fixup_f32 v79, v79, v77, v76
	v_fmac_f32_e32 v77, v76, v79
	s_delay_alu instid0(VALU_DEP_1) | instskip(SKIP_1) | instid1(VALU_DEP_2)
	v_div_scale_f32 v76, null, v77, v77, 1.0
	v_div_scale_f32 v87, vcc_lo, 1.0, v77, 1.0
	v_rcp_f32_e32 v85, v76
	v_nop
	s_delay_alu instid0(TRANS32_DEP_1) | instskip(NEXT) | instid1(VALU_DEP_1)
	v_fma_f32 v86, -v76, v85, 1.0
	v_fmac_f32_e32 v85, v86, v85
	s_delay_alu instid0(VALU_DEP_1) | instskip(NEXT) | instid1(VALU_DEP_1)
	v_mul_f32_e32 v86, v87, v85
	v_fma_f32 v88, -v76, v86, v87
	s_delay_alu instid0(VALU_DEP_1) | instskip(NEXT) | instid1(VALU_DEP_1)
	v_fmac_f32_e32 v86, v88, v85
	v_fma_f32 v76, -v76, v86, v87
	s_delay_alu instid0(VALU_DEP_1) | instskip(NEXT) | instid1(VALU_DEP_1)
	v_div_fmas_f32 v76, v76, v85, v86
	v_div_fixup_f32 v77, v76, v77, 1.0
	s_delay_alu instid0(VALU_DEP_1)
	v_mul_f32_e32 v76, v79, v77
	v_xor_b32_e32 v77, 0x80000000, v77
.LBB68_553:
	s_and_not1_saveexec_b32 s1, s1
	s_cbranch_execz .LBB68_555
; %bb.554:
	s_delay_alu instid0(VALU_DEP_1) | instskip(SKIP_1) | instid1(VALU_DEP_2)
	v_div_scale_f32 v79, null, v76, v76, v77
	v_div_scale_f32 v87, vcc_lo, v77, v76, v77
	v_rcp_f32_e32 v85, v79
	v_nop
	s_delay_alu instid0(TRANS32_DEP_1) | instskip(NEXT) | instid1(VALU_DEP_1)
	v_fma_f32 v86, -v79, v85, 1.0
	v_fmac_f32_e32 v85, v86, v85
	s_delay_alu instid0(VALU_DEP_1) | instskip(NEXT) | instid1(VALU_DEP_1)
	v_mul_f32_e32 v86, v87, v85
	v_fma_f32 v88, -v79, v86, v87
	s_delay_alu instid0(VALU_DEP_1) | instskip(NEXT) | instid1(VALU_DEP_1)
	v_fmac_f32_e32 v86, v88, v85
	v_fma_f32 v79, -v79, v86, v87
	s_delay_alu instid0(VALU_DEP_1) | instskip(NEXT) | instid1(VALU_DEP_1)
	v_div_fmas_f32 v79, v79, v85, v86
	v_div_fixup_f32 v79, v79, v76, v77
	s_delay_alu instid0(VALU_DEP_1) | instskip(NEXT) | instid1(VALU_DEP_1)
	v_fmac_f32_e32 v76, v77, v79
	v_div_scale_f32 v77, null, v76, v76, 1.0
	s_delay_alu instid0(VALU_DEP_1) | instskip(SKIP_1) | instid1(TRANS32_DEP_1)
	v_rcp_f32_e32 v85, v77
	v_nop
	v_fma_f32 v86, -v77, v85, 1.0
	s_delay_alu instid0(VALU_DEP_1) | instskip(SKIP_1) | instid1(VALU_DEP_1)
	v_fmac_f32_e32 v85, v86, v85
	v_div_scale_f32 v86, vcc_lo, 1.0, v76, 1.0
	v_mul_f32_e32 v87, v86, v85
	s_delay_alu instid0(VALU_DEP_1) | instskip(NEXT) | instid1(VALU_DEP_1)
	v_fma_f32 v88, -v77, v87, v86
	v_fmac_f32_e32 v87, v88, v85
	s_delay_alu instid0(VALU_DEP_1) | instskip(NEXT) | instid1(VALU_DEP_1)
	v_fma_f32 v77, -v77, v87, v86
	v_div_fmas_f32 v77, v77, v85, v87
	s_delay_alu instid0(VALU_DEP_1) | instskip(NEXT) | instid1(VALU_DEP_1)
	v_div_fixup_f32 v76, v77, v76, 1.0
	v_mul_f32_e64 v77, v79, -v76
.LBB68_555:
	s_or_b32 exec_lo, exec_lo, s1
.LBB68_556:
	s_delay_alu instid0(SALU_CYCLE_1) | instskip(NEXT) | instid1(SALU_CYCLE_1)
	s_or_b32 exec_lo, exec_lo, s0
	s_mov_b32 s0, exec_lo
	v_cmpx_ne_u32_e64 v84, v78
	s_xor_b32 s0, exec_lo, s0
	s_cbranch_execz .LBB68_562
; %bb.557:
	s_mov_b32 s1, exec_lo
	v_cmpx_eq_u32_e32 26, v84
	s_cbranch_execz .LBB68_561
; %bb.558:
	v_cmp_ne_u32_e32 vcc_lo, 26, v78
	s_xor_b32 s15, s12, -1
	s_delay_alu instid0(SALU_CYCLE_1) | instskip(NEXT) | instid1(SALU_CYCLE_1)
	s_and_b32 s16, s15, vcc_lo
	s_and_saveexec_b32 s15, s16
	s_cbranch_execz .LBB68_560
; %bb.559:
	v_ashrrev_i32_e32 v79, 31, v78
	s_delay_alu instid0(VALU_DEP_1)
	v_lshl_add_u64 v[84:85], v[78:79], 2, v[4:5]
	s_clause 0x1
	global_load_b32 v79, v[84:85], off
	global_load_b32 v83, v[4:5], off offset:104
	s_wait_loadcnt 0x1
	global_store_b32 v[4:5], v79, off offset:104
	s_wait_loadcnt 0x0
	global_store_b32 v[84:85], v83, off
.LBB68_560:
	s_wait_xcnt 0x0
	s_or_b32 exec_lo, exec_lo, s15
	v_dual_mov_b32 v84, v78 :: v_dual_mov_b32 v83, v78
.LBB68_561:
	s_or_b32 exec_lo, exec_lo, s1
.LBB68_562:
	s_and_not1_saveexec_b32 s0, s0
	s_cbranch_execz .LBB68_564
; %bb.563:
	v_mov_b32_e32 v84, 26
	ds_store_2addr_b64 v80, v[40:41], v[64:65] offset0:27 offset1:28
	ds_store_2addr_b64 v80, v[62:63], v[46:47] offset0:29 offset1:30
	;; [unrolled: 1-line block ×4, first 2 shown]
.LBB68_564:
	s_or_b32 exec_lo, exec_lo, s0
	s_delay_alu instid0(SALU_CYCLE_1)
	s_mov_b32 s0, exec_lo
	s_wait_storecnt_dscnt 0x0
	s_barrier_signal -1
	s_barrier_wait -1
	v_cmpx_lt_i32_e32 26, v84
	s_cbranch_execz .LBB68_566
; %bb.565:
	v_pk_mul_f32 v[78:79], v[76:77], v[42:43] op_sel:[1,1] op_sel_hi:[0,1]
	s_delay_alu instid0(VALU_DEP_1)
	v_pk_fma_f32 v[86:87], v[76:77], v[42:43], v[78:79] op_sel_hi:[1,0,1] neg_lo:[0,0,1] neg_hi:[0,0,1]
	v_pk_fma_f32 v[88:89], v[76:77], v[42:43], v[78:79] op_sel_hi:[1,0,1]
	ds_load_2addr_b64 v[76:79], v80 offset0:27 offset1:28
	v_dual_mov_b32 v42, v86 :: v_dual_mov_b32 v43, v89
	s_wait_dscnt 0x0
	v_pk_mul_f32 v[90:91], v[76:77], v[88:89] op_sel:[0,1]
	s_delay_alu instid0(VALU_DEP_1) | instskip(SKIP_1) | instid1(VALU_DEP_1)
	v_pk_fma_f32 v[92:93], v[76:77], v[86:87], v[90:91] op_sel:[0,0,1] op_sel_hi:[1,1,0] neg_lo:[0,0,1] neg_hi:[0,0,1]
	v_pk_fma_f32 v[76:77], v[76:77], v[86:87], v[90:91] op_sel:[0,0,1] op_sel_hi:[1,0,0]
	v_mov_b32_e32 v93, v77
	v_pk_mul_f32 v[76:77], v[78:79], v[88:89] op_sel:[0,1]
	s_delay_alu instid0(VALU_DEP_1) | instskip(SKIP_1) | instid1(VALU_DEP_1)
	v_pk_fma_f32 v[90:91], v[78:79], v[86:87], v[76:77] op_sel:[0,0,1] op_sel_hi:[1,1,0] neg_lo:[0,0,1] neg_hi:[0,0,1]
	v_pk_fma_f32 v[76:77], v[78:79], v[86:87], v[76:77] op_sel:[0,0,1] op_sel_hi:[1,0,0]
	v_mov_b32_e32 v91, v77
	ds_load_2addr_b64 v[76:79], v80 offset0:29 offset1:30
	v_pk_add_f32 v[40:41], v[40:41], v[92:93] neg_lo:[0,1] neg_hi:[0,1]
	v_pk_add_f32 v[64:65], v[64:65], v[90:91] neg_lo:[0,1] neg_hi:[0,1]
	s_wait_dscnt 0x0
	v_pk_mul_f32 v[90:91], v[76:77], v[88:89] op_sel:[0,1]
	s_delay_alu instid0(VALU_DEP_1) | instskip(SKIP_2) | instid1(VALU_DEP_2)
	v_pk_fma_f32 v[92:93], v[76:77], v[86:87], v[90:91] op_sel:[0,0,1] op_sel_hi:[1,1,0] neg_lo:[0,0,1] neg_hi:[0,0,1]
	v_pk_fma_f32 v[76:77], v[76:77], v[86:87], v[90:91] op_sel:[0,0,1] op_sel_hi:[1,0,0]
	v_dual_mul_f32 v90, v79, v89 :: v_dual_mov_b32 v76, v79
	v_dual_mov_b32 v93, v77 :: v_dual_mov_b32 v77, v78
	s_delay_alu instid0(VALU_DEP_2) | instskip(SKIP_1) | instid1(VALU_DEP_3)
	v_pk_fma_f32 v[90:91], v[78:79], v[42:43], v[90:91] op_sel_hi:[1,1,0] neg_lo:[0,0,1] neg_hi:[0,0,1]
	v_mul_f32_e32 v78, v79, v86
	v_pk_add_f32 v[62:63], v[62:63], v[92:93] neg_lo:[0,1] neg_hi:[0,1]
	s_delay_alu instid0(VALU_DEP_2) | instskip(NEXT) | instid1(VALU_DEP_1)
	v_pk_fma_f32 v[76:77], v[76:77], v[42:43], v[78:79] op_sel_hi:[1,1,0]
	v_mov_b32_e32 v91, v77
	ds_load_2addr_b64 v[76:79], v80 offset0:31 offset1:32
	v_pk_add_f32 v[46:47], v[46:47], v[90:91] neg_lo:[0,1] neg_hi:[0,1]
	s_wait_dscnt 0x0
	v_pk_mul_f32 v[90:91], v[76:77], v[88:89] op_sel:[0,1]
	s_delay_alu instid0(VALU_DEP_1) | instskip(SKIP_1) | instid1(VALU_DEP_1)
	v_pk_fma_f32 v[92:93], v[76:77], v[86:87], v[90:91] op_sel:[0,0,1] op_sel_hi:[1,1,0] neg_lo:[0,0,1] neg_hi:[0,0,1]
	v_pk_fma_f32 v[76:77], v[76:77], v[86:87], v[90:91] op_sel:[0,0,1] op_sel_hi:[1,0,0]
	v_mov_b32_e32 v93, v77
	v_pk_mul_f32 v[76:77], v[78:79], v[88:89] op_sel:[0,1]
	s_delay_alu instid0(VALU_DEP_1) | instskip(SKIP_1) | instid1(VALU_DEP_1)
	v_pk_fma_f32 v[90:91], v[78:79], v[86:87], v[76:77] op_sel:[0,0,1] op_sel_hi:[1,1,0] neg_lo:[0,0,1] neg_hi:[0,0,1]
	v_pk_fma_f32 v[76:77], v[78:79], v[86:87], v[76:77] op_sel:[0,0,1] op_sel_hi:[1,0,0]
	v_mov_b32_e32 v91, v77
	ds_load_2addr_b64 v[76:79], v80 offset0:33 offset1:34
	v_pk_add_f32 v[44:45], v[44:45], v[92:93] neg_lo:[0,1] neg_hi:[0,1]
	v_pk_add_f32 v[54:55], v[54:55], v[90:91] neg_lo:[0,1] neg_hi:[0,1]
	s_wait_dscnt 0x0
	v_pk_mul_f32 v[90:91], v[76:77], v[88:89] op_sel:[0,1]
	s_delay_alu instid0(VALU_DEP_1) | instskip(SKIP_1) | instid1(VALU_DEP_1)
	v_pk_fma_f32 v[92:93], v[76:77], v[86:87], v[90:91] op_sel:[0,0,1] op_sel_hi:[1,1,0] neg_lo:[0,0,1] neg_hi:[0,0,1]
	v_pk_fma_f32 v[76:77], v[76:77], v[86:87], v[90:91] op_sel:[0,0,1] op_sel_hi:[1,0,0]
	v_mov_b32_e32 v93, v77
	v_pk_mul_f32 v[76:77], v[78:79], v[88:89] op_sel:[0,1]
	s_delay_alu instid0(VALU_DEP_1) | instskip(SKIP_1) | instid1(VALU_DEP_1)
	v_pk_fma_f32 v[88:89], v[78:79], v[86:87], v[76:77] op_sel:[0,0,1] op_sel_hi:[1,1,0] neg_lo:[0,0,1] neg_hi:[0,0,1]
	v_pk_fma_f32 v[76:77], v[78:79], v[86:87], v[76:77] op_sel:[0,0,1] op_sel_hi:[1,0,0]
	v_mov_b32_e32 v89, v77
	v_pk_add_f32 v[52:53], v[52:53], v[92:93] neg_lo:[0,1] neg_hi:[0,1]
	s_delay_alu instid0(VALU_DEP_2)
	v_pk_add_f32 v[74:75], v[74:75], v[88:89] neg_lo:[0,1] neg_hi:[0,1]
.LBB68_566:
	s_or_b32 exec_lo, exec_lo, s0
	v_lshl_add_u32 v76, v84, 3, v80
	s_barrier_signal -1
	s_barrier_wait -1
	ds_store_b64 v76, v[40:41]
	s_wait_dscnt 0x0
	s_barrier_signal -1
	s_barrier_wait -1
	ds_load_b64 v[76:77], v80 offset:216
	v_mov_b32_e32 v78, 27
	s_cmp_lt_i32 s14, 29
	s_cbranch_scc1 .LBB68_569
; %bb.567:
	v_add3_u32 v79, v81, 0, 0xe0
	v_mov_b32_e32 v78, 27
	s_mov_b32 s0, 28
.LBB68_568:                             ; =>This Inner Loop Header: Depth=1
	ds_load_b64 v[86:87], v79
	s_wait_dscnt 0x1
	v_cmp_gt_f32_e32 vcc_lo, 0, v76
	v_cndmask_b32_e64 v88, v76, -v76, vcc_lo
	v_cmp_gt_f32_e32 vcc_lo, 0, v77
	v_cndmask_b32_e64 v90, v77, -v77, vcc_lo
	s_wait_dscnt 0x0
	v_cmp_gt_f32_e32 vcc_lo, 0, v86
	v_cndmask_b32_e64 v89, v86, -v86, vcc_lo
	v_cmp_gt_f32_e32 vcc_lo, 0, v87
	v_cndmask_b32_e64 v91, v87, -v87, vcc_lo
	s_delay_alu instid0(VALU_DEP_1) | instskip(NEXT) | instid1(VALU_DEP_1)
	v_pk_add_f32 v[88:89], v[88:89], v[90:91]
	v_cmp_lt_f32_e32 vcc_lo, v88, v89
	v_dual_cndmask_b32 v76, v76, v86 :: v_dual_add_nc_u32 v79, 8, v79
	v_cndmask_b32_e32 v77, v77, v87, vcc_lo
	v_cndmask_b32_e64 v78, v78, s0, vcc_lo
	s_add_co_i32 s0, s0, 1
	s_delay_alu instid0(SALU_CYCLE_1)
	s_cmp_lg_u32 s14, s0
	s_cbranch_scc1 .LBB68_568
.LBB68_569:
	s_wait_dscnt 0x0
	v_cmp_eq_f32_e32 vcc_lo, 0, v76
	v_cmp_eq_f32_e64 s0, 0, v77
	s_and_b32 s0, vcc_lo, s0
	s_delay_alu instid0(SALU_CYCLE_1) | instskip(NEXT) | instid1(SALU_CYCLE_1)
	s_and_saveexec_b32 s1, s0
	s_xor_b32 s0, exec_lo, s1
; %bb.570:
	v_cmp_ne_u32_e32 vcc_lo, 0, v82
	v_cndmask_b32_e32 v82, 28, v82, vcc_lo
; %bb.571:
	s_and_not1_saveexec_b32 s0, s0
	s_cbranch_execz .LBB68_577
; %bb.572:
	v_cmp_ngt_f32_e64 s1, |v76|, |v77|
	s_and_saveexec_b32 s15, s1
	s_delay_alu instid0(SALU_CYCLE_1)
	s_xor_b32 s1, exec_lo, s15
	s_cbranch_execz .LBB68_574
; %bb.573:
	v_div_scale_f32 v79, null, v77, v77, v76
	v_div_scale_f32 v87, vcc_lo, v76, v77, v76
	s_delay_alu instid0(VALU_DEP_2) | instskip(SKIP_1) | instid1(TRANS32_DEP_1)
	v_rcp_f32_e32 v85, v79
	v_nop
	v_fma_f32 v86, -v79, v85, 1.0
	s_delay_alu instid0(VALU_DEP_1) | instskip(NEXT) | instid1(VALU_DEP_1)
	v_fmac_f32_e32 v85, v86, v85
	v_mul_f32_e32 v86, v87, v85
	s_delay_alu instid0(VALU_DEP_1) | instskip(NEXT) | instid1(VALU_DEP_1)
	v_fma_f32 v88, -v79, v86, v87
	v_fmac_f32_e32 v86, v88, v85
	s_delay_alu instid0(VALU_DEP_1) | instskip(NEXT) | instid1(VALU_DEP_1)
	v_fma_f32 v79, -v79, v86, v87
	v_div_fmas_f32 v79, v79, v85, v86
	s_delay_alu instid0(VALU_DEP_1) | instskip(NEXT) | instid1(VALU_DEP_1)
	v_div_fixup_f32 v79, v79, v77, v76
	v_fmac_f32_e32 v77, v76, v79
	s_delay_alu instid0(VALU_DEP_1) | instskip(SKIP_1) | instid1(VALU_DEP_2)
	v_div_scale_f32 v76, null, v77, v77, 1.0
	v_div_scale_f32 v87, vcc_lo, 1.0, v77, 1.0
	v_rcp_f32_e32 v85, v76
	v_nop
	s_delay_alu instid0(TRANS32_DEP_1) | instskip(NEXT) | instid1(VALU_DEP_1)
	v_fma_f32 v86, -v76, v85, 1.0
	v_fmac_f32_e32 v85, v86, v85
	s_delay_alu instid0(VALU_DEP_1) | instskip(NEXT) | instid1(VALU_DEP_1)
	v_mul_f32_e32 v86, v87, v85
	v_fma_f32 v88, -v76, v86, v87
	s_delay_alu instid0(VALU_DEP_1) | instskip(NEXT) | instid1(VALU_DEP_1)
	v_fmac_f32_e32 v86, v88, v85
	v_fma_f32 v76, -v76, v86, v87
	s_delay_alu instid0(VALU_DEP_1) | instskip(NEXT) | instid1(VALU_DEP_1)
	v_div_fmas_f32 v76, v76, v85, v86
	v_div_fixup_f32 v77, v76, v77, 1.0
	s_delay_alu instid0(VALU_DEP_1)
	v_mul_f32_e32 v76, v79, v77
	v_xor_b32_e32 v77, 0x80000000, v77
.LBB68_574:
	s_and_not1_saveexec_b32 s1, s1
	s_cbranch_execz .LBB68_576
; %bb.575:
	s_delay_alu instid0(VALU_DEP_1) | instskip(SKIP_1) | instid1(VALU_DEP_2)
	v_div_scale_f32 v79, null, v76, v76, v77
	v_div_scale_f32 v87, vcc_lo, v77, v76, v77
	v_rcp_f32_e32 v85, v79
	v_nop
	s_delay_alu instid0(TRANS32_DEP_1) | instskip(NEXT) | instid1(VALU_DEP_1)
	v_fma_f32 v86, -v79, v85, 1.0
	v_fmac_f32_e32 v85, v86, v85
	s_delay_alu instid0(VALU_DEP_1) | instskip(NEXT) | instid1(VALU_DEP_1)
	v_mul_f32_e32 v86, v87, v85
	v_fma_f32 v88, -v79, v86, v87
	s_delay_alu instid0(VALU_DEP_1) | instskip(NEXT) | instid1(VALU_DEP_1)
	v_fmac_f32_e32 v86, v88, v85
	v_fma_f32 v79, -v79, v86, v87
	s_delay_alu instid0(VALU_DEP_1) | instskip(NEXT) | instid1(VALU_DEP_1)
	v_div_fmas_f32 v79, v79, v85, v86
	v_div_fixup_f32 v79, v79, v76, v77
	s_delay_alu instid0(VALU_DEP_1) | instskip(NEXT) | instid1(VALU_DEP_1)
	v_fmac_f32_e32 v76, v77, v79
	v_div_scale_f32 v77, null, v76, v76, 1.0
	s_delay_alu instid0(VALU_DEP_1) | instskip(SKIP_1) | instid1(TRANS32_DEP_1)
	v_rcp_f32_e32 v85, v77
	v_nop
	v_fma_f32 v86, -v77, v85, 1.0
	s_delay_alu instid0(VALU_DEP_1) | instskip(SKIP_1) | instid1(VALU_DEP_1)
	v_fmac_f32_e32 v85, v86, v85
	v_div_scale_f32 v86, vcc_lo, 1.0, v76, 1.0
	v_mul_f32_e32 v87, v86, v85
	s_delay_alu instid0(VALU_DEP_1) | instskip(NEXT) | instid1(VALU_DEP_1)
	v_fma_f32 v88, -v77, v87, v86
	v_fmac_f32_e32 v87, v88, v85
	s_delay_alu instid0(VALU_DEP_1) | instskip(NEXT) | instid1(VALU_DEP_1)
	v_fma_f32 v77, -v77, v87, v86
	v_div_fmas_f32 v77, v77, v85, v87
	s_delay_alu instid0(VALU_DEP_1) | instskip(NEXT) | instid1(VALU_DEP_1)
	v_div_fixup_f32 v76, v77, v76, 1.0
	v_mul_f32_e64 v77, v79, -v76
.LBB68_576:
	s_or_b32 exec_lo, exec_lo, s1
.LBB68_577:
	s_delay_alu instid0(SALU_CYCLE_1) | instskip(NEXT) | instid1(SALU_CYCLE_1)
	s_or_b32 exec_lo, exec_lo, s0
	s_mov_b32 s0, exec_lo
	v_cmpx_ne_u32_e64 v84, v78
	s_xor_b32 s0, exec_lo, s0
	s_cbranch_execz .LBB68_583
; %bb.578:
	s_mov_b32 s1, exec_lo
	v_cmpx_eq_u32_e32 27, v84
	s_cbranch_execz .LBB68_582
; %bb.579:
	v_cmp_ne_u32_e32 vcc_lo, 27, v78
	s_xor_b32 s15, s12, -1
	s_delay_alu instid0(SALU_CYCLE_1) | instskip(NEXT) | instid1(SALU_CYCLE_1)
	s_and_b32 s16, s15, vcc_lo
	s_and_saveexec_b32 s15, s16
	s_cbranch_execz .LBB68_581
; %bb.580:
	v_ashrrev_i32_e32 v79, 31, v78
	s_delay_alu instid0(VALU_DEP_1)
	v_lshl_add_u64 v[84:85], v[78:79], 2, v[4:5]
	s_clause 0x1
	global_load_b32 v79, v[84:85], off
	global_load_b32 v83, v[4:5], off offset:108
	s_wait_loadcnt 0x1
	global_store_b32 v[4:5], v79, off offset:108
	s_wait_loadcnt 0x0
	global_store_b32 v[84:85], v83, off
.LBB68_581:
	s_wait_xcnt 0x0
	s_or_b32 exec_lo, exec_lo, s15
	v_dual_mov_b32 v84, v78 :: v_dual_mov_b32 v83, v78
.LBB68_582:
	s_or_b32 exec_lo, exec_lo, s1
.LBB68_583:
	s_and_not1_saveexec_b32 s0, s0
	s_cbranch_execz .LBB68_585
; %bb.584:
	v_dual_mov_b32 v78, v64 :: v_dual_mov_b32 v79, v65
	v_dual_mov_b32 v86, v62 :: v_dual_mov_b32 v87, v63
	;; [unrolled: 1-line block ×6, first 2 shown]
	v_mov_b32_e32 v95, v53
	ds_store_2addr_b64 v80, v[78:79], v[86:87] offset0:28 offset1:29
	ds_store_2addr_b64 v80, v[88:89], v[90:91] offset0:30 offset1:31
	;; [unrolled: 1-line block ×3, first 2 shown]
	ds_store_b64 v80, v[74:75] offset:272
.LBB68_585:
	s_or_b32 exec_lo, exec_lo, s0
	s_delay_alu instid0(SALU_CYCLE_1)
	s_mov_b32 s0, exec_lo
	s_wait_storecnt_dscnt 0x0
	s_barrier_signal -1
	s_barrier_wait -1
	v_cmpx_lt_i32_e32 27, v84
	s_cbranch_execz .LBB68_587
; %bb.586:
	v_pk_mul_f32 v[78:79], v[76:77], v[40:41] op_sel:[1,1] op_sel_hi:[0,1]
	s_delay_alu instid0(VALU_DEP_1)
	v_pk_fma_f32 v[86:87], v[76:77], v[40:41], v[78:79] op_sel_hi:[1,0,1] neg_lo:[0,0,1] neg_hi:[0,0,1]
	v_pk_fma_f32 v[88:89], v[76:77], v[40:41], v[78:79] op_sel_hi:[1,0,1]
	ds_load_2addr_b64 v[76:79], v80 offset0:28 offset1:29
	v_dual_mov_b32 v40, v86 :: v_dual_mov_b32 v41, v89
	s_wait_dscnt 0x0
	v_pk_mul_f32 v[90:91], v[76:77], v[88:89] op_sel:[0,1]
	s_delay_alu instid0(VALU_DEP_1) | instskip(SKIP_1) | instid1(VALU_DEP_1)
	v_pk_fma_f32 v[92:93], v[76:77], v[86:87], v[90:91] op_sel:[0,0,1] op_sel_hi:[1,1,0] neg_lo:[0,0,1] neg_hi:[0,0,1]
	v_pk_fma_f32 v[76:77], v[76:77], v[86:87], v[90:91] op_sel:[0,0,1] op_sel_hi:[1,0,0]
	v_mov_b32_e32 v93, v77
	v_pk_mul_f32 v[76:77], v[78:79], v[88:89] op_sel:[0,1]
	s_delay_alu instid0(VALU_DEP_1) | instskip(SKIP_1) | instid1(VALU_DEP_1)
	v_pk_fma_f32 v[90:91], v[78:79], v[86:87], v[76:77] op_sel:[0,0,1] op_sel_hi:[1,1,0] neg_lo:[0,0,1] neg_hi:[0,0,1]
	v_pk_fma_f32 v[76:77], v[78:79], v[86:87], v[76:77] op_sel:[0,0,1] op_sel_hi:[1,0,0]
	v_mov_b32_e32 v91, v77
	ds_load_2addr_b64 v[76:79], v80 offset0:30 offset1:31
	v_pk_add_f32 v[64:65], v[64:65], v[92:93] neg_lo:[0,1] neg_hi:[0,1]
	v_pk_add_f32 v[62:63], v[62:63], v[90:91] neg_lo:[0,1] neg_hi:[0,1]
	s_wait_dscnt 0x0
	v_pk_mul_f32 v[90:91], v[76:77], v[88:89] op_sel:[0,1]
	s_delay_alu instid0(VALU_DEP_1) | instskip(SKIP_2) | instid1(VALU_DEP_2)
	v_pk_fma_f32 v[92:93], v[76:77], v[86:87], v[90:91] op_sel:[0,0,1] op_sel_hi:[1,1,0] neg_lo:[0,0,1] neg_hi:[0,0,1]
	v_pk_fma_f32 v[76:77], v[76:77], v[86:87], v[90:91] op_sel:[0,0,1] op_sel_hi:[1,0,0]
	v_dual_mul_f32 v90, v79, v89 :: v_dual_mov_b32 v76, v79
	v_dual_mov_b32 v93, v77 :: v_dual_mov_b32 v77, v78
	s_delay_alu instid0(VALU_DEP_2) | instskip(SKIP_1) | instid1(VALU_DEP_3)
	v_pk_fma_f32 v[90:91], v[78:79], v[40:41], v[90:91] op_sel_hi:[1,1,0] neg_lo:[0,0,1] neg_hi:[0,0,1]
	v_mul_f32_e32 v78, v79, v86
	v_pk_add_f32 v[46:47], v[46:47], v[92:93] neg_lo:[0,1] neg_hi:[0,1]
	s_delay_alu instid0(VALU_DEP_2) | instskip(NEXT) | instid1(VALU_DEP_1)
	v_pk_fma_f32 v[76:77], v[76:77], v[40:41], v[78:79] op_sel_hi:[1,1,0]
	v_mov_b32_e32 v91, v77
	ds_load_2addr_b64 v[76:79], v80 offset0:32 offset1:33
	v_pk_add_f32 v[44:45], v[44:45], v[90:91] neg_lo:[0,1] neg_hi:[0,1]
	s_wait_dscnt 0x0
	v_pk_mul_f32 v[90:91], v[76:77], v[88:89] op_sel:[0,1]
	s_delay_alu instid0(VALU_DEP_1) | instskip(SKIP_1) | instid1(VALU_DEP_1)
	v_pk_fma_f32 v[92:93], v[76:77], v[86:87], v[90:91] op_sel:[0,0,1] op_sel_hi:[1,1,0] neg_lo:[0,0,1] neg_hi:[0,0,1]
	v_pk_fma_f32 v[76:77], v[76:77], v[86:87], v[90:91] op_sel:[0,0,1] op_sel_hi:[1,0,0]
	v_mov_b32_e32 v93, v77
	v_pk_mul_f32 v[76:77], v[78:79], v[88:89] op_sel:[0,1]
	s_delay_alu instid0(VALU_DEP_1) | instskip(SKIP_1) | instid1(VALU_DEP_1)
	v_pk_fma_f32 v[90:91], v[78:79], v[86:87], v[76:77] op_sel:[0,0,1] op_sel_hi:[1,1,0] neg_lo:[0,0,1] neg_hi:[0,0,1]
	v_pk_fma_f32 v[76:77], v[78:79], v[86:87], v[76:77] op_sel:[0,0,1] op_sel_hi:[1,0,0]
	v_mov_b32_e32 v91, v77
	ds_load_b64 v[76:77], v80 offset:272
	v_pk_add_f32 v[54:55], v[54:55], v[92:93] neg_lo:[0,1] neg_hi:[0,1]
	v_pk_add_f32 v[52:53], v[52:53], v[90:91] neg_lo:[0,1] neg_hi:[0,1]
	s_wait_dscnt 0x0
	v_pk_mul_f32 v[78:79], v[76:77], v[88:89] op_sel:[0,1]
	s_delay_alu instid0(VALU_DEP_1) | instskip(SKIP_1) | instid1(VALU_DEP_1)
	v_pk_fma_f32 v[88:89], v[76:77], v[86:87], v[78:79] op_sel:[0,0,1] op_sel_hi:[1,1,0] neg_lo:[0,0,1] neg_hi:[0,0,1]
	v_pk_fma_f32 v[76:77], v[76:77], v[86:87], v[78:79] op_sel:[0,0,1] op_sel_hi:[1,0,0]
	v_mov_b32_e32 v89, v77
	s_delay_alu instid0(VALU_DEP_1)
	v_pk_add_f32 v[74:75], v[74:75], v[88:89] neg_lo:[0,1] neg_hi:[0,1]
.LBB68_587:
	s_or_b32 exec_lo, exec_lo, s0
	v_lshl_add_u32 v76, v84, 3, v80
	s_barrier_signal -1
	s_barrier_wait -1
	ds_store_b64 v76, v[64:65]
	s_wait_dscnt 0x0
	s_barrier_signal -1
	s_barrier_wait -1
	ds_load_b64 v[76:77], v80 offset:224
	v_mov_b32_e32 v78, 28
	s_cmp_lt_i32 s14, 30
	s_cbranch_scc1 .LBB68_590
; %bb.588:
	v_add3_u32 v79, v81, 0, 0xe8
	v_mov_b32_e32 v78, 28
	s_mov_b32 s0, 29
.LBB68_589:                             ; =>This Inner Loop Header: Depth=1
	ds_load_b64 v[86:87], v79
	s_wait_dscnt 0x1
	v_cmp_gt_f32_e32 vcc_lo, 0, v76
	v_cndmask_b32_e64 v88, v76, -v76, vcc_lo
	v_cmp_gt_f32_e32 vcc_lo, 0, v77
	v_cndmask_b32_e64 v90, v77, -v77, vcc_lo
	s_wait_dscnt 0x0
	v_cmp_gt_f32_e32 vcc_lo, 0, v86
	v_cndmask_b32_e64 v89, v86, -v86, vcc_lo
	v_cmp_gt_f32_e32 vcc_lo, 0, v87
	v_cndmask_b32_e64 v91, v87, -v87, vcc_lo
	s_delay_alu instid0(VALU_DEP_1) | instskip(NEXT) | instid1(VALU_DEP_1)
	v_pk_add_f32 v[88:89], v[88:89], v[90:91]
	v_cmp_lt_f32_e32 vcc_lo, v88, v89
	v_dual_cndmask_b32 v76, v76, v86 :: v_dual_add_nc_u32 v79, 8, v79
	v_cndmask_b32_e32 v77, v77, v87, vcc_lo
	v_cndmask_b32_e64 v78, v78, s0, vcc_lo
	s_add_co_i32 s0, s0, 1
	s_delay_alu instid0(SALU_CYCLE_1)
	s_cmp_lg_u32 s14, s0
	s_cbranch_scc1 .LBB68_589
.LBB68_590:
	s_wait_dscnt 0x0
	v_cmp_eq_f32_e32 vcc_lo, 0, v76
	v_cmp_eq_f32_e64 s0, 0, v77
	s_and_b32 s0, vcc_lo, s0
	s_delay_alu instid0(SALU_CYCLE_1) | instskip(NEXT) | instid1(SALU_CYCLE_1)
	s_and_saveexec_b32 s1, s0
	s_xor_b32 s0, exec_lo, s1
; %bb.591:
	v_cmp_ne_u32_e32 vcc_lo, 0, v82
	v_cndmask_b32_e32 v82, 29, v82, vcc_lo
; %bb.592:
	s_and_not1_saveexec_b32 s0, s0
	s_cbranch_execz .LBB68_598
; %bb.593:
	v_cmp_ngt_f32_e64 s1, |v76|, |v77|
	s_and_saveexec_b32 s15, s1
	s_delay_alu instid0(SALU_CYCLE_1)
	s_xor_b32 s1, exec_lo, s15
	s_cbranch_execz .LBB68_595
; %bb.594:
	v_div_scale_f32 v79, null, v77, v77, v76
	v_div_scale_f32 v87, vcc_lo, v76, v77, v76
	s_delay_alu instid0(VALU_DEP_2) | instskip(SKIP_1) | instid1(TRANS32_DEP_1)
	v_rcp_f32_e32 v85, v79
	v_nop
	v_fma_f32 v86, -v79, v85, 1.0
	s_delay_alu instid0(VALU_DEP_1) | instskip(NEXT) | instid1(VALU_DEP_1)
	v_fmac_f32_e32 v85, v86, v85
	v_mul_f32_e32 v86, v87, v85
	s_delay_alu instid0(VALU_DEP_1) | instskip(NEXT) | instid1(VALU_DEP_1)
	v_fma_f32 v88, -v79, v86, v87
	v_fmac_f32_e32 v86, v88, v85
	s_delay_alu instid0(VALU_DEP_1) | instskip(NEXT) | instid1(VALU_DEP_1)
	v_fma_f32 v79, -v79, v86, v87
	v_div_fmas_f32 v79, v79, v85, v86
	s_delay_alu instid0(VALU_DEP_1) | instskip(NEXT) | instid1(VALU_DEP_1)
	v_div_fixup_f32 v79, v79, v77, v76
	v_fmac_f32_e32 v77, v76, v79
	s_delay_alu instid0(VALU_DEP_1) | instskip(SKIP_1) | instid1(VALU_DEP_2)
	v_div_scale_f32 v76, null, v77, v77, 1.0
	v_div_scale_f32 v87, vcc_lo, 1.0, v77, 1.0
	v_rcp_f32_e32 v85, v76
	v_nop
	s_delay_alu instid0(TRANS32_DEP_1) | instskip(NEXT) | instid1(VALU_DEP_1)
	v_fma_f32 v86, -v76, v85, 1.0
	v_fmac_f32_e32 v85, v86, v85
	s_delay_alu instid0(VALU_DEP_1) | instskip(NEXT) | instid1(VALU_DEP_1)
	v_mul_f32_e32 v86, v87, v85
	v_fma_f32 v88, -v76, v86, v87
	s_delay_alu instid0(VALU_DEP_1) | instskip(NEXT) | instid1(VALU_DEP_1)
	v_fmac_f32_e32 v86, v88, v85
	v_fma_f32 v76, -v76, v86, v87
	s_delay_alu instid0(VALU_DEP_1) | instskip(NEXT) | instid1(VALU_DEP_1)
	v_div_fmas_f32 v76, v76, v85, v86
	v_div_fixup_f32 v77, v76, v77, 1.0
	s_delay_alu instid0(VALU_DEP_1)
	v_mul_f32_e32 v76, v79, v77
	v_xor_b32_e32 v77, 0x80000000, v77
.LBB68_595:
	s_and_not1_saveexec_b32 s1, s1
	s_cbranch_execz .LBB68_597
; %bb.596:
	s_delay_alu instid0(VALU_DEP_1) | instskip(SKIP_1) | instid1(VALU_DEP_2)
	v_div_scale_f32 v79, null, v76, v76, v77
	v_div_scale_f32 v87, vcc_lo, v77, v76, v77
	v_rcp_f32_e32 v85, v79
	v_nop
	s_delay_alu instid0(TRANS32_DEP_1) | instskip(NEXT) | instid1(VALU_DEP_1)
	v_fma_f32 v86, -v79, v85, 1.0
	v_fmac_f32_e32 v85, v86, v85
	s_delay_alu instid0(VALU_DEP_1) | instskip(NEXT) | instid1(VALU_DEP_1)
	v_mul_f32_e32 v86, v87, v85
	v_fma_f32 v88, -v79, v86, v87
	s_delay_alu instid0(VALU_DEP_1) | instskip(NEXT) | instid1(VALU_DEP_1)
	v_fmac_f32_e32 v86, v88, v85
	v_fma_f32 v79, -v79, v86, v87
	s_delay_alu instid0(VALU_DEP_1) | instskip(NEXT) | instid1(VALU_DEP_1)
	v_div_fmas_f32 v79, v79, v85, v86
	v_div_fixup_f32 v79, v79, v76, v77
	s_delay_alu instid0(VALU_DEP_1) | instskip(NEXT) | instid1(VALU_DEP_1)
	v_fmac_f32_e32 v76, v77, v79
	v_div_scale_f32 v77, null, v76, v76, 1.0
	s_delay_alu instid0(VALU_DEP_1) | instskip(SKIP_1) | instid1(TRANS32_DEP_1)
	v_rcp_f32_e32 v85, v77
	v_nop
	v_fma_f32 v86, -v77, v85, 1.0
	s_delay_alu instid0(VALU_DEP_1) | instskip(SKIP_1) | instid1(VALU_DEP_1)
	v_fmac_f32_e32 v85, v86, v85
	v_div_scale_f32 v86, vcc_lo, 1.0, v76, 1.0
	v_mul_f32_e32 v87, v86, v85
	s_delay_alu instid0(VALU_DEP_1) | instskip(NEXT) | instid1(VALU_DEP_1)
	v_fma_f32 v88, -v77, v87, v86
	v_fmac_f32_e32 v87, v88, v85
	s_delay_alu instid0(VALU_DEP_1) | instskip(NEXT) | instid1(VALU_DEP_1)
	v_fma_f32 v77, -v77, v87, v86
	v_div_fmas_f32 v77, v77, v85, v87
	s_delay_alu instid0(VALU_DEP_1) | instskip(NEXT) | instid1(VALU_DEP_1)
	v_div_fixup_f32 v76, v77, v76, 1.0
	v_mul_f32_e64 v77, v79, -v76
.LBB68_597:
	s_or_b32 exec_lo, exec_lo, s1
.LBB68_598:
	s_delay_alu instid0(SALU_CYCLE_1) | instskip(NEXT) | instid1(SALU_CYCLE_1)
	s_or_b32 exec_lo, exec_lo, s0
	s_mov_b32 s0, exec_lo
	v_cmpx_ne_u32_e64 v84, v78
	s_xor_b32 s0, exec_lo, s0
	s_cbranch_execz .LBB68_604
; %bb.599:
	s_mov_b32 s1, exec_lo
	v_cmpx_eq_u32_e32 28, v84
	s_cbranch_execz .LBB68_603
; %bb.600:
	v_cmp_ne_u32_e32 vcc_lo, 28, v78
	s_xor_b32 s15, s12, -1
	s_delay_alu instid0(SALU_CYCLE_1) | instskip(NEXT) | instid1(SALU_CYCLE_1)
	s_and_b32 s16, s15, vcc_lo
	s_and_saveexec_b32 s15, s16
	s_cbranch_execz .LBB68_602
; %bb.601:
	v_ashrrev_i32_e32 v79, 31, v78
	s_delay_alu instid0(VALU_DEP_1)
	v_lshl_add_u64 v[84:85], v[78:79], 2, v[4:5]
	s_clause 0x1
	global_load_b32 v79, v[84:85], off
	global_load_b32 v83, v[4:5], off offset:112
	s_wait_loadcnt 0x1
	global_store_b32 v[4:5], v79, off offset:112
	s_wait_loadcnt 0x0
	global_store_b32 v[84:85], v83, off
.LBB68_602:
	s_wait_xcnt 0x0
	s_or_b32 exec_lo, exec_lo, s15
	v_dual_mov_b32 v84, v78 :: v_dual_mov_b32 v83, v78
.LBB68_603:
	s_or_b32 exec_lo, exec_lo, s1
.LBB68_604:
	s_and_not1_saveexec_b32 s0, s0
	s_cbranch_execz .LBB68_606
; %bb.605:
	v_mov_b32_e32 v84, 28
	ds_store_2addr_b64 v80, v[62:63], v[46:47] offset0:29 offset1:30
	ds_store_2addr_b64 v80, v[44:45], v[54:55] offset0:31 offset1:32
	;; [unrolled: 1-line block ×3, first 2 shown]
.LBB68_606:
	s_or_b32 exec_lo, exec_lo, s0
	s_delay_alu instid0(SALU_CYCLE_1)
	s_mov_b32 s0, exec_lo
	s_wait_storecnt_dscnt 0x0
	s_barrier_signal -1
	s_barrier_wait -1
	v_cmpx_lt_i32_e32 28, v84
	s_cbranch_execz .LBB68_608
; %bb.607:
	v_pk_mul_f32 v[78:79], v[76:77], v[64:65] op_sel:[1,1] op_sel_hi:[0,1]
	s_delay_alu instid0(VALU_DEP_1)
	v_pk_fma_f32 v[86:87], v[76:77], v[64:65], v[78:79] op_sel_hi:[1,0,1] neg_lo:[0,0,1] neg_hi:[0,0,1]
	v_pk_fma_f32 v[88:89], v[76:77], v[64:65], v[78:79] op_sel_hi:[1,0,1]
	ds_load_2addr_b64 v[76:79], v80 offset0:29 offset1:30
	v_dual_mov_b32 v64, v86 :: v_dual_mov_b32 v65, v89
	s_wait_dscnt 0x0
	v_pk_mul_f32 v[90:91], v[76:77], v[88:89] op_sel:[0,1]
	s_delay_alu instid0(VALU_DEP_1) | instskip(SKIP_1) | instid1(VALU_DEP_1)
	v_pk_fma_f32 v[92:93], v[76:77], v[86:87], v[90:91] op_sel:[0,0,1] op_sel_hi:[1,1,0] neg_lo:[0,0,1] neg_hi:[0,0,1]
	v_pk_fma_f32 v[76:77], v[76:77], v[86:87], v[90:91] op_sel:[0,0,1] op_sel_hi:[1,0,0]
	v_mov_b32_e32 v93, v77
	v_pk_mul_f32 v[76:77], v[78:79], v[88:89] op_sel:[0,1]
	s_delay_alu instid0(VALU_DEP_1) | instskip(SKIP_1) | instid1(VALU_DEP_1)
	v_pk_fma_f32 v[90:91], v[78:79], v[86:87], v[76:77] op_sel:[0,0,1] op_sel_hi:[1,1,0] neg_lo:[0,0,1] neg_hi:[0,0,1]
	v_pk_fma_f32 v[76:77], v[78:79], v[86:87], v[76:77] op_sel:[0,0,1] op_sel_hi:[1,0,0]
	v_mov_b32_e32 v91, v77
	ds_load_2addr_b64 v[76:79], v80 offset0:31 offset1:32
	v_pk_add_f32 v[62:63], v[62:63], v[92:93] neg_lo:[0,1] neg_hi:[0,1]
	v_pk_add_f32 v[46:47], v[46:47], v[90:91] neg_lo:[0,1] neg_hi:[0,1]
	s_wait_dscnt 0x0
	v_pk_mul_f32 v[90:91], v[76:77], v[88:89] op_sel:[0,1]
	s_delay_alu instid0(VALU_DEP_1) | instskip(SKIP_2) | instid1(VALU_DEP_2)
	v_pk_fma_f32 v[92:93], v[76:77], v[86:87], v[90:91] op_sel:[0,0,1] op_sel_hi:[1,1,0] neg_lo:[0,0,1] neg_hi:[0,0,1]
	v_pk_fma_f32 v[76:77], v[76:77], v[86:87], v[90:91] op_sel:[0,0,1] op_sel_hi:[1,0,0]
	v_dual_mul_f32 v90, v79, v89 :: v_dual_mov_b32 v76, v79
	v_dual_mov_b32 v93, v77 :: v_dual_mov_b32 v77, v78
	s_delay_alu instid0(VALU_DEP_2) | instskip(SKIP_1) | instid1(VALU_DEP_3)
	v_pk_fma_f32 v[90:91], v[78:79], v[64:65], v[90:91] op_sel_hi:[1,1,0] neg_lo:[0,0,1] neg_hi:[0,0,1]
	v_mul_f32_e32 v78, v79, v86
	v_pk_add_f32 v[44:45], v[44:45], v[92:93] neg_lo:[0,1] neg_hi:[0,1]
	s_delay_alu instid0(VALU_DEP_2) | instskip(NEXT) | instid1(VALU_DEP_1)
	v_pk_fma_f32 v[76:77], v[76:77], v[64:65], v[78:79] op_sel_hi:[1,1,0]
	v_mov_b32_e32 v91, v77
	ds_load_2addr_b64 v[76:79], v80 offset0:33 offset1:34
	v_pk_add_f32 v[54:55], v[54:55], v[90:91] neg_lo:[0,1] neg_hi:[0,1]
	s_wait_dscnt 0x0
	v_pk_mul_f32 v[90:91], v[76:77], v[88:89] op_sel:[0,1]
	v_mul_f32_e32 v88, v79, v89
	s_delay_alu instid0(VALU_DEP_2) | instskip(SKIP_2) | instid1(VALU_DEP_4)
	v_pk_fma_f32 v[92:93], v[76:77], v[86:87], v[90:91] op_sel:[0,0,1] op_sel_hi:[1,1,0] neg_lo:[0,0,1] neg_hi:[0,0,1]
	v_pk_fma_f32 v[76:77], v[76:77], v[86:87], v[90:91] op_sel:[0,0,1] op_sel_hi:[1,0,0]
	v_mov_b32_e32 v76, v79
	v_pk_fma_f32 v[88:89], v[78:79], v[64:65], v[88:89] op_sel_hi:[1,1,0] neg_lo:[0,0,1] neg_hi:[0,0,1]
	s_delay_alu instid0(VALU_DEP_3) | instskip(SKIP_1) | instid1(VALU_DEP_2)
	v_dual_mov_b32 v93, v77 :: v_dual_mov_b32 v77, v78
	v_mul_f32_e32 v78, v79, v86
	v_pk_add_f32 v[52:53], v[52:53], v[92:93] neg_lo:[0,1] neg_hi:[0,1]
	s_delay_alu instid0(VALU_DEP_2) | instskip(NEXT) | instid1(VALU_DEP_1)
	v_pk_fma_f32 v[76:77], v[76:77], v[64:65], v[78:79] op_sel_hi:[1,1,0]
	v_mov_b32_e32 v89, v77
	s_delay_alu instid0(VALU_DEP_1)
	v_pk_add_f32 v[74:75], v[74:75], v[88:89] neg_lo:[0,1] neg_hi:[0,1]
.LBB68_608:
	s_or_b32 exec_lo, exec_lo, s0
	v_lshl_add_u32 v76, v84, 3, v80
	s_barrier_signal -1
	s_barrier_wait -1
	ds_store_b64 v76, v[62:63]
	s_wait_dscnt 0x0
	s_barrier_signal -1
	s_barrier_wait -1
	ds_load_b64 v[76:77], v80 offset:232
	v_mov_b32_e32 v78, 29
	s_cmp_lt_i32 s14, 31
	s_cbranch_scc1 .LBB68_611
; %bb.609:
	v_add3_u32 v79, v81, 0, 0xf0
	v_mov_b32_e32 v78, 29
	s_mov_b32 s0, 30
.LBB68_610:                             ; =>This Inner Loop Header: Depth=1
	ds_load_b64 v[86:87], v79
	s_wait_dscnt 0x1
	v_cmp_gt_f32_e32 vcc_lo, 0, v76
	v_cndmask_b32_e64 v88, v76, -v76, vcc_lo
	v_cmp_gt_f32_e32 vcc_lo, 0, v77
	v_cndmask_b32_e64 v90, v77, -v77, vcc_lo
	s_wait_dscnt 0x0
	v_cmp_gt_f32_e32 vcc_lo, 0, v86
	v_cndmask_b32_e64 v89, v86, -v86, vcc_lo
	v_cmp_gt_f32_e32 vcc_lo, 0, v87
	v_cndmask_b32_e64 v91, v87, -v87, vcc_lo
	s_delay_alu instid0(VALU_DEP_1) | instskip(NEXT) | instid1(VALU_DEP_1)
	v_pk_add_f32 v[88:89], v[88:89], v[90:91]
	v_cmp_lt_f32_e32 vcc_lo, v88, v89
	v_dual_cndmask_b32 v76, v76, v86 :: v_dual_add_nc_u32 v79, 8, v79
	v_cndmask_b32_e32 v77, v77, v87, vcc_lo
	v_cndmask_b32_e64 v78, v78, s0, vcc_lo
	s_add_co_i32 s0, s0, 1
	s_delay_alu instid0(SALU_CYCLE_1)
	s_cmp_lg_u32 s14, s0
	s_cbranch_scc1 .LBB68_610
.LBB68_611:
	s_wait_dscnt 0x0
	v_cmp_eq_f32_e32 vcc_lo, 0, v76
	v_cmp_eq_f32_e64 s0, 0, v77
	s_and_b32 s0, vcc_lo, s0
	s_delay_alu instid0(SALU_CYCLE_1) | instskip(NEXT) | instid1(SALU_CYCLE_1)
	s_and_saveexec_b32 s1, s0
	s_xor_b32 s0, exec_lo, s1
; %bb.612:
	v_cmp_ne_u32_e32 vcc_lo, 0, v82
	v_cndmask_b32_e32 v82, 30, v82, vcc_lo
; %bb.613:
	s_and_not1_saveexec_b32 s0, s0
	s_cbranch_execz .LBB68_619
; %bb.614:
	v_cmp_ngt_f32_e64 s1, |v76|, |v77|
	s_and_saveexec_b32 s15, s1
	s_delay_alu instid0(SALU_CYCLE_1)
	s_xor_b32 s1, exec_lo, s15
	s_cbranch_execz .LBB68_616
; %bb.615:
	v_div_scale_f32 v79, null, v77, v77, v76
	v_div_scale_f32 v87, vcc_lo, v76, v77, v76
	s_delay_alu instid0(VALU_DEP_2) | instskip(SKIP_1) | instid1(TRANS32_DEP_1)
	v_rcp_f32_e32 v85, v79
	v_nop
	v_fma_f32 v86, -v79, v85, 1.0
	s_delay_alu instid0(VALU_DEP_1) | instskip(NEXT) | instid1(VALU_DEP_1)
	v_fmac_f32_e32 v85, v86, v85
	v_mul_f32_e32 v86, v87, v85
	s_delay_alu instid0(VALU_DEP_1) | instskip(NEXT) | instid1(VALU_DEP_1)
	v_fma_f32 v88, -v79, v86, v87
	v_fmac_f32_e32 v86, v88, v85
	s_delay_alu instid0(VALU_DEP_1) | instskip(NEXT) | instid1(VALU_DEP_1)
	v_fma_f32 v79, -v79, v86, v87
	v_div_fmas_f32 v79, v79, v85, v86
	s_delay_alu instid0(VALU_DEP_1) | instskip(NEXT) | instid1(VALU_DEP_1)
	v_div_fixup_f32 v79, v79, v77, v76
	v_fmac_f32_e32 v77, v76, v79
	s_delay_alu instid0(VALU_DEP_1) | instskip(SKIP_1) | instid1(VALU_DEP_2)
	v_div_scale_f32 v76, null, v77, v77, 1.0
	v_div_scale_f32 v87, vcc_lo, 1.0, v77, 1.0
	v_rcp_f32_e32 v85, v76
	v_nop
	s_delay_alu instid0(TRANS32_DEP_1) | instskip(NEXT) | instid1(VALU_DEP_1)
	v_fma_f32 v86, -v76, v85, 1.0
	v_fmac_f32_e32 v85, v86, v85
	s_delay_alu instid0(VALU_DEP_1) | instskip(NEXT) | instid1(VALU_DEP_1)
	v_mul_f32_e32 v86, v87, v85
	v_fma_f32 v88, -v76, v86, v87
	s_delay_alu instid0(VALU_DEP_1) | instskip(NEXT) | instid1(VALU_DEP_1)
	v_fmac_f32_e32 v86, v88, v85
	v_fma_f32 v76, -v76, v86, v87
	s_delay_alu instid0(VALU_DEP_1) | instskip(NEXT) | instid1(VALU_DEP_1)
	v_div_fmas_f32 v76, v76, v85, v86
	v_div_fixup_f32 v77, v76, v77, 1.0
	s_delay_alu instid0(VALU_DEP_1)
	v_mul_f32_e32 v76, v79, v77
	v_xor_b32_e32 v77, 0x80000000, v77
.LBB68_616:
	s_and_not1_saveexec_b32 s1, s1
	s_cbranch_execz .LBB68_618
; %bb.617:
	s_delay_alu instid0(VALU_DEP_1) | instskip(SKIP_1) | instid1(VALU_DEP_2)
	v_div_scale_f32 v79, null, v76, v76, v77
	v_div_scale_f32 v87, vcc_lo, v77, v76, v77
	v_rcp_f32_e32 v85, v79
	v_nop
	s_delay_alu instid0(TRANS32_DEP_1) | instskip(NEXT) | instid1(VALU_DEP_1)
	v_fma_f32 v86, -v79, v85, 1.0
	v_fmac_f32_e32 v85, v86, v85
	s_delay_alu instid0(VALU_DEP_1) | instskip(NEXT) | instid1(VALU_DEP_1)
	v_mul_f32_e32 v86, v87, v85
	v_fma_f32 v88, -v79, v86, v87
	s_delay_alu instid0(VALU_DEP_1) | instskip(NEXT) | instid1(VALU_DEP_1)
	v_fmac_f32_e32 v86, v88, v85
	v_fma_f32 v79, -v79, v86, v87
	s_delay_alu instid0(VALU_DEP_1) | instskip(NEXT) | instid1(VALU_DEP_1)
	v_div_fmas_f32 v79, v79, v85, v86
	v_div_fixup_f32 v79, v79, v76, v77
	s_delay_alu instid0(VALU_DEP_1) | instskip(NEXT) | instid1(VALU_DEP_1)
	v_fmac_f32_e32 v76, v77, v79
	v_div_scale_f32 v77, null, v76, v76, 1.0
	s_delay_alu instid0(VALU_DEP_1) | instskip(SKIP_1) | instid1(TRANS32_DEP_1)
	v_rcp_f32_e32 v85, v77
	v_nop
	v_fma_f32 v86, -v77, v85, 1.0
	s_delay_alu instid0(VALU_DEP_1) | instskip(SKIP_1) | instid1(VALU_DEP_1)
	v_fmac_f32_e32 v85, v86, v85
	v_div_scale_f32 v86, vcc_lo, 1.0, v76, 1.0
	v_mul_f32_e32 v87, v86, v85
	s_delay_alu instid0(VALU_DEP_1) | instskip(NEXT) | instid1(VALU_DEP_1)
	v_fma_f32 v88, -v77, v87, v86
	v_fmac_f32_e32 v87, v88, v85
	s_delay_alu instid0(VALU_DEP_1) | instskip(NEXT) | instid1(VALU_DEP_1)
	v_fma_f32 v77, -v77, v87, v86
	v_div_fmas_f32 v77, v77, v85, v87
	s_delay_alu instid0(VALU_DEP_1) | instskip(NEXT) | instid1(VALU_DEP_1)
	v_div_fixup_f32 v76, v77, v76, 1.0
	v_mul_f32_e64 v77, v79, -v76
.LBB68_618:
	s_or_b32 exec_lo, exec_lo, s1
.LBB68_619:
	s_delay_alu instid0(SALU_CYCLE_1) | instskip(NEXT) | instid1(SALU_CYCLE_1)
	s_or_b32 exec_lo, exec_lo, s0
	s_mov_b32 s0, exec_lo
	v_cmpx_ne_u32_e64 v84, v78
	s_xor_b32 s0, exec_lo, s0
	s_cbranch_execz .LBB68_625
; %bb.620:
	s_mov_b32 s1, exec_lo
	v_cmpx_eq_u32_e32 29, v84
	s_cbranch_execz .LBB68_624
; %bb.621:
	v_cmp_ne_u32_e32 vcc_lo, 29, v78
	s_xor_b32 s15, s12, -1
	s_delay_alu instid0(SALU_CYCLE_1) | instskip(NEXT) | instid1(SALU_CYCLE_1)
	s_and_b32 s16, s15, vcc_lo
	s_and_saveexec_b32 s15, s16
	s_cbranch_execz .LBB68_623
; %bb.622:
	v_ashrrev_i32_e32 v79, 31, v78
	s_delay_alu instid0(VALU_DEP_1)
	v_lshl_add_u64 v[84:85], v[78:79], 2, v[4:5]
	s_clause 0x1
	global_load_b32 v79, v[84:85], off
	global_load_b32 v83, v[4:5], off offset:116
	s_wait_loadcnt 0x1
	global_store_b32 v[4:5], v79, off offset:116
	s_wait_loadcnt 0x0
	global_store_b32 v[84:85], v83, off
.LBB68_623:
	s_wait_xcnt 0x0
	s_or_b32 exec_lo, exec_lo, s15
	v_dual_mov_b32 v84, v78 :: v_dual_mov_b32 v83, v78
.LBB68_624:
	s_or_b32 exec_lo, exec_lo, s1
.LBB68_625:
	s_and_not1_saveexec_b32 s0, s0
	s_cbranch_execz .LBB68_627
; %bb.626:
	v_dual_mov_b32 v78, v46 :: v_dual_mov_b32 v79, v47
	v_dual_mov_b32 v86, v44 :: v_dual_mov_b32 v87, v45
	;; [unrolled: 1-line block ×4, first 2 shown]
	v_mov_b32_e32 v91, v53
	ds_store_2addr_b64 v80, v[78:79], v[86:87] offset0:30 offset1:31
	ds_store_2addr_b64 v80, v[88:89], v[90:91] offset0:32 offset1:33
	ds_store_b64 v80, v[74:75] offset:272
.LBB68_627:
	s_or_b32 exec_lo, exec_lo, s0
	s_delay_alu instid0(SALU_CYCLE_1)
	s_mov_b32 s0, exec_lo
	s_wait_storecnt_dscnt 0x0
	s_barrier_signal -1
	s_barrier_wait -1
	v_cmpx_lt_i32_e32 29, v84
	s_cbranch_execz .LBB68_629
; %bb.628:
	v_pk_mul_f32 v[78:79], v[76:77], v[62:63] op_sel:[1,1] op_sel_hi:[0,1]
	s_delay_alu instid0(VALU_DEP_1)
	v_pk_fma_f32 v[86:87], v[76:77], v[62:63], v[78:79] op_sel_hi:[1,0,1] neg_lo:[0,0,1] neg_hi:[0,0,1]
	v_pk_fma_f32 v[88:89], v[76:77], v[62:63], v[78:79] op_sel_hi:[1,0,1]
	ds_load_2addr_b64 v[76:79], v80 offset0:30 offset1:31
	v_dual_mov_b32 v62, v86 :: v_dual_mov_b32 v63, v89
	s_wait_dscnt 0x0
	v_pk_mul_f32 v[90:91], v[76:77], v[88:89] op_sel:[0,1]
	s_delay_alu instid0(VALU_DEP_1) | instskip(SKIP_1) | instid1(VALU_DEP_1)
	v_pk_fma_f32 v[92:93], v[76:77], v[86:87], v[90:91] op_sel:[0,0,1] op_sel_hi:[1,1,0] neg_lo:[0,0,1] neg_hi:[0,0,1]
	v_pk_fma_f32 v[76:77], v[76:77], v[86:87], v[90:91] op_sel:[0,0,1] op_sel_hi:[1,0,0]
	v_mov_b32_e32 v93, v77
	v_pk_mul_f32 v[76:77], v[78:79], v[88:89] op_sel:[0,1]
	s_delay_alu instid0(VALU_DEP_1) | instskip(SKIP_1) | instid1(VALU_DEP_1)
	v_pk_fma_f32 v[90:91], v[78:79], v[86:87], v[76:77] op_sel:[0,0,1] op_sel_hi:[1,1,0] neg_lo:[0,0,1] neg_hi:[0,0,1]
	v_pk_fma_f32 v[76:77], v[78:79], v[86:87], v[76:77] op_sel:[0,0,1] op_sel_hi:[1,0,0]
	v_mov_b32_e32 v91, v77
	ds_load_2addr_b64 v[76:79], v80 offset0:32 offset1:33
	v_pk_add_f32 v[46:47], v[46:47], v[92:93] neg_lo:[0,1] neg_hi:[0,1]
	v_pk_add_f32 v[44:45], v[44:45], v[90:91] neg_lo:[0,1] neg_hi:[0,1]
	s_wait_dscnt 0x0
	v_pk_mul_f32 v[90:91], v[76:77], v[88:89] op_sel:[0,1]
	s_delay_alu instid0(VALU_DEP_1) | instskip(SKIP_2) | instid1(VALU_DEP_2)
	v_pk_fma_f32 v[92:93], v[76:77], v[86:87], v[90:91] op_sel:[0,0,1] op_sel_hi:[1,1,0] neg_lo:[0,0,1] neg_hi:[0,0,1]
	v_pk_fma_f32 v[76:77], v[76:77], v[86:87], v[90:91] op_sel:[0,0,1] op_sel_hi:[1,0,0]
	v_dual_mul_f32 v90, v79, v89 :: v_dual_mov_b32 v76, v79
	v_dual_mov_b32 v93, v77 :: v_dual_mov_b32 v77, v78
	s_delay_alu instid0(VALU_DEP_2) | instskip(SKIP_1) | instid1(VALU_DEP_3)
	v_pk_fma_f32 v[90:91], v[78:79], v[62:63], v[90:91] op_sel_hi:[1,1,0] neg_lo:[0,0,1] neg_hi:[0,0,1]
	v_mul_f32_e32 v78, v79, v86
	v_pk_add_f32 v[54:55], v[54:55], v[92:93] neg_lo:[0,1] neg_hi:[0,1]
	s_delay_alu instid0(VALU_DEP_2) | instskip(NEXT) | instid1(VALU_DEP_1)
	v_pk_fma_f32 v[76:77], v[76:77], v[62:63], v[78:79] op_sel_hi:[1,1,0]
	v_mov_b32_e32 v91, v77
	ds_load_b64 v[76:77], v80 offset:272
	v_pk_add_f32 v[52:53], v[52:53], v[90:91] neg_lo:[0,1] neg_hi:[0,1]
	s_wait_dscnt 0x0
	v_pk_mul_f32 v[78:79], v[76:77], v[88:89] op_sel:[0,1]
	s_delay_alu instid0(VALU_DEP_1) | instskip(SKIP_1) | instid1(VALU_DEP_1)
	v_pk_fma_f32 v[88:89], v[76:77], v[86:87], v[78:79] op_sel:[0,0,1] op_sel_hi:[1,1,0] neg_lo:[0,0,1] neg_hi:[0,0,1]
	v_pk_fma_f32 v[76:77], v[76:77], v[86:87], v[78:79] op_sel:[0,0,1] op_sel_hi:[1,0,0]
	v_mov_b32_e32 v89, v77
	s_delay_alu instid0(VALU_DEP_1)
	v_pk_add_f32 v[74:75], v[74:75], v[88:89] neg_lo:[0,1] neg_hi:[0,1]
.LBB68_629:
	s_or_b32 exec_lo, exec_lo, s0
	v_lshl_add_u32 v76, v84, 3, v80
	s_barrier_signal -1
	s_barrier_wait -1
	ds_store_b64 v76, v[46:47]
	s_wait_dscnt 0x0
	s_barrier_signal -1
	s_barrier_wait -1
	ds_load_b64 v[76:77], v80 offset:240
	v_mov_b32_e32 v78, 30
	s_cmp_lt_i32 s14, 32
	s_cbranch_scc1 .LBB68_632
; %bb.630:
	v_add3_u32 v79, v81, 0, 0xf8
	v_mov_b32_e32 v78, 30
	s_mov_b32 s0, 31
.LBB68_631:                             ; =>This Inner Loop Header: Depth=1
	ds_load_b64 v[86:87], v79
	s_wait_dscnt 0x1
	v_cmp_gt_f32_e32 vcc_lo, 0, v76
	v_cndmask_b32_e64 v88, v76, -v76, vcc_lo
	v_cmp_gt_f32_e32 vcc_lo, 0, v77
	v_cndmask_b32_e64 v90, v77, -v77, vcc_lo
	s_wait_dscnt 0x0
	v_cmp_gt_f32_e32 vcc_lo, 0, v86
	v_cndmask_b32_e64 v89, v86, -v86, vcc_lo
	v_cmp_gt_f32_e32 vcc_lo, 0, v87
	v_cndmask_b32_e64 v91, v87, -v87, vcc_lo
	s_delay_alu instid0(VALU_DEP_1) | instskip(NEXT) | instid1(VALU_DEP_1)
	v_pk_add_f32 v[88:89], v[88:89], v[90:91]
	v_cmp_lt_f32_e32 vcc_lo, v88, v89
	v_dual_cndmask_b32 v76, v76, v86 :: v_dual_add_nc_u32 v79, 8, v79
	v_cndmask_b32_e32 v77, v77, v87, vcc_lo
	v_cndmask_b32_e64 v78, v78, s0, vcc_lo
	s_add_co_i32 s0, s0, 1
	s_delay_alu instid0(SALU_CYCLE_1)
	s_cmp_lg_u32 s14, s0
	s_cbranch_scc1 .LBB68_631
.LBB68_632:
	s_wait_dscnt 0x0
	v_cmp_eq_f32_e32 vcc_lo, 0, v76
	v_cmp_eq_f32_e64 s0, 0, v77
	s_and_b32 s0, vcc_lo, s0
	s_delay_alu instid0(SALU_CYCLE_1) | instskip(NEXT) | instid1(SALU_CYCLE_1)
	s_and_saveexec_b32 s1, s0
	s_xor_b32 s0, exec_lo, s1
; %bb.633:
	v_cmp_ne_u32_e32 vcc_lo, 0, v82
	v_cndmask_b32_e32 v82, 31, v82, vcc_lo
; %bb.634:
	s_and_not1_saveexec_b32 s0, s0
	s_cbranch_execz .LBB68_640
; %bb.635:
	v_cmp_ngt_f32_e64 s1, |v76|, |v77|
	s_and_saveexec_b32 s15, s1
	s_delay_alu instid0(SALU_CYCLE_1)
	s_xor_b32 s1, exec_lo, s15
	s_cbranch_execz .LBB68_637
; %bb.636:
	v_div_scale_f32 v79, null, v77, v77, v76
	v_div_scale_f32 v87, vcc_lo, v76, v77, v76
	s_delay_alu instid0(VALU_DEP_2) | instskip(SKIP_1) | instid1(TRANS32_DEP_1)
	v_rcp_f32_e32 v85, v79
	v_nop
	v_fma_f32 v86, -v79, v85, 1.0
	s_delay_alu instid0(VALU_DEP_1) | instskip(NEXT) | instid1(VALU_DEP_1)
	v_fmac_f32_e32 v85, v86, v85
	v_mul_f32_e32 v86, v87, v85
	s_delay_alu instid0(VALU_DEP_1) | instskip(NEXT) | instid1(VALU_DEP_1)
	v_fma_f32 v88, -v79, v86, v87
	v_fmac_f32_e32 v86, v88, v85
	s_delay_alu instid0(VALU_DEP_1) | instskip(NEXT) | instid1(VALU_DEP_1)
	v_fma_f32 v79, -v79, v86, v87
	v_div_fmas_f32 v79, v79, v85, v86
	s_delay_alu instid0(VALU_DEP_1) | instskip(NEXT) | instid1(VALU_DEP_1)
	v_div_fixup_f32 v79, v79, v77, v76
	v_fmac_f32_e32 v77, v76, v79
	s_delay_alu instid0(VALU_DEP_1) | instskip(SKIP_1) | instid1(VALU_DEP_2)
	v_div_scale_f32 v76, null, v77, v77, 1.0
	v_div_scale_f32 v87, vcc_lo, 1.0, v77, 1.0
	v_rcp_f32_e32 v85, v76
	v_nop
	s_delay_alu instid0(TRANS32_DEP_1) | instskip(NEXT) | instid1(VALU_DEP_1)
	v_fma_f32 v86, -v76, v85, 1.0
	v_fmac_f32_e32 v85, v86, v85
	s_delay_alu instid0(VALU_DEP_1) | instskip(NEXT) | instid1(VALU_DEP_1)
	v_mul_f32_e32 v86, v87, v85
	v_fma_f32 v88, -v76, v86, v87
	s_delay_alu instid0(VALU_DEP_1) | instskip(NEXT) | instid1(VALU_DEP_1)
	v_fmac_f32_e32 v86, v88, v85
	v_fma_f32 v76, -v76, v86, v87
	s_delay_alu instid0(VALU_DEP_1) | instskip(NEXT) | instid1(VALU_DEP_1)
	v_div_fmas_f32 v76, v76, v85, v86
	v_div_fixup_f32 v77, v76, v77, 1.0
	s_delay_alu instid0(VALU_DEP_1)
	v_mul_f32_e32 v76, v79, v77
	v_xor_b32_e32 v77, 0x80000000, v77
.LBB68_637:
	s_and_not1_saveexec_b32 s1, s1
	s_cbranch_execz .LBB68_639
; %bb.638:
	s_delay_alu instid0(VALU_DEP_1) | instskip(SKIP_1) | instid1(VALU_DEP_2)
	v_div_scale_f32 v79, null, v76, v76, v77
	v_div_scale_f32 v87, vcc_lo, v77, v76, v77
	v_rcp_f32_e32 v85, v79
	v_nop
	s_delay_alu instid0(TRANS32_DEP_1) | instskip(NEXT) | instid1(VALU_DEP_1)
	v_fma_f32 v86, -v79, v85, 1.0
	v_fmac_f32_e32 v85, v86, v85
	s_delay_alu instid0(VALU_DEP_1) | instskip(NEXT) | instid1(VALU_DEP_1)
	v_mul_f32_e32 v86, v87, v85
	v_fma_f32 v88, -v79, v86, v87
	s_delay_alu instid0(VALU_DEP_1) | instskip(NEXT) | instid1(VALU_DEP_1)
	v_fmac_f32_e32 v86, v88, v85
	v_fma_f32 v79, -v79, v86, v87
	s_delay_alu instid0(VALU_DEP_1) | instskip(NEXT) | instid1(VALU_DEP_1)
	v_div_fmas_f32 v79, v79, v85, v86
	v_div_fixup_f32 v79, v79, v76, v77
	s_delay_alu instid0(VALU_DEP_1) | instskip(NEXT) | instid1(VALU_DEP_1)
	v_fmac_f32_e32 v76, v77, v79
	v_div_scale_f32 v77, null, v76, v76, 1.0
	s_delay_alu instid0(VALU_DEP_1) | instskip(SKIP_1) | instid1(TRANS32_DEP_1)
	v_rcp_f32_e32 v85, v77
	v_nop
	v_fma_f32 v86, -v77, v85, 1.0
	s_delay_alu instid0(VALU_DEP_1) | instskip(SKIP_1) | instid1(VALU_DEP_1)
	v_fmac_f32_e32 v85, v86, v85
	v_div_scale_f32 v86, vcc_lo, 1.0, v76, 1.0
	v_mul_f32_e32 v87, v86, v85
	s_delay_alu instid0(VALU_DEP_1) | instskip(NEXT) | instid1(VALU_DEP_1)
	v_fma_f32 v88, -v77, v87, v86
	v_fmac_f32_e32 v87, v88, v85
	s_delay_alu instid0(VALU_DEP_1) | instskip(NEXT) | instid1(VALU_DEP_1)
	v_fma_f32 v77, -v77, v87, v86
	v_div_fmas_f32 v77, v77, v85, v87
	s_delay_alu instid0(VALU_DEP_1) | instskip(NEXT) | instid1(VALU_DEP_1)
	v_div_fixup_f32 v76, v77, v76, 1.0
	v_mul_f32_e64 v77, v79, -v76
.LBB68_639:
	s_or_b32 exec_lo, exec_lo, s1
.LBB68_640:
	s_delay_alu instid0(SALU_CYCLE_1) | instskip(NEXT) | instid1(SALU_CYCLE_1)
	s_or_b32 exec_lo, exec_lo, s0
	s_mov_b32 s0, exec_lo
	v_cmpx_ne_u32_e64 v84, v78
	s_xor_b32 s0, exec_lo, s0
	s_cbranch_execz .LBB68_646
; %bb.641:
	s_mov_b32 s1, exec_lo
	v_cmpx_eq_u32_e32 30, v84
	s_cbranch_execz .LBB68_645
; %bb.642:
	v_cmp_ne_u32_e32 vcc_lo, 30, v78
	s_xor_b32 s15, s12, -1
	s_delay_alu instid0(SALU_CYCLE_1) | instskip(NEXT) | instid1(SALU_CYCLE_1)
	s_and_b32 s16, s15, vcc_lo
	s_and_saveexec_b32 s15, s16
	s_cbranch_execz .LBB68_644
; %bb.643:
	v_ashrrev_i32_e32 v79, 31, v78
	s_delay_alu instid0(VALU_DEP_1)
	v_lshl_add_u64 v[84:85], v[78:79], 2, v[4:5]
	s_clause 0x1
	global_load_b32 v79, v[84:85], off
	global_load_b32 v83, v[4:5], off offset:120
	s_wait_loadcnt 0x1
	global_store_b32 v[4:5], v79, off offset:120
	s_wait_loadcnt 0x0
	global_store_b32 v[84:85], v83, off
.LBB68_644:
	s_wait_xcnt 0x0
	s_or_b32 exec_lo, exec_lo, s15
	v_dual_mov_b32 v84, v78 :: v_dual_mov_b32 v83, v78
.LBB68_645:
	s_or_b32 exec_lo, exec_lo, s1
.LBB68_646:
	s_and_not1_saveexec_b32 s0, s0
	s_cbranch_execz .LBB68_648
; %bb.647:
	v_mov_b32_e32 v84, 30
	ds_store_2addr_b64 v80, v[44:45], v[54:55] offset0:31 offset1:32
	ds_store_2addr_b64 v80, v[52:53], v[74:75] offset0:33 offset1:34
.LBB68_648:
	s_or_b32 exec_lo, exec_lo, s0
	s_delay_alu instid0(SALU_CYCLE_1)
	s_mov_b32 s0, exec_lo
	s_wait_storecnt_dscnt 0x0
	s_barrier_signal -1
	s_barrier_wait -1
	v_cmpx_lt_i32_e32 30, v84
	s_cbranch_execz .LBB68_650
; %bb.649:
	v_pk_mul_f32 v[78:79], v[76:77], v[46:47] op_sel:[1,1] op_sel_hi:[0,1]
	s_delay_alu instid0(VALU_DEP_1)
	v_pk_fma_f32 v[86:87], v[76:77], v[46:47], v[78:79] op_sel_hi:[1,0,1] neg_lo:[0,0,1] neg_hi:[0,0,1]
	v_pk_fma_f32 v[88:89], v[76:77], v[46:47], v[78:79] op_sel_hi:[1,0,1]
	ds_load_2addr_b64 v[76:79], v80 offset0:31 offset1:32
	v_dual_mov_b32 v46, v86 :: v_dual_mov_b32 v47, v89
	s_wait_dscnt 0x0
	v_pk_mul_f32 v[90:91], v[76:77], v[88:89] op_sel:[0,1]
	s_delay_alu instid0(VALU_DEP_1) | instskip(SKIP_1) | instid1(VALU_DEP_1)
	v_pk_fma_f32 v[92:93], v[76:77], v[86:87], v[90:91] op_sel:[0,0,1] op_sel_hi:[1,1,0] neg_lo:[0,0,1] neg_hi:[0,0,1]
	v_pk_fma_f32 v[76:77], v[76:77], v[86:87], v[90:91] op_sel:[0,0,1] op_sel_hi:[1,0,0]
	v_mov_b32_e32 v93, v77
	v_pk_mul_f32 v[76:77], v[78:79], v[88:89] op_sel:[0,1]
	s_delay_alu instid0(VALU_DEP_1) | instskip(SKIP_1) | instid1(VALU_DEP_1)
	v_pk_fma_f32 v[90:91], v[78:79], v[86:87], v[76:77] op_sel:[0,0,1] op_sel_hi:[1,1,0] neg_lo:[0,0,1] neg_hi:[0,0,1]
	v_pk_fma_f32 v[76:77], v[78:79], v[86:87], v[76:77] op_sel:[0,0,1] op_sel_hi:[1,0,0]
	v_mov_b32_e32 v91, v77
	ds_load_2addr_b64 v[76:79], v80 offset0:33 offset1:34
	v_pk_add_f32 v[44:45], v[44:45], v[92:93] neg_lo:[0,1] neg_hi:[0,1]
	v_pk_add_f32 v[54:55], v[54:55], v[90:91] neg_lo:[0,1] neg_hi:[0,1]
	s_wait_dscnt 0x0
	v_pk_mul_f32 v[90:91], v[76:77], v[88:89] op_sel:[0,1]
	s_delay_alu instid0(VALU_DEP_1) | instskip(SKIP_1) | instid1(VALU_DEP_1)
	v_pk_fma_f32 v[92:93], v[76:77], v[86:87], v[90:91] op_sel:[0,0,1] op_sel_hi:[1,1,0] neg_lo:[0,0,1] neg_hi:[0,0,1]
	v_pk_fma_f32 v[76:77], v[76:77], v[86:87], v[90:91] op_sel:[0,0,1] op_sel_hi:[1,0,0]
	v_dual_mov_b32 v76, v79 :: v_dual_mov_b32 v93, v77
	v_mov_b32_e32 v77, v78
	s_delay_alu instid0(VALU_DEP_2) | instskip(NEXT) | instid1(VALU_DEP_2)
	v_pk_add_f32 v[52:53], v[52:53], v[92:93] neg_lo:[0,1] neg_hi:[0,1]
	v_pk_mul_f32 v[76:77], v[76:77], v[88:89] op_sel:[0,1]
	s_delay_alu instid0(VALU_DEP_1) | instskip(SKIP_1) | instid1(VALU_DEP_1)
	v_pk_fma_f32 v[88:89], v[78:79], v[86:87], v[76:77] neg_lo:[0,0,1] neg_hi:[0,0,1]
	v_pk_fma_f32 v[76:77], v[78:79], v[86:87], v[76:77] op_sel_hi:[1,0,1]
	v_mov_b32_e32 v89, v77
	s_delay_alu instid0(VALU_DEP_1)
	v_pk_add_f32 v[74:75], v[74:75], v[88:89] neg_lo:[0,1] neg_hi:[0,1]
.LBB68_650:
	s_or_b32 exec_lo, exec_lo, s0
	v_lshl_add_u32 v76, v84, 3, v80
	s_barrier_signal -1
	s_barrier_wait -1
	ds_store_b64 v76, v[44:45]
	s_wait_dscnt 0x0
	s_barrier_signal -1
	s_barrier_wait -1
	ds_load_b64 v[76:77], v80 offset:248
	v_mov_b32_e32 v78, 31
	s_cmp_lt_i32 s14, 33
	s_cbranch_scc1 .LBB68_653
; %bb.651:
	v_add3_u32 v79, v81, 0, 0x100
	v_mov_b32_e32 v78, 31
	s_mov_b32 s0, 32
.LBB68_652:                             ; =>This Inner Loop Header: Depth=1
	ds_load_b64 v[86:87], v79
	s_wait_dscnt 0x1
	v_cmp_gt_f32_e32 vcc_lo, 0, v76
	v_cndmask_b32_e64 v88, v76, -v76, vcc_lo
	v_cmp_gt_f32_e32 vcc_lo, 0, v77
	v_cndmask_b32_e64 v90, v77, -v77, vcc_lo
	s_wait_dscnt 0x0
	v_cmp_gt_f32_e32 vcc_lo, 0, v86
	v_cndmask_b32_e64 v89, v86, -v86, vcc_lo
	v_cmp_gt_f32_e32 vcc_lo, 0, v87
	v_cndmask_b32_e64 v91, v87, -v87, vcc_lo
	s_delay_alu instid0(VALU_DEP_1) | instskip(NEXT) | instid1(VALU_DEP_1)
	v_pk_add_f32 v[88:89], v[88:89], v[90:91]
	v_cmp_lt_f32_e32 vcc_lo, v88, v89
	v_dual_cndmask_b32 v76, v76, v86 :: v_dual_add_nc_u32 v79, 8, v79
	v_cndmask_b32_e32 v77, v77, v87, vcc_lo
	v_cndmask_b32_e64 v78, v78, s0, vcc_lo
	s_add_co_i32 s0, s0, 1
	s_delay_alu instid0(SALU_CYCLE_1)
	s_cmp_lg_u32 s14, s0
	s_cbranch_scc1 .LBB68_652
.LBB68_653:
	s_wait_dscnt 0x0
	v_cmp_eq_f32_e32 vcc_lo, 0, v76
	v_cmp_eq_f32_e64 s0, 0, v77
	s_and_b32 s0, vcc_lo, s0
	s_delay_alu instid0(SALU_CYCLE_1) | instskip(NEXT) | instid1(SALU_CYCLE_1)
	s_and_saveexec_b32 s1, s0
	s_xor_b32 s0, exec_lo, s1
; %bb.654:
	v_cmp_ne_u32_e32 vcc_lo, 0, v82
	v_cndmask_b32_e32 v82, 32, v82, vcc_lo
; %bb.655:
	s_and_not1_saveexec_b32 s0, s0
	s_cbranch_execz .LBB68_661
; %bb.656:
	v_cmp_ngt_f32_e64 s1, |v76|, |v77|
	s_and_saveexec_b32 s15, s1
	s_delay_alu instid0(SALU_CYCLE_1)
	s_xor_b32 s1, exec_lo, s15
	s_cbranch_execz .LBB68_658
; %bb.657:
	v_div_scale_f32 v79, null, v77, v77, v76
	v_div_scale_f32 v87, vcc_lo, v76, v77, v76
	s_delay_alu instid0(VALU_DEP_2) | instskip(SKIP_1) | instid1(TRANS32_DEP_1)
	v_rcp_f32_e32 v85, v79
	v_nop
	v_fma_f32 v86, -v79, v85, 1.0
	s_delay_alu instid0(VALU_DEP_1) | instskip(NEXT) | instid1(VALU_DEP_1)
	v_fmac_f32_e32 v85, v86, v85
	v_mul_f32_e32 v86, v87, v85
	s_delay_alu instid0(VALU_DEP_1) | instskip(NEXT) | instid1(VALU_DEP_1)
	v_fma_f32 v88, -v79, v86, v87
	v_fmac_f32_e32 v86, v88, v85
	s_delay_alu instid0(VALU_DEP_1) | instskip(NEXT) | instid1(VALU_DEP_1)
	v_fma_f32 v79, -v79, v86, v87
	v_div_fmas_f32 v79, v79, v85, v86
	s_delay_alu instid0(VALU_DEP_1) | instskip(NEXT) | instid1(VALU_DEP_1)
	v_div_fixup_f32 v79, v79, v77, v76
	v_fmac_f32_e32 v77, v76, v79
	s_delay_alu instid0(VALU_DEP_1) | instskip(SKIP_1) | instid1(VALU_DEP_2)
	v_div_scale_f32 v76, null, v77, v77, 1.0
	v_div_scale_f32 v87, vcc_lo, 1.0, v77, 1.0
	v_rcp_f32_e32 v85, v76
	v_nop
	s_delay_alu instid0(TRANS32_DEP_1) | instskip(NEXT) | instid1(VALU_DEP_1)
	v_fma_f32 v86, -v76, v85, 1.0
	v_fmac_f32_e32 v85, v86, v85
	s_delay_alu instid0(VALU_DEP_1) | instskip(NEXT) | instid1(VALU_DEP_1)
	v_mul_f32_e32 v86, v87, v85
	v_fma_f32 v88, -v76, v86, v87
	s_delay_alu instid0(VALU_DEP_1) | instskip(NEXT) | instid1(VALU_DEP_1)
	v_fmac_f32_e32 v86, v88, v85
	v_fma_f32 v76, -v76, v86, v87
	s_delay_alu instid0(VALU_DEP_1) | instskip(NEXT) | instid1(VALU_DEP_1)
	v_div_fmas_f32 v76, v76, v85, v86
	v_div_fixup_f32 v77, v76, v77, 1.0
	s_delay_alu instid0(VALU_DEP_1)
	v_mul_f32_e32 v76, v79, v77
	v_xor_b32_e32 v77, 0x80000000, v77
.LBB68_658:
	s_and_not1_saveexec_b32 s1, s1
	s_cbranch_execz .LBB68_660
; %bb.659:
	s_delay_alu instid0(VALU_DEP_1) | instskip(SKIP_1) | instid1(VALU_DEP_2)
	v_div_scale_f32 v79, null, v76, v76, v77
	v_div_scale_f32 v87, vcc_lo, v77, v76, v77
	v_rcp_f32_e32 v85, v79
	v_nop
	s_delay_alu instid0(TRANS32_DEP_1) | instskip(NEXT) | instid1(VALU_DEP_1)
	v_fma_f32 v86, -v79, v85, 1.0
	v_fmac_f32_e32 v85, v86, v85
	s_delay_alu instid0(VALU_DEP_1) | instskip(NEXT) | instid1(VALU_DEP_1)
	v_mul_f32_e32 v86, v87, v85
	v_fma_f32 v88, -v79, v86, v87
	s_delay_alu instid0(VALU_DEP_1) | instskip(NEXT) | instid1(VALU_DEP_1)
	v_fmac_f32_e32 v86, v88, v85
	v_fma_f32 v79, -v79, v86, v87
	s_delay_alu instid0(VALU_DEP_1) | instskip(NEXT) | instid1(VALU_DEP_1)
	v_div_fmas_f32 v79, v79, v85, v86
	v_div_fixup_f32 v79, v79, v76, v77
	s_delay_alu instid0(VALU_DEP_1) | instskip(NEXT) | instid1(VALU_DEP_1)
	v_fmac_f32_e32 v76, v77, v79
	v_div_scale_f32 v77, null, v76, v76, 1.0
	s_delay_alu instid0(VALU_DEP_1) | instskip(SKIP_1) | instid1(TRANS32_DEP_1)
	v_rcp_f32_e32 v85, v77
	v_nop
	v_fma_f32 v86, -v77, v85, 1.0
	s_delay_alu instid0(VALU_DEP_1) | instskip(SKIP_1) | instid1(VALU_DEP_1)
	v_fmac_f32_e32 v85, v86, v85
	v_div_scale_f32 v86, vcc_lo, 1.0, v76, 1.0
	v_mul_f32_e32 v87, v86, v85
	s_delay_alu instid0(VALU_DEP_1) | instskip(NEXT) | instid1(VALU_DEP_1)
	v_fma_f32 v88, -v77, v87, v86
	v_fmac_f32_e32 v87, v88, v85
	s_delay_alu instid0(VALU_DEP_1) | instskip(NEXT) | instid1(VALU_DEP_1)
	v_fma_f32 v77, -v77, v87, v86
	v_div_fmas_f32 v77, v77, v85, v87
	s_delay_alu instid0(VALU_DEP_1) | instskip(NEXT) | instid1(VALU_DEP_1)
	v_div_fixup_f32 v76, v77, v76, 1.0
	v_mul_f32_e64 v77, v79, -v76
.LBB68_660:
	s_or_b32 exec_lo, exec_lo, s1
.LBB68_661:
	s_delay_alu instid0(SALU_CYCLE_1) | instskip(NEXT) | instid1(SALU_CYCLE_1)
	s_or_b32 exec_lo, exec_lo, s0
	s_mov_b32 s0, exec_lo
	v_cmpx_ne_u32_e64 v84, v78
	s_xor_b32 s0, exec_lo, s0
	s_cbranch_execz .LBB68_667
; %bb.662:
	s_mov_b32 s1, exec_lo
	v_cmpx_eq_u32_e32 31, v84
	s_cbranch_execz .LBB68_666
; %bb.663:
	v_cmp_ne_u32_e32 vcc_lo, 31, v78
	s_xor_b32 s15, s12, -1
	s_delay_alu instid0(SALU_CYCLE_1) | instskip(NEXT) | instid1(SALU_CYCLE_1)
	s_and_b32 s16, s15, vcc_lo
	s_and_saveexec_b32 s15, s16
	s_cbranch_execz .LBB68_665
; %bb.664:
	v_ashrrev_i32_e32 v79, 31, v78
	s_delay_alu instid0(VALU_DEP_1)
	v_lshl_add_u64 v[84:85], v[78:79], 2, v[4:5]
	s_clause 0x1
	global_load_b32 v79, v[84:85], off
	global_load_b32 v83, v[4:5], off offset:124
	s_wait_loadcnt 0x1
	global_store_b32 v[4:5], v79, off offset:124
	s_wait_loadcnt 0x0
	global_store_b32 v[84:85], v83, off
.LBB68_665:
	s_wait_xcnt 0x0
	s_or_b32 exec_lo, exec_lo, s15
	v_dual_mov_b32 v84, v78 :: v_dual_mov_b32 v83, v78
.LBB68_666:
	s_or_b32 exec_lo, exec_lo, s1
.LBB68_667:
	s_and_not1_saveexec_b32 s0, s0
	s_cbranch_execz .LBB68_669
; %bb.668:
	v_dual_mov_b32 v78, v54 :: v_dual_mov_b32 v79, v55
	v_dual_mov_b32 v86, v52 :: v_dual_mov_b32 v87, v53
	v_mov_b32_e32 v84, 31
	ds_store_2addr_b64 v80, v[78:79], v[86:87] offset0:32 offset1:33
	ds_store_b64 v80, v[74:75] offset:272
.LBB68_669:
	s_or_b32 exec_lo, exec_lo, s0
	s_delay_alu instid0(SALU_CYCLE_1)
	s_mov_b32 s0, exec_lo
	s_wait_storecnt_dscnt 0x0
	s_barrier_signal -1
	s_barrier_wait -1
	v_cmpx_lt_i32_e32 31, v84
	s_cbranch_execz .LBB68_671
; %bb.670:
	v_pk_mul_f32 v[78:79], v[76:77], v[44:45] op_sel:[1,1] op_sel_hi:[0,1]
	s_delay_alu instid0(VALU_DEP_1)
	v_pk_fma_f32 v[86:87], v[76:77], v[44:45], v[78:79] op_sel_hi:[1,0,1] neg_lo:[0,0,1] neg_hi:[0,0,1]
	v_pk_fma_f32 v[88:89], v[76:77], v[44:45], v[78:79] op_sel_hi:[1,0,1]
	ds_load_2addr_b64 v[76:79], v80 offset0:32 offset1:33
	v_dual_mov_b32 v44, v86 :: v_dual_mov_b32 v45, v89
	s_wait_dscnt 0x0
	v_pk_mul_f32 v[90:91], v[76:77], v[88:89] op_sel:[0,1]
	s_delay_alu instid0(VALU_DEP_1) | instskip(SKIP_1) | instid1(VALU_DEP_1)
	v_pk_fma_f32 v[92:93], v[76:77], v[86:87], v[90:91] op_sel:[0,0,1] op_sel_hi:[1,1,0] neg_lo:[0,0,1] neg_hi:[0,0,1]
	v_pk_fma_f32 v[76:77], v[76:77], v[86:87], v[90:91] op_sel:[0,0,1] op_sel_hi:[1,0,0]
	v_mov_b32_e32 v93, v77
	v_pk_mul_f32 v[76:77], v[78:79], v[88:89] op_sel:[0,1]
	s_delay_alu instid0(VALU_DEP_1) | instskip(SKIP_1) | instid1(VALU_DEP_1)
	v_pk_fma_f32 v[90:91], v[78:79], v[86:87], v[76:77] op_sel:[0,0,1] op_sel_hi:[1,1,0] neg_lo:[0,0,1] neg_hi:[0,0,1]
	v_pk_fma_f32 v[76:77], v[78:79], v[86:87], v[76:77] op_sel:[0,0,1] op_sel_hi:[1,0,0]
	v_mov_b32_e32 v91, v77
	ds_load_b64 v[76:77], v80 offset:272
	v_pk_add_f32 v[54:55], v[54:55], v[92:93] neg_lo:[0,1] neg_hi:[0,1]
	v_pk_add_f32 v[52:53], v[52:53], v[90:91] neg_lo:[0,1] neg_hi:[0,1]
	s_wait_dscnt 0x0
	v_pk_mul_f32 v[78:79], v[76:77], v[88:89] op_sel:[1,1] op_sel_hi:[0,1]
	s_delay_alu instid0(VALU_DEP_1) | instskip(SKIP_1) | instid1(VALU_DEP_1)
	v_pk_fma_f32 v[88:89], v[76:77], v[86:87], v[78:79] neg_lo:[0,0,1] neg_hi:[0,0,1]
	v_pk_fma_f32 v[76:77], v[76:77], v[86:87], v[78:79] op_sel_hi:[1,0,1]
	v_mov_b32_e32 v89, v77
	s_delay_alu instid0(VALU_DEP_1)
	v_pk_add_f32 v[74:75], v[74:75], v[88:89] neg_lo:[0,1] neg_hi:[0,1]
.LBB68_671:
	s_or_b32 exec_lo, exec_lo, s0
	v_lshl_add_u32 v76, v84, 3, v80
	s_barrier_signal -1
	s_barrier_wait -1
	ds_store_b64 v76, v[54:55]
	s_wait_dscnt 0x0
	s_barrier_signal -1
	s_barrier_wait -1
	ds_load_b64 v[76:77], v80 offset:256
	v_mov_b32_e32 v78, 32
	s_cmp_lt_i32 s14, 34
	s_cbranch_scc1 .LBB68_674
; %bb.672:
	v_add3_u32 v79, v81, 0, 0x108
	v_mov_b32_e32 v78, 32
	s_mov_b32 s0, 33
.LBB68_673:                             ; =>This Inner Loop Header: Depth=1
	ds_load_b64 v[86:87], v79
	s_wait_dscnt 0x1
	v_cmp_gt_f32_e32 vcc_lo, 0, v76
	v_cndmask_b32_e64 v88, v76, -v76, vcc_lo
	v_cmp_gt_f32_e32 vcc_lo, 0, v77
	v_cndmask_b32_e64 v90, v77, -v77, vcc_lo
	s_wait_dscnt 0x0
	v_cmp_gt_f32_e32 vcc_lo, 0, v86
	v_cndmask_b32_e64 v89, v86, -v86, vcc_lo
	v_cmp_gt_f32_e32 vcc_lo, 0, v87
	v_cndmask_b32_e64 v91, v87, -v87, vcc_lo
	s_delay_alu instid0(VALU_DEP_1) | instskip(NEXT) | instid1(VALU_DEP_1)
	v_pk_add_f32 v[88:89], v[88:89], v[90:91]
	v_cmp_lt_f32_e32 vcc_lo, v88, v89
	v_dual_cndmask_b32 v76, v76, v86 :: v_dual_add_nc_u32 v79, 8, v79
	v_cndmask_b32_e32 v77, v77, v87, vcc_lo
	v_cndmask_b32_e64 v78, v78, s0, vcc_lo
	s_add_co_i32 s0, s0, 1
	s_delay_alu instid0(SALU_CYCLE_1)
	s_cmp_lg_u32 s14, s0
	s_cbranch_scc1 .LBB68_673
.LBB68_674:
	s_wait_dscnt 0x0
	v_cmp_eq_f32_e32 vcc_lo, 0, v76
	v_cmp_eq_f32_e64 s0, 0, v77
	s_and_b32 s0, vcc_lo, s0
	s_delay_alu instid0(SALU_CYCLE_1) | instskip(NEXT) | instid1(SALU_CYCLE_1)
	s_and_saveexec_b32 s1, s0
	s_xor_b32 s0, exec_lo, s1
; %bb.675:
	v_cmp_ne_u32_e32 vcc_lo, 0, v82
	v_cndmask_b32_e32 v82, 33, v82, vcc_lo
; %bb.676:
	s_and_not1_saveexec_b32 s0, s0
	s_cbranch_execz .LBB68_682
; %bb.677:
	v_cmp_ngt_f32_e64 s1, |v76|, |v77|
	s_and_saveexec_b32 s15, s1
	s_delay_alu instid0(SALU_CYCLE_1)
	s_xor_b32 s1, exec_lo, s15
	s_cbranch_execz .LBB68_679
; %bb.678:
	v_div_scale_f32 v79, null, v77, v77, v76
	v_div_scale_f32 v87, vcc_lo, v76, v77, v76
	s_delay_alu instid0(VALU_DEP_2) | instskip(SKIP_1) | instid1(TRANS32_DEP_1)
	v_rcp_f32_e32 v85, v79
	v_nop
	v_fma_f32 v86, -v79, v85, 1.0
	s_delay_alu instid0(VALU_DEP_1) | instskip(NEXT) | instid1(VALU_DEP_1)
	v_fmac_f32_e32 v85, v86, v85
	v_mul_f32_e32 v86, v87, v85
	s_delay_alu instid0(VALU_DEP_1) | instskip(NEXT) | instid1(VALU_DEP_1)
	v_fma_f32 v88, -v79, v86, v87
	v_fmac_f32_e32 v86, v88, v85
	s_delay_alu instid0(VALU_DEP_1) | instskip(NEXT) | instid1(VALU_DEP_1)
	v_fma_f32 v79, -v79, v86, v87
	v_div_fmas_f32 v79, v79, v85, v86
	s_delay_alu instid0(VALU_DEP_1) | instskip(NEXT) | instid1(VALU_DEP_1)
	v_div_fixup_f32 v79, v79, v77, v76
	v_fmac_f32_e32 v77, v76, v79
	s_delay_alu instid0(VALU_DEP_1) | instskip(SKIP_1) | instid1(VALU_DEP_2)
	v_div_scale_f32 v76, null, v77, v77, 1.0
	v_div_scale_f32 v87, vcc_lo, 1.0, v77, 1.0
	v_rcp_f32_e32 v85, v76
	v_nop
	s_delay_alu instid0(TRANS32_DEP_1) | instskip(NEXT) | instid1(VALU_DEP_1)
	v_fma_f32 v86, -v76, v85, 1.0
	v_fmac_f32_e32 v85, v86, v85
	s_delay_alu instid0(VALU_DEP_1) | instskip(NEXT) | instid1(VALU_DEP_1)
	v_mul_f32_e32 v86, v87, v85
	v_fma_f32 v88, -v76, v86, v87
	s_delay_alu instid0(VALU_DEP_1) | instskip(NEXT) | instid1(VALU_DEP_1)
	v_fmac_f32_e32 v86, v88, v85
	v_fma_f32 v76, -v76, v86, v87
	s_delay_alu instid0(VALU_DEP_1) | instskip(NEXT) | instid1(VALU_DEP_1)
	v_div_fmas_f32 v76, v76, v85, v86
	v_div_fixup_f32 v77, v76, v77, 1.0
	s_delay_alu instid0(VALU_DEP_1)
	v_mul_f32_e32 v76, v79, v77
	v_xor_b32_e32 v77, 0x80000000, v77
.LBB68_679:
	s_and_not1_saveexec_b32 s1, s1
	s_cbranch_execz .LBB68_681
; %bb.680:
	s_delay_alu instid0(VALU_DEP_1) | instskip(SKIP_1) | instid1(VALU_DEP_2)
	v_div_scale_f32 v79, null, v76, v76, v77
	v_div_scale_f32 v87, vcc_lo, v77, v76, v77
	v_rcp_f32_e32 v85, v79
	v_nop
	s_delay_alu instid0(TRANS32_DEP_1) | instskip(NEXT) | instid1(VALU_DEP_1)
	v_fma_f32 v86, -v79, v85, 1.0
	v_fmac_f32_e32 v85, v86, v85
	s_delay_alu instid0(VALU_DEP_1) | instskip(NEXT) | instid1(VALU_DEP_1)
	v_mul_f32_e32 v86, v87, v85
	v_fma_f32 v88, -v79, v86, v87
	s_delay_alu instid0(VALU_DEP_1) | instskip(NEXT) | instid1(VALU_DEP_1)
	v_fmac_f32_e32 v86, v88, v85
	v_fma_f32 v79, -v79, v86, v87
	s_delay_alu instid0(VALU_DEP_1) | instskip(NEXT) | instid1(VALU_DEP_1)
	v_div_fmas_f32 v79, v79, v85, v86
	v_div_fixup_f32 v79, v79, v76, v77
	s_delay_alu instid0(VALU_DEP_1) | instskip(NEXT) | instid1(VALU_DEP_1)
	v_fmac_f32_e32 v76, v77, v79
	v_div_scale_f32 v77, null, v76, v76, 1.0
	s_delay_alu instid0(VALU_DEP_1) | instskip(SKIP_1) | instid1(TRANS32_DEP_1)
	v_rcp_f32_e32 v85, v77
	v_nop
	v_fma_f32 v86, -v77, v85, 1.0
	s_delay_alu instid0(VALU_DEP_1) | instskip(SKIP_1) | instid1(VALU_DEP_1)
	v_fmac_f32_e32 v85, v86, v85
	v_div_scale_f32 v86, vcc_lo, 1.0, v76, 1.0
	v_mul_f32_e32 v87, v86, v85
	s_delay_alu instid0(VALU_DEP_1) | instskip(NEXT) | instid1(VALU_DEP_1)
	v_fma_f32 v88, -v77, v87, v86
	v_fmac_f32_e32 v87, v88, v85
	s_delay_alu instid0(VALU_DEP_1) | instskip(NEXT) | instid1(VALU_DEP_1)
	v_fma_f32 v77, -v77, v87, v86
	v_div_fmas_f32 v77, v77, v85, v87
	s_delay_alu instid0(VALU_DEP_1) | instskip(NEXT) | instid1(VALU_DEP_1)
	v_div_fixup_f32 v76, v77, v76, 1.0
	v_mul_f32_e64 v77, v79, -v76
.LBB68_681:
	s_or_b32 exec_lo, exec_lo, s1
.LBB68_682:
	s_delay_alu instid0(SALU_CYCLE_1) | instskip(NEXT) | instid1(SALU_CYCLE_1)
	s_or_b32 exec_lo, exec_lo, s0
	s_mov_b32 s0, exec_lo
	v_cmpx_ne_u32_e64 v84, v78
	s_xor_b32 s0, exec_lo, s0
	s_cbranch_execz .LBB68_688
; %bb.683:
	s_mov_b32 s1, exec_lo
	v_cmpx_eq_u32_e32 32, v84
	s_cbranch_execz .LBB68_687
; %bb.684:
	v_cmp_ne_u32_e32 vcc_lo, 32, v78
	s_xor_b32 s15, s12, -1
	s_delay_alu instid0(SALU_CYCLE_1) | instskip(NEXT) | instid1(SALU_CYCLE_1)
	s_and_b32 s16, s15, vcc_lo
	s_and_saveexec_b32 s15, s16
	s_cbranch_execz .LBB68_686
; %bb.685:
	v_ashrrev_i32_e32 v79, 31, v78
	s_delay_alu instid0(VALU_DEP_1)
	v_lshl_add_u64 v[84:85], v[78:79], 2, v[4:5]
	s_clause 0x1
	global_load_b32 v79, v[84:85], off
	global_load_b32 v83, v[4:5], off offset:128
	s_wait_loadcnt 0x1
	global_store_b32 v[4:5], v79, off offset:128
	s_wait_loadcnt 0x0
	global_store_b32 v[84:85], v83, off
.LBB68_686:
	s_wait_xcnt 0x0
	s_or_b32 exec_lo, exec_lo, s15
	v_dual_mov_b32 v84, v78 :: v_dual_mov_b32 v83, v78
.LBB68_687:
	s_or_b32 exec_lo, exec_lo, s1
.LBB68_688:
	s_and_not1_saveexec_b32 s0, s0
; %bb.689:
	v_mov_b32_e32 v84, 32
	ds_store_2addr_b64 v80, v[52:53], v[74:75] offset0:33 offset1:34
; %bb.690:
	s_or_b32 exec_lo, exec_lo, s0
	s_delay_alu instid0(SALU_CYCLE_1)
	s_mov_b32 s0, exec_lo
	s_wait_storecnt_dscnt 0x0
	s_barrier_signal -1
	s_barrier_wait -1
	v_cmpx_lt_i32_e32 32, v84
	s_cbranch_execz .LBB68_692
; %bb.691:
	ds_load_2addr_b64 v[86:89], v80 offset0:33 offset1:34
	v_pk_mul_f32 v[78:79], v[76:77], v[54:55] op_sel:[1,1] op_sel_hi:[0,1]
	s_delay_alu instid0(VALU_DEP_1) | instskip(SKIP_3) | instid1(VALU_DEP_3)
	v_pk_fma_f32 v[90:91], v[76:77], v[54:55], v[78:79] op_sel_hi:[1,0,1]
	v_pk_fma_f32 v[54:55], v[76:77], v[54:55], v[78:79] op_sel_hi:[1,0,1] neg_lo:[0,0,1] neg_hi:[0,0,1]
	s_wait_dscnt 0x0
	v_dual_mov_b32 v92, v89 :: v_dual_mov_b32 v93, v88
	v_pk_mul_f32 v[76:77], v[86:87], v[90:91] op_sel:[0,1]
	s_delay_alu instid0(VALU_DEP_2) | instskip(NEXT) | instid1(VALU_DEP_2)
	v_pk_mul_f32 v[78:79], v[92:93], v[90:91] op_sel:[0,1]
	v_pk_fma_f32 v[92:93], v[86:87], v[54:55], v[76:77] op_sel:[0,0,1] op_sel_hi:[1,0,0]
	v_pk_fma_f32 v[76:77], v[86:87], v[54:55], v[76:77] op_sel:[0,0,1] op_sel_hi:[1,1,0] neg_lo:[0,0,1] neg_hi:[0,0,1]
	s_delay_alu instid0(VALU_DEP_3) | instskip(SKIP_1) | instid1(VALU_DEP_4)
	v_pk_fma_f32 v[94:95], v[88:89], v[54:55], v[78:79] op_sel_hi:[1,0,1]
	v_pk_fma_f32 v[78:79], v[88:89], v[54:55], v[78:79] neg_lo:[0,0,1] neg_hi:[0,0,1]
	v_dual_mov_b32 v77, v93 :: v_dual_mov_b32 v55, v91
	s_delay_alu instid0(VALU_DEP_3) | instskip(NEXT) | instid1(VALU_DEP_2)
	v_mov_b32_e32 v79, v95
	v_pk_add_f32 v[52:53], v[52:53], v[76:77] neg_lo:[0,1] neg_hi:[0,1]
	s_delay_alu instid0(VALU_DEP_2)
	v_pk_add_f32 v[74:75], v[74:75], v[78:79] neg_lo:[0,1] neg_hi:[0,1]
.LBB68_692:
	s_or_b32 exec_lo, exec_lo, s0
	v_lshl_add_u32 v76, v84, 3, v80
	s_barrier_signal -1
	s_barrier_wait -1
	ds_store_b64 v76, v[52:53]
	s_wait_dscnt 0x0
	s_barrier_signal -1
	s_barrier_wait -1
	ds_load_b64 v[76:77], v80 offset:264
	v_mov_b32_e32 v78, 33
	s_cmp_lt_i32 s14, 35
	s_cbranch_scc1 .LBB68_695
; %bb.693:
	v_add3_u32 v79, v81, 0, 0x110
	v_mov_b32_e32 v78, 33
	s_mov_b32 s0, 34
.LBB68_694:                             ; =>This Inner Loop Header: Depth=1
	ds_load_b64 v[86:87], v79
	s_wait_dscnt 0x1
	v_cmp_gt_f32_e32 vcc_lo, 0, v76
	v_cndmask_b32_e64 v88, v76, -v76, vcc_lo
	v_cmp_gt_f32_e32 vcc_lo, 0, v77
	v_cndmask_b32_e64 v90, v77, -v77, vcc_lo
	s_wait_dscnt 0x0
	v_cmp_gt_f32_e32 vcc_lo, 0, v86
	v_cndmask_b32_e64 v89, v86, -v86, vcc_lo
	v_cmp_gt_f32_e32 vcc_lo, 0, v87
	v_cndmask_b32_e64 v91, v87, -v87, vcc_lo
	s_delay_alu instid0(VALU_DEP_1) | instskip(NEXT) | instid1(VALU_DEP_1)
	v_pk_add_f32 v[88:89], v[88:89], v[90:91]
	v_cmp_lt_f32_e32 vcc_lo, v88, v89
	v_dual_cndmask_b32 v76, v76, v86 :: v_dual_add_nc_u32 v79, 8, v79
	v_cndmask_b32_e32 v77, v77, v87, vcc_lo
	v_cndmask_b32_e64 v78, v78, s0, vcc_lo
	s_add_co_i32 s0, s0, 1
	s_delay_alu instid0(SALU_CYCLE_1)
	s_cmp_lg_u32 s14, s0
	s_cbranch_scc1 .LBB68_694
.LBB68_695:
	s_wait_dscnt 0x0
	v_cmp_eq_f32_e32 vcc_lo, 0, v76
	v_cmp_eq_f32_e64 s0, 0, v77
	s_and_b32 s0, vcc_lo, s0
	s_delay_alu instid0(SALU_CYCLE_1) | instskip(NEXT) | instid1(SALU_CYCLE_1)
	s_and_saveexec_b32 s1, s0
	s_xor_b32 s0, exec_lo, s1
; %bb.696:
	v_cmp_ne_u32_e32 vcc_lo, 0, v82
	v_cndmask_b32_e32 v82, 34, v82, vcc_lo
; %bb.697:
	s_and_not1_saveexec_b32 s0, s0
	s_cbranch_execz .LBB68_703
; %bb.698:
	v_cmp_ngt_f32_e64 s1, |v76|, |v77|
	s_and_saveexec_b32 s15, s1
	s_delay_alu instid0(SALU_CYCLE_1)
	s_xor_b32 s1, exec_lo, s15
	s_cbranch_execz .LBB68_700
; %bb.699:
	v_div_scale_f32 v79, null, v77, v77, v76
	v_div_scale_f32 v87, vcc_lo, v76, v77, v76
	s_delay_alu instid0(VALU_DEP_2) | instskip(SKIP_1) | instid1(TRANS32_DEP_1)
	v_rcp_f32_e32 v85, v79
	v_nop
	v_fma_f32 v86, -v79, v85, 1.0
	s_delay_alu instid0(VALU_DEP_1) | instskip(NEXT) | instid1(VALU_DEP_1)
	v_fmac_f32_e32 v85, v86, v85
	v_mul_f32_e32 v86, v87, v85
	s_delay_alu instid0(VALU_DEP_1) | instskip(NEXT) | instid1(VALU_DEP_1)
	v_fma_f32 v88, -v79, v86, v87
	v_fmac_f32_e32 v86, v88, v85
	s_delay_alu instid0(VALU_DEP_1) | instskip(NEXT) | instid1(VALU_DEP_1)
	v_fma_f32 v79, -v79, v86, v87
	v_div_fmas_f32 v79, v79, v85, v86
	s_delay_alu instid0(VALU_DEP_1) | instskip(NEXT) | instid1(VALU_DEP_1)
	v_div_fixup_f32 v79, v79, v77, v76
	v_fmac_f32_e32 v77, v76, v79
	s_delay_alu instid0(VALU_DEP_1) | instskip(SKIP_1) | instid1(VALU_DEP_2)
	v_div_scale_f32 v76, null, v77, v77, 1.0
	v_div_scale_f32 v87, vcc_lo, 1.0, v77, 1.0
	v_rcp_f32_e32 v85, v76
	v_nop
	s_delay_alu instid0(TRANS32_DEP_1) | instskip(NEXT) | instid1(VALU_DEP_1)
	v_fma_f32 v86, -v76, v85, 1.0
	v_fmac_f32_e32 v85, v86, v85
	s_delay_alu instid0(VALU_DEP_1) | instskip(NEXT) | instid1(VALU_DEP_1)
	v_mul_f32_e32 v86, v87, v85
	v_fma_f32 v88, -v76, v86, v87
	s_delay_alu instid0(VALU_DEP_1) | instskip(NEXT) | instid1(VALU_DEP_1)
	v_fmac_f32_e32 v86, v88, v85
	v_fma_f32 v76, -v76, v86, v87
	s_delay_alu instid0(VALU_DEP_1) | instskip(NEXT) | instid1(VALU_DEP_1)
	v_div_fmas_f32 v76, v76, v85, v86
	v_div_fixup_f32 v77, v76, v77, 1.0
	s_delay_alu instid0(VALU_DEP_1)
	v_mul_f32_e32 v76, v79, v77
	v_xor_b32_e32 v77, 0x80000000, v77
.LBB68_700:
	s_and_not1_saveexec_b32 s1, s1
	s_cbranch_execz .LBB68_702
; %bb.701:
	s_delay_alu instid0(VALU_DEP_1) | instskip(SKIP_1) | instid1(VALU_DEP_2)
	v_div_scale_f32 v79, null, v76, v76, v77
	v_div_scale_f32 v87, vcc_lo, v77, v76, v77
	v_rcp_f32_e32 v85, v79
	v_nop
	s_delay_alu instid0(TRANS32_DEP_1) | instskip(NEXT) | instid1(VALU_DEP_1)
	v_fma_f32 v86, -v79, v85, 1.0
	v_fmac_f32_e32 v85, v86, v85
	s_delay_alu instid0(VALU_DEP_1) | instskip(NEXT) | instid1(VALU_DEP_1)
	v_mul_f32_e32 v86, v87, v85
	v_fma_f32 v88, -v79, v86, v87
	s_delay_alu instid0(VALU_DEP_1) | instskip(NEXT) | instid1(VALU_DEP_1)
	v_fmac_f32_e32 v86, v88, v85
	v_fma_f32 v79, -v79, v86, v87
	s_delay_alu instid0(VALU_DEP_1) | instskip(NEXT) | instid1(VALU_DEP_1)
	v_div_fmas_f32 v79, v79, v85, v86
	v_div_fixup_f32 v79, v79, v76, v77
	s_delay_alu instid0(VALU_DEP_1) | instskip(NEXT) | instid1(VALU_DEP_1)
	v_fmac_f32_e32 v76, v77, v79
	v_div_scale_f32 v77, null, v76, v76, 1.0
	s_delay_alu instid0(VALU_DEP_1) | instskip(SKIP_1) | instid1(TRANS32_DEP_1)
	v_rcp_f32_e32 v85, v77
	v_nop
	v_fma_f32 v86, -v77, v85, 1.0
	s_delay_alu instid0(VALU_DEP_1) | instskip(SKIP_1) | instid1(VALU_DEP_1)
	v_fmac_f32_e32 v85, v86, v85
	v_div_scale_f32 v86, vcc_lo, 1.0, v76, 1.0
	v_mul_f32_e32 v87, v86, v85
	s_delay_alu instid0(VALU_DEP_1) | instskip(NEXT) | instid1(VALU_DEP_1)
	v_fma_f32 v88, -v77, v87, v86
	v_fmac_f32_e32 v87, v88, v85
	s_delay_alu instid0(VALU_DEP_1) | instskip(NEXT) | instid1(VALU_DEP_1)
	v_fma_f32 v77, -v77, v87, v86
	v_div_fmas_f32 v77, v77, v85, v87
	s_delay_alu instid0(VALU_DEP_1) | instskip(NEXT) | instid1(VALU_DEP_1)
	v_div_fixup_f32 v76, v77, v76, 1.0
	v_mul_f32_e64 v77, v79, -v76
.LBB68_702:
	s_or_b32 exec_lo, exec_lo, s1
.LBB68_703:
	s_delay_alu instid0(SALU_CYCLE_1) | instskip(NEXT) | instid1(SALU_CYCLE_1)
	s_or_b32 exec_lo, exec_lo, s0
	s_mov_b32 s0, exec_lo
	v_cmpx_ne_u32_e64 v84, v78
	s_xor_b32 s0, exec_lo, s0
	s_cbranch_execz .LBB68_709
; %bb.704:
	s_mov_b32 s1, exec_lo
	v_cmpx_eq_u32_e32 33, v84
	s_cbranch_execz .LBB68_708
; %bb.705:
	v_cmp_ne_u32_e32 vcc_lo, 33, v78
	s_xor_b32 s15, s12, -1
	s_delay_alu instid0(SALU_CYCLE_1) | instskip(NEXT) | instid1(SALU_CYCLE_1)
	s_and_b32 s16, s15, vcc_lo
	s_and_saveexec_b32 s15, s16
	s_cbranch_execz .LBB68_707
; %bb.706:
	v_ashrrev_i32_e32 v79, 31, v78
	s_delay_alu instid0(VALU_DEP_1)
	v_lshl_add_u64 v[84:85], v[78:79], 2, v[4:5]
	s_clause 0x1
	global_load_b32 v79, v[84:85], off
	global_load_b32 v83, v[4:5], off offset:132
	s_wait_loadcnt 0x1
	global_store_b32 v[4:5], v79, off offset:132
	s_wait_loadcnt 0x0
	global_store_b32 v[84:85], v83, off
.LBB68_707:
	s_wait_xcnt 0x0
	s_or_b32 exec_lo, exec_lo, s15
	v_dual_mov_b32 v84, v78 :: v_dual_mov_b32 v83, v78
.LBB68_708:
	s_or_b32 exec_lo, exec_lo, s1
.LBB68_709:
	s_and_not1_saveexec_b32 s0, s0
; %bb.710:
	v_mov_b32_e32 v84, 33
	ds_store_b64 v80, v[74:75] offset:272
; %bb.711:
	s_or_b32 exec_lo, exec_lo, s0
	s_delay_alu instid0(SALU_CYCLE_1)
	s_mov_b32 s0, exec_lo
	s_wait_storecnt_dscnt 0x0
	s_barrier_signal -1
	s_barrier_wait -1
	v_cmpx_lt_i32_e32 33, v84
	s_cbranch_execz .LBB68_713
; %bb.712:
	ds_load_b64 v[78:79], v80 offset:272
	v_pk_mul_f32 v[86:87], v[76:77], v[52:53] op_sel:[1,1] op_sel_hi:[0,1]
	s_delay_alu instid0(VALU_DEP_1) | instskip(SKIP_2) | instid1(VALU_DEP_2)
	v_pk_fma_f32 v[88:89], v[76:77], v[52:53], v[86:87] op_sel_hi:[1,0,1]
	v_pk_fma_f32 v[52:53], v[76:77], v[52:53], v[86:87] op_sel_hi:[1,0,1] neg_lo:[0,0,1] neg_hi:[0,0,1]
	s_wait_dscnt 0x0
	v_pk_mul_f32 v[76:77], v[78:79], v[88:89] op_sel:[1,1] op_sel_hi:[0,1]
	s_delay_alu instid0(VALU_DEP_1) | instskip(SKIP_1) | instid1(VALU_DEP_2)
	v_pk_fma_f32 v[86:87], v[78:79], v[52:53], v[76:77] op_sel_hi:[1,0,1]
	v_pk_fma_f32 v[76:77], v[78:79], v[52:53], v[76:77] neg_lo:[0,0,1] neg_hi:[0,0,1]
	v_dual_mov_b32 v53, v89 :: v_dual_mov_b32 v77, v87
	s_delay_alu instid0(VALU_DEP_1)
	v_pk_add_f32 v[74:75], v[74:75], v[76:77] neg_lo:[0,1] neg_hi:[0,1]
.LBB68_713:
	s_or_b32 exec_lo, exec_lo, s0
	v_lshl_add_u32 v76, v84, 3, v80
	s_barrier_signal -1
	s_barrier_wait -1
	ds_store_b64 v76, v[74:75]
	s_wait_dscnt 0x0
	s_barrier_signal -1
	s_barrier_wait -1
	ds_load_b64 v[76:77], v80 offset:272
	v_mov_b32_e32 v78, 34
	s_cmp_lt_i32 s14, 36
	s_cbranch_scc1 .LBB68_716
; %bb.714:
	v_add3_u32 v79, v81, 0, 0x118
	v_mov_b32_e32 v78, 34
	s_mov_b32 s0, 35
.LBB68_715:                             ; =>This Inner Loop Header: Depth=1
	ds_load_b64 v[80:81], v79
	s_wait_dscnt 0x1
	v_cmp_gt_f32_e32 vcc_lo, 0, v76
	v_cndmask_b32_e64 v86, v76, -v76, vcc_lo
	v_cmp_gt_f32_e32 vcc_lo, 0, v77
	v_cndmask_b32_e64 v88, v77, -v77, vcc_lo
	s_wait_dscnt 0x0
	v_cmp_gt_f32_e32 vcc_lo, 0, v80
	v_cndmask_b32_e64 v87, v80, -v80, vcc_lo
	v_cmp_gt_f32_e32 vcc_lo, 0, v81
	v_cndmask_b32_e64 v89, v81, -v81, vcc_lo
	s_delay_alu instid0(VALU_DEP_1) | instskip(NEXT) | instid1(VALU_DEP_1)
	v_pk_add_f32 v[86:87], v[86:87], v[88:89]
	v_cmp_lt_f32_e32 vcc_lo, v86, v87
	v_dual_add_nc_u32 v79, 8, v79 :: v_dual_cndmask_b32 v77, v77, v81, vcc_lo
	v_cndmask_b32_e32 v76, v76, v80, vcc_lo
	v_cndmask_b32_e64 v78, v78, s0, vcc_lo
	s_add_co_i32 s0, s0, 1
	s_delay_alu instid0(SALU_CYCLE_1)
	s_cmp_lg_u32 s14, s0
	s_cbranch_scc1 .LBB68_715
.LBB68_716:
	s_wait_dscnt 0x0
	v_cmp_eq_f32_e32 vcc_lo, 0, v76
	v_cmp_eq_f32_e64 s0, 0, v77
	s_and_b32 s0, vcc_lo, s0
	s_delay_alu instid0(SALU_CYCLE_1) | instskip(NEXT) | instid1(SALU_CYCLE_1)
	s_and_saveexec_b32 s1, s0
	s_xor_b32 s0, exec_lo, s1
; %bb.717:
	v_cmp_ne_u32_e32 vcc_lo, 0, v82
	v_cndmask_b32_e32 v82, 35, v82, vcc_lo
; %bb.718:
	s_and_not1_saveexec_b32 s0, s0
	s_cbranch_execz .LBB68_724
; %bb.719:
	v_cmp_ngt_f32_e64 s1, |v76|, |v77|
	s_and_saveexec_b32 s14, s1
	s_delay_alu instid0(SALU_CYCLE_1)
	s_xor_b32 s1, exec_lo, s14
	s_cbranch_execz .LBB68_721
; %bb.720:
	v_div_scale_f32 v79, null, v77, v77, v76
	v_div_scale_f32 v85, vcc_lo, v76, v77, v76
	s_delay_alu instid0(VALU_DEP_2) | instskip(SKIP_1) | instid1(TRANS32_DEP_1)
	v_rcp_f32_e32 v80, v79
	v_nop
	v_fma_f32 v81, -v79, v80, 1.0
	s_delay_alu instid0(VALU_DEP_1) | instskip(NEXT) | instid1(VALU_DEP_1)
	v_fmac_f32_e32 v80, v81, v80
	v_mul_f32_e32 v81, v85, v80
	s_delay_alu instid0(VALU_DEP_1) | instskip(NEXT) | instid1(VALU_DEP_1)
	v_fma_f32 v86, -v79, v81, v85
	v_fmac_f32_e32 v81, v86, v80
	s_delay_alu instid0(VALU_DEP_1) | instskip(NEXT) | instid1(VALU_DEP_1)
	v_fma_f32 v79, -v79, v81, v85
	v_div_fmas_f32 v79, v79, v80, v81
	s_delay_alu instid0(VALU_DEP_1) | instskip(NEXT) | instid1(VALU_DEP_1)
	v_div_fixup_f32 v79, v79, v77, v76
	v_fmac_f32_e32 v77, v76, v79
	s_delay_alu instid0(VALU_DEP_1) | instskip(SKIP_1) | instid1(VALU_DEP_2)
	v_div_scale_f32 v76, null, v77, v77, 1.0
	v_div_scale_f32 v85, vcc_lo, 1.0, v77, 1.0
	v_rcp_f32_e32 v80, v76
	v_nop
	s_delay_alu instid0(TRANS32_DEP_1) | instskip(NEXT) | instid1(VALU_DEP_1)
	v_fma_f32 v81, -v76, v80, 1.0
	v_fmac_f32_e32 v80, v81, v80
	s_delay_alu instid0(VALU_DEP_1) | instskip(NEXT) | instid1(VALU_DEP_1)
	v_mul_f32_e32 v81, v85, v80
	v_fma_f32 v86, -v76, v81, v85
	s_delay_alu instid0(VALU_DEP_1) | instskip(NEXT) | instid1(VALU_DEP_1)
	v_fmac_f32_e32 v81, v86, v80
	v_fma_f32 v76, -v76, v81, v85
	s_delay_alu instid0(VALU_DEP_1) | instskip(NEXT) | instid1(VALU_DEP_1)
	v_div_fmas_f32 v76, v76, v80, v81
	v_div_fixup_f32 v77, v76, v77, 1.0
	s_delay_alu instid0(VALU_DEP_1)
	v_mul_f32_e32 v76, v79, v77
	v_xor_b32_e32 v77, 0x80000000, v77
.LBB68_721:
	s_and_not1_saveexec_b32 s1, s1
	s_cbranch_execz .LBB68_723
; %bb.722:
	s_delay_alu instid0(VALU_DEP_1) | instskip(SKIP_1) | instid1(VALU_DEP_2)
	v_div_scale_f32 v79, null, v76, v76, v77
	v_div_scale_f32 v85, vcc_lo, v77, v76, v77
	v_rcp_f32_e32 v80, v79
	v_nop
	s_delay_alu instid0(TRANS32_DEP_1) | instskip(NEXT) | instid1(VALU_DEP_1)
	v_fma_f32 v81, -v79, v80, 1.0
	v_fmac_f32_e32 v80, v81, v80
	s_delay_alu instid0(VALU_DEP_1) | instskip(NEXT) | instid1(VALU_DEP_1)
	v_mul_f32_e32 v81, v85, v80
	v_fma_f32 v86, -v79, v81, v85
	s_delay_alu instid0(VALU_DEP_1) | instskip(NEXT) | instid1(VALU_DEP_1)
	v_fmac_f32_e32 v81, v86, v80
	v_fma_f32 v79, -v79, v81, v85
	s_delay_alu instid0(VALU_DEP_1) | instskip(NEXT) | instid1(VALU_DEP_1)
	v_div_fmas_f32 v79, v79, v80, v81
	v_div_fixup_f32 v79, v79, v76, v77
	s_delay_alu instid0(VALU_DEP_1) | instskip(NEXT) | instid1(VALU_DEP_1)
	v_fmac_f32_e32 v76, v77, v79
	v_div_scale_f32 v77, null, v76, v76, 1.0
	s_delay_alu instid0(VALU_DEP_1) | instskip(SKIP_1) | instid1(TRANS32_DEP_1)
	v_rcp_f32_e32 v80, v77
	v_nop
	v_fma_f32 v81, -v77, v80, 1.0
	s_delay_alu instid0(VALU_DEP_1) | instskip(SKIP_1) | instid1(VALU_DEP_1)
	v_fmac_f32_e32 v80, v81, v80
	v_div_scale_f32 v81, vcc_lo, 1.0, v76, 1.0
	v_mul_f32_e32 v85, v81, v80
	s_delay_alu instid0(VALU_DEP_1) | instskip(NEXT) | instid1(VALU_DEP_1)
	v_fma_f32 v86, -v77, v85, v81
	v_fmac_f32_e32 v85, v86, v80
	s_delay_alu instid0(VALU_DEP_1) | instskip(NEXT) | instid1(VALU_DEP_1)
	v_fma_f32 v77, -v77, v85, v81
	v_div_fmas_f32 v77, v77, v80, v85
	s_delay_alu instid0(VALU_DEP_1) | instskip(NEXT) | instid1(VALU_DEP_1)
	v_div_fixup_f32 v76, v77, v76, 1.0
	v_mul_f32_e64 v77, v79, -v76
.LBB68_723:
	s_or_b32 exec_lo, exec_lo, s1
.LBB68_724:
	s_delay_alu instid0(SALU_CYCLE_1)
	s_or_b32 exec_lo, exec_lo, s0
	v_mov_b32_e32 v80, 34
	s_mov_b32 s0, exec_lo
	v_cmpx_ne_u32_e64 v84, v78
	s_cbranch_execz .LBB68_730
; %bb.725:
	s_mov_b32 s1, exec_lo
	v_cmpx_eq_u32_e32 34, v84
	s_cbranch_execz .LBB68_729
; %bb.726:
	v_cmp_ne_u32_e32 vcc_lo, 34, v78
	s_xor_b32 s12, s12, -1
	s_delay_alu instid0(SALU_CYCLE_1) | instskip(NEXT) | instid1(SALU_CYCLE_1)
	s_and_b32 s14, s12, vcc_lo
	s_and_saveexec_b32 s12, s14
	s_cbranch_execz .LBB68_728
; %bb.727:
	v_ashrrev_i32_e32 v79, 31, v78
	s_delay_alu instid0(VALU_DEP_1)
	v_lshl_add_u64 v[80:81], v[78:79], 2, v[4:5]
	s_clause 0x1
	global_load_b32 v79, v[80:81], off
	global_load_b32 v83, v[4:5], off offset:136
	s_wait_loadcnt 0x1
	global_store_b32 v[4:5], v79, off offset:136
	s_wait_loadcnt 0x0
	global_store_b32 v[80:81], v83, off
.LBB68_728:
	s_wait_xcnt 0x0
	s_or_b32 exec_lo, exec_lo, s12
	v_dual_mov_b32 v84, v78 :: v_dual_mov_b32 v83, v78
.LBB68_729:
	s_or_b32 exec_lo, exec_lo, s1
	s_delay_alu instid0(VALU_DEP_1)
	v_mov_b32_e32 v80, v84
.LBB68_730:
	s_or_b32 exec_lo, exec_lo, s0
	s_delay_alu instid0(VALU_DEP_1)
	v_ashrrev_i32_e32 v81, 31, v80
	s_mov_b32 s0, exec_lo
	s_wait_storecnt 0x0
	s_barrier_signal -1
	s_barrier_wait -1
	s_barrier_signal -1
	s_barrier_wait -1
	v_cmpx_gt_i32_e32 35, v80
	s_cbranch_execz .LBB68_732
; %bb.731:
	v_mul_u64_e32 v[4:5], s[10:11], v[2:3]
	v_add3_u32 v78, v83, s13, 1
	s_delay_alu instid0(VALU_DEP_2) | instskip(NEXT) | instid1(VALU_DEP_1)
	v_lshl_add_u64 v[4:5], v[4:5], 2, s[6:7]
	v_lshl_add_u64 v[4:5], s[8:9], 2, v[4:5]
	s_delay_alu instid0(VALU_DEP_1)
	v_lshl_add_u64 v[4:5], v[80:81], 2, v[4:5]
	global_store_b32 v[4:5], v78, off
.LBB68_732:
	s_wait_xcnt 0x0
	s_or_b32 exec_lo, exec_lo, s0
	s_delay_alu instid0(SALU_CYCLE_1)
	s_mov_b32 s1, exec_lo
	v_cmpx_eq_u32_e32 0, v80
	s_cbranch_execz .LBB68_735
; %bb.733:
	s_wait_kmcnt 0x0
	v_lshl_add_u64 v[2:3], v[2:3], 2, s[4:5]
	v_cmp_ne_u32_e64 s0, 0, v82
	global_load_b32 v4, v[2:3], off
	s_wait_loadcnt 0x0
	v_cmp_eq_u32_e32 vcc_lo, 0, v4
	s_and_b32 s0, vcc_lo, s0
	s_wait_xcnt 0x0
	s_and_b32 exec_lo, exec_lo, s0
	s_cbranch_execz .LBB68_735
; %bb.734:
	v_add_nc_u32_e32 v4, s13, v82
	global_store_b32 v[2:3], v4, off
.LBB68_735:
	s_wait_xcnt 0x0
	s_or_b32 exec_lo, exec_lo, s1
	v_add3_u32 v4, s2, s2, v80
	v_pk_mul_f32 v[2:3], v[76:77], v[74:75] op_sel:[1,1] op_sel_hi:[0,1]
	v_cmp_lt_i32_e32 vcc_lo, 34, v80
	v_lshl_add_u64 v[80:81], v[80:81], 3, v[0:1]
	s_delay_alu instid0(VALU_DEP_4) | instskip(NEXT) | instid1(VALU_DEP_4)
	v_add_nc_u32_e32 v78, s2, v4
	v_pk_fma_f32 v[90:91], v[76:77], v[74:75], v[2:3] op_sel_hi:[1,0,1]
	v_pk_fma_f32 v[2:3], v[76:77], v[74:75], v[2:3] neg_lo:[0,0,1] neg_hi:[0,0,1]
	global_store_b64 v[80:81], v[72:73], off
	s_wait_xcnt 0x0
	v_lshl_add_u64 v[72:73], s[2:3], 3, v[80:81]
	v_dual_cndmask_b32 v3, v75, v91 :: v_dual_add_nc_u32 v82, s2, v78
	v_dual_cndmask_b32 v2, v74, v2 :: v_dual_ashrrev_i32 v5, 31, v4
	global_store_b64 v[72:73], v[70:71], off
	v_add_nc_u32_e32 v84, s2, v82
	v_ashrrev_i32_e32 v79, 31, v78
	v_lshl_add_u64 v[4:5], v[4:5], 3, v[0:1]
	s_delay_alu instid0(VALU_DEP_3) | instskip(SKIP_4) | instid1(VALU_DEP_1)
	v_dual_add_nc_u32 v86, s2, v84 :: v_dual_ashrrev_i32 v85, 31, v84
	global_store_b64 v[4:5], v[56:57], off
	s_wait_xcnt 0x0
	v_lshl_add_u64 v[56:57], v[78:79], 3, v[0:1]
	v_dual_add_nc_u32 v88, s2, v86 :: v_dual_ashrrev_i32 v87, 31, v86
	v_add_nc_u32_e32 v76, s2, v88
	s_delay_alu instid0(VALU_DEP_1) | instskip(NEXT) | instid1(VALU_DEP_1)
	v_add_nc_u32_e32 v74, s2, v76
	v_add_nc_u32_e32 v90, s2, v74
	s_delay_alu instid0(VALU_DEP_1) | instskip(SKIP_1) | instid1(VALU_DEP_2)
	v_add_nc_u32_e32 v80, s2, v90
	v_ashrrev_i32_e32 v75, 31, v74
	v_dual_ashrrev_i32 v91, 31, v90 :: v_dual_add_nc_u32 v70, s2, v80
	s_delay_alu instid0(VALU_DEP_2) | instskip(NEXT) | instid1(VALU_DEP_2)
	v_lshl_add_u64 v[74:75], v[74:75], 3, v[0:1]
	v_dual_ashrrev_i32 v81, 31, v80 :: v_dual_ashrrev_i32 v71, 31, v70
	v_add_nc_u32_e32 v72, s2, v70
	s_delay_alu instid0(VALU_DEP_1) | instskip(NEXT) | instid1(VALU_DEP_1)
	v_dual_ashrrev_i32 v83, 31, v82 :: v_dual_add_nc_u32 v4, s2, v72
	v_lshl_add_u64 v[78:79], v[82:83], 3, v[0:1]
	v_lshl_add_u64 v[82:83], v[84:85], 3, v[0:1]
	s_clause 0x2
	global_store_b64 v[56:57], v[38:39], off
	global_store_b64 v[78:79], v[20:21], off
	;; [unrolled: 1-line block ×3, first 2 shown]
	v_add_nc_u32_e32 v84, s2, v4
	s_wait_xcnt 0x2
	v_lshl_add_u64 v[38:39], v[86:87], 3, v[0:1]
	v_ashrrev_i32_e32 v5, 31, v4
	s_wait_xcnt 0x0
	v_add_nc_u32_e32 v18, s2, v84
	v_ashrrev_i32_e32 v89, 31, v88
	s_delay_alu instid0(VALU_DEP_3) | instskip(NEXT) | instid1(VALU_DEP_3)
	v_lshl_add_u64 v[4:5], v[4:5], 3, v[0:1]
	v_add_nc_u32_e32 v20, s2, v18
	s_delay_alu instid0(VALU_DEP_3) | instskip(NEXT) | instid1(VALU_DEP_2)
	v_lshl_add_u64 v[56:57], v[88:89], 3, v[0:1]
	v_dual_ashrrev_i32 v19, 31, v18 :: v_dual_add_nc_u32 v78, s2, v20
	v_ashrrev_i32_e32 v77, 31, v76
	v_ashrrev_i32_e32 v21, 31, v20
	s_delay_alu instid0(VALU_DEP_3) | instskip(NEXT) | instid1(VALU_DEP_4)
	v_lshl_add_u64 v[18:19], v[18:19], 3, v[0:1]
	v_ashrrev_i32_e32 v79, 31, v78
	s_delay_alu instid0(VALU_DEP_4)
	v_lshl_add_u64 v[76:77], v[76:77], 3, v[0:1]
	s_clause 0x3
	global_store_b64 v[38:39], v[8:9], off
	global_store_b64 v[56:57], v[6:7], off
	;; [unrolled: 1-line block ×4, first 2 shown]
	s_wait_xcnt 0x2
	v_dual_add_nc_u32 v6, s2, v78 :: v_dual_ashrrev_i32 v73, 31, v72
	s_wait_xcnt 0x0
	v_lshl_add_u64 v[26:27], v[90:91], 3, v[0:1]
	v_lshl_add_u64 v[38:39], v[70:71], 3, v[0:1]
	v_lshl_add_u64 v[28:29], v[80:81], 3, v[0:1]
	v_add_nc_u32_e32 v8, s2, v6
	v_lshl_add_u64 v[56:57], v[72:73], 3, v[0:1]
	s_clause 0x3
	global_store_b64 v[26:27], v[12:13], off
	global_store_b64 v[28:29], v[10:11], off
	;; [unrolled: 1-line block ×4, first 2 shown]
	v_lshl_add_u64 v[20:21], v[20:21], 3, v[0:1]
	v_dual_add_nc_u32 v70, s2, v8 :: v_dual_ashrrev_i32 v7, 31, v6
	s_wait_xcnt 0x2
	s_delay_alu instid0(VALU_DEP_1) | instskip(SKIP_1) | instid1(VALU_DEP_3)
	v_dual_add_nc_u32 v10, s2, v70 :: v_dual_ashrrev_i32 v85, 31, v84
	v_ashrrev_i32_e32 v71, 31, v70
	v_lshl_add_u64 v[6:7], v[6:7], 3, v[0:1]
	s_delay_alu instid0(VALU_DEP_3) | instskip(NEXT) | instid1(VALU_DEP_4)
	v_add_nc_u32_e32 v12, s2, v10
	v_lshl_add_u64 v[26:27], v[84:85], 3, v[0:1]
	s_clause 0x3
	global_store_b64 v[4:5], v[16:17], off
	global_store_b64 v[26:27], v[14:15], off
	;; [unrolled: 1-line block ×4, first 2 shown]
	v_add_nc_u32_e32 v28, s2, v12
	s_wait_xcnt 0x3
	v_lshl_add_u64 v[16:17], v[78:79], 3, v[0:1]
	v_ashrrev_i32_e32 v11, 31, v10
	s_wait_xcnt 0x1
	v_lshl_add_u64 v[18:19], v[70:71], 3, v[0:1]
	v_add_nc_u32_e32 v4, s2, v28
	s_delay_alu instid0(VALU_DEP_3) | instskip(NEXT) | instid1(VALU_DEP_2)
	v_lshl_add_u64 v[10:11], v[10:11], 3, v[0:1]
	v_add_nc_u32_e32 v14, s2, v4
	v_ashrrev_i32_e32 v9, 31, v8
	s_delay_alu instid0(VALU_DEP_2) | instskip(SKIP_2) | instid1(VALU_DEP_3)
	v_dual_ashrrev_i32 v29, 31, v28 :: v_dual_ashrrev_i32 v15, 31, v14
	s_wait_xcnt 0x0
	v_add_nc_u32_e32 v20, s2, v14
	v_lshl_add_u64 v[8:9], v[8:9], 3, v[0:1]
	s_clause 0x3
	global_store_b64 v[16:17], v[24:25], off
	global_store_b64 v[6:7], v[22:23], off
	;; [unrolled: 1-line block ×4, first 2 shown]
	s_wait_xcnt 0x2
	v_add_nc_u32_e32 v6, s2, v20
	v_ashrrev_i32_e32 v13, 31, v12
	v_ashrrev_i32_e32 v5, 31, v4
	v_lshl_add_u64 v[16:17], v[28:29], 3, v[0:1]
	s_wait_xcnt 0x1
	v_add_nc_u32_e32 v8, s2, v6
	v_lshl_add_u64 v[12:13], v[12:13], 3, v[0:1]
	v_lshl_add_u64 v[4:5], v[4:5], 3, v[0:1]
	s_clause 0x3
	global_store_b64 v[10:11], v[32:33], off
	global_store_b64 v[12:13], v[30:31], off
	;; [unrolled: 1-line block ×4, first 2 shown]
	s_wait_xcnt 0x4
	v_dual_add_nc_u32 v18, s2, v8 :: v_dual_ashrrev_i32 v9, 31, v8
	s_wait_xcnt 0x2
	v_lshl_add_u64 v[12:13], v[14:15], 3, v[0:1]
	s_wait_xcnt 0x0
	s_delay_alu instid0(VALU_DEP_2) | instskip(SKIP_2) | instid1(VALU_DEP_3)
	v_dual_add_nc_u32 v4, s2, v18 :: v_dual_ashrrev_i32 v19, 31, v18
	v_ashrrev_i32_e32 v7, 31, v6
	v_lshl_add_u64 v[8:9], v[8:9], 3, v[0:1]
	v_add_nc_u32_e32 v10, s2, v4
	v_ashrrev_i32_e32 v21, 31, v20
	s_delay_alu instid0(VALU_DEP_4) | instskip(NEXT) | instid1(VALU_DEP_3)
	v_lshl_add_u64 v[6:7], v[6:7], 3, v[0:1]
	v_add_nc_u32_e32 v16, s2, v10
	s_delay_alu instid0(VALU_DEP_3)
	v_lshl_add_u64 v[14:15], v[20:21], 3, v[0:1]
	s_clause 0x3
	global_store_b64 v[12:13], v[42:43], off
	global_store_b64 v[14:15], v[40:41], off
	;; [unrolled: 1-line block ×4, first 2 shown]
	s_wait_xcnt 0x1
	v_dual_add_nc_u32 v6, s2, v16 :: v_dual_ashrrev_i32 v11, 31, v10
	v_ashrrev_i32_e32 v5, 31, v4
	v_ashrrev_i32_e32 v17, 31, v16
	s_wait_xcnt 0x0
	v_lshl_add_u64 v[8:9], v[18:19], 3, v[0:1]
	v_ashrrev_i32_e32 v7, 31, v6
	v_lshl_add_u64 v[10:11], v[10:11], 3, v[0:1]
	v_lshl_add_u64 v[4:5], v[4:5], 3, v[0:1]
	v_lshl_add_u64 v[12:13], v[16:17], 3, v[0:1]
	s_delay_alu instid0(VALU_DEP_4)
	v_lshl_add_u64 v[0:1], v[6:7], 3, v[0:1]
	s_clause 0x4
	global_store_b64 v[8:9], v[46:47], off
	global_store_b64 v[4:5], v[44:45], off
	;; [unrolled: 1-line block ×5, first 2 shown]
.LBB68_736:
	s_sendmsg sendmsg(MSG_DEALLOC_VGPRS)
	s_endpgm
	.section	.rodata,"a",@progbits
	.p2align	6, 0x0
	.amdhsa_kernel _ZN9rocsolver6v33100L18getf2_small_kernelILi35E19rocblas_complex_numIfEiiPS3_EEvT1_T3_lS5_lPS5_llPT2_S5_S5_S7_l
		.amdhsa_group_segment_fixed_size 0
		.amdhsa_private_segment_fixed_size 0
		.amdhsa_kernarg_size 352
		.amdhsa_user_sgpr_count 2
		.amdhsa_user_sgpr_dispatch_ptr 0
		.amdhsa_user_sgpr_queue_ptr 0
		.amdhsa_user_sgpr_kernarg_segment_ptr 1
		.amdhsa_user_sgpr_dispatch_id 0
		.amdhsa_user_sgpr_kernarg_preload_length 0
		.amdhsa_user_sgpr_kernarg_preload_offset 0
		.amdhsa_user_sgpr_private_segment_size 0
		.amdhsa_wavefront_size32 1
		.amdhsa_uses_dynamic_stack 0
		.amdhsa_enable_private_segment 0
		.amdhsa_system_sgpr_workgroup_id_x 1
		.amdhsa_system_sgpr_workgroup_id_y 1
		.amdhsa_system_sgpr_workgroup_id_z 0
		.amdhsa_system_sgpr_workgroup_info 0
		.amdhsa_system_vgpr_workitem_id 1
		.amdhsa_next_free_vgpr 96
		.amdhsa_next_free_sgpr 20
		.amdhsa_named_barrier_count 0
		.amdhsa_reserve_vcc 1
		.amdhsa_float_round_mode_32 0
		.amdhsa_float_round_mode_16_64 0
		.amdhsa_float_denorm_mode_32 3
		.amdhsa_float_denorm_mode_16_64 3
		.amdhsa_fp16_overflow 0
		.amdhsa_memory_ordered 1
		.amdhsa_forward_progress 1
		.amdhsa_inst_pref_size 255
		.amdhsa_round_robin_scheduling 0
		.amdhsa_exception_fp_ieee_invalid_op 0
		.amdhsa_exception_fp_denorm_src 0
		.amdhsa_exception_fp_ieee_div_zero 0
		.amdhsa_exception_fp_ieee_overflow 0
		.amdhsa_exception_fp_ieee_underflow 0
		.amdhsa_exception_fp_ieee_inexact 0
		.amdhsa_exception_int_div_zero 0
	.end_amdhsa_kernel
	.section	.text._ZN9rocsolver6v33100L18getf2_small_kernelILi35E19rocblas_complex_numIfEiiPS3_EEvT1_T3_lS5_lPS5_llPT2_S5_S5_S7_l,"axG",@progbits,_ZN9rocsolver6v33100L18getf2_small_kernelILi35E19rocblas_complex_numIfEiiPS3_EEvT1_T3_lS5_lPS5_llPT2_S5_S5_S7_l,comdat
.Lfunc_end68:
	.size	_ZN9rocsolver6v33100L18getf2_small_kernelILi35E19rocblas_complex_numIfEiiPS3_EEvT1_T3_lS5_lPS5_llPT2_S5_S5_S7_l, .Lfunc_end68-_ZN9rocsolver6v33100L18getf2_small_kernelILi35E19rocblas_complex_numIfEiiPS3_EEvT1_T3_lS5_lPS5_llPT2_S5_S5_S7_l
                                        ; -- End function
	.set _ZN9rocsolver6v33100L18getf2_small_kernelILi35E19rocblas_complex_numIfEiiPS3_EEvT1_T3_lS5_lPS5_llPT2_S5_S5_S7_l.num_vgpr, 96
	.set _ZN9rocsolver6v33100L18getf2_small_kernelILi35E19rocblas_complex_numIfEiiPS3_EEvT1_T3_lS5_lPS5_llPT2_S5_S5_S7_l.num_agpr, 0
	.set _ZN9rocsolver6v33100L18getf2_small_kernelILi35E19rocblas_complex_numIfEiiPS3_EEvT1_T3_lS5_lPS5_llPT2_S5_S5_S7_l.numbered_sgpr, 20
	.set _ZN9rocsolver6v33100L18getf2_small_kernelILi35E19rocblas_complex_numIfEiiPS3_EEvT1_T3_lS5_lPS5_llPT2_S5_S5_S7_l.num_named_barrier, 0
	.set _ZN9rocsolver6v33100L18getf2_small_kernelILi35E19rocblas_complex_numIfEiiPS3_EEvT1_T3_lS5_lPS5_llPT2_S5_S5_S7_l.private_seg_size, 0
	.set _ZN9rocsolver6v33100L18getf2_small_kernelILi35E19rocblas_complex_numIfEiiPS3_EEvT1_T3_lS5_lPS5_llPT2_S5_S5_S7_l.uses_vcc, 1
	.set _ZN9rocsolver6v33100L18getf2_small_kernelILi35E19rocblas_complex_numIfEiiPS3_EEvT1_T3_lS5_lPS5_llPT2_S5_S5_S7_l.uses_flat_scratch, 0
	.set _ZN9rocsolver6v33100L18getf2_small_kernelILi35E19rocblas_complex_numIfEiiPS3_EEvT1_T3_lS5_lPS5_llPT2_S5_S5_S7_l.has_dyn_sized_stack, 0
	.set _ZN9rocsolver6v33100L18getf2_small_kernelILi35E19rocblas_complex_numIfEiiPS3_EEvT1_T3_lS5_lPS5_llPT2_S5_S5_S7_l.has_recursion, 0
	.set _ZN9rocsolver6v33100L18getf2_small_kernelILi35E19rocblas_complex_numIfEiiPS3_EEvT1_T3_lS5_lPS5_llPT2_S5_S5_S7_l.has_indirect_call, 0
	.section	.AMDGPU.csdata,"",@progbits
; Kernel info:
; codeLenInByte = 69792
; TotalNumSgprs: 22
; NumVgprs: 96
; ScratchSize: 0
; MemoryBound: 0
; FloatMode: 240
; IeeeMode: 1
; LDSByteSize: 0 bytes/workgroup (compile time only)
; SGPRBlocks: 0
; VGPRBlocks: 5
; NumSGPRsForWavesPerEU: 22
; NumVGPRsForWavesPerEU: 96
; NamedBarCnt: 0
; Occupancy: 10
; WaveLimiterHint : 0
; COMPUTE_PGM_RSRC2:SCRATCH_EN: 0
; COMPUTE_PGM_RSRC2:USER_SGPR: 2
; COMPUTE_PGM_RSRC2:TRAP_HANDLER: 0
; COMPUTE_PGM_RSRC2:TGID_X_EN: 1
; COMPUTE_PGM_RSRC2:TGID_Y_EN: 1
; COMPUTE_PGM_RSRC2:TGID_Z_EN: 0
; COMPUTE_PGM_RSRC2:TIDIG_COMP_CNT: 1
	.section	.text._ZN9rocsolver6v33100L23getf2_npvt_small_kernelILi35E19rocblas_complex_numIfEiiPS3_EEvT1_T3_lS5_lPT2_S5_S5_,"axG",@progbits,_ZN9rocsolver6v33100L23getf2_npvt_small_kernelILi35E19rocblas_complex_numIfEiiPS3_EEvT1_T3_lS5_lPT2_S5_S5_,comdat
	.globl	_ZN9rocsolver6v33100L23getf2_npvt_small_kernelILi35E19rocblas_complex_numIfEiiPS3_EEvT1_T3_lS5_lPT2_S5_S5_ ; -- Begin function _ZN9rocsolver6v33100L23getf2_npvt_small_kernelILi35E19rocblas_complex_numIfEiiPS3_EEvT1_T3_lS5_lPT2_S5_S5_
	.p2align	8
	.type	_ZN9rocsolver6v33100L23getf2_npvt_small_kernelILi35E19rocblas_complex_numIfEiiPS3_EEvT1_T3_lS5_lPT2_S5_S5_,@function
_ZN9rocsolver6v33100L23getf2_npvt_small_kernelILi35E19rocblas_complex_numIfEiiPS3_EEvT1_T3_lS5_lPT2_S5_S5_: ; @_ZN9rocsolver6v33100L23getf2_npvt_small_kernelILi35E19rocblas_complex_numIfEiiPS3_EEvT1_T3_lS5_lPT2_S5_S5_
; %bb.0:
	s_clause 0x1
	s_load_u16 s14, s[0:1], 0x46
	s_load_b64 s[2:3], s[0:1], 0x30
	s_bfe_u32 s4, ttmp6, 0x40010
	s_bfe_u32 s5, ttmp6, 0x40004
	s_add_co_i32 s4, s4, 1
	s_getreg_b32 s6, hwreg(HW_REG_IB_STS2, 6, 4)
	s_mul_i32 s4, ttmp7, s4
	v_bfe_u32 v142, v0, 10, 10
	s_add_co_i32 s5, s5, s4
	s_cmp_eq_u32 s6, 0
	s_cselect_b32 s4, ttmp7, s5
	s_wait_kmcnt 0x0
	v_mad_u32 v2, s4, s14, v142
	s_delay_alu instid0(VALU_DEP_1)
	v_cmp_gt_i32_e32 vcc_lo, s2, v2
	s_and_saveexec_b32 s2, vcc_lo
	s_cbranch_execz .LBB69_318
; %bb.1:
	s_clause 0x1
	s_load_b32 s12, s[0:1], 0x18
	s_load_b128 s[8:11], s[0:1], 0x8
	v_and_b32_e32 v212, 0x3ff, v0
	s_load_b128 s[4:7], s[0:1], 0x20
	s_mulk_i32 s14, 0x118
	v_mad_u32_u24 v214, 0x118, v142, 0
	v_ashrrev_i32_e32 v3, 31, v2
	s_wait_xcnt 0x0
	v_cmp_ne_u32_e64 s1, 0, v212
	v_cmp_eq_u32_e64 s0, 0, v212
	v_dual_mov_b32 v13, 0 :: v_dual_lshlrev_b32 v143, 3, v142
	s_delay_alu instid0(VALU_DEP_1) | instskip(SKIP_4) | instid1(VALU_DEP_2)
	v_add3_u32 v213, 0, s14, v143
	s_wait_kmcnt 0x0
	v_add3_u32 v0, s12, s12, v212
	s_ashr_i32 s13, s12, 31
	v_mul_u64_e32 v[6:7], s[4:5], v[2:3]
	v_add_nc_u32_e32 v4, s12, v0
	s_delay_alu instid0(VALU_DEP_1) | instskip(NEXT) | instid1(VALU_DEP_1)
	v_add_nc_u32_e32 v8, s12, v4
	v_add_nc_u32_e32 v10, s12, v8
	s_delay_alu instid0(VALU_DEP_1) | instskip(NEXT) | instid1(VALU_DEP_1)
	v_add_nc_u32_e32 v16, s12, v10
	;; [unrolled: 3-line block ×3, first 2 shown]
	v_add_nc_u32_e32 v24, s12, v22
	v_ashrrev_i32_e32 v11, 31, v10
	v_ashrrev_i32_e32 v23, 31, v22
	v_lshl_add_u64 v[6:7], v[6:7], 3, s[8:9]
	s_delay_alu instid0(VALU_DEP_4) | instskip(NEXT) | instid1(VALU_DEP_2)
	v_add_nc_u32_e32 v30, s12, v24
	v_lshl_add_u64 v[102:103], s[10:11], 3, v[6:7]
	s_delay_alu instid0(VALU_DEP_2) | instskip(NEXT) | instid1(VALU_DEP_1)
	v_dual_add_nc_u32 v32, s12, v30 :: v_dual_ashrrev_i32 v31, 31, v30
	v_add_nc_u32_e32 v36, s12, v32
	s_delay_alu instid0(VALU_DEP_1) | instskip(NEXT) | instid1(VALU_DEP_1)
	v_add_nc_u32_e32 v44, s12, v36
	v_dual_add_nc_u32 v48, s12, v44 :: v_dual_ashrrev_i32 v45, 31, v44
	s_delay_alu instid0(VALU_DEP_1) | instskip(SKIP_2) | instid1(VALU_DEP_4)
	v_dual_add_nc_u32 v50, s12, v48 :: v_dual_ashrrev_i32 v49, 31, v48
	v_lshlrev_b32_e32 v12, 3, v212
	v_ashrrev_i32_e32 v17, 31, v16
	v_lshl_add_u64 v[44:45], v[44:45], 3, v[102:103]
	s_delay_alu instid0(VALU_DEP_4) | instskip(NEXT) | instid1(VALU_DEP_4)
	v_dual_add_nc_u32 v52, s12, v50 :: v_dual_ashrrev_i32 v51, 31, v50
	v_add_nc_u64_e32 v[18:19], v[102:103], v[12:13]
	v_lshl_add_u64 v[48:49], v[48:49], 3, v[102:103]
	s_delay_alu instid0(VALU_DEP_3) | instskip(NEXT) | instid1(VALU_DEP_4)
	v_dual_add_nc_u32 v64, s12, v52 :: v_dual_ashrrev_i32 v53, 31, v52
	v_lshl_add_u64 v[50:51], v[50:51], 3, v[102:103]
	s_delay_alu instid0(VALU_DEP_4) | instskip(NEXT) | instid1(VALU_DEP_3)
	v_lshl_add_u64 v[34:35], s[12:13], 3, v[18:19]
	v_dual_add_nc_u32 v66, s12, v64 :: v_dual_ashrrev_i32 v65, 31, v64
	v_ashrrev_i32_e32 v1, 31, v0
	v_ashrrev_i32_e32 v25, 31, v24
	v_lshl_add_u64 v[52:53], v[52:53], 3, v[102:103]
	s_delay_alu instid0(VALU_DEP_4) | instskip(NEXT) | instid1(VALU_DEP_4)
	v_dual_add_nc_u32 v68, s12, v66 :: v_dual_ashrrev_i32 v67, 31, v66
	v_lshl_add_u64 v[6:7], v[0:1], 3, v[102:103]
	v_lshl_add_u64 v[0:1], v[10:11], 3, v[102:103]
	;; [unrolled: 1-line block ×3, first 2 shown]
	s_delay_alu instid0(VALU_DEP_4) | instskip(SKIP_3) | instid1(VALU_DEP_4)
	v_dual_add_nc_u32 v70, s12, v68 :: v_dual_ashrrev_i32 v69, 31, v68
	v_ashrrev_i32_e32 v5, 31, v4
	v_ashrrev_i32_e32 v33, 31, v32
	v_lshl_add_u64 v[64:65], v[64:65], 3, v[102:103]
	v_dual_add_nc_u32 v74, s12, v70 :: v_dual_ashrrev_i32 v9, 31, v8
	v_dual_ashrrev_i32 v37, 31, v36 :: v_dual_ashrrev_i32 v71, 31, v70
	v_lshl_add_u64 v[12:13], v[4:5], 3, v[102:103]
	s_delay_alu instid0(VALU_DEP_3) | instskip(NEXT) | instid1(VALU_DEP_4)
	v_dual_add_nc_u32 v76, s12, v74 :: v_dual_ashrrev_i32 v75, 31, v74
	v_lshl_add_u64 v[14:15], v[8:9], 3, v[102:103]
	s_delay_alu instid0(VALU_DEP_4) | instskip(SKIP_1) | instid1(VALU_DEP_4)
	v_lshl_add_u64 v[70:71], v[70:71], 3, v[102:103]
	v_lshl_add_u64 v[4:5], v[16:17], 3, v[102:103]
	v_add_nc_u32_e32 v78, s12, v76
	v_ashrrev_i32_e32 v21, 31, v20
	v_lshl_add_u64 v[16:17], v[24:25], 3, v[102:103]
	v_lshl_add_u64 v[74:75], v[74:75], 3, v[102:103]
	;; [unrolled: 1-line block ×3, first 2 shown]
	v_add_nc_u32_e32 v80, s12, v78
	v_lshl_add_u64 v[8:9], v[20:21], 3, v[102:103]
	v_lshl_add_u64 v[20:21], v[30:31], 3, v[102:103]
	;; [unrolled: 1-line block ×4, first 2 shown]
	v_add_nc_u32_e32 v84, s12, v80
	v_lshl_add_u64 v[68:69], v[68:69], 3, v[102:103]
	s_clause 0xb
	global_load_b64 v[28:29], v[14:15], off
	global_load_b64 v[24:25], v[0:1], off
	;; [unrolled: 1-line block ×12, first 2 shown]
	v_add_nc_u32_e32 v88, s12, v84
	s_clause 0x7
	global_load_b64 v[62:63], v[32:33], off
	global_load_b64 v[58:59], v[44:45], off
	;; [unrolled: 1-line block ×8, first 2 shown]
	v_add_nc_u32_e32 v90, s12, v88
	s_delay_alu instid0(VALU_DEP_1) | instskip(SKIP_3) | instid1(VALU_DEP_4)
	v_add_nc_u32_e32 v92, s12, v90
	v_dual_ashrrev_i32 v79, 31, v78 :: v_dual_ashrrev_i32 v85, 31, v84
	v_ashrrev_i32_e32 v89, 31, v88
	v_dual_ashrrev_i32 v77, 31, v76 :: v_dual_ashrrev_i32 v91, 31, v90
	v_dual_add_nc_u32 v96, s12, v92 :: v_dual_ashrrev_i32 v93, 31, v92
	s_delay_alu instid0(VALU_DEP_4) | instskip(NEXT) | instid1(VALU_DEP_3)
	v_lshl_add_u64 v[84:85], v[84:85], 3, v[102:103]
	v_lshl_add_u64 v[76:77], v[76:77], 3, v[102:103]
	;; [unrolled: 1-line block ×3, first 2 shown]
	s_delay_alu instid0(VALU_DEP_4) | instskip(SKIP_3) | instid1(VALU_DEP_4)
	v_dual_add_nc_u32 v104, s12, v96 :: v_dual_ashrrev_i32 v97, 31, v96
	v_lshl_add_u64 v[92:93], v[92:93], 3, v[102:103]
	v_lshl_add_u64 v[78:79], v[78:79], 3, v[102:103]
	;; [unrolled: 1-line block ×3, first 2 shown]
	v_add_nc_u32_e32 v106, s12, v104
	v_ashrrev_i32_e32 v81, 31, v80
	v_lshl_add_u64 v[96:97], v[96:97], 3, v[102:103]
	s_clause 0x3
	global_load_b64 v[128:129], v[70:71], off
	global_load_b64 v[124:125], v[74:75], off
	;; [unrolled: 1-line block ×4, first 2 shown]
	v_add_nc_u32_e32 v108, s12, v106
	v_lshl_add_u64 v[80:81], v[80:81], 3, v[102:103]
	s_clause 0x3
	global_load_b64 v[136:137], v[80:81], off
	global_load_b64 v[134:135], v[84:85], off
	;; [unrolled: 1-line block ×4, first 2 shown]
	v_dual_add_nc_u32 v110, s12, v108 :: v_dual_ashrrev_i32 v109, 31, v108
	s_delay_alu instid0(VALU_DEP_1) | instskip(SKIP_2) | instid1(VALU_DEP_4)
	v_add_nc_u32_e32 v116, s12, v110
	v_dual_ashrrev_i32 v107, 31, v106 :: v_dual_ashrrev_i32 v105, 31, v104
	v_ashrrev_i32_e32 v111, 31, v110
	v_lshl_add_u64 v[108:109], v[108:109], 3, v[102:103]
	s_delay_alu instid0(VALU_DEP_4) | instskip(NEXT) | instid1(VALU_DEP_4)
	v_ashrrev_i32_e32 v117, 31, v116
	v_lshl_add_u64 v[106:107], v[106:107], 3, v[102:103]
	v_lshl_add_u64 v[104:105], v[104:105], 3, v[102:103]
	;; [unrolled: 1-line block ×3, first 2 shown]
	s_delay_alu instid0(VALU_DEP_4)
	v_lshl_add_u64 v[102:103], v[116:117], 3, v[102:103]
	s_clause 0x6
	global_load_b64 v[120:121], v[92:93], off
	global_load_b64 v[116:117], v[96:97], off
	;; [unrolled: 1-line block ×7, first 2 shown]
	s_wait_xcnt 0x0
	s_and_saveexec_b32 s4, s0
	s_cbranch_execz .LBB69_8
; %bb.2:
	s_wait_loadcnt 0x1e
	ds_store_b64 v213, v[54:55]
	s_wait_loadcnt 0x1c
	ds_store_2addr_b64 v214, v[86:87], v[82:83] offset0:1 offset1:2
	s_wait_loadcnt 0x1b
	ds_store_2addr_b64 v214, v[46:47], v[28:29] offset0:3 offset1:4
	ds_store_2addr_b64 v214, v[24:25], v[26:27] offset0:5 offset1:6
	s_wait_loadcnt 0x1a
	ds_store_2addr_b64 v214, v[22:23], v[42:43] offset0:7 offset1:8
	s_wait_loadcnt 0x18
	;; [unrolled: 2-line block ×14, first 2 shown]
	ds_store_2addr_b64 v214, v[122:123], v[140:141] offset0:33 offset1:34
	ds_load_b64 v[142:143], v213
	s_wait_dscnt 0x0
	v_cmp_neq_f32_e32 vcc_lo, 0, v142
	v_cmp_neq_f32_e64 s2, 0, v143
	s_or_b32 s2, vcc_lo, s2
	s_delay_alu instid0(SALU_CYCLE_1)
	s_and_b32 exec_lo, exec_lo, s2
	s_cbranch_execz .LBB69_8
; %bb.3:
	v_cmp_ngt_f32_e64 s2, |v142|, |v143|
                                        ; implicit-def: $vgpr144_vgpr145
	s_and_saveexec_b32 s5, s2
	s_delay_alu instid0(SALU_CYCLE_1)
	s_xor_b32 s2, exec_lo, s5
	s_cbranch_execz .LBB69_5
; %bb.4:
	v_div_scale_f32 v144, null, v143, v143, v142
	v_div_scale_f32 v147, vcc_lo, v142, v143, v142
	s_delay_alu instid0(VALU_DEP_2) | instskip(SKIP_1) | instid1(TRANS32_DEP_1)
	v_rcp_f32_e32 v145, v144
	v_nop
	v_fma_f32 v146, -v144, v145, 1.0
	s_delay_alu instid0(VALU_DEP_1) | instskip(NEXT) | instid1(VALU_DEP_1)
	v_fmac_f32_e32 v145, v146, v145
	v_mul_f32_e32 v146, v147, v145
	s_delay_alu instid0(VALU_DEP_1) | instskip(NEXT) | instid1(VALU_DEP_1)
	v_fma_f32 v148, -v144, v146, v147
	v_fmac_f32_e32 v146, v148, v145
	s_delay_alu instid0(VALU_DEP_1) | instskip(NEXT) | instid1(VALU_DEP_1)
	v_fma_f32 v144, -v144, v146, v147
	v_div_fmas_f32 v144, v144, v145, v146
	s_delay_alu instid0(VALU_DEP_1) | instskip(NEXT) | instid1(VALU_DEP_1)
	v_div_fixup_f32 v144, v144, v143, v142
	v_fmac_f32_e32 v143, v142, v144
	s_delay_alu instid0(VALU_DEP_1) | instskip(SKIP_1) | instid1(VALU_DEP_2)
	v_div_scale_f32 v142, null, v143, v143, 1.0
	v_div_scale_f32 v147, vcc_lo, 1.0, v143, 1.0
	v_rcp_f32_e32 v145, v142
	v_nop
	s_delay_alu instid0(TRANS32_DEP_1) | instskip(NEXT) | instid1(VALU_DEP_1)
	v_fma_f32 v146, -v142, v145, 1.0
	v_fmac_f32_e32 v145, v146, v145
	s_delay_alu instid0(VALU_DEP_1) | instskip(NEXT) | instid1(VALU_DEP_1)
	v_mul_f32_e32 v146, v147, v145
	v_fma_f32 v148, -v142, v146, v147
	s_delay_alu instid0(VALU_DEP_1) | instskip(NEXT) | instid1(VALU_DEP_1)
	v_fmac_f32_e32 v146, v148, v145
	v_fma_f32 v142, -v142, v146, v147
	s_delay_alu instid0(VALU_DEP_1) | instskip(NEXT) | instid1(VALU_DEP_1)
	v_div_fmas_f32 v142, v142, v145, v146
	v_div_fixup_f32 v142, v142, v143, 1.0
	s_delay_alu instid0(VALU_DEP_1)
	v_mul_f32_e32 v144, v144, v142
	v_xor_b32_e32 v145, 0x80000000, v142
                                        ; implicit-def: $vgpr142_vgpr143
.LBB69_5:
	s_and_not1_saveexec_b32 s2, s2
	s_cbranch_execz .LBB69_7
; %bb.6:
	v_div_scale_f32 v144, null, v142, v142, v143
	v_div_scale_f32 v147, vcc_lo, v143, v142, v143
	s_delay_alu instid0(VALU_DEP_2) | instskip(SKIP_1) | instid1(TRANS32_DEP_1)
	v_rcp_f32_e32 v145, v144
	v_nop
	v_fma_f32 v146, -v144, v145, 1.0
	s_delay_alu instid0(VALU_DEP_1) | instskip(NEXT) | instid1(VALU_DEP_1)
	v_fmac_f32_e32 v145, v146, v145
	v_mul_f32_e32 v146, v147, v145
	s_delay_alu instid0(VALU_DEP_1) | instskip(NEXT) | instid1(VALU_DEP_1)
	v_fma_f32 v148, -v144, v146, v147
	v_fmac_f32_e32 v146, v148, v145
	s_delay_alu instid0(VALU_DEP_1) | instskip(NEXT) | instid1(VALU_DEP_1)
	v_fma_f32 v144, -v144, v146, v147
	v_div_fmas_f32 v144, v144, v145, v146
	s_delay_alu instid0(VALU_DEP_1) | instskip(NEXT) | instid1(VALU_DEP_1)
	v_div_fixup_f32 v145, v144, v142, v143
	v_fmac_f32_e32 v142, v143, v145
	s_delay_alu instid0(VALU_DEP_1) | instskip(NEXT) | instid1(VALU_DEP_1)
	v_div_scale_f32 v143, null, v142, v142, 1.0
	v_rcp_f32_e32 v144, v143
	v_nop
	s_delay_alu instid0(TRANS32_DEP_1) | instskip(NEXT) | instid1(VALU_DEP_1)
	v_fma_f32 v146, -v143, v144, 1.0
	v_fmac_f32_e32 v144, v146, v144
	v_div_scale_f32 v146, vcc_lo, 1.0, v142, 1.0
	s_delay_alu instid0(VALU_DEP_1) | instskip(NEXT) | instid1(VALU_DEP_1)
	v_mul_f32_e32 v147, v146, v144
	v_fma_f32 v148, -v143, v147, v146
	s_delay_alu instid0(VALU_DEP_1) | instskip(NEXT) | instid1(VALU_DEP_1)
	v_fmac_f32_e32 v147, v148, v144
	v_fma_f32 v143, -v143, v147, v146
	s_delay_alu instid0(VALU_DEP_1) | instskip(NEXT) | instid1(VALU_DEP_1)
	v_div_fmas_f32 v143, v143, v144, v147
	v_div_fixup_f32 v144, v143, v142, 1.0
	s_delay_alu instid0(VALU_DEP_1)
	v_mul_f32_e64 v145, v145, -v144
.LBB69_7:
	s_or_b32 exec_lo, exec_lo, s2
	ds_store_b64 v213, v[144:145]
.LBB69_8:
	s_or_b32 exec_lo, exec_lo, s4
	s_wait_loadcnt_dscnt 0x0
	s_barrier_signal -1
	s_barrier_wait -1
	ds_load_b64 v[142:143], v213
	s_and_saveexec_b32 s2, s1
	s_cbranch_execz .LBB69_10
; %bb.9:
	ds_load_2addr_b64 v[148:151], v214 offset0:1 offset1:2
	s_wait_dscnt 0x1
	v_pk_mul_f32 v[146:147], v[142:143], v[54:55] op_sel:[1,1] op_sel_hi:[0,1]
	s_delay_alu instid0(VALU_DEP_1) | instskip(SKIP_1) | instid1(VALU_DEP_1)
	v_pk_fma_f32 v[144:145], v[142:143], v[54:55], v[146:147] op_sel_hi:[1,0,1] neg_lo:[0,0,1] neg_hi:[0,0,1]
	v_pk_fma_f32 v[146:147], v[142:143], v[54:55], v[146:147] op_sel_hi:[1,0,1]
	v_dual_mov_b32 v54, v144 :: v_dual_mov_b32 v55, v147
	s_wait_dscnt 0x0
	s_delay_alu instid0(VALU_DEP_2) | instskip(NEXT) | instid1(VALU_DEP_1)
	v_pk_mul_f32 v[152:153], v[148:149], v[146:147] op_sel:[0,1]
	v_pk_fma_f32 v[154:155], v[148:149], v[144:145], v[152:153] op_sel:[0,0,1] op_sel_hi:[1,1,0] neg_lo:[0,0,1] neg_hi:[0,0,1]
	v_pk_fma_f32 v[148:149], v[148:149], v[144:145], v[152:153] op_sel:[0,0,1] op_sel_hi:[1,0,0]
	s_delay_alu instid0(VALU_DEP_1) | instskip(SKIP_1) | instid1(VALU_DEP_1)
	v_mov_b32_e32 v155, v149
	v_pk_mul_f32 v[148:149], v[150:151], v[146:147] op_sel:[0,1]
	v_pk_fma_f32 v[152:153], v[150:151], v[144:145], v[148:149] op_sel:[0,0,1] op_sel_hi:[1,1,0] neg_lo:[0,0,1] neg_hi:[0,0,1]
	v_pk_fma_f32 v[148:149], v[150:151], v[144:145], v[148:149] op_sel:[0,0,1] op_sel_hi:[1,0,0]
	s_delay_alu instid0(VALU_DEP_1)
	v_mov_b32_e32 v153, v149
	ds_load_2addr_b64 v[148:151], v214 offset0:3 offset1:4
	v_pk_add_f32 v[86:87], v[86:87], v[154:155] neg_lo:[0,1] neg_hi:[0,1]
	v_pk_add_f32 v[82:83], v[82:83], v[152:153] neg_lo:[0,1] neg_hi:[0,1]
	s_wait_dscnt 0x0
	v_pk_mul_f32 v[152:153], v[148:149], v[146:147] op_sel:[0,1]
	s_delay_alu instid0(VALU_DEP_1) | instskip(SKIP_2) | instid1(VALU_DEP_2)
	v_pk_fma_f32 v[154:155], v[148:149], v[144:145], v[152:153] op_sel:[0,0,1] op_sel_hi:[1,1,0] neg_lo:[0,0,1] neg_hi:[0,0,1]
	v_pk_fma_f32 v[148:149], v[148:149], v[144:145], v[152:153] op_sel:[0,0,1] op_sel_hi:[1,0,0]
	v_dual_mul_f32 v152, v151, v147 :: v_dual_mov_b32 v148, v151
	v_dual_mov_b32 v155, v149 :: v_dual_mov_b32 v149, v150
	s_delay_alu instid0(VALU_DEP_2) | instskip(SKIP_1) | instid1(VALU_DEP_3)
	v_pk_fma_f32 v[152:153], v[150:151], v[54:55], v[152:153] op_sel_hi:[1,1,0] neg_lo:[0,0,1] neg_hi:[0,0,1]
	v_mul_f32_e32 v150, v151, v144
	v_pk_add_f32 v[46:47], v[46:47], v[154:155] neg_lo:[0,1] neg_hi:[0,1]
	s_delay_alu instid0(VALU_DEP_2) | instskip(NEXT) | instid1(VALU_DEP_1)
	v_pk_fma_f32 v[148:149], v[148:149], v[54:55], v[150:151] op_sel_hi:[1,1,0]
	v_mov_b32_e32 v153, v149
	ds_load_2addr_b64 v[148:151], v214 offset0:5 offset1:6
	v_pk_add_f32 v[28:29], v[28:29], v[152:153] neg_lo:[0,1] neg_hi:[0,1]
	s_wait_dscnt 0x0
	v_pk_mul_f32 v[152:153], v[148:149], v[146:147] op_sel:[0,1]
	s_delay_alu instid0(VALU_DEP_1) | instskip(SKIP_1) | instid1(VALU_DEP_1)
	v_pk_fma_f32 v[154:155], v[148:149], v[144:145], v[152:153] op_sel:[0,0,1] op_sel_hi:[1,1,0] neg_lo:[0,0,1] neg_hi:[0,0,1]
	v_pk_fma_f32 v[148:149], v[148:149], v[144:145], v[152:153] op_sel:[0,0,1] op_sel_hi:[1,0,0]
	v_mov_b32_e32 v155, v149
	v_pk_mul_f32 v[148:149], v[150:151], v[146:147] op_sel:[0,1]
	s_delay_alu instid0(VALU_DEP_1) | instskip(SKIP_1) | instid1(VALU_DEP_1)
	v_pk_fma_f32 v[152:153], v[150:151], v[144:145], v[148:149] op_sel:[0,0,1] op_sel_hi:[1,1,0] neg_lo:[0,0,1] neg_hi:[0,0,1]
	v_pk_fma_f32 v[148:149], v[150:151], v[144:145], v[148:149] op_sel:[0,0,1] op_sel_hi:[1,0,0]
	v_mov_b32_e32 v153, v149
	ds_load_2addr_b64 v[148:151], v214 offset0:7 offset1:8
	v_pk_add_f32 v[24:25], v[24:25], v[154:155] neg_lo:[0,1] neg_hi:[0,1]
	v_pk_add_f32 v[26:27], v[26:27], v[152:153] neg_lo:[0,1] neg_hi:[0,1]
	s_wait_dscnt 0x0
	v_pk_mul_f32 v[152:153], v[148:149], v[146:147] op_sel:[0,1]
	s_delay_alu instid0(VALU_DEP_1) | instskip(SKIP_1) | instid1(VALU_DEP_1)
	v_pk_fma_f32 v[154:155], v[148:149], v[144:145], v[152:153] op_sel:[0,0,1] op_sel_hi:[1,1,0] neg_lo:[0,0,1] neg_hi:[0,0,1]
	v_pk_fma_f32 v[148:149], v[148:149], v[144:145], v[152:153] op_sel:[0,0,1] op_sel_hi:[1,0,0]
	v_mov_b32_e32 v155, v149
	v_pk_mul_f32 v[148:149], v[150:151], v[146:147] op_sel:[0,1]
	s_delay_alu instid0(VALU_DEP_1) | instskip(SKIP_1) | instid1(VALU_DEP_1)
	v_pk_fma_f32 v[152:153], v[150:151], v[144:145], v[148:149] op_sel:[0,0,1] op_sel_hi:[1,1,0] neg_lo:[0,0,1] neg_hi:[0,0,1]
	v_pk_fma_f32 v[148:149], v[150:151], v[144:145], v[148:149] op_sel:[0,0,1] op_sel_hi:[1,0,0]
	v_mov_b32_e32 v153, v149
	ds_load_2addr_b64 v[148:151], v214 offset0:9 offset1:10
	v_pk_add_f32 v[22:23], v[22:23], v[154:155] neg_lo:[0,1] neg_hi:[0,1]
	v_pk_add_f32 v[42:43], v[42:43], v[152:153] neg_lo:[0,1] neg_hi:[0,1]
	s_wait_dscnt 0x0
	v_dual_mul_f32 v152, v149, v147 :: v_dual_mul_f32 v154, v149, v144
	s_delay_alu instid0(VALU_DEP_1) | instskip(NEXT) | instid1(VALU_DEP_2)
	v_pk_fma_f32 v[152:153], v[148:149], v[54:55], v[152:153] op_sel_hi:[1,1,0] neg_lo:[0,0,1] neg_hi:[0,0,1]
	v_pk_fma_f32 v[148:149], v[148:149], v[54:55], v[154:155] op_sel:[1,0,0] op_sel_hi:[0,1,0]
	s_delay_alu instid0(VALU_DEP_1) | instskip(SKIP_1) | instid1(VALU_DEP_2)
	v_mov_b32_e32 v153, v149
	v_pk_mul_f32 v[148:149], v[150:151], v[146:147] op_sel:[0,1]
	v_pk_add_f32 v[38:39], v[38:39], v[152:153] neg_lo:[0,1] neg_hi:[0,1]
	s_delay_alu instid0(VALU_DEP_2) | instskip(SKIP_1) | instid1(VALU_DEP_1)
	v_pk_fma_f32 v[152:153], v[150:151], v[144:145], v[148:149] op_sel:[0,0,1] op_sel_hi:[1,1,0] neg_lo:[0,0,1] neg_hi:[0,0,1]
	v_pk_fma_f32 v[148:149], v[150:151], v[144:145], v[148:149] op_sel:[0,0,1] op_sel_hi:[1,0,0]
	v_mov_b32_e32 v153, v149
	ds_load_2addr_b64 v[148:151], v214 offset0:11 offset1:12
	v_pk_add_f32 v[40:41], v[40:41], v[152:153] neg_lo:[0,1] neg_hi:[0,1]
	s_wait_dscnt 0x0
	v_pk_mul_f32 v[152:153], v[148:149], v[146:147] op_sel:[0,1]
	s_delay_alu instid0(VALU_DEP_1) | instskip(SKIP_1) | instid1(VALU_DEP_1)
	v_pk_fma_f32 v[154:155], v[148:149], v[144:145], v[152:153] op_sel:[0,0,1] op_sel_hi:[1,1,0] neg_lo:[0,0,1] neg_hi:[0,0,1]
	v_pk_fma_f32 v[148:149], v[148:149], v[144:145], v[152:153] op_sel:[0,0,1] op_sel_hi:[1,0,0]
	v_mov_b32_e32 v155, v149
	v_pk_mul_f32 v[148:149], v[150:151], v[146:147] op_sel:[0,1]
	s_delay_alu instid0(VALU_DEP_2) | instskip(NEXT) | instid1(VALU_DEP_2)
	v_pk_add_f32 v[36:37], v[36:37], v[154:155] neg_lo:[0,1] neg_hi:[0,1]
	v_pk_fma_f32 v[152:153], v[150:151], v[144:145], v[148:149] op_sel:[0,0,1] op_sel_hi:[1,1,0] neg_lo:[0,0,1] neg_hi:[0,0,1]
	v_pk_fma_f32 v[148:149], v[150:151], v[144:145], v[148:149] op_sel:[0,0,1] op_sel_hi:[1,0,0]
	s_delay_alu instid0(VALU_DEP_1) | instskip(SKIP_4) | instid1(VALU_DEP_1)
	v_mov_b32_e32 v153, v149
	ds_load_2addr_b64 v[148:151], v214 offset0:13 offset1:14
	v_pk_add_f32 v[62:63], v[62:63], v[152:153] neg_lo:[0,1] neg_hi:[0,1]
	s_wait_dscnt 0x0
	v_pk_mul_f32 v[152:153], v[148:149], v[146:147] op_sel:[0,1]
	v_pk_fma_f32 v[154:155], v[148:149], v[144:145], v[152:153] op_sel:[0,0,1] op_sel_hi:[1,1,0] neg_lo:[0,0,1] neg_hi:[0,0,1]
	v_pk_fma_f32 v[148:149], v[148:149], v[144:145], v[152:153] op_sel:[0,0,1] op_sel_hi:[1,0,0]
	v_dual_mul_f32 v152, v151, v147 :: v_dual_mov_b32 v148, v151
	s_delay_alu instid0(VALU_DEP_2) | instskip(NEXT) | instid1(VALU_DEP_2)
	v_dual_mov_b32 v155, v149 :: v_dual_mov_b32 v149, v150
	v_pk_fma_f32 v[152:153], v[150:151], v[54:55], v[152:153] op_sel_hi:[1,1,0] neg_lo:[0,0,1] neg_hi:[0,0,1]
	v_mul_f32_e32 v150, v151, v144
	s_delay_alu instid0(VALU_DEP_3) | instskip(NEXT) | instid1(VALU_DEP_2)
	v_pk_add_f32 v[58:59], v[58:59], v[154:155] neg_lo:[0,1] neg_hi:[0,1]
	v_pk_fma_f32 v[148:149], v[148:149], v[54:55], v[150:151] op_sel_hi:[1,1,0]
	s_delay_alu instid0(VALU_DEP_1) | instskip(SKIP_4) | instid1(VALU_DEP_1)
	v_mov_b32_e32 v153, v149
	ds_load_2addr_b64 v[148:151], v214 offset0:15 offset1:16
	v_pk_add_f32 v[60:61], v[60:61], v[152:153] neg_lo:[0,1] neg_hi:[0,1]
	s_wait_dscnt 0x0
	v_pk_mul_f32 v[152:153], v[148:149], v[146:147] op_sel:[0,1]
	v_pk_fma_f32 v[154:155], v[148:149], v[144:145], v[152:153] op_sel:[0,0,1] op_sel_hi:[1,1,0] neg_lo:[0,0,1] neg_hi:[0,0,1]
	v_pk_fma_f32 v[148:149], v[148:149], v[144:145], v[152:153] op_sel:[0,0,1] op_sel_hi:[1,0,0]
	s_delay_alu instid0(VALU_DEP_1) | instskip(SKIP_1) | instid1(VALU_DEP_1)
	v_mov_b32_e32 v155, v149
	v_pk_mul_f32 v[148:149], v[150:151], v[146:147] op_sel:[0,1]
	v_pk_fma_f32 v[152:153], v[150:151], v[144:145], v[148:149] op_sel:[0,0,1] op_sel_hi:[1,1,0] neg_lo:[0,0,1] neg_hi:[0,0,1]
	v_pk_fma_f32 v[148:149], v[150:151], v[144:145], v[148:149] op_sel:[0,0,1] op_sel_hi:[1,0,0]
	s_delay_alu instid0(VALU_DEP_1)
	v_mov_b32_e32 v153, v149
	ds_load_2addr_b64 v[148:151], v214 offset0:17 offset1:18
	v_pk_add_f32 v[56:57], v[56:57], v[154:155] neg_lo:[0,1] neg_hi:[0,1]
	v_pk_add_f32 v[72:73], v[72:73], v[152:153] neg_lo:[0,1] neg_hi:[0,1]
	s_wait_dscnt 0x0
	v_pk_mul_f32 v[152:153], v[148:149], v[146:147] op_sel:[0,1]
	s_delay_alu instid0(VALU_DEP_1) | instskip(SKIP_1) | instid1(VALU_DEP_1)
	v_pk_fma_f32 v[154:155], v[148:149], v[144:145], v[152:153] op_sel:[0,0,1] op_sel_hi:[1,1,0] neg_lo:[0,0,1] neg_hi:[0,0,1]
	v_pk_fma_f32 v[148:149], v[148:149], v[144:145], v[152:153] op_sel:[0,0,1] op_sel_hi:[1,0,0]
	v_mov_b32_e32 v155, v149
	v_pk_mul_f32 v[148:149], v[150:151], v[146:147] op_sel:[0,1]
	s_delay_alu instid0(VALU_DEP_1) | instskip(SKIP_1) | instid1(VALU_DEP_1)
	v_pk_fma_f32 v[152:153], v[150:151], v[144:145], v[148:149] op_sel:[0,0,1] op_sel_hi:[1,1,0] neg_lo:[0,0,1] neg_hi:[0,0,1]
	v_pk_fma_f32 v[148:149], v[150:151], v[144:145], v[148:149] op_sel:[0,0,1] op_sel_hi:[1,0,0]
	v_mov_b32_e32 v153, v149
	ds_load_2addr_b64 v[148:151], v214 offset0:19 offset1:20
	v_pk_add_f32 v[112:113], v[112:113], v[154:155] neg_lo:[0,1] neg_hi:[0,1]
	v_pk_add_f32 v[114:115], v[114:115], v[152:153] neg_lo:[0,1] neg_hi:[0,1]
	s_wait_dscnt 0x0
	v_dual_mul_f32 v152, v149, v147 :: v_dual_mul_f32 v154, v149, v144
	s_delay_alu instid0(VALU_DEP_1) | instskip(NEXT) | instid1(VALU_DEP_2)
	v_pk_fma_f32 v[152:153], v[148:149], v[54:55], v[152:153] op_sel_hi:[1,1,0] neg_lo:[0,0,1] neg_hi:[0,0,1]
	v_pk_fma_f32 v[148:149], v[148:149], v[54:55], v[154:155] op_sel:[1,0,0] op_sel_hi:[0,1,0]
	s_delay_alu instid0(VALU_DEP_1) | instskip(SKIP_1) | instid1(VALU_DEP_2)
	v_mov_b32_e32 v153, v149
	v_pk_mul_f32 v[148:149], v[150:151], v[146:147] op_sel:[0,1]
	v_pk_add_f32 v[94:95], v[94:95], v[152:153] neg_lo:[0,1] neg_hi:[0,1]
	s_delay_alu instid0(VALU_DEP_2) | instskip(SKIP_1) | instid1(VALU_DEP_1)
	v_pk_fma_f32 v[152:153], v[150:151], v[144:145], v[148:149] op_sel:[0,0,1] op_sel_hi:[1,1,0] neg_lo:[0,0,1] neg_hi:[0,0,1]
	v_pk_fma_f32 v[148:149], v[150:151], v[144:145], v[148:149] op_sel:[0,0,1] op_sel_hi:[1,0,0]
	v_mov_b32_e32 v153, v149
	ds_load_2addr_b64 v[148:151], v214 offset0:21 offset1:22
	v_pk_add_f32 v[128:129], v[128:129], v[152:153] neg_lo:[0,1] neg_hi:[0,1]
	s_wait_dscnt 0x0
	v_pk_mul_f32 v[152:153], v[148:149], v[146:147] op_sel:[0,1]
	s_delay_alu instid0(VALU_DEP_1) | instskip(SKIP_1) | instid1(VALU_DEP_1)
	v_pk_fma_f32 v[154:155], v[148:149], v[144:145], v[152:153] op_sel:[0,0,1] op_sel_hi:[1,1,0] neg_lo:[0,0,1] neg_hi:[0,0,1]
	v_pk_fma_f32 v[148:149], v[148:149], v[144:145], v[152:153] op_sel:[0,0,1] op_sel_hi:[1,0,0]
	v_mov_b32_e32 v155, v149
	v_pk_mul_f32 v[148:149], v[150:151], v[146:147] op_sel:[0,1]
	s_delay_alu instid0(VALU_DEP_2) | instskip(NEXT) | instid1(VALU_DEP_2)
	v_pk_add_f32 v[124:125], v[124:125], v[154:155] neg_lo:[0,1] neg_hi:[0,1]
	v_pk_fma_f32 v[152:153], v[150:151], v[144:145], v[148:149] op_sel:[0,0,1] op_sel_hi:[1,1,0] neg_lo:[0,0,1] neg_hi:[0,0,1]
	v_pk_fma_f32 v[148:149], v[150:151], v[144:145], v[148:149] op_sel:[0,0,1] op_sel_hi:[1,0,0]
	s_delay_alu instid0(VALU_DEP_1) | instskip(SKIP_4) | instid1(VALU_DEP_1)
	v_mov_b32_e32 v153, v149
	ds_load_2addr_b64 v[148:151], v214 offset0:23 offset1:24
	v_pk_add_f32 v[126:127], v[126:127], v[152:153] neg_lo:[0,1] neg_hi:[0,1]
	s_wait_dscnt 0x0
	v_pk_mul_f32 v[152:153], v[148:149], v[146:147] op_sel:[0,1]
	v_pk_fma_f32 v[154:155], v[148:149], v[144:145], v[152:153] op_sel:[0,0,1] op_sel_hi:[1,1,0] neg_lo:[0,0,1] neg_hi:[0,0,1]
	v_pk_fma_f32 v[148:149], v[148:149], v[144:145], v[152:153] op_sel:[0,0,1] op_sel_hi:[1,0,0]
	v_dual_mul_f32 v152, v151, v147 :: v_dual_mov_b32 v148, v151
	s_delay_alu instid0(VALU_DEP_2) | instskip(NEXT) | instid1(VALU_DEP_2)
	v_dual_mov_b32 v155, v149 :: v_dual_mov_b32 v149, v150
	v_pk_fma_f32 v[152:153], v[150:151], v[54:55], v[152:153] op_sel_hi:[1,1,0] neg_lo:[0,0,1] neg_hi:[0,0,1]
	v_mul_f32_e32 v150, v151, v144
	s_delay_alu instid0(VALU_DEP_3) | instskip(NEXT) | instid1(VALU_DEP_2)
	v_pk_add_f32 v[138:139], v[138:139], v[154:155] neg_lo:[0,1] neg_hi:[0,1]
	v_pk_fma_f32 v[148:149], v[148:149], v[54:55], v[150:151] op_sel_hi:[1,1,0]
	s_delay_alu instid0(VALU_DEP_1) | instskip(SKIP_4) | instid1(VALU_DEP_1)
	v_mov_b32_e32 v153, v149
	ds_load_2addr_b64 v[148:151], v214 offset0:25 offset1:26
	v_pk_add_f32 v[136:137], v[136:137], v[152:153] neg_lo:[0,1] neg_hi:[0,1]
	s_wait_dscnt 0x0
	v_pk_mul_f32 v[152:153], v[148:149], v[146:147] op_sel:[0,1]
	v_pk_fma_f32 v[154:155], v[148:149], v[144:145], v[152:153] op_sel:[0,0,1] op_sel_hi:[1,1,0] neg_lo:[0,0,1] neg_hi:[0,0,1]
	v_pk_fma_f32 v[148:149], v[148:149], v[144:145], v[152:153] op_sel:[0,0,1] op_sel_hi:[1,0,0]
	s_delay_alu instid0(VALU_DEP_1) | instskip(SKIP_1) | instid1(VALU_DEP_1)
	v_mov_b32_e32 v155, v149
	v_pk_mul_f32 v[148:149], v[150:151], v[146:147] op_sel:[0,1]
	v_pk_fma_f32 v[152:153], v[150:151], v[144:145], v[148:149] op_sel:[0,0,1] op_sel_hi:[1,1,0] neg_lo:[0,0,1] neg_hi:[0,0,1]
	v_pk_fma_f32 v[148:149], v[150:151], v[144:145], v[148:149] op_sel:[0,0,1] op_sel_hi:[1,0,0]
	s_delay_alu instid0(VALU_DEP_1)
	v_mov_b32_e32 v153, v149
	ds_load_2addr_b64 v[148:151], v214 offset0:27 offset1:28
	v_pk_add_f32 v[134:135], v[134:135], v[154:155] neg_lo:[0,1] neg_hi:[0,1]
	v_pk_add_f32 v[100:101], v[100:101], v[152:153] neg_lo:[0,1] neg_hi:[0,1]
	s_wait_dscnt 0x0
	v_pk_mul_f32 v[152:153], v[148:149], v[146:147] op_sel:[0,1]
	s_delay_alu instid0(VALU_DEP_1) | instskip(SKIP_1) | instid1(VALU_DEP_1)
	v_pk_fma_f32 v[154:155], v[148:149], v[144:145], v[152:153] op_sel:[0,0,1] op_sel_hi:[1,1,0] neg_lo:[0,0,1] neg_hi:[0,0,1]
	v_pk_fma_f32 v[148:149], v[148:149], v[144:145], v[152:153] op_sel:[0,0,1] op_sel_hi:[1,0,0]
	v_mov_b32_e32 v155, v149
	v_pk_mul_f32 v[148:149], v[150:151], v[146:147] op_sel:[0,1]
	s_delay_alu instid0(VALU_DEP_1) | instskip(SKIP_1) | instid1(VALU_DEP_1)
	v_pk_fma_f32 v[152:153], v[150:151], v[144:145], v[148:149] op_sel:[0,0,1] op_sel_hi:[1,1,0] neg_lo:[0,0,1] neg_hi:[0,0,1]
	v_pk_fma_f32 v[148:149], v[150:151], v[144:145], v[148:149] op_sel:[0,0,1] op_sel_hi:[1,0,0]
	v_mov_b32_e32 v153, v149
	ds_load_2addr_b64 v[148:151], v214 offset0:29 offset1:30
	v_pk_add_f32 v[98:99], v[98:99], v[154:155] neg_lo:[0,1] neg_hi:[0,1]
	v_pk_add_f32 v[120:121], v[120:121], v[152:153] neg_lo:[0,1] neg_hi:[0,1]
	s_wait_dscnt 0x0
	v_dual_mul_f32 v152, v149, v147 :: v_dual_mul_f32 v154, v149, v144
	s_delay_alu instid0(VALU_DEP_1) | instskip(NEXT) | instid1(VALU_DEP_2)
	v_pk_fma_f32 v[152:153], v[148:149], v[54:55], v[152:153] op_sel_hi:[1,1,0] neg_lo:[0,0,1] neg_hi:[0,0,1]
	v_pk_fma_f32 v[148:149], v[148:149], v[54:55], v[154:155] op_sel:[1,0,0] op_sel_hi:[0,1,0]
	s_delay_alu instid0(VALU_DEP_1) | instskip(SKIP_1) | instid1(VALU_DEP_2)
	v_mov_b32_e32 v153, v149
	v_pk_mul_f32 v[148:149], v[150:151], v[146:147] op_sel:[0,1]
	v_pk_add_f32 v[116:117], v[116:117], v[152:153] neg_lo:[0,1] neg_hi:[0,1]
	s_delay_alu instid0(VALU_DEP_2) | instskip(SKIP_1) | instid1(VALU_DEP_1)
	v_pk_fma_f32 v[152:153], v[150:151], v[144:145], v[148:149] op_sel:[0,0,1] op_sel_hi:[1,1,0] neg_lo:[0,0,1] neg_hi:[0,0,1]
	v_pk_fma_f32 v[148:149], v[150:151], v[144:145], v[148:149] op_sel:[0,0,1] op_sel_hi:[1,0,0]
	v_mov_b32_e32 v153, v149
	ds_load_2addr_b64 v[148:151], v214 offset0:31 offset1:32
	v_pk_add_f32 v[118:119], v[118:119], v[152:153] neg_lo:[0,1] neg_hi:[0,1]
	s_wait_dscnt 0x0
	v_pk_mul_f32 v[152:153], v[148:149], v[146:147] op_sel:[0,1]
	s_delay_alu instid0(VALU_DEP_1) | instskip(SKIP_1) | instid1(VALU_DEP_1)
	v_pk_fma_f32 v[154:155], v[148:149], v[144:145], v[152:153] op_sel:[0,0,1] op_sel_hi:[1,1,0] neg_lo:[0,0,1] neg_hi:[0,0,1]
	v_pk_fma_f32 v[148:149], v[148:149], v[144:145], v[152:153] op_sel:[0,0,1] op_sel_hi:[1,0,0]
	v_mov_b32_e32 v155, v149
	v_pk_mul_f32 v[148:149], v[150:151], v[146:147] op_sel:[0,1]
	s_delay_alu instid0(VALU_DEP_2) | instskip(NEXT) | instid1(VALU_DEP_2)
	v_pk_add_f32 v[132:133], v[132:133], v[154:155] neg_lo:[0,1] neg_hi:[0,1]
	v_pk_fma_f32 v[152:153], v[150:151], v[144:145], v[148:149] op_sel:[0,0,1] op_sel_hi:[1,1,0] neg_lo:[0,0,1] neg_hi:[0,0,1]
	v_pk_fma_f32 v[148:149], v[150:151], v[144:145], v[148:149] op_sel:[0,0,1] op_sel_hi:[1,0,0]
	s_delay_alu instid0(VALU_DEP_1)
	v_mov_b32_e32 v153, v149
	ds_load_2addr_b64 v[148:151], v214 offset0:33 offset1:34
	v_pk_add_f32 v[130:131], v[130:131], v[152:153] neg_lo:[0,1] neg_hi:[0,1]
	s_wait_dscnt 0x0
	v_pk_mul_f32 v[152:153], v[148:149], v[146:147] op_sel:[0,1]
	v_pk_mul_f32 v[146:147], v[150:151], v[146:147] op_sel:[0,1]
	s_delay_alu instid0(VALU_DEP_2) | instskip(SKIP_1) | instid1(VALU_DEP_1)
	v_pk_fma_f32 v[154:155], v[148:149], v[144:145], v[152:153] op_sel:[0,0,1] op_sel_hi:[1,1,0] neg_lo:[0,0,1] neg_hi:[0,0,1]
	v_pk_fma_f32 v[148:149], v[148:149], v[144:145], v[152:153] op_sel:[0,0,1] op_sel_hi:[1,0,0]
	v_mov_b32_e32 v155, v149
	s_delay_alu instid0(VALU_DEP_4) | instskip(SKIP_1) | instid1(VALU_DEP_3)
	v_pk_fma_f32 v[148:149], v[150:151], v[144:145], v[146:147] op_sel:[0,0,1] op_sel_hi:[1,1,0] neg_lo:[0,0,1] neg_hi:[0,0,1]
	v_pk_fma_f32 v[144:145], v[150:151], v[144:145], v[146:147] op_sel:[0,0,1] op_sel_hi:[1,0,0]
	v_pk_add_f32 v[122:123], v[122:123], v[154:155] neg_lo:[0,1] neg_hi:[0,1]
	s_delay_alu instid0(VALU_DEP_2) | instskip(NEXT) | instid1(VALU_DEP_1)
	v_mov_b32_e32 v149, v145
	v_pk_add_f32 v[140:141], v[140:141], v[148:149] neg_lo:[0,1] neg_hi:[0,1]
.LBB69_10:
	s_or_b32 exec_lo, exec_lo, s2
	s_delay_alu instid0(SALU_CYCLE_1)
	s_mov_b32 s2, exec_lo
	s_wait_dscnt 0x0
	s_barrier_signal -1
	s_barrier_wait -1
	v_cmpx_eq_u32_e32 1, v212
	s_cbranch_execz .LBB69_17
; %bb.11:
	v_dual_mov_b32 v144, v82 :: v_dual_mov_b32 v145, v83
	v_dual_mov_b32 v146, v46 :: v_dual_mov_b32 v147, v47
	ds_store_b64 v213, v[86:87]
	ds_store_2addr_b64 v214, v[144:145], v[146:147] offset0:2 offset1:3
	v_dual_mov_b32 v144, v28 :: v_dual_mov_b32 v145, v29
	v_dual_mov_b32 v146, v24 :: v_dual_mov_b32 v147, v25
	ds_store_2addr_b64 v214, v[144:145], v[146:147] offset0:4 offset1:5
	v_dual_mov_b32 v144, v26 :: v_dual_mov_b32 v145, v27
	v_dual_mov_b32 v146, v22 :: v_dual_mov_b32 v147, v23
	;; [unrolled: 3-line block ×15, first 2 shown]
	ds_store_2addr_b64 v214, v[144:145], v[146:147] offset0:32 offset1:33
	ds_store_b64 v214, v[140:141] offset:272
	ds_load_b64 v[144:145], v213
	s_wait_dscnt 0x0
	v_cmp_neq_f32_e32 vcc_lo, 0, v144
	v_cmp_neq_f32_e64 s1, 0, v145
	s_or_b32 s1, vcc_lo, s1
	s_delay_alu instid0(SALU_CYCLE_1)
	s_and_b32 exec_lo, exec_lo, s1
	s_cbranch_execz .LBB69_17
; %bb.12:
	v_cmp_ngt_f32_e64 s1, |v144|, |v145|
                                        ; implicit-def: $vgpr146_vgpr147
	s_and_saveexec_b32 s4, s1
	s_delay_alu instid0(SALU_CYCLE_1)
	s_xor_b32 s1, exec_lo, s4
	s_cbranch_execz .LBB69_14
; %bb.13:
	v_div_scale_f32 v146, null, v145, v145, v144
	v_div_scale_f32 v149, vcc_lo, v144, v145, v144
	s_delay_alu instid0(VALU_DEP_2) | instskip(SKIP_1) | instid1(TRANS32_DEP_1)
	v_rcp_f32_e32 v147, v146
	v_nop
	v_fma_f32 v148, -v146, v147, 1.0
	s_delay_alu instid0(VALU_DEP_1) | instskip(NEXT) | instid1(VALU_DEP_1)
	v_fmac_f32_e32 v147, v148, v147
	v_mul_f32_e32 v148, v149, v147
	s_delay_alu instid0(VALU_DEP_1) | instskip(NEXT) | instid1(VALU_DEP_1)
	v_fma_f32 v150, -v146, v148, v149
	v_fmac_f32_e32 v148, v150, v147
	s_delay_alu instid0(VALU_DEP_1) | instskip(NEXT) | instid1(VALU_DEP_1)
	v_fma_f32 v146, -v146, v148, v149
	v_div_fmas_f32 v146, v146, v147, v148
	s_delay_alu instid0(VALU_DEP_1) | instskip(NEXT) | instid1(VALU_DEP_1)
	v_div_fixup_f32 v146, v146, v145, v144
	v_fmac_f32_e32 v145, v144, v146
	s_delay_alu instid0(VALU_DEP_1) | instskip(SKIP_1) | instid1(VALU_DEP_2)
	v_div_scale_f32 v144, null, v145, v145, 1.0
	v_div_scale_f32 v149, vcc_lo, 1.0, v145, 1.0
	v_rcp_f32_e32 v147, v144
	v_nop
	s_delay_alu instid0(TRANS32_DEP_1) | instskip(NEXT) | instid1(VALU_DEP_1)
	v_fma_f32 v148, -v144, v147, 1.0
	v_fmac_f32_e32 v147, v148, v147
	s_delay_alu instid0(VALU_DEP_1) | instskip(NEXT) | instid1(VALU_DEP_1)
	v_mul_f32_e32 v148, v149, v147
	v_fma_f32 v150, -v144, v148, v149
	s_delay_alu instid0(VALU_DEP_1) | instskip(NEXT) | instid1(VALU_DEP_1)
	v_fmac_f32_e32 v148, v150, v147
	v_fma_f32 v144, -v144, v148, v149
	s_delay_alu instid0(VALU_DEP_1) | instskip(NEXT) | instid1(VALU_DEP_1)
	v_div_fmas_f32 v144, v144, v147, v148
	v_div_fixup_f32 v144, v144, v145, 1.0
	s_delay_alu instid0(VALU_DEP_1)
	v_mul_f32_e32 v146, v146, v144
	v_xor_b32_e32 v147, 0x80000000, v144
                                        ; implicit-def: $vgpr144_vgpr145
.LBB69_14:
	s_and_not1_saveexec_b32 s1, s1
	s_cbranch_execz .LBB69_16
; %bb.15:
	v_div_scale_f32 v146, null, v144, v144, v145
	v_div_scale_f32 v149, vcc_lo, v145, v144, v145
	s_delay_alu instid0(VALU_DEP_2) | instskip(SKIP_1) | instid1(TRANS32_DEP_1)
	v_rcp_f32_e32 v147, v146
	v_nop
	v_fma_f32 v148, -v146, v147, 1.0
	s_delay_alu instid0(VALU_DEP_1) | instskip(NEXT) | instid1(VALU_DEP_1)
	v_fmac_f32_e32 v147, v148, v147
	v_mul_f32_e32 v148, v149, v147
	s_delay_alu instid0(VALU_DEP_1) | instskip(NEXT) | instid1(VALU_DEP_1)
	v_fma_f32 v150, -v146, v148, v149
	v_fmac_f32_e32 v148, v150, v147
	s_delay_alu instid0(VALU_DEP_1) | instskip(NEXT) | instid1(VALU_DEP_1)
	v_fma_f32 v146, -v146, v148, v149
	v_div_fmas_f32 v146, v146, v147, v148
	s_delay_alu instid0(VALU_DEP_1) | instskip(NEXT) | instid1(VALU_DEP_1)
	v_div_fixup_f32 v147, v146, v144, v145
	v_fmac_f32_e32 v144, v145, v147
	s_delay_alu instid0(VALU_DEP_1) | instskip(NEXT) | instid1(VALU_DEP_1)
	v_div_scale_f32 v145, null, v144, v144, 1.0
	v_rcp_f32_e32 v146, v145
	v_nop
	s_delay_alu instid0(TRANS32_DEP_1) | instskip(NEXT) | instid1(VALU_DEP_1)
	v_fma_f32 v148, -v145, v146, 1.0
	v_fmac_f32_e32 v146, v148, v146
	v_div_scale_f32 v148, vcc_lo, 1.0, v144, 1.0
	s_delay_alu instid0(VALU_DEP_1) | instskip(NEXT) | instid1(VALU_DEP_1)
	v_mul_f32_e32 v149, v148, v146
	v_fma_f32 v150, -v145, v149, v148
	s_delay_alu instid0(VALU_DEP_1) | instskip(NEXT) | instid1(VALU_DEP_1)
	v_fmac_f32_e32 v149, v150, v146
	v_fma_f32 v145, -v145, v149, v148
	s_delay_alu instid0(VALU_DEP_1) | instskip(NEXT) | instid1(VALU_DEP_1)
	v_div_fmas_f32 v145, v145, v146, v149
	v_div_fixup_f32 v146, v145, v144, 1.0
	s_delay_alu instid0(VALU_DEP_1)
	v_mul_f32_e64 v147, v147, -v146
.LBB69_16:
	s_or_b32 exec_lo, exec_lo, s1
	ds_store_b64 v213, v[146:147]
.LBB69_17:
	s_or_b32 exec_lo, exec_lo, s2
	s_wait_dscnt 0x0
	s_barrier_signal -1
	s_barrier_wait -1
	ds_load_b64 v[144:145], v213
	s_mov_b32 s1, exec_lo
	v_cmpx_lt_u32_e32 1, v212
	s_cbranch_execz .LBB69_19
; %bb.18:
	ds_load_2addr_b64 v[150:153], v214 offset0:2 offset1:3
	ds_load_2addr_b64 v[154:157], v214 offset0:4 offset1:5
	;; [unrolled: 1-line block ×3, first 2 shown]
	s_wait_dscnt 0x3
	v_pk_mul_f32 v[148:149], v[144:145], v[86:87] op_sel:[1,1] op_sel_hi:[0,1]
	ds_load_2addr_b64 v[162:165], v214 offset0:8 offset1:9
	ds_load_2addr_b64 v[166:169], v214 offset0:10 offset1:11
	v_pk_fma_f32 v[146:147], v[144:145], v[86:87], v[148:149] op_sel_hi:[1,0,1] neg_lo:[0,0,1] neg_hi:[0,0,1]
	v_pk_fma_f32 v[148:149], v[144:145], v[86:87], v[148:149] op_sel_hi:[1,0,1]
	s_delay_alu instid0(VALU_DEP_1) | instskip(SKIP_1) | instid1(VALU_DEP_2)
	v_dual_mov_b32 v86, v146 :: v_dual_mov_b32 v87, v149
	s_wait_dscnt 0x4
	v_pk_mul_f32 v[170:171], v[150:151], v[148:149] op_sel:[0,1]
	v_pk_mul_f32 v[172:173], v[152:153], v[148:149] op_sel:[0,1]
	s_wait_dscnt 0x3
	v_pk_mul_f32 v[174:175], v[154:155], v[148:149] op_sel:[0,1]
	v_dual_mov_b32 v176, v157 :: v_dual_mov_b32 v177, v156
	v_dual_mul_f32 v178, v157, v149 :: v_dual_mul_f32 v180, v157, v146
	s_wait_dscnt 0x2
	v_pk_mul_f32 v[182:183], v[158:159], v[148:149] op_sel:[0,1]
	v_pk_mul_f32 v[184:185], v[160:161], v[148:149] op_sel:[0,1]
	v_pk_fma_f32 v[186:187], v[150:151], v[146:147], v[170:171] op_sel:[0,0,1] op_sel_hi:[1,1,0] neg_lo:[0,0,1] neg_hi:[0,0,1]
	v_pk_fma_f32 v[150:151], v[150:151], v[146:147], v[170:171] op_sel:[0,0,1] op_sel_hi:[1,0,0]
	v_pk_fma_f32 v[170:171], v[152:153], v[146:147], v[172:173] op_sel:[0,0,1] op_sel_hi:[1,1,0] neg_lo:[0,0,1] neg_hi:[0,0,1]
	v_pk_fma_f32 v[152:153], v[152:153], v[146:147], v[172:173] op_sel:[0,0,1] op_sel_hi:[1,0,0]
	;; [unrolled: 2-line block ×3, first 2 shown]
	v_pk_fma_f32 v[174:175], v[176:177], v[86:87], v[180:181] op_sel_hi:[1,1,0]
	v_pk_fma_f32 v[176:177], v[158:159], v[146:147], v[182:183] op_sel:[0,0,1] op_sel_hi:[1,1,0] neg_lo:[0,0,1] neg_hi:[0,0,1]
	v_pk_fma_f32 v[158:159], v[158:159], v[146:147], v[182:183] op_sel:[0,0,1] op_sel_hi:[1,0,0]
	v_dual_mov_b32 v187, v151 :: v_dual_mov_b32 v171, v153
	v_pk_fma_f32 v[150:151], v[160:161], v[146:147], v[184:185] op_sel:[0,0,1] op_sel_hi:[1,0,0]
	v_pk_fma_f32 v[156:157], v[156:157], v[86:87], v[178:179] op_sel_hi:[1,1,0] neg_lo:[0,0,1] neg_hi:[0,0,1]
	v_pk_fma_f32 v[152:153], v[160:161], v[146:147], v[184:185] op_sel:[0,0,1] op_sel_hi:[1,1,0] neg_lo:[0,0,1] neg_hi:[0,0,1]
	v_dual_mov_b32 v173, v155 :: v_dual_mov_b32 v157, v175
	s_delay_alu instid0(VALU_DEP_4)
	v_dual_mov_b32 v177, v159 :: v_dual_mov_b32 v153, v151
	s_wait_dscnt 0x1
	v_pk_mul_f32 v[154:155], v[162:163], v[148:149] op_sel:[0,1]
	v_pk_add_f32 v[46:47], v[46:47], v[170:171] neg_lo:[0,1] neg_hi:[0,1]
	v_pk_add_f32 v[24:25], v[24:25], v[156:157] neg_lo:[0,1] neg_hi:[0,1]
	;; [unrolled: 1-line block ×4, first 2 shown]
	v_pk_fma_f32 v[158:159], v[162:163], v[146:147], v[154:155] op_sel:[0,0,1] op_sel_hi:[1,0,0]
	ds_load_2addr_b64 v[150:153], v214 offset0:12 offset1:13
	v_pk_fma_f32 v[160:161], v[162:163], v[146:147], v[154:155] op_sel:[0,0,1] op_sel_hi:[1,1,0] neg_lo:[0,0,1] neg_hi:[0,0,1]
	ds_load_2addr_b64 v[154:157], v214 offset0:14 offset1:15
	v_pk_mul_f32 v[162:163], v[164:165], v[148:149] op_sel:[0,1]
	s_wait_dscnt 0x2
	v_mul_f32_e32 v158, v167, v146
	v_pk_mul_f32 v[170:171], v[168:169], v[148:149] op_sel:[0,1]
	v_pk_add_f32 v[26:27], v[26:27], v[176:177] neg_lo:[0,1] neg_hi:[0,1]
	v_pk_add_f32 v[82:83], v[82:83], v[186:187] neg_lo:[0,1] neg_hi:[0,1]
	v_pk_fma_f32 v[172:173], v[164:165], v[146:147], v[162:163] op_sel:[0,0,1] op_sel_hi:[1,0,0]
	v_mul_f32_e32 v172, v167, v149
	v_mov_b32_e32 v161, v159
	v_pk_fma_f32 v[158:159], v[166:167], v[86:87], v[158:159] op_sel:[1,0,0] op_sel_hi:[0,1,0]
	v_pk_fma_f32 v[162:163], v[164:165], v[146:147], v[162:163] op_sel:[0,0,1] op_sel_hi:[1,1,0] neg_lo:[0,0,1] neg_hi:[0,0,1]
	v_pk_fma_f32 v[164:165], v[168:169], v[146:147], v[170:171] op_sel:[0,0,1] op_sel_hi:[1,0,0]
	v_mov_b32_e32 v163, v173
	v_pk_fma_f32 v[166:167], v[166:167], v[86:87], v[172:173] op_sel_hi:[1,1,0] neg_lo:[0,0,1] neg_hi:[0,0,1]
	v_mov_b32_e32 v167, v159
	v_pk_fma_f32 v[158:159], v[168:169], v[146:147], v[170:171] op_sel:[0,0,1] op_sel_hi:[1,1,0] neg_lo:[0,0,1] neg_hi:[0,0,1]
	v_mov_b32_e32 v159, v165
	v_pk_add_f32 v[38:39], v[38:39], v[162:163] neg_lo:[0,1] neg_hi:[0,1]
	s_wait_dscnt 0x1
	v_pk_mul_f32 v[162:163], v[150:151], v[148:149] op_sel:[0,1]
	v_pk_add_f32 v[42:43], v[42:43], v[160:161] neg_lo:[0,1] neg_hi:[0,1]
	s_wait_dscnt 0x0
	v_pk_mul_f32 v[168:169], v[154:155], v[148:149] op_sel:[0,1]
	v_pk_add_f32 v[40:41], v[40:41], v[166:167] neg_lo:[0,1] neg_hi:[0,1]
	v_pk_add_f32 v[36:37], v[36:37], v[158:159] neg_lo:[0,1] neg_hi:[0,1]
	v_pk_mul_f32 v[166:167], v[152:153], v[148:149] op_sel:[0,1]
	ds_load_2addr_b64 v[158:161], v214 offset0:16 offset1:17
	v_pk_fma_f32 v[170:171], v[150:151], v[146:147], v[162:163] op_sel:[0,0,1] op_sel_hi:[1,0,0]
	v_pk_fma_f32 v[150:151], v[150:151], v[146:147], v[162:163] op_sel:[0,0,1] op_sel_hi:[1,1,0] neg_lo:[0,0,1] neg_hi:[0,0,1]
	ds_load_2addr_b64 v[162:165], v214 offset0:18 offset1:19
	v_pk_fma_f32 v[174:175], v[154:155], v[146:147], v[168:169] op_sel:[0,0,1] op_sel_hi:[1,0,0]
	v_pk_fma_f32 v[154:155], v[154:155], v[146:147], v[168:169] op_sel:[0,0,1] op_sel_hi:[1,1,0] neg_lo:[0,0,1] neg_hi:[0,0,1]
	v_pk_fma_f32 v[172:173], v[152:153], v[146:147], v[166:167] op_sel:[0,0,1] op_sel_hi:[1,0,0]
	v_pk_fma_f32 v[152:153], v[152:153], v[146:147], v[166:167] op_sel:[0,0,1] op_sel_hi:[1,1,0] neg_lo:[0,0,1] neg_hi:[0,0,1]
	s_delay_alu instid0(VALU_DEP_4) | instskip(SKIP_1) | instid1(VALU_DEP_4)
	v_dual_mov_b32 v166, v157 :: v_dual_mov_b32 v155, v175
	v_dual_mov_b32 v167, v156 :: v_dual_mul_f32 v168, v157, v146
	v_dual_mov_b32 v151, v171 :: v_dual_mov_b32 v153, v173
	s_delay_alu instid0(VALU_DEP_3) | instskip(NEXT) | instid1(VALU_DEP_3)
	v_pk_add_f32 v[60:61], v[60:61], v[154:155] neg_lo:[0,1] neg_hi:[0,1]
	v_pk_fma_f32 v[154:155], v[166:167], v[86:87], v[168:169] op_sel_hi:[1,1,0]
	v_mul_f32_e32 v170, v157, v149
	s_delay_alu instid0(VALU_DEP_4)
	v_pk_add_f32 v[62:63], v[62:63], v[150:151] neg_lo:[0,1] neg_hi:[0,1]
	v_pk_add_f32 v[58:59], v[58:59], v[152:153] neg_lo:[0,1] neg_hi:[0,1]
	ds_load_2addr_b64 v[150:153], v214 offset0:20 offset1:21
	s_wait_dscnt 0x2
	v_pk_mul_f32 v[168:169], v[158:159], v[148:149] op_sel:[0,1]
	v_pk_fma_f32 v[166:167], v[156:157], v[86:87], v[170:171] op_sel_hi:[1,1,0] neg_lo:[0,0,1] neg_hi:[0,0,1]
	v_mov_b32_e32 v167, v155
	ds_load_2addr_b64 v[154:157], v214 offset0:22 offset1:23
	v_pk_mul_f32 v[170:171], v[160:161], v[148:149] op_sel:[0,1]
	s_wait_dscnt 0x2
	v_pk_mul_f32 v[172:173], v[162:163], v[148:149] op_sel:[0,1]
	v_pk_fma_f32 v[174:175], v[158:159], v[146:147], v[168:169] op_sel:[0,0,1] op_sel_hi:[1,0,0]
	v_pk_fma_f32 v[158:159], v[158:159], v[146:147], v[168:169] op_sel:[0,0,1] op_sel_hi:[1,1,0] neg_lo:[0,0,1] neg_hi:[0,0,1]
	v_pk_add_f32 v[56:57], v[56:57], v[166:167] neg_lo:[0,1] neg_hi:[0,1]
	v_pk_fma_f32 v[176:177], v[160:161], v[146:147], v[170:171] op_sel:[0,0,1] op_sel_hi:[1,0,0]
	v_pk_fma_f32 v[168:169], v[162:163], v[146:147], v[172:173] op_sel:[0,0,1] op_sel_hi:[1,0,0]
	v_pk_fma_f32 v[160:161], v[160:161], v[146:147], v[170:171] op_sel:[0,0,1] op_sel_hi:[1,1,0] neg_lo:[0,0,1] neg_hi:[0,0,1]
	v_pk_fma_f32 v[162:163], v[162:163], v[146:147], v[172:173] op_sel:[0,0,1] op_sel_hi:[1,1,0] neg_lo:[0,0,1] neg_hi:[0,0,1]
	s_delay_alu instid0(VALU_DEP_4) | instskip(NEXT) | instid1(VALU_DEP_4)
	v_dual_mov_b32 v159, v175 :: v_dual_mov_b32 v161, v177
	v_mov_b32_e32 v163, v169
	v_pk_mul_f32 v[168:169], v[164:165], v[148:149] op_sel:[0,1]
	s_delay_alu instid0(VALU_DEP_3) | instskip(NEXT) | instid1(VALU_DEP_4)
	v_pk_add_f32 v[72:73], v[72:73], v[158:159] neg_lo:[0,1] neg_hi:[0,1]
	v_pk_add_f32 v[112:113], v[112:113], v[160:161] neg_lo:[0,1] neg_hi:[0,1]
	s_delay_alu instid0(VALU_DEP_4) | instskip(NEXT) | instid1(VALU_DEP_4)
	v_pk_add_f32 v[114:115], v[114:115], v[162:163] neg_lo:[0,1] neg_hi:[0,1]
	v_pk_fma_f32 v[162:163], v[164:165], v[146:147], v[168:169] op_sel:[0,0,1] op_sel_hi:[1,1,0] neg_lo:[0,0,1] neg_hi:[0,0,1]
	v_pk_fma_f32 v[164:165], v[164:165], v[146:147], v[168:169] op_sel:[0,0,1] op_sel_hi:[1,0,0]
	ds_load_2addr_b64 v[158:161], v214 offset0:24 offset1:25
	s_wait_dscnt 0x2
	v_dual_mul_f32 v164, v151, v146 :: v_dual_mul_f32 v166, v151, v149
	s_wait_dscnt 0x1
	v_pk_mul_f32 v[170:171], v[154:155], v[148:149] op_sel:[0,1]
	v_pk_mul_f32 v[168:169], v[152:153], v[148:149] op_sel:[0,1]
	v_mov_b32_e32 v163, v165
	v_pk_fma_f32 v[172:173], v[150:151], v[86:87], v[164:165] op_sel:[1,0,0] op_sel_hi:[0,1,0]
	v_pk_fma_f32 v[166:167], v[150:151], v[86:87], v[166:167] op_sel_hi:[1,1,0] neg_lo:[0,0,1] neg_hi:[0,0,1]
	v_pk_fma_f32 v[150:151], v[154:155], v[146:147], v[170:171] op_sel:[0,0,1] op_sel_hi:[1,0,0]
	v_pk_fma_f32 v[154:155], v[154:155], v[146:147], v[170:171] op_sel:[0,0,1] op_sel_hi:[1,1,0] neg_lo:[0,0,1] neg_hi:[0,0,1]
	v_pk_fma_f32 v[164:165], v[152:153], v[146:147], v[168:169] op_sel:[0,0,1] op_sel_hi:[1,0,0]
	v_pk_fma_f32 v[168:169], v[152:153], v[146:147], v[168:169] op_sel:[0,0,1] op_sel_hi:[1,1,0] neg_lo:[0,0,1] neg_hi:[0,0,1]
	s_delay_alu instid0(VALU_DEP_4)
	v_dual_mov_b32 v167, v173 :: v_dual_mov_b32 v155, v151
	ds_load_2addr_b64 v[150:153], v214 offset0:26 offset1:27
	v_mov_b32_e32 v169, v165
	v_pk_mul_f32 v[164:165], v[156:157], v[148:149] op_sel:[0,1]
	v_pk_add_f32 v[128:129], v[128:129], v[166:167] neg_lo:[0,1] neg_hi:[0,1]
	v_pk_add_f32 v[94:95], v[94:95], v[162:163] neg_lo:[0,1] neg_hi:[0,1]
	s_wait_dscnt 0x1
	v_pk_mul_f32 v[166:167], v[158:159], v[148:149] op_sel:[0,1]
	v_pk_fma_f32 v[162:163], v[156:157], v[146:147], v[164:165] op_sel:[0,0,1] op_sel_hi:[1,1,0] neg_lo:[0,0,1] neg_hi:[0,0,1]
	v_pk_fma_f32 v[164:165], v[156:157], v[146:147], v[164:165] op_sel:[0,0,1] op_sel_hi:[1,0,0]
	v_pk_add_f32 v[124:125], v[124:125], v[168:169] neg_lo:[0,1] neg_hi:[0,1]
	v_mov_b32_e32 v168, v161
	v_pk_fma_f32 v[170:171], v[158:159], v[146:147], v[166:167] op_sel:[0,0,1] op_sel_hi:[1,0,0]
	v_pk_add_f32 v[126:127], v[126:127], v[154:155] neg_lo:[0,1] neg_hi:[0,1]
	v_dual_mov_b32 v169, v160 :: v_dual_mul_f32 v164, v161, v146
	ds_load_2addr_b64 v[154:157], v214 offset0:28 offset1:29
	v_mul_f32_e32 v170, v161, v149
	v_pk_fma_f32 v[166:167], v[158:159], v[146:147], v[166:167] op_sel:[0,0,1] op_sel_hi:[1,1,0] neg_lo:[0,0,1] neg_hi:[0,0,1]
	v_mov_b32_e32 v163, v165
	v_pk_fma_f32 v[164:165], v[168:169], v[86:87], v[164:165] op_sel_hi:[1,1,0]
	v_mov_b32_e32 v167, v171
	v_pk_fma_f32 v[168:169], v[160:161], v[86:87], v[170:171] op_sel_hi:[1,1,0] neg_lo:[0,0,1] neg_hi:[0,0,1]
	s_wait_dscnt 0x1
	v_pk_mul_f32 v[170:171], v[150:151], v[148:149] op_sel:[0,1]
	ds_load_2addr_b64 v[158:161], v214 offset0:30 offset1:31
	v_mov_b32_e32 v169, v165
	v_pk_add_f32 v[138:139], v[138:139], v[162:163] neg_lo:[0,1] neg_hi:[0,1]
	v_pk_mul_f32 v[162:163], v[152:153], v[148:149] op_sel:[0,1]
	v_pk_fma_f32 v[164:165], v[150:151], v[146:147], v[170:171] op_sel:[0,0,1] op_sel_hi:[1,0,0]
	v_pk_add_f32 v[136:137], v[136:137], v[166:167] neg_lo:[0,1] neg_hi:[0,1]
	v_pk_fma_f32 v[166:167], v[150:151], v[146:147], v[170:171] op_sel:[0,0,1] op_sel_hi:[1,1,0] neg_lo:[0,0,1] neg_hi:[0,0,1]
	v_pk_add_f32 v[134:135], v[134:135], v[168:169] neg_lo:[0,1] neg_hi:[0,1]
	v_pk_fma_f32 v[168:169], v[152:153], v[146:147], v[162:163] op_sel:[0,0,1] op_sel_hi:[1,0,0]
	v_mov_b32_e32 v167, v165
	v_pk_fma_f32 v[162:163], v[152:153], v[146:147], v[162:163] op_sel:[0,0,1] op_sel_hi:[1,1,0] neg_lo:[0,0,1] neg_hi:[0,0,1]
	ds_load_2addr_b64 v[150:153], v214 offset0:32 offset1:33
	s_wait_dscnt 0x2
	v_pk_mul_f32 v[164:165], v[154:155], v[148:149] op_sel:[0,1]
	v_mov_b32_e32 v163, v169
	v_pk_add_f32 v[100:101], v[100:101], v[166:167] neg_lo:[0,1] neg_hi:[0,1]
	ds_load_b64 v[166:167], v214 offset:272
	v_pk_mul_f32 v[168:169], v[156:157], v[148:149] op_sel:[0,1]
	v_pk_fma_f32 v[170:171], v[154:155], v[146:147], v[164:165] op_sel:[0,0,1] op_sel_hi:[1,0,0]
	v_pk_add_f32 v[98:99], v[98:99], v[162:163] neg_lo:[0,1] neg_hi:[0,1]
	v_pk_fma_f32 v[154:155], v[154:155], v[146:147], v[164:165] op_sel:[0,0,1] op_sel_hi:[1,1,0] neg_lo:[0,0,1] neg_hi:[0,0,1]
	s_wait_dscnt 0x2
	v_mul_f32_e32 v164, v159, v149
	v_pk_fma_f32 v[162:163], v[156:157], v[146:147], v[168:169] op_sel:[0,0,1] op_sel_hi:[1,0,0]
	v_mul_f32_e32 v162, v159, v146
	v_mov_b32_e32 v155, v171
	v_pk_fma_f32 v[156:157], v[156:157], v[146:147], v[168:169] op_sel:[0,0,1] op_sel_hi:[1,1,0] neg_lo:[0,0,1] neg_hi:[0,0,1]
	s_delay_alu instid0(VALU_DEP_4) | instskip(NEXT) | instid1(VALU_DEP_4)
	v_mov_b32_e32 v157, v163
	v_pk_fma_f32 v[162:163], v[158:159], v[86:87], v[162:163] op_sel:[1,0,0] op_sel_hi:[0,1,0]
	s_delay_alu instid0(VALU_DEP_4) | instskip(SKIP_1) | instid1(VALU_DEP_4)
	v_pk_add_f32 v[120:121], v[120:121], v[154:155] neg_lo:[0,1] neg_hi:[0,1]
	v_pk_mul_f32 v[154:155], v[160:161], v[148:149] op_sel:[0,1]
	v_pk_add_f32 v[116:117], v[116:117], v[156:157] neg_lo:[0,1] neg_hi:[0,1]
	v_pk_fma_f32 v[156:157], v[158:159], v[86:87], v[164:165] op_sel_hi:[1,1,0] neg_lo:[0,0,1] neg_hi:[0,0,1]
	v_mov_b32_e32 v157, v163
	s_wait_dscnt 0x1
	v_pk_mul_f32 v[158:159], v[150:151], v[148:149] op_sel:[0,1]
	v_pk_fma_f32 v[162:163], v[160:161], v[146:147], v[154:155] op_sel:[0,0,1] op_sel_hi:[1,0,0]
	v_pk_mul_f32 v[164:165], v[152:153], v[148:149] op_sel:[0,1]
	s_wait_dscnt 0x0
	v_pk_mul_f32 v[148:149], v[166:167], v[148:149] op_sel:[0,1]
	v_pk_fma_f32 v[154:155], v[160:161], v[146:147], v[154:155] op_sel:[0,0,1] op_sel_hi:[1,1,0] neg_lo:[0,0,1] neg_hi:[0,0,1]
	v_pk_fma_f32 v[160:161], v[150:151], v[146:147], v[158:159] op_sel:[0,0,1] op_sel_hi:[1,0,0]
	v_mov_b32_e32 v155, v163
	v_pk_fma_f32 v[162:163], v[152:153], v[146:147], v[164:165] op_sel:[0,0,1] op_sel_hi:[1,0,0]
	v_pk_fma_f32 v[150:151], v[150:151], v[146:147], v[158:159] op_sel:[0,0,1] op_sel_hi:[1,1,0] neg_lo:[0,0,1] neg_hi:[0,0,1]
	v_pk_fma_f32 v[158:159], v[166:167], v[146:147], v[148:149] op_sel:[0,0,1] op_sel_hi:[1,0,0]
	v_pk_fma_f32 v[152:153], v[152:153], v[146:147], v[164:165] op_sel:[0,0,1] op_sel_hi:[1,1,0] neg_lo:[0,0,1] neg_hi:[0,0,1]
	v_pk_fma_f32 v[146:147], v[166:167], v[146:147], v[148:149] op_sel:[0,0,1] op_sel_hi:[1,1,0] neg_lo:[0,0,1] neg_hi:[0,0,1]
	v_dual_mov_b32 v151, v161 :: v_dual_mov_b32 v153, v163
	s_delay_alu instid0(VALU_DEP_4) | instskip(SKIP_2) | instid1(VALU_DEP_4)
	v_mov_b32_e32 v147, v159
	v_pk_add_f32 v[118:119], v[118:119], v[156:157] neg_lo:[0,1] neg_hi:[0,1]
	v_pk_add_f32 v[132:133], v[132:133], v[154:155] neg_lo:[0,1] neg_hi:[0,1]
	;; [unrolled: 1-line block ×5, first 2 shown]
.LBB69_19:
	s_or_b32 exec_lo, exec_lo, s1
	s_delay_alu instid0(SALU_CYCLE_1)
	s_mov_b32 s2, exec_lo
	s_wait_dscnt 0x0
	s_barrier_signal -1
	s_barrier_wait -1
	v_cmpx_eq_u32_e32 2, v212
	s_cbranch_execz .LBB69_26
; %bb.20:
	ds_store_b64 v213, v[82:83]
	ds_store_2addr_b64 v214, v[46:47], v[28:29] offset0:3 offset1:4
	ds_store_2addr_b64 v214, v[24:25], v[26:27] offset0:5 offset1:6
	;; [unrolled: 1-line block ×16, first 2 shown]
	ds_load_b64 v[146:147], v213
	s_wait_dscnt 0x0
	v_cmp_neq_f32_e32 vcc_lo, 0, v146
	v_cmp_neq_f32_e64 s1, 0, v147
	s_or_b32 s1, vcc_lo, s1
	s_delay_alu instid0(SALU_CYCLE_1)
	s_and_b32 exec_lo, exec_lo, s1
	s_cbranch_execz .LBB69_26
; %bb.21:
	v_cmp_ngt_f32_e64 s1, |v146|, |v147|
                                        ; implicit-def: $vgpr148_vgpr149
	s_and_saveexec_b32 s4, s1
	s_delay_alu instid0(SALU_CYCLE_1)
	s_xor_b32 s1, exec_lo, s4
	s_cbranch_execz .LBB69_23
; %bb.22:
	v_div_scale_f32 v148, null, v147, v147, v146
	v_div_scale_f32 v151, vcc_lo, v146, v147, v146
	s_delay_alu instid0(VALU_DEP_2) | instskip(SKIP_1) | instid1(TRANS32_DEP_1)
	v_rcp_f32_e32 v149, v148
	v_nop
	v_fma_f32 v150, -v148, v149, 1.0
	s_delay_alu instid0(VALU_DEP_1) | instskip(NEXT) | instid1(VALU_DEP_1)
	v_fmac_f32_e32 v149, v150, v149
	v_mul_f32_e32 v150, v151, v149
	s_delay_alu instid0(VALU_DEP_1) | instskip(NEXT) | instid1(VALU_DEP_1)
	v_fma_f32 v152, -v148, v150, v151
	v_fmac_f32_e32 v150, v152, v149
	s_delay_alu instid0(VALU_DEP_1) | instskip(NEXT) | instid1(VALU_DEP_1)
	v_fma_f32 v148, -v148, v150, v151
	v_div_fmas_f32 v148, v148, v149, v150
	s_delay_alu instid0(VALU_DEP_1) | instskip(NEXT) | instid1(VALU_DEP_1)
	v_div_fixup_f32 v148, v148, v147, v146
	v_fmac_f32_e32 v147, v146, v148
	s_delay_alu instid0(VALU_DEP_1) | instskip(SKIP_1) | instid1(VALU_DEP_2)
	v_div_scale_f32 v146, null, v147, v147, 1.0
	v_div_scale_f32 v151, vcc_lo, 1.0, v147, 1.0
	v_rcp_f32_e32 v149, v146
	v_nop
	s_delay_alu instid0(TRANS32_DEP_1) | instskip(NEXT) | instid1(VALU_DEP_1)
	v_fma_f32 v150, -v146, v149, 1.0
	v_fmac_f32_e32 v149, v150, v149
	s_delay_alu instid0(VALU_DEP_1) | instskip(NEXT) | instid1(VALU_DEP_1)
	v_mul_f32_e32 v150, v151, v149
	v_fma_f32 v152, -v146, v150, v151
	s_delay_alu instid0(VALU_DEP_1) | instskip(NEXT) | instid1(VALU_DEP_1)
	v_fmac_f32_e32 v150, v152, v149
	v_fma_f32 v146, -v146, v150, v151
	s_delay_alu instid0(VALU_DEP_1) | instskip(NEXT) | instid1(VALU_DEP_1)
	v_div_fmas_f32 v146, v146, v149, v150
	v_div_fixup_f32 v146, v146, v147, 1.0
	s_delay_alu instid0(VALU_DEP_1)
	v_mul_f32_e32 v148, v148, v146
	v_xor_b32_e32 v149, 0x80000000, v146
                                        ; implicit-def: $vgpr146_vgpr147
.LBB69_23:
	s_and_not1_saveexec_b32 s1, s1
	s_cbranch_execz .LBB69_25
; %bb.24:
	v_div_scale_f32 v148, null, v146, v146, v147
	v_div_scale_f32 v151, vcc_lo, v147, v146, v147
	s_delay_alu instid0(VALU_DEP_2) | instskip(SKIP_1) | instid1(TRANS32_DEP_1)
	v_rcp_f32_e32 v149, v148
	v_nop
	v_fma_f32 v150, -v148, v149, 1.0
	s_delay_alu instid0(VALU_DEP_1) | instskip(NEXT) | instid1(VALU_DEP_1)
	v_fmac_f32_e32 v149, v150, v149
	v_mul_f32_e32 v150, v151, v149
	s_delay_alu instid0(VALU_DEP_1) | instskip(NEXT) | instid1(VALU_DEP_1)
	v_fma_f32 v152, -v148, v150, v151
	v_fmac_f32_e32 v150, v152, v149
	s_delay_alu instid0(VALU_DEP_1) | instskip(NEXT) | instid1(VALU_DEP_1)
	v_fma_f32 v148, -v148, v150, v151
	v_div_fmas_f32 v148, v148, v149, v150
	s_delay_alu instid0(VALU_DEP_1) | instskip(NEXT) | instid1(VALU_DEP_1)
	v_div_fixup_f32 v149, v148, v146, v147
	v_fmac_f32_e32 v146, v147, v149
	s_delay_alu instid0(VALU_DEP_1) | instskip(NEXT) | instid1(VALU_DEP_1)
	v_div_scale_f32 v147, null, v146, v146, 1.0
	v_rcp_f32_e32 v148, v147
	v_nop
	s_delay_alu instid0(TRANS32_DEP_1) | instskip(NEXT) | instid1(VALU_DEP_1)
	v_fma_f32 v150, -v147, v148, 1.0
	v_fmac_f32_e32 v148, v150, v148
	v_div_scale_f32 v150, vcc_lo, 1.0, v146, 1.0
	s_delay_alu instid0(VALU_DEP_1) | instskip(NEXT) | instid1(VALU_DEP_1)
	v_mul_f32_e32 v151, v150, v148
	v_fma_f32 v152, -v147, v151, v150
	s_delay_alu instid0(VALU_DEP_1) | instskip(NEXT) | instid1(VALU_DEP_1)
	v_fmac_f32_e32 v151, v152, v148
	v_fma_f32 v147, -v147, v151, v150
	s_delay_alu instid0(VALU_DEP_1) | instskip(NEXT) | instid1(VALU_DEP_1)
	v_div_fmas_f32 v147, v147, v148, v151
	v_div_fixup_f32 v148, v147, v146, 1.0
	s_delay_alu instid0(VALU_DEP_1)
	v_mul_f32_e64 v149, v149, -v148
.LBB69_25:
	s_or_b32 exec_lo, exec_lo, s1
	ds_store_b64 v213, v[148:149]
.LBB69_26:
	s_or_b32 exec_lo, exec_lo, s2
	s_wait_dscnt 0x0
	s_barrier_signal -1
	s_barrier_wait -1
	ds_load_b64 v[146:147], v213
	s_mov_b32 s1, exec_lo
	v_cmpx_lt_u32_e32 2, v212
	s_cbranch_execz .LBB69_28
; %bb.27:
	ds_load_2addr_b64 v[152:155], v214 offset0:3 offset1:4
	ds_load_2addr_b64 v[156:159], v214 offset0:5 offset1:6
	ds_load_2addr_b64 v[160:163], v214 offset0:7 offset1:8
	s_wait_dscnt 0x3
	v_pk_mul_f32 v[150:151], v[146:147], v[82:83] op_sel:[1,1] op_sel_hi:[0,1]
	ds_load_2addr_b64 v[164:167], v214 offset0:9 offset1:10
	ds_load_2addr_b64 v[168:171], v214 offset0:11 offset1:12
	v_pk_fma_f32 v[148:149], v[146:147], v[82:83], v[150:151] op_sel_hi:[1,0,1] neg_lo:[0,0,1] neg_hi:[0,0,1]
	v_pk_fma_f32 v[150:151], v[146:147], v[82:83], v[150:151] op_sel_hi:[1,0,1]
	s_delay_alu instid0(VALU_DEP_1) | instskip(SKIP_1) | instid1(VALU_DEP_2)
	v_dual_mov_b32 v82, v148 :: v_dual_mov_b32 v83, v151
	s_wait_dscnt 0x4
	v_pk_mul_f32 v[172:173], v[152:153], v[150:151] op_sel:[0,1]
	v_pk_mul_f32 v[174:175], v[154:155], v[150:151] op_sel:[0,1]
	s_wait_dscnt 0x3
	v_pk_mul_f32 v[176:177], v[156:157], v[150:151] op_sel:[0,1]
	v_dual_mov_b32 v178, v159 :: v_dual_mov_b32 v179, v158
	v_dual_mul_f32 v180, v159, v151 :: v_dual_mul_f32 v182, v159, v148
	s_wait_dscnt 0x2
	v_pk_mul_f32 v[184:185], v[160:161], v[150:151] op_sel:[0,1]
	v_pk_mul_f32 v[186:187], v[162:163], v[150:151] op_sel:[0,1]
	v_pk_fma_f32 v[188:189], v[152:153], v[148:149], v[172:173] op_sel:[0,0,1] op_sel_hi:[1,1,0] neg_lo:[0,0,1] neg_hi:[0,0,1]
	v_pk_fma_f32 v[152:153], v[152:153], v[148:149], v[172:173] op_sel:[0,0,1] op_sel_hi:[1,0,0]
	v_pk_fma_f32 v[172:173], v[154:155], v[148:149], v[174:175] op_sel:[0,0,1] op_sel_hi:[1,1,0] neg_lo:[0,0,1] neg_hi:[0,0,1]
	v_pk_fma_f32 v[154:155], v[154:155], v[148:149], v[174:175] op_sel:[0,0,1] op_sel_hi:[1,0,0]
	;; [unrolled: 2-line block ×3, first 2 shown]
	v_pk_fma_f32 v[176:177], v[178:179], v[82:83], v[182:183] op_sel_hi:[1,1,0]
	v_pk_fma_f32 v[178:179], v[160:161], v[148:149], v[184:185] op_sel:[0,0,1] op_sel_hi:[1,0,0]
	v_dual_mov_b32 v189, v153 :: v_dual_mov_b32 v173, v155
	v_pk_fma_f32 v[152:153], v[162:163], v[148:149], v[186:187] op_sel:[0,0,1] op_sel_hi:[1,0,0]
	v_pk_fma_f32 v[158:159], v[158:159], v[82:83], v[180:181] op_sel_hi:[1,1,0] neg_lo:[0,0,1] neg_hi:[0,0,1]
	v_dual_mov_b32 v175, v157 :: v_dual_mov_b32 v159, v177
	v_pk_fma_f32 v[156:157], v[160:161], v[148:149], v[184:185] op_sel:[0,0,1] op_sel_hi:[1,1,0] neg_lo:[0,0,1] neg_hi:[0,0,1]
	v_pk_fma_f32 v[160:161], v[162:163], v[148:149], v[186:187] op_sel:[0,0,1] op_sel_hi:[1,1,0] neg_lo:[0,0,1] neg_hi:[0,0,1]
	s_wait_dscnt 0x1
	v_pk_mul_f32 v[162:163], v[164:165], v[150:151] op_sel:[0,1]
	v_dual_mov_b32 v157, v179 :: v_dual_mov_b32 v161, v153
	ds_load_2addr_b64 v[152:155], v214 offset0:13 offset1:14
	v_pk_add_f32 v[28:29], v[28:29], v[172:173] neg_lo:[0,1] neg_hi:[0,1]
	v_pk_mul_f32 v[172:173], v[166:167], v[150:151] op_sel:[0,1]
	v_pk_add_f32 v[26:27], v[26:27], v[158:159] neg_lo:[0,1] neg_hi:[0,1]
	v_pk_fma_f32 v[158:159], v[164:165], v[148:149], v[162:163] op_sel:[0,0,1] op_sel_hi:[1,0,0]
	v_pk_add_f32 v[42:43], v[42:43], v[160:161] neg_lo:[0,1] neg_hi:[0,1]
	v_pk_fma_f32 v[160:161], v[164:165], v[148:149], v[162:163] op_sel:[0,0,1] op_sel_hi:[1,1,0] neg_lo:[0,0,1] neg_hi:[0,0,1]
	v_pk_add_f32 v[22:23], v[22:23], v[156:157] neg_lo:[0,1] neg_hi:[0,1]
	v_pk_fma_f32 v[156:157], v[166:167], v[148:149], v[172:173] op_sel:[0,0,1] op_sel_hi:[1,0,0]
	s_wait_dscnt 0x1
	v_dual_mov_b32 v161, v159 :: v_dual_mul_f32 v162, v169, v148
	v_pk_fma_f32 v[164:165], v[166:167], v[148:149], v[172:173] op_sel:[0,0,1] op_sel_hi:[1,1,0] neg_lo:[0,0,1] neg_hi:[0,0,1]
	v_pk_add_f32 v[24:25], v[24:25], v[174:175] neg_lo:[0,1] neg_hi:[0,1]
	v_mov_b32_e32 v165, v157
	ds_load_2addr_b64 v[156:159], v214 offset0:15 offset1:16
	v_pk_fma_f32 v[162:163], v[168:169], v[82:83], v[162:163] op_sel:[1,0,0] op_sel_hi:[0,1,0]
	v_mul_f32_e32 v166, v169, v151
	v_pk_mul_f32 v[172:173], v[170:171], v[150:151] op_sel:[0,1]
	v_pk_add_f32 v[40:41], v[40:41], v[164:165] neg_lo:[0,1] neg_hi:[0,1]
	v_pk_add_f32 v[38:39], v[38:39], v[160:161] neg_lo:[0,1] neg_hi:[0,1]
	s_wait_dscnt 0x1
	v_pk_mul_f32 v[174:175], v[154:155], v[150:151] op_sel:[0,1]
	v_pk_fma_f32 v[164:165], v[168:169], v[82:83], v[166:167] op_sel_hi:[1,1,0] neg_lo:[0,0,1] neg_hi:[0,0,1]
	v_mov_b32_e32 v165, v163
	v_pk_mul_f32 v[166:167], v[152:153], v[150:151] op_sel:[0,1]
	ds_load_2addr_b64 v[160:163], v214 offset0:17 offset1:18
	v_pk_fma_f32 v[168:169], v[170:171], v[148:149], v[172:173] op_sel:[0,0,1] op_sel_hi:[1,0,0]
	v_pk_fma_f32 v[170:171], v[170:171], v[148:149], v[172:173] op_sel:[0,0,1] op_sel_hi:[1,1,0] neg_lo:[0,0,1] neg_hi:[0,0,1]
	v_pk_add_f32 v[36:37], v[36:37], v[164:165] neg_lo:[0,1] neg_hi:[0,1]
	v_pk_fma_f32 v[164:165], v[152:153], v[148:149], v[166:167] op_sel:[0,0,1] op_sel_hi:[1,0,0]
	v_pk_fma_f32 v[152:153], v[152:153], v[148:149], v[166:167] op_sel:[0,0,1] op_sel_hi:[1,1,0] neg_lo:[0,0,1] neg_hi:[0,0,1]
	v_pk_fma_f32 v[172:173], v[154:155], v[148:149], v[174:175] op_sel:[0,0,1] op_sel_hi:[1,0,0]
	v_mov_b32_e32 v171, v169
	v_pk_add_f32 v[46:47], v[46:47], v[188:189] neg_lo:[0,1] neg_hi:[0,1]
	v_mov_b32_e32 v153, v165
	v_pk_fma_f32 v[164:165], v[154:155], v[148:149], v[174:175] op_sel:[0,0,1] op_sel_hi:[1,1,0] neg_lo:[0,0,1] neg_hi:[0,0,1]
	v_mov_b32_e32 v165, v173
	s_wait_dscnt 0x1
	v_pk_mul_f32 v[168:169], v[156:157], v[150:151] op_sel:[0,1]
	v_pk_add_f32 v[62:63], v[62:63], v[170:171] neg_lo:[0,1] neg_hi:[0,1]
	v_pk_add_f32 v[58:59], v[58:59], v[152:153] neg_lo:[0,1] neg_hi:[0,1]
	ds_load_2addr_b64 v[152:155], v214 offset0:19 offset1:20
	v_pk_add_f32 v[60:61], v[60:61], v[164:165] neg_lo:[0,1] neg_hi:[0,1]
	v_pk_fma_f32 v[170:171], v[156:157], v[148:149], v[168:169] op_sel:[0,0,1] op_sel_hi:[1,0,0]
	ds_load_2addr_b64 v[164:167], v214 offset0:21 offset1:22
	v_dual_mov_b32 v172, v159 :: v_dual_mov_b32 v173, v158
	v_dual_mul_f32 v170, v159, v148 :: v_dual_mul_f32 v174, v159, v151
	s_wait_dscnt 0x2
	v_pk_mul_f32 v[176:177], v[160:161], v[150:151] op_sel:[0,1]
	v_pk_fma_f32 v[156:157], v[156:157], v[148:149], v[168:169] op_sel:[0,0,1] op_sel_hi:[1,1,0] neg_lo:[0,0,1] neg_hi:[0,0,1]
	s_delay_alu instid0(VALU_DEP_3)
	v_pk_fma_f32 v[168:169], v[172:173], v[82:83], v[170:171] op_sel_hi:[1,1,0]
	v_mov_b32_e32 v157, v171
	v_pk_mul_f32 v[172:173], v[162:163], v[150:151] op_sel:[0,1]
	v_pk_fma_f32 v[170:171], v[160:161], v[148:149], v[176:177] op_sel:[0,0,1] op_sel_hi:[1,0,0]
	v_pk_fma_f32 v[158:159], v[158:159], v[82:83], v[174:175] op_sel_hi:[1,1,0] neg_lo:[0,0,1] neg_hi:[0,0,1]
	v_mov_b32_e32 v159, v169
	v_pk_add_f32 v[56:57], v[56:57], v[156:157] neg_lo:[0,1] neg_hi:[0,1]
	v_pk_fma_f32 v[156:157], v[162:163], v[148:149], v[172:173] op_sel:[0,0,1] op_sel_hi:[1,0,0]
	v_pk_fma_f32 v[160:161], v[160:161], v[148:149], v[176:177] op_sel:[0,0,1] op_sel_hi:[1,1,0] neg_lo:[0,0,1] neg_hi:[0,0,1]
	s_wait_dscnt 0x1
	v_pk_mul_f32 v[168:169], v[152:153], v[150:151] op_sel:[0,1]
	v_mov_b32_e32 v161, v171
	v_pk_fma_f32 v[170:171], v[162:163], v[148:149], v[172:173] op_sel:[0,0,1] op_sel_hi:[1,1,0] neg_lo:[0,0,1] neg_hi:[0,0,1]
	v_pk_add_f32 v[72:73], v[72:73], v[158:159] neg_lo:[0,1] neg_hi:[0,1]
	v_mov_b32_e32 v171, v157
	ds_load_2addr_b64 v[156:159], v214 offset0:23 offset1:24
	v_pk_mul_f32 v[174:175], v[154:155], v[150:151] op_sel:[0,1]
	v_pk_fma_f32 v[172:173], v[152:153], v[148:149], v[168:169] op_sel:[0,0,1] op_sel_hi:[1,0,0]
	s_wait_dscnt 0x1
	v_mul_f32_e32 v172, v165, v148
	v_pk_add_f32 v[112:113], v[112:113], v[160:161] neg_lo:[0,1] neg_hi:[0,1]
	ds_load_2addr_b64 v[160:163], v214 offset0:25 offset1:26
	v_pk_fma_f32 v[152:153], v[152:153], v[148:149], v[168:169] op_sel:[0,0,1] op_sel_hi:[1,1,0] neg_lo:[0,0,1] neg_hi:[0,0,1]
	v_pk_fma_f32 v[168:169], v[154:155], v[148:149], v[174:175] op_sel:[0,0,1] op_sel_hi:[1,0,0]
	v_mul_f32_e32 v168, v165, v151
	v_mov_b32_e32 v153, v173
	v_pk_fma_f32 v[172:173], v[164:165], v[82:83], v[172:173] op_sel:[1,0,0] op_sel_hi:[0,1,0]
	v_pk_fma_f32 v[154:155], v[154:155], v[148:149], v[174:175] op_sel:[0,0,1] op_sel_hi:[1,1,0] neg_lo:[0,0,1] neg_hi:[0,0,1]
	v_pk_mul_f32 v[174:175], v[166:167], v[150:151] op_sel:[0,1]
	v_pk_fma_f32 v[164:165], v[164:165], v[82:83], v[168:169] op_sel_hi:[1,1,0] neg_lo:[0,0,1] neg_hi:[0,0,1]
	s_delay_alu instid0(VALU_DEP_4) | instskip(SKIP_1) | instid1(VALU_DEP_4)
	v_dual_mov_b32 v155, v169 :: v_dual_mov_b32 v165, v173
	v_pk_add_f32 v[94:95], v[94:95], v[152:153] neg_lo:[0,1] neg_hi:[0,1]
	v_pk_fma_f32 v[168:169], v[166:167], v[148:149], v[174:175] op_sel:[0,0,1] op_sel_hi:[1,0,0]
	v_pk_add_f32 v[114:115], v[114:115], v[170:171] neg_lo:[0,1] neg_hi:[0,1]
	s_delay_alu instid0(VALU_DEP_4)
	v_pk_add_f32 v[128:129], v[128:129], v[154:155] neg_lo:[0,1] neg_hi:[0,1]
	v_pk_add_f32 v[124:125], v[124:125], v[164:165] neg_lo:[0,1] neg_hi:[0,1]
	v_pk_fma_f32 v[164:165], v[166:167], v[148:149], v[174:175] op_sel:[0,0,1] op_sel_hi:[1,1,0] neg_lo:[0,0,1] neg_hi:[0,0,1]
	v_mov_b32_e32 v165, v169
	s_wait_dscnt 0x1
	v_pk_mul_f32 v[168:169], v[158:159], v[150:151] op_sel:[0,1]
	v_pk_mul_f32 v[166:167], v[156:157], v[150:151] op_sel:[0,1]
	ds_load_2addr_b64 v[152:155], v214 offset0:27 offset1:28
	s_wait_dscnt 0x1
	v_pk_mul_f32 v[170:171], v[160:161], v[150:151] op_sel:[0,1]
	v_pk_fma_f32 v[174:175], v[158:159], v[148:149], v[168:169] op_sel:[0,0,1] op_sel_hi:[1,0,0]
	v_pk_fma_f32 v[158:159], v[158:159], v[148:149], v[168:169] op_sel:[0,0,1] op_sel_hi:[1,1,0] neg_lo:[0,0,1] neg_hi:[0,0,1]
	v_pk_fma_f32 v[172:173], v[156:157], v[148:149], v[166:167] op_sel:[0,0,1] op_sel_hi:[1,0,0]
	v_pk_fma_f32 v[156:157], v[156:157], v[148:149], v[166:167] op_sel:[0,0,1] op_sel_hi:[1,1,0] neg_lo:[0,0,1] neg_hi:[0,0,1]
	v_pk_fma_f32 v[176:177], v[160:161], v[148:149], v[170:171] op_sel:[0,0,1] op_sel_hi:[1,0,0]
	v_mov_b32_e32 v159, v175
	v_pk_add_f32 v[126:127], v[126:127], v[164:165] neg_lo:[0,1] neg_hi:[0,1]
	ds_load_2addr_b64 v[164:167], v214 offset0:29 offset1:30
	v_pk_fma_f32 v[160:161], v[160:161], v[148:149], v[170:171] op_sel:[0,0,1] op_sel_hi:[1,1,0] neg_lo:[0,0,1] neg_hi:[0,0,1]
	v_dual_mov_b32 v157, v173 :: v_dual_mov_b32 v161, v177
	v_dual_mov_b32 v168, v163 :: v_dual_mov_b32 v169, v162
	v_mul_f32_e32 v170, v163, v148
	s_delay_alu instid0(VALU_DEP_3)
	v_pk_add_f32 v[138:139], v[138:139], v[156:157] neg_lo:[0,1] neg_hi:[0,1]
	v_pk_add_f32 v[136:137], v[136:137], v[158:159] neg_lo:[0,1] neg_hi:[0,1]
	;; [unrolled: 1-line block ×3, first 2 shown]
	ds_load_2addr_b64 v[156:159], v214 offset0:31 offset1:32
	v_pk_fma_f32 v[168:169], v[168:169], v[82:83], v[170:171] op_sel_hi:[1,1,0]
	v_mul_f32_e32 v160, v163, v151
	s_wait_dscnt 0x2
	v_pk_mul_f32 v[170:171], v[152:153], v[150:151] op_sel:[0,1]
	v_pk_mul_f32 v[172:173], v[154:155], v[150:151] op_sel:[0,1]
	s_delay_alu instid0(VALU_DEP_3)
	v_pk_fma_f32 v[174:175], v[162:163], v[82:83], v[160:161] op_sel_hi:[1,1,0] neg_lo:[0,0,1] neg_hi:[0,0,1]
	ds_load_2addr_b64 v[160:163], v214 offset0:33 offset1:34
	v_mov_b32_e32 v175, v169
	v_pk_fma_f32 v[168:169], v[152:153], v[148:149], v[170:171] op_sel:[0,0,1] op_sel_hi:[1,0,0]
	s_wait_dscnt 0x2
	v_pk_mul_f32 v[176:177], v[164:165], v[150:151] op_sel:[0,1]
	v_pk_fma_f32 v[178:179], v[154:155], v[148:149], v[172:173] op_sel:[0,0,1] op_sel_hi:[1,0,0]
	v_pk_fma_f32 v[152:153], v[152:153], v[148:149], v[170:171] op_sel:[0,0,1] op_sel_hi:[1,1,0] neg_lo:[0,0,1] neg_hi:[0,0,1]
	v_pk_mul_f32 v[170:171], v[166:167], v[150:151] op_sel:[0,1]
	v_mov_b32_e32 v153, v169
	v_pk_fma_f32 v[168:169], v[164:165], v[148:149], v[176:177] op_sel:[0,0,1] op_sel_hi:[1,0,0]
	v_pk_fma_f32 v[154:155], v[154:155], v[148:149], v[172:173] op_sel:[0,0,1] op_sel_hi:[1,1,0] neg_lo:[0,0,1] neg_hi:[0,0,1]
	v_mov_b32_e32 v155, v179
	v_pk_fma_f32 v[164:165], v[164:165], v[148:149], v[176:177] op_sel:[0,0,1] op_sel_hi:[1,1,0] neg_lo:[0,0,1] neg_hi:[0,0,1]
	v_pk_add_f32 v[98:99], v[98:99], v[152:153] neg_lo:[0,1] neg_hi:[0,1]
	v_pk_fma_f32 v[152:153], v[166:167], v[148:149], v[170:171] op_sel:[0,0,1] op_sel_hi:[1,0,0]
	v_mov_b32_e32 v165, v169
	s_wait_dscnt 0x1
	v_mul_f32_e32 v152, v157, v148
	v_pk_add_f32 v[120:121], v[120:121], v[154:155] neg_lo:[0,1] neg_hi:[0,1]
	v_pk_fma_f32 v[154:155], v[166:167], v[148:149], v[170:171] op_sel:[0,0,1] op_sel_hi:[1,1,0] neg_lo:[0,0,1] neg_hi:[0,0,1]
	v_mov_b32_e32 v155, v153
	v_pk_add_f32 v[116:117], v[116:117], v[164:165] neg_lo:[0,1] neg_hi:[0,1]
	v_mul_f32_e32 v164, v157, v151
	v_pk_mul_f32 v[166:167], v[158:159], v[150:151] op_sel:[0,1]
	v_pk_fma_f32 v[152:153], v[156:157], v[82:83], v[152:153] op_sel:[1,0,0] op_sel_hi:[0,1,0]
	s_wait_dscnt 0x0
	v_pk_mul_f32 v[168:169], v[160:161], v[150:151] op_sel:[0,1]
	v_pk_mul_f32 v[150:151], v[162:163], v[150:151] op_sel:[0,1]
	v_pk_fma_f32 v[156:157], v[156:157], v[82:83], v[164:165] op_sel_hi:[1,1,0] neg_lo:[0,0,1] neg_hi:[0,0,1]
	v_pk_fma_f32 v[164:165], v[158:159], v[148:149], v[166:167] op_sel:[0,0,1] op_sel_hi:[1,0,0]
	v_mov_b32_e32 v157, v153
	v_pk_fma_f32 v[152:153], v[160:161], v[148:149], v[168:169] op_sel:[0,0,1] op_sel_hi:[1,0,0]
	v_pk_fma_f32 v[158:159], v[158:159], v[148:149], v[166:167] op_sel:[0,0,1] op_sel_hi:[1,1,0] neg_lo:[0,0,1] neg_hi:[0,0,1]
	v_pk_fma_f32 v[166:167], v[162:163], v[148:149], v[150:151] op_sel:[0,0,1] op_sel_hi:[1,0,0]
	v_pk_fma_f32 v[160:161], v[160:161], v[148:149], v[168:169] op_sel:[0,0,1] op_sel_hi:[1,1,0] neg_lo:[0,0,1] neg_hi:[0,0,1]
	v_pk_fma_f32 v[148:149], v[162:163], v[148:149], v[150:151] op_sel:[0,0,1] op_sel_hi:[1,1,0] neg_lo:[0,0,1] neg_hi:[0,0,1]
	v_dual_mov_b32 v159, v165 :: v_dual_mov_b32 v161, v153
	s_delay_alu instid0(VALU_DEP_4)
	v_mov_b32_e32 v149, v167
	v_pk_add_f32 v[100:101], v[100:101], v[174:175] neg_lo:[0,1] neg_hi:[0,1]
	v_pk_add_f32 v[118:119], v[118:119], v[154:155] neg_lo:[0,1] neg_hi:[0,1]
	v_pk_add_f32 v[132:133], v[132:133], v[156:157] neg_lo:[0,1] neg_hi:[0,1]
	v_pk_add_f32 v[130:131], v[130:131], v[158:159] neg_lo:[0,1] neg_hi:[0,1]
	v_pk_add_f32 v[122:123], v[122:123], v[160:161] neg_lo:[0,1] neg_hi:[0,1]
	v_pk_add_f32 v[140:141], v[140:141], v[148:149] neg_lo:[0,1] neg_hi:[0,1]
.LBB69_28:
	s_or_b32 exec_lo, exec_lo, s1
	s_delay_alu instid0(SALU_CYCLE_1)
	s_mov_b32 s2, exec_lo
	s_wait_dscnt 0x0
	s_barrier_signal -1
	s_barrier_wait -1
	v_cmpx_eq_u32_e32 3, v212
	s_cbranch_execz .LBB69_35
; %bb.29:
	v_dual_mov_b32 v148, v28 :: v_dual_mov_b32 v149, v29
	v_dual_mov_b32 v150, v24 :: v_dual_mov_b32 v151, v25
	;; [unrolled: 1-line block ×8, first 2 shown]
	ds_store_b64 v213, v[46:47]
	ds_store_2addr_b64 v214, v[148:149], v[150:151] offset0:4 offset1:5
	ds_store_2addr_b64 v214, v[152:153], v[154:155] offset0:6 offset1:7
	;; [unrolled: 1-line block ×4, first 2 shown]
	v_dual_mov_b32 v148, v62 :: v_dual_mov_b32 v149, v63
	v_dual_mov_b32 v150, v58 :: v_dual_mov_b32 v151, v59
	;; [unrolled: 1-line block ×12, first 2 shown]
	ds_store_2addr_b64 v214, v[148:149], v[150:151] offset0:12 offset1:13
	ds_store_2addr_b64 v214, v[152:153], v[154:155] offset0:14 offset1:15
	ds_store_2addr_b64 v214, v[156:157], v[158:159] offset0:16 offset1:17
	ds_store_2addr_b64 v214, v[160:161], v[162:163] offset0:18 offset1:19
	ds_store_2addr_b64 v214, v[164:165], v[166:167] offset0:20 offset1:21
	ds_store_2addr_b64 v214, v[168:169], v[170:171] offset0:22 offset1:23
	v_dual_mov_b32 v148, v136 :: v_dual_mov_b32 v149, v137
	v_dual_mov_b32 v150, v134 :: v_dual_mov_b32 v151, v135
	;; [unrolled: 1-line block ×10, first 2 shown]
	ds_store_2addr_b64 v214, v[148:149], v[150:151] offset0:24 offset1:25
	ds_store_2addr_b64 v214, v[152:153], v[154:155] offset0:26 offset1:27
	;; [unrolled: 1-line block ×5, first 2 shown]
	ds_store_b64 v214, v[140:141] offset:272
	ds_load_b64 v[148:149], v213
	s_wait_dscnt 0x0
	v_cmp_neq_f32_e32 vcc_lo, 0, v148
	v_cmp_neq_f32_e64 s1, 0, v149
	s_or_b32 s1, vcc_lo, s1
	s_delay_alu instid0(SALU_CYCLE_1)
	s_and_b32 exec_lo, exec_lo, s1
	s_cbranch_execz .LBB69_35
; %bb.30:
	v_cmp_ngt_f32_e64 s1, |v148|, |v149|
                                        ; implicit-def: $vgpr150_vgpr151
	s_and_saveexec_b32 s4, s1
	s_delay_alu instid0(SALU_CYCLE_1)
	s_xor_b32 s1, exec_lo, s4
	s_cbranch_execz .LBB69_32
; %bb.31:
	v_div_scale_f32 v150, null, v149, v149, v148
	v_div_scale_f32 v153, vcc_lo, v148, v149, v148
	s_delay_alu instid0(VALU_DEP_2) | instskip(SKIP_1) | instid1(TRANS32_DEP_1)
	v_rcp_f32_e32 v151, v150
	v_nop
	v_fma_f32 v152, -v150, v151, 1.0
	s_delay_alu instid0(VALU_DEP_1) | instskip(NEXT) | instid1(VALU_DEP_1)
	v_fmac_f32_e32 v151, v152, v151
	v_mul_f32_e32 v152, v153, v151
	s_delay_alu instid0(VALU_DEP_1) | instskip(NEXT) | instid1(VALU_DEP_1)
	v_fma_f32 v154, -v150, v152, v153
	v_fmac_f32_e32 v152, v154, v151
	s_delay_alu instid0(VALU_DEP_1) | instskip(NEXT) | instid1(VALU_DEP_1)
	v_fma_f32 v150, -v150, v152, v153
	v_div_fmas_f32 v150, v150, v151, v152
	s_delay_alu instid0(VALU_DEP_1) | instskip(NEXT) | instid1(VALU_DEP_1)
	v_div_fixup_f32 v150, v150, v149, v148
	v_fmac_f32_e32 v149, v148, v150
	s_delay_alu instid0(VALU_DEP_1) | instskip(SKIP_1) | instid1(VALU_DEP_2)
	v_div_scale_f32 v148, null, v149, v149, 1.0
	v_div_scale_f32 v153, vcc_lo, 1.0, v149, 1.0
	v_rcp_f32_e32 v151, v148
	v_nop
	s_delay_alu instid0(TRANS32_DEP_1) | instskip(NEXT) | instid1(VALU_DEP_1)
	v_fma_f32 v152, -v148, v151, 1.0
	v_fmac_f32_e32 v151, v152, v151
	s_delay_alu instid0(VALU_DEP_1) | instskip(NEXT) | instid1(VALU_DEP_1)
	v_mul_f32_e32 v152, v153, v151
	v_fma_f32 v154, -v148, v152, v153
	s_delay_alu instid0(VALU_DEP_1) | instskip(NEXT) | instid1(VALU_DEP_1)
	v_fmac_f32_e32 v152, v154, v151
	v_fma_f32 v148, -v148, v152, v153
	s_delay_alu instid0(VALU_DEP_1) | instskip(NEXT) | instid1(VALU_DEP_1)
	v_div_fmas_f32 v148, v148, v151, v152
	v_div_fixup_f32 v148, v148, v149, 1.0
	s_delay_alu instid0(VALU_DEP_1)
	v_mul_f32_e32 v150, v150, v148
	v_xor_b32_e32 v151, 0x80000000, v148
                                        ; implicit-def: $vgpr148_vgpr149
.LBB69_32:
	s_and_not1_saveexec_b32 s1, s1
	s_cbranch_execz .LBB69_34
; %bb.33:
	v_div_scale_f32 v150, null, v148, v148, v149
	v_div_scale_f32 v153, vcc_lo, v149, v148, v149
	s_delay_alu instid0(VALU_DEP_2) | instskip(SKIP_1) | instid1(TRANS32_DEP_1)
	v_rcp_f32_e32 v151, v150
	v_nop
	v_fma_f32 v152, -v150, v151, 1.0
	s_delay_alu instid0(VALU_DEP_1) | instskip(NEXT) | instid1(VALU_DEP_1)
	v_fmac_f32_e32 v151, v152, v151
	v_mul_f32_e32 v152, v153, v151
	s_delay_alu instid0(VALU_DEP_1) | instskip(NEXT) | instid1(VALU_DEP_1)
	v_fma_f32 v154, -v150, v152, v153
	v_fmac_f32_e32 v152, v154, v151
	s_delay_alu instid0(VALU_DEP_1) | instskip(NEXT) | instid1(VALU_DEP_1)
	v_fma_f32 v150, -v150, v152, v153
	v_div_fmas_f32 v150, v150, v151, v152
	s_delay_alu instid0(VALU_DEP_1) | instskip(NEXT) | instid1(VALU_DEP_1)
	v_div_fixup_f32 v151, v150, v148, v149
	v_fmac_f32_e32 v148, v149, v151
	s_delay_alu instid0(VALU_DEP_1) | instskip(NEXT) | instid1(VALU_DEP_1)
	v_div_scale_f32 v149, null, v148, v148, 1.0
	v_rcp_f32_e32 v150, v149
	v_nop
	s_delay_alu instid0(TRANS32_DEP_1) | instskip(NEXT) | instid1(VALU_DEP_1)
	v_fma_f32 v152, -v149, v150, 1.0
	v_fmac_f32_e32 v150, v152, v150
	v_div_scale_f32 v152, vcc_lo, 1.0, v148, 1.0
	s_delay_alu instid0(VALU_DEP_1) | instskip(NEXT) | instid1(VALU_DEP_1)
	v_mul_f32_e32 v153, v152, v150
	v_fma_f32 v154, -v149, v153, v152
	s_delay_alu instid0(VALU_DEP_1) | instskip(NEXT) | instid1(VALU_DEP_1)
	v_fmac_f32_e32 v153, v154, v150
	v_fma_f32 v149, -v149, v153, v152
	s_delay_alu instid0(VALU_DEP_1) | instskip(NEXT) | instid1(VALU_DEP_1)
	v_div_fmas_f32 v149, v149, v150, v153
	v_div_fixup_f32 v150, v149, v148, 1.0
	s_delay_alu instid0(VALU_DEP_1)
	v_mul_f32_e64 v151, v151, -v150
.LBB69_34:
	s_or_b32 exec_lo, exec_lo, s1
	ds_store_b64 v213, v[150:151]
.LBB69_35:
	s_or_b32 exec_lo, exec_lo, s2
	s_wait_dscnt 0x0
	s_barrier_signal -1
	s_barrier_wait -1
	ds_load_b64 v[148:149], v213
	s_mov_b32 s1, exec_lo
	v_cmpx_lt_u32_e32 3, v212
	s_cbranch_execz .LBB69_37
; %bb.36:
	ds_load_2addr_b64 v[154:157], v214 offset0:4 offset1:5
	s_wait_dscnt 0x1
	v_pk_mul_f32 v[152:153], v[148:149], v[46:47] op_sel:[1,1] op_sel_hi:[0,1]
	s_delay_alu instid0(VALU_DEP_1) | instskip(SKIP_1) | instid1(VALU_DEP_1)
	v_pk_fma_f32 v[150:151], v[148:149], v[46:47], v[152:153] op_sel_hi:[1,0,1] neg_lo:[0,0,1] neg_hi:[0,0,1]
	v_pk_fma_f32 v[152:153], v[148:149], v[46:47], v[152:153] op_sel_hi:[1,0,1]
	v_dual_mov_b32 v46, v150 :: v_dual_mov_b32 v47, v153
	s_wait_dscnt 0x0
	s_delay_alu instid0(VALU_DEP_2) | instskip(NEXT) | instid1(VALU_DEP_1)
	v_pk_mul_f32 v[158:159], v[154:155], v[152:153] op_sel:[0,1]
	v_pk_fma_f32 v[160:161], v[154:155], v[150:151], v[158:159] op_sel:[0,0,1] op_sel_hi:[1,1,0] neg_lo:[0,0,1] neg_hi:[0,0,1]
	v_pk_fma_f32 v[154:155], v[154:155], v[150:151], v[158:159] op_sel:[0,0,1] op_sel_hi:[1,0,0]
	s_delay_alu instid0(VALU_DEP_1) | instskip(SKIP_1) | instid1(VALU_DEP_1)
	v_mov_b32_e32 v161, v155
	v_pk_mul_f32 v[154:155], v[156:157], v[152:153] op_sel:[0,1]
	v_pk_fma_f32 v[158:159], v[156:157], v[150:151], v[154:155] op_sel:[0,0,1] op_sel_hi:[1,1,0] neg_lo:[0,0,1] neg_hi:[0,0,1]
	v_pk_fma_f32 v[154:155], v[156:157], v[150:151], v[154:155] op_sel:[0,0,1] op_sel_hi:[1,0,0]
	s_delay_alu instid0(VALU_DEP_1)
	v_mov_b32_e32 v159, v155
	ds_load_2addr_b64 v[154:157], v214 offset0:6 offset1:7
	v_pk_add_f32 v[28:29], v[28:29], v[160:161] neg_lo:[0,1] neg_hi:[0,1]
	v_pk_add_f32 v[24:25], v[24:25], v[158:159] neg_lo:[0,1] neg_hi:[0,1]
	s_wait_dscnt 0x0
	v_pk_mul_f32 v[158:159], v[154:155], v[152:153] op_sel:[0,1]
	s_delay_alu instid0(VALU_DEP_1) | instskip(SKIP_2) | instid1(VALU_DEP_2)
	v_pk_fma_f32 v[160:161], v[154:155], v[150:151], v[158:159] op_sel:[0,0,1] op_sel_hi:[1,1,0] neg_lo:[0,0,1] neg_hi:[0,0,1]
	v_pk_fma_f32 v[154:155], v[154:155], v[150:151], v[158:159] op_sel:[0,0,1] op_sel_hi:[1,0,0]
	v_dual_mul_f32 v158, v157, v153 :: v_dual_mov_b32 v154, v157
	v_dual_mov_b32 v161, v155 :: v_dual_mov_b32 v155, v156
	s_delay_alu instid0(VALU_DEP_2) | instskip(SKIP_1) | instid1(VALU_DEP_3)
	v_pk_fma_f32 v[158:159], v[156:157], v[46:47], v[158:159] op_sel_hi:[1,1,0] neg_lo:[0,0,1] neg_hi:[0,0,1]
	v_mul_f32_e32 v156, v157, v150
	v_pk_add_f32 v[26:27], v[26:27], v[160:161] neg_lo:[0,1] neg_hi:[0,1]
	s_delay_alu instid0(VALU_DEP_2) | instskip(NEXT) | instid1(VALU_DEP_1)
	v_pk_fma_f32 v[154:155], v[154:155], v[46:47], v[156:157] op_sel_hi:[1,1,0]
	v_mov_b32_e32 v159, v155
	ds_load_2addr_b64 v[154:157], v214 offset0:8 offset1:9
	v_pk_add_f32 v[22:23], v[22:23], v[158:159] neg_lo:[0,1] neg_hi:[0,1]
	s_wait_dscnt 0x0
	v_pk_mul_f32 v[158:159], v[154:155], v[152:153] op_sel:[0,1]
	s_delay_alu instid0(VALU_DEP_1) | instskip(SKIP_1) | instid1(VALU_DEP_1)
	v_pk_fma_f32 v[160:161], v[154:155], v[150:151], v[158:159] op_sel:[0,0,1] op_sel_hi:[1,1,0] neg_lo:[0,0,1] neg_hi:[0,0,1]
	v_pk_fma_f32 v[154:155], v[154:155], v[150:151], v[158:159] op_sel:[0,0,1] op_sel_hi:[1,0,0]
	v_mov_b32_e32 v161, v155
	v_pk_mul_f32 v[154:155], v[156:157], v[152:153] op_sel:[0,1]
	s_delay_alu instid0(VALU_DEP_1) | instskip(SKIP_1) | instid1(VALU_DEP_1)
	v_pk_fma_f32 v[158:159], v[156:157], v[150:151], v[154:155] op_sel:[0,0,1] op_sel_hi:[1,1,0] neg_lo:[0,0,1] neg_hi:[0,0,1]
	v_pk_fma_f32 v[154:155], v[156:157], v[150:151], v[154:155] op_sel:[0,0,1] op_sel_hi:[1,0,0]
	v_mov_b32_e32 v159, v155
	ds_load_2addr_b64 v[154:157], v214 offset0:10 offset1:11
	v_pk_add_f32 v[42:43], v[42:43], v[160:161] neg_lo:[0,1] neg_hi:[0,1]
	v_pk_add_f32 v[38:39], v[38:39], v[158:159] neg_lo:[0,1] neg_hi:[0,1]
	s_wait_dscnt 0x0
	v_pk_mul_f32 v[158:159], v[154:155], v[152:153] op_sel:[0,1]
	s_delay_alu instid0(VALU_DEP_1) | instskip(SKIP_1) | instid1(VALU_DEP_1)
	v_pk_fma_f32 v[160:161], v[154:155], v[150:151], v[158:159] op_sel:[0,0,1] op_sel_hi:[1,1,0] neg_lo:[0,0,1] neg_hi:[0,0,1]
	v_pk_fma_f32 v[154:155], v[154:155], v[150:151], v[158:159] op_sel:[0,0,1] op_sel_hi:[1,0,0]
	v_mov_b32_e32 v161, v155
	v_pk_mul_f32 v[154:155], v[156:157], v[152:153] op_sel:[0,1]
	s_delay_alu instid0(VALU_DEP_1) | instskip(SKIP_1) | instid1(VALU_DEP_1)
	v_pk_fma_f32 v[158:159], v[156:157], v[150:151], v[154:155] op_sel:[0,0,1] op_sel_hi:[1,1,0] neg_lo:[0,0,1] neg_hi:[0,0,1]
	v_pk_fma_f32 v[154:155], v[156:157], v[150:151], v[154:155] op_sel:[0,0,1] op_sel_hi:[1,0,0]
	v_mov_b32_e32 v159, v155
	ds_load_2addr_b64 v[154:157], v214 offset0:12 offset1:13
	v_pk_add_f32 v[40:41], v[40:41], v[160:161] neg_lo:[0,1] neg_hi:[0,1]
	v_pk_add_f32 v[36:37], v[36:37], v[158:159] neg_lo:[0,1] neg_hi:[0,1]
	s_wait_dscnt 0x0
	v_dual_mul_f32 v158, v155, v153 :: v_dual_mul_f32 v160, v155, v150
	s_delay_alu instid0(VALU_DEP_1) | instskip(NEXT) | instid1(VALU_DEP_2)
	v_pk_fma_f32 v[158:159], v[154:155], v[46:47], v[158:159] op_sel_hi:[1,1,0] neg_lo:[0,0,1] neg_hi:[0,0,1]
	v_pk_fma_f32 v[154:155], v[154:155], v[46:47], v[160:161] op_sel:[1,0,0] op_sel_hi:[0,1,0]
	s_delay_alu instid0(VALU_DEP_1) | instskip(SKIP_1) | instid1(VALU_DEP_2)
	v_mov_b32_e32 v159, v155
	v_pk_mul_f32 v[154:155], v[156:157], v[152:153] op_sel:[0,1]
	v_pk_add_f32 v[62:63], v[62:63], v[158:159] neg_lo:[0,1] neg_hi:[0,1]
	s_delay_alu instid0(VALU_DEP_2) | instskip(SKIP_1) | instid1(VALU_DEP_1)
	v_pk_fma_f32 v[158:159], v[156:157], v[150:151], v[154:155] op_sel:[0,0,1] op_sel_hi:[1,1,0] neg_lo:[0,0,1] neg_hi:[0,0,1]
	v_pk_fma_f32 v[154:155], v[156:157], v[150:151], v[154:155] op_sel:[0,0,1] op_sel_hi:[1,0,0]
	v_mov_b32_e32 v159, v155
	ds_load_2addr_b64 v[154:157], v214 offset0:14 offset1:15
	v_pk_add_f32 v[58:59], v[58:59], v[158:159] neg_lo:[0,1] neg_hi:[0,1]
	s_wait_dscnt 0x0
	v_pk_mul_f32 v[158:159], v[154:155], v[152:153] op_sel:[0,1]
	s_delay_alu instid0(VALU_DEP_1) | instskip(SKIP_1) | instid1(VALU_DEP_1)
	v_pk_fma_f32 v[160:161], v[154:155], v[150:151], v[158:159] op_sel:[0,0,1] op_sel_hi:[1,1,0] neg_lo:[0,0,1] neg_hi:[0,0,1]
	v_pk_fma_f32 v[154:155], v[154:155], v[150:151], v[158:159] op_sel:[0,0,1] op_sel_hi:[1,0,0]
	v_mov_b32_e32 v161, v155
	v_pk_mul_f32 v[154:155], v[156:157], v[152:153] op_sel:[0,1]
	s_delay_alu instid0(VALU_DEP_2) | instskip(NEXT) | instid1(VALU_DEP_2)
	v_pk_add_f32 v[60:61], v[60:61], v[160:161] neg_lo:[0,1] neg_hi:[0,1]
	v_pk_fma_f32 v[158:159], v[156:157], v[150:151], v[154:155] op_sel:[0,0,1] op_sel_hi:[1,1,0] neg_lo:[0,0,1] neg_hi:[0,0,1]
	v_pk_fma_f32 v[154:155], v[156:157], v[150:151], v[154:155] op_sel:[0,0,1] op_sel_hi:[1,0,0]
	s_delay_alu instid0(VALU_DEP_1) | instskip(SKIP_4) | instid1(VALU_DEP_1)
	v_mov_b32_e32 v159, v155
	ds_load_2addr_b64 v[154:157], v214 offset0:16 offset1:17
	v_pk_add_f32 v[56:57], v[56:57], v[158:159] neg_lo:[0,1] neg_hi:[0,1]
	s_wait_dscnt 0x0
	v_pk_mul_f32 v[158:159], v[154:155], v[152:153] op_sel:[0,1]
	v_pk_fma_f32 v[160:161], v[154:155], v[150:151], v[158:159] op_sel:[0,0,1] op_sel_hi:[1,1,0] neg_lo:[0,0,1] neg_hi:[0,0,1]
	v_pk_fma_f32 v[154:155], v[154:155], v[150:151], v[158:159] op_sel:[0,0,1] op_sel_hi:[1,0,0]
	v_dual_mul_f32 v158, v157, v153 :: v_dual_mov_b32 v154, v157
	s_delay_alu instid0(VALU_DEP_2) | instskip(NEXT) | instid1(VALU_DEP_2)
	v_dual_mov_b32 v161, v155 :: v_dual_mov_b32 v155, v156
	v_pk_fma_f32 v[158:159], v[156:157], v[46:47], v[158:159] op_sel_hi:[1,1,0] neg_lo:[0,0,1] neg_hi:[0,0,1]
	v_mul_f32_e32 v156, v157, v150
	s_delay_alu instid0(VALU_DEP_3) | instskip(NEXT) | instid1(VALU_DEP_2)
	v_pk_add_f32 v[72:73], v[72:73], v[160:161] neg_lo:[0,1] neg_hi:[0,1]
	v_pk_fma_f32 v[154:155], v[154:155], v[46:47], v[156:157] op_sel_hi:[1,1,0]
	s_delay_alu instid0(VALU_DEP_1) | instskip(SKIP_4) | instid1(VALU_DEP_1)
	v_mov_b32_e32 v159, v155
	ds_load_2addr_b64 v[154:157], v214 offset0:18 offset1:19
	v_pk_add_f32 v[112:113], v[112:113], v[158:159] neg_lo:[0,1] neg_hi:[0,1]
	s_wait_dscnt 0x0
	v_pk_mul_f32 v[158:159], v[154:155], v[152:153] op_sel:[0,1]
	v_pk_fma_f32 v[160:161], v[154:155], v[150:151], v[158:159] op_sel:[0,0,1] op_sel_hi:[1,1,0] neg_lo:[0,0,1] neg_hi:[0,0,1]
	v_pk_fma_f32 v[154:155], v[154:155], v[150:151], v[158:159] op_sel:[0,0,1] op_sel_hi:[1,0,0]
	s_delay_alu instid0(VALU_DEP_1) | instskip(SKIP_1) | instid1(VALU_DEP_1)
	v_mov_b32_e32 v161, v155
	v_pk_mul_f32 v[154:155], v[156:157], v[152:153] op_sel:[0,1]
	v_pk_fma_f32 v[158:159], v[156:157], v[150:151], v[154:155] op_sel:[0,0,1] op_sel_hi:[1,1,0] neg_lo:[0,0,1] neg_hi:[0,0,1]
	v_pk_fma_f32 v[154:155], v[156:157], v[150:151], v[154:155] op_sel:[0,0,1] op_sel_hi:[1,0,0]
	s_delay_alu instid0(VALU_DEP_1)
	v_mov_b32_e32 v159, v155
	ds_load_2addr_b64 v[154:157], v214 offset0:20 offset1:21
	v_pk_add_f32 v[114:115], v[114:115], v[160:161] neg_lo:[0,1] neg_hi:[0,1]
	v_pk_add_f32 v[94:95], v[94:95], v[158:159] neg_lo:[0,1] neg_hi:[0,1]
	s_wait_dscnt 0x0
	v_pk_mul_f32 v[158:159], v[154:155], v[152:153] op_sel:[0,1]
	s_delay_alu instid0(VALU_DEP_1) | instskip(SKIP_1) | instid1(VALU_DEP_1)
	v_pk_fma_f32 v[160:161], v[154:155], v[150:151], v[158:159] op_sel:[0,0,1] op_sel_hi:[1,1,0] neg_lo:[0,0,1] neg_hi:[0,0,1]
	v_pk_fma_f32 v[154:155], v[154:155], v[150:151], v[158:159] op_sel:[0,0,1] op_sel_hi:[1,0,0]
	v_mov_b32_e32 v161, v155
	v_pk_mul_f32 v[154:155], v[156:157], v[152:153] op_sel:[0,1]
	s_delay_alu instid0(VALU_DEP_1) | instskip(SKIP_1) | instid1(VALU_DEP_1)
	v_pk_fma_f32 v[158:159], v[156:157], v[150:151], v[154:155] op_sel:[0,0,1] op_sel_hi:[1,1,0] neg_lo:[0,0,1] neg_hi:[0,0,1]
	v_pk_fma_f32 v[154:155], v[156:157], v[150:151], v[154:155] op_sel:[0,0,1] op_sel_hi:[1,0,0]
	v_mov_b32_e32 v159, v155
	ds_load_2addr_b64 v[154:157], v214 offset0:22 offset1:23
	v_pk_add_f32 v[128:129], v[128:129], v[160:161] neg_lo:[0,1] neg_hi:[0,1]
	v_pk_add_f32 v[124:125], v[124:125], v[158:159] neg_lo:[0,1] neg_hi:[0,1]
	s_wait_dscnt 0x0
	v_dual_mul_f32 v158, v155, v153 :: v_dual_mul_f32 v160, v155, v150
	s_delay_alu instid0(VALU_DEP_1) | instskip(NEXT) | instid1(VALU_DEP_2)
	v_pk_fma_f32 v[158:159], v[154:155], v[46:47], v[158:159] op_sel_hi:[1,1,0] neg_lo:[0,0,1] neg_hi:[0,0,1]
	v_pk_fma_f32 v[154:155], v[154:155], v[46:47], v[160:161] op_sel:[1,0,0] op_sel_hi:[0,1,0]
	s_delay_alu instid0(VALU_DEP_1) | instskip(SKIP_1) | instid1(VALU_DEP_2)
	v_mov_b32_e32 v159, v155
	v_pk_mul_f32 v[154:155], v[156:157], v[152:153] op_sel:[0,1]
	v_pk_add_f32 v[126:127], v[126:127], v[158:159] neg_lo:[0,1] neg_hi:[0,1]
	s_delay_alu instid0(VALU_DEP_2) | instskip(SKIP_1) | instid1(VALU_DEP_1)
	v_pk_fma_f32 v[158:159], v[156:157], v[150:151], v[154:155] op_sel:[0,0,1] op_sel_hi:[1,1,0] neg_lo:[0,0,1] neg_hi:[0,0,1]
	v_pk_fma_f32 v[154:155], v[156:157], v[150:151], v[154:155] op_sel:[0,0,1] op_sel_hi:[1,0,0]
	v_mov_b32_e32 v159, v155
	ds_load_2addr_b64 v[154:157], v214 offset0:24 offset1:25
	v_pk_add_f32 v[138:139], v[138:139], v[158:159] neg_lo:[0,1] neg_hi:[0,1]
	s_wait_dscnt 0x0
	v_pk_mul_f32 v[158:159], v[154:155], v[152:153] op_sel:[0,1]
	s_delay_alu instid0(VALU_DEP_1) | instskip(SKIP_1) | instid1(VALU_DEP_1)
	v_pk_fma_f32 v[160:161], v[154:155], v[150:151], v[158:159] op_sel:[0,0,1] op_sel_hi:[1,1,0] neg_lo:[0,0,1] neg_hi:[0,0,1]
	v_pk_fma_f32 v[154:155], v[154:155], v[150:151], v[158:159] op_sel:[0,0,1] op_sel_hi:[1,0,0]
	v_mov_b32_e32 v161, v155
	v_pk_mul_f32 v[154:155], v[156:157], v[152:153] op_sel:[0,1]
	s_delay_alu instid0(VALU_DEP_2) | instskip(NEXT) | instid1(VALU_DEP_2)
	v_pk_add_f32 v[136:137], v[136:137], v[160:161] neg_lo:[0,1] neg_hi:[0,1]
	v_pk_fma_f32 v[158:159], v[156:157], v[150:151], v[154:155] op_sel:[0,0,1] op_sel_hi:[1,1,0] neg_lo:[0,0,1] neg_hi:[0,0,1]
	v_pk_fma_f32 v[154:155], v[156:157], v[150:151], v[154:155] op_sel:[0,0,1] op_sel_hi:[1,0,0]
	s_delay_alu instid0(VALU_DEP_1) | instskip(SKIP_4) | instid1(VALU_DEP_1)
	v_mov_b32_e32 v159, v155
	ds_load_2addr_b64 v[154:157], v214 offset0:26 offset1:27
	v_pk_add_f32 v[134:135], v[134:135], v[158:159] neg_lo:[0,1] neg_hi:[0,1]
	s_wait_dscnt 0x0
	v_pk_mul_f32 v[158:159], v[154:155], v[152:153] op_sel:[0,1]
	v_pk_fma_f32 v[160:161], v[154:155], v[150:151], v[158:159] op_sel:[0,0,1] op_sel_hi:[1,1,0] neg_lo:[0,0,1] neg_hi:[0,0,1]
	v_pk_fma_f32 v[154:155], v[154:155], v[150:151], v[158:159] op_sel:[0,0,1] op_sel_hi:[1,0,0]
	v_dual_mul_f32 v158, v157, v153 :: v_dual_mov_b32 v154, v157
	s_delay_alu instid0(VALU_DEP_2) | instskip(NEXT) | instid1(VALU_DEP_2)
	v_dual_mov_b32 v161, v155 :: v_dual_mov_b32 v155, v156
	v_pk_fma_f32 v[158:159], v[156:157], v[46:47], v[158:159] op_sel_hi:[1,1,0] neg_lo:[0,0,1] neg_hi:[0,0,1]
	v_mul_f32_e32 v156, v157, v150
	s_delay_alu instid0(VALU_DEP_3) | instskip(NEXT) | instid1(VALU_DEP_2)
	v_pk_add_f32 v[100:101], v[100:101], v[160:161] neg_lo:[0,1] neg_hi:[0,1]
	v_pk_fma_f32 v[154:155], v[154:155], v[46:47], v[156:157] op_sel_hi:[1,1,0]
	s_delay_alu instid0(VALU_DEP_1) | instskip(SKIP_4) | instid1(VALU_DEP_1)
	v_mov_b32_e32 v159, v155
	ds_load_2addr_b64 v[154:157], v214 offset0:28 offset1:29
	v_pk_add_f32 v[98:99], v[98:99], v[158:159] neg_lo:[0,1] neg_hi:[0,1]
	s_wait_dscnt 0x0
	v_pk_mul_f32 v[158:159], v[154:155], v[152:153] op_sel:[0,1]
	v_pk_fma_f32 v[160:161], v[154:155], v[150:151], v[158:159] op_sel:[0,0,1] op_sel_hi:[1,1,0] neg_lo:[0,0,1] neg_hi:[0,0,1]
	v_pk_fma_f32 v[154:155], v[154:155], v[150:151], v[158:159] op_sel:[0,0,1] op_sel_hi:[1,0,0]
	s_delay_alu instid0(VALU_DEP_1) | instskip(SKIP_1) | instid1(VALU_DEP_1)
	v_mov_b32_e32 v161, v155
	v_pk_mul_f32 v[154:155], v[156:157], v[152:153] op_sel:[0,1]
	v_pk_fma_f32 v[158:159], v[156:157], v[150:151], v[154:155] op_sel:[0,0,1] op_sel_hi:[1,1,0] neg_lo:[0,0,1] neg_hi:[0,0,1]
	v_pk_fma_f32 v[154:155], v[156:157], v[150:151], v[154:155] op_sel:[0,0,1] op_sel_hi:[1,0,0]
	s_delay_alu instid0(VALU_DEP_1)
	v_mov_b32_e32 v159, v155
	ds_load_2addr_b64 v[154:157], v214 offset0:30 offset1:31
	v_pk_add_f32 v[120:121], v[120:121], v[160:161] neg_lo:[0,1] neg_hi:[0,1]
	v_pk_add_f32 v[116:117], v[116:117], v[158:159] neg_lo:[0,1] neg_hi:[0,1]
	s_wait_dscnt 0x0
	v_pk_mul_f32 v[158:159], v[154:155], v[152:153] op_sel:[0,1]
	s_delay_alu instid0(VALU_DEP_1) | instskip(SKIP_1) | instid1(VALU_DEP_1)
	v_pk_fma_f32 v[160:161], v[154:155], v[150:151], v[158:159] op_sel:[0,0,1] op_sel_hi:[1,1,0] neg_lo:[0,0,1] neg_hi:[0,0,1]
	v_pk_fma_f32 v[154:155], v[154:155], v[150:151], v[158:159] op_sel:[0,0,1] op_sel_hi:[1,0,0]
	v_mov_b32_e32 v161, v155
	v_pk_mul_f32 v[154:155], v[156:157], v[152:153] op_sel:[0,1]
	s_delay_alu instid0(VALU_DEP_1) | instskip(SKIP_1) | instid1(VALU_DEP_1)
	v_pk_fma_f32 v[158:159], v[156:157], v[150:151], v[154:155] op_sel:[0,0,1] op_sel_hi:[1,1,0] neg_lo:[0,0,1] neg_hi:[0,0,1]
	v_pk_fma_f32 v[154:155], v[156:157], v[150:151], v[154:155] op_sel:[0,0,1] op_sel_hi:[1,0,0]
	v_mov_b32_e32 v159, v155
	ds_load_2addr_b64 v[154:157], v214 offset0:32 offset1:33
	v_pk_add_f32 v[118:119], v[118:119], v[160:161] neg_lo:[0,1] neg_hi:[0,1]
	v_pk_add_f32 v[132:133], v[132:133], v[158:159] neg_lo:[0,1] neg_hi:[0,1]
	s_wait_dscnt 0x0
	v_dual_mul_f32 v158, v155, v153 :: v_dual_mul_f32 v160, v155, v150
	s_delay_alu instid0(VALU_DEP_1) | instskip(NEXT) | instid1(VALU_DEP_2)
	v_pk_fma_f32 v[158:159], v[154:155], v[46:47], v[158:159] op_sel_hi:[1,1,0] neg_lo:[0,0,1] neg_hi:[0,0,1]
	v_pk_fma_f32 v[154:155], v[154:155], v[46:47], v[160:161] op_sel:[1,0,0] op_sel_hi:[0,1,0]
	s_delay_alu instid0(VALU_DEP_1) | instskip(SKIP_1) | instid1(VALU_DEP_2)
	v_mov_b32_e32 v159, v155
	v_pk_mul_f32 v[154:155], v[156:157], v[152:153] op_sel:[0,1]
	v_pk_add_f32 v[130:131], v[130:131], v[158:159] neg_lo:[0,1] neg_hi:[0,1]
	s_delay_alu instid0(VALU_DEP_2) | instskip(SKIP_1) | instid1(VALU_DEP_1)
	v_pk_fma_f32 v[158:159], v[156:157], v[150:151], v[154:155] op_sel:[0,0,1] op_sel_hi:[1,1,0] neg_lo:[0,0,1] neg_hi:[0,0,1]
	v_pk_fma_f32 v[154:155], v[156:157], v[150:151], v[154:155] op_sel:[0,0,1] op_sel_hi:[1,0,0]
	v_mov_b32_e32 v159, v155
	ds_load_b64 v[154:155], v214 offset:272
	v_pk_add_f32 v[122:123], v[122:123], v[158:159] neg_lo:[0,1] neg_hi:[0,1]
	s_wait_dscnt 0x0
	v_pk_mul_f32 v[152:153], v[154:155], v[152:153] op_sel:[0,1]
	s_delay_alu instid0(VALU_DEP_1) | instskip(SKIP_1) | instid1(VALU_DEP_1)
	v_pk_fma_f32 v[156:157], v[154:155], v[150:151], v[152:153] op_sel:[0,0,1] op_sel_hi:[1,1,0] neg_lo:[0,0,1] neg_hi:[0,0,1]
	v_pk_fma_f32 v[150:151], v[154:155], v[150:151], v[152:153] op_sel:[0,0,1] op_sel_hi:[1,0,0]
	v_mov_b32_e32 v157, v151
	s_delay_alu instid0(VALU_DEP_1)
	v_pk_add_f32 v[140:141], v[140:141], v[156:157] neg_lo:[0,1] neg_hi:[0,1]
.LBB69_37:
	s_or_b32 exec_lo, exec_lo, s1
	s_delay_alu instid0(SALU_CYCLE_1)
	s_mov_b32 s2, exec_lo
	s_wait_dscnt 0x0
	s_barrier_signal -1
	s_barrier_wait -1
	v_cmpx_eq_u32_e32 4, v212
	s_cbranch_execz .LBB69_44
; %bb.38:
	ds_store_b64 v213, v[28:29]
	ds_store_2addr_b64 v214, v[24:25], v[26:27] offset0:5 offset1:6
	ds_store_2addr_b64 v214, v[22:23], v[42:43] offset0:7 offset1:8
	;; [unrolled: 1-line block ×15, first 2 shown]
	ds_load_b64 v[150:151], v213
	s_wait_dscnt 0x0
	v_cmp_neq_f32_e32 vcc_lo, 0, v150
	v_cmp_neq_f32_e64 s1, 0, v151
	s_or_b32 s1, vcc_lo, s1
	s_delay_alu instid0(SALU_CYCLE_1)
	s_and_b32 exec_lo, exec_lo, s1
	s_cbranch_execz .LBB69_44
; %bb.39:
	v_cmp_ngt_f32_e64 s1, |v150|, |v151|
                                        ; implicit-def: $vgpr152_vgpr153
	s_and_saveexec_b32 s4, s1
	s_delay_alu instid0(SALU_CYCLE_1)
	s_xor_b32 s1, exec_lo, s4
	s_cbranch_execz .LBB69_41
; %bb.40:
	v_div_scale_f32 v152, null, v151, v151, v150
	v_div_scale_f32 v155, vcc_lo, v150, v151, v150
	s_delay_alu instid0(VALU_DEP_2) | instskip(SKIP_1) | instid1(TRANS32_DEP_1)
	v_rcp_f32_e32 v153, v152
	v_nop
	v_fma_f32 v154, -v152, v153, 1.0
	s_delay_alu instid0(VALU_DEP_1) | instskip(NEXT) | instid1(VALU_DEP_1)
	v_fmac_f32_e32 v153, v154, v153
	v_mul_f32_e32 v154, v155, v153
	s_delay_alu instid0(VALU_DEP_1) | instskip(NEXT) | instid1(VALU_DEP_1)
	v_fma_f32 v156, -v152, v154, v155
	v_fmac_f32_e32 v154, v156, v153
	s_delay_alu instid0(VALU_DEP_1) | instskip(NEXT) | instid1(VALU_DEP_1)
	v_fma_f32 v152, -v152, v154, v155
	v_div_fmas_f32 v152, v152, v153, v154
	s_delay_alu instid0(VALU_DEP_1) | instskip(NEXT) | instid1(VALU_DEP_1)
	v_div_fixup_f32 v152, v152, v151, v150
	v_fmac_f32_e32 v151, v150, v152
	s_delay_alu instid0(VALU_DEP_1) | instskip(SKIP_1) | instid1(VALU_DEP_2)
	v_div_scale_f32 v150, null, v151, v151, 1.0
	v_div_scale_f32 v155, vcc_lo, 1.0, v151, 1.0
	v_rcp_f32_e32 v153, v150
	v_nop
	s_delay_alu instid0(TRANS32_DEP_1) | instskip(NEXT) | instid1(VALU_DEP_1)
	v_fma_f32 v154, -v150, v153, 1.0
	v_fmac_f32_e32 v153, v154, v153
	s_delay_alu instid0(VALU_DEP_1) | instskip(NEXT) | instid1(VALU_DEP_1)
	v_mul_f32_e32 v154, v155, v153
	v_fma_f32 v156, -v150, v154, v155
	s_delay_alu instid0(VALU_DEP_1) | instskip(NEXT) | instid1(VALU_DEP_1)
	v_fmac_f32_e32 v154, v156, v153
	v_fma_f32 v150, -v150, v154, v155
	s_delay_alu instid0(VALU_DEP_1) | instskip(NEXT) | instid1(VALU_DEP_1)
	v_div_fmas_f32 v150, v150, v153, v154
	v_div_fixup_f32 v150, v150, v151, 1.0
	s_delay_alu instid0(VALU_DEP_1)
	v_mul_f32_e32 v152, v152, v150
	v_xor_b32_e32 v153, 0x80000000, v150
                                        ; implicit-def: $vgpr150_vgpr151
.LBB69_41:
	s_and_not1_saveexec_b32 s1, s1
	s_cbranch_execz .LBB69_43
; %bb.42:
	v_div_scale_f32 v152, null, v150, v150, v151
	v_div_scale_f32 v155, vcc_lo, v151, v150, v151
	s_delay_alu instid0(VALU_DEP_2) | instskip(SKIP_1) | instid1(TRANS32_DEP_1)
	v_rcp_f32_e32 v153, v152
	v_nop
	v_fma_f32 v154, -v152, v153, 1.0
	s_delay_alu instid0(VALU_DEP_1) | instskip(NEXT) | instid1(VALU_DEP_1)
	v_fmac_f32_e32 v153, v154, v153
	v_mul_f32_e32 v154, v155, v153
	s_delay_alu instid0(VALU_DEP_1) | instskip(NEXT) | instid1(VALU_DEP_1)
	v_fma_f32 v156, -v152, v154, v155
	v_fmac_f32_e32 v154, v156, v153
	s_delay_alu instid0(VALU_DEP_1) | instskip(NEXT) | instid1(VALU_DEP_1)
	v_fma_f32 v152, -v152, v154, v155
	v_div_fmas_f32 v152, v152, v153, v154
	s_delay_alu instid0(VALU_DEP_1) | instskip(NEXT) | instid1(VALU_DEP_1)
	v_div_fixup_f32 v153, v152, v150, v151
	v_fmac_f32_e32 v150, v151, v153
	s_delay_alu instid0(VALU_DEP_1) | instskip(NEXT) | instid1(VALU_DEP_1)
	v_div_scale_f32 v151, null, v150, v150, 1.0
	v_rcp_f32_e32 v152, v151
	v_nop
	s_delay_alu instid0(TRANS32_DEP_1) | instskip(NEXT) | instid1(VALU_DEP_1)
	v_fma_f32 v154, -v151, v152, 1.0
	v_fmac_f32_e32 v152, v154, v152
	v_div_scale_f32 v154, vcc_lo, 1.0, v150, 1.0
	s_delay_alu instid0(VALU_DEP_1) | instskip(NEXT) | instid1(VALU_DEP_1)
	v_mul_f32_e32 v155, v154, v152
	v_fma_f32 v156, -v151, v155, v154
	s_delay_alu instid0(VALU_DEP_1) | instskip(NEXT) | instid1(VALU_DEP_1)
	v_fmac_f32_e32 v155, v156, v152
	v_fma_f32 v151, -v151, v155, v154
	s_delay_alu instid0(VALU_DEP_1) | instskip(NEXT) | instid1(VALU_DEP_1)
	v_div_fmas_f32 v151, v151, v152, v155
	v_div_fixup_f32 v152, v151, v150, 1.0
	s_delay_alu instid0(VALU_DEP_1)
	v_mul_f32_e64 v153, v153, -v152
.LBB69_43:
	s_or_b32 exec_lo, exec_lo, s1
	ds_store_b64 v213, v[152:153]
.LBB69_44:
	s_or_b32 exec_lo, exec_lo, s2
	s_wait_dscnt 0x0
	s_barrier_signal -1
	s_barrier_wait -1
	ds_load_b64 v[150:151], v213
	s_mov_b32 s1, exec_lo
	v_cmpx_lt_u32_e32 4, v212
	s_cbranch_execz .LBB69_46
; %bb.45:
	ds_load_2addr_b64 v[156:159], v214 offset0:5 offset1:6
	s_wait_dscnt 0x1
	v_pk_mul_f32 v[154:155], v[150:151], v[28:29] op_sel:[1,1] op_sel_hi:[0,1]
	s_delay_alu instid0(VALU_DEP_1) | instskip(SKIP_1) | instid1(VALU_DEP_1)
	v_pk_fma_f32 v[152:153], v[150:151], v[28:29], v[154:155] op_sel_hi:[1,0,1] neg_lo:[0,0,1] neg_hi:[0,0,1]
	v_pk_fma_f32 v[154:155], v[150:151], v[28:29], v[154:155] op_sel_hi:[1,0,1]
	v_dual_mov_b32 v28, v152 :: v_dual_mov_b32 v29, v155
	s_wait_dscnt 0x0
	s_delay_alu instid0(VALU_DEP_2) | instskip(NEXT) | instid1(VALU_DEP_1)
	v_pk_mul_f32 v[160:161], v[156:157], v[154:155] op_sel:[0,1]
	v_pk_fma_f32 v[162:163], v[156:157], v[152:153], v[160:161] op_sel:[0,0,1] op_sel_hi:[1,1,0] neg_lo:[0,0,1] neg_hi:[0,0,1]
	v_pk_fma_f32 v[156:157], v[156:157], v[152:153], v[160:161] op_sel:[0,0,1] op_sel_hi:[1,0,0]
	s_delay_alu instid0(VALU_DEP_1) | instskip(SKIP_1) | instid1(VALU_DEP_1)
	v_mov_b32_e32 v163, v157
	v_pk_mul_f32 v[156:157], v[158:159], v[154:155] op_sel:[0,1]
	v_pk_fma_f32 v[160:161], v[158:159], v[152:153], v[156:157] op_sel:[0,0,1] op_sel_hi:[1,1,0] neg_lo:[0,0,1] neg_hi:[0,0,1]
	v_pk_fma_f32 v[156:157], v[158:159], v[152:153], v[156:157] op_sel:[0,0,1] op_sel_hi:[1,0,0]
	s_delay_alu instid0(VALU_DEP_1)
	v_mov_b32_e32 v161, v157
	ds_load_2addr_b64 v[156:159], v214 offset0:7 offset1:8
	v_pk_add_f32 v[24:25], v[24:25], v[162:163] neg_lo:[0,1] neg_hi:[0,1]
	v_pk_add_f32 v[26:27], v[26:27], v[160:161] neg_lo:[0,1] neg_hi:[0,1]
	s_wait_dscnt 0x0
	v_pk_mul_f32 v[160:161], v[156:157], v[154:155] op_sel:[0,1]
	s_delay_alu instid0(VALU_DEP_1) | instskip(SKIP_2) | instid1(VALU_DEP_2)
	v_pk_fma_f32 v[162:163], v[156:157], v[152:153], v[160:161] op_sel:[0,0,1] op_sel_hi:[1,1,0] neg_lo:[0,0,1] neg_hi:[0,0,1]
	v_pk_fma_f32 v[156:157], v[156:157], v[152:153], v[160:161] op_sel:[0,0,1] op_sel_hi:[1,0,0]
	v_dual_mul_f32 v160, v159, v155 :: v_dual_mov_b32 v156, v159
	v_dual_mov_b32 v163, v157 :: v_dual_mov_b32 v157, v158
	s_delay_alu instid0(VALU_DEP_2) | instskip(SKIP_1) | instid1(VALU_DEP_3)
	v_pk_fma_f32 v[160:161], v[158:159], v[28:29], v[160:161] op_sel_hi:[1,1,0] neg_lo:[0,0,1] neg_hi:[0,0,1]
	v_mul_f32_e32 v158, v159, v152
	v_pk_add_f32 v[22:23], v[22:23], v[162:163] neg_lo:[0,1] neg_hi:[0,1]
	s_delay_alu instid0(VALU_DEP_2) | instskip(NEXT) | instid1(VALU_DEP_1)
	v_pk_fma_f32 v[156:157], v[156:157], v[28:29], v[158:159] op_sel_hi:[1,1,0]
	v_mov_b32_e32 v161, v157
	ds_load_2addr_b64 v[156:159], v214 offset0:9 offset1:10
	v_pk_add_f32 v[42:43], v[42:43], v[160:161] neg_lo:[0,1] neg_hi:[0,1]
	s_wait_dscnt 0x0
	v_pk_mul_f32 v[160:161], v[156:157], v[154:155] op_sel:[0,1]
	s_delay_alu instid0(VALU_DEP_1) | instskip(SKIP_1) | instid1(VALU_DEP_1)
	v_pk_fma_f32 v[162:163], v[156:157], v[152:153], v[160:161] op_sel:[0,0,1] op_sel_hi:[1,1,0] neg_lo:[0,0,1] neg_hi:[0,0,1]
	v_pk_fma_f32 v[156:157], v[156:157], v[152:153], v[160:161] op_sel:[0,0,1] op_sel_hi:[1,0,0]
	v_mov_b32_e32 v163, v157
	v_pk_mul_f32 v[156:157], v[158:159], v[154:155] op_sel:[0,1]
	s_delay_alu instid0(VALU_DEP_1) | instskip(SKIP_1) | instid1(VALU_DEP_1)
	v_pk_fma_f32 v[160:161], v[158:159], v[152:153], v[156:157] op_sel:[0,0,1] op_sel_hi:[1,1,0] neg_lo:[0,0,1] neg_hi:[0,0,1]
	v_pk_fma_f32 v[156:157], v[158:159], v[152:153], v[156:157] op_sel:[0,0,1] op_sel_hi:[1,0,0]
	v_mov_b32_e32 v161, v157
	ds_load_2addr_b64 v[156:159], v214 offset0:11 offset1:12
	v_pk_add_f32 v[38:39], v[38:39], v[162:163] neg_lo:[0,1] neg_hi:[0,1]
	v_pk_add_f32 v[40:41], v[40:41], v[160:161] neg_lo:[0,1] neg_hi:[0,1]
	s_wait_dscnt 0x0
	v_pk_mul_f32 v[160:161], v[156:157], v[154:155] op_sel:[0,1]
	s_delay_alu instid0(VALU_DEP_1) | instskip(SKIP_1) | instid1(VALU_DEP_1)
	v_pk_fma_f32 v[162:163], v[156:157], v[152:153], v[160:161] op_sel:[0,0,1] op_sel_hi:[1,1,0] neg_lo:[0,0,1] neg_hi:[0,0,1]
	v_pk_fma_f32 v[156:157], v[156:157], v[152:153], v[160:161] op_sel:[0,0,1] op_sel_hi:[1,0,0]
	v_mov_b32_e32 v163, v157
	v_pk_mul_f32 v[156:157], v[158:159], v[154:155] op_sel:[0,1]
	s_delay_alu instid0(VALU_DEP_1) | instskip(SKIP_1) | instid1(VALU_DEP_1)
	v_pk_fma_f32 v[160:161], v[158:159], v[152:153], v[156:157] op_sel:[0,0,1] op_sel_hi:[1,1,0] neg_lo:[0,0,1] neg_hi:[0,0,1]
	v_pk_fma_f32 v[156:157], v[158:159], v[152:153], v[156:157] op_sel:[0,0,1] op_sel_hi:[1,0,0]
	v_mov_b32_e32 v161, v157
	ds_load_2addr_b64 v[156:159], v214 offset0:13 offset1:14
	v_pk_add_f32 v[36:37], v[36:37], v[162:163] neg_lo:[0,1] neg_hi:[0,1]
	v_pk_add_f32 v[62:63], v[62:63], v[160:161] neg_lo:[0,1] neg_hi:[0,1]
	s_wait_dscnt 0x0
	v_dual_mul_f32 v160, v157, v155 :: v_dual_mul_f32 v162, v157, v152
	s_delay_alu instid0(VALU_DEP_1) | instskip(NEXT) | instid1(VALU_DEP_2)
	v_pk_fma_f32 v[160:161], v[156:157], v[28:29], v[160:161] op_sel_hi:[1,1,0] neg_lo:[0,0,1] neg_hi:[0,0,1]
	v_pk_fma_f32 v[156:157], v[156:157], v[28:29], v[162:163] op_sel:[1,0,0] op_sel_hi:[0,1,0]
	s_delay_alu instid0(VALU_DEP_1) | instskip(SKIP_1) | instid1(VALU_DEP_2)
	v_mov_b32_e32 v161, v157
	v_pk_mul_f32 v[156:157], v[158:159], v[154:155] op_sel:[0,1]
	v_pk_add_f32 v[58:59], v[58:59], v[160:161] neg_lo:[0,1] neg_hi:[0,1]
	s_delay_alu instid0(VALU_DEP_2) | instskip(SKIP_1) | instid1(VALU_DEP_1)
	v_pk_fma_f32 v[160:161], v[158:159], v[152:153], v[156:157] op_sel:[0,0,1] op_sel_hi:[1,1,0] neg_lo:[0,0,1] neg_hi:[0,0,1]
	v_pk_fma_f32 v[156:157], v[158:159], v[152:153], v[156:157] op_sel:[0,0,1] op_sel_hi:[1,0,0]
	v_mov_b32_e32 v161, v157
	ds_load_2addr_b64 v[156:159], v214 offset0:15 offset1:16
	v_pk_add_f32 v[60:61], v[60:61], v[160:161] neg_lo:[0,1] neg_hi:[0,1]
	s_wait_dscnt 0x0
	v_pk_mul_f32 v[160:161], v[156:157], v[154:155] op_sel:[0,1]
	s_delay_alu instid0(VALU_DEP_1) | instskip(SKIP_1) | instid1(VALU_DEP_1)
	v_pk_fma_f32 v[162:163], v[156:157], v[152:153], v[160:161] op_sel:[0,0,1] op_sel_hi:[1,1,0] neg_lo:[0,0,1] neg_hi:[0,0,1]
	v_pk_fma_f32 v[156:157], v[156:157], v[152:153], v[160:161] op_sel:[0,0,1] op_sel_hi:[1,0,0]
	v_mov_b32_e32 v163, v157
	v_pk_mul_f32 v[156:157], v[158:159], v[154:155] op_sel:[0,1]
	s_delay_alu instid0(VALU_DEP_2) | instskip(NEXT) | instid1(VALU_DEP_2)
	v_pk_add_f32 v[56:57], v[56:57], v[162:163] neg_lo:[0,1] neg_hi:[0,1]
	v_pk_fma_f32 v[160:161], v[158:159], v[152:153], v[156:157] op_sel:[0,0,1] op_sel_hi:[1,1,0] neg_lo:[0,0,1] neg_hi:[0,0,1]
	v_pk_fma_f32 v[156:157], v[158:159], v[152:153], v[156:157] op_sel:[0,0,1] op_sel_hi:[1,0,0]
	s_delay_alu instid0(VALU_DEP_1) | instskip(SKIP_4) | instid1(VALU_DEP_1)
	v_mov_b32_e32 v161, v157
	ds_load_2addr_b64 v[156:159], v214 offset0:17 offset1:18
	v_pk_add_f32 v[72:73], v[72:73], v[160:161] neg_lo:[0,1] neg_hi:[0,1]
	s_wait_dscnt 0x0
	v_pk_mul_f32 v[160:161], v[156:157], v[154:155] op_sel:[0,1]
	v_pk_fma_f32 v[162:163], v[156:157], v[152:153], v[160:161] op_sel:[0,0,1] op_sel_hi:[1,1,0] neg_lo:[0,0,1] neg_hi:[0,0,1]
	v_pk_fma_f32 v[156:157], v[156:157], v[152:153], v[160:161] op_sel:[0,0,1] op_sel_hi:[1,0,0]
	v_dual_mul_f32 v160, v159, v155 :: v_dual_mov_b32 v156, v159
	s_delay_alu instid0(VALU_DEP_2) | instskip(NEXT) | instid1(VALU_DEP_2)
	v_dual_mov_b32 v163, v157 :: v_dual_mov_b32 v157, v158
	v_pk_fma_f32 v[160:161], v[158:159], v[28:29], v[160:161] op_sel_hi:[1,1,0] neg_lo:[0,0,1] neg_hi:[0,0,1]
	v_mul_f32_e32 v158, v159, v152
	s_delay_alu instid0(VALU_DEP_3) | instskip(NEXT) | instid1(VALU_DEP_2)
	v_pk_add_f32 v[112:113], v[112:113], v[162:163] neg_lo:[0,1] neg_hi:[0,1]
	v_pk_fma_f32 v[156:157], v[156:157], v[28:29], v[158:159] op_sel_hi:[1,1,0]
	s_delay_alu instid0(VALU_DEP_1) | instskip(SKIP_4) | instid1(VALU_DEP_1)
	v_mov_b32_e32 v161, v157
	ds_load_2addr_b64 v[156:159], v214 offset0:19 offset1:20
	v_pk_add_f32 v[114:115], v[114:115], v[160:161] neg_lo:[0,1] neg_hi:[0,1]
	s_wait_dscnt 0x0
	v_pk_mul_f32 v[160:161], v[156:157], v[154:155] op_sel:[0,1]
	v_pk_fma_f32 v[162:163], v[156:157], v[152:153], v[160:161] op_sel:[0,0,1] op_sel_hi:[1,1,0] neg_lo:[0,0,1] neg_hi:[0,0,1]
	v_pk_fma_f32 v[156:157], v[156:157], v[152:153], v[160:161] op_sel:[0,0,1] op_sel_hi:[1,0,0]
	s_delay_alu instid0(VALU_DEP_1) | instskip(SKIP_1) | instid1(VALU_DEP_1)
	v_mov_b32_e32 v163, v157
	v_pk_mul_f32 v[156:157], v[158:159], v[154:155] op_sel:[0,1]
	v_pk_fma_f32 v[160:161], v[158:159], v[152:153], v[156:157] op_sel:[0,0,1] op_sel_hi:[1,1,0] neg_lo:[0,0,1] neg_hi:[0,0,1]
	v_pk_fma_f32 v[156:157], v[158:159], v[152:153], v[156:157] op_sel:[0,0,1] op_sel_hi:[1,0,0]
	s_delay_alu instid0(VALU_DEP_1)
	v_mov_b32_e32 v161, v157
	ds_load_2addr_b64 v[156:159], v214 offset0:21 offset1:22
	v_pk_add_f32 v[94:95], v[94:95], v[162:163] neg_lo:[0,1] neg_hi:[0,1]
	v_pk_add_f32 v[128:129], v[128:129], v[160:161] neg_lo:[0,1] neg_hi:[0,1]
	s_wait_dscnt 0x0
	v_pk_mul_f32 v[160:161], v[156:157], v[154:155] op_sel:[0,1]
	s_delay_alu instid0(VALU_DEP_1) | instskip(SKIP_1) | instid1(VALU_DEP_1)
	v_pk_fma_f32 v[162:163], v[156:157], v[152:153], v[160:161] op_sel:[0,0,1] op_sel_hi:[1,1,0] neg_lo:[0,0,1] neg_hi:[0,0,1]
	v_pk_fma_f32 v[156:157], v[156:157], v[152:153], v[160:161] op_sel:[0,0,1] op_sel_hi:[1,0,0]
	v_mov_b32_e32 v163, v157
	v_pk_mul_f32 v[156:157], v[158:159], v[154:155] op_sel:[0,1]
	s_delay_alu instid0(VALU_DEP_1) | instskip(SKIP_1) | instid1(VALU_DEP_1)
	v_pk_fma_f32 v[160:161], v[158:159], v[152:153], v[156:157] op_sel:[0,0,1] op_sel_hi:[1,1,0] neg_lo:[0,0,1] neg_hi:[0,0,1]
	v_pk_fma_f32 v[156:157], v[158:159], v[152:153], v[156:157] op_sel:[0,0,1] op_sel_hi:[1,0,0]
	v_mov_b32_e32 v161, v157
	ds_load_2addr_b64 v[156:159], v214 offset0:23 offset1:24
	v_pk_add_f32 v[124:125], v[124:125], v[162:163] neg_lo:[0,1] neg_hi:[0,1]
	v_pk_add_f32 v[126:127], v[126:127], v[160:161] neg_lo:[0,1] neg_hi:[0,1]
	s_wait_dscnt 0x0
	v_dual_mul_f32 v160, v157, v155 :: v_dual_mul_f32 v162, v157, v152
	s_delay_alu instid0(VALU_DEP_1) | instskip(NEXT) | instid1(VALU_DEP_2)
	v_pk_fma_f32 v[160:161], v[156:157], v[28:29], v[160:161] op_sel_hi:[1,1,0] neg_lo:[0,0,1] neg_hi:[0,0,1]
	v_pk_fma_f32 v[156:157], v[156:157], v[28:29], v[162:163] op_sel:[1,0,0] op_sel_hi:[0,1,0]
	s_delay_alu instid0(VALU_DEP_1) | instskip(SKIP_1) | instid1(VALU_DEP_2)
	v_mov_b32_e32 v161, v157
	v_pk_mul_f32 v[156:157], v[158:159], v[154:155] op_sel:[0,1]
	v_pk_add_f32 v[138:139], v[138:139], v[160:161] neg_lo:[0,1] neg_hi:[0,1]
	s_delay_alu instid0(VALU_DEP_2) | instskip(SKIP_1) | instid1(VALU_DEP_1)
	v_pk_fma_f32 v[160:161], v[158:159], v[152:153], v[156:157] op_sel:[0,0,1] op_sel_hi:[1,1,0] neg_lo:[0,0,1] neg_hi:[0,0,1]
	v_pk_fma_f32 v[156:157], v[158:159], v[152:153], v[156:157] op_sel:[0,0,1] op_sel_hi:[1,0,0]
	v_mov_b32_e32 v161, v157
	ds_load_2addr_b64 v[156:159], v214 offset0:25 offset1:26
	v_pk_add_f32 v[136:137], v[136:137], v[160:161] neg_lo:[0,1] neg_hi:[0,1]
	s_wait_dscnt 0x0
	v_pk_mul_f32 v[160:161], v[156:157], v[154:155] op_sel:[0,1]
	s_delay_alu instid0(VALU_DEP_1) | instskip(SKIP_1) | instid1(VALU_DEP_1)
	v_pk_fma_f32 v[162:163], v[156:157], v[152:153], v[160:161] op_sel:[0,0,1] op_sel_hi:[1,1,0] neg_lo:[0,0,1] neg_hi:[0,0,1]
	v_pk_fma_f32 v[156:157], v[156:157], v[152:153], v[160:161] op_sel:[0,0,1] op_sel_hi:[1,0,0]
	v_mov_b32_e32 v163, v157
	v_pk_mul_f32 v[156:157], v[158:159], v[154:155] op_sel:[0,1]
	s_delay_alu instid0(VALU_DEP_2) | instskip(NEXT) | instid1(VALU_DEP_2)
	v_pk_add_f32 v[134:135], v[134:135], v[162:163] neg_lo:[0,1] neg_hi:[0,1]
	v_pk_fma_f32 v[160:161], v[158:159], v[152:153], v[156:157] op_sel:[0,0,1] op_sel_hi:[1,1,0] neg_lo:[0,0,1] neg_hi:[0,0,1]
	v_pk_fma_f32 v[156:157], v[158:159], v[152:153], v[156:157] op_sel:[0,0,1] op_sel_hi:[1,0,0]
	s_delay_alu instid0(VALU_DEP_1) | instskip(SKIP_4) | instid1(VALU_DEP_1)
	v_mov_b32_e32 v161, v157
	ds_load_2addr_b64 v[156:159], v214 offset0:27 offset1:28
	v_pk_add_f32 v[100:101], v[100:101], v[160:161] neg_lo:[0,1] neg_hi:[0,1]
	s_wait_dscnt 0x0
	v_pk_mul_f32 v[160:161], v[156:157], v[154:155] op_sel:[0,1]
	v_pk_fma_f32 v[162:163], v[156:157], v[152:153], v[160:161] op_sel:[0,0,1] op_sel_hi:[1,1,0] neg_lo:[0,0,1] neg_hi:[0,0,1]
	v_pk_fma_f32 v[156:157], v[156:157], v[152:153], v[160:161] op_sel:[0,0,1] op_sel_hi:[1,0,0]
	v_dual_mul_f32 v160, v159, v155 :: v_dual_mov_b32 v156, v159
	s_delay_alu instid0(VALU_DEP_2) | instskip(NEXT) | instid1(VALU_DEP_2)
	v_dual_mov_b32 v163, v157 :: v_dual_mov_b32 v157, v158
	v_pk_fma_f32 v[160:161], v[158:159], v[28:29], v[160:161] op_sel_hi:[1,1,0] neg_lo:[0,0,1] neg_hi:[0,0,1]
	v_mul_f32_e32 v158, v159, v152
	s_delay_alu instid0(VALU_DEP_3) | instskip(NEXT) | instid1(VALU_DEP_2)
	v_pk_add_f32 v[98:99], v[98:99], v[162:163] neg_lo:[0,1] neg_hi:[0,1]
	v_pk_fma_f32 v[156:157], v[156:157], v[28:29], v[158:159] op_sel_hi:[1,1,0]
	s_delay_alu instid0(VALU_DEP_1) | instskip(SKIP_4) | instid1(VALU_DEP_1)
	v_mov_b32_e32 v161, v157
	ds_load_2addr_b64 v[156:159], v214 offset0:29 offset1:30
	v_pk_add_f32 v[120:121], v[120:121], v[160:161] neg_lo:[0,1] neg_hi:[0,1]
	s_wait_dscnt 0x0
	v_pk_mul_f32 v[160:161], v[156:157], v[154:155] op_sel:[0,1]
	v_pk_fma_f32 v[162:163], v[156:157], v[152:153], v[160:161] op_sel:[0,0,1] op_sel_hi:[1,1,0] neg_lo:[0,0,1] neg_hi:[0,0,1]
	v_pk_fma_f32 v[156:157], v[156:157], v[152:153], v[160:161] op_sel:[0,0,1] op_sel_hi:[1,0,0]
	s_delay_alu instid0(VALU_DEP_1) | instskip(SKIP_1) | instid1(VALU_DEP_1)
	v_mov_b32_e32 v163, v157
	v_pk_mul_f32 v[156:157], v[158:159], v[154:155] op_sel:[0,1]
	v_pk_fma_f32 v[160:161], v[158:159], v[152:153], v[156:157] op_sel:[0,0,1] op_sel_hi:[1,1,0] neg_lo:[0,0,1] neg_hi:[0,0,1]
	v_pk_fma_f32 v[156:157], v[158:159], v[152:153], v[156:157] op_sel:[0,0,1] op_sel_hi:[1,0,0]
	s_delay_alu instid0(VALU_DEP_1)
	v_mov_b32_e32 v161, v157
	ds_load_2addr_b64 v[156:159], v214 offset0:31 offset1:32
	v_pk_add_f32 v[116:117], v[116:117], v[162:163] neg_lo:[0,1] neg_hi:[0,1]
	v_pk_add_f32 v[118:119], v[118:119], v[160:161] neg_lo:[0,1] neg_hi:[0,1]
	s_wait_dscnt 0x0
	v_pk_mul_f32 v[160:161], v[156:157], v[154:155] op_sel:[0,1]
	s_delay_alu instid0(VALU_DEP_1) | instskip(SKIP_1) | instid1(VALU_DEP_1)
	v_pk_fma_f32 v[162:163], v[156:157], v[152:153], v[160:161] op_sel:[0,0,1] op_sel_hi:[1,1,0] neg_lo:[0,0,1] neg_hi:[0,0,1]
	v_pk_fma_f32 v[156:157], v[156:157], v[152:153], v[160:161] op_sel:[0,0,1] op_sel_hi:[1,0,0]
	v_mov_b32_e32 v163, v157
	v_pk_mul_f32 v[156:157], v[158:159], v[154:155] op_sel:[0,1]
	s_delay_alu instid0(VALU_DEP_1) | instskip(SKIP_1) | instid1(VALU_DEP_1)
	v_pk_fma_f32 v[160:161], v[158:159], v[152:153], v[156:157] op_sel:[0,0,1] op_sel_hi:[1,1,0] neg_lo:[0,0,1] neg_hi:[0,0,1]
	v_pk_fma_f32 v[156:157], v[158:159], v[152:153], v[156:157] op_sel:[0,0,1] op_sel_hi:[1,0,0]
	v_mov_b32_e32 v161, v157
	ds_load_2addr_b64 v[156:159], v214 offset0:33 offset1:34
	v_pk_add_f32 v[132:133], v[132:133], v[162:163] neg_lo:[0,1] neg_hi:[0,1]
	v_pk_add_f32 v[130:131], v[130:131], v[160:161] neg_lo:[0,1] neg_hi:[0,1]
	s_wait_dscnt 0x0
	v_mul_f32_e32 v154, v157, v155
	s_delay_alu instid0(VALU_DEP_1) | instskip(SKIP_1) | instid1(VALU_DEP_1)
	v_pk_fma_f32 v[160:161], v[156:157], v[28:29], v[154:155] op_sel_hi:[1,1,0] neg_lo:[0,0,1] neg_hi:[0,0,1]
	v_dual_mul_f32 v154, v157, v152 :: v_dual_mul_f32 v152, v159, v152
	v_pk_fma_f32 v[156:157], v[156:157], v[28:29], v[154:155] op_sel:[1,0,0] op_sel_hi:[0,1,0]
	v_dual_mov_b32 v156, v159 :: v_dual_mul_f32 v154, v159, v155
	s_delay_alu instid0(VALU_DEP_2) | instskip(NEXT) | instid1(VALU_DEP_2)
	v_dual_mov_b32 v161, v157 :: v_dual_mov_b32 v157, v158
	v_pk_fma_f32 v[154:155], v[158:159], v[28:29], v[154:155] op_sel_hi:[1,1,0] neg_lo:[0,0,1] neg_hi:[0,0,1]
	s_delay_alu instid0(VALU_DEP_2) | instskip(NEXT) | instid1(VALU_DEP_3)
	v_pk_add_f32 v[122:123], v[122:123], v[160:161] neg_lo:[0,1] neg_hi:[0,1]
	v_pk_fma_f32 v[152:153], v[156:157], v[28:29], v[152:153] op_sel_hi:[1,1,0]
	s_delay_alu instid0(VALU_DEP_1) | instskip(NEXT) | instid1(VALU_DEP_1)
	v_mov_b32_e32 v155, v153
	v_pk_add_f32 v[140:141], v[140:141], v[154:155] neg_lo:[0,1] neg_hi:[0,1]
.LBB69_46:
	s_or_b32 exec_lo, exec_lo, s1
	s_delay_alu instid0(SALU_CYCLE_1)
	s_mov_b32 s2, exec_lo
	s_wait_dscnt 0x0
	s_barrier_signal -1
	s_barrier_wait -1
	v_cmpx_eq_u32_e32 5, v212
	s_cbranch_execz .LBB69_53
; %bb.47:
	v_dual_mov_b32 v152, v26 :: v_dual_mov_b32 v153, v27
	v_dual_mov_b32 v154, v22 :: v_dual_mov_b32 v155, v23
	;; [unrolled: 1-line block ×4, first 2 shown]
	ds_store_b64 v213, v[24:25]
	ds_store_2addr_b64 v214, v[152:153], v[154:155] offset0:6 offset1:7
	ds_store_2addr_b64 v214, v[156:157], v[158:159] offset0:8 offset1:9
	v_dual_mov_b32 v152, v40 :: v_dual_mov_b32 v153, v41
	v_dual_mov_b32 v154, v36 :: v_dual_mov_b32 v155, v37
	;; [unrolled: 1-line block ×12, first 2 shown]
	ds_store_2addr_b64 v214, v[152:153], v[154:155] offset0:10 offset1:11
	ds_store_2addr_b64 v214, v[156:157], v[158:159] offset0:12 offset1:13
	;; [unrolled: 1-line block ×6, first 2 shown]
	v_dual_mov_b32 v152, v126 :: v_dual_mov_b32 v153, v127
	v_dual_mov_b32 v154, v138 :: v_dual_mov_b32 v155, v139
	;; [unrolled: 1-line block ×12, first 2 shown]
	ds_store_2addr_b64 v214, v[152:153], v[154:155] offset0:22 offset1:23
	ds_store_2addr_b64 v214, v[156:157], v[158:159] offset0:24 offset1:25
	;; [unrolled: 1-line block ×6, first 2 shown]
	ds_store_b64 v214, v[140:141] offset:272
	ds_load_b64 v[152:153], v213
	s_wait_dscnt 0x0
	v_cmp_neq_f32_e32 vcc_lo, 0, v152
	v_cmp_neq_f32_e64 s1, 0, v153
	s_or_b32 s1, vcc_lo, s1
	s_delay_alu instid0(SALU_CYCLE_1)
	s_and_b32 exec_lo, exec_lo, s1
	s_cbranch_execz .LBB69_53
; %bb.48:
	v_cmp_ngt_f32_e64 s1, |v152|, |v153|
                                        ; implicit-def: $vgpr154_vgpr155
	s_and_saveexec_b32 s4, s1
	s_delay_alu instid0(SALU_CYCLE_1)
	s_xor_b32 s1, exec_lo, s4
	s_cbranch_execz .LBB69_50
; %bb.49:
	v_div_scale_f32 v154, null, v153, v153, v152
	v_div_scale_f32 v157, vcc_lo, v152, v153, v152
	s_delay_alu instid0(VALU_DEP_2) | instskip(SKIP_1) | instid1(TRANS32_DEP_1)
	v_rcp_f32_e32 v155, v154
	v_nop
	v_fma_f32 v156, -v154, v155, 1.0
	s_delay_alu instid0(VALU_DEP_1) | instskip(NEXT) | instid1(VALU_DEP_1)
	v_fmac_f32_e32 v155, v156, v155
	v_mul_f32_e32 v156, v157, v155
	s_delay_alu instid0(VALU_DEP_1) | instskip(NEXT) | instid1(VALU_DEP_1)
	v_fma_f32 v158, -v154, v156, v157
	v_fmac_f32_e32 v156, v158, v155
	s_delay_alu instid0(VALU_DEP_1) | instskip(NEXT) | instid1(VALU_DEP_1)
	v_fma_f32 v154, -v154, v156, v157
	v_div_fmas_f32 v154, v154, v155, v156
	s_delay_alu instid0(VALU_DEP_1) | instskip(NEXT) | instid1(VALU_DEP_1)
	v_div_fixup_f32 v154, v154, v153, v152
	v_fmac_f32_e32 v153, v152, v154
	s_delay_alu instid0(VALU_DEP_1) | instskip(SKIP_1) | instid1(VALU_DEP_2)
	v_div_scale_f32 v152, null, v153, v153, 1.0
	v_div_scale_f32 v157, vcc_lo, 1.0, v153, 1.0
	v_rcp_f32_e32 v155, v152
	v_nop
	s_delay_alu instid0(TRANS32_DEP_1) | instskip(NEXT) | instid1(VALU_DEP_1)
	v_fma_f32 v156, -v152, v155, 1.0
	v_fmac_f32_e32 v155, v156, v155
	s_delay_alu instid0(VALU_DEP_1) | instskip(NEXT) | instid1(VALU_DEP_1)
	v_mul_f32_e32 v156, v157, v155
	v_fma_f32 v158, -v152, v156, v157
	s_delay_alu instid0(VALU_DEP_1) | instskip(NEXT) | instid1(VALU_DEP_1)
	v_fmac_f32_e32 v156, v158, v155
	v_fma_f32 v152, -v152, v156, v157
	s_delay_alu instid0(VALU_DEP_1) | instskip(NEXT) | instid1(VALU_DEP_1)
	v_div_fmas_f32 v152, v152, v155, v156
	v_div_fixup_f32 v152, v152, v153, 1.0
	s_delay_alu instid0(VALU_DEP_1)
	v_mul_f32_e32 v154, v154, v152
	v_xor_b32_e32 v155, 0x80000000, v152
                                        ; implicit-def: $vgpr152_vgpr153
.LBB69_50:
	s_and_not1_saveexec_b32 s1, s1
	s_cbranch_execz .LBB69_52
; %bb.51:
	v_div_scale_f32 v154, null, v152, v152, v153
	v_div_scale_f32 v157, vcc_lo, v153, v152, v153
	s_delay_alu instid0(VALU_DEP_2) | instskip(SKIP_1) | instid1(TRANS32_DEP_1)
	v_rcp_f32_e32 v155, v154
	v_nop
	v_fma_f32 v156, -v154, v155, 1.0
	s_delay_alu instid0(VALU_DEP_1) | instskip(NEXT) | instid1(VALU_DEP_1)
	v_fmac_f32_e32 v155, v156, v155
	v_mul_f32_e32 v156, v157, v155
	s_delay_alu instid0(VALU_DEP_1) | instskip(NEXT) | instid1(VALU_DEP_1)
	v_fma_f32 v158, -v154, v156, v157
	v_fmac_f32_e32 v156, v158, v155
	s_delay_alu instid0(VALU_DEP_1) | instskip(NEXT) | instid1(VALU_DEP_1)
	v_fma_f32 v154, -v154, v156, v157
	v_div_fmas_f32 v154, v154, v155, v156
	s_delay_alu instid0(VALU_DEP_1) | instskip(NEXT) | instid1(VALU_DEP_1)
	v_div_fixup_f32 v155, v154, v152, v153
	v_fmac_f32_e32 v152, v153, v155
	s_delay_alu instid0(VALU_DEP_1) | instskip(NEXT) | instid1(VALU_DEP_1)
	v_div_scale_f32 v153, null, v152, v152, 1.0
	v_rcp_f32_e32 v154, v153
	v_nop
	s_delay_alu instid0(TRANS32_DEP_1) | instskip(NEXT) | instid1(VALU_DEP_1)
	v_fma_f32 v156, -v153, v154, 1.0
	v_fmac_f32_e32 v154, v156, v154
	v_div_scale_f32 v156, vcc_lo, 1.0, v152, 1.0
	s_delay_alu instid0(VALU_DEP_1) | instskip(NEXT) | instid1(VALU_DEP_1)
	v_mul_f32_e32 v157, v156, v154
	v_fma_f32 v158, -v153, v157, v156
	s_delay_alu instid0(VALU_DEP_1) | instskip(NEXT) | instid1(VALU_DEP_1)
	v_fmac_f32_e32 v157, v158, v154
	v_fma_f32 v153, -v153, v157, v156
	s_delay_alu instid0(VALU_DEP_1) | instskip(NEXT) | instid1(VALU_DEP_1)
	v_div_fmas_f32 v153, v153, v154, v157
	v_div_fixup_f32 v154, v153, v152, 1.0
	s_delay_alu instid0(VALU_DEP_1)
	v_mul_f32_e64 v155, v155, -v154
.LBB69_52:
	s_or_b32 exec_lo, exec_lo, s1
	ds_store_b64 v213, v[154:155]
.LBB69_53:
	s_or_b32 exec_lo, exec_lo, s2
	s_wait_dscnt 0x0
	s_barrier_signal -1
	s_barrier_wait -1
	ds_load_b64 v[152:153], v213
	s_mov_b32 s1, exec_lo
	v_cmpx_lt_u32_e32 5, v212
	s_cbranch_execz .LBB69_55
; %bb.54:
	ds_load_2addr_b64 v[158:161], v214 offset0:6 offset1:7
	s_wait_dscnt 0x1
	v_pk_mul_f32 v[156:157], v[152:153], v[24:25] op_sel:[1,1] op_sel_hi:[0,1]
	s_delay_alu instid0(VALU_DEP_1) | instskip(SKIP_1) | instid1(VALU_DEP_1)
	v_pk_fma_f32 v[154:155], v[152:153], v[24:25], v[156:157] op_sel_hi:[1,0,1] neg_lo:[0,0,1] neg_hi:[0,0,1]
	v_pk_fma_f32 v[156:157], v[152:153], v[24:25], v[156:157] op_sel_hi:[1,0,1]
	v_dual_mov_b32 v24, v154 :: v_dual_mov_b32 v25, v157
	s_wait_dscnt 0x0
	s_delay_alu instid0(VALU_DEP_2) | instskip(NEXT) | instid1(VALU_DEP_1)
	v_pk_mul_f32 v[162:163], v[158:159], v[156:157] op_sel:[0,1]
	v_pk_fma_f32 v[164:165], v[158:159], v[154:155], v[162:163] op_sel:[0,0,1] op_sel_hi:[1,1,0] neg_lo:[0,0,1] neg_hi:[0,0,1]
	v_pk_fma_f32 v[158:159], v[158:159], v[154:155], v[162:163] op_sel:[0,0,1] op_sel_hi:[1,0,0]
	s_delay_alu instid0(VALU_DEP_1) | instskip(SKIP_1) | instid1(VALU_DEP_1)
	v_mov_b32_e32 v165, v159
	v_pk_mul_f32 v[158:159], v[160:161], v[156:157] op_sel:[0,1]
	v_pk_fma_f32 v[162:163], v[160:161], v[154:155], v[158:159] op_sel:[0,0,1] op_sel_hi:[1,1,0] neg_lo:[0,0,1] neg_hi:[0,0,1]
	v_pk_fma_f32 v[158:159], v[160:161], v[154:155], v[158:159] op_sel:[0,0,1] op_sel_hi:[1,0,0]
	s_delay_alu instid0(VALU_DEP_1)
	v_mov_b32_e32 v163, v159
	ds_load_2addr_b64 v[158:161], v214 offset0:8 offset1:9
	v_pk_add_f32 v[26:27], v[26:27], v[164:165] neg_lo:[0,1] neg_hi:[0,1]
	v_pk_add_f32 v[22:23], v[22:23], v[162:163] neg_lo:[0,1] neg_hi:[0,1]
	s_wait_dscnt 0x0
	v_pk_mul_f32 v[162:163], v[158:159], v[156:157] op_sel:[0,1]
	s_delay_alu instid0(VALU_DEP_1) | instskip(SKIP_2) | instid1(VALU_DEP_2)
	v_pk_fma_f32 v[164:165], v[158:159], v[154:155], v[162:163] op_sel:[0,0,1] op_sel_hi:[1,1,0] neg_lo:[0,0,1] neg_hi:[0,0,1]
	v_pk_fma_f32 v[158:159], v[158:159], v[154:155], v[162:163] op_sel:[0,0,1] op_sel_hi:[1,0,0]
	v_dual_mul_f32 v162, v161, v157 :: v_dual_mov_b32 v158, v161
	v_dual_mov_b32 v165, v159 :: v_dual_mov_b32 v159, v160
	s_delay_alu instid0(VALU_DEP_2) | instskip(SKIP_1) | instid1(VALU_DEP_3)
	v_pk_fma_f32 v[162:163], v[160:161], v[24:25], v[162:163] op_sel_hi:[1,1,0] neg_lo:[0,0,1] neg_hi:[0,0,1]
	v_mul_f32_e32 v160, v161, v154
	v_pk_add_f32 v[42:43], v[42:43], v[164:165] neg_lo:[0,1] neg_hi:[0,1]
	s_delay_alu instid0(VALU_DEP_2) | instskip(NEXT) | instid1(VALU_DEP_1)
	v_pk_fma_f32 v[158:159], v[158:159], v[24:25], v[160:161] op_sel_hi:[1,1,0]
	v_mov_b32_e32 v163, v159
	ds_load_2addr_b64 v[158:161], v214 offset0:10 offset1:11
	v_pk_add_f32 v[38:39], v[38:39], v[162:163] neg_lo:[0,1] neg_hi:[0,1]
	s_wait_dscnt 0x0
	v_pk_mul_f32 v[162:163], v[158:159], v[156:157] op_sel:[0,1]
	s_delay_alu instid0(VALU_DEP_1) | instskip(SKIP_1) | instid1(VALU_DEP_1)
	v_pk_fma_f32 v[164:165], v[158:159], v[154:155], v[162:163] op_sel:[0,0,1] op_sel_hi:[1,1,0] neg_lo:[0,0,1] neg_hi:[0,0,1]
	v_pk_fma_f32 v[158:159], v[158:159], v[154:155], v[162:163] op_sel:[0,0,1] op_sel_hi:[1,0,0]
	v_mov_b32_e32 v165, v159
	v_pk_mul_f32 v[158:159], v[160:161], v[156:157] op_sel:[0,1]
	s_delay_alu instid0(VALU_DEP_1) | instskip(SKIP_1) | instid1(VALU_DEP_1)
	v_pk_fma_f32 v[162:163], v[160:161], v[154:155], v[158:159] op_sel:[0,0,1] op_sel_hi:[1,1,0] neg_lo:[0,0,1] neg_hi:[0,0,1]
	v_pk_fma_f32 v[158:159], v[160:161], v[154:155], v[158:159] op_sel:[0,0,1] op_sel_hi:[1,0,0]
	v_mov_b32_e32 v163, v159
	ds_load_2addr_b64 v[158:161], v214 offset0:12 offset1:13
	v_pk_add_f32 v[40:41], v[40:41], v[164:165] neg_lo:[0,1] neg_hi:[0,1]
	v_pk_add_f32 v[36:37], v[36:37], v[162:163] neg_lo:[0,1] neg_hi:[0,1]
	s_wait_dscnt 0x0
	v_pk_mul_f32 v[162:163], v[158:159], v[156:157] op_sel:[0,1]
	s_delay_alu instid0(VALU_DEP_1) | instskip(SKIP_1) | instid1(VALU_DEP_1)
	v_pk_fma_f32 v[164:165], v[158:159], v[154:155], v[162:163] op_sel:[0,0,1] op_sel_hi:[1,1,0] neg_lo:[0,0,1] neg_hi:[0,0,1]
	v_pk_fma_f32 v[158:159], v[158:159], v[154:155], v[162:163] op_sel:[0,0,1] op_sel_hi:[1,0,0]
	v_mov_b32_e32 v165, v159
	v_pk_mul_f32 v[158:159], v[160:161], v[156:157] op_sel:[0,1]
	s_delay_alu instid0(VALU_DEP_1) | instskip(SKIP_1) | instid1(VALU_DEP_1)
	v_pk_fma_f32 v[162:163], v[160:161], v[154:155], v[158:159] op_sel:[0,0,1] op_sel_hi:[1,1,0] neg_lo:[0,0,1] neg_hi:[0,0,1]
	v_pk_fma_f32 v[158:159], v[160:161], v[154:155], v[158:159] op_sel:[0,0,1] op_sel_hi:[1,0,0]
	v_mov_b32_e32 v163, v159
	ds_load_2addr_b64 v[158:161], v214 offset0:14 offset1:15
	v_pk_add_f32 v[62:63], v[62:63], v[164:165] neg_lo:[0,1] neg_hi:[0,1]
	v_pk_add_f32 v[58:59], v[58:59], v[162:163] neg_lo:[0,1] neg_hi:[0,1]
	s_wait_dscnt 0x0
	v_dual_mul_f32 v162, v159, v157 :: v_dual_mul_f32 v164, v159, v154
	s_delay_alu instid0(VALU_DEP_1) | instskip(NEXT) | instid1(VALU_DEP_2)
	v_pk_fma_f32 v[162:163], v[158:159], v[24:25], v[162:163] op_sel_hi:[1,1,0] neg_lo:[0,0,1] neg_hi:[0,0,1]
	v_pk_fma_f32 v[158:159], v[158:159], v[24:25], v[164:165] op_sel:[1,0,0] op_sel_hi:[0,1,0]
	s_delay_alu instid0(VALU_DEP_1) | instskip(SKIP_1) | instid1(VALU_DEP_2)
	v_mov_b32_e32 v163, v159
	v_pk_mul_f32 v[158:159], v[160:161], v[156:157] op_sel:[0,1]
	v_pk_add_f32 v[60:61], v[60:61], v[162:163] neg_lo:[0,1] neg_hi:[0,1]
	s_delay_alu instid0(VALU_DEP_2) | instskip(SKIP_1) | instid1(VALU_DEP_1)
	v_pk_fma_f32 v[162:163], v[160:161], v[154:155], v[158:159] op_sel:[0,0,1] op_sel_hi:[1,1,0] neg_lo:[0,0,1] neg_hi:[0,0,1]
	v_pk_fma_f32 v[158:159], v[160:161], v[154:155], v[158:159] op_sel:[0,0,1] op_sel_hi:[1,0,0]
	v_mov_b32_e32 v163, v159
	ds_load_2addr_b64 v[158:161], v214 offset0:16 offset1:17
	v_pk_add_f32 v[56:57], v[56:57], v[162:163] neg_lo:[0,1] neg_hi:[0,1]
	s_wait_dscnt 0x0
	v_pk_mul_f32 v[162:163], v[158:159], v[156:157] op_sel:[0,1]
	s_delay_alu instid0(VALU_DEP_1) | instskip(SKIP_1) | instid1(VALU_DEP_1)
	v_pk_fma_f32 v[164:165], v[158:159], v[154:155], v[162:163] op_sel:[0,0,1] op_sel_hi:[1,1,0] neg_lo:[0,0,1] neg_hi:[0,0,1]
	v_pk_fma_f32 v[158:159], v[158:159], v[154:155], v[162:163] op_sel:[0,0,1] op_sel_hi:[1,0,0]
	v_mov_b32_e32 v165, v159
	v_pk_mul_f32 v[158:159], v[160:161], v[156:157] op_sel:[0,1]
	s_delay_alu instid0(VALU_DEP_2) | instskip(NEXT) | instid1(VALU_DEP_2)
	v_pk_add_f32 v[72:73], v[72:73], v[164:165] neg_lo:[0,1] neg_hi:[0,1]
	v_pk_fma_f32 v[162:163], v[160:161], v[154:155], v[158:159] op_sel:[0,0,1] op_sel_hi:[1,1,0] neg_lo:[0,0,1] neg_hi:[0,0,1]
	v_pk_fma_f32 v[158:159], v[160:161], v[154:155], v[158:159] op_sel:[0,0,1] op_sel_hi:[1,0,0]
	s_delay_alu instid0(VALU_DEP_1) | instskip(SKIP_4) | instid1(VALU_DEP_1)
	v_mov_b32_e32 v163, v159
	ds_load_2addr_b64 v[158:161], v214 offset0:18 offset1:19
	v_pk_add_f32 v[112:113], v[112:113], v[162:163] neg_lo:[0,1] neg_hi:[0,1]
	s_wait_dscnt 0x0
	v_pk_mul_f32 v[162:163], v[158:159], v[156:157] op_sel:[0,1]
	v_pk_fma_f32 v[164:165], v[158:159], v[154:155], v[162:163] op_sel:[0,0,1] op_sel_hi:[1,1,0] neg_lo:[0,0,1] neg_hi:[0,0,1]
	v_pk_fma_f32 v[158:159], v[158:159], v[154:155], v[162:163] op_sel:[0,0,1] op_sel_hi:[1,0,0]
	v_dual_mul_f32 v162, v161, v157 :: v_dual_mov_b32 v158, v161
	s_delay_alu instid0(VALU_DEP_2) | instskip(NEXT) | instid1(VALU_DEP_2)
	v_dual_mov_b32 v165, v159 :: v_dual_mov_b32 v159, v160
	v_pk_fma_f32 v[162:163], v[160:161], v[24:25], v[162:163] op_sel_hi:[1,1,0] neg_lo:[0,0,1] neg_hi:[0,0,1]
	v_mul_f32_e32 v160, v161, v154
	s_delay_alu instid0(VALU_DEP_3) | instskip(NEXT) | instid1(VALU_DEP_2)
	v_pk_add_f32 v[114:115], v[114:115], v[164:165] neg_lo:[0,1] neg_hi:[0,1]
	v_pk_fma_f32 v[158:159], v[158:159], v[24:25], v[160:161] op_sel_hi:[1,1,0]
	s_delay_alu instid0(VALU_DEP_1) | instskip(SKIP_4) | instid1(VALU_DEP_1)
	v_mov_b32_e32 v163, v159
	ds_load_2addr_b64 v[158:161], v214 offset0:20 offset1:21
	v_pk_add_f32 v[94:95], v[94:95], v[162:163] neg_lo:[0,1] neg_hi:[0,1]
	s_wait_dscnt 0x0
	v_pk_mul_f32 v[162:163], v[158:159], v[156:157] op_sel:[0,1]
	v_pk_fma_f32 v[164:165], v[158:159], v[154:155], v[162:163] op_sel:[0,0,1] op_sel_hi:[1,1,0] neg_lo:[0,0,1] neg_hi:[0,0,1]
	v_pk_fma_f32 v[158:159], v[158:159], v[154:155], v[162:163] op_sel:[0,0,1] op_sel_hi:[1,0,0]
	s_delay_alu instid0(VALU_DEP_1) | instskip(SKIP_1) | instid1(VALU_DEP_1)
	v_mov_b32_e32 v165, v159
	v_pk_mul_f32 v[158:159], v[160:161], v[156:157] op_sel:[0,1]
	v_pk_fma_f32 v[162:163], v[160:161], v[154:155], v[158:159] op_sel:[0,0,1] op_sel_hi:[1,1,0] neg_lo:[0,0,1] neg_hi:[0,0,1]
	v_pk_fma_f32 v[158:159], v[160:161], v[154:155], v[158:159] op_sel:[0,0,1] op_sel_hi:[1,0,0]
	s_delay_alu instid0(VALU_DEP_1)
	v_mov_b32_e32 v163, v159
	ds_load_2addr_b64 v[158:161], v214 offset0:22 offset1:23
	v_pk_add_f32 v[128:129], v[128:129], v[164:165] neg_lo:[0,1] neg_hi:[0,1]
	v_pk_add_f32 v[124:125], v[124:125], v[162:163] neg_lo:[0,1] neg_hi:[0,1]
	s_wait_dscnt 0x0
	v_pk_mul_f32 v[162:163], v[158:159], v[156:157] op_sel:[0,1]
	s_delay_alu instid0(VALU_DEP_1) | instskip(SKIP_1) | instid1(VALU_DEP_1)
	v_pk_fma_f32 v[164:165], v[158:159], v[154:155], v[162:163] op_sel:[0,0,1] op_sel_hi:[1,1,0] neg_lo:[0,0,1] neg_hi:[0,0,1]
	v_pk_fma_f32 v[158:159], v[158:159], v[154:155], v[162:163] op_sel:[0,0,1] op_sel_hi:[1,0,0]
	v_mov_b32_e32 v165, v159
	v_pk_mul_f32 v[158:159], v[160:161], v[156:157] op_sel:[0,1]
	s_delay_alu instid0(VALU_DEP_1) | instskip(SKIP_1) | instid1(VALU_DEP_1)
	v_pk_fma_f32 v[162:163], v[160:161], v[154:155], v[158:159] op_sel:[0,0,1] op_sel_hi:[1,1,0] neg_lo:[0,0,1] neg_hi:[0,0,1]
	v_pk_fma_f32 v[158:159], v[160:161], v[154:155], v[158:159] op_sel:[0,0,1] op_sel_hi:[1,0,0]
	v_mov_b32_e32 v163, v159
	ds_load_2addr_b64 v[158:161], v214 offset0:24 offset1:25
	v_pk_add_f32 v[126:127], v[126:127], v[164:165] neg_lo:[0,1] neg_hi:[0,1]
	v_pk_add_f32 v[138:139], v[138:139], v[162:163] neg_lo:[0,1] neg_hi:[0,1]
	s_wait_dscnt 0x0
	v_dual_mul_f32 v162, v159, v157 :: v_dual_mul_f32 v164, v159, v154
	s_delay_alu instid0(VALU_DEP_1) | instskip(NEXT) | instid1(VALU_DEP_2)
	v_pk_fma_f32 v[162:163], v[158:159], v[24:25], v[162:163] op_sel_hi:[1,1,0] neg_lo:[0,0,1] neg_hi:[0,0,1]
	v_pk_fma_f32 v[158:159], v[158:159], v[24:25], v[164:165] op_sel:[1,0,0] op_sel_hi:[0,1,0]
	s_delay_alu instid0(VALU_DEP_1) | instskip(SKIP_1) | instid1(VALU_DEP_2)
	v_mov_b32_e32 v163, v159
	v_pk_mul_f32 v[158:159], v[160:161], v[156:157] op_sel:[0,1]
	v_pk_add_f32 v[136:137], v[136:137], v[162:163] neg_lo:[0,1] neg_hi:[0,1]
	s_delay_alu instid0(VALU_DEP_2) | instskip(SKIP_1) | instid1(VALU_DEP_1)
	v_pk_fma_f32 v[162:163], v[160:161], v[154:155], v[158:159] op_sel:[0,0,1] op_sel_hi:[1,1,0] neg_lo:[0,0,1] neg_hi:[0,0,1]
	v_pk_fma_f32 v[158:159], v[160:161], v[154:155], v[158:159] op_sel:[0,0,1] op_sel_hi:[1,0,0]
	v_mov_b32_e32 v163, v159
	ds_load_2addr_b64 v[158:161], v214 offset0:26 offset1:27
	v_pk_add_f32 v[134:135], v[134:135], v[162:163] neg_lo:[0,1] neg_hi:[0,1]
	s_wait_dscnt 0x0
	v_pk_mul_f32 v[162:163], v[158:159], v[156:157] op_sel:[0,1]
	s_delay_alu instid0(VALU_DEP_1) | instskip(SKIP_1) | instid1(VALU_DEP_1)
	v_pk_fma_f32 v[164:165], v[158:159], v[154:155], v[162:163] op_sel:[0,0,1] op_sel_hi:[1,1,0] neg_lo:[0,0,1] neg_hi:[0,0,1]
	v_pk_fma_f32 v[158:159], v[158:159], v[154:155], v[162:163] op_sel:[0,0,1] op_sel_hi:[1,0,0]
	v_mov_b32_e32 v165, v159
	v_pk_mul_f32 v[158:159], v[160:161], v[156:157] op_sel:[0,1]
	s_delay_alu instid0(VALU_DEP_2) | instskip(NEXT) | instid1(VALU_DEP_2)
	v_pk_add_f32 v[100:101], v[100:101], v[164:165] neg_lo:[0,1] neg_hi:[0,1]
	v_pk_fma_f32 v[162:163], v[160:161], v[154:155], v[158:159] op_sel:[0,0,1] op_sel_hi:[1,1,0] neg_lo:[0,0,1] neg_hi:[0,0,1]
	v_pk_fma_f32 v[158:159], v[160:161], v[154:155], v[158:159] op_sel:[0,0,1] op_sel_hi:[1,0,0]
	s_delay_alu instid0(VALU_DEP_1) | instskip(SKIP_4) | instid1(VALU_DEP_1)
	v_mov_b32_e32 v163, v159
	ds_load_2addr_b64 v[158:161], v214 offset0:28 offset1:29
	v_pk_add_f32 v[98:99], v[98:99], v[162:163] neg_lo:[0,1] neg_hi:[0,1]
	s_wait_dscnt 0x0
	v_pk_mul_f32 v[162:163], v[158:159], v[156:157] op_sel:[0,1]
	v_pk_fma_f32 v[164:165], v[158:159], v[154:155], v[162:163] op_sel:[0,0,1] op_sel_hi:[1,1,0] neg_lo:[0,0,1] neg_hi:[0,0,1]
	v_pk_fma_f32 v[158:159], v[158:159], v[154:155], v[162:163] op_sel:[0,0,1] op_sel_hi:[1,0,0]
	v_dual_mul_f32 v162, v161, v157 :: v_dual_mov_b32 v158, v161
	s_delay_alu instid0(VALU_DEP_2) | instskip(NEXT) | instid1(VALU_DEP_2)
	v_dual_mov_b32 v165, v159 :: v_dual_mov_b32 v159, v160
	v_pk_fma_f32 v[162:163], v[160:161], v[24:25], v[162:163] op_sel_hi:[1,1,0] neg_lo:[0,0,1] neg_hi:[0,0,1]
	v_mul_f32_e32 v160, v161, v154
	s_delay_alu instid0(VALU_DEP_3) | instskip(NEXT) | instid1(VALU_DEP_2)
	v_pk_add_f32 v[120:121], v[120:121], v[164:165] neg_lo:[0,1] neg_hi:[0,1]
	v_pk_fma_f32 v[158:159], v[158:159], v[24:25], v[160:161] op_sel_hi:[1,1,0]
	s_delay_alu instid0(VALU_DEP_1) | instskip(SKIP_4) | instid1(VALU_DEP_1)
	v_mov_b32_e32 v163, v159
	ds_load_2addr_b64 v[158:161], v214 offset0:30 offset1:31
	v_pk_add_f32 v[116:117], v[116:117], v[162:163] neg_lo:[0,1] neg_hi:[0,1]
	s_wait_dscnt 0x0
	v_pk_mul_f32 v[162:163], v[158:159], v[156:157] op_sel:[0,1]
	v_pk_fma_f32 v[164:165], v[158:159], v[154:155], v[162:163] op_sel:[0,0,1] op_sel_hi:[1,1,0] neg_lo:[0,0,1] neg_hi:[0,0,1]
	v_pk_fma_f32 v[158:159], v[158:159], v[154:155], v[162:163] op_sel:[0,0,1] op_sel_hi:[1,0,0]
	s_delay_alu instid0(VALU_DEP_1) | instskip(SKIP_1) | instid1(VALU_DEP_1)
	v_mov_b32_e32 v165, v159
	v_pk_mul_f32 v[158:159], v[160:161], v[156:157] op_sel:[0,1]
	v_pk_fma_f32 v[162:163], v[160:161], v[154:155], v[158:159] op_sel:[0,0,1] op_sel_hi:[1,1,0] neg_lo:[0,0,1] neg_hi:[0,0,1]
	v_pk_fma_f32 v[158:159], v[160:161], v[154:155], v[158:159] op_sel:[0,0,1] op_sel_hi:[1,0,0]
	s_delay_alu instid0(VALU_DEP_1)
	v_mov_b32_e32 v163, v159
	ds_load_2addr_b64 v[158:161], v214 offset0:32 offset1:33
	v_pk_add_f32 v[118:119], v[118:119], v[164:165] neg_lo:[0,1] neg_hi:[0,1]
	v_pk_add_f32 v[132:133], v[132:133], v[162:163] neg_lo:[0,1] neg_hi:[0,1]
	s_wait_dscnt 0x0
	v_pk_mul_f32 v[162:163], v[158:159], v[156:157] op_sel:[0,1]
	s_delay_alu instid0(VALU_DEP_1) | instskip(SKIP_1) | instid1(VALU_DEP_1)
	v_pk_fma_f32 v[164:165], v[158:159], v[154:155], v[162:163] op_sel:[0,0,1] op_sel_hi:[1,1,0] neg_lo:[0,0,1] neg_hi:[0,0,1]
	v_pk_fma_f32 v[158:159], v[158:159], v[154:155], v[162:163] op_sel:[0,0,1] op_sel_hi:[1,0,0]
	v_mov_b32_e32 v165, v159
	v_pk_mul_f32 v[158:159], v[160:161], v[156:157] op_sel:[0,1]
	s_delay_alu instid0(VALU_DEP_1) | instskip(SKIP_1) | instid1(VALU_DEP_1)
	v_pk_fma_f32 v[162:163], v[160:161], v[154:155], v[158:159] op_sel:[0,0,1] op_sel_hi:[1,1,0] neg_lo:[0,0,1] neg_hi:[0,0,1]
	v_pk_fma_f32 v[158:159], v[160:161], v[154:155], v[158:159] op_sel:[0,0,1] op_sel_hi:[1,0,0]
	v_mov_b32_e32 v163, v159
	ds_load_b64 v[158:159], v214 offset:272
	v_pk_add_f32 v[130:131], v[130:131], v[164:165] neg_lo:[0,1] neg_hi:[0,1]
	v_pk_add_f32 v[122:123], v[122:123], v[162:163] neg_lo:[0,1] neg_hi:[0,1]
	s_wait_dscnt 0x0
	v_pk_mul_f32 v[156:157], v[158:159], v[156:157] op_sel:[0,1]
	s_delay_alu instid0(VALU_DEP_1) | instskip(SKIP_1) | instid1(VALU_DEP_1)
	v_pk_fma_f32 v[160:161], v[158:159], v[154:155], v[156:157] op_sel:[0,0,1] op_sel_hi:[1,1,0] neg_lo:[0,0,1] neg_hi:[0,0,1]
	v_pk_fma_f32 v[154:155], v[158:159], v[154:155], v[156:157] op_sel:[0,0,1] op_sel_hi:[1,0,0]
	v_mov_b32_e32 v161, v155
	s_delay_alu instid0(VALU_DEP_1)
	v_pk_add_f32 v[140:141], v[140:141], v[160:161] neg_lo:[0,1] neg_hi:[0,1]
.LBB69_55:
	s_or_b32 exec_lo, exec_lo, s1
	s_delay_alu instid0(SALU_CYCLE_1)
	s_mov_b32 s2, exec_lo
	s_wait_dscnt 0x0
	s_barrier_signal -1
	s_barrier_wait -1
	v_cmpx_eq_u32_e32 6, v212
	s_cbranch_execz .LBB69_62
; %bb.56:
	ds_store_b64 v213, v[26:27]
	ds_store_2addr_b64 v214, v[22:23], v[42:43] offset0:7 offset1:8
	ds_store_2addr_b64 v214, v[38:39], v[40:41] offset0:9 offset1:10
	;; [unrolled: 1-line block ×14, first 2 shown]
	ds_load_b64 v[154:155], v213
	s_wait_dscnt 0x0
	v_cmp_neq_f32_e32 vcc_lo, 0, v154
	v_cmp_neq_f32_e64 s1, 0, v155
	s_or_b32 s1, vcc_lo, s1
	s_delay_alu instid0(SALU_CYCLE_1)
	s_and_b32 exec_lo, exec_lo, s1
	s_cbranch_execz .LBB69_62
; %bb.57:
	v_cmp_ngt_f32_e64 s1, |v154|, |v155|
                                        ; implicit-def: $vgpr156_vgpr157
	s_and_saveexec_b32 s4, s1
	s_delay_alu instid0(SALU_CYCLE_1)
	s_xor_b32 s1, exec_lo, s4
	s_cbranch_execz .LBB69_59
; %bb.58:
	v_div_scale_f32 v156, null, v155, v155, v154
	v_div_scale_f32 v159, vcc_lo, v154, v155, v154
	s_delay_alu instid0(VALU_DEP_2) | instskip(SKIP_1) | instid1(TRANS32_DEP_1)
	v_rcp_f32_e32 v157, v156
	v_nop
	v_fma_f32 v158, -v156, v157, 1.0
	s_delay_alu instid0(VALU_DEP_1) | instskip(NEXT) | instid1(VALU_DEP_1)
	v_fmac_f32_e32 v157, v158, v157
	v_mul_f32_e32 v158, v159, v157
	s_delay_alu instid0(VALU_DEP_1) | instskip(NEXT) | instid1(VALU_DEP_1)
	v_fma_f32 v160, -v156, v158, v159
	v_fmac_f32_e32 v158, v160, v157
	s_delay_alu instid0(VALU_DEP_1) | instskip(NEXT) | instid1(VALU_DEP_1)
	v_fma_f32 v156, -v156, v158, v159
	v_div_fmas_f32 v156, v156, v157, v158
	s_delay_alu instid0(VALU_DEP_1) | instskip(NEXT) | instid1(VALU_DEP_1)
	v_div_fixup_f32 v156, v156, v155, v154
	v_fmac_f32_e32 v155, v154, v156
	s_delay_alu instid0(VALU_DEP_1) | instskip(SKIP_1) | instid1(VALU_DEP_2)
	v_div_scale_f32 v154, null, v155, v155, 1.0
	v_div_scale_f32 v159, vcc_lo, 1.0, v155, 1.0
	v_rcp_f32_e32 v157, v154
	v_nop
	s_delay_alu instid0(TRANS32_DEP_1) | instskip(NEXT) | instid1(VALU_DEP_1)
	v_fma_f32 v158, -v154, v157, 1.0
	v_fmac_f32_e32 v157, v158, v157
	s_delay_alu instid0(VALU_DEP_1) | instskip(NEXT) | instid1(VALU_DEP_1)
	v_mul_f32_e32 v158, v159, v157
	v_fma_f32 v160, -v154, v158, v159
	s_delay_alu instid0(VALU_DEP_1) | instskip(NEXT) | instid1(VALU_DEP_1)
	v_fmac_f32_e32 v158, v160, v157
	v_fma_f32 v154, -v154, v158, v159
	s_delay_alu instid0(VALU_DEP_1) | instskip(NEXT) | instid1(VALU_DEP_1)
	v_div_fmas_f32 v154, v154, v157, v158
	v_div_fixup_f32 v154, v154, v155, 1.0
	s_delay_alu instid0(VALU_DEP_1)
	v_mul_f32_e32 v156, v156, v154
	v_xor_b32_e32 v157, 0x80000000, v154
                                        ; implicit-def: $vgpr154_vgpr155
.LBB69_59:
	s_and_not1_saveexec_b32 s1, s1
	s_cbranch_execz .LBB69_61
; %bb.60:
	v_div_scale_f32 v156, null, v154, v154, v155
	v_div_scale_f32 v159, vcc_lo, v155, v154, v155
	s_delay_alu instid0(VALU_DEP_2) | instskip(SKIP_1) | instid1(TRANS32_DEP_1)
	v_rcp_f32_e32 v157, v156
	v_nop
	v_fma_f32 v158, -v156, v157, 1.0
	s_delay_alu instid0(VALU_DEP_1) | instskip(NEXT) | instid1(VALU_DEP_1)
	v_fmac_f32_e32 v157, v158, v157
	v_mul_f32_e32 v158, v159, v157
	s_delay_alu instid0(VALU_DEP_1) | instskip(NEXT) | instid1(VALU_DEP_1)
	v_fma_f32 v160, -v156, v158, v159
	v_fmac_f32_e32 v158, v160, v157
	s_delay_alu instid0(VALU_DEP_1) | instskip(NEXT) | instid1(VALU_DEP_1)
	v_fma_f32 v156, -v156, v158, v159
	v_div_fmas_f32 v156, v156, v157, v158
	s_delay_alu instid0(VALU_DEP_1) | instskip(NEXT) | instid1(VALU_DEP_1)
	v_div_fixup_f32 v157, v156, v154, v155
	v_fmac_f32_e32 v154, v155, v157
	s_delay_alu instid0(VALU_DEP_1) | instskip(NEXT) | instid1(VALU_DEP_1)
	v_div_scale_f32 v155, null, v154, v154, 1.0
	v_rcp_f32_e32 v156, v155
	v_nop
	s_delay_alu instid0(TRANS32_DEP_1) | instskip(NEXT) | instid1(VALU_DEP_1)
	v_fma_f32 v158, -v155, v156, 1.0
	v_fmac_f32_e32 v156, v158, v156
	v_div_scale_f32 v158, vcc_lo, 1.0, v154, 1.0
	s_delay_alu instid0(VALU_DEP_1) | instskip(NEXT) | instid1(VALU_DEP_1)
	v_mul_f32_e32 v159, v158, v156
	v_fma_f32 v160, -v155, v159, v158
	s_delay_alu instid0(VALU_DEP_1) | instskip(NEXT) | instid1(VALU_DEP_1)
	v_fmac_f32_e32 v159, v160, v156
	v_fma_f32 v155, -v155, v159, v158
	s_delay_alu instid0(VALU_DEP_1) | instskip(NEXT) | instid1(VALU_DEP_1)
	v_div_fmas_f32 v155, v155, v156, v159
	v_div_fixup_f32 v156, v155, v154, 1.0
	s_delay_alu instid0(VALU_DEP_1)
	v_mul_f32_e64 v157, v157, -v156
.LBB69_61:
	s_or_b32 exec_lo, exec_lo, s1
	ds_store_b64 v213, v[156:157]
.LBB69_62:
	s_or_b32 exec_lo, exec_lo, s2
	s_wait_dscnt 0x0
	s_barrier_signal -1
	s_barrier_wait -1
	ds_load_b64 v[154:155], v213
	s_mov_b32 s1, exec_lo
	v_cmpx_lt_u32_e32 6, v212
	s_cbranch_execz .LBB69_64
; %bb.63:
	ds_load_2addr_b64 v[160:163], v214 offset0:7 offset1:8
	s_wait_dscnt 0x1
	v_pk_mul_f32 v[158:159], v[154:155], v[26:27] op_sel:[1,1] op_sel_hi:[0,1]
	s_delay_alu instid0(VALU_DEP_1) | instskip(SKIP_1) | instid1(VALU_DEP_1)
	v_pk_fma_f32 v[156:157], v[154:155], v[26:27], v[158:159] op_sel_hi:[1,0,1] neg_lo:[0,0,1] neg_hi:[0,0,1]
	v_pk_fma_f32 v[158:159], v[154:155], v[26:27], v[158:159] op_sel_hi:[1,0,1]
	v_dual_mov_b32 v26, v156 :: v_dual_mov_b32 v27, v159
	s_wait_dscnt 0x0
	s_delay_alu instid0(VALU_DEP_2) | instskip(NEXT) | instid1(VALU_DEP_1)
	v_pk_mul_f32 v[164:165], v[160:161], v[158:159] op_sel:[0,1]
	v_pk_fma_f32 v[166:167], v[160:161], v[156:157], v[164:165] op_sel:[0,0,1] op_sel_hi:[1,1,0] neg_lo:[0,0,1] neg_hi:[0,0,1]
	v_pk_fma_f32 v[160:161], v[160:161], v[156:157], v[164:165] op_sel:[0,0,1] op_sel_hi:[1,0,0]
	s_delay_alu instid0(VALU_DEP_1) | instskip(SKIP_1) | instid1(VALU_DEP_1)
	v_mov_b32_e32 v167, v161
	v_pk_mul_f32 v[160:161], v[162:163], v[158:159] op_sel:[0,1]
	v_pk_fma_f32 v[164:165], v[162:163], v[156:157], v[160:161] op_sel:[0,0,1] op_sel_hi:[1,1,0] neg_lo:[0,0,1] neg_hi:[0,0,1]
	v_pk_fma_f32 v[160:161], v[162:163], v[156:157], v[160:161] op_sel:[0,0,1] op_sel_hi:[1,0,0]
	s_delay_alu instid0(VALU_DEP_1)
	v_mov_b32_e32 v165, v161
	ds_load_2addr_b64 v[160:163], v214 offset0:9 offset1:10
	v_pk_add_f32 v[22:23], v[22:23], v[166:167] neg_lo:[0,1] neg_hi:[0,1]
	v_pk_add_f32 v[42:43], v[42:43], v[164:165] neg_lo:[0,1] neg_hi:[0,1]
	s_wait_dscnt 0x0
	v_pk_mul_f32 v[164:165], v[160:161], v[158:159] op_sel:[0,1]
	s_delay_alu instid0(VALU_DEP_1) | instskip(SKIP_2) | instid1(VALU_DEP_2)
	v_pk_fma_f32 v[166:167], v[160:161], v[156:157], v[164:165] op_sel:[0,0,1] op_sel_hi:[1,1,0] neg_lo:[0,0,1] neg_hi:[0,0,1]
	v_pk_fma_f32 v[160:161], v[160:161], v[156:157], v[164:165] op_sel:[0,0,1] op_sel_hi:[1,0,0]
	v_dual_mul_f32 v164, v163, v159 :: v_dual_mov_b32 v160, v163
	v_dual_mov_b32 v167, v161 :: v_dual_mov_b32 v161, v162
	s_delay_alu instid0(VALU_DEP_2) | instskip(SKIP_1) | instid1(VALU_DEP_3)
	v_pk_fma_f32 v[164:165], v[162:163], v[26:27], v[164:165] op_sel_hi:[1,1,0] neg_lo:[0,0,1] neg_hi:[0,0,1]
	v_mul_f32_e32 v162, v163, v156
	v_pk_add_f32 v[38:39], v[38:39], v[166:167] neg_lo:[0,1] neg_hi:[0,1]
	s_delay_alu instid0(VALU_DEP_2) | instskip(NEXT) | instid1(VALU_DEP_1)
	v_pk_fma_f32 v[160:161], v[160:161], v[26:27], v[162:163] op_sel_hi:[1,1,0]
	v_mov_b32_e32 v165, v161
	ds_load_2addr_b64 v[160:163], v214 offset0:11 offset1:12
	v_pk_add_f32 v[40:41], v[40:41], v[164:165] neg_lo:[0,1] neg_hi:[0,1]
	s_wait_dscnt 0x0
	v_pk_mul_f32 v[164:165], v[160:161], v[158:159] op_sel:[0,1]
	s_delay_alu instid0(VALU_DEP_1) | instskip(SKIP_1) | instid1(VALU_DEP_1)
	v_pk_fma_f32 v[166:167], v[160:161], v[156:157], v[164:165] op_sel:[0,0,1] op_sel_hi:[1,1,0] neg_lo:[0,0,1] neg_hi:[0,0,1]
	v_pk_fma_f32 v[160:161], v[160:161], v[156:157], v[164:165] op_sel:[0,0,1] op_sel_hi:[1,0,0]
	v_mov_b32_e32 v167, v161
	v_pk_mul_f32 v[160:161], v[162:163], v[158:159] op_sel:[0,1]
	s_delay_alu instid0(VALU_DEP_1) | instskip(SKIP_1) | instid1(VALU_DEP_1)
	v_pk_fma_f32 v[164:165], v[162:163], v[156:157], v[160:161] op_sel:[0,0,1] op_sel_hi:[1,1,0] neg_lo:[0,0,1] neg_hi:[0,0,1]
	v_pk_fma_f32 v[160:161], v[162:163], v[156:157], v[160:161] op_sel:[0,0,1] op_sel_hi:[1,0,0]
	v_mov_b32_e32 v165, v161
	ds_load_2addr_b64 v[160:163], v214 offset0:13 offset1:14
	v_pk_add_f32 v[36:37], v[36:37], v[166:167] neg_lo:[0,1] neg_hi:[0,1]
	v_pk_add_f32 v[62:63], v[62:63], v[164:165] neg_lo:[0,1] neg_hi:[0,1]
	s_wait_dscnt 0x0
	v_pk_mul_f32 v[164:165], v[160:161], v[158:159] op_sel:[0,1]
	s_delay_alu instid0(VALU_DEP_1) | instskip(SKIP_1) | instid1(VALU_DEP_1)
	v_pk_fma_f32 v[166:167], v[160:161], v[156:157], v[164:165] op_sel:[0,0,1] op_sel_hi:[1,1,0] neg_lo:[0,0,1] neg_hi:[0,0,1]
	v_pk_fma_f32 v[160:161], v[160:161], v[156:157], v[164:165] op_sel:[0,0,1] op_sel_hi:[1,0,0]
	v_mov_b32_e32 v167, v161
	v_pk_mul_f32 v[160:161], v[162:163], v[158:159] op_sel:[0,1]
	s_delay_alu instid0(VALU_DEP_1) | instskip(SKIP_1) | instid1(VALU_DEP_1)
	v_pk_fma_f32 v[164:165], v[162:163], v[156:157], v[160:161] op_sel:[0,0,1] op_sel_hi:[1,1,0] neg_lo:[0,0,1] neg_hi:[0,0,1]
	v_pk_fma_f32 v[160:161], v[162:163], v[156:157], v[160:161] op_sel:[0,0,1] op_sel_hi:[1,0,0]
	v_mov_b32_e32 v165, v161
	ds_load_2addr_b64 v[160:163], v214 offset0:15 offset1:16
	v_pk_add_f32 v[58:59], v[58:59], v[166:167] neg_lo:[0,1] neg_hi:[0,1]
	v_pk_add_f32 v[60:61], v[60:61], v[164:165] neg_lo:[0,1] neg_hi:[0,1]
	s_wait_dscnt 0x0
	v_dual_mul_f32 v164, v161, v159 :: v_dual_mul_f32 v166, v161, v156
	s_delay_alu instid0(VALU_DEP_1) | instskip(NEXT) | instid1(VALU_DEP_2)
	v_pk_fma_f32 v[164:165], v[160:161], v[26:27], v[164:165] op_sel_hi:[1,1,0] neg_lo:[0,0,1] neg_hi:[0,0,1]
	v_pk_fma_f32 v[160:161], v[160:161], v[26:27], v[166:167] op_sel:[1,0,0] op_sel_hi:[0,1,0]
	s_delay_alu instid0(VALU_DEP_1) | instskip(SKIP_1) | instid1(VALU_DEP_2)
	v_mov_b32_e32 v165, v161
	v_pk_mul_f32 v[160:161], v[162:163], v[158:159] op_sel:[0,1]
	v_pk_add_f32 v[56:57], v[56:57], v[164:165] neg_lo:[0,1] neg_hi:[0,1]
	s_delay_alu instid0(VALU_DEP_2) | instskip(SKIP_1) | instid1(VALU_DEP_1)
	v_pk_fma_f32 v[164:165], v[162:163], v[156:157], v[160:161] op_sel:[0,0,1] op_sel_hi:[1,1,0] neg_lo:[0,0,1] neg_hi:[0,0,1]
	v_pk_fma_f32 v[160:161], v[162:163], v[156:157], v[160:161] op_sel:[0,0,1] op_sel_hi:[1,0,0]
	v_mov_b32_e32 v165, v161
	ds_load_2addr_b64 v[160:163], v214 offset0:17 offset1:18
	v_pk_add_f32 v[72:73], v[72:73], v[164:165] neg_lo:[0,1] neg_hi:[0,1]
	s_wait_dscnt 0x0
	v_pk_mul_f32 v[164:165], v[160:161], v[158:159] op_sel:[0,1]
	s_delay_alu instid0(VALU_DEP_1) | instskip(SKIP_1) | instid1(VALU_DEP_1)
	v_pk_fma_f32 v[166:167], v[160:161], v[156:157], v[164:165] op_sel:[0,0,1] op_sel_hi:[1,1,0] neg_lo:[0,0,1] neg_hi:[0,0,1]
	v_pk_fma_f32 v[160:161], v[160:161], v[156:157], v[164:165] op_sel:[0,0,1] op_sel_hi:[1,0,0]
	v_mov_b32_e32 v167, v161
	v_pk_mul_f32 v[160:161], v[162:163], v[158:159] op_sel:[0,1]
	s_delay_alu instid0(VALU_DEP_2) | instskip(NEXT) | instid1(VALU_DEP_2)
	v_pk_add_f32 v[112:113], v[112:113], v[166:167] neg_lo:[0,1] neg_hi:[0,1]
	v_pk_fma_f32 v[164:165], v[162:163], v[156:157], v[160:161] op_sel:[0,0,1] op_sel_hi:[1,1,0] neg_lo:[0,0,1] neg_hi:[0,0,1]
	v_pk_fma_f32 v[160:161], v[162:163], v[156:157], v[160:161] op_sel:[0,0,1] op_sel_hi:[1,0,0]
	s_delay_alu instid0(VALU_DEP_1) | instskip(SKIP_4) | instid1(VALU_DEP_1)
	v_mov_b32_e32 v165, v161
	ds_load_2addr_b64 v[160:163], v214 offset0:19 offset1:20
	v_pk_add_f32 v[114:115], v[114:115], v[164:165] neg_lo:[0,1] neg_hi:[0,1]
	s_wait_dscnt 0x0
	v_pk_mul_f32 v[164:165], v[160:161], v[158:159] op_sel:[0,1]
	v_pk_fma_f32 v[166:167], v[160:161], v[156:157], v[164:165] op_sel:[0,0,1] op_sel_hi:[1,1,0] neg_lo:[0,0,1] neg_hi:[0,0,1]
	v_pk_fma_f32 v[160:161], v[160:161], v[156:157], v[164:165] op_sel:[0,0,1] op_sel_hi:[1,0,0]
	v_dual_mul_f32 v164, v163, v159 :: v_dual_mov_b32 v160, v163
	s_delay_alu instid0(VALU_DEP_2) | instskip(NEXT) | instid1(VALU_DEP_2)
	v_dual_mov_b32 v167, v161 :: v_dual_mov_b32 v161, v162
	v_pk_fma_f32 v[164:165], v[162:163], v[26:27], v[164:165] op_sel_hi:[1,1,0] neg_lo:[0,0,1] neg_hi:[0,0,1]
	v_mul_f32_e32 v162, v163, v156
	s_delay_alu instid0(VALU_DEP_3) | instskip(NEXT) | instid1(VALU_DEP_2)
	v_pk_add_f32 v[94:95], v[94:95], v[166:167] neg_lo:[0,1] neg_hi:[0,1]
	v_pk_fma_f32 v[160:161], v[160:161], v[26:27], v[162:163] op_sel_hi:[1,1,0]
	s_delay_alu instid0(VALU_DEP_1) | instskip(SKIP_4) | instid1(VALU_DEP_1)
	v_mov_b32_e32 v165, v161
	ds_load_2addr_b64 v[160:163], v214 offset0:21 offset1:22
	v_pk_add_f32 v[128:129], v[128:129], v[164:165] neg_lo:[0,1] neg_hi:[0,1]
	s_wait_dscnt 0x0
	v_pk_mul_f32 v[164:165], v[160:161], v[158:159] op_sel:[0,1]
	v_pk_fma_f32 v[166:167], v[160:161], v[156:157], v[164:165] op_sel:[0,0,1] op_sel_hi:[1,1,0] neg_lo:[0,0,1] neg_hi:[0,0,1]
	v_pk_fma_f32 v[160:161], v[160:161], v[156:157], v[164:165] op_sel:[0,0,1] op_sel_hi:[1,0,0]
	s_delay_alu instid0(VALU_DEP_1) | instskip(SKIP_1) | instid1(VALU_DEP_1)
	v_mov_b32_e32 v167, v161
	v_pk_mul_f32 v[160:161], v[162:163], v[158:159] op_sel:[0,1]
	v_pk_fma_f32 v[164:165], v[162:163], v[156:157], v[160:161] op_sel:[0,0,1] op_sel_hi:[1,1,0] neg_lo:[0,0,1] neg_hi:[0,0,1]
	v_pk_fma_f32 v[160:161], v[162:163], v[156:157], v[160:161] op_sel:[0,0,1] op_sel_hi:[1,0,0]
	s_delay_alu instid0(VALU_DEP_1)
	v_mov_b32_e32 v165, v161
	ds_load_2addr_b64 v[160:163], v214 offset0:23 offset1:24
	v_pk_add_f32 v[124:125], v[124:125], v[166:167] neg_lo:[0,1] neg_hi:[0,1]
	v_pk_add_f32 v[126:127], v[126:127], v[164:165] neg_lo:[0,1] neg_hi:[0,1]
	s_wait_dscnt 0x0
	v_pk_mul_f32 v[164:165], v[160:161], v[158:159] op_sel:[0,1]
	s_delay_alu instid0(VALU_DEP_1) | instskip(SKIP_1) | instid1(VALU_DEP_1)
	v_pk_fma_f32 v[166:167], v[160:161], v[156:157], v[164:165] op_sel:[0,0,1] op_sel_hi:[1,1,0] neg_lo:[0,0,1] neg_hi:[0,0,1]
	v_pk_fma_f32 v[160:161], v[160:161], v[156:157], v[164:165] op_sel:[0,0,1] op_sel_hi:[1,0,0]
	v_mov_b32_e32 v167, v161
	v_pk_mul_f32 v[160:161], v[162:163], v[158:159] op_sel:[0,1]
	s_delay_alu instid0(VALU_DEP_1) | instskip(SKIP_1) | instid1(VALU_DEP_1)
	v_pk_fma_f32 v[164:165], v[162:163], v[156:157], v[160:161] op_sel:[0,0,1] op_sel_hi:[1,1,0] neg_lo:[0,0,1] neg_hi:[0,0,1]
	v_pk_fma_f32 v[160:161], v[162:163], v[156:157], v[160:161] op_sel:[0,0,1] op_sel_hi:[1,0,0]
	v_mov_b32_e32 v165, v161
	ds_load_2addr_b64 v[160:163], v214 offset0:25 offset1:26
	v_pk_add_f32 v[138:139], v[138:139], v[166:167] neg_lo:[0,1] neg_hi:[0,1]
	v_pk_add_f32 v[136:137], v[136:137], v[164:165] neg_lo:[0,1] neg_hi:[0,1]
	s_wait_dscnt 0x0
	v_dual_mul_f32 v164, v161, v159 :: v_dual_mul_f32 v166, v161, v156
	s_delay_alu instid0(VALU_DEP_1) | instskip(NEXT) | instid1(VALU_DEP_2)
	v_pk_fma_f32 v[164:165], v[160:161], v[26:27], v[164:165] op_sel_hi:[1,1,0] neg_lo:[0,0,1] neg_hi:[0,0,1]
	v_pk_fma_f32 v[160:161], v[160:161], v[26:27], v[166:167] op_sel:[1,0,0] op_sel_hi:[0,1,0]
	s_delay_alu instid0(VALU_DEP_1) | instskip(SKIP_1) | instid1(VALU_DEP_2)
	v_mov_b32_e32 v165, v161
	v_pk_mul_f32 v[160:161], v[162:163], v[158:159] op_sel:[0,1]
	v_pk_add_f32 v[134:135], v[134:135], v[164:165] neg_lo:[0,1] neg_hi:[0,1]
	s_delay_alu instid0(VALU_DEP_2) | instskip(SKIP_1) | instid1(VALU_DEP_1)
	v_pk_fma_f32 v[164:165], v[162:163], v[156:157], v[160:161] op_sel:[0,0,1] op_sel_hi:[1,1,0] neg_lo:[0,0,1] neg_hi:[0,0,1]
	v_pk_fma_f32 v[160:161], v[162:163], v[156:157], v[160:161] op_sel:[0,0,1] op_sel_hi:[1,0,0]
	v_mov_b32_e32 v165, v161
	ds_load_2addr_b64 v[160:163], v214 offset0:27 offset1:28
	v_pk_add_f32 v[100:101], v[100:101], v[164:165] neg_lo:[0,1] neg_hi:[0,1]
	s_wait_dscnt 0x0
	v_pk_mul_f32 v[164:165], v[160:161], v[158:159] op_sel:[0,1]
	s_delay_alu instid0(VALU_DEP_1) | instskip(SKIP_1) | instid1(VALU_DEP_1)
	v_pk_fma_f32 v[166:167], v[160:161], v[156:157], v[164:165] op_sel:[0,0,1] op_sel_hi:[1,1,0] neg_lo:[0,0,1] neg_hi:[0,0,1]
	v_pk_fma_f32 v[160:161], v[160:161], v[156:157], v[164:165] op_sel:[0,0,1] op_sel_hi:[1,0,0]
	v_mov_b32_e32 v167, v161
	v_pk_mul_f32 v[160:161], v[162:163], v[158:159] op_sel:[0,1]
	s_delay_alu instid0(VALU_DEP_2) | instskip(NEXT) | instid1(VALU_DEP_2)
	v_pk_add_f32 v[98:99], v[98:99], v[166:167] neg_lo:[0,1] neg_hi:[0,1]
	v_pk_fma_f32 v[164:165], v[162:163], v[156:157], v[160:161] op_sel:[0,0,1] op_sel_hi:[1,1,0] neg_lo:[0,0,1] neg_hi:[0,0,1]
	v_pk_fma_f32 v[160:161], v[162:163], v[156:157], v[160:161] op_sel:[0,0,1] op_sel_hi:[1,0,0]
	s_delay_alu instid0(VALU_DEP_1) | instskip(SKIP_4) | instid1(VALU_DEP_1)
	v_mov_b32_e32 v165, v161
	ds_load_2addr_b64 v[160:163], v214 offset0:29 offset1:30
	v_pk_add_f32 v[120:121], v[120:121], v[164:165] neg_lo:[0,1] neg_hi:[0,1]
	s_wait_dscnt 0x0
	v_pk_mul_f32 v[164:165], v[160:161], v[158:159] op_sel:[0,1]
	v_pk_fma_f32 v[166:167], v[160:161], v[156:157], v[164:165] op_sel:[0,0,1] op_sel_hi:[1,1,0] neg_lo:[0,0,1] neg_hi:[0,0,1]
	v_pk_fma_f32 v[160:161], v[160:161], v[156:157], v[164:165] op_sel:[0,0,1] op_sel_hi:[1,0,0]
	v_dual_mul_f32 v164, v163, v159 :: v_dual_mov_b32 v160, v163
	s_delay_alu instid0(VALU_DEP_2) | instskip(NEXT) | instid1(VALU_DEP_2)
	v_dual_mov_b32 v167, v161 :: v_dual_mov_b32 v161, v162
	v_pk_fma_f32 v[164:165], v[162:163], v[26:27], v[164:165] op_sel_hi:[1,1,0] neg_lo:[0,0,1] neg_hi:[0,0,1]
	v_mul_f32_e32 v162, v163, v156
	s_delay_alu instid0(VALU_DEP_3) | instskip(NEXT) | instid1(VALU_DEP_2)
	v_pk_add_f32 v[116:117], v[116:117], v[166:167] neg_lo:[0,1] neg_hi:[0,1]
	v_pk_fma_f32 v[160:161], v[160:161], v[26:27], v[162:163] op_sel_hi:[1,1,0]
	s_delay_alu instid0(VALU_DEP_1) | instskip(SKIP_4) | instid1(VALU_DEP_1)
	v_mov_b32_e32 v165, v161
	ds_load_2addr_b64 v[160:163], v214 offset0:31 offset1:32
	v_pk_add_f32 v[118:119], v[118:119], v[164:165] neg_lo:[0,1] neg_hi:[0,1]
	s_wait_dscnt 0x0
	v_pk_mul_f32 v[164:165], v[160:161], v[158:159] op_sel:[0,1]
	v_pk_fma_f32 v[166:167], v[160:161], v[156:157], v[164:165] op_sel:[0,0,1] op_sel_hi:[1,1,0] neg_lo:[0,0,1] neg_hi:[0,0,1]
	v_pk_fma_f32 v[160:161], v[160:161], v[156:157], v[164:165] op_sel:[0,0,1] op_sel_hi:[1,0,0]
	s_delay_alu instid0(VALU_DEP_1) | instskip(SKIP_1) | instid1(VALU_DEP_1)
	v_mov_b32_e32 v167, v161
	v_pk_mul_f32 v[160:161], v[162:163], v[158:159] op_sel:[0,1]
	v_pk_fma_f32 v[164:165], v[162:163], v[156:157], v[160:161] op_sel:[0,0,1] op_sel_hi:[1,1,0] neg_lo:[0,0,1] neg_hi:[0,0,1]
	v_pk_fma_f32 v[160:161], v[162:163], v[156:157], v[160:161] op_sel:[0,0,1] op_sel_hi:[1,0,0]
	s_delay_alu instid0(VALU_DEP_1)
	v_mov_b32_e32 v165, v161
	ds_load_2addr_b64 v[160:163], v214 offset0:33 offset1:34
	v_pk_add_f32 v[132:133], v[132:133], v[166:167] neg_lo:[0,1] neg_hi:[0,1]
	v_pk_add_f32 v[130:131], v[130:131], v[164:165] neg_lo:[0,1] neg_hi:[0,1]
	s_wait_dscnt 0x0
	v_pk_mul_f32 v[164:165], v[160:161], v[158:159] op_sel:[0,1]
	v_pk_mul_f32 v[158:159], v[162:163], v[158:159] op_sel:[0,1]
	s_delay_alu instid0(VALU_DEP_2) | instskip(SKIP_1) | instid1(VALU_DEP_1)
	v_pk_fma_f32 v[166:167], v[160:161], v[156:157], v[164:165] op_sel:[0,0,1] op_sel_hi:[1,1,0] neg_lo:[0,0,1] neg_hi:[0,0,1]
	v_pk_fma_f32 v[160:161], v[160:161], v[156:157], v[164:165] op_sel:[0,0,1] op_sel_hi:[1,0,0]
	v_mov_b32_e32 v167, v161
	s_delay_alu instid0(VALU_DEP_4) | instskip(SKIP_1) | instid1(VALU_DEP_1)
	v_pk_fma_f32 v[160:161], v[162:163], v[156:157], v[158:159] op_sel:[0,0,1] op_sel_hi:[1,1,0] neg_lo:[0,0,1] neg_hi:[0,0,1]
	v_pk_fma_f32 v[156:157], v[162:163], v[156:157], v[158:159] op_sel:[0,0,1] op_sel_hi:[1,0,0]
	v_mov_b32_e32 v161, v157
	s_delay_alu instid0(VALU_DEP_4) | instskip(NEXT) | instid1(VALU_DEP_2)
	v_pk_add_f32 v[122:123], v[122:123], v[166:167] neg_lo:[0,1] neg_hi:[0,1]
	v_pk_add_f32 v[140:141], v[140:141], v[160:161] neg_lo:[0,1] neg_hi:[0,1]
.LBB69_64:
	s_or_b32 exec_lo, exec_lo, s1
	s_delay_alu instid0(SALU_CYCLE_1)
	s_mov_b32 s2, exec_lo
	s_wait_dscnt 0x0
	s_barrier_signal -1
	s_barrier_wait -1
	v_cmpx_eq_u32_e32 7, v212
	s_cbranch_execz .LBB69_71
; %bb.65:
	v_dual_mov_b32 v156, v42 :: v_dual_mov_b32 v157, v43
	v_dual_mov_b32 v158, v38 :: v_dual_mov_b32 v159, v39
	;; [unrolled: 1-line block ×4, first 2 shown]
	ds_store_b64 v213, v[22:23]
	ds_store_2addr_b64 v214, v[156:157], v[158:159] offset0:8 offset1:9
	ds_store_2addr_b64 v214, v[160:161], v[162:163] offset0:10 offset1:11
	v_dual_mov_b32 v156, v62 :: v_dual_mov_b32 v157, v63
	v_dual_mov_b32 v158, v58 :: v_dual_mov_b32 v159, v59
	;; [unrolled: 1-line block ×12, first 2 shown]
	ds_store_2addr_b64 v214, v[156:157], v[158:159] offset0:12 offset1:13
	ds_store_2addr_b64 v214, v[160:161], v[162:163] offset0:14 offset1:15
	;; [unrolled: 1-line block ×6, first 2 shown]
	v_dual_mov_b32 v156, v136 :: v_dual_mov_b32 v157, v137
	v_dual_mov_b32 v158, v134 :: v_dual_mov_b32 v159, v135
	;; [unrolled: 1-line block ×10, first 2 shown]
	ds_store_2addr_b64 v214, v[156:157], v[158:159] offset0:24 offset1:25
	ds_store_2addr_b64 v214, v[160:161], v[162:163] offset0:26 offset1:27
	;; [unrolled: 1-line block ×5, first 2 shown]
	ds_store_b64 v214, v[140:141] offset:272
	ds_load_b64 v[156:157], v213
	s_wait_dscnt 0x0
	v_cmp_neq_f32_e32 vcc_lo, 0, v156
	v_cmp_neq_f32_e64 s1, 0, v157
	s_or_b32 s1, vcc_lo, s1
	s_delay_alu instid0(SALU_CYCLE_1)
	s_and_b32 exec_lo, exec_lo, s1
	s_cbranch_execz .LBB69_71
; %bb.66:
	v_cmp_ngt_f32_e64 s1, |v156|, |v157|
                                        ; implicit-def: $vgpr158_vgpr159
	s_and_saveexec_b32 s4, s1
	s_delay_alu instid0(SALU_CYCLE_1)
	s_xor_b32 s1, exec_lo, s4
	s_cbranch_execz .LBB69_68
; %bb.67:
	v_div_scale_f32 v158, null, v157, v157, v156
	v_div_scale_f32 v161, vcc_lo, v156, v157, v156
	s_delay_alu instid0(VALU_DEP_2) | instskip(SKIP_1) | instid1(TRANS32_DEP_1)
	v_rcp_f32_e32 v159, v158
	v_nop
	v_fma_f32 v160, -v158, v159, 1.0
	s_delay_alu instid0(VALU_DEP_1) | instskip(NEXT) | instid1(VALU_DEP_1)
	v_fmac_f32_e32 v159, v160, v159
	v_mul_f32_e32 v160, v161, v159
	s_delay_alu instid0(VALU_DEP_1) | instskip(NEXT) | instid1(VALU_DEP_1)
	v_fma_f32 v162, -v158, v160, v161
	v_fmac_f32_e32 v160, v162, v159
	s_delay_alu instid0(VALU_DEP_1) | instskip(NEXT) | instid1(VALU_DEP_1)
	v_fma_f32 v158, -v158, v160, v161
	v_div_fmas_f32 v158, v158, v159, v160
	s_delay_alu instid0(VALU_DEP_1) | instskip(NEXT) | instid1(VALU_DEP_1)
	v_div_fixup_f32 v158, v158, v157, v156
	v_fmac_f32_e32 v157, v156, v158
	s_delay_alu instid0(VALU_DEP_1) | instskip(SKIP_1) | instid1(VALU_DEP_2)
	v_div_scale_f32 v156, null, v157, v157, 1.0
	v_div_scale_f32 v161, vcc_lo, 1.0, v157, 1.0
	v_rcp_f32_e32 v159, v156
	v_nop
	s_delay_alu instid0(TRANS32_DEP_1) | instskip(NEXT) | instid1(VALU_DEP_1)
	v_fma_f32 v160, -v156, v159, 1.0
	v_fmac_f32_e32 v159, v160, v159
	s_delay_alu instid0(VALU_DEP_1) | instskip(NEXT) | instid1(VALU_DEP_1)
	v_mul_f32_e32 v160, v161, v159
	v_fma_f32 v162, -v156, v160, v161
	s_delay_alu instid0(VALU_DEP_1) | instskip(NEXT) | instid1(VALU_DEP_1)
	v_fmac_f32_e32 v160, v162, v159
	v_fma_f32 v156, -v156, v160, v161
	s_delay_alu instid0(VALU_DEP_1) | instskip(NEXT) | instid1(VALU_DEP_1)
	v_div_fmas_f32 v156, v156, v159, v160
	v_div_fixup_f32 v156, v156, v157, 1.0
	s_delay_alu instid0(VALU_DEP_1)
	v_mul_f32_e32 v158, v158, v156
	v_xor_b32_e32 v159, 0x80000000, v156
                                        ; implicit-def: $vgpr156_vgpr157
.LBB69_68:
	s_and_not1_saveexec_b32 s1, s1
	s_cbranch_execz .LBB69_70
; %bb.69:
	v_div_scale_f32 v158, null, v156, v156, v157
	v_div_scale_f32 v161, vcc_lo, v157, v156, v157
	s_delay_alu instid0(VALU_DEP_2) | instskip(SKIP_1) | instid1(TRANS32_DEP_1)
	v_rcp_f32_e32 v159, v158
	v_nop
	v_fma_f32 v160, -v158, v159, 1.0
	s_delay_alu instid0(VALU_DEP_1) | instskip(NEXT) | instid1(VALU_DEP_1)
	v_fmac_f32_e32 v159, v160, v159
	v_mul_f32_e32 v160, v161, v159
	s_delay_alu instid0(VALU_DEP_1) | instskip(NEXT) | instid1(VALU_DEP_1)
	v_fma_f32 v162, -v158, v160, v161
	v_fmac_f32_e32 v160, v162, v159
	s_delay_alu instid0(VALU_DEP_1) | instskip(NEXT) | instid1(VALU_DEP_1)
	v_fma_f32 v158, -v158, v160, v161
	v_div_fmas_f32 v158, v158, v159, v160
	s_delay_alu instid0(VALU_DEP_1) | instskip(NEXT) | instid1(VALU_DEP_1)
	v_div_fixup_f32 v159, v158, v156, v157
	v_fmac_f32_e32 v156, v157, v159
	s_delay_alu instid0(VALU_DEP_1) | instskip(NEXT) | instid1(VALU_DEP_1)
	v_div_scale_f32 v157, null, v156, v156, 1.0
	v_rcp_f32_e32 v158, v157
	v_nop
	s_delay_alu instid0(TRANS32_DEP_1) | instskip(NEXT) | instid1(VALU_DEP_1)
	v_fma_f32 v160, -v157, v158, 1.0
	v_fmac_f32_e32 v158, v160, v158
	v_div_scale_f32 v160, vcc_lo, 1.0, v156, 1.0
	s_delay_alu instid0(VALU_DEP_1) | instskip(NEXT) | instid1(VALU_DEP_1)
	v_mul_f32_e32 v161, v160, v158
	v_fma_f32 v162, -v157, v161, v160
	s_delay_alu instid0(VALU_DEP_1) | instskip(NEXT) | instid1(VALU_DEP_1)
	v_fmac_f32_e32 v161, v162, v158
	v_fma_f32 v157, -v157, v161, v160
	s_delay_alu instid0(VALU_DEP_1) | instskip(NEXT) | instid1(VALU_DEP_1)
	v_div_fmas_f32 v157, v157, v158, v161
	v_div_fixup_f32 v158, v157, v156, 1.0
	s_delay_alu instid0(VALU_DEP_1)
	v_mul_f32_e64 v159, v159, -v158
.LBB69_70:
	s_or_b32 exec_lo, exec_lo, s1
	ds_store_b64 v213, v[158:159]
.LBB69_71:
	s_or_b32 exec_lo, exec_lo, s2
	s_wait_dscnt 0x0
	s_barrier_signal -1
	s_barrier_wait -1
	ds_load_b64 v[156:157], v213
	s_mov_b32 s1, exec_lo
	v_cmpx_lt_u32_e32 7, v212
	s_cbranch_execz .LBB69_73
; %bb.72:
	ds_load_2addr_b64 v[162:165], v214 offset0:8 offset1:9
	s_wait_dscnt 0x1
	v_pk_mul_f32 v[160:161], v[156:157], v[22:23] op_sel:[1,1] op_sel_hi:[0,1]
	s_delay_alu instid0(VALU_DEP_1) | instskip(SKIP_1) | instid1(VALU_DEP_1)
	v_pk_fma_f32 v[158:159], v[156:157], v[22:23], v[160:161] op_sel_hi:[1,0,1] neg_lo:[0,0,1] neg_hi:[0,0,1]
	v_pk_fma_f32 v[160:161], v[156:157], v[22:23], v[160:161] op_sel_hi:[1,0,1]
	v_dual_mov_b32 v22, v158 :: v_dual_mov_b32 v23, v161
	s_wait_dscnt 0x0
	s_delay_alu instid0(VALU_DEP_2) | instskip(NEXT) | instid1(VALU_DEP_1)
	v_pk_mul_f32 v[166:167], v[162:163], v[160:161] op_sel:[0,1]
	v_pk_fma_f32 v[168:169], v[162:163], v[158:159], v[166:167] op_sel:[0,0,1] op_sel_hi:[1,1,0] neg_lo:[0,0,1] neg_hi:[0,0,1]
	v_pk_fma_f32 v[162:163], v[162:163], v[158:159], v[166:167] op_sel:[0,0,1] op_sel_hi:[1,0,0]
	s_delay_alu instid0(VALU_DEP_1) | instskip(SKIP_1) | instid1(VALU_DEP_1)
	v_mov_b32_e32 v169, v163
	v_pk_mul_f32 v[162:163], v[164:165], v[160:161] op_sel:[0,1]
	v_pk_fma_f32 v[166:167], v[164:165], v[158:159], v[162:163] op_sel:[0,0,1] op_sel_hi:[1,1,0] neg_lo:[0,0,1] neg_hi:[0,0,1]
	v_pk_fma_f32 v[162:163], v[164:165], v[158:159], v[162:163] op_sel:[0,0,1] op_sel_hi:[1,0,0]
	s_delay_alu instid0(VALU_DEP_1)
	v_mov_b32_e32 v167, v163
	ds_load_2addr_b64 v[162:165], v214 offset0:10 offset1:11
	v_pk_add_f32 v[42:43], v[42:43], v[168:169] neg_lo:[0,1] neg_hi:[0,1]
	v_pk_add_f32 v[38:39], v[38:39], v[166:167] neg_lo:[0,1] neg_hi:[0,1]
	s_wait_dscnt 0x0
	v_pk_mul_f32 v[166:167], v[162:163], v[160:161] op_sel:[0,1]
	s_delay_alu instid0(VALU_DEP_1) | instskip(SKIP_2) | instid1(VALU_DEP_2)
	v_pk_fma_f32 v[168:169], v[162:163], v[158:159], v[166:167] op_sel:[0,0,1] op_sel_hi:[1,1,0] neg_lo:[0,0,1] neg_hi:[0,0,1]
	v_pk_fma_f32 v[162:163], v[162:163], v[158:159], v[166:167] op_sel:[0,0,1] op_sel_hi:[1,0,0]
	v_dual_mul_f32 v166, v165, v161 :: v_dual_mov_b32 v162, v165
	v_dual_mov_b32 v169, v163 :: v_dual_mov_b32 v163, v164
	s_delay_alu instid0(VALU_DEP_2) | instskip(SKIP_1) | instid1(VALU_DEP_3)
	v_pk_fma_f32 v[166:167], v[164:165], v[22:23], v[166:167] op_sel_hi:[1,1,0] neg_lo:[0,0,1] neg_hi:[0,0,1]
	v_mul_f32_e32 v164, v165, v158
	v_pk_add_f32 v[40:41], v[40:41], v[168:169] neg_lo:[0,1] neg_hi:[0,1]
	s_delay_alu instid0(VALU_DEP_2) | instskip(NEXT) | instid1(VALU_DEP_1)
	v_pk_fma_f32 v[162:163], v[162:163], v[22:23], v[164:165] op_sel_hi:[1,1,0]
	v_mov_b32_e32 v167, v163
	ds_load_2addr_b64 v[162:165], v214 offset0:12 offset1:13
	v_pk_add_f32 v[36:37], v[36:37], v[166:167] neg_lo:[0,1] neg_hi:[0,1]
	s_wait_dscnt 0x0
	v_pk_mul_f32 v[166:167], v[162:163], v[160:161] op_sel:[0,1]
	s_delay_alu instid0(VALU_DEP_1) | instskip(SKIP_1) | instid1(VALU_DEP_1)
	v_pk_fma_f32 v[168:169], v[162:163], v[158:159], v[166:167] op_sel:[0,0,1] op_sel_hi:[1,1,0] neg_lo:[0,0,1] neg_hi:[0,0,1]
	v_pk_fma_f32 v[162:163], v[162:163], v[158:159], v[166:167] op_sel:[0,0,1] op_sel_hi:[1,0,0]
	v_mov_b32_e32 v169, v163
	v_pk_mul_f32 v[162:163], v[164:165], v[160:161] op_sel:[0,1]
	s_delay_alu instid0(VALU_DEP_1) | instskip(SKIP_1) | instid1(VALU_DEP_1)
	v_pk_fma_f32 v[166:167], v[164:165], v[158:159], v[162:163] op_sel:[0,0,1] op_sel_hi:[1,1,0] neg_lo:[0,0,1] neg_hi:[0,0,1]
	v_pk_fma_f32 v[162:163], v[164:165], v[158:159], v[162:163] op_sel:[0,0,1] op_sel_hi:[1,0,0]
	v_mov_b32_e32 v167, v163
	ds_load_2addr_b64 v[162:165], v214 offset0:14 offset1:15
	v_pk_add_f32 v[62:63], v[62:63], v[168:169] neg_lo:[0,1] neg_hi:[0,1]
	v_pk_add_f32 v[58:59], v[58:59], v[166:167] neg_lo:[0,1] neg_hi:[0,1]
	s_wait_dscnt 0x0
	v_pk_mul_f32 v[166:167], v[162:163], v[160:161] op_sel:[0,1]
	s_delay_alu instid0(VALU_DEP_1) | instskip(SKIP_1) | instid1(VALU_DEP_1)
	v_pk_fma_f32 v[168:169], v[162:163], v[158:159], v[166:167] op_sel:[0,0,1] op_sel_hi:[1,1,0] neg_lo:[0,0,1] neg_hi:[0,0,1]
	v_pk_fma_f32 v[162:163], v[162:163], v[158:159], v[166:167] op_sel:[0,0,1] op_sel_hi:[1,0,0]
	v_mov_b32_e32 v169, v163
	v_pk_mul_f32 v[162:163], v[164:165], v[160:161] op_sel:[0,1]
	s_delay_alu instid0(VALU_DEP_1) | instskip(SKIP_1) | instid1(VALU_DEP_1)
	v_pk_fma_f32 v[166:167], v[164:165], v[158:159], v[162:163] op_sel:[0,0,1] op_sel_hi:[1,1,0] neg_lo:[0,0,1] neg_hi:[0,0,1]
	v_pk_fma_f32 v[162:163], v[164:165], v[158:159], v[162:163] op_sel:[0,0,1] op_sel_hi:[1,0,0]
	v_mov_b32_e32 v167, v163
	ds_load_2addr_b64 v[162:165], v214 offset0:16 offset1:17
	v_pk_add_f32 v[60:61], v[60:61], v[168:169] neg_lo:[0,1] neg_hi:[0,1]
	v_pk_add_f32 v[56:57], v[56:57], v[166:167] neg_lo:[0,1] neg_hi:[0,1]
	s_wait_dscnt 0x0
	v_dual_mul_f32 v166, v163, v161 :: v_dual_mul_f32 v168, v163, v158
	s_delay_alu instid0(VALU_DEP_1) | instskip(NEXT) | instid1(VALU_DEP_2)
	v_pk_fma_f32 v[166:167], v[162:163], v[22:23], v[166:167] op_sel_hi:[1,1,0] neg_lo:[0,0,1] neg_hi:[0,0,1]
	v_pk_fma_f32 v[162:163], v[162:163], v[22:23], v[168:169] op_sel:[1,0,0] op_sel_hi:[0,1,0]
	s_delay_alu instid0(VALU_DEP_1) | instskip(SKIP_1) | instid1(VALU_DEP_2)
	v_mov_b32_e32 v167, v163
	v_pk_mul_f32 v[162:163], v[164:165], v[160:161] op_sel:[0,1]
	v_pk_add_f32 v[72:73], v[72:73], v[166:167] neg_lo:[0,1] neg_hi:[0,1]
	s_delay_alu instid0(VALU_DEP_2) | instskip(SKIP_1) | instid1(VALU_DEP_1)
	v_pk_fma_f32 v[166:167], v[164:165], v[158:159], v[162:163] op_sel:[0,0,1] op_sel_hi:[1,1,0] neg_lo:[0,0,1] neg_hi:[0,0,1]
	v_pk_fma_f32 v[162:163], v[164:165], v[158:159], v[162:163] op_sel:[0,0,1] op_sel_hi:[1,0,0]
	v_mov_b32_e32 v167, v163
	ds_load_2addr_b64 v[162:165], v214 offset0:18 offset1:19
	v_pk_add_f32 v[112:113], v[112:113], v[166:167] neg_lo:[0,1] neg_hi:[0,1]
	s_wait_dscnt 0x0
	v_pk_mul_f32 v[166:167], v[162:163], v[160:161] op_sel:[0,1]
	s_delay_alu instid0(VALU_DEP_1) | instskip(SKIP_1) | instid1(VALU_DEP_1)
	v_pk_fma_f32 v[168:169], v[162:163], v[158:159], v[166:167] op_sel:[0,0,1] op_sel_hi:[1,1,0] neg_lo:[0,0,1] neg_hi:[0,0,1]
	v_pk_fma_f32 v[162:163], v[162:163], v[158:159], v[166:167] op_sel:[0,0,1] op_sel_hi:[1,0,0]
	v_mov_b32_e32 v169, v163
	v_pk_mul_f32 v[162:163], v[164:165], v[160:161] op_sel:[0,1]
	s_delay_alu instid0(VALU_DEP_2) | instskip(NEXT) | instid1(VALU_DEP_2)
	v_pk_add_f32 v[114:115], v[114:115], v[168:169] neg_lo:[0,1] neg_hi:[0,1]
	v_pk_fma_f32 v[166:167], v[164:165], v[158:159], v[162:163] op_sel:[0,0,1] op_sel_hi:[1,1,0] neg_lo:[0,0,1] neg_hi:[0,0,1]
	v_pk_fma_f32 v[162:163], v[164:165], v[158:159], v[162:163] op_sel:[0,0,1] op_sel_hi:[1,0,0]
	s_delay_alu instid0(VALU_DEP_1) | instskip(SKIP_4) | instid1(VALU_DEP_1)
	v_mov_b32_e32 v167, v163
	ds_load_2addr_b64 v[162:165], v214 offset0:20 offset1:21
	v_pk_add_f32 v[94:95], v[94:95], v[166:167] neg_lo:[0,1] neg_hi:[0,1]
	s_wait_dscnt 0x0
	v_pk_mul_f32 v[166:167], v[162:163], v[160:161] op_sel:[0,1]
	v_pk_fma_f32 v[168:169], v[162:163], v[158:159], v[166:167] op_sel:[0,0,1] op_sel_hi:[1,1,0] neg_lo:[0,0,1] neg_hi:[0,0,1]
	v_pk_fma_f32 v[162:163], v[162:163], v[158:159], v[166:167] op_sel:[0,0,1] op_sel_hi:[1,0,0]
	v_dual_mul_f32 v166, v165, v161 :: v_dual_mov_b32 v162, v165
	s_delay_alu instid0(VALU_DEP_2) | instskip(NEXT) | instid1(VALU_DEP_2)
	v_dual_mov_b32 v169, v163 :: v_dual_mov_b32 v163, v164
	v_pk_fma_f32 v[166:167], v[164:165], v[22:23], v[166:167] op_sel_hi:[1,1,0] neg_lo:[0,0,1] neg_hi:[0,0,1]
	v_mul_f32_e32 v164, v165, v158
	s_delay_alu instid0(VALU_DEP_3) | instskip(NEXT) | instid1(VALU_DEP_2)
	v_pk_add_f32 v[128:129], v[128:129], v[168:169] neg_lo:[0,1] neg_hi:[0,1]
	v_pk_fma_f32 v[162:163], v[162:163], v[22:23], v[164:165] op_sel_hi:[1,1,0]
	s_delay_alu instid0(VALU_DEP_1) | instskip(SKIP_4) | instid1(VALU_DEP_1)
	v_mov_b32_e32 v167, v163
	ds_load_2addr_b64 v[162:165], v214 offset0:22 offset1:23
	v_pk_add_f32 v[124:125], v[124:125], v[166:167] neg_lo:[0,1] neg_hi:[0,1]
	s_wait_dscnt 0x0
	v_pk_mul_f32 v[166:167], v[162:163], v[160:161] op_sel:[0,1]
	v_pk_fma_f32 v[168:169], v[162:163], v[158:159], v[166:167] op_sel:[0,0,1] op_sel_hi:[1,1,0] neg_lo:[0,0,1] neg_hi:[0,0,1]
	v_pk_fma_f32 v[162:163], v[162:163], v[158:159], v[166:167] op_sel:[0,0,1] op_sel_hi:[1,0,0]
	s_delay_alu instid0(VALU_DEP_1) | instskip(SKIP_1) | instid1(VALU_DEP_1)
	v_mov_b32_e32 v169, v163
	v_pk_mul_f32 v[162:163], v[164:165], v[160:161] op_sel:[0,1]
	v_pk_fma_f32 v[166:167], v[164:165], v[158:159], v[162:163] op_sel:[0,0,1] op_sel_hi:[1,1,0] neg_lo:[0,0,1] neg_hi:[0,0,1]
	v_pk_fma_f32 v[162:163], v[164:165], v[158:159], v[162:163] op_sel:[0,0,1] op_sel_hi:[1,0,0]
	s_delay_alu instid0(VALU_DEP_1)
	v_mov_b32_e32 v167, v163
	ds_load_2addr_b64 v[162:165], v214 offset0:24 offset1:25
	v_pk_add_f32 v[126:127], v[126:127], v[168:169] neg_lo:[0,1] neg_hi:[0,1]
	v_pk_add_f32 v[138:139], v[138:139], v[166:167] neg_lo:[0,1] neg_hi:[0,1]
	s_wait_dscnt 0x0
	v_pk_mul_f32 v[166:167], v[162:163], v[160:161] op_sel:[0,1]
	s_delay_alu instid0(VALU_DEP_1) | instskip(SKIP_1) | instid1(VALU_DEP_1)
	v_pk_fma_f32 v[168:169], v[162:163], v[158:159], v[166:167] op_sel:[0,0,1] op_sel_hi:[1,1,0] neg_lo:[0,0,1] neg_hi:[0,0,1]
	v_pk_fma_f32 v[162:163], v[162:163], v[158:159], v[166:167] op_sel:[0,0,1] op_sel_hi:[1,0,0]
	v_mov_b32_e32 v169, v163
	v_pk_mul_f32 v[162:163], v[164:165], v[160:161] op_sel:[0,1]
	s_delay_alu instid0(VALU_DEP_1) | instskip(SKIP_1) | instid1(VALU_DEP_1)
	v_pk_fma_f32 v[166:167], v[164:165], v[158:159], v[162:163] op_sel:[0,0,1] op_sel_hi:[1,1,0] neg_lo:[0,0,1] neg_hi:[0,0,1]
	v_pk_fma_f32 v[162:163], v[164:165], v[158:159], v[162:163] op_sel:[0,0,1] op_sel_hi:[1,0,0]
	v_mov_b32_e32 v167, v163
	ds_load_2addr_b64 v[162:165], v214 offset0:26 offset1:27
	v_pk_add_f32 v[136:137], v[136:137], v[168:169] neg_lo:[0,1] neg_hi:[0,1]
	v_pk_add_f32 v[134:135], v[134:135], v[166:167] neg_lo:[0,1] neg_hi:[0,1]
	s_wait_dscnt 0x0
	v_dual_mul_f32 v166, v163, v161 :: v_dual_mul_f32 v168, v163, v158
	s_delay_alu instid0(VALU_DEP_1) | instskip(NEXT) | instid1(VALU_DEP_2)
	v_pk_fma_f32 v[166:167], v[162:163], v[22:23], v[166:167] op_sel_hi:[1,1,0] neg_lo:[0,0,1] neg_hi:[0,0,1]
	v_pk_fma_f32 v[162:163], v[162:163], v[22:23], v[168:169] op_sel:[1,0,0] op_sel_hi:[0,1,0]
	s_delay_alu instid0(VALU_DEP_1) | instskip(SKIP_1) | instid1(VALU_DEP_2)
	v_mov_b32_e32 v167, v163
	v_pk_mul_f32 v[162:163], v[164:165], v[160:161] op_sel:[0,1]
	v_pk_add_f32 v[100:101], v[100:101], v[166:167] neg_lo:[0,1] neg_hi:[0,1]
	s_delay_alu instid0(VALU_DEP_2) | instskip(SKIP_1) | instid1(VALU_DEP_1)
	v_pk_fma_f32 v[166:167], v[164:165], v[158:159], v[162:163] op_sel:[0,0,1] op_sel_hi:[1,1,0] neg_lo:[0,0,1] neg_hi:[0,0,1]
	v_pk_fma_f32 v[162:163], v[164:165], v[158:159], v[162:163] op_sel:[0,0,1] op_sel_hi:[1,0,0]
	v_mov_b32_e32 v167, v163
	ds_load_2addr_b64 v[162:165], v214 offset0:28 offset1:29
	v_pk_add_f32 v[98:99], v[98:99], v[166:167] neg_lo:[0,1] neg_hi:[0,1]
	s_wait_dscnt 0x0
	v_pk_mul_f32 v[166:167], v[162:163], v[160:161] op_sel:[0,1]
	s_delay_alu instid0(VALU_DEP_1) | instskip(SKIP_1) | instid1(VALU_DEP_1)
	v_pk_fma_f32 v[168:169], v[162:163], v[158:159], v[166:167] op_sel:[0,0,1] op_sel_hi:[1,1,0] neg_lo:[0,0,1] neg_hi:[0,0,1]
	v_pk_fma_f32 v[162:163], v[162:163], v[158:159], v[166:167] op_sel:[0,0,1] op_sel_hi:[1,0,0]
	v_mov_b32_e32 v169, v163
	v_pk_mul_f32 v[162:163], v[164:165], v[160:161] op_sel:[0,1]
	s_delay_alu instid0(VALU_DEP_2) | instskip(NEXT) | instid1(VALU_DEP_2)
	v_pk_add_f32 v[120:121], v[120:121], v[168:169] neg_lo:[0,1] neg_hi:[0,1]
	v_pk_fma_f32 v[166:167], v[164:165], v[158:159], v[162:163] op_sel:[0,0,1] op_sel_hi:[1,1,0] neg_lo:[0,0,1] neg_hi:[0,0,1]
	v_pk_fma_f32 v[162:163], v[164:165], v[158:159], v[162:163] op_sel:[0,0,1] op_sel_hi:[1,0,0]
	s_delay_alu instid0(VALU_DEP_1) | instskip(SKIP_4) | instid1(VALU_DEP_1)
	v_mov_b32_e32 v167, v163
	ds_load_2addr_b64 v[162:165], v214 offset0:30 offset1:31
	v_pk_add_f32 v[116:117], v[116:117], v[166:167] neg_lo:[0,1] neg_hi:[0,1]
	s_wait_dscnt 0x0
	v_pk_mul_f32 v[166:167], v[162:163], v[160:161] op_sel:[0,1]
	v_pk_fma_f32 v[168:169], v[162:163], v[158:159], v[166:167] op_sel:[0,0,1] op_sel_hi:[1,1,0] neg_lo:[0,0,1] neg_hi:[0,0,1]
	v_pk_fma_f32 v[162:163], v[162:163], v[158:159], v[166:167] op_sel:[0,0,1] op_sel_hi:[1,0,0]
	v_dual_mul_f32 v166, v165, v161 :: v_dual_mov_b32 v162, v165
	s_delay_alu instid0(VALU_DEP_2) | instskip(NEXT) | instid1(VALU_DEP_2)
	v_dual_mov_b32 v169, v163 :: v_dual_mov_b32 v163, v164
	v_pk_fma_f32 v[166:167], v[164:165], v[22:23], v[166:167] op_sel_hi:[1,1,0] neg_lo:[0,0,1] neg_hi:[0,0,1]
	v_mul_f32_e32 v164, v165, v158
	s_delay_alu instid0(VALU_DEP_3) | instskip(NEXT) | instid1(VALU_DEP_2)
	v_pk_add_f32 v[118:119], v[118:119], v[168:169] neg_lo:[0,1] neg_hi:[0,1]
	v_pk_fma_f32 v[162:163], v[162:163], v[22:23], v[164:165] op_sel_hi:[1,1,0]
	s_delay_alu instid0(VALU_DEP_1) | instskip(SKIP_4) | instid1(VALU_DEP_1)
	v_mov_b32_e32 v167, v163
	ds_load_2addr_b64 v[162:165], v214 offset0:32 offset1:33
	v_pk_add_f32 v[132:133], v[132:133], v[166:167] neg_lo:[0,1] neg_hi:[0,1]
	s_wait_dscnt 0x0
	v_pk_mul_f32 v[166:167], v[162:163], v[160:161] op_sel:[0,1]
	v_pk_fma_f32 v[168:169], v[162:163], v[158:159], v[166:167] op_sel:[0,0,1] op_sel_hi:[1,1,0] neg_lo:[0,0,1] neg_hi:[0,0,1]
	v_pk_fma_f32 v[162:163], v[162:163], v[158:159], v[166:167] op_sel:[0,0,1] op_sel_hi:[1,0,0]
	s_delay_alu instid0(VALU_DEP_1) | instskip(SKIP_1) | instid1(VALU_DEP_1)
	v_mov_b32_e32 v169, v163
	v_pk_mul_f32 v[162:163], v[164:165], v[160:161] op_sel:[0,1]
	v_pk_fma_f32 v[166:167], v[164:165], v[158:159], v[162:163] op_sel:[0,0,1] op_sel_hi:[1,1,0] neg_lo:[0,0,1] neg_hi:[0,0,1]
	v_pk_fma_f32 v[162:163], v[164:165], v[158:159], v[162:163] op_sel:[0,0,1] op_sel_hi:[1,0,0]
	s_delay_alu instid0(VALU_DEP_1)
	v_mov_b32_e32 v167, v163
	ds_load_b64 v[162:163], v214 offset:272
	v_pk_add_f32 v[130:131], v[130:131], v[168:169] neg_lo:[0,1] neg_hi:[0,1]
	v_pk_add_f32 v[122:123], v[122:123], v[166:167] neg_lo:[0,1] neg_hi:[0,1]
	s_wait_dscnt 0x0
	v_pk_mul_f32 v[160:161], v[162:163], v[160:161] op_sel:[0,1]
	s_delay_alu instid0(VALU_DEP_1) | instskip(SKIP_1) | instid1(VALU_DEP_1)
	v_pk_fma_f32 v[164:165], v[162:163], v[158:159], v[160:161] op_sel:[0,0,1] op_sel_hi:[1,1,0] neg_lo:[0,0,1] neg_hi:[0,0,1]
	v_pk_fma_f32 v[158:159], v[162:163], v[158:159], v[160:161] op_sel:[0,0,1] op_sel_hi:[1,0,0]
	v_mov_b32_e32 v165, v159
	s_delay_alu instid0(VALU_DEP_1)
	v_pk_add_f32 v[140:141], v[140:141], v[164:165] neg_lo:[0,1] neg_hi:[0,1]
.LBB69_73:
	s_or_b32 exec_lo, exec_lo, s1
	s_delay_alu instid0(SALU_CYCLE_1)
	s_mov_b32 s2, exec_lo
	s_wait_dscnt 0x0
	s_barrier_signal -1
	s_barrier_wait -1
	v_cmpx_eq_u32_e32 8, v212
	s_cbranch_execz .LBB69_80
; %bb.74:
	ds_store_b64 v213, v[42:43]
	ds_store_2addr_b64 v214, v[38:39], v[40:41] offset0:9 offset1:10
	ds_store_2addr_b64 v214, v[36:37], v[62:63] offset0:11 offset1:12
	;; [unrolled: 1-line block ×13, first 2 shown]
	ds_load_b64 v[158:159], v213
	s_wait_dscnt 0x0
	v_cmp_neq_f32_e32 vcc_lo, 0, v158
	v_cmp_neq_f32_e64 s1, 0, v159
	s_or_b32 s1, vcc_lo, s1
	s_delay_alu instid0(SALU_CYCLE_1)
	s_and_b32 exec_lo, exec_lo, s1
	s_cbranch_execz .LBB69_80
; %bb.75:
	v_cmp_ngt_f32_e64 s1, |v158|, |v159|
                                        ; implicit-def: $vgpr160_vgpr161
	s_and_saveexec_b32 s4, s1
	s_delay_alu instid0(SALU_CYCLE_1)
	s_xor_b32 s1, exec_lo, s4
	s_cbranch_execz .LBB69_77
; %bb.76:
	v_div_scale_f32 v160, null, v159, v159, v158
	v_div_scale_f32 v163, vcc_lo, v158, v159, v158
	s_delay_alu instid0(VALU_DEP_2) | instskip(SKIP_1) | instid1(TRANS32_DEP_1)
	v_rcp_f32_e32 v161, v160
	v_nop
	v_fma_f32 v162, -v160, v161, 1.0
	s_delay_alu instid0(VALU_DEP_1) | instskip(NEXT) | instid1(VALU_DEP_1)
	v_fmac_f32_e32 v161, v162, v161
	v_mul_f32_e32 v162, v163, v161
	s_delay_alu instid0(VALU_DEP_1) | instskip(NEXT) | instid1(VALU_DEP_1)
	v_fma_f32 v164, -v160, v162, v163
	v_fmac_f32_e32 v162, v164, v161
	s_delay_alu instid0(VALU_DEP_1) | instskip(NEXT) | instid1(VALU_DEP_1)
	v_fma_f32 v160, -v160, v162, v163
	v_div_fmas_f32 v160, v160, v161, v162
	s_delay_alu instid0(VALU_DEP_1) | instskip(NEXT) | instid1(VALU_DEP_1)
	v_div_fixup_f32 v160, v160, v159, v158
	v_fmac_f32_e32 v159, v158, v160
	s_delay_alu instid0(VALU_DEP_1) | instskip(SKIP_1) | instid1(VALU_DEP_2)
	v_div_scale_f32 v158, null, v159, v159, 1.0
	v_div_scale_f32 v163, vcc_lo, 1.0, v159, 1.0
	v_rcp_f32_e32 v161, v158
	v_nop
	s_delay_alu instid0(TRANS32_DEP_1) | instskip(NEXT) | instid1(VALU_DEP_1)
	v_fma_f32 v162, -v158, v161, 1.0
	v_fmac_f32_e32 v161, v162, v161
	s_delay_alu instid0(VALU_DEP_1) | instskip(NEXT) | instid1(VALU_DEP_1)
	v_mul_f32_e32 v162, v163, v161
	v_fma_f32 v164, -v158, v162, v163
	s_delay_alu instid0(VALU_DEP_1) | instskip(NEXT) | instid1(VALU_DEP_1)
	v_fmac_f32_e32 v162, v164, v161
	v_fma_f32 v158, -v158, v162, v163
	s_delay_alu instid0(VALU_DEP_1) | instskip(NEXT) | instid1(VALU_DEP_1)
	v_div_fmas_f32 v158, v158, v161, v162
	v_div_fixup_f32 v158, v158, v159, 1.0
	s_delay_alu instid0(VALU_DEP_1)
	v_mul_f32_e32 v160, v160, v158
	v_xor_b32_e32 v161, 0x80000000, v158
                                        ; implicit-def: $vgpr158_vgpr159
.LBB69_77:
	s_and_not1_saveexec_b32 s1, s1
	s_cbranch_execz .LBB69_79
; %bb.78:
	v_div_scale_f32 v160, null, v158, v158, v159
	v_div_scale_f32 v163, vcc_lo, v159, v158, v159
	s_delay_alu instid0(VALU_DEP_2) | instskip(SKIP_1) | instid1(TRANS32_DEP_1)
	v_rcp_f32_e32 v161, v160
	v_nop
	v_fma_f32 v162, -v160, v161, 1.0
	s_delay_alu instid0(VALU_DEP_1) | instskip(NEXT) | instid1(VALU_DEP_1)
	v_fmac_f32_e32 v161, v162, v161
	v_mul_f32_e32 v162, v163, v161
	s_delay_alu instid0(VALU_DEP_1) | instskip(NEXT) | instid1(VALU_DEP_1)
	v_fma_f32 v164, -v160, v162, v163
	v_fmac_f32_e32 v162, v164, v161
	s_delay_alu instid0(VALU_DEP_1) | instskip(NEXT) | instid1(VALU_DEP_1)
	v_fma_f32 v160, -v160, v162, v163
	v_div_fmas_f32 v160, v160, v161, v162
	s_delay_alu instid0(VALU_DEP_1) | instskip(NEXT) | instid1(VALU_DEP_1)
	v_div_fixup_f32 v161, v160, v158, v159
	v_fmac_f32_e32 v158, v159, v161
	s_delay_alu instid0(VALU_DEP_1) | instskip(NEXT) | instid1(VALU_DEP_1)
	v_div_scale_f32 v159, null, v158, v158, 1.0
	v_rcp_f32_e32 v160, v159
	v_nop
	s_delay_alu instid0(TRANS32_DEP_1) | instskip(NEXT) | instid1(VALU_DEP_1)
	v_fma_f32 v162, -v159, v160, 1.0
	v_fmac_f32_e32 v160, v162, v160
	v_div_scale_f32 v162, vcc_lo, 1.0, v158, 1.0
	s_delay_alu instid0(VALU_DEP_1) | instskip(NEXT) | instid1(VALU_DEP_1)
	v_mul_f32_e32 v163, v162, v160
	v_fma_f32 v164, -v159, v163, v162
	s_delay_alu instid0(VALU_DEP_1) | instskip(NEXT) | instid1(VALU_DEP_1)
	v_fmac_f32_e32 v163, v164, v160
	v_fma_f32 v159, -v159, v163, v162
	s_delay_alu instid0(VALU_DEP_1) | instskip(NEXT) | instid1(VALU_DEP_1)
	v_div_fmas_f32 v159, v159, v160, v163
	v_div_fixup_f32 v160, v159, v158, 1.0
	s_delay_alu instid0(VALU_DEP_1)
	v_mul_f32_e64 v161, v161, -v160
.LBB69_79:
	s_or_b32 exec_lo, exec_lo, s1
	ds_store_b64 v213, v[160:161]
.LBB69_80:
	s_or_b32 exec_lo, exec_lo, s2
	s_wait_dscnt 0x0
	s_barrier_signal -1
	s_barrier_wait -1
	ds_load_b64 v[158:159], v213
	s_mov_b32 s1, exec_lo
	v_cmpx_lt_u32_e32 8, v212
	s_cbranch_execz .LBB69_82
; %bb.81:
	ds_load_2addr_b64 v[164:167], v214 offset0:9 offset1:10
	s_wait_dscnt 0x1
	v_pk_mul_f32 v[162:163], v[158:159], v[42:43] op_sel:[1,1] op_sel_hi:[0,1]
	s_delay_alu instid0(VALU_DEP_1) | instskip(SKIP_1) | instid1(VALU_DEP_1)
	v_pk_fma_f32 v[160:161], v[158:159], v[42:43], v[162:163] op_sel_hi:[1,0,1] neg_lo:[0,0,1] neg_hi:[0,0,1]
	v_pk_fma_f32 v[162:163], v[158:159], v[42:43], v[162:163] op_sel_hi:[1,0,1]
	v_dual_mov_b32 v42, v160 :: v_dual_mov_b32 v43, v163
	s_wait_dscnt 0x0
	s_delay_alu instid0(VALU_DEP_2) | instskip(NEXT) | instid1(VALU_DEP_1)
	v_pk_mul_f32 v[168:169], v[164:165], v[162:163] op_sel:[0,1]
	v_pk_fma_f32 v[170:171], v[164:165], v[160:161], v[168:169] op_sel:[0,0,1] op_sel_hi:[1,1,0] neg_lo:[0,0,1] neg_hi:[0,0,1]
	v_pk_fma_f32 v[164:165], v[164:165], v[160:161], v[168:169] op_sel:[0,0,1] op_sel_hi:[1,0,0]
	s_delay_alu instid0(VALU_DEP_1) | instskip(SKIP_1) | instid1(VALU_DEP_1)
	v_mov_b32_e32 v171, v165
	v_pk_mul_f32 v[164:165], v[166:167], v[162:163] op_sel:[0,1]
	v_pk_fma_f32 v[168:169], v[166:167], v[160:161], v[164:165] op_sel:[0,0,1] op_sel_hi:[1,1,0] neg_lo:[0,0,1] neg_hi:[0,0,1]
	v_pk_fma_f32 v[164:165], v[166:167], v[160:161], v[164:165] op_sel:[0,0,1] op_sel_hi:[1,0,0]
	s_delay_alu instid0(VALU_DEP_1)
	v_mov_b32_e32 v169, v165
	ds_load_2addr_b64 v[164:167], v214 offset0:11 offset1:12
	v_pk_add_f32 v[38:39], v[38:39], v[170:171] neg_lo:[0,1] neg_hi:[0,1]
	v_pk_add_f32 v[40:41], v[40:41], v[168:169] neg_lo:[0,1] neg_hi:[0,1]
	s_wait_dscnt 0x0
	v_pk_mul_f32 v[168:169], v[164:165], v[162:163] op_sel:[0,1]
	s_delay_alu instid0(VALU_DEP_1) | instskip(SKIP_2) | instid1(VALU_DEP_2)
	v_pk_fma_f32 v[170:171], v[164:165], v[160:161], v[168:169] op_sel:[0,0,1] op_sel_hi:[1,1,0] neg_lo:[0,0,1] neg_hi:[0,0,1]
	v_pk_fma_f32 v[164:165], v[164:165], v[160:161], v[168:169] op_sel:[0,0,1] op_sel_hi:[1,0,0]
	v_dual_mul_f32 v168, v167, v163 :: v_dual_mov_b32 v164, v167
	v_dual_mov_b32 v171, v165 :: v_dual_mov_b32 v165, v166
	s_delay_alu instid0(VALU_DEP_2) | instskip(SKIP_1) | instid1(VALU_DEP_3)
	v_pk_fma_f32 v[168:169], v[166:167], v[42:43], v[168:169] op_sel_hi:[1,1,0] neg_lo:[0,0,1] neg_hi:[0,0,1]
	v_mul_f32_e32 v166, v167, v160
	v_pk_add_f32 v[36:37], v[36:37], v[170:171] neg_lo:[0,1] neg_hi:[0,1]
	s_delay_alu instid0(VALU_DEP_2) | instskip(NEXT) | instid1(VALU_DEP_1)
	v_pk_fma_f32 v[164:165], v[164:165], v[42:43], v[166:167] op_sel_hi:[1,1,0]
	v_mov_b32_e32 v169, v165
	ds_load_2addr_b64 v[164:167], v214 offset0:13 offset1:14
	v_pk_add_f32 v[62:63], v[62:63], v[168:169] neg_lo:[0,1] neg_hi:[0,1]
	s_wait_dscnt 0x0
	v_pk_mul_f32 v[168:169], v[164:165], v[162:163] op_sel:[0,1]
	s_delay_alu instid0(VALU_DEP_1) | instskip(SKIP_1) | instid1(VALU_DEP_1)
	v_pk_fma_f32 v[170:171], v[164:165], v[160:161], v[168:169] op_sel:[0,0,1] op_sel_hi:[1,1,0] neg_lo:[0,0,1] neg_hi:[0,0,1]
	v_pk_fma_f32 v[164:165], v[164:165], v[160:161], v[168:169] op_sel:[0,0,1] op_sel_hi:[1,0,0]
	v_mov_b32_e32 v171, v165
	v_pk_mul_f32 v[164:165], v[166:167], v[162:163] op_sel:[0,1]
	s_delay_alu instid0(VALU_DEP_1) | instskip(SKIP_1) | instid1(VALU_DEP_1)
	v_pk_fma_f32 v[168:169], v[166:167], v[160:161], v[164:165] op_sel:[0,0,1] op_sel_hi:[1,1,0] neg_lo:[0,0,1] neg_hi:[0,0,1]
	v_pk_fma_f32 v[164:165], v[166:167], v[160:161], v[164:165] op_sel:[0,0,1] op_sel_hi:[1,0,0]
	v_mov_b32_e32 v169, v165
	ds_load_2addr_b64 v[164:167], v214 offset0:15 offset1:16
	v_pk_add_f32 v[58:59], v[58:59], v[170:171] neg_lo:[0,1] neg_hi:[0,1]
	v_pk_add_f32 v[60:61], v[60:61], v[168:169] neg_lo:[0,1] neg_hi:[0,1]
	s_wait_dscnt 0x0
	v_pk_mul_f32 v[168:169], v[164:165], v[162:163] op_sel:[0,1]
	s_delay_alu instid0(VALU_DEP_1) | instskip(SKIP_1) | instid1(VALU_DEP_1)
	v_pk_fma_f32 v[170:171], v[164:165], v[160:161], v[168:169] op_sel:[0,0,1] op_sel_hi:[1,1,0] neg_lo:[0,0,1] neg_hi:[0,0,1]
	v_pk_fma_f32 v[164:165], v[164:165], v[160:161], v[168:169] op_sel:[0,0,1] op_sel_hi:[1,0,0]
	v_mov_b32_e32 v171, v165
	v_pk_mul_f32 v[164:165], v[166:167], v[162:163] op_sel:[0,1]
	s_delay_alu instid0(VALU_DEP_1) | instskip(SKIP_1) | instid1(VALU_DEP_1)
	v_pk_fma_f32 v[168:169], v[166:167], v[160:161], v[164:165] op_sel:[0,0,1] op_sel_hi:[1,1,0] neg_lo:[0,0,1] neg_hi:[0,0,1]
	v_pk_fma_f32 v[164:165], v[166:167], v[160:161], v[164:165] op_sel:[0,0,1] op_sel_hi:[1,0,0]
	v_mov_b32_e32 v169, v165
	ds_load_2addr_b64 v[164:167], v214 offset0:17 offset1:18
	v_pk_add_f32 v[56:57], v[56:57], v[170:171] neg_lo:[0,1] neg_hi:[0,1]
	v_pk_add_f32 v[72:73], v[72:73], v[168:169] neg_lo:[0,1] neg_hi:[0,1]
	s_wait_dscnt 0x0
	v_dual_mul_f32 v168, v165, v163 :: v_dual_mul_f32 v170, v165, v160
	s_delay_alu instid0(VALU_DEP_1) | instskip(NEXT) | instid1(VALU_DEP_2)
	v_pk_fma_f32 v[168:169], v[164:165], v[42:43], v[168:169] op_sel_hi:[1,1,0] neg_lo:[0,0,1] neg_hi:[0,0,1]
	v_pk_fma_f32 v[164:165], v[164:165], v[42:43], v[170:171] op_sel:[1,0,0] op_sel_hi:[0,1,0]
	s_delay_alu instid0(VALU_DEP_1) | instskip(SKIP_1) | instid1(VALU_DEP_2)
	v_mov_b32_e32 v169, v165
	v_pk_mul_f32 v[164:165], v[166:167], v[162:163] op_sel:[0,1]
	v_pk_add_f32 v[112:113], v[112:113], v[168:169] neg_lo:[0,1] neg_hi:[0,1]
	s_delay_alu instid0(VALU_DEP_2) | instskip(SKIP_1) | instid1(VALU_DEP_1)
	v_pk_fma_f32 v[168:169], v[166:167], v[160:161], v[164:165] op_sel:[0,0,1] op_sel_hi:[1,1,0] neg_lo:[0,0,1] neg_hi:[0,0,1]
	v_pk_fma_f32 v[164:165], v[166:167], v[160:161], v[164:165] op_sel:[0,0,1] op_sel_hi:[1,0,0]
	v_mov_b32_e32 v169, v165
	ds_load_2addr_b64 v[164:167], v214 offset0:19 offset1:20
	v_pk_add_f32 v[114:115], v[114:115], v[168:169] neg_lo:[0,1] neg_hi:[0,1]
	s_wait_dscnt 0x0
	v_pk_mul_f32 v[168:169], v[164:165], v[162:163] op_sel:[0,1]
	s_delay_alu instid0(VALU_DEP_1) | instskip(SKIP_1) | instid1(VALU_DEP_1)
	v_pk_fma_f32 v[170:171], v[164:165], v[160:161], v[168:169] op_sel:[0,0,1] op_sel_hi:[1,1,0] neg_lo:[0,0,1] neg_hi:[0,0,1]
	v_pk_fma_f32 v[164:165], v[164:165], v[160:161], v[168:169] op_sel:[0,0,1] op_sel_hi:[1,0,0]
	v_mov_b32_e32 v171, v165
	v_pk_mul_f32 v[164:165], v[166:167], v[162:163] op_sel:[0,1]
	s_delay_alu instid0(VALU_DEP_2) | instskip(NEXT) | instid1(VALU_DEP_2)
	v_pk_add_f32 v[94:95], v[94:95], v[170:171] neg_lo:[0,1] neg_hi:[0,1]
	v_pk_fma_f32 v[168:169], v[166:167], v[160:161], v[164:165] op_sel:[0,0,1] op_sel_hi:[1,1,0] neg_lo:[0,0,1] neg_hi:[0,0,1]
	v_pk_fma_f32 v[164:165], v[166:167], v[160:161], v[164:165] op_sel:[0,0,1] op_sel_hi:[1,0,0]
	s_delay_alu instid0(VALU_DEP_1) | instskip(SKIP_4) | instid1(VALU_DEP_1)
	v_mov_b32_e32 v169, v165
	ds_load_2addr_b64 v[164:167], v214 offset0:21 offset1:22
	v_pk_add_f32 v[128:129], v[128:129], v[168:169] neg_lo:[0,1] neg_hi:[0,1]
	s_wait_dscnt 0x0
	v_pk_mul_f32 v[168:169], v[164:165], v[162:163] op_sel:[0,1]
	v_pk_fma_f32 v[170:171], v[164:165], v[160:161], v[168:169] op_sel:[0,0,1] op_sel_hi:[1,1,0] neg_lo:[0,0,1] neg_hi:[0,0,1]
	v_pk_fma_f32 v[164:165], v[164:165], v[160:161], v[168:169] op_sel:[0,0,1] op_sel_hi:[1,0,0]
	v_dual_mul_f32 v168, v167, v163 :: v_dual_mov_b32 v164, v167
	s_delay_alu instid0(VALU_DEP_2) | instskip(NEXT) | instid1(VALU_DEP_2)
	v_dual_mov_b32 v171, v165 :: v_dual_mov_b32 v165, v166
	v_pk_fma_f32 v[168:169], v[166:167], v[42:43], v[168:169] op_sel_hi:[1,1,0] neg_lo:[0,0,1] neg_hi:[0,0,1]
	v_mul_f32_e32 v166, v167, v160
	s_delay_alu instid0(VALU_DEP_3) | instskip(NEXT) | instid1(VALU_DEP_2)
	v_pk_add_f32 v[124:125], v[124:125], v[170:171] neg_lo:[0,1] neg_hi:[0,1]
	v_pk_fma_f32 v[164:165], v[164:165], v[42:43], v[166:167] op_sel_hi:[1,1,0]
	s_delay_alu instid0(VALU_DEP_1) | instskip(SKIP_4) | instid1(VALU_DEP_1)
	v_mov_b32_e32 v169, v165
	ds_load_2addr_b64 v[164:167], v214 offset0:23 offset1:24
	v_pk_add_f32 v[126:127], v[126:127], v[168:169] neg_lo:[0,1] neg_hi:[0,1]
	s_wait_dscnt 0x0
	v_pk_mul_f32 v[168:169], v[164:165], v[162:163] op_sel:[0,1]
	v_pk_fma_f32 v[170:171], v[164:165], v[160:161], v[168:169] op_sel:[0,0,1] op_sel_hi:[1,1,0] neg_lo:[0,0,1] neg_hi:[0,0,1]
	v_pk_fma_f32 v[164:165], v[164:165], v[160:161], v[168:169] op_sel:[0,0,1] op_sel_hi:[1,0,0]
	s_delay_alu instid0(VALU_DEP_1) | instskip(SKIP_1) | instid1(VALU_DEP_1)
	v_mov_b32_e32 v171, v165
	v_pk_mul_f32 v[164:165], v[166:167], v[162:163] op_sel:[0,1]
	v_pk_fma_f32 v[168:169], v[166:167], v[160:161], v[164:165] op_sel:[0,0,1] op_sel_hi:[1,1,0] neg_lo:[0,0,1] neg_hi:[0,0,1]
	v_pk_fma_f32 v[164:165], v[166:167], v[160:161], v[164:165] op_sel:[0,0,1] op_sel_hi:[1,0,0]
	s_delay_alu instid0(VALU_DEP_1)
	v_mov_b32_e32 v169, v165
	ds_load_2addr_b64 v[164:167], v214 offset0:25 offset1:26
	v_pk_add_f32 v[138:139], v[138:139], v[170:171] neg_lo:[0,1] neg_hi:[0,1]
	v_pk_add_f32 v[136:137], v[136:137], v[168:169] neg_lo:[0,1] neg_hi:[0,1]
	s_wait_dscnt 0x0
	v_pk_mul_f32 v[168:169], v[164:165], v[162:163] op_sel:[0,1]
	s_delay_alu instid0(VALU_DEP_1) | instskip(SKIP_1) | instid1(VALU_DEP_1)
	v_pk_fma_f32 v[170:171], v[164:165], v[160:161], v[168:169] op_sel:[0,0,1] op_sel_hi:[1,1,0] neg_lo:[0,0,1] neg_hi:[0,0,1]
	v_pk_fma_f32 v[164:165], v[164:165], v[160:161], v[168:169] op_sel:[0,0,1] op_sel_hi:[1,0,0]
	v_mov_b32_e32 v171, v165
	v_pk_mul_f32 v[164:165], v[166:167], v[162:163] op_sel:[0,1]
	s_delay_alu instid0(VALU_DEP_1) | instskip(SKIP_1) | instid1(VALU_DEP_1)
	v_pk_fma_f32 v[168:169], v[166:167], v[160:161], v[164:165] op_sel:[0,0,1] op_sel_hi:[1,1,0] neg_lo:[0,0,1] neg_hi:[0,0,1]
	v_pk_fma_f32 v[164:165], v[166:167], v[160:161], v[164:165] op_sel:[0,0,1] op_sel_hi:[1,0,0]
	v_mov_b32_e32 v169, v165
	ds_load_2addr_b64 v[164:167], v214 offset0:27 offset1:28
	v_pk_add_f32 v[134:135], v[134:135], v[170:171] neg_lo:[0,1] neg_hi:[0,1]
	v_pk_add_f32 v[100:101], v[100:101], v[168:169] neg_lo:[0,1] neg_hi:[0,1]
	s_wait_dscnt 0x0
	v_dual_mul_f32 v168, v165, v163 :: v_dual_mul_f32 v170, v165, v160
	s_delay_alu instid0(VALU_DEP_1) | instskip(NEXT) | instid1(VALU_DEP_2)
	v_pk_fma_f32 v[168:169], v[164:165], v[42:43], v[168:169] op_sel_hi:[1,1,0] neg_lo:[0,0,1] neg_hi:[0,0,1]
	v_pk_fma_f32 v[164:165], v[164:165], v[42:43], v[170:171] op_sel:[1,0,0] op_sel_hi:[0,1,0]
	s_delay_alu instid0(VALU_DEP_1) | instskip(SKIP_1) | instid1(VALU_DEP_2)
	v_mov_b32_e32 v169, v165
	v_pk_mul_f32 v[164:165], v[166:167], v[162:163] op_sel:[0,1]
	v_pk_add_f32 v[98:99], v[98:99], v[168:169] neg_lo:[0,1] neg_hi:[0,1]
	s_delay_alu instid0(VALU_DEP_2) | instskip(SKIP_1) | instid1(VALU_DEP_1)
	v_pk_fma_f32 v[168:169], v[166:167], v[160:161], v[164:165] op_sel:[0,0,1] op_sel_hi:[1,1,0] neg_lo:[0,0,1] neg_hi:[0,0,1]
	v_pk_fma_f32 v[164:165], v[166:167], v[160:161], v[164:165] op_sel:[0,0,1] op_sel_hi:[1,0,0]
	v_mov_b32_e32 v169, v165
	ds_load_2addr_b64 v[164:167], v214 offset0:29 offset1:30
	v_pk_add_f32 v[120:121], v[120:121], v[168:169] neg_lo:[0,1] neg_hi:[0,1]
	s_wait_dscnt 0x0
	v_pk_mul_f32 v[168:169], v[164:165], v[162:163] op_sel:[0,1]
	s_delay_alu instid0(VALU_DEP_1) | instskip(SKIP_1) | instid1(VALU_DEP_1)
	v_pk_fma_f32 v[170:171], v[164:165], v[160:161], v[168:169] op_sel:[0,0,1] op_sel_hi:[1,1,0] neg_lo:[0,0,1] neg_hi:[0,0,1]
	v_pk_fma_f32 v[164:165], v[164:165], v[160:161], v[168:169] op_sel:[0,0,1] op_sel_hi:[1,0,0]
	v_mov_b32_e32 v171, v165
	v_pk_mul_f32 v[164:165], v[166:167], v[162:163] op_sel:[0,1]
	s_delay_alu instid0(VALU_DEP_2) | instskip(NEXT) | instid1(VALU_DEP_2)
	v_pk_add_f32 v[116:117], v[116:117], v[170:171] neg_lo:[0,1] neg_hi:[0,1]
	v_pk_fma_f32 v[168:169], v[166:167], v[160:161], v[164:165] op_sel:[0,0,1] op_sel_hi:[1,1,0] neg_lo:[0,0,1] neg_hi:[0,0,1]
	v_pk_fma_f32 v[164:165], v[166:167], v[160:161], v[164:165] op_sel:[0,0,1] op_sel_hi:[1,0,0]
	s_delay_alu instid0(VALU_DEP_1) | instskip(SKIP_4) | instid1(VALU_DEP_1)
	v_mov_b32_e32 v169, v165
	ds_load_2addr_b64 v[164:167], v214 offset0:31 offset1:32
	v_pk_add_f32 v[118:119], v[118:119], v[168:169] neg_lo:[0,1] neg_hi:[0,1]
	s_wait_dscnt 0x0
	v_pk_mul_f32 v[168:169], v[164:165], v[162:163] op_sel:[0,1]
	v_pk_fma_f32 v[170:171], v[164:165], v[160:161], v[168:169] op_sel:[0,0,1] op_sel_hi:[1,1,0] neg_lo:[0,0,1] neg_hi:[0,0,1]
	v_pk_fma_f32 v[164:165], v[164:165], v[160:161], v[168:169] op_sel:[0,0,1] op_sel_hi:[1,0,0]
	v_dual_mul_f32 v168, v167, v163 :: v_dual_mov_b32 v164, v167
	s_delay_alu instid0(VALU_DEP_2) | instskip(NEXT) | instid1(VALU_DEP_2)
	v_dual_mov_b32 v171, v165 :: v_dual_mov_b32 v165, v166
	v_pk_fma_f32 v[168:169], v[166:167], v[42:43], v[168:169] op_sel_hi:[1,1,0] neg_lo:[0,0,1] neg_hi:[0,0,1]
	v_mul_f32_e32 v166, v167, v160
	s_delay_alu instid0(VALU_DEP_3) | instskip(NEXT) | instid1(VALU_DEP_2)
	v_pk_add_f32 v[132:133], v[132:133], v[170:171] neg_lo:[0,1] neg_hi:[0,1]
	v_pk_fma_f32 v[164:165], v[164:165], v[42:43], v[166:167] op_sel_hi:[1,1,0]
	s_delay_alu instid0(VALU_DEP_1)
	v_mov_b32_e32 v169, v165
	ds_load_2addr_b64 v[164:167], v214 offset0:33 offset1:34
	v_pk_add_f32 v[130:131], v[130:131], v[168:169] neg_lo:[0,1] neg_hi:[0,1]
	s_wait_dscnt 0x0
	v_pk_mul_f32 v[168:169], v[164:165], v[162:163] op_sel:[0,1]
	v_pk_mul_f32 v[162:163], v[166:167], v[162:163] op_sel:[0,1]
	s_delay_alu instid0(VALU_DEP_2) | instskip(SKIP_1) | instid1(VALU_DEP_1)
	v_pk_fma_f32 v[170:171], v[164:165], v[160:161], v[168:169] op_sel:[0,0,1] op_sel_hi:[1,1,0] neg_lo:[0,0,1] neg_hi:[0,0,1]
	v_pk_fma_f32 v[164:165], v[164:165], v[160:161], v[168:169] op_sel:[0,0,1] op_sel_hi:[1,0,0]
	v_mov_b32_e32 v171, v165
	s_delay_alu instid0(VALU_DEP_4) | instskip(SKIP_1) | instid1(VALU_DEP_1)
	v_pk_fma_f32 v[164:165], v[166:167], v[160:161], v[162:163] op_sel:[0,0,1] op_sel_hi:[1,1,0] neg_lo:[0,0,1] neg_hi:[0,0,1]
	v_pk_fma_f32 v[160:161], v[166:167], v[160:161], v[162:163] op_sel:[0,0,1] op_sel_hi:[1,0,0]
	v_mov_b32_e32 v165, v161
	s_delay_alu instid0(VALU_DEP_4) | instskip(NEXT) | instid1(VALU_DEP_2)
	v_pk_add_f32 v[122:123], v[122:123], v[170:171] neg_lo:[0,1] neg_hi:[0,1]
	v_pk_add_f32 v[140:141], v[140:141], v[164:165] neg_lo:[0,1] neg_hi:[0,1]
.LBB69_82:
	s_or_b32 exec_lo, exec_lo, s1
	s_delay_alu instid0(SALU_CYCLE_1)
	s_mov_b32 s2, exec_lo
	s_wait_dscnt 0x0
	s_barrier_signal -1
	s_barrier_wait -1
	v_cmpx_eq_u32_e32 9, v212
	s_cbranch_execz .LBB69_89
; %bb.83:
	v_dual_mov_b32 v160, v40 :: v_dual_mov_b32 v161, v41
	v_dual_mov_b32 v162, v36 :: v_dual_mov_b32 v163, v37
	;; [unrolled: 1-line block ×10, first 2 shown]
	ds_store_b64 v213, v[38:39]
	v_dual_mov_b32 v180, v128 :: v_dual_mov_b32 v181, v129
	v_dual_mov_b32 v182, v124 :: v_dual_mov_b32 v183, v125
	ds_store_2addr_b64 v214, v[160:161], v[162:163] offset0:10 offset1:11
	ds_store_2addr_b64 v214, v[164:165], v[166:167] offset0:12 offset1:13
	;; [unrolled: 1-line block ×6, first 2 shown]
	v_dual_mov_b32 v160, v126 :: v_dual_mov_b32 v161, v127
	v_dual_mov_b32 v162, v138 :: v_dual_mov_b32 v163, v139
	;; [unrolled: 1-line block ×12, first 2 shown]
	ds_store_2addr_b64 v214, v[160:161], v[162:163] offset0:22 offset1:23
	ds_store_2addr_b64 v214, v[164:165], v[166:167] offset0:24 offset1:25
	;; [unrolled: 1-line block ×6, first 2 shown]
	ds_store_b64 v214, v[140:141] offset:272
	ds_load_b64 v[160:161], v213
	s_wait_dscnt 0x0
	v_cmp_neq_f32_e32 vcc_lo, 0, v160
	v_cmp_neq_f32_e64 s1, 0, v161
	s_or_b32 s1, vcc_lo, s1
	s_delay_alu instid0(SALU_CYCLE_1)
	s_and_b32 exec_lo, exec_lo, s1
	s_cbranch_execz .LBB69_89
; %bb.84:
	v_cmp_ngt_f32_e64 s1, |v160|, |v161|
                                        ; implicit-def: $vgpr162_vgpr163
	s_and_saveexec_b32 s4, s1
	s_delay_alu instid0(SALU_CYCLE_1)
	s_xor_b32 s1, exec_lo, s4
	s_cbranch_execz .LBB69_86
; %bb.85:
	v_div_scale_f32 v162, null, v161, v161, v160
	v_div_scale_f32 v165, vcc_lo, v160, v161, v160
	s_delay_alu instid0(VALU_DEP_2) | instskip(SKIP_1) | instid1(TRANS32_DEP_1)
	v_rcp_f32_e32 v163, v162
	v_nop
	v_fma_f32 v164, -v162, v163, 1.0
	s_delay_alu instid0(VALU_DEP_1) | instskip(NEXT) | instid1(VALU_DEP_1)
	v_fmac_f32_e32 v163, v164, v163
	v_mul_f32_e32 v164, v165, v163
	s_delay_alu instid0(VALU_DEP_1) | instskip(NEXT) | instid1(VALU_DEP_1)
	v_fma_f32 v166, -v162, v164, v165
	v_fmac_f32_e32 v164, v166, v163
	s_delay_alu instid0(VALU_DEP_1) | instskip(NEXT) | instid1(VALU_DEP_1)
	v_fma_f32 v162, -v162, v164, v165
	v_div_fmas_f32 v162, v162, v163, v164
	s_delay_alu instid0(VALU_DEP_1) | instskip(NEXT) | instid1(VALU_DEP_1)
	v_div_fixup_f32 v162, v162, v161, v160
	v_fmac_f32_e32 v161, v160, v162
	s_delay_alu instid0(VALU_DEP_1) | instskip(SKIP_1) | instid1(VALU_DEP_2)
	v_div_scale_f32 v160, null, v161, v161, 1.0
	v_div_scale_f32 v165, vcc_lo, 1.0, v161, 1.0
	v_rcp_f32_e32 v163, v160
	v_nop
	s_delay_alu instid0(TRANS32_DEP_1) | instskip(NEXT) | instid1(VALU_DEP_1)
	v_fma_f32 v164, -v160, v163, 1.0
	v_fmac_f32_e32 v163, v164, v163
	s_delay_alu instid0(VALU_DEP_1) | instskip(NEXT) | instid1(VALU_DEP_1)
	v_mul_f32_e32 v164, v165, v163
	v_fma_f32 v166, -v160, v164, v165
	s_delay_alu instid0(VALU_DEP_1) | instskip(NEXT) | instid1(VALU_DEP_1)
	v_fmac_f32_e32 v164, v166, v163
	v_fma_f32 v160, -v160, v164, v165
	s_delay_alu instid0(VALU_DEP_1) | instskip(NEXT) | instid1(VALU_DEP_1)
	v_div_fmas_f32 v160, v160, v163, v164
	v_div_fixup_f32 v160, v160, v161, 1.0
	s_delay_alu instid0(VALU_DEP_1)
	v_mul_f32_e32 v162, v162, v160
	v_xor_b32_e32 v163, 0x80000000, v160
                                        ; implicit-def: $vgpr160_vgpr161
.LBB69_86:
	s_and_not1_saveexec_b32 s1, s1
	s_cbranch_execz .LBB69_88
; %bb.87:
	v_div_scale_f32 v162, null, v160, v160, v161
	v_div_scale_f32 v165, vcc_lo, v161, v160, v161
	s_delay_alu instid0(VALU_DEP_2) | instskip(SKIP_1) | instid1(TRANS32_DEP_1)
	v_rcp_f32_e32 v163, v162
	v_nop
	v_fma_f32 v164, -v162, v163, 1.0
	s_delay_alu instid0(VALU_DEP_1) | instskip(NEXT) | instid1(VALU_DEP_1)
	v_fmac_f32_e32 v163, v164, v163
	v_mul_f32_e32 v164, v165, v163
	s_delay_alu instid0(VALU_DEP_1) | instskip(NEXT) | instid1(VALU_DEP_1)
	v_fma_f32 v166, -v162, v164, v165
	v_fmac_f32_e32 v164, v166, v163
	s_delay_alu instid0(VALU_DEP_1) | instskip(NEXT) | instid1(VALU_DEP_1)
	v_fma_f32 v162, -v162, v164, v165
	v_div_fmas_f32 v162, v162, v163, v164
	s_delay_alu instid0(VALU_DEP_1) | instskip(NEXT) | instid1(VALU_DEP_1)
	v_div_fixup_f32 v163, v162, v160, v161
	v_fmac_f32_e32 v160, v161, v163
	s_delay_alu instid0(VALU_DEP_1) | instskip(NEXT) | instid1(VALU_DEP_1)
	v_div_scale_f32 v161, null, v160, v160, 1.0
	v_rcp_f32_e32 v162, v161
	v_nop
	s_delay_alu instid0(TRANS32_DEP_1) | instskip(NEXT) | instid1(VALU_DEP_1)
	v_fma_f32 v164, -v161, v162, 1.0
	v_fmac_f32_e32 v162, v164, v162
	v_div_scale_f32 v164, vcc_lo, 1.0, v160, 1.0
	s_delay_alu instid0(VALU_DEP_1) | instskip(NEXT) | instid1(VALU_DEP_1)
	v_mul_f32_e32 v165, v164, v162
	v_fma_f32 v166, -v161, v165, v164
	s_delay_alu instid0(VALU_DEP_1) | instskip(NEXT) | instid1(VALU_DEP_1)
	v_fmac_f32_e32 v165, v166, v162
	v_fma_f32 v161, -v161, v165, v164
	s_delay_alu instid0(VALU_DEP_1) | instskip(NEXT) | instid1(VALU_DEP_1)
	v_div_fmas_f32 v161, v161, v162, v165
	v_div_fixup_f32 v162, v161, v160, 1.0
	s_delay_alu instid0(VALU_DEP_1)
	v_mul_f32_e64 v163, v163, -v162
.LBB69_88:
	s_or_b32 exec_lo, exec_lo, s1
	ds_store_b64 v213, v[162:163]
.LBB69_89:
	s_or_b32 exec_lo, exec_lo, s2
	s_wait_dscnt 0x0
	s_barrier_signal -1
	s_barrier_wait -1
	ds_load_b64 v[160:161], v213
	s_mov_b32 s1, exec_lo
	v_cmpx_lt_u32_e32 9, v212
	s_cbranch_execz .LBB69_91
; %bb.90:
	ds_load_2addr_b64 v[166:169], v214 offset0:10 offset1:11
	s_wait_dscnt 0x1
	v_pk_mul_f32 v[164:165], v[160:161], v[38:39] op_sel:[1,1] op_sel_hi:[0,1]
	s_delay_alu instid0(VALU_DEP_1) | instskip(SKIP_1) | instid1(VALU_DEP_1)
	v_pk_fma_f32 v[162:163], v[160:161], v[38:39], v[164:165] op_sel_hi:[1,0,1] neg_lo:[0,0,1] neg_hi:[0,0,1]
	v_pk_fma_f32 v[164:165], v[160:161], v[38:39], v[164:165] op_sel_hi:[1,0,1]
	v_dual_mov_b32 v38, v162 :: v_dual_mov_b32 v39, v165
	s_wait_dscnt 0x0
	s_delay_alu instid0(VALU_DEP_2) | instskip(NEXT) | instid1(VALU_DEP_1)
	v_pk_mul_f32 v[170:171], v[166:167], v[164:165] op_sel:[0,1]
	v_pk_fma_f32 v[172:173], v[166:167], v[162:163], v[170:171] op_sel:[0,0,1] op_sel_hi:[1,1,0] neg_lo:[0,0,1] neg_hi:[0,0,1]
	v_pk_fma_f32 v[166:167], v[166:167], v[162:163], v[170:171] op_sel:[0,0,1] op_sel_hi:[1,0,0]
	s_delay_alu instid0(VALU_DEP_1) | instskip(SKIP_1) | instid1(VALU_DEP_1)
	v_mov_b32_e32 v173, v167
	v_pk_mul_f32 v[166:167], v[168:169], v[164:165] op_sel:[0,1]
	v_pk_fma_f32 v[170:171], v[168:169], v[162:163], v[166:167] op_sel:[0,0,1] op_sel_hi:[1,1,0] neg_lo:[0,0,1] neg_hi:[0,0,1]
	v_pk_fma_f32 v[166:167], v[168:169], v[162:163], v[166:167] op_sel:[0,0,1] op_sel_hi:[1,0,0]
	s_delay_alu instid0(VALU_DEP_1)
	v_mov_b32_e32 v171, v167
	ds_load_2addr_b64 v[166:169], v214 offset0:12 offset1:13
	v_pk_add_f32 v[40:41], v[40:41], v[172:173] neg_lo:[0,1] neg_hi:[0,1]
	v_pk_add_f32 v[36:37], v[36:37], v[170:171] neg_lo:[0,1] neg_hi:[0,1]
	s_wait_dscnt 0x0
	v_pk_mul_f32 v[170:171], v[166:167], v[164:165] op_sel:[0,1]
	s_delay_alu instid0(VALU_DEP_1) | instskip(SKIP_2) | instid1(VALU_DEP_2)
	v_pk_fma_f32 v[172:173], v[166:167], v[162:163], v[170:171] op_sel:[0,0,1] op_sel_hi:[1,1,0] neg_lo:[0,0,1] neg_hi:[0,0,1]
	v_pk_fma_f32 v[166:167], v[166:167], v[162:163], v[170:171] op_sel:[0,0,1] op_sel_hi:[1,0,0]
	v_dual_mul_f32 v170, v169, v165 :: v_dual_mov_b32 v166, v169
	v_dual_mov_b32 v173, v167 :: v_dual_mov_b32 v167, v168
	s_delay_alu instid0(VALU_DEP_2) | instskip(SKIP_1) | instid1(VALU_DEP_3)
	v_pk_fma_f32 v[170:171], v[168:169], v[38:39], v[170:171] op_sel_hi:[1,1,0] neg_lo:[0,0,1] neg_hi:[0,0,1]
	v_mul_f32_e32 v168, v169, v162
	v_pk_add_f32 v[62:63], v[62:63], v[172:173] neg_lo:[0,1] neg_hi:[0,1]
	s_delay_alu instid0(VALU_DEP_2) | instskip(NEXT) | instid1(VALU_DEP_1)
	v_pk_fma_f32 v[166:167], v[166:167], v[38:39], v[168:169] op_sel_hi:[1,1,0]
	v_mov_b32_e32 v171, v167
	ds_load_2addr_b64 v[166:169], v214 offset0:14 offset1:15
	v_pk_add_f32 v[58:59], v[58:59], v[170:171] neg_lo:[0,1] neg_hi:[0,1]
	s_wait_dscnt 0x0
	v_pk_mul_f32 v[170:171], v[166:167], v[164:165] op_sel:[0,1]
	s_delay_alu instid0(VALU_DEP_1) | instskip(SKIP_1) | instid1(VALU_DEP_1)
	v_pk_fma_f32 v[172:173], v[166:167], v[162:163], v[170:171] op_sel:[0,0,1] op_sel_hi:[1,1,0] neg_lo:[0,0,1] neg_hi:[0,0,1]
	v_pk_fma_f32 v[166:167], v[166:167], v[162:163], v[170:171] op_sel:[0,0,1] op_sel_hi:[1,0,0]
	v_mov_b32_e32 v173, v167
	v_pk_mul_f32 v[166:167], v[168:169], v[164:165] op_sel:[0,1]
	s_delay_alu instid0(VALU_DEP_1) | instskip(SKIP_1) | instid1(VALU_DEP_1)
	v_pk_fma_f32 v[170:171], v[168:169], v[162:163], v[166:167] op_sel:[0,0,1] op_sel_hi:[1,1,0] neg_lo:[0,0,1] neg_hi:[0,0,1]
	v_pk_fma_f32 v[166:167], v[168:169], v[162:163], v[166:167] op_sel:[0,0,1] op_sel_hi:[1,0,0]
	v_mov_b32_e32 v171, v167
	ds_load_2addr_b64 v[166:169], v214 offset0:16 offset1:17
	v_pk_add_f32 v[60:61], v[60:61], v[172:173] neg_lo:[0,1] neg_hi:[0,1]
	v_pk_add_f32 v[56:57], v[56:57], v[170:171] neg_lo:[0,1] neg_hi:[0,1]
	s_wait_dscnt 0x0
	v_pk_mul_f32 v[170:171], v[166:167], v[164:165] op_sel:[0,1]
	s_delay_alu instid0(VALU_DEP_1) | instskip(SKIP_1) | instid1(VALU_DEP_1)
	v_pk_fma_f32 v[172:173], v[166:167], v[162:163], v[170:171] op_sel:[0,0,1] op_sel_hi:[1,1,0] neg_lo:[0,0,1] neg_hi:[0,0,1]
	v_pk_fma_f32 v[166:167], v[166:167], v[162:163], v[170:171] op_sel:[0,0,1] op_sel_hi:[1,0,0]
	v_mov_b32_e32 v173, v167
	v_pk_mul_f32 v[166:167], v[168:169], v[164:165] op_sel:[0,1]
	s_delay_alu instid0(VALU_DEP_1) | instskip(SKIP_1) | instid1(VALU_DEP_1)
	v_pk_fma_f32 v[170:171], v[168:169], v[162:163], v[166:167] op_sel:[0,0,1] op_sel_hi:[1,1,0] neg_lo:[0,0,1] neg_hi:[0,0,1]
	v_pk_fma_f32 v[166:167], v[168:169], v[162:163], v[166:167] op_sel:[0,0,1] op_sel_hi:[1,0,0]
	v_mov_b32_e32 v171, v167
	ds_load_2addr_b64 v[166:169], v214 offset0:18 offset1:19
	v_pk_add_f32 v[72:73], v[72:73], v[172:173] neg_lo:[0,1] neg_hi:[0,1]
	v_pk_add_f32 v[112:113], v[112:113], v[170:171] neg_lo:[0,1] neg_hi:[0,1]
	s_wait_dscnt 0x0
	v_dual_mul_f32 v170, v167, v165 :: v_dual_mul_f32 v172, v167, v162
	s_delay_alu instid0(VALU_DEP_1) | instskip(NEXT) | instid1(VALU_DEP_2)
	v_pk_fma_f32 v[170:171], v[166:167], v[38:39], v[170:171] op_sel_hi:[1,1,0] neg_lo:[0,0,1] neg_hi:[0,0,1]
	v_pk_fma_f32 v[166:167], v[166:167], v[38:39], v[172:173] op_sel:[1,0,0] op_sel_hi:[0,1,0]
	s_delay_alu instid0(VALU_DEP_1) | instskip(SKIP_1) | instid1(VALU_DEP_2)
	v_mov_b32_e32 v171, v167
	v_pk_mul_f32 v[166:167], v[168:169], v[164:165] op_sel:[0,1]
	v_pk_add_f32 v[114:115], v[114:115], v[170:171] neg_lo:[0,1] neg_hi:[0,1]
	s_delay_alu instid0(VALU_DEP_2) | instskip(SKIP_1) | instid1(VALU_DEP_1)
	v_pk_fma_f32 v[170:171], v[168:169], v[162:163], v[166:167] op_sel:[0,0,1] op_sel_hi:[1,1,0] neg_lo:[0,0,1] neg_hi:[0,0,1]
	v_pk_fma_f32 v[166:167], v[168:169], v[162:163], v[166:167] op_sel:[0,0,1] op_sel_hi:[1,0,0]
	v_mov_b32_e32 v171, v167
	ds_load_2addr_b64 v[166:169], v214 offset0:20 offset1:21
	v_pk_add_f32 v[94:95], v[94:95], v[170:171] neg_lo:[0,1] neg_hi:[0,1]
	s_wait_dscnt 0x0
	v_pk_mul_f32 v[170:171], v[166:167], v[164:165] op_sel:[0,1]
	s_delay_alu instid0(VALU_DEP_1) | instskip(SKIP_1) | instid1(VALU_DEP_1)
	v_pk_fma_f32 v[172:173], v[166:167], v[162:163], v[170:171] op_sel:[0,0,1] op_sel_hi:[1,1,0] neg_lo:[0,0,1] neg_hi:[0,0,1]
	v_pk_fma_f32 v[166:167], v[166:167], v[162:163], v[170:171] op_sel:[0,0,1] op_sel_hi:[1,0,0]
	v_mov_b32_e32 v173, v167
	v_pk_mul_f32 v[166:167], v[168:169], v[164:165] op_sel:[0,1]
	s_delay_alu instid0(VALU_DEP_2) | instskip(NEXT) | instid1(VALU_DEP_2)
	v_pk_add_f32 v[128:129], v[128:129], v[172:173] neg_lo:[0,1] neg_hi:[0,1]
	v_pk_fma_f32 v[170:171], v[168:169], v[162:163], v[166:167] op_sel:[0,0,1] op_sel_hi:[1,1,0] neg_lo:[0,0,1] neg_hi:[0,0,1]
	v_pk_fma_f32 v[166:167], v[168:169], v[162:163], v[166:167] op_sel:[0,0,1] op_sel_hi:[1,0,0]
	s_delay_alu instid0(VALU_DEP_1) | instskip(SKIP_4) | instid1(VALU_DEP_1)
	v_mov_b32_e32 v171, v167
	ds_load_2addr_b64 v[166:169], v214 offset0:22 offset1:23
	v_pk_add_f32 v[124:125], v[124:125], v[170:171] neg_lo:[0,1] neg_hi:[0,1]
	s_wait_dscnt 0x0
	v_pk_mul_f32 v[170:171], v[166:167], v[164:165] op_sel:[0,1]
	v_pk_fma_f32 v[172:173], v[166:167], v[162:163], v[170:171] op_sel:[0,0,1] op_sel_hi:[1,1,0] neg_lo:[0,0,1] neg_hi:[0,0,1]
	v_pk_fma_f32 v[166:167], v[166:167], v[162:163], v[170:171] op_sel:[0,0,1] op_sel_hi:[1,0,0]
	v_dual_mul_f32 v170, v169, v165 :: v_dual_mov_b32 v166, v169
	s_delay_alu instid0(VALU_DEP_2) | instskip(NEXT) | instid1(VALU_DEP_2)
	v_dual_mov_b32 v173, v167 :: v_dual_mov_b32 v167, v168
	v_pk_fma_f32 v[170:171], v[168:169], v[38:39], v[170:171] op_sel_hi:[1,1,0] neg_lo:[0,0,1] neg_hi:[0,0,1]
	v_mul_f32_e32 v168, v169, v162
	s_delay_alu instid0(VALU_DEP_3) | instskip(NEXT) | instid1(VALU_DEP_2)
	v_pk_add_f32 v[126:127], v[126:127], v[172:173] neg_lo:[0,1] neg_hi:[0,1]
	v_pk_fma_f32 v[166:167], v[166:167], v[38:39], v[168:169] op_sel_hi:[1,1,0]
	s_delay_alu instid0(VALU_DEP_1) | instskip(SKIP_4) | instid1(VALU_DEP_1)
	v_mov_b32_e32 v171, v167
	ds_load_2addr_b64 v[166:169], v214 offset0:24 offset1:25
	v_pk_add_f32 v[138:139], v[138:139], v[170:171] neg_lo:[0,1] neg_hi:[0,1]
	s_wait_dscnt 0x0
	v_pk_mul_f32 v[170:171], v[166:167], v[164:165] op_sel:[0,1]
	v_pk_fma_f32 v[172:173], v[166:167], v[162:163], v[170:171] op_sel:[0,0,1] op_sel_hi:[1,1,0] neg_lo:[0,0,1] neg_hi:[0,0,1]
	v_pk_fma_f32 v[166:167], v[166:167], v[162:163], v[170:171] op_sel:[0,0,1] op_sel_hi:[1,0,0]
	s_delay_alu instid0(VALU_DEP_1) | instskip(SKIP_1) | instid1(VALU_DEP_1)
	v_mov_b32_e32 v173, v167
	v_pk_mul_f32 v[166:167], v[168:169], v[164:165] op_sel:[0,1]
	v_pk_fma_f32 v[170:171], v[168:169], v[162:163], v[166:167] op_sel:[0,0,1] op_sel_hi:[1,1,0] neg_lo:[0,0,1] neg_hi:[0,0,1]
	v_pk_fma_f32 v[166:167], v[168:169], v[162:163], v[166:167] op_sel:[0,0,1] op_sel_hi:[1,0,0]
	s_delay_alu instid0(VALU_DEP_1)
	v_mov_b32_e32 v171, v167
	ds_load_2addr_b64 v[166:169], v214 offset0:26 offset1:27
	v_pk_add_f32 v[136:137], v[136:137], v[172:173] neg_lo:[0,1] neg_hi:[0,1]
	v_pk_add_f32 v[134:135], v[134:135], v[170:171] neg_lo:[0,1] neg_hi:[0,1]
	s_wait_dscnt 0x0
	v_pk_mul_f32 v[170:171], v[166:167], v[164:165] op_sel:[0,1]
	s_delay_alu instid0(VALU_DEP_1) | instskip(SKIP_1) | instid1(VALU_DEP_1)
	v_pk_fma_f32 v[172:173], v[166:167], v[162:163], v[170:171] op_sel:[0,0,1] op_sel_hi:[1,1,0] neg_lo:[0,0,1] neg_hi:[0,0,1]
	v_pk_fma_f32 v[166:167], v[166:167], v[162:163], v[170:171] op_sel:[0,0,1] op_sel_hi:[1,0,0]
	v_mov_b32_e32 v173, v167
	v_pk_mul_f32 v[166:167], v[168:169], v[164:165] op_sel:[0,1]
	s_delay_alu instid0(VALU_DEP_1) | instskip(SKIP_1) | instid1(VALU_DEP_1)
	v_pk_fma_f32 v[170:171], v[168:169], v[162:163], v[166:167] op_sel:[0,0,1] op_sel_hi:[1,1,0] neg_lo:[0,0,1] neg_hi:[0,0,1]
	v_pk_fma_f32 v[166:167], v[168:169], v[162:163], v[166:167] op_sel:[0,0,1] op_sel_hi:[1,0,0]
	v_mov_b32_e32 v171, v167
	ds_load_2addr_b64 v[166:169], v214 offset0:28 offset1:29
	v_pk_add_f32 v[100:101], v[100:101], v[172:173] neg_lo:[0,1] neg_hi:[0,1]
	v_pk_add_f32 v[98:99], v[98:99], v[170:171] neg_lo:[0,1] neg_hi:[0,1]
	s_wait_dscnt 0x0
	v_dual_mul_f32 v170, v167, v165 :: v_dual_mul_f32 v172, v167, v162
	s_delay_alu instid0(VALU_DEP_1) | instskip(NEXT) | instid1(VALU_DEP_2)
	v_pk_fma_f32 v[170:171], v[166:167], v[38:39], v[170:171] op_sel_hi:[1,1,0] neg_lo:[0,0,1] neg_hi:[0,0,1]
	v_pk_fma_f32 v[166:167], v[166:167], v[38:39], v[172:173] op_sel:[1,0,0] op_sel_hi:[0,1,0]
	s_delay_alu instid0(VALU_DEP_1) | instskip(SKIP_1) | instid1(VALU_DEP_2)
	v_mov_b32_e32 v171, v167
	v_pk_mul_f32 v[166:167], v[168:169], v[164:165] op_sel:[0,1]
	v_pk_add_f32 v[120:121], v[120:121], v[170:171] neg_lo:[0,1] neg_hi:[0,1]
	s_delay_alu instid0(VALU_DEP_2) | instskip(SKIP_1) | instid1(VALU_DEP_1)
	v_pk_fma_f32 v[170:171], v[168:169], v[162:163], v[166:167] op_sel:[0,0,1] op_sel_hi:[1,1,0] neg_lo:[0,0,1] neg_hi:[0,0,1]
	v_pk_fma_f32 v[166:167], v[168:169], v[162:163], v[166:167] op_sel:[0,0,1] op_sel_hi:[1,0,0]
	v_mov_b32_e32 v171, v167
	ds_load_2addr_b64 v[166:169], v214 offset0:30 offset1:31
	v_pk_add_f32 v[116:117], v[116:117], v[170:171] neg_lo:[0,1] neg_hi:[0,1]
	s_wait_dscnt 0x0
	v_pk_mul_f32 v[170:171], v[166:167], v[164:165] op_sel:[0,1]
	s_delay_alu instid0(VALU_DEP_1) | instskip(SKIP_1) | instid1(VALU_DEP_1)
	v_pk_fma_f32 v[172:173], v[166:167], v[162:163], v[170:171] op_sel:[0,0,1] op_sel_hi:[1,1,0] neg_lo:[0,0,1] neg_hi:[0,0,1]
	v_pk_fma_f32 v[166:167], v[166:167], v[162:163], v[170:171] op_sel:[0,0,1] op_sel_hi:[1,0,0]
	v_mov_b32_e32 v173, v167
	v_pk_mul_f32 v[166:167], v[168:169], v[164:165] op_sel:[0,1]
	s_delay_alu instid0(VALU_DEP_2) | instskip(NEXT) | instid1(VALU_DEP_2)
	v_pk_add_f32 v[118:119], v[118:119], v[172:173] neg_lo:[0,1] neg_hi:[0,1]
	v_pk_fma_f32 v[170:171], v[168:169], v[162:163], v[166:167] op_sel:[0,0,1] op_sel_hi:[1,1,0] neg_lo:[0,0,1] neg_hi:[0,0,1]
	v_pk_fma_f32 v[166:167], v[168:169], v[162:163], v[166:167] op_sel:[0,0,1] op_sel_hi:[1,0,0]
	s_delay_alu instid0(VALU_DEP_1) | instskip(SKIP_4) | instid1(VALU_DEP_1)
	v_mov_b32_e32 v171, v167
	ds_load_2addr_b64 v[166:169], v214 offset0:32 offset1:33
	v_pk_add_f32 v[132:133], v[132:133], v[170:171] neg_lo:[0,1] neg_hi:[0,1]
	s_wait_dscnt 0x0
	v_pk_mul_f32 v[170:171], v[166:167], v[164:165] op_sel:[0,1]
	v_pk_fma_f32 v[172:173], v[166:167], v[162:163], v[170:171] op_sel:[0,0,1] op_sel_hi:[1,1,0] neg_lo:[0,0,1] neg_hi:[0,0,1]
	v_pk_fma_f32 v[166:167], v[166:167], v[162:163], v[170:171] op_sel:[0,0,1] op_sel_hi:[1,0,0]
	v_dual_mul_f32 v170, v169, v165 :: v_dual_mov_b32 v166, v169
	s_delay_alu instid0(VALU_DEP_2) | instskip(NEXT) | instid1(VALU_DEP_2)
	v_dual_mov_b32 v173, v167 :: v_dual_mov_b32 v167, v168
	v_pk_fma_f32 v[170:171], v[168:169], v[38:39], v[170:171] op_sel_hi:[1,1,0] neg_lo:[0,0,1] neg_hi:[0,0,1]
	v_mul_f32_e32 v168, v169, v162
	s_delay_alu instid0(VALU_DEP_3) | instskip(NEXT) | instid1(VALU_DEP_2)
	v_pk_add_f32 v[130:131], v[130:131], v[172:173] neg_lo:[0,1] neg_hi:[0,1]
	v_pk_fma_f32 v[166:167], v[166:167], v[38:39], v[168:169] op_sel_hi:[1,1,0]
	s_delay_alu instid0(VALU_DEP_1) | instskip(SKIP_4) | instid1(VALU_DEP_1)
	v_mov_b32_e32 v171, v167
	ds_load_b64 v[166:167], v214 offset:272
	v_pk_add_f32 v[122:123], v[122:123], v[170:171] neg_lo:[0,1] neg_hi:[0,1]
	s_wait_dscnt 0x0
	v_pk_mul_f32 v[164:165], v[166:167], v[164:165] op_sel:[0,1]
	v_pk_fma_f32 v[168:169], v[166:167], v[162:163], v[164:165] op_sel:[0,0,1] op_sel_hi:[1,1,0] neg_lo:[0,0,1] neg_hi:[0,0,1]
	v_pk_fma_f32 v[162:163], v[166:167], v[162:163], v[164:165] op_sel:[0,0,1] op_sel_hi:[1,0,0]
	s_delay_alu instid0(VALU_DEP_1) | instskip(NEXT) | instid1(VALU_DEP_1)
	v_mov_b32_e32 v169, v163
	v_pk_add_f32 v[140:141], v[140:141], v[168:169] neg_lo:[0,1] neg_hi:[0,1]
.LBB69_91:
	s_or_b32 exec_lo, exec_lo, s1
	s_delay_alu instid0(SALU_CYCLE_1)
	s_mov_b32 s2, exec_lo
	s_wait_dscnt 0x0
	s_barrier_signal -1
	s_barrier_wait -1
	v_cmpx_eq_u32_e32 10, v212
	s_cbranch_execz .LBB69_98
; %bb.92:
	ds_store_b64 v213, v[40:41]
	ds_store_2addr_b64 v214, v[36:37], v[62:63] offset0:11 offset1:12
	ds_store_2addr_b64 v214, v[58:59], v[60:61] offset0:13 offset1:14
	;; [unrolled: 1-line block ×12, first 2 shown]
	ds_load_b64 v[162:163], v213
	s_wait_dscnt 0x0
	v_cmp_neq_f32_e32 vcc_lo, 0, v162
	v_cmp_neq_f32_e64 s1, 0, v163
	s_or_b32 s1, vcc_lo, s1
	s_delay_alu instid0(SALU_CYCLE_1)
	s_and_b32 exec_lo, exec_lo, s1
	s_cbranch_execz .LBB69_98
; %bb.93:
	v_cmp_ngt_f32_e64 s1, |v162|, |v163|
                                        ; implicit-def: $vgpr164_vgpr165
	s_and_saveexec_b32 s4, s1
	s_delay_alu instid0(SALU_CYCLE_1)
	s_xor_b32 s1, exec_lo, s4
	s_cbranch_execz .LBB69_95
; %bb.94:
	v_div_scale_f32 v164, null, v163, v163, v162
	v_div_scale_f32 v167, vcc_lo, v162, v163, v162
	s_delay_alu instid0(VALU_DEP_2) | instskip(SKIP_1) | instid1(TRANS32_DEP_1)
	v_rcp_f32_e32 v165, v164
	v_nop
	v_fma_f32 v166, -v164, v165, 1.0
	s_delay_alu instid0(VALU_DEP_1) | instskip(NEXT) | instid1(VALU_DEP_1)
	v_fmac_f32_e32 v165, v166, v165
	v_mul_f32_e32 v166, v167, v165
	s_delay_alu instid0(VALU_DEP_1) | instskip(NEXT) | instid1(VALU_DEP_1)
	v_fma_f32 v168, -v164, v166, v167
	v_fmac_f32_e32 v166, v168, v165
	s_delay_alu instid0(VALU_DEP_1) | instskip(NEXT) | instid1(VALU_DEP_1)
	v_fma_f32 v164, -v164, v166, v167
	v_div_fmas_f32 v164, v164, v165, v166
	s_delay_alu instid0(VALU_DEP_1) | instskip(NEXT) | instid1(VALU_DEP_1)
	v_div_fixup_f32 v164, v164, v163, v162
	v_fmac_f32_e32 v163, v162, v164
	s_delay_alu instid0(VALU_DEP_1) | instskip(SKIP_1) | instid1(VALU_DEP_2)
	v_div_scale_f32 v162, null, v163, v163, 1.0
	v_div_scale_f32 v167, vcc_lo, 1.0, v163, 1.0
	v_rcp_f32_e32 v165, v162
	v_nop
	s_delay_alu instid0(TRANS32_DEP_1) | instskip(NEXT) | instid1(VALU_DEP_1)
	v_fma_f32 v166, -v162, v165, 1.0
	v_fmac_f32_e32 v165, v166, v165
	s_delay_alu instid0(VALU_DEP_1) | instskip(NEXT) | instid1(VALU_DEP_1)
	v_mul_f32_e32 v166, v167, v165
	v_fma_f32 v168, -v162, v166, v167
	s_delay_alu instid0(VALU_DEP_1) | instskip(NEXT) | instid1(VALU_DEP_1)
	v_fmac_f32_e32 v166, v168, v165
	v_fma_f32 v162, -v162, v166, v167
	s_delay_alu instid0(VALU_DEP_1) | instskip(NEXT) | instid1(VALU_DEP_1)
	v_div_fmas_f32 v162, v162, v165, v166
	v_div_fixup_f32 v162, v162, v163, 1.0
	s_delay_alu instid0(VALU_DEP_1)
	v_mul_f32_e32 v164, v164, v162
	v_xor_b32_e32 v165, 0x80000000, v162
                                        ; implicit-def: $vgpr162_vgpr163
.LBB69_95:
	s_and_not1_saveexec_b32 s1, s1
	s_cbranch_execz .LBB69_97
; %bb.96:
	v_div_scale_f32 v164, null, v162, v162, v163
	v_div_scale_f32 v167, vcc_lo, v163, v162, v163
	s_delay_alu instid0(VALU_DEP_2) | instskip(SKIP_1) | instid1(TRANS32_DEP_1)
	v_rcp_f32_e32 v165, v164
	v_nop
	v_fma_f32 v166, -v164, v165, 1.0
	s_delay_alu instid0(VALU_DEP_1) | instskip(NEXT) | instid1(VALU_DEP_1)
	v_fmac_f32_e32 v165, v166, v165
	v_mul_f32_e32 v166, v167, v165
	s_delay_alu instid0(VALU_DEP_1) | instskip(NEXT) | instid1(VALU_DEP_1)
	v_fma_f32 v168, -v164, v166, v167
	v_fmac_f32_e32 v166, v168, v165
	s_delay_alu instid0(VALU_DEP_1) | instskip(NEXT) | instid1(VALU_DEP_1)
	v_fma_f32 v164, -v164, v166, v167
	v_div_fmas_f32 v164, v164, v165, v166
	s_delay_alu instid0(VALU_DEP_1) | instskip(NEXT) | instid1(VALU_DEP_1)
	v_div_fixup_f32 v165, v164, v162, v163
	v_fmac_f32_e32 v162, v163, v165
	s_delay_alu instid0(VALU_DEP_1) | instskip(NEXT) | instid1(VALU_DEP_1)
	v_div_scale_f32 v163, null, v162, v162, 1.0
	v_rcp_f32_e32 v164, v163
	v_nop
	s_delay_alu instid0(TRANS32_DEP_1) | instskip(NEXT) | instid1(VALU_DEP_1)
	v_fma_f32 v166, -v163, v164, 1.0
	v_fmac_f32_e32 v164, v166, v164
	v_div_scale_f32 v166, vcc_lo, 1.0, v162, 1.0
	s_delay_alu instid0(VALU_DEP_1) | instskip(NEXT) | instid1(VALU_DEP_1)
	v_mul_f32_e32 v167, v166, v164
	v_fma_f32 v168, -v163, v167, v166
	s_delay_alu instid0(VALU_DEP_1) | instskip(NEXT) | instid1(VALU_DEP_1)
	v_fmac_f32_e32 v167, v168, v164
	v_fma_f32 v163, -v163, v167, v166
	s_delay_alu instid0(VALU_DEP_1) | instskip(NEXT) | instid1(VALU_DEP_1)
	v_div_fmas_f32 v163, v163, v164, v167
	v_div_fixup_f32 v164, v163, v162, 1.0
	s_delay_alu instid0(VALU_DEP_1)
	v_mul_f32_e64 v165, v165, -v164
.LBB69_97:
	s_or_b32 exec_lo, exec_lo, s1
	ds_store_b64 v213, v[164:165]
.LBB69_98:
	s_or_b32 exec_lo, exec_lo, s2
	s_wait_dscnt 0x0
	s_barrier_signal -1
	s_barrier_wait -1
	ds_load_b64 v[162:163], v213
	s_mov_b32 s1, exec_lo
	v_cmpx_lt_u32_e32 10, v212
	s_cbranch_execz .LBB69_100
; %bb.99:
	ds_load_2addr_b64 v[168:171], v214 offset0:11 offset1:12
	s_wait_dscnt 0x1
	v_pk_mul_f32 v[166:167], v[162:163], v[40:41] op_sel:[1,1] op_sel_hi:[0,1]
	s_delay_alu instid0(VALU_DEP_1) | instskip(SKIP_1) | instid1(VALU_DEP_1)
	v_pk_fma_f32 v[164:165], v[162:163], v[40:41], v[166:167] op_sel_hi:[1,0,1] neg_lo:[0,0,1] neg_hi:[0,0,1]
	v_pk_fma_f32 v[166:167], v[162:163], v[40:41], v[166:167] op_sel_hi:[1,0,1]
	v_dual_mov_b32 v40, v164 :: v_dual_mov_b32 v41, v167
	s_wait_dscnt 0x0
	s_delay_alu instid0(VALU_DEP_2) | instskip(NEXT) | instid1(VALU_DEP_1)
	v_pk_mul_f32 v[172:173], v[168:169], v[166:167] op_sel:[0,1]
	v_pk_fma_f32 v[174:175], v[168:169], v[164:165], v[172:173] op_sel:[0,0,1] op_sel_hi:[1,1,0] neg_lo:[0,0,1] neg_hi:[0,0,1]
	v_pk_fma_f32 v[168:169], v[168:169], v[164:165], v[172:173] op_sel:[0,0,1] op_sel_hi:[1,0,0]
	s_delay_alu instid0(VALU_DEP_1) | instskip(SKIP_1) | instid1(VALU_DEP_1)
	v_mov_b32_e32 v175, v169
	v_pk_mul_f32 v[168:169], v[170:171], v[166:167] op_sel:[0,1]
	v_pk_fma_f32 v[172:173], v[170:171], v[164:165], v[168:169] op_sel:[0,0,1] op_sel_hi:[1,1,0] neg_lo:[0,0,1] neg_hi:[0,0,1]
	v_pk_fma_f32 v[168:169], v[170:171], v[164:165], v[168:169] op_sel:[0,0,1] op_sel_hi:[1,0,0]
	s_delay_alu instid0(VALU_DEP_1)
	v_mov_b32_e32 v173, v169
	ds_load_2addr_b64 v[168:171], v214 offset0:13 offset1:14
	v_pk_add_f32 v[36:37], v[36:37], v[174:175] neg_lo:[0,1] neg_hi:[0,1]
	v_pk_add_f32 v[62:63], v[62:63], v[172:173] neg_lo:[0,1] neg_hi:[0,1]
	s_wait_dscnt 0x0
	v_pk_mul_f32 v[172:173], v[168:169], v[166:167] op_sel:[0,1]
	s_delay_alu instid0(VALU_DEP_1) | instskip(SKIP_2) | instid1(VALU_DEP_2)
	v_pk_fma_f32 v[174:175], v[168:169], v[164:165], v[172:173] op_sel:[0,0,1] op_sel_hi:[1,1,0] neg_lo:[0,0,1] neg_hi:[0,0,1]
	v_pk_fma_f32 v[168:169], v[168:169], v[164:165], v[172:173] op_sel:[0,0,1] op_sel_hi:[1,0,0]
	v_dual_mul_f32 v172, v171, v167 :: v_dual_mov_b32 v168, v171
	v_dual_mov_b32 v175, v169 :: v_dual_mov_b32 v169, v170
	s_delay_alu instid0(VALU_DEP_2) | instskip(SKIP_1) | instid1(VALU_DEP_3)
	v_pk_fma_f32 v[172:173], v[170:171], v[40:41], v[172:173] op_sel_hi:[1,1,0] neg_lo:[0,0,1] neg_hi:[0,0,1]
	v_mul_f32_e32 v170, v171, v164
	v_pk_add_f32 v[58:59], v[58:59], v[174:175] neg_lo:[0,1] neg_hi:[0,1]
	s_delay_alu instid0(VALU_DEP_2) | instskip(NEXT) | instid1(VALU_DEP_1)
	v_pk_fma_f32 v[168:169], v[168:169], v[40:41], v[170:171] op_sel_hi:[1,1,0]
	v_mov_b32_e32 v173, v169
	ds_load_2addr_b64 v[168:171], v214 offset0:15 offset1:16
	v_pk_add_f32 v[60:61], v[60:61], v[172:173] neg_lo:[0,1] neg_hi:[0,1]
	s_wait_dscnt 0x0
	v_pk_mul_f32 v[172:173], v[168:169], v[166:167] op_sel:[0,1]
	s_delay_alu instid0(VALU_DEP_1) | instskip(SKIP_1) | instid1(VALU_DEP_1)
	v_pk_fma_f32 v[174:175], v[168:169], v[164:165], v[172:173] op_sel:[0,0,1] op_sel_hi:[1,1,0] neg_lo:[0,0,1] neg_hi:[0,0,1]
	v_pk_fma_f32 v[168:169], v[168:169], v[164:165], v[172:173] op_sel:[0,0,1] op_sel_hi:[1,0,0]
	v_mov_b32_e32 v175, v169
	v_pk_mul_f32 v[168:169], v[170:171], v[166:167] op_sel:[0,1]
	s_delay_alu instid0(VALU_DEP_1) | instskip(SKIP_1) | instid1(VALU_DEP_1)
	v_pk_fma_f32 v[172:173], v[170:171], v[164:165], v[168:169] op_sel:[0,0,1] op_sel_hi:[1,1,0] neg_lo:[0,0,1] neg_hi:[0,0,1]
	v_pk_fma_f32 v[168:169], v[170:171], v[164:165], v[168:169] op_sel:[0,0,1] op_sel_hi:[1,0,0]
	v_mov_b32_e32 v173, v169
	ds_load_2addr_b64 v[168:171], v214 offset0:17 offset1:18
	v_pk_add_f32 v[56:57], v[56:57], v[174:175] neg_lo:[0,1] neg_hi:[0,1]
	v_pk_add_f32 v[72:73], v[72:73], v[172:173] neg_lo:[0,1] neg_hi:[0,1]
	s_wait_dscnt 0x0
	v_pk_mul_f32 v[172:173], v[168:169], v[166:167] op_sel:[0,1]
	s_delay_alu instid0(VALU_DEP_1) | instskip(SKIP_1) | instid1(VALU_DEP_1)
	v_pk_fma_f32 v[174:175], v[168:169], v[164:165], v[172:173] op_sel:[0,0,1] op_sel_hi:[1,1,0] neg_lo:[0,0,1] neg_hi:[0,0,1]
	v_pk_fma_f32 v[168:169], v[168:169], v[164:165], v[172:173] op_sel:[0,0,1] op_sel_hi:[1,0,0]
	v_mov_b32_e32 v175, v169
	v_pk_mul_f32 v[168:169], v[170:171], v[166:167] op_sel:[0,1]
	s_delay_alu instid0(VALU_DEP_1) | instskip(SKIP_1) | instid1(VALU_DEP_1)
	v_pk_fma_f32 v[172:173], v[170:171], v[164:165], v[168:169] op_sel:[0,0,1] op_sel_hi:[1,1,0] neg_lo:[0,0,1] neg_hi:[0,0,1]
	v_pk_fma_f32 v[168:169], v[170:171], v[164:165], v[168:169] op_sel:[0,0,1] op_sel_hi:[1,0,0]
	v_mov_b32_e32 v173, v169
	ds_load_2addr_b64 v[168:171], v214 offset0:19 offset1:20
	v_pk_add_f32 v[112:113], v[112:113], v[174:175] neg_lo:[0,1] neg_hi:[0,1]
	v_pk_add_f32 v[114:115], v[114:115], v[172:173] neg_lo:[0,1] neg_hi:[0,1]
	s_wait_dscnt 0x0
	v_dual_mul_f32 v172, v169, v167 :: v_dual_mul_f32 v174, v169, v164
	s_delay_alu instid0(VALU_DEP_1) | instskip(NEXT) | instid1(VALU_DEP_2)
	v_pk_fma_f32 v[172:173], v[168:169], v[40:41], v[172:173] op_sel_hi:[1,1,0] neg_lo:[0,0,1] neg_hi:[0,0,1]
	v_pk_fma_f32 v[168:169], v[168:169], v[40:41], v[174:175] op_sel:[1,0,0] op_sel_hi:[0,1,0]
	s_delay_alu instid0(VALU_DEP_1) | instskip(SKIP_1) | instid1(VALU_DEP_2)
	v_mov_b32_e32 v173, v169
	v_pk_mul_f32 v[168:169], v[170:171], v[166:167] op_sel:[0,1]
	v_pk_add_f32 v[94:95], v[94:95], v[172:173] neg_lo:[0,1] neg_hi:[0,1]
	s_delay_alu instid0(VALU_DEP_2) | instskip(SKIP_1) | instid1(VALU_DEP_1)
	v_pk_fma_f32 v[172:173], v[170:171], v[164:165], v[168:169] op_sel:[0,0,1] op_sel_hi:[1,1,0] neg_lo:[0,0,1] neg_hi:[0,0,1]
	v_pk_fma_f32 v[168:169], v[170:171], v[164:165], v[168:169] op_sel:[0,0,1] op_sel_hi:[1,0,0]
	v_mov_b32_e32 v173, v169
	ds_load_2addr_b64 v[168:171], v214 offset0:21 offset1:22
	v_pk_add_f32 v[128:129], v[128:129], v[172:173] neg_lo:[0,1] neg_hi:[0,1]
	s_wait_dscnt 0x0
	v_pk_mul_f32 v[172:173], v[168:169], v[166:167] op_sel:[0,1]
	s_delay_alu instid0(VALU_DEP_1) | instskip(SKIP_1) | instid1(VALU_DEP_1)
	v_pk_fma_f32 v[174:175], v[168:169], v[164:165], v[172:173] op_sel:[0,0,1] op_sel_hi:[1,1,0] neg_lo:[0,0,1] neg_hi:[0,0,1]
	v_pk_fma_f32 v[168:169], v[168:169], v[164:165], v[172:173] op_sel:[0,0,1] op_sel_hi:[1,0,0]
	v_mov_b32_e32 v175, v169
	v_pk_mul_f32 v[168:169], v[170:171], v[166:167] op_sel:[0,1]
	s_delay_alu instid0(VALU_DEP_2) | instskip(NEXT) | instid1(VALU_DEP_2)
	v_pk_add_f32 v[124:125], v[124:125], v[174:175] neg_lo:[0,1] neg_hi:[0,1]
	v_pk_fma_f32 v[172:173], v[170:171], v[164:165], v[168:169] op_sel:[0,0,1] op_sel_hi:[1,1,0] neg_lo:[0,0,1] neg_hi:[0,0,1]
	v_pk_fma_f32 v[168:169], v[170:171], v[164:165], v[168:169] op_sel:[0,0,1] op_sel_hi:[1,0,0]
	s_delay_alu instid0(VALU_DEP_1) | instskip(SKIP_4) | instid1(VALU_DEP_1)
	v_mov_b32_e32 v173, v169
	ds_load_2addr_b64 v[168:171], v214 offset0:23 offset1:24
	v_pk_add_f32 v[126:127], v[126:127], v[172:173] neg_lo:[0,1] neg_hi:[0,1]
	s_wait_dscnt 0x0
	v_pk_mul_f32 v[172:173], v[168:169], v[166:167] op_sel:[0,1]
	v_pk_fma_f32 v[174:175], v[168:169], v[164:165], v[172:173] op_sel:[0,0,1] op_sel_hi:[1,1,0] neg_lo:[0,0,1] neg_hi:[0,0,1]
	v_pk_fma_f32 v[168:169], v[168:169], v[164:165], v[172:173] op_sel:[0,0,1] op_sel_hi:[1,0,0]
	v_dual_mul_f32 v172, v171, v167 :: v_dual_mov_b32 v168, v171
	s_delay_alu instid0(VALU_DEP_2) | instskip(NEXT) | instid1(VALU_DEP_2)
	v_dual_mov_b32 v175, v169 :: v_dual_mov_b32 v169, v170
	v_pk_fma_f32 v[172:173], v[170:171], v[40:41], v[172:173] op_sel_hi:[1,1,0] neg_lo:[0,0,1] neg_hi:[0,0,1]
	v_mul_f32_e32 v170, v171, v164
	s_delay_alu instid0(VALU_DEP_3) | instskip(NEXT) | instid1(VALU_DEP_2)
	v_pk_add_f32 v[138:139], v[138:139], v[174:175] neg_lo:[0,1] neg_hi:[0,1]
	v_pk_fma_f32 v[168:169], v[168:169], v[40:41], v[170:171] op_sel_hi:[1,1,0]
	s_delay_alu instid0(VALU_DEP_1) | instskip(SKIP_4) | instid1(VALU_DEP_1)
	v_mov_b32_e32 v173, v169
	ds_load_2addr_b64 v[168:171], v214 offset0:25 offset1:26
	v_pk_add_f32 v[136:137], v[136:137], v[172:173] neg_lo:[0,1] neg_hi:[0,1]
	s_wait_dscnt 0x0
	v_pk_mul_f32 v[172:173], v[168:169], v[166:167] op_sel:[0,1]
	v_pk_fma_f32 v[174:175], v[168:169], v[164:165], v[172:173] op_sel:[0,0,1] op_sel_hi:[1,1,0] neg_lo:[0,0,1] neg_hi:[0,0,1]
	v_pk_fma_f32 v[168:169], v[168:169], v[164:165], v[172:173] op_sel:[0,0,1] op_sel_hi:[1,0,0]
	s_delay_alu instid0(VALU_DEP_1) | instskip(SKIP_1) | instid1(VALU_DEP_1)
	v_mov_b32_e32 v175, v169
	v_pk_mul_f32 v[168:169], v[170:171], v[166:167] op_sel:[0,1]
	v_pk_fma_f32 v[172:173], v[170:171], v[164:165], v[168:169] op_sel:[0,0,1] op_sel_hi:[1,1,0] neg_lo:[0,0,1] neg_hi:[0,0,1]
	v_pk_fma_f32 v[168:169], v[170:171], v[164:165], v[168:169] op_sel:[0,0,1] op_sel_hi:[1,0,0]
	s_delay_alu instid0(VALU_DEP_1)
	v_mov_b32_e32 v173, v169
	ds_load_2addr_b64 v[168:171], v214 offset0:27 offset1:28
	v_pk_add_f32 v[134:135], v[134:135], v[174:175] neg_lo:[0,1] neg_hi:[0,1]
	v_pk_add_f32 v[100:101], v[100:101], v[172:173] neg_lo:[0,1] neg_hi:[0,1]
	s_wait_dscnt 0x0
	v_pk_mul_f32 v[172:173], v[168:169], v[166:167] op_sel:[0,1]
	s_delay_alu instid0(VALU_DEP_1) | instskip(SKIP_1) | instid1(VALU_DEP_1)
	v_pk_fma_f32 v[174:175], v[168:169], v[164:165], v[172:173] op_sel:[0,0,1] op_sel_hi:[1,1,0] neg_lo:[0,0,1] neg_hi:[0,0,1]
	v_pk_fma_f32 v[168:169], v[168:169], v[164:165], v[172:173] op_sel:[0,0,1] op_sel_hi:[1,0,0]
	v_mov_b32_e32 v175, v169
	v_pk_mul_f32 v[168:169], v[170:171], v[166:167] op_sel:[0,1]
	s_delay_alu instid0(VALU_DEP_1) | instskip(SKIP_1) | instid1(VALU_DEP_1)
	v_pk_fma_f32 v[172:173], v[170:171], v[164:165], v[168:169] op_sel:[0,0,1] op_sel_hi:[1,1,0] neg_lo:[0,0,1] neg_hi:[0,0,1]
	v_pk_fma_f32 v[168:169], v[170:171], v[164:165], v[168:169] op_sel:[0,0,1] op_sel_hi:[1,0,0]
	v_mov_b32_e32 v173, v169
	ds_load_2addr_b64 v[168:171], v214 offset0:29 offset1:30
	v_pk_add_f32 v[98:99], v[98:99], v[174:175] neg_lo:[0,1] neg_hi:[0,1]
	v_pk_add_f32 v[120:121], v[120:121], v[172:173] neg_lo:[0,1] neg_hi:[0,1]
	s_wait_dscnt 0x0
	v_dual_mul_f32 v172, v169, v167 :: v_dual_mul_f32 v174, v169, v164
	s_delay_alu instid0(VALU_DEP_1) | instskip(NEXT) | instid1(VALU_DEP_2)
	v_pk_fma_f32 v[172:173], v[168:169], v[40:41], v[172:173] op_sel_hi:[1,1,0] neg_lo:[0,0,1] neg_hi:[0,0,1]
	v_pk_fma_f32 v[168:169], v[168:169], v[40:41], v[174:175] op_sel:[1,0,0] op_sel_hi:[0,1,0]
	s_delay_alu instid0(VALU_DEP_1) | instskip(SKIP_1) | instid1(VALU_DEP_2)
	v_mov_b32_e32 v173, v169
	v_pk_mul_f32 v[168:169], v[170:171], v[166:167] op_sel:[0,1]
	v_pk_add_f32 v[116:117], v[116:117], v[172:173] neg_lo:[0,1] neg_hi:[0,1]
	s_delay_alu instid0(VALU_DEP_2) | instskip(SKIP_1) | instid1(VALU_DEP_1)
	v_pk_fma_f32 v[172:173], v[170:171], v[164:165], v[168:169] op_sel:[0,0,1] op_sel_hi:[1,1,0] neg_lo:[0,0,1] neg_hi:[0,0,1]
	v_pk_fma_f32 v[168:169], v[170:171], v[164:165], v[168:169] op_sel:[0,0,1] op_sel_hi:[1,0,0]
	v_mov_b32_e32 v173, v169
	ds_load_2addr_b64 v[168:171], v214 offset0:31 offset1:32
	v_pk_add_f32 v[118:119], v[118:119], v[172:173] neg_lo:[0,1] neg_hi:[0,1]
	s_wait_dscnt 0x0
	v_pk_mul_f32 v[172:173], v[168:169], v[166:167] op_sel:[0,1]
	s_delay_alu instid0(VALU_DEP_1) | instskip(SKIP_1) | instid1(VALU_DEP_1)
	v_pk_fma_f32 v[174:175], v[168:169], v[164:165], v[172:173] op_sel:[0,0,1] op_sel_hi:[1,1,0] neg_lo:[0,0,1] neg_hi:[0,0,1]
	v_pk_fma_f32 v[168:169], v[168:169], v[164:165], v[172:173] op_sel:[0,0,1] op_sel_hi:[1,0,0]
	v_mov_b32_e32 v175, v169
	v_pk_mul_f32 v[168:169], v[170:171], v[166:167] op_sel:[0,1]
	s_delay_alu instid0(VALU_DEP_2) | instskip(NEXT) | instid1(VALU_DEP_2)
	v_pk_add_f32 v[132:133], v[132:133], v[174:175] neg_lo:[0,1] neg_hi:[0,1]
	v_pk_fma_f32 v[172:173], v[170:171], v[164:165], v[168:169] op_sel:[0,0,1] op_sel_hi:[1,1,0] neg_lo:[0,0,1] neg_hi:[0,0,1]
	v_pk_fma_f32 v[168:169], v[170:171], v[164:165], v[168:169] op_sel:[0,0,1] op_sel_hi:[1,0,0]
	s_delay_alu instid0(VALU_DEP_1)
	v_mov_b32_e32 v173, v169
	ds_load_2addr_b64 v[168:171], v214 offset0:33 offset1:34
	v_pk_add_f32 v[130:131], v[130:131], v[172:173] neg_lo:[0,1] neg_hi:[0,1]
	s_wait_dscnt 0x0
	v_pk_mul_f32 v[172:173], v[168:169], v[166:167] op_sel:[0,1]
	v_mul_f32_e32 v166, v171, v167
	s_delay_alu instid0(VALU_DEP_2) | instskip(SKIP_2) | instid1(VALU_DEP_4)
	v_pk_fma_f32 v[174:175], v[168:169], v[164:165], v[172:173] op_sel:[0,0,1] op_sel_hi:[1,1,0] neg_lo:[0,0,1] neg_hi:[0,0,1]
	v_pk_fma_f32 v[168:169], v[168:169], v[164:165], v[172:173] op_sel:[0,0,1] op_sel_hi:[1,0,0]
	v_dual_mov_b32 v168, v171 :: v_dual_mul_f32 v164, v171, v164
	v_pk_fma_f32 v[166:167], v[170:171], v[40:41], v[166:167] op_sel_hi:[1,1,0] neg_lo:[0,0,1] neg_hi:[0,0,1]
	s_delay_alu instid0(VALU_DEP_3) | instskip(NEXT) | instid1(VALU_DEP_1)
	v_dual_mov_b32 v175, v169 :: v_dual_mov_b32 v169, v170
	v_pk_add_f32 v[122:123], v[122:123], v[174:175] neg_lo:[0,1] neg_hi:[0,1]
	s_delay_alu instid0(VALU_DEP_2) | instskip(NEXT) | instid1(VALU_DEP_1)
	v_pk_fma_f32 v[164:165], v[168:169], v[40:41], v[164:165] op_sel_hi:[1,1,0]
	v_mov_b32_e32 v167, v165
	s_delay_alu instid0(VALU_DEP_1)
	v_pk_add_f32 v[140:141], v[140:141], v[166:167] neg_lo:[0,1] neg_hi:[0,1]
.LBB69_100:
	s_or_b32 exec_lo, exec_lo, s1
	s_delay_alu instid0(SALU_CYCLE_1)
	s_mov_b32 s2, exec_lo
	s_wait_dscnt 0x0
	s_barrier_signal -1
	s_barrier_wait -1
	v_cmpx_eq_u32_e32 11, v212
	s_cbranch_execz .LBB69_107
; %bb.101:
	v_dual_mov_b32 v164, v62 :: v_dual_mov_b32 v165, v63
	v_dual_mov_b32 v166, v58 :: v_dual_mov_b32 v167, v59
	;; [unrolled: 1-line block ×10, first 2 shown]
	ds_store_b64 v213, v[36:37]
	v_dual_mov_b32 v184, v126 :: v_dual_mov_b32 v185, v127
	v_dual_mov_b32 v186, v138 :: v_dual_mov_b32 v187, v139
	ds_store_2addr_b64 v214, v[164:165], v[166:167] offset0:12 offset1:13
	ds_store_2addr_b64 v214, v[168:169], v[170:171] offset0:14 offset1:15
	;; [unrolled: 1-line block ×6, first 2 shown]
	v_dual_mov_b32 v164, v136 :: v_dual_mov_b32 v165, v137
	v_dual_mov_b32 v166, v134 :: v_dual_mov_b32 v167, v135
	;; [unrolled: 1-line block ×10, first 2 shown]
	ds_store_2addr_b64 v214, v[164:165], v[166:167] offset0:24 offset1:25
	ds_store_2addr_b64 v214, v[168:169], v[170:171] offset0:26 offset1:27
	;; [unrolled: 1-line block ×5, first 2 shown]
	ds_store_b64 v214, v[140:141] offset:272
	ds_load_b64 v[164:165], v213
	s_wait_dscnt 0x0
	v_cmp_neq_f32_e32 vcc_lo, 0, v164
	v_cmp_neq_f32_e64 s1, 0, v165
	s_or_b32 s1, vcc_lo, s1
	s_delay_alu instid0(SALU_CYCLE_1)
	s_and_b32 exec_lo, exec_lo, s1
	s_cbranch_execz .LBB69_107
; %bb.102:
	v_cmp_ngt_f32_e64 s1, |v164|, |v165|
                                        ; implicit-def: $vgpr166_vgpr167
	s_and_saveexec_b32 s4, s1
	s_delay_alu instid0(SALU_CYCLE_1)
	s_xor_b32 s1, exec_lo, s4
	s_cbranch_execz .LBB69_104
; %bb.103:
	v_div_scale_f32 v166, null, v165, v165, v164
	v_div_scale_f32 v169, vcc_lo, v164, v165, v164
	s_delay_alu instid0(VALU_DEP_2) | instskip(SKIP_1) | instid1(TRANS32_DEP_1)
	v_rcp_f32_e32 v167, v166
	v_nop
	v_fma_f32 v168, -v166, v167, 1.0
	s_delay_alu instid0(VALU_DEP_1) | instskip(NEXT) | instid1(VALU_DEP_1)
	v_fmac_f32_e32 v167, v168, v167
	v_mul_f32_e32 v168, v169, v167
	s_delay_alu instid0(VALU_DEP_1) | instskip(NEXT) | instid1(VALU_DEP_1)
	v_fma_f32 v170, -v166, v168, v169
	v_fmac_f32_e32 v168, v170, v167
	s_delay_alu instid0(VALU_DEP_1) | instskip(NEXT) | instid1(VALU_DEP_1)
	v_fma_f32 v166, -v166, v168, v169
	v_div_fmas_f32 v166, v166, v167, v168
	s_delay_alu instid0(VALU_DEP_1) | instskip(NEXT) | instid1(VALU_DEP_1)
	v_div_fixup_f32 v166, v166, v165, v164
	v_fmac_f32_e32 v165, v164, v166
	s_delay_alu instid0(VALU_DEP_1) | instskip(SKIP_1) | instid1(VALU_DEP_2)
	v_div_scale_f32 v164, null, v165, v165, 1.0
	v_div_scale_f32 v169, vcc_lo, 1.0, v165, 1.0
	v_rcp_f32_e32 v167, v164
	v_nop
	s_delay_alu instid0(TRANS32_DEP_1) | instskip(NEXT) | instid1(VALU_DEP_1)
	v_fma_f32 v168, -v164, v167, 1.0
	v_fmac_f32_e32 v167, v168, v167
	s_delay_alu instid0(VALU_DEP_1) | instskip(NEXT) | instid1(VALU_DEP_1)
	v_mul_f32_e32 v168, v169, v167
	v_fma_f32 v170, -v164, v168, v169
	s_delay_alu instid0(VALU_DEP_1) | instskip(NEXT) | instid1(VALU_DEP_1)
	v_fmac_f32_e32 v168, v170, v167
	v_fma_f32 v164, -v164, v168, v169
	s_delay_alu instid0(VALU_DEP_1) | instskip(NEXT) | instid1(VALU_DEP_1)
	v_div_fmas_f32 v164, v164, v167, v168
	v_div_fixup_f32 v164, v164, v165, 1.0
	s_delay_alu instid0(VALU_DEP_1)
	v_mul_f32_e32 v166, v166, v164
	v_xor_b32_e32 v167, 0x80000000, v164
                                        ; implicit-def: $vgpr164_vgpr165
.LBB69_104:
	s_and_not1_saveexec_b32 s1, s1
	s_cbranch_execz .LBB69_106
; %bb.105:
	v_div_scale_f32 v166, null, v164, v164, v165
	v_div_scale_f32 v169, vcc_lo, v165, v164, v165
	s_delay_alu instid0(VALU_DEP_2) | instskip(SKIP_1) | instid1(TRANS32_DEP_1)
	v_rcp_f32_e32 v167, v166
	v_nop
	v_fma_f32 v168, -v166, v167, 1.0
	s_delay_alu instid0(VALU_DEP_1) | instskip(NEXT) | instid1(VALU_DEP_1)
	v_fmac_f32_e32 v167, v168, v167
	v_mul_f32_e32 v168, v169, v167
	s_delay_alu instid0(VALU_DEP_1) | instskip(NEXT) | instid1(VALU_DEP_1)
	v_fma_f32 v170, -v166, v168, v169
	v_fmac_f32_e32 v168, v170, v167
	s_delay_alu instid0(VALU_DEP_1) | instskip(NEXT) | instid1(VALU_DEP_1)
	v_fma_f32 v166, -v166, v168, v169
	v_div_fmas_f32 v166, v166, v167, v168
	s_delay_alu instid0(VALU_DEP_1) | instskip(NEXT) | instid1(VALU_DEP_1)
	v_div_fixup_f32 v167, v166, v164, v165
	v_fmac_f32_e32 v164, v165, v167
	s_delay_alu instid0(VALU_DEP_1) | instskip(NEXT) | instid1(VALU_DEP_1)
	v_div_scale_f32 v165, null, v164, v164, 1.0
	v_rcp_f32_e32 v166, v165
	v_nop
	s_delay_alu instid0(TRANS32_DEP_1) | instskip(NEXT) | instid1(VALU_DEP_1)
	v_fma_f32 v168, -v165, v166, 1.0
	v_fmac_f32_e32 v166, v168, v166
	v_div_scale_f32 v168, vcc_lo, 1.0, v164, 1.0
	s_delay_alu instid0(VALU_DEP_1) | instskip(NEXT) | instid1(VALU_DEP_1)
	v_mul_f32_e32 v169, v168, v166
	v_fma_f32 v170, -v165, v169, v168
	s_delay_alu instid0(VALU_DEP_1) | instskip(NEXT) | instid1(VALU_DEP_1)
	v_fmac_f32_e32 v169, v170, v166
	v_fma_f32 v165, -v165, v169, v168
	s_delay_alu instid0(VALU_DEP_1) | instskip(NEXT) | instid1(VALU_DEP_1)
	v_div_fmas_f32 v165, v165, v166, v169
	v_div_fixup_f32 v166, v165, v164, 1.0
	s_delay_alu instid0(VALU_DEP_1)
	v_mul_f32_e64 v167, v167, -v166
.LBB69_106:
	s_or_b32 exec_lo, exec_lo, s1
	ds_store_b64 v213, v[166:167]
.LBB69_107:
	s_or_b32 exec_lo, exec_lo, s2
	s_wait_dscnt 0x0
	s_barrier_signal -1
	s_barrier_wait -1
	ds_load_b64 v[164:165], v213
	s_mov_b32 s1, exec_lo
	v_cmpx_lt_u32_e32 11, v212
	s_cbranch_execz .LBB69_109
; %bb.108:
	ds_load_2addr_b64 v[170:173], v214 offset0:12 offset1:13
	s_wait_dscnt 0x1
	v_pk_mul_f32 v[168:169], v[164:165], v[36:37] op_sel:[1,1] op_sel_hi:[0,1]
	s_delay_alu instid0(VALU_DEP_1) | instskip(SKIP_1) | instid1(VALU_DEP_1)
	v_pk_fma_f32 v[166:167], v[164:165], v[36:37], v[168:169] op_sel_hi:[1,0,1] neg_lo:[0,0,1] neg_hi:[0,0,1]
	v_pk_fma_f32 v[168:169], v[164:165], v[36:37], v[168:169] op_sel_hi:[1,0,1]
	v_dual_mov_b32 v36, v166 :: v_dual_mov_b32 v37, v169
	s_wait_dscnt 0x0
	s_delay_alu instid0(VALU_DEP_2) | instskip(NEXT) | instid1(VALU_DEP_1)
	v_pk_mul_f32 v[174:175], v[170:171], v[168:169] op_sel:[0,1]
	v_pk_fma_f32 v[176:177], v[170:171], v[166:167], v[174:175] op_sel:[0,0,1] op_sel_hi:[1,1,0] neg_lo:[0,0,1] neg_hi:[0,0,1]
	v_pk_fma_f32 v[170:171], v[170:171], v[166:167], v[174:175] op_sel:[0,0,1] op_sel_hi:[1,0,0]
	s_delay_alu instid0(VALU_DEP_1) | instskip(SKIP_1) | instid1(VALU_DEP_1)
	v_mov_b32_e32 v177, v171
	v_pk_mul_f32 v[170:171], v[172:173], v[168:169] op_sel:[0,1]
	v_pk_fma_f32 v[174:175], v[172:173], v[166:167], v[170:171] op_sel:[0,0,1] op_sel_hi:[1,1,0] neg_lo:[0,0,1] neg_hi:[0,0,1]
	v_pk_fma_f32 v[170:171], v[172:173], v[166:167], v[170:171] op_sel:[0,0,1] op_sel_hi:[1,0,0]
	s_delay_alu instid0(VALU_DEP_1)
	v_mov_b32_e32 v175, v171
	ds_load_2addr_b64 v[170:173], v214 offset0:14 offset1:15
	v_pk_add_f32 v[62:63], v[62:63], v[176:177] neg_lo:[0,1] neg_hi:[0,1]
	v_pk_add_f32 v[58:59], v[58:59], v[174:175] neg_lo:[0,1] neg_hi:[0,1]
	s_wait_dscnt 0x0
	v_pk_mul_f32 v[174:175], v[170:171], v[168:169] op_sel:[0,1]
	s_delay_alu instid0(VALU_DEP_1) | instskip(SKIP_2) | instid1(VALU_DEP_2)
	v_pk_fma_f32 v[176:177], v[170:171], v[166:167], v[174:175] op_sel:[0,0,1] op_sel_hi:[1,1,0] neg_lo:[0,0,1] neg_hi:[0,0,1]
	v_pk_fma_f32 v[170:171], v[170:171], v[166:167], v[174:175] op_sel:[0,0,1] op_sel_hi:[1,0,0]
	v_dual_mul_f32 v174, v173, v169 :: v_dual_mov_b32 v170, v173
	v_dual_mov_b32 v177, v171 :: v_dual_mov_b32 v171, v172
	s_delay_alu instid0(VALU_DEP_2) | instskip(SKIP_1) | instid1(VALU_DEP_3)
	v_pk_fma_f32 v[174:175], v[172:173], v[36:37], v[174:175] op_sel_hi:[1,1,0] neg_lo:[0,0,1] neg_hi:[0,0,1]
	v_mul_f32_e32 v172, v173, v166
	v_pk_add_f32 v[60:61], v[60:61], v[176:177] neg_lo:[0,1] neg_hi:[0,1]
	s_delay_alu instid0(VALU_DEP_2) | instskip(NEXT) | instid1(VALU_DEP_1)
	v_pk_fma_f32 v[170:171], v[170:171], v[36:37], v[172:173] op_sel_hi:[1,1,0]
	v_mov_b32_e32 v175, v171
	ds_load_2addr_b64 v[170:173], v214 offset0:16 offset1:17
	v_pk_add_f32 v[56:57], v[56:57], v[174:175] neg_lo:[0,1] neg_hi:[0,1]
	s_wait_dscnt 0x0
	v_pk_mul_f32 v[174:175], v[170:171], v[168:169] op_sel:[0,1]
	s_delay_alu instid0(VALU_DEP_1) | instskip(SKIP_1) | instid1(VALU_DEP_1)
	v_pk_fma_f32 v[176:177], v[170:171], v[166:167], v[174:175] op_sel:[0,0,1] op_sel_hi:[1,1,0] neg_lo:[0,0,1] neg_hi:[0,0,1]
	v_pk_fma_f32 v[170:171], v[170:171], v[166:167], v[174:175] op_sel:[0,0,1] op_sel_hi:[1,0,0]
	v_mov_b32_e32 v177, v171
	v_pk_mul_f32 v[170:171], v[172:173], v[168:169] op_sel:[0,1]
	s_delay_alu instid0(VALU_DEP_1) | instskip(SKIP_1) | instid1(VALU_DEP_1)
	v_pk_fma_f32 v[174:175], v[172:173], v[166:167], v[170:171] op_sel:[0,0,1] op_sel_hi:[1,1,0] neg_lo:[0,0,1] neg_hi:[0,0,1]
	v_pk_fma_f32 v[170:171], v[172:173], v[166:167], v[170:171] op_sel:[0,0,1] op_sel_hi:[1,0,0]
	v_mov_b32_e32 v175, v171
	ds_load_2addr_b64 v[170:173], v214 offset0:18 offset1:19
	v_pk_add_f32 v[72:73], v[72:73], v[176:177] neg_lo:[0,1] neg_hi:[0,1]
	v_pk_add_f32 v[112:113], v[112:113], v[174:175] neg_lo:[0,1] neg_hi:[0,1]
	s_wait_dscnt 0x0
	v_pk_mul_f32 v[174:175], v[170:171], v[168:169] op_sel:[0,1]
	s_delay_alu instid0(VALU_DEP_1) | instskip(SKIP_1) | instid1(VALU_DEP_1)
	v_pk_fma_f32 v[176:177], v[170:171], v[166:167], v[174:175] op_sel:[0,0,1] op_sel_hi:[1,1,0] neg_lo:[0,0,1] neg_hi:[0,0,1]
	v_pk_fma_f32 v[170:171], v[170:171], v[166:167], v[174:175] op_sel:[0,0,1] op_sel_hi:[1,0,0]
	v_mov_b32_e32 v177, v171
	v_pk_mul_f32 v[170:171], v[172:173], v[168:169] op_sel:[0,1]
	s_delay_alu instid0(VALU_DEP_1) | instskip(SKIP_1) | instid1(VALU_DEP_1)
	v_pk_fma_f32 v[174:175], v[172:173], v[166:167], v[170:171] op_sel:[0,0,1] op_sel_hi:[1,1,0] neg_lo:[0,0,1] neg_hi:[0,0,1]
	v_pk_fma_f32 v[170:171], v[172:173], v[166:167], v[170:171] op_sel:[0,0,1] op_sel_hi:[1,0,0]
	v_mov_b32_e32 v175, v171
	ds_load_2addr_b64 v[170:173], v214 offset0:20 offset1:21
	v_pk_add_f32 v[114:115], v[114:115], v[176:177] neg_lo:[0,1] neg_hi:[0,1]
	v_pk_add_f32 v[94:95], v[94:95], v[174:175] neg_lo:[0,1] neg_hi:[0,1]
	s_wait_dscnt 0x0
	v_dual_mul_f32 v174, v171, v169 :: v_dual_mul_f32 v176, v171, v166
	s_delay_alu instid0(VALU_DEP_1) | instskip(NEXT) | instid1(VALU_DEP_2)
	v_pk_fma_f32 v[174:175], v[170:171], v[36:37], v[174:175] op_sel_hi:[1,1,0] neg_lo:[0,0,1] neg_hi:[0,0,1]
	v_pk_fma_f32 v[170:171], v[170:171], v[36:37], v[176:177] op_sel:[1,0,0] op_sel_hi:[0,1,0]
	s_delay_alu instid0(VALU_DEP_1) | instskip(SKIP_1) | instid1(VALU_DEP_2)
	v_mov_b32_e32 v175, v171
	v_pk_mul_f32 v[170:171], v[172:173], v[168:169] op_sel:[0,1]
	v_pk_add_f32 v[128:129], v[128:129], v[174:175] neg_lo:[0,1] neg_hi:[0,1]
	s_delay_alu instid0(VALU_DEP_2) | instskip(SKIP_1) | instid1(VALU_DEP_1)
	v_pk_fma_f32 v[174:175], v[172:173], v[166:167], v[170:171] op_sel:[0,0,1] op_sel_hi:[1,1,0] neg_lo:[0,0,1] neg_hi:[0,0,1]
	v_pk_fma_f32 v[170:171], v[172:173], v[166:167], v[170:171] op_sel:[0,0,1] op_sel_hi:[1,0,0]
	v_mov_b32_e32 v175, v171
	ds_load_2addr_b64 v[170:173], v214 offset0:22 offset1:23
	v_pk_add_f32 v[124:125], v[124:125], v[174:175] neg_lo:[0,1] neg_hi:[0,1]
	s_wait_dscnt 0x0
	v_pk_mul_f32 v[174:175], v[170:171], v[168:169] op_sel:[0,1]
	s_delay_alu instid0(VALU_DEP_1) | instskip(SKIP_1) | instid1(VALU_DEP_1)
	v_pk_fma_f32 v[176:177], v[170:171], v[166:167], v[174:175] op_sel:[0,0,1] op_sel_hi:[1,1,0] neg_lo:[0,0,1] neg_hi:[0,0,1]
	v_pk_fma_f32 v[170:171], v[170:171], v[166:167], v[174:175] op_sel:[0,0,1] op_sel_hi:[1,0,0]
	v_mov_b32_e32 v177, v171
	v_pk_mul_f32 v[170:171], v[172:173], v[168:169] op_sel:[0,1]
	s_delay_alu instid0(VALU_DEP_2) | instskip(NEXT) | instid1(VALU_DEP_2)
	v_pk_add_f32 v[126:127], v[126:127], v[176:177] neg_lo:[0,1] neg_hi:[0,1]
	v_pk_fma_f32 v[174:175], v[172:173], v[166:167], v[170:171] op_sel:[0,0,1] op_sel_hi:[1,1,0] neg_lo:[0,0,1] neg_hi:[0,0,1]
	v_pk_fma_f32 v[170:171], v[172:173], v[166:167], v[170:171] op_sel:[0,0,1] op_sel_hi:[1,0,0]
	s_delay_alu instid0(VALU_DEP_1) | instskip(SKIP_4) | instid1(VALU_DEP_1)
	v_mov_b32_e32 v175, v171
	ds_load_2addr_b64 v[170:173], v214 offset0:24 offset1:25
	v_pk_add_f32 v[138:139], v[138:139], v[174:175] neg_lo:[0,1] neg_hi:[0,1]
	s_wait_dscnt 0x0
	v_pk_mul_f32 v[174:175], v[170:171], v[168:169] op_sel:[0,1]
	v_pk_fma_f32 v[176:177], v[170:171], v[166:167], v[174:175] op_sel:[0,0,1] op_sel_hi:[1,1,0] neg_lo:[0,0,1] neg_hi:[0,0,1]
	v_pk_fma_f32 v[170:171], v[170:171], v[166:167], v[174:175] op_sel:[0,0,1] op_sel_hi:[1,0,0]
	v_dual_mul_f32 v174, v173, v169 :: v_dual_mov_b32 v170, v173
	s_delay_alu instid0(VALU_DEP_2) | instskip(NEXT) | instid1(VALU_DEP_2)
	v_dual_mov_b32 v177, v171 :: v_dual_mov_b32 v171, v172
	v_pk_fma_f32 v[174:175], v[172:173], v[36:37], v[174:175] op_sel_hi:[1,1,0] neg_lo:[0,0,1] neg_hi:[0,0,1]
	v_mul_f32_e32 v172, v173, v166
	s_delay_alu instid0(VALU_DEP_3) | instskip(NEXT) | instid1(VALU_DEP_2)
	v_pk_add_f32 v[136:137], v[136:137], v[176:177] neg_lo:[0,1] neg_hi:[0,1]
	v_pk_fma_f32 v[170:171], v[170:171], v[36:37], v[172:173] op_sel_hi:[1,1,0]
	s_delay_alu instid0(VALU_DEP_1) | instskip(SKIP_4) | instid1(VALU_DEP_1)
	v_mov_b32_e32 v175, v171
	ds_load_2addr_b64 v[170:173], v214 offset0:26 offset1:27
	v_pk_add_f32 v[134:135], v[134:135], v[174:175] neg_lo:[0,1] neg_hi:[0,1]
	s_wait_dscnt 0x0
	v_pk_mul_f32 v[174:175], v[170:171], v[168:169] op_sel:[0,1]
	v_pk_fma_f32 v[176:177], v[170:171], v[166:167], v[174:175] op_sel:[0,0,1] op_sel_hi:[1,1,0] neg_lo:[0,0,1] neg_hi:[0,0,1]
	v_pk_fma_f32 v[170:171], v[170:171], v[166:167], v[174:175] op_sel:[0,0,1] op_sel_hi:[1,0,0]
	s_delay_alu instid0(VALU_DEP_1) | instskip(SKIP_1) | instid1(VALU_DEP_1)
	v_mov_b32_e32 v177, v171
	v_pk_mul_f32 v[170:171], v[172:173], v[168:169] op_sel:[0,1]
	v_pk_fma_f32 v[174:175], v[172:173], v[166:167], v[170:171] op_sel:[0,0,1] op_sel_hi:[1,1,0] neg_lo:[0,0,1] neg_hi:[0,0,1]
	v_pk_fma_f32 v[170:171], v[172:173], v[166:167], v[170:171] op_sel:[0,0,1] op_sel_hi:[1,0,0]
	s_delay_alu instid0(VALU_DEP_1)
	v_mov_b32_e32 v175, v171
	ds_load_2addr_b64 v[170:173], v214 offset0:28 offset1:29
	v_pk_add_f32 v[100:101], v[100:101], v[176:177] neg_lo:[0,1] neg_hi:[0,1]
	v_pk_add_f32 v[98:99], v[98:99], v[174:175] neg_lo:[0,1] neg_hi:[0,1]
	s_wait_dscnt 0x0
	v_pk_mul_f32 v[174:175], v[170:171], v[168:169] op_sel:[0,1]
	s_delay_alu instid0(VALU_DEP_1) | instskip(SKIP_1) | instid1(VALU_DEP_1)
	v_pk_fma_f32 v[176:177], v[170:171], v[166:167], v[174:175] op_sel:[0,0,1] op_sel_hi:[1,1,0] neg_lo:[0,0,1] neg_hi:[0,0,1]
	v_pk_fma_f32 v[170:171], v[170:171], v[166:167], v[174:175] op_sel:[0,0,1] op_sel_hi:[1,0,0]
	v_mov_b32_e32 v177, v171
	v_pk_mul_f32 v[170:171], v[172:173], v[168:169] op_sel:[0,1]
	s_delay_alu instid0(VALU_DEP_1) | instskip(SKIP_1) | instid1(VALU_DEP_1)
	v_pk_fma_f32 v[174:175], v[172:173], v[166:167], v[170:171] op_sel:[0,0,1] op_sel_hi:[1,1,0] neg_lo:[0,0,1] neg_hi:[0,0,1]
	v_pk_fma_f32 v[170:171], v[172:173], v[166:167], v[170:171] op_sel:[0,0,1] op_sel_hi:[1,0,0]
	v_mov_b32_e32 v175, v171
	ds_load_2addr_b64 v[170:173], v214 offset0:30 offset1:31
	v_pk_add_f32 v[120:121], v[120:121], v[176:177] neg_lo:[0,1] neg_hi:[0,1]
	v_pk_add_f32 v[116:117], v[116:117], v[174:175] neg_lo:[0,1] neg_hi:[0,1]
	s_wait_dscnt 0x0
	v_dual_mul_f32 v174, v171, v169 :: v_dual_mul_f32 v176, v171, v166
	s_delay_alu instid0(VALU_DEP_1) | instskip(NEXT) | instid1(VALU_DEP_2)
	v_pk_fma_f32 v[174:175], v[170:171], v[36:37], v[174:175] op_sel_hi:[1,1,0] neg_lo:[0,0,1] neg_hi:[0,0,1]
	v_pk_fma_f32 v[170:171], v[170:171], v[36:37], v[176:177] op_sel:[1,0,0] op_sel_hi:[0,1,0]
	s_delay_alu instid0(VALU_DEP_1) | instskip(SKIP_1) | instid1(VALU_DEP_2)
	v_mov_b32_e32 v175, v171
	v_pk_mul_f32 v[170:171], v[172:173], v[168:169] op_sel:[0,1]
	v_pk_add_f32 v[118:119], v[118:119], v[174:175] neg_lo:[0,1] neg_hi:[0,1]
	s_delay_alu instid0(VALU_DEP_2) | instskip(SKIP_1) | instid1(VALU_DEP_1)
	v_pk_fma_f32 v[174:175], v[172:173], v[166:167], v[170:171] op_sel:[0,0,1] op_sel_hi:[1,1,0] neg_lo:[0,0,1] neg_hi:[0,0,1]
	v_pk_fma_f32 v[170:171], v[172:173], v[166:167], v[170:171] op_sel:[0,0,1] op_sel_hi:[1,0,0]
	v_mov_b32_e32 v175, v171
	ds_load_2addr_b64 v[170:173], v214 offset0:32 offset1:33
	v_pk_add_f32 v[132:133], v[132:133], v[174:175] neg_lo:[0,1] neg_hi:[0,1]
	s_wait_dscnt 0x0
	v_pk_mul_f32 v[174:175], v[170:171], v[168:169] op_sel:[0,1]
	s_delay_alu instid0(VALU_DEP_1) | instskip(SKIP_1) | instid1(VALU_DEP_1)
	v_pk_fma_f32 v[176:177], v[170:171], v[166:167], v[174:175] op_sel:[0,0,1] op_sel_hi:[1,1,0] neg_lo:[0,0,1] neg_hi:[0,0,1]
	v_pk_fma_f32 v[170:171], v[170:171], v[166:167], v[174:175] op_sel:[0,0,1] op_sel_hi:[1,0,0]
	v_mov_b32_e32 v177, v171
	v_pk_mul_f32 v[170:171], v[172:173], v[168:169] op_sel:[0,1]
	s_delay_alu instid0(VALU_DEP_2) | instskip(NEXT) | instid1(VALU_DEP_2)
	v_pk_add_f32 v[130:131], v[130:131], v[176:177] neg_lo:[0,1] neg_hi:[0,1]
	v_pk_fma_f32 v[174:175], v[172:173], v[166:167], v[170:171] op_sel:[0,0,1] op_sel_hi:[1,1,0] neg_lo:[0,0,1] neg_hi:[0,0,1]
	v_pk_fma_f32 v[170:171], v[172:173], v[166:167], v[170:171] op_sel:[0,0,1] op_sel_hi:[1,0,0]
	s_delay_alu instid0(VALU_DEP_1) | instskip(SKIP_4) | instid1(VALU_DEP_1)
	v_mov_b32_e32 v175, v171
	ds_load_b64 v[170:171], v214 offset:272
	v_pk_add_f32 v[122:123], v[122:123], v[174:175] neg_lo:[0,1] neg_hi:[0,1]
	s_wait_dscnt 0x0
	v_pk_mul_f32 v[168:169], v[170:171], v[168:169] op_sel:[0,1]
	v_pk_fma_f32 v[172:173], v[170:171], v[166:167], v[168:169] op_sel:[0,0,1] op_sel_hi:[1,1,0] neg_lo:[0,0,1] neg_hi:[0,0,1]
	v_pk_fma_f32 v[166:167], v[170:171], v[166:167], v[168:169] op_sel:[0,0,1] op_sel_hi:[1,0,0]
	s_delay_alu instid0(VALU_DEP_1) | instskip(NEXT) | instid1(VALU_DEP_1)
	v_mov_b32_e32 v173, v167
	v_pk_add_f32 v[140:141], v[140:141], v[172:173] neg_lo:[0,1] neg_hi:[0,1]
.LBB69_109:
	s_or_b32 exec_lo, exec_lo, s1
	s_delay_alu instid0(SALU_CYCLE_1)
	s_mov_b32 s2, exec_lo
	s_wait_dscnt 0x0
	s_barrier_signal -1
	s_barrier_wait -1
	v_cmpx_eq_u32_e32 12, v212
	s_cbranch_execz .LBB69_116
; %bb.110:
	ds_store_b64 v213, v[62:63]
	ds_store_2addr_b64 v214, v[58:59], v[60:61] offset0:13 offset1:14
	ds_store_2addr_b64 v214, v[56:57], v[72:73] offset0:15 offset1:16
	;; [unrolled: 1-line block ×11, first 2 shown]
	ds_load_b64 v[166:167], v213
	s_wait_dscnt 0x0
	v_cmp_neq_f32_e32 vcc_lo, 0, v166
	v_cmp_neq_f32_e64 s1, 0, v167
	s_or_b32 s1, vcc_lo, s1
	s_delay_alu instid0(SALU_CYCLE_1)
	s_and_b32 exec_lo, exec_lo, s1
	s_cbranch_execz .LBB69_116
; %bb.111:
	v_cmp_ngt_f32_e64 s1, |v166|, |v167|
                                        ; implicit-def: $vgpr168_vgpr169
	s_and_saveexec_b32 s4, s1
	s_delay_alu instid0(SALU_CYCLE_1)
	s_xor_b32 s1, exec_lo, s4
	s_cbranch_execz .LBB69_113
; %bb.112:
	v_div_scale_f32 v168, null, v167, v167, v166
	v_div_scale_f32 v171, vcc_lo, v166, v167, v166
	s_delay_alu instid0(VALU_DEP_2) | instskip(SKIP_1) | instid1(TRANS32_DEP_1)
	v_rcp_f32_e32 v169, v168
	v_nop
	v_fma_f32 v170, -v168, v169, 1.0
	s_delay_alu instid0(VALU_DEP_1) | instskip(NEXT) | instid1(VALU_DEP_1)
	v_fmac_f32_e32 v169, v170, v169
	v_mul_f32_e32 v170, v171, v169
	s_delay_alu instid0(VALU_DEP_1) | instskip(NEXT) | instid1(VALU_DEP_1)
	v_fma_f32 v172, -v168, v170, v171
	v_fmac_f32_e32 v170, v172, v169
	s_delay_alu instid0(VALU_DEP_1) | instskip(NEXT) | instid1(VALU_DEP_1)
	v_fma_f32 v168, -v168, v170, v171
	v_div_fmas_f32 v168, v168, v169, v170
	s_delay_alu instid0(VALU_DEP_1) | instskip(NEXT) | instid1(VALU_DEP_1)
	v_div_fixup_f32 v168, v168, v167, v166
	v_fmac_f32_e32 v167, v166, v168
	s_delay_alu instid0(VALU_DEP_1) | instskip(SKIP_1) | instid1(VALU_DEP_2)
	v_div_scale_f32 v166, null, v167, v167, 1.0
	v_div_scale_f32 v171, vcc_lo, 1.0, v167, 1.0
	v_rcp_f32_e32 v169, v166
	v_nop
	s_delay_alu instid0(TRANS32_DEP_1) | instskip(NEXT) | instid1(VALU_DEP_1)
	v_fma_f32 v170, -v166, v169, 1.0
	v_fmac_f32_e32 v169, v170, v169
	s_delay_alu instid0(VALU_DEP_1) | instskip(NEXT) | instid1(VALU_DEP_1)
	v_mul_f32_e32 v170, v171, v169
	v_fma_f32 v172, -v166, v170, v171
	s_delay_alu instid0(VALU_DEP_1) | instskip(NEXT) | instid1(VALU_DEP_1)
	v_fmac_f32_e32 v170, v172, v169
	v_fma_f32 v166, -v166, v170, v171
	s_delay_alu instid0(VALU_DEP_1) | instskip(NEXT) | instid1(VALU_DEP_1)
	v_div_fmas_f32 v166, v166, v169, v170
	v_div_fixup_f32 v166, v166, v167, 1.0
	s_delay_alu instid0(VALU_DEP_1)
	v_mul_f32_e32 v168, v168, v166
	v_xor_b32_e32 v169, 0x80000000, v166
                                        ; implicit-def: $vgpr166_vgpr167
.LBB69_113:
	s_and_not1_saveexec_b32 s1, s1
	s_cbranch_execz .LBB69_115
; %bb.114:
	v_div_scale_f32 v168, null, v166, v166, v167
	v_div_scale_f32 v171, vcc_lo, v167, v166, v167
	s_delay_alu instid0(VALU_DEP_2) | instskip(SKIP_1) | instid1(TRANS32_DEP_1)
	v_rcp_f32_e32 v169, v168
	v_nop
	v_fma_f32 v170, -v168, v169, 1.0
	s_delay_alu instid0(VALU_DEP_1) | instskip(NEXT) | instid1(VALU_DEP_1)
	v_fmac_f32_e32 v169, v170, v169
	v_mul_f32_e32 v170, v171, v169
	s_delay_alu instid0(VALU_DEP_1) | instskip(NEXT) | instid1(VALU_DEP_1)
	v_fma_f32 v172, -v168, v170, v171
	v_fmac_f32_e32 v170, v172, v169
	s_delay_alu instid0(VALU_DEP_1) | instskip(NEXT) | instid1(VALU_DEP_1)
	v_fma_f32 v168, -v168, v170, v171
	v_div_fmas_f32 v168, v168, v169, v170
	s_delay_alu instid0(VALU_DEP_1) | instskip(NEXT) | instid1(VALU_DEP_1)
	v_div_fixup_f32 v169, v168, v166, v167
	v_fmac_f32_e32 v166, v167, v169
	s_delay_alu instid0(VALU_DEP_1) | instskip(NEXT) | instid1(VALU_DEP_1)
	v_div_scale_f32 v167, null, v166, v166, 1.0
	v_rcp_f32_e32 v168, v167
	v_nop
	s_delay_alu instid0(TRANS32_DEP_1) | instskip(NEXT) | instid1(VALU_DEP_1)
	v_fma_f32 v170, -v167, v168, 1.0
	v_fmac_f32_e32 v168, v170, v168
	v_div_scale_f32 v170, vcc_lo, 1.0, v166, 1.0
	s_delay_alu instid0(VALU_DEP_1) | instskip(NEXT) | instid1(VALU_DEP_1)
	v_mul_f32_e32 v171, v170, v168
	v_fma_f32 v172, -v167, v171, v170
	s_delay_alu instid0(VALU_DEP_1) | instskip(NEXT) | instid1(VALU_DEP_1)
	v_fmac_f32_e32 v171, v172, v168
	v_fma_f32 v167, -v167, v171, v170
	s_delay_alu instid0(VALU_DEP_1) | instskip(NEXT) | instid1(VALU_DEP_1)
	v_div_fmas_f32 v167, v167, v168, v171
	v_div_fixup_f32 v168, v167, v166, 1.0
	s_delay_alu instid0(VALU_DEP_1)
	v_mul_f32_e64 v169, v169, -v168
.LBB69_115:
	s_or_b32 exec_lo, exec_lo, s1
	ds_store_b64 v213, v[168:169]
.LBB69_116:
	s_or_b32 exec_lo, exec_lo, s2
	s_wait_dscnt 0x0
	s_barrier_signal -1
	s_barrier_wait -1
	ds_load_b64 v[166:167], v213
	s_mov_b32 s1, exec_lo
	v_cmpx_lt_u32_e32 12, v212
	s_cbranch_execz .LBB69_118
; %bb.117:
	ds_load_2addr_b64 v[172:175], v214 offset0:13 offset1:14
	s_wait_dscnt 0x1
	v_pk_mul_f32 v[170:171], v[166:167], v[62:63] op_sel:[1,1] op_sel_hi:[0,1]
	s_delay_alu instid0(VALU_DEP_1) | instskip(SKIP_1) | instid1(VALU_DEP_1)
	v_pk_fma_f32 v[168:169], v[166:167], v[62:63], v[170:171] op_sel_hi:[1,0,1] neg_lo:[0,0,1] neg_hi:[0,0,1]
	v_pk_fma_f32 v[170:171], v[166:167], v[62:63], v[170:171] op_sel_hi:[1,0,1]
	v_dual_mov_b32 v62, v168 :: v_dual_mov_b32 v63, v171
	s_wait_dscnt 0x0
	s_delay_alu instid0(VALU_DEP_2) | instskip(NEXT) | instid1(VALU_DEP_1)
	v_pk_mul_f32 v[176:177], v[172:173], v[170:171] op_sel:[0,1]
	v_pk_fma_f32 v[178:179], v[172:173], v[168:169], v[176:177] op_sel:[0,0,1] op_sel_hi:[1,1,0] neg_lo:[0,0,1] neg_hi:[0,0,1]
	v_pk_fma_f32 v[172:173], v[172:173], v[168:169], v[176:177] op_sel:[0,0,1] op_sel_hi:[1,0,0]
	s_delay_alu instid0(VALU_DEP_1) | instskip(SKIP_1) | instid1(VALU_DEP_1)
	v_mov_b32_e32 v179, v173
	v_pk_mul_f32 v[172:173], v[174:175], v[170:171] op_sel:[0,1]
	v_pk_fma_f32 v[176:177], v[174:175], v[168:169], v[172:173] op_sel:[0,0,1] op_sel_hi:[1,1,0] neg_lo:[0,0,1] neg_hi:[0,0,1]
	v_pk_fma_f32 v[172:173], v[174:175], v[168:169], v[172:173] op_sel:[0,0,1] op_sel_hi:[1,0,0]
	s_delay_alu instid0(VALU_DEP_1)
	v_mov_b32_e32 v177, v173
	ds_load_2addr_b64 v[172:175], v214 offset0:15 offset1:16
	v_pk_add_f32 v[58:59], v[58:59], v[178:179] neg_lo:[0,1] neg_hi:[0,1]
	v_pk_add_f32 v[60:61], v[60:61], v[176:177] neg_lo:[0,1] neg_hi:[0,1]
	s_wait_dscnt 0x0
	v_pk_mul_f32 v[176:177], v[172:173], v[170:171] op_sel:[0,1]
	s_delay_alu instid0(VALU_DEP_1) | instskip(SKIP_2) | instid1(VALU_DEP_2)
	v_pk_fma_f32 v[178:179], v[172:173], v[168:169], v[176:177] op_sel:[0,0,1] op_sel_hi:[1,1,0] neg_lo:[0,0,1] neg_hi:[0,0,1]
	v_pk_fma_f32 v[172:173], v[172:173], v[168:169], v[176:177] op_sel:[0,0,1] op_sel_hi:[1,0,0]
	v_dual_mul_f32 v176, v175, v171 :: v_dual_mov_b32 v172, v175
	v_dual_mov_b32 v179, v173 :: v_dual_mov_b32 v173, v174
	s_delay_alu instid0(VALU_DEP_2) | instskip(SKIP_1) | instid1(VALU_DEP_3)
	v_pk_fma_f32 v[176:177], v[174:175], v[62:63], v[176:177] op_sel_hi:[1,1,0] neg_lo:[0,0,1] neg_hi:[0,0,1]
	v_mul_f32_e32 v174, v175, v168
	v_pk_add_f32 v[56:57], v[56:57], v[178:179] neg_lo:[0,1] neg_hi:[0,1]
	s_delay_alu instid0(VALU_DEP_2) | instskip(NEXT) | instid1(VALU_DEP_1)
	v_pk_fma_f32 v[172:173], v[172:173], v[62:63], v[174:175] op_sel_hi:[1,1,0]
	v_mov_b32_e32 v177, v173
	ds_load_2addr_b64 v[172:175], v214 offset0:17 offset1:18
	v_pk_add_f32 v[72:73], v[72:73], v[176:177] neg_lo:[0,1] neg_hi:[0,1]
	s_wait_dscnt 0x0
	v_pk_mul_f32 v[176:177], v[172:173], v[170:171] op_sel:[0,1]
	s_delay_alu instid0(VALU_DEP_1) | instskip(SKIP_1) | instid1(VALU_DEP_1)
	v_pk_fma_f32 v[178:179], v[172:173], v[168:169], v[176:177] op_sel:[0,0,1] op_sel_hi:[1,1,0] neg_lo:[0,0,1] neg_hi:[0,0,1]
	v_pk_fma_f32 v[172:173], v[172:173], v[168:169], v[176:177] op_sel:[0,0,1] op_sel_hi:[1,0,0]
	v_mov_b32_e32 v179, v173
	v_pk_mul_f32 v[172:173], v[174:175], v[170:171] op_sel:[0,1]
	s_delay_alu instid0(VALU_DEP_1) | instskip(SKIP_1) | instid1(VALU_DEP_1)
	v_pk_fma_f32 v[176:177], v[174:175], v[168:169], v[172:173] op_sel:[0,0,1] op_sel_hi:[1,1,0] neg_lo:[0,0,1] neg_hi:[0,0,1]
	v_pk_fma_f32 v[172:173], v[174:175], v[168:169], v[172:173] op_sel:[0,0,1] op_sel_hi:[1,0,0]
	v_mov_b32_e32 v177, v173
	ds_load_2addr_b64 v[172:175], v214 offset0:19 offset1:20
	v_pk_add_f32 v[112:113], v[112:113], v[178:179] neg_lo:[0,1] neg_hi:[0,1]
	v_pk_add_f32 v[114:115], v[114:115], v[176:177] neg_lo:[0,1] neg_hi:[0,1]
	s_wait_dscnt 0x0
	v_pk_mul_f32 v[176:177], v[172:173], v[170:171] op_sel:[0,1]
	s_delay_alu instid0(VALU_DEP_1) | instskip(SKIP_1) | instid1(VALU_DEP_1)
	v_pk_fma_f32 v[178:179], v[172:173], v[168:169], v[176:177] op_sel:[0,0,1] op_sel_hi:[1,1,0] neg_lo:[0,0,1] neg_hi:[0,0,1]
	v_pk_fma_f32 v[172:173], v[172:173], v[168:169], v[176:177] op_sel:[0,0,1] op_sel_hi:[1,0,0]
	v_mov_b32_e32 v179, v173
	v_pk_mul_f32 v[172:173], v[174:175], v[170:171] op_sel:[0,1]
	s_delay_alu instid0(VALU_DEP_1) | instskip(SKIP_1) | instid1(VALU_DEP_1)
	v_pk_fma_f32 v[176:177], v[174:175], v[168:169], v[172:173] op_sel:[0,0,1] op_sel_hi:[1,1,0] neg_lo:[0,0,1] neg_hi:[0,0,1]
	v_pk_fma_f32 v[172:173], v[174:175], v[168:169], v[172:173] op_sel:[0,0,1] op_sel_hi:[1,0,0]
	v_mov_b32_e32 v177, v173
	ds_load_2addr_b64 v[172:175], v214 offset0:21 offset1:22
	v_pk_add_f32 v[94:95], v[94:95], v[178:179] neg_lo:[0,1] neg_hi:[0,1]
	v_pk_add_f32 v[128:129], v[128:129], v[176:177] neg_lo:[0,1] neg_hi:[0,1]
	s_wait_dscnt 0x0
	v_dual_mul_f32 v176, v173, v171 :: v_dual_mul_f32 v178, v173, v168
	s_delay_alu instid0(VALU_DEP_1) | instskip(NEXT) | instid1(VALU_DEP_2)
	v_pk_fma_f32 v[176:177], v[172:173], v[62:63], v[176:177] op_sel_hi:[1,1,0] neg_lo:[0,0,1] neg_hi:[0,0,1]
	v_pk_fma_f32 v[172:173], v[172:173], v[62:63], v[178:179] op_sel:[1,0,0] op_sel_hi:[0,1,0]
	s_delay_alu instid0(VALU_DEP_1) | instskip(SKIP_1) | instid1(VALU_DEP_2)
	v_mov_b32_e32 v177, v173
	v_pk_mul_f32 v[172:173], v[174:175], v[170:171] op_sel:[0,1]
	v_pk_add_f32 v[124:125], v[124:125], v[176:177] neg_lo:[0,1] neg_hi:[0,1]
	s_delay_alu instid0(VALU_DEP_2) | instskip(SKIP_1) | instid1(VALU_DEP_1)
	v_pk_fma_f32 v[176:177], v[174:175], v[168:169], v[172:173] op_sel:[0,0,1] op_sel_hi:[1,1,0] neg_lo:[0,0,1] neg_hi:[0,0,1]
	v_pk_fma_f32 v[172:173], v[174:175], v[168:169], v[172:173] op_sel:[0,0,1] op_sel_hi:[1,0,0]
	v_mov_b32_e32 v177, v173
	ds_load_2addr_b64 v[172:175], v214 offset0:23 offset1:24
	v_pk_add_f32 v[126:127], v[126:127], v[176:177] neg_lo:[0,1] neg_hi:[0,1]
	s_wait_dscnt 0x0
	v_pk_mul_f32 v[176:177], v[172:173], v[170:171] op_sel:[0,1]
	s_delay_alu instid0(VALU_DEP_1) | instskip(SKIP_1) | instid1(VALU_DEP_1)
	v_pk_fma_f32 v[178:179], v[172:173], v[168:169], v[176:177] op_sel:[0,0,1] op_sel_hi:[1,1,0] neg_lo:[0,0,1] neg_hi:[0,0,1]
	v_pk_fma_f32 v[172:173], v[172:173], v[168:169], v[176:177] op_sel:[0,0,1] op_sel_hi:[1,0,0]
	v_mov_b32_e32 v179, v173
	v_pk_mul_f32 v[172:173], v[174:175], v[170:171] op_sel:[0,1]
	s_delay_alu instid0(VALU_DEP_2) | instskip(NEXT) | instid1(VALU_DEP_2)
	v_pk_add_f32 v[138:139], v[138:139], v[178:179] neg_lo:[0,1] neg_hi:[0,1]
	v_pk_fma_f32 v[176:177], v[174:175], v[168:169], v[172:173] op_sel:[0,0,1] op_sel_hi:[1,1,0] neg_lo:[0,0,1] neg_hi:[0,0,1]
	v_pk_fma_f32 v[172:173], v[174:175], v[168:169], v[172:173] op_sel:[0,0,1] op_sel_hi:[1,0,0]
	s_delay_alu instid0(VALU_DEP_1) | instskip(SKIP_4) | instid1(VALU_DEP_1)
	v_mov_b32_e32 v177, v173
	ds_load_2addr_b64 v[172:175], v214 offset0:25 offset1:26
	v_pk_add_f32 v[136:137], v[136:137], v[176:177] neg_lo:[0,1] neg_hi:[0,1]
	s_wait_dscnt 0x0
	v_pk_mul_f32 v[176:177], v[172:173], v[170:171] op_sel:[0,1]
	v_pk_fma_f32 v[178:179], v[172:173], v[168:169], v[176:177] op_sel:[0,0,1] op_sel_hi:[1,1,0] neg_lo:[0,0,1] neg_hi:[0,0,1]
	v_pk_fma_f32 v[172:173], v[172:173], v[168:169], v[176:177] op_sel:[0,0,1] op_sel_hi:[1,0,0]
	v_dual_mul_f32 v176, v175, v171 :: v_dual_mov_b32 v172, v175
	s_delay_alu instid0(VALU_DEP_2) | instskip(NEXT) | instid1(VALU_DEP_2)
	v_dual_mov_b32 v179, v173 :: v_dual_mov_b32 v173, v174
	v_pk_fma_f32 v[176:177], v[174:175], v[62:63], v[176:177] op_sel_hi:[1,1,0] neg_lo:[0,0,1] neg_hi:[0,0,1]
	v_mul_f32_e32 v174, v175, v168
	s_delay_alu instid0(VALU_DEP_3) | instskip(NEXT) | instid1(VALU_DEP_2)
	v_pk_add_f32 v[134:135], v[134:135], v[178:179] neg_lo:[0,1] neg_hi:[0,1]
	v_pk_fma_f32 v[172:173], v[172:173], v[62:63], v[174:175] op_sel_hi:[1,1,0]
	s_delay_alu instid0(VALU_DEP_1) | instskip(SKIP_4) | instid1(VALU_DEP_1)
	v_mov_b32_e32 v177, v173
	ds_load_2addr_b64 v[172:175], v214 offset0:27 offset1:28
	v_pk_add_f32 v[100:101], v[100:101], v[176:177] neg_lo:[0,1] neg_hi:[0,1]
	s_wait_dscnt 0x0
	v_pk_mul_f32 v[176:177], v[172:173], v[170:171] op_sel:[0,1]
	v_pk_fma_f32 v[178:179], v[172:173], v[168:169], v[176:177] op_sel:[0,0,1] op_sel_hi:[1,1,0] neg_lo:[0,0,1] neg_hi:[0,0,1]
	v_pk_fma_f32 v[172:173], v[172:173], v[168:169], v[176:177] op_sel:[0,0,1] op_sel_hi:[1,0,0]
	s_delay_alu instid0(VALU_DEP_1) | instskip(SKIP_1) | instid1(VALU_DEP_1)
	v_mov_b32_e32 v179, v173
	v_pk_mul_f32 v[172:173], v[174:175], v[170:171] op_sel:[0,1]
	v_pk_fma_f32 v[176:177], v[174:175], v[168:169], v[172:173] op_sel:[0,0,1] op_sel_hi:[1,1,0] neg_lo:[0,0,1] neg_hi:[0,0,1]
	v_pk_fma_f32 v[172:173], v[174:175], v[168:169], v[172:173] op_sel:[0,0,1] op_sel_hi:[1,0,0]
	s_delay_alu instid0(VALU_DEP_1)
	v_mov_b32_e32 v177, v173
	ds_load_2addr_b64 v[172:175], v214 offset0:29 offset1:30
	v_pk_add_f32 v[98:99], v[98:99], v[178:179] neg_lo:[0,1] neg_hi:[0,1]
	v_pk_add_f32 v[120:121], v[120:121], v[176:177] neg_lo:[0,1] neg_hi:[0,1]
	s_wait_dscnt 0x0
	v_pk_mul_f32 v[176:177], v[172:173], v[170:171] op_sel:[0,1]
	s_delay_alu instid0(VALU_DEP_1) | instskip(SKIP_1) | instid1(VALU_DEP_1)
	v_pk_fma_f32 v[178:179], v[172:173], v[168:169], v[176:177] op_sel:[0,0,1] op_sel_hi:[1,1,0] neg_lo:[0,0,1] neg_hi:[0,0,1]
	v_pk_fma_f32 v[172:173], v[172:173], v[168:169], v[176:177] op_sel:[0,0,1] op_sel_hi:[1,0,0]
	v_mov_b32_e32 v179, v173
	v_pk_mul_f32 v[172:173], v[174:175], v[170:171] op_sel:[0,1]
	s_delay_alu instid0(VALU_DEP_1) | instskip(SKIP_1) | instid1(VALU_DEP_1)
	v_pk_fma_f32 v[176:177], v[174:175], v[168:169], v[172:173] op_sel:[0,0,1] op_sel_hi:[1,1,0] neg_lo:[0,0,1] neg_hi:[0,0,1]
	v_pk_fma_f32 v[172:173], v[174:175], v[168:169], v[172:173] op_sel:[0,0,1] op_sel_hi:[1,0,0]
	v_mov_b32_e32 v177, v173
	ds_load_2addr_b64 v[172:175], v214 offset0:31 offset1:32
	v_pk_add_f32 v[116:117], v[116:117], v[178:179] neg_lo:[0,1] neg_hi:[0,1]
	v_pk_add_f32 v[118:119], v[118:119], v[176:177] neg_lo:[0,1] neg_hi:[0,1]
	s_wait_dscnt 0x0
	v_dual_mul_f32 v176, v173, v171 :: v_dual_mul_f32 v178, v173, v168
	s_delay_alu instid0(VALU_DEP_1) | instskip(NEXT) | instid1(VALU_DEP_2)
	v_pk_fma_f32 v[176:177], v[172:173], v[62:63], v[176:177] op_sel_hi:[1,1,0] neg_lo:[0,0,1] neg_hi:[0,0,1]
	v_pk_fma_f32 v[172:173], v[172:173], v[62:63], v[178:179] op_sel:[1,0,0] op_sel_hi:[0,1,0]
	s_delay_alu instid0(VALU_DEP_1) | instskip(SKIP_1) | instid1(VALU_DEP_2)
	v_mov_b32_e32 v177, v173
	v_pk_mul_f32 v[172:173], v[174:175], v[170:171] op_sel:[0,1]
	v_pk_add_f32 v[132:133], v[132:133], v[176:177] neg_lo:[0,1] neg_hi:[0,1]
	s_delay_alu instid0(VALU_DEP_2) | instskip(SKIP_1) | instid1(VALU_DEP_1)
	v_pk_fma_f32 v[176:177], v[174:175], v[168:169], v[172:173] op_sel:[0,0,1] op_sel_hi:[1,1,0] neg_lo:[0,0,1] neg_hi:[0,0,1]
	v_pk_fma_f32 v[172:173], v[174:175], v[168:169], v[172:173] op_sel:[0,0,1] op_sel_hi:[1,0,0]
	v_mov_b32_e32 v177, v173
	ds_load_2addr_b64 v[172:175], v214 offset0:33 offset1:34
	v_pk_add_f32 v[130:131], v[130:131], v[176:177] neg_lo:[0,1] neg_hi:[0,1]
	s_wait_dscnt 0x0
	v_pk_mul_f32 v[176:177], v[172:173], v[170:171] op_sel:[0,1]
	v_pk_mul_f32 v[170:171], v[174:175], v[170:171] op_sel:[0,1]
	s_delay_alu instid0(VALU_DEP_2) | instskip(SKIP_1) | instid1(VALU_DEP_1)
	v_pk_fma_f32 v[178:179], v[172:173], v[168:169], v[176:177] op_sel:[0,0,1] op_sel_hi:[1,1,0] neg_lo:[0,0,1] neg_hi:[0,0,1]
	v_pk_fma_f32 v[172:173], v[172:173], v[168:169], v[176:177] op_sel:[0,0,1] op_sel_hi:[1,0,0]
	v_mov_b32_e32 v179, v173
	s_delay_alu instid0(VALU_DEP_4) | instskip(SKIP_1) | instid1(VALU_DEP_3)
	v_pk_fma_f32 v[172:173], v[174:175], v[168:169], v[170:171] op_sel:[0,0,1] op_sel_hi:[1,1,0] neg_lo:[0,0,1] neg_hi:[0,0,1]
	v_pk_fma_f32 v[168:169], v[174:175], v[168:169], v[170:171] op_sel:[0,0,1] op_sel_hi:[1,0,0]
	v_pk_add_f32 v[122:123], v[122:123], v[178:179] neg_lo:[0,1] neg_hi:[0,1]
	s_delay_alu instid0(VALU_DEP_2) | instskip(NEXT) | instid1(VALU_DEP_1)
	v_mov_b32_e32 v173, v169
	v_pk_add_f32 v[140:141], v[140:141], v[172:173] neg_lo:[0,1] neg_hi:[0,1]
.LBB69_118:
	s_or_b32 exec_lo, exec_lo, s1
	s_delay_alu instid0(SALU_CYCLE_1)
	s_mov_b32 s2, exec_lo
	s_wait_dscnt 0x0
	s_barrier_signal -1
	s_barrier_wait -1
	v_cmpx_eq_u32_e32 13, v212
	s_cbranch_execz .LBB69_125
; %bb.119:
	v_dual_mov_b32 v168, v60 :: v_dual_mov_b32 v169, v61
	v_dual_mov_b32 v170, v56 :: v_dual_mov_b32 v171, v57
	ds_store_b64 v213, v[58:59]
	ds_store_2addr_b64 v214, v[168:169], v[170:171] offset0:14 offset1:15
	v_dual_mov_b32 v168, v72 :: v_dual_mov_b32 v169, v73
	v_dual_mov_b32 v170, v112 :: v_dual_mov_b32 v171, v113
	ds_store_2addr_b64 v214, v[168:169], v[170:171] offset0:16 offset1:17
	v_dual_mov_b32 v168, v114 :: v_dual_mov_b32 v169, v115
	v_dual_mov_b32 v170, v94 :: v_dual_mov_b32 v171, v95
	;; [unrolled: 3-line block ×9, first 2 shown]
	ds_store_2addr_b64 v214, v[168:169], v[170:171] offset0:32 offset1:33
	ds_store_b64 v214, v[140:141] offset:272
	ds_load_b64 v[168:169], v213
	s_wait_dscnt 0x0
	v_cmp_neq_f32_e32 vcc_lo, 0, v168
	v_cmp_neq_f32_e64 s1, 0, v169
	s_or_b32 s1, vcc_lo, s1
	s_delay_alu instid0(SALU_CYCLE_1)
	s_and_b32 exec_lo, exec_lo, s1
	s_cbranch_execz .LBB69_125
; %bb.120:
	v_cmp_ngt_f32_e64 s1, |v168|, |v169|
                                        ; implicit-def: $vgpr170_vgpr171
	s_and_saveexec_b32 s4, s1
	s_delay_alu instid0(SALU_CYCLE_1)
	s_xor_b32 s1, exec_lo, s4
	s_cbranch_execz .LBB69_122
; %bb.121:
	v_div_scale_f32 v170, null, v169, v169, v168
	v_div_scale_f32 v173, vcc_lo, v168, v169, v168
	s_delay_alu instid0(VALU_DEP_2) | instskip(SKIP_1) | instid1(TRANS32_DEP_1)
	v_rcp_f32_e32 v171, v170
	v_nop
	v_fma_f32 v172, -v170, v171, 1.0
	s_delay_alu instid0(VALU_DEP_1) | instskip(NEXT) | instid1(VALU_DEP_1)
	v_fmac_f32_e32 v171, v172, v171
	v_mul_f32_e32 v172, v173, v171
	s_delay_alu instid0(VALU_DEP_1) | instskip(NEXT) | instid1(VALU_DEP_1)
	v_fma_f32 v174, -v170, v172, v173
	v_fmac_f32_e32 v172, v174, v171
	s_delay_alu instid0(VALU_DEP_1) | instskip(NEXT) | instid1(VALU_DEP_1)
	v_fma_f32 v170, -v170, v172, v173
	v_div_fmas_f32 v170, v170, v171, v172
	s_delay_alu instid0(VALU_DEP_1) | instskip(NEXT) | instid1(VALU_DEP_1)
	v_div_fixup_f32 v170, v170, v169, v168
	v_fmac_f32_e32 v169, v168, v170
	s_delay_alu instid0(VALU_DEP_1) | instskip(SKIP_1) | instid1(VALU_DEP_2)
	v_div_scale_f32 v168, null, v169, v169, 1.0
	v_div_scale_f32 v173, vcc_lo, 1.0, v169, 1.0
	v_rcp_f32_e32 v171, v168
	v_nop
	s_delay_alu instid0(TRANS32_DEP_1) | instskip(NEXT) | instid1(VALU_DEP_1)
	v_fma_f32 v172, -v168, v171, 1.0
	v_fmac_f32_e32 v171, v172, v171
	s_delay_alu instid0(VALU_DEP_1) | instskip(NEXT) | instid1(VALU_DEP_1)
	v_mul_f32_e32 v172, v173, v171
	v_fma_f32 v174, -v168, v172, v173
	s_delay_alu instid0(VALU_DEP_1) | instskip(NEXT) | instid1(VALU_DEP_1)
	v_fmac_f32_e32 v172, v174, v171
	v_fma_f32 v168, -v168, v172, v173
	s_delay_alu instid0(VALU_DEP_1) | instskip(NEXT) | instid1(VALU_DEP_1)
	v_div_fmas_f32 v168, v168, v171, v172
	v_div_fixup_f32 v168, v168, v169, 1.0
	s_delay_alu instid0(VALU_DEP_1)
	v_mul_f32_e32 v170, v170, v168
	v_xor_b32_e32 v171, 0x80000000, v168
                                        ; implicit-def: $vgpr168_vgpr169
.LBB69_122:
	s_and_not1_saveexec_b32 s1, s1
	s_cbranch_execz .LBB69_124
; %bb.123:
	v_div_scale_f32 v170, null, v168, v168, v169
	v_div_scale_f32 v173, vcc_lo, v169, v168, v169
	s_delay_alu instid0(VALU_DEP_2) | instskip(SKIP_1) | instid1(TRANS32_DEP_1)
	v_rcp_f32_e32 v171, v170
	v_nop
	v_fma_f32 v172, -v170, v171, 1.0
	s_delay_alu instid0(VALU_DEP_1) | instskip(NEXT) | instid1(VALU_DEP_1)
	v_fmac_f32_e32 v171, v172, v171
	v_mul_f32_e32 v172, v173, v171
	s_delay_alu instid0(VALU_DEP_1) | instskip(NEXT) | instid1(VALU_DEP_1)
	v_fma_f32 v174, -v170, v172, v173
	v_fmac_f32_e32 v172, v174, v171
	s_delay_alu instid0(VALU_DEP_1) | instskip(NEXT) | instid1(VALU_DEP_1)
	v_fma_f32 v170, -v170, v172, v173
	v_div_fmas_f32 v170, v170, v171, v172
	s_delay_alu instid0(VALU_DEP_1) | instskip(NEXT) | instid1(VALU_DEP_1)
	v_div_fixup_f32 v171, v170, v168, v169
	v_fmac_f32_e32 v168, v169, v171
	s_delay_alu instid0(VALU_DEP_1) | instskip(NEXT) | instid1(VALU_DEP_1)
	v_div_scale_f32 v169, null, v168, v168, 1.0
	v_rcp_f32_e32 v170, v169
	v_nop
	s_delay_alu instid0(TRANS32_DEP_1) | instskip(NEXT) | instid1(VALU_DEP_1)
	v_fma_f32 v172, -v169, v170, 1.0
	v_fmac_f32_e32 v170, v172, v170
	v_div_scale_f32 v172, vcc_lo, 1.0, v168, 1.0
	s_delay_alu instid0(VALU_DEP_1) | instskip(NEXT) | instid1(VALU_DEP_1)
	v_mul_f32_e32 v173, v172, v170
	v_fma_f32 v174, -v169, v173, v172
	s_delay_alu instid0(VALU_DEP_1) | instskip(NEXT) | instid1(VALU_DEP_1)
	v_fmac_f32_e32 v173, v174, v170
	v_fma_f32 v169, -v169, v173, v172
	s_delay_alu instid0(VALU_DEP_1) | instskip(NEXT) | instid1(VALU_DEP_1)
	v_div_fmas_f32 v169, v169, v170, v173
	v_div_fixup_f32 v170, v169, v168, 1.0
	s_delay_alu instid0(VALU_DEP_1)
	v_mul_f32_e64 v171, v171, -v170
.LBB69_124:
	s_or_b32 exec_lo, exec_lo, s1
	ds_store_b64 v213, v[170:171]
.LBB69_125:
	s_or_b32 exec_lo, exec_lo, s2
	s_wait_dscnt 0x0
	s_barrier_signal -1
	s_barrier_wait -1
	ds_load_b64 v[168:169], v213
	s_mov_b32 s1, exec_lo
	v_cmpx_lt_u32_e32 13, v212
	s_cbranch_execz .LBB69_127
; %bb.126:
	ds_load_2addr_b64 v[174:177], v214 offset0:14 offset1:15
	s_wait_dscnt 0x1
	v_pk_mul_f32 v[172:173], v[168:169], v[58:59] op_sel:[1,1] op_sel_hi:[0,1]
	s_delay_alu instid0(VALU_DEP_1) | instskip(SKIP_1) | instid1(VALU_DEP_1)
	v_pk_fma_f32 v[170:171], v[168:169], v[58:59], v[172:173] op_sel_hi:[1,0,1] neg_lo:[0,0,1] neg_hi:[0,0,1]
	v_pk_fma_f32 v[172:173], v[168:169], v[58:59], v[172:173] op_sel_hi:[1,0,1]
	v_dual_mov_b32 v58, v170 :: v_dual_mov_b32 v59, v173
	s_wait_dscnt 0x0
	s_delay_alu instid0(VALU_DEP_2) | instskip(NEXT) | instid1(VALU_DEP_1)
	v_pk_mul_f32 v[178:179], v[174:175], v[172:173] op_sel:[0,1]
	v_pk_fma_f32 v[180:181], v[174:175], v[170:171], v[178:179] op_sel:[0,0,1] op_sel_hi:[1,1,0] neg_lo:[0,0,1] neg_hi:[0,0,1]
	v_pk_fma_f32 v[174:175], v[174:175], v[170:171], v[178:179] op_sel:[0,0,1] op_sel_hi:[1,0,0]
	s_delay_alu instid0(VALU_DEP_1) | instskip(SKIP_1) | instid1(VALU_DEP_1)
	v_mov_b32_e32 v181, v175
	v_pk_mul_f32 v[174:175], v[176:177], v[172:173] op_sel:[0,1]
	v_pk_fma_f32 v[178:179], v[176:177], v[170:171], v[174:175] op_sel:[0,0,1] op_sel_hi:[1,1,0] neg_lo:[0,0,1] neg_hi:[0,0,1]
	v_pk_fma_f32 v[174:175], v[176:177], v[170:171], v[174:175] op_sel:[0,0,1] op_sel_hi:[1,0,0]
	s_delay_alu instid0(VALU_DEP_1)
	v_mov_b32_e32 v179, v175
	ds_load_2addr_b64 v[174:177], v214 offset0:16 offset1:17
	v_pk_add_f32 v[60:61], v[60:61], v[180:181] neg_lo:[0,1] neg_hi:[0,1]
	v_pk_add_f32 v[56:57], v[56:57], v[178:179] neg_lo:[0,1] neg_hi:[0,1]
	s_wait_dscnt 0x0
	v_pk_mul_f32 v[178:179], v[174:175], v[172:173] op_sel:[0,1]
	s_delay_alu instid0(VALU_DEP_1) | instskip(SKIP_2) | instid1(VALU_DEP_2)
	v_pk_fma_f32 v[180:181], v[174:175], v[170:171], v[178:179] op_sel:[0,0,1] op_sel_hi:[1,1,0] neg_lo:[0,0,1] neg_hi:[0,0,1]
	v_pk_fma_f32 v[174:175], v[174:175], v[170:171], v[178:179] op_sel:[0,0,1] op_sel_hi:[1,0,0]
	v_dual_mul_f32 v178, v177, v173 :: v_dual_mov_b32 v174, v177
	v_dual_mov_b32 v181, v175 :: v_dual_mov_b32 v175, v176
	s_delay_alu instid0(VALU_DEP_2) | instskip(SKIP_1) | instid1(VALU_DEP_3)
	v_pk_fma_f32 v[178:179], v[176:177], v[58:59], v[178:179] op_sel_hi:[1,1,0] neg_lo:[0,0,1] neg_hi:[0,0,1]
	v_mul_f32_e32 v176, v177, v170
	v_pk_add_f32 v[72:73], v[72:73], v[180:181] neg_lo:[0,1] neg_hi:[0,1]
	s_delay_alu instid0(VALU_DEP_2) | instskip(NEXT) | instid1(VALU_DEP_1)
	v_pk_fma_f32 v[174:175], v[174:175], v[58:59], v[176:177] op_sel_hi:[1,1,0]
	v_mov_b32_e32 v179, v175
	ds_load_2addr_b64 v[174:177], v214 offset0:18 offset1:19
	v_pk_add_f32 v[112:113], v[112:113], v[178:179] neg_lo:[0,1] neg_hi:[0,1]
	s_wait_dscnt 0x0
	v_pk_mul_f32 v[178:179], v[174:175], v[172:173] op_sel:[0,1]
	s_delay_alu instid0(VALU_DEP_1) | instskip(SKIP_1) | instid1(VALU_DEP_1)
	v_pk_fma_f32 v[180:181], v[174:175], v[170:171], v[178:179] op_sel:[0,0,1] op_sel_hi:[1,1,0] neg_lo:[0,0,1] neg_hi:[0,0,1]
	v_pk_fma_f32 v[174:175], v[174:175], v[170:171], v[178:179] op_sel:[0,0,1] op_sel_hi:[1,0,0]
	v_mov_b32_e32 v181, v175
	v_pk_mul_f32 v[174:175], v[176:177], v[172:173] op_sel:[0,1]
	s_delay_alu instid0(VALU_DEP_1) | instskip(SKIP_1) | instid1(VALU_DEP_1)
	v_pk_fma_f32 v[178:179], v[176:177], v[170:171], v[174:175] op_sel:[0,0,1] op_sel_hi:[1,1,0] neg_lo:[0,0,1] neg_hi:[0,0,1]
	v_pk_fma_f32 v[174:175], v[176:177], v[170:171], v[174:175] op_sel:[0,0,1] op_sel_hi:[1,0,0]
	v_mov_b32_e32 v179, v175
	ds_load_2addr_b64 v[174:177], v214 offset0:20 offset1:21
	v_pk_add_f32 v[114:115], v[114:115], v[180:181] neg_lo:[0,1] neg_hi:[0,1]
	v_pk_add_f32 v[94:95], v[94:95], v[178:179] neg_lo:[0,1] neg_hi:[0,1]
	s_wait_dscnt 0x0
	v_pk_mul_f32 v[178:179], v[174:175], v[172:173] op_sel:[0,1]
	s_delay_alu instid0(VALU_DEP_1) | instskip(SKIP_1) | instid1(VALU_DEP_1)
	v_pk_fma_f32 v[180:181], v[174:175], v[170:171], v[178:179] op_sel:[0,0,1] op_sel_hi:[1,1,0] neg_lo:[0,0,1] neg_hi:[0,0,1]
	v_pk_fma_f32 v[174:175], v[174:175], v[170:171], v[178:179] op_sel:[0,0,1] op_sel_hi:[1,0,0]
	v_mov_b32_e32 v181, v175
	v_pk_mul_f32 v[174:175], v[176:177], v[172:173] op_sel:[0,1]
	s_delay_alu instid0(VALU_DEP_1) | instskip(SKIP_1) | instid1(VALU_DEP_1)
	v_pk_fma_f32 v[178:179], v[176:177], v[170:171], v[174:175] op_sel:[0,0,1] op_sel_hi:[1,1,0] neg_lo:[0,0,1] neg_hi:[0,0,1]
	v_pk_fma_f32 v[174:175], v[176:177], v[170:171], v[174:175] op_sel:[0,0,1] op_sel_hi:[1,0,0]
	v_mov_b32_e32 v179, v175
	ds_load_2addr_b64 v[174:177], v214 offset0:22 offset1:23
	v_pk_add_f32 v[128:129], v[128:129], v[180:181] neg_lo:[0,1] neg_hi:[0,1]
	v_pk_add_f32 v[124:125], v[124:125], v[178:179] neg_lo:[0,1] neg_hi:[0,1]
	s_wait_dscnt 0x0
	v_dual_mul_f32 v178, v175, v173 :: v_dual_mul_f32 v180, v175, v170
	s_delay_alu instid0(VALU_DEP_1) | instskip(NEXT) | instid1(VALU_DEP_2)
	v_pk_fma_f32 v[178:179], v[174:175], v[58:59], v[178:179] op_sel_hi:[1,1,0] neg_lo:[0,0,1] neg_hi:[0,0,1]
	v_pk_fma_f32 v[174:175], v[174:175], v[58:59], v[180:181] op_sel:[1,0,0] op_sel_hi:[0,1,0]
	s_delay_alu instid0(VALU_DEP_1) | instskip(SKIP_1) | instid1(VALU_DEP_2)
	v_mov_b32_e32 v179, v175
	v_pk_mul_f32 v[174:175], v[176:177], v[172:173] op_sel:[0,1]
	v_pk_add_f32 v[126:127], v[126:127], v[178:179] neg_lo:[0,1] neg_hi:[0,1]
	s_delay_alu instid0(VALU_DEP_2) | instskip(SKIP_1) | instid1(VALU_DEP_1)
	v_pk_fma_f32 v[178:179], v[176:177], v[170:171], v[174:175] op_sel:[0,0,1] op_sel_hi:[1,1,0] neg_lo:[0,0,1] neg_hi:[0,0,1]
	v_pk_fma_f32 v[174:175], v[176:177], v[170:171], v[174:175] op_sel:[0,0,1] op_sel_hi:[1,0,0]
	v_mov_b32_e32 v179, v175
	ds_load_2addr_b64 v[174:177], v214 offset0:24 offset1:25
	v_pk_add_f32 v[138:139], v[138:139], v[178:179] neg_lo:[0,1] neg_hi:[0,1]
	s_wait_dscnt 0x0
	v_pk_mul_f32 v[178:179], v[174:175], v[172:173] op_sel:[0,1]
	s_delay_alu instid0(VALU_DEP_1) | instskip(SKIP_1) | instid1(VALU_DEP_1)
	v_pk_fma_f32 v[180:181], v[174:175], v[170:171], v[178:179] op_sel:[0,0,1] op_sel_hi:[1,1,0] neg_lo:[0,0,1] neg_hi:[0,0,1]
	v_pk_fma_f32 v[174:175], v[174:175], v[170:171], v[178:179] op_sel:[0,0,1] op_sel_hi:[1,0,0]
	v_mov_b32_e32 v181, v175
	v_pk_mul_f32 v[174:175], v[176:177], v[172:173] op_sel:[0,1]
	s_delay_alu instid0(VALU_DEP_2) | instskip(NEXT) | instid1(VALU_DEP_2)
	v_pk_add_f32 v[136:137], v[136:137], v[180:181] neg_lo:[0,1] neg_hi:[0,1]
	v_pk_fma_f32 v[178:179], v[176:177], v[170:171], v[174:175] op_sel:[0,0,1] op_sel_hi:[1,1,0] neg_lo:[0,0,1] neg_hi:[0,0,1]
	v_pk_fma_f32 v[174:175], v[176:177], v[170:171], v[174:175] op_sel:[0,0,1] op_sel_hi:[1,0,0]
	s_delay_alu instid0(VALU_DEP_1) | instskip(SKIP_4) | instid1(VALU_DEP_1)
	v_mov_b32_e32 v179, v175
	ds_load_2addr_b64 v[174:177], v214 offset0:26 offset1:27
	v_pk_add_f32 v[134:135], v[134:135], v[178:179] neg_lo:[0,1] neg_hi:[0,1]
	s_wait_dscnt 0x0
	v_pk_mul_f32 v[178:179], v[174:175], v[172:173] op_sel:[0,1]
	v_pk_fma_f32 v[180:181], v[174:175], v[170:171], v[178:179] op_sel:[0,0,1] op_sel_hi:[1,1,0] neg_lo:[0,0,1] neg_hi:[0,0,1]
	v_pk_fma_f32 v[174:175], v[174:175], v[170:171], v[178:179] op_sel:[0,0,1] op_sel_hi:[1,0,0]
	v_dual_mul_f32 v178, v177, v173 :: v_dual_mov_b32 v174, v177
	s_delay_alu instid0(VALU_DEP_2) | instskip(NEXT) | instid1(VALU_DEP_2)
	v_dual_mov_b32 v181, v175 :: v_dual_mov_b32 v175, v176
	v_pk_fma_f32 v[178:179], v[176:177], v[58:59], v[178:179] op_sel_hi:[1,1,0] neg_lo:[0,0,1] neg_hi:[0,0,1]
	v_mul_f32_e32 v176, v177, v170
	s_delay_alu instid0(VALU_DEP_3) | instskip(NEXT) | instid1(VALU_DEP_2)
	v_pk_add_f32 v[100:101], v[100:101], v[180:181] neg_lo:[0,1] neg_hi:[0,1]
	v_pk_fma_f32 v[174:175], v[174:175], v[58:59], v[176:177] op_sel_hi:[1,1,0]
	s_delay_alu instid0(VALU_DEP_1) | instskip(SKIP_4) | instid1(VALU_DEP_1)
	v_mov_b32_e32 v179, v175
	ds_load_2addr_b64 v[174:177], v214 offset0:28 offset1:29
	v_pk_add_f32 v[98:99], v[98:99], v[178:179] neg_lo:[0,1] neg_hi:[0,1]
	s_wait_dscnt 0x0
	v_pk_mul_f32 v[178:179], v[174:175], v[172:173] op_sel:[0,1]
	v_pk_fma_f32 v[180:181], v[174:175], v[170:171], v[178:179] op_sel:[0,0,1] op_sel_hi:[1,1,0] neg_lo:[0,0,1] neg_hi:[0,0,1]
	v_pk_fma_f32 v[174:175], v[174:175], v[170:171], v[178:179] op_sel:[0,0,1] op_sel_hi:[1,0,0]
	s_delay_alu instid0(VALU_DEP_1) | instskip(SKIP_1) | instid1(VALU_DEP_1)
	v_mov_b32_e32 v181, v175
	v_pk_mul_f32 v[174:175], v[176:177], v[172:173] op_sel:[0,1]
	v_pk_fma_f32 v[178:179], v[176:177], v[170:171], v[174:175] op_sel:[0,0,1] op_sel_hi:[1,1,0] neg_lo:[0,0,1] neg_hi:[0,0,1]
	v_pk_fma_f32 v[174:175], v[176:177], v[170:171], v[174:175] op_sel:[0,0,1] op_sel_hi:[1,0,0]
	s_delay_alu instid0(VALU_DEP_1)
	v_mov_b32_e32 v179, v175
	ds_load_2addr_b64 v[174:177], v214 offset0:30 offset1:31
	v_pk_add_f32 v[120:121], v[120:121], v[180:181] neg_lo:[0,1] neg_hi:[0,1]
	v_pk_add_f32 v[116:117], v[116:117], v[178:179] neg_lo:[0,1] neg_hi:[0,1]
	s_wait_dscnt 0x0
	v_pk_mul_f32 v[178:179], v[174:175], v[172:173] op_sel:[0,1]
	s_delay_alu instid0(VALU_DEP_1) | instskip(SKIP_1) | instid1(VALU_DEP_1)
	v_pk_fma_f32 v[180:181], v[174:175], v[170:171], v[178:179] op_sel:[0,0,1] op_sel_hi:[1,1,0] neg_lo:[0,0,1] neg_hi:[0,0,1]
	v_pk_fma_f32 v[174:175], v[174:175], v[170:171], v[178:179] op_sel:[0,0,1] op_sel_hi:[1,0,0]
	v_mov_b32_e32 v181, v175
	v_pk_mul_f32 v[174:175], v[176:177], v[172:173] op_sel:[0,1]
	s_delay_alu instid0(VALU_DEP_1) | instskip(SKIP_1) | instid1(VALU_DEP_1)
	v_pk_fma_f32 v[178:179], v[176:177], v[170:171], v[174:175] op_sel:[0,0,1] op_sel_hi:[1,1,0] neg_lo:[0,0,1] neg_hi:[0,0,1]
	v_pk_fma_f32 v[174:175], v[176:177], v[170:171], v[174:175] op_sel:[0,0,1] op_sel_hi:[1,0,0]
	v_mov_b32_e32 v179, v175
	ds_load_2addr_b64 v[174:177], v214 offset0:32 offset1:33
	v_pk_add_f32 v[118:119], v[118:119], v[180:181] neg_lo:[0,1] neg_hi:[0,1]
	v_pk_add_f32 v[132:133], v[132:133], v[178:179] neg_lo:[0,1] neg_hi:[0,1]
	s_wait_dscnt 0x0
	v_dual_mul_f32 v178, v175, v173 :: v_dual_mul_f32 v180, v175, v170
	s_delay_alu instid0(VALU_DEP_1) | instskip(NEXT) | instid1(VALU_DEP_2)
	v_pk_fma_f32 v[178:179], v[174:175], v[58:59], v[178:179] op_sel_hi:[1,1,0] neg_lo:[0,0,1] neg_hi:[0,0,1]
	v_pk_fma_f32 v[174:175], v[174:175], v[58:59], v[180:181] op_sel:[1,0,0] op_sel_hi:[0,1,0]
	s_delay_alu instid0(VALU_DEP_1) | instskip(SKIP_1) | instid1(VALU_DEP_2)
	v_mov_b32_e32 v179, v175
	v_pk_mul_f32 v[174:175], v[176:177], v[172:173] op_sel:[0,1]
	v_pk_add_f32 v[130:131], v[130:131], v[178:179] neg_lo:[0,1] neg_hi:[0,1]
	s_delay_alu instid0(VALU_DEP_2) | instskip(SKIP_1) | instid1(VALU_DEP_1)
	v_pk_fma_f32 v[178:179], v[176:177], v[170:171], v[174:175] op_sel:[0,0,1] op_sel_hi:[1,1,0] neg_lo:[0,0,1] neg_hi:[0,0,1]
	v_pk_fma_f32 v[174:175], v[176:177], v[170:171], v[174:175] op_sel:[0,0,1] op_sel_hi:[1,0,0]
	v_mov_b32_e32 v179, v175
	ds_load_b64 v[174:175], v214 offset:272
	v_pk_add_f32 v[122:123], v[122:123], v[178:179] neg_lo:[0,1] neg_hi:[0,1]
	s_wait_dscnt 0x0
	v_pk_mul_f32 v[172:173], v[174:175], v[172:173] op_sel:[0,1]
	s_delay_alu instid0(VALU_DEP_1) | instskip(SKIP_1) | instid1(VALU_DEP_1)
	v_pk_fma_f32 v[176:177], v[174:175], v[170:171], v[172:173] op_sel:[0,0,1] op_sel_hi:[1,1,0] neg_lo:[0,0,1] neg_hi:[0,0,1]
	v_pk_fma_f32 v[170:171], v[174:175], v[170:171], v[172:173] op_sel:[0,0,1] op_sel_hi:[1,0,0]
	v_mov_b32_e32 v177, v171
	s_delay_alu instid0(VALU_DEP_1)
	v_pk_add_f32 v[140:141], v[140:141], v[176:177] neg_lo:[0,1] neg_hi:[0,1]
.LBB69_127:
	s_or_b32 exec_lo, exec_lo, s1
	s_delay_alu instid0(SALU_CYCLE_1)
	s_mov_b32 s2, exec_lo
	s_wait_dscnt 0x0
	s_barrier_signal -1
	s_barrier_wait -1
	v_cmpx_eq_u32_e32 14, v212
	s_cbranch_execz .LBB69_134
; %bb.128:
	ds_store_b64 v213, v[60:61]
	ds_store_2addr_b64 v214, v[56:57], v[72:73] offset0:15 offset1:16
	ds_store_2addr_b64 v214, v[112:113], v[114:115] offset0:17 offset1:18
	;; [unrolled: 1-line block ×10, first 2 shown]
	ds_load_b64 v[170:171], v213
	s_wait_dscnt 0x0
	v_cmp_neq_f32_e32 vcc_lo, 0, v170
	v_cmp_neq_f32_e64 s1, 0, v171
	s_or_b32 s1, vcc_lo, s1
	s_delay_alu instid0(SALU_CYCLE_1)
	s_and_b32 exec_lo, exec_lo, s1
	s_cbranch_execz .LBB69_134
; %bb.129:
	v_cmp_ngt_f32_e64 s1, |v170|, |v171|
                                        ; implicit-def: $vgpr172_vgpr173
	s_and_saveexec_b32 s4, s1
	s_delay_alu instid0(SALU_CYCLE_1)
	s_xor_b32 s1, exec_lo, s4
	s_cbranch_execz .LBB69_131
; %bb.130:
	v_div_scale_f32 v172, null, v171, v171, v170
	v_div_scale_f32 v175, vcc_lo, v170, v171, v170
	s_delay_alu instid0(VALU_DEP_2) | instskip(SKIP_1) | instid1(TRANS32_DEP_1)
	v_rcp_f32_e32 v173, v172
	v_nop
	v_fma_f32 v174, -v172, v173, 1.0
	s_delay_alu instid0(VALU_DEP_1) | instskip(NEXT) | instid1(VALU_DEP_1)
	v_fmac_f32_e32 v173, v174, v173
	v_mul_f32_e32 v174, v175, v173
	s_delay_alu instid0(VALU_DEP_1) | instskip(NEXT) | instid1(VALU_DEP_1)
	v_fma_f32 v176, -v172, v174, v175
	v_fmac_f32_e32 v174, v176, v173
	s_delay_alu instid0(VALU_DEP_1) | instskip(NEXT) | instid1(VALU_DEP_1)
	v_fma_f32 v172, -v172, v174, v175
	v_div_fmas_f32 v172, v172, v173, v174
	s_delay_alu instid0(VALU_DEP_1) | instskip(NEXT) | instid1(VALU_DEP_1)
	v_div_fixup_f32 v172, v172, v171, v170
	v_fmac_f32_e32 v171, v170, v172
	s_delay_alu instid0(VALU_DEP_1) | instskip(SKIP_1) | instid1(VALU_DEP_2)
	v_div_scale_f32 v170, null, v171, v171, 1.0
	v_div_scale_f32 v175, vcc_lo, 1.0, v171, 1.0
	v_rcp_f32_e32 v173, v170
	v_nop
	s_delay_alu instid0(TRANS32_DEP_1) | instskip(NEXT) | instid1(VALU_DEP_1)
	v_fma_f32 v174, -v170, v173, 1.0
	v_fmac_f32_e32 v173, v174, v173
	s_delay_alu instid0(VALU_DEP_1) | instskip(NEXT) | instid1(VALU_DEP_1)
	v_mul_f32_e32 v174, v175, v173
	v_fma_f32 v176, -v170, v174, v175
	s_delay_alu instid0(VALU_DEP_1) | instskip(NEXT) | instid1(VALU_DEP_1)
	v_fmac_f32_e32 v174, v176, v173
	v_fma_f32 v170, -v170, v174, v175
	s_delay_alu instid0(VALU_DEP_1) | instskip(NEXT) | instid1(VALU_DEP_1)
	v_div_fmas_f32 v170, v170, v173, v174
	v_div_fixup_f32 v170, v170, v171, 1.0
	s_delay_alu instid0(VALU_DEP_1)
	v_mul_f32_e32 v172, v172, v170
	v_xor_b32_e32 v173, 0x80000000, v170
                                        ; implicit-def: $vgpr170_vgpr171
.LBB69_131:
	s_and_not1_saveexec_b32 s1, s1
	s_cbranch_execz .LBB69_133
; %bb.132:
	v_div_scale_f32 v172, null, v170, v170, v171
	v_div_scale_f32 v175, vcc_lo, v171, v170, v171
	s_delay_alu instid0(VALU_DEP_2) | instskip(SKIP_1) | instid1(TRANS32_DEP_1)
	v_rcp_f32_e32 v173, v172
	v_nop
	v_fma_f32 v174, -v172, v173, 1.0
	s_delay_alu instid0(VALU_DEP_1) | instskip(NEXT) | instid1(VALU_DEP_1)
	v_fmac_f32_e32 v173, v174, v173
	v_mul_f32_e32 v174, v175, v173
	s_delay_alu instid0(VALU_DEP_1) | instskip(NEXT) | instid1(VALU_DEP_1)
	v_fma_f32 v176, -v172, v174, v175
	v_fmac_f32_e32 v174, v176, v173
	s_delay_alu instid0(VALU_DEP_1) | instskip(NEXT) | instid1(VALU_DEP_1)
	v_fma_f32 v172, -v172, v174, v175
	v_div_fmas_f32 v172, v172, v173, v174
	s_delay_alu instid0(VALU_DEP_1) | instskip(NEXT) | instid1(VALU_DEP_1)
	v_div_fixup_f32 v173, v172, v170, v171
	v_fmac_f32_e32 v170, v171, v173
	s_delay_alu instid0(VALU_DEP_1) | instskip(NEXT) | instid1(VALU_DEP_1)
	v_div_scale_f32 v171, null, v170, v170, 1.0
	v_rcp_f32_e32 v172, v171
	v_nop
	s_delay_alu instid0(TRANS32_DEP_1) | instskip(NEXT) | instid1(VALU_DEP_1)
	v_fma_f32 v174, -v171, v172, 1.0
	v_fmac_f32_e32 v172, v174, v172
	v_div_scale_f32 v174, vcc_lo, 1.0, v170, 1.0
	s_delay_alu instid0(VALU_DEP_1) | instskip(NEXT) | instid1(VALU_DEP_1)
	v_mul_f32_e32 v175, v174, v172
	v_fma_f32 v176, -v171, v175, v174
	s_delay_alu instid0(VALU_DEP_1) | instskip(NEXT) | instid1(VALU_DEP_1)
	v_fmac_f32_e32 v175, v176, v172
	v_fma_f32 v171, -v171, v175, v174
	s_delay_alu instid0(VALU_DEP_1) | instskip(NEXT) | instid1(VALU_DEP_1)
	v_div_fmas_f32 v171, v171, v172, v175
	v_div_fixup_f32 v172, v171, v170, 1.0
	s_delay_alu instid0(VALU_DEP_1)
	v_mul_f32_e64 v173, v173, -v172
.LBB69_133:
	s_or_b32 exec_lo, exec_lo, s1
	ds_store_b64 v213, v[172:173]
.LBB69_134:
	s_or_b32 exec_lo, exec_lo, s2
	s_wait_dscnt 0x0
	s_barrier_signal -1
	s_barrier_wait -1
	ds_load_b64 v[170:171], v213
	s_mov_b32 s1, exec_lo
	v_cmpx_lt_u32_e32 14, v212
	s_cbranch_execz .LBB69_136
; %bb.135:
	ds_load_2addr_b64 v[176:179], v214 offset0:15 offset1:16
	s_wait_dscnt 0x1
	v_pk_mul_f32 v[174:175], v[170:171], v[60:61] op_sel:[1,1] op_sel_hi:[0,1]
	s_delay_alu instid0(VALU_DEP_1) | instskip(SKIP_1) | instid1(VALU_DEP_1)
	v_pk_fma_f32 v[172:173], v[170:171], v[60:61], v[174:175] op_sel_hi:[1,0,1] neg_lo:[0,0,1] neg_hi:[0,0,1]
	v_pk_fma_f32 v[174:175], v[170:171], v[60:61], v[174:175] op_sel_hi:[1,0,1]
	v_dual_mov_b32 v60, v172 :: v_dual_mov_b32 v61, v175
	s_wait_dscnt 0x0
	s_delay_alu instid0(VALU_DEP_2) | instskip(NEXT) | instid1(VALU_DEP_1)
	v_pk_mul_f32 v[180:181], v[176:177], v[174:175] op_sel:[0,1]
	v_pk_fma_f32 v[182:183], v[176:177], v[172:173], v[180:181] op_sel:[0,0,1] op_sel_hi:[1,1,0] neg_lo:[0,0,1] neg_hi:[0,0,1]
	v_pk_fma_f32 v[176:177], v[176:177], v[172:173], v[180:181] op_sel:[0,0,1] op_sel_hi:[1,0,0]
	s_delay_alu instid0(VALU_DEP_1) | instskip(SKIP_1) | instid1(VALU_DEP_1)
	v_mov_b32_e32 v183, v177
	v_pk_mul_f32 v[176:177], v[178:179], v[174:175] op_sel:[0,1]
	v_pk_fma_f32 v[180:181], v[178:179], v[172:173], v[176:177] op_sel:[0,0,1] op_sel_hi:[1,1,0] neg_lo:[0,0,1] neg_hi:[0,0,1]
	v_pk_fma_f32 v[176:177], v[178:179], v[172:173], v[176:177] op_sel:[0,0,1] op_sel_hi:[1,0,0]
	s_delay_alu instid0(VALU_DEP_1)
	v_mov_b32_e32 v181, v177
	ds_load_2addr_b64 v[176:179], v214 offset0:17 offset1:18
	v_pk_add_f32 v[56:57], v[56:57], v[182:183] neg_lo:[0,1] neg_hi:[0,1]
	v_pk_add_f32 v[72:73], v[72:73], v[180:181] neg_lo:[0,1] neg_hi:[0,1]
	s_wait_dscnt 0x0
	v_pk_mul_f32 v[180:181], v[176:177], v[174:175] op_sel:[0,1]
	s_delay_alu instid0(VALU_DEP_1) | instskip(SKIP_2) | instid1(VALU_DEP_2)
	v_pk_fma_f32 v[182:183], v[176:177], v[172:173], v[180:181] op_sel:[0,0,1] op_sel_hi:[1,1,0] neg_lo:[0,0,1] neg_hi:[0,0,1]
	v_pk_fma_f32 v[176:177], v[176:177], v[172:173], v[180:181] op_sel:[0,0,1] op_sel_hi:[1,0,0]
	v_dual_mul_f32 v180, v179, v175 :: v_dual_mov_b32 v176, v179
	v_dual_mov_b32 v183, v177 :: v_dual_mov_b32 v177, v178
	s_delay_alu instid0(VALU_DEP_2) | instskip(SKIP_1) | instid1(VALU_DEP_3)
	v_pk_fma_f32 v[180:181], v[178:179], v[60:61], v[180:181] op_sel_hi:[1,1,0] neg_lo:[0,0,1] neg_hi:[0,0,1]
	v_mul_f32_e32 v178, v179, v172
	v_pk_add_f32 v[112:113], v[112:113], v[182:183] neg_lo:[0,1] neg_hi:[0,1]
	s_delay_alu instid0(VALU_DEP_2) | instskip(NEXT) | instid1(VALU_DEP_1)
	v_pk_fma_f32 v[176:177], v[176:177], v[60:61], v[178:179] op_sel_hi:[1,1,0]
	v_mov_b32_e32 v181, v177
	ds_load_2addr_b64 v[176:179], v214 offset0:19 offset1:20
	v_pk_add_f32 v[114:115], v[114:115], v[180:181] neg_lo:[0,1] neg_hi:[0,1]
	s_wait_dscnt 0x0
	v_pk_mul_f32 v[180:181], v[176:177], v[174:175] op_sel:[0,1]
	s_delay_alu instid0(VALU_DEP_1) | instskip(SKIP_1) | instid1(VALU_DEP_1)
	v_pk_fma_f32 v[182:183], v[176:177], v[172:173], v[180:181] op_sel:[0,0,1] op_sel_hi:[1,1,0] neg_lo:[0,0,1] neg_hi:[0,0,1]
	v_pk_fma_f32 v[176:177], v[176:177], v[172:173], v[180:181] op_sel:[0,0,1] op_sel_hi:[1,0,0]
	v_mov_b32_e32 v183, v177
	v_pk_mul_f32 v[176:177], v[178:179], v[174:175] op_sel:[0,1]
	s_delay_alu instid0(VALU_DEP_1) | instskip(SKIP_1) | instid1(VALU_DEP_1)
	v_pk_fma_f32 v[180:181], v[178:179], v[172:173], v[176:177] op_sel:[0,0,1] op_sel_hi:[1,1,0] neg_lo:[0,0,1] neg_hi:[0,0,1]
	v_pk_fma_f32 v[176:177], v[178:179], v[172:173], v[176:177] op_sel:[0,0,1] op_sel_hi:[1,0,0]
	v_mov_b32_e32 v181, v177
	ds_load_2addr_b64 v[176:179], v214 offset0:21 offset1:22
	v_pk_add_f32 v[94:95], v[94:95], v[182:183] neg_lo:[0,1] neg_hi:[0,1]
	v_pk_add_f32 v[128:129], v[128:129], v[180:181] neg_lo:[0,1] neg_hi:[0,1]
	s_wait_dscnt 0x0
	v_pk_mul_f32 v[180:181], v[176:177], v[174:175] op_sel:[0,1]
	s_delay_alu instid0(VALU_DEP_1) | instskip(SKIP_1) | instid1(VALU_DEP_1)
	v_pk_fma_f32 v[182:183], v[176:177], v[172:173], v[180:181] op_sel:[0,0,1] op_sel_hi:[1,1,0] neg_lo:[0,0,1] neg_hi:[0,0,1]
	v_pk_fma_f32 v[176:177], v[176:177], v[172:173], v[180:181] op_sel:[0,0,1] op_sel_hi:[1,0,0]
	v_mov_b32_e32 v183, v177
	v_pk_mul_f32 v[176:177], v[178:179], v[174:175] op_sel:[0,1]
	s_delay_alu instid0(VALU_DEP_1) | instskip(SKIP_1) | instid1(VALU_DEP_1)
	v_pk_fma_f32 v[180:181], v[178:179], v[172:173], v[176:177] op_sel:[0,0,1] op_sel_hi:[1,1,0] neg_lo:[0,0,1] neg_hi:[0,0,1]
	v_pk_fma_f32 v[176:177], v[178:179], v[172:173], v[176:177] op_sel:[0,0,1] op_sel_hi:[1,0,0]
	v_mov_b32_e32 v181, v177
	ds_load_2addr_b64 v[176:179], v214 offset0:23 offset1:24
	v_pk_add_f32 v[124:125], v[124:125], v[182:183] neg_lo:[0,1] neg_hi:[0,1]
	v_pk_add_f32 v[126:127], v[126:127], v[180:181] neg_lo:[0,1] neg_hi:[0,1]
	s_wait_dscnt 0x0
	v_dual_mul_f32 v180, v177, v175 :: v_dual_mul_f32 v182, v177, v172
	s_delay_alu instid0(VALU_DEP_1) | instskip(NEXT) | instid1(VALU_DEP_2)
	v_pk_fma_f32 v[180:181], v[176:177], v[60:61], v[180:181] op_sel_hi:[1,1,0] neg_lo:[0,0,1] neg_hi:[0,0,1]
	v_pk_fma_f32 v[176:177], v[176:177], v[60:61], v[182:183] op_sel:[1,0,0] op_sel_hi:[0,1,0]
	s_delay_alu instid0(VALU_DEP_1) | instskip(SKIP_1) | instid1(VALU_DEP_2)
	v_mov_b32_e32 v181, v177
	v_pk_mul_f32 v[176:177], v[178:179], v[174:175] op_sel:[0,1]
	v_pk_add_f32 v[138:139], v[138:139], v[180:181] neg_lo:[0,1] neg_hi:[0,1]
	s_delay_alu instid0(VALU_DEP_2) | instskip(SKIP_1) | instid1(VALU_DEP_1)
	v_pk_fma_f32 v[180:181], v[178:179], v[172:173], v[176:177] op_sel:[0,0,1] op_sel_hi:[1,1,0] neg_lo:[0,0,1] neg_hi:[0,0,1]
	v_pk_fma_f32 v[176:177], v[178:179], v[172:173], v[176:177] op_sel:[0,0,1] op_sel_hi:[1,0,0]
	v_mov_b32_e32 v181, v177
	ds_load_2addr_b64 v[176:179], v214 offset0:25 offset1:26
	v_pk_add_f32 v[136:137], v[136:137], v[180:181] neg_lo:[0,1] neg_hi:[0,1]
	s_wait_dscnt 0x0
	v_pk_mul_f32 v[180:181], v[176:177], v[174:175] op_sel:[0,1]
	s_delay_alu instid0(VALU_DEP_1) | instskip(SKIP_1) | instid1(VALU_DEP_1)
	v_pk_fma_f32 v[182:183], v[176:177], v[172:173], v[180:181] op_sel:[0,0,1] op_sel_hi:[1,1,0] neg_lo:[0,0,1] neg_hi:[0,0,1]
	v_pk_fma_f32 v[176:177], v[176:177], v[172:173], v[180:181] op_sel:[0,0,1] op_sel_hi:[1,0,0]
	v_mov_b32_e32 v183, v177
	v_pk_mul_f32 v[176:177], v[178:179], v[174:175] op_sel:[0,1]
	s_delay_alu instid0(VALU_DEP_2) | instskip(NEXT) | instid1(VALU_DEP_2)
	v_pk_add_f32 v[134:135], v[134:135], v[182:183] neg_lo:[0,1] neg_hi:[0,1]
	v_pk_fma_f32 v[180:181], v[178:179], v[172:173], v[176:177] op_sel:[0,0,1] op_sel_hi:[1,1,0] neg_lo:[0,0,1] neg_hi:[0,0,1]
	v_pk_fma_f32 v[176:177], v[178:179], v[172:173], v[176:177] op_sel:[0,0,1] op_sel_hi:[1,0,0]
	s_delay_alu instid0(VALU_DEP_1) | instskip(SKIP_4) | instid1(VALU_DEP_1)
	v_mov_b32_e32 v181, v177
	ds_load_2addr_b64 v[176:179], v214 offset0:27 offset1:28
	v_pk_add_f32 v[100:101], v[100:101], v[180:181] neg_lo:[0,1] neg_hi:[0,1]
	s_wait_dscnt 0x0
	v_pk_mul_f32 v[180:181], v[176:177], v[174:175] op_sel:[0,1]
	v_pk_fma_f32 v[182:183], v[176:177], v[172:173], v[180:181] op_sel:[0,0,1] op_sel_hi:[1,1,0] neg_lo:[0,0,1] neg_hi:[0,0,1]
	v_pk_fma_f32 v[176:177], v[176:177], v[172:173], v[180:181] op_sel:[0,0,1] op_sel_hi:[1,0,0]
	v_dual_mul_f32 v180, v179, v175 :: v_dual_mov_b32 v176, v179
	s_delay_alu instid0(VALU_DEP_2) | instskip(NEXT) | instid1(VALU_DEP_2)
	v_dual_mov_b32 v183, v177 :: v_dual_mov_b32 v177, v178
	v_pk_fma_f32 v[180:181], v[178:179], v[60:61], v[180:181] op_sel_hi:[1,1,0] neg_lo:[0,0,1] neg_hi:[0,0,1]
	v_mul_f32_e32 v178, v179, v172
	s_delay_alu instid0(VALU_DEP_3) | instskip(NEXT) | instid1(VALU_DEP_2)
	v_pk_add_f32 v[98:99], v[98:99], v[182:183] neg_lo:[0,1] neg_hi:[0,1]
	v_pk_fma_f32 v[176:177], v[176:177], v[60:61], v[178:179] op_sel_hi:[1,1,0]
	s_delay_alu instid0(VALU_DEP_1) | instskip(SKIP_4) | instid1(VALU_DEP_1)
	v_mov_b32_e32 v181, v177
	ds_load_2addr_b64 v[176:179], v214 offset0:29 offset1:30
	v_pk_add_f32 v[120:121], v[120:121], v[180:181] neg_lo:[0,1] neg_hi:[0,1]
	s_wait_dscnt 0x0
	v_pk_mul_f32 v[180:181], v[176:177], v[174:175] op_sel:[0,1]
	v_pk_fma_f32 v[182:183], v[176:177], v[172:173], v[180:181] op_sel:[0,0,1] op_sel_hi:[1,1,0] neg_lo:[0,0,1] neg_hi:[0,0,1]
	v_pk_fma_f32 v[176:177], v[176:177], v[172:173], v[180:181] op_sel:[0,0,1] op_sel_hi:[1,0,0]
	s_delay_alu instid0(VALU_DEP_1) | instskip(SKIP_1) | instid1(VALU_DEP_1)
	v_mov_b32_e32 v183, v177
	v_pk_mul_f32 v[176:177], v[178:179], v[174:175] op_sel:[0,1]
	v_pk_fma_f32 v[180:181], v[178:179], v[172:173], v[176:177] op_sel:[0,0,1] op_sel_hi:[1,1,0] neg_lo:[0,0,1] neg_hi:[0,0,1]
	v_pk_fma_f32 v[176:177], v[178:179], v[172:173], v[176:177] op_sel:[0,0,1] op_sel_hi:[1,0,0]
	s_delay_alu instid0(VALU_DEP_1)
	v_mov_b32_e32 v181, v177
	ds_load_2addr_b64 v[176:179], v214 offset0:31 offset1:32
	v_pk_add_f32 v[116:117], v[116:117], v[182:183] neg_lo:[0,1] neg_hi:[0,1]
	v_pk_add_f32 v[118:119], v[118:119], v[180:181] neg_lo:[0,1] neg_hi:[0,1]
	s_wait_dscnt 0x0
	v_pk_mul_f32 v[180:181], v[176:177], v[174:175] op_sel:[0,1]
	s_delay_alu instid0(VALU_DEP_1) | instskip(SKIP_1) | instid1(VALU_DEP_1)
	v_pk_fma_f32 v[182:183], v[176:177], v[172:173], v[180:181] op_sel:[0,0,1] op_sel_hi:[1,1,0] neg_lo:[0,0,1] neg_hi:[0,0,1]
	v_pk_fma_f32 v[176:177], v[176:177], v[172:173], v[180:181] op_sel:[0,0,1] op_sel_hi:[1,0,0]
	v_mov_b32_e32 v183, v177
	v_pk_mul_f32 v[176:177], v[178:179], v[174:175] op_sel:[0,1]
	s_delay_alu instid0(VALU_DEP_1) | instskip(SKIP_1) | instid1(VALU_DEP_1)
	v_pk_fma_f32 v[180:181], v[178:179], v[172:173], v[176:177] op_sel:[0,0,1] op_sel_hi:[1,1,0] neg_lo:[0,0,1] neg_hi:[0,0,1]
	v_pk_fma_f32 v[176:177], v[178:179], v[172:173], v[176:177] op_sel:[0,0,1] op_sel_hi:[1,0,0]
	v_mov_b32_e32 v181, v177
	ds_load_2addr_b64 v[176:179], v214 offset0:33 offset1:34
	v_pk_add_f32 v[132:133], v[132:133], v[182:183] neg_lo:[0,1] neg_hi:[0,1]
	v_pk_add_f32 v[130:131], v[130:131], v[180:181] neg_lo:[0,1] neg_hi:[0,1]
	s_wait_dscnt 0x0
	v_dual_mul_f32 v180, v177, v175 :: v_dual_mul_f32 v182, v177, v172
	v_pk_mul_f32 v[174:175], v[178:179], v[174:175] op_sel:[0,1]
	s_delay_alu instid0(VALU_DEP_2) | instskip(NEXT) | instid1(VALU_DEP_3)
	v_pk_fma_f32 v[180:181], v[176:177], v[60:61], v[180:181] op_sel_hi:[1,1,0] neg_lo:[0,0,1] neg_hi:[0,0,1]
	v_pk_fma_f32 v[176:177], v[176:177], v[60:61], v[182:183] op_sel:[1,0,0] op_sel_hi:[0,1,0]
	s_delay_alu instid0(VALU_DEP_1) | instskip(NEXT) | instid1(VALU_DEP_4)
	v_mov_b32_e32 v181, v177
	v_pk_fma_f32 v[176:177], v[178:179], v[172:173], v[174:175] op_sel:[0,0,1] op_sel_hi:[1,1,0] neg_lo:[0,0,1] neg_hi:[0,0,1]
	v_pk_fma_f32 v[172:173], v[178:179], v[172:173], v[174:175] op_sel:[0,0,1] op_sel_hi:[1,0,0]
	s_delay_alu instid0(VALU_DEP_1) | instskip(NEXT) | instid1(VALU_DEP_4)
	v_mov_b32_e32 v177, v173
	v_pk_add_f32 v[122:123], v[122:123], v[180:181] neg_lo:[0,1] neg_hi:[0,1]
	s_delay_alu instid0(VALU_DEP_2)
	v_pk_add_f32 v[140:141], v[140:141], v[176:177] neg_lo:[0,1] neg_hi:[0,1]
.LBB69_136:
	s_or_b32 exec_lo, exec_lo, s1
	s_delay_alu instid0(SALU_CYCLE_1)
	s_mov_b32 s2, exec_lo
	s_wait_dscnt 0x0
	s_barrier_signal -1
	s_barrier_wait -1
	v_cmpx_eq_u32_e32 15, v212
	s_cbranch_execz .LBB69_143
; %bb.137:
	v_dual_mov_b32 v172, v72 :: v_dual_mov_b32 v173, v73
	v_dual_mov_b32 v174, v112 :: v_dual_mov_b32 v175, v113
	ds_store_b64 v213, v[56:57]
	ds_store_2addr_b64 v214, v[172:173], v[174:175] offset0:16 offset1:17
	v_dual_mov_b32 v172, v114 :: v_dual_mov_b32 v173, v115
	v_dual_mov_b32 v174, v94 :: v_dual_mov_b32 v175, v95
	ds_store_2addr_b64 v214, v[172:173], v[174:175] offset0:18 offset1:19
	v_dual_mov_b32 v172, v128 :: v_dual_mov_b32 v173, v129
	v_dual_mov_b32 v174, v124 :: v_dual_mov_b32 v175, v125
	;; [unrolled: 3-line block ×8, first 2 shown]
	ds_store_2addr_b64 v214, v[172:173], v[174:175] offset0:32 offset1:33
	ds_store_b64 v214, v[140:141] offset:272
	ds_load_b64 v[172:173], v213
	s_wait_dscnt 0x0
	v_cmp_neq_f32_e32 vcc_lo, 0, v172
	v_cmp_neq_f32_e64 s1, 0, v173
	s_or_b32 s1, vcc_lo, s1
	s_delay_alu instid0(SALU_CYCLE_1)
	s_and_b32 exec_lo, exec_lo, s1
	s_cbranch_execz .LBB69_143
; %bb.138:
	v_cmp_ngt_f32_e64 s1, |v172|, |v173|
                                        ; implicit-def: $vgpr174_vgpr175
	s_and_saveexec_b32 s4, s1
	s_delay_alu instid0(SALU_CYCLE_1)
	s_xor_b32 s1, exec_lo, s4
	s_cbranch_execz .LBB69_140
; %bb.139:
	v_div_scale_f32 v174, null, v173, v173, v172
	v_div_scale_f32 v177, vcc_lo, v172, v173, v172
	s_delay_alu instid0(VALU_DEP_2) | instskip(SKIP_1) | instid1(TRANS32_DEP_1)
	v_rcp_f32_e32 v175, v174
	v_nop
	v_fma_f32 v176, -v174, v175, 1.0
	s_delay_alu instid0(VALU_DEP_1) | instskip(NEXT) | instid1(VALU_DEP_1)
	v_fmac_f32_e32 v175, v176, v175
	v_mul_f32_e32 v176, v177, v175
	s_delay_alu instid0(VALU_DEP_1) | instskip(NEXT) | instid1(VALU_DEP_1)
	v_fma_f32 v178, -v174, v176, v177
	v_fmac_f32_e32 v176, v178, v175
	s_delay_alu instid0(VALU_DEP_1) | instskip(NEXT) | instid1(VALU_DEP_1)
	v_fma_f32 v174, -v174, v176, v177
	v_div_fmas_f32 v174, v174, v175, v176
	s_delay_alu instid0(VALU_DEP_1) | instskip(NEXT) | instid1(VALU_DEP_1)
	v_div_fixup_f32 v174, v174, v173, v172
	v_fmac_f32_e32 v173, v172, v174
	s_delay_alu instid0(VALU_DEP_1) | instskip(SKIP_1) | instid1(VALU_DEP_2)
	v_div_scale_f32 v172, null, v173, v173, 1.0
	v_div_scale_f32 v177, vcc_lo, 1.0, v173, 1.0
	v_rcp_f32_e32 v175, v172
	v_nop
	s_delay_alu instid0(TRANS32_DEP_1) | instskip(NEXT) | instid1(VALU_DEP_1)
	v_fma_f32 v176, -v172, v175, 1.0
	v_fmac_f32_e32 v175, v176, v175
	s_delay_alu instid0(VALU_DEP_1) | instskip(NEXT) | instid1(VALU_DEP_1)
	v_mul_f32_e32 v176, v177, v175
	v_fma_f32 v178, -v172, v176, v177
	s_delay_alu instid0(VALU_DEP_1) | instskip(NEXT) | instid1(VALU_DEP_1)
	v_fmac_f32_e32 v176, v178, v175
	v_fma_f32 v172, -v172, v176, v177
	s_delay_alu instid0(VALU_DEP_1) | instskip(NEXT) | instid1(VALU_DEP_1)
	v_div_fmas_f32 v172, v172, v175, v176
	v_div_fixup_f32 v172, v172, v173, 1.0
	s_delay_alu instid0(VALU_DEP_1)
	v_mul_f32_e32 v174, v174, v172
	v_xor_b32_e32 v175, 0x80000000, v172
                                        ; implicit-def: $vgpr172_vgpr173
.LBB69_140:
	s_and_not1_saveexec_b32 s1, s1
	s_cbranch_execz .LBB69_142
; %bb.141:
	v_div_scale_f32 v174, null, v172, v172, v173
	v_div_scale_f32 v177, vcc_lo, v173, v172, v173
	s_delay_alu instid0(VALU_DEP_2) | instskip(SKIP_1) | instid1(TRANS32_DEP_1)
	v_rcp_f32_e32 v175, v174
	v_nop
	v_fma_f32 v176, -v174, v175, 1.0
	s_delay_alu instid0(VALU_DEP_1) | instskip(NEXT) | instid1(VALU_DEP_1)
	v_fmac_f32_e32 v175, v176, v175
	v_mul_f32_e32 v176, v177, v175
	s_delay_alu instid0(VALU_DEP_1) | instskip(NEXT) | instid1(VALU_DEP_1)
	v_fma_f32 v178, -v174, v176, v177
	v_fmac_f32_e32 v176, v178, v175
	s_delay_alu instid0(VALU_DEP_1) | instskip(NEXT) | instid1(VALU_DEP_1)
	v_fma_f32 v174, -v174, v176, v177
	v_div_fmas_f32 v174, v174, v175, v176
	s_delay_alu instid0(VALU_DEP_1) | instskip(NEXT) | instid1(VALU_DEP_1)
	v_div_fixup_f32 v175, v174, v172, v173
	v_fmac_f32_e32 v172, v173, v175
	s_delay_alu instid0(VALU_DEP_1) | instskip(NEXT) | instid1(VALU_DEP_1)
	v_div_scale_f32 v173, null, v172, v172, 1.0
	v_rcp_f32_e32 v174, v173
	v_nop
	s_delay_alu instid0(TRANS32_DEP_1) | instskip(NEXT) | instid1(VALU_DEP_1)
	v_fma_f32 v176, -v173, v174, 1.0
	v_fmac_f32_e32 v174, v176, v174
	v_div_scale_f32 v176, vcc_lo, 1.0, v172, 1.0
	s_delay_alu instid0(VALU_DEP_1) | instskip(NEXT) | instid1(VALU_DEP_1)
	v_mul_f32_e32 v177, v176, v174
	v_fma_f32 v178, -v173, v177, v176
	s_delay_alu instid0(VALU_DEP_1) | instskip(NEXT) | instid1(VALU_DEP_1)
	v_fmac_f32_e32 v177, v178, v174
	v_fma_f32 v173, -v173, v177, v176
	s_delay_alu instid0(VALU_DEP_1) | instskip(NEXT) | instid1(VALU_DEP_1)
	v_div_fmas_f32 v173, v173, v174, v177
	v_div_fixup_f32 v174, v173, v172, 1.0
	s_delay_alu instid0(VALU_DEP_1)
	v_mul_f32_e64 v175, v175, -v174
.LBB69_142:
	s_or_b32 exec_lo, exec_lo, s1
	ds_store_b64 v213, v[174:175]
.LBB69_143:
	s_or_b32 exec_lo, exec_lo, s2
	s_wait_dscnt 0x0
	s_barrier_signal -1
	s_barrier_wait -1
	ds_load_b64 v[172:173], v213
	s_mov_b32 s1, exec_lo
	v_cmpx_lt_u32_e32 15, v212
	s_cbranch_execz .LBB69_145
; %bb.144:
	ds_load_2addr_b64 v[178:181], v214 offset0:16 offset1:17
	s_wait_dscnt 0x1
	v_pk_mul_f32 v[176:177], v[172:173], v[56:57] op_sel:[1,1] op_sel_hi:[0,1]
	s_delay_alu instid0(VALU_DEP_1) | instskip(SKIP_1) | instid1(VALU_DEP_1)
	v_pk_fma_f32 v[174:175], v[172:173], v[56:57], v[176:177] op_sel_hi:[1,0,1] neg_lo:[0,0,1] neg_hi:[0,0,1]
	v_pk_fma_f32 v[176:177], v[172:173], v[56:57], v[176:177] op_sel_hi:[1,0,1]
	v_dual_mov_b32 v56, v174 :: v_dual_mov_b32 v57, v177
	s_wait_dscnt 0x0
	s_delay_alu instid0(VALU_DEP_2) | instskip(NEXT) | instid1(VALU_DEP_1)
	v_pk_mul_f32 v[182:183], v[178:179], v[176:177] op_sel:[0,1]
	v_pk_fma_f32 v[184:185], v[178:179], v[174:175], v[182:183] op_sel:[0,0,1] op_sel_hi:[1,1,0] neg_lo:[0,0,1] neg_hi:[0,0,1]
	v_pk_fma_f32 v[178:179], v[178:179], v[174:175], v[182:183] op_sel:[0,0,1] op_sel_hi:[1,0,0]
	s_delay_alu instid0(VALU_DEP_1) | instskip(SKIP_1) | instid1(VALU_DEP_1)
	v_mov_b32_e32 v185, v179
	v_pk_mul_f32 v[178:179], v[180:181], v[176:177] op_sel:[0,1]
	v_pk_fma_f32 v[182:183], v[180:181], v[174:175], v[178:179] op_sel:[0,0,1] op_sel_hi:[1,1,0] neg_lo:[0,0,1] neg_hi:[0,0,1]
	v_pk_fma_f32 v[178:179], v[180:181], v[174:175], v[178:179] op_sel:[0,0,1] op_sel_hi:[1,0,0]
	s_delay_alu instid0(VALU_DEP_1)
	v_mov_b32_e32 v183, v179
	ds_load_2addr_b64 v[178:181], v214 offset0:18 offset1:19
	v_pk_add_f32 v[72:73], v[72:73], v[184:185] neg_lo:[0,1] neg_hi:[0,1]
	v_pk_add_f32 v[112:113], v[112:113], v[182:183] neg_lo:[0,1] neg_hi:[0,1]
	s_wait_dscnt 0x0
	v_pk_mul_f32 v[182:183], v[178:179], v[176:177] op_sel:[0,1]
	s_delay_alu instid0(VALU_DEP_1) | instskip(SKIP_2) | instid1(VALU_DEP_2)
	v_pk_fma_f32 v[184:185], v[178:179], v[174:175], v[182:183] op_sel:[0,0,1] op_sel_hi:[1,1,0] neg_lo:[0,0,1] neg_hi:[0,0,1]
	v_pk_fma_f32 v[178:179], v[178:179], v[174:175], v[182:183] op_sel:[0,0,1] op_sel_hi:[1,0,0]
	v_dual_mul_f32 v182, v181, v177 :: v_dual_mov_b32 v178, v181
	v_dual_mov_b32 v185, v179 :: v_dual_mov_b32 v179, v180
	s_delay_alu instid0(VALU_DEP_2) | instskip(SKIP_1) | instid1(VALU_DEP_3)
	v_pk_fma_f32 v[182:183], v[180:181], v[56:57], v[182:183] op_sel_hi:[1,1,0] neg_lo:[0,0,1] neg_hi:[0,0,1]
	v_mul_f32_e32 v180, v181, v174
	v_pk_add_f32 v[114:115], v[114:115], v[184:185] neg_lo:[0,1] neg_hi:[0,1]
	s_delay_alu instid0(VALU_DEP_2) | instskip(NEXT) | instid1(VALU_DEP_1)
	v_pk_fma_f32 v[178:179], v[178:179], v[56:57], v[180:181] op_sel_hi:[1,1,0]
	v_mov_b32_e32 v183, v179
	ds_load_2addr_b64 v[178:181], v214 offset0:20 offset1:21
	v_pk_add_f32 v[94:95], v[94:95], v[182:183] neg_lo:[0,1] neg_hi:[0,1]
	s_wait_dscnt 0x0
	v_pk_mul_f32 v[182:183], v[178:179], v[176:177] op_sel:[0,1]
	s_delay_alu instid0(VALU_DEP_1) | instskip(SKIP_1) | instid1(VALU_DEP_1)
	v_pk_fma_f32 v[184:185], v[178:179], v[174:175], v[182:183] op_sel:[0,0,1] op_sel_hi:[1,1,0] neg_lo:[0,0,1] neg_hi:[0,0,1]
	v_pk_fma_f32 v[178:179], v[178:179], v[174:175], v[182:183] op_sel:[0,0,1] op_sel_hi:[1,0,0]
	v_mov_b32_e32 v185, v179
	v_pk_mul_f32 v[178:179], v[180:181], v[176:177] op_sel:[0,1]
	s_delay_alu instid0(VALU_DEP_1) | instskip(SKIP_1) | instid1(VALU_DEP_1)
	v_pk_fma_f32 v[182:183], v[180:181], v[174:175], v[178:179] op_sel:[0,0,1] op_sel_hi:[1,1,0] neg_lo:[0,0,1] neg_hi:[0,0,1]
	v_pk_fma_f32 v[178:179], v[180:181], v[174:175], v[178:179] op_sel:[0,0,1] op_sel_hi:[1,0,0]
	v_mov_b32_e32 v183, v179
	ds_load_2addr_b64 v[178:181], v214 offset0:22 offset1:23
	v_pk_add_f32 v[128:129], v[128:129], v[184:185] neg_lo:[0,1] neg_hi:[0,1]
	v_pk_add_f32 v[124:125], v[124:125], v[182:183] neg_lo:[0,1] neg_hi:[0,1]
	s_wait_dscnt 0x0
	v_pk_mul_f32 v[182:183], v[178:179], v[176:177] op_sel:[0,1]
	s_delay_alu instid0(VALU_DEP_1) | instskip(SKIP_1) | instid1(VALU_DEP_1)
	v_pk_fma_f32 v[184:185], v[178:179], v[174:175], v[182:183] op_sel:[0,0,1] op_sel_hi:[1,1,0] neg_lo:[0,0,1] neg_hi:[0,0,1]
	v_pk_fma_f32 v[178:179], v[178:179], v[174:175], v[182:183] op_sel:[0,0,1] op_sel_hi:[1,0,0]
	v_mov_b32_e32 v185, v179
	v_pk_mul_f32 v[178:179], v[180:181], v[176:177] op_sel:[0,1]
	s_delay_alu instid0(VALU_DEP_1) | instskip(SKIP_1) | instid1(VALU_DEP_1)
	v_pk_fma_f32 v[182:183], v[180:181], v[174:175], v[178:179] op_sel:[0,0,1] op_sel_hi:[1,1,0] neg_lo:[0,0,1] neg_hi:[0,0,1]
	v_pk_fma_f32 v[178:179], v[180:181], v[174:175], v[178:179] op_sel:[0,0,1] op_sel_hi:[1,0,0]
	v_mov_b32_e32 v183, v179
	ds_load_2addr_b64 v[178:181], v214 offset0:24 offset1:25
	v_pk_add_f32 v[126:127], v[126:127], v[184:185] neg_lo:[0,1] neg_hi:[0,1]
	v_pk_add_f32 v[138:139], v[138:139], v[182:183] neg_lo:[0,1] neg_hi:[0,1]
	s_wait_dscnt 0x0
	v_dual_mul_f32 v182, v179, v177 :: v_dual_mul_f32 v184, v179, v174
	s_delay_alu instid0(VALU_DEP_1) | instskip(NEXT) | instid1(VALU_DEP_2)
	v_pk_fma_f32 v[182:183], v[178:179], v[56:57], v[182:183] op_sel_hi:[1,1,0] neg_lo:[0,0,1] neg_hi:[0,0,1]
	v_pk_fma_f32 v[178:179], v[178:179], v[56:57], v[184:185] op_sel:[1,0,0] op_sel_hi:[0,1,0]
	s_delay_alu instid0(VALU_DEP_1) | instskip(SKIP_1) | instid1(VALU_DEP_2)
	v_mov_b32_e32 v183, v179
	v_pk_mul_f32 v[178:179], v[180:181], v[176:177] op_sel:[0,1]
	v_pk_add_f32 v[136:137], v[136:137], v[182:183] neg_lo:[0,1] neg_hi:[0,1]
	s_delay_alu instid0(VALU_DEP_2) | instskip(SKIP_1) | instid1(VALU_DEP_1)
	v_pk_fma_f32 v[182:183], v[180:181], v[174:175], v[178:179] op_sel:[0,0,1] op_sel_hi:[1,1,0] neg_lo:[0,0,1] neg_hi:[0,0,1]
	v_pk_fma_f32 v[178:179], v[180:181], v[174:175], v[178:179] op_sel:[0,0,1] op_sel_hi:[1,0,0]
	v_mov_b32_e32 v183, v179
	ds_load_2addr_b64 v[178:181], v214 offset0:26 offset1:27
	v_pk_add_f32 v[134:135], v[134:135], v[182:183] neg_lo:[0,1] neg_hi:[0,1]
	s_wait_dscnt 0x0
	v_pk_mul_f32 v[182:183], v[178:179], v[176:177] op_sel:[0,1]
	s_delay_alu instid0(VALU_DEP_1) | instskip(SKIP_1) | instid1(VALU_DEP_1)
	v_pk_fma_f32 v[184:185], v[178:179], v[174:175], v[182:183] op_sel:[0,0,1] op_sel_hi:[1,1,0] neg_lo:[0,0,1] neg_hi:[0,0,1]
	v_pk_fma_f32 v[178:179], v[178:179], v[174:175], v[182:183] op_sel:[0,0,1] op_sel_hi:[1,0,0]
	v_mov_b32_e32 v185, v179
	v_pk_mul_f32 v[178:179], v[180:181], v[176:177] op_sel:[0,1]
	s_delay_alu instid0(VALU_DEP_2) | instskip(NEXT) | instid1(VALU_DEP_2)
	v_pk_add_f32 v[100:101], v[100:101], v[184:185] neg_lo:[0,1] neg_hi:[0,1]
	v_pk_fma_f32 v[182:183], v[180:181], v[174:175], v[178:179] op_sel:[0,0,1] op_sel_hi:[1,1,0] neg_lo:[0,0,1] neg_hi:[0,0,1]
	v_pk_fma_f32 v[178:179], v[180:181], v[174:175], v[178:179] op_sel:[0,0,1] op_sel_hi:[1,0,0]
	s_delay_alu instid0(VALU_DEP_1) | instskip(SKIP_4) | instid1(VALU_DEP_1)
	v_mov_b32_e32 v183, v179
	ds_load_2addr_b64 v[178:181], v214 offset0:28 offset1:29
	v_pk_add_f32 v[98:99], v[98:99], v[182:183] neg_lo:[0,1] neg_hi:[0,1]
	s_wait_dscnt 0x0
	v_pk_mul_f32 v[182:183], v[178:179], v[176:177] op_sel:[0,1]
	v_pk_fma_f32 v[184:185], v[178:179], v[174:175], v[182:183] op_sel:[0,0,1] op_sel_hi:[1,1,0] neg_lo:[0,0,1] neg_hi:[0,0,1]
	v_pk_fma_f32 v[178:179], v[178:179], v[174:175], v[182:183] op_sel:[0,0,1] op_sel_hi:[1,0,0]
	v_dual_mul_f32 v182, v181, v177 :: v_dual_mov_b32 v178, v181
	s_delay_alu instid0(VALU_DEP_2) | instskip(NEXT) | instid1(VALU_DEP_2)
	v_dual_mov_b32 v185, v179 :: v_dual_mov_b32 v179, v180
	v_pk_fma_f32 v[182:183], v[180:181], v[56:57], v[182:183] op_sel_hi:[1,1,0] neg_lo:[0,0,1] neg_hi:[0,0,1]
	v_mul_f32_e32 v180, v181, v174
	s_delay_alu instid0(VALU_DEP_3) | instskip(NEXT) | instid1(VALU_DEP_2)
	v_pk_add_f32 v[120:121], v[120:121], v[184:185] neg_lo:[0,1] neg_hi:[0,1]
	v_pk_fma_f32 v[178:179], v[178:179], v[56:57], v[180:181] op_sel_hi:[1,1,0]
	s_delay_alu instid0(VALU_DEP_1) | instskip(SKIP_4) | instid1(VALU_DEP_1)
	v_mov_b32_e32 v183, v179
	ds_load_2addr_b64 v[178:181], v214 offset0:30 offset1:31
	v_pk_add_f32 v[116:117], v[116:117], v[182:183] neg_lo:[0,1] neg_hi:[0,1]
	s_wait_dscnt 0x0
	v_pk_mul_f32 v[182:183], v[178:179], v[176:177] op_sel:[0,1]
	v_pk_fma_f32 v[184:185], v[178:179], v[174:175], v[182:183] op_sel:[0,0,1] op_sel_hi:[1,1,0] neg_lo:[0,0,1] neg_hi:[0,0,1]
	v_pk_fma_f32 v[178:179], v[178:179], v[174:175], v[182:183] op_sel:[0,0,1] op_sel_hi:[1,0,0]
	s_delay_alu instid0(VALU_DEP_1) | instskip(SKIP_1) | instid1(VALU_DEP_1)
	v_mov_b32_e32 v185, v179
	v_pk_mul_f32 v[178:179], v[180:181], v[176:177] op_sel:[0,1]
	v_pk_fma_f32 v[182:183], v[180:181], v[174:175], v[178:179] op_sel:[0,0,1] op_sel_hi:[1,1,0] neg_lo:[0,0,1] neg_hi:[0,0,1]
	v_pk_fma_f32 v[178:179], v[180:181], v[174:175], v[178:179] op_sel:[0,0,1] op_sel_hi:[1,0,0]
	s_delay_alu instid0(VALU_DEP_1)
	v_mov_b32_e32 v183, v179
	ds_load_2addr_b64 v[178:181], v214 offset0:32 offset1:33
	v_pk_add_f32 v[118:119], v[118:119], v[184:185] neg_lo:[0,1] neg_hi:[0,1]
	v_pk_add_f32 v[132:133], v[132:133], v[182:183] neg_lo:[0,1] neg_hi:[0,1]
	s_wait_dscnt 0x0
	v_pk_mul_f32 v[182:183], v[178:179], v[176:177] op_sel:[0,1]
	s_delay_alu instid0(VALU_DEP_1) | instskip(SKIP_1) | instid1(VALU_DEP_1)
	v_pk_fma_f32 v[184:185], v[178:179], v[174:175], v[182:183] op_sel:[0,0,1] op_sel_hi:[1,1,0] neg_lo:[0,0,1] neg_hi:[0,0,1]
	v_pk_fma_f32 v[178:179], v[178:179], v[174:175], v[182:183] op_sel:[0,0,1] op_sel_hi:[1,0,0]
	v_mov_b32_e32 v185, v179
	v_pk_mul_f32 v[178:179], v[180:181], v[176:177] op_sel:[0,1]
	s_delay_alu instid0(VALU_DEP_1) | instskip(SKIP_1) | instid1(VALU_DEP_1)
	v_pk_fma_f32 v[182:183], v[180:181], v[174:175], v[178:179] op_sel:[0,0,1] op_sel_hi:[1,1,0] neg_lo:[0,0,1] neg_hi:[0,0,1]
	v_pk_fma_f32 v[178:179], v[180:181], v[174:175], v[178:179] op_sel:[0,0,1] op_sel_hi:[1,0,0]
	v_mov_b32_e32 v183, v179
	ds_load_b64 v[178:179], v214 offset:272
	v_pk_add_f32 v[130:131], v[130:131], v[184:185] neg_lo:[0,1] neg_hi:[0,1]
	v_pk_add_f32 v[122:123], v[122:123], v[182:183] neg_lo:[0,1] neg_hi:[0,1]
	s_wait_dscnt 0x0
	v_pk_mul_f32 v[176:177], v[178:179], v[176:177] op_sel:[0,1]
	s_delay_alu instid0(VALU_DEP_1) | instskip(SKIP_1) | instid1(VALU_DEP_1)
	v_pk_fma_f32 v[180:181], v[178:179], v[174:175], v[176:177] op_sel:[0,0,1] op_sel_hi:[1,1,0] neg_lo:[0,0,1] neg_hi:[0,0,1]
	v_pk_fma_f32 v[174:175], v[178:179], v[174:175], v[176:177] op_sel:[0,0,1] op_sel_hi:[1,0,0]
	v_mov_b32_e32 v181, v175
	s_delay_alu instid0(VALU_DEP_1)
	v_pk_add_f32 v[140:141], v[140:141], v[180:181] neg_lo:[0,1] neg_hi:[0,1]
.LBB69_145:
	s_or_b32 exec_lo, exec_lo, s1
	s_delay_alu instid0(SALU_CYCLE_1)
	s_mov_b32 s2, exec_lo
	s_wait_dscnt 0x0
	s_barrier_signal -1
	s_barrier_wait -1
	v_cmpx_eq_u32_e32 16, v212
	s_cbranch_execz .LBB69_152
; %bb.146:
	ds_store_b64 v213, v[72:73]
	ds_store_2addr_b64 v214, v[112:113], v[114:115] offset0:17 offset1:18
	ds_store_2addr_b64 v214, v[94:95], v[128:129] offset0:19 offset1:20
	;; [unrolled: 1-line block ×9, first 2 shown]
	ds_load_b64 v[174:175], v213
	s_wait_dscnt 0x0
	v_cmp_neq_f32_e32 vcc_lo, 0, v174
	v_cmp_neq_f32_e64 s1, 0, v175
	s_or_b32 s1, vcc_lo, s1
	s_delay_alu instid0(SALU_CYCLE_1)
	s_and_b32 exec_lo, exec_lo, s1
	s_cbranch_execz .LBB69_152
; %bb.147:
	v_cmp_ngt_f32_e64 s1, |v174|, |v175|
                                        ; implicit-def: $vgpr176_vgpr177
	s_and_saveexec_b32 s4, s1
	s_delay_alu instid0(SALU_CYCLE_1)
	s_xor_b32 s1, exec_lo, s4
	s_cbranch_execz .LBB69_149
; %bb.148:
	v_div_scale_f32 v176, null, v175, v175, v174
	v_div_scale_f32 v179, vcc_lo, v174, v175, v174
	s_delay_alu instid0(VALU_DEP_2) | instskip(SKIP_1) | instid1(TRANS32_DEP_1)
	v_rcp_f32_e32 v177, v176
	v_nop
	v_fma_f32 v178, -v176, v177, 1.0
	s_delay_alu instid0(VALU_DEP_1) | instskip(NEXT) | instid1(VALU_DEP_1)
	v_fmac_f32_e32 v177, v178, v177
	v_mul_f32_e32 v178, v179, v177
	s_delay_alu instid0(VALU_DEP_1) | instskip(NEXT) | instid1(VALU_DEP_1)
	v_fma_f32 v180, -v176, v178, v179
	v_fmac_f32_e32 v178, v180, v177
	s_delay_alu instid0(VALU_DEP_1) | instskip(NEXT) | instid1(VALU_DEP_1)
	v_fma_f32 v176, -v176, v178, v179
	v_div_fmas_f32 v176, v176, v177, v178
	s_delay_alu instid0(VALU_DEP_1) | instskip(NEXT) | instid1(VALU_DEP_1)
	v_div_fixup_f32 v176, v176, v175, v174
	v_fmac_f32_e32 v175, v174, v176
	s_delay_alu instid0(VALU_DEP_1) | instskip(SKIP_1) | instid1(VALU_DEP_2)
	v_div_scale_f32 v174, null, v175, v175, 1.0
	v_div_scale_f32 v179, vcc_lo, 1.0, v175, 1.0
	v_rcp_f32_e32 v177, v174
	v_nop
	s_delay_alu instid0(TRANS32_DEP_1) | instskip(NEXT) | instid1(VALU_DEP_1)
	v_fma_f32 v178, -v174, v177, 1.0
	v_fmac_f32_e32 v177, v178, v177
	s_delay_alu instid0(VALU_DEP_1) | instskip(NEXT) | instid1(VALU_DEP_1)
	v_mul_f32_e32 v178, v179, v177
	v_fma_f32 v180, -v174, v178, v179
	s_delay_alu instid0(VALU_DEP_1) | instskip(NEXT) | instid1(VALU_DEP_1)
	v_fmac_f32_e32 v178, v180, v177
	v_fma_f32 v174, -v174, v178, v179
	s_delay_alu instid0(VALU_DEP_1) | instskip(NEXT) | instid1(VALU_DEP_1)
	v_div_fmas_f32 v174, v174, v177, v178
	v_div_fixup_f32 v174, v174, v175, 1.0
	s_delay_alu instid0(VALU_DEP_1)
	v_mul_f32_e32 v176, v176, v174
	v_xor_b32_e32 v177, 0x80000000, v174
                                        ; implicit-def: $vgpr174_vgpr175
.LBB69_149:
	s_and_not1_saveexec_b32 s1, s1
	s_cbranch_execz .LBB69_151
; %bb.150:
	v_div_scale_f32 v176, null, v174, v174, v175
	v_div_scale_f32 v179, vcc_lo, v175, v174, v175
	s_delay_alu instid0(VALU_DEP_2) | instskip(SKIP_1) | instid1(TRANS32_DEP_1)
	v_rcp_f32_e32 v177, v176
	v_nop
	v_fma_f32 v178, -v176, v177, 1.0
	s_delay_alu instid0(VALU_DEP_1) | instskip(NEXT) | instid1(VALU_DEP_1)
	v_fmac_f32_e32 v177, v178, v177
	v_mul_f32_e32 v178, v179, v177
	s_delay_alu instid0(VALU_DEP_1) | instskip(NEXT) | instid1(VALU_DEP_1)
	v_fma_f32 v180, -v176, v178, v179
	v_fmac_f32_e32 v178, v180, v177
	s_delay_alu instid0(VALU_DEP_1) | instskip(NEXT) | instid1(VALU_DEP_1)
	v_fma_f32 v176, -v176, v178, v179
	v_div_fmas_f32 v176, v176, v177, v178
	s_delay_alu instid0(VALU_DEP_1) | instskip(NEXT) | instid1(VALU_DEP_1)
	v_div_fixup_f32 v177, v176, v174, v175
	v_fmac_f32_e32 v174, v175, v177
	s_delay_alu instid0(VALU_DEP_1) | instskip(NEXT) | instid1(VALU_DEP_1)
	v_div_scale_f32 v175, null, v174, v174, 1.0
	v_rcp_f32_e32 v176, v175
	v_nop
	s_delay_alu instid0(TRANS32_DEP_1) | instskip(NEXT) | instid1(VALU_DEP_1)
	v_fma_f32 v178, -v175, v176, 1.0
	v_fmac_f32_e32 v176, v178, v176
	v_div_scale_f32 v178, vcc_lo, 1.0, v174, 1.0
	s_delay_alu instid0(VALU_DEP_1) | instskip(NEXT) | instid1(VALU_DEP_1)
	v_mul_f32_e32 v179, v178, v176
	v_fma_f32 v180, -v175, v179, v178
	s_delay_alu instid0(VALU_DEP_1) | instskip(NEXT) | instid1(VALU_DEP_1)
	v_fmac_f32_e32 v179, v180, v176
	v_fma_f32 v175, -v175, v179, v178
	s_delay_alu instid0(VALU_DEP_1) | instskip(NEXT) | instid1(VALU_DEP_1)
	v_div_fmas_f32 v175, v175, v176, v179
	v_div_fixup_f32 v176, v175, v174, 1.0
	s_delay_alu instid0(VALU_DEP_1)
	v_mul_f32_e64 v177, v177, -v176
.LBB69_151:
	s_or_b32 exec_lo, exec_lo, s1
	ds_store_b64 v213, v[176:177]
.LBB69_152:
	s_or_b32 exec_lo, exec_lo, s2
	s_wait_dscnt 0x0
	s_barrier_signal -1
	s_barrier_wait -1
	ds_load_b64 v[174:175], v213
	s_mov_b32 s1, exec_lo
	v_cmpx_lt_u32_e32 16, v212
	s_cbranch_execz .LBB69_154
; %bb.153:
	ds_load_2addr_b64 v[180:183], v214 offset0:17 offset1:18
	s_wait_dscnt 0x1
	v_pk_mul_f32 v[178:179], v[174:175], v[72:73] op_sel:[1,1] op_sel_hi:[0,1]
	s_delay_alu instid0(VALU_DEP_1) | instskip(SKIP_1) | instid1(VALU_DEP_1)
	v_pk_fma_f32 v[176:177], v[174:175], v[72:73], v[178:179] op_sel_hi:[1,0,1] neg_lo:[0,0,1] neg_hi:[0,0,1]
	v_pk_fma_f32 v[178:179], v[174:175], v[72:73], v[178:179] op_sel_hi:[1,0,1]
	v_dual_mov_b32 v72, v176 :: v_dual_mov_b32 v73, v179
	s_wait_dscnt 0x0
	s_delay_alu instid0(VALU_DEP_2) | instskip(NEXT) | instid1(VALU_DEP_1)
	v_pk_mul_f32 v[184:185], v[180:181], v[178:179] op_sel:[0,1]
	v_pk_fma_f32 v[186:187], v[180:181], v[176:177], v[184:185] op_sel:[0,0,1] op_sel_hi:[1,1,0] neg_lo:[0,0,1] neg_hi:[0,0,1]
	v_pk_fma_f32 v[180:181], v[180:181], v[176:177], v[184:185] op_sel:[0,0,1] op_sel_hi:[1,0,0]
	s_delay_alu instid0(VALU_DEP_1) | instskip(SKIP_1) | instid1(VALU_DEP_1)
	v_mov_b32_e32 v187, v181
	v_pk_mul_f32 v[180:181], v[182:183], v[178:179] op_sel:[0,1]
	v_pk_fma_f32 v[184:185], v[182:183], v[176:177], v[180:181] op_sel:[0,0,1] op_sel_hi:[1,1,0] neg_lo:[0,0,1] neg_hi:[0,0,1]
	v_pk_fma_f32 v[180:181], v[182:183], v[176:177], v[180:181] op_sel:[0,0,1] op_sel_hi:[1,0,0]
	s_delay_alu instid0(VALU_DEP_1)
	v_mov_b32_e32 v185, v181
	ds_load_2addr_b64 v[180:183], v214 offset0:19 offset1:20
	v_pk_add_f32 v[112:113], v[112:113], v[186:187] neg_lo:[0,1] neg_hi:[0,1]
	v_pk_add_f32 v[114:115], v[114:115], v[184:185] neg_lo:[0,1] neg_hi:[0,1]
	s_wait_dscnt 0x0
	v_pk_mul_f32 v[184:185], v[180:181], v[178:179] op_sel:[0,1]
	s_delay_alu instid0(VALU_DEP_1) | instskip(SKIP_2) | instid1(VALU_DEP_2)
	v_pk_fma_f32 v[186:187], v[180:181], v[176:177], v[184:185] op_sel:[0,0,1] op_sel_hi:[1,1,0] neg_lo:[0,0,1] neg_hi:[0,0,1]
	v_pk_fma_f32 v[180:181], v[180:181], v[176:177], v[184:185] op_sel:[0,0,1] op_sel_hi:[1,0,0]
	v_dual_mul_f32 v184, v183, v179 :: v_dual_mov_b32 v180, v183
	v_dual_mov_b32 v187, v181 :: v_dual_mov_b32 v181, v182
	s_delay_alu instid0(VALU_DEP_2) | instskip(SKIP_1) | instid1(VALU_DEP_3)
	v_pk_fma_f32 v[184:185], v[182:183], v[72:73], v[184:185] op_sel_hi:[1,1,0] neg_lo:[0,0,1] neg_hi:[0,0,1]
	v_mul_f32_e32 v182, v183, v176
	v_pk_add_f32 v[94:95], v[94:95], v[186:187] neg_lo:[0,1] neg_hi:[0,1]
	s_delay_alu instid0(VALU_DEP_2) | instskip(NEXT) | instid1(VALU_DEP_1)
	v_pk_fma_f32 v[180:181], v[180:181], v[72:73], v[182:183] op_sel_hi:[1,1,0]
	v_mov_b32_e32 v185, v181
	ds_load_2addr_b64 v[180:183], v214 offset0:21 offset1:22
	v_pk_add_f32 v[128:129], v[128:129], v[184:185] neg_lo:[0,1] neg_hi:[0,1]
	s_wait_dscnt 0x0
	v_pk_mul_f32 v[184:185], v[180:181], v[178:179] op_sel:[0,1]
	s_delay_alu instid0(VALU_DEP_1) | instskip(SKIP_1) | instid1(VALU_DEP_1)
	v_pk_fma_f32 v[186:187], v[180:181], v[176:177], v[184:185] op_sel:[0,0,1] op_sel_hi:[1,1,0] neg_lo:[0,0,1] neg_hi:[0,0,1]
	v_pk_fma_f32 v[180:181], v[180:181], v[176:177], v[184:185] op_sel:[0,0,1] op_sel_hi:[1,0,0]
	v_mov_b32_e32 v187, v181
	v_pk_mul_f32 v[180:181], v[182:183], v[178:179] op_sel:[0,1]
	s_delay_alu instid0(VALU_DEP_1) | instskip(SKIP_1) | instid1(VALU_DEP_1)
	v_pk_fma_f32 v[184:185], v[182:183], v[176:177], v[180:181] op_sel:[0,0,1] op_sel_hi:[1,1,0] neg_lo:[0,0,1] neg_hi:[0,0,1]
	v_pk_fma_f32 v[180:181], v[182:183], v[176:177], v[180:181] op_sel:[0,0,1] op_sel_hi:[1,0,0]
	v_mov_b32_e32 v185, v181
	ds_load_2addr_b64 v[180:183], v214 offset0:23 offset1:24
	v_pk_add_f32 v[124:125], v[124:125], v[186:187] neg_lo:[0,1] neg_hi:[0,1]
	v_pk_add_f32 v[126:127], v[126:127], v[184:185] neg_lo:[0,1] neg_hi:[0,1]
	s_wait_dscnt 0x0
	v_pk_mul_f32 v[184:185], v[180:181], v[178:179] op_sel:[0,1]
	s_delay_alu instid0(VALU_DEP_1) | instskip(SKIP_1) | instid1(VALU_DEP_1)
	v_pk_fma_f32 v[186:187], v[180:181], v[176:177], v[184:185] op_sel:[0,0,1] op_sel_hi:[1,1,0] neg_lo:[0,0,1] neg_hi:[0,0,1]
	v_pk_fma_f32 v[180:181], v[180:181], v[176:177], v[184:185] op_sel:[0,0,1] op_sel_hi:[1,0,0]
	v_mov_b32_e32 v187, v181
	v_pk_mul_f32 v[180:181], v[182:183], v[178:179] op_sel:[0,1]
	s_delay_alu instid0(VALU_DEP_1) | instskip(SKIP_1) | instid1(VALU_DEP_1)
	v_pk_fma_f32 v[184:185], v[182:183], v[176:177], v[180:181] op_sel:[0,0,1] op_sel_hi:[1,1,0] neg_lo:[0,0,1] neg_hi:[0,0,1]
	v_pk_fma_f32 v[180:181], v[182:183], v[176:177], v[180:181] op_sel:[0,0,1] op_sel_hi:[1,0,0]
	v_mov_b32_e32 v185, v181
	ds_load_2addr_b64 v[180:183], v214 offset0:25 offset1:26
	v_pk_add_f32 v[138:139], v[138:139], v[186:187] neg_lo:[0,1] neg_hi:[0,1]
	v_pk_add_f32 v[136:137], v[136:137], v[184:185] neg_lo:[0,1] neg_hi:[0,1]
	s_wait_dscnt 0x0
	v_dual_mul_f32 v184, v181, v179 :: v_dual_mul_f32 v186, v181, v176
	s_delay_alu instid0(VALU_DEP_1) | instskip(NEXT) | instid1(VALU_DEP_2)
	v_pk_fma_f32 v[184:185], v[180:181], v[72:73], v[184:185] op_sel_hi:[1,1,0] neg_lo:[0,0,1] neg_hi:[0,0,1]
	v_pk_fma_f32 v[180:181], v[180:181], v[72:73], v[186:187] op_sel:[1,0,0] op_sel_hi:[0,1,0]
	s_delay_alu instid0(VALU_DEP_1) | instskip(SKIP_1) | instid1(VALU_DEP_2)
	v_mov_b32_e32 v185, v181
	v_pk_mul_f32 v[180:181], v[182:183], v[178:179] op_sel:[0,1]
	v_pk_add_f32 v[134:135], v[134:135], v[184:185] neg_lo:[0,1] neg_hi:[0,1]
	s_delay_alu instid0(VALU_DEP_2) | instskip(SKIP_1) | instid1(VALU_DEP_1)
	v_pk_fma_f32 v[184:185], v[182:183], v[176:177], v[180:181] op_sel:[0,0,1] op_sel_hi:[1,1,0] neg_lo:[0,0,1] neg_hi:[0,0,1]
	v_pk_fma_f32 v[180:181], v[182:183], v[176:177], v[180:181] op_sel:[0,0,1] op_sel_hi:[1,0,0]
	v_mov_b32_e32 v185, v181
	ds_load_2addr_b64 v[180:183], v214 offset0:27 offset1:28
	v_pk_add_f32 v[100:101], v[100:101], v[184:185] neg_lo:[0,1] neg_hi:[0,1]
	s_wait_dscnt 0x0
	v_pk_mul_f32 v[184:185], v[180:181], v[178:179] op_sel:[0,1]
	s_delay_alu instid0(VALU_DEP_1) | instskip(SKIP_1) | instid1(VALU_DEP_1)
	v_pk_fma_f32 v[186:187], v[180:181], v[176:177], v[184:185] op_sel:[0,0,1] op_sel_hi:[1,1,0] neg_lo:[0,0,1] neg_hi:[0,0,1]
	v_pk_fma_f32 v[180:181], v[180:181], v[176:177], v[184:185] op_sel:[0,0,1] op_sel_hi:[1,0,0]
	v_mov_b32_e32 v187, v181
	v_pk_mul_f32 v[180:181], v[182:183], v[178:179] op_sel:[0,1]
	s_delay_alu instid0(VALU_DEP_2) | instskip(NEXT) | instid1(VALU_DEP_2)
	v_pk_add_f32 v[98:99], v[98:99], v[186:187] neg_lo:[0,1] neg_hi:[0,1]
	v_pk_fma_f32 v[184:185], v[182:183], v[176:177], v[180:181] op_sel:[0,0,1] op_sel_hi:[1,1,0] neg_lo:[0,0,1] neg_hi:[0,0,1]
	v_pk_fma_f32 v[180:181], v[182:183], v[176:177], v[180:181] op_sel:[0,0,1] op_sel_hi:[1,0,0]
	s_delay_alu instid0(VALU_DEP_1) | instskip(SKIP_4) | instid1(VALU_DEP_1)
	v_mov_b32_e32 v185, v181
	ds_load_2addr_b64 v[180:183], v214 offset0:29 offset1:30
	v_pk_add_f32 v[120:121], v[120:121], v[184:185] neg_lo:[0,1] neg_hi:[0,1]
	s_wait_dscnt 0x0
	v_pk_mul_f32 v[184:185], v[180:181], v[178:179] op_sel:[0,1]
	v_pk_fma_f32 v[186:187], v[180:181], v[176:177], v[184:185] op_sel:[0,0,1] op_sel_hi:[1,1,0] neg_lo:[0,0,1] neg_hi:[0,0,1]
	v_pk_fma_f32 v[180:181], v[180:181], v[176:177], v[184:185] op_sel:[0,0,1] op_sel_hi:[1,0,0]
	v_dual_mul_f32 v184, v183, v179 :: v_dual_mov_b32 v180, v183
	s_delay_alu instid0(VALU_DEP_2) | instskip(NEXT) | instid1(VALU_DEP_2)
	v_dual_mov_b32 v187, v181 :: v_dual_mov_b32 v181, v182
	v_pk_fma_f32 v[184:185], v[182:183], v[72:73], v[184:185] op_sel_hi:[1,1,0] neg_lo:[0,0,1] neg_hi:[0,0,1]
	v_mul_f32_e32 v182, v183, v176
	s_delay_alu instid0(VALU_DEP_3) | instskip(NEXT) | instid1(VALU_DEP_2)
	v_pk_add_f32 v[116:117], v[116:117], v[186:187] neg_lo:[0,1] neg_hi:[0,1]
	v_pk_fma_f32 v[180:181], v[180:181], v[72:73], v[182:183] op_sel_hi:[1,1,0]
	s_delay_alu instid0(VALU_DEP_1) | instskip(SKIP_4) | instid1(VALU_DEP_1)
	v_mov_b32_e32 v185, v181
	ds_load_2addr_b64 v[180:183], v214 offset0:31 offset1:32
	v_pk_add_f32 v[118:119], v[118:119], v[184:185] neg_lo:[0,1] neg_hi:[0,1]
	s_wait_dscnt 0x0
	v_pk_mul_f32 v[184:185], v[180:181], v[178:179] op_sel:[0,1]
	v_pk_fma_f32 v[186:187], v[180:181], v[176:177], v[184:185] op_sel:[0,0,1] op_sel_hi:[1,1,0] neg_lo:[0,0,1] neg_hi:[0,0,1]
	v_pk_fma_f32 v[180:181], v[180:181], v[176:177], v[184:185] op_sel:[0,0,1] op_sel_hi:[1,0,0]
	s_delay_alu instid0(VALU_DEP_1) | instskip(SKIP_1) | instid1(VALU_DEP_1)
	v_mov_b32_e32 v187, v181
	v_pk_mul_f32 v[180:181], v[182:183], v[178:179] op_sel:[0,1]
	v_pk_fma_f32 v[184:185], v[182:183], v[176:177], v[180:181] op_sel:[0,0,1] op_sel_hi:[1,1,0] neg_lo:[0,0,1] neg_hi:[0,0,1]
	v_pk_fma_f32 v[180:181], v[182:183], v[176:177], v[180:181] op_sel:[0,0,1] op_sel_hi:[1,0,0]
	s_delay_alu instid0(VALU_DEP_1)
	v_mov_b32_e32 v185, v181
	ds_load_2addr_b64 v[180:183], v214 offset0:33 offset1:34
	v_pk_add_f32 v[132:133], v[132:133], v[186:187] neg_lo:[0,1] neg_hi:[0,1]
	v_pk_add_f32 v[130:131], v[130:131], v[184:185] neg_lo:[0,1] neg_hi:[0,1]
	s_wait_dscnt 0x0
	v_pk_mul_f32 v[184:185], v[180:181], v[178:179] op_sel:[0,1]
	v_mul_f32_e32 v178, v183, v179
	s_delay_alu instid0(VALU_DEP_2) | instskip(SKIP_2) | instid1(VALU_DEP_4)
	v_pk_fma_f32 v[186:187], v[180:181], v[176:177], v[184:185] op_sel:[0,0,1] op_sel_hi:[1,1,0] neg_lo:[0,0,1] neg_hi:[0,0,1]
	v_pk_fma_f32 v[180:181], v[180:181], v[176:177], v[184:185] op_sel:[0,0,1] op_sel_hi:[1,0,0]
	v_dual_mov_b32 v180, v183 :: v_dual_mul_f32 v176, v183, v176
	v_pk_fma_f32 v[178:179], v[182:183], v[72:73], v[178:179] op_sel_hi:[1,1,0] neg_lo:[0,0,1] neg_hi:[0,0,1]
	s_delay_alu instid0(VALU_DEP_3) | instskip(NEXT) | instid1(VALU_DEP_1)
	v_dual_mov_b32 v187, v181 :: v_dual_mov_b32 v181, v182
	v_pk_add_f32 v[122:123], v[122:123], v[186:187] neg_lo:[0,1] neg_hi:[0,1]
	s_delay_alu instid0(VALU_DEP_2) | instskip(NEXT) | instid1(VALU_DEP_1)
	v_pk_fma_f32 v[176:177], v[180:181], v[72:73], v[176:177] op_sel_hi:[1,1,0]
	v_mov_b32_e32 v179, v177
	s_delay_alu instid0(VALU_DEP_1)
	v_pk_add_f32 v[140:141], v[140:141], v[178:179] neg_lo:[0,1] neg_hi:[0,1]
.LBB69_154:
	s_or_b32 exec_lo, exec_lo, s1
	s_delay_alu instid0(SALU_CYCLE_1)
	s_mov_b32 s2, exec_lo
	s_wait_dscnt 0x0
	s_barrier_signal -1
	s_barrier_wait -1
	v_cmpx_eq_u32_e32 17, v212
	s_cbranch_execz .LBB69_161
; %bb.155:
	v_dual_mov_b32 v176, v114 :: v_dual_mov_b32 v177, v115
	v_dual_mov_b32 v178, v94 :: v_dual_mov_b32 v179, v95
	ds_store_b64 v213, v[112:113]
	ds_store_2addr_b64 v214, v[176:177], v[178:179] offset0:18 offset1:19
	v_dual_mov_b32 v176, v128 :: v_dual_mov_b32 v177, v129
	v_dual_mov_b32 v178, v124 :: v_dual_mov_b32 v179, v125
	ds_store_2addr_b64 v214, v[176:177], v[178:179] offset0:20 offset1:21
	v_dual_mov_b32 v176, v126 :: v_dual_mov_b32 v177, v127
	v_dual_mov_b32 v178, v138 :: v_dual_mov_b32 v179, v139
	;; [unrolled: 3-line block ×7, first 2 shown]
	ds_store_2addr_b64 v214, v[176:177], v[178:179] offset0:32 offset1:33
	ds_store_b64 v214, v[140:141] offset:272
	ds_load_b64 v[176:177], v213
	s_wait_dscnt 0x0
	v_cmp_neq_f32_e32 vcc_lo, 0, v176
	v_cmp_neq_f32_e64 s1, 0, v177
	s_or_b32 s1, vcc_lo, s1
	s_delay_alu instid0(SALU_CYCLE_1)
	s_and_b32 exec_lo, exec_lo, s1
	s_cbranch_execz .LBB69_161
; %bb.156:
	v_cmp_ngt_f32_e64 s1, |v176|, |v177|
                                        ; implicit-def: $vgpr178_vgpr179
	s_and_saveexec_b32 s4, s1
	s_delay_alu instid0(SALU_CYCLE_1)
	s_xor_b32 s1, exec_lo, s4
	s_cbranch_execz .LBB69_158
; %bb.157:
	v_div_scale_f32 v178, null, v177, v177, v176
	v_div_scale_f32 v181, vcc_lo, v176, v177, v176
	s_delay_alu instid0(VALU_DEP_2) | instskip(SKIP_1) | instid1(TRANS32_DEP_1)
	v_rcp_f32_e32 v179, v178
	v_nop
	v_fma_f32 v180, -v178, v179, 1.0
	s_delay_alu instid0(VALU_DEP_1) | instskip(NEXT) | instid1(VALU_DEP_1)
	v_fmac_f32_e32 v179, v180, v179
	v_mul_f32_e32 v180, v181, v179
	s_delay_alu instid0(VALU_DEP_1) | instskip(NEXT) | instid1(VALU_DEP_1)
	v_fma_f32 v182, -v178, v180, v181
	v_fmac_f32_e32 v180, v182, v179
	s_delay_alu instid0(VALU_DEP_1) | instskip(NEXT) | instid1(VALU_DEP_1)
	v_fma_f32 v178, -v178, v180, v181
	v_div_fmas_f32 v178, v178, v179, v180
	s_delay_alu instid0(VALU_DEP_1) | instskip(NEXT) | instid1(VALU_DEP_1)
	v_div_fixup_f32 v178, v178, v177, v176
	v_fmac_f32_e32 v177, v176, v178
	s_delay_alu instid0(VALU_DEP_1) | instskip(SKIP_1) | instid1(VALU_DEP_2)
	v_div_scale_f32 v176, null, v177, v177, 1.0
	v_div_scale_f32 v181, vcc_lo, 1.0, v177, 1.0
	v_rcp_f32_e32 v179, v176
	v_nop
	s_delay_alu instid0(TRANS32_DEP_1) | instskip(NEXT) | instid1(VALU_DEP_1)
	v_fma_f32 v180, -v176, v179, 1.0
	v_fmac_f32_e32 v179, v180, v179
	s_delay_alu instid0(VALU_DEP_1) | instskip(NEXT) | instid1(VALU_DEP_1)
	v_mul_f32_e32 v180, v181, v179
	v_fma_f32 v182, -v176, v180, v181
	s_delay_alu instid0(VALU_DEP_1) | instskip(NEXT) | instid1(VALU_DEP_1)
	v_fmac_f32_e32 v180, v182, v179
	v_fma_f32 v176, -v176, v180, v181
	s_delay_alu instid0(VALU_DEP_1) | instskip(NEXT) | instid1(VALU_DEP_1)
	v_div_fmas_f32 v176, v176, v179, v180
	v_div_fixup_f32 v176, v176, v177, 1.0
	s_delay_alu instid0(VALU_DEP_1)
	v_mul_f32_e32 v178, v178, v176
	v_xor_b32_e32 v179, 0x80000000, v176
                                        ; implicit-def: $vgpr176_vgpr177
.LBB69_158:
	s_and_not1_saveexec_b32 s1, s1
	s_cbranch_execz .LBB69_160
; %bb.159:
	v_div_scale_f32 v178, null, v176, v176, v177
	v_div_scale_f32 v181, vcc_lo, v177, v176, v177
	s_delay_alu instid0(VALU_DEP_2) | instskip(SKIP_1) | instid1(TRANS32_DEP_1)
	v_rcp_f32_e32 v179, v178
	v_nop
	v_fma_f32 v180, -v178, v179, 1.0
	s_delay_alu instid0(VALU_DEP_1) | instskip(NEXT) | instid1(VALU_DEP_1)
	v_fmac_f32_e32 v179, v180, v179
	v_mul_f32_e32 v180, v181, v179
	s_delay_alu instid0(VALU_DEP_1) | instskip(NEXT) | instid1(VALU_DEP_1)
	v_fma_f32 v182, -v178, v180, v181
	v_fmac_f32_e32 v180, v182, v179
	s_delay_alu instid0(VALU_DEP_1) | instskip(NEXT) | instid1(VALU_DEP_1)
	v_fma_f32 v178, -v178, v180, v181
	v_div_fmas_f32 v178, v178, v179, v180
	s_delay_alu instid0(VALU_DEP_1) | instskip(NEXT) | instid1(VALU_DEP_1)
	v_div_fixup_f32 v179, v178, v176, v177
	v_fmac_f32_e32 v176, v177, v179
	s_delay_alu instid0(VALU_DEP_1) | instskip(NEXT) | instid1(VALU_DEP_1)
	v_div_scale_f32 v177, null, v176, v176, 1.0
	v_rcp_f32_e32 v178, v177
	v_nop
	s_delay_alu instid0(TRANS32_DEP_1) | instskip(NEXT) | instid1(VALU_DEP_1)
	v_fma_f32 v180, -v177, v178, 1.0
	v_fmac_f32_e32 v178, v180, v178
	v_div_scale_f32 v180, vcc_lo, 1.0, v176, 1.0
	s_delay_alu instid0(VALU_DEP_1) | instskip(NEXT) | instid1(VALU_DEP_1)
	v_mul_f32_e32 v181, v180, v178
	v_fma_f32 v182, -v177, v181, v180
	s_delay_alu instid0(VALU_DEP_1) | instskip(NEXT) | instid1(VALU_DEP_1)
	v_fmac_f32_e32 v181, v182, v178
	v_fma_f32 v177, -v177, v181, v180
	s_delay_alu instid0(VALU_DEP_1) | instskip(NEXT) | instid1(VALU_DEP_1)
	v_div_fmas_f32 v177, v177, v178, v181
	v_div_fixup_f32 v178, v177, v176, 1.0
	s_delay_alu instid0(VALU_DEP_1)
	v_mul_f32_e64 v179, v179, -v178
.LBB69_160:
	s_or_b32 exec_lo, exec_lo, s1
	ds_store_b64 v213, v[178:179]
.LBB69_161:
	s_or_b32 exec_lo, exec_lo, s2
	s_wait_dscnt 0x0
	s_barrier_signal -1
	s_barrier_wait -1
	ds_load_b64 v[176:177], v213
	s_mov_b32 s1, exec_lo
	v_cmpx_lt_u32_e32 17, v212
	s_cbranch_execz .LBB69_163
; %bb.162:
	ds_load_2addr_b64 v[178:181], v214 offset0:18 offset1:19
	ds_load_2addr_b64 v[182:185], v214 offset0:20 offset1:21
	;; [unrolled: 1-line block ×3, first 2 shown]
	s_wait_dscnt 0x3
	v_pk_mul_f32 v[190:191], v[176:177], v[112:113] op_sel:[1,1] op_sel_hi:[0,1]
	s_delay_alu instid0(VALU_DEP_1)
	v_pk_fma_f32 v[200:201], v[176:177], v[112:113], v[190:191] op_sel_hi:[1,0,1]
	v_pk_fma_f32 v[198:199], v[176:177], v[112:113], v[190:191] op_sel_hi:[1,0,1] neg_lo:[0,0,1] neg_hi:[0,0,1]
	ds_load_2addr_b64 v[190:193], v214 offset0:24 offset1:25
	ds_load_2addr_b64 v[194:197], v214 offset0:26 offset1:27
	v_dual_mov_b32 v113, v201 :: v_dual_mov_b32 v112, v198
	s_wait_dscnt 0x4
	v_pk_mul_f32 v[202:203], v[178:179], v[200:201] op_sel:[0,1]
	v_pk_mul_f32 v[204:205], v[180:181], v[200:201] op_sel:[0,1]
	s_wait_dscnt 0x3
	v_pk_mul_f32 v[206:207], v[182:183], v[200:201] op_sel:[0,1]
	v_dual_mov_b32 v208, v185 :: v_dual_mov_b32 v209, v184
	v_dual_mul_f32 v210, v185, v201 :: v_dual_mul_f32 v216, v185, v198
	s_wait_dscnt 0x2
	v_pk_mul_f32 v[218:219], v[186:187], v[200:201] op_sel:[0,1]
	v_pk_fma_f32 v[222:223], v[178:179], v[198:199], v[202:203] op_sel:[0,0,1] op_sel_hi:[1,1,0] neg_lo:[0,0,1] neg_hi:[0,0,1]
	v_pk_fma_f32 v[178:179], v[178:179], v[198:199], v[202:203] op_sel:[0,0,1] op_sel_hi:[1,0,0]
	v_pk_mul_f32 v[220:221], v[188:189], v[200:201] op_sel:[0,1]
	v_pk_fma_f32 v[202:203], v[180:181], v[198:199], v[204:205] op_sel:[0,0,1] op_sel_hi:[1,1,0] neg_lo:[0,0,1] neg_hi:[0,0,1]
	v_pk_fma_f32 v[180:181], v[180:181], v[198:199], v[204:205] op_sel:[0,0,1] op_sel_hi:[1,0,0]
	v_pk_fma_f32 v[204:205], v[182:183], v[198:199], v[206:207] op_sel:[0,0,1] op_sel_hi:[1,1,0] neg_lo:[0,0,1] neg_hi:[0,0,1]
	v_pk_fma_f32 v[182:183], v[182:183], v[198:199], v[206:207] op_sel:[0,0,1] op_sel_hi:[1,0,0]
	v_pk_fma_f32 v[206:207], v[208:209], v[112:113], v[216:217] op_sel_hi:[1,1,0]
	s_delay_alu instid0(VALU_DEP_4)
	v_dual_mov_b32 v223, v179 :: v_dual_mov_b32 v203, v181
	v_pk_fma_f32 v[178:179], v[186:187], v[198:199], v[218:219] op_sel:[0,0,1] op_sel_hi:[1,0,0]
	v_pk_fma_f32 v[184:185], v[184:185], v[112:113], v[210:211] op_sel_hi:[1,1,0] neg_lo:[0,0,1] neg_hi:[0,0,1]
	v_pk_fma_f32 v[208:209], v[186:187], v[198:199], v[218:219] op_sel:[0,0,1] op_sel_hi:[1,1,0] neg_lo:[0,0,1] neg_hi:[0,0,1]
	v_dual_mov_b32 v205, v183 :: v_dual_mov_b32 v185, v207
	v_pk_fma_f32 v[182:183], v[188:189], v[198:199], v[220:221] op_sel:[0,0,1] op_sel_hi:[1,0,0]
	v_mov_b32_e32 v209, v179
	v_pk_fma_f32 v[186:187], v[188:189], v[198:199], v[220:221] op_sel:[0,0,1] op_sel_hi:[1,1,0] neg_lo:[0,0,1] neg_hi:[0,0,1]
	s_wait_dscnt 0x1
	v_pk_mul_f32 v[188:189], v[190:191], v[200:201] op_sel:[0,1]
	ds_load_2addr_b64 v[178:181], v214 offset0:28 offset1:29
	v_mov_b32_e32 v187, v183
	v_pk_mul_f32 v[182:183], v[192:193], v[200:201] op_sel:[0,1]
	v_pk_add_f32 v[124:125], v[124:125], v[184:185] neg_lo:[0,1] neg_hi:[0,1]
	v_pk_fma_f32 v[184:185], v[190:191], v[198:199], v[188:189] op_sel:[0,0,1] op_sel_hi:[1,0,0]
	v_pk_fma_f32 v[188:189], v[190:191], v[198:199], v[188:189] op_sel:[0,0,1] op_sel_hi:[1,1,0] neg_lo:[0,0,1] neg_hi:[0,0,1]
	v_pk_add_f32 v[138:139], v[138:139], v[186:187] neg_lo:[0,1] neg_hi:[0,1]
	v_pk_fma_f32 v[186:187], v[192:193], v[198:199], v[182:183] op_sel:[0,0,1] op_sel_hi:[1,0,0]
	v_pk_fma_f32 v[190:191], v[192:193], v[198:199], v[182:183] op_sel:[0,0,1] op_sel_hi:[1,1,0] neg_lo:[0,0,1] neg_hi:[0,0,1]
	s_wait_dscnt 0x1
	v_dual_mov_b32 v189, v185 :: v_dual_mul_f32 v186, v195, v198
	ds_load_2addr_b64 v[182:185], v214 offset0:30 offset1:31
	v_mov_b32_e32 v191, v187
	v_mul_f32_e32 v192, v195, v201
	v_pk_add_f32 v[136:137], v[136:137], v[188:189] neg_lo:[0,1] neg_hi:[0,1]
	v_pk_mul_f32 v[188:189], v[196:197], v[200:201] op_sel:[0,1]
	v_pk_add_f32 v[94:95], v[94:95], v[202:203] neg_lo:[0,1] neg_hi:[0,1]
	v_pk_fma_f32 v[186:187], v[194:195], v[112:113], v[186:187] op_sel:[1,0,0] op_sel_hi:[0,1,0]
	v_pk_add_f32 v[134:135], v[134:135], v[190:191] neg_lo:[0,1] neg_hi:[0,1]
	v_pk_fma_f32 v[190:191], v[194:195], v[112:113], v[192:193] op_sel_hi:[1,1,0] neg_lo:[0,0,1] neg_hi:[0,0,1]
	v_pk_fma_f32 v[194:195], v[196:197], v[198:199], v[188:189] op_sel:[0,0,1] op_sel_hi:[1,0,0]
	s_wait_dscnt 0x1
	v_pk_mul_f32 v[202:203], v[180:181], v[200:201] op_sel:[0,1]
	v_pk_mul_f32 v[192:193], v[178:179], v[200:201] op_sel:[0,1]
	v_pk_fma_f32 v[196:197], v[196:197], v[198:199], v[188:189] op_sel:[0,0,1] op_sel_hi:[1,1,0] neg_lo:[0,0,1] neg_hi:[0,0,1]
	v_pk_add_f32 v[128:129], v[128:129], v[204:205] neg_lo:[0,1] neg_hi:[0,1]
	v_mov_b32_e32 v197, v195
	v_pk_fma_f32 v[194:195], v[180:181], v[198:199], v[202:203] op_sel:[0,0,1] op_sel_hi:[1,0,0]
	v_mov_b32_e32 v191, v187
	ds_load_2addr_b64 v[186:189], v214 offset0:32 offset1:33
	v_pk_fma_f32 v[204:205], v[178:179], v[198:199], v[192:193] op_sel:[0,0,1] op_sel_hi:[1,0,0]
	v_pk_fma_f32 v[178:179], v[178:179], v[198:199], v[192:193] op_sel:[0,0,1] op_sel_hi:[1,1,0] neg_lo:[0,0,1] neg_hi:[0,0,1]
	ds_load_b64 v[192:193], v214 offset:272
	v_pk_fma_f32 v[180:181], v[180:181], v[198:199], v[202:203] op_sel:[0,0,1] op_sel_hi:[1,1,0] neg_lo:[0,0,1] neg_hi:[0,0,1]
	v_dual_mov_b32 v181, v195 :: v_dual_mov_b32 v179, v205
	s_wait_dscnt 0x2
	v_pk_mul_f32 v[194:195], v[182:183], v[200:201] op_sel:[0,1]
	v_pk_add_f32 v[100:101], v[100:101], v[190:191] neg_lo:[0,1] neg_hi:[0,1]
	v_mul_f32_e32 v190, v185, v201
	v_pk_add_f32 v[116:117], v[116:117], v[180:181] neg_lo:[0,1] neg_hi:[0,1]
	v_pk_add_f32 v[120:121], v[120:121], v[178:179] neg_lo:[0,1] neg_hi:[0,1]
	v_pk_fma_f32 v[178:179], v[182:183], v[198:199], v[194:195] op_sel:[0,0,1] op_sel_hi:[1,0,0]
	v_dual_mov_b32 v180, v185 :: v_dual_mov_b32 v181, v184
	v_mul_f32_e32 v178, v185, v198
	v_pk_fma_f32 v[182:183], v[182:183], v[198:199], v[194:195] op_sel:[0,0,1] op_sel_hi:[1,1,0] neg_lo:[0,0,1] neg_hi:[0,0,1]
	s_delay_alu instid0(VALU_DEP_4)
	v_mov_b32_e32 v183, v179
	v_pk_fma_f32 v[184:185], v[184:185], v[112:113], v[190:191] op_sel_hi:[1,1,0] neg_lo:[0,0,1] neg_hi:[0,0,1]
	v_pk_add_f32 v[98:99], v[98:99], v[196:197] neg_lo:[0,1] neg_hi:[0,1]
	s_wait_dscnt 0x1
	v_pk_mul_f32 v[194:195], v[186:187], v[200:201] op_sel:[0,1]
	v_pk_fma_f32 v[178:179], v[180:181], v[112:113], v[178:179] op_sel_hi:[1,1,0]
	v_pk_mul_f32 v[180:181], v[188:189], v[200:201] op_sel:[0,1]
	s_wait_dscnt 0x0
	v_pk_mul_f32 v[190:191], v[192:193], v[200:201] op_sel:[0,1]
	v_pk_add_f32 v[114:115], v[114:115], v[222:223] neg_lo:[0,1] neg_hi:[0,1]
	v_pk_fma_f32 v[196:197], v[186:187], v[198:199], v[194:195] op_sel:[0,0,1] op_sel_hi:[1,0,0]
	v_mov_b32_e32 v185, v179
	v_pk_fma_f32 v[178:179], v[188:189], v[198:199], v[180:181] op_sel:[0,0,1] op_sel_hi:[1,0,0]
	v_pk_fma_f32 v[186:187], v[186:187], v[198:199], v[194:195] op_sel:[0,0,1] op_sel_hi:[1,1,0] neg_lo:[0,0,1] neg_hi:[0,0,1]
	v_pk_fma_f32 v[194:195], v[192:193], v[198:199], v[190:191] op_sel:[0,0,1] op_sel_hi:[1,0,0]
	v_pk_fma_f32 v[180:181], v[188:189], v[198:199], v[180:181] op_sel:[0,0,1] op_sel_hi:[1,1,0] neg_lo:[0,0,1] neg_hi:[0,0,1]
	s_delay_alu instid0(VALU_DEP_4) | instskip(SKIP_1) | instid1(VALU_DEP_4)
	v_dual_mov_b32 v187, v197 :: v_dual_mov_b32 v181, v179
	v_pk_fma_f32 v[178:179], v[192:193], v[198:199], v[190:191] op_sel:[0,0,1] op_sel_hi:[1,1,0] neg_lo:[0,0,1] neg_hi:[0,0,1]
	v_mov_b32_e32 v179, v195
	v_pk_add_f32 v[126:127], v[126:127], v[208:209] neg_lo:[0,1] neg_hi:[0,1]
	v_pk_add_f32 v[118:119], v[118:119], v[182:183] neg_lo:[0,1] neg_hi:[0,1]
	;; [unrolled: 1-line block ×6, first 2 shown]
.LBB69_163:
	s_or_b32 exec_lo, exec_lo, s1
	s_delay_alu instid0(SALU_CYCLE_1)
	s_mov_b32 s2, exec_lo
	s_wait_dscnt 0x0
	s_barrier_signal -1
	s_barrier_wait -1
	v_cmpx_eq_u32_e32 18, v212
	s_cbranch_execz .LBB69_170
; %bb.164:
	ds_store_b64 v213, v[114:115]
	ds_store_2addr_b64 v214, v[94:95], v[128:129] offset0:19 offset1:20
	ds_store_2addr_b64 v214, v[124:125], v[126:127] offset0:21 offset1:22
	;; [unrolled: 1-line block ×8, first 2 shown]
	ds_load_b64 v[178:179], v213
	s_wait_dscnt 0x0
	v_cmp_neq_f32_e32 vcc_lo, 0, v178
	v_cmp_neq_f32_e64 s1, 0, v179
	s_or_b32 s1, vcc_lo, s1
	s_delay_alu instid0(SALU_CYCLE_1)
	s_and_b32 exec_lo, exec_lo, s1
	s_cbranch_execz .LBB69_170
; %bb.165:
	v_cmp_ngt_f32_e64 s1, |v178|, |v179|
                                        ; implicit-def: $vgpr180_vgpr181
	s_and_saveexec_b32 s4, s1
	s_delay_alu instid0(SALU_CYCLE_1)
	s_xor_b32 s1, exec_lo, s4
	s_cbranch_execz .LBB69_167
; %bb.166:
	v_div_scale_f32 v180, null, v179, v179, v178
	v_div_scale_f32 v183, vcc_lo, v178, v179, v178
	s_delay_alu instid0(VALU_DEP_2) | instskip(SKIP_1) | instid1(TRANS32_DEP_1)
	v_rcp_f32_e32 v181, v180
	v_nop
	v_fma_f32 v182, -v180, v181, 1.0
	s_delay_alu instid0(VALU_DEP_1) | instskip(NEXT) | instid1(VALU_DEP_1)
	v_fmac_f32_e32 v181, v182, v181
	v_mul_f32_e32 v182, v183, v181
	s_delay_alu instid0(VALU_DEP_1) | instskip(NEXT) | instid1(VALU_DEP_1)
	v_fma_f32 v184, -v180, v182, v183
	v_fmac_f32_e32 v182, v184, v181
	s_delay_alu instid0(VALU_DEP_1) | instskip(NEXT) | instid1(VALU_DEP_1)
	v_fma_f32 v180, -v180, v182, v183
	v_div_fmas_f32 v180, v180, v181, v182
	s_delay_alu instid0(VALU_DEP_1) | instskip(NEXT) | instid1(VALU_DEP_1)
	v_div_fixup_f32 v180, v180, v179, v178
	v_fmac_f32_e32 v179, v178, v180
	s_delay_alu instid0(VALU_DEP_1) | instskip(SKIP_1) | instid1(VALU_DEP_2)
	v_div_scale_f32 v178, null, v179, v179, 1.0
	v_div_scale_f32 v183, vcc_lo, 1.0, v179, 1.0
	v_rcp_f32_e32 v181, v178
	v_nop
	s_delay_alu instid0(TRANS32_DEP_1) | instskip(NEXT) | instid1(VALU_DEP_1)
	v_fma_f32 v182, -v178, v181, 1.0
	v_fmac_f32_e32 v181, v182, v181
	s_delay_alu instid0(VALU_DEP_1) | instskip(NEXT) | instid1(VALU_DEP_1)
	v_mul_f32_e32 v182, v183, v181
	v_fma_f32 v184, -v178, v182, v183
	s_delay_alu instid0(VALU_DEP_1) | instskip(NEXT) | instid1(VALU_DEP_1)
	v_fmac_f32_e32 v182, v184, v181
	v_fma_f32 v178, -v178, v182, v183
	s_delay_alu instid0(VALU_DEP_1) | instskip(NEXT) | instid1(VALU_DEP_1)
	v_div_fmas_f32 v178, v178, v181, v182
	v_div_fixup_f32 v178, v178, v179, 1.0
	s_delay_alu instid0(VALU_DEP_1)
	v_mul_f32_e32 v180, v180, v178
	v_xor_b32_e32 v181, 0x80000000, v178
                                        ; implicit-def: $vgpr178_vgpr179
.LBB69_167:
	s_and_not1_saveexec_b32 s1, s1
	s_cbranch_execz .LBB69_169
; %bb.168:
	v_div_scale_f32 v180, null, v178, v178, v179
	v_div_scale_f32 v183, vcc_lo, v179, v178, v179
	s_delay_alu instid0(VALU_DEP_2) | instskip(SKIP_1) | instid1(TRANS32_DEP_1)
	v_rcp_f32_e32 v181, v180
	v_nop
	v_fma_f32 v182, -v180, v181, 1.0
	s_delay_alu instid0(VALU_DEP_1) | instskip(NEXT) | instid1(VALU_DEP_1)
	v_fmac_f32_e32 v181, v182, v181
	v_mul_f32_e32 v182, v183, v181
	s_delay_alu instid0(VALU_DEP_1) | instskip(NEXT) | instid1(VALU_DEP_1)
	v_fma_f32 v184, -v180, v182, v183
	v_fmac_f32_e32 v182, v184, v181
	s_delay_alu instid0(VALU_DEP_1) | instskip(NEXT) | instid1(VALU_DEP_1)
	v_fma_f32 v180, -v180, v182, v183
	v_div_fmas_f32 v180, v180, v181, v182
	s_delay_alu instid0(VALU_DEP_1) | instskip(NEXT) | instid1(VALU_DEP_1)
	v_div_fixup_f32 v181, v180, v178, v179
	v_fmac_f32_e32 v178, v179, v181
	s_delay_alu instid0(VALU_DEP_1) | instskip(NEXT) | instid1(VALU_DEP_1)
	v_div_scale_f32 v179, null, v178, v178, 1.0
	v_rcp_f32_e32 v180, v179
	v_nop
	s_delay_alu instid0(TRANS32_DEP_1) | instskip(NEXT) | instid1(VALU_DEP_1)
	v_fma_f32 v182, -v179, v180, 1.0
	v_fmac_f32_e32 v180, v182, v180
	v_div_scale_f32 v182, vcc_lo, 1.0, v178, 1.0
	s_delay_alu instid0(VALU_DEP_1) | instskip(NEXT) | instid1(VALU_DEP_1)
	v_mul_f32_e32 v183, v182, v180
	v_fma_f32 v184, -v179, v183, v182
	s_delay_alu instid0(VALU_DEP_1) | instskip(NEXT) | instid1(VALU_DEP_1)
	v_fmac_f32_e32 v183, v184, v180
	v_fma_f32 v179, -v179, v183, v182
	s_delay_alu instid0(VALU_DEP_1) | instskip(NEXT) | instid1(VALU_DEP_1)
	v_div_fmas_f32 v179, v179, v180, v183
	v_div_fixup_f32 v180, v179, v178, 1.0
	s_delay_alu instid0(VALU_DEP_1)
	v_mul_f32_e64 v181, v181, -v180
.LBB69_169:
	s_or_b32 exec_lo, exec_lo, s1
	ds_store_b64 v213, v[180:181]
.LBB69_170:
	s_or_b32 exec_lo, exec_lo, s2
	s_wait_dscnt 0x0
	s_barrier_signal -1
	s_barrier_wait -1
	ds_load_b64 v[178:179], v213
	s_mov_b32 s1, exec_lo
	v_cmpx_lt_u32_e32 18, v212
	s_cbranch_execz .LBB69_172
; %bb.171:
	ds_load_2addr_b64 v[180:183], v214 offset0:19 offset1:20
	ds_load_2addr_b64 v[184:187], v214 offset0:21 offset1:22
	;; [unrolled: 1-line block ×3, first 2 shown]
	s_wait_dscnt 0x3
	v_pk_mul_f32 v[192:193], v[178:179], v[114:115] op_sel:[1,1] op_sel_hi:[0,1]
	s_delay_alu instid0(VALU_DEP_1)
	v_pk_fma_f32 v[200:201], v[178:179], v[114:115], v[192:193] op_sel_hi:[1,0,1] neg_lo:[0,0,1] neg_hi:[0,0,1]
	v_pk_fma_f32 v[202:203], v[178:179], v[114:115], v[192:193] op_sel_hi:[1,0,1]
	ds_load_2addr_b64 v[192:195], v214 offset0:25 offset1:26
	ds_load_2addr_b64 v[196:199], v214 offset0:27 offset1:28
	v_dual_mov_b32 v114, v200 :: v_dual_mov_b32 v115, v203
	s_wait_dscnt 0x4
	v_pk_mul_f32 v[204:205], v[180:181], v[202:203] op_sel:[0,1]
	v_pk_mul_f32 v[206:207], v[182:183], v[202:203] op_sel:[0,1]
	s_wait_dscnt 0x3
	v_pk_mul_f32 v[208:209], v[184:185], v[202:203] op_sel:[0,1]
	v_dual_mov_b32 v210, v187 :: v_dual_mov_b32 v211, v186
	v_dual_mul_f32 v216, v187, v203 :: v_dual_mul_f32 v218, v187, v200
	s_wait_dscnt 0x2
	v_pk_mul_f32 v[220:221], v[188:189], v[202:203] op_sel:[0,1]
	v_pk_fma_f32 v[224:225], v[180:181], v[200:201], v[204:205] op_sel:[0,0,1] op_sel_hi:[1,1,0] neg_lo:[0,0,1] neg_hi:[0,0,1]
	v_pk_fma_f32 v[180:181], v[180:181], v[200:201], v[204:205] op_sel:[0,0,1] op_sel_hi:[1,0,0]
	v_pk_fma_f32 v[204:205], v[182:183], v[200:201], v[206:207] op_sel:[0,0,1] op_sel_hi:[1,1,0] neg_lo:[0,0,1] neg_hi:[0,0,1]
	v_pk_fma_f32 v[182:183], v[182:183], v[200:201], v[206:207] op_sel:[0,0,1] op_sel_hi:[1,0,0]
	v_pk_mul_f32 v[222:223], v[190:191], v[202:203] op_sel:[0,1]
	v_pk_fma_f32 v[206:207], v[184:185], v[200:201], v[208:209] op_sel:[0,0,1] op_sel_hi:[1,1,0] neg_lo:[0,0,1] neg_hi:[0,0,1]
	v_pk_fma_f32 v[184:185], v[184:185], v[200:201], v[208:209] op_sel:[0,0,1] op_sel_hi:[1,0,0]
	v_pk_fma_f32 v[208:209], v[210:211], v[114:115], v[218:219] op_sel_hi:[1,1,0]
	v_dual_mov_b32 v225, v181 :: v_dual_mov_b32 v205, v183
	v_pk_fma_f32 v[180:181], v[188:189], v[200:201], v[220:221] op_sel:[0,0,1] op_sel_hi:[1,0,0]
	v_pk_fma_f32 v[210:211], v[188:189], v[200:201], v[220:221] op_sel:[0,0,1] op_sel_hi:[1,1,0] neg_lo:[0,0,1] neg_hi:[0,0,1]
	v_mov_b32_e32 v207, v185
	v_pk_fma_f32 v[184:185], v[190:191], v[200:201], v[222:223] op_sel:[0,0,1] op_sel_hi:[1,0,0]
	s_wait_dscnt 0x1
	v_pk_mul_f32 v[188:189], v[192:193], v[202:203] op_sel:[0,1]
	v_pk_fma_f32 v[186:187], v[186:187], v[114:115], v[216:217] op_sel_hi:[1,1,0] neg_lo:[0,0,1] neg_hi:[0,0,1]
	v_mov_b32_e32 v187, v209
	v_pk_add_f32 v[128:129], v[128:129], v[204:205] neg_lo:[0,1] neg_hi:[0,1]
	v_mov_b32_e32 v211, v181
	ds_load_2addr_b64 v[180:183], v214 offset0:29 offset1:30
	v_pk_fma_f32 v[190:191], v[190:191], v[200:201], v[222:223] op_sel:[0,0,1] op_sel_hi:[1,1,0] neg_lo:[0,0,1] neg_hi:[0,0,1]
	v_pk_mul_f32 v[204:205], v[194:195], v[202:203] op_sel:[0,1]
	v_mov_b32_e32 v191, v185
	v_pk_fma_f32 v[184:185], v[192:193], v[200:201], v[188:189] op_sel:[0,0,1] op_sel_hi:[1,0,0]
	v_pk_add_f32 v[126:127], v[126:127], v[186:187] neg_lo:[0,1] neg_hi:[0,1]
	v_pk_fma_f32 v[188:189], v[192:193], v[200:201], v[188:189] op_sel:[0,0,1] op_sel_hi:[1,1,0] neg_lo:[0,0,1] neg_hi:[0,0,1]
	v_pk_fma_f32 v[186:187], v[194:195], v[200:201], v[204:205] op_sel:[0,0,1] op_sel_hi:[1,0,0]
	v_pk_add_f32 v[136:137], v[136:137], v[190:191] neg_lo:[0,1] neg_hi:[0,1]
	v_mov_b32_e32 v189, v185
	v_pk_fma_f32 v[190:191], v[194:195], v[200:201], v[204:205] op_sel:[0,0,1] op_sel_hi:[1,1,0] neg_lo:[0,0,1] neg_hi:[0,0,1]
	s_wait_dscnt 0x1
	v_dual_mul_f32 v192, v197, v200 :: v_dual_mov_b32 v191, v187
	ds_load_2addr_b64 v[184:187], v214 offset0:31 offset1:32
	v_pk_add_f32 v[134:135], v[134:135], v[188:189] neg_lo:[0,1] neg_hi:[0,1]
	v_mul_f32_e32 v188, v197, v203
	v_pk_fma_f32 v[192:193], v[196:197], v[114:115], v[192:193] op_sel:[1,0,0] op_sel_hi:[0,1,0]
	v_pk_add_f32 v[100:101], v[100:101], v[190:191] neg_lo:[0,1] neg_hi:[0,1]
	v_pk_mul_f32 v[194:195], v[198:199], v[202:203] op_sel:[0,1]
	v_pk_add_f32 v[124:125], v[124:125], v[206:207] neg_lo:[0,1] neg_hi:[0,1]
	v_pk_fma_f32 v[196:197], v[196:197], v[114:115], v[188:189] op_sel_hi:[1,1,0] neg_lo:[0,0,1] neg_hi:[0,0,1]
	ds_load_2addr_b64 v[188:191], v214 offset0:33 offset1:34
	s_wait_dscnt 0x2
	v_pk_mul_f32 v[204:205], v[180:181], v[202:203] op_sel:[0,1]
	v_pk_fma_f32 v[206:207], v[198:199], v[200:201], v[194:195] op_sel:[0,0,1] op_sel_hi:[1,0,0]
	v_mov_b32_e32 v197, v193
	v_pk_fma_f32 v[194:195], v[198:199], v[200:201], v[194:195] op_sel:[0,0,1] op_sel_hi:[1,1,0] neg_lo:[0,0,1] neg_hi:[0,0,1]
	v_pk_mul_f32 v[198:199], v[182:183], v[202:203] op_sel:[0,1]
	v_pk_fma_f32 v[192:193], v[180:181], v[200:201], v[204:205] op_sel:[0,0,1] op_sel_hi:[1,0,0]
	v_pk_fma_f32 v[180:181], v[180:181], v[200:201], v[204:205] op_sel:[0,0,1] op_sel_hi:[1,1,0] neg_lo:[0,0,1] neg_hi:[0,0,1]
	v_mov_b32_e32 v195, v207
	v_pk_add_f32 v[98:99], v[98:99], v[196:197] neg_lo:[0,1] neg_hi:[0,1]
	v_pk_add_f32 v[94:95], v[94:95], v[224:225] neg_lo:[0,1] neg_hi:[0,1]
	v_mov_b32_e32 v181, v193
	s_wait_dscnt 0x1
	v_pk_mul_f32 v[196:197], v[184:185], v[202:203] op_sel:[0,1]
	v_pk_fma_f32 v[192:193], v[182:183], v[200:201], v[198:199] op_sel:[0,0,1] op_sel_hi:[1,0,0]
	v_mov_b32_e32 v192, v187
	v_pk_add_f32 v[120:121], v[120:121], v[194:195] neg_lo:[0,1] neg_hi:[0,1]
	v_pk_add_f32 v[116:117], v[116:117], v[180:181] neg_lo:[0,1] neg_hi:[0,1]
	v_pk_fma_f32 v[180:181], v[182:183], v[200:201], v[198:199] op_sel:[0,0,1] op_sel_hi:[1,1,0] neg_lo:[0,0,1] neg_hi:[0,0,1]
	v_pk_fma_f32 v[182:183], v[184:185], v[200:201], v[196:197] op_sel:[0,0,1] op_sel_hi:[1,1,0] neg_lo:[0,0,1] neg_hi:[0,0,1]
	v_pk_fma_f32 v[184:185], v[184:185], v[200:201], v[196:197] op_sel:[0,0,1] op_sel_hi:[1,0,0]
	v_dual_mov_b32 v181, v193 :: v_dual_mov_b32 v193, v186
	v_dual_mul_f32 v194, v187, v200 :: v_dual_mul_f32 v184, v187, v203
	s_wait_dscnt 0x0
	v_pk_mul_f32 v[196:197], v[188:189], v[202:203] op_sel:[0,1]
	v_pk_mul_f32 v[198:199], v[190:191], v[202:203] op_sel:[0,1]
	v_pk_add_f32 v[138:139], v[138:139], v[210:211] neg_lo:[0,1] neg_hi:[0,1]
	v_pk_fma_f32 v[192:193], v[192:193], v[114:115], v[194:195] op_sel_hi:[1,1,0]
	v_mov_b32_e32 v183, v185
	v_pk_fma_f32 v[194:195], v[188:189], v[200:201], v[196:197] op_sel:[0,0,1] op_sel_hi:[1,0,0]
	v_pk_fma_f32 v[184:185], v[186:187], v[114:115], v[184:185] op_sel_hi:[1,1,0] neg_lo:[0,0,1] neg_hi:[0,0,1]
	v_pk_fma_f32 v[186:187], v[190:191], v[200:201], v[198:199] op_sel:[0,0,1] op_sel_hi:[1,0,0]
	v_pk_fma_f32 v[188:189], v[188:189], v[200:201], v[196:197] op_sel:[0,0,1] op_sel_hi:[1,1,0] neg_lo:[0,0,1] neg_hi:[0,0,1]
	v_pk_fma_f32 v[190:191], v[190:191], v[200:201], v[198:199] op_sel:[0,0,1] op_sel_hi:[1,1,0] neg_lo:[0,0,1] neg_hi:[0,0,1]
	v_dual_mov_b32 v185, v193 :: v_dual_mov_b32 v189, v195
	s_delay_alu instid0(VALU_DEP_4) | instskip(SKIP_2) | instid1(VALU_DEP_4)
	v_mov_b32_e32 v191, v187
	v_pk_add_f32 v[118:119], v[118:119], v[180:181] neg_lo:[0,1] neg_hi:[0,1]
	v_pk_add_f32 v[132:133], v[132:133], v[182:183] neg_lo:[0,1] neg_hi:[0,1]
	;; [unrolled: 1-line block ×5, first 2 shown]
.LBB69_172:
	s_or_b32 exec_lo, exec_lo, s1
	s_delay_alu instid0(SALU_CYCLE_1)
	s_mov_b32 s2, exec_lo
	s_wait_dscnt 0x0
	s_barrier_signal -1
	s_barrier_wait -1
	v_cmpx_eq_u32_e32 19, v212
	s_cbranch_execz .LBB69_179
; %bb.173:
	v_dual_mov_b32 v180, v128 :: v_dual_mov_b32 v181, v129
	v_dual_mov_b32 v182, v124 :: v_dual_mov_b32 v183, v125
	;; [unrolled: 1-line block ×4, first 2 shown]
	ds_store_b64 v213, v[94:95]
	ds_store_2addr_b64 v214, v[180:181], v[182:183] offset0:20 offset1:21
	ds_store_2addr_b64 v214, v[184:185], v[186:187] offset0:22 offset1:23
	v_dual_mov_b32 v180, v136 :: v_dual_mov_b32 v181, v137
	v_dual_mov_b32 v182, v134 :: v_dual_mov_b32 v183, v135
	;; [unrolled: 1-line block ×10, first 2 shown]
	ds_store_2addr_b64 v214, v[180:181], v[182:183] offset0:24 offset1:25
	ds_store_2addr_b64 v214, v[184:185], v[186:187] offset0:26 offset1:27
	;; [unrolled: 1-line block ×5, first 2 shown]
	ds_store_b64 v214, v[140:141] offset:272
	ds_load_b64 v[180:181], v213
	s_wait_dscnt 0x0
	v_cmp_neq_f32_e32 vcc_lo, 0, v180
	v_cmp_neq_f32_e64 s1, 0, v181
	s_or_b32 s1, vcc_lo, s1
	s_delay_alu instid0(SALU_CYCLE_1)
	s_and_b32 exec_lo, exec_lo, s1
	s_cbranch_execz .LBB69_179
; %bb.174:
	v_cmp_ngt_f32_e64 s1, |v180|, |v181|
                                        ; implicit-def: $vgpr182_vgpr183
	s_and_saveexec_b32 s4, s1
	s_delay_alu instid0(SALU_CYCLE_1)
	s_xor_b32 s1, exec_lo, s4
	s_cbranch_execz .LBB69_176
; %bb.175:
	v_div_scale_f32 v182, null, v181, v181, v180
	v_div_scale_f32 v185, vcc_lo, v180, v181, v180
	s_delay_alu instid0(VALU_DEP_2) | instskip(SKIP_1) | instid1(TRANS32_DEP_1)
	v_rcp_f32_e32 v183, v182
	v_nop
	v_fma_f32 v184, -v182, v183, 1.0
	s_delay_alu instid0(VALU_DEP_1) | instskip(NEXT) | instid1(VALU_DEP_1)
	v_fmac_f32_e32 v183, v184, v183
	v_mul_f32_e32 v184, v185, v183
	s_delay_alu instid0(VALU_DEP_1) | instskip(NEXT) | instid1(VALU_DEP_1)
	v_fma_f32 v186, -v182, v184, v185
	v_fmac_f32_e32 v184, v186, v183
	s_delay_alu instid0(VALU_DEP_1) | instskip(NEXT) | instid1(VALU_DEP_1)
	v_fma_f32 v182, -v182, v184, v185
	v_div_fmas_f32 v182, v182, v183, v184
	s_delay_alu instid0(VALU_DEP_1) | instskip(NEXT) | instid1(VALU_DEP_1)
	v_div_fixup_f32 v182, v182, v181, v180
	v_fmac_f32_e32 v181, v180, v182
	s_delay_alu instid0(VALU_DEP_1) | instskip(SKIP_1) | instid1(VALU_DEP_2)
	v_div_scale_f32 v180, null, v181, v181, 1.0
	v_div_scale_f32 v185, vcc_lo, 1.0, v181, 1.0
	v_rcp_f32_e32 v183, v180
	v_nop
	s_delay_alu instid0(TRANS32_DEP_1) | instskip(NEXT) | instid1(VALU_DEP_1)
	v_fma_f32 v184, -v180, v183, 1.0
	v_fmac_f32_e32 v183, v184, v183
	s_delay_alu instid0(VALU_DEP_1) | instskip(NEXT) | instid1(VALU_DEP_1)
	v_mul_f32_e32 v184, v185, v183
	v_fma_f32 v186, -v180, v184, v185
	s_delay_alu instid0(VALU_DEP_1) | instskip(NEXT) | instid1(VALU_DEP_1)
	v_fmac_f32_e32 v184, v186, v183
	v_fma_f32 v180, -v180, v184, v185
	s_delay_alu instid0(VALU_DEP_1) | instskip(NEXT) | instid1(VALU_DEP_1)
	v_div_fmas_f32 v180, v180, v183, v184
	v_div_fixup_f32 v180, v180, v181, 1.0
	s_delay_alu instid0(VALU_DEP_1)
	v_mul_f32_e32 v182, v182, v180
	v_xor_b32_e32 v183, 0x80000000, v180
                                        ; implicit-def: $vgpr180_vgpr181
.LBB69_176:
	s_and_not1_saveexec_b32 s1, s1
	s_cbranch_execz .LBB69_178
; %bb.177:
	v_div_scale_f32 v182, null, v180, v180, v181
	v_div_scale_f32 v185, vcc_lo, v181, v180, v181
	s_delay_alu instid0(VALU_DEP_2) | instskip(SKIP_1) | instid1(TRANS32_DEP_1)
	v_rcp_f32_e32 v183, v182
	v_nop
	v_fma_f32 v184, -v182, v183, 1.0
	s_delay_alu instid0(VALU_DEP_1) | instskip(NEXT) | instid1(VALU_DEP_1)
	v_fmac_f32_e32 v183, v184, v183
	v_mul_f32_e32 v184, v185, v183
	s_delay_alu instid0(VALU_DEP_1) | instskip(NEXT) | instid1(VALU_DEP_1)
	v_fma_f32 v186, -v182, v184, v185
	v_fmac_f32_e32 v184, v186, v183
	s_delay_alu instid0(VALU_DEP_1) | instskip(NEXT) | instid1(VALU_DEP_1)
	v_fma_f32 v182, -v182, v184, v185
	v_div_fmas_f32 v182, v182, v183, v184
	s_delay_alu instid0(VALU_DEP_1) | instskip(NEXT) | instid1(VALU_DEP_1)
	v_div_fixup_f32 v183, v182, v180, v181
	v_fmac_f32_e32 v180, v181, v183
	s_delay_alu instid0(VALU_DEP_1) | instskip(NEXT) | instid1(VALU_DEP_1)
	v_div_scale_f32 v181, null, v180, v180, 1.0
	v_rcp_f32_e32 v182, v181
	v_nop
	s_delay_alu instid0(TRANS32_DEP_1) | instskip(NEXT) | instid1(VALU_DEP_1)
	v_fma_f32 v184, -v181, v182, 1.0
	v_fmac_f32_e32 v182, v184, v182
	v_div_scale_f32 v184, vcc_lo, 1.0, v180, 1.0
	s_delay_alu instid0(VALU_DEP_1) | instskip(NEXT) | instid1(VALU_DEP_1)
	v_mul_f32_e32 v185, v184, v182
	v_fma_f32 v186, -v181, v185, v184
	s_delay_alu instid0(VALU_DEP_1) | instskip(NEXT) | instid1(VALU_DEP_1)
	v_fmac_f32_e32 v185, v186, v182
	v_fma_f32 v181, -v181, v185, v184
	s_delay_alu instid0(VALU_DEP_1) | instskip(NEXT) | instid1(VALU_DEP_1)
	v_div_fmas_f32 v181, v181, v182, v185
	v_div_fixup_f32 v182, v181, v180, 1.0
	s_delay_alu instid0(VALU_DEP_1)
	v_mul_f32_e64 v183, v183, -v182
.LBB69_178:
	s_or_b32 exec_lo, exec_lo, s1
	ds_store_b64 v213, v[182:183]
.LBB69_179:
	s_or_b32 exec_lo, exec_lo, s2
	s_wait_dscnt 0x0
	s_barrier_signal -1
	s_barrier_wait -1
	ds_load_b64 v[180:181], v213
	s_mov_b32 s1, exec_lo
	v_cmpx_lt_u32_e32 19, v212
	s_cbranch_execz .LBB69_181
; %bb.180:
	ds_load_2addr_b64 v[182:185], v214 offset0:20 offset1:21
	ds_load_2addr_b64 v[186:189], v214 offset0:22 offset1:23
	ds_load_2addr_b64 v[190:193], v214 offset0:24 offset1:25
	s_wait_dscnt 0x3
	v_pk_mul_f32 v[198:199], v[180:181], v[94:95] op_sel:[1,1] op_sel_hi:[0,1]
	ds_load_2addr_b64 v[194:197], v214 offset0:26 offset1:27
	v_pk_fma_f32 v[204:205], v[180:181], v[94:95], v[198:199] op_sel_hi:[1,0,1]
	v_pk_fma_f32 v[202:203], v[180:181], v[94:95], v[198:199] op_sel_hi:[1,0,1] neg_lo:[0,0,1] neg_hi:[0,0,1]
	ds_load_2addr_b64 v[198:201], v214 offset0:28 offset1:29
	v_dual_mov_b32 v95, v205 :: v_dual_mov_b32 v94, v202
	s_wait_dscnt 0x4
	v_pk_mul_f32 v[206:207], v[182:183], v[204:205] op_sel:[0,1]
	v_pk_mul_f32 v[208:209], v[184:185], v[204:205] op_sel:[0,1]
	s_wait_dscnt 0x3
	v_pk_mul_f32 v[210:211], v[186:187], v[204:205] op_sel:[0,1]
	s_wait_dscnt 0x2
	v_pk_mul_f32 v[222:223], v[190:191], v[204:205] op_sel:[0,1]
	v_dual_mov_b32 v216, v189 :: v_dual_mov_b32 v217, v188
	v_pk_fma_f32 v[228:229], v[182:183], v[202:203], v[206:207] op_sel:[0,0,1] op_sel_hi:[1,1,0] neg_lo:[0,0,1] neg_hi:[0,0,1]
	v_pk_fma_f32 v[182:183], v[182:183], v[202:203], v[206:207] op_sel:[0,0,1] op_sel_hi:[1,0,0]
	v_pk_fma_f32 v[206:207], v[184:185], v[202:203], v[208:209] op_sel:[0,0,1] op_sel_hi:[1,1,0] neg_lo:[0,0,1] neg_hi:[0,0,1]
	v_pk_fma_f32 v[184:185], v[184:185], v[202:203], v[208:209] op_sel:[0,0,1] op_sel_hi:[1,0,0]
	v_dual_mul_f32 v218, v189, v205 :: v_dual_mul_f32 v220, v189, v202
	v_pk_fma_f32 v[208:209], v[186:187], v[202:203], v[210:211] op_sel:[0,0,1] op_sel_hi:[1,1,0] neg_lo:[0,0,1] neg_hi:[0,0,1]
	v_pk_fma_f32 v[186:187], v[186:187], v[202:203], v[210:211] op_sel:[0,0,1] op_sel_hi:[1,0,0]
	v_pk_mul_f32 v[224:225], v[192:193], v[204:205] op_sel:[0,1]
	v_dual_mov_b32 v229, v183 :: v_dual_mov_b32 v207, v185
	v_pk_fma_f32 v[182:183], v[190:191], v[202:203], v[222:223] op_sel:[0,0,1] op_sel_hi:[1,0,0]
	s_wait_dscnt 0x1
	v_pk_mul_f32 v[226:227], v[194:195], v[204:205] op_sel:[0,1]
	v_pk_fma_f32 v[210:211], v[216:217], v[94:95], v[220:221] op_sel_hi:[1,1,0]
	v_mov_b32_e32 v209, v187
	v_pk_fma_f32 v[186:187], v[190:191], v[202:203], v[222:223] op_sel:[0,0,1] op_sel_hi:[1,1,0] neg_lo:[0,0,1] neg_hi:[0,0,1]
	v_pk_fma_f32 v[190:191], v[192:193], v[202:203], v[224:225] op_sel:[0,0,1] op_sel_hi:[1,0,0]
	v_mov_b32_e32 v187, v183
	ds_load_2addr_b64 v[182:185], v214 offset0:30 offset1:31
	v_pk_fma_f32 v[188:189], v[188:189], v[94:95], v[218:219] op_sel_hi:[1,1,0] neg_lo:[0,0,1] neg_hi:[0,0,1]
	v_pk_add_f32 v[124:125], v[124:125], v[206:207] neg_lo:[0,1] neg_hi:[0,1]
	v_pk_fma_f32 v[206:207], v[194:195], v[202:203], v[226:227] op_sel:[0,0,1] op_sel_hi:[1,0,0]
	v_mov_b32_e32 v189, v211
	v_pk_fma_f32 v[192:193], v[192:193], v[202:203], v[224:225] op_sel:[0,0,1] op_sel_hi:[1,1,0] neg_lo:[0,0,1] neg_hi:[0,0,1]
	v_mov_b32_e32 v193, v191
	v_pk_fma_f32 v[190:191], v[194:195], v[202:203], v[226:227] op_sel:[0,0,1] op_sel_hi:[1,1,0] neg_lo:[0,0,1] neg_hi:[0,0,1]
	v_pk_mul_f32 v[194:195], v[196:197], v[204:205] op_sel:[0,1]
	v_mov_b32_e32 v191, v207
	v_pk_add_f32 v[138:139], v[138:139], v[188:189] neg_lo:[0,1] neg_hi:[0,1]
	v_pk_add_f32 v[136:137], v[136:137], v[186:187] neg_lo:[0,1] neg_hi:[0,1]
	ds_load_2addr_b64 v[186:189], v214 offset0:32 offset1:33
	v_pk_add_f32 v[126:127], v[126:127], v[208:209] neg_lo:[0,1] neg_hi:[0,1]
	v_pk_add_f32 v[134:135], v[134:135], v[192:193] neg_lo:[0,1] neg_hi:[0,1]
	v_pk_fma_f32 v[192:193], v[196:197], v[202:203], v[194:195] op_sel:[0,0,1] op_sel_hi:[1,0,0]
	ds_load_b64 v[208:209], v214 offset:272
	v_pk_add_f32 v[100:101], v[100:101], v[190:191] neg_lo:[0,1] neg_hi:[0,1]
	v_pk_fma_f32 v[190:191], v[196:197], v[202:203], v[194:195] op_sel:[0,0,1] op_sel_hi:[1,1,0] neg_lo:[0,0,1] neg_hi:[0,0,1]
	s_wait_dscnt 0x3
	v_dual_mul_f32 v192, v199, v202 :: v_dual_mul_f32 v196, v199, v205
	v_pk_mul_f32 v[194:195], v[200:201], v[204:205] op_sel:[0,1]
	v_pk_add_f32 v[128:129], v[128:129], v[228:229] neg_lo:[0,1] neg_hi:[0,1]
	s_delay_alu instid0(VALU_DEP_3) | instskip(NEXT) | instid1(VALU_DEP_3)
	v_pk_fma_f32 v[196:197], v[198:199], v[94:95], v[196:197] op_sel_hi:[1,1,0] neg_lo:[0,0,1] neg_hi:[0,0,1]
	v_pk_fma_f32 v[206:207], v[200:201], v[202:203], v[194:195] op_sel:[0,0,1] op_sel_hi:[1,0,0]
	v_mov_b32_e32 v191, v193
	v_pk_fma_f32 v[192:193], v[198:199], v[94:95], v[192:193] op_sel:[1,0,0] op_sel_hi:[0,1,0]
	s_wait_dscnt 0x2
	v_pk_mul_f32 v[198:199], v[182:183], v[204:205] op_sel:[0,1]
	s_delay_alu instid0(VALU_DEP_2)
	v_mov_b32_e32 v197, v193
	v_pk_fma_f32 v[192:193], v[200:201], v[202:203], v[194:195] op_sel:[0,0,1] op_sel_hi:[1,1,0] neg_lo:[0,0,1] neg_hi:[0,0,1]
	v_mov_b32_e32 v193, v207
	v_pk_add_f32 v[98:99], v[98:99], v[190:191] neg_lo:[0,1] neg_hi:[0,1]
	v_pk_fma_f32 v[190:191], v[182:183], v[202:203], v[198:199] op_sel:[0,0,1] op_sel_hi:[1,0,0]
	v_pk_mul_f32 v[194:195], v[184:185], v[204:205] op_sel:[0,1]
	v_pk_fma_f32 v[182:183], v[182:183], v[202:203], v[198:199] op_sel:[0,0,1] op_sel_hi:[1,1,0] neg_lo:[0,0,1] neg_hi:[0,0,1]
	v_pk_add_f32 v[116:117], v[116:117], v[192:193] neg_lo:[0,1] neg_hi:[0,1]
	s_wait_dscnt 0x1
	v_pk_mul_f32 v[192:193], v[186:187], v[204:205] op_sel:[0,1]
	v_mov_b32_e32 v183, v191
	v_pk_fma_f32 v[190:191], v[184:185], v[202:203], v[194:195] op_sel:[0,0,1] op_sel_hi:[1,1,0] neg_lo:[0,0,1] neg_hi:[0,0,1]
	v_pk_fma_f32 v[184:185], v[184:185], v[202:203], v[194:195] op_sel:[0,0,1] op_sel_hi:[1,0,0]
	v_dual_mov_b32 v194, v189 :: v_dual_mov_b32 v195, v188
	v_mul_f32_e32 v184, v189, v202
	v_pk_add_f32 v[120:121], v[120:121], v[196:197] neg_lo:[0,1] neg_hi:[0,1]
	s_wait_dscnt 0x0
	v_pk_mul_f32 v[196:197], v[208:209], v[204:205] op_sel:[0,1]
	v_pk_fma_f32 v[198:199], v[186:187], v[202:203], v[192:193] op_sel:[0,0,1] op_sel_hi:[1,0,0]
	v_mul_f32_e32 v198, v189, v205
	v_mov_b32_e32 v191, v185
	v_pk_fma_f32 v[184:185], v[194:195], v[94:95], v[184:185] op_sel_hi:[1,1,0]
	v_pk_fma_f32 v[186:187], v[186:187], v[202:203], v[192:193] op_sel:[0,0,1] op_sel_hi:[1,1,0] neg_lo:[0,0,1] neg_hi:[0,0,1]
	v_pk_fma_f32 v[192:193], v[208:209], v[202:203], v[196:197] op_sel:[0,0,1] op_sel_hi:[1,0,0]
	v_pk_fma_f32 v[188:189], v[188:189], v[94:95], v[198:199] op_sel_hi:[1,1,0] neg_lo:[0,0,1] neg_hi:[0,0,1]
	s_delay_alu instid0(VALU_DEP_4) | instskip(SKIP_1) | instid1(VALU_DEP_4)
	v_dual_mov_b32 v187, v199 :: v_dual_mov_b32 v189, v185
	v_pk_fma_f32 v[184:185], v[208:209], v[202:203], v[196:197] op_sel:[0,0,1] op_sel_hi:[1,1,0] neg_lo:[0,0,1] neg_hi:[0,0,1]
	v_mov_b32_e32 v185, v193
	v_pk_add_f32 v[118:119], v[118:119], v[182:183] neg_lo:[0,1] neg_hi:[0,1]
	v_pk_add_f32 v[132:133], v[132:133], v[190:191] neg_lo:[0,1] neg_hi:[0,1]
	;; [unrolled: 1-line block ×5, first 2 shown]
.LBB69_181:
	s_or_b32 exec_lo, exec_lo, s1
	s_delay_alu instid0(SALU_CYCLE_1)
	s_mov_b32 s2, exec_lo
	s_wait_dscnt 0x0
	s_barrier_signal -1
	s_barrier_wait -1
	v_cmpx_eq_u32_e32 20, v212
	s_cbranch_execz .LBB69_188
; %bb.182:
	ds_store_b64 v213, v[128:129]
	ds_store_2addr_b64 v214, v[124:125], v[126:127] offset0:21 offset1:22
	ds_store_2addr_b64 v214, v[138:139], v[136:137] offset0:23 offset1:24
	;; [unrolled: 1-line block ×7, first 2 shown]
	ds_load_b64 v[182:183], v213
	s_wait_dscnt 0x0
	v_cmp_neq_f32_e32 vcc_lo, 0, v182
	v_cmp_neq_f32_e64 s1, 0, v183
	s_or_b32 s1, vcc_lo, s1
	s_delay_alu instid0(SALU_CYCLE_1)
	s_and_b32 exec_lo, exec_lo, s1
	s_cbranch_execz .LBB69_188
; %bb.183:
	v_cmp_ngt_f32_e64 s1, |v182|, |v183|
                                        ; implicit-def: $vgpr184_vgpr185
	s_and_saveexec_b32 s4, s1
	s_delay_alu instid0(SALU_CYCLE_1)
	s_xor_b32 s1, exec_lo, s4
	s_cbranch_execz .LBB69_185
; %bb.184:
	v_div_scale_f32 v184, null, v183, v183, v182
	v_div_scale_f32 v187, vcc_lo, v182, v183, v182
	s_delay_alu instid0(VALU_DEP_2) | instskip(SKIP_1) | instid1(TRANS32_DEP_1)
	v_rcp_f32_e32 v185, v184
	v_nop
	v_fma_f32 v186, -v184, v185, 1.0
	s_delay_alu instid0(VALU_DEP_1) | instskip(NEXT) | instid1(VALU_DEP_1)
	v_fmac_f32_e32 v185, v186, v185
	v_mul_f32_e32 v186, v187, v185
	s_delay_alu instid0(VALU_DEP_1) | instskip(NEXT) | instid1(VALU_DEP_1)
	v_fma_f32 v188, -v184, v186, v187
	v_fmac_f32_e32 v186, v188, v185
	s_delay_alu instid0(VALU_DEP_1) | instskip(NEXT) | instid1(VALU_DEP_1)
	v_fma_f32 v184, -v184, v186, v187
	v_div_fmas_f32 v184, v184, v185, v186
	s_delay_alu instid0(VALU_DEP_1) | instskip(NEXT) | instid1(VALU_DEP_1)
	v_div_fixup_f32 v184, v184, v183, v182
	v_fmac_f32_e32 v183, v182, v184
	s_delay_alu instid0(VALU_DEP_1) | instskip(SKIP_1) | instid1(VALU_DEP_2)
	v_div_scale_f32 v182, null, v183, v183, 1.0
	v_div_scale_f32 v187, vcc_lo, 1.0, v183, 1.0
	v_rcp_f32_e32 v185, v182
	v_nop
	s_delay_alu instid0(TRANS32_DEP_1) | instskip(NEXT) | instid1(VALU_DEP_1)
	v_fma_f32 v186, -v182, v185, 1.0
	v_fmac_f32_e32 v185, v186, v185
	s_delay_alu instid0(VALU_DEP_1) | instskip(NEXT) | instid1(VALU_DEP_1)
	v_mul_f32_e32 v186, v187, v185
	v_fma_f32 v188, -v182, v186, v187
	s_delay_alu instid0(VALU_DEP_1) | instskip(NEXT) | instid1(VALU_DEP_1)
	v_fmac_f32_e32 v186, v188, v185
	v_fma_f32 v182, -v182, v186, v187
	s_delay_alu instid0(VALU_DEP_1) | instskip(NEXT) | instid1(VALU_DEP_1)
	v_div_fmas_f32 v182, v182, v185, v186
	v_div_fixup_f32 v182, v182, v183, 1.0
	s_delay_alu instid0(VALU_DEP_1)
	v_mul_f32_e32 v184, v184, v182
	v_xor_b32_e32 v185, 0x80000000, v182
                                        ; implicit-def: $vgpr182_vgpr183
.LBB69_185:
	s_and_not1_saveexec_b32 s1, s1
	s_cbranch_execz .LBB69_187
; %bb.186:
	v_div_scale_f32 v184, null, v182, v182, v183
	v_div_scale_f32 v187, vcc_lo, v183, v182, v183
	s_delay_alu instid0(VALU_DEP_2) | instskip(SKIP_1) | instid1(TRANS32_DEP_1)
	v_rcp_f32_e32 v185, v184
	v_nop
	v_fma_f32 v186, -v184, v185, 1.0
	s_delay_alu instid0(VALU_DEP_1) | instskip(NEXT) | instid1(VALU_DEP_1)
	v_fmac_f32_e32 v185, v186, v185
	v_mul_f32_e32 v186, v187, v185
	s_delay_alu instid0(VALU_DEP_1) | instskip(NEXT) | instid1(VALU_DEP_1)
	v_fma_f32 v188, -v184, v186, v187
	v_fmac_f32_e32 v186, v188, v185
	s_delay_alu instid0(VALU_DEP_1) | instskip(NEXT) | instid1(VALU_DEP_1)
	v_fma_f32 v184, -v184, v186, v187
	v_div_fmas_f32 v184, v184, v185, v186
	s_delay_alu instid0(VALU_DEP_1) | instskip(NEXT) | instid1(VALU_DEP_1)
	v_div_fixup_f32 v185, v184, v182, v183
	v_fmac_f32_e32 v182, v183, v185
	s_delay_alu instid0(VALU_DEP_1) | instskip(NEXT) | instid1(VALU_DEP_1)
	v_div_scale_f32 v183, null, v182, v182, 1.0
	v_rcp_f32_e32 v184, v183
	v_nop
	s_delay_alu instid0(TRANS32_DEP_1) | instskip(NEXT) | instid1(VALU_DEP_1)
	v_fma_f32 v186, -v183, v184, 1.0
	v_fmac_f32_e32 v184, v186, v184
	v_div_scale_f32 v186, vcc_lo, 1.0, v182, 1.0
	s_delay_alu instid0(VALU_DEP_1) | instskip(NEXT) | instid1(VALU_DEP_1)
	v_mul_f32_e32 v187, v186, v184
	v_fma_f32 v188, -v183, v187, v186
	s_delay_alu instid0(VALU_DEP_1) | instskip(NEXT) | instid1(VALU_DEP_1)
	v_fmac_f32_e32 v187, v188, v184
	v_fma_f32 v183, -v183, v187, v186
	s_delay_alu instid0(VALU_DEP_1) | instskip(NEXT) | instid1(VALU_DEP_1)
	v_div_fmas_f32 v183, v183, v184, v187
	v_div_fixup_f32 v184, v183, v182, 1.0
	s_delay_alu instid0(VALU_DEP_1)
	v_mul_f32_e64 v185, v185, -v184
.LBB69_187:
	s_or_b32 exec_lo, exec_lo, s1
	ds_store_b64 v213, v[184:185]
.LBB69_188:
	s_or_b32 exec_lo, exec_lo, s2
	s_wait_dscnt 0x0
	s_barrier_signal -1
	s_barrier_wait -1
	ds_load_b64 v[182:183], v213
	s_mov_b32 s1, exec_lo
	v_cmpx_lt_u32_e32 20, v212
	s_cbranch_execz .LBB69_190
; %bb.189:
	ds_load_2addr_b64 v[184:187], v214 offset0:21 offset1:22
	ds_load_2addr_b64 v[188:191], v214 offset0:23 offset1:24
	;; [unrolled: 1-line block ×3, first 2 shown]
	s_wait_dscnt 0x3
	v_pk_mul_f32 v[196:197], v[182:183], v[128:129] op_sel:[1,1] op_sel_hi:[0,1]
	s_delay_alu instid0(VALU_DEP_1)
	v_pk_fma_f32 v[206:207], v[182:183], v[128:129], v[196:197] op_sel_hi:[1,0,1]
	v_pk_fma_f32 v[204:205], v[182:183], v[128:129], v[196:197] op_sel_hi:[1,0,1] neg_lo:[0,0,1] neg_hi:[0,0,1]
	ds_load_2addr_b64 v[196:199], v214 offset0:27 offset1:28
	ds_load_2addr_b64 v[200:203], v214 offset0:29 offset1:30
	v_dual_mov_b32 v129, v207 :: v_dual_mov_b32 v128, v204
	s_wait_dscnt 0x4
	v_pk_mul_f32 v[208:209], v[184:185], v[206:207] op_sel:[0,1]
	v_pk_mul_f32 v[210:211], v[186:187], v[206:207] op_sel:[0,1]
	s_wait_dscnt 0x3
	v_pk_mul_f32 v[216:217], v[188:189], v[206:207] op_sel:[0,1]
	v_dual_mov_b32 v218, v191 :: v_dual_mov_b32 v219, v190
	v_dual_mul_f32 v220, v191, v207 :: v_dual_mul_f32 v222, v191, v204
	s_wait_dscnt 0x2
	v_pk_mul_f32 v[224:225], v[192:193], v[206:207] op_sel:[0,1]
	v_pk_mul_f32 v[226:227], v[194:195], v[206:207] op_sel:[0,1]
	v_pk_fma_f32 v[228:229], v[184:185], v[204:205], v[208:209] op_sel:[0,0,1] op_sel_hi:[1,1,0] neg_lo:[0,0,1] neg_hi:[0,0,1]
	v_pk_fma_f32 v[184:185], v[184:185], v[204:205], v[208:209] op_sel:[0,0,1] op_sel_hi:[1,0,0]
	v_pk_fma_f32 v[208:209], v[186:187], v[204:205], v[210:211] op_sel:[0,0,1] op_sel_hi:[1,1,0] neg_lo:[0,0,1] neg_hi:[0,0,1]
	v_pk_fma_f32 v[186:187], v[186:187], v[204:205], v[210:211] op_sel:[0,0,1] op_sel_hi:[1,0,0]
	;; [unrolled: 2-line block ×3, first 2 shown]
	v_pk_fma_f32 v[216:217], v[218:219], v[128:129], v[222:223] op_sel_hi:[1,1,0]
	v_pk_fma_f32 v[218:219], v[192:193], v[204:205], v[224:225] op_sel:[0,0,1] op_sel_hi:[1,0,0]
	v_dual_mov_b32 v229, v185 :: v_dual_mov_b32 v209, v187
	v_pk_fma_f32 v[184:185], v[194:195], v[204:205], v[226:227] op_sel:[0,0,1] op_sel_hi:[1,0,0]
	v_mov_b32_e32 v211, v189
	v_pk_fma_f32 v[188:189], v[192:193], v[204:205], v[224:225] op_sel:[0,0,1] op_sel_hi:[1,1,0] neg_lo:[0,0,1] neg_hi:[0,0,1]
	v_pk_fma_f32 v[192:193], v[194:195], v[204:205], v[226:227] op_sel:[0,0,1] op_sel_hi:[1,1,0] neg_lo:[0,0,1] neg_hi:[0,0,1]
	s_delay_alu instid0(VALU_DEP_4)
	v_dual_mov_b32 v189, v219 :: v_dual_mov_b32 v193, v185
	ds_load_2addr_b64 v[184:187], v214 offset0:31 offset1:32
	v_pk_fma_f32 v[190:191], v[190:191], v[128:129], v[220:221] op_sel_hi:[1,1,0] neg_lo:[0,0,1] neg_hi:[0,0,1]
	s_wait_dscnt 0x2
	v_pk_mul_f32 v[194:195], v[196:197], v[206:207] op_sel:[0,1]
	v_mov_b32_e32 v191, v217
	v_pk_add_f32 v[126:127], v[126:127], v[208:209] neg_lo:[0,1] neg_hi:[0,1]
	v_pk_add_f32 v[100:101], v[100:101], v[192:193] neg_lo:[0,1] neg_hi:[0,1]
	v_pk_mul_f32 v[208:209], v[198:199], v[206:207] op_sel:[0,1]
	v_pk_fma_f32 v[192:193], v[196:197], v[204:205], v[194:195] op_sel:[0,0,1] op_sel_hi:[1,0,0]
	v_pk_add_f32 v[136:137], v[136:137], v[190:191] neg_lo:[0,1] neg_hi:[0,1]
	v_pk_add_f32 v[134:135], v[134:135], v[188:189] neg_lo:[0,1] neg_hi:[0,1]
	ds_load_2addr_b64 v[188:191], v214 offset0:33 offset1:34
	v_pk_fma_f32 v[194:195], v[196:197], v[204:205], v[194:195] op_sel:[0,0,1] op_sel_hi:[1,1,0] neg_lo:[0,0,1] neg_hi:[0,0,1]
	s_wait_dscnt 0x2
	v_mul_f32_e32 v192, v201, v204
	v_pk_fma_f32 v[196:197], v[198:199], v[204:205], v[208:209] op_sel:[0,0,1] op_sel_hi:[1,0,0]
	v_mov_b32_e32 v195, v193
	v_mul_f32_e32 v196, v201, v207
	v_pk_fma_f32 v[198:199], v[198:199], v[204:205], v[208:209] op_sel:[0,0,1] op_sel_hi:[1,1,0] neg_lo:[0,0,1] neg_hi:[0,0,1]
	v_pk_fma_f32 v[192:193], v[200:201], v[128:129], v[192:193] op_sel:[1,0,0] op_sel_hi:[0,1,0]
	v_mov_b32_e32 v199, v197
	v_pk_add_f32 v[98:99], v[98:99], v[194:195] neg_lo:[0,1] neg_hi:[0,1]
	s_wait_dscnt 0x1
	v_pk_mul_f32 v[194:195], v[184:185], v[206:207] op_sel:[0,1]
	v_pk_mul_f32 v[208:209], v[202:203], v[206:207] op_sel:[0,1]
	v_pk_fma_f32 v[196:197], v[200:201], v[128:129], v[196:197] op_sel_hi:[1,1,0] neg_lo:[0,0,1] neg_hi:[0,0,1]
	v_pk_add_f32 v[120:121], v[120:121], v[198:199] neg_lo:[0,1] neg_hi:[0,1]
	v_pk_add_f32 v[124:125], v[124:125], v[228:229] neg_lo:[0,1] neg_hi:[0,1]
	v_pk_fma_f32 v[198:199], v[184:185], v[204:205], v[194:195] op_sel:[0,0,1] op_sel_hi:[1,0,0]
	v_mov_b32_e32 v197, v193
	v_pk_fma_f32 v[192:193], v[202:203], v[204:205], v[208:209] op_sel:[0,0,1] op_sel_hi:[1,0,0]
	v_pk_fma_f32 v[184:185], v[184:185], v[204:205], v[194:195] op_sel:[0,0,1] op_sel_hi:[1,1,0] neg_lo:[0,0,1] neg_hi:[0,0,1]
	v_pk_add_f32 v[138:139], v[138:139], v[210:211] neg_lo:[0,1] neg_hi:[0,1]
	v_mov_b32_e32 v185, v199
	v_pk_add_f32 v[116:117], v[116:117], v[196:197] neg_lo:[0,1] neg_hi:[0,1]
	v_pk_fma_f32 v[196:197], v[202:203], v[204:205], v[208:209] op_sel:[0,0,1] op_sel_hi:[1,1,0] neg_lo:[0,0,1] neg_hi:[0,0,1]
	v_mov_b32_e32 v197, v193
	v_pk_mul_f32 v[192:193], v[186:187], v[206:207] op_sel:[0,1]
	s_wait_dscnt 0x0
	v_pk_mul_f32 v[200:201], v[188:189], v[206:207] op_sel:[0,1]
	v_pk_mul_f32 v[194:195], v[190:191], v[206:207] op_sel:[0,1]
	v_pk_add_f32 v[132:133], v[132:133], v[184:185] neg_lo:[0,1] neg_hi:[0,1]
	v_pk_fma_f32 v[202:203], v[186:187], v[204:205], v[192:193] op_sel:[0,0,1] op_sel_hi:[1,0,0]
	s_delay_alu instid0(VALU_DEP_4)
	v_pk_fma_f32 v[198:199], v[188:189], v[204:205], v[200:201] op_sel:[0,0,1] op_sel_hi:[1,0,0]
	v_pk_fma_f32 v[186:187], v[186:187], v[204:205], v[192:193] op_sel:[0,0,1] op_sel_hi:[1,1,0] neg_lo:[0,0,1] neg_hi:[0,0,1]
	v_pk_fma_f32 v[192:193], v[190:191], v[204:205], v[194:195] op_sel:[0,0,1] op_sel_hi:[1,0,0]
	v_pk_fma_f32 v[188:189], v[188:189], v[204:205], v[200:201] op_sel:[0,0,1] op_sel_hi:[1,1,0] neg_lo:[0,0,1] neg_hi:[0,0,1]
	v_pk_fma_f32 v[190:191], v[190:191], v[204:205], v[194:195] op_sel:[0,0,1] op_sel_hi:[1,1,0] neg_lo:[0,0,1] neg_hi:[0,0,1]
	v_dual_mov_b32 v187, v203 :: v_dual_mov_b32 v189, v199
	s_delay_alu instid0(VALU_DEP_4) | instskip(SKIP_1) | instid1(VALU_DEP_3)
	v_mov_b32_e32 v191, v193
	v_pk_add_f32 v[118:119], v[118:119], v[196:197] neg_lo:[0,1] neg_hi:[0,1]
	v_pk_add_f32 v[130:131], v[130:131], v[186:187] neg_lo:[0,1] neg_hi:[0,1]
	s_delay_alu instid0(VALU_DEP_4) | instskip(NEXT) | instid1(VALU_DEP_4)
	v_pk_add_f32 v[122:123], v[122:123], v[188:189] neg_lo:[0,1] neg_hi:[0,1]
	v_pk_add_f32 v[140:141], v[140:141], v[190:191] neg_lo:[0,1] neg_hi:[0,1]
.LBB69_190:
	s_or_b32 exec_lo, exec_lo, s1
	s_delay_alu instid0(SALU_CYCLE_1)
	s_mov_b32 s2, exec_lo
	s_wait_dscnt 0x0
	s_barrier_signal -1
	s_barrier_wait -1
	v_cmpx_eq_u32_e32 21, v212
	s_cbranch_execz .LBB69_197
; %bb.191:
	v_dual_mov_b32 v184, v126 :: v_dual_mov_b32 v185, v127
	v_dual_mov_b32 v186, v138 :: v_dual_mov_b32 v187, v139
	;; [unrolled: 1-line block ×10, first 2 shown]
	ds_store_b64 v213, v[124:125]
	v_dual_mov_b32 v204, v130 :: v_dual_mov_b32 v205, v131
	v_dual_mov_b32 v206, v122 :: v_dual_mov_b32 v207, v123
	ds_store_2addr_b64 v214, v[184:185], v[186:187] offset0:22 offset1:23
	ds_store_2addr_b64 v214, v[188:189], v[190:191] offset0:24 offset1:25
	;; [unrolled: 1-line block ×6, first 2 shown]
	ds_store_b64 v214, v[140:141] offset:272
	ds_load_b64 v[184:185], v213
	s_wait_dscnt 0x0
	v_cmp_neq_f32_e32 vcc_lo, 0, v184
	v_cmp_neq_f32_e64 s1, 0, v185
	s_or_b32 s1, vcc_lo, s1
	s_delay_alu instid0(SALU_CYCLE_1)
	s_and_b32 exec_lo, exec_lo, s1
	s_cbranch_execz .LBB69_197
; %bb.192:
	v_cmp_ngt_f32_e64 s1, |v184|, |v185|
                                        ; implicit-def: $vgpr186_vgpr187
	s_and_saveexec_b32 s4, s1
	s_delay_alu instid0(SALU_CYCLE_1)
	s_xor_b32 s1, exec_lo, s4
	s_cbranch_execz .LBB69_194
; %bb.193:
	v_div_scale_f32 v186, null, v185, v185, v184
	v_div_scale_f32 v189, vcc_lo, v184, v185, v184
	s_delay_alu instid0(VALU_DEP_2) | instskip(SKIP_1) | instid1(TRANS32_DEP_1)
	v_rcp_f32_e32 v187, v186
	v_nop
	v_fma_f32 v188, -v186, v187, 1.0
	s_delay_alu instid0(VALU_DEP_1) | instskip(NEXT) | instid1(VALU_DEP_1)
	v_fmac_f32_e32 v187, v188, v187
	v_mul_f32_e32 v188, v189, v187
	s_delay_alu instid0(VALU_DEP_1) | instskip(NEXT) | instid1(VALU_DEP_1)
	v_fma_f32 v190, -v186, v188, v189
	v_fmac_f32_e32 v188, v190, v187
	s_delay_alu instid0(VALU_DEP_1) | instskip(NEXT) | instid1(VALU_DEP_1)
	v_fma_f32 v186, -v186, v188, v189
	v_div_fmas_f32 v186, v186, v187, v188
	s_delay_alu instid0(VALU_DEP_1) | instskip(NEXT) | instid1(VALU_DEP_1)
	v_div_fixup_f32 v186, v186, v185, v184
	v_fmac_f32_e32 v185, v184, v186
	s_delay_alu instid0(VALU_DEP_1) | instskip(SKIP_1) | instid1(VALU_DEP_2)
	v_div_scale_f32 v184, null, v185, v185, 1.0
	v_div_scale_f32 v189, vcc_lo, 1.0, v185, 1.0
	v_rcp_f32_e32 v187, v184
	v_nop
	s_delay_alu instid0(TRANS32_DEP_1) | instskip(NEXT) | instid1(VALU_DEP_1)
	v_fma_f32 v188, -v184, v187, 1.0
	v_fmac_f32_e32 v187, v188, v187
	s_delay_alu instid0(VALU_DEP_1) | instskip(NEXT) | instid1(VALU_DEP_1)
	v_mul_f32_e32 v188, v189, v187
	v_fma_f32 v190, -v184, v188, v189
	s_delay_alu instid0(VALU_DEP_1) | instskip(NEXT) | instid1(VALU_DEP_1)
	v_fmac_f32_e32 v188, v190, v187
	v_fma_f32 v184, -v184, v188, v189
	s_delay_alu instid0(VALU_DEP_1) | instskip(NEXT) | instid1(VALU_DEP_1)
	v_div_fmas_f32 v184, v184, v187, v188
	v_div_fixup_f32 v184, v184, v185, 1.0
	s_delay_alu instid0(VALU_DEP_1)
	v_mul_f32_e32 v186, v186, v184
	v_xor_b32_e32 v187, 0x80000000, v184
                                        ; implicit-def: $vgpr184_vgpr185
.LBB69_194:
	s_and_not1_saveexec_b32 s1, s1
	s_cbranch_execz .LBB69_196
; %bb.195:
	v_div_scale_f32 v186, null, v184, v184, v185
	v_div_scale_f32 v189, vcc_lo, v185, v184, v185
	s_delay_alu instid0(VALU_DEP_2) | instskip(SKIP_1) | instid1(TRANS32_DEP_1)
	v_rcp_f32_e32 v187, v186
	v_nop
	v_fma_f32 v188, -v186, v187, 1.0
	s_delay_alu instid0(VALU_DEP_1) | instskip(NEXT) | instid1(VALU_DEP_1)
	v_fmac_f32_e32 v187, v188, v187
	v_mul_f32_e32 v188, v189, v187
	s_delay_alu instid0(VALU_DEP_1) | instskip(NEXT) | instid1(VALU_DEP_1)
	v_fma_f32 v190, -v186, v188, v189
	v_fmac_f32_e32 v188, v190, v187
	s_delay_alu instid0(VALU_DEP_1) | instskip(NEXT) | instid1(VALU_DEP_1)
	v_fma_f32 v186, -v186, v188, v189
	v_div_fmas_f32 v186, v186, v187, v188
	s_delay_alu instid0(VALU_DEP_1) | instskip(NEXT) | instid1(VALU_DEP_1)
	v_div_fixup_f32 v187, v186, v184, v185
	v_fmac_f32_e32 v184, v185, v187
	s_delay_alu instid0(VALU_DEP_1) | instskip(NEXT) | instid1(VALU_DEP_1)
	v_div_scale_f32 v185, null, v184, v184, 1.0
	v_rcp_f32_e32 v186, v185
	v_nop
	s_delay_alu instid0(TRANS32_DEP_1) | instskip(NEXT) | instid1(VALU_DEP_1)
	v_fma_f32 v188, -v185, v186, 1.0
	v_fmac_f32_e32 v186, v188, v186
	v_div_scale_f32 v188, vcc_lo, 1.0, v184, 1.0
	s_delay_alu instid0(VALU_DEP_1) | instskip(NEXT) | instid1(VALU_DEP_1)
	v_mul_f32_e32 v189, v188, v186
	v_fma_f32 v190, -v185, v189, v188
	s_delay_alu instid0(VALU_DEP_1) | instskip(NEXT) | instid1(VALU_DEP_1)
	v_fmac_f32_e32 v189, v190, v186
	v_fma_f32 v185, -v185, v189, v188
	s_delay_alu instid0(VALU_DEP_1) | instskip(NEXT) | instid1(VALU_DEP_1)
	v_div_fmas_f32 v185, v185, v186, v189
	v_div_fixup_f32 v186, v185, v184, 1.0
	s_delay_alu instid0(VALU_DEP_1)
	v_mul_f32_e64 v187, v187, -v186
.LBB69_196:
	s_or_b32 exec_lo, exec_lo, s1
	ds_store_b64 v213, v[186:187]
.LBB69_197:
	s_or_b32 exec_lo, exec_lo, s2
	s_wait_dscnt 0x0
	s_barrier_signal -1
	s_barrier_wait -1
	ds_load_b64 v[184:185], v213
	s_mov_b32 s1, exec_lo
	v_cmpx_lt_u32_e32 21, v212
	s_cbranch_execz .LBB69_199
; %bb.198:
	ds_load_2addr_b64 v[186:189], v214 offset0:22 offset1:23
	ds_load_2addr_b64 v[190:193], v214 offset0:24 offset1:25
	;; [unrolled: 1-line block ×3, first 2 shown]
	s_wait_dscnt 0x3
	v_pk_mul_f32 v[198:199], v[184:185], v[124:125] op_sel:[1,1] op_sel_hi:[0,1]
	s_delay_alu instid0(VALU_DEP_1)
	v_pk_fma_f32 v[206:207], v[184:185], v[124:125], v[198:199] op_sel_hi:[1,0,1] neg_lo:[0,0,1] neg_hi:[0,0,1]
	v_pk_fma_f32 v[208:209], v[184:185], v[124:125], v[198:199] op_sel_hi:[1,0,1]
	ds_load_2addr_b64 v[198:201], v214 offset0:28 offset1:29
	ds_load_2addr_b64 v[202:205], v214 offset0:30 offset1:31
	v_dual_mov_b32 v124, v206 :: v_dual_mov_b32 v125, v209
	s_wait_dscnt 0x4
	v_pk_mul_f32 v[210:211], v[186:187], v[208:209] op_sel:[0,1]
	v_pk_mul_f32 v[216:217], v[188:189], v[208:209] op_sel:[0,1]
	s_wait_dscnt 0x3
	v_pk_mul_f32 v[218:219], v[190:191], v[208:209] op_sel:[0,1]
	v_dual_mov_b32 v220, v193 :: v_dual_mov_b32 v221, v192
	v_dual_mul_f32 v222, v193, v209 :: v_dual_mul_f32 v224, v193, v206
	s_wait_dscnt 0x2
	v_pk_mul_f32 v[226:227], v[194:195], v[208:209] op_sel:[0,1]
	v_pk_fma_f32 v[230:231], v[186:187], v[206:207], v[210:211] op_sel:[0,0,1] op_sel_hi:[1,1,0] neg_lo:[0,0,1] neg_hi:[0,0,1]
	v_pk_fma_f32 v[186:187], v[186:187], v[206:207], v[210:211] op_sel:[0,0,1] op_sel_hi:[1,0,0]
	v_pk_fma_f32 v[210:211], v[188:189], v[206:207], v[216:217] op_sel:[0,0,1] op_sel_hi:[1,1,0] neg_lo:[0,0,1] neg_hi:[0,0,1]
	v_pk_fma_f32 v[188:189], v[188:189], v[206:207], v[216:217] op_sel:[0,0,1] op_sel_hi:[1,0,0]
	;; [unrolled: 2-line block ×3, first 2 shown]
	v_pk_fma_f32 v[218:219], v[220:221], v[124:125], v[224:225] op_sel_hi:[1,1,0]
	v_pk_fma_f32 v[192:193], v[192:193], v[124:125], v[222:223] op_sel_hi:[1,1,0] neg_lo:[0,0,1] neg_hi:[0,0,1]
	v_pk_mul_f32 v[228:229], v[196:197], v[208:209] op_sel:[0,1]
	v_dual_mov_b32 v231, v187 :: v_dual_mov_b32 v211, v189
	s_delay_alu instid0(VALU_DEP_4)
	v_dual_mov_b32 v217, v191 :: v_dual_mov_b32 v193, v219
	v_pk_fma_f32 v[186:187], v[194:195], v[206:207], v[226:227] op_sel:[0,0,1] op_sel_hi:[1,0,0]
	v_pk_fma_f32 v[190:191], v[194:195], v[206:207], v[226:227] op_sel:[0,0,1] op_sel_hi:[1,1,0] neg_lo:[0,0,1] neg_hi:[0,0,1]
	v_pk_fma_f32 v[194:195], v[196:197], v[206:207], v[228:229] op_sel:[0,0,1] op_sel_hi:[1,1,0] neg_lo:[0,0,1] neg_hi:[0,0,1]
	v_pk_add_f32 v[138:139], v[138:139], v[210:211] neg_lo:[0,1] neg_hi:[0,1]
	v_pk_add_f32 v[134:135], v[134:135], v[192:193] neg_lo:[0,1] neg_hi:[0,1]
	v_pk_fma_f32 v[192:193], v[196:197], v[206:207], v[228:229] op_sel:[0,0,1] op_sel_hi:[1,0,0]
	v_mov_b32_e32 v191, v187
	s_wait_dscnt 0x1
	v_pk_mul_f32 v[196:197], v[198:199], v[208:209] op_sel:[0,1]
	ds_load_2addr_b64 v[186:189], v214 offset0:32 offset1:33
	v_pk_add_f32 v[126:127], v[126:127], v[230:231] neg_lo:[0,1] neg_hi:[0,1]
	v_mov_b32_e32 v195, v193
	v_pk_add_f32 v[100:101], v[100:101], v[190:191] neg_lo:[0,1] neg_hi:[0,1]
	ds_load_b64 v[190:191], v214 offset:272
	v_pk_mul_f32 v[192:193], v[200:201], v[208:209] op_sel:[0,1]
	v_pk_fma_f32 v[210:211], v[198:199], v[206:207], v[196:197] op_sel:[0,0,1] op_sel_hi:[1,0,0]
	v_pk_add_f32 v[98:99], v[98:99], v[194:195] neg_lo:[0,1] neg_hi:[0,1]
	v_pk_fma_f32 v[196:197], v[198:199], v[206:207], v[196:197] op_sel:[0,0,1] op_sel_hi:[1,1,0] neg_lo:[0,0,1] neg_hi:[0,0,1]
	s_wait_dscnt 0x2
	v_mul_f32_e32 v198, v203, v209
	v_pk_fma_f32 v[194:195], v[200:201], v[206:207], v[192:193] op_sel:[0,0,1] op_sel_hi:[1,0,0]
	v_mul_f32_e32 v194, v203, v206
	v_mov_b32_e32 v197, v211
	v_pk_fma_f32 v[192:193], v[200:201], v[206:207], v[192:193] op_sel:[0,0,1] op_sel_hi:[1,1,0] neg_lo:[0,0,1] neg_hi:[0,0,1]
	v_pk_add_f32 v[136:137], v[136:137], v[216:217] neg_lo:[0,1] neg_hi:[0,1]
	v_mov_b32_e32 v193, v195
	v_pk_fma_f32 v[194:195], v[202:203], v[124:125], v[194:195] op_sel:[1,0,0] op_sel_hi:[0,1,0]
	v_pk_add_f32 v[120:121], v[120:121], v[196:197] neg_lo:[0,1] neg_hi:[0,1]
	v_pk_mul_f32 v[196:197], v[204:205], v[208:209] op_sel:[0,1]
	s_delay_alu instid0(VALU_DEP_4)
	v_pk_add_f32 v[116:117], v[116:117], v[192:193] neg_lo:[0,1] neg_hi:[0,1]
	v_pk_fma_f32 v[192:193], v[202:203], v[124:125], v[198:199] op_sel_hi:[1,1,0] neg_lo:[0,0,1] neg_hi:[0,0,1]
	s_wait_dscnt 0x1
	v_pk_mul_f32 v[200:201], v[188:189], v[208:209] op_sel:[0,1]
	v_pk_fma_f32 v[198:199], v[204:205], v[206:207], v[196:197] op_sel:[0,0,1] op_sel_hi:[1,0,0]
	v_mov_b32_e32 v193, v195
	v_pk_mul_f32 v[194:195], v[186:187], v[208:209] op_sel:[0,1]
	s_wait_dscnt 0x0
	v_pk_mul_f32 v[202:203], v[190:191], v[208:209] op_sel:[0,1]
	v_pk_fma_f32 v[196:197], v[204:205], v[206:207], v[196:197] op_sel:[0,0,1] op_sel_hi:[1,1,0] neg_lo:[0,0,1] neg_hi:[0,0,1]
	v_mov_b32_e32 v197, v199
	v_pk_fma_f32 v[198:199], v[188:189], v[206:207], v[200:201] op_sel:[0,0,1] op_sel_hi:[1,0,0]
	v_pk_fma_f32 v[204:205], v[186:187], v[206:207], v[194:195] op_sel:[0,0,1] op_sel_hi:[1,0,0]
	v_pk_fma_f32 v[186:187], v[186:187], v[206:207], v[194:195] op_sel:[0,0,1] op_sel_hi:[1,1,0] neg_lo:[0,0,1] neg_hi:[0,0,1]
	v_pk_fma_f32 v[194:195], v[190:191], v[206:207], v[202:203] op_sel:[0,0,1] op_sel_hi:[1,0,0]
	v_pk_fma_f32 v[188:189], v[188:189], v[206:207], v[200:201] op_sel:[0,0,1] op_sel_hi:[1,1,0] neg_lo:[0,0,1] neg_hi:[0,0,1]
	v_pk_fma_f32 v[190:191], v[190:191], v[206:207], v[202:203] op_sel:[0,0,1] op_sel_hi:[1,1,0] neg_lo:[0,0,1] neg_hi:[0,0,1]
	v_dual_mov_b32 v187, v205 :: v_dual_mov_b32 v189, v199
	s_delay_alu instid0(VALU_DEP_4) | instskip(SKIP_2) | instid1(VALU_DEP_4)
	v_mov_b32_e32 v191, v195
	v_pk_add_f32 v[118:119], v[118:119], v[192:193] neg_lo:[0,1] neg_hi:[0,1]
	v_pk_add_f32 v[132:133], v[132:133], v[196:197] neg_lo:[0,1] neg_hi:[0,1]
	v_pk_add_f32 v[130:131], v[130:131], v[186:187] neg_lo:[0,1] neg_hi:[0,1]
	v_pk_add_f32 v[122:123], v[122:123], v[188:189] neg_lo:[0,1] neg_hi:[0,1]
	v_pk_add_f32 v[140:141], v[140:141], v[190:191] neg_lo:[0,1] neg_hi:[0,1]
.LBB69_199:
	s_or_b32 exec_lo, exec_lo, s1
	s_delay_alu instid0(SALU_CYCLE_1)
	s_mov_b32 s2, exec_lo
	s_wait_dscnt 0x0
	s_barrier_signal -1
	s_barrier_wait -1
	v_cmpx_eq_u32_e32 22, v212
	s_cbranch_execz .LBB69_206
; %bb.200:
	ds_store_b64 v213, v[126:127]
	ds_store_2addr_b64 v214, v[138:139], v[136:137] offset0:23 offset1:24
	ds_store_2addr_b64 v214, v[134:135], v[100:101] offset0:25 offset1:26
	;; [unrolled: 1-line block ×6, first 2 shown]
	ds_load_b64 v[186:187], v213
	s_wait_dscnt 0x0
	v_cmp_neq_f32_e32 vcc_lo, 0, v186
	v_cmp_neq_f32_e64 s1, 0, v187
	s_or_b32 s1, vcc_lo, s1
	s_delay_alu instid0(SALU_CYCLE_1)
	s_and_b32 exec_lo, exec_lo, s1
	s_cbranch_execz .LBB69_206
; %bb.201:
	v_cmp_ngt_f32_e64 s1, |v186|, |v187|
                                        ; implicit-def: $vgpr188_vgpr189
	s_and_saveexec_b32 s4, s1
	s_delay_alu instid0(SALU_CYCLE_1)
	s_xor_b32 s1, exec_lo, s4
	s_cbranch_execz .LBB69_203
; %bb.202:
	v_div_scale_f32 v188, null, v187, v187, v186
	v_div_scale_f32 v191, vcc_lo, v186, v187, v186
	s_delay_alu instid0(VALU_DEP_2) | instskip(SKIP_1) | instid1(TRANS32_DEP_1)
	v_rcp_f32_e32 v189, v188
	v_nop
	v_fma_f32 v190, -v188, v189, 1.0
	s_delay_alu instid0(VALU_DEP_1) | instskip(NEXT) | instid1(VALU_DEP_1)
	v_fmac_f32_e32 v189, v190, v189
	v_mul_f32_e32 v190, v191, v189
	s_delay_alu instid0(VALU_DEP_1) | instskip(NEXT) | instid1(VALU_DEP_1)
	v_fma_f32 v192, -v188, v190, v191
	v_fmac_f32_e32 v190, v192, v189
	s_delay_alu instid0(VALU_DEP_1) | instskip(NEXT) | instid1(VALU_DEP_1)
	v_fma_f32 v188, -v188, v190, v191
	v_div_fmas_f32 v188, v188, v189, v190
	s_delay_alu instid0(VALU_DEP_1) | instskip(NEXT) | instid1(VALU_DEP_1)
	v_div_fixup_f32 v188, v188, v187, v186
	v_fmac_f32_e32 v187, v186, v188
	s_delay_alu instid0(VALU_DEP_1) | instskip(SKIP_1) | instid1(VALU_DEP_2)
	v_div_scale_f32 v186, null, v187, v187, 1.0
	v_div_scale_f32 v191, vcc_lo, 1.0, v187, 1.0
	v_rcp_f32_e32 v189, v186
	v_nop
	s_delay_alu instid0(TRANS32_DEP_1) | instskip(NEXT) | instid1(VALU_DEP_1)
	v_fma_f32 v190, -v186, v189, 1.0
	v_fmac_f32_e32 v189, v190, v189
	s_delay_alu instid0(VALU_DEP_1) | instskip(NEXT) | instid1(VALU_DEP_1)
	v_mul_f32_e32 v190, v191, v189
	v_fma_f32 v192, -v186, v190, v191
	s_delay_alu instid0(VALU_DEP_1) | instskip(NEXT) | instid1(VALU_DEP_1)
	v_fmac_f32_e32 v190, v192, v189
	v_fma_f32 v186, -v186, v190, v191
	s_delay_alu instid0(VALU_DEP_1) | instskip(NEXT) | instid1(VALU_DEP_1)
	v_div_fmas_f32 v186, v186, v189, v190
	v_div_fixup_f32 v186, v186, v187, 1.0
	s_delay_alu instid0(VALU_DEP_1)
	v_mul_f32_e32 v188, v188, v186
	v_xor_b32_e32 v189, 0x80000000, v186
                                        ; implicit-def: $vgpr186_vgpr187
.LBB69_203:
	s_and_not1_saveexec_b32 s1, s1
	s_cbranch_execz .LBB69_205
; %bb.204:
	v_div_scale_f32 v188, null, v186, v186, v187
	v_div_scale_f32 v191, vcc_lo, v187, v186, v187
	s_delay_alu instid0(VALU_DEP_2) | instskip(SKIP_1) | instid1(TRANS32_DEP_1)
	v_rcp_f32_e32 v189, v188
	v_nop
	v_fma_f32 v190, -v188, v189, 1.0
	s_delay_alu instid0(VALU_DEP_1) | instskip(NEXT) | instid1(VALU_DEP_1)
	v_fmac_f32_e32 v189, v190, v189
	v_mul_f32_e32 v190, v191, v189
	s_delay_alu instid0(VALU_DEP_1) | instskip(NEXT) | instid1(VALU_DEP_1)
	v_fma_f32 v192, -v188, v190, v191
	v_fmac_f32_e32 v190, v192, v189
	s_delay_alu instid0(VALU_DEP_1) | instskip(NEXT) | instid1(VALU_DEP_1)
	v_fma_f32 v188, -v188, v190, v191
	v_div_fmas_f32 v188, v188, v189, v190
	s_delay_alu instid0(VALU_DEP_1) | instskip(NEXT) | instid1(VALU_DEP_1)
	v_div_fixup_f32 v189, v188, v186, v187
	v_fmac_f32_e32 v186, v187, v189
	s_delay_alu instid0(VALU_DEP_1) | instskip(NEXT) | instid1(VALU_DEP_1)
	v_div_scale_f32 v187, null, v186, v186, 1.0
	v_rcp_f32_e32 v188, v187
	v_nop
	s_delay_alu instid0(TRANS32_DEP_1) | instskip(NEXT) | instid1(VALU_DEP_1)
	v_fma_f32 v190, -v187, v188, 1.0
	v_fmac_f32_e32 v188, v190, v188
	v_div_scale_f32 v190, vcc_lo, 1.0, v186, 1.0
	s_delay_alu instid0(VALU_DEP_1) | instskip(NEXT) | instid1(VALU_DEP_1)
	v_mul_f32_e32 v191, v190, v188
	v_fma_f32 v192, -v187, v191, v190
	s_delay_alu instid0(VALU_DEP_1) | instskip(NEXT) | instid1(VALU_DEP_1)
	v_fmac_f32_e32 v191, v192, v188
	v_fma_f32 v187, -v187, v191, v190
	s_delay_alu instid0(VALU_DEP_1) | instskip(NEXT) | instid1(VALU_DEP_1)
	v_div_fmas_f32 v187, v187, v188, v191
	v_div_fixup_f32 v188, v187, v186, 1.0
	s_delay_alu instid0(VALU_DEP_1)
	v_mul_f32_e64 v189, v189, -v188
.LBB69_205:
	s_or_b32 exec_lo, exec_lo, s1
	ds_store_b64 v213, v[188:189]
.LBB69_206:
	s_or_b32 exec_lo, exec_lo, s2
	s_wait_dscnt 0x0
	s_barrier_signal -1
	s_barrier_wait -1
	ds_load_b64 v[186:187], v213
	s_mov_b32 s1, exec_lo
	v_cmpx_lt_u32_e32 22, v212
	s_cbranch_execz .LBB69_208
; %bb.207:
	ds_load_2addr_b64 v[188:191], v214 offset0:23 offset1:24
	ds_load_2addr_b64 v[192:195], v214 offset0:25 offset1:26
	;; [unrolled: 1-line block ×3, first 2 shown]
	s_wait_dscnt 0x3
	v_pk_mul_f32 v[200:201], v[186:187], v[126:127] op_sel:[1,1] op_sel_hi:[0,1]
	s_delay_alu instid0(VALU_DEP_1)
	v_pk_fma_f32 v[210:211], v[186:187], v[126:127], v[200:201] op_sel_hi:[1,0,1]
	v_pk_fma_f32 v[208:209], v[186:187], v[126:127], v[200:201] op_sel_hi:[1,0,1] neg_lo:[0,0,1] neg_hi:[0,0,1]
	ds_load_2addr_b64 v[200:203], v214 offset0:29 offset1:30
	ds_load_2addr_b64 v[204:207], v214 offset0:31 offset1:32
	v_dual_mov_b32 v127, v211 :: v_dual_mov_b32 v126, v208
	s_wait_dscnt 0x4
	v_pk_mul_f32 v[216:217], v[188:189], v[210:211] op_sel:[0,1]
	v_pk_mul_f32 v[218:219], v[190:191], v[210:211] op_sel:[0,1]
	s_wait_dscnt 0x3
	v_pk_mul_f32 v[220:221], v[192:193], v[210:211] op_sel:[0,1]
	s_wait_dscnt 0x2
	v_pk_mul_f32 v[228:229], v[196:197], v[210:211] op_sel:[0,1]
	v_dual_mov_b32 v222, v195 :: v_dual_mov_b32 v223, v194
	v_pk_fma_f32 v[232:233], v[188:189], v[208:209], v[216:217] op_sel:[0,0,1] op_sel_hi:[1,1,0] neg_lo:[0,0,1] neg_hi:[0,0,1]
	v_pk_fma_f32 v[188:189], v[188:189], v[208:209], v[216:217] op_sel:[0,0,1] op_sel_hi:[1,0,0]
	v_dual_mul_f32 v224, v195, v211 :: v_dual_mul_f32 v226, v195, v208
	v_pk_mul_f32 v[230:231], v[198:199], v[210:211] op_sel:[0,1]
	v_pk_fma_f32 v[216:217], v[190:191], v[208:209], v[218:219] op_sel:[0,0,1] op_sel_hi:[1,1,0] neg_lo:[0,0,1] neg_hi:[0,0,1]
	v_pk_fma_f32 v[190:191], v[190:191], v[208:209], v[218:219] op_sel:[0,0,1] op_sel_hi:[1,0,0]
	v_pk_fma_f32 v[218:219], v[192:193], v[208:209], v[220:221] op_sel:[0,0,1] op_sel_hi:[1,1,0] neg_lo:[0,0,1] neg_hi:[0,0,1]
	v_pk_fma_f32 v[192:193], v[192:193], v[208:209], v[220:221] op_sel:[0,0,1] op_sel_hi:[1,0,0]
	v_mov_b32_e32 v233, v189
	v_pk_fma_f32 v[188:189], v[196:197], v[208:209], v[228:229] op_sel:[0,0,1] op_sel_hi:[1,0,0]
	v_pk_fma_f32 v[220:221], v[222:223], v[126:127], v[226:227] op_sel_hi:[1,1,0]
	v_pk_fma_f32 v[222:223], v[196:197], v[208:209], v[228:229] op_sel:[0,0,1] op_sel_hi:[1,1,0] neg_lo:[0,0,1] neg_hi:[0,0,1]
	v_dual_mov_b32 v217, v191 :: v_dual_mov_b32 v219, v193
	v_pk_fma_f32 v[192:193], v[198:199], v[208:209], v[230:231] op_sel:[0,0,1] op_sel_hi:[1,0,0]
	v_mov_b32_e32 v223, v189
	ds_load_2addr_b64 v[188:191], v214 offset0:33 offset1:34
	v_pk_fma_f32 v[194:195], v[194:195], v[126:127], v[224:225] op_sel_hi:[1,1,0] neg_lo:[0,0,1] neg_hi:[0,0,1]
	v_mov_b32_e32 v195, v221
	s_wait_dscnt 0x2
	v_pk_mul_f32 v[196:197], v[200:201], v[210:211] op_sel:[0,1]
	v_pk_add_f32 v[138:139], v[138:139], v[232:233] neg_lo:[0,1] neg_hi:[0,1]
	v_pk_add_f32 v[136:137], v[136:137], v[216:217] neg_lo:[0,1] neg_hi:[0,1]
	;; [unrolled: 1-line block ×4, first 2 shown]
	v_pk_fma_f32 v[194:195], v[198:199], v[208:209], v[230:231] op_sel:[0,0,1] op_sel_hi:[1,1,0] neg_lo:[0,0,1] neg_hi:[0,0,1]
	v_pk_fma_f32 v[198:199], v[200:201], v[208:209], v[196:197] op_sel:[0,0,1] op_sel_hi:[1,0,0]
	v_mov_b32_e32 v195, v193
	v_pk_mul_f32 v[192:193], v[202:203], v[210:211] op_sel:[0,1]
	s_wait_dscnt 0x1
	v_mul_f32_e32 v198, v205, v208
	v_pk_fma_f32 v[196:197], v[200:201], v[208:209], v[196:197] op_sel:[0,0,1] op_sel_hi:[1,1,0] neg_lo:[0,0,1] neg_hi:[0,0,1]
	v_mov_b32_e32 v197, v199
	v_pk_add_f32 v[120:121], v[120:121], v[194:195] neg_lo:[0,1] neg_hi:[0,1]
	v_pk_fma_f32 v[194:195], v[202:203], v[208:209], v[192:193] op_sel:[0,0,1] op_sel_hi:[1,0,0]
	v_mul_f32_e32 v194, v205, v211
	v_pk_fma_f32 v[198:199], v[204:205], v[126:127], v[198:199] op_sel:[1,0,0] op_sel_hi:[0,1,0]
	v_pk_add_f32 v[116:117], v[116:117], v[196:197] neg_lo:[0,1] neg_hi:[0,1]
	v_pk_fma_f32 v[192:193], v[202:203], v[208:209], v[192:193] op_sel:[0,0,1] op_sel_hi:[1,1,0] neg_lo:[0,0,1] neg_hi:[0,0,1]
	v_pk_mul_f32 v[196:197], v[206:207], v[210:211] op_sel:[0,1]
	v_mov_b32_e32 v193, v195
	v_pk_fma_f32 v[194:195], v[204:205], v[126:127], v[194:195] op_sel_hi:[1,1,0] neg_lo:[0,0,1] neg_hi:[0,0,1]
	s_wait_dscnt 0x0
	v_dual_mov_b32 v195, v199 :: v_dual_mov_b32 v200, v191
	v_pk_mul_f32 v[198:199], v[188:189], v[210:211] op_sel:[0,1]
	v_dual_mov_b32 v201, v190 :: v_dual_mul_f32 v202, v191, v208
	v_pk_fma_f32 v[204:205], v[206:207], v[208:209], v[196:197] op_sel:[0,0,1] op_sel_hi:[1,0,0]
	v_mul_f32_e32 v204, v191, v211
	v_pk_fma_f32 v[196:197], v[206:207], v[208:209], v[196:197] op_sel:[0,0,1] op_sel_hi:[1,1,0] neg_lo:[0,0,1] neg_hi:[0,0,1]
	v_pk_fma_f32 v[206:207], v[188:189], v[208:209], v[198:199] op_sel:[0,0,1] op_sel_hi:[1,0,0]
	v_pk_fma_f32 v[200:201], v[200:201], v[126:127], v[202:203] op_sel_hi:[1,1,0]
	v_mov_b32_e32 v197, v205
	v_pk_fma_f32 v[188:189], v[188:189], v[208:209], v[198:199] op_sel:[0,0,1] op_sel_hi:[1,1,0] neg_lo:[0,0,1] neg_hi:[0,0,1]
	v_pk_fma_f32 v[190:191], v[190:191], v[126:127], v[204:205] op_sel_hi:[1,1,0] neg_lo:[0,0,1] neg_hi:[0,0,1]
	s_delay_alu instid0(VALU_DEP_4)
	v_dual_mov_b32 v189, v207 :: v_dual_mov_b32 v191, v201
	v_pk_add_f32 v[98:99], v[98:99], v[222:223] neg_lo:[0,1] neg_hi:[0,1]
	v_pk_add_f32 v[118:119], v[118:119], v[192:193] neg_lo:[0,1] neg_hi:[0,1]
	;; [unrolled: 1-line block ×6, first 2 shown]
.LBB69_208:
	s_or_b32 exec_lo, exec_lo, s1
	s_delay_alu instid0(SALU_CYCLE_1)
	s_mov_b32 s2, exec_lo
	s_wait_dscnt 0x0
	s_barrier_signal -1
	s_barrier_wait -1
	v_cmpx_eq_u32_e32 23, v212
	s_cbranch_execz .LBB69_215
; %bb.209:
	v_dual_mov_b32 v188, v136 :: v_dual_mov_b32 v189, v137
	v_dual_mov_b32 v190, v134 :: v_dual_mov_b32 v191, v135
	;; [unrolled: 1-line block ×10, first 2 shown]
	ds_store_b64 v213, v[138:139]
	ds_store_2addr_b64 v214, v[188:189], v[190:191] offset0:24 offset1:25
	ds_store_2addr_b64 v214, v[192:193], v[194:195] offset0:26 offset1:27
	ds_store_2addr_b64 v214, v[196:197], v[198:199] offset0:28 offset1:29
	ds_store_2addr_b64 v214, v[200:201], v[202:203] offset0:30 offset1:31
	ds_store_2addr_b64 v214, v[204:205], v[206:207] offset0:32 offset1:33
	ds_store_b64 v214, v[140:141] offset:272
	ds_load_b64 v[188:189], v213
	s_wait_dscnt 0x0
	v_cmp_neq_f32_e32 vcc_lo, 0, v188
	v_cmp_neq_f32_e64 s1, 0, v189
	s_or_b32 s1, vcc_lo, s1
	s_delay_alu instid0(SALU_CYCLE_1)
	s_and_b32 exec_lo, exec_lo, s1
	s_cbranch_execz .LBB69_215
; %bb.210:
	v_cmp_ngt_f32_e64 s1, |v188|, |v189|
                                        ; implicit-def: $vgpr190_vgpr191
	s_and_saveexec_b32 s4, s1
	s_delay_alu instid0(SALU_CYCLE_1)
	s_xor_b32 s1, exec_lo, s4
	s_cbranch_execz .LBB69_212
; %bb.211:
	v_div_scale_f32 v190, null, v189, v189, v188
	v_div_scale_f32 v193, vcc_lo, v188, v189, v188
	s_delay_alu instid0(VALU_DEP_2) | instskip(SKIP_1) | instid1(TRANS32_DEP_1)
	v_rcp_f32_e32 v191, v190
	v_nop
	v_fma_f32 v192, -v190, v191, 1.0
	s_delay_alu instid0(VALU_DEP_1) | instskip(NEXT) | instid1(VALU_DEP_1)
	v_fmac_f32_e32 v191, v192, v191
	v_mul_f32_e32 v192, v193, v191
	s_delay_alu instid0(VALU_DEP_1) | instskip(NEXT) | instid1(VALU_DEP_1)
	v_fma_f32 v194, -v190, v192, v193
	v_fmac_f32_e32 v192, v194, v191
	s_delay_alu instid0(VALU_DEP_1) | instskip(NEXT) | instid1(VALU_DEP_1)
	v_fma_f32 v190, -v190, v192, v193
	v_div_fmas_f32 v190, v190, v191, v192
	s_delay_alu instid0(VALU_DEP_1) | instskip(NEXT) | instid1(VALU_DEP_1)
	v_div_fixup_f32 v190, v190, v189, v188
	v_fmac_f32_e32 v189, v188, v190
	s_delay_alu instid0(VALU_DEP_1) | instskip(SKIP_1) | instid1(VALU_DEP_2)
	v_div_scale_f32 v188, null, v189, v189, 1.0
	v_div_scale_f32 v193, vcc_lo, 1.0, v189, 1.0
	v_rcp_f32_e32 v191, v188
	v_nop
	s_delay_alu instid0(TRANS32_DEP_1) | instskip(NEXT) | instid1(VALU_DEP_1)
	v_fma_f32 v192, -v188, v191, 1.0
	v_fmac_f32_e32 v191, v192, v191
	s_delay_alu instid0(VALU_DEP_1) | instskip(NEXT) | instid1(VALU_DEP_1)
	v_mul_f32_e32 v192, v193, v191
	v_fma_f32 v194, -v188, v192, v193
	s_delay_alu instid0(VALU_DEP_1) | instskip(NEXT) | instid1(VALU_DEP_1)
	v_fmac_f32_e32 v192, v194, v191
	v_fma_f32 v188, -v188, v192, v193
	s_delay_alu instid0(VALU_DEP_1) | instskip(NEXT) | instid1(VALU_DEP_1)
	v_div_fmas_f32 v188, v188, v191, v192
	v_div_fixup_f32 v188, v188, v189, 1.0
	s_delay_alu instid0(VALU_DEP_1)
	v_mul_f32_e32 v190, v190, v188
	v_xor_b32_e32 v191, 0x80000000, v188
                                        ; implicit-def: $vgpr188_vgpr189
.LBB69_212:
	s_and_not1_saveexec_b32 s1, s1
	s_cbranch_execz .LBB69_214
; %bb.213:
	v_div_scale_f32 v190, null, v188, v188, v189
	v_div_scale_f32 v193, vcc_lo, v189, v188, v189
	s_delay_alu instid0(VALU_DEP_2) | instskip(SKIP_1) | instid1(TRANS32_DEP_1)
	v_rcp_f32_e32 v191, v190
	v_nop
	v_fma_f32 v192, -v190, v191, 1.0
	s_delay_alu instid0(VALU_DEP_1) | instskip(NEXT) | instid1(VALU_DEP_1)
	v_fmac_f32_e32 v191, v192, v191
	v_mul_f32_e32 v192, v193, v191
	s_delay_alu instid0(VALU_DEP_1) | instskip(NEXT) | instid1(VALU_DEP_1)
	v_fma_f32 v194, -v190, v192, v193
	v_fmac_f32_e32 v192, v194, v191
	s_delay_alu instid0(VALU_DEP_1) | instskip(NEXT) | instid1(VALU_DEP_1)
	v_fma_f32 v190, -v190, v192, v193
	v_div_fmas_f32 v190, v190, v191, v192
	s_delay_alu instid0(VALU_DEP_1) | instskip(NEXT) | instid1(VALU_DEP_1)
	v_div_fixup_f32 v191, v190, v188, v189
	v_fmac_f32_e32 v188, v189, v191
	s_delay_alu instid0(VALU_DEP_1) | instskip(NEXT) | instid1(VALU_DEP_1)
	v_div_scale_f32 v189, null, v188, v188, 1.0
	v_rcp_f32_e32 v190, v189
	v_nop
	s_delay_alu instid0(TRANS32_DEP_1) | instskip(NEXT) | instid1(VALU_DEP_1)
	v_fma_f32 v192, -v189, v190, 1.0
	v_fmac_f32_e32 v190, v192, v190
	v_div_scale_f32 v192, vcc_lo, 1.0, v188, 1.0
	s_delay_alu instid0(VALU_DEP_1) | instskip(NEXT) | instid1(VALU_DEP_1)
	v_mul_f32_e32 v193, v192, v190
	v_fma_f32 v194, -v189, v193, v192
	s_delay_alu instid0(VALU_DEP_1) | instskip(NEXT) | instid1(VALU_DEP_1)
	v_fmac_f32_e32 v193, v194, v190
	v_fma_f32 v189, -v189, v193, v192
	s_delay_alu instid0(VALU_DEP_1) | instskip(NEXT) | instid1(VALU_DEP_1)
	v_div_fmas_f32 v189, v189, v190, v193
	v_div_fixup_f32 v190, v189, v188, 1.0
	s_delay_alu instid0(VALU_DEP_1)
	v_mul_f32_e64 v191, v191, -v190
.LBB69_214:
	s_or_b32 exec_lo, exec_lo, s1
	ds_store_b64 v213, v[190:191]
.LBB69_215:
	s_or_b32 exec_lo, exec_lo, s2
	s_wait_dscnt 0x0
	s_barrier_signal -1
	s_barrier_wait -1
	ds_load_b64 v[188:189], v213
	s_mov_b32 s1, exec_lo
	v_cmpx_lt_u32_e32 23, v212
	s_cbranch_execz .LBB69_217
; %bb.216:
	ds_load_2addr_b64 v[190:193], v214 offset0:24 offset1:25
	ds_load_2addr_b64 v[194:197], v214 offset0:26 offset1:27
	;; [unrolled: 1-line block ×3, first 2 shown]
	s_wait_dscnt 0x3
	v_pk_mul_f32 v[202:203], v[188:189], v[138:139] op_sel:[1,1] op_sel_hi:[0,1]
	s_delay_alu instid0(VALU_DEP_1)
	v_pk_fma_f32 v[210:211], v[188:189], v[138:139], v[202:203] op_sel_hi:[1,0,1] neg_lo:[0,0,1] neg_hi:[0,0,1]
	v_pk_fma_f32 v[216:217], v[188:189], v[138:139], v[202:203] op_sel_hi:[1,0,1]
	ds_load_2addr_b64 v[202:205], v214 offset0:30 offset1:31
	ds_load_2addr_b64 v[206:209], v214 offset0:32 offset1:33
	ds_load_b64 v[218:219], v214 offset:272
	v_dual_mov_b32 v138, v210 :: v_dual_mov_b32 v139, v217
	s_wait_dscnt 0x5
	v_pk_mul_f32 v[220:221], v[190:191], v[216:217] op_sel:[0,1]
	v_pk_mul_f32 v[222:223], v[192:193], v[216:217] op_sel:[0,1]
	s_wait_dscnt 0x4
	v_pk_mul_f32 v[224:225], v[194:195], v[216:217] op_sel:[0,1]
	v_dual_mov_b32 v226, v197 :: v_dual_mov_b32 v227, v196
	v_dual_mul_f32 v228, v197, v217 :: v_dual_mul_f32 v230, v197, v210
	s_wait_dscnt 0x3
	v_pk_mul_f32 v[232:233], v[198:199], v[216:217] op_sel:[0,1]
	v_pk_fma_f32 v[236:237], v[190:191], v[210:211], v[220:221] op_sel:[0,0,1] op_sel_hi:[1,1,0] neg_lo:[0,0,1] neg_hi:[0,0,1]
	v_pk_fma_f32 v[190:191], v[190:191], v[210:211], v[220:221] op_sel:[0,0,1] op_sel_hi:[1,0,0]
	v_pk_mul_f32 v[234:235], v[200:201], v[216:217] op_sel:[0,1]
	v_pk_fma_f32 v[220:221], v[192:193], v[210:211], v[222:223] op_sel:[0,0,1] op_sel_hi:[1,1,0] neg_lo:[0,0,1] neg_hi:[0,0,1]
	v_pk_fma_f32 v[192:193], v[192:193], v[210:211], v[222:223] op_sel:[0,0,1] op_sel_hi:[1,0,0]
	v_pk_fma_f32 v[222:223], v[194:195], v[210:211], v[224:225] op_sel:[0,0,1] op_sel_hi:[1,1,0] neg_lo:[0,0,1] neg_hi:[0,0,1]
	v_pk_fma_f32 v[194:195], v[194:195], v[210:211], v[224:225] op_sel:[0,0,1] op_sel_hi:[1,0,0]
	v_pk_fma_f32 v[224:225], v[226:227], v[138:139], v[230:231] op_sel_hi:[1,1,0]
	s_delay_alu instid0(VALU_DEP_4)
	v_dual_mov_b32 v237, v191 :: v_dual_mov_b32 v221, v193
	v_pk_fma_f32 v[190:191], v[198:199], v[210:211], v[232:233] op_sel:[0,0,1] op_sel_hi:[1,0,0]
	v_pk_fma_f32 v[192:193], v[200:201], v[210:211], v[234:235] op_sel:[0,0,1] op_sel_hi:[1,0,0]
	v_mov_b32_e32 v223, v195
	v_pk_fma_f32 v[194:195], v[198:199], v[210:211], v[232:233] op_sel:[0,0,1] op_sel_hi:[1,1,0] neg_lo:[0,0,1] neg_hi:[0,0,1]
	s_wait_dscnt 0x2
	v_pk_mul_f32 v[198:199], v[202:203], v[216:217] op_sel:[0,1]
	v_pk_fma_f32 v[196:197], v[196:197], v[138:139], v[228:229] op_sel_hi:[1,1,0] neg_lo:[0,0,1] neg_hi:[0,0,1]
	v_dual_mov_b32 v197, v225 :: v_dual_mov_b32 v195, v191
	v_pk_fma_f32 v[190:191], v[200:201], v[210:211], v[234:235] op_sel:[0,0,1] op_sel_hi:[1,1,0] neg_lo:[0,0,1] neg_hi:[0,0,1]
	v_mov_b32_e32 v191, v193
	v_pk_fma_f32 v[192:193], v[202:203], v[210:211], v[198:199] op_sel:[0,0,1] op_sel_hi:[1,0,0]
	s_delay_alu instid0(VALU_DEP_4)
	v_pk_add_f32 v[98:99], v[98:99], v[196:197] neg_lo:[0,1] neg_hi:[0,1]
	v_pk_mul_f32 v[196:197], v[204:205], v[216:217] op_sel:[0,1]
	v_pk_add_f32 v[120:121], v[120:121], v[194:195] neg_lo:[0,1] neg_hi:[0,1]
	v_pk_add_f32 v[116:117], v[116:117], v[190:191] neg_lo:[0,1] neg_hi:[0,1]
	v_pk_fma_f32 v[190:191], v[202:203], v[210:211], v[198:199] op_sel:[0,0,1] op_sel_hi:[1,1,0] neg_lo:[0,0,1] neg_hi:[0,0,1]
	s_wait_dscnt 0x1
	v_dual_mov_b32 v191, v193 :: v_dual_mul_f32 v194, v207, v210
	v_pk_mul_f32 v[198:199], v[208:209], v[216:217] op_sel:[0,1]
	s_wait_dscnt 0x0
	v_pk_mul_f32 v[200:201], v[218:219], v[216:217] op_sel:[0,1]
	v_pk_fma_f32 v[192:193], v[204:205], v[210:211], v[196:197] op_sel:[0,0,1] op_sel_hi:[1,1,0] neg_lo:[0,0,1] neg_hi:[0,0,1]
	v_pk_fma_f32 v[196:197], v[204:205], v[210:211], v[196:197] op_sel:[0,0,1] op_sel_hi:[1,0,0]
	v_mul_f32_e32 v196, v207, v217
	v_pk_fma_f32 v[194:195], v[206:207], v[138:139], v[194:195] op_sel:[1,0,0] op_sel_hi:[0,1,0]
	v_pk_fma_f32 v[202:203], v[208:209], v[210:211], v[198:199] op_sel:[0,0,1] op_sel_hi:[1,0,0]
	;; [unrolled: 1-line block ×3, first 2 shown]
	v_mov_b32_e32 v193, v197
	v_pk_fma_f32 v[196:197], v[206:207], v[138:139], v[196:197] op_sel_hi:[1,1,0] neg_lo:[0,0,1] neg_hi:[0,0,1]
	v_mov_b32_e32 v197, v195
	v_pk_fma_f32 v[194:195], v[208:209], v[210:211], v[198:199] op_sel:[0,0,1] op_sel_hi:[1,1,0] neg_lo:[0,0,1] neg_hi:[0,0,1]
	v_pk_fma_f32 v[198:199], v[218:219], v[210:211], v[200:201] op_sel:[0,0,1] op_sel_hi:[1,1,0] neg_lo:[0,0,1] neg_hi:[0,0,1]
	v_dual_mov_b32 v195, v203 :: v_dual_mov_b32 v199, v205
	v_pk_add_f32 v[136:137], v[136:137], v[236:237] neg_lo:[0,1] neg_hi:[0,1]
	v_pk_add_f32 v[134:135], v[134:135], v[220:221] neg_lo:[0,1] neg_hi:[0,1]
	;; [unrolled: 1-line block ×8, first 2 shown]
.LBB69_217:
	s_or_b32 exec_lo, exec_lo, s1
	s_delay_alu instid0(SALU_CYCLE_1)
	s_mov_b32 s2, exec_lo
	s_wait_dscnt 0x0
	s_barrier_signal -1
	s_barrier_wait -1
	v_cmpx_eq_u32_e32 24, v212
	s_cbranch_execz .LBB69_224
; %bb.218:
	ds_store_b64 v213, v[136:137]
	ds_store_2addr_b64 v214, v[134:135], v[100:101] offset0:25 offset1:26
	ds_store_2addr_b64 v214, v[98:99], v[120:121] offset0:27 offset1:28
	ds_store_2addr_b64 v214, v[116:117], v[118:119] offset0:29 offset1:30
	ds_store_2addr_b64 v214, v[132:133], v[130:131] offset0:31 offset1:32
	ds_store_2addr_b64 v214, v[122:123], v[140:141] offset0:33 offset1:34
	ds_load_b64 v[190:191], v213
	s_wait_dscnt 0x0
	v_cmp_neq_f32_e32 vcc_lo, 0, v190
	v_cmp_neq_f32_e64 s1, 0, v191
	s_or_b32 s1, vcc_lo, s1
	s_delay_alu instid0(SALU_CYCLE_1)
	s_and_b32 exec_lo, exec_lo, s1
	s_cbranch_execz .LBB69_224
; %bb.219:
	v_cmp_ngt_f32_e64 s1, |v190|, |v191|
                                        ; implicit-def: $vgpr192_vgpr193
	s_and_saveexec_b32 s4, s1
	s_delay_alu instid0(SALU_CYCLE_1)
	s_xor_b32 s1, exec_lo, s4
	s_cbranch_execz .LBB69_221
; %bb.220:
	v_div_scale_f32 v192, null, v191, v191, v190
	v_div_scale_f32 v195, vcc_lo, v190, v191, v190
	s_delay_alu instid0(VALU_DEP_2) | instskip(SKIP_1) | instid1(TRANS32_DEP_1)
	v_rcp_f32_e32 v193, v192
	v_nop
	v_fma_f32 v194, -v192, v193, 1.0
	s_delay_alu instid0(VALU_DEP_1) | instskip(NEXT) | instid1(VALU_DEP_1)
	v_fmac_f32_e32 v193, v194, v193
	v_mul_f32_e32 v194, v195, v193
	s_delay_alu instid0(VALU_DEP_1) | instskip(NEXT) | instid1(VALU_DEP_1)
	v_fma_f32 v196, -v192, v194, v195
	v_fmac_f32_e32 v194, v196, v193
	s_delay_alu instid0(VALU_DEP_1) | instskip(NEXT) | instid1(VALU_DEP_1)
	v_fma_f32 v192, -v192, v194, v195
	v_div_fmas_f32 v192, v192, v193, v194
	s_delay_alu instid0(VALU_DEP_1) | instskip(NEXT) | instid1(VALU_DEP_1)
	v_div_fixup_f32 v192, v192, v191, v190
	v_fmac_f32_e32 v191, v190, v192
	s_delay_alu instid0(VALU_DEP_1) | instskip(SKIP_1) | instid1(VALU_DEP_2)
	v_div_scale_f32 v190, null, v191, v191, 1.0
	v_div_scale_f32 v195, vcc_lo, 1.0, v191, 1.0
	v_rcp_f32_e32 v193, v190
	v_nop
	s_delay_alu instid0(TRANS32_DEP_1) | instskip(NEXT) | instid1(VALU_DEP_1)
	v_fma_f32 v194, -v190, v193, 1.0
	v_fmac_f32_e32 v193, v194, v193
	s_delay_alu instid0(VALU_DEP_1) | instskip(NEXT) | instid1(VALU_DEP_1)
	v_mul_f32_e32 v194, v195, v193
	v_fma_f32 v196, -v190, v194, v195
	s_delay_alu instid0(VALU_DEP_1) | instskip(NEXT) | instid1(VALU_DEP_1)
	v_fmac_f32_e32 v194, v196, v193
	v_fma_f32 v190, -v190, v194, v195
	s_delay_alu instid0(VALU_DEP_1) | instskip(NEXT) | instid1(VALU_DEP_1)
	v_div_fmas_f32 v190, v190, v193, v194
	v_div_fixup_f32 v190, v190, v191, 1.0
	s_delay_alu instid0(VALU_DEP_1)
	v_mul_f32_e32 v192, v192, v190
	v_xor_b32_e32 v193, 0x80000000, v190
                                        ; implicit-def: $vgpr190_vgpr191
.LBB69_221:
	s_and_not1_saveexec_b32 s1, s1
	s_cbranch_execz .LBB69_223
; %bb.222:
	v_div_scale_f32 v192, null, v190, v190, v191
	v_div_scale_f32 v195, vcc_lo, v191, v190, v191
	s_delay_alu instid0(VALU_DEP_2) | instskip(SKIP_1) | instid1(TRANS32_DEP_1)
	v_rcp_f32_e32 v193, v192
	v_nop
	v_fma_f32 v194, -v192, v193, 1.0
	s_delay_alu instid0(VALU_DEP_1) | instskip(NEXT) | instid1(VALU_DEP_1)
	v_fmac_f32_e32 v193, v194, v193
	v_mul_f32_e32 v194, v195, v193
	s_delay_alu instid0(VALU_DEP_1) | instskip(NEXT) | instid1(VALU_DEP_1)
	v_fma_f32 v196, -v192, v194, v195
	v_fmac_f32_e32 v194, v196, v193
	s_delay_alu instid0(VALU_DEP_1) | instskip(NEXT) | instid1(VALU_DEP_1)
	v_fma_f32 v192, -v192, v194, v195
	v_div_fmas_f32 v192, v192, v193, v194
	s_delay_alu instid0(VALU_DEP_1) | instskip(NEXT) | instid1(VALU_DEP_1)
	v_div_fixup_f32 v193, v192, v190, v191
	v_fmac_f32_e32 v190, v191, v193
	s_delay_alu instid0(VALU_DEP_1) | instskip(NEXT) | instid1(VALU_DEP_1)
	v_div_scale_f32 v191, null, v190, v190, 1.0
	v_rcp_f32_e32 v192, v191
	v_nop
	s_delay_alu instid0(TRANS32_DEP_1) | instskip(NEXT) | instid1(VALU_DEP_1)
	v_fma_f32 v194, -v191, v192, 1.0
	v_fmac_f32_e32 v192, v194, v192
	v_div_scale_f32 v194, vcc_lo, 1.0, v190, 1.0
	s_delay_alu instid0(VALU_DEP_1) | instskip(NEXT) | instid1(VALU_DEP_1)
	v_mul_f32_e32 v195, v194, v192
	v_fma_f32 v196, -v191, v195, v194
	s_delay_alu instid0(VALU_DEP_1) | instskip(NEXT) | instid1(VALU_DEP_1)
	v_fmac_f32_e32 v195, v196, v192
	v_fma_f32 v191, -v191, v195, v194
	s_delay_alu instid0(VALU_DEP_1) | instskip(NEXT) | instid1(VALU_DEP_1)
	v_div_fmas_f32 v191, v191, v192, v195
	v_div_fixup_f32 v192, v191, v190, 1.0
	s_delay_alu instid0(VALU_DEP_1)
	v_mul_f32_e64 v193, v193, -v192
.LBB69_223:
	s_or_b32 exec_lo, exec_lo, s1
	ds_store_b64 v213, v[192:193]
.LBB69_224:
	s_or_b32 exec_lo, exec_lo, s2
	s_wait_dscnt 0x0
	s_barrier_signal -1
	s_barrier_wait -1
	ds_load_b64 v[190:191], v213
	s_mov_b32 s1, exec_lo
	v_cmpx_lt_u32_e32 24, v212
	s_cbranch_execz .LBB69_226
; %bb.225:
	ds_load_2addr_b64 v[192:195], v214 offset0:25 offset1:26
	ds_load_2addr_b64 v[196:199], v214 offset0:27 offset1:28
	;; [unrolled: 1-line block ×3, first 2 shown]
	s_wait_dscnt 0x3
	v_pk_mul_f32 v[204:205], v[190:191], v[136:137] op_sel:[1,1] op_sel_hi:[0,1]
	s_delay_alu instid0(VALU_DEP_1)
	v_pk_fma_f32 v[216:217], v[190:191], v[136:137], v[204:205] op_sel_hi:[1,0,1] neg_lo:[0,0,1] neg_hi:[0,0,1]
	v_pk_fma_f32 v[218:219], v[190:191], v[136:137], v[204:205] op_sel_hi:[1,0,1]
	ds_load_2addr_b64 v[204:207], v214 offset0:31 offset1:32
	ds_load_2addr_b64 v[208:211], v214 offset0:33 offset1:34
	v_dual_mov_b32 v136, v216 :: v_dual_mov_b32 v137, v219
	s_wait_dscnt 0x4
	v_pk_mul_f32 v[220:221], v[192:193], v[218:219] op_sel:[0,1]
	v_pk_mul_f32 v[222:223], v[194:195], v[218:219] op_sel:[0,1]
	s_wait_dscnt 0x3
	v_pk_mul_f32 v[224:225], v[196:197], v[218:219] op_sel:[0,1]
	v_dual_mov_b32 v226, v199 :: v_dual_mov_b32 v227, v198
	v_dual_mul_f32 v228, v199, v219 :: v_dual_mul_f32 v230, v199, v216
	s_wait_dscnt 0x2
	v_pk_mul_f32 v[232:233], v[200:201], v[218:219] op_sel:[0,1]
	v_pk_mul_f32 v[234:235], v[202:203], v[218:219] op_sel:[0,1]
	v_pk_fma_f32 v[236:237], v[192:193], v[216:217], v[220:221] op_sel:[0,0,1] op_sel_hi:[1,1,0] neg_lo:[0,0,1] neg_hi:[0,0,1]
	v_pk_fma_f32 v[192:193], v[192:193], v[216:217], v[220:221] op_sel:[0,0,1] op_sel_hi:[1,0,0]
	v_pk_fma_f32 v[220:221], v[194:195], v[216:217], v[222:223] op_sel:[0,0,1] op_sel_hi:[1,1,0] neg_lo:[0,0,1] neg_hi:[0,0,1]
	v_pk_fma_f32 v[194:195], v[194:195], v[216:217], v[222:223] op_sel:[0,0,1] op_sel_hi:[1,0,0]
	;; [unrolled: 2-line block ×3, first 2 shown]
	v_pk_fma_f32 v[224:225], v[226:227], v[136:137], v[230:231] op_sel_hi:[1,1,0]
	v_pk_fma_f32 v[198:199], v[198:199], v[136:137], v[228:229] op_sel_hi:[1,1,0] neg_lo:[0,0,1] neg_hi:[0,0,1]
	v_pk_fma_f32 v[226:227], v[200:201], v[216:217], v[232:233] op_sel:[0,0,1] op_sel_hi:[1,1,0] neg_lo:[0,0,1] neg_hi:[0,0,1]
	v_pk_fma_f32 v[200:201], v[200:201], v[216:217], v[232:233] op_sel:[0,0,1] op_sel_hi:[1,0,0]
	v_dual_mov_b32 v237, v193 :: v_dual_mov_b32 v221, v195
	v_pk_fma_f32 v[194:195], v[202:203], v[216:217], v[234:235] op_sel:[0,0,1] op_sel_hi:[1,0,0]
	v_dual_mov_b32 v223, v197 :: v_dual_mov_b32 v199, v225
	s_wait_dscnt 0x1
	v_pk_mul_f32 v[192:193], v[204:205], v[218:219] op_sel:[0,1]
	v_pk_fma_f32 v[196:197], v[202:203], v[216:217], v[234:235] op_sel:[0,0,1] op_sel_hi:[1,1,0] neg_lo:[0,0,1] neg_hi:[0,0,1]
	v_dual_mov_b32 v227, v201 :: v_dual_mov_b32 v197, v195
	v_pk_mul_f32 v[194:195], v[206:207], v[218:219] op_sel:[0,1]
	v_pk_add_f32 v[120:121], v[120:121], v[198:199] neg_lo:[0,1] neg_hi:[0,1]
	v_pk_fma_f32 v[198:199], v[204:205], v[216:217], v[192:193] op_sel:[0,0,1] op_sel_hi:[1,0,0]
	s_wait_dscnt 0x0
	v_mul_f32_e32 v198, v209, v216
	v_pk_mul_f32 v[200:201], v[210:211], v[218:219] op_sel:[0,1]
	v_pk_fma_f32 v[202:203], v[206:207], v[216:217], v[194:195] op_sel:[0,0,1] op_sel_hi:[1,0,0]
	v_pk_fma_f32 v[192:193], v[204:205], v[216:217], v[192:193] op_sel:[0,0,1] op_sel_hi:[1,1,0] neg_lo:[0,0,1] neg_hi:[0,0,1]
	v_dual_mul_f32 v202, v209, v219 :: v_dual_mov_b32 v193, v199
	v_pk_fma_f32 v[198:199], v[208:209], v[136:137], v[198:199] op_sel:[1,0,0] op_sel_hi:[0,1,0]
	v_pk_fma_f32 v[204:205], v[210:211], v[216:217], v[200:201] op_sel:[0,0,1] op_sel_hi:[1,0,0]
	v_pk_fma_f32 v[194:195], v[206:207], v[216:217], v[194:195] op_sel:[0,0,1] op_sel_hi:[1,1,0] neg_lo:[0,0,1] neg_hi:[0,0,1]
	v_mov_b32_e32 v195, v203
	v_pk_fma_f32 v[202:203], v[208:209], v[136:137], v[202:203] op_sel_hi:[1,1,0] neg_lo:[0,0,1] neg_hi:[0,0,1]
	v_mov_b32_e32 v203, v199
	v_pk_fma_f32 v[198:199], v[210:211], v[216:217], v[200:201] op_sel:[0,0,1] op_sel_hi:[1,1,0] neg_lo:[0,0,1] neg_hi:[0,0,1]
	v_mov_b32_e32 v199, v205
	v_pk_add_f32 v[134:135], v[134:135], v[236:237] neg_lo:[0,1] neg_hi:[0,1]
	v_pk_add_f32 v[100:101], v[100:101], v[220:221] neg_lo:[0,1] neg_hi:[0,1]
	;; [unrolled: 1-line block ×9, first 2 shown]
.LBB69_226:
	s_or_b32 exec_lo, exec_lo, s1
	s_delay_alu instid0(SALU_CYCLE_1)
	s_mov_b32 s2, exec_lo
	s_wait_dscnt 0x0
	s_barrier_signal -1
	s_barrier_wait -1
	v_cmpx_eq_u32_e32 25, v212
	s_cbranch_execz .LBB69_233
; %bb.227:
	v_dual_mov_b32 v192, v100 :: v_dual_mov_b32 v193, v101
	v_dual_mov_b32 v194, v98 :: v_dual_mov_b32 v195, v99
	;; [unrolled: 1-line block ×8, first 2 shown]
	ds_store_b64 v213, v[134:135]
	ds_store_2addr_b64 v214, v[192:193], v[194:195] offset0:26 offset1:27
	ds_store_2addr_b64 v214, v[196:197], v[198:199] offset0:28 offset1:29
	;; [unrolled: 1-line block ×4, first 2 shown]
	ds_store_b64 v214, v[140:141] offset:272
	ds_load_b64 v[192:193], v213
	s_wait_dscnt 0x0
	v_cmp_neq_f32_e32 vcc_lo, 0, v192
	v_cmp_neq_f32_e64 s1, 0, v193
	s_or_b32 s1, vcc_lo, s1
	s_delay_alu instid0(SALU_CYCLE_1)
	s_and_b32 exec_lo, exec_lo, s1
	s_cbranch_execz .LBB69_233
; %bb.228:
	v_cmp_ngt_f32_e64 s1, |v192|, |v193|
                                        ; implicit-def: $vgpr194_vgpr195
	s_and_saveexec_b32 s4, s1
	s_delay_alu instid0(SALU_CYCLE_1)
	s_xor_b32 s1, exec_lo, s4
	s_cbranch_execz .LBB69_230
; %bb.229:
	v_div_scale_f32 v194, null, v193, v193, v192
	v_div_scale_f32 v197, vcc_lo, v192, v193, v192
	s_delay_alu instid0(VALU_DEP_2) | instskip(SKIP_1) | instid1(TRANS32_DEP_1)
	v_rcp_f32_e32 v195, v194
	v_nop
	v_fma_f32 v196, -v194, v195, 1.0
	s_delay_alu instid0(VALU_DEP_1) | instskip(NEXT) | instid1(VALU_DEP_1)
	v_fmac_f32_e32 v195, v196, v195
	v_mul_f32_e32 v196, v197, v195
	s_delay_alu instid0(VALU_DEP_1) | instskip(NEXT) | instid1(VALU_DEP_1)
	v_fma_f32 v198, -v194, v196, v197
	v_fmac_f32_e32 v196, v198, v195
	s_delay_alu instid0(VALU_DEP_1) | instskip(NEXT) | instid1(VALU_DEP_1)
	v_fma_f32 v194, -v194, v196, v197
	v_div_fmas_f32 v194, v194, v195, v196
	s_delay_alu instid0(VALU_DEP_1) | instskip(NEXT) | instid1(VALU_DEP_1)
	v_div_fixup_f32 v194, v194, v193, v192
	v_fmac_f32_e32 v193, v192, v194
	s_delay_alu instid0(VALU_DEP_1) | instskip(SKIP_1) | instid1(VALU_DEP_2)
	v_div_scale_f32 v192, null, v193, v193, 1.0
	v_div_scale_f32 v197, vcc_lo, 1.0, v193, 1.0
	v_rcp_f32_e32 v195, v192
	v_nop
	s_delay_alu instid0(TRANS32_DEP_1) | instskip(NEXT) | instid1(VALU_DEP_1)
	v_fma_f32 v196, -v192, v195, 1.0
	v_fmac_f32_e32 v195, v196, v195
	s_delay_alu instid0(VALU_DEP_1) | instskip(NEXT) | instid1(VALU_DEP_1)
	v_mul_f32_e32 v196, v197, v195
	v_fma_f32 v198, -v192, v196, v197
	s_delay_alu instid0(VALU_DEP_1) | instskip(NEXT) | instid1(VALU_DEP_1)
	v_fmac_f32_e32 v196, v198, v195
	v_fma_f32 v192, -v192, v196, v197
	s_delay_alu instid0(VALU_DEP_1) | instskip(NEXT) | instid1(VALU_DEP_1)
	v_div_fmas_f32 v192, v192, v195, v196
	v_div_fixup_f32 v192, v192, v193, 1.0
	s_delay_alu instid0(VALU_DEP_1)
	v_mul_f32_e32 v194, v194, v192
	v_xor_b32_e32 v195, 0x80000000, v192
                                        ; implicit-def: $vgpr192_vgpr193
.LBB69_230:
	s_and_not1_saveexec_b32 s1, s1
	s_cbranch_execz .LBB69_232
; %bb.231:
	v_div_scale_f32 v194, null, v192, v192, v193
	v_div_scale_f32 v197, vcc_lo, v193, v192, v193
	s_delay_alu instid0(VALU_DEP_2) | instskip(SKIP_1) | instid1(TRANS32_DEP_1)
	v_rcp_f32_e32 v195, v194
	v_nop
	v_fma_f32 v196, -v194, v195, 1.0
	s_delay_alu instid0(VALU_DEP_1) | instskip(NEXT) | instid1(VALU_DEP_1)
	v_fmac_f32_e32 v195, v196, v195
	v_mul_f32_e32 v196, v197, v195
	s_delay_alu instid0(VALU_DEP_1) | instskip(NEXT) | instid1(VALU_DEP_1)
	v_fma_f32 v198, -v194, v196, v197
	v_fmac_f32_e32 v196, v198, v195
	s_delay_alu instid0(VALU_DEP_1) | instskip(NEXT) | instid1(VALU_DEP_1)
	v_fma_f32 v194, -v194, v196, v197
	v_div_fmas_f32 v194, v194, v195, v196
	s_delay_alu instid0(VALU_DEP_1) | instskip(NEXT) | instid1(VALU_DEP_1)
	v_div_fixup_f32 v195, v194, v192, v193
	v_fmac_f32_e32 v192, v193, v195
	s_delay_alu instid0(VALU_DEP_1) | instskip(NEXT) | instid1(VALU_DEP_1)
	v_div_scale_f32 v193, null, v192, v192, 1.0
	v_rcp_f32_e32 v194, v193
	v_nop
	s_delay_alu instid0(TRANS32_DEP_1) | instskip(NEXT) | instid1(VALU_DEP_1)
	v_fma_f32 v196, -v193, v194, 1.0
	v_fmac_f32_e32 v194, v196, v194
	v_div_scale_f32 v196, vcc_lo, 1.0, v192, 1.0
	s_delay_alu instid0(VALU_DEP_1) | instskip(NEXT) | instid1(VALU_DEP_1)
	v_mul_f32_e32 v197, v196, v194
	v_fma_f32 v198, -v193, v197, v196
	s_delay_alu instid0(VALU_DEP_1) | instskip(NEXT) | instid1(VALU_DEP_1)
	v_fmac_f32_e32 v197, v198, v194
	v_fma_f32 v193, -v193, v197, v196
	s_delay_alu instid0(VALU_DEP_1) | instskip(NEXT) | instid1(VALU_DEP_1)
	v_div_fmas_f32 v193, v193, v194, v197
	v_div_fixup_f32 v194, v193, v192, 1.0
	s_delay_alu instid0(VALU_DEP_1)
	v_mul_f32_e64 v195, v195, -v194
.LBB69_232:
	s_or_b32 exec_lo, exec_lo, s1
	ds_store_b64 v213, v[194:195]
.LBB69_233:
	s_or_b32 exec_lo, exec_lo, s2
	s_wait_dscnt 0x0
	s_barrier_signal -1
	s_barrier_wait -1
	ds_load_b64 v[192:193], v213
	s_mov_b32 s1, exec_lo
	v_cmpx_lt_u32_e32 25, v212
	s_cbranch_execz .LBB69_235
; %bb.234:
	ds_load_2addr_b64 v[194:197], v214 offset0:26 offset1:27
	ds_load_2addr_b64 v[198:201], v214 offset0:28 offset1:29
	;; [unrolled: 1-line block ×3, first 2 shown]
	s_wait_dscnt 0x3
	v_pk_mul_f32 v[206:207], v[192:193], v[134:135] op_sel:[1,1] op_sel_hi:[0,1]
	s_delay_alu instid0(VALU_DEP_1)
	v_pk_fma_f32 v[210:211], v[192:193], v[134:135], v[206:207] op_sel_hi:[1,0,1] neg_lo:[0,0,1] neg_hi:[0,0,1]
	v_pk_fma_f32 v[216:217], v[192:193], v[134:135], v[206:207] op_sel_hi:[1,0,1]
	ds_load_2addr_b64 v[206:209], v214 offset0:32 offset1:33
	ds_load_b64 v[218:219], v214 offset:272
	v_dual_mov_b32 v134, v210 :: v_dual_mov_b32 v135, v217
	s_wait_dscnt 0x4
	v_pk_mul_f32 v[220:221], v[194:195], v[216:217] op_sel:[0,1]
	v_pk_mul_f32 v[222:223], v[196:197], v[216:217] op_sel:[0,1]
	s_wait_dscnt 0x3
	v_pk_mul_f32 v[224:225], v[198:199], v[216:217] op_sel:[0,1]
	v_dual_mov_b32 v226, v201 :: v_dual_mov_b32 v227, v200
	v_dual_mul_f32 v228, v201, v217 :: v_dual_mul_f32 v230, v201, v210
	s_wait_dscnt 0x2
	v_pk_mul_f32 v[232:233], v[202:203], v[216:217] op_sel:[0,1]
	v_pk_fma_f32 v[236:237], v[194:195], v[210:211], v[220:221] op_sel:[0,0,1] op_sel_hi:[1,1,0] neg_lo:[0,0,1] neg_hi:[0,0,1]
	v_pk_fma_f32 v[194:195], v[194:195], v[210:211], v[220:221] op_sel:[0,0,1] op_sel_hi:[1,0,0]
	v_pk_fma_f32 v[220:221], v[196:197], v[210:211], v[222:223] op_sel:[0,0,1] op_sel_hi:[1,1,0] neg_lo:[0,0,1] neg_hi:[0,0,1]
	v_pk_fma_f32 v[196:197], v[196:197], v[210:211], v[222:223] op_sel:[0,0,1] op_sel_hi:[1,0,0]
	;; [unrolled: 2-line block ×3, first 2 shown]
	v_pk_fma_f32 v[224:225], v[226:227], v[134:135], v[230:231] op_sel_hi:[1,1,0]
	v_pk_fma_f32 v[200:201], v[200:201], v[134:135], v[228:229] op_sel_hi:[1,1,0] neg_lo:[0,0,1] neg_hi:[0,0,1]
	v_pk_mul_f32 v[234:235], v[204:205], v[216:217] op_sel:[0,1]
	v_dual_mov_b32 v237, v195 :: v_dual_mov_b32 v221, v197
	s_delay_alu instid0(VALU_DEP_4)
	v_dual_mov_b32 v223, v199 :: v_dual_mov_b32 v201, v225
	v_pk_fma_f32 v[194:195], v[202:203], v[210:211], v[232:233] op_sel:[0,0,1] op_sel_hi:[1,0,0]
	v_pk_fma_f32 v[196:197], v[202:203], v[210:211], v[232:233] op_sel:[0,0,1] op_sel_hi:[1,1,0] neg_lo:[0,0,1] neg_hi:[0,0,1]
	v_pk_fma_f32 v[198:199], v[204:205], v[210:211], v[234:235] op_sel:[0,0,1] op_sel_hi:[1,0,0]
	v_pk_fma_f32 v[202:203], v[204:205], v[210:211], v[234:235] op_sel:[0,0,1] op_sel_hi:[1,1,0] neg_lo:[0,0,1] neg_hi:[0,0,1]
	v_pk_add_f32 v[116:117], v[116:117], v[200:201] neg_lo:[0,1] neg_hi:[0,1]
	v_mov_b32_e32 v197, v195
	s_wait_dscnt 0x1
	v_pk_mul_f32 v[194:195], v[206:207], v[216:217] op_sel:[0,1]
	v_pk_mul_f32 v[200:201], v[208:209], v[216:217] op_sel:[0,1]
	s_wait_dscnt 0x0
	v_pk_mul_f32 v[204:205], v[218:219], v[216:217] op_sel:[0,1]
	v_mov_b32_e32 v203, v199
	v_pk_add_f32 v[100:101], v[100:101], v[236:237] neg_lo:[0,1] neg_hi:[0,1]
	v_pk_fma_f32 v[216:217], v[206:207], v[210:211], v[194:195] op_sel:[0,0,1] op_sel_hi:[1,0,0]
	v_pk_fma_f32 v[198:199], v[208:209], v[210:211], v[200:201] op_sel:[0,0,1] op_sel_hi:[1,0,0]
	v_pk_fma_f32 v[194:195], v[206:207], v[210:211], v[194:195] op_sel:[0,0,1] op_sel_hi:[1,1,0] neg_lo:[0,0,1] neg_hi:[0,0,1]
	v_pk_fma_f32 v[206:207], v[218:219], v[210:211], v[204:205] op_sel:[0,0,1] op_sel_hi:[1,0,0]
	v_pk_fma_f32 v[200:201], v[208:209], v[210:211], v[200:201] op_sel:[0,0,1] op_sel_hi:[1,1,0] neg_lo:[0,0,1] neg_hi:[0,0,1]
	s_delay_alu instid0(VALU_DEP_4) | instskip(SKIP_1) | instid1(VALU_DEP_4)
	v_dual_mov_b32 v195, v217 :: v_dual_mov_b32 v201, v199
	v_pk_fma_f32 v[198:199], v[218:219], v[210:211], v[204:205] op_sel:[0,0,1] op_sel_hi:[1,1,0] neg_lo:[0,0,1] neg_hi:[0,0,1]
	v_mov_b32_e32 v199, v207
	v_pk_add_f32 v[98:99], v[98:99], v[220:221] neg_lo:[0,1] neg_hi:[0,1]
	v_pk_add_f32 v[120:121], v[120:121], v[222:223] neg_lo:[0,1] neg_hi:[0,1]
	;; [unrolled: 1-line block ×7, first 2 shown]
.LBB69_235:
	s_or_b32 exec_lo, exec_lo, s1
	s_delay_alu instid0(SALU_CYCLE_1)
	s_mov_b32 s2, exec_lo
	s_wait_dscnt 0x0
	s_barrier_signal -1
	s_barrier_wait -1
	v_cmpx_eq_u32_e32 26, v212
	s_cbranch_execz .LBB69_242
; %bb.236:
	ds_store_b64 v213, v[100:101]
	ds_store_2addr_b64 v214, v[98:99], v[120:121] offset0:27 offset1:28
	ds_store_2addr_b64 v214, v[116:117], v[118:119] offset0:29 offset1:30
	;; [unrolled: 1-line block ×4, first 2 shown]
	ds_load_b64 v[194:195], v213
	s_wait_dscnt 0x0
	v_cmp_neq_f32_e32 vcc_lo, 0, v194
	v_cmp_neq_f32_e64 s1, 0, v195
	s_or_b32 s1, vcc_lo, s1
	s_delay_alu instid0(SALU_CYCLE_1)
	s_and_b32 exec_lo, exec_lo, s1
	s_cbranch_execz .LBB69_242
; %bb.237:
	v_cmp_ngt_f32_e64 s1, |v194|, |v195|
                                        ; implicit-def: $vgpr196_vgpr197
	s_and_saveexec_b32 s4, s1
	s_delay_alu instid0(SALU_CYCLE_1)
	s_xor_b32 s1, exec_lo, s4
	s_cbranch_execz .LBB69_239
; %bb.238:
	v_div_scale_f32 v196, null, v195, v195, v194
	v_div_scale_f32 v199, vcc_lo, v194, v195, v194
	s_delay_alu instid0(VALU_DEP_2) | instskip(SKIP_1) | instid1(TRANS32_DEP_1)
	v_rcp_f32_e32 v197, v196
	v_nop
	v_fma_f32 v198, -v196, v197, 1.0
	s_delay_alu instid0(VALU_DEP_1) | instskip(NEXT) | instid1(VALU_DEP_1)
	v_fmac_f32_e32 v197, v198, v197
	v_mul_f32_e32 v198, v199, v197
	s_delay_alu instid0(VALU_DEP_1) | instskip(NEXT) | instid1(VALU_DEP_1)
	v_fma_f32 v200, -v196, v198, v199
	v_fmac_f32_e32 v198, v200, v197
	s_delay_alu instid0(VALU_DEP_1) | instskip(NEXT) | instid1(VALU_DEP_1)
	v_fma_f32 v196, -v196, v198, v199
	v_div_fmas_f32 v196, v196, v197, v198
	s_delay_alu instid0(VALU_DEP_1) | instskip(NEXT) | instid1(VALU_DEP_1)
	v_div_fixup_f32 v196, v196, v195, v194
	v_fmac_f32_e32 v195, v194, v196
	s_delay_alu instid0(VALU_DEP_1) | instskip(SKIP_1) | instid1(VALU_DEP_2)
	v_div_scale_f32 v194, null, v195, v195, 1.0
	v_div_scale_f32 v199, vcc_lo, 1.0, v195, 1.0
	v_rcp_f32_e32 v197, v194
	v_nop
	s_delay_alu instid0(TRANS32_DEP_1) | instskip(NEXT) | instid1(VALU_DEP_1)
	v_fma_f32 v198, -v194, v197, 1.0
	v_fmac_f32_e32 v197, v198, v197
	s_delay_alu instid0(VALU_DEP_1) | instskip(NEXT) | instid1(VALU_DEP_1)
	v_mul_f32_e32 v198, v199, v197
	v_fma_f32 v200, -v194, v198, v199
	s_delay_alu instid0(VALU_DEP_1) | instskip(NEXT) | instid1(VALU_DEP_1)
	v_fmac_f32_e32 v198, v200, v197
	v_fma_f32 v194, -v194, v198, v199
	s_delay_alu instid0(VALU_DEP_1) | instskip(NEXT) | instid1(VALU_DEP_1)
	v_div_fmas_f32 v194, v194, v197, v198
	v_div_fixup_f32 v194, v194, v195, 1.0
	s_delay_alu instid0(VALU_DEP_1)
	v_mul_f32_e32 v196, v196, v194
	v_xor_b32_e32 v197, 0x80000000, v194
                                        ; implicit-def: $vgpr194_vgpr195
.LBB69_239:
	s_and_not1_saveexec_b32 s1, s1
	s_cbranch_execz .LBB69_241
; %bb.240:
	v_div_scale_f32 v196, null, v194, v194, v195
	v_div_scale_f32 v199, vcc_lo, v195, v194, v195
	s_delay_alu instid0(VALU_DEP_2) | instskip(SKIP_1) | instid1(TRANS32_DEP_1)
	v_rcp_f32_e32 v197, v196
	v_nop
	v_fma_f32 v198, -v196, v197, 1.0
	s_delay_alu instid0(VALU_DEP_1) | instskip(NEXT) | instid1(VALU_DEP_1)
	v_fmac_f32_e32 v197, v198, v197
	v_mul_f32_e32 v198, v199, v197
	s_delay_alu instid0(VALU_DEP_1) | instskip(NEXT) | instid1(VALU_DEP_1)
	v_fma_f32 v200, -v196, v198, v199
	v_fmac_f32_e32 v198, v200, v197
	s_delay_alu instid0(VALU_DEP_1) | instskip(NEXT) | instid1(VALU_DEP_1)
	v_fma_f32 v196, -v196, v198, v199
	v_div_fmas_f32 v196, v196, v197, v198
	s_delay_alu instid0(VALU_DEP_1) | instskip(NEXT) | instid1(VALU_DEP_1)
	v_div_fixup_f32 v197, v196, v194, v195
	v_fmac_f32_e32 v194, v195, v197
	s_delay_alu instid0(VALU_DEP_1) | instskip(NEXT) | instid1(VALU_DEP_1)
	v_div_scale_f32 v195, null, v194, v194, 1.0
	v_rcp_f32_e32 v196, v195
	v_nop
	s_delay_alu instid0(TRANS32_DEP_1) | instskip(NEXT) | instid1(VALU_DEP_1)
	v_fma_f32 v198, -v195, v196, 1.0
	v_fmac_f32_e32 v196, v198, v196
	v_div_scale_f32 v198, vcc_lo, 1.0, v194, 1.0
	s_delay_alu instid0(VALU_DEP_1) | instskip(NEXT) | instid1(VALU_DEP_1)
	v_mul_f32_e32 v199, v198, v196
	v_fma_f32 v200, -v195, v199, v198
	s_delay_alu instid0(VALU_DEP_1) | instskip(NEXT) | instid1(VALU_DEP_1)
	v_fmac_f32_e32 v199, v200, v196
	v_fma_f32 v195, -v195, v199, v198
	s_delay_alu instid0(VALU_DEP_1) | instskip(NEXT) | instid1(VALU_DEP_1)
	v_div_fmas_f32 v195, v195, v196, v199
	v_div_fixup_f32 v196, v195, v194, 1.0
	s_delay_alu instid0(VALU_DEP_1)
	v_mul_f32_e64 v197, v197, -v196
.LBB69_241:
	s_or_b32 exec_lo, exec_lo, s1
	ds_store_b64 v213, v[196:197]
.LBB69_242:
	s_or_b32 exec_lo, exec_lo, s2
	s_wait_dscnt 0x0
	s_barrier_signal -1
	s_barrier_wait -1
	ds_load_b64 v[194:195], v213
	s_mov_b32 s1, exec_lo
	v_cmpx_lt_u32_e32 26, v212
	s_cbranch_execz .LBB69_244
; %bb.243:
	ds_load_2addr_b64 v[196:199], v214 offset0:27 offset1:28
	ds_load_2addr_b64 v[200:203], v214 offset0:29 offset1:30
	;; [unrolled: 1-line block ×3, first 2 shown]
	s_wait_dscnt 0x3
	v_pk_mul_f32 v[216:217], v[194:195], v[100:101] op_sel:[1,1] op_sel_hi:[0,1]
	ds_load_2addr_b64 v[208:211], v214 offset0:33 offset1:34
	v_pk_fma_f32 v[218:219], v[194:195], v[100:101], v[216:217] op_sel_hi:[1,0,1] neg_lo:[0,0,1] neg_hi:[0,0,1]
	v_pk_fma_f32 v[216:217], v[194:195], v[100:101], v[216:217] op_sel_hi:[1,0,1]
	s_delay_alu instid0(VALU_DEP_1) | instskip(SKIP_1) | instid1(VALU_DEP_2)
	v_dual_mov_b32 v100, v218 :: v_dual_mov_b32 v101, v217
	s_wait_dscnt 0x3
	v_pk_mul_f32 v[220:221], v[196:197], v[216:217] op_sel:[0,1]
	v_pk_mul_f32 v[222:223], v[198:199], v[216:217] op_sel:[0,1]
	s_wait_dscnt 0x2
	v_pk_mul_f32 v[224:225], v[200:201], v[216:217] op_sel:[0,1]
	s_wait_dscnt 0x1
	v_pk_mul_f32 v[232:233], v[204:205], v[216:217] op_sel:[0,1]
	v_dual_mov_b32 v226, v203 :: v_dual_mov_b32 v227, v202
	v_pk_fma_f32 v[238:239], v[196:197], v[218:219], v[220:221] op_sel:[0,0,1] op_sel_hi:[1,1,0] neg_lo:[0,0,1] neg_hi:[0,0,1]
	v_pk_fma_f32 v[196:197], v[196:197], v[218:219], v[220:221] op_sel:[0,0,1] op_sel_hi:[1,0,0]
	v_pk_fma_f32 v[220:221], v[198:199], v[218:219], v[222:223] op_sel:[0,0,1] op_sel_hi:[1,1,0] neg_lo:[0,0,1] neg_hi:[0,0,1]
	v_pk_fma_f32 v[198:199], v[198:199], v[218:219], v[222:223] op_sel:[0,0,1] op_sel_hi:[1,0,0]
	v_dual_mul_f32 v228, v203, v217 :: v_dual_mul_f32 v230, v203, v218
	v_pk_mul_f32 v[234:235], v[206:207], v[216:217] op_sel:[0,1]
	v_pk_fma_f32 v[222:223], v[200:201], v[218:219], v[224:225] op_sel:[0,0,1] op_sel_hi:[1,1,0] neg_lo:[0,0,1] neg_hi:[0,0,1]
	v_pk_fma_f32 v[200:201], v[200:201], v[218:219], v[224:225] op_sel:[0,0,1] op_sel_hi:[1,0,0]
	s_wait_dscnt 0x0
	v_pk_mul_f32 v[236:237], v[208:209], v[216:217] op_sel:[0,1]
	v_dual_mov_b32 v239, v197 :: v_dual_mov_b32 v221, v199
	v_pk_fma_f32 v[196:197], v[204:205], v[218:219], v[232:233] op_sel:[0,0,1] op_sel_hi:[1,0,0]
	v_pk_mul_f32 v[198:199], v[210:211], v[216:217] op_sel:[0,1]
	v_pk_fma_f32 v[224:225], v[226:227], v[100:101], v[230:231] op_sel_hi:[1,1,0]
	v_pk_fma_f32 v[226:227], v[204:205], v[218:219], v[232:233] op_sel:[0,0,1] op_sel_hi:[1,1,0] neg_lo:[0,0,1] neg_hi:[0,0,1]
	v_mov_b32_e32 v223, v201
	v_pk_fma_f32 v[200:201], v[206:207], v[218:219], v[234:235] op_sel:[0,0,1] op_sel_hi:[1,0,0]
	v_mov_b32_e32 v227, v197
	v_pk_fma_f32 v[196:197], v[208:209], v[218:219], v[236:237] op_sel:[0,0,1] op_sel_hi:[1,0,0]
	v_pk_fma_f32 v[204:205], v[206:207], v[218:219], v[234:235] op_sel:[0,0,1] op_sel_hi:[1,1,0] neg_lo:[0,0,1] neg_hi:[0,0,1]
	v_pk_fma_f32 v[206:207], v[210:211], v[218:219], v[198:199] op_sel:[0,0,1] op_sel_hi:[1,0,0]
	v_mov_b32_e32 v205, v201
	v_pk_fma_f32 v[200:201], v[208:209], v[218:219], v[236:237] op_sel:[0,0,1] op_sel_hi:[1,1,0] neg_lo:[0,0,1] neg_hi:[0,0,1]
	v_pk_fma_f32 v[202:203], v[202:203], v[100:101], v[228:229] op_sel_hi:[1,1,0] neg_lo:[0,0,1] neg_hi:[0,0,1]
	v_mov_b32_e32 v201, v197
	v_pk_fma_f32 v[196:197], v[210:211], v[218:219], v[198:199] op_sel:[0,0,1] op_sel_hi:[1,1,0] neg_lo:[0,0,1] neg_hi:[0,0,1]
	v_dual_mov_b32 v203, v225 :: v_dual_mov_b32 v197, v207
	v_pk_add_f32 v[98:99], v[98:99], v[238:239] neg_lo:[0,1] neg_hi:[0,1]
	v_pk_add_f32 v[120:121], v[120:121], v[220:221] neg_lo:[0,1] neg_hi:[0,1]
	v_pk_add_f32 v[116:117], v[116:117], v[222:223] neg_lo:[0,1] neg_hi:[0,1]
	s_delay_alu instid0(VALU_DEP_4)
	v_pk_add_f32 v[118:119], v[118:119], v[202:203] neg_lo:[0,1] neg_hi:[0,1]
	v_pk_add_f32 v[132:133], v[132:133], v[226:227] neg_lo:[0,1] neg_hi:[0,1]
	;; [unrolled: 1-line block ×5, first 2 shown]
.LBB69_244:
	s_or_b32 exec_lo, exec_lo, s1
	s_delay_alu instid0(SALU_CYCLE_1)
	s_mov_b32 s2, exec_lo
	s_wait_dscnt 0x0
	s_barrier_signal -1
	s_barrier_wait -1
	v_cmpx_eq_u32_e32 27, v212
	s_cbranch_execz .LBB69_251
; %bb.245:
	v_dual_mov_b32 v196, v120 :: v_dual_mov_b32 v197, v121
	v_dual_mov_b32 v198, v116 :: v_dual_mov_b32 v199, v117
	;; [unrolled: 1-line block ×6, first 2 shown]
	ds_store_b64 v213, v[98:99]
	ds_store_2addr_b64 v214, v[196:197], v[198:199] offset0:28 offset1:29
	ds_store_2addr_b64 v214, v[200:201], v[202:203] offset0:30 offset1:31
	;; [unrolled: 1-line block ×3, first 2 shown]
	ds_store_b64 v214, v[140:141] offset:272
	ds_load_b64 v[196:197], v213
	s_wait_dscnt 0x0
	v_cmp_neq_f32_e32 vcc_lo, 0, v196
	v_cmp_neq_f32_e64 s1, 0, v197
	s_or_b32 s1, vcc_lo, s1
	s_delay_alu instid0(SALU_CYCLE_1)
	s_and_b32 exec_lo, exec_lo, s1
	s_cbranch_execz .LBB69_251
; %bb.246:
	v_cmp_ngt_f32_e64 s1, |v196|, |v197|
                                        ; implicit-def: $vgpr198_vgpr199
	s_and_saveexec_b32 s4, s1
	s_delay_alu instid0(SALU_CYCLE_1)
	s_xor_b32 s1, exec_lo, s4
	s_cbranch_execz .LBB69_248
; %bb.247:
	v_div_scale_f32 v198, null, v197, v197, v196
	v_div_scale_f32 v201, vcc_lo, v196, v197, v196
	s_delay_alu instid0(VALU_DEP_2) | instskip(SKIP_1) | instid1(TRANS32_DEP_1)
	v_rcp_f32_e32 v199, v198
	v_nop
	v_fma_f32 v200, -v198, v199, 1.0
	s_delay_alu instid0(VALU_DEP_1) | instskip(NEXT) | instid1(VALU_DEP_1)
	v_fmac_f32_e32 v199, v200, v199
	v_mul_f32_e32 v200, v201, v199
	s_delay_alu instid0(VALU_DEP_1) | instskip(NEXT) | instid1(VALU_DEP_1)
	v_fma_f32 v202, -v198, v200, v201
	v_fmac_f32_e32 v200, v202, v199
	s_delay_alu instid0(VALU_DEP_1) | instskip(NEXT) | instid1(VALU_DEP_1)
	v_fma_f32 v198, -v198, v200, v201
	v_div_fmas_f32 v198, v198, v199, v200
	s_delay_alu instid0(VALU_DEP_1) | instskip(NEXT) | instid1(VALU_DEP_1)
	v_div_fixup_f32 v198, v198, v197, v196
	v_fmac_f32_e32 v197, v196, v198
	s_delay_alu instid0(VALU_DEP_1) | instskip(SKIP_1) | instid1(VALU_DEP_2)
	v_div_scale_f32 v196, null, v197, v197, 1.0
	v_div_scale_f32 v201, vcc_lo, 1.0, v197, 1.0
	v_rcp_f32_e32 v199, v196
	v_nop
	s_delay_alu instid0(TRANS32_DEP_1) | instskip(NEXT) | instid1(VALU_DEP_1)
	v_fma_f32 v200, -v196, v199, 1.0
	v_fmac_f32_e32 v199, v200, v199
	s_delay_alu instid0(VALU_DEP_1) | instskip(NEXT) | instid1(VALU_DEP_1)
	v_mul_f32_e32 v200, v201, v199
	v_fma_f32 v202, -v196, v200, v201
	s_delay_alu instid0(VALU_DEP_1) | instskip(NEXT) | instid1(VALU_DEP_1)
	v_fmac_f32_e32 v200, v202, v199
	v_fma_f32 v196, -v196, v200, v201
	s_delay_alu instid0(VALU_DEP_1) | instskip(NEXT) | instid1(VALU_DEP_1)
	v_div_fmas_f32 v196, v196, v199, v200
	v_div_fixup_f32 v196, v196, v197, 1.0
	s_delay_alu instid0(VALU_DEP_1)
	v_mul_f32_e32 v198, v198, v196
	v_xor_b32_e32 v199, 0x80000000, v196
                                        ; implicit-def: $vgpr196_vgpr197
.LBB69_248:
	s_and_not1_saveexec_b32 s1, s1
	s_cbranch_execz .LBB69_250
; %bb.249:
	v_div_scale_f32 v198, null, v196, v196, v197
	v_div_scale_f32 v201, vcc_lo, v197, v196, v197
	s_delay_alu instid0(VALU_DEP_2) | instskip(SKIP_1) | instid1(TRANS32_DEP_1)
	v_rcp_f32_e32 v199, v198
	v_nop
	v_fma_f32 v200, -v198, v199, 1.0
	s_delay_alu instid0(VALU_DEP_1) | instskip(NEXT) | instid1(VALU_DEP_1)
	v_fmac_f32_e32 v199, v200, v199
	v_mul_f32_e32 v200, v201, v199
	s_delay_alu instid0(VALU_DEP_1) | instskip(NEXT) | instid1(VALU_DEP_1)
	v_fma_f32 v202, -v198, v200, v201
	v_fmac_f32_e32 v200, v202, v199
	s_delay_alu instid0(VALU_DEP_1) | instskip(NEXT) | instid1(VALU_DEP_1)
	v_fma_f32 v198, -v198, v200, v201
	v_div_fmas_f32 v198, v198, v199, v200
	s_delay_alu instid0(VALU_DEP_1) | instskip(NEXT) | instid1(VALU_DEP_1)
	v_div_fixup_f32 v199, v198, v196, v197
	v_fmac_f32_e32 v196, v197, v199
	s_delay_alu instid0(VALU_DEP_1) | instskip(NEXT) | instid1(VALU_DEP_1)
	v_div_scale_f32 v197, null, v196, v196, 1.0
	v_rcp_f32_e32 v198, v197
	v_nop
	s_delay_alu instid0(TRANS32_DEP_1) | instskip(NEXT) | instid1(VALU_DEP_1)
	v_fma_f32 v200, -v197, v198, 1.0
	v_fmac_f32_e32 v198, v200, v198
	v_div_scale_f32 v200, vcc_lo, 1.0, v196, 1.0
	s_delay_alu instid0(VALU_DEP_1) | instskip(NEXT) | instid1(VALU_DEP_1)
	v_mul_f32_e32 v201, v200, v198
	v_fma_f32 v202, -v197, v201, v200
	s_delay_alu instid0(VALU_DEP_1) | instskip(NEXT) | instid1(VALU_DEP_1)
	v_fmac_f32_e32 v201, v202, v198
	v_fma_f32 v197, -v197, v201, v200
	s_delay_alu instid0(VALU_DEP_1) | instskip(NEXT) | instid1(VALU_DEP_1)
	v_div_fmas_f32 v197, v197, v198, v201
	v_div_fixup_f32 v198, v197, v196, 1.0
	s_delay_alu instid0(VALU_DEP_1)
	v_mul_f32_e64 v199, v199, -v198
.LBB69_250:
	s_or_b32 exec_lo, exec_lo, s1
	ds_store_b64 v213, v[198:199]
.LBB69_251:
	s_or_b32 exec_lo, exec_lo, s2
	s_wait_dscnt 0x0
	s_barrier_signal -1
	s_barrier_wait -1
	ds_load_b64 v[196:197], v213
	s_mov_b32 s1, exec_lo
	v_cmpx_lt_u32_e32 27, v212
	s_cbranch_execz .LBB69_253
; %bb.252:
	ds_load_2addr_b64 v[198:201], v214 offset0:28 offset1:29
	ds_load_2addr_b64 v[202:205], v214 offset0:30 offset1:31
	;; [unrolled: 1-line block ×3, first 2 shown]
	ds_load_b64 v[216:217], v214 offset:272
	s_wait_dscnt 0x4
	v_pk_mul_f32 v[210:211], v[196:197], v[98:99] op_sel:[1,1] op_sel_hi:[0,1]
	s_delay_alu instid0(VALU_DEP_1) | instskip(SKIP_1) | instid1(VALU_DEP_1)
	v_pk_fma_f32 v[218:219], v[196:197], v[98:99], v[210:211] op_sel_hi:[1,0,1] neg_lo:[0,0,1] neg_hi:[0,0,1]
	v_pk_fma_f32 v[210:211], v[196:197], v[98:99], v[210:211] op_sel_hi:[1,0,1]
	v_dual_mov_b32 v98, v218 :: v_dual_mov_b32 v99, v211
	s_wait_dscnt 0x3
	s_delay_alu instid0(VALU_DEP_2)
	v_pk_mul_f32 v[220:221], v[198:199], v[210:211] op_sel:[0,1]
	v_pk_mul_f32 v[222:223], v[200:201], v[210:211] op_sel:[0,1]
	s_wait_dscnt 0x2
	v_pk_mul_f32 v[224:225], v[202:203], v[210:211] op_sel:[0,1]
	v_dual_mov_b32 v226, v205 :: v_dual_mov_b32 v227, v204
	v_dual_mul_f32 v228, v205, v211 :: v_dual_mul_f32 v230, v205, v218
	s_wait_dscnt 0x1
	v_pk_mul_f32 v[232:233], v[206:207], v[210:211] op_sel:[0,1]
	v_pk_mul_f32 v[234:235], v[208:209], v[210:211] op_sel:[0,1]
	v_pk_fma_f32 v[236:237], v[198:199], v[218:219], v[220:221] op_sel:[0,0,1] op_sel_hi:[1,1,0] neg_lo:[0,0,1] neg_hi:[0,0,1]
	v_pk_fma_f32 v[198:199], v[198:199], v[218:219], v[220:221] op_sel:[0,0,1] op_sel_hi:[1,0,0]
	s_wait_dscnt 0x0
	v_pk_mul_f32 v[210:211], v[216:217], v[210:211] op_sel:[0,1]
	v_pk_fma_f32 v[220:221], v[200:201], v[218:219], v[222:223] op_sel:[0,0,1] op_sel_hi:[1,1,0] neg_lo:[0,0,1] neg_hi:[0,0,1]
	v_pk_fma_f32 v[200:201], v[200:201], v[218:219], v[222:223] op_sel:[0,0,1] op_sel_hi:[1,0,0]
	v_pk_fma_f32 v[222:223], v[202:203], v[218:219], v[224:225] op_sel:[0,0,1] op_sel_hi:[1,1,0] neg_lo:[0,0,1] neg_hi:[0,0,1]
	v_pk_fma_f32 v[202:203], v[202:203], v[218:219], v[224:225] op_sel:[0,0,1] op_sel_hi:[1,0,0]
	v_pk_fma_f32 v[224:225], v[226:227], v[98:99], v[230:231] op_sel_hi:[1,1,0]
	v_pk_fma_f32 v[226:227], v[206:207], v[218:219], v[232:233] op_sel:[0,0,1] op_sel_hi:[1,1,0] neg_lo:[0,0,1] neg_hi:[0,0,1]
	v_pk_fma_f32 v[206:207], v[206:207], v[218:219], v[232:233] op_sel:[0,0,1] op_sel_hi:[1,0,0]
	v_dual_mov_b32 v237, v199 :: v_dual_mov_b32 v221, v201
	v_pk_fma_f32 v[198:199], v[208:209], v[218:219], v[234:235] op_sel:[0,0,1] op_sel_hi:[1,0,0]
	v_pk_fma_f32 v[200:201], v[216:217], v[218:219], v[210:211] op_sel:[0,0,1] op_sel_hi:[1,0,0]
	v_mov_b32_e32 v223, v203
	v_pk_fma_f32 v[202:203], v[208:209], v[218:219], v[234:235] op_sel:[0,0,1] op_sel_hi:[1,1,0] neg_lo:[0,0,1] neg_hi:[0,0,1]
	v_pk_fma_f32 v[204:205], v[204:205], v[98:99], v[228:229] op_sel_hi:[1,1,0] neg_lo:[0,0,1] neg_hi:[0,0,1]
	v_dual_mov_b32 v227, v207 :: v_dual_mov_b32 v203, v199
	v_pk_fma_f32 v[198:199], v[216:217], v[218:219], v[210:211] op_sel:[0,0,1] op_sel_hi:[1,1,0] neg_lo:[0,0,1] neg_hi:[0,0,1]
	v_dual_mov_b32 v205, v225 :: v_dual_mov_b32 v199, v201
	v_pk_add_f32 v[120:121], v[120:121], v[236:237] neg_lo:[0,1] neg_hi:[0,1]
	v_pk_add_f32 v[116:117], v[116:117], v[220:221] neg_lo:[0,1] neg_hi:[0,1]
	;; [unrolled: 1-line block ×3, first 2 shown]
	s_delay_alu instid0(VALU_DEP_4)
	v_pk_add_f32 v[132:133], v[132:133], v[204:205] neg_lo:[0,1] neg_hi:[0,1]
	v_pk_add_f32 v[130:131], v[130:131], v[226:227] neg_lo:[0,1] neg_hi:[0,1]
	;; [unrolled: 1-line block ×4, first 2 shown]
.LBB69_253:
	s_or_b32 exec_lo, exec_lo, s1
	s_delay_alu instid0(SALU_CYCLE_1)
	s_mov_b32 s2, exec_lo
	s_wait_dscnt 0x0
	s_barrier_signal -1
	s_barrier_wait -1
	v_cmpx_eq_u32_e32 28, v212
	s_cbranch_execz .LBB69_260
; %bb.254:
	ds_store_b64 v213, v[120:121]
	ds_store_2addr_b64 v214, v[116:117], v[118:119] offset0:29 offset1:30
	ds_store_2addr_b64 v214, v[132:133], v[130:131] offset0:31 offset1:32
	;; [unrolled: 1-line block ×3, first 2 shown]
	ds_load_b64 v[198:199], v213
	s_wait_dscnt 0x0
	v_cmp_neq_f32_e32 vcc_lo, 0, v198
	v_cmp_neq_f32_e64 s1, 0, v199
	s_or_b32 s1, vcc_lo, s1
	s_delay_alu instid0(SALU_CYCLE_1)
	s_and_b32 exec_lo, exec_lo, s1
	s_cbranch_execz .LBB69_260
; %bb.255:
	v_cmp_ngt_f32_e64 s1, |v198|, |v199|
                                        ; implicit-def: $vgpr200_vgpr201
	s_and_saveexec_b32 s4, s1
	s_delay_alu instid0(SALU_CYCLE_1)
	s_xor_b32 s1, exec_lo, s4
	s_cbranch_execz .LBB69_257
; %bb.256:
	v_div_scale_f32 v200, null, v199, v199, v198
	v_div_scale_f32 v203, vcc_lo, v198, v199, v198
	s_delay_alu instid0(VALU_DEP_2) | instskip(SKIP_1) | instid1(TRANS32_DEP_1)
	v_rcp_f32_e32 v201, v200
	v_nop
	v_fma_f32 v202, -v200, v201, 1.0
	s_delay_alu instid0(VALU_DEP_1) | instskip(NEXT) | instid1(VALU_DEP_1)
	v_fmac_f32_e32 v201, v202, v201
	v_mul_f32_e32 v202, v203, v201
	s_delay_alu instid0(VALU_DEP_1) | instskip(NEXT) | instid1(VALU_DEP_1)
	v_fma_f32 v204, -v200, v202, v203
	v_fmac_f32_e32 v202, v204, v201
	s_delay_alu instid0(VALU_DEP_1) | instskip(NEXT) | instid1(VALU_DEP_1)
	v_fma_f32 v200, -v200, v202, v203
	v_div_fmas_f32 v200, v200, v201, v202
	s_delay_alu instid0(VALU_DEP_1) | instskip(NEXT) | instid1(VALU_DEP_1)
	v_div_fixup_f32 v200, v200, v199, v198
	v_fmac_f32_e32 v199, v198, v200
	s_delay_alu instid0(VALU_DEP_1) | instskip(SKIP_1) | instid1(VALU_DEP_2)
	v_div_scale_f32 v198, null, v199, v199, 1.0
	v_div_scale_f32 v203, vcc_lo, 1.0, v199, 1.0
	v_rcp_f32_e32 v201, v198
	v_nop
	s_delay_alu instid0(TRANS32_DEP_1) | instskip(NEXT) | instid1(VALU_DEP_1)
	v_fma_f32 v202, -v198, v201, 1.0
	v_fmac_f32_e32 v201, v202, v201
	s_delay_alu instid0(VALU_DEP_1) | instskip(NEXT) | instid1(VALU_DEP_1)
	v_mul_f32_e32 v202, v203, v201
	v_fma_f32 v204, -v198, v202, v203
	s_delay_alu instid0(VALU_DEP_1) | instskip(NEXT) | instid1(VALU_DEP_1)
	v_fmac_f32_e32 v202, v204, v201
	v_fma_f32 v198, -v198, v202, v203
	s_delay_alu instid0(VALU_DEP_1) | instskip(NEXT) | instid1(VALU_DEP_1)
	v_div_fmas_f32 v198, v198, v201, v202
	v_div_fixup_f32 v198, v198, v199, 1.0
	s_delay_alu instid0(VALU_DEP_1)
	v_mul_f32_e32 v200, v200, v198
	v_xor_b32_e32 v201, 0x80000000, v198
                                        ; implicit-def: $vgpr198_vgpr199
.LBB69_257:
	s_and_not1_saveexec_b32 s1, s1
	s_cbranch_execz .LBB69_259
; %bb.258:
	v_div_scale_f32 v200, null, v198, v198, v199
	v_div_scale_f32 v203, vcc_lo, v199, v198, v199
	s_delay_alu instid0(VALU_DEP_2) | instskip(SKIP_1) | instid1(TRANS32_DEP_1)
	v_rcp_f32_e32 v201, v200
	v_nop
	v_fma_f32 v202, -v200, v201, 1.0
	s_delay_alu instid0(VALU_DEP_1) | instskip(NEXT) | instid1(VALU_DEP_1)
	v_fmac_f32_e32 v201, v202, v201
	v_mul_f32_e32 v202, v203, v201
	s_delay_alu instid0(VALU_DEP_1) | instskip(NEXT) | instid1(VALU_DEP_1)
	v_fma_f32 v204, -v200, v202, v203
	v_fmac_f32_e32 v202, v204, v201
	s_delay_alu instid0(VALU_DEP_1) | instskip(NEXT) | instid1(VALU_DEP_1)
	v_fma_f32 v200, -v200, v202, v203
	v_div_fmas_f32 v200, v200, v201, v202
	s_delay_alu instid0(VALU_DEP_1) | instskip(NEXT) | instid1(VALU_DEP_1)
	v_div_fixup_f32 v201, v200, v198, v199
	v_fmac_f32_e32 v198, v199, v201
	s_delay_alu instid0(VALU_DEP_1) | instskip(NEXT) | instid1(VALU_DEP_1)
	v_div_scale_f32 v199, null, v198, v198, 1.0
	v_rcp_f32_e32 v200, v199
	v_nop
	s_delay_alu instid0(TRANS32_DEP_1) | instskip(NEXT) | instid1(VALU_DEP_1)
	v_fma_f32 v202, -v199, v200, 1.0
	v_fmac_f32_e32 v200, v202, v200
	v_div_scale_f32 v202, vcc_lo, 1.0, v198, 1.0
	s_delay_alu instid0(VALU_DEP_1) | instskip(NEXT) | instid1(VALU_DEP_1)
	v_mul_f32_e32 v203, v202, v200
	v_fma_f32 v204, -v199, v203, v202
	s_delay_alu instid0(VALU_DEP_1) | instskip(NEXT) | instid1(VALU_DEP_1)
	v_fmac_f32_e32 v203, v204, v200
	v_fma_f32 v199, -v199, v203, v202
	s_delay_alu instid0(VALU_DEP_1) | instskip(NEXT) | instid1(VALU_DEP_1)
	v_div_fmas_f32 v199, v199, v200, v203
	v_div_fixup_f32 v200, v199, v198, 1.0
	s_delay_alu instid0(VALU_DEP_1)
	v_mul_f32_e64 v201, v201, -v200
.LBB69_259:
	s_or_b32 exec_lo, exec_lo, s1
	ds_store_b64 v213, v[200:201]
.LBB69_260:
	s_or_b32 exec_lo, exec_lo, s2
	s_wait_dscnt 0x0
	s_barrier_signal -1
	s_barrier_wait -1
	ds_load_b64 v[198:199], v213
	s_mov_b32 s1, exec_lo
	v_cmpx_lt_u32_e32 28, v212
	s_cbranch_execz .LBB69_262
; %bb.261:
	ds_load_2addr_b64 v[200:203], v214 offset0:29 offset1:30
	ds_load_2addr_b64 v[204:207], v214 offset0:31 offset1:32
	ds_load_2addr_b64 v[208:211], v214 offset0:33 offset1:34
	s_wait_dscnt 0x3
	v_pk_mul_f32 v[216:217], v[198:199], v[120:121] op_sel:[1,1] op_sel_hi:[0,1]
	s_delay_alu instid0(VALU_DEP_1) | instskip(SKIP_1) | instid1(VALU_DEP_1)
	v_pk_fma_f32 v[218:219], v[198:199], v[120:121], v[216:217] op_sel_hi:[1,0,1] neg_lo:[0,0,1] neg_hi:[0,0,1]
	v_pk_fma_f32 v[216:217], v[198:199], v[120:121], v[216:217] op_sel_hi:[1,0,1]
	v_dual_mov_b32 v120, v218 :: v_dual_mov_b32 v121, v217
	s_wait_dscnt 0x2
	s_delay_alu instid0(VALU_DEP_2)
	v_pk_mul_f32 v[220:221], v[200:201], v[216:217] op_sel:[0,1]
	v_pk_mul_f32 v[222:223], v[202:203], v[216:217] op_sel:[0,1]
	s_wait_dscnt 0x1
	v_pk_mul_f32 v[224:225], v[204:205], v[216:217] op_sel:[0,1]
	v_dual_mov_b32 v226, v207 :: v_dual_mov_b32 v227, v206
	v_dual_mul_f32 v228, v207, v217 :: v_dual_mul_f32 v230, v207, v218
	s_wait_dscnt 0x0
	v_pk_mul_f32 v[232:233], v[208:209], v[216:217] op_sel:[0,1]
	v_dual_mov_b32 v234, v211 :: v_dual_mov_b32 v235, v210
	v_dual_mul_f32 v216, v211, v217 :: v_dual_mul_f32 v236, v211, v218
	v_pk_fma_f32 v[238:239], v[200:201], v[218:219], v[220:221] op_sel:[0,0,1] op_sel_hi:[1,1,0] neg_lo:[0,0,1] neg_hi:[0,0,1]
	v_pk_fma_f32 v[200:201], v[200:201], v[218:219], v[220:221] op_sel:[0,0,1] op_sel_hi:[1,0,0]
	v_pk_fma_f32 v[220:221], v[202:203], v[218:219], v[222:223] op_sel:[0,0,1] op_sel_hi:[1,1,0] neg_lo:[0,0,1] neg_hi:[0,0,1]
	v_pk_fma_f32 v[202:203], v[202:203], v[218:219], v[222:223] op_sel:[0,0,1] op_sel_hi:[1,0,0]
	;; [unrolled: 2-line block ×3, first 2 shown]
	v_pk_fma_f32 v[224:225], v[226:227], v[120:121], v[230:231] op_sel_hi:[1,1,0]
	v_pk_fma_f32 v[226:227], v[208:209], v[218:219], v[232:233] op_sel:[0,0,1] op_sel_hi:[1,1,0] neg_lo:[0,0,1] neg_hi:[0,0,1]
	v_pk_fma_f32 v[208:209], v[208:209], v[218:219], v[232:233] op_sel:[0,0,1] op_sel_hi:[1,0,0]
	v_dual_mov_b32 v239, v201 :: v_dual_mov_b32 v221, v203
	v_pk_fma_f32 v[200:201], v[234:235], v[120:121], v[236:237] op_sel_hi:[1,1,0]
	v_pk_fma_f32 v[206:207], v[206:207], v[120:121], v[228:229] op_sel_hi:[1,1,0] neg_lo:[0,0,1] neg_hi:[0,0,1]
	v_pk_fma_f32 v[202:203], v[210:211], v[120:121], v[216:217] op_sel_hi:[1,1,0] neg_lo:[0,0,1] neg_hi:[0,0,1]
	v_dual_mov_b32 v223, v205 :: v_dual_mov_b32 v207, v225
	s_delay_alu instid0(VALU_DEP_4) | instskip(SKIP_2) | instid1(VALU_DEP_4)
	v_dual_mov_b32 v227, v209 :: v_dual_mov_b32 v203, v201
	v_pk_add_f32 v[116:117], v[116:117], v[238:239] neg_lo:[0,1] neg_hi:[0,1]
	v_pk_add_f32 v[118:119], v[118:119], v[220:221] neg_lo:[0,1] neg_hi:[0,1]
	;; [unrolled: 1-line block ×6, first 2 shown]
.LBB69_262:
	s_or_b32 exec_lo, exec_lo, s1
	s_delay_alu instid0(SALU_CYCLE_1)
	s_mov_b32 s2, exec_lo
	s_wait_dscnt 0x0
	s_barrier_signal -1
	s_barrier_wait -1
	v_cmpx_eq_u32_e32 29, v212
	s_cbranch_execz .LBB69_269
; %bb.263:
	v_dual_mov_b32 v200, v118 :: v_dual_mov_b32 v201, v119
	v_dual_mov_b32 v202, v132 :: v_dual_mov_b32 v203, v133
	;; [unrolled: 1-line block ×4, first 2 shown]
	ds_store_b64 v213, v[116:117]
	ds_store_2addr_b64 v214, v[200:201], v[202:203] offset0:30 offset1:31
	ds_store_2addr_b64 v214, v[204:205], v[206:207] offset0:32 offset1:33
	ds_store_b64 v214, v[140:141] offset:272
	ds_load_b64 v[200:201], v213
	s_wait_dscnt 0x0
	v_cmp_neq_f32_e32 vcc_lo, 0, v200
	v_cmp_neq_f32_e64 s1, 0, v201
	s_or_b32 s1, vcc_lo, s1
	s_delay_alu instid0(SALU_CYCLE_1)
	s_and_b32 exec_lo, exec_lo, s1
	s_cbranch_execz .LBB69_269
; %bb.264:
	v_cmp_ngt_f32_e64 s1, |v200|, |v201|
                                        ; implicit-def: $vgpr202_vgpr203
	s_and_saveexec_b32 s4, s1
	s_delay_alu instid0(SALU_CYCLE_1)
	s_xor_b32 s1, exec_lo, s4
	s_cbranch_execz .LBB69_266
; %bb.265:
	v_div_scale_f32 v202, null, v201, v201, v200
	v_div_scale_f32 v205, vcc_lo, v200, v201, v200
	s_delay_alu instid0(VALU_DEP_2) | instskip(SKIP_1) | instid1(TRANS32_DEP_1)
	v_rcp_f32_e32 v203, v202
	v_nop
	v_fma_f32 v204, -v202, v203, 1.0
	s_delay_alu instid0(VALU_DEP_1) | instskip(NEXT) | instid1(VALU_DEP_1)
	v_fmac_f32_e32 v203, v204, v203
	v_mul_f32_e32 v204, v205, v203
	s_delay_alu instid0(VALU_DEP_1) | instskip(NEXT) | instid1(VALU_DEP_1)
	v_fma_f32 v206, -v202, v204, v205
	v_fmac_f32_e32 v204, v206, v203
	s_delay_alu instid0(VALU_DEP_1) | instskip(NEXT) | instid1(VALU_DEP_1)
	v_fma_f32 v202, -v202, v204, v205
	v_div_fmas_f32 v202, v202, v203, v204
	s_delay_alu instid0(VALU_DEP_1) | instskip(NEXT) | instid1(VALU_DEP_1)
	v_div_fixup_f32 v202, v202, v201, v200
	v_fmac_f32_e32 v201, v200, v202
	s_delay_alu instid0(VALU_DEP_1) | instskip(SKIP_1) | instid1(VALU_DEP_2)
	v_div_scale_f32 v200, null, v201, v201, 1.0
	v_div_scale_f32 v205, vcc_lo, 1.0, v201, 1.0
	v_rcp_f32_e32 v203, v200
	v_nop
	s_delay_alu instid0(TRANS32_DEP_1) | instskip(NEXT) | instid1(VALU_DEP_1)
	v_fma_f32 v204, -v200, v203, 1.0
	v_fmac_f32_e32 v203, v204, v203
	s_delay_alu instid0(VALU_DEP_1) | instskip(NEXT) | instid1(VALU_DEP_1)
	v_mul_f32_e32 v204, v205, v203
	v_fma_f32 v206, -v200, v204, v205
	s_delay_alu instid0(VALU_DEP_1) | instskip(NEXT) | instid1(VALU_DEP_1)
	v_fmac_f32_e32 v204, v206, v203
	v_fma_f32 v200, -v200, v204, v205
	s_delay_alu instid0(VALU_DEP_1) | instskip(NEXT) | instid1(VALU_DEP_1)
	v_div_fmas_f32 v200, v200, v203, v204
	v_div_fixup_f32 v200, v200, v201, 1.0
	s_delay_alu instid0(VALU_DEP_1)
	v_mul_f32_e32 v202, v202, v200
	v_xor_b32_e32 v203, 0x80000000, v200
                                        ; implicit-def: $vgpr200_vgpr201
.LBB69_266:
	s_and_not1_saveexec_b32 s1, s1
	s_cbranch_execz .LBB69_268
; %bb.267:
	v_div_scale_f32 v202, null, v200, v200, v201
	v_div_scale_f32 v205, vcc_lo, v201, v200, v201
	s_delay_alu instid0(VALU_DEP_2) | instskip(SKIP_1) | instid1(TRANS32_DEP_1)
	v_rcp_f32_e32 v203, v202
	v_nop
	v_fma_f32 v204, -v202, v203, 1.0
	s_delay_alu instid0(VALU_DEP_1) | instskip(NEXT) | instid1(VALU_DEP_1)
	v_fmac_f32_e32 v203, v204, v203
	v_mul_f32_e32 v204, v205, v203
	s_delay_alu instid0(VALU_DEP_1) | instskip(NEXT) | instid1(VALU_DEP_1)
	v_fma_f32 v206, -v202, v204, v205
	v_fmac_f32_e32 v204, v206, v203
	s_delay_alu instid0(VALU_DEP_1) | instskip(NEXT) | instid1(VALU_DEP_1)
	v_fma_f32 v202, -v202, v204, v205
	v_div_fmas_f32 v202, v202, v203, v204
	s_delay_alu instid0(VALU_DEP_1) | instskip(NEXT) | instid1(VALU_DEP_1)
	v_div_fixup_f32 v203, v202, v200, v201
	v_fmac_f32_e32 v200, v201, v203
	s_delay_alu instid0(VALU_DEP_1) | instskip(NEXT) | instid1(VALU_DEP_1)
	v_div_scale_f32 v201, null, v200, v200, 1.0
	v_rcp_f32_e32 v202, v201
	v_nop
	s_delay_alu instid0(TRANS32_DEP_1) | instskip(NEXT) | instid1(VALU_DEP_1)
	v_fma_f32 v204, -v201, v202, 1.0
	v_fmac_f32_e32 v202, v204, v202
	v_div_scale_f32 v204, vcc_lo, 1.0, v200, 1.0
	s_delay_alu instid0(VALU_DEP_1) | instskip(NEXT) | instid1(VALU_DEP_1)
	v_mul_f32_e32 v205, v204, v202
	v_fma_f32 v206, -v201, v205, v204
	s_delay_alu instid0(VALU_DEP_1) | instskip(NEXT) | instid1(VALU_DEP_1)
	v_fmac_f32_e32 v205, v206, v202
	v_fma_f32 v201, -v201, v205, v204
	s_delay_alu instid0(VALU_DEP_1) | instskip(NEXT) | instid1(VALU_DEP_1)
	v_div_fmas_f32 v201, v201, v202, v205
	v_div_fixup_f32 v202, v201, v200, 1.0
	s_delay_alu instid0(VALU_DEP_1)
	v_mul_f32_e64 v203, v203, -v202
.LBB69_268:
	s_or_b32 exec_lo, exec_lo, s1
	ds_store_b64 v213, v[202:203]
.LBB69_269:
	s_or_b32 exec_lo, exec_lo, s2
	s_wait_dscnt 0x0
	s_barrier_signal -1
	s_barrier_wait -1
	ds_load_b64 v[200:201], v213
	s_mov_b32 s1, exec_lo
	v_cmpx_lt_u32_e32 29, v212
	s_cbranch_execz .LBB69_271
; %bb.270:
	ds_load_2addr_b64 v[202:205], v214 offset0:30 offset1:31
	ds_load_2addr_b64 v[206:209], v214 offset0:32 offset1:33
	ds_load_b64 v[210:211], v214 offset:272
	s_wait_dscnt 0x3
	v_pk_mul_f32 v[216:217], v[200:201], v[116:117] op_sel:[1,1] op_sel_hi:[0,1]
	s_delay_alu instid0(VALU_DEP_1) | instskip(SKIP_1) | instid1(VALU_DEP_1)
	v_pk_fma_f32 v[218:219], v[200:201], v[116:117], v[216:217] op_sel_hi:[1,0,1] neg_lo:[0,0,1] neg_hi:[0,0,1]
	v_pk_fma_f32 v[216:217], v[200:201], v[116:117], v[216:217] op_sel_hi:[1,0,1]
	v_dual_mov_b32 v116, v218 :: v_dual_mov_b32 v117, v217
	s_wait_dscnt 0x2
	s_delay_alu instid0(VALU_DEP_2)
	v_pk_mul_f32 v[220:221], v[202:203], v[216:217] op_sel:[0,1]
	v_pk_mul_f32 v[222:223], v[204:205], v[216:217] op_sel:[0,1]
	s_wait_dscnt 0x1
	v_pk_mul_f32 v[224:225], v[206:207], v[216:217] op_sel:[0,1]
	v_dual_mov_b32 v226, v209 :: v_dual_mov_b32 v227, v208
	v_dual_mul_f32 v228, v209, v217 :: v_dual_mul_f32 v230, v209, v218
	s_wait_dscnt 0x0
	v_pk_mul_f32 v[216:217], v[210:211], v[216:217] op_sel:[0,1]
	v_pk_fma_f32 v[232:233], v[202:203], v[218:219], v[220:221] op_sel:[0,0,1] op_sel_hi:[1,1,0] neg_lo:[0,0,1] neg_hi:[0,0,1]
	v_pk_fma_f32 v[202:203], v[202:203], v[218:219], v[220:221] op_sel:[0,0,1] op_sel_hi:[1,0,0]
	v_pk_fma_f32 v[220:221], v[204:205], v[218:219], v[222:223] op_sel:[0,0,1] op_sel_hi:[1,1,0] neg_lo:[0,0,1] neg_hi:[0,0,1]
	v_pk_fma_f32 v[204:205], v[204:205], v[218:219], v[222:223] op_sel:[0,0,1] op_sel_hi:[1,0,0]
	;; [unrolled: 2-line block ×3, first 2 shown]
	v_pk_fma_f32 v[224:225], v[226:227], v[116:117], v[230:231] op_sel_hi:[1,1,0]
	v_pk_fma_f32 v[226:227], v[210:211], v[218:219], v[216:217] op_sel:[0,0,1] op_sel_hi:[1,1,0] neg_lo:[0,0,1] neg_hi:[0,0,1]
	v_pk_fma_f32 v[210:211], v[210:211], v[218:219], v[216:217] op_sel:[0,0,1] op_sel_hi:[1,0,0]
	v_pk_fma_f32 v[208:209], v[208:209], v[116:117], v[228:229] op_sel_hi:[1,1,0] neg_lo:[0,0,1] neg_hi:[0,0,1]
	v_dual_mov_b32 v233, v203 :: v_dual_mov_b32 v221, v205
	v_dual_mov_b32 v223, v207 :: v_dual_mov_b32 v209, v225
	s_delay_alu instid0(VALU_DEP_4) | instskip(NEXT) | instid1(VALU_DEP_3)
	v_mov_b32_e32 v227, v211
	v_pk_add_f32 v[118:119], v[118:119], v[232:233] neg_lo:[0,1] neg_hi:[0,1]
	s_delay_alu instid0(VALU_DEP_4) | instskip(NEXT) | instid1(VALU_DEP_4)
	v_pk_add_f32 v[132:133], v[132:133], v[220:221] neg_lo:[0,1] neg_hi:[0,1]
	v_pk_add_f32 v[130:131], v[130:131], v[222:223] neg_lo:[0,1] neg_hi:[0,1]
	;; [unrolled: 1-line block ×4, first 2 shown]
.LBB69_271:
	s_or_b32 exec_lo, exec_lo, s1
	s_delay_alu instid0(SALU_CYCLE_1)
	s_mov_b32 s2, exec_lo
	s_wait_dscnt 0x0
	s_barrier_signal -1
	s_barrier_wait -1
	v_cmpx_eq_u32_e32 30, v212
	s_cbranch_execz .LBB69_278
; %bb.272:
	ds_store_b64 v213, v[118:119]
	ds_store_2addr_b64 v214, v[132:133], v[130:131] offset0:31 offset1:32
	ds_store_2addr_b64 v214, v[122:123], v[140:141] offset0:33 offset1:34
	ds_load_b64 v[202:203], v213
	s_wait_dscnt 0x0
	v_cmp_neq_f32_e32 vcc_lo, 0, v202
	v_cmp_neq_f32_e64 s1, 0, v203
	s_or_b32 s1, vcc_lo, s1
	s_delay_alu instid0(SALU_CYCLE_1)
	s_and_b32 exec_lo, exec_lo, s1
	s_cbranch_execz .LBB69_278
; %bb.273:
	v_cmp_ngt_f32_e64 s1, |v202|, |v203|
                                        ; implicit-def: $vgpr204_vgpr205
	s_and_saveexec_b32 s4, s1
	s_delay_alu instid0(SALU_CYCLE_1)
	s_xor_b32 s1, exec_lo, s4
	s_cbranch_execz .LBB69_275
; %bb.274:
	v_div_scale_f32 v204, null, v203, v203, v202
	v_div_scale_f32 v207, vcc_lo, v202, v203, v202
	s_delay_alu instid0(VALU_DEP_2) | instskip(SKIP_1) | instid1(TRANS32_DEP_1)
	v_rcp_f32_e32 v205, v204
	v_nop
	v_fma_f32 v206, -v204, v205, 1.0
	s_delay_alu instid0(VALU_DEP_1) | instskip(NEXT) | instid1(VALU_DEP_1)
	v_fmac_f32_e32 v205, v206, v205
	v_mul_f32_e32 v206, v207, v205
	s_delay_alu instid0(VALU_DEP_1) | instskip(NEXT) | instid1(VALU_DEP_1)
	v_fma_f32 v208, -v204, v206, v207
	v_fmac_f32_e32 v206, v208, v205
	s_delay_alu instid0(VALU_DEP_1) | instskip(NEXT) | instid1(VALU_DEP_1)
	v_fma_f32 v204, -v204, v206, v207
	v_div_fmas_f32 v204, v204, v205, v206
	s_delay_alu instid0(VALU_DEP_1) | instskip(NEXT) | instid1(VALU_DEP_1)
	v_div_fixup_f32 v204, v204, v203, v202
	v_fmac_f32_e32 v203, v202, v204
	s_delay_alu instid0(VALU_DEP_1) | instskip(SKIP_1) | instid1(VALU_DEP_2)
	v_div_scale_f32 v202, null, v203, v203, 1.0
	v_div_scale_f32 v207, vcc_lo, 1.0, v203, 1.0
	v_rcp_f32_e32 v205, v202
	v_nop
	s_delay_alu instid0(TRANS32_DEP_1) | instskip(NEXT) | instid1(VALU_DEP_1)
	v_fma_f32 v206, -v202, v205, 1.0
	v_fmac_f32_e32 v205, v206, v205
	s_delay_alu instid0(VALU_DEP_1) | instskip(NEXT) | instid1(VALU_DEP_1)
	v_mul_f32_e32 v206, v207, v205
	v_fma_f32 v208, -v202, v206, v207
	s_delay_alu instid0(VALU_DEP_1) | instskip(NEXT) | instid1(VALU_DEP_1)
	v_fmac_f32_e32 v206, v208, v205
	v_fma_f32 v202, -v202, v206, v207
	s_delay_alu instid0(VALU_DEP_1) | instskip(NEXT) | instid1(VALU_DEP_1)
	v_div_fmas_f32 v202, v202, v205, v206
	v_div_fixup_f32 v202, v202, v203, 1.0
	s_delay_alu instid0(VALU_DEP_1)
	v_mul_f32_e32 v204, v204, v202
	v_xor_b32_e32 v205, 0x80000000, v202
                                        ; implicit-def: $vgpr202_vgpr203
.LBB69_275:
	s_and_not1_saveexec_b32 s1, s1
	s_cbranch_execz .LBB69_277
; %bb.276:
	v_div_scale_f32 v204, null, v202, v202, v203
	v_div_scale_f32 v207, vcc_lo, v203, v202, v203
	s_delay_alu instid0(VALU_DEP_2) | instskip(SKIP_1) | instid1(TRANS32_DEP_1)
	v_rcp_f32_e32 v205, v204
	v_nop
	v_fma_f32 v206, -v204, v205, 1.0
	s_delay_alu instid0(VALU_DEP_1) | instskip(NEXT) | instid1(VALU_DEP_1)
	v_fmac_f32_e32 v205, v206, v205
	v_mul_f32_e32 v206, v207, v205
	s_delay_alu instid0(VALU_DEP_1) | instskip(NEXT) | instid1(VALU_DEP_1)
	v_fma_f32 v208, -v204, v206, v207
	v_fmac_f32_e32 v206, v208, v205
	s_delay_alu instid0(VALU_DEP_1) | instskip(NEXT) | instid1(VALU_DEP_1)
	v_fma_f32 v204, -v204, v206, v207
	v_div_fmas_f32 v204, v204, v205, v206
	s_delay_alu instid0(VALU_DEP_1) | instskip(NEXT) | instid1(VALU_DEP_1)
	v_div_fixup_f32 v205, v204, v202, v203
	v_fmac_f32_e32 v202, v203, v205
	s_delay_alu instid0(VALU_DEP_1) | instskip(NEXT) | instid1(VALU_DEP_1)
	v_div_scale_f32 v203, null, v202, v202, 1.0
	v_rcp_f32_e32 v204, v203
	v_nop
	s_delay_alu instid0(TRANS32_DEP_1) | instskip(NEXT) | instid1(VALU_DEP_1)
	v_fma_f32 v206, -v203, v204, 1.0
	v_fmac_f32_e32 v204, v206, v204
	v_div_scale_f32 v206, vcc_lo, 1.0, v202, 1.0
	s_delay_alu instid0(VALU_DEP_1) | instskip(NEXT) | instid1(VALU_DEP_1)
	v_mul_f32_e32 v207, v206, v204
	v_fma_f32 v208, -v203, v207, v206
	s_delay_alu instid0(VALU_DEP_1) | instskip(NEXT) | instid1(VALU_DEP_1)
	v_fmac_f32_e32 v207, v208, v204
	v_fma_f32 v203, -v203, v207, v206
	s_delay_alu instid0(VALU_DEP_1) | instskip(NEXT) | instid1(VALU_DEP_1)
	v_div_fmas_f32 v203, v203, v204, v207
	v_div_fixup_f32 v204, v203, v202, 1.0
	s_delay_alu instid0(VALU_DEP_1)
	v_mul_f32_e64 v205, v205, -v204
.LBB69_277:
	s_or_b32 exec_lo, exec_lo, s1
	ds_store_b64 v213, v[204:205]
.LBB69_278:
	s_or_b32 exec_lo, exec_lo, s2
	s_wait_dscnt 0x0
	s_barrier_signal -1
	s_barrier_wait -1
	ds_load_b64 v[202:203], v213
	s_mov_b32 s1, exec_lo
	v_cmpx_lt_u32_e32 30, v212
	s_cbranch_execz .LBB69_280
; %bb.279:
	ds_load_2addr_b64 v[204:207], v214 offset0:31 offset1:32
	ds_load_2addr_b64 v[208:211], v214 offset0:33 offset1:34
	s_wait_dscnt 0x2
	v_pk_mul_f32 v[216:217], v[202:203], v[118:119] op_sel:[1,1] op_sel_hi:[0,1]
	s_delay_alu instid0(VALU_DEP_1) | instskip(SKIP_1) | instid1(VALU_DEP_1)
	v_pk_fma_f32 v[218:219], v[202:203], v[118:119], v[216:217] op_sel_hi:[1,0,1] neg_lo:[0,0,1] neg_hi:[0,0,1]
	v_pk_fma_f32 v[216:217], v[202:203], v[118:119], v[216:217] op_sel_hi:[1,0,1]
	v_dual_mov_b32 v118, v218 :: v_dual_mov_b32 v119, v217
	s_wait_dscnt 0x1
	s_delay_alu instid0(VALU_DEP_2)
	v_pk_mul_f32 v[220:221], v[204:205], v[216:217] op_sel:[0,1]
	s_wait_dscnt 0x0
	v_mov_b32_e32 v222, v211
	v_pk_mul_f32 v[224:225], v[206:207], v[216:217] op_sel:[0,1]
	v_pk_mul_f32 v[226:227], v[208:209], v[216:217] op_sel:[0,1]
	v_pk_fma_f32 v[228:229], v[204:205], v[218:219], v[220:221] op_sel:[0,0,1] op_sel_hi:[1,1,0] neg_lo:[0,0,1] neg_hi:[0,0,1]
	v_pk_fma_f32 v[204:205], v[204:205], v[218:219], v[220:221] op_sel:[0,0,1] op_sel_hi:[1,0,0]
	s_delay_alu instid0(VALU_DEP_1) | instskip(NEXT) | instid1(VALU_DEP_1)
	v_dual_mov_b32 v223, v210 :: v_dual_mov_b32 v229, v205
	v_pk_mul_f32 v[220:221], v[222:223], v[216:217] op_sel:[0,1]
	v_pk_fma_f32 v[222:223], v[206:207], v[218:219], v[224:225] op_sel:[0,0,1] op_sel_hi:[1,0,0]
	v_pk_fma_f32 v[206:207], v[206:207], v[218:219], v[224:225] op_sel:[0,0,1] op_sel_hi:[1,1,0] neg_lo:[0,0,1] neg_hi:[0,0,1]
	v_pk_fma_f32 v[224:225], v[208:209], v[218:219], v[226:227] op_sel:[0,0,1] op_sel_hi:[1,0,0]
	v_pk_fma_f32 v[208:209], v[208:209], v[218:219], v[226:227] op_sel:[0,0,1] op_sel_hi:[1,1,0] neg_lo:[0,0,1] neg_hi:[0,0,1]
	v_pk_fma_f32 v[204:205], v[210:211], v[218:219], v[220:221] op_sel_hi:[1,0,1]
	v_pk_fma_f32 v[210:211], v[210:211], v[218:219], v[220:221] neg_lo:[0,0,1] neg_hi:[0,0,1]
	s_delay_alu instid0(VALU_DEP_4) | instskip(SKIP_1) | instid1(VALU_DEP_4)
	v_dual_mov_b32 v207, v223 :: v_dual_mov_b32 v209, v225
	v_pk_add_f32 v[132:133], v[132:133], v[228:229] neg_lo:[0,1] neg_hi:[0,1]
	v_mov_b32_e32 v211, v205
	s_delay_alu instid0(VALU_DEP_3) | instskip(NEXT) | instid1(VALU_DEP_4)
	v_pk_add_f32 v[130:131], v[130:131], v[206:207] neg_lo:[0,1] neg_hi:[0,1]
	v_pk_add_f32 v[122:123], v[122:123], v[208:209] neg_lo:[0,1] neg_hi:[0,1]
	s_delay_alu instid0(VALU_DEP_3)
	v_pk_add_f32 v[140:141], v[140:141], v[210:211] neg_lo:[0,1] neg_hi:[0,1]
.LBB69_280:
	s_or_b32 exec_lo, exec_lo, s1
	s_delay_alu instid0(SALU_CYCLE_1)
	s_mov_b32 s2, exec_lo
	s_wait_dscnt 0x0
	s_barrier_signal -1
	s_barrier_wait -1
	v_cmpx_eq_u32_e32 31, v212
	s_cbranch_execz .LBB69_287
; %bb.281:
	v_dual_mov_b32 v204, v130 :: v_dual_mov_b32 v205, v131
	v_dual_mov_b32 v206, v122 :: v_dual_mov_b32 v207, v123
	ds_store_b64 v213, v[132:133]
	ds_store_2addr_b64 v214, v[204:205], v[206:207] offset0:32 offset1:33
	ds_store_b64 v214, v[140:141] offset:272
	ds_load_b64 v[204:205], v213
	s_wait_dscnt 0x0
	v_cmp_neq_f32_e32 vcc_lo, 0, v204
	v_cmp_neq_f32_e64 s1, 0, v205
	s_or_b32 s1, vcc_lo, s1
	s_delay_alu instid0(SALU_CYCLE_1)
	s_and_b32 exec_lo, exec_lo, s1
	s_cbranch_execz .LBB69_287
; %bb.282:
	v_cmp_ngt_f32_e64 s1, |v204|, |v205|
                                        ; implicit-def: $vgpr206_vgpr207
	s_and_saveexec_b32 s4, s1
	s_delay_alu instid0(SALU_CYCLE_1)
	s_xor_b32 s1, exec_lo, s4
	s_cbranch_execz .LBB69_284
; %bb.283:
	v_div_scale_f32 v206, null, v205, v205, v204
	v_div_scale_f32 v209, vcc_lo, v204, v205, v204
	s_delay_alu instid0(VALU_DEP_2) | instskip(SKIP_1) | instid1(TRANS32_DEP_1)
	v_rcp_f32_e32 v207, v206
	v_nop
	v_fma_f32 v208, -v206, v207, 1.0
	s_delay_alu instid0(VALU_DEP_1) | instskip(NEXT) | instid1(VALU_DEP_1)
	v_fmac_f32_e32 v207, v208, v207
	v_mul_f32_e32 v208, v209, v207
	s_delay_alu instid0(VALU_DEP_1) | instskip(NEXT) | instid1(VALU_DEP_1)
	v_fma_f32 v210, -v206, v208, v209
	v_fmac_f32_e32 v208, v210, v207
	s_delay_alu instid0(VALU_DEP_1) | instskip(NEXT) | instid1(VALU_DEP_1)
	v_fma_f32 v206, -v206, v208, v209
	v_div_fmas_f32 v206, v206, v207, v208
	s_delay_alu instid0(VALU_DEP_1) | instskip(NEXT) | instid1(VALU_DEP_1)
	v_div_fixup_f32 v206, v206, v205, v204
	v_fmac_f32_e32 v205, v204, v206
	s_delay_alu instid0(VALU_DEP_1) | instskip(SKIP_1) | instid1(VALU_DEP_2)
	v_div_scale_f32 v204, null, v205, v205, 1.0
	v_div_scale_f32 v209, vcc_lo, 1.0, v205, 1.0
	v_rcp_f32_e32 v207, v204
	v_nop
	s_delay_alu instid0(TRANS32_DEP_1) | instskip(NEXT) | instid1(VALU_DEP_1)
	v_fma_f32 v208, -v204, v207, 1.0
	v_fmac_f32_e32 v207, v208, v207
	s_delay_alu instid0(VALU_DEP_1) | instskip(NEXT) | instid1(VALU_DEP_1)
	v_mul_f32_e32 v208, v209, v207
	v_fma_f32 v210, -v204, v208, v209
	s_delay_alu instid0(VALU_DEP_1) | instskip(NEXT) | instid1(VALU_DEP_1)
	v_fmac_f32_e32 v208, v210, v207
	v_fma_f32 v204, -v204, v208, v209
	s_delay_alu instid0(VALU_DEP_1) | instskip(NEXT) | instid1(VALU_DEP_1)
	v_div_fmas_f32 v204, v204, v207, v208
	v_div_fixup_f32 v204, v204, v205, 1.0
	s_delay_alu instid0(VALU_DEP_1)
	v_mul_f32_e32 v206, v206, v204
	v_xor_b32_e32 v207, 0x80000000, v204
                                        ; implicit-def: $vgpr204_vgpr205
.LBB69_284:
	s_and_not1_saveexec_b32 s1, s1
	s_cbranch_execz .LBB69_286
; %bb.285:
	v_div_scale_f32 v206, null, v204, v204, v205
	v_div_scale_f32 v209, vcc_lo, v205, v204, v205
	s_delay_alu instid0(VALU_DEP_2) | instskip(SKIP_1) | instid1(TRANS32_DEP_1)
	v_rcp_f32_e32 v207, v206
	v_nop
	v_fma_f32 v208, -v206, v207, 1.0
	s_delay_alu instid0(VALU_DEP_1) | instskip(NEXT) | instid1(VALU_DEP_1)
	v_fmac_f32_e32 v207, v208, v207
	v_mul_f32_e32 v208, v209, v207
	s_delay_alu instid0(VALU_DEP_1) | instskip(NEXT) | instid1(VALU_DEP_1)
	v_fma_f32 v210, -v206, v208, v209
	v_fmac_f32_e32 v208, v210, v207
	s_delay_alu instid0(VALU_DEP_1) | instskip(NEXT) | instid1(VALU_DEP_1)
	v_fma_f32 v206, -v206, v208, v209
	v_div_fmas_f32 v206, v206, v207, v208
	s_delay_alu instid0(VALU_DEP_1) | instskip(NEXT) | instid1(VALU_DEP_1)
	v_div_fixup_f32 v207, v206, v204, v205
	v_fmac_f32_e32 v204, v205, v207
	s_delay_alu instid0(VALU_DEP_1) | instskip(NEXT) | instid1(VALU_DEP_1)
	v_div_scale_f32 v205, null, v204, v204, 1.0
	v_rcp_f32_e32 v206, v205
	v_nop
	s_delay_alu instid0(TRANS32_DEP_1) | instskip(NEXT) | instid1(VALU_DEP_1)
	v_fma_f32 v208, -v205, v206, 1.0
	v_fmac_f32_e32 v206, v208, v206
	v_div_scale_f32 v208, vcc_lo, 1.0, v204, 1.0
	s_delay_alu instid0(VALU_DEP_1) | instskip(NEXT) | instid1(VALU_DEP_1)
	v_mul_f32_e32 v209, v208, v206
	v_fma_f32 v210, -v205, v209, v208
	s_delay_alu instid0(VALU_DEP_1) | instskip(NEXT) | instid1(VALU_DEP_1)
	v_fmac_f32_e32 v209, v210, v206
	v_fma_f32 v205, -v205, v209, v208
	s_delay_alu instid0(VALU_DEP_1) | instskip(NEXT) | instid1(VALU_DEP_1)
	v_div_fmas_f32 v205, v205, v206, v209
	v_div_fixup_f32 v206, v205, v204, 1.0
	s_delay_alu instid0(VALU_DEP_1)
	v_mul_f32_e64 v207, v207, -v206
.LBB69_286:
	s_or_b32 exec_lo, exec_lo, s1
	ds_store_b64 v213, v[206:207]
.LBB69_287:
	s_or_b32 exec_lo, exec_lo, s2
	s_wait_dscnt 0x0
	s_barrier_signal -1
	s_barrier_wait -1
	ds_load_b64 v[204:205], v213
	s_mov_b32 s1, exec_lo
	v_cmpx_lt_u32_e32 31, v212
	s_cbranch_execz .LBB69_289
; %bb.288:
	ds_load_2addr_b64 v[206:209], v214 offset0:32 offset1:33
	ds_load_b64 v[210:211], v214 offset:272
	s_wait_dscnt 0x2
	v_pk_mul_f32 v[216:217], v[204:205], v[132:133] op_sel:[1,1] op_sel_hi:[0,1]
	s_delay_alu instid0(VALU_DEP_1) | instskip(SKIP_2) | instid1(VALU_DEP_2)
	v_pk_fma_f32 v[218:219], v[204:205], v[132:133], v[216:217] op_sel_hi:[1,0,1]
	v_pk_fma_f32 v[132:133], v[204:205], v[132:133], v[216:217] op_sel_hi:[1,0,1] neg_lo:[0,0,1] neg_hi:[0,0,1]
	s_wait_dscnt 0x1
	v_pk_mul_f32 v[216:217], v[206:207], v[218:219] op_sel:[0,1]
	v_pk_mul_f32 v[220:221], v[208:209], v[218:219] op_sel:[0,1]
	s_wait_dscnt 0x0
	v_pk_mul_f32 v[222:223], v[210:211], v[218:219] op_sel:[1,1] op_sel_hi:[0,1]
	s_delay_alu instid0(VALU_DEP_3) | instskip(SKIP_2) | instid1(VALU_DEP_4)
	v_pk_fma_f32 v[224:225], v[206:207], v[132:133], v[216:217] op_sel:[0,0,1] op_sel_hi:[1,1,0] neg_lo:[0,0,1] neg_hi:[0,0,1]
	v_pk_fma_f32 v[206:207], v[206:207], v[132:133], v[216:217] op_sel:[0,0,1] op_sel_hi:[1,0,0]
	v_pk_fma_f32 v[216:217], v[208:209], v[132:133], v[220:221] op_sel:[0,0,1] op_sel_hi:[1,0,0]
	v_pk_fma_f32 v[226:227], v[210:211], v[132:133], v[222:223] op_sel_hi:[1,0,1]
	v_pk_fma_f32 v[208:209], v[208:209], v[132:133], v[220:221] op_sel:[0,0,1] op_sel_hi:[1,1,0] neg_lo:[0,0,1] neg_hi:[0,0,1]
	v_pk_fma_f32 v[210:211], v[210:211], v[132:133], v[222:223] neg_lo:[0,0,1] neg_hi:[0,0,1]
	s_delay_alu instid0(VALU_DEP_4) | instskip(NEXT) | instid1(VALU_DEP_4)
	v_dual_mov_b32 v225, v207 :: v_dual_mov_b32 v209, v217
	v_dual_mov_b32 v211, v227 :: v_dual_mov_b32 v133, v219
	s_delay_alu instid0(VALU_DEP_2) | instskip(NEXT) | instid1(VALU_DEP_3)
	v_pk_add_f32 v[130:131], v[130:131], v[224:225] neg_lo:[0,1] neg_hi:[0,1]
	v_pk_add_f32 v[122:123], v[122:123], v[208:209] neg_lo:[0,1] neg_hi:[0,1]
	s_delay_alu instid0(VALU_DEP_3)
	v_pk_add_f32 v[140:141], v[140:141], v[210:211] neg_lo:[0,1] neg_hi:[0,1]
.LBB69_289:
	s_or_b32 exec_lo, exec_lo, s1
	s_delay_alu instid0(SALU_CYCLE_1)
	s_mov_b32 s2, exec_lo
	s_wait_dscnt 0x0
	s_barrier_signal -1
	s_barrier_wait -1
	v_cmpx_eq_u32_e32 32, v212
	s_cbranch_execz .LBB69_296
; %bb.290:
	ds_store_b64 v213, v[130:131]
	ds_store_2addr_b64 v214, v[122:123], v[140:141] offset0:33 offset1:34
	ds_load_b64 v[206:207], v213
	s_wait_dscnt 0x0
	v_cmp_neq_f32_e32 vcc_lo, 0, v206
	v_cmp_neq_f32_e64 s1, 0, v207
	s_or_b32 s1, vcc_lo, s1
	s_delay_alu instid0(SALU_CYCLE_1)
	s_and_b32 exec_lo, exec_lo, s1
	s_cbranch_execz .LBB69_296
; %bb.291:
	v_cmp_ngt_f32_e64 s1, |v206|, |v207|
                                        ; implicit-def: $vgpr208_vgpr209
	s_and_saveexec_b32 s4, s1
	s_delay_alu instid0(SALU_CYCLE_1)
	s_xor_b32 s1, exec_lo, s4
	s_cbranch_execz .LBB69_293
; %bb.292:
	v_div_scale_f32 v208, null, v207, v207, v206
	v_div_scale_f32 v211, vcc_lo, v206, v207, v206
	s_delay_alu instid0(VALU_DEP_2) | instskip(SKIP_1) | instid1(TRANS32_DEP_1)
	v_rcp_f32_e32 v209, v208
	v_nop
	v_fma_f32 v210, -v208, v209, 1.0
	s_delay_alu instid0(VALU_DEP_1) | instskip(NEXT) | instid1(VALU_DEP_1)
	v_fmac_f32_e32 v209, v210, v209
	v_mul_f32_e32 v210, v211, v209
	s_delay_alu instid0(VALU_DEP_1) | instskip(NEXT) | instid1(VALU_DEP_1)
	v_fma_f32 v215, -v208, v210, v211
	v_fmac_f32_e32 v210, v215, v209
	s_delay_alu instid0(VALU_DEP_1) | instskip(NEXT) | instid1(VALU_DEP_1)
	v_fma_f32 v208, -v208, v210, v211
	v_div_fmas_f32 v208, v208, v209, v210
	s_delay_alu instid0(VALU_DEP_1) | instskip(NEXT) | instid1(VALU_DEP_1)
	v_div_fixup_f32 v208, v208, v207, v206
	v_fmac_f32_e32 v207, v206, v208
	s_delay_alu instid0(VALU_DEP_1) | instskip(SKIP_1) | instid1(VALU_DEP_2)
	v_div_scale_f32 v206, null, v207, v207, 1.0
	v_div_scale_f32 v211, vcc_lo, 1.0, v207, 1.0
	v_rcp_f32_e32 v209, v206
	v_nop
	s_delay_alu instid0(TRANS32_DEP_1) | instskip(NEXT) | instid1(VALU_DEP_1)
	v_fma_f32 v210, -v206, v209, 1.0
	v_fmac_f32_e32 v209, v210, v209
	s_delay_alu instid0(VALU_DEP_1) | instskip(NEXT) | instid1(VALU_DEP_1)
	v_mul_f32_e32 v210, v211, v209
	v_fma_f32 v215, -v206, v210, v211
	s_delay_alu instid0(VALU_DEP_1) | instskip(NEXT) | instid1(VALU_DEP_1)
	v_fmac_f32_e32 v210, v215, v209
	v_fma_f32 v206, -v206, v210, v211
	s_delay_alu instid0(VALU_DEP_1) | instskip(NEXT) | instid1(VALU_DEP_1)
	v_div_fmas_f32 v206, v206, v209, v210
	v_div_fixup_f32 v206, v206, v207, 1.0
	s_delay_alu instid0(VALU_DEP_1)
	v_mul_f32_e32 v208, v208, v206
	v_xor_b32_e32 v209, 0x80000000, v206
                                        ; implicit-def: $vgpr206_vgpr207
.LBB69_293:
	s_and_not1_saveexec_b32 s1, s1
	s_cbranch_execz .LBB69_295
; %bb.294:
	v_div_scale_f32 v208, null, v206, v206, v207
	v_div_scale_f32 v211, vcc_lo, v207, v206, v207
	s_delay_alu instid0(VALU_DEP_2) | instskip(SKIP_1) | instid1(TRANS32_DEP_1)
	v_rcp_f32_e32 v209, v208
	v_nop
	v_fma_f32 v210, -v208, v209, 1.0
	s_delay_alu instid0(VALU_DEP_1) | instskip(NEXT) | instid1(VALU_DEP_1)
	v_fmac_f32_e32 v209, v210, v209
	v_mul_f32_e32 v210, v211, v209
	s_delay_alu instid0(VALU_DEP_1) | instskip(NEXT) | instid1(VALU_DEP_1)
	v_fma_f32 v215, -v208, v210, v211
	v_fmac_f32_e32 v210, v215, v209
	s_delay_alu instid0(VALU_DEP_1) | instskip(NEXT) | instid1(VALU_DEP_1)
	v_fma_f32 v208, -v208, v210, v211
	v_div_fmas_f32 v208, v208, v209, v210
	s_delay_alu instid0(VALU_DEP_1) | instskip(NEXT) | instid1(VALU_DEP_1)
	v_div_fixup_f32 v209, v208, v206, v207
	v_fmac_f32_e32 v206, v207, v209
	s_delay_alu instid0(VALU_DEP_1) | instskip(NEXT) | instid1(VALU_DEP_1)
	v_div_scale_f32 v207, null, v206, v206, 1.0
	v_rcp_f32_e32 v208, v207
	v_nop
	s_delay_alu instid0(TRANS32_DEP_1) | instskip(NEXT) | instid1(VALU_DEP_1)
	v_fma_f32 v210, -v207, v208, 1.0
	v_fmac_f32_e32 v208, v210, v208
	v_div_scale_f32 v210, vcc_lo, 1.0, v206, 1.0
	s_delay_alu instid0(VALU_DEP_1) | instskip(NEXT) | instid1(VALU_DEP_1)
	v_mul_f32_e32 v211, v210, v208
	v_fma_f32 v215, -v207, v211, v210
	s_delay_alu instid0(VALU_DEP_1) | instskip(NEXT) | instid1(VALU_DEP_1)
	v_fmac_f32_e32 v211, v215, v208
	v_fma_f32 v207, -v207, v211, v210
	s_delay_alu instid0(VALU_DEP_1) | instskip(NEXT) | instid1(VALU_DEP_1)
	v_div_fmas_f32 v207, v207, v208, v211
	v_div_fixup_f32 v208, v207, v206, 1.0
	s_delay_alu instid0(VALU_DEP_1)
	v_mul_f32_e64 v209, v209, -v208
.LBB69_295:
	s_or_b32 exec_lo, exec_lo, s1
	ds_store_b64 v213, v[208:209]
.LBB69_296:
	s_or_b32 exec_lo, exec_lo, s2
	s_wait_dscnt 0x0
	s_barrier_signal -1
	s_barrier_wait -1
	ds_load_b64 v[206:207], v213
	s_mov_b32 s1, exec_lo
	v_cmpx_lt_u32_e32 32, v212
	s_cbranch_execz .LBB69_298
; %bb.297:
	ds_load_2addr_b64 v[208:211], v214 offset0:33 offset1:34
	s_wait_dscnt 0x1
	v_pk_mul_f32 v[216:217], v[206:207], v[130:131] op_sel:[1,1] op_sel_hi:[0,1]
	s_delay_alu instid0(VALU_DEP_1) | instskip(SKIP_3) | instid1(VALU_DEP_3)
	v_pk_fma_f32 v[218:219], v[206:207], v[130:131], v[216:217] op_sel_hi:[1,0,1]
	v_pk_fma_f32 v[130:131], v[206:207], v[130:131], v[216:217] op_sel_hi:[1,0,1] neg_lo:[0,0,1] neg_hi:[0,0,1]
	s_wait_dscnt 0x0
	v_dual_mov_b32 v220, v211 :: v_dual_mov_b32 v221, v210
	v_pk_mul_f32 v[216:217], v[208:209], v[218:219] op_sel:[0,1]
	s_delay_alu instid0(VALU_DEP_2) | instskip(NEXT) | instid1(VALU_DEP_2)
	v_pk_mul_f32 v[220:221], v[220:221], v[218:219] op_sel:[0,1]
	v_pk_fma_f32 v[222:223], v[208:209], v[130:131], v[216:217] op_sel:[0,0,1] op_sel_hi:[1,0,0]
	v_pk_fma_f32 v[208:209], v[208:209], v[130:131], v[216:217] op_sel:[0,0,1] op_sel_hi:[1,1,0] neg_lo:[0,0,1] neg_hi:[0,0,1]
	s_delay_alu instid0(VALU_DEP_3) | instskip(SKIP_1) | instid1(VALU_DEP_4)
	v_pk_fma_f32 v[224:225], v[210:211], v[130:131], v[220:221] op_sel_hi:[1,0,1]
	v_pk_fma_f32 v[210:211], v[210:211], v[130:131], v[220:221] neg_lo:[0,0,1] neg_hi:[0,0,1]
	v_dual_mov_b32 v209, v223 :: v_dual_mov_b32 v131, v219
	s_delay_alu instid0(VALU_DEP_3) | instskip(NEXT) | instid1(VALU_DEP_2)
	v_mov_b32_e32 v211, v225
	v_pk_add_f32 v[122:123], v[122:123], v[208:209] neg_lo:[0,1] neg_hi:[0,1]
	s_delay_alu instid0(VALU_DEP_2)
	v_pk_add_f32 v[140:141], v[140:141], v[210:211] neg_lo:[0,1] neg_hi:[0,1]
.LBB69_298:
	s_or_b32 exec_lo, exec_lo, s1
	s_delay_alu instid0(SALU_CYCLE_1)
	s_mov_b32 s2, exec_lo
	s_wait_dscnt 0x0
	s_barrier_signal -1
	s_barrier_wait -1
	v_cmpx_eq_u32_e32 33, v212
	s_cbranch_execz .LBB69_305
; %bb.299:
	ds_store_b64 v213, v[122:123]
	ds_store_b64 v214, v[140:141] offset:272
	ds_load_b64 v[208:209], v213
	s_wait_dscnt 0x0
	v_cmp_neq_f32_e32 vcc_lo, 0, v208
	v_cmp_neq_f32_e64 s1, 0, v209
	s_or_b32 s1, vcc_lo, s1
	s_delay_alu instid0(SALU_CYCLE_1)
	s_and_b32 exec_lo, exec_lo, s1
	s_cbranch_execz .LBB69_305
; %bb.300:
	v_cmp_ngt_f32_e64 s1, |v208|, |v209|
                                        ; implicit-def: $vgpr210_vgpr211
	s_and_saveexec_b32 s4, s1
	s_delay_alu instid0(SALU_CYCLE_1)
	s_xor_b32 s1, exec_lo, s4
	s_cbranch_execz .LBB69_302
; %bb.301:
	v_div_scale_f32 v210, null, v209, v209, v208
	v_div_scale_f32 v216, vcc_lo, v208, v209, v208
	s_delay_alu instid0(VALU_DEP_2) | instskip(SKIP_1) | instid1(TRANS32_DEP_1)
	v_rcp_f32_e32 v211, v210
	v_nop
	v_fma_f32 v215, -v210, v211, 1.0
	s_delay_alu instid0(VALU_DEP_1) | instskip(NEXT) | instid1(VALU_DEP_1)
	v_fmac_f32_e32 v211, v215, v211
	v_mul_f32_e32 v215, v216, v211
	s_delay_alu instid0(VALU_DEP_1) | instskip(NEXT) | instid1(VALU_DEP_1)
	v_fma_f32 v217, -v210, v215, v216
	v_fmac_f32_e32 v215, v217, v211
	s_delay_alu instid0(VALU_DEP_1) | instskip(NEXT) | instid1(VALU_DEP_1)
	v_fma_f32 v210, -v210, v215, v216
	v_div_fmas_f32 v210, v210, v211, v215
	s_delay_alu instid0(VALU_DEP_1) | instskip(NEXT) | instid1(VALU_DEP_1)
	v_div_fixup_f32 v210, v210, v209, v208
	v_fmac_f32_e32 v209, v208, v210
	s_delay_alu instid0(VALU_DEP_1) | instskip(SKIP_1) | instid1(VALU_DEP_2)
	v_div_scale_f32 v208, null, v209, v209, 1.0
	v_div_scale_f32 v216, vcc_lo, 1.0, v209, 1.0
	v_rcp_f32_e32 v211, v208
	v_nop
	s_delay_alu instid0(TRANS32_DEP_1) | instskip(NEXT) | instid1(VALU_DEP_1)
	v_fma_f32 v215, -v208, v211, 1.0
	v_fmac_f32_e32 v211, v215, v211
	s_delay_alu instid0(VALU_DEP_1) | instskip(NEXT) | instid1(VALU_DEP_1)
	v_mul_f32_e32 v215, v216, v211
	v_fma_f32 v217, -v208, v215, v216
	s_delay_alu instid0(VALU_DEP_1) | instskip(NEXT) | instid1(VALU_DEP_1)
	v_fmac_f32_e32 v215, v217, v211
	v_fma_f32 v208, -v208, v215, v216
	s_delay_alu instid0(VALU_DEP_1) | instskip(NEXT) | instid1(VALU_DEP_1)
	v_div_fmas_f32 v208, v208, v211, v215
	v_div_fixup_f32 v208, v208, v209, 1.0
	s_delay_alu instid0(VALU_DEP_1)
	v_mul_f32_e32 v210, v210, v208
	v_xor_b32_e32 v211, 0x80000000, v208
                                        ; implicit-def: $vgpr208_vgpr209
.LBB69_302:
	s_and_not1_saveexec_b32 s1, s1
	s_cbranch_execz .LBB69_304
; %bb.303:
	v_div_scale_f32 v210, null, v208, v208, v209
	v_div_scale_f32 v216, vcc_lo, v209, v208, v209
	s_delay_alu instid0(VALU_DEP_2) | instskip(SKIP_1) | instid1(TRANS32_DEP_1)
	v_rcp_f32_e32 v211, v210
	v_nop
	v_fma_f32 v215, -v210, v211, 1.0
	s_delay_alu instid0(VALU_DEP_1) | instskip(NEXT) | instid1(VALU_DEP_1)
	v_fmac_f32_e32 v211, v215, v211
	v_mul_f32_e32 v215, v216, v211
	s_delay_alu instid0(VALU_DEP_1) | instskip(NEXT) | instid1(VALU_DEP_1)
	v_fma_f32 v217, -v210, v215, v216
	v_fmac_f32_e32 v215, v217, v211
	s_delay_alu instid0(VALU_DEP_1) | instskip(NEXT) | instid1(VALU_DEP_1)
	v_fma_f32 v210, -v210, v215, v216
	v_div_fmas_f32 v210, v210, v211, v215
	s_delay_alu instid0(VALU_DEP_1) | instskip(NEXT) | instid1(VALU_DEP_1)
	v_div_fixup_f32 v211, v210, v208, v209
	v_fmac_f32_e32 v208, v209, v211
	s_delay_alu instid0(VALU_DEP_1) | instskip(NEXT) | instid1(VALU_DEP_1)
	v_div_scale_f32 v209, null, v208, v208, 1.0
	v_rcp_f32_e32 v210, v209
	v_nop
	s_delay_alu instid0(TRANS32_DEP_1) | instskip(NEXT) | instid1(VALU_DEP_1)
	v_fma_f32 v215, -v209, v210, 1.0
	v_fmac_f32_e32 v210, v215, v210
	v_div_scale_f32 v215, vcc_lo, 1.0, v208, 1.0
	s_delay_alu instid0(VALU_DEP_1) | instskip(NEXT) | instid1(VALU_DEP_1)
	v_mul_f32_e32 v216, v215, v210
	v_fma_f32 v217, -v209, v216, v215
	s_delay_alu instid0(VALU_DEP_1) | instskip(NEXT) | instid1(VALU_DEP_1)
	v_fmac_f32_e32 v216, v217, v210
	v_fma_f32 v209, -v209, v216, v215
	s_delay_alu instid0(VALU_DEP_1) | instskip(NEXT) | instid1(VALU_DEP_1)
	v_div_fmas_f32 v209, v209, v210, v216
	v_div_fixup_f32 v210, v209, v208, 1.0
	s_delay_alu instid0(VALU_DEP_1)
	v_mul_f32_e64 v211, v211, -v210
.LBB69_304:
	s_or_b32 exec_lo, exec_lo, s1
	ds_store_b64 v213, v[210:211]
.LBB69_305:
	s_or_b32 exec_lo, exec_lo, s2
	s_wait_dscnt 0x0
	s_barrier_signal -1
	s_barrier_wait -1
	ds_load_b64 v[208:209], v213
	s_mov_b32 s1, exec_lo
	v_cmpx_lt_u32_e32 33, v212
	s_cbranch_execz .LBB69_307
; %bb.306:
	ds_load_b64 v[210:211], v214 offset:272
	s_wait_dscnt 0x1
	v_pk_mul_f32 v[214:215], v[208:209], v[122:123] op_sel:[1,1] op_sel_hi:[0,1]
	s_delay_alu instid0(VALU_DEP_1) | instskip(SKIP_2) | instid1(VALU_DEP_2)
	v_pk_fma_f32 v[216:217], v[208:209], v[122:123], v[214:215] op_sel_hi:[1,0,1]
	v_pk_fma_f32 v[122:123], v[208:209], v[122:123], v[214:215] op_sel_hi:[1,0,1] neg_lo:[0,0,1] neg_hi:[0,0,1]
	s_wait_dscnt 0x0
	v_pk_mul_f32 v[214:215], v[210:211], v[216:217] op_sel:[1,1] op_sel_hi:[0,1]
	s_delay_alu instid0(VALU_DEP_1) | instskip(SKIP_1) | instid1(VALU_DEP_2)
	v_pk_fma_f32 v[218:219], v[210:211], v[122:123], v[214:215] op_sel_hi:[1,0,1]
	v_pk_fma_f32 v[210:211], v[210:211], v[122:123], v[214:215] neg_lo:[0,0,1] neg_hi:[0,0,1]
	v_dual_mov_b32 v123, v217 :: v_dual_mov_b32 v211, v219
	s_delay_alu instid0(VALU_DEP_1)
	v_pk_add_f32 v[140:141], v[140:141], v[210:211] neg_lo:[0,1] neg_hi:[0,1]
.LBB69_307:
	s_or_b32 exec_lo, exec_lo, s1
	s_delay_alu instid0(SALU_CYCLE_1)
	s_mov_b32 s2, exec_lo
	s_wait_dscnt 0x0
	s_barrier_signal -1
	s_barrier_wait -1
	v_cmpx_eq_u32_e32 34, v212
	s_cbranch_execz .LBB69_314
; %bb.308:
	v_cmp_neq_f32_e32 vcc_lo, 0, v140
	v_cmp_neq_f32_e64 s1, 0, v141
	ds_store_b64 v213, v[140:141]
	s_or_b32 s1, vcc_lo, s1
	s_delay_alu instid0(SALU_CYCLE_1)
	s_and_b32 exec_lo, exec_lo, s1
	s_cbranch_execz .LBB69_314
; %bb.309:
	v_cmp_ngt_f32_e64 s1, |v140|, |v141|
                                        ; implicit-def: $vgpr210_vgpr211
	s_and_saveexec_b32 s4, s1
	s_delay_alu instid0(SALU_CYCLE_1)
	s_xor_b32 s1, exec_lo, s4
	s_cbranch_execz .LBB69_311
; %bb.310:
	v_div_scale_f32 v210, null, v141, v141, v140
	v_div_scale_f32 v215, vcc_lo, v140, v141, v140
	s_delay_alu instid0(VALU_DEP_2) | instskip(SKIP_1) | instid1(TRANS32_DEP_1)
	v_rcp_f32_e32 v211, v210
	v_nop
	v_fma_f32 v214, -v210, v211, 1.0
	s_delay_alu instid0(VALU_DEP_1) | instskip(NEXT) | instid1(VALU_DEP_1)
	v_fmac_f32_e32 v211, v214, v211
	v_mul_f32_e32 v214, v215, v211
	s_delay_alu instid0(VALU_DEP_1) | instskip(NEXT) | instid1(VALU_DEP_1)
	v_fma_f32 v216, -v210, v214, v215
	v_fmac_f32_e32 v214, v216, v211
	s_delay_alu instid0(VALU_DEP_1) | instskip(NEXT) | instid1(VALU_DEP_1)
	v_fma_f32 v210, -v210, v214, v215
	v_div_fmas_f32 v210, v210, v211, v214
	s_delay_alu instid0(VALU_DEP_1) | instskip(NEXT) | instid1(VALU_DEP_1)
	v_div_fixup_f32 v210, v210, v141, v140
	v_fma_f32 v211, v140, v210, v141
	s_delay_alu instid0(VALU_DEP_1) | instskip(SKIP_1) | instid1(VALU_DEP_2)
	v_div_scale_f32 v214, null, v211, v211, 1.0
	v_div_scale_f32 v217, vcc_lo, 1.0, v211, 1.0
	v_rcp_f32_e32 v215, v214
	v_nop
	s_delay_alu instid0(TRANS32_DEP_1) | instskip(NEXT) | instid1(VALU_DEP_1)
	v_fma_f32 v216, -v214, v215, 1.0
	v_fmac_f32_e32 v215, v216, v215
	s_delay_alu instid0(VALU_DEP_1) | instskip(NEXT) | instid1(VALU_DEP_1)
	v_mul_f32_e32 v216, v217, v215
	v_fma_f32 v218, -v214, v216, v217
	s_delay_alu instid0(VALU_DEP_1) | instskip(NEXT) | instid1(VALU_DEP_1)
	v_fmac_f32_e32 v216, v218, v215
	v_fma_f32 v214, -v214, v216, v217
	s_delay_alu instid0(VALU_DEP_1) | instskip(NEXT) | instid1(VALU_DEP_1)
	v_div_fmas_f32 v214, v214, v215, v216
	v_div_fixup_f32 v211, v214, v211, 1.0
	s_delay_alu instid0(VALU_DEP_1)
	v_mul_f32_e32 v210, v210, v211
	v_xor_b32_e32 v211, 0x80000000, v211
.LBB69_311:
	s_and_not1_saveexec_b32 s1, s1
	s_cbranch_execz .LBB69_313
; %bb.312:
	v_div_scale_f32 v210, null, v140, v140, v141
	v_div_scale_f32 v215, vcc_lo, v141, v140, v141
	s_delay_alu instid0(VALU_DEP_2) | instskip(SKIP_1) | instid1(TRANS32_DEP_1)
	v_rcp_f32_e32 v211, v210
	v_nop
	v_fma_f32 v214, -v210, v211, 1.0
	s_delay_alu instid0(VALU_DEP_1) | instskip(NEXT) | instid1(VALU_DEP_1)
	v_fmac_f32_e32 v211, v214, v211
	v_mul_f32_e32 v214, v215, v211
	s_delay_alu instid0(VALU_DEP_1) | instskip(NEXT) | instid1(VALU_DEP_1)
	v_fma_f32 v216, -v210, v214, v215
	v_fmac_f32_e32 v214, v216, v211
	s_delay_alu instid0(VALU_DEP_1) | instskip(NEXT) | instid1(VALU_DEP_1)
	v_fma_f32 v210, -v210, v214, v215
	v_div_fmas_f32 v210, v210, v211, v214
	s_delay_alu instid0(VALU_DEP_1) | instskip(NEXT) | instid1(VALU_DEP_1)
	v_div_fixup_f32 v211, v210, v140, v141
	v_fma_f32 v210, v141, v211, v140
	s_delay_alu instid0(VALU_DEP_1) | instskip(NEXT) | instid1(VALU_DEP_1)
	v_div_scale_f32 v214, null, v210, v210, 1.0
	v_rcp_f32_e32 v215, v214
	v_nop
	s_delay_alu instid0(TRANS32_DEP_1) | instskip(NEXT) | instid1(VALU_DEP_1)
	v_fma_f32 v216, -v214, v215, 1.0
	v_fmac_f32_e32 v215, v216, v215
	v_div_scale_f32 v216, vcc_lo, 1.0, v210, 1.0
	s_delay_alu instid0(VALU_DEP_1) | instskip(NEXT) | instid1(VALU_DEP_1)
	v_mul_f32_e32 v217, v216, v215
	v_fma_f32 v218, -v214, v217, v216
	s_delay_alu instid0(VALU_DEP_1) | instskip(NEXT) | instid1(VALU_DEP_1)
	v_fmac_f32_e32 v217, v218, v215
	v_fma_f32 v214, -v214, v217, v216
	s_delay_alu instid0(VALU_DEP_1) | instskip(NEXT) | instid1(VALU_DEP_1)
	v_div_fmas_f32 v214, v214, v215, v217
	v_div_fixup_f32 v210, v214, v210, 1.0
	s_delay_alu instid0(VALU_DEP_1)
	v_mul_f32_e64 v211, v211, -v210
.LBB69_313:
	s_or_b32 exec_lo, exec_lo, s1
	ds_store_b64 v213, v[210:211]
.LBB69_314:
	s_or_b32 exec_lo, exec_lo, s2
	s_wait_dscnt 0x0
	s_barrier_signal -1
	s_barrier_wait -1
	ds_load_b64 v[210:211], v213
	s_wait_dscnt 0x0
	s_barrier_signal -1
	s_barrier_wait -1
	s_and_saveexec_b32 s4, s0
	s_cbranch_execz .LBB69_317
; %bb.315:
	v_cmp_eq_f32_e32 vcc_lo, 0, v142
	v_cmp_eq_f32_e64 s0, 0, v143
	v_cmp_neq_f32_e64 s1, 0, v144
	v_cmp_neq_f32_e64 s2, 0, v145
	v_lshl_add_u64 v[2:3], v[2:3], 2, s[6:7]
	s_and_b32 s0, vcc_lo, s0
	s_delay_alu instid0(SALU_CYCLE_1)
	v_cndmask_b32_e64 v142, 0, 1, s0
	s_or_b32 s1, s1, s2
	global_load_b32 v143, v[2:3], off
	s_or_b32 vcc_lo, s1, s0
	v_cmp_eq_f32_e64 s0, 0, v147
	v_cndmask_b32_e32 v142, 2, v142, vcc_lo
	v_cmp_eq_f32_e32 vcc_lo, 0, v146
	s_delay_alu instid0(VALU_DEP_2) | instskip(SKIP_3) | instid1(SALU_CYCLE_1)
	v_cmp_eq_u32_e64 s1, 0, v142
	s_and_b32 s0, vcc_lo, s0
	v_cmp_eq_f32_e32 vcc_lo, 0, v148
	s_and_b32 s0, s0, s1
	v_cndmask_b32_e64 v142, v142, 3, s0
	v_cmp_eq_f32_e64 s0, 0, v149
	s_delay_alu instid0(VALU_DEP_2) | instskip(SKIP_3) | instid1(SALU_CYCLE_1)
	v_cmp_eq_u32_e64 s1, 0, v142
	s_and_b32 s0, vcc_lo, s0
	v_cmp_eq_f32_e32 vcc_lo, 0, v150
	s_and_b32 s0, s0, s1
	v_cndmask_b32_e64 v142, v142, 4, s0
	v_cmp_eq_f32_e64 s0, 0, v151
	;; [unrolled: 7-line block ×32, first 2 shown]
	s_delay_alu instid0(VALU_DEP_2) | instskip(SKIP_4) | instid1(SALU_CYCLE_1)
	v_cmp_eq_u32_e64 s1, 0, v142
	s_and_b32 s0, vcc_lo, s0
	s_wait_loadcnt 0x0
	v_cmp_eq_u32_e32 vcc_lo, 0, v143
	s_and_b32 s0, s0, s1
	v_cndmask_b32_e64 v142, v142, 35, s0
	s_delay_alu instid0(VALU_DEP_1) | instskip(SKIP_1) | instid1(SALU_CYCLE_1)
	v_cmp_ne_u32_e64 s0, 0, v142
	s_and_b32 s0, vcc_lo, s0
	s_and_b32 exec_lo, exec_lo, s0
	s_cbranch_execz .LBB69_317
; %bb.316:
	v_add_nc_u32_e32 v142, s3, v142
	global_store_b32 v[2:3], v142, off
.LBB69_317:
	s_wait_xcnt 0x0
	s_or_b32 exec_lo, exec_lo, s4
	v_pk_mul_f32 v[2:3], v[210:211], v[140:141] op_sel:[1,1] op_sel_hi:[0,1]
	s_clause 0x1
	global_store_b64 v[18:19], v[54:55], off
	global_store_b64 v[34:35], v[86:87], off
	v_cmp_lt_u32_e32 vcc_lo, 34, v212
	s_clause 0x2
	global_store_b64 v[6:7], v[82:83], off
	global_store_b64 v[12:13], v[46:47], off
	;; [unrolled: 1-line block ×3, first 2 shown]
	s_wait_xcnt 0x4
	v_pk_fma_f32 v[18:19], v[210:211], v[140:141], v[2:3] op_sel_hi:[1,0,1]
	v_pk_fma_f32 v[2:3], v[210:211], v[140:141], v[2:3] neg_lo:[0,0,1] neg_hi:[0,0,1]
	s_delay_alu instid0(VALU_DEP_1)
	v_dual_cndmask_b32 v3, v141, v19 :: v_dual_cndmask_b32 v2, v140, v2
	s_clause 0x1d
	global_store_b64 v[0:1], v[24:25], off
	global_store_b64 v[4:5], v[26:27], off
	;; [unrolled: 1-line block ×30, first 2 shown]
.LBB69_318:
	s_sendmsg sendmsg(MSG_DEALLOC_VGPRS)
	s_endpgm
	.section	.rodata,"a",@progbits
	.p2align	6, 0x0
	.amdhsa_kernel _ZN9rocsolver6v33100L23getf2_npvt_small_kernelILi35E19rocblas_complex_numIfEiiPS3_EEvT1_T3_lS5_lPT2_S5_S5_
		.amdhsa_group_segment_fixed_size 0
		.amdhsa_private_segment_fixed_size 0
		.amdhsa_kernarg_size 312
		.amdhsa_user_sgpr_count 2
		.amdhsa_user_sgpr_dispatch_ptr 0
		.amdhsa_user_sgpr_queue_ptr 0
		.amdhsa_user_sgpr_kernarg_segment_ptr 1
		.amdhsa_user_sgpr_dispatch_id 0
		.amdhsa_user_sgpr_kernarg_preload_length 0
		.amdhsa_user_sgpr_kernarg_preload_offset 0
		.amdhsa_user_sgpr_private_segment_size 0
		.amdhsa_wavefront_size32 1
		.amdhsa_uses_dynamic_stack 0
		.amdhsa_enable_private_segment 0
		.amdhsa_system_sgpr_workgroup_id_x 1
		.amdhsa_system_sgpr_workgroup_id_y 1
		.amdhsa_system_sgpr_workgroup_id_z 0
		.amdhsa_system_sgpr_workgroup_info 0
		.amdhsa_system_vgpr_workitem_id 1
		.amdhsa_next_free_vgpr 240
		.amdhsa_next_free_sgpr 15
		.amdhsa_named_barrier_count 0
		.amdhsa_reserve_vcc 1
		.amdhsa_float_round_mode_32 0
		.amdhsa_float_round_mode_16_64 0
		.amdhsa_float_denorm_mode_32 3
		.amdhsa_float_denorm_mode_16_64 3
		.amdhsa_fp16_overflow 0
		.amdhsa_memory_ordered 1
		.amdhsa_forward_progress 1
		.amdhsa_inst_pref_size 255
		.amdhsa_round_robin_scheduling 0
		.amdhsa_exception_fp_ieee_invalid_op 0
		.amdhsa_exception_fp_denorm_src 0
		.amdhsa_exception_fp_ieee_div_zero 0
		.amdhsa_exception_fp_ieee_overflow 0
		.amdhsa_exception_fp_ieee_underflow 0
		.amdhsa_exception_fp_ieee_inexact 0
		.amdhsa_exception_int_div_zero 0
	.end_amdhsa_kernel
	.section	.text._ZN9rocsolver6v33100L23getf2_npvt_small_kernelILi35E19rocblas_complex_numIfEiiPS3_EEvT1_T3_lS5_lPT2_S5_S5_,"axG",@progbits,_ZN9rocsolver6v33100L23getf2_npvt_small_kernelILi35E19rocblas_complex_numIfEiiPS3_EEvT1_T3_lS5_lPT2_S5_S5_,comdat
.Lfunc_end69:
	.size	_ZN9rocsolver6v33100L23getf2_npvt_small_kernelILi35E19rocblas_complex_numIfEiiPS3_EEvT1_T3_lS5_lPT2_S5_S5_, .Lfunc_end69-_ZN9rocsolver6v33100L23getf2_npvt_small_kernelILi35E19rocblas_complex_numIfEiiPS3_EEvT1_T3_lS5_lPT2_S5_S5_
                                        ; -- End function
	.set _ZN9rocsolver6v33100L23getf2_npvt_small_kernelILi35E19rocblas_complex_numIfEiiPS3_EEvT1_T3_lS5_lPT2_S5_S5_.num_vgpr, 240
	.set _ZN9rocsolver6v33100L23getf2_npvt_small_kernelILi35E19rocblas_complex_numIfEiiPS3_EEvT1_T3_lS5_lPT2_S5_S5_.num_agpr, 0
	.set _ZN9rocsolver6v33100L23getf2_npvt_small_kernelILi35E19rocblas_complex_numIfEiiPS3_EEvT1_T3_lS5_lPT2_S5_S5_.numbered_sgpr, 15
	.set _ZN9rocsolver6v33100L23getf2_npvt_small_kernelILi35E19rocblas_complex_numIfEiiPS3_EEvT1_T3_lS5_lPT2_S5_S5_.num_named_barrier, 0
	.set _ZN9rocsolver6v33100L23getf2_npvt_small_kernelILi35E19rocblas_complex_numIfEiiPS3_EEvT1_T3_lS5_lPT2_S5_S5_.private_seg_size, 0
	.set _ZN9rocsolver6v33100L23getf2_npvt_small_kernelILi35E19rocblas_complex_numIfEiiPS3_EEvT1_T3_lS5_lPT2_S5_S5_.uses_vcc, 1
	.set _ZN9rocsolver6v33100L23getf2_npvt_small_kernelILi35E19rocblas_complex_numIfEiiPS3_EEvT1_T3_lS5_lPT2_S5_S5_.uses_flat_scratch, 0
	.set _ZN9rocsolver6v33100L23getf2_npvt_small_kernelILi35E19rocblas_complex_numIfEiiPS3_EEvT1_T3_lS5_lPT2_S5_S5_.has_dyn_sized_stack, 0
	.set _ZN9rocsolver6v33100L23getf2_npvt_small_kernelILi35E19rocblas_complex_numIfEiiPS3_EEvT1_T3_lS5_lPT2_S5_S5_.has_recursion, 0
	.set _ZN9rocsolver6v33100L23getf2_npvt_small_kernelILi35E19rocblas_complex_numIfEiiPS3_EEvT1_T3_lS5_lPT2_S5_S5_.has_indirect_call, 0
	.section	.AMDGPU.csdata,"",@progbits
; Kernel info:
; codeLenInByte = 58236
; TotalNumSgprs: 17
; NumVgprs: 240
; ScratchSize: 0
; MemoryBound: 0
; FloatMode: 240
; IeeeMode: 1
; LDSByteSize: 0 bytes/workgroup (compile time only)
; SGPRBlocks: 0
; VGPRBlocks: 14
; NumSGPRsForWavesPerEU: 17
; NumVGPRsForWavesPerEU: 240
; NamedBarCnt: 0
; Occupancy: 4
; WaveLimiterHint : 0
; COMPUTE_PGM_RSRC2:SCRATCH_EN: 0
; COMPUTE_PGM_RSRC2:USER_SGPR: 2
; COMPUTE_PGM_RSRC2:TRAP_HANDLER: 0
; COMPUTE_PGM_RSRC2:TGID_X_EN: 1
; COMPUTE_PGM_RSRC2:TGID_Y_EN: 1
; COMPUTE_PGM_RSRC2:TGID_Z_EN: 0
; COMPUTE_PGM_RSRC2:TIDIG_COMP_CNT: 1
	.section	.text._ZN9rocsolver6v33100L18getf2_small_kernelILi36E19rocblas_complex_numIfEiiPS3_EEvT1_T3_lS5_lPS5_llPT2_S5_S5_S7_l,"axG",@progbits,_ZN9rocsolver6v33100L18getf2_small_kernelILi36E19rocblas_complex_numIfEiiPS3_EEvT1_T3_lS5_lPS5_llPT2_S5_S5_S7_l,comdat
	.globl	_ZN9rocsolver6v33100L18getf2_small_kernelILi36E19rocblas_complex_numIfEiiPS3_EEvT1_T3_lS5_lPS5_llPT2_S5_S5_S7_l ; -- Begin function _ZN9rocsolver6v33100L18getf2_small_kernelILi36E19rocblas_complex_numIfEiiPS3_EEvT1_T3_lS5_lPS5_llPT2_S5_S5_S7_l
	.p2align	8
	.type	_ZN9rocsolver6v33100L18getf2_small_kernelILi36E19rocblas_complex_numIfEiiPS3_EEvT1_T3_lS5_lPS5_llPT2_S5_S5_S7_l,@function
_ZN9rocsolver6v33100L18getf2_small_kernelILi36E19rocblas_complex_numIfEiiPS3_EEvT1_T3_lS5_lPS5_llPT2_S5_S5_S7_l: ; @_ZN9rocsolver6v33100L18getf2_small_kernelILi36E19rocblas_complex_numIfEiiPS3_EEvT1_T3_lS5_lPS5_llPT2_S5_S5_S7_l
; %bb.0:
	s_clause 0x1
	s_load_u16 s2, s[0:1], 0x6e
	s_load_b64 s[16:17], s[0:1], 0x48
	s_bfe_u32 s3, ttmp6, 0x40010
	s_bfe_u32 s4, ttmp6, 0x40004
	s_add_co_i32 s3, s3, 1
	s_getreg_b32 s5, hwreg(HW_REG_IB_STS2, 6, 4)
	s_mul_i32 s3, ttmp7, s3
	v_bfe_u32 v80, v0, 10, 10
	s_add_co_i32 s4, s4, s3
	s_cmp_eq_u32 s5, 0
	s_cselect_b32 s3, ttmp7, s4
	s_wait_kmcnt 0x0
	v_mad_u32 v2, s3, s2, v80
	s_mov_b32 s2, exec_lo
	s_delay_alu instid0(VALU_DEP_1)
	v_cmpx_gt_i32_e64 s16, v2
	s_cbranch_execz .LBB70_757
; %bb.1:
	s_load_b128 s[4:7], s[0:1], 0x50
	v_mov_b64_e32 v[4:5], 0
	v_ashrrev_i32_e32 v3, 31, v2
	s_wait_kmcnt 0x0
	s_cmp_eq_u64 s[4:5], 0
	s_cselect_b32 s16, -1, 0
	s_delay_alu instid0(SALU_CYCLE_1)
	s_and_b32 vcc_lo, exec_lo, s16
	s_cbranch_vccnz .LBB70_3
; %bb.2:
	v_mul_u64_e32 v[4:5], s[6:7], v[2:3]
	s_delay_alu instid0(VALU_DEP_1)
	v_lshl_add_u64 v[4:5], v[4:5], 2, s[4:5]
.LBB70_3:
	s_clause 0x2
	s_load_b32 s2, s[0:1], 0x18
	s_load_b128 s[12:15], s[0:1], 0x8
	s_load_b32 s18, s[0:1], 0x0
	v_and_b32_e32 v85, 0x3ff, v0
	s_load_b256 s[4:11], s[0:1], 0x20
	s_delay_alu instid0(VALU_DEP_1) | instskip(SKIP_4) | instid1(VALU_DEP_2)
	v_dual_mov_b32 v79, 0 :: v_dual_lshlrev_b32 v78, 3, v85
	s_wait_kmcnt 0x0
	v_add3_u32 v6, s2, s2, v85
	s_ashr_i32 s3, s2, 31
	v_mul_u64_e32 v[0:1], s[4:5], v[2:3]
	v_add_nc_u32_e32 v8, s2, v6
	s_max_i32 s4, s18, 36
	s_cmp_lt_i32 s18, 2
	s_delay_alu instid0(VALU_DEP_1) | instskip(NEXT) | instid1(VALU_DEP_1)
	v_add_nc_u32_e32 v10, s2, v8
	v_add_nc_u32_e32 v12, s2, v10
	s_delay_alu instid0(VALU_DEP_1) | instskip(NEXT) | instid1(VALU_DEP_1)
	v_add_nc_u32_e32 v14, s2, v12
	v_dual_ashrrev_i32 v9, 31, v8 :: v_dual_add_nc_u32 v16, s2, v14
	s_delay_alu instid0(VALU_DEP_1) | instskip(SKIP_1) | instid1(VALU_DEP_1)
	v_dual_ashrrev_i32 v15, 31, v14 :: v_dual_ashrrev_i32 v17, 31, v16
	v_dual_add_nc_u32 v18, s2, v16 :: v_dual_ashrrev_i32 v11, 31, v10
	v_dual_ashrrev_i32 v13, 31, v12 :: v_dual_add_nc_u32 v20, s2, v18
	v_lshl_add_u64 v[0:1], v[0:1], 3, s[12:13]
	s_delay_alu instid0(VALU_DEP_2) | instskip(NEXT) | instid1(VALU_DEP_2)
	v_dual_ashrrev_i32 v19, 31, v18 :: v_dual_add_nc_u32 v22, s2, v20
	v_lshl_add_u64 v[0:1], s[14:15], 3, v[0:1]
	s_delay_alu instid0(VALU_DEP_2) | instskip(NEXT) | instid1(VALU_DEP_2)
	v_add_nc_u32_e32 v24, s2, v22
	v_add_nc_u64_e32 v[44:45], v[0:1], v[78:79]
	v_lshl_add_u64 v[10:11], v[10:11], 3, v[0:1]
	v_lshl_add_u64 v[12:13], v[12:13], 3, v[0:1]
	;; [unrolled: 1-line block ×3, first 2 shown]
	v_add_nc_u32_e32 v26, s2, v24
	v_lshl_add_u64 v[46:47], v[8:9], 3, v[0:1]
	v_lshl_add_u64 v[16:17], v[16:17], 3, v[0:1]
	s_clause 0x3
	global_load_b64 v[42:43], v[10:11], off
	global_load_b64 v[34:35], v[12:13], off
	;; [unrolled: 1-line block ×4, first 2 shown]
	v_add_nc_u32_e32 v28, s2, v26
	s_wait_xcnt 0x3
	v_lshl_add_u64 v[10:11], s[2:3], 3, v[44:45]
	v_lshl_add_u64 v[18:19], v[18:19], 3, v[0:1]
	s_delay_alu instid0(VALU_DEP_3) | instskip(SKIP_1) | instid1(VALU_DEP_2)
	v_add_nc_u32_e32 v30, s2, v28
	v_ashrrev_i32_e32 v25, 31, v24
	v_dual_ashrrev_i32 v29, 31, v28 :: v_dual_add_nc_u32 v32, s2, v30
	v_ashrrev_i32_e32 v7, 31, v6
	s_wait_xcnt 0x0
	s_delay_alu instid0(VALU_DEP_2) | instskip(NEXT) | instid1(VALU_DEP_3)
	v_lshl_add_u64 v[16:17], v[28:29], 3, v[0:1]
	v_add_nc_u32_e32 v36, s2, v32
	s_delay_alu instid0(VALU_DEP_3)
	v_lshl_add_u64 v[6:7], v[6:7], 3, v[0:1]
	s_clause 0x3
	global_load_b64 v[70:71], v[6:7], off
	global_load_b64 v[68:69], v[46:47], off
	global_load_b64 v[72:73], v[44:45], off
	global_load_b64 v[74:75], v[10:11], off
	v_add_nc_u32_e32 v38, s2, v36
	v_ashrrev_i32_e32 v21, 31, v20
	s_wait_xcnt 0x3
	v_lshl_add_u64 v[6:7], v[24:25], 3, v[0:1]
	v_dual_ashrrev_i32 v31, 31, v30 :: v_dual_ashrrev_i32 v37, 31, v36
	v_add_nc_u32_e32 v50, s2, v38
	v_lshl_add_u64 v[20:21], v[20:21], 3, v[0:1]
	s_delay_alu instid0(VALU_DEP_2) | instskip(SKIP_2) | instid1(VALU_DEP_3)
	v_dual_ashrrev_i32 v33, 31, v32 :: v_dual_add_nc_u32 v52, s2, v50
	v_ashrrev_i32_e32 v23, 31, v22
	v_ashrrev_i32_e32 v51, 31, v50
	v_lshl_add_u64 v[24:25], v[32:33], 3, v[0:1]
	s_delay_alu instid0(VALU_DEP_4) | instskip(NEXT) | instid1(VALU_DEP_4)
	v_add_nc_u32_e32 v54, s2, v52
	v_lshl_add_u64 v[14:15], v[22:23], 3, v[0:1]
	s_clause 0x3
	global_load_b64 v[48:49], v[18:19], off
	global_load_b64 v[44:45], v[20:21], off
	;; [unrolled: 1-line block ×4, first 2 shown]
	v_add_nc_u32_e32 v76, s2, v54
	v_dual_ashrrev_i32 v27, 31, v26 :: v_dual_ashrrev_i32 v53, 31, v52
	s_wait_xcnt 0x2
	v_lshl_add_u64 v[20:21], v[30:31], 3, v[0:1]
	s_delay_alu instid0(VALU_DEP_3)
	v_dual_ashrrev_i32 v39, 31, v38 :: v_dual_ashrrev_i32 v77, 31, v76
	v_add_nc_u32_e32 v10, s2, v76
	s_wait_xcnt 0x1
	v_lshl_add_u64 v[14:15], v[26:27], 3, v[0:1]
	v_lshl_add_u64 v[30:31], v[50:51], 3, v[0:1]
	;; [unrolled: 1-line block ×3, first 2 shown]
	s_clause 0x3
	global_load_b64 v[66:67], v[14:15], off
	global_load_b64 v[62:63], v[16:17], off
	;; [unrolled: 1-line block ×4, first 2 shown]
	s_wait_xcnt 0x4
	v_add_nc_u32_e32 v6, s2, v10
	s_wait_xcnt 0x3
	v_lshl_add_u64 v[14:15], v[36:37], 3, v[0:1]
	v_lshl_add_u64 v[32:33], v[52:53], 3, v[0:1]
	s_clause 0x3
	global_load_b64 v[60:61], v[14:15], off
	global_load_b64 v[56:57], v[28:29], off
	;; [unrolled: 1-line block ×4, first 2 shown]
	v_add_nc_u32_e32 v18, s2, v6
	s_wait_xcnt 0x0
	v_lshl_add_u64 v[32:33], v[76:77], 3, v[0:1]
	s_delay_alu instid0(VALU_DEP_2) | instskip(NEXT) | instid1(VALU_DEP_1)
	v_add_nc_u32_e32 v26, s2, v18
	v_add_nc_u32_e32 v20, s2, v26
	s_delay_alu instid0(VALU_DEP_1) | instskip(NEXT) | instid1(VALU_DEP_1)
	v_dual_add_nc_u32 v24, s2, v20 :: v_dual_ashrrev_i32 v11, 31, v10
	v_dual_ashrrev_i32 v25, 31, v24 :: v_dual_add_nc_u32 v82, s2, v24
	v_dual_ashrrev_i32 v55, 31, v54 :: v_dual_ashrrev_i32 v21, 31, v20
	s_delay_alu instid0(VALU_DEP_3) | instskip(NEXT) | instid1(VALU_DEP_3)
	v_lshl_add_u64 v[10:11], v[10:11], 3, v[0:1]
	v_lshl_add_u64 v[24:25], v[24:25], 3, v[0:1]
	s_delay_alu instid0(VALU_DEP_4) | instskip(SKIP_3) | instid1(VALU_DEP_4)
	v_add_nc_u32_e32 v28, s2, v82
	v_ashrrev_i32_e32 v7, 31, v6
	v_lshl_add_u64 v[30:31], v[54:55], 3, v[0:1]
	v_lshl_add_u64 v[20:21], v[20:21], 3, v[0:1]
	v_add_nc_u32_e32 v86, s2, v28
	s_delay_alu instid0(VALU_DEP_4)
	v_lshl_add_u64 v[6:7], v[6:7], 3, v[0:1]
	s_clause 0x3
	global_load_b64 v[54:55], v[30:31], off
	global_load_b64 v[50:51], v[32:33], off
	;; [unrolled: 1-line block ×4, first 2 shown]
	v_dual_add_nc_u32 v76, s2, v86 :: v_dual_ashrrev_i32 v87, 31, v86
	s_delay_alu instid0(VALU_DEP_1) | instskip(SKIP_2) | instid1(VALU_DEP_2)
	v_dual_ashrrev_i32 v27, 31, v26 :: v_dual_ashrrev_i32 v77, 31, v76
	s_wait_xcnt 0x1
	v_add_nc_u32_e32 v10, s2, v76
	v_lshl_add_u64 v[26:27], v[26:27], 3, v[0:1]
	v_ashrrev_i32_e32 v29, 31, v28
	v_lshl_add_u64 v[86:87], v[86:87], 3, v[0:1]
	v_lshl_add_u64 v[92:93], v[76:77], 3, v[0:1]
	v_dual_add_nc_u32 v30, s2, v10 :: v_dual_ashrrev_i32 v11, 31, v10
	s_delay_alu instid0(VALU_DEP_4) | instskip(NEXT) | instid1(VALU_DEP_2)
	v_lshl_add_u64 v[90:91], v[28:29], 3, v[0:1]
	v_dual_add_nc_u32 v88, s2, v30 :: v_dual_ashrrev_i32 v31, 31, v30
	v_ashrrev_i32_e32 v19, 31, v18
	v_ashrrev_i32_e32 v83, 31, v82
	v_lshl_add_u64 v[94:95], v[10:11], 3, v[0:1]
	s_delay_alu instid0(VALU_DEP_4)
	v_ashrrev_i32_e32 v89, 31, v88
	v_lshl_add_u64 v[96:97], v[30:31], 3, v[0:1]
	v_lshl_add_u64 v[18:19], v[18:19], 3, v[0:1]
	s_clause 0x3
	global_load_b64 v[38:39], v[18:19], off
	global_load_b64 v[32:33], v[26:27], off
	;; [unrolled: 1-line block ×4, first 2 shown]
	s_wait_xcnt 0x3
	v_add_nc_u32_e32 v18, s2, v88
	v_lshl_add_u64 v[82:83], v[82:83], 3, v[0:1]
	v_lshl_add_u64 v[88:89], v[88:89], 3, v[0:1]
	s_delay_alu instid0(VALU_DEP_3) | instskip(NEXT) | instid1(VALU_DEP_1)
	v_ashrrev_i32_e32 v19, 31, v18
	v_lshl_add_u64 v[98:99], v[18:19], 3, v[0:1]
	s_clause 0x7
	global_load_b64 v[30:31], v[82:83], off
	global_load_b64 v[26:27], v[90:91], off
	;; [unrolled: 1-line block ×8, first 2 shown]
	s_wait_xcnt 0x7
	v_mul_lo_u32 v83, s4, v80
	s_load_b64 s[4:5], s[0:1], 0x40
	s_delay_alu instid0(VALU_DEP_1) | instskip(NEXT) | instid1(VALU_DEP_1)
	v_lshl_add_u32 v82, v83, 3, 0
	v_dual_lshlrev_b32 v83, 3, v83 :: v_dual_add_nc_u32 v78, v82, v78
	s_wait_loadcnt 0x1d
	ds_store_b64 v78, v[72:73]
	s_wait_loadcnt_dscnt 0x0
	s_barrier_signal -1
	s_barrier_wait -1
	ds_load_b64 v[80:81], v82
	s_cbranch_scc1 .LBB70_6
; %bb.4:
	v_add3_u32 v78, v83, 0, 8
	v_mov_b32_e32 v79, 0
	s_wait_xcnt 0x0
	s_mov_b32 s0, 1
.LBB70_5:                               ; =>This Inner Loop Header: Depth=1
	ds_load_b64 v[86:87], v78
	s_wait_dscnt 0x1
	v_cmp_gt_f32_e32 vcc_lo, 0, v80
	v_cndmask_b32_e64 v88, v80, -v80, vcc_lo
	v_cmp_gt_f32_e32 vcc_lo, 0, v81
	v_cndmask_b32_e64 v90, v81, -v81, vcc_lo
	s_wait_dscnt 0x0
	v_cmp_gt_f32_e32 vcc_lo, 0, v86
	v_cndmask_b32_e64 v89, v86, -v86, vcc_lo
	v_cmp_gt_f32_e32 vcc_lo, 0, v87
	v_cndmask_b32_e64 v91, v87, -v87, vcc_lo
	s_delay_alu instid0(VALU_DEP_1) | instskip(NEXT) | instid1(VALU_DEP_1)
	v_pk_add_f32 v[88:89], v[88:89], v[90:91]
	v_cmp_lt_f32_e32 vcc_lo, v88, v89
	v_dual_cndmask_b32 v81, v81, v87 :: v_dual_add_nc_u32 v78, 8, v78
	v_cndmask_b32_e32 v80, v80, v86, vcc_lo
	v_cndmask_b32_e64 v79, v79, s0, vcc_lo
	s_add_co_i32 s0, s0, 1
	s_delay_alu instid0(SALU_CYCLE_1)
	s_cmp_eq_u32 s18, s0
	s_cbranch_scc0 .LBB70_5
.LBB70_6:
	s_wait_dscnt 0x0
	v_cmp_neq_f32_e32 vcc_lo, 0, v80
	s_wait_xcnt 0x0
	v_cmp_neq_f32_e64 s0, 0, v81
	v_dual_mov_b32 v84, 1 :: v_dual_mov_b32 v87, 1
	s_or_b32 s1, vcc_lo, s0
	s_delay_alu instid0(SALU_CYCLE_1)
	s_and_saveexec_b32 s0, s1
	s_cbranch_execz .LBB70_12
; %bb.7:
	v_cmp_ngt_f32_e64 s1, |v80|, |v81|
	s_and_saveexec_b32 s12, s1
	s_delay_alu instid0(SALU_CYCLE_1)
	s_xor_b32 s1, exec_lo, s12
	s_cbranch_execz .LBB70_9
; %bb.8:
	v_div_scale_f32 v78, null, v81, v81, v80
	v_div_scale_f32 v87, vcc_lo, v80, v81, v80
	s_delay_alu instid0(VALU_DEP_2) | instskip(SKIP_1) | instid1(TRANS32_DEP_1)
	v_rcp_f32_e32 v84, v78
	v_nop
	v_fma_f32 v86, -v78, v84, 1.0
	s_delay_alu instid0(VALU_DEP_1) | instskip(NEXT) | instid1(VALU_DEP_1)
	v_fmac_f32_e32 v84, v86, v84
	v_mul_f32_e32 v86, v87, v84
	s_delay_alu instid0(VALU_DEP_1) | instskip(NEXT) | instid1(VALU_DEP_1)
	v_fma_f32 v88, -v78, v86, v87
	v_fmac_f32_e32 v86, v88, v84
	s_delay_alu instid0(VALU_DEP_1) | instskip(NEXT) | instid1(VALU_DEP_1)
	v_fma_f32 v78, -v78, v86, v87
	v_div_fmas_f32 v78, v78, v84, v86
	s_delay_alu instid0(VALU_DEP_1) | instskip(NEXT) | instid1(VALU_DEP_1)
	v_div_fixup_f32 v78, v78, v81, v80
	v_fmac_f32_e32 v81, v80, v78
	s_delay_alu instid0(VALU_DEP_1) | instskip(SKIP_1) | instid1(VALU_DEP_2)
	v_div_scale_f32 v80, null, v81, v81, 1.0
	v_div_scale_f32 v87, vcc_lo, 1.0, v81, 1.0
	v_rcp_f32_e32 v84, v80
	v_nop
	s_delay_alu instid0(TRANS32_DEP_1) | instskip(NEXT) | instid1(VALU_DEP_1)
	v_fma_f32 v86, -v80, v84, 1.0
	v_fmac_f32_e32 v84, v86, v84
	s_delay_alu instid0(VALU_DEP_1) | instskip(NEXT) | instid1(VALU_DEP_1)
	v_mul_f32_e32 v86, v87, v84
	v_fma_f32 v88, -v80, v86, v87
	s_delay_alu instid0(VALU_DEP_1) | instskip(NEXT) | instid1(VALU_DEP_1)
	v_fmac_f32_e32 v86, v88, v84
	v_fma_f32 v80, -v80, v86, v87
	s_delay_alu instid0(VALU_DEP_1) | instskip(NEXT) | instid1(VALU_DEP_1)
	v_div_fmas_f32 v80, v80, v84, v86
	v_div_fixup_f32 v81, v80, v81, 1.0
	s_delay_alu instid0(VALU_DEP_1)
	v_mul_f32_e32 v80, v78, v81
	v_xor_b32_e32 v81, 0x80000000, v81
.LBB70_9:
	s_and_not1_saveexec_b32 s1, s1
	s_cbranch_execz .LBB70_11
; %bb.10:
	s_delay_alu instid0(VALU_DEP_1) | instskip(SKIP_1) | instid1(VALU_DEP_2)
	v_div_scale_f32 v78, null, v80, v80, v81
	v_div_scale_f32 v87, vcc_lo, v81, v80, v81
	v_rcp_f32_e32 v84, v78
	v_nop
	s_delay_alu instid0(TRANS32_DEP_1) | instskip(NEXT) | instid1(VALU_DEP_1)
	v_fma_f32 v86, -v78, v84, 1.0
	v_fmac_f32_e32 v84, v86, v84
	s_delay_alu instid0(VALU_DEP_1) | instskip(NEXT) | instid1(VALU_DEP_1)
	v_mul_f32_e32 v86, v87, v84
	v_fma_f32 v88, -v78, v86, v87
	s_delay_alu instid0(VALU_DEP_1) | instskip(NEXT) | instid1(VALU_DEP_1)
	v_fmac_f32_e32 v86, v88, v84
	v_fma_f32 v78, -v78, v86, v87
	s_delay_alu instid0(VALU_DEP_1) | instskip(NEXT) | instid1(VALU_DEP_1)
	v_div_fmas_f32 v78, v78, v84, v86
	v_div_fixup_f32 v78, v78, v80, v81
	s_delay_alu instid0(VALU_DEP_1) | instskip(NEXT) | instid1(VALU_DEP_1)
	v_fmac_f32_e32 v80, v81, v78
	v_div_scale_f32 v81, null, v80, v80, 1.0
	s_delay_alu instid0(VALU_DEP_1) | instskip(SKIP_1) | instid1(TRANS32_DEP_1)
	v_rcp_f32_e32 v84, v81
	v_nop
	v_fma_f32 v86, -v81, v84, 1.0
	s_delay_alu instid0(VALU_DEP_1) | instskip(SKIP_1) | instid1(VALU_DEP_1)
	v_fmac_f32_e32 v84, v86, v84
	v_div_scale_f32 v86, vcc_lo, 1.0, v80, 1.0
	v_mul_f32_e32 v87, v86, v84
	s_delay_alu instid0(VALU_DEP_1) | instskip(NEXT) | instid1(VALU_DEP_1)
	v_fma_f32 v88, -v81, v87, v86
	v_fmac_f32_e32 v87, v88, v84
	s_delay_alu instid0(VALU_DEP_1) | instskip(NEXT) | instid1(VALU_DEP_1)
	v_fma_f32 v81, -v81, v87, v86
	v_div_fmas_f32 v81, v81, v84, v87
	s_delay_alu instid0(VALU_DEP_1) | instskip(NEXT) | instid1(VALU_DEP_1)
	v_div_fixup_f32 v80, v81, v80, 1.0
	v_mul_f32_e64 v81, v78, -v80
.LBB70_11:
	s_or_b32 exec_lo, exec_lo, s1
	v_dual_mov_b32 v87, 0 :: v_dual_mov_b32 v84, 2
.LBB70_12:
	s_or_b32 exec_lo, exec_lo, s0
	s_delay_alu instid0(SALU_CYCLE_1)
	s_mov_b32 s0, exec_lo
	v_cmpx_ne_u32_e64 v85, v79
	s_xor_b32 s0, exec_lo, s0
	s_cbranch_execz .LBB70_18
; %bb.13:
	s_mov_b32 s1, exec_lo
	v_cmpx_eq_u32_e32 0, v85
	s_cbranch_execz .LBB70_17
; %bb.14:
	v_cmp_ne_u32_e32 vcc_lo, 0, v79
	s_xor_b32 s12, s16, -1
	s_delay_alu instid0(SALU_CYCLE_1) | instskip(NEXT) | instid1(SALU_CYCLE_1)
	s_and_b32 s13, s12, vcc_lo
	s_and_saveexec_b32 s12, s13
	s_cbranch_execz .LBB70_16
; %bb.15:
	v_dual_mov_b32 v88, v79 :: v_dual_ashrrev_i32 v89, 31, v79
	s_delay_alu instid0(VALU_DEP_1)
	v_lshl_add_u64 v[88:89], v[88:89], 2, v[4:5]
	s_clause 0x1
	global_load_b32 v78, v[88:89], off
	global_load_b32 v85, v[4:5], off
	s_wait_loadcnt 0x1
	global_store_b32 v[4:5], v78, off
	s_wait_loadcnt 0x0
	global_store_b32 v[88:89], v85, off
.LBB70_16:
	s_wait_xcnt 0x0
	s_or_b32 exec_lo, exec_lo, s12
	v_mov_b32_e32 v85, v79
.LBB70_17:
	s_or_b32 exec_lo, exec_lo, s1
.LBB70_18:
	s_or_saveexec_b32 s0, s0
	s_delay_alu instid0(VALU_DEP_1)
	v_mov_b32_e32 v86, v85
	s_xor_b32 exec_lo, exec_lo, s0
	s_cbranch_execz .LBB70_20
; %bb.19:
	v_mov_b32_e32 v86, 0
	ds_store_2addr_b64 v82, v[74:75], v[70:71] offset0:1 offset1:2
	ds_store_2addr_b64 v82, v[68:69], v[42:43] offset0:3 offset1:4
	;; [unrolled: 1-line block ×17, first 2 shown]
	ds_store_b64 v82, v[76:77] offset:280
.LBB70_20:
	s_or_b32 exec_lo, exec_lo, s0
	s_delay_alu instid0(SALU_CYCLE_1)
	s_mov_b32 s0, exec_lo
	s_wait_storecnt_dscnt 0x0
	s_barrier_signal -1
	s_barrier_wait -1
	v_cmpx_lt_i32_e32 0, v86
	s_cbranch_execz .LBB70_22
; %bb.21:
	v_pk_mul_f32 v[88:89], v[80:81], v[72:73] op_sel:[1,1] op_sel_hi:[0,1]
	s_delay_alu instid0(VALU_DEP_1)
	v_pk_fma_f32 v[78:79], v[80:81], v[72:73], v[88:89] op_sel_hi:[1,0,1] neg_lo:[0,0,1] neg_hi:[0,0,1]
	v_pk_fma_f32 v[80:81], v[80:81], v[72:73], v[88:89] op_sel_hi:[1,0,1]
	ds_load_2addr_b64 v[88:91], v82 offset0:1 offset1:2
	v_dual_mov_b32 v72, v78 :: v_dual_mov_b32 v73, v81
	s_wait_dscnt 0x0
	v_pk_mul_f32 v[92:93], v[88:89], v[80:81] op_sel:[0,1]
	s_delay_alu instid0(VALU_DEP_1) | instskip(SKIP_1) | instid1(VALU_DEP_1)
	v_pk_fma_f32 v[94:95], v[88:89], v[78:79], v[92:93] op_sel:[0,0,1] op_sel_hi:[1,1,0] neg_lo:[0,0,1] neg_hi:[0,0,1]
	v_pk_fma_f32 v[88:89], v[88:89], v[78:79], v[92:93] op_sel:[0,0,1] op_sel_hi:[1,0,0]
	v_mov_b32_e32 v95, v89
	v_pk_mul_f32 v[88:89], v[90:91], v[80:81] op_sel:[0,1]
	s_delay_alu instid0(VALU_DEP_1) | instskip(SKIP_1) | instid1(VALU_DEP_1)
	v_pk_fma_f32 v[92:93], v[90:91], v[78:79], v[88:89] op_sel:[0,0,1] op_sel_hi:[1,1,0] neg_lo:[0,0,1] neg_hi:[0,0,1]
	v_pk_fma_f32 v[88:89], v[90:91], v[78:79], v[88:89] op_sel:[0,0,1] op_sel_hi:[1,0,0]
	v_mov_b32_e32 v93, v89
	ds_load_2addr_b64 v[88:91], v82 offset0:3 offset1:4
	v_pk_add_f32 v[74:75], v[74:75], v[94:95] neg_lo:[0,1] neg_hi:[0,1]
	v_pk_add_f32 v[70:71], v[70:71], v[92:93] neg_lo:[0,1] neg_hi:[0,1]
	s_wait_dscnt 0x0
	v_pk_mul_f32 v[92:93], v[88:89], v[80:81] op_sel:[0,1]
	s_delay_alu instid0(VALU_DEP_1) | instskip(SKIP_2) | instid1(VALU_DEP_2)
	v_pk_fma_f32 v[94:95], v[88:89], v[78:79], v[92:93] op_sel:[0,0,1] op_sel_hi:[1,1,0] neg_lo:[0,0,1] neg_hi:[0,0,1]
	v_pk_fma_f32 v[88:89], v[88:89], v[78:79], v[92:93] op_sel:[0,0,1] op_sel_hi:[1,0,0]
	v_dual_mul_f32 v92, v91, v81 :: v_dual_mov_b32 v88, v91
	v_dual_mov_b32 v95, v89 :: v_dual_mov_b32 v89, v90
	s_delay_alu instid0(VALU_DEP_2) | instskip(SKIP_1) | instid1(VALU_DEP_3)
	v_pk_fma_f32 v[92:93], v[90:91], v[72:73], v[92:93] op_sel_hi:[1,1,0] neg_lo:[0,0,1] neg_hi:[0,0,1]
	v_mul_f32_e32 v90, v91, v78
	v_pk_add_f32 v[68:69], v[68:69], v[94:95] neg_lo:[0,1] neg_hi:[0,1]
	s_delay_alu instid0(VALU_DEP_2) | instskip(NEXT) | instid1(VALU_DEP_1)
	v_pk_fma_f32 v[88:89], v[88:89], v[72:73], v[90:91] op_sel_hi:[1,1,0]
	v_mov_b32_e32 v93, v89
	ds_load_2addr_b64 v[88:91], v82 offset0:5 offset1:6
	v_pk_add_f32 v[42:43], v[42:43], v[92:93] neg_lo:[0,1] neg_hi:[0,1]
	s_wait_dscnt 0x0
	v_pk_mul_f32 v[92:93], v[88:89], v[80:81] op_sel:[0,1]
	s_delay_alu instid0(VALU_DEP_1) | instskip(SKIP_1) | instid1(VALU_DEP_1)
	v_pk_fma_f32 v[94:95], v[88:89], v[78:79], v[92:93] op_sel:[0,0,1] op_sel_hi:[1,1,0] neg_lo:[0,0,1] neg_hi:[0,0,1]
	v_pk_fma_f32 v[88:89], v[88:89], v[78:79], v[92:93] op_sel:[0,0,1] op_sel_hi:[1,0,0]
	v_mov_b32_e32 v95, v89
	v_pk_mul_f32 v[88:89], v[90:91], v[80:81] op_sel:[0,1]
	s_delay_alu instid0(VALU_DEP_1) | instskip(SKIP_1) | instid1(VALU_DEP_1)
	v_pk_fma_f32 v[92:93], v[90:91], v[78:79], v[88:89] op_sel:[0,0,1] op_sel_hi:[1,1,0] neg_lo:[0,0,1] neg_hi:[0,0,1]
	v_pk_fma_f32 v[88:89], v[90:91], v[78:79], v[88:89] op_sel:[0,0,1] op_sel_hi:[1,0,0]
	v_mov_b32_e32 v93, v89
	ds_load_2addr_b64 v[88:91], v82 offset0:7 offset1:8
	v_pk_add_f32 v[34:35], v[34:35], v[94:95] neg_lo:[0,1] neg_hi:[0,1]
	v_pk_add_f32 v[40:41], v[40:41], v[92:93] neg_lo:[0,1] neg_hi:[0,1]
	s_wait_dscnt 0x0
	v_pk_mul_f32 v[92:93], v[88:89], v[80:81] op_sel:[0,1]
	s_delay_alu instid0(VALU_DEP_1) | instskip(SKIP_1) | instid1(VALU_DEP_1)
	v_pk_fma_f32 v[94:95], v[88:89], v[78:79], v[92:93] op_sel:[0,0,1] op_sel_hi:[1,1,0] neg_lo:[0,0,1] neg_hi:[0,0,1]
	v_pk_fma_f32 v[88:89], v[88:89], v[78:79], v[92:93] op_sel:[0,0,1] op_sel_hi:[1,0,0]
	v_mov_b32_e32 v95, v89
	v_pk_mul_f32 v[88:89], v[90:91], v[80:81] op_sel:[0,1]
	s_delay_alu instid0(VALU_DEP_1) | instskip(SKIP_1) | instid1(VALU_DEP_1)
	v_pk_fma_f32 v[92:93], v[90:91], v[78:79], v[88:89] op_sel:[0,0,1] op_sel_hi:[1,1,0] neg_lo:[0,0,1] neg_hi:[0,0,1]
	v_pk_fma_f32 v[88:89], v[90:91], v[78:79], v[88:89] op_sel:[0,0,1] op_sel_hi:[1,0,0]
	v_mov_b32_e32 v93, v89
	ds_load_2addr_b64 v[88:91], v82 offset0:9 offset1:10
	v_pk_add_f32 v[8:9], v[8:9], v[94:95] neg_lo:[0,1] neg_hi:[0,1]
	v_pk_add_f32 v[48:49], v[48:49], v[92:93] neg_lo:[0,1] neg_hi:[0,1]
	s_wait_dscnt 0x0
	v_dual_mul_f32 v92, v89, v81 :: v_dual_mul_f32 v94, v89, v78
	s_delay_alu instid0(VALU_DEP_1) | instskip(NEXT) | instid1(VALU_DEP_2)
	v_pk_fma_f32 v[92:93], v[88:89], v[72:73], v[92:93] op_sel_hi:[1,1,0] neg_lo:[0,0,1] neg_hi:[0,0,1]
	v_pk_fma_f32 v[88:89], v[88:89], v[72:73], v[94:95] op_sel:[1,0,0] op_sel_hi:[0,1,0]
	s_delay_alu instid0(VALU_DEP_1) | instskip(SKIP_1) | instid1(VALU_DEP_2)
	v_mov_b32_e32 v93, v89
	v_pk_mul_f32 v[88:89], v[90:91], v[80:81] op_sel:[0,1]
	v_pk_add_f32 v[44:45], v[44:45], v[92:93] neg_lo:[0,1] neg_hi:[0,1]
	s_delay_alu instid0(VALU_DEP_2) | instskip(SKIP_1) | instid1(VALU_DEP_1)
	v_pk_fma_f32 v[92:93], v[90:91], v[78:79], v[88:89] op_sel:[0,0,1] op_sel_hi:[1,1,0] neg_lo:[0,0,1] neg_hi:[0,0,1]
	v_pk_fma_f32 v[88:89], v[90:91], v[78:79], v[88:89] op_sel:[0,0,1] op_sel_hi:[1,0,0]
	v_mov_b32_e32 v93, v89
	ds_load_2addr_b64 v[88:91], v82 offset0:11 offset1:12
	v_pk_add_f32 v[46:47], v[46:47], v[92:93] neg_lo:[0,1] neg_hi:[0,1]
	s_wait_dscnt 0x0
	v_pk_mul_f32 v[92:93], v[88:89], v[80:81] op_sel:[0,1]
	s_delay_alu instid0(VALU_DEP_1) | instskip(SKIP_1) | instid1(VALU_DEP_1)
	v_pk_fma_f32 v[94:95], v[88:89], v[78:79], v[92:93] op_sel:[0,0,1] op_sel_hi:[1,1,0] neg_lo:[0,0,1] neg_hi:[0,0,1]
	v_pk_fma_f32 v[88:89], v[88:89], v[78:79], v[92:93] op_sel:[0,0,1] op_sel_hi:[1,0,0]
	v_mov_b32_e32 v95, v89
	v_pk_mul_f32 v[88:89], v[90:91], v[80:81] op_sel:[0,1]
	s_delay_alu instid0(VALU_DEP_2) | instskip(NEXT) | instid1(VALU_DEP_2)
	v_pk_add_f32 v[12:13], v[12:13], v[94:95] neg_lo:[0,1] neg_hi:[0,1]
	v_pk_fma_f32 v[92:93], v[90:91], v[78:79], v[88:89] op_sel:[0,0,1] op_sel_hi:[1,1,0] neg_lo:[0,0,1] neg_hi:[0,0,1]
	v_pk_fma_f32 v[88:89], v[90:91], v[78:79], v[88:89] op_sel:[0,0,1] op_sel_hi:[1,0,0]
	s_delay_alu instid0(VALU_DEP_1) | instskip(SKIP_4) | instid1(VALU_DEP_1)
	v_mov_b32_e32 v93, v89
	ds_load_2addr_b64 v[88:91], v82 offset0:13 offset1:14
	v_pk_add_f32 v[66:67], v[66:67], v[92:93] neg_lo:[0,1] neg_hi:[0,1]
	s_wait_dscnt 0x0
	v_pk_mul_f32 v[92:93], v[88:89], v[80:81] op_sel:[0,1]
	v_pk_fma_f32 v[94:95], v[88:89], v[78:79], v[92:93] op_sel:[0,0,1] op_sel_hi:[1,1,0] neg_lo:[0,0,1] neg_hi:[0,0,1]
	v_pk_fma_f32 v[88:89], v[88:89], v[78:79], v[92:93] op_sel:[0,0,1] op_sel_hi:[1,0,0]
	v_dual_mul_f32 v92, v91, v81 :: v_dual_mov_b32 v88, v91
	s_delay_alu instid0(VALU_DEP_2) | instskip(NEXT) | instid1(VALU_DEP_2)
	v_dual_mov_b32 v95, v89 :: v_dual_mov_b32 v89, v90
	v_pk_fma_f32 v[92:93], v[90:91], v[72:73], v[92:93] op_sel_hi:[1,1,0] neg_lo:[0,0,1] neg_hi:[0,0,1]
	v_mul_f32_e32 v90, v91, v78
	s_delay_alu instid0(VALU_DEP_3) | instskip(NEXT) | instid1(VALU_DEP_2)
	v_pk_add_f32 v[62:63], v[62:63], v[94:95] neg_lo:[0,1] neg_hi:[0,1]
	v_pk_fma_f32 v[88:89], v[88:89], v[72:73], v[90:91] op_sel_hi:[1,1,0]
	s_delay_alu instid0(VALU_DEP_1) | instskip(SKIP_4) | instid1(VALU_DEP_1)
	v_mov_b32_e32 v93, v89
	ds_load_2addr_b64 v[88:91], v82 offset0:15 offset1:16
	v_pk_add_f32 v[64:65], v[64:65], v[92:93] neg_lo:[0,1] neg_hi:[0,1]
	s_wait_dscnt 0x0
	v_pk_mul_f32 v[92:93], v[88:89], v[80:81] op_sel:[0,1]
	v_pk_fma_f32 v[94:95], v[88:89], v[78:79], v[92:93] op_sel:[0,0,1] op_sel_hi:[1,1,0] neg_lo:[0,0,1] neg_hi:[0,0,1]
	v_pk_fma_f32 v[88:89], v[88:89], v[78:79], v[92:93] op_sel:[0,0,1] op_sel_hi:[1,0,0]
	s_delay_alu instid0(VALU_DEP_1) | instskip(SKIP_1) | instid1(VALU_DEP_1)
	v_mov_b32_e32 v95, v89
	v_pk_mul_f32 v[88:89], v[90:91], v[80:81] op_sel:[0,1]
	v_pk_fma_f32 v[92:93], v[90:91], v[78:79], v[88:89] op_sel:[0,0,1] op_sel_hi:[1,1,0] neg_lo:[0,0,1] neg_hi:[0,0,1]
	v_pk_fma_f32 v[88:89], v[90:91], v[78:79], v[88:89] op_sel:[0,0,1] op_sel_hi:[1,0,0]
	s_delay_alu instid0(VALU_DEP_1)
	v_mov_b32_e32 v93, v89
	ds_load_2addr_b64 v[88:91], v82 offset0:17 offset1:18
	v_pk_add_f32 v[22:23], v[22:23], v[94:95] neg_lo:[0,1] neg_hi:[0,1]
	v_pk_add_f32 v[60:61], v[60:61], v[92:93] neg_lo:[0,1] neg_hi:[0,1]
	s_wait_dscnt 0x0
	v_pk_mul_f32 v[92:93], v[88:89], v[80:81] op_sel:[0,1]
	s_delay_alu instid0(VALU_DEP_1) | instskip(SKIP_1) | instid1(VALU_DEP_1)
	v_pk_fma_f32 v[94:95], v[88:89], v[78:79], v[92:93] op_sel:[0,0,1] op_sel_hi:[1,1,0] neg_lo:[0,0,1] neg_hi:[0,0,1]
	v_pk_fma_f32 v[88:89], v[88:89], v[78:79], v[92:93] op_sel:[0,0,1] op_sel_hi:[1,0,0]
	v_mov_b32_e32 v95, v89
	v_pk_mul_f32 v[88:89], v[90:91], v[80:81] op_sel:[0,1]
	s_delay_alu instid0(VALU_DEP_1) | instskip(SKIP_1) | instid1(VALU_DEP_1)
	v_pk_fma_f32 v[92:93], v[90:91], v[78:79], v[88:89] op_sel:[0,0,1] op_sel_hi:[1,1,0] neg_lo:[0,0,1] neg_hi:[0,0,1]
	v_pk_fma_f32 v[88:89], v[90:91], v[78:79], v[88:89] op_sel:[0,0,1] op_sel_hi:[1,0,0]
	v_mov_b32_e32 v93, v89
	ds_load_2addr_b64 v[88:91], v82 offset0:19 offset1:20
	v_pk_add_f32 v[56:57], v[56:57], v[94:95] neg_lo:[0,1] neg_hi:[0,1]
	v_pk_add_f32 v[58:59], v[58:59], v[92:93] neg_lo:[0,1] neg_hi:[0,1]
	s_wait_dscnt 0x0
	v_dual_mul_f32 v92, v89, v81 :: v_dual_mul_f32 v94, v89, v78
	s_delay_alu instid0(VALU_DEP_1) | instskip(NEXT) | instid1(VALU_DEP_2)
	v_pk_fma_f32 v[92:93], v[88:89], v[72:73], v[92:93] op_sel_hi:[1,1,0] neg_lo:[0,0,1] neg_hi:[0,0,1]
	v_pk_fma_f32 v[88:89], v[88:89], v[72:73], v[94:95] op_sel:[1,0,0] op_sel_hi:[0,1,0]
	s_delay_alu instid0(VALU_DEP_1) | instskip(SKIP_1) | instid1(VALU_DEP_2)
	v_mov_b32_e32 v93, v89
	v_pk_mul_f32 v[88:89], v[90:91], v[80:81] op_sel:[0,1]
	v_pk_add_f32 v[16:17], v[16:17], v[92:93] neg_lo:[0,1] neg_hi:[0,1]
	s_delay_alu instid0(VALU_DEP_2) | instskip(SKIP_1) | instid1(VALU_DEP_1)
	v_pk_fma_f32 v[92:93], v[90:91], v[78:79], v[88:89] op_sel:[0,0,1] op_sel_hi:[1,1,0] neg_lo:[0,0,1] neg_hi:[0,0,1]
	v_pk_fma_f32 v[88:89], v[90:91], v[78:79], v[88:89] op_sel:[0,0,1] op_sel_hi:[1,0,0]
	v_mov_b32_e32 v93, v89
	ds_load_2addr_b64 v[88:91], v82 offset0:21 offset1:22
	v_pk_add_f32 v[54:55], v[54:55], v[92:93] neg_lo:[0,1] neg_hi:[0,1]
	s_wait_dscnt 0x0
	v_pk_mul_f32 v[92:93], v[88:89], v[80:81] op_sel:[0,1]
	s_delay_alu instid0(VALU_DEP_1) | instskip(SKIP_1) | instid1(VALU_DEP_1)
	v_pk_fma_f32 v[94:95], v[88:89], v[78:79], v[92:93] op_sel:[0,0,1] op_sel_hi:[1,1,0] neg_lo:[0,0,1] neg_hi:[0,0,1]
	v_pk_fma_f32 v[88:89], v[88:89], v[78:79], v[92:93] op_sel:[0,0,1] op_sel_hi:[1,0,0]
	v_mov_b32_e32 v95, v89
	v_pk_mul_f32 v[88:89], v[90:91], v[80:81] op_sel:[0,1]
	s_delay_alu instid0(VALU_DEP_2) | instskip(NEXT) | instid1(VALU_DEP_2)
	v_pk_add_f32 v[50:51], v[50:51], v[94:95] neg_lo:[0,1] neg_hi:[0,1]
	v_pk_fma_f32 v[92:93], v[90:91], v[78:79], v[88:89] op_sel:[0,0,1] op_sel_hi:[1,1,0] neg_lo:[0,0,1] neg_hi:[0,0,1]
	v_pk_fma_f32 v[88:89], v[90:91], v[78:79], v[88:89] op_sel:[0,0,1] op_sel_hi:[1,0,0]
	s_delay_alu instid0(VALU_DEP_1) | instskip(SKIP_4) | instid1(VALU_DEP_1)
	v_mov_b32_e32 v93, v89
	ds_load_2addr_b64 v[88:91], v82 offset0:23 offset1:24
	v_pk_add_f32 v[52:53], v[52:53], v[92:93] neg_lo:[0,1] neg_hi:[0,1]
	s_wait_dscnt 0x0
	v_pk_mul_f32 v[92:93], v[88:89], v[80:81] op_sel:[0,1]
	v_pk_fma_f32 v[94:95], v[88:89], v[78:79], v[92:93] op_sel:[0,0,1] op_sel_hi:[1,1,0] neg_lo:[0,0,1] neg_hi:[0,0,1]
	v_pk_fma_f32 v[88:89], v[88:89], v[78:79], v[92:93] op_sel:[0,0,1] op_sel_hi:[1,0,0]
	v_dual_mul_f32 v92, v91, v81 :: v_dual_mov_b32 v88, v91
	s_delay_alu instid0(VALU_DEP_2) | instskip(NEXT) | instid1(VALU_DEP_2)
	v_dual_mov_b32 v95, v89 :: v_dual_mov_b32 v89, v90
	v_pk_fma_f32 v[92:93], v[90:91], v[72:73], v[92:93] op_sel_hi:[1,1,0] neg_lo:[0,0,1] neg_hi:[0,0,1]
	v_mul_f32_e32 v90, v91, v78
	s_delay_alu instid0(VALU_DEP_3) | instskip(NEXT) | instid1(VALU_DEP_2)
	v_pk_add_f32 v[14:15], v[14:15], v[94:95] neg_lo:[0,1] neg_hi:[0,1]
	v_pk_fma_f32 v[88:89], v[88:89], v[72:73], v[90:91] op_sel_hi:[1,1,0]
	s_delay_alu instid0(VALU_DEP_1) | instskip(SKIP_4) | instid1(VALU_DEP_1)
	v_mov_b32_e32 v93, v89
	ds_load_2addr_b64 v[88:91], v82 offset0:25 offset1:26
	v_pk_add_f32 v[38:39], v[38:39], v[92:93] neg_lo:[0,1] neg_hi:[0,1]
	s_wait_dscnt 0x0
	v_pk_mul_f32 v[92:93], v[88:89], v[80:81] op_sel:[0,1]
	v_pk_fma_f32 v[94:95], v[88:89], v[78:79], v[92:93] op_sel:[0,0,1] op_sel_hi:[1,1,0] neg_lo:[0,0,1] neg_hi:[0,0,1]
	v_pk_fma_f32 v[88:89], v[88:89], v[78:79], v[92:93] op_sel:[0,0,1] op_sel_hi:[1,0,0]
	s_delay_alu instid0(VALU_DEP_1) | instskip(SKIP_1) | instid1(VALU_DEP_1)
	v_mov_b32_e32 v95, v89
	v_pk_mul_f32 v[88:89], v[90:91], v[80:81] op_sel:[0,1]
	v_pk_fma_f32 v[92:93], v[90:91], v[78:79], v[88:89] op_sel:[0,0,1] op_sel_hi:[1,1,0] neg_lo:[0,0,1] neg_hi:[0,0,1]
	v_pk_fma_f32 v[88:89], v[90:91], v[78:79], v[88:89] op_sel:[0,0,1] op_sel_hi:[1,0,0]
	s_delay_alu instid0(VALU_DEP_1)
	v_mov_b32_e32 v93, v89
	ds_load_2addr_b64 v[88:91], v82 offset0:27 offset1:28
	v_pk_add_f32 v[32:33], v[32:33], v[94:95] neg_lo:[0,1] neg_hi:[0,1]
	v_pk_add_f32 v[36:37], v[36:37], v[92:93] neg_lo:[0,1] neg_hi:[0,1]
	s_wait_dscnt 0x0
	v_pk_mul_f32 v[92:93], v[88:89], v[80:81] op_sel:[0,1]
	s_delay_alu instid0(VALU_DEP_1) | instskip(SKIP_1) | instid1(VALU_DEP_1)
	v_pk_fma_f32 v[94:95], v[88:89], v[78:79], v[92:93] op_sel:[0,0,1] op_sel_hi:[1,1,0] neg_lo:[0,0,1] neg_hi:[0,0,1]
	v_pk_fma_f32 v[88:89], v[88:89], v[78:79], v[92:93] op_sel:[0,0,1] op_sel_hi:[1,0,0]
	v_mov_b32_e32 v95, v89
	v_pk_mul_f32 v[88:89], v[90:91], v[80:81] op_sel:[0,1]
	s_delay_alu instid0(VALU_DEP_1) | instskip(SKIP_1) | instid1(VALU_DEP_1)
	v_pk_fma_f32 v[92:93], v[90:91], v[78:79], v[88:89] op_sel:[0,0,1] op_sel_hi:[1,1,0] neg_lo:[0,0,1] neg_hi:[0,0,1]
	v_pk_fma_f32 v[88:89], v[90:91], v[78:79], v[88:89] op_sel:[0,0,1] op_sel_hi:[1,0,0]
	v_mov_b32_e32 v93, v89
	ds_load_2addr_b64 v[88:91], v82 offset0:29 offset1:30
	v_pk_add_f32 v[6:7], v[6:7], v[94:95] neg_lo:[0,1] neg_hi:[0,1]
	v_pk_add_f32 v[30:31], v[30:31], v[92:93] neg_lo:[0,1] neg_hi:[0,1]
	s_wait_dscnt 0x0
	v_dual_mul_f32 v92, v89, v81 :: v_dual_mul_f32 v94, v89, v78
	s_delay_alu instid0(VALU_DEP_1) | instskip(NEXT) | instid1(VALU_DEP_2)
	v_pk_fma_f32 v[92:93], v[88:89], v[72:73], v[92:93] op_sel_hi:[1,1,0] neg_lo:[0,0,1] neg_hi:[0,0,1]
	v_pk_fma_f32 v[88:89], v[88:89], v[72:73], v[94:95] op_sel:[1,0,0] op_sel_hi:[0,1,0]
	s_delay_alu instid0(VALU_DEP_1) | instskip(SKIP_1) | instid1(VALU_DEP_2)
	v_mov_b32_e32 v93, v89
	v_pk_mul_f32 v[88:89], v[90:91], v[80:81] op_sel:[0,1]
	v_pk_add_f32 v[26:27], v[26:27], v[92:93] neg_lo:[0,1] neg_hi:[0,1]
	s_delay_alu instid0(VALU_DEP_2) | instskip(SKIP_1) | instid1(VALU_DEP_1)
	v_pk_fma_f32 v[92:93], v[90:91], v[78:79], v[88:89] op_sel:[0,0,1] op_sel_hi:[1,1,0] neg_lo:[0,0,1] neg_hi:[0,0,1]
	v_pk_fma_f32 v[88:89], v[90:91], v[78:79], v[88:89] op_sel:[0,0,1] op_sel_hi:[1,0,0]
	v_mov_b32_e32 v93, v89
	ds_load_2addr_b64 v[88:91], v82 offset0:31 offset1:32
	v_pk_add_f32 v[28:29], v[28:29], v[92:93] neg_lo:[0,1] neg_hi:[0,1]
	s_wait_dscnt 0x0
	v_pk_mul_f32 v[92:93], v[88:89], v[80:81] op_sel:[0,1]
	s_delay_alu instid0(VALU_DEP_1) | instskip(SKIP_1) | instid1(VALU_DEP_1)
	v_pk_fma_f32 v[94:95], v[88:89], v[78:79], v[92:93] op_sel:[0,0,1] op_sel_hi:[1,1,0] neg_lo:[0,0,1] neg_hi:[0,0,1]
	v_pk_fma_f32 v[88:89], v[88:89], v[78:79], v[92:93] op_sel:[0,0,1] op_sel_hi:[1,0,0]
	v_mov_b32_e32 v95, v89
	v_pk_mul_f32 v[88:89], v[90:91], v[80:81] op_sel:[0,1]
	s_delay_alu instid0(VALU_DEP_2) | instskip(NEXT) | instid1(VALU_DEP_2)
	v_pk_add_f32 v[10:11], v[10:11], v[94:95] neg_lo:[0,1] neg_hi:[0,1]
	v_pk_fma_f32 v[92:93], v[90:91], v[78:79], v[88:89] op_sel:[0,0,1] op_sel_hi:[1,1,0] neg_lo:[0,0,1] neg_hi:[0,0,1]
	v_pk_fma_f32 v[88:89], v[90:91], v[78:79], v[88:89] op_sel:[0,0,1] op_sel_hi:[1,0,0]
	s_delay_alu instid0(VALU_DEP_1) | instskip(SKIP_4) | instid1(VALU_DEP_1)
	v_mov_b32_e32 v93, v89
	ds_load_2addr_b64 v[88:91], v82 offset0:33 offset1:34
	v_pk_add_f32 v[24:25], v[24:25], v[92:93] neg_lo:[0,1] neg_hi:[0,1]
	s_wait_dscnt 0x0
	v_pk_mul_f32 v[92:93], v[88:89], v[80:81] op_sel:[0,1]
	v_pk_fma_f32 v[94:95], v[88:89], v[78:79], v[92:93] op_sel:[0,0,1] op_sel_hi:[1,1,0] neg_lo:[0,0,1] neg_hi:[0,0,1]
	v_pk_fma_f32 v[88:89], v[88:89], v[78:79], v[92:93] op_sel:[0,0,1] op_sel_hi:[1,0,0]
	v_dual_mul_f32 v92, v91, v81 :: v_dual_mov_b32 v88, v91
	s_delay_alu instid0(VALU_DEP_2) | instskip(NEXT) | instid1(VALU_DEP_2)
	v_dual_mov_b32 v95, v89 :: v_dual_mov_b32 v89, v90
	v_pk_fma_f32 v[92:93], v[90:91], v[72:73], v[92:93] op_sel_hi:[1,1,0] neg_lo:[0,0,1] neg_hi:[0,0,1]
	v_mul_f32_e32 v90, v91, v78
	s_delay_alu instid0(VALU_DEP_3) | instskip(NEXT) | instid1(VALU_DEP_2)
	v_pk_add_f32 v[20:21], v[20:21], v[94:95] neg_lo:[0,1] neg_hi:[0,1]
	v_pk_fma_f32 v[88:89], v[88:89], v[72:73], v[90:91] op_sel_hi:[1,1,0]
	s_delay_alu instid0(VALU_DEP_1) | instskip(SKIP_4) | instid1(VALU_DEP_1)
	v_mov_b32_e32 v93, v89
	ds_load_b64 v[88:89], v82 offset:280
	v_pk_add_f32 v[18:19], v[18:19], v[92:93] neg_lo:[0,1] neg_hi:[0,1]
	s_wait_dscnt 0x0
	v_pk_mul_f32 v[80:81], v[88:89], v[80:81] op_sel:[0,1]
	v_pk_fma_f32 v[90:91], v[88:89], v[78:79], v[80:81] op_sel:[0,0,1] op_sel_hi:[1,1,0] neg_lo:[0,0,1] neg_hi:[0,0,1]
	v_pk_fma_f32 v[78:79], v[88:89], v[78:79], v[80:81] op_sel:[0,0,1] op_sel_hi:[1,0,0]
	s_delay_alu instid0(VALU_DEP_1) | instskip(NEXT) | instid1(VALU_DEP_1)
	v_mov_b32_e32 v91, v79
	v_pk_add_f32 v[76:77], v[76:77], v[90:91] neg_lo:[0,1] neg_hi:[0,1]
.LBB70_22:
	s_or_b32 exec_lo, exec_lo, s0
	v_lshl_add_u32 v78, v86, 3, v82
	s_barrier_signal -1
	s_barrier_wait -1
	ds_store_b64 v78, v[74:75]
	s_wait_dscnt 0x0
	s_barrier_signal -1
	s_barrier_wait -1
	ds_load_b64 v[80:81], v82 offset:8
	v_mov_b32_e32 v78, 1
	s_cmp_lt_i32 s18, 3
	s_cbranch_scc1 .LBB70_25
; %bb.23:
	v_add3_u32 v79, v83, 0, 16
	v_mov_b32_e32 v78, 1
	s_mov_b32 s0, 2
.LBB70_24:                              ; =>This Inner Loop Header: Depth=1
	ds_load_b64 v[88:89], v79
	s_wait_dscnt 0x1
	v_cmp_gt_f32_e32 vcc_lo, 0, v80
	v_cndmask_b32_e64 v90, v80, -v80, vcc_lo
	v_cmp_gt_f32_e32 vcc_lo, 0, v81
	v_cndmask_b32_e64 v92, v81, -v81, vcc_lo
	s_wait_dscnt 0x0
	v_cmp_gt_f32_e32 vcc_lo, 0, v88
	v_cndmask_b32_e64 v91, v88, -v88, vcc_lo
	v_cmp_gt_f32_e32 vcc_lo, 0, v89
	v_cndmask_b32_e64 v93, v89, -v89, vcc_lo
	s_delay_alu instid0(VALU_DEP_1) | instskip(NEXT) | instid1(VALU_DEP_1)
	v_pk_add_f32 v[90:91], v[90:91], v[92:93]
	v_cmp_lt_f32_e32 vcc_lo, v90, v91
	v_dual_add_nc_u32 v79, 8, v79 :: v_dual_cndmask_b32 v81, v81, v89, vcc_lo
	v_cndmask_b32_e32 v80, v80, v88, vcc_lo
	v_cndmask_b32_e64 v78, v78, s0, vcc_lo
	s_add_co_i32 s0, s0, 1
	s_delay_alu instid0(SALU_CYCLE_1)
	s_cmp_lg_u32 s18, s0
	s_cbranch_scc1 .LBB70_24
.LBB70_25:
	s_wait_dscnt 0x0
	v_cmp_neq_f32_e32 vcc_lo, 0, v80
	v_cmp_neq_f32_e64 s0, 0, v81
	s_or_b32 s1, vcc_lo, s0
	s_delay_alu instid0(SALU_CYCLE_1)
	s_and_saveexec_b32 s0, s1
	s_cbranch_execz .LBB70_31
; %bb.26:
	v_cmp_ngt_f32_e64 s1, |v80|, |v81|
	s_and_saveexec_b32 s12, s1
	s_delay_alu instid0(SALU_CYCLE_1)
	s_xor_b32 s1, exec_lo, s12
	s_cbranch_execz .LBB70_28
; %bb.27:
	v_div_scale_f32 v79, null, v81, v81, v80
	v_div_scale_f32 v89, vcc_lo, v80, v81, v80
	s_delay_alu instid0(VALU_DEP_2) | instskip(SKIP_1) | instid1(TRANS32_DEP_1)
	v_rcp_f32_e32 v84, v79
	v_nop
	v_fma_f32 v88, -v79, v84, 1.0
	s_delay_alu instid0(VALU_DEP_1) | instskip(NEXT) | instid1(VALU_DEP_1)
	v_fmac_f32_e32 v84, v88, v84
	v_mul_f32_e32 v88, v89, v84
	s_delay_alu instid0(VALU_DEP_1) | instskip(NEXT) | instid1(VALU_DEP_1)
	v_fma_f32 v90, -v79, v88, v89
	v_fmac_f32_e32 v88, v90, v84
	s_delay_alu instid0(VALU_DEP_1) | instskip(NEXT) | instid1(VALU_DEP_1)
	v_fma_f32 v79, -v79, v88, v89
	v_div_fmas_f32 v79, v79, v84, v88
	s_delay_alu instid0(VALU_DEP_1) | instskip(NEXT) | instid1(VALU_DEP_1)
	v_div_fixup_f32 v79, v79, v81, v80
	v_fmac_f32_e32 v81, v80, v79
	s_delay_alu instid0(VALU_DEP_1) | instskip(SKIP_1) | instid1(VALU_DEP_2)
	v_div_scale_f32 v80, null, v81, v81, 1.0
	v_div_scale_f32 v89, vcc_lo, 1.0, v81, 1.0
	v_rcp_f32_e32 v84, v80
	v_nop
	s_delay_alu instid0(TRANS32_DEP_1) | instskip(NEXT) | instid1(VALU_DEP_1)
	v_fma_f32 v88, -v80, v84, 1.0
	v_fmac_f32_e32 v84, v88, v84
	s_delay_alu instid0(VALU_DEP_1) | instskip(NEXT) | instid1(VALU_DEP_1)
	v_mul_f32_e32 v88, v89, v84
	v_fma_f32 v90, -v80, v88, v89
	s_delay_alu instid0(VALU_DEP_1) | instskip(NEXT) | instid1(VALU_DEP_1)
	v_fmac_f32_e32 v88, v90, v84
	v_fma_f32 v80, -v80, v88, v89
	s_delay_alu instid0(VALU_DEP_1) | instskip(NEXT) | instid1(VALU_DEP_1)
	v_div_fmas_f32 v80, v80, v84, v88
	v_div_fixup_f32 v81, v80, v81, 1.0
	s_delay_alu instid0(VALU_DEP_1)
	v_mul_f32_e32 v80, v79, v81
	v_xor_b32_e32 v81, 0x80000000, v81
.LBB70_28:
	s_and_not1_saveexec_b32 s1, s1
	s_cbranch_execz .LBB70_30
; %bb.29:
	s_delay_alu instid0(VALU_DEP_1) | instskip(SKIP_1) | instid1(VALU_DEP_2)
	v_div_scale_f32 v79, null, v80, v80, v81
	v_div_scale_f32 v89, vcc_lo, v81, v80, v81
	v_rcp_f32_e32 v84, v79
	v_nop
	s_delay_alu instid0(TRANS32_DEP_1) | instskip(NEXT) | instid1(VALU_DEP_1)
	v_fma_f32 v88, -v79, v84, 1.0
	v_fmac_f32_e32 v84, v88, v84
	s_delay_alu instid0(VALU_DEP_1) | instskip(NEXT) | instid1(VALU_DEP_1)
	v_mul_f32_e32 v88, v89, v84
	v_fma_f32 v90, -v79, v88, v89
	s_delay_alu instid0(VALU_DEP_1) | instskip(NEXT) | instid1(VALU_DEP_1)
	v_fmac_f32_e32 v88, v90, v84
	v_fma_f32 v79, -v79, v88, v89
	s_delay_alu instid0(VALU_DEP_1) | instskip(NEXT) | instid1(VALU_DEP_1)
	v_div_fmas_f32 v79, v79, v84, v88
	v_div_fixup_f32 v79, v79, v80, v81
	s_delay_alu instid0(VALU_DEP_1) | instskip(NEXT) | instid1(VALU_DEP_1)
	v_fmac_f32_e32 v80, v81, v79
	v_div_scale_f32 v81, null, v80, v80, 1.0
	s_delay_alu instid0(VALU_DEP_1) | instskip(SKIP_1) | instid1(TRANS32_DEP_1)
	v_rcp_f32_e32 v84, v81
	v_nop
	v_fma_f32 v88, -v81, v84, 1.0
	s_delay_alu instid0(VALU_DEP_1) | instskip(SKIP_1) | instid1(VALU_DEP_1)
	v_fmac_f32_e32 v84, v88, v84
	v_div_scale_f32 v88, vcc_lo, 1.0, v80, 1.0
	v_mul_f32_e32 v89, v88, v84
	s_delay_alu instid0(VALU_DEP_1) | instskip(NEXT) | instid1(VALU_DEP_1)
	v_fma_f32 v90, -v81, v89, v88
	v_fmac_f32_e32 v89, v90, v84
	s_delay_alu instid0(VALU_DEP_1) | instskip(NEXT) | instid1(VALU_DEP_1)
	v_fma_f32 v81, -v81, v89, v88
	v_div_fmas_f32 v81, v81, v84, v89
	s_delay_alu instid0(VALU_DEP_1) | instskip(NEXT) | instid1(VALU_DEP_1)
	v_div_fixup_f32 v80, v81, v80, 1.0
	v_mul_f32_e64 v81, v79, -v80
.LBB70_30:
	s_or_b32 exec_lo, exec_lo, s1
	v_mov_b32_e32 v84, v87
.LBB70_31:
	s_or_b32 exec_lo, exec_lo, s0
	s_delay_alu instid0(SALU_CYCLE_1)
	s_mov_b32 s0, exec_lo
	v_cmpx_ne_u32_e64 v86, v78
	s_xor_b32 s0, exec_lo, s0
	s_cbranch_execz .LBB70_37
; %bb.32:
	s_mov_b32 s1, exec_lo
	v_cmpx_eq_u32_e32 1, v86
	s_cbranch_execz .LBB70_36
; %bb.33:
	v_cmp_ne_u32_e32 vcc_lo, 1, v78
	s_xor_b32 s12, s16, -1
	s_delay_alu instid0(SALU_CYCLE_1) | instskip(NEXT) | instid1(SALU_CYCLE_1)
	s_and_b32 s13, s12, vcc_lo
	s_and_saveexec_b32 s12, s13
	s_cbranch_execz .LBB70_35
; %bb.34:
	v_ashrrev_i32_e32 v79, 31, v78
	s_delay_alu instid0(VALU_DEP_1)
	v_lshl_add_u64 v[86:87], v[78:79], 2, v[4:5]
	s_clause 0x1
	global_load_b32 v79, v[86:87], off
	global_load_b32 v85, v[4:5], off offset:4
	s_wait_loadcnt 0x1
	global_store_b32 v[4:5], v79, off offset:4
	s_wait_loadcnt 0x0
	global_store_b32 v[86:87], v85, off
.LBB70_35:
	s_wait_xcnt 0x0
	s_or_b32 exec_lo, exec_lo, s12
	v_dual_mov_b32 v86, v78 :: v_dual_mov_b32 v85, v78
.LBB70_36:
	s_or_b32 exec_lo, exec_lo, s1
.LBB70_37:
	s_and_not1_saveexec_b32 s0, s0
	s_cbranch_execz .LBB70_39
; %bb.38:
	v_dual_mov_b32 v78, v70 :: v_dual_mov_b32 v79, v71
	v_dual_mov_b32 v86, v68 :: v_dual_mov_b32 v87, v69
	;; [unrolled: 1-line block ×12, first 2 shown]
	ds_store_2addr_b64 v82, v[78:79], v[86:87] offset0:2 offset1:3
	ds_store_2addr_b64 v82, v[88:89], v[90:91] offset0:4 offset1:5
	;; [unrolled: 1-line block ×6, first 2 shown]
	v_dual_mov_b32 v78, v64 :: v_dual_mov_b32 v79, v65
	v_dual_mov_b32 v86, v22 :: v_dual_mov_b32 v87, v23
	;; [unrolled: 1-line block ×12, first 2 shown]
	ds_store_2addr_b64 v82, v[78:79], v[86:87] offset0:14 offset1:15
	ds_store_2addr_b64 v82, v[88:89], v[90:91] offset0:16 offset1:17
	ds_store_2addr_b64 v82, v[92:93], v[94:95] offset0:18 offset1:19
	ds_store_2addr_b64 v82, v[96:97], v[98:99] offset0:20 offset1:21
	ds_store_2addr_b64 v82, v[100:101], v[102:103] offset0:22 offset1:23
	ds_store_2addr_b64 v82, v[104:105], v[106:107] offset0:24 offset1:25
	v_dual_mov_b32 v78, v36 :: v_dual_mov_b32 v79, v37
	v_dual_mov_b32 v88, v6 :: v_dual_mov_b32 v89, v7
	;; [unrolled: 1-line block ×9, first 2 shown]
	v_mov_b32_e32 v103, v19
	ds_store_2addr_b64 v82, v[78:79], v[88:89] offset0:26 offset1:27
	ds_store_2addr_b64 v82, v[90:91], v[92:93] offset0:28 offset1:29
	;; [unrolled: 1-line block ×5, first 2 shown]
.LBB70_39:
	s_or_b32 exec_lo, exec_lo, s0
	s_delay_alu instid0(SALU_CYCLE_1)
	s_mov_b32 s0, exec_lo
	s_wait_storecnt_dscnt 0x0
	s_barrier_signal -1
	s_barrier_wait -1
	v_cmpx_lt_i32_e32 1, v86
	s_cbranch_execz .LBB70_41
; %bb.40:
	v_pk_mul_f32 v[88:89], v[80:81], v[74:75] op_sel:[1,1] op_sel_hi:[0,1]
	s_delay_alu instid0(VALU_DEP_1)
	v_pk_fma_f32 v[78:79], v[80:81], v[74:75], v[88:89] op_sel_hi:[1,0,1] neg_lo:[0,0,1] neg_hi:[0,0,1]
	v_pk_fma_f32 v[80:81], v[80:81], v[74:75], v[88:89] op_sel_hi:[1,0,1]
	ds_load_2addr_b64 v[88:91], v82 offset0:2 offset1:3
	v_dual_mov_b32 v74, v78 :: v_dual_mov_b32 v75, v81
	s_wait_dscnt 0x0
	v_pk_mul_f32 v[92:93], v[88:89], v[80:81] op_sel:[0,1]
	s_delay_alu instid0(VALU_DEP_1) | instskip(SKIP_1) | instid1(VALU_DEP_1)
	v_pk_fma_f32 v[94:95], v[88:89], v[78:79], v[92:93] op_sel:[0,0,1] op_sel_hi:[1,1,0] neg_lo:[0,0,1] neg_hi:[0,0,1]
	v_pk_fma_f32 v[88:89], v[88:89], v[78:79], v[92:93] op_sel:[0,0,1] op_sel_hi:[1,0,0]
	v_mov_b32_e32 v95, v89
	v_pk_mul_f32 v[88:89], v[90:91], v[80:81] op_sel:[0,1]
	s_delay_alu instid0(VALU_DEP_1) | instskip(SKIP_1) | instid1(VALU_DEP_1)
	v_pk_fma_f32 v[92:93], v[90:91], v[78:79], v[88:89] op_sel:[0,0,1] op_sel_hi:[1,1,0] neg_lo:[0,0,1] neg_hi:[0,0,1]
	v_pk_fma_f32 v[88:89], v[90:91], v[78:79], v[88:89] op_sel:[0,0,1] op_sel_hi:[1,0,0]
	v_mov_b32_e32 v93, v89
	ds_load_2addr_b64 v[88:91], v82 offset0:4 offset1:5
	v_pk_add_f32 v[70:71], v[70:71], v[94:95] neg_lo:[0,1] neg_hi:[0,1]
	v_pk_add_f32 v[68:69], v[68:69], v[92:93] neg_lo:[0,1] neg_hi:[0,1]
	s_wait_dscnt 0x0
	v_pk_mul_f32 v[92:93], v[88:89], v[80:81] op_sel:[0,1]
	s_delay_alu instid0(VALU_DEP_1) | instskip(SKIP_2) | instid1(VALU_DEP_2)
	v_pk_fma_f32 v[94:95], v[88:89], v[78:79], v[92:93] op_sel:[0,0,1] op_sel_hi:[1,1,0] neg_lo:[0,0,1] neg_hi:[0,0,1]
	v_pk_fma_f32 v[88:89], v[88:89], v[78:79], v[92:93] op_sel:[0,0,1] op_sel_hi:[1,0,0]
	v_dual_mul_f32 v92, v91, v81 :: v_dual_mov_b32 v88, v91
	v_dual_mov_b32 v95, v89 :: v_dual_mov_b32 v89, v90
	s_delay_alu instid0(VALU_DEP_2) | instskip(SKIP_1) | instid1(VALU_DEP_3)
	v_pk_fma_f32 v[92:93], v[90:91], v[74:75], v[92:93] op_sel_hi:[1,1,0] neg_lo:[0,0,1] neg_hi:[0,0,1]
	v_mul_f32_e32 v90, v91, v78
	v_pk_add_f32 v[42:43], v[42:43], v[94:95] neg_lo:[0,1] neg_hi:[0,1]
	s_delay_alu instid0(VALU_DEP_2) | instskip(NEXT) | instid1(VALU_DEP_1)
	v_pk_fma_f32 v[88:89], v[88:89], v[74:75], v[90:91] op_sel_hi:[1,1,0]
	v_mov_b32_e32 v93, v89
	ds_load_2addr_b64 v[88:91], v82 offset0:6 offset1:7
	v_pk_add_f32 v[34:35], v[34:35], v[92:93] neg_lo:[0,1] neg_hi:[0,1]
	s_wait_dscnt 0x0
	v_pk_mul_f32 v[92:93], v[88:89], v[80:81] op_sel:[0,1]
	s_delay_alu instid0(VALU_DEP_1) | instskip(SKIP_1) | instid1(VALU_DEP_1)
	v_pk_fma_f32 v[94:95], v[88:89], v[78:79], v[92:93] op_sel:[0,0,1] op_sel_hi:[1,1,0] neg_lo:[0,0,1] neg_hi:[0,0,1]
	v_pk_fma_f32 v[88:89], v[88:89], v[78:79], v[92:93] op_sel:[0,0,1] op_sel_hi:[1,0,0]
	v_mov_b32_e32 v95, v89
	v_pk_mul_f32 v[88:89], v[90:91], v[80:81] op_sel:[0,1]
	s_delay_alu instid0(VALU_DEP_1) | instskip(SKIP_1) | instid1(VALU_DEP_1)
	v_pk_fma_f32 v[92:93], v[90:91], v[78:79], v[88:89] op_sel:[0,0,1] op_sel_hi:[1,1,0] neg_lo:[0,0,1] neg_hi:[0,0,1]
	v_pk_fma_f32 v[88:89], v[90:91], v[78:79], v[88:89] op_sel:[0,0,1] op_sel_hi:[1,0,0]
	v_mov_b32_e32 v93, v89
	ds_load_2addr_b64 v[88:91], v82 offset0:8 offset1:9
	v_pk_add_f32 v[40:41], v[40:41], v[94:95] neg_lo:[0,1] neg_hi:[0,1]
	v_pk_add_f32 v[8:9], v[8:9], v[92:93] neg_lo:[0,1] neg_hi:[0,1]
	s_wait_dscnt 0x0
	v_pk_mul_f32 v[92:93], v[88:89], v[80:81] op_sel:[0,1]
	s_delay_alu instid0(VALU_DEP_1) | instskip(SKIP_1) | instid1(VALU_DEP_1)
	v_pk_fma_f32 v[94:95], v[88:89], v[78:79], v[92:93] op_sel:[0,0,1] op_sel_hi:[1,1,0] neg_lo:[0,0,1] neg_hi:[0,0,1]
	v_pk_fma_f32 v[88:89], v[88:89], v[78:79], v[92:93] op_sel:[0,0,1] op_sel_hi:[1,0,0]
	v_mov_b32_e32 v95, v89
	v_pk_mul_f32 v[88:89], v[90:91], v[80:81] op_sel:[0,1]
	s_delay_alu instid0(VALU_DEP_1) | instskip(SKIP_1) | instid1(VALU_DEP_1)
	v_pk_fma_f32 v[92:93], v[90:91], v[78:79], v[88:89] op_sel:[0,0,1] op_sel_hi:[1,1,0] neg_lo:[0,0,1] neg_hi:[0,0,1]
	v_pk_fma_f32 v[88:89], v[90:91], v[78:79], v[88:89] op_sel:[0,0,1] op_sel_hi:[1,0,0]
	v_mov_b32_e32 v93, v89
	ds_load_2addr_b64 v[88:91], v82 offset0:10 offset1:11
	v_pk_add_f32 v[48:49], v[48:49], v[94:95] neg_lo:[0,1] neg_hi:[0,1]
	v_pk_add_f32 v[44:45], v[44:45], v[92:93] neg_lo:[0,1] neg_hi:[0,1]
	s_wait_dscnt 0x0
	v_dual_mul_f32 v92, v89, v81 :: v_dual_mul_f32 v94, v89, v78
	s_delay_alu instid0(VALU_DEP_1) | instskip(NEXT) | instid1(VALU_DEP_2)
	v_pk_fma_f32 v[92:93], v[88:89], v[74:75], v[92:93] op_sel_hi:[1,1,0] neg_lo:[0,0,1] neg_hi:[0,0,1]
	v_pk_fma_f32 v[88:89], v[88:89], v[74:75], v[94:95] op_sel:[1,0,0] op_sel_hi:[0,1,0]
	s_delay_alu instid0(VALU_DEP_1) | instskip(SKIP_1) | instid1(VALU_DEP_2)
	v_mov_b32_e32 v93, v89
	v_pk_mul_f32 v[88:89], v[90:91], v[80:81] op_sel:[0,1]
	v_pk_add_f32 v[46:47], v[46:47], v[92:93] neg_lo:[0,1] neg_hi:[0,1]
	s_delay_alu instid0(VALU_DEP_2) | instskip(SKIP_1) | instid1(VALU_DEP_1)
	v_pk_fma_f32 v[92:93], v[90:91], v[78:79], v[88:89] op_sel:[0,0,1] op_sel_hi:[1,1,0] neg_lo:[0,0,1] neg_hi:[0,0,1]
	v_pk_fma_f32 v[88:89], v[90:91], v[78:79], v[88:89] op_sel:[0,0,1] op_sel_hi:[1,0,0]
	v_mov_b32_e32 v93, v89
	ds_load_2addr_b64 v[88:91], v82 offset0:12 offset1:13
	v_pk_add_f32 v[12:13], v[12:13], v[92:93] neg_lo:[0,1] neg_hi:[0,1]
	s_wait_dscnt 0x0
	v_pk_mul_f32 v[92:93], v[88:89], v[80:81] op_sel:[0,1]
	s_delay_alu instid0(VALU_DEP_1) | instskip(SKIP_1) | instid1(VALU_DEP_1)
	v_pk_fma_f32 v[94:95], v[88:89], v[78:79], v[92:93] op_sel:[0,0,1] op_sel_hi:[1,1,0] neg_lo:[0,0,1] neg_hi:[0,0,1]
	v_pk_fma_f32 v[88:89], v[88:89], v[78:79], v[92:93] op_sel:[0,0,1] op_sel_hi:[1,0,0]
	v_mov_b32_e32 v95, v89
	v_pk_mul_f32 v[88:89], v[90:91], v[80:81] op_sel:[0,1]
	s_delay_alu instid0(VALU_DEP_2) | instskip(NEXT) | instid1(VALU_DEP_2)
	v_pk_add_f32 v[66:67], v[66:67], v[94:95] neg_lo:[0,1] neg_hi:[0,1]
	v_pk_fma_f32 v[92:93], v[90:91], v[78:79], v[88:89] op_sel:[0,0,1] op_sel_hi:[1,1,0] neg_lo:[0,0,1] neg_hi:[0,0,1]
	v_pk_fma_f32 v[88:89], v[90:91], v[78:79], v[88:89] op_sel:[0,0,1] op_sel_hi:[1,0,0]
	s_delay_alu instid0(VALU_DEP_1) | instskip(SKIP_4) | instid1(VALU_DEP_1)
	v_mov_b32_e32 v93, v89
	ds_load_2addr_b64 v[88:91], v82 offset0:14 offset1:15
	v_pk_add_f32 v[62:63], v[62:63], v[92:93] neg_lo:[0,1] neg_hi:[0,1]
	s_wait_dscnt 0x0
	v_pk_mul_f32 v[92:93], v[88:89], v[80:81] op_sel:[0,1]
	v_pk_fma_f32 v[94:95], v[88:89], v[78:79], v[92:93] op_sel:[0,0,1] op_sel_hi:[1,1,0] neg_lo:[0,0,1] neg_hi:[0,0,1]
	v_pk_fma_f32 v[88:89], v[88:89], v[78:79], v[92:93] op_sel:[0,0,1] op_sel_hi:[1,0,0]
	v_dual_mul_f32 v92, v91, v81 :: v_dual_mov_b32 v88, v91
	s_delay_alu instid0(VALU_DEP_2) | instskip(NEXT) | instid1(VALU_DEP_2)
	v_dual_mov_b32 v95, v89 :: v_dual_mov_b32 v89, v90
	v_pk_fma_f32 v[92:93], v[90:91], v[74:75], v[92:93] op_sel_hi:[1,1,0] neg_lo:[0,0,1] neg_hi:[0,0,1]
	v_mul_f32_e32 v90, v91, v78
	s_delay_alu instid0(VALU_DEP_3) | instskip(NEXT) | instid1(VALU_DEP_2)
	v_pk_add_f32 v[64:65], v[64:65], v[94:95] neg_lo:[0,1] neg_hi:[0,1]
	v_pk_fma_f32 v[88:89], v[88:89], v[74:75], v[90:91] op_sel_hi:[1,1,0]
	s_delay_alu instid0(VALU_DEP_1) | instskip(SKIP_4) | instid1(VALU_DEP_1)
	v_mov_b32_e32 v93, v89
	ds_load_2addr_b64 v[88:91], v82 offset0:16 offset1:17
	v_pk_add_f32 v[22:23], v[22:23], v[92:93] neg_lo:[0,1] neg_hi:[0,1]
	s_wait_dscnt 0x0
	v_pk_mul_f32 v[92:93], v[88:89], v[80:81] op_sel:[0,1]
	v_pk_fma_f32 v[94:95], v[88:89], v[78:79], v[92:93] op_sel:[0,0,1] op_sel_hi:[1,1,0] neg_lo:[0,0,1] neg_hi:[0,0,1]
	v_pk_fma_f32 v[88:89], v[88:89], v[78:79], v[92:93] op_sel:[0,0,1] op_sel_hi:[1,0,0]
	s_delay_alu instid0(VALU_DEP_1) | instskip(SKIP_1) | instid1(VALU_DEP_1)
	v_mov_b32_e32 v95, v89
	v_pk_mul_f32 v[88:89], v[90:91], v[80:81] op_sel:[0,1]
	v_pk_fma_f32 v[92:93], v[90:91], v[78:79], v[88:89] op_sel:[0,0,1] op_sel_hi:[1,1,0] neg_lo:[0,0,1] neg_hi:[0,0,1]
	v_pk_fma_f32 v[88:89], v[90:91], v[78:79], v[88:89] op_sel:[0,0,1] op_sel_hi:[1,0,0]
	s_delay_alu instid0(VALU_DEP_1)
	v_mov_b32_e32 v93, v89
	ds_load_2addr_b64 v[88:91], v82 offset0:18 offset1:19
	v_pk_add_f32 v[60:61], v[60:61], v[94:95] neg_lo:[0,1] neg_hi:[0,1]
	v_pk_add_f32 v[56:57], v[56:57], v[92:93] neg_lo:[0,1] neg_hi:[0,1]
	s_wait_dscnt 0x0
	v_pk_mul_f32 v[92:93], v[88:89], v[80:81] op_sel:[0,1]
	s_delay_alu instid0(VALU_DEP_1) | instskip(SKIP_1) | instid1(VALU_DEP_1)
	v_pk_fma_f32 v[94:95], v[88:89], v[78:79], v[92:93] op_sel:[0,0,1] op_sel_hi:[1,1,0] neg_lo:[0,0,1] neg_hi:[0,0,1]
	v_pk_fma_f32 v[88:89], v[88:89], v[78:79], v[92:93] op_sel:[0,0,1] op_sel_hi:[1,0,0]
	v_mov_b32_e32 v95, v89
	v_pk_mul_f32 v[88:89], v[90:91], v[80:81] op_sel:[0,1]
	s_delay_alu instid0(VALU_DEP_1) | instskip(SKIP_1) | instid1(VALU_DEP_1)
	v_pk_fma_f32 v[92:93], v[90:91], v[78:79], v[88:89] op_sel:[0,0,1] op_sel_hi:[1,1,0] neg_lo:[0,0,1] neg_hi:[0,0,1]
	v_pk_fma_f32 v[88:89], v[90:91], v[78:79], v[88:89] op_sel:[0,0,1] op_sel_hi:[1,0,0]
	v_mov_b32_e32 v93, v89
	ds_load_2addr_b64 v[88:91], v82 offset0:20 offset1:21
	v_pk_add_f32 v[58:59], v[58:59], v[94:95] neg_lo:[0,1] neg_hi:[0,1]
	v_pk_add_f32 v[16:17], v[16:17], v[92:93] neg_lo:[0,1] neg_hi:[0,1]
	s_wait_dscnt 0x0
	v_dual_mul_f32 v92, v89, v81 :: v_dual_mul_f32 v94, v89, v78
	s_delay_alu instid0(VALU_DEP_1) | instskip(NEXT) | instid1(VALU_DEP_2)
	v_pk_fma_f32 v[92:93], v[88:89], v[74:75], v[92:93] op_sel_hi:[1,1,0] neg_lo:[0,0,1] neg_hi:[0,0,1]
	v_pk_fma_f32 v[88:89], v[88:89], v[74:75], v[94:95] op_sel:[1,0,0] op_sel_hi:[0,1,0]
	s_delay_alu instid0(VALU_DEP_1) | instskip(SKIP_1) | instid1(VALU_DEP_2)
	v_mov_b32_e32 v93, v89
	v_pk_mul_f32 v[88:89], v[90:91], v[80:81] op_sel:[0,1]
	v_pk_add_f32 v[54:55], v[54:55], v[92:93] neg_lo:[0,1] neg_hi:[0,1]
	s_delay_alu instid0(VALU_DEP_2) | instskip(SKIP_1) | instid1(VALU_DEP_1)
	v_pk_fma_f32 v[92:93], v[90:91], v[78:79], v[88:89] op_sel:[0,0,1] op_sel_hi:[1,1,0] neg_lo:[0,0,1] neg_hi:[0,0,1]
	v_pk_fma_f32 v[88:89], v[90:91], v[78:79], v[88:89] op_sel:[0,0,1] op_sel_hi:[1,0,0]
	v_mov_b32_e32 v93, v89
	ds_load_2addr_b64 v[88:91], v82 offset0:22 offset1:23
	v_pk_add_f32 v[50:51], v[50:51], v[92:93] neg_lo:[0,1] neg_hi:[0,1]
	s_wait_dscnt 0x0
	v_pk_mul_f32 v[92:93], v[88:89], v[80:81] op_sel:[0,1]
	s_delay_alu instid0(VALU_DEP_1) | instskip(SKIP_1) | instid1(VALU_DEP_1)
	v_pk_fma_f32 v[94:95], v[88:89], v[78:79], v[92:93] op_sel:[0,0,1] op_sel_hi:[1,1,0] neg_lo:[0,0,1] neg_hi:[0,0,1]
	v_pk_fma_f32 v[88:89], v[88:89], v[78:79], v[92:93] op_sel:[0,0,1] op_sel_hi:[1,0,0]
	v_mov_b32_e32 v95, v89
	v_pk_mul_f32 v[88:89], v[90:91], v[80:81] op_sel:[0,1]
	s_delay_alu instid0(VALU_DEP_2) | instskip(NEXT) | instid1(VALU_DEP_2)
	v_pk_add_f32 v[52:53], v[52:53], v[94:95] neg_lo:[0,1] neg_hi:[0,1]
	v_pk_fma_f32 v[92:93], v[90:91], v[78:79], v[88:89] op_sel:[0,0,1] op_sel_hi:[1,1,0] neg_lo:[0,0,1] neg_hi:[0,0,1]
	v_pk_fma_f32 v[88:89], v[90:91], v[78:79], v[88:89] op_sel:[0,0,1] op_sel_hi:[1,0,0]
	s_delay_alu instid0(VALU_DEP_1) | instskip(SKIP_4) | instid1(VALU_DEP_1)
	v_mov_b32_e32 v93, v89
	ds_load_2addr_b64 v[88:91], v82 offset0:24 offset1:25
	v_pk_add_f32 v[14:15], v[14:15], v[92:93] neg_lo:[0,1] neg_hi:[0,1]
	s_wait_dscnt 0x0
	v_pk_mul_f32 v[92:93], v[88:89], v[80:81] op_sel:[0,1]
	v_pk_fma_f32 v[94:95], v[88:89], v[78:79], v[92:93] op_sel:[0,0,1] op_sel_hi:[1,1,0] neg_lo:[0,0,1] neg_hi:[0,0,1]
	v_pk_fma_f32 v[88:89], v[88:89], v[78:79], v[92:93] op_sel:[0,0,1] op_sel_hi:[1,0,0]
	v_dual_mul_f32 v92, v91, v81 :: v_dual_mov_b32 v88, v91
	s_delay_alu instid0(VALU_DEP_2) | instskip(NEXT) | instid1(VALU_DEP_2)
	v_dual_mov_b32 v95, v89 :: v_dual_mov_b32 v89, v90
	v_pk_fma_f32 v[92:93], v[90:91], v[74:75], v[92:93] op_sel_hi:[1,1,0] neg_lo:[0,0,1] neg_hi:[0,0,1]
	v_mul_f32_e32 v90, v91, v78
	s_delay_alu instid0(VALU_DEP_3) | instskip(NEXT) | instid1(VALU_DEP_2)
	v_pk_add_f32 v[38:39], v[38:39], v[94:95] neg_lo:[0,1] neg_hi:[0,1]
	v_pk_fma_f32 v[88:89], v[88:89], v[74:75], v[90:91] op_sel_hi:[1,1,0]
	s_delay_alu instid0(VALU_DEP_1) | instskip(SKIP_4) | instid1(VALU_DEP_1)
	v_mov_b32_e32 v93, v89
	ds_load_2addr_b64 v[88:91], v82 offset0:26 offset1:27
	v_pk_add_f32 v[32:33], v[32:33], v[92:93] neg_lo:[0,1] neg_hi:[0,1]
	s_wait_dscnt 0x0
	v_pk_mul_f32 v[92:93], v[88:89], v[80:81] op_sel:[0,1]
	v_pk_fma_f32 v[94:95], v[88:89], v[78:79], v[92:93] op_sel:[0,0,1] op_sel_hi:[1,1,0] neg_lo:[0,0,1] neg_hi:[0,0,1]
	v_pk_fma_f32 v[88:89], v[88:89], v[78:79], v[92:93] op_sel:[0,0,1] op_sel_hi:[1,0,0]
	s_delay_alu instid0(VALU_DEP_1) | instskip(SKIP_1) | instid1(VALU_DEP_1)
	v_mov_b32_e32 v95, v89
	v_pk_mul_f32 v[88:89], v[90:91], v[80:81] op_sel:[0,1]
	v_pk_fma_f32 v[92:93], v[90:91], v[78:79], v[88:89] op_sel:[0,0,1] op_sel_hi:[1,1,0] neg_lo:[0,0,1] neg_hi:[0,0,1]
	v_pk_fma_f32 v[88:89], v[90:91], v[78:79], v[88:89] op_sel:[0,0,1] op_sel_hi:[1,0,0]
	s_delay_alu instid0(VALU_DEP_1)
	v_mov_b32_e32 v93, v89
	ds_load_2addr_b64 v[88:91], v82 offset0:28 offset1:29
	v_pk_add_f32 v[36:37], v[36:37], v[94:95] neg_lo:[0,1] neg_hi:[0,1]
	v_pk_add_f32 v[6:7], v[6:7], v[92:93] neg_lo:[0,1] neg_hi:[0,1]
	s_wait_dscnt 0x0
	v_pk_mul_f32 v[92:93], v[88:89], v[80:81] op_sel:[0,1]
	s_delay_alu instid0(VALU_DEP_1) | instskip(SKIP_1) | instid1(VALU_DEP_1)
	v_pk_fma_f32 v[94:95], v[88:89], v[78:79], v[92:93] op_sel:[0,0,1] op_sel_hi:[1,1,0] neg_lo:[0,0,1] neg_hi:[0,0,1]
	v_pk_fma_f32 v[88:89], v[88:89], v[78:79], v[92:93] op_sel:[0,0,1] op_sel_hi:[1,0,0]
	v_mov_b32_e32 v95, v89
	v_pk_mul_f32 v[88:89], v[90:91], v[80:81] op_sel:[0,1]
	s_delay_alu instid0(VALU_DEP_1) | instskip(SKIP_1) | instid1(VALU_DEP_1)
	v_pk_fma_f32 v[92:93], v[90:91], v[78:79], v[88:89] op_sel:[0,0,1] op_sel_hi:[1,1,0] neg_lo:[0,0,1] neg_hi:[0,0,1]
	v_pk_fma_f32 v[88:89], v[90:91], v[78:79], v[88:89] op_sel:[0,0,1] op_sel_hi:[1,0,0]
	v_mov_b32_e32 v93, v89
	ds_load_2addr_b64 v[88:91], v82 offset0:30 offset1:31
	v_pk_add_f32 v[30:31], v[30:31], v[94:95] neg_lo:[0,1] neg_hi:[0,1]
	v_pk_add_f32 v[26:27], v[26:27], v[92:93] neg_lo:[0,1] neg_hi:[0,1]
	s_wait_dscnt 0x0
	v_dual_mul_f32 v92, v89, v81 :: v_dual_mul_f32 v94, v89, v78
	s_delay_alu instid0(VALU_DEP_1) | instskip(NEXT) | instid1(VALU_DEP_2)
	v_pk_fma_f32 v[92:93], v[88:89], v[74:75], v[92:93] op_sel_hi:[1,1,0] neg_lo:[0,0,1] neg_hi:[0,0,1]
	v_pk_fma_f32 v[88:89], v[88:89], v[74:75], v[94:95] op_sel:[1,0,0] op_sel_hi:[0,1,0]
	s_delay_alu instid0(VALU_DEP_1) | instskip(SKIP_1) | instid1(VALU_DEP_2)
	v_mov_b32_e32 v93, v89
	v_pk_mul_f32 v[88:89], v[90:91], v[80:81] op_sel:[0,1]
	v_pk_add_f32 v[28:29], v[28:29], v[92:93] neg_lo:[0,1] neg_hi:[0,1]
	s_delay_alu instid0(VALU_DEP_2) | instskip(SKIP_1) | instid1(VALU_DEP_1)
	v_pk_fma_f32 v[92:93], v[90:91], v[78:79], v[88:89] op_sel:[0,0,1] op_sel_hi:[1,1,0] neg_lo:[0,0,1] neg_hi:[0,0,1]
	v_pk_fma_f32 v[88:89], v[90:91], v[78:79], v[88:89] op_sel:[0,0,1] op_sel_hi:[1,0,0]
	v_mov_b32_e32 v93, v89
	ds_load_2addr_b64 v[88:91], v82 offset0:32 offset1:33
	v_pk_add_f32 v[10:11], v[10:11], v[92:93] neg_lo:[0,1] neg_hi:[0,1]
	s_wait_dscnt 0x0
	v_pk_mul_f32 v[92:93], v[88:89], v[80:81] op_sel:[0,1]
	s_delay_alu instid0(VALU_DEP_1) | instskip(SKIP_1) | instid1(VALU_DEP_1)
	v_pk_fma_f32 v[94:95], v[88:89], v[78:79], v[92:93] op_sel:[0,0,1] op_sel_hi:[1,1,0] neg_lo:[0,0,1] neg_hi:[0,0,1]
	v_pk_fma_f32 v[88:89], v[88:89], v[78:79], v[92:93] op_sel:[0,0,1] op_sel_hi:[1,0,0]
	v_mov_b32_e32 v95, v89
	v_pk_mul_f32 v[88:89], v[90:91], v[80:81] op_sel:[0,1]
	s_delay_alu instid0(VALU_DEP_2) | instskip(NEXT) | instid1(VALU_DEP_2)
	v_pk_add_f32 v[24:25], v[24:25], v[94:95] neg_lo:[0,1] neg_hi:[0,1]
	v_pk_fma_f32 v[92:93], v[90:91], v[78:79], v[88:89] op_sel:[0,0,1] op_sel_hi:[1,1,0] neg_lo:[0,0,1] neg_hi:[0,0,1]
	v_pk_fma_f32 v[88:89], v[90:91], v[78:79], v[88:89] op_sel:[0,0,1] op_sel_hi:[1,0,0]
	s_delay_alu instid0(VALU_DEP_1)
	v_mov_b32_e32 v93, v89
	ds_load_2addr_b64 v[88:91], v82 offset0:34 offset1:35
	v_pk_add_f32 v[20:21], v[20:21], v[92:93] neg_lo:[0,1] neg_hi:[0,1]
	s_wait_dscnt 0x0
	v_pk_mul_f32 v[92:93], v[88:89], v[80:81] op_sel:[0,1]
	v_pk_mul_f32 v[80:81], v[90:91], v[80:81] op_sel:[0,1]
	s_delay_alu instid0(VALU_DEP_2) | instskip(SKIP_1) | instid1(VALU_DEP_1)
	v_pk_fma_f32 v[94:95], v[88:89], v[78:79], v[92:93] op_sel:[0,0,1] op_sel_hi:[1,1,0] neg_lo:[0,0,1] neg_hi:[0,0,1]
	v_pk_fma_f32 v[88:89], v[88:89], v[78:79], v[92:93] op_sel:[0,0,1] op_sel_hi:[1,0,0]
	v_mov_b32_e32 v95, v89
	s_delay_alu instid0(VALU_DEP_4) | instskip(SKIP_1) | instid1(VALU_DEP_3)
	v_pk_fma_f32 v[88:89], v[90:91], v[78:79], v[80:81] op_sel:[0,0,1] op_sel_hi:[1,1,0] neg_lo:[0,0,1] neg_hi:[0,0,1]
	v_pk_fma_f32 v[78:79], v[90:91], v[78:79], v[80:81] op_sel:[0,0,1] op_sel_hi:[1,0,0]
	v_pk_add_f32 v[18:19], v[18:19], v[94:95] neg_lo:[0,1] neg_hi:[0,1]
	s_delay_alu instid0(VALU_DEP_2) | instskip(NEXT) | instid1(VALU_DEP_1)
	v_mov_b32_e32 v89, v79
	v_pk_add_f32 v[76:77], v[76:77], v[88:89] neg_lo:[0,1] neg_hi:[0,1]
.LBB70_41:
	s_or_b32 exec_lo, exec_lo, s0
	v_lshl_add_u32 v78, v86, 3, v82
	s_barrier_signal -1
	s_barrier_wait -1
	ds_store_b64 v78, v[70:71]
	s_wait_dscnt 0x0
	s_barrier_signal -1
	s_barrier_wait -1
	ds_load_b64 v[80:81], v82 offset:16
	v_mov_b32_e32 v78, 2
	s_cmp_lt_i32 s18, 4
	s_mov_b32 s0, 3
	s_cbranch_scc1 .LBB70_44
; %bb.42:
	v_add3_u32 v79, v83, 0, 24
	v_mov_b32_e32 v78, 2
.LBB70_43:                              ; =>This Inner Loop Header: Depth=1
	ds_load_b64 v[88:89], v79
	s_wait_dscnt 0x1
	v_cmp_gt_f32_e32 vcc_lo, 0, v80
	v_cndmask_b32_e64 v90, v80, -v80, vcc_lo
	v_cmp_gt_f32_e32 vcc_lo, 0, v81
	v_cndmask_b32_e64 v92, v81, -v81, vcc_lo
	s_wait_dscnt 0x0
	v_cmp_gt_f32_e32 vcc_lo, 0, v88
	v_cndmask_b32_e64 v91, v88, -v88, vcc_lo
	v_cmp_gt_f32_e32 vcc_lo, 0, v89
	v_cndmask_b32_e64 v93, v89, -v89, vcc_lo
	s_delay_alu instid0(VALU_DEP_1) | instskip(NEXT) | instid1(VALU_DEP_1)
	v_pk_add_f32 v[90:91], v[90:91], v[92:93]
	v_cmp_lt_f32_e32 vcc_lo, v90, v91
	v_dual_add_nc_u32 v79, 8, v79 :: v_dual_cndmask_b32 v81, v81, v89, vcc_lo
	v_cndmask_b32_e32 v80, v80, v88, vcc_lo
	v_cndmask_b32_e64 v78, v78, s0, vcc_lo
	s_add_co_i32 s0, s0, 1
	s_delay_alu instid0(SALU_CYCLE_1)
	s_cmp_lg_u32 s18, s0
	s_cbranch_scc1 .LBB70_43
.LBB70_44:
	s_wait_dscnt 0x0
	v_cmp_eq_f32_e32 vcc_lo, 0, v80
	v_cmp_eq_f32_e64 s0, 0, v81
	s_and_b32 s0, vcc_lo, s0
	s_delay_alu instid0(SALU_CYCLE_1) | instskip(NEXT) | instid1(SALU_CYCLE_1)
	s_and_saveexec_b32 s1, s0
	s_xor_b32 s0, exec_lo, s1
; %bb.45:
	v_cmp_ne_u32_e32 vcc_lo, 0, v84
	v_cndmask_b32_e32 v84, 3, v84, vcc_lo
; %bb.46:
	s_and_not1_saveexec_b32 s0, s0
	s_cbranch_execz .LBB70_52
; %bb.47:
	v_cmp_ngt_f32_e64 s1, |v80|, |v81|
	s_and_saveexec_b32 s12, s1
	s_delay_alu instid0(SALU_CYCLE_1)
	s_xor_b32 s1, exec_lo, s12
	s_cbranch_execz .LBB70_49
; %bb.48:
	v_div_scale_f32 v79, null, v81, v81, v80
	v_div_scale_f32 v89, vcc_lo, v80, v81, v80
	s_delay_alu instid0(VALU_DEP_2) | instskip(SKIP_1) | instid1(TRANS32_DEP_1)
	v_rcp_f32_e32 v87, v79
	v_nop
	v_fma_f32 v88, -v79, v87, 1.0
	s_delay_alu instid0(VALU_DEP_1) | instskip(NEXT) | instid1(VALU_DEP_1)
	v_fmac_f32_e32 v87, v88, v87
	v_mul_f32_e32 v88, v89, v87
	s_delay_alu instid0(VALU_DEP_1) | instskip(NEXT) | instid1(VALU_DEP_1)
	v_fma_f32 v90, -v79, v88, v89
	v_fmac_f32_e32 v88, v90, v87
	s_delay_alu instid0(VALU_DEP_1) | instskip(NEXT) | instid1(VALU_DEP_1)
	v_fma_f32 v79, -v79, v88, v89
	v_div_fmas_f32 v79, v79, v87, v88
	s_delay_alu instid0(VALU_DEP_1) | instskip(NEXT) | instid1(VALU_DEP_1)
	v_div_fixup_f32 v79, v79, v81, v80
	v_fmac_f32_e32 v81, v80, v79
	s_delay_alu instid0(VALU_DEP_1) | instskip(SKIP_1) | instid1(VALU_DEP_2)
	v_div_scale_f32 v80, null, v81, v81, 1.0
	v_div_scale_f32 v89, vcc_lo, 1.0, v81, 1.0
	v_rcp_f32_e32 v87, v80
	v_nop
	s_delay_alu instid0(TRANS32_DEP_1) | instskip(NEXT) | instid1(VALU_DEP_1)
	v_fma_f32 v88, -v80, v87, 1.0
	v_fmac_f32_e32 v87, v88, v87
	s_delay_alu instid0(VALU_DEP_1) | instskip(NEXT) | instid1(VALU_DEP_1)
	v_mul_f32_e32 v88, v89, v87
	v_fma_f32 v90, -v80, v88, v89
	s_delay_alu instid0(VALU_DEP_1) | instskip(NEXT) | instid1(VALU_DEP_1)
	v_fmac_f32_e32 v88, v90, v87
	v_fma_f32 v80, -v80, v88, v89
	s_delay_alu instid0(VALU_DEP_1) | instskip(NEXT) | instid1(VALU_DEP_1)
	v_div_fmas_f32 v80, v80, v87, v88
	v_div_fixup_f32 v81, v80, v81, 1.0
	s_delay_alu instid0(VALU_DEP_1)
	v_mul_f32_e32 v80, v79, v81
	v_xor_b32_e32 v81, 0x80000000, v81
.LBB70_49:
	s_and_not1_saveexec_b32 s1, s1
	s_cbranch_execz .LBB70_51
; %bb.50:
	s_delay_alu instid0(VALU_DEP_1) | instskip(SKIP_1) | instid1(VALU_DEP_2)
	v_div_scale_f32 v79, null, v80, v80, v81
	v_div_scale_f32 v89, vcc_lo, v81, v80, v81
	v_rcp_f32_e32 v87, v79
	v_nop
	s_delay_alu instid0(TRANS32_DEP_1) | instskip(NEXT) | instid1(VALU_DEP_1)
	v_fma_f32 v88, -v79, v87, 1.0
	v_fmac_f32_e32 v87, v88, v87
	s_delay_alu instid0(VALU_DEP_1) | instskip(NEXT) | instid1(VALU_DEP_1)
	v_mul_f32_e32 v88, v89, v87
	v_fma_f32 v90, -v79, v88, v89
	s_delay_alu instid0(VALU_DEP_1) | instskip(NEXT) | instid1(VALU_DEP_1)
	v_fmac_f32_e32 v88, v90, v87
	v_fma_f32 v79, -v79, v88, v89
	s_delay_alu instid0(VALU_DEP_1) | instskip(NEXT) | instid1(VALU_DEP_1)
	v_div_fmas_f32 v79, v79, v87, v88
	v_div_fixup_f32 v79, v79, v80, v81
	s_delay_alu instid0(VALU_DEP_1) | instskip(NEXT) | instid1(VALU_DEP_1)
	v_fmac_f32_e32 v80, v81, v79
	v_div_scale_f32 v81, null, v80, v80, 1.0
	s_delay_alu instid0(VALU_DEP_1) | instskip(SKIP_1) | instid1(TRANS32_DEP_1)
	v_rcp_f32_e32 v87, v81
	v_nop
	v_fma_f32 v88, -v81, v87, 1.0
	s_delay_alu instid0(VALU_DEP_1) | instskip(SKIP_1) | instid1(VALU_DEP_1)
	v_fmac_f32_e32 v87, v88, v87
	v_div_scale_f32 v88, vcc_lo, 1.0, v80, 1.0
	v_mul_f32_e32 v89, v88, v87
	s_delay_alu instid0(VALU_DEP_1) | instskip(NEXT) | instid1(VALU_DEP_1)
	v_fma_f32 v90, -v81, v89, v88
	v_fmac_f32_e32 v89, v90, v87
	s_delay_alu instid0(VALU_DEP_1) | instskip(NEXT) | instid1(VALU_DEP_1)
	v_fma_f32 v81, -v81, v89, v88
	v_div_fmas_f32 v81, v81, v87, v89
	s_delay_alu instid0(VALU_DEP_1) | instskip(NEXT) | instid1(VALU_DEP_1)
	v_div_fixup_f32 v80, v81, v80, 1.0
	v_mul_f32_e64 v81, v79, -v80
.LBB70_51:
	s_or_b32 exec_lo, exec_lo, s1
.LBB70_52:
	s_delay_alu instid0(SALU_CYCLE_1) | instskip(NEXT) | instid1(SALU_CYCLE_1)
	s_or_b32 exec_lo, exec_lo, s0
	s_mov_b32 s0, exec_lo
	v_cmpx_ne_u32_e64 v86, v78
	s_xor_b32 s0, exec_lo, s0
	s_cbranch_execz .LBB70_58
; %bb.53:
	s_mov_b32 s1, exec_lo
	v_cmpx_eq_u32_e32 2, v86
	s_cbranch_execz .LBB70_57
; %bb.54:
	v_cmp_ne_u32_e32 vcc_lo, 2, v78
	s_xor_b32 s12, s16, -1
	s_delay_alu instid0(SALU_CYCLE_1) | instskip(NEXT) | instid1(SALU_CYCLE_1)
	s_and_b32 s13, s12, vcc_lo
	s_and_saveexec_b32 s12, s13
	s_cbranch_execz .LBB70_56
; %bb.55:
	v_ashrrev_i32_e32 v79, 31, v78
	s_delay_alu instid0(VALU_DEP_1)
	v_lshl_add_u64 v[86:87], v[78:79], 2, v[4:5]
	s_clause 0x1
	global_load_b32 v79, v[86:87], off
	global_load_b32 v85, v[4:5], off offset:8
	s_wait_loadcnt 0x1
	global_store_b32 v[4:5], v79, off offset:8
	s_wait_loadcnt 0x0
	global_store_b32 v[86:87], v85, off
.LBB70_56:
	s_wait_xcnt 0x0
	s_or_b32 exec_lo, exec_lo, s12
	v_dual_mov_b32 v86, v78 :: v_dual_mov_b32 v85, v78
.LBB70_57:
	s_or_b32 exec_lo, exec_lo, s1
.LBB70_58:
	s_and_not1_saveexec_b32 s0, s0
	s_cbranch_execz .LBB70_60
; %bb.59:
	v_mov_b32_e32 v86, 2
	ds_store_2addr_b64 v82, v[68:69], v[42:43] offset0:3 offset1:4
	ds_store_2addr_b64 v82, v[34:35], v[40:41] offset0:5 offset1:6
	;; [unrolled: 1-line block ×16, first 2 shown]
	ds_store_b64 v82, v[76:77] offset:280
.LBB70_60:
	s_or_b32 exec_lo, exec_lo, s0
	s_delay_alu instid0(SALU_CYCLE_1)
	s_mov_b32 s0, exec_lo
	s_wait_storecnt_dscnt 0x0
	s_barrier_signal -1
	s_barrier_wait -1
	v_cmpx_lt_i32_e32 2, v86
	s_cbranch_execz .LBB70_62
; %bb.61:
	v_pk_mul_f32 v[88:89], v[80:81], v[70:71] op_sel:[1,1] op_sel_hi:[0,1]
	s_delay_alu instid0(VALU_DEP_1)
	v_pk_fma_f32 v[78:79], v[80:81], v[70:71], v[88:89] op_sel_hi:[1,0,1] neg_lo:[0,0,1] neg_hi:[0,0,1]
	v_pk_fma_f32 v[80:81], v[80:81], v[70:71], v[88:89] op_sel_hi:[1,0,1]
	ds_load_2addr_b64 v[88:91], v82 offset0:3 offset1:4
	v_dual_mov_b32 v70, v78 :: v_dual_mov_b32 v71, v81
	s_wait_dscnt 0x0
	v_pk_mul_f32 v[92:93], v[88:89], v[80:81] op_sel:[0,1]
	s_delay_alu instid0(VALU_DEP_1) | instskip(SKIP_1) | instid1(VALU_DEP_1)
	v_pk_fma_f32 v[94:95], v[88:89], v[78:79], v[92:93] op_sel:[0,0,1] op_sel_hi:[1,1,0] neg_lo:[0,0,1] neg_hi:[0,0,1]
	v_pk_fma_f32 v[88:89], v[88:89], v[78:79], v[92:93] op_sel:[0,0,1] op_sel_hi:[1,0,0]
	v_mov_b32_e32 v95, v89
	v_pk_mul_f32 v[88:89], v[90:91], v[80:81] op_sel:[0,1]
	s_delay_alu instid0(VALU_DEP_1) | instskip(SKIP_1) | instid1(VALU_DEP_1)
	v_pk_fma_f32 v[92:93], v[90:91], v[78:79], v[88:89] op_sel:[0,0,1] op_sel_hi:[1,1,0] neg_lo:[0,0,1] neg_hi:[0,0,1]
	v_pk_fma_f32 v[88:89], v[90:91], v[78:79], v[88:89] op_sel:[0,0,1] op_sel_hi:[1,0,0]
	v_mov_b32_e32 v93, v89
	ds_load_2addr_b64 v[88:91], v82 offset0:5 offset1:6
	v_pk_add_f32 v[68:69], v[68:69], v[94:95] neg_lo:[0,1] neg_hi:[0,1]
	v_pk_add_f32 v[42:43], v[42:43], v[92:93] neg_lo:[0,1] neg_hi:[0,1]
	s_wait_dscnt 0x0
	v_pk_mul_f32 v[92:93], v[88:89], v[80:81] op_sel:[0,1]
	s_delay_alu instid0(VALU_DEP_1) | instskip(SKIP_2) | instid1(VALU_DEP_2)
	v_pk_fma_f32 v[94:95], v[88:89], v[78:79], v[92:93] op_sel:[0,0,1] op_sel_hi:[1,1,0] neg_lo:[0,0,1] neg_hi:[0,0,1]
	v_pk_fma_f32 v[88:89], v[88:89], v[78:79], v[92:93] op_sel:[0,0,1] op_sel_hi:[1,0,0]
	v_dual_mul_f32 v92, v91, v81 :: v_dual_mov_b32 v88, v91
	v_dual_mov_b32 v95, v89 :: v_dual_mov_b32 v89, v90
	s_delay_alu instid0(VALU_DEP_2) | instskip(SKIP_1) | instid1(VALU_DEP_3)
	v_pk_fma_f32 v[92:93], v[90:91], v[70:71], v[92:93] op_sel_hi:[1,1,0] neg_lo:[0,0,1] neg_hi:[0,0,1]
	v_mul_f32_e32 v90, v91, v78
	v_pk_add_f32 v[34:35], v[34:35], v[94:95] neg_lo:[0,1] neg_hi:[0,1]
	s_delay_alu instid0(VALU_DEP_2) | instskip(NEXT) | instid1(VALU_DEP_1)
	v_pk_fma_f32 v[88:89], v[88:89], v[70:71], v[90:91] op_sel_hi:[1,1,0]
	v_mov_b32_e32 v93, v89
	ds_load_2addr_b64 v[88:91], v82 offset0:7 offset1:8
	v_pk_add_f32 v[40:41], v[40:41], v[92:93] neg_lo:[0,1] neg_hi:[0,1]
	s_wait_dscnt 0x0
	v_pk_mul_f32 v[92:93], v[88:89], v[80:81] op_sel:[0,1]
	s_delay_alu instid0(VALU_DEP_1) | instskip(SKIP_1) | instid1(VALU_DEP_1)
	v_pk_fma_f32 v[94:95], v[88:89], v[78:79], v[92:93] op_sel:[0,0,1] op_sel_hi:[1,1,0] neg_lo:[0,0,1] neg_hi:[0,0,1]
	v_pk_fma_f32 v[88:89], v[88:89], v[78:79], v[92:93] op_sel:[0,0,1] op_sel_hi:[1,0,0]
	v_mov_b32_e32 v95, v89
	v_pk_mul_f32 v[88:89], v[90:91], v[80:81] op_sel:[0,1]
	s_delay_alu instid0(VALU_DEP_1) | instskip(SKIP_1) | instid1(VALU_DEP_1)
	v_pk_fma_f32 v[92:93], v[90:91], v[78:79], v[88:89] op_sel:[0,0,1] op_sel_hi:[1,1,0] neg_lo:[0,0,1] neg_hi:[0,0,1]
	v_pk_fma_f32 v[88:89], v[90:91], v[78:79], v[88:89] op_sel:[0,0,1] op_sel_hi:[1,0,0]
	v_mov_b32_e32 v93, v89
	ds_load_2addr_b64 v[88:91], v82 offset0:9 offset1:10
	v_pk_add_f32 v[8:9], v[8:9], v[94:95] neg_lo:[0,1] neg_hi:[0,1]
	v_pk_add_f32 v[48:49], v[48:49], v[92:93] neg_lo:[0,1] neg_hi:[0,1]
	s_wait_dscnt 0x0
	v_pk_mul_f32 v[92:93], v[88:89], v[80:81] op_sel:[0,1]
	s_delay_alu instid0(VALU_DEP_1) | instskip(SKIP_1) | instid1(VALU_DEP_1)
	v_pk_fma_f32 v[94:95], v[88:89], v[78:79], v[92:93] op_sel:[0,0,1] op_sel_hi:[1,1,0] neg_lo:[0,0,1] neg_hi:[0,0,1]
	v_pk_fma_f32 v[88:89], v[88:89], v[78:79], v[92:93] op_sel:[0,0,1] op_sel_hi:[1,0,0]
	v_mov_b32_e32 v95, v89
	v_pk_mul_f32 v[88:89], v[90:91], v[80:81] op_sel:[0,1]
	s_delay_alu instid0(VALU_DEP_1) | instskip(SKIP_1) | instid1(VALU_DEP_1)
	v_pk_fma_f32 v[92:93], v[90:91], v[78:79], v[88:89] op_sel:[0,0,1] op_sel_hi:[1,1,0] neg_lo:[0,0,1] neg_hi:[0,0,1]
	v_pk_fma_f32 v[88:89], v[90:91], v[78:79], v[88:89] op_sel:[0,0,1] op_sel_hi:[1,0,0]
	v_mov_b32_e32 v93, v89
	ds_load_2addr_b64 v[88:91], v82 offset0:11 offset1:12
	v_pk_add_f32 v[44:45], v[44:45], v[94:95] neg_lo:[0,1] neg_hi:[0,1]
	v_pk_add_f32 v[46:47], v[46:47], v[92:93] neg_lo:[0,1] neg_hi:[0,1]
	s_wait_dscnt 0x0
	v_dual_mul_f32 v92, v89, v81 :: v_dual_mul_f32 v94, v89, v78
	s_delay_alu instid0(VALU_DEP_1) | instskip(NEXT) | instid1(VALU_DEP_2)
	v_pk_fma_f32 v[92:93], v[88:89], v[70:71], v[92:93] op_sel_hi:[1,1,0] neg_lo:[0,0,1] neg_hi:[0,0,1]
	v_pk_fma_f32 v[88:89], v[88:89], v[70:71], v[94:95] op_sel:[1,0,0] op_sel_hi:[0,1,0]
	s_delay_alu instid0(VALU_DEP_1) | instskip(SKIP_1) | instid1(VALU_DEP_2)
	v_mov_b32_e32 v93, v89
	v_pk_mul_f32 v[88:89], v[90:91], v[80:81] op_sel:[0,1]
	v_pk_add_f32 v[12:13], v[12:13], v[92:93] neg_lo:[0,1] neg_hi:[0,1]
	s_delay_alu instid0(VALU_DEP_2) | instskip(SKIP_1) | instid1(VALU_DEP_1)
	v_pk_fma_f32 v[92:93], v[90:91], v[78:79], v[88:89] op_sel:[0,0,1] op_sel_hi:[1,1,0] neg_lo:[0,0,1] neg_hi:[0,0,1]
	v_pk_fma_f32 v[88:89], v[90:91], v[78:79], v[88:89] op_sel:[0,0,1] op_sel_hi:[1,0,0]
	v_mov_b32_e32 v93, v89
	ds_load_2addr_b64 v[88:91], v82 offset0:13 offset1:14
	v_pk_add_f32 v[66:67], v[66:67], v[92:93] neg_lo:[0,1] neg_hi:[0,1]
	s_wait_dscnt 0x0
	v_pk_mul_f32 v[92:93], v[88:89], v[80:81] op_sel:[0,1]
	s_delay_alu instid0(VALU_DEP_1) | instskip(SKIP_1) | instid1(VALU_DEP_1)
	v_pk_fma_f32 v[94:95], v[88:89], v[78:79], v[92:93] op_sel:[0,0,1] op_sel_hi:[1,1,0] neg_lo:[0,0,1] neg_hi:[0,0,1]
	v_pk_fma_f32 v[88:89], v[88:89], v[78:79], v[92:93] op_sel:[0,0,1] op_sel_hi:[1,0,0]
	v_mov_b32_e32 v95, v89
	v_pk_mul_f32 v[88:89], v[90:91], v[80:81] op_sel:[0,1]
	s_delay_alu instid0(VALU_DEP_2) | instskip(NEXT) | instid1(VALU_DEP_2)
	v_pk_add_f32 v[62:63], v[62:63], v[94:95] neg_lo:[0,1] neg_hi:[0,1]
	v_pk_fma_f32 v[92:93], v[90:91], v[78:79], v[88:89] op_sel:[0,0,1] op_sel_hi:[1,1,0] neg_lo:[0,0,1] neg_hi:[0,0,1]
	v_pk_fma_f32 v[88:89], v[90:91], v[78:79], v[88:89] op_sel:[0,0,1] op_sel_hi:[1,0,0]
	s_delay_alu instid0(VALU_DEP_1) | instskip(SKIP_4) | instid1(VALU_DEP_1)
	v_mov_b32_e32 v93, v89
	ds_load_2addr_b64 v[88:91], v82 offset0:15 offset1:16
	v_pk_add_f32 v[64:65], v[64:65], v[92:93] neg_lo:[0,1] neg_hi:[0,1]
	s_wait_dscnt 0x0
	v_pk_mul_f32 v[92:93], v[88:89], v[80:81] op_sel:[0,1]
	v_pk_fma_f32 v[94:95], v[88:89], v[78:79], v[92:93] op_sel:[0,0,1] op_sel_hi:[1,1,0] neg_lo:[0,0,1] neg_hi:[0,0,1]
	v_pk_fma_f32 v[88:89], v[88:89], v[78:79], v[92:93] op_sel:[0,0,1] op_sel_hi:[1,0,0]
	v_dual_mul_f32 v92, v91, v81 :: v_dual_mov_b32 v88, v91
	s_delay_alu instid0(VALU_DEP_2) | instskip(NEXT) | instid1(VALU_DEP_2)
	v_dual_mov_b32 v95, v89 :: v_dual_mov_b32 v89, v90
	v_pk_fma_f32 v[92:93], v[90:91], v[70:71], v[92:93] op_sel_hi:[1,1,0] neg_lo:[0,0,1] neg_hi:[0,0,1]
	v_mul_f32_e32 v90, v91, v78
	s_delay_alu instid0(VALU_DEP_3) | instskip(NEXT) | instid1(VALU_DEP_2)
	v_pk_add_f32 v[22:23], v[22:23], v[94:95] neg_lo:[0,1] neg_hi:[0,1]
	v_pk_fma_f32 v[88:89], v[88:89], v[70:71], v[90:91] op_sel_hi:[1,1,0]
	s_delay_alu instid0(VALU_DEP_1) | instskip(SKIP_4) | instid1(VALU_DEP_1)
	v_mov_b32_e32 v93, v89
	ds_load_2addr_b64 v[88:91], v82 offset0:17 offset1:18
	v_pk_add_f32 v[60:61], v[60:61], v[92:93] neg_lo:[0,1] neg_hi:[0,1]
	s_wait_dscnt 0x0
	v_pk_mul_f32 v[92:93], v[88:89], v[80:81] op_sel:[0,1]
	v_pk_fma_f32 v[94:95], v[88:89], v[78:79], v[92:93] op_sel:[0,0,1] op_sel_hi:[1,1,0] neg_lo:[0,0,1] neg_hi:[0,0,1]
	v_pk_fma_f32 v[88:89], v[88:89], v[78:79], v[92:93] op_sel:[0,0,1] op_sel_hi:[1,0,0]
	s_delay_alu instid0(VALU_DEP_1) | instskip(SKIP_1) | instid1(VALU_DEP_1)
	v_mov_b32_e32 v95, v89
	v_pk_mul_f32 v[88:89], v[90:91], v[80:81] op_sel:[0,1]
	v_pk_fma_f32 v[92:93], v[90:91], v[78:79], v[88:89] op_sel:[0,0,1] op_sel_hi:[1,1,0] neg_lo:[0,0,1] neg_hi:[0,0,1]
	v_pk_fma_f32 v[88:89], v[90:91], v[78:79], v[88:89] op_sel:[0,0,1] op_sel_hi:[1,0,0]
	s_delay_alu instid0(VALU_DEP_1)
	v_mov_b32_e32 v93, v89
	ds_load_2addr_b64 v[88:91], v82 offset0:19 offset1:20
	v_pk_add_f32 v[56:57], v[56:57], v[94:95] neg_lo:[0,1] neg_hi:[0,1]
	v_pk_add_f32 v[58:59], v[58:59], v[92:93] neg_lo:[0,1] neg_hi:[0,1]
	s_wait_dscnt 0x0
	v_pk_mul_f32 v[92:93], v[88:89], v[80:81] op_sel:[0,1]
	s_delay_alu instid0(VALU_DEP_1) | instskip(SKIP_1) | instid1(VALU_DEP_1)
	v_pk_fma_f32 v[94:95], v[88:89], v[78:79], v[92:93] op_sel:[0,0,1] op_sel_hi:[1,1,0] neg_lo:[0,0,1] neg_hi:[0,0,1]
	v_pk_fma_f32 v[88:89], v[88:89], v[78:79], v[92:93] op_sel:[0,0,1] op_sel_hi:[1,0,0]
	v_mov_b32_e32 v95, v89
	v_pk_mul_f32 v[88:89], v[90:91], v[80:81] op_sel:[0,1]
	s_delay_alu instid0(VALU_DEP_1) | instskip(SKIP_1) | instid1(VALU_DEP_1)
	v_pk_fma_f32 v[92:93], v[90:91], v[78:79], v[88:89] op_sel:[0,0,1] op_sel_hi:[1,1,0] neg_lo:[0,0,1] neg_hi:[0,0,1]
	v_pk_fma_f32 v[88:89], v[90:91], v[78:79], v[88:89] op_sel:[0,0,1] op_sel_hi:[1,0,0]
	v_mov_b32_e32 v93, v89
	ds_load_2addr_b64 v[88:91], v82 offset0:21 offset1:22
	v_pk_add_f32 v[16:17], v[16:17], v[94:95] neg_lo:[0,1] neg_hi:[0,1]
	v_pk_add_f32 v[54:55], v[54:55], v[92:93] neg_lo:[0,1] neg_hi:[0,1]
	s_wait_dscnt 0x0
	v_dual_mul_f32 v92, v89, v81 :: v_dual_mul_f32 v94, v89, v78
	s_delay_alu instid0(VALU_DEP_1) | instskip(NEXT) | instid1(VALU_DEP_2)
	v_pk_fma_f32 v[92:93], v[88:89], v[70:71], v[92:93] op_sel_hi:[1,1,0] neg_lo:[0,0,1] neg_hi:[0,0,1]
	v_pk_fma_f32 v[88:89], v[88:89], v[70:71], v[94:95] op_sel:[1,0,0] op_sel_hi:[0,1,0]
	s_delay_alu instid0(VALU_DEP_1) | instskip(SKIP_1) | instid1(VALU_DEP_2)
	v_mov_b32_e32 v93, v89
	v_pk_mul_f32 v[88:89], v[90:91], v[80:81] op_sel:[0,1]
	v_pk_add_f32 v[50:51], v[50:51], v[92:93] neg_lo:[0,1] neg_hi:[0,1]
	s_delay_alu instid0(VALU_DEP_2) | instskip(SKIP_1) | instid1(VALU_DEP_1)
	v_pk_fma_f32 v[92:93], v[90:91], v[78:79], v[88:89] op_sel:[0,0,1] op_sel_hi:[1,1,0] neg_lo:[0,0,1] neg_hi:[0,0,1]
	v_pk_fma_f32 v[88:89], v[90:91], v[78:79], v[88:89] op_sel:[0,0,1] op_sel_hi:[1,0,0]
	v_mov_b32_e32 v93, v89
	ds_load_2addr_b64 v[88:91], v82 offset0:23 offset1:24
	v_pk_add_f32 v[52:53], v[52:53], v[92:93] neg_lo:[0,1] neg_hi:[0,1]
	s_wait_dscnt 0x0
	v_pk_mul_f32 v[92:93], v[88:89], v[80:81] op_sel:[0,1]
	s_delay_alu instid0(VALU_DEP_1) | instskip(SKIP_1) | instid1(VALU_DEP_1)
	v_pk_fma_f32 v[94:95], v[88:89], v[78:79], v[92:93] op_sel:[0,0,1] op_sel_hi:[1,1,0] neg_lo:[0,0,1] neg_hi:[0,0,1]
	v_pk_fma_f32 v[88:89], v[88:89], v[78:79], v[92:93] op_sel:[0,0,1] op_sel_hi:[1,0,0]
	v_mov_b32_e32 v95, v89
	v_pk_mul_f32 v[88:89], v[90:91], v[80:81] op_sel:[0,1]
	s_delay_alu instid0(VALU_DEP_2) | instskip(NEXT) | instid1(VALU_DEP_2)
	v_pk_add_f32 v[14:15], v[14:15], v[94:95] neg_lo:[0,1] neg_hi:[0,1]
	v_pk_fma_f32 v[92:93], v[90:91], v[78:79], v[88:89] op_sel:[0,0,1] op_sel_hi:[1,1,0] neg_lo:[0,0,1] neg_hi:[0,0,1]
	v_pk_fma_f32 v[88:89], v[90:91], v[78:79], v[88:89] op_sel:[0,0,1] op_sel_hi:[1,0,0]
	s_delay_alu instid0(VALU_DEP_1) | instskip(SKIP_4) | instid1(VALU_DEP_1)
	v_mov_b32_e32 v93, v89
	ds_load_2addr_b64 v[88:91], v82 offset0:25 offset1:26
	v_pk_add_f32 v[38:39], v[38:39], v[92:93] neg_lo:[0,1] neg_hi:[0,1]
	s_wait_dscnt 0x0
	v_pk_mul_f32 v[92:93], v[88:89], v[80:81] op_sel:[0,1]
	v_pk_fma_f32 v[94:95], v[88:89], v[78:79], v[92:93] op_sel:[0,0,1] op_sel_hi:[1,1,0] neg_lo:[0,0,1] neg_hi:[0,0,1]
	v_pk_fma_f32 v[88:89], v[88:89], v[78:79], v[92:93] op_sel:[0,0,1] op_sel_hi:[1,0,0]
	v_dual_mul_f32 v92, v91, v81 :: v_dual_mov_b32 v88, v91
	s_delay_alu instid0(VALU_DEP_2) | instskip(NEXT) | instid1(VALU_DEP_2)
	v_dual_mov_b32 v95, v89 :: v_dual_mov_b32 v89, v90
	v_pk_fma_f32 v[92:93], v[90:91], v[70:71], v[92:93] op_sel_hi:[1,1,0] neg_lo:[0,0,1] neg_hi:[0,0,1]
	v_mul_f32_e32 v90, v91, v78
	s_delay_alu instid0(VALU_DEP_3) | instskip(NEXT) | instid1(VALU_DEP_2)
	v_pk_add_f32 v[32:33], v[32:33], v[94:95] neg_lo:[0,1] neg_hi:[0,1]
	v_pk_fma_f32 v[88:89], v[88:89], v[70:71], v[90:91] op_sel_hi:[1,1,0]
	s_delay_alu instid0(VALU_DEP_1) | instskip(SKIP_4) | instid1(VALU_DEP_1)
	v_mov_b32_e32 v93, v89
	ds_load_2addr_b64 v[88:91], v82 offset0:27 offset1:28
	v_pk_add_f32 v[36:37], v[36:37], v[92:93] neg_lo:[0,1] neg_hi:[0,1]
	s_wait_dscnt 0x0
	v_pk_mul_f32 v[92:93], v[88:89], v[80:81] op_sel:[0,1]
	v_pk_fma_f32 v[94:95], v[88:89], v[78:79], v[92:93] op_sel:[0,0,1] op_sel_hi:[1,1,0] neg_lo:[0,0,1] neg_hi:[0,0,1]
	v_pk_fma_f32 v[88:89], v[88:89], v[78:79], v[92:93] op_sel:[0,0,1] op_sel_hi:[1,0,0]
	s_delay_alu instid0(VALU_DEP_1) | instskip(SKIP_1) | instid1(VALU_DEP_1)
	v_mov_b32_e32 v95, v89
	v_pk_mul_f32 v[88:89], v[90:91], v[80:81] op_sel:[0,1]
	v_pk_fma_f32 v[92:93], v[90:91], v[78:79], v[88:89] op_sel:[0,0,1] op_sel_hi:[1,1,0] neg_lo:[0,0,1] neg_hi:[0,0,1]
	v_pk_fma_f32 v[88:89], v[90:91], v[78:79], v[88:89] op_sel:[0,0,1] op_sel_hi:[1,0,0]
	s_delay_alu instid0(VALU_DEP_1)
	v_mov_b32_e32 v93, v89
	ds_load_2addr_b64 v[88:91], v82 offset0:29 offset1:30
	v_pk_add_f32 v[6:7], v[6:7], v[94:95] neg_lo:[0,1] neg_hi:[0,1]
	v_pk_add_f32 v[30:31], v[30:31], v[92:93] neg_lo:[0,1] neg_hi:[0,1]
	s_wait_dscnt 0x0
	v_pk_mul_f32 v[92:93], v[88:89], v[80:81] op_sel:[0,1]
	s_delay_alu instid0(VALU_DEP_1) | instskip(SKIP_1) | instid1(VALU_DEP_1)
	v_pk_fma_f32 v[94:95], v[88:89], v[78:79], v[92:93] op_sel:[0,0,1] op_sel_hi:[1,1,0] neg_lo:[0,0,1] neg_hi:[0,0,1]
	v_pk_fma_f32 v[88:89], v[88:89], v[78:79], v[92:93] op_sel:[0,0,1] op_sel_hi:[1,0,0]
	v_mov_b32_e32 v95, v89
	v_pk_mul_f32 v[88:89], v[90:91], v[80:81] op_sel:[0,1]
	s_delay_alu instid0(VALU_DEP_1) | instskip(SKIP_1) | instid1(VALU_DEP_1)
	v_pk_fma_f32 v[92:93], v[90:91], v[78:79], v[88:89] op_sel:[0,0,1] op_sel_hi:[1,1,0] neg_lo:[0,0,1] neg_hi:[0,0,1]
	v_pk_fma_f32 v[88:89], v[90:91], v[78:79], v[88:89] op_sel:[0,0,1] op_sel_hi:[1,0,0]
	v_mov_b32_e32 v93, v89
	ds_load_2addr_b64 v[88:91], v82 offset0:31 offset1:32
	v_pk_add_f32 v[26:27], v[26:27], v[94:95] neg_lo:[0,1] neg_hi:[0,1]
	v_pk_add_f32 v[28:29], v[28:29], v[92:93] neg_lo:[0,1] neg_hi:[0,1]
	s_wait_dscnt 0x0
	v_dual_mul_f32 v92, v89, v81 :: v_dual_mul_f32 v94, v89, v78
	s_delay_alu instid0(VALU_DEP_1) | instskip(NEXT) | instid1(VALU_DEP_2)
	v_pk_fma_f32 v[92:93], v[88:89], v[70:71], v[92:93] op_sel_hi:[1,1,0] neg_lo:[0,0,1] neg_hi:[0,0,1]
	v_pk_fma_f32 v[88:89], v[88:89], v[70:71], v[94:95] op_sel:[1,0,0] op_sel_hi:[0,1,0]
	s_delay_alu instid0(VALU_DEP_1) | instskip(SKIP_1) | instid1(VALU_DEP_2)
	v_mov_b32_e32 v93, v89
	v_pk_mul_f32 v[88:89], v[90:91], v[80:81] op_sel:[0,1]
	v_pk_add_f32 v[10:11], v[10:11], v[92:93] neg_lo:[0,1] neg_hi:[0,1]
	s_delay_alu instid0(VALU_DEP_2) | instskip(SKIP_1) | instid1(VALU_DEP_1)
	v_pk_fma_f32 v[92:93], v[90:91], v[78:79], v[88:89] op_sel:[0,0,1] op_sel_hi:[1,1,0] neg_lo:[0,0,1] neg_hi:[0,0,1]
	v_pk_fma_f32 v[88:89], v[90:91], v[78:79], v[88:89] op_sel:[0,0,1] op_sel_hi:[1,0,0]
	v_mov_b32_e32 v93, v89
	ds_load_2addr_b64 v[88:91], v82 offset0:33 offset1:34
	v_pk_add_f32 v[24:25], v[24:25], v[92:93] neg_lo:[0,1] neg_hi:[0,1]
	s_wait_dscnt 0x0
	v_pk_mul_f32 v[92:93], v[88:89], v[80:81] op_sel:[0,1]
	s_delay_alu instid0(VALU_DEP_1) | instskip(SKIP_1) | instid1(VALU_DEP_1)
	v_pk_fma_f32 v[94:95], v[88:89], v[78:79], v[92:93] op_sel:[0,0,1] op_sel_hi:[1,1,0] neg_lo:[0,0,1] neg_hi:[0,0,1]
	v_pk_fma_f32 v[88:89], v[88:89], v[78:79], v[92:93] op_sel:[0,0,1] op_sel_hi:[1,0,0]
	v_mov_b32_e32 v95, v89
	v_pk_mul_f32 v[88:89], v[90:91], v[80:81] op_sel:[0,1]
	s_delay_alu instid0(VALU_DEP_2) | instskip(NEXT) | instid1(VALU_DEP_2)
	v_pk_add_f32 v[20:21], v[20:21], v[94:95] neg_lo:[0,1] neg_hi:[0,1]
	v_pk_fma_f32 v[92:93], v[90:91], v[78:79], v[88:89] op_sel:[0,0,1] op_sel_hi:[1,1,0] neg_lo:[0,0,1] neg_hi:[0,0,1]
	v_pk_fma_f32 v[88:89], v[90:91], v[78:79], v[88:89] op_sel:[0,0,1] op_sel_hi:[1,0,0]
	s_delay_alu instid0(VALU_DEP_1) | instskip(SKIP_4) | instid1(VALU_DEP_1)
	v_mov_b32_e32 v93, v89
	ds_load_b64 v[88:89], v82 offset:280
	v_pk_add_f32 v[18:19], v[18:19], v[92:93] neg_lo:[0,1] neg_hi:[0,1]
	s_wait_dscnt 0x0
	v_pk_mul_f32 v[80:81], v[88:89], v[80:81] op_sel:[0,1]
	v_pk_fma_f32 v[90:91], v[88:89], v[78:79], v[80:81] op_sel:[0,0,1] op_sel_hi:[1,1,0] neg_lo:[0,0,1] neg_hi:[0,0,1]
	v_pk_fma_f32 v[78:79], v[88:89], v[78:79], v[80:81] op_sel:[0,0,1] op_sel_hi:[1,0,0]
	s_delay_alu instid0(VALU_DEP_1) | instskip(NEXT) | instid1(VALU_DEP_1)
	v_mov_b32_e32 v91, v79
	v_pk_add_f32 v[76:77], v[76:77], v[90:91] neg_lo:[0,1] neg_hi:[0,1]
.LBB70_62:
	s_or_b32 exec_lo, exec_lo, s0
	v_lshl_add_u32 v78, v86, 3, v82
	s_barrier_signal -1
	s_barrier_wait -1
	ds_store_b64 v78, v[68:69]
	s_wait_dscnt 0x0
	s_barrier_signal -1
	s_barrier_wait -1
	ds_load_b64 v[80:81], v82 offset:24
	v_mov_b32_e32 v78, 3
	s_cmp_lt_i32 s18, 5
	s_cbranch_scc1 .LBB70_65
; %bb.63:
	v_mov_b32_e32 v78, 3
	v_add3_u32 v79, v83, 0, 32
	s_mov_b32 s0, 4
.LBB70_64:                              ; =>This Inner Loop Header: Depth=1
	ds_load_b64 v[88:89], v79
	s_wait_dscnt 0x1
	v_cmp_gt_f32_e32 vcc_lo, 0, v80
	v_cndmask_b32_e64 v90, v80, -v80, vcc_lo
	v_cmp_gt_f32_e32 vcc_lo, 0, v81
	v_cndmask_b32_e64 v92, v81, -v81, vcc_lo
	s_wait_dscnt 0x0
	v_cmp_gt_f32_e32 vcc_lo, 0, v88
	v_cndmask_b32_e64 v91, v88, -v88, vcc_lo
	v_cmp_gt_f32_e32 vcc_lo, 0, v89
	v_cndmask_b32_e64 v93, v89, -v89, vcc_lo
	s_delay_alu instid0(VALU_DEP_1) | instskip(NEXT) | instid1(VALU_DEP_1)
	v_pk_add_f32 v[90:91], v[90:91], v[92:93]
	v_cmp_lt_f32_e32 vcc_lo, v90, v91
	v_dual_add_nc_u32 v79, 8, v79 :: v_dual_cndmask_b32 v81, v81, v89, vcc_lo
	v_cndmask_b32_e32 v80, v80, v88, vcc_lo
	v_cndmask_b32_e64 v78, v78, s0, vcc_lo
	s_add_co_i32 s0, s0, 1
	s_delay_alu instid0(SALU_CYCLE_1)
	s_cmp_lg_u32 s18, s0
	s_cbranch_scc1 .LBB70_64
.LBB70_65:
	s_wait_dscnt 0x0
	v_cmp_eq_f32_e32 vcc_lo, 0, v80
	v_cmp_eq_f32_e64 s0, 0, v81
	s_and_b32 s0, vcc_lo, s0
	s_delay_alu instid0(SALU_CYCLE_1) | instskip(NEXT) | instid1(SALU_CYCLE_1)
	s_and_saveexec_b32 s1, s0
	s_xor_b32 s0, exec_lo, s1
; %bb.66:
	v_cmp_ne_u32_e32 vcc_lo, 0, v84
	v_cndmask_b32_e32 v84, 4, v84, vcc_lo
; %bb.67:
	s_and_not1_saveexec_b32 s0, s0
	s_cbranch_execz .LBB70_73
; %bb.68:
	v_cmp_ngt_f32_e64 s1, |v80|, |v81|
	s_and_saveexec_b32 s12, s1
	s_delay_alu instid0(SALU_CYCLE_1)
	s_xor_b32 s1, exec_lo, s12
	s_cbranch_execz .LBB70_70
; %bb.69:
	v_div_scale_f32 v79, null, v81, v81, v80
	v_div_scale_f32 v89, vcc_lo, v80, v81, v80
	s_delay_alu instid0(VALU_DEP_2) | instskip(SKIP_1) | instid1(TRANS32_DEP_1)
	v_rcp_f32_e32 v87, v79
	v_nop
	v_fma_f32 v88, -v79, v87, 1.0
	s_delay_alu instid0(VALU_DEP_1) | instskip(NEXT) | instid1(VALU_DEP_1)
	v_fmac_f32_e32 v87, v88, v87
	v_mul_f32_e32 v88, v89, v87
	s_delay_alu instid0(VALU_DEP_1) | instskip(NEXT) | instid1(VALU_DEP_1)
	v_fma_f32 v90, -v79, v88, v89
	v_fmac_f32_e32 v88, v90, v87
	s_delay_alu instid0(VALU_DEP_1) | instskip(NEXT) | instid1(VALU_DEP_1)
	v_fma_f32 v79, -v79, v88, v89
	v_div_fmas_f32 v79, v79, v87, v88
	s_delay_alu instid0(VALU_DEP_1) | instskip(NEXT) | instid1(VALU_DEP_1)
	v_div_fixup_f32 v79, v79, v81, v80
	v_fmac_f32_e32 v81, v80, v79
	s_delay_alu instid0(VALU_DEP_1) | instskip(SKIP_1) | instid1(VALU_DEP_2)
	v_div_scale_f32 v80, null, v81, v81, 1.0
	v_div_scale_f32 v89, vcc_lo, 1.0, v81, 1.0
	v_rcp_f32_e32 v87, v80
	v_nop
	s_delay_alu instid0(TRANS32_DEP_1) | instskip(NEXT) | instid1(VALU_DEP_1)
	v_fma_f32 v88, -v80, v87, 1.0
	v_fmac_f32_e32 v87, v88, v87
	s_delay_alu instid0(VALU_DEP_1) | instskip(NEXT) | instid1(VALU_DEP_1)
	v_mul_f32_e32 v88, v89, v87
	v_fma_f32 v90, -v80, v88, v89
	s_delay_alu instid0(VALU_DEP_1) | instskip(NEXT) | instid1(VALU_DEP_1)
	v_fmac_f32_e32 v88, v90, v87
	v_fma_f32 v80, -v80, v88, v89
	s_delay_alu instid0(VALU_DEP_1) | instskip(NEXT) | instid1(VALU_DEP_1)
	v_div_fmas_f32 v80, v80, v87, v88
	v_div_fixup_f32 v81, v80, v81, 1.0
	s_delay_alu instid0(VALU_DEP_1)
	v_mul_f32_e32 v80, v79, v81
	v_xor_b32_e32 v81, 0x80000000, v81
.LBB70_70:
	s_and_not1_saveexec_b32 s1, s1
	s_cbranch_execz .LBB70_72
; %bb.71:
	s_delay_alu instid0(VALU_DEP_1) | instskip(SKIP_1) | instid1(VALU_DEP_2)
	v_div_scale_f32 v79, null, v80, v80, v81
	v_div_scale_f32 v89, vcc_lo, v81, v80, v81
	v_rcp_f32_e32 v87, v79
	v_nop
	s_delay_alu instid0(TRANS32_DEP_1) | instskip(NEXT) | instid1(VALU_DEP_1)
	v_fma_f32 v88, -v79, v87, 1.0
	v_fmac_f32_e32 v87, v88, v87
	s_delay_alu instid0(VALU_DEP_1) | instskip(NEXT) | instid1(VALU_DEP_1)
	v_mul_f32_e32 v88, v89, v87
	v_fma_f32 v90, -v79, v88, v89
	s_delay_alu instid0(VALU_DEP_1) | instskip(NEXT) | instid1(VALU_DEP_1)
	v_fmac_f32_e32 v88, v90, v87
	v_fma_f32 v79, -v79, v88, v89
	s_delay_alu instid0(VALU_DEP_1) | instskip(NEXT) | instid1(VALU_DEP_1)
	v_div_fmas_f32 v79, v79, v87, v88
	v_div_fixup_f32 v79, v79, v80, v81
	s_delay_alu instid0(VALU_DEP_1) | instskip(NEXT) | instid1(VALU_DEP_1)
	v_fmac_f32_e32 v80, v81, v79
	v_div_scale_f32 v81, null, v80, v80, 1.0
	s_delay_alu instid0(VALU_DEP_1) | instskip(SKIP_1) | instid1(TRANS32_DEP_1)
	v_rcp_f32_e32 v87, v81
	v_nop
	v_fma_f32 v88, -v81, v87, 1.0
	s_delay_alu instid0(VALU_DEP_1) | instskip(SKIP_1) | instid1(VALU_DEP_1)
	v_fmac_f32_e32 v87, v88, v87
	v_div_scale_f32 v88, vcc_lo, 1.0, v80, 1.0
	v_mul_f32_e32 v89, v88, v87
	s_delay_alu instid0(VALU_DEP_1) | instskip(NEXT) | instid1(VALU_DEP_1)
	v_fma_f32 v90, -v81, v89, v88
	v_fmac_f32_e32 v89, v90, v87
	s_delay_alu instid0(VALU_DEP_1) | instskip(NEXT) | instid1(VALU_DEP_1)
	v_fma_f32 v81, -v81, v89, v88
	v_div_fmas_f32 v81, v81, v87, v89
	s_delay_alu instid0(VALU_DEP_1) | instskip(NEXT) | instid1(VALU_DEP_1)
	v_div_fixup_f32 v80, v81, v80, 1.0
	v_mul_f32_e64 v81, v79, -v80
.LBB70_72:
	s_or_b32 exec_lo, exec_lo, s1
.LBB70_73:
	s_delay_alu instid0(SALU_CYCLE_1) | instskip(NEXT) | instid1(SALU_CYCLE_1)
	s_or_b32 exec_lo, exec_lo, s0
	s_mov_b32 s0, exec_lo
	v_cmpx_ne_u32_e64 v86, v78
	s_xor_b32 s0, exec_lo, s0
	s_cbranch_execz .LBB70_79
; %bb.74:
	s_mov_b32 s1, exec_lo
	v_cmpx_eq_u32_e32 3, v86
	s_cbranch_execz .LBB70_78
; %bb.75:
	v_cmp_ne_u32_e32 vcc_lo, 3, v78
	s_xor_b32 s12, s16, -1
	s_delay_alu instid0(SALU_CYCLE_1) | instskip(NEXT) | instid1(SALU_CYCLE_1)
	s_and_b32 s13, s12, vcc_lo
	s_and_saveexec_b32 s12, s13
	s_cbranch_execz .LBB70_77
; %bb.76:
	v_ashrrev_i32_e32 v79, 31, v78
	s_delay_alu instid0(VALU_DEP_1)
	v_lshl_add_u64 v[86:87], v[78:79], 2, v[4:5]
	s_clause 0x1
	global_load_b32 v79, v[86:87], off
	global_load_b32 v85, v[4:5], off offset:12
	s_wait_loadcnt 0x1
	global_store_b32 v[4:5], v79, off offset:12
	s_wait_loadcnt 0x0
	global_store_b32 v[86:87], v85, off
.LBB70_77:
	s_wait_xcnt 0x0
	s_or_b32 exec_lo, exec_lo, s12
	v_dual_mov_b32 v86, v78 :: v_dual_mov_b32 v85, v78
.LBB70_78:
	s_or_b32 exec_lo, exec_lo, s1
.LBB70_79:
	s_and_not1_saveexec_b32 s0, s0
	s_cbranch_execz .LBB70_81
; %bb.80:
	v_dual_mov_b32 v78, v42 :: v_dual_mov_b32 v79, v43
	v_dual_mov_b32 v86, v34 :: v_dual_mov_b32 v87, v35
	;; [unrolled: 1-line block ×12, first 2 shown]
	ds_store_2addr_b64 v82, v[78:79], v[86:87] offset0:4 offset1:5
	ds_store_2addr_b64 v82, v[88:89], v[90:91] offset0:6 offset1:7
	ds_store_2addr_b64 v82, v[92:93], v[94:95] offset0:8 offset1:9
	ds_store_2addr_b64 v82, v[96:97], v[98:99] offset0:10 offset1:11
	ds_store_2addr_b64 v82, v[100:101], v[102:103] offset0:12 offset1:13
	ds_store_2addr_b64 v82, v[104:105], v[106:107] offset0:14 offset1:15
	v_dual_mov_b32 v78, v60 :: v_dual_mov_b32 v79, v61
	v_dual_mov_b32 v86, v56 :: v_dual_mov_b32 v87, v57
	;; [unrolled: 1-line block ×12, first 2 shown]
	ds_store_2addr_b64 v82, v[78:79], v[86:87] offset0:16 offset1:17
	ds_store_2addr_b64 v82, v[88:89], v[90:91] offset0:18 offset1:19
	;; [unrolled: 1-line block ×6, first 2 shown]
	v_dual_mov_b32 v78, v30 :: v_dual_mov_b32 v79, v31
	v_dual_mov_b32 v88, v26 :: v_dual_mov_b32 v89, v27
	;; [unrolled: 1-line block ×7, first 2 shown]
	v_mov_b32_e32 v99, v19
	ds_store_2addr_b64 v82, v[78:79], v[88:89] offset0:28 offset1:29
	ds_store_2addr_b64 v82, v[90:91], v[92:93] offset0:30 offset1:31
	;; [unrolled: 1-line block ×4, first 2 shown]
.LBB70_81:
	s_or_b32 exec_lo, exec_lo, s0
	s_delay_alu instid0(SALU_CYCLE_1)
	s_mov_b32 s0, exec_lo
	s_wait_storecnt_dscnt 0x0
	s_barrier_signal -1
	s_barrier_wait -1
	v_cmpx_lt_i32_e32 3, v86
	s_cbranch_execz .LBB70_83
; %bb.82:
	v_pk_mul_f32 v[88:89], v[80:81], v[68:69] op_sel:[1,1] op_sel_hi:[0,1]
	s_delay_alu instid0(VALU_DEP_1)
	v_pk_fma_f32 v[78:79], v[80:81], v[68:69], v[88:89] op_sel_hi:[1,0,1] neg_lo:[0,0,1] neg_hi:[0,0,1]
	v_pk_fma_f32 v[80:81], v[80:81], v[68:69], v[88:89] op_sel_hi:[1,0,1]
	ds_load_2addr_b64 v[88:91], v82 offset0:4 offset1:5
	v_dual_mov_b32 v68, v78 :: v_dual_mov_b32 v69, v81
	s_wait_dscnt 0x0
	v_pk_mul_f32 v[92:93], v[88:89], v[80:81] op_sel:[0,1]
	s_delay_alu instid0(VALU_DEP_1) | instskip(SKIP_1) | instid1(VALU_DEP_1)
	v_pk_fma_f32 v[94:95], v[88:89], v[78:79], v[92:93] op_sel:[0,0,1] op_sel_hi:[1,1,0] neg_lo:[0,0,1] neg_hi:[0,0,1]
	v_pk_fma_f32 v[88:89], v[88:89], v[78:79], v[92:93] op_sel:[0,0,1] op_sel_hi:[1,0,0]
	v_mov_b32_e32 v95, v89
	v_pk_mul_f32 v[88:89], v[90:91], v[80:81] op_sel:[0,1]
	s_delay_alu instid0(VALU_DEP_1) | instskip(SKIP_1) | instid1(VALU_DEP_1)
	v_pk_fma_f32 v[92:93], v[90:91], v[78:79], v[88:89] op_sel:[0,0,1] op_sel_hi:[1,1,0] neg_lo:[0,0,1] neg_hi:[0,0,1]
	v_pk_fma_f32 v[88:89], v[90:91], v[78:79], v[88:89] op_sel:[0,0,1] op_sel_hi:[1,0,0]
	v_mov_b32_e32 v93, v89
	ds_load_2addr_b64 v[88:91], v82 offset0:6 offset1:7
	v_pk_add_f32 v[42:43], v[42:43], v[94:95] neg_lo:[0,1] neg_hi:[0,1]
	v_pk_add_f32 v[34:35], v[34:35], v[92:93] neg_lo:[0,1] neg_hi:[0,1]
	s_wait_dscnt 0x0
	v_pk_mul_f32 v[92:93], v[88:89], v[80:81] op_sel:[0,1]
	s_delay_alu instid0(VALU_DEP_1) | instskip(SKIP_2) | instid1(VALU_DEP_2)
	v_pk_fma_f32 v[94:95], v[88:89], v[78:79], v[92:93] op_sel:[0,0,1] op_sel_hi:[1,1,0] neg_lo:[0,0,1] neg_hi:[0,0,1]
	v_pk_fma_f32 v[88:89], v[88:89], v[78:79], v[92:93] op_sel:[0,0,1] op_sel_hi:[1,0,0]
	v_dual_mul_f32 v92, v91, v81 :: v_dual_mov_b32 v88, v91
	v_dual_mov_b32 v95, v89 :: v_dual_mov_b32 v89, v90
	s_delay_alu instid0(VALU_DEP_2) | instskip(SKIP_1) | instid1(VALU_DEP_3)
	v_pk_fma_f32 v[92:93], v[90:91], v[68:69], v[92:93] op_sel_hi:[1,1,0] neg_lo:[0,0,1] neg_hi:[0,0,1]
	v_mul_f32_e32 v90, v91, v78
	v_pk_add_f32 v[40:41], v[40:41], v[94:95] neg_lo:[0,1] neg_hi:[0,1]
	s_delay_alu instid0(VALU_DEP_2) | instskip(NEXT) | instid1(VALU_DEP_1)
	v_pk_fma_f32 v[88:89], v[88:89], v[68:69], v[90:91] op_sel_hi:[1,1,0]
	v_mov_b32_e32 v93, v89
	ds_load_2addr_b64 v[88:91], v82 offset0:8 offset1:9
	v_pk_add_f32 v[8:9], v[8:9], v[92:93] neg_lo:[0,1] neg_hi:[0,1]
	s_wait_dscnt 0x0
	v_pk_mul_f32 v[92:93], v[88:89], v[80:81] op_sel:[0,1]
	s_delay_alu instid0(VALU_DEP_1) | instskip(SKIP_1) | instid1(VALU_DEP_1)
	v_pk_fma_f32 v[94:95], v[88:89], v[78:79], v[92:93] op_sel:[0,0,1] op_sel_hi:[1,1,0] neg_lo:[0,0,1] neg_hi:[0,0,1]
	v_pk_fma_f32 v[88:89], v[88:89], v[78:79], v[92:93] op_sel:[0,0,1] op_sel_hi:[1,0,0]
	v_mov_b32_e32 v95, v89
	v_pk_mul_f32 v[88:89], v[90:91], v[80:81] op_sel:[0,1]
	s_delay_alu instid0(VALU_DEP_1) | instskip(SKIP_1) | instid1(VALU_DEP_1)
	v_pk_fma_f32 v[92:93], v[90:91], v[78:79], v[88:89] op_sel:[0,0,1] op_sel_hi:[1,1,0] neg_lo:[0,0,1] neg_hi:[0,0,1]
	v_pk_fma_f32 v[88:89], v[90:91], v[78:79], v[88:89] op_sel:[0,0,1] op_sel_hi:[1,0,0]
	v_mov_b32_e32 v93, v89
	ds_load_2addr_b64 v[88:91], v82 offset0:10 offset1:11
	v_pk_add_f32 v[48:49], v[48:49], v[94:95] neg_lo:[0,1] neg_hi:[0,1]
	v_pk_add_f32 v[44:45], v[44:45], v[92:93] neg_lo:[0,1] neg_hi:[0,1]
	s_wait_dscnt 0x0
	v_pk_mul_f32 v[92:93], v[88:89], v[80:81] op_sel:[0,1]
	s_delay_alu instid0(VALU_DEP_1) | instskip(SKIP_1) | instid1(VALU_DEP_1)
	v_pk_fma_f32 v[94:95], v[88:89], v[78:79], v[92:93] op_sel:[0,0,1] op_sel_hi:[1,1,0] neg_lo:[0,0,1] neg_hi:[0,0,1]
	v_pk_fma_f32 v[88:89], v[88:89], v[78:79], v[92:93] op_sel:[0,0,1] op_sel_hi:[1,0,0]
	v_mov_b32_e32 v95, v89
	v_pk_mul_f32 v[88:89], v[90:91], v[80:81] op_sel:[0,1]
	s_delay_alu instid0(VALU_DEP_1) | instskip(SKIP_1) | instid1(VALU_DEP_1)
	v_pk_fma_f32 v[92:93], v[90:91], v[78:79], v[88:89] op_sel:[0,0,1] op_sel_hi:[1,1,0] neg_lo:[0,0,1] neg_hi:[0,0,1]
	v_pk_fma_f32 v[88:89], v[90:91], v[78:79], v[88:89] op_sel:[0,0,1] op_sel_hi:[1,0,0]
	v_mov_b32_e32 v93, v89
	ds_load_2addr_b64 v[88:91], v82 offset0:12 offset1:13
	v_pk_add_f32 v[46:47], v[46:47], v[94:95] neg_lo:[0,1] neg_hi:[0,1]
	v_pk_add_f32 v[12:13], v[12:13], v[92:93] neg_lo:[0,1] neg_hi:[0,1]
	s_wait_dscnt 0x0
	v_dual_mul_f32 v92, v89, v81 :: v_dual_mul_f32 v94, v89, v78
	s_delay_alu instid0(VALU_DEP_1) | instskip(NEXT) | instid1(VALU_DEP_2)
	v_pk_fma_f32 v[92:93], v[88:89], v[68:69], v[92:93] op_sel_hi:[1,1,0] neg_lo:[0,0,1] neg_hi:[0,0,1]
	v_pk_fma_f32 v[88:89], v[88:89], v[68:69], v[94:95] op_sel:[1,0,0] op_sel_hi:[0,1,0]
	s_delay_alu instid0(VALU_DEP_1) | instskip(SKIP_1) | instid1(VALU_DEP_2)
	v_mov_b32_e32 v93, v89
	v_pk_mul_f32 v[88:89], v[90:91], v[80:81] op_sel:[0,1]
	v_pk_add_f32 v[66:67], v[66:67], v[92:93] neg_lo:[0,1] neg_hi:[0,1]
	s_delay_alu instid0(VALU_DEP_2) | instskip(SKIP_1) | instid1(VALU_DEP_1)
	v_pk_fma_f32 v[92:93], v[90:91], v[78:79], v[88:89] op_sel:[0,0,1] op_sel_hi:[1,1,0] neg_lo:[0,0,1] neg_hi:[0,0,1]
	v_pk_fma_f32 v[88:89], v[90:91], v[78:79], v[88:89] op_sel:[0,0,1] op_sel_hi:[1,0,0]
	v_mov_b32_e32 v93, v89
	ds_load_2addr_b64 v[88:91], v82 offset0:14 offset1:15
	v_pk_add_f32 v[62:63], v[62:63], v[92:93] neg_lo:[0,1] neg_hi:[0,1]
	s_wait_dscnt 0x0
	v_pk_mul_f32 v[92:93], v[88:89], v[80:81] op_sel:[0,1]
	s_delay_alu instid0(VALU_DEP_1) | instskip(SKIP_1) | instid1(VALU_DEP_1)
	v_pk_fma_f32 v[94:95], v[88:89], v[78:79], v[92:93] op_sel:[0,0,1] op_sel_hi:[1,1,0] neg_lo:[0,0,1] neg_hi:[0,0,1]
	v_pk_fma_f32 v[88:89], v[88:89], v[78:79], v[92:93] op_sel:[0,0,1] op_sel_hi:[1,0,0]
	v_mov_b32_e32 v95, v89
	v_pk_mul_f32 v[88:89], v[90:91], v[80:81] op_sel:[0,1]
	s_delay_alu instid0(VALU_DEP_2) | instskip(NEXT) | instid1(VALU_DEP_2)
	v_pk_add_f32 v[64:65], v[64:65], v[94:95] neg_lo:[0,1] neg_hi:[0,1]
	v_pk_fma_f32 v[92:93], v[90:91], v[78:79], v[88:89] op_sel:[0,0,1] op_sel_hi:[1,1,0] neg_lo:[0,0,1] neg_hi:[0,0,1]
	v_pk_fma_f32 v[88:89], v[90:91], v[78:79], v[88:89] op_sel:[0,0,1] op_sel_hi:[1,0,0]
	s_delay_alu instid0(VALU_DEP_1) | instskip(SKIP_4) | instid1(VALU_DEP_1)
	v_mov_b32_e32 v93, v89
	ds_load_2addr_b64 v[88:91], v82 offset0:16 offset1:17
	v_pk_add_f32 v[22:23], v[22:23], v[92:93] neg_lo:[0,1] neg_hi:[0,1]
	s_wait_dscnt 0x0
	v_pk_mul_f32 v[92:93], v[88:89], v[80:81] op_sel:[0,1]
	v_pk_fma_f32 v[94:95], v[88:89], v[78:79], v[92:93] op_sel:[0,0,1] op_sel_hi:[1,1,0] neg_lo:[0,0,1] neg_hi:[0,0,1]
	v_pk_fma_f32 v[88:89], v[88:89], v[78:79], v[92:93] op_sel:[0,0,1] op_sel_hi:[1,0,0]
	v_dual_mul_f32 v92, v91, v81 :: v_dual_mov_b32 v88, v91
	s_delay_alu instid0(VALU_DEP_2) | instskip(NEXT) | instid1(VALU_DEP_2)
	v_dual_mov_b32 v95, v89 :: v_dual_mov_b32 v89, v90
	v_pk_fma_f32 v[92:93], v[90:91], v[68:69], v[92:93] op_sel_hi:[1,1,0] neg_lo:[0,0,1] neg_hi:[0,0,1]
	v_mul_f32_e32 v90, v91, v78
	s_delay_alu instid0(VALU_DEP_3) | instskip(NEXT) | instid1(VALU_DEP_2)
	v_pk_add_f32 v[60:61], v[60:61], v[94:95] neg_lo:[0,1] neg_hi:[0,1]
	v_pk_fma_f32 v[88:89], v[88:89], v[68:69], v[90:91] op_sel_hi:[1,1,0]
	s_delay_alu instid0(VALU_DEP_1) | instskip(SKIP_4) | instid1(VALU_DEP_1)
	v_mov_b32_e32 v93, v89
	ds_load_2addr_b64 v[88:91], v82 offset0:18 offset1:19
	v_pk_add_f32 v[56:57], v[56:57], v[92:93] neg_lo:[0,1] neg_hi:[0,1]
	s_wait_dscnt 0x0
	v_pk_mul_f32 v[92:93], v[88:89], v[80:81] op_sel:[0,1]
	v_pk_fma_f32 v[94:95], v[88:89], v[78:79], v[92:93] op_sel:[0,0,1] op_sel_hi:[1,1,0] neg_lo:[0,0,1] neg_hi:[0,0,1]
	v_pk_fma_f32 v[88:89], v[88:89], v[78:79], v[92:93] op_sel:[0,0,1] op_sel_hi:[1,0,0]
	s_delay_alu instid0(VALU_DEP_1) | instskip(SKIP_1) | instid1(VALU_DEP_1)
	v_mov_b32_e32 v95, v89
	v_pk_mul_f32 v[88:89], v[90:91], v[80:81] op_sel:[0,1]
	v_pk_fma_f32 v[92:93], v[90:91], v[78:79], v[88:89] op_sel:[0,0,1] op_sel_hi:[1,1,0] neg_lo:[0,0,1] neg_hi:[0,0,1]
	v_pk_fma_f32 v[88:89], v[90:91], v[78:79], v[88:89] op_sel:[0,0,1] op_sel_hi:[1,0,0]
	s_delay_alu instid0(VALU_DEP_1)
	v_mov_b32_e32 v93, v89
	ds_load_2addr_b64 v[88:91], v82 offset0:20 offset1:21
	v_pk_add_f32 v[58:59], v[58:59], v[94:95] neg_lo:[0,1] neg_hi:[0,1]
	v_pk_add_f32 v[16:17], v[16:17], v[92:93] neg_lo:[0,1] neg_hi:[0,1]
	s_wait_dscnt 0x0
	v_pk_mul_f32 v[92:93], v[88:89], v[80:81] op_sel:[0,1]
	s_delay_alu instid0(VALU_DEP_1) | instskip(SKIP_1) | instid1(VALU_DEP_1)
	v_pk_fma_f32 v[94:95], v[88:89], v[78:79], v[92:93] op_sel:[0,0,1] op_sel_hi:[1,1,0] neg_lo:[0,0,1] neg_hi:[0,0,1]
	v_pk_fma_f32 v[88:89], v[88:89], v[78:79], v[92:93] op_sel:[0,0,1] op_sel_hi:[1,0,0]
	v_mov_b32_e32 v95, v89
	v_pk_mul_f32 v[88:89], v[90:91], v[80:81] op_sel:[0,1]
	s_delay_alu instid0(VALU_DEP_1) | instskip(SKIP_1) | instid1(VALU_DEP_1)
	v_pk_fma_f32 v[92:93], v[90:91], v[78:79], v[88:89] op_sel:[0,0,1] op_sel_hi:[1,1,0] neg_lo:[0,0,1] neg_hi:[0,0,1]
	v_pk_fma_f32 v[88:89], v[90:91], v[78:79], v[88:89] op_sel:[0,0,1] op_sel_hi:[1,0,0]
	v_mov_b32_e32 v93, v89
	ds_load_2addr_b64 v[88:91], v82 offset0:22 offset1:23
	v_pk_add_f32 v[54:55], v[54:55], v[94:95] neg_lo:[0,1] neg_hi:[0,1]
	v_pk_add_f32 v[50:51], v[50:51], v[92:93] neg_lo:[0,1] neg_hi:[0,1]
	s_wait_dscnt 0x0
	v_dual_mul_f32 v92, v89, v81 :: v_dual_mul_f32 v94, v89, v78
	s_delay_alu instid0(VALU_DEP_1) | instskip(NEXT) | instid1(VALU_DEP_2)
	v_pk_fma_f32 v[92:93], v[88:89], v[68:69], v[92:93] op_sel_hi:[1,1,0] neg_lo:[0,0,1] neg_hi:[0,0,1]
	v_pk_fma_f32 v[88:89], v[88:89], v[68:69], v[94:95] op_sel:[1,0,0] op_sel_hi:[0,1,0]
	s_delay_alu instid0(VALU_DEP_1) | instskip(SKIP_1) | instid1(VALU_DEP_2)
	v_mov_b32_e32 v93, v89
	v_pk_mul_f32 v[88:89], v[90:91], v[80:81] op_sel:[0,1]
	v_pk_add_f32 v[52:53], v[52:53], v[92:93] neg_lo:[0,1] neg_hi:[0,1]
	s_delay_alu instid0(VALU_DEP_2) | instskip(SKIP_1) | instid1(VALU_DEP_1)
	v_pk_fma_f32 v[92:93], v[90:91], v[78:79], v[88:89] op_sel:[0,0,1] op_sel_hi:[1,1,0] neg_lo:[0,0,1] neg_hi:[0,0,1]
	v_pk_fma_f32 v[88:89], v[90:91], v[78:79], v[88:89] op_sel:[0,0,1] op_sel_hi:[1,0,0]
	v_mov_b32_e32 v93, v89
	ds_load_2addr_b64 v[88:91], v82 offset0:24 offset1:25
	v_pk_add_f32 v[14:15], v[14:15], v[92:93] neg_lo:[0,1] neg_hi:[0,1]
	s_wait_dscnt 0x0
	v_pk_mul_f32 v[92:93], v[88:89], v[80:81] op_sel:[0,1]
	s_delay_alu instid0(VALU_DEP_1) | instskip(SKIP_1) | instid1(VALU_DEP_1)
	v_pk_fma_f32 v[94:95], v[88:89], v[78:79], v[92:93] op_sel:[0,0,1] op_sel_hi:[1,1,0] neg_lo:[0,0,1] neg_hi:[0,0,1]
	v_pk_fma_f32 v[88:89], v[88:89], v[78:79], v[92:93] op_sel:[0,0,1] op_sel_hi:[1,0,0]
	v_mov_b32_e32 v95, v89
	v_pk_mul_f32 v[88:89], v[90:91], v[80:81] op_sel:[0,1]
	s_delay_alu instid0(VALU_DEP_2) | instskip(NEXT) | instid1(VALU_DEP_2)
	v_pk_add_f32 v[38:39], v[38:39], v[94:95] neg_lo:[0,1] neg_hi:[0,1]
	v_pk_fma_f32 v[92:93], v[90:91], v[78:79], v[88:89] op_sel:[0,0,1] op_sel_hi:[1,1,0] neg_lo:[0,0,1] neg_hi:[0,0,1]
	v_pk_fma_f32 v[88:89], v[90:91], v[78:79], v[88:89] op_sel:[0,0,1] op_sel_hi:[1,0,0]
	s_delay_alu instid0(VALU_DEP_1) | instskip(SKIP_4) | instid1(VALU_DEP_1)
	v_mov_b32_e32 v93, v89
	ds_load_2addr_b64 v[88:91], v82 offset0:26 offset1:27
	v_pk_add_f32 v[32:33], v[32:33], v[92:93] neg_lo:[0,1] neg_hi:[0,1]
	s_wait_dscnt 0x0
	v_pk_mul_f32 v[92:93], v[88:89], v[80:81] op_sel:[0,1]
	v_pk_fma_f32 v[94:95], v[88:89], v[78:79], v[92:93] op_sel:[0,0,1] op_sel_hi:[1,1,0] neg_lo:[0,0,1] neg_hi:[0,0,1]
	v_pk_fma_f32 v[88:89], v[88:89], v[78:79], v[92:93] op_sel:[0,0,1] op_sel_hi:[1,0,0]
	v_dual_mul_f32 v92, v91, v81 :: v_dual_mov_b32 v88, v91
	s_delay_alu instid0(VALU_DEP_2) | instskip(NEXT) | instid1(VALU_DEP_2)
	v_dual_mov_b32 v95, v89 :: v_dual_mov_b32 v89, v90
	v_pk_fma_f32 v[92:93], v[90:91], v[68:69], v[92:93] op_sel_hi:[1,1,0] neg_lo:[0,0,1] neg_hi:[0,0,1]
	v_mul_f32_e32 v90, v91, v78
	s_delay_alu instid0(VALU_DEP_3) | instskip(NEXT) | instid1(VALU_DEP_2)
	v_pk_add_f32 v[36:37], v[36:37], v[94:95] neg_lo:[0,1] neg_hi:[0,1]
	v_pk_fma_f32 v[88:89], v[88:89], v[68:69], v[90:91] op_sel_hi:[1,1,0]
	s_delay_alu instid0(VALU_DEP_1) | instskip(SKIP_4) | instid1(VALU_DEP_1)
	v_mov_b32_e32 v93, v89
	ds_load_2addr_b64 v[88:91], v82 offset0:28 offset1:29
	v_pk_add_f32 v[6:7], v[6:7], v[92:93] neg_lo:[0,1] neg_hi:[0,1]
	s_wait_dscnt 0x0
	v_pk_mul_f32 v[92:93], v[88:89], v[80:81] op_sel:[0,1]
	v_pk_fma_f32 v[94:95], v[88:89], v[78:79], v[92:93] op_sel:[0,0,1] op_sel_hi:[1,1,0] neg_lo:[0,0,1] neg_hi:[0,0,1]
	v_pk_fma_f32 v[88:89], v[88:89], v[78:79], v[92:93] op_sel:[0,0,1] op_sel_hi:[1,0,0]
	s_delay_alu instid0(VALU_DEP_1) | instskip(SKIP_1) | instid1(VALU_DEP_1)
	v_mov_b32_e32 v95, v89
	v_pk_mul_f32 v[88:89], v[90:91], v[80:81] op_sel:[0,1]
	v_pk_fma_f32 v[92:93], v[90:91], v[78:79], v[88:89] op_sel:[0,0,1] op_sel_hi:[1,1,0] neg_lo:[0,0,1] neg_hi:[0,0,1]
	v_pk_fma_f32 v[88:89], v[90:91], v[78:79], v[88:89] op_sel:[0,0,1] op_sel_hi:[1,0,0]
	s_delay_alu instid0(VALU_DEP_1)
	v_mov_b32_e32 v93, v89
	ds_load_2addr_b64 v[88:91], v82 offset0:30 offset1:31
	v_pk_add_f32 v[30:31], v[30:31], v[94:95] neg_lo:[0,1] neg_hi:[0,1]
	v_pk_add_f32 v[26:27], v[26:27], v[92:93] neg_lo:[0,1] neg_hi:[0,1]
	s_wait_dscnt 0x0
	v_pk_mul_f32 v[92:93], v[88:89], v[80:81] op_sel:[0,1]
	s_delay_alu instid0(VALU_DEP_1) | instskip(SKIP_1) | instid1(VALU_DEP_1)
	v_pk_fma_f32 v[94:95], v[88:89], v[78:79], v[92:93] op_sel:[0,0,1] op_sel_hi:[1,1,0] neg_lo:[0,0,1] neg_hi:[0,0,1]
	v_pk_fma_f32 v[88:89], v[88:89], v[78:79], v[92:93] op_sel:[0,0,1] op_sel_hi:[1,0,0]
	v_mov_b32_e32 v95, v89
	v_pk_mul_f32 v[88:89], v[90:91], v[80:81] op_sel:[0,1]
	s_delay_alu instid0(VALU_DEP_1) | instskip(SKIP_1) | instid1(VALU_DEP_1)
	v_pk_fma_f32 v[92:93], v[90:91], v[78:79], v[88:89] op_sel:[0,0,1] op_sel_hi:[1,1,0] neg_lo:[0,0,1] neg_hi:[0,0,1]
	v_pk_fma_f32 v[88:89], v[90:91], v[78:79], v[88:89] op_sel:[0,0,1] op_sel_hi:[1,0,0]
	v_mov_b32_e32 v93, v89
	ds_load_2addr_b64 v[88:91], v82 offset0:32 offset1:33
	v_pk_add_f32 v[28:29], v[28:29], v[94:95] neg_lo:[0,1] neg_hi:[0,1]
	v_pk_add_f32 v[10:11], v[10:11], v[92:93] neg_lo:[0,1] neg_hi:[0,1]
	s_wait_dscnt 0x0
	v_dual_mul_f32 v92, v89, v81 :: v_dual_mul_f32 v94, v89, v78
	s_delay_alu instid0(VALU_DEP_1) | instskip(NEXT) | instid1(VALU_DEP_2)
	v_pk_fma_f32 v[92:93], v[88:89], v[68:69], v[92:93] op_sel_hi:[1,1,0] neg_lo:[0,0,1] neg_hi:[0,0,1]
	v_pk_fma_f32 v[88:89], v[88:89], v[68:69], v[94:95] op_sel:[1,0,0] op_sel_hi:[0,1,0]
	s_delay_alu instid0(VALU_DEP_1) | instskip(SKIP_1) | instid1(VALU_DEP_2)
	v_mov_b32_e32 v93, v89
	v_pk_mul_f32 v[88:89], v[90:91], v[80:81] op_sel:[0,1]
	v_pk_add_f32 v[24:25], v[24:25], v[92:93] neg_lo:[0,1] neg_hi:[0,1]
	s_delay_alu instid0(VALU_DEP_2) | instskip(SKIP_1) | instid1(VALU_DEP_1)
	v_pk_fma_f32 v[92:93], v[90:91], v[78:79], v[88:89] op_sel:[0,0,1] op_sel_hi:[1,1,0] neg_lo:[0,0,1] neg_hi:[0,0,1]
	v_pk_fma_f32 v[88:89], v[90:91], v[78:79], v[88:89] op_sel:[0,0,1] op_sel_hi:[1,0,0]
	v_mov_b32_e32 v93, v89
	ds_load_2addr_b64 v[88:91], v82 offset0:34 offset1:35
	v_pk_add_f32 v[20:21], v[20:21], v[92:93] neg_lo:[0,1] neg_hi:[0,1]
	s_wait_dscnt 0x0
	v_pk_mul_f32 v[92:93], v[88:89], v[80:81] op_sel:[0,1]
	v_pk_mul_f32 v[80:81], v[90:91], v[80:81] op_sel:[0,1]
	s_delay_alu instid0(VALU_DEP_2) | instskip(SKIP_1) | instid1(VALU_DEP_1)
	v_pk_fma_f32 v[94:95], v[88:89], v[78:79], v[92:93] op_sel:[0,0,1] op_sel_hi:[1,1,0] neg_lo:[0,0,1] neg_hi:[0,0,1]
	v_pk_fma_f32 v[88:89], v[88:89], v[78:79], v[92:93] op_sel:[0,0,1] op_sel_hi:[1,0,0]
	v_mov_b32_e32 v95, v89
	s_delay_alu instid0(VALU_DEP_4) | instskip(SKIP_1) | instid1(VALU_DEP_3)
	v_pk_fma_f32 v[88:89], v[90:91], v[78:79], v[80:81] op_sel:[0,0,1] op_sel_hi:[1,1,0] neg_lo:[0,0,1] neg_hi:[0,0,1]
	v_pk_fma_f32 v[78:79], v[90:91], v[78:79], v[80:81] op_sel:[0,0,1] op_sel_hi:[1,0,0]
	v_pk_add_f32 v[18:19], v[18:19], v[94:95] neg_lo:[0,1] neg_hi:[0,1]
	s_delay_alu instid0(VALU_DEP_2) | instskip(NEXT) | instid1(VALU_DEP_1)
	v_mov_b32_e32 v89, v79
	v_pk_add_f32 v[76:77], v[76:77], v[88:89] neg_lo:[0,1] neg_hi:[0,1]
.LBB70_83:
	s_or_b32 exec_lo, exec_lo, s0
	v_lshl_add_u32 v78, v86, 3, v82
	s_barrier_signal -1
	s_barrier_wait -1
	ds_store_b64 v78, v[42:43]
	s_wait_dscnt 0x0
	s_barrier_signal -1
	s_barrier_wait -1
	ds_load_b64 v[80:81], v82 offset:32
	v_mov_b32_e32 v78, 4
	s_cmp_lt_i32 s18, 6
	s_cbranch_scc1 .LBB70_86
; %bb.84:
	v_add3_u32 v79, v83, 0, 40
	v_mov_b32_e32 v78, 4
	s_mov_b32 s0, 5
.LBB70_85:                              ; =>This Inner Loop Header: Depth=1
	ds_load_b64 v[88:89], v79
	s_wait_dscnt 0x1
	v_cmp_gt_f32_e32 vcc_lo, 0, v80
	v_cndmask_b32_e64 v90, v80, -v80, vcc_lo
	v_cmp_gt_f32_e32 vcc_lo, 0, v81
	v_cndmask_b32_e64 v92, v81, -v81, vcc_lo
	s_wait_dscnt 0x0
	v_cmp_gt_f32_e32 vcc_lo, 0, v88
	v_cndmask_b32_e64 v91, v88, -v88, vcc_lo
	v_cmp_gt_f32_e32 vcc_lo, 0, v89
	v_cndmask_b32_e64 v93, v89, -v89, vcc_lo
	s_delay_alu instid0(VALU_DEP_1) | instskip(NEXT) | instid1(VALU_DEP_1)
	v_pk_add_f32 v[90:91], v[90:91], v[92:93]
	v_cmp_lt_f32_e32 vcc_lo, v90, v91
	v_dual_add_nc_u32 v79, 8, v79 :: v_dual_cndmask_b32 v81, v81, v89, vcc_lo
	v_cndmask_b32_e32 v80, v80, v88, vcc_lo
	v_cndmask_b32_e64 v78, v78, s0, vcc_lo
	s_add_co_i32 s0, s0, 1
	s_delay_alu instid0(SALU_CYCLE_1)
	s_cmp_lg_u32 s18, s0
	s_cbranch_scc1 .LBB70_85
.LBB70_86:
	s_wait_dscnt 0x0
	v_cmp_eq_f32_e32 vcc_lo, 0, v80
	v_cmp_eq_f32_e64 s0, 0, v81
	s_and_b32 s0, vcc_lo, s0
	s_delay_alu instid0(SALU_CYCLE_1) | instskip(NEXT) | instid1(SALU_CYCLE_1)
	s_and_saveexec_b32 s1, s0
	s_xor_b32 s0, exec_lo, s1
; %bb.87:
	v_cmp_ne_u32_e32 vcc_lo, 0, v84
	v_cndmask_b32_e32 v84, 5, v84, vcc_lo
; %bb.88:
	s_and_not1_saveexec_b32 s0, s0
	s_cbranch_execz .LBB70_94
; %bb.89:
	v_cmp_ngt_f32_e64 s1, |v80|, |v81|
	s_and_saveexec_b32 s12, s1
	s_delay_alu instid0(SALU_CYCLE_1)
	s_xor_b32 s1, exec_lo, s12
	s_cbranch_execz .LBB70_91
; %bb.90:
	v_div_scale_f32 v79, null, v81, v81, v80
	v_div_scale_f32 v89, vcc_lo, v80, v81, v80
	s_delay_alu instid0(VALU_DEP_2) | instskip(SKIP_1) | instid1(TRANS32_DEP_1)
	v_rcp_f32_e32 v87, v79
	v_nop
	v_fma_f32 v88, -v79, v87, 1.0
	s_delay_alu instid0(VALU_DEP_1) | instskip(NEXT) | instid1(VALU_DEP_1)
	v_fmac_f32_e32 v87, v88, v87
	v_mul_f32_e32 v88, v89, v87
	s_delay_alu instid0(VALU_DEP_1) | instskip(NEXT) | instid1(VALU_DEP_1)
	v_fma_f32 v90, -v79, v88, v89
	v_fmac_f32_e32 v88, v90, v87
	s_delay_alu instid0(VALU_DEP_1) | instskip(NEXT) | instid1(VALU_DEP_1)
	v_fma_f32 v79, -v79, v88, v89
	v_div_fmas_f32 v79, v79, v87, v88
	s_delay_alu instid0(VALU_DEP_1) | instskip(NEXT) | instid1(VALU_DEP_1)
	v_div_fixup_f32 v79, v79, v81, v80
	v_fmac_f32_e32 v81, v80, v79
	s_delay_alu instid0(VALU_DEP_1) | instskip(SKIP_1) | instid1(VALU_DEP_2)
	v_div_scale_f32 v80, null, v81, v81, 1.0
	v_div_scale_f32 v89, vcc_lo, 1.0, v81, 1.0
	v_rcp_f32_e32 v87, v80
	v_nop
	s_delay_alu instid0(TRANS32_DEP_1) | instskip(NEXT) | instid1(VALU_DEP_1)
	v_fma_f32 v88, -v80, v87, 1.0
	v_fmac_f32_e32 v87, v88, v87
	s_delay_alu instid0(VALU_DEP_1) | instskip(NEXT) | instid1(VALU_DEP_1)
	v_mul_f32_e32 v88, v89, v87
	v_fma_f32 v90, -v80, v88, v89
	s_delay_alu instid0(VALU_DEP_1) | instskip(NEXT) | instid1(VALU_DEP_1)
	v_fmac_f32_e32 v88, v90, v87
	v_fma_f32 v80, -v80, v88, v89
	s_delay_alu instid0(VALU_DEP_1) | instskip(NEXT) | instid1(VALU_DEP_1)
	v_div_fmas_f32 v80, v80, v87, v88
	v_div_fixup_f32 v81, v80, v81, 1.0
	s_delay_alu instid0(VALU_DEP_1)
	v_mul_f32_e32 v80, v79, v81
	v_xor_b32_e32 v81, 0x80000000, v81
.LBB70_91:
	s_and_not1_saveexec_b32 s1, s1
	s_cbranch_execz .LBB70_93
; %bb.92:
	s_delay_alu instid0(VALU_DEP_1) | instskip(SKIP_1) | instid1(VALU_DEP_2)
	v_div_scale_f32 v79, null, v80, v80, v81
	v_div_scale_f32 v89, vcc_lo, v81, v80, v81
	v_rcp_f32_e32 v87, v79
	v_nop
	s_delay_alu instid0(TRANS32_DEP_1) | instskip(NEXT) | instid1(VALU_DEP_1)
	v_fma_f32 v88, -v79, v87, 1.0
	v_fmac_f32_e32 v87, v88, v87
	s_delay_alu instid0(VALU_DEP_1) | instskip(NEXT) | instid1(VALU_DEP_1)
	v_mul_f32_e32 v88, v89, v87
	v_fma_f32 v90, -v79, v88, v89
	s_delay_alu instid0(VALU_DEP_1) | instskip(NEXT) | instid1(VALU_DEP_1)
	v_fmac_f32_e32 v88, v90, v87
	v_fma_f32 v79, -v79, v88, v89
	s_delay_alu instid0(VALU_DEP_1) | instskip(NEXT) | instid1(VALU_DEP_1)
	v_div_fmas_f32 v79, v79, v87, v88
	v_div_fixup_f32 v79, v79, v80, v81
	s_delay_alu instid0(VALU_DEP_1) | instskip(NEXT) | instid1(VALU_DEP_1)
	v_fmac_f32_e32 v80, v81, v79
	v_div_scale_f32 v81, null, v80, v80, 1.0
	s_delay_alu instid0(VALU_DEP_1) | instskip(SKIP_1) | instid1(TRANS32_DEP_1)
	v_rcp_f32_e32 v87, v81
	v_nop
	v_fma_f32 v88, -v81, v87, 1.0
	s_delay_alu instid0(VALU_DEP_1) | instskip(SKIP_1) | instid1(VALU_DEP_1)
	v_fmac_f32_e32 v87, v88, v87
	v_div_scale_f32 v88, vcc_lo, 1.0, v80, 1.0
	v_mul_f32_e32 v89, v88, v87
	s_delay_alu instid0(VALU_DEP_1) | instskip(NEXT) | instid1(VALU_DEP_1)
	v_fma_f32 v90, -v81, v89, v88
	v_fmac_f32_e32 v89, v90, v87
	s_delay_alu instid0(VALU_DEP_1) | instskip(NEXT) | instid1(VALU_DEP_1)
	v_fma_f32 v81, -v81, v89, v88
	v_div_fmas_f32 v81, v81, v87, v89
	s_delay_alu instid0(VALU_DEP_1) | instskip(NEXT) | instid1(VALU_DEP_1)
	v_div_fixup_f32 v80, v81, v80, 1.0
	v_mul_f32_e64 v81, v79, -v80
.LBB70_93:
	s_or_b32 exec_lo, exec_lo, s1
.LBB70_94:
	s_delay_alu instid0(SALU_CYCLE_1) | instskip(NEXT) | instid1(SALU_CYCLE_1)
	s_or_b32 exec_lo, exec_lo, s0
	s_mov_b32 s0, exec_lo
	v_cmpx_ne_u32_e64 v86, v78
	s_xor_b32 s0, exec_lo, s0
	s_cbranch_execz .LBB70_100
; %bb.95:
	s_mov_b32 s1, exec_lo
	v_cmpx_eq_u32_e32 4, v86
	s_cbranch_execz .LBB70_99
; %bb.96:
	v_cmp_ne_u32_e32 vcc_lo, 4, v78
	s_xor_b32 s12, s16, -1
	s_delay_alu instid0(SALU_CYCLE_1) | instskip(NEXT) | instid1(SALU_CYCLE_1)
	s_and_b32 s13, s12, vcc_lo
	s_and_saveexec_b32 s12, s13
	s_cbranch_execz .LBB70_98
; %bb.97:
	v_ashrrev_i32_e32 v79, 31, v78
	s_delay_alu instid0(VALU_DEP_1)
	v_lshl_add_u64 v[86:87], v[78:79], 2, v[4:5]
	s_clause 0x1
	global_load_b32 v79, v[86:87], off
	global_load_b32 v85, v[4:5], off offset:16
	s_wait_loadcnt 0x1
	global_store_b32 v[4:5], v79, off offset:16
	s_wait_loadcnt 0x0
	global_store_b32 v[86:87], v85, off
.LBB70_98:
	s_wait_xcnt 0x0
	s_or_b32 exec_lo, exec_lo, s12
	v_dual_mov_b32 v86, v78 :: v_dual_mov_b32 v85, v78
.LBB70_99:
	s_or_b32 exec_lo, exec_lo, s1
.LBB70_100:
	s_and_not1_saveexec_b32 s0, s0
	s_cbranch_execz .LBB70_102
; %bb.101:
	v_mov_b32_e32 v86, 4
	ds_store_2addr_b64 v82, v[34:35], v[40:41] offset0:5 offset1:6
	ds_store_2addr_b64 v82, v[8:9], v[48:49] offset0:7 offset1:8
	;; [unrolled: 1-line block ×15, first 2 shown]
	ds_store_b64 v82, v[76:77] offset:280
.LBB70_102:
	s_or_b32 exec_lo, exec_lo, s0
	s_delay_alu instid0(SALU_CYCLE_1)
	s_mov_b32 s0, exec_lo
	s_wait_storecnt_dscnt 0x0
	s_barrier_signal -1
	s_barrier_wait -1
	v_cmpx_lt_i32_e32 4, v86
	s_cbranch_execz .LBB70_104
; %bb.103:
	v_pk_mul_f32 v[88:89], v[80:81], v[42:43] op_sel:[1,1] op_sel_hi:[0,1]
	s_delay_alu instid0(VALU_DEP_1)
	v_pk_fma_f32 v[78:79], v[80:81], v[42:43], v[88:89] op_sel_hi:[1,0,1] neg_lo:[0,0,1] neg_hi:[0,0,1]
	v_pk_fma_f32 v[80:81], v[80:81], v[42:43], v[88:89] op_sel_hi:[1,0,1]
	ds_load_2addr_b64 v[88:91], v82 offset0:5 offset1:6
	v_dual_mov_b32 v42, v78 :: v_dual_mov_b32 v43, v81
	s_wait_dscnt 0x0
	v_pk_mul_f32 v[92:93], v[88:89], v[80:81] op_sel:[0,1]
	s_delay_alu instid0(VALU_DEP_1) | instskip(SKIP_1) | instid1(VALU_DEP_1)
	v_pk_fma_f32 v[94:95], v[88:89], v[78:79], v[92:93] op_sel:[0,0,1] op_sel_hi:[1,1,0] neg_lo:[0,0,1] neg_hi:[0,0,1]
	v_pk_fma_f32 v[88:89], v[88:89], v[78:79], v[92:93] op_sel:[0,0,1] op_sel_hi:[1,0,0]
	v_mov_b32_e32 v95, v89
	v_pk_mul_f32 v[88:89], v[90:91], v[80:81] op_sel:[0,1]
	s_delay_alu instid0(VALU_DEP_1) | instskip(SKIP_1) | instid1(VALU_DEP_1)
	v_pk_fma_f32 v[92:93], v[90:91], v[78:79], v[88:89] op_sel:[0,0,1] op_sel_hi:[1,1,0] neg_lo:[0,0,1] neg_hi:[0,0,1]
	v_pk_fma_f32 v[88:89], v[90:91], v[78:79], v[88:89] op_sel:[0,0,1] op_sel_hi:[1,0,0]
	v_mov_b32_e32 v93, v89
	ds_load_2addr_b64 v[88:91], v82 offset0:7 offset1:8
	v_pk_add_f32 v[34:35], v[34:35], v[94:95] neg_lo:[0,1] neg_hi:[0,1]
	v_pk_add_f32 v[40:41], v[40:41], v[92:93] neg_lo:[0,1] neg_hi:[0,1]
	s_wait_dscnt 0x0
	v_pk_mul_f32 v[92:93], v[88:89], v[80:81] op_sel:[0,1]
	s_delay_alu instid0(VALU_DEP_1) | instskip(SKIP_2) | instid1(VALU_DEP_2)
	v_pk_fma_f32 v[94:95], v[88:89], v[78:79], v[92:93] op_sel:[0,0,1] op_sel_hi:[1,1,0] neg_lo:[0,0,1] neg_hi:[0,0,1]
	v_pk_fma_f32 v[88:89], v[88:89], v[78:79], v[92:93] op_sel:[0,0,1] op_sel_hi:[1,0,0]
	v_dual_mul_f32 v92, v91, v81 :: v_dual_mov_b32 v88, v91
	v_dual_mov_b32 v95, v89 :: v_dual_mov_b32 v89, v90
	s_delay_alu instid0(VALU_DEP_2) | instskip(SKIP_1) | instid1(VALU_DEP_3)
	v_pk_fma_f32 v[92:93], v[90:91], v[42:43], v[92:93] op_sel_hi:[1,1,0] neg_lo:[0,0,1] neg_hi:[0,0,1]
	v_mul_f32_e32 v90, v91, v78
	v_pk_add_f32 v[8:9], v[8:9], v[94:95] neg_lo:[0,1] neg_hi:[0,1]
	s_delay_alu instid0(VALU_DEP_2) | instskip(NEXT) | instid1(VALU_DEP_1)
	v_pk_fma_f32 v[88:89], v[88:89], v[42:43], v[90:91] op_sel_hi:[1,1,0]
	v_mov_b32_e32 v93, v89
	ds_load_2addr_b64 v[88:91], v82 offset0:9 offset1:10
	v_pk_add_f32 v[48:49], v[48:49], v[92:93] neg_lo:[0,1] neg_hi:[0,1]
	s_wait_dscnt 0x0
	v_pk_mul_f32 v[92:93], v[88:89], v[80:81] op_sel:[0,1]
	s_delay_alu instid0(VALU_DEP_1) | instskip(SKIP_1) | instid1(VALU_DEP_1)
	v_pk_fma_f32 v[94:95], v[88:89], v[78:79], v[92:93] op_sel:[0,0,1] op_sel_hi:[1,1,0] neg_lo:[0,0,1] neg_hi:[0,0,1]
	v_pk_fma_f32 v[88:89], v[88:89], v[78:79], v[92:93] op_sel:[0,0,1] op_sel_hi:[1,0,0]
	v_mov_b32_e32 v95, v89
	v_pk_mul_f32 v[88:89], v[90:91], v[80:81] op_sel:[0,1]
	s_delay_alu instid0(VALU_DEP_1) | instskip(SKIP_1) | instid1(VALU_DEP_1)
	v_pk_fma_f32 v[92:93], v[90:91], v[78:79], v[88:89] op_sel:[0,0,1] op_sel_hi:[1,1,0] neg_lo:[0,0,1] neg_hi:[0,0,1]
	v_pk_fma_f32 v[88:89], v[90:91], v[78:79], v[88:89] op_sel:[0,0,1] op_sel_hi:[1,0,0]
	v_mov_b32_e32 v93, v89
	ds_load_2addr_b64 v[88:91], v82 offset0:11 offset1:12
	v_pk_add_f32 v[44:45], v[44:45], v[94:95] neg_lo:[0,1] neg_hi:[0,1]
	v_pk_add_f32 v[46:47], v[46:47], v[92:93] neg_lo:[0,1] neg_hi:[0,1]
	s_wait_dscnt 0x0
	v_pk_mul_f32 v[92:93], v[88:89], v[80:81] op_sel:[0,1]
	s_delay_alu instid0(VALU_DEP_1) | instskip(SKIP_1) | instid1(VALU_DEP_1)
	v_pk_fma_f32 v[94:95], v[88:89], v[78:79], v[92:93] op_sel:[0,0,1] op_sel_hi:[1,1,0] neg_lo:[0,0,1] neg_hi:[0,0,1]
	v_pk_fma_f32 v[88:89], v[88:89], v[78:79], v[92:93] op_sel:[0,0,1] op_sel_hi:[1,0,0]
	v_mov_b32_e32 v95, v89
	v_pk_mul_f32 v[88:89], v[90:91], v[80:81] op_sel:[0,1]
	s_delay_alu instid0(VALU_DEP_1) | instskip(SKIP_1) | instid1(VALU_DEP_1)
	v_pk_fma_f32 v[92:93], v[90:91], v[78:79], v[88:89] op_sel:[0,0,1] op_sel_hi:[1,1,0] neg_lo:[0,0,1] neg_hi:[0,0,1]
	v_pk_fma_f32 v[88:89], v[90:91], v[78:79], v[88:89] op_sel:[0,0,1] op_sel_hi:[1,0,0]
	v_mov_b32_e32 v93, v89
	ds_load_2addr_b64 v[88:91], v82 offset0:13 offset1:14
	v_pk_add_f32 v[12:13], v[12:13], v[94:95] neg_lo:[0,1] neg_hi:[0,1]
	v_pk_add_f32 v[66:67], v[66:67], v[92:93] neg_lo:[0,1] neg_hi:[0,1]
	s_wait_dscnt 0x0
	v_dual_mul_f32 v92, v89, v81 :: v_dual_mul_f32 v94, v89, v78
	s_delay_alu instid0(VALU_DEP_1) | instskip(NEXT) | instid1(VALU_DEP_2)
	v_pk_fma_f32 v[92:93], v[88:89], v[42:43], v[92:93] op_sel_hi:[1,1,0] neg_lo:[0,0,1] neg_hi:[0,0,1]
	v_pk_fma_f32 v[88:89], v[88:89], v[42:43], v[94:95] op_sel:[1,0,0] op_sel_hi:[0,1,0]
	s_delay_alu instid0(VALU_DEP_1) | instskip(SKIP_1) | instid1(VALU_DEP_2)
	v_mov_b32_e32 v93, v89
	v_pk_mul_f32 v[88:89], v[90:91], v[80:81] op_sel:[0,1]
	v_pk_add_f32 v[62:63], v[62:63], v[92:93] neg_lo:[0,1] neg_hi:[0,1]
	s_delay_alu instid0(VALU_DEP_2) | instskip(SKIP_1) | instid1(VALU_DEP_1)
	v_pk_fma_f32 v[92:93], v[90:91], v[78:79], v[88:89] op_sel:[0,0,1] op_sel_hi:[1,1,0] neg_lo:[0,0,1] neg_hi:[0,0,1]
	v_pk_fma_f32 v[88:89], v[90:91], v[78:79], v[88:89] op_sel:[0,0,1] op_sel_hi:[1,0,0]
	v_mov_b32_e32 v93, v89
	ds_load_2addr_b64 v[88:91], v82 offset0:15 offset1:16
	v_pk_add_f32 v[64:65], v[64:65], v[92:93] neg_lo:[0,1] neg_hi:[0,1]
	s_wait_dscnt 0x0
	v_pk_mul_f32 v[92:93], v[88:89], v[80:81] op_sel:[0,1]
	s_delay_alu instid0(VALU_DEP_1) | instskip(SKIP_1) | instid1(VALU_DEP_1)
	v_pk_fma_f32 v[94:95], v[88:89], v[78:79], v[92:93] op_sel:[0,0,1] op_sel_hi:[1,1,0] neg_lo:[0,0,1] neg_hi:[0,0,1]
	v_pk_fma_f32 v[88:89], v[88:89], v[78:79], v[92:93] op_sel:[0,0,1] op_sel_hi:[1,0,0]
	v_mov_b32_e32 v95, v89
	v_pk_mul_f32 v[88:89], v[90:91], v[80:81] op_sel:[0,1]
	s_delay_alu instid0(VALU_DEP_2) | instskip(NEXT) | instid1(VALU_DEP_2)
	v_pk_add_f32 v[22:23], v[22:23], v[94:95] neg_lo:[0,1] neg_hi:[0,1]
	v_pk_fma_f32 v[92:93], v[90:91], v[78:79], v[88:89] op_sel:[0,0,1] op_sel_hi:[1,1,0] neg_lo:[0,0,1] neg_hi:[0,0,1]
	v_pk_fma_f32 v[88:89], v[90:91], v[78:79], v[88:89] op_sel:[0,0,1] op_sel_hi:[1,0,0]
	s_delay_alu instid0(VALU_DEP_1) | instskip(SKIP_4) | instid1(VALU_DEP_1)
	v_mov_b32_e32 v93, v89
	ds_load_2addr_b64 v[88:91], v82 offset0:17 offset1:18
	v_pk_add_f32 v[60:61], v[60:61], v[92:93] neg_lo:[0,1] neg_hi:[0,1]
	s_wait_dscnt 0x0
	v_pk_mul_f32 v[92:93], v[88:89], v[80:81] op_sel:[0,1]
	v_pk_fma_f32 v[94:95], v[88:89], v[78:79], v[92:93] op_sel:[0,0,1] op_sel_hi:[1,1,0] neg_lo:[0,0,1] neg_hi:[0,0,1]
	v_pk_fma_f32 v[88:89], v[88:89], v[78:79], v[92:93] op_sel:[0,0,1] op_sel_hi:[1,0,0]
	v_dual_mul_f32 v92, v91, v81 :: v_dual_mov_b32 v88, v91
	s_delay_alu instid0(VALU_DEP_2) | instskip(NEXT) | instid1(VALU_DEP_2)
	v_dual_mov_b32 v95, v89 :: v_dual_mov_b32 v89, v90
	v_pk_fma_f32 v[92:93], v[90:91], v[42:43], v[92:93] op_sel_hi:[1,1,0] neg_lo:[0,0,1] neg_hi:[0,0,1]
	v_mul_f32_e32 v90, v91, v78
	s_delay_alu instid0(VALU_DEP_3) | instskip(NEXT) | instid1(VALU_DEP_2)
	v_pk_add_f32 v[56:57], v[56:57], v[94:95] neg_lo:[0,1] neg_hi:[0,1]
	v_pk_fma_f32 v[88:89], v[88:89], v[42:43], v[90:91] op_sel_hi:[1,1,0]
	s_delay_alu instid0(VALU_DEP_1) | instskip(SKIP_4) | instid1(VALU_DEP_1)
	v_mov_b32_e32 v93, v89
	ds_load_2addr_b64 v[88:91], v82 offset0:19 offset1:20
	v_pk_add_f32 v[58:59], v[58:59], v[92:93] neg_lo:[0,1] neg_hi:[0,1]
	s_wait_dscnt 0x0
	v_pk_mul_f32 v[92:93], v[88:89], v[80:81] op_sel:[0,1]
	v_pk_fma_f32 v[94:95], v[88:89], v[78:79], v[92:93] op_sel:[0,0,1] op_sel_hi:[1,1,0] neg_lo:[0,0,1] neg_hi:[0,0,1]
	v_pk_fma_f32 v[88:89], v[88:89], v[78:79], v[92:93] op_sel:[0,0,1] op_sel_hi:[1,0,0]
	s_delay_alu instid0(VALU_DEP_1) | instskip(SKIP_1) | instid1(VALU_DEP_1)
	v_mov_b32_e32 v95, v89
	v_pk_mul_f32 v[88:89], v[90:91], v[80:81] op_sel:[0,1]
	v_pk_fma_f32 v[92:93], v[90:91], v[78:79], v[88:89] op_sel:[0,0,1] op_sel_hi:[1,1,0] neg_lo:[0,0,1] neg_hi:[0,0,1]
	v_pk_fma_f32 v[88:89], v[90:91], v[78:79], v[88:89] op_sel:[0,0,1] op_sel_hi:[1,0,0]
	s_delay_alu instid0(VALU_DEP_1)
	v_mov_b32_e32 v93, v89
	ds_load_2addr_b64 v[88:91], v82 offset0:21 offset1:22
	v_pk_add_f32 v[16:17], v[16:17], v[94:95] neg_lo:[0,1] neg_hi:[0,1]
	v_pk_add_f32 v[54:55], v[54:55], v[92:93] neg_lo:[0,1] neg_hi:[0,1]
	s_wait_dscnt 0x0
	v_pk_mul_f32 v[92:93], v[88:89], v[80:81] op_sel:[0,1]
	s_delay_alu instid0(VALU_DEP_1) | instskip(SKIP_1) | instid1(VALU_DEP_1)
	v_pk_fma_f32 v[94:95], v[88:89], v[78:79], v[92:93] op_sel:[0,0,1] op_sel_hi:[1,1,0] neg_lo:[0,0,1] neg_hi:[0,0,1]
	v_pk_fma_f32 v[88:89], v[88:89], v[78:79], v[92:93] op_sel:[0,0,1] op_sel_hi:[1,0,0]
	v_mov_b32_e32 v95, v89
	v_pk_mul_f32 v[88:89], v[90:91], v[80:81] op_sel:[0,1]
	s_delay_alu instid0(VALU_DEP_1) | instskip(SKIP_1) | instid1(VALU_DEP_1)
	v_pk_fma_f32 v[92:93], v[90:91], v[78:79], v[88:89] op_sel:[0,0,1] op_sel_hi:[1,1,0] neg_lo:[0,0,1] neg_hi:[0,0,1]
	v_pk_fma_f32 v[88:89], v[90:91], v[78:79], v[88:89] op_sel:[0,0,1] op_sel_hi:[1,0,0]
	v_mov_b32_e32 v93, v89
	ds_load_2addr_b64 v[88:91], v82 offset0:23 offset1:24
	v_pk_add_f32 v[50:51], v[50:51], v[94:95] neg_lo:[0,1] neg_hi:[0,1]
	v_pk_add_f32 v[52:53], v[52:53], v[92:93] neg_lo:[0,1] neg_hi:[0,1]
	s_wait_dscnt 0x0
	v_dual_mul_f32 v92, v89, v81 :: v_dual_mul_f32 v94, v89, v78
	s_delay_alu instid0(VALU_DEP_1) | instskip(NEXT) | instid1(VALU_DEP_2)
	v_pk_fma_f32 v[92:93], v[88:89], v[42:43], v[92:93] op_sel_hi:[1,1,0] neg_lo:[0,0,1] neg_hi:[0,0,1]
	v_pk_fma_f32 v[88:89], v[88:89], v[42:43], v[94:95] op_sel:[1,0,0] op_sel_hi:[0,1,0]
	s_delay_alu instid0(VALU_DEP_1) | instskip(SKIP_1) | instid1(VALU_DEP_2)
	v_mov_b32_e32 v93, v89
	v_pk_mul_f32 v[88:89], v[90:91], v[80:81] op_sel:[0,1]
	v_pk_add_f32 v[14:15], v[14:15], v[92:93] neg_lo:[0,1] neg_hi:[0,1]
	s_delay_alu instid0(VALU_DEP_2) | instskip(SKIP_1) | instid1(VALU_DEP_1)
	v_pk_fma_f32 v[92:93], v[90:91], v[78:79], v[88:89] op_sel:[0,0,1] op_sel_hi:[1,1,0] neg_lo:[0,0,1] neg_hi:[0,0,1]
	v_pk_fma_f32 v[88:89], v[90:91], v[78:79], v[88:89] op_sel:[0,0,1] op_sel_hi:[1,0,0]
	v_mov_b32_e32 v93, v89
	ds_load_2addr_b64 v[88:91], v82 offset0:25 offset1:26
	v_pk_add_f32 v[38:39], v[38:39], v[92:93] neg_lo:[0,1] neg_hi:[0,1]
	s_wait_dscnt 0x0
	v_pk_mul_f32 v[92:93], v[88:89], v[80:81] op_sel:[0,1]
	s_delay_alu instid0(VALU_DEP_1) | instskip(SKIP_1) | instid1(VALU_DEP_1)
	v_pk_fma_f32 v[94:95], v[88:89], v[78:79], v[92:93] op_sel:[0,0,1] op_sel_hi:[1,1,0] neg_lo:[0,0,1] neg_hi:[0,0,1]
	v_pk_fma_f32 v[88:89], v[88:89], v[78:79], v[92:93] op_sel:[0,0,1] op_sel_hi:[1,0,0]
	v_mov_b32_e32 v95, v89
	v_pk_mul_f32 v[88:89], v[90:91], v[80:81] op_sel:[0,1]
	s_delay_alu instid0(VALU_DEP_2) | instskip(NEXT) | instid1(VALU_DEP_2)
	v_pk_add_f32 v[32:33], v[32:33], v[94:95] neg_lo:[0,1] neg_hi:[0,1]
	v_pk_fma_f32 v[92:93], v[90:91], v[78:79], v[88:89] op_sel:[0,0,1] op_sel_hi:[1,1,0] neg_lo:[0,0,1] neg_hi:[0,0,1]
	v_pk_fma_f32 v[88:89], v[90:91], v[78:79], v[88:89] op_sel:[0,0,1] op_sel_hi:[1,0,0]
	s_delay_alu instid0(VALU_DEP_1) | instskip(SKIP_4) | instid1(VALU_DEP_1)
	v_mov_b32_e32 v93, v89
	ds_load_2addr_b64 v[88:91], v82 offset0:27 offset1:28
	v_pk_add_f32 v[36:37], v[36:37], v[92:93] neg_lo:[0,1] neg_hi:[0,1]
	s_wait_dscnt 0x0
	v_pk_mul_f32 v[92:93], v[88:89], v[80:81] op_sel:[0,1]
	v_pk_fma_f32 v[94:95], v[88:89], v[78:79], v[92:93] op_sel:[0,0,1] op_sel_hi:[1,1,0] neg_lo:[0,0,1] neg_hi:[0,0,1]
	v_pk_fma_f32 v[88:89], v[88:89], v[78:79], v[92:93] op_sel:[0,0,1] op_sel_hi:[1,0,0]
	v_dual_mul_f32 v92, v91, v81 :: v_dual_mov_b32 v88, v91
	s_delay_alu instid0(VALU_DEP_2) | instskip(NEXT) | instid1(VALU_DEP_2)
	v_dual_mov_b32 v95, v89 :: v_dual_mov_b32 v89, v90
	v_pk_fma_f32 v[92:93], v[90:91], v[42:43], v[92:93] op_sel_hi:[1,1,0] neg_lo:[0,0,1] neg_hi:[0,0,1]
	v_mul_f32_e32 v90, v91, v78
	s_delay_alu instid0(VALU_DEP_3) | instskip(NEXT) | instid1(VALU_DEP_2)
	v_pk_add_f32 v[6:7], v[6:7], v[94:95] neg_lo:[0,1] neg_hi:[0,1]
	v_pk_fma_f32 v[88:89], v[88:89], v[42:43], v[90:91] op_sel_hi:[1,1,0]
	s_delay_alu instid0(VALU_DEP_1) | instskip(SKIP_4) | instid1(VALU_DEP_1)
	v_mov_b32_e32 v93, v89
	ds_load_2addr_b64 v[88:91], v82 offset0:29 offset1:30
	v_pk_add_f32 v[30:31], v[30:31], v[92:93] neg_lo:[0,1] neg_hi:[0,1]
	s_wait_dscnt 0x0
	v_pk_mul_f32 v[92:93], v[88:89], v[80:81] op_sel:[0,1]
	v_pk_fma_f32 v[94:95], v[88:89], v[78:79], v[92:93] op_sel:[0,0,1] op_sel_hi:[1,1,0] neg_lo:[0,0,1] neg_hi:[0,0,1]
	v_pk_fma_f32 v[88:89], v[88:89], v[78:79], v[92:93] op_sel:[0,0,1] op_sel_hi:[1,0,0]
	s_delay_alu instid0(VALU_DEP_1) | instskip(SKIP_1) | instid1(VALU_DEP_1)
	v_mov_b32_e32 v95, v89
	v_pk_mul_f32 v[88:89], v[90:91], v[80:81] op_sel:[0,1]
	v_pk_fma_f32 v[92:93], v[90:91], v[78:79], v[88:89] op_sel:[0,0,1] op_sel_hi:[1,1,0] neg_lo:[0,0,1] neg_hi:[0,0,1]
	v_pk_fma_f32 v[88:89], v[90:91], v[78:79], v[88:89] op_sel:[0,0,1] op_sel_hi:[1,0,0]
	s_delay_alu instid0(VALU_DEP_1)
	v_mov_b32_e32 v93, v89
	ds_load_2addr_b64 v[88:91], v82 offset0:31 offset1:32
	v_pk_add_f32 v[26:27], v[26:27], v[94:95] neg_lo:[0,1] neg_hi:[0,1]
	v_pk_add_f32 v[28:29], v[28:29], v[92:93] neg_lo:[0,1] neg_hi:[0,1]
	s_wait_dscnt 0x0
	v_pk_mul_f32 v[92:93], v[88:89], v[80:81] op_sel:[0,1]
	s_delay_alu instid0(VALU_DEP_1) | instskip(SKIP_1) | instid1(VALU_DEP_1)
	v_pk_fma_f32 v[94:95], v[88:89], v[78:79], v[92:93] op_sel:[0,0,1] op_sel_hi:[1,1,0] neg_lo:[0,0,1] neg_hi:[0,0,1]
	v_pk_fma_f32 v[88:89], v[88:89], v[78:79], v[92:93] op_sel:[0,0,1] op_sel_hi:[1,0,0]
	v_mov_b32_e32 v95, v89
	v_pk_mul_f32 v[88:89], v[90:91], v[80:81] op_sel:[0,1]
	s_delay_alu instid0(VALU_DEP_1) | instskip(SKIP_1) | instid1(VALU_DEP_1)
	v_pk_fma_f32 v[92:93], v[90:91], v[78:79], v[88:89] op_sel:[0,0,1] op_sel_hi:[1,1,0] neg_lo:[0,0,1] neg_hi:[0,0,1]
	v_pk_fma_f32 v[88:89], v[90:91], v[78:79], v[88:89] op_sel:[0,0,1] op_sel_hi:[1,0,0]
	v_mov_b32_e32 v93, v89
	ds_load_2addr_b64 v[88:91], v82 offset0:33 offset1:34
	v_pk_add_f32 v[10:11], v[10:11], v[94:95] neg_lo:[0,1] neg_hi:[0,1]
	v_pk_add_f32 v[24:25], v[24:25], v[92:93] neg_lo:[0,1] neg_hi:[0,1]
	s_wait_dscnt 0x0
	v_dual_mul_f32 v92, v89, v81 :: v_dual_mul_f32 v94, v89, v78
	s_delay_alu instid0(VALU_DEP_1) | instskip(NEXT) | instid1(VALU_DEP_2)
	v_pk_fma_f32 v[92:93], v[88:89], v[42:43], v[92:93] op_sel_hi:[1,1,0] neg_lo:[0,0,1] neg_hi:[0,0,1]
	v_pk_fma_f32 v[88:89], v[88:89], v[42:43], v[94:95] op_sel:[1,0,0] op_sel_hi:[0,1,0]
	s_delay_alu instid0(VALU_DEP_1) | instskip(SKIP_1) | instid1(VALU_DEP_2)
	v_mov_b32_e32 v93, v89
	v_pk_mul_f32 v[88:89], v[90:91], v[80:81] op_sel:[0,1]
	v_pk_add_f32 v[20:21], v[20:21], v[92:93] neg_lo:[0,1] neg_hi:[0,1]
	s_delay_alu instid0(VALU_DEP_2) | instskip(SKIP_1) | instid1(VALU_DEP_1)
	v_pk_fma_f32 v[92:93], v[90:91], v[78:79], v[88:89] op_sel:[0,0,1] op_sel_hi:[1,1,0] neg_lo:[0,0,1] neg_hi:[0,0,1]
	v_pk_fma_f32 v[88:89], v[90:91], v[78:79], v[88:89] op_sel:[0,0,1] op_sel_hi:[1,0,0]
	v_mov_b32_e32 v93, v89
	ds_load_b64 v[88:89], v82 offset:280
	v_pk_add_f32 v[18:19], v[18:19], v[92:93] neg_lo:[0,1] neg_hi:[0,1]
	s_wait_dscnt 0x0
	v_pk_mul_f32 v[80:81], v[88:89], v[80:81] op_sel:[0,1]
	s_delay_alu instid0(VALU_DEP_1) | instskip(SKIP_1) | instid1(VALU_DEP_1)
	v_pk_fma_f32 v[90:91], v[88:89], v[78:79], v[80:81] op_sel:[0,0,1] op_sel_hi:[1,1,0] neg_lo:[0,0,1] neg_hi:[0,0,1]
	v_pk_fma_f32 v[78:79], v[88:89], v[78:79], v[80:81] op_sel:[0,0,1] op_sel_hi:[1,0,0]
	v_mov_b32_e32 v91, v79
	s_delay_alu instid0(VALU_DEP_1)
	v_pk_add_f32 v[76:77], v[76:77], v[90:91] neg_lo:[0,1] neg_hi:[0,1]
.LBB70_104:
	s_or_b32 exec_lo, exec_lo, s0
	v_lshl_add_u32 v78, v86, 3, v82
	s_barrier_signal -1
	s_barrier_wait -1
	ds_store_b64 v78, v[34:35]
	s_wait_dscnt 0x0
	s_barrier_signal -1
	s_barrier_wait -1
	ds_load_b64 v[80:81], v82 offset:40
	v_mov_b32_e32 v78, 5
	s_cmp_lt_i32 s18, 7
	s_cbranch_scc1 .LBB70_107
; %bb.105:
	v_add3_u32 v79, v83, 0, 48
	v_mov_b32_e32 v78, 5
	s_mov_b32 s0, 6
.LBB70_106:                             ; =>This Inner Loop Header: Depth=1
	ds_load_b64 v[88:89], v79
	s_wait_dscnt 0x1
	v_cmp_gt_f32_e32 vcc_lo, 0, v80
	v_cndmask_b32_e64 v90, v80, -v80, vcc_lo
	v_cmp_gt_f32_e32 vcc_lo, 0, v81
	v_cndmask_b32_e64 v92, v81, -v81, vcc_lo
	s_wait_dscnt 0x0
	v_cmp_gt_f32_e32 vcc_lo, 0, v88
	v_cndmask_b32_e64 v91, v88, -v88, vcc_lo
	v_cmp_gt_f32_e32 vcc_lo, 0, v89
	v_cndmask_b32_e64 v93, v89, -v89, vcc_lo
	s_delay_alu instid0(VALU_DEP_1) | instskip(NEXT) | instid1(VALU_DEP_1)
	v_pk_add_f32 v[90:91], v[90:91], v[92:93]
	v_cmp_lt_f32_e32 vcc_lo, v90, v91
	v_dual_add_nc_u32 v79, 8, v79 :: v_dual_cndmask_b32 v81, v81, v89, vcc_lo
	v_cndmask_b32_e32 v80, v80, v88, vcc_lo
	v_cndmask_b32_e64 v78, v78, s0, vcc_lo
	s_add_co_i32 s0, s0, 1
	s_delay_alu instid0(SALU_CYCLE_1)
	s_cmp_lg_u32 s18, s0
	s_cbranch_scc1 .LBB70_106
.LBB70_107:
	s_wait_dscnt 0x0
	v_cmp_eq_f32_e32 vcc_lo, 0, v80
	v_cmp_eq_f32_e64 s0, 0, v81
	s_and_b32 s0, vcc_lo, s0
	s_delay_alu instid0(SALU_CYCLE_1) | instskip(NEXT) | instid1(SALU_CYCLE_1)
	s_and_saveexec_b32 s1, s0
	s_xor_b32 s0, exec_lo, s1
; %bb.108:
	v_cmp_ne_u32_e32 vcc_lo, 0, v84
	v_cndmask_b32_e32 v84, 6, v84, vcc_lo
; %bb.109:
	s_and_not1_saveexec_b32 s0, s0
	s_cbranch_execz .LBB70_115
; %bb.110:
	v_cmp_ngt_f32_e64 s1, |v80|, |v81|
	s_and_saveexec_b32 s12, s1
	s_delay_alu instid0(SALU_CYCLE_1)
	s_xor_b32 s1, exec_lo, s12
	s_cbranch_execz .LBB70_112
; %bb.111:
	v_div_scale_f32 v79, null, v81, v81, v80
	v_div_scale_f32 v89, vcc_lo, v80, v81, v80
	s_delay_alu instid0(VALU_DEP_2) | instskip(SKIP_1) | instid1(TRANS32_DEP_1)
	v_rcp_f32_e32 v87, v79
	v_nop
	v_fma_f32 v88, -v79, v87, 1.0
	s_delay_alu instid0(VALU_DEP_1) | instskip(NEXT) | instid1(VALU_DEP_1)
	v_fmac_f32_e32 v87, v88, v87
	v_mul_f32_e32 v88, v89, v87
	s_delay_alu instid0(VALU_DEP_1) | instskip(NEXT) | instid1(VALU_DEP_1)
	v_fma_f32 v90, -v79, v88, v89
	v_fmac_f32_e32 v88, v90, v87
	s_delay_alu instid0(VALU_DEP_1) | instskip(NEXT) | instid1(VALU_DEP_1)
	v_fma_f32 v79, -v79, v88, v89
	v_div_fmas_f32 v79, v79, v87, v88
	s_delay_alu instid0(VALU_DEP_1) | instskip(NEXT) | instid1(VALU_DEP_1)
	v_div_fixup_f32 v79, v79, v81, v80
	v_fmac_f32_e32 v81, v80, v79
	s_delay_alu instid0(VALU_DEP_1) | instskip(SKIP_1) | instid1(VALU_DEP_2)
	v_div_scale_f32 v80, null, v81, v81, 1.0
	v_div_scale_f32 v89, vcc_lo, 1.0, v81, 1.0
	v_rcp_f32_e32 v87, v80
	v_nop
	s_delay_alu instid0(TRANS32_DEP_1) | instskip(NEXT) | instid1(VALU_DEP_1)
	v_fma_f32 v88, -v80, v87, 1.0
	v_fmac_f32_e32 v87, v88, v87
	s_delay_alu instid0(VALU_DEP_1) | instskip(NEXT) | instid1(VALU_DEP_1)
	v_mul_f32_e32 v88, v89, v87
	v_fma_f32 v90, -v80, v88, v89
	s_delay_alu instid0(VALU_DEP_1) | instskip(NEXT) | instid1(VALU_DEP_1)
	v_fmac_f32_e32 v88, v90, v87
	v_fma_f32 v80, -v80, v88, v89
	s_delay_alu instid0(VALU_DEP_1) | instskip(NEXT) | instid1(VALU_DEP_1)
	v_div_fmas_f32 v80, v80, v87, v88
	v_div_fixup_f32 v81, v80, v81, 1.0
	s_delay_alu instid0(VALU_DEP_1)
	v_mul_f32_e32 v80, v79, v81
	v_xor_b32_e32 v81, 0x80000000, v81
.LBB70_112:
	s_and_not1_saveexec_b32 s1, s1
	s_cbranch_execz .LBB70_114
; %bb.113:
	s_delay_alu instid0(VALU_DEP_1) | instskip(SKIP_1) | instid1(VALU_DEP_2)
	v_div_scale_f32 v79, null, v80, v80, v81
	v_div_scale_f32 v89, vcc_lo, v81, v80, v81
	v_rcp_f32_e32 v87, v79
	v_nop
	s_delay_alu instid0(TRANS32_DEP_1) | instskip(NEXT) | instid1(VALU_DEP_1)
	v_fma_f32 v88, -v79, v87, 1.0
	v_fmac_f32_e32 v87, v88, v87
	s_delay_alu instid0(VALU_DEP_1) | instskip(NEXT) | instid1(VALU_DEP_1)
	v_mul_f32_e32 v88, v89, v87
	v_fma_f32 v90, -v79, v88, v89
	s_delay_alu instid0(VALU_DEP_1) | instskip(NEXT) | instid1(VALU_DEP_1)
	v_fmac_f32_e32 v88, v90, v87
	v_fma_f32 v79, -v79, v88, v89
	s_delay_alu instid0(VALU_DEP_1) | instskip(NEXT) | instid1(VALU_DEP_1)
	v_div_fmas_f32 v79, v79, v87, v88
	v_div_fixup_f32 v79, v79, v80, v81
	s_delay_alu instid0(VALU_DEP_1) | instskip(NEXT) | instid1(VALU_DEP_1)
	v_fmac_f32_e32 v80, v81, v79
	v_div_scale_f32 v81, null, v80, v80, 1.0
	s_delay_alu instid0(VALU_DEP_1) | instskip(SKIP_1) | instid1(TRANS32_DEP_1)
	v_rcp_f32_e32 v87, v81
	v_nop
	v_fma_f32 v88, -v81, v87, 1.0
	s_delay_alu instid0(VALU_DEP_1) | instskip(SKIP_1) | instid1(VALU_DEP_1)
	v_fmac_f32_e32 v87, v88, v87
	v_div_scale_f32 v88, vcc_lo, 1.0, v80, 1.0
	v_mul_f32_e32 v89, v88, v87
	s_delay_alu instid0(VALU_DEP_1) | instskip(NEXT) | instid1(VALU_DEP_1)
	v_fma_f32 v90, -v81, v89, v88
	v_fmac_f32_e32 v89, v90, v87
	s_delay_alu instid0(VALU_DEP_1) | instskip(NEXT) | instid1(VALU_DEP_1)
	v_fma_f32 v81, -v81, v89, v88
	v_div_fmas_f32 v81, v81, v87, v89
	s_delay_alu instid0(VALU_DEP_1) | instskip(NEXT) | instid1(VALU_DEP_1)
	v_div_fixup_f32 v80, v81, v80, 1.0
	v_mul_f32_e64 v81, v79, -v80
.LBB70_114:
	s_or_b32 exec_lo, exec_lo, s1
.LBB70_115:
	s_delay_alu instid0(SALU_CYCLE_1) | instskip(NEXT) | instid1(SALU_CYCLE_1)
	s_or_b32 exec_lo, exec_lo, s0
	s_mov_b32 s0, exec_lo
	v_cmpx_ne_u32_e64 v86, v78
	s_xor_b32 s0, exec_lo, s0
	s_cbranch_execz .LBB70_121
; %bb.116:
	s_mov_b32 s1, exec_lo
	v_cmpx_eq_u32_e32 5, v86
	s_cbranch_execz .LBB70_120
; %bb.117:
	v_cmp_ne_u32_e32 vcc_lo, 5, v78
	s_xor_b32 s12, s16, -1
	s_delay_alu instid0(SALU_CYCLE_1) | instskip(NEXT) | instid1(SALU_CYCLE_1)
	s_and_b32 s13, s12, vcc_lo
	s_and_saveexec_b32 s12, s13
	s_cbranch_execz .LBB70_119
; %bb.118:
	v_ashrrev_i32_e32 v79, 31, v78
	s_delay_alu instid0(VALU_DEP_1)
	v_lshl_add_u64 v[86:87], v[78:79], 2, v[4:5]
	s_clause 0x1
	global_load_b32 v79, v[86:87], off
	global_load_b32 v85, v[4:5], off offset:20
	s_wait_loadcnt 0x1
	global_store_b32 v[4:5], v79, off offset:20
	s_wait_loadcnt 0x0
	global_store_b32 v[86:87], v85, off
.LBB70_119:
	s_wait_xcnt 0x0
	s_or_b32 exec_lo, exec_lo, s12
	v_dual_mov_b32 v86, v78 :: v_dual_mov_b32 v85, v78
.LBB70_120:
	s_or_b32 exec_lo, exec_lo, s1
.LBB70_121:
	s_and_not1_saveexec_b32 s0, s0
	s_cbranch_execz .LBB70_123
; %bb.122:
	v_dual_mov_b32 v78, v40 :: v_dual_mov_b32 v79, v41
	v_dual_mov_b32 v86, v8 :: v_dual_mov_b32 v87, v9
	;; [unrolled: 1-line block ×8, first 2 shown]
	ds_store_2addr_b64 v82, v[78:79], v[86:87] offset0:6 offset1:7
	ds_store_2addr_b64 v82, v[88:89], v[90:91] offset0:8 offset1:9
	;; [unrolled: 1-line block ×4, first 2 shown]
	v_dual_mov_b32 v78, v64 :: v_dual_mov_b32 v79, v65
	v_dual_mov_b32 v86, v22 :: v_dual_mov_b32 v87, v23
	;; [unrolled: 1-line block ×12, first 2 shown]
	ds_store_2addr_b64 v82, v[78:79], v[86:87] offset0:14 offset1:15
	ds_store_2addr_b64 v82, v[88:89], v[90:91] offset0:16 offset1:17
	;; [unrolled: 1-line block ×6, first 2 shown]
	v_dual_mov_b32 v78, v36 :: v_dual_mov_b32 v79, v37
	v_dual_mov_b32 v88, v6 :: v_dual_mov_b32 v89, v7
	;; [unrolled: 1-line block ×9, first 2 shown]
	v_mov_b32_e32 v103, v19
	ds_store_2addr_b64 v82, v[78:79], v[88:89] offset0:26 offset1:27
	ds_store_2addr_b64 v82, v[90:91], v[92:93] offset0:28 offset1:29
	;; [unrolled: 1-line block ×5, first 2 shown]
.LBB70_123:
	s_or_b32 exec_lo, exec_lo, s0
	s_delay_alu instid0(SALU_CYCLE_1)
	s_mov_b32 s0, exec_lo
	s_wait_storecnt_dscnt 0x0
	s_barrier_signal -1
	s_barrier_wait -1
	v_cmpx_lt_i32_e32 5, v86
	s_cbranch_execz .LBB70_125
; %bb.124:
	v_pk_mul_f32 v[88:89], v[80:81], v[34:35] op_sel:[1,1] op_sel_hi:[0,1]
	s_delay_alu instid0(VALU_DEP_1)
	v_pk_fma_f32 v[78:79], v[80:81], v[34:35], v[88:89] op_sel_hi:[1,0,1] neg_lo:[0,0,1] neg_hi:[0,0,1]
	v_pk_fma_f32 v[80:81], v[80:81], v[34:35], v[88:89] op_sel_hi:[1,0,1]
	ds_load_2addr_b64 v[88:91], v82 offset0:6 offset1:7
	v_dual_mov_b32 v34, v78 :: v_dual_mov_b32 v35, v81
	s_wait_dscnt 0x0
	v_pk_mul_f32 v[92:93], v[88:89], v[80:81] op_sel:[0,1]
	s_delay_alu instid0(VALU_DEP_1) | instskip(SKIP_1) | instid1(VALU_DEP_1)
	v_pk_fma_f32 v[94:95], v[88:89], v[78:79], v[92:93] op_sel:[0,0,1] op_sel_hi:[1,1,0] neg_lo:[0,0,1] neg_hi:[0,0,1]
	v_pk_fma_f32 v[88:89], v[88:89], v[78:79], v[92:93] op_sel:[0,0,1] op_sel_hi:[1,0,0]
	v_mov_b32_e32 v95, v89
	v_pk_mul_f32 v[88:89], v[90:91], v[80:81] op_sel:[0,1]
	s_delay_alu instid0(VALU_DEP_1) | instskip(SKIP_1) | instid1(VALU_DEP_1)
	v_pk_fma_f32 v[92:93], v[90:91], v[78:79], v[88:89] op_sel:[0,0,1] op_sel_hi:[1,1,0] neg_lo:[0,0,1] neg_hi:[0,0,1]
	v_pk_fma_f32 v[88:89], v[90:91], v[78:79], v[88:89] op_sel:[0,0,1] op_sel_hi:[1,0,0]
	v_mov_b32_e32 v93, v89
	ds_load_2addr_b64 v[88:91], v82 offset0:8 offset1:9
	v_pk_add_f32 v[40:41], v[40:41], v[94:95] neg_lo:[0,1] neg_hi:[0,1]
	v_pk_add_f32 v[8:9], v[8:9], v[92:93] neg_lo:[0,1] neg_hi:[0,1]
	s_wait_dscnt 0x0
	v_pk_mul_f32 v[92:93], v[88:89], v[80:81] op_sel:[0,1]
	s_delay_alu instid0(VALU_DEP_1) | instskip(SKIP_2) | instid1(VALU_DEP_2)
	v_pk_fma_f32 v[94:95], v[88:89], v[78:79], v[92:93] op_sel:[0,0,1] op_sel_hi:[1,1,0] neg_lo:[0,0,1] neg_hi:[0,0,1]
	v_pk_fma_f32 v[88:89], v[88:89], v[78:79], v[92:93] op_sel:[0,0,1] op_sel_hi:[1,0,0]
	v_dual_mul_f32 v92, v91, v81 :: v_dual_mov_b32 v88, v91
	v_dual_mov_b32 v95, v89 :: v_dual_mov_b32 v89, v90
	s_delay_alu instid0(VALU_DEP_2) | instskip(SKIP_1) | instid1(VALU_DEP_3)
	v_pk_fma_f32 v[92:93], v[90:91], v[34:35], v[92:93] op_sel_hi:[1,1,0] neg_lo:[0,0,1] neg_hi:[0,0,1]
	v_mul_f32_e32 v90, v91, v78
	v_pk_add_f32 v[48:49], v[48:49], v[94:95] neg_lo:[0,1] neg_hi:[0,1]
	s_delay_alu instid0(VALU_DEP_2) | instskip(NEXT) | instid1(VALU_DEP_1)
	v_pk_fma_f32 v[88:89], v[88:89], v[34:35], v[90:91] op_sel_hi:[1,1,0]
	v_mov_b32_e32 v93, v89
	ds_load_2addr_b64 v[88:91], v82 offset0:10 offset1:11
	v_pk_add_f32 v[44:45], v[44:45], v[92:93] neg_lo:[0,1] neg_hi:[0,1]
	s_wait_dscnt 0x0
	v_pk_mul_f32 v[92:93], v[88:89], v[80:81] op_sel:[0,1]
	s_delay_alu instid0(VALU_DEP_1) | instskip(SKIP_1) | instid1(VALU_DEP_1)
	v_pk_fma_f32 v[94:95], v[88:89], v[78:79], v[92:93] op_sel:[0,0,1] op_sel_hi:[1,1,0] neg_lo:[0,0,1] neg_hi:[0,0,1]
	v_pk_fma_f32 v[88:89], v[88:89], v[78:79], v[92:93] op_sel:[0,0,1] op_sel_hi:[1,0,0]
	v_mov_b32_e32 v95, v89
	v_pk_mul_f32 v[88:89], v[90:91], v[80:81] op_sel:[0,1]
	s_delay_alu instid0(VALU_DEP_1) | instskip(SKIP_1) | instid1(VALU_DEP_1)
	v_pk_fma_f32 v[92:93], v[90:91], v[78:79], v[88:89] op_sel:[0,0,1] op_sel_hi:[1,1,0] neg_lo:[0,0,1] neg_hi:[0,0,1]
	v_pk_fma_f32 v[88:89], v[90:91], v[78:79], v[88:89] op_sel:[0,0,1] op_sel_hi:[1,0,0]
	v_mov_b32_e32 v93, v89
	ds_load_2addr_b64 v[88:91], v82 offset0:12 offset1:13
	v_pk_add_f32 v[46:47], v[46:47], v[94:95] neg_lo:[0,1] neg_hi:[0,1]
	v_pk_add_f32 v[12:13], v[12:13], v[92:93] neg_lo:[0,1] neg_hi:[0,1]
	s_wait_dscnt 0x0
	v_pk_mul_f32 v[92:93], v[88:89], v[80:81] op_sel:[0,1]
	s_delay_alu instid0(VALU_DEP_1) | instskip(SKIP_1) | instid1(VALU_DEP_1)
	v_pk_fma_f32 v[94:95], v[88:89], v[78:79], v[92:93] op_sel:[0,0,1] op_sel_hi:[1,1,0] neg_lo:[0,0,1] neg_hi:[0,0,1]
	v_pk_fma_f32 v[88:89], v[88:89], v[78:79], v[92:93] op_sel:[0,0,1] op_sel_hi:[1,0,0]
	v_mov_b32_e32 v95, v89
	v_pk_mul_f32 v[88:89], v[90:91], v[80:81] op_sel:[0,1]
	s_delay_alu instid0(VALU_DEP_1) | instskip(SKIP_1) | instid1(VALU_DEP_1)
	v_pk_fma_f32 v[92:93], v[90:91], v[78:79], v[88:89] op_sel:[0,0,1] op_sel_hi:[1,1,0] neg_lo:[0,0,1] neg_hi:[0,0,1]
	v_pk_fma_f32 v[88:89], v[90:91], v[78:79], v[88:89] op_sel:[0,0,1] op_sel_hi:[1,0,0]
	v_mov_b32_e32 v93, v89
	ds_load_2addr_b64 v[88:91], v82 offset0:14 offset1:15
	v_pk_add_f32 v[66:67], v[66:67], v[94:95] neg_lo:[0,1] neg_hi:[0,1]
	v_pk_add_f32 v[62:63], v[62:63], v[92:93] neg_lo:[0,1] neg_hi:[0,1]
	s_wait_dscnt 0x0
	v_dual_mul_f32 v92, v89, v81 :: v_dual_mul_f32 v94, v89, v78
	s_delay_alu instid0(VALU_DEP_1) | instskip(NEXT) | instid1(VALU_DEP_2)
	v_pk_fma_f32 v[92:93], v[88:89], v[34:35], v[92:93] op_sel_hi:[1,1,0] neg_lo:[0,0,1] neg_hi:[0,0,1]
	v_pk_fma_f32 v[88:89], v[88:89], v[34:35], v[94:95] op_sel:[1,0,0] op_sel_hi:[0,1,0]
	s_delay_alu instid0(VALU_DEP_1) | instskip(SKIP_1) | instid1(VALU_DEP_2)
	v_mov_b32_e32 v93, v89
	v_pk_mul_f32 v[88:89], v[90:91], v[80:81] op_sel:[0,1]
	v_pk_add_f32 v[64:65], v[64:65], v[92:93] neg_lo:[0,1] neg_hi:[0,1]
	s_delay_alu instid0(VALU_DEP_2) | instskip(SKIP_1) | instid1(VALU_DEP_1)
	v_pk_fma_f32 v[92:93], v[90:91], v[78:79], v[88:89] op_sel:[0,0,1] op_sel_hi:[1,1,0] neg_lo:[0,0,1] neg_hi:[0,0,1]
	v_pk_fma_f32 v[88:89], v[90:91], v[78:79], v[88:89] op_sel:[0,0,1] op_sel_hi:[1,0,0]
	v_mov_b32_e32 v93, v89
	ds_load_2addr_b64 v[88:91], v82 offset0:16 offset1:17
	v_pk_add_f32 v[22:23], v[22:23], v[92:93] neg_lo:[0,1] neg_hi:[0,1]
	s_wait_dscnt 0x0
	v_pk_mul_f32 v[92:93], v[88:89], v[80:81] op_sel:[0,1]
	s_delay_alu instid0(VALU_DEP_1) | instskip(SKIP_1) | instid1(VALU_DEP_1)
	v_pk_fma_f32 v[94:95], v[88:89], v[78:79], v[92:93] op_sel:[0,0,1] op_sel_hi:[1,1,0] neg_lo:[0,0,1] neg_hi:[0,0,1]
	v_pk_fma_f32 v[88:89], v[88:89], v[78:79], v[92:93] op_sel:[0,0,1] op_sel_hi:[1,0,0]
	v_mov_b32_e32 v95, v89
	v_pk_mul_f32 v[88:89], v[90:91], v[80:81] op_sel:[0,1]
	s_delay_alu instid0(VALU_DEP_2) | instskip(NEXT) | instid1(VALU_DEP_2)
	v_pk_add_f32 v[60:61], v[60:61], v[94:95] neg_lo:[0,1] neg_hi:[0,1]
	v_pk_fma_f32 v[92:93], v[90:91], v[78:79], v[88:89] op_sel:[0,0,1] op_sel_hi:[1,1,0] neg_lo:[0,0,1] neg_hi:[0,0,1]
	v_pk_fma_f32 v[88:89], v[90:91], v[78:79], v[88:89] op_sel:[0,0,1] op_sel_hi:[1,0,0]
	s_delay_alu instid0(VALU_DEP_1) | instskip(SKIP_4) | instid1(VALU_DEP_1)
	v_mov_b32_e32 v93, v89
	ds_load_2addr_b64 v[88:91], v82 offset0:18 offset1:19
	v_pk_add_f32 v[56:57], v[56:57], v[92:93] neg_lo:[0,1] neg_hi:[0,1]
	s_wait_dscnt 0x0
	v_pk_mul_f32 v[92:93], v[88:89], v[80:81] op_sel:[0,1]
	v_pk_fma_f32 v[94:95], v[88:89], v[78:79], v[92:93] op_sel:[0,0,1] op_sel_hi:[1,1,0] neg_lo:[0,0,1] neg_hi:[0,0,1]
	v_pk_fma_f32 v[88:89], v[88:89], v[78:79], v[92:93] op_sel:[0,0,1] op_sel_hi:[1,0,0]
	v_dual_mul_f32 v92, v91, v81 :: v_dual_mov_b32 v88, v91
	s_delay_alu instid0(VALU_DEP_2) | instskip(NEXT) | instid1(VALU_DEP_2)
	v_dual_mov_b32 v95, v89 :: v_dual_mov_b32 v89, v90
	v_pk_fma_f32 v[92:93], v[90:91], v[34:35], v[92:93] op_sel_hi:[1,1,0] neg_lo:[0,0,1] neg_hi:[0,0,1]
	v_mul_f32_e32 v90, v91, v78
	s_delay_alu instid0(VALU_DEP_3) | instskip(NEXT) | instid1(VALU_DEP_2)
	v_pk_add_f32 v[58:59], v[58:59], v[94:95] neg_lo:[0,1] neg_hi:[0,1]
	v_pk_fma_f32 v[88:89], v[88:89], v[34:35], v[90:91] op_sel_hi:[1,1,0]
	s_delay_alu instid0(VALU_DEP_1) | instskip(SKIP_4) | instid1(VALU_DEP_1)
	v_mov_b32_e32 v93, v89
	ds_load_2addr_b64 v[88:91], v82 offset0:20 offset1:21
	v_pk_add_f32 v[16:17], v[16:17], v[92:93] neg_lo:[0,1] neg_hi:[0,1]
	s_wait_dscnt 0x0
	v_pk_mul_f32 v[92:93], v[88:89], v[80:81] op_sel:[0,1]
	v_pk_fma_f32 v[94:95], v[88:89], v[78:79], v[92:93] op_sel:[0,0,1] op_sel_hi:[1,1,0] neg_lo:[0,0,1] neg_hi:[0,0,1]
	v_pk_fma_f32 v[88:89], v[88:89], v[78:79], v[92:93] op_sel:[0,0,1] op_sel_hi:[1,0,0]
	s_delay_alu instid0(VALU_DEP_1) | instskip(SKIP_1) | instid1(VALU_DEP_1)
	v_mov_b32_e32 v95, v89
	v_pk_mul_f32 v[88:89], v[90:91], v[80:81] op_sel:[0,1]
	v_pk_fma_f32 v[92:93], v[90:91], v[78:79], v[88:89] op_sel:[0,0,1] op_sel_hi:[1,1,0] neg_lo:[0,0,1] neg_hi:[0,0,1]
	v_pk_fma_f32 v[88:89], v[90:91], v[78:79], v[88:89] op_sel:[0,0,1] op_sel_hi:[1,0,0]
	s_delay_alu instid0(VALU_DEP_1)
	v_mov_b32_e32 v93, v89
	ds_load_2addr_b64 v[88:91], v82 offset0:22 offset1:23
	v_pk_add_f32 v[54:55], v[54:55], v[94:95] neg_lo:[0,1] neg_hi:[0,1]
	v_pk_add_f32 v[50:51], v[50:51], v[92:93] neg_lo:[0,1] neg_hi:[0,1]
	s_wait_dscnt 0x0
	v_pk_mul_f32 v[92:93], v[88:89], v[80:81] op_sel:[0,1]
	s_delay_alu instid0(VALU_DEP_1) | instskip(SKIP_1) | instid1(VALU_DEP_1)
	v_pk_fma_f32 v[94:95], v[88:89], v[78:79], v[92:93] op_sel:[0,0,1] op_sel_hi:[1,1,0] neg_lo:[0,0,1] neg_hi:[0,0,1]
	v_pk_fma_f32 v[88:89], v[88:89], v[78:79], v[92:93] op_sel:[0,0,1] op_sel_hi:[1,0,0]
	v_mov_b32_e32 v95, v89
	v_pk_mul_f32 v[88:89], v[90:91], v[80:81] op_sel:[0,1]
	s_delay_alu instid0(VALU_DEP_1) | instskip(SKIP_1) | instid1(VALU_DEP_1)
	v_pk_fma_f32 v[92:93], v[90:91], v[78:79], v[88:89] op_sel:[0,0,1] op_sel_hi:[1,1,0] neg_lo:[0,0,1] neg_hi:[0,0,1]
	v_pk_fma_f32 v[88:89], v[90:91], v[78:79], v[88:89] op_sel:[0,0,1] op_sel_hi:[1,0,0]
	v_mov_b32_e32 v93, v89
	ds_load_2addr_b64 v[88:91], v82 offset0:24 offset1:25
	v_pk_add_f32 v[52:53], v[52:53], v[94:95] neg_lo:[0,1] neg_hi:[0,1]
	v_pk_add_f32 v[14:15], v[14:15], v[92:93] neg_lo:[0,1] neg_hi:[0,1]
	s_wait_dscnt 0x0
	v_dual_mul_f32 v92, v89, v81 :: v_dual_mul_f32 v94, v89, v78
	s_delay_alu instid0(VALU_DEP_1) | instskip(NEXT) | instid1(VALU_DEP_2)
	v_pk_fma_f32 v[92:93], v[88:89], v[34:35], v[92:93] op_sel_hi:[1,1,0] neg_lo:[0,0,1] neg_hi:[0,0,1]
	v_pk_fma_f32 v[88:89], v[88:89], v[34:35], v[94:95] op_sel:[1,0,0] op_sel_hi:[0,1,0]
	s_delay_alu instid0(VALU_DEP_1) | instskip(SKIP_1) | instid1(VALU_DEP_2)
	v_mov_b32_e32 v93, v89
	v_pk_mul_f32 v[88:89], v[90:91], v[80:81] op_sel:[0,1]
	v_pk_add_f32 v[38:39], v[38:39], v[92:93] neg_lo:[0,1] neg_hi:[0,1]
	s_delay_alu instid0(VALU_DEP_2) | instskip(SKIP_1) | instid1(VALU_DEP_1)
	v_pk_fma_f32 v[92:93], v[90:91], v[78:79], v[88:89] op_sel:[0,0,1] op_sel_hi:[1,1,0] neg_lo:[0,0,1] neg_hi:[0,0,1]
	v_pk_fma_f32 v[88:89], v[90:91], v[78:79], v[88:89] op_sel:[0,0,1] op_sel_hi:[1,0,0]
	v_mov_b32_e32 v93, v89
	ds_load_2addr_b64 v[88:91], v82 offset0:26 offset1:27
	v_pk_add_f32 v[32:33], v[32:33], v[92:93] neg_lo:[0,1] neg_hi:[0,1]
	s_wait_dscnt 0x0
	v_pk_mul_f32 v[92:93], v[88:89], v[80:81] op_sel:[0,1]
	s_delay_alu instid0(VALU_DEP_1) | instskip(SKIP_1) | instid1(VALU_DEP_1)
	v_pk_fma_f32 v[94:95], v[88:89], v[78:79], v[92:93] op_sel:[0,0,1] op_sel_hi:[1,1,0] neg_lo:[0,0,1] neg_hi:[0,0,1]
	v_pk_fma_f32 v[88:89], v[88:89], v[78:79], v[92:93] op_sel:[0,0,1] op_sel_hi:[1,0,0]
	v_mov_b32_e32 v95, v89
	v_pk_mul_f32 v[88:89], v[90:91], v[80:81] op_sel:[0,1]
	s_delay_alu instid0(VALU_DEP_2) | instskip(NEXT) | instid1(VALU_DEP_2)
	v_pk_add_f32 v[36:37], v[36:37], v[94:95] neg_lo:[0,1] neg_hi:[0,1]
	v_pk_fma_f32 v[92:93], v[90:91], v[78:79], v[88:89] op_sel:[0,0,1] op_sel_hi:[1,1,0] neg_lo:[0,0,1] neg_hi:[0,0,1]
	v_pk_fma_f32 v[88:89], v[90:91], v[78:79], v[88:89] op_sel:[0,0,1] op_sel_hi:[1,0,0]
	s_delay_alu instid0(VALU_DEP_1) | instskip(SKIP_4) | instid1(VALU_DEP_1)
	v_mov_b32_e32 v93, v89
	ds_load_2addr_b64 v[88:91], v82 offset0:28 offset1:29
	v_pk_add_f32 v[6:7], v[6:7], v[92:93] neg_lo:[0,1] neg_hi:[0,1]
	s_wait_dscnt 0x0
	v_pk_mul_f32 v[92:93], v[88:89], v[80:81] op_sel:[0,1]
	v_pk_fma_f32 v[94:95], v[88:89], v[78:79], v[92:93] op_sel:[0,0,1] op_sel_hi:[1,1,0] neg_lo:[0,0,1] neg_hi:[0,0,1]
	v_pk_fma_f32 v[88:89], v[88:89], v[78:79], v[92:93] op_sel:[0,0,1] op_sel_hi:[1,0,0]
	v_dual_mul_f32 v92, v91, v81 :: v_dual_mov_b32 v88, v91
	s_delay_alu instid0(VALU_DEP_2) | instskip(NEXT) | instid1(VALU_DEP_2)
	v_dual_mov_b32 v95, v89 :: v_dual_mov_b32 v89, v90
	v_pk_fma_f32 v[92:93], v[90:91], v[34:35], v[92:93] op_sel_hi:[1,1,0] neg_lo:[0,0,1] neg_hi:[0,0,1]
	v_mul_f32_e32 v90, v91, v78
	s_delay_alu instid0(VALU_DEP_3) | instskip(NEXT) | instid1(VALU_DEP_2)
	v_pk_add_f32 v[30:31], v[30:31], v[94:95] neg_lo:[0,1] neg_hi:[0,1]
	v_pk_fma_f32 v[88:89], v[88:89], v[34:35], v[90:91] op_sel_hi:[1,1,0]
	s_delay_alu instid0(VALU_DEP_1) | instskip(SKIP_4) | instid1(VALU_DEP_1)
	v_mov_b32_e32 v93, v89
	ds_load_2addr_b64 v[88:91], v82 offset0:30 offset1:31
	v_pk_add_f32 v[26:27], v[26:27], v[92:93] neg_lo:[0,1] neg_hi:[0,1]
	s_wait_dscnt 0x0
	v_pk_mul_f32 v[92:93], v[88:89], v[80:81] op_sel:[0,1]
	v_pk_fma_f32 v[94:95], v[88:89], v[78:79], v[92:93] op_sel:[0,0,1] op_sel_hi:[1,1,0] neg_lo:[0,0,1] neg_hi:[0,0,1]
	v_pk_fma_f32 v[88:89], v[88:89], v[78:79], v[92:93] op_sel:[0,0,1] op_sel_hi:[1,0,0]
	s_delay_alu instid0(VALU_DEP_1) | instskip(SKIP_1) | instid1(VALU_DEP_1)
	v_mov_b32_e32 v95, v89
	v_pk_mul_f32 v[88:89], v[90:91], v[80:81] op_sel:[0,1]
	v_pk_fma_f32 v[92:93], v[90:91], v[78:79], v[88:89] op_sel:[0,0,1] op_sel_hi:[1,1,0] neg_lo:[0,0,1] neg_hi:[0,0,1]
	v_pk_fma_f32 v[88:89], v[90:91], v[78:79], v[88:89] op_sel:[0,0,1] op_sel_hi:[1,0,0]
	s_delay_alu instid0(VALU_DEP_1)
	v_mov_b32_e32 v93, v89
	ds_load_2addr_b64 v[88:91], v82 offset0:32 offset1:33
	v_pk_add_f32 v[28:29], v[28:29], v[94:95] neg_lo:[0,1] neg_hi:[0,1]
	v_pk_add_f32 v[10:11], v[10:11], v[92:93] neg_lo:[0,1] neg_hi:[0,1]
	s_wait_dscnt 0x0
	v_pk_mul_f32 v[92:93], v[88:89], v[80:81] op_sel:[0,1]
	s_delay_alu instid0(VALU_DEP_1) | instskip(SKIP_1) | instid1(VALU_DEP_1)
	v_pk_fma_f32 v[94:95], v[88:89], v[78:79], v[92:93] op_sel:[0,0,1] op_sel_hi:[1,1,0] neg_lo:[0,0,1] neg_hi:[0,0,1]
	v_pk_fma_f32 v[88:89], v[88:89], v[78:79], v[92:93] op_sel:[0,0,1] op_sel_hi:[1,0,0]
	v_mov_b32_e32 v95, v89
	v_pk_mul_f32 v[88:89], v[90:91], v[80:81] op_sel:[0,1]
	s_delay_alu instid0(VALU_DEP_1) | instskip(SKIP_1) | instid1(VALU_DEP_1)
	v_pk_fma_f32 v[92:93], v[90:91], v[78:79], v[88:89] op_sel:[0,0,1] op_sel_hi:[1,1,0] neg_lo:[0,0,1] neg_hi:[0,0,1]
	v_pk_fma_f32 v[88:89], v[90:91], v[78:79], v[88:89] op_sel:[0,0,1] op_sel_hi:[1,0,0]
	v_mov_b32_e32 v93, v89
	ds_load_2addr_b64 v[88:91], v82 offset0:34 offset1:35
	v_pk_add_f32 v[24:25], v[24:25], v[94:95] neg_lo:[0,1] neg_hi:[0,1]
	v_pk_add_f32 v[20:21], v[20:21], v[92:93] neg_lo:[0,1] neg_hi:[0,1]
	s_wait_dscnt 0x0
	v_mul_f32_e32 v80, v89, v81
	s_delay_alu instid0(VALU_DEP_1) | instskip(SKIP_1) | instid1(VALU_DEP_1)
	v_pk_fma_f32 v[92:93], v[88:89], v[34:35], v[80:81] op_sel_hi:[1,1,0] neg_lo:[0,0,1] neg_hi:[0,0,1]
	v_dual_mul_f32 v80, v89, v78 :: v_dual_mul_f32 v78, v91, v78
	v_pk_fma_f32 v[88:89], v[88:89], v[34:35], v[80:81] op_sel:[1,0,0] op_sel_hi:[0,1,0]
	v_dual_mov_b32 v88, v91 :: v_dual_mul_f32 v80, v91, v81
	s_delay_alu instid0(VALU_DEP_2) | instskip(NEXT) | instid1(VALU_DEP_2)
	v_dual_mov_b32 v93, v89 :: v_dual_mov_b32 v89, v90
	v_pk_fma_f32 v[80:81], v[90:91], v[34:35], v[80:81] op_sel_hi:[1,1,0] neg_lo:[0,0,1] neg_hi:[0,0,1]
	s_delay_alu instid0(VALU_DEP_2) | instskip(NEXT) | instid1(VALU_DEP_3)
	v_pk_add_f32 v[18:19], v[18:19], v[92:93] neg_lo:[0,1] neg_hi:[0,1]
	v_pk_fma_f32 v[78:79], v[88:89], v[34:35], v[78:79] op_sel_hi:[1,1,0]
	s_delay_alu instid0(VALU_DEP_1) | instskip(NEXT) | instid1(VALU_DEP_1)
	v_mov_b32_e32 v81, v79
	v_pk_add_f32 v[76:77], v[76:77], v[80:81] neg_lo:[0,1] neg_hi:[0,1]
.LBB70_125:
	s_or_b32 exec_lo, exec_lo, s0
	v_lshl_add_u32 v78, v86, 3, v82
	s_barrier_signal -1
	s_barrier_wait -1
	ds_store_b64 v78, v[40:41]
	s_wait_dscnt 0x0
	s_barrier_signal -1
	s_barrier_wait -1
	ds_load_b64 v[80:81], v82 offset:48
	v_mov_b32_e32 v78, 6
	s_cmp_lt_i32 s18, 8
	s_cbranch_scc1 .LBB70_128
; %bb.126:
	v_add3_u32 v79, v83, 0, 56
	v_mov_b32_e32 v78, 6
	s_mov_b32 s0, 7
.LBB70_127:                             ; =>This Inner Loop Header: Depth=1
	ds_load_b64 v[88:89], v79
	s_wait_dscnt 0x1
	v_cmp_gt_f32_e32 vcc_lo, 0, v80
	v_cndmask_b32_e64 v90, v80, -v80, vcc_lo
	v_cmp_gt_f32_e32 vcc_lo, 0, v81
	v_cndmask_b32_e64 v92, v81, -v81, vcc_lo
	s_wait_dscnt 0x0
	v_cmp_gt_f32_e32 vcc_lo, 0, v88
	v_cndmask_b32_e64 v91, v88, -v88, vcc_lo
	v_cmp_gt_f32_e32 vcc_lo, 0, v89
	v_cndmask_b32_e64 v93, v89, -v89, vcc_lo
	s_delay_alu instid0(VALU_DEP_1) | instskip(NEXT) | instid1(VALU_DEP_1)
	v_pk_add_f32 v[90:91], v[90:91], v[92:93]
	v_cmp_lt_f32_e32 vcc_lo, v90, v91
	v_dual_add_nc_u32 v79, 8, v79 :: v_dual_cndmask_b32 v81, v81, v89, vcc_lo
	v_cndmask_b32_e32 v80, v80, v88, vcc_lo
	v_cndmask_b32_e64 v78, v78, s0, vcc_lo
	s_add_co_i32 s0, s0, 1
	s_delay_alu instid0(SALU_CYCLE_1)
	s_cmp_lg_u32 s18, s0
	s_cbranch_scc1 .LBB70_127
.LBB70_128:
	s_wait_dscnt 0x0
	v_cmp_eq_f32_e32 vcc_lo, 0, v80
	v_cmp_eq_f32_e64 s0, 0, v81
	s_and_b32 s0, vcc_lo, s0
	s_delay_alu instid0(SALU_CYCLE_1) | instskip(NEXT) | instid1(SALU_CYCLE_1)
	s_and_saveexec_b32 s1, s0
	s_xor_b32 s0, exec_lo, s1
; %bb.129:
	v_cmp_ne_u32_e32 vcc_lo, 0, v84
	v_cndmask_b32_e32 v84, 7, v84, vcc_lo
; %bb.130:
	s_and_not1_saveexec_b32 s0, s0
	s_cbranch_execz .LBB70_136
; %bb.131:
	v_cmp_ngt_f32_e64 s1, |v80|, |v81|
	s_and_saveexec_b32 s12, s1
	s_delay_alu instid0(SALU_CYCLE_1)
	s_xor_b32 s1, exec_lo, s12
	s_cbranch_execz .LBB70_133
; %bb.132:
	v_div_scale_f32 v79, null, v81, v81, v80
	v_div_scale_f32 v89, vcc_lo, v80, v81, v80
	s_delay_alu instid0(VALU_DEP_2) | instskip(SKIP_1) | instid1(TRANS32_DEP_1)
	v_rcp_f32_e32 v87, v79
	v_nop
	v_fma_f32 v88, -v79, v87, 1.0
	s_delay_alu instid0(VALU_DEP_1) | instskip(NEXT) | instid1(VALU_DEP_1)
	v_fmac_f32_e32 v87, v88, v87
	v_mul_f32_e32 v88, v89, v87
	s_delay_alu instid0(VALU_DEP_1) | instskip(NEXT) | instid1(VALU_DEP_1)
	v_fma_f32 v90, -v79, v88, v89
	v_fmac_f32_e32 v88, v90, v87
	s_delay_alu instid0(VALU_DEP_1) | instskip(NEXT) | instid1(VALU_DEP_1)
	v_fma_f32 v79, -v79, v88, v89
	v_div_fmas_f32 v79, v79, v87, v88
	s_delay_alu instid0(VALU_DEP_1) | instskip(NEXT) | instid1(VALU_DEP_1)
	v_div_fixup_f32 v79, v79, v81, v80
	v_fmac_f32_e32 v81, v80, v79
	s_delay_alu instid0(VALU_DEP_1) | instskip(SKIP_1) | instid1(VALU_DEP_2)
	v_div_scale_f32 v80, null, v81, v81, 1.0
	v_div_scale_f32 v89, vcc_lo, 1.0, v81, 1.0
	v_rcp_f32_e32 v87, v80
	v_nop
	s_delay_alu instid0(TRANS32_DEP_1) | instskip(NEXT) | instid1(VALU_DEP_1)
	v_fma_f32 v88, -v80, v87, 1.0
	v_fmac_f32_e32 v87, v88, v87
	s_delay_alu instid0(VALU_DEP_1) | instskip(NEXT) | instid1(VALU_DEP_1)
	v_mul_f32_e32 v88, v89, v87
	v_fma_f32 v90, -v80, v88, v89
	s_delay_alu instid0(VALU_DEP_1) | instskip(NEXT) | instid1(VALU_DEP_1)
	v_fmac_f32_e32 v88, v90, v87
	v_fma_f32 v80, -v80, v88, v89
	s_delay_alu instid0(VALU_DEP_1) | instskip(NEXT) | instid1(VALU_DEP_1)
	v_div_fmas_f32 v80, v80, v87, v88
	v_div_fixup_f32 v81, v80, v81, 1.0
	s_delay_alu instid0(VALU_DEP_1)
	v_mul_f32_e32 v80, v79, v81
	v_xor_b32_e32 v81, 0x80000000, v81
.LBB70_133:
	s_and_not1_saveexec_b32 s1, s1
	s_cbranch_execz .LBB70_135
; %bb.134:
	s_delay_alu instid0(VALU_DEP_1) | instskip(SKIP_1) | instid1(VALU_DEP_2)
	v_div_scale_f32 v79, null, v80, v80, v81
	v_div_scale_f32 v89, vcc_lo, v81, v80, v81
	v_rcp_f32_e32 v87, v79
	v_nop
	s_delay_alu instid0(TRANS32_DEP_1) | instskip(NEXT) | instid1(VALU_DEP_1)
	v_fma_f32 v88, -v79, v87, 1.0
	v_fmac_f32_e32 v87, v88, v87
	s_delay_alu instid0(VALU_DEP_1) | instskip(NEXT) | instid1(VALU_DEP_1)
	v_mul_f32_e32 v88, v89, v87
	v_fma_f32 v90, -v79, v88, v89
	s_delay_alu instid0(VALU_DEP_1) | instskip(NEXT) | instid1(VALU_DEP_1)
	v_fmac_f32_e32 v88, v90, v87
	v_fma_f32 v79, -v79, v88, v89
	s_delay_alu instid0(VALU_DEP_1) | instskip(NEXT) | instid1(VALU_DEP_1)
	v_div_fmas_f32 v79, v79, v87, v88
	v_div_fixup_f32 v79, v79, v80, v81
	s_delay_alu instid0(VALU_DEP_1) | instskip(NEXT) | instid1(VALU_DEP_1)
	v_fmac_f32_e32 v80, v81, v79
	v_div_scale_f32 v81, null, v80, v80, 1.0
	s_delay_alu instid0(VALU_DEP_1) | instskip(SKIP_1) | instid1(TRANS32_DEP_1)
	v_rcp_f32_e32 v87, v81
	v_nop
	v_fma_f32 v88, -v81, v87, 1.0
	s_delay_alu instid0(VALU_DEP_1) | instskip(SKIP_1) | instid1(VALU_DEP_1)
	v_fmac_f32_e32 v87, v88, v87
	v_div_scale_f32 v88, vcc_lo, 1.0, v80, 1.0
	v_mul_f32_e32 v89, v88, v87
	s_delay_alu instid0(VALU_DEP_1) | instskip(NEXT) | instid1(VALU_DEP_1)
	v_fma_f32 v90, -v81, v89, v88
	v_fmac_f32_e32 v89, v90, v87
	s_delay_alu instid0(VALU_DEP_1) | instskip(NEXT) | instid1(VALU_DEP_1)
	v_fma_f32 v81, -v81, v89, v88
	v_div_fmas_f32 v81, v81, v87, v89
	s_delay_alu instid0(VALU_DEP_1) | instskip(NEXT) | instid1(VALU_DEP_1)
	v_div_fixup_f32 v80, v81, v80, 1.0
	v_mul_f32_e64 v81, v79, -v80
.LBB70_135:
	s_or_b32 exec_lo, exec_lo, s1
.LBB70_136:
	s_delay_alu instid0(SALU_CYCLE_1) | instskip(NEXT) | instid1(SALU_CYCLE_1)
	s_or_b32 exec_lo, exec_lo, s0
	s_mov_b32 s0, exec_lo
	v_cmpx_ne_u32_e64 v86, v78
	s_xor_b32 s0, exec_lo, s0
	s_cbranch_execz .LBB70_142
; %bb.137:
	s_mov_b32 s1, exec_lo
	v_cmpx_eq_u32_e32 6, v86
	s_cbranch_execz .LBB70_141
; %bb.138:
	v_cmp_ne_u32_e32 vcc_lo, 6, v78
	s_xor_b32 s12, s16, -1
	s_delay_alu instid0(SALU_CYCLE_1) | instskip(NEXT) | instid1(SALU_CYCLE_1)
	s_and_b32 s13, s12, vcc_lo
	s_and_saveexec_b32 s12, s13
	s_cbranch_execz .LBB70_140
; %bb.139:
	v_ashrrev_i32_e32 v79, 31, v78
	s_delay_alu instid0(VALU_DEP_1)
	v_lshl_add_u64 v[86:87], v[78:79], 2, v[4:5]
	s_clause 0x1
	global_load_b32 v79, v[86:87], off
	global_load_b32 v85, v[4:5], off offset:24
	s_wait_loadcnt 0x1
	global_store_b32 v[4:5], v79, off offset:24
	s_wait_loadcnt 0x0
	global_store_b32 v[86:87], v85, off
.LBB70_140:
	s_wait_xcnt 0x0
	s_or_b32 exec_lo, exec_lo, s12
	v_dual_mov_b32 v86, v78 :: v_dual_mov_b32 v85, v78
.LBB70_141:
	s_or_b32 exec_lo, exec_lo, s1
.LBB70_142:
	s_and_not1_saveexec_b32 s0, s0
	s_cbranch_execz .LBB70_144
; %bb.143:
	v_mov_b32_e32 v86, 6
	ds_store_2addr_b64 v82, v[8:9], v[48:49] offset0:7 offset1:8
	ds_store_2addr_b64 v82, v[44:45], v[46:47] offset0:9 offset1:10
	;; [unrolled: 1-line block ×14, first 2 shown]
	ds_store_b64 v82, v[76:77] offset:280
.LBB70_144:
	s_or_b32 exec_lo, exec_lo, s0
	s_delay_alu instid0(SALU_CYCLE_1)
	s_mov_b32 s0, exec_lo
	s_wait_storecnt_dscnt 0x0
	s_barrier_signal -1
	s_barrier_wait -1
	v_cmpx_lt_i32_e32 6, v86
	s_cbranch_execz .LBB70_146
; %bb.145:
	v_pk_mul_f32 v[88:89], v[80:81], v[40:41] op_sel:[1,1] op_sel_hi:[0,1]
	s_delay_alu instid0(VALU_DEP_1)
	v_pk_fma_f32 v[78:79], v[80:81], v[40:41], v[88:89] op_sel_hi:[1,0,1] neg_lo:[0,0,1] neg_hi:[0,0,1]
	v_pk_fma_f32 v[80:81], v[80:81], v[40:41], v[88:89] op_sel_hi:[1,0,1]
	ds_load_2addr_b64 v[88:91], v82 offset0:7 offset1:8
	v_dual_mov_b32 v40, v78 :: v_dual_mov_b32 v41, v81
	s_wait_dscnt 0x0
	v_pk_mul_f32 v[92:93], v[88:89], v[80:81] op_sel:[0,1]
	s_delay_alu instid0(VALU_DEP_1) | instskip(SKIP_1) | instid1(VALU_DEP_1)
	v_pk_fma_f32 v[94:95], v[88:89], v[78:79], v[92:93] op_sel:[0,0,1] op_sel_hi:[1,1,0] neg_lo:[0,0,1] neg_hi:[0,0,1]
	v_pk_fma_f32 v[88:89], v[88:89], v[78:79], v[92:93] op_sel:[0,0,1] op_sel_hi:[1,0,0]
	v_mov_b32_e32 v95, v89
	v_pk_mul_f32 v[88:89], v[90:91], v[80:81] op_sel:[0,1]
	s_delay_alu instid0(VALU_DEP_1) | instskip(SKIP_1) | instid1(VALU_DEP_1)
	v_pk_fma_f32 v[92:93], v[90:91], v[78:79], v[88:89] op_sel:[0,0,1] op_sel_hi:[1,1,0] neg_lo:[0,0,1] neg_hi:[0,0,1]
	v_pk_fma_f32 v[88:89], v[90:91], v[78:79], v[88:89] op_sel:[0,0,1] op_sel_hi:[1,0,0]
	v_mov_b32_e32 v93, v89
	ds_load_2addr_b64 v[88:91], v82 offset0:9 offset1:10
	v_pk_add_f32 v[8:9], v[8:9], v[94:95] neg_lo:[0,1] neg_hi:[0,1]
	v_pk_add_f32 v[48:49], v[48:49], v[92:93] neg_lo:[0,1] neg_hi:[0,1]
	s_wait_dscnt 0x0
	v_pk_mul_f32 v[92:93], v[88:89], v[80:81] op_sel:[0,1]
	s_delay_alu instid0(VALU_DEP_1) | instskip(SKIP_2) | instid1(VALU_DEP_2)
	v_pk_fma_f32 v[94:95], v[88:89], v[78:79], v[92:93] op_sel:[0,0,1] op_sel_hi:[1,1,0] neg_lo:[0,0,1] neg_hi:[0,0,1]
	v_pk_fma_f32 v[88:89], v[88:89], v[78:79], v[92:93] op_sel:[0,0,1] op_sel_hi:[1,0,0]
	v_dual_mul_f32 v92, v91, v81 :: v_dual_mov_b32 v88, v91
	v_dual_mov_b32 v95, v89 :: v_dual_mov_b32 v89, v90
	s_delay_alu instid0(VALU_DEP_2) | instskip(SKIP_1) | instid1(VALU_DEP_3)
	v_pk_fma_f32 v[92:93], v[90:91], v[40:41], v[92:93] op_sel_hi:[1,1,0] neg_lo:[0,0,1] neg_hi:[0,0,1]
	v_mul_f32_e32 v90, v91, v78
	v_pk_add_f32 v[44:45], v[44:45], v[94:95] neg_lo:[0,1] neg_hi:[0,1]
	s_delay_alu instid0(VALU_DEP_2) | instskip(NEXT) | instid1(VALU_DEP_1)
	v_pk_fma_f32 v[88:89], v[88:89], v[40:41], v[90:91] op_sel_hi:[1,1,0]
	v_mov_b32_e32 v93, v89
	ds_load_2addr_b64 v[88:91], v82 offset0:11 offset1:12
	v_pk_add_f32 v[46:47], v[46:47], v[92:93] neg_lo:[0,1] neg_hi:[0,1]
	s_wait_dscnt 0x0
	v_pk_mul_f32 v[92:93], v[88:89], v[80:81] op_sel:[0,1]
	s_delay_alu instid0(VALU_DEP_1) | instskip(SKIP_1) | instid1(VALU_DEP_1)
	v_pk_fma_f32 v[94:95], v[88:89], v[78:79], v[92:93] op_sel:[0,0,1] op_sel_hi:[1,1,0] neg_lo:[0,0,1] neg_hi:[0,0,1]
	v_pk_fma_f32 v[88:89], v[88:89], v[78:79], v[92:93] op_sel:[0,0,1] op_sel_hi:[1,0,0]
	v_mov_b32_e32 v95, v89
	v_pk_mul_f32 v[88:89], v[90:91], v[80:81] op_sel:[0,1]
	s_delay_alu instid0(VALU_DEP_1) | instskip(SKIP_1) | instid1(VALU_DEP_1)
	v_pk_fma_f32 v[92:93], v[90:91], v[78:79], v[88:89] op_sel:[0,0,1] op_sel_hi:[1,1,0] neg_lo:[0,0,1] neg_hi:[0,0,1]
	v_pk_fma_f32 v[88:89], v[90:91], v[78:79], v[88:89] op_sel:[0,0,1] op_sel_hi:[1,0,0]
	v_mov_b32_e32 v93, v89
	ds_load_2addr_b64 v[88:91], v82 offset0:13 offset1:14
	v_pk_add_f32 v[12:13], v[12:13], v[94:95] neg_lo:[0,1] neg_hi:[0,1]
	v_pk_add_f32 v[66:67], v[66:67], v[92:93] neg_lo:[0,1] neg_hi:[0,1]
	s_wait_dscnt 0x0
	v_pk_mul_f32 v[92:93], v[88:89], v[80:81] op_sel:[0,1]
	s_delay_alu instid0(VALU_DEP_1) | instskip(SKIP_1) | instid1(VALU_DEP_1)
	v_pk_fma_f32 v[94:95], v[88:89], v[78:79], v[92:93] op_sel:[0,0,1] op_sel_hi:[1,1,0] neg_lo:[0,0,1] neg_hi:[0,0,1]
	v_pk_fma_f32 v[88:89], v[88:89], v[78:79], v[92:93] op_sel:[0,0,1] op_sel_hi:[1,0,0]
	v_mov_b32_e32 v95, v89
	v_pk_mul_f32 v[88:89], v[90:91], v[80:81] op_sel:[0,1]
	s_delay_alu instid0(VALU_DEP_1) | instskip(SKIP_1) | instid1(VALU_DEP_1)
	v_pk_fma_f32 v[92:93], v[90:91], v[78:79], v[88:89] op_sel:[0,0,1] op_sel_hi:[1,1,0] neg_lo:[0,0,1] neg_hi:[0,0,1]
	v_pk_fma_f32 v[88:89], v[90:91], v[78:79], v[88:89] op_sel:[0,0,1] op_sel_hi:[1,0,0]
	v_mov_b32_e32 v93, v89
	ds_load_2addr_b64 v[88:91], v82 offset0:15 offset1:16
	v_pk_add_f32 v[62:63], v[62:63], v[94:95] neg_lo:[0,1] neg_hi:[0,1]
	v_pk_add_f32 v[64:65], v[64:65], v[92:93] neg_lo:[0,1] neg_hi:[0,1]
	s_wait_dscnt 0x0
	v_dual_mul_f32 v92, v89, v81 :: v_dual_mul_f32 v94, v89, v78
	s_delay_alu instid0(VALU_DEP_1) | instskip(NEXT) | instid1(VALU_DEP_2)
	v_pk_fma_f32 v[92:93], v[88:89], v[40:41], v[92:93] op_sel_hi:[1,1,0] neg_lo:[0,0,1] neg_hi:[0,0,1]
	v_pk_fma_f32 v[88:89], v[88:89], v[40:41], v[94:95] op_sel:[1,0,0] op_sel_hi:[0,1,0]
	s_delay_alu instid0(VALU_DEP_1) | instskip(SKIP_1) | instid1(VALU_DEP_2)
	v_mov_b32_e32 v93, v89
	v_pk_mul_f32 v[88:89], v[90:91], v[80:81] op_sel:[0,1]
	v_pk_add_f32 v[22:23], v[22:23], v[92:93] neg_lo:[0,1] neg_hi:[0,1]
	s_delay_alu instid0(VALU_DEP_2) | instskip(SKIP_1) | instid1(VALU_DEP_1)
	v_pk_fma_f32 v[92:93], v[90:91], v[78:79], v[88:89] op_sel:[0,0,1] op_sel_hi:[1,1,0] neg_lo:[0,0,1] neg_hi:[0,0,1]
	v_pk_fma_f32 v[88:89], v[90:91], v[78:79], v[88:89] op_sel:[0,0,1] op_sel_hi:[1,0,0]
	v_mov_b32_e32 v93, v89
	ds_load_2addr_b64 v[88:91], v82 offset0:17 offset1:18
	v_pk_add_f32 v[60:61], v[60:61], v[92:93] neg_lo:[0,1] neg_hi:[0,1]
	s_wait_dscnt 0x0
	v_pk_mul_f32 v[92:93], v[88:89], v[80:81] op_sel:[0,1]
	s_delay_alu instid0(VALU_DEP_1) | instskip(SKIP_1) | instid1(VALU_DEP_1)
	v_pk_fma_f32 v[94:95], v[88:89], v[78:79], v[92:93] op_sel:[0,0,1] op_sel_hi:[1,1,0] neg_lo:[0,0,1] neg_hi:[0,0,1]
	v_pk_fma_f32 v[88:89], v[88:89], v[78:79], v[92:93] op_sel:[0,0,1] op_sel_hi:[1,0,0]
	v_mov_b32_e32 v95, v89
	v_pk_mul_f32 v[88:89], v[90:91], v[80:81] op_sel:[0,1]
	s_delay_alu instid0(VALU_DEP_2) | instskip(NEXT) | instid1(VALU_DEP_2)
	v_pk_add_f32 v[56:57], v[56:57], v[94:95] neg_lo:[0,1] neg_hi:[0,1]
	v_pk_fma_f32 v[92:93], v[90:91], v[78:79], v[88:89] op_sel:[0,0,1] op_sel_hi:[1,1,0] neg_lo:[0,0,1] neg_hi:[0,0,1]
	v_pk_fma_f32 v[88:89], v[90:91], v[78:79], v[88:89] op_sel:[0,0,1] op_sel_hi:[1,0,0]
	s_delay_alu instid0(VALU_DEP_1) | instskip(SKIP_4) | instid1(VALU_DEP_1)
	v_mov_b32_e32 v93, v89
	ds_load_2addr_b64 v[88:91], v82 offset0:19 offset1:20
	v_pk_add_f32 v[58:59], v[58:59], v[92:93] neg_lo:[0,1] neg_hi:[0,1]
	s_wait_dscnt 0x0
	v_pk_mul_f32 v[92:93], v[88:89], v[80:81] op_sel:[0,1]
	v_pk_fma_f32 v[94:95], v[88:89], v[78:79], v[92:93] op_sel:[0,0,1] op_sel_hi:[1,1,0] neg_lo:[0,0,1] neg_hi:[0,0,1]
	v_pk_fma_f32 v[88:89], v[88:89], v[78:79], v[92:93] op_sel:[0,0,1] op_sel_hi:[1,0,0]
	v_dual_mul_f32 v92, v91, v81 :: v_dual_mov_b32 v88, v91
	s_delay_alu instid0(VALU_DEP_2) | instskip(NEXT) | instid1(VALU_DEP_2)
	v_dual_mov_b32 v95, v89 :: v_dual_mov_b32 v89, v90
	v_pk_fma_f32 v[92:93], v[90:91], v[40:41], v[92:93] op_sel_hi:[1,1,0] neg_lo:[0,0,1] neg_hi:[0,0,1]
	v_mul_f32_e32 v90, v91, v78
	s_delay_alu instid0(VALU_DEP_3) | instskip(NEXT) | instid1(VALU_DEP_2)
	v_pk_add_f32 v[16:17], v[16:17], v[94:95] neg_lo:[0,1] neg_hi:[0,1]
	v_pk_fma_f32 v[88:89], v[88:89], v[40:41], v[90:91] op_sel_hi:[1,1,0]
	s_delay_alu instid0(VALU_DEP_1) | instskip(SKIP_4) | instid1(VALU_DEP_1)
	v_mov_b32_e32 v93, v89
	ds_load_2addr_b64 v[88:91], v82 offset0:21 offset1:22
	v_pk_add_f32 v[54:55], v[54:55], v[92:93] neg_lo:[0,1] neg_hi:[0,1]
	s_wait_dscnt 0x0
	v_pk_mul_f32 v[92:93], v[88:89], v[80:81] op_sel:[0,1]
	v_pk_fma_f32 v[94:95], v[88:89], v[78:79], v[92:93] op_sel:[0,0,1] op_sel_hi:[1,1,0] neg_lo:[0,0,1] neg_hi:[0,0,1]
	v_pk_fma_f32 v[88:89], v[88:89], v[78:79], v[92:93] op_sel:[0,0,1] op_sel_hi:[1,0,0]
	s_delay_alu instid0(VALU_DEP_1) | instskip(SKIP_1) | instid1(VALU_DEP_1)
	v_mov_b32_e32 v95, v89
	v_pk_mul_f32 v[88:89], v[90:91], v[80:81] op_sel:[0,1]
	v_pk_fma_f32 v[92:93], v[90:91], v[78:79], v[88:89] op_sel:[0,0,1] op_sel_hi:[1,1,0] neg_lo:[0,0,1] neg_hi:[0,0,1]
	v_pk_fma_f32 v[88:89], v[90:91], v[78:79], v[88:89] op_sel:[0,0,1] op_sel_hi:[1,0,0]
	s_delay_alu instid0(VALU_DEP_1)
	v_mov_b32_e32 v93, v89
	ds_load_2addr_b64 v[88:91], v82 offset0:23 offset1:24
	v_pk_add_f32 v[50:51], v[50:51], v[94:95] neg_lo:[0,1] neg_hi:[0,1]
	v_pk_add_f32 v[52:53], v[52:53], v[92:93] neg_lo:[0,1] neg_hi:[0,1]
	s_wait_dscnt 0x0
	v_pk_mul_f32 v[92:93], v[88:89], v[80:81] op_sel:[0,1]
	s_delay_alu instid0(VALU_DEP_1) | instskip(SKIP_1) | instid1(VALU_DEP_1)
	v_pk_fma_f32 v[94:95], v[88:89], v[78:79], v[92:93] op_sel:[0,0,1] op_sel_hi:[1,1,0] neg_lo:[0,0,1] neg_hi:[0,0,1]
	v_pk_fma_f32 v[88:89], v[88:89], v[78:79], v[92:93] op_sel:[0,0,1] op_sel_hi:[1,0,0]
	v_mov_b32_e32 v95, v89
	v_pk_mul_f32 v[88:89], v[90:91], v[80:81] op_sel:[0,1]
	s_delay_alu instid0(VALU_DEP_1) | instskip(SKIP_1) | instid1(VALU_DEP_1)
	v_pk_fma_f32 v[92:93], v[90:91], v[78:79], v[88:89] op_sel:[0,0,1] op_sel_hi:[1,1,0] neg_lo:[0,0,1] neg_hi:[0,0,1]
	v_pk_fma_f32 v[88:89], v[90:91], v[78:79], v[88:89] op_sel:[0,0,1] op_sel_hi:[1,0,0]
	v_mov_b32_e32 v93, v89
	ds_load_2addr_b64 v[88:91], v82 offset0:25 offset1:26
	v_pk_add_f32 v[14:15], v[14:15], v[94:95] neg_lo:[0,1] neg_hi:[0,1]
	v_pk_add_f32 v[38:39], v[38:39], v[92:93] neg_lo:[0,1] neg_hi:[0,1]
	s_wait_dscnt 0x0
	v_dual_mul_f32 v92, v89, v81 :: v_dual_mul_f32 v94, v89, v78
	s_delay_alu instid0(VALU_DEP_1) | instskip(NEXT) | instid1(VALU_DEP_2)
	v_pk_fma_f32 v[92:93], v[88:89], v[40:41], v[92:93] op_sel_hi:[1,1,0] neg_lo:[0,0,1] neg_hi:[0,0,1]
	v_pk_fma_f32 v[88:89], v[88:89], v[40:41], v[94:95] op_sel:[1,0,0] op_sel_hi:[0,1,0]
	s_delay_alu instid0(VALU_DEP_1) | instskip(SKIP_1) | instid1(VALU_DEP_2)
	v_mov_b32_e32 v93, v89
	v_pk_mul_f32 v[88:89], v[90:91], v[80:81] op_sel:[0,1]
	v_pk_add_f32 v[32:33], v[32:33], v[92:93] neg_lo:[0,1] neg_hi:[0,1]
	s_delay_alu instid0(VALU_DEP_2) | instskip(SKIP_1) | instid1(VALU_DEP_1)
	v_pk_fma_f32 v[92:93], v[90:91], v[78:79], v[88:89] op_sel:[0,0,1] op_sel_hi:[1,1,0] neg_lo:[0,0,1] neg_hi:[0,0,1]
	v_pk_fma_f32 v[88:89], v[90:91], v[78:79], v[88:89] op_sel:[0,0,1] op_sel_hi:[1,0,0]
	v_mov_b32_e32 v93, v89
	ds_load_2addr_b64 v[88:91], v82 offset0:27 offset1:28
	v_pk_add_f32 v[36:37], v[36:37], v[92:93] neg_lo:[0,1] neg_hi:[0,1]
	s_wait_dscnt 0x0
	v_pk_mul_f32 v[92:93], v[88:89], v[80:81] op_sel:[0,1]
	s_delay_alu instid0(VALU_DEP_1) | instskip(SKIP_1) | instid1(VALU_DEP_1)
	v_pk_fma_f32 v[94:95], v[88:89], v[78:79], v[92:93] op_sel:[0,0,1] op_sel_hi:[1,1,0] neg_lo:[0,0,1] neg_hi:[0,0,1]
	v_pk_fma_f32 v[88:89], v[88:89], v[78:79], v[92:93] op_sel:[0,0,1] op_sel_hi:[1,0,0]
	v_mov_b32_e32 v95, v89
	v_pk_mul_f32 v[88:89], v[90:91], v[80:81] op_sel:[0,1]
	s_delay_alu instid0(VALU_DEP_2) | instskip(NEXT) | instid1(VALU_DEP_2)
	v_pk_add_f32 v[6:7], v[6:7], v[94:95] neg_lo:[0,1] neg_hi:[0,1]
	v_pk_fma_f32 v[92:93], v[90:91], v[78:79], v[88:89] op_sel:[0,0,1] op_sel_hi:[1,1,0] neg_lo:[0,0,1] neg_hi:[0,0,1]
	v_pk_fma_f32 v[88:89], v[90:91], v[78:79], v[88:89] op_sel:[0,0,1] op_sel_hi:[1,0,0]
	s_delay_alu instid0(VALU_DEP_1) | instskip(SKIP_4) | instid1(VALU_DEP_1)
	v_mov_b32_e32 v93, v89
	ds_load_2addr_b64 v[88:91], v82 offset0:29 offset1:30
	v_pk_add_f32 v[30:31], v[30:31], v[92:93] neg_lo:[0,1] neg_hi:[0,1]
	s_wait_dscnt 0x0
	v_pk_mul_f32 v[92:93], v[88:89], v[80:81] op_sel:[0,1]
	v_pk_fma_f32 v[94:95], v[88:89], v[78:79], v[92:93] op_sel:[0,0,1] op_sel_hi:[1,1,0] neg_lo:[0,0,1] neg_hi:[0,0,1]
	v_pk_fma_f32 v[88:89], v[88:89], v[78:79], v[92:93] op_sel:[0,0,1] op_sel_hi:[1,0,0]
	v_dual_mul_f32 v92, v91, v81 :: v_dual_mov_b32 v88, v91
	s_delay_alu instid0(VALU_DEP_2) | instskip(NEXT) | instid1(VALU_DEP_2)
	v_dual_mov_b32 v95, v89 :: v_dual_mov_b32 v89, v90
	v_pk_fma_f32 v[92:93], v[90:91], v[40:41], v[92:93] op_sel_hi:[1,1,0] neg_lo:[0,0,1] neg_hi:[0,0,1]
	v_mul_f32_e32 v90, v91, v78
	s_delay_alu instid0(VALU_DEP_3) | instskip(NEXT) | instid1(VALU_DEP_2)
	v_pk_add_f32 v[26:27], v[26:27], v[94:95] neg_lo:[0,1] neg_hi:[0,1]
	v_pk_fma_f32 v[88:89], v[88:89], v[40:41], v[90:91] op_sel_hi:[1,1,0]
	s_delay_alu instid0(VALU_DEP_1) | instskip(SKIP_4) | instid1(VALU_DEP_1)
	v_mov_b32_e32 v93, v89
	ds_load_2addr_b64 v[88:91], v82 offset0:31 offset1:32
	v_pk_add_f32 v[28:29], v[28:29], v[92:93] neg_lo:[0,1] neg_hi:[0,1]
	s_wait_dscnt 0x0
	v_pk_mul_f32 v[92:93], v[88:89], v[80:81] op_sel:[0,1]
	v_pk_fma_f32 v[94:95], v[88:89], v[78:79], v[92:93] op_sel:[0,0,1] op_sel_hi:[1,1,0] neg_lo:[0,0,1] neg_hi:[0,0,1]
	v_pk_fma_f32 v[88:89], v[88:89], v[78:79], v[92:93] op_sel:[0,0,1] op_sel_hi:[1,0,0]
	s_delay_alu instid0(VALU_DEP_1) | instskip(SKIP_1) | instid1(VALU_DEP_1)
	v_mov_b32_e32 v95, v89
	v_pk_mul_f32 v[88:89], v[90:91], v[80:81] op_sel:[0,1]
	v_pk_fma_f32 v[92:93], v[90:91], v[78:79], v[88:89] op_sel:[0,0,1] op_sel_hi:[1,1,0] neg_lo:[0,0,1] neg_hi:[0,0,1]
	v_pk_fma_f32 v[88:89], v[90:91], v[78:79], v[88:89] op_sel:[0,0,1] op_sel_hi:[1,0,0]
	s_delay_alu instid0(VALU_DEP_1)
	v_mov_b32_e32 v93, v89
	ds_load_2addr_b64 v[88:91], v82 offset0:33 offset1:34
	v_pk_add_f32 v[10:11], v[10:11], v[94:95] neg_lo:[0,1] neg_hi:[0,1]
	v_pk_add_f32 v[24:25], v[24:25], v[92:93] neg_lo:[0,1] neg_hi:[0,1]
	s_wait_dscnt 0x0
	v_pk_mul_f32 v[92:93], v[88:89], v[80:81] op_sel:[0,1]
	s_delay_alu instid0(VALU_DEP_1) | instskip(SKIP_1) | instid1(VALU_DEP_1)
	v_pk_fma_f32 v[94:95], v[88:89], v[78:79], v[92:93] op_sel:[0,0,1] op_sel_hi:[1,1,0] neg_lo:[0,0,1] neg_hi:[0,0,1]
	v_pk_fma_f32 v[88:89], v[88:89], v[78:79], v[92:93] op_sel:[0,0,1] op_sel_hi:[1,0,0]
	v_mov_b32_e32 v95, v89
	v_pk_mul_f32 v[88:89], v[90:91], v[80:81] op_sel:[0,1]
	s_delay_alu instid0(VALU_DEP_1) | instskip(SKIP_1) | instid1(VALU_DEP_1)
	v_pk_fma_f32 v[92:93], v[90:91], v[78:79], v[88:89] op_sel:[0,0,1] op_sel_hi:[1,1,0] neg_lo:[0,0,1] neg_hi:[0,0,1]
	v_pk_fma_f32 v[88:89], v[90:91], v[78:79], v[88:89] op_sel:[0,0,1] op_sel_hi:[1,0,0]
	v_mov_b32_e32 v93, v89
	ds_load_b64 v[88:89], v82 offset:280
	v_pk_add_f32 v[20:21], v[20:21], v[94:95] neg_lo:[0,1] neg_hi:[0,1]
	v_pk_add_f32 v[18:19], v[18:19], v[92:93] neg_lo:[0,1] neg_hi:[0,1]
	s_wait_dscnt 0x0
	v_pk_mul_f32 v[80:81], v[88:89], v[80:81] op_sel:[0,1]
	s_delay_alu instid0(VALU_DEP_1) | instskip(SKIP_1) | instid1(VALU_DEP_1)
	v_pk_fma_f32 v[90:91], v[88:89], v[78:79], v[80:81] op_sel:[0,0,1] op_sel_hi:[1,1,0] neg_lo:[0,0,1] neg_hi:[0,0,1]
	v_pk_fma_f32 v[78:79], v[88:89], v[78:79], v[80:81] op_sel:[0,0,1] op_sel_hi:[1,0,0]
	v_mov_b32_e32 v91, v79
	s_delay_alu instid0(VALU_DEP_1)
	v_pk_add_f32 v[76:77], v[76:77], v[90:91] neg_lo:[0,1] neg_hi:[0,1]
.LBB70_146:
	s_or_b32 exec_lo, exec_lo, s0
	v_lshl_add_u32 v78, v86, 3, v82
	s_barrier_signal -1
	s_barrier_wait -1
	ds_store_b64 v78, v[8:9]
	s_wait_dscnt 0x0
	s_barrier_signal -1
	s_barrier_wait -1
	ds_load_b64 v[80:81], v82 offset:56
	v_mov_b32_e32 v78, 7
	s_cmp_lt_i32 s18, 9
	s_cbranch_scc1 .LBB70_149
; %bb.147:
	v_add3_u32 v79, v83, 0, 64
	v_mov_b32_e32 v78, 7
	s_mov_b32 s0, 8
.LBB70_148:                             ; =>This Inner Loop Header: Depth=1
	ds_load_b64 v[88:89], v79
	s_wait_dscnt 0x1
	v_cmp_gt_f32_e32 vcc_lo, 0, v80
	v_cndmask_b32_e64 v90, v80, -v80, vcc_lo
	v_cmp_gt_f32_e32 vcc_lo, 0, v81
	v_cndmask_b32_e64 v92, v81, -v81, vcc_lo
	s_wait_dscnt 0x0
	v_cmp_gt_f32_e32 vcc_lo, 0, v88
	v_cndmask_b32_e64 v91, v88, -v88, vcc_lo
	v_cmp_gt_f32_e32 vcc_lo, 0, v89
	v_cndmask_b32_e64 v93, v89, -v89, vcc_lo
	s_delay_alu instid0(VALU_DEP_1) | instskip(NEXT) | instid1(VALU_DEP_1)
	v_pk_add_f32 v[90:91], v[90:91], v[92:93]
	v_cmp_lt_f32_e32 vcc_lo, v90, v91
	v_dual_add_nc_u32 v79, 8, v79 :: v_dual_cndmask_b32 v81, v81, v89, vcc_lo
	v_cndmask_b32_e32 v80, v80, v88, vcc_lo
	v_cndmask_b32_e64 v78, v78, s0, vcc_lo
	s_add_co_i32 s0, s0, 1
	s_delay_alu instid0(SALU_CYCLE_1)
	s_cmp_lg_u32 s18, s0
	s_cbranch_scc1 .LBB70_148
.LBB70_149:
	s_wait_dscnt 0x0
	v_cmp_eq_f32_e32 vcc_lo, 0, v80
	v_cmp_eq_f32_e64 s0, 0, v81
	s_and_b32 s0, vcc_lo, s0
	s_delay_alu instid0(SALU_CYCLE_1) | instskip(NEXT) | instid1(SALU_CYCLE_1)
	s_and_saveexec_b32 s1, s0
	s_xor_b32 s0, exec_lo, s1
; %bb.150:
	v_cmp_ne_u32_e32 vcc_lo, 0, v84
	v_cndmask_b32_e32 v84, 8, v84, vcc_lo
; %bb.151:
	s_and_not1_saveexec_b32 s0, s0
	s_cbranch_execz .LBB70_157
; %bb.152:
	v_cmp_ngt_f32_e64 s1, |v80|, |v81|
	s_and_saveexec_b32 s12, s1
	s_delay_alu instid0(SALU_CYCLE_1)
	s_xor_b32 s1, exec_lo, s12
	s_cbranch_execz .LBB70_154
; %bb.153:
	v_div_scale_f32 v79, null, v81, v81, v80
	v_div_scale_f32 v89, vcc_lo, v80, v81, v80
	s_delay_alu instid0(VALU_DEP_2) | instskip(SKIP_1) | instid1(TRANS32_DEP_1)
	v_rcp_f32_e32 v87, v79
	v_nop
	v_fma_f32 v88, -v79, v87, 1.0
	s_delay_alu instid0(VALU_DEP_1) | instskip(NEXT) | instid1(VALU_DEP_1)
	v_fmac_f32_e32 v87, v88, v87
	v_mul_f32_e32 v88, v89, v87
	s_delay_alu instid0(VALU_DEP_1) | instskip(NEXT) | instid1(VALU_DEP_1)
	v_fma_f32 v90, -v79, v88, v89
	v_fmac_f32_e32 v88, v90, v87
	s_delay_alu instid0(VALU_DEP_1) | instskip(NEXT) | instid1(VALU_DEP_1)
	v_fma_f32 v79, -v79, v88, v89
	v_div_fmas_f32 v79, v79, v87, v88
	s_delay_alu instid0(VALU_DEP_1) | instskip(NEXT) | instid1(VALU_DEP_1)
	v_div_fixup_f32 v79, v79, v81, v80
	v_fmac_f32_e32 v81, v80, v79
	s_delay_alu instid0(VALU_DEP_1) | instskip(SKIP_1) | instid1(VALU_DEP_2)
	v_div_scale_f32 v80, null, v81, v81, 1.0
	v_div_scale_f32 v89, vcc_lo, 1.0, v81, 1.0
	v_rcp_f32_e32 v87, v80
	v_nop
	s_delay_alu instid0(TRANS32_DEP_1) | instskip(NEXT) | instid1(VALU_DEP_1)
	v_fma_f32 v88, -v80, v87, 1.0
	v_fmac_f32_e32 v87, v88, v87
	s_delay_alu instid0(VALU_DEP_1) | instskip(NEXT) | instid1(VALU_DEP_1)
	v_mul_f32_e32 v88, v89, v87
	v_fma_f32 v90, -v80, v88, v89
	s_delay_alu instid0(VALU_DEP_1) | instskip(NEXT) | instid1(VALU_DEP_1)
	v_fmac_f32_e32 v88, v90, v87
	v_fma_f32 v80, -v80, v88, v89
	s_delay_alu instid0(VALU_DEP_1) | instskip(NEXT) | instid1(VALU_DEP_1)
	v_div_fmas_f32 v80, v80, v87, v88
	v_div_fixup_f32 v81, v80, v81, 1.0
	s_delay_alu instid0(VALU_DEP_1)
	v_mul_f32_e32 v80, v79, v81
	v_xor_b32_e32 v81, 0x80000000, v81
.LBB70_154:
	s_and_not1_saveexec_b32 s1, s1
	s_cbranch_execz .LBB70_156
; %bb.155:
	s_delay_alu instid0(VALU_DEP_1) | instskip(SKIP_1) | instid1(VALU_DEP_2)
	v_div_scale_f32 v79, null, v80, v80, v81
	v_div_scale_f32 v89, vcc_lo, v81, v80, v81
	v_rcp_f32_e32 v87, v79
	v_nop
	s_delay_alu instid0(TRANS32_DEP_1) | instskip(NEXT) | instid1(VALU_DEP_1)
	v_fma_f32 v88, -v79, v87, 1.0
	v_fmac_f32_e32 v87, v88, v87
	s_delay_alu instid0(VALU_DEP_1) | instskip(NEXT) | instid1(VALU_DEP_1)
	v_mul_f32_e32 v88, v89, v87
	v_fma_f32 v90, -v79, v88, v89
	s_delay_alu instid0(VALU_DEP_1) | instskip(NEXT) | instid1(VALU_DEP_1)
	v_fmac_f32_e32 v88, v90, v87
	v_fma_f32 v79, -v79, v88, v89
	s_delay_alu instid0(VALU_DEP_1) | instskip(NEXT) | instid1(VALU_DEP_1)
	v_div_fmas_f32 v79, v79, v87, v88
	v_div_fixup_f32 v79, v79, v80, v81
	s_delay_alu instid0(VALU_DEP_1) | instskip(NEXT) | instid1(VALU_DEP_1)
	v_fmac_f32_e32 v80, v81, v79
	v_div_scale_f32 v81, null, v80, v80, 1.0
	s_delay_alu instid0(VALU_DEP_1) | instskip(SKIP_1) | instid1(TRANS32_DEP_1)
	v_rcp_f32_e32 v87, v81
	v_nop
	v_fma_f32 v88, -v81, v87, 1.0
	s_delay_alu instid0(VALU_DEP_1) | instskip(SKIP_1) | instid1(VALU_DEP_1)
	v_fmac_f32_e32 v87, v88, v87
	v_div_scale_f32 v88, vcc_lo, 1.0, v80, 1.0
	v_mul_f32_e32 v89, v88, v87
	s_delay_alu instid0(VALU_DEP_1) | instskip(NEXT) | instid1(VALU_DEP_1)
	v_fma_f32 v90, -v81, v89, v88
	v_fmac_f32_e32 v89, v90, v87
	s_delay_alu instid0(VALU_DEP_1) | instskip(NEXT) | instid1(VALU_DEP_1)
	v_fma_f32 v81, -v81, v89, v88
	v_div_fmas_f32 v81, v81, v87, v89
	s_delay_alu instid0(VALU_DEP_1) | instskip(NEXT) | instid1(VALU_DEP_1)
	v_div_fixup_f32 v80, v81, v80, 1.0
	v_mul_f32_e64 v81, v79, -v80
.LBB70_156:
	s_or_b32 exec_lo, exec_lo, s1
.LBB70_157:
	s_delay_alu instid0(SALU_CYCLE_1) | instskip(NEXT) | instid1(SALU_CYCLE_1)
	s_or_b32 exec_lo, exec_lo, s0
	s_mov_b32 s0, exec_lo
	v_cmpx_ne_u32_e64 v86, v78
	s_xor_b32 s0, exec_lo, s0
	s_cbranch_execz .LBB70_163
; %bb.158:
	s_mov_b32 s1, exec_lo
	v_cmpx_eq_u32_e32 7, v86
	s_cbranch_execz .LBB70_162
; %bb.159:
	v_cmp_ne_u32_e32 vcc_lo, 7, v78
	s_xor_b32 s12, s16, -1
	s_delay_alu instid0(SALU_CYCLE_1) | instskip(NEXT) | instid1(SALU_CYCLE_1)
	s_and_b32 s13, s12, vcc_lo
	s_and_saveexec_b32 s12, s13
	s_cbranch_execz .LBB70_161
; %bb.160:
	v_ashrrev_i32_e32 v79, 31, v78
	s_delay_alu instid0(VALU_DEP_1)
	v_lshl_add_u64 v[86:87], v[78:79], 2, v[4:5]
	s_clause 0x1
	global_load_b32 v79, v[86:87], off
	global_load_b32 v85, v[4:5], off offset:28
	s_wait_loadcnt 0x1
	global_store_b32 v[4:5], v79, off offset:28
	s_wait_loadcnt 0x0
	global_store_b32 v[86:87], v85, off
.LBB70_161:
	s_wait_xcnt 0x0
	s_or_b32 exec_lo, exec_lo, s12
	v_dual_mov_b32 v86, v78 :: v_dual_mov_b32 v85, v78
.LBB70_162:
	s_or_b32 exec_lo, exec_lo, s1
.LBB70_163:
	s_and_not1_saveexec_b32 s0, s0
	s_cbranch_execz .LBB70_165
; %bb.164:
	v_dual_mov_b32 v78, v48 :: v_dual_mov_b32 v79, v49
	v_dual_mov_b32 v86, v44 :: v_dual_mov_b32 v87, v45
	;; [unrolled: 1-line block ×8, first 2 shown]
	ds_store_2addr_b64 v82, v[78:79], v[86:87] offset0:8 offset1:9
	ds_store_2addr_b64 v82, v[88:89], v[90:91] offset0:10 offset1:11
	;; [unrolled: 1-line block ×4, first 2 shown]
	v_dual_mov_b32 v78, v60 :: v_dual_mov_b32 v79, v61
	v_dual_mov_b32 v86, v56 :: v_dual_mov_b32 v87, v57
	v_dual_mov_b32 v88, v58 :: v_dual_mov_b32 v89, v59
	v_dual_mov_b32 v90, v16 :: v_dual_mov_b32 v91, v17
	v_dual_mov_b32 v92, v54 :: v_dual_mov_b32 v93, v55
	v_dual_mov_b32 v94, v50 :: v_dual_mov_b32 v95, v51
	v_dual_mov_b32 v96, v52 :: v_dual_mov_b32 v97, v53
	v_dual_mov_b32 v98, v14 :: v_dual_mov_b32 v99, v15
	v_dual_mov_b32 v100, v38 :: v_dual_mov_b32 v101, v39
	v_dual_mov_b32 v102, v32 :: v_dual_mov_b32 v103, v33
	v_dual_mov_b32 v104, v36 :: v_dual_mov_b32 v105, v37
	v_dual_mov_b32 v106, v6 :: v_dual_mov_b32 v107, v7
	ds_store_2addr_b64 v82, v[78:79], v[86:87] offset0:16 offset1:17
	ds_store_2addr_b64 v82, v[88:89], v[90:91] offset0:18 offset1:19
	;; [unrolled: 1-line block ×6, first 2 shown]
	v_dual_mov_b32 v78, v30 :: v_dual_mov_b32 v79, v31
	v_dual_mov_b32 v88, v26 :: v_dual_mov_b32 v89, v27
	;; [unrolled: 1-line block ×7, first 2 shown]
	v_mov_b32_e32 v99, v19
	ds_store_2addr_b64 v82, v[78:79], v[88:89] offset0:28 offset1:29
	ds_store_2addr_b64 v82, v[90:91], v[92:93] offset0:30 offset1:31
	;; [unrolled: 1-line block ×4, first 2 shown]
.LBB70_165:
	s_or_b32 exec_lo, exec_lo, s0
	s_delay_alu instid0(SALU_CYCLE_1)
	s_mov_b32 s0, exec_lo
	s_wait_storecnt_dscnt 0x0
	s_barrier_signal -1
	s_barrier_wait -1
	v_cmpx_lt_i32_e32 7, v86
	s_cbranch_execz .LBB70_167
; %bb.166:
	v_pk_mul_f32 v[88:89], v[80:81], v[8:9] op_sel:[1,1] op_sel_hi:[0,1]
	s_delay_alu instid0(VALU_DEP_1)
	v_pk_fma_f32 v[78:79], v[80:81], v[8:9], v[88:89] op_sel_hi:[1,0,1] neg_lo:[0,0,1] neg_hi:[0,0,1]
	v_pk_fma_f32 v[80:81], v[80:81], v[8:9], v[88:89] op_sel_hi:[1,0,1]
	ds_load_2addr_b64 v[88:91], v82 offset0:8 offset1:9
	v_dual_mov_b32 v8, v78 :: v_dual_mov_b32 v9, v81
	s_wait_dscnt 0x0
	v_pk_mul_f32 v[92:93], v[88:89], v[80:81] op_sel:[0,1]
	s_delay_alu instid0(VALU_DEP_1) | instskip(SKIP_1) | instid1(VALU_DEP_1)
	v_pk_fma_f32 v[94:95], v[88:89], v[78:79], v[92:93] op_sel:[0,0,1] op_sel_hi:[1,1,0] neg_lo:[0,0,1] neg_hi:[0,0,1]
	v_pk_fma_f32 v[88:89], v[88:89], v[78:79], v[92:93] op_sel:[0,0,1] op_sel_hi:[1,0,0]
	v_mov_b32_e32 v95, v89
	v_pk_mul_f32 v[88:89], v[90:91], v[80:81] op_sel:[0,1]
	s_delay_alu instid0(VALU_DEP_1) | instskip(SKIP_1) | instid1(VALU_DEP_1)
	v_pk_fma_f32 v[92:93], v[90:91], v[78:79], v[88:89] op_sel:[0,0,1] op_sel_hi:[1,1,0] neg_lo:[0,0,1] neg_hi:[0,0,1]
	v_pk_fma_f32 v[88:89], v[90:91], v[78:79], v[88:89] op_sel:[0,0,1] op_sel_hi:[1,0,0]
	v_mov_b32_e32 v93, v89
	ds_load_2addr_b64 v[88:91], v82 offset0:10 offset1:11
	v_pk_add_f32 v[48:49], v[48:49], v[94:95] neg_lo:[0,1] neg_hi:[0,1]
	v_pk_add_f32 v[44:45], v[44:45], v[92:93] neg_lo:[0,1] neg_hi:[0,1]
	s_wait_dscnt 0x0
	v_pk_mul_f32 v[92:93], v[88:89], v[80:81] op_sel:[0,1]
	s_delay_alu instid0(VALU_DEP_1) | instskip(SKIP_2) | instid1(VALU_DEP_2)
	v_pk_fma_f32 v[94:95], v[88:89], v[78:79], v[92:93] op_sel:[0,0,1] op_sel_hi:[1,1,0] neg_lo:[0,0,1] neg_hi:[0,0,1]
	v_pk_fma_f32 v[88:89], v[88:89], v[78:79], v[92:93] op_sel:[0,0,1] op_sel_hi:[1,0,0]
	v_dual_mul_f32 v92, v91, v81 :: v_dual_mov_b32 v88, v91
	v_dual_mov_b32 v95, v89 :: v_dual_mov_b32 v89, v90
	s_delay_alu instid0(VALU_DEP_2) | instskip(SKIP_1) | instid1(VALU_DEP_3)
	v_pk_fma_f32 v[92:93], v[90:91], v[8:9], v[92:93] op_sel_hi:[1,1,0] neg_lo:[0,0,1] neg_hi:[0,0,1]
	v_mul_f32_e32 v90, v91, v78
	v_pk_add_f32 v[46:47], v[46:47], v[94:95] neg_lo:[0,1] neg_hi:[0,1]
	s_delay_alu instid0(VALU_DEP_2) | instskip(NEXT) | instid1(VALU_DEP_1)
	v_pk_fma_f32 v[88:89], v[88:89], v[8:9], v[90:91] op_sel_hi:[1,1,0]
	v_mov_b32_e32 v93, v89
	ds_load_2addr_b64 v[88:91], v82 offset0:12 offset1:13
	v_pk_add_f32 v[12:13], v[12:13], v[92:93] neg_lo:[0,1] neg_hi:[0,1]
	s_wait_dscnt 0x0
	v_pk_mul_f32 v[92:93], v[88:89], v[80:81] op_sel:[0,1]
	s_delay_alu instid0(VALU_DEP_1) | instskip(SKIP_1) | instid1(VALU_DEP_1)
	v_pk_fma_f32 v[94:95], v[88:89], v[78:79], v[92:93] op_sel:[0,0,1] op_sel_hi:[1,1,0] neg_lo:[0,0,1] neg_hi:[0,0,1]
	v_pk_fma_f32 v[88:89], v[88:89], v[78:79], v[92:93] op_sel:[0,0,1] op_sel_hi:[1,0,0]
	v_mov_b32_e32 v95, v89
	v_pk_mul_f32 v[88:89], v[90:91], v[80:81] op_sel:[0,1]
	s_delay_alu instid0(VALU_DEP_1) | instskip(SKIP_1) | instid1(VALU_DEP_1)
	v_pk_fma_f32 v[92:93], v[90:91], v[78:79], v[88:89] op_sel:[0,0,1] op_sel_hi:[1,1,0] neg_lo:[0,0,1] neg_hi:[0,0,1]
	v_pk_fma_f32 v[88:89], v[90:91], v[78:79], v[88:89] op_sel:[0,0,1] op_sel_hi:[1,0,0]
	v_mov_b32_e32 v93, v89
	ds_load_2addr_b64 v[88:91], v82 offset0:14 offset1:15
	v_pk_add_f32 v[66:67], v[66:67], v[94:95] neg_lo:[0,1] neg_hi:[0,1]
	v_pk_add_f32 v[62:63], v[62:63], v[92:93] neg_lo:[0,1] neg_hi:[0,1]
	s_wait_dscnt 0x0
	v_pk_mul_f32 v[92:93], v[88:89], v[80:81] op_sel:[0,1]
	s_delay_alu instid0(VALU_DEP_1) | instskip(SKIP_1) | instid1(VALU_DEP_1)
	v_pk_fma_f32 v[94:95], v[88:89], v[78:79], v[92:93] op_sel:[0,0,1] op_sel_hi:[1,1,0] neg_lo:[0,0,1] neg_hi:[0,0,1]
	v_pk_fma_f32 v[88:89], v[88:89], v[78:79], v[92:93] op_sel:[0,0,1] op_sel_hi:[1,0,0]
	v_mov_b32_e32 v95, v89
	v_pk_mul_f32 v[88:89], v[90:91], v[80:81] op_sel:[0,1]
	s_delay_alu instid0(VALU_DEP_1) | instskip(SKIP_1) | instid1(VALU_DEP_1)
	v_pk_fma_f32 v[92:93], v[90:91], v[78:79], v[88:89] op_sel:[0,0,1] op_sel_hi:[1,1,0] neg_lo:[0,0,1] neg_hi:[0,0,1]
	v_pk_fma_f32 v[88:89], v[90:91], v[78:79], v[88:89] op_sel:[0,0,1] op_sel_hi:[1,0,0]
	v_mov_b32_e32 v93, v89
	ds_load_2addr_b64 v[88:91], v82 offset0:16 offset1:17
	v_pk_add_f32 v[64:65], v[64:65], v[94:95] neg_lo:[0,1] neg_hi:[0,1]
	v_pk_add_f32 v[22:23], v[22:23], v[92:93] neg_lo:[0,1] neg_hi:[0,1]
	s_wait_dscnt 0x0
	v_dual_mul_f32 v92, v89, v81 :: v_dual_mul_f32 v94, v89, v78
	s_delay_alu instid0(VALU_DEP_1) | instskip(NEXT) | instid1(VALU_DEP_2)
	v_pk_fma_f32 v[92:93], v[88:89], v[8:9], v[92:93] op_sel_hi:[1,1,0] neg_lo:[0,0,1] neg_hi:[0,0,1]
	v_pk_fma_f32 v[88:89], v[88:89], v[8:9], v[94:95] op_sel:[1,0,0] op_sel_hi:[0,1,0]
	s_delay_alu instid0(VALU_DEP_1) | instskip(SKIP_1) | instid1(VALU_DEP_2)
	v_mov_b32_e32 v93, v89
	v_pk_mul_f32 v[88:89], v[90:91], v[80:81] op_sel:[0,1]
	v_pk_add_f32 v[60:61], v[60:61], v[92:93] neg_lo:[0,1] neg_hi:[0,1]
	s_delay_alu instid0(VALU_DEP_2) | instskip(SKIP_1) | instid1(VALU_DEP_1)
	v_pk_fma_f32 v[92:93], v[90:91], v[78:79], v[88:89] op_sel:[0,0,1] op_sel_hi:[1,1,0] neg_lo:[0,0,1] neg_hi:[0,0,1]
	v_pk_fma_f32 v[88:89], v[90:91], v[78:79], v[88:89] op_sel:[0,0,1] op_sel_hi:[1,0,0]
	v_mov_b32_e32 v93, v89
	ds_load_2addr_b64 v[88:91], v82 offset0:18 offset1:19
	v_pk_add_f32 v[56:57], v[56:57], v[92:93] neg_lo:[0,1] neg_hi:[0,1]
	s_wait_dscnt 0x0
	v_pk_mul_f32 v[92:93], v[88:89], v[80:81] op_sel:[0,1]
	s_delay_alu instid0(VALU_DEP_1) | instskip(SKIP_1) | instid1(VALU_DEP_1)
	v_pk_fma_f32 v[94:95], v[88:89], v[78:79], v[92:93] op_sel:[0,0,1] op_sel_hi:[1,1,0] neg_lo:[0,0,1] neg_hi:[0,0,1]
	v_pk_fma_f32 v[88:89], v[88:89], v[78:79], v[92:93] op_sel:[0,0,1] op_sel_hi:[1,0,0]
	v_mov_b32_e32 v95, v89
	v_pk_mul_f32 v[88:89], v[90:91], v[80:81] op_sel:[0,1]
	s_delay_alu instid0(VALU_DEP_2) | instskip(NEXT) | instid1(VALU_DEP_2)
	v_pk_add_f32 v[58:59], v[58:59], v[94:95] neg_lo:[0,1] neg_hi:[0,1]
	v_pk_fma_f32 v[92:93], v[90:91], v[78:79], v[88:89] op_sel:[0,0,1] op_sel_hi:[1,1,0] neg_lo:[0,0,1] neg_hi:[0,0,1]
	v_pk_fma_f32 v[88:89], v[90:91], v[78:79], v[88:89] op_sel:[0,0,1] op_sel_hi:[1,0,0]
	s_delay_alu instid0(VALU_DEP_1) | instskip(SKIP_4) | instid1(VALU_DEP_1)
	v_mov_b32_e32 v93, v89
	ds_load_2addr_b64 v[88:91], v82 offset0:20 offset1:21
	v_pk_add_f32 v[16:17], v[16:17], v[92:93] neg_lo:[0,1] neg_hi:[0,1]
	s_wait_dscnt 0x0
	v_pk_mul_f32 v[92:93], v[88:89], v[80:81] op_sel:[0,1]
	v_pk_fma_f32 v[94:95], v[88:89], v[78:79], v[92:93] op_sel:[0,0,1] op_sel_hi:[1,1,0] neg_lo:[0,0,1] neg_hi:[0,0,1]
	v_pk_fma_f32 v[88:89], v[88:89], v[78:79], v[92:93] op_sel:[0,0,1] op_sel_hi:[1,0,0]
	v_dual_mul_f32 v92, v91, v81 :: v_dual_mov_b32 v88, v91
	s_delay_alu instid0(VALU_DEP_2) | instskip(NEXT) | instid1(VALU_DEP_2)
	v_dual_mov_b32 v95, v89 :: v_dual_mov_b32 v89, v90
	v_pk_fma_f32 v[92:93], v[90:91], v[8:9], v[92:93] op_sel_hi:[1,1,0] neg_lo:[0,0,1] neg_hi:[0,0,1]
	v_mul_f32_e32 v90, v91, v78
	s_delay_alu instid0(VALU_DEP_3) | instskip(NEXT) | instid1(VALU_DEP_2)
	v_pk_add_f32 v[54:55], v[54:55], v[94:95] neg_lo:[0,1] neg_hi:[0,1]
	v_pk_fma_f32 v[88:89], v[88:89], v[8:9], v[90:91] op_sel_hi:[1,1,0]
	s_delay_alu instid0(VALU_DEP_1) | instskip(SKIP_4) | instid1(VALU_DEP_1)
	v_mov_b32_e32 v93, v89
	ds_load_2addr_b64 v[88:91], v82 offset0:22 offset1:23
	v_pk_add_f32 v[50:51], v[50:51], v[92:93] neg_lo:[0,1] neg_hi:[0,1]
	s_wait_dscnt 0x0
	v_pk_mul_f32 v[92:93], v[88:89], v[80:81] op_sel:[0,1]
	v_pk_fma_f32 v[94:95], v[88:89], v[78:79], v[92:93] op_sel:[0,0,1] op_sel_hi:[1,1,0] neg_lo:[0,0,1] neg_hi:[0,0,1]
	v_pk_fma_f32 v[88:89], v[88:89], v[78:79], v[92:93] op_sel:[0,0,1] op_sel_hi:[1,0,0]
	s_delay_alu instid0(VALU_DEP_1) | instskip(SKIP_1) | instid1(VALU_DEP_1)
	v_mov_b32_e32 v95, v89
	v_pk_mul_f32 v[88:89], v[90:91], v[80:81] op_sel:[0,1]
	v_pk_fma_f32 v[92:93], v[90:91], v[78:79], v[88:89] op_sel:[0,0,1] op_sel_hi:[1,1,0] neg_lo:[0,0,1] neg_hi:[0,0,1]
	v_pk_fma_f32 v[88:89], v[90:91], v[78:79], v[88:89] op_sel:[0,0,1] op_sel_hi:[1,0,0]
	s_delay_alu instid0(VALU_DEP_1)
	v_mov_b32_e32 v93, v89
	ds_load_2addr_b64 v[88:91], v82 offset0:24 offset1:25
	v_pk_add_f32 v[52:53], v[52:53], v[94:95] neg_lo:[0,1] neg_hi:[0,1]
	v_pk_add_f32 v[14:15], v[14:15], v[92:93] neg_lo:[0,1] neg_hi:[0,1]
	s_wait_dscnt 0x0
	v_pk_mul_f32 v[92:93], v[88:89], v[80:81] op_sel:[0,1]
	s_delay_alu instid0(VALU_DEP_1) | instskip(SKIP_1) | instid1(VALU_DEP_1)
	v_pk_fma_f32 v[94:95], v[88:89], v[78:79], v[92:93] op_sel:[0,0,1] op_sel_hi:[1,1,0] neg_lo:[0,0,1] neg_hi:[0,0,1]
	v_pk_fma_f32 v[88:89], v[88:89], v[78:79], v[92:93] op_sel:[0,0,1] op_sel_hi:[1,0,0]
	v_mov_b32_e32 v95, v89
	v_pk_mul_f32 v[88:89], v[90:91], v[80:81] op_sel:[0,1]
	s_delay_alu instid0(VALU_DEP_1) | instskip(SKIP_1) | instid1(VALU_DEP_1)
	v_pk_fma_f32 v[92:93], v[90:91], v[78:79], v[88:89] op_sel:[0,0,1] op_sel_hi:[1,1,0] neg_lo:[0,0,1] neg_hi:[0,0,1]
	v_pk_fma_f32 v[88:89], v[90:91], v[78:79], v[88:89] op_sel:[0,0,1] op_sel_hi:[1,0,0]
	v_mov_b32_e32 v93, v89
	ds_load_2addr_b64 v[88:91], v82 offset0:26 offset1:27
	v_pk_add_f32 v[38:39], v[38:39], v[94:95] neg_lo:[0,1] neg_hi:[0,1]
	v_pk_add_f32 v[32:33], v[32:33], v[92:93] neg_lo:[0,1] neg_hi:[0,1]
	s_wait_dscnt 0x0
	v_dual_mul_f32 v92, v89, v81 :: v_dual_mul_f32 v94, v89, v78
	s_delay_alu instid0(VALU_DEP_1) | instskip(NEXT) | instid1(VALU_DEP_2)
	v_pk_fma_f32 v[92:93], v[88:89], v[8:9], v[92:93] op_sel_hi:[1,1,0] neg_lo:[0,0,1] neg_hi:[0,0,1]
	v_pk_fma_f32 v[88:89], v[88:89], v[8:9], v[94:95] op_sel:[1,0,0] op_sel_hi:[0,1,0]
	s_delay_alu instid0(VALU_DEP_1) | instskip(SKIP_1) | instid1(VALU_DEP_2)
	v_mov_b32_e32 v93, v89
	v_pk_mul_f32 v[88:89], v[90:91], v[80:81] op_sel:[0,1]
	v_pk_add_f32 v[36:37], v[36:37], v[92:93] neg_lo:[0,1] neg_hi:[0,1]
	s_delay_alu instid0(VALU_DEP_2) | instskip(SKIP_1) | instid1(VALU_DEP_1)
	v_pk_fma_f32 v[92:93], v[90:91], v[78:79], v[88:89] op_sel:[0,0,1] op_sel_hi:[1,1,0] neg_lo:[0,0,1] neg_hi:[0,0,1]
	v_pk_fma_f32 v[88:89], v[90:91], v[78:79], v[88:89] op_sel:[0,0,1] op_sel_hi:[1,0,0]
	v_mov_b32_e32 v93, v89
	ds_load_2addr_b64 v[88:91], v82 offset0:28 offset1:29
	v_pk_add_f32 v[6:7], v[6:7], v[92:93] neg_lo:[0,1] neg_hi:[0,1]
	s_wait_dscnt 0x0
	v_pk_mul_f32 v[92:93], v[88:89], v[80:81] op_sel:[0,1]
	s_delay_alu instid0(VALU_DEP_1) | instskip(SKIP_1) | instid1(VALU_DEP_1)
	v_pk_fma_f32 v[94:95], v[88:89], v[78:79], v[92:93] op_sel:[0,0,1] op_sel_hi:[1,1,0] neg_lo:[0,0,1] neg_hi:[0,0,1]
	v_pk_fma_f32 v[88:89], v[88:89], v[78:79], v[92:93] op_sel:[0,0,1] op_sel_hi:[1,0,0]
	v_mov_b32_e32 v95, v89
	v_pk_mul_f32 v[88:89], v[90:91], v[80:81] op_sel:[0,1]
	s_delay_alu instid0(VALU_DEP_2) | instskip(NEXT) | instid1(VALU_DEP_2)
	v_pk_add_f32 v[30:31], v[30:31], v[94:95] neg_lo:[0,1] neg_hi:[0,1]
	v_pk_fma_f32 v[92:93], v[90:91], v[78:79], v[88:89] op_sel:[0,0,1] op_sel_hi:[1,1,0] neg_lo:[0,0,1] neg_hi:[0,0,1]
	v_pk_fma_f32 v[88:89], v[90:91], v[78:79], v[88:89] op_sel:[0,0,1] op_sel_hi:[1,0,0]
	s_delay_alu instid0(VALU_DEP_1) | instskip(SKIP_4) | instid1(VALU_DEP_1)
	v_mov_b32_e32 v93, v89
	ds_load_2addr_b64 v[88:91], v82 offset0:30 offset1:31
	v_pk_add_f32 v[26:27], v[26:27], v[92:93] neg_lo:[0,1] neg_hi:[0,1]
	s_wait_dscnt 0x0
	v_pk_mul_f32 v[92:93], v[88:89], v[80:81] op_sel:[0,1]
	v_pk_fma_f32 v[94:95], v[88:89], v[78:79], v[92:93] op_sel:[0,0,1] op_sel_hi:[1,1,0] neg_lo:[0,0,1] neg_hi:[0,0,1]
	v_pk_fma_f32 v[88:89], v[88:89], v[78:79], v[92:93] op_sel:[0,0,1] op_sel_hi:[1,0,0]
	v_dual_mul_f32 v92, v91, v81 :: v_dual_mov_b32 v88, v91
	s_delay_alu instid0(VALU_DEP_2) | instskip(NEXT) | instid1(VALU_DEP_2)
	v_dual_mov_b32 v95, v89 :: v_dual_mov_b32 v89, v90
	v_pk_fma_f32 v[92:93], v[90:91], v[8:9], v[92:93] op_sel_hi:[1,1,0] neg_lo:[0,0,1] neg_hi:[0,0,1]
	v_mul_f32_e32 v90, v91, v78
	s_delay_alu instid0(VALU_DEP_3) | instskip(NEXT) | instid1(VALU_DEP_2)
	v_pk_add_f32 v[28:29], v[28:29], v[94:95] neg_lo:[0,1] neg_hi:[0,1]
	v_pk_fma_f32 v[88:89], v[88:89], v[8:9], v[90:91] op_sel_hi:[1,1,0]
	s_delay_alu instid0(VALU_DEP_1) | instskip(SKIP_4) | instid1(VALU_DEP_1)
	v_mov_b32_e32 v93, v89
	ds_load_2addr_b64 v[88:91], v82 offset0:32 offset1:33
	v_pk_add_f32 v[10:11], v[10:11], v[92:93] neg_lo:[0,1] neg_hi:[0,1]
	s_wait_dscnt 0x0
	v_pk_mul_f32 v[92:93], v[88:89], v[80:81] op_sel:[0,1]
	v_pk_fma_f32 v[94:95], v[88:89], v[78:79], v[92:93] op_sel:[0,0,1] op_sel_hi:[1,1,0] neg_lo:[0,0,1] neg_hi:[0,0,1]
	v_pk_fma_f32 v[88:89], v[88:89], v[78:79], v[92:93] op_sel:[0,0,1] op_sel_hi:[1,0,0]
	s_delay_alu instid0(VALU_DEP_1) | instskip(SKIP_1) | instid1(VALU_DEP_1)
	v_mov_b32_e32 v95, v89
	v_pk_mul_f32 v[88:89], v[90:91], v[80:81] op_sel:[0,1]
	v_pk_fma_f32 v[92:93], v[90:91], v[78:79], v[88:89] op_sel:[0,0,1] op_sel_hi:[1,1,0] neg_lo:[0,0,1] neg_hi:[0,0,1]
	v_pk_fma_f32 v[88:89], v[90:91], v[78:79], v[88:89] op_sel:[0,0,1] op_sel_hi:[1,0,0]
	s_delay_alu instid0(VALU_DEP_1)
	v_mov_b32_e32 v93, v89
	ds_load_2addr_b64 v[88:91], v82 offset0:34 offset1:35
	v_pk_add_f32 v[24:25], v[24:25], v[94:95] neg_lo:[0,1] neg_hi:[0,1]
	v_pk_add_f32 v[20:21], v[20:21], v[92:93] neg_lo:[0,1] neg_hi:[0,1]
	s_wait_dscnt 0x0
	v_pk_mul_f32 v[92:93], v[88:89], v[80:81] op_sel:[0,1]
	v_pk_mul_f32 v[80:81], v[90:91], v[80:81] op_sel:[0,1]
	s_delay_alu instid0(VALU_DEP_2) | instskip(SKIP_1) | instid1(VALU_DEP_1)
	v_pk_fma_f32 v[94:95], v[88:89], v[78:79], v[92:93] op_sel:[0,0,1] op_sel_hi:[1,1,0] neg_lo:[0,0,1] neg_hi:[0,0,1]
	v_pk_fma_f32 v[88:89], v[88:89], v[78:79], v[92:93] op_sel:[0,0,1] op_sel_hi:[1,0,0]
	v_mov_b32_e32 v95, v89
	s_delay_alu instid0(VALU_DEP_4) | instskip(SKIP_1) | instid1(VALU_DEP_1)
	v_pk_fma_f32 v[88:89], v[90:91], v[78:79], v[80:81] op_sel:[0,0,1] op_sel_hi:[1,1,0] neg_lo:[0,0,1] neg_hi:[0,0,1]
	v_pk_fma_f32 v[78:79], v[90:91], v[78:79], v[80:81] op_sel:[0,0,1] op_sel_hi:[1,0,0]
	v_mov_b32_e32 v89, v79
	s_delay_alu instid0(VALU_DEP_4) | instskip(NEXT) | instid1(VALU_DEP_2)
	v_pk_add_f32 v[18:19], v[18:19], v[94:95] neg_lo:[0,1] neg_hi:[0,1]
	v_pk_add_f32 v[76:77], v[76:77], v[88:89] neg_lo:[0,1] neg_hi:[0,1]
.LBB70_167:
	s_or_b32 exec_lo, exec_lo, s0
	v_lshl_add_u32 v78, v86, 3, v82
	s_barrier_signal -1
	s_barrier_wait -1
	ds_store_b64 v78, v[48:49]
	s_wait_dscnt 0x0
	s_barrier_signal -1
	s_barrier_wait -1
	ds_load_b64 v[80:81], v82 offset:64
	v_mov_b32_e32 v78, 8
	s_cmp_lt_i32 s18, 10
	s_cbranch_scc1 .LBB70_170
; %bb.168:
	v_add3_u32 v79, v83, 0, 0x48
	v_mov_b32_e32 v78, 8
	s_mov_b32 s0, 9
.LBB70_169:                             ; =>This Inner Loop Header: Depth=1
	ds_load_b64 v[88:89], v79
	s_wait_dscnt 0x1
	v_cmp_gt_f32_e32 vcc_lo, 0, v80
	v_cndmask_b32_e64 v90, v80, -v80, vcc_lo
	v_cmp_gt_f32_e32 vcc_lo, 0, v81
	v_cndmask_b32_e64 v92, v81, -v81, vcc_lo
	s_wait_dscnt 0x0
	v_cmp_gt_f32_e32 vcc_lo, 0, v88
	v_cndmask_b32_e64 v91, v88, -v88, vcc_lo
	v_cmp_gt_f32_e32 vcc_lo, 0, v89
	v_cndmask_b32_e64 v93, v89, -v89, vcc_lo
	s_delay_alu instid0(VALU_DEP_1) | instskip(NEXT) | instid1(VALU_DEP_1)
	v_pk_add_f32 v[90:91], v[90:91], v[92:93]
	v_cmp_lt_f32_e32 vcc_lo, v90, v91
	v_dual_add_nc_u32 v79, 8, v79 :: v_dual_cndmask_b32 v81, v81, v89, vcc_lo
	v_cndmask_b32_e32 v80, v80, v88, vcc_lo
	v_cndmask_b32_e64 v78, v78, s0, vcc_lo
	s_add_co_i32 s0, s0, 1
	s_delay_alu instid0(SALU_CYCLE_1)
	s_cmp_lg_u32 s18, s0
	s_cbranch_scc1 .LBB70_169
.LBB70_170:
	s_wait_dscnt 0x0
	v_cmp_eq_f32_e32 vcc_lo, 0, v80
	v_cmp_eq_f32_e64 s0, 0, v81
	s_and_b32 s0, vcc_lo, s0
	s_delay_alu instid0(SALU_CYCLE_1) | instskip(NEXT) | instid1(SALU_CYCLE_1)
	s_and_saveexec_b32 s1, s0
	s_xor_b32 s0, exec_lo, s1
; %bb.171:
	v_cmp_ne_u32_e32 vcc_lo, 0, v84
	v_cndmask_b32_e32 v84, 9, v84, vcc_lo
; %bb.172:
	s_and_not1_saveexec_b32 s0, s0
	s_cbranch_execz .LBB70_178
; %bb.173:
	v_cmp_ngt_f32_e64 s1, |v80|, |v81|
	s_and_saveexec_b32 s12, s1
	s_delay_alu instid0(SALU_CYCLE_1)
	s_xor_b32 s1, exec_lo, s12
	s_cbranch_execz .LBB70_175
; %bb.174:
	v_div_scale_f32 v79, null, v81, v81, v80
	v_div_scale_f32 v89, vcc_lo, v80, v81, v80
	s_delay_alu instid0(VALU_DEP_2) | instskip(SKIP_1) | instid1(TRANS32_DEP_1)
	v_rcp_f32_e32 v87, v79
	v_nop
	v_fma_f32 v88, -v79, v87, 1.0
	s_delay_alu instid0(VALU_DEP_1) | instskip(NEXT) | instid1(VALU_DEP_1)
	v_fmac_f32_e32 v87, v88, v87
	v_mul_f32_e32 v88, v89, v87
	s_delay_alu instid0(VALU_DEP_1) | instskip(NEXT) | instid1(VALU_DEP_1)
	v_fma_f32 v90, -v79, v88, v89
	v_fmac_f32_e32 v88, v90, v87
	s_delay_alu instid0(VALU_DEP_1) | instskip(NEXT) | instid1(VALU_DEP_1)
	v_fma_f32 v79, -v79, v88, v89
	v_div_fmas_f32 v79, v79, v87, v88
	s_delay_alu instid0(VALU_DEP_1) | instskip(NEXT) | instid1(VALU_DEP_1)
	v_div_fixup_f32 v79, v79, v81, v80
	v_fmac_f32_e32 v81, v80, v79
	s_delay_alu instid0(VALU_DEP_1) | instskip(SKIP_1) | instid1(VALU_DEP_2)
	v_div_scale_f32 v80, null, v81, v81, 1.0
	v_div_scale_f32 v89, vcc_lo, 1.0, v81, 1.0
	v_rcp_f32_e32 v87, v80
	v_nop
	s_delay_alu instid0(TRANS32_DEP_1) | instskip(NEXT) | instid1(VALU_DEP_1)
	v_fma_f32 v88, -v80, v87, 1.0
	v_fmac_f32_e32 v87, v88, v87
	s_delay_alu instid0(VALU_DEP_1) | instskip(NEXT) | instid1(VALU_DEP_1)
	v_mul_f32_e32 v88, v89, v87
	v_fma_f32 v90, -v80, v88, v89
	s_delay_alu instid0(VALU_DEP_1) | instskip(NEXT) | instid1(VALU_DEP_1)
	v_fmac_f32_e32 v88, v90, v87
	v_fma_f32 v80, -v80, v88, v89
	s_delay_alu instid0(VALU_DEP_1) | instskip(NEXT) | instid1(VALU_DEP_1)
	v_div_fmas_f32 v80, v80, v87, v88
	v_div_fixup_f32 v81, v80, v81, 1.0
	s_delay_alu instid0(VALU_DEP_1)
	v_mul_f32_e32 v80, v79, v81
	v_xor_b32_e32 v81, 0x80000000, v81
.LBB70_175:
	s_and_not1_saveexec_b32 s1, s1
	s_cbranch_execz .LBB70_177
; %bb.176:
	s_delay_alu instid0(VALU_DEP_1) | instskip(SKIP_1) | instid1(VALU_DEP_2)
	v_div_scale_f32 v79, null, v80, v80, v81
	v_div_scale_f32 v89, vcc_lo, v81, v80, v81
	v_rcp_f32_e32 v87, v79
	v_nop
	s_delay_alu instid0(TRANS32_DEP_1) | instskip(NEXT) | instid1(VALU_DEP_1)
	v_fma_f32 v88, -v79, v87, 1.0
	v_fmac_f32_e32 v87, v88, v87
	s_delay_alu instid0(VALU_DEP_1) | instskip(NEXT) | instid1(VALU_DEP_1)
	v_mul_f32_e32 v88, v89, v87
	v_fma_f32 v90, -v79, v88, v89
	s_delay_alu instid0(VALU_DEP_1) | instskip(NEXT) | instid1(VALU_DEP_1)
	v_fmac_f32_e32 v88, v90, v87
	v_fma_f32 v79, -v79, v88, v89
	s_delay_alu instid0(VALU_DEP_1) | instskip(NEXT) | instid1(VALU_DEP_1)
	v_div_fmas_f32 v79, v79, v87, v88
	v_div_fixup_f32 v79, v79, v80, v81
	s_delay_alu instid0(VALU_DEP_1) | instskip(NEXT) | instid1(VALU_DEP_1)
	v_fmac_f32_e32 v80, v81, v79
	v_div_scale_f32 v81, null, v80, v80, 1.0
	s_delay_alu instid0(VALU_DEP_1) | instskip(SKIP_1) | instid1(TRANS32_DEP_1)
	v_rcp_f32_e32 v87, v81
	v_nop
	v_fma_f32 v88, -v81, v87, 1.0
	s_delay_alu instid0(VALU_DEP_1) | instskip(SKIP_1) | instid1(VALU_DEP_1)
	v_fmac_f32_e32 v87, v88, v87
	v_div_scale_f32 v88, vcc_lo, 1.0, v80, 1.0
	v_mul_f32_e32 v89, v88, v87
	s_delay_alu instid0(VALU_DEP_1) | instskip(NEXT) | instid1(VALU_DEP_1)
	v_fma_f32 v90, -v81, v89, v88
	v_fmac_f32_e32 v89, v90, v87
	s_delay_alu instid0(VALU_DEP_1) | instskip(NEXT) | instid1(VALU_DEP_1)
	v_fma_f32 v81, -v81, v89, v88
	v_div_fmas_f32 v81, v81, v87, v89
	s_delay_alu instid0(VALU_DEP_1) | instskip(NEXT) | instid1(VALU_DEP_1)
	v_div_fixup_f32 v80, v81, v80, 1.0
	v_mul_f32_e64 v81, v79, -v80
.LBB70_177:
	s_or_b32 exec_lo, exec_lo, s1
.LBB70_178:
	s_delay_alu instid0(SALU_CYCLE_1) | instskip(NEXT) | instid1(SALU_CYCLE_1)
	s_or_b32 exec_lo, exec_lo, s0
	s_mov_b32 s0, exec_lo
	v_cmpx_ne_u32_e64 v86, v78
	s_xor_b32 s0, exec_lo, s0
	s_cbranch_execz .LBB70_184
; %bb.179:
	s_mov_b32 s1, exec_lo
	v_cmpx_eq_u32_e32 8, v86
	s_cbranch_execz .LBB70_183
; %bb.180:
	v_cmp_ne_u32_e32 vcc_lo, 8, v78
	s_xor_b32 s12, s16, -1
	s_delay_alu instid0(SALU_CYCLE_1) | instskip(NEXT) | instid1(SALU_CYCLE_1)
	s_and_b32 s13, s12, vcc_lo
	s_and_saveexec_b32 s12, s13
	s_cbranch_execz .LBB70_182
; %bb.181:
	v_ashrrev_i32_e32 v79, 31, v78
	s_delay_alu instid0(VALU_DEP_1)
	v_lshl_add_u64 v[86:87], v[78:79], 2, v[4:5]
	s_clause 0x1
	global_load_b32 v79, v[86:87], off
	global_load_b32 v85, v[4:5], off offset:32
	s_wait_loadcnt 0x1
	global_store_b32 v[4:5], v79, off offset:32
	s_wait_loadcnt 0x0
	global_store_b32 v[86:87], v85, off
.LBB70_182:
	s_wait_xcnt 0x0
	s_or_b32 exec_lo, exec_lo, s12
	v_dual_mov_b32 v86, v78 :: v_dual_mov_b32 v85, v78
.LBB70_183:
	s_or_b32 exec_lo, exec_lo, s1
.LBB70_184:
	s_and_not1_saveexec_b32 s0, s0
	s_cbranch_execz .LBB70_186
; %bb.185:
	v_mov_b32_e32 v86, 8
	ds_store_2addr_b64 v82, v[44:45], v[46:47] offset0:9 offset1:10
	ds_store_2addr_b64 v82, v[12:13], v[66:67] offset0:11 offset1:12
	;; [unrolled: 1-line block ×13, first 2 shown]
	ds_store_b64 v82, v[76:77] offset:280
.LBB70_186:
	s_or_b32 exec_lo, exec_lo, s0
	s_delay_alu instid0(SALU_CYCLE_1)
	s_mov_b32 s0, exec_lo
	s_wait_storecnt_dscnt 0x0
	s_barrier_signal -1
	s_barrier_wait -1
	v_cmpx_lt_i32_e32 8, v86
	s_cbranch_execz .LBB70_188
; %bb.187:
	v_pk_mul_f32 v[88:89], v[80:81], v[48:49] op_sel:[1,1] op_sel_hi:[0,1]
	s_delay_alu instid0(VALU_DEP_1)
	v_pk_fma_f32 v[78:79], v[80:81], v[48:49], v[88:89] op_sel_hi:[1,0,1] neg_lo:[0,0,1] neg_hi:[0,0,1]
	v_pk_fma_f32 v[80:81], v[80:81], v[48:49], v[88:89] op_sel_hi:[1,0,1]
	ds_load_2addr_b64 v[88:91], v82 offset0:9 offset1:10
	v_dual_mov_b32 v48, v78 :: v_dual_mov_b32 v49, v81
	s_wait_dscnt 0x0
	v_pk_mul_f32 v[92:93], v[88:89], v[80:81] op_sel:[0,1]
	s_delay_alu instid0(VALU_DEP_1) | instskip(SKIP_1) | instid1(VALU_DEP_1)
	v_pk_fma_f32 v[94:95], v[88:89], v[78:79], v[92:93] op_sel:[0,0,1] op_sel_hi:[1,1,0] neg_lo:[0,0,1] neg_hi:[0,0,1]
	v_pk_fma_f32 v[88:89], v[88:89], v[78:79], v[92:93] op_sel:[0,0,1] op_sel_hi:[1,0,0]
	v_mov_b32_e32 v95, v89
	v_pk_mul_f32 v[88:89], v[90:91], v[80:81] op_sel:[0,1]
	s_delay_alu instid0(VALU_DEP_1) | instskip(SKIP_1) | instid1(VALU_DEP_1)
	v_pk_fma_f32 v[92:93], v[90:91], v[78:79], v[88:89] op_sel:[0,0,1] op_sel_hi:[1,1,0] neg_lo:[0,0,1] neg_hi:[0,0,1]
	v_pk_fma_f32 v[88:89], v[90:91], v[78:79], v[88:89] op_sel:[0,0,1] op_sel_hi:[1,0,0]
	v_mov_b32_e32 v93, v89
	ds_load_2addr_b64 v[88:91], v82 offset0:11 offset1:12
	v_pk_add_f32 v[44:45], v[44:45], v[94:95] neg_lo:[0,1] neg_hi:[0,1]
	v_pk_add_f32 v[46:47], v[46:47], v[92:93] neg_lo:[0,1] neg_hi:[0,1]
	s_wait_dscnt 0x0
	v_pk_mul_f32 v[92:93], v[88:89], v[80:81] op_sel:[0,1]
	s_delay_alu instid0(VALU_DEP_1) | instskip(SKIP_2) | instid1(VALU_DEP_2)
	v_pk_fma_f32 v[94:95], v[88:89], v[78:79], v[92:93] op_sel:[0,0,1] op_sel_hi:[1,1,0] neg_lo:[0,0,1] neg_hi:[0,0,1]
	v_pk_fma_f32 v[88:89], v[88:89], v[78:79], v[92:93] op_sel:[0,0,1] op_sel_hi:[1,0,0]
	v_dual_mul_f32 v92, v91, v81 :: v_dual_mov_b32 v88, v91
	v_dual_mov_b32 v95, v89 :: v_dual_mov_b32 v89, v90
	s_delay_alu instid0(VALU_DEP_2) | instskip(SKIP_1) | instid1(VALU_DEP_3)
	v_pk_fma_f32 v[92:93], v[90:91], v[48:49], v[92:93] op_sel_hi:[1,1,0] neg_lo:[0,0,1] neg_hi:[0,0,1]
	v_mul_f32_e32 v90, v91, v78
	v_pk_add_f32 v[12:13], v[12:13], v[94:95] neg_lo:[0,1] neg_hi:[0,1]
	s_delay_alu instid0(VALU_DEP_2) | instskip(NEXT) | instid1(VALU_DEP_1)
	v_pk_fma_f32 v[88:89], v[88:89], v[48:49], v[90:91] op_sel_hi:[1,1,0]
	v_mov_b32_e32 v93, v89
	ds_load_2addr_b64 v[88:91], v82 offset0:13 offset1:14
	v_pk_add_f32 v[66:67], v[66:67], v[92:93] neg_lo:[0,1] neg_hi:[0,1]
	s_wait_dscnt 0x0
	v_pk_mul_f32 v[92:93], v[88:89], v[80:81] op_sel:[0,1]
	s_delay_alu instid0(VALU_DEP_1) | instskip(SKIP_1) | instid1(VALU_DEP_1)
	v_pk_fma_f32 v[94:95], v[88:89], v[78:79], v[92:93] op_sel:[0,0,1] op_sel_hi:[1,1,0] neg_lo:[0,0,1] neg_hi:[0,0,1]
	v_pk_fma_f32 v[88:89], v[88:89], v[78:79], v[92:93] op_sel:[0,0,1] op_sel_hi:[1,0,0]
	v_mov_b32_e32 v95, v89
	v_pk_mul_f32 v[88:89], v[90:91], v[80:81] op_sel:[0,1]
	s_delay_alu instid0(VALU_DEP_1) | instskip(SKIP_1) | instid1(VALU_DEP_1)
	v_pk_fma_f32 v[92:93], v[90:91], v[78:79], v[88:89] op_sel:[0,0,1] op_sel_hi:[1,1,0] neg_lo:[0,0,1] neg_hi:[0,0,1]
	v_pk_fma_f32 v[88:89], v[90:91], v[78:79], v[88:89] op_sel:[0,0,1] op_sel_hi:[1,0,0]
	v_mov_b32_e32 v93, v89
	ds_load_2addr_b64 v[88:91], v82 offset0:15 offset1:16
	v_pk_add_f32 v[62:63], v[62:63], v[94:95] neg_lo:[0,1] neg_hi:[0,1]
	v_pk_add_f32 v[64:65], v[64:65], v[92:93] neg_lo:[0,1] neg_hi:[0,1]
	s_wait_dscnt 0x0
	v_pk_mul_f32 v[92:93], v[88:89], v[80:81] op_sel:[0,1]
	s_delay_alu instid0(VALU_DEP_1) | instskip(SKIP_1) | instid1(VALU_DEP_1)
	v_pk_fma_f32 v[94:95], v[88:89], v[78:79], v[92:93] op_sel:[0,0,1] op_sel_hi:[1,1,0] neg_lo:[0,0,1] neg_hi:[0,0,1]
	v_pk_fma_f32 v[88:89], v[88:89], v[78:79], v[92:93] op_sel:[0,0,1] op_sel_hi:[1,0,0]
	v_mov_b32_e32 v95, v89
	v_pk_mul_f32 v[88:89], v[90:91], v[80:81] op_sel:[0,1]
	s_delay_alu instid0(VALU_DEP_1) | instskip(SKIP_1) | instid1(VALU_DEP_1)
	v_pk_fma_f32 v[92:93], v[90:91], v[78:79], v[88:89] op_sel:[0,0,1] op_sel_hi:[1,1,0] neg_lo:[0,0,1] neg_hi:[0,0,1]
	v_pk_fma_f32 v[88:89], v[90:91], v[78:79], v[88:89] op_sel:[0,0,1] op_sel_hi:[1,0,0]
	v_mov_b32_e32 v93, v89
	ds_load_2addr_b64 v[88:91], v82 offset0:17 offset1:18
	v_pk_add_f32 v[22:23], v[22:23], v[94:95] neg_lo:[0,1] neg_hi:[0,1]
	v_pk_add_f32 v[60:61], v[60:61], v[92:93] neg_lo:[0,1] neg_hi:[0,1]
	s_wait_dscnt 0x0
	v_dual_mul_f32 v92, v89, v81 :: v_dual_mul_f32 v94, v89, v78
	s_delay_alu instid0(VALU_DEP_1) | instskip(NEXT) | instid1(VALU_DEP_2)
	v_pk_fma_f32 v[92:93], v[88:89], v[48:49], v[92:93] op_sel_hi:[1,1,0] neg_lo:[0,0,1] neg_hi:[0,0,1]
	v_pk_fma_f32 v[88:89], v[88:89], v[48:49], v[94:95] op_sel:[1,0,0] op_sel_hi:[0,1,0]
	s_delay_alu instid0(VALU_DEP_1) | instskip(SKIP_1) | instid1(VALU_DEP_2)
	v_mov_b32_e32 v93, v89
	v_pk_mul_f32 v[88:89], v[90:91], v[80:81] op_sel:[0,1]
	v_pk_add_f32 v[56:57], v[56:57], v[92:93] neg_lo:[0,1] neg_hi:[0,1]
	s_delay_alu instid0(VALU_DEP_2) | instskip(SKIP_1) | instid1(VALU_DEP_1)
	v_pk_fma_f32 v[92:93], v[90:91], v[78:79], v[88:89] op_sel:[0,0,1] op_sel_hi:[1,1,0] neg_lo:[0,0,1] neg_hi:[0,0,1]
	v_pk_fma_f32 v[88:89], v[90:91], v[78:79], v[88:89] op_sel:[0,0,1] op_sel_hi:[1,0,0]
	v_mov_b32_e32 v93, v89
	ds_load_2addr_b64 v[88:91], v82 offset0:19 offset1:20
	v_pk_add_f32 v[58:59], v[58:59], v[92:93] neg_lo:[0,1] neg_hi:[0,1]
	s_wait_dscnt 0x0
	v_pk_mul_f32 v[92:93], v[88:89], v[80:81] op_sel:[0,1]
	s_delay_alu instid0(VALU_DEP_1) | instskip(SKIP_1) | instid1(VALU_DEP_1)
	v_pk_fma_f32 v[94:95], v[88:89], v[78:79], v[92:93] op_sel:[0,0,1] op_sel_hi:[1,1,0] neg_lo:[0,0,1] neg_hi:[0,0,1]
	v_pk_fma_f32 v[88:89], v[88:89], v[78:79], v[92:93] op_sel:[0,0,1] op_sel_hi:[1,0,0]
	v_mov_b32_e32 v95, v89
	v_pk_mul_f32 v[88:89], v[90:91], v[80:81] op_sel:[0,1]
	s_delay_alu instid0(VALU_DEP_2) | instskip(NEXT) | instid1(VALU_DEP_2)
	v_pk_add_f32 v[16:17], v[16:17], v[94:95] neg_lo:[0,1] neg_hi:[0,1]
	v_pk_fma_f32 v[92:93], v[90:91], v[78:79], v[88:89] op_sel:[0,0,1] op_sel_hi:[1,1,0] neg_lo:[0,0,1] neg_hi:[0,0,1]
	v_pk_fma_f32 v[88:89], v[90:91], v[78:79], v[88:89] op_sel:[0,0,1] op_sel_hi:[1,0,0]
	s_delay_alu instid0(VALU_DEP_1) | instskip(SKIP_4) | instid1(VALU_DEP_1)
	v_mov_b32_e32 v93, v89
	ds_load_2addr_b64 v[88:91], v82 offset0:21 offset1:22
	v_pk_add_f32 v[54:55], v[54:55], v[92:93] neg_lo:[0,1] neg_hi:[0,1]
	s_wait_dscnt 0x0
	v_pk_mul_f32 v[92:93], v[88:89], v[80:81] op_sel:[0,1]
	v_pk_fma_f32 v[94:95], v[88:89], v[78:79], v[92:93] op_sel:[0,0,1] op_sel_hi:[1,1,0] neg_lo:[0,0,1] neg_hi:[0,0,1]
	v_pk_fma_f32 v[88:89], v[88:89], v[78:79], v[92:93] op_sel:[0,0,1] op_sel_hi:[1,0,0]
	v_dual_mul_f32 v92, v91, v81 :: v_dual_mov_b32 v88, v91
	s_delay_alu instid0(VALU_DEP_2) | instskip(NEXT) | instid1(VALU_DEP_2)
	v_dual_mov_b32 v95, v89 :: v_dual_mov_b32 v89, v90
	v_pk_fma_f32 v[92:93], v[90:91], v[48:49], v[92:93] op_sel_hi:[1,1,0] neg_lo:[0,0,1] neg_hi:[0,0,1]
	v_mul_f32_e32 v90, v91, v78
	s_delay_alu instid0(VALU_DEP_3) | instskip(NEXT) | instid1(VALU_DEP_2)
	v_pk_add_f32 v[50:51], v[50:51], v[94:95] neg_lo:[0,1] neg_hi:[0,1]
	v_pk_fma_f32 v[88:89], v[88:89], v[48:49], v[90:91] op_sel_hi:[1,1,0]
	s_delay_alu instid0(VALU_DEP_1) | instskip(SKIP_4) | instid1(VALU_DEP_1)
	v_mov_b32_e32 v93, v89
	ds_load_2addr_b64 v[88:91], v82 offset0:23 offset1:24
	v_pk_add_f32 v[52:53], v[52:53], v[92:93] neg_lo:[0,1] neg_hi:[0,1]
	s_wait_dscnt 0x0
	v_pk_mul_f32 v[92:93], v[88:89], v[80:81] op_sel:[0,1]
	v_pk_fma_f32 v[94:95], v[88:89], v[78:79], v[92:93] op_sel:[0,0,1] op_sel_hi:[1,1,0] neg_lo:[0,0,1] neg_hi:[0,0,1]
	v_pk_fma_f32 v[88:89], v[88:89], v[78:79], v[92:93] op_sel:[0,0,1] op_sel_hi:[1,0,0]
	s_delay_alu instid0(VALU_DEP_1) | instskip(SKIP_1) | instid1(VALU_DEP_1)
	v_mov_b32_e32 v95, v89
	v_pk_mul_f32 v[88:89], v[90:91], v[80:81] op_sel:[0,1]
	v_pk_fma_f32 v[92:93], v[90:91], v[78:79], v[88:89] op_sel:[0,0,1] op_sel_hi:[1,1,0] neg_lo:[0,0,1] neg_hi:[0,0,1]
	v_pk_fma_f32 v[88:89], v[90:91], v[78:79], v[88:89] op_sel:[0,0,1] op_sel_hi:[1,0,0]
	s_delay_alu instid0(VALU_DEP_1)
	v_mov_b32_e32 v93, v89
	ds_load_2addr_b64 v[88:91], v82 offset0:25 offset1:26
	v_pk_add_f32 v[14:15], v[14:15], v[94:95] neg_lo:[0,1] neg_hi:[0,1]
	v_pk_add_f32 v[38:39], v[38:39], v[92:93] neg_lo:[0,1] neg_hi:[0,1]
	s_wait_dscnt 0x0
	v_pk_mul_f32 v[92:93], v[88:89], v[80:81] op_sel:[0,1]
	s_delay_alu instid0(VALU_DEP_1) | instskip(SKIP_1) | instid1(VALU_DEP_1)
	v_pk_fma_f32 v[94:95], v[88:89], v[78:79], v[92:93] op_sel:[0,0,1] op_sel_hi:[1,1,0] neg_lo:[0,0,1] neg_hi:[0,0,1]
	v_pk_fma_f32 v[88:89], v[88:89], v[78:79], v[92:93] op_sel:[0,0,1] op_sel_hi:[1,0,0]
	v_mov_b32_e32 v95, v89
	v_pk_mul_f32 v[88:89], v[90:91], v[80:81] op_sel:[0,1]
	s_delay_alu instid0(VALU_DEP_1) | instskip(SKIP_1) | instid1(VALU_DEP_1)
	v_pk_fma_f32 v[92:93], v[90:91], v[78:79], v[88:89] op_sel:[0,0,1] op_sel_hi:[1,1,0] neg_lo:[0,0,1] neg_hi:[0,0,1]
	v_pk_fma_f32 v[88:89], v[90:91], v[78:79], v[88:89] op_sel:[0,0,1] op_sel_hi:[1,0,0]
	v_mov_b32_e32 v93, v89
	ds_load_2addr_b64 v[88:91], v82 offset0:27 offset1:28
	v_pk_add_f32 v[32:33], v[32:33], v[94:95] neg_lo:[0,1] neg_hi:[0,1]
	v_pk_add_f32 v[36:37], v[36:37], v[92:93] neg_lo:[0,1] neg_hi:[0,1]
	s_wait_dscnt 0x0
	v_dual_mul_f32 v92, v89, v81 :: v_dual_mul_f32 v94, v89, v78
	s_delay_alu instid0(VALU_DEP_1) | instskip(NEXT) | instid1(VALU_DEP_2)
	v_pk_fma_f32 v[92:93], v[88:89], v[48:49], v[92:93] op_sel_hi:[1,1,0] neg_lo:[0,0,1] neg_hi:[0,0,1]
	v_pk_fma_f32 v[88:89], v[88:89], v[48:49], v[94:95] op_sel:[1,0,0] op_sel_hi:[0,1,0]
	s_delay_alu instid0(VALU_DEP_1) | instskip(SKIP_1) | instid1(VALU_DEP_2)
	v_mov_b32_e32 v93, v89
	v_pk_mul_f32 v[88:89], v[90:91], v[80:81] op_sel:[0,1]
	v_pk_add_f32 v[6:7], v[6:7], v[92:93] neg_lo:[0,1] neg_hi:[0,1]
	s_delay_alu instid0(VALU_DEP_2) | instskip(SKIP_1) | instid1(VALU_DEP_1)
	v_pk_fma_f32 v[92:93], v[90:91], v[78:79], v[88:89] op_sel:[0,0,1] op_sel_hi:[1,1,0] neg_lo:[0,0,1] neg_hi:[0,0,1]
	v_pk_fma_f32 v[88:89], v[90:91], v[78:79], v[88:89] op_sel:[0,0,1] op_sel_hi:[1,0,0]
	v_mov_b32_e32 v93, v89
	ds_load_2addr_b64 v[88:91], v82 offset0:29 offset1:30
	v_pk_add_f32 v[30:31], v[30:31], v[92:93] neg_lo:[0,1] neg_hi:[0,1]
	s_wait_dscnt 0x0
	v_pk_mul_f32 v[92:93], v[88:89], v[80:81] op_sel:[0,1]
	s_delay_alu instid0(VALU_DEP_1) | instskip(SKIP_1) | instid1(VALU_DEP_1)
	v_pk_fma_f32 v[94:95], v[88:89], v[78:79], v[92:93] op_sel:[0,0,1] op_sel_hi:[1,1,0] neg_lo:[0,0,1] neg_hi:[0,0,1]
	v_pk_fma_f32 v[88:89], v[88:89], v[78:79], v[92:93] op_sel:[0,0,1] op_sel_hi:[1,0,0]
	v_mov_b32_e32 v95, v89
	v_pk_mul_f32 v[88:89], v[90:91], v[80:81] op_sel:[0,1]
	s_delay_alu instid0(VALU_DEP_2) | instskip(NEXT) | instid1(VALU_DEP_2)
	v_pk_add_f32 v[26:27], v[26:27], v[94:95] neg_lo:[0,1] neg_hi:[0,1]
	v_pk_fma_f32 v[92:93], v[90:91], v[78:79], v[88:89] op_sel:[0,0,1] op_sel_hi:[1,1,0] neg_lo:[0,0,1] neg_hi:[0,0,1]
	v_pk_fma_f32 v[88:89], v[90:91], v[78:79], v[88:89] op_sel:[0,0,1] op_sel_hi:[1,0,0]
	s_delay_alu instid0(VALU_DEP_1) | instskip(SKIP_4) | instid1(VALU_DEP_1)
	v_mov_b32_e32 v93, v89
	ds_load_2addr_b64 v[88:91], v82 offset0:31 offset1:32
	v_pk_add_f32 v[28:29], v[28:29], v[92:93] neg_lo:[0,1] neg_hi:[0,1]
	s_wait_dscnt 0x0
	v_pk_mul_f32 v[92:93], v[88:89], v[80:81] op_sel:[0,1]
	v_pk_fma_f32 v[94:95], v[88:89], v[78:79], v[92:93] op_sel:[0,0,1] op_sel_hi:[1,1,0] neg_lo:[0,0,1] neg_hi:[0,0,1]
	v_pk_fma_f32 v[88:89], v[88:89], v[78:79], v[92:93] op_sel:[0,0,1] op_sel_hi:[1,0,0]
	v_dual_mul_f32 v92, v91, v81 :: v_dual_mov_b32 v88, v91
	s_delay_alu instid0(VALU_DEP_2) | instskip(NEXT) | instid1(VALU_DEP_2)
	v_dual_mov_b32 v95, v89 :: v_dual_mov_b32 v89, v90
	v_pk_fma_f32 v[92:93], v[90:91], v[48:49], v[92:93] op_sel_hi:[1,1,0] neg_lo:[0,0,1] neg_hi:[0,0,1]
	v_mul_f32_e32 v90, v91, v78
	s_delay_alu instid0(VALU_DEP_3) | instskip(NEXT) | instid1(VALU_DEP_2)
	v_pk_add_f32 v[10:11], v[10:11], v[94:95] neg_lo:[0,1] neg_hi:[0,1]
	v_pk_fma_f32 v[88:89], v[88:89], v[48:49], v[90:91] op_sel_hi:[1,1,0]
	s_delay_alu instid0(VALU_DEP_1) | instskip(SKIP_4) | instid1(VALU_DEP_1)
	v_mov_b32_e32 v93, v89
	ds_load_2addr_b64 v[88:91], v82 offset0:33 offset1:34
	v_pk_add_f32 v[24:25], v[24:25], v[92:93] neg_lo:[0,1] neg_hi:[0,1]
	s_wait_dscnt 0x0
	v_pk_mul_f32 v[92:93], v[88:89], v[80:81] op_sel:[0,1]
	v_pk_fma_f32 v[94:95], v[88:89], v[78:79], v[92:93] op_sel:[0,0,1] op_sel_hi:[1,1,0] neg_lo:[0,0,1] neg_hi:[0,0,1]
	v_pk_fma_f32 v[88:89], v[88:89], v[78:79], v[92:93] op_sel:[0,0,1] op_sel_hi:[1,0,0]
	s_delay_alu instid0(VALU_DEP_1) | instskip(SKIP_1) | instid1(VALU_DEP_1)
	v_mov_b32_e32 v95, v89
	v_pk_mul_f32 v[88:89], v[90:91], v[80:81] op_sel:[0,1]
	v_pk_fma_f32 v[92:93], v[90:91], v[78:79], v[88:89] op_sel:[0,0,1] op_sel_hi:[1,1,0] neg_lo:[0,0,1] neg_hi:[0,0,1]
	v_pk_fma_f32 v[88:89], v[90:91], v[78:79], v[88:89] op_sel:[0,0,1] op_sel_hi:[1,0,0]
	s_delay_alu instid0(VALU_DEP_1)
	v_mov_b32_e32 v93, v89
	ds_load_b64 v[88:89], v82 offset:280
	v_pk_add_f32 v[20:21], v[20:21], v[94:95] neg_lo:[0,1] neg_hi:[0,1]
	v_pk_add_f32 v[18:19], v[18:19], v[92:93] neg_lo:[0,1] neg_hi:[0,1]
	s_wait_dscnt 0x0
	v_pk_mul_f32 v[80:81], v[88:89], v[80:81] op_sel:[0,1]
	s_delay_alu instid0(VALU_DEP_1) | instskip(SKIP_1) | instid1(VALU_DEP_1)
	v_pk_fma_f32 v[90:91], v[88:89], v[78:79], v[80:81] op_sel:[0,0,1] op_sel_hi:[1,1,0] neg_lo:[0,0,1] neg_hi:[0,0,1]
	v_pk_fma_f32 v[78:79], v[88:89], v[78:79], v[80:81] op_sel:[0,0,1] op_sel_hi:[1,0,0]
	v_mov_b32_e32 v91, v79
	s_delay_alu instid0(VALU_DEP_1)
	v_pk_add_f32 v[76:77], v[76:77], v[90:91] neg_lo:[0,1] neg_hi:[0,1]
.LBB70_188:
	s_or_b32 exec_lo, exec_lo, s0
	v_lshl_add_u32 v78, v86, 3, v82
	s_barrier_signal -1
	s_barrier_wait -1
	ds_store_b64 v78, v[44:45]
	s_wait_dscnt 0x0
	s_barrier_signal -1
	s_barrier_wait -1
	ds_load_b64 v[80:81], v82 offset:72
	v_mov_b32_e32 v78, 9
	s_cmp_lt_i32 s18, 11
	s_cbranch_scc1 .LBB70_191
; %bb.189:
	v_add3_u32 v79, v83, 0, 0x50
	v_mov_b32_e32 v78, 9
	s_mov_b32 s0, 10
.LBB70_190:                             ; =>This Inner Loop Header: Depth=1
	ds_load_b64 v[88:89], v79
	s_wait_dscnt 0x1
	v_cmp_gt_f32_e32 vcc_lo, 0, v80
	v_cndmask_b32_e64 v90, v80, -v80, vcc_lo
	v_cmp_gt_f32_e32 vcc_lo, 0, v81
	v_cndmask_b32_e64 v92, v81, -v81, vcc_lo
	s_wait_dscnt 0x0
	v_cmp_gt_f32_e32 vcc_lo, 0, v88
	v_cndmask_b32_e64 v91, v88, -v88, vcc_lo
	v_cmp_gt_f32_e32 vcc_lo, 0, v89
	v_cndmask_b32_e64 v93, v89, -v89, vcc_lo
	s_delay_alu instid0(VALU_DEP_1) | instskip(NEXT) | instid1(VALU_DEP_1)
	v_pk_add_f32 v[90:91], v[90:91], v[92:93]
	v_cmp_lt_f32_e32 vcc_lo, v90, v91
	v_dual_add_nc_u32 v79, 8, v79 :: v_dual_cndmask_b32 v81, v81, v89, vcc_lo
	v_cndmask_b32_e32 v80, v80, v88, vcc_lo
	v_cndmask_b32_e64 v78, v78, s0, vcc_lo
	s_add_co_i32 s0, s0, 1
	s_delay_alu instid0(SALU_CYCLE_1)
	s_cmp_lg_u32 s18, s0
	s_cbranch_scc1 .LBB70_190
.LBB70_191:
	s_wait_dscnt 0x0
	v_cmp_eq_f32_e32 vcc_lo, 0, v80
	v_cmp_eq_f32_e64 s0, 0, v81
	s_and_b32 s0, vcc_lo, s0
	s_delay_alu instid0(SALU_CYCLE_1) | instskip(NEXT) | instid1(SALU_CYCLE_1)
	s_and_saveexec_b32 s1, s0
	s_xor_b32 s0, exec_lo, s1
; %bb.192:
	v_cmp_ne_u32_e32 vcc_lo, 0, v84
	v_cndmask_b32_e32 v84, 10, v84, vcc_lo
; %bb.193:
	s_and_not1_saveexec_b32 s0, s0
	s_cbranch_execz .LBB70_199
; %bb.194:
	v_cmp_ngt_f32_e64 s1, |v80|, |v81|
	s_and_saveexec_b32 s12, s1
	s_delay_alu instid0(SALU_CYCLE_1)
	s_xor_b32 s1, exec_lo, s12
	s_cbranch_execz .LBB70_196
; %bb.195:
	v_div_scale_f32 v79, null, v81, v81, v80
	v_div_scale_f32 v89, vcc_lo, v80, v81, v80
	s_delay_alu instid0(VALU_DEP_2) | instskip(SKIP_1) | instid1(TRANS32_DEP_1)
	v_rcp_f32_e32 v87, v79
	v_nop
	v_fma_f32 v88, -v79, v87, 1.0
	s_delay_alu instid0(VALU_DEP_1) | instskip(NEXT) | instid1(VALU_DEP_1)
	v_fmac_f32_e32 v87, v88, v87
	v_mul_f32_e32 v88, v89, v87
	s_delay_alu instid0(VALU_DEP_1) | instskip(NEXT) | instid1(VALU_DEP_1)
	v_fma_f32 v90, -v79, v88, v89
	v_fmac_f32_e32 v88, v90, v87
	s_delay_alu instid0(VALU_DEP_1) | instskip(NEXT) | instid1(VALU_DEP_1)
	v_fma_f32 v79, -v79, v88, v89
	v_div_fmas_f32 v79, v79, v87, v88
	s_delay_alu instid0(VALU_DEP_1) | instskip(NEXT) | instid1(VALU_DEP_1)
	v_div_fixup_f32 v79, v79, v81, v80
	v_fmac_f32_e32 v81, v80, v79
	s_delay_alu instid0(VALU_DEP_1) | instskip(SKIP_1) | instid1(VALU_DEP_2)
	v_div_scale_f32 v80, null, v81, v81, 1.0
	v_div_scale_f32 v89, vcc_lo, 1.0, v81, 1.0
	v_rcp_f32_e32 v87, v80
	v_nop
	s_delay_alu instid0(TRANS32_DEP_1) | instskip(NEXT) | instid1(VALU_DEP_1)
	v_fma_f32 v88, -v80, v87, 1.0
	v_fmac_f32_e32 v87, v88, v87
	s_delay_alu instid0(VALU_DEP_1) | instskip(NEXT) | instid1(VALU_DEP_1)
	v_mul_f32_e32 v88, v89, v87
	v_fma_f32 v90, -v80, v88, v89
	s_delay_alu instid0(VALU_DEP_1) | instskip(NEXT) | instid1(VALU_DEP_1)
	v_fmac_f32_e32 v88, v90, v87
	v_fma_f32 v80, -v80, v88, v89
	s_delay_alu instid0(VALU_DEP_1) | instskip(NEXT) | instid1(VALU_DEP_1)
	v_div_fmas_f32 v80, v80, v87, v88
	v_div_fixup_f32 v81, v80, v81, 1.0
	s_delay_alu instid0(VALU_DEP_1)
	v_mul_f32_e32 v80, v79, v81
	v_xor_b32_e32 v81, 0x80000000, v81
.LBB70_196:
	s_and_not1_saveexec_b32 s1, s1
	s_cbranch_execz .LBB70_198
; %bb.197:
	s_delay_alu instid0(VALU_DEP_1) | instskip(SKIP_1) | instid1(VALU_DEP_2)
	v_div_scale_f32 v79, null, v80, v80, v81
	v_div_scale_f32 v89, vcc_lo, v81, v80, v81
	v_rcp_f32_e32 v87, v79
	v_nop
	s_delay_alu instid0(TRANS32_DEP_1) | instskip(NEXT) | instid1(VALU_DEP_1)
	v_fma_f32 v88, -v79, v87, 1.0
	v_fmac_f32_e32 v87, v88, v87
	s_delay_alu instid0(VALU_DEP_1) | instskip(NEXT) | instid1(VALU_DEP_1)
	v_mul_f32_e32 v88, v89, v87
	v_fma_f32 v90, -v79, v88, v89
	s_delay_alu instid0(VALU_DEP_1) | instskip(NEXT) | instid1(VALU_DEP_1)
	v_fmac_f32_e32 v88, v90, v87
	v_fma_f32 v79, -v79, v88, v89
	s_delay_alu instid0(VALU_DEP_1) | instskip(NEXT) | instid1(VALU_DEP_1)
	v_div_fmas_f32 v79, v79, v87, v88
	v_div_fixup_f32 v79, v79, v80, v81
	s_delay_alu instid0(VALU_DEP_1) | instskip(NEXT) | instid1(VALU_DEP_1)
	v_fmac_f32_e32 v80, v81, v79
	v_div_scale_f32 v81, null, v80, v80, 1.0
	s_delay_alu instid0(VALU_DEP_1) | instskip(SKIP_1) | instid1(TRANS32_DEP_1)
	v_rcp_f32_e32 v87, v81
	v_nop
	v_fma_f32 v88, -v81, v87, 1.0
	s_delay_alu instid0(VALU_DEP_1) | instskip(SKIP_1) | instid1(VALU_DEP_1)
	v_fmac_f32_e32 v87, v88, v87
	v_div_scale_f32 v88, vcc_lo, 1.0, v80, 1.0
	v_mul_f32_e32 v89, v88, v87
	s_delay_alu instid0(VALU_DEP_1) | instskip(NEXT) | instid1(VALU_DEP_1)
	v_fma_f32 v90, -v81, v89, v88
	v_fmac_f32_e32 v89, v90, v87
	s_delay_alu instid0(VALU_DEP_1) | instskip(NEXT) | instid1(VALU_DEP_1)
	v_fma_f32 v81, -v81, v89, v88
	v_div_fmas_f32 v81, v81, v87, v89
	s_delay_alu instid0(VALU_DEP_1) | instskip(NEXT) | instid1(VALU_DEP_1)
	v_div_fixup_f32 v80, v81, v80, 1.0
	v_mul_f32_e64 v81, v79, -v80
.LBB70_198:
	s_or_b32 exec_lo, exec_lo, s1
.LBB70_199:
	s_delay_alu instid0(SALU_CYCLE_1) | instskip(NEXT) | instid1(SALU_CYCLE_1)
	s_or_b32 exec_lo, exec_lo, s0
	s_mov_b32 s0, exec_lo
	v_cmpx_ne_u32_e64 v86, v78
	s_xor_b32 s0, exec_lo, s0
	s_cbranch_execz .LBB70_205
; %bb.200:
	s_mov_b32 s1, exec_lo
	v_cmpx_eq_u32_e32 9, v86
	s_cbranch_execz .LBB70_204
; %bb.201:
	v_cmp_ne_u32_e32 vcc_lo, 9, v78
	s_xor_b32 s12, s16, -1
	s_delay_alu instid0(SALU_CYCLE_1) | instskip(NEXT) | instid1(SALU_CYCLE_1)
	s_and_b32 s13, s12, vcc_lo
	s_and_saveexec_b32 s12, s13
	s_cbranch_execz .LBB70_203
; %bb.202:
	v_ashrrev_i32_e32 v79, 31, v78
	s_delay_alu instid0(VALU_DEP_1)
	v_lshl_add_u64 v[86:87], v[78:79], 2, v[4:5]
	s_clause 0x1
	global_load_b32 v79, v[86:87], off
	global_load_b32 v85, v[4:5], off offset:36
	s_wait_loadcnt 0x1
	global_store_b32 v[4:5], v79, off offset:36
	s_wait_loadcnt 0x0
	global_store_b32 v[86:87], v85, off
.LBB70_203:
	s_wait_xcnt 0x0
	s_or_b32 exec_lo, exec_lo, s12
	v_dual_mov_b32 v86, v78 :: v_dual_mov_b32 v85, v78
.LBB70_204:
	s_or_b32 exec_lo, exec_lo, s1
.LBB70_205:
	s_and_not1_saveexec_b32 s0, s0
	s_cbranch_execz .LBB70_207
; %bb.206:
	v_dual_mov_b32 v78, v46 :: v_dual_mov_b32 v79, v47
	v_dual_mov_b32 v86, v12 :: v_dual_mov_b32 v87, v13
	;; [unrolled: 1-line block ×4, first 2 shown]
	ds_store_2addr_b64 v82, v[78:79], v[86:87] offset0:10 offset1:11
	ds_store_2addr_b64 v82, v[88:89], v[90:91] offset0:12 offset1:13
	v_dual_mov_b32 v78, v64 :: v_dual_mov_b32 v79, v65
	v_dual_mov_b32 v86, v22 :: v_dual_mov_b32 v87, v23
	;; [unrolled: 1-line block ×12, first 2 shown]
	ds_store_2addr_b64 v82, v[78:79], v[86:87] offset0:14 offset1:15
	ds_store_2addr_b64 v82, v[88:89], v[90:91] offset0:16 offset1:17
	;; [unrolled: 1-line block ×6, first 2 shown]
	v_dual_mov_b32 v78, v36 :: v_dual_mov_b32 v79, v37
	v_dual_mov_b32 v88, v6 :: v_dual_mov_b32 v89, v7
	;; [unrolled: 1-line block ×9, first 2 shown]
	v_mov_b32_e32 v103, v19
	ds_store_2addr_b64 v82, v[78:79], v[88:89] offset0:26 offset1:27
	ds_store_2addr_b64 v82, v[90:91], v[92:93] offset0:28 offset1:29
	;; [unrolled: 1-line block ×5, first 2 shown]
.LBB70_207:
	s_or_b32 exec_lo, exec_lo, s0
	s_delay_alu instid0(SALU_CYCLE_1)
	s_mov_b32 s0, exec_lo
	s_wait_storecnt_dscnt 0x0
	s_barrier_signal -1
	s_barrier_wait -1
	v_cmpx_lt_i32_e32 9, v86
	s_cbranch_execz .LBB70_209
; %bb.208:
	v_pk_mul_f32 v[88:89], v[80:81], v[44:45] op_sel:[1,1] op_sel_hi:[0,1]
	s_delay_alu instid0(VALU_DEP_1)
	v_pk_fma_f32 v[78:79], v[80:81], v[44:45], v[88:89] op_sel_hi:[1,0,1] neg_lo:[0,0,1] neg_hi:[0,0,1]
	v_pk_fma_f32 v[80:81], v[80:81], v[44:45], v[88:89] op_sel_hi:[1,0,1]
	ds_load_2addr_b64 v[88:91], v82 offset0:10 offset1:11
	v_dual_mov_b32 v44, v78 :: v_dual_mov_b32 v45, v81
	s_wait_dscnt 0x0
	v_pk_mul_f32 v[92:93], v[88:89], v[80:81] op_sel:[0,1]
	s_delay_alu instid0(VALU_DEP_1) | instskip(SKIP_1) | instid1(VALU_DEP_1)
	v_pk_fma_f32 v[94:95], v[88:89], v[78:79], v[92:93] op_sel:[0,0,1] op_sel_hi:[1,1,0] neg_lo:[0,0,1] neg_hi:[0,0,1]
	v_pk_fma_f32 v[88:89], v[88:89], v[78:79], v[92:93] op_sel:[0,0,1] op_sel_hi:[1,0,0]
	v_mov_b32_e32 v95, v89
	v_pk_mul_f32 v[88:89], v[90:91], v[80:81] op_sel:[0,1]
	s_delay_alu instid0(VALU_DEP_1) | instskip(SKIP_1) | instid1(VALU_DEP_1)
	v_pk_fma_f32 v[92:93], v[90:91], v[78:79], v[88:89] op_sel:[0,0,1] op_sel_hi:[1,1,0] neg_lo:[0,0,1] neg_hi:[0,0,1]
	v_pk_fma_f32 v[88:89], v[90:91], v[78:79], v[88:89] op_sel:[0,0,1] op_sel_hi:[1,0,0]
	v_mov_b32_e32 v93, v89
	ds_load_2addr_b64 v[88:91], v82 offset0:12 offset1:13
	v_pk_add_f32 v[46:47], v[46:47], v[94:95] neg_lo:[0,1] neg_hi:[0,1]
	v_pk_add_f32 v[12:13], v[12:13], v[92:93] neg_lo:[0,1] neg_hi:[0,1]
	s_wait_dscnt 0x0
	v_pk_mul_f32 v[92:93], v[88:89], v[80:81] op_sel:[0,1]
	s_delay_alu instid0(VALU_DEP_1) | instskip(SKIP_2) | instid1(VALU_DEP_2)
	v_pk_fma_f32 v[94:95], v[88:89], v[78:79], v[92:93] op_sel:[0,0,1] op_sel_hi:[1,1,0] neg_lo:[0,0,1] neg_hi:[0,0,1]
	v_pk_fma_f32 v[88:89], v[88:89], v[78:79], v[92:93] op_sel:[0,0,1] op_sel_hi:[1,0,0]
	v_dual_mul_f32 v92, v91, v81 :: v_dual_mov_b32 v88, v91
	v_dual_mov_b32 v95, v89 :: v_dual_mov_b32 v89, v90
	s_delay_alu instid0(VALU_DEP_2) | instskip(SKIP_1) | instid1(VALU_DEP_3)
	v_pk_fma_f32 v[92:93], v[90:91], v[44:45], v[92:93] op_sel_hi:[1,1,0] neg_lo:[0,0,1] neg_hi:[0,0,1]
	v_mul_f32_e32 v90, v91, v78
	v_pk_add_f32 v[66:67], v[66:67], v[94:95] neg_lo:[0,1] neg_hi:[0,1]
	s_delay_alu instid0(VALU_DEP_2) | instskip(NEXT) | instid1(VALU_DEP_1)
	v_pk_fma_f32 v[88:89], v[88:89], v[44:45], v[90:91] op_sel_hi:[1,1,0]
	v_mov_b32_e32 v93, v89
	ds_load_2addr_b64 v[88:91], v82 offset0:14 offset1:15
	v_pk_add_f32 v[62:63], v[62:63], v[92:93] neg_lo:[0,1] neg_hi:[0,1]
	s_wait_dscnt 0x0
	v_pk_mul_f32 v[92:93], v[88:89], v[80:81] op_sel:[0,1]
	s_delay_alu instid0(VALU_DEP_1) | instskip(SKIP_1) | instid1(VALU_DEP_1)
	v_pk_fma_f32 v[94:95], v[88:89], v[78:79], v[92:93] op_sel:[0,0,1] op_sel_hi:[1,1,0] neg_lo:[0,0,1] neg_hi:[0,0,1]
	v_pk_fma_f32 v[88:89], v[88:89], v[78:79], v[92:93] op_sel:[0,0,1] op_sel_hi:[1,0,0]
	v_mov_b32_e32 v95, v89
	v_pk_mul_f32 v[88:89], v[90:91], v[80:81] op_sel:[0,1]
	s_delay_alu instid0(VALU_DEP_1) | instskip(SKIP_1) | instid1(VALU_DEP_1)
	v_pk_fma_f32 v[92:93], v[90:91], v[78:79], v[88:89] op_sel:[0,0,1] op_sel_hi:[1,1,0] neg_lo:[0,0,1] neg_hi:[0,0,1]
	v_pk_fma_f32 v[88:89], v[90:91], v[78:79], v[88:89] op_sel:[0,0,1] op_sel_hi:[1,0,0]
	v_mov_b32_e32 v93, v89
	ds_load_2addr_b64 v[88:91], v82 offset0:16 offset1:17
	v_pk_add_f32 v[64:65], v[64:65], v[94:95] neg_lo:[0,1] neg_hi:[0,1]
	v_pk_add_f32 v[22:23], v[22:23], v[92:93] neg_lo:[0,1] neg_hi:[0,1]
	s_wait_dscnt 0x0
	v_pk_mul_f32 v[92:93], v[88:89], v[80:81] op_sel:[0,1]
	s_delay_alu instid0(VALU_DEP_1) | instskip(SKIP_1) | instid1(VALU_DEP_1)
	v_pk_fma_f32 v[94:95], v[88:89], v[78:79], v[92:93] op_sel:[0,0,1] op_sel_hi:[1,1,0] neg_lo:[0,0,1] neg_hi:[0,0,1]
	v_pk_fma_f32 v[88:89], v[88:89], v[78:79], v[92:93] op_sel:[0,0,1] op_sel_hi:[1,0,0]
	v_mov_b32_e32 v95, v89
	v_pk_mul_f32 v[88:89], v[90:91], v[80:81] op_sel:[0,1]
	s_delay_alu instid0(VALU_DEP_1) | instskip(SKIP_1) | instid1(VALU_DEP_1)
	v_pk_fma_f32 v[92:93], v[90:91], v[78:79], v[88:89] op_sel:[0,0,1] op_sel_hi:[1,1,0] neg_lo:[0,0,1] neg_hi:[0,0,1]
	v_pk_fma_f32 v[88:89], v[90:91], v[78:79], v[88:89] op_sel:[0,0,1] op_sel_hi:[1,0,0]
	v_mov_b32_e32 v93, v89
	ds_load_2addr_b64 v[88:91], v82 offset0:18 offset1:19
	v_pk_add_f32 v[60:61], v[60:61], v[94:95] neg_lo:[0,1] neg_hi:[0,1]
	v_pk_add_f32 v[56:57], v[56:57], v[92:93] neg_lo:[0,1] neg_hi:[0,1]
	s_wait_dscnt 0x0
	v_dual_mul_f32 v92, v89, v81 :: v_dual_mul_f32 v94, v89, v78
	s_delay_alu instid0(VALU_DEP_1) | instskip(NEXT) | instid1(VALU_DEP_2)
	v_pk_fma_f32 v[92:93], v[88:89], v[44:45], v[92:93] op_sel_hi:[1,1,0] neg_lo:[0,0,1] neg_hi:[0,0,1]
	v_pk_fma_f32 v[88:89], v[88:89], v[44:45], v[94:95] op_sel:[1,0,0] op_sel_hi:[0,1,0]
	s_delay_alu instid0(VALU_DEP_1) | instskip(SKIP_1) | instid1(VALU_DEP_2)
	v_mov_b32_e32 v93, v89
	v_pk_mul_f32 v[88:89], v[90:91], v[80:81] op_sel:[0,1]
	v_pk_add_f32 v[58:59], v[58:59], v[92:93] neg_lo:[0,1] neg_hi:[0,1]
	s_delay_alu instid0(VALU_DEP_2) | instskip(SKIP_1) | instid1(VALU_DEP_1)
	v_pk_fma_f32 v[92:93], v[90:91], v[78:79], v[88:89] op_sel:[0,0,1] op_sel_hi:[1,1,0] neg_lo:[0,0,1] neg_hi:[0,0,1]
	v_pk_fma_f32 v[88:89], v[90:91], v[78:79], v[88:89] op_sel:[0,0,1] op_sel_hi:[1,0,0]
	v_mov_b32_e32 v93, v89
	ds_load_2addr_b64 v[88:91], v82 offset0:20 offset1:21
	v_pk_add_f32 v[16:17], v[16:17], v[92:93] neg_lo:[0,1] neg_hi:[0,1]
	s_wait_dscnt 0x0
	v_pk_mul_f32 v[92:93], v[88:89], v[80:81] op_sel:[0,1]
	s_delay_alu instid0(VALU_DEP_1) | instskip(SKIP_1) | instid1(VALU_DEP_1)
	v_pk_fma_f32 v[94:95], v[88:89], v[78:79], v[92:93] op_sel:[0,0,1] op_sel_hi:[1,1,0] neg_lo:[0,0,1] neg_hi:[0,0,1]
	v_pk_fma_f32 v[88:89], v[88:89], v[78:79], v[92:93] op_sel:[0,0,1] op_sel_hi:[1,0,0]
	v_mov_b32_e32 v95, v89
	v_pk_mul_f32 v[88:89], v[90:91], v[80:81] op_sel:[0,1]
	s_delay_alu instid0(VALU_DEP_2) | instskip(NEXT) | instid1(VALU_DEP_2)
	v_pk_add_f32 v[54:55], v[54:55], v[94:95] neg_lo:[0,1] neg_hi:[0,1]
	v_pk_fma_f32 v[92:93], v[90:91], v[78:79], v[88:89] op_sel:[0,0,1] op_sel_hi:[1,1,0] neg_lo:[0,0,1] neg_hi:[0,0,1]
	v_pk_fma_f32 v[88:89], v[90:91], v[78:79], v[88:89] op_sel:[0,0,1] op_sel_hi:[1,0,0]
	s_delay_alu instid0(VALU_DEP_1) | instskip(SKIP_4) | instid1(VALU_DEP_1)
	v_mov_b32_e32 v93, v89
	ds_load_2addr_b64 v[88:91], v82 offset0:22 offset1:23
	v_pk_add_f32 v[50:51], v[50:51], v[92:93] neg_lo:[0,1] neg_hi:[0,1]
	s_wait_dscnt 0x0
	v_pk_mul_f32 v[92:93], v[88:89], v[80:81] op_sel:[0,1]
	v_pk_fma_f32 v[94:95], v[88:89], v[78:79], v[92:93] op_sel:[0,0,1] op_sel_hi:[1,1,0] neg_lo:[0,0,1] neg_hi:[0,0,1]
	v_pk_fma_f32 v[88:89], v[88:89], v[78:79], v[92:93] op_sel:[0,0,1] op_sel_hi:[1,0,0]
	v_dual_mul_f32 v92, v91, v81 :: v_dual_mov_b32 v88, v91
	s_delay_alu instid0(VALU_DEP_2) | instskip(NEXT) | instid1(VALU_DEP_2)
	v_dual_mov_b32 v95, v89 :: v_dual_mov_b32 v89, v90
	v_pk_fma_f32 v[92:93], v[90:91], v[44:45], v[92:93] op_sel_hi:[1,1,0] neg_lo:[0,0,1] neg_hi:[0,0,1]
	v_mul_f32_e32 v90, v91, v78
	s_delay_alu instid0(VALU_DEP_3) | instskip(NEXT) | instid1(VALU_DEP_2)
	v_pk_add_f32 v[52:53], v[52:53], v[94:95] neg_lo:[0,1] neg_hi:[0,1]
	v_pk_fma_f32 v[88:89], v[88:89], v[44:45], v[90:91] op_sel_hi:[1,1,0]
	s_delay_alu instid0(VALU_DEP_1) | instskip(SKIP_4) | instid1(VALU_DEP_1)
	v_mov_b32_e32 v93, v89
	ds_load_2addr_b64 v[88:91], v82 offset0:24 offset1:25
	v_pk_add_f32 v[14:15], v[14:15], v[92:93] neg_lo:[0,1] neg_hi:[0,1]
	s_wait_dscnt 0x0
	v_pk_mul_f32 v[92:93], v[88:89], v[80:81] op_sel:[0,1]
	v_pk_fma_f32 v[94:95], v[88:89], v[78:79], v[92:93] op_sel:[0,0,1] op_sel_hi:[1,1,0] neg_lo:[0,0,1] neg_hi:[0,0,1]
	v_pk_fma_f32 v[88:89], v[88:89], v[78:79], v[92:93] op_sel:[0,0,1] op_sel_hi:[1,0,0]
	s_delay_alu instid0(VALU_DEP_1) | instskip(SKIP_1) | instid1(VALU_DEP_1)
	v_mov_b32_e32 v95, v89
	v_pk_mul_f32 v[88:89], v[90:91], v[80:81] op_sel:[0,1]
	v_pk_fma_f32 v[92:93], v[90:91], v[78:79], v[88:89] op_sel:[0,0,1] op_sel_hi:[1,1,0] neg_lo:[0,0,1] neg_hi:[0,0,1]
	v_pk_fma_f32 v[88:89], v[90:91], v[78:79], v[88:89] op_sel:[0,0,1] op_sel_hi:[1,0,0]
	s_delay_alu instid0(VALU_DEP_1)
	v_mov_b32_e32 v93, v89
	ds_load_2addr_b64 v[88:91], v82 offset0:26 offset1:27
	v_pk_add_f32 v[38:39], v[38:39], v[94:95] neg_lo:[0,1] neg_hi:[0,1]
	v_pk_add_f32 v[32:33], v[32:33], v[92:93] neg_lo:[0,1] neg_hi:[0,1]
	s_wait_dscnt 0x0
	v_pk_mul_f32 v[92:93], v[88:89], v[80:81] op_sel:[0,1]
	s_delay_alu instid0(VALU_DEP_1) | instskip(SKIP_1) | instid1(VALU_DEP_1)
	v_pk_fma_f32 v[94:95], v[88:89], v[78:79], v[92:93] op_sel:[0,0,1] op_sel_hi:[1,1,0] neg_lo:[0,0,1] neg_hi:[0,0,1]
	v_pk_fma_f32 v[88:89], v[88:89], v[78:79], v[92:93] op_sel:[0,0,1] op_sel_hi:[1,0,0]
	v_mov_b32_e32 v95, v89
	v_pk_mul_f32 v[88:89], v[90:91], v[80:81] op_sel:[0,1]
	s_delay_alu instid0(VALU_DEP_1) | instskip(SKIP_1) | instid1(VALU_DEP_1)
	v_pk_fma_f32 v[92:93], v[90:91], v[78:79], v[88:89] op_sel:[0,0,1] op_sel_hi:[1,1,0] neg_lo:[0,0,1] neg_hi:[0,0,1]
	v_pk_fma_f32 v[88:89], v[90:91], v[78:79], v[88:89] op_sel:[0,0,1] op_sel_hi:[1,0,0]
	v_mov_b32_e32 v93, v89
	ds_load_2addr_b64 v[88:91], v82 offset0:28 offset1:29
	v_pk_add_f32 v[36:37], v[36:37], v[94:95] neg_lo:[0,1] neg_hi:[0,1]
	v_pk_add_f32 v[6:7], v[6:7], v[92:93] neg_lo:[0,1] neg_hi:[0,1]
	s_wait_dscnt 0x0
	v_dual_mul_f32 v92, v89, v81 :: v_dual_mul_f32 v94, v89, v78
	s_delay_alu instid0(VALU_DEP_1) | instskip(NEXT) | instid1(VALU_DEP_2)
	v_pk_fma_f32 v[92:93], v[88:89], v[44:45], v[92:93] op_sel_hi:[1,1,0] neg_lo:[0,0,1] neg_hi:[0,0,1]
	v_pk_fma_f32 v[88:89], v[88:89], v[44:45], v[94:95] op_sel:[1,0,0] op_sel_hi:[0,1,0]
	s_delay_alu instid0(VALU_DEP_1) | instskip(SKIP_1) | instid1(VALU_DEP_2)
	v_mov_b32_e32 v93, v89
	v_pk_mul_f32 v[88:89], v[90:91], v[80:81] op_sel:[0,1]
	v_pk_add_f32 v[30:31], v[30:31], v[92:93] neg_lo:[0,1] neg_hi:[0,1]
	s_delay_alu instid0(VALU_DEP_2) | instskip(SKIP_1) | instid1(VALU_DEP_1)
	v_pk_fma_f32 v[92:93], v[90:91], v[78:79], v[88:89] op_sel:[0,0,1] op_sel_hi:[1,1,0] neg_lo:[0,0,1] neg_hi:[0,0,1]
	v_pk_fma_f32 v[88:89], v[90:91], v[78:79], v[88:89] op_sel:[0,0,1] op_sel_hi:[1,0,0]
	v_mov_b32_e32 v93, v89
	ds_load_2addr_b64 v[88:91], v82 offset0:30 offset1:31
	v_pk_add_f32 v[26:27], v[26:27], v[92:93] neg_lo:[0,1] neg_hi:[0,1]
	s_wait_dscnt 0x0
	v_pk_mul_f32 v[92:93], v[88:89], v[80:81] op_sel:[0,1]
	s_delay_alu instid0(VALU_DEP_1) | instskip(SKIP_1) | instid1(VALU_DEP_1)
	v_pk_fma_f32 v[94:95], v[88:89], v[78:79], v[92:93] op_sel:[0,0,1] op_sel_hi:[1,1,0] neg_lo:[0,0,1] neg_hi:[0,0,1]
	v_pk_fma_f32 v[88:89], v[88:89], v[78:79], v[92:93] op_sel:[0,0,1] op_sel_hi:[1,0,0]
	v_mov_b32_e32 v95, v89
	v_pk_mul_f32 v[88:89], v[90:91], v[80:81] op_sel:[0,1]
	s_delay_alu instid0(VALU_DEP_2) | instskip(NEXT) | instid1(VALU_DEP_2)
	v_pk_add_f32 v[28:29], v[28:29], v[94:95] neg_lo:[0,1] neg_hi:[0,1]
	v_pk_fma_f32 v[92:93], v[90:91], v[78:79], v[88:89] op_sel:[0,0,1] op_sel_hi:[1,1,0] neg_lo:[0,0,1] neg_hi:[0,0,1]
	v_pk_fma_f32 v[88:89], v[90:91], v[78:79], v[88:89] op_sel:[0,0,1] op_sel_hi:[1,0,0]
	s_delay_alu instid0(VALU_DEP_1) | instskip(SKIP_4) | instid1(VALU_DEP_1)
	v_mov_b32_e32 v93, v89
	ds_load_2addr_b64 v[88:91], v82 offset0:32 offset1:33
	v_pk_add_f32 v[10:11], v[10:11], v[92:93] neg_lo:[0,1] neg_hi:[0,1]
	s_wait_dscnt 0x0
	v_pk_mul_f32 v[92:93], v[88:89], v[80:81] op_sel:[0,1]
	v_pk_fma_f32 v[94:95], v[88:89], v[78:79], v[92:93] op_sel:[0,0,1] op_sel_hi:[1,1,0] neg_lo:[0,0,1] neg_hi:[0,0,1]
	v_pk_fma_f32 v[88:89], v[88:89], v[78:79], v[92:93] op_sel:[0,0,1] op_sel_hi:[1,0,0]
	v_dual_mul_f32 v92, v91, v81 :: v_dual_mov_b32 v88, v91
	s_delay_alu instid0(VALU_DEP_2) | instskip(NEXT) | instid1(VALU_DEP_2)
	v_dual_mov_b32 v95, v89 :: v_dual_mov_b32 v89, v90
	v_pk_fma_f32 v[92:93], v[90:91], v[44:45], v[92:93] op_sel_hi:[1,1,0] neg_lo:[0,0,1] neg_hi:[0,0,1]
	v_mul_f32_e32 v90, v91, v78
	s_delay_alu instid0(VALU_DEP_3) | instskip(NEXT) | instid1(VALU_DEP_2)
	v_pk_add_f32 v[24:25], v[24:25], v[94:95] neg_lo:[0,1] neg_hi:[0,1]
	v_pk_fma_f32 v[88:89], v[88:89], v[44:45], v[90:91] op_sel_hi:[1,1,0]
	s_delay_alu instid0(VALU_DEP_1)
	v_mov_b32_e32 v93, v89
	ds_load_2addr_b64 v[88:91], v82 offset0:34 offset1:35
	v_pk_add_f32 v[20:21], v[20:21], v[92:93] neg_lo:[0,1] neg_hi:[0,1]
	s_wait_dscnt 0x0
	v_pk_mul_f32 v[92:93], v[88:89], v[80:81] op_sel:[0,1]
	v_pk_mul_f32 v[80:81], v[90:91], v[80:81] op_sel:[0,1]
	s_delay_alu instid0(VALU_DEP_2) | instskip(SKIP_1) | instid1(VALU_DEP_1)
	v_pk_fma_f32 v[94:95], v[88:89], v[78:79], v[92:93] op_sel:[0,0,1] op_sel_hi:[1,1,0] neg_lo:[0,0,1] neg_hi:[0,0,1]
	v_pk_fma_f32 v[88:89], v[88:89], v[78:79], v[92:93] op_sel:[0,0,1] op_sel_hi:[1,0,0]
	v_mov_b32_e32 v95, v89
	s_delay_alu instid0(VALU_DEP_4) | instskip(SKIP_1) | instid1(VALU_DEP_1)
	v_pk_fma_f32 v[88:89], v[90:91], v[78:79], v[80:81] op_sel:[0,0,1] op_sel_hi:[1,1,0] neg_lo:[0,0,1] neg_hi:[0,0,1]
	v_pk_fma_f32 v[78:79], v[90:91], v[78:79], v[80:81] op_sel:[0,0,1] op_sel_hi:[1,0,0]
	v_mov_b32_e32 v89, v79
	s_delay_alu instid0(VALU_DEP_4) | instskip(NEXT) | instid1(VALU_DEP_2)
	v_pk_add_f32 v[18:19], v[18:19], v[94:95] neg_lo:[0,1] neg_hi:[0,1]
	v_pk_add_f32 v[76:77], v[76:77], v[88:89] neg_lo:[0,1] neg_hi:[0,1]
.LBB70_209:
	s_or_b32 exec_lo, exec_lo, s0
	v_lshl_add_u32 v78, v86, 3, v82
	s_barrier_signal -1
	s_barrier_wait -1
	ds_store_b64 v78, v[46:47]
	s_wait_dscnt 0x0
	s_barrier_signal -1
	s_barrier_wait -1
	ds_load_b64 v[80:81], v82 offset:80
	v_mov_b32_e32 v78, 10
	s_cmp_lt_i32 s18, 12
	s_cbranch_scc1 .LBB70_212
; %bb.210:
	v_add3_u32 v79, v83, 0, 0x58
	v_mov_b32_e32 v78, 10
	s_mov_b32 s0, 11
.LBB70_211:                             ; =>This Inner Loop Header: Depth=1
	ds_load_b64 v[88:89], v79
	s_wait_dscnt 0x1
	v_cmp_gt_f32_e32 vcc_lo, 0, v80
	v_cndmask_b32_e64 v90, v80, -v80, vcc_lo
	v_cmp_gt_f32_e32 vcc_lo, 0, v81
	v_cndmask_b32_e64 v92, v81, -v81, vcc_lo
	s_wait_dscnt 0x0
	v_cmp_gt_f32_e32 vcc_lo, 0, v88
	v_cndmask_b32_e64 v91, v88, -v88, vcc_lo
	v_cmp_gt_f32_e32 vcc_lo, 0, v89
	v_cndmask_b32_e64 v93, v89, -v89, vcc_lo
	s_delay_alu instid0(VALU_DEP_1) | instskip(NEXT) | instid1(VALU_DEP_1)
	v_pk_add_f32 v[90:91], v[90:91], v[92:93]
	v_cmp_lt_f32_e32 vcc_lo, v90, v91
	v_dual_add_nc_u32 v79, 8, v79 :: v_dual_cndmask_b32 v81, v81, v89, vcc_lo
	v_cndmask_b32_e32 v80, v80, v88, vcc_lo
	v_cndmask_b32_e64 v78, v78, s0, vcc_lo
	s_add_co_i32 s0, s0, 1
	s_delay_alu instid0(SALU_CYCLE_1)
	s_cmp_lg_u32 s18, s0
	s_cbranch_scc1 .LBB70_211
.LBB70_212:
	s_wait_dscnt 0x0
	v_cmp_eq_f32_e32 vcc_lo, 0, v80
	v_cmp_eq_f32_e64 s0, 0, v81
	s_and_b32 s0, vcc_lo, s0
	s_delay_alu instid0(SALU_CYCLE_1) | instskip(NEXT) | instid1(SALU_CYCLE_1)
	s_and_saveexec_b32 s1, s0
	s_xor_b32 s0, exec_lo, s1
; %bb.213:
	v_cmp_ne_u32_e32 vcc_lo, 0, v84
	v_cndmask_b32_e32 v84, 11, v84, vcc_lo
; %bb.214:
	s_and_not1_saveexec_b32 s0, s0
	s_cbranch_execz .LBB70_220
; %bb.215:
	v_cmp_ngt_f32_e64 s1, |v80|, |v81|
	s_and_saveexec_b32 s12, s1
	s_delay_alu instid0(SALU_CYCLE_1)
	s_xor_b32 s1, exec_lo, s12
	s_cbranch_execz .LBB70_217
; %bb.216:
	v_div_scale_f32 v79, null, v81, v81, v80
	v_div_scale_f32 v89, vcc_lo, v80, v81, v80
	s_delay_alu instid0(VALU_DEP_2) | instskip(SKIP_1) | instid1(TRANS32_DEP_1)
	v_rcp_f32_e32 v87, v79
	v_nop
	v_fma_f32 v88, -v79, v87, 1.0
	s_delay_alu instid0(VALU_DEP_1) | instskip(NEXT) | instid1(VALU_DEP_1)
	v_fmac_f32_e32 v87, v88, v87
	v_mul_f32_e32 v88, v89, v87
	s_delay_alu instid0(VALU_DEP_1) | instskip(NEXT) | instid1(VALU_DEP_1)
	v_fma_f32 v90, -v79, v88, v89
	v_fmac_f32_e32 v88, v90, v87
	s_delay_alu instid0(VALU_DEP_1) | instskip(NEXT) | instid1(VALU_DEP_1)
	v_fma_f32 v79, -v79, v88, v89
	v_div_fmas_f32 v79, v79, v87, v88
	s_delay_alu instid0(VALU_DEP_1) | instskip(NEXT) | instid1(VALU_DEP_1)
	v_div_fixup_f32 v79, v79, v81, v80
	v_fmac_f32_e32 v81, v80, v79
	s_delay_alu instid0(VALU_DEP_1) | instskip(SKIP_1) | instid1(VALU_DEP_2)
	v_div_scale_f32 v80, null, v81, v81, 1.0
	v_div_scale_f32 v89, vcc_lo, 1.0, v81, 1.0
	v_rcp_f32_e32 v87, v80
	v_nop
	s_delay_alu instid0(TRANS32_DEP_1) | instskip(NEXT) | instid1(VALU_DEP_1)
	v_fma_f32 v88, -v80, v87, 1.0
	v_fmac_f32_e32 v87, v88, v87
	s_delay_alu instid0(VALU_DEP_1) | instskip(NEXT) | instid1(VALU_DEP_1)
	v_mul_f32_e32 v88, v89, v87
	v_fma_f32 v90, -v80, v88, v89
	s_delay_alu instid0(VALU_DEP_1) | instskip(NEXT) | instid1(VALU_DEP_1)
	v_fmac_f32_e32 v88, v90, v87
	v_fma_f32 v80, -v80, v88, v89
	s_delay_alu instid0(VALU_DEP_1) | instskip(NEXT) | instid1(VALU_DEP_1)
	v_div_fmas_f32 v80, v80, v87, v88
	v_div_fixup_f32 v81, v80, v81, 1.0
	s_delay_alu instid0(VALU_DEP_1)
	v_mul_f32_e32 v80, v79, v81
	v_xor_b32_e32 v81, 0x80000000, v81
.LBB70_217:
	s_and_not1_saveexec_b32 s1, s1
	s_cbranch_execz .LBB70_219
; %bb.218:
	s_delay_alu instid0(VALU_DEP_1) | instskip(SKIP_1) | instid1(VALU_DEP_2)
	v_div_scale_f32 v79, null, v80, v80, v81
	v_div_scale_f32 v89, vcc_lo, v81, v80, v81
	v_rcp_f32_e32 v87, v79
	v_nop
	s_delay_alu instid0(TRANS32_DEP_1) | instskip(NEXT) | instid1(VALU_DEP_1)
	v_fma_f32 v88, -v79, v87, 1.0
	v_fmac_f32_e32 v87, v88, v87
	s_delay_alu instid0(VALU_DEP_1) | instskip(NEXT) | instid1(VALU_DEP_1)
	v_mul_f32_e32 v88, v89, v87
	v_fma_f32 v90, -v79, v88, v89
	s_delay_alu instid0(VALU_DEP_1) | instskip(NEXT) | instid1(VALU_DEP_1)
	v_fmac_f32_e32 v88, v90, v87
	v_fma_f32 v79, -v79, v88, v89
	s_delay_alu instid0(VALU_DEP_1) | instskip(NEXT) | instid1(VALU_DEP_1)
	v_div_fmas_f32 v79, v79, v87, v88
	v_div_fixup_f32 v79, v79, v80, v81
	s_delay_alu instid0(VALU_DEP_1) | instskip(NEXT) | instid1(VALU_DEP_1)
	v_fmac_f32_e32 v80, v81, v79
	v_div_scale_f32 v81, null, v80, v80, 1.0
	s_delay_alu instid0(VALU_DEP_1) | instskip(SKIP_1) | instid1(TRANS32_DEP_1)
	v_rcp_f32_e32 v87, v81
	v_nop
	v_fma_f32 v88, -v81, v87, 1.0
	s_delay_alu instid0(VALU_DEP_1) | instskip(SKIP_1) | instid1(VALU_DEP_1)
	v_fmac_f32_e32 v87, v88, v87
	v_div_scale_f32 v88, vcc_lo, 1.0, v80, 1.0
	v_mul_f32_e32 v89, v88, v87
	s_delay_alu instid0(VALU_DEP_1) | instskip(NEXT) | instid1(VALU_DEP_1)
	v_fma_f32 v90, -v81, v89, v88
	v_fmac_f32_e32 v89, v90, v87
	s_delay_alu instid0(VALU_DEP_1) | instskip(NEXT) | instid1(VALU_DEP_1)
	v_fma_f32 v81, -v81, v89, v88
	v_div_fmas_f32 v81, v81, v87, v89
	s_delay_alu instid0(VALU_DEP_1) | instskip(NEXT) | instid1(VALU_DEP_1)
	v_div_fixup_f32 v80, v81, v80, 1.0
	v_mul_f32_e64 v81, v79, -v80
.LBB70_219:
	s_or_b32 exec_lo, exec_lo, s1
.LBB70_220:
	s_delay_alu instid0(SALU_CYCLE_1) | instskip(NEXT) | instid1(SALU_CYCLE_1)
	s_or_b32 exec_lo, exec_lo, s0
	s_mov_b32 s0, exec_lo
	v_cmpx_ne_u32_e64 v86, v78
	s_xor_b32 s0, exec_lo, s0
	s_cbranch_execz .LBB70_226
; %bb.221:
	s_mov_b32 s1, exec_lo
	v_cmpx_eq_u32_e32 10, v86
	s_cbranch_execz .LBB70_225
; %bb.222:
	v_cmp_ne_u32_e32 vcc_lo, 10, v78
	s_xor_b32 s12, s16, -1
	s_delay_alu instid0(SALU_CYCLE_1) | instskip(NEXT) | instid1(SALU_CYCLE_1)
	s_and_b32 s13, s12, vcc_lo
	s_and_saveexec_b32 s12, s13
	s_cbranch_execz .LBB70_224
; %bb.223:
	v_ashrrev_i32_e32 v79, 31, v78
	s_delay_alu instid0(VALU_DEP_1)
	v_lshl_add_u64 v[86:87], v[78:79], 2, v[4:5]
	s_clause 0x1
	global_load_b32 v79, v[86:87], off
	global_load_b32 v85, v[4:5], off offset:40
	s_wait_loadcnt 0x1
	global_store_b32 v[4:5], v79, off offset:40
	s_wait_loadcnt 0x0
	global_store_b32 v[86:87], v85, off
.LBB70_224:
	s_wait_xcnt 0x0
	s_or_b32 exec_lo, exec_lo, s12
	v_dual_mov_b32 v86, v78 :: v_dual_mov_b32 v85, v78
.LBB70_225:
	s_or_b32 exec_lo, exec_lo, s1
.LBB70_226:
	s_and_not1_saveexec_b32 s0, s0
	s_cbranch_execz .LBB70_228
; %bb.227:
	v_mov_b32_e32 v86, 10
	ds_store_2addr_b64 v82, v[12:13], v[66:67] offset0:11 offset1:12
	ds_store_2addr_b64 v82, v[62:63], v[64:65] offset0:13 offset1:14
	ds_store_2addr_b64 v82, v[22:23], v[60:61] offset0:15 offset1:16
	ds_store_2addr_b64 v82, v[56:57], v[58:59] offset0:17 offset1:18
	ds_store_2addr_b64 v82, v[16:17], v[54:55] offset0:19 offset1:20
	ds_store_2addr_b64 v82, v[50:51], v[52:53] offset0:21 offset1:22
	ds_store_2addr_b64 v82, v[14:15], v[38:39] offset0:23 offset1:24
	ds_store_2addr_b64 v82, v[32:33], v[36:37] offset0:25 offset1:26
	ds_store_2addr_b64 v82, v[6:7], v[30:31] offset0:27 offset1:28
	ds_store_2addr_b64 v82, v[26:27], v[28:29] offset0:29 offset1:30
	ds_store_2addr_b64 v82, v[10:11], v[24:25] offset0:31 offset1:32
	ds_store_2addr_b64 v82, v[20:21], v[18:19] offset0:33 offset1:34
	ds_store_b64 v82, v[76:77] offset:280
.LBB70_228:
	s_or_b32 exec_lo, exec_lo, s0
	s_delay_alu instid0(SALU_CYCLE_1)
	s_mov_b32 s0, exec_lo
	s_wait_storecnt_dscnt 0x0
	s_barrier_signal -1
	s_barrier_wait -1
	v_cmpx_lt_i32_e32 10, v86
	s_cbranch_execz .LBB70_230
; %bb.229:
	v_pk_mul_f32 v[88:89], v[80:81], v[46:47] op_sel:[1,1] op_sel_hi:[0,1]
	s_delay_alu instid0(VALU_DEP_1)
	v_pk_fma_f32 v[78:79], v[80:81], v[46:47], v[88:89] op_sel_hi:[1,0,1] neg_lo:[0,0,1] neg_hi:[0,0,1]
	v_pk_fma_f32 v[80:81], v[80:81], v[46:47], v[88:89] op_sel_hi:[1,0,1]
	ds_load_2addr_b64 v[88:91], v82 offset0:11 offset1:12
	v_dual_mov_b32 v46, v78 :: v_dual_mov_b32 v47, v81
	s_wait_dscnt 0x0
	v_pk_mul_f32 v[92:93], v[88:89], v[80:81] op_sel:[0,1]
	s_delay_alu instid0(VALU_DEP_1) | instskip(SKIP_1) | instid1(VALU_DEP_1)
	v_pk_fma_f32 v[94:95], v[88:89], v[78:79], v[92:93] op_sel:[0,0,1] op_sel_hi:[1,1,0] neg_lo:[0,0,1] neg_hi:[0,0,1]
	v_pk_fma_f32 v[88:89], v[88:89], v[78:79], v[92:93] op_sel:[0,0,1] op_sel_hi:[1,0,0]
	v_mov_b32_e32 v95, v89
	v_pk_mul_f32 v[88:89], v[90:91], v[80:81] op_sel:[0,1]
	s_delay_alu instid0(VALU_DEP_1) | instskip(SKIP_1) | instid1(VALU_DEP_1)
	v_pk_fma_f32 v[92:93], v[90:91], v[78:79], v[88:89] op_sel:[0,0,1] op_sel_hi:[1,1,0] neg_lo:[0,0,1] neg_hi:[0,0,1]
	v_pk_fma_f32 v[88:89], v[90:91], v[78:79], v[88:89] op_sel:[0,0,1] op_sel_hi:[1,0,0]
	v_mov_b32_e32 v93, v89
	ds_load_2addr_b64 v[88:91], v82 offset0:13 offset1:14
	v_pk_add_f32 v[12:13], v[12:13], v[94:95] neg_lo:[0,1] neg_hi:[0,1]
	v_pk_add_f32 v[66:67], v[66:67], v[92:93] neg_lo:[0,1] neg_hi:[0,1]
	s_wait_dscnt 0x0
	v_pk_mul_f32 v[92:93], v[88:89], v[80:81] op_sel:[0,1]
	s_delay_alu instid0(VALU_DEP_1) | instskip(SKIP_2) | instid1(VALU_DEP_2)
	v_pk_fma_f32 v[94:95], v[88:89], v[78:79], v[92:93] op_sel:[0,0,1] op_sel_hi:[1,1,0] neg_lo:[0,0,1] neg_hi:[0,0,1]
	v_pk_fma_f32 v[88:89], v[88:89], v[78:79], v[92:93] op_sel:[0,0,1] op_sel_hi:[1,0,0]
	v_dual_mul_f32 v92, v91, v81 :: v_dual_mov_b32 v88, v91
	v_dual_mov_b32 v95, v89 :: v_dual_mov_b32 v89, v90
	s_delay_alu instid0(VALU_DEP_2) | instskip(SKIP_1) | instid1(VALU_DEP_3)
	v_pk_fma_f32 v[92:93], v[90:91], v[46:47], v[92:93] op_sel_hi:[1,1,0] neg_lo:[0,0,1] neg_hi:[0,0,1]
	v_mul_f32_e32 v90, v91, v78
	v_pk_add_f32 v[62:63], v[62:63], v[94:95] neg_lo:[0,1] neg_hi:[0,1]
	s_delay_alu instid0(VALU_DEP_2) | instskip(NEXT) | instid1(VALU_DEP_1)
	v_pk_fma_f32 v[88:89], v[88:89], v[46:47], v[90:91] op_sel_hi:[1,1,0]
	v_mov_b32_e32 v93, v89
	ds_load_2addr_b64 v[88:91], v82 offset0:15 offset1:16
	v_pk_add_f32 v[64:65], v[64:65], v[92:93] neg_lo:[0,1] neg_hi:[0,1]
	s_wait_dscnt 0x0
	v_pk_mul_f32 v[92:93], v[88:89], v[80:81] op_sel:[0,1]
	s_delay_alu instid0(VALU_DEP_1) | instskip(SKIP_1) | instid1(VALU_DEP_1)
	v_pk_fma_f32 v[94:95], v[88:89], v[78:79], v[92:93] op_sel:[0,0,1] op_sel_hi:[1,1,0] neg_lo:[0,0,1] neg_hi:[0,0,1]
	v_pk_fma_f32 v[88:89], v[88:89], v[78:79], v[92:93] op_sel:[0,0,1] op_sel_hi:[1,0,0]
	v_mov_b32_e32 v95, v89
	v_pk_mul_f32 v[88:89], v[90:91], v[80:81] op_sel:[0,1]
	s_delay_alu instid0(VALU_DEP_1) | instskip(SKIP_1) | instid1(VALU_DEP_1)
	v_pk_fma_f32 v[92:93], v[90:91], v[78:79], v[88:89] op_sel:[0,0,1] op_sel_hi:[1,1,0] neg_lo:[0,0,1] neg_hi:[0,0,1]
	v_pk_fma_f32 v[88:89], v[90:91], v[78:79], v[88:89] op_sel:[0,0,1] op_sel_hi:[1,0,0]
	v_mov_b32_e32 v93, v89
	ds_load_2addr_b64 v[88:91], v82 offset0:17 offset1:18
	v_pk_add_f32 v[22:23], v[22:23], v[94:95] neg_lo:[0,1] neg_hi:[0,1]
	v_pk_add_f32 v[60:61], v[60:61], v[92:93] neg_lo:[0,1] neg_hi:[0,1]
	s_wait_dscnt 0x0
	v_pk_mul_f32 v[92:93], v[88:89], v[80:81] op_sel:[0,1]
	s_delay_alu instid0(VALU_DEP_1) | instskip(SKIP_1) | instid1(VALU_DEP_1)
	v_pk_fma_f32 v[94:95], v[88:89], v[78:79], v[92:93] op_sel:[0,0,1] op_sel_hi:[1,1,0] neg_lo:[0,0,1] neg_hi:[0,0,1]
	v_pk_fma_f32 v[88:89], v[88:89], v[78:79], v[92:93] op_sel:[0,0,1] op_sel_hi:[1,0,0]
	v_mov_b32_e32 v95, v89
	v_pk_mul_f32 v[88:89], v[90:91], v[80:81] op_sel:[0,1]
	s_delay_alu instid0(VALU_DEP_1) | instskip(SKIP_1) | instid1(VALU_DEP_1)
	v_pk_fma_f32 v[92:93], v[90:91], v[78:79], v[88:89] op_sel:[0,0,1] op_sel_hi:[1,1,0] neg_lo:[0,0,1] neg_hi:[0,0,1]
	v_pk_fma_f32 v[88:89], v[90:91], v[78:79], v[88:89] op_sel:[0,0,1] op_sel_hi:[1,0,0]
	v_mov_b32_e32 v93, v89
	ds_load_2addr_b64 v[88:91], v82 offset0:19 offset1:20
	v_pk_add_f32 v[56:57], v[56:57], v[94:95] neg_lo:[0,1] neg_hi:[0,1]
	v_pk_add_f32 v[58:59], v[58:59], v[92:93] neg_lo:[0,1] neg_hi:[0,1]
	s_wait_dscnt 0x0
	v_dual_mul_f32 v92, v89, v81 :: v_dual_mul_f32 v94, v89, v78
	s_delay_alu instid0(VALU_DEP_1) | instskip(NEXT) | instid1(VALU_DEP_2)
	v_pk_fma_f32 v[92:93], v[88:89], v[46:47], v[92:93] op_sel_hi:[1,1,0] neg_lo:[0,0,1] neg_hi:[0,0,1]
	v_pk_fma_f32 v[88:89], v[88:89], v[46:47], v[94:95] op_sel:[1,0,0] op_sel_hi:[0,1,0]
	s_delay_alu instid0(VALU_DEP_1) | instskip(SKIP_1) | instid1(VALU_DEP_2)
	v_mov_b32_e32 v93, v89
	v_pk_mul_f32 v[88:89], v[90:91], v[80:81] op_sel:[0,1]
	v_pk_add_f32 v[16:17], v[16:17], v[92:93] neg_lo:[0,1] neg_hi:[0,1]
	s_delay_alu instid0(VALU_DEP_2) | instskip(SKIP_1) | instid1(VALU_DEP_1)
	v_pk_fma_f32 v[92:93], v[90:91], v[78:79], v[88:89] op_sel:[0,0,1] op_sel_hi:[1,1,0] neg_lo:[0,0,1] neg_hi:[0,0,1]
	v_pk_fma_f32 v[88:89], v[90:91], v[78:79], v[88:89] op_sel:[0,0,1] op_sel_hi:[1,0,0]
	v_mov_b32_e32 v93, v89
	ds_load_2addr_b64 v[88:91], v82 offset0:21 offset1:22
	v_pk_add_f32 v[54:55], v[54:55], v[92:93] neg_lo:[0,1] neg_hi:[0,1]
	s_wait_dscnt 0x0
	v_pk_mul_f32 v[92:93], v[88:89], v[80:81] op_sel:[0,1]
	s_delay_alu instid0(VALU_DEP_1) | instskip(SKIP_1) | instid1(VALU_DEP_1)
	v_pk_fma_f32 v[94:95], v[88:89], v[78:79], v[92:93] op_sel:[0,0,1] op_sel_hi:[1,1,0] neg_lo:[0,0,1] neg_hi:[0,0,1]
	v_pk_fma_f32 v[88:89], v[88:89], v[78:79], v[92:93] op_sel:[0,0,1] op_sel_hi:[1,0,0]
	v_mov_b32_e32 v95, v89
	v_pk_mul_f32 v[88:89], v[90:91], v[80:81] op_sel:[0,1]
	s_delay_alu instid0(VALU_DEP_2) | instskip(NEXT) | instid1(VALU_DEP_2)
	v_pk_add_f32 v[50:51], v[50:51], v[94:95] neg_lo:[0,1] neg_hi:[0,1]
	v_pk_fma_f32 v[92:93], v[90:91], v[78:79], v[88:89] op_sel:[0,0,1] op_sel_hi:[1,1,0] neg_lo:[0,0,1] neg_hi:[0,0,1]
	v_pk_fma_f32 v[88:89], v[90:91], v[78:79], v[88:89] op_sel:[0,0,1] op_sel_hi:[1,0,0]
	s_delay_alu instid0(VALU_DEP_1) | instskip(SKIP_4) | instid1(VALU_DEP_1)
	v_mov_b32_e32 v93, v89
	ds_load_2addr_b64 v[88:91], v82 offset0:23 offset1:24
	v_pk_add_f32 v[52:53], v[52:53], v[92:93] neg_lo:[0,1] neg_hi:[0,1]
	s_wait_dscnt 0x0
	v_pk_mul_f32 v[92:93], v[88:89], v[80:81] op_sel:[0,1]
	v_pk_fma_f32 v[94:95], v[88:89], v[78:79], v[92:93] op_sel:[0,0,1] op_sel_hi:[1,1,0] neg_lo:[0,0,1] neg_hi:[0,0,1]
	v_pk_fma_f32 v[88:89], v[88:89], v[78:79], v[92:93] op_sel:[0,0,1] op_sel_hi:[1,0,0]
	v_dual_mul_f32 v92, v91, v81 :: v_dual_mov_b32 v88, v91
	s_delay_alu instid0(VALU_DEP_2) | instskip(NEXT) | instid1(VALU_DEP_2)
	v_dual_mov_b32 v95, v89 :: v_dual_mov_b32 v89, v90
	v_pk_fma_f32 v[92:93], v[90:91], v[46:47], v[92:93] op_sel_hi:[1,1,0] neg_lo:[0,0,1] neg_hi:[0,0,1]
	v_mul_f32_e32 v90, v91, v78
	s_delay_alu instid0(VALU_DEP_3) | instskip(NEXT) | instid1(VALU_DEP_2)
	v_pk_add_f32 v[14:15], v[14:15], v[94:95] neg_lo:[0,1] neg_hi:[0,1]
	v_pk_fma_f32 v[88:89], v[88:89], v[46:47], v[90:91] op_sel_hi:[1,1,0]
	s_delay_alu instid0(VALU_DEP_1) | instskip(SKIP_4) | instid1(VALU_DEP_1)
	v_mov_b32_e32 v93, v89
	ds_load_2addr_b64 v[88:91], v82 offset0:25 offset1:26
	v_pk_add_f32 v[38:39], v[38:39], v[92:93] neg_lo:[0,1] neg_hi:[0,1]
	s_wait_dscnt 0x0
	v_pk_mul_f32 v[92:93], v[88:89], v[80:81] op_sel:[0,1]
	v_pk_fma_f32 v[94:95], v[88:89], v[78:79], v[92:93] op_sel:[0,0,1] op_sel_hi:[1,1,0] neg_lo:[0,0,1] neg_hi:[0,0,1]
	v_pk_fma_f32 v[88:89], v[88:89], v[78:79], v[92:93] op_sel:[0,0,1] op_sel_hi:[1,0,0]
	s_delay_alu instid0(VALU_DEP_1) | instskip(SKIP_1) | instid1(VALU_DEP_1)
	v_mov_b32_e32 v95, v89
	v_pk_mul_f32 v[88:89], v[90:91], v[80:81] op_sel:[0,1]
	v_pk_fma_f32 v[92:93], v[90:91], v[78:79], v[88:89] op_sel:[0,0,1] op_sel_hi:[1,1,0] neg_lo:[0,0,1] neg_hi:[0,0,1]
	v_pk_fma_f32 v[88:89], v[90:91], v[78:79], v[88:89] op_sel:[0,0,1] op_sel_hi:[1,0,0]
	s_delay_alu instid0(VALU_DEP_1)
	v_mov_b32_e32 v93, v89
	ds_load_2addr_b64 v[88:91], v82 offset0:27 offset1:28
	v_pk_add_f32 v[32:33], v[32:33], v[94:95] neg_lo:[0,1] neg_hi:[0,1]
	v_pk_add_f32 v[36:37], v[36:37], v[92:93] neg_lo:[0,1] neg_hi:[0,1]
	s_wait_dscnt 0x0
	v_pk_mul_f32 v[92:93], v[88:89], v[80:81] op_sel:[0,1]
	s_delay_alu instid0(VALU_DEP_1) | instskip(SKIP_1) | instid1(VALU_DEP_1)
	v_pk_fma_f32 v[94:95], v[88:89], v[78:79], v[92:93] op_sel:[0,0,1] op_sel_hi:[1,1,0] neg_lo:[0,0,1] neg_hi:[0,0,1]
	v_pk_fma_f32 v[88:89], v[88:89], v[78:79], v[92:93] op_sel:[0,0,1] op_sel_hi:[1,0,0]
	v_mov_b32_e32 v95, v89
	v_pk_mul_f32 v[88:89], v[90:91], v[80:81] op_sel:[0,1]
	s_delay_alu instid0(VALU_DEP_1) | instskip(SKIP_1) | instid1(VALU_DEP_1)
	v_pk_fma_f32 v[92:93], v[90:91], v[78:79], v[88:89] op_sel:[0,0,1] op_sel_hi:[1,1,0] neg_lo:[0,0,1] neg_hi:[0,0,1]
	v_pk_fma_f32 v[88:89], v[90:91], v[78:79], v[88:89] op_sel:[0,0,1] op_sel_hi:[1,0,0]
	v_mov_b32_e32 v93, v89
	ds_load_2addr_b64 v[88:91], v82 offset0:29 offset1:30
	v_pk_add_f32 v[6:7], v[6:7], v[94:95] neg_lo:[0,1] neg_hi:[0,1]
	v_pk_add_f32 v[30:31], v[30:31], v[92:93] neg_lo:[0,1] neg_hi:[0,1]
	s_wait_dscnt 0x0
	v_dual_mul_f32 v92, v89, v81 :: v_dual_mul_f32 v94, v89, v78
	s_delay_alu instid0(VALU_DEP_1) | instskip(NEXT) | instid1(VALU_DEP_2)
	v_pk_fma_f32 v[92:93], v[88:89], v[46:47], v[92:93] op_sel_hi:[1,1,0] neg_lo:[0,0,1] neg_hi:[0,0,1]
	v_pk_fma_f32 v[88:89], v[88:89], v[46:47], v[94:95] op_sel:[1,0,0] op_sel_hi:[0,1,0]
	s_delay_alu instid0(VALU_DEP_1) | instskip(SKIP_1) | instid1(VALU_DEP_2)
	v_mov_b32_e32 v93, v89
	v_pk_mul_f32 v[88:89], v[90:91], v[80:81] op_sel:[0,1]
	v_pk_add_f32 v[26:27], v[26:27], v[92:93] neg_lo:[0,1] neg_hi:[0,1]
	s_delay_alu instid0(VALU_DEP_2) | instskip(SKIP_1) | instid1(VALU_DEP_1)
	v_pk_fma_f32 v[92:93], v[90:91], v[78:79], v[88:89] op_sel:[0,0,1] op_sel_hi:[1,1,0] neg_lo:[0,0,1] neg_hi:[0,0,1]
	v_pk_fma_f32 v[88:89], v[90:91], v[78:79], v[88:89] op_sel:[0,0,1] op_sel_hi:[1,0,0]
	v_mov_b32_e32 v93, v89
	ds_load_2addr_b64 v[88:91], v82 offset0:31 offset1:32
	v_pk_add_f32 v[28:29], v[28:29], v[92:93] neg_lo:[0,1] neg_hi:[0,1]
	s_wait_dscnt 0x0
	v_pk_mul_f32 v[92:93], v[88:89], v[80:81] op_sel:[0,1]
	s_delay_alu instid0(VALU_DEP_1) | instskip(SKIP_1) | instid1(VALU_DEP_1)
	v_pk_fma_f32 v[94:95], v[88:89], v[78:79], v[92:93] op_sel:[0,0,1] op_sel_hi:[1,1,0] neg_lo:[0,0,1] neg_hi:[0,0,1]
	v_pk_fma_f32 v[88:89], v[88:89], v[78:79], v[92:93] op_sel:[0,0,1] op_sel_hi:[1,0,0]
	v_mov_b32_e32 v95, v89
	v_pk_mul_f32 v[88:89], v[90:91], v[80:81] op_sel:[0,1]
	s_delay_alu instid0(VALU_DEP_2) | instskip(NEXT) | instid1(VALU_DEP_2)
	v_pk_add_f32 v[10:11], v[10:11], v[94:95] neg_lo:[0,1] neg_hi:[0,1]
	v_pk_fma_f32 v[92:93], v[90:91], v[78:79], v[88:89] op_sel:[0,0,1] op_sel_hi:[1,1,0] neg_lo:[0,0,1] neg_hi:[0,0,1]
	v_pk_fma_f32 v[88:89], v[90:91], v[78:79], v[88:89] op_sel:[0,0,1] op_sel_hi:[1,0,0]
	s_delay_alu instid0(VALU_DEP_1) | instskip(SKIP_4) | instid1(VALU_DEP_1)
	v_mov_b32_e32 v93, v89
	ds_load_2addr_b64 v[88:91], v82 offset0:33 offset1:34
	v_pk_add_f32 v[24:25], v[24:25], v[92:93] neg_lo:[0,1] neg_hi:[0,1]
	s_wait_dscnt 0x0
	v_pk_mul_f32 v[92:93], v[88:89], v[80:81] op_sel:[0,1]
	v_pk_fma_f32 v[94:95], v[88:89], v[78:79], v[92:93] op_sel:[0,0,1] op_sel_hi:[1,1,0] neg_lo:[0,0,1] neg_hi:[0,0,1]
	v_pk_fma_f32 v[88:89], v[88:89], v[78:79], v[92:93] op_sel:[0,0,1] op_sel_hi:[1,0,0]
	v_dual_mul_f32 v92, v91, v81 :: v_dual_mov_b32 v88, v91
	s_delay_alu instid0(VALU_DEP_2) | instskip(NEXT) | instid1(VALU_DEP_2)
	v_dual_mov_b32 v95, v89 :: v_dual_mov_b32 v89, v90
	v_pk_fma_f32 v[92:93], v[90:91], v[46:47], v[92:93] op_sel_hi:[1,1,0] neg_lo:[0,0,1] neg_hi:[0,0,1]
	v_mul_f32_e32 v90, v91, v78
	s_delay_alu instid0(VALU_DEP_3) | instskip(NEXT) | instid1(VALU_DEP_2)
	v_pk_add_f32 v[20:21], v[20:21], v[94:95] neg_lo:[0,1] neg_hi:[0,1]
	v_pk_fma_f32 v[88:89], v[88:89], v[46:47], v[90:91] op_sel_hi:[1,1,0]
	s_delay_alu instid0(VALU_DEP_1) | instskip(SKIP_4) | instid1(VALU_DEP_1)
	v_mov_b32_e32 v93, v89
	ds_load_b64 v[88:89], v82 offset:280
	v_pk_add_f32 v[18:19], v[18:19], v[92:93] neg_lo:[0,1] neg_hi:[0,1]
	s_wait_dscnt 0x0
	v_pk_mul_f32 v[80:81], v[88:89], v[80:81] op_sel:[0,1]
	v_pk_fma_f32 v[90:91], v[88:89], v[78:79], v[80:81] op_sel:[0,0,1] op_sel_hi:[1,1,0] neg_lo:[0,0,1] neg_hi:[0,0,1]
	v_pk_fma_f32 v[78:79], v[88:89], v[78:79], v[80:81] op_sel:[0,0,1] op_sel_hi:[1,0,0]
	s_delay_alu instid0(VALU_DEP_1) | instskip(NEXT) | instid1(VALU_DEP_1)
	v_mov_b32_e32 v91, v79
	v_pk_add_f32 v[76:77], v[76:77], v[90:91] neg_lo:[0,1] neg_hi:[0,1]
.LBB70_230:
	s_or_b32 exec_lo, exec_lo, s0
	v_lshl_add_u32 v78, v86, 3, v82
	s_barrier_signal -1
	s_barrier_wait -1
	ds_store_b64 v78, v[12:13]
	s_wait_dscnt 0x0
	s_barrier_signal -1
	s_barrier_wait -1
	ds_load_b64 v[80:81], v82 offset:88
	v_mov_b32_e32 v78, 11
	s_cmp_lt_i32 s18, 13
	s_cbranch_scc1 .LBB70_233
; %bb.231:
	v_add3_u32 v79, v83, 0, 0x60
	v_mov_b32_e32 v78, 11
	s_mov_b32 s0, 12
.LBB70_232:                             ; =>This Inner Loop Header: Depth=1
	ds_load_b64 v[88:89], v79
	s_wait_dscnt 0x1
	v_cmp_gt_f32_e32 vcc_lo, 0, v80
	v_cndmask_b32_e64 v90, v80, -v80, vcc_lo
	v_cmp_gt_f32_e32 vcc_lo, 0, v81
	v_cndmask_b32_e64 v92, v81, -v81, vcc_lo
	s_wait_dscnt 0x0
	v_cmp_gt_f32_e32 vcc_lo, 0, v88
	v_cndmask_b32_e64 v91, v88, -v88, vcc_lo
	v_cmp_gt_f32_e32 vcc_lo, 0, v89
	v_cndmask_b32_e64 v93, v89, -v89, vcc_lo
	s_delay_alu instid0(VALU_DEP_1) | instskip(NEXT) | instid1(VALU_DEP_1)
	v_pk_add_f32 v[90:91], v[90:91], v[92:93]
	v_cmp_lt_f32_e32 vcc_lo, v90, v91
	v_dual_add_nc_u32 v79, 8, v79 :: v_dual_cndmask_b32 v81, v81, v89, vcc_lo
	v_cndmask_b32_e32 v80, v80, v88, vcc_lo
	v_cndmask_b32_e64 v78, v78, s0, vcc_lo
	s_add_co_i32 s0, s0, 1
	s_delay_alu instid0(SALU_CYCLE_1)
	s_cmp_lg_u32 s18, s0
	s_cbranch_scc1 .LBB70_232
.LBB70_233:
	s_wait_dscnt 0x0
	v_cmp_eq_f32_e32 vcc_lo, 0, v80
	v_cmp_eq_f32_e64 s0, 0, v81
	s_and_b32 s0, vcc_lo, s0
	s_delay_alu instid0(SALU_CYCLE_1) | instskip(NEXT) | instid1(SALU_CYCLE_1)
	s_and_saveexec_b32 s1, s0
	s_xor_b32 s0, exec_lo, s1
; %bb.234:
	v_cmp_ne_u32_e32 vcc_lo, 0, v84
	v_cndmask_b32_e32 v84, 12, v84, vcc_lo
; %bb.235:
	s_and_not1_saveexec_b32 s0, s0
	s_cbranch_execz .LBB70_241
; %bb.236:
	v_cmp_ngt_f32_e64 s1, |v80|, |v81|
	s_and_saveexec_b32 s12, s1
	s_delay_alu instid0(SALU_CYCLE_1)
	s_xor_b32 s1, exec_lo, s12
	s_cbranch_execz .LBB70_238
; %bb.237:
	v_div_scale_f32 v79, null, v81, v81, v80
	v_div_scale_f32 v89, vcc_lo, v80, v81, v80
	s_delay_alu instid0(VALU_DEP_2) | instskip(SKIP_1) | instid1(TRANS32_DEP_1)
	v_rcp_f32_e32 v87, v79
	v_nop
	v_fma_f32 v88, -v79, v87, 1.0
	s_delay_alu instid0(VALU_DEP_1) | instskip(NEXT) | instid1(VALU_DEP_1)
	v_fmac_f32_e32 v87, v88, v87
	v_mul_f32_e32 v88, v89, v87
	s_delay_alu instid0(VALU_DEP_1) | instskip(NEXT) | instid1(VALU_DEP_1)
	v_fma_f32 v90, -v79, v88, v89
	v_fmac_f32_e32 v88, v90, v87
	s_delay_alu instid0(VALU_DEP_1) | instskip(NEXT) | instid1(VALU_DEP_1)
	v_fma_f32 v79, -v79, v88, v89
	v_div_fmas_f32 v79, v79, v87, v88
	s_delay_alu instid0(VALU_DEP_1) | instskip(NEXT) | instid1(VALU_DEP_1)
	v_div_fixup_f32 v79, v79, v81, v80
	v_fmac_f32_e32 v81, v80, v79
	s_delay_alu instid0(VALU_DEP_1) | instskip(SKIP_1) | instid1(VALU_DEP_2)
	v_div_scale_f32 v80, null, v81, v81, 1.0
	v_div_scale_f32 v89, vcc_lo, 1.0, v81, 1.0
	v_rcp_f32_e32 v87, v80
	v_nop
	s_delay_alu instid0(TRANS32_DEP_1) | instskip(NEXT) | instid1(VALU_DEP_1)
	v_fma_f32 v88, -v80, v87, 1.0
	v_fmac_f32_e32 v87, v88, v87
	s_delay_alu instid0(VALU_DEP_1) | instskip(NEXT) | instid1(VALU_DEP_1)
	v_mul_f32_e32 v88, v89, v87
	v_fma_f32 v90, -v80, v88, v89
	s_delay_alu instid0(VALU_DEP_1) | instskip(NEXT) | instid1(VALU_DEP_1)
	v_fmac_f32_e32 v88, v90, v87
	v_fma_f32 v80, -v80, v88, v89
	s_delay_alu instid0(VALU_DEP_1) | instskip(NEXT) | instid1(VALU_DEP_1)
	v_div_fmas_f32 v80, v80, v87, v88
	v_div_fixup_f32 v81, v80, v81, 1.0
	s_delay_alu instid0(VALU_DEP_1)
	v_mul_f32_e32 v80, v79, v81
	v_xor_b32_e32 v81, 0x80000000, v81
.LBB70_238:
	s_and_not1_saveexec_b32 s1, s1
	s_cbranch_execz .LBB70_240
; %bb.239:
	s_delay_alu instid0(VALU_DEP_1) | instskip(SKIP_1) | instid1(VALU_DEP_2)
	v_div_scale_f32 v79, null, v80, v80, v81
	v_div_scale_f32 v89, vcc_lo, v81, v80, v81
	v_rcp_f32_e32 v87, v79
	v_nop
	s_delay_alu instid0(TRANS32_DEP_1) | instskip(NEXT) | instid1(VALU_DEP_1)
	v_fma_f32 v88, -v79, v87, 1.0
	v_fmac_f32_e32 v87, v88, v87
	s_delay_alu instid0(VALU_DEP_1) | instskip(NEXT) | instid1(VALU_DEP_1)
	v_mul_f32_e32 v88, v89, v87
	v_fma_f32 v90, -v79, v88, v89
	s_delay_alu instid0(VALU_DEP_1) | instskip(NEXT) | instid1(VALU_DEP_1)
	v_fmac_f32_e32 v88, v90, v87
	v_fma_f32 v79, -v79, v88, v89
	s_delay_alu instid0(VALU_DEP_1) | instskip(NEXT) | instid1(VALU_DEP_1)
	v_div_fmas_f32 v79, v79, v87, v88
	v_div_fixup_f32 v79, v79, v80, v81
	s_delay_alu instid0(VALU_DEP_1) | instskip(NEXT) | instid1(VALU_DEP_1)
	v_fmac_f32_e32 v80, v81, v79
	v_div_scale_f32 v81, null, v80, v80, 1.0
	s_delay_alu instid0(VALU_DEP_1) | instskip(SKIP_1) | instid1(TRANS32_DEP_1)
	v_rcp_f32_e32 v87, v81
	v_nop
	v_fma_f32 v88, -v81, v87, 1.0
	s_delay_alu instid0(VALU_DEP_1) | instskip(SKIP_1) | instid1(VALU_DEP_1)
	v_fmac_f32_e32 v87, v88, v87
	v_div_scale_f32 v88, vcc_lo, 1.0, v80, 1.0
	v_mul_f32_e32 v89, v88, v87
	s_delay_alu instid0(VALU_DEP_1) | instskip(NEXT) | instid1(VALU_DEP_1)
	v_fma_f32 v90, -v81, v89, v88
	v_fmac_f32_e32 v89, v90, v87
	s_delay_alu instid0(VALU_DEP_1) | instskip(NEXT) | instid1(VALU_DEP_1)
	v_fma_f32 v81, -v81, v89, v88
	v_div_fmas_f32 v81, v81, v87, v89
	s_delay_alu instid0(VALU_DEP_1) | instskip(NEXT) | instid1(VALU_DEP_1)
	v_div_fixup_f32 v80, v81, v80, 1.0
	v_mul_f32_e64 v81, v79, -v80
.LBB70_240:
	s_or_b32 exec_lo, exec_lo, s1
.LBB70_241:
	s_delay_alu instid0(SALU_CYCLE_1) | instskip(NEXT) | instid1(SALU_CYCLE_1)
	s_or_b32 exec_lo, exec_lo, s0
	s_mov_b32 s0, exec_lo
	v_cmpx_ne_u32_e64 v86, v78
	s_xor_b32 s0, exec_lo, s0
	s_cbranch_execz .LBB70_247
; %bb.242:
	s_mov_b32 s1, exec_lo
	v_cmpx_eq_u32_e32 11, v86
	s_cbranch_execz .LBB70_246
; %bb.243:
	v_cmp_ne_u32_e32 vcc_lo, 11, v78
	s_xor_b32 s12, s16, -1
	s_delay_alu instid0(SALU_CYCLE_1) | instskip(NEXT) | instid1(SALU_CYCLE_1)
	s_and_b32 s13, s12, vcc_lo
	s_and_saveexec_b32 s12, s13
	s_cbranch_execz .LBB70_245
; %bb.244:
	v_ashrrev_i32_e32 v79, 31, v78
	s_delay_alu instid0(VALU_DEP_1)
	v_lshl_add_u64 v[86:87], v[78:79], 2, v[4:5]
	s_clause 0x1
	global_load_b32 v79, v[86:87], off
	global_load_b32 v85, v[4:5], off offset:44
	s_wait_loadcnt 0x1
	global_store_b32 v[4:5], v79, off offset:44
	s_wait_loadcnt 0x0
	global_store_b32 v[86:87], v85, off
.LBB70_245:
	s_wait_xcnt 0x0
	s_or_b32 exec_lo, exec_lo, s12
	v_dual_mov_b32 v86, v78 :: v_dual_mov_b32 v85, v78
.LBB70_246:
	s_or_b32 exec_lo, exec_lo, s1
.LBB70_247:
	s_and_not1_saveexec_b32 s0, s0
	s_cbranch_execz .LBB70_249
; %bb.248:
	v_dual_mov_b32 v78, v66 :: v_dual_mov_b32 v79, v67
	v_dual_mov_b32 v86, v62 :: v_dual_mov_b32 v87, v63
	;; [unrolled: 1-line block ×4, first 2 shown]
	ds_store_2addr_b64 v82, v[78:79], v[86:87] offset0:12 offset1:13
	ds_store_2addr_b64 v82, v[88:89], v[90:91] offset0:14 offset1:15
	v_dual_mov_b32 v78, v60 :: v_dual_mov_b32 v79, v61
	v_dual_mov_b32 v86, v56 :: v_dual_mov_b32 v87, v57
	;; [unrolled: 1-line block ×12, first 2 shown]
	ds_store_2addr_b64 v82, v[78:79], v[86:87] offset0:16 offset1:17
	ds_store_2addr_b64 v82, v[88:89], v[90:91] offset0:18 offset1:19
	;; [unrolled: 1-line block ×6, first 2 shown]
	v_dual_mov_b32 v78, v30 :: v_dual_mov_b32 v79, v31
	v_dual_mov_b32 v88, v26 :: v_dual_mov_b32 v89, v27
	;; [unrolled: 1-line block ×7, first 2 shown]
	v_mov_b32_e32 v99, v19
	ds_store_2addr_b64 v82, v[78:79], v[88:89] offset0:28 offset1:29
	ds_store_2addr_b64 v82, v[90:91], v[92:93] offset0:30 offset1:31
	;; [unrolled: 1-line block ×4, first 2 shown]
.LBB70_249:
	s_or_b32 exec_lo, exec_lo, s0
	s_delay_alu instid0(SALU_CYCLE_1)
	s_mov_b32 s0, exec_lo
	s_wait_storecnt_dscnt 0x0
	s_barrier_signal -1
	s_barrier_wait -1
	v_cmpx_lt_i32_e32 11, v86
	s_cbranch_execz .LBB70_251
; %bb.250:
	v_pk_mul_f32 v[88:89], v[80:81], v[12:13] op_sel:[1,1] op_sel_hi:[0,1]
	s_delay_alu instid0(VALU_DEP_1)
	v_pk_fma_f32 v[78:79], v[80:81], v[12:13], v[88:89] op_sel_hi:[1,0,1] neg_lo:[0,0,1] neg_hi:[0,0,1]
	v_pk_fma_f32 v[80:81], v[80:81], v[12:13], v[88:89] op_sel_hi:[1,0,1]
	ds_load_2addr_b64 v[88:91], v82 offset0:12 offset1:13
	v_dual_mov_b32 v12, v78 :: v_dual_mov_b32 v13, v81
	s_wait_dscnt 0x0
	v_pk_mul_f32 v[92:93], v[88:89], v[80:81] op_sel:[0,1]
	s_delay_alu instid0(VALU_DEP_1) | instskip(SKIP_1) | instid1(VALU_DEP_1)
	v_pk_fma_f32 v[94:95], v[88:89], v[78:79], v[92:93] op_sel:[0,0,1] op_sel_hi:[1,1,0] neg_lo:[0,0,1] neg_hi:[0,0,1]
	v_pk_fma_f32 v[88:89], v[88:89], v[78:79], v[92:93] op_sel:[0,0,1] op_sel_hi:[1,0,0]
	v_mov_b32_e32 v95, v89
	v_pk_mul_f32 v[88:89], v[90:91], v[80:81] op_sel:[0,1]
	s_delay_alu instid0(VALU_DEP_1) | instskip(SKIP_1) | instid1(VALU_DEP_1)
	v_pk_fma_f32 v[92:93], v[90:91], v[78:79], v[88:89] op_sel:[0,0,1] op_sel_hi:[1,1,0] neg_lo:[0,0,1] neg_hi:[0,0,1]
	v_pk_fma_f32 v[88:89], v[90:91], v[78:79], v[88:89] op_sel:[0,0,1] op_sel_hi:[1,0,0]
	v_mov_b32_e32 v93, v89
	ds_load_2addr_b64 v[88:91], v82 offset0:14 offset1:15
	v_pk_add_f32 v[66:67], v[66:67], v[94:95] neg_lo:[0,1] neg_hi:[0,1]
	v_pk_add_f32 v[62:63], v[62:63], v[92:93] neg_lo:[0,1] neg_hi:[0,1]
	s_wait_dscnt 0x0
	v_pk_mul_f32 v[92:93], v[88:89], v[80:81] op_sel:[0,1]
	s_delay_alu instid0(VALU_DEP_1) | instskip(SKIP_2) | instid1(VALU_DEP_2)
	v_pk_fma_f32 v[94:95], v[88:89], v[78:79], v[92:93] op_sel:[0,0,1] op_sel_hi:[1,1,0] neg_lo:[0,0,1] neg_hi:[0,0,1]
	v_pk_fma_f32 v[88:89], v[88:89], v[78:79], v[92:93] op_sel:[0,0,1] op_sel_hi:[1,0,0]
	v_dual_mul_f32 v92, v91, v81 :: v_dual_mov_b32 v88, v91
	v_dual_mov_b32 v95, v89 :: v_dual_mov_b32 v89, v90
	s_delay_alu instid0(VALU_DEP_2) | instskip(SKIP_1) | instid1(VALU_DEP_3)
	v_pk_fma_f32 v[92:93], v[90:91], v[12:13], v[92:93] op_sel_hi:[1,1,0] neg_lo:[0,0,1] neg_hi:[0,0,1]
	v_mul_f32_e32 v90, v91, v78
	v_pk_add_f32 v[64:65], v[64:65], v[94:95] neg_lo:[0,1] neg_hi:[0,1]
	s_delay_alu instid0(VALU_DEP_2) | instskip(NEXT) | instid1(VALU_DEP_1)
	v_pk_fma_f32 v[88:89], v[88:89], v[12:13], v[90:91] op_sel_hi:[1,1,0]
	v_mov_b32_e32 v93, v89
	ds_load_2addr_b64 v[88:91], v82 offset0:16 offset1:17
	v_pk_add_f32 v[22:23], v[22:23], v[92:93] neg_lo:[0,1] neg_hi:[0,1]
	s_wait_dscnt 0x0
	v_pk_mul_f32 v[92:93], v[88:89], v[80:81] op_sel:[0,1]
	s_delay_alu instid0(VALU_DEP_1) | instskip(SKIP_1) | instid1(VALU_DEP_1)
	v_pk_fma_f32 v[94:95], v[88:89], v[78:79], v[92:93] op_sel:[0,0,1] op_sel_hi:[1,1,0] neg_lo:[0,0,1] neg_hi:[0,0,1]
	v_pk_fma_f32 v[88:89], v[88:89], v[78:79], v[92:93] op_sel:[0,0,1] op_sel_hi:[1,0,0]
	v_mov_b32_e32 v95, v89
	v_pk_mul_f32 v[88:89], v[90:91], v[80:81] op_sel:[0,1]
	s_delay_alu instid0(VALU_DEP_1) | instskip(SKIP_1) | instid1(VALU_DEP_1)
	v_pk_fma_f32 v[92:93], v[90:91], v[78:79], v[88:89] op_sel:[0,0,1] op_sel_hi:[1,1,0] neg_lo:[0,0,1] neg_hi:[0,0,1]
	v_pk_fma_f32 v[88:89], v[90:91], v[78:79], v[88:89] op_sel:[0,0,1] op_sel_hi:[1,0,0]
	v_mov_b32_e32 v93, v89
	ds_load_2addr_b64 v[88:91], v82 offset0:18 offset1:19
	v_pk_add_f32 v[60:61], v[60:61], v[94:95] neg_lo:[0,1] neg_hi:[0,1]
	v_pk_add_f32 v[56:57], v[56:57], v[92:93] neg_lo:[0,1] neg_hi:[0,1]
	s_wait_dscnt 0x0
	v_pk_mul_f32 v[92:93], v[88:89], v[80:81] op_sel:[0,1]
	s_delay_alu instid0(VALU_DEP_1) | instskip(SKIP_1) | instid1(VALU_DEP_1)
	v_pk_fma_f32 v[94:95], v[88:89], v[78:79], v[92:93] op_sel:[0,0,1] op_sel_hi:[1,1,0] neg_lo:[0,0,1] neg_hi:[0,0,1]
	v_pk_fma_f32 v[88:89], v[88:89], v[78:79], v[92:93] op_sel:[0,0,1] op_sel_hi:[1,0,0]
	v_mov_b32_e32 v95, v89
	v_pk_mul_f32 v[88:89], v[90:91], v[80:81] op_sel:[0,1]
	s_delay_alu instid0(VALU_DEP_1) | instskip(SKIP_1) | instid1(VALU_DEP_1)
	v_pk_fma_f32 v[92:93], v[90:91], v[78:79], v[88:89] op_sel:[0,0,1] op_sel_hi:[1,1,0] neg_lo:[0,0,1] neg_hi:[0,0,1]
	v_pk_fma_f32 v[88:89], v[90:91], v[78:79], v[88:89] op_sel:[0,0,1] op_sel_hi:[1,0,0]
	v_mov_b32_e32 v93, v89
	ds_load_2addr_b64 v[88:91], v82 offset0:20 offset1:21
	v_pk_add_f32 v[58:59], v[58:59], v[94:95] neg_lo:[0,1] neg_hi:[0,1]
	v_pk_add_f32 v[16:17], v[16:17], v[92:93] neg_lo:[0,1] neg_hi:[0,1]
	s_wait_dscnt 0x0
	v_dual_mul_f32 v92, v89, v81 :: v_dual_mul_f32 v94, v89, v78
	s_delay_alu instid0(VALU_DEP_1) | instskip(NEXT) | instid1(VALU_DEP_2)
	v_pk_fma_f32 v[92:93], v[88:89], v[12:13], v[92:93] op_sel_hi:[1,1,0] neg_lo:[0,0,1] neg_hi:[0,0,1]
	v_pk_fma_f32 v[88:89], v[88:89], v[12:13], v[94:95] op_sel:[1,0,0] op_sel_hi:[0,1,0]
	s_delay_alu instid0(VALU_DEP_1) | instskip(SKIP_1) | instid1(VALU_DEP_2)
	v_mov_b32_e32 v93, v89
	v_pk_mul_f32 v[88:89], v[90:91], v[80:81] op_sel:[0,1]
	v_pk_add_f32 v[54:55], v[54:55], v[92:93] neg_lo:[0,1] neg_hi:[0,1]
	s_delay_alu instid0(VALU_DEP_2) | instskip(SKIP_1) | instid1(VALU_DEP_1)
	v_pk_fma_f32 v[92:93], v[90:91], v[78:79], v[88:89] op_sel:[0,0,1] op_sel_hi:[1,1,0] neg_lo:[0,0,1] neg_hi:[0,0,1]
	v_pk_fma_f32 v[88:89], v[90:91], v[78:79], v[88:89] op_sel:[0,0,1] op_sel_hi:[1,0,0]
	v_mov_b32_e32 v93, v89
	ds_load_2addr_b64 v[88:91], v82 offset0:22 offset1:23
	v_pk_add_f32 v[50:51], v[50:51], v[92:93] neg_lo:[0,1] neg_hi:[0,1]
	s_wait_dscnt 0x0
	v_pk_mul_f32 v[92:93], v[88:89], v[80:81] op_sel:[0,1]
	s_delay_alu instid0(VALU_DEP_1) | instskip(SKIP_1) | instid1(VALU_DEP_1)
	v_pk_fma_f32 v[94:95], v[88:89], v[78:79], v[92:93] op_sel:[0,0,1] op_sel_hi:[1,1,0] neg_lo:[0,0,1] neg_hi:[0,0,1]
	v_pk_fma_f32 v[88:89], v[88:89], v[78:79], v[92:93] op_sel:[0,0,1] op_sel_hi:[1,0,0]
	v_mov_b32_e32 v95, v89
	v_pk_mul_f32 v[88:89], v[90:91], v[80:81] op_sel:[0,1]
	s_delay_alu instid0(VALU_DEP_2) | instskip(NEXT) | instid1(VALU_DEP_2)
	v_pk_add_f32 v[52:53], v[52:53], v[94:95] neg_lo:[0,1] neg_hi:[0,1]
	v_pk_fma_f32 v[92:93], v[90:91], v[78:79], v[88:89] op_sel:[0,0,1] op_sel_hi:[1,1,0] neg_lo:[0,0,1] neg_hi:[0,0,1]
	v_pk_fma_f32 v[88:89], v[90:91], v[78:79], v[88:89] op_sel:[0,0,1] op_sel_hi:[1,0,0]
	s_delay_alu instid0(VALU_DEP_1) | instskip(SKIP_4) | instid1(VALU_DEP_1)
	v_mov_b32_e32 v93, v89
	ds_load_2addr_b64 v[88:91], v82 offset0:24 offset1:25
	v_pk_add_f32 v[14:15], v[14:15], v[92:93] neg_lo:[0,1] neg_hi:[0,1]
	s_wait_dscnt 0x0
	v_pk_mul_f32 v[92:93], v[88:89], v[80:81] op_sel:[0,1]
	v_pk_fma_f32 v[94:95], v[88:89], v[78:79], v[92:93] op_sel:[0,0,1] op_sel_hi:[1,1,0] neg_lo:[0,0,1] neg_hi:[0,0,1]
	v_pk_fma_f32 v[88:89], v[88:89], v[78:79], v[92:93] op_sel:[0,0,1] op_sel_hi:[1,0,0]
	v_dual_mul_f32 v92, v91, v81 :: v_dual_mov_b32 v88, v91
	s_delay_alu instid0(VALU_DEP_2) | instskip(NEXT) | instid1(VALU_DEP_2)
	v_dual_mov_b32 v95, v89 :: v_dual_mov_b32 v89, v90
	v_pk_fma_f32 v[92:93], v[90:91], v[12:13], v[92:93] op_sel_hi:[1,1,0] neg_lo:[0,0,1] neg_hi:[0,0,1]
	v_mul_f32_e32 v90, v91, v78
	s_delay_alu instid0(VALU_DEP_3) | instskip(NEXT) | instid1(VALU_DEP_2)
	v_pk_add_f32 v[38:39], v[38:39], v[94:95] neg_lo:[0,1] neg_hi:[0,1]
	v_pk_fma_f32 v[88:89], v[88:89], v[12:13], v[90:91] op_sel_hi:[1,1,0]
	s_delay_alu instid0(VALU_DEP_1) | instskip(SKIP_4) | instid1(VALU_DEP_1)
	v_mov_b32_e32 v93, v89
	ds_load_2addr_b64 v[88:91], v82 offset0:26 offset1:27
	v_pk_add_f32 v[32:33], v[32:33], v[92:93] neg_lo:[0,1] neg_hi:[0,1]
	s_wait_dscnt 0x0
	v_pk_mul_f32 v[92:93], v[88:89], v[80:81] op_sel:[0,1]
	v_pk_fma_f32 v[94:95], v[88:89], v[78:79], v[92:93] op_sel:[0,0,1] op_sel_hi:[1,1,0] neg_lo:[0,0,1] neg_hi:[0,0,1]
	v_pk_fma_f32 v[88:89], v[88:89], v[78:79], v[92:93] op_sel:[0,0,1] op_sel_hi:[1,0,0]
	s_delay_alu instid0(VALU_DEP_1) | instskip(SKIP_1) | instid1(VALU_DEP_1)
	v_mov_b32_e32 v95, v89
	v_pk_mul_f32 v[88:89], v[90:91], v[80:81] op_sel:[0,1]
	v_pk_fma_f32 v[92:93], v[90:91], v[78:79], v[88:89] op_sel:[0,0,1] op_sel_hi:[1,1,0] neg_lo:[0,0,1] neg_hi:[0,0,1]
	v_pk_fma_f32 v[88:89], v[90:91], v[78:79], v[88:89] op_sel:[0,0,1] op_sel_hi:[1,0,0]
	s_delay_alu instid0(VALU_DEP_1)
	v_mov_b32_e32 v93, v89
	ds_load_2addr_b64 v[88:91], v82 offset0:28 offset1:29
	v_pk_add_f32 v[36:37], v[36:37], v[94:95] neg_lo:[0,1] neg_hi:[0,1]
	v_pk_add_f32 v[6:7], v[6:7], v[92:93] neg_lo:[0,1] neg_hi:[0,1]
	s_wait_dscnt 0x0
	v_pk_mul_f32 v[92:93], v[88:89], v[80:81] op_sel:[0,1]
	s_delay_alu instid0(VALU_DEP_1) | instskip(SKIP_1) | instid1(VALU_DEP_1)
	v_pk_fma_f32 v[94:95], v[88:89], v[78:79], v[92:93] op_sel:[0,0,1] op_sel_hi:[1,1,0] neg_lo:[0,0,1] neg_hi:[0,0,1]
	v_pk_fma_f32 v[88:89], v[88:89], v[78:79], v[92:93] op_sel:[0,0,1] op_sel_hi:[1,0,0]
	v_mov_b32_e32 v95, v89
	v_pk_mul_f32 v[88:89], v[90:91], v[80:81] op_sel:[0,1]
	s_delay_alu instid0(VALU_DEP_1) | instskip(SKIP_1) | instid1(VALU_DEP_1)
	v_pk_fma_f32 v[92:93], v[90:91], v[78:79], v[88:89] op_sel:[0,0,1] op_sel_hi:[1,1,0] neg_lo:[0,0,1] neg_hi:[0,0,1]
	v_pk_fma_f32 v[88:89], v[90:91], v[78:79], v[88:89] op_sel:[0,0,1] op_sel_hi:[1,0,0]
	v_mov_b32_e32 v93, v89
	ds_load_2addr_b64 v[88:91], v82 offset0:30 offset1:31
	v_pk_add_f32 v[30:31], v[30:31], v[94:95] neg_lo:[0,1] neg_hi:[0,1]
	v_pk_add_f32 v[26:27], v[26:27], v[92:93] neg_lo:[0,1] neg_hi:[0,1]
	s_wait_dscnt 0x0
	v_dual_mul_f32 v92, v89, v81 :: v_dual_mul_f32 v94, v89, v78
	s_delay_alu instid0(VALU_DEP_1) | instskip(NEXT) | instid1(VALU_DEP_2)
	v_pk_fma_f32 v[92:93], v[88:89], v[12:13], v[92:93] op_sel_hi:[1,1,0] neg_lo:[0,0,1] neg_hi:[0,0,1]
	v_pk_fma_f32 v[88:89], v[88:89], v[12:13], v[94:95] op_sel:[1,0,0] op_sel_hi:[0,1,0]
	s_delay_alu instid0(VALU_DEP_1) | instskip(SKIP_1) | instid1(VALU_DEP_2)
	v_mov_b32_e32 v93, v89
	v_pk_mul_f32 v[88:89], v[90:91], v[80:81] op_sel:[0,1]
	v_pk_add_f32 v[28:29], v[28:29], v[92:93] neg_lo:[0,1] neg_hi:[0,1]
	s_delay_alu instid0(VALU_DEP_2) | instskip(SKIP_1) | instid1(VALU_DEP_1)
	v_pk_fma_f32 v[92:93], v[90:91], v[78:79], v[88:89] op_sel:[0,0,1] op_sel_hi:[1,1,0] neg_lo:[0,0,1] neg_hi:[0,0,1]
	v_pk_fma_f32 v[88:89], v[90:91], v[78:79], v[88:89] op_sel:[0,0,1] op_sel_hi:[1,0,0]
	v_mov_b32_e32 v93, v89
	ds_load_2addr_b64 v[88:91], v82 offset0:32 offset1:33
	v_pk_add_f32 v[10:11], v[10:11], v[92:93] neg_lo:[0,1] neg_hi:[0,1]
	s_wait_dscnt 0x0
	v_pk_mul_f32 v[92:93], v[88:89], v[80:81] op_sel:[0,1]
	s_delay_alu instid0(VALU_DEP_1) | instskip(SKIP_1) | instid1(VALU_DEP_1)
	v_pk_fma_f32 v[94:95], v[88:89], v[78:79], v[92:93] op_sel:[0,0,1] op_sel_hi:[1,1,0] neg_lo:[0,0,1] neg_hi:[0,0,1]
	v_pk_fma_f32 v[88:89], v[88:89], v[78:79], v[92:93] op_sel:[0,0,1] op_sel_hi:[1,0,0]
	v_mov_b32_e32 v95, v89
	v_pk_mul_f32 v[88:89], v[90:91], v[80:81] op_sel:[0,1]
	s_delay_alu instid0(VALU_DEP_2) | instskip(NEXT) | instid1(VALU_DEP_2)
	v_pk_add_f32 v[24:25], v[24:25], v[94:95] neg_lo:[0,1] neg_hi:[0,1]
	v_pk_fma_f32 v[92:93], v[90:91], v[78:79], v[88:89] op_sel:[0,0,1] op_sel_hi:[1,1,0] neg_lo:[0,0,1] neg_hi:[0,0,1]
	v_pk_fma_f32 v[88:89], v[90:91], v[78:79], v[88:89] op_sel:[0,0,1] op_sel_hi:[1,0,0]
	s_delay_alu instid0(VALU_DEP_1)
	v_mov_b32_e32 v93, v89
	ds_load_2addr_b64 v[88:91], v82 offset0:34 offset1:35
	v_pk_add_f32 v[20:21], v[20:21], v[92:93] neg_lo:[0,1] neg_hi:[0,1]
	s_wait_dscnt 0x0
	v_pk_mul_f32 v[92:93], v[88:89], v[80:81] op_sel:[0,1]
	v_mul_f32_e32 v80, v91, v81
	s_delay_alu instid0(VALU_DEP_2) | instskip(SKIP_2) | instid1(VALU_DEP_4)
	v_pk_fma_f32 v[94:95], v[88:89], v[78:79], v[92:93] op_sel:[0,0,1] op_sel_hi:[1,1,0] neg_lo:[0,0,1] neg_hi:[0,0,1]
	v_pk_fma_f32 v[88:89], v[88:89], v[78:79], v[92:93] op_sel:[0,0,1] op_sel_hi:[1,0,0]
	v_dual_mov_b32 v88, v91 :: v_dual_mul_f32 v78, v91, v78
	v_pk_fma_f32 v[80:81], v[90:91], v[12:13], v[80:81] op_sel_hi:[1,1,0] neg_lo:[0,0,1] neg_hi:[0,0,1]
	s_delay_alu instid0(VALU_DEP_3) | instskip(NEXT) | instid1(VALU_DEP_1)
	v_dual_mov_b32 v95, v89 :: v_dual_mov_b32 v89, v90
	v_pk_add_f32 v[18:19], v[18:19], v[94:95] neg_lo:[0,1] neg_hi:[0,1]
	s_delay_alu instid0(VALU_DEP_2) | instskip(NEXT) | instid1(VALU_DEP_1)
	v_pk_fma_f32 v[78:79], v[88:89], v[12:13], v[78:79] op_sel_hi:[1,1,0]
	v_mov_b32_e32 v81, v79
	s_delay_alu instid0(VALU_DEP_1)
	v_pk_add_f32 v[76:77], v[76:77], v[80:81] neg_lo:[0,1] neg_hi:[0,1]
.LBB70_251:
	s_or_b32 exec_lo, exec_lo, s0
	v_lshl_add_u32 v78, v86, 3, v82
	s_barrier_signal -1
	s_barrier_wait -1
	ds_store_b64 v78, v[66:67]
	s_wait_dscnt 0x0
	s_barrier_signal -1
	s_barrier_wait -1
	ds_load_b64 v[80:81], v82 offset:96
	v_mov_b32_e32 v78, 12
	s_cmp_lt_i32 s18, 14
	s_cbranch_scc1 .LBB70_254
; %bb.252:
	v_add3_u32 v79, v83, 0, 0x68
	v_mov_b32_e32 v78, 12
	s_mov_b32 s0, 13
.LBB70_253:                             ; =>This Inner Loop Header: Depth=1
	ds_load_b64 v[88:89], v79
	s_wait_dscnt 0x1
	v_cmp_gt_f32_e32 vcc_lo, 0, v80
	v_cndmask_b32_e64 v90, v80, -v80, vcc_lo
	v_cmp_gt_f32_e32 vcc_lo, 0, v81
	v_cndmask_b32_e64 v92, v81, -v81, vcc_lo
	s_wait_dscnt 0x0
	v_cmp_gt_f32_e32 vcc_lo, 0, v88
	v_cndmask_b32_e64 v91, v88, -v88, vcc_lo
	v_cmp_gt_f32_e32 vcc_lo, 0, v89
	v_cndmask_b32_e64 v93, v89, -v89, vcc_lo
	s_delay_alu instid0(VALU_DEP_1) | instskip(NEXT) | instid1(VALU_DEP_1)
	v_pk_add_f32 v[90:91], v[90:91], v[92:93]
	v_cmp_lt_f32_e32 vcc_lo, v90, v91
	v_dual_add_nc_u32 v79, 8, v79 :: v_dual_cndmask_b32 v81, v81, v89, vcc_lo
	v_cndmask_b32_e32 v80, v80, v88, vcc_lo
	v_cndmask_b32_e64 v78, v78, s0, vcc_lo
	s_add_co_i32 s0, s0, 1
	s_delay_alu instid0(SALU_CYCLE_1)
	s_cmp_lg_u32 s18, s0
	s_cbranch_scc1 .LBB70_253
.LBB70_254:
	s_wait_dscnt 0x0
	v_cmp_eq_f32_e32 vcc_lo, 0, v80
	v_cmp_eq_f32_e64 s0, 0, v81
	s_and_b32 s0, vcc_lo, s0
	s_delay_alu instid0(SALU_CYCLE_1) | instskip(NEXT) | instid1(SALU_CYCLE_1)
	s_and_saveexec_b32 s1, s0
	s_xor_b32 s0, exec_lo, s1
; %bb.255:
	v_cmp_ne_u32_e32 vcc_lo, 0, v84
	v_cndmask_b32_e32 v84, 13, v84, vcc_lo
; %bb.256:
	s_and_not1_saveexec_b32 s0, s0
	s_cbranch_execz .LBB70_262
; %bb.257:
	v_cmp_ngt_f32_e64 s1, |v80|, |v81|
	s_and_saveexec_b32 s12, s1
	s_delay_alu instid0(SALU_CYCLE_1)
	s_xor_b32 s1, exec_lo, s12
	s_cbranch_execz .LBB70_259
; %bb.258:
	v_div_scale_f32 v79, null, v81, v81, v80
	v_div_scale_f32 v89, vcc_lo, v80, v81, v80
	s_delay_alu instid0(VALU_DEP_2) | instskip(SKIP_1) | instid1(TRANS32_DEP_1)
	v_rcp_f32_e32 v87, v79
	v_nop
	v_fma_f32 v88, -v79, v87, 1.0
	s_delay_alu instid0(VALU_DEP_1) | instskip(NEXT) | instid1(VALU_DEP_1)
	v_fmac_f32_e32 v87, v88, v87
	v_mul_f32_e32 v88, v89, v87
	s_delay_alu instid0(VALU_DEP_1) | instskip(NEXT) | instid1(VALU_DEP_1)
	v_fma_f32 v90, -v79, v88, v89
	v_fmac_f32_e32 v88, v90, v87
	s_delay_alu instid0(VALU_DEP_1) | instskip(NEXT) | instid1(VALU_DEP_1)
	v_fma_f32 v79, -v79, v88, v89
	v_div_fmas_f32 v79, v79, v87, v88
	s_delay_alu instid0(VALU_DEP_1) | instskip(NEXT) | instid1(VALU_DEP_1)
	v_div_fixup_f32 v79, v79, v81, v80
	v_fmac_f32_e32 v81, v80, v79
	s_delay_alu instid0(VALU_DEP_1) | instskip(SKIP_1) | instid1(VALU_DEP_2)
	v_div_scale_f32 v80, null, v81, v81, 1.0
	v_div_scale_f32 v89, vcc_lo, 1.0, v81, 1.0
	v_rcp_f32_e32 v87, v80
	v_nop
	s_delay_alu instid0(TRANS32_DEP_1) | instskip(NEXT) | instid1(VALU_DEP_1)
	v_fma_f32 v88, -v80, v87, 1.0
	v_fmac_f32_e32 v87, v88, v87
	s_delay_alu instid0(VALU_DEP_1) | instskip(NEXT) | instid1(VALU_DEP_1)
	v_mul_f32_e32 v88, v89, v87
	v_fma_f32 v90, -v80, v88, v89
	s_delay_alu instid0(VALU_DEP_1) | instskip(NEXT) | instid1(VALU_DEP_1)
	v_fmac_f32_e32 v88, v90, v87
	v_fma_f32 v80, -v80, v88, v89
	s_delay_alu instid0(VALU_DEP_1) | instskip(NEXT) | instid1(VALU_DEP_1)
	v_div_fmas_f32 v80, v80, v87, v88
	v_div_fixup_f32 v81, v80, v81, 1.0
	s_delay_alu instid0(VALU_DEP_1)
	v_mul_f32_e32 v80, v79, v81
	v_xor_b32_e32 v81, 0x80000000, v81
.LBB70_259:
	s_and_not1_saveexec_b32 s1, s1
	s_cbranch_execz .LBB70_261
; %bb.260:
	s_delay_alu instid0(VALU_DEP_1) | instskip(SKIP_1) | instid1(VALU_DEP_2)
	v_div_scale_f32 v79, null, v80, v80, v81
	v_div_scale_f32 v89, vcc_lo, v81, v80, v81
	v_rcp_f32_e32 v87, v79
	v_nop
	s_delay_alu instid0(TRANS32_DEP_1) | instskip(NEXT) | instid1(VALU_DEP_1)
	v_fma_f32 v88, -v79, v87, 1.0
	v_fmac_f32_e32 v87, v88, v87
	s_delay_alu instid0(VALU_DEP_1) | instskip(NEXT) | instid1(VALU_DEP_1)
	v_mul_f32_e32 v88, v89, v87
	v_fma_f32 v90, -v79, v88, v89
	s_delay_alu instid0(VALU_DEP_1) | instskip(NEXT) | instid1(VALU_DEP_1)
	v_fmac_f32_e32 v88, v90, v87
	v_fma_f32 v79, -v79, v88, v89
	s_delay_alu instid0(VALU_DEP_1) | instskip(NEXT) | instid1(VALU_DEP_1)
	v_div_fmas_f32 v79, v79, v87, v88
	v_div_fixup_f32 v79, v79, v80, v81
	s_delay_alu instid0(VALU_DEP_1) | instskip(NEXT) | instid1(VALU_DEP_1)
	v_fmac_f32_e32 v80, v81, v79
	v_div_scale_f32 v81, null, v80, v80, 1.0
	s_delay_alu instid0(VALU_DEP_1) | instskip(SKIP_1) | instid1(TRANS32_DEP_1)
	v_rcp_f32_e32 v87, v81
	v_nop
	v_fma_f32 v88, -v81, v87, 1.0
	s_delay_alu instid0(VALU_DEP_1) | instskip(SKIP_1) | instid1(VALU_DEP_1)
	v_fmac_f32_e32 v87, v88, v87
	v_div_scale_f32 v88, vcc_lo, 1.0, v80, 1.0
	v_mul_f32_e32 v89, v88, v87
	s_delay_alu instid0(VALU_DEP_1) | instskip(NEXT) | instid1(VALU_DEP_1)
	v_fma_f32 v90, -v81, v89, v88
	v_fmac_f32_e32 v89, v90, v87
	s_delay_alu instid0(VALU_DEP_1) | instskip(NEXT) | instid1(VALU_DEP_1)
	v_fma_f32 v81, -v81, v89, v88
	v_div_fmas_f32 v81, v81, v87, v89
	s_delay_alu instid0(VALU_DEP_1) | instskip(NEXT) | instid1(VALU_DEP_1)
	v_div_fixup_f32 v80, v81, v80, 1.0
	v_mul_f32_e64 v81, v79, -v80
.LBB70_261:
	s_or_b32 exec_lo, exec_lo, s1
.LBB70_262:
	s_delay_alu instid0(SALU_CYCLE_1) | instskip(NEXT) | instid1(SALU_CYCLE_1)
	s_or_b32 exec_lo, exec_lo, s0
	s_mov_b32 s0, exec_lo
	v_cmpx_ne_u32_e64 v86, v78
	s_xor_b32 s0, exec_lo, s0
	s_cbranch_execz .LBB70_268
; %bb.263:
	s_mov_b32 s1, exec_lo
	v_cmpx_eq_u32_e32 12, v86
	s_cbranch_execz .LBB70_267
; %bb.264:
	v_cmp_ne_u32_e32 vcc_lo, 12, v78
	s_xor_b32 s12, s16, -1
	s_delay_alu instid0(SALU_CYCLE_1) | instskip(NEXT) | instid1(SALU_CYCLE_1)
	s_and_b32 s13, s12, vcc_lo
	s_and_saveexec_b32 s12, s13
	s_cbranch_execz .LBB70_266
; %bb.265:
	v_ashrrev_i32_e32 v79, 31, v78
	s_delay_alu instid0(VALU_DEP_1)
	v_lshl_add_u64 v[86:87], v[78:79], 2, v[4:5]
	s_clause 0x1
	global_load_b32 v79, v[86:87], off
	global_load_b32 v85, v[4:5], off offset:48
	s_wait_loadcnt 0x1
	global_store_b32 v[4:5], v79, off offset:48
	s_wait_loadcnt 0x0
	global_store_b32 v[86:87], v85, off
.LBB70_266:
	s_wait_xcnt 0x0
	s_or_b32 exec_lo, exec_lo, s12
	v_dual_mov_b32 v86, v78 :: v_dual_mov_b32 v85, v78
.LBB70_267:
	s_or_b32 exec_lo, exec_lo, s1
.LBB70_268:
	s_and_not1_saveexec_b32 s0, s0
	s_cbranch_execz .LBB70_270
; %bb.269:
	v_mov_b32_e32 v86, 12
	ds_store_2addr_b64 v82, v[62:63], v[64:65] offset0:13 offset1:14
	ds_store_2addr_b64 v82, v[22:23], v[60:61] offset0:15 offset1:16
	;; [unrolled: 1-line block ×11, first 2 shown]
	ds_store_b64 v82, v[76:77] offset:280
.LBB70_270:
	s_or_b32 exec_lo, exec_lo, s0
	s_delay_alu instid0(SALU_CYCLE_1)
	s_mov_b32 s0, exec_lo
	s_wait_storecnt_dscnt 0x0
	s_barrier_signal -1
	s_barrier_wait -1
	v_cmpx_lt_i32_e32 12, v86
	s_cbranch_execz .LBB70_272
; %bb.271:
	v_pk_mul_f32 v[88:89], v[80:81], v[66:67] op_sel:[1,1] op_sel_hi:[0,1]
	s_delay_alu instid0(VALU_DEP_1)
	v_pk_fma_f32 v[78:79], v[80:81], v[66:67], v[88:89] op_sel_hi:[1,0,1] neg_lo:[0,0,1] neg_hi:[0,0,1]
	v_pk_fma_f32 v[80:81], v[80:81], v[66:67], v[88:89] op_sel_hi:[1,0,1]
	ds_load_2addr_b64 v[88:91], v82 offset0:13 offset1:14
	v_dual_mov_b32 v66, v78 :: v_dual_mov_b32 v67, v81
	s_wait_dscnt 0x0
	v_pk_mul_f32 v[92:93], v[88:89], v[80:81] op_sel:[0,1]
	s_delay_alu instid0(VALU_DEP_1) | instskip(SKIP_1) | instid1(VALU_DEP_1)
	v_pk_fma_f32 v[94:95], v[88:89], v[78:79], v[92:93] op_sel:[0,0,1] op_sel_hi:[1,1,0] neg_lo:[0,0,1] neg_hi:[0,0,1]
	v_pk_fma_f32 v[88:89], v[88:89], v[78:79], v[92:93] op_sel:[0,0,1] op_sel_hi:[1,0,0]
	v_mov_b32_e32 v95, v89
	v_pk_mul_f32 v[88:89], v[90:91], v[80:81] op_sel:[0,1]
	s_delay_alu instid0(VALU_DEP_1) | instskip(SKIP_1) | instid1(VALU_DEP_1)
	v_pk_fma_f32 v[92:93], v[90:91], v[78:79], v[88:89] op_sel:[0,0,1] op_sel_hi:[1,1,0] neg_lo:[0,0,1] neg_hi:[0,0,1]
	v_pk_fma_f32 v[88:89], v[90:91], v[78:79], v[88:89] op_sel:[0,0,1] op_sel_hi:[1,0,0]
	v_mov_b32_e32 v93, v89
	ds_load_2addr_b64 v[88:91], v82 offset0:15 offset1:16
	v_pk_add_f32 v[62:63], v[62:63], v[94:95] neg_lo:[0,1] neg_hi:[0,1]
	v_pk_add_f32 v[64:65], v[64:65], v[92:93] neg_lo:[0,1] neg_hi:[0,1]
	s_wait_dscnt 0x0
	v_pk_mul_f32 v[92:93], v[88:89], v[80:81] op_sel:[0,1]
	s_delay_alu instid0(VALU_DEP_1) | instskip(SKIP_2) | instid1(VALU_DEP_2)
	v_pk_fma_f32 v[94:95], v[88:89], v[78:79], v[92:93] op_sel:[0,0,1] op_sel_hi:[1,1,0] neg_lo:[0,0,1] neg_hi:[0,0,1]
	v_pk_fma_f32 v[88:89], v[88:89], v[78:79], v[92:93] op_sel:[0,0,1] op_sel_hi:[1,0,0]
	v_dual_mul_f32 v92, v91, v81 :: v_dual_mov_b32 v88, v91
	v_dual_mov_b32 v95, v89 :: v_dual_mov_b32 v89, v90
	s_delay_alu instid0(VALU_DEP_2) | instskip(SKIP_1) | instid1(VALU_DEP_3)
	v_pk_fma_f32 v[92:93], v[90:91], v[66:67], v[92:93] op_sel_hi:[1,1,0] neg_lo:[0,0,1] neg_hi:[0,0,1]
	v_mul_f32_e32 v90, v91, v78
	v_pk_add_f32 v[22:23], v[22:23], v[94:95] neg_lo:[0,1] neg_hi:[0,1]
	s_delay_alu instid0(VALU_DEP_2) | instskip(NEXT) | instid1(VALU_DEP_1)
	v_pk_fma_f32 v[88:89], v[88:89], v[66:67], v[90:91] op_sel_hi:[1,1,0]
	v_mov_b32_e32 v93, v89
	ds_load_2addr_b64 v[88:91], v82 offset0:17 offset1:18
	v_pk_add_f32 v[60:61], v[60:61], v[92:93] neg_lo:[0,1] neg_hi:[0,1]
	s_wait_dscnt 0x0
	v_pk_mul_f32 v[92:93], v[88:89], v[80:81] op_sel:[0,1]
	s_delay_alu instid0(VALU_DEP_1) | instskip(SKIP_1) | instid1(VALU_DEP_1)
	v_pk_fma_f32 v[94:95], v[88:89], v[78:79], v[92:93] op_sel:[0,0,1] op_sel_hi:[1,1,0] neg_lo:[0,0,1] neg_hi:[0,0,1]
	v_pk_fma_f32 v[88:89], v[88:89], v[78:79], v[92:93] op_sel:[0,0,1] op_sel_hi:[1,0,0]
	v_mov_b32_e32 v95, v89
	v_pk_mul_f32 v[88:89], v[90:91], v[80:81] op_sel:[0,1]
	s_delay_alu instid0(VALU_DEP_1) | instskip(SKIP_1) | instid1(VALU_DEP_1)
	v_pk_fma_f32 v[92:93], v[90:91], v[78:79], v[88:89] op_sel:[0,0,1] op_sel_hi:[1,1,0] neg_lo:[0,0,1] neg_hi:[0,0,1]
	v_pk_fma_f32 v[88:89], v[90:91], v[78:79], v[88:89] op_sel:[0,0,1] op_sel_hi:[1,0,0]
	v_mov_b32_e32 v93, v89
	ds_load_2addr_b64 v[88:91], v82 offset0:19 offset1:20
	v_pk_add_f32 v[56:57], v[56:57], v[94:95] neg_lo:[0,1] neg_hi:[0,1]
	v_pk_add_f32 v[58:59], v[58:59], v[92:93] neg_lo:[0,1] neg_hi:[0,1]
	s_wait_dscnt 0x0
	v_pk_mul_f32 v[92:93], v[88:89], v[80:81] op_sel:[0,1]
	s_delay_alu instid0(VALU_DEP_1) | instskip(SKIP_1) | instid1(VALU_DEP_1)
	v_pk_fma_f32 v[94:95], v[88:89], v[78:79], v[92:93] op_sel:[0,0,1] op_sel_hi:[1,1,0] neg_lo:[0,0,1] neg_hi:[0,0,1]
	v_pk_fma_f32 v[88:89], v[88:89], v[78:79], v[92:93] op_sel:[0,0,1] op_sel_hi:[1,0,0]
	v_mov_b32_e32 v95, v89
	v_pk_mul_f32 v[88:89], v[90:91], v[80:81] op_sel:[0,1]
	s_delay_alu instid0(VALU_DEP_1) | instskip(SKIP_1) | instid1(VALU_DEP_1)
	v_pk_fma_f32 v[92:93], v[90:91], v[78:79], v[88:89] op_sel:[0,0,1] op_sel_hi:[1,1,0] neg_lo:[0,0,1] neg_hi:[0,0,1]
	v_pk_fma_f32 v[88:89], v[90:91], v[78:79], v[88:89] op_sel:[0,0,1] op_sel_hi:[1,0,0]
	v_mov_b32_e32 v93, v89
	ds_load_2addr_b64 v[88:91], v82 offset0:21 offset1:22
	v_pk_add_f32 v[16:17], v[16:17], v[94:95] neg_lo:[0,1] neg_hi:[0,1]
	v_pk_add_f32 v[54:55], v[54:55], v[92:93] neg_lo:[0,1] neg_hi:[0,1]
	s_wait_dscnt 0x0
	v_dual_mul_f32 v92, v89, v81 :: v_dual_mul_f32 v94, v89, v78
	s_delay_alu instid0(VALU_DEP_1) | instskip(NEXT) | instid1(VALU_DEP_2)
	v_pk_fma_f32 v[92:93], v[88:89], v[66:67], v[92:93] op_sel_hi:[1,1,0] neg_lo:[0,0,1] neg_hi:[0,0,1]
	v_pk_fma_f32 v[88:89], v[88:89], v[66:67], v[94:95] op_sel:[1,0,0] op_sel_hi:[0,1,0]
	s_delay_alu instid0(VALU_DEP_1) | instskip(SKIP_1) | instid1(VALU_DEP_2)
	v_mov_b32_e32 v93, v89
	v_pk_mul_f32 v[88:89], v[90:91], v[80:81] op_sel:[0,1]
	v_pk_add_f32 v[50:51], v[50:51], v[92:93] neg_lo:[0,1] neg_hi:[0,1]
	s_delay_alu instid0(VALU_DEP_2) | instskip(SKIP_1) | instid1(VALU_DEP_1)
	v_pk_fma_f32 v[92:93], v[90:91], v[78:79], v[88:89] op_sel:[0,0,1] op_sel_hi:[1,1,0] neg_lo:[0,0,1] neg_hi:[0,0,1]
	v_pk_fma_f32 v[88:89], v[90:91], v[78:79], v[88:89] op_sel:[0,0,1] op_sel_hi:[1,0,0]
	v_mov_b32_e32 v93, v89
	ds_load_2addr_b64 v[88:91], v82 offset0:23 offset1:24
	v_pk_add_f32 v[52:53], v[52:53], v[92:93] neg_lo:[0,1] neg_hi:[0,1]
	s_wait_dscnt 0x0
	v_pk_mul_f32 v[92:93], v[88:89], v[80:81] op_sel:[0,1]
	s_delay_alu instid0(VALU_DEP_1) | instskip(SKIP_1) | instid1(VALU_DEP_1)
	v_pk_fma_f32 v[94:95], v[88:89], v[78:79], v[92:93] op_sel:[0,0,1] op_sel_hi:[1,1,0] neg_lo:[0,0,1] neg_hi:[0,0,1]
	v_pk_fma_f32 v[88:89], v[88:89], v[78:79], v[92:93] op_sel:[0,0,1] op_sel_hi:[1,0,0]
	v_mov_b32_e32 v95, v89
	v_pk_mul_f32 v[88:89], v[90:91], v[80:81] op_sel:[0,1]
	s_delay_alu instid0(VALU_DEP_2) | instskip(NEXT) | instid1(VALU_DEP_2)
	v_pk_add_f32 v[14:15], v[14:15], v[94:95] neg_lo:[0,1] neg_hi:[0,1]
	v_pk_fma_f32 v[92:93], v[90:91], v[78:79], v[88:89] op_sel:[0,0,1] op_sel_hi:[1,1,0] neg_lo:[0,0,1] neg_hi:[0,0,1]
	v_pk_fma_f32 v[88:89], v[90:91], v[78:79], v[88:89] op_sel:[0,0,1] op_sel_hi:[1,0,0]
	s_delay_alu instid0(VALU_DEP_1) | instskip(SKIP_4) | instid1(VALU_DEP_1)
	v_mov_b32_e32 v93, v89
	ds_load_2addr_b64 v[88:91], v82 offset0:25 offset1:26
	v_pk_add_f32 v[38:39], v[38:39], v[92:93] neg_lo:[0,1] neg_hi:[0,1]
	s_wait_dscnt 0x0
	v_pk_mul_f32 v[92:93], v[88:89], v[80:81] op_sel:[0,1]
	v_pk_fma_f32 v[94:95], v[88:89], v[78:79], v[92:93] op_sel:[0,0,1] op_sel_hi:[1,1,0] neg_lo:[0,0,1] neg_hi:[0,0,1]
	v_pk_fma_f32 v[88:89], v[88:89], v[78:79], v[92:93] op_sel:[0,0,1] op_sel_hi:[1,0,0]
	v_dual_mul_f32 v92, v91, v81 :: v_dual_mov_b32 v88, v91
	s_delay_alu instid0(VALU_DEP_2) | instskip(NEXT) | instid1(VALU_DEP_2)
	v_dual_mov_b32 v95, v89 :: v_dual_mov_b32 v89, v90
	v_pk_fma_f32 v[92:93], v[90:91], v[66:67], v[92:93] op_sel_hi:[1,1,0] neg_lo:[0,0,1] neg_hi:[0,0,1]
	v_mul_f32_e32 v90, v91, v78
	s_delay_alu instid0(VALU_DEP_3) | instskip(NEXT) | instid1(VALU_DEP_2)
	v_pk_add_f32 v[32:33], v[32:33], v[94:95] neg_lo:[0,1] neg_hi:[0,1]
	v_pk_fma_f32 v[88:89], v[88:89], v[66:67], v[90:91] op_sel_hi:[1,1,0]
	s_delay_alu instid0(VALU_DEP_1) | instskip(SKIP_4) | instid1(VALU_DEP_1)
	v_mov_b32_e32 v93, v89
	ds_load_2addr_b64 v[88:91], v82 offset0:27 offset1:28
	v_pk_add_f32 v[36:37], v[36:37], v[92:93] neg_lo:[0,1] neg_hi:[0,1]
	s_wait_dscnt 0x0
	v_pk_mul_f32 v[92:93], v[88:89], v[80:81] op_sel:[0,1]
	v_pk_fma_f32 v[94:95], v[88:89], v[78:79], v[92:93] op_sel:[0,0,1] op_sel_hi:[1,1,0] neg_lo:[0,0,1] neg_hi:[0,0,1]
	v_pk_fma_f32 v[88:89], v[88:89], v[78:79], v[92:93] op_sel:[0,0,1] op_sel_hi:[1,0,0]
	s_delay_alu instid0(VALU_DEP_1) | instskip(SKIP_1) | instid1(VALU_DEP_1)
	v_mov_b32_e32 v95, v89
	v_pk_mul_f32 v[88:89], v[90:91], v[80:81] op_sel:[0,1]
	v_pk_fma_f32 v[92:93], v[90:91], v[78:79], v[88:89] op_sel:[0,0,1] op_sel_hi:[1,1,0] neg_lo:[0,0,1] neg_hi:[0,0,1]
	v_pk_fma_f32 v[88:89], v[90:91], v[78:79], v[88:89] op_sel:[0,0,1] op_sel_hi:[1,0,0]
	s_delay_alu instid0(VALU_DEP_1)
	v_mov_b32_e32 v93, v89
	ds_load_2addr_b64 v[88:91], v82 offset0:29 offset1:30
	v_pk_add_f32 v[6:7], v[6:7], v[94:95] neg_lo:[0,1] neg_hi:[0,1]
	v_pk_add_f32 v[30:31], v[30:31], v[92:93] neg_lo:[0,1] neg_hi:[0,1]
	s_wait_dscnt 0x0
	v_pk_mul_f32 v[92:93], v[88:89], v[80:81] op_sel:[0,1]
	s_delay_alu instid0(VALU_DEP_1) | instskip(SKIP_1) | instid1(VALU_DEP_1)
	v_pk_fma_f32 v[94:95], v[88:89], v[78:79], v[92:93] op_sel:[0,0,1] op_sel_hi:[1,1,0] neg_lo:[0,0,1] neg_hi:[0,0,1]
	v_pk_fma_f32 v[88:89], v[88:89], v[78:79], v[92:93] op_sel:[0,0,1] op_sel_hi:[1,0,0]
	v_mov_b32_e32 v95, v89
	v_pk_mul_f32 v[88:89], v[90:91], v[80:81] op_sel:[0,1]
	s_delay_alu instid0(VALU_DEP_1) | instskip(SKIP_1) | instid1(VALU_DEP_1)
	v_pk_fma_f32 v[92:93], v[90:91], v[78:79], v[88:89] op_sel:[0,0,1] op_sel_hi:[1,1,0] neg_lo:[0,0,1] neg_hi:[0,0,1]
	v_pk_fma_f32 v[88:89], v[90:91], v[78:79], v[88:89] op_sel:[0,0,1] op_sel_hi:[1,0,0]
	v_mov_b32_e32 v93, v89
	ds_load_2addr_b64 v[88:91], v82 offset0:31 offset1:32
	v_pk_add_f32 v[26:27], v[26:27], v[94:95] neg_lo:[0,1] neg_hi:[0,1]
	v_pk_add_f32 v[28:29], v[28:29], v[92:93] neg_lo:[0,1] neg_hi:[0,1]
	s_wait_dscnt 0x0
	v_dual_mul_f32 v92, v89, v81 :: v_dual_mul_f32 v94, v89, v78
	s_delay_alu instid0(VALU_DEP_1) | instskip(NEXT) | instid1(VALU_DEP_2)
	v_pk_fma_f32 v[92:93], v[88:89], v[66:67], v[92:93] op_sel_hi:[1,1,0] neg_lo:[0,0,1] neg_hi:[0,0,1]
	v_pk_fma_f32 v[88:89], v[88:89], v[66:67], v[94:95] op_sel:[1,0,0] op_sel_hi:[0,1,0]
	s_delay_alu instid0(VALU_DEP_1) | instskip(SKIP_1) | instid1(VALU_DEP_2)
	v_mov_b32_e32 v93, v89
	v_pk_mul_f32 v[88:89], v[90:91], v[80:81] op_sel:[0,1]
	v_pk_add_f32 v[10:11], v[10:11], v[92:93] neg_lo:[0,1] neg_hi:[0,1]
	s_delay_alu instid0(VALU_DEP_2) | instskip(SKIP_1) | instid1(VALU_DEP_1)
	v_pk_fma_f32 v[92:93], v[90:91], v[78:79], v[88:89] op_sel:[0,0,1] op_sel_hi:[1,1,0] neg_lo:[0,0,1] neg_hi:[0,0,1]
	v_pk_fma_f32 v[88:89], v[90:91], v[78:79], v[88:89] op_sel:[0,0,1] op_sel_hi:[1,0,0]
	v_mov_b32_e32 v93, v89
	ds_load_2addr_b64 v[88:91], v82 offset0:33 offset1:34
	v_pk_add_f32 v[24:25], v[24:25], v[92:93] neg_lo:[0,1] neg_hi:[0,1]
	s_wait_dscnt 0x0
	v_pk_mul_f32 v[92:93], v[88:89], v[80:81] op_sel:[0,1]
	s_delay_alu instid0(VALU_DEP_1) | instskip(SKIP_1) | instid1(VALU_DEP_1)
	v_pk_fma_f32 v[94:95], v[88:89], v[78:79], v[92:93] op_sel:[0,0,1] op_sel_hi:[1,1,0] neg_lo:[0,0,1] neg_hi:[0,0,1]
	v_pk_fma_f32 v[88:89], v[88:89], v[78:79], v[92:93] op_sel:[0,0,1] op_sel_hi:[1,0,0]
	v_mov_b32_e32 v95, v89
	v_pk_mul_f32 v[88:89], v[90:91], v[80:81] op_sel:[0,1]
	s_delay_alu instid0(VALU_DEP_2) | instskip(NEXT) | instid1(VALU_DEP_2)
	v_pk_add_f32 v[20:21], v[20:21], v[94:95] neg_lo:[0,1] neg_hi:[0,1]
	v_pk_fma_f32 v[92:93], v[90:91], v[78:79], v[88:89] op_sel:[0,0,1] op_sel_hi:[1,1,0] neg_lo:[0,0,1] neg_hi:[0,0,1]
	v_pk_fma_f32 v[88:89], v[90:91], v[78:79], v[88:89] op_sel:[0,0,1] op_sel_hi:[1,0,0]
	s_delay_alu instid0(VALU_DEP_1) | instskip(SKIP_4) | instid1(VALU_DEP_1)
	v_mov_b32_e32 v93, v89
	ds_load_b64 v[88:89], v82 offset:280
	v_pk_add_f32 v[18:19], v[18:19], v[92:93] neg_lo:[0,1] neg_hi:[0,1]
	s_wait_dscnt 0x0
	v_pk_mul_f32 v[80:81], v[88:89], v[80:81] op_sel:[0,1]
	v_pk_fma_f32 v[90:91], v[88:89], v[78:79], v[80:81] op_sel:[0,0,1] op_sel_hi:[1,1,0] neg_lo:[0,0,1] neg_hi:[0,0,1]
	v_pk_fma_f32 v[78:79], v[88:89], v[78:79], v[80:81] op_sel:[0,0,1] op_sel_hi:[1,0,0]
	s_delay_alu instid0(VALU_DEP_1) | instskip(NEXT) | instid1(VALU_DEP_1)
	v_mov_b32_e32 v91, v79
	v_pk_add_f32 v[76:77], v[76:77], v[90:91] neg_lo:[0,1] neg_hi:[0,1]
.LBB70_272:
	s_or_b32 exec_lo, exec_lo, s0
	v_lshl_add_u32 v78, v86, 3, v82
	s_barrier_signal -1
	s_barrier_wait -1
	ds_store_b64 v78, v[62:63]
	s_wait_dscnt 0x0
	s_barrier_signal -1
	s_barrier_wait -1
	ds_load_b64 v[80:81], v82 offset:104
	v_mov_b32_e32 v78, 13
	s_cmp_lt_i32 s18, 15
	s_cbranch_scc1 .LBB70_275
; %bb.273:
	v_add3_u32 v79, v83, 0, 0x70
	v_mov_b32_e32 v78, 13
	s_mov_b32 s0, 14
.LBB70_274:                             ; =>This Inner Loop Header: Depth=1
	ds_load_b64 v[88:89], v79
	s_wait_dscnt 0x1
	v_cmp_gt_f32_e32 vcc_lo, 0, v80
	v_cndmask_b32_e64 v90, v80, -v80, vcc_lo
	v_cmp_gt_f32_e32 vcc_lo, 0, v81
	v_cndmask_b32_e64 v92, v81, -v81, vcc_lo
	s_wait_dscnt 0x0
	v_cmp_gt_f32_e32 vcc_lo, 0, v88
	v_cndmask_b32_e64 v91, v88, -v88, vcc_lo
	v_cmp_gt_f32_e32 vcc_lo, 0, v89
	v_cndmask_b32_e64 v93, v89, -v89, vcc_lo
	s_delay_alu instid0(VALU_DEP_1) | instskip(NEXT) | instid1(VALU_DEP_1)
	v_pk_add_f32 v[90:91], v[90:91], v[92:93]
	v_cmp_lt_f32_e32 vcc_lo, v90, v91
	v_dual_add_nc_u32 v79, 8, v79 :: v_dual_cndmask_b32 v81, v81, v89, vcc_lo
	v_cndmask_b32_e32 v80, v80, v88, vcc_lo
	v_cndmask_b32_e64 v78, v78, s0, vcc_lo
	s_add_co_i32 s0, s0, 1
	s_delay_alu instid0(SALU_CYCLE_1)
	s_cmp_lg_u32 s18, s0
	s_cbranch_scc1 .LBB70_274
.LBB70_275:
	s_wait_dscnt 0x0
	v_cmp_eq_f32_e32 vcc_lo, 0, v80
	v_cmp_eq_f32_e64 s0, 0, v81
	s_and_b32 s0, vcc_lo, s0
	s_delay_alu instid0(SALU_CYCLE_1) | instskip(NEXT) | instid1(SALU_CYCLE_1)
	s_and_saveexec_b32 s1, s0
	s_xor_b32 s0, exec_lo, s1
; %bb.276:
	v_cmp_ne_u32_e32 vcc_lo, 0, v84
	v_cndmask_b32_e32 v84, 14, v84, vcc_lo
; %bb.277:
	s_and_not1_saveexec_b32 s0, s0
	s_cbranch_execz .LBB70_283
; %bb.278:
	v_cmp_ngt_f32_e64 s1, |v80|, |v81|
	s_and_saveexec_b32 s12, s1
	s_delay_alu instid0(SALU_CYCLE_1)
	s_xor_b32 s1, exec_lo, s12
	s_cbranch_execz .LBB70_280
; %bb.279:
	v_div_scale_f32 v79, null, v81, v81, v80
	v_div_scale_f32 v89, vcc_lo, v80, v81, v80
	s_delay_alu instid0(VALU_DEP_2) | instskip(SKIP_1) | instid1(TRANS32_DEP_1)
	v_rcp_f32_e32 v87, v79
	v_nop
	v_fma_f32 v88, -v79, v87, 1.0
	s_delay_alu instid0(VALU_DEP_1) | instskip(NEXT) | instid1(VALU_DEP_1)
	v_fmac_f32_e32 v87, v88, v87
	v_mul_f32_e32 v88, v89, v87
	s_delay_alu instid0(VALU_DEP_1) | instskip(NEXT) | instid1(VALU_DEP_1)
	v_fma_f32 v90, -v79, v88, v89
	v_fmac_f32_e32 v88, v90, v87
	s_delay_alu instid0(VALU_DEP_1) | instskip(NEXT) | instid1(VALU_DEP_1)
	v_fma_f32 v79, -v79, v88, v89
	v_div_fmas_f32 v79, v79, v87, v88
	s_delay_alu instid0(VALU_DEP_1) | instskip(NEXT) | instid1(VALU_DEP_1)
	v_div_fixup_f32 v79, v79, v81, v80
	v_fmac_f32_e32 v81, v80, v79
	s_delay_alu instid0(VALU_DEP_1) | instskip(SKIP_1) | instid1(VALU_DEP_2)
	v_div_scale_f32 v80, null, v81, v81, 1.0
	v_div_scale_f32 v89, vcc_lo, 1.0, v81, 1.0
	v_rcp_f32_e32 v87, v80
	v_nop
	s_delay_alu instid0(TRANS32_DEP_1) | instskip(NEXT) | instid1(VALU_DEP_1)
	v_fma_f32 v88, -v80, v87, 1.0
	v_fmac_f32_e32 v87, v88, v87
	s_delay_alu instid0(VALU_DEP_1) | instskip(NEXT) | instid1(VALU_DEP_1)
	v_mul_f32_e32 v88, v89, v87
	v_fma_f32 v90, -v80, v88, v89
	s_delay_alu instid0(VALU_DEP_1) | instskip(NEXT) | instid1(VALU_DEP_1)
	v_fmac_f32_e32 v88, v90, v87
	v_fma_f32 v80, -v80, v88, v89
	s_delay_alu instid0(VALU_DEP_1) | instskip(NEXT) | instid1(VALU_DEP_1)
	v_div_fmas_f32 v80, v80, v87, v88
	v_div_fixup_f32 v81, v80, v81, 1.0
	s_delay_alu instid0(VALU_DEP_1)
	v_mul_f32_e32 v80, v79, v81
	v_xor_b32_e32 v81, 0x80000000, v81
.LBB70_280:
	s_and_not1_saveexec_b32 s1, s1
	s_cbranch_execz .LBB70_282
; %bb.281:
	s_delay_alu instid0(VALU_DEP_1) | instskip(SKIP_1) | instid1(VALU_DEP_2)
	v_div_scale_f32 v79, null, v80, v80, v81
	v_div_scale_f32 v89, vcc_lo, v81, v80, v81
	v_rcp_f32_e32 v87, v79
	v_nop
	s_delay_alu instid0(TRANS32_DEP_1) | instskip(NEXT) | instid1(VALU_DEP_1)
	v_fma_f32 v88, -v79, v87, 1.0
	v_fmac_f32_e32 v87, v88, v87
	s_delay_alu instid0(VALU_DEP_1) | instskip(NEXT) | instid1(VALU_DEP_1)
	v_mul_f32_e32 v88, v89, v87
	v_fma_f32 v90, -v79, v88, v89
	s_delay_alu instid0(VALU_DEP_1) | instskip(NEXT) | instid1(VALU_DEP_1)
	v_fmac_f32_e32 v88, v90, v87
	v_fma_f32 v79, -v79, v88, v89
	s_delay_alu instid0(VALU_DEP_1) | instskip(NEXT) | instid1(VALU_DEP_1)
	v_div_fmas_f32 v79, v79, v87, v88
	v_div_fixup_f32 v79, v79, v80, v81
	s_delay_alu instid0(VALU_DEP_1) | instskip(NEXT) | instid1(VALU_DEP_1)
	v_fmac_f32_e32 v80, v81, v79
	v_div_scale_f32 v81, null, v80, v80, 1.0
	s_delay_alu instid0(VALU_DEP_1) | instskip(SKIP_1) | instid1(TRANS32_DEP_1)
	v_rcp_f32_e32 v87, v81
	v_nop
	v_fma_f32 v88, -v81, v87, 1.0
	s_delay_alu instid0(VALU_DEP_1) | instskip(SKIP_1) | instid1(VALU_DEP_1)
	v_fmac_f32_e32 v87, v88, v87
	v_div_scale_f32 v88, vcc_lo, 1.0, v80, 1.0
	v_mul_f32_e32 v89, v88, v87
	s_delay_alu instid0(VALU_DEP_1) | instskip(NEXT) | instid1(VALU_DEP_1)
	v_fma_f32 v90, -v81, v89, v88
	v_fmac_f32_e32 v89, v90, v87
	s_delay_alu instid0(VALU_DEP_1) | instskip(NEXT) | instid1(VALU_DEP_1)
	v_fma_f32 v81, -v81, v89, v88
	v_div_fmas_f32 v81, v81, v87, v89
	s_delay_alu instid0(VALU_DEP_1) | instskip(NEXT) | instid1(VALU_DEP_1)
	v_div_fixup_f32 v80, v81, v80, 1.0
	v_mul_f32_e64 v81, v79, -v80
.LBB70_282:
	s_or_b32 exec_lo, exec_lo, s1
.LBB70_283:
	s_delay_alu instid0(SALU_CYCLE_1) | instskip(NEXT) | instid1(SALU_CYCLE_1)
	s_or_b32 exec_lo, exec_lo, s0
	s_mov_b32 s0, exec_lo
	v_cmpx_ne_u32_e64 v86, v78
	s_xor_b32 s0, exec_lo, s0
	s_cbranch_execz .LBB70_289
; %bb.284:
	s_mov_b32 s1, exec_lo
	v_cmpx_eq_u32_e32 13, v86
	s_cbranch_execz .LBB70_288
; %bb.285:
	v_cmp_ne_u32_e32 vcc_lo, 13, v78
	s_xor_b32 s12, s16, -1
	s_delay_alu instid0(SALU_CYCLE_1) | instskip(NEXT) | instid1(SALU_CYCLE_1)
	s_and_b32 s13, s12, vcc_lo
	s_and_saveexec_b32 s12, s13
	s_cbranch_execz .LBB70_287
; %bb.286:
	v_ashrrev_i32_e32 v79, 31, v78
	s_delay_alu instid0(VALU_DEP_1)
	v_lshl_add_u64 v[86:87], v[78:79], 2, v[4:5]
	s_clause 0x1
	global_load_b32 v79, v[86:87], off
	global_load_b32 v85, v[4:5], off offset:52
	s_wait_loadcnt 0x1
	global_store_b32 v[4:5], v79, off offset:52
	s_wait_loadcnt 0x0
	global_store_b32 v[86:87], v85, off
.LBB70_287:
	s_wait_xcnt 0x0
	s_or_b32 exec_lo, exec_lo, s12
	v_dual_mov_b32 v86, v78 :: v_dual_mov_b32 v85, v78
.LBB70_288:
	s_or_b32 exec_lo, exec_lo, s1
.LBB70_289:
	s_and_not1_saveexec_b32 s0, s0
	s_cbranch_execz .LBB70_291
; %bb.290:
	v_dual_mov_b32 v78, v64 :: v_dual_mov_b32 v79, v65
	v_dual_mov_b32 v86, v22 :: v_dual_mov_b32 v87, v23
	;; [unrolled: 1-line block ×12, first 2 shown]
	ds_store_2addr_b64 v82, v[78:79], v[86:87] offset0:14 offset1:15
	ds_store_2addr_b64 v82, v[88:89], v[90:91] offset0:16 offset1:17
	;; [unrolled: 1-line block ×6, first 2 shown]
	v_dual_mov_b32 v78, v36 :: v_dual_mov_b32 v79, v37
	v_dual_mov_b32 v88, v6 :: v_dual_mov_b32 v89, v7
	;; [unrolled: 1-line block ×9, first 2 shown]
	v_mov_b32_e32 v103, v19
	ds_store_2addr_b64 v82, v[78:79], v[88:89] offset0:26 offset1:27
	ds_store_2addr_b64 v82, v[90:91], v[92:93] offset0:28 offset1:29
	;; [unrolled: 1-line block ×5, first 2 shown]
.LBB70_291:
	s_or_b32 exec_lo, exec_lo, s0
	s_delay_alu instid0(SALU_CYCLE_1)
	s_mov_b32 s0, exec_lo
	s_wait_storecnt_dscnt 0x0
	s_barrier_signal -1
	s_barrier_wait -1
	v_cmpx_lt_i32_e32 13, v86
	s_cbranch_execz .LBB70_293
; %bb.292:
	v_pk_mul_f32 v[88:89], v[80:81], v[62:63] op_sel:[1,1] op_sel_hi:[0,1]
	s_delay_alu instid0(VALU_DEP_1)
	v_pk_fma_f32 v[78:79], v[80:81], v[62:63], v[88:89] op_sel_hi:[1,0,1] neg_lo:[0,0,1] neg_hi:[0,0,1]
	v_pk_fma_f32 v[80:81], v[80:81], v[62:63], v[88:89] op_sel_hi:[1,0,1]
	ds_load_2addr_b64 v[88:91], v82 offset0:14 offset1:15
	v_dual_mov_b32 v62, v78 :: v_dual_mov_b32 v63, v81
	s_wait_dscnt 0x0
	v_pk_mul_f32 v[92:93], v[88:89], v[80:81] op_sel:[0,1]
	s_delay_alu instid0(VALU_DEP_1) | instskip(SKIP_1) | instid1(VALU_DEP_1)
	v_pk_fma_f32 v[94:95], v[88:89], v[78:79], v[92:93] op_sel:[0,0,1] op_sel_hi:[1,1,0] neg_lo:[0,0,1] neg_hi:[0,0,1]
	v_pk_fma_f32 v[88:89], v[88:89], v[78:79], v[92:93] op_sel:[0,0,1] op_sel_hi:[1,0,0]
	v_mov_b32_e32 v95, v89
	v_pk_mul_f32 v[88:89], v[90:91], v[80:81] op_sel:[0,1]
	s_delay_alu instid0(VALU_DEP_1) | instskip(SKIP_1) | instid1(VALU_DEP_1)
	v_pk_fma_f32 v[92:93], v[90:91], v[78:79], v[88:89] op_sel:[0,0,1] op_sel_hi:[1,1,0] neg_lo:[0,0,1] neg_hi:[0,0,1]
	v_pk_fma_f32 v[88:89], v[90:91], v[78:79], v[88:89] op_sel:[0,0,1] op_sel_hi:[1,0,0]
	v_mov_b32_e32 v93, v89
	ds_load_2addr_b64 v[88:91], v82 offset0:16 offset1:17
	v_pk_add_f32 v[64:65], v[64:65], v[94:95] neg_lo:[0,1] neg_hi:[0,1]
	v_pk_add_f32 v[22:23], v[22:23], v[92:93] neg_lo:[0,1] neg_hi:[0,1]
	s_wait_dscnt 0x0
	v_pk_mul_f32 v[92:93], v[88:89], v[80:81] op_sel:[0,1]
	s_delay_alu instid0(VALU_DEP_1) | instskip(SKIP_2) | instid1(VALU_DEP_2)
	v_pk_fma_f32 v[94:95], v[88:89], v[78:79], v[92:93] op_sel:[0,0,1] op_sel_hi:[1,1,0] neg_lo:[0,0,1] neg_hi:[0,0,1]
	v_pk_fma_f32 v[88:89], v[88:89], v[78:79], v[92:93] op_sel:[0,0,1] op_sel_hi:[1,0,0]
	v_dual_mul_f32 v92, v91, v81 :: v_dual_mov_b32 v88, v91
	v_dual_mov_b32 v95, v89 :: v_dual_mov_b32 v89, v90
	s_delay_alu instid0(VALU_DEP_2) | instskip(SKIP_1) | instid1(VALU_DEP_3)
	v_pk_fma_f32 v[92:93], v[90:91], v[62:63], v[92:93] op_sel_hi:[1,1,0] neg_lo:[0,0,1] neg_hi:[0,0,1]
	v_mul_f32_e32 v90, v91, v78
	v_pk_add_f32 v[60:61], v[60:61], v[94:95] neg_lo:[0,1] neg_hi:[0,1]
	s_delay_alu instid0(VALU_DEP_2) | instskip(NEXT) | instid1(VALU_DEP_1)
	v_pk_fma_f32 v[88:89], v[88:89], v[62:63], v[90:91] op_sel_hi:[1,1,0]
	v_mov_b32_e32 v93, v89
	ds_load_2addr_b64 v[88:91], v82 offset0:18 offset1:19
	v_pk_add_f32 v[56:57], v[56:57], v[92:93] neg_lo:[0,1] neg_hi:[0,1]
	s_wait_dscnt 0x0
	v_pk_mul_f32 v[92:93], v[88:89], v[80:81] op_sel:[0,1]
	s_delay_alu instid0(VALU_DEP_1) | instskip(SKIP_1) | instid1(VALU_DEP_1)
	v_pk_fma_f32 v[94:95], v[88:89], v[78:79], v[92:93] op_sel:[0,0,1] op_sel_hi:[1,1,0] neg_lo:[0,0,1] neg_hi:[0,0,1]
	v_pk_fma_f32 v[88:89], v[88:89], v[78:79], v[92:93] op_sel:[0,0,1] op_sel_hi:[1,0,0]
	v_mov_b32_e32 v95, v89
	v_pk_mul_f32 v[88:89], v[90:91], v[80:81] op_sel:[0,1]
	s_delay_alu instid0(VALU_DEP_1) | instskip(SKIP_1) | instid1(VALU_DEP_1)
	v_pk_fma_f32 v[92:93], v[90:91], v[78:79], v[88:89] op_sel:[0,0,1] op_sel_hi:[1,1,0] neg_lo:[0,0,1] neg_hi:[0,0,1]
	v_pk_fma_f32 v[88:89], v[90:91], v[78:79], v[88:89] op_sel:[0,0,1] op_sel_hi:[1,0,0]
	v_mov_b32_e32 v93, v89
	ds_load_2addr_b64 v[88:91], v82 offset0:20 offset1:21
	v_pk_add_f32 v[58:59], v[58:59], v[94:95] neg_lo:[0,1] neg_hi:[0,1]
	v_pk_add_f32 v[16:17], v[16:17], v[92:93] neg_lo:[0,1] neg_hi:[0,1]
	s_wait_dscnt 0x0
	v_pk_mul_f32 v[92:93], v[88:89], v[80:81] op_sel:[0,1]
	s_delay_alu instid0(VALU_DEP_1) | instskip(SKIP_1) | instid1(VALU_DEP_1)
	v_pk_fma_f32 v[94:95], v[88:89], v[78:79], v[92:93] op_sel:[0,0,1] op_sel_hi:[1,1,0] neg_lo:[0,0,1] neg_hi:[0,0,1]
	v_pk_fma_f32 v[88:89], v[88:89], v[78:79], v[92:93] op_sel:[0,0,1] op_sel_hi:[1,0,0]
	v_mov_b32_e32 v95, v89
	v_pk_mul_f32 v[88:89], v[90:91], v[80:81] op_sel:[0,1]
	s_delay_alu instid0(VALU_DEP_1) | instskip(SKIP_1) | instid1(VALU_DEP_1)
	v_pk_fma_f32 v[92:93], v[90:91], v[78:79], v[88:89] op_sel:[0,0,1] op_sel_hi:[1,1,0] neg_lo:[0,0,1] neg_hi:[0,0,1]
	v_pk_fma_f32 v[88:89], v[90:91], v[78:79], v[88:89] op_sel:[0,0,1] op_sel_hi:[1,0,0]
	v_mov_b32_e32 v93, v89
	ds_load_2addr_b64 v[88:91], v82 offset0:22 offset1:23
	v_pk_add_f32 v[54:55], v[54:55], v[94:95] neg_lo:[0,1] neg_hi:[0,1]
	v_pk_add_f32 v[50:51], v[50:51], v[92:93] neg_lo:[0,1] neg_hi:[0,1]
	s_wait_dscnt 0x0
	v_dual_mul_f32 v92, v89, v81 :: v_dual_mul_f32 v94, v89, v78
	s_delay_alu instid0(VALU_DEP_1) | instskip(NEXT) | instid1(VALU_DEP_2)
	v_pk_fma_f32 v[92:93], v[88:89], v[62:63], v[92:93] op_sel_hi:[1,1,0] neg_lo:[0,0,1] neg_hi:[0,0,1]
	v_pk_fma_f32 v[88:89], v[88:89], v[62:63], v[94:95] op_sel:[1,0,0] op_sel_hi:[0,1,0]
	s_delay_alu instid0(VALU_DEP_1) | instskip(SKIP_1) | instid1(VALU_DEP_2)
	v_mov_b32_e32 v93, v89
	v_pk_mul_f32 v[88:89], v[90:91], v[80:81] op_sel:[0,1]
	v_pk_add_f32 v[52:53], v[52:53], v[92:93] neg_lo:[0,1] neg_hi:[0,1]
	s_delay_alu instid0(VALU_DEP_2) | instskip(SKIP_1) | instid1(VALU_DEP_1)
	v_pk_fma_f32 v[92:93], v[90:91], v[78:79], v[88:89] op_sel:[0,0,1] op_sel_hi:[1,1,0] neg_lo:[0,0,1] neg_hi:[0,0,1]
	v_pk_fma_f32 v[88:89], v[90:91], v[78:79], v[88:89] op_sel:[0,0,1] op_sel_hi:[1,0,0]
	v_mov_b32_e32 v93, v89
	ds_load_2addr_b64 v[88:91], v82 offset0:24 offset1:25
	v_pk_add_f32 v[14:15], v[14:15], v[92:93] neg_lo:[0,1] neg_hi:[0,1]
	s_wait_dscnt 0x0
	v_pk_mul_f32 v[92:93], v[88:89], v[80:81] op_sel:[0,1]
	s_delay_alu instid0(VALU_DEP_1) | instskip(SKIP_1) | instid1(VALU_DEP_1)
	v_pk_fma_f32 v[94:95], v[88:89], v[78:79], v[92:93] op_sel:[0,0,1] op_sel_hi:[1,1,0] neg_lo:[0,0,1] neg_hi:[0,0,1]
	v_pk_fma_f32 v[88:89], v[88:89], v[78:79], v[92:93] op_sel:[0,0,1] op_sel_hi:[1,0,0]
	v_mov_b32_e32 v95, v89
	v_pk_mul_f32 v[88:89], v[90:91], v[80:81] op_sel:[0,1]
	s_delay_alu instid0(VALU_DEP_2) | instskip(NEXT) | instid1(VALU_DEP_2)
	v_pk_add_f32 v[38:39], v[38:39], v[94:95] neg_lo:[0,1] neg_hi:[0,1]
	v_pk_fma_f32 v[92:93], v[90:91], v[78:79], v[88:89] op_sel:[0,0,1] op_sel_hi:[1,1,0] neg_lo:[0,0,1] neg_hi:[0,0,1]
	v_pk_fma_f32 v[88:89], v[90:91], v[78:79], v[88:89] op_sel:[0,0,1] op_sel_hi:[1,0,0]
	s_delay_alu instid0(VALU_DEP_1) | instskip(SKIP_4) | instid1(VALU_DEP_1)
	v_mov_b32_e32 v93, v89
	ds_load_2addr_b64 v[88:91], v82 offset0:26 offset1:27
	v_pk_add_f32 v[32:33], v[32:33], v[92:93] neg_lo:[0,1] neg_hi:[0,1]
	s_wait_dscnt 0x0
	v_pk_mul_f32 v[92:93], v[88:89], v[80:81] op_sel:[0,1]
	v_pk_fma_f32 v[94:95], v[88:89], v[78:79], v[92:93] op_sel:[0,0,1] op_sel_hi:[1,1,0] neg_lo:[0,0,1] neg_hi:[0,0,1]
	v_pk_fma_f32 v[88:89], v[88:89], v[78:79], v[92:93] op_sel:[0,0,1] op_sel_hi:[1,0,0]
	v_dual_mul_f32 v92, v91, v81 :: v_dual_mov_b32 v88, v91
	s_delay_alu instid0(VALU_DEP_2) | instskip(NEXT) | instid1(VALU_DEP_2)
	v_dual_mov_b32 v95, v89 :: v_dual_mov_b32 v89, v90
	v_pk_fma_f32 v[92:93], v[90:91], v[62:63], v[92:93] op_sel_hi:[1,1,0] neg_lo:[0,0,1] neg_hi:[0,0,1]
	v_mul_f32_e32 v90, v91, v78
	s_delay_alu instid0(VALU_DEP_3) | instskip(NEXT) | instid1(VALU_DEP_2)
	v_pk_add_f32 v[36:37], v[36:37], v[94:95] neg_lo:[0,1] neg_hi:[0,1]
	v_pk_fma_f32 v[88:89], v[88:89], v[62:63], v[90:91] op_sel_hi:[1,1,0]
	s_delay_alu instid0(VALU_DEP_1) | instskip(SKIP_4) | instid1(VALU_DEP_1)
	v_mov_b32_e32 v93, v89
	ds_load_2addr_b64 v[88:91], v82 offset0:28 offset1:29
	v_pk_add_f32 v[6:7], v[6:7], v[92:93] neg_lo:[0,1] neg_hi:[0,1]
	s_wait_dscnt 0x0
	v_pk_mul_f32 v[92:93], v[88:89], v[80:81] op_sel:[0,1]
	v_pk_fma_f32 v[94:95], v[88:89], v[78:79], v[92:93] op_sel:[0,0,1] op_sel_hi:[1,1,0] neg_lo:[0,0,1] neg_hi:[0,0,1]
	v_pk_fma_f32 v[88:89], v[88:89], v[78:79], v[92:93] op_sel:[0,0,1] op_sel_hi:[1,0,0]
	s_delay_alu instid0(VALU_DEP_1) | instskip(SKIP_1) | instid1(VALU_DEP_1)
	v_mov_b32_e32 v95, v89
	v_pk_mul_f32 v[88:89], v[90:91], v[80:81] op_sel:[0,1]
	v_pk_fma_f32 v[92:93], v[90:91], v[78:79], v[88:89] op_sel:[0,0,1] op_sel_hi:[1,1,0] neg_lo:[0,0,1] neg_hi:[0,0,1]
	v_pk_fma_f32 v[88:89], v[90:91], v[78:79], v[88:89] op_sel:[0,0,1] op_sel_hi:[1,0,0]
	s_delay_alu instid0(VALU_DEP_1)
	v_mov_b32_e32 v93, v89
	ds_load_2addr_b64 v[88:91], v82 offset0:30 offset1:31
	v_pk_add_f32 v[30:31], v[30:31], v[94:95] neg_lo:[0,1] neg_hi:[0,1]
	v_pk_add_f32 v[26:27], v[26:27], v[92:93] neg_lo:[0,1] neg_hi:[0,1]
	s_wait_dscnt 0x0
	v_pk_mul_f32 v[92:93], v[88:89], v[80:81] op_sel:[0,1]
	s_delay_alu instid0(VALU_DEP_1) | instskip(SKIP_1) | instid1(VALU_DEP_1)
	v_pk_fma_f32 v[94:95], v[88:89], v[78:79], v[92:93] op_sel:[0,0,1] op_sel_hi:[1,1,0] neg_lo:[0,0,1] neg_hi:[0,0,1]
	v_pk_fma_f32 v[88:89], v[88:89], v[78:79], v[92:93] op_sel:[0,0,1] op_sel_hi:[1,0,0]
	v_mov_b32_e32 v95, v89
	v_pk_mul_f32 v[88:89], v[90:91], v[80:81] op_sel:[0,1]
	s_delay_alu instid0(VALU_DEP_1) | instskip(SKIP_1) | instid1(VALU_DEP_1)
	v_pk_fma_f32 v[92:93], v[90:91], v[78:79], v[88:89] op_sel:[0,0,1] op_sel_hi:[1,1,0] neg_lo:[0,0,1] neg_hi:[0,0,1]
	v_pk_fma_f32 v[88:89], v[90:91], v[78:79], v[88:89] op_sel:[0,0,1] op_sel_hi:[1,0,0]
	v_mov_b32_e32 v93, v89
	ds_load_2addr_b64 v[88:91], v82 offset0:32 offset1:33
	v_pk_add_f32 v[28:29], v[28:29], v[94:95] neg_lo:[0,1] neg_hi:[0,1]
	v_pk_add_f32 v[10:11], v[10:11], v[92:93] neg_lo:[0,1] neg_hi:[0,1]
	s_wait_dscnt 0x0
	v_dual_mul_f32 v92, v89, v81 :: v_dual_mul_f32 v94, v89, v78
	s_delay_alu instid0(VALU_DEP_1) | instskip(NEXT) | instid1(VALU_DEP_2)
	v_pk_fma_f32 v[92:93], v[88:89], v[62:63], v[92:93] op_sel_hi:[1,1,0] neg_lo:[0,0,1] neg_hi:[0,0,1]
	v_pk_fma_f32 v[88:89], v[88:89], v[62:63], v[94:95] op_sel:[1,0,0] op_sel_hi:[0,1,0]
	s_delay_alu instid0(VALU_DEP_1) | instskip(SKIP_1) | instid1(VALU_DEP_2)
	v_mov_b32_e32 v93, v89
	v_pk_mul_f32 v[88:89], v[90:91], v[80:81] op_sel:[0,1]
	v_pk_add_f32 v[24:25], v[24:25], v[92:93] neg_lo:[0,1] neg_hi:[0,1]
	s_delay_alu instid0(VALU_DEP_2) | instskip(SKIP_1) | instid1(VALU_DEP_1)
	v_pk_fma_f32 v[92:93], v[90:91], v[78:79], v[88:89] op_sel:[0,0,1] op_sel_hi:[1,1,0] neg_lo:[0,0,1] neg_hi:[0,0,1]
	v_pk_fma_f32 v[88:89], v[90:91], v[78:79], v[88:89] op_sel:[0,0,1] op_sel_hi:[1,0,0]
	v_mov_b32_e32 v93, v89
	ds_load_2addr_b64 v[88:91], v82 offset0:34 offset1:35
	v_pk_add_f32 v[20:21], v[20:21], v[92:93] neg_lo:[0,1] neg_hi:[0,1]
	s_wait_dscnt 0x0
	v_pk_mul_f32 v[92:93], v[88:89], v[80:81] op_sel:[0,1]
	v_pk_mul_f32 v[80:81], v[90:91], v[80:81] op_sel:[0,1]
	s_delay_alu instid0(VALU_DEP_2) | instskip(SKIP_1) | instid1(VALU_DEP_1)
	v_pk_fma_f32 v[94:95], v[88:89], v[78:79], v[92:93] op_sel:[0,0,1] op_sel_hi:[1,1,0] neg_lo:[0,0,1] neg_hi:[0,0,1]
	v_pk_fma_f32 v[88:89], v[88:89], v[78:79], v[92:93] op_sel:[0,0,1] op_sel_hi:[1,0,0]
	v_mov_b32_e32 v95, v89
	s_delay_alu instid0(VALU_DEP_4) | instskip(SKIP_1) | instid1(VALU_DEP_3)
	v_pk_fma_f32 v[88:89], v[90:91], v[78:79], v[80:81] op_sel:[0,0,1] op_sel_hi:[1,1,0] neg_lo:[0,0,1] neg_hi:[0,0,1]
	v_pk_fma_f32 v[78:79], v[90:91], v[78:79], v[80:81] op_sel:[0,0,1] op_sel_hi:[1,0,0]
	v_pk_add_f32 v[18:19], v[18:19], v[94:95] neg_lo:[0,1] neg_hi:[0,1]
	s_delay_alu instid0(VALU_DEP_2) | instskip(NEXT) | instid1(VALU_DEP_1)
	v_mov_b32_e32 v89, v79
	v_pk_add_f32 v[76:77], v[76:77], v[88:89] neg_lo:[0,1] neg_hi:[0,1]
.LBB70_293:
	s_or_b32 exec_lo, exec_lo, s0
	v_lshl_add_u32 v78, v86, 3, v82
	s_barrier_signal -1
	s_barrier_wait -1
	ds_store_b64 v78, v[64:65]
	s_wait_dscnt 0x0
	s_barrier_signal -1
	s_barrier_wait -1
	ds_load_b64 v[80:81], v82 offset:112
	v_mov_b32_e32 v78, 14
	s_cmp_lt_i32 s18, 16
	s_cbranch_scc1 .LBB70_296
; %bb.294:
	v_add3_u32 v79, v83, 0, 0x78
	v_mov_b32_e32 v78, 14
	s_mov_b32 s0, 15
.LBB70_295:                             ; =>This Inner Loop Header: Depth=1
	ds_load_b64 v[88:89], v79
	s_wait_dscnt 0x1
	v_cmp_gt_f32_e32 vcc_lo, 0, v80
	v_cndmask_b32_e64 v90, v80, -v80, vcc_lo
	v_cmp_gt_f32_e32 vcc_lo, 0, v81
	v_cndmask_b32_e64 v92, v81, -v81, vcc_lo
	s_wait_dscnt 0x0
	v_cmp_gt_f32_e32 vcc_lo, 0, v88
	v_cndmask_b32_e64 v91, v88, -v88, vcc_lo
	v_cmp_gt_f32_e32 vcc_lo, 0, v89
	v_cndmask_b32_e64 v93, v89, -v89, vcc_lo
	s_delay_alu instid0(VALU_DEP_1) | instskip(NEXT) | instid1(VALU_DEP_1)
	v_pk_add_f32 v[90:91], v[90:91], v[92:93]
	v_cmp_lt_f32_e32 vcc_lo, v90, v91
	v_dual_add_nc_u32 v79, 8, v79 :: v_dual_cndmask_b32 v81, v81, v89, vcc_lo
	v_cndmask_b32_e32 v80, v80, v88, vcc_lo
	v_cndmask_b32_e64 v78, v78, s0, vcc_lo
	s_add_co_i32 s0, s0, 1
	s_delay_alu instid0(SALU_CYCLE_1)
	s_cmp_lg_u32 s18, s0
	s_cbranch_scc1 .LBB70_295
.LBB70_296:
	s_wait_dscnt 0x0
	v_cmp_eq_f32_e32 vcc_lo, 0, v80
	v_cmp_eq_f32_e64 s0, 0, v81
	s_and_b32 s0, vcc_lo, s0
	s_delay_alu instid0(SALU_CYCLE_1) | instskip(NEXT) | instid1(SALU_CYCLE_1)
	s_and_saveexec_b32 s1, s0
	s_xor_b32 s0, exec_lo, s1
; %bb.297:
	v_cmp_ne_u32_e32 vcc_lo, 0, v84
	v_cndmask_b32_e32 v84, 15, v84, vcc_lo
; %bb.298:
	s_and_not1_saveexec_b32 s0, s0
	s_cbranch_execz .LBB70_304
; %bb.299:
	v_cmp_ngt_f32_e64 s1, |v80|, |v81|
	s_and_saveexec_b32 s12, s1
	s_delay_alu instid0(SALU_CYCLE_1)
	s_xor_b32 s1, exec_lo, s12
	s_cbranch_execz .LBB70_301
; %bb.300:
	v_div_scale_f32 v79, null, v81, v81, v80
	v_div_scale_f32 v89, vcc_lo, v80, v81, v80
	s_delay_alu instid0(VALU_DEP_2) | instskip(SKIP_1) | instid1(TRANS32_DEP_1)
	v_rcp_f32_e32 v87, v79
	v_nop
	v_fma_f32 v88, -v79, v87, 1.0
	s_delay_alu instid0(VALU_DEP_1) | instskip(NEXT) | instid1(VALU_DEP_1)
	v_fmac_f32_e32 v87, v88, v87
	v_mul_f32_e32 v88, v89, v87
	s_delay_alu instid0(VALU_DEP_1) | instskip(NEXT) | instid1(VALU_DEP_1)
	v_fma_f32 v90, -v79, v88, v89
	v_fmac_f32_e32 v88, v90, v87
	s_delay_alu instid0(VALU_DEP_1) | instskip(NEXT) | instid1(VALU_DEP_1)
	v_fma_f32 v79, -v79, v88, v89
	v_div_fmas_f32 v79, v79, v87, v88
	s_delay_alu instid0(VALU_DEP_1) | instskip(NEXT) | instid1(VALU_DEP_1)
	v_div_fixup_f32 v79, v79, v81, v80
	v_fmac_f32_e32 v81, v80, v79
	s_delay_alu instid0(VALU_DEP_1) | instskip(SKIP_1) | instid1(VALU_DEP_2)
	v_div_scale_f32 v80, null, v81, v81, 1.0
	v_div_scale_f32 v89, vcc_lo, 1.0, v81, 1.0
	v_rcp_f32_e32 v87, v80
	v_nop
	s_delay_alu instid0(TRANS32_DEP_1) | instskip(NEXT) | instid1(VALU_DEP_1)
	v_fma_f32 v88, -v80, v87, 1.0
	v_fmac_f32_e32 v87, v88, v87
	s_delay_alu instid0(VALU_DEP_1) | instskip(NEXT) | instid1(VALU_DEP_1)
	v_mul_f32_e32 v88, v89, v87
	v_fma_f32 v90, -v80, v88, v89
	s_delay_alu instid0(VALU_DEP_1) | instskip(NEXT) | instid1(VALU_DEP_1)
	v_fmac_f32_e32 v88, v90, v87
	v_fma_f32 v80, -v80, v88, v89
	s_delay_alu instid0(VALU_DEP_1) | instskip(NEXT) | instid1(VALU_DEP_1)
	v_div_fmas_f32 v80, v80, v87, v88
	v_div_fixup_f32 v81, v80, v81, 1.0
	s_delay_alu instid0(VALU_DEP_1)
	v_mul_f32_e32 v80, v79, v81
	v_xor_b32_e32 v81, 0x80000000, v81
.LBB70_301:
	s_and_not1_saveexec_b32 s1, s1
	s_cbranch_execz .LBB70_303
; %bb.302:
	s_delay_alu instid0(VALU_DEP_1) | instskip(SKIP_1) | instid1(VALU_DEP_2)
	v_div_scale_f32 v79, null, v80, v80, v81
	v_div_scale_f32 v89, vcc_lo, v81, v80, v81
	v_rcp_f32_e32 v87, v79
	v_nop
	s_delay_alu instid0(TRANS32_DEP_1) | instskip(NEXT) | instid1(VALU_DEP_1)
	v_fma_f32 v88, -v79, v87, 1.0
	v_fmac_f32_e32 v87, v88, v87
	s_delay_alu instid0(VALU_DEP_1) | instskip(NEXT) | instid1(VALU_DEP_1)
	v_mul_f32_e32 v88, v89, v87
	v_fma_f32 v90, -v79, v88, v89
	s_delay_alu instid0(VALU_DEP_1) | instskip(NEXT) | instid1(VALU_DEP_1)
	v_fmac_f32_e32 v88, v90, v87
	v_fma_f32 v79, -v79, v88, v89
	s_delay_alu instid0(VALU_DEP_1) | instskip(NEXT) | instid1(VALU_DEP_1)
	v_div_fmas_f32 v79, v79, v87, v88
	v_div_fixup_f32 v79, v79, v80, v81
	s_delay_alu instid0(VALU_DEP_1) | instskip(NEXT) | instid1(VALU_DEP_1)
	v_fmac_f32_e32 v80, v81, v79
	v_div_scale_f32 v81, null, v80, v80, 1.0
	s_delay_alu instid0(VALU_DEP_1) | instskip(SKIP_1) | instid1(TRANS32_DEP_1)
	v_rcp_f32_e32 v87, v81
	v_nop
	v_fma_f32 v88, -v81, v87, 1.0
	s_delay_alu instid0(VALU_DEP_1) | instskip(SKIP_1) | instid1(VALU_DEP_1)
	v_fmac_f32_e32 v87, v88, v87
	v_div_scale_f32 v88, vcc_lo, 1.0, v80, 1.0
	v_mul_f32_e32 v89, v88, v87
	s_delay_alu instid0(VALU_DEP_1) | instskip(NEXT) | instid1(VALU_DEP_1)
	v_fma_f32 v90, -v81, v89, v88
	v_fmac_f32_e32 v89, v90, v87
	s_delay_alu instid0(VALU_DEP_1) | instskip(NEXT) | instid1(VALU_DEP_1)
	v_fma_f32 v81, -v81, v89, v88
	v_div_fmas_f32 v81, v81, v87, v89
	s_delay_alu instid0(VALU_DEP_1) | instskip(NEXT) | instid1(VALU_DEP_1)
	v_div_fixup_f32 v80, v81, v80, 1.0
	v_mul_f32_e64 v81, v79, -v80
.LBB70_303:
	s_or_b32 exec_lo, exec_lo, s1
.LBB70_304:
	s_delay_alu instid0(SALU_CYCLE_1) | instskip(NEXT) | instid1(SALU_CYCLE_1)
	s_or_b32 exec_lo, exec_lo, s0
	s_mov_b32 s0, exec_lo
	v_cmpx_ne_u32_e64 v86, v78
	s_xor_b32 s0, exec_lo, s0
	s_cbranch_execz .LBB70_310
; %bb.305:
	s_mov_b32 s1, exec_lo
	v_cmpx_eq_u32_e32 14, v86
	s_cbranch_execz .LBB70_309
; %bb.306:
	v_cmp_ne_u32_e32 vcc_lo, 14, v78
	s_xor_b32 s12, s16, -1
	s_delay_alu instid0(SALU_CYCLE_1) | instskip(NEXT) | instid1(SALU_CYCLE_1)
	s_and_b32 s13, s12, vcc_lo
	s_and_saveexec_b32 s12, s13
	s_cbranch_execz .LBB70_308
; %bb.307:
	v_ashrrev_i32_e32 v79, 31, v78
	s_delay_alu instid0(VALU_DEP_1)
	v_lshl_add_u64 v[86:87], v[78:79], 2, v[4:5]
	s_clause 0x1
	global_load_b32 v79, v[86:87], off
	global_load_b32 v85, v[4:5], off offset:56
	s_wait_loadcnt 0x1
	global_store_b32 v[4:5], v79, off offset:56
	s_wait_loadcnt 0x0
	global_store_b32 v[86:87], v85, off
.LBB70_308:
	s_wait_xcnt 0x0
	s_or_b32 exec_lo, exec_lo, s12
	v_dual_mov_b32 v86, v78 :: v_dual_mov_b32 v85, v78
.LBB70_309:
	s_or_b32 exec_lo, exec_lo, s1
.LBB70_310:
	s_and_not1_saveexec_b32 s0, s0
	s_cbranch_execz .LBB70_312
; %bb.311:
	v_mov_b32_e32 v86, 14
	ds_store_2addr_b64 v82, v[22:23], v[60:61] offset0:15 offset1:16
	ds_store_2addr_b64 v82, v[56:57], v[58:59] offset0:17 offset1:18
	;; [unrolled: 1-line block ×10, first 2 shown]
	ds_store_b64 v82, v[76:77] offset:280
.LBB70_312:
	s_or_b32 exec_lo, exec_lo, s0
	s_delay_alu instid0(SALU_CYCLE_1)
	s_mov_b32 s0, exec_lo
	s_wait_storecnt_dscnt 0x0
	s_barrier_signal -1
	s_barrier_wait -1
	v_cmpx_lt_i32_e32 14, v86
	s_cbranch_execz .LBB70_314
; %bb.313:
	v_pk_mul_f32 v[88:89], v[80:81], v[64:65] op_sel:[1,1] op_sel_hi:[0,1]
	s_delay_alu instid0(VALU_DEP_1)
	v_pk_fma_f32 v[78:79], v[80:81], v[64:65], v[88:89] op_sel_hi:[1,0,1] neg_lo:[0,0,1] neg_hi:[0,0,1]
	v_pk_fma_f32 v[80:81], v[80:81], v[64:65], v[88:89] op_sel_hi:[1,0,1]
	ds_load_2addr_b64 v[88:91], v82 offset0:15 offset1:16
	v_dual_mov_b32 v64, v78 :: v_dual_mov_b32 v65, v81
	s_wait_dscnt 0x0
	v_pk_mul_f32 v[92:93], v[88:89], v[80:81] op_sel:[0,1]
	s_delay_alu instid0(VALU_DEP_1) | instskip(SKIP_1) | instid1(VALU_DEP_1)
	v_pk_fma_f32 v[94:95], v[88:89], v[78:79], v[92:93] op_sel:[0,0,1] op_sel_hi:[1,1,0] neg_lo:[0,0,1] neg_hi:[0,0,1]
	v_pk_fma_f32 v[88:89], v[88:89], v[78:79], v[92:93] op_sel:[0,0,1] op_sel_hi:[1,0,0]
	v_mov_b32_e32 v95, v89
	v_pk_mul_f32 v[88:89], v[90:91], v[80:81] op_sel:[0,1]
	s_delay_alu instid0(VALU_DEP_1) | instskip(SKIP_1) | instid1(VALU_DEP_1)
	v_pk_fma_f32 v[92:93], v[90:91], v[78:79], v[88:89] op_sel:[0,0,1] op_sel_hi:[1,1,0] neg_lo:[0,0,1] neg_hi:[0,0,1]
	v_pk_fma_f32 v[88:89], v[90:91], v[78:79], v[88:89] op_sel:[0,0,1] op_sel_hi:[1,0,0]
	v_mov_b32_e32 v93, v89
	ds_load_2addr_b64 v[88:91], v82 offset0:17 offset1:18
	v_pk_add_f32 v[22:23], v[22:23], v[94:95] neg_lo:[0,1] neg_hi:[0,1]
	v_pk_add_f32 v[60:61], v[60:61], v[92:93] neg_lo:[0,1] neg_hi:[0,1]
	s_wait_dscnt 0x0
	v_pk_mul_f32 v[92:93], v[88:89], v[80:81] op_sel:[0,1]
	s_delay_alu instid0(VALU_DEP_1) | instskip(SKIP_2) | instid1(VALU_DEP_2)
	v_pk_fma_f32 v[94:95], v[88:89], v[78:79], v[92:93] op_sel:[0,0,1] op_sel_hi:[1,1,0] neg_lo:[0,0,1] neg_hi:[0,0,1]
	v_pk_fma_f32 v[88:89], v[88:89], v[78:79], v[92:93] op_sel:[0,0,1] op_sel_hi:[1,0,0]
	v_dual_mul_f32 v92, v91, v81 :: v_dual_mov_b32 v88, v91
	v_dual_mov_b32 v95, v89 :: v_dual_mov_b32 v89, v90
	s_delay_alu instid0(VALU_DEP_2) | instskip(SKIP_1) | instid1(VALU_DEP_3)
	v_pk_fma_f32 v[92:93], v[90:91], v[64:65], v[92:93] op_sel_hi:[1,1,0] neg_lo:[0,0,1] neg_hi:[0,0,1]
	v_mul_f32_e32 v90, v91, v78
	v_pk_add_f32 v[56:57], v[56:57], v[94:95] neg_lo:[0,1] neg_hi:[0,1]
	s_delay_alu instid0(VALU_DEP_2) | instskip(NEXT) | instid1(VALU_DEP_1)
	v_pk_fma_f32 v[88:89], v[88:89], v[64:65], v[90:91] op_sel_hi:[1,1,0]
	v_mov_b32_e32 v93, v89
	ds_load_2addr_b64 v[88:91], v82 offset0:19 offset1:20
	v_pk_add_f32 v[58:59], v[58:59], v[92:93] neg_lo:[0,1] neg_hi:[0,1]
	s_wait_dscnt 0x0
	v_pk_mul_f32 v[92:93], v[88:89], v[80:81] op_sel:[0,1]
	s_delay_alu instid0(VALU_DEP_1) | instskip(SKIP_1) | instid1(VALU_DEP_1)
	v_pk_fma_f32 v[94:95], v[88:89], v[78:79], v[92:93] op_sel:[0,0,1] op_sel_hi:[1,1,0] neg_lo:[0,0,1] neg_hi:[0,0,1]
	v_pk_fma_f32 v[88:89], v[88:89], v[78:79], v[92:93] op_sel:[0,0,1] op_sel_hi:[1,0,0]
	v_mov_b32_e32 v95, v89
	v_pk_mul_f32 v[88:89], v[90:91], v[80:81] op_sel:[0,1]
	s_delay_alu instid0(VALU_DEP_1) | instskip(SKIP_1) | instid1(VALU_DEP_1)
	v_pk_fma_f32 v[92:93], v[90:91], v[78:79], v[88:89] op_sel:[0,0,1] op_sel_hi:[1,1,0] neg_lo:[0,0,1] neg_hi:[0,0,1]
	v_pk_fma_f32 v[88:89], v[90:91], v[78:79], v[88:89] op_sel:[0,0,1] op_sel_hi:[1,0,0]
	v_mov_b32_e32 v93, v89
	ds_load_2addr_b64 v[88:91], v82 offset0:21 offset1:22
	v_pk_add_f32 v[16:17], v[16:17], v[94:95] neg_lo:[0,1] neg_hi:[0,1]
	v_pk_add_f32 v[54:55], v[54:55], v[92:93] neg_lo:[0,1] neg_hi:[0,1]
	s_wait_dscnt 0x0
	v_pk_mul_f32 v[92:93], v[88:89], v[80:81] op_sel:[0,1]
	s_delay_alu instid0(VALU_DEP_1) | instskip(SKIP_1) | instid1(VALU_DEP_1)
	v_pk_fma_f32 v[94:95], v[88:89], v[78:79], v[92:93] op_sel:[0,0,1] op_sel_hi:[1,1,0] neg_lo:[0,0,1] neg_hi:[0,0,1]
	v_pk_fma_f32 v[88:89], v[88:89], v[78:79], v[92:93] op_sel:[0,0,1] op_sel_hi:[1,0,0]
	v_mov_b32_e32 v95, v89
	v_pk_mul_f32 v[88:89], v[90:91], v[80:81] op_sel:[0,1]
	s_delay_alu instid0(VALU_DEP_1) | instskip(SKIP_1) | instid1(VALU_DEP_1)
	v_pk_fma_f32 v[92:93], v[90:91], v[78:79], v[88:89] op_sel:[0,0,1] op_sel_hi:[1,1,0] neg_lo:[0,0,1] neg_hi:[0,0,1]
	v_pk_fma_f32 v[88:89], v[90:91], v[78:79], v[88:89] op_sel:[0,0,1] op_sel_hi:[1,0,0]
	v_mov_b32_e32 v93, v89
	ds_load_2addr_b64 v[88:91], v82 offset0:23 offset1:24
	v_pk_add_f32 v[50:51], v[50:51], v[94:95] neg_lo:[0,1] neg_hi:[0,1]
	v_pk_add_f32 v[52:53], v[52:53], v[92:93] neg_lo:[0,1] neg_hi:[0,1]
	s_wait_dscnt 0x0
	v_dual_mul_f32 v92, v89, v81 :: v_dual_mul_f32 v94, v89, v78
	s_delay_alu instid0(VALU_DEP_1) | instskip(NEXT) | instid1(VALU_DEP_2)
	v_pk_fma_f32 v[92:93], v[88:89], v[64:65], v[92:93] op_sel_hi:[1,1,0] neg_lo:[0,0,1] neg_hi:[0,0,1]
	v_pk_fma_f32 v[88:89], v[88:89], v[64:65], v[94:95] op_sel:[1,0,0] op_sel_hi:[0,1,0]
	s_delay_alu instid0(VALU_DEP_1) | instskip(SKIP_1) | instid1(VALU_DEP_2)
	v_mov_b32_e32 v93, v89
	v_pk_mul_f32 v[88:89], v[90:91], v[80:81] op_sel:[0,1]
	v_pk_add_f32 v[14:15], v[14:15], v[92:93] neg_lo:[0,1] neg_hi:[0,1]
	s_delay_alu instid0(VALU_DEP_2) | instskip(SKIP_1) | instid1(VALU_DEP_1)
	v_pk_fma_f32 v[92:93], v[90:91], v[78:79], v[88:89] op_sel:[0,0,1] op_sel_hi:[1,1,0] neg_lo:[0,0,1] neg_hi:[0,0,1]
	v_pk_fma_f32 v[88:89], v[90:91], v[78:79], v[88:89] op_sel:[0,0,1] op_sel_hi:[1,0,0]
	v_mov_b32_e32 v93, v89
	ds_load_2addr_b64 v[88:91], v82 offset0:25 offset1:26
	v_pk_add_f32 v[38:39], v[38:39], v[92:93] neg_lo:[0,1] neg_hi:[0,1]
	s_wait_dscnt 0x0
	v_pk_mul_f32 v[92:93], v[88:89], v[80:81] op_sel:[0,1]
	s_delay_alu instid0(VALU_DEP_1) | instskip(SKIP_1) | instid1(VALU_DEP_1)
	v_pk_fma_f32 v[94:95], v[88:89], v[78:79], v[92:93] op_sel:[0,0,1] op_sel_hi:[1,1,0] neg_lo:[0,0,1] neg_hi:[0,0,1]
	v_pk_fma_f32 v[88:89], v[88:89], v[78:79], v[92:93] op_sel:[0,0,1] op_sel_hi:[1,0,0]
	v_mov_b32_e32 v95, v89
	v_pk_mul_f32 v[88:89], v[90:91], v[80:81] op_sel:[0,1]
	s_delay_alu instid0(VALU_DEP_2) | instskip(NEXT) | instid1(VALU_DEP_2)
	v_pk_add_f32 v[32:33], v[32:33], v[94:95] neg_lo:[0,1] neg_hi:[0,1]
	v_pk_fma_f32 v[92:93], v[90:91], v[78:79], v[88:89] op_sel:[0,0,1] op_sel_hi:[1,1,0] neg_lo:[0,0,1] neg_hi:[0,0,1]
	v_pk_fma_f32 v[88:89], v[90:91], v[78:79], v[88:89] op_sel:[0,0,1] op_sel_hi:[1,0,0]
	s_delay_alu instid0(VALU_DEP_1) | instskip(SKIP_4) | instid1(VALU_DEP_1)
	v_mov_b32_e32 v93, v89
	ds_load_2addr_b64 v[88:91], v82 offset0:27 offset1:28
	v_pk_add_f32 v[36:37], v[36:37], v[92:93] neg_lo:[0,1] neg_hi:[0,1]
	s_wait_dscnt 0x0
	v_pk_mul_f32 v[92:93], v[88:89], v[80:81] op_sel:[0,1]
	v_pk_fma_f32 v[94:95], v[88:89], v[78:79], v[92:93] op_sel:[0,0,1] op_sel_hi:[1,1,0] neg_lo:[0,0,1] neg_hi:[0,0,1]
	v_pk_fma_f32 v[88:89], v[88:89], v[78:79], v[92:93] op_sel:[0,0,1] op_sel_hi:[1,0,0]
	v_dual_mul_f32 v92, v91, v81 :: v_dual_mov_b32 v88, v91
	s_delay_alu instid0(VALU_DEP_2) | instskip(NEXT) | instid1(VALU_DEP_2)
	v_dual_mov_b32 v95, v89 :: v_dual_mov_b32 v89, v90
	v_pk_fma_f32 v[92:93], v[90:91], v[64:65], v[92:93] op_sel_hi:[1,1,0] neg_lo:[0,0,1] neg_hi:[0,0,1]
	v_mul_f32_e32 v90, v91, v78
	s_delay_alu instid0(VALU_DEP_3) | instskip(NEXT) | instid1(VALU_DEP_2)
	v_pk_add_f32 v[6:7], v[6:7], v[94:95] neg_lo:[0,1] neg_hi:[0,1]
	v_pk_fma_f32 v[88:89], v[88:89], v[64:65], v[90:91] op_sel_hi:[1,1,0]
	s_delay_alu instid0(VALU_DEP_1) | instskip(SKIP_4) | instid1(VALU_DEP_1)
	v_mov_b32_e32 v93, v89
	ds_load_2addr_b64 v[88:91], v82 offset0:29 offset1:30
	v_pk_add_f32 v[30:31], v[30:31], v[92:93] neg_lo:[0,1] neg_hi:[0,1]
	s_wait_dscnt 0x0
	v_pk_mul_f32 v[92:93], v[88:89], v[80:81] op_sel:[0,1]
	v_pk_fma_f32 v[94:95], v[88:89], v[78:79], v[92:93] op_sel:[0,0,1] op_sel_hi:[1,1,0] neg_lo:[0,0,1] neg_hi:[0,0,1]
	v_pk_fma_f32 v[88:89], v[88:89], v[78:79], v[92:93] op_sel:[0,0,1] op_sel_hi:[1,0,0]
	s_delay_alu instid0(VALU_DEP_1) | instskip(SKIP_1) | instid1(VALU_DEP_1)
	v_mov_b32_e32 v95, v89
	v_pk_mul_f32 v[88:89], v[90:91], v[80:81] op_sel:[0,1]
	v_pk_fma_f32 v[92:93], v[90:91], v[78:79], v[88:89] op_sel:[0,0,1] op_sel_hi:[1,1,0] neg_lo:[0,0,1] neg_hi:[0,0,1]
	v_pk_fma_f32 v[88:89], v[90:91], v[78:79], v[88:89] op_sel:[0,0,1] op_sel_hi:[1,0,0]
	s_delay_alu instid0(VALU_DEP_1)
	v_mov_b32_e32 v93, v89
	ds_load_2addr_b64 v[88:91], v82 offset0:31 offset1:32
	v_pk_add_f32 v[26:27], v[26:27], v[94:95] neg_lo:[0,1] neg_hi:[0,1]
	v_pk_add_f32 v[28:29], v[28:29], v[92:93] neg_lo:[0,1] neg_hi:[0,1]
	s_wait_dscnt 0x0
	v_pk_mul_f32 v[92:93], v[88:89], v[80:81] op_sel:[0,1]
	s_delay_alu instid0(VALU_DEP_1) | instskip(SKIP_1) | instid1(VALU_DEP_1)
	v_pk_fma_f32 v[94:95], v[88:89], v[78:79], v[92:93] op_sel:[0,0,1] op_sel_hi:[1,1,0] neg_lo:[0,0,1] neg_hi:[0,0,1]
	v_pk_fma_f32 v[88:89], v[88:89], v[78:79], v[92:93] op_sel:[0,0,1] op_sel_hi:[1,0,0]
	v_mov_b32_e32 v95, v89
	v_pk_mul_f32 v[88:89], v[90:91], v[80:81] op_sel:[0,1]
	s_delay_alu instid0(VALU_DEP_1) | instskip(SKIP_1) | instid1(VALU_DEP_1)
	v_pk_fma_f32 v[92:93], v[90:91], v[78:79], v[88:89] op_sel:[0,0,1] op_sel_hi:[1,1,0] neg_lo:[0,0,1] neg_hi:[0,0,1]
	v_pk_fma_f32 v[88:89], v[90:91], v[78:79], v[88:89] op_sel:[0,0,1] op_sel_hi:[1,0,0]
	v_mov_b32_e32 v93, v89
	ds_load_2addr_b64 v[88:91], v82 offset0:33 offset1:34
	v_pk_add_f32 v[10:11], v[10:11], v[94:95] neg_lo:[0,1] neg_hi:[0,1]
	v_pk_add_f32 v[24:25], v[24:25], v[92:93] neg_lo:[0,1] neg_hi:[0,1]
	s_wait_dscnt 0x0
	v_dual_mul_f32 v92, v89, v81 :: v_dual_mul_f32 v94, v89, v78
	s_delay_alu instid0(VALU_DEP_1) | instskip(NEXT) | instid1(VALU_DEP_2)
	v_pk_fma_f32 v[92:93], v[88:89], v[64:65], v[92:93] op_sel_hi:[1,1,0] neg_lo:[0,0,1] neg_hi:[0,0,1]
	v_pk_fma_f32 v[88:89], v[88:89], v[64:65], v[94:95] op_sel:[1,0,0] op_sel_hi:[0,1,0]
	s_delay_alu instid0(VALU_DEP_1) | instskip(SKIP_1) | instid1(VALU_DEP_2)
	v_mov_b32_e32 v93, v89
	v_pk_mul_f32 v[88:89], v[90:91], v[80:81] op_sel:[0,1]
	v_pk_add_f32 v[20:21], v[20:21], v[92:93] neg_lo:[0,1] neg_hi:[0,1]
	s_delay_alu instid0(VALU_DEP_2) | instskip(SKIP_1) | instid1(VALU_DEP_1)
	v_pk_fma_f32 v[92:93], v[90:91], v[78:79], v[88:89] op_sel:[0,0,1] op_sel_hi:[1,1,0] neg_lo:[0,0,1] neg_hi:[0,0,1]
	v_pk_fma_f32 v[88:89], v[90:91], v[78:79], v[88:89] op_sel:[0,0,1] op_sel_hi:[1,0,0]
	v_mov_b32_e32 v93, v89
	ds_load_b64 v[88:89], v82 offset:280
	v_pk_add_f32 v[18:19], v[18:19], v[92:93] neg_lo:[0,1] neg_hi:[0,1]
	s_wait_dscnt 0x0
	v_pk_mul_f32 v[80:81], v[88:89], v[80:81] op_sel:[0,1]
	s_delay_alu instid0(VALU_DEP_1) | instskip(SKIP_1) | instid1(VALU_DEP_1)
	v_pk_fma_f32 v[90:91], v[88:89], v[78:79], v[80:81] op_sel:[0,0,1] op_sel_hi:[1,1,0] neg_lo:[0,0,1] neg_hi:[0,0,1]
	v_pk_fma_f32 v[78:79], v[88:89], v[78:79], v[80:81] op_sel:[0,0,1] op_sel_hi:[1,0,0]
	v_mov_b32_e32 v91, v79
	s_delay_alu instid0(VALU_DEP_1)
	v_pk_add_f32 v[76:77], v[76:77], v[90:91] neg_lo:[0,1] neg_hi:[0,1]
.LBB70_314:
	s_or_b32 exec_lo, exec_lo, s0
	v_lshl_add_u32 v78, v86, 3, v82
	s_barrier_signal -1
	s_barrier_wait -1
	ds_store_b64 v78, v[22:23]
	s_wait_dscnt 0x0
	s_barrier_signal -1
	s_barrier_wait -1
	ds_load_b64 v[80:81], v82 offset:120
	v_mov_b32_e32 v78, 15
	s_cmp_lt_i32 s18, 17
	s_cbranch_scc1 .LBB70_317
; %bb.315:
	v_add3_u32 v79, v83, 0, 0x80
	v_mov_b32_e32 v78, 15
	s_mov_b32 s0, 16
.LBB70_316:                             ; =>This Inner Loop Header: Depth=1
	ds_load_b64 v[88:89], v79
	s_wait_dscnt 0x1
	v_cmp_gt_f32_e32 vcc_lo, 0, v80
	v_cndmask_b32_e64 v90, v80, -v80, vcc_lo
	v_cmp_gt_f32_e32 vcc_lo, 0, v81
	v_cndmask_b32_e64 v92, v81, -v81, vcc_lo
	s_wait_dscnt 0x0
	v_cmp_gt_f32_e32 vcc_lo, 0, v88
	v_cndmask_b32_e64 v91, v88, -v88, vcc_lo
	v_cmp_gt_f32_e32 vcc_lo, 0, v89
	v_cndmask_b32_e64 v93, v89, -v89, vcc_lo
	s_delay_alu instid0(VALU_DEP_1) | instskip(NEXT) | instid1(VALU_DEP_1)
	v_pk_add_f32 v[90:91], v[90:91], v[92:93]
	v_cmp_lt_f32_e32 vcc_lo, v90, v91
	v_dual_add_nc_u32 v79, 8, v79 :: v_dual_cndmask_b32 v81, v81, v89, vcc_lo
	v_cndmask_b32_e32 v80, v80, v88, vcc_lo
	v_cndmask_b32_e64 v78, v78, s0, vcc_lo
	s_add_co_i32 s0, s0, 1
	s_delay_alu instid0(SALU_CYCLE_1)
	s_cmp_lg_u32 s18, s0
	s_cbranch_scc1 .LBB70_316
.LBB70_317:
	s_wait_dscnt 0x0
	v_cmp_eq_f32_e32 vcc_lo, 0, v80
	v_cmp_eq_f32_e64 s0, 0, v81
	s_and_b32 s0, vcc_lo, s0
	s_delay_alu instid0(SALU_CYCLE_1) | instskip(NEXT) | instid1(SALU_CYCLE_1)
	s_and_saveexec_b32 s1, s0
	s_xor_b32 s0, exec_lo, s1
; %bb.318:
	v_cmp_ne_u32_e32 vcc_lo, 0, v84
	v_cndmask_b32_e32 v84, 16, v84, vcc_lo
; %bb.319:
	s_and_not1_saveexec_b32 s0, s0
	s_cbranch_execz .LBB70_325
; %bb.320:
	v_cmp_ngt_f32_e64 s1, |v80|, |v81|
	s_and_saveexec_b32 s12, s1
	s_delay_alu instid0(SALU_CYCLE_1)
	s_xor_b32 s1, exec_lo, s12
	s_cbranch_execz .LBB70_322
; %bb.321:
	v_div_scale_f32 v79, null, v81, v81, v80
	v_div_scale_f32 v89, vcc_lo, v80, v81, v80
	s_delay_alu instid0(VALU_DEP_2) | instskip(SKIP_1) | instid1(TRANS32_DEP_1)
	v_rcp_f32_e32 v87, v79
	v_nop
	v_fma_f32 v88, -v79, v87, 1.0
	s_delay_alu instid0(VALU_DEP_1) | instskip(NEXT) | instid1(VALU_DEP_1)
	v_fmac_f32_e32 v87, v88, v87
	v_mul_f32_e32 v88, v89, v87
	s_delay_alu instid0(VALU_DEP_1) | instskip(NEXT) | instid1(VALU_DEP_1)
	v_fma_f32 v90, -v79, v88, v89
	v_fmac_f32_e32 v88, v90, v87
	s_delay_alu instid0(VALU_DEP_1) | instskip(NEXT) | instid1(VALU_DEP_1)
	v_fma_f32 v79, -v79, v88, v89
	v_div_fmas_f32 v79, v79, v87, v88
	s_delay_alu instid0(VALU_DEP_1) | instskip(NEXT) | instid1(VALU_DEP_1)
	v_div_fixup_f32 v79, v79, v81, v80
	v_fmac_f32_e32 v81, v80, v79
	s_delay_alu instid0(VALU_DEP_1) | instskip(SKIP_1) | instid1(VALU_DEP_2)
	v_div_scale_f32 v80, null, v81, v81, 1.0
	v_div_scale_f32 v89, vcc_lo, 1.0, v81, 1.0
	v_rcp_f32_e32 v87, v80
	v_nop
	s_delay_alu instid0(TRANS32_DEP_1) | instskip(NEXT) | instid1(VALU_DEP_1)
	v_fma_f32 v88, -v80, v87, 1.0
	v_fmac_f32_e32 v87, v88, v87
	s_delay_alu instid0(VALU_DEP_1) | instskip(NEXT) | instid1(VALU_DEP_1)
	v_mul_f32_e32 v88, v89, v87
	v_fma_f32 v90, -v80, v88, v89
	s_delay_alu instid0(VALU_DEP_1) | instskip(NEXT) | instid1(VALU_DEP_1)
	v_fmac_f32_e32 v88, v90, v87
	v_fma_f32 v80, -v80, v88, v89
	s_delay_alu instid0(VALU_DEP_1) | instskip(NEXT) | instid1(VALU_DEP_1)
	v_div_fmas_f32 v80, v80, v87, v88
	v_div_fixup_f32 v81, v80, v81, 1.0
	s_delay_alu instid0(VALU_DEP_1)
	v_mul_f32_e32 v80, v79, v81
	v_xor_b32_e32 v81, 0x80000000, v81
.LBB70_322:
	s_and_not1_saveexec_b32 s1, s1
	s_cbranch_execz .LBB70_324
; %bb.323:
	s_delay_alu instid0(VALU_DEP_1) | instskip(SKIP_1) | instid1(VALU_DEP_2)
	v_div_scale_f32 v79, null, v80, v80, v81
	v_div_scale_f32 v89, vcc_lo, v81, v80, v81
	v_rcp_f32_e32 v87, v79
	v_nop
	s_delay_alu instid0(TRANS32_DEP_1) | instskip(NEXT) | instid1(VALU_DEP_1)
	v_fma_f32 v88, -v79, v87, 1.0
	v_fmac_f32_e32 v87, v88, v87
	s_delay_alu instid0(VALU_DEP_1) | instskip(NEXT) | instid1(VALU_DEP_1)
	v_mul_f32_e32 v88, v89, v87
	v_fma_f32 v90, -v79, v88, v89
	s_delay_alu instid0(VALU_DEP_1) | instskip(NEXT) | instid1(VALU_DEP_1)
	v_fmac_f32_e32 v88, v90, v87
	v_fma_f32 v79, -v79, v88, v89
	s_delay_alu instid0(VALU_DEP_1) | instskip(NEXT) | instid1(VALU_DEP_1)
	v_div_fmas_f32 v79, v79, v87, v88
	v_div_fixup_f32 v79, v79, v80, v81
	s_delay_alu instid0(VALU_DEP_1) | instskip(NEXT) | instid1(VALU_DEP_1)
	v_fmac_f32_e32 v80, v81, v79
	v_div_scale_f32 v81, null, v80, v80, 1.0
	s_delay_alu instid0(VALU_DEP_1) | instskip(SKIP_1) | instid1(TRANS32_DEP_1)
	v_rcp_f32_e32 v87, v81
	v_nop
	v_fma_f32 v88, -v81, v87, 1.0
	s_delay_alu instid0(VALU_DEP_1) | instskip(SKIP_1) | instid1(VALU_DEP_1)
	v_fmac_f32_e32 v87, v88, v87
	v_div_scale_f32 v88, vcc_lo, 1.0, v80, 1.0
	v_mul_f32_e32 v89, v88, v87
	s_delay_alu instid0(VALU_DEP_1) | instskip(NEXT) | instid1(VALU_DEP_1)
	v_fma_f32 v90, -v81, v89, v88
	v_fmac_f32_e32 v89, v90, v87
	s_delay_alu instid0(VALU_DEP_1) | instskip(NEXT) | instid1(VALU_DEP_1)
	v_fma_f32 v81, -v81, v89, v88
	v_div_fmas_f32 v81, v81, v87, v89
	s_delay_alu instid0(VALU_DEP_1) | instskip(NEXT) | instid1(VALU_DEP_1)
	v_div_fixup_f32 v80, v81, v80, 1.0
	v_mul_f32_e64 v81, v79, -v80
.LBB70_324:
	s_or_b32 exec_lo, exec_lo, s1
.LBB70_325:
	s_delay_alu instid0(SALU_CYCLE_1) | instskip(NEXT) | instid1(SALU_CYCLE_1)
	s_or_b32 exec_lo, exec_lo, s0
	s_mov_b32 s0, exec_lo
	v_cmpx_ne_u32_e64 v86, v78
	s_xor_b32 s0, exec_lo, s0
	s_cbranch_execz .LBB70_331
; %bb.326:
	s_mov_b32 s1, exec_lo
	v_cmpx_eq_u32_e32 15, v86
	s_cbranch_execz .LBB70_330
; %bb.327:
	v_cmp_ne_u32_e32 vcc_lo, 15, v78
	s_xor_b32 s12, s16, -1
	s_delay_alu instid0(SALU_CYCLE_1) | instskip(NEXT) | instid1(SALU_CYCLE_1)
	s_and_b32 s13, s12, vcc_lo
	s_and_saveexec_b32 s12, s13
	s_cbranch_execz .LBB70_329
; %bb.328:
	v_ashrrev_i32_e32 v79, 31, v78
	s_delay_alu instid0(VALU_DEP_1)
	v_lshl_add_u64 v[86:87], v[78:79], 2, v[4:5]
	s_clause 0x1
	global_load_b32 v79, v[86:87], off
	global_load_b32 v85, v[4:5], off offset:60
	s_wait_loadcnt 0x1
	global_store_b32 v[4:5], v79, off offset:60
	s_wait_loadcnt 0x0
	global_store_b32 v[86:87], v85, off
.LBB70_329:
	s_wait_xcnt 0x0
	s_or_b32 exec_lo, exec_lo, s12
	v_dual_mov_b32 v86, v78 :: v_dual_mov_b32 v85, v78
.LBB70_330:
	s_or_b32 exec_lo, exec_lo, s1
.LBB70_331:
	s_and_not1_saveexec_b32 s0, s0
	s_cbranch_execz .LBB70_333
; %bb.332:
	v_dual_mov_b32 v78, v60 :: v_dual_mov_b32 v79, v61
	v_dual_mov_b32 v86, v56 :: v_dual_mov_b32 v87, v57
	;; [unrolled: 1-line block ×12, first 2 shown]
	ds_store_2addr_b64 v82, v[78:79], v[86:87] offset0:16 offset1:17
	ds_store_2addr_b64 v82, v[88:89], v[90:91] offset0:18 offset1:19
	;; [unrolled: 1-line block ×6, first 2 shown]
	v_dual_mov_b32 v78, v30 :: v_dual_mov_b32 v79, v31
	v_dual_mov_b32 v88, v26 :: v_dual_mov_b32 v89, v27
	;; [unrolled: 1-line block ×7, first 2 shown]
	v_mov_b32_e32 v99, v19
	ds_store_2addr_b64 v82, v[78:79], v[88:89] offset0:28 offset1:29
	ds_store_2addr_b64 v82, v[90:91], v[92:93] offset0:30 offset1:31
	;; [unrolled: 1-line block ×4, first 2 shown]
.LBB70_333:
	s_or_b32 exec_lo, exec_lo, s0
	s_delay_alu instid0(SALU_CYCLE_1)
	s_mov_b32 s0, exec_lo
	s_wait_storecnt_dscnt 0x0
	s_barrier_signal -1
	s_barrier_wait -1
	v_cmpx_lt_i32_e32 15, v86
	s_cbranch_execz .LBB70_335
; %bb.334:
	v_pk_mul_f32 v[88:89], v[80:81], v[22:23] op_sel:[1,1] op_sel_hi:[0,1]
	s_delay_alu instid0(VALU_DEP_1)
	v_pk_fma_f32 v[78:79], v[80:81], v[22:23], v[88:89] op_sel_hi:[1,0,1] neg_lo:[0,0,1] neg_hi:[0,0,1]
	v_pk_fma_f32 v[80:81], v[80:81], v[22:23], v[88:89] op_sel_hi:[1,0,1]
	ds_load_2addr_b64 v[88:91], v82 offset0:16 offset1:17
	v_dual_mov_b32 v22, v78 :: v_dual_mov_b32 v23, v81
	s_wait_dscnt 0x0
	v_pk_mul_f32 v[92:93], v[88:89], v[80:81] op_sel:[0,1]
	s_delay_alu instid0(VALU_DEP_1) | instskip(SKIP_1) | instid1(VALU_DEP_1)
	v_pk_fma_f32 v[94:95], v[88:89], v[78:79], v[92:93] op_sel:[0,0,1] op_sel_hi:[1,1,0] neg_lo:[0,0,1] neg_hi:[0,0,1]
	v_pk_fma_f32 v[88:89], v[88:89], v[78:79], v[92:93] op_sel:[0,0,1] op_sel_hi:[1,0,0]
	v_mov_b32_e32 v95, v89
	v_pk_mul_f32 v[88:89], v[90:91], v[80:81] op_sel:[0,1]
	s_delay_alu instid0(VALU_DEP_1) | instskip(SKIP_1) | instid1(VALU_DEP_1)
	v_pk_fma_f32 v[92:93], v[90:91], v[78:79], v[88:89] op_sel:[0,0,1] op_sel_hi:[1,1,0] neg_lo:[0,0,1] neg_hi:[0,0,1]
	v_pk_fma_f32 v[88:89], v[90:91], v[78:79], v[88:89] op_sel:[0,0,1] op_sel_hi:[1,0,0]
	v_mov_b32_e32 v93, v89
	ds_load_2addr_b64 v[88:91], v82 offset0:18 offset1:19
	v_pk_add_f32 v[60:61], v[60:61], v[94:95] neg_lo:[0,1] neg_hi:[0,1]
	v_pk_add_f32 v[56:57], v[56:57], v[92:93] neg_lo:[0,1] neg_hi:[0,1]
	s_wait_dscnt 0x0
	v_pk_mul_f32 v[92:93], v[88:89], v[80:81] op_sel:[0,1]
	s_delay_alu instid0(VALU_DEP_1) | instskip(SKIP_2) | instid1(VALU_DEP_2)
	v_pk_fma_f32 v[94:95], v[88:89], v[78:79], v[92:93] op_sel:[0,0,1] op_sel_hi:[1,1,0] neg_lo:[0,0,1] neg_hi:[0,0,1]
	v_pk_fma_f32 v[88:89], v[88:89], v[78:79], v[92:93] op_sel:[0,0,1] op_sel_hi:[1,0,0]
	v_dual_mul_f32 v92, v91, v81 :: v_dual_mov_b32 v88, v91
	v_dual_mov_b32 v95, v89 :: v_dual_mov_b32 v89, v90
	s_delay_alu instid0(VALU_DEP_2) | instskip(SKIP_1) | instid1(VALU_DEP_3)
	v_pk_fma_f32 v[92:93], v[90:91], v[22:23], v[92:93] op_sel_hi:[1,1,0] neg_lo:[0,0,1] neg_hi:[0,0,1]
	v_mul_f32_e32 v90, v91, v78
	v_pk_add_f32 v[58:59], v[58:59], v[94:95] neg_lo:[0,1] neg_hi:[0,1]
	s_delay_alu instid0(VALU_DEP_2) | instskip(NEXT) | instid1(VALU_DEP_1)
	v_pk_fma_f32 v[88:89], v[88:89], v[22:23], v[90:91] op_sel_hi:[1,1,0]
	v_mov_b32_e32 v93, v89
	ds_load_2addr_b64 v[88:91], v82 offset0:20 offset1:21
	v_pk_add_f32 v[16:17], v[16:17], v[92:93] neg_lo:[0,1] neg_hi:[0,1]
	s_wait_dscnt 0x0
	v_pk_mul_f32 v[92:93], v[88:89], v[80:81] op_sel:[0,1]
	s_delay_alu instid0(VALU_DEP_1) | instskip(SKIP_1) | instid1(VALU_DEP_1)
	v_pk_fma_f32 v[94:95], v[88:89], v[78:79], v[92:93] op_sel:[0,0,1] op_sel_hi:[1,1,0] neg_lo:[0,0,1] neg_hi:[0,0,1]
	v_pk_fma_f32 v[88:89], v[88:89], v[78:79], v[92:93] op_sel:[0,0,1] op_sel_hi:[1,0,0]
	v_mov_b32_e32 v95, v89
	v_pk_mul_f32 v[88:89], v[90:91], v[80:81] op_sel:[0,1]
	s_delay_alu instid0(VALU_DEP_1) | instskip(SKIP_1) | instid1(VALU_DEP_1)
	v_pk_fma_f32 v[92:93], v[90:91], v[78:79], v[88:89] op_sel:[0,0,1] op_sel_hi:[1,1,0] neg_lo:[0,0,1] neg_hi:[0,0,1]
	v_pk_fma_f32 v[88:89], v[90:91], v[78:79], v[88:89] op_sel:[0,0,1] op_sel_hi:[1,0,0]
	v_mov_b32_e32 v93, v89
	ds_load_2addr_b64 v[88:91], v82 offset0:22 offset1:23
	v_pk_add_f32 v[54:55], v[54:55], v[94:95] neg_lo:[0,1] neg_hi:[0,1]
	v_pk_add_f32 v[50:51], v[50:51], v[92:93] neg_lo:[0,1] neg_hi:[0,1]
	s_wait_dscnt 0x0
	v_pk_mul_f32 v[92:93], v[88:89], v[80:81] op_sel:[0,1]
	s_delay_alu instid0(VALU_DEP_1) | instskip(SKIP_1) | instid1(VALU_DEP_1)
	v_pk_fma_f32 v[94:95], v[88:89], v[78:79], v[92:93] op_sel:[0,0,1] op_sel_hi:[1,1,0] neg_lo:[0,0,1] neg_hi:[0,0,1]
	v_pk_fma_f32 v[88:89], v[88:89], v[78:79], v[92:93] op_sel:[0,0,1] op_sel_hi:[1,0,0]
	v_mov_b32_e32 v95, v89
	v_pk_mul_f32 v[88:89], v[90:91], v[80:81] op_sel:[0,1]
	s_delay_alu instid0(VALU_DEP_1) | instskip(SKIP_1) | instid1(VALU_DEP_1)
	v_pk_fma_f32 v[92:93], v[90:91], v[78:79], v[88:89] op_sel:[0,0,1] op_sel_hi:[1,1,0] neg_lo:[0,0,1] neg_hi:[0,0,1]
	v_pk_fma_f32 v[88:89], v[90:91], v[78:79], v[88:89] op_sel:[0,0,1] op_sel_hi:[1,0,0]
	v_mov_b32_e32 v93, v89
	ds_load_2addr_b64 v[88:91], v82 offset0:24 offset1:25
	v_pk_add_f32 v[52:53], v[52:53], v[94:95] neg_lo:[0,1] neg_hi:[0,1]
	v_pk_add_f32 v[14:15], v[14:15], v[92:93] neg_lo:[0,1] neg_hi:[0,1]
	s_wait_dscnt 0x0
	v_dual_mul_f32 v92, v89, v81 :: v_dual_mul_f32 v94, v89, v78
	s_delay_alu instid0(VALU_DEP_1) | instskip(NEXT) | instid1(VALU_DEP_2)
	v_pk_fma_f32 v[92:93], v[88:89], v[22:23], v[92:93] op_sel_hi:[1,1,0] neg_lo:[0,0,1] neg_hi:[0,0,1]
	v_pk_fma_f32 v[88:89], v[88:89], v[22:23], v[94:95] op_sel:[1,0,0] op_sel_hi:[0,1,0]
	s_delay_alu instid0(VALU_DEP_1) | instskip(SKIP_1) | instid1(VALU_DEP_2)
	v_mov_b32_e32 v93, v89
	v_pk_mul_f32 v[88:89], v[90:91], v[80:81] op_sel:[0,1]
	v_pk_add_f32 v[38:39], v[38:39], v[92:93] neg_lo:[0,1] neg_hi:[0,1]
	s_delay_alu instid0(VALU_DEP_2) | instskip(SKIP_1) | instid1(VALU_DEP_1)
	v_pk_fma_f32 v[92:93], v[90:91], v[78:79], v[88:89] op_sel:[0,0,1] op_sel_hi:[1,1,0] neg_lo:[0,0,1] neg_hi:[0,0,1]
	v_pk_fma_f32 v[88:89], v[90:91], v[78:79], v[88:89] op_sel:[0,0,1] op_sel_hi:[1,0,0]
	v_mov_b32_e32 v93, v89
	ds_load_2addr_b64 v[88:91], v82 offset0:26 offset1:27
	v_pk_add_f32 v[32:33], v[32:33], v[92:93] neg_lo:[0,1] neg_hi:[0,1]
	s_wait_dscnt 0x0
	v_pk_mul_f32 v[92:93], v[88:89], v[80:81] op_sel:[0,1]
	s_delay_alu instid0(VALU_DEP_1) | instskip(SKIP_1) | instid1(VALU_DEP_1)
	v_pk_fma_f32 v[94:95], v[88:89], v[78:79], v[92:93] op_sel:[0,0,1] op_sel_hi:[1,1,0] neg_lo:[0,0,1] neg_hi:[0,0,1]
	v_pk_fma_f32 v[88:89], v[88:89], v[78:79], v[92:93] op_sel:[0,0,1] op_sel_hi:[1,0,0]
	v_mov_b32_e32 v95, v89
	v_pk_mul_f32 v[88:89], v[90:91], v[80:81] op_sel:[0,1]
	s_delay_alu instid0(VALU_DEP_2) | instskip(NEXT) | instid1(VALU_DEP_2)
	v_pk_add_f32 v[36:37], v[36:37], v[94:95] neg_lo:[0,1] neg_hi:[0,1]
	v_pk_fma_f32 v[92:93], v[90:91], v[78:79], v[88:89] op_sel:[0,0,1] op_sel_hi:[1,1,0] neg_lo:[0,0,1] neg_hi:[0,0,1]
	v_pk_fma_f32 v[88:89], v[90:91], v[78:79], v[88:89] op_sel:[0,0,1] op_sel_hi:[1,0,0]
	s_delay_alu instid0(VALU_DEP_1) | instskip(SKIP_4) | instid1(VALU_DEP_1)
	v_mov_b32_e32 v93, v89
	ds_load_2addr_b64 v[88:91], v82 offset0:28 offset1:29
	v_pk_add_f32 v[6:7], v[6:7], v[92:93] neg_lo:[0,1] neg_hi:[0,1]
	s_wait_dscnt 0x0
	v_pk_mul_f32 v[92:93], v[88:89], v[80:81] op_sel:[0,1]
	v_pk_fma_f32 v[94:95], v[88:89], v[78:79], v[92:93] op_sel:[0,0,1] op_sel_hi:[1,1,0] neg_lo:[0,0,1] neg_hi:[0,0,1]
	v_pk_fma_f32 v[88:89], v[88:89], v[78:79], v[92:93] op_sel:[0,0,1] op_sel_hi:[1,0,0]
	v_dual_mul_f32 v92, v91, v81 :: v_dual_mov_b32 v88, v91
	s_delay_alu instid0(VALU_DEP_2) | instskip(NEXT) | instid1(VALU_DEP_2)
	v_dual_mov_b32 v95, v89 :: v_dual_mov_b32 v89, v90
	v_pk_fma_f32 v[92:93], v[90:91], v[22:23], v[92:93] op_sel_hi:[1,1,0] neg_lo:[0,0,1] neg_hi:[0,0,1]
	v_mul_f32_e32 v90, v91, v78
	s_delay_alu instid0(VALU_DEP_3) | instskip(NEXT) | instid1(VALU_DEP_2)
	v_pk_add_f32 v[30:31], v[30:31], v[94:95] neg_lo:[0,1] neg_hi:[0,1]
	v_pk_fma_f32 v[88:89], v[88:89], v[22:23], v[90:91] op_sel_hi:[1,1,0]
	s_delay_alu instid0(VALU_DEP_1) | instskip(SKIP_4) | instid1(VALU_DEP_1)
	v_mov_b32_e32 v93, v89
	ds_load_2addr_b64 v[88:91], v82 offset0:30 offset1:31
	v_pk_add_f32 v[26:27], v[26:27], v[92:93] neg_lo:[0,1] neg_hi:[0,1]
	s_wait_dscnt 0x0
	v_pk_mul_f32 v[92:93], v[88:89], v[80:81] op_sel:[0,1]
	v_pk_fma_f32 v[94:95], v[88:89], v[78:79], v[92:93] op_sel:[0,0,1] op_sel_hi:[1,1,0] neg_lo:[0,0,1] neg_hi:[0,0,1]
	v_pk_fma_f32 v[88:89], v[88:89], v[78:79], v[92:93] op_sel:[0,0,1] op_sel_hi:[1,0,0]
	s_delay_alu instid0(VALU_DEP_1) | instskip(SKIP_1) | instid1(VALU_DEP_1)
	v_mov_b32_e32 v95, v89
	v_pk_mul_f32 v[88:89], v[90:91], v[80:81] op_sel:[0,1]
	v_pk_fma_f32 v[92:93], v[90:91], v[78:79], v[88:89] op_sel:[0,0,1] op_sel_hi:[1,1,0] neg_lo:[0,0,1] neg_hi:[0,0,1]
	v_pk_fma_f32 v[88:89], v[90:91], v[78:79], v[88:89] op_sel:[0,0,1] op_sel_hi:[1,0,0]
	s_delay_alu instid0(VALU_DEP_1)
	v_mov_b32_e32 v93, v89
	ds_load_2addr_b64 v[88:91], v82 offset0:32 offset1:33
	v_pk_add_f32 v[28:29], v[28:29], v[94:95] neg_lo:[0,1] neg_hi:[0,1]
	v_pk_add_f32 v[10:11], v[10:11], v[92:93] neg_lo:[0,1] neg_hi:[0,1]
	s_wait_dscnt 0x0
	v_pk_mul_f32 v[92:93], v[88:89], v[80:81] op_sel:[0,1]
	s_delay_alu instid0(VALU_DEP_1) | instskip(SKIP_1) | instid1(VALU_DEP_1)
	v_pk_fma_f32 v[94:95], v[88:89], v[78:79], v[92:93] op_sel:[0,0,1] op_sel_hi:[1,1,0] neg_lo:[0,0,1] neg_hi:[0,0,1]
	v_pk_fma_f32 v[88:89], v[88:89], v[78:79], v[92:93] op_sel:[0,0,1] op_sel_hi:[1,0,0]
	v_mov_b32_e32 v95, v89
	v_pk_mul_f32 v[88:89], v[90:91], v[80:81] op_sel:[0,1]
	s_delay_alu instid0(VALU_DEP_1) | instskip(SKIP_1) | instid1(VALU_DEP_1)
	v_pk_fma_f32 v[92:93], v[90:91], v[78:79], v[88:89] op_sel:[0,0,1] op_sel_hi:[1,1,0] neg_lo:[0,0,1] neg_hi:[0,0,1]
	v_pk_fma_f32 v[88:89], v[90:91], v[78:79], v[88:89] op_sel:[0,0,1] op_sel_hi:[1,0,0]
	v_mov_b32_e32 v93, v89
	ds_load_2addr_b64 v[88:91], v82 offset0:34 offset1:35
	v_pk_add_f32 v[24:25], v[24:25], v[94:95] neg_lo:[0,1] neg_hi:[0,1]
	v_pk_add_f32 v[20:21], v[20:21], v[92:93] neg_lo:[0,1] neg_hi:[0,1]
	s_wait_dscnt 0x0
	v_dual_mul_f32 v92, v89, v81 :: v_dual_mul_f32 v94, v89, v78
	v_pk_mul_f32 v[80:81], v[90:91], v[80:81] op_sel:[0,1]
	s_delay_alu instid0(VALU_DEP_2) | instskip(NEXT) | instid1(VALU_DEP_3)
	v_pk_fma_f32 v[92:93], v[88:89], v[22:23], v[92:93] op_sel_hi:[1,1,0] neg_lo:[0,0,1] neg_hi:[0,0,1]
	v_pk_fma_f32 v[88:89], v[88:89], v[22:23], v[94:95] op_sel:[1,0,0] op_sel_hi:[0,1,0]
	s_delay_alu instid0(VALU_DEP_1) | instskip(NEXT) | instid1(VALU_DEP_4)
	v_mov_b32_e32 v93, v89
	v_pk_fma_f32 v[88:89], v[90:91], v[78:79], v[80:81] op_sel:[0,0,1] op_sel_hi:[1,1,0] neg_lo:[0,0,1] neg_hi:[0,0,1]
	v_pk_fma_f32 v[78:79], v[90:91], v[78:79], v[80:81] op_sel:[0,0,1] op_sel_hi:[1,0,0]
	s_delay_alu instid0(VALU_DEP_1) | instskip(NEXT) | instid1(VALU_DEP_4)
	v_mov_b32_e32 v89, v79
	v_pk_add_f32 v[18:19], v[18:19], v[92:93] neg_lo:[0,1] neg_hi:[0,1]
	s_delay_alu instid0(VALU_DEP_2)
	v_pk_add_f32 v[76:77], v[76:77], v[88:89] neg_lo:[0,1] neg_hi:[0,1]
.LBB70_335:
	s_or_b32 exec_lo, exec_lo, s0
	v_lshl_add_u32 v78, v86, 3, v82
	s_barrier_signal -1
	s_barrier_wait -1
	ds_store_b64 v78, v[60:61]
	s_wait_dscnt 0x0
	s_barrier_signal -1
	s_barrier_wait -1
	ds_load_b64 v[80:81], v82 offset:128
	v_mov_b32_e32 v78, 16
	s_cmp_lt_i32 s18, 18
	s_cbranch_scc1 .LBB70_338
; %bb.336:
	v_add3_u32 v79, v83, 0, 0x88
	v_mov_b32_e32 v78, 16
	s_mov_b32 s0, 17
.LBB70_337:                             ; =>This Inner Loop Header: Depth=1
	ds_load_b64 v[88:89], v79
	s_wait_dscnt 0x1
	v_cmp_gt_f32_e32 vcc_lo, 0, v80
	v_cndmask_b32_e64 v90, v80, -v80, vcc_lo
	v_cmp_gt_f32_e32 vcc_lo, 0, v81
	v_cndmask_b32_e64 v92, v81, -v81, vcc_lo
	s_wait_dscnt 0x0
	v_cmp_gt_f32_e32 vcc_lo, 0, v88
	v_cndmask_b32_e64 v91, v88, -v88, vcc_lo
	v_cmp_gt_f32_e32 vcc_lo, 0, v89
	v_cndmask_b32_e64 v93, v89, -v89, vcc_lo
	s_delay_alu instid0(VALU_DEP_1) | instskip(NEXT) | instid1(VALU_DEP_1)
	v_pk_add_f32 v[90:91], v[90:91], v[92:93]
	v_cmp_lt_f32_e32 vcc_lo, v90, v91
	v_dual_add_nc_u32 v79, 8, v79 :: v_dual_cndmask_b32 v81, v81, v89, vcc_lo
	v_cndmask_b32_e32 v80, v80, v88, vcc_lo
	v_cndmask_b32_e64 v78, v78, s0, vcc_lo
	s_add_co_i32 s0, s0, 1
	s_delay_alu instid0(SALU_CYCLE_1)
	s_cmp_lg_u32 s18, s0
	s_cbranch_scc1 .LBB70_337
.LBB70_338:
	s_wait_dscnt 0x0
	v_cmp_eq_f32_e32 vcc_lo, 0, v80
	v_cmp_eq_f32_e64 s0, 0, v81
	s_and_b32 s0, vcc_lo, s0
	s_delay_alu instid0(SALU_CYCLE_1) | instskip(NEXT) | instid1(SALU_CYCLE_1)
	s_and_saveexec_b32 s1, s0
	s_xor_b32 s0, exec_lo, s1
; %bb.339:
	v_cmp_ne_u32_e32 vcc_lo, 0, v84
	v_cndmask_b32_e32 v84, 17, v84, vcc_lo
; %bb.340:
	s_and_not1_saveexec_b32 s0, s0
	s_cbranch_execz .LBB70_346
; %bb.341:
	v_cmp_ngt_f32_e64 s1, |v80|, |v81|
	s_and_saveexec_b32 s12, s1
	s_delay_alu instid0(SALU_CYCLE_1)
	s_xor_b32 s1, exec_lo, s12
	s_cbranch_execz .LBB70_343
; %bb.342:
	v_div_scale_f32 v79, null, v81, v81, v80
	v_div_scale_f32 v89, vcc_lo, v80, v81, v80
	s_delay_alu instid0(VALU_DEP_2) | instskip(SKIP_1) | instid1(TRANS32_DEP_1)
	v_rcp_f32_e32 v87, v79
	v_nop
	v_fma_f32 v88, -v79, v87, 1.0
	s_delay_alu instid0(VALU_DEP_1) | instskip(NEXT) | instid1(VALU_DEP_1)
	v_fmac_f32_e32 v87, v88, v87
	v_mul_f32_e32 v88, v89, v87
	s_delay_alu instid0(VALU_DEP_1) | instskip(NEXT) | instid1(VALU_DEP_1)
	v_fma_f32 v90, -v79, v88, v89
	v_fmac_f32_e32 v88, v90, v87
	s_delay_alu instid0(VALU_DEP_1) | instskip(NEXT) | instid1(VALU_DEP_1)
	v_fma_f32 v79, -v79, v88, v89
	v_div_fmas_f32 v79, v79, v87, v88
	s_delay_alu instid0(VALU_DEP_1) | instskip(NEXT) | instid1(VALU_DEP_1)
	v_div_fixup_f32 v79, v79, v81, v80
	v_fmac_f32_e32 v81, v80, v79
	s_delay_alu instid0(VALU_DEP_1) | instskip(SKIP_1) | instid1(VALU_DEP_2)
	v_div_scale_f32 v80, null, v81, v81, 1.0
	v_div_scale_f32 v89, vcc_lo, 1.0, v81, 1.0
	v_rcp_f32_e32 v87, v80
	v_nop
	s_delay_alu instid0(TRANS32_DEP_1) | instskip(NEXT) | instid1(VALU_DEP_1)
	v_fma_f32 v88, -v80, v87, 1.0
	v_fmac_f32_e32 v87, v88, v87
	s_delay_alu instid0(VALU_DEP_1) | instskip(NEXT) | instid1(VALU_DEP_1)
	v_mul_f32_e32 v88, v89, v87
	v_fma_f32 v90, -v80, v88, v89
	s_delay_alu instid0(VALU_DEP_1) | instskip(NEXT) | instid1(VALU_DEP_1)
	v_fmac_f32_e32 v88, v90, v87
	v_fma_f32 v80, -v80, v88, v89
	s_delay_alu instid0(VALU_DEP_1) | instskip(NEXT) | instid1(VALU_DEP_1)
	v_div_fmas_f32 v80, v80, v87, v88
	v_div_fixup_f32 v81, v80, v81, 1.0
	s_delay_alu instid0(VALU_DEP_1)
	v_mul_f32_e32 v80, v79, v81
	v_xor_b32_e32 v81, 0x80000000, v81
.LBB70_343:
	s_and_not1_saveexec_b32 s1, s1
	s_cbranch_execz .LBB70_345
; %bb.344:
	s_delay_alu instid0(VALU_DEP_1) | instskip(SKIP_1) | instid1(VALU_DEP_2)
	v_div_scale_f32 v79, null, v80, v80, v81
	v_div_scale_f32 v89, vcc_lo, v81, v80, v81
	v_rcp_f32_e32 v87, v79
	v_nop
	s_delay_alu instid0(TRANS32_DEP_1) | instskip(NEXT) | instid1(VALU_DEP_1)
	v_fma_f32 v88, -v79, v87, 1.0
	v_fmac_f32_e32 v87, v88, v87
	s_delay_alu instid0(VALU_DEP_1) | instskip(NEXT) | instid1(VALU_DEP_1)
	v_mul_f32_e32 v88, v89, v87
	v_fma_f32 v90, -v79, v88, v89
	s_delay_alu instid0(VALU_DEP_1) | instskip(NEXT) | instid1(VALU_DEP_1)
	v_fmac_f32_e32 v88, v90, v87
	v_fma_f32 v79, -v79, v88, v89
	s_delay_alu instid0(VALU_DEP_1) | instskip(NEXT) | instid1(VALU_DEP_1)
	v_div_fmas_f32 v79, v79, v87, v88
	v_div_fixup_f32 v79, v79, v80, v81
	s_delay_alu instid0(VALU_DEP_1) | instskip(NEXT) | instid1(VALU_DEP_1)
	v_fmac_f32_e32 v80, v81, v79
	v_div_scale_f32 v81, null, v80, v80, 1.0
	s_delay_alu instid0(VALU_DEP_1) | instskip(SKIP_1) | instid1(TRANS32_DEP_1)
	v_rcp_f32_e32 v87, v81
	v_nop
	v_fma_f32 v88, -v81, v87, 1.0
	s_delay_alu instid0(VALU_DEP_1) | instskip(SKIP_1) | instid1(VALU_DEP_1)
	v_fmac_f32_e32 v87, v88, v87
	v_div_scale_f32 v88, vcc_lo, 1.0, v80, 1.0
	v_mul_f32_e32 v89, v88, v87
	s_delay_alu instid0(VALU_DEP_1) | instskip(NEXT) | instid1(VALU_DEP_1)
	v_fma_f32 v90, -v81, v89, v88
	v_fmac_f32_e32 v89, v90, v87
	s_delay_alu instid0(VALU_DEP_1) | instskip(NEXT) | instid1(VALU_DEP_1)
	v_fma_f32 v81, -v81, v89, v88
	v_div_fmas_f32 v81, v81, v87, v89
	s_delay_alu instid0(VALU_DEP_1) | instskip(NEXT) | instid1(VALU_DEP_1)
	v_div_fixup_f32 v80, v81, v80, 1.0
	v_mul_f32_e64 v81, v79, -v80
.LBB70_345:
	s_or_b32 exec_lo, exec_lo, s1
.LBB70_346:
	s_delay_alu instid0(SALU_CYCLE_1) | instskip(NEXT) | instid1(SALU_CYCLE_1)
	s_or_b32 exec_lo, exec_lo, s0
	s_mov_b32 s0, exec_lo
	v_cmpx_ne_u32_e64 v86, v78
	s_xor_b32 s0, exec_lo, s0
	s_cbranch_execz .LBB70_352
; %bb.347:
	s_mov_b32 s1, exec_lo
	v_cmpx_eq_u32_e32 16, v86
	s_cbranch_execz .LBB70_351
; %bb.348:
	v_cmp_ne_u32_e32 vcc_lo, 16, v78
	s_xor_b32 s12, s16, -1
	s_delay_alu instid0(SALU_CYCLE_1) | instskip(NEXT) | instid1(SALU_CYCLE_1)
	s_and_b32 s13, s12, vcc_lo
	s_and_saveexec_b32 s12, s13
	s_cbranch_execz .LBB70_350
; %bb.349:
	v_ashrrev_i32_e32 v79, 31, v78
	s_delay_alu instid0(VALU_DEP_1)
	v_lshl_add_u64 v[86:87], v[78:79], 2, v[4:5]
	s_clause 0x1
	global_load_b32 v79, v[86:87], off
	global_load_b32 v85, v[4:5], off offset:64
	s_wait_loadcnt 0x1
	global_store_b32 v[4:5], v79, off offset:64
	s_wait_loadcnt 0x0
	global_store_b32 v[86:87], v85, off
.LBB70_350:
	s_wait_xcnt 0x0
	s_or_b32 exec_lo, exec_lo, s12
	v_dual_mov_b32 v86, v78 :: v_dual_mov_b32 v85, v78
.LBB70_351:
	s_or_b32 exec_lo, exec_lo, s1
.LBB70_352:
	s_and_not1_saveexec_b32 s0, s0
	s_cbranch_execz .LBB70_354
; %bb.353:
	v_mov_b32_e32 v86, 16
	ds_store_2addr_b64 v82, v[56:57], v[58:59] offset0:17 offset1:18
	ds_store_2addr_b64 v82, v[16:17], v[54:55] offset0:19 offset1:20
	;; [unrolled: 1-line block ×9, first 2 shown]
	ds_store_b64 v82, v[76:77] offset:280
.LBB70_354:
	s_or_b32 exec_lo, exec_lo, s0
	s_delay_alu instid0(SALU_CYCLE_1)
	s_mov_b32 s0, exec_lo
	s_wait_storecnt_dscnt 0x0
	s_barrier_signal -1
	s_barrier_wait -1
	v_cmpx_lt_i32_e32 16, v86
	s_cbranch_execz .LBB70_356
; %bb.355:
	v_pk_mul_f32 v[88:89], v[80:81], v[60:61] op_sel:[1,1] op_sel_hi:[0,1]
	s_delay_alu instid0(VALU_DEP_1)
	v_pk_fma_f32 v[78:79], v[80:81], v[60:61], v[88:89] op_sel_hi:[1,0,1] neg_lo:[0,0,1] neg_hi:[0,0,1]
	v_pk_fma_f32 v[80:81], v[80:81], v[60:61], v[88:89] op_sel_hi:[1,0,1]
	ds_load_2addr_b64 v[88:91], v82 offset0:17 offset1:18
	v_dual_mov_b32 v60, v78 :: v_dual_mov_b32 v61, v81
	s_wait_dscnt 0x0
	v_pk_mul_f32 v[92:93], v[88:89], v[80:81] op_sel:[0,1]
	s_delay_alu instid0(VALU_DEP_1) | instskip(SKIP_1) | instid1(VALU_DEP_1)
	v_pk_fma_f32 v[94:95], v[88:89], v[78:79], v[92:93] op_sel:[0,0,1] op_sel_hi:[1,1,0] neg_lo:[0,0,1] neg_hi:[0,0,1]
	v_pk_fma_f32 v[88:89], v[88:89], v[78:79], v[92:93] op_sel:[0,0,1] op_sel_hi:[1,0,0]
	v_mov_b32_e32 v95, v89
	v_pk_mul_f32 v[88:89], v[90:91], v[80:81] op_sel:[0,1]
	s_delay_alu instid0(VALU_DEP_1) | instskip(SKIP_1) | instid1(VALU_DEP_1)
	v_pk_fma_f32 v[92:93], v[90:91], v[78:79], v[88:89] op_sel:[0,0,1] op_sel_hi:[1,1,0] neg_lo:[0,0,1] neg_hi:[0,0,1]
	v_pk_fma_f32 v[88:89], v[90:91], v[78:79], v[88:89] op_sel:[0,0,1] op_sel_hi:[1,0,0]
	v_mov_b32_e32 v93, v89
	ds_load_2addr_b64 v[88:91], v82 offset0:19 offset1:20
	v_pk_add_f32 v[56:57], v[56:57], v[94:95] neg_lo:[0,1] neg_hi:[0,1]
	v_pk_add_f32 v[58:59], v[58:59], v[92:93] neg_lo:[0,1] neg_hi:[0,1]
	s_wait_dscnt 0x0
	v_pk_mul_f32 v[92:93], v[88:89], v[80:81] op_sel:[0,1]
	s_delay_alu instid0(VALU_DEP_1) | instskip(SKIP_2) | instid1(VALU_DEP_2)
	v_pk_fma_f32 v[94:95], v[88:89], v[78:79], v[92:93] op_sel:[0,0,1] op_sel_hi:[1,1,0] neg_lo:[0,0,1] neg_hi:[0,0,1]
	v_pk_fma_f32 v[88:89], v[88:89], v[78:79], v[92:93] op_sel:[0,0,1] op_sel_hi:[1,0,0]
	v_dual_mul_f32 v92, v91, v81 :: v_dual_mov_b32 v88, v91
	v_dual_mov_b32 v95, v89 :: v_dual_mov_b32 v89, v90
	s_delay_alu instid0(VALU_DEP_2) | instskip(SKIP_1) | instid1(VALU_DEP_3)
	v_pk_fma_f32 v[92:93], v[90:91], v[60:61], v[92:93] op_sel_hi:[1,1,0] neg_lo:[0,0,1] neg_hi:[0,0,1]
	v_mul_f32_e32 v90, v91, v78
	v_pk_add_f32 v[16:17], v[16:17], v[94:95] neg_lo:[0,1] neg_hi:[0,1]
	s_delay_alu instid0(VALU_DEP_2) | instskip(NEXT) | instid1(VALU_DEP_1)
	v_pk_fma_f32 v[88:89], v[88:89], v[60:61], v[90:91] op_sel_hi:[1,1,0]
	v_mov_b32_e32 v93, v89
	ds_load_2addr_b64 v[88:91], v82 offset0:21 offset1:22
	v_pk_add_f32 v[54:55], v[54:55], v[92:93] neg_lo:[0,1] neg_hi:[0,1]
	s_wait_dscnt 0x0
	v_pk_mul_f32 v[92:93], v[88:89], v[80:81] op_sel:[0,1]
	s_delay_alu instid0(VALU_DEP_1) | instskip(SKIP_1) | instid1(VALU_DEP_1)
	v_pk_fma_f32 v[94:95], v[88:89], v[78:79], v[92:93] op_sel:[0,0,1] op_sel_hi:[1,1,0] neg_lo:[0,0,1] neg_hi:[0,0,1]
	v_pk_fma_f32 v[88:89], v[88:89], v[78:79], v[92:93] op_sel:[0,0,1] op_sel_hi:[1,0,0]
	v_mov_b32_e32 v95, v89
	v_pk_mul_f32 v[88:89], v[90:91], v[80:81] op_sel:[0,1]
	s_delay_alu instid0(VALU_DEP_1) | instskip(SKIP_1) | instid1(VALU_DEP_1)
	v_pk_fma_f32 v[92:93], v[90:91], v[78:79], v[88:89] op_sel:[0,0,1] op_sel_hi:[1,1,0] neg_lo:[0,0,1] neg_hi:[0,0,1]
	v_pk_fma_f32 v[88:89], v[90:91], v[78:79], v[88:89] op_sel:[0,0,1] op_sel_hi:[1,0,0]
	v_mov_b32_e32 v93, v89
	ds_load_2addr_b64 v[88:91], v82 offset0:23 offset1:24
	v_pk_add_f32 v[50:51], v[50:51], v[94:95] neg_lo:[0,1] neg_hi:[0,1]
	v_pk_add_f32 v[52:53], v[52:53], v[92:93] neg_lo:[0,1] neg_hi:[0,1]
	s_wait_dscnt 0x0
	v_pk_mul_f32 v[92:93], v[88:89], v[80:81] op_sel:[0,1]
	s_delay_alu instid0(VALU_DEP_1) | instskip(SKIP_1) | instid1(VALU_DEP_1)
	v_pk_fma_f32 v[94:95], v[88:89], v[78:79], v[92:93] op_sel:[0,0,1] op_sel_hi:[1,1,0] neg_lo:[0,0,1] neg_hi:[0,0,1]
	v_pk_fma_f32 v[88:89], v[88:89], v[78:79], v[92:93] op_sel:[0,0,1] op_sel_hi:[1,0,0]
	v_mov_b32_e32 v95, v89
	v_pk_mul_f32 v[88:89], v[90:91], v[80:81] op_sel:[0,1]
	s_delay_alu instid0(VALU_DEP_1) | instskip(SKIP_1) | instid1(VALU_DEP_1)
	v_pk_fma_f32 v[92:93], v[90:91], v[78:79], v[88:89] op_sel:[0,0,1] op_sel_hi:[1,1,0] neg_lo:[0,0,1] neg_hi:[0,0,1]
	v_pk_fma_f32 v[88:89], v[90:91], v[78:79], v[88:89] op_sel:[0,0,1] op_sel_hi:[1,0,0]
	v_mov_b32_e32 v93, v89
	ds_load_2addr_b64 v[88:91], v82 offset0:25 offset1:26
	v_pk_add_f32 v[14:15], v[14:15], v[94:95] neg_lo:[0,1] neg_hi:[0,1]
	v_pk_add_f32 v[38:39], v[38:39], v[92:93] neg_lo:[0,1] neg_hi:[0,1]
	s_wait_dscnt 0x0
	v_dual_mul_f32 v92, v89, v81 :: v_dual_mul_f32 v94, v89, v78
	s_delay_alu instid0(VALU_DEP_1) | instskip(NEXT) | instid1(VALU_DEP_2)
	v_pk_fma_f32 v[92:93], v[88:89], v[60:61], v[92:93] op_sel_hi:[1,1,0] neg_lo:[0,0,1] neg_hi:[0,0,1]
	v_pk_fma_f32 v[88:89], v[88:89], v[60:61], v[94:95] op_sel:[1,0,0] op_sel_hi:[0,1,0]
	s_delay_alu instid0(VALU_DEP_1) | instskip(SKIP_1) | instid1(VALU_DEP_2)
	v_mov_b32_e32 v93, v89
	v_pk_mul_f32 v[88:89], v[90:91], v[80:81] op_sel:[0,1]
	v_pk_add_f32 v[32:33], v[32:33], v[92:93] neg_lo:[0,1] neg_hi:[0,1]
	s_delay_alu instid0(VALU_DEP_2) | instskip(SKIP_1) | instid1(VALU_DEP_1)
	v_pk_fma_f32 v[92:93], v[90:91], v[78:79], v[88:89] op_sel:[0,0,1] op_sel_hi:[1,1,0] neg_lo:[0,0,1] neg_hi:[0,0,1]
	v_pk_fma_f32 v[88:89], v[90:91], v[78:79], v[88:89] op_sel:[0,0,1] op_sel_hi:[1,0,0]
	v_mov_b32_e32 v93, v89
	ds_load_2addr_b64 v[88:91], v82 offset0:27 offset1:28
	v_pk_add_f32 v[36:37], v[36:37], v[92:93] neg_lo:[0,1] neg_hi:[0,1]
	s_wait_dscnt 0x0
	v_pk_mul_f32 v[92:93], v[88:89], v[80:81] op_sel:[0,1]
	s_delay_alu instid0(VALU_DEP_1) | instskip(SKIP_1) | instid1(VALU_DEP_1)
	v_pk_fma_f32 v[94:95], v[88:89], v[78:79], v[92:93] op_sel:[0,0,1] op_sel_hi:[1,1,0] neg_lo:[0,0,1] neg_hi:[0,0,1]
	v_pk_fma_f32 v[88:89], v[88:89], v[78:79], v[92:93] op_sel:[0,0,1] op_sel_hi:[1,0,0]
	v_mov_b32_e32 v95, v89
	v_pk_mul_f32 v[88:89], v[90:91], v[80:81] op_sel:[0,1]
	s_delay_alu instid0(VALU_DEP_2) | instskip(NEXT) | instid1(VALU_DEP_2)
	v_pk_add_f32 v[6:7], v[6:7], v[94:95] neg_lo:[0,1] neg_hi:[0,1]
	v_pk_fma_f32 v[92:93], v[90:91], v[78:79], v[88:89] op_sel:[0,0,1] op_sel_hi:[1,1,0] neg_lo:[0,0,1] neg_hi:[0,0,1]
	v_pk_fma_f32 v[88:89], v[90:91], v[78:79], v[88:89] op_sel:[0,0,1] op_sel_hi:[1,0,0]
	s_delay_alu instid0(VALU_DEP_1) | instskip(SKIP_4) | instid1(VALU_DEP_1)
	v_mov_b32_e32 v93, v89
	ds_load_2addr_b64 v[88:91], v82 offset0:29 offset1:30
	v_pk_add_f32 v[30:31], v[30:31], v[92:93] neg_lo:[0,1] neg_hi:[0,1]
	s_wait_dscnt 0x0
	v_pk_mul_f32 v[92:93], v[88:89], v[80:81] op_sel:[0,1]
	v_pk_fma_f32 v[94:95], v[88:89], v[78:79], v[92:93] op_sel:[0,0,1] op_sel_hi:[1,1,0] neg_lo:[0,0,1] neg_hi:[0,0,1]
	v_pk_fma_f32 v[88:89], v[88:89], v[78:79], v[92:93] op_sel:[0,0,1] op_sel_hi:[1,0,0]
	v_dual_mul_f32 v92, v91, v81 :: v_dual_mov_b32 v88, v91
	s_delay_alu instid0(VALU_DEP_2) | instskip(NEXT) | instid1(VALU_DEP_2)
	v_dual_mov_b32 v95, v89 :: v_dual_mov_b32 v89, v90
	v_pk_fma_f32 v[92:93], v[90:91], v[60:61], v[92:93] op_sel_hi:[1,1,0] neg_lo:[0,0,1] neg_hi:[0,0,1]
	v_mul_f32_e32 v90, v91, v78
	s_delay_alu instid0(VALU_DEP_3) | instskip(NEXT) | instid1(VALU_DEP_2)
	v_pk_add_f32 v[26:27], v[26:27], v[94:95] neg_lo:[0,1] neg_hi:[0,1]
	v_pk_fma_f32 v[88:89], v[88:89], v[60:61], v[90:91] op_sel_hi:[1,1,0]
	s_delay_alu instid0(VALU_DEP_1) | instskip(SKIP_4) | instid1(VALU_DEP_1)
	v_mov_b32_e32 v93, v89
	ds_load_2addr_b64 v[88:91], v82 offset0:31 offset1:32
	v_pk_add_f32 v[28:29], v[28:29], v[92:93] neg_lo:[0,1] neg_hi:[0,1]
	s_wait_dscnt 0x0
	v_pk_mul_f32 v[92:93], v[88:89], v[80:81] op_sel:[0,1]
	v_pk_fma_f32 v[94:95], v[88:89], v[78:79], v[92:93] op_sel:[0,0,1] op_sel_hi:[1,1,0] neg_lo:[0,0,1] neg_hi:[0,0,1]
	v_pk_fma_f32 v[88:89], v[88:89], v[78:79], v[92:93] op_sel:[0,0,1] op_sel_hi:[1,0,0]
	s_delay_alu instid0(VALU_DEP_1) | instskip(SKIP_1) | instid1(VALU_DEP_1)
	v_mov_b32_e32 v95, v89
	v_pk_mul_f32 v[88:89], v[90:91], v[80:81] op_sel:[0,1]
	v_pk_fma_f32 v[92:93], v[90:91], v[78:79], v[88:89] op_sel:[0,0,1] op_sel_hi:[1,1,0] neg_lo:[0,0,1] neg_hi:[0,0,1]
	v_pk_fma_f32 v[88:89], v[90:91], v[78:79], v[88:89] op_sel:[0,0,1] op_sel_hi:[1,0,0]
	s_delay_alu instid0(VALU_DEP_1)
	v_mov_b32_e32 v93, v89
	ds_load_2addr_b64 v[88:91], v82 offset0:33 offset1:34
	v_pk_add_f32 v[10:11], v[10:11], v[94:95] neg_lo:[0,1] neg_hi:[0,1]
	v_pk_add_f32 v[24:25], v[24:25], v[92:93] neg_lo:[0,1] neg_hi:[0,1]
	s_wait_dscnt 0x0
	v_pk_mul_f32 v[92:93], v[88:89], v[80:81] op_sel:[0,1]
	s_delay_alu instid0(VALU_DEP_1) | instskip(SKIP_1) | instid1(VALU_DEP_1)
	v_pk_fma_f32 v[94:95], v[88:89], v[78:79], v[92:93] op_sel:[0,0,1] op_sel_hi:[1,1,0] neg_lo:[0,0,1] neg_hi:[0,0,1]
	v_pk_fma_f32 v[88:89], v[88:89], v[78:79], v[92:93] op_sel:[0,0,1] op_sel_hi:[1,0,0]
	v_mov_b32_e32 v95, v89
	v_pk_mul_f32 v[88:89], v[90:91], v[80:81] op_sel:[0,1]
	s_delay_alu instid0(VALU_DEP_1) | instskip(SKIP_1) | instid1(VALU_DEP_1)
	v_pk_fma_f32 v[92:93], v[90:91], v[78:79], v[88:89] op_sel:[0,0,1] op_sel_hi:[1,1,0] neg_lo:[0,0,1] neg_hi:[0,0,1]
	v_pk_fma_f32 v[88:89], v[90:91], v[78:79], v[88:89] op_sel:[0,0,1] op_sel_hi:[1,0,0]
	v_mov_b32_e32 v93, v89
	ds_load_b64 v[88:89], v82 offset:280
	v_pk_add_f32 v[20:21], v[20:21], v[94:95] neg_lo:[0,1] neg_hi:[0,1]
	v_pk_add_f32 v[18:19], v[18:19], v[92:93] neg_lo:[0,1] neg_hi:[0,1]
	s_wait_dscnt 0x0
	v_pk_mul_f32 v[80:81], v[88:89], v[80:81] op_sel:[0,1]
	s_delay_alu instid0(VALU_DEP_1) | instskip(SKIP_1) | instid1(VALU_DEP_1)
	v_pk_fma_f32 v[90:91], v[88:89], v[78:79], v[80:81] op_sel:[0,0,1] op_sel_hi:[1,1,0] neg_lo:[0,0,1] neg_hi:[0,0,1]
	v_pk_fma_f32 v[78:79], v[88:89], v[78:79], v[80:81] op_sel:[0,0,1] op_sel_hi:[1,0,0]
	v_mov_b32_e32 v91, v79
	s_delay_alu instid0(VALU_DEP_1)
	v_pk_add_f32 v[76:77], v[76:77], v[90:91] neg_lo:[0,1] neg_hi:[0,1]
.LBB70_356:
	s_or_b32 exec_lo, exec_lo, s0
	v_lshl_add_u32 v78, v86, 3, v82
	s_barrier_signal -1
	s_barrier_wait -1
	ds_store_b64 v78, v[56:57]
	s_wait_dscnt 0x0
	s_barrier_signal -1
	s_barrier_wait -1
	ds_load_b64 v[78:79], v82 offset:136
	v_mov_b32_e32 v80, 17
	s_cmp_lt_i32 s18, 19
	s_cbranch_scc1 .LBB70_359
; %bb.357:
	v_add3_u32 v81, v83, 0, 0x90
	v_mov_b32_e32 v80, 17
	s_mov_b32 s0, 18
.LBB70_358:                             ; =>This Inner Loop Header: Depth=1
	ds_load_b64 v[88:89], v81
	s_wait_dscnt 0x1
	v_cmp_gt_f32_e32 vcc_lo, 0, v78
	v_cndmask_b32_e64 v90, v78, -v78, vcc_lo
	v_cmp_gt_f32_e32 vcc_lo, 0, v79
	v_cndmask_b32_e64 v92, v79, -v79, vcc_lo
	s_wait_dscnt 0x0
	v_cmp_gt_f32_e32 vcc_lo, 0, v88
	v_cndmask_b32_e64 v91, v88, -v88, vcc_lo
	v_cmp_gt_f32_e32 vcc_lo, 0, v89
	v_cndmask_b32_e64 v93, v89, -v89, vcc_lo
	s_delay_alu instid0(VALU_DEP_1) | instskip(NEXT) | instid1(VALU_DEP_1)
	v_pk_add_f32 v[90:91], v[90:91], v[92:93]
	v_cmp_lt_f32_e32 vcc_lo, v90, v91
	v_dual_cndmask_b32 v78, v78, v88 :: v_dual_add_nc_u32 v81, 8, v81
	v_cndmask_b32_e32 v79, v79, v89, vcc_lo
	v_cndmask_b32_e64 v80, v80, s0, vcc_lo
	s_add_co_i32 s0, s0, 1
	s_delay_alu instid0(SALU_CYCLE_1)
	s_cmp_lg_u32 s18, s0
	s_cbranch_scc1 .LBB70_358
.LBB70_359:
	s_wait_dscnt 0x0
	v_cmp_eq_f32_e32 vcc_lo, 0, v78
	v_cmp_eq_f32_e64 s0, 0, v79
	s_and_b32 s0, vcc_lo, s0
	s_delay_alu instid0(SALU_CYCLE_1) | instskip(NEXT) | instid1(SALU_CYCLE_1)
	s_and_saveexec_b32 s1, s0
	s_xor_b32 s0, exec_lo, s1
; %bb.360:
	v_cmp_ne_u32_e32 vcc_lo, 0, v84
	v_cndmask_b32_e32 v84, 18, v84, vcc_lo
; %bb.361:
	s_and_not1_saveexec_b32 s0, s0
	s_cbranch_execz .LBB70_367
; %bb.362:
	v_cmp_ngt_f32_e64 s1, |v78|, |v79|
	s_and_saveexec_b32 s12, s1
	s_delay_alu instid0(SALU_CYCLE_1)
	s_xor_b32 s1, exec_lo, s12
	s_cbranch_execz .LBB70_364
; %bb.363:
	v_div_scale_f32 v81, null, v79, v79, v78
	v_div_scale_f32 v89, vcc_lo, v78, v79, v78
	s_delay_alu instid0(VALU_DEP_2) | instskip(SKIP_1) | instid1(TRANS32_DEP_1)
	v_rcp_f32_e32 v87, v81
	v_nop
	v_fma_f32 v88, -v81, v87, 1.0
	s_delay_alu instid0(VALU_DEP_1) | instskip(NEXT) | instid1(VALU_DEP_1)
	v_fmac_f32_e32 v87, v88, v87
	v_mul_f32_e32 v88, v89, v87
	s_delay_alu instid0(VALU_DEP_1) | instskip(NEXT) | instid1(VALU_DEP_1)
	v_fma_f32 v90, -v81, v88, v89
	v_fmac_f32_e32 v88, v90, v87
	s_delay_alu instid0(VALU_DEP_1) | instskip(NEXT) | instid1(VALU_DEP_1)
	v_fma_f32 v81, -v81, v88, v89
	v_div_fmas_f32 v81, v81, v87, v88
	s_delay_alu instid0(VALU_DEP_1) | instskip(NEXT) | instid1(VALU_DEP_1)
	v_div_fixup_f32 v81, v81, v79, v78
	v_fmac_f32_e32 v79, v78, v81
	s_delay_alu instid0(VALU_DEP_1) | instskip(SKIP_1) | instid1(VALU_DEP_2)
	v_div_scale_f32 v78, null, v79, v79, 1.0
	v_div_scale_f32 v89, vcc_lo, 1.0, v79, 1.0
	v_rcp_f32_e32 v87, v78
	v_nop
	s_delay_alu instid0(TRANS32_DEP_1) | instskip(NEXT) | instid1(VALU_DEP_1)
	v_fma_f32 v88, -v78, v87, 1.0
	v_fmac_f32_e32 v87, v88, v87
	s_delay_alu instid0(VALU_DEP_1) | instskip(NEXT) | instid1(VALU_DEP_1)
	v_mul_f32_e32 v88, v89, v87
	v_fma_f32 v90, -v78, v88, v89
	s_delay_alu instid0(VALU_DEP_1) | instskip(NEXT) | instid1(VALU_DEP_1)
	v_fmac_f32_e32 v88, v90, v87
	v_fma_f32 v78, -v78, v88, v89
	s_delay_alu instid0(VALU_DEP_1) | instskip(NEXT) | instid1(VALU_DEP_1)
	v_div_fmas_f32 v78, v78, v87, v88
	v_div_fixup_f32 v79, v78, v79, 1.0
	s_delay_alu instid0(VALU_DEP_1)
	v_mul_f32_e32 v78, v81, v79
	v_xor_b32_e32 v79, 0x80000000, v79
.LBB70_364:
	s_and_not1_saveexec_b32 s1, s1
	s_cbranch_execz .LBB70_366
; %bb.365:
	s_delay_alu instid0(VALU_DEP_1) | instskip(SKIP_1) | instid1(VALU_DEP_2)
	v_div_scale_f32 v81, null, v78, v78, v79
	v_div_scale_f32 v89, vcc_lo, v79, v78, v79
	v_rcp_f32_e32 v87, v81
	v_nop
	s_delay_alu instid0(TRANS32_DEP_1) | instskip(NEXT) | instid1(VALU_DEP_1)
	v_fma_f32 v88, -v81, v87, 1.0
	v_fmac_f32_e32 v87, v88, v87
	s_delay_alu instid0(VALU_DEP_1) | instskip(NEXT) | instid1(VALU_DEP_1)
	v_mul_f32_e32 v88, v89, v87
	v_fma_f32 v90, -v81, v88, v89
	s_delay_alu instid0(VALU_DEP_1) | instskip(NEXT) | instid1(VALU_DEP_1)
	v_fmac_f32_e32 v88, v90, v87
	v_fma_f32 v81, -v81, v88, v89
	s_delay_alu instid0(VALU_DEP_1) | instskip(NEXT) | instid1(VALU_DEP_1)
	v_div_fmas_f32 v81, v81, v87, v88
	v_div_fixup_f32 v81, v81, v78, v79
	s_delay_alu instid0(VALU_DEP_1) | instskip(NEXT) | instid1(VALU_DEP_1)
	v_fmac_f32_e32 v78, v79, v81
	v_div_scale_f32 v79, null, v78, v78, 1.0
	s_delay_alu instid0(VALU_DEP_1) | instskip(SKIP_1) | instid1(TRANS32_DEP_1)
	v_rcp_f32_e32 v87, v79
	v_nop
	v_fma_f32 v88, -v79, v87, 1.0
	s_delay_alu instid0(VALU_DEP_1) | instskip(SKIP_1) | instid1(VALU_DEP_1)
	v_fmac_f32_e32 v87, v88, v87
	v_div_scale_f32 v88, vcc_lo, 1.0, v78, 1.0
	v_mul_f32_e32 v89, v88, v87
	s_delay_alu instid0(VALU_DEP_1) | instskip(NEXT) | instid1(VALU_DEP_1)
	v_fma_f32 v90, -v79, v89, v88
	v_fmac_f32_e32 v89, v90, v87
	s_delay_alu instid0(VALU_DEP_1) | instskip(NEXT) | instid1(VALU_DEP_1)
	v_fma_f32 v79, -v79, v89, v88
	v_div_fmas_f32 v79, v79, v87, v89
	s_delay_alu instid0(VALU_DEP_1) | instskip(NEXT) | instid1(VALU_DEP_1)
	v_div_fixup_f32 v78, v79, v78, 1.0
	v_mul_f32_e64 v79, v81, -v78
.LBB70_366:
	s_or_b32 exec_lo, exec_lo, s1
.LBB70_367:
	s_delay_alu instid0(SALU_CYCLE_1) | instskip(NEXT) | instid1(SALU_CYCLE_1)
	s_or_b32 exec_lo, exec_lo, s0
	s_mov_b32 s0, exec_lo
	v_cmpx_ne_u32_e64 v86, v80
	s_xor_b32 s0, exec_lo, s0
	s_cbranch_execz .LBB70_373
; %bb.368:
	s_mov_b32 s1, exec_lo
	v_cmpx_eq_u32_e32 17, v86
	s_cbranch_execz .LBB70_372
; %bb.369:
	v_cmp_ne_u32_e32 vcc_lo, 17, v80
	s_xor_b32 s12, s16, -1
	s_delay_alu instid0(SALU_CYCLE_1) | instskip(NEXT) | instid1(SALU_CYCLE_1)
	s_and_b32 s13, s12, vcc_lo
	s_and_saveexec_b32 s12, s13
	s_cbranch_execz .LBB70_371
; %bb.370:
	v_ashrrev_i32_e32 v81, 31, v80
	s_delay_alu instid0(VALU_DEP_1)
	v_lshl_add_u64 v[86:87], v[80:81], 2, v[4:5]
	s_clause 0x1
	global_load_b32 v81, v[86:87], off
	global_load_b32 v85, v[4:5], off offset:68
	s_wait_loadcnt 0x1
	global_store_b32 v[4:5], v81, off offset:68
	s_wait_loadcnt 0x0
	global_store_b32 v[86:87], v85, off
.LBB70_371:
	s_wait_xcnt 0x0
	s_or_b32 exec_lo, exec_lo, s12
	v_dual_mov_b32 v86, v80 :: v_dual_mov_b32 v85, v80
.LBB70_372:
	s_or_b32 exec_lo, exec_lo, s1
.LBB70_373:
	s_and_not1_saveexec_b32 s0, s0
	s_cbranch_execz .LBB70_375
; %bb.374:
	v_dual_mov_b32 v80, v58 :: v_dual_mov_b32 v81, v59
	v_dual_mov_b32 v86, v16 :: v_dual_mov_b32 v87, v17
	;; [unrolled: 1-line block ×8, first 2 shown]
	ds_store_2addr_b64 v82, v[80:81], v[86:87] offset0:18 offset1:19
	ds_store_2addr_b64 v82, v[88:89], v[90:91] offset0:20 offset1:21
	;; [unrolled: 1-line block ×4, first 2 shown]
	v_dual_mov_b32 v80, v36 :: v_dual_mov_b32 v81, v37
	v_dual_mov_b32 v88, v6 :: v_dual_mov_b32 v89, v7
	;; [unrolled: 1-line block ×9, first 2 shown]
	v_mov_b32_e32 v103, v19
	ds_store_2addr_b64 v82, v[80:81], v[88:89] offset0:26 offset1:27
	ds_store_2addr_b64 v82, v[90:91], v[92:93] offset0:28 offset1:29
	;; [unrolled: 1-line block ×5, first 2 shown]
.LBB70_375:
	s_or_b32 exec_lo, exec_lo, s0
	s_delay_alu instid0(SALU_CYCLE_1)
	s_mov_b32 s0, exec_lo
	s_wait_storecnt_dscnt 0x0
	s_barrier_signal -1
	s_barrier_wait -1
	v_cmpx_lt_i32_e32 17, v86
	s_cbranch_execz .LBB70_377
; %bb.376:
	v_pk_mul_f32 v[88:89], v[78:79], v[56:57] op_sel:[1,1] op_sel_hi:[0,1]
	s_delay_alu instid0(VALU_DEP_1)
	v_pk_fma_f32 v[80:81], v[78:79], v[56:57], v[88:89] op_sel_hi:[1,0,1] neg_lo:[0,0,1] neg_hi:[0,0,1]
	v_pk_fma_f32 v[78:79], v[78:79], v[56:57], v[88:89] op_sel_hi:[1,0,1]
	ds_load_2addr_b64 v[88:91], v82 offset0:18 offset1:19
	v_dual_mov_b32 v56, v80 :: v_dual_mov_b32 v57, v79
	s_wait_dscnt 0x0
	v_pk_mul_f32 v[92:93], v[88:89], v[78:79] op_sel:[0,1]
	s_delay_alu instid0(VALU_DEP_1) | instskip(SKIP_1) | instid1(VALU_DEP_1)
	v_pk_fma_f32 v[94:95], v[88:89], v[80:81], v[92:93] op_sel:[0,0,1] op_sel_hi:[1,1,0] neg_lo:[0,0,1] neg_hi:[0,0,1]
	v_pk_fma_f32 v[88:89], v[88:89], v[80:81], v[92:93] op_sel:[0,0,1] op_sel_hi:[1,0,0]
	v_mov_b32_e32 v95, v89
	v_pk_mul_f32 v[88:89], v[90:91], v[78:79] op_sel:[0,1]
	s_delay_alu instid0(VALU_DEP_1) | instskip(SKIP_1) | instid1(VALU_DEP_1)
	v_pk_fma_f32 v[92:93], v[90:91], v[80:81], v[88:89] op_sel:[0,0,1] op_sel_hi:[1,1,0] neg_lo:[0,0,1] neg_hi:[0,0,1]
	v_pk_fma_f32 v[88:89], v[90:91], v[80:81], v[88:89] op_sel:[0,0,1] op_sel_hi:[1,0,0]
	v_mov_b32_e32 v93, v89
	ds_load_2addr_b64 v[88:91], v82 offset0:20 offset1:21
	v_pk_add_f32 v[58:59], v[58:59], v[94:95] neg_lo:[0,1] neg_hi:[0,1]
	v_pk_add_f32 v[16:17], v[16:17], v[92:93] neg_lo:[0,1] neg_hi:[0,1]
	s_wait_dscnt 0x0
	v_pk_mul_f32 v[92:93], v[88:89], v[78:79] op_sel:[0,1]
	s_delay_alu instid0(VALU_DEP_1) | instskip(SKIP_2) | instid1(VALU_DEP_2)
	v_pk_fma_f32 v[94:95], v[88:89], v[80:81], v[92:93] op_sel:[0,0,1] op_sel_hi:[1,1,0] neg_lo:[0,0,1] neg_hi:[0,0,1]
	v_pk_fma_f32 v[88:89], v[88:89], v[80:81], v[92:93] op_sel:[0,0,1] op_sel_hi:[1,0,0]
	v_dual_mul_f32 v92, v91, v79 :: v_dual_mov_b32 v88, v91
	v_dual_mov_b32 v95, v89 :: v_dual_mov_b32 v89, v90
	s_delay_alu instid0(VALU_DEP_2) | instskip(SKIP_1) | instid1(VALU_DEP_3)
	v_pk_fma_f32 v[92:93], v[90:91], v[56:57], v[92:93] op_sel_hi:[1,1,0] neg_lo:[0,0,1] neg_hi:[0,0,1]
	v_mul_f32_e32 v90, v91, v80
	v_pk_add_f32 v[54:55], v[54:55], v[94:95] neg_lo:[0,1] neg_hi:[0,1]
	s_delay_alu instid0(VALU_DEP_2) | instskip(NEXT) | instid1(VALU_DEP_1)
	v_pk_fma_f32 v[88:89], v[88:89], v[56:57], v[90:91] op_sel_hi:[1,1,0]
	v_mov_b32_e32 v93, v89
	ds_load_2addr_b64 v[88:91], v82 offset0:22 offset1:23
	v_pk_add_f32 v[50:51], v[50:51], v[92:93] neg_lo:[0,1] neg_hi:[0,1]
	s_wait_dscnt 0x0
	v_pk_mul_f32 v[92:93], v[88:89], v[78:79] op_sel:[0,1]
	s_delay_alu instid0(VALU_DEP_1) | instskip(SKIP_1) | instid1(VALU_DEP_1)
	v_pk_fma_f32 v[94:95], v[88:89], v[80:81], v[92:93] op_sel:[0,0,1] op_sel_hi:[1,1,0] neg_lo:[0,0,1] neg_hi:[0,0,1]
	v_pk_fma_f32 v[88:89], v[88:89], v[80:81], v[92:93] op_sel:[0,0,1] op_sel_hi:[1,0,0]
	v_mov_b32_e32 v95, v89
	v_pk_mul_f32 v[88:89], v[90:91], v[78:79] op_sel:[0,1]
	s_delay_alu instid0(VALU_DEP_1) | instskip(SKIP_1) | instid1(VALU_DEP_1)
	v_pk_fma_f32 v[92:93], v[90:91], v[80:81], v[88:89] op_sel:[0,0,1] op_sel_hi:[1,1,0] neg_lo:[0,0,1] neg_hi:[0,0,1]
	v_pk_fma_f32 v[88:89], v[90:91], v[80:81], v[88:89] op_sel:[0,0,1] op_sel_hi:[1,0,0]
	v_mov_b32_e32 v93, v89
	ds_load_2addr_b64 v[88:91], v82 offset0:24 offset1:25
	v_pk_add_f32 v[52:53], v[52:53], v[94:95] neg_lo:[0,1] neg_hi:[0,1]
	v_pk_add_f32 v[14:15], v[14:15], v[92:93] neg_lo:[0,1] neg_hi:[0,1]
	s_wait_dscnt 0x0
	v_pk_mul_f32 v[92:93], v[88:89], v[78:79] op_sel:[0,1]
	s_delay_alu instid0(VALU_DEP_1) | instskip(SKIP_1) | instid1(VALU_DEP_1)
	v_pk_fma_f32 v[94:95], v[88:89], v[80:81], v[92:93] op_sel:[0,0,1] op_sel_hi:[1,1,0] neg_lo:[0,0,1] neg_hi:[0,0,1]
	v_pk_fma_f32 v[88:89], v[88:89], v[80:81], v[92:93] op_sel:[0,0,1] op_sel_hi:[1,0,0]
	v_mov_b32_e32 v95, v89
	v_pk_mul_f32 v[88:89], v[90:91], v[78:79] op_sel:[0,1]
	s_delay_alu instid0(VALU_DEP_1) | instskip(SKIP_1) | instid1(VALU_DEP_1)
	v_pk_fma_f32 v[92:93], v[90:91], v[80:81], v[88:89] op_sel:[0,0,1] op_sel_hi:[1,1,0] neg_lo:[0,0,1] neg_hi:[0,0,1]
	v_pk_fma_f32 v[88:89], v[90:91], v[80:81], v[88:89] op_sel:[0,0,1] op_sel_hi:[1,0,0]
	v_mov_b32_e32 v93, v89
	ds_load_2addr_b64 v[88:91], v82 offset0:26 offset1:27
	v_pk_add_f32 v[38:39], v[38:39], v[94:95] neg_lo:[0,1] neg_hi:[0,1]
	v_pk_add_f32 v[32:33], v[32:33], v[92:93] neg_lo:[0,1] neg_hi:[0,1]
	s_wait_dscnt 0x0
	v_dual_mul_f32 v92, v89, v79 :: v_dual_mul_f32 v94, v89, v80
	s_delay_alu instid0(VALU_DEP_1) | instskip(NEXT) | instid1(VALU_DEP_2)
	v_pk_fma_f32 v[92:93], v[88:89], v[56:57], v[92:93] op_sel_hi:[1,1,0] neg_lo:[0,0,1] neg_hi:[0,0,1]
	v_pk_fma_f32 v[88:89], v[88:89], v[56:57], v[94:95] op_sel:[1,0,0] op_sel_hi:[0,1,0]
	s_delay_alu instid0(VALU_DEP_1) | instskip(SKIP_1) | instid1(VALU_DEP_2)
	v_mov_b32_e32 v93, v89
	v_pk_mul_f32 v[88:89], v[90:91], v[78:79] op_sel:[0,1]
	v_pk_add_f32 v[36:37], v[36:37], v[92:93] neg_lo:[0,1] neg_hi:[0,1]
	s_delay_alu instid0(VALU_DEP_2) | instskip(SKIP_1) | instid1(VALU_DEP_1)
	v_pk_fma_f32 v[92:93], v[90:91], v[80:81], v[88:89] op_sel:[0,0,1] op_sel_hi:[1,1,0] neg_lo:[0,0,1] neg_hi:[0,0,1]
	v_pk_fma_f32 v[88:89], v[90:91], v[80:81], v[88:89] op_sel:[0,0,1] op_sel_hi:[1,0,0]
	v_mov_b32_e32 v93, v89
	ds_load_2addr_b64 v[88:91], v82 offset0:28 offset1:29
	v_pk_add_f32 v[6:7], v[6:7], v[92:93] neg_lo:[0,1] neg_hi:[0,1]
	s_wait_dscnt 0x0
	v_pk_mul_f32 v[92:93], v[88:89], v[78:79] op_sel:[0,1]
	s_delay_alu instid0(VALU_DEP_1) | instskip(SKIP_1) | instid1(VALU_DEP_1)
	v_pk_fma_f32 v[94:95], v[88:89], v[80:81], v[92:93] op_sel:[0,0,1] op_sel_hi:[1,1,0] neg_lo:[0,0,1] neg_hi:[0,0,1]
	v_pk_fma_f32 v[88:89], v[88:89], v[80:81], v[92:93] op_sel:[0,0,1] op_sel_hi:[1,0,0]
	v_mov_b32_e32 v95, v89
	v_pk_mul_f32 v[88:89], v[90:91], v[78:79] op_sel:[0,1]
	s_delay_alu instid0(VALU_DEP_2) | instskip(NEXT) | instid1(VALU_DEP_2)
	v_pk_add_f32 v[30:31], v[30:31], v[94:95] neg_lo:[0,1] neg_hi:[0,1]
	v_pk_fma_f32 v[92:93], v[90:91], v[80:81], v[88:89] op_sel:[0,0,1] op_sel_hi:[1,1,0] neg_lo:[0,0,1] neg_hi:[0,0,1]
	v_pk_fma_f32 v[88:89], v[90:91], v[80:81], v[88:89] op_sel:[0,0,1] op_sel_hi:[1,0,0]
	s_delay_alu instid0(VALU_DEP_1) | instskip(SKIP_4) | instid1(VALU_DEP_1)
	v_mov_b32_e32 v93, v89
	ds_load_2addr_b64 v[88:91], v82 offset0:30 offset1:31
	v_pk_add_f32 v[26:27], v[26:27], v[92:93] neg_lo:[0,1] neg_hi:[0,1]
	s_wait_dscnt 0x0
	v_pk_mul_f32 v[92:93], v[88:89], v[78:79] op_sel:[0,1]
	v_pk_fma_f32 v[94:95], v[88:89], v[80:81], v[92:93] op_sel:[0,0,1] op_sel_hi:[1,1,0] neg_lo:[0,0,1] neg_hi:[0,0,1]
	v_pk_fma_f32 v[88:89], v[88:89], v[80:81], v[92:93] op_sel:[0,0,1] op_sel_hi:[1,0,0]
	v_dual_mul_f32 v92, v91, v79 :: v_dual_mov_b32 v88, v91
	s_delay_alu instid0(VALU_DEP_2) | instskip(NEXT) | instid1(VALU_DEP_2)
	v_dual_mov_b32 v95, v89 :: v_dual_mov_b32 v89, v90
	v_pk_fma_f32 v[92:93], v[90:91], v[56:57], v[92:93] op_sel_hi:[1,1,0] neg_lo:[0,0,1] neg_hi:[0,0,1]
	v_mul_f32_e32 v90, v91, v80
	s_delay_alu instid0(VALU_DEP_3) | instskip(NEXT) | instid1(VALU_DEP_2)
	v_pk_add_f32 v[28:29], v[28:29], v[94:95] neg_lo:[0,1] neg_hi:[0,1]
	v_pk_fma_f32 v[88:89], v[88:89], v[56:57], v[90:91] op_sel_hi:[1,1,0]
	s_delay_alu instid0(VALU_DEP_1) | instskip(SKIP_4) | instid1(VALU_DEP_1)
	v_mov_b32_e32 v93, v89
	ds_load_2addr_b64 v[88:91], v82 offset0:32 offset1:33
	v_pk_add_f32 v[10:11], v[10:11], v[92:93] neg_lo:[0,1] neg_hi:[0,1]
	s_wait_dscnt 0x0
	v_pk_mul_f32 v[92:93], v[88:89], v[78:79] op_sel:[0,1]
	v_pk_fma_f32 v[94:95], v[88:89], v[80:81], v[92:93] op_sel:[0,0,1] op_sel_hi:[1,1,0] neg_lo:[0,0,1] neg_hi:[0,0,1]
	v_pk_fma_f32 v[88:89], v[88:89], v[80:81], v[92:93] op_sel:[0,0,1] op_sel_hi:[1,0,0]
	s_delay_alu instid0(VALU_DEP_1) | instskip(SKIP_1) | instid1(VALU_DEP_1)
	v_mov_b32_e32 v95, v89
	v_pk_mul_f32 v[88:89], v[90:91], v[78:79] op_sel:[0,1]
	v_pk_fma_f32 v[92:93], v[90:91], v[80:81], v[88:89] op_sel:[0,0,1] op_sel_hi:[1,1,0] neg_lo:[0,0,1] neg_hi:[0,0,1]
	v_pk_fma_f32 v[88:89], v[90:91], v[80:81], v[88:89] op_sel:[0,0,1] op_sel_hi:[1,0,0]
	s_delay_alu instid0(VALU_DEP_1)
	v_mov_b32_e32 v93, v89
	ds_load_2addr_b64 v[88:91], v82 offset0:34 offset1:35
	v_pk_add_f32 v[24:25], v[24:25], v[94:95] neg_lo:[0,1] neg_hi:[0,1]
	v_pk_add_f32 v[20:21], v[20:21], v[92:93] neg_lo:[0,1] neg_hi:[0,1]
	s_wait_dscnt 0x0
	v_pk_mul_f32 v[92:93], v[88:89], v[78:79] op_sel:[0,1]
	v_mul_f32_e32 v78, v91, v79
	s_delay_alu instid0(VALU_DEP_2) | instskip(SKIP_2) | instid1(VALU_DEP_4)
	v_pk_fma_f32 v[94:95], v[88:89], v[80:81], v[92:93] op_sel:[0,0,1] op_sel_hi:[1,1,0] neg_lo:[0,0,1] neg_hi:[0,0,1]
	v_pk_fma_f32 v[88:89], v[88:89], v[80:81], v[92:93] op_sel:[0,0,1] op_sel_hi:[1,0,0]
	v_dual_mov_b32 v88, v91 :: v_dual_mul_f32 v80, v91, v80
	v_pk_fma_f32 v[78:79], v[90:91], v[56:57], v[78:79] op_sel_hi:[1,1,0] neg_lo:[0,0,1] neg_hi:[0,0,1]
	s_delay_alu instid0(VALU_DEP_3) | instskip(NEXT) | instid1(VALU_DEP_1)
	v_dual_mov_b32 v95, v89 :: v_dual_mov_b32 v89, v90
	v_pk_add_f32 v[18:19], v[18:19], v[94:95] neg_lo:[0,1] neg_hi:[0,1]
	s_delay_alu instid0(VALU_DEP_2) | instskip(NEXT) | instid1(VALU_DEP_1)
	v_pk_fma_f32 v[80:81], v[88:89], v[56:57], v[80:81] op_sel_hi:[1,1,0]
	v_mov_b32_e32 v79, v81
	s_delay_alu instid0(VALU_DEP_1)
	v_pk_add_f32 v[76:77], v[76:77], v[78:79] neg_lo:[0,1] neg_hi:[0,1]
.LBB70_377:
	s_or_b32 exec_lo, exec_lo, s0
	v_lshl_add_u32 v78, v86, 3, v82
	s_barrier_signal -1
	s_barrier_wait -1
	ds_store_b64 v78, v[58:59]
	s_wait_dscnt 0x0
	s_barrier_signal -1
	s_barrier_wait -1
	ds_load_b64 v[78:79], v82 offset:144
	v_mov_b32_e32 v80, 18
	s_cmp_lt_i32 s18, 20
	s_cbranch_scc1 .LBB70_380
; %bb.378:
	v_add3_u32 v81, v83, 0, 0x98
	v_mov_b32_e32 v80, 18
	s_mov_b32 s0, 19
.LBB70_379:                             ; =>This Inner Loop Header: Depth=1
	ds_load_b64 v[88:89], v81
	s_wait_dscnt 0x1
	v_cmp_gt_f32_e32 vcc_lo, 0, v78
	v_cndmask_b32_e64 v90, v78, -v78, vcc_lo
	v_cmp_gt_f32_e32 vcc_lo, 0, v79
	v_cndmask_b32_e64 v92, v79, -v79, vcc_lo
	s_wait_dscnt 0x0
	v_cmp_gt_f32_e32 vcc_lo, 0, v88
	v_cndmask_b32_e64 v91, v88, -v88, vcc_lo
	v_cmp_gt_f32_e32 vcc_lo, 0, v89
	v_cndmask_b32_e64 v93, v89, -v89, vcc_lo
	s_delay_alu instid0(VALU_DEP_1) | instskip(NEXT) | instid1(VALU_DEP_1)
	v_pk_add_f32 v[90:91], v[90:91], v[92:93]
	v_cmp_lt_f32_e32 vcc_lo, v90, v91
	v_dual_cndmask_b32 v78, v78, v88 :: v_dual_add_nc_u32 v81, 8, v81
	v_cndmask_b32_e32 v79, v79, v89, vcc_lo
	v_cndmask_b32_e64 v80, v80, s0, vcc_lo
	s_add_co_i32 s0, s0, 1
	s_delay_alu instid0(SALU_CYCLE_1)
	s_cmp_lg_u32 s18, s0
	s_cbranch_scc1 .LBB70_379
.LBB70_380:
	s_wait_dscnt 0x0
	v_cmp_eq_f32_e32 vcc_lo, 0, v78
	v_cmp_eq_f32_e64 s0, 0, v79
	s_and_b32 s0, vcc_lo, s0
	s_delay_alu instid0(SALU_CYCLE_1) | instskip(NEXT) | instid1(SALU_CYCLE_1)
	s_and_saveexec_b32 s1, s0
	s_xor_b32 s0, exec_lo, s1
; %bb.381:
	v_cmp_ne_u32_e32 vcc_lo, 0, v84
	v_cndmask_b32_e32 v84, 19, v84, vcc_lo
; %bb.382:
	s_and_not1_saveexec_b32 s0, s0
	s_cbranch_execz .LBB70_388
; %bb.383:
	v_cmp_ngt_f32_e64 s1, |v78|, |v79|
	s_and_saveexec_b32 s12, s1
	s_delay_alu instid0(SALU_CYCLE_1)
	s_xor_b32 s1, exec_lo, s12
	s_cbranch_execz .LBB70_385
; %bb.384:
	v_div_scale_f32 v81, null, v79, v79, v78
	v_div_scale_f32 v89, vcc_lo, v78, v79, v78
	s_delay_alu instid0(VALU_DEP_2) | instskip(SKIP_1) | instid1(TRANS32_DEP_1)
	v_rcp_f32_e32 v87, v81
	v_nop
	v_fma_f32 v88, -v81, v87, 1.0
	s_delay_alu instid0(VALU_DEP_1) | instskip(NEXT) | instid1(VALU_DEP_1)
	v_fmac_f32_e32 v87, v88, v87
	v_mul_f32_e32 v88, v89, v87
	s_delay_alu instid0(VALU_DEP_1) | instskip(NEXT) | instid1(VALU_DEP_1)
	v_fma_f32 v90, -v81, v88, v89
	v_fmac_f32_e32 v88, v90, v87
	s_delay_alu instid0(VALU_DEP_1) | instskip(NEXT) | instid1(VALU_DEP_1)
	v_fma_f32 v81, -v81, v88, v89
	v_div_fmas_f32 v81, v81, v87, v88
	s_delay_alu instid0(VALU_DEP_1) | instskip(NEXT) | instid1(VALU_DEP_1)
	v_div_fixup_f32 v81, v81, v79, v78
	v_fmac_f32_e32 v79, v78, v81
	s_delay_alu instid0(VALU_DEP_1) | instskip(SKIP_1) | instid1(VALU_DEP_2)
	v_div_scale_f32 v78, null, v79, v79, 1.0
	v_div_scale_f32 v89, vcc_lo, 1.0, v79, 1.0
	v_rcp_f32_e32 v87, v78
	v_nop
	s_delay_alu instid0(TRANS32_DEP_1) | instskip(NEXT) | instid1(VALU_DEP_1)
	v_fma_f32 v88, -v78, v87, 1.0
	v_fmac_f32_e32 v87, v88, v87
	s_delay_alu instid0(VALU_DEP_1) | instskip(NEXT) | instid1(VALU_DEP_1)
	v_mul_f32_e32 v88, v89, v87
	v_fma_f32 v90, -v78, v88, v89
	s_delay_alu instid0(VALU_DEP_1) | instskip(NEXT) | instid1(VALU_DEP_1)
	v_fmac_f32_e32 v88, v90, v87
	v_fma_f32 v78, -v78, v88, v89
	s_delay_alu instid0(VALU_DEP_1) | instskip(NEXT) | instid1(VALU_DEP_1)
	v_div_fmas_f32 v78, v78, v87, v88
	v_div_fixup_f32 v79, v78, v79, 1.0
	s_delay_alu instid0(VALU_DEP_1)
	v_mul_f32_e32 v78, v81, v79
	v_xor_b32_e32 v79, 0x80000000, v79
.LBB70_385:
	s_and_not1_saveexec_b32 s1, s1
	s_cbranch_execz .LBB70_387
; %bb.386:
	s_delay_alu instid0(VALU_DEP_1) | instskip(SKIP_1) | instid1(VALU_DEP_2)
	v_div_scale_f32 v81, null, v78, v78, v79
	v_div_scale_f32 v89, vcc_lo, v79, v78, v79
	v_rcp_f32_e32 v87, v81
	v_nop
	s_delay_alu instid0(TRANS32_DEP_1) | instskip(NEXT) | instid1(VALU_DEP_1)
	v_fma_f32 v88, -v81, v87, 1.0
	v_fmac_f32_e32 v87, v88, v87
	s_delay_alu instid0(VALU_DEP_1) | instskip(NEXT) | instid1(VALU_DEP_1)
	v_mul_f32_e32 v88, v89, v87
	v_fma_f32 v90, -v81, v88, v89
	s_delay_alu instid0(VALU_DEP_1) | instskip(NEXT) | instid1(VALU_DEP_1)
	v_fmac_f32_e32 v88, v90, v87
	v_fma_f32 v81, -v81, v88, v89
	s_delay_alu instid0(VALU_DEP_1) | instskip(NEXT) | instid1(VALU_DEP_1)
	v_div_fmas_f32 v81, v81, v87, v88
	v_div_fixup_f32 v81, v81, v78, v79
	s_delay_alu instid0(VALU_DEP_1) | instskip(NEXT) | instid1(VALU_DEP_1)
	v_fmac_f32_e32 v78, v79, v81
	v_div_scale_f32 v79, null, v78, v78, 1.0
	s_delay_alu instid0(VALU_DEP_1) | instskip(SKIP_1) | instid1(TRANS32_DEP_1)
	v_rcp_f32_e32 v87, v79
	v_nop
	v_fma_f32 v88, -v79, v87, 1.0
	s_delay_alu instid0(VALU_DEP_1) | instskip(SKIP_1) | instid1(VALU_DEP_1)
	v_fmac_f32_e32 v87, v88, v87
	v_div_scale_f32 v88, vcc_lo, 1.0, v78, 1.0
	v_mul_f32_e32 v89, v88, v87
	s_delay_alu instid0(VALU_DEP_1) | instskip(NEXT) | instid1(VALU_DEP_1)
	v_fma_f32 v90, -v79, v89, v88
	v_fmac_f32_e32 v89, v90, v87
	s_delay_alu instid0(VALU_DEP_1) | instskip(NEXT) | instid1(VALU_DEP_1)
	v_fma_f32 v79, -v79, v89, v88
	v_div_fmas_f32 v79, v79, v87, v89
	s_delay_alu instid0(VALU_DEP_1) | instskip(NEXT) | instid1(VALU_DEP_1)
	v_div_fixup_f32 v78, v79, v78, 1.0
	v_mul_f32_e64 v79, v81, -v78
.LBB70_387:
	s_or_b32 exec_lo, exec_lo, s1
.LBB70_388:
	s_delay_alu instid0(SALU_CYCLE_1) | instskip(NEXT) | instid1(SALU_CYCLE_1)
	s_or_b32 exec_lo, exec_lo, s0
	s_mov_b32 s0, exec_lo
	v_cmpx_ne_u32_e64 v86, v80
	s_xor_b32 s0, exec_lo, s0
	s_cbranch_execz .LBB70_394
; %bb.389:
	s_mov_b32 s1, exec_lo
	v_cmpx_eq_u32_e32 18, v86
	s_cbranch_execz .LBB70_393
; %bb.390:
	v_cmp_ne_u32_e32 vcc_lo, 18, v80
	s_xor_b32 s12, s16, -1
	s_delay_alu instid0(SALU_CYCLE_1) | instskip(NEXT) | instid1(SALU_CYCLE_1)
	s_and_b32 s13, s12, vcc_lo
	s_and_saveexec_b32 s12, s13
	s_cbranch_execz .LBB70_392
; %bb.391:
	v_ashrrev_i32_e32 v81, 31, v80
	s_delay_alu instid0(VALU_DEP_1)
	v_lshl_add_u64 v[86:87], v[80:81], 2, v[4:5]
	s_clause 0x1
	global_load_b32 v81, v[86:87], off
	global_load_b32 v85, v[4:5], off offset:72
	s_wait_loadcnt 0x1
	global_store_b32 v[4:5], v81, off offset:72
	s_wait_loadcnt 0x0
	global_store_b32 v[86:87], v85, off
.LBB70_392:
	s_wait_xcnt 0x0
	s_or_b32 exec_lo, exec_lo, s12
	v_dual_mov_b32 v86, v80 :: v_dual_mov_b32 v85, v80
.LBB70_393:
	s_or_b32 exec_lo, exec_lo, s1
.LBB70_394:
	s_and_not1_saveexec_b32 s0, s0
	s_cbranch_execz .LBB70_396
; %bb.395:
	v_mov_b32_e32 v86, 18
	ds_store_2addr_b64 v82, v[16:17], v[54:55] offset0:19 offset1:20
	ds_store_2addr_b64 v82, v[50:51], v[52:53] offset0:21 offset1:22
	;; [unrolled: 1-line block ×8, first 2 shown]
	ds_store_b64 v82, v[76:77] offset:280
.LBB70_396:
	s_or_b32 exec_lo, exec_lo, s0
	s_delay_alu instid0(SALU_CYCLE_1)
	s_mov_b32 s0, exec_lo
	s_wait_storecnt_dscnt 0x0
	s_barrier_signal -1
	s_barrier_wait -1
	v_cmpx_lt_i32_e32 18, v86
	s_cbranch_execz .LBB70_398
; %bb.397:
	v_pk_mul_f32 v[88:89], v[78:79], v[58:59] op_sel:[1,1] op_sel_hi:[0,1]
	s_delay_alu instid0(VALU_DEP_1)
	v_pk_fma_f32 v[80:81], v[78:79], v[58:59], v[88:89] op_sel_hi:[1,0,1] neg_lo:[0,0,1] neg_hi:[0,0,1]
	v_pk_fma_f32 v[78:79], v[78:79], v[58:59], v[88:89] op_sel_hi:[1,0,1]
	ds_load_2addr_b64 v[88:91], v82 offset0:19 offset1:20
	v_dual_mov_b32 v58, v80 :: v_dual_mov_b32 v59, v79
	s_wait_dscnt 0x0
	v_pk_mul_f32 v[92:93], v[88:89], v[78:79] op_sel:[0,1]
	s_delay_alu instid0(VALU_DEP_1) | instskip(SKIP_1) | instid1(VALU_DEP_1)
	v_pk_fma_f32 v[94:95], v[88:89], v[80:81], v[92:93] op_sel:[0,0,1] op_sel_hi:[1,1,0] neg_lo:[0,0,1] neg_hi:[0,0,1]
	v_pk_fma_f32 v[88:89], v[88:89], v[80:81], v[92:93] op_sel:[0,0,1] op_sel_hi:[1,0,0]
	v_mov_b32_e32 v95, v89
	v_pk_mul_f32 v[88:89], v[90:91], v[78:79] op_sel:[0,1]
	s_delay_alu instid0(VALU_DEP_1) | instskip(SKIP_1) | instid1(VALU_DEP_1)
	v_pk_fma_f32 v[92:93], v[90:91], v[80:81], v[88:89] op_sel:[0,0,1] op_sel_hi:[1,1,0] neg_lo:[0,0,1] neg_hi:[0,0,1]
	v_pk_fma_f32 v[88:89], v[90:91], v[80:81], v[88:89] op_sel:[0,0,1] op_sel_hi:[1,0,0]
	v_mov_b32_e32 v93, v89
	ds_load_2addr_b64 v[88:91], v82 offset0:21 offset1:22
	v_pk_add_f32 v[16:17], v[16:17], v[94:95] neg_lo:[0,1] neg_hi:[0,1]
	v_pk_add_f32 v[54:55], v[54:55], v[92:93] neg_lo:[0,1] neg_hi:[0,1]
	s_wait_dscnt 0x0
	v_pk_mul_f32 v[92:93], v[88:89], v[78:79] op_sel:[0,1]
	s_delay_alu instid0(VALU_DEP_1) | instskip(SKIP_2) | instid1(VALU_DEP_2)
	v_pk_fma_f32 v[94:95], v[88:89], v[80:81], v[92:93] op_sel:[0,0,1] op_sel_hi:[1,1,0] neg_lo:[0,0,1] neg_hi:[0,0,1]
	v_pk_fma_f32 v[88:89], v[88:89], v[80:81], v[92:93] op_sel:[0,0,1] op_sel_hi:[1,0,0]
	v_dual_mul_f32 v92, v91, v79 :: v_dual_mov_b32 v88, v91
	v_dual_mov_b32 v95, v89 :: v_dual_mov_b32 v89, v90
	s_delay_alu instid0(VALU_DEP_2) | instskip(SKIP_1) | instid1(VALU_DEP_3)
	v_pk_fma_f32 v[92:93], v[90:91], v[58:59], v[92:93] op_sel_hi:[1,1,0] neg_lo:[0,0,1] neg_hi:[0,0,1]
	v_mul_f32_e32 v90, v91, v80
	v_pk_add_f32 v[50:51], v[50:51], v[94:95] neg_lo:[0,1] neg_hi:[0,1]
	s_delay_alu instid0(VALU_DEP_2) | instskip(NEXT) | instid1(VALU_DEP_1)
	v_pk_fma_f32 v[88:89], v[88:89], v[58:59], v[90:91] op_sel_hi:[1,1,0]
	v_mov_b32_e32 v93, v89
	ds_load_2addr_b64 v[88:91], v82 offset0:23 offset1:24
	v_pk_add_f32 v[52:53], v[52:53], v[92:93] neg_lo:[0,1] neg_hi:[0,1]
	s_wait_dscnt 0x0
	v_pk_mul_f32 v[92:93], v[88:89], v[78:79] op_sel:[0,1]
	s_delay_alu instid0(VALU_DEP_1) | instskip(SKIP_1) | instid1(VALU_DEP_1)
	v_pk_fma_f32 v[94:95], v[88:89], v[80:81], v[92:93] op_sel:[0,0,1] op_sel_hi:[1,1,0] neg_lo:[0,0,1] neg_hi:[0,0,1]
	v_pk_fma_f32 v[88:89], v[88:89], v[80:81], v[92:93] op_sel:[0,0,1] op_sel_hi:[1,0,0]
	v_mov_b32_e32 v95, v89
	v_pk_mul_f32 v[88:89], v[90:91], v[78:79] op_sel:[0,1]
	s_delay_alu instid0(VALU_DEP_1) | instskip(SKIP_1) | instid1(VALU_DEP_1)
	v_pk_fma_f32 v[92:93], v[90:91], v[80:81], v[88:89] op_sel:[0,0,1] op_sel_hi:[1,1,0] neg_lo:[0,0,1] neg_hi:[0,0,1]
	v_pk_fma_f32 v[88:89], v[90:91], v[80:81], v[88:89] op_sel:[0,0,1] op_sel_hi:[1,0,0]
	v_mov_b32_e32 v93, v89
	ds_load_2addr_b64 v[88:91], v82 offset0:25 offset1:26
	v_pk_add_f32 v[14:15], v[14:15], v[94:95] neg_lo:[0,1] neg_hi:[0,1]
	v_pk_add_f32 v[38:39], v[38:39], v[92:93] neg_lo:[0,1] neg_hi:[0,1]
	s_wait_dscnt 0x0
	v_pk_mul_f32 v[92:93], v[88:89], v[78:79] op_sel:[0,1]
	s_delay_alu instid0(VALU_DEP_1) | instskip(SKIP_1) | instid1(VALU_DEP_1)
	v_pk_fma_f32 v[94:95], v[88:89], v[80:81], v[92:93] op_sel:[0,0,1] op_sel_hi:[1,1,0] neg_lo:[0,0,1] neg_hi:[0,0,1]
	v_pk_fma_f32 v[88:89], v[88:89], v[80:81], v[92:93] op_sel:[0,0,1] op_sel_hi:[1,0,0]
	v_mov_b32_e32 v95, v89
	v_pk_mul_f32 v[88:89], v[90:91], v[78:79] op_sel:[0,1]
	s_delay_alu instid0(VALU_DEP_1) | instskip(SKIP_1) | instid1(VALU_DEP_1)
	v_pk_fma_f32 v[92:93], v[90:91], v[80:81], v[88:89] op_sel:[0,0,1] op_sel_hi:[1,1,0] neg_lo:[0,0,1] neg_hi:[0,0,1]
	v_pk_fma_f32 v[88:89], v[90:91], v[80:81], v[88:89] op_sel:[0,0,1] op_sel_hi:[1,0,0]
	v_mov_b32_e32 v93, v89
	ds_load_2addr_b64 v[88:91], v82 offset0:27 offset1:28
	v_pk_add_f32 v[32:33], v[32:33], v[94:95] neg_lo:[0,1] neg_hi:[0,1]
	v_pk_add_f32 v[36:37], v[36:37], v[92:93] neg_lo:[0,1] neg_hi:[0,1]
	s_wait_dscnt 0x0
	v_dual_mul_f32 v92, v89, v79 :: v_dual_mul_f32 v94, v89, v80
	s_delay_alu instid0(VALU_DEP_1) | instskip(NEXT) | instid1(VALU_DEP_2)
	v_pk_fma_f32 v[92:93], v[88:89], v[58:59], v[92:93] op_sel_hi:[1,1,0] neg_lo:[0,0,1] neg_hi:[0,0,1]
	v_pk_fma_f32 v[88:89], v[88:89], v[58:59], v[94:95] op_sel:[1,0,0] op_sel_hi:[0,1,0]
	s_delay_alu instid0(VALU_DEP_1) | instskip(SKIP_1) | instid1(VALU_DEP_2)
	v_mov_b32_e32 v93, v89
	v_pk_mul_f32 v[88:89], v[90:91], v[78:79] op_sel:[0,1]
	v_pk_add_f32 v[6:7], v[6:7], v[92:93] neg_lo:[0,1] neg_hi:[0,1]
	s_delay_alu instid0(VALU_DEP_2) | instskip(SKIP_1) | instid1(VALU_DEP_1)
	v_pk_fma_f32 v[92:93], v[90:91], v[80:81], v[88:89] op_sel:[0,0,1] op_sel_hi:[1,1,0] neg_lo:[0,0,1] neg_hi:[0,0,1]
	v_pk_fma_f32 v[88:89], v[90:91], v[80:81], v[88:89] op_sel:[0,0,1] op_sel_hi:[1,0,0]
	v_mov_b32_e32 v93, v89
	ds_load_2addr_b64 v[88:91], v82 offset0:29 offset1:30
	v_pk_add_f32 v[30:31], v[30:31], v[92:93] neg_lo:[0,1] neg_hi:[0,1]
	s_wait_dscnt 0x0
	v_pk_mul_f32 v[92:93], v[88:89], v[78:79] op_sel:[0,1]
	s_delay_alu instid0(VALU_DEP_1) | instskip(SKIP_1) | instid1(VALU_DEP_1)
	v_pk_fma_f32 v[94:95], v[88:89], v[80:81], v[92:93] op_sel:[0,0,1] op_sel_hi:[1,1,0] neg_lo:[0,0,1] neg_hi:[0,0,1]
	v_pk_fma_f32 v[88:89], v[88:89], v[80:81], v[92:93] op_sel:[0,0,1] op_sel_hi:[1,0,0]
	v_mov_b32_e32 v95, v89
	v_pk_mul_f32 v[88:89], v[90:91], v[78:79] op_sel:[0,1]
	s_delay_alu instid0(VALU_DEP_2) | instskip(NEXT) | instid1(VALU_DEP_2)
	v_pk_add_f32 v[26:27], v[26:27], v[94:95] neg_lo:[0,1] neg_hi:[0,1]
	v_pk_fma_f32 v[92:93], v[90:91], v[80:81], v[88:89] op_sel:[0,0,1] op_sel_hi:[1,1,0] neg_lo:[0,0,1] neg_hi:[0,0,1]
	v_pk_fma_f32 v[88:89], v[90:91], v[80:81], v[88:89] op_sel:[0,0,1] op_sel_hi:[1,0,0]
	s_delay_alu instid0(VALU_DEP_1) | instskip(SKIP_4) | instid1(VALU_DEP_1)
	v_mov_b32_e32 v93, v89
	ds_load_2addr_b64 v[88:91], v82 offset0:31 offset1:32
	v_pk_add_f32 v[28:29], v[28:29], v[92:93] neg_lo:[0,1] neg_hi:[0,1]
	s_wait_dscnt 0x0
	v_pk_mul_f32 v[92:93], v[88:89], v[78:79] op_sel:[0,1]
	v_pk_fma_f32 v[94:95], v[88:89], v[80:81], v[92:93] op_sel:[0,0,1] op_sel_hi:[1,1,0] neg_lo:[0,0,1] neg_hi:[0,0,1]
	v_pk_fma_f32 v[88:89], v[88:89], v[80:81], v[92:93] op_sel:[0,0,1] op_sel_hi:[1,0,0]
	v_dual_mul_f32 v92, v91, v79 :: v_dual_mov_b32 v88, v91
	s_delay_alu instid0(VALU_DEP_2) | instskip(NEXT) | instid1(VALU_DEP_2)
	v_dual_mov_b32 v95, v89 :: v_dual_mov_b32 v89, v90
	v_pk_fma_f32 v[92:93], v[90:91], v[58:59], v[92:93] op_sel_hi:[1,1,0] neg_lo:[0,0,1] neg_hi:[0,0,1]
	v_mul_f32_e32 v90, v91, v80
	s_delay_alu instid0(VALU_DEP_3) | instskip(NEXT) | instid1(VALU_DEP_2)
	v_pk_add_f32 v[10:11], v[10:11], v[94:95] neg_lo:[0,1] neg_hi:[0,1]
	v_pk_fma_f32 v[88:89], v[88:89], v[58:59], v[90:91] op_sel_hi:[1,1,0]
	s_delay_alu instid0(VALU_DEP_1) | instskip(SKIP_4) | instid1(VALU_DEP_1)
	v_mov_b32_e32 v93, v89
	ds_load_2addr_b64 v[88:91], v82 offset0:33 offset1:34
	v_pk_add_f32 v[24:25], v[24:25], v[92:93] neg_lo:[0,1] neg_hi:[0,1]
	s_wait_dscnt 0x0
	v_pk_mul_f32 v[92:93], v[88:89], v[78:79] op_sel:[0,1]
	v_pk_fma_f32 v[94:95], v[88:89], v[80:81], v[92:93] op_sel:[0,0,1] op_sel_hi:[1,1,0] neg_lo:[0,0,1] neg_hi:[0,0,1]
	v_pk_fma_f32 v[88:89], v[88:89], v[80:81], v[92:93] op_sel:[0,0,1] op_sel_hi:[1,0,0]
	s_delay_alu instid0(VALU_DEP_1) | instskip(SKIP_1) | instid1(VALU_DEP_1)
	v_mov_b32_e32 v95, v89
	v_pk_mul_f32 v[88:89], v[90:91], v[78:79] op_sel:[0,1]
	v_pk_fma_f32 v[92:93], v[90:91], v[80:81], v[88:89] op_sel:[0,0,1] op_sel_hi:[1,1,0] neg_lo:[0,0,1] neg_hi:[0,0,1]
	v_pk_fma_f32 v[88:89], v[90:91], v[80:81], v[88:89] op_sel:[0,0,1] op_sel_hi:[1,0,0]
	s_delay_alu instid0(VALU_DEP_1)
	v_mov_b32_e32 v93, v89
	ds_load_b64 v[88:89], v82 offset:280
	v_pk_add_f32 v[20:21], v[20:21], v[94:95] neg_lo:[0,1] neg_hi:[0,1]
	v_pk_add_f32 v[18:19], v[18:19], v[92:93] neg_lo:[0,1] neg_hi:[0,1]
	s_wait_dscnt 0x0
	v_pk_mul_f32 v[78:79], v[88:89], v[78:79] op_sel:[0,1]
	s_delay_alu instid0(VALU_DEP_1) | instskip(SKIP_1) | instid1(VALU_DEP_1)
	v_pk_fma_f32 v[90:91], v[88:89], v[80:81], v[78:79] op_sel:[0,0,1] op_sel_hi:[1,1,0] neg_lo:[0,0,1] neg_hi:[0,0,1]
	v_pk_fma_f32 v[78:79], v[88:89], v[80:81], v[78:79] op_sel:[0,0,1] op_sel_hi:[1,0,0]
	v_mov_b32_e32 v91, v79
	s_delay_alu instid0(VALU_DEP_1)
	v_pk_add_f32 v[76:77], v[76:77], v[90:91] neg_lo:[0,1] neg_hi:[0,1]
.LBB70_398:
	s_or_b32 exec_lo, exec_lo, s0
	v_lshl_add_u32 v78, v86, 3, v82
	s_barrier_signal -1
	s_barrier_wait -1
	ds_store_b64 v78, v[16:17]
	s_wait_dscnt 0x0
	s_barrier_signal -1
	s_barrier_wait -1
	ds_load_b64 v[78:79], v82 offset:152
	v_mov_b32_e32 v80, 19
	s_cmp_lt_i32 s18, 21
	s_cbranch_scc1 .LBB70_401
; %bb.399:
	v_add3_u32 v81, v83, 0, 0xa0
	v_mov_b32_e32 v80, 19
	s_mov_b32 s0, 20
.LBB70_400:                             ; =>This Inner Loop Header: Depth=1
	ds_load_b64 v[88:89], v81
	s_wait_dscnt 0x1
	v_cmp_gt_f32_e32 vcc_lo, 0, v78
	v_cndmask_b32_e64 v90, v78, -v78, vcc_lo
	v_cmp_gt_f32_e32 vcc_lo, 0, v79
	v_cndmask_b32_e64 v92, v79, -v79, vcc_lo
	s_wait_dscnt 0x0
	v_cmp_gt_f32_e32 vcc_lo, 0, v88
	v_cndmask_b32_e64 v91, v88, -v88, vcc_lo
	v_cmp_gt_f32_e32 vcc_lo, 0, v89
	v_cndmask_b32_e64 v93, v89, -v89, vcc_lo
	s_delay_alu instid0(VALU_DEP_1) | instskip(NEXT) | instid1(VALU_DEP_1)
	v_pk_add_f32 v[90:91], v[90:91], v[92:93]
	v_cmp_lt_f32_e32 vcc_lo, v90, v91
	v_dual_cndmask_b32 v78, v78, v88 :: v_dual_add_nc_u32 v81, 8, v81
	v_cndmask_b32_e32 v79, v79, v89, vcc_lo
	v_cndmask_b32_e64 v80, v80, s0, vcc_lo
	s_add_co_i32 s0, s0, 1
	s_delay_alu instid0(SALU_CYCLE_1)
	s_cmp_lg_u32 s18, s0
	s_cbranch_scc1 .LBB70_400
.LBB70_401:
	s_wait_dscnt 0x0
	v_cmp_eq_f32_e32 vcc_lo, 0, v78
	v_cmp_eq_f32_e64 s0, 0, v79
	s_and_b32 s0, vcc_lo, s0
	s_delay_alu instid0(SALU_CYCLE_1) | instskip(NEXT) | instid1(SALU_CYCLE_1)
	s_and_saveexec_b32 s1, s0
	s_xor_b32 s0, exec_lo, s1
; %bb.402:
	v_cmp_ne_u32_e32 vcc_lo, 0, v84
	v_cndmask_b32_e32 v84, 20, v84, vcc_lo
; %bb.403:
	s_and_not1_saveexec_b32 s0, s0
	s_cbranch_execz .LBB70_409
; %bb.404:
	v_cmp_ngt_f32_e64 s1, |v78|, |v79|
	s_and_saveexec_b32 s12, s1
	s_delay_alu instid0(SALU_CYCLE_1)
	s_xor_b32 s1, exec_lo, s12
	s_cbranch_execz .LBB70_406
; %bb.405:
	v_div_scale_f32 v81, null, v79, v79, v78
	v_div_scale_f32 v89, vcc_lo, v78, v79, v78
	s_delay_alu instid0(VALU_DEP_2) | instskip(SKIP_1) | instid1(TRANS32_DEP_1)
	v_rcp_f32_e32 v87, v81
	v_nop
	v_fma_f32 v88, -v81, v87, 1.0
	s_delay_alu instid0(VALU_DEP_1) | instskip(NEXT) | instid1(VALU_DEP_1)
	v_fmac_f32_e32 v87, v88, v87
	v_mul_f32_e32 v88, v89, v87
	s_delay_alu instid0(VALU_DEP_1) | instskip(NEXT) | instid1(VALU_DEP_1)
	v_fma_f32 v90, -v81, v88, v89
	v_fmac_f32_e32 v88, v90, v87
	s_delay_alu instid0(VALU_DEP_1) | instskip(NEXT) | instid1(VALU_DEP_1)
	v_fma_f32 v81, -v81, v88, v89
	v_div_fmas_f32 v81, v81, v87, v88
	s_delay_alu instid0(VALU_DEP_1) | instskip(NEXT) | instid1(VALU_DEP_1)
	v_div_fixup_f32 v81, v81, v79, v78
	v_fmac_f32_e32 v79, v78, v81
	s_delay_alu instid0(VALU_DEP_1) | instskip(SKIP_1) | instid1(VALU_DEP_2)
	v_div_scale_f32 v78, null, v79, v79, 1.0
	v_div_scale_f32 v89, vcc_lo, 1.0, v79, 1.0
	v_rcp_f32_e32 v87, v78
	v_nop
	s_delay_alu instid0(TRANS32_DEP_1) | instskip(NEXT) | instid1(VALU_DEP_1)
	v_fma_f32 v88, -v78, v87, 1.0
	v_fmac_f32_e32 v87, v88, v87
	s_delay_alu instid0(VALU_DEP_1) | instskip(NEXT) | instid1(VALU_DEP_1)
	v_mul_f32_e32 v88, v89, v87
	v_fma_f32 v90, -v78, v88, v89
	s_delay_alu instid0(VALU_DEP_1) | instskip(NEXT) | instid1(VALU_DEP_1)
	v_fmac_f32_e32 v88, v90, v87
	v_fma_f32 v78, -v78, v88, v89
	s_delay_alu instid0(VALU_DEP_1) | instskip(NEXT) | instid1(VALU_DEP_1)
	v_div_fmas_f32 v78, v78, v87, v88
	v_div_fixup_f32 v79, v78, v79, 1.0
	s_delay_alu instid0(VALU_DEP_1)
	v_mul_f32_e32 v78, v81, v79
	v_xor_b32_e32 v79, 0x80000000, v79
.LBB70_406:
	s_and_not1_saveexec_b32 s1, s1
	s_cbranch_execz .LBB70_408
; %bb.407:
	s_delay_alu instid0(VALU_DEP_1) | instskip(SKIP_1) | instid1(VALU_DEP_2)
	v_div_scale_f32 v81, null, v78, v78, v79
	v_div_scale_f32 v89, vcc_lo, v79, v78, v79
	v_rcp_f32_e32 v87, v81
	v_nop
	s_delay_alu instid0(TRANS32_DEP_1) | instskip(NEXT) | instid1(VALU_DEP_1)
	v_fma_f32 v88, -v81, v87, 1.0
	v_fmac_f32_e32 v87, v88, v87
	s_delay_alu instid0(VALU_DEP_1) | instskip(NEXT) | instid1(VALU_DEP_1)
	v_mul_f32_e32 v88, v89, v87
	v_fma_f32 v90, -v81, v88, v89
	s_delay_alu instid0(VALU_DEP_1) | instskip(NEXT) | instid1(VALU_DEP_1)
	v_fmac_f32_e32 v88, v90, v87
	v_fma_f32 v81, -v81, v88, v89
	s_delay_alu instid0(VALU_DEP_1) | instskip(NEXT) | instid1(VALU_DEP_1)
	v_div_fmas_f32 v81, v81, v87, v88
	v_div_fixup_f32 v81, v81, v78, v79
	s_delay_alu instid0(VALU_DEP_1) | instskip(NEXT) | instid1(VALU_DEP_1)
	v_fmac_f32_e32 v78, v79, v81
	v_div_scale_f32 v79, null, v78, v78, 1.0
	s_delay_alu instid0(VALU_DEP_1) | instskip(SKIP_1) | instid1(TRANS32_DEP_1)
	v_rcp_f32_e32 v87, v79
	v_nop
	v_fma_f32 v88, -v79, v87, 1.0
	s_delay_alu instid0(VALU_DEP_1) | instskip(SKIP_1) | instid1(VALU_DEP_1)
	v_fmac_f32_e32 v87, v88, v87
	v_div_scale_f32 v88, vcc_lo, 1.0, v78, 1.0
	v_mul_f32_e32 v89, v88, v87
	s_delay_alu instid0(VALU_DEP_1) | instskip(NEXT) | instid1(VALU_DEP_1)
	v_fma_f32 v90, -v79, v89, v88
	v_fmac_f32_e32 v89, v90, v87
	s_delay_alu instid0(VALU_DEP_1) | instskip(NEXT) | instid1(VALU_DEP_1)
	v_fma_f32 v79, -v79, v89, v88
	v_div_fmas_f32 v79, v79, v87, v89
	s_delay_alu instid0(VALU_DEP_1) | instskip(NEXT) | instid1(VALU_DEP_1)
	v_div_fixup_f32 v78, v79, v78, 1.0
	v_mul_f32_e64 v79, v81, -v78
.LBB70_408:
	s_or_b32 exec_lo, exec_lo, s1
.LBB70_409:
	s_delay_alu instid0(SALU_CYCLE_1) | instskip(NEXT) | instid1(SALU_CYCLE_1)
	s_or_b32 exec_lo, exec_lo, s0
	s_mov_b32 s0, exec_lo
	v_cmpx_ne_u32_e64 v86, v80
	s_xor_b32 s0, exec_lo, s0
	s_cbranch_execz .LBB70_415
; %bb.410:
	s_mov_b32 s1, exec_lo
	v_cmpx_eq_u32_e32 19, v86
	s_cbranch_execz .LBB70_414
; %bb.411:
	v_cmp_ne_u32_e32 vcc_lo, 19, v80
	s_xor_b32 s12, s16, -1
	s_delay_alu instid0(SALU_CYCLE_1) | instskip(NEXT) | instid1(SALU_CYCLE_1)
	s_and_b32 s13, s12, vcc_lo
	s_and_saveexec_b32 s12, s13
	s_cbranch_execz .LBB70_413
; %bb.412:
	v_ashrrev_i32_e32 v81, 31, v80
	s_delay_alu instid0(VALU_DEP_1)
	v_lshl_add_u64 v[86:87], v[80:81], 2, v[4:5]
	s_clause 0x1
	global_load_b32 v81, v[86:87], off
	global_load_b32 v85, v[4:5], off offset:76
	s_wait_loadcnt 0x1
	global_store_b32 v[4:5], v81, off offset:76
	s_wait_loadcnt 0x0
	global_store_b32 v[86:87], v85, off
.LBB70_413:
	s_wait_xcnt 0x0
	s_or_b32 exec_lo, exec_lo, s12
	v_dual_mov_b32 v86, v80 :: v_dual_mov_b32 v85, v80
.LBB70_414:
	s_or_b32 exec_lo, exec_lo, s1
.LBB70_415:
	s_and_not1_saveexec_b32 s0, s0
	s_cbranch_execz .LBB70_417
; %bb.416:
	v_dual_mov_b32 v80, v54 :: v_dual_mov_b32 v81, v55
	v_dual_mov_b32 v86, v50 :: v_dual_mov_b32 v87, v51
	;; [unrolled: 1-line block ×8, first 2 shown]
	ds_store_2addr_b64 v82, v[80:81], v[86:87] offset0:20 offset1:21
	ds_store_2addr_b64 v82, v[88:89], v[90:91] offset0:22 offset1:23
	;; [unrolled: 1-line block ×4, first 2 shown]
	v_dual_mov_b32 v80, v30 :: v_dual_mov_b32 v81, v31
	v_dual_mov_b32 v88, v26 :: v_dual_mov_b32 v89, v27
	;; [unrolled: 1-line block ×7, first 2 shown]
	v_mov_b32_e32 v99, v19
	ds_store_2addr_b64 v82, v[80:81], v[88:89] offset0:28 offset1:29
	ds_store_2addr_b64 v82, v[90:91], v[92:93] offset0:30 offset1:31
	;; [unrolled: 1-line block ×4, first 2 shown]
.LBB70_417:
	s_or_b32 exec_lo, exec_lo, s0
	s_delay_alu instid0(SALU_CYCLE_1)
	s_mov_b32 s0, exec_lo
	s_wait_storecnt_dscnt 0x0
	s_barrier_signal -1
	s_barrier_wait -1
	v_cmpx_lt_i32_e32 19, v86
	s_cbranch_execz .LBB70_419
; %bb.418:
	v_pk_mul_f32 v[88:89], v[78:79], v[16:17] op_sel:[1,1] op_sel_hi:[0,1]
	s_delay_alu instid0(VALU_DEP_1)
	v_pk_fma_f32 v[80:81], v[78:79], v[16:17], v[88:89] op_sel_hi:[1,0,1] neg_lo:[0,0,1] neg_hi:[0,0,1]
	v_pk_fma_f32 v[78:79], v[78:79], v[16:17], v[88:89] op_sel_hi:[1,0,1]
	ds_load_2addr_b64 v[88:91], v82 offset0:20 offset1:21
	v_dual_mov_b32 v16, v80 :: v_dual_mov_b32 v17, v79
	s_wait_dscnt 0x0
	v_pk_mul_f32 v[92:93], v[88:89], v[78:79] op_sel:[0,1]
	s_delay_alu instid0(VALU_DEP_1) | instskip(SKIP_1) | instid1(VALU_DEP_1)
	v_pk_fma_f32 v[94:95], v[88:89], v[80:81], v[92:93] op_sel:[0,0,1] op_sel_hi:[1,1,0] neg_lo:[0,0,1] neg_hi:[0,0,1]
	v_pk_fma_f32 v[88:89], v[88:89], v[80:81], v[92:93] op_sel:[0,0,1] op_sel_hi:[1,0,0]
	v_mov_b32_e32 v95, v89
	v_pk_mul_f32 v[88:89], v[90:91], v[78:79] op_sel:[0,1]
	s_delay_alu instid0(VALU_DEP_1) | instskip(SKIP_1) | instid1(VALU_DEP_1)
	v_pk_fma_f32 v[92:93], v[90:91], v[80:81], v[88:89] op_sel:[0,0,1] op_sel_hi:[1,1,0] neg_lo:[0,0,1] neg_hi:[0,0,1]
	v_pk_fma_f32 v[88:89], v[90:91], v[80:81], v[88:89] op_sel:[0,0,1] op_sel_hi:[1,0,0]
	v_mov_b32_e32 v93, v89
	ds_load_2addr_b64 v[88:91], v82 offset0:22 offset1:23
	v_pk_add_f32 v[54:55], v[54:55], v[94:95] neg_lo:[0,1] neg_hi:[0,1]
	v_pk_add_f32 v[50:51], v[50:51], v[92:93] neg_lo:[0,1] neg_hi:[0,1]
	s_wait_dscnt 0x0
	v_pk_mul_f32 v[92:93], v[88:89], v[78:79] op_sel:[0,1]
	s_delay_alu instid0(VALU_DEP_1) | instskip(SKIP_2) | instid1(VALU_DEP_2)
	v_pk_fma_f32 v[94:95], v[88:89], v[80:81], v[92:93] op_sel:[0,0,1] op_sel_hi:[1,1,0] neg_lo:[0,0,1] neg_hi:[0,0,1]
	v_pk_fma_f32 v[88:89], v[88:89], v[80:81], v[92:93] op_sel:[0,0,1] op_sel_hi:[1,0,0]
	v_dual_mul_f32 v92, v91, v79 :: v_dual_mov_b32 v88, v91
	v_dual_mov_b32 v95, v89 :: v_dual_mov_b32 v89, v90
	s_delay_alu instid0(VALU_DEP_2) | instskip(SKIP_1) | instid1(VALU_DEP_3)
	v_pk_fma_f32 v[92:93], v[90:91], v[16:17], v[92:93] op_sel_hi:[1,1,0] neg_lo:[0,0,1] neg_hi:[0,0,1]
	v_mul_f32_e32 v90, v91, v80
	v_pk_add_f32 v[52:53], v[52:53], v[94:95] neg_lo:[0,1] neg_hi:[0,1]
	s_delay_alu instid0(VALU_DEP_2) | instskip(NEXT) | instid1(VALU_DEP_1)
	v_pk_fma_f32 v[88:89], v[88:89], v[16:17], v[90:91] op_sel_hi:[1,1,0]
	v_mov_b32_e32 v93, v89
	ds_load_2addr_b64 v[88:91], v82 offset0:24 offset1:25
	v_pk_add_f32 v[14:15], v[14:15], v[92:93] neg_lo:[0,1] neg_hi:[0,1]
	s_wait_dscnt 0x0
	v_pk_mul_f32 v[92:93], v[88:89], v[78:79] op_sel:[0,1]
	s_delay_alu instid0(VALU_DEP_1) | instskip(SKIP_1) | instid1(VALU_DEP_1)
	v_pk_fma_f32 v[94:95], v[88:89], v[80:81], v[92:93] op_sel:[0,0,1] op_sel_hi:[1,1,0] neg_lo:[0,0,1] neg_hi:[0,0,1]
	v_pk_fma_f32 v[88:89], v[88:89], v[80:81], v[92:93] op_sel:[0,0,1] op_sel_hi:[1,0,0]
	v_mov_b32_e32 v95, v89
	v_pk_mul_f32 v[88:89], v[90:91], v[78:79] op_sel:[0,1]
	s_delay_alu instid0(VALU_DEP_1) | instskip(SKIP_1) | instid1(VALU_DEP_1)
	v_pk_fma_f32 v[92:93], v[90:91], v[80:81], v[88:89] op_sel:[0,0,1] op_sel_hi:[1,1,0] neg_lo:[0,0,1] neg_hi:[0,0,1]
	v_pk_fma_f32 v[88:89], v[90:91], v[80:81], v[88:89] op_sel:[0,0,1] op_sel_hi:[1,0,0]
	v_mov_b32_e32 v93, v89
	ds_load_2addr_b64 v[88:91], v82 offset0:26 offset1:27
	v_pk_add_f32 v[38:39], v[38:39], v[94:95] neg_lo:[0,1] neg_hi:[0,1]
	v_pk_add_f32 v[32:33], v[32:33], v[92:93] neg_lo:[0,1] neg_hi:[0,1]
	s_wait_dscnt 0x0
	v_pk_mul_f32 v[92:93], v[88:89], v[78:79] op_sel:[0,1]
	s_delay_alu instid0(VALU_DEP_1) | instskip(SKIP_1) | instid1(VALU_DEP_1)
	v_pk_fma_f32 v[94:95], v[88:89], v[80:81], v[92:93] op_sel:[0,0,1] op_sel_hi:[1,1,0] neg_lo:[0,0,1] neg_hi:[0,0,1]
	v_pk_fma_f32 v[88:89], v[88:89], v[80:81], v[92:93] op_sel:[0,0,1] op_sel_hi:[1,0,0]
	v_mov_b32_e32 v95, v89
	v_pk_mul_f32 v[88:89], v[90:91], v[78:79] op_sel:[0,1]
	s_delay_alu instid0(VALU_DEP_1) | instskip(SKIP_1) | instid1(VALU_DEP_1)
	v_pk_fma_f32 v[92:93], v[90:91], v[80:81], v[88:89] op_sel:[0,0,1] op_sel_hi:[1,1,0] neg_lo:[0,0,1] neg_hi:[0,0,1]
	v_pk_fma_f32 v[88:89], v[90:91], v[80:81], v[88:89] op_sel:[0,0,1] op_sel_hi:[1,0,0]
	v_mov_b32_e32 v93, v89
	ds_load_2addr_b64 v[88:91], v82 offset0:28 offset1:29
	v_pk_add_f32 v[36:37], v[36:37], v[94:95] neg_lo:[0,1] neg_hi:[0,1]
	v_pk_add_f32 v[6:7], v[6:7], v[92:93] neg_lo:[0,1] neg_hi:[0,1]
	s_wait_dscnt 0x0
	v_dual_mul_f32 v92, v89, v79 :: v_dual_mul_f32 v94, v89, v80
	s_delay_alu instid0(VALU_DEP_1) | instskip(NEXT) | instid1(VALU_DEP_2)
	v_pk_fma_f32 v[92:93], v[88:89], v[16:17], v[92:93] op_sel_hi:[1,1,0] neg_lo:[0,0,1] neg_hi:[0,0,1]
	v_pk_fma_f32 v[88:89], v[88:89], v[16:17], v[94:95] op_sel:[1,0,0] op_sel_hi:[0,1,0]
	s_delay_alu instid0(VALU_DEP_1) | instskip(SKIP_1) | instid1(VALU_DEP_2)
	v_mov_b32_e32 v93, v89
	v_pk_mul_f32 v[88:89], v[90:91], v[78:79] op_sel:[0,1]
	v_pk_add_f32 v[30:31], v[30:31], v[92:93] neg_lo:[0,1] neg_hi:[0,1]
	s_delay_alu instid0(VALU_DEP_2) | instskip(SKIP_1) | instid1(VALU_DEP_1)
	v_pk_fma_f32 v[92:93], v[90:91], v[80:81], v[88:89] op_sel:[0,0,1] op_sel_hi:[1,1,0] neg_lo:[0,0,1] neg_hi:[0,0,1]
	v_pk_fma_f32 v[88:89], v[90:91], v[80:81], v[88:89] op_sel:[0,0,1] op_sel_hi:[1,0,0]
	v_mov_b32_e32 v93, v89
	ds_load_2addr_b64 v[88:91], v82 offset0:30 offset1:31
	v_pk_add_f32 v[26:27], v[26:27], v[92:93] neg_lo:[0,1] neg_hi:[0,1]
	s_wait_dscnt 0x0
	v_pk_mul_f32 v[92:93], v[88:89], v[78:79] op_sel:[0,1]
	s_delay_alu instid0(VALU_DEP_1) | instskip(SKIP_1) | instid1(VALU_DEP_1)
	v_pk_fma_f32 v[94:95], v[88:89], v[80:81], v[92:93] op_sel:[0,0,1] op_sel_hi:[1,1,0] neg_lo:[0,0,1] neg_hi:[0,0,1]
	v_pk_fma_f32 v[88:89], v[88:89], v[80:81], v[92:93] op_sel:[0,0,1] op_sel_hi:[1,0,0]
	v_mov_b32_e32 v95, v89
	v_pk_mul_f32 v[88:89], v[90:91], v[78:79] op_sel:[0,1]
	s_delay_alu instid0(VALU_DEP_2) | instskip(NEXT) | instid1(VALU_DEP_2)
	v_pk_add_f32 v[28:29], v[28:29], v[94:95] neg_lo:[0,1] neg_hi:[0,1]
	v_pk_fma_f32 v[92:93], v[90:91], v[80:81], v[88:89] op_sel:[0,0,1] op_sel_hi:[1,1,0] neg_lo:[0,0,1] neg_hi:[0,0,1]
	v_pk_fma_f32 v[88:89], v[90:91], v[80:81], v[88:89] op_sel:[0,0,1] op_sel_hi:[1,0,0]
	s_delay_alu instid0(VALU_DEP_1) | instskip(SKIP_4) | instid1(VALU_DEP_1)
	v_mov_b32_e32 v93, v89
	ds_load_2addr_b64 v[88:91], v82 offset0:32 offset1:33
	v_pk_add_f32 v[10:11], v[10:11], v[92:93] neg_lo:[0,1] neg_hi:[0,1]
	s_wait_dscnt 0x0
	v_pk_mul_f32 v[92:93], v[88:89], v[78:79] op_sel:[0,1]
	v_pk_fma_f32 v[94:95], v[88:89], v[80:81], v[92:93] op_sel:[0,0,1] op_sel_hi:[1,1,0] neg_lo:[0,0,1] neg_hi:[0,0,1]
	v_pk_fma_f32 v[88:89], v[88:89], v[80:81], v[92:93] op_sel:[0,0,1] op_sel_hi:[1,0,0]
	v_dual_mul_f32 v92, v91, v79 :: v_dual_mov_b32 v88, v91
	s_delay_alu instid0(VALU_DEP_2) | instskip(NEXT) | instid1(VALU_DEP_2)
	v_dual_mov_b32 v95, v89 :: v_dual_mov_b32 v89, v90
	v_pk_fma_f32 v[92:93], v[90:91], v[16:17], v[92:93] op_sel_hi:[1,1,0] neg_lo:[0,0,1] neg_hi:[0,0,1]
	v_mul_f32_e32 v90, v91, v80
	s_delay_alu instid0(VALU_DEP_3) | instskip(NEXT) | instid1(VALU_DEP_2)
	v_pk_add_f32 v[24:25], v[24:25], v[94:95] neg_lo:[0,1] neg_hi:[0,1]
	v_pk_fma_f32 v[88:89], v[88:89], v[16:17], v[90:91] op_sel_hi:[1,1,0]
	s_delay_alu instid0(VALU_DEP_1)
	v_mov_b32_e32 v93, v89
	ds_load_2addr_b64 v[88:91], v82 offset0:34 offset1:35
	v_pk_add_f32 v[20:21], v[20:21], v[92:93] neg_lo:[0,1] neg_hi:[0,1]
	s_wait_dscnt 0x0
	v_pk_mul_f32 v[92:93], v[88:89], v[78:79] op_sel:[0,1]
	v_pk_mul_f32 v[78:79], v[90:91], v[78:79] op_sel:[0,1]
	s_delay_alu instid0(VALU_DEP_2) | instskip(SKIP_1) | instid1(VALU_DEP_1)
	v_pk_fma_f32 v[94:95], v[88:89], v[80:81], v[92:93] op_sel:[0,0,1] op_sel_hi:[1,1,0] neg_lo:[0,0,1] neg_hi:[0,0,1]
	v_pk_fma_f32 v[88:89], v[88:89], v[80:81], v[92:93] op_sel:[0,0,1] op_sel_hi:[1,0,0]
	v_mov_b32_e32 v95, v89
	s_delay_alu instid0(VALU_DEP_4) | instskip(SKIP_1) | instid1(VALU_DEP_1)
	v_pk_fma_f32 v[88:89], v[90:91], v[80:81], v[78:79] op_sel:[0,0,1] op_sel_hi:[1,1,0] neg_lo:[0,0,1] neg_hi:[0,0,1]
	v_pk_fma_f32 v[78:79], v[90:91], v[80:81], v[78:79] op_sel:[0,0,1] op_sel_hi:[1,0,0]
	v_mov_b32_e32 v89, v79
	s_delay_alu instid0(VALU_DEP_4) | instskip(NEXT) | instid1(VALU_DEP_2)
	v_pk_add_f32 v[18:19], v[18:19], v[94:95] neg_lo:[0,1] neg_hi:[0,1]
	v_pk_add_f32 v[76:77], v[76:77], v[88:89] neg_lo:[0,1] neg_hi:[0,1]
.LBB70_419:
	s_or_b32 exec_lo, exec_lo, s0
	v_lshl_add_u32 v78, v86, 3, v82
	s_barrier_signal -1
	s_barrier_wait -1
	ds_store_b64 v78, v[54:55]
	s_wait_dscnt 0x0
	s_barrier_signal -1
	s_barrier_wait -1
	ds_load_b64 v[78:79], v82 offset:160
	v_mov_b32_e32 v80, 20
	s_cmp_lt_i32 s18, 22
	s_cbranch_scc1 .LBB70_422
; %bb.420:
	v_add3_u32 v81, v83, 0, 0xa8
	v_mov_b32_e32 v80, 20
	s_mov_b32 s0, 21
.LBB70_421:                             ; =>This Inner Loop Header: Depth=1
	ds_load_b64 v[88:89], v81
	s_wait_dscnt 0x1
	v_cmp_gt_f32_e32 vcc_lo, 0, v78
	v_cndmask_b32_e64 v90, v78, -v78, vcc_lo
	v_cmp_gt_f32_e32 vcc_lo, 0, v79
	v_cndmask_b32_e64 v92, v79, -v79, vcc_lo
	s_wait_dscnt 0x0
	v_cmp_gt_f32_e32 vcc_lo, 0, v88
	v_cndmask_b32_e64 v91, v88, -v88, vcc_lo
	v_cmp_gt_f32_e32 vcc_lo, 0, v89
	v_cndmask_b32_e64 v93, v89, -v89, vcc_lo
	s_delay_alu instid0(VALU_DEP_1) | instskip(NEXT) | instid1(VALU_DEP_1)
	v_pk_add_f32 v[90:91], v[90:91], v[92:93]
	v_cmp_lt_f32_e32 vcc_lo, v90, v91
	v_dual_cndmask_b32 v78, v78, v88 :: v_dual_add_nc_u32 v81, 8, v81
	v_cndmask_b32_e32 v79, v79, v89, vcc_lo
	v_cndmask_b32_e64 v80, v80, s0, vcc_lo
	s_add_co_i32 s0, s0, 1
	s_delay_alu instid0(SALU_CYCLE_1)
	s_cmp_lg_u32 s18, s0
	s_cbranch_scc1 .LBB70_421
.LBB70_422:
	s_wait_dscnt 0x0
	v_cmp_eq_f32_e32 vcc_lo, 0, v78
	v_cmp_eq_f32_e64 s0, 0, v79
	s_and_b32 s0, vcc_lo, s0
	s_delay_alu instid0(SALU_CYCLE_1) | instskip(NEXT) | instid1(SALU_CYCLE_1)
	s_and_saveexec_b32 s1, s0
	s_xor_b32 s0, exec_lo, s1
; %bb.423:
	v_cmp_ne_u32_e32 vcc_lo, 0, v84
	v_cndmask_b32_e32 v84, 21, v84, vcc_lo
; %bb.424:
	s_and_not1_saveexec_b32 s0, s0
	s_cbranch_execz .LBB70_430
; %bb.425:
	v_cmp_ngt_f32_e64 s1, |v78|, |v79|
	s_and_saveexec_b32 s12, s1
	s_delay_alu instid0(SALU_CYCLE_1)
	s_xor_b32 s1, exec_lo, s12
	s_cbranch_execz .LBB70_427
; %bb.426:
	v_div_scale_f32 v81, null, v79, v79, v78
	v_div_scale_f32 v89, vcc_lo, v78, v79, v78
	s_delay_alu instid0(VALU_DEP_2) | instskip(SKIP_1) | instid1(TRANS32_DEP_1)
	v_rcp_f32_e32 v87, v81
	v_nop
	v_fma_f32 v88, -v81, v87, 1.0
	s_delay_alu instid0(VALU_DEP_1) | instskip(NEXT) | instid1(VALU_DEP_1)
	v_fmac_f32_e32 v87, v88, v87
	v_mul_f32_e32 v88, v89, v87
	s_delay_alu instid0(VALU_DEP_1) | instskip(NEXT) | instid1(VALU_DEP_1)
	v_fma_f32 v90, -v81, v88, v89
	v_fmac_f32_e32 v88, v90, v87
	s_delay_alu instid0(VALU_DEP_1) | instskip(NEXT) | instid1(VALU_DEP_1)
	v_fma_f32 v81, -v81, v88, v89
	v_div_fmas_f32 v81, v81, v87, v88
	s_delay_alu instid0(VALU_DEP_1) | instskip(NEXT) | instid1(VALU_DEP_1)
	v_div_fixup_f32 v81, v81, v79, v78
	v_fmac_f32_e32 v79, v78, v81
	s_delay_alu instid0(VALU_DEP_1) | instskip(SKIP_1) | instid1(VALU_DEP_2)
	v_div_scale_f32 v78, null, v79, v79, 1.0
	v_div_scale_f32 v89, vcc_lo, 1.0, v79, 1.0
	v_rcp_f32_e32 v87, v78
	v_nop
	s_delay_alu instid0(TRANS32_DEP_1) | instskip(NEXT) | instid1(VALU_DEP_1)
	v_fma_f32 v88, -v78, v87, 1.0
	v_fmac_f32_e32 v87, v88, v87
	s_delay_alu instid0(VALU_DEP_1) | instskip(NEXT) | instid1(VALU_DEP_1)
	v_mul_f32_e32 v88, v89, v87
	v_fma_f32 v90, -v78, v88, v89
	s_delay_alu instid0(VALU_DEP_1) | instskip(NEXT) | instid1(VALU_DEP_1)
	v_fmac_f32_e32 v88, v90, v87
	v_fma_f32 v78, -v78, v88, v89
	s_delay_alu instid0(VALU_DEP_1) | instskip(NEXT) | instid1(VALU_DEP_1)
	v_div_fmas_f32 v78, v78, v87, v88
	v_div_fixup_f32 v79, v78, v79, 1.0
	s_delay_alu instid0(VALU_DEP_1)
	v_mul_f32_e32 v78, v81, v79
	v_xor_b32_e32 v79, 0x80000000, v79
.LBB70_427:
	s_and_not1_saveexec_b32 s1, s1
	s_cbranch_execz .LBB70_429
; %bb.428:
	s_delay_alu instid0(VALU_DEP_1) | instskip(SKIP_1) | instid1(VALU_DEP_2)
	v_div_scale_f32 v81, null, v78, v78, v79
	v_div_scale_f32 v89, vcc_lo, v79, v78, v79
	v_rcp_f32_e32 v87, v81
	v_nop
	s_delay_alu instid0(TRANS32_DEP_1) | instskip(NEXT) | instid1(VALU_DEP_1)
	v_fma_f32 v88, -v81, v87, 1.0
	v_fmac_f32_e32 v87, v88, v87
	s_delay_alu instid0(VALU_DEP_1) | instskip(NEXT) | instid1(VALU_DEP_1)
	v_mul_f32_e32 v88, v89, v87
	v_fma_f32 v90, -v81, v88, v89
	s_delay_alu instid0(VALU_DEP_1) | instskip(NEXT) | instid1(VALU_DEP_1)
	v_fmac_f32_e32 v88, v90, v87
	v_fma_f32 v81, -v81, v88, v89
	s_delay_alu instid0(VALU_DEP_1) | instskip(NEXT) | instid1(VALU_DEP_1)
	v_div_fmas_f32 v81, v81, v87, v88
	v_div_fixup_f32 v81, v81, v78, v79
	s_delay_alu instid0(VALU_DEP_1) | instskip(NEXT) | instid1(VALU_DEP_1)
	v_fmac_f32_e32 v78, v79, v81
	v_div_scale_f32 v79, null, v78, v78, 1.0
	s_delay_alu instid0(VALU_DEP_1) | instskip(SKIP_1) | instid1(TRANS32_DEP_1)
	v_rcp_f32_e32 v87, v79
	v_nop
	v_fma_f32 v88, -v79, v87, 1.0
	s_delay_alu instid0(VALU_DEP_1) | instskip(SKIP_1) | instid1(VALU_DEP_1)
	v_fmac_f32_e32 v87, v88, v87
	v_div_scale_f32 v88, vcc_lo, 1.0, v78, 1.0
	v_mul_f32_e32 v89, v88, v87
	s_delay_alu instid0(VALU_DEP_1) | instskip(NEXT) | instid1(VALU_DEP_1)
	v_fma_f32 v90, -v79, v89, v88
	v_fmac_f32_e32 v89, v90, v87
	s_delay_alu instid0(VALU_DEP_1) | instskip(NEXT) | instid1(VALU_DEP_1)
	v_fma_f32 v79, -v79, v89, v88
	v_div_fmas_f32 v79, v79, v87, v89
	s_delay_alu instid0(VALU_DEP_1) | instskip(NEXT) | instid1(VALU_DEP_1)
	v_div_fixup_f32 v78, v79, v78, 1.0
	v_mul_f32_e64 v79, v81, -v78
.LBB70_429:
	s_or_b32 exec_lo, exec_lo, s1
.LBB70_430:
	s_delay_alu instid0(SALU_CYCLE_1) | instskip(NEXT) | instid1(SALU_CYCLE_1)
	s_or_b32 exec_lo, exec_lo, s0
	s_mov_b32 s0, exec_lo
	v_cmpx_ne_u32_e64 v86, v80
	s_xor_b32 s0, exec_lo, s0
	s_cbranch_execz .LBB70_436
; %bb.431:
	s_mov_b32 s1, exec_lo
	v_cmpx_eq_u32_e32 20, v86
	s_cbranch_execz .LBB70_435
; %bb.432:
	v_cmp_ne_u32_e32 vcc_lo, 20, v80
	s_xor_b32 s12, s16, -1
	s_delay_alu instid0(SALU_CYCLE_1) | instskip(NEXT) | instid1(SALU_CYCLE_1)
	s_and_b32 s13, s12, vcc_lo
	s_and_saveexec_b32 s12, s13
	s_cbranch_execz .LBB70_434
; %bb.433:
	v_ashrrev_i32_e32 v81, 31, v80
	s_delay_alu instid0(VALU_DEP_1)
	v_lshl_add_u64 v[86:87], v[80:81], 2, v[4:5]
	s_clause 0x1
	global_load_b32 v81, v[86:87], off
	global_load_b32 v85, v[4:5], off offset:80
	s_wait_loadcnt 0x1
	global_store_b32 v[4:5], v81, off offset:80
	s_wait_loadcnt 0x0
	global_store_b32 v[86:87], v85, off
.LBB70_434:
	s_wait_xcnt 0x0
	s_or_b32 exec_lo, exec_lo, s12
	v_dual_mov_b32 v86, v80 :: v_dual_mov_b32 v85, v80
.LBB70_435:
	s_or_b32 exec_lo, exec_lo, s1
.LBB70_436:
	s_and_not1_saveexec_b32 s0, s0
	s_cbranch_execz .LBB70_438
; %bb.437:
	v_mov_b32_e32 v86, 20
	ds_store_2addr_b64 v82, v[50:51], v[52:53] offset0:21 offset1:22
	ds_store_2addr_b64 v82, v[14:15], v[38:39] offset0:23 offset1:24
	;; [unrolled: 1-line block ×7, first 2 shown]
	ds_store_b64 v82, v[76:77] offset:280
.LBB70_438:
	s_or_b32 exec_lo, exec_lo, s0
	s_delay_alu instid0(SALU_CYCLE_1)
	s_mov_b32 s0, exec_lo
	s_wait_storecnt_dscnt 0x0
	s_barrier_signal -1
	s_barrier_wait -1
	v_cmpx_lt_i32_e32 20, v86
	s_cbranch_execz .LBB70_440
; %bb.439:
	v_pk_mul_f32 v[88:89], v[78:79], v[54:55] op_sel:[1,1] op_sel_hi:[0,1]
	s_delay_alu instid0(VALU_DEP_1)
	v_pk_fma_f32 v[80:81], v[78:79], v[54:55], v[88:89] op_sel_hi:[1,0,1] neg_lo:[0,0,1] neg_hi:[0,0,1]
	v_pk_fma_f32 v[78:79], v[78:79], v[54:55], v[88:89] op_sel_hi:[1,0,1]
	ds_load_2addr_b64 v[88:91], v82 offset0:21 offset1:22
	v_dual_mov_b32 v54, v80 :: v_dual_mov_b32 v55, v79
	s_wait_dscnt 0x0
	v_pk_mul_f32 v[92:93], v[88:89], v[78:79] op_sel:[0,1]
	s_delay_alu instid0(VALU_DEP_1) | instskip(SKIP_1) | instid1(VALU_DEP_1)
	v_pk_fma_f32 v[94:95], v[88:89], v[80:81], v[92:93] op_sel:[0,0,1] op_sel_hi:[1,1,0] neg_lo:[0,0,1] neg_hi:[0,0,1]
	v_pk_fma_f32 v[88:89], v[88:89], v[80:81], v[92:93] op_sel:[0,0,1] op_sel_hi:[1,0,0]
	v_mov_b32_e32 v95, v89
	v_pk_mul_f32 v[88:89], v[90:91], v[78:79] op_sel:[0,1]
	s_delay_alu instid0(VALU_DEP_1) | instskip(SKIP_1) | instid1(VALU_DEP_1)
	v_pk_fma_f32 v[92:93], v[90:91], v[80:81], v[88:89] op_sel:[0,0,1] op_sel_hi:[1,1,0] neg_lo:[0,0,1] neg_hi:[0,0,1]
	v_pk_fma_f32 v[88:89], v[90:91], v[80:81], v[88:89] op_sel:[0,0,1] op_sel_hi:[1,0,0]
	v_mov_b32_e32 v93, v89
	ds_load_2addr_b64 v[88:91], v82 offset0:23 offset1:24
	v_pk_add_f32 v[50:51], v[50:51], v[94:95] neg_lo:[0,1] neg_hi:[0,1]
	v_pk_add_f32 v[52:53], v[52:53], v[92:93] neg_lo:[0,1] neg_hi:[0,1]
	s_wait_dscnt 0x0
	v_pk_mul_f32 v[92:93], v[88:89], v[78:79] op_sel:[0,1]
	s_delay_alu instid0(VALU_DEP_1) | instskip(SKIP_2) | instid1(VALU_DEP_2)
	v_pk_fma_f32 v[94:95], v[88:89], v[80:81], v[92:93] op_sel:[0,0,1] op_sel_hi:[1,1,0] neg_lo:[0,0,1] neg_hi:[0,0,1]
	v_pk_fma_f32 v[88:89], v[88:89], v[80:81], v[92:93] op_sel:[0,0,1] op_sel_hi:[1,0,0]
	v_dual_mul_f32 v92, v91, v79 :: v_dual_mov_b32 v88, v91
	v_dual_mov_b32 v95, v89 :: v_dual_mov_b32 v89, v90
	s_delay_alu instid0(VALU_DEP_2) | instskip(SKIP_1) | instid1(VALU_DEP_3)
	v_pk_fma_f32 v[92:93], v[90:91], v[54:55], v[92:93] op_sel_hi:[1,1,0] neg_lo:[0,0,1] neg_hi:[0,0,1]
	v_mul_f32_e32 v90, v91, v80
	v_pk_add_f32 v[14:15], v[14:15], v[94:95] neg_lo:[0,1] neg_hi:[0,1]
	s_delay_alu instid0(VALU_DEP_2) | instskip(NEXT) | instid1(VALU_DEP_1)
	v_pk_fma_f32 v[88:89], v[88:89], v[54:55], v[90:91] op_sel_hi:[1,1,0]
	v_mov_b32_e32 v93, v89
	ds_load_2addr_b64 v[88:91], v82 offset0:25 offset1:26
	v_pk_add_f32 v[38:39], v[38:39], v[92:93] neg_lo:[0,1] neg_hi:[0,1]
	s_wait_dscnt 0x0
	v_pk_mul_f32 v[92:93], v[88:89], v[78:79] op_sel:[0,1]
	s_delay_alu instid0(VALU_DEP_1) | instskip(SKIP_1) | instid1(VALU_DEP_1)
	v_pk_fma_f32 v[94:95], v[88:89], v[80:81], v[92:93] op_sel:[0,0,1] op_sel_hi:[1,1,0] neg_lo:[0,0,1] neg_hi:[0,0,1]
	v_pk_fma_f32 v[88:89], v[88:89], v[80:81], v[92:93] op_sel:[0,0,1] op_sel_hi:[1,0,0]
	v_mov_b32_e32 v95, v89
	v_pk_mul_f32 v[88:89], v[90:91], v[78:79] op_sel:[0,1]
	s_delay_alu instid0(VALU_DEP_1) | instskip(SKIP_1) | instid1(VALU_DEP_1)
	v_pk_fma_f32 v[92:93], v[90:91], v[80:81], v[88:89] op_sel:[0,0,1] op_sel_hi:[1,1,0] neg_lo:[0,0,1] neg_hi:[0,0,1]
	v_pk_fma_f32 v[88:89], v[90:91], v[80:81], v[88:89] op_sel:[0,0,1] op_sel_hi:[1,0,0]
	v_mov_b32_e32 v93, v89
	ds_load_2addr_b64 v[88:91], v82 offset0:27 offset1:28
	v_pk_add_f32 v[32:33], v[32:33], v[94:95] neg_lo:[0,1] neg_hi:[0,1]
	v_pk_add_f32 v[36:37], v[36:37], v[92:93] neg_lo:[0,1] neg_hi:[0,1]
	s_wait_dscnt 0x0
	v_pk_mul_f32 v[92:93], v[88:89], v[78:79] op_sel:[0,1]
	s_delay_alu instid0(VALU_DEP_1) | instskip(SKIP_1) | instid1(VALU_DEP_1)
	v_pk_fma_f32 v[94:95], v[88:89], v[80:81], v[92:93] op_sel:[0,0,1] op_sel_hi:[1,1,0] neg_lo:[0,0,1] neg_hi:[0,0,1]
	v_pk_fma_f32 v[88:89], v[88:89], v[80:81], v[92:93] op_sel:[0,0,1] op_sel_hi:[1,0,0]
	v_mov_b32_e32 v95, v89
	v_pk_mul_f32 v[88:89], v[90:91], v[78:79] op_sel:[0,1]
	s_delay_alu instid0(VALU_DEP_1) | instskip(SKIP_1) | instid1(VALU_DEP_1)
	v_pk_fma_f32 v[92:93], v[90:91], v[80:81], v[88:89] op_sel:[0,0,1] op_sel_hi:[1,1,0] neg_lo:[0,0,1] neg_hi:[0,0,1]
	v_pk_fma_f32 v[88:89], v[90:91], v[80:81], v[88:89] op_sel:[0,0,1] op_sel_hi:[1,0,0]
	v_mov_b32_e32 v93, v89
	ds_load_2addr_b64 v[88:91], v82 offset0:29 offset1:30
	v_pk_add_f32 v[6:7], v[6:7], v[94:95] neg_lo:[0,1] neg_hi:[0,1]
	v_pk_add_f32 v[30:31], v[30:31], v[92:93] neg_lo:[0,1] neg_hi:[0,1]
	s_wait_dscnt 0x0
	v_dual_mul_f32 v92, v89, v79 :: v_dual_mul_f32 v94, v89, v80
	s_delay_alu instid0(VALU_DEP_1) | instskip(NEXT) | instid1(VALU_DEP_2)
	v_pk_fma_f32 v[92:93], v[88:89], v[54:55], v[92:93] op_sel_hi:[1,1,0] neg_lo:[0,0,1] neg_hi:[0,0,1]
	v_pk_fma_f32 v[88:89], v[88:89], v[54:55], v[94:95] op_sel:[1,0,0] op_sel_hi:[0,1,0]
	s_delay_alu instid0(VALU_DEP_1) | instskip(SKIP_1) | instid1(VALU_DEP_2)
	v_mov_b32_e32 v93, v89
	v_pk_mul_f32 v[88:89], v[90:91], v[78:79] op_sel:[0,1]
	v_pk_add_f32 v[26:27], v[26:27], v[92:93] neg_lo:[0,1] neg_hi:[0,1]
	s_delay_alu instid0(VALU_DEP_2) | instskip(SKIP_1) | instid1(VALU_DEP_1)
	v_pk_fma_f32 v[92:93], v[90:91], v[80:81], v[88:89] op_sel:[0,0,1] op_sel_hi:[1,1,0] neg_lo:[0,0,1] neg_hi:[0,0,1]
	v_pk_fma_f32 v[88:89], v[90:91], v[80:81], v[88:89] op_sel:[0,0,1] op_sel_hi:[1,0,0]
	v_mov_b32_e32 v93, v89
	ds_load_2addr_b64 v[88:91], v82 offset0:31 offset1:32
	v_pk_add_f32 v[28:29], v[28:29], v[92:93] neg_lo:[0,1] neg_hi:[0,1]
	s_wait_dscnt 0x0
	v_pk_mul_f32 v[92:93], v[88:89], v[78:79] op_sel:[0,1]
	s_delay_alu instid0(VALU_DEP_1) | instskip(SKIP_1) | instid1(VALU_DEP_1)
	v_pk_fma_f32 v[94:95], v[88:89], v[80:81], v[92:93] op_sel:[0,0,1] op_sel_hi:[1,1,0] neg_lo:[0,0,1] neg_hi:[0,0,1]
	v_pk_fma_f32 v[88:89], v[88:89], v[80:81], v[92:93] op_sel:[0,0,1] op_sel_hi:[1,0,0]
	v_mov_b32_e32 v95, v89
	v_pk_mul_f32 v[88:89], v[90:91], v[78:79] op_sel:[0,1]
	s_delay_alu instid0(VALU_DEP_2) | instskip(NEXT) | instid1(VALU_DEP_2)
	v_pk_add_f32 v[10:11], v[10:11], v[94:95] neg_lo:[0,1] neg_hi:[0,1]
	v_pk_fma_f32 v[92:93], v[90:91], v[80:81], v[88:89] op_sel:[0,0,1] op_sel_hi:[1,1,0] neg_lo:[0,0,1] neg_hi:[0,0,1]
	v_pk_fma_f32 v[88:89], v[90:91], v[80:81], v[88:89] op_sel:[0,0,1] op_sel_hi:[1,0,0]
	s_delay_alu instid0(VALU_DEP_1) | instskip(SKIP_4) | instid1(VALU_DEP_1)
	v_mov_b32_e32 v93, v89
	ds_load_2addr_b64 v[88:91], v82 offset0:33 offset1:34
	v_pk_add_f32 v[24:25], v[24:25], v[92:93] neg_lo:[0,1] neg_hi:[0,1]
	s_wait_dscnt 0x0
	v_pk_mul_f32 v[92:93], v[88:89], v[78:79] op_sel:[0,1]
	v_pk_fma_f32 v[94:95], v[88:89], v[80:81], v[92:93] op_sel:[0,0,1] op_sel_hi:[1,1,0] neg_lo:[0,0,1] neg_hi:[0,0,1]
	v_pk_fma_f32 v[88:89], v[88:89], v[80:81], v[92:93] op_sel:[0,0,1] op_sel_hi:[1,0,0]
	v_dual_mul_f32 v92, v91, v79 :: v_dual_mov_b32 v88, v91
	s_delay_alu instid0(VALU_DEP_2) | instskip(NEXT) | instid1(VALU_DEP_2)
	v_dual_mov_b32 v95, v89 :: v_dual_mov_b32 v89, v90
	v_pk_fma_f32 v[92:93], v[90:91], v[54:55], v[92:93] op_sel_hi:[1,1,0] neg_lo:[0,0,1] neg_hi:[0,0,1]
	v_mul_f32_e32 v90, v91, v80
	s_delay_alu instid0(VALU_DEP_3) | instskip(NEXT) | instid1(VALU_DEP_2)
	v_pk_add_f32 v[20:21], v[20:21], v[94:95] neg_lo:[0,1] neg_hi:[0,1]
	v_pk_fma_f32 v[88:89], v[88:89], v[54:55], v[90:91] op_sel_hi:[1,1,0]
	s_delay_alu instid0(VALU_DEP_1) | instskip(SKIP_4) | instid1(VALU_DEP_1)
	v_mov_b32_e32 v93, v89
	ds_load_b64 v[88:89], v82 offset:280
	v_pk_add_f32 v[18:19], v[18:19], v[92:93] neg_lo:[0,1] neg_hi:[0,1]
	s_wait_dscnt 0x0
	v_pk_mul_f32 v[78:79], v[88:89], v[78:79] op_sel:[0,1]
	v_pk_fma_f32 v[90:91], v[88:89], v[80:81], v[78:79] op_sel:[0,0,1] op_sel_hi:[1,1,0] neg_lo:[0,0,1] neg_hi:[0,0,1]
	v_pk_fma_f32 v[78:79], v[88:89], v[80:81], v[78:79] op_sel:[0,0,1] op_sel_hi:[1,0,0]
	s_delay_alu instid0(VALU_DEP_1) | instskip(NEXT) | instid1(VALU_DEP_1)
	v_mov_b32_e32 v91, v79
	v_pk_add_f32 v[76:77], v[76:77], v[90:91] neg_lo:[0,1] neg_hi:[0,1]
.LBB70_440:
	s_or_b32 exec_lo, exec_lo, s0
	v_lshl_add_u32 v78, v86, 3, v82
	s_barrier_signal -1
	s_barrier_wait -1
	ds_store_b64 v78, v[50:51]
	s_wait_dscnt 0x0
	s_barrier_signal -1
	s_barrier_wait -1
	ds_load_b64 v[78:79], v82 offset:168
	v_mov_b32_e32 v80, 21
	s_cmp_lt_i32 s18, 23
	s_cbranch_scc1 .LBB70_443
; %bb.441:
	v_add3_u32 v81, v83, 0, 0xb0
	v_mov_b32_e32 v80, 21
	s_mov_b32 s0, 22
.LBB70_442:                             ; =>This Inner Loop Header: Depth=1
	ds_load_b64 v[88:89], v81
	s_wait_dscnt 0x1
	v_cmp_gt_f32_e32 vcc_lo, 0, v78
	v_cndmask_b32_e64 v90, v78, -v78, vcc_lo
	v_cmp_gt_f32_e32 vcc_lo, 0, v79
	v_cndmask_b32_e64 v92, v79, -v79, vcc_lo
	s_wait_dscnt 0x0
	v_cmp_gt_f32_e32 vcc_lo, 0, v88
	v_cndmask_b32_e64 v91, v88, -v88, vcc_lo
	v_cmp_gt_f32_e32 vcc_lo, 0, v89
	v_cndmask_b32_e64 v93, v89, -v89, vcc_lo
	s_delay_alu instid0(VALU_DEP_1) | instskip(NEXT) | instid1(VALU_DEP_1)
	v_pk_add_f32 v[90:91], v[90:91], v[92:93]
	v_cmp_lt_f32_e32 vcc_lo, v90, v91
	v_dual_cndmask_b32 v78, v78, v88 :: v_dual_add_nc_u32 v81, 8, v81
	v_cndmask_b32_e32 v79, v79, v89, vcc_lo
	v_cndmask_b32_e64 v80, v80, s0, vcc_lo
	s_add_co_i32 s0, s0, 1
	s_delay_alu instid0(SALU_CYCLE_1)
	s_cmp_lg_u32 s18, s0
	s_cbranch_scc1 .LBB70_442
.LBB70_443:
	s_wait_dscnt 0x0
	v_cmp_eq_f32_e32 vcc_lo, 0, v78
	v_cmp_eq_f32_e64 s0, 0, v79
	s_and_b32 s0, vcc_lo, s0
	s_delay_alu instid0(SALU_CYCLE_1) | instskip(NEXT) | instid1(SALU_CYCLE_1)
	s_and_saveexec_b32 s1, s0
	s_xor_b32 s0, exec_lo, s1
; %bb.444:
	v_cmp_ne_u32_e32 vcc_lo, 0, v84
	v_cndmask_b32_e32 v84, 22, v84, vcc_lo
; %bb.445:
	s_and_not1_saveexec_b32 s0, s0
	s_cbranch_execz .LBB70_451
; %bb.446:
	v_cmp_ngt_f32_e64 s1, |v78|, |v79|
	s_and_saveexec_b32 s12, s1
	s_delay_alu instid0(SALU_CYCLE_1)
	s_xor_b32 s1, exec_lo, s12
	s_cbranch_execz .LBB70_448
; %bb.447:
	v_div_scale_f32 v81, null, v79, v79, v78
	v_div_scale_f32 v89, vcc_lo, v78, v79, v78
	s_delay_alu instid0(VALU_DEP_2) | instskip(SKIP_1) | instid1(TRANS32_DEP_1)
	v_rcp_f32_e32 v87, v81
	v_nop
	v_fma_f32 v88, -v81, v87, 1.0
	s_delay_alu instid0(VALU_DEP_1) | instskip(NEXT) | instid1(VALU_DEP_1)
	v_fmac_f32_e32 v87, v88, v87
	v_mul_f32_e32 v88, v89, v87
	s_delay_alu instid0(VALU_DEP_1) | instskip(NEXT) | instid1(VALU_DEP_1)
	v_fma_f32 v90, -v81, v88, v89
	v_fmac_f32_e32 v88, v90, v87
	s_delay_alu instid0(VALU_DEP_1) | instskip(NEXT) | instid1(VALU_DEP_1)
	v_fma_f32 v81, -v81, v88, v89
	v_div_fmas_f32 v81, v81, v87, v88
	s_delay_alu instid0(VALU_DEP_1) | instskip(NEXT) | instid1(VALU_DEP_1)
	v_div_fixup_f32 v81, v81, v79, v78
	v_fmac_f32_e32 v79, v78, v81
	s_delay_alu instid0(VALU_DEP_1) | instskip(SKIP_1) | instid1(VALU_DEP_2)
	v_div_scale_f32 v78, null, v79, v79, 1.0
	v_div_scale_f32 v89, vcc_lo, 1.0, v79, 1.0
	v_rcp_f32_e32 v87, v78
	v_nop
	s_delay_alu instid0(TRANS32_DEP_1) | instskip(NEXT) | instid1(VALU_DEP_1)
	v_fma_f32 v88, -v78, v87, 1.0
	v_fmac_f32_e32 v87, v88, v87
	s_delay_alu instid0(VALU_DEP_1) | instskip(NEXT) | instid1(VALU_DEP_1)
	v_mul_f32_e32 v88, v89, v87
	v_fma_f32 v90, -v78, v88, v89
	s_delay_alu instid0(VALU_DEP_1) | instskip(NEXT) | instid1(VALU_DEP_1)
	v_fmac_f32_e32 v88, v90, v87
	v_fma_f32 v78, -v78, v88, v89
	s_delay_alu instid0(VALU_DEP_1) | instskip(NEXT) | instid1(VALU_DEP_1)
	v_div_fmas_f32 v78, v78, v87, v88
	v_div_fixup_f32 v79, v78, v79, 1.0
	s_delay_alu instid0(VALU_DEP_1)
	v_mul_f32_e32 v78, v81, v79
	v_xor_b32_e32 v79, 0x80000000, v79
.LBB70_448:
	s_and_not1_saveexec_b32 s1, s1
	s_cbranch_execz .LBB70_450
; %bb.449:
	s_delay_alu instid0(VALU_DEP_1) | instskip(SKIP_1) | instid1(VALU_DEP_2)
	v_div_scale_f32 v81, null, v78, v78, v79
	v_div_scale_f32 v89, vcc_lo, v79, v78, v79
	v_rcp_f32_e32 v87, v81
	v_nop
	s_delay_alu instid0(TRANS32_DEP_1) | instskip(NEXT) | instid1(VALU_DEP_1)
	v_fma_f32 v88, -v81, v87, 1.0
	v_fmac_f32_e32 v87, v88, v87
	s_delay_alu instid0(VALU_DEP_1) | instskip(NEXT) | instid1(VALU_DEP_1)
	v_mul_f32_e32 v88, v89, v87
	v_fma_f32 v90, -v81, v88, v89
	s_delay_alu instid0(VALU_DEP_1) | instskip(NEXT) | instid1(VALU_DEP_1)
	v_fmac_f32_e32 v88, v90, v87
	v_fma_f32 v81, -v81, v88, v89
	s_delay_alu instid0(VALU_DEP_1) | instskip(NEXT) | instid1(VALU_DEP_1)
	v_div_fmas_f32 v81, v81, v87, v88
	v_div_fixup_f32 v81, v81, v78, v79
	s_delay_alu instid0(VALU_DEP_1) | instskip(NEXT) | instid1(VALU_DEP_1)
	v_fmac_f32_e32 v78, v79, v81
	v_div_scale_f32 v79, null, v78, v78, 1.0
	s_delay_alu instid0(VALU_DEP_1) | instskip(SKIP_1) | instid1(TRANS32_DEP_1)
	v_rcp_f32_e32 v87, v79
	v_nop
	v_fma_f32 v88, -v79, v87, 1.0
	s_delay_alu instid0(VALU_DEP_1) | instskip(SKIP_1) | instid1(VALU_DEP_1)
	v_fmac_f32_e32 v87, v88, v87
	v_div_scale_f32 v88, vcc_lo, 1.0, v78, 1.0
	v_mul_f32_e32 v89, v88, v87
	s_delay_alu instid0(VALU_DEP_1) | instskip(NEXT) | instid1(VALU_DEP_1)
	v_fma_f32 v90, -v79, v89, v88
	v_fmac_f32_e32 v89, v90, v87
	s_delay_alu instid0(VALU_DEP_1) | instskip(NEXT) | instid1(VALU_DEP_1)
	v_fma_f32 v79, -v79, v89, v88
	v_div_fmas_f32 v79, v79, v87, v89
	s_delay_alu instid0(VALU_DEP_1) | instskip(NEXT) | instid1(VALU_DEP_1)
	v_div_fixup_f32 v78, v79, v78, 1.0
	v_mul_f32_e64 v79, v81, -v78
.LBB70_450:
	s_or_b32 exec_lo, exec_lo, s1
.LBB70_451:
	s_delay_alu instid0(SALU_CYCLE_1) | instskip(NEXT) | instid1(SALU_CYCLE_1)
	s_or_b32 exec_lo, exec_lo, s0
	s_mov_b32 s0, exec_lo
	v_cmpx_ne_u32_e64 v86, v80
	s_xor_b32 s0, exec_lo, s0
	s_cbranch_execz .LBB70_457
; %bb.452:
	s_mov_b32 s1, exec_lo
	v_cmpx_eq_u32_e32 21, v86
	s_cbranch_execz .LBB70_456
; %bb.453:
	v_cmp_ne_u32_e32 vcc_lo, 21, v80
	s_xor_b32 s12, s16, -1
	s_delay_alu instid0(SALU_CYCLE_1) | instskip(NEXT) | instid1(SALU_CYCLE_1)
	s_and_b32 s13, s12, vcc_lo
	s_and_saveexec_b32 s12, s13
	s_cbranch_execz .LBB70_455
; %bb.454:
	v_ashrrev_i32_e32 v81, 31, v80
	s_delay_alu instid0(VALU_DEP_1)
	v_lshl_add_u64 v[86:87], v[80:81], 2, v[4:5]
	s_clause 0x1
	global_load_b32 v81, v[86:87], off
	global_load_b32 v85, v[4:5], off offset:84
	s_wait_loadcnt 0x1
	global_store_b32 v[4:5], v81, off offset:84
	s_wait_loadcnt 0x0
	global_store_b32 v[86:87], v85, off
.LBB70_455:
	s_wait_xcnt 0x0
	s_or_b32 exec_lo, exec_lo, s12
	v_dual_mov_b32 v86, v80 :: v_dual_mov_b32 v85, v80
.LBB70_456:
	s_or_b32 exec_lo, exec_lo, s1
.LBB70_457:
	s_and_not1_saveexec_b32 s0, s0
	s_cbranch_execz .LBB70_459
; %bb.458:
	v_dual_mov_b32 v80, v52 :: v_dual_mov_b32 v81, v53
	v_dual_mov_b32 v86, v14 :: v_dual_mov_b32 v87, v15
	;; [unrolled: 1-line block ×4, first 2 shown]
	ds_store_2addr_b64 v82, v[80:81], v[86:87] offset0:22 offset1:23
	ds_store_2addr_b64 v82, v[88:89], v[90:91] offset0:24 offset1:25
	v_dual_mov_b32 v80, v36 :: v_dual_mov_b32 v81, v37
	v_dual_mov_b32 v88, v6 :: v_dual_mov_b32 v89, v7
	;; [unrolled: 1-line block ×9, first 2 shown]
	v_mov_b32_e32 v103, v19
	ds_store_2addr_b64 v82, v[80:81], v[88:89] offset0:26 offset1:27
	ds_store_2addr_b64 v82, v[90:91], v[92:93] offset0:28 offset1:29
	ds_store_2addr_b64 v82, v[94:95], v[96:97] offset0:30 offset1:31
	ds_store_2addr_b64 v82, v[98:99], v[100:101] offset0:32 offset1:33
	ds_store_2addr_b64 v82, v[102:103], v[76:77] offset0:34 offset1:35
.LBB70_459:
	s_or_b32 exec_lo, exec_lo, s0
	s_delay_alu instid0(SALU_CYCLE_1)
	s_mov_b32 s0, exec_lo
	s_wait_storecnt_dscnt 0x0
	s_barrier_signal -1
	s_barrier_wait -1
	v_cmpx_lt_i32_e32 21, v86
	s_cbranch_execz .LBB70_461
; %bb.460:
	v_pk_mul_f32 v[80:81], v[78:79], v[50:51] op_sel:[1,1] op_sel_hi:[0,1]
	s_delay_alu instid0(VALU_DEP_1)
	v_pk_fma_f32 v[88:89], v[78:79], v[50:51], v[80:81] op_sel_hi:[1,0,1] neg_lo:[0,0,1] neg_hi:[0,0,1]
	v_pk_fma_f32 v[90:91], v[78:79], v[50:51], v[80:81] op_sel_hi:[1,0,1]
	ds_load_2addr_b64 v[78:81], v82 offset0:22 offset1:23
	v_dual_mov_b32 v50, v88 :: v_dual_mov_b32 v51, v91
	s_wait_dscnt 0x0
	v_pk_mul_f32 v[92:93], v[78:79], v[90:91] op_sel:[0,1]
	s_delay_alu instid0(VALU_DEP_1) | instskip(SKIP_1) | instid1(VALU_DEP_1)
	v_pk_fma_f32 v[94:95], v[78:79], v[88:89], v[92:93] op_sel:[0,0,1] op_sel_hi:[1,1,0] neg_lo:[0,0,1] neg_hi:[0,0,1]
	v_pk_fma_f32 v[78:79], v[78:79], v[88:89], v[92:93] op_sel:[0,0,1] op_sel_hi:[1,0,0]
	v_mov_b32_e32 v95, v79
	v_pk_mul_f32 v[78:79], v[80:81], v[90:91] op_sel:[0,1]
	s_delay_alu instid0(VALU_DEP_1) | instskip(SKIP_1) | instid1(VALU_DEP_1)
	v_pk_fma_f32 v[92:93], v[80:81], v[88:89], v[78:79] op_sel:[0,0,1] op_sel_hi:[1,1,0] neg_lo:[0,0,1] neg_hi:[0,0,1]
	v_pk_fma_f32 v[78:79], v[80:81], v[88:89], v[78:79] op_sel:[0,0,1] op_sel_hi:[1,0,0]
	v_mov_b32_e32 v93, v79
	ds_load_2addr_b64 v[78:81], v82 offset0:24 offset1:25
	v_pk_add_f32 v[52:53], v[52:53], v[94:95] neg_lo:[0,1] neg_hi:[0,1]
	v_pk_add_f32 v[14:15], v[14:15], v[92:93] neg_lo:[0,1] neg_hi:[0,1]
	s_wait_dscnt 0x0
	v_pk_mul_f32 v[92:93], v[78:79], v[90:91] op_sel:[0,1]
	s_delay_alu instid0(VALU_DEP_1) | instskip(SKIP_2) | instid1(VALU_DEP_2)
	v_pk_fma_f32 v[94:95], v[78:79], v[88:89], v[92:93] op_sel:[0,0,1] op_sel_hi:[1,1,0] neg_lo:[0,0,1] neg_hi:[0,0,1]
	v_pk_fma_f32 v[78:79], v[78:79], v[88:89], v[92:93] op_sel:[0,0,1] op_sel_hi:[1,0,0]
	v_dual_mul_f32 v92, v81, v91 :: v_dual_mov_b32 v78, v81
	v_dual_mov_b32 v95, v79 :: v_dual_mov_b32 v79, v80
	s_delay_alu instid0(VALU_DEP_2) | instskip(SKIP_1) | instid1(VALU_DEP_3)
	v_pk_fma_f32 v[92:93], v[80:81], v[50:51], v[92:93] op_sel_hi:[1,1,0] neg_lo:[0,0,1] neg_hi:[0,0,1]
	v_mul_f32_e32 v80, v81, v88
	v_pk_add_f32 v[38:39], v[38:39], v[94:95] neg_lo:[0,1] neg_hi:[0,1]
	s_delay_alu instid0(VALU_DEP_2) | instskip(NEXT) | instid1(VALU_DEP_1)
	v_pk_fma_f32 v[78:79], v[78:79], v[50:51], v[80:81] op_sel_hi:[1,1,0]
	v_mov_b32_e32 v93, v79
	ds_load_2addr_b64 v[78:81], v82 offset0:26 offset1:27
	v_pk_add_f32 v[32:33], v[32:33], v[92:93] neg_lo:[0,1] neg_hi:[0,1]
	s_wait_dscnt 0x0
	v_pk_mul_f32 v[92:93], v[78:79], v[90:91] op_sel:[0,1]
	s_delay_alu instid0(VALU_DEP_1) | instskip(SKIP_1) | instid1(VALU_DEP_1)
	v_pk_fma_f32 v[94:95], v[78:79], v[88:89], v[92:93] op_sel:[0,0,1] op_sel_hi:[1,1,0] neg_lo:[0,0,1] neg_hi:[0,0,1]
	v_pk_fma_f32 v[78:79], v[78:79], v[88:89], v[92:93] op_sel:[0,0,1] op_sel_hi:[1,0,0]
	v_mov_b32_e32 v95, v79
	v_pk_mul_f32 v[78:79], v[80:81], v[90:91] op_sel:[0,1]
	s_delay_alu instid0(VALU_DEP_1) | instskip(SKIP_1) | instid1(VALU_DEP_1)
	v_pk_fma_f32 v[92:93], v[80:81], v[88:89], v[78:79] op_sel:[0,0,1] op_sel_hi:[1,1,0] neg_lo:[0,0,1] neg_hi:[0,0,1]
	v_pk_fma_f32 v[78:79], v[80:81], v[88:89], v[78:79] op_sel:[0,0,1] op_sel_hi:[1,0,0]
	v_mov_b32_e32 v93, v79
	ds_load_2addr_b64 v[78:81], v82 offset0:28 offset1:29
	v_pk_add_f32 v[36:37], v[36:37], v[94:95] neg_lo:[0,1] neg_hi:[0,1]
	v_pk_add_f32 v[6:7], v[6:7], v[92:93] neg_lo:[0,1] neg_hi:[0,1]
	s_wait_dscnt 0x0
	v_pk_mul_f32 v[92:93], v[78:79], v[90:91] op_sel:[0,1]
	s_delay_alu instid0(VALU_DEP_1) | instskip(SKIP_1) | instid1(VALU_DEP_1)
	v_pk_fma_f32 v[94:95], v[78:79], v[88:89], v[92:93] op_sel:[0,0,1] op_sel_hi:[1,1,0] neg_lo:[0,0,1] neg_hi:[0,0,1]
	v_pk_fma_f32 v[78:79], v[78:79], v[88:89], v[92:93] op_sel:[0,0,1] op_sel_hi:[1,0,0]
	v_mov_b32_e32 v95, v79
	v_pk_mul_f32 v[78:79], v[80:81], v[90:91] op_sel:[0,1]
	s_delay_alu instid0(VALU_DEP_1) | instskip(SKIP_1) | instid1(VALU_DEP_1)
	v_pk_fma_f32 v[92:93], v[80:81], v[88:89], v[78:79] op_sel:[0,0,1] op_sel_hi:[1,1,0] neg_lo:[0,0,1] neg_hi:[0,0,1]
	v_pk_fma_f32 v[78:79], v[80:81], v[88:89], v[78:79] op_sel:[0,0,1] op_sel_hi:[1,0,0]
	v_mov_b32_e32 v93, v79
	ds_load_2addr_b64 v[78:81], v82 offset0:30 offset1:31
	v_pk_add_f32 v[30:31], v[30:31], v[94:95] neg_lo:[0,1] neg_hi:[0,1]
	v_pk_add_f32 v[26:27], v[26:27], v[92:93] neg_lo:[0,1] neg_hi:[0,1]
	s_wait_dscnt 0x0
	v_dual_mul_f32 v92, v79, v91 :: v_dual_mul_f32 v94, v79, v88
	s_delay_alu instid0(VALU_DEP_1) | instskip(NEXT) | instid1(VALU_DEP_2)
	v_pk_fma_f32 v[92:93], v[78:79], v[50:51], v[92:93] op_sel_hi:[1,1,0] neg_lo:[0,0,1] neg_hi:[0,0,1]
	v_pk_fma_f32 v[78:79], v[78:79], v[50:51], v[94:95] op_sel:[1,0,0] op_sel_hi:[0,1,0]
	s_delay_alu instid0(VALU_DEP_1) | instskip(SKIP_1) | instid1(VALU_DEP_2)
	v_mov_b32_e32 v93, v79
	v_pk_mul_f32 v[78:79], v[80:81], v[90:91] op_sel:[0,1]
	v_pk_add_f32 v[28:29], v[28:29], v[92:93] neg_lo:[0,1] neg_hi:[0,1]
	s_delay_alu instid0(VALU_DEP_2) | instskip(SKIP_1) | instid1(VALU_DEP_1)
	v_pk_fma_f32 v[92:93], v[80:81], v[88:89], v[78:79] op_sel:[0,0,1] op_sel_hi:[1,1,0] neg_lo:[0,0,1] neg_hi:[0,0,1]
	v_pk_fma_f32 v[78:79], v[80:81], v[88:89], v[78:79] op_sel:[0,0,1] op_sel_hi:[1,0,0]
	v_mov_b32_e32 v93, v79
	ds_load_2addr_b64 v[78:81], v82 offset0:32 offset1:33
	v_pk_add_f32 v[10:11], v[10:11], v[92:93] neg_lo:[0,1] neg_hi:[0,1]
	s_wait_dscnt 0x0
	v_pk_mul_f32 v[92:93], v[78:79], v[90:91] op_sel:[0,1]
	s_delay_alu instid0(VALU_DEP_1) | instskip(SKIP_1) | instid1(VALU_DEP_1)
	v_pk_fma_f32 v[94:95], v[78:79], v[88:89], v[92:93] op_sel:[0,0,1] op_sel_hi:[1,1,0] neg_lo:[0,0,1] neg_hi:[0,0,1]
	v_pk_fma_f32 v[78:79], v[78:79], v[88:89], v[92:93] op_sel:[0,0,1] op_sel_hi:[1,0,0]
	v_mov_b32_e32 v95, v79
	v_pk_mul_f32 v[78:79], v[80:81], v[90:91] op_sel:[0,1]
	s_delay_alu instid0(VALU_DEP_2) | instskip(NEXT) | instid1(VALU_DEP_2)
	v_pk_add_f32 v[24:25], v[24:25], v[94:95] neg_lo:[0,1] neg_hi:[0,1]
	v_pk_fma_f32 v[92:93], v[80:81], v[88:89], v[78:79] op_sel:[0,0,1] op_sel_hi:[1,1,0] neg_lo:[0,0,1] neg_hi:[0,0,1]
	v_pk_fma_f32 v[78:79], v[80:81], v[88:89], v[78:79] op_sel:[0,0,1] op_sel_hi:[1,0,0]
	s_delay_alu instid0(VALU_DEP_1) | instskip(SKIP_4) | instid1(VALU_DEP_1)
	v_mov_b32_e32 v93, v79
	ds_load_2addr_b64 v[78:81], v82 offset0:34 offset1:35
	v_pk_add_f32 v[20:21], v[20:21], v[92:93] neg_lo:[0,1] neg_hi:[0,1]
	s_wait_dscnt 0x0
	v_pk_mul_f32 v[92:93], v[78:79], v[90:91] op_sel:[0,1]
	v_pk_fma_f32 v[94:95], v[78:79], v[88:89], v[92:93] op_sel:[0,0,1] op_sel_hi:[1,1,0] neg_lo:[0,0,1] neg_hi:[0,0,1]
	v_pk_fma_f32 v[78:79], v[78:79], v[88:89], v[92:93] op_sel:[0,0,1] op_sel_hi:[1,0,0]
	s_delay_alu instid0(VALU_DEP_1) | instskip(SKIP_1) | instid1(VALU_DEP_2)
	v_mov_b32_e32 v95, v79
	v_pk_mul_f32 v[78:79], v[80:81], v[90:91] op_sel:[0,1]
	v_pk_add_f32 v[18:19], v[18:19], v[94:95] neg_lo:[0,1] neg_hi:[0,1]
	s_delay_alu instid0(VALU_DEP_2) | instskip(SKIP_1) | instid1(VALU_DEP_1)
	v_pk_fma_f32 v[90:91], v[80:81], v[88:89], v[78:79] op_sel:[0,0,1] op_sel_hi:[1,1,0] neg_lo:[0,0,1] neg_hi:[0,0,1]
	v_pk_fma_f32 v[78:79], v[80:81], v[88:89], v[78:79] op_sel:[0,0,1] op_sel_hi:[1,0,0]
	v_mov_b32_e32 v91, v79
	s_delay_alu instid0(VALU_DEP_1)
	v_pk_add_f32 v[76:77], v[76:77], v[90:91] neg_lo:[0,1] neg_hi:[0,1]
.LBB70_461:
	s_or_b32 exec_lo, exec_lo, s0
	v_lshl_add_u32 v78, v86, 3, v82
	s_barrier_signal -1
	s_barrier_wait -1
	ds_store_b64 v78, v[52:53]
	s_wait_dscnt 0x0
	s_barrier_signal -1
	s_barrier_wait -1
	ds_load_b64 v[78:79], v82 offset:176
	v_mov_b32_e32 v80, 22
	s_cmp_lt_i32 s18, 24
	s_cbranch_scc1 .LBB70_464
; %bb.462:
	v_add3_u32 v81, v83, 0, 0xb8
	v_mov_b32_e32 v80, 22
	s_mov_b32 s0, 23
.LBB70_463:                             ; =>This Inner Loop Header: Depth=1
	ds_load_b64 v[88:89], v81
	s_wait_dscnt 0x1
	v_cmp_gt_f32_e32 vcc_lo, 0, v78
	v_cndmask_b32_e64 v90, v78, -v78, vcc_lo
	v_cmp_gt_f32_e32 vcc_lo, 0, v79
	v_cndmask_b32_e64 v92, v79, -v79, vcc_lo
	s_wait_dscnt 0x0
	v_cmp_gt_f32_e32 vcc_lo, 0, v88
	v_cndmask_b32_e64 v91, v88, -v88, vcc_lo
	v_cmp_gt_f32_e32 vcc_lo, 0, v89
	v_cndmask_b32_e64 v93, v89, -v89, vcc_lo
	s_delay_alu instid0(VALU_DEP_1) | instskip(NEXT) | instid1(VALU_DEP_1)
	v_pk_add_f32 v[90:91], v[90:91], v[92:93]
	v_cmp_lt_f32_e32 vcc_lo, v90, v91
	v_dual_cndmask_b32 v78, v78, v88 :: v_dual_add_nc_u32 v81, 8, v81
	v_cndmask_b32_e32 v79, v79, v89, vcc_lo
	v_cndmask_b32_e64 v80, v80, s0, vcc_lo
	s_add_co_i32 s0, s0, 1
	s_delay_alu instid0(SALU_CYCLE_1)
	s_cmp_lg_u32 s18, s0
	s_cbranch_scc1 .LBB70_463
.LBB70_464:
	s_wait_dscnt 0x0
	v_cmp_eq_f32_e32 vcc_lo, 0, v78
	v_cmp_eq_f32_e64 s0, 0, v79
	s_and_b32 s0, vcc_lo, s0
	s_delay_alu instid0(SALU_CYCLE_1) | instskip(NEXT) | instid1(SALU_CYCLE_1)
	s_and_saveexec_b32 s1, s0
	s_xor_b32 s0, exec_lo, s1
; %bb.465:
	v_cmp_ne_u32_e32 vcc_lo, 0, v84
	v_cndmask_b32_e32 v84, 23, v84, vcc_lo
; %bb.466:
	s_and_not1_saveexec_b32 s0, s0
	s_cbranch_execz .LBB70_472
; %bb.467:
	v_cmp_ngt_f32_e64 s1, |v78|, |v79|
	s_and_saveexec_b32 s12, s1
	s_delay_alu instid0(SALU_CYCLE_1)
	s_xor_b32 s1, exec_lo, s12
	s_cbranch_execz .LBB70_469
; %bb.468:
	v_div_scale_f32 v81, null, v79, v79, v78
	v_div_scale_f32 v89, vcc_lo, v78, v79, v78
	s_delay_alu instid0(VALU_DEP_2) | instskip(SKIP_1) | instid1(TRANS32_DEP_1)
	v_rcp_f32_e32 v87, v81
	v_nop
	v_fma_f32 v88, -v81, v87, 1.0
	s_delay_alu instid0(VALU_DEP_1) | instskip(NEXT) | instid1(VALU_DEP_1)
	v_fmac_f32_e32 v87, v88, v87
	v_mul_f32_e32 v88, v89, v87
	s_delay_alu instid0(VALU_DEP_1) | instskip(NEXT) | instid1(VALU_DEP_1)
	v_fma_f32 v90, -v81, v88, v89
	v_fmac_f32_e32 v88, v90, v87
	s_delay_alu instid0(VALU_DEP_1) | instskip(NEXT) | instid1(VALU_DEP_1)
	v_fma_f32 v81, -v81, v88, v89
	v_div_fmas_f32 v81, v81, v87, v88
	s_delay_alu instid0(VALU_DEP_1) | instskip(NEXT) | instid1(VALU_DEP_1)
	v_div_fixup_f32 v81, v81, v79, v78
	v_fmac_f32_e32 v79, v78, v81
	s_delay_alu instid0(VALU_DEP_1) | instskip(SKIP_1) | instid1(VALU_DEP_2)
	v_div_scale_f32 v78, null, v79, v79, 1.0
	v_div_scale_f32 v89, vcc_lo, 1.0, v79, 1.0
	v_rcp_f32_e32 v87, v78
	v_nop
	s_delay_alu instid0(TRANS32_DEP_1) | instskip(NEXT) | instid1(VALU_DEP_1)
	v_fma_f32 v88, -v78, v87, 1.0
	v_fmac_f32_e32 v87, v88, v87
	s_delay_alu instid0(VALU_DEP_1) | instskip(NEXT) | instid1(VALU_DEP_1)
	v_mul_f32_e32 v88, v89, v87
	v_fma_f32 v90, -v78, v88, v89
	s_delay_alu instid0(VALU_DEP_1) | instskip(NEXT) | instid1(VALU_DEP_1)
	v_fmac_f32_e32 v88, v90, v87
	v_fma_f32 v78, -v78, v88, v89
	s_delay_alu instid0(VALU_DEP_1) | instskip(NEXT) | instid1(VALU_DEP_1)
	v_div_fmas_f32 v78, v78, v87, v88
	v_div_fixup_f32 v79, v78, v79, 1.0
	s_delay_alu instid0(VALU_DEP_1)
	v_mul_f32_e32 v78, v81, v79
	v_xor_b32_e32 v79, 0x80000000, v79
.LBB70_469:
	s_and_not1_saveexec_b32 s1, s1
	s_cbranch_execz .LBB70_471
; %bb.470:
	s_delay_alu instid0(VALU_DEP_1) | instskip(SKIP_1) | instid1(VALU_DEP_2)
	v_div_scale_f32 v81, null, v78, v78, v79
	v_div_scale_f32 v89, vcc_lo, v79, v78, v79
	v_rcp_f32_e32 v87, v81
	v_nop
	s_delay_alu instid0(TRANS32_DEP_1) | instskip(NEXT) | instid1(VALU_DEP_1)
	v_fma_f32 v88, -v81, v87, 1.0
	v_fmac_f32_e32 v87, v88, v87
	s_delay_alu instid0(VALU_DEP_1) | instskip(NEXT) | instid1(VALU_DEP_1)
	v_mul_f32_e32 v88, v89, v87
	v_fma_f32 v90, -v81, v88, v89
	s_delay_alu instid0(VALU_DEP_1) | instskip(NEXT) | instid1(VALU_DEP_1)
	v_fmac_f32_e32 v88, v90, v87
	v_fma_f32 v81, -v81, v88, v89
	s_delay_alu instid0(VALU_DEP_1) | instskip(NEXT) | instid1(VALU_DEP_1)
	v_div_fmas_f32 v81, v81, v87, v88
	v_div_fixup_f32 v81, v81, v78, v79
	s_delay_alu instid0(VALU_DEP_1) | instskip(NEXT) | instid1(VALU_DEP_1)
	v_fmac_f32_e32 v78, v79, v81
	v_div_scale_f32 v79, null, v78, v78, 1.0
	s_delay_alu instid0(VALU_DEP_1) | instskip(SKIP_1) | instid1(TRANS32_DEP_1)
	v_rcp_f32_e32 v87, v79
	v_nop
	v_fma_f32 v88, -v79, v87, 1.0
	s_delay_alu instid0(VALU_DEP_1) | instskip(SKIP_1) | instid1(VALU_DEP_1)
	v_fmac_f32_e32 v87, v88, v87
	v_div_scale_f32 v88, vcc_lo, 1.0, v78, 1.0
	v_mul_f32_e32 v89, v88, v87
	s_delay_alu instid0(VALU_DEP_1) | instskip(NEXT) | instid1(VALU_DEP_1)
	v_fma_f32 v90, -v79, v89, v88
	v_fmac_f32_e32 v89, v90, v87
	s_delay_alu instid0(VALU_DEP_1) | instskip(NEXT) | instid1(VALU_DEP_1)
	v_fma_f32 v79, -v79, v89, v88
	v_div_fmas_f32 v79, v79, v87, v89
	s_delay_alu instid0(VALU_DEP_1) | instskip(NEXT) | instid1(VALU_DEP_1)
	v_div_fixup_f32 v78, v79, v78, 1.0
	v_mul_f32_e64 v79, v81, -v78
.LBB70_471:
	s_or_b32 exec_lo, exec_lo, s1
.LBB70_472:
	s_delay_alu instid0(SALU_CYCLE_1) | instskip(NEXT) | instid1(SALU_CYCLE_1)
	s_or_b32 exec_lo, exec_lo, s0
	s_mov_b32 s0, exec_lo
	v_cmpx_ne_u32_e64 v86, v80
	s_xor_b32 s0, exec_lo, s0
	s_cbranch_execz .LBB70_478
; %bb.473:
	s_mov_b32 s1, exec_lo
	v_cmpx_eq_u32_e32 22, v86
	s_cbranch_execz .LBB70_477
; %bb.474:
	v_cmp_ne_u32_e32 vcc_lo, 22, v80
	s_xor_b32 s12, s16, -1
	s_delay_alu instid0(SALU_CYCLE_1) | instskip(NEXT) | instid1(SALU_CYCLE_1)
	s_and_b32 s13, s12, vcc_lo
	s_and_saveexec_b32 s12, s13
	s_cbranch_execz .LBB70_476
; %bb.475:
	v_ashrrev_i32_e32 v81, 31, v80
	s_delay_alu instid0(VALU_DEP_1)
	v_lshl_add_u64 v[86:87], v[80:81], 2, v[4:5]
	s_clause 0x1
	global_load_b32 v81, v[86:87], off
	global_load_b32 v85, v[4:5], off offset:88
	s_wait_loadcnt 0x1
	global_store_b32 v[4:5], v81, off offset:88
	s_wait_loadcnt 0x0
	global_store_b32 v[86:87], v85, off
.LBB70_476:
	s_wait_xcnt 0x0
	s_or_b32 exec_lo, exec_lo, s12
	v_dual_mov_b32 v86, v80 :: v_dual_mov_b32 v85, v80
.LBB70_477:
	s_or_b32 exec_lo, exec_lo, s1
.LBB70_478:
	s_and_not1_saveexec_b32 s0, s0
	s_cbranch_execz .LBB70_480
; %bb.479:
	v_mov_b32_e32 v86, 22
	ds_store_2addr_b64 v82, v[14:15], v[38:39] offset0:23 offset1:24
	ds_store_2addr_b64 v82, v[32:33], v[36:37] offset0:25 offset1:26
	;; [unrolled: 1-line block ×6, first 2 shown]
	ds_store_b64 v82, v[76:77] offset:280
.LBB70_480:
	s_or_b32 exec_lo, exec_lo, s0
	s_delay_alu instid0(SALU_CYCLE_1)
	s_mov_b32 s0, exec_lo
	s_wait_storecnt_dscnt 0x0
	s_barrier_signal -1
	s_barrier_wait -1
	v_cmpx_lt_i32_e32 22, v86
	s_cbranch_execz .LBB70_482
; %bb.481:
	v_pk_mul_f32 v[80:81], v[78:79], v[52:53] op_sel:[1,1] op_sel_hi:[0,1]
	s_delay_alu instid0(VALU_DEP_1)
	v_pk_fma_f32 v[88:89], v[78:79], v[52:53], v[80:81] op_sel_hi:[1,0,1] neg_lo:[0,0,1] neg_hi:[0,0,1]
	v_pk_fma_f32 v[90:91], v[78:79], v[52:53], v[80:81] op_sel_hi:[1,0,1]
	ds_load_2addr_b64 v[78:81], v82 offset0:23 offset1:24
	v_dual_mov_b32 v52, v88 :: v_dual_mov_b32 v53, v91
	s_wait_dscnt 0x0
	v_pk_mul_f32 v[92:93], v[78:79], v[90:91] op_sel:[0,1]
	s_delay_alu instid0(VALU_DEP_1) | instskip(SKIP_1) | instid1(VALU_DEP_1)
	v_pk_fma_f32 v[94:95], v[78:79], v[88:89], v[92:93] op_sel:[0,0,1] op_sel_hi:[1,1,0] neg_lo:[0,0,1] neg_hi:[0,0,1]
	v_pk_fma_f32 v[78:79], v[78:79], v[88:89], v[92:93] op_sel:[0,0,1] op_sel_hi:[1,0,0]
	v_mov_b32_e32 v95, v79
	v_pk_mul_f32 v[78:79], v[80:81], v[90:91] op_sel:[0,1]
	s_delay_alu instid0(VALU_DEP_1) | instskip(SKIP_1) | instid1(VALU_DEP_1)
	v_pk_fma_f32 v[92:93], v[80:81], v[88:89], v[78:79] op_sel:[0,0,1] op_sel_hi:[1,1,0] neg_lo:[0,0,1] neg_hi:[0,0,1]
	v_pk_fma_f32 v[78:79], v[80:81], v[88:89], v[78:79] op_sel:[0,0,1] op_sel_hi:[1,0,0]
	v_mov_b32_e32 v93, v79
	ds_load_2addr_b64 v[78:81], v82 offset0:25 offset1:26
	v_pk_add_f32 v[14:15], v[14:15], v[94:95] neg_lo:[0,1] neg_hi:[0,1]
	v_pk_add_f32 v[38:39], v[38:39], v[92:93] neg_lo:[0,1] neg_hi:[0,1]
	s_wait_dscnt 0x0
	v_pk_mul_f32 v[92:93], v[78:79], v[90:91] op_sel:[0,1]
	s_delay_alu instid0(VALU_DEP_1) | instskip(SKIP_2) | instid1(VALU_DEP_2)
	v_pk_fma_f32 v[94:95], v[78:79], v[88:89], v[92:93] op_sel:[0,0,1] op_sel_hi:[1,1,0] neg_lo:[0,0,1] neg_hi:[0,0,1]
	v_pk_fma_f32 v[78:79], v[78:79], v[88:89], v[92:93] op_sel:[0,0,1] op_sel_hi:[1,0,0]
	v_dual_mul_f32 v92, v81, v91 :: v_dual_mov_b32 v78, v81
	v_dual_mov_b32 v95, v79 :: v_dual_mov_b32 v79, v80
	s_delay_alu instid0(VALU_DEP_2) | instskip(SKIP_1) | instid1(VALU_DEP_3)
	v_pk_fma_f32 v[92:93], v[80:81], v[52:53], v[92:93] op_sel_hi:[1,1,0] neg_lo:[0,0,1] neg_hi:[0,0,1]
	v_mul_f32_e32 v80, v81, v88
	v_pk_add_f32 v[32:33], v[32:33], v[94:95] neg_lo:[0,1] neg_hi:[0,1]
	s_delay_alu instid0(VALU_DEP_2) | instskip(NEXT) | instid1(VALU_DEP_1)
	v_pk_fma_f32 v[78:79], v[78:79], v[52:53], v[80:81] op_sel_hi:[1,1,0]
	v_mov_b32_e32 v93, v79
	ds_load_2addr_b64 v[78:81], v82 offset0:27 offset1:28
	v_pk_add_f32 v[36:37], v[36:37], v[92:93] neg_lo:[0,1] neg_hi:[0,1]
	s_wait_dscnt 0x0
	v_pk_mul_f32 v[92:93], v[78:79], v[90:91] op_sel:[0,1]
	s_delay_alu instid0(VALU_DEP_1) | instskip(SKIP_1) | instid1(VALU_DEP_1)
	v_pk_fma_f32 v[94:95], v[78:79], v[88:89], v[92:93] op_sel:[0,0,1] op_sel_hi:[1,1,0] neg_lo:[0,0,1] neg_hi:[0,0,1]
	v_pk_fma_f32 v[78:79], v[78:79], v[88:89], v[92:93] op_sel:[0,0,1] op_sel_hi:[1,0,0]
	v_mov_b32_e32 v95, v79
	v_pk_mul_f32 v[78:79], v[80:81], v[90:91] op_sel:[0,1]
	s_delay_alu instid0(VALU_DEP_1) | instskip(SKIP_1) | instid1(VALU_DEP_1)
	v_pk_fma_f32 v[92:93], v[80:81], v[88:89], v[78:79] op_sel:[0,0,1] op_sel_hi:[1,1,0] neg_lo:[0,0,1] neg_hi:[0,0,1]
	v_pk_fma_f32 v[78:79], v[80:81], v[88:89], v[78:79] op_sel:[0,0,1] op_sel_hi:[1,0,0]
	v_mov_b32_e32 v93, v79
	ds_load_2addr_b64 v[78:81], v82 offset0:29 offset1:30
	v_pk_add_f32 v[6:7], v[6:7], v[94:95] neg_lo:[0,1] neg_hi:[0,1]
	v_pk_add_f32 v[30:31], v[30:31], v[92:93] neg_lo:[0,1] neg_hi:[0,1]
	s_wait_dscnt 0x0
	v_pk_mul_f32 v[92:93], v[78:79], v[90:91] op_sel:[0,1]
	s_delay_alu instid0(VALU_DEP_1) | instskip(SKIP_1) | instid1(VALU_DEP_1)
	v_pk_fma_f32 v[94:95], v[78:79], v[88:89], v[92:93] op_sel:[0,0,1] op_sel_hi:[1,1,0] neg_lo:[0,0,1] neg_hi:[0,0,1]
	v_pk_fma_f32 v[78:79], v[78:79], v[88:89], v[92:93] op_sel:[0,0,1] op_sel_hi:[1,0,0]
	v_mov_b32_e32 v95, v79
	v_pk_mul_f32 v[78:79], v[80:81], v[90:91] op_sel:[0,1]
	s_delay_alu instid0(VALU_DEP_1) | instskip(SKIP_1) | instid1(VALU_DEP_1)
	v_pk_fma_f32 v[92:93], v[80:81], v[88:89], v[78:79] op_sel:[0,0,1] op_sel_hi:[1,1,0] neg_lo:[0,0,1] neg_hi:[0,0,1]
	v_pk_fma_f32 v[78:79], v[80:81], v[88:89], v[78:79] op_sel:[0,0,1] op_sel_hi:[1,0,0]
	v_mov_b32_e32 v93, v79
	ds_load_2addr_b64 v[78:81], v82 offset0:31 offset1:32
	v_pk_add_f32 v[26:27], v[26:27], v[94:95] neg_lo:[0,1] neg_hi:[0,1]
	v_pk_add_f32 v[28:29], v[28:29], v[92:93] neg_lo:[0,1] neg_hi:[0,1]
	s_wait_dscnt 0x0
	v_dual_mul_f32 v92, v79, v91 :: v_dual_mul_f32 v94, v79, v88
	s_delay_alu instid0(VALU_DEP_1) | instskip(NEXT) | instid1(VALU_DEP_2)
	v_pk_fma_f32 v[92:93], v[78:79], v[52:53], v[92:93] op_sel_hi:[1,1,0] neg_lo:[0,0,1] neg_hi:[0,0,1]
	v_pk_fma_f32 v[78:79], v[78:79], v[52:53], v[94:95] op_sel:[1,0,0] op_sel_hi:[0,1,0]
	s_delay_alu instid0(VALU_DEP_1) | instskip(SKIP_1) | instid1(VALU_DEP_2)
	v_mov_b32_e32 v93, v79
	v_pk_mul_f32 v[78:79], v[80:81], v[90:91] op_sel:[0,1]
	v_pk_add_f32 v[10:11], v[10:11], v[92:93] neg_lo:[0,1] neg_hi:[0,1]
	s_delay_alu instid0(VALU_DEP_2) | instskip(SKIP_1) | instid1(VALU_DEP_1)
	v_pk_fma_f32 v[92:93], v[80:81], v[88:89], v[78:79] op_sel:[0,0,1] op_sel_hi:[1,1,0] neg_lo:[0,0,1] neg_hi:[0,0,1]
	v_pk_fma_f32 v[78:79], v[80:81], v[88:89], v[78:79] op_sel:[0,0,1] op_sel_hi:[1,0,0]
	v_mov_b32_e32 v93, v79
	ds_load_2addr_b64 v[78:81], v82 offset0:33 offset1:34
	v_pk_add_f32 v[24:25], v[24:25], v[92:93] neg_lo:[0,1] neg_hi:[0,1]
	s_wait_dscnt 0x0
	v_pk_mul_f32 v[92:93], v[78:79], v[90:91] op_sel:[0,1]
	s_delay_alu instid0(VALU_DEP_1) | instskip(SKIP_1) | instid1(VALU_DEP_1)
	v_pk_fma_f32 v[94:95], v[78:79], v[88:89], v[92:93] op_sel:[0,0,1] op_sel_hi:[1,1,0] neg_lo:[0,0,1] neg_hi:[0,0,1]
	v_pk_fma_f32 v[78:79], v[78:79], v[88:89], v[92:93] op_sel:[0,0,1] op_sel_hi:[1,0,0]
	v_mov_b32_e32 v95, v79
	v_pk_mul_f32 v[78:79], v[80:81], v[90:91] op_sel:[0,1]
	s_delay_alu instid0(VALU_DEP_2) | instskip(NEXT) | instid1(VALU_DEP_2)
	v_pk_add_f32 v[20:21], v[20:21], v[94:95] neg_lo:[0,1] neg_hi:[0,1]
	v_pk_fma_f32 v[92:93], v[80:81], v[88:89], v[78:79] op_sel:[0,0,1] op_sel_hi:[1,1,0] neg_lo:[0,0,1] neg_hi:[0,0,1]
	v_pk_fma_f32 v[78:79], v[80:81], v[88:89], v[78:79] op_sel:[0,0,1] op_sel_hi:[1,0,0]
	s_delay_alu instid0(VALU_DEP_1) | instskip(SKIP_4) | instid1(VALU_DEP_1)
	v_mov_b32_e32 v93, v79
	ds_load_b64 v[78:79], v82 offset:280
	v_pk_add_f32 v[18:19], v[18:19], v[92:93] neg_lo:[0,1] neg_hi:[0,1]
	s_wait_dscnt 0x0
	v_pk_mul_f32 v[80:81], v[78:79], v[90:91] op_sel:[0,1]
	v_pk_fma_f32 v[90:91], v[78:79], v[88:89], v[80:81] op_sel:[0,0,1] op_sel_hi:[1,1,0] neg_lo:[0,0,1] neg_hi:[0,0,1]
	v_pk_fma_f32 v[78:79], v[78:79], v[88:89], v[80:81] op_sel:[0,0,1] op_sel_hi:[1,0,0]
	s_delay_alu instid0(VALU_DEP_1) | instskip(NEXT) | instid1(VALU_DEP_1)
	v_mov_b32_e32 v91, v79
	v_pk_add_f32 v[76:77], v[76:77], v[90:91] neg_lo:[0,1] neg_hi:[0,1]
.LBB70_482:
	s_or_b32 exec_lo, exec_lo, s0
	v_lshl_add_u32 v78, v86, 3, v82
	s_barrier_signal -1
	s_barrier_wait -1
	ds_store_b64 v78, v[14:15]
	s_wait_dscnt 0x0
	s_barrier_signal -1
	s_barrier_wait -1
	ds_load_b64 v[78:79], v82 offset:184
	v_mov_b32_e32 v80, 23
	s_cmp_lt_i32 s18, 25
	s_cbranch_scc1 .LBB70_485
; %bb.483:
	v_add3_u32 v81, v83, 0, 0xc0
	v_mov_b32_e32 v80, 23
	s_mov_b32 s0, 24
.LBB70_484:                             ; =>This Inner Loop Header: Depth=1
	ds_load_b64 v[88:89], v81
	s_wait_dscnt 0x1
	v_cmp_gt_f32_e32 vcc_lo, 0, v78
	v_cndmask_b32_e64 v90, v78, -v78, vcc_lo
	v_cmp_gt_f32_e32 vcc_lo, 0, v79
	v_cndmask_b32_e64 v92, v79, -v79, vcc_lo
	s_wait_dscnt 0x0
	v_cmp_gt_f32_e32 vcc_lo, 0, v88
	v_cndmask_b32_e64 v91, v88, -v88, vcc_lo
	v_cmp_gt_f32_e32 vcc_lo, 0, v89
	v_cndmask_b32_e64 v93, v89, -v89, vcc_lo
	s_delay_alu instid0(VALU_DEP_1) | instskip(NEXT) | instid1(VALU_DEP_1)
	v_pk_add_f32 v[90:91], v[90:91], v[92:93]
	v_cmp_lt_f32_e32 vcc_lo, v90, v91
	v_dual_cndmask_b32 v78, v78, v88 :: v_dual_add_nc_u32 v81, 8, v81
	v_cndmask_b32_e32 v79, v79, v89, vcc_lo
	v_cndmask_b32_e64 v80, v80, s0, vcc_lo
	s_add_co_i32 s0, s0, 1
	s_delay_alu instid0(SALU_CYCLE_1)
	s_cmp_lg_u32 s18, s0
	s_cbranch_scc1 .LBB70_484
.LBB70_485:
	s_wait_dscnt 0x0
	v_cmp_eq_f32_e32 vcc_lo, 0, v78
	v_cmp_eq_f32_e64 s0, 0, v79
	s_and_b32 s0, vcc_lo, s0
	s_delay_alu instid0(SALU_CYCLE_1) | instskip(NEXT) | instid1(SALU_CYCLE_1)
	s_and_saveexec_b32 s1, s0
	s_xor_b32 s0, exec_lo, s1
; %bb.486:
	v_cmp_ne_u32_e32 vcc_lo, 0, v84
	v_cndmask_b32_e32 v84, 24, v84, vcc_lo
; %bb.487:
	s_and_not1_saveexec_b32 s0, s0
	s_cbranch_execz .LBB70_493
; %bb.488:
	v_cmp_ngt_f32_e64 s1, |v78|, |v79|
	s_and_saveexec_b32 s12, s1
	s_delay_alu instid0(SALU_CYCLE_1)
	s_xor_b32 s1, exec_lo, s12
	s_cbranch_execz .LBB70_490
; %bb.489:
	v_div_scale_f32 v81, null, v79, v79, v78
	v_div_scale_f32 v89, vcc_lo, v78, v79, v78
	s_delay_alu instid0(VALU_DEP_2) | instskip(SKIP_1) | instid1(TRANS32_DEP_1)
	v_rcp_f32_e32 v87, v81
	v_nop
	v_fma_f32 v88, -v81, v87, 1.0
	s_delay_alu instid0(VALU_DEP_1) | instskip(NEXT) | instid1(VALU_DEP_1)
	v_fmac_f32_e32 v87, v88, v87
	v_mul_f32_e32 v88, v89, v87
	s_delay_alu instid0(VALU_DEP_1) | instskip(NEXT) | instid1(VALU_DEP_1)
	v_fma_f32 v90, -v81, v88, v89
	v_fmac_f32_e32 v88, v90, v87
	s_delay_alu instid0(VALU_DEP_1) | instskip(NEXT) | instid1(VALU_DEP_1)
	v_fma_f32 v81, -v81, v88, v89
	v_div_fmas_f32 v81, v81, v87, v88
	s_delay_alu instid0(VALU_DEP_1) | instskip(NEXT) | instid1(VALU_DEP_1)
	v_div_fixup_f32 v81, v81, v79, v78
	v_fmac_f32_e32 v79, v78, v81
	s_delay_alu instid0(VALU_DEP_1) | instskip(SKIP_1) | instid1(VALU_DEP_2)
	v_div_scale_f32 v78, null, v79, v79, 1.0
	v_div_scale_f32 v89, vcc_lo, 1.0, v79, 1.0
	v_rcp_f32_e32 v87, v78
	v_nop
	s_delay_alu instid0(TRANS32_DEP_1) | instskip(NEXT) | instid1(VALU_DEP_1)
	v_fma_f32 v88, -v78, v87, 1.0
	v_fmac_f32_e32 v87, v88, v87
	s_delay_alu instid0(VALU_DEP_1) | instskip(NEXT) | instid1(VALU_DEP_1)
	v_mul_f32_e32 v88, v89, v87
	v_fma_f32 v90, -v78, v88, v89
	s_delay_alu instid0(VALU_DEP_1) | instskip(NEXT) | instid1(VALU_DEP_1)
	v_fmac_f32_e32 v88, v90, v87
	v_fma_f32 v78, -v78, v88, v89
	s_delay_alu instid0(VALU_DEP_1) | instskip(NEXT) | instid1(VALU_DEP_1)
	v_div_fmas_f32 v78, v78, v87, v88
	v_div_fixup_f32 v79, v78, v79, 1.0
	s_delay_alu instid0(VALU_DEP_1)
	v_mul_f32_e32 v78, v81, v79
	v_xor_b32_e32 v79, 0x80000000, v79
.LBB70_490:
	s_and_not1_saveexec_b32 s1, s1
	s_cbranch_execz .LBB70_492
; %bb.491:
	s_delay_alu instid0(VALU_DEP_1) | instskip(SKIP_1) | instid1(VALU_DEP_2)
	v_div_scale_f32 v81, null, v78, v78, v79
	v_div_scale_f32 v89, vcc_lo, v79, v78, v79
	v_rcp_f32_e32 v87, v81
	v_nop
	s_delay_alu instid0(TRANS32_DEP_1) | instskip(NEXT) | instid1(VALU_DEP_1)
	v_fma_f32 v88, -v81, v87, 1.0
	v_fmac_f32_e32 v87, v88, v87
	s_delay_alu instid0(VALU_DEP_1) | instskip(NEXT) | instid1(VALU_DEP_1)
	v_mul_f32_e32 v88, v89, v87
	v_fma_f32 v90, -v81, v88, v89
	s_delay_alu instid0(VALU_DEP_1) | instskip(NEXT) | instid1(VALU_DEP_1)
	v_fmac_f32_e32 v88, v90, v87
	v_fma_f32 v81, -v81, v88, v89
	s_delay_alu instid0(VALU_DEP_1) | instskip(NEXT) | instid1(VALU_DEP_1)
	v_div_fmas_f32 v81, v81, v87, v88
	v_div_fixup_f32 v81, v81, v78, v79
	s_delay_alu instid0(VALU_DEP_1) | instskip(NEXT) | instid1(VALU_DEP_1)
	v_fmac_f32_e32 v78, v79, v81
	v_div_scale_f32 v79, null, v78, v78, 1.0
	s_delay_alu instid0(VALU_DEP_1) | instskip(SKIP_1) | instid1(TRANS32_DEP_1)
	v_rcp_f32_e32 v87, v79
	v_nop
	v_fma_f32 v88, -v79, v87, 1.0
	s_delay_alu instid0(VALU_DEP_1) | instskip(SKIP_1) | instid1(VALU_DEP_1)
	v_fmac_f32_e32 v87, v88, v87
	v_div_scale_f32 v88, vcc_lo, 1.0, v78, 1.0
	v_mul_f32_e32 v89, v88, v87
	s_delay_alu instid0(VALU_DEP_1) | instskip(NEXT) | instid1(VALU_DEP_1)
	v_fma_f32 v90, -v79, v89, v88
	v_fmac_f32_e32 v89, v90, v87
	s_delay_alu instid0(VALU_DEP_1) | instskip(NEXT) | instid1(VALU_DEP_1)
	v_fma_f32 v79, -v79, v89, v88
	v_div_fmas_f32 v79, v79, v87, v89
	s_delay_alu instid0(VALU_DEP_1) | instskip(NEXT) | instid1(VALU_DEP_1)
	v_div_fixup_f32 v78, v79, v78, 1.0
	v_mul_f32_e64 v79, v81, -v78
.LBB70_492:
	s_or_b32 exec_lo, exec_lo, s1
.LBB70_493:
	s_delay_alu instid0(SALU_CYCLE_1) | instskip(NEXT) | instid1(SALU_CYCLE_1)
	s_or_b32 exec_lo, exec_lo, s0
	s_mov_b32 s0, exec_lo
	v_cmpx_ne_u32_e64 v86, v80
	s_xor_b32 s0, exec_lo, s0
	s_cbranch_execz .LBB70_499
; %bb.494:
	s_mov_b32 s1, exec_lo
	v_cmpx_eq_u32_e32 23, v86
	s_cbranch_execz .LBB70_498
; %bb.495:
	v_cmp_ne_u32_e32 vcc_lo, 23, v80
	s_xor_b32 s12, s16, -1
	s_delay_alu instid0(SALU_CYCLE_1) | instskip(NEXT) | instid1(SALU_CYCLE_1)
	s_and_b32 s13, s12, vcc_lo
	s_and_saveexec_b32 s12, s13
	s_cbranch_execz .LBB70_497
; %bb.496:
	v_ashrrev_i32_e32 v81, 31, v80
	s_delay_alu instid0(VALU_DEP_1)
	v_lshl_add_u64 v[86:87], v[80:81], 2, v[4:5]
	s_clause 0x1
	global_load_b32 v81, v[86:87], off
	global_load_b32 v85, v[4:5], off offset:92
	s_wait_loadcnt 0x1
	global_store_b32 v[4:5], v81, off offset:92
	s_wait_loadcnt 0x0
	global_store_b32 v[86:87], v85, off
.LBB70_497:
	s_wait_xcnt 0x0
	s_or_b32 exec_lo, exec_lo, s12
	v_dual_mov_b32 v86, v80 :: v_dual_mov_b32 v85, v80
.LBB70_498:
	s_or_b32 exec_lo, exec_lo, s1
.LBB70_499:
	s_and_not1_saveexec_b32 s0, s0
	s_cbranch_execz .LBB70_501
; %bb.500:
	v_dual_mov_b32 v80, v38 :: v_dual_mov_b32 v81, v39
	v_dual_mov_b32 v86, v32 :: v_dual_mov_b32 v87, v33
	;; [unrolled: 1-line block ×4, first 2 shown]
	ds_store_2addr_b64 v82, v[80:81], v[86:87] offset0:24 offset1:25
	ds_store_2addr_b64 v82, v[88:89], v[90:91] offset0:26 offset1:27
	v_dual_mov_b32 v80, v30 :: v_dual_mov_b32 v81, v31
	v_dual_mov_b32 v88, v26 :: v_dual_mov_b32 v89, v27
	;; [unrolled: 1-line block ×7, first 2 shown]
	v_mov_b32_e32 v99, v19
	ds_store_2addr_b64 v82, v[80:81], v[88:89] offset0:28 offset1:29
	ds_store_2addr_b64 v82, v[90:91], v[92:93] offset0:30 offset1:31
	;; [unrolled: 1-line block ×4, first 2 shown]
.LBB70_501:
	s_or_b32 exec_lo, exec_lo, s0
	s_delay_alu instid0(SALU_CYCLE_1)
	s_mov_b32 s0, exec_lo
	s_wait_storecnt_dscnt 0x0
	s_barrier_signal -1
	s_barrier_wait -1
	v_cmpx_lt_i32_e32 23, v86
	s_cbranch_execz .LBB70_503
; %bb.502:
	v_pk_mul_f32 v[80:81], v[78:79], v[14:15] op_sel:[1,1] op_sel_hi:[0,1]
	s_delay_alu instid0(VALU_DEP_1)
	v_pk_fma_f32 v[88:89], v[78:79], v[14:15], v[80:81] op_sel_hi:[1,0,1] neg_lo:[0,0,1] neg_hi:[0,0,1]
	v_pk_fma_f32 v[90:91], v[78:79], v[14:15], v[80:81] op_sel_hi:[1,0,1]
	ds_load_2addr_b64 v[78:81], v82 offset0:24 offset1:25
	v_dual_mov_b32 v14, v88 :: v_dual_mov_b32 v15, v91
	s_wait_dscnt 0x0
	v_pk_mul_f32 v[92:93], v[78:79], v[90:91] op_sel:[0,1]
	s_delay_alu instid0(VALU_DEP_1) | instskip(SKIP_1) | instid1(VALU_DEP_1)
	v_pk_fma_f32 v[94:95], v[78:79], v[88:89], v[92:93] op_sel:[0,0,1] op_sel_hi:[1,1,0] neg_lo:[0,0,1] neg_hi:[0,0,1]
	v_pk_fma_f32 v[78:79], v[78:79], v[88:89], v[92:93] op_sel:[0,0,1] op_sel_hi:[1,0,0]
	v_mov_b32_e32 v95, v79
	v_pk_mul_f32 v[78:79], v[80:81], v[90:91] op_sel:[0,1]
	s_delay_alu instid0(VALU_DEP_1) | instskip(SKIP_1) | instid1(VALU_DEP_1)
	v_pk_fma_f32 v[92:93], v[80:81], v[88:89], v[78:79] op_sel:[0,0,1] op_sel_hi:[1,1,0] neg_lo:[0,0,1] neg_hi:[0,0,1]
	v_pk_fma_f32 v[78:79], v[80:81], v[88:89], v[78:79] op_sel:[0,0,1] op_sel_hi:[1,0,0]
	v_mov_b32_e32 v93, v79
	ds_load_2addr_b64 v[78:81], v82 offset0:26 offset1:27
	v_pk_add_f32 v[38:39], v[38:39], v[94:95] neg_lo:[0,1] neg_hi:[0,1]
	v_pk_add_f32 v[32:33], v[32:33], v[92:93] neg_lo:[0,1] neg_hi:[0,1]
	s_wait_dscnt 0x0
	v_pk_mul_f32 v[92:93], v[78:79], v[90:91] op_sel:[0,1]
	s_delay_alu instid0(VALU_DEP_1) | instskip(SKIP_2) | instid1(VALU_DEP_2)
	v_pk_fma_f32 v[94:95], v[78:79], v[88:89], v[92:93] op_sel:[0,0,1] op_sel_hi:[1,1,0] neg_lo:[0,0,1] neg_hi:[0,0,1]
	v_pk_fma_f32 v[78:79], v[78:79], v[88:89], v[92:93] op_sel:[0,0,1] op_sel_hi:[1,0,0]
	v_dual_mul_f32 v92, v81, v91 :: v_dual_mov_b32 v78, v81
	v_dual_mov_b32 v95, v79 :: v_dual_mov_b32 v79, v80
	s_delay_alu instid0(VALU_DEP_2) | instskip(SKIP_1) | instid1(VALU_DEP_3)
	v_pk_fma_f32 v[92:93], v[80:81], v[14:15], v[92:93] op_sel_hi:[1,1,0] neg_lo:[0,0,1] neg_hi:[0,0,1]
	v_mul_f32_e32 v80, v81, v88
	v_pk_add_f32 v[36:37], v[36:37], v[94:95] neg_lo:[0,1] neg_hi:[0,1]
	s_delay_alu instid0(VALU_DEP_2) | instskip(NEXT) | instid1(VALU_DEP_1)
	v_pk_fma_f32 v[78:79], v[78:79], v[14:15], v[80:81] op_sel_hi:[1,1,0]
	v_mov_b32_e32 v93, v79
	ds_load_2addr_b64 v[78:81], v82 offset0:28 offset1:29
	v_pk_add_f32 v[6:7], v[6:7], v[92:93] neg_lo:[0,1] neg_hi:[0,1]
	s_wait_dscnt 0x0
	v_pk_mul_f32 v[92:93], v[78:79], v[90:91] op_sel:[0,1]
	s_delay_alu instid0(VALU_DEP_1) | instskip(SKIP_1) | instid1(VALU_DEP_1)
	v_pk_fma_f32 v[94:95], v[78:79], v[88:89], v[92:93] op_sel:[0,0,1] op_sel_hi:[1,1,0] neg_lo:[0,0,1] neg_hi:[0,0,1]
	v_pk_fma_f32 v[78:79], v[78:79], v[88:89], v[92:93] op_sel:[0,0,1] op_sel_hi:[1,0,0]
	v_mov_b32_e32 v95, v79
	v_pk_mul_f32 v[78:79], v[80:81], v[90:91] op_sel:[0,1]
	s_delay_alu instid0(VALU_DEP_1) | instskip(SKIP_1) | instid1(VALU_DEP_1)
	v_pk_fma_f32 v[92:93], v[80:81], v[88:89], v[78:79] op_sel:[0,0,1] op_sel_hi:[1,1,0] neg_lo:[0,0,1] neg_hi:[0,0,1]
	v_pk_fma_f32 v[78:79], v[80:81], v[88:89], v[78:79] op_sel:[0,0,1] op_sel_hi:[1,0,0]
	v_mov_b32_e32 v93, v79
	ds_load_2addr_b64 v[78:81], v82 offset0:30 offset1:31
	v_pk_add_f32 v[30:31], v[30:31], v[94:95] neg_lo:[0,1] neg_hi:[0,1]
	v_pk_add_f32 v[26:27], v[26:27], v[92:93] neg_lo:[0,1] neg_hi:[0,1]
	s_wait_dscnt 0x0
	v_pk_mul_f32 v[92:93], v[78:79], v[90:91] op_sel:[0,1]
	s_delay_alu instid0(VALU_DEP_1) | instskip(SKIP_1) | instid1(VALU_DEP_1)
	v_pk_fma_f32 v[94:95], v[78:79], v[88:89], v[92:93] op_sel:[0,0,1] op_sel_hi:[1,1,0] neg_lo:[0,0,1] neg_hi:[0,0,1]
	v_pk_fma_f32 v[78:79], v[78:79], v[88:89], v[92:93] op_sel:[0,0,1] op_sel_hi:[1,0,0]
	v_mov_b32_e32 v95, v79
	v_pk_mul_f32 v[78:79], v[80:81], v[90:91] op_sel:[0,1]
	s_delay_alu instid0(VALU_DEP_1) | instskip(SKIP_1) | instid1(VALU_DEP_1)
	v_pk_fma_f32 v[92:93], v[80:81], v[88:89], v[78:79] op_sel:[0,0,1] op_sel_hi:[1,1,0] neg_lo:[0,0,1] neg_hi:[0,0,1]
	v_pk_fma_f32 v[78:79], v[80:81], v[88:89], v[78:79] op_sel:[0,0,1] op_sel_hi:[1,0,0]
	v_mov_b32_e32 v93, v79
	ds_load_2addr_b64 v[78:81], v82 offset0:32 offset1:33
	v_pk_add_f32 v[28:29], v[28:29], v[94:95] neg_lo:[0,1] neg_hi:[0,1]
	v_pk_add_f32 v[10:11], v[10:11], v[92:93] neg_lo:[0,1] neg_hi:[0,1]
	s_wait_dscnt 0x0
	v_dual_mul_f32 v92, v79, v91 :: v_dual_mul_f32 v94, v79, v88
	s_delay_alu instid0(VALU_DEP_1) | instskip(NEXT) | instid1(VALU_DEP_2)
	v_pk_fma_f32 v[92:93], v[78:79], v[14:15], v[92:93] op_sel_hi:[1,1,0] neg_lo:[0,0,1] neg_hi:[0,0,1]
	v_pk_fma_f32 v[78:79], v[78:79], v[14:15], v[94:95] op_sel:[1,0,0] op_sel_hi:[0,1,0]
	s_delay_alu instid0(VALU_DEP_1) | instskip(SKIP_1) | instid1(VALU_DEP_2)
	v_mov_b32_e32 v93, v79
	v_pk_mul_f32 v[78:79], v[80:81], v[90:91] op_sel:[0,1]
	v_pk_add_f32 v[24:25], v[24:25], v[92:93] neg_lo:[0,1] neg_hi:[0,1]
	s_delay_alu instid0(VALU_DEP_2) | instskip(SKIP_1) | instid1(VALU_DEP_1)
	v_pk_fma_f32 v[92:93], v[80:81], v[88:89], v[78:79] op_sel:[0,0,1] op_sel_hi:[1,1,0] neg_lo:[0,0,1] neg_hi:[0,0,1]
	v_pk_fma_f32 v[78:79], v[80:81], v[88:89], v[78:79] op_sel:[0,0,1] op_sel_hi:[1,0,0]
	v_mov_b32_e32 v93, v79
	ds_load_2addr_b64 v[78:81], v82 offset0:34 offset1:35
	v_pk_add_f32 v[20:21], v[20:21], v[92:93] neg_lo:[0,1] neg_hi:[0,1]
	s_wait_dscnt 0x0
	v_pk_mul_f32 v[92:93], v[78:79], v[90:91] op_sel:[0,1]
	v_mul_f32_e32 v90, v81, v91
	s_delay_alu instid0(VALU_DEP_2) | instskip(SKIP_2) | instid1(VALU_DEP_4)
	v_pk_fma_f32 v[94:95], v[78:79], v[88:89], v[92:93] op_sel:[0,0,1] op_sel_hi:[1,1,0] neg_lo:[0,0,1] neg_hi:[0,0,1]
	v_pk_fma_f32 v[78:79], v[78:79], v[88:89], v[92:93] op_sel:[0,0,1] op_sel_hi:[1,0,0]
	v_mov_b32_e32 v78, v81
	v_pk_fma_f32 v[90:91], v[80:81], v[14:15], v[90:91] op_sel_hi:[1,1,0] neg_lo:[0,0,1] neg_hi:[0,0,1]
	s_delay_alu instid0(VALU_DEP_3) | instskip(SKIP_1) | instid1(VALU_DEP_2)
	v_dual_mov_b32 v95, v79 :: v_dual_mov_b32 v79, v80
	v_mul_f32_e32 v80, v81, v88
	v_pk_add_f32 v[18:19], v[18:19], v[94:95] neg_lo:[0,1] neg_hi:[0,1]
	s_delay_alu instid0(VALU_DEP_2) | instskip(NEXT) | instid1(VALU_DEP_1)
	v_pk_fma_f32 v[78:79], v[78:79], v[14:15], v[80:81] op_sel_hi:[1,1,0]
	v_mov_b32_e32 v91, v79
	s_delay_alu instid0(VALU_DEP_1)
	v_pk_add_f32 v[76:77], v[76:77], v[90:91] neg_lo:[0,1] neg_hi:[0,1]
.LBB70_503:
	s_or_b32 exec_lo, exec_lo, s0
	v_lshl_add_u32 v78, v86, 3, v82
	s_barrier_signal -1
	s_barrier_wait -1
	ds_store_b64 v78, v[38:39]
	s_wait_dscnt 0x0
	s_barrier_signal -1
	s_barrier_wait -1
	ds_load_b64 v[78:79], v82 offset:192
	v_mov_b32_e32 v80, 24
	s_cmp_lt_i32 s18, 26
	s_cbranch_scc1 .LBB70_506
; %bb.504:
	v_add3_u32 v81, v83, 0, 0xc8
	v_mov_b32_e32 v80, 24
	s_mov_b32 s0, 25
.LBB70_505:                             ; =>This Inner Loop Header: Depth=1
	ds_load_b64 v[88:89], v81
	s_wait_dscnt 0x1
	v_cmp_gt_f32_e32 vcc_lo, 0, v78
	v_cndmask_b32_e64 v90, v78, -v78, vcc_lo
	v_cmp_gt_f32_e32 vcc_lo, 0, v79
	v_cndmask_b32_e64 v92, v79, -v79, vcc_lo
	s_wait_dscnt 0x0
	v_cmp_gt_f32_e32 vcc_lo, 0, v88
	v_cndmask_b32_e64 v91, v88, -v88, vcc_lo
	v_cmp_gt_f32_e32 vcc_lo, 0, v89
	v_cndmask_b32_e64 v93, v89, -v89, vcc_lo
	s_delay_alu instid0(VALU_DEP_1) | instskip(NEXT) | instid1(VALU_DEP_1)
	v_pk_add_f32 v[90:91], v[90:91], v[92:93]
	v_cmp_lt_f32_e32 vcc_lo, v90, v91
	v_dual_cndmask_b32 v78, v78, v88 :: v_dual_add_nc_u32 v81, 8, v81
	v_cndmask_b32_e32 v79, v79, v89, vcc_lo
	v_cndmask_b32_e64 v80, v80, s0, vcc_lo
	s_add_co_i32 s0, s0, 1
	s_delay_alu instid0(SALU_CYCLE_1)
	s_cmp_lg_u32 s18, s0
	s_cbranch_scc1 .LBB70_505
.LBB70_506:
	s_wait_dscnt 0x0
	v_cmp_eq_f32_e32 vcc_lo, 0, v78
	v_cmp_eq_f32_e64 s0, 0, v79
	s_and_b32 s0, vcc_lo, s0
	s_delay_alu instid0(SALU_CYCLE_1) | instskip(NEXT) | instid1(SALU_CYCLE_1)
	s_and_saveexec_b32 s1, s0
	s_xor_b32 s0, exec_lo, s1
; %bb.507:
	v_cmp_ne_u32_e32 vcc_lo, 0, v84
	v_cndmask_b32_e32 v84, 25, v84, vcc_lo
; %bb.508:
	s_and_not1_saveexec_b32 s0, s0
	s_cbranch_execz .LBB70_514
; %bb.509:
	v_cmp_ngt_f32_e64 s1, |v78|, |v79|
	s_and_saveexec_b32 s12, s1
	s_delay_alu instid0(SALU_CYCLE_1)
	s_xor_b32 s1, exec_lo, s12
	s_cbranch_execz .LBB70_511
; %bb.510:
	v_div_scale_f32 v81, null, v79, v79, v78
	v_div_scale_f32 v89, vcc_lo, v78, v79, v78
	s_delay_alu instid0(VALU_DEP_2) | instskip(SKIP_1) | instid1(TRANS32_DEP_1)
	v_rcp_f32_e32 v87, v81
	v_nop
	v_fma_f32 v88, -v81, v87, 1.0
	s_delay_alu instid0(VALU_DEP_1) | instskip(NEXT) | instid1(VALU_DEP_1)
	v_fmac_f32_e32 v87, v88, v87
	v_mul_f32_e32 v88, v89, v87
	s_delay_alu instid0(VALU_DEP_1) | instskip(NEXT) | instid1(VALU_DEP_1)
	v_fma_f32 v90, -v81, v88, v89
	v_fmac_f32_e32 v88, v90, v87
	s_delay_alu instid0(VALU_DEP_1) | instskip(NEXT) | instid1(VALU_DEP_1)
	v_fma_f32 v81, -v81, v88, v89
	v_div_fmas_f32 v81, v81, v87, v88
	s_delay_alu instid0(VALU_DEP_1) | instskip(NEXT) | instid1(VALU_DEP_1)
	v_div_fixup_f32 v81, v81, v79, v78
	v_fmac_f32_e32 v79, v78, v81
	s_delay_alu instid0(VALU_DEP_1) | instskip(SKIP_1) | instid1(VALU_DEP_2)
	v_div_scale_f32 v78, null, v79, v79, 1.0
	v_div_scale_f32 v89, vcc_lo, 1.0, v79, 1.0
	v_rcp_f32_e32 v87, v78
	v_nop
	s_delay_alu instid0(TRANS32_DEP_1) | instskip(NEXT) | instid1(VALU_DEP_1)
	v_fma_f32 v88, -v78, v87, 1.0
	v_fmac_f32_e32 v87, v88, v87
	s_delay_alu instid0(VALU_DEP_1) | instskip(NEXT) | instid1(VALU_DEP_1)
	v_mul_f32_e32 v88, v89, v87
	v_fma_f32 v90, -v78, v88, v89
	s_delay_alu instid0(VALU_DEP_1) | instskip(NEXT) | instid1(VALU_DEP_1)
	v_fmac_f32_e32 v88, v90, v87
	v_fma_f32 v78, -v78, v88, v89
	s_delay_alu instid0(VALU_DEP_1) | instskip(NEXT) | instid1(VALU_DEP_1)
	v_div_fmas_f32 v78, v78, v87, v88
	v_div_fixup_f32 v79, v78, v79, 1.0
	s_delay_alu instid0(VALU_DEP_1)
	v_mul_f32_e32 v78, v81, v79
	v_xor_b32_e32 v79, 0x80000000, v79
.LBB70_511:
	s_and_not1_saveexec_b32 s1, s1
	s_cbranch_execz .LBB70_513
; %bb.512:
	s_delay_alu instid0(VALU_DEP_1) | instskip(SKIP_1) | instid1(VALU_DEP_2)
	v_div_scale_f32 v81, null, v78, v78, v79
	v_div_scale_f32 v89, vcc_lo, v79, v78, v79
	v_rcp_f32_e32 v87, v81
	v_nop
	s_delay_alu instid0(TRANS32_DEP_1) | instskip(NEXT) | instid1(VALU_DEP_1)
	v_fma_f32 v88, -v81, v87, 1.0
	v_fmac_f32_e32 v87, v88, v87
	s_delay_alu instid0(VALU_DEP_1) | instskip(NEXT) | instid1(VALU_DEP_1)
	v_mul_f32_e32 v88, v89, v87
	v_fma_f32 v90, -v81, v88, v89
	s_delay_alu instid0(VALU_DEP_1) | instskip(NEXT) | instid1(VALU_DEP_1)
	v_fmac_f32_e32 v88, v90, v87
	v_fma_f32 v81, -v81, v88, v89
	s_delay_alu instid0(VALU_DEP_1) | instskip(NEXT) | instid1(VALU_DEP_1)
	v_div_fmas_f32 v81, v81, v87, v88
	v_div_fixup_f32 v81, v81, v78, v79
	s_delay_alu instid0(VALU_DEP_1) | instskip(NEXT) | instid1(VALU_DEP_1)
	v_fmac_f32_e32 v78, v79, v81
	v_div_scale_f32 v79, null, v78, v78, 1.0
	s_delay_alu instid0(VALU_DEP_1) | instskip(SKIP_1) | instid1(TRANS32_DEP_1)
	v_rcp_f32_e32 v87, v79
	v_nop
	v_fma_f32 v88, -v79, v87, 1.0
	s_delay_alu instid0(VALU_DEP_1) | instskip(SKIP_1) | instid1(VALU_DEP_1)
	v_fmac_f32_e32 v87, v88, v87
	v_div_scale_f32 v88, vcc_lo, 1.0, v78, 1.0
	v_mul_f32_e32 v89, v88, v87
	s_delay_alu instid0(VALU_DEP_1) | instskip(NEXT) | instid1(VALU_DEP_1)
	v_fma_f32 v90, -v79, v89, v88
	v_fmac_f32_e32 v89, v90, v87
	s_delay_alu instid0(VALU_DEP_1) | instskip(NEXT) | instid1(VALU_DEP_1)
	v_fma_f32 v79, -v79, v89, v88
	v_div_fmas_f32 v79, v79, v87, v89
	s_delay_alu instid0(VALU_DEP_1) | instskip(NEXT) | instid1(VALU_DEP_1)
	v_div_fixup_f32 v78, v79, v78, 1.0
	v_mul_f32_e64 v79, v81, -v78
.LBB70_513:
	s_or_b32 exec_lo, exec_lo, s1
.LBB70_514:
	s_delay_alu instid0(SALU_CYCLE_1) | instskip(NEXT) | instid1(SALU_CYCLE_1)
	s_or_b32 exec_lo, exec_lo, s0
	s_mov_b32 s0, exec_lo
	v_cmpx_ne_u32_e64 v86, v80
	s_xor_b32 s0, exec_lo, s0
	s_cbranch_execz .LBB70_520
; %bb.515:
	s_mov_b32 s1, exec_lo
	v_cmpx_eq_u32_e32 24, v86
	s_cbranch_execz .LBB70_519
; %bb.516:
	v_cmp_ne_u32_e32 vcc_lo, 24, v80
	s_xor_b32 s12, s16, -1
	s_delay_alu instid0(SALU_CYCLE_1) | instskip(NEXT) | instid1(SALU_CYCLE_1)
	s_and_b32 s13, s12, vcc_lo
	s_and_saveexec_b32 s12, s13
	s_cbranch_execz .LBB70_518
; %bb.517:
	v_ashrrev_i32_e32 v81, 31, v80
	s_delay_alu instid0(VALU_DEP_1)
	v_lshl_add_u64 v[86:87], v[80:81], 2, v[4:5]
	s_clause 0x1
	global_load_b32 v81, v[86:87], off
	global_load_b32 v85, v[4:5], off offset:96
	s_wait_loadcnt 0x1
	global_store_b32 v[4:5], v81, off offset:96
	s_wait_loadcnt 0x0
	global_store_b32 v[86:87], v85, off
.LBB70_518:
	s_wait_xcnt 0x0
	s_or_b32 exec_lo, exec_lo, s12
	v_dual_mov_b32 v86, v80 :: v_dual_mov_b32 v85, v80
.LBB70_519:
	s_or_b32 exec_lo, exec_lo, s1
.LBB70_520:
	s_and_not1_saveexec_b32 s0, s0
	s_cbranch_execz .LBB70_522
; %bb.521:
	v_mov_b32_e32 v86, 24
	ds_store_2addr_b64 v82, v[32:33], v[36:37] offset0:25 offset1:26
	ds_store_2addr_b64 v82, v[6:7], v[30:31] offset0:27 offset1:28
	;; [unrolled: 1-line block ×5, first 2 shown]
	ds_store_b64 v82, v[76:77] offset:280
.LBB70_522:
	s_or_b32 exec_lo, exec_lo, s0
	s_delay_alu instid0(SALU_CYCLE_1)
	s_mov_b32 s0, exec_lo
	s_wait_storecnt_dscnt 0x0
	s_barrier_signal -1
	s_barrier_wait -1
	v_cmpx_lt_i32_e32 24, v86
	s_cbranch_execz .LBB70_524
; %bb.523:
	v_pk_mul_f32 v[80:81], v[78:79], v[38:39] op_sel:[1,1] op_sel_hi:[0,1]
	s_delay_alu instid0(VALU_DEP_1)
	v_pk_fma_f32 v[88:89], v[78:79], v[38:39], v[80:81] op_sel_hi:[1,0,1] neg_lo:[0,0,1] neg_hi:[0,0,1]
	v_pk_fma_f32 v[90:91], v[78:79], v[38:39], v[80:81] op_sel_hi:[1,0,1]
	ds_load_2addr_b64 v[78:81], v82 offset0:25 offset1:26
	v_dual_mov_b32 v38, v88 :: v_dual_mov_b32 v39, v91
	s_wait_dscnt 0x0
	v_pk_mul_f32 v[92:93], v[78:79], v[90:91] op_sel:[0,1]
	s_delay_alu instid0(VALU_DEP_1) | instskip(SKIP_1) | instid1(VALU_DEP_1)
	v_pk_fma_f32 v[94:95], v[78:79], v[88:89], v[92:93] op_sel:[0,0,1] op_sel_hi:[1,1,0] neg_lo:[0,0,1] neg_hi:[0,0,1]
	v_pk_fma_f32 v[78:79], v[78:79], v[88:89], v[92:93] op_sel:[0,0,1] op_sel_hi:[1,0,0]
	v_mov_b32_e32 v95, v79
	v_pk_mul_f32 v[78:79], v[80:81], v[90:91] op_sel:[0,1]
	s_delay_alu instid0(VALU_DEP_1) | instskip(SKIP_1) | instid1(VALU_DEP_1)
	v_pk_fma_f32 v[92:93], v[80:81], v[88:89], v[78:79] op_sel:[0,0,1] op_sel_hi:[1,1,0] neg_lo:[0,0,1] neg_hi:[0,0,1]
	v_pk_fma_f32 v[78:79], v[80:81], v[88:89], v[78:79] op_sel:[0,0,1] op_sel_hi:[1,0,0]
	v_mov_b32_e32 v93, v79
	ds_load_2addr_b64 v[78:81], v82 offset0:27 offset1:28
	v_pk_add_f32 v[32:33], v[32:33], v[94:95] neg_lo:[0,1] neg_hi:[0,1]
	v_pk_add_f32 v[36:37], v[36:37], v[92:93] neg_lo:[0,1] neg_hi:[0,1]
	s_wait_dscnt 0x0
	v_pk_mul_f32 v[92:93], v[78:79], v[90:91] op_sel:[0,1]
	s_delay_alu instid0(VALU_DEP_1) | instskip(SKIP_2) | instid1(VALU_DEP_2)
	v_pk_fma_f32 v[94:95], v[78:79], v[88:89], v[92:93] op_sel:[0,0,1] op_sel_hi:[1,1,0] neg_lo:[0,0,1] neg_hi:[0,0,1]
	v_pk_fma_f32 v[78:79], v[78:79], v[88:89], v[92:93] op_sel:[0,0,1] op_sel_hi:[1,0,0]
	v_dual_mul_f32 v92, v81, v91 :: v_dual_mov_b32 v78, v81
	v_dual_mov_b32 v95, v79 :: v_dual_mov_b32 v79, v80
	s_delay_alu instid0(VALU_DEP_2) | instskip(SKIP_1) | instid1(VALU_DEP_3)
	v_pk_fma_f32 v[92:93], v[80:81], v[38:39], v[92:93] op_sel_hi:[1,1,0] neg_lo:[0,0,1] neg_hi:[0,0,1]
	v_mul_f32_e32 v80, v81, v88
	v_pk_add_f32 v[6:7], v[6:7], v[94:95] neg_lo:[0,1] neg_hi:[0,1]
	s_delay_alu instid0(VALU_DEP_2) | instskip(NEXT) | instid1(VALU_DEP_1)
	v_pk_fma_f32 v[78:79], v[78:79], v[38:39], v[80:81] op_sel_hi:[1,1,0]
	v_mov_b32_e32 v93, v79
	ds_load_2addr_b64 v[78:81], v82 offset0:29 offset1:30
	v_pk_add_f32 v[30:31], v[30:31], v[92:93] neg_lo:[0,1] neg_hi:[0,1]
	s_wait_dscnt 0x0
	v_pk_mul_f32 v[92:93], v[78:79], v[90:91] op_sel:[0,1]
	s_delay_alu instid0(VALU_DEP_1) | instskip(SKIP_1) | instid1(VALU_DEP_1)
	v_pk_fma_f32 v[94:95], v[78:79], v[88:89], v[92:93] op_sel:[0,0,1] op_sel_hi:[1,1,0] neg_lo:[0,0,1] neg_hi:[0,0,1]
	v_pk_fma_f32 v[78:79], v[78:79], v[88:89], v[92:93] op_sel:[0,0,1] op_sel_hi:[1,0,0]
	v_mov_b32_e32 v95, v79
	v_pk_mul_f32 v[78:79], v[80:81], v[90:91] op_sel:[0,1]
	s_delay_alu instid0(VALU_DEP_1) | instskip(SKIP_1) | instid1(VALU_DEP_1)
	v_pk_fma_f32 v[92:93], v[80:81], v[88:89], v[78:79] op_sel:[0,0,1] op_sel_hi:[1,1,0] neg_lo:[0,0,1] neg_hi:[0,0,1]
	v_pk_fma_f32 v[78:79], v[80:81], v[88:89], v[78:79] op_sel:[0,0,1] op_sel_hi:[1,0,0]
	v_mov_b32_e32 v93, v79
	ds_load_2addr_b64 v[78:81], v82 offset0:31 offset1:32
	v_pk_add_f32 v[26:27], v[26:27], v[94:95] neg_lo:[0,1] neg_hi:[0,1]
	v_pk_add_f32 v[28:29], v[28:29], v[92:93] neg_lo:[0,1] neg_hi:[0,1]
	s_wait_dscnt 0x0
	v_pk_mul_f32 v[92:93], v[78:79], v[90:91] op_sel:[0,1]
	s_delay_alu instid0(VALU_DEP_1) | instskip(SKIP_1) | instid1(VALU_DEP_1)
	v_pk_fma_f32 v[94:95], v[78:79], v[88:89], v[92:93] op_sel:[0,0,1] op_sel_hi:[1,1,0] neg_lo:[0,0,1] neg_hi:[0,0,1]
	v_pk_fma_f32 v[78:79], v[78:79], v[88:89], v[92:93] op_sel:[0,0,1] op_sel_hi:[1,0,0]
	v_mov_b32_e32 v95, v79
	v_pk_mul_f32 v[78:79], v[80:81], v[90:91] op_sel:[0,1]
	s_delay_alu instid0(VALU_DEP_1) | instskip(SKIP_1) | instid1(VALU_DEP_1)
	v_pk_fma_f32 v[92:93], v[80:81], v[88:89], v[78:79] op_sel:[0,0,1] op_sel_hi:[1,1,0] neg_lo:[0,0,1] neg_hi:[0,0,1]
	v_pk_fma_f32 v[78:79], v[80:81], v[88:89], v[78:79] op_sel:[0,0,1] op_sel_hi:[1,0,0]
	v_mov_b32_e32 v93, v79
	ds_load_2addr_b64 v[78:81], v82 offset0:33 offset1:34
	v_pk_add_f32 v[10:11], v[10:11], v[94:95] neg_lo:[0,1] neg_hi:[0,1]
	v_pk_add_f32 v[24:25], v[24:25], v[92:93] neg_lo:[0,1] neg_hi:[0,1]
	s_wait_dscnt 0x0
	v_dual_mul_f32 v92, v79, v91 :: v_dual_mul_f32 v94, v79, v88
	s_delay_alu instid0(VALU_DEP_1) | instskip(NEXT) | instid1(VALU_DEP_2)
	v_pk_fma_f32 v[92:93], v[78:79], v[38:39], v[92:93] op_sel_hi:[1,1,0] neg_lo:[0,0,1] neg_hi:[0,0,1]
	v_pk_fma_f32 v[78:79], v[78:79], v[38:39], v[94:95] op_sel:[1,0,0] op_sel_hi:[0,1,0]
	s_delay_alu instid0(VALU_DEP_1) | instskip(SKIP_1) | instid1(VALU_DEP_2)
	v_mov_b32_e32 v93, v79
	v_pk_mul_f32 v[78:79], v[80:81], v[90:91] op_sel:[0,1]
	v_pk_add_f32 v[20:21], v[20:21], v[92:93] neg_lo:[0,1] neg_hi:[0,1]
	s_delay_alu instid0(VALU_DEP_2) | instskip(SKIP_1) | instid1(VALU_DEP_1)
	v_pk_fma_f32 v[92:93], v[80:81], v[88:89], v[78:79] op_sel:[0,0,1] op_sel_hi:[1,1,0] neg_lo:[0,0,1] neg_hi:[0,0,1]
	v_pk_fma_f32 v[78:79], v[80:81], v[88:89], v[78:79] op_sel:[0,0,1] op_sel_hi:[1,0,0]
	v_mov_b32_e32 v93, v79
	ds_load_b64 v[78:79], v82 offset:280
	v_pk_add_f32 v[18:19], v[18:19], v[92:93] neg_lo:[0,1] neg_hi:[0,1]
	s_wait_dscnt 0x0
	v_pk_mul_f32 v[80:81], v[78:79], v[90:91] op_sel:[0,1]
	s_delay_alu instid0(VALU_DEP_1) | instskip(SKIP_1) | instid1(VALU_DEP_1)
	v_pk_fma_f32 v[90:91], v[78:79], v[88:89], v[80:81] op_sel:[0,0,1] op_sel_hi:[1,1,0] neg_lo:[0,0,1] neg_hi:[0,0,1]
	v_pk_fma_f32 v[78:79], v[78:79], v[88:89], v[80:81] op_sel:[0,0,1] op_sel_hi:[1,0,0]
	v_mov_b32_e32 v91, v79
	s_delay_alu instid0(VALU_DEP_1)
	v_pk_add_f32 v[76:77], v[76:77], v[90:91] neg_lo:[0,1] neg_hi:[0,1]
.LBB70_524:
	s_or_b32 exec_lo, exec_lo, s0
	v_lshl_add_u32 v78, v86, 3, v82
	s_barrier_signal -1
	s_barrier_wait -1
	ds_store_b64 v78, v[32:33]
	s_wait_dscnt 0x0
	s_barrier_signal -1
	s_barrier_wait -1
	ds_load_b64 v[78:79], v82 offset:200
	v_mov_b32_e32 v80, 25
	s_cmp_lt_i32 s18, 27
	s_cbranch_scc1 .LBB70_527
; %bb.525:
	v_add3_u32 v81, v83, 0, 0xd0
	v_mov_b32_e32 v80, 25
	s_mov_b32 s0, 26
.LBB70_526:                             ; =>This Inner Loop Header: Depth=1
	ds_load_b64 v[88:89], v81
	s_wait_dscnt 0x1
	v_cmp_gt_f32_e32 vcc_lo, 0, v78
	v_cndmask_b32_e64 v90, v78, -v78, vcc_lo
	v_cmp_gt_f32_e32 vcc_lo, 0, v79
	v_cndmask_b32_e64 v92, v79, -v79, vcc_lo
	s_wait_dscnt 0x0
	v_cmp_gt_f32_e32 vcc_lo, 0, v88
	v_cndmask_b32_e64 v91, v88, -v88, vcc_lo
	v_cmp_gt_f32_e32 vcc_lo, 0, v89
	v_cndmask_b32_e64 v93, v89, -v89, vcc_lo
	s_delay_alu instid0(VALU_DEP_1) | instskip(NEXT) | instid1(VALU_DEP_1)
	v_pk_add_f32 v[90:91], v[90:91], v[92:93]
	v_cmp_lt_f32_e32 vcc_lo, v90, v91
	v_dual_cndmask_b32 v78, v78, v88 :: v_dual_add_nc_u32 v81, 8, v81
	v_cndmask_b32_e32 v79, v79, v89, vcc_lo
	v_cndmask_b32_e64 v80, v80, s0, vcc_lo
	s_add_co_i32 s0, s0, 1
	s_delay_alu instid0(SALU_CYCLE_1)
	s_cmp_lg_u32 s18, s0
	s_cbranch_scc1 .LBB70_526
.LBB70_527:
	s_wait_dscnt 0x0
	v_cmp_eq_f32_e32 vcc_lo, 0, v78
	v_cmp_eq_f32_e64 s0, 0, v79
	s_and_b32 s0, vcc_lo, s0
	s_delay_alu instid0(SALU_CYCLE_1) | instskip(NEXT) | instid1(SALU_CYCLE_1)
	s_and_saveexec_b32 s1, s0
	s_xor_b32 s0, exec_lo, s1
; %bb.528:
	v_cmp_ne_u32_e32 vcc_lo, 0, v84
	v_cndmask_b32_e32 v84, 26, v84, vcc_lo
; %bb.529:
	s_and_not1_saveexec_b32 s0, s0
	s_cbranch_execz .LBB70_535
; %bb.530:
	v_cmp_ngt_f32_e64 s1, |v78|, |v79|
	s_and_saveexec_b32 s12, s1
	s_delay_alu instid0(SALU_CYCLE_1)
	s_xor_b32 s1, exec_lo, s12
	s_cbranch_execz .LBB70_532
; %bb.531:
	v_div_scale_f32 v81, null, v79, v79, v78
	v_div_scale_f32 v89, vcc_lo, v78, v79, v78
	s_delay_alu instid0(VALU_DEP_2) | instskip(SKIP_1) | instid1(TRANS32_DEP_1)
	v_rcp_f32_e32 v87, v81
	v_nop
	v_fma_f32 v88, -v81, v87, 1.0
	s_delay_alu instid0(VALU_DEP_1) | instskip(NEXT) | instid1(VALU_DEP_1)
	v_fmac_f32_e32 v87, v88, v87
	v_mul_f32_e32 v88, v89, v87
	s_delay_alu instid0(VALU_DEP_1) | instskip(NEXT) | instid1(VALU_DEP_1)
	v_fma_f32 v90, -v81, v88, v89
	v_fmac_f32_e32 v88, v90, v87
	s_delay_alu instid0(VALU_DEP_1) | instskip(NEXT) | instid1(VALU_DEP_1)
	v_fma_f32 v81, -v81, v88, v89
	v_div_fmas_f32 v81, v81, v87, v88
	s_delay_alu instid0(VALU_DEP_1) | instskip(NEXT) | instid1(VALU_DEP_1)
	v_div_fixup_f32 v81, v81, v79, v78
	v_fmac_f32_e32 v79, v78, v81
	s_delay_alu instid0(VALU_DEP_1) | instskip(SKIP_1) | instid1(VALU_DEP_2)
	v_div_scale_f32 v78, null, v79, v79, 1.0
	v_div_scale_f32 v89, vcc_lo, 1.0, v79, 1.0
	v_rcp_f32_e32 v87, v78
	v_nop
	s_delay_alu instid0(TRANS32_DEP_1) | instskip(NEXT) | instid1(VALU_DEP_1)
	v_fma_f32 v88, -v78, v87, 1.0
	v_fmac_f32_e32 v87, v88, v87
	s_delay_alu instid0(VALU_DEP_1) | instskip(NEXT) | instid1(VALU_DEP_1)
	v_mul_f32_e32 v88, v89, v87
	v_fma_f32 v90, -v78, v88, v89
	s_delay_alu instid0(VALU_DEP_1) | instskip(NEXT) | instid1(VALU_DEP_1)
	v_fmac_f32_e32 v88, v90, v87
	v_fma_f32 v78, -v78, v88, v89
	s_delay_alu instid0(VALU_DEP_1) | instskip(NEXT) | instid1(VALU_DEP_1)
	v_div_fmas_f32 v78, v78, v87, v88
	v_div_fixup_f32 v79, v78, v79, 1.0
	s_delay_alu instid0(VALU_DEP_1)
	v_mul_f32_e32 v78, v81, v79
	v_xor_b32_e32 v79, 0x80000000, v79
.LBB70_532:
	s_and_not1_saveexec_b32 s1, s1
	s_cbranch_execz .LBB70_534
; %bb.533:
	s_delay_alu instid0(VALU_DEP_1) | instskip(SKIP_1) | instid1(VALU_DEP_2)
	v_div_scale_f32 v81, null, v78, v78, v79
	v_div_scale_f32 v89, vcc_lo, v79, v78, v79
	v_rcp_f32_e32 v87, v81
	v_nop
	s_delay_alu instid0(TRANS32_DEP_1) | instskip(NEXT) | instid1(VALU_DEP_1)
	v_fma_f32 v88, -v81, v87, 1.0
	v_fmac_f32_e32 v87, v88, v87
	s_delay_alu instid0(VALU_DEP_1) | instskip(NEXT) | instid1(VALU_DEP_1)
	v_mul_f32_e32 v88, v89, v87
	v_fma_f32 v90, -v81, v88, v89
	s_delay_alu instid0(VALU_DEP_1) | instskip(NEXT) | instid1(VALU_DEP_1)
	v_fmac_f32_e32 v88, v90, v87
	v_fma_f32 v81, -v81, v88, v89
	s_delay_alu instid0(VALU_DEP_1) | instskip(NEXT) | instid1(VALU_DEP_1)
	v_div_fmas_f32 v81, v81, v87, v88
	v_div_fixup_f32 v81, v81, v78, v79
	s_delay_alu instid0(VALU_DEP_1) | instskip(NEXT) | instid1(VALU_DEP_1)
	v_fmac_f32_e32 v78, v79, v81
	v_div_scale_f32 v79, null, v78, v78, 1.0
	s_delay_alu instid0(VALU_DEP_1) | instskip(SKIP_1) | instid1(TRANS32_DEP_1)
	v_rcp_f32_e32 v87, v79
	v_nop
	v_fma_f32 v88, -v79, v87, 1.0
	s_delay_alu instid0(VALU_DEP_1) | instskip(SKIP_1) | instid1(VALU_DEP_1)
	v_fmac_f32_e32 v87, v88, v87
	v_div_scale_f32 v88, vcc_lo, 1.0, v78, 1.0
	v_mul_f32_e32 v89, v88, v87
	s_delay_alu instid0(VALU_DEP_1) | instskip(NEXT) | instid1(VALU_DEP_1)
	v_fma_f32 v90, -v79, v89, v88
	v_fmac_f32_e32 v89, v90, v87
	s_delay_alu instid0(VALU_DEP_1) | instskip(NEXT) | instid1(VALU_DEP_1)
	v_fma_f32 v79, -v79, v89, v88
	v_div_fmas_f32 v79, v79, v87, v89
	s_delay_alu instid0(VALU_DEP_1) | instskip(NEXT) | instid1(VALU_DEP_1)
	v_div_fixup_f32 v78, v79, v78, 1.0
	v_mul_f32_e64 v79, v81, -v78
.LBB70_534:
	s_or_b32 exec_lo, exec_lo, s1
.LBB70_535:
	s_delay_alu instid0(SALU_CYCLE_1) | instskip(NEXT) | instid1(SALU_CYCLE_1)
	s_or_b32 exec_lo, exec_lo, s0
	s_mov_b32 s0, exec_lo
	v_cmpx_ne_u32_e64 v86, v80
	s_xor_b32 s0, exec_lo, s0
	s_cbranch_execz .LBB70_541
; %bb.536:
	s_mov_b32 s1, exec_lo
	v_cmpx_eq_u32_e32 25, v86
	s_cbranch_execz .LBB70_540
; %bb.537:
	v_cmp_ne_u32_e32 vcc_lo, 25, v80
	s_xor_b32 s12, s16, -1
	s_delay_alu instid0(SALU_CYCLE_1) | instskip(NEXT) | instid1(SALU_CYCLE_1)
	s_and_b32 s13, s12, vcc_lo
	s_and_saveexec_b32 s12, s13
	s_cbranch_execz .LBB70_539
; %bb.538:
	v_ashrrev_i32_e32 v81, 31, v80
	s_delay_alu instid0(VALU_DEP_1)
	v_lshl_add_u64 v[86:87], v[80:81], 2, v[4:5]
	s_clause 0x1
	global_load_b32 v81, v[86:87], off
	global_load_b32 v85, v[4:5], off offset:100
	s_wait_loadcnt 0x1
	global_store_b32 v[4:5], v81, off offset:100
	s_wait_loadcnt 0x0
	global_store_b32 v[86:87], v85, off
.LBB70_539:
	s_wait_xcnt 0x0
	s_or_b32 exec_lo, exec_lo, s12
	v_dual_mov_b32 v86, v80 :: v_dual_mov_b32 v85, v80
.LBB70_540:
	s_or_b32 exec_lo, exec_lo, s1
.LBB70_541:
	s_and_not1_saveexec_b32 s0, s0
	s_cbranch_execz .LBB70_543
; %bb.542:
	v_dual_mov_b32 v80, v36 :: v_dual_mov_b32 v81, v37
	v_dual_mov_b32 v88, v6 :: v_dual_mov_b32 v89, v7
	;; [unrolled: 1-line block ×9, first 2 shown]
	v_mov_b32_e32 v103, v19
	ds_store_2addr_b64 v82, v[80:81], v[88:89] offset0:26 offset1:27
	ds_store_2addr_b64 v82, v[90:91], v[92:93] offset0:28 offset1:29
	;; [unrolled: 1-line block ×5, first 2 shown]
.LBB70_543:
	s_or_b32 exec_lo, exec_lo, s0
	s_delay_alu instid0(SALU_CYCLE_1)
	s_mov_b32 s0, exec_lo
	s_wait_storecnt_dscnt 0x0
	s_barrier_signal -1
	s_barrier_wait -1
	v_cmpx_lt_i32_e32 25, v86
	s_cbranch_execz .LBB70_545
; %bb.544:
	v_pk_mul_f32 v[80:81], v[78:79], v[32:33] op_sel:[1,1] op_sel_hi:[0,1]
	s_delay_alu instid0(VALU_DEP_1)
	v_pk_fma_f32 v[88:89], v[78:79], v[32:33], v[80:81] op_sel_hi:[1,0,1] neg_lo:[0,0,1] neg_hi:[0,0,1]
	v_pk_fma_f32 v[90:91], v[78:79], v[32:33], v[80:81] op_sel_hi:[1,0,1]
	ds_load_2addr_b64 v[78:81], v82 offset0:26 offset1:27
	v_dual_mov_b32 v32, v88 :: v_dual_mov_b32 v33, v91
	s_wait_dscnt 0x0
	v_pk_mul_f32 v[92:93], v[78:79], v[90:91] op_sel:[0,1]
	s_delay_alu instid0(VALU_DEP_1) | instskip(SKIP_1) | instid1(VALU_DEP_1)
	v_pk_fma_f32 v[94:95], v[78:79], v[88:89], v[92:93] op_sel:[0,0,1] op_sel_hi:[1,1,0] neg_lo:[0,0,1] neg_hi:[0,0,1]
	v_pk_fma_f32 v[78:79], v[78:79], v[88:89], v[92:93] op_sel:[0,0,1] op_sel_hi:[1,0,0]
	v_mov_b32_e32 v95, v79
	v_pk_mul_f32 v[78:79], v[80:81], v[90:91] op_sel:[0,1]
	s_delay_alu instid0(VALU_DEP_1) | instskip(SKIP_1) | instid1(VALU_DEP_1)
	v_pk_fma_f32 v[92:93], v[80:81], v[88:89], v[78:79] op_sel:[0,0,1] op_sel_hi:[1,1,0] neg_lo:[0,0,1] neg_hi:[0,0,1]
	v_pk_fma_f32 v[78:79], v[80:81], v[88:89], v[78:79] op_sel:[0,0,1] op_sel_hi:[1,0,0]
	v_mov_b32_e32 v93, v79
	ds_load_2addr_b64 v[78:81], v82 offset0:28 offset1:29
	v_pk_add_f32 v[36:37], v[36:37], v[94:95] neg_lo:[0,1] neg_hi:[0,1]
	v_pk_add_f32 v[6:7], v[6:7], v[92:93] neg_lo:[0,1] neg_hi:[0,1]
	s_wait_dscnt 0x0
	v_pk_mul_f32 v[92:93], v[78:79], v[90:91] op_sel:[0,1]
	s_delay_alu instid0(VALU_DEP_1) | instskip(SKIP_2) | instid1(VALU_DEP_2)
	v_pk_fma_f32 v[94:95], v[78:79], v[88:89], v[92:93] op_sel:[0,0,1] op_sel_hi:[1,1,0] neg_lo:[0,0,1] neg_hi:[0,0,1]
	v_pk_fma_f32 v[78:79], v[78:79], v[88:89], v[92:93] op_sel:[0,0,1] op_sel_hi:[1,0,0]
	v_dual_mul_f32 v92, v81, v91 :: v_dual_mov_b32 v78, v81
	v_dual_mov_b32 v95, v79 :: v_dual_mov_b32 v79, v80
	s_delay_alu instid0(VALU_DEP_2) | instskip(SKIP_1) | instid1(VALU_DEP_3)
	v_pk_fma_f32 v[92:93], v[80:81], v[32:33], v[92:93] op_sel_hi:[1,1,0] neg_lo:[0,0,1] neg_hi:[0,0,1]
	v_mul_f32_e32 v80, v81, v88
	v_pk_add_f32 v[30:31], v[30:31], v[94:95] neg_lo:[0,1] neg_hi:[0,1]
	s_delay_alu instid0(VALU_DEP_2) | instskip(NEXT) | instid1(VALU_DEP_1)
	v_pk_fma_f32 v[78:79], v[78:79], v[32:33], v[80:81] op_sel_hi:[1,1,0]
	v_mov_b32_e32 v93, v79
	ds_load_2addr_b64 v[78:81], v82 offset0:30 offset1:31
	v_pk_add_f32 v[26:27], v[26:27], v[92:93] neg_lo:[0,1] neg_hi:[0,1]
	s_wait_dscnt 0x0
	v_pk_mul_f32 v[92:93], v[78:79], v[90:91] op_sel:[0,1]
	s_delay_alu instid0(VALU_DEP_1) | instskip(SKIP_1) | instid1(VALU_DEP_1)
	v_pk_fma_f32 v[94:95], v[78:79], v[88:89], v[92:93] op_sel:[0,0,1] op_sel_hi:[1,1,0] neg_lo:[0,0,1] neg_hi:[0,0,1]
	v_pk_fma_f32 v[78:79], v[78:79], v[88:89], v[92:93] op_sel:[0,0,1] op_sel_hi:[1,0,0]
	v_mov_b32_e32 v95, v79
	v_pk_mul_f32 v[78:79], v[80:81], v[90:91] op_sel:[0,1]
	s_delay_alu instid0(VALU_DEP_1) | instskip(SKIP_1) | instid1(VALU_DEP_1)
	v_pk_fma_f32 v[92:93], v[80:81], v[88:89], v[78:79] op_sel:[0,0,1] op_sel_hi:[1,1,0] neg_lo:[0,0,1] neg_hi:[0,0,1]
	v_pk_fma_f32 v[78:79], v[80:81], v[88:89], v[78:79] op_sel:[0,0,1] op_sel_hi:[1,0,0]
	v_mov_b32_e32 v93, v79
	ds_load_2addr_b64 v[78:81], v82 offset0:32 offset1:33
	v_pk_add_f32 v[28:29], v[28:29], v[94:95] neg_lo:[0,1] neg_hi:[0,1]
	v_pk_add_f32 v[10:11], v[10:11], v[92:93] neg_lo:[0,1] neg_hi:[0,1]
	s_wait_dscnt 0x0
	v_pk_mul_f32 v[92:93], v[78:79], v[90:91] op_sel:[0,1]
	s_delay_alu instid0(VALU_DEP_1) | instskip(SKIP_1) | instid1(VALU_DEP_1)
	v_pk_fma_f32 v[94:95], v[78:79], v[88:89], v[92:93] op_sel:[0,0,1] op_sel_hi:[1,1,0] neg_lo:[0,0,1] neg_hi:[0,0,1]
	v_pk_fma_f32 v[78:79], v[78:79], v[88:89], v[92:93] op_sel:[0,0,1] op_sel_hi:[1,0,0]
	v_mov_b32_e32 v95, v79
	v_pk_mul_f32 v[78:79], v[80:81], v[90:91] op_sel:[0,1]
	s_delay_alu instid0(VALU_DEP_1) | instskip(SKIP_1) | instid1(VALU_DEP_1)
	v_pk_fma_f32 v[92:93], v[80:81], v[88:89], v[78:79] op_sel:[0,0,1] op_sel_hi:[1,1,0] neg_lo:[0,0,1] neg_hi:[0,0,1]
	v_pk_fma_f32 v[78:79], v[80:81], v[88:89], v[78:79] op_sel:[0,0,1] op_sel_hi:[1,0,0]
	v_mov_b32_e32 v93, v79
	ds_load_2addr_b64 v[78:81], v82 offset0:34 offset1:35
	v_pk_add_f32 v[24:25], v[24:25], v[94:95] neg_lo:[0,1] neg_hi:[0,1]
	v_pk_add_f32 v[20:21], v[20:21], v[92:93] neg_lo:[0,1] neg_hi:[0,1]
	s_wait_dscnt 0x0
	v_dual_mul_f32 v92, v79, v91 :: v_dual_mul_f32 v94, v79, v88
	s_delay_alu instid0(VALU_DEP_1) | instskip(NEXT) | instid1(VALU_DEP_2)
	v_pk_fma_f32 v[92:93], v[78:79], v[32:33], v[92:93] op_sel_hi:[1,1,0] neg_lo:[0,0,1] neg_hi:[0,0,1]
	v_pk_fma_f32 v[78:79], v[78:79], v[32:33], v[94:95] op_sel:[1,0,0] op_sel_hi:[0,1,0]
	s_delay_alu instid0(VALU_DEP_1) | instskip(SKIP_1) | instid1(VALU_DEP_1)
	v_mov_b32_e32 v93, v79
	v_pk_mul_f32 v[78:79], v[80:81], v[90:91] op_sel:[0,1]
	v_pk_fma_f32 v[90:91], v[80:81], v[88:89], v[78:79] op_sel:[0,0,1] op_sel_hi:[1,1,0] neg_lo:[0,0,1] neg_hi:[0,0,1]
	v_pk_fma_f32 v[78:79], v[80:81], v[88:89], v[78:79] op_sel:[0,0,1] op_sel_hi:[1,0,0]
	s_delay_alu instid0(VALU_DEP_1) | instskip(SKIP_1) | instid1(VALU_DEP_2)
	v_mov_b32_e32 v91, v79
	v_pk_add_f32 v[18:19], v[18:19], v[92:93] neg_lo:[0,1] neg_hi:[0,1]
	v_pk_add_f32 v[76:77], v[76:77], v[90:91] neg_lo:[0,1] neg_hi:[0,1]
.LBB70_545:
	s_or_b32 exec_lo, exec_lo, s0
	v_lshl_add_u32 v78, v86, 3, v82
	s_barrier_signal -1
	s_barrier_wait -1
	ds_store_b64 v78, v[36:37]
	s_wait_dscnt 0x0
	s_barrier_signal -1
	s_barrier_wait -1
	ds_load_b64 v[78:79], v82 offset:208
	v_mov_b32_e32 v80, 26
	s_cmp_lt_i32 s18, 28
	s_cbranch_scc1 .LBB70_548
; %bb.546:
	v_add3_u32 v81, v83, 0, 0xd8
	v_mov_b32_e32 v80, 26
	s_mov_b32 s0, 27
.LBB70_547:                             ; =>This Inner Loop Header: Depth=1
	ds_load_b64 v[88:89], v81
	s_wait_dscnt 0x1
	v_cmp_gt_f32_e32 vcc_lo, 0, v78
	v_cndmask_b32_e64 v90, v78, -v78, vcc_lo
	v_cmp_gt_f32_e32 vcc_lo, 0, v79
	v_cndmask_b32_e64 v92, v79, -v79, vcc_lo
	s_wait_dscnt 0x0
	v_cmp_gt_f32_e32 vcc_lo, 0, v88
	v_cndmask_b32_e64 v91, v88, -v88, vcc_lo
	v_cmp_gt_f32_e32 vcc_lo, 0, v89
	v_cndmask_b32_e64 v93, v89, -v89, vcc_lo
	s_delay_alu instid0(VALU_DEP_1) | instskip(NEXT) | instid1(VALU_DEP_1)
	v_pk_add_f32 v[90:91], v[90:91], v[92:93]
	v_cmp_lt_f32_e32 vcc_lo, v90, v91
	v_dual_cndmask_b32 v78, v78, v88 :: v_dual_add_nc_u32 v81, 8, v81
	v_cndmask_b32_e32 v79, v79, v89, vcc_lo
	v_cndmask_b32_e64 v80, v80, s0, vcc_lo
	s_add_co_i32 s0, s0, 1
	s_delay_alu instid0(SALU_CYCLE_1)
	s_cmp_lg_u32 s18, s0
	s_cbranch_scc1 .LBB70_547
.LBB70_548:
	s_wait_dscnt 0x0
	v_cmp_eq_f32_e32 vcc_lo, 0, v78
	v_cmp_eq_f32_e64 s0, 0, v79
	s_and_b32 s0, vcc_lo, s0
	s_delay_alu instid0(SALU_CYCLE_1) | instskip(NEXT) | instid1(SALU_CYCLE_1)
	s_and_saveexec_b32 s1, s0
	s_xor_b32 s0, exec_lo, s1
; %bb.549:
	v_cmp_ne_u32_e32 vcc_lo, 0, v84
	v_cndmask_b32_e32 v84, 27, v84, vcc_lo
; %bb.550:
	s_and_not1_saveexec_b32 s0, s0
	s_cbranch_execz .LBB70_556
; %bb.551:
	v_cmp_ngt_f32_e64 s1, |v78|, |v79|
	s_and_saveexec_b32 s12, s1
	s_delay_alu instid0(SALU_CYCLE_1)
	s_xor_b32 s1, exec_lo, s12
	s_cbranch_execz .LBB70_553
; %bb.552:
	v_div_scale_f32 v81, null, v79, v79, v78
	v_div_scale_f32 v89, vcc_lo, v78, v79, v78
	s_delay_alu instid0(VALU_DEP_2) | instskip(SKIP_1) | instid1(TRANS32_DEP_1)
	v_rcp_f32_e32 v87, v81
	v_nop
	v_fma_f32 v88, -v81, v87, 1.0
	s_delay_alu instid0(VALU_DEP_1) | instskip(NEXT) | instid1(VALU_DEP_1)
	v_fmac_f32_e32 v87, v88, v87
	v_mul_f32_e32 v88, v89, v87
	s_delay_alu instid0(VALU_DEP_1) | instskip(NEXT) | instid1(VALU_DEP_1)
	v_fma_f32 v90, -v81, v88, v89
	v_fmac_f32_e32 v88, v90, v87
	s_delay_alu instid0(VALU_DEP_1) | instskip(NEXT) | instid1(VALU_DEP_1)
	v_fma_f32 v81, -v81, v88, v89
	v_div_fmas_f32 v81, v81, v87, v88
	s_delay_alu instid0(VALU_DEP_1) | instskip(NEXT) | instid1(VALU_DEP_1)
	v_div_fixup_f32 v81, v81, v79, v78
	v_fmac_f32_e32 v79, v78, v81
	s_delay_alu instid0(VALU_DEP_1) | instskip(SKIP_1) | instid1(VALU_DEP_2)
	v_div_scale_f32 v78, null, v79, v79, 1.0
	v_div_scale_f32 v89, vcc_lo, 1.0, v79, 1.0
	v_rcp_f32_e32 v87, v78
	v_nop
	s_delay_alu instid0(TRANS32_DEP_1) | instskip(NEXT) | instid1(VALU_DEP_1)
	v_fma_f32 v88, -v78, v87, 1.0
	v_fmac_f32_e32 v87, v88, v87
	s_delay_alu instid0(VALU_DEP_1) | instskip(NEXT) | instid1(VALU_DEP_1)
	v_mul_f32_e32 v88, v89, v87
	v_fma_f32 v90, -v78, v88, v89
	s_delay_alu instid0(VALU_DEP_1) | instskip(NEXT) | instid1(VALU_DEP_1)
	v_fmac_f32_e32 v88, v90, v87
	v_fma_f32 v78, -v78, v88, v89
	s_delay_alu instid0(VALU_DEP_1) | instskip(NEXT) | instid1(VALU_DEP_1)
	v_div_fmas_f32 v78, v78, v87, v88
	v_div_fixup_f32 v79, v78, v79, 1.0
	s_delay_alu instid0(VALU_DEP_1)
	v_mul_f32_e32 v78, v81, v79
	v_xor_b32_e32 v79, 0x80000000, v79
.LBB70_553:
	s_and_not1_saveexec_b32 s1, s1
	s_cbranch_execz .LBB70_555
; %bb.554:
	s_delay_alu instid0(VALU_DEP_1) | instskip(SKIP_1) | instid1(VALU_DEP_2)
	v_div_scale_f32 v81, null, v78, v78, v79
	v_div_scale_f32 v89, vcc_lo, v79, v78, v79
	v_rcp_f32_e32 v87, v81
	v_nop
	s_delay_alu instid0(TRANS32_DEP_1) | instskip(NEXT) | instid1(VALU_DEP_1)
	v_fma_f32 v88, -v81, v87, 1.0
	v_fmac_f32_e32 v87, v88, v87
	s_delay_alu instid0(VALU_DEP_1) | instskip(NEXT) | instid1(VALU_DEP_1)
	v_mul_f32_e32 v88, v89, v87
	v_fma_f32 v90, -v81, v88, v89
	s_delay_alu instid0(VALU_DEP_1) | instskip(NEXT) | instid1(VALU_DEP_1)
	v_fmac_f32_e32 v88, v90, v87
	v_fma_f32 v81, -v81, v88, v89
	s_delay_alu instid0(VALU_DEP_1) | instskip(NEXT) | instid1(VALU_DEP_1)
	v_div_fmas_f32 v81, v81, v87, v88
	v_div_fixup_f32 v81, v81, v78, v79
	s_delay_alu instid0(VALU_DEP_1) | instskip(NEXT) | instid1(VALU_DEP_1)
	v_fmac_f32_e32 v78, v79, v81
	v_div_scale_f32 v79, null, v78, v78, 1.0
	s_delay_alu instid0(VALU_DEP_1) | instskip(SKIP_1) | instid1(TRANS32_DEP_1)
	v_rcp_f32_e32 v87, v79
	v_nop
	v_fma_f32 v88, -v79, v87, 1.0
	s_delay_alu instid0(VALU_DEP_1) | instskip(SKIP_1) | instid1(VALU_DEP_1)
	v_fmac_f32_e32 v87, v88, v87
	v_div_scale_f32 v88, vcc_lo, 1.0, v78, 1.0
	v_mul_f32_e32 v89, v88, v87
	s_delay_alu instid0(VALU_DEP_1) | instskip(NEXT) | instid1(VALU_DEP_1)
	v_fma_f32 v90, -v79, v89, v88
	v_fmac_f32_e32 v89, v90, v87
	s_delay_alu instid0(VALU_DEP_1) | instskip(NEXT) | instid1(VALU_DEP_1)
	v_fma_f32 v79, -v79, v89, v88
	v_div_fmas_f32 v79, v79, v87, v89
	s_delay_alu instid0(VALU_DEP_1) | instskip(NEXT) | instid1(VALU_DEP_1)
	v_div_fixup_f32 v78, v79, v78, 1.0
	v_mul_f32_e64 v79, v81, -v78
.LBB70_555:
	s_or_b32 exec_lo, exec_lo, s1
.LBB70_556:
	s_delay_alu instid0(SALU_CYCLE_1) | instskip(NEXT) | instid1(SALU_CYCLE_1)
	s_or_b32 exec_lo, exec_lo, s0
	s_mov_b32 s0, exec_lo
	v_cmpx_ne_u32_e64 v86, v80
	s_xor_b32 s0, exec_lo, s0
	s_cbranch_execz .LBB70_562
; %bb.557:
	s_mov_b32 s1, exec_lo
	v_cmpx_eq_u32_e32 26, v86
	s_cbranch_execz .LBB70_561
; %bb.558:
	v_cmp_ne_u32_e32 vcc_lo, 26, v80
	s_xor_b32 s12, s16, -1
	s_delay_alu instid0(SALU_CYCLE_1) | instskip(NEXT) | instid1(SALU_CYCLE_1)
	s_and_b32 s13, s12, vcc_lo
	s_and_saveexec_b32 s12, s13
	s_cbranch_execz .LBB70_560
; %bb.559:
	v_ashrrev_i32_e32 v81, 31, v80
	s_delay_alu instid0(VALU_DEP_1)
	v_lshl_add_u64 v[86:87], v[80:81], 2, v[4:5]
	s_clause 0x1
	global_load_b32 v81, v[86:87], off
	global_load_b32 v85, v[4:5], off offset:104
	s_wait_loadcnt 0x1
	global_store_b32 v[4:5], v81, off offset:104
	s_wait_loadcnt 0x0
	global_store_b32 v[86:87], v85, off
.LBB70_560:
	s_wait_xcnt 0x0
	s_or_b32 exec_lo, exec_lo, s12
	v_dual_mov_b32 v86, v80 :: v_dual_mov_b32 v85, v80
.LBB70_561:
	s_or_b32 exec_lo, exec_lo, s1
.LBB70_562:
	s_and_not1_saveexec_b32 s0, s0
	s_cbranch_execz .LBB70_564
; %bb.563:
	v_mov_b32_e32 v86, 26
	ds_store_2addr_b64 v82, v[6:7], v[30:31] offset0:27 offset1:28
	ds_store_2addr_b64 v82, v[26:27], v[28:29] offset0:29 offset1:30
	;; [unrolled: 1-line block ×4, first 2 shown]
	ds_store_b64 v82, v[76:77] offset:280
.LBB70_564:
	s_or_b32 exec_lo, exec_lo, s0
	s_delay_alu instid0(SALU_CYCLE_1)
	s_mov_b32 s0, exec_lo
	s_wait_storecnt_dscnt 0x0
	s_barrier_signal -1
	s_barrier_wait -1
	v_cmpx_lt_i32_e32 26, v86
	s_cbranch_execz .LBB70_566
; %bb.565:
	v_pk_mul_f32 v[80:81], v[78:79], v[36:37] op_sel:[1,1] op_sel_hi:[0,1]
	s_delay_alu instid0(VALU_DEP_1)
	v_pk_fma_f32 v[88:89], v[78:79], v[36:37], v[80:81] op_sel_hi:[1,0,1] neg_lo:[0,0,1] neg_hi:[0,0,1]
	v_pk_fma_f32 v[90:91], v[78:79], v[36:37], v[80:81] op_sel_hi:[1,0,1]
	ds_load_2addr_b64 v[78:81], v82 offset0:27 offset1:28
	v_dual_mov_b32 v36, v88 :: v_dual_mov_b32 v37, v91
	s_wait_dscnt 0x0
	v_pk_mul_f32 v[92:93], v[78:79], v[90:91] op_sel:[0,1]
	s_delay_alu instid0(VALU_DEP_1) | instskip(SKIP_1) | instid1(VALU_DEP_1)
	v_pk_fma_f32 v[94:95], v[78:79], v[88:89], v[92:93] op_sel:[0,0,1] op_sel_hi:[1,1,0] neg_lo:[0,0,1] neg_hi:[0,0,1]
	v_pk_fma_f32 v[78:79], v[78:79], v[88:89], v[92:93] op_sel:[0,0,1] op_sel_hi:[1,0,0]
	v_mov_b32_e32 v95, v79
	v_pk_mul_f32 v[78:79], v[80:81], v[90:91] op_sel:[0,1]
	s_delay_alu instid0(VALU_DEP_1) | instskip(SKIP_1) | instid1(VALU_DEP_1)
	v_pk_fma_f32 v[92:93], v[80:81], v[88:89], v[78:79] op_sel:[0,0,1] op_sel_hi:[1,1,0] neg_lo:[0,0,1] neg_hi:[0,0,1]
	v_pk_fma_f32 v[78:79], v[80:81], v[88:89], v[78:79] op_sel:[0,0,1] op_sel_hi:[1,0,0]
	v_mov_b32_e32 v93, v79
	ds_load_2addr_b64 v[78:81], v82 offset0:29 offset1:30
	v_pk_add_f32 v[6:7], v[6:7], v[94:95] neg_lo:[0,1] neg_hi:[0,1]
	v_pk_add_f32 v[30:31], v[30:31], v[92:93] neg_lo:[0,1] neg_hi:[0,1]
	s_wait_dscnt 0x0
	v_pk_mul_f32 v[92:93], v[78:79], v[90:91] op_sel:[0,1]
	s_delay_alu instid0(VALU_DEP_1) | instskip(SKIP_2) | instid1(VALU_DEP_2)
	v_pk_fma_f32 v[94:95], v[78:79], v[88:89], v[92:93] op_sel:[0,0,1] op_sel_hi:[1,1,0] neg_lo:[0,0,1] neg_hi:[0,0,1]
	v_pk_fma_f32 v[78:79], v[78:79], v[88:89], v[92:93] op_sel:[0,0,1] op_sel_hi:[1,0,0]
	v_dual_mul_f32 v92, v81, v91 :: v_dual_mov_b32 v78, v81
	v_dual_mov_b32 v95, v79 :: v_dual_mov_b32 v79, v80
	s_delay_alu instid0(VALU_DEP_2) | instskip(SKIP_1) | instid1(VALU_DEP_3)
	v_pk_fma_f32 v[92:93], v[80:81], v[36:37], v[92:93] op_sel_hi:[1,1,0] neg_lo:[0,0,1] neg_hi:[0,0,1]
	v_mul_f32_e32 v80, v81, v88
	v_pk_add_f32 v[26:27], v[26:27], v[94:95] neg_lo:[0,1] neg_hi:[0,1]
	s_delay_alu instid0(VALU_DEP_2) | instskip(NEXT) | instid1(VALU_DEP_1)
	v_pk_fma_f32 v[78:79], v[78:79], v[36:37], v[80:81] op_sel_hi:[1,1,0]
	v_mov_b32_e32 v93, v79
	ds_load_2addr_b64 v[78:81], v82 offset0:31 offset1:32
	v_pk_add_f32 v[28:29], v[28:29], v[92:93] neg_lo:[0,1] neg_hi:[0,1]
	s_wait_dscnt 0x0
	v_pk_mul_f32 v[92:93], v[78:79], v[90:91] op_sel:[0,1]
	s_delay_alu instid0(VALU_DEP_1) | instskip(SKIP_1) | instid1(VALU_DEP_1)
	v_pk_fma_f32 v[94:95], v[78:79], v[88:89], v[92:93] op_sel:[0,0,1] op_sel_hi:[1,1,0] neg_lo:[0,0,1] neg_hi:[0,0,1]
	v_pk_fma_f32 v[78:79], v[78:79], v[88:89], v[92:93] op_sel:[0,0,1] op_sel_hi:[1,0,0]
	v_mov_b32_e32 v95, v79
	v_pk_mul_f32 v[78:79], v[80:81], v[90:91] op_sel:[0,1]
	s_delay_alu instid0(VALU_DEP_1) | instskip(SKIP_1) | instid1(VALU_DEP_1)
	v_pk_fma_f32 v[92:93], v[80:81], v[88:89], v[78:79] op_sel:[0,0,1] op_sel_hi:[1,1,0] neg_lo:[0,0,1] neg_hi:[0,0,1]
	v_pk_fma_f32 v[78:79], v[80:81], v[88:89], v[78:79] op_sel:[0,0,1] op_sel_hi:[1,0,0]
	v_mov_b32_e32 v93, v79
	ds_load_2addr_b64 v[78:81], v82 offset0:33 offset1:34
	v_pk_add_f32 v[10:11], v[10:11], v[94:95] neg_lo:[0,1] neg_hi:[0,1]
	v_pk_add_f32 v[24:25], v[24:25], v[92:93] neg_lo:[0,1] neg_hi:[0,1]
	s_wait_dscnt 0x0
	v_pk_mul_f32 v[92:93], v[78:79], v[90:91] op_sel:[0,1]
	s_delay_alu instid0(VALU_DEP_1) | instskip(SKIP_1) | instid1(VALU_DEP_1)
	v_pk_fma_f32 v[94:95], v[78:79], v[88:89], v[92:93] op_sel:[0,0,1] op_sel_hi:[1,1,0] neg_lo:[0,0,1] neg_hi:[0,0,1]
	v_pk_fma_f32 v[78:79], v[78:79], v[88:89], v[92:93] op_sel:[0,0,1] op_sel_hi:[1,0,0]
	v_mov_b32_e32 v95, v79
	v_pk_mul_f32 v[78:79], v[80:81], v[90:91] op_sel:[0,1]
	s_delay_alu instid0(VALU_DEP_1) | instskip(SKIP_1) | instid1(VALU_DEP_1)
	v_pk_fma_f32 v[92:93], v[80:81], v[88:89], v[78:79] op_sel:[0,0,1] op_sel_hi:[1,1,0] neg_lo:[0,0,1] neg_hi:[0,0,1]
	v_pk_fma_f32 v[78:79], v[80:81], v[88:89], v[78:79] op_sel:[0,0,1] op_sel_hi:[1,0,0]
	v_mov_b32_e32 v93, v79
	ds_load_b64 v[78:79], v82 offset:280
	v_pk_add_f32 v[20:21], v[20:21], v[94:95] neg_lo:[0,1] neg_hi:[0,1]
	v_pk_add_f32 v[18:19], v[18:19], v[92:93] neg_lo:[0,1] neg_hi:[0,1]
	s_wait_dscnt 0x0
	v_pk_mul_f32 v[80:81], v[78:79], v[90:91] op_sel:[0,1]
	s_delay_alu instid0(VALU_DEP_1) | instskip(SKIP_1) | instid1(VALU_DEP_1)
	v_pk_fma_f32 v[90:91], v[78:79], v[88:89], v[80:81] op_sel:[0,0,1] op_sel_hi:[1,1,0] neg_lo:[0,0,1] neg_hi:[0,0,1]
	v_pk_fma_f32 v[78:79], v[78:79], v[88:89], v[80:81] op_sel:[0,0,1] op_sel_hi:[1,0,0]
	v_mov_b32_e32 v91, v79
	s_delay_alu instid0(VALU_DEP_1)
	v_pk_add_f32 v[76:77], v[76:77], v[90:91] neg_lo:[0,1] neg_hi:[0,1]
.LBB70_566:
	s_or_b32 exec_lo, exec_lo, s0
	v_lshl_add_u32 v78, v86, 3, v82
	s_barrier_signal -1
	s_barrier_wait -1
	ds_store_b64 v78, v[6:7]
	s_wait_dscnt 0x0
	s_barrier_signal -1
	s_barrier_wait -1
	ds_load_b64 v[78:79], v82 offset:216
	v_mov_b32_e32 v80, 27
	s_cmp_lt_i32 s18, 29
	s_cbranch_scc1 .LBB70_569
; %bb.567:
	v_add3_u32 v81, v83, 0, 0xe0
	v_mov_b32_e32 v80, 27
	s_mov_b32 s0, 28
.LBB70_568:                             ; =>This Inner Loop Header: Depth=1
	ds_load_b64 v[88:89], v81
	s_wait_dscnt 0x1
	v_cmp_gt_f32_e32 vcc_lo, 0, v78
	v_cndmask_b32_e64 v90, v78, -v78, vcc_lo
	v_cmp_gt_f32_e32 vcc_lo, 0, v79
	v_cndmask_b32_e64 v92, v79, -v79, vcc_lo
	s_wait_dscnt 0x0
	v_cmp_gt_f32_e32 vcc_lo, 0, v88
	v_cndmask_b32_e64 v91, v88, -v88, vcc_lo
	v_cmp_gt_f32_e32 vcc_lo, 0, v89
	v_cndmask_b32_e64 v93, v89, -v89, vcc_lo
	s_delay_alu instid0(VALU_DEP_1) | instskip(NEXT) | instid1(VALU_DEP_1)
	v_pk_add_f32 v[90:91], v[90:91], v[92:93]
	v_cmp_lt_f32_e32 vcc_lo, v90, v91
	v_dual_cndmask_b32 v78, v78, v88 :: v_dual_add_nc_u32 v81, 8, v81
	v_cndmask_b32_e32 v79, v79, v89, vcc_lo
	v_cndmask_b32_e64 v80, v80, s0, vcc_lo
	s_add_co_i32 s0, s0, 1
	s_delay_alu instid0(SALU_CYCLE_1)
	s_cmp_lg_u32 s18, s0
	s_cbranch_scc1 .LBB70_568
.LBB70_569:
	s_wait_dscnt 0x0
	v_cmp_eq_f32_e32 vcc_lo, 0, v78
	v_cmp_eq_f32_e64 s0, 0, v79
	s_and_b32 s0, vcc_lo, s0
	s_delay_alu instid0(SALU_CYCLE_1) | instskip(NEXT) | instid1(SALU_CYCLE_1)
	s_and_saveexec_b32 s1, s0
	s_xor_b32 s0, exec_lo, s1
; %bb.570:
	v_cmp_ne_u32_e32 vcc_lo, 0, v84
	v_cndmask_b32_e32 v84, 28, v84, vcc_lo
; %bb.571:
	s_and_not1_saveexec_b32 s0, s0
	s_cbranch_execz .LBB70_577
; %bb.572:
	v_cmp_ngt_f32_e64 s1, |v78|, |v79|
	s_and_saveexec_b32 s12, s1
	s_delay_alu instid0(SALU_CYCLE_1)
	s_xor_b32 s1, exec_lo, s12
	s_cbranch_execz .LBB70_574
; %bb.573:
	v_div_scale_f32 v81, null, v79, v79, v78
	v_div_scale_f32 v89, vcc_lo, v78, v79, v78
	s_delay_alu instid0(VALU_DEP_2) | instskip(SKIP_1) | instid1(TRANS32_DEP_1)
	v_rcp_f32_e32 v87, v81
	v_nop
	v_fma_f32 v88, -v81, v87, 1.0
	s_delay_alu instid0(VALU_DEP_1) | instskip(NEXT) | instid1(VALU_DEP_1)
	v_fmac_f32_e32 v87, v88, v87
	v_mul_f32_e32 v88, v89, v87
	s_delay_alu instid0(VALU_DEP_1) | instskip(NEXT) | instid1(VALU_DEP_1)
	v_fma_f32 v90, -v81, v88, v89
	v_fmac_f32_e32 v88, v90, v87
	s_delay_alu instid0(VALU_DEP_1) | instskip(NEXT) | instid1(VALU_DEP_1)
	v_fma_f32 v81, -v81, v88, v89
	v_div_fmas_f32 v81, v81, v87, v88
	s_delay_alu instid0(VALU_DEP_1) | instskip(NEXT) | instid1(VALU_DEP_1)
	v_div_fixup_f32 v81, v81, v79, v78
	v_fmac_f32_e32 v79, v78, v81
	s_delay_alu instid0(VALU_DEP_1) | instskip(SKIP_1) | instid1(VALU_DEP_2)
	v_div_scale_f32 v78, null, v79, v79, 1.0
	v_div_scale_f32 v89, vcc_lo, 1.0, v79, 1.0
	v_rcp_f32_e32 v87, v78
	v_nop
	s_delay_alu instid0(TRANS32_DEP_1) | instskip(NEXT) | instid1(VALU_DEP_1)
	v_fma_f32 v88, -v78, v87, 1.0
	v_fmac_f32_e32 v87, v88, v87
	s_delay_alu instid0(VALU_DEP_1) | instskip(NEXT) | instid1(VALU_DEP_1)
	v_mul_f32_e32 v88, v89, v87
	v_fma_f32 v90, -v78, v88, v89
	s_delay_alu instid0(VALU_DEP_1) | instskip(NEXT) | instid1(VALU_DEP_1)
	v_fmac_f32_e32 v88, v90, v87
	v_fma_f32 v78, -v78, v88, v89
	s_delay_alu instid0(VALU_DEP_1) | instskip(NEXT) | instid1(VALU_DEP_1)
	v_div_fmas_f32 v78, v78, v87, v88
	v_div_fixup_f32 v79, v78, v79, 1.0
	s_delay_alu instid0(VALU_DEP_1)
	v_mul_f32_e32 v78, v81, v79
	v_xor_b32_e32 v79, 0x80000000, v79
.LBB70_574:
	s_and_not1_saveexec_b32 s1, s1
	s_cbranch_execz .LBB70_576
; %bb.575:
	s_delay_alu instid0(VALU_DEP_1) | instskip(SKIP_1) | instid1(VALU_DEP_2)
	v_div_scale_f32 v81, null, v78, v78, v79
	v_div_scale_f32 v89, vcc_lo, v79, v78, v79
	v_rcp_f32_e32 v87, v81
	v_nop
	s_delay_alu instid0(TRANS32_DEP_1) | instskip(NEXT) | instid1(VALU_DEP_1)
	v_fma_f32 v88, -v81, v87, 1.0
	v_fmac_f32_e32 v87, v88, v87
	s_delay_alu instid0(VALU_DEP_1) | instskip(NEXT) | instid1(VALU_DEP_1)
	v_mul_f32_e32 v88, v89, v87
	v_fma_f32 v90, -v81, v88, v89
	s_delay_alu instid0(VALU_DEP_1) | instskip(NEXT) | instid1(VALU_DEP_1)
	v_fmac_f32_e32 v88, v90, v87
	v_fma_f32 v81, -v81, v88, v89
	s_delay_alu instid0(VALU_DEP_1) | instskip(NEXT) | instid1(VALU_DEP_1)
	v_div_fmas_f32 v81, v81, v87, v88
	v_div_fixup_f32 v81, v81, v78, v79
	s_delay_alu instid0(VALU_DEP_1) | instskip(NEXT) | instid1(VALU_DEP_1)
	v_fmac_f32_e32 v78, v79, v81
	v_div_scale_f32 v79, null, v78, v78, 1.0
	s_delay_alu instid0(VALU_DEP_1) | instskip(SKIP_1) | instid1(TRANS32_DEP_1)
	v_rcp_f32_e32 v87, v79
	v_nop
	v_fma_f32 v88, -v79, v87, 1.0
	s_delay_alu instid0(VALU_DEP_1) | instskip(SKIP_1) | instid1(VALU_DEP_1)
	v_fmac_f32_e32 v87, v88, v87
	v_div_scale_f32 v88, vcc_lo, 1.0, v78, 1.0
	v_mul_f32_e32 v89, v88, v87
	s_delay_alu instid0(VALU_DEP_1) | instskip(NEXT) | instid1(VALU_DEP_1)
	v_fma_f32 v90, -v79, v89, v88
	v_fmac_f32_e32 v89, v90, v87
	s_delay_alu instid0(VALU_DEP_1) | instskip(NEXT) | instid1(VALU_DEP_1)
	v_fma_f32 v79, -v79, v89, v88
	v_div_fmas_f32 v79, v79, v87, v89
	s_delay_alu instid0(VALU_DEP_1) | instskip(NEXT) | instid1(VALU_DEP_1)
	v_div_fixup_f32 v78, v79, v78, 1.0
	v_mul_f32_e64 v79, v81, -v78
.LBB70_576:
	s_or_b32 exec_lo, exec_lo, s1
.LBB70_577:
	s_delay_alu instid0(SALU_CYCLE_1) | instskip(NEXT) | instid1(SALU_CYCLE_1)
	s_or_b32 exec_lo, exec_lo, s0
	s_mov_b32 s0, exec_lo
	v_cmpx_ne_u32_e64 v86, v80
	s_xor_b32 s0, exec_lo, s0
	s_cbranch_execz .LBB70_583
; %bb.578:
	s_mov_b32 s1, exec_lo
	v_cmpx_eq_u32_e32 27, v86
	s_cbranch_execz .LBB70_582
; %bb.579:
	v_cmp_ne_u32_e32 vcc_lo, 27, v80
	s_xor_b32 s12, s16, -1
	s_delay_alu instid0(SALU_CYCLE_1) | instskip(NEXT) | instid1(SALU_CYCLE_1)
	s_and_b32 s13, s12, vcc_lo
	s_and_saveexec_b32 s12, s13
	s_cbranch_execz .LBB70_581
; %bb.580:
	v_ashrrev_i32_e32 v81, 31, v80
	s_delay_alu instid0(VALU_DEP_1)
	v_lshl_add_u64 v[86:87], v[80:81], 2, v[4:5]
	s_clause 0x1
	global_load_b32 v81, v[86:87], off
	global_load_b32 v85, v[4:5], off offset:108
	s_wait_loadcnt 0x1
	global_store_b32 v[4:5], v81, off offset:108
	s_wait_loadcnt 0x0
	global_store_b32 v[86:87], v85, off
.LBB70_581:
	s_wait_xcnt 0x0
	s_or_b32 exec_lo, exec_lo, s12
	v_dual_mov_b32 v86, v80 :: v_dual_mov_b32 v85, v80
.LBB70_582:
	s_or_b32 exec_lo, exec_lo, s1
.LBB70_583:
	s_and_not1_saveexec_b32 s0, s0
	s_cbranch_execz .LBB70_585
; %bb.584:
	v_dual_mov_b32 v80, v30 :: v_dual_mov_b32 v81, v31
	v_dual_mov_b32 v88, v26 :: v_dual_mov_b32 v89, v27
	;; [unrolled: 1-line block ×7, first 2 shown]
	v_mov_b32_e32 v99, v19
	ds_store_2addr_b64 v82, v[80:81], v[88:89] offset0:28 offset1:29
	ds_store_2addr_b64 v82, v[90:91], v[92:93] offset0:30 offset1:31
	;; [unrolled: 1-line block ×4, first 2 shown]
.LBB70_585:
	s_or_b32 exec_lo, exec_lo, s0
	s_delay_alu instid0(SALU_CYCLE_1)
	s_mov_b32 s0, exec_lo
	s_wait_storecnt_dscnt 0x0
	s_barrier_signal -1
	s_barrier_wait -1
	v_cmpx_lt_i32_e32 27, v86
	s_cbranch_execz .LBB70_587
; %bb.586:
	v_pk_mul_f32 v[80:81], v[78:79], v[6:7] op_sel:[1,1] op_sel_hi:[0,1]
	s_delay_alu instid0(VALU_DEP_1)
	v_pk_fma_f32 v[88:89], v[78:79], v[6:7], v[80:81] op_sel_hi:[1,0,1] neg_lo:[0,0,1] neg_hi:[0,0,1]
	v_pk_fma_f32 v[90:91], v[78:79], v[6:7], v[80:81] op_sel_hi:[1,0,1]
	ds_load_2addr_b64 v[78:81], v82 offset0:28 offset1:29
	v_dual_mov_b32 v6, v88 :: v_dual_mov_b32 v7, v91
	s_wait_dscnt 0x0
	v_pk_mul_f32 v[92:93], v[78:79], v[90:91] op_sel:[0,1]
	s_delay_alu instid0(VALU_DEP_1) | instskip(SKIP_1) | instid1(VALU_DEP_1)
	v_pk_fma_f32 v[94:95], v[78:79], v[88:89], v[92:93] op_sel:[0,0,1] op_sel_hi:[1,1,0] neg_lo:[0,0,1] neg_hi:[0,0,1]
	v_pk_fma_f32 v[78:79], v[78:79], v[88:89], v[92:93] op_sel:[0,0,1] op_sel_hi:[1,0,0]
	v_mov_b32_e32 v95, v79
	v_pk_mul_f32 v[78:79], v[80:81], v[90:91] op_sel:[0,1]
	s_delay_alu instid0(VALU_DEP_1) | instskip(SKIP_1) | instid1(VALU_DEP_1)
	v_pk_fma_f32 v[92:93], v[80:81], v[88:89], v[78:79] op_sel:[0,0,1] op_sel_hi:[1,1,0] neg_lo:[0,0,1] neg_hi:[0,0,1]
	v_pk_fma_f32 v[78:79], v[80:81], v[88:89], v[78:79] op_sel:[0,0,1] op_sel_hi:[1,0,0]
	v_mov_b32_e32 v93, v79
	ds_load_2addr_b64 v[78:81], v82 offset0:30 offset1:31
	v_pk_add_f32 v[30:31], v[30:31], v[94:95] neg_lo:[0,1] neg_hi:[0,1]
	v_pk_add_f32 v[26:27], v[26:27], v[92:93] neg_lo:[0,1] neg_hi:[0,1]
	s_wait_dscnt 0x0
	v_pk_mul_f32 v[92:93], v[78:79], v[90:91] op_sel:[0,1]
	s_delay_alu instid0(VALU_DEP_1) | instskip(SKIP_2) | instid1(VALU_DEP_2)
	v_pk_fma_f32 v[94:95], v[78:79], v[88:89], v[92:93] op_sel:[0,0,1] op_sel_hi:[1,1,0] neg_lo:[0,0,1] neg_hi:[0,0,1]
	v_pk_fma_f32 v[78:79], v[78:79], v[88:89], v[92:93] op_sel:[0,0,1] op_sel_hi:[1,0,0]
	v_dual_mul_f32 v92, v81, v91 :: v_dual_mov_b32 v78, v81
	v_dual_mov_b32 v95, v79 :: v_dual_mov_b32 v79, v80
	s_delay_alu instid0(VALU_DEP_2) | instskip(SKIP_1) | instid1(VALU_DEP_3)
	v_pk_fma_f32 v[92:93], v[80:81], v[6:7], v[92:93] op_sel_hi:[1,1,0] neg_lo:[0,0,1] neg_hi:[0,0,1]
	v_mul_f32_e32 v80, v81, v88
	v_pk_add_f32 v[28:29], v[28:29], v[94:95] neg_lo:[0,1] neg_hi:[0,1]
	s_delay_alu instid0(VALU_DEP_2) | instskip(NEXT) | instid1(VALU_DEP_1)
	v_pk_fma_f32 v[78:79], v[78:79], v[6:7], v[80:81] op_sel_hi:[1,1,0]
	v_mov_b32_e32 v93, v79
	ds_load_2addr_b64 v[78:81], v82 offset0:32 offset1:33
	v_pk_add_f32 v[10:11], v[10:11], v[92:93] neg_lo:[0,1] neg_hi:[0,1]
	s_wait_dscnt 0x0
	v_pk_mul_f32 v[92:93], v[78:79], v[90:91] op_sel:[0,1]
	s_delay_alu instid0(VALU_DEP_1) | instskip(SKIP_1) | instid1(VALU_DEP_1)
	v_pk_fma_f32 v[94:95], v[78:79], v[88:89], v[92:93] op_sel:[0,0,1] op_sel_hi:[1,1,0] neg_lo:[0,0,1] neg_hi:[0,0,1]
	v_pk_fma_f32 v[78:79], v[78:79], v[88:89], v[92:93] op_sel:[0,0,1] op_sel_hi:[1,0,0]
	v_mov_b32_e32 v95, v79
	v_pk_mul_f32 v[78:79], v[80:81], v[90:91] op_sel:[0,1]
	s_delay_alu instid0(VALU_DEP_1) | instskip(SKIP_1) | instid1(VALU_DEP_1)
	v_pk_fma_f32 v[92:93], v[80:81], v[88:89], v[78:79] op_sel:[0,0,1] op_sel_hi:[1,1,0] neg_lo:[0,0,1] neg_hi:[0,0,1]
	v_pk_fma_f32 v[78:79], v[80:81], v[88:89], v[78:79] op_sel:[0,0,1] op_sel_hi:[1,0,0]
	v_mov_b32_e32 v93, v79
	ds_load_2addr_b64 v[78:81], v82 offset0:34 offset1:35
	v_pk_add_f32 v[24:25], v[24:25], v[94:95] neg_lo:[0,1] neg_hi:[0,1]
	v_pk_add_f32 v[20:21], v[20:21], v[92:93] neg_lo:[0,1] neg_hi:[0,1]
	s_wait_dscnt 0x0
	v_pk_mul_f32 v[92:93], v[78:79], v[90:91] op_sel:[0,1]
	s_delay_alu instid0(VALU_DEP_1) | instskip(SKIP_1) | instid1(VALU_DEP_1)
	v_pk_fma_f32 v[94:95], v[78:79], v[88:89], v[92:93] op_sel:[0,0,1] op_sel_hi:[1,1,0] neg_lo:[0,0,1] neg_hi:[0,0,1]
	v_pk_fma_f32 v[78:79], v[78:79], v[88:89], v[92:93] op_sel:[0,0,1] op_sel_hi:[1,0,0]
	v_mov_b32_e32 v95, v79
	v_pk_mul_f32 v[78:79], v[80:81], v[90:91] op_sel:[0,1]
	s_delay_alu instid0(VALU_DEP_1) | instskip(SKIP_1) | instid1(VALU_DEP_1)
	v_pk_fma_f32 v[90:91], v[80:81], v[88:89], v[78:79] op_sel:[0,0,1] op_sel_hi:[1,1,0] neg_lo:[0,0,1] neg_hi:[0,0,1]
	v_pk_fma_f32 v[78:79], v[80:81], v[88:89], v[78:79] op_sel:[0,0,1] op_sel_hi:[1,0,0]
	v_mov_b32_e32 v91, v79
	v_pk_add_f32 v[18:19], v[18:19], v[94:95] neg_lo:[0,1] neg_hi:[0,1]
	s_delay_alu instid0(VALU_DEP_2)
	v_pk_add_f32 v[76:77], v[76:77], v[90:91] neg_lo:[0,1] neg_hi:[0,1]
.LBB70_587:
	s_or_b32 exec_lo, exec_lo, s0
	v_lshl_add_u32 v78, v86, 3, v82
	s_barrier_signal -1
	s_barrier_wait -1
	ds_store_b64 v78, v[30:31]
	s_wait_dscnt 0x0
	s_barrier_signal -1
	s_barrier_wait -1
	ds_load_b64 v[78:79], v82 offset:224
	v_mov_b32_e32 v80, 28
	s_cmp_lt_i32 s18, 30
	s_cbranch_scc1 .LBB70_590
; %bb.588:
	v_add3_u32 v81, v83, 0, 0xe8
	v_mov_b32_e32 v80, 28
	s_mov_b32 s0, 29
.LBB70_589:                             ; =>This Inner Loop Header: Depth=1
	ds_load_b64 v[88:89], v81
	s_wait_dscnt 0x1
	v_cmp_gt_f32_e32 vcc_lo, 0, v78
	v_cndmask_b32_e64 v90, v78, -v78, vcc_lo
	v_cmp_gt_f32_e32 vcc_lo, 0, v79
	v_cndmask_b32_e64 v92, v79, -v79, vcc_lo
	s_wait_dscnt 0x0
	v_cmp_gt_f32_e32 vcc_lo, 0, v88
	v_cndmask_b32_e64 v91, v88, -v88, vcc_lo
	v_cmp_gt_f32_e32 vcc_lo, 0, v89
	v_cndmask_b32_e64 v93, v89, -v89, vcc_lo
	s_delay_alu instid0(VALU_DEP_1) | instskip(NEXT) | instid1(VALU_DEP_1)
	v_pk_add_f32 v[90:91], v[90:91], v[92:93]
	v_cmp_lt_f32_e32 vcc_lo, v90, v91
	v_dual_cndmask_b32 v78, v78, v88 :: v_dual_add_nc_u32 v81, 8, v81
	v_cndmask_b32_e32 v79, v79, v89, vcc_lo
	v_cndmask_b32_e64 v80, v80, s0, vcc_lo
	s_add_co_i32 s0, s0, 1
	s_delay_alu instid0(SALU_CYCLE_1)
	s_cmp_lg_u32 s18, s0
	s_cbranch_scc1 .LBB70_589
.LBB70_590:
	s_wait_dscnt 0x0
	v_cmp_eq_f32_e32 vcc_lo, 0, v78
	v_cmp_eq_f32_e64 s0, 0, v79
	s_and_b32 s0, vcc_lo, s0
	s_delay_alu instid0(SALU_CYCLE_1) | instskip(NEXT) | instid1(SALU_CYCLE_1)
	s_and_saveexec_b32 s1, s0
	s_xor_b32 s0, exec_lo, s1
; %bb.591:
	v_cmp_ne_u32_e32 vcc_lo, 0, v84
	v_cndmask_b32_e32 v84, 29, v84, vcc_lo
; %bb.592:
	s_and_not1_saveexec_b32 s0, s0
	s_cbranch_execz .LBB70_598
; %bb.593:
	v_cmp_ngt_f32_e64 s1, |v78|, |v79|
	s_and_saveexec_b32 s12, s1
	s_delay_alu instid0(SALU_CYCLE_1)
	s_xor_b32 s1, exec_lo, s12
	s_cbranch_execz .LBB70_595
; %bb.594:
	v_div_scale_f32 v81, null, v79, v79, v78
	v_div_scale_f32 v89, vcc_lo, v78, v79, v78
	s_delay_alu instid0(VALU_DEP_2) | instskip(SKIP_1) | instid1(TRANS32_DEP_1)
	v_rcp_f32_e32 v87, v81
	v_nop
	v_fma_f32 v88, -v81, v87, 1.0
	s_delay_alu instid0(VALU_DEP_1) | instskip(NEXT) | instid1(VALU_DEP_1)
	v_fmac_f32_e32 v87, v88, v87
	v_mul_f32_e32 v88, v89, v87
	s_delay_alu instid0(VALU_DEP_1) | instskip(NEXT) | instid1(VALU_DEP_1)
	v_fma_f32 v90, -v81, v88, v89
	v_fmac_f32_e32 v88, v90, v87
	s_delay_alu instid0(VALU_DEP_1) | instskip(NEXT) | instid1(VALU_DEP_1)
	v_fma_f32 v81, -v81, v88, v89
	v_div_fmas_f32 v81, v81, v87, v88
	s_delay_alu instid0(VALU_DEP_1) | instskip(NEXT) | instid1(VALU_DEP_1)
	v_div_fixup_f32 v81, v81, v79, v78
	v_fmac_f32_e32 v79, v78, v81
	s_delay_alu instid0(VALU_DEP_1) | instskip(SKIP_1) | instid1(VALU_DEP_2)
	v_div_scale_f32 v78, null, v79, v79, 1.0
	v_div_scale_f32 v89, vcc_lo, 1.0, v79, 1.0
	v_rcp_f32_e32 v87, v78
	v_nop
	s_delay_alu instid0(TRANS32_DEP_1) | instskip(NEXT) | instid1(VALU_DEP_1)
	v_fma_f32 v88, -v78, v87, 1.0
	v_fmac_f32_e32 v87, v88, v87
	s_delay_alu instid0(VALU_DEP_1) | instskip(NEXT) | instid1(VALU_DEP_1)
	v_mul_f32_e32 v88, v89, v87
	v_fma_f32 v90, -v78, v88, v89
	s_delay_alu instid0(VALU_DEP_1) | instskip(NEXT) | instid1(VALU_DEP_1)
	v_fmac_f32_e32 v88, v90, v87
	v_fma_f32 v78, -v78, v88, v89
	s_delay_alu instid0(VALU_DEP_1) | instskip(NEXT) | instid1(VALU_DEP_1)
	v_div_fmas_f32 v78, v78, v87, v88
	v_div_fixup_f32 v79, v78, v79, 1.0
	s_delay_alu instid0(VALU_DEP_1)
	v_mul_f32_e32 v78, v81, v79
	v_xor_b32_e32 v79, 0x80000000, v79
.LBB70_595:
	s_and_not1_saveexec_b32 s1, s1
	s_cbranch_execz .LBB70_597
; %bb.596:
	s_delay_alu instid0(VALU_DEP_1) | instskip(SKIP_1) | instid1(VALU_DEP_2)
	v_div_scale_f32 v81, null, v78, v78, v79
	v_div_scale_f32 v89, vcc_lo, v79, v78, v79
	v_rcp_f32_e32 v87, v81
	v_nop
	s_delay_alu instid0(TRANS32_DEP_1) | instskip(NEXT) | instid1(VALU_DEP_1)
	v_fma_f32 v88, -v81, v87, 1.0
	v_fmac_f32_e32 v87, v88, v87
	s_delay_alu instid0(VALU_DEP_1) | instskip(NEXT) | instid1(VALU_DEP_1)
	v_mul_f32_e32 v88, v89, v87
	v_fma_f32 v90, -v81, v88, v89
	s_delay_alu instid0(VALU_DEP_1) | instskip(NEXT) | instid1(VALU_DEP_1)
	v_fmac_f32_e32 v88, v90, v87
	v_fma_f32 v81, -v81, v88, v89
	s_delay_alu instid0(VALU_DEP_1) | instskip(NEXT) | instid1(VALU_DEP_1)
	v_div_fmas_f32 v81, v81, v87, v88
	v_div_fixup_f32 v81, v81, v78, v79
	s_delay_alu instid0(VALU_DEP_1) | instskip(NEXT) | instid1(VALU_DEP_1)
	v_fmac_f32_e32 v78, v79, v81
	v_div_scale_f32 v79, null, v78, v78, 1.0
	s_delay_alu instid0(VALU_DEP_1) | instskip(SKIP_1) | instid1(TRANS32_DEP_1)
	v_rcp_f32_e32 v87, v79
	v_nop
	v_fma_f32 v88, -v79, v87, 1.0
	s_delay_alu instid0(VALU_DEP_1) | instskip(SKIP_1) | instid1(VALU_DEP_1)
	v_fmac_f32_e32 v87, v88, v87
	v_div_scale_f32 v88, vcc_lo, 1.0, v78, 1.0
	v_mul_f32_e32 v89, v88, v87
	s_delay_alu instid0(VALU_DEP_1) | instskip(NEXT) | instid1(VALU_DEP_1)
	v_fma_f32 v90, -v79, v89, v88
	v_fmac_f32_e32 v89, v90, v87
	s_delay_alu instid0(VALU_DEP_1) | instskip(NEXT) | instid1(VALU_DEP_1)
	v_fma_f32 v79, -v79, v89, v88
	v_div_fmas_f32 v79, v79, v87, v89
	s_delay_alu instid0(VALU_DEP_1) | instskip(NEXT) | instid1(VALU_DEP_1)
	v_div_fixup_f32 v78, v79, v78, 1.0
	v_mul_f32_e64 v79, v81, -v78
.LBB70_597:
	s_or_b32 exec_lo, exec_lo, s1
.LBB70_598:
	s_delay_alu instid0(SALU_CYCLE_1) | instskip(NEXT) | instid1(SALU_CYCLE_1)
	s_or_b32 exec_lo, exec_lo, s0
	s_mov_b32 s0, exec_lo
	v_cmpx_ne_u32_e64 v86, v80
	s_xor_b32 s0, exec_lo, s0
	s_cbranch_execz .LBB70_604
; %bb.599:
	s_mov_b32 s1, exec_lo
	v_cmpx_eq_u32_e32 28, v86
	s_cbranch_execz .LBB70_603
; %bb.600:
	v_cmp_ne_u32_e32 vcc_lo, 28, v80
	s_xor_b32 s12, s16, -1
	s_delay_alu instid0(SALU_CYCLE_1) | instskip(NEXT) | instid1(SALU_CYCLE_1)
	s_and_b32 s13, s12, vcc_lo
	s_and_saveexec_b32 s12, s13
	s_cbranch_execz .LBB70_602
; %bb.601:
	v_ashrrev_i32_e32 v81, 31, v80
	s_delay_alu instid0(VALU_DEP_1)
	v_lshl_add_u64 v[86:87], v[80:81], 2, v[4:5]
	s_clause 0x1
	global_load_b32 v81, v[86:87], off
	global_load_b32 v85, v[4:5], off offset:112
	s_wait_loadcnt 0x1
	global_store_b32 v[4:5], v81, off offset:112
	s_wait_loadcnt 0x0
	global_store_b32 v[86:87], v85, off
.LBB70_602:
	s_wait_xcnt 0x0
	s_or_b32 exec_lo, exec_lo, s12
	v_dual_mov_b32 v86, v80 :: v_dual_mov_b32 v85, v80
.LBB70_603:
	s_or_b32 exec_lo, exec_lo, s1
.LBB70_604:
	s_and_not1_saveexec_b32 s0, s0
	s_cbranch_execz .LBB70_606
; %bb.605:
	v_mov_b32_e32 v86, 28
	ds_store_2addr_b64 v82, v[26:27], v[28:29] offset0:29 offset1:30
	ds_store_2addr_b64 v82, v[10:11], v[24:25] offset0:31 offset1:32
	;; [unrolled: 1-line block ×3, first 2 shown]
	ds_store_b64 v82, v[76:77] offset:280
.LBB70_606:
	s_or_b32 exec_lo, exec_lo, s0
	s_delay_alu instid0(SALU_CYCLE_1)
	s_mov_b32 s0, exec_lo
	s_wait_storecnt_dscnt 0x0
	s_barrier_signal -1
	s_barrier_wait -1
	v_cmpx_lt_i32_e32 28, v86
	s_cbranch_execz .LBB70_608
; %bb.607:
	v_pk_mul_f32 v[80:81], v[78:79], v[30:31] op_sel:[1,1] op_sel_hi:[0,1]
	s_delay_alu instid0(VALU_DEP_1)
	v_pk_fma_f32 v[88:89], v[78:79], v[30:31], v[80:81] op_sel_hi:[1,0,1] neg_lo:[0,0,1] neg_hi:[0,0,1]
	v_pk_fma_f32 v[90:91], v[78:79], v[30:31], v[80:81] op_sel_hi:[1,0,1]
	ds_load_2addr_b64 v[78:81], v82 offset0:29 offset1:30
	v_dual_mov_b32 v30, v88 :: v_dual_mov_b32 v31, v91
	s_wait_dscnt 0x0
	v_pk_mul_f32 v[92:93], v[78:79], v[90:91] op_sel:[0,1]
	s_delay_alu instid0(VALU_DEP_1) | instskip(SKIP_1) | instid1(VALU_DEP_1)
	v_pk_fma_f32 v[94:95], v[78:79], v[88:89], v[92:93] op_sel:[0,0,1] op_sel_hi:[1,1,0] neg_lo:[0,0,1] neg_hi:[0,0,1]
	v_pk_fma_f32 v[78:79], v[78:79], v[88:89], v[92:93] op_sel:[0,0,1] op_sel_hi:[1,0,0]
	v_mov_b32_e32 v95, v79
	v_pk_mul_f32 v[78:79], v[80:81], v[90:91] op_sel:[0,1]
	s_delay_alu instid0(VALU_DEP_1) | instskip(SKIP_1) | instid1(VALU_DEP_1)
	v_pk_fma_f32 v[92:93], v[80:81], v[88:89], v[78:79] op_sel:[0,0,1] op_sel_hi:[1,1,0] neg_lo:[0,0,1] neg_hi:[0,0,1]
	v_pk_fma_f32 v[78:79], v[80:81], v[88:89], v[78:79] op_sel:[0,0,1] op_sel_hi:[1,0,0]
	v_mov_b32_e32 v93, v79
	ds_load_2addr_b64 v[78:81], v82 offset0:31 offset1:32
	v_pk_add_f32 v[26:27], v[26:27], v[94:95] neg_lo:[0,1] neg_hi:[0,1]
	v_pk_add_f32 v[28:29], v[28:29], v[92:93] neg_lo:[0,1] neg_hi:[0,1]
	s_wait_dscnt 0x0
	v_pk_mul_f32 v[92:93], v[78:79], v[90:91] op_sel:[0,1]
	s_delay_alu instid0(VALU_DEP_1) | instskip(SKIP_2) | instid1(VALU_DEP_2)
	v_pk_fma_f32 v[94:95], v[78:79], v[88:89], v[92:93] op_sel:[0,0,1] op_sel_hi:[1,1,0] neg_lo:[0,0,1] neg_hi:[0,0,1]
	v_pk_fma_f32 v[78:79], v[78:79], v[88:89], v[92:93] op_sel:[0,0,1] op_sel_hi:[1,0,0]
	v_dual_mul_f32 v92, v81, v91 :: v_dual_mov_b32 v78, v81
	v_dual_mov_b32 v95, v79 :: v_dual_mov_b32 v79, v80
	s_delay_alu instid0(VALU_DEP_2) | instskip(SKIP_1) | instid1(VALU_DEP_3)
	v_pk_fma_f32 v[92:93], v[80:81], v[30:31], v[92:93] op_sel_hi:[1,1,0] neg_lo:[0,0,1] neg_hi:[0,0,1]
	v_mul_f32_e32 v80, v81, v88
	v_pk_add_f32 v[10:11], v[10:11], v[94:95] neg_lo:[0,1] neg_hi:[0,1]
	s_delay_alu instid0(VALU_DEP_2) | instskip(NEXT) | instid1(VALU_DEP_1)
	v_pk_fma_f32 v[78:79], v[78:79], v[30:31], v[80:81] op_sel_hi:[1,1,0]
	v_mov_b32_e32 v93, v79
	ds_load_2addr_b64 v[78:81], v82 offset0:33 offset1:34
	v_pk_add_f32 v[24:25], v[24:25], v[92:93] neg_lo:[0,1] neg_hi:[0,1]
	s_wait_dscnt 0x0
	v_pk_mul_f32 v[92:93], v[78:79], v[90:91] op_sel:[0,1]
	s_delay_alu instid0(VALU_DEP_1) | instskip(SKIP_1) | instid1(VALU_DEP_1)
	v_pk_fma_f32 v[94:95], v[78:79], v[88:89], v[92:93] op_sel:[0,0,1] op_sel_hi:[1,1,0] neg_lo:[0,0,1] neg_hi:[0,0,1]
	v_pk_fma_f32 v[78:79], v[78:79], v[88:89], v[92:93] op_sel:[0,0,1] op_sel_hi:[1,0,0]
	v_mov_b32_e32 v95, v79
	v_pk_mul_f32 v[78:79], v[80:81], v[90:91] op_sel:[0,1]
	s_delay_alu instid0(VALU_DEP_1) | instskip(SKIP_1) | instid1(VALU_DEP_1)
	v_pk_fma_f32 v[92:93], v[80:81], v[88:89], v[78:79] op_sel:[0,0,1] op_sel_hi:[1,1,0] neg_lo:[0,0,1] neg_hi:[0,0,1]
	v_pk_fma_f32 v[78:79], v[80:81], v[88:89], v[78:79] op_sel:[0,0,1] op_sel_hi:[1,0,0]
	v_mov_b32_e32 v93, v79
	ds_load_b64 v[78:79], v82 offset:280
	v_pk_add_f32 v[20:21], v[20:21], v[94:95] neg_lo:[0,1] neg_hi:[0,1]
	v_pk_add_f32 v[18:19], v[18:19], v[92:93] neg_lo:[0,1] neg_hi:[0,1]
	s_wait_dscnt 0x0
	v_pk_mul_f32 v[80:81], v[78:79], v[90:91] op_sel:[0,1]
	s_delay_alu instid0(VALU_DEP_1) | instskip(SKIP_1) | instid1(VALU_DEP_1)
	v_pk_fma_f32 v[90:91], v[78:79], v[88:89], v[80:81] op_sel:[0,0,1] op_sel_hi:[1,1,0] neg_lo:[0,0,1] neg_hi:[0,0,1]
	v_pk_fma_f32 v[78:79], v[78:79], v[88:89], v[80:81] op_sel:[0,0,1] op_sel_hi:[1,0,0]
	v_mov_b32_e32 v91, v79
	s_delay_alu instid0(VALU_DEP_1)
	v_pk_add_f32 v[76:77], v[76:77], v[90:91] neg_lo:[0,1] neg_hi:[0,1]
.LBB70_608:
	s_or_b32 exec_lo, exec_lo, s0
	v_lshl_add_u32 v78, v86, 3, v82
	s_barrier_signal -1
	s_barrier_wait -1
	ds_store_b64 v78, v[26:27]
	s_wait_dscnt 0x0
	s_barrier_signal -1
	s_barrier_wait -1
	ds_load_b64 v[78:79], v82 offset:232
	v_mov_b32_e32 v80, 29
	s_cmp_lt_i32 s18, 31
	s_cbranch_scc1 .LBB70_611
; %bb.609:
	v_add3_u32 v81, v83, 0, 0xf0
	v_mov_b32_e32 v80, 29
	s_mov_b32 s0, 30
.LBB70_610:                             ; =>This Inner Loop Header: Depth=1
	ds_load_b64 v[88:89], v81
	s_wait_dscnt 0x1
	v_cmp_gt_f32_e32 vcc_lo, 0, v78
	v_cndmask_b32_e64 v90, v78, -v78, vcc_lo
	v_cmp_gt_f32_e32 vcc_lo, 0, v79
	v_cndmask_b32_e64 v92, v79, -v79, vcc_lo
	s_wait_dscnt 0x0
	v_cmp_gt_f32_e32 vcc_lo, 0, v88
	v_cndmask_b32_e64 v91, v88, -v88, vcc_lo
	v_cmp_gt_f32_e32 vcc_lo, 0, v89
	v_cndmask_b32_e64 v93, v89, -v89, vcc_lo
	s_delay_alu instid0(VALU_DEP_1) | instskip(NEXT) | instid1(VALU_DEP_1)
	v_pk_add_f32 v[90:91], v[90:91], v[92:93]
	v_cmp_lt_f32_e32 vcc_lo, v90, v91
	v_dual_cndmask_b32 v78, v78, v88 :: v_dual_add_nc_u32 v81, 8, v81
	v_cndmask_b32_e32 v79, v79, v89, vcc_lo
	v_cndmask_b32_e64 v80, v80, s0, vcc_lo
	s_add_co_i32 s0, s0, 1
	s_delay_alu instid0(SALU_CYCLE_1)
	s_cmp_lg_u32 s18, s0
	s_cbranch_scc1 .LBB70_610
.LBB70_611:
	s_wait_dscnt 0x0
	v_cmp_eq_f32_e32 vcc_lo, 0, v78
	v_cmp_eq_f32_e64 s0, 0, v79
	s_and_b32 s0, vcc_lo, s0
	s_delay_alu instid0(SALU_CYCLE_1) | instskip(NEXT) | instid1(SALU_CYCLE_1)
	s_and_saveexec_b32 s1, s0
	s_xor_b32 s0, exec_lo, s1
; %bb.612:
	v_cmp_ne_u32_e32 vcc_lo, 0, v84
	v_cndmask_b32_e32 v84, 30, v84, vcc_lo
; %bb.613:
	s_and_not1_saveexec_b32 s0, s0
	s_cbranch_execz .LBB70_619
; %bb.614:
	v_cmp_ngt_f32_e64 s1, |v78|, |v79|
	s_and_saveexec_b32 s12, s1
	s_delay_alu instid0(SALU_CYCLE_1)
	s_xor_b32 s1, exec_lo, s12
	s_cbranch_execz .LBB70_616
; %bb.615:
	v_div_scale_f32 v81, null, v79, v79, v78
	v_div_scale_f32 v89, vcc_lo, v78, v79, v78
	s_delay_alu instid0(VALU_DEP_2) | instskip(SKIP_1) | instid1(TRANS32_DEP_1)
	v_rcp_f32_e32 v87, v81
	v_nop
	v_fma_f32 v88, -v81, v87, 1.0
	s_delay_alu instid0(VALU_DEP_1) | instskip(NEXT) | instid1(VALU_DEP_1)
	v_fmac_f32_e32 v87, v88, v87
	v_mul_f32_e32 v88, v89, v87
	s_delay_alu instid0(VALU_DEP_1) | instskip(NEXT) | instid1(VALU_DEP_1)
	v_fma_f32 v90, -v81, v88, v89
	v_fmac_f32_e32 v88, v90, v87
	s_delay_alu instid0(VALU_DEP_1) | instskip(NEXT) | instid1(VALU_DEP_1)
	v_fma_f32 v81, -v81, v88, v89
	v_div_fmas_f32 v81, v81, v87, v88
	s_delay_alu instid0(VALU_DEP_1) | instskip(NEXT) | instid1(VALU_DEP_1)
	v_div_fixup_f32 v81, v81, v79, v78
	v_fmac_f32_e32 v79, v78, v81
	s_delay_alu instid0(VALU_DEP_1) | instskip(SKIP_1) | instid1(VALU_DEP_2)
	v_div_scale_f32 v78, null, v79, v79, 1.0
	v_div_scale_f32 v89, vcc_lo, 1.0, v79, 1.0
	v_rcp_f32_e32 v87, v78
	v_nop
	s_delay_alu instid0(TRANS32_DEP_1) | instskip(NEXT) | instid1(VALU_DEP_1)
	v_fma_f32 v88, -v78, v87, 1.0
	v_fmac_f32_e32 v87, v88, v87
	s_delay_alu instid0(VALU_DEP_1) | instskip(NEXT) | instid1(VALU_DEP_1)
	v_mul_f32_e32 v88, v89, v87
	v_fma_f32 v90, -v78, v88, v89
	s_delay_alu instid0(VALU_DEP_1) | instskip(NEXT) | instid1(VALU_DEP_1)
	v_fmac_f32_e32 v88, v90, v87
	v_fma_f32 v78, -v78, v88, v89
	s_delay_alu instid0(VALU_DEP_1) | instskip(NEXT) | instid1(VALU_DEP_1)
	v_div_fmas_f32 v78, v78, v87, v88
	v_div_fixup_f32 v79, v78, v79, 1.0
	s_delay_alu instid0(VALU_DEP_1)
	v_mul_f32_e32 v78, v81, v79
	v_xor_b32_e32 v79, 0x80000000, v79
.LBB70_616:
	s_and_not1_saveexec_b32 s1, s1
	s_cbranch_execz .LBB70_618
; %bb.617:
	s_delay_alu instid0(VALU_DEP_1) | instskip(SKIP_1) | instid1(VALU_DEP_2)
	v_div_scale_f32 v81, null, v78, v78, v79
	v_div_scale_f32 v89, vcc_lo, v79, v78, v79
	v_rcp_f32_e32 v87, v81
	v_nop
	s_delay_alu instid0(TRANS32_DEP_1) | instskip(NEXT) | instid1(VALU_DEP_1)
	v_fma_f32 v88, -v81, v87, 1.0
	v_fmac_f32_e32 v87, v88, v87
	s_delay_alu instid0(VALU_DEP_1) | instskip(NEXT) | instid1(VALU_DEP_1)
	v_mul_f32_e32 v88, v89, v87
	v_fma_f32 v90, -v81, v88, v89
	s_delay_alu instid0(VALU_DEP_1) | instskip(NEXT) | instid1(VALU_DEP_1)
	v_fmac_f32_e32 v88, v90, v87
	v_fma_f32 v81, -v81, v88, v89
	s_delay_alu instid0(VALU_DEP_1) | instskip(NEXT) | instid1(VALU_DEP_1)
	v_div_fmas_f32 v81, v81, v87, v88
	v_div_fixup_f32 v81, v81, v78, v79
	s_delay_alu instid0(VALU_DEP_1) | instskip(NEXT) | instid1(VALU_DEP_1)
	v_fmac_f32_e32 v78, v79, v81
	v_div_scale_f32 v79, null, v78, v78, 1.0
	s_delay_alu instid0(VALU_DEP_1) | instskip(SKIP_1) | instid1(TRANS32_DEP_1)
	v_rcp_f32_e32 v87, v79
	v_nop
	v_fma_f32 v88, -v79, v87, 1.0
	s_delay_alu instid0(VALU_DEP_1) | instskip(SKIP_1) | instid1(VALU_DEP_1)
	v_fmac_f32_e32 v87, v88, v87
	v_div_scale_f32 v88, vcc_lo, 1.0, v78, 1.0
	v_mul_f32_e32 v89, v88, v87
	s_delay_alu instid0(VALU_DEP_1) | instskip(NEXT) | instid1(VALU_DEP_1)
	v_fma_f32 v90, -v79, v89, v88
	v_fmac_f32_e32 v89, v90, v87
	s_delay_alu instid0(VALU_DEP_1) | instskip(NEXT) | instid1(VALU_DEP_1)
	v_fma_f32 v79, -v79, v89, v88
	v_div_fmas_f32 v79, v79, v87, v89
	s_delay_alu instid0(VALU_DEP_1) | instskip(NEXT) | instid1(VALU_DEP_1)
	v_div_fixup_f32 v78, v79, v78, 1.0
	v_mul_f32_e64 v79, v81, -v78
.LBB70_618:
	s_or_b32 exec_lo, exec_lo, s1
.LBB70_619:
	s_delay_alu instid0(SALU_CYCLE_1) | instskip(NEXT) | instid1(SALU_CYCLE_1)
	s_or_b32 exec_lo, exec_lo, s0
	s_mov_b32 s0, exec_lo
	v_cmpx_ne_u32_e64 v86, v80
	s_xor_b32 s0, exec_lo, s0
	s_cbranch_execz .LBB70_625
; %bb.620:
	s_mov_b32 s1, exec_lo
	v_cmpx_eq_u32_e32 29, v86
	s_cbranch_execz .LBB70_624
; %bb.621:
	v_cmp_ne_u32_e32 vcc_lo, 29, v80
	s_xor_b32 s12, s16, -1
	s_delay_alu instid0(SALU_CYCLE_1) | instskip(NEXT) | instid1(SALU_CYCLE_1)
	s_and_b32 s13, s12, vcc_lo
	s_and_saveexec_b32 s12, s13
	s_cbranch_execz .LBB70_623
; %bb.622:
	v_ashrrev_i32_e32 v81, 31, v80
	s_delay_alu instid0(VALU_DEP_1)
	v_lshl_add_u64 v[86:87], v[80:81], 2, v[4:5]
	s_clause 0x1
	global_load_b32 v81, v[86:87], off
	global_load_b32 v85, v[4:5], off offset:116
	s_wait_loadcnt 0x1
	global_store_b32 v[4:5], v81, off offset:116
	s_wait_loadcnt 0x0
	global_store_b32 v[86:87], v85, off
.LBB70_623:
	s_wait_xcnt 0x0
	s_or_b32 exec_lo, exec_lo, s12
	v_dual_mov_b32 v86, v80 :: v_dual_mov_b32 v85, v80
.LBB70_624:
	s_or_b32 exec_lo, exec_lo, s1
.LBB70_625:
	s_and_not1_saveexec_b32 s0, s0
	s_cbranch_execz .LBB70_627
; %bb.626:
	v_dual_mov_b32 v80, v28 :: v_dual_mov_b32 v81, v29
	v_dual_mov_b32 v88, v10 :: v_dual_mov_b32 v89, v11
	;; [unrolled: 1-line block ×5, first 2 shown]
	v_mov_b32_e32 v95, v19
	ds_store_2addr_b64 v82, v[80:81], v[88:89] offset0:30 offset1:31
	ds_store_2addr_b64 v82, v[90:91], v[92:93] offset0:32 offset1:33
	;; [unrolled: 1-line block ×3, first 2 shown]
.LBB70_627:
	s_or_b32 exec_lo, exec_lo, s0
	s_delay_alu instid0(SALU_CYCLE_1)
	s_mov_b32 s0, exec_lo
	s_wait_storecnt_dscnt 0x0
	s_barrier_signal -1
	s_barrier_wait -1
	v_cmpx_lt_i32_e32 29, v86
	s_cbranch_execz .LBB70_629
; %bb.628:
	v_pk_mul_f32 v[80:81], v[78:79], v[26:27] op_sel:[1,1] op_sel_hi:[0,1]
	s_delay_alu instid0(VALU_DEP_1)
	v_pk_fma_f32 v[88:89], v[78:79], v[26:27], v[80:81] op_sel_hi:[1,0,1] neg_lo:[0,0,1] neg_hi:[0,0,1]
	v_pk_fma_f32 v[90:91], v[78:79], v[26:27], v[80:81] op_sel_hi:[1,0,1]
	ds_load_2addr_b64 v[78:81], v82 offset0:30 offset1:31
	v_dual_mov_b32 v26, v88 :: v_dual_mov_b32 v27, v91
	s_wait_dscnt 0x0
	v_pk_mul_f32 v[92:93], v[78:79], v[90:91] op_sel:[0,1]
	s_delay_alu instid0(VALU_DEP_1) | instskip(SKIP_1) | instid1(VALU_DEP_1)
	v_pk_fma_f32 v[94:95], v[78:79], v[88:89], v[92:93] op_sel:[0,0,1] op_sel_hi:[1,1,0] neg_lo:[0,0,1] neg_hi:[0,0,1]
	v_pk_fma_f32 v[78:79], v[78:79], v[88:89], v[92:93] op_sel:[0,0,1] op_sel_hi:[1,0,0]
	v_mov_b32_e32 v95, v79
	v_pk_mul_f32 v[78:79], v[80:81], v[90:91] op_sel:[0,1]
	s_delay_alu instid0(VALU_DEP_1) | instskip(SKIP_1) | instid1(VALU_DEP_1)
	v_pk_fma_f32 v[92:93], v[80:81], v[88:89], v[78:79] op_sel:[0,0,1] op_sel_hi:[1,1,0] neg_lo:[0,0,1] neg_hi:[0,0,1]
	v_pk_fma_f32 v[78:79], v[80:81], v[88:89], v[78:79] op_sel:[0,0,1] op_sel_hi:[1,0,0]
	v_mov_b32_e32 v93, v79
	ds_load_2addr_b64 v[78:81], v82 offset0:32 offset1:33
	v_pk_add_f32 v[28:29], v[28:29], v[94:95] neg_lo:[0,1] neg_hi:[0,1]
	v_pk_add_f32 v[10:11], v[10:11], v[92:93] neg_lo:[0,1] neg_hi:[0,1]
	s_wait_dscnt 0x0
	v_pk_mul_f32 v[92:93], v[78:79], v[90:91] op_sel:[0,1]
	s_delay_alu instid0(VALU_DEP_1) | instskip(SKIP_2) | instid1(VALU_DEP_2)
	v_pk_fma_f32 v[94:95], v[78:79], v[88:89], v[92:93] op_sel:[0,0,1] op_sel_hi:[1,1,0] neg_lo:[0,0,1] neg_hi:[0,0,1]
	v_pk_fma_f32 v[78:79], v[78:79], v[88:89], v[92:93] op_sel:[0,0,1] op_sel_hi:[1,0,0]
	v_dual_mul_f32 v92, v81, v91 :: v_dual_mov_b32 v78, v81
	v_dual_mov_b32 v95, v79 :: v_dual_mov_b32 v79, v80
	s_delay_alu instid0(VALU_DEP_2) | instskip(SKIP_1) | instid1(VALU_DEP_3)
	v_pk_fma_f32 v[92:93], v[80:81], v[26:27], v[92:93] op_sel_hi:[1,1,0] neg_lo:[0,0,1] neg_hi:[0,0,1]
	v_mul_f32_e32 v80, v81, v88
	v_pk_add_f32 v[24:25], v[24:25], v[94:95] neg_lo:[0,1] neg_hi:[0,1]
	s_delay_alu instid0(VALU_DEP_2) | instskip(NEXT) | instid1(VALU_DEP_1)
	v_pk_fma_f32 v[78:79], v[78:79], v[26:27], v[80:81] op_sel_hi:[1,1,0]
	v_mov_b32_e32 v93, v79
	ds_load_2addr_b64 v[78:81], v82 offset0:34 offset1:35
	v_pk_add_f32 v[20:21], v[20:21], v[92:93] neg_lo:[0,1] neg_hi:[0,1]
	s_wait_dscnt 0x0
	v_pk_mul_f32 v[92:93], v[78:79], v[90:91] op_sel:[0,1]
	v_mul_f32_e32 v90, v81, v91
	s_delay_alu instid0(VALU_DEP_2) | instskip(SKIP_2) | instid1(VALU_DEP_4)
	v_pk_fma_f32 v[94:95], v[78:79], v[88:89], v[92:93] op_sel:[0,0,1] op_sel_hi:[1,1,0] neg_lo:[0,0,1] neg_hi:[0,0,1]
	v_pk_fma_f32 v[78:79], v[78:79], v[88:89], v[92:93] op_sel:[0,0,1] op_sel_hi:[1,0,0]
	v_mov_b32_e32 v78, v81
	v_pk_fma_f32 v[90:91], v[80:81], v[26:27], v[90:91] op_sel_hi:[1,1,0] neg_lo:[0,0,1] neg_hi:[0,0,1]
	s_delay_alu instid0(VALU_DEP_3) | instskip(SKIP_1) | instid1(VALU_DEP_2)
	v_dual_mov_b32 v95, v79 :: v_dual_mov_b32 v79, v80
	v_mul_f32_e32 v80, v81, v88
	v_pk_add_f32 v[18:19], v[18:19], v[94:95] neg_lo:[0,1] neg_hi:[0,1]
	s_delay_alu instid0(VALU_DEP_2) | instskip(NEXT) | instid1(VALU_DEP_1)
	v_pk_fma_f32 v[78:79], v[78:79], v[26:27], v[80:81] op_sel_hi:[1,1,0]
	v_mov_b32_e32 v91, v79
	s_delay_alu instid0(VALU_DEP_1)
	v_pk_add_f32 v[76:77], v[76:77], v[90:91] neg_lo:[0,1] neg_hi:[0,1]
.LBB70_629:
	s_or_b32 exec_lo, exec_lo, s0
	v_lshl_add_u32 v78, v86, 3, v82
	s_barrier_signal -1
	s_barrier_wait -1
	ds_store_b64 v78, v[28:29]
	s_wait_dscnt 0x0
	s_barrier_signal -1
	s_barrier_wait -1
	ds_load_b64 v[78:79], v82 offset:240
	v_mov_b32_e32 v80, 30
	s_cmp_lt_i32 s18, 32
	s_cbranch_scc1 .LBB70_632
; %bb.630:
	v_add3_u32 v81, v83, 0, 0xf8
	v_mov_b32_e32 v80, 30
	s_mov_b32 s0, 31
.LBB70_631:                             ; =>This Inner Loop Header: Depth=1
	ds_load_b64 v[88:89], v81
	s_wait_dscnt 0x1
	v_cmp_gt_f32_e32 vcc_lo, 0, v78
	v_cndmask_b32_e64 v90, v78, -v78, vcc_lo
	v_cmp_gt_f32_e32 vcc_lo, 0, v79
	v_cndmask_b32_e64 v92, v79, -v79, vcc_lo
	s_wait_dscnt 0x0
	v_cmp_gt_f32_e32 vcc_lo, 0, v88
	v_cndmask_b32_e64 v91, v88, -v88, vcc_lo
	v_cmp_gt_f32_e32 vcc_lo, 0, v89
	v_cndmask_b32_e64 v93, v89, -v89, vcc_lo
	s_delay_alu instid0(VALU_DEP_1) | instskip(NEXT) | instid1(VALU_DEP_1)
	v_pk_add_f32 v[90:91], v[90:91], v[92:93]
	v_cmp_lt_f32_e32 vcc_lo, v90, v91
	v_dual_cndmask_b32 v78, v78, v88 :: v_dual_add_nc_u32 v81, 8, v81
	v_cndmask_b32_e32 v79, v79, v89, vcc_lo
	v_cndmask_b32_e64 v80, v80, s0, vcc_lo
	s_add_co_i32 s0, s0, 1
	s_delay_alu instid0(SALU_CYCLE_1)
	s_cmp_lg_u32 s18, s0
	s_cbranch_scc1 .LBB70_631
.LBB70_632:
	s_wait_dscnt 0x0
	v_cmp_eq_f32_e32 vcc_lo, 0, v78
	v_cmp_eq_f32_e64 s0, 0, v79
	s_and_b32 s0, vcc_lo, s0
	s_delay_alu instid0(SALU_CYCLE_1) | instskip(NEXT) | instid1(SALU_CYCLE_1)
	s_and_saveexec_b32 s1, s0
	s_xor_b32 s0, exec_lo, s1
; %bb.633:
	v_cmp_ne_u32_e32 vcc_lo, 0, v84
	v_cndmask_b32_e32 v84, 31, v84, vcc_lo
; %bb.634:
	s_and_not1_saveexec_b32 s0, s0
	s_cbranch_execz .LBB70_640
; %bb.635:
	v_cmp_ngt_f32_e64 s1, |v78|, |v79|
	s_and_saveexec_b32 s12, s1
	s_delay_alu instid0(SALU_CYCLE_1)
	s_xor_b32 s1, exec_lo, s12
	s_cbranch_execz .LBB70_637
; %bb.636:
	v_div_scale_f32 v81, null, v79, v79, v78
	v_div_scale_f32 v89, vcc_lo, v78, v79, v78
	s_delay_alu instid0(VALU_DEP_2) | instskip(SKIP_1) | instid1(TRANS32_DEP_1)
	v_rcp_f32_e32 v87, v81
	v_nop
	v_fma_f32 v88, -v81, v87, 1.0
	s_delay_alu instid0(VALU_DEP_1) | instskip(NEXT) | instid1(VALU_DEP_1)
	v_fmac_f32_e32 v87, v88, v87
	v_mul_f32_e32 v88, v89, v87
	s_delay_alu instid0(VALU_DEP_1) | instskip(NEXT) | instid1(VALU_DEP_1)
	v_fma_f32 v90, -v81, v88, v89
	v_fmac_f32_e32 v88, v90, v87
	s_delay_alu instid0(VALU_DEP_1) | instskip(NEXT) | instid1(VALU_DEP_1)
	v_fma_f32 v81, -v81, v88, v89
	v_div_fmas_f32 v81, v81, v87, v88
	s_delay_alu instid0(VALU_DEP_1) | instskip(NEXT) | instid1(VALU_DEP_1)
	v_div_fixup_f32 v81, v81, v79, v78
	v_fmac_f32_e32 v79, v78, v81
	s_delay_alu instid0(VALU_DEP_1) | instskip(SKIP_1) | instid1(VALU_DEP_2)
	v_div_scale_f32 v78, null, v79, v79, 1.0
	v_div_scale_f32 v89, vcc_lo, 1.0, v79, 1.0
	v_rcp_f32_e32 v87, v78
	v_nop
	s_delay_alu instid0(TRANS32_DEP_1) | instskip(NEXT) | instid1(VALU_DEP_1)
	v_fma_f32 v88, -v78, v87, 1.0
	v_fmac_f32_e32 v87, v88, v87
	s_delay_alu instid0(VALU_DEP_1) | instskip(NEXT) | instid1(VALU_DEP_1)
	v_mul_f32_e32 v88, v89, v87
	v_fma_f32 v90, -v78, v88, v89
	s_delay_alu instid0(VALU_DEP_1) | instskip(NEXT) | instid1(VALU_DEP_1)
	v_fmac_f32_e32 v88, v90, v87
	v_fma_f32 v78, -v78, v88, v89
	s_delay_alu instid0(VALU_DEP_1) | instskip(NEXT) | instid1(VALU_DEP_1)
	v_div_fmas_f32 v78, v78, v87, v88
	v_div_fixup_f32 v79, v78, v79, 1.0
	s_delay_alu instid0(VALU_DEP_1)
	v_mul_f32_e32 v78, v81, v79
	v_xor_b32_e32 v79, 0x80000000, v79
.LBB70_637:
	s_and_not1_saveexec_b32 s1, s1
	s_cbranch_execz .LBB70_639
; %bb.638:
	s_delay_alu instid0(VALU_DEP_1) | instskip(SKIP_1) | instid1(VALU_DEP_2)
	v_div_scale_f32 v81, null, v78, v78, v79
	v_div_scale_f32 v89, vcc_lo, v79, v78, v79
	v_rcp_f32_e32 v87, v81
	v_nop
	s_delay_alu instid0(TRANS32_DEP_1) | instskip(NEXT) | instid1(VALU_DEP_1)
	v_fma_f32 v88, -v81, v87, 1.0
	v_fmac_f32_e32 v87, v88, v87
	s_delay_alu instid0(VALU_DEP_1) | instskip(NEXT) | instid1(VALU_DEP_1)
	v_mul_f32_e32 v88, v89, v87
	v_fma_f32 v90, -v81, v88, v89
	s_delay_alu instid0(VALU_DEP_1) | instskip(NEXT) | instid1(VALU_DEP_1)
	v_fmac_f32_e32 v88, v90, v87
	v_fma_f32 v81, -v81, v88, v89
	s_delay_alu instid0(VALU_DEP_1) | instskip(NEXT) | instid1(VALU_DEP_1)
	v_div_fmas_f32 v81, v81, v87, v88
	v_div_fixup_f32 v81, v81, v78, v79
	s_delay_alu instid0(VALU_DEP_1) | instskip(NEXT) | instid1(VALU_DEP_1)
	v_fmac_f32_e32 v78, v79, v81
	v_div_scale_f32 v79, null, v78, v78, 1.0
	s_delay_alu instid0(VALU_DEP_1) | instskip(SKIP_1) | instid1(TRANS32_DEP_1)
	v_rcp_f32_e32 v87, v79
	v_nop
	v_fma_f32 v88, -v79, v87, 1.0
	s_delay_alu instid0(VALU_DEP_1) | instskip(SKIP_1) | instid1(VALU_DEP_1)
	v_fmac_f32_e32 v87, v88, v87
	v_div_scale_f32 v88, vcc_lo, 1.0, v78, 1.0
	v_mul_f32_e32 v89, v88, v87
	s_delay_alu instid0(VALU_DEP_1) | instskip(NEXT) | instid1(VALU_DEP_1)
	v_fma_f32 v90, -v79, v89, v88
	v_fmac_f32_e32 v89, v90, v87
	s_delay_alu instid0(VALU_DEP_1) | instskip(NEXT) | instid1(VALU_DEP_1)
	v_fma_f32 v79, -v79, v89, v88
	v_div_fmas_f32 v79, v79, v87, v89
	s_delay_alu instid0(VALU_DEP_1) | instskip(NEXT) | instid1(VALU_DEP_1)
	v_div_fixup_f32 v78, v79, v78, 1.0
	v_mul_f32_e64 v79, v81, -v78
.LBB70_639:
	s_or_b32 exec_lo, exec_lo, s1
.LBB70_640:
	s_delay_alu instid0(SALU_CYCLE_1) | instskip(NEXT) | instid1(SALU_CYCLE_1)
	s_or_b32 exec_lo, exec_lo, s0
	s_mov_b32 s0, exec_lo
	v_cmpx_ne_u32_e64 v86, v80
	s_xor_b32 s0, exec_lo, s0
	s_cbranch_execz .LBB70_646
; %bb.641:
	s_mov_b32 s1, exec_lo
	v_cmpx_eq_u32_e32 30, v86
	s_cbranch_execz .LBB70_645
; %bb.642:
	v_cmp_ne_u32_e32 vcc_lo, 30, v80
	s_xor_b32 s12, s16, -1
	s_delay_alu instid0(SALU_CYCLE_1) | instskip(NEXT) | instid1(SALU_CYCLE_1)
	s_and_b32 s13, s12, vcc_lo
	s_and_saveexec_b32 s12, s13
	s_cbranch_execz .LBB70_644
; %bb.643:
	v_ashrrev_i32_e32 v81, 31, v80
	s_delay_alu instid0(VALU_DEP_1)
	v_lshl_add_u64 v[86:87], v[80:81], 2, v[4:5]
	s_clause 0x1
	global_load_b32 v81, v[86:87], off
	global_load_b32 v85, v[4:5], off offset:120
	s_wait_loadcnt 0x1
	global_store_b32 v[4:5], v81, off offset:120
	s_wait_loadcnt 0x0
	global_store_b32 v[86:87], v85, off
.LBB70_644:
	s_wait_xcnt 0x0
	s_or_b32 exec_lo, exec_lo, s12
	v_dual_mov_b32 v86, v80 :: v_dual_mov_b32 v85, v80
.LBB70_645:
	s_or_b32 exec_lo, exec_lo, s1
.LBB70_646:
	s_and_not1_saveexec_b32 s0, s0
	s_cbranch_execz .LBB70_648
; %bb.647:
	v_mov_b32_e32 v86, 30
	ds_store_2addr_b64 v82, v[10:11], v[24:25] offset0:31 offset1:32
	ds_store_2addr_b64 v82, v[20:21], v[18:19] offset0:33 offset1:34
	ds_store_b64 v82, v[76:77] offset:280
.LBB70_648:
	s_or_b32 exec_lo, exec_lo, s0
	s_delay_alu instid0(SALU_CYCLE_1)
	s_mov_b32 s0, exec_lo
	s_wait_storecnt_dscnt 0x0
	s_barrier_signal -1
	s_barrier_wait -1
	v_cmpx_lt_i32_e32 30, v86
	s_cbranch_execz .LBB70_650
; %bb.649:
	ds_load_2addr_b64 v[88:91], v82 offset0:31 offset1:32
	ds_load_2addr_b64 v[92:95], v82 offset0:33 offset1:34
	ds_load_b64 v[80:81], v82 offset:280
	v_pk_mul_f32 v[96:97], v[78:79], v[28:29] op_sel:[1,1] op_sel_hi:[0,1]
	s_delay_alu instid0(VALU_DEP_1) | instskip(SKIP_1) | instid1(VALU_DEP_1)
	v_pk_fma_f32 v[98:99], v[78:79], v[28:29], v[96:97] op_sel_hi:[1,0,1] neg_lo:[0,0,1] neg_hi:[0,0,1]
	v_pk_fma_f32 v[78:79], v[78:79], v[28:29], v[96:97] op_sel_hi:[1,0,1]
	v_dual_mov_b32 v28, v98 :: v_dual_mov_b32 v29, v79
	s_wait_dscnt 0x2
	s_delay_alu instid0(VALU_DEP_2)
	v_pk_mul_f32 v[96:97], v[88:89], v[78:79] op_sel:[0,1]
	v_pk_mul_f32 v[100:101], v[90:91], v[78:79] op_sel:[0,1]
	s_wait_dscnt 0x1
	v_pk_mul_f32 v[102:103], v[92:93], v[78:79] op_sel:[0,1]
	v_dual_mov_b32 v104, v95 :: v_dual_mov_b32 v105, v94
	v_dual_mul_f32 v106, v95, v79 :: v_dual_mul_f32 v108, v95, v98
	s_wait_dscnt 0x0
	v_pk_mul_f32 v[78:79], v[80:81], v[78:79] op_sel:[0,1]
	v_pk_fma_f32 v[110:111], v[88:89], v[98:99], v[96:97] op_sel:[0,0,1] op_sel_hi:[1,1,0] neg_lo:[0,0,1] neg_hi:[0,0,1]
	v_pk_fma_f32 v[88:89], v[88:89], v[98:99], v[96:97] op_sel:[0,0,1] op_sel_hi:[1,0,0]
	v_pk_fma_f32 v[96:97], v[90:91], v[98:99], v[100:101] op_sel:[0,0,1] op_sel_hi:[1,1,0] neg_lo:[0,0,1] neg_hi:[0,0,1]
	v_pk_fma_f32 v[90:91], v[90:91], v[98:99], v[100:101] op_sel:[0,0,1] op_sel_hi:[1,0,0]
	;; [unrolled: 2-line block ×3, first 2 shown]
	v_pk_fma_f32 v[102:103], v[104:105], v[28:29], v[108:109] op_sel_hi:[1,1,0]
	v_pk_fma_f32 v[104:105], v[80:81], v[98:99], v[78:79] op_sel:[0,0,1] op_sel_hi:[1,1,0] neg_lo:[0,0,1] neg_hi:[0,0,1]
	v_pk_fma_f32 v[78:79], v[80:81], v[98:99], v[78:79] op_sel:[0,0,1] op_sel_hi:[1,0,0]
	v_pk_fma_f32 v[94:95], v[94:95], v[28:29], v[106:107] op_sel_hi:[1,1,0] neg_lo:[0,0,1] neg_hi:[0,0,1]
	v_dual_mov_b32 v111, v89 :: v_dual_mov_b32 v97, v91
	v_dual_mov_b32 v101, v93 :: v_dual_mov_b32 v95, v103
	s_delay_alu instid0(VALU_DEP_4) | instskip(NEXT) | instid1(VALU_DEP_3)
	v_mov_b32_e32 v105, v79
	v_pk_add_f32 v[10:11], v[10:11], v[110:111] neg_lo:[0,1] neg_hi:[0,1]
	s_delay_alu instid0(VALU_DEP_4) | instskip(NEXT) | instid1(VALU_DEP_4)
	v_pk_add_f32 v[24:25], v[24:25], v[96:97] neg_lo:[0,1] neg_hi:[0,1]
	v_pk_add_f32 v[20:21], v[20:21], v[100:101] neg_lo:[0,1] neg_hi:[0,1]
	;; [unrolled: 1-line block ×4, first 2 shown]
.LBB70_650:
	s_or_b32 exec_lo, exec_lo, s0
	v_lshl_add_u32 v78, v86, 3, v82
	s_barrier_signal -1
	s_barrier_wait -1
	ds_store_b64 v78, v[10:11]
	s_wait_dscnt 0x0
	s_barrier_signal -1
	s_barrier_wait -1
	ds_load_b64 v[78:79], v82 offset:248
	v_mov_b32_e32 v80, 31
	s_cmp_lt_i32 s18, 33
	s_cbranch_scc1 .LBB70_653
; %bb.651:
	v_add3_u32 v81, v83, 0, 0x100
	v_mov_b32_e32 v80, 31
	s_mov_b32 s0, 32
.LBB70_652:                             ; =>This Inner Loop Header: Depth=1
	ds_load_b64 v[88:89], v81
	s_wait_dscnt 0x1
	v_cmp_gt_f32_e32 vcc_lo, 0, v78
	v_cndmask_b32_e64 v90, v78, -v78, vcc_lo
	v_cmp_gt_f32_e32 vcc_lo, 0, v79
	v_cndmask_b32_e64 v92, v79, -v79, vcc_lo
	s_wait_dscnt 0x0
	v_cmp_gt_f32_e32 vcc_lo, 0, v88
	v_cndmask_b32_e64 v91, v88, -v88, vcc_lo
	v_cmp_gt_f32_e32 vcc_lo, 0, v89
	v_cndmask_b32_e64 v93, v89, -v89, vcc_lo
	s_delay_alu instid0(VALU_DEP_1) | instskip(NEXT) | instid1(VALU_DEP_1)
	v_pk_add_f32 v[90:91], v[90:91], v[92:93]
	v_cmp_lt_f32_e32 vcc_lo, v90, v91
	v_dual_cndmask_b32 v78, v78, v88 :: v_dual_add_nc_u32 v81, 8, v81
	v_cndmask_b32_e32 v79, v79, v89, vcc_lo
	v_cndmask_b32_e64 v80, v80, s0, vcc_lo
	s_add_co_i32 s0, s0, 1
	s_delay_alu instid0(SALU_CYCLE_1)
	s_cmp_lg_u32 s18, s0
	s_cbranch_scc1 .LBB70_652
.LBB70_653:
	s_wait_dscnt 0x0
	v_cmp_eq_f32_e32 vcc_lo, 0, v78
	v_cmp_eq_f32_e64 s0, 0, v79
	s_and_b32 s0, vcc_lo, s0
	s_delay_alu instid0(SALU_CYCLE_1) | instskip(NEXT) | instid1(SALU_CYCLE_1)
	s_and_saveexec_b32 s1, s0
	s_xor_b32 s0, exec_lo, s1
; %bb.654:
	v_cmp_ne_u32_e32 vcc_lo, 0, v84
	v_cndmask_b32_e32 v84, 32, v84, vcc_lo
; %bb.655:
	s_and_not1_saveexec_b32 s0, s0
	s_cbranch_execz .LBB70_661
; %bb.656:
	v_cmp_ngt_f32_e64 s1, |v78|, |v79|
	s_and_saveexec_b32 s12, s1
	s_delay_alu instid0(SALU_CYCLE_1)
	s_xor_b32 s1, exec_lo, s12
	s_cbranch_execz .LBB70_658
; %bb.657:
	v_div_scale_f32 v81, null, v79, v79, v78
	v_div_scale_f32 v89, vcc_lo, v78, v79, v78
	s_delay_alu instid0(VALU_DEP_2) | instskip(SKIP_1) | instid1(TRANS32_DEP_1)
	v_rcp_f32_e32 v87, v81
	v_nop
	v_fma_f32 v88, -v81, v87, 1.0
	s_delay_alu instid0(VALU_DEP_1) | instskip(NEXT) | instid1(VALU_DEP_1)
	v_fmac_f32_e32 v87, v88, v87
	v_mul_f32_e32 v88, v89, v87
	s_delay_alu instid0(VALU_DEP_1) | instskip(NEXT) | instid1(VALU_DEP_1)
	v_fma_f32 v90, -v81, v88, v89
	v_fmac_f32_e32 v88, v90, v87
	s_delay_alu instid0(VALU_DEP_1) | instskip(NEXT) | instid1(VALU_DEP_1)
	v_fma_f32 v81, -v81, v88, v89
	v_div_fmas_f32 v81, v81, v87, v88
	s_delay_alu instid0(VALU_DEP_1) | instskip(NEXT) | instid1(VALU_DEP_1)
	v_div_fixup_f32 v81, v81, v79, v78
	v_fmac_f32_e32 v79, v78, v81
	s_delay_alu instid0(VALU_DEP_1) | instskip(SKIP_1) | instid1(VALU_DEP_2)
	v_div_scale_f32 v78, null, v79, v79, 1.0
	v_div_scale_f32 v89, vcc_lo, 1.0, v79, 1.0
	v_rcp_f32_e32 v87, v78
	v_nop
	s_delay_alu instid0(TRANS32_DEP_1) | instskip(NEXT) | instid1(VALU_DEP_1)
	v_fma_f32 v88, -v78, v87, 1.0
	v_fmac_f32_e32 v87, v88, v87
	s_delay_alu instid0(VALU_DEP_1) | instskip(NEXT) | instid1(VALU_DEP_1)
	v_mul_f32_e32 v88, v89, v87
	v_fma_f32 v90, -v78, v88, v89
	s_delay_alu instid0(VALU_DEP_1) | instskip(NEXT) | instid1(VALU_DEP_1)
	v_fmac_f32_e32 v88, v90, v87
	v_fma_f32 v78, -v78, v88, v89
	s_delay_alu instid0(VALU_DEP_1) | instskip(NEXT) | instid1(VALU_DEP_1)
	v_div_fmas_f32 v78, v78, v87, v88
	v_div_fixup_f32 v79, v78, v79, 1.0
	s_delay_alu instid0(VALU_DEP_1)
	v_mul_f32_e32 v78, v81, v79
	v_xor_b32_e32 v79, 0x80000000, v79
.LBB70_658:
	s_and_not1_saveexec_b32 s1, s1
	s_cbranch_execz .LBB70_660
; %bb.659:
	s_delay_alu instid0(VALU_DEP_1) | instskip(SKIP_1) | instid1(VALU_DEP_2)
	v_div_scale_f32 v81, null, v78, v78, v79
	v_div_scale_f32 v89, vcc_lo, v79, v78, v79
	v_rcp_f32_e32 v87, v81
	v_nop
	s_delay_alu instid0(TRANS32_DEP_1) | instskip(NEXT) | instid1(VALU_DEP_1)
	v_fma_f32 v88, -v81, v87, 1.0
	v_fmac_f32_e32 v87, v88, v87
	s_delay_alu instid0(VALU_DEP_1) | instskip(NEXT) | instid1(VALU_DEP_1)
	v_mul_f32_e32 v88, v89, v87
	v_fma_f32 v90, -v81, v88, v89
	s_delay_alu instid0(VALU_DEP_1) | instskip(NEXT) | instid1(VALU_DEP_1)
	v_fmac_f32_e32 v88, v90, v87
	v_fma_f32 v81, -v81, v88, v89
	s_delay_alu instid0(VALU_DEP_1) | instskip(NEXT) | instid1(VALU_DEP_1)
	v_div_fmas_f32 v81, v81, v87, v88
	v_div_fixup_f32 v81, v81, v78, v79
	s_delay_alu instid0(VALU_DEP_1) | instskip(NEXT) | instid1(VALU_DEP_1)
	v_fmac_f32_e32 v78, v79, v81
	v_div_scale_f32 v79, null, v78, v78, 1.0
	s_delay_alu instid0(VALU_DEP_1) | instskip(SKIP_1) | instid1(TRANS32_DEP_1)
	v_rcp_f32_e32 v87, v79
	v_nop
	v_fma_f32 v88, -v79, v87, 1.0
	s_delay_alu instid0(VALU_DEP_1) | instskip(SKIP_1) | instid1(VALU_DEP_1)
	v_fmac_f32_e32 v87, v88, v87
	v_div_scale_f32 v88, vcc_lo, 1.0, v78, 1.0
	v_mul_f32_e32 v89, v88, v87
	s_delay_alu instid0(VALU_DEP_1) | instskip(NEXT) | instid1(VALU_DEP_1)
	v_fma_f32 v90, -v79, v89, v88
	v_fmac_f32_e32 v89, v90, v87
	s_delay_alu instid0(VALU_DEP_1) | instskip(NEXT) | instid1(VALU_DEP_1)
	v_fma_f32 v79, -v79, v89, v88
	v_div_fmas_f32 v79, v79, v87, v89
	s_delay_alu instid0(VALU_DEP_1) | instskip(NEXT) | instid1(VALU_DEP_1)
	v_div_fixup_f32 v78, v79, v78, 1.0
	v_mul_f32_e64 v79, v81, -v78
.LBB70_660:
	s_or_b32 exec_lo, exec_lo, s1
.LBB70_661:
	s_delay_alu instid0(SALU_CYCLE_1) | instskip(NEXT) | instid1(SALU_CYCLE_1)
	s_or_b32 exec_lo, exec_lo, s0
	s_mov_b32 s0, exec_lo
	v_cmpx_ne_u32_e64 v86, v80
	s_xor_b32 s0, exec_lo, s0
	s_cbranch_execz .LBB70_667
; %bb.662:
	s_mov_b32 s1, exec_lo
	v_cmpx_eq_u32_e32 31, v86
	s_cbranch_execz .LBB70_666
; %bb.663:
	v_cmp_ne_u32_e32 vcc_lo, 31, v80
	s_xor_b32 s12, s16, -1
	s_delay_alu instid0(SALU_CYCLE_1) | instskip(NEXT) | instid1(SALU_CYCLE_1)
	s_and_b32 s13, s12, vcc_lo
	s_and_saveexec_b32 s12, s13
	s_cbranch_execz .LBB70_665
; %bb.664:
	v_ashrrev_i32_e32 v81, 31, v80
	s_delay_alu instid0(VALU_DEP_1)
	v_lshl_add_u64 v[86:87], v[80:81], 2, v[4:5]
	s_clause 0x1
	global_load_b32 v81, v[86:87], off
	global_load_b32 v85, v[4:5], off offset:124
	s_wait_loadcnt 0x1
	global_store_b32 v[4:5], v81, off offset:124
	s_wait_loadcnt 0x0
	global_store_b32 v[86:87], v85, off
.LBB70_665:
	s_wait_xcnt 0x0
	s_or_b32 exec_lo, exec_lo, s12
	v_dual_mov_b32 v86, v80 :: v_dual_mov_b32 v85, v80
.LBB70_666:
	s_or_b32 exec_lo, exec_lo, s1
.LBB70_667:
	s_and_not1_saveexec_b32 s0, s0
	s_cbranch_execz .LBB70_669
; %bb.668:
	v_dual_mov_b32 v80, v24 :: v_dual_mov_b32 v81, v25
	v_dual_mov_b32 v88, v20 :: v_dual_mov_b32 v89, v21
	;; [unrolled: 1-line block ×3, first 2 shown]
	v_mov_b32_e32 v91, v19
	ds_store_2addr_b64 v82, v[80:81], v[88:89] offset0:32 offset1:33
	ds_store_2addr_b64 v82, v[90:91], v[76:77] offset0:34 offset1:35
.LBB70_669:
	s_or_b32 exec_lo, exec_lo, s0
	s_delay_alu instid0(SALU_CYCLE_1)
	s_mov_b32 s0, exec_lo
	s_wait_storecnt_dscnt 0x0
	s_barrier_signal -1
	s_barrier_wait -1
	v_cmpx_lt_i32_e32 31, v86
	s_cbranch_execz .LBB70_671
; %bb.670:
	ds_load_2addr_b64 v[88:91], v82 offset0:32 offset1:33
	ds_load_2addr_b64 v[92:95], v82 offset0:34 offset1:35
	v_pk_mul_f32 v[80:81], v[78:79], v[10:11] op_sel:[1,1] op_sel_hi:[0,1]
	s_delay_alu instid0(VALU_DEP_1) | instskip(SKIP_1) | instid1(VALU_DEP_1)
	v_pk_fma_f32 v[96:97], v[78:79], v[10:11], v[80:81] op_sel_hi:[1,0,1] neg_lo:[0,0,1] neg_hi:[0,0,1]
	v_pk_fma_f32 v[78:79], v[78:79], v[10:11], v[80:81] op_sel_hi:[1,0,1]
	v_dual_mov_b32 v10, v96 :: v_dual_mov_b32 v11, v79
	s_wait_dscnt 0x1
	s_delay_alu instid0(VALU_DEP_2)
	v_pk_mul_f32 v[80:81], v[88:89], v[78:79] op_sel:[0,1]
	s_wait_dscnt 0x0
	v_mov_b32_e32 v98, v95
	v_pk_mul_f32 v[100:101], v[90:91], v[78:79] op_sel:[0,1]
	v_pk_mul_f32 v[102:103], v[92:93], v[78:79] op_sel:[0,1]
	v_pk_fma_f32 v[104:105], v[88:89], v[96:97], v[80:81] op_sel:[0,0,1] op_sel_hi:[1,1,0] neg_lo:[0,0,1] neg_hi:[0,0,1]
	v_pk_fma_f32 v[80:81], v[88:89], v[96:97], v[80:81] op_sel:[0,0,1] op_sel_hi:[1,0,0]
	s_delay_alu instid0(VALU_DEP_1) | instskip(NEXT) | instid1(VALU_DEP_1)
	v_dual_mov_b32 v99, v94 :: v_dual_mov_b32 v105, v81
	v_pk_mul_f32 v[88:89], v[98:99], v[78:79] op_sel:[0,1]
	v_pk_fma_f32 v[98:99], v[90:91], v[96:97], v[100:101] op_sel:[0,0,1] op_sel_hi:[1,0,0]
	v_pk_fma_f32 v[90:91], v[90:91], v[96:97], v[100:101] op_sel:[0,0,1] op_sel_hi:[1,1,0] neg_lo:[0,0,1] neg_hi:[0,0,1]
	v_pk_fma_f32 v[100:101], v[92:93], v[96:97], v[102:103] op_sel:[0,0,1] op_sel_hi:[1,0,0]
	v_pk_fma_f32 v[92:93], v[92:93], v[96:97], v[102:103] op_sel:[0,0,1] op_sel_hi:[1,1,0] neg_lo:[0,0,1] neg_hi:[0,0,1]
	v_pk_fma_f32 v[80:81], v[94:95], v[96:97], v[88:89] op_sel_hi:[1,0,1]
	v_pk_fma_f32 v[88:89], v[94:95], v[96:97], v[88:89] neg_lo:[0,0,1] neg_hi:[0,0,1]
	s_delay_alu instid0(VALU_DEP_4) | instskip(SKIP_1) | instid1(VALU_DEP_4)
	v_dual_mov_b32 v91, v99 :: v_dual_mov_b32 v93, v101
	v_pk_add_f32 v[24:25], v[24:25], v[104:105] neg_lo:[0,1] neg_hi:[0,1]
	v_mov_b32_e32 v89, v81
	s_delay_alu instid0(VALU_DEP_3) | instskip(NEXT) | instid1(VALU_DEP_4)
	v_pk_add_f32 v[20:21], v[20:21], v[90:91] neg_lo:[0,1] neg_hi:[0,1]
	v_pk_add_f32 v[18:19], v[18:19], v[92:93] neg_lo:[0,1] neg_hi:[0,1]
	s_delay_alu instid0(VALU_DEP_3)
	v_pk_add_f32 v[76:77], v[76:77], v[88:89] neg_lo:[0,1] neg_hi:[0,1]
.LBB70_671:
	s_or_b32 exec_lo, exec_lo, s0
	v_lshl_add_u32 v78, v86, 3, v82
	s_barrier_signal -1
	s_barrier_wait -1
	ds_store_b64 v78, v[24:25]
	s_wait_dscnt 0x0
	s_barrier_signal -1
	s_barrier_wait -1
	ds_load_b64 v[78:79], v82 offset:256
	v_mov_b32_e32 v80, 32
	s_cmp_lt_i32 s18, 34
	s_cbranch_scc1 .LBB70_674
; %bb.672:
	v_add3_u32 v81, v83, 0, 0x108
	v_mov_b32_e32 v80, 32
	s_mov_b32 s0, 33
.LBB70_673:                             ; =>This Inner Loop Header: Depth=1
	ds_load_b64 v[88:89], v81
	s_wait_dscnt 0x1
	v_cmp_gt_f32_e32 vcc_lo, 0, v78
	v_cndmask_b32_e64 v90, v78, -v78, vcc_lo
	v_cmp_gt_f32_e32 vcc_lo, 0, v79
	v_cndmask_b32_e64 v92, v79, -v79, vcc_lo
	s_wait_dscnt 0x0
	v_cmp_gt_f32_e32 vcc_lo, 0, v88
	v_cndmask_b32_e64 v91, v88, -v88, vcc_lo
	v_cmp_gt_f32_e32 vcc_lo, 0, v89
	v_cndmask_b32_e64 v93, v89, -v89, vcc_lo
	s_delay_alu instid0(VALU_DEP_1) | instskip(NEXT) | instid1(VALU_DEP_1)
	v_pk_add_f32 v[90:91], v[90:91], v[92:93]
	v_cmp_lt_f32_e32 vcc_lo, v90, v91
	v_dual_cndmask_b32 v78, v78, v88 :: v_dual_add_nc_u32 v81, 8, v81
	v_cndmask_b32_e32 v79, v79, v89, vcc_lo
	v_cndmask_b32_e64 v80, v80, s0, vcc_lo
	s_add_co_i32 s0, s0, 1
	s_delay_alu instid0(SALU_CYCLE_1)
	s_cmp_lg_u32 s18, s0
	s_cbranch_scc1 .LBB70_673
.LBB70_674:
	s_wait_dscnt 0x0
	v_cmp_eq_f32_e32 vcc_lo, 0, v78
	v_cmp_eq_f32_e64 s0, 0, v79
	s_and_b32 s0, vcc_lo, s0
	s_delay_alu instid0(SALU_CYCLE_1) | instskip(NEXT) | instid1(SALU_CYCLE_1)
	s_and_saveexec_b32 s1, s0
	s_xor_b32 s0, exec_lo, s1
; %bb.675:
	v_cmp_ne_u32_e32 vcc_lo, 0, v84
	v_cndmask_b32_e32 v84, 33, v84, vcc_lo
; %bb.676:
	s_and_not1_saveexec_b32 s0, s0
	s_cbranch_execz .LBB70_682
; %bb.677:
	v_cmp_ngt_f32_e64 s1, |v78|, |v79|
	s_and_saveexec_b32 s12, s1
	s_delay_alu instid0(SALU_CYCLE_1)
	s_xor_b32 s1, exec_lo, s12
	s_cbranch_execz .LBB70_679
; %bb.678:
	v_div_scale_f32 v81, null, v79, v79, v78
	v_div_scale_f32 v89, vcc_lo, v78, v79, v78
	s_delay_alu instid0(VALU_DEP_2) | instskip(SKIP_1) | instid1(TRANS32_DEP_1)
	v_rcp_f32_e32 v87, v81
	v_nop
	v_fma_f32 v88, -v81, v87, 1.0
	s_delay_alu instid0(VALU_DEP_1) | instskip(NEXT) | instid1(VALU_DEP_1)
	v_fmac_f32_e32 v87, v88, v87
	v_mul_f32_e32 v88, v89, v87
	s_delay_alu instid0(VALU_DEP_1) | instskip(NEXT) | instid1(VALU_DEP_1)
	v_fma_f32 v90, -v81, v88, v89
	v_fmac_f32_e32 v88, v90, v87
	s_delay_alu instid0(VALU_DEP_1) | instskip(NEXT) | instid1(VALU_DEP_1)
	v_fma_f32 v81, -v81, v88, v89
	v_div_fmas_f32 v81, v81, v87, v88
	s_delay_alu instid0(VALU_DEP_1) | instskip(NEXT) | instid1(VALU_DEP_1)
	v_div_fixup_f32 v81, v81, v79, v78
	v_fmac_f32_e32 v79, v78, v81
	s_delay_alu instid0(VALU_DEP_1) | instskip(SKIP_1) | instid1(VALU_DEP_2)
	v_div_scale_f32 v78, null, v79, v79, 1.0
	v_div_scale_f32 v89, vcc_lo, 1.0, v79, 1.0
	v_rcp_f32_e32 v87, v78
	v_nop
	s_delay_alu instid0(TRANS32_DEP_1) | instskip(NEXT) | instid1(VALU_DEP_1)
	v_fma_f32 v88, -v78, v87, 1.0
	v_fmac_f32_e32 v87, v88, v87
	s_delay_alu instid0(VALU_DEP_1) | instskip(NEXT) | instid1(VALU_DEP_1)
	v_mul_f32_e32 v88, v89, v87
	v_fma_f32 v90, -v78, v88, v89
	s_delay_alu instid0(VALU_DEP_1) | instskip(NEXT) | instid1(VALU_DEP_1)
	v_fmac_f32_e32 v88, v90, v87
	v_fma_f32 v78, -v78, v88, v89
	s_delay_alu instid0(VALU_DEP_1) | instskip(NEXT) | instid1(VALU_DEP_1)
	v_div_fmas_f32 v78, v78, v87, v88
	v_div_fixup_f32 v79, v78, v79, 1.0
	s_delay_alu instid0(VALU_DEP_1)
	v_mul_f32_e32 v78, v81, v79
	v_xor_b32_e32 v79, 0x80000000, v79
.LBB70_679:
	s_and_not1_saveexec_b32 s1, s1
	s_cbranch_execz .LBB70_681
; %bb.680:
	s_delay_alu instid0(VALU_DEP_1) | instskip(SKIP_1) | instid1(VALU_DEP_2)
	v_div_scale_f32 v81, null, v78, v78, v79
	v_div_scale_f32 v89, vcc_lo, v79, v78, v79
	v_rcp_f32_e32 v87, v81
	v_nop
	s_delay_alu instid0(TRANS32_DEP_1) | instskip(NEXT) | instid1(VALU_DEP_1)
	v_fma_f32 v88, -v81, v87, 1.0
	v_fmac_f32_e32 v87, v88, v87
	s_delay_alu instid0(VALU_DEP_1) | instskip(NEXT) | instid1(VALU_DEP_1)
	v_mul_f32_e32 v88, v89, v87
	v_fma_f32 v90, -v81, v88, v89
	s_delay_alu instid0(VALU_DEP_1) | instskip(NEXT) | instid1(VALU_DEP_1)
	v_fmac_f32_e32 v88, v90, v87
	v_fma_f32 v81, -v81, v88, v89
	s_delay_alu instid0(VALU_DEP_1) | instskip(NEXT) | instid1(VALU_DEP_1)
	v_div_fmas_f32 v81, v81, v87, v88
	v_div_fixup_f32 v81, v81, v78, v79
	s_delay_alu instid0(VALU_DEP_1) | instskip(NEXT) | instid1(VALU_DEP_1)
	v_fmac_f32_e32 v78, v79, v81
	v_div_scale_f32 v79, null, v78, v78, 1.0
	s_delay_alu instid0(VALU_DEP_1) | instskip(SKIP_1) | instid1(TRANS32_DEP_1)
	v_rcp_f32_e32 v87, v79
	v_nop
	v_fma_f32 v88, -v79, v87, 1.0
	s_delay_alu instid0(VALU_DEP_1) | instskip(SKIP_1) | instid1(VALU_DEP_1)
	v_fmac_f32_e32 v87, v88, v87
	v_div_scale_f32 v88, vcc_lo, 1.0, v78, 1.0
	v_mul_f32_e32 v89, v88, v87
	s_delay_alu instid0(VALU_DEP_1) | instskip(NEXT) | instid1(VALU_DEP_1)
	v_fma_f32 v90, -v79, v89, v88
	v_fmac_f32_e32 v89, v90, v87
	s_delay_alu instid0(VALU_DEP_1) | instskip(NEXT) | instid1(VALU_DEP_1)
	v_fma_f32 v79, -v79, v89, v88
	v_div_fmas_f32 v79, v79, v87, v89
	s_delay_alu instid0(VALU_DEP_1) | instskip(NEXT) | instid1(VALU_DEP_1)
	v_div_fixup_f32 v78, v79, v78, 1.0
	v_mul_f32_e64 v79, v81, -v78
.LBB70_681:
	s_or_b32 exec_lo, exec_lo, s1
.LBB70_682:
	s_delay_alu instid0(SALU_CYCLE_1) | instskip(NEXT) | instid1(SALU_CYCLE_1)
	s_or_b32 exec_lo, exec_lo, s0
	s_mov_b32 s0, exec_lo
	v_cmpx_ne_u32_e64 v86, v80
	s_xor_b32 s0, exec_lo, s0
	s_cbranch_execz .LBB70_688
; %bb.683:
	s_mov_b32 s1, exec_lo
	v_cmpx_eq_u32_e32 32, v86
	s_cbranch_execz .LBB70_687
; %bb.684:
	v_cmp_ne_u32_e32 vcc_lo, 32, v80
	s_xor_b32 s12, s16, -1
	s_delay_alu instid0(SALU_CYCLE_1) | instskip(NEXT) | instid1(SALU_CYCLE_1)
	s_and_b32 s13, s12, vcc_lo
	s_and_saveexec_b32 s12, s13
	s_cbranch_execz .LBB70_686
; %bb.685:
	v_ashrrev_i32_e32 v81, 31, v80
	s_delay_alu instid0(VALU_DEP_1)
	v_lshl_add_u64 v[86:87], v[80:81], 2, v[4:5]
	s_clause 0x1
	global_load_b32 v81, v[86:87], off
	global_load_b32 v85, v[4:5], off offset:128
	s_wait_loadcnt 0x1
	global_store_b32 v[4:5], v81, off offset:128
	s_wait_loadcnt 0x0
	global_store_b32 v[86:87], v85, off
.LBB70_686:
	s_wait_xcnt 0x0
	s_or_b32 exec_lo, exec_lo, s12
	v_dual_mov_b32 v86, v80 :: v_dual_mov_b32 v85, v80
.LBB70_687:
	s_or_b32 exec_lo, exec_lo, s1
.LBB70_688:
	s_and_not1_saveexec_b32 s0, s0
	s_cbranch_execz .LBB70_690
; %bb.689:
	v_mov_b32_e32 v86, 32
	ds_store_2addr_b64 v82, v[20:21], v[18:19] offset0:33 offset1:34
	ds_store_b64 v82, v[76:77] offset:280
.LBB70_690:
	s_or_b32 exec_lo, exec_lo, s0
	s_delay_alu instid0(SALU_CYCLE_1)
	s_mov_b32 s0, exec_lo
	s_wait_storecnt_dscnt 0x0
	s_barrier_signal -1
	s_barrier_wait -1
	v_cmpx_lt_i32_e32 32, v86
	s_cbranch_execz .LBB70_692
; %bb.691:
	ds_load_2addr_b64 v[88:91], v82 offset0:33 offset1:34
	ds_load_b64 v[80:81], v82 offset:280
	v_pk_mul_f32 v[92:93], v[78:79], v[24:25] op_sel:[1,1] op_sel_hi:[0,1]
	s_delay_alu instid0(VALU_DEP_1) | instskip(SKIP_2) | instid1(VALU_DEP_2)
	v_pk_fma_f32 v[94:95], v[78:79], v[24:25], v[92:93] op_sel_hi:[1,0,1]
	v_pk_fma_f32 v[24:25], v[78:79], v[24:25], v[92:93] op_sel_hi:[1,0,1] neg_lo:[0,0,1] neg_hi:[0,0,1]
	s_wait_dscnt 0x1
	v_pk_mul_f32 v[78:79], v[88:89], v[94:95] op_sel:[0,1]
	v_pk_mul_f32 v[92:93], v[90:91], v[94:95] op_sel:[0,1]
	s_wait_dscnt 0x0
	v_pk_mul_f32 v[96:97], v[80:81], v[94:95] op_sel:[1,1] op_sel_hi:[0,1]
	s_delay_alu instid0(VALU_DEP_3) | instskip(SKIP_2) | instid1(VALU_DEP_4)
	v_pk_fma_f32 v[98:99], v[88:89], v[24:25], v[78:79] op_sel:[0,0,1] op_sel_hi:[1,1,0] neg_lo:[0,0,1] neg_hi:[0,0,1]
	v_pk_fma_f32 v[78:79], v[88:89], v[24:25], v[78:79] op_sel:[0,0,1] op_sel_hi:[1,0,0]
	v_pk_fma_f32 v[88:89], v[90:91], v[24:25], v[92:93] op_sel:[0,0,1] op_sel_hi:[1,0,0]
	v_pk_fma_f32 v[100:101], v[80:81], v[24:25], v[96:97] op_sel_hi:[1,0,1]
	v_pk_fma_f32 v[90:91], v[90:91], v[24:25], v[92:93] op_sel:[0,0,1] op_sel_hi:[1,1,0] neg_lo:[0,0,1] neg_hi:[0,0,1]
	v_pk_fma_f32 v[80:81], v[80:81], v[24:25], v[96:97] neg_lo:[0,0,1] neg_hi:[0,0,1]
	s_delay_alu instid0(VALU_DEP_4) | instskip(NEXT) | instid1(VALU_DEP_4)
	v_dual_mov_b32 v99, v79 :: v_dual_mov_b32 v91, v89
	v_dual_mov_b32 v81, v101 :: v_dual_mov_b32 v25, v95
	s_delay_alu instid0(VALU_DEP_2) | instskip(NEXT) | instid1(VALU_DEP_3)
	v_pk_add_f32 v[20:21], v[20:21], v[98:99] neg_lo:[0,1] neg_hi:[0,1]
	v_pk_add_f32 v[18:19], v[18:19], v[90:91] neg_lo:[0,1] neg_hi:[0,1]
	s_delay_alu instid0(VALU_DEP_3)
	v_pk_add_f32 v[76:77], v[76:77], v[80:81] neg_lo:[0,1] neg_hi:[0,1]
.LBB70_692:
	s_or_b32 exec_lo, exec_lo, s0
	v_lshl_add_u32 v78, v86, 3, v82
	s_barrier_signal -1
	s_barrier_wait -1
	ds_store_b64 v78, v[20:21]
	s_wait_dscnt 0x0
	s_barrier_signal -1
	s_barrier_wait -1
	ds_load_b64 v[78:79], v82 offset:264
	v_mov_b32_e32 v80, 33
	s_cmp_lt_i32 s18, 35
	s_cbranch_scc1 .LBB70_695
; %bb.693:
	v_add3_u32 v81, v83, 0, 0x110
	v_mov_b32_e32 v80, 33
	s_mov_b32 s0, 34
.LBB70_694:                             ; =>This Inner Loop Header: Depth=1
	ds_load_b64 v[88:89], v81
	s_wait_dscnt 0x1
	v_cmp_gt_f32_e32 vcc_lo, 0, v78
	v_cndmask_b32_e64 v90, v78, -v78, vcc_lo
	v_cmp_gt_f32_e32 vcc_lo, 0, v79
	v_cndmask_b32_e64 v92, v79, -v79, vcc_lo
	s_wait_dscnt 0x0
	v_cmp_gt_f32_e32 vcc_lo, 0, v88
	v_cndmask_b32_e64 v91, v88, -v88, vcc_lo
	v_cmp_gt_f32_e32 vcc_lo, 0, v89
	v_cndmask_b32_e64 v93, v89, -v89, vcc_lo
	s_delay_alu instid0(VALU_DEP_1) | instskip(NEXT) | instid1(VALU_DEP_1)
	v_pk_add_f32 v[90:91], v[90:91], v[92:93]
	v_cmp_lt_f32_e32 vcc_lo, v90, v91
	v_dual_cndmask_b32 v78, v78, v88 :: v_dual_add_nc_u32 v81, 8, v81
	v_cndmask_b32_e32 v79, v79, v89, vcc_lo
	v_cndmask_b32_e64 v80, v80, s0, vcc_lo
	s_add_co_i32 s0, s0, 1
	s_delay_alu instid0(SALU_CYCLE_1)
	s_cmp_lg_u32 s18, s0
	s_cbranch_scc1 .LBB70_694
.LBB70_695:
	s_wait_dscnt 0x0
	v_cmp_eq_f32_e32 vcc_lo, 0, v78
	v_cmp_eq_f32_e64 s0, 0, v79
	s_and_b32 s0, vcc_lo, s0
	s_delay_alu instid0(SALU_CYCLE_1) | instskip(NEXT) | instid1(SALU_CYCLE_1)
	s_and_saveexec_b32 s1, s0
	s_xor_b32 s0, exec_lo, s1
; %bb.696:
	v_cmp_ne_u32_e32 vcc_lo, 0, v84
	v_cndmask_b32_e32 v84, 34, v84, vcc_lo
; %bb.697:
	s_and_not1_saveexec_b32 s0, s0
	s_cbranch_execz .LBB70_703
; %bb.698:
	v_cmp_ngt_f32_e64 s1, |v78|, |v79|
	s_and_saveexec_b32 s12, s1
	s_delay_alu instid0(SALU_CYCLE_1)
	s_xor_b32 s1, exec_lo, s12
	s_cbranch_execz .LBB70_700
; %bb.699:
	v_div_scale_f32 v81, null, v79, v79, v78
	v_div_scale_f32 v89, vcc_lo, v78, v79, v78
	s_delay_alu instid0(VALU_DEP_2) | instskip(SKIP_1) | instid1(TRANS32_DEP_1)
	v_rcp_f32_e32 v87, v81
	v_nop
	v_fma_f32 v88, -v81, v87, 1.0
	s_delay_alu instid0(VALU_DEP_1) | instskip(NEXT) | instid1(VALU_DEP_1)
	v_fmac_f32_e32 v87, v88, v87
	v_mul_f32_e32 v88, v89, v87
	s_delay_alu instid0(VALU_DEP_1) | instskip(NEXT) | instid1(VALU_DEP_1)
	v_fma_f32 v90, -v81, v88, v89
	v_fmac_f32_e32 v88, v90, v87
	s_delay_alu instid0(VALU_DEP_1) | instskip(NEXT) | instid1(VALU_DEP_1)
	v_fma_f32 v81, -v81, v88, v89
	v_div_fmas_f32 v81, v81, v87, v88
	s_delay_alu instid0(VALU_DEP_1) | instskip(NEXT) | instid1(VALU_DEP_1)
	v_div_fixup_f32 v81, v81, v79, v78
	v_fmac_f32_e32 v79, v78, v81
	s_delay_alu instid0(VALU_DEP_1) | instskip(SKIP_1) | instid1(VALU_DEP_2)
	v_div_scale_f32 v78, null, v79, v79, 1.0
	v_div_scale_f32 v89, vcc_lo, 1.0, v79, 1.0
	v_rcp_f32_e32 v87, v78
	v_nop
	s_delay_alu instid0(TRANS32_DEP_1) | instskip(NEXT) | instid1(VALU_DEP_1)
	v_fma_f32 v88, -v78, v87, 1.0
	v_fmac_f32_e32 v87, v88, v87
	s_delay_alu instid0(VALU_DEP_1) | instskip(NEXT) | instid1(VALU_DEP_1)
	v_mul_f32_e32 v88, v89, v87
	v_fma_f32 v90, -v78, v88, v89
	s_delay_alu instid0(VALU_DEP_1) | instskip(NEXT) | instid1(VALU_DEP_1)
	v_fmac_f32_e32 v88, v90, v87
	v_fma_f32 v78, -v78, v88, v89
	s_delay_alu instid0(VALU_DEP_1) | instskip(NEXT) | instid1(VALU_DEP_1)
	v_div_fmas_f32 v78, v78, v87, v88
	v_div_fixup_f32 v79, v78, v79, 1.0
	s_delay_alu instid0(VALU_DEP_1)
	v_mul_f32_e32 v78, v81, v79
	v_xor_b32_e32 v79, 0x80000000, v79
.LBB70_700:
	s_and_not1_saveexec_b32 s1, s1
	s_cbranch_execz .LBB70_702
; %bb.701:
	s_delay_alu instid0(VALU_DEP_1) | instskip(SKIP_1) | instid1(VALU_DEP_2)
	v_div_scale_f32 v81, null, v78, v78, v79
	v_div_scale_f32 v89, vcc_lo, v79, v78, v79
	v_rcp_f32_e32 v87, v81
	v_nop
	s_delay_alu instid0(TRANS32_DEP_1) | instskip(NEXT) | instid1(VALU_DEP_1)
	v_fma_f32 v88, -v81, v87, 1.0
	v_fmac_f32_e32 v87, v88, v87
	s_delay_alu instid0(VALU_DEP_1) | instskip(NEXT) | instid1(VALU_DEP_1)
	v_mul_f32_e32 v88, v89, v87
	v_fma_f32 v90, -v81, v88, v89
	s_delay_alu instid0(VALU_DEP_1) | instskip(NEXT) | instid1(VALU_DEP_1)
	v_fmac_f32_e32 v88, v90, v87
	v_fma_f32 v81, -v81, v88, v89
	s_delay_alu instid0(VALU_DEP_1) | instskip(NEXT) | instid1(VALU_DEP_1)
	v_div_fmas_f32 v81, v81, v87, v88
	v_div_fixup_f32 v81, v81, v78, v79
	s_delay_alu instid0(VALU_DEP_1) | instskip(NEXT) | instid1(VALU_DEP_1)
	v_fmac_f32_e32 v78, v79, v81
	v_div_scale_f32 v79, null, v78, v78, 1.0
	s_delay_alu instid0(VALU_DEP_1) | instskip(SKIP_1) | instid1(TRANS32_DEP_1)
	v_rcp_f32_e32 v87, v79
	v_nop
	v_fma_f32 v88, -v79, v87, 1.0
	s_delay_alu instid0(VALU_DEP_1) | instskip(SKIP_1) | instid1(VALU_DEP_1)
	v_fmac_f32_e32 v87, v88, v87
	v_div_scale_f32 v88, vcc_lo, 1.0, v78, 1.0
	v_mul_f32_e32 v89, v88, v87
	s_delay_alu instid0(VALU_DEP_1) | instskip(NEXT) | instid1(VALU_DEP_1)
	v_fma_f32 v90, -v79, v89, v88
	v_fmac_f32_e32 v89, v90, v87
	s_delay_alu instid0(VALU_DEP_1) | instskip(NEXT) | instid1(VALU_DEP_1)
	v_fma_f32 v79, -v79, v89, v88
	v_div_fmas_f32 v79, v79, v87, v89
	s_delay_alu instid0(VALU_DEP_1) | instskip(NEXT) | instid1(VALU_DEP_1)
	v_div_fixup_f32 v78, v79, v78, 1.0
	v_mul_f32_e64 v79, v81, -v78
.LBB70_702:
	s_or_b32 exec_lo, exec_lo, s1
.LBB70_703:
	s_delay_alu instid0(SALU_CYCLE_1) | instskip(NEXT) | instid1(SALU_CYCLE_1)
	s_or_b32 exec_lo, exec_lo, s0
	s_mov_b32 s0, exec_lo
	v_cmpx_ne_u32_e64 v86, v80
	s_xor_b32 s0, exec_lo, s0
	s_cbranch_execz .LBB70_709
; %bb.704:
	s_mov_b32 s1, exec_lo
	v_cmpx_eq_u32_e32 33, v86
	s_cbranch_execz .LBB70_708
; %bb.705:
	v_cmp_ne_u32_e32 vcc_lo, 33, v80
	s_xor_b32 s12, s16, -1
	s_delay_alu instid0(SALU_CYCLE_1) | instskip(NEXT) | instid1(SALU_CYCLE_1)
	s_and_b32 s13, s12, vcc_lo
	s_and_saveexec_b32 s12, s13
	s_cbranch_execz .LBB70_707
; %bb.706:
	v_ashrrev_i32_e32 v81, 31, v80
	s_delay_alu instid0(VALU_DEP_1)
	v_lshl_add_u64 v[86:87], v[80:81], 2, v[4:5]
	s_clause 0x1
	global_load_b32 v81, v[86:87], off
	global_load_b32 v85, v[4:5], off offset:132
	s_wait_loadcnt 0x1
	global_store_b32 v[4:5], v81, off offset:132
	s_wait_loadcnt 0x0
	global_store_b32 v[86:87], v85, off
.LBB70_707:
	s_wait_xcnt 0x0
	s_or_b32 exec_lo, exec_lo, s12
	v_dual_mov_b32 v86, v80 :: v_dual_mov_b32 v85, v80
.LBB70_708:
	s_or_b32 exec_lo, exec_lo, s1
.LBB70_709:
	s_and_not1_saveexec_b32 s0, s0
; %bb.710:
	v_dual_mov_b32 v80, v18 :: v_dual_mov_b32 v81, v19
	v_mov_b32_e32 v86, 33
	ds_store_2addr_b64 v82, v[80:81], v[76:77] offset0:34 offset1:35
; %bb.711:
	s_or_b32 exec_lo, exec_lo, s0
	s_delay_alu instid0(SALU_CYCLE_1)
	s_mov_b32 s0, exec_lo
	s_wait_storecnt_dscnt 0x0
	s_barrier_signal -1
	s_barrier_wait -1
	v_cmpx_lt_i32_e32 33, v86
	s_cbranch_execz .LBB70_713
; %bb.712:
	ds_load_2addr_b64 v[88:91], v82 offset0:34 offset1:35
	v_pk_mul_f32 v[80:81], v[78:79], v[20:21] op_sel:[1,1] op_sel_hi:[0,1]
	s_delay_alu instid0(VALU_DEP_1) | instskip(SKIP_3) | instid1(VALU_DEP_3)
	v_pk_fma_f32 v[92:93], v[78:79], v[20:21], v[80:81] op_sel_hi:[1,0,1]
	v_pk_fma_f32 v[20:21], v[78:79], v[20:21], v[80:81] op_sel_hi:[1,0,1] neg_lo:[0,0,1] neg_hi:[0,0,1]
	s_wait_dscnt 0x0
	v_dual_mov_b32 v94, v91 :: v_dual_mov_b32 v95, v90
	v_pk_mul_f32 v[78:79], v[88:89], v[92:93] op_sel:[0,1]
	s_delay_alu instid0(VALU_DEP_2) | instskip(NEXT) | instid1(VALU_DEP_2)
	v_pk_mul_f32 v[80:81], v[94:95], v[92:93] op_sel:[0,1]
	v_pk_fma_f32 v[94:95], v[88:89], v[20:21], v[78:79] op_sel:[0,0,1] op_sel_hi:[1,0,0]
	v_pk_fma_f32 v[78:79], v[88:89], v[20:21], v[78:79] op_sel:[0,0,1] op_sel_hi:[1,1,0] neg_lo:[0,0,1] neg_hi:[0,0,1]
	s_delay_alu instid0(VALU_DEP_3) | instskip(SKIP_1) | instid1(VALU_DEP_4)
	v_pk_fma_f32 v[96:97], v[90:91], v[20:21], v[80:81] op_sel_hi:[1,0,1]
	v_pk_fma_f32 v[80:81], v[90:91], v[20:21], v[80:81] neg_lo:[0,0,1] neg_hi:[0,0,1]
	v_dual_mov_b32 v79, v95 :: v_dual_mov_b32 v21, v93
	s_delay_alu instid0(VALU_DEP_3) | instskip(NEXT) | instid1(VALU_DEP_2)
	v_mov_b32_e32 v81, v97
	v_pk_add_f32 v[18:19], v[18:19], v[78:79] neg_lo:[0,1] neg_hi:[0,1]
	s_delay_alu instid0(VALU_DEP_2)
	v_pk_add_f32 v[76:77], v[76:77], v[80:81] neg_lo:[0,1] neg_hi:[0,1]
.LBB70_713:
	s_or_b32 exec_lo, exec_lo, s0
	v_lshl_add_u32 v78, v86, 3, v82
	s_barrier_signal -1
	s_barrier_wait -1
	ds_store_b64 v78, v[18:19]
	s_wait_dscnt 0x0
	s_barrier_signal -1
	s_barrier_wait -1
	ds_load_b64 v[78:79], v82 offset:272
	v_mov_b32_e32 v80, 34
	s_cmp_lt_i32 s18, 36
	s_cbranch_scc1 .LBB70_716
; %bb.714:
	v_add3_u32 v81, v83, 0, 0x118
	v_mov_b32_e32 v80, 34
	s_mov_b32 s0, 35
.LBB70_715:                             ; =>This Inner Loop Header: Depth=1
	ds_load_b64 v[88:89], v81
	s_wait_dscnt 0x1
	v_cmp_gt_f32_e32 vcc_lo, 0, v78
	v_cndmask_b32_e64 v90, v78, -v78, vcc_lo
	v_cmp_gt_f32_e32 vcc_lo, 0, v79
	v_cndmask_b32_e64 v92, v79, -v79, vcc_lo
	s_wait_dscnt 0x0
	v_cmp_gt_f32_e32 vcc_lo, 0, v88
	v_cndmask_b32_e64 v91, v88, -v88, vcc_lo
	v_cmp_gt_f32_e32 vcc_lo, 0, v89
	v_cndmask_b32_e64 v93, v89, -v89, vcc_lo
	s_delay_alu instid0(VALU_DEP_1) | instskip(NEXT) | instid1(VALU_DEP_1)
	v_pk_add_f32 v[90:91], v[90:91], v[92:93]
	v_cmp_lt_f32_e32 vcc_lo, v90, v91
	v_dual_cndmask_b32 v78, v78, v88 :: v_dual_add_nc_u32 v81, 8, v81
	v_cndmask_b32_e32 v79, v79, v89, vcc_lo
	v_cndmask_b32_e64 v80, v80, s0, vcc_lo
	s_add_co_i32 s0, s0, 1
	s_delay_alu instid0(SALU_CYCLE_1)
	s_cmp_lg_u32 s18, s0
	s_cbranch_scc1 .LBB70_715
.LBB70_716:
	s_wait_dscnt 0x0
	v_cmp_eq_f32_e32 vcc_lo, 0, v78
	v_cmp_eq_f32_e64 s0, 0, v79
	s_and_b32 s0, vcc_lo, s0
	s_delay_alu instid0(SALU_CYCLE_1) | instskip(NEXT) | instid1(SALU_CYCLE_1)
	s_and_saveexec_b32 s1, s0
	s_xor_b32 s0, exec_lo, s1
; %bb.717:
	v_cmp_ne_u32_e32 vcc_lo, 0, v84
	v_cndmask_b32_e32 v84, 35, v84, vcc_lo
; %bb.718:
	s_and_not1_saveexec_b32 s0, s0
	s_cbranch_execz .LBB70_724
; %bb.719:
	v_cmp_ngt_f32_e64 s1, |v78|, |v79|
	s_and_saveexec_b32 s12, s1
	s_delay_alu instid0(SALU_CYCLE_1)
	s_xor_b32 s1, exec_lo, s12
	s_cbranch_execz .LBB70_721
; %bb.720:
	v_div_scale_f32 v81, null, v79, v79, v78
	v_div_scale_f32 v89, vcc_lo, v78, v79, v78
	s_delay_alu instid0(VALU_DEP_2) | instskip(SKIP_1) | instid1(TRANS32_DEP_1)
	v_rcp_f32_e32 v87, v81
	v_nop
	v_fma_f32 v88, -v81, v87, 1.0
	s_delay_alu instid0(VALU_DEP_1) | instskip(NEXT) | instid1(VALU_DEP_1)
	v_fmac_f32_e32 v87, v88, v87
	v_mul_f32_e32 v88, v89, v87
	s_delay_alu instid0(VALU_DEP_1) | instskip(NEXT) | instid1(VALU_DEP_1)
	v_fma_f32 v90, -v81, v88, v89
	v_fmac_f32_e32 v88, v90, v87
	s_delay_alu instid0(VALU_DEP_1) | instskip(NEXT) | instid1(VALU_DEP_1)
	v_fma_f32 v81, -v81, v88, v89
	v_div_fmas_f32 v81, v81, v87, v88
	s_delay_alu instid0(VALU_DEP_1) | instskip(NEXT) | instid1(VALU_DEP_1)
	v_div_fixup_f32 v81, v81, v79, v78
	v_fmac_f32_e32 v79, v78, v81
	s_delay_alu instid0(VALU_DEP_1) | instskip(SKIP_1) | instid1(VALU_DEP_2)
	v_div_scale_f32 v78, null, v79, v79, 1.0
	v_div_scale_f32 v89, vcc_lo, 1.0, v79, 1.0
	v_rcp_f32_e32 v87, v78
	v_nop
	s_delay_alu instid0(TRANS32_DEP_1) | instskip(NEXT) | instid1(VALU_DEP_1)
	v_fma_f32 v88, -v78, v87, 1.0
	v_fmac_f32_e32 v87, v88, v87
	s_delay_alu instid0(VALU_DEP_1) | instskip(NEXT) | instid1(VALU_DEP_1)
	v_mul_f32_e32 v88, v89, v87
	v_fma_f32 v90, -v78, v88, v89
	s_delay_alu instid0(VALU_DEP_1) | instskip(NEXT) | instid1(VALU_DEP_1)
	v_fmac_f32_e32 v88, v90, v87
	v_fma_f32 v78, -v78, v88, v89
	s_delay_alu instid0(VALU_DEP_1) | instskip(NEXT) | instid1(VALU_DEP_1)
	v_div_fmas_f32 v78, v78, v87, v88
	v_div_fixup_f32 v79, v78, v79, 1.0
	s_delay_alu instid0(VALU_DEP_1)
	v_mul_f32_e32 v78, v81, v79
	v_xor_b32_e32 v79, 0x80000000, v79
.LBB70_721:
	s_and_not1_saveexec_b32 s1, s1
	s_cbranch_execz .LBB70_723
; %bb.722:
	s_delay_alu instid0(VALU_DEP_1) | instskip(SKIP_1) | instid1(VALU_DEP_2)
	v_div_scale_f32 v81, null, v78, v78, v79
	v_div_scale_f32 v89, vcc_lo, v79, v78, v79
	v_rcp_f32_e32 v87, v81
	v_nop
	s_delay_alu instid0(TRANS32_DEP_1) | instskip(NEXT) | instid1(VALU_DEP_1)
	v_fma_f32 v88, -v81, v87, 1.0
	v_fmac_f32_e32 v87, v88, v87
	s_delay_alu instid0(VALU_DEP_1) | instskip(NEXT) | instid1(VALU_DEP_1)
	v_mul_f32_e32 v88, v89, v87
	v_fma_f32 v90, -v81, v88, v89
	s_delay_alu instid0(VALU_DEP_1) | instskip(NEXT) | instid1(VALU_DEP_1)
	v_fmac_f32_e32 v88, v90, v87
	v_fma_f32 v81, -v81, v88, v89
	s_delay_alu instid0(VALU_DEP_1) | instskip(NEXT) | instid1(VALU_DEP_1)
	v_div_fmas_f32 v81, v81, v87, v88
	v_div_fixup_f32 v81, v81, v78, v79
	s_delay_alu instid0(VALU_DEP_1) | instskip(NEXT) | instid1(VALU_DEP_1)
	v_fmac_f32_e32 v78, v79, v81
	v_div_scale_f32 v79, null, v78, v78, 1.0
	s_delay_alu instid0(VALU_DEP_1) | instskip(SKIP_1) | instid1(TRANS32_DEP_1)
	v_rcp_f32_e32 v87, v79
	v_nop
	v_fma_f32 v88, -v79, v87, 1.0
	s_delay_alu instid0(VALU_DEP_1) | instskip(SKIP_1) | instid1(VALU_DEP_1)
	v_fmac_f32_e32 v87, v88, v87
	v_div_scale_f32 v88, vcc_lo, 1.0, v78, 1.0
	v_mul_f32_e32 v89, v88, v87
	s_delay_alu instid0(VALU_DEP_1) | instskip(NEXT) | instid1(VALU_DEP_1)
	v_fma_f32 v90, -v79, v89, v88
	v_fmac_f32_e32 v89, v90, v87
	s_delay_alu instid0(VALU_DEP_1) | instskip(NEXT) | instid1(VALU_DEP_1)
	v_fma_f32 v79, -v79, v89, v88
	v_div_fmas_f32 v79, v79, v87, v89
	s_delay_alu instid0(VALU_DEP_1) | instskip(NEXT) | instid1(VALU_DEP_1)
	v_div_fixup_f32 v78, v79, v78, 1.0
	v_mul_f32_e64 v79, v81, -v78
.LBB70_723:
	s_or_b32 exec_lo, exec_lo, s1
.LBB70_724:
	s_delay_alu instid0(SALU_CYCLE_1) | instskip(NEXT) | instid1(SALU_CYCLE_1)
	s_or_b32 exec_lo, exec_lo, s0
	s_mov_b32 s0, exec_lo
	v_cmpx_ne_u32_e64 v86, v80
	s_xor_b32 s0, exec_lo, s0
	s_cbranch_execz .LBB70_730
; %bb.725:
	s_mov_b32 s1, exec_lo
	v_cmpx_eq_u32_e32 34, v86
	s_cbranch_execz .LBB70_729
; %bb.726:
	v_cmp_ne_u32_e32 vcc_lo, 34, v80
	s_xor_b32 s12, s16, -1
	s_delay_alu instid0(SALU_CYCLE_1) | instskip(NEXT) | instid1(SALU_CYCLE_1)
	s_and_b32 s13, s12, vcc_lo
	s_and_saveexec_b32 s12, s13
	s_cbranch_execz .LBB70_728
; %bb.727:
	v_ashrrev_i32_e32 v81, 31, v80
	s_delay_alu instid0(VALU_DEP_1)
	v_lshl_add_u64 v[86:87], v[80:81], 2, v[4:5]
	s_clause 0x1
	global_load_b32 v81, v[86:87], off
	global_load_b32 v85, v[4:5], off offset:136
	s_wait_loadcnt 0x1
	global_store_b32 v[4:5], v81, off offset:136
	s_wait_loadcnt 0x0
	global_store_b32 v[86:87], v85, off
.LBB70_728:
	s_wait_xcnt 0x0
	s_or_b32 exec_lo, exec_lo, s12
	v_dual_mov_b32 v86, v80 :: v_dual_mov_b32 v85, v80
.LBB70_729:
	s_or_b32 exec_lo, exec_lo, s1
.LBB70_730:
	s_and_not1_saveexec_b32 s0, s0
; %bb.731:
	v_mov_b32_e32 v86, 34
	ds_store_b64 v82, v[76:77] offset:280
; %bb.732:
	s_or_b32 exec_lo, exec_lo, s0
	s_delay_alu instid0(SALU_CYCLE_1)
	s_mov_b32 s0, exec_lo
	s_wait_storecnt_dscnt 0x0
	s_barrier_signal -1
	s_barrier_wait -1
	v_cmpx_lt_i32_e32 34, v86
	s_cbranch_execz .LBB70_734
; %bb.733:
	ds_load_b64 v[80:81], v82 offset:280
	v_pk_mul_f32 v[88:89], v[78:79], v[18:19] op_sel:[1,1] op_sel_hi:[0,1]
	s_delay_alu instid0(VALU_DEP_1) | instskip(SKIP_2) | instid1(VALU_DEP_2)
	v_pk_fma_f32 v[90:91], v[78:79], v[18:19], v[88:89] op_sel_hi:[1,0,1]
	v_pk_fma_f32 v[18:19], v[78:79], v[18:19], v[88:89] op_sel_hi:[1,0,1] neg_lo:[0,0,1] neg_hi:[0,0,1]
	s_wait_dscnt 0x0
	v_pk_mul_f32 v[78:79], v[80:81], v[90:91] op_sel:[1,1] op_sel_hi:[0,1]
	s_delay_alu instid0(VALU_DEP_1) | instskip(SKIP_1) | instid1(VALU_DEP_2)
	v_pk_fma_f32 v[88:89], v[80:81], v[18:19], v[78:79] op_sel_hi:[1,0,1]
	v_pk_fma_f32 v[78:79], v[80:81], v[18:19], v[78:79] neg_lo:[0,0,1] neg_hi:[0,0,1]
	v_dual_mov_b32 v19, v91 :: v_dual_mov_b32 v79, v89
	s_delay_alu instid0(VALU_DEP_1)
	v_pk_add_f32 v[76:77], v[76:77], v[78:79] neg_lo:[0,1] neg_hi:[0,1]
.LBB70_734:
	s_or_b32 exec_lo, exec_lo, s0
	v_lshl_add_u32 v78, v86, 3, v82
	s_barrier_signal -1
	s_barrier_wait -1
	ds_store_b64 v78, v[76:77]
	s_wait_dscnt 0x0
	s_barrier_signal -1
	s_barrier_wait -1
	ds_load_b64 v[78:79], v82 offset:280
	v_mov_b32_e32 v80, 35
	s_cmp_lt_i32 s18, 37
	s_cbranch_scc1 .LBB70_737
; %bb.735:
	v_add3_u32 v81, v83, 0, 0x120
	v_mov_b32_e32 v80, 35
	s_mov_b32 s0, 36
.LBB70_736:                             ; =>This Inner Loop Header: Depth=1
	ds_load_b64 v[82:83], v81
	s_wait_dscnt 0x1
	v_cmp_gt_f32_e32 vcc_lo, 0, v78
	v_cndmask_b32_e64 v88, v78, -v78, vcc_lo
	v_cmp_gt_f32_e32 vcc_lo, 0, v79
	v_cndmask_b32_e64 v90, v79, -v79, vcc_lo
	s_wait_dscnt 0x0
	v_cmp_gt_f32_e32 vcc_lo, 0, v82
	v_cndmask_b32_e64 v89, v82, -v82, vcc_lo
	v_cmp_gt_f32_e32 vcc_lo, 0, v83
	v_cndmask_b32_e64 v91, v83, -v83, vcc_lo
	s_delay_alu instid0(VALU_DEP_1) | instskip(NEXT) | instid1(VALU_DEP_1)
	v_pk_add_f32 v[88:89], v[88:89], v[90:91]
	v_cmp_lt_f32_e32 vcc_lo, v88, v89
	v_dual_add_nc_u32 v81, 8, v81 :: v_dual_cndmask_b32 v79, v79, v83, vcc_lo
	v_cndmask_b32_e32 v78, v78, v82, vcc_lo
	v_cndmask_b32_e64 v80, v80, s0, vcc_lo
	s_add_co_i32 s0, s0, 1
	s_delay_alu instid0(SALU_CYCLE_1)
	s_cmp_lg_u32 s18, s0
	s_cbranch_scc1 .LBB70_736
.LBB70_737:
	s_wait_dscnt 0x0
	v_cmp_eq_f32_e32 vcc_lo, 0, v78
	v_cmp_eq_f32_e64 s0, 0, v79
	s_and_b32 s0, vcc_lo, s0
	s_delay_alu instid0(SALU_CYCLE_1) | instskip(NEXT) | instid1(SALU_CYCLE_1)
	s_and_saveexec_b32 s1, s0
	s_xor_b32 s0, exec_lo, s1
; %bb.738:
	v_cmp_ne_u32_e32 vcc_lo, 0, v84
	v_cndmask_b32_e32 v84, 36, v84, vcc_lo
; %bb.739:
	s_and_not1_saveexec_b32 s0, s0
	s_cbranch_execz .LBB70_745
; %bb.740:
	v_cmp_ngt_f32_e64 s1, |v78|, |v79|
	s_and_saveexec_b32 s12, s1
	s_delay_alu instid0(SALU_CYCLE_1)
	s_xor_b32 s1, exec_lo, s12
	s_cbranch_execz .LBB70_742
; %bb.741:
	v_div_scale_f32 v81, null, v79, v79, v78
	v_div_scale_f32 v87, vcc_lo, v78, v79, v78
	s_delay_alu instid0(VALU_DEP_2) | instskip(SKIP_1) | instid1(TRANS32_DEP_1)
	v_rcp_f32_e32 v82, v81
	v_nop
	v_fma_f32 v83, -v81, v82, 1.0
	s_delay_alu instid0(VALU_DEP_1) | instskip(NEXT) | instid1(VALU_DEP_1)
	v_fmac_f32_e32 v82, v83, v82
	v_mul_f32_e32 v83, v87, v82
	s_delay_alu instid0(VALU_DEP_1) | instskip(NEXT) | instid1(VALU_DEP_1)
	v_fma_f32 v88, -v81, v83, v87
	v_fmac_f32_e32 v83, v88, v82
	s_delay_alu instid0(VALU_DEP_1) | instskip(NEXT) | instid1(VALU_DEP_1)
	v_fma_f32 v81, -v81, v83, v87
	v_div_fmas_f32 v81, v81, v82, v83
	s_delay_alu instid0(VALU_DEP_1) | instskip(NEXT) | instid1(VALU_DEP_1)
	v_div_fixup_f32 v81, v81, v79, v78
	v_fmac_f32_e32 v79, v78, v81
	s_delay_alu instid0(VALU_DEP_1) | instskip(SKIP_1) | instid1(VALU_DEP_2)
	v_div_scale_f32 v78, null, v79, v79, 1.0
	v_div_scale_f32 v87, vcc_lo, 1.0, v79, 1.0
	v_rcp_f32_e32 v82, v78
	v_nop
	s_delay_alu instid0(TRANS32_DEP_1) | instskip(NEXT) | instid1(VALU_DEP_1)
	v_fma_f32 v83, -v78, v82, 1.0
	v_fmac_f32_e32 v82, v83, v82
	s_delay_alu instid0(VALU_DEP_1) | instskip(NEXT) | instid1(VALU_DEP_1)
	v_mul_f32_e32 v83, v87, v82
	v_fma_f32 v88, -v78, v83, v87
	s_delay_alu instid0(VALU_DEP_1) | instskip(NEXT) | instid1(VALU_DEP_1)
	v_fmac_f32_e32 v83, v88, v82
	v_fma_f32 v78, -v78, v83, v87
	s_delay_alu instid0(VALU_DEP_1) | instskip(NEXT) | instid1(VALU_DEP_1)
	v_div_fmas_f32 v78, v78, v82, v83
	v_div_fixup_f32 v79, v78, v79, 1.0
	s_delay_alu instid0(VALU_DEP_1)
	v_mul_f32_e32 v78, v81, v79
	v_xor_b32_e32 v79, 0x80000000, v79
.LBB70_742:
	s_and_not1_saveexec_b32 s1, s1
	s_cbranch_execz .LBB70_744
; %bb.743:
	s_delay_alu instid0(VALU_DEP_1) | instskip(SKIP_1) | instid1(VALU_DEP_2)
	v_div_scale_f32 v81, null, v78, v78, v79
	v_div_scale_f32 v87, vcc_lo, v79, v78, v79
	v_rcp_f32_e32 v82, v81
	v_nop
	s_delay_alu instid0(TRANS32_DEP_1) | instskip(NEXT) | instid1(VALU_DEP_1)
	v_fma_f32 v83, -v81, v82, 1.0
	v_fmac_f32_e32 v82, v83, v82
	s_delay_alu instid0(VALU_DEP_1) | instskip(NEXT) | instid1(VALU_DEP_1)
	v_mul_f32_e32 v83, v87, v82
	v_fma_f32 v88, -v81, v83, v87
	s_delay_alu instid0(VALU_DEP_1) | instskip(NEXT) | instid1(VALU_DEP_1)
	v_fmac_f32_e32 v83, v88, v82
	v_fma_f32 v81, -v81, v83, v87
	s_delay_alu instid0(VALU_DEP_1) | instskip(NEXT) | instid1(VALU_DEP_1)
	v_div_fmas_f32 v81, v81, v82, v83
	v_div_fixup_f32 v81, v81, v78, v79
	s_delay_alu instid0(VALU_DEP_1) | instskip(NEXT) | instid1(VALU_DEP_1)
	v_fmac_f32_e32 v78, v79, v81
	v_div_scale_f32 v79, null, v78, v78, 1.0
	s_delay_alu instid0(VALU_DEP_1) | instskip(SKIP_1) | instid1(TRANS32_DEP_1)
	v_rcp_f32_e32 v82, v79
	v_nop
	v_fma_f32 v83, -v79, v82, 1.0
	s_delay_alu instid0(VALU_DEP_1) | instskip(SKIP_1) | instid1(VALU_DEP_1)
	v_fmac_f32_e32 v82, v83, v82
	v_div_scale_f32 v83, vcc_lo, 1.0, v78, 1.0
	v_mul_f32_e32 v87, v83, v82
	s_delay_alu instid0(VALU_DEP_1) | instskip(NEXT) | instid1(VALU_DEP_1)
	v_fma_f32 v88, -v79, v87, v83
	v_fmac_f32_e32 v87, v88, v82
	s_delay_alu instid0(VALU_DEP_1) | instskip(NEXT) | instid1(VALU_DEP_1)
	v_fma_f32 v79, -v79, v87, v83
	v_div_fmas_f32 v79, v79, v82, v87
	s_delay_alu instid0(VALU_DEP_1) | instskip(NEXT) | instid1(VALU_DEP_1)
	v_div_fixup_f32 v78, v79, v78, 1.0
	v_mul_f32_e64 v79, v81, -v78
.LBB70_744:
	s_or_b32 exec_lo, exec_lo, s1
.LBB70_745:
	s_delay_alu instid0(SALU_CYCLE_1)
	s_or_b32 exec_lo, exec_lo, s0
	v_mov_b32_e32 v82, 35
	s_mov_b32 s0, exec_lo
	v_cmpx_ne_u32_e64 v86, v80
	s_cbranch_execz .LBB70_751
; %bb.746:
	s_mov_b32 s1, exec_lo
	v_cmpx_eq_u32_e32 35, v86
	s_cbranch_execz .LBB70_750
; %bb.747:
	v_cmp_ne_u32_e32 vcc_lo, 35, v80
	s_xor_b32 s12, s16, -1
	s_delay_alu instid0(SALU_CYCLE_1) | instskip(NEXT) | instid1(SALU_CYCLE_1)
	s_and_b32 s13, s12, vcc_lo
	s_and_saveexec_b32 s12, s13
	s_cbranch_execz .LBB70_749
; %bb.748:
	v_ashrrev_i32_e32 v81, 31, v80
	s_delay_alu instid0(VALU_DEP_1)
	v_lshl_add_u64 v[82:83], v[80:81], 2, v[4:5]
	s_clause 0x1
	global_load_b32 v81, v[82:83], off
	global_load_b32 v85, v[4:5], off offset:140
	s_wait_loadcnt 0x1
	global_store_b32 v[4:5], v81, off offset:140
	s_wait_loadcnt 0x0
	global_store_b32 v[82:83], v85, off
.LBB70_749:
	s_wait_xcnt 0x0
	s_or_b32 exec_lo, exec_lo, s12
	v_dual_mov_b32 v86, v80 :: v_dual_mov_b32 v85, v80
.LBB70_750:
	s_or_b32 exec_lo, exec_lo, s1
	s_delay_alu instid0(VALU_DEP_1)
	v_mov_b32_e32 v82, v86
.LBB70_751:
	s_or_b32 exec_lo, exec_lo, s0
	s_delay_alu instid0(VALU_DEP_1)
	v_ashrrev_i32_e32 v83, 31, v82
	s_mov_b32 s0, exec_lo
	s_wait_storecnt 0x0
	s_barrier_signal -1
	s_barrier_wait -1
	s_barrier_signal -1
	s_barrier_wait -1
	v_cmpx_gt_i32_e32 36, v82
	s_cbranch_execz .LBB70_753
; %bb.752:
	v_mul_u64_e32 v[4:5], s[10:11], v[2:3]
	v_add3_u32 v80, v85, s17, 1
	s_delay_alu instid0(VALU_DEP_2) | instskip(NEXT) | instid1(VALU_DEP_1)
	v_lshl_add_u64 v[4:5], v[4:5], 2, s[6:7]
	v_lshl_add_u64 v[4:5], s[8:9], 2, v[4:5]
	s_delay_alu instid0(VALU_DEP_1)
	v_lshl_add_u64 v[4:5], v[82:83], 2, v[4:5]
	global_store_b32 v[4:5], v80, off
.LBB70_753:
	s_wait_xcnt 0x0
	s_or_b32 exec_lo, exec_lo, s0
	s_delay_alu instid0(SALU_CYCLE_1)
	s_mov_b32 s1, exec_lo
	v_cmpx_eq_u32_e32 0, v82
	s_cbranch_execz .LBB70_756
; %bb.754:
	s_wait_kmcnt 0x0
	v_lshl_add_u64 v[2:3], v[2:3], 2, s[4:5]
	v_cmp_ne_u32_e64 s0, 0, v84
	global_load_b32 v4, v[2:3], off
	s_wait_loadcnt 0x0
	v_cmp_eq_u32_e32 vcc_lo, 0, v4
	s_and_b32 s0, vcc_lo, s0
	s_wait_xcnt 0x0
	s_and_b32 exec_lo, exec_lo, s0
	s_cbranch_execz .LBB70_756
; %bb.755:
	v_add_nc_u32_e32 v4, s17, v84
	global_store_b32 v[2:3], v4, off
.LBB70_756:
	s_wait_xcnt 0x0
	s_or_b32 exec_lo, exec_lo, s1
	v_add3_u32 v2, s2, s2, v82
	v_pk_mul_f32 v[96:97], v[78:79], v[76:77] op_sel:[1,1] op_sel_hi:[0,1]
	v_cmp_lt_i32_e32 vcc_lo, 35, v82
	s_delay_alu instid0(VALU_DEP_3) | instskip(NEXT) | instid1(VALU_DEP_3)
	v_add_nc_u32_e32 v4, s2, v2
	v_pk_fma_f32 v[100:101], v[78:79], v[76:77], v[96:97] neg_lo:[0,0,1] neg_hi:[0,0,1]
	v_pk_fma_f32 v[78:79], v[78:79], v[76:77], v[96:97] op_sel_hi:[1,0,1]
	v_lshl_add_u64 v[96:97], v[82:83], 3, v[0:1]
	s_delay_alu instid0(VALU_DEP_4) | instskip(NEXT) | instid1(VALU_DEP_3)
	v_dual_ashrrev_i32 v3, 31, v2 :: v_dual_add_nc_u32 v80, s2, v4
	v_dual_cndmask_b32 v76, v76, v100 :: v_dual_cndmask_b32 v77, v77, v79
	s_delay_alu instid0(VALU_DEP_3) | instskip(NEXT) | instid1(VALU_DEP_3)
	v_lshl_add_u64 v[82:83], s[2:3], 3, v[96:97]
	v_lshl_add_u64 v[2:3], v[2:3], 3, v[0:1]
	s_delay_alu instid0(VALU_DEP_4)
	v_add_nc_u32_e32 v84, s2, v80
	s_clause 0x2
	global_store_b64 v[96:97], v[72:73], off
	global_store_b64 v[82:83], v[74:75], off
	;; [unrolled: 1-line block ×3, first 2 shown]
	v_ashrrev_i32_e32 v5, 31, v4
	v_add_nc_u32_e32 v86, s2, v84
	s_delay_alu instid0(VALU_DEP_2) | instskip(NEXT) | instid1(VALU_DEP_2)
	v_lshl_add_u64 v[4:5], v[4:5], 3, v[0:1]
	v_add_nc_u32_e32 v88, s2, v86
	s_delay_alu instid0(VALU_DEP_1) | instskip(NEXT) | instid1(VALU_DEP_1)
	v_dual_add_nc_u32 v90, s2, v88 :: v_dual_ashrrev_i32 v89, 31, v88
	v_dual_add_nc_u32 v92, s2, v90 :: v_dual_ashrrev_i32 v81, 31, v80
	s_delay_alu instid0(VALU_DEP_1) | instskip(SKIP_1) | instid1(VALU_DEP_2)
	v_dual_ashrrev_i32 v87, 31, v86 :: v_dual_add_nc_u32 v94, s2, v92
	s_wait_xcnt 0x2
	v_lshl_add_u64 v[72:73], v[80:81], 3, v[0:1]
	s_delay_alu instid0(VALU_DEP_2) | instskip(NEXT) | instid1(VALU_DEP_3)
	v_lshl_add_u64 v[80:81], v[86:87], 3, v[0:1]
	v_dual_ashrrev_i32 v93, 31, v92 :: v_dual_add_nc_u32 v98, s2, v94
	v_ashrrev_i32_e32 v95, 31, v94
	s_delay_alu instid0(VALU_DEP_2) | instskip(NEXT) | instid1(VALU_DEP_1)
	v_add_nc_u32_e32 v78, s2, v98
	v_dual_add_nc_u32 v102, s2, v78 :: v_dual_ashrrev_i32 v79, 31, v78
	s_wait_xcnt 0x0
	s_delay_alu instid0(VALU_DEP_1) | instskip(NEXT) | instid1(VALU_DEP_1)
	v_dual_add_nc_u32 v2, s2, v102 :: v_dual_ashrrev_i32 v85, 31, v84
	v_add_nc_u32_e32 v70, s2, v2
	s_delay_alu instid0(VALU_DEP_2)
	v_lshl_add_u64 v[74:75], v[84:85], 3, v[0:1]
	s_clause 0x3
	global_store_b64 v[4:5], v[68:69], off
	global_store_b64 v[72:73], v[42:43], off
	;; [unrolled: 1-line block ×4, first 2 shown]
	v_add_nc_u32_e32 v82, s2, v70
	s_wait_xcnt 0x0
	v_lshl_add_u64 v[40:41], v[88:89], 3, v[0:1]
	v_lshl_add_u64 v[72:73], v[94:95], 3, v[0:1]
	v_ashrrev_i32_e32 v3, 31, v2
	v_lshl_add_u64 v[68:69], v[92:93], 3, v[0:1]
	v_add_nc_u32_e32 v4, s2, v82
	v_ashrrev_i32_e32 v91, 31, v90
	v_ashrrev_i32_e32 v99, 31, v98
	v_lshl_add_u64 v[2:3], v[2:3], 3, v[0:1]
	s_delay_alu instid0(VALU_DEP_4) | instskip(NEXT) | instid1(VALU_DEP_4)
	v_add_nc_u32_e32 v34, s2, v4
	v_lshl_add_u64 v[42:43], v[90:91], 3, v[0:1]
	v_ashrrev_i32_e32 v5, 31, v4
	s_clause 0x3
	global_store_b64 v[40:41], v[8:9], off
	global_store_b64 v[42:43], v[48:49], off
	;; [unrolled: 1-line block ×4, first 2 shown]
	v_add_nc_u32_e32 v74, s2, v34
	s_wait_xcnt 0x2
	v_lshl_add_u64 v[42:43], v[98:99], 3, v[0:1]
	s_wait_xcnt 0x1
	v_lshl_add_u64 v[44:45], v[78:79], 3, v[0:1]
	v_ashrrev_i32_e32 v35, 31, v34
	v_lshl_add_u64 v[4:5], v[4:5], 3, v[0:1]
	v_add_nc_u32_e32 v8, s2, v74
	v_ashrrev_i32_e32 v103, 31, v102
	s_delay_alu instid0(VALU_DEP_4) | instskip(NEXT) | instid1(VALU_DEP_3)
	v_lshl_add_u64 v[34:35], v[34:35], 3, v[0:1]
	v_add_nc_u32_e32 v40, s2, v8
	s_wait_xcnt 0x0
	s_delay_alu instid0(VALU_DEP_3)
	v_lshl_add_u64 v[46:47], v[102:103], 3, v[0:1]
	s_clause 0x3
	global_store_b64 v[42:43], v[12:13], off
	global_store_b64 v[44:45], v[66:67], off
	;; [unrolled: 1-line block ×4, first 2 shown]
	v_dual_add_nc_u32 v48, s2, v40 :: v_dual_ashrrev_i32 v71, 31, v70
	v_dual_ashrrev_i32 v41, 31, v40 :: v_dual_ashrrev_i32 v83, 31, v82
	s_wait_xcnt 0x0
	s_delay_alu instid0(VALU_DEP_2) | instskip(NEXT) | instid1(VALU_DEP_3)
	v_dual_ashrrev_i32 v49, 31, v48 :: v_dual_add_nc_u32 v2, s2, v48
	v_lshl_add_u64 v[42:43], v[70:71], 3, v[0:1]
	s_delay_alu instid0(VALU_DEP_3)
	v_lshl_add_u64 v[44:45], v[82:83], 3, v[0:1]
	s_clause 0x3
	global_store_b64 v[42:43], v[22:23], off
	global_store_b64 v[44:45], v[60:61], off
	;; [unrolled: 1-line block ×4, first 2 shown]
	v_add_nc_u32_e32 v12, s2, v2
	v_dual_ashrrev_i32 v75, 31, v74 :: v_dual_ashrrev_i32 v9, 31, v8
	v_lshl_add_u64 v[40:41], v[40:41], 3, v[0:1]
	s_wait_xcnt 0x3
	v_lshl_add_u64 v[42:43], v[48:49], 3, v[0:1]
	v_dual_add_nc_u32 v46, s2, v12 :: v_dual_ashrrev_i32 v13, 31, v12
	s_wait_xcnt 0x0
	v_lshl_add_u64 v[34:35], v[74:75], 3, v[0:1]
	v_lshl_add_u64 v[8:9], v[8:9], 3, v[0:1]
	s_clause 0x3
	global_store_b64 v[34:35], v[16:17], off
	global_store_b64 v[8:9], v[54:55], off
	;; [unrolled: 1-line block ×4, first 2 shown]
	v_add_nc_u32_e32 v4, s2, v46
	v_lshl_add_u64 v[12:13], v[12:13], 3, v[0:1]
	s_delay_alu instid0(VALU_DEP_2) | instskip(NEXT) | instid1(VALU_DEP_1)
	v_add_nc_u32_e32 v22, s2, v4
	v_dual_add_nc_u32 v44, s2, v22 :: v_dual_ashrrev_i32 v23, 31, v22
	s_wait_xcnt 0x2
	s_delay_alu instid0(VALU_DEP_1) | instskip(SKIP_1) | instid1(VALU_DEP_2)
	v_dual_add_nc_u32 v8, s2, v44 :: v_dual_ashrrev_i32 v3, 31, v2
	v_ashrrev_i32_e32 v5, 31, v4
	v_dual_add_nc_u32 v16, s2, v8 :: v_dual_ashrrev_i32 v47, 31, v46
	s_delay_alu instid0(VALU_DEP_3) | instskip(NEXT) | instid1(VALU_DEP_3)
	v_lshl_add_u64 v[2:3], v[2:3], 3, v[0:1]
	v_lshl_add_u64 v[4:5], v[4:5], 3, v[0:1]
	s_wait_xcnt 0x1
	s_delay_alu instid0(VALU_DEP_3)
	v_add_nc_u32_e32 v40, s2, v16
	v_lshl_add_u64 v[34:35], v[46:47], 3, v[0:1]
	s_clause 0x3
	global_store_b64 v[2:3], v[14:15], off
	global_store_b64 v[12:13], v[38:39], off
	;; [unrolled: 1-line block ×4, first 2 shown]
	s_wait_xcnt 0x3
	v_add_nc_u32_e32 v2, s2, v40
	v_ashrrev_i32_e32 v45, 31, v44
	s_wait_xcnt 0x2
	v_lshl_add_u64 v[12:13], v[22:23], 3, v[0:1]
	s_delay_alu instid0(VALU_DEP_3) | instskip(SKIP_3) | instid1(VALU_DEP_3)
	v_dual_ashrrev_i32 v17, 31, v16 :: v_dual_ashrrev_i32 v3, 31, v2
	s_wait_xcnt 0x0
	v_add_nc_u32_e32 v4, s2, v2
	v_lshl_add_u64 v[14:15], v[44:45], 3, v[0:1]
	v_lshl_add_u64 v[16:17], v[16:17], 3, v[0:1]
	;; [unrolled: 1-line block ×3, first 2 shown]
	s_delay_alu instid0(VALU_DEP_4) | instskip(SKIP_1) | instid1(VALU_DEP_2)
	v_dual_add_nc_u32 v22, s2, v4 :: v_dual_ashrrev_i32 v5, 31, v4
	v_ashrrev_i32_e32 v9, 31, v8
	v_dual_ashrrev_i32 v41, 31, v40 :: v_dual_ashrrev_i32 v23, 31, v22
	s_delay_alu instid0(VALU_DEP_3) | instskip(NEXT) | instid1(VALU_DEP_3)
	v_lshl_add_u64 v[4:5], v[4:5], 3, v[0:1]
	v_lshl_add_u64 v[8:9], v[8:9], 3, v[0:1]
	s_clause 0x3
	global_store_b64 v[12:13], v[6:7], off
	global_store_b64 v[14:15], v[30:31], off
	;; [unrolled: 1-line block ×4, first 2 shown]
	s_wait_xcnt 0x3
	v_add_nc_u32_e32 v6, s2, v22
	s_wait_xcnt 0x1
	v_lshl_add_u64 v[8:9], v[40:41], 3, v[0:1]
	v_lshl_add_u64 v[12:13], v[22:23], 3, v[0:1]
	s_delay_alu instid0(VALU_DEP_3) | instskip(NEXT) | instid1(VALU_DEP_1)
	v_ashrrev_i32_e32 v7, 31, v6
	v_lshl_add_u64 v[0:1], v[6:7], 3, v[0:1]
	s_clause 0x4
	global_store_b64 v[8:9], v[10:11], off
	global_store_b64 v[2:3], v[24:25], off
	;; [unrolled: 1-line block ×5, first 2 shown]
.LBB70_757:
	s_sendmsg sendmsg(MSG_DEALLOC_VGPRS)
	s_endpgm
	.section	.rodata,"a",@progbits
	.p2align	6, 0x0
	.amdhsa_kernel _ZN9rocsolver6v33100L18getf2_small_kernelILi36E19rocblas_complex_numIfEiiPS3_EEvT1_T3_lS5_lPS5_llPT2_S5_S5_S7_l
		.amdhsa_group_segment_fixed_size 0
		.amdhsa_private_segment_fixed_size 0
		.amdhsa_kernarg_size 352
		.amdhsa_user_sgpr_count 2
		.amdhsa_user_sgpr_dispatch_ptr 0
		.amdhsa_user_sgpr_queue_ptr 0
		.amdhsa_user_sgpr_kernarg_segment_ptr 1
		.amdhsa_user_sgpr_dispatch_id 0
		.amdhsa_user_sgpr_kernarg_preload_length 0
		.amdhsa_user_sgpr_kernarg_preload_offset 0
		.amdhsa_user_sgpr_private_segment_size 0
		.amdhsa_wavefront_size32 1
		.amdhsa_uses_dynamic_stack 0
		.amdhsa_enable_private_segment 0
		.amdhsa_system_sgpr_workgroup_id_x 1
		.amdhsa_system_sgpr_workgroup_id_y 1
		.amdhsa_system_sgpr_workgroup_id_z 0
		.amdhsa_system_sgpr_workgroup_info 0
		.amdhsa_system_vgpr_workitem_id 1
		.amdhsa_next_free_vgpr 112
		.amdhsa_next_free_sgpr 19
		.amdhsa_named_barrier_count 0
		.amdhsa_reserve_vcc 1
		.amdhsa_float_round_mode_32 0
		.amdhsa_float_round_mode_16_64 0
		.amdhsa_float_denorm_mode_32 3
		.amdhsa_float_denorm_mode_16_64 3
		.amdhsa_fp16_overflow 0
		.amdhsa_memory_ordered 1
		.amdhsa_forward_progress 1
		.amdhsa_inst_pref_size 255
		.amdhsa_round_robin_scheduling 0
		.amdhsa_exception_fp_ieee_invalid_op 0
		.amdhsa_exception_fp_denorm_src 0
		.amdhsa_exception_fp_ieee_div_zero 0
		.amdhsa_exception_fp_ieee_overflow 0
		.amdhsa_exception_fp_ieee_underflow 0
		.amdhsa_exception_fp_ieee_inexact 0
		.amdhsa_exception_int_div_zero 0
	.end_amdhsa_kernel
	.section	.text._ZN9rocsolver6v33100L18getf2_small_kernelILi36E19rocblas_complex_numIfEiiPS3_EEvT1_T3_lS5_lPS5_llPT2_S5_S5_S7_l,"axG",@progbits,_ZN9rocsolver6v33100L18getf2_small_kernelILi36E19rocblas_complex_numIfEiiPS3_EEvT1_T3_lS5_lPS5_llPT2_S5_S5_S7_l,comdat
.Lfunc_end70:
	.size	_ZN9rocsolver6v33100L18getf2_small_kernelILi36E19rocblas_complex_numIfEiiPS3_EEvT1_T3_lS5_lPS5_llPT2_S5_S5_S7_l, .Lfunc_end70-_ZN9rocsolver6v33100L18getf2_small_kernelILi36E19rocblas_complex_numIfEiiPS3_EEvT1_T3_lS5_lPS5_llPT2_S5_S5_S7_l
                                        ; -- End function
	.set _ZN9rocsolver6v33100L18getf2_small_kernelILi36E19rocblas_complex_numIfEiiPS3_EEvT1_T3_lS5_lPS5_llPT2_S5_S5_S7_l.num_vgpr, 112
	.set _ZN9rocsolver6v33100L18getf2_small_kernelILi36E19rocblas_complex_numIfEiiPS3_EEvT1_T3_lS5_lPS5_llPT2_S5_S5_S7_l.num_agpr, 0
	.set _ZN9rocsolver6v33100L18getf2_small_kernelILi36E19rocblas_complex_numIfEiiPS3_EEvT1_T3_lS5_lPS5_llPT2_S5_S5_S7_l.numbered_sgpr, 19
	.set _ZN9rocsolver6v33100L18getf2_small_kernelILi36E19rocblas_complex_numIfEiiPS3_EEvT1_T3_lS5_lPS5_llPT2_S5_S5_S7_l.num_named_barrier, 0
	.set _ZN9rocsolver6v33100L18getf2_small_kernelILi36E19rocblas_complex_numIfEiiPS3_EEvT1_T3_lS5_lPS5_llPT2_S5_S5_S7_l.private_seg_size, 0
	.set _ZN9rocsolver6v33100L18getf2_small_kernelILi36E19rocblas_complex_numIfEiiPS3_EEvT1_T3_lS5_lPS5_llPT2_S5_S5_S7_l.uses_vcc, 1
	.set _ZN9rocsolver6v33100L18getf2_small_kernelILi36E19rocblas_complex_numIfEiiPS3_EEvT1_T3_lS5_lPS5_llPT2_S5_S5_S7_l.uses_flat_scratch, 0
	.set _ZN9rocsolver6v33100L18getf2_small_kernelILi36E19rocblas_complex_numIfEiiPS3_EEvT1_T3_lS5_lPS5_llPT2_S5_S5_S7_l.has_dyn_sized_stack, 0
	.set _ZN9rocsolver6v33100L18getf2_small_kernelILi36E19rocblas_complex_numIfEiiPS3_EEvT1_T3_lS5_lPS5_llPT2_S5_S5_S7_l.has_recursion, 0
	.set _ZN9rocsolver6v33100L18getf2_small_kernelILi36E19rocblas_complex_numIfEiiPS3_EEvT1_T3_lS5_lPS5_llPT2_S5_S5_S7_l.has_indirect_call, 0
	.section	.AMDGPU.csdata,"",@progbits
; Kernel info:
; codeLenInByte = 72892
; TotalNumSgprs: 21
; NumVgprs: 112
; ScratchSize: 0
; MemoryBound: 0
; FloatMode: 240
; IeeeMode: 1
; LDSByteSize: 0 bytes/workgroup (compile time only)
; SGPRBlocks: 0
; VGPRBlocks: 6
; NumSGPRsForWavesPerEU: 21
; NumVGPRsForWavesPerEU: 112
; NamedBarCnt: 0
; Occupancy: 9
; WaveLimiterHint : 0
; COMPUTE_PGM_RSRC2:SCRATCH_EN: 0
; COMPUTE_PGM_RSRC2:USER_SGPR: 2
; COMPUTE_PGM_RSRC2:TRAP_HANDLER: 0
; COMPUTE_PGM_RSRC2:TGID_X_EN: 1
; COMPUTE_PGM_RSRC2:TGID_Y_EN: 1
; COMPUTE_PGM_RSRC2:TGID_Z_EN: 0
; COMPUTE_PGM_RSRC2:TIDIG_COMP_CNT: 1
	.section	.text._ZN9rocsolver6v33100L23getf2_npvt_small_kernelILi36E19rocblas_complex_numIfEiiPS3_EEvT1_T3_lS5_lPT2_S5_S5_,"axG",@progbits,_ZN9rocsolver6v33100L23getf2_npvt_small_kernelILi36E19rocblas_complex_numIfEiiPS3_EEvT1_T3_lS5_lPT2_S5_S5_,comdat
	.globl	_ZN9rocsolver6v33100L23getf2_npvt_small_kernelILi36E19rocblas_complex_numIfEiiPS3_EEvT1_T3_lS5_lPT2_S5_S5_ ; -- Begin function _ZN9rocsolver6v33100L23getf2_npvt_small_kernelILi36E19rocblas_complex_numIfEiiPS3_EEvT1_T3_lS5_lPT2_S5_S5_
	.p2align	8
	.type	_ZN9rocsolver6v33100L23getf2_npvt_small_kernelILi36E19rocblas_complex_numIfEiiPS3_EEvT1_T3_lS5_lPT2_S5_S5_,@function
_ZN9rocsolver6v33100L23getf2_npvt_small_kernelILi36E19rocblas_complex_numIfEiiPS3_EEvT1_T3_lS5_lPT2_S5_S5_: ; @_ZN9rocsolver6v33100L23getf2_npvt_small_kernelILi36E19rocblas_complex_numIfEiiPS3_EEvT1_T3_lS5_lPT2_S5_S5_
; %bb.0:
	s_clause 0x1
	s_load_u16 s14, s[0:1], 0x46
	s_load_b64 s[2:3], s[0:1], 0x30
	s_bfe_u32 s4, ttmp6, 0x40010
	s_bfe_u32 s5, ttmp6, 0x40004
	s_add_co_i32 s4, s4, 1
	s_getreg_b32 s6, hwreg(HW_REG_IB_STS2, 6, 4)
	s_mul_i32 s4, ttmp7, s4
	v_bfe_u32 v146, v0, 10, 10
	s_add_co_i32 s5, s5, s4
	s_cmp_eq_u32 s6, 0
	s_cselect_b32 s4, ttmp7, s5
	s_wait_kmcnt 0x0
	v_mad_u32 v2, s4, s14, v146
	s_delay_alu instid0(VALU_DEP_1)
	v_cmp_gt_i32_e32 vcc_lo, s2, v2
	s_and_saveexec_b32 s2, vcc_lo
	s_cbranch_execz .LBB71_327
; %bb.1:
	s_clause 0x1
	s_load_b32 s12, s[0:1], 0x18
	s_load_b128 s[8:11], s[0:1], 0x8
	v_and_b32_e32 v218, 0x3ff, v0
	s_load_b128 s[4:7], s[0:1], 0x20
	v_lshlrev_b32_e32 v147, 3, v146
	s_mulk_i32 s14, 0x120
	v_mad_u32_u24 v220, 0x120, v146, 0
	s_wait_xcnt 0x0
	v_cmp_ne_u32_e64 s1, 0, v218
	v_cmp_eq_u32_e64 s0, 0, v218
	v_add3_u32 v219, 0, s14, v147
	v_dual_ashrrev_i32 v3, 31, v2 :: v_dual_mov_b32 v13, 0
	v_lshlrev_b32_e32 v12, 3, v218
	s_wait_kmcnt 0x0
	v_add3_u32 v0, s12, s12, v218
	s_ashr_i32 s13, s12, 31
	v_mul_u64_e32 v[6:7], s[4:5], v[2:3]
	s_delay_alu instid0(VALU_DEP_2) | instskip(NEXT) | instid1(VALU_DEP_1)
	v_add_nc_u32_e32 v4, s12, v0
	v_add_nc_u32_e32 v8, s12, v4
	s_delay_alu instid0(VALU_DEP_1) | instskip(NEXT) | instid1(VALU_DEP_1)
	v_add_nc_u32_e32 v10, s12, v8
	v_add_nc_u32_e32 v16, s12, v10
	s_delay_alu instid0(VALU_DEP_1) | instskip(NEXT) | instid1(VALU_DEP_1)
	v_add_nc_u32_e32 v20, s12, v16
	v_add_nc_u32_e32 v22, s12, v20
	s_delay_alu instid0(VALU_DEP_1) | instskip(SKIP_2) | instid1(VALU_DEP_3)
	v_add_nc_u32_e32 v24, s12, v22
	v_lshl_add_u64 v[6:7], v[6:7], 3, s[8:9]
	v_ashrrev_i32_e32 v11, 31, v10
	v_dual_ashrrev_i32 v23, 31, v22 :: v_dual_add_nc_u32 v36, s12, v24
	s_delay_alu instid0(VALU_DEP_3) | instskip(NEXT) | instid1(VALU_DEP_2)
	v_lshl_add_u64 v[100:101], s[10:11], 3, v[6:7]
	v_add_nc_u32_e32 v30, s12, v36
	s_delay_alu instid0(VALU_DEP_2) | instskip(NEXT) | instid1(VALU_DEP_2)
	v_add_nc_u64_e32 v[18:19], v[100:101], v[12:13]
	v_add_nc_u32_e32 v32, s12, v30
	s_delay_alu instid0(VALU_DEP_2) | instskip(NEXT) | instid1(VALU_DEP_2)
	v_lshl_add_u64 v[34:35], s[12:13], 3, v[18:19]
	v_add_nc_u32_e32 v44, s12, v32
	s_delay_alu instid0(VALU_DEP_1) | instskip(NEXT) | instid1(VALU_DEP_1)
	v_add_nc_u32_e32 v50, s12, v44
	v_dual_add_nc_u32 v52, s12, v50 :: v_dual_ashrrev_i32 v9, 31, v8
	v_ashrrev_i32_e32 v31, 31, v30
	s_delay_alu instid0(VALU_DEP_2)
	v_dual_ashrrev_i32 v51, 31, v50 :: v_dual_add_nc_u32 v54, s12, v52
	v_ashrrev_i32_e32 v1, 31, v0
	v_ashrrev_i32_e32 v25, 31, v24
	v_lshl_add_u64 v[14:15], v[8:9], 3, v[100:101]
	v_lshl_add_u64 v[30:31], v[30:31], 3, v[100:101]
	v_dual_add_nc_u32 v64, s12, v54 :: v_dual_ashrrev_i32 v55, 31, v54
	v_lshl_add_u64 v[6:7], v[0:1], 3, v[100:101]
	v_lshl_add_u64 v[0:1], v[10:11], 3, v[100:101]
	v_lshl_add_u64 v[10:11], v[22:23], 3, v[100:101]
	s_delay_alu instid0(VALU_DEP_4) | instskip(SKIP_3) | instid1(VALU_DEP_4)
	v_dual_add_nc_u32 v66, s12, v64 :: v_dual_ashrrev_i32 v65, 31, v64
	v_ashrrev_i32_e32 v5, 31, v4
	v_lshl_add_u64 v[54:55], v[54:55], 3, v[100:101]
	v_lshl_add_u64 v[50:51], v[50:51], 3, v[100:101]
	v_add_nc_u32_e32 v68, s12, v66
	v_lshl_add_u64 v[64:65], v[64:65], 3, v[100:101]
	v_lshl_add_u64 v[12:13], v[4:5], 3, v[100:101]
	s_delay_alu instid0(VALU_DEP_3) | instskip(SKIP_2) | instid1(VALU_DEP_3)
	v_dual_ashrrev_i32 v67, 31, v66 :: v_dual_add_nc_u32 v70, s12, v68
	v_ashrrev_i32_e32 v17, 31, v16
	v_ashrrev_i32_e32 v33, 31, v32
	v_lshl_add_u64 v[66:67], v[66:67], 3, v[100:101]
	s_delay_alu instid0(VALU_DEP_4) | instskip(NEXT) | instid1(VALU_DEP_3)
	v_dual_add_nc_u32 v72, s12, v70 :: v_dual_ashrrev_i32 v71, 31, v70
	v_lshl_add_u64 v[32:33], v[32:33], 3, v[100:101]
	v_lshl_add_u64 v[4:5], v[16:17], 3, v[100:101]
	;; [unrolled: 1-line block ×3, first 2 shown]
	s_delay_alu instid0(VALU_DEP_4) | instskip(SKIP_2) | instid1(VALU_DEP_3)
	v_dual_add_nc_u32 v74, s12, v72 :: v_dual_ashrrev_i32 v73, 31, v72
	v_ashrrev_i32_e32 v21, 31, v20
	v_lshl_add_u64 v[70:71], v[70:71], 3, v[100:101]
	v_add_nc_u32_e32 v76, s12, v74
	s_delay_alu instid0(VALU_DEP_4) | instskip(NEXT) | instid1(VALU_DEP_4)
	v_lshl_add_u64 v[72:73], v[72:73], 3, v[100:101]
	v_lshl_add_u64 v[8:9], v[20:21], 3, v[100:101]
	s_clause 0x3
	global_load_b64 v[28:29], v[14:15], off
	global_load_b64 v[24:25], v[0:1], off
	;; [unrolled: 1-line block ×4, first 2 shown]
	v_dual_add_nc_u32 v78, s12, v76 :: v_dual_ashrrev_i32 v75, 31, v74
	v_ashrrev_i32_e32 v37, 31, v36
	s_clause 0x3
	global_load_b64 v[84:85], v[18:19], off
	global_load_b64 v[56:57], v[34:35], off
	;; [unrolled: 1-line block ×4, first 2 shown]
	v_add_nc_u32_e32 v80, s12, v78
	v_lshl_add_u64 v[74:75], v[74:75], 3, v[100:101]
	v_lshl_add_u64 v[20:21], v[36:37], 3, v[100:101]
	s_clause 0x3
	global_load_b64 v[42:43], v[10:11], off
	global_load_b64 v[38:39], v[16:17], off
	;; [unrolled: 1-line block ×4, first 2 shown]
	v_dual_add_nc_u32 v82, s12, v80 :: v_dual_ashrrev_i32 v79, 31, v78
	s_delay_alu instid0(VALU_DEP_1) | instskip(SKIP_2) | instid1(VALU_DEP_4)
	v_dual_ashrrev_i32 v45, 31, v44 :: v_dual_add_nc_u32 v86, s12, v82
	v_ashrrev_i32_e32 v53, 31, v52
	v_ashrrev_i32_e32 v77, 31, v76
	v_lshl_add_u64 v[78:79], v[78:79], 3, v[100:101]
	s_delay_alu instid0(VALU_DEP_4) | instskip(SKIP_3) | instid1(VALU_DEP_3)
	v_lshl_add_u64 v[44:45], v[44:45], 3, v[100:101]
	v_dual_add_nc_u32 v88, s12, v86 :: v_dual_ashrrev_i32 v87, 31, v86
	v_lshl_add_u64 v[52:53], v[52:53], 3, v[100:101]
	v_lshl_add_u64 v[76:77], v[76:77], 3, v[100:101]
	v_dual_ashrrev_i32 v83, 31, v82 :: v_dual_add_nc_u32 v94, s12, v88
	v_ashrrev_i32_e32 v69, 31, v68
	v_lshl_add_u64 v[86:87], v[86:87], 3, v[100:101]
	s_clause 0x3
	global_load_b64 v[62:63], v[32:33], off
	global_load_b64 v[58:59], v[44:45], off
	;; [unrolled: 1-line block ×4, first 2 shown]
	v_lshl_add_u64 v[82:83], v[82:83], 3, v[100:101]
	v_add_nc_u32_e32 v96, s12, v94
	v_lshl_add_u64 v[68:69], v[68:69], 3, v[100:101]
	s_clause 0x3
	global_load_b64 v[90:91], v[54:55], off
	global_load_b64 v[114:115], v[64:65], off
	;; [unrolled: 1-line block ×4, first 2 shown]
	v_dual_ashrrev_i32 v95, 31, v94 :: v_dual_add_nc_u32 v104, s12, v96
	s_clause 0x3
	global_load_b64 v[102:103], v[70:71], off
	global_load_b64 v[128:129], v[72:73], off
	;; [unrolled: 1-line block ×4, first 2 shown]
	v_lshl_add_u64 v[94:95], v[94:95], 3, v[100:101]
	v_add_nc_u32_e32 v106, s12, v104
	s_delay_alu instid0(VALU_DEP_1) | instskip(NEXT) | instid1(VALU_DEP_1)
	v_dual_ashrrev_i32 v81, 31, v80 :: v_dual_add_nc_u32 v108, s12, v106
	v_lshl_add_u64 v[80:81], v[80:81], 3, v[100:101]
	s_clause 0x3
	global_load_b64 v[144:145], v[78:79], off
	global_load_b64 v[138:139], v[80:81], off
	;; [unrolled: 1-line block ×4, first 2 shown]
	v_dual_add_nc_u32 v110, s12, v108 :: v_dual_ashrrev_i32 v109, 31, v108
	s_delay_alu instid0(VALU_DEP_1) | instskip(SKIP_2) | instid1(VALU_DEP_3)
	v_dual_ashrrev_i32 v97, 31, v96 :: v_dual_ashrrev_i32 v111, 31, v110
	v_dual_add_nc_u32 v118, s12, v110 :: v_dual_ashrrev_i32 v89, 31, v88
	v_dual_ashrrev_i32 v107, 31, v106 :: v_dual_ashrrev_i32 v105, 31, v104
	v_lshl_add_u64 v[96:97], v[96:97], 3, v[100:101]
	s_delay_alu instid0(VALU_DEP_3) | instskip(NEXT) | instid1(VALU_DEP_4)
	v_ashrrev_i32_e32 v119, 31, v118
	v_lshl_add_u64 v[88:89], v[88:89], 3, v[100:101]
	s_delay_alu instid0(VALU_DEP_4)
	v_lshl_add_u64 v[106:107], v[106:107], 3, v[100:101]
	v_lshl_add_u64 v[104:105], v[104:105], 3, v[100:101]
	;; [unrolled: 1-line block ×5, first 2 shown]
	s_clause 0x7
	global_load_b64 v[124:125], v[88:89], off
	global_load_b64 v[120:121], v[94:95], off
	;; [unrolled: 1-line block ×8, first 2 shown]
	s_wait_xcnt 0x0
	s_and_saveexec_b32 s4, s0
	s_cbranch_execz .LBB71_8
; %bb.2:
	s_wait_loadcnt 0x1f
	ds_store_b64 v219, v[84:85]
	s_wait_loadcnt 0x1d
	ds_store_2addr_b64 v220, v[56:57], v[48:49] offset0:1 offset1:2
	s_wait_loadcnt 0x1c
	ds_store_2addr_b64 v220, v[46:47], v[28:29] offset0:3 offset1:4
	ds_store_2addr_b64 v220, v[24:25], v[26:27] offset0:5 offset1:6
	s_wait_loadcnt 0x1b
	ds_store_2addr_b64 v220, v[22:23], v[42:43] offset0:7 offset1:8
	s_wait_loadcnt 0x19
	;; [unrolled: 2-line block ×15, first 2 shown]
	ds_store_b64 v220, v[142:143] offset:280
	ds_load_b64 v[146:147], v219
	s_wait_dscnt 0x0
	v_cmp_neq_f32_e32 vcc_lo, 0, v146
	v_cmp_neq_f32_e64 s2, 0, v147
	s_or_b32 s2, vcc_lo, s2
	s_delay_alu instid0(SALU_CYCLE_1)
	s_and_b32 exec_lo, exec_lo, s2
	s_cbranch_execz .LBB71_8
; %bb.3:
	v_cmp_ngt_f32_e64 s2, |v146|, |v147|
                                        ; implicit-def: $vgpr148_vgpr149
	s_and_saveexec_b32 s5, s2
	s_delay_alu instid0(SALU_CYCLE_1)
	s_xor_b32 s2, exec_lo, s5
	s_cbranch_execz .LBB71_5
; %bb.4:
	v_div_scale_f32 v148, null, v147, v147, v146
	v_div_scale_f32 v151, vcc_lo, v146, v147, v146
	s_delay_alu instid0(VALU_DEP_2) | instskip(SKIP_1) | instid1(TRANS32_DEP_1)
	v_rcp_f32_e32 v149, v148
	v_nop
	v_fma_f32 v150, -v148, v149, 1.0
	s_delay_alu instid0(VALU_DEP_1) | instskip(NEXT) | instid1(VALU_DEP_1)
	v_fmac_f32_e32 v149, v150, v149
	v_mul_f32_e32 v150, v151, v149
	s_delay_alu instid0(VALU_DEP_1) | instskip(NEXT) | instid1(VALU_DEP_1)
	v_fma_f32 v152, -v148, v150, v151
	v_fmac_f32_e32 v150, v152, v149
	s_delay_alu instid0(VALU_DEP_1) | instskip(NEXT) | instid1(VALU_DEP_1)
	v_fma_f32 v148, -v148, v150, v151
	v_div_fmas_f32 v148, v148, v149, v150
	s_delay_alu instid0(VALU_DEP_1) | instskip(NEXT) | instid1(VALU_DEP_1)
	v_div_fixup_f32 v148, v148, v147, v146
	v_fmac_f32_e32 v147, v146, v148
	s_delay_alu instid0(VALU_DEP_1) | instskip(SKIP_1) | instid1(VALU_DEP_2)
	v_div_scale_f32 v146, null, v147, v147, 1.0
	v_div_scale_f32 v151, vcc_lo, 1.0, v147, 1.0
	v_rcp_f32_e32 v149, v146
	v_nop
	s_delay_alu instid0(TRANS32_DEP_1) | instskip(NEXT) | instid1(VALU_DEP_1)
	v_fma_f32 v150, -v146, v149, 1.0
	v_fmac_f32_e32 v149, v150, v149
	s_delay_alu instid0(VALU_DEP_1) | instskip(NEXT) | instid1(VALU_DEP_1)
	v_mul_f32_e32 v150, v151, v149
	v_fma_f32 v152, -v146, v150, v151
	s_delay_alu instid0(VALU_DEP_1) | instskip(NEXT) | instid1(VALU_DEP_1)
	v_fmac_f32_e32 v150, v152, v149
	v_fma_f32 v146, -v146, v150, v151
	s_delay_alu instid0(VALU_DEP_1) | instskip(NEXT) | instid1(VALU_DEP_1)
	v_div_fmas_f32 v146, v146, v149, v150
	v_div_fixup_f32 v146, v146, v147, 1.0
	s_delay_alu instid0(VALU_DEP_1)
	v_mul_f32_e32 v148, v148, v146
	v_xor_b32_e32 v149, 0x80000000, v146
                                        ; implicit-def: $vgpr146_vgpr147
.LBB71_5:
	s_and_not1_saveexec_b32 s2, s2
	s_cbranch_execz .LBB71_7
; %bb.6:
	v_div_scale_f32 v148, null, v146, v146, v147
	v_div_scale_f32 v151, vcc_lo, v147, v146, v147
	s_delay_alu instid0(VALU_DEP_2) | instskip(SKIP_1) | instid1(TRANS32_DEP_1)
	v_rcp_f32_e32 v149, v148
	v_nop
	v_fma_f32 v150, -v148, v149, 1.0
	s_delay_alu instid0(VALU_DEP_1) | instskip(NEXT) | instid1(VALU_DEP_1)
	v_fmac_f32_e32 v149, v150, v149
	v_mul_f32_e32 v150, v151, v149
	s_delay_alu instid0(VALU_DEP_1) | instskip(NEXT) | instid1(VALU_DEP_1)
	v_fma_f32 v152, -v148, v150, v151
	v_fmac_f32_e32 v150, v152, v149
	s_delay_alu instid0(VALU_DEP_1) | instskip(NEXT) | instid1(VALU_DEP_1)
	v_fma_f32 v148, -v148, v150, v151
	v_div_fmas_f32 v148, v148, v149, v150
	s_delay_alu instid0(VALU_DEP_1) | instskip(NEXT) | instid1(VALU_DEP_1)
	v_div_fixup_f32 v149, v148, v146, v147
	v_fmac_f32_e32 v146, v147, v149
	s_delay_alu instid0(VALU_DEP_1) | instskip(NEXT) | instid1(VALU_DEP_1)
	v_div_scale_f32 v147, null, v146, v146, 1.0
	v_rcp_f32_e32 v148, v147
	v_nop
	s_delay_alu instid0(TRANS32_DEP_1) | instskip(NEXT) | instid1(VALU_DEP_1)
	v_fma_f32 v150, -v147, v148, 1.0
	v_fmac_f32_e32 v148, v150, v148
	v_div_scale_f32 v150, vcc_lo, 1.0, v146, 1.0
	s_delay_alu instid0(VALU_DEP_1) | instskip(NEXT) | instid1(VALU_DEP_1)
	v_mul_f32_e32 v151, v150, v148
	v_fma_f32 v152, -v147, v151, v150
	s_delay_alu instid0(VALU_DEP_1) | instskip(NEXT) | instid1(VALU_DEP_1)
	v_fmac_f32_e32 v151, v152, v148
	v_fma_f32 v147, -v147, v151, v150
	s_delay_alu instid0(VALU_DEP_1) | instskip(NEXT) | instid1(VALU_DEP_1)
	v_div_fmas_f32 v147, v147, v148, v151
	v_div_fixup_f32 v148, v147, v146, 1.0
	s_delay_alu instid0(VALU_DEP_1)
	v_mul_f32_e64 v149, v149, -v148
.LBB71_7:
	s_or_b32 exec_lo, exec_lo, s2
	ds_store_b64 v219, v[148:149]
.LBB71_8:
	s_or_b32 exec_lo, exec_lo, s4
	s_wait_loadcnt_dscnt 0x0
	s_barrier_signal -1
	s_barrier_wait -1
	ds_load_b64 v[146:147], v219
	s_and_saveexec_b32 s2, s1
	s_cbranch_execz .LBB71_10
; %bb.9:
	ds_load_2addr_b64 v[152:155], v220 offset0:1 offset1:2
	ds_load_2addr_b64 v[156:159], v220 offset0:3 offset1:4
	;; [unrolled: 1-line block ×3, first 2 shown]
	s_wait_dscnt 0x3
	v_pk_mul_f32 v[150:151], v[146:147], v[84:85] op_sel:[1,1] op_sel_hi:[0,1]
	ds_load_2addr_b64 v[164:167], v220 offset0:7 offset1:8
	ds_load_2addr_b64 v[168:171], v220 offset0:9 offset1:10
	v_pk_fma_f32 v[148:149], v[146:147], v[84:85], v[150:151] op_sel_hi:[1,0,1] neg_lo:[0,0,1] neg_hi:[0,0,1]
	v_pk_fma_f32 v[150:151], v[146:147], v[84:85], v[150:151] op_sel_hi:[1,0,1]
	s_delay_alu instid0(VALU_DEP_1) | instskip(SKIP_1) | instid1(VALU_DEP_2)
	v_dual_mov_b32 v84, v148 :: v_dual_mov_b32 v85, v151
	s_wait_dscnt 0x4
	v_pk_mul_f32 v[172:173], v[152:153], v[150:151] op_sel:[0,1]
	v_pk_mul_f32 v[174:175], v[154:155], v[150:151] op_sel:[0,1]
	s_wait_dscnt 0x3
	v_pk_mul_f32 v[176:177], v[156:157], v[150:151] op_sel:[0,1]
	s_wait_dscnt 0x2
	v_pk_mul_f32 v[184:185], v[160:161], v[150:151] op_sel:[0,1]
	v_dual_mov_b32 v178, v159 :: v_dual_mov_b32 v179, v158
	v_pk_fma_f32 v[188:189], v[152:153], v[148:149], v[172:173] op_sel:[0,0,1] op_sel_hi:[1,1,0] neg_lo:[0,0,1] neg_hi:[0,0,1]
	v_pk_fma_f32 v[152:153], v[152:153], v[148:149], v[172:173] op_sel:[0,0,1] op_sel_hi:[1,0,0]
	v_dual_mul_f32 v180, v159, v151 :: v_dual_mul_f32 v182, v159, v148
	v_pk_mul_f32 v[186:187], v[162:163], v[150:151] op_sel:[0,1]
	v_pk_fma_f32 v[172:173], v[154:155], v[148:149], v[174:175] op_sel:[0,0,1] op_sel_hi:[1,1,0] neg_lo:[0,0,1] neg_hi:[0,0,1]
	v_pk_fma_f32 v[154:155], v[154:155], v[148:149], v[174:175] op_sel:[0,0,1] op_sel_hi:[1,0,0]
	v_pk_fma_f32 v[174:175], v[156:157], v[148:149], v[176:177] op_sel:[0,0,1] op_sel_hi:[1,1,0] neg_lo:[0,0,1] neg_hi:[0,0,1]
	v_pk_fma_f32 v[156:157], v[156:157], v[148:149], v[176:177] op_sel:[0,0,1] op_sel_hi:[1,0,0]
	v_mov_b32_e32 v189, v153
	v_pk_fma_f32 v[152:153], v[160:161], v[148:149], v[184:185] op_sel:[0,0,1] op_sel_hi:[1,0,0]
	v_pk_fma_f32 v[176:177], v[178:179], v[84:85], v[182:183] op_sel_hi:[1,1,0]
	v_pk_fma_f32 v[178:179], v[160:161], v[148:149], v[184:185] op_sel:[0,0,1] op_sel_hi:[1,1,0] neg_lo:[0,0,1] neg_hi:[0,0,1]
	v_dual_mov_b32 v173, v155 :: v_dual_mov_b32 v175, v157
	v_pk_fma_f32 v[156:157], v[162:163], v[148:149], v[186:187] op_sel:[0,0,1] op_sel_hi:[1,0,0]
	s_wait_dscnt 0x1
	v_pk_mul_f32 v[160:161], v[164:165], v[150:151] op_sel:[0,1]
	v_pk_fma_f32 v[158:159], v[158:159], v[84:85], v[180:181] op_sel_hi:[1,1,0] neg_lo:[0,0,1] neg_hi:[0,0,1]
	v_mov_b32_e32 v179, v153
	ds_load_2addr_b64 v[152:155], v220 offset0:11 offset1:12
	v_pk_fma_f32 v[162:163], v[162:163], v[148:149], v[186:187] op_sel:[0,0,1] op_sel_hi:[1,1,0] neg_lo:[0,0,1] neg_hi:[0,0,1]
	v_mov_b32_e32 v159, v177
	v_pk_add_f32 v[48:49], v[48:49], v[172:173] neg_lo:[0,1] neg_hi:[0,1]
	v_mov_b32_e32 v163, v157
	v_pk_mul_f32 v[172:173], v[166:167], v[150:151] op_sel:[0,1]
	v_pk_fma_f32 v[156:157], v[164:165], v[148:149], v[160:161] op_sel:[0,0,1] op_sel_hi:[1,0,0]
	v_pk_fma_f32 v[160:161], v[164:165], v[148:149], v[160:161] op_sel:[0,0,1] op_sel_hi:[1,1,0] neg_lo:[0,0,1] neg_hi:[0,0,1]
	v_pk_add_f32 v[28:29], v[28:29], v[158:159] neg_lo:[0,1] neg_hi:[0,1]
	v_pk_add_f32 v[26:27], v[26:27], v[162:163] neg_lo:[0,1] neg_hi:[0,1]
	v_pk_fma_f32 v[162:163], v[166:167], v[148:149], v[172:173] op_sel:[0,0,1] op_sel_hi:[1,0,0]
	v_mov_b32_e32 v161, v157
	ds_load_2addr_b64 v[156:159], v220 offset0:13 offset1:14
	s_wait_dscnt 0x2
	v_mul_f32_e32 v162, v169, v148
	v_pk_fma_f32 v[164:165], v[166:167], v[148:149], v[172:173] op_sel:[0,0,1] op_sel_hi:[1,1,0] neg_lo:[0,0,1] neg_hi:[0,0,1]
	v_mov_b32_e32 v165, v163
	v_pk_add_f32 v[22:23], v[22:23], v[160:161] neg_lo:[0,1] neg_hi:[0,1]
	v_mul_f32_e32 v160, v169, v151
	v_pk_fma_f32 v[162:163], v[168:169], v[84:85], v[162:163] op_sel:[1,0,0] op_sel_hi:[0,1,0]
	v_pk_mul_f32 v[166:167], v[170:171], v[150:151] op_sel:[0,1]
	v_pk_add_f32 v[46:47], v[46:47], v[174:175] neg_lo:[0,1] neg_hi:[0,1]
	v_pk_add_f32 v[42:43], v[42:43], v[164:165] neg_lo:[0,1] neg_hi:[0,1]
	s_wait_dscnt 0x1
	v_pk_mul_f32 v[164:165], v[152:153], v[150:151] op_sel:[0,1]
	v_pk_fma_f32 v[168:169], v[168:169], v[84:85], v[160:161] op_sel_hi:[1,1,0] neg_lo:[0,0,1] neg_hi:[0,0,1]
	v_pk_mul_f32 v[174:175], v[154:155], v[150:151] op_sel:[0,1]
	v_pk_fma_f32 v[172:173], v[170:171], v[148:149], v[166:167] op_sel:[0,0,1] op_sel_hi:[1,0,0]
	v_mov_b32_e32 v169, v163
	ds_load_2addr_b64 v[160:163], v220 offset0:15 offset1:16
	v_pk_fma_f32 v[176:177], v[152:153], v[148:149], v[164:165] op_sel:[0,0,1] op_sel_hi:[1,0,0]
	v_pk_fma_f32 v[166:167], v[170:171], v[148:149], v[166:167] op_sel:[0,0,1] op_sel_hi:[1,1,0] neg_lo:[0,0,1] neg_hi:[0,0,1]
	v_pk_fma_f32 v[170:171], v[154:155], v[148:149], v[174:175] op_sel:[0,0,1] op_sel_hi:[1,0,0]
	v_mov_b32_e32 v167, v173
	v_pk_fma_f32 v[152:153], v[152:153], v[148:149], v[164:165] op_sel:[0,0,1] op_sel_hi:[1,1,0] neg_lo:[0,0,1] neg_hi:[0,0,1]
	s_wait_dscnt 0x1
	v_pk_mul_f32 v[164:165], v[156:157], v[150:151] op_sel:[0,1]
	v_pk_fma_f32 v[154:155], v[154:155], v[148:149], v[174:175] op_sel:[0,0,1] op_sel_hi:[1,1,0] neg_lo:[0,0,1] neg_hi:[0,0,1]
	v_dual_mov_b32 v153, v177 :: v_dual_mov_b32 v155, v171
	v_pk_add_f32 v[40:41], v[40:41], v[166:167] neg_lo:[0,1] neg_hi:[0,1]
	s_delay_alu instid0(VALU_DEP_4) | instskip(SKIP_1) | instid1(VALU_DEP_4)
	v_pk_fma_f32 v[166:167], v[156:157], v[148:149], v[164:165] op_sel:[0,0,1] op_sel_hi:[1,0,0]
	v_pk_fma_f32 v[156:157], v[156:157], v[148:149], v[164:165] op_sel:[0,0,1] op_sel_hi:[1,1,0] neg_lo:[0,0,1] neg_hi:[0,0,1]
	v_pk_add_f32 v[36:37], v[36:37], v[152:153] neg_lo:[0,1] neg_hi:[0,1]
	v_pk_add_f32 v[62:63], v[62:63], v[154:155] neg_lo:[0,1] neg_hi:[0,1]
	ds_load_2addr_b64 v[152:155], v220 offset0:17 offset1:18
	v_pk_add_f32 v[38:39], v[38:39], v[168:169] neg_lo:[0,1] neg_hi:[0,1]
	v_dual_mov_b32 v157, v167 :: v_dual_mov_b32 v168, v159
	v_dual_mov_b32 v169, v158 :: v_dual_mul_f32 v170, v159, v148
	s_wait_dscnt 0x1
	v_pk_mul_f32 v[172:173], v[160:161], v[150:151] op_sel:[0,1]
	ds_load_2addr_b64 v[164:167], v220 offset0:19 offset1:20
	v_pk_mul_f32 v[176:177], v[162:163], v[150:151] op_sel:[0,1]
	v_pk_add_f32 v[58:59], v[58:59], v[156:157] neg_lo:[0,1] neg_hi:[0,1]
	v_pk_fma_f32 v[168:169], v[168:169], v[84:85], v[170:171] op_sel_hi:[1,1,0]
	v_mul_f32_e32 v174, v159, v151
	v_pk_fma_f32 v[156:157], v[160:161], v[148:149], v[172:173] op_sel:[0,0,1] op_sel_hi:[1,0,0]
	v_pk_fma_f32 v[160:161], v[160:161], v[148:149], v[172:173] op_sel:[0,0,1] op_sel_hi:[1,1,0] neg_lo:[0,0,1] neg_hi:[0,0,1]
	v_pk_add_f32 v[56:57], v[56:57], v[188:189] neg_lo:[0,1] neg_hi:[0,1]
	v_pk_add_f32 v[24:25], v[24:25], v[178:179] neg_lo:[0,1] neg_hi:[0,1]
	v_pk_fma_f32 v[170:171], v[158:159], v[84:85], v[174:175] op_sel_hi:[1,1,0] neg_lo:[0,0,1] neg_hi:[0,0,1]
	v_pk_fma_f32 v[158:159], v[162:163], v[148:149], v[176:177] op_sel:[0,0,1] op_sel_hi:[1,0,0]
	v_pk_fma_f32 v[162:163], v[162:163], v[148:149], v[176:177] op_sel:[0,0,1] op_sel_hi:[1,1,0] neg_lo:[0,0,1] neg_hi:[0,0,1]
	v_dual_mov_b32 v161, v157 :: v_dual_mov_b32 v171, v169
	s_wait_dscnt 0x1
	v_pk_mul_f32 v[168:169], v[152:153], v[150:151] op_sel:[0,1]
	v_mov_b32_e32 v163, v159
	ds_load_2addr_b64 v[156:159], v220 offset0:21 offset1:22
	v_pk_add_f32 v[92:93], v[92:93], v[160:161] neg_lo:[0,1] neg_hi:[0,1]
	v_pk_add_f32 v[60:61], v[60:61], v[170:171] neg_lo:[0,1] neg_hi:[0,1]
	v_pk_fma_f32 v[172:173], v[152:153], v[148:149], v[168:169] op_sel:[0,0,1] op_sel_hi:[1,1,0] neg_lo:[0,0,1] neg_hi:[0,0,1]
	v_pk_add_f32 v[90:91], v[90:91], v[162:163] neg_lo:[0,1] neg_hi:[0,1]
	ds_load_2addr_b64 v[160:163], v220 offset0:23 offset1:24
	v_pk_fma_f32 v[152:153], v[152:153], v[148:149], v[168:169] op_sel:[0,0,1] op_sel_hi:[1,0,0]
	v_pk_mul_f32 v[170:171], v[154:155], v[150:151] op_sel:[0,1]
	s_wait_dscnt 0x2
	v_dual_mul_f32 v174, v165, v148 :: v_dual_mul_f32 v152, v165, v151
	s_delay_alu instid0(VALU_DEP_2) | instskip(NEXT) | instid1(VALU_DEP_2)
	v_pk_fma_f32 v[168:169], v[154:155], v[148:149], v[170:171] op_sel:[0,0,1] op_sel_hi:[1,0,0]
	v_pk_fma_f32 v[174:175], v[164:165], v[84:85], v[174:175] op_sel:[1,0,0] op_sel_hi:[0,1,0]
	v_mov_b32_e32 v173, v153
	s_delay_alu instid0(VALU_DEP_4)
	v_pk_fma_f32 v[152:153], v[164:165], v[84:85], v[152:153] op_sel_hi:[1,1,0] neg_lo:[0,0,1] neg_hi:[0,0,1]
	v_pk_mul_f32 v[164:165], v[166:167], v[150:151] op_sel:[0,1]
	v_pk_fma_f32 v[154:155], v[154:155], v[148:149], v[170:171] op_sel:[0,0,1] op_sel_hi:[1,1,0] neg_lo:[0,0,1] neg_hi:[0,0,1]
	v_mov_b32_e32 v155, v169
	v_pk_add_f32 v[114:115], v[114:115], v[172:173] neg_lo:[0,1] neg_hi:[0,1]
	s_wait_dscnt 0x1
	v_pk_mul_f32 v[168:169], v[156:157], v[150:151] op_sel:[0,1]
	v_pk_fma_f32 v[170:171], v[166:167], v[148:149], v[164:165] op_sel:[0,0,1] op_sel_hi:[1,0,0]
	v_mov_b32_e32 v153, v175
	v_pk_fma_f32 v[172:173], v[166:167], v[148:149], v[164:165] op_sel:[0,0,1] op_sel_hi:[1,1,0] neg_lo:[0,0,1] neg_hi:[0,0,1]
	v_pk_add_f32 v[116:117], v[116:117], v[154:155] neg_lo:[0,1] neg_hi:[0,1]
	v_pk_fma_f32 v[164:165], v[156:157], v[148:149], v[168:169] op_sel:[0,0,1] op_sel_hi:[1,0,0]
	v_mov_b32_e32 v173, v171
	v_pk_add_f32 v[112:113], v[112:113], v[152:153] neg_lo:[0,1] neg_hi:[0,1]
	ds_load_2addr_b64 v[152:155], v220 offset0:25 offset1:26
	v_pk_fma_f32 v[156:157], v[156:157], v[148:149], v[168:169] op_sel:[0,0,1] op_sel_hi:[1,1,0] neg_lo:[0,0,1] neg_hi:[0,0,1]
	s_wait_dscnt 0x1
	v_pk_mul_f32 v[168:169], v[160:161], v[150:151] op_sel:[0,1]
	v_pk_add_f32 v[102:103], v[102:103], v[172:173] neg_lo:[0,1] neg_hi:[0,1]
	v_pk_mul_f32 v[174:175], v[158:159], v[150:151] op_sel:[0,1]
	s_delay_alu instid0(VALU_DEP_3)
	v_pk_fma_f32 v[172:173], v[160:161], v[148:149], v[168:169] op_sel:[0,0,1] op_sel_hi:[1,0,0]
	v_mov_b32_e32 v157, v165
	ds_load_2addr_b64 v[164:167], v220 offset0:27 offset1:28
	v_pk_fma_f32 v[170:171], v[158:159], v[148:149], v[174:175] op_sel:[0,0,1] op_sel_hi:[1,0,0]
	v_mul_f32_e32 v170, v163, v148
	v_pk_add_f32 v[128:129], v[128:129], v[156:157] neg_lo:[0,1] neg_hi:[0,1]
	v_pk_fma_f32 v[156:157], v[158:159], v[148:149], v[174:175] op_sel:[0,0,1] op_sel_hi:[1,1,0] neg_lo:[0,0,1] neg_hi:[0,0,1]
	v_pk_fma_f32 v[158:159], v[160:161], v[148:149], v[168:169] op_sel:[0,0,1] op_sel_hi:[1,1,0] neg_lo:[0,0,1] neg_hi:[0,0,1]
	v_dual_mov_b32 v157, v171 :: v_dual_mov_b32 v160, v163
	v_dual_mov_b32 v159, v173 :: v_dual_mov_b32 v161, v162
	v_mul_f32_e32 v168, v163, v151
	s_wait_dscnt 0x1
	v_pk_mul_f32 v[172:173], v[152:153], v[150:151] op_sel:[0,1]
	v_pk_add_f32 v[130:131], v[130:131], v[156:157] neg_lo:[0,1] neg_hi:[0,1]
	v_pk_add_f32 v[126:127], v[126:127], v[158:159] neg_lo:[0,1] neg_hi:[0,1]
	ds_load_2addr_b64 v[156:159], v220 offset0:29 offset1:30
	v_pk_fma_f32 v[162:163], v[162:163], v[84:85], v[168:169] op_sel_hi:[1,1,0] neg_lo:[0,0,1] neg_hi:[0,0,1]
	v_pk_fma_f32 v[160:161], v[160:161], v[84:85], v[170:171] op_sel_hi:[1,1,0]
	v_pk_mul_f32 v[168:169], v[154:155], v[150:151] op_sel:[0,1]
	v_pk_fma_f32 v[170:171], v[152:153], v[148:149], v[172:173] op_sel:[0,0,1] op_sel_hi:[1,0,0]
	s_wait_dscnt 0x1
	v_pk_mul_f32 v[174:175], v[164:165], v[150:151] op_sel:[0,1]
	v_mov_b32_e32 v163, v161
	v_pk_fma_f32 v[160:161], v[152:153], v[148:149], v[172:173] op_sel:[0,0,1] op_sel_hi:[1,1,0] neg_lo:[0,0,1] neg_hi:[0,0,1]
	v_pk_fma_f32 v[172:173], v[154:155], v[148:149], v[168:169] op_sel:[0,0,1] op_sel_hi:[1,0,0]
	v_pk_fma_f32 v[168:169], v[154:155], v[148:149], v[168:169] op_sel:[0,0,1] op_sel_hi:[1,1,0] neg_lo:[0,0,1] neg_hi:[0,0,1]
	ds_load_2addr_b64 v[152:155], v220 offset0:31 offset1:32
	v_mov_b32_e32 v161, v171
	v_pk_fma_f32 v[170:171], v[164:165], v[148:149], v[174:175] op_sel:[0,0,1] op_sel_hi:[1,0,0]
	v_pk_fma_f32 v[164:165], v[164:165], v[148:149], v[174:175] op_sel:[0,0,1] op_sel_hi:[1,1,0] neg_lo:[0,0,1] neg_hi:[0,0,1]
	v_mov_b32_e32 v169, v173
	v_pk_add_f32 v[144:145], v[144:145], v[162:163] neg_lo:[0,1] neg_hi:[0,1]
	v_pk_add_f32 v[138:139], v[138:139], v[160:161] neg_lo:[0,1] neg_hi:[0,1]
	v_mov_b32_e32 v165, v171
	v_pk_mul_f32 v[170:171], v[166:167], v[150:151] op_sel:[0,1]
	ds_load_2addr_b64 v[160:163], v220 offset0:33 offset1:34
	ds_load_b64 v[174:175], v220 offset:280
	v_pk_add_f32 v[140:141], v[140:141], v[168:169] neg_lo:[0,1] neg_hi:[0,1]
	v_pk_add_f32 v[98:99], v[98:99], v[164:165] neg_lo:[0,1] neg_hi:[0,1]
	v_pk_fma_f32 v[164:165], v[166:167], v[148:149], v[170:171] op_sel:[0,0,1] op_sel_hi:[1,1,0] neg_lo:[0,0,1] neg_hi:[0,0,1]
	v_pk_fma_f32 v[166:167], v[166:167], v[148:149], v[170:171] op_sel:[0,0,1] op_sel_hi:[1,0,0]
	s_wait_dscnt 0x3
	v_mul_f32_e32 v166, v157, v148
	v_pk_mul_f32 v[168:169], v[158:159], v[150:151] op_sel:[0,1]
	s_delay_alu instid0(VALU_DEP_3) | instskip(NEXT) | instid1(VALU_DEP_3)
	v_dual_mul_f32 v170, v157, v151 :: v_dual_mov_b32 v165, v167
	v_pk_fma_f32 v[166:167], v[156:157], v[84:85], v[166:167] op_sel:[1,0,0] op_sel_hi:[0,1,0]
	s_delay_alu instid0(VALU_DEP_3) | instskip(NEXT) | instid1(VALU_DEP_3)
	v_pk_fma_f32 v[172:173], v[158:159], v[148:149], v[168:169] op_sel:[0,0,1] op_sel_hi:[1,0,0]
	v_pk_fma_f32 v[156:157], v[156:157], v[84:85], v[170:171] op_sel_hi:[1,1,0] neg_lo:[0,0,1] neg_hi:[0,0,1]
	s_wait_dscnt 0x2
	v_pk_mul_f32 v[170:171], v[152:153], v[150:151] op_sel:[0,1]
	v_pk_fma_f32 v[158:159], v[158:159], v[148:149], v[168:169] op_sel:[0,0,1] op_sel_hi:[1,1,0] neg_lo:[0,0,1] neg_hi:[0,0,1]
	v_dual_mov_b32 v157, v167 :: v_dual_mov_b32 v159, v173
	v_pk_mul_f32 v[166:167], v[154:155], v[150:151] op_sel:[0,1]
	v_pk_add_f32 v[124:125], v[124:125], v[164:165] neg_lo:[0,1] neg_hi:[0,1]
	v_pk_fma_f32 v[164:165], v[152:153], v[148:149], v[170:171] op_sel:[0,0,1] op_sel_hi:[1,0,0]
	s_delay_alu instid0(VALU_DEP_4)
	v_pk_add_f32 v[120:121], v[120:121], v[156:157] neg_lo:[0,1] neg_hi:[0,1]
	v_pk_add_f32 v[122:123], v[122:123], v[158:159] neg_lo:[0,1] neg_hi:[0,1]
	v_pk_fma_f32 v[152:153], v[152:153], v[148:149], v[170:171] op_sel:[0,0,1] op_sel_hi:[1,1,0] neg_lo:[0,0,1] neg_hi:[0,0,1]
	v_pk_fma_f32 v[156:157], v[154:155], v[148:149], v[166:167] op_sel:[0,0,1] op_sel_hi:[1,1,0] neg_lo:[0,0,1] neg_hi:[0,0,1]
	v_pk_fma_f32 v[154:155], v[154:155], v[148:149], v[166:167] op_sel:[0,0,1] op_sel_hi:[1,0,0]
	s_wait_dscnt 0x1
	v_pk_mul_f32 v[158:159], v[160:161], v[150:151] op_sel:[0,1]
	s_wait_dscnt 0x0
	v_pk_mul_f32 v[166:167], v[174:175], v[150:151] op_sel:[0,1]
	v_dual_mov_b32 v153, v165 :: v_dual_mov_b32 v164, v163
	v_dual_mov_b32 v165, v162 :: v_dual_mul_f32 v154, v163, v148
	v_pk_fma_f32 v[168:169], v[160:161], v[148:149], v[158:159] op_sel:[0,0,1] op_sel_hi:[1,0,0]
	v_pk_fma_f32 v[158:159], v[160:161], v[148:149], v[158:159] op_sel:[0,0,1] op_sel_hi:[1,1,0] neg_lo:[0,0,1] neg_hi:[0,0,1]
	v_pk_fma_f32 v[160:161], v[174:175], v[148:149], v[166:167] op_sel:[0,0,1] op_sel_hi:[1,0,0]
	v_mul_f32_e32 v150, v163, v151
	s_delay_alu instid0(VALU_DEP_4)
	v_dual_mov_b32 v157, v155 :: v_dual_mov_b32 v159, v169
	v_pk_fma_f32 v[154:155], v[164:165], v[84:85], v[154:155] op_sel_hi:[1,1,0]
	v_pk_fma_f32 v[148:149], v[174:175], v[148:149], v[166:167] op_sel:[0,0,1] op_sel_hi:[1,1,0] neg_lo:[0,0,1] neg_hi:[0,0,1]
	v_mov_b32_e32 v149, v161
	v_pk_fma_f32 v[150:151], v[162:163], v[84:85], v[150:151] op_sel_hi:[1,1,0] neg_lo:[0,0,1] neg_hi:[0,0,1]
	v_pk_add_f32 v[118:119], v[118:119], v[152:153] neg_lo:[0,1] neg_hi:[0,1]
	v_mov_b32_e32 v151, v155
	v_pk_add_f32 v[136:137], v[136:137], v[156:157] neg_lo:[0,1] neg_hi:[0,1]
	v_pk_add_f32 v[134:135], v[134:135], v[158:159] neg_lo:[0,1] neg_hi:[0,1]
	v_pk_add_f32 v[142:143], v[142:143], v[148:149] neg_lo:[0,1] neg_hi:[0,1]
	s_delay_alu instid0(VALU_DEP_4)
	v_pk_add_f32 v[132:133], v[132:133], v[150:151] neg_lo:[0,1] neg_hi:[0,1]
.LBB71_10:
	s_or_b32 exec_lo, exec_lo, s2
	s_delay_alu instid0(SALU_CYCLE_1)
	s_mov_b32 s2, exec_lo
	s_wait_dscnt 0x0
	s_barrier_signal -1
	s_barrier_wait -1
	v_cmpx_eq_u32_e32 1, v218
	s_cbranch_execz .LBB71_17
; %bb.11:
	v_dual_mov_b32 v148, v48 :: v_dual_mov_b32 v149, v49
	v_dual_mov_b32 v150, v46 :: v_dual_mov_b32 v151, v47
	v_dual_mov_b32 v152, v28 :: v_dual_mov_b32 v153, v29
	v_dual_mov_b32 v154, v24 :: v_dual_mov_b32 v155, v25
	v_dual_mov_b32 v156, v26 :: v_dual_mov_b32 v157, v27
	v_dual_mov_b32 v158, v22 :: v_dual_mov_b32 v159, v23
	v_dual_mov_b32 v160, v42 :: v_dual_mov_b32 v161, v43
	v_dual_mov_b32 v162, v38 :: v_dual_mov_b32 v163, v39
	v_dual_mov_b32 v164, v40 :: v_dual_mov_b32 v165, v41
	v_dual_mov_b32 v166, v36 :: v_dual_mov_b32 v167, v37
	ds_store_b64 v219, v[56:57]
	v_dual_mov_b32 v168, v62 :: v_dual_mov_b32 v169, v63
	v_dual_mov_b32 v170, v58 :: v_dual_mov_b32 v171, v59
	ds_store_2addr_b64 v220, v[148:149], v[150:151] offset0:2 offset1:3
	ds_store_2addr_b64 v220, v[152:153], v[154:155] offset0:4 offset1:5
	;; [unrolled: 1-line block ×6, first 2 shown]
	v_dual_mov_b32 v148, v60 :: v_dual_mov_b32 v149, v61
	v_dual_mov_b32 v150, v92 :: v_dual_mov_b32 v151, v93
	;; [unrolled: 1-line block ×12, first 2 shown]
	ds_store_2addr_b64 v220, v[148:149], v[150:151] offset0:14 offset1:15
	ds_store_2addr_b64 v220, v[152:153], v[154:155] offset0:16 offset1:17
	ds_store_2addr_b64 v220, v[156:157], v[158:159] offset0:18 offset1:19
	ds_store_2addr_b64 v220, v[160:161], v[162:163] offset0:20 offset1:21
	ds_store_2addr_b64 v220, v[164:165], v[166:167] offset0:22 offset1:23
	ds_store_2addr_b64 v220, v[168:169], v[170:171] offset0:24 offset1:25
	v_dual_mov_b32 v148, v140 :: v_dual_mov_b32 v149, v141
	v_dual_mov_b32 v150, v98 :: v_dual_mov_b32 v151, v99
	;; [unrolled: 1-line block ×9, first 2 shown]
	ds_store_2addr_b64 v220, v[148:149], v[150:151] offset0:26 offset1:27
	ds_store_2addr_b64 v220, v[152:153], v[154:155] offset0:28 offset1:29
	;; [unrolled: 1-line block ×5, first 2 shown]
	ds_load_b64 v[148:149], v219
	s_wait_dscnt 0x0
	v_cmp_neq_f32_e32 vcc_lo, 0, v148
	v_cmp_neq_f32_e64 s1, 0, v149
	s_or_b32 s1, vcc_lo, s1
	s_delay_alu instid0(SALU_CYCLE_1)
	s_and_b32 exec_lo, exec_lo, s1
	s_cbranch_execz .LBB71_17
; %bb.12:
	v_cmp_ngt_f32_e64 s1, |v148|, |v149|
                                        ; implicit-def: $vgpr150_vgpr151
	s_and_saveexec_b32 s4, s1
	s_delay_alu instid0(SALU_CYCLE_1)
	s_xor_b32 s1, exec_lo, s4
	s_cbranch_execz .LBB71_14
; %bb.13:
	v_div_scale_f32 v150, null, v149, v149, v148
	v_div_scale_f32 v153, vcc_lo, v148, v149, v148
	s_delay_alu instid0(VALU_DEP_2) | instskip(SKIP_1) | instid1(TRANS32_DEP_1)
	v_rcp_f32_e32 v151, v150
	v_nop
	v_fma_f32 v152, -v150, v151, 1.0
	s_delay_alu instid0(VALU_DEP_1) | instskip(NEXT) | instid1(VALU_DEP_1)
	v_fmac_f32_e32 v151, v152, v151
	v_mul_f32_e32 v152, v153, v151
	s_delay_alu instid0(VALU_DEP_1) | instskip(NEXT) | instid1(VALU_DEP_1)
	v_fma_f32 v154, -v150, v152, v153
	v_fmac_f32_e32 v152, v154, v151
	s_delay_alu instid0(VALU_DEP_1) | instskip(NEXT) | instid1(VALU_DEP_1)
	v_fma_f32 v150, -v150, v152, v153
	v_div_fmas_f32 v150, v150, v151, v152
	s_delay_alu instid0(VALU_DEP_1) | instskip(NEXT) | instid1(VALU_DEP_1)
	v_div_fixup_f32 v150, v150, v149, v148
	v_fmac_f32_e32 v149, v148, v150
	s_delay_alu instid0(VALU_DEP_1) | instskip(SKIP_1) | instid1(VALU_DEP_2)
	v_div_scale_f32 v148, null, v149, v149, 1.0
	v_div_scale_f32 v153, vcc_lo, 1.0, v149, 1.0
	v_rcp_f32_e32 v151, v148
	v_nop
	s_delay_alu instid0(TRANS32_DEP_1) | instskip(NEXT) | instid1(VALU_DEP_1)
	v_fma_f32 v152, -v148, v151, 1.0
	v_fmac_f32_e32 v151, v152, v151
	s_delay_alu instid0(VALU_DEP_1) | instskip(NEXT) | instid1(VALU_DEP_1)
	v_mul_f32_e32 v152, v153, v151
	v_fma_f32 v154, -v148, v152, v153
	s_delay_alu instid0(VALU_DEP_1) | instskip(NEXT) | instid1(VALU_DEP_1)
	v_fmac_f32_e32 v152, v154, v151
	v_fma_f32 v148, -v148, v152, v153
	s_delay_alu instid0(VALU_DEP_1) | instskip(NEXT) | instid1(VALU_DEP_1)
	v_div_fmas_f32 v148, v148, v151, v152
	v_div_fixup_f32 v148, v148, v149, 1.0
	s_delay_alu instid0(VALU_DEP_1)
	v_mul_f32_e32 v150, v150, v148
	v_xor_b32_e32 v151, 0x80000000, v148
                                        ; implicit-def: $vgpr148_vgpr149
.LBB71_14:
	s_and_not1_saveexec_b32 s1, s1
	s_cbranch_execz .LBB71_16
; %bb.15:
	v_div_scale_f32 v150, null, v148, v148, v149
	v_div_scale_f32 v153, vcc_lo, v149, v148, v149
	s_delay_alu instid0(VALU_DEP_2) | instskip(SKIP_1) | instid1(TRANS32_DEP_1)
	v_rcp_f32_e32 v151, v150
	v_nop
	v_fma_f32 v152, -v150, v151, 1.0
	s_delay_alu instid0(VALU_DEP_1) | instskip(NEXT) | instid1(VALU_DEP_1)
	v_fmac_f32_e32 v151, v152, v151
	v_mul_f32_e32 v152, v153, v151
	s_delay_alu instid0(VALU_DEP_1) | instskip(NEXT) | instid1(VALU_DEP_1)
	v_fma_f32 v154, -v150, v152, v153
	v_fmac_f32_e32 v152, v154, v151
	s_delay_alu instid0(VALU_DEP_1) | instskip(NEXT) | instid1(VALU_DEP_1)
	v_fma_f32 v150, -v150, v152, v153
	v_div_fmas_f32 v150, v150, v151, v152
	s_delay_alu instid0(VALU_DEP_1) | instskip(NEXT) | instid1(VALU_DEP_1)
	v_div_fixup_f32 v151, v150, v148, v149
	v_fmac_f32_e32 v148, v149, v151
	s_delay_alu instid0(VALU_DEP_1) | instskip(NEXT) | instid1(VALU_DEP_1)
	v_div_scale_f32 v149, null, v148, v148, 1.0
	v_rcp_f32_e32 v150, v149
	v_nop
	s_delay_alu instid0(TRANS32_DEP_1) | instskip(NEXT) | instid1(VALU_DEP_1)
	v_fma_f32 v152, -v149, v150, 1.0
	v_fmac_f32_e32 v150, v152, v150
	v_div_scale_f32 v152, vcc_lo, 1.0, v148, 1.0
	s_delay_alu instid0(VALU_DEP_1) | instskip(NEXT) | instid1(VALU_DEP_1)
	v_mul_f32_e32 v153, v152, v150
	v_fma_f32 v154, -v149, v153, v152
	s_delay_alu instid0(VALU_DEP_1) | instskip(NEXT) | instid1(VALU_DEP_1)
	v_fmac_f32_e32 v153, v154, v150
	v_fma_f32 v149, -v149, v153, v152
	s_delay_alu instid0(VALU_DEP_1) | instskip(NEXT) | instid1(VALU_DEP_1)
	v_div_fmas_f32 v149, v149, v150, v153
	v_div_fixup_f32 v150, v149, v148, 1.0
	s_delay_alu instid0(VALU_DEP_1)
	v_mul_f32_e64 v151, v151, -v150
.LBB71_16:
	s_or_b32 exec_lo, exec_lo, s1
	ds_store_b64 v219, v[150:151]
.LBB71_17:
	s_or_b32 exec_lo, exec_lo, s2
	s_wait_dscnt 0x0
	s_barrier_signal -1
	s_barrier_wait -1
	ds_load_b64 v[148:149], v219
	s_mov_b32 s1, exec_lo
	v_cmpx_lt_u32_e32 1, v218
	s_cbranch_execz .LBB71_19
; %bb.18:
	ds_load_2addr_b64 v[154:157], v220 offset0:2 offset1:3
	s_wait_dscnt 0x1
	v_pk_mul_f32 v[152:153], v[148:149], v[56:57] op_sel:[1,1] op_sel_hi:[0,1]
	s_delay_alu instid0(VALU_DEP_1) | instskip(SKIP_1) | instid1(VALU_DEP_1)
	v_pk_fma_f32 v[150:151], v[148:149], v[56:57], v[152:153] op_sel_hi:[1,0,1] neg_lo:[0,0,1] neg_hi:[0,0,1]
	v_pk_fma_f32 v[152:153], v[148:149], v[56:57], v[152:153] op_sel_hi:[1,0,1]
	v_dual_mov_b32 v56, v150 :: v_dual_mov_b32 v57, v153
	s_wait_dscnt 0x0
	s_delay_alu instid0(VALU_DEP_2) | instskip(NEXT) | instid1(VALU_DEP_1)
	v_pk_mul_f32 v[158:159], v[154:155], v[152:153] op_sel:[0,1]
	v_pk_fma_f32 v[160:161], v[154:155], v[150:151], v[158:159] op_sel:[0,0,1] op_sel_hi:[1,1,0] neg_lo:[0,0,1] neg_hi:[0,0,1]
	v_pk_fma_f32 v[154:155], v[154:155], v[150:151], v[158:159] op_sel:[0,0,1] op_sel_hi:[1,0,0]
	s_delay_alu instid0(VALU_DEP_1) | instskip(SKIP_1) | instid1(VALU_DEP_1)
	v_mov_b32_e32 v161, v155
	v_pk_mul_f32 v[154:155], v[156:157], v[152:153] op_sel:[0,1]
	v_pk_fma_f32 v[158:159], v[156:157], v[150:151], v[154:155] op_sel:[0,0,1] op_sel_hi:[1,1,0] neg_lo:[0,0,1] neg_hi:[0,0,1]
	v_pk_fma_f32 v[154:155], v[156:157], v[150:151], v[154:155] op_sel:[0,0,1] op_sel_hi:[1,0,0]
	s_delay_alu instid0(VALU_DEP_1)
	v_mov_b32_e32 v159, v155
	ds_load_2addr_b64 v[154:157], v220 offset0:4 offset1:5
	v_pk_add_f32 v[48:49], v[48:49], v[160:161] neg_lo:[0,1] neg_hi:[0,1]
	v_pk_add_f32 v[46:47], v[46:47], v[158:159] neg_lo:[0,1] neg_hi:[0,1]
	s_wait_dscnt 0x0
	v_pk_mul_f32 v[158:159], v[154:155], v[152:153] op_sel:[0,1]
	s_delay_alu instid0(VALU_DEP_1) | instskip(SKIP_2) | instid1(VALU_DEP_2)
	v_pk_fma_f32 v[160:161], v[154:155], v[150:151], v[158:159] op_sel:[0,0,1] op_sel_hi:[1,1,0] neg_lo:[0,0,1] neg_hi:[0,0,1]
	v_pk_fma_f32 v[154:155], v[154:155], v[150:151], v[158:159] op_sel:[0,0,1] op_sel_hi:[1,0,0]
	v_dual_mul_f32 v158, v157, v153 :: v_dual_mov_b32 v154, v157
	v_dual_mov_b32 v161, v155 :: v_dual_mov_b32 v155, v156
	s_delay_alu instid0(VALU_DEP_2) | instskip(SKIP_1) | instid1(VALU_DEP_3)
	v_pk_fma_f32 v[158:159], v[156:157], v[56:57], v[158:159] op_sel_hi:[1,1,0] neg_lo:[0,0,1] neg_hi:[0,0,1]
	v_mul_f32_e32 v156, v157, v150
	v_pk_add_f32 v[28:29], v[28:29], v[160:161] neg_lo:[0,1] neg_hi:[0,1]
	s_delay_alu instid0(VALU_DEP_2) | instskip(NEXT) | instid1(VALU_DEP_1)
	v_pk_fma_f32 v[154:155], v[154:155], v[56:57], v[156:157] op_sel_hi:[1,1,0]
	v_mov_b32_e32 v159, v155
	ds_load_2addr_b64 v[154:157], v220 offset0:6 offset1:7
	v_pk_add_f32 v[24:25], v[24:25], v[158:159] neg_lo:[0,1] neg_hi:[0,1]
	s_wait_dscnt 0x0
	v_pk_mul_f32 v[158:159], v[154:155], v[152:153] op_sel:[0,1]
	s_delay_alu instid0(VALU_DEP_1) | instskip(SKIP_1) | instid1(VALU_DEP_1)
	v_pk_fma_f32 v[160:161], v[154:155], v[150:151], v[158:159] op_sel:[0,0,1] op_sel_hi:[1,1,0] neg_lo:[0,0,1] neg_hi:[0,0,1]
	v_pk_fma_f32 v[154:155], v[154:155], v[150:151], v[158:159] op_sel:[0,0,1] op_sel_hi:[1,0,0]
	v_mov_b32_e32 v161, v155
	v_pk_mul_f32 v[154:155], v[156:157], v[152:153] op_sel:[0,1]
	s_delay_alu instid0(VALU_DEP_1) | instskip(SKIP_1) | instid1(VALU_DEP_1)
	v_pk_fma_f32 v[158:159], v[156:157], v[150:151], v[154:155] op_sel:[0,0,1] op_sel_hi:[1,1,0] neg_lo:[0,0,1] neg_hi:[0,0,1]
	v_pk_fma_f32 v[154:155], v[156:157], v[150:151], v[154:155] op_sel:[0,0,1] op_sel_hi:[1,0,0]
	v_mov_b32_e32 v159, v155
	ds_load_2addr_b64 v[154:157], v220 offset0:8 offset1:9
	v_pk_add_f32 v[26:27], v[26:27], v[160:161] neg_lo:[0,1] neg_hi:[0,1]
	v_pk_add_f32 v[22:23], v[22:23], v[158:159] neg_lo:[0,1] neg_hi:[0,1]
	s_wait_dscnt 0x0
	v_pk_mul_f32 v[158:159], v[154:155], v[152:153] op_sel:[0,1]
	s_delay_alu instid0(VALU_DEP_1) | instskip(SKIP_1) | instid1(VALU_DEP_1)
	v_pk_fma_f32 v[160:161], v[154:155], v[150:151], v[158:159] op_sel:[0,0,1] op_sel_hi:[1,1,0] neg_lo:[0,0,1] neg_hi:[0,0,1]
	v_pk_fma_f32 v[154:155], v[154:155], v[150:151], v[158:159] op_sel:[0,0,1] op_sel_hi:[1,0,0]
	v_mov_b32_e32 v161, v155
	v_pk_mul_f32 v[154:155], v[156:157], v[152:153] op_sel:[0,1]
	s_delay_alu instid0(VALU_DEP_1) | instskip(SKIP_1) | instid1(VALU_DEP_1)
	v_pk_fma_f32 v[158:159], v[156:157], v[150:151], v[154:155] op_sel:[0,0,1] op_sel_hi:[1,1,0] neg_lo:[0,0,1] neg_hi:[0,0,1]
	v_pk_fma_f32 v[154:155], v[156:157], v[150:151], v[154:155] op_sel:[0,0,1] op_sel_hi:[1,0,0]
	v_mov_b32_e32 v159, v155
	ds_load_2addr_b64 v[154:157], v220 offset0:10 offset1:11
	v_pk_add_f32 v[42:43], v[42:43], v[160:161] neg_lo:[0,1] neg_hi:[0,1]
	v_pk_add_f32 v[38:39], v[38:39], v[158:159] neg_lo:[0,1] neg_hi:[0,1]
	s_wait_dscnt 0x0
	v_dual_mul_f32 v158, v155, v153 :: v_dual_mul_f32 v160, v155, v150
	s_delay_alu instid0(VALU_DEP_1) | instskip(NEXT) | instid1(VALU_DEP_2)
	v_pk_fma_f32 v[158:159], v[154:155], v[56:57], v[158:159] op_sel_hi:[1,1,0] neg_lo:[0,0,1] neg_hi:[0,0,1]
	v_pk_fma_f32 v[154:155], v[154:155], v[56:57], v[160:161] op_sel:[1,0,0] op_sel_hi:[0,1,0]
	s_delay_alu instid0(VALU_DEP_1) | instskip(SKIP_1) | instid1(VALU_DEP_2)
	v_mov_b32_e32 v159, v155
	v_pk_mul_f32 v[154:155], v[156:157], v[152:153] op_sel:[0,1]
	v_pk_add_f32 v[40:41], v[40:41], v[158:159] neg_lo:[0,1] neg_hi:[0,1]
	s_delay_alu instid0(VALU_DEP_2) | instskip(SKIP_1) | instid1(VALU_DEP_1)
	v_pk_fma_f32 v[158:159], v[156:157], v[150:151], v[154:155] op_sel:[0,0,1] op_sel_hi:[1,1,0] neg_lo:[0,0,1] neg_hi:[0,0,1]
	v_pk_fma_f32 v[154:155], v[156:157], v[150:151], v[154:155] op_sel:[0,0,1] op_sel_hi:[1,0,0]
	v_mov_b32_e32 v159, v155
	ds_load_2addr_b64 v[154:157], v220 offset0:12 offset1:13
	v_pk_add_f32 v[36:37], v[36:37], v[158:159] neg_lo:[0,1] neg_hi:[0,1]
	s_wait_dscnt 0x0
	v_pk_mul_f32 v[158:159], v[154:155], v[152:153] op_sel:[0,1]
	s_delay_alu instid0(VALU_DEP_1) | instskip(SKIP_1) | instid1(VALU_DEP_1)
	v_pk_fma_f32 v[160:161], v[154:155], v[150:151], v[158:159] op_sel:[0,0,1] op_sel_hi:[1,1,0] neg_lo:[0,0,1] neg_hi:[0,0,1]
	v_pk_fma_f32 v[154:155], v[154:155], v[150:151], v[158:159] op_sel:[0,0,1] op_sel_hi:[1,0,0]
	v_mov_b32_e32 v161, v155
	v_pk_mul_f32 v[154:155], v[156:157], v[152:153] op_sel:[0,1]
	s_delay_alu instid0(VALU_DEP_2) | instskip(NEXT) | instid1(VALU_DEP_2)
	v_pk_add_f32 v[62:63], v[62:63], v[160:161] neg_lo:[0,1] neg_hi:[0,1]
	v_pk_fma_f32 v[158:159], v[156:157], v[150:151], v[154:155] op_sel:[0,0,1] op_sel_hi:[1,1,0] neg_lo:[0,0,1] neg_hi:[0,0,1]
	v_pk_fma_f32 v[154:155], v[156:157], v[150:151], v[154:155] op_sel:[0,0,1] op_sel_hi:[1,0,0]
	s_delay_alu instid0(VALU_DEP_1) | instskip(SKIP_4) | instid1(VALU_DEP_1)
	v_mov_b32_e32 v159, v155
	ds_load_2addr_b64 v[154:157], v220 offset0:14 offset1:15
	v_pk_add_f32 v[58:59], v[58:59], v[158:159] neg_lo:[0,1] neg_hi:[0,1]
	s_wait_dscnt 0x0
	v_pk_mul_f32 v[158:159], v[154:155], v[152:153] op_sel:[0,1]
	v_pk_fma_f32 v[160:161], v[154:155], v[150:151], v[158:159] op_sel:[0,0,1] op_sel_hi:[1,1,0] neg_lo:[0,0,1] neg_hi:[0,0,1]
	v_pk_fma_f32 v[154:155], v[154:155], v[150:151], v[158:159] op_sel:[0,0,1] op_sel_hi:[1,0,0]
	v_dual_mul_f32 v158, v157, v153 :: v_dual_mov_b32 v154, v157
	s_delay_alu instid0(VALU_DEP_2) | instskip(NEXT) | instid1(VALU_DEP_2)
	v_dual_mov_b32 v161, v155 :: v_dual_mov_b32 v155, v156
	v_pk_fma_f32 v[158:159], v[156:157], v[56:57], v[158:159] op_sel_hi:[1,1,0] neg_lo:[0,0,1] neg_hi:[0,0,1]
	v_mul_f32_e32 v156, v157, v150
	s_delay_alu instid0(VALU_DEP_3) | instskip(NEXT) | instid1(VALU_DEP_2)
	v_pk_add_f32 v[60:61], v[60:61], v[160:161] neg_lo:[0,1] neg_hi:[0,1]
	v_pk_fma_f32 v[154:155], v[154:155], v[56:57], v[156:157] op_sel_hi:[1,1,0]
	s_delay_alu instid0(VALU_DEP_1) | instskip(SKIP_4) | instid1(VALU_DEP_1)
	v_mov_b32_e32 v159, v155
	ds_load_2addr_b64 v[154:157], v220 offset0:16 offset1:17
	v_pk_add_f32 v[92:93], v[92:93], v[158:159] neg_lo:[0,1] neg_hi:[0,1]
	s_wait_dscnt 0x0
	v_pk_mul_f32 v[158:159], v[154:155], v[152:153] op_sel:[0,1]
	v_pk_fma_f32 v[160:161], v[154:155], v[150:151], v[158:159] op_sel:[0,0,1] op_sel_hi:[1,1,0] neg_lo:[0,0,1] neg_hi:[0,0,1]
	v_pk_fma_f32 v[154:155], v[154:155], v[150:151], v[158:159] op_sel:[0,0,1] op_sel_hi:[1,0,0]
	s_delay_alu instid0(VALU_DEP_1) | instskip(SKIP_1) | instid1(VALU_DEP_1)
	v_mov_b32_e32 v161, v155
	v_pk_mul_f32 v[154:155], v[156:157], v[152:153] op_sel:[0,1]
	v_pk_fma_f32 v[158:159], v[156:157], v[150:151], v[154:155] op_sel:[0,0,1] op_sel_hi:[1,1,0] neg_lo:[0,0,1] neg_hi:[0,0,1]
	v_pk_fma_f32 v[154:155], v[156:157], v[150:151], v[154:155] op_sel:[0,0,1] op_sel_hi:[1,0,0]
	s_delay_alu instid0(VALU_DEP_1)
	v_mov_b32_e32 v159, v155
	ds_load_2addr_b64 v[154:157], v220 offset0:18 offset1:19
	v_pk_add_f32 v[90:91], v[90:91], v[160:161] neg_lo:[0,1] neg_hi:[0,1]
	v_pk_add_f32 v[114:115], v[114:115], v[158:159] neg_lo:[0,1] neg_hi:[0,1]
	s_wait_dscnt 0x0
	v_pk_mul_f32 v[158:159], v[154:155], v[152:153] op_sel:[0,1]
	s_delay_alu instid0(VALU_DEP_1) | instskip(SKIP_1) | instid1(VALU_DEP_1)
	v_pk_fma_f32 v[160:161], v[154:155], v[150:151], v[158:159] op_sel:[0,0,1] op_sel_hi:[1,1,0] neg_lo:[0,0,1] neg_hi:[0,0,1]
	v_pk_fma_f32 v[154:155], v[154:155], v[150:151], v[158:159] op_sel:[0,0,1] op_sel_hi:[1,0,0]
	v_mov_b32_e32 v161, v155
	v_pk_mul_f32 v[154:155], v[156:157], v[152:153] op_sel:[0,1]
	s_delay_alu instid0(VALU_DEP_1) | instskip(SKIP_1) | instid1(VALU_DEP_1)
	v_pk_fma_f32 v[158:159], v[156:157], v[150:151], v[154:155] op_sel:[0,0,1] op_sel_hi:[1,1,0] neg_lo:[0,0,1] neg_hi:[0,0,1]
	v_pk_fma_f32 v[154:155], v[156:157], v[150:151], v[154:155] op_sel:[0,0,1] op_sel_hi:[1,0,0]
	v_mov_b32_e32 v159, v155
	ds_load_2addr_b64 v[154:157], v220 offset0:20 offset1:21
	v_pk_add_f32 v[116:117], v[116:117], v[160:161] neg_lo:[0,1] neg_hi:[0,1]
	v_pk_add_f32 v[112:113], v[112:113], v[158:159] neg_lo:[0,1] neg_hi:[0,1]
	s_wait_dscnt 0x0
	v_dual_mul_f32 v158, v155, v153 :: v_dual_mul_f32 v160, v155, v150
	s_delay_alu instid0(VALU_DEP_1) | instskip(NEXT) | instid1(VALU_DEP_2)
	v_pk_fma_f32 v[158:159], v[154:155], v[56:57], v[158:159] op_sel_hi:[1,1,0] neg_lo:[0,0,1] neg_hi:[0,0,1]
	v_pk_fma_f32 v[154:155], v[154:155], v[56:57], v[160:161] op_sel:[1,0,0] op_sel_hi:[0,1,0]
	s_delay_alu instid0(VALU_DEP_1) | instskip(SKIP_1) | instid1(VALU_DEP_2)
	v_mov_b32_e32 v159, v155
	v_pk_mul_f32 v[154:155], v[156:157], v[152:153] op_sel:[0,1]
	v_pk_add_f32 v[102:103], v[102:103], v[158:159] neg_lo:[0,1] neg_hi:[0,1]
	s_delay_alu instid0(VALU_DEP_2) | instskip(SKIP_1) | instid1(VALU_DEP_1)
	v_pk_fma_f32 v[158:159], v[156:157], v[150:151], v[154:155] op_sel:[0,0,1] op_sel_hi:[1,1,0] neg_lo:[0,0,1] neg_hi:[0,0,1]
	v_pk_fma_f32 v[154:155], v[156:157], v[150:151], v[154:155] op_sel:[0,0,1] op_sel_hi:[1,0,0]
	v_mov_b32_e32 v159, v155
	ds_load_2addr_b64 v[154:157], v220 offset0:22 offset1:23
	v_pk_add_f32 v[128:129], v[128:129], v[158:159] neg_lo:[0,1] neg_hi:[0,1]
	s_wait_dscnt 0x0
	v_pk_mul_f32 v[158:159], v[154:155], v[152:153] op_sel:[0,1]
	s_delay_alu instid0(VALU_DEP_1) | instskip(SKIP_1) | instid1(VALU_DEP_1)
	v_pk_fma_f32 v[160:161], v[154:155], v[150:151], v[158:159] op_sel:[0,0,1] op_sel_hi:[1,1,0] neg_lo:[0,0,1] neg_hi:[0,0,1]
	v_pk_fma_f32 v[154:155], v[154:155], v[150:151], v[158:159] op_sel:[0,0,1] op_sel_hi:[1,0,0]
	v_mov_b32_e32 v161, v155
	v_pk_mul_f32 v[154:155], v[156:157], v[152:153] op_sel:[0,1]
	s_delay_alu instid0(VALU_DEP_2) | instskip(NEXT) | instid1(VALU_DEP_2)
	v_pk_add_f32 v[130:131], v[130:131], v[160:161] neg_lo:[0,1] neg_hi:[0,1]
	v_pk_fma_f32 v[158:159], v[156:157], v[150:151], v[154:155] op_sel:[0,0,1] op_sel_hi:[1,1,0] neg_lo:[0,0,1] neg_hi:[0,0,1]
	v_pk_fma_f32 v[154:155], v[156:157], v[150:151], v[154:155] op_sel:[0,0,1] op_sel_hi:[1,0,0]
	s_delay_alu instid0(VALU_DEP_1) | instskip(SKIP_4) | instid1(VALU_DEP_1)
	v_mov_b32_e32 v159, v155
	ds_load_2addr_b64 v[154:157], v220 offset0:24 offset1:25
	v_pk_add_f32 v[126:127], v[126:127], v[158:159] neg_lo:[0,1] neg_hi:[0,1]
	s_wait_dscnt 0x0
	v_pk_mul_f32 v[158:159], v[154:155], v[152:153] op_sel:[0,1]
	v_pk_fma_f32 v[160:161], v[154:155], v[150:151], v[158:159] op_sel:[0,0,1] op_sel_hi:[1,1,0] neg_lo:[0,0,1] neg_hi:[0,0,1]
	v_pk_fma_f32 v[154:155], v[154:155], v[150:151], v[158:159] op_sel:[0,0,1] op_sel_hi:[1,0,0]
	v_dual_mul_f32 v158, v157, v153 :: v_dual_mov_b32 v154, v157
	s_delay_alu instid0(VALU_DEP_2) | instskip(NEXT) | instid1(VALU_DEP_2)
	v_dual_mov_b32 v161, v155 :: v_dual_mov_b32 v155, v156
	v_pk_fma_f32 v[158:159], v[156:157], v[56:57], v[158:159] op_sel_hi:[1,1,0] neg_lo:[0,0,1] neg_hi:[0,0,1]
	v_mul_f32_e32 v156, v157, v150
	s_delay_alu instid0(VALU_DEP_3) | instskip(NEXT) | instid1(VALU_DEP_2)
	v_pk_add_f32 v[144:145], v[144:145], v[160:161] neg_lo:[0,1] neg_hi:[0,1]
	v_pk_fma_f32 v[154:155], v[154:155], v[56:57], v[156:157] op_sel_hi:[1,1,0]
	s_delay_alu instid0(VALU_DEP_1) | instskip(SKIP_4) | instid1(VALU_DEP_1)
	v_mov_b32_e32 v159, v155
	ds_load_2addr_b64 v[154:157], v220 offset0:26 offset1:27
	v_pk_add_f32 v[138:139], v[138:139], v[158:159] neg_lo:[0,1] neg_hi:[0,1]
	s_wait_dscnt 0x0
	v_pk_mul_f32 v[158:159], v[154:155], v[152:153] op_sel:[0,1]
	v_pk_fma_f32 v[160:161], v[154:155], v[150:151], v[158:159] op_sel:[0,0,1] op_sel_hi:[1,1,0] neg_lo:[0,0,1] neg_hi:[0,0,1]
	v_pk_fma_f32 v[154:155], v[154:155], v[150:151], v[158:159] op_sel:[0,0,1] op_sel_hi:[1,0,0]
	s_delay_alu instid0(VALU_DEP_1) | instskip(SKIP_1) | instid1(VALU_DEP_1)
	v_mov_b32_e32 v161, v155
	v_pk_mul_f32 v[154:155], v[156:157], v[152:153] op_sel:[0,1]
	v_pk_fma_f32 v[158:159], v[156:157], v[150:151], v[154:155] op_sel:[0,0,1] op_sel_hi:[1,1,0] neg_lo:[0,0,1] neg_hi:[0,0,1]
	v_pk_fma_f32 v[154:155], v[156:157], v[150:151], v[154:155] op_sel:[0,0,1] op_sel_hi:[1,0,0]
	s_delay_alu instid0(VALU_DEP_1)
	v_mov_b32_e32 v159, v155
	ds_load_2addr_b64 v[154:157], v220 offset0:28 offset1:29
	v_pk_add_f32 v[140:141], v[140:141], v[160:161] neg_lo:[0,1] neg_hi:[0,1]
	v_pk_add_f32 v[98:99], v[98:99], v[158:159] neg_lo:[0,1] neg_hi:[0,1]
	s_wait_dscnt 0x0
	v_pk_mul_f32 v[158:159], v[154:155], v[152:153] op_sel:[0,1]
	s_delay_alu instid0(VALU_DEP_1) | instskip(SKIP_1) | instid1(VALU_DEP_1)
	v_pk_fma_f32 v[160:161], v[154:155], v[150:151], v[158:159] op_sel:[0,0,1] op_sel_hi:[1,1,0] neg_lo:[0,0,1] neg_hi:[0,0,1]
	v_pk_fma_f32 v[154:155], v[154:155], v[150:151], v[158:159] op_sel:[0,0,1] op_sel_hi:[1,0,0]
	v_mov_b32_e32 v161, v155
	v_pk_mul_f32 v[154:155], v[156:157], v[152:153] op_sel:[0,1]
	s_delay_alu instid0(VALU_DEP_1) | instskip(SKIP_1) | instid1(VALU_DEP_1)
	v_pk_fma_f32 v[158:159], v[156:157], v[150:151], v[154:155] op_sel:[0,0,1] op_sel_hi:[1,1,0] neg_lo:[0,0,1] neg_hi:[0,0,1]
	v_pk_fma_f32 v[154:155], v[156:157], v[150:151], v[154:155] op_sel:[0,0,1] op_sel_hi:[1,0,0]
	v_mov_b32_e32 v159, v155
	ds_load_2addr_b64 v[154:157], v220 offset0:30 offset1:31
	v_pk_add_f32 v[124:125], v[124:125], v[160:161] neg_lo:[0,1] neg_hi:[0,1]
	v_pk_add_f32 v[120:121], v[120:121], v[158:159] neg_lo:[0,1] neg_hi:[0,1]
	s_wait_dscnt 0x0
	v_dual_mul_f32 v158, v155, v153 :: v_dual_mul_f32 v160, v155, v150
	s_delay_alu instid0(VALU_DEP_1) | instskip(NEXT) | instid1(VALU_DEP_2)
	v_pk_fma_f32 v[158:159], v[154:155], v[56:57], v[158:159] op_sel_hi:[1,1,0] neg_lo:[0,0,1] neg_hi:[0,0,1]
	v_pk_fma_f32 v[154:155], v[154:155], v[56:57], v[160:161] op_sel:[1,0,0] op_sel_hi:[0,1,0]
	s_delay_alu instid0(VALU_DEP_1) | instskip(SKIP_1) | instid1(VALU_DEP_2)
	v_mov_b32_e32 v159, v155
	v_pk_mul_f32 v[154:155], v[156:157], v[152:153] op_sel:[0,1]
	v_pk_add_f32 v[122:123], v[122:123], v[158:159] neg_lo:[0,1] neg_hi:[0,1]
	s_delay_alu instid0(VALU_DEP_2) | instskip(SKIP_1) | instid1(VALU_DEP_1)
	v_pk_fma_f32 v[158:159], v[156:157], v[150:151], v[154:155] op_sel:[0,0,1] op_sel_hi:[1,1,0] neg_lo:[0,0,1] neg_hi:[0,0,1]
	v_pk_fma_f32 v[154:155], v[156:157], v[150:151], v[154:155] op_sel:[0,0,1] op_sel_hi:[1,0,0]
	v_mov_b32_e32 v159, v155
	ds_load_2addr_b64 v[154:157], v220 offset0:32 offset1:33
	v_pk_add_f32 v[118:119], v[118:119], v[158:159] neg_lo:[0,1] neg_hi:[0,1]
	s_wait_dscnt 0x0
	v_pk_mul_f32 v[158:159], v[154:155], v[152:153] op_sel:[0,1]
	s_delay_alu instid0(VALU_DEP_1) | instskip(SKIP_1) | instid1(VALU_DEP_1)
	v_pk_fma_f32 v[160:161], v[154:155], v[150:151], v[158:159] op_sel:[0,0,1] op_sel_hi:[1,1,0] neg_lo:[0,0,1] neg_hi:[0,0,1]
	v_pk_fma_f32 v[154:155], v[154:155], v[150:151], v[158:159] op_sel:[0,0,1] op_sel_hi:[1,0,0]
	v_mov_b32_e32 v161, v155
	v_pk_mul_f32 v[154:155], v[156:157], v[152:153] op_sel:[0,1]
	s_delay_alu instid0(VALU_DEP_2) | instskip(NEXT) | instid1(VALU_DEP_2)
	v_pk_add_f32 v[136:137], v[136:137], v[160:161] neg_lo:[0,1] neg_hi:[0,1]
	v_pk_fma_f32 v[158:159], v[156:157], v[150:151], v[154:155] op_sel:[0,0,1] op_sel_hi:[1,1,0] neg_lo:[0,0,1] neg_hi:[0,0,1]
	v_pk_fma_f32 v[154:155], v[156:157], v[150:151], v[154:155] op_sel:[0,0,1] op_sel_hi:[1,0,0]
	s_delay_alu instid0(VALU_DEP_1)
	v_mov_b32_e32 v159, v155
	ds_load_2addr_b64 v[154:157], v220 offset0:34 offset1:35
	v_pk_add_f32 v[134:135], v[134:135], v[158:159] neg_lo:[0,1] neg_hi:[0,1]
	s_wait_dscnt 0x0
	v_pk_mul_f32 v[158:159], v[154:155], v[152:153] op_sel:[0,1]
	v_pk_mul_f32 v[152:153], v[156:157], v[152:153] op_sel:[0,1]
	s_delay_alu instid0(VALU_DEP_2) | instskip(SKIP_1) | instid1(VALU_DEP_1)
	v_pk_fma_f32 v[160:161], v[154:155], v[150:151], v[158:159] op_sel:[0,0,1] op_sel_hi:[1,1,0] neg_lo:[0,0,1] neg_hi:[0,0,1]
	v_pk_fma_f32 v[154:155], v[154:155], v[150:151], v[158:159] op_sel:[0,0,1] op_sel_hi:[1,0,0]
	v_mov_b32_e32 v161, v155
	s_delay_alu instid0(VALU_DEP_4) | instskip(SKIP_1) | instid1(VALU_DEP_3)
	v_pk_fma_f32 v[154:155], v[156:157], v[150:151], v[152:153] op_sel:[0,0,1] op_sel_hi:[1,1,0] neg_lo:[0,0,1] neg_hi:[0,0,1]
	v_pk_fma_f32 v[150:151], v[156:157], v[150:151], v[152:153] op_sel:[0,0,1] op_sel_hi:[1,0,0]
	v_pk_add_f32 v[132:133], v[132:133], v[160:161] neg_lo:[0,1] neg_hi:[0,1]
	s_delay_alu instid0(VALU_DEP_2) | instskip(NEXT) | instid1(VALU_DEP_1)
	v_mov_b32_e32 v155, v151
	v_pk_add_f32 v[142:143], v[142:143], v[154:155] neg_lo:[0,1] neg_hi:[0,1]
.LBB71_19:
	s_or_b32 exec_lo, exec_lo, s1
	s_delay_alu instid0(SALU_CYCLE_1)
	s_mov_b32 s2, exec_lo
	s_wait_dscnt 0x0
	s_barrier_signal -1
	s_barrier_wait -1
	v_cmpx_eq_u32_e32 2, v218
	s_cbranch_execz .LBB71_26
; %bb.20:
	ds_store_b64 v219, v[48:49]
	ds_store_2addr_b64 v220, v[46:47], v[28:29] offset0:3 offset1:4
	ds_store_2addr_b64 v220, v[24:25], v[26:27] offset0:5 offset1:6
	;; [unrolled: 1-line block ×16, first 2 shown]
	ds_store_b64 v220, v[142:143] offset:280
	ds_load_b64 v[150:151], v219
	s_wait_dscnt 0x0
	v_cmp_neq_f32_e32 vcc_lo, 0, v150
	v_cmp_neq_f32_e64 s1, 0, v151
	s_or_b32 s1, vcc_lo, s1
	s_delay_alu instid0(SALU_CYCLE_1)
	s_and_b32 exec_lo, exec_lo, s1
	s_cbranch_execz .LBB71_26
; %bb.21:
	v_cmp_ngt_f32_e64 s1, |v150|, |v151|
                                        ; implicit-def: $vgpr152_vgpr153
	s_and_saveexec_b32 s4, s1
	s_delay_alu instid0(SALU_CYCLE_1)
	s_xor_b32 s1, exec_lo, s4
	s_cbranch_execz .LBB71_23
; %bb.22:
	v_div_scale_f32 v152, null, v151, v151, v150
	v_div_scale_f32 v155, vcc_lo, v150, v151, v150
	s_delay_alu instid0(VALU_DEP_2) | instskip(SKIP_1) | instid1(TRANS32_DEP_1)
	v_rcp_f32_e32 v153, v152
	v_nop
	v_fma_f32 v154, -v152, v153, 1.0
	s_delay_alu instid0(VALU_DEP_1) | instskip(NEXT) | instid1(VALU_DEP_1)
	v_fmac_f32_e32 v153, v154, v153
	v_mul_f32_e32 v154, v155, v153
	s_delay_alu instid0(VALU_DEP_1) | instskip(NEXT) | instid1(VALU_DEP_1)
	v_fma_f32 v156, -v152, v154, v155
	v_fmac_f32_e32 v154, v156, v153
	s_delay_alu instid0(VALU_DEP_1) | instskip(NEXT) | instid1(VALU_DEP_1)
	v_fma_f32 v152, -v152, v154, v155
	v_div_fmas_f32 v152, v152, v153, v154
	s_delay_alu instid0(VALU_DEP_1) | instskip(NEXT) | instid1(VALU_DEP_1)
	v_div_fixup_f32 v152, v152, v151, v150
	v_fmac_f32_e32 v151, v150, v152
	s_delay_alu instid0(VALU_DEP_1) | instskip(SKIP_1) | instid1(VALU_DEP_2)
	v_div_scale_f32 v150, null, v151, v151, 1.0
	v_div_scale_f32 v155, vcc_lo, 1.0, v151, 1.0
	v_rcp_f32_e32 v153, v150
	v_nop
	s_delay_alu instid0(TRANS32_DEP_1) | instskip(NEXT) | instid1(VALU_DEP_1)
	v_fma_f32 v154, -v150, v153, 1.0
	v_fmac_f32_e32 v153, v154, v153
	s_delay_alu instid0(VALU_DEP_1) | instskip(NEXT) | instid1(VALU_DEP_1)
	v_mul_f32_e32 v154, v155, v153
	v_fma_f32 v156, -v150, v154, v155
	s_delay_alu instid0(VALU_DEP_1) | instskip(NEXT) | instid1(VALU_DEP_1)
	v_fmac_f32_e32 v154, v156, v153
	v_fma_f32 v150, -v150, v154, v155
	s_delay_alu instid0(VALU_DEP_1) | instskip(NEXT) | instid1(VALU_DEP_1)
	v_div_fmas_f32 v150, v150, v153, v154
	v_div_fixup_f32 v150, v150, v151, 1.0
	s_delay_alu instid0(VALU_DEP_1)
	v_mul_f32_e32 v152, v152, v150
	v_xor_b32_e32 v153, 0x80000000, v150
                                        ; implicit-def: $vgpr150_vgpr151
.LBB71_23:
	s_and_not1_saveexec_b32 s1, s1
	s_cbranch_execz .LBB71_25
; %bb.24:
	v_div_scale_f32 v152, null, v150, v150, v151
	v_div_scale_f32 v155, vcc_lo, v151, v150, v151
	s_delay_alu instid0(VALU_DEP_2) | instskip(SKIP_1) | instid1(TRANS32_DEP_1)
	v_rcp_f32_e32 v153, v152
	v_nop
	v_fma_f32 v154, -v152, v153, 1.0
	s_delay_alu instid0(VALU_DEP_1) | instskip(NEXT) | instid1(VALU_DEP_1)
	v_fmac_f32_e32 v153, v154, v153
	v_mul_f32_e32 v154, v155, v153
	s_delay_alu instid0(VALU_DEP_1) | instskip(NEXT) | instid1(VALU_DEP_1)
	v_fma_f32 v156, -v152, v154, v155
	v_fmac_f32_e32 v154, v156, v153
	s_delay_alu instid0(VALU_DEP_1) | instskip(NEXT) | instid1(VALU_DEP_1)
	v_fma_f32 v152, -v152, v154, v155
	v_div_fmas_f32 v152, v152, v153, v154
	s_delay_alu instid0(VALU_DEP_1) | instskip(NEXT) | instid1(VALU_DEP_1)
	v_div_fixup_f32 v153, v152, v150, v151
	v_fmac_f32_e32 v150, v151, v153
	s_delay_alu instid0(VALU_DEP_1) | instskip(NEXT) | instid1(VALU_DEP_1)
	v_div_scale_f32 v151, null, v150, v150, 1.0
	v_rcp_f32_e32 v152, v151
	v_nop
	s_delay_alu instid0(TRANS32_DEP_1) | instskip(NEXT) | instid1(VALU_DEP_1)
	v_fma_f32 v154, -v151, v152, 1.0
	v_fmac_f32_e32 v152, v154, v152
	v_div_scale_f32 v154, vcc_lo, 1.0, v150, 1.0
	s_delay_alu instid0(VALU_DEP_1) | instskip(NEXT) | instid1(VALU_DEP_1)
	v_mul_f32_e32 v155, v154, v152
	v_fma_f32 v156, -v151, v155, v154
	s_delay_alu instid0(VALU_DEP_1) | instskip(NEXT) | instid1(VALU_DEP_1)
	v_fmac_f32_e32 v155, v156, v152
	v_fma_f32 v151, -v151, v155, v154
	s_delay_alu instid0(VALU_DEP_1) | instskip(NEXT) | instid1(VALU_DEP_1)
	v_div_fmas_f32 v151, v151, v152, v155
	v_div_fixup_f32 v152, v151, v150, 1.0
	s_delay_alu instid0(VALU_DEP_1)
	v_mul_f32_e64 v153, v153, -v152
.LBB71_25:
	s_or_b32 exec_lo, exec_lo, s1
	ds_store_b64 v219, v[152:153]
.LBB71_26:
	s_or_b32 exec_lo, exec_lo, s2
	s_wait_dscnt 0x0
	s_barrier_signal -1
	s_barrier_wait -1
	ds_load_b64 v[150:151], v219
	s_mov_b32 s1, exec_lo
	v_cmpx_lt_u32_e32 2, v218
	s_cbranch_execz .LBB71_28
; %bb.27:
	ds_load_2addr_b64 v[156:159], v220 offset0:3 offset1:4
	s_wait_dscnt 0x1
	v_pk_mul_f32 v[154:155], v[150:151], v[48:49] op_sel:[1,1] op_sel_hi:[0,1]
	s_delay_alu instid0(VALU_DEP_1) | instskip(SKIP_1) | instid1(VALU_DEP_1)
	v_pk_fma_f32 v[152:153], v[150:151], v[48:49], v[154:155] op_sel_hi:[1,0,1] neg_lo:[0,0,1] neg_hi:[0,0,1]
	v_pk_fma_f32 v[154:155], v[150:151], v[48:49], v[154:155] op_sel_hi:[1,0,1]
	v_dual_mov_b32 v48, v152 :: v_dual_mov_b32 v49, v155
	s_wait_dscnt 0x0
	s_delay_alu instid0(VALU_DEP_2) | instskip(NEXT) | instid1(VALU_DEP_1)
	v_pk_mul_f32 v[160:161], v[156:157], v[154:155] op_sel:[0,1]
	v_pk_fma_f32 v[162:163], v[156:157], v[152:153], v[160:161] op_sel:[0,0,1] op_sel_hi:[1,1,0] neg_lo:[0,0,1] neg_hi:[0,0,1]
	v_pk_fma_f32 v[156:157], v[156:157], v[152:153], v[160:161] op_sel:[0,0,1] op_sel_hi:[1,0,0]
	s_delay_alu instid0(VALU_DEP_1) | instskip(SKIP_1) | instid1(VALU_DEP_1)
	v_mov_b32_e32 v163, v157
	v_pk_mul_f32 v[156:157], v[158:159], v[154:155] op_sel:[0,1]
	v_pk_fma_f32 v[160:161], v[158:159], v[152:153], v[156:157] op_sel:[0,0,1] op_sel_hi:[1,1,0] neg_lo:[0,0,1] neg_hi:[0,0,1]
	v_pk_fma_f32 v[156:157], v[158:159], v[152:153], v[156:157] op_sel:[0,0,1] op_sel_hi:[1,0,0]
	s_delay_alu instid0(VALU_DEP_1)
	v_mov_b32_e32 v161, v157
	ds_load_2addr_b64 v[156:159], v220 offset0:5 offset1:6
	v_pk_add_f32 v[46:47], v[46:47], v[162:163] neg_lo:[0,1] neg_hi:[0,1]
	v_pk_add_f32 v[28:29], v[28:29], v[160:161] neg_lo:[0,1] neg_hi:[0,1]
	s_wait_dscnt 0x0
	v_pk_mul_f32 v[160:161], v[156:157], v[154:155] op_sel:[0,1]
	s_delay_alu instid0(VALU_DEP_1) | instskip(SKIP_2) | instid1(VALU_DEP_2)
	v_pk_fma_f32 v[162:163], v[156:157], v[152:153], v[160:161] op_sel:[0,0,1] op_sel_hi:[1,1,0] neg_lo:[0,0,1] neg_hi:[0,0,1]
	v_pk_fma_f32 v[156:157], v[156:157], v[152:153], v[160:161] op_sel:[0,0,1] op_sel_hi:[1,0,0]
	v_dual_mul_f32 v160, v159, v155 :: v_dual_mov_b32 v156, v159
	v_dual_mov_b32 v163, v157 :: v_dual_mov_b32 v157, v158
	s_delay_alu instid0(VALU_DEP_2) | instskip(SKIP_1) | instid1(VALU_DEP_3)
	v_pk_fma_f32 v[160:161], v[158:159], v[48:49], v[160:161] op_sel_hi:[1,1,0] neg_lo:[0,0,1] neg_hi:[0,0,1]
	v_mul_f32_e32 v158, v159, v152
	v_pk_add_f32 v[24:25], v[24:25], v[162:163] neg_lo:[0,1] neg_hi:[0,1]
	s_delay_alu instid0(VALU_DEP_2) | instskip(NEXT) | instid1(VALU_DEP_1)
	v_pk_fma_f32 v[156:157], v[156:157], v[48:49], v[158:159] op_sel_hi:[1,1,0]
	v_mov_b32_e32 v161, v157
	ds_load_2addr_b64 v[156:159], v220 offset0:7 offset1:8
	v_pk_add_f32 v[26:27], v[26:27], v[160:161] neg_lo:[0,1] neg_hi:[0,1]
	s_wait_dscnt 0x0
	v_pk_mul_f32 v[160:161], v[156:157], v[154:155] op_sel:[0,1]
	s_delay_alu instid0(VALU_DEP_1) | instskip(SKIP_1) | instid1(VALU_DEP_1)
	v_pk_fma_f32 v[162:163], v[156:157], v[152:153], v[160:161] op_sel:[0,0,1] op_sel_hi:[1,1,0] neg_lo:[0,0,1] neg_hi:[0,0,1]
	v_pk_fma_f32 v[156:157], v[156:157], v[152:153], v[160:161] op_sel:[0,0,1] op_sel_hi:[1,0,0]
	v_mov_b32_e32 v163, v157
	v_pk_mul_f32 v[156:157], v[158:159], v[154:155] op_sel:[0,1]
	s_delay_alu instid0(VALU_DEP_1) | instskip(SKIP_1) | instid1(VALU_DEP_1)
	v_pk_fma_f32 v[160:161], v[158:159], v[152:153], v[156:157] op_sel:[0,0,1] op_sel_hi:[1,1,0] neg_lo:[0,0,1] neg_hi:[0,0,1]
	v_pk_fma_f32 v[156:157], v[158:159], v[152:153], v[156:157] op_sel:[0,0,1] op_sel_hi:[1,0,0]
	v_mov_b32_e32 v161, v157
	ds_load_2addr_b64 v[156:159], v220 offset0:9 offset1:10
	v_pk_add_f32 v[22:23], v[22:23], v[162:163] neg_lo:[0,1] neg_hi:[0,1]
	v_pk_add_f32 v[42:43], v[42:43], v[160:161] neg_lo:[0,1] neg_hi:[0,1]
	s_wait_dscnt 0x0
	v_pk_mul_f32 v[160:161], v[156:157], v[154:155] op_sel:[0,1]
	s_delay_alu instid0(VALU_DEP_1) | instskip(SKIP_1) | instid1(VALU_DEP_1)
	v_pk_fma_f32 v[162:163], v[156:157], v[152:153], v[160:161] op_sel:[0,0,1] op_sel_hi:[1,1,0] neg_lo:[0,0,1] neg_hi:[0,0,1]
	v_pk_fma_f32 v[156:157], v[156:157], v[152:153], v[160:161] op_sel:[0,0,1] op_sel_hi:[1,0,0]
	v_mov_b32_e32 v163, v157
	v_pk_mul_f32 v[156:157], v[158:159], v[154:155] op_sel:[0,1]
	s_delay_alu instid0(VALU_DEP_1) | instskip(SKIP_1) | instid1(VALU_DEP_1)
	v_pk_fma_f32 v[160:161], v[158:159], v[152:153], v[156:157] op_sel:[0,0,1] op_sel_hi:[1,1,0] neg_lo:[0,0,1] neg_hi:[0,0,1]
	v_pk_fma_f32 v[156:157], v[158:159], v[152:153], v[156:157] op_sel:[0,0,1] op_sel_hi:[1,0,0]
	v_mov_b32_e32 v161, v157
	ds_load_2addr_b64 v[156:159], v220 offset0:11 offset1:12
	v_pk_add_f32 v[38:39], v[38:39], v[162:163] neg_lo:[0,1] neg_hi:[0,1]
	v_pk_add_f32 v[40:41], v[40:41], v[160:161] neg_lo:[0,1] neg_hi:[0,1]
	s_wait_dscnt 0x0
	v_dual_mul_f32 v160, v157, v155 :: v_dual_mul_f32 v162, v157, v152
	s_delay_alu instid0(VALU_DEP_1) | instskip(NEXT) | instid1(VALU_DEP_2)
	v_pk_fma_f32 v[160:161], v[156:157], v[48:49], v[160:161] op_sel_hi:[1,1,0] neg_lo:[0,0,1] neg_hi:[0,0,1]
	v_pk_fma_f32 v[156:157], v[156:157], v[48:49], v[162:163] op_sel:[1,0,0] op_sel_hi:[0,1,0]
	s_delay_alu instid0(VALU_DEP_1) | instskip(SKIP_1) | instid1(VALU_DEP_2)
	v_mov_b32_e32 v161, v157
	v_pk_mul_f32 v[156:157], v[158:159], v[154:155] op_sel:[0,1]
	v_pk_add_f32 v[36:37], v[36:37], v[160:161] neg_lo:[0,1] neg_hi:[0,1]
	s_delay_alu instid0(VALU_DEP_2) | instskip(SKIP_1) | instid1(VALU_DEP_1)
	v_pk_fma_f32 v[160:161], v[158:159], v[152:153], v[156:157] op_sel:[0,0,1] op_sel_hi:[1,1,0] neg_lo:[0,0,1] neg_hi:[0,0,1]
	v_pk_fma_f32 v[156:157], v[158:159], v[152:153], v[156:157] op_sel:[0,0,1] op_sel_hi:[1,0,0]
	v_mov_b32_e32 v161, v157
	ds_load_2addr_b64 v[156:159], v220 offset0:13 offset1:14
	v_pk_add_f32 v[62:63], v[62:63], v[160:161] neg_lo:[0,1] neg_hi:[0,1]
	s_wait_dscnt 0x0
	v_pk_mul_f32 v[160:161], v[156:157], v[154:155] op_sel:[0,1]
	s_delay_alu instid0(VALU_DEP_1) | instskip(SKIP_1) | instid1(VALU_DEP_1)
	v_pk_fma_f32 v[162:163], v[156:157], v[152:153], v[160:161] op_sel:[0,0,1] op_sel_hi:[1,1,0] neg_lo:[0,0,1] neg_hi:[0,0,1]
	v_pk_fma_f32 v[156:157], v[156:157], v[152:153], v[160:161] op_sel:[0,0,1] op_sel_hi:[1,0,0]
	v_mov_b32_e32 v163, v157
	v_pk_mul_f32 v[156:157], v[158:159], v[154:155] op_sel:[0,1]
	s_delay_alu instid0(VALU_DEP_2) | instskip(NEXT) | instid1(VALU_DEP_2)
	v_pk_add_f32 v[58:59], v[58:59], v[162:163] neg_lo:[0,1] neg_hi:[0,1]
	v_pk_fma_f32 v[160:161], v[158:159], v[152:153], v[156:157] op_sel:[0,0,1] op_sel_hi:[1,1,0] neg_lo:[0,0,1] neg_hi:[0,0,1]
	v_pk_fma_f32 v[156:157], v[158:159], v[152:153], v[156:157] op_sel:[0,0,1] op_sel_hi:[1,0,0]
	s_delay_alu instid0(VALU_DEP_1) | instskip(SKIP_4) | instid1(VALU_DEP_1)
	v_mov_b32_e32 v161, v157
	ds_load_2addr_b64 v[156:159], v220 offset0:15 offset1:16
	v_pk_add_f32 v[60:61], v[60:61], v[160:161] neg_lo:[0,1] neg_hi:[0,1]
	s_wait_dscnt 0x0
	v_pk_mul_f32 v[160:161], v[156:157], v[154:155] op_sel:[0,1]
	v_pk_fma_f32 v[162:163], v[156:157], v[152:153], v[160:161] op_sel:[0,0,1] op_sel_hi:[1,1,0] neg_lo:[0,0,1] neg_hi:[0,0,1]
	v_pk_fma_f32 v[156:157], v[156:157], v[152:153], v[160:161] op_sel:[0,0,1] op_sel_hi:[1,0,0]
	v_dual_mul_f32 v160, v159, v155 :: v_dual_mov_b32 v156, v159
	s_delay_alu instid0(VALU_DEP_2) | instskip(NEXT) | instid1(VALU_DEP_2)
	v_dual_mov_b32 v163, v157 :: v_dual_mov_b32 v157, v158
	v_pk_fma_f32 v[160:161], v[158:159], v[48:49], v[160:161] op_sel_hi:[1,1,0] neg_lo:[0,0,1] neg_hi:[0,0,1]
	v_mul_f32_e32 v158, v159, v152
	s_delay_alu instid0(VALU_DEP_3) | instskip(NEXT) | instid1(VALU_DEP_2)
	v_pk_add_f32 v[92:93], v[92:93], v[162:163] neg_lo:[0,1] neg_hi:[0,1]
	v_pk_fma_f32 v[156:157], v[156:157], v[48:49], v[158:159] op_sel_hi:[1,1,0]
	s_delay_alu instid0(VALU_DEP_1) | instskip(SKIP_4) | instid1(VALU_DEP_1)
	v_mov_b32_e32 v161, v157
	ds_load_2addr_b64 v[156:159], v220 offset0:17 offset1:18
	v_pk_add_f32 v[90:91], v[90:91], v[160:161] neg_lo:[0,1] neg_hi:[0,1]
	s_wait_dscnt 0x0
	v_pk_mul_f32 v[160:161], v[156:157], v[154:155] op_sel:[0,1]
	v_pk_fma_f32 v[162:163], v[156:157], v[152:153], v[160:161] op_sel:[0,0,1] op_sel_hi:[1,1,0] neg_lo:[0,0,1] neg_hi:[0,0,1]
	v_pk_fma_f32 v[156:157], v[156:157], v[152:153], v[160:161] op_sel:[0,0,1] op_sel_hi:[1,0,0]
	s_delay_alu instid0(VALU_DEP_1) | instskip(SKIP_1) | instid1(VALU_DEP_1)
	v_mov_b32_e32 v163, v157
	v_pk_mul_f32 v[156:157], v[158:159], v[154:155] op_sel:[0,1]
	v_pk_fma_f32 v[160:161], v[158:159], v[152:153], v[156:157] op_sel:[0,0,1] op_sel_hi:[1,1,0] neg_lo:[0,0,1] neg_hi:[0,0,1]
	v_pk_fma_f32 v[156:157], v[158:159], v[152:153], v[156:157] op_sel:[0,0,1] op_sel_hi:[1,0,0]
	s_delay_alu instid0(VALU_DEP_1)
	v_mov_b32_e32 v161, v157
	ds_load_2addr_b64 v[156:159], v220 offset0:19 offset1:20
	v_pk_add_f32 v[114:115], v[114:115], v[162:163] neg_lo:[0,1] neg_hi:[0,1]
	v_pk_add_f32 v[116:117], v[116:117], v[160:161] neg_lo:[0,1] neg_hi:[0,1]
	s_wait_dscnt 0x0
	v_pk_mul_f32 v[160:161], v[156:157], v[154:155] op_sel:[0,1]
	s_delay_alu instid0(VALU_DEP_1) | instskip(SKIP_1) | instid1(VALU_DEP_1)
	v_pk_fma_f32 v[162:163], v[156:157], v[152:153], v[160:161] op_sel:[0,0,1] op_sel_hi:[1,1,0] neg_lo:[0,0,1] neg_hi:[0,0,1]
	v_pk_fma_f32 v[156:157], v[156:157], v[152:153], v[160:161] op_sel:[0,0,1] op_sel_hi:[1,0,0]
	v_mov_b32_e32 v163, v157
	v_pk_mul_f32 v[156:157], v[158:159], v[154:155] op_sel:[0,1]
	s_delay_alu instid0(VALU_DEP_1) | instskip(SKIP_1) | instid1(VALU_DEP_1)
	v_pk_fma_f32 v[160:161], v[158:159], v[152:153], v[156:157] op_sel:[0,0,1] op_sel_hi:[1,1,0] neg_lo:[0,0,1] neg_hi:[0,0,1]
	v_pk_fma_f32 v[156:157], v[158:159], v[152:153], v[156:157] op_sel:[0,0,1] op_sel_hi:[1,0,0]
	v_mov_b32_e32 v161, v157
	ds_load_2addr_b64 v[156:159], v220 offset0:21 offset1:22
	v_pk_add_f32 v[112:113], v[112:113], v[162:163] neg_lo:[0,1] neg_hi:[0,1]
	v_pk_add_f32 v[102:103], v[102:103], v[160:161] neg_lo:[0,1] neg_hi:[0,1]
	s_wait_dscnt 0x0
	v_dual_mul_f32 v160, v157, v155 :: v_dual_mul_f32 v162, v157, v152
	s_delay_alu instid0(VALU_DEP_1) | instskip(NEXT) | instid1(VALU_DEP_2)
	v_pk_fma_f32 v[160:161], v[156:157], v[48:49], v[160:161] op_sel_hi:[1,1,0] neg_lo:[0,0,1] neg_hi:[0,0,1]
	v_pk_fma_f32 v[156:157], v[156:157], v[48:49], v[162:163] op_sel:[1,0,0] op_sel_hi:[0,1,0]
	s_delay_alu instid0(VALU_DEP_1) | instskip(SKIP_1) | instid1(VALU_DEP_2)
	v_mov_b32_e32 v161, v157
	v_pk_mul_f32 v[156:157], v[158:159], v[154:155] op_sel:[0,1]
	v_pk_add_f32 v[128:129], v[128:129], v[160:161] neg_lo:[0,1] neg_hi:[0,1]
	s_delay_alu instid0(VALU_DEP_2) | instskip(SKIP_1) | instid1(VALU_DEP_1)
	v_pk_fma_f32 v[160:161], v[158:159], v[152:153], v[156:157] op_sel:[0,0,1] op_sel_hi:[1,1,0] neg_lo:[0,0,1] neg_hi:[0,0,1]
	v_pk_fma_f32 v[156:157], v[158:159], v[152:153], v[156:157] op_sel:[0,0,1] op_sel_hi:[1,0,0]
	v_mov_b32_e32 v161, v157
	ds_load_2addr_b64 v[156:159], v220 offset0:23 offset1:24
	v_pk_add_f32 v[130:131], v[130:131], v[160:161] neg_lo:[0,1] neg_hi:[0,1]
	s_wait_dscnt 0x0
	v_pk_mul_f32 v[160:161], v[156:157], v[154:155] op_sel:[0,1]
	s_delay_alu instid0(VALU_DEP_1) | instskip(SKIP_1) | instid1(VALU_DEP_1)
	v_pk_fma_f32 v[162:163], v[156:157], v[152:153], v[160:161] op_sel:[0,0,1] op_sel_hi:[1,1,0] neg_lo:[0,0,1] neg_hi:[0,0,1]
	v_pk_fma_f32 v[156:157], v[156:157], v[152:153], v[160:161] op_sel:[0,0,1] op_sel_hi:[1,0,0]
	v_mov_b32_e32 v163, v157
	v_pk_mul_f32 v[156:157], v[158:159], v[154:155] op_sel:[0,1]
	s_delay_alu instid0(VALU_DEP_2) | instskip(NEXT) | instid1(VALU_DEP_2)
	v_pk_add_f32 v[126:127], v[126:127], v[162:163] neg_lo:[0,1] neg_hi:[0,1]
	v_pk_fma_f32 v[160:161], v[158:159], v[152:153], v[156:157] op_sel:[0,0,1] op_sel_hi:[1,1,0] neg_lo:[0,0,1] neg_hi:[0,0,1]
	v_pk_fma_f32 v[156:157], v[158:159], v[152:153], v[156:157] op_sel:[0,0,1] op_sel_hi:[1,0,0]
	s_delay_alu instid0(VALU_DEP_1) | instskip(SKIP_4) | instid1(VALU_DEP_1)
	v_mov_b32_e32 v161, v157
	ds_load_2addr_b64 v[156:159], v220 offset0:25 offset1:26
	v_pk_add_f32 v[144:145], v[144:145], v[160:161] neg_lo:[0,1] neg_hi:[0,1]
	s_wait_dscnt 0x0
	v_pk_mul_f32 v[160:161], v[156:157], v[154:155] op_sel:[0,1]
	v_pk_fma_f32 v[162:163], v[156:157], v[152:153], v[160:161] op_sel:[0,0,1] op_sel_hi:[1,1,0] neg_lo:[0,0,1] neg_hi:[0,0,1]
	v_pk_fma_f32 v[156:157], v[156:157], v[152:153], v[160:161] op_sel:[0,0,1] op_sel_hi:[1,0,0]
	v_dual_mul_f32 v160, v159, v155 :: v_dual_mov_b32 v156, v159
	s_delay_alu instid0(VALU_DEP_2) | instskip(NEXT) | instid1(VALU_DEP_2)
	v_dual_mov_b32 v163, v157 :: v_dual_mov_b32 v157, v158
	v_pk_fma_f32 v[160:161], v[158:159], v[48:49], v[160:161] op_sel_hi:[1,1,0] neg_lo:[0,0,1] neg_hi:[0,0,1]
	v_mul_f32_e32 v158, v159, v152
	s_delay_alu instid0(VALU_DEP_3) | instskip(NEXT) | instid1(VALU_DEP_2)
	v_pk_add_f32 v[138:139], v[138:139], v[162:163] neg_lo:[0,1] neg_hi:[0,1]
	v_pk_fma_f32 v[156:157], v[156:157], v[48:49], v[158:159] op_sel_hi:[1,1,0]
	s_delay_alu instid0(VALU_DEP_1) | instskip(SKIP_4) | instid1(VALU_DEP_1)
	v_mov_b32_e32 v161, v157
	ds_load_2addr_b64 v[156:159], v220 offset0:27 offset1:28
	v_pk_add_f32 v[140:141], v[140:141], v[160:161] neg_lo:[0,1] neg_hi:[0,1]
	s_wait_dscnt 0x0
	v_pk_mul_f32 v[160:161], v[156:157], v[154:155] op_sel:[0,1]
	v_pk_fma_f32 v[162:163], v[156:157], v[152:153], v[160:161] op_sel:[0,0,1] op_sel_hi:[1,1,0] neg_lo:[0,0,1] neg_hi:[0,0,1]
	v_pk_fma_f32 v[156:157], v[156:157], v[152:153], v[160:161] op_sel:[0,0,1] op_sel_hi:[1,0,0]
	s_delay_alu instid0(VALU_DEP_1) | instskip(SKIP_1) | instid1(VALU_DEP_1)
	v_mov_b32_e32 v163, v157
	v_pk_mul_f32 v[156:157], v[158:159], v[154:155] op_sel:[0,1]
	v_pk_fma_f32 v[160:161], v[158:159], v[152:153], v[156:157] op_sel:[0,0,1] op_sel_hi:[1,1,0] neg_lo:[0,0,1] neg_hi:[0,0,1]
	v_pk_fma_f32 v[156:157], v[158:159], v[152:153], v[156:157] op_sel:[0,0,1] op_sel_hi:[1,0,0]
	s_delay_alu instid0(VALU_DEP_1)
	v_mov_b32_e32 v161, v157
	ds_load_2addr_b64 v[156:159], v220 offset0:29 offset1:30
	v_pk_add_f32 v[98:99], v[98:99], v[162:163] neg_lo:[0,1] neg_hi:[0,1]
	v_pk_add_f32 v[124:125], v[124:125], v[160:161] neg_lo:[0,1] neg_hi:[0,1]
	s_wait_dscnt 0x0
	v_pk_mul_f32 v[160:161], v[156:157], v[154:155] op_sel:[0,1]
	s_delay_alu instid0(VALU_DEP_1) | instskip(SKIP_1) | instid1(VALU_DEP_1)
	v_pk_fma_f32 v[162:163], v[156:157], v[152:153], v[160:161] op_sel:[0,0,1] op_sel_hi:[1,1,0] neg_lo:[0,0,1] neg_hi:[0,0,1]
	v_pk_fma_f32 v[156:157], v[156:157], v[152:153], v[160:161] op_sel:[0,0,1] op_sel_hi:[1,0,0]
	v_mov_b32_e32 v163, v157
	v_pk_mul_f32 v[156:157], v[158:159], v[154:155] op_sel:[0,1]
	s_delay_alu instid0(VALU_DEP_1) | instskip(SKIP_1) | instid1(VALU_DEP_1)
	v_pk_fma_f32 v[160:161], v[158:159], v[152:153], v[156:157] op_sel:[0,0,1] op_sel_hi:[1,1,0] neg_lo:[0,0,1] neg_hi:[0,0,1]
	v_pk_fma_f32 v[156:157], v[158:159], v[152:153], v[156:157] op_sel:[0,0,1] op_sel_hi:[1,0,0]
	v_mov_b32_e32 v161, v157
	ds_load_2addr_b64 v[156:159], v220 offset0:31 offset1:32
	v_pk_add_f32 v[120:121], v[120:121], v[162:163] neg_lo:[0,1] neg_hi:[0,1]
	v_pk_add_f32 v[122:123], v[122:123], v[160:161] neg_lo:[0,1] neg_hi:[0,1]
	s_wait_dscnt 0x0
	v_dual_mul_f32 v160, v157, v155 :: v_dual_mul_f32 v162, v157, v152
	s_delay_alu instid0(VALU_DEP_1) | instskip(NEXT) | instid1(VALU_DEP_2)
	v_pk_fma_f32 v[160:161], v[156:157], v[48:49], v[160:161] op_sel_hi:[1,1,0] neg_lo:[0,0,1] neg_hi:[0,0,1]
	v_pk_fma_f32 v[156:157], v[156:157], v[48:49], v[162:163] op_sel:[1,0,0] op_sel_hi:[0,1,0]
	s_delay_alu instid0(VALU_DEP_1) | instskip(SKIP_1) | instid1(VALU_DEP_2)
	v_mov_b32_e32 v161, v157
	v_pk_mul_f32 v[156:157], v[158:159], v[154:155] op_sel:[0,1]
	v_pk_add_f32 v[118:119], v[118:119], v[160:161] neg_lo:[0,1] neg_hi:[0,1]
	s_delay_alu instid0(VALU_DEP_2) | instskip(SKIP_1) | instid1(VALU_DEP_1)
	v_pk_fma_f32 v[160:161], v[158:159], v[152:153], v[156:157] op_sel:[0,0,1] op_sel_hi:[1,1,0] neg_lo:[0,0,1] neg_hi:[0,0,1]
	v_pk_fma_f32 v[156:157], v[158:159], v[152:153], v[156:157] op_sel:[0,0,1] op_sel_hi:[1,0,0]
	v_mov_b32_e32 v161, v157
	ds_load_2addr_b64 v[156:159], v220 offset0:33 offset1:34
	v_pk_add_f32 v[136:137], v[136:137], v[160:161] neg_lo:[0,1] neg_hi:[0,1]
	s_wait_dscnt 0x0
	v_pk_mul_f32 v[160:161], v[156:157], v[154:155] op_sel:[0,1]
	s_delay_alu instid0(VALU_DEP_1) | instskip(SKIP_1) | instid1(VALU_DEP_1)
	v_pk_fma_f32 v[162:163], v[156:157], v[152:153], v[160:161] op_sel:[0,0,1] op_sel_hi:[1,1,0] neg_lo:[0,0,1] neg_hi:[0,0,1]
	v_pk_fma_f32 v[156:157], v[156:157], v[152:153], v[160:161] op_sel:[0,0,1] op_sel_hi:[1,0,0]
	v_mov_b32_e32 v163, v157
	v_pk_mul_f32 v[156:157], v[158:159], v[154:155] op_sel:[0,1]
	s_delay_alu instid0(VALU_DEP_2) | instskip(NEXT) | instid1(VALU_DEP_2)
	v_pk_add_f32 v[134:135], v[134:135], v[162:163] neg_lo:[0,1] neg_hi:[0,1]
	v_pk_fma_f32 v[160:161], v[158:159], v[152:153], v[156:157] op_sel:[0,0,1] op_sel_hi:[1,1,0] neg_lo:[0,0,1] neg_hi:[0,0,1]
	v_pk_fma_f32 v[156:157], v[158:159], v[152:153], v[156:157] op_sel:[0,0,1] op_sel_hi:[1,0,0]
	s_delay_alu instid0(VALU_DEP_1) | instskip(SKIP_4) | instid1(VALU_DEP_1)
	v_mov_b32_e32 v161, v157
	ds_load_b64 v[156:157], v220 offset:280
	v_pk_add_f32 v[132:133], v[132:133], v[160:161] neg_lo:[0,1] neg_hi:[0,1]
	s_wait_dscnt 0x0
	v_pk_mul_f32 v[154:155], v[156:157], v[154:155] op_sel:[0,1]
	v_pk_fma_f32 v[158:159], v[156:157], v[152:153], v[154:155] op_sel:[0,0,1] op_sel_hi:[1,1,0] neg_lo:[0,0,1] neg_hi:[0,0,1]
	v_pk_fma_f32 v[152:153], v[156:157], v[152:153], v[154:155] op_sel:[0,0,1] op_sel_hi:[1,0,0]
	s_delay_alu instid0(VALU_DEP_1) | instskip(NEXT) | instid1(VALU_DEP_1)
	v_mov_b32_e32 v159, v153
	v_pk_add_f32 v[142:143], v[142:143], v[158:159] neg_lo:[0,1] neg_hi:[0,1]
.LBB71_28:
	s_or_b32 exec_lo, exec_lo, s1
	s_delay_alu instid0(SALU_CYCLE_1)
	s_mov_b32 s2, exec_lo
	s_wait_dscnt 0x0
	s_barrier_signal -1
	s_barrier_wait -1
	v_cmpx_eq_u32_e32 3, v218
	s_cbranch_execz .LBB71_35
; %bb.29:
	v_dual_mov_b32 v152, v28 :: v_dual_mov_b32 v153, v29
	v_dual_mov_b32 v154, v24 :: v_dual_mov_b32 v155, v25
	;; [unrolled: 1-line block ×8, first 2 shown]
	ds_store_b64 v219, v[46:47]
	ds_store_2addr_b64 v220, v[152:153], v[154:155] offset0:4 offset1:5
	ds_store_2addr_b64 v220, v[156:157], v[158:159] offset0:6 offset1:7
	;; [unrolled: 1-line block ×4, first 2 shown]
	v_dual_mov_b32 v152, v62 :: v_dual_mov_b32 v153, v63
	v_dual_mov_b32 v154, v58 :: v_dual_mov_b32 v155, v59
	v_dual_mov_b32 v156, v60 :: v_dual_mov_b32 v157, v61
	v_dual_mov_b32 v158, v92 :: v_dual_mov_b32 v159, v93
	v_dual_mov_b32 v160, v90 :: v_dual_mov_b32 v161, v91
	v_dual_mov_b32 v162, v114 :: v_dual_mov_b32 v163, v115
	v_dual_mov_b32 v164, v116 :: v_dual_mov_b32 v165, v117
	v_dual_mov_b32 v166, v112 :: v_dual_mov_b32 v167, v113
	v_dual_mov_b32 v168, v102 :: v_dual_mov_b32 v169, v103
	v_dual_mov_b32 v170, v128 :: v_dual_mov_b32 v171, v129
	v_dual_mov_b32 v172, v130 :: v_dual_mov_b32 v173, v131
	v_dual_mov_b32 v174, v126 :: v_dual_mov_b32 v175, v127
	ds_store_2addr_b64 v220, v[152:153], v[154:155] offset0:12 offset1:13
	ds_store_2addr_b64 v220, v[156:157], v[158:159] offset0:14 offset1:15
	;; [unrolled: 1-line block ×6, first 2 shown]
	v_dual_mov_b32 v152, v144 :: v_dual_mov_b32 v153, v145
	v_dual_mov_b32 v154, v138 :: v_dual_mov_b32 v155, v139
	;; [unrolled: 1-line block ×11, first 2 shown]
	ds_store_2addr_b64 v220, v[152:153], v[154:155] offset0:24 offset1:25
	ds_store_2addr_b64 v220, v[156:157], v[158:159] offset0:26 offset1:27
	;; [unrolled: 1-line block ×6, first 2 shown]
	ds_load_b64 v[152:153], v219
	s_wait_dscnt 0x0
	v_cmp_neq_f32_e32 vcc_lo, 0, v152
	v_cmp_neq_f32_e64 s1, 0, v153
	s_or_b32 s1, vcc_lo, s1
	s_delay_alu instid0(SALU_CYCLE_1)
	s_and_b32 exec_lo, exec_lo, s1
	s_cbranch_execz .LBB71_35
; %bb.30:
	v_cmp_ngt_f32_e64 s1, |v152|, |v153|
                                        ; implicit-def: $vgpr154_vgpr155
	s_and_saveexec_b32 s4, s1
	s_delay_alu instid0(SALU_CYCLE_1)
	s_xor_b32 s1, exec_lo, s4
	s_cbranch_execz .LBB71_32
; %bb.31:
	v_div_scale_f32 v154, null, v153, v153, v152
	v_div_scale_f32 v157, vcc_lo, v152, v153, v152
	s_delay_alu instid0(VALU_DEP_2) | instskip(SKIP_1) | instid1(TRANS32_DEP_1)
	v_rcp_f32_e32 v155, v154
	v_nop
	v_fma_f32 v156, -v154, v155, 1.0
	s_delay_alu instid0(VALU_DEP_1) | instskip(NEXT) | instid1(VALU_DEP_1)
	v_fmac_f32_e32 v155, v156, v155
	v_mul_f32_e32 v156, v157, v155
	s_delay_alu instid0(VALU_DEP_1) | instskip(NEXT) | instid1(VALU_DEP_1)
	v_fma_f32 v158, -v154, v156, v157
	v_fmac_f32_e32 v156, v158, v155
	s_delay_alu instid0(VALU_DEP_1) | instskip(NEXT) | instid1(VALU_DEP_1)
	v_fma_f32 v154, -v154, v156, v157
	v_div_fmas_f32 v154, v154, v155, v156
	s_delay_alu instid0(VALU_DEP_1) | instskip(NEXT) | instid1(VALU_DEP_1)
	v_div_fixup_f32 v154, v154, v153, v152
	v_fmac_f32_e32 v153, v152, v154
	s_delay_alu instid0(VALU_DEP_1) | instskip(SKIP_1) | instid1(VALU_DEP_2)
	v_div_scale_f32 v152, null, v153, v153, 1.0
	v_div_scale_f32 v157, vcc_lo, 1.0, v153, 1.0
	v_rcp_f32_e32 v155, v152
	v_nop
	s_delay_alu instid0(TRANS32_DEP_1) | instskip(NEXT) | instid1(VALU_DEP_1)
	v_fma_f32 v156, -v152, v155, 1.0
	v_fmac_f32_e32 v155, v156, v155
	s_delay_alu instid0(VALU_DEP_1) | instskip(NEXT) | instid1(VALU_DEP_1)
	v_mul_f32_e32 v156, v157, v155
	v_fma_f32 v158, -v152, v156, v157
	s_delay_alu instid0(VALU_DEP_1) | instskip(NEXT) | instid1(VALU_DEP_1)
	v_fmac_f32_e32 v156, v158, v155
	v_fma_f32 v152, -v152, v156, v157
	s_delay_alu instid0(VALU_DEP_1) | instskip(NEXT) | instid1(VALU_DEP_1)
	v_div_fmas_f32 v152, v152, v155, v156
	v_div_fixup_f32 v152, v152, v153, 1.0
	s_delay_alu instid0(VALU_DEP_1)
	v_mul_f32_e32 v154, v154, v152
	v_xor_b32_e32 v155, 0x80000000, v152
                                        ; implicit-def: $vgpr152_vgpr153
.LBB71_32:
	s_and_not1_saveexec_b32 s1, s1
	s_cbranch_execz .LBB71_34
; %bb.33:
	v_div_scale_f32 v154, null, v152, v152, v153
	v_div_scale_f32 v157, vcc_lo, v153, v152, v153
	s_delay_alu instid0(VALU_DEP_2) | instskip(SKIP_1) | instid1(TRANS32_DEP_1)
	v_rcp_f32_e32 v155, v154
	v_nop
	v_fma_f32 v156, -v154, v155, 1.0
	s_delay_alu instid0(VALU_DEP_1) | instskip(NEXT) | instid1(VALU_DEP_1)
	v_fmac_f32_e32 v155, v156, v155
	v_mul_f32_e32 v156, v157, v155
	s_delay_alu instid0(VALU_DEP_1) | instskip(NEXT) | instid1(VALU_DEP_1)
	v_fma_f32 v158, -v154, v156, v157
	v_fmac_f32_e32 v156, v158, v155
	s_delay_alu instid0(VALU_DEP_1) | instskip(NEXT) | instid1(VALU_DEP_1)
	v_fma_f32 v154, -v154, v156, v157
	v_div_fmas_f32 v154, v154, v155, v156
	s_delay_alu instid0(VALU_DEP_1) | instskip(NEXT) | instid1(VALU_DEP_1)
	v_div_fixup_f32 v155, v154, v152, v153
	v_fmac_f32_e32 v152, v153, v155
	s_delay_alu instid0(VALU_DEP_1) | instskip(NEXT) | instid1(VALU_DEP_1)
	v_div_scale_f32 v153, null, v152, v152, 1.0
	v_rcp_f32_e32 v154, v153
	v_nop
	s_delay_alu instid0(TRANS32_DEP_1) | instskip(NEXT) | instid1(VALU_DEP_1)
	v_fma_f32 v156, -v153, v154, 1.0
	v_fmac_f32_e32 v154, v156, v154
	v_div_scale_f32 v156, vcc_lo, 1.0, v152, 1.0
	s_delay_alu instid0(VALU_DEP_1) | instskip(NEXT) | instid1(VALU_DEP_1)
	v_mul_f32_e32 v157, v156, v154
	v_fma_f32 v158, -v153, v157, v156
	s_delay_alu instid0(VALU_DEP_1) | instskip(NEXT) | instid1(VALU_DEP_1)
	v_fmac_f32_e32 v157, v158, v154
	v_fma_f32 v153, -v153, v157, v156
	s_delay_alu instid0(VALU_DEP_1) | instskip(NEXT) | instid1(VALU_DEP_1)
	v_div_fmas_f32 v153, v153, v154, v157
	v_div_fixup_f32 v154, v153, v152, 1.0
	s_delay_alu instid0(VALU_DEP_1)
	v_mul_f32_e64 v155, v155, -v154
.LBB71_34:
	s_or_b32 exec_lo, exec_lo, s1
	ds_store_b64 v219, v[154:155]
.LBB71_35:
	s_or_b32 exec_lo, exec_lo, s2
	s_wait_dscnt 0x0
	s_barrier_signal -1
	s_barrier_wait -1
	ds_load_b64 v[152:153], v219
	s_mov_b32 s1, exec_lo
	v_cmpx_lt_u32_e32 3, v218
	s_cbranch_execz .LBB71_37
; %bb.36:
	ds_load_2addr_b64 v[158:161], v220 offset0:4 offset1:5
	s_wait_dscnt 0x1
	v_pk_mul_f32 v[156:157], v[152:153], v[46:47] op_sel:[1,1] op_sel_hi:[0,1]
	s_delay_alu instid0(VALU_DEP_1) | instskip(SKIP_1) | instid1(VALU_DEP_1)
	v_pk_fma_f32 v[154:155], v[152:153], v[46:47], v[156:157] op_sel_hi:[1,0,1] neg_lo:[0,0,1] neg_hi:[0,0,1]
	v_pk_fma_f32 v[156:157], v[152:153], v[46:47], v[156:157] op_sel_hi:[1,0,1]
	v_dual_mov_b32 v46, v154 :: v_dual_mov_b32 v47, v157
	s_wait_dscnt 0x0
	s_delay_alu instid0(VALU_DEP_2) | instskip(NEXT) | instid1(VALU_DEP_1)
	v_pk_mul_f32 v[162:163], v[158:159], v[156:157] op_sel:[0,1]
	v_pk_fma_f32 v[164:165], v[158:159], v[154:155], v[162:163] op_sel:[0,0,1] op_sel_hi:[1,1,0] neg_lo:[0,0,1] neg_hi:[0,0,1]
	v_pk_fma_f32 v[158:159], v[158:159], v[154:155], v[162:163] op_sel:[0,0,1] op_sel_hi:[1,0,0]
	s_delay_alu instid0(VALU_DEP_1) | instskip(SKIP_1) | instid1(VALU_DEP_1)
	v_mov_b32_e32 v165, v159
	v_pk_mul_f32 v[158:159], v[160:161], v[156:157] op_sel:[0,1]
	v_pk_fma_f32 v[162:163], v[160:161], v[154:155], v[158:159] op_sel:[0,0,1] op_sel_hi:[1,1,0] neg_lo:[0,0,1] neg_hi:[0,0,1]
	v_pk_fma_f32 v[158:159], v[160:161], v[154:155], v[158:159] op_sel:[0,0,1] op_sel_hi:[1,0,0]
	s_delay_alu instid0(VALU_DEP_1)
	v_mov_b32_e32 v163, v159
	ds_load_2addr_b64 v[158:161], v220 offset0:6 offset1:7
	v_pk_add_f32 v[28:29], v[28:29], v[164:165] neg_lo:[0,1] neg_hi:[0,1]
	v_pk_add_f32 v[24:25], v[24:25], v[162:163] neg_lo:[0,1] neg_hi:[0,1]
	s_wait_dscnt 0x0
	v_pk_mul_f32 v[162:163], v[158:159], v[156:157] op_sel:[0,1]
	s_delay_alu instid0(VALU_DEP_1) | instskip(SKIP_2) | instid1(VALU_DEP_2)
	v_pk_fma_f32 v[164:165], v[158:159], v[154:155], v[162:163] op_sel:[0,0,1] op_sel_hi:[1,1,0] neg_lo:[0,0,1] neg_hi:[0,0,1]
	v_pk_fma_f32 v[158:159], v[158:159], v[154:155], v[162:163] op_sel:[0,0,1] op_sel_hi:[1,0,0]
	v_dual_mul_f32 v162, v161, v157 :: v_dual_mov_b32 v158, v161
	v_dual_mov_b32 v165, v159 :: v_dual_mov_b32 v159, v160
	s_delay_alu instid0(VALU_DEP_2) | instskip(SKIP_1) | instid1(VALU_DEP_3)
	v_pk_fma_f32 v[162:163], v[160:161], v[46:47], v[162:163] op_sel_hi:[1,1,0] neg_lo:[0,0,1] neg_hi:[0,0,1]
	v_mul_f32_e32 v160, v161, v154
	v_pk_add_f32 v[26:27], v[26:27], v[164:165] neg_lo:[0,1] neg_hi:[0,1]
	s_delay_alu instid0(VALU_DEP_2) | instskip(NEXT) | instid1(VALU_DEP_1)
	v_pk_fma_f32 v[158:159], v[158:159], v[46:47], v[160:161] op_sel_hi:[1,1,0]
	v_mov_b32_e32 v163, v159
	ds_load_2addr_b64 v[158:161], v220 offset0:8 offset1:9
	v_pk_add_f32 v[22:23], v[22:23], v[162:163] neg_lo:[0,1] neg_hi:[0,1]
	s_wait_dscnt 0x0
	v_pk_mul_f32 v[162:163], v[158:159], v[156:157] op_sel:[0,1]
	s_delay_alu instid0(VALU_DEP_1) | instskip(SKIP_1) | instid1(VALU_DEP_1)
	v_pk_fma_f32 v[164:165], v[158:159], v[154:155], v[162:163] op_sel:[0,0,1] op_sel_hi:[1,1,0] neg_lo:[0,0,1] neg_hi:[0,0,1]
	v_pk_fma_f32 v[158:159], v[158:159], v[154:155], v[162:163] op_sel:[0,0,1] op_sel_hi:[1,0,0]
	v_mov_b32_e32 v165, v159
	v_pk_mul_f32 v[158:159], v[160:161], v[156:157] op_sel:[0,1]
	s_delay_alu instid0(VALU_DEP_1) | instskip(SKIP_1) | instid1(VALU_DEP_1)
	v_pk_fma_f32 v[162:163], v[160:161], v[154:155], v[158:159] op_sel:[0,0,1] op_sel_hi:[1,1,0] neg_lo:[0,0,1] neg_hi:[0,0,1]
	v_pk_fma_f32 v[158:159], v[160:161], v[154:155], v[158:159] op_sel:[0,0,1] op_sel_hi:[1,0,0]
	v_mov_b32_e32 v163, v159
	ds_load_2addr_b64 v[158:161], v220 offset0:10 offset1:11
	v_pk_add_f32 v[42:43], v[42:43], v[164:165] neg_lo:[0,1] neg_hi:[0,1]
	v_pk_add_f32 v[38:39], v[38:39], v[162:163] neg_lo:[0,1] neg_hi:[0,1]
	s_wait_dscnt 0x0
	v_pk_mul_f32 v[162:163], v[158:159], v[156:157] op_sel:[0,1]
	s_delay_alu instid0(VALU_DEP_1) | instskip(SKIP_1) | instid1(VALU_DEP_1)
	v_pk_fma_f32 v[164:165], v[158:159], v[154:155], v[162:163] op_sel:[0,0,1] op_sel_hi:[1,1,0] neg_lo:[0,0,1] neg_hi:[0,0,1]
	v_pk_fma_f32 v[158:159], v[158:159], v[154:155], v[162:163] op_sel:[0,0,1] op_sel_hi:[1,0,0]
	v_mov_b32_e32 v165, v159
	v_pk_mul_f32 v[158:159], v[160:161], v[156:157] op_sel:[0,1]
	s_delay_alu instid0(VALU_DEP_1) | instskip(SKIP_1) | instid1(VALU_DEP_1)
	v_pk_fma_f32 v[162:163], v[160:161], v[154:155], v[158:159] op_sel:[0,0,1] op_sel_hi:[1,1,0] neg_lo:[0,0,1] neg_hi:[0,0,1]
	v_pk_fma_f32 v[158:159], v[160:161], v[154:155], v[158:159] op_sel:[0,0,1] op_sel_hi:[1,0,0]
	v_mov_b32_e32 v163, v159
	ds_load_2addr_b64 v[158:161], v220 offset0:12 offset1:13
	v_pk_add_f32 v[40:41], v[40:41], v[164:165] neg_lo:[0,1] neg_hi:[0,1]
	v_pk_add_f32 v[36:37], v[36:37], v[162:163] neg_lo:[0,1] neg_hi:[0,1]
	s_wait_dscnt 0x0
	v_dual_mul_f32 v162, v159, v157 :: v_dual_mul_f32 v164, v159, v154
	s_delay_alu instid0(VALU_DEP_1) | instskip(NEXT) | instid1(VALU_DEP_2)
	v_pk_fma_f32 v[162:163], v[158:159], v[46:47], v[162:163] op_sel_hi:[1,1,0] neg_lo:[0,0,1] neg_hi:[0,0,1]
	v_pk_fma_f32 v[158:159], v[158:159], v[46:47], v[164:165] op_sel:[1,0,0] op_sel_hi:[0,1,0]
	s_delay_alu instid0(VALU_DEP_1) | instskip(SKIP_1) | instid1(VALU_DEP_2)
	v_mov_b32_e32 v163, v159
	v_pk_mul_f32 v[158:159], v[160:161], v[156:157] op_sel:[0,1]
	v_pk_add_f32 v[62:63], v[62:63], v[162:163] neg_lo:[0,1] neg_hi:[0,1]
	s_delay_alu instid0(VALU_DEP_2) | instskip(SKIP_1) | instid1(VALU_DEP_1)
	v_pk_fma_f32 v[162:163], v[160:161], v[154:155], v[158:159] op_sel:[0,0,1] op_sel_hi:[1,1,0] neg_lo:[0,0,1] neg_hi:[0,0,1]
	v_pk_fma_f32 v[158:159], v[160:161], v[154:155], v[158:159] op_sel:[0,0,1] op_sel_hi:[1,0,0]
	v_mov_b32_e32 v163, v159
	ds_load_2addr_b64 v[158:161], v220 offset0:14 offset1:15
	v_pk_add_f32 v[58:59], v[58:59], v[162:163] neg_lo:[0,1] neg_hi:[0,1]
	s_wait_dscnt 0x0
	v_pk_mul_f32 v[162:163], v[158:159], v[156:157] op_sel:[0,1]
	s_delay_alu instid0(VALU_DEP_1) | instskip(SKIP_1) | instid1(VALU_DEP_1)
	v_pk_fma_f32 v[164:165], v[158:159], v[154:155], v[162:163] op_sel:[0,0,1] op_sel_hi:[1,1,0] neg_lo:[0,0,1] neg_hi:[0,0,1]
	v_pk_fma_f32 v[158:159], v[158:159], v[154:155], v[162:163] op_sel:[0,0,1] op_sel_hi:[1,0,0]
	v_mov_b32_e32 v165, v159
	v_pk_mul_f32 v[158:159], v[160:161], v[156:157] op_sel:[0,1]
	s_delay_alu instid0(VALU_DEP_2) | instskip(NEXT) | instid1(VALU_DEP_2)
	v_pk_add_f32 v[60:61], v[60:61], v[164:165] neg_lo:[0,1] neg_hi:[0,1]
	v_pk_fma_f32 v[162:163], v[160:161], v[154:155], v[158:159] op_sel:[0,0,1] op_sel_hi:[1,1,0] neg_lo:[0,0,1] neg_hi:[0,0,1]
	v_pk_fma_f32 v[158:159], v[160:161], v[154:155], v[158:159] op_sel:[0,0,1] op_sel_hi:[1,0,0]
	s_delay_alu instid0(VALU_DEP_1) | instskip(SKIP_4) | instid1(VALU_DEP_1)
	v_mov_b32_e32 v163, v159
	ds_load_2addr_b64 v[158:161], v220 offset0:16 offset1:17
	v_pk_add_f32 v[92:93], v[92:93], v[162:163] neg_lo:[0,1] neg_hi:[0,1]
	s_wait_dscnt 0x0
	v_pk_mul_f32 v[162:163], v[158:159], v[156:157] op_sel:[0,1]
	v_pk_fma_f32 v[164:165], v[158:159], v[154:155], v[162:163] op_sel:[0,0,1] op_sel_hi:[1,1,0] neg_lo:[0,0,1] neg_hi:[0,0,1]
	v_pk_fma_f32 v[158:159], v[158:159], v[154:155], v[162:163] op_sel:[0,0,1] op_sel_hi:[1,0,0]
	v_dual_mul_f32 v162, v161, v157 :: v_dual_mov_b32 v158, v161
	s_delay_alu instid0(VALU_DEP_2) | instskip(NEXT) | instid1(VALU_DEP_2)
	v_dual_mov_b32 v165, v159 :: v_dual_mov_b32 v159, v160
	v_pk_fma_f32 v[162:163], v[160:161], v[46:47], v[162:163] op_sel_hi:[1,1,0] neg_lo:[0,0,1] neg_hi:[0,0,1]
	v_mul_f32_e32 v160, v161, v154
	s_delay_alu instid0(VALU_DEP_3) | instskip(NEXT) | instid1(VALU_DEP_2)
	v_pk_add_f32 v[90:91], v[90:91], v[164:165] neg_lo:[0,1] neg_hi:[0,1]
	v_pk_fma_f32 v[158:159], v[158:159], v[46:47], v[160:161] op_sel_hi:[1,1,0]
	s_delay_alu instid0(VALU_DEP_1) | instskip(SKIP_4) | instid1(VALU_DEP_1)
	v_mov_b32_e32 v163, v159
	ds_load_2addr_b64 v[158:161], v220 offset0:18 offset1:19
	v_pk_add_f32 v[114:115], v[114:115], v[162:163] neg_lo:[0,1] neg_hi:[0,1]
	s_wait_dscnt 0x0
	v_pk_mul_f32 v[162:163], v[158:159], v[156:157] op_sel:[0,1]
	v_pk_fma_f32 v[164:165], v[158:159], v[154:155], v[162:163] op_sel:[0,0,1] op_sel_hi:[1,1,0] neg_lo:[0,0,1] neg_hi:[0,0,1]
	v_pk_fma_f32 v[158:159], v[158:159], v[154:155], v[162:163] op_sel:[0,0,1] op_sel_hi:[1,0,0]
	s_delay_alu instid0(VALU_DEP_1) | instskip(SKIP_1) | instid1(VALU_DEP_1)
	v_mov_b32_e32 v165, v159
	v_pk_mul_f32 v[158:159], v[160:161], v[156:157] op_sel:[0,1]
	v_pk_fma_f32 v[162:163], v[160:161], v[154:155], v[158:159] op_sel:[0,0,1] op_sel_hi:[1,1,0] neg_lo:[0,0,1] neg_hi:[0,0,1]
	v_pk_fma_f32 v[158:159], v[160:161], v[154:155], v[158:159] op_sel:[0,0,1] op_sel_hi:[1,0,0]
	s_delay_alu instid0(VALU_DEP_1)
	v_mov_b32_e32 v163, v159
	ds_load_2addr_b64 v[158:161], v220 offset0:20 offset1:21
	v_pk_add_f32 v[116:117], v[116:117], v[164:165] neg_lo:[0,1] neg_hi:[0,1]
	v_pk_add_f32 v[112:113], v[112:113], v[162:163] neg_lo:[0,1] neg_hi:[0,1]
	s_wait_dscnt 0x0
	v_pk_mul_f32 v[162:163], v[158:159], v[156:157] op_sel:[0,1]
	s_delay_alu instid0(VALU_DEP_1) | instskip(SKIP_1) | instid1(VALU_DEP_1)
	v_pk_fma_f32 v[164:165], v[158:159], v[154:155], v[162:163] op_sel:[0,0,1] op_sel_hi:[1,1,0] neg_lo:[0,0,1] neg_hi:[0,0,1]
	v_pk_fma_f32 v[158:159], v[158:159], v[154:155], v[162:163] op_sel:[0,0,1] op_sel_hi:[1,0,0]
	v_mov_b32_e32 v165, v159
	v_pk_mul_f32 v[158:159], v[160:161], v[156:157] op_sel:[0,1]
	s_delay_alu instid0(VALU_DEP_1) | instskip(SKIP_1) | instid1(VALU_DEP_1)
	v_pk_fma_f32 v[162:163], v[160:161], v[154:155], v[158:159] op_sel:[0,0,1] op_sel_hi:[1,1,0] neg_lo:[0,0,1] neg_hi:[0,0,1]
	v_pk_fma_f32 v[158:159], v[160:161], v[154:155], v[158:159] op_sel:[0,0,1] op_sel_hi:[1,0,0]
	v_mov_b32_e32 v163, v159
	ds_load_2addr_b64 v[158:161], v220 offset0:22 offset1:23
	v_pk_add_f32 v[102:103], v[102:103], v[164:165] neg_lo:[0,1] neg_hi:[0,1]
	v_pk_add_f32 v[128:129], v[128:129], v[162:163] neg_lo:[0,1] neg_hi:[0,1]
	s_wait_dscnt 0x0
	v_dual_mul_f32 v162, v159, v157 :: v_dual_mul_f32 v164, v159, v154
	s_delay_alu instid0(VALU_DEP_1) | instskip(NEXT) | instid1(VALU_DEP_2)
	v_pk_fma_f32 v[162:163], v[158:159], v[46:47], v[162:163] op_sel_hi:[1,1,0] neg_lo:[0,0,1] neg_hi:[0,0,1]
	v_pk_fma_f32 v[158:159], v[158:159], v[46:47], v[164:165] op_sel:[1,0,0] op_sel_hi:[0,1,0]
	s_delay_alu instid0(VALU_DEP_1) | instskip(SKIP_1) | instid1(VALU_DEP_2)
	v_mov_b32_e32 v163, v159
	v_pk_mul_f32 v[158:159], v[160:161], v[156:157] op_sel:[0,1]
	v_pk_add_f32 v[130:131], v[130:131], v[162:163] neg_lo:[0,1] neg_hi:[0,1]
	s_delay_alu instid0(VALU_DEP_2) | instskip(SKIP_1) | instid1(VALU_DEP_1)
	v_pk_fma_f32 v[162:163], v[160:161], v[154:155], v[158:159] op_sel:[0,0,1] op_sel_hi:[1,1,0] neg_lo:[0,0,1] neg_hi:[0,0,1]
	v_pk_fma_f32 v[158:159], v[160:161], v[154:155], v[158:159] op_sel:[0,0,1] op_sel_hi:[1,0,0]
	v_mov_b32_e32 v163, v159
	ds_load_2addr_b64 v[158:161], v220 offset0:24 offset1:25
	v_pk_add_f32 v[126:127], v[126:127], v[162:163] neg_lo:[0,1] neg_hi:[0,1]
	s_wait_dscnt 0x0
	v_pk_mul_f32 v[162:163], v[158:159], v[156:157] op_sel:[0,1]
	s_delay_alu instid0(VALU_DEP_1) | instskip(SKIP_1) | instid1(VALU_DEP_1)
	v_pk_fma_f32 v[164:165], v[158:159], v[154:155], v[162:163] op_sel:[0,0,1] op_sel_hi:[1,1,0] neg_lo:[0,0,1] neg_hi:[0,0,1]
	v_pk_fma_f32 v[158:159], v[158:159], v[154:155], v[162:163] op_sel:[0,0,1] op_sel_hi:[1,0,0]
	v_mov_b32_e32 v165, v159
	v_pk_mul_f32 v[158:159], v[160:161], v[156:157] op_sel:[0,1]
	s_delay_alu instid0(VALU_DEP_2) | instskip(NEXT) | instid1(VALU_DEP_2)
	v_pk_add_f32 v[144:145], v[144:145], v[164:165] neg_lo:[0,1] neg_hi:[0,1]
	v_pk_fma_f32 v[162:163], v[160:161], v[154:155], v[158:159] op_sel:[0,0,1] op_sel_hi:[1,1,0] neg_lo:[0,0,1] neg_hi:[0,0,1]
	v_pk_fma_f32 v[158:159], v[160:161], v[154:155], v[158:159] op_sel:[0,0,1] op_sel_hi:[1,0,0]
	s_delay_alu instid0(VALU_DEP_1) | instskip(SKIP_4) | instid1(VALU_DEP_1)
	v_mov_b32_e32 v163, v159
	ds_load_2addr_b64 v[158:161], v220 offset0:26 offset1:27
	v_pk_add_f32 v[138:139], v[138:139], v[162:163] neg_lo:[0,1] neg_hi:[0,1]
	s_wait_dscnt 0x0
	v_pk_mul_f32 v[162:163], v[158:159], v[156:157] op_sel:[0,1]
	v_pk_fma_f32 v[164:165], v[158:159], v[154:155], v[162:163] op_sel:[0,0,1] op_sel_hi:[1,1,0] neg_lo:[0,0,1] neg_hi:[0,0,1]
	v_pk_fma_f32 v[158:159], v[158:159], v[154:155], v[162:163] op_sel:[0,0,1] op_sel_hi:[1,0,0]
	v_dual_mul_f32 v162, v161, v157 :: v_dual_mov_b32 v158, v161
	s_delay_alu instid0(VALU_DEP_2) | instskip(NEXT) | instid1(VALU_DEP_2)
	v_dual_mov_b32 v165, v159 :: v_dual_mov_b32 v159, v160
	v_pk_fma_f32 v[162:163], v[160:161], v[46:47], v[162:163] op_sel_hi:[1,1,0] neg_lo:[0,0,1] neg_hi:[0,0,1]
	v_mul_f32_e32 v160, v161, v154
	s_delay_alu instid0(VALU_DEP_3) | instskip(NEXT) | instid1(VALU_DEP_2)
	v_pk_add_f32 v[140:141], v[140:141], v[164:165] neg_lo:[0,1] neg_hi:[0,1]
	v_pk_fma_f32 v[158:159], v[158:159], v[46:47], v[160:161] op_sel_hi:[1,1,0]
	s_delay_alu instid0(VALU_DEP_1) | instskip(SKIP_4) | instid1(VALU_DEP_1)
	v_mov_b32_e32 v163, v159
	ds_load_2addr_b64 v[158:161], v220 offset0:28 offset1:29
	v_pk_add_f32 v[98:99], v[98:99], v[162:163] neg_lo:[0,1] neg_hi:[0,1]
	s_wait_dscnt 0x0
	v_pk_mul_f32 v[162:163], v[158:159], v[156:157] op_sel:[0,1]
	v_pk_fma_f32 v[164:165], v[158:159], v[154:155], v[162:163] op_sel:[0,0,1] op_sel_hi:[1,1,0] neg_lo:[0,0,1] neg_hi:[0,0,1]
	v_pk_fma_f32 v[158:159], v[158:159], v[154:155], v[162:163] op_sel:[0,0,1] op_sel_hi:[1,0,0]
	s_delay_alu instid0(VALU_DEP_1) | instskip(SKIP_1) | instid1(VALU_DEP_1)
	v_mov_b32_e32 v165, v159
	v_pk_mul_f32 v[158:159], v[160:161], v[156:157] op_sel:[0,1]
	v_pk_fma_f32 v[162:163], v[160:161], v[154:155], v[158:159] op_sel:[0,0,1] op_sel_hi:[1,1,0] neg_lo:[0,0,1] neg_hi:[0,0,1]
	v_pk_fma_f32 v[158:159], v[160:161], v[154:155], v[158:159] op_sel:[0,0,1] op_sel_hi:[1,0,0]
	s_delay_alu instid0(VALU_DEP_1)
	v_mov_b32_e32 v163, v159
	ds_load_2addr_b64 v[158:161], v220 offset0:30 offset1:31
	v_pk_add_f32 v[124:125], v[124:125], v[164:165] neg_lo:[0,1] neg_hi:[0,1]
	v_pk_add_f32 v[120:121], v[120:121], v[162:163] neg_lo:[0,1] neg_hi:[0,1]
	s_wait_dscnt 0x0
	v_pk_mul_f32 v[162:163], v[158:159], v[156:157] op_sel:[0,1]
	s_delay_alu instid0(VALU_DEP_1) | instskip(SKIP_1) | instid1(VALU_DEP_1)
	v_pk_fma_f32 v[164:165], v[158:159], v[154:155], v[162:163] op_sel:[0,0,1] op_sel_hi:[1,1,0] neg_lo:[0,0,1] neg_hi:[0,0,1]
	v_pk_fma_f32 v[158:159], v[158:159], v[154:155], v[162:163] op_sel:[0,0,1] op_sel_hi:[1,0,0]
	v_mov_b32_e32 v165, v159
	v_pk_mul_f32 v[158:159], v[160:161], v[156:157] op_sel:[0,1]
	s_delay_alu instid0(VALU_DEP_1) | instskip(SKIP_1) | instid1(VALU_DEP_1)
	v_pk_fma_f32 v[162:163], v[160:161], v[154:155], v[158:159] op_sel:[0,0,1] op_sel_hi:[1,1,0] neg_lo:[0,0,1] neg_hi:[0,0,1]
	v_pk_fma_f32 v[158:159], v[160:161], v[154:155], v[158:159] op_sel:[0,0,1] op_sel_hi:[1,0,0]
	v_mov_b32_e32 v163, v159
	ds_load_2addr_b64 v[158:161], v220 offset0:32 offset1:33
	v_pk_add_f32 v[122:123], v[122:123], v[164:165] neg_lo:[0,1] neg_hi:[0,1]
	v_pk_add_f32 v[118:119], v[118:119], v[162:163] neg_lo:[0,1] neg_hi:[0,1]
	s_wait_dscnt 0x0
	v_dual_mul_f32 v162, v159, v157 :: v_dual_mul_f32 v164, v159, v154
	s_delay_alu instid0(VALU_DEP_1) | instskip(NEXT) | instid1(VALU_DEP_2)
	v_pk_fma_f32 v[162:163], v[158:159], v[46:47], v[162:163] op_sel_hi:[1,1,0] neg_lo:[0,0,1] neg_hi:[0,0,1]
	v_pk_fma_f32 v[158:159], v[158:159], v[46:47], v[164:165] op_sel:[1,0,0] op_sel_hi:[0,1,0]
	s_delay_alu instid0(VALU_DEP_1) | instskip(SKIP_1) | instid1(VALU_DEP_2)
	v_mov_b32_e32 v163, v159
	v_pk_mul_f32 v[158:159], v[160:161], v[156:157] op_sel:[0,1]
	v_pk_add_f32 v[136:137], v[136:137], v[162:163] neg_lo:[0,1] neg_hi:[0,1]
	s_delay_alu instid0(VALU_DEP_2) | instskip(SKIP_1) | instid1(VALU_DEP_1)
	v_pk_fma_f32 v[162:163], v[160:161], v[154:155], v[158:159] op_sel:[0,0,1] op_sel_hi:[1,1,0] neg_lo:[0,0,1] neg_hi:[0,0,1]
	v_pk_fma_f32 v[158:159], v[160:161], v[154:155], v[158:159] op_sel:[0,0,1] op_sel_hi:[1,0,0]
	v_mov_b32_e32 v163, v159
	ds_load_2addr_b64 v[158:161], v220 offset0:34 offset1:35
	v_pk_add_f32 v[134:135], v[134:135], v[162:163] neg_lo:[0,1] neg_hi:[0,1]
	s_wait_dscnt 0x0
	v_pk_mul_f32 v[162:163], v[158:159], v[156:157] op_sel:[0,1]
	v_pk_mul_f32 v[156:157], v[160:161], v[156:157] op_sel:[0,1]
	s_delay_alu instid0(VALU_DEP_2) | instskip(SKIP_1) | instid1(VALU_DEP_1)
	v_pk_fma_f32 v[164:165], v[158:159], v[154:155], v[162:163] op_sel:[0,0,1] op_sel_hi:[1,1,0] neg_lo:[0,0,1] neg_hi:[0,0,1]
	v_pk_fma_f32 v[158:159], v[158:159], v[154:155], v[162:163] op_sel:[0,0,1] op_sel_hi:[1,0,0]
	v_mov_b32_e32 v165, v159
	s_delay_alu instid0(VALU_DEP_4) | instskip(SKIP_1) | instid1(VALU_DEP_3)
	v_pk_fma_f32 v[158:159], v[160:161], v[154:155], v[156:157] op_sel:[0,0,1] op_sel_hi:[1,1,0] neg_lo:[0,0,1] neg_hi:[0,0,1]
	v_pk_fma_f32 v[154:155], v[160:161], v[154:155], v[156:157] op_sel:[0,0,1] op_sel_hi:[1,0,0]
	v_pk_add_f32 v[132:133], v[132:133], v[164:165] neg_lo:[0,1] neg_hi:[0,1]
	s_delay_alu instid0(VALU_DEP_2) | instskip(NEXT) | instid1(VALU_DEP_1)
	v_mov_b32_e32 v159, v155
	v_pk_add_f32 v[142:143], v[142:143], v[158:159] neg_lo:[0,1] neg_hi:[0,1]
.LBB71_37:
	s_or_b32 exec_lo, exec_lo, s1
	s_delay_alu instid0(SALU_CYCLE_1)
	s_mov_b32 s2, exec_lo
	s_wait_dscnt 0x0
	s_barrier_signal -1
	s_barrier_wait -1
	v_cmpx_eq_u32_e32 4, v218
	s_cbranch_execz .LBB71_44
; %bb.38:
	ds_store_b64 v219, v[28:29]
	ds_store_2addr_b64 v220, v[24:25], v[26:27] offset0:5 offset1:6
	ds_store_2addr_b64 v220, v[22:23], v[42:43] offset0:7 offset1:8
	;; [unrolled: 1-line block ×15, first 2 shown]
	ds_store_b64 v220, v[142:143] offset:280
	ds_load_b64 v[154:155], v219
	s_wait_dscnt 0x0
	v_cmp_neq_f32_e32 vcc_lo, 0, v154
	v_cmp_neq_f32_e64 s1, 0, v155
	s_or_b32 s1, vcc_lo, s1
	s_delay_alu instid0(SALU_CYCLE_1)
	s_and_b32 exec_lo, exec_lo, s1
	s_cbranch_execz .LBB71_44
; %bb.39:
	v_cmp_ngt_f32_e64 s1, |v154|, |v155|
                                        ; implicit-def: $vgpr156_vgpr157
	s_and_saveexec_b32 s4, s1
	s_delay_alu instid0(SALU_CYCLE_1)
	s_xor_b32 s1, exec_lo, s4
	s_cbranch_execz .LBB71_41
; %bb.40:
	v_div_scale_f32 v156, null, v155, v155, v154
	v_div_scale_f32 v159, vcc_lo, v154, v155, v154
	s_delay_alu instid0(VALU_DEP_2) | instskip(SKIP_1) | instid1(TRANS32_DEP_1)
	v_rcp_f32_e32 v157, v156
	v_nop
	v_fma_f32 v158, -v156, v157, 1.0
	s_delay_alu instid0(VALU_DEP_1) | instskip(NEXT) | instid1(VALU_DEP_1)
	v_fmac_f32_e32 v157, v158, v157
	v_mul_f32_e32 v158, v159, v157
	s_delay_alu instid0(VALU_DEP_1) | instskip(NEXT) | instid1(VALU_DEP_1)
	v_fma_f32 v160, -v156, v158, v159
	v_fmac_f32_e32 v158, v160, v157
	s_delay_alu instid0(VALU_DEP_1) | instskip(NEXT) | instid1(VALU_DEP_1)
	v_fma_f32 v156, -v156, v158, v159
	v_div_fmas_f32 v156, v156, v157, v158
	s_delay_alu instid0(VALU_DEP_1) | instskip(NEXT) | instid1(VALU_DEP_1)
	v_div_fixup_f32 v156, v156, v155, v154
	v_fmac_f32_e32 v155, v154, v156
	s_delay_alu instid0(VALU_DEP_1) | instskip(SKIP_1) | instid1(VALU_DEP_2)
	v_div_scale_f32 v154, null, v155, v155, 1.0
	v_div_scale_f32 v159, vcc_lo, 1.0, v155, 1.0
	v_rcp_f32_e32 v157, v154
	v_nop
	s_delay_alu instid0(TRANS32_DEP_1) | instskip(NEXT) | instid1(VALU_DEP_1)
	v_fma_f32 v158, -v154, v157, 1.0
	v_fmac_f32_e32 v157, v158, v157
	s_delay_alu instid0(VALU_DEP_1) | instskip(NEXT) | instid1(VALU_DEP_1)
	v_mul_f32_e32 v158, v159, v157
	v_fma_f32 v160, -v154, v158, v159
	s_delay_alu instid0(VALU_DEP_1) | instskip(NEXT) | instid1(VALU_DEP_1)
	v_fmac_f32_e32 v158, v160, v157
	v_fma_f32 v154, -v154, v158, v159
	s_delay_alu instid0(VALU_DEP_1) | instskip(NEXT) | instid1(VALU_DEP_1)
	v_div_fmas_f32 v154, v154, v157, v158
	v_div_fixup_f32 v154, v154, v155, 1.0
	s_delay_alu instid0(VALU_DEP_1)
	v_mul_f32_e32 v156, v156, v154
	v_xor_b32_e32 v157, 0x80000000, v154
                                        ; implicit-def: $vgpr154_vgpr155
.LBB71_41:
	s_and_not1_saveexec_b32 s1, s1
	s_cbranch_execz .LBB71_43
; %bb.42:
	v_div_scale_f32 v156, null, v154, v154, v155
	v_div_scale_f32 v159, vcc_lo, v155, v154, v155
	s_delay_alu instid0(VALU_DEP_2) | instskip(SKIP_1) | instid1(TRANS32_DEP_1)
	v_rcp_f32_e32 v157, v156
	v_nop
	v_fma_f32 v158, -v156, v157, 1.0
	s_delay_alu instid0(VALU_DEP_1) | instskip(NEXT) | instid1(VALU_DEP_1)
	v_fmac_f32_e32 v157, v158, v157
	v_mul_f32_e32 v158, v159, v157
	s_delay_alu instid0(VALU_DEP_1) | instskip(NEXT) | instid1(VALU_DEP_1)
	v_fma_f32 v160, -v156, v158, v159
	v_fmac_f32_e32 v158, v160, v157
	s_delay_alu instid0(VALU_DEP_1) | instskip(NEXT) | instid1(VALU_DEP_1)
	v_fma_f32 v156, -v156, v158, v159
	v_div_fmas_f32 v156, v156, v157, v158
	s_delay_alu instid0(VALU_DEP_1) | instskip(NEXT) | instid1(VALU_DEP_1)
	v_div_fixup_f32 v157, v156, v154, v155
	v_fmac_f32_e32 v154, v155, v157
	s_delay_alu instid0(VALU_DEP_1) | instskip(NEXT) | instid1(VALU_DEP_1)
	v_div_scale_f32 v155, null, v154, v154, 1.0
	v_rcp_f32_e32 v156, v155
	v_nop
	s_delay_alu instid0(TRANS32_DEP_1) | instskip(NEXT) | instid1(VALU_DEP_1)
	v_fma_f32 v158, -v155, v156, 1.0
	v_fmac_f32_e32 v156, v158, v156
	v_div_scale_f32 v158, vcc_lo, 1.0, v154, 1.0
	s_delay_alu instid0(VALU_DEP_1) | instskip(NEXT) | instid1(VALU_DEP_1)
	v_mul_f32_e32 v159, v158, v156
	v_fma_f32 v160, -v155, v159, v158
	s_delay_alu instid0(VALU_DEP_1) | instskip(NEXT) | instid1(VALU_DEP_1)
	v_fmac_f32_e32 v159, v160, v156
	v_fma_f32 v155, -v155, v159, v158
	s_delay_alu instid0(VALU_DEP_1) | instskip(NEXT) | instid1(VALU_DEP_1)
	v_div_fmas_f32 v155, v155, v156, v159
	v_div_fixup_f32 v156, v155, v154, 1.0
	s_delay_alu instid0(VALU_DEP_1)
	v_mul_f32_e64 v157, v157, -v156
.LBB71_43:
	s_or_b32 exec_lo, exec_lo, s1
	ds_store_b64 v219, v[156:157]
.LBB71_44:
	s_or_b32 exec_lo, exec_lo, s2
	s_wait_dscnt 0x0
	s_barrier_signal -1
	s_barrier_wait -1
	ds_load_b64 v[154:155], v219
	s_mov_b32 s1, exec_lo
	v_cmpx_lt_u32_e32 4, v218
	s_cbranch_execz .LBB71_46
; %bb.45:
	ds_load_2addr_b64 v[160:163], v220 offset0:5 offset1:6
	s_wait_dscnt 0x1
	v_pk_mul_f32 v[158:159], v[154:155], v[28:29] op_sel:[1,1] op_sel_hi:[0,1]
	s_delay_alu instid0(VALU_DEP_1) | instskip(SKIP_1) | instid1(VALU_DEP_1)
	v_pk_fma_f32 v[156:157], v[154:155], v[28:29], v[158:159] op_sel_hi:[1,0,1] neg_lo:[0,0,1] neg_hi:[0,0,1]
	v_pk_fma_f32 v[158:159], v[154:155], v[28:29], v[158:159] op_sel_hi:[1,0,1]
	v_dual_mov_b32 v28, v156 :: v_dual_mov_b32 v29, v159
	s_wait_dscnt 0x0
	s_delay_alu instid0(VALU_DEP_2) | instskip(NEXT) | instid1(VALU_DEP_1)
	v_pk_mul_f32 v[164:165], v[160:161], v[158:159] op_sel:[0,1]
	v_pk_fma_f32 v[166:167], v[160:161], v[156:157], v[164:165] op_sel:[0,0,1] op_sel_hi:[1,1,0] neg_lo:[0,0,1] neg_hi:[0,0,1]
	v_pk_fma_f32 v[160:161], v[160:161], v[156:157], v[164:165] op_sel:[0,0,1] op_sel_hi:[1,0,0]
	s_delay_alu instid0(VALU_DEP_1) | instskip(SKIP_1) | instid1(VALU_DEP_1)
	v_mov_b32_e32 v167, v161
	v_pk_mul_f32 v[160:161], v[162:163], v[158:159] op_sel:[0,1]
	v_pk_fma_f32 v[164:165], v[162:163], v[156:157], v[160:161] op_sel:[0,0,1] op_sel_hi:[1,1,0] neg_lo:[0,0,1] neg_hi:[0,0,1]
	v_pk_fma_f32 v[160:161], v[162:163], v[156:157], v[160:161] op_sel:[0,0,1] op_sel_hi:[1,0,0]
	s_delay_alu instid0(VALU_DEP_1)
	v_mov_b32_e32 v165, v161
	ds_load_2addr_b64 v[160:163], v220 offset0:7 offset1:8
	v_pk_add_f32 v[24:25], v[24:25], v[166:167] neg_lo:[0,1] neg_hi:[0,1]
	v_pk_add_f32 v[26:27], v[26:27], v[164:165] neg_lo:[0,1] neg_hi:[0,1]
	s_wait_dscnt 0x0
	v_pk_mul_f32 v[164:165], v[160:161], v[158:159] op_sel:[0,1]
	s_delay_alu instid0(VALU_DEP_1) | instskip(SKIP_2) | instid1(VALU_DEP_2)
	v_pk_fma_f32 v[166:167], v[160:161], v[156:157], v[164:165] op_sel:[0,0,1] op_sel_hi:[1,1,0] neg_lo:[0,0,1] neg_hi:[0,0,1]
	v_pk_fma_f32 v[160:161], v[160:161], v[156:157], v[164:165] op_sel:[0,0,1] op_sel_hi:[1,0,0]
	v_dual_mul_f32 v164, v163, v159 :: v_dual_mov_b32 v160, v163
	v_dual_mov_b32 v167, v161 :: v_dual_mov_b32 v161, v162
	s_delay_alu instid0(VALU_DEP_2) | instskip(SKIP_1) | instid1(VALU_DEP_3)
	v_pk_fma_f32 v[164:165], v[162:163], v[28:29], v[164:165] op_sel_hi:[1,1,0] neg_lo:[0,0,1] neg_hi:[0,0,1]
	v_mul_f32_e32 v162, v163, v156
	v_pk_add_f32 v[22:23], v[22:23], v[166:167] neg_lo:[0,1] neg_hi:[0,1]
	s_delay_alu instid0(VALU_DEP_2) | instskip(NEXT) | instid1(VALU_DEP_1)
	v_pk_fma_f32 v[160:161], v[160:161], v[28:29], v[162:163] op_sel_hi:[1,1,0]
	v_mov_b32_e32 v165, v161
	ds_load_2addr_b64 v[160:163], v220 offset0:9 offset1:10
	v_pk_add_f32 v[42:43], v[42:43], v[164:165] neg_lo:[0,1] neg_hi:[0,1]
	s_wait_dscnt 0x0
	v_pk_mul_f32 v[164:165], v[160:161], v[158:159] op_sel:[0,1]
	s_delay_alu instid0(VALU_DEP_1) | instskip(SKIP_1) | instid1(VALU_DEP_1)
	v_pk_fma_f32 v[166:167], v[160:161], v[156:157], v[164:165] op_sel:[0,0,1] op_sel_hi:[1,1,0] neg_lo:[0,0,1] neg_hi:[0,0,1]
	v_pk_fma_f32 v[160:161], v[160:161], v[156:157], v[164:165] op_sel:[0,0,1] op_sel_hi:[1,0,0]
	v_mov_b32_e32 v167, v161
	v_pk_mul_f32 v[160:161], v[162:163], v[158:159] op_sel:[0,1]
	s_delay_alu instid0(VALU_DEP_1) | instskip(SKIP_1) | instid1(VALU_DEP_1)
	v_pk_fma_f32 v[164:165], v[162:163], v[156:157], v[160:161] op_sel:[0,0,1] op_sel_hi:[1,1,0] neg_lo:[0,0,1] neg_hi:[0,0,1]
	v_pk_fma_f32 v[160:161], v[162:163], v[156:157], v[160:161] op_sel:[0,0,1] op_sel_hi:[1,0,0]
	v_mov_b32_e32 v165, v161
	ds_load_2addr_b64 v[160:163], v220 offset0:11 offset1:12
	v_pk_add_f32 v[38:39], v[38:39], v[166:167] neg_lo:[0,1] neg_hi:[0,1]
	v_pk_add_f32 v[40:41], v[40:41], v[164:165] neg_lo:[0,1] neg_hi:[0,1]
	s_wait_dscnt 0x0
	v_pk_mul_f32 v[164:165], v[160:161], v[158:159] op_sel:[0,1]
	s_delay_alu instid0(VALU_DEP_1) | instskip(SKIP_1) | instid1(VALU_DEP_1)
	v_pk_fma_f32 v[166:167], v[160:161], v[156:157], v[164:165] op_sel:[0,0,1] op_sel_hi:[1,1,0] neg_lo:[0,0,1] neg_hi:[0,0,1]
	v_pk_fma_f32 v[160:161], v[160:161], v[156:157], v[164:165] op_sel:[0,0,1] op_sel_hi:[1,0,0]
	v_mov_b32_e32 v167, v161
	v_pk_mul_f32 v[160:161], v[162:163], v[158:159] op_sel:[0,1]
	s_delay_alu instid0(VALU_DEP_1) | instskip(SKIP_1) | instid1(VALU_DEP_1)
	v_pk_fma_f32 v[164:165], v[162:163], v[156:157], v[160:161] op_sel:[0,0,1] op_sel_hi:[1,1,0] neg_lo:[0,0,1] neg_hi:[0,0,1]
	v_pk_fma_f32 v[160:161], v[162:163], v[156:157], v[160:161] op_sel:[0,0,1] op_sel_hi:[1,0,0]
	v_mov_b32_e32 v165, v161
	ds_load_2addr_b64 v[160:163], v220 offset0:13 offset1:14
	v_pk_add_f32 v[36:37], v[36:37], v[166:167] neg_lo:[0,1] neg_hi:[0,1]
	v_pk_add_f32 v[62:63], v[62:63], v[164:165] neg_lo:[0,1] neg_hi:[0,1]
	s_wait_dscnt 0x0
	v_dual_mul_f32 v164, v161, v159 :: v_dual_mul_f32 v166, v161, v156
	s_delay_alu instid0(VALU_DEP_1) | instskip(NEXT) | instid1(VALU_DEP_2)
	v_pk_fma_f32 v[164:165], v[160:161], v[28:29], v[164:165] op_sel_hi:[1,1,0] neg_lo:[0,0,1] neg_hi:[0,0,1]
	v_pk_fma_f32 v[160:161], v[160:161], v[28:29], v[166:167] op_sel:[1,0,0] op_sel_hi:[0,1,0]
	s_delay_alu instid0(VALU_DEP_1) | instskip(SKIP_1) | instid1(VALU_DEP_2)
	v_mov_b32_e32 v165, v161
	v_pk_mul_f32 v[160:161], v[162:163], v[158:159] op_sel:[0,1]
	v_pk_add_f32 v[58:59], v[58:59], v[164:165] neg_lo:[0,1] neg_hi:[0,1]
	s_delay_alu instid0(VALU_DEP_2) | instskip(SKIP_1) | instid1(VALU_DEP_1)
	v_pk_fma_f32 v[164:165], v[162:163], v[156:157], v[160:161] op_sel:[0,0,1] op_sel_hi:[1,1,0] neg_lo:[0,0,1] neg_hi:[0,0,1]
	v_pk_fma_f32 v[160:161], v[162:163], v[156:157], v[160:161] op_sel:[0,0,1] op_sel_hi:[1,0,0]
	v_mov_b32_e32 v165, v161
	ds_load_2addr_b64 v[160:163], v220 offset0:15 offset1:16
	v_pk_add_f32 v[60:61], v[60:61], v[164:165] neg_lo:[0,1] neg_hi:[0,1]
	s_wait_dscnt 0x0
	v_pk_mul_f32 v[164:165], v[160:161], v[158:159] op_sel:[0,1]
	s_delay_alu instid0(VALU_DEP_1) | instskip(SKIP_1) | instid1(VALU_DEP_1)
	v_pk_fma_f32 v[166:167], v[160:161], v[156:157], v[164:165] op_sel:[0,0,1] op_sel_hi:[1,1,0] neg_lo:[0,0,1] neg_hi:[0,0,1]
	v_pk_fma_f32 v[160:161], v[160:161], v[156:157], v[164:165] op_sel:[0,0,1] op_sel_hi:[1,0,0]
	v_mov_b32_e32 v167, v161
	v_pk_mul_f32 v[160:161], v[162:163], v[158:159] op_sel:[0,1]
	s_delay_alu instid0(VALU_DEP_2) | instskip(NEXT) | instid1(VALU_DEP_2)
	v_pk_add_f32 v[92:93], v[92:93], v[166:167] neg_lo:[0,1] neg_hi:[0,1]
	v_pk_fma_f32 v[164:165], v[162:163], v[156:157], v[160:161] op_sel:[0,0,1] op_sel_hi:[1,1,0] neg_lo:[0,0,1] neg_hi:[0,0,1]
	v_pk_fma_f32 v[160:161], v[162:163], v[156:157], v[160:161] op_sel:[0,0,1] op_sel_hi:[1,0,0]
	s_delay_alu instid0(VALU_DEP_1) | instskip(SKIP_4) | instid1(VALU_DEP_1)
	v_mov_b32_e32 v165, v161
	ds_load_2addr_b64 v[160:163], v220 offset0:17 offset1:18
	v_pk_add_f32 v[90:91], v[90:91], v[164:165] neg_lo:[0,1] neg_hi:[0,1]
	s_wait_dscnt 0x0
	v_pk_mul_f32 v[164:165], v[160:161], v[158:159] op_sel:[0,1]
	v_pk_fma_f32 v[166:167], v[160:161], v[156:157], v[164:165] op_sel:[0,0,1] op_sel_hi:[1,1,0] neg_lo:[0,0,1] neg_hi:[0,0,1]
	v_pk_fma_f32 v[160:161], v[160:161], v[156:157], v[164:165] op_sel:[0,0,1] op_sel_hi:[1,0,0]
	v_dual_mul_f32 v164, v163, v159 :: v_dual_mov_b32 v160, v163
	s_delay_alu instid0(VALU_DEP_2) | instskip(NEXT) | instid1(VALU_DEP_2)
	v_dual_mov_b32 v167, v161 :: v_dual_mov_b32 v161, v162
	v_pk_fma_f32 v[164:165], v[162:163], v[28:29], v[164:165] op_sel_hi:[1,1,0] neg_lo:[0,0,1] neg_hi:[0,0,1]
	v_mul_f32_e32 v162, v163, v156
	s_delay_alu instid0(VALU_DEP_3) | instskip(NEXT) | instid1(VALU_DEP_2)
	v_pk_add_f32 v[114:115], v[114:115], v[166:167] neg_lo:[0,1] neg_hi:[0,1]
	v_pk_fma_f32 v[160:161], v[160:161], v[28:29], v[162:163] op_sel_hi:[1,1,0]
	s_delay_alu instid0(VALU_DEP_1) | instskip(SKIP_4) | instid1(VALU_DEP_1)
	v_mov_b32_e32 v165, v161
	ds_load_2addr_b64 v[160:163], v220 offset0:19 offset1:20
	v_pk_add_f32 v[116:117], v[116:117], v[164:165] neg_lo:[0,1] neg_hi:[0,1]
	s_wait_dscnt 0x0
	v_pk_mul_f32 v[164:165], v[160:161], v[158:159] op_sel:[0,1]
	v_pk_fma_f32 v[166:167], v[160:161], v[156:157], v[164:165] op_sel:[0,0,1] op_sel_hi:[1,1,0] neg_lo:[0,0,1] neg_hi:[0,0,1]
	v_pk_fma_f32 v[160:161], v[160:161], v[156:157], v[164:165] op_sel:[0,0,1] op_sel_hi:[1,0,0]
	s_delay_alu instid0(VALU_DEP_1) | instskip(SKIP_1) | instid1(VALU_DEP_1)
	v_mov_b32_e32 v167, v161
	v_pk_mul_f32 v[160:161], v[162:163], v[158:159] op_sel:[0,1]
	v_pk_fma_f32 v[164:165], v[162:163], v[156:157], v[160:161] op_sel:[0,0,1] op_sel_hi:[1,1,0] neg_lo:[0,0,1] neg_hi:[0,0,1]
	v_pk_fma_f32 v[160:161], v[162:163], v[156:157], v[160:161] op_sel:[0,0,1] op_sel_hi:[1,0,0]
	s_delay_alu instid0(VALU_DEP_1)
	v_mov_b32_e32 v165, v161
	ds_load_2addr_b64 v[160:163], v220 offset0:21 offset1:22
	v_pk_add_f32 v[112:113], v[112:113], v[166:167] neg_lo:[0,1] neg_hi:[0,1]
	v_pk_add_f32 v[102:103], v[102:103], v[164:165] neg_lo:[0,1] neg_hi:[0,1]
	s_wait_dscnt 0x0
	v_pk_mul_f32 v[164:165], v[160:161], v[158:159] op_sel:[0,1]
	s_delay_alu instid0(VALU_DEP_1) | instskip(SKIP_1) | instid1(VALU_DEP_1)
	v_pk_fma_f32 v[166:167], v[160:161], v[156:157], v[164:165] op_sel:[0,0,1] op_sel_hi:[1,1,0] neg_lo:[0,0,1] neg_hi:[0,0,1]
	v_pk_fma_f32 v[160:161], v[160:161], v[156:157], v[164:165] op_sel:[0,0,1] op_sel_hi:[1,0,0]
	v_mov_b32_e32 v167, v161
	v_pk_mul_f32 v[160:161], v[162:163], v[158:159] op_sel:[0,1]
	s_delay_alu instid0(VALU_DEP_1) | instskip(SKIP_1) | instid1(VALU_DEP_1)
	v_pk_fma_f32 v[164:165], v[162:163], v[156:157], v[160:161] op_sel:[0,0,1] op_sel_hi:[1,1,0] neg_lo:[0,0,1] neg_hi:[0,0,1]
	v_pk_fma_f32 v[160:161], v[162:163], v[156:157], v[160:161] op_sel:[0,0,1] op_sel_hi:[1,0,0]
	v_mov_b32_e32 v165, v161
	ds_load_2addr_b64 v[160:163], v220 offset0:23 offset1:24
	v_pk_add_f32 v[128:129], v[128:129], v[166:167] neg_lo:[0,1] neg_hi:[0,1]
	v_pk_add_f32 v[130:131], v[130:131], v[164:165] neg_lo:[0,1] neg_hi:[0,1]
	s_wait_dscnt 0x0
	v_dual_mul_f32 v164, v161, v159 :: v_dual_mul_f32 v166, v161, v156
	s_delay_alu instid0(VALU_DEP_1) | instskip(NEXT) | instid1(VALU_DEP_2)
	v_pk_fma_f32 v[164:165], v[160:161], v[28:29], v[164:165] op_sel_hi:[1,1,0] neg_lo:[0,0,1] neg_hi:[0,0,1]
	v_pk_fma_f32 v[160:161], v[160:161], v[28:29], v[166:167] op_sel:[1,0,0] op_sel_hi:[0,1,0]
	s_delay_alu instid0(VALU_DEP_1) | instskip(SKIP_1) | instid1(VALU_DEP_2)
	v_mov_b32_e32 v165, v161
	v_pk_mul_f32 v[160:161], v[162:163], v[158:159] op_sel:[0,1]
	v_pk_add_f32 v[126:127], v[126:127], v[164:165] neg_lo:[0,1] neg_hi:[0,1]
	s_delay_alu instid0(VALU_DEP_2) | instskip(SKIP_1) | instid1(VALU_DEP_1)
	v_pk_fma_f32 v[164:165], v[162:163], v[156:157], v[160:161] op_sel:[0,0,1] op_sel_hi:[1,1,0] neg_lo:[0,0,1] neg_hi:[0,0,1]
	v_pk_fma_f32 v[160:161], v[162:163], v[156:157], v[160:161] op_sel:[0,0,1] op_sel_hi:[1,0,0]
	v_mov_b32_e32 v165, v161
	ds_load_2addr_b64 v[160:163], v220 offset0:25 offset1:26
	v_pk_add_f32 v[144:145], v[144:145], v[164:165] neg_lo:[0,1] neg_hi:[0,1]
	s_wait_dscnt 0x0
	v_pk_mul_f32 v[164:165], v[160:161], v[158:159] op_sel:[0,1]
	s_delay_alu instid0(VALU_DEP_1) | instskip(SKIP_1) | instid1(VALU_DEP_1)
	v_pk_fma_f32 v[166:167], v[160:161], v[156:157], v[164:165] op_sel:[0,0,1] op_sel_hi:[1,1,0] neg_lo:[0,0,1] neg_hi:[0,0,1]
	v_pk_fma_f32 v[160:161], v[160:161], v[156:157], v[164:165] op_sel:[0,0,1] op_sel_hi:[1,0,0]
	v_mov_b32_e32 v167, v161
	v_pk_mul_f32 v[160:161], v[162:163], v[158:159] op_sel:[0,1]
	s_delay_alu instid0(VALU_DEP_2) | instskip(NEXT) | instid1(VALU_DEP_2)
	v_pk_add_f32 v[138:139], v[138:139], v[166:167] neg_lo:[0,1] neg_hi:[0,1]
	v_pk_fma_f32 v[164:165], v[162:163], v[156:157], v[160:161] op_sel:[0,0,1] op_sel_hi:[1,1,0] neg_lo:[0,0,1] neg_hi:[0,0,1]
	v_pk_fma_f32 v[160:161], v[162:163], v[156:157], v[160:161] op_sel:[0,0,1] op_sel_hi:[1,0,0]
	s_delay_alu instid0(VALU_DEP_1) | instskip(SKIP_4) | instid1(VALU_DEP_1)
	v_mov_b32_e32 v165, v161
	ds_load_2addr_b64 v[160:163], v220 offset0:27 offset1:28
	v_pk_add_f32 v[140:141], v[140:141], v[164:165] neg_lo:[0,1] neg_hi:[0,1]
	s_wait_dscnt 0x0
	v_pk_mul_f32 v[164:165], v[160:161], v[158:159] op_sel:[0,1]
	v_pk_fma_f32 v[166:167], v[160:161], v[156:157], v[164:165] op_sel:[0,0,1] op_sel_hi:[1,1,0] neg_lo:[0,0,1] neg_hi:[0,0,1]
	v_pk_fma_f32 v[160:161], v[160:161], v[156:157], v[164:165] op_sel:[0,0,1] op_sel_hi:[1,0,0]
	v_dual_mul_f32 v164, v163, v159 :: v_dual_mov_b32 v160, v163
	s_delay_alu instid0(VALU_DEP_2) | instskip(NEXT) | instid1(VALU_DEP_2)
	v_dual_mov_b32 v167, v161 :: v_dual_mov_b32 v161, v162
	v_pk_fma_f32 v[164:165], v[162:163], v[28:29], v[164:165] op_sel_hi:[1,1,0] neg_lo:[0,0,1] neg_hi:[0,0,1]
	v_mul_f32_e32 v162, v163, v156
	s_delay_alu instid0(VALU_DEP_3) | instskip(NEXT) | instid1(VALU_DEP_2)
	v_pk_add_f32 v[98:99], v[98:99], v[166:167] neg_lo:[0,1] neg_hi:[0,1]
	v_pk_fma_f32 v[160:161], v[160:161], v[28:29], v[162:163] op_sel_hi:[1,1,0]
	s_delay_alu instid0(VALU_DEP_1) | instskip(SKIP_4) | instid1(VALU_DEP_1)
	v_mov_b32_e32 v165, v161
	ds_load_2addr_b64 v[160:163], v220 offset0:29 offset1:30
	v_pk_add_f32 v[124:125], v[124:125], v[164:165] neg_lo:[0,1] neg_hi:[0,1]
	s_wait_dscnt 0x0
	v_pk_mul_f32 v[164:165], v[160:161], v[158:159] op_sel:[0,1]
	v_pk_fma_f32 v[166:167], v[160:161], v[156:157], v[164:165] op_sel:[0,0,1] op_sel_hi:[1,1,0] neg_lo:[0,0,1] neg_hi:[0,0,1]
	v_pk_fma_f32 v[160:161], v[160:161], v[156:157], v[164:165] op_sel:[0,0,1] op_sel_hi:[1,0,0]
	s_delay_alu instid0(VALU_DEP_1) | instskip(SKIP_1) | instid1(VALU_DEP_1)
	v_mov_b32_e32 v167, v161
	v_pk_mul_f32 v[160:161], v[162:163], v[158:159] op_sel:[0,1]
	v_pk_fma_f32 v[164:165], v[162:163], v[156:157], v[160:161] op_sel:[0,0,1] op_sel_hi:[1,1,0] neg_lo:[0,0,1] neg_hi:[0,0,1]
	v_pk_fma_f32 v[160:161], v[162:163], v[156:157], v[160:161] op_sel:[0,0,1] op_sel_hi:[1,0,0]
	s_delay_alu instid0(VALU_DEP_1)
	v_mov_b32_e32 v165, v161
	ds_load_2addr_b64 v[160:163], v220 offset0:31 offset1:32
	v_pk_add_f32 v[120:121], v[120:121], v[166:167] neg_lo:[0,1] neg_hi:[0,1]
	v_pk_add_f32 v[122:123], v[122:123], v[164:165] neg_lo:[0,1] neg_hi:[0,1]
	s_wait_dscnt 0x0
	v_pk_mul_f32 v[164:165], v[160:161], v[158:159] op_sel:[0,1]
	s_delay_alu instid0(VALU_DEP_1) | instskip(SKIP_1) | instid1(VALU_DEP_1)
	v_pk_fma_f32 v[166:167], v[160:161], v[156:157], v[164:165] op_sel:[0,0,1] op_sel_hi:[1,1,0] neg_lo:[0,0,1] neg_hi:[0,0,1]
	v_pk_fma_f32 v[160:161], v[160:161], v[156:157], v[164:165] op_sel:[0,0,1] op_sel_hi:[1,0,0]
	v_mov_b32_e32 v167, v161
	v_pk_mul_f32 v[160:161], v[162:163], v[158:159] op_sel:[0,1]
	s_delay_alu instid0(VALU_DEP_1) | instskip(SKIP_1) | instid1(VALU_DEP_1)
	v_pk_fma_f32 v[164:165], v[162:163], v[156:157], v[160:161] op_sel:[0,0,1] op_sel_hi:[1,1,0] neg_lo:[0,0,1] neg_hi:[0,0,1]
	v_pk_fma_f32 v[160:161], v[162:163], v[156:157], v[160:161] op_sel:[0,0,1] op_sel_hi:[1,0,0]
	v_mov_b32_e32 v165, v161
	ds_load_2addr_b64 v[160:163], v220 offset0:33 offset1:34
	v_pk_add_f32 v[118:119], v[118:119], v[166:167] neg_lo:[0,1] neg_hi:[0,1]
	v_pk_add_f32 v[136:137], v[136:137], v[164:165] neg_lo:[0,1] neg_hi:[0,1]
	s_wait_dscnt 0x0
	v_dual_mul_f32 v164, v161, v159 :: v_dual_mul_f32 v166, v161, v156
	s_delay_alu instid0(VALU_DEP_1) | instskip(NEXT) | instid1(VALU_DEP_2)
	v_pk_fma_f32 v[164:165], v[160:161], v[28:29], v[164:165] op_sel_hi:[1,1,0] neg_lo:[0,0,1] neg_hi:[0,0,1]
	v_pk_fma_f32 v[160:161], v[160:161], v[28:29], v[166:167] op_sel:[1,0,0] op_sel_hi:[0,1,0]
	s_delay_alu instid0(VALU_DEP_1) | instskip(SKIP_1) | instid1(VALU_DEP_2)
	v_mov_b32_e32 v165, v161
	v_pk_mul_f32 v[160:161], v[162:163], v[158:159] op_sel:[0,1]
	v_pk_add_f32 v[134:135], v[134:135], v[164:165] neg_lo:[0,1] neg_hi:[0,1]
	s_delay_alu instid0(VALU_DEP_2) | instskip(SKIP_1) | instid1(VALU_DEP_1)
	v_pk_fma_f32 v[164:165], v[162:163], v[156:157], v[160:161] op_sel:[0,0,1] op_sel_hi:[1,1,0] neg_lo:[0,0,1] neg_hi:[0,0,1]
	v_pk_fma_f32 v[160:161], v[162:163], v[156:157], v[160:161] op_sel:[0,0,1] op_sel_hi:[1,0,0]
	v_mov_b32_e32 v165, v161
	ds_load_b64 v[160:161], v220 offset:280
	v_pk_add_f32 v[132:133], v[132:133], v[164:165] neg_lo:[0,1] neg_hi:[0,1]
	s_wait_dscnt 0x0
	v_pk_mul_f32 v[158:159], v[160:161], v[158:159] op_sel:[0,1]
	s_delay_alu instid0(VALU_DEP_1) | instskip(SKIP_1) | instid1(VALU_DEP_1)
	v_pk_fma_f32 v[162:163], v[160:161], v[156:157], v[158:159] op_sel:[0,0,1] op_sel_hi:[1,1,0] neg_lo:[0,0,1] neg_hi:[0,0,1]
	v_pk_fma_f32 v[156:157], v[160:161], v[156:157], v[158:159] op_sel:[0,0,1] op_sel_hi:[1,0,0]
	v_mov_b32_e32 v163, v157
	s_delay_alu instid0(VALU_DEP_1)
	v_pk_add_f32 v[142:143], v[142:143], v[162:163] neg_lo:[0,1] neg_hi:[0,1]
.LBB71_46:
	s_or_b32 exec_lo, exec_lo, s1
	s_delay_alu instid0(SALU_CYCLE_1)
	s_mov_b32 s2, exec_lo
	s_wait_dscnt 0x0
	s_barrier_signal -1
	s_barrier_wait -1
	v_cmpx_eq_u32_e32 5, v218
	s_cbranch_execz .LBB71_53
; %bb.47:
	v_dual_mov_b32 v156, v26 :: v_dual_mov_b32 v157, v27
	v_dual_mov_b32 v158, v22 :: v_dual_mov_b32 v159, v23
	;; [unrolled: 1-line block ×8, first 2 shown]
	ds_store_b64 v219, v[24:25]
	ds_store_2addr_b64 v220, v[156:157], v[158:159] offset0:6 offset1:7
	ds_store_2addr_b64 v220, v[160:161], v[162:163] offset0:8 offset1:9
	;; [unrolled: 1-line block ×4, first 2 shown]
	v_dual_mov_b32 v156, v60 :: v_dual_mov_b32 v157, v61
	v_dual_mov_b32 v158, v92 :: v_dual_mov_b32 v159, v93
	;; [unrolled: 1-line block ×12, first 2 shown]
	ds_store_2addr_b64 v220, v[156:157], v[158:159] offset0:14 offset1:15
	ds_store_2addr_b64 v220, v[160:161], v[162:163] offset0:16 offset1:17
	;; [unrolled: 1-line block ×6, first 2 shown]
	v_dual_mov_b32 v156, v140 :: v_dual_mov_b32 v157, v141
	v_dual_mov_b32 v158, v98 :: v_dual_mov_b32 v159, v99
	;; [unrolled: 1-line block ×9, first 2 shown]
	ds_store_2addr_b64 v220, v[156:157], v[158:159] offset0:26 offset1:27
	ds_store_2addr_b64 v220, v[160:161], v[162:163] offset0:28 offset1:29
	;; [unrolled: 1-line block ×5, first 2 shown]
	ds_load_b64 v[156:157], v219
	s_wait_dscnt 0x0
	v_cmp_neq_f32_e32 vcc_lo, 0, v156
	v_cmp_neq_f32_e64 s1, 0, v157
	s_or_b32 s1, vcc_lo, s1
	s_delay_alu instid0(SALU_CYCLE_1)
	s_and_b32 exec_lo, exec_lo, s1
	s_cbranch_execz .LBB71_53
; %bb.48:
	v_cmp_ngt_f32_e64 s1, |v156|, |v157|
                                        ; implicit-def: $vgpr158_vgpr159
	s_and_saveexec_b32 s4, s1
	s_delay_alu instid0(SALU_CYCLE_1)
	s_xor_b32 s1, exec_lo, s4
	s_cbranch_execz .LBB71_50
; %bb.49:
	v_div_scale_f32 v158, null, v157, v157, v156
	v_div_scale_f32 v161, vcc_lo, v156, v157, v156
	s_delay_alu instid0(VALU_DEP_2) | instskip(SKIP_1) | instid1(TRANS32_DEP_1)
	v_rcp_f32_e32 v159, v158
	v_nop
	v_fma_f32 v160, -v158, v159, 1.0
	s_delay_alu instid0(VALU_DEP_1) | instskip(NEXT) | instid1(VALU_DEP_1)
	v_fmac_f32_e32 v159, v160, v159
	v_mul_f32_e32 v160, v161, v159
	s_delay_alu instid0(VALU_DEP_1) | instskip(NEXT) | instid1(VALU_DEP_1)
	v_fma_f32 v162, -v158, v160, v161
	v_fmac_f32_e32 v160, v162, v159
	s_delay_alu instid0(VALU_DEP_1) | instskip(NEXT) | instid1(VALU_DEP_1)
	v_fma_f32 v158, -v158, v160, v161
	v_div_fmas_f32 v158, v158, v159, v160
	s_delay_alu instid0(VALU_DEP_1) | instskip(NEXT) | instid1(VALU_DEP_1)
	v_div_fixup_f32 v158, v158, v157, v156
	v_fmac_f32_e32 v157, v156, v158
	s_delay_alu instid0(VALU_DEP_1) | instskip(SKIP_1) | instid1(VALU_DEP_2)
	v_div_scale_f32 v156, null, v157, v157, 1.0
	v_div_scale_f32 v161, vcc_lo, 1.0, v157, 1.0
	v_rcp_f32_e32 v159, v156
	v_nop
	s_delay_alu instid0(TRANS32_DEP_1) | instskip(NEXT) | instid1(VALU_DEP_1)
	v_fma_f32 v160, -v156, v159, 1.0
	v_fmac_f32_e32 v159, v160, v159
	s_delay_alu instid0(VALU_DEP_1) | instskip(NEXT) | instid1(VALU_DEP_1)
	v_mul_f32_e32 v160, v161, v159
	v_fma_f32 v162, -v156, v160, v161
	s_delay_alu instid0(VALU_DEP_1) | instskip(NEXT) | instid1(VALU_DEP_1)
	v_fmac_f32_e32 v160, v162, v159
	v_fma_f32 v156, -v156, v160, v161
	s_delay_alu instid0(VALU_DEP_1) | instskip(NEXT) | instid1(VALU_DEP_1)
	v_div_fmas_f32 v156, v156, v159, v160
	v_div_fixup_f32 v156, v156, v157, 1.0
	s_delay_alu instid0(VALU_DEP_1)
	v_mul_f32_e32 v158, v158, v156
	v_xor_b32_e32 v159, 0x80000000, v156
                                        ; implicit-def: $vgpr156_vgpr157
.LBB71_50:
	s_and_not1_saveexec_b32 s1, s1
	s_cbranch_execz .LBB71_52
; %bb.51:
	v_div_scale_f32 v158, null, v156, v156, v157
	v_div_scale_f32 v161, vcc_lo, v157, v156, v157
	s_delay_alu instid0(VALU_DEP_2) | instskip(SKIP_1) | instid1(TRANS32_DEP_1)
	v_rcp_f32_e32 v159, v158
	v_nop
	v_fma_f32 v160, -v158, v159, 1.0
	s_delay_alu instid0(VALU_DEP_1) | instskip(NEXT) | instid1(VALU_DEP_1)
	v_fmac_f32_e32 v159, v160, v159
	v_mul_f32_e32 v160, v161, v159
	s_delay_alu instid0(VALU_DEP_1) | instskip(NEXT) | instid1(VALU_DEP_1)
	v_fma_f32 v162, -v158, v160, v161
	v_fmac_f32_e32 v160, v162, v159
	s_delay_alu instid0(VALU_DEP_1) | instskip(NEXT) | instid1(VALU_DEP_1)
	v_fma_f32 v158, -v158, v160, v161
	v_div_fmas_f32 v158, v158, v159, v160
	s_delay_alu instid0(VALU_DEP_1) | instskip(NEXT) | instid1(VALU_DEP_1)
	v_div_fixup_f32 v159, v158, v156, v157
	v_fmac_f32_e32 v156, v157, v159
	s_delay_alu instid0(VALU_DEP_1) | instskip(NEXT) | instid1(VALU_DEP_1)
	v_div_scale_f32 v157, null, v156, v156, 1.0
	v_rcp_f32_e32 v158, v157
	v_nop
	s_delay_alu instid0(TRANS32_DEP_1) | instskip(NEXT) | instid1(VALU_DEP_1)
	v_fma_f32 v160, -v157, v158, 1.0
	v_fmac_f32_e32 v158, v160, v158
	v_div_scale_f32 v160, vcc_lo, 1.0, v156, 1.0
	s_delay_alu instid0(VALU_DEP_1) | instskip(NEXT) | instid1(VALU_DEP_1)
	v_mul_f32_e32 v161, v160, v158
	v_fma_f32 v162, -v157, v161, v160
	s_delay_alu instid0(VALU_DEP_1) | instskip(NEXT) | instid1(VALU_DEP_1)
	v_fmac_f32_e32 v161, v162, v158
	v_fma_f32 v157, -v157, v161, v160
	s_delay_alu instid0(VALU_DEP_1) | instskip(NEXT) | instid1(VALU_DEP_1)
	v_div_fmas_f32 v157, v157, v158, v161
	v_div_fixup_f32 v158, v157, v156, 1.0
	s_delay_alu instid0(VALU_DEP_1)
	v_mul_f32_e64 v159, v159, -v158
.LBB71_52:
	s_or_b32 exec_lo, exec_lo, s1
	ds_store_b64 v219, v[158:159]
.LBB71_53:
	s_or_b32 exec_lo, exec_lo, s2
	s_wait_dscnt 0x0
	s_barrier_signal -1
	s_barrier_wait -1
	ds_load_b64 v[156:157], v219
	s_mov_b32 s1, exec_lo
	v_cmpx_lt_u32_e32 5, v218
	s_cbranch_execz .LBB71_55
; %bb.54:
	ds_load_2addr_b64 v[162:165], v220 offset0:6 offset1:7
	s_wait_dscnt 0x1
	v_pk_mul_f32 v[160:161], v[156:157], v[24:25] op_sel:[1,1] op_sel_hi:[0,1]
	s_delay_alu instid0(VALU_DEP_1) | instskip(SKIP_1) | instid1(VALU_DEP_1)
	v_pk_fma_f32 v[158:159], v[156:157], v[24:25], v[160:161] op_sel_hi:[1,0,1] neg_lo:[0,0,1] neg_hi:[0,0,1]
	v_pk_fma_f32 v[160:161], v[156:157], v[24:25], v[160:161] op_sel_hi:[1,0,1]
	v_dual_mov_b32 v24, v158 :: v_dual_mov_b32 v25, v161
	s_wait_dscnt 0x0
	s_delay_alu instid0(VALU_DEP_2) | instskip(NEXT) | instid1(VALU_DEP_1)
	v_pk_mul_f32 v[166:167], v[162:163], v[160:161] op_sel:[0,1]
	v_pk_fma_f32 v[168:169], v[162:163], v[158:159], v[166:167] op_sel:[0,0,1] op_sel_hi:[1,1,0] neg_lo:[0,0,1] neg_hi:[0,0,1]
	v_pk_fma_f32 v[162:163], v[162:163], v[158:159], v[166:167] op_sel:[0,0,1] op_sel_hi:[1,0,0]
	s_delay_alu instid0(VALU_DEP_1) | instskip(SKIP_1) | instid1(VALU_DEP_1)
	v_mov_b32_e32 v169, v163
	v_pk_mul_f32 v[162:163], v[164:165], v[160:161] op_sel:[0,1]
	v_pk_fma_f32 v[166:167], v[164:165], v[158:159], v[162:163] op_sel:[0,0,1] op_sel_hi:[1,1,0] neg_lo:[0,0,1] neg_hi:[0,0,1]
	v_pk_fma_f32 v[162:163], v[164:165], v[158:159], v[162:163] op_sel:[0,0,1] op_sel_hi:[1,0,0]
	s_delay_alu instid0(VALU_DEP_1)
	v_mov_b32_e32 v167, v163
	ds_load_2addr_b64 v[162:165], v220 offset0:8 offset1:9
	v_pk_add_f32 v[26:27], v[26:27], v[168:169] neg_lo:[0,1] neg_hi:[0,1]
	v_pk_add_f32 v[22:23], v[22:23], v[166:167] neg_lo:[0,1] neg_hi:[0,1]
	s_wait_dscnt 0x0
	v_pk_mul_f32 v[166:167], v[162:163], v[160:161] op_sel:[0,1]
	s_delay_alu instid0(VALU_DEP_1) | instskip(SKIP_2) | instid1(VALU_DEP_2)
	v_pk_fma_f32 v[168:169], v[162:163], v[158:159], v[166:167] op_sel:[0,0,1] op_sel_hi:[1,1,0] neg_lo:[0,0,1] neg_hi:[0,0,1]
	v_pk_fma_f32 v[162:163], v[162:163], v[158:159], v[166:167] op_sel:[0,0,1] op_sel_hi:[1,0,0]
	v_dual_mul_f32 v166, v165, v161 :: v_dual_mov_b32 v162, v165
	v_dual_mov_b32 v169, v163 :: v_dual_mov_b32 v163, v164
	s_delay_alu instid0(VALU_DEP_2) | instskip(SKIP_1) | instid1(VALU_DEP_3)
	v_pk_fma_f32 v[166:167], v[164:165], v[24:25], v[166:167] op_sel_hi:[1,1,0] neg_lo:[0,0,1] neg_hi:[0,0,1]
	v_mul_f32_e32 v164, v165, v158
	v_pk_add_f32 v[42:43], v[42:43], v[168:169] neg_lo:[0,1] neg_hi:[0,1]
	s_delay_alu instid0(VALU_DEP_2) | instskip(NEXT) | instid1(VALU_DEP_1)
	v_pk_fma_f32 v[162:163], v[162:163], v[24:25], v[164:165] op_sel_hi:[1,1,0]
	v_mov_b32_e32 v167, v163
	ds_load_2addr_b64 v[162:165], v220 offset0:10 offset1:11
	v_pk_add_f32 v[38:39], v[38:39], v[166:167] neg_lo:[0,1] neg_hi:[0,1]
	s_wait_dscnt 0x0
	v_pk_mul_f32 v[166:167], v[162:163], v[160:161] op_sel:[0,1]
	s_delay_alu instid0(VALU_DEP_1) | instskip(SKIP_1) | instid1(VALU_DEP_1)
	v_pk_fma_f32 v[168:169], v[162:163], v[158:159], v[166:167] op_sel:[0,0,1] op_sel_hi:[1,1,0] neg_lo:[0,0,1] neg_hi:[0,0,1]
	v_pk_fma_f32 v[162:163], v[162:163], v[158:159], v[166:167] op_sel:[0,0,1] op_sel_hi:[1,0,0]
	v_mov_b32_e32 v169, v163
	v_pk_mul_f32 v[162:163], v[164:165], v[160:161] op_sel:[0,1]
	s_delay_alu instid0(VALU_DEP_1) | instskip(SKIP_1) | instid1(VALU_DEP_1)
	v_pk_fma_f32 v[166:167], v[164:165], v[158:159], v[162:163] op_sel:[0,0,1] op_sel_hi:[1,1,0] neg_lo:[0,0,1] neg_hi:[0,0,1]
	v_pk_fma_f32 v[162:163], v[164:165], v[158:159], v[162:163] op_sel:[0,0,1] op_sel_hi:[1,0,0]
	v_mov_b32_e32 v167, v163
	ds_load_2addr_b64 v[162:165], v220 offset0:12 offset1:13
	v_pk_add_f32 v[40:41], v[40:41], v[168:169] neg_lo:[0,1] neg_hi:[0,1]
	v_pk_add_f32 v[36:37], v[36:37], v[166:167] neg_lo:[0,1] neg_hi:[0,1]
	s_wait_dscnt 0x0
	v_pk_mul_f32 v[166:167], v[162:163], v[160:161] op_sel:[0,1]
	s_delay_alu instid0(VALU_DEP_1) | instskip(SKIP_1) | instid1(VALU_DEP_1)
	v_pk_fma_f32 v[168:169], v[162:163], v[158:159], v[166:167] op_sel:[0,0,1] op_sel_hi:[1,1,0] neg_lo:[0,0,1] neg_hi:[0,0,1]
	v_pk_fma_f32 v[162:163], v[162:163], v[158:159], v[166:167] op_sel:[0,0,1] op_sel_hi:[1,0,0]
	v_mov_b32_e32 v169, v163
	v_pk_mul_f32 v[162:163], v[164:165], v[160:161] op_sel:[0,1]
	s_delay_alu instid0(VALU_DEP_1) | instskip(SKIP_1) | instid1(VALU_DEP_1)
	v_pk_fma_f32 v[166:167], v[164:165], v[158:159], v[162:163] op_sel:[0,0,1] op_sel_hi:[1,1,0] neg_lo:[0,0,1] neg_hi:[0,0,1]
	v_pk_fma_f32 v[162:163], v[164:165], v[158:159], v[162:163] op_sel:[0,0,1] op_sel_hi:[1,0,0]
	v_mov_b32_e32 v167, v163
	ds_load_2addr_b64 v[162:165], v220 offset0:14 offset1:15
	v_pk_add_f32 v[62:63], v[62:63], v[168:169] neg_lo:[0,1] neg_hi:[0,1]
	v_pk_add_f32 v[58:59], v[58:59], v[166:167] neg_lo:[0,1] neg_hi:[0,1]
	s_wait_dscnt 0x0
	v_dual_mul_f32 v166, v163, v161 :: v_dual_mul_f32 v168, v163, v158
	s_delay_alu instid0(VALU_DEP_1) | instskip(NEXT) | instid1(VALU_DEP_2)
	v_pk_fma_f32 v[166:167], v[162:163], v[24:25], v[166:167] op_sel_hi:[1,1,0] neg_lo:[0,0,1] neg_hi:[0,0,1]
	v_pk_fma_f32 v[162:163], v[162:163], v[24:25], v[168:169] op_sel:[1,0,0] op_sel_hi:[0,1,0]
	s_delay_alu instid0(VALU_DEP_1) | instskip(SKIP_1) | instid1(VALU_DEP_2)
	v_mov_b32_e32 v167, v163
	v_pk_mul_f32 v[162:163], v[164:165], v[160:161] op_sel:[0,1]
	v_pk_add_f32 v[60:61], v[60:61], v[166:167] neg_lo:[0,1] neg_hi:[0,1]
	s_delay_alu instid0(VALU_DEP_2) | instskip(SKIP_1) | instid1(VALU_DEP_1)
	v_pk_fma_f32 v[166:167], v[164:165], v[158:159], v[162:163] op_sel:[0,0,1] op_sel_hi:[1,1,0] neg_lo:[0,0,1] neg_hi:[0,0,1]
	v_pk_fma_f32 v[162:163], v[164:165], v[158:159], v[162:163] op_sel:[0,0,1] op_sel_hi:[1,0,0]
	v_mov_b32_e32 v167, v163
	ds_load_2addr_b64 v[162:165], v220 offset0:16 offset1:17
	v_pk_add_f32 v[92:93], v[92:93], v[166:167] neg_lo:[0,1] neg_hi:[0,1]
	s_wait_dscnt 0x0
	v_pk_mul_f32 v[166:167], v[162:163], v[160:161] op_sel:[0,1]
	s_delay_alu instid0(VALU_DEP_1) | instskip(SKIP_1) | instid1(VALU_DEP_1)
	v_pk_fma_f32 v[168:169], v[162:163], v[158:159], v[166:167] op_sel:[0,0,1] op_sel_hi:[1,1,0] neg_lo:[0,0,1] neg_hi:[0,0,1]
	v_pk_fma_f32 v[162:163], v[162:163], v[158:159], v[166:167] op_sel:[0,0,1] op_sel_hi:[1,0,0]
	v_mov_b32_e32 v169, v163
	v_pk_mul_f32 v[162:163], v[164:165], v[160:161] op_sel:[0,1]
	s_delay_alu instid0(VALU_DEP_2) | instskip(NEXT) | instid1(VALU_DEP_2)
	v_pk_add_f32 v[90:91], v[90:91], v[168:169] neg_lo:[0,1] neg_hi:[0,1]
	v_pk_fma_f32 v[166:167], v[164:165], v[158:159], v[162:163] op_sel:[0,0,1] op_sel_hi:[1,1,0] neg_lo:[0,0,1] neg_hi:[0,0,1]
	v_pk_fma_f32 v[162:163], v[164:165], v[158:159], v[162:163] op_sel:[0,0,1] op_sel_hi:[1,0,0]
	s_delay_alu instid0(VALU_DEP_1) | instskip(SKIP_4) | instid1(VALU_DEP_1)
	v_mov_b32_e32 v167, v163
	ds_load_2addr_b64 v[162:165], v220 offset0:18 offset1:19
	v_pk_add_f32 v[114:115], v[114:115], v[166:167] neg_lo:[0,1] neg_hi:[0,1]
	s_wait_dscnt 0x0
	v_pk_mul_f32 v[166:167], v[162:163], v[160:161] op_sel:[0,1]
	v_pk_fma_f32 v[168:169], v[162:163], v[158:159], v[166:167] op_sel:[0,0,1] op_sel_hi:[1,1,0] neg_lo:[0,0,1] neg_hi:[0,0,1]
	v_pk_fma_f32 v[162:163], v[162:163], v[158:159], v[166:167] op_sel:[0,0,1] op_sel_hi:[1,0,0]
	v_dual_mul_f32 v166, v165, v161 :: v_dual_mov_b32 v162, v165
	s_delay_alu instid0(VALU_DEP_2) | instskip(NEXT) | instid1(VALU_DEP_2)
	v_dual_mov_b32 v169, v163 :: v_dual_mov_b32 v163, v164
	v_pk_fma_f32 v[166:167], v[164:165], v[24:25], v[166:167] op_sel_hi:[1,1,0] neg_lo:[0,0,1] neg_hi:[0,0,1]
	v_mul_f32_e32 v164, v165, v158
	s_delay_alu instid0(VALU_DEP_3) | instskip(NEXT) | instid1(VALU_DEP_2)
	v_pk_add_f32 v[116:117], v[116:117], v[168:169] neg_lo:[0,1] neg_hi:[0,1]
	v_pk_fma_f32 v[162:163], v[162:163], v[24:25], v[164:165] op_sel_hi:[1,1,0]
	s_delay_alu instid0(VALU_DEP_1) | instskip(SKIP_4) | instid1(VALU_DEP_1)
	v_mov_b32_e32 v167, v163
	ds_load_2addr_b64 v[162:165], v220 offset0:20 offset1:21
	v_pk_add_f32 v[112:113], v[112:113], v[166:167] neg_lo:[0,1] neg_hi:[0,1]
	s_wait_dscnt 0x0
	v_pk_mul_f32 v[166:167], v[162:163], v[160:161] op_sel:[0,1]
	v_pk_fma_f32 v[168:169], v[162:163], v[158:159], v[166:167] op_sel:[0,0,1] op_sel_hi:[1,1,0] neg_lo:[0,0,1] neg_hi:[0,0,1]
	v_pk_fma_f32 v[162:163], v[162:163], v[158:159], v[166:167] op_sel:[0,0,1] op_sel_hi:[1,0,0]
	s_delay_alu instid0(VALU_DEP_1) | instskip(SKIP_1) | instid1(VALU_DEP_1)
	v_mov_b32_e32 v169, v163
	v_pk_mul_f32 v[162:163], v[164:165], v[160:161] op_sel:[0,1]
	v_pk_fma_f32 v[166:167], v[164:165], v[158:159], v[162:163] op_sel:[0,0,1] op_sel_hi:[1,1,0] neg_lo:[0,0,1] neg_hi:[0,0,1]
	v_pk_fma_f32 v[162:163], v[164:165], v[158:159], v[162:163] op_sel:[0,0,1] op_sel_hi:[1,0,0]
	s_delay_alu instid0(VALU_DEP_1)
	v_mov_b32_e32 v167, v163
	ds_load_2addr_b64 v[162:165], v220 offset0:22 offset1:23
	v_pk_add_f32 v[102:103], v[102:103], v[168:169] neg_lo:[0,1] neg_hi:[0,1]
	v_pk_add_f32 v[128:129], v[128:129], v[166:167] neg_lo:[0,1] neg_hi:[0,1]
	s_wait_dscnt 0x0
	v_pk_mul_f32 v[166:167], v[162:163], v[160:161] op_sel:[0,1]
	s_delay_alu instid0(VALU_DEP_1) | instskip(SKIP_1) | instid1(VALU_DEP_1)
	v_pk_fma_f32 v[168:169], v[162:163], v[158:159], v[166:167] op_sel:[0,0,1] op_sel_hi:[1,1,0] neg_lo:[0,0,1] neg_hi:[0,0,1]
	v_pk_fma_f32 v[162:163], v[162:163], v[158:159], v[166:167] op_sel:[0,0,1] op_sel_hi:[1,0,0]
	v_mov_b32_e32 v169, v163
	v_pk_mul_f32 v[162:163], v[164:165], v[160:161] op_sel:[0,1]
	s_delay_alu instid0(VALU_DEP_1) | instskip(SKIP_1) | instid1(VALU_DEP_1)
	v_pk_fma_f32 v[166:167], v[164:165], v[158:159], v[162:163] op_sel:[0,0,1] op_sel_hi:[1,1,0] neg_lo:[0,0,1] neg_hi:[0,0,1]
	v_pk_fma_f32 v[162:163], v[164:165], v[158:159], v[162:163] op_sel:[0,0,1] op_sel_hi:[1,0,0]
	v_mov_b32_e32 v167, v163
	ds_load_2addr_b64 v[162:165], v220 offset0:24 offset1:25
	v_pk_add_f32 v[130:131], v[130:131], v[168:169] neg_lo:[0,1] neg_hi:[0,1]
	v_pk_add_f32 v[126:127], v[126:127], v[166:167] neg_lo:[0,1] neg_hi:[0,1]
	s_wait_dscnt 0x0
	v_dual_mul_f32 v166, v163, v161 :: v_dual_mul_f32 v168, v163, v158
	s_delay_alu instid0(VALU_DEP_1) | instskip(NEXT) | instid1(VALU_DEP_2)
	v_pk_fma_f32 v[166:167], v[162:163], v[24:25], v[166:167] op_sel_hi:[1,1,0] neg_lo:[0,0,1] neg_hi:[0,0,1]
	v_pk_fma_f32 v[162:163], v[162:163], v[24:25], v[168:169] op_sel:[1,0,0] op_sel_hi:[0,1,0]
	s_delay_alu instid0(VALU_DEP_1) | instskip(SKIP_1) | instid1(VALU_DEP_2)
	v_mov_b32_e32 v167, v163
	v_pk_mul_f32 v[162:163], v[164:165], v[160:161] op_sel:[0,1]
	v_pk_add_f32 v[144:145], v[144:145], v[166:167] neg_lo:[0,1] neg_hi:[0,1]
	s_delay_alu instid0(VALU_DEP_2) | instskip(SKIP_1) | instid1(VALU_DEP_1)
	v_pk_fma_f32 v[166:167], v[164:165], v[158:159], v[162:163] op_sel:[0,0,1] op_sel_hi:[1,1,0] neg_lo:[0,0,1] neg_hi:[0,0,1]
	v_pk_fma_f32 v[162:163], v[164:165], v[158:159], v[162:163] op_sel:[0,0,1] op_sel_hi:[1,0,0]
	v_mov_b32_e32 v167, v163
	ds_load_2addr_b64 v[162:165], v220 offset0:26 offset1:27
	v_pk_add_f32 v[138:139], v[138:139], v[166:167] neg_lo:[0,1] neg_hi:[0,1]
	s_wait_dscnt 0x0
	v_pk_mul_f32 v[166:167], v[162:163], v[160:161] op_sel:[0,1]
	s_delay_alu instid0(VALU_DEP_1) | instskip(SKIP_1) | instid1(VALU_DEP_1)
	v_pk_fma_f32 v[168:169], v[162:163], v[158:159], v[166:167] op_sel:[0,0,1] op_sel_hi:[1,1,0] neg_lo:[0,0,1] neg_hi:[0,0,1]
	v_pk_fma_f32 v[162:163], v[162:163], v[158:159], v[166:167] op_sel:[0,0,1] op_sel_hi:[1,0,0]
	v_mov_b32_e32 v169, v163
	v_pk_mul_f32 v[162:163], v[164:165], v[160:161] op_sel:[0,1]
	s_delay_alu instid0(VALU_DEP_2) | instskip(NEXT) | instid1(VALU_DEP_2)
	v_pk_add_f32 v[140:141], v[140:141], v[168:169] neg_lo:[0,1] neg_hi:[0,1]
	v_pk_fma_f32 v[166:167], v[164:165], v[158:159], v[162:163] op_sel:[0,0,1] op_sel_hi:[1,1,0] neg_lo:[0,0,1] neg_hi:[0,0,1]
	v_pk_fma_f32 v[162:163], v[164:165], v[158:159], v[162:163] op_sel:[0,0,1] op_sel_hi:[1,0,0]
	s_delay_alu instid0(VALU_DEP_1) | instskip(SKIP_4) | instid1(VALU_DEP_1)
	v_mov_b32_e32 v167, v163
	ds_load_2addr_b64 v[162:165], v220 offset0:28 offset1:29
	v_pk_add_f32 v[98:99], v[98:99], v[166:167] neg_lo:[0,1] neg_hi:[0,1]
	s_wait_dscnt 0x0
	v_pk_mul_f32 v[166:167], v[162:163], v[160:161] op_sel:[0,1]
	v_pk_fma_f32 v[168:169], v[162:163], v[158:159], v[166:167] op_sel:[0,0,1] op_sel_hi:[1,1,0] neg_lo:[0,0,1] neg_hi:[0,0,1]
	v_pk_fma_f32 v[162:163], v[162:163], v[158:159], v[166:167] op_sel:[0,0,1] op_sel_hi:[1,0,0]
	v_dual_mul_f32 v166, v165, v161 :: v_dual_mov_b32 v162, v165
	s_delay_alu instid0(VALU_DEP_2) | instskip(NEXT) | instid1(VALU_DEP_2)
	v_dual_mov_b32 v169, v163 :: v_dual_mov_b32 v163, v164
	v_pk_fma_f32 v[166:167], v[164:165], v[24:25], v[166:167] op_sel_hi:[1,1,0] neg_lo:[0,0,1] neg_hi:[0,0,1]
	v_mul_f32_e32 v164, v165, v158
	s_delay_alu instid0(VALU_DEP_3) | instskip(NEXT) | instid1(VALU_DEP_2)
	v_pk_add_f32 v[124:125], v[124:125], v[168:169] neg_lo:[0,1] neg_hi:[0,1]
	v_pk_fma_f32 v[162:163], v[162:163], v[24:25], v[164:165] op_sel_hi:[1,1,0]
	s_delay_alu instid0(VALU_DEP_1) | instskip(SKIP_4) | instid1(VALU_DEP_1)
	v_mov_b32_e32 v167, v163
	ds_load_2addr_b64 v[162:165], v220 offset0:30 offset1:31
	v_pk_add_f32 v[120:121], v[120:121], v[166:167] neg_lo:[0,1] neg_hi:[0,1]
	s_wait_dscnt 0x0
	v_pk_mul_f32 v[166:167], v[162:163], v[160:161] op_sel:[0,1]
	v_pk_fma_f32 v[168:169], v[162:163], v[158:159], v[166:167] op_sel:[0,0,1] op_sel_hi:[1,1,0] neg_lo:[0,0,1] neg_hi:[0,0,1]
	v_pk_fma_f32 v[162:163], v[162:163], v[158:159], v[166:167] op_sel:[0,0,1] op_sel_hi:[1,0,0]
	s_delay_alu instid0(VALU_DEP_1) | instskip(SKIP_1) | instid1(VALU_DEP_1)
	v_mov_b32_e32 v169, v163
	v_pk_mul_f32 v[162:163], v[164:165], v[160:161] op_sel:[0,1]
	v_pk_fma_f32 v[166:167], v[164:165], v[158:159], v[162:163] op_sel:[0,0,1] op_sel_hi:[1,1,0] neg_lo:[0,0,1] neg_hi:[0,0,1]
	v_pk_fma_f32 v[162:163], v[164:165], v[158:159], v[162:163] op_sel:[0,0,1] op_sel_hi:[1,0,0]
	s_delay_alu instid0(VALU_DEP_1)
	v_mov_b32_e32 v167, v163
	ds_load_2addr_b64 v[162:165], v220 offset0:32 offset1:33
	v_pk_add_f32 v[122:123], v[122:123], v[168:169] neg_lo:[0,1] neg_hi:[0,1]
	v_pk_add_f32 v[118:119], v[118:119], v[166:167] neg_lo:[0,1] neg_hi:[0,1]
	s_wait_dscnt 0x0
	v_pk_mul_f32 v[166:167], v[162:163], v[160:161] op_sel:[0,1]
	s_delay_alu instid0(VALU_DEP_1) | instskip(SKIP_1) | instid1(VALU_DEP_1)
	v_pk_fma_f32 v[168:169], v[162:163], v[158:159], v[166:167] op_sel:[0,0,1] op_sel_hi:[1,1,0] neg_lo:[0,0,1] neg_hi:[0,0,1]
	v_pk_fma_f32 v[162:163], v[162:163], v[158:159], v[166:167] op_sel:[0,0,1] op_sel_hi:[1,0,0]
	v_mov_b32_e32 v169, v163
	v_pk_mul_f32 v[162:163], v[164:165], v[160:161] op_sel:[0,1]
	s_delay_alu instid0(VALU_DEP_1) | instskip(SKIP_1) | instid1(VALU_DEP_1)
	v_pk_fma_f32 v[166:167], v[164:165], v[158:159], v[162:163] op_sel:[0,0,1] op_sel_hi:[1,1,0] neg_lo:[0,0,1] neg_hi:[0,0,1]
	v_pk_fma_f32 v[162:163], v[164:165], v[158:159], v[162:163] op_sel:[0,0,1] op_sel_hi:[1,0,0]
	v_mov_b32_e32 v167, v163
	ds_load_2addr_b64 v[162:165], v220 offset0:34 offset1:35
	v_pk_add_f32 v[136:137], v[136:137], v[168:169] neg_lo:[0,1] neg_hi:[0,1]
	v_pk_add_f32 v[134:135], v[134:135], v[166:167] neg_lo:[0,1] neg_hi:[0,1]
	s_wait_dscnt 0x0
	v_mul_f32_e32 v160, v163, v161
	s_delay_alu instid0(VALU_DEP_1) | instskip(SKIP_1) | instid1(VALU_DEP_1)
	v_pk_fma_f32 v[166:167], v[162:163], v[24:25], v[160:161] op_sel_hi:[1,1,0] neg_lo:[0,0,1] neg_hi:[0,0,1]
	v_dual_mul_f32 v160, v163, v158 :: v_dual_mul_f32 v158, v165, v158
	v_pk_fma_f32 v[162:163], v[162:163], v[24:25], v[160:161] op_sel:[1,0,0] op_sel_hi:[0,1,0]
	v_dual_mov_b32 v162, v165 :: v_dual_mul_f32 v160, v165, v161
	s_delay_alu instid0(VALU_DEP_2) | instskip(NEXT) | instid1(VALU_DEP_2)
	v_dual_mov_b32 v167, v163 :: v_dual_mov_b32 v163, v164
	v_pk_fma_f32 v[160:161], v[164:165], v[24:25], v[160:161] op_sel_hi:[1,1,0] neg_lo:[0,0,1] neg_hi:[0,0,1]
	s_delay_alu instid0(VALU_DEP_2) | instskip(NEXT) | instid1(VALU_DEP_3)
	v_pk_add_f32 v[132:133], v[132:133], v[166:167] neg_lo:[0,1] neg_hi:[0,1]
	v_pk_fma_f32 v[158:159], v[162:163], v[24:25], v[158:159] op_sel_hi:[1,1,0]
	s_delay_alu instid0(VALU_DEP_1) | instskip(NEXT) | instid1(VALU_DEP_1)
	v_mov_b32_e32 v161, v159
	v_pk_add_f32 v[142:143], v[142:143], v[160:161] neg_lo:[0,1] neg_hi:[0,1]
.LBB71_55:
	s_or_b32 exec_lo, exec_lo, s1
	s_delay_alu instid0(SALU_CYCLE_1)
	s_mov_b32 s2, exec_lo
	s_wait_dscnt 0x0
	s_barrier_signal -1
	s_barrier_wait -1
	v_cmpx_eq_u32_e32 6, v218
	s_cbranch_execz .LBB71_62
; %bb.56:
	ds_store_b64 v219, v[26:27]
	ds_store_2addr_b64 v220, v[22:23], v[42:43] offset0:7 offset1:8
	ds_store_2addr_b64 v220, v[38:39], v[40:41] offset0:9 offset1:10
	;; [unrolled: 1-line block ×14, first 2 shown]
	ds_store_b64 v220, v[142:143] offset:280
	ds_load_b64 v[158:159], v219
	s_wait_dscnt 0x0
	v_cmp_neq_f32_e32 vcc_lo, 0, v158
	v_cmp_neq_f32_e64 s1, 0, v159
	s_or_b32 s1, vcc_lo, s1
	s_delay_alu instid0(SALU_CYCLE_1)
	s_and_b32 exec_lo, exec_lo, s1
	s_cbranch_execz .LBB71_62
; %bb.57:
	v_cmp_ngt_f32_e64 s1, |v158|, |v159|
                                        ; implicit-def: $vgpr160_vgpr161
	s_and_saveexec_b32 s4, s1
	s_delay_alu instid0(SALU_CYCLE_1)
	s_xor_b32 s1, exec_lo, s4
	s_cbranch_execz .LBB71_59
; %bb.58:
	v_div_scale_f32 v160, null, v159, v159, v158
	v_div_scale_f32 v163, vcc_lo, v158, v159, v158
	s_delay_alu instid0(VALU_DEP_2) | instskip(SKIP_1) | instid1(TRANS32_DEP_1)
	v_rcp_f32_e32 v161, v160
	v_nop
	v_fma_f32 v162, -v160, v161, 1.0
	s_delay_alu instid0(VALU_DEP_1) | instskip(NEXT) | instid1(VALU_DEP_1)
	v_fmac_f32_e32 v161, v162, v161
	v_mul_f32_e32 v162, v163, v161
	s_delay_alu instid0(VALU_DEP_1) | instskip(NEXT) | instid1(VALU_DEP_1)
	v_fma_f32 v164, -v160, v162, v163
	v_fmac_f32_e32 v162, v164, v161
	s_delay_alu instid0(VALU_DEP_1) | instskip(NEXT) | instid1(VALU_DEP_1)
	v_fma_f32 v160, -v160, v162, v163
	v_div_fmas_f32 v160, v160, v161, v162
	s_delay_alu instid0(VALU_DEP_1) | instskip(NEXT) | instid1(VALU_DEP_1)
	v_div_fixup_f32 v160, v160, v159, v158
	v_fmac_f32_e32 v159, v158, v160
	s_delay_alu instid0(VALU_DEP_1) | instskip(SKIP_1) | instid1(VALU_DEP_2)
	v_div_scale_f32 v158, null, v159, v159, 1.0
	v_div_scale_f32 v163, vcc_lo, 1.0, v159, 1.0
	v_rcp_f32_e32 v161, v158
	v_nop
	s_delay_alu instid0(TRANS32_DEP_1) | instskip(NEXT) | instid1(VALU_DEP_1)
	v_fma_f32 v162, -v158, v161, 1.0
	v_fmac_f32_e32 v161, v162, v161
	s_delay_alu instid0(VALU_DEP_1) | instskip(NEXT) | instid1(VALU_DEP_1)
	v_mul_f32_e32 v162, v163, v161
	v_fma_f32 v164, -v158, v162, v163
	s_delay_alu instid0(VALU_DEP_1) | instskip(NEXT) | instid1(VALU_DEP_1)
	v_fmac_f32_e32 v162, v164, v161
	v_fma_f32 v158, -v158, v162, v163
	s_delay_alu instid0(VALU_DEP_1) | instskip(NEXT) | instid1(VALU_DEP_1)
	v_div_fmas_f32 v158, v158, v161, v162
	v_div_fixup_f32 v158, v158, v159, 1.0
	s_delay_alu instid0(VALU_DEP_1)
	v_mul_f32_e32 v160, v160, v158
	v_xor_b32_e32 v161, 0x80000000, v158
                                        ; implicit-def: $vgpr158_vgpr159
.LBB71_59:
	s_and_not1_saveexec_b32 s1, s1
	s_cbranch_execz .LBB71_61
; %bb.60:
	v_div_scale_f32 v160, null, v158, v158, v159
	v_div_scale_f32 v163, vcc_lo, v159, v158, v159
	s_delay_alu instid0(VALU_DEP_2) | instskip(SKIP_1) | instid1(TRANS32_DEP_1)
	v_rcp_f32_e32 v161, v160
	v_nop
	v_fma_f32 v162, -v160, v161, 1.0
	s_delay_alu instid0(VALU_DEP_1) | instskip(NEXT) | instid1(VALU_DEP_1)
	v_fmac_f32_e32 v161, v162, v161
	v_mul_f32_e32 v162, v163, v161
	s_delay_alu instid0(VALU_DEP_1) | instskip(NEXT) | instid1(VALU_DEP_1)
	v_fma_f32 v164, -v160, v162, v163
	v_fmac_f32_e32 v162, v164, v161
	s_delay_alu instid0(VALU_DEP_1) | instskip(NEXT) | instid1(VALU_DEP_1)
	v_fma_f32 v160, -v160, v162, v163
	v_div_fmas_f32 v160, v160, v161, v162
	s_delay_alu instid0(VALU_DEP_1) | instskip(NEXT) | instid1(VALU_DEP_1)
	v_div_fixup_f32 v161, v160, v158, v159
	v_fmac_f32_e32 v158, v159, v161
	s_delay_alu instid0(VALU_DEP_1) | instskip(NEXT) | instid1(VALU_DEP_1)
	v_div_scale_f32 v159, null, v158, v158, 1.0
	v_rcp_f32_e32 v160, v159
	v_nop
	s_delay_alu instid0(TRANS32_DEP_1) | instskip(NEXT) | instid1(VALU_DEP_1)
	v_fma_f32 v162, -v159, v160, 1.0
	v_fmac_f32_e32 v160, v162, v160
	v_div_scale_f32 v162, vcc_lo, 1.0, v158, 1.0
	s_delay_alu instid0(VALU_DEP_1) | instskip(NEXT) | instid1(VALU_DEP_1)
	v_mul_f32_e32 v163, v162, v160
	v_fma_f32 v164, -v159, v163, v162
	s_delay_alu instid0(VALU_DEP_1) | instskip(NEXT) | instid1(VALU_DEP_1)
	v_fmac_f32_e32 v163, v164, v160
	v_fma_f32 v159, -v159, v163, v162
	s_delay_alu instid0(VALU_DEP_1) | instskip(NEXT) | instid1(VALU_DEP_1)
	v_div_fmas_f32 v159, v159, v160, v163
	v_div_fixup_f32 v160, v159, v158, 1.0
	s_delay_alu instid0(VALU_DEP_1)
	v_mul_f32_e64 v161, v161, -v160
.LBB71_61:
	s_or_b32 exec_lo, exec_lo, s1
	ds_store_b64 v219, v[160:161]
.LBB71_62:
	s_or_b32 exec_lo, exec_lo, s2
	s_wait_dscnt 0x0
	s_barrier_signal -1
	s_barrier_wait -1
	ds_load_b64 v[158:159], v219
	s_mov_b32 s1, exec_lo
	v_cmpx_lt_u32_e32 6, v218
	s_cbranch_execz .LBB71_64
; %bb.63:
	ds_load_2addr_b64 v[164:167], v220 offset0:7 offset1:8
	s_wait_dscnt 0x1
	v_pk_mul_f32 v[162:163], v[158:159], v[26:27] op_sel:[1,1] op_sel_hi:[0,1]
	s_delay_alu instid0(VALU_DEP_1) | instskip(SKIP_1) | instid1(VALU_DEP_1)
	v_pk_fma_f32 v[160:161], v[158:159], v[26:27], v[162:163] op_sel_hi:[1,0,1] neg_lo:[0,0,1] neg_hi:[0,0,1]
	v_pk_fma_f32 v[162:163], v[158:159], v[26:27], v[162:163] op_sel_hi:[1,0,1]
	v_dual_mov_b32 v26, v160 :: v_dual_mov_b32 v27, v163
	s_wait_dscnt 0x0
	s_delay_alu instid0(VALU_DEP_2) | instskip(NEXT) | instid1(VALU_DEP_1)
	v_pk_mul_f32 v[168:169], v[164:165], v[162:163] op_sel:[0,1]
	v_pk_fma_f32 v[170:171], v[164:165], v[160:161], v[168:169] op_sel:[0,0,1] op_sel_hi:[1,1,0] neg_lo:[0,0,1] neg_hi:[0,0,1]
	v_pk_fma_f32 v[164:165], v[164:165], v[160:161], v[168:169] op_sel:[0,0,1] op_sel_hi:[1,0,0]
	s_delay_alu instid0(VALU_DEP_1) | instskip(SKIP_1) | instid1(VALU_DEP_1)
	v_mov_b32_e32 v171, v165
	v_pk_mul_f32 v[164:165], v[166:167], v[162:163] op_sel:[0,1]
	v_pk_fma_f32 v[168:169], v[166:167], v[160:161], v[164:165] op_sel:[0,0,1] op_sel_hi:[1,1,0] neg_lo:[0,0,1] neg_hi:[0,0,1]
	v_pk_fma_f32 v[164:165], v[166:167], v[160:161], v[164:165] op_sel:[0,0,1] op_sel_hi:[1,0,0]
	s_delay_alu instid0(VALU_DEP_1)
	v_mov_b32_e32 v169, v165
	ds_load_2addr_b64 v[164:167], v220 offset0:9 offset1:10
	v_pk_add_f32 v[22:23], v[22:23], v[170:171] neg_lo:[0,1] neg_hi:[0,1]
	v_pk_add_f32 v[42:43], v[42:43], v[168:169] neg_lo:[0,1] neg_hi:[0,1]
	s_wait_dscnt 0x0
	v_pk_mul_f32 v[168:169], v[164:165], v[162:163] op_sel:[0,1]
	s_delay_alu instid0(VALU_DEP_1) | instskip(SKIP_2) | instid1(VALU_DEP_2)
	v_pk_fma_f32 v[170:171], v[164:165], v[160:161], v[168:169] op_sel:[0,0,1] op_sel_hi:[1,1,0] neg_lo:[0,0,1] neg_hi:[0,0,1]
	v_pk_fma_f32 v[164:165], v[164:165], v[160:161], v[168:169] op_sel:[0,0,1] op_sel_hi:[1,0,0]
	v_dual_mul_f32 v168, v167, v163 :: v_dual_mov_b32 v164, v167
	v_dual_mov_b32 v171, v165 :: v_dual_mov_b32 v165, v166
	s_delay_alu instid0(VALU_DEP_2) | instskip(SKIP_1) | instid1(VALU_DEP_3)
	v_pk_fma_f32 v[168:169], v[166:167], v[26:27], v[168:169] op_sel_hi:[1,1,0] neg_lo:[0,0,1] neg_hi:[0,0,1]
	v_mul_f32_e32 v166, v167, v160
	v_pk_add_f32 v[38:39], v[38:39], v[170:171] neg_lo:[0,1] neg_hi:[0,1]
	s_delay_alu instid0(VALU_DEP_2) | instskip(NEXT) | instid1(VALU_DEP_1)
	v_pk_fma_f32 v[164:165], v[164:165], v[26:27], v[166:167] op_sel_hi:[1,1,0]
	v_mov_b32_e32 v169, v165
	ds_load_2addr_b64 v[164:167], v220 offset0:11 offset1:12
	v_pk_add_f32 v[40:41], v[40:41], v[168:169] neg_lo:[0,1] neg_hi:[0,1]
	s_wait_dscnt 0x0
	v_pk_mul_f32 v[168:169], v[164:165], v[162:163] op_sel:[0,1]
	s_delay_alu instid0(VALU_DEP_1) | instskip(SKIP_1) | instid1(VALU_DEP_1)
	v_pk_fma_f32 v[170:171], v[164:165], v[160:161], v[168:169] op_sel:[0,0,1] op_sel_hi:[1,1,0] neg_lo:[0,0,1] neg_hi:[0,0,1]
	v_pk_fma_f32 v[164:165], v[164:165], v[160:161], v[168:169] op_sel:[0,0,1] op_sel_hi:[1,0,0]
	v_mov_b32_e32 v171, v165
	v_pk_mul_f32 v[164:165], v[166:167], v[162:163] op_sel:[0,1]
	s_delay_alu instid0(VALU_DEP_1) | instskip(SKIP_1) | instid1(VALU_DEP_1)
	v_pk_fma_f32 v[168:169], v[166:167], v[160:161], v[164:165] op_sel:[0,0,1] op_sel_hi:[1,1,0] neg_lo:[0,0,1] neg_hi:[0,0,1]
	v_pk_fma_f32 v[164:165], v[166:167], v[160:161], v[164:165] op_sel:[0,0,1] op_sel_hi:[1,0,0]
	v_mov_b32_e32 v169, v165
	ds_load_2addr_b64 v[164:167], v220 offset0:13 offset1:14
	v_pk_add_f32 v[36:37], v[36:37], v[170:171] neg_lo:[0,1] neg_hi:[0,1]
	v_pk_add_f32 v[62:63], v[62:63], v[168:169] neg_lo:[0,1] neg_hi:[0,1]
	s_wait_dscnt 0x0
	v_pk_mul_f32 v[168:169], v[164:165], v[162:163] op_sel:[0,1]
	s_delay_alu instid0(VALU_DEP_1) | instskip(SKIP_1) | instid1(VALU_DEP_1)
	v_pk_fma_f32 v[170:171], v[164:165], v[160:161], v[168:169] op_sel:[0,0,1] op_sel_hi:[1,1,0] neg_lo:[0,0,1] neg_hi:[0,0,1]
	v_pk_fma_f32 v[164:165], v[164:165], v[160:161], v[168:169] op_sel:[0,0,1] op_sel_hi:[1,0,0]
	v_mov_b32_e32 v171, v165
	v_pk_mul_f32 v[164:165], v[166:167], v[162:163] op_sel:[0,1]
	s_delay_alu instid0(VALU_DEP_1) | instskip(SKIP_1) | instid1(VALU_DEP_1)
	v_pk_fma_f32 v[168:169], v[166:167], v[160:161], v[164:165] op_sel:[0,0,1] op_sel_hi:[1,1,0] neg_lo:[0,0,1] neg_hi:[0,0,1]
	v_pk_fma_f32 v[164:165], v[166:167], v[160:161], v[164:165] op_sel:[0,0,1] op_sel_hi:[1,0,0]
	v_mov_b32_e32 v169, v165
	ds_load_2addr_b64 v[164:167], v220 offset0:15 offset1:16
	v_pk_add_f32 v[58:59], v[58:59], v[170:171] neg_lo:[0,1] neg_hi:[0,1]
	v_pk_add_f32 v[60:61], v[60:61], v[168:169] neg_lo:[0,1] neg_hi:[0,1]
	s_wait_dscnt 0x0
	v_dual_mul_f32 v168, v165, v163 :: v_dual_mul_f32 v170, v165, v160
	s_delay_alu instid0(VALU_DEP_1) | instskip(NEXT) | instid1(VALU_DEP_2)
	v_pk_fma_f32 v[168:169], v[164:165], v[26:27], v[168:169] op_sel_hi:[1,1,0] neg_lo:[0,0,1] neg_hi:[0,0,1]
	v_pk_fma_f32 v[164:165], v[164:165], v[26:27], v[170:171] op_sel:[1,0,0] op_sel_hi:[0,1,0]
	s_delay_alu instid0(VALU_DEP_1) | instskip(SKIP_1) | instid1(VALU_DEP_2)
	v_mov_b32_e32 v169, v165
	v_pk_mul_f32 v[164:165], v[166:167], v[162:163] op_sel:[0,1]
	v_pk_add_f32 v[92:93], v[92:93], v[168:169] neg_lo:[0,1] neg_hi:[0,1]
	s_delay_alu instid0(VALU_DEP_2) | instskip(SKIP_1) | instid1(VALU_DEP_1)
	v_pk_fma_f32 v[168:169], v[166:167], v[160:161], v[164:165] op_sel:[0,0,1] op_sel_hi:[1,1,0] neg_lo:[0,0,1] neg_hi:[0,0,1]
	v_pk_fma_f32 v[164:165], v[166:167], v[160:161], v[164:165] op_sel:[0,0,1] op_sel_hi:[1,0,0]
	v_mov_b32_e32 v169, v165
	ds_load_2addr_b64 v[164:167], v220 offset0:17 offset1:18
	v_pk_add_f32 v[90:91], v[90:91], v[168:169] neg_lo:[0,1] neg_hi:[0,1]
	s_wait_dscnt 0x0
	v_pk_mul_f32 v[168:169], v[164:165], v[162:163] op_sel:[0,1]
	s_delay_alu instid0(VALU_DEP_1) | instskip(SKIP_1) | instid1(VALU_DEP_1)
	v_pk_fma_f32 v[170:171], v[164:165], v[160:161], v[168:169] op_sel:[0,0,1] op_sel_hi:[1,1,0] neg_lo:[0,0,1] neg_hi:[0,0,1]
	v_pk_fma_f32 v[164:165], v[164:165], v[160:161], v[168:169] op_sel:[0,0,1] op_sel_hi:[1,0,0]
	v_mov_b32_e32 v171, v165
	v_pk_mul_f32 v[164:165], v[166:167], v[162:163] op_sel:[0,1]
	s_delay_alu instid0(VALU_DEP_2) | instskip(NEXT) | instid1(VALU_DEP_2)
	v_pk_add_f32 v[114:115], v[114:115], v[170:171] neg_lo:[0,1] neg_hi:[0,1]
	v_pk_fma_f32 v[168:169], v[166:167], v[160:161], v[164:165] op_sel:[0,0,1] op_sel_hi:[1,1,0] neg_lo:[0,0,1] neg_hi:[0,0,1]
	v_pk_fma_f32 v[164:165], v[166:167], v[160:161], v[164:165] op_sel:[0,0,1] op_sel_hi:[1,0,0]
	s_delay_alu instid0(VALU_DEP_1) | instskip(SKIP_4) | instid1(VALU_DEP_1)
	v_mov_b32_e32 v169, v165
	ds_load_2addr_b64 v[164:167], v220 offset0:19 offset1:20
	v_pk_add_f32 v[116:117], v[116:117], v[168:169] neg_lo:[0,1] neg_hi:[0,1]
	s_wait_dscnt 0x0
	v_pk_mul_f32 v[168:169], v[164:165], v[162:163] op_sel:[0,1]
	v_pk_fma_f32 v[170:171], v[164:165], v[160:161], v[168:169] op_sel:[0,0,1] op_sel_hi:[1,1,0] neg_lo:[0,0,1] neg_hi:[0,0,1]
	v_pk_fma_f32 v[164:165], v[164:165], v[160:161], v[168:169] op_sel:[0,0,1] op_sel_hi:[1,0,0]
	v_dual_mul_f32 v168, v167, v163 :: v_dual_mov_b32 v164, v167
	s_delay_alu instid0(VALU_DEP_2) | instskip(NEXT) | instid1(VALU_DEP_2)
	v_dual_mov_b32 v171, v165 :: v_dual_mov_b32 v165, v166
	v_pk_fma_f32 v[168:169], v[166:167], v[26:27], v[168:169] op_sel_hi:[1,1,0] neg_lo:[0,0,1] neg_hi:[0,0,1]
	v_mul_f32_e32 v166, v167, v160
	s_delay_alu instid0(VALU_DEP_3) | instskip(NEXT) | instid1(VALU_DEP_2)
	v_pk_add_f32 v[112:113], v[112:113], v[170:171] neg_lo:[0,1] neg_hi:[0,1]
	v_pk_fma_f32 v[164:165], v[164:165], v[26:27], v[166:167] op_sel_hi:[1,1,0]
	s_delay_alu instid0(VALU_DEP_1) | instskip(SKIP_4) | instid1(VALU_DEP_1)
	v_mov_b32_e32 v169, v165
	ds_load_2addr_b64 v[164:167], v220 offset0:21 offset1:22
	v_pk_add_f32 v[102:103], v[102:103], v[168:169] neg_lo:[0,1] neg_hi:[0,1]
	s_wait_dscnt 0x0
	v_pk_mul_f32 v[168:169], v[164:165], v[162:163] op_sel:[0,1]
	v_pk_fma_f32 v[170:171], v[164:165], v[160:161], v[168:169] op_sel:[0,0,1] op_sel_hi:[1,1,0] neg_lo:[0,0,1] neg_hi:[0,0,1]
	v_pk_fma_f32 v[164:165], v[164:165], v[160:161], v[168:169] op_sel:[0,0,1] op_sel_hi:[1,0,0]
	s_delay_alu instid0(VALU_DEP_1) | instskip(SKIP_1) | instid1(VALU_DEP_1)
	v_mov_b32_e32 v171, v165
	v_pk_mul_f32 v[164:165], v[166:167], v[162:163] op_sel:[0,1]
	v_pk_fma_f32 v[168:169], v[166:167], v[160:161], v[164:165] op_sel:[0,0,1] op_sel_hi:[1,1,0] neg_lo:[0,0,1] neg_hi:[0,0,1]
	v_pk_fma_f32 v[164:165], v[166:167], v[160:161], v[164:165] op_sel:[0,0,1] op_sel_hi:[1,0,0]
	s_delay_alu instid0(VALU_DEP_1)
	v_mov_b32_e32 v169, v165
	ds_load_2addr_b64 v[164:167], v220 offset0:23 offset1:24
	v_pk_add_f32 v[128:129], v[128:129], v[170:171] neg_lo:[0,1] neg_hi:[0,1]
	v_pk_add_f32 v[130:131], v[130:131], v[168:169] neg_lo:[0,1] neg_hi:[0,1]
	s_wait_dscnt 0x0
	v_pk_mul_f32 v[168:169], v[164:165], v[162:163] op_sel:[0,1]
	s_delay_alu instid0(VALU_DEP_1) | instskip(SKIP_1) | instid1(VALU_DEP_1)
	v_pk_fma_f32 v[170:171], v[164:165], v[160:161], v[168:169] op_sel:[0,0,1] op_sel_hi:[1,1,0] neg_lo:[0,0,1] neg_hi:[0,0,1]
	v_pk_fma_f32 v[164:165], v[164:165], v[160:161], v[168:169] op_sel:[0,0,1] op_sel_hi:[1,0,0]
	v_mov_b32_e32 v171, v165
	v_pk_mul_f32 v[164:165], v[166:167], v[162:163] op_sel:[0,1]
	s_delay_alu instid0(VALU_DEP_1) | instskip(SKIP_1) | instid1(VALU_DEP_1)
	v_pk_fma_f32 v[168:169], v[166:167], v[160:161], v[164:165] op_sel:[0,0,1] op_sel_hi:[1,1,0] neg_lo:[0,0,1] neg_hi:[0,0,1]
	v_pk_fma_f32 v[164:165], v[166:167], v[160:161], v[164:165] op_sel:[0,0,1] op_sel_hi:[1,0,0]
	v_mov_b32_e32 v169, v165
	ds_load_2addr_b64 v[164:167], v220 offset0:25 offset1:26
	v_pk_add_f32 v[126:127], v[126:127], v[170:171] neg_lo:[0,1] neg_hi:[0,1]
	v_pk_add_f32 v[144:145], v[144:145], v[168:169] neg_lo:[0,1] neg_hi:[0,1]
	s_wait_dscnt 0x0
	v_dual_mul_f32 v168, v165, v163 :: v_dual_mul_f32 v170, v165, v160
	s_delay_alu instid0(VALU_DEP_1) | instskip(NEXT) | instid1(VALU_DEP_2)
	v_pk_fma_f32 v[168:169], v[164:165], v[26:27], v[168:169] op_sel_hi:[1,1,0] neg_lo:[0,0,1] neg_hi:[0,0,1]
	v_pk_fma_f32 v[164:165], v[164:165], v[26:27], v[170:171] op_sel:[1,0,0] op_sel_hi:[0,1,0]
	s_delay_alu instid0(VALU_DEP_1) | instskip(SKIP_1) | instid1(VALU_DEP_2)
	v_mov_b32_e32 v169, v165
	v_pk_mul_f32 v[164:165], v[166:167], v[162:163] op_sel:[0,1]
	v_pk_add_f32 v[138:139], v[138:139], v[168:169] neg_lo:[0,1] neg_hi:[0,1]
	s_delay_alu instid0(VALU_DEP_2) | instskip(SKIP_1) | instid1(VALU_DEP_1)
	v_pk_fma_f32 v[168:169], v[166:167], v[160:161], v[164:165] op_sel:[0,0,1] op_sel_hi:[1,1,0] neg_lo:[0,0,1] neg_hi:[0,0,1]
	v_pk_fma_f32 v[164:165], v[166:167], v[160:161], v[164:165] op_sel:[0,0,1] op_sel_hi:[1,0,0]
	v_mov_b32_e32 v169, v165
	ds_load_2addr_b64 v[164:167], v220 offset0:27 offset1:28
	v_pk_add_f32 v[140:141], v[140:141], v[168:169] neg_lo:[0,1] neg_hi:[0,1]
	s_wait_dscnt 0x0
	v_pk_mul_f32 v[168:169], v[164:165], v[162:163] op_sel:[0,1]
	s_delay_alu instid0(VALU_DEP_1) | instskip(SKIP_1) | instid1(VALU_DEP_1)
	v_pk_fma_f32 v[170:171], v[164:165], v[160:161], v[168:169] op_sel:[0,0,1] op_sel_hi:[1,1,0] neg_lo:[0,0,1] neg_hi:[0,0,1]
	v_pk_fma_f32 v[164:165], v[164:165], v[160:161], v[168:169] op_sel:[0,0,1] op_sel_hi:[1,0,0]
	v_mov_b32_e32 v171, v165
	v_pk_mul_f32 v[164:165], v[166:167], v[162:163] op_sel:[0,1]
	s_delay_alu instid0(VALU_DEP_2) | instskip(NEXT) | instid1(VALU_DEP_2)
	v_pk_add_f32 v[98:99], v[98:99], v[170:171] neg_lo:[0,1] neg_hi:[0,1]
	v_pk_fma_f32 v[168:169], v[166:167], v[160:161], v[164:165] op_sel:[0,0,1] op_sel_hi:[1,1,0] neg_lo:[0,0,1] neg_hi:[0,0,1]
	v_pk_fma_f32 v[164:165], v[166:167], v[160:161], v[164:165] op_sel:[0,0,1] op_sel_hi:[1,0,0]
	s_delay_alu instid0(VALU_DEP_1) | instskip(SKIP_4) | instid1(VALU_DEP_1)
	v_mov_b32_e32 v169, v165
	ds_load_2addr_b64 v[164:167], v220 offset0:29 offset1:30
	v_pk_add_f32 v[124:125], v[124:125], v[168:169] neg_lo:[0,1] neg_hi:[0,1]
	s_wait_dscnt 0x0
	v_pk_mul_f32 v[168:169], v[164:165], v[162:163] op_sel:[0,1]
	v_pk_fma_f32 v[170:171], v[164:165], v[160:161], v[168:169] op_sel:[0,0,1] op_sel_hi:[1,1,0] neg_lo:[0,0,1] neg_hi:[0,0,1]
	v_pk_fma_f32 v[164:165], v[164:165], v[160:161], v[168:169] op_sel:[0,0,1] op_sel_hi:[1,0,0]
	v_dual_mul_f32 v168, v167, v163 :: v_dual_mov_b32 v164, v167
	s_delay_alu instid0(VALU_DEP_2) | instskip(NEXT) | instid1(VALU_DEP_2)
	v_dual_mov_b32 v171, v165 :: v_dual_mov_b32 v165, v166
	v_pk_fma_f32 v[168:169], v[166:167], v[26:27], v[168:169] op_sel_hi:[1,1,0] neg_lo:[0,0,1] neg_hi:[0,0,1]
	v_mul_f32_e32 v166, v167, v160
	s_delay_alu instid0(VALU_DEP_3) | instskip(NEXT) | instid1(VALU_DEP_2)
	v_pk_add_f32 v[120:121], v[120:121], v[170:171] neg_lo:[0,1] neg_hi:[0,1]
	v_pk_fma_f32 v[164:165], v[164:165], v[26:27], v[166:167] op_sel_hi:[1,1,0]
	s_delay_alu instid0(VALU_DEP_1) | instskip(SKIP_4) | instid1(VALU_DEP_1)
	v_mov_b32_e32 v169, v165
	ds_load_2addr_b64 v[164:167], v220 offset0:31 offset1:32
	v_pk_add_f32 v[122:123], v[122:123], v[168:169] neg_lo:[0,1] neg_hi:[0,1]
	s_wait_dscnt 0x0
	v_pk_mul_f32 v[168:169], v[164:165], v[162:163] op_sel:[0,1]
	v_pk_fma_f32 v[170:171], v[164:165], v[160:161], v[168:169] op_sel:[0,0,1] op_sel_hi:[1,1,0] neg_lo:[0,0,1] neg_hi:[0,0,1]
	v_pk_fma_f32 v[164:165], v[164:165], v[160:161], v[168:169] op_sel:[0,0,1] op_sel_hi:[1,0,0]
	s_delay_alu instid0(VALU_DEP_1) | instskip(SKIP_1) | instid1(VALU_DEP_1)
	v_mov_b32_e32 v171, v165
	v_pk_mul_f32 v[164:165], v[166:167], v[162:163] op_sel:[0,1]
	v_pk_fma_f32 v[168:169], v[166:167], v[160:161], v[164:165] op_sel:[0,0,1] op_sel_hi:[1,1,0] neg_lo:[0,0,1] neg_hi:[0,0,1]
	v_pk_fma_f32 v[164:165], v[166:167], v[160:161], v[164:165] op_sel:[0,0,1] op_sel_hi:[1,0,0]
	s_delay_alu instid0(VALU_DEP_1)
	v_mov_b32_e32 v169, v165
	ds_load_2addr_b64 v[164:167], v220 offset0:33 offset1:34
	v_pk_add_f32 v[118:119], v[118:119], v[170:171] neg_lo:[0,1] neg_hi:[0,1]
	v_pk_add_f32 v[136:137], v[136:137], v[168:169] neg_lo:[0,1] neg_hi:[0,1]
	s_wait_dscnt 0x0
	v_pk_mul_f32 v[168:169], v[164:165], v[162:163] op_sel:[0,1]
	s_delay_alu instid0(VALU_DEP_1) | instskip(SKIP_1) | instid1(VALU_DEP_1)
	v_pk_fma_f32 v[170:171], v[164:165], v[160:161], v[168:169] op_sel:[0,0,1] op_sel_hi:[1,1,0] neg_lo:[0,0,1] neg_hi:[0,0,1]
	v_pk_fma_f32 v[164:165], v[164:165], v[160:161], v[168:169] op_sel:[0,0,1] op_sel_hi:[1,0,0]
	v_mov_b32_e32 v171, v165
	v_pk_mul_f32 v[164:165], v[166:167], v[162:163] op_sel:[0,1]
	s_delay_alu instid0(VALU_DEP_1) | instskip(SKIP_1) | instid1(VALU_DEP_1)
	v_pk_fma_f32 v[168:169], v[166:167], v[160:161], v[164:165] op_sel:[0,0,1] op_sel_hi:[1,1,0] neg_lo:[0,0,1] neg_hi:[0,0,1]
	v_pk_fma_f32 v[164:165], v[166:167], v[160:161], v[164:165] op_sel:[0,0,1] op_sel_hi:[1,0,0]
	v_mov_b32_e32 v169, v165
	ds_load_b64 v[164:165], v220 offset:280
	v_pk_add_f32 v[134:135], v[134:135], v[170:171] neg_lo:[0,1] neg_hi:[0,1]
	v_pk_add_f32 v[132:133], v[132:133], v[168:169] neg_lo:[0,1] neg_hi:[0,1]
	s_wait_dscnt 0x0
	v_pk_mul_f32 v[162:163], v[164:165], v[162:163] op_sel:[0,1]
	s_delay_alu instid0(VALU_DEP_1) | instskip(SKIP_1) | instid1(VALU_DEP_1)
	v_pk_fma_f32 v[166:167], v[164:165], v[160:161], v[162:163] op_sel:[0,0,1] op_sel_hi:[1,1,0] neg_lo:[0,0,1] neg_hi:[0,0,1]
	v_pk_fma_f32 v[160:161], v[164:165], v[160:161], v[162:163] op_sel:[0,0,1] op_sel_hi:[1,0,0]
	v_mov_b32_e32 v167, v161
	s_delay_alu instid0(VALU_DEP_1)
	v_pk_add_f32 v[142:143], v[142:143], v[166:167] neg_lo:[0,1] neg_hi:[0,1]
.LBB71_64:
	s_or_b32 exec_lo, exec_lo, s1
	s_delay_alu instid0(SALU_CYCLE_1)
	s_mov_b32 s2, exec_lo
	s_wait_dscnt 0x0
	s_barrier_signal -1
	s_barrier_wait -1
	v_cmpx_eq_u32_e32 7, v218
	s_cbranch_execz .LBB71_71
; %bb.65:
	v_dual_mov_b32 v160, v42 :: v_dual_mov_b32 v161, v43
	v_dual_mov_b32 v162, v38 :: v_dual_mov_b32 v163, v39
	;; [unrolled: 1-line block ×4, first 2 shown]
	ds_store_b64 v219, v[22:23]
	ds_store_2addr_b64 v220, v[160:161], v[162:163] offset0:8 offset1:9
	ds_store_2addr_b64 v220, v[164:165], v[166:167] offset0:10 offset1:11
	v_dual_mov_b32 v160, v62 :: v_dual_mov_b32 v161, v63
	v_dual_mov_b32 v162, v58 :: v_dual_mov_b32 v163, v59
	;; [unrolled: 1-line block ×12, first 2 shown]
	ds_store_2addr_b64 v220, v[160:161], v[162:163] offset0:12 offset1:13
	ds_store_2addr_b64 v220, v[164:165], v[166:167] offset0:14 offset1:15
	;; [unrolled: 1-line block ×6, first 2 shown]
	v_dual_mov_b32 v160, v144 :: v_dual_mov_b32 v161, v145
	v_dual_mov_b32 v162, v138 :: v_dual_mov_b32 v163, v139
	;; [unrolled: 1-line block ×11, first 2 shown]
	ds_store_2addr_b64 v220, v[160:161], v[162:163] offset0:24 offset1:25
	ds_store_2addr_b64 v220, v[164:165], v[166:167] offset0:26 offset1:27
	;; [unrolled: 1-line block ×6, first 2 shown]
	ds_load_b64 v[160:161], v219
	s_wait_dscnt 0x0
	v_cmp_neq_f32_e32 vcc_lo, 0, v160
	v_cmp_neq_f32_e64 s1, 0, v161
	s_or_b32 s1, vcc_lo, s1
	s_delay_alu instid0(SALU_CYCLE_1)
	s_and_b32 exec_lo, exec_lo, s1
	s_cbranch_execz .LBB71_71
; %bb.66:
	v_cmp_ngt_f32_e64 s1, |v160|, |v161|
                                        ; implicit-def: $vgpr162_vgpr163
	s_and_saveexec_b32 s4, s1
	s_delay_alu instid0(SALU_CYCLE_1)
	s_xor_b32 s1, exec_lo, s4
	s_cbranch_execz .LBB71_68
; %bb.67:
	v_div_scale_f32 v162, null, v161, v161, v160
	v_div_scale_f32 v165, vcc_lo, v160, v161, v160
	s_delay_alu instid0(VALU_DEP_2) | instskip(SKIP_1) | instid1(TRANS32_DEP_1)
	v_rcp_f32_e32 v163, v162
	v_nop
	v_fma_f32 v164, -v162, v163, 1.0
	s_delay_alu instid0(VALU_DEP_1) | instskip(NEXT) | instid1(VALU_DEP_1)
	v_fmac_f32_e32 v163, v164, v163
	v_mul_f32_e32 v164, v165, v163
	s_delay_alu instid0(VALU_DEP_1) | instskip(NEXT) | instid1(VALU_DEP_1)
	v_fma_f32 v166, -v162, v164, v165
	v_fmac_f32_e32 v164, v166, v163
	s_delay_alu instid0(VALU_DEP_1) | instskip(NEXT) | instid1(VALU_DEP_1)
	v_fma_f32 v162, -v162, v164, v165
	v_div_fmas_f32 v162, v162, v163, v164
	s_delay_alu instid0(VALU_DEP_1) | instskip(NEXT) | instid1(VALU_DEP_1)
	v_div_fixup_f32 v162, v162, v161, v160
	v_fmac_f32_e32 v161, v160, v162
	s_delay_alu instid0(VALU_DEP_1) | instskip(SKIP_1) | instid1(VALU_DEP_2)
	v_div_scale_f32 v160, null, v161, v161, 1.0
	v_div_scale_f32 v165, vcc_lo, 1.0, v161, 1.0
	v_rcp_f32_e32 v163, v160
	v_nop
	s_delay_alu instid0(TRANS32_DEP_1) | instskip(NEXT) | instid1(VALU_DEP_1)
	v_fma_f32 v164, -v160, v163, 1.0
	v_fmac_f32_e32 v163, v164, v163
	s_delay_alu instid0(VALU_DEP_1) | instskip(NEXT) | instid1(VALU_DEP_1)
	v_mul_f32_e32 v164, v165, v163
	v_fma_f32 v166, -v160, v164, v165
	s_delay_alu instid0(VALU_DEP_1) | instskip(NEXT) | instid1(VALU_DEP_1)
	v_fmac_f32_e32 v164, v166, v163
	v_fma_f32 v160, -v160, v164, v165
	s_delay_alu instid0(VALU_DEP_1) | instskip(NEXT) | instid1(VALU_DEP_1)
	v_div_fmas_f32 v160, v160, v163, v164
	v_div_fixup_f32 v160, v160, v161, 1.0
	s_delay_alu instid0(VALU_DEP_1)
	v_mul_f32_e32 v162, v162, v160
	v_xor_b32_e32 v163, 0x80000000, v160
                                        ; implicit-def: $vgpr160_vgpr161
.LBB71_68:
	s_and_not1_saveexec_b32 s1, s1
	s_cbranch_execz .LBB71_70
; %bb.69:
	v_div_scale_f32 v162, null, v160, v160, v161
	v_div_scale_f32 v165, vcc_lo, v161, v160, v161
	s_delay_alu instid0(VALU_DEP_2) | instskip(SKIP_1) | instid1(TRANS32_DEP_1)
	v_rcp_f32_e32 v163, v162
	v_nop
	v_fma_f32 v164, -v162, v163, 1.0
	s_delay_alu instid0(VALU_DEP_1) | instskip(NEXT) | instid1(VALU_DEP_1)
	v_fmac_f32_e32 v163, v164, v163
	v_mul_f32_e32 v164, v165, v163
	s_delay_alu instid0(VALU_DEP_1) | instskip(NEXT) | instid1(VALU_DEP_1)
	v_fma_f32 v166, -v162, v164, v165
	v_fmac_f32_e32 v164, v166, v163
	s_delay_alu instid0(VALU_DEP_1) | instskip(NEXT) | instid1(VALU_DEP_1)
	v_fma_f32 v162, -v162, v164, v165
	v_div_fmas_f32 v162, v162, v163, v164
	s_delay_alu instid0(VALU_DEP_1) | instskip(NEXT) | instid1(VALU_DEP_1)
	v_div_fixup_f32 v163, v162, v160, v161
	v_fmac_f32_e32 v160, v161, v163
	s_delay_alu instid0(VALU_DEP_1) | instskip(NEXT) | instid1(VALU_DEP_1)
	v_div_scale_f32 v161, null, v160, v160, 1.0
	v_rcp_f32_e32 v162, v161
	v_nop
	s_delay_alu instid0(TRANS32_DEP_1) | instskip(NEXT) | instid1(VALU_DEP_1)
	v_fma_f32 v164, -v161, v162, 1.0
	v_fmac_f32_e32 v162, v164, v162
	v_div_scale_f32 v164, vcc_lo, 1.0, v160, 1.0
	s_delay_alu instid0(VALU_DEP_1) | instskip(NEXT) | instid1(VALU_DEP_1)
	v_mul_f32_e32 v165, v164, v162
	v_fma_f32 v166, -v161, v165, v164
	s_delay_alu instid0(VALU_DEP_1) | instskip(NEXT) | instid1(VALU_DEP_1)
	v_fmac_f32_e32 v165, v166, v162
	v_fma_f32 v161, -v161, v165, v164
	s_delay_alu instid0(VALU_DEP_1) | instskip(NEXT) | instid1(VALU_DEP_1)
	v_div_fmas_f32 v161, v161, v162, v165
	v_div_fixup_f32 v162, v161, v160, 1.0
	s_delay_alu instid0(VALU_DEP_1)
	v_mul_f32_e64 v163, v163, -v162
.LBB71_70:
	s_or_b32 exec_lo, exec_lo, s1
	ds_store_b64 v219, v[162:163]
.LBB71_71:
	s_or_b32 exec_lo, exec_lo, s2
	s_wait_dscnt 0x0
	s_barrier_signal -1
	s_barrier_wait -1
	ds_load_b64 v[160:161], v219
	s_mov_b32 s1, exec_lo
	v_cmpx_lt_u32_e32 7, v218
	s_cbranch_execz .LBB71_73
; %bb.72:
	ds_load_2addr_b64 v[166:169], v220 offset0:8 offset1:9
	s_wait_dscnt 0x1
	v_pk_mul_f32 v[164:165], v[160:161], v[22:23] op_sel:[1,1] op_sel_hi:[0,1]
	s_delay_alu instid0(VALU_DEP_1) | instskip(SKIP_1) | instid1(VALU_DEP_1)
	v_pk_fma_f32 v[162:163], v[160:161], v[22:23], v[164:165] op_sel_hi:[1,0,1] neg_lo:[0,0,1] neg_hi:[0,0,1]
	v_pk_fma_f32 v[164:165], v[160:161], v[22:23], v[164:165] op_sel_hi:[1,0,1]
	v_dual_mov_b32 v22, v162 :: v_dual_mov_b32 v23, v165
	s_wait_dscnt 0x0
	s_delay_alu instid0(VALU_DEP_2) | instskip(NEXT) | instid1(VALU_DEP_1)
	v_pk_mul_f32 v[170:171], v[166:167], v[164:165] op_sel:[0,1]
	v_pk_fma_f32 v[172:173], v[166:167], v[162:163], v[170:171] op_sel:[0,0,1] op_sel_hi:[1,1,0] neg_lo:[0,0,1] neg_hi:[0,0,1]
	v_pk_fma_f32 v[166:167], v[166:167], v[162:163], v[170:171] op_sel:[0,0,1] op_sel_hi:[1,0,0]
	s_delay_alu instid0(VALU_DEP_1) | instskip(SKIP_1) | instid1(VALU_DEP_1)
	v_mov_b32_e32 v173, v167
	v_pk_mul_f32 v[166:167], v[168:169], v[164:165] op_sel:[0,1]
	v_pk_fma_f32 v[170:171], v[168:169], v[162:163], v[166:167] op_sel:[0,0,1] op_sel_hi:[1,1,0] neg_lo:[0,0,1] neg_hi:[0,0,1]
	v_pk_fma_f32 v[166:167], v[168:169], v[162:163], v[166:167] op_sel:[0,0,1] op_sel_hi:[1,0,0]
	s_delay_alu instid0(VALU_DEP_1)
	v_mov_b32_e32 v171, v167
	ds_load_2addr_b64 v[166:169], v220 offset0:10 offset1:11
	v_pk_add_f32 v[42:43], v[42:43], v[172:173] neg_lo:[0,1] neg_hi:[0,1]
	v_pk_add_f32 v[38:39], v[38:39], v[170:171] neg_lo:[0,1] neg_hi:[0,1]
	s_wait_dscnt 0x0
	v_pk_mul_f32 v[170:171], v[166:167], v[164:165] op_sel:[0,1]
	s_delay_alu instid0(VALU_DEP_1) | instskip(SKIP_2) | instid1(VALU_DEP_2)
	v_pk_fma_f32 v[172:173], v[166:167], v[162:163], v[170:171] op_sel:[0,0,1] op_sel_hi:[1,1,0] neg_lo:[0,0,1] neg_hi:[0,0,1]
	v_pk_fma_f32 v[166:167], v[166:167], v[162:163], v[170:171] op_sel:[0,0,1] op_sel_hi:[1,0,0]
	v_dual_mul_f32 v170, v169, v165 :: v_dual_mov_b32 v166, v169
	v_dual_mov_b32 v173, v167 :: v_dual_mov_b32 v167, v168
	s_delay_alu instid0(VALU_DEP_2) | instskip(SKIP_1) | instid1(VALU_DEP_3)
	v_pk_fma_f32 v[170:171], v[168:169], v[22:23], v[170:171] op_sel_hi:[1,1,0] neg_lo:[0,0,1] neg_hi:[0,0,1]
	v_mul_f32_e32 v168, v169, v162
	v_pk_add_f32 v[40:41], v[40:41], v[172:173] neg_lo:[0,1] neg_hi:[0,1]
	s_delay_alu instid0(VALU_DEP_2) | instskip(NEXT) | instid1(VALU_DEP_1)
	v_pk_fma_f32 v[166:167], v[166:167], v[22:23], v[168:169] op_sel_hi:[1,1,0]
	v_mov_b32_e32 v171, v167
	ds_load_2addr_b64 v[166:169], v220 offset0:12 offset1:13
	v_pk_add_f32 v[36:37], v[36:37], v[170:171] neg_lo:[0,1] neg_hi:[0,1]
	s_wait_dscnt 0x0
	v_pk_mul_f32 v[170:171], v[166:167], v[164:165] op_sel:[0,1]
	s_delay_alu instid0(VALU_DEP_1) | instskip(SKIP_1) | instid1(VALU_DEP_1)
	v_pk_fma_f32 v[172:173], v[166:167], v[162:163], v[170:171] op_sel:[0,0,1] op_sel_hi:[1,1,0] neg_lo:[0,0,1] neg_hi:[0,0,1]
	v_pk_fma_f32 v[166:167], v[166:167], v[162:163], v[170:171] op_sel:[0,0,1] op_sel_hi:[1,0,0]
	v_mov_b32_e32 v173, v167
	v_pk_mul_f32 v[166:167], v[168:169], v[164:165] op_sel:[0,1]
	s_delay_alu instid0(VALU_DEP_1) | instskip(SKIP_1) | instid1(VALU_DEP_1)
	v_pk_fma_f32 v[170:171], v[168:169], v[162:163], v[166:167] op_sel:[0,0,1] op_sel_hi:[1,1,0] neg_lo:[0,0,1] neg_hi:[0,0,1]
	v_pk_fma_f32 v[166:167], v[168:169], v[162:163], v[166:167] op_sel:[0,0,1] op_sel_hi:[1,0,0]
	v_mov_b32_e32 v171, v167
	ds_load_2addr_b64 v[166:169], v220 offset0:14 offset1:15
	v_pk_add_f32 v[62:63], v[62:63], v[172:173] neg_lo:[0,1] neg_hi:[0,1]
	v_pk_add_f32 v[58:59], v[58:59], v[170:171] neg_lo:[0,1] neg_hi:[0,1]
	s_wait_dscnt 0x0
	v_pk_mul_f32 v[170:171], v[166:167], v[164:165] op_sel:[0,1]
	s_delay_alu instid0(VALU_DEP_1) | instskip(SKIP_1) | instid1(VALU_DEP_1)
	v_pk_fma_f32 v[172:173], v[166:167], v[162:163], v[170:171] op_sel:[0,0,1] op_sel_hi:[1,1,0] neg_lo:[0,0,1] neg_hi:[0,0,1]
	v_pk_fma_f32 v[166:167], v[166:167], v[162:163], v[170:171] op_sel:[0,0,1] op_sel_hi:[1,0,0]
	v_mov_b32_e32 v173, v167
	v_pk_mul_f32 v[166:167], v[168:169], v[164:165] op_sel:[0,1]
	s_delay_alu instid0(VALU_DEP_1) | instskip(SKIP_1) | instid1(VALU_DEP_1)
	v_pk_fma_f32 v[170:171], v[168:169], v[162:163], v[166:167] op_sel:[0,0,1] op_sel_hi:[1,1,0] neg_lo:[0,0,1] neg_hi:[0,0,1]
	v_pk_fma_f32 v[166:167], v[168:169], v[162:163], v[166:167] op_sel:[0,0,1] op_sel_hi:[1,0,0]
	v_mov_b32_e32 v171, v167
	ds_load_2addr_b64 v[166:169], v220 offset0:16 offset1:17
	v_pk_add_f32 v[60:61], v[60:61], v[172:173] neg_lo:[0,1] neg_hi:[0,1]
	v_pk_add_f32 v[92:93], v[92:93], v[170:171] neg_lo:[0,1] neg_hi:[0,1]
	s_wait_dscnt 0x0
	v_dual_mul_f32 v170, v167, v165 :: v_dual_mul_f32 v172, v167, v162
	s_delay_alu instid0(VALU_DEP_1) | instskip(NEXT) | instid1(VALU_DEP_2)
	v_pk_fma_f32 v[170:171], v[166:167], v[22:23], v[170:171] op_sel_hi:[1,1,0] neg_lo:[0,0,1] neg_hi:[0,0,1]
	v_pk_fma_f32 v[166:167], v[166:167], v[22:23], v[172:173] op_sel:[1,0,0] op_sel_hi:[0,1,0]
	s_delay_alu instid0(VALU_DEP_1) | instskip(SKIP_1) | instid1(VALU_DEP_2)
	v_mov_b32_e32 v171, v167
	v_pk_mul_f32 v[166:167], v[168:169], v[164:165] op_sel:[0,1]
	v_pk_add_f32 v[90:91], v[90:91], v[170:171] neg_lo:[0,1] neg_hi:[0,1]
	s_delay_alu instid0(VALU_DEP_2) | instskip(SKIP_1) | instid1(VALU_DEP_1)
	v_pk_fma_f32 v[170:171], v[168:169], v[162:163], v[166:167] op_sel:[0,0,1] op_sel_hi:[1,1,0] neg_lo:[0,0,1] neg_hi:[0,0,1]
	v_pk_fma_f32 v[166:167], v[168:169], v[162:163], v[166:167] op_sel:[0,0,1] op_sel_hi:[1,0,0]
	v_mov_b32_e32 v171, v167
	ds_load_2addr_b64 v[166:169], v220 offset0:18 offset1:19
	v_pk_add_f32 v[114:115], v[114:115], v[170:171] neg_lo:[0,1] neg_hi:[0,1]
	s_wait_dscnt 0x0
	v_pk_mul_f32 v[170:171], v[166:167], v[164:165] op_sel:[0,1]
	s_delay_alu instid0(VALU_DEP_1) | instskip(SKIP_1) | instid1(VALU_DEP_1)
	v_pk_fma_f32 v[172:173], v[166:167], v[162:163], v[170:171] op_sel:[0,0,1] op_sel_hi:[1,1,0] neg_lo:[0,0,1] neg_hi:[0,0,1]
	v_pk_fma_f32 v[166:167], v[166:167], v[162:163], v[170:171] op_sel:[0,0,1] op_sel_hi:[1,0,0]
	v_mov_b32_e32 v173, v167
	v_pk_mul_f32 v[166:167], v[168:169], v[164:165] op_sel:[0,1]
	s_delay_alu instid0(VALU_DEP_2) | instskip(NEXT) | instid1(VALU_DEP_2)
	v_pk_add_f32 v[116:117], v[116:117], v[172:173] neg_lo:[0,1] neg_hi:[0,1]
	v_pk_fma_f32 v[170:171], v[168:169], v[162:163], v[166:167] op_sel:[0,0,1] op_sel_hi:[1,1,0] neg_lo:[0,0,1] neg_hi:[0,0,1]
	v_pk_fma_f32 v[166:167], v[168:169], v[162:163], v[166:167] op_sel:[0,0,1] op_sel_hi:[1,0,0]
	s_delay_alu instid0(VALU_DEP_1) | instskip(SKIP_4) | instid1(VALU_DEP_1)
	v_mov_b32_e32 v171, v167
	ds_load_2addr_b64 v[166:169], v220 offset0:20 offset1:21
	v_pk_add_f32 v[112:113], v[112:113], v[170:171] neg_lo:[0,1] neg_hi:[0,1]
	s_wait_dscnt 0x0
	v_pk_mul_f32 v[170:171], v[166:167], v[164:165] op_sel:[0,1]
	v_pk_fma_f32 v[172:173], v[166:167], v[162:163], v[170:171] op_sel:[0,0,1] op_sel_hi:[1,1,0] neg_lo:[0,0,1] neg_hi:[0,0,1]
	v_pk_fma_f32 v[166:167], v[166:167], v[162:163], v[170:171] op_sel:[0,0,1] op_sel_hi:[1,0,0]
	v_dual_mul_f32 v170, v169, v165 :: v_dual_mov_b32 v166, v169
	s_delay_alu instid0(VALU_DEP_2) | instskip(NEXT) | instid1(VALU_DEP_2)
	v_dual_mov_b32 v173, v167 :: v_dual_mov_b32 v167, v168
	v_pk_fma_f32 v[170:171], v[168:169], v[22:23], v[170:171] op_sel_hi:[1,1,0] neg_lo:[0,0,1] neg_hi:[0,0,1]
	v_mul_f32_e32 v168, v169, v162
	s_delay_alu instid0(VALU_DEP_3) | instskip(NEXT) | instid1(VALU_DEP_2)
	v_pk_add_f32 v[102:103], v[102:103], v[172:173] neg_lo:[0,1] neg_hi:[0,1]
	v_pk_fma_f32 v[166:167], v[166:167], v[22:23], v[168:169] op_sel_hi:[1,1,0]
	s_delay_alu instid0(VALU_DEP_1) | instskip(SKIP_4) | instid1(VALU_DEP_1)
	v_mov_b32_e32 v171, v167
	ds_load_2addr_b64 v[166:169], v220 offset0:22 offset1:23
	v_pk_add_f32 v[128:129], v[128:129], v[170:171] neg_lo:[0,1] neg_hi:[0,1]
	s_wait_dscnt 0x0
	v_pk_mul_f32 v[170:171], v[166:167], v[164:165] op_sel:[0,1]
	v_pk_fma_f32 v[172:173], v[166:167], v[162:163], v[170:171] op_sel:[0,0,1] op_sel_hi:[1,1,0] neg_lo:[0,0,1] neg_hi:[0,0,1]
	v_pk_fma_f32 v[166:167], v[166:167], v[162:163], v[170:171] op_sel:[0,0,1] op_sel_hi:[1,0,0]
	s_delay_alu instid0(VALU_DEP_1) | instskip(SKIP_1) | instid1(VALU_DEP_1)
	v_mov_b32_e32 v173, v167
	v_pk_mul_f32 v[166:167], v[168:169], v[164:165] op_sel:[0,1]
	v_pk_fma_f32 v[170:171], v[168:169], v[162:163], v[166:167] op_sel:[0,0,1] op_sel_hi:[1,1,0] neg_lo:[0,0,1] neg_hi:[0,0,1]
	v_pk_fma_f32 v[166:167], v[168:169], v[162:163], v[166:167] op_sel:[0,0,1] op_sel_hi:[1,0,0]
	s_delay_alu instid0(VALU_DEP_1)
	v_mov_b32_e32 v171, v167
	ds_load_2addr_b64 v[166:169], v220 offset0:24 offset1:25
	v_pk_add_f32 v[130:131], v[130:131], v[172:173] neg_lo:[0,1] neg_hi:[0,1]
	v_pk_add_f32 v[126:127], v[126:127], v[170:171] neg_lo:[0,1] neg_hi:[0,1]
	s_wait_dscnt 0x0
	v_pk_mul_f32 v[170:171], v[166:167], v[164:165] op_sel:[0,1]
	s_delay_alu instid0(VALU_DEP_1) | instskip(SKIP_1) | instid1(VALU_DEP_1)
	v_pk_fma_f32 v[172:173], v[166:167], v[162:163], v[170:171] op_sel:[0,0,1] op_sel_hi:[1,1,0] neg_lo:[0,0,1] neg_hi:[0,0,1]
	v_pk_fma_f32 v[166:167], v[166:167], v[162:163], v[170:171] op_sel:[0,0,1] op_sel_hi:[1,0,0]
	v_mov_b32_e32 v173, v167
	v_pk_mul_f32 v[166:167], v[168:169], v[164:165] op_sel:[0,1]
	s_delay_alu instid0(VALU_DEP_1) | instskip(SKIP_1) | instid1(VALU_DEP_1)
	v_pk_fma_f32 v[170:171], v[168:169], v[162:163], v[166:167] op_sel:[0,0,1] op_sel_hi:[1,1,0] neg_lo:[0,0,1] neg_hi:[0,0,1]
	v_pk_fma_f32 v[166:167], v[168:169], v[162:163], v[166:167] op_sel:[0,0,1] op_sel_hi:[1,0,0]
	v_mov_b32_e32 v171, v167
	ds_load_2addr_b64 v[166:169], v220 offset0:26 offset1:27
	v_pk_add_f32 v[144:145], v[144:145], v[172:173] neg_lo:[0,1] neg_hi:[0,1]
	v_pk_add_f32 v[138:139], v[138:139], v[170:171] neg_lo:[0,1] neg_hi:[0,1]
	s_wait_dscnt 0x0
	v_dual_mul_f32 v170, v167, v165 :: v_dual_mul_f32 v172, v167, v162
	s_delay_alu instid0(VALU_DEP_1) | instskip(NEXT) | instid1(VALU_DEP_2)
	v_pk_fma_f32 v[170:171], v[166:167], v[22:23], v[170:171] op_sel_hi:[1,1,0] neg_lo:[0,0,1] neg_hi:[0,0,1]
	v_pk_fma_f32 v[166:167], v[166:167], v[22:23], v[172:173] op_sel:[1,0,0] op_sel_hi:[0,1,0]
	s_delay_alu instid0(VALU_DEP_1) | instskip(SKIP_1) | instid1(VALU_DEP_2)
	v_mov_b32_e32 v171, v167
	v_pk_mul_f32 v[166:167], v[168:169], v[164:165] op_sel:[0,1]
	v_pk_add_f32 v[140:141], v[140:141], v[170:171] neg_lo:[0,1] neg_hi:[0,1]
	s_delay_alu instid0(VALU_DEP_2) | instskip(SKIP_1) | instid1(VALU_DEP_1)
	v_pk_fma_f32 v[170:171], v[168:169], v[162:163], v[166:167] op_sel:[0,0,1] op_sel_hi:[1,1,0] neg_lo:[0,0,1] neg_hi:[0,0,1]
	v_pk_fma_f32 v[166:167], v[168:169], v[162:163], v[166:167] op_sel:[0,0,1] op_sel_hi:[1,0,0]
	v_mov_b32_e32 v171, v167
	ds_load_2addr_b64 v[166:169], v220 offset0:28 offset1:29
	v_pk_add_f32 v[98:99], v[98:99], v[170:171] neg_lo:[0,1] neg_hi:[0,1]
	s_wait_dscnt 0x0
	v_pk_mul_f32 v[170:171], v[166:167], v[164:165] op_sel:[0,1]
	s_delay_alu instid0(VALU_DEP_1) | instskip(SKIP_1) | instid1(VALU_DEP_1)
	v_pk_fma_f32 v[172:173], v[166:167], v[162:163], v[170:171] op_sel:[0,0,1] op_sel_hi:[1,1,0] neg_lo:[0,0,1] neg_hi:[0,0,1]
	v_pk_fma_f32 v[166:167], v[166:167], v[162:163], v[170:171] op_sel:[0,0,1] op_sel_hi:[1,0,0]
	v_mov_b32_e32 v173, v167
	v_pk_mul_f32 v[166:167], v[168:169], v[164:165] op_sel:[0,1]
	s_delay_alu instid0(VALU_DEP_2) | instskip(NEXT) | instid1(VALU_DEP_2)
	v_pk_add_f32 v[124:125], v[124:125], v[172:173] neg_lo:[0,1] neg_hi:[0,1]
	v_pk_fma_f32 v[170:171], v[168:169], v[162:163], v[166:167] op_sel:[0,0,1] op_sel_hi:[1,1,0] neg_lo:[0,0,1] neg_hi:[0,0,1]
	v_pk_fma_f32 v[166:167], v[168:169], v[162:163], v[166:167] op_sel:[0,0,1] op_sel_hi:[1,0,0]
	s_delay_alu instid0(VALU_DEP_1) | instskip(SKIP_4) | instid1(VALU_DEP_1)
	v_mov_b32_e32 v171, v167
	ds_load_2addr_b64 v[166:169], v220 offset0:30 offset1:31
	v_pk_add_f32 v[120:121], v[120:121], v[170:171] neg_lo:[0,1] neg_hi:[0,1]
	s_wait_dscnt 0x0
	v_pk_mul_f32 v[170:171], v[166:167], v[164:165] op_sel:[0,1]
	v_pk_fma_f32 v[172:173], v[166:167], v[162:163], v[170:171] op_sel:[0,0,1] op_sel_hi:[1,1,0] neg_lo:[0,0,1] neg_hi:[0,0,1]
	v_pk_fma_f32 v[166:167], v[166:167], v[162:163], v[170:171] op_sel:[0,0,1] op_sel_hi:[1,0,0]
	v_dual_mul_f32 v170, v169, v165 :: v_dual_mov_b32 v166, v169
	s_delay_alu instid0(VALU_DEP_2) | instskip(NEXT) | instid1(VALU_DEP_2)
	v_dual_mov_b32 v173, v167 :: v_dual_mov_b32 v167, v168
	v_pk_fma_f32 v[170:171], v[168:169], v[22:23], v[170:171] op_sel_hi:[1,1,0] neg_lo:[0,0,1] neg_hi:[0,0,1]
	v_mul_f32_e32 v168, v169, v162
	s_delay_alu instid0(VALU_DEP_3) | instskip(NEXT) | instid1(VALU_DEP_2)
	v_pk_add_f32 v[122:123], v[122:123], v[172:173] neg_lo:[0,1] neg_hi:[0,1]
	v_pk_fma_f32 v[166:167], v[166:167], v[22:23], v[168:169] op_sel_hi:[1,1,0]
	s_delay_alu instid0(VALU_DEP_1) | instskip(SKIP_4) | instid1(VALU_DEP_1)
	v_mov_b32_e32 v171, v167
	ds_load_2addr_b64 v[166:169], v220 offset0:32 offset1:33
	v_pk_add_f32 v[118:119], v[118:119], v[170:171] neg_lo:[0,1] neg_hi:[0,1]
	s_wait_dscnt 0x0
	v_pk_mul_f32 v[170:171], v[166:167], v[164:165] op_sel:[0,1]
	v_pk_fma_f32 v[172:173], v[166:167], v[162:163], v[170:171] op_sel:[0,0,1] op_sel_hi:[1,1,0] neg_lo:[0,0,1] neg_hi:[0,0,1]
	v_pk_fma_f32 v[166:167], v[166:167], v[162:163], v[170:171] op_sel:[0,0,1] op_sel_hi:[1,0,0]
	s_delay_alu instid0(VALU_DEP_1) | instskip(SKIP_1) | instid1(VALU_DEP_1)
	v_mov_b32_e32 v173, v167
	v_pk_mul_f32 v[166:167], v[168:169], v[164:165] op_sel:[0,1]
	v_pk_fma_f32 v[170:171], v[168:169], v[162:163], v[166:167] op_sel:[0,0,1] op_sel_hi:[1,1,0] neg_lo:[0,0,1] neg_hi:[0,0,1]
	v_pk_fma_f32 v[166:167], v[168:169], v[162:163], v[166:167] op_sel:[0,0,1] op_sel_hi:[1,0,0]
	s_delay_alu instid0(VALU_DEP_1)
	v_mov_b32_e32 v171, v167
	ds_load_2addr_b64 v[166:169], v220 offset0:34 offset1:35
	v_pk_add_f32 v[136:137], v[136:137], v[172:173] neg_lo:[0,1] neg_hi:[0,1]
	v_pk_add_f32 v[134:135], v[134:135], v[170:171] neg_lo:[0,1] neg_hi:[0,1]
	s_wait_dscnt 0x0
	v_pk_mul_f32 v[170:171], v[166:167], v[164:165] op_sel:[0,1]
	v_pk_mul_f32 v[164:165], v[168:169], v[164:165] op_sel:[0,1]
	s_delay_alu instid0(VALU_DEP_2) | instskip(SKIP_1) | instid1(VALU_DEP_1)
	v_pk_fma_f32 v[172:173], v[166:167], v[162:163], v[170:171] op_sel:[0,0,1] op_sel_hi:[1,1,0] neg_lo:[0,0,1] neg_hi:[0,0,1]
	v_pk_fma_f32 v[166:167], v[166:167], v[162:163], v[170:171] op_sel:[0,0,1] op_sel_hi:[1,0,0]
	v_mov_b32_e32 v173, v167
	s_delay_alu instid0(VALU_DEP_4) | instskip(SKIP_1) | instid1(VALU_DEP_1)
	v_pk_fma_f32 v[166:167], v[168:169], v[162:163], v[164:165] op_sel:[0,0,1] op_sel_hi:[1,1,0] neg_lo:[0,0,1] neg_hi:[0,0,1]
	v_pk_fma_f32 v[162:163], v[168:169], v[162:163], v[164:165] op_sel:[0,0,1] op_sel_hi:[1,0,0]
	v_mov_b32_e32 v167, v163
	s_delay_alu instid0(VALU_DEP_4) | instskip(NEXT) | instid1(VALU_DEP_2)
	v_pk_add_f32 v[132:133], v[132:133], v[172:173] neg_lo:[0,1] neg_hi:[0,1]
	v_pk_add_f32 v[142:143], v[142:143], v[166:167] neg_lo:[0,1] neg_hi:[0,1]
.LBB71_73:
	s_or_b32 exec_lo, exec_lo, s1
	s_delay_alu instid0(SALU_CYCLE_1)
	s_mov_b32 s2, exec_lo
	s_wait_dscnt 0x0
	s_barrier_signal -1
	s_barrier_wait -1
	v_cmpx_eq_u32_e32 8, v218
	s_cbranch_execz .LBB71_80
; %bb.74:
	ds_store_b64 v219, v[42:43]
	ds_store_2addr_b64 v220, v[38:39], v[40:41] offset0:9 offset1:10
	ds_store_2addr_b64 v220, v[36:37], v[62:63] offset0:11 offset1:12
	;; [unrolled: 1-line block ×13, first 2 shown]
	ds_store_b64 v220, v[142:143] offset:280
	ds_load_b64 v[162:163], v219
	s_wait_dscnt 0x0
	v_cmp_neq_f32_e32 vcc_lo, 0, v162
	v_cmp_neq_f32_e64 s1, 0, v163
	s_or_b32 s1, vcc_lo, s1
	s_delay_alu instid0(SALU_CYCLE_1)
	s_and_b32 exec_lo, exec_lo, s1
	s_cbranch_execz .LBB71_80
; %bb.75:
	v_cmp_ngt_f32_e64 s1, |v162|, |v163|
                                        ; implicit-def: $vgpr164_vgpr165
	s_and_saveexec_b32 s4, s1
	s_delay_alu instid0(SALU_CYCLE_1)
	s_xor_b32 s1, exec_lo, s4
	s_cbranch_execz .LBB71_77
; %bb.76:
	v_div_scale_f32 v164, null, v163, v163, v162
	v_div_scale_f32 v167, vcc_lo, v162, v163, v162
	s_delay_alu instid0(VALU_DEP_2) | instskip(SKIP_1) | instid1(TRANS32_DEP_1)
	v_rcp_f32_e32 v165, v164
	v_nop
	v_fma_f32 v166, -v164, v165, 1.0
	s_delay_alu instid0(VALU_DEP_1) | instskip(NEXT) | instid1(VALU_DEP_1)
	v_fmac_f32_e32 v165, v166, v165
	v_mul_f32_e32 v166, v167, v165
	s_delay_alu instid0(VALU_DEP_1) | instskip(NEXT) | instid1(VALU_DEP_1)
	v_fma_f32 v168, -v164, v166, v167
	v_fmac_f32_e32 v166, v168, v165
	s_delay_alu instid0(VALU_DEP_1) | instskip(NEXT) | instid1(VALU_DEP_1)
	v_fma_f32 v164, -v164, v166, v167
	v_div_fmas_f32 v164, v164, v165, v166
	s_delay_alu instid0(VALU_DEP_1) | instskip(NEXT) | instid1(VALU_DEP_1)
	v_div_fixup_f32 v164, v164, v163, v162
	v_fmac_f32_e32 v163, v162, v164
	s_delay_alu instid0(VALU_DEP_1) | instskip(SKIP_1) | instid1(VALU_DEP_2)
	v_div_scale_f32 v162, null, v163, v163, 1.0
	v_div_scale_f32 v167, vcc_lo, 1.0, v163, 1.0
	v_rcp_f32_e32 v165, v162
	v_nop
	s_delay_alu instid0(TRANS32_DEP_1) | instskip(NEXT) | instid1(VALU_DEP_1)
	v_fma_f32 v166, -v162, v165, 1.0
	v_fmac_f32_e32 v165, v166, v165
	s_delay_alu instid0(VALU_DEP_1) | instskip(NEXT) | instid1(VALU_DEP_1)
	v_mul_f32_e32 v166, v167, v165
	v_fma_f32 v168, -v162, v166, v167
	s_delay_alu instid0(VALU_DEP_1) | instskip(NEXT) | instid1(VALU_DEP_1)
	v_fmac_f32_e32 v166, v168, v165
	v_fma_f32 v162, -v162, v166, v167
	s_delay_alu instid0(VALU_DEP_1) | instskip(NEXT) | instid1(VALU_DEP_1)
	v_div_fmas_f32 v162, v162, v165, v166
	v_div_fixup_f32 v162, v162, v163, 1.0
	s_delay_alu instid0(VALU_DEP_1)
	v_mul_f32_e32 v164, v164, v162
	v_xor_b32_e32 v165, 0x80000000, v162
                                        ; implicit-def: $vgpr162_vgpr163
.LBB71_77:
	s_and_not1_saveexec_b32 s1, s1
	s_cbranch_execz .LBB71_79
; %bb.78:
	v_div_scale_f32 v164, null, v162, v162, v163
	v_div_scale_f32 v167, vcc_lo, v163, v162, v163
	s_delay_alu instid0(VALU_DEP_2) | instskip(SKIP_1) | instid1(TRANS32_DEP_1)
	v_rcp_f32_e32 v165, v164
	v_nop
	v_fma_f32 v166, -v164, v165, 1.0
	s_delay_alu instid0(VALU_DEP_1) | instskip(NEXT) | instid1(VALU_DEP_1)
	v_fmac_f32_e32 v165, v166, v165
	v_mul_f32_e32 v166, v167, v165
	s_delay_alu instid0(VALU_DEP_1) | instskip(NEXT) | instid1(VALU_DEP_1)
	v_fma_f32 v168, -v164, v166, v167
	v_fmac_f32_e32 v166, v168, v165
	s_delay_alu instid0(VALU_DEP_1) | instskip(NEXT) | instid1(VALU_DEP_1)
	v_fma_f32 v164, -v164, v166, v167
	v_div_fmas_f32 v164, v164, v165, v166
	s_delay_alu instid0(VALU_DEP_1) | instskip(NEXT) | instid1(VALU_DEP_1)
	v_div_fixup_f32 v165, v164, v162, v163
	v_fmac_f32_e32 v162, v163, v165
	s_delay_alu instid0(VALU_DEP_1) | instskip(NEXT) | instid1(VALU_DEP_1)
	v_div_scale_f32 v163, null, v162, v162, 1.0
	v_rcp_f32_e32 v164, v163
	v_nop
	s_delay_alu instid0(TRANS32_DEP_1) | instskip(NEXT) | instid1(VALU_DEP_1)
	v_fma_f32 v166, -v163, v164, 1.0
	v_fmac_f32_e32 v164, v166, v164
	v_div_scale_f32 v166, vcc_lo, 1.0, v162, 1.0
	s_delay_alu instid0(VALU_DEP_1) | instskip(NEXT) | instid1(VALU_DEP_1)
	v_mul_f32_e32 v167, v166, v164
	v_fma_f32 v168, -v163, v167, v166
	s_delay_alu instid0(VALU_DEP_1) | instskip(NEXT) | instid1(VALU_DEP_1)
	v_fmac_f32_e32 v167, v168, v164
	v_fma_f32 v163, -v163, v167, v166
	s_delay_alu instid0(VALU_DEP_1) | instskip(NEXT) | instid1(VALU_DEP_1)
	v_div_fmas_f32 v163, v163, v164, v167
	v_div_fixup_f32 v164, v163, v162, 1.0
	s_delay_alu instid0(VALU_DEP_1)
	v_mul_f32_e64 v165, v165, -v164
.LBB71_79:
	s_or_b32 exec_lo, exec_lo, s1
	ds_store_b64 v219, v[164:165]
.LBB71_80:
	s_or_b32 exec_lo, exec_lo, s2
	s_wait_dscnt 0x0
	s_barrier_signal -1
	s_barrier_wait -1
	ds_load_b64 v[162:163], v219
	s_mov_b32 s1, exec_lo
	v_cmpx_lt_u32_e32 8, v218
	s_cbranch_execz .LBB71_82
; %bb.81:
	ds_load_2addr_b64 v[168:171], v220 offset0:9 offset1:10
	s_wait_dscnt 0x1
	v_pk_mul_f32 v[166:167], v[162:163], v[42:43] op_sel:[1,1] op_sel_hi:[0,1]
	s_delay_alu instid0(VALU_DEP_1) | instskip(SKIP_1) | instid1(VALU_DEP_1)
	v_pk_fma_f32 v[164:165], v[162:163], v[42:43], v[166:167] op_sel_hi:[1,0,1] neg_lo:[0,0,1] neg_hi:[0,0,1]
	v_pk_fma_f32 v[166:167], v[162:163], v[42:43], v[166:167] op_sel_hi:[1,0,1]
	v_dual_mov_b32 v42, v164 :: v_dual_mov_b32 v43, v167
	s_wait_dscnt 0x0
	s_delay_alu instid0(VALU_DEP_2) | instskip(NEXT) | instid1(VALU_DEP_1)
	v_pk_mul_f32 v[172:173], v[168:169], v[166:167] op_sel:[0,1]
	v_pk_fma_f32 v[174:175], v[168:169], v[164:165], v[172:173] op_sel:[0,0,1] op_sel_hi:[1,1,0] neg_lo:[0,0,1] neg_hi:[0,0,1]
	v_pk_fma_f32 v[168:169], v[168:169], v[164:165], v[172:173] op_sel:[0,0,1] op_sel_hi:[1,0,0]
	s_delay_alu instid0(VALU_DEP_1) | instskip(SKIP_1) | instid1(VALU_DEP_1)
	v_mov_b32_e32 v175, v169
	v_pk_mul_f32 v[168:169], v[170:171], v[166:167] op_sel:[0,1]
	v_pk_fma_f32 v[172:173], v[170:171], v[164:165], v[168:169] op_sel:[0,0,1] op_sel_hi:[1,1,0] neg_lo:[0,0,1] neg_hi:[0,0,1]
	v_pk_fma_f32 v[168:169], v[170:171], v[164:165], v[168:169] op_sel:[0,0,1] op_sel_hi:[1,0,0]
	s_delay_alu instid0(VALU_DEP_1)
	v_mov_b32_e32 v173, v169
	ds_load_2addr_b64 v[168:171], v220 offset0:11 offset1:12
	v_pk_add_f32 v[38:39], v[38:39], v[174:175] neg_lo:[0,1] neg_hi:[0,1]
	v_pk_add_f32 v[40:41], v[40:41], v[172:173] neg_lo:[0,1] neg_hi:[0,1]
	s_wait_dscnt 0x0
	v_pk_mul_f32 v[172:173], v[168:169], v[166:167] op_sel:[0,1]
	s_delay_alu instid0(VALU_DEP_1) | instskip(SKIP_2) | instid1(VALU_DEP_2)
	v_pk_fma_f32 v[174:175], v[168:169], v[164:165], v[172:173] op_sel:[0,0,1] op_sel_hi:[1,1,0] neg_lo:[0,0,1] neg_hi:[0,0,1]
	v_pk_fma_f32 v[168:169], v[168:169], v[164:165], v[172:173] op_sel:[0,0,1] op_sel_hi:[1,0,0]
	v_dual_mul_f32 v172, v171, v167 :: v_dual_mov_b32 v168, v171
	v_dual_mov_b32 v175, v169 :: v_dual_mov_b32 v169, v170
	s_delay_alu instid0(VALU_DEP_2) | instskip(SKIP_1) | instid1(VALU_DEP_3)
	v_pk_fma_f32 v[172:173], v[170:171], v[42:43], v[172:173] op_sel_hi:[1,1,0] neg_lo:[0,0,1] neg_hi:[0,0,1]
	v_mul_f32_e32 v170, v171, v164
	v_pk_add_f32 v[36:37], v[36:37], v[174:175] neg_lo:[0,1] neg_hi:[0,1]
	s_delay_alu instid0(VALU_DEP_2) | instskip(NEXT) | instid1(VALU_DEP_1)
	v_pk_fma_f32 v[168:169], v[168:169], v[42:43], v[170:171] op_sel_hi:[1,1,0]
	v_mov_b32_e32 v173, v169
	ds_load_2addr_b64 v[168:171], v220 offset0:13 offset1:14
	v_pk_add_f32 v[62:63], v[62:63], v[172:173] neg_lo:[0,1] neg_hi:[0,1]
	s_wait_dscnt 0x0
	v_pk_mul_f32 v[172:173], v[168:169], v[166:167] op_sel:[0,1]
	s_delay_alu instid0(VALU_DEP_1) | instskip(SKIP_1) | instid1(VALU_DEP_1)
	v_pk_fma_f32 v[174:175], v[168:169], v[164:165], v[172:173] op_sel:[0,0,1] op_sel_hi:[1,1,0] neg_lo:[0,0,1] neg_hi:[0,0,1]
	v_pk_fma_f32 v[168:169], v[168:169], v[164:165], v[172:173] op_sel:[0,0,1] op_sel_hi:[1,0,0]
	v_mov_b32_e32 v175, v169
	v_pk_mul_f32 v[168:169], v[170:171], v[166:167] op_sel:[0,1]
	s_delay_alu instid0(VALU_DEP_1) | instskip(SKIP_1) | instid1(VALU_DEP_1)
	v_pk_fma_f32 v[172:173], v[170:171], v[164:165], v[168:169] op_sel:[0,0,1] op_sel_hi:[1,1,0] neg_lo:[0,0,1] neg_hi:[0,0,1]
	v_pk_fma_f32 v[168:169], v[170:171], v[164:165], v[168:169] op_sel:[0,0,1] op_sel_hi:[1,0,0]
	v_mov_b32_e32 v173, v169
	ds_load_2addr_b64 v[168:171], v220 offset0:15 offset1:16
	v_pk_add_f32 v[58:59], v[58:59], v[174:175] neg_lo:[0,1] neg_hi:[0,1]
	v_pk_add_f32 v[60:61], v[60:61], v[172:173] neg_lo:[0,1] neg_hi:[0,1]
	s_wait_dscnt 0x0
	v_pk_mul_f32 v[172:173], v[168:169], v[166:167] op_sel:[0,1]
	s_delay_alu instid0(VALU_DEP_1) | instskip(SKIP_1) | instid1(VALU_DEP_1)
	v_pk_fma_f32 v[174:175], v[168:169], v[164:165], v[172:173] op_sel:[0,0,1] op_sel_hi:[1,1,0] neg_lo:[0,0,1] neg_hi:[0,0,1]
	v_pk_fma_f32 v[168:169], v[168:169], v[164:165], v[172:173] op_sel:[0,0,1] op_sel_hi:[1,0,0]
	v_mov_b32_e32 v175, v169
	v_pk_mul_f32 v[168:169], v[170:171], v[166:167] op_sel:[0,1]
	s_delay_alu instid0(VALU_DEP_1) | instskip(SKIP_1) | instid1(VALU_DEP_1)
	v_pk_fma_f32 v[172:173], v[170:171], v[164:165], v[168:169] op_sel:[0,0,1] op_sel_hi:[1,1,0] neg_lo:[0,0,1] neg_hi:[0,0,1]
	v_pk_fma_f32 v[168:169], v[170:171], v[164:165], v[168:169] op_sel:[0,0,1] op_sel_hi:[1,0,0]
	v_mov_b32_e32 v173, v169
	ds_load_2addr_b64 v[168:171], v220 offset0:17 offset1:18
	v_pk_add_f32 v[92:93], v[92:93], v[174:175] neg_lo:[0,1] neg_hi:[0,1]
	v_pk_add_f32 v[90:91], v[90:91], v[172:173] neg_lo:[0,1] neg_hi:[0,1]
	s_wait_dscnt 0x0
	v_dual_mul_f32 v172, v169, v167 :: v_dual_mul_f32 v174, v169, v164
	s_delay_alu instid0(VALU_DEP_1) | instskip(NEXT) | instid1(VALU_DEP_2)
	v_pk_fma_f32 v[172:173], v[168:169], v[42:43], v[172:173] op_sel_hi:[1,1,0] neg_lo:[0,0,1] neg_hi:[0,0,1]
	v_pk_fma_f32 v[168:169], v[168:169], v[42:43], v[174:175] op_sel:[1,0,0] op_sel_hi:[0,1,0]
	s_delay_alu instid0(VALU_DEP_1) | instskip(SKIP_1) | instid1(VALU_DEP_2)
	v_mov_b32_e32 v173, v169
	v_pk_mul_f32 v[168:169], v[170:171], v[166:167] op_sel:[0,1]
	v_pk_add_f32 v[114:115], v[114:115], v[172:173] neg_lo:[0,1] neg_hi:[0,1]
	s_delay_alu instid0(VALU_DEP_2) | instskip(SKIP_1) | instid1(VALU_DEP_1)
	v_pk_fma_f32 v[172:173], v[170:171], v[164:165], v[168:169] op_sel:[0,0,1] op_sel_hi:[1,1,0] neg_lo:[0,0,1] neg_hi:[0,0,1]
	v_pk_fma_f32 v[168:169], v[170:171], v[164:165], v[168:169] op_sel:[0,0,1] op_sel_hi:[1,0,0]
	v_mov_b32_e32 v173, v169
	ds_load_2addr_b64 v[168:171], v220 offset0:19 offset1:20
	v_pk_add_f32 v[116:117], v[116:117], v[172:173] neg_lo:[0,1] neg_hi:[0,1]
	s_wait_dscnt 0x0
	v_pk_mul_f32 v[172:173], v[168:169], v[166:167] op_sel:[0,1]
	s_delay_alu instid0(VALU_DEP_1) | instskip(SKIP_1) | instid1(VALU_DEP_1)
	v_pk_fma_f32 v[174:175], v[168:169], v[164:165], v[172:173] op_sel:[0,0,1] op_sel_hi:[1,1,0] neg_lo:[0,0,1] neg_hi:[0,0,1]
	v_pk_fma_f32 v[168:169], v[168:169], v[164:165], v[172:173] op_sel:[0,0,1] op_sel_hi:[1,0,0]
	v_mov_b32_e32 v175, v169
	v_pk_mul_f32 v[168:169], v[170:171], v[166:167] op_sel:[0,1]
	s_delay_alu instid0(VALU_DEP_2) | instskip(NEXT) | instid1(VALU_DEP_2)
	v_pk_add_f32 v[112:113], v[112:113], v[174:175] neg_lo:[0,1] neg_hi:[0,1]
	v_pk_fma_f32 v[172:173], v[170:171], v[164:165], v[168:169] op_sel:[0,0,1] op_sel_hi:[1,1,0] neg_lo:[0,0,1] neg_hi:[0,0,1]
	v_pk_fma_f32 v[168:169], v[170:171], v[164:165], v[168:169] op_sel:[0,0,1] op_sel_hi:[1,0,0]
	s_delay_alu instid0(VALU_DEP_1) | instskip(SKIP_4) | instid1(VALU_DEP_1)
	v_mov_b32_e32 v173, v169
	ds_load_2addr_b64 v[168:171], v220 offset0:21 offset1:22
	v_pk_add_f32 v[102:103], v[102:103], v[172:173] neg_lo:[0,1] neg_hi:[0,1]
	s_wait_dscnt 0x0
	v_pk_mul_f32 v[172:173], v[168:169], v[166:167] op_sel:[0,1]
	v_pk_fma_f32 v[174:175], v[168:169], v[164:165], v[172:173] op_sel:[0,0,1] op_sel_hi:[1,1,0] neg_lo:[0,0,1] neg_hi:[0,0,1]
	v_pk_fma_f32 v[168:169], v[168:169], v[164:165], v[172:173] op_sel:[0,0,1] op_sel_hi:[1,0,0]
	v_dual_mul_f32 v172, v171, v167 :: v_dual_mov_b32 v168, v171
	s_delay_alu instid0(VALU_DEP_2) | instskip(NEXT) | instid1(VALU_DEP_2)
	v_dual_mov_b32 v175, v169 :: v_dual_mov_b32 v169, v170
	v_pk_fma_f32 v[172:173], v[170:171], v[42:43], v[172:173] op_sel_hi:[1,1,0] neg_lo:[0,0,1] neg_hi:[0,0,1]
	v_mul_f32_e32 v170, v171, v164
	s_delay_alu instid0(VALU_DEP_3) | instskip(NEXT) | instid1(VALU_DEP_2)
	v_pk_add_f32 v[128:129], v[128:129], v[174:175] neg_lo:[0,1] neg_hi:[0,1]
	v_pk_fma_f32 v[168:169], v[168:169], v[42:43], v[170:171] op_sel_hi:[1,1,0]
	s_delay_alu instid0(VALU_DEP_1) | instskip(SKIP_4) | instid1(VALU_DEP_1)
	v_mov_b32_e32 v173, v169
	ds_load_2addr_b64 v[168:171], v220 offset0:23 offset1:24
	v_pk_add_f32 v[130:131], v[130:131], v[172:173] neg_lo:[0,1] neg_hi:[0,1]
	s_wait_dscnt 0x0
	v_pk_mul_f32 v[172:173], v[168:169], v[166:167] op_sel:[0,1]
	v_pk_fma_f32 v[174:175], v[168:169], v[164:165], v[172:173] op_sel:[0,0,1] op_sel_hi:[1,1,0] neg_lo:[0,0,1] neg_hi:[0,0,1]
	v_pk_fma_f32 v[168:169], v[168:169], v[164:165], v[172:173] op_sel:[0,0,1] op_sel_hi:[1,0,0]
	s_delay_alu instid0(VALU_DEP_1) | instskip(SKIP_1) | instid1(VALU_DEP_1)
	v_mov_b32_e32 v175, v169
	v_pk_mul_f32 v[168:169], v[170:171], v[166:167] op_sel:[0,1]
	v_pk_fma_f32 v[172:173], v[170:171], v[164:165], v[168:169] op_sel:[0,0,1] op_sel_hi:[1,1,0] neg_lo:[0,0,1] neg_hi:[0,0,1]
	v_pk_fma_f32 v[168:169], v[170:171], v[164:165], v[168:169] op_sel:[0,0,1] op_sel_hi:[1,0,0]
	s_delay_alu instid0(VALU_DEP_1)
	v_mov_b32_e32 v173, v169
	ds_load_2addr_b64 v[168:171], v220 offset0:25 offset1:26
	v_pk_add_f32 v[126:127], v[126:127], v[174:175] neg_lo:[0,1] neg_hi:[0,1]
	v_pk_add_f32 v[144:145], v[144:145], v[172:173] neg_lo:[0,1] neg_hi:[0,1]
	s_wait_dscnt 0x0
	v_pk_mul_f32 v[172:173], v[168:169], v[166:167] op_sel:[0,1]
	s_delay_alu instid0(VALU_DEP_1) | instskip(SKIP_1) | instid1(VALU_DEP_1)
	v_pk_fma_f32 v[174:175], v[168:169], v[164:165], v[172:173] op_sel:[0,0,1] op_sel_hi:[1,1,0] neg_lo:[0,0,1] neg_hi:[0,0,1]
	v_pk_fma_f32 v[168:169], v[168:169], v[164:165], v[172:173] op_sel:[0,0,1] op_sel_hi:[1,0,0]
	v_mov_b32_e32 v175, v169
	v_pk_mul_f32 v[168:169], v[170:171], v[166:167] op_sel:[0,1]
	s_delay_alu instid0(VALU_DEP_1) | instskip(SKIP_1) | instid1(VALU_DEP_1)
	v_pk_fma_f32 v[172:173], v[170:171], v[164:165], v[168:169] op_sel:[0,0,1] op_sel_hi:[1,1,0] neg_lo:[0,0,1] neg_hi:[0,0,1]
	v_pk_fma_f32 v[168:169], v[170:171], v[164:165], v[168:169] op_sel:[0,0,1] op_sel_hi:[1,0,0]
	v_mov_b32_e32 v173, v169
	ds_load_2addr_b64 v[168:171], v220 offset0:27 offset1:28
	v_pk_add_f32 v[138:139], v[138:139], v[174:175] neg_lo:[0,1] neg_hi:[0,1]
	v_pk_add_f32 v[140:141], v[140:141], v[172:173] neg_lo:[0,1] neg_hi:[0,1]
	s_wait_dscnt 0x0
	v_dual_mul_f32 v172, v169, v167 :: v_dual_mul_f32 v174, v169, v164
	s_delay_alu instid0(VALU_DEP_1) | instskip(NEXT) | instid1(VALU_DEP_2)
	v_pk_fma_f32 v[172:173], v[168:169], v[42:43], v[172:173] op_sel_hi:[1,1,0] neg_lo:[0,0,1] neg_hi:[0,0,1]
	v_pk_fma_f32 v[168:169], v[168:169], v[42:43], v[174:175] op_sel:[1,0,0] op_sel_hi:[0,1,0]
	s_delay_alu instid0(VALU_DEP_1) | instskip(SKIP_1) | instid1(VALU_DEP_2)
	v_mov_b32_e32 v173, v169
	v_pk_mul_f32 v[168:169], v[170:171], v[166:167] op_sel:[0,1]
	v_pk_add_f32 v[98:99], v[98:99], v[172:173] neg_lo:[0,1] neg_hi:[0,1]
	s_delay_alu instid0(VALU_DEP_2) | instskip(SKIP_1) | instid1(VALU_DEP_1)
	v_pk_fma_f32 v[172:173], v[170:171], v[164:165], v[168:169] op_sel:[0,0,1] op_sel_hi:[1,1,0] neg_lo:[0,0,1] neg_hi:[0,0,1]
	v_pk_fma_f32 v[168:169], v[170:171], v[164:165], v[168:169] op_sel:[0,0,1] op_sel_hi:[1,0,0]
	v_mov_b32_e32 v173, v169
	ds_load_2addr_b64 v[168:171], v220 offset0:29 offset1:30
	v_pk_add_f32 v[124:125], v[124:125], v[172:173] neg_lo:[0,1] neg_hi:[0,1]
	s_wait_dscnt 0x0
	v_pk_mul_f32 v[172:173], v[168:169], v[166:167] op_sel:[0,1]
	s_delay_alu instid0(VALU_DEP_1) | instskip(SKIP_1) | instid1(VALU_DEP_1)
	v_pk_fma_f32 v[174:175], v[168:169], v[164:165], v[172:173] op_sel:[0,0,1] op_sel_hi:[1,1,0] neg_lo:[0,0,1] neg_hi:[0,0,1]
	v_pk_fma_f32 v[168:169], v[168:169], v[164:165], v[172:173] op_sel:[0,0,1] op_sel_hi:[1,0,0]
	v_mov_b32_e32 v175, v169
	v_pk_mul_f32 v[168:169], v[170:171], v[166:167] op_sel:[0,1]
	s_delay_alu instid0(VALU_DEP_2) | instskip(NEXT) | instid1(VALU_DEP_2)
	v_pk_add_f32 v[120:121], v[120:121], v[174:175] neg_lo:[0,1] neg_hi:[0,1]
	v_pk_fma_f32 v[172:173], v[170:171], v[164:165], v[168:169] op_sel:[0,0,1] op_sel_hi:[1,1,0] neg_lo:[0,0,1] neg_hi:[0,0,1]
	v_pk_fma_f32 v[168:169], v[170:171], v[164:165], v[168:169] op_sel:[0,0,1] op_sel_hi:[1,0,0]
	s_delay_alu instid0(VALU_DEP_1) | instskip(SKIP_4) | instid1(VALU_DEP_1)
	v_mov_b32_e32 v173, v169
	ds_load_2addr_b64 v[168:171], v220 offset0:31 offset1:32
	v_pk_add_f32 v[122:123], v[122:123], v[172:173] neg_lo:[0,1] neg_hi:[0,1]
	s_wait_dscnt 0x0
	v_pk_mul_f32 v[172:173], v[168:169], v[166:167] op_sel:[0,1]
	v_pk_fma_f32 v[174:175], v[168:169], v[164:165], v[172:173] op_sel:[0,0,1] op_sel_hi:[1,1,0] neg_lo:[0,0,1] neg_hi:[0,0,1]
	v_pk_fma_f32 v[168:169], v[168:169], v[164:165], v[172:173] op_sel:[0,0,1] op_sel_hi:[1,0,0]
	v_dual_mul_f32 v172, v171, v167 :: v_dual_mov_b32 v168, v171
	s_delay_alu instid0(VALU_DEP_2) | instskip(NEXT) | instid1(VALU_DEP_2)
	v_dual_mov_b32 v175, v169 :: v_dual_mov_b32 v169, v170
	v_pk_fma_f32 v[172:173], v[170:171], v[42:43], v[172:173] op_sel_hi:[1,1,0] neg_lo:[0,0,1] neg_hi:[0,0,1]
	v_mul_f32_e32 v170, v171, v164
	s_delay_alu instid0(VALU_DEP_3) | instskip(NEXT) | instid1(VALU_DEP_2)
	v_pk_add_f32 v[118:119], v[118:119], v[174:175] neg_lo:[0,1] neg_hi:[0,1]
	v_pk_fma_f32 v[168:169], v[168:169], v[42:43], v[170:171] op_sel_hi:[1,1,0]
	s_delay_alu instid0(VALU_DEP_1) | instskip(SKIP_4) | instid1(VALU_DEP_1)
	v_mov_b32_e32 v173, v169
	ds_load_2addr_b64 v[168:171], v220 offset0:33 offset1:34
	v_pk_add_f32 v[136:137], v[136:137], v[172:173] neg_lo:[0,1] neg_hi:[0,1]
	s_wait_dscnt 0x0
	v_pk_mul_f32 v[172:173], v[168:169], v[166:167] op_sel:[0,1]
	v_pk_fma_f32 v[174:175], v[168:169], v[164:165], v[172:173] op_sel:[0,0,1] op_sel_hi:[1,1,0] neg_lo:[0,0,1] neg_hi:[0,0,1]
	v_pk_fma_f32 v[168:169], v[168:169], v[164:165], v[172:173] op_sel:[0,0,1] op_sel_hi:[1,0,0]
	s_delay_alu instid0(VALU_DEP_1) | instskip(SKIP_1) | instid1(VALU_DEP_1)
	v_mov_b32_e32 v175, v169
	v_pk_mul_f32 v[168:169], v[170:171], v[166:167] op_sel:[0,1]
	v_pk_fma_f32 v[172:173], v[170:171], v[164:165], v[168:169] op_sel:[0,0,1] op_sel_hi:[1,1,0] neg_lo:[0,0,1] neg_hi:[0,0,1]
	v_pk_fma_f32 v[168:169], v[170:171], v[164:165], v[168:169] op_sel:[0,0,1] op_sel_hi:[1,0,0]
	s_delay_alu instid0(VALU_DEP_1)
	v_mov_b32_e32 v173, v169
	ds_load_b64 v[168:169], v220 offset:280
	v_pk_add_f32 v[134:135], v[134:135], v[174:175] neg_lo:[0,1] neg_hi:[0,1]
	v_pk_add_f32 v[132:133], v[132:133], v[172:173] neg_lo:[0,1] neg_hi:[0,1]
	s_wait_dscnt 0x0
	v_pk_mul_f32 v[166:167], v[168:169], v[166:167] op_sel:[0,1]
	s_delay_alu instid0(VALU_DEP_1) | instskip(SKIP_1) | instid1(VALU_DEP_1)
	v_pk_fma_f32 v[170:171], v[168:169], v[164:165], v[166:167] op_sel:[0,0,1] op_sel_hi:[1,1,0] neg_lo:[0,0,1] neg_hi:[0,0,1]
	v_pk_fma_f32 v[164:165], v[168:169], v[164:165], v[166:167] op_sel:[0,0,1] op_sel_hi:[1,0,0]
	v_mov_b32_e32 v171, v165
	s_delay_alu instid0(VALU_DEP_1)
	v_pk_add_f32 v[142:143], v[142:143], v[170:171] neg_lo:[0,1] neg_hi:[0,1]
.LBB71_82:
	s_or_b32 exec_lo, exec_lo, s1
	s_delay_alu instid0(SALU_CYCLE_1)
	s_mov_b32 s2, exec_lo
	s_wait_dscnt 0x0
	s_barrier_signal -1
	s_barrier_wait -1
	v_cmpx_eq_u32_e32 9, v218
	s_cbranch_execz .LBB71_89
; %bb.83:
	v_dual_mov_b32 v164, v40 :: v_dual_mov_b32 v165, v41
	v_dual_mov_b32 v166, v36 :: v_dual_mov_b32 v167, v37
	;; [unrolled: 1-line block ×4, first 2 shown]
	ds_store_b64 v219, v[38:39]
	ds_store_2addr_b64 v220, v[164:165], v[166:167] offset0:10 offset1:11
	ds_store_2addr_b64 v220, v[168:169], v[170:171] offset0:12 offset1:13
	v_dual_mov_b32 v164, v60 :: v_dual_mov_b32 v165, v61
	v_dual_mov_b32 v166, v92 :: v_dual_mov_b32 v167, v93
	;; [unrolled: 1-line block ×12, first 2 shown]
	ds_store_2addr_b64 v220, v[164:165], v[166:167] offset0:14 offset1:15
	ds_store_2addr_b64 v220, v[168:169], v[170:171] offset0:16 offset1:17
	;; [unrolled: 1-line block ×6, first 2 shown]
	v_dual_mov_b32 v164, v140 :: v_dual_mov_b32 v165, v141
	v_dual_mov_b32 v166, v98 :: v_dual_mov_b32 v167, v99
	;; [unrolled: 1-line block ×9, first 2 shown]
	ds_store_2addr_b64 v220, v[164:165], v[166:167] offset0:26 offset1:27
	ds_store_2addr_b64 v220, v[168:169], v[170:171] offset0:28 offset1:29
	;; [unrolled: 1-line block ×5, first 2 shown]
	ds_load_b64 v[164:165], v219
	s_wait_dscnt 0x0
	v_cmp_neq_f32_e32 vcc_lo, 0, v164
	v_cmp_neq_f32_e64 s1, 0, v165
	s_or_b32 s1, vcc_lo, s1
	s_delay_alu instid0(SALU_CYCLE_1)
	s_and_b32 exec_lo, exec_lo, s1
	s_cbranch_execz .LBB71_89
; %bb.84:
	v_cmp_ngt_f32_e64 s1, |v164|, |v165|
                                        ; implicit-def: $vgpr166_vgpr167
	s_and_saveexec_b32 s4, s1
	s_delay_alu instid0(SALU_CYCLE_1)
	s_xor_b32 s1, exec_lo, s4
	s_cbranch_execz .LBB71_86
; %bb.85:
	v_div_scale_f32 v166, null, v165, v165, v164
	v_div_scale_f32 v169, vcc_lo, v164, v165, v164
	s_delay_alu instid0(VALU_DEP_2) | instskip(SKIP_1) | instid1(TRANS32_DEP_1)
	v_rcp_f32_e32 v167, v166
	v_nop
	v_fma_f32 v168, -v166, v167, 1.0
	s_delay_alu instid0(VALU_DEP_1) | instskip(NEXT) | instid1(VALU_DEP_1)
	v_fmac_f32_e32 v167, v168, v167
	v_mul_f32_e32 v168, v169, v167
	s_delay_alu instid0(VALU_DEP_1) | instskip(NEXT) | instid1(VALU_DEP_1)
	v_fma_f32 v170, -v166, v168, v169
	v_fmac_f32_e32 v168, v170, v167
	s_delay_alu instid0(VALU_DEP_1) | instskip(NEXT) | instid1(VALU_DEP_1)
	v_fma_f32 v166, -v166, v168, v169
	v_div_fmas_f32 v166, v166, v167, v168
	s_delay_alu instid0(VALU_DEP_1) | instskip(NEXT) | instid1(VALU_DEP_1)
	v_div_fixup_f32 v166, v166, v165, v164
	v_fmac_f32_e32 v165, v164, v166
	s_delay_alu instid0(VALU_DEP_1) | instskip(SKIP_1) | instid1(VALU_DEP_2)
	v_div_scale_f32 v164, null, v165, v165, 1.0
	v_div_scale_f32 v169, vcc_lo, 1.0, v165, 1.0
	v_rcp_f32_e32 v167, v164
	v_nop
	s_delay_alu instid0(TRANS32_DEP_1) | instskip(NEXT) | instid1(VALU_DEP_1)
	v_fma_f32 v168, -v164, v167, 1.0
	v_fmac_f32_e32 v167, v168, v167
	s_delay_alu instid0(VALU_DEP_1) | instskip(NEXT) | instid1(VALU_DEP_1)
	v_mul_f32_e32 v168, v169, v167
	v_fma_f32 v170, -v164, v168, v169
	s_delay_alu instid0(VALU_DEP_1) | instskip(NEXT) | instid1(VALU_DEP_1)
	v_fmac_f32_e32 v168, v170, v167
	v_fma_f32 v164, -v164, v168, v169
	s_delay_alu instid0(VALU_DEP_1) | instskip(NEXT) | instid1(VALU_DEP_1)
	v_div_fmas_f32 v164, v164, v167, v168
	v_div_fixup_f32 v164, v164, v165, 1.0
	s_delay_alu instid0(VALU_DEP_1)
	v_mul_f32_e32 v166, v166, v164
	v_xor_b32_e32 v167, 0x80000000, v164
                                        ; implicit-def: $vgpr164_vgpr165
.LBB71_86:
	s_and_not1_saveexec_b32 s1, s1
	s_cbranch_execz .LBB71_88
; %bb.87:
	v_div_scale_f32 v166, null, v164, v164, v165
	v_div_scale_f32 v169, vcc_lo, v165, v164, v165
	s_delay_alu instid0(VALU_DEP_2) | instskip(SKIP_1) | instid1(TRANS32_DEP_1)
	v_rcp_f32_e32 v167, v166
	v_nop
	v_fma_f32 v168, -v166, v167, 1.0
	s_delay_alu instid0(VALU_DEP_1) | instskip(NEXT) | instid1(VALU_DEP_1)
	v_fmac_f32_e32 v167, v168, v167
	v_mul_f32_e32 v168, v169, v167
	s_delay_alu instid0(VALU_DEP_1) | instskip(NEXT) | instid1(VALU_DEP_1)
	v_fma_f32 v170, -v166, v168, v169
	v_fmac_f32_e32 v168, v170, v167
	s_delay_alu instid0(VALU_DEP_1) | instskip(NEXT) | instid1(VALU_DEP_1)
	v_fma_f32 v166, -v166, v168, v169
	v_div_fmas_f32 v166, v166, v167, v168
	s_delay_alu instid0(VALU_DEP_1) | instskip(NEXT) | instid1(VALU_DEP_1)
	v_div_fixup_f32 v167, v166, v164, v165
	v_fmac_f32_e32 v164, v165, v167
	s_delay_alu instid0(VALU_DEP_1) | instskip(NEXT) | instid1(VALU_DEP_1)
	v_div_scale_f32 v165, null, v164, v164, 1.0
	v_rcp_f32_e32 v166, v165
	v_nop
	s_delay_alu instid0(TRANS32_DEP_1) | instskip(NEXT) | instid1(VALU_DEP_1)
	v_fma_f32 v168, -v165, v166, 1.0
	v_fmac_f32_e32 v166, v168, v166
	v_div_scale_f32 v168, vcc_lo, 1.0, v164, 1.0
	s_delay_alu instid0(VALU_DEP_1) | instskip(NEXT) | instid1(VALU_DEP_1)
	v_mul_f32_e32 v169, v168, v166
	v_fma_f32 v170, -v165, v169, v168
	s_delay_alu instid0(VALU_DEP_1) | instskip(NEXT) | instid1(VALU_DEP_1)
	v_fmac_f32_e32 v169, v170, v166
	v_fma_f32 v165, -v165, v169, v168
	s_delay_alu instid0(VALU_DEP_1) | instskip(NEXT) | instid1(VALU_DEP_1)
	v_div_fmas_f32 v165, v165, v166, v169
	v_div_fixup_f32 v166, v165, v164, 1.0
	s_delay_alu instid0(VALU_DEP_1)
	v_mul_f32_e64 v167, v167, -v166
.LBB71_88:
	s_or_b32 exec_lo, exec_lo, s1
	ds_store_b64 v219, v[166:167]
.LBB71_89:
	s_or_b32 exec_lo, exec_lo, s2
	s_wait_dscnt 0x0
	s_barrier_signal -1
	s_barrier_wait -1
	ds_load_b64 v[164:165], v219
	s_mov_b32 s1, exec_lo
	v_cmpx_lt_u32_e32 9, v218
	s_cbranch_execz .LBB71_91
; %bb.90:
	ds_load_2addr_b64 v[170:173], v220 offset0:10 offset1:11
	s_wait_dscnt 0x1
	v_pk_mul_f32 v[168:169], v[164:165], v[38:39] op_sel:[1,1] op_sel_hi:[0,1]
	s_delay_alu instid0(VALU_DEP_1) | instskip(SKIP_1) | instid1(VALU_DEP_1)
	v_pk_fma_f32 v[166:167], v[164:165], v[38:39], v[168:169] op_sel_hi:[1,0,1] neg_lo:[0,0,1] neg_hi:[0,0,1]
	v_pk_fma_f32 v[168:169], v[164:165], v[38:39], v[168:169] op_sel_hi:[1,0,1]
	v_dual_mov_b32 v38, v166 :: v_dual_mov_b32 v39, v169
	s_wait_dscnt 0x0
	s_delay_alu instid0(VALU_DEP_2) | instskip(NEXT) | instid1(VALU_DEP_1)
	v_pk_mul_f32 v[174:175], v[170:171], v[168:169] op_sel:[0,1]
	v_pk_fma_f32 v[176:177], v[170:171], v[166:167], v[174:175] op_sel:[0,0,1] op_sel_hi:[1,1,0] neg_lo:[0,0,1] neg_hi:[0,0,1]
	v_pk_fma_f32 v[170:171], v[170:171], v[166:167], v[174:175] op_sel:[0,0,1] op_sel_hi:[1,0,0]
	s_delay_alu instid0(VALU_DEP_1) | instskip(SKIP_1) | instid1(VALU_DEP_1)
	v_mov_b32_e32 v177, v171
	v_pk_mul_f32 v[170:171], v[172:173], v[168:169] op_sel:[0,1]
	v_pk_fma_f32 v[174:175], v[172:173], v[166:167], v[170:171] op_sel:[0,0,1] op_sel_hi:[1,1,0] neg_lo:[0,0,1] neg_hi:[0,0,1]
	v_pk_fma_f32 v[170:171], v[172:173], v[166:167], v[170:171] op_sel:[0,0,1] op_sel_hi:[1,0,0]
	s_delay_alu instid0(VALU_DEP_1)
	v_mov_b32_e32 v175, v171
	ds_load_2addr_b64 v[170:173], v220 offset0:12 offset1:13
	v_pk_add_f32 v[40:41], v[40:41], v[176:177] neg_lo:[0,1] neg_hi:[0,1]
	v_pk_add_f32 v[36:37], v[36:37], v[174:175] neg_lo:[0,1] neg_hi:[0,1]
	s_wait_dscnt 0x0
	v_pk_mul_f32 v[174:175], v[170:171], v[168:169] op_sel:[0,1]
	s_delay_alu instid0(VALU_DEP_1) | instskip(SKIP_2) | instid1(VALU_DEP_2)
	v_pk_fma_f32 v[176:177], v[170:171], v[166:167], v[174:175] op_sel:[0,0,1] op_sel_hi:[1,1,0] neg_lo:[0,0,1] neg_hi:[0,0,1]
	v_pk_fma_f32 v[170:171], v[170:171], v[166:167], v[174:175] op_sel:[0,0,1] op_sel_hi:[1,0,0]
	v_dual_mul_f32 v174, v173, v169 :: v_dual_mov_b32 v170, v173
	v_dual_mov_b32 v177, v171 :: v_dual_mov_b32 v171, v172
	s_delay_alu instid0(VALU_DEP_2) | instskip(SKIP_1) | instid1(VALU_DEP_3)
	v_pk_fma_f32 v[174:175], v[172:173], v[38:39], v[174:175] op_sel_hi:[1,1,0] neg_lo:[0,0,1] neg_hi:[0,0,1]
	v_mul_f32_e32 v172, v173, v166
	v_pk_add_f32 v[62:63], v[62:63], v[176:177] neg_lo:[0,1] neg_hi:[0,1]
	s_delay_alu instid0(VALU_DEP_2) | instskip(NEXT) | instid1(VALU_DEP_1)
	v_pk_fma_f32 v[170:171], v[170:171], v[38:39], v[172:173] op_sel_hi:[1,1,0]
	v_mov_b32_e32 v175, v171
	ds_load_2addr_b64 v[170:173], v220 offset0:14 offset1:15
	v_pk_add_f32 v[58:59], v[58:59], v[174:175] neg_lo:[0,1] neg_hi:[0,1]
	s_wait_dscnt 0x0
	v_pk_mul_f32 v[174:175], v[170:171], v[168:169] op_sel:[0,1]
	s_delay_alu instid0(VALU_DEP_1) | instskip(SKIP_1) | instid1(VALU_DEP_1)
	v_pk_fma_f32 v[176:177], v[170:171], v[166:167], v[174:175] op_sel:[0,0,1] op_sel_hi:[1,1,0] neg_lo:[0,0,1] neg_hi:[0,0,1]
	v_pk_fma_f32 v[170:171], v[170:171], v[166:167], v[174:175] op_sel:[0,0,1] op_sel_hi:[1,0,0]
	v_mov_b32_e32 v177, v171
	v_pk_mul_f32 v[170:171], v[172:173], v[168:169] op_sel:[0,1]
	s_delay_alu instid0(VALU_DEP_1) | instskip(SKIP_1) | instid1(VALU_DEP_1)
	v_pk_fma_f32 v[174:175], v[172:173], v[166:167], v[170:171] op_sel:[0,0,1] op_sel_hi:[1,1,0] neg_lo:[0,0,1] neg_hi:[0,0,1]
	v_pk_fma_f32 v[170:171], v[172:173], v[166:167], v[170:171] op_sel:[0,0,1] op_sel_hi:[1,0,0]
	v_mov_b32_e32 v175, v171
	ds_load_2addr_b64 v[170:173], v220 offset0:16 offset1:17
	v_pk_add_f32 v[60:61], v[60:61], v[176:177] neg_lo:[0,1] neg_hi:[0,1]
	v_pk_add_f32 v[92:93], v[92:93], v[174:175] neg_lo:[0,1] neg_hi:[0,1]
	s_wait_dscnt 0x0
	v_pk_mul_f32 v[174:175], v[170:171], v[168:169] op_sel:[0,1]
	s_delay_alu instid0(VALU_DEP_1) | instskip(SKIP_1) | instid1(VALU_DEP_1)
	v_pk_fma_f32 v[176:177], v[170:171], v[166:167], v[174:175] op_sel:[0,0,1] op_sel_hi:[1,1,0] neg_lo:[0,0,1] neg_hi:[0,0,1]
	v_pk_fma_f32 v[170:171], v[170:171], v[166:167], v[174:175] op_sel:[0,0,1] op_sel_hi:[1,0,0]
	v_mov_b32_e32 v177, v171
	v_pk_mul_f32 v[170:171], v[172:173], v[168:169] op_sel:[0,1]
	s_delay_alu instid0(VALU_DEP_1) | instskip(SKIP_1) | instid1(VALU_DEP_1)
	v_pk_fma_f32 v[174:175], v[172:173], v[166:167], v[170:171] op_sel:[0,0,1] op_sel_hi:[1,1,0] neg_lo:[0,0,1] neg_hi:[0,0,1]
	v_pk_fma_f32 v[170:171], v[172:173], v[166:167], v[170:171] op_sel:[0,0,1] op_sel_hi:[1,0,0]
	v_mov_b32_e32 v175, v171
	ds_load_2addr_b64 v[170:173], v220 offset0:18 offset1:19
	v_pk_add_f32 v[90:91], v[90:91], v[176:177] neg_lo:[0,1] neg_hi:[0,1]
	v_pk_add_f32 v[114:115], v[114:115], v[174:175] neg_lo:[0,1] neg_hi:[0,1]
	s_wait_dscnt 0x0
	v_dual_mul_f32 v174, v171, v169 :: v_dual_mul_f32 v176, v171, v166
	s_delay_alu instid0(VALU_DEP_1) | instskip(NEXT) | instid1(VALU_DEP_2)
	v_pk_fma_f32 v[174:175], v[170:171], v[38:39], v[174:175] op_sel_hi:[1,1,0] neg_lo:[0,0,1] neg_hi:[0,0,1]
	v_pk_fma_f32 v[170:171], v[170:171], v[38:39], v[176:177] op_sel:[1,0,0] op_sel_hi:[0,1,0]
	s_delay_alu instid0(VALU_DEP_1) | instskip(SKIP_1) | instid1(VALU_DEP_2)
	v_mov_b32_e32 v175, v171
	v_pk_mul_f32 v[170:171], v[172:173], v[168:169] op_sel:[0,1]
	v_pk_add_f32 v[116:117], v[116:117], v[174:175] neg_lo:[0,1] neg_hi:[0,1]
	s_delay_alu instid0(VALU_DEP_2) | instskip(SKIP_1) | instid1(VALU_DEP_1)
	v_pk_fma_f32 v[174:175], v[172:173], v[166:167], v[170:171] op_sel:[0,0,1] op_sel_hi:[1,1,0] neg_lo:[0,0,1] neg_hi:[0,0,1]
	v_pk_fma_f32 v[170:171], v[172:173], v[166:167], v[170:171] op_sel:[0,0,1] op_sel_hi:[1,0,0]
	v_mov_b32_e32 v175, v171
	ds_load_2addr_b64 v[170:173], v220 offset0:20 offset1:21
	v_pk_add_f32 v[112:113], v[112:113], v[174:175] neg_lo:[0,1] neg_hi:[0,1]
	s_wait_dscnt 0x0
	v_pk_mul_f32 v[174:175], v[170:171], v[168:169] op_sel:[0,1]
	s_delay_alu instid0(VALU_DEP_1) | instskip(SKIP_1) | instid1(VALU_DEP_1)
	v_pk_fma_f32 v[176:177], v[170:171], v[166:167], v[174:175] op_sel:[0,0,1] op_sel_hi:[1,1,0] neg_lo:[0,0,1] neg_hi:[0,0,1]
	v_pk_fma_f32 v[170:171], v[170:171], v[166:167], v[174:175] op_sel:[0,0,1] op_sel_hi:[1,0,0]
	v_mov_b32_e32 v177, v171
	v_pk_mul_f32 v[170:171], v[172:173], v[168:169] op_sel:[0,1]
	s_delay_alu instid0(VALU_DEP_2) | instskip(NEXT) | instid1(VALU_DEP_2)
	v_pk_add_f32 v[102:103], v[102:103], v[176:177] neg_lo:[0,1] neg_hi:[0,1]
	v_pk_fma_f32 v[174:175], v[172:173], v[166:167], v[170:171] op_sel:[0,0,1] op_sel_hi:[1,1,0] neg_lo:[0,0,1] neg_hi:[0,0,1]
	v_pk_fma_f32 v[170:171], v[172:173], v[166:167], v[170:171] op_sel:[0,0,1] op_sel_hi:[1,0,0]
	s_delay_alu instid0(VALU_DEP_1) | instskip(SKIP_4) | instid1(VALU_DEP_1)
	v_mov_b32_e32 v175, v171
	ds_load_2addr_b64 v[170:173], v220 offset0:22 offset1:23
	v_pk_add_f32 v[128:129], v[128:129], v[174:175] neg_lo:[0,1] neg_hi:[0,1]
	s_wait_dscnt 0x0
	v_pk_mul_f32 v[174:175], v[170:171], v[168:169] op_sel:[0,1]
	v_pk_fma_f32 v[176:177], v[170:171], v[166:167], v[174:175] op_sel:[0,0,1] op_sel_hi:[1,1,0] neg_lo:[0,0,1] neg_hi:[0,0,1]
	v_pk_fma_f32 v[170:171], v[170:171], v[166:167], v[174:175] op_sel:[0,0,1] op_sel_hi:[1,0,0]
	v_dual_mul_f32 v174, v173, v169 :: v_dual_mov_b32 v170, v173
	s_delay_alu instid0(VALU_DEP_2) | instskip(NEXT) | instid1(VALU_DEP_2)
	v_dual_mov_b32 v177, v171 :: v_dual_mov_b32 v171, v172
	v_pk_fma_f32 v[174:175], v[172:173], v[38:39], v[174:175] op_sel_hi:[1,1,0] neg_lo:[0,0,1] neg_hi:[0,0,1]
	v_mul_f32_e32 v172, v173, v166
	s_delay_alu instid0(VALU_DEP_3) | instskip(NEXT) | instid1(VALU_DEP_2)
	v_pk_add_f32 v[130:131], v[130:131], v[176:177] neg_lo:[0,1] neg_hi:[0,1]
	v_pk_fma_f32 v[170:171], v[170:171], v[38:39], v[172:173] op_sel_hi:[1,1,0]
	s_delay_alu instid0(VALU_DEP_1) | instskip(SKIP_4) | instid1(VALU_DEP_1)
	v_mov_b32_e32 v175, v171
	ds_load_2addr_b64 v[170:173], v220 offset0:24 offset1:25
	v_pk_add_f32 v[126:127], v[126:127], v[174:175] neg_lo:[0,1] neg_hi:[0,1]
	s_wait_dscnt 0x0
	v_pk_mul_f32 v[174:175], v[170:171], v[168:169] op_sel:[0,1]
	v_pk_fma_f32 v[176:177], v[170:171], v[166:167], v[174:175] op_sel:[0,0,1] op_sel_hi:[1,1,0] neg_lo:[0,0,1] neg_hi:[0,0,1]
	v_pk_fma_f32 v[170:171], v[170:171], v[166:167], v[174:175] op_sel:[0,0,1] op_sel_hi:[1,0,0]
	s_delay_alu instid0(VALU_DEP_1) | instskip(SKIP_1) | instid1(VALU_DEP_1)
	v_mov_b32_e32 v177, v171
	v_pk_mul_f32 v[170:171], v[172:173], v[168:169] op_sel:[0,1]
	v_pk_fma_f32 v[174:175], v[172:173], v[166:167], v[170:171] op_sel:[0,0,1] op_sel_hi:[1,1,0] neg_lo:[0,0,1] neg_hi:[0,0,1]
	v_pk_fma_f32 v[170:171], v[172:173], v[166:167], v[170:171] op_sel:[0,0,1] op_sel_hi:[1,0,0]
	s_delay_alu instid0(VALU_DEP_1)
	v_mov_b32_e32 v175, v171
	ds_load_2addr_b64 v[170:173], v220 offset0:26 offset1:27
	v_pk_add_f32 v[144:145], v[144:145], v[176:177] neg_lo:[0,1] neg_hi:[0,1]
	v_pk_add_f32 v[138:139], v[138:139], v[174:175] neg_lo:[0,1] neg_hi:[0,1]
	s_wait_dscnt 0x0
	v_pk_mul_f32 v[174:175], v[170:171], v[168:169] op_sel:[0,1]
	s_delay_alu instid0(VALU_DEP_1) | instskip(SKIP_1) | instid1(VALU_DEP_1)
	v_pk_fma_f32 v[176:177], v[170:171], v[166:167], v[174:175] op_sel:[0,0,1] op_sel_hi:[1,1,0] neg_lo:[0,0,1] neg_hi:[0,0,1]
	v_pk_fma_f32 v[170:171], v[170:171], v[166:167], v[174:175] op_sel:[0,0,1] op_sel_hi:[1,0,0]
	v_mov_b32_e32 v177, v171
	v_pk_mul_f32 v[170:171], v[172:173], v[168:169] op_sel:[0,1]
	s_delay_alu instid0(VALU_DEP_1) | instskip(SKIP_1) | instid1(VALU_DEP_1)
	v_pk_fma_f32 v[174:175], v[172:173], v[166:167], v[170:171] op_sel:[0,0,1] op_sel_hi:[1,1,0] neg_lo:[0,0,1] neg_hi:[0,0,1]
	v_pk_fma_f32 v[170:171], v[172:173], v[166:167], v[170:171] op_sel:[0,0,1] op_sel_hi:[1,0,0]
	v_mov_b32_e32 v175, v171
	ds_load_2addr_b64 v[170:173], v220 offset0:28 offset1:29
	v_pk_add_f32 v[140:141], v[140:141], v[176:177] neg_lo:[0,1] neg_hi:[0,1]
	v_pk_add_f32 v[98:99], v[98:99], v[174:175] neg_lo:[0,1] neg_hi:[0,1]
	s_wait_dscnt 0x0
	v_dual_mul_f32 v174, v171, v169 :: v_dual_mul_f32 v176, v171, v166
	s_delay_alu instid0(VALU_DEP_1) | instskip(NEXT) | instid1(VALU_DEP_2)
	v_pk_fma_f32 v[174:175], v[170:171], v[38:39], v[174:175] op_sel_hi:[1,1,0] neg_lo:[0,0,1] neg_hi:[0,0,1]
	v_pk_fma_f32 v[170:171], v[170:171], v[38:39], v[176:177] op_sel:[1,0,0] op_sel_hi:[0,1,0]
	s_delay_alu instid0(VALU_DEP_1) | instskip(SKIP_1) | instid1(VALU_DEP_2)
	v_mov_b32_e32 v175, v171
	v_pk_mul_f32 v[170:171], v[172:173], v[168:169] op_sel:[0,1]
	v_pk_add_f32 v[124:125], v[124:125], v[174:175] neg_lo:[0,1] neg_hi:[0,1]
	s_delay_alu instid0(VALU_DEP_2) | instskip(SKIP_1) | instid1(VALU_DEP_1)
	v_pk_fma_f32 v[174:175], v[172:173], v[166:167], v[170:171] op_sel:[0,0,1] op_sel_hi:[1,1,0] neg_lo:[0,0,1] neg_hi:[0,0,1]
	v_pk_fma_f32 v[170:171], v[172:173], v[166:167], v[170:171] op_sel:[0,0,1] op_sel_hi:[1,0,0]
	v_mov_b32_e32 v175, v171
	ds_load_2addr_b64 v[170:173], v220 offset0:30 offset1:31
	v_pk_add_f32 v[120:121], v[120:121], v[174:175] neg_lo:[0,1] neg_hi:[0,1]
	s_wait_dscnt 0x0
	v_pk_mul_f32 v[174:175], v[170:171], v[168:169] op_sel:[0,1]
	s_delay_alu instid0(VALU_DEP_1) | instskip(SKIP_1) | instid1(VALU_DEP_1)
	v_pk_fma_f32 v[176:177], v[170:171], v[166:167], v[174:175] op_sel:[0,0,1] op_sel_hi:[1,1,0] neg_lo:[0,0,1] neg_hi:[0,0,1]
	v_pk_fma_f32 v[170:171], v[170:171], v[166:167], v[174:175] op_sel:[0,0,1] op_sel_hi:[1,0,0]
	v_mov_b32_e32 v177, v171
	v_pk_mul_f32 v[170:171], v[172:173], v[168:169] op_sel:[0,1]
	s_delay_alu instid0(VALU_DEP_2) | instskip(NEXT) | instid1(VALU_DEP_2)
	v_pk_add_f32 v[122:123], v[122:123], v[176:177] neg_lo:[0,1] neg_hi:[0,1]
	v_pk_fma_f32 v[174:175], v[172:173], v[166:167], v[170:171] op_sel:[0,0,1] op_sel_hi:[1,1,0] neg_lo:[0,0,1] neg_hi:[0,0,1]
	v_pk_fma_f32 v[170:171], v[172:173], v[166:167], v[170:171] op_sel:[0,0,1] op_sel_hi:[1,0,0]
	s_delay_alu instid0(VALU_DEP_1) | instskip(SKIP_4) | instid1(VALU_DEP_1)
	v_mov_b32_e32 v175, v171
	ds_load_2addr_b64 v[170:173], v220 offset0:32 offset1:33
	v_pk_add_f32 v[118:119], v[118:119], v[174:175] neg_lo:[0,1] neg_hi:[0,1]
	s_wait_dscnt 0x0
	v_pk_mul_f32 v[174:175], v[170:171], v[168:169] op_sel:[0,1]
	v_pk_fma_f32 v[176:177], v[170:171], v[166:167], v[174:175] op_sel:[0,0,1] op_sel_hi:[1,1,0] neg_lo:[0,0,1] neg_hi:[0,0,1]
	v_pk_fma_f32 v[170:171], v[170:171], v[166:167], v[174:175] op_sel:[0,0,1] op_sel_hi:[1,0,0]
	v_dual_mul_f32 v174, v173, v169 :: v_dual_mov_b32 v170, v173
	s_delay_alu instid0(VALU_DEP_2) | instskip(NEXT) | instid1(VALU_DEP_2)
	v_dual_mov_b32 v177, v171 :: v_dual_mov_b32 v171, v172
	v_pk_fma_f32 v[174:175], v[172:173], v[38:39], v[174:175] op_sel_hi:[1,1,0] neg_lo:[0,0,1] neg_hi:[0,0,1]
	v_mul_f32_e32 v172, v173, v166
	s_delay_alu instid0(VALU_DEP_3) | instskip(NEXT) | instid1(VALU_DEP_2)
	v_pk_add_f32 v[136:137], v[136:137], v[176:177] neg_lo:[0,1] neg_hi:[0,1]
	v_pk_fma_f32 v[170:171], v[170:171], v[38:39], v[172:173] op_sel_hi:[1,1,0]
	s_delay_alu instid0(VALU_DEP_1)
	v_mov_b32_e32 v175, v171
	ds_load_2addr_b64 v[170:173], v220 offset0:34 offset1:35
	v_pk_add_f32 v[134:135], v[134:135], v[174:175] neg_lo:[0,1] neg_hi:[0,1]
	s_wait_dscnt 0x0
	v_pk_mul_f32 v[174:175], v[170:171], v[168:169] op_sel:[0,1]
	v_pk_mul_f32 v[168:169], v[172:173], v[168:169] op_sel:[0,1]
	s_delay_alu instid0(VALU_DEP_2) | instskip(SKIP_1) | instid1(VALU_DEP_1)
	v_pk_fma_f32 v[176:177], v[170:171], v[166:167], v[174:175] op_sel:[0,0,1] op_sel_hi:[1,1,0] neg_lo:[0,0,1] neg_hi:[0,0,1]
	v_pk_fma_f32 v[170:171], v[170:171], v[166:167], v[174:175] op_sel:[0,0,1] op_sel_hi:[1,0,0]
	v_mov_b32_e32 v177, v171
	s_delay_alu instid0(VALU_DEP_4) | instskip(SKIP_1) | instid1(VALU_DEP_1)
	v_pk_fma_f32 v[170:171], v[172:173], v[166:167], v[168:169] op_sel:[0,0,1] op_sel_hi:[1,1,0] neg_lo:[0,0,1] neg_hi:[0,0,1]
	v_pk_fma_f32 v[166:167], v[172:173], v[166:167], v[168:169] op_sel:[0,0,1] op_sel_hi:[1,0,0]
	v_mov_b32_e32 v171, v167
	s_delay_alu instid0(VALU_DEP_4) | instskip(NEXT) | instid1(VALU_DEP_2)
	v_pk_add_f32 v[132:133], v[132:133], v[176:177] neg_lo:[0,1] neg_hi:[0,1]
	v_pk_add_f32 v[142:143], v[142:143], v[170:171] neg_lo:[0,1] neg_hi:[0,1]
.LBB71_91:
	s_or_b32 exec_lo, exec_lo, s1
	s_delay_alu instid0(SALU_CYCLE_1)
	s_mov_b32 s2, exec_lo
	s_wait_dscnt 0x0
	s_barrier_signal -1
	s_barrier_wait -1
	v_cmpx_eq_u32_e32 10, v218
	s_cbranch_execz .LBB71_98
; %bb.92:
	ds_store_b64 v219, v[40:41]
	ds_store_2addr_b64 v220, v[36:37], v[62:63] offset0:11 offset1:12
	ds_store_2addr_b64 v220, v[58:59], v[60:61] offset0:13 offset1:14
	;; [unrolled: 1-line block ×12, first 2 shown]
	ds_store_b64 v220, v[142:143] offset:280
	ds_load_b64 v[166:167], v219
	s_wait_dscnt 0x0
	v_cmp_neq_f32_e32 vcc_lo, 0, v166
	v_cmp_neq_f32_e64 s1, 0, v167
	s_or_b32 s1, vcc_lo, s1
	s_delay_alu instid0(SALU_CYCLE_1)
	s_and_b32 exec_lo, exec_lo, s1
	s_cbranch_execz .LBB71_98
; %bb.93:
	v_cmp_ngt_f32_e64 s1, |v166|, |v167|
                                        ; implicit-def: $vgpr168_vgpr169
	s_and_saveexec_b32 s4, s1
	s_delay_alu instid0(SALU_CYCLE_1)
	s_xor_b32 s1, exec_lo, s4
	s_cbranch_execz .LBB71_95
; %bb.94:
	v_div_scale_f32 v168, null, v167, v167, v166
	v_div_scale_f32 v171, vcc_lo, v166, v167, v166
	s_delay_alu instid0(VALU_DEP_2) | instskip(SKIP_1) | instid1(TRANS32_DEP_1)
	v_rcp_f32_e32 v169, v168
	v_nop
	v_fma_f32 v170, -v168, v169, 1.0
	s_delay_alu instid0(VALU_DEP_1) | instskip(NEXT) | instid1(VALU_DEP_1)
	v_fmac_f32_e32 v169, v170, v169
	v_mul_f32_e32 v170, v171, v169
	s_delay_alu instid0(VALU_DEP_1) | instskip(NEXT) | instid1(VALU_DEP_1)
	v_fma_f32 v172, -v168, v170, v171
	v_fmac_f32_e32 v170, v172, v169
	s_delay_alu instid0(VALU_DEP_1) | instskip(NEXT) | instid1(VALU_DEP_1)
	v_fma_f32 v168, -v168, v170, v171
	v_div_fmas_f32 v168, v168, v169, v170
	s_delay_alu instid0(VALU_DEP_1) | instskip(NEXT) | instid1(VALU_DEP_1)
	v_div_fixup_f32 v168, v168, v167, v166
	v_fmac_f32_e32 v167, v166, v168
	s_delay_alu instid0(VALU_DEP_1) | instskip(SKIP_1) | instid1(VALU_DEP_2)
	v_div_scale_f32 v166, null, v167, v167, 1.0
	v_div_scale_f32 v171, vcc_lo, 1.0, v167, 1.0
	v_rcp_f32_e32 v169, v166
	v_nop
	s_delay_alu instid0(TRANS32_DEP_1) | instskip(NEXT) | instid1(VALU_DEP_1)
	v_fma_f32 v170, -v166, v169, 1.0
	v_fmac_f32_e32 v169, v170, v169
	s_delay_alu instid0(VALU_DEP_1) | instskip(NEXT) | instid1(VALU_DEP_1)
	v_mul_f32_e32 v170, v171, v169
	v_fma_f32 v172, -v166, v170, v171
	s_delay_alu instid0(VALU_DEP_1) | instskip(NEXT) | instid1(VALU_DEP_1)
	v_fmac_f32_e32 v170, v172, v169
	v_fma_f32 v166, -v166, v170, v171
	s_delay_alu instid0(VALU_DEP_1) | instskip(NEXT) | instid1(VALU_DEP_1)
	v_div_fmas_f32 v166, v166, v169, v170
	v_div_fixup_f32 v166, v166, v167, 1.0
	s_delay_alu instid0(VALU_DEP_1)
	v_mul_f32_e32 v168, v168, v166
	v_xor_b32_e32 v169, 0x80000000, v166
                                        ; implicit-def: $vgpr166_vgpr167
.LBB71_95:
	s_and_not1_saveexec_b32 s1, s1
	s_cbranch_execz .LBB71_97
; %bb.96:
	v_div_scale_f32 v168, null, v166, v166, v167
	v_div_scale_f32 v171, vcc_lo, v167, v166, v167
	s_delay_alu instid0(VALU_DEP_2) | instskip(SKIP_1) | instid1(TRANS32_DEP_1)
	v_rcp_f32_e32 v169, v168
	v_nop
	v_fma_f32 v170, -v168, v169, 1.0
	s_delay_alu instid0(VALU_DEP_1) | instskip(NEXT) | instid1(VALU_DEP_1)
	v_fmac_f32_e32 v169, v170, v169
	v_mul_f32_e32 v170, v171, v169
	s_delay_alu instid0(VALU_DEP_1) | instskip(NEXT) | instid1(VALU_DEP_1)
	v_fma_f32 v172, -v168, v170, v171
	v_fmac_f32_e32 v170, v172, v169
	s_delay_alu instid0(VALU_DEP_1) | instskip(NEXT) | instid1(VALU_DEP_1)
	v_fma_f32 v168, -v168, v170, v171
	v_div_fmas_f32 v168, v168, v169, v170
	s_delay_alu instid0(VALU_DEP_1) | instskip(NEXT) | instid1(VALU_DEP_1)
	v_div_fixup_f32 v169, v168, v166, v167
	v_fmac_f32_e32 v166, v167, v169
	s_delay_alu instid0(VALU_DEP_1) | instskip(NEXT) | instid1(VALU_DEP_1)
	v_div_scale_f32 v167, null, v166, v166, 1.0
	v_rcp_f32_e32 v168, v167
	v_nop
	s_delay_alu instid0(TRANS32_DEP_1) | instskip(NEXT) | instid1(VALU_DEP_1)
	v_fma_f32 v170, -v167, v168, 1.0
	v_fmac_f32_e32 v168, v170, v168
	v_div_scale_f32 v170, vcc_lo, 1.0, v166, 1.0
	s_delay_alu instid0(VALU_DEP_1) | instskip(NEXT) | instid1(VALU_DEP_1)
	v_mul_f32_e32 v171, v170, v168
	v_fma_f32 v172, -v167, v171, v170
	s_delay_alu instid0(VALU_DEP_1) | instskip(NEXT) | instid1(VALU_DEP_1)
	v_fmac_f32_e32 v171, v172, v168
	v_fma_f32 v167, -v167, v171, v170
	s_delay_alu instid0(VALU_DEP_1) | instskip(NEXT) | instid1(VALU_DEP_1)
	v_div_fmas_f32 v167, v167, v168, v171
	v_div_fixup_f32 v168, v167, v166, 1.0
	s_delay_alu instid0(VALU_DEP_1)
	v_mul_f32_e64 v169, v169, -v168
.LBB71_97:
	s_or_b32 exec_lo, exec_lo, s1
	ds_store_b64 v219, v[168:169]
.LBB71_98:
	s_or_b32 exec_lo, exec_lo, s2
	s_wait_dscnt 0x0
	s_barrier_signal -1
	s_barrier_wait -1
	ds_load_b64 v[166:167], v219
	s_mov_b32 s1, exec_lo
	v_cmpx_lt_u32_e32 10, v218
	s_cbranch_execz .LBB71_100
; %bb.99:
	ds_load_2addr_b64 v[172:175], v220 offset0:11 offset1:12
	s_wait_dscnt 0x1
	v_pk_mul_f32 v[170:171], v[166:167], v[40:41] op_sel:[1,1] op_sel_hi:[0,1]
	s_delay_alu instid0(VALU_DEP_1) | instskip(SKIP_1) | instid1(VALU_DEP_1)
	v_pk_fma_f32 v[168:169], v[166:167], v[40:41], v[170:171] op_sel_hi:[1,0,1] neg_lo:[0,0,1] neg_hi:[0,0,1]
	v_pk_fma_f32 v[170:171], v[166:167], v[40:41], v[170:171] op_sel_hi:[1,0,1]
	v_dual_mov_b32 v40, v168 :: v_dual_mov_b32 v41, v171
	s_wait_dscnt 0x0
	s_delay_alu instid0(VALU_DEP_2) | instskip(NEXT) | instid1(VALU_DEP_1)
	v_pk_mul_f32 v[176:177], v[172:173], v[170:171] op_sel:[0,1]
	v_pk_fma_f32 v[178:179], v[172:173], v[168:169], v[176:177] op_sel:[0,0,1] op_sel_hi:[1,1,0] neg_lo:[0,0,1] neg_hi:[0,0,1]
	v_pk_fma_f32 v[172:173], v[172:173], v[168:169], v[176:177] op_sel:[0,0,1] op_sel_hi:[1,0,0]
	s_delay_alu instid0(VALU_DEP_1) | instskip(SKIP_1) | instid1(VALU_DEP_1)
	v_mov_b32_e32 v179, v173
	v_pk_mul_f32 v[172:173], v[174:175], v[170:171] op_sel:[0,1]
	v_pk_fma_f32 v[176:177], v[174:175], v[168:169], v[172:173] op_sel:[0,0,1] op_sel_hi:[1,1,0] neg_lo:[0,0,1] neg_hi:[0,0,1]
	v_pk_fma_f32 v[172:173], v[174:175], v[168:169], v[172:173] op_sel:[0,0,1] op_sel_hi:[1,0,0]
	s_delay_alu instid0(VALU_DEP_1)
	v_mov_b32_e32 v177, v173
	ds_load_2addr_b64 v[172:175], v220 offset0:13 offset1:14
	v_pk_add_f32 v[36:37], v[36:37], v[178:179] neg_lo:[0,1] neg_hi:[0,1]
	v_pk_add_f32 v[62:63], v[62:63], v[176:177] neg_lo:[0,1] neg_hi:[0,1]
	s_wait_dscnt 0x0
	v_pk_mul_f32 v[176:177], v[172:173], v[170:171] op_sel:[0,1]
	s_delay_alu instid0(VALU_DEP_1) | instskip(SKIP_2) | instid1(VALU_DEP_2)
	v_pk_fma_f32 v[178:179], v[172:173], v[168:169], v[176:177] op_sel:[0,0,1] op_sel_hi:[1,1,0] neg_lo:[0,0,1] neg_hi:[0,0,1]
	v_pk_fma_f32 v[172:173], v[172:173], v[168:169], v[176:177] op_sel:[0,0,1] op_sel_hi:[1,0,0]
	v_dual_mul_f32 v176, v175, v171 :: v_dual_mov_b32 v172, v175
	v_dual_mov_b32 v179, v173 :: v_dual_mov_b32 v173, v174
	s_delay_alu instid0(VALU_DEP_2) | instskip(SKIP_1) | instid1(VALU_DEP_3)
	v_pk_fma_f32 v[176:177], v[174:175], v[40:41], v[176:177] op_sel_hi:[1,1,0] neg_lo:[0,0,1] neg_hi:[0,0,1]
	v_mul_f32_e32 v174, v175, v168
	v_pk_add_f32 v[58:59], v[58:59], v[178:179] neg_lo:[0,1] neg_hi:[0,1]
	s_delay_alu instid0(VALU_DEP_2) | instskip(NEXT) | instid1(VALU_DEP_1)
	v_pk_fma_f32 v[172:173], v[172:173], v[40:41], v[174:175] op_sel_hi:[1,1,0]
	v_mov_b32_e32 v177, v173
	ds_load_2addr_b64 v[172:175], v220 offset0:15 offset1:16
	v_pk_add_f32 v[60:61], v[60:61], v[176:177] neg_lo:[0,1] neg_hi:[0,1]
	s_wait_dscnt 0x0
	v_pk_mul_f32 v[176:177], v[172:173], v[170:171] op_sel:[0,1]
	s_delay_alu instid0(VALU_DEP_1) | instskip(SKIP_1) | instid1(VALU_DEP_1)
	v_pk_fma_f32 v[178:179], v[172:173], v[168:169], v[176:177] op_sel:[0,0,1] op_sel_hi:[1,1,0] neg_lo:[0,0,1] neg_hi:[0,0,1]
	v_pk_fma_f32 v[172:173], v[172:173], v[168:169], v[176:177] op_sel:[0,0,1] op_sel_hi:[1,0,0]
	v_mov_b32_e32 v179, v173
	v_pk_mul_f32 v[172:173], v[174:175], v[170:171] op_sel:[0,1]
	s_delay_alu instid0(VALU_DEP_1) | instskip(SKIP_1) | instid1(VALU_DEP_1)
	v_pk_fma_f32 v[176:177], v[174:175], v[168:169], v[172:173] op_sel:[0,0,1] op_sel_hi:[1,1,0] neg_lo:[0,0,1] neg_hi:[0,0,1]
	v_pk_fma_f32 v[172:173], v[174:175], v[168:169], v[172:173] op_sel:[0,0,1] op_sel_hi:[1,0,0]
	v_mov_b32_e32 v177, v173
	ds_load_2addr_b64 v[172:175], v220 offset0:17 offset1:18
	v_pk_add_f32 v[92:93], v[92:93], v[178:179] neg_lo:[0,1] neg_hi:[0,1]
	v_pk_add_f32 v[90:91], v[90:91], v[176:177] neg_lo:[0,1] neg_hi:[0,1]
	s_wait_dscnt 0x0
	v_pk_mul_f32 v[176:177], v[172:173], v[170:171] op_sel:[0,1]
	s_delay_alu instid0(VALU_DEP_1) | instskip(SKIP_1) | instid1(VALU_DEP_1)
	v_pk_fma_f32 v[178:179], v[172:173], v[168:169], v[176:177] op_sel:[0,0,1] op_sel_hi:[1,1,0] neg_lo:[0,0,1] neg_hi:[0,0,1]
	v_pk_fma_f32 v[172:173], v[172:173], v[168:169], v[176:177] op_sel:[0,0,1] op_sel_hi:[1,0,0]
	v_mov_b32_e32 v179, v173
	v_pk_mul_f32 v[172:173], v[174:175], v[170:171] op_sel:[0,1]
	s_delay_alu instid0(VALU_DEP_1) | instskip(SKIP_1) | instid1(VALU_DEP_1)
	v_pk_fma_f32 v[176:177], v[174:175], v[168:169], v[172:173] op_sel:[0,0,1] op_sel_hi:[1,1,0] neg_lo:[0,0,1] neg_hi:[0,0,1]
	v_pk_fma_f32 v[172:173], v[174:175], v[168:169], v[172:173] op_sel:[0,0,1] op_sel_hi:[1,0,0]
	v_mov_b32_e32 v177, v173
	ds_load_2addr_b64 v[172:175], v220 offset0:19 offset1:20
	v_pk_add_f32 v[114:115], v[114:115], v[178:179] neg_lo:[0,1] neg_hi:[0,1]
	v_pk_add_f32 v[116:117], v[116:117], v[176:177] neg_lo:[0,1] neg_hi:[0,1]
	s_wait_dscnt 0x0
	v_dual_mul_f32 v176, v173, v171 :: v_dual_mul_f32 v178, v173, v168
	s_delay_alu instid0(VALU_DEP_1) | instskip(NEXT) | instid1(VALU_DEP_2)
	v_pk_fma_f32 v[176:177], v[172:173], v[40:41], v[176:177] op_sel_hi:[1,1,0] neg_lo:[0,0,1] neg_hi:[0,0,1]
	v_pk_fma_f32 v[172:173], v[172:173], v[40:41], v[178:179] op_sel:[1,0,0] op_sel_hi:[0,1,0]
	s_delay_alu instid0(VALU_DEP_1) | instskip(SKIP_1) | instid1(VALU_DEP_2)
	v_mov_b32_e32 v177, v173
	v_pk_mul_f32 v[172:173], v[174:175], v[170:171] op_sel:[0,1]
	v_pk_add_f32 v[112:113], v[112:113], v[176:177] neg_lo:[0,1] neg_hi:[0,1]
	s_delay_alu instid0(VALU_DEP_2) | instskip(SKIP_1) | instid1(VALU_DEP_1)
	v_pk_fma_f32 v[176:177], v[174:175], v[168:169], v[172:173] op_sel:[0,0,1] op_sel_hi:[1,1,0] neg_lo:[0,0,1] neg_hi:[0,0,1]
	v_pk_fma_f32 v[172:173], v[174:175], v[168:169], v[172:173] op_sel:[0,0,1] op_sel_hi:[1,0,0]
	v_mov_b32_e32 v177, v173
	ds_load_2addr_b64 v[172:175], v220 offset0:21 offset1:22
	v_pk_add_f32 v[102:103], v[102:103], v[176:177] neg_lo:[0,1] neg_hi:[0,1]
	s_wait_dscnt 0x0
	v_pk_mul_f32 v[176:177], v[172:173], v[170:171] op_sel:[0,1]
	s_delay_alu instid0(VALU_DEP_1) | instskip(SKIP_1) | instid1(VALU_DEP_1)
	v_pk_fma_f32 v[178:179], v[172:173], v[168:169], v[176:177] op_sel:[0,0,1] op_sel_hi:[1,1,0] neg_lo:[0,0,1] neg_hi:[0,0,1]
	v_pk_fma_f32 v[172:173], v[172:173], v[168:169], v[176:177] op_sel:[0,0,1] op_sel_hi:[1,0,0]
	v_mov_b32_e32 v179, v173
	v_pk_mul_f32 v[172:173], v[174:175], v[170:171] op_sel:[0,1]
	s_delay_alu instid0(VALU_DEP_2) | instskip(NEXT) | instid1(VALU_DEP_2)
	v_pk_add_f32 v[128:129], v[128:129], v[178:179] neg_lo:[0,1] neg_hi:[0,1]
	v_pk_fma_f32 v[176:177], v[174:175], v[168:169], v[172:173] op_sel:[0,0,1] op_sel_hi:[1,1,0] neg_lo:[0,0,1] neg_hi:[0,0,1]
	v_pk_fma_f32 v[172:173], v[174:175], v[168:169], v[172:173] op_sel:[0,0,1] op_sel_hi:[1,0,0]
	s_delay_alu instid0(VALU_DEP_1) | instskip(SKIP_4) | instid1(VALU_DEP_1)
	v_mov_b32_e32 v177, v173
	ds_load_2addr_b64 v[172:175], v220 offset0:23 offset1:24
	v_pk_add_f32 v[130:131], v[130:131], v[176:177] neg_lo:[0,1] neg_hi:[0,1]
	s_wait_dscnt 0x0
	v_pk_mul_f32 v[176:177], v[172:173], v[170:171] op_sel:[0,1]
	v_pk_fma_f32 v[178:179], v[172:173], v[168:169], v[176:177] op_sel:[0,0,1] op_sel_hi:[1,1,0] neg_lo:[0,0,1] neg_hi:[0,0,1]
	v_pk_fma_f32 v[172:173], v[172:173], v[168:169], v[176:177] op_sel:[0,0,1] op_sel_hi:[1,0,0]
	v_dual_mul_f32 v176, v175, v171 :: v_dual_mov_b32 v172, v175
	s_delay_alu instid0(VALU_DEP_2) | instskip(NEXT) | instid1(VALU_DEP_2)
	v_dual_mov_b32 v179, v173 :: v_dual_mov_b32 v173, v174
	v_pk_fma_f32 v[176:177], v[174:175], v[40:41], v[176:177] op_sel_hi:[1,1,0] neg_lo:[0,0,1] neg_hi:[0,0,1]
	v_mul_f32_e32 v174, v175, v168
	s_delay_alu instid0(VALU_DEP_3) | instskip(NEXT) | instid1(VALU_DEP_2)
	v_pk_add_f32 v[126:127], v[126:127], v[178:179] neg_lo:[0,1] neg_hi:[0,1]
	v_pk_fma_f32 v[172:173], v[172:173], v[40:41], v[174:175] op_sel_hi:[1,1,0]
	s_delay_alu instid0(VALU_DEP_1) | instskip(SKIP_4) | instid1(VALU_DEP_1)
	v_mov_b32_e32 v177, v173
	ds_load_2addr_b64 v[172:175], v220 offset0:25 offset1:26
	v_pk_add_f32 v[144:145], v[144:145], v[176:177] neg_lo:[0,1] neg_hi:[0,1]
	s_wait_dscnt 0x0
	v_pk_mul_f32 v[176:177], v[172:173], v[170:171] op_sel:[0,1]
	v_pk_fma_f32 v[178:179], v[172:173], v[168:169], v[176:177] op_sel:[0,0,1] op_sel_hi:[1,1,0] neg_lo:[0,0,1] neg_hi:[0,0,1]
	v_pk_fma_f32 v[172:173], v[172:173], v[168:169], v[176:177] op_sel:[0,0,1] op_sel_hi:[1,0,0]
	s_delay_alu instid0(VALU_DEP_1) | instskip(SKIP_1) | instid1(VALU_DEP_1)
	v_mov_b32_e32 v179, v173
	v_pk_mul_f32 v[172:173], v[174:175], v[170:171] op_sel:[0,1]
	v_pk_fma_f32 v[176:177], v[174:175], v[168:169], v[172:173] op_sel:[0,0,1] op_sel_hi:[1,1,0] neg_lo:[0,0,1] neg_hi:[0,0,1]
	v_pk_fma_f32 v[172:173], v[174:175], v[168:169], v[172:173] op_sel:[0,0,1] op_sel_hi:[1,0,0]
	s_delay_alu instid0(VALU_DEP_1)
	v_mov_b32_e32 v177, v173
	ds_load_2addr_b64 v[172:175], v220 offset0:27 offset1:28
	v_pk_add_f32 v[138:139], v[138:139], v[178:179] neg_lo:[0,1] neg_hi:[0,1]
	v_pk_add_f32 v[140:141], v[140:141], v[176:177] neg_lo:[0,1] neg_hi:[0,1]
	s_wait_dscnt 0x0
	v_pk_mul_f32 v[176:177], v[172:173], v[170:171] op_sel:[0,1]
	s_delay_alu instid0(VALU_DEP_1) | instskip(SKIP_1) | instid1(VALU_DEP_1)
	v_pk_fma_f32 v[178:179], v[172:173], v[168:169], v[176:177] op_sel:[0,0,1] op_sel_hi:[1,1,0] neg_lo:[0,0,1] neg_hi:[0,0,1]
	v_pk_fma_f32 v[172:173], v[172:173], v[168:169], v[176:177] op_sel:[0,0,1] op_sel_hi:[1,0,0]
	v_mov_b32_e32 v179, v173
	v_pk_mul_f32 v[172:173], v[174:175], v[170:171] op_sel:[0,1]
	s_delay_alu instid0(VALU_DEP_1) | instskip(SKIP_1) | instid1(VALU_DEP_1)
	v_pk_fma_f32 v[176:177], v[174:175], v[168:169], v[172:173] op_sel:[0,0,1] op_sel_hi:[1,1,0] neg_lo:[0,0,1] neg_hi:[0,0,1]
	v_pk_fma_f32 v[172:173], v[174:175], v[168:169], v[172:173] op_sel:[0,0,1] op_sel_hi:[1,0,0]
	v_mov_b32_e32 v177, v173
	ds_load_2addr_b64 v[172:175], v220 offset0:29 offset1:30
	v_pk_add_f32 v[98:99], v[98:99], v[178:179] neg_lo:[0,1] neg_hi:[0,1]
	v_pk_add_f32 v[124:125], v[124:125], v[176:177] neg_lo:[0,1] neg_hi:[0,1]
	s_wait_dscnt 0x0
	v_dual_mul_f32 v176, v173, v171 :: v_dual_mul_f32 v178, v173, v168
	s_delay_alu instid0(VALU_DEP_1) | instskip(NEXT) | instid1(VALU_DEP_2)
	v_pk_fma_f32 v[176:177], v[172:173], v[40:41], v[176:177] op_sel_hi:[1,1,0] neg_lo:[0,0,1] neg_hi:[0,0,1]
	v_pk_fma_f32 v[172:173], v[172:173], v[40:41], v[178:179] op_sel:[1,0,0] op_sel_hi:[0,1,0]
	s_delay_alu instid0(VALU_DEP_1) | instskip(SKIP_1) | instid1(VALU_DEP_2)
	v_mov_b32_e32 v177, v173
	v_pk_mul_f32 v[172:173], v[174:175], v[170:171] op_sel:[0,1]
	v_pk_add_f32 v[120:121], v[120:121], v[176:177] neg_lo:[0,1] neg_hi:[0,1]
	s_delay_alu instid0(VALU_DEP_2) | instskip(SKIP_1) | instid1(VALU_DEP_1)
	v_pk_fma_f32 v[176:177], v[174:175], v[168:169], v[172:173] op_sel:[0,0,1] op_sel_hi:[1,1,0] neg_lo:[0,0,1] neg_hi:[0,0,1]
	v_pk_fma_f32 v[172:173], v[174:175], v[168:169], v[172:173] op_sel:[0,0,1] op_sel_hi:[1,0,0]
	v_mov_b32_e32 v177, v173
	ds_load_2addr_b64 v[172:175], v220 offset0:31 offset1:32
	v_pk_add_f32 v[122:123], v[122:123], v[176:177] neg_lo:[0,1] neg_hi:[0,1]
	s_wait_dscnt 0x0
	v_pk_mul_f32 v[176:177], v[172:173], v[170:171] op_sel:[0,1]
	s_delay_alu instid0(VALU_DEP_1) | instskip(SKIP_1) | instid1(VALU_DEP_1)
	v_pk_fma_f32 v[178:179], v[172:173], v[168:169], v[176:177] op_sel:[0,0,1] op_sel_hi:[1,1,0] neg_lo:[0,0,1] neg_hi:[0,0,1]
	v_pk_fma_f32 v[172:173], v[172:173], v[168:169], v[176:177] op_sel:[0,0,1] op_sel_hi:[1,0,0]
	v_mov_b32_e32 v179, v173
	v_pk_mul_f32 v[172:173], v[174:175], v[170:171] op_sel:[0,1]
	s_delay_alu instid0(VALU_DEP_2) | instskip(NEXT) | instid1(VALU_DEP_2)
	v_pk_add_f32 v[118:119], v[118:119], v[178:179] neg_lo:[0,1] neg_hi:[0,1]
	v_pk_fma_f32 v[176:177], v[174:175], v[168:169], v[172:173] op_sel:[0,0,1] op_sel_hi:[1,1,0] neg_lo:[0,0,1] neg_hi:[0,0,1]
	v_pk_fma_f32 v[172:173], v[174:175], v[168:169], v[172:173] op_sel:[0,0,1] op_sel_hi:[1,0,0]
	s_delay_alu instid0(VALU_DEP_1) | instskip(SKIP_4) | instid1(VALU_DEP_1)
	v_mov_b32_e32 v177, v173
	ds_load_2addr_b64 v[172:175], v220 offset0:33 offset1:34
	v_pk_add_f32 v[136:137], v[136:137], v[176:177] neg_lo:[0,1] neg_hi:[0,1]
	s_wait_dscnt 0x0
	v_pk_mul_f32 v[176:177], v[172:173], v[170:171] op_sel:[0,1]
	v_pk_fma_f32 v[178:179], v[172:173], v[168:169], v[176:177] op_sel:[0,0,1] op_sel_hi:[1,1,0] neg_lo:[0,0,1] neg_hi:[0,0,1]
	v_pk_fma_f32 v[172:173], v[172:173], v[168:169], v[176:177] op_sel:[0,0,1] op_sel_hi:[1,0,0]
	v_dual_mul_f32 v176, v175, v171 :: v_dual_mov_b32 v172, v175
	s_delay_alu instid0(VALU_DEP_2) | instskip(NEXT) | instid1(VALU_DEP_2)
	v_dual_mov_b32 v179, v173 :: v_dual_mov_b32 v173, v174
	v_pk_fma_f32 v[176:177], v[174:175], v[40:41], v[176:177] op_sel_hi:[1,1,0] neg_lo:[0,0,1] neg_hi:[0,0,1]
	v_mul_f32_e32 v174, v175, v168
	s_delay_alu instid0(VALU_DEP_3) | instskip(NEXT) | instid1(VALU_DEP_2)
	v_pk_add_f32 v[134:135], v[134:135], v[178:179] neg_lo:[0,1] neg_hi:[0,1]
	v_pk_fma_f32 v[172:173], v[172:173], v[40:41], v[174:175] op_sel_hi:[1,1,0]
	s_delay_alu instid0(VALU_DEP_1) | instskip(SKIP_4) | instid1(VALU_DEP_1)
	v_mov_b32_e32 v177, v173
	ds_load_b64 v[172:173], v220 offset:280
	v_pk_add_f32 v[132:133], v[132:133], v[176:177] neg_lo:[0,1] neg_hi:[0,1]
	s_wait_dscnt 0x0
	v_pk_mul_f32 v[170:171], v[172:173], v[170:171] op_sel:[0,1]
	v_pk_fma_f32 v[174:175], v[172:173], v[168:169], v[170:171] op_sel:[0,0,1] op_sel_hi:[1,1,0] neg_lo:[0,0,1] neg_hi:[0,0,1]
	v_pk_fma_f32 v[168:169], v[172:173], v[168:169], v[170:171] op_sel:[0,0,1] op_sel_hi:[1,0,0]
	s_delay_alu instid0(VALU_DEP_1) | instskip(NEXT) | instid1(VALU_DEP_1)
	v_mov_b32_e32 v175, v169
	v_pk_add_f32 v[142:143], v[142:143], v[174:175] neg_lo:[0,1] neg_hi:[0,1]
.LBB71_100:
	s_or_b32 exec_lo, exec_lo, s1
	s_delay_alu instid0(SALU_CYCLE_1)
	s_mov_b32 s2, exec_lo
	s_wait_dscnt 0x0
	s_barrier_signal -1
	s_barrier_wait -1
	v_cmpx_eq_u32_e32 11, v218
	s_cbranch_execz .LBB71_107
; %bb.101:
	v_dual_mov_b32 v168, v62 :: v_dual_mov_b32 v169, v63
	v_dual_mov_b32 v170, v58 :: v_dual_mov_b32 v171, v59
	ds_store_b64 v219, v[36:37]
	ds_store_2addr_b64 v220, v[168:169], v[170:171] offset0:12 offset1:13
	v_dual_mov_b32 v168, v60 :: v_dual_mov_b32 v169, v61
	v_dual_mov_b32 v170, v92 :: v_dual_mov_b32 v171, v93
	ds_store_2addr_b64 v220, v[168:169], v[170:171] offset0:14 offset1:15
	v_dual_mov_b32 v168, v90 :: v_dual_mov_b32 v169, v91
	v_dual_mov_b32 v170, v114 :: v_dual_mov_b32 v171, v115
	;; [unrolled: 3-line block ×10, first 2 shown]
	ds_store_2addr_b64 v220, v[168:169], v[170:171] offset0:32 offset1:33
	v_dual_mov_b32 v168, v132 :: v_dual_mov_b32 v169, v133
	ds_store_2addr_b64 v220, v[168:169], v[142:143] offset0:34 offset1:35
	ds_load_b64 v[168:169], v219
	s_wait_dscnt 0x0
	v_cmp_neq_f32_e32 vcc_lo, 0, v168
	v_cmp_neq_f32_e64 s1, 0, v169
	s_or_b32 s1, vcc_lo, s1
	s_delay_alu instid0(SALU_CYCLE_1)
	s_and_b32 exec_lo, exec_lo, s1
	s_cbranch_execz .LBB71_107
; %bb.102:
	v_cmp_ngt_f32_e64 s1, |v168|, |v169|
                                        ; implicit-def: $vgpr170_vgpr171
	s_and_saveexec_b32 s4, s1
	s_delay_alu instid0(SALU_CYCLE_1)
	s_xor_b32 s1, exec_lo, s4
	s_cbranch_execz .LBB71_104
; %bb.103:
	v_div_scale_f32 v170, null, v169, v169, v168
	v_div_scale_f32 v173, vcc_lo, v168, v169, v168
	s_delay_alu instid0(VALU_DEP_2) | instskip(SKIP_1) | instid1(TRANS32_DEP_1)
	v_rcp_f32_e32 v171, v170
	v_nop
	v_fma_f32 v172, -v170, v171, 1.0
	s_delay_alu instid0(VALU_DEP_1) | instskip(NEXT) | instid1(VALU_DEP_1)
	v_fmac_f32_e32 v171, v172, v171
	v_mul_f32_e32 v172, v173, v171
	s_delay_alu instid0(VALU_DEP_1) | instskip(NEXT) | instid1(VALU_DEP_1)
	v_fma_f32 v174, -v170, v172, v173
	v_fmac_f32_e32 v172, v174, v171
	s_delay_alu instid0(VALU_DEP_1) | instskip(NEXT) | instid1(VALU_DEP_1)
	v_fma_f32 v170, -v170, v172, v173
	v_div_fmas_f32 v170, v170, v171, v172
	s_delay_alu instid0(VALU_DEP_1) | instskip(NEXT) | instid1(VALU_DEP_1)
	v_div_fixup_f32 v170, v170, v169, v168
	v_fmac_f32_e32 v169, v168, v170
	s_delay_alu instid0(VALU_DEP_1) | instskip(SKIP_1) | instid1(VALU_DEP_2)
	v_div_scale_f32 v168, null, v169, v169, 1.0
	v_div_scale_f32 v173, vcc_lo, 1.0, v169, 1.0
	v_rcp_f32_e32 v171, v168
	v_nop
	s_delay_alu instid0(TRANS32_DEP_1) | instskip(NEXT) | instid1(VALU_DEP_1)
	v_fma_f32 v172, -v168, v171, 1.0
	v_fmac_f32_e32 v171, v172, v171
	s_delay_alu instid0(VALU_DEP_1) | instskip(NEXT) | instid1(VALU_DEP_1)
	v_mul_f32_e32 v172, v173, v171
	v_fma_f32 v174, -v168, v172, v173
	s_delay_alu instid0(VALU_DEP_1) | instskip(NEXT) | instid1(VALU_DEP_1)
	v_fmac_f32_e32 v172, v174, v171
	v_fma_f32 v168, -v168, v172, v173
	s_delay_alu instid0(VALU_DEP_1) | instskip(NEXT) | instid1(VALU_DEP_1)
	v_div_fmas_f32 v168, v168, v171, v172
	v_div_fixup_f32 v168, v168, v169, 1.0
	s_delay_alu instid0(VALU_DEP_1)
	v_mul_f32_e32 v170, v170, v168
	v_xor_b32_e32 v171, 0x80000000, v168
                                        ; implicit-def: $vgpr168_vgpr169
.LBB71_104:
	s_and_not1_saveexec_b32 s1, s1
	s_cbranch_execz .LBB71_106
; %bb.105:
	v_div_scale_f32 v170, null, v168, v168, v169
	v_div_scale_f32 v173, vcc_lo, v169, v168, v169
	s_delay_alu instid0(VALU_DEP_2) | instskip(SKIP_1) | instid1(TRANS32_DEP_1)
	v_rcp_f32_e32 v171, v170
	v_nop
	v_fma_f32 v172, -v170, v171, 1.0
	s_delay_alu instid0(VALU_DEP_1) | instskip(NEXT) | instid1(VALU_DEP_1)
	v_fmac_f32_e32 v171, v172, v171
	v_mul_f32_e32 v172, v173, v171
	s_delay_alu instid0(VALU_DEP_1) | instskip(NEXT) | instid1(VALU_DEP_1)
	v_fma_f32 v174, -v170, v172, v173
	v_fmac_f32_e32 v172, v174, v171
	s_delay_alu instid0(VALU_DEP_1) | instskip(NEXT) | instid1(VALU_DEP_1)
	v_fma_f32 v170, -v170, v172, v173
	v_div_fmas_f32 v170, v170, v171, v172
	s_delay_alu instid0(VALU_DEP_1) | instskip(NEXT) | instid1(VALU_DEP_1)
	v_div_fixup_f32 v171, v170, v168, v169
	v_fmac_f32_e32 v168, v169, v171
	s_delay_alu instid0(VALU_DEP_1) | instskip(NEXT) | instid1(VALU_DEP_1)
	v_div_scale_f32 v169, null, v168, v168, 1.0
	v_rcp_f32_e32 v170, v169
	v_nop
	s_delay_alu instid0(TRANS32_DEP_1) | instskip(NEXT) | instid1(VALU_DEP_1)
	v_fma_f32 v172, -v169, v170, 1.0
	v_fmac_f32_e32 v170, v172, v170
	v_div_scale_f32 v172, vcc_lo, 1.0, v168, 1.0
	s_delay_alu instid0(VALU_DEP_1) | instskip(NEXT) | instid1(VALU_DEP_1)
	v_mul_f32_e32 v173, v172, v170
	v_fma_f32 v174, -v169, v173, v172
	s_delay_alu instid0(VALU_DEP_1) | instskip(NEXT) | instid1(VALU_DEP_1)
	v_fmac_f32_e32 v173, v174, v170
	v_fma_f32 v169, -v169, v173, v172
	s_delay_alu instid0(VALU_DEP_1) | instskip(NEXT) | instid1(VALU_DEP_1)
	v_div_fmas_f32 v169, v169, v170, v173
	v_div_fixup_f32 v170, v169, v168, 1.0
	s_delay_alu instid0(VALU_DEP_1)
	v_mul_f32_e64 v171, v171, -v170
.LBB71_106:
	s_or_b32 exec_lo, exec_lo, s1
	ds_store_b64 v219, v[170:171]
.LBB71_107:
	s_or_b32 exec_lo, exec_lo, s2
	s_wait_dscnt 0x0
	s_barrier_signal -1
	s_barrier_wait -1
	ds_load_b64 v[168:169], v219
	s_mov_b32 s1, exec_lo
	v_cmpx_lt_u32_e32 11, v218
	s_cbranch_execz .LBB71_109
; %bb.108:
	ds_load_2addr_b64 v[174:177], v220 offset0:12 offset1:13
	s_wait_dscnt 0x1
	v_pk_mul_f32 v[172:173], v[168:169], v[36:37] op_sel:[1,1] op_sel_hi:[0,1]
	s_delay_alu instid0(VALU_DEP_1) | instskip(SKIP_1) | instid1(VALU_DEP_1)
	v_pk_fma_f32 v[170:171], v[168:169], v[36:37], v[172:173] op_sel_hi:[1,0,1] neg_lo:[0,0,1] neg_hi:[0,0,1]
	v_pk_fma_f32 v[172:173], v[168:169], v[36:37], v[172:173] op_sel_hi:[1,0,1]
	v_dual_mov_b32 v36, v170 :: v_dual_mov_b32 v37, v173
	s_wait_dscnt 0x0
	s_delay_alu instid0(VALU_DEP_2) | instskip(NEXT) | instid1(VALU_DEP_1)
	v_pk_mul_f32 v[178:179], v[174:175], v[172:173] op_sel:[0,1]
	v_pk_fma_f32 v[180:181], v[174:175], v[170:171], v[178:179] op_sel:[0,0,1] op_sel_hi:[1,1,0] neg_lo:[0,0,1] neg_hi:[0,0,1]
	v_pk_fma_f32 v[174:175], v[174:175], v[170:171], v[178:179] op_sel:[0,0,1] op_sel_hi:[1,0,0]
	s_delay_alu instid0(VALU_DEP_1) | instskip(SKIP_1) | instid1(VALU_DEP_1)
	v_mov_b32_e32 v181, v175
	v_pk_mul_f32 v[174:175], v[176:177], v[172:173] op_sel:[0,1]
	v_pk_fma_f32 v[178:179], v[176:177], v[170:171], v[174:175] op_sel:[0,0,1] op_sel_hi:[1,1,0] neg_lo:[0,0,1] neg_hi:[0,0,1]
	v_pk_fma_f32 v[174:175], v[176:177], v[170:171], v[174:175] op_sel:[0,0,1] op_sel_hi:[1,0,0]
	s_delay_alu instid0(VALU_DEP_1)
	v_mov_b32_e32 v179, v175
	ds_load_2addr_b64 v[174:177], v220 offset0:14 offset1:15
	v_pk_add_f32 v[62:63], v[62:63], v[180:181] neg_lo:[0,1] neg_hi:[0,1]
	v_pk_add_f32 v[58:59], v[58:59], v[178:179] neg_lo:[0,1] neg_hi:[0,1]
	s_wait_dscnt 0x0
	v_pk_mul_f32 v[178:179], v[174:175], v[172:173] op_sel:[0,1]
	s_delay_alu instid0(VALU_DEP_1) | instskip(SKIP_2) | instid1(VALU_DEP_2)
	v_pk_fma_f32 v[180:181], v[174:175], v[170:171], v[178:179] op_sel:[0,0,1] op_sel_hi:[1,1,0] neg_lo:[0,0,1] neg_hi:[0,0,1]
	v_pk_fma_f32 v[174:175], v[174:175], v[170:171], v[178:179] op_sel:[0,0,1] op_sel_hi:[1,0,0]
	v_dual_mul_f32 v178, v177, v173 :: v_dual_mov_b32 v174, v177
	v_dual_mov_b32 v181, v175 :: v_dual_mov_b32 v175, v176
	s_delay_alu instid0(VALU_DEP_2) | instskip(SKIP_1) | instid1(VALU_DEP_3)
	v_pk_fma_f32 v[178:179], v[176:177], v[36:37], v[178:179] op_sel_hi:[1,1,0] neg_lo:[0,0,1] neg_hi:[0,0,1]
	v_mul_f32_e32 v176, v177, v170
	v_pk_add_f32 v[60:61], v[60:61], v[180:181] neg_lo:[0,1] neg_hi:[0,1]
	s_delay_alu instid0(VALU_DEP_2) | instskip(NEXT) | instid1(VALU_DEP_1)
	v_pk_fma_f32 v[174:175], v[174:175], v[36:37], v[176:177] op_sel_hi:[1,1,0]
	v_mov_b32_e32 v179, v175
	ds_load_2addr_b64 v[174:177], v220 offset0:16 offset1:17
	v_pk_add_f32 v[92:93], v[92:93], v[178:179] neg_lo:[0,1] neg_hi:[0,1]
	s_wait_dscnt 0x0
	v_pk_mul_f32 v[178:179], v[174:175], v[172:173] op_sel:[0,1]
	s_delay_alu instid0(VALU_DEP_1) | instskip(SKIP_1) | instid1(VALU_DEP_1)
	v_pk_fma_f32 v[180:181], v[174:175], v[170:171], v[178:179] op_sel:[0,0,1] op_sel_hi:[1,1,0] neg_lo:[0,0,1] neg_hi:[0,0,1]
	v_pk_fma_f32 v[174:175], v[174:175], v[170:171], v[178:179] op_sel:[0,0,1] op_sel_hi:[1,0,0]
	v_mov_b32_e32 v181, v175
	v_pk_mul_f32 v[174:175], v[176:177], v[172:173] op_sel:[0,1]
	s_delay_alu instid0(VALU_DEP_1) | instskip(SKIP_1) | instid1(VALU_DEP_1)
	v_pk_fma_f32 v[178:179], v[176:177], v[170:171], v[174:175] op_sel:[0,0,1] op_sel_hi:[1,1,0] neg_lo:[0,0,1] neg_hi:[0,0,1]
	v_pk_fma_f32 v[174:175], v[176:177], v[170:171], v[174:175] op_sel:[0,0,1] op_sel_hi:[1,0,0]
	v_mov_b32_e32 v179, v175
	ds_load_2addr_b64 v[174:177], v220 offset0:18 offset1:19
	v_pk_add_f32 v[90:91], v[90:91], v[180:181] neg_lo:[0,1] neg_hi:[0,1]
	v_pk_add_f32 v[114:115], v[114:115], v[178:179] neg_lo:[0,1] neg_hi:[0,1]
	s_wait_dscnt 0x0
	v_pk_mul_f32 v[178:179], v[174:175], v[172:173] op_sel:[0,1]
	s_delay_alu instid0(VALU_DEP_1) | instskip(SKIP_1) | instid1(VALU_DEP_1)
	v_pk_fma_f32 v[180:181], v[174:175], v[170:171], v[178:179] op_sel:[0,0,1] op_sel_hi:[1,1,0] neg_lo:[0,0,1] neg_hi:[0,0,1]
	v_pk_fma_f32 v[174:175], v[174:175], v[170:171], v[178:179] op_sel:[0,0,1] op_sel_hi:[1,0,0]
	v_mov_b32_e32 v181, v175
	v_pk_mul_f32 v[174:175], v[176:177], v[172:173] op_sel:[0,1]
	s_delay_alu instid0(VALU_DEP_1) | instskip(SKIP_1) | instid1(VALU_DEP_1)
	v_pk_fma_f32 v[178:179], v[176:177], v[170:171], v[174:175] op_sel:[0,0,1] op_sel_hi:[1,1,0] neg_lo:[0,0,1] neg_hi:[0,0,1]
	v_pk_fma_f32 v[174:175], v[176:177], v[170:171], v[174:175] op_sel:[0,0,1] op_sel_hi:[1,0,0]
	v_mov_b32_e32 v179, v175
	ds_load_2addr_b64 v[174:177], v220 offset0:20 offset1:21
	v_pk_add_f32 v[116:117], v[116:117], v[180:181] neg_lo:[0,1] neg_hi:[0,1]
	v_pk_add_f32 v[112:113], v[112:113], v[178:179] neg_lo:[0,1] neg_hi:[0,1]
	s_wait_dscnt 0x0
	v_dual_mul_f32 v178, v175, v173 :: v_dual_mul_f32 v180, v175, v170
	s_delay_alu instid0(VALU_DEP_1) | instskip(NEXT) | instid1(VALU_DEP_2)
	v_pk_fma_f32 v[178:179], v[174:175], v[36:37], v[178:179] op_sel_hi:[1,1,0] neg_lo:[0,0,1] neg_hi:[0,0,1]
	v_pk_fma_f32 v[174:175], v[174:175], v[36:37], v[180:181] op_sel:[1,0,0] op_sel_hi:[0,1,0]
	s_delay_alu instid0(VALU_DEP_1) | instskip(SKIP_1) | instid1(VALU_DEP_2)
	v_mov_b32_e32 v179, v175
	v_pk_mul_f32 v[174:175], v[176:177], v[172:173] op_sel:[0,1]
	v_pk_add_f32 v[102:103], v[102:103], v[178:179] neg_lo:[0,1] neg_hi:[0,1]
	s_delay_alu instid0(VALU_DEP_2) | instskip(SKIP_1) | instid1(VALU_DEP_1)
	v_pk_fma_f32 v[178:179], v[176:177], v[170:171], v[174:175] op_sel:[0,0,1] op_sel_hi:[1,1,0] neg_lo:[0,0,1] neg_hi:[0,0,1]
	v_pk_fma_f32 v[174:175], v[176:177], v[170:171], v[174:175] op_sel:[0,0,1] op_sel_hi:[1,0,0]
	v_mov_b32_e32 v179, v175
	ds_load_2addr_b64 v[174:177], v220 offset0:22 offset1:23
	v_pk_add_f32 v[128:129], v[128:129], v[178:179] neg_lo:[0,1] neg_hi:[0,1]
	s_wait_dscnt 0x0
	v_pk_mul_f32 v[178:179], v[174:175], v[172:173] op_sel:[0,1]
	s_delay_alu instid0(VALU_DEP_1) | instskip(SKIP_1) | instid1(VALU_DEP_1)
	v_pk_fma_f32 v[180:181], v[174:175], v[170:171], v[178:179] op_sel:[0,0,1] op_sel_hi:[1,1,0] neg_lo:[0,0,1] neg_hi:[0,0,1]
	v_pk_fma_f32 v[174:175], v[174:175], v[170:171], v[178:179] op_sel:[0,0,1] op_sel_hi:[1,0,0]
	v_mov_b32_e32 v181, v175
	v_pk_mul_f32 v[174:175], v[176:177], v[172:173] op_sel:[0,1]
	s_delay_alu instid0(VALU_DEP_2) | instskip(NEXT) | instid1(VALU_DEP_2)
	v_pk_add_f32 v[130:131], v[130:131], v[180:181] neg_lo:[0,1] neg_hi:[0,1]
	v_pk_fma_f32 v[178:179], v[176:177], v[170:171], v[174:175] op_sel:[0,0,1] op_sel_hi:[1,1,0] neg_lo:[0,0,1] neg_hi:[0,0,1]
	v_pk_fma_f32 v[174:175], v[176:177], v[170:171], v[174:175] op_sel:[0,0,1] op_sel_hi:[1,0,0]
	s_delay_alu instid0(VALU_DEP_1) | instskip(SKIP_4) | instid1(VALU_DEP_1)
	v_mov_b32_e32 v179, v175
	ds_load_2addr_b64 v[174:177], v220 offset0:24 offset1:25
	v_pk_add_f32 v[126:127], v[126:127], v[178:179] neg_lo:[0,1] neg_hi:[0,1]
	s_wait_dscnt 0x0
	v_pk_mul_f32 v[178:179], v[174:175], v[172:173] op_sel:[0,1]
	v_pk_fma_f32 v[180:181], v[174:175], v[170:171], v[178:179] op_sel:[0,0,1] op_sel_hi:[1,1,0] neg_lo:[0,0,1] neg_hi:[0,0,1]
	v_pk_fma_f32 v[174:175], v[174:175], v[170:171], v[178:179] op_sel:[0,0,1] op_sel_hi:[1,0,0]
	v_dual_mul_f32 v178, v177, v173 :: v_dual_mov_b32 v174, v177
	s_delay_alu instid0(VALU_DEP_2) | instskip(NEXT) | instid1(VALU_DEP_2)
	v_dual_mov_b32 v181, v175 :: v_dual_mov_b32 v175, v176
	v_pk_fma_f32 v[178:179], v[176:177], v[36:37], v[178:179] op_sel_hi:[1,1,0] neg_lo:[0,0,1] neg_hi:[0,0,1]
	v_mul_f32_e32 v176, v177, v170
	s_delay_alu instid0(VALU_DEP_3) | instskip(NEXT) | instid1(VALU_DEP_2)
	v_pk_add_f32 v[144:145], v[144:145], v[180:181] neg_lo:[0,1] neg_hi:[0,1]
	v_pk_fma_f32 v[174:175], v[174:175], v[36:37], v[176:177] op_sel_hi:[1,1,0]
	s_delay_alu instid0(VALU_DEP_1) | instskip(SKIP_4) | instid1(VALU_DEP_1)
	v_mov_b32_e32 v179, v175
	ds_load_2addr_b64 v[174:177], v220 offset0:26 offset1:27
	v_pk_add_f32 v[138:139], v[138:139], v[178:179] neg_lo:[0,1] neg_hi:[0,1]
	s_wait_dscnt 0x0
	v_pk_mul_f32 v[178:179], v[174:175], v[172:173] op_sel:[0,1]
	v_pk_fma_f32 v[180:181], v[174:175], v[170:171], v[178:179] op_sel:[0,0,1] op_sel_hi:[1,1,0] neg_lo:[0,0,1] neg_hi:[0,0,1]
	v_pk_fma_f32 v[174:175], v[174:175], v[170:171], v[178:179] op_sel:[0,0,1] op_sel_hi:[1,0,0]
	s_delay_alu instid0(VALU_DEP_1) | instskip(SKIP_1) | instid1(VALU_DEP_1)
	v_mov_b32_e32 v181, v175
	v_pk_mul_f32 v[174:175], v[176:177], v[172:173] op_sel:[0,1]
	v_pk_fma_f32 v[178:179], v[176:177], v[170:171], v[174:175] op_sel:[0,0,1] op_sel_hi:[1,1,0] neg_lo:[0,0,1] neg_hi:[0,0,1]
	v_pk_fma_f32 v[174:175], v[176:177], v[170:171], v[174:175] op_sel:[0,0,1] op_sel_hi:[1,0,0]
	s_delay_alu instid0(VALU_DEP_1)
	v_mov_b32_e32 v179, v175
	ds_load_2addr_b64 v[174:177], v220 offset0:28 offset1:29
	v_pk_add_f32 v[140:141], v[140:141], v[180:181] neg_lo:[0,1] neg_hi:[0,1]
	v_pk_add_f32 v[98:99], v[98:99], v[178:179] neg_lo:[0,1] neg_hi:[0,1]
	s_wait_dscnt 0x0
	v_pk_mul_f32 v[178:179], v[174:175], v[172:173] op_sel:[0,1]
	s_delay_alu instid0(VALU_DEP_1) | instskip(SKIP_1) | instid1(VALU_DEP_1)
	v_pk_fma_f32 v[180:181], v[174:175], v[170:171], v[178:179] op_sel:[0,0,1] op_sel_hi:[1,1,0] neg_lo:[0,0,1] neg_hi:[0,0,1]
	v_pk_fma_f32 v[174:175], v[174:175], v[170:171], v[178:179] op_sel:[0,0,1] op_sel_hi:[1,0,0]
	v_mov_b32_e32 v181, v175
	v_pk_mul_f32 v[174:175], v[176:177], v[172:173] op_sel:[0,1]
	s_delay_alu instid0(VALU_DEP_1) | instskip(SKIP_1) | instid1(VALU_DEP_1)
	v_pk_fma_f32 v[178:179], v[176:177], v[170:171], v[174:175] op_sel:[0,0,1] op_sel_hi:[1,1,0] neg_lo:[0,0,1] neg_hi:[0,0,1]
	v_pk_fma_f32 v[174:175], v[176:177], v[170:171], v[174:175] op_sel:[0,0,1] op_sel_hi:[1,0,0]
	v_mov_b32_e32 v179, v175
	ds_load_2addr_b64 v[174:177], v220 offset0:30 offset1:31
	v_pk_add_f32 v[124:125], v[124:125], v[180:181] neg_lo:[0,1] neg_hi:[0,1]
	v_pk_add_f32 v[120:121], v[120:121], v[178:179] neg_lo:[0,1] neg_hi:[0,1]
	s_wait_dscnt 0x0
	v_dual_mul_f32 v178, v175, v173 :: v_dual_mul_f32 v180, v175, v170
	s_delay_alu instid0(VALU_DEP_1) | instskip(NEXT) | instid1(VALU_DEP_2)
	v_pk_fma_f32 v[178:179], v[174:175], v[36:37], v[178:179] op_sel_hi:[1,1,0] neg_lo:[0,0,1] neg_hi:[0,0,1]
	v_pk_fma_f32 v[174:175], v[174:175], v[36:37], v[180:181] op_sel:[1,0,0] op_sel_hi:[0,1,0]
	s_delay_alu instid0(VALU_DEP_1) | instskip(SKIP_1) | instid1(VALU_DEP_2)
	v_mov_b32_e32 v179, v175
	v_pk_mul_f32 v[174:175], v[176:177], v[172:173] op_sel:[0,1]
	v_pk_add_f32 v[122:123], v[122:123], v[178:179] neg_lo:[0,1] neg_hi:[0,1]
	s_delay_alu instid0(VALU_DEP_2) | instskip(SKIP_1) | instid1(VALU_DEP_1)
	v_pk_fma_f32 v[178:179], v[176:177], v[170:171], v[174:175] op_sel:[0,0,1] op_sel_hi:[1,1,0] neg_lo:[0,0,1] neg_hi:[0,0,1]
	v_pk_fma_f32 v[174:175], v[176:177], v[170:171], v[174:175] op_sel:[0,0,1] op_sel_hi:[1,0,0]
	v_mov_b32_e32 v179, v175
	ds_load_2addr_b64 v[174:177], v220 offset0:32 offset1:33
	v_pk_add_f32 v[118:119], v[118:119], v[178:179] neg_lo:[0,1] neg_hi:[0,1]
	s_wait_dscnt 0x0
	v_pk_mul_f32 v[178:179], v[174:175], v[172:173] op_sel:[0,1]
	s_delay_alu instid0(VALU_DEP_1) | instskip(SKIP_1) | instid1(VALU_DEP_1)
	v_pk_fma_f32 v[180:181], v[174:175], v[170:171], v[178:179] op_sel:[0,0,1] op_sel_hi:[1,1,0] neg_lo:[0,0,1] neg_hi:[0,0,1]
	v_pk_fma_f32 v[174:175], v[174:175], v[170:171], v[178:179] op_sel:[0,0,1] op_sel_hi:[1,0,0]
	v_mov_b32_e32 v181, v175
	v_pk_mul_f32 v[174:175], v[176:177], v[172:173] op_sel:[0,1]
	s_delay_alu instid0(VALU_DEP_2) | instskip(NEXT) | instid1(VALU_DEP_2)
	v_pk_add_f32 v[136:137], v[136:137], v[180:181] neg_lo:[0,1] neg_hi:[0,1]
	v_pk_fma_f32 v[178:179], v[176:177], v[170:171], v[174:175] op_sel:[0,0,1] op_sel_hi:[1,1,0] neg_lo:[0,0,1] neg_hi:[0,0,1]
	v_pk_fma_f32 v[174:175], v[176:177], v[170:171], v[174:175] op_sel:[0,0,1] op_sel_hi:[1,0,0]
	s_delay_alu instid0(VALU_DEP_1)
	v_mov_b32_e32 v179, v175
	ds_load_2addr_b64 v[174:177], v220 offset0:34 offset1:35
	v_pk_add_f32 v[134:135], v[134:135], v[178:179] neg_lo:[0,1] neg_hi:[0,1]
	s_wait_dscnt 0x0
	v_pk_mul_f32 v[178:179], v[174:175], v[172:173] op_sel:[0,1]
	v_mul_f32_e32 v172, v177, v173
	s_delay_alu instid0(VALU_DEP_2) | instskip(SKIP_2) | instid1(VALU_DEP_4)
	v_pk_fma_f32 v[180:181], v[174:175], v[170:171], v[178:179] op_sel:[0,0,1] op_sel_hi:[1,1,0] neg_lo:[0,0,1] neg_hi:[0,0,1]
	v_pk_fma_f32 v[174:175], v[174:175], v[170:171], v[178:179] op_sel:[0,0,1] op_sel_hi:[1,0,0]
	v_dual_mov_b32 v174, v177 :: v_dual_mul_f32 v170, v177, v170
	v_pk_fma_f32 v[172:173], v[176:177], v[36:37], v[172:173] op_sel_hi:[1,1,0] neg_lo:[0,0,1] neg_hi:[0,0,1]
	s_delay_alu instid0(VALU_DEP_3) | instskip(NEXT) | instid1(VALU_DEP_1)
	v_dual_mov_b32 v181, v175 :: v_dual_mov_b32 v175, v176
	v_pk_add_f32 v[132:133], v[132:133], v[180:181] neg_lo:[0,1] neg_hi:[0,1]
	s_delay_alu instid0(VALU_DEP_2) | instskip(NEXT) | instid1(VALU_DEP_1)
	v_pk_fma_f32 v[170:171], v[174:175], v[36:37], v[170:171] op_sel_hi:[1,1,0]
	v_mov_b32_e32 v173, v171
	s_delay_alu instid0(VALU_DEP_1)
	v_pk_add_f32 v[142:143], v[142:143], v[172:173] neg_lo:[0,1] neg_hi:[0,1]
.LBB71_109:
	s_or_b32 exec_lo, exec_lo, s1
	s_delay_alu instid0(SALU_CYCLE_1)
	s_mov_b32 s2, exec_lo
	s_wait_dscnt 0x0
	s_barrier_signal -1
	s_barrier_wait -1
	v_cmpx_eq_u32_e32 12, v218
	s_cbranch_execz .LBB71_116
; %bb.110:
	ds_store_b64 v219, v[62:63]
	ds_store_2addr_b64 v220, v[58:59], v[60:61] offset0:13 offset1:14
	ds_store_2addr_b64 v220, v[92:93], v[90:91] offset0:15 offset1:16
	;; [unrolled: 1-line block ×11, first 2 shown]
	ds_store_b64 v220, v[142:143] offset:280
	ds_load_b64 v[170:171], v219
	s_wait_dscnt 0x0
	v_cmp_neq_f32_e32 vcc_lo, 0, v170
	v_cmp_neq_f32_e64 s1, 0, v171
	s_or_b32 s1, vcc_lo, s1
	s_delay_alu instid0(SALU_CYCLE_1)
	s_and_b32 exec_lo, exec_lo, s1
	s_cbranch_execz .LBB71_116
; %bb.111:
	v_cmp_ngt_f32_e64 s1, |v170|, |v171|
                                        ; implicit-def: $vgpr172_vgpr173
	s_and_saveexec_b32 s4, s1
	s_delay_alu instid0(SALU_CYCLE_1)
	s_xor_b32 s1, exec_lo, s4
	s_cbranch_execz .LBB71_113
; %bb.112:
	v_div_scale_f32 v172, null, v171, v171, v170
	v_div_scale_f32 v175, vcc_lo, v170, v171, v170
	s_delay_alu instid0(VALU_DEP_2) | instskip(SKIP_1) | instid1(TRANS32_DEP_1)
	v_rcp_f32_e32 v173, v172
	v_nop
	v_fma_f32 v174, -v172, v173, 1.0
	s_delay_alu instid0(VALU_DEP_1) | instskip(NEXT) | instid1(VALU_DEP_1)
	v_fmac_f32_e32 v173, v174, v173
	v_mul_f32_e32 v174, v175, v173
	s_delay_alu instid0(VALU_DEP_1) | instskip(NEXT) | instid1(VALU_DEP_1)
	v_fma_f32 v176, -v172, v174, v175
	v_fmac_f32_e32 v174, v176, v173
	s_delay_alu instid0(VALU_DEP_1) | instskip(NEXT) | instid1(VALU_DEP_1)
	v_fma_f32 v172, -v172, v174, v175
	v_div_fmas_f32 v172, v172, v173, v174
	s_delay_alu instid0(VALU_DEP_1) | instskip(NEXT) | instid1(VALU_DEP_1)
	v_div_fixup_f32 v172, v172, v171, v170
	v_fmac_f32_e32 v171, v170, v172
	s_delay_alu instid0(VALU_DEP_1) | instskip(SKIP_1) | instid1(VALU_DEP_2)
	v_div_scale_f32 v170, null, v171, v171, 1.0
	v_div_scale_f32 v175, vcc_lo, 1.0, v171, 1.0
	v_rcp_f32_e32 v173, v170
	v_nop
	s_delay_alu instid0(TRANS32_DEP_1) | instskip(NEXT) | instid1(VALU_DEP_1)
	v_fma_f32 v174, -v170, v173, 1.0
	v_fmac_f32_e32 v173, v174, v173
	s_delay_alu instid0(VALU_DEP_1) | instskip(NEXT) | instid1(VALU_DEP_1)
	v_mul_f32_e32 v174, v175, v173
	v_fma_f32 v176, -v170, v174, v175
	s_delay_alu instid0(VALU_DEP_1) | instskip(NEXT) | instid1(VALU_DEP_1)
	v_fmac_f32_e32 v174, v176, v173
	v_fma_f32 v170, -v170, v174, v175
	s_delay_alu instid0(VALU_DEP_1) | instskip(NEXT) | instid1(VALU_DEP_1)
	v_div_fmas_f32 v170, v170, v173, v174
	v_div_fixup_f32 v170, v170, v171, 1.0
	s_delay_alu instid0(VALU_DEP_1)
	v_mul_f32_e32 v172, v172, v170
	v_xor_b32_e32 v173, 0x80000000, v170
                                        ; implicit-def: $vgpr170_vgpr171
.LBB71_113:
	s_and_not1_saveexec_b32 s1, s1
	s_cbranch_execz .LBB71_115
; %bb.114:
	v_div_scale_f32 v172, null, v170, v170, v171
	v_div_scale_f32 v175, vcc_lo, v171, v170, v171
	s_delay_alu instid0(VALU_DEP_2) | instskip(SKIP_1) | instid1(TRANS32_DEP_1)
	v_rcp_f32_e32 v173, v172
	v_nop
	v_fma_f32 v174, -v172, v173, 1.0
	s_delay_alu instid0(VALU_DEP_1) | instskip(NEXT) | instid1(VALU_DEP_1)
	v_fmac_f32_e32 v173, v174, v173
	v_mul_f32_e32 v174, v175, v173
	s_delay_alu instid0(VALU_DEP_1) | instskip(NEXT) | instid1(VALU_DEP_1)
	v_fma_f32 v176, -v172, v174, v175
	v_fmac_f32_e32 v174, v176, v173
	s_delay_alu instid0(VALU_DEP_1) | instskip(NEXT) | instid1(VALU_DEP_1)
	v_fma_f32 v172, -v172, v174, v175
	v_div_fmas_f32 v172, v172, v173, v174
	s_delay_alu instid0(VALU_DEP_1) | instskip(NEXT) | instid1(VALU_DEP_1)
	v_div_fixup_f32 v173, v172, v170, v171
	v_fmac_f32_e32 v170, v171, v173
	s_delay_alu instid0(VALU_DEP_1) | instskip(NEXT) | instid1(VALU_DEP_1)
	v_div_scale_f32 v171, null, v170, v170, 1.0
	v_rcp_f32_e32 v172, v171
	v_nop
	s_delay_alu instid0(TRANS32_DEP_1) | instskip(NEXT) | instid1(VALU_DEP_1)
	v_fma_f32 v174, -v171, v172, 1.0
	v_fmac_f32_e32 v172, v174, v172
	v_div_scale_f32 v174, vcc_lo, 1.0, v170, 1.0
	s_delay_alu instid0(VALU_DEP_1) | instskip(NEXT) | instid1(VALU_DEP_1)
	v_mul_f32_e32 v175, v174, v172
	v_fma_f32 v176, -v171, v175, v174
	s_delay_alu instid0(VALU_DEP_1) | instskip(NEXT) | instid1(VALU_DEP_1)
	v_fmac_f32_e32 v175, v176, v172
	v_fma_f32 v171, -v171, v175, v174
	s_delay_alu instid0(VALU_DEP_1) | instskip(NEXT) | instid1(VALU_DEP_1)
	v_div_fmas_f32 v171, v171, v172, v175
	v_div_fixup_f32 v172, v171, v170, 1.0
	s_delay_alu instid0(VALU_DEP_1)
	v_mul_f32_e64 v173, v173, -v172
.LBB71_115:
	s_or_b32 exec_lo, exec_lo, s1
	ds_store_b64 v219, v[172:173]
.LBB71_116:
	s_or_b32 exec_lo, exec_lo, s2
	s_wait_dscnt 0x0
	s_barrier_signal -1
	s_barrier_wait -1
	ds_load_b64 v[170:171], v219
	s_mov_b32 s1, exec_lo
	v_cmpx_lt_u32_e32 12, v218
	s_cbranch_execz .LBB71_118
; %bb.117:
	ds_load_2addr_b64 v[176:179], v220 offset0:13 offset1:14
	s_wait_dscnt 0x1
	v_pk_mul_f32 v[174:175], v[170:171], v[62:63] op_sel:[1,1] op_sel_hi:[0,1]
	s_delay_alu instid0(VALU_DEP_1) | instskip(SKIP_1) | instid1(VALU_DEP_1)
	v_pk_fma_f32 v[172:173], v[170:171], v[62:63], v[174:175] op_sel_hi:[1,0,1] neg_lo:[0,0,1] neg_hi:[0,0,1]
	v_pk_fma_f32 v[174:175], v[170:171], v[62:63], v[174:175] op_sel_hi:[1,0,1]
	v_dual_mov_b32 v62, v172 :: v_dual_mov_b32 v63, v175
	s_wait_dscnt 0x0
	s_delay_alu instid0(VALU_DEP_2) | instskip(NEXT) | instid1(VALU_DEP_1)
	v_pk_mul_f32 v[180:181], v[176:177], v[174:175] op_sel:[0,1]
	v_pk_fma_f32 v[182:183], v[176:177], v[172:173], v[180:181] op_sel:[0,0,1] op_sel_hi:[1,1,0] neg_lo:[0,0,1] neg_hi:[0,0,1]
	v_pk_fma_f32 v[176:177], v[176:177], v[172:173], v[180:181] op_sel:[0,0,1] op_sel_hi:[1,0,0]
	s_delay_alu instid0(VALU_DEP_1) | instskip(SKIP_1) | instid1(VALU_DEP_1)
	v_mov_b32_e32 v183, v177
	v_pk_mul_f32 v[176:177], v[178:179], v[174:175] op_sel:[0,1]
	v_pk_fma_f32 v[180:181], v[178:179], v[172:173], v[176:177] op_sel:[0,0,1] op_sel_hi:[1,1,0] neg_lo:[0,0,1] neg_hi:[0,0,1]
	v_pk_fma_f32 v[176:177], v[178:179], v[172:173], v[176:177] op_sel:[0,0,1] op_sel_hi:[1,0,0]
	s_delay_alu instid0(VALU_DEP_1)
	v_mov_b32_e32 v181, v177
	ds_load_2addr_b64 v[176:179], v220 offset0:15 offset1:16
	v_pk_add_f32 v[58:59], v[58:59], v[182:183] neg_lo:[0,1] neg_hi:[0,1]
	v_pk_add_f32 v[60:61], v[60:61], v[180:181] neg_lo:[0,1] neg_hi:[0,1]
	s_wait_dscnt 0x0
	v_pk_mul_f32 v[180:181], v[176:177], v[174:175] op_sel:[0,1]
	s_delay_alu instid0(VALU_DEP_1) | instskip(SKIP_2) | instid1(VALU_DEP_2)
	v_pk_fma_f32 v[182:183], v[176:177], v[172:173], v[180:181] op_sel:[0,0,1] op_sel_hi:[1,1,0] neg_lo:[0,0,1] neg_hi:[0,0,1]
	v_pk_fma_f32 v[176:177], v[176:177], v[172:173], v[180:181] op_sel:[0,0,1] op_sel_hi:[1,0,0]
	v_dual_mul_f32 v180, v179, v175 :: v_dual_mov_b32 v176, v179
	v_dual_mov_b32 v183, v177 :: v_dual_mov_b32 v177, v178
	s_delay_alu instid0(VALU_DEP_2) | instskip(SKIP_1) | instid1(VALU_DEP_3)
	v_pk_fma_f32 v[180:181], v[178:179], v[62:63], v[180:181] op_sel_hi:[1,1,0] neg_lo:[0,0,1] neg_hi:[0,0,1]
	v_mul_f32_e32 v178, v179, v172
	v_pk_add_f32 v[92:93], v[92:93], v[182:183] neg_lo:[0,1] neg_hi:[0,1]
	s_delay_alu instid0(VALU_DEP_2) | instskip(NEXT) | instid1(VALU_DEP_1)
	v_pk_fma_f32 v[176:177], v[176:177], v[62:63], v[178:179] op_sel_hi:[1,1,0]
	v_mov_b32_e32 v181, v177
	ds_load_2addr_b64 v[176:179], v220 offset0:17 offset1:18
	v_pk_add_f32 v[90:91], v[90:91], v[180:181] neg_lo:[0,1] neg_hi:[0,1]
	s_wait_dscnt 0x0
	v_pk_mul_f32 v[180:181], v[176:177], v[174:175] op_sel:[0,1]
	s_delay_alu instid0(VALU_DEP_1) | instskip(SKIP_1) | instid1(VALU_DEP_1)
	v_pk_fma_f32 v[182:183], v[176:177], v[172:173], v[180:181] op_sel:[0,0,1] op_sel_hi:[1,1,0] neg_lo:[0,0,1] neg_hi:[0,0,1]
	v_pk_fma_f32 v[176:177], v[176:177], v[172:173], v[180:181] op_sel:[0,0,1] op_sel_hi:[1,0,0]
	v_mov_b32_e32 v183, v177
	v_pk_mul_f32 v[176:177], v[178:179], v[174:175] op_sel:[0,1]
	s_delay_alu instid0(VALU_DEP_1) | instskip(SKIP_1) | instid1(VALU_DEP_1)
	v_pk_fma_f32 v[180:181], v[178:179], v[172:173], v[176:177] op_sel:[0,0,1] op_sel_hi:[1,1,0] neg_lo:[0,0,1] neg_hi:[0,0,1]
	v_pk_fma_f32 v[176:177], v[178:179], v[172:173], v[176:177] op_sel:[0,0,1] op_sel_hi:[1,0,0]
	v_mov_b32_e32 v181, v177
	ds_load_2addr_b64 v[176:179], v220 offset0:19 offset1:20
	v_pk_add_f32 v[114:115], v[114:115], v[182:183] neg_lo:[0,1] neg_hi:[0,1]
	v_pk_add_f32 v[116:117], v[116:117], v[180:181] neg_lo:[0,1] neg_hi:[0,1]
	s_wait_dscnt 0x0
	v_pk_mul_f32 v[180:181], v[176:177], v[174:175] op_sel:[0,1]
	s_delay_alu instid0(VALU_DEP_1) | instskip(SKIP_1) | instid1(VALU_DEP_1)
	v_pk_fma_f32 v[182:183], v[176:177], v[172:173], v[180:181] op_sel:[0,0,1] op_sel_hi:[1,1,0] neg_lo:[0,0,1] neg_hi:[0,0,1]
	v_pk_fma_f32 v[176:177], v[176:177], v[172:173], v[180:181] op_sel:[0,0,1] op_sel_hi:[1,0,0]
	v_mov_b32_e32 v183, v177
	v_pk_mul_f32 v[176:177], v[178:179], v[174:175] op_sel:[0,1]
	s_delay_alu instid0(VALU_DEP_1) | instskip(SKIP_1) | instid1(VALU_DEP_1)
	v_pk_fma_f32 v[180:181], v[178:179], v[172:173], v[176:177] op_sel:[0,0,1] op_sel_hi:[1,1,0] neg_lo:[0,0,1] neg_hi:[0,0,1]
	v_pk_fma_f32 v[176:177], v[178:179], v[172:173], v[176:177] op_sel:[0,0,1] op_sel_hi:[1,0,0]
	v_mov_b32_e32 v181, v177
	ds_load_2addr_b64 v[176:179], v220 offset0:21 offset1:22
	v_pk_add_f32 v[112:113], v[112:113], v[182:183] neg_lo:[0,1] neg_hi:[0,1]
	v_pk_add_f32 v[102:103], v[102:103], v[180:181] neg_lo:[0,1] neg_hi:[0,1]
	s_wait_dscnt 0x0
	v_dual_mul_f32 v180, v177, v175 :: v_dual_mul_f32 v182, v177, v172
	s_delay_alu instid0(VALU_DEP_1) | instskip(NEXT) | instid1(VALU_DEP_2)
	v_pk_fma_f32 v[180:181], v[176:177], v[62:63], v[180:181] op_sel_hi:[1,1,0] neg_lo:[0,0,1] neg_hi:[0,0,1]
	v_pk_fma_f32 v[176:177], v[176:177], v[62:63], v[182:183] op_sel:[1,0,0] op_sel_hi:[0,1,0]
	s_delay_alu instid0(VALU_DEP_1) | instskip(SKIP_1) | instid1(VALU_DEP_2)
	v_mov_b32_e32 v181, v177
	v_pk_mul_f32 v[176:177], v[178:179], v[174:175] op_sel:[0,1]
	v_pk_add_f32 v[128:129], v[128:129], v[180:181] neg_lo:[0,1] neg_hi:[0,1]
	s_delay_alu instid0(VALU_DEP_2) | instskip(SKIP_1) | instid1(VALU_DEP_1)
	v_pk_fma_f32 v[180:181], v[178:179], v[172:173], v[176:177] op_sel:[0,0,1] op_sel_hi:[1,1,0] neg_lo:[0,0,1] neg_hi:[0,0,1]
	v_pk_fma_f32 v[176:177], v[178:179], v[172:173], v[176:177] op_sel:[0,0,1] op_sel_hi:[1,0,0]
	v_mov_b32_e32 v181, v177
	ds_load_2addr_b64 v[176:179], v220 offset0:23 offset1:24
	v_pk_add_f32 v[130:131], v[130:131], v[180:181] neg_lo:[0,1] neg_hi:[0,1]
	s_wait_dscnt 0x0
	v_pk_mul_f32 v[180:181], v[176:177], v[174:175] op_sel:[0,1]
	s_delay_alu instid0(VALU_DEP_1) | instskip(SKIP_1) | instid1(VALU_DEP_1)
	v_pk_fma_f32 v[182:183], v[176:177], v[172:173], v[180:181] op_sel:[0,0,1] op_sel_hi:[1,1,0] neg_lo:[0,0,1] neg_hi:[0,0,1]
	v_pk_fma_f32 v[176:177], v[176:177], v[172:173], v[180:181] op_sel:[0,0,1] op_sel_hi:[1,0,0]
	v_mov_b32_e32 v183, v177
	v_pk_mul_f32 v[176:177], v[178:179], v[174:175] op_sel:[0,1]
	s_delay_alu instid0(VALU_DEP_2) | instskip(NEXT) | instid1(VALU_DEP_2)
	v_pk_add_f32 v[126:127], v[126:127], v[182:183] neg_lo:[0,1] neg_hi:[0,1]
	v_pk_fma_f32 v[180:181], v[178:179], v[172:173], v[176:177] op_sel:[0,0,1] op_sel_hi:[1,1,0] neg_lo:[0,0,1] neg_hi:[0,0,1]
	v_pk_fma_f32 v[176:177], v[178:179], v[172:173], v[176:177] op_sel:[0,0,1] op_sel_hi:[1,0,0]
	s_delay_alu instid0(VALU_DEP_1) | instskip(SKIP_4) | instid1(VALU_DEP_1)
	v_mov_b32_e32 v181, v177
	ds_load_2addr_b64 v[176:179], v220 offset0:25 offset1:26
	v_pk_add_f32 v[144:145], v[144:145], v[180:181] neg_lo:[0,1] neg_hi:[0,1]
	s_wait_dscnt 0x0
	v_pk_mul_f32 v[180:181], v[176:177], v[174:175] op_sel:[0,1]
	v_pk_fma_f32 v[182:183], v[176:177], v[172:173], v[180:181] op_sel:[0,0,1] op_sel_hi:[1,1,0] neg_lo:[0,0,1] neg_hi:[0,0,1]
	v_pk_fma_f32 v[176:177], v[176:177], v[172:173], v[180:181] op_sel:[0,0,1] op_sel_hi:[1,0,0]
	v_dual_mul_f32 v180, v179, v175 :: v_dual_mov_b32 v176, v179
	s_delay_alu instid0(VALU_DEP_2) | instskip(NEXT) | instid1(VALU_DEP_2)
	v_dual_mov_b32 v183, v177 :: v_dual_mov_b32 v177, v178
	v_pk_fma_f32 v[180:181], v[178:179], v[62:63], v[180:181] op_sel_hi:[1,1,0] neg_lo:[0,0,1] neg_hi:[0,0,1]
	v_mul_f32_e32 v178, v179, v172
	s_delay_alu instid0(VALU_DEP_3) | instskip(NEXT) | instid1(VALU_DEP_2)
	v_pk_add_f32 v[138:139], v[138:139], v[182:183] neg_lo:[0,1] neg_hi:[0,1]
	v_pk_fma_f32 v[176:177], v[176:177], v[62:63], v[178:179] op_sel_hi:[1,1,0]
	s_delay_alu instid0(VALU_DEP_1) | instskip(SKIP_4) | instid1(VALU_DEP_1)
	v_mov_b32_e32 v181, v177
	ds_load_2addr_b64 v[176:179], v220 offset0:27 offset1:28
	v_pk_add_f32 v[140:141], v[140:141], v[180:181] neg_lo:[0,1] neg_hi:[0,1]
	s_wait_dscnt 0x0
	v_pk_mul_f32 v[180:181], v[176:177], v[174:175] op_sel:[0,1]
	v_pk_fma_f32 v[182:183], v[176:177], v[172:173], v[180:181] op_sel:[0,0,1] op_sel_hi:[1,1,0] neg_lo:[0,0,1] neg_hi:[0,0,1]
	v_pk_fma_f32 v[176:177], v[176:177], v[172:173], v[180:181] op_sel:[0,0,1] op_sel_hi:[1,0,0]
	s_delay_alu instid0(VALU_DEP_1) | instskip(SKIP_1) | instid1(VALU_DEP_1)
	v_mov_b32_e32 v183, v177
	v_pk_mul_f32 v[176:177], v[178:179], v[174:175] op_sel:[0,1]
	v_pk_fma_f32 v[180:181], v[178:179], v[172:173], v[176:177] op_sel:[0,0,1] op_sel_hi:[1,1,0] neg_lo:[0,0,1] neg_hi:[0,0,1]
	v_pk_fma_f32 v[176:177], v[178:179], v[172:173], v[176:177] op_sel:[0,0,1] op_sel_hi:[1,0,0]
	s_delay_alu instid0(VALU_DEP_1)
	v_mov_b32_e32 v181, v177
	ds_load_2addr_b64 v[176:179], v220 offset0:29 offset1:30
	v_pk_add_f32 v[98:99], v[98:99], v[182:183] neg_lo:[0,1] neg_hi:[0,1]
	v_pk_add_f32 v[124:125], v[124:125], v[180:181] neg_lo:[0,1] neg_hi:[0,1]
	s_wait_dscnt 0x0
	v_pk_mul_f32 v[180:181], v[176:177], v[174:175] op_sel:[0,1]
	s_delay_alu instid0(VALU_DEP_1) | instskip(SKIP_1) | instid1(VALU_DEP_1)
	v_pk_fma_f32 v[182:183], v[176:177], v[172:173], v[180:181] op_sel:[0,0,1] op_sel_hi:[1,1,0] neg_lo:[0,0,1] neg_hi:[0,0,1]
	v_pk_fma_f32 v[176:177], v[176:177], v[172:173], v[180:181] op_sel:[0,0,1] op_sel_hi:[1,0,0]
	v_mov_b32_e32 v183, v177
	v_pk_mul_f32 v[176:177], v[178:179], v[174:175] op_sel:[0,1]
	s_delay_alu instid0(VALU_DEP_1) | instskip(SKIP_1) | instid1(VALU_DEP_1)
	v_pk_fma_f32 v[180:181], v[178:179], v[172:173], v[176:177] op_sel:[0,0,1] op_sel_hi:[1,1,0] neg_lo:[0,0,1] neg_hi:[0,0,1]
	v_pk_fma_f32 v[176:177], v[178:179], v[172:173], v[176:177] op_sel:[0,0,1] op_sel_hi:[1,0,0]
	v_mov_b32_e32 v181, v177
	ds_load_2addr_b64 v[176:179], v220 offset0:31 offset1:32
	v_pk_add_f32 v[120:121], v[120:121], v[182:183] neg_lo:[0,1] neg_hi:[0,1]
	v_pk_add_f32 v[122:123], v[122:123], v[180:181] neg_lo:[0,1] neg_hi:[0,1]
	s_wait_dscnt 0x0
	v_dual_mul_f32 v180, v177, v175 :: v_dual_mul_f32 v182, v177, v172
	s_delay_alu instid0(VALU_DEP_1) | instskip(NEXT) | instid1(VALU_DEP_2)
	v_pk_fma_f32 v[180:181], v[176:177], v[62:63], v[180:181] op_sel_hi:[1,1,0] neg_lo:[0,0,1] neg_hi:[0,0,1]
	v_pk_fma_f32 v[176:177], v[176:177], v[62:63], v[182:183] op_sel:[1,0,0] op_sel_hi:[0,1,0]
	s_delay_alu instid0(VALU_DEP_1) | instskip(SKIP_1) | instid1(VALU_DEP_2)
	v_mov_b32_e32 v181, v177
	v_pk_mul_f32 v[176:177], v[178:179], v[174:175] op_sel:[0,1]
	v_pk_add_f32 v[118:119], v[118:119], v[180:181] neg_lo:[0,1] neg_hi:[0,1]
	s_delay_alu instid0(VALU_DEP_2) | instskip(SKIP_1) | instid1(VALU_DEP_1)
	v_pk_fma_f32 v[180:181], v[178:179], v[172:173], v[176:177] op_sel:[0,0,1] op_sel_hi:[1,1,0] neg_lo:[0,0,1] neg_hi:[0,0,1]
	v_pk_fma_f32 v[176:177], v[178:179], v[172:173], v[176:177] op_sel:[0,0,1] op_sel_hi:[1,0,0]
	v_mov_b32_e32 v181, v177
	ds_load_2addr_b64 v[176:179], v220 offset0:33 offset1:34
	v_pk_add_f32 v[136:137], v[136:137], v[180:181] neg_lo:[0,1] neg_hi:[0,1]
	s_wait_dscnt 0x0
	v_pk_mul_f32 v[180:181], v[176:177], v[174:175] op_sel:[0,1]
	s_delay_alu instid0(VALU_DEP_1) | instskip(SKIP_1) | instid1(VALU_DEP_1)
	v_pk_fma_f32 v[182:183], v[176:177], v[172:173], v[180:181] op_sel:[0,0,1] op_sel_hi:[1,1,0] neg_lo:[0,0,1] neg_hi:[0,0,1]
	v_pk_fma_f32 v[176:177], v[176:177], v[172:173], v[180:181] op_sel:[0,0,1] op_sel_hi:[1,0,0]
	v_mov_b32_e32 v183, v177
	v_pk_mul_f32 v[176:177], v[178:179], v[174:175] op_sel:[0,1]
	s_delay_alu instid0(VALU_DEP_2) | instskip(NEXT) | instid1(VALU_DEP_2)
	v_pk_add_f32 v[134:135], v[134:135], v[182:183] neg_lo:[0,1] neg_hi:[0,1]
	v_pk_fma_f32 v[180:181], v[178:179], v[172:173], v[176:177] op_sel:[0,0,1] op_sel_hi:[1,1,0] neg_lo:[0,0,1] neg_hi:[0,0,1]
	v_pk_fma_f32 v[176:177], v[178:179], v[172:173], v[176:177] op_sel:[0,0,1] op_sel_hi:[1,0,0]
	s_delay_alu instid0(VALU_DEP_1) | instskip(SKIP_4) | instid1(VALU_DEP_1)
	v_mov_b32_e32 v181, v177
	ds_load_b64 v[176:177], v220 offset:280
	v_pk_add_f32 v[132:133], v[132:133], v[180:181] neg_lo:[0,1] neg_hi:[0,1]
	s_wait_dscnt 0x0
	v_pk_mul_f32 v[174:175], v[176:177], v[174:175] op_sel:[0,1]
	v_pk_fma_f32 v[178:179], v[176:177], v[172:173], v[174:175] op_sel:[0,0,1] op_sel_hi:[1,1,0] neg_lo:[0,0,1] neg_hi:[0,0,1]
	v_pk_fma_f32 v[172:173], v[176:177], v[172:173], v[174:175] op_sel:[0,0,1] op_sel_hi:[1,0,0]
	s_delay_alu instid0(VALU_DEP_1) | instskip(NEXT) | instid1(VALU_DEP_1)
	v_mov_b32_e32 v179, v173
	v_pk_add_f32 v[142:143], v[142:143], v[178:179] neg_lo:[0,1] neg_hi:[0,1]
.LBB71_118:
	s_or_b32 exec_lo, exec_lo, s1
	s_delay_alu instid0(SALU_CYCLE_1)
	s_mov_b32 s2, exec_lo
	s_wait_dscnt 0x0
	s_barrier_signal -1
	s_barrier_wait -1
	v_cmpx_eq_u32_e32 13, v218
	s_cbranch_execz .LBB71_125
; %bb.119:
	v_dual_mov_b32 v172, v60 :: v_dual_mov_b32 v173, v61
	v_dual_mov_b32 v174, v92 :: v_dual_mov_b32 v175, v93
	ds_store_b64 v219, v[58:59]
	ds_store_2addr_b64 v220, v[172:173], v[174:175] offset0:14 offset1:15
	v_dual_mov_b32 v172, v90 :: v_dual_mov_b32 v173, v91
	v_dual_mov_b32 v174, v114 :: v_dual_mov_b32 v175, v115
	ds_store_2addr_b64 v220, v[172:173], v[174:175] offset0:16 offset1:17
	v_dual_mov_b32 v172, v116 :: v_dual_mov_b32 v173, v117
	v_dual_mov_b32 v174, v112 :: v_dual_mov_b32 v175, v113
	;; [unrolled: 3-line block ×9, first 2 shown]
	ds_store_2addr_b64 v220, v[172:173], v[174:175] offset0:32 offset1:33
	v_dual_mov_b32 v172, v132 :: v_dual_mov_b32 v173, v133
	ds_store_2addr_b64 v220, v[172:173], v[142:143] offset0:34 offset1:35
	ds_load_b64 v[172:173], v219
	s_wait_dscnt 0x0
	v_cmp_neq_f32_e32 vcc_lo, 0, v172
	v_cmp_neq_f32_e64 s1, 0, v173
	s_or_b32 s1, vcc_lo, s1
	s_delay_alu instid0(SALU_CYCLE_1)
	s_and_b32 exec_lo, exec_lo, s1
	s_cbranch_execz .LBB71_125
; %bb.120:
	v_cmp_ngt_f32_e64 s1, |v172|, |v173|
                                        ; implicit-def: $vgpr174_vgpr175
	s_and_saveexec_b32 s4, s1
	s_delay_alu instid0(SALU_CYCLE_1)
	s_xor_b32 s1, exec_lo, s4
	s_cbranch_execz .LBB71_122
; %bb.121:
	v_div_scale_f32 v174, null, v173, v173, v172
	v_div_scale_f32 v177, vcc_lo, v172, v173, v172
	s_delay_alu instid0(VALU_DEP_2) | instskip(SKIP_1) | instid1(TRANS32_DEP_1)
	v_rcp_f32_e32 v175, v174
	v_nop
	v_fma_f32 v176, -v174, v175, 1.0
	s_delay_alu instid0(VALU_DEP_1) | instskip(NEXT) | instid1(VALU_DEP_1)
	v_fmac_f32_e32 v175, v176, v175
	v_mul_f32_e32 v176, v177, v175
	s_delay_alu instid0(VALU_DEP_1) | instskip(NEXT) | instid1(VALU_DEP_1)
	v_fma_f32 v178, -v174, v176, v177
	v_fmac_f32_e32 v176, v178, v175
	s_delay_alu instid0(VALU_DEP_1) | instskip(NEXT) | instid1(VALU_DEP_1)
	v_fma_f32 v174, -v174, v176, v177
	v_div_fmas_f32 v174, v174, v175, v176
	s_delay_alu instid0(VALU_DEP_1) | instskip(NEXT) | instid1(VALU_DEP_1)
	v_div_fixup_f32 v174, v174, v173, v172
	v_fmac_f32_e32 v173, v172, v174
	s_delay_alu instid0(VALU_DEP_1) | instskip(SKIP_1) | instid1(VALU_DEP_2)
	v_div_scale_f32 v172, null, v173, v173, 1.0
	v_div_scale_f32 v177, vcc_lo, 1.0, v173, 1.0
	v_rcp_f32_e32 v175, v172
	v_nop
	s_delay_alu instid0(TRANS32_DEP_1) | instskip(NEXT) | instid1(VALU_DEP_1)
	v_fma_f32 v176, -v172, v175, 1.0
	v_fmac_f32_e32 v175, v176, v175
	s_delay_alu instid0(VALU_DEP_1) | instskip(NEXT) | instid1(VALU_DEP_1)
	v_mul_f32_e32 v176, v177, v175
	v_fma_f32 v178, -v172, v176, v177
	s_delay_alu instid0(VALU_DEP_1) | instskip(NEXT) | instid1(VALU_DEP_1)
	v_fmac_f32_e32 v176, v178, v175
	v_fma_f32 v172, -v172, v176, v177
	s_delay_alu instid0(VALU_DEP_1) | instskip(NEXT) | instid1(VALU_DEP_1)
	v_div_fmas_f32 v172, v172, v175, v176
	v_div_fixup_f32 v172, v172, v173, 1.0
	s_delay_alu instid0(VALU_DEP_1)
	v_mul_f32_e32 v174, v174, v172
	v_xor_b32_e32 v175, 0x80000000, v172
                                        ; implicit-def: $vgpr172_vgpr173
.LBB71_122:
	s_and_not1_saveexec_b32 s1, s1
	s_cbranch_execz .LBB71_124
; %bb.123:
	v_div_scale_f32 v174, null, v172, v172, v173
	v_div_scale_f32 v177, vcc_lo, v173, v172, v173
	s_delay_alu instid0(VALU_DEP_2) | instskip(SKIP_1) | instid1(TRANS32_DEP_1)
	v_rcp_f32_e32 v175, v174
	v_nop
	v_fma_f32 v176, -v174, v175, 1.0
	s_delay_alu instid0(VALU_DEP_1) | instskip(NEXT) | instid1(VALU_DEP_1)
	v_fmac_f32_e32 v175, v176, v175
	v_mul_f32_e32 v176, v177, v175
	s_delay_alu instid0(VALU_DEP_1) | instskip(NEXT) | instid1(VALU_DEP_1)
	v_fma_f32 v178, -v174, v176, v177
	v_fmac_f32_e32 v176, v178, v175
	s_delay_alu instid0(VALU_DEP_1) | instskip(NEXT) | instid1(VALU_DEP_1)
	v_fma_f32 v174, -v174, v176, v177
	v_div_fmas_f32 v174, v174, v175, v176
	s_delay_alu instid0(VALU_DEP_1) | instskip(NEXT) | instid1(VALU_DEP_1)
	v_div_fixup_f32 v175, v174, v172, v173
	v_fmac_f32_e32 v172, v173, v175
	s_delay_alu instid0(VALU_DEP_1) | instskip(NEXT) | instid1(VALU_DEP_1)
	v_div_scale_f32 v173, null, v172, v172, 1.0
	v_rcp_f32_e32 v174, v173
	v_nop
	s_delay_alu instid0(TRANS32_DEP_1) | instskip(NEXT) | instid1(VALU_DEP_1)
	v_fma_f32 v176, -v173, v174, 1.0
	v_fmac_f32_e32 v174, v176, v174
	v_div_scale_f32 v176, vcc_lo, 1.0, v172, 1.0
	s_delay_alu instid0(VALU_DEP_1) | instskip(NEXT) | instid1(VALU_DEP_1)
	v_mul_f32_e32 v177, v176, v174
	v_fma_f32 v178, -v173, v177, v176
	s_delay_alu instid0(VALU_DEP_1) | instskip(NEXT) | instid1(VALU_DEP_1)
	v_fmac_f32_e32 v177, v178, v174
	v_fma_f32 v173, -v173, v177, v176
	s_delay_alu instid0(VALU_DEP_1) | instskip(NEXT) | instid1(VALU_DEP_1)
	v_div_fmas_f32 v173, v173, v174, v177
	v_div_fixup_f32 v174, v173, v172, 1.0
	s_delay_alu instid0(VALU_DEP_1)
	v_mul_f32_e64 v175, v175, -v174
.LBB71_124:
	s_or_b32 exec_lo, exec_lo, s1
	ds_store_b64 v219, v[174:175]
.LBB71_125:
	s_or_b32 exec_lo, exec_lo, s2
	s_wait_dscnt 0x0
	s_barrier_signal -1
	s_barrier_wait -1
	ds_load_b64 v[172:173], v219
	s_mov_b32 s1, exec_lo
	v_cmpx_lt_u32_e32 13, v218
	s_cbranch_execz .LBB71_127
; %bb.126:
	ds_load_2addr_b64 v[178:181], v220 offset0:14 offset1:15
	s_wait_dscnt 0x1
	v_pk_mul_f32 v[176:177], v[172:173], v[58:59] op_sel:[1,1] op_sel_hi:[0,1]
	s_delay_alu instid0(VALU_DEP_1) | instskip(SKIP_1) | instid1(VALU_DEP_1)
	v_pk_fma_f32 v[174:175], v[172:173], v[58:59], v[176:177] op_sel_hi:[1,0,1] neg_lo:[0,0,1] neg_hi:[0,0,1]
	v_pk_fma_f32 v[176:177], v[172:173], v[58:59], v[176:177] op_sel_hi:[1,0,1]
	v_dual_mov_b32 v58, v174 :: v_dual_mov_b32 v59, v177
	s_wait_dscnt 0x0
	s_delay_alu instid0(VALU_DEP_2) | instskip(NEXT) | instid1(VALU_DEP_1)
	v_pk_mul_f32 v[182:183], v[178:179], v[176:177] op_sel:[0,1]
	v_pk_fma_f32 v[184:185], v[178:179], v[174:175], v[182:183] op_sel:[0,0,1] op_sel_hi:[1,1,0] neg_lo:[0,0,1] neg_hi:[0,0,1]
	v_pk_fma_f32 v[178:179], v[178:179], v[174:175], v[182:183] op_sel:[0,0,1] op_sel_hi:[1,0,0]
	s_delay_alu instid0(VALU_DEP_1) | instskip(SKIP_1) | instid1(VALU_DEP_1)
	v_mov_b32_e32 v185, v179
	v_pk_mul_f32 v[178:179], v[180:181], v[176:177] op_sel:[0,1]
	v_pk_fma_f32 v[182:183], v[180:181], v[174:175], v[178:179] op_sel:[0,0,1] op_sel_hi:[1,1,0] neg_lo:[0,0,1] neg_hi:[0,0,1]
	v_pk_fma_f32 v[178:179], v[180:181], v[174:175], v[178:179] op_sel:[0,0,1] op_sel_hi:[1,0,0]
	s_delay_alu instid0(VALU_DEP_1)
	v_mov_b32_e32 v183, v179
	ds_load_2addr_b64 v[178:181], v220 offset0:16 offset1:17
	v_pk_add_f32 v[60:61], v[60:61], v[184:185] neg_lo:[0,1] neg_hi:[0,1]
	v_pk_add_f32 v[92:93], v[92:93], v[182:183] neg_lo:[0,1] neg_hi:[0,1]
	s_wait_dscnt 0x0
	v_pk_mul_f32 v[182:183], v[178:179], v[176:177] op_sel:[0,1]
	s_delay_alu instid0(VALU_DEP_1) | instskip(SKIP_2) | instid1(VALU_DEP_2)
	v_pk_fma_f32 v[184:185], v[178:179], v[174:175], v[182:183] op_sel:[0,0,1] op_sel_hi:[1,1,0] neg_lo:[0,0,1] neg_hi:[0,0,1]
	v_pk_fma_f32 v[178:179], v[178:179], v[174:175], v[182:183] op_sel:[0,0,1] op_sel_hi:[1,0,0]
	v_dual_mul_f32 v182, v181, v177 :: v_dual_mov_b32 v178, v181
	v_dual_mov_b32 v185, v179 :: v_dual_mov_b32 v179, v180
	s_delay_alu instid0(VALU_DEP_2) | instskip(SKIP_1) | instid1(VALU_DEP_3)
	v_pk_fma_f32 v[182:183], v[180:181], v[58:59], v[182:183] op_sel_hi:[1,1,0] neg_lo:[0,0,1] neg_hi:[0,0,1]
	v_mul_f32_e32 v180, v181, v174
	v_pk_add_f32 v[90:91], v[90:91], v[184:185] neg_lo:[0,1] neg_hi:[0,1]
	s_delay_alu instid0(VALU_DEP_2) | instskip(NEXT) | instid1(VALU_DEP_1)
	v_pk_fma_f32 v[178:179], v[178:179], v[58:59], v[180:181] op_sel_hi:[1,1,0]
	v_mov_b32_e32 v183, v179
	ds_load_2addr_b64 v[178:181], v220 offset0:18 offset1:19
	v_pk_add_f32 v[114:115], v[114:115], v[182:183] neg_lo:[0,1] neg_hi:[0,1]
	s_wait_dscnt 0x0
	v_pk_mul_f32 v[182:183], v[178:179], v[176:177] op_sel:[0,1]
	s_delay_alu instid0(VALU_DEP_1) | instskip(SKIP_1) | instid1(VALU_DEP_1)
	v_pk_fma_f32 v[184:185], v[178:179], v[174:175], v[182:183] op_sel:[0,0,1] op_sel_hi:[1,1,0] neg_lo:[0,0,1] neg_hi:[0,0,1]
	v_pk_fma_f32 v[178:179], v[178:179], v[174:175], v[182:183] op_sel:[0,0,1] op_sel_hi:[1,0,0]
	v_mov_b32_e32 v185, v179
	v_pk_mul_f32 v[178:179], v[180:181], v[176:177] op_sel:[0,1]
	s_delay_alu instid0(VALU_DEP_1) | instskip(SKIP_1) | instid1(VALU_DEP_1)
	v_pk_fma_f32 v[182:183], v[180:181], v[174:175], v[178:179] op_sel:[0,0,1] op_sel_hi:[1,1,0] neg_lo:[0,0,1] neg_hi:[0,0,1]
	v_pk_fma_f32 v[178:179], v[180:181], v[174:175], v[178:179] op_sel:[0,0,1] op_sel_hi:[1,0,0]
	v_mov_b32_e32 v183, v179
	ds_load_2addr_b64 v[178:181], v220 offset0:20 offset1:21
	v_pk_add_f32 v[116:117], v[116:117], v[184:185] neg_lo:[0,1] neg_hi:[0,1]
	v_pk_add_f32 v[112:113], v[112:113], v[182:183] neg_lo:[0,1] neg_hi:[0,1]
	s_wait_dscnt 0x0
	v_pk_mul_f32 v[182:183], v[178:179], v[176:177] op_sel:[0,1]
	s_delay_alu instid0(VALU_DEP_1) | instskip(SKIP_1) | instid1(VALU_DEP_1)
	v_pk_fma_f32 v[184:185], v[178:179], v[174:175], v[182:183] op_sel:[0,0,1] op_sel_hi:[1,1,0] neg_lo:[0,0,1] neg_hi:[0,0,1]
	v_pk_fma_f32 v[178:179], v[178:179], v[174:175], v[182:183] op_sel:[0,0,1] op_sel_hi:[1,0,0]
	v_mov_b32_e32 v185, v179
	v_pk_mul_f32 v[178:179], v[180:181], v[176:177] op_sel:[0,1]
	s_delay_alu instid0(VALU_DEP_1) | instskip(SKIP_1) | instid1(VALU_DEP_1)
	v_pk_fma_f32 v[182:183], v[180:181], v[174:175], v[178:179] op_sel:[0,0,1] op_sel_hi:[1,1,0] neg_lo:[0,0,1] neg_hi:[0,0,1]
	v_pk_fma_f32 v[178:179], v[180:181], v[174:175], v[178:179] op_sel:[0,0,1] op_sel_hi:[1,0,0]
	v_mov_b32_e32 v183, v179
	ds_load_2addr_b64 v[178:181], v220 offset0:22 offset1:23
	v_pk_add_f32 v[102:103], v[102:103], v[184:185] neg_lo:[0,1] neg_hi:[0,1]
	v_pk_add_f32 v[128:129], v[128:129], v[182:183] neg_lo:[0,1] neg_hi:[0,1]
	s_wait_dscnt 0x0
	v_dual_mul_f32 v182, v179, v177 :: v_dual_mul_f32 v184, v179, v174
	s_delay_alu instid0(VALU_DEP_1) | instskip(NEXT) | instid1(VALU_DEP_2)
	v_pk_fma_f32 v[182:183], v[178:179], v[58:59], v[182:183] op_sel_hi:[1,1,0] neg_lo:[0,0,1] neg_hi:[0,0,1]
	v_pk_fma_f32 v[178:179], v[178:179], v[58:59], v[184:185] op_sel:[1,0,0] op_sel_hi:[0,1,0]
	s_delay_alu instid0(VALU_DEP_1) | instskip(SKIP_1) | instid1(VALU_DEP_2)
	v_mov_b32_e32 v183, v179
	v_pk_mul_f32 v[178:179], v[180:181], v[176:177] op_sel:[0,1]
	v_pk_add_f32 v[130:131], v[130:131], v[182:183] neg_lo:[0,1] neg_hi:[0,1]
	s_delay_alu instid0(VALU_DEP_2) | instskip(SKIP_1) | instid1(VALU_DEP_1)
	v_pk_fma_f32 v[182:183], v[180:181], v[174:175], v[178:179] op_sel:[0,0,1] op_sel_hi:[1,1,0] neg_lo:[0,0,1] neg_hi:[0,0,1]
	v_pk_fma_f32 v[178:179], v[180:181], v[174:175], v[178:179] op_sel:[0,0,1] op_sel_hi:[1,0,0]
	v_mov_b32_e32 v183, v179
	ds_load_2addr_b64 v[178:181], v220 offset0:24 offset1:25
	v_pk_add_f32 v[126:127], v[126:127], v[182:183] neg_lo:[0,1] neg_hi:[0,1]
	s_wait_dscnt 0x0
	v_pk_mul_f32 v[182:183], v[178:179], v[176:177] op_sel:[0,1]
	s_delay_alu instid0(VALU_DEP_1) | instskip(SKIP_1) | instid1(VALU_DEP_1)
	v_pk_fma_f32 v[184:185], v[178:179], v[174:175], v[182:183] op_sel:[0,0,1] op_sel_hi:[1,1,0] neg_lo:[0,0,1] neg_hi:[0,0,1]
	v_pk_fma_f32 v[178:179], v[178:179], v[174:175], v[182:183] op_sel:[0,0,1] op_sel_hi:[1,0,0]
	v_mov_b32_e32 v185, v179
	v_pk_mul_f32 v[178:179], v[180:181], v[176:177] op_sel:[0,1]
	s_delay_alu instid0(VALU_DEP_2) | instskip(NEXT) | instid1(VALU_DEP_2)
	v_pk_add_f32 v[144:145], v[144:145], v[184:185] neg_lo:[0,1] neg_hi:[0,1]
	v_pk_fma_f32 v[182:183], v[180:181], v[174:175], v[178:179] op_sel:[0,0,1] op_sel_hi:[1,1,0] neg_lo:[0,0,1] neg_hi:[0,0,1]
	v_pk_fma_f32 v[178:179], v[180:181], v[174:175], v[178:179] op_sel:[0,0,1] op_sel_hi:[1,0,0]
	s_delay_alu instid0(VALU_DEP_1) | instskip(SKIP_4) | instid1(VALU_DEP_1)
	v_mov_b32_e32 v183, v179
	ds_load_2addr_b64 v[178:181], v220 offset0:26 offset1:27
	v_pk_add_f32 v[138:139], v[138:139], v[182:183] neg_lo:[0,1] neg_hi:[0,1]
	s_wait_dscnt 0x0
	v_pk_mul_f32 v[182:183], v[178:179], v[176:177] op_sel:[0,1]
	v_pk_fma_f32 v[184:185], v[178:179], v[174:175], v[182:183] op_sel:[0,0,1] op_sel_hi:[1,1,0] neg_lo:[0,0,1] neg_hi:[0,0,1]
	v_pk_fma_f32 v[178:179], v[178:179], v[174:175], v[182:183] op_sel:[0,0,1] op_sel_hi:[1,0,0]
	v_dual_mul_f32 v182, v181, v177 :: v_dual_mov_b32 v178, v181
	s_delay_alu instid0(VALU_DEP_2) | instskip(NEXT) | instid1(VALU_DEP_2)
	v_dual_mov_b32 v185, v179 :: v_dual_mov_b32 v179, v180
	v_pk_fma_f32 v[182:183], v[180:181], v[58:59], v[182:183] op_sel_hi:[1,1,0] neg_lo:[0,0,1] neg_hi:[0,0,1]
	v_mul_f32_e32 v180, v181, v174
	s_delay_alu instid0(VALU_DEP_3) | instskip(NEXT) | instid1(VALU_DEP_2)
	v_pk_add_f32 v[140:141], v[140:141], v[184:185] neg_lo:[0,1] neg_hi:[0,1]
	v_pk_fma_f32 v[178:179], v[178:179], v[58:59], v[180:181] op_sel_hi:[1,1,0]
	s_delay_alu instid0(VALU_DEP_1) | instskip(SKIP_4) | instid1(VALU_DEP_1)
	v_mov_b32_e32 v183, v179
	ds_load_2addr_b64 v[178:181], v220 offset0:28 offset1:29
	v_pk_add_f32 v[98:99], v[98:99], v[182:183] neg_lo:[0,1] neg_hi:[0,1]
	s_wait_dscnt 0x0
	v_pk_mul_f32 v[182:183], v[178:179], v[176:177] op_sel:[0,1]
	v_pk_fma_f32 v[184:185], v[178:179], v[174:175], v[182:183] op_sel:[0,0,1] op_sel_hi:[1,1,0] neg_lo:[0,0,1] neg_hi:[0,0,1]
	v_pk_fma_f32 v[178:179], v[178:179], v[174:175], v[182:183] op_sel:[0,0,1] op_sel_hi:[1,0,0]
	s_delay_alu instid0(VALU_DEP_1) | instskip(SKIP_1) | instid1(VALU_DEP_1)
	v_mov_b32_e32 v185, v179
	v_pk_mul_f32 v[178:179], v[180:181], v[176:177] op_sel:[0,1]
	v_pk_fma_f32 v[182:183], v[180:181], v[174:175], v[178:179] op_sel:[0,0,1] op_sel_hi:[1,1,0] neg_lo:[0,0,1] neg_hi:[0,0,1]
	v_pk_fma_f32 v[178:179], v[180:181], v[174:175], v[178:179] op_sel:[0,0,1] op_sel_hi:[1,0,0]
	s_delay_alu instid0(VALU_DEP_1)
	v_mov_b32_e32 v183, v179
	ds_load_2addr_b64 v[178:181], v220 offset0:30 offset1:31
	v_pk_add_f32 v[124:125], v[124:125], v[184:185] neg_lo:[0,1] neg_hi:[0,1]
	v_pk_add_f32 v[120:121], v[120:121], v[182:183] neg_lo:[0,1] neg_hi:[0,1]
	s_wait_dscnt 0x0
	v_pk_mul_f32 v[182:183], v[178:179], v[176:177] op_sel:[0,1]
	s_delay_alu instid0(VALU_DEP_1) | instskip(SKIP_1) | instid1(VALU_DEP_1)
	v_pk_fma_f32 v[184:185], v[178:179], v[174:175], v[182:183] op_sel:[0,0,1] op_sel_hi:[1,1,0] neg_lo:[0,0,1] neg_hi:[0,0,1]
	v_pk_fma_f32 v[178:179], v[178:179], v[174:175], v[182:183] op_sel:[0,0,1] op_sel_hi:[1,0,0]
	v_mov_b32_e32 v185, v179
	v_pk_mul_f32 v[178:179], v[180:181], v[176:177] op_sel:[0,1]
	s_delay_alu instid0(VALU_DEP_1) | instskip(SKIP_1) | instid1(VALU_DEP_1)
	v_pk_fma_f32 v[182:183], v[180:181], v[174:175], v[178:179] op_sel:[0,0,1] op_sel_hi:[1,1,0] neg_lo:[0,0,1] neg_hi:[0,0,1]
	v_pk_fma_f32 v[178:179], v[180:181], v[174:175], v[178:179] op_sel:[0,0,1] op_sel_hi:[1,0,0]
	v_mov_b32_e32 v183, v179
	ds_load_2addr_b64 v[178:181], v220 offset0:32 offset1:33
	v_pk_add_f32 v[122:123], v[122:123], v[184:185] neg_lo:[0,1] neg_hi:[0,1]
	v_pk_add_f32 v[118:119], v[118:119], v[182:183] neg_lo:[0,1] neg_hi:[0,1]
	s_wait_dscnt 0x0
	v_dual_mul_f32 v182, v179, v177 :: v_dual_mul_f32 v184, v179, v174
	s_delay_alu instid0(VALU_DEP_1) | instskip(NEXT) | instid1(VALU_DEP_2)
	v_pk_fma_f32 v[182:183], v[178:179], v[58:59], v[182:183] op_sel_hi:[1,1,0] neg_lo:[0,0,1] neg_hi:[0,0,1]
	v_pk_fma_f32 v[178:179], v[178:179], v[58:59], v[184:185] op_sel:[1,0,0] op_sel_hi:[0,1,0]
	s_delay_alu instid0(VALU_DEP_1) | instskip(SKIP_1) | instid1(VALU_DEP_2)
	v_mov_b32_e32 v183, v179
	v_pk_mul_f32 v[178:179], v[180:181], v[176:177] op_sel:[0,1]
	v_pk_add_f32 v[136:137], v[136:137], v[182:183] neg_lo:[0,1] neg_hi:[0,1]
	s_delay_alu instid0(VALU_DEP_2) | instskip(SKIP_1) | instid1(VALU_DEP_1)
	v_pk_fma_f32 v[182:183], v[180:181], v[174:175], v[178:179] op_sel:[0,0,1] op_sel_hi:[1,1,0] neg_lo:[0,0,1] neg_hi:[0,0,1]
	v_pk_fma_f32 v[178:179], v[180:181], v[174:175], v[178:179] op_sel:[0,0,1] op_sel_hi:[1,0,0]
	v_mov_b32_e32 v183, v179
	ds_load_2addr_b64 v[178:181], v220 offset0:34 offset1:35
	v_pk_add_f32 v[134:135], v[134:135], v[182:183] neg_lo:[0,1] neg_hi:[0,1]
	s_wait_dscnt 0x0
	v_pk_mul_f32 v[182:183], v[178:179], v[176:177] op_sel:[0,1]
	v_pk_mul_f32 v[176:177], v[180:181], v[176:177] op_sel:[0,1]
	s_delay_alu instid0(VALU_DEP_2) | instskip(SKIP_1) | instid1(VALU_DEP_1)
	v_pk_fma_f32 v[184:185], v[178:179], v[174:175], v[182:183] op_sel:[0,0,1] op_sel_hi:[1,1,0] neg_lo:[0,0,1] neg_hi:[0,0,1]
	v_pk_fma_f32 v[178:179], v[178:179], v[174:175], v[182:183] op_sel:[0,0,1] op_sel_hi:[1,0,0]
	v_mov_b32_e32 v185, v179
	s_delay_alu instid0(VALU_DEP_4) | instskip(SKIP_1) | instid1(VALU_DEP_3)
	v_pk_fma_f32 v[178:179], v[180:181], v[174:175], v[176:177] op_sel:[0,0,1] op_sel_hi:[1,1,0] neg_lo:[0,0,1] neg_hi:[0,0,1]
	v_pk_fma_f32 v[174:175], v[180:181], v[174:175], v[176:177] op_sel:[0,0,1] op_sel_hi:[1,0,0]
	v_pk_add_f32 v[132:133], v[132:133], v[184:185] neg_lo:[0,1] neg_hi:[0,1]
	s_delay_alu instid0(VALU_DEP_2) | instskip(NEXT) | instid1(VALU_DEP_1)
	v_mov_b32_e32 v179, v175
	v_pk_add_f32 v[142:143], v[142:143], v[178:179] neg_lo:[0,1] neg_hi:[0,1]
.LBB71_127:
	s_or_b32 exec_lo, exec_lo, s1
	s_delay_alu instid0(SALU_CYCLE_1)
	s_mov_b32 s2, exec_lo
	s_wait_dscnt 0x0
	s_barrier_signal -1
	s_barrier_wait -1
	v_cmpx_eq_u32_e32 14, v218
	s_cbranch_execz .LBB71_134
; %bb.128:
	ds_store_b64 v219, v[60:61]
	ds_store_2addr_b64 v220, v[92:93], v[90:91] offset0:15 offset1:16
	ds_store_2addr_b64 v220, v[114:115], v[116:117] offset0:17 offset1:18
	;; [unrolled: 1-line block ×10, first 2 shown]
	ds_store_b64 v220, v[142:143] offset:280
	ds_load_b64 v[174:175], v219
	s_wait_dscnt 0x0
	v_cmp_neq_f32_e32 vcc_lo, 0, v174
	v_cmp_neq_f32_e64 s1, 0, v175
	s_or_b32 s1, vcc_lo, s1
	s_delay_alu instid0(SALU_CYCLE_1)
	s_and_b32 exec_lo, exec_lo, s1
	s_cbranch_execz .LBB71_134
; %bb.129:
	v_cmp_ngt_f32_e64 s1, |v174|, |v175|
                                        ; implicit-def: $vgpr176_vgpr177
	s_and_saveexec_b32 s4, s1
	s_delay_alu instid0(SALU_CYCLE_1)
	s_xor_b32 s1, exec_lo, s4
	s_cbranch_execz .LBB71_131
; %bb.130:
	v_div_scale_f32 v176, null, v175, v175, v174
	v_div_scale_f32 v179, vcc_lo, v174, v175, v174
	s_delay_alu instid0(VALU_DEP_2) | instskip(SKIP_1) | instid1(TRANS32_DEP_1)
	v_rcp_f32_e32 v177, v176
	v_nop
	v_fma_f32 v178, -v176, v177, 1.0
	s_delay_alu instid0(VALU_DEP_1) | instskip(NEXT) | instid1(VALU_DEP_1)
	v_fmac_f32_e32 v177, v178, v177
	v_mul_f32_e32 v178, v179, v177
	s_delay_alu instid0(VALU_DEP_1) | instskip(NEXT) | instid1(VALU_DEP_1)
	v_fma_f32 v180, -v176, v178, v179
	v_fmac_f32_e32 v178, v180, v177
	s_delay_alu instid0(VALU_DEP_1) | instskip(NEXT) | instid1(VALU_DEP_1)
	v_fma_f32 v176, -v176, v178, v179
	v_div_fmas_f32 v176, v176, v177, v178
	s_delay_alu instid0(VALU_DEP_1) | instskip(NEXT) | instid1(VALU_DEP_1)
	v_div_fixup_f32 v176, v176, v175, v174
	v_fmac_f32_e32 v175, v174, v176
	s_delay_alu instid0(VALU_DEP_1) | instskip(SKIP_1) | instid1(VALU_DEP_2)
	v_div_scale_f32 v174, null, v175, v175, 1.0
	v_div_scale_f32 v179, vcc_lo, 1.0, v175, 1.0
	v_rcp_f32_e32 v177, v174
	v_nop
	s_delay_alu instid0(TRANS32_DEP_1) | instskip(NEXT) | instid1(VALU_DEP_1)
	v_fma_f32 v178, -v174, v177, 1.0
	v_fmac_f32_e32 v177, v178, v177
	s_delay_alu instid0(VALU_DEP_1) | instskip(NEXT) | instid1(VALU_DEP_1)
	v_mul_f32_e32 v178, v179, v177
	v_fma_f32 v180, -v174, v178, v179
	s_delay_alu instid0(VALU_DEP_1) | instskip(NEXT) | instid1(VALU_DEP_1)
	v_fmac_f32_e32 v178, v180, v177
	v_fma_f32 v174, -v174, v178, v179
	s_delay_alu instid0(VALU_DEP_1) | instskip(NEXT) | instid1(VALU_DEP_1)
	v_div_fmas_f32 v174, v174, v177, v178
	v_div_fixup_f32 v174, v174, v175, 1.0
	s_delay_alu instid0(VALU_DEP_1)
	v_mul_f32_e32 v176, v176, v174
	v_xor_b32_e32 v177, 0x80000000, v174
                                        ; implicit-def: $vgpr174_vgpr175
.LBB71_131:
	s_and_not1_saveexec_b32 s1, s1
	s_cbranch_execz .LBB71_133
; %bb.132:
	v_div_scale_f32 v176, null, v174, v174, v175
	v_div_scale_f32 v179, vcc_lo, v175, v174, v175
	s_delay_alu instid0(VALU_DEP_2) | instskip(SKIP_1) | instid1(TRANS32_DEP_1)
	v_rcp_f32_e32 v177, v176
	v_nop
	v_fma_f32 v178, -v176, v177, 1.0
	s_delay_alu instid0(VALU_DEP_1) | instskip(NEXT) | instid1(VALU_DEP_1)
	v_fmac_f32_e32 v177, v178, v177
	v_mul_f32_e32 v178, v179, v177
	s_delay_alu instid0(VALU_DEP_1) | instskip(NEXT) | instid1(VALU_DEP_1)
	v_fma_f32 v180, -v176, v178, v179
	v_fmac_f32_e32 v178, v180, v177
	s_delay_alu instid0(VALU_DEP_1) | instskip(NEXT) | instid1(VALU_DEP_1)
	v_fma_f32 v176, -v176, v178, v179
	v_div_fmas_f32 v176, v176, v177, v178
	s_delay_alu instid0(VALU_DEP_1) | instskip(NEXT) | instid1(VALU_DEP_1)
	v_div_fixup_f32 v177, v176, v174, v175
	v_fmac_f32_e32 v174, v175, v177
	s_delay_alu instid0(VALU_DEP_1) | instskip(NEXT) | instid1(VALU_DEP_1)
	v_div_scale_f32 v175, null, v174, v174, 1.0
	v_rcp_f32_e32 v176, v175
	v_nop
	s_delay_alu instid0(TRANS32_DEP_1) | instskip(NEXT) | instid1(VALU_DEP_1)
	v_fma_f32 v178, -v175, v176, 1.0
	v_fmac_f32_e32 v176, v178, v176
	v_div_scale_f32 v178, vcc_lo, 1.0, v174, 1.0
	s_delay_alu instid0(VALU_DEP_1) | instskip(NEXT) | instid1(VALU_DEP_1)
	v_mul_f32_e32 v179, v178, v176
	v_fma_f32 v180, -v175, v179, v178
	s_delay_alu instid0(VALU_DEP_1) | instskip(NEXT) | instid1(VALU_DEP_1)
	v_fmac_f32_e32 v179, v180, v176
	v_fma_f32 v175, -v175, v179, v178
	s_delay_alu instid0(VALU_DEP_1) | instskip(NEXT) | instid1(VALU_DEP_1)
	v_div_fmas_f32 v175, v175, v176, v179
	v_div_fixup_f32 v176, v175, v174, 1.0
	s_delay_alu instid0(VALU_DEP_1)
	v_mul_f32_e64 v177, v177, -v176
.LBB71_133:
	s_or_b32 exec_lo, exec_lo, s1
	ds_store_b64 v219, v[176:177]
.LBB71_134:
	s_or_b32 exec_lo, exec_lo, s2
	s_wait_dscnt 0x0
	s_barrier_signal -1
	s_barrier_wait -1
	ds_load_b64 v[174:175], v219
	s_mov_b32 s1, exec_lo
	v_cmpx_lt_u32_e32 14, v218
	s_cbranch_execz .LBB71_136
; %bb.135:
	ds_load_2addr_b64 v[180:183], v220 offset0:15 offset1:16
	s_wait_dscnt 0x1
	v_pk_mul_f32 v[178:179], v[174:175], v[60:61] op_sel:[1,1] op_sel_hi:[0,1]
	s_delay_alu instid0(VALU_DEP_1) | instskip(SKIP_1) | instid1(VALU_DEP_1)
	v_pk_fma_f32 v[176:177], v[174:175], v[60:61], v[178:179] op_sel_hi:[1,0,1] neg_lo:[0,0,1] neg_hi:[0,0,1]
	v_pk_fma_f32 v[178:179], v[174:175], v[60:61], v[178:179] op_sel_hi:[1,0,1]
	v_dual_mov_b32 v60, v176 :: v_dual_mov_b32 v61, v179
	s_wait_dscnt 0x0
	s_delay_alu instid0(VALU_DEP_2) | instskip(NEXT) | instid1(VALU_DEP_1)
	v_pk_mul_f32 v[184:185], v[180:181], v[178:179] op_sel:[0,1]
	v_pk_fma_f32 v[186:187], v[180:181], v[176:177], v[184:185] op_sel:[0,0,1] op_sel_hi:[1,1,0] neg_lo:[0,0,1] neg_hi:[0,0,1]
	v_pk_fma_f32 v[180:181], v[180:181], v[176:177], v[184:185] op_sel:[0,0,1] op_sel_hi:[1,0,0]
	s_delay_alu instid0(VALU_DEP_1) | instskip(SKIP_1) | instid1(VALU_DEP_1)
	v_mov_b32_e32 v187, v181
	v_pk_mul_f32 v[180:181], v[182:183], v[178:179] op_sel:[0,1]
	v_pk_fma_f32 v[184:185], v[182:183], v[176:177], v[180:181] op_sel:[0,0,1] op_sel_hi:[1,1,0] neg_lo:[0,0,1] neg_hi:[0,0,1]
	v_pk_fma_f32 v[180:181], v[182:183], v[176:177], v[180:181] op_sel:[0,0,1] op_sel_hi:[1,0,0]
	s_delay_alu instid0(VALU_DEP_1)
	v_mov_b32_e32 v185, v181
	ds_load_2addr_b64 v[180:183], v220 offset0:17 offset1:18
	v_pk_add_f32 v[92:93], v[92:93], v[186:187] neg_lo:[0,1] neg_hi:[0,1]
	v_pk_add_f32 v[90:91], v[90:91], v[184:185] neg_lo:[0,1] neg_hi:[0,1]
	s_wait_dscnt 0x0
	v_pk_mul_f32 v[184:185], v[180:181], v[178:179] op_sel:[0,1]
	s_delay_alu instid0(VALU_DEP_1) | instskip(SKIP_2) | instid1(VALU_DEP_2)
	v_pk_fma_f32 v[186:187], v[180:181], v[176:177], v[184:185] op_sel:[0,0,1] op_sel_hi:[1,1,0] neg_lo:[0,0,1] neg_hi:[0,0,1]
	v_pk_fma_f32 v[180:181], v[180:181], v[176:177], v[184:185] op_sel:[0,0,1] op_sel_hi:[1,0,0]
	v_dual_mul_f32 v184, v183, v179 :: v_dual_mov_b32 v180, v183
	v_dual_mov_b32 v187, v181 :: v_dual_mov_b32 v181, v182
	s_delay_alu instid0(VALU_DEP_2) | instskip(SKIP_1) | instid1(VALU_DEP_3)
	v_pk_fma_f32 v[184:185], v[182:183], v[60:61], v[184:185] op_sel_hi:[1,1,0] neg_lo:[0,0,1] neg_hi:[0,0,1]
	v_mul_f32_e32 v182, v183, v176
	v_pk_add_f32 v[114:115], v[114:115], v[186:187] neg_lo:[0,1] neg_hi:[0,1]
	s_delay_alu instid0(VALU_DEP_2) | instskip(NEXT) | instid1(VALU_DEP_1)
	v_pk_fma_f32 v[180:181], v[180:181], v[60:61], v[182:183] op_sel_hi:[1,1,0]
	v_mov_b32_e32 v185, v181
	ds_load_2addr_b64 v[180:183], v220 offset0:19 offset1:20
	v_pk_add_f32 v[116:117], v[116:117], v[184:185] neg_lo:[0,1] neg_hi:[0,1]
	s_wait_dscnt 0x0
	v_pk_mul_f32 v[184:185], v[180:181], v[178:179] op_sel:[0,1]
	s_delay_alu instid0(VALU_DEP_1) | instskip(SKIP_1) | instid1(VALU_DEP_1)
	v_pk_fma_f32 v[186:187], v[180:181], v[176:177], v[184:185] op_sel:[0,0,1] op_sel_hi:[1,1,0] neg_lo:[0,0,1] neg_hi:[0,0,1]
	v_pk_fma_f32 v[180:181], v[180:181], v[176:177], v[184:185] op_sel:[0,0,1] op_sel_hi:[1,0,0]
	v_mov_b32_e32 v187, v181
	v_pk_mul_f32 v[180:181], v[182:183], v[178:179] op_sel:[0,1]
	s_delay_alu instid0(VALU_DEP_1) | instskip(SKIP_1) | instid1(VALU_DEP_1)
	v_pk_fma_f32 v[184:185], v[182:183], v[176:177], v[180:181] op_sel:[0,0,1] op_sel_hi:[1,1,0] neg_lo:[0,0,1] neg_hi:[0,0,1]
	v_pk_fma_f32 v[180:181], v[182:183], v[176:177], v[180:181] op_sel:[0,0,1] op_sel_hi:[1,0,0]
	v_mov_b32_e32 v185, v181
	ds_load_2addr_b64 v[180:183], v220 offset0:21 offset1:22
	v_pk_add_f32 v[112:113], v[112:113], v[186:187] neg_lo:[0,1] neg_hi:[0,1]
	v_pk_add_f32 v[102:103], v[102:103], v[184:185] neg_lo:[0,1] neg_hi:[0,1]
	s_wait_dscnt 0x0
	v_pk_mul_f32 v[184:185], v[180:181], v[178:179] op_sel:[0,1]
	s_delay_alu instid0(VALU_DEP_1) | instskip(SKIP_1) | instid1(VALU_DEP_1)
	v_pk_fma_f32 v[186:187], v[180:181], v[176:177], v[184:185] op_sel:[0,0,1] op_sel_hi:[1,1,0] neg_lo:[0,0,1] neg_hi:[0,0,1]
	v_pk_fma_f32 v[180:181], v[180:181], v[176:177], v[184:185] op_sel:[0,0,1] op_sel_hi:[1,0,0]
	v_mov_b32_e32 v187, v181
	v_pk_mul_f32 v[180:181], v[182:183], v[178:179] op_sel:[0,1]
	s_delay_alu instid0(VALU_DEP_1) | instskip(SKIP_1) | instid1(VALU_DEP_1)
	v_pk_fma_f32 v[184:185], v[182:183], v[176:177], v[180:181] op_sel:[0,0,1] op_sel_hi:[1,1,0] neg_lo:[0,0,1] neg_hi:[0,0,1]
	v_pk_fma_f32 v[180:181], v[182:183], v[176:177], v[180:181] op_sel:[0,0,1] op_sel_hi:[1,0,0]
	v_mov_b32_e32 v185, v181
	ds_load_2addr_b64 v[180:183], v220 offset0:23 offset1:24
	v_pk_add_f32 v[128:129], v[128:129], v[186:187] neg_lo:[0,1] neg_hi:[0,1]
	v_pk_add_f32 v[130:131], v[130:131], v[184:185] neg_lo:[0,1] neg_hi:[0,1]
	s_wait_dscnt 0x0
	v_dual_mul_f32 v184, v181, v179 :: v_dual_mul_f32 v186, v181, v176
	s_delay_alu instid0(VALU_DEP_1) | instskip(NEXT) | instid1(VALU_DEP_2)
	v_pk_fma_f32 v[184:185], v[180:181], v[60:61], v[184:185] op_sel_hi:[1,1,0] neg_lo:[0,0,1] neg_hi:[0,0,1]
	v_pk_fma_f32 v[180:181], v[180:181], v[60:61], v[186:187] op_sel:[1,0,0] op_sel_hi:[0,1,0]
	s_delay_alu instid0(VALU_DEP_1) | instskip(SKIP_1) | instid1(VALU_DEP_2)
	v_mov_b32_e32 v185, v181
	v_pk_mul_f32 v[180:181], v[182:183], v[178:179] op_sel:[0,1]
	v_pk_add_f32 v[126:127], v[126:127], v[184:185] neg_lo:[0,1] neg_hi:[0,1]
	s_delay_alu instid0(VALU_DEP_2) | instskip(SKIP_1) | instid1(VALU_DEP_1)
	v_pk_fma_f32 v[184:185], v[182:183], v[176:177], v[180:181] op_sel:[0,0,1] op_sel_hi:[1,1,0] neg_lo:[0,0,1] neg_hi:[0,0,1]
	v_pk_fma_f32 v[180:181], v[182:183], v[176:177], v[180:181] op_sel:[0,0,1] op_sel_hi:[1,0,0]
	v_mov_b32_e32 v185, v181
	ds_load_2addr_b64 v[180:183], v220 offset0:25 offset1:26
	v_pk_add_f32 v[144:145], v[144:145], v[184:185] neg_lo:[0,1] neg_hi:[0,1]
	s_wait_dscnt 0x0
	v_pk_mul_f32 v[184:185], v[180:181], v[178:179] op_sel:[0,1]
	s_delay_alu instid0(VALU_DEP_1) | instskip(SKIP_1) | instid1(VALU_DEP_1)
	v_pk_fma_f32 v[186:187], v[180:181], v[176:177], v[184:185] op_sel:[0,0,1] op_sel_hi:[1,1,0] neg_lo:[0,0,1] neg_hi:[0,0,1]
	v_pk_fma_f32 v[180:181], v[180:181], v[176:177], v[184:185] op_sel:[0,0,1] op_sel_hi:[1,0,0]
	v_mov_b32_e32 v187, v181
	v_pk_mul_f32 v[180:181], v[182:183], v[178:179] op_sel:[0,1]
	s_delay_alu instid0(VALU_DEP_2) | instskip(NEXT) | instid1(VALU_DEP_2)
	v_pk_add_f32 v[138:139], v[138:139], v[186:187] neg_lo:[0,1] neg_hi:[0,1]
	v_pk_fma_f32 v[184:185], v[182:183], v[176:177], v[180:181] op_sel:[0,0,1] op_sel_hi:[1,1,0] neg_lo:[0,0,1] neg_hi:[0,0,1]
	v_pk_fma_f32 v[180:181], v[182:183], v[176:177], v[180:181] op_sel:[0,0,1] op_sel_hi:[1,0,0]
	s_delay_alu instid0(VALU_DEP_1) | instskip(SKIP_4) | instid1(VALU_DEP_1)
	v_mov_b32_e32 v185, v181
	ds_load_2addr_b64 v[180:183], v220 offset0:27 offset1:28
	v_pk_add_f32 v[140:141], v[140:141], v[184:185] neg_lo:[0,1] neg_hi:[0,1]
	s_wait_dscnt 0x0
	v_pk_mul_f32 v[184:185], v[180:181], v[178:179] op_sel:[0,1]
	v_pk_fma_f32 v[186:187], v[180:181], v[176:177], v[184:185] op_sel:[0,0,1] op_sel_hi:[1,1,0] neg_lo:[0,0,1] neg_hi:[0,0,1]
	v_pk_fma_f32 v[180:181], v[180:181], v[176:177], v[184:185] op_sel:[0,0,1] op_sel_hi:[1,0,0]
	v_dual_mul_f32 v184, v183, v179 :: v_dual_mov_b32 v180, v183
	s_delay_alu instid0(VALU_DEP_2) | instskip(NEXT) | instid1(VALU_DEP_2)
	v_dual_mov_b32 v187, v181 :: v_dual_mov_b32 v181, v182
	v_pk_fma_f32 v[184:185], v[182:183], v[60:61], v[184:185] op_sel_hi:[1,1,0] neg_lo:[0,0,1] neg_hi:[0,0,1]
	v_mul_f32_e32 v182, v183, v176
	s_delay_alu instid0(VALU_DEP_3) | instskip(NEXT) | instid1(VALU_DEP_2)
	v_pk_add_f32 v[98:99], v[98:99], v[186:187] neg_lo:[0,1] neg_hi:[0,1]
	v_pk_fma_f32 v[180:181], v[180:181], v[60:61], v[182:183] op_sel_hi:[1,1,0]
	s_delay_alu instid0(VALU_DEP_1) | instskip(SKIP_4) | instid1(VALU_DEP_1)
	v_mov_b32_e32 v185, v181
	ds_load_2addr_b64 v[180:183], v220 offset0:29 offset1:30
	v_pk_add_f32 v[124:125], v[124:125], v[184:185] neg_lo:[0,1] neg_hi:[0,1]
	s_wait_dscnt 0x0
	v_pk_mul_f32 v[184:185], v[180:181], v[178:179] op_sel:[0,1]
	v_pk_fma_f32 v[186:187], v[180:181], v[176:177], v[184:185] op_sel:[0,0,1] op_sel_hi:[1,1,0] neg_lo:[0,0,1] neg_hi:[0,0,1]
	v_pk_fma_f32 v[180:181], v[180:181], v[176:177], v[184:185] op_sel:[0,0,1] op_sel_hi:[1,0,0]
	s_delay_alu instid0(VALU_DEP_1) | instskip(SKIP_1) | instid1(VALU_DEP_1)
	v_mov_b32_e32 v187, v181
	v_pk_mul_f32 v[180:181], v[182:183], v[178:179] op_sel:[0,1]
	v_pk_fma_f32 v[184:185], v[182:183], v[176:177], v[180:181] op_sel:[0,0,1] op_sel_hi:[1,1,0] neg_lo:[0,0,1] neg_hi:[0,0,1]
	v_pk_fma_f32 v[180:181], v[182:183], v[176:177], v[180:181] op_sel:[0,0,1] op_sel_hi:[1,0,0]
	s_delay_alu instid0(VALU_DEP_1)
	v_mov_b32_e32 v185, v181
	ds_load_2addr_b64 v[180:183], v220 offset0:31 offset1:32
	v_pk_add_f32 v[120:121], v[120:121], v[186:187] neg_lo:[0,1] neg_hi:[0,1]
	v_pk_add_f32 v[122:123], v[122:123], v[184:185] neg_lo:[0,1] neg_hi:[0,1]
	s_wait_dscnt 0x0
	v_pk_mul_f32 v[184:185], v[180:181], v[178:179] op_sel:[0,1]
	s_delay_alu instid0(VALU_DEP_1) | instskip(SKIP_1) | instid1(VALU_DEP_1)
	v_pk_fma_f32 v[186:187], v[180:181], v[176:177], v[184:185] op_sel:[0,0,1] op_sel_hi:[1,1,0] neg_lo:[0,0,1] neg_hi:[0,0,1]
	v_pk_fma_f32 v[180:181], v[180:181], v[176:177], v[184:185] op_sel:[0,0,1] op_sel_hi:[1,0,0]
	v_mov_b32_e32 v187, v181
	v_pk_mul_f32 v[180:181], v[182:183], v[178:179] op_sel:[0,1]
	s_delay_alu instid0(VALU_DEP_1) | instskip(SKIP_1) | instid1(VALU_DEP_1)
	v_pk_fma_f32 v[184:185], v[182:183], v[176:177], v[180:181] op_sel:[0,0,1] op_sel_hi:[1,1,0] neg_lo:[0,0,1] neg_hi:[0,0,1]
	v_pk_fma_f32 v[180:181], v[182:183], v[176:177], v[180:181] op_sel:[0,0,1] op_sel_hi:[1,0,0]
	v_mov_b32_e32 v185, v181
	ds_load_2addr_b64 v[180:183], v220 offset0:33 offset1:34
	v_pk_add_f32 v[118:119], v[118:119], v[186:187] neg_lo:[0,1] neg_hi:[0,1]
	v_pk_add_f32 v[136:137], v[136:137], v[184:185] neg_lo:[0,1] neg_hi:[0,1]
	s_wait_dscnt 0x0
	v_dual_mul_f32 v184, v181, v179 :: v_dual_mul_f32 v186, v181, v176
	s_delay_alu instid0(VALU_DEP_1) | instskip(NEXT) | instid1(VALU_DEP_2)
	v_pk_fma_f32 v[184:185], v[180:181], v[60:61], v[184:185] op_sel_hi:[1,1,0] neg_lo:[0,0,1] neg_hi:[0,0,1]
	v_pk_fma_f32 v[180:181], v[180:181], v[60:61], v[186:187] op_sel:[1,0,0] op_sel_hi:[0,1,0]
	s_delay_alu instid0(VALU_DEP_1) | instskip(SKIP_1) | instid1(VALU_DEP_2)
	v_mov_b32_e32 v185, v181
	v_pk_mul_f32 v[180:181], v[182:183], v[178:179] op_sel:[0,1]
	v_pk_add_f32 v[134:135], v[134:135], v[184:185] neg_lo:[0,1] neg_hi:[0,1]
	s_delay_alu instid0(VALU_DEP_2) | instskip(SKIP_1) | instid1(VALU_DEP_1)
	v_pk_fma_f32 v[184:185], v[182:183], v[176:177], v[180:181] op_sel:[0,0,1] op_sel_hi:[1,1,0] neg_lo:[0,0,1] neg_hi:[0,0,1]
	v_pk_fma_f32 v[180:181], v[182:183], v[176:177], v[180:181] op_sel:[0,0,1] op_sel_hi:[1,0,0]
	v_mov_b32_e32 v185, v181
	ds_load_b64 v[180:181], v220 offset:280
	v_pk_add_f32 v[132:133], v[132:133], v[184:185] neg_lo:[0,1] neg_hi:[0,1]
	s_wait_dscnt 0x0
	v_pk_mul_f32 v[178:179], v[180:181], v[178:179] op_sel:[0,1]
	s_delay_alu instid0(VALU_DEP_1) | instskip(SKIP_1) | instid1(VALU_DEP_1)
	v_pk_fma_f32 v[182:183], v[180:181], v[176:177], v[178:179] op_sel:[0,0,1] op_sel_hi:[1,1,0] neg_lo:[0,0,1] neg_hi:[0,0,1]
	v_pk_fma_f32 v[176:177], v[180:181], v[176:177], v[178:179] op_sel:[0,0,1] op_sel_hi:[1,0,0]
	v_mov_b32_e32 v183, v177
	s_delay_alu instid0(VALU_DEP_1)
	v_pk_add_f32 v[142:143], v[142:143], v[182:183] neg_lo:[0,1] neg_hi:[0,1]
.LBB71_136:
	s_or_b32 exec_lo, exec_lo, s1
	s_delay_alu instid0(SALU_CYCLE_1)
	s_mov_b32 s2, exec_lo
	s_wait_dscnt 0x0
	s_barrier_signal -1
	s_barrier_wait -1
	v_cmpx_eq_u32_e32 15, v218
	s_cbranch_execz .LBB71_143
; %bb.137:
	v_dual_mov_b32 v176, v90 :: v_dual_mov_b32 v177, v91
	v_dual_mov_b32 v178, v114 :: v_dual_mov_b32 v179, v115
	ds_store_b64 v219, v[92:93]
	ds_store_2addr_b64 v220, v[176:177], v[178:179] offset0:16 offset1:17
	v_dual_mov_b32 v176, v116 :: v_dual_mov_b32 v177, v117
	v_dual_mov_b32 v178, v112 :: v_dual_mov_b32 v179, v113
	ds_store_2addr_b64 v220, v[176:177], v[178:179] offset0:18 offset1:19
	v_dual_mov_b32 v176, v102 :: v_dual_mov_b32 v177, v103
	v_dual_mov_b32 v178, v128 :: v_dual_mov_b32 v179, v129
	;; [unrolled: 3-line block ×8, first 2 shown]
	ds_store_2addr_b64 v220, v[176:177], v[178:179] offset0:32 offset1:33
	v_dual_mov_b32 v176, v132 :: v_dual_mov_b32 v177, v133
	ds_store_2addr_b64 v220, v[176:177], v[142:143] offset0:34 offset1:35
	ds_load_b64 v[176:177], v219
	s_wait_dscnt 0x0
	v_cmp_neq_f32_e32 vcc_lo, 0, v176
	v_cmp_neq_f32_e64 s1, 0, v177
	s_or_b32 s1, vcc_lo, s1
	s_delay_alu instid0(SALU_CYCLE_1)
	s_and_b32 exec_lo, exec_lo, s1
	s_cbranch_execz .LBB71_143
; %bb.138:
	v_cmp_ngt_f32_e64 s1, |v176|, |v177|
                                        ; implicit-def: $vgpr178_vgpr179
	s_and_saveexec_b32 s4, s1
	s_delay_alu instid0(SALU_CYCLE_1)
	s_xor_b32 s1, exec_lo, s4
	s_cbranch_execz .LBB71_140
; %bb.139:
	v_div_scale_f32 v178, null, v177, v177, v176
	v_div_scale_f32 v181, vcc_lo, v176, v177, v176
	s_delay_alu instid0(VALU_DEP_2) | instskip(SKIP_1) | instid1(TRANS32_DEP_1)
	v_rcp_f32_e32 v179, v178
	v_nop
	v_fma_f32 v180, -v178, v179, 1.0
	s_delay_alu instid0(VALU_DEP_1) | instskip(NEXT) | instid1(VALU_DEP_1)
	v_fmac_f32_e32 v179, v180, v179
	v_mul_f32_e32 v180, v181, v179
	s_delay_alu instid0(VALU_DEP_1) | instskip(NEXT) | instid1(VALU_DEP_1)
	v_fma_f32 v182, -v178, v180, v181
	v_fmac_f32_e32 v180, v182, v179
	s_delay_alu instid0(VALU_DEP_1) | instskip(NEXT) | instid1(VALU_DEP_1)
	v_fma_f32 v178, -v178, v180, v181
	v_div_fmas_f32 v178, v178, v179, v180
	s_delay_alu instid0(VALU_DEP_1) | instskip(NEXT) | instid1(VALU_DEP_1)
	v_div_fixup_f32 v178, v178, v177, v176
	v_fmac_f32_e32 v177, v176, v178
	s_delay_alu instid0(VALU_DEP_1) | instskip(SKIP_1) | instid1(VALU_DEP_2)
	v_div_scale_f32 v176, null, v177, v177, 1.0
	v_div_scale_f32 v181, vcc_lo, 1.0, v177, 1.0
	v_rcp_f32_e32 v179, v176
	v_nop
	s_delay_alu instid0(TRANS32_DEP_1) | instskip(NEXT) | instid1(VALU_DEP_1)
	v_fma_f32 v180, -v176, v179, 1.0
	v_fmac_f32_e32 v179, v180, v179
	s_delay_alu instid0(VALU_DEP_1) | instskip(NEXT) | instid1(VALU_DEP_1)
	v_mul_f32_e32 v180, v181, v179
	v_fma_f32 v182, -v176, v180, v181
	s_delay_alu instid0(VALU_DEP_1) | instskip(NEXT) | instid1(VALU_DEP_1)
	v_fmac_f32_e32 v180, v182, v179
	v_fma_f32 v176, -v176, v180, v181
	s_delay_alu instid0(VALU_DEP_1) | instskip(NEXT) | instid1(VALU_DEP_1)
	v_div_fmas_f32 v176, v176, v179, v180
	v_div_fixup_f32 v176, v176, v177, 1.0
	s_delay_alu instid0(VALU_DEP_1)
	v_mul_f32_e32 v178, v178, v176
	v_xor_b32_e32 v179, 0x80000000, v176
                                        ; implicit-def: $vgpr176_vgpr177
.LBB71_140:
	s_and_not1_saveexec_b32 s1, s1
	s_cbranch_execz .LBB71_142
; %bb.141:
	v_div_scale_f32 v178, null, v176, v176, v177
	v_div_scale_f32 v181, vcc_lo, v177, v176, v177
	s_delay_alu instid0(VALU_DEP_2) | instskip(SKIP_1) | instid1(TRANS32_DEP_1)
	v_rcp_f32_e32 v179, v178
	v_nop
	v_fma_f32 v180, -v178, v179, 1.0
	s_delay_alu instid0(VALU_DEP_1) | instskip(NEXT) | instid1(VALU_DEP_1)
	v_fmac_f32_e32 v179, v180, v179
	v_mul_f32_e32 v180, v181, v179
	s_delay_alu instid0(VALU_DEP_1) | instskip(NEXT) | instid1(VALU_DEP_1)
	v_fma_f32 v182, -v178, v180, v181
	v_fmac_f32_e32 v180, v182, v179
	s_delay_alu instid0(VALU_DEP_1) | instskip(NEXT) | instid1(VALU_DEP_1)
	v_fma_f32 v178, -v178, v180, v181
	v_div_fmas_f32 v178, v178, v179, v180
	s_delay_alu instid0(VALU_DEP_1) | instskip(NEXT) | instid1(VALU_DEP_1)
	v_div_fixup_f32 v179, v178, v176, v177
	v_fmac_f32_e32 v176, v177, v179
	s_delay_alu instid0(VALU_DEP_1) | instskip(NEXT) | instid1(VALU_DEP_1)
	v_div_scale_f32 v177, null, v176, v176, 1.0
	v_rcp_f32_e32 v178, v177
	v_nop
	s_delay_alu instid0(TRANS32_DEP_1) | instskip(NEXT) | instid1(VALU_DEP_1)
	v_fma_f32 v180, -v177, v178, 1.0
	v_fmac_f32_e32 v178, v180, v178
	v_div_scale_f32 v180, vcc_lo, 1.0, v176, 1.0
	s_delay_alu instid0(VALU_DEP_1) | instskip(NEXT) | instid1(VALU_DEP_1)
	v_mul_f32_e32 v181, v180, v178
	v_fma_f32 v182, -v177, v181, v180
	s_delay_alu instid0(VALU_DEP_1) | instskip(NEXT) | instid1(VALU_DEP_1)
	v_fmac_f32_e32 v181, v182, v178
	v_fma_f32 v177, -v177, v181, v180
	s_delay_alu instid0(VALU_DEP_1) | instskip(NEXT) | instid1(VALU_DEP_1)
	v_div_fmas_f32 v177, v177, v178, v181
	v_div_fixup_f32 v178, v177, v176, 1.0
	s_delay_alu instid0(VALU_DEP_1)
	v_mul_f32_e64 v179, v179, -v178
.LBB71_142:
	s_or_b32 exec_lo, exec_lo, s1
	ds_store_b64 v219, v[178:179]
.LBB71_143:
	s_or_b32 exec_lo, exec_lo, s2
	s_wait_dscnt 0x0
	s_barrier_signal -1
	s_barrier_wait -1
	ds_load_b64 v[176:177], v219
	s_mov_b32 s1, exec_lo
	v_cmpx_lt_u32_e32 15, v218
	s_cbranch_execz .LBB71_145
; %bb.144:
	ds_load_2addr_b64 v[178:181], v220 offset0:16 offset1:17
	ds_load_2addr_b64 v[182:185], v220 offset0:18 offset1:19
	;; [unrolled: 1-line block ×3, first 2 shown]
	s_wait_dscnt 0x3
	v_pk_mul_f32 v[190:191], v[176:177], v[92:93] op_sel:[1,1] op_sel_hi:[0,1]
	s_delay_alu instid0(VALU_DEP_1)
	v_pk_fma_f32 v[198:199], v[176:177], v[92:93], v[190:191] op_sel_hi:[1,0,1] neg_lo:[0,0,1] neg_hi:[0,0,1]
	v_pk_fma_f32 v[200:201], v[176:177], v[92:93], v[190:191] op_sel_hi:[1,0,1]
	ds_load_2addr_b64 v[190:193], v220 offset0:22 offset1:23
	ds_load_2addr_b64 v[194:197], v220 offset0:24 offset1:25
	v_dual_mov_b32 v92, v198 :: v_dual_mov_b32 v93, v201
	s_wait_dscnt 0x4
	v_pk_mul_f32 v[202:203], v[178:179], v[200:201] op_sel:[0,1]
	v_pk_mul_f32 v[204:205], v[180:181], v[200:201] op_sel:[0,1]
	s_wait_dscnt 0x3
	v_pk_mul_f32 v[206:207], v[182:183], v[200:201] op_sel:[0,1]
	v_dual_mov_b32 v208, v185 :: v_dual_mov_b32 v209, v184
	v_dual_mul_f32 v210, v185, v201 :: v_dual_mul_f32 v212, v185, v198
	v_pk_fma_f32 v[222:223], v[178:179], v[198:199], v[202:203] op_sel:[0,0,1] op_sel_hi:[1,1,0] neg_lo:[0,0,1] neg_hi:[0,0,1]
	v_pk_fma_f32 v[178:179], v[178:179], v[198:199], v[202:203] op_sel:[0,0,1] op_sel_hi:[1,0,0]
	v_pk_fma_f32 v[202:203], v[180:181], v[198:199], v[204:205] op_sel:[0,0,1] op_sel_hi:[1,1,0] neg_lo:[0,0,1] neg_hi:[0,0,1]
	v_pk_fma_f32 v[180:181], v[180:181], v[198:199], v[204:205] op_sel:[0,0,1] op_sel_hi:[1,0,0]
	;; [unrolled: 2-line block ×3, first 2 shown]
	v_pk_fma_f32 v[206:207], v[208:209], v[92:93], v[212:213] op_sel_hi:[1,1,0]
	s_wait_dscnt 0x2
	v_pk_mul_f32 v[214:215], v[186:187], v[200:201] op_sel:[0,1]
	v_pk_fma_f32 v[184:185], v[184:185], v[92:93], v[210:211] op_sel_hi:[1,1,0] neg_lo:[0,0,1] neg_hi:[0,0,1]
	v_pk_mul_f32 v[216:217], v[188:189], v[200:201] op_sel:[0,1]
	v_dual_mov_b32 v205, v183 :: v_dual_mov_b32 v185, v207
	v_dual_mov_b32 v223, v179 :: v_dual_mov_b32 v203, v181
	v_pk_fma_f32 v[178:179], v[186:187], v[198:199], v[214:215] op_sel:[0,0,1] op_sel_hi:[1,0,0]
	s_wait_dscnt 0x1
	v_pk_mul_f32 v[182:183], v[190:191], v[200:201] op_sel:[0,1]
	v_pk_add_f32 v[112:113], v[112:113], v[184:185] neg_lo:[0,1] neg_hi:[0,1]
	v_pk_fma_f32 v[184:185], v[186:187], v[198:199], v[214:215] op_sel:[0,0,1] op_sel_hi:[1,1,0] neg_lo:[0,0,1] neg_hi:[0,0,1]
	v_pk_fma_f32 v[186:187], v[188:189], v[198:199], v[216:217] op_sel:[0,0,1] op_sel_hi:[1,0,0]
	v_mov_b32_e32 v185, v179
	ds_load_2addr_b64 v[178:181], v220 offset0:26 offset1:27
	v_pk_add_f32 v[116:117], v[116:117], v[204:205] neg_lo:[0,1] neg_hi:[0,1]
	v_pk_mul_f32 v[204:205], v[192:193], v[200:201] op_sel:[0,1]
	v_pk_add_f32 v[114:115], v[114:115], v[202:203] neg_lo:[0,1] neg_hi:[0,1]
	v_pk_fma_f32 v[202:203], v[190:191], v[198:199], v[182:183] op_sel:[0,0,1] op_sel_hi:[1,0,0]
	v_pk_fma_f32 v[188:189], v[188:189], v[198:199], v[216:217] op_sel:[0,0,1] op_sel_hi:[1,1,0] neg_lo:[0,0,1] neg_hi:[0,0,1]
	v_mov_b32_e32 v189, v187
	v_pk_fma_f32 v[182:183], v[190:191], v[198:199], v[182:183] op_sel:[0,0,1] op_sel_hi:[1,1,0] neg_lo:[0,0,1] neg_hi:[0,0,1]
	v_pk_add_f32 v[102:103], v[102:103], v[184:185] neg_lo:[0,1] neg_hi:[0,1]
	v_pk_fma_f32 v[184:185], v[192:193], v[198:199], v[204:205] op_sel:[0,0,1] op_sel_hi:[1,0,0]
	v_mov_b32_e32 v183, v203
	s_wait_dscnt 0x1
	v_mul_f32_e32 v184, v195, v198
	v_pk_fma_f32 v[186:187], v[192:193], v[198:199], v[204:205] op_sel:[0,0,1] op_sel_hi:[1,1,0] neg_lo:[0,0,1] neg_hi:[0,0,1]
	v_pk_add_f32 v[128:129], v[128:129], v[188:189] neg_lo:[0,1] neg_hi:[0,1]
	v_mov_b32_e32 v187, v185
	v_pk_add_f32 v[130:131], v[130:131], v[182:183] neg_lo:[0,1] neg_hi:[0,1]
	v_mul_f32_e32 v188, v195, v201
	v_pk_fma_f32 v[190:191], v[194:195], v[92:93], v[184:185] op_sel:[1,0,0] op_sel_hi:[0,1,0]
	ds_load_2addr_b64 v[182:185], v220 offset0:28 offset1:29
	v_pk_mul_f32 v[192:193], v[196:197], v[200:201] op_sel:[0,1]
	s_wait_dscnt 0x1
	v_pk_mul_f32 v[202:203], v[178:179], v[200:201] op_sel:[0,1]
	v_pk_fma_f32 v[194:195], v[194:195], v[92:93], v[188:189] op_sel_hi:[1,1,0] neg_lo:[0,0,1] neg_hi:[0,0,1]
	v_pk_add_f32 v[126:127], v[126:127], v[186:187] neg_lo:[0,1] neg_hi:[0,1]
	v_mov_b32_e32 v195, v191
	v_pk_fma_f32 v[190:191], v[196:197], v[198:199], v[192:193] op_sel:[0,0,1] op_sel_hi:[1,0,0]
	v_pk_mul_f32 v[204:205], v[180:181], v[200:201] op_sel:[0,1]
	ds_load_2addr_b64 v[186:189], v220 offset0:30 offset1:31
	v_pk_fma_f32 v[206:207], v[178:179], v[198:199], v[202:203] op_sel:[0,0,1] op_sel_hi:[1,0,0]
	v_pk_fma_f32 v[192:193], v[196:197], v[198:199], v[192:193] op_sel:[0,0,1] op_sel_hi:[1,1,0] neg_lo:[0,0,1] neg_hi:[0,0,1]
	v_pk_fma_f32 v[178:179], v[178:179], v[198:199], v[202:203] op_sel:[0,0,1] op_sel_hi:[1,1,0] neg_lo:[0,0,1] neg_hi:[0,0,1]
	v_mov_b32_e32 v193, v191
	v_pk_fma_f32 v[190:191], v[180:181], v[198:199], v[204:205] op_sel:[0,0,1] op_sel_hi:[1,0,0]
	v_mov_b32_e32 v179, v207
	v_pk_add_f32 v[144:145], v[144:145], v[194:195] neg_lo:[0,1] neg_hi:[0,1]
	v_pk_fma_f32 v[194:195], v[180:181], v[198:199], v[204:205] op_sel:[0,0,1] op_sel_hi:[1,1,0] neg_lo:[0,0,1] neg_hi:[0,0,1]
	v_pk_add_f32 v[138:139], v[138:139], v[192:193] neg_lo:[0,1] neg_hi:[0,1]
	v_mov_b32_e32 v195, v191
	v_pk_add_f32 v[140:141], v[140:141], v[178:179] neg_lo:[0,1] neg_hi:[0,1]
	ds_load_2addr_b64 v[178:181], v220 offset0:32 offset1:33
	s_wait_dscnt 0x2
	v_pk_mul_f32 v[196:197], v[182:183], v[200:201] op_sel:[0,1]
	v_mul_f32_e32 v202, v185, v198
	v_pk_add_f32 v[98:99], v[98:99], v[194:195] neg_lo:[0,1] neg_hi:[0,1]
	v_dual_mov_b32 v194, v185 :: v_dual_mov_b32 v195, v184
	s_delay_alu instid0(VALU_DEP_4)
	v_pk_fma_f32 v[204:205], v[182:183], v[198:199], v[196:197] op_sel:[0,0,1] op_sel_hi:[1,0,0]
	v_mul_f32_e32 v204, v185, v201
	ds_load_2addr_b64 v[190:193], v220 offset0:34 offset1:35
	s_wait_dscnt 0x2
	v_pk_mul_f32 v[206:207], v[186:187], v[200:201] op_sel:[0,1]
	v_pk_fma_f32 v[194:195], v[194:195], v[92:93], v[202:203] op_sel_hi:[1,1,0]
	v_pk_fma_f32 v[182:183], v[182:183], v[198:199], v[196:197] op_sel:[0,0,1] op_sel_hi:[1,1,0] neg_lo:[0,0,1] neg_hi:[0,0,1]
	v_pk_fma_f32 v[184:185], v[184:185], v[92:93], v[204:205] op_sel_hi:[1,1,0] neg_lo:[0,0,1] neg_hi:[0,0,1]
	v_mov_b32_e32 v183, v205
	v_pk_fma_f32 v[196:197], v[186:187], v[198:199], v[206:207] op_sel:[0,0,1] op_sel_hi:[1,0,0]
	v_mov_b32_e32 v185, v195
	v_pk_mul_f32 v[194:195], v[188:189], v[200:201] op_sel:[0,1]
	v_pk_fma_f32 v[186:187], v[186:187], v[198:199], v[206:207] op_sel:[0,0,1] op_sel_hi:[1,1,0] neg_lo:[0,0,1] neg_hi:[0,0,1]
	v_pk_add_f32 v[124:125], v[124:125], v[182:183] neg_lo:[0,1] neg_hi:[0,1]
	v_mov_b32_e32 v187, v197
	s_wait_dscnt 0x1
	v_pk_mul_f32 v[182:183], v[178:179], v[200:201] op_sel:[0,1]
	v_pk_fma_f32 v[196:197], v[188:189], v[198:199], v[194:195] op_sel:[0,0,1] op_sel_hi:[1,0,0]
	v_pk_add_f32 v[120:121], v[120:121], v[184:185] neg_lo:[0,1] neg_hi:[0,1]
	v_pk_fma_f32 v[184:185], v[188:189], v[198:199], v[194:195] op_sel:[0,0,1] op_sel_hi:[1,1,0] neg_lo:[0,0,1] neg_hi:[0,0,1]
	v_pk_mul_f32 v[188:189], v[180:181], v[200:201] op_sel:[0,1]
	v_pk_add_f32 v[90:91], v[90:91], v[222:223] neg_lo:[0,1] neg_hi:[0,1]
	v_mov_b32_e32 v185, v197
	v_pk_add_f32 v[122:123], v[122:123], v[186:187] neg_lo:[0,1] neg_hi:[0,1]
	v_pk_fma_f32 v[186:187], v[178:179], v[198:199], v[182:183] op_sel:[0,0,1] op_sel_hi:[1,0,0]
	v_pk_fma_f32 v[178:179], v[178:179], v[198:199], v[182:183] op_sel:[0,0,1] op_sel_hi:[1,1,0] neg_lo:[0,0,1] neg_hi:[0,0,1]
	s_wait_dscnt 0x0
	v_mul_f32_e32 v182, v191, v198
	v_pk_fma_f32 v[194:195], v[180:181], v[198:199], v[188:189] op_sel:[0,0,1] op_sel_hi:[1,0,0]
	v_mul_f32_e32 v194, v191, v201
	v_mov_b32_e32 v179, v187
	v_pk_mul_f32 v[186:187], v[192:193], v[200:201] op_sel:[0,1]
	v_pk_fma_f32 v[182:183], v[190:191], v[92:93], v[182:183] op_sel:[1,0,0] op_sel_hi:[0,1,0]
	v_pk_fma_f32 v[180:181], v[180:181], v[198:199], v[188:189] op_sel:[0,0,1] op_sel_hi:[1,1,0] neg_lo:[0,0,1] neg_hi:[0,0,1]
	v_pk_fma_f32 v[190:191], v[190:191], v[92:93], v[194:195] op_sel_hi:[1,1,0] neg_lo:[0,0,1] neg_hi:[0,0,1]
	v_mov_b32_e32 v181, v195
	v_pk_fma_f32 v[188:189], v[192:193], v[198:199], v[186:187] op_sel:[0,0,1] op_sel_hi:[1,0,0]
	v_mov_b32_e32 v191, v183
	v_pk_fma_f32 v[182:183], v[192:193], v[198:199], v[186:187] op_sel:[0,0,1] op_sel_hi:[1,1,0] neg_lo:[0,0,1] neg_hi:[0,0,1]
	v_pk_add_f32 v[118:119], v[118:119], v[184:185] neg_lo:[0,1] neg_hi:[0,1]
	v_pk_add_f32 v[136:137], v[136:137], v[178:179] neg_lo:[0,1] neg_hi:[0,1]
	v_mov_b32_e32 v183, v189
	v_pk_add_f32 v[134:135], v[134:135], v[180:181] neg_lo:[0,1] neg_hi:[0,1]
	v_pk_add_f32 v[132:133], v[132:133], v[190:191] neg_lo:[0,1] neg_hi:[0,1]
	s_delay_alu instid0(VALU_DEP_3)
	v_pk_add_f32 v[142:143], v[142:143], v[182:183] neg_lo:[0,1] neg_hi:[0,1]
.LBB71_145:
	s_or_b32 exec_lo, exec_lo, s1
	s_delay_alu instid0(SALU_CYCLE_1)
	s_mov_b32 s2, exec_lo
	s_wait_dscnt 0x0
	s_barrier_signal -1
	s_barrier_wait -1
	v_cmpx_eq_u32_e32 16, v218
	s_cbranch_execz .LBB71_152
; %bb.146:
	ds_store_b64 v219, v[90:91]
	ds_store_2addr_b64 v220, v[114:115], v[116:117] offset0:17 offset1:18
	ds_store_2addr_b64 v220, v[112:113], v[102:103] offset0:19 offset1:20
	;; [unrolled: 1-line block ×9, first 2 shown]
	ds_store_b64 v220, v[142:143] offset:280
	ds_load_b64 v[178:179], v219
	s_wait_dscnt 0x0
	v_cmp_neq_f32_e32 vcc_lo, 0, v178
	v_cmp_neq_f32_e64 s1, 0, v179
	s_or_b32 s1, vcc_lo, s1
	s_delay_alu instid0(SALU_CYCLE_1)
	s_and_b32 exec_lo, exec_lo, s1
	s_cbranch_execz .LBB71_152
; %bb.147:
	v_cmp_ngt_f32_e64 s1, |v178|, |v179|
                                        ; implicit-def: $vgpr180_vgpr181
	s_and_saveexec_b32 s4, s1
	s_delay_alu instid0(SALU_CYCLE_1)
	s_xor_b32 s1, exec_lo, s4
	s_cbranch_execz .LBB71_149
; %bb.148:
	v_div_scale_f32 v180, null, v179, v179, v178
	v_div_scale_f32 v183, vcc_lo, v178, v179, v178
	s_delay_alu instid0(VALU_DEP_2) | instskip(SKIP_1) | instid1(TRANS32_DEP_1)
	v_rcp_f32_e32 v181, v180
	v_nop
	v_fma_f32 v182, -v180, v181, 1.0
	s_delay_alu instid0(VALU_DEP_1) | instskip(NEXT) | instid1(VALU_DEP_1)
	v_fmac_f32_e32 v181, v182, v181
	v_mul_f32_e32 v182, v183, v181
	s_delay_alu instid0(VALU_DEP_1) | instskip(NEXT) | instid1(VALU_DEP_1)
	v_fma_f32 v184, -v180, v182, v183
	v_fmac_f32_e32 v182, v184, v181
	s_delay_alu instid0(VALU_DEP_1) | instskip(NEXT) | instid1(VALU_DEP_1)
	v_fma_f32 v180, -v180, v182, v183
	v_div_fmas_f32 v180, v180, v181, v182
	s_delay_alu instid0(VALU_DEP_1) | instskip(NEXT) | instid1(VALU_DEP_1)
	v_div_fixup_f32 v180, v180, v179, v178
	v_fmac_f32_e32 v179, v178, v180
	s_delay_alu instid0(VALU_DEP_1) | instskip(SKIP_1) | instid1(VALU_DEP_2)
	v_div_scale_f32 v178, null, v179, v179, 1.0
	v_div_scale_f32 v183, vcc_lo, 1.0, v179, 1.0
	v_rcp_f32_e32 v181, v178
	v_nop
	s_delay_alu instid0(TRANS32_DEP_1) | instskip(NEXT) | instid1(VALU_DEP_1)
	v_fma_f32 v182, -v178, v181, 1.0
	v_fmac_f32_e32 v181, v182, v181
	s_delay_alu instid0(VALU_DEP_1) | instskip(NEXT) | instid1(VALU_DEP_1)
	v_mul_f32_e32 v182, v183, v181
	v_fma_f32 v184, -v178, v182, v183
	s_delay_alu instid0(VALU_DEP_1) | instskip(NEXT) | instid1(VALU_DEP_1)
	v_fmac_f32_e32 v182, v184, v181
	v_fma_f32 v178, -v178, v182, v183
	s_delay_alu instid0(VALU_DEP_1) | instskip(NEXT) | instid1(VALU_DEP_1)
	v_div_fmas_f32 v178, v178, v181, v182
	v_div_fixup_f32 v178, v178, v179, 1.0
	s_delay_alu instid0(VALU_DEP_1)
	v_mul_f32_e32 v180, v180, v178
	v_xor_b32_e32 v181, 0x80000000, v178
                                        ; implicit-def: $vgpr178_vgpr179
.LBB71_149:
	s_and_not1_saveexec_b32 s1, s1
	s_cbranch_execz .LBB71_151
; %bb.150:
	v_div_scale_f32 v180, null, v178, v178, v179
	v_div_scale_f32 v183, vcc_lo, v179, v178, v179
	s_delay_alu instid0(VALU_DEP_2) | instskip(SKIP_1) | instid1(TRANS32_DEP_1)
	v_rcp_f32_e32 v181, v180
	v_nop
	v_fma_f32 v182, -v180, v181, 1.0
	s_delay_alu instid0(VALU_DEP_1) | instskip(NEXT) | instid1(VALU_DEP_1)
	v_fmac_f32_e32 v181, v182, v181
	v_mul_f32_e32 v182, v183, v181
	s_delay_alu instid0(VALU_DEP_1) | instskip(NEXT) | instid1(VALU_DEP_1)
	v_fma_f32 v184, -v180, v182, v183
	v_fmac_f32_e32 v182, v184, v181
	s_delay_alu instid0(VALU_DEP_1) | instskip(NEXT) | instid1(VALU_DEP_1)
	v_fma_f32 v180, -v180, v182, v183
	v_div_fmas_f32 v180, v180, v181, v182
	s_delay_alu instid0(VALU_DEP_1) | instskip(NEXT) | instid1(VALU_DEP_1)
	v_div_fixup_f32 v181, v180, v178, v179
	v_fmac_f32_e32 v178, v179, v181
	s_delay_alu instid0(VALU_DEP_1) | instskip(NEXT) | instid1(VALU_DEP_1)
	v_div_scale_f32 v179, null, v178, v178, 1.0
	v_rcp_f32_e32 v180, v179
	v_nop
	s_delay_alu instid0(TRANS32_DEP_1) | instskip(NEXT) | instid1(VALU_DEP_1)
	v_fma_f32 v182, -v179, v180, 1.0
	v_fmac_f32_e32 v180, v182, v180
	v_div_scale_f32 v182, vcc_lo, 1.0, v178, 1.0
	s_delay_alu instid0(VALU_DEP_1) | instskip(NEXT) | instid1(VALU_DEP_1)
	v_mul_f32_e32 v183, v182, v180
	v_fma_f32 v184, -v179, v183, v182
	s_delay_alu instid0(VALU_DEP_1) | instskip(NEXT) | instid1(VALU_DEP_1)
	v_fmac_f32_e32 v183, v184, v180
	v_fma_f32 v179, -v179, v183, v182
	s_delay_alu instid0(VALU_DEP_1) | instskip(NEXT) | instid1(VALU_DEP_1)
	v_div_fmas_f32 v179, v179, v180, v183
	v_div_fixup_f32 v180, v179, v178, 1.0
	s_delay_alu instid0(VALU_DEP_1)
	v_mul_f32_e64 v181, v181, -v180
.LBB71_151:
	s_or_b32 exec_lo, exec_lo, s1
	ds_store_b64 v219, v[180:181]
.LBB71_152:
	s_or_b32 exec_lo, exec_lo, s2
	s_wait_dscnt 0x0
	s_barrier_signal -1
	s_barrier_wait -1
	ds_load_b64 v[178:179], v219
	s_mov_b32 s1, exec_lo
	v_cmpx_lt_u32_e32 16, v218
	s_cbranch_execz .LBB71_154
; %bb.153:
	ds_load_2addr_b64 v[180:183], v220 offset0:17 offset1:18
	ds_load_2addr_b64 v[184:187], v220 offset0:19 offset1:20
	;; [unrolled: 1-line block ×3, first 2 shown]
	s_wait_dscnt 0x3
	v_pk_mul_f32 v[196:197], v[178:179], v[90:91] op_sel:[1,1] op_sel_hi:[0,1]
	ds_load_2addr_b64 v[192:195], v220 offset0:23 offset1:24
	v_pk_fma_f32 v[202:203], v[178:179], v[90:91], v[196:197] op_sel_hi:[1,0,1]
	v_pk_fma_f32 v[200:201], v[178:179], v[90:91], v[196:197] op_sel_hi:[1,0,1] neg_lo:[0,0,1] neg_hi:[0,0,1]
	ds_load_2addr_b64 v[196:199], v220 offset0:25 offset1:26
	v_dual_mov_b32 v91, v203 :: v_dual_mov_b32 v90, v200
	s_wait_dscnt 0x4
	v_pk_mul_f32 v[204:205], v[180:181], v[202:203] op_sel:[0,1]
	v_pk_mul_f32 v[206:207], v[182:183], v[202:203] op_sel:[0,1]
	s_wait_dscnt 0x3
	v_pk_mul_f32 v[208:209], v[184:185], v[202:203] op_sel:[0,1]
	v_dual_mov_b32 v210, v187 :: v_dual_mov_b32 v211, v186
	v_dual_mul_f32 v212, v187, v203 :: v_dual_mul_f32 v214, v187, v200
	v_pk_fma_f32 v[226:227], v[180:181], v[200:201], v[204:205] op_sel:[0,0,1] op_sel_hi:[1,1,0] neg_lo:[0,0,1] neg_hi:[0,0,1]
	v_pk_fma_f32 v[180:181], v[180:181], v[200:201], v[204:205] op_sel:[0,0,1] op_sel_hi:[1,0,0]
	v_pk_fma_f32 v[204:205], v[182:183], v[200:201], v[206:207] op_sel:[0,0,1] op_sel_hi:[1,1,0] neg_lo:[0,0,1] neg_hi:[0,0,1]
	v_pk_fma_f32 v[182:183], v[182:183], v[200:201], v[206:207] op_sel:[0,0,1] op_sel_hi:[1,0,0]
	;; [unrolled: 2-line block ×3, first 2 shown]
	s_wait_dscnt 0x2
	v_pk_mul_f32 v[216:217], v[188:189], v[202:203] op_sel:[0,1]
	s_wait_dscnt 0x1
	v_pk_mul_f32 v[224:225], v[192:193], v[202:203] op_sel:[0,1]
	v_pk_fma_f32 v[208:209], v[210:211], v[90:91], v[214:215] op_sel_hi:[1,1,0]
	v_pk_mul_f32 v[222:223], v[190:191], v[202:203] op_sel:[0,1]
	v_dual_mov_b32 v207, v185 :: v_dual_mov_b32 v227, v181
	v_mov_b32_e32 v205, v183
	v_pk_fma_f32 v[184:185], v[188:189], v[200:201], v[216:217] op_sel:[0,0,1] op_sel_hi:[1,0,0]
	v_pk_fma_f32 v[186:187], v[186:187], v[90:91], v[212:213] op_sel_hi:[1,1,0] neg_lo:[0,0,1] neg_hi:[0,0,1]
	ds_load_2addr_b64 v[180:183], v220 offset0:27 offset1:28
	v_mov_b32_e32 v187, v209
	v_pk_add_f32 v[112:113], v[112:113], v[206:207] neg_lo:[0,1] neg_hi:[0,1]
	v_pk_fma_f32 v[206:207], v[192:193], v[200:201], v[224:225] op_sel:[0,0,1] op_sel_hi:[1,0,0]
	v_pk_fma_f32 v[188:189], v[188:189], v[200:201], v[216:217] op_sel:[0,0,1] op_sel_hi:[1,1,0] neg_lo:[0,0,1] neg_hi:[0,0,1]
	v_pk_add_f32 v[116:117], v[116:117], v[204:205] neg_lo:[0,1] neg_hi:[0,1]
	v_pk_fma_f32 v[204:205], v[190:191], v[200:201], v[222:223] op_sel:[0,0,1] op_sel_hi:[1,0,0]
	v_mov_b32_e32 v189, v185
	v_pk_fma_f32 v[184:185], v[190:191], v[200:201], v[222:223] op_sel:[0,0,1] op_sel_hi:[1,1,0] neg_lo:[0,0,1] neg_hi:[0,0,1]
	v_pk_fma_f32 v[190:191], v[192:193], v[200:201], v[224:225] op_sel:[0,0,1] op_sel_hi:[1,1,0] neg_lo:[0,0,1] neg_hi:[0,0,1]
	v_mov_b32_e32 v191, v207
	v_pk_mul_f32 v[192:193], v[194:195], v[202:203] op_sel:[0,1]
	v_mov_b32_e32 v185, v205
	v_pk_add_f32 v[128:129], v[128:129], v[188:189] neg_lo:[0,1] neg_hi:[0,1]
	s_wait_dscnt 0x1
	v_mul_f32_e32 v188, v197, v200
	v_pk_add_f32 v[126:127], v[126:127], v[190:191] neg_lo:[0,1] neg_hi:[0,1]
	v_pk_fma_f32 v[190:191], v[194:195], v[200:201], v[192:193] op_sel:[0,0,1] op_sel_hi:[1,0,0]
	v_mul_f32_e32 v190, v197, v203
	v_pk_add_f32 v[102:103], v[102:103], v[186:187] neg_lo:[0,1] neg_hi:[0,1]
	v_pk_add_f32 v[130:131], v[130:131], v[184:185] neg_lo:[0,1] neg_hi:[0,1]
	v_pk_fma_f32 v[204:205], v[194:195], v[200:201], v[192:193] op_sel:[0,0,1] op_sel_hi:[1,1,0] neg_lo:[0,0,1] neg_hi:[0,0,1]
	v_pk_mul_f32 v[192:193], v[198:199], v[202:203] op_sel:[0,1]
	ds_load_2addr_b64 v[184:187], v220 offset0:29 offset1:30
	v_pk_fma_f32 v[188:189], v[196:197], v[90:91], v[188:189] op_sel:[1,0,0] op_sel_hi:[0,1,0]
	v_mov_b32_e32 v205, v191
	v_pk_fma_f32 v[196:197], v[196:197], v[90:91], v[190:191] op_sel_hi:[1,1,0] neg_lo:[0,0,1] neg_hi:[0,0,1]
	v_pk_fma_f32 v[206:207], v[198:199], v[200:201], v[192:193] op_sel:[0,0,1] op_sel_hi:[1,0,0]
	s_wait_dscnt 0x1
	v_pk_mul_f32 v[194:195], v[180:181], v[202:203] op_sel:[0,1]
	v_mov_b32_e32 v197, v189
	ds_load_2addr_b64 v[188:191], v220 offset0:31 offset1:32
	v_pk_fma_f32 v[192:193], v[198:199], v[200:201], v[192:193] op_sel:[0,0,1] op_sel_hi:[1,1,0] neg_lo:[0,0,1] neg_hi:[0,0,1]
	v_mov_b32_e32 v193, v207
	v_pk_fma_f32 v[208:209], v[180:181], v[200:201], v[194:195] op_sel:[0,0,1] op_sel_hi:[1,0,0]
	v_pk_fma_f32 v[180:181], v[180:181], v[200:201], v[194:195] op_sel:[0,0,1] op_sel_hi:[1,1,0] neg_lo:[0,0,1] neg_hi:[0,0,1]
	v_pk_mul_f32 v[194:195], v[182:183], v[202:203] op_sel:[0,1]
	v_pk_add_f32 v[138:139], v[138:139], v[196:197] neg_lo:[0,1] neg_hi:[0,1]
	v_pk_add_f32 v[140:141], v[140:141], v[192:193] neg_lo:[0,1] neg_hi:[0,1]
	v_mov_b32_e32 v181, v209
	v_pk_add_f32 v[144:145], v[144:145], v[204:205] neg_lo:[0,1] neg_hi:[0,1]
	v_pk_fma_f32 v[192:193], v[182:183], v[200:201], v[194:195] op_sel:[0,0,1] op_sel_hi:[1,1,0] neg_lo:[0,0,1] neg_hi:[0,0,1]
	v_pk_fma_f32 v[194:195], v[182:183], v[200:201], v[194:195] op_sel:[0,0,1] op_sel_hi:[1,0,0]
	ds_load_b64 v[204:205], v220 offset:280
	s_wait_dscnt 0x2
	v_pk_mul_f32 v[196:197], v[184:185], v[202:203] op_sel:[0,1]
	v_mov_b32_e32 v198, v187
	v_pk_add_f32 v[98:99], v[98:99], v[180:181] neg_lo:[0,1] neg_hi:[0,1]
	ds_load_2addr_b64 v[180:183], v220 offset0:33 offset1:34
	v_dual_mov_b32 v199, v186 :: v_dual_mul_f32 v194, v187, v200
	v_pk_fma_f32 v[206:207], v[184:185], v[200:201], v[196:197] op_sel:[0,0,1] op_sel_hi:[1,0,0]
	v_mov_b32_e32 v193, v195
	v_pk_fma_f32 v[184:185], v[184:185], v[200:201], v[196:197] op_sel:[0,0,1] op_sel_hi:[1,1,0] neg_lo:[0,0,1] neg_hi:[0,0,1]
	s_wait_dscnt 0x2
	v_pk_mul_f32 v[196:197], v[188:189], v[202:203] op_sel:[0,1]
	v_pk_fma_f32 v[194:195], v[198:199], v[90:91], v[194:195] op_sel_hi:[1,1,0]
	v_mov_b32_e32 v185, v207
	v_pk_add_f32 v[124:125], v[124:125], v[192:193] neg_lo:[0,1] neg_hi:[0,1]
	v_pk_add_f32 v[114:115], v[114:115], v[226:227] neg_lo:[0,1] neg_hi:[0,1]
	v_pk_fma_f32 v[192:193], v[188:189], v[200:201], v[196:197] op_sel:[0,0,1] op_sel_hi:[1,0,0]
	v_mul_f32_e32 v206, v187, v203
	v_pk_add_f32 v[120:121], v[120:121], v[184:185] neg_lo:[0,1] neg_hi:[0,1]
	v_pk_mul_f32 v[184:185], v[190:191], v[202:203] op_sel:[0,1]
	s_delay_alu instid0(VALU_DEP_3) | instskip(SKIP_3) | instid1(VALU_DEP_2)
	v_pk_fma_f32 v[186:187], v[186:187], v[90:91], v[206:207] op_sel_hi:[1,1,0] neg_lo:[0,0,1] neg_hi:[0,0,1]
	v_mov_b32_e32 v187, v195
	s_wait_dscnt 0x0
	v_pk_mul_f32 v[194:195], v[182:183], v[202:203] op_sel:[0,1]
	v_pk_add_f32 v[122:123], v[122:123], v[186:187] neg_lo:[0,1] neg_hi:[0,1]
	v_pk_fma_f32 v[186:187], v[188:189], v[200:201], v[196:197] op_sel:[0,0,1] op_sel_hi:[1,1,0] neg_lo:[0,0,1] neg_hi:[0,0,1]
	v_mov_b32_e32 v187, v193
	v_pk_mul_f32 v[188:189], v[180:181], v[202:203] op_sel:[0,1]
	v_pk_fma_f32 v[192:193], v[190:191], v[200:201], v[184:185] op_sel:[0,0,1] op_sel_hi:[1,0,0]
	v_pk_fma_f32 v[184:185], v[190:191], v[200:201], v[184:185] op_sel:[0,0,1] op_sel_hi:[1,1,0] neg_lo:[0,0,1] neg_hi:[0,0,1]
	v_pk_mul_f32 v[190:191], v[204:205], v[202:203] op_sel:[0,1]
	v_pk_add_f32 v[118:119], v[118:119], v[186:187] neg_lo:[0,1] neg_hi:[0,1]
	v_pk_fma_f32 v[196:197], v[180:181], v[200:201], v[188:189] op_sel:[0,0,1] op_sel_hi:[1,0,0]
	v_mov_b32_e32 v185, v193
	v_pk_fma_f32 v[192:193], v[182:183], v[200:201], v[194:195] op_sel:[0,0,1] op_sel_hi:[1,0,0]
	v_pk_fma_f32 v[180:181], v[180:181], v[200:201], v[188:189] op_sel:[0,0,1] op_sel_hi:[1,1,0] neg_lo:[0,0,1] neg_hi:[0,0,1]
	v_pk_fma_f32 v[188:189], v[204:205], v[200:201], v[190:191] op_sel:[0,0,1] op_sel_hi:[1,0,0]
	v_pk_fma_f32 v[182:183], v[182:183], v[200:201], v[194:195] op_sel:[0,0,1] op_sel_hi:[1,1,0] neg_lo:[0,0,1] neg_hi:[0,0,1]
	v_pk_fma_f32 v[190:191], v[204:205], v[200:201], v[190:191] op_sel:[0,0,1] op_sel_hi:[1,1,0] neg_lo:[0,0,1] neg_hi:[0,0,1]
	v_dual_mov_b32 v181, v197 :: v_dual_mov_b32 v183, v193
	s_delay_alu instid0(VALU_DEP_4) | instskip(SKIP_1) | instid1(VALU_DEP_3)
	v_mov_b32_e32 v191, v189
	v_pk_add_f32 v[136:137], v[136:137], v[184:185] neg_lo:[0,1] neg_hi:[0,1]
	v_pk_add_f32 v[134:135], v[134:135], v[180:181] neg_lo:[0,1] neg_hi:[0,1]
	s_delay_alu instid0(VALU_DEP_4) | instskip(NEXT) | instid1(VALU_DEP_4)
	v_pk_add_f32 v[132:133], v[132:133], v[182:183] neg_lo:[0,1] neg_hi:[0,1]
	v_pk_add_f32 v[142:143], v[142:143], v[190:191] neg_lo:[0,1] neg_hi:[0,1]
.LBB71_154:
	s_or_b32 exec_lo, exec_lo, s1
	s_delay_alu instid0(SALU_CYCLE_1)
	s_mov_b32 s2, exec_lo
	s_wait_dscnt 0x0
	s_barrier_signal -1
	s_barrier_wait -1
	v_cmpx_eq_u32_e32 17, v218
	s_cbranch_execz .LBB71_161
; %bb.155:
	v_dual_mov_b32 v180, v116 :: v_dual_mov_b32 v181, v117
	v_dual_mov_b32 v182, v112 :: v_dual_mov_b32 v183, v113
	v_dual_mov_b32 v184, v102 :: v_dual_mov_b32 v185, v103
	v_dual_mov_b32 v186, v128 :: v_dual_mov_b32 v187, v129
	v_dual_mov_b32 v188, v130 :: v_dual_mov_b32 v189, v131
	v_dual_mov_b32 v190, v126 :: v_dual_mov_b32 v191, v127
	v_dual_mov_b32 v192, v144 :: v_dual_mov_b32 v193, v145
	v_dual_mov_b32 v194, v138 :: v_dual_mov_b32 v195, v139
	ds_store_b64 v219, v[114:115]
	ds_store_2addr_b64 v220, v[180:181], v[182:183] offset0:18 offset1:19
	ds_store_2addr_b64 v220, v[184:185], v[186:187] offset0:20 offset1:21
	ds_store_2addr_b64 v220, v[188:189], v[190:191] offset0:22 offset1:23
	ds_store_2addr_b64 v220, v[192:193], v[194:195] offset0:24 offset1:25
	v_dual_mov_b32 v180, v140 :: v_dual_mov_b32 v181, v141
	v_dual_mov_b32 v182, v98 :: v_dual_mov_b32 v183, v99
	;; [unrolled: 1-line block ×9, first 2 shown]
	ds_store_2addr_b64 v220, v[180:181], v[182:183] offset0:26 offset1:27
	ds_store_2addr_b64 v220, v[184:185], v[186:187] offset0:28 offset1:29
	;; [unrolled: 1-line block ×5, first 2 shown]
	ds_load_b64 v[180:181], v219
	s_wait_dscnt 0x0
	v_cmp_neq_f32_e32 vcc_lo, 0, v180
	v_cmp_neq_f32_e64 s1, 0, v181
	s_or_b32 s1, vcc_lo, s1
	s_delay_alu instid0(SALU_CYCLE_1)
	s_and_b32 exec_lo, exec_lo, s1
	s_cbranch_execz .LBB71_161
; %bb.156:
	v_cmp_ngt_f32_e64 s1, |v180|, |v181|
                                        ; implicit-def: $vgpr182_vgpr183
	s_and_saveexec_b32 s4, s1
	s_delay_alu instid0(SALU_CYCLE_1)
	s_xor_b32 s1, exec_lo, s4
	s_cbranch_execz .LBB71_158
; %bb.157:
	v_div_scale_f32 v182, null, v181, v181, v180
	v_div_scale_f32 v185, vcc_lo, v180, v181, v180
	s_delay_alu instid0(VALU_DEP_2) | instskip(SKIP_1) | instid1(TRANS32_DEP_1)
	v_rcp_f32_e32 v183, v182
	v_nop
	v_fma_f32 v184, -v182, v183, 1.0
	s_delay_alu instid0(VALU_DEP_1) | instskip(NEXT) | instid1(VALU_DEP_1)
	v_fmac_f32_e32 v183, v184, v183
	v_mul_f32_e32 v184, v185, v183
	s_delay_alu instid0(VALU_DEP_1) | instskip(NEXT) | instid1(VALU_DEP_1)
	v_fma_f32 v186, -v182, v184, v185
	v_fmac_f32_e32 v184, v186, v183
	s_delay_alu instid0(VALU_DEP_1) | instskip(NEXT) | instid1(VALU_DEP_1)
	v_fma_f32 v182, -v182, v184, v185
	v_div_fmas_f32 v182, v182, v183, v184
	s_delay_alu instid0(VALU_DEP_1) | instskip(NEXT) | instid1(VALU_DEP_1)
	v_div_fixup_f32 v182, v182, v181, v180
	v_fmac_f32_e32 v181, v180, v182
	s_delay_alu instid0(VALU_DEP_1) | instskip(SKIP_1) | instid1(VALU_DEP_2)
	v_div_scale_f32 v180, null, v181, v181, 1.0
	v_div_scale_f32 v185, vcc_lo, 1.0, v181, 1.0
	v_rcp_f32_e32 v183, v180
	v_nop
	s_delay_alu instid0(TRANS32_DEP_1) | instskip(NEXT) | instid1(VALU_DEP_1)
	v_fma_f32 v184, -v180, v183, 1.0
	v_fmac_f32_e32 v183, v184, v183
	s_delay_alu instid0(VALU_DEP_1) | instskip(NEXT) | instid1(VALU_DEP_1)
	v_mul_f32_e32 v184, v185, v183
	v_fma_f32 v186, -v180, v184, v185
	s_delay_alu instid0(VALU_DEP_1) | instskip(NEXT) | instid1(VALU_DEP_1)
	v_fmac_f32_e32 v184, v186, v183
	v_fma_f32 v180, -v180, v184, v185
	s_delay_alu instid0(VALU_DEP_1) | instskip(NEXT) | instid1(VALU_DEP_1)
	v_div_fmas_f32 v180, v180, v183, v184
	v_div_fixup_f32 v180, v180, v181, 1.0
	s_delay_alu instid0(VALU_DEP_1)
	v_mul_f32_e32 v182, v182, v180
	v_xor_b32_e32 v183, 0x80000000, v180
                                        ; implicit-def: $vgpr180_vgpr181
.LBB71_158:
	s_and_not1_saveexec_b32 s1, s1
	s_cbranch_execz .LBB71_160
; %bb.159:
	v_div_scale_f32 v182, null, v180, v180, v181
	v_div_scale_f32 v185, vcc_lo, v181, v180, v181
	s_delay_alu instid0(VALU_DEP_2) | instskip(SKIP_1) | instid1(TRANS32_DEP_1)
	v_rcp_f32_e32 v183, v182
	v_nop
	v_fma_f32 v184, -v182, v183, 1.0
	s_delay_alu instid0(VALU_DEP_1) | instskip(NEXT) | instid1(VALU_DEP_1)
	v_fmac_f32_e32 v183, v184, v183
	v_mul_f32_e32 v184, v185, v183
	s_delay_alu instid0(VALU_DEP_1) | instskip(NEXT) | instid1(VALU_DEP_1)
	v_fma_f32 v186, -v182, v184, v185
	v_fmac_f32_e32 v184, v186, v183
	s_delay_alu instid0(VALU_DEP_1) | instskip(NEXT) | instid1(VALU_DEP_1)
	v_fma_f32 v182, -v182, v184, v185
	v_div_fmas_f32 v182, v182, v183, v184
	s_delay_alu instid0(VALU_DEP_1) | instskip(NEXT) | instid1(VALU_DEP_1)
	v_div_fixup_f32 v183, v182, v180, v181
	v_fmac_f32_e32 v180, v181, v183
	s_delay_alu instid0(VALU_DEP_1) | instskip(NEXT) | instid1(VALU_DEP_1)
	v_div_scale_f32 v181, null, v180, v180, 1.0
	v_rcp_f32_e32 v182, v181
	v_nop
	s_delay_alu instid0(TRANS32_DEP_1) | instskip(NEXT) | instid1(VALU_DEP_1)
	v_fma_f32 v184, -v181, v182, 1.0
	v_fmac_f32_e32 v182, v184, v182
	v_div_scale_f32 v184, vcc_lo, 1.0, v180, 1.0
	s_delay_alu instid0(VALU_DEP_1) | instskip(NEXT) | instid1(VALU_DEP_1)
	v_mul_f32_e32 v185, v184, v182
	v_fma_f32 v186, -v181, v185, v184
	s_delay_alu instid0(VALU_DEP_1) | instskip(NEXT) | instid1(VALU_DEP_1)
	v_fmac_f32_e32 v185, v186, v182
	v_fma_f32 v181, -v181, v185, v184
	s_delay_alu instid0(VALU_DEP_1) | instskip(NEXT) | instid1(VALU_DEP_1)
	v_div_fmas_f32 v181, v181, v182, v185
	v_div_fixup_f32 v182, v181, v180, 1.0
	s_delay_alu instid0(VALU_DEP_1)
	v_mul_f32_e64 v183, v183, -v182
.LBB71_160:
	s_or_b32 exec_lo, exec_lo, s1
	ds_store_b64 v219, v[182:183]
.LBB71_161:
	s_or_b32 exec_lo, exec_lo, s2
	s_wait_dscnt 0x0
	s_barrier_signal -1
	s_barrier_wait -1
	ds_load_b64 v[180:181], v219
	s_mov_b32 s1, exec_lo
	v_cmpx_lt_u32_e32 17, v218
	s_cbranch_execz .LBB71_163
; %bb.162:
	ds_load_2addr_b64 v[182:185], v220 offset0:18 offset1:19
	ds_load_2addr_b64 v[186:189], v220 offset0:20 offset1:21
	;; [unrolled: 1-line block ×3, first 2 shown]
	s_wait_dscnt 0x3
	v_pk_mul_f32 v[194:195], v[180:181], v[114:115] op_sel:[1,1] op_sel_hi:[0,1]
	s_delay_alu instid0(VALU_DEP_1)
	v_pk_fma_f32 v[202:203], v[180:181], v[114:115], v[194:195] op_sel_hi:[1,0,1] neg_lo:[0,0,1] neg_hi:[0,0,1]
	v_pk_fma_f32 v[204:205], v[180:181], v[114:115], v[194:195] op_sel_hi:[1,0,1]
	ds_load_2addr_b64 v[194:197], v220 offset0:24 offset1:25
	ds_load_2addr_b64 v[198:201], v220 offset0:26 offset1:27
	v_dual_mov_b32 v114, v202 :: v_dual_mov_b32 v115, v205
	s_wait_dscnt 0x4
	v_pk_mul_f32 v[206:207], v[182:183], v[204:205] op_sel:[0,1]
	v_pk_mul_f32 v[208:209], v[184:185], v[204:205] op_sel:[0,1]
	s_wait_dscnt 0x3
	v_pk_mul_f32 v[210:211], v[186:187], v[204:205] op_sel:[0,1]
	s_wait_dscnt 0x2
	v_pk_mul_f32 v[222:223], v[190:191], v[204:205] op_sel:[0,1]
	v_dual_mov_b32 v212, v189 :: v_dual_mov_b32 v213, v188
	v_pk_fma_f32 v[226:227], v[182:183], v[202:203], v[206:207] op_sel:[0,0,1] op_sel_hi:[1,1,0] neg_lo:[0,0,1] neg_hi:[0,0,1]
	v_pk_fma_f32 v[182:183], v[182:183], v[202:203], v[206:207] op_sel:[0,0,1] op_sel_hi:[1,0,0]
	v_dual_mul_f32 v214, v189, v205 :: v_dual_mul_f32 v216, v189, v202
	v_pk_mul_f32 v[224:225], v[192:193], v[204:205] op_sel:[0,1]
	v_pk_fma_f32 v[206:207], v[184:185], v[202:203], v[208:209] op_sel:[0,0,1] op_sel_hi:[1,1,0] neg_lo:[0,0,1] neg_hi:[0,0,1]
	v_pk_fma_f32 v[184:185], v[184:185], v[202:203], v[208:209] op_sel:[0,0,1] op_sel_hi:[1,0,0]
	v_pk_fma_f32 v[208:209], v[186:187], v[202:203], v[210:211] op_sel:[0,0,1] op_sel_hi:[1,1,0] neg_lo:[0,0,1] neg_hi:[0,0,1]
	v_pk_fma_f32 v[186:187], v[186:187], v[202:203], v[210:211] op_sel:[0,0,1] op_sel_hi:[1,0,0]
	v_mov_b32_e32 v227, v183
	v_pk_fma_f32 v[182:183], v[190:191], v[202:203], v[222:223] op_sel:[0,0,1] op_sel_hi:[1,0,0]
	v_pk_fma_f32 v[210:211], v[212:213], v[114:115], v[216:217] op_sel_hi:[1,1,0]
	v_pk_fma_f32 v[212:213], v[190:191], v[202:203], v[222:223] op_sel:[0,0,1] op_sel_hi:[1,1,0] neg_lo:[0,0,1] neg_hi:[0,0,1]
	v_dual_mov_b32 v207, v185 :: v_dual_mov_b32 v209, v187
	v_pk_fma_f32 v[186:187], v[192:193], v[202:203], v[224:225] op_sel:[0,0,1] op_sel_hi:[1,0,0]
	s_wait_dscnt 0x1
	v_pk_mul_f32 v[190:191], v[194:195], v[204:205] op_sel:[0,1]
	v_mov_b32_e32 v213, v183
	ds_load_2addr_b64 v[182:185], v220 offset0:28 offset1:29
	v_pk_fma_f32 v[188:189], v[188:189], v[114:115], v[214:215] op_sel_hi:[1,1,0] neg_lo:[0,0,1] neg_hi:[0,0,1]
	v_pk_fma_f32 v[192:193], v[192:193], v[202:203], v[224:225] op_sel:[0,0,1] op_sel_hi:[1,1,0] neg_lo:[0,0,1] neg_hi:[0,0,1]
	v_mov_b32_e32 v189, v211
	v_pk_add_f32 v[112:113], v[112:113], v[206:207] neg_lo:[0,1] neg_hi:[0,1]
	v_pk_mul_f32 v[206:207], v[196:197], v[204:205] op_sel:[0,1]
	v_mov_b32_e32 v193, v187
	v_pk_fma_f32 v[186:187], v[194:195], v[202:203], v[190:191] op_sel:[0,0,1] op_sel_hi:[1,0,0]
	v_pk_fma_f32 v[190:191], v[194:195], v[202:203], v[190:191] op_sel:[0,0,1] op_sel_hi:[1,1,0] neg_lo:[0,0,1] neg_hi:[0,0,1]
	v_pk_add_f32 v[128:129], v[128:129], v[188:189] neg_lo:[0,1] neg_hi:[0,1]
	v_pk_fma_f32 v[188:189], v[196:197], v[202:203], v[206:207] op_sel:[0,0,1] op_sel_hi:[1,0,0]
	v_pk_add_f32 v[126:127], v[126:127], v[192:193] neg_lo:[0,1] neg_hi:[0,1]
	v_mov_b32_e32 v191, v187
	v_pk_fma_f32 v[192:193], v[196:197], v[202:203], v[206:207] op_sel:[0,0,1] op_sel_hi:[1,1,0] neg_lo:[0,0,1] neg_hi:[0,0,1]
	s_wait_dscnt 0x1
	v_dual_mul_f32 v194, v199, v202 :: v_dual_mov_b32 v193, v189
	ds_load_2addr_b64 v[186:189], v220 offset0:30 offset1:31
	v_pk_add_f32 v[144:145], v[144:145], v[190:191] neg_lo:[0,1] neg_hi:[0,1]
	v_mul_f32_e32 v190, v199, v205
	v_pk_mul_f32 v[196:197], v[200:201], v[204:205] op_sel:[0,1]
	v_pk_fma_f32 v[194:195], v[198:199], v[114:115], v[194:195] op_sel:[1,0,0] op_sel_hi:[0,1,0]
	v_pk_add_f32 v[138:139], v[138:139], v[192:193] neg_lo:[0,1] neg_hi:[0,1]
	v_pk_add_f32 v[102:103], v[102:103], v[208:209] neg_lo:[0,1] neg_hi:[0,1]
	v_pk_fma_f32 v[198:199], v[198:199], v[114:115], v[190:191] op_sel_hi:[1,1,0] neg_lo:[0,0,1] neg_hi:[0,0,1]
	ds_load_2addr_b64 v[190:193], v220 offset0:32 offset1:33
	s_wait_dscnt 0x2
	v_pk_mul_f32 v[206:207], v[182:183], v[204:205] op_sel:[0,1]
	v_pk_fma_f32 v[208:209], v[200:201], v[202:203], v[196:197] op_sel:[0,0,1] op_sel_hi:[1,0,0]
	v_pk_fma_f32 v[196:197], v[200:201], v[202:203], v[196:197] op_sel:[0,0,1] op_sel_hi:[1,1,0] neg_lo:[0,0,1] neg_hi:[0,0,1]
	v_mov_b32_e32 v199, v195
	v_pk_mul_f32 v[200:201], v[184:185], v[204:205] op_sel:[0,1]
	v_pk_fma_f32 v[194:195], v[182:183], v[202:203], v[206:207] op_sel:[0,0,1] op_sel_hi:[1,0,0]
	v_mov_b32_e32 v197, v209
	v_pk_fma_f32 v[182:183], v[182:183], v[202:203], v[206:207] op_sel:[0,0,1] op_sel_hi:[1,1,0] neg_lo:[0,0,1] neg_hi:[0,0,1]
	v_pk_add_f32 v[140:141], v[140:141], v[198:199] neg_lo:[0,1] neg_hi:[0,1]
	v_pk_fma_f32 v[198:199], v[184:185], v[202:203], v[200:201] op_sel:[0,0,1] op_sel_hi:[1,0,0]
	s_wait_dscnt 0x1
	v_dual_mov_b32 v183, v195 :: v_dual_mov_b32 v198, v189
	v_pk_add_f32 v[98:99], v[98:99], v[196:197] neg_lo:[0,1] neg_hi:[0,1]
	ds_load_2addr_b64 v[194:197], v220 offset0:34 offset1:35
	v_pk_mul_f32 v[206:207], v[186:187], v[204:205] op_sel:[0,1]
	v_pk_add_f32 v[124:125], v[124:125], v[182:183] neg_lo:[0,1] neg_hi:[0,1]
	v_pk_fma_f32 v[182:183], v[184:185], v[202:203], v[200:201] op_sel:[0,0,1] op_sel_hi:[1,1,0] neg_lo:[0,0,1] neg_hi:[0,0,1]
	v_dual_mov_b32 v183, v199 :: v_dual_mov_b32 v199, v188
	s_delay_alu instid0(VALU_DEP_4)
	v_pk_fma_f32 v[184:185], v[186:187], v[202:203], v[206:207] op_sel:[0,0,1] op_sel_hi:[1,0,0]
	s_wait_dscnt 0x1
	v_pk_mul_f32 v[200:201], v[190:191], v[204:205] op_sel:[0,1]
	v_mul_f32_e32 v184, v189, v202
	v_pk_fma_f32 v[186:187], v[186:187], v[202:203], v[206:207] op_sel:[0,0,1] op_sel_hi:[1,1,0] neg_lo:[0,0,1] neg_hi:[0,0,1]
	v_mul_f32_e32 v206, v189, v205
	v_pk_add_f32 v[120:121], v[120:121], v[182:183] neg_lo:[0,1] neg_hi:[0,1]
	v_pk_fma_f32 v[182:183], v[190:191], v[202:203], v[200:201] op_sel:[0,0,1] op_sel_hi:[1,0,0]
	v_mov_b32_e32 v187, v185
	v_pk_fma_f32 v[184:185], v[198:199], v[114:115], v[184:185] op_sel_hi:[1,1,0]
	v_pk_add_f32 v[116:117], v[116:117], v[226:227] neg_lo:[0,1] neg_hi:[0,1]
	v_pk_add_f32 v[130:131], v[130:131], v[212:213] neg_lo:[0,1] neg_hi:[0,1]
	s_delay_alu instid0(VALU_DEP_4)
	v_pk_add_f32 v[122:123], v[122:123], v[186:187] neg_lo:[0,1] neg_hi:[0,1]
	v_pk_fma_f32 v[186:187], v[188:189], v[114:115], v[206:207] op_sel_hi:[1,1,0] neg_lo:[0,0,1] neg_hi:[0,0,1]
	v_mov_b32_e32 v187, v185
	v_pk_fma_f32 v[184:185], v[190:191], v[202:203], v[200:201] op_sel:[0,0,1] op_sel_hi:[1,1,0] neg_lo:[0,0,1] neg_hi:[0,0,1]
	v_mov_b32_e32 v185, v183
	v_pk_mul_f32 v[182:183], v[192:193], v[204:205] op_sel:[0,1]
	s_wait_dscnt 0x0
	v_pk_mul_f32 v[188:189], v[194:195], v[204:205] op_sel:[0,1]
	v_dual_mov_b32 v190, v197 :: v_dual_mov_b32 v191, v196
	v_mul_f32_e32 v198, v197, v202
	v_pk_fma_f32 v[200:201], v[192:193], v[202:203], v[182:183] op_sel:[0,0,1] op_sel_hi:[1,0,0]
	v_pk_fma_f32 v[182:183], v[192:193], v[202:203], v[182:183] op_sel:[0,0,1] op_sel_hi:[1,1,0] neg_lo:[0,0,1] neg_hi:[0,0,1]
	v_pk_fma_f32 v[192:193], v[194:195], v[202:203], v[188:189] op_sel:[0,0,1] op_sel_hi:[1,0,0]
	v_pk_fma_f32 v[188:189], v[194:195], v[202:203], v[188:189] op_sel:[0,0,1] op_sel_hi:[1,1,0] neg_lo:[0,0,1] neg_hi:[0,0,1]
	v_pk_fma_f32 v[190:191], v[190:191], v[114:115], v[198:199] op_sel_hi:[1,1,0]
	v_mul_f32_e32 v192, v197, v205
	s_delay_alu instid0(VALU_DEP_4) | instskip(SKIP_2) | instid1(VALU_DEP_4)
	v_dual_mov_b32 v183, v201 :: v_dual_mov_b32 v189, v193
	v_pk_add_f32 v[118:119], v[118:119], v[186:187] neg_lo:[0,1] neg_hi:[0,1]
	v_pk_add_f32 v[136:137], v[136:137], v[184:185] neg_lo:[0,1] neg_hi:[0,1]
	v_pk_fma_f32 v[192:193], v[196:197], v[114:115], v[192:193] op_sel_hi:[1,1,0] neg_lo:[0,0,1] neg_hi:[0,0,1]
	v_mov_b32_e32 v193, v191
	v_pk_add_f32 v[134:135], v[134:135], v[182:183] neg_lo:[0,1] neg_hi:[0,1]
	v_pk_add_f32 v[132:133], v[132:133], v[188:189] neg_lo:[0,1] neg_hi:[0,1]
	s_delay_alu instid0(VALU_DEP_3)
	v_pk_add_f32 v[142:143], v[142:143], v[192:193] neg_lo:[0,1] neg_hi:[0,1]
.LBB71_163:
	s_or_b32 exec_lo, exec_lo, s1
	s_delay_alu instid0(SALU_CYCLE_1)
	s_mov_b32 s2, exec_lo
	s_wait_dscnt 0x0
	s_barrier_signal -1
	s_barrier_wait -1
	v_cmpx_eq_u32_e32 18, v218
	s_cbranch_execz .LBB71_170
; %bb.164:
	ds_store_b64 v219, v[116:117]
	ds_store_2addr_b64 v220, v[112:113], v[102:103] offset0:19 offset1:20
	ds_store_2addr_b64 v220, v[128:129], v[130:131] offset0:21 offset1:22
	;; [unrolled: 1-line block ×8, first 2 shown]
	ds_store_b64 v220, v[142:143] offset:280
	ds_load_b64 v[182:183], v219
	s_wait_dscnt 0x0
	v_cmp_neq_f32_e32 vcc_lo, 0, v182
	v_cmp_neq_f32_e64 s1, 0, v183
	s_or_b32 s1, vcc_lo, s1
	s_delay_alu instid0(SALU_CYCLE_1)
	s_and_b32 exec_lo, exec_lo, s1
	s_cbranch_execz .LBB71_170
; %bb.165:
	v_cmp_ngt_f32_e64 s1, |v182|, |v183|
                                        ; implicit-def: $vgpr184_vgpr185
	s_and_saveexec_b32 s4, s1
	s_delay_alu instid0(SALU_CYCLE_1)
	s_xor_b32 s1, exec_lo, s4
	s_cbranch_execz .LBB71_167
; %bb.166:
	v_div_scale_f32 v184, null, v183, v183, v182
	v_div_scale_f32 v187, vcc_lo, v182, v183, v182
	s_delay_alu instid0(VALU_DEP_2) | instskip(SKIP_1) | instid1(TRANS32_DEP_1)
	v_rcp_f32_e32 v185, v184
	v_nop
	v_fma_f32 v186, -v184, v185, 1.0
	s_delay_alu instid0(VALU_DEP_1) | instskip(NEXT) | instid1(VALU_DEP_1)
	v_fmac_f32_e32 v185, v186, v185
	v_mul_f32_e32 v186, v187, v185
	s_delay_alu instid0(VALU_DEP_1) | instskip(NEXT) | instid1(VALU_DEP_1)
	v_fma_f32 v188, -v184, v186, v187
	v_fmac_f32_e32 v186, v188, v185
	s_delay_alu instid0(VALU_DEP_1) | instskip(NEXT) | instid1(VALU_DEP_1)
	v_fma_f32 v184, -v184, v186, v187
	v_div_fmas_f32 v184, v184, v185, v186
	s_delay_alu instid0(VALU_DEP_1) | instskip(NEXT) | instid1(VALU_DEP_1)
	v_div_fixup_f32 v184, v184, v183, v182
	v_fmac_f32_e32 v183, v182, v184
	s_delay_alu instid0(VALU_DEP_1) | instskip(SKIP_1) | instid1(VALU_DEP_2)
	v_div_scale_f32 v182, null, v183, v183, 1.0
	v_div_scale_f32 v187, vcc_lo, 1.0, v183, 1.0
	v_rcp_f32_e32 v185, v182
	v_nop
	s_delay_alu instid0(TRANS32_DEP_1) | instskip(NEXT) | instid1(VALU_DEP_1)
	v_fma_f32 v186, -v182, v185, 1.0
	v_fmac_f32_e32 v185, v186, v185
	s_delay_alu instid0(VALU_DEP_1) | instskip(NEXT) | instid1(VALU_DEP_1)
	v_mul_f32_e32 v186, v187, v185
	v_fma_f32 v188, -v182, v186, v187
	s_delay_alu instid0(VALU_DEP_1) | instskip(NEXT) | instid1(VALU_DEP_1)
	v_fmac_f32_e32 v186, v188, v185
	v_fma_f32 v182, -v182, v186, v187
	s_delay_alu instid0(VALU_DEP_1) | instskip(NEXT) | instid1(VALU_DEP_1)
	v_div_fmas_f32 v182, v182, v185, v186
	v_div_fixup_f32 v182, v182, v183, 1.0
	s_delay_alu instid0(VALU_DEP_1)
	v_mul_f32_e32 v184, v184, v182
	v_xor_b32_e32 v185, 0x80000000, v182
                                        ; implicit-def: $vgpr182_vgpr183
.LBB71_167:
	s_and_not1_saveexec_b32 s1, s1
	s_cbranch_execz .LBB71_169
; %bb.168:
	v_div_scale_f32 v184, null, v182, v182, v183
	v_div_scale_f32 v187, vcc_lo, v183, v182, v183
	s_delay_alu instid0(VALU_DEP_2) | instskip(SKIP_1) | instid1(TRANS32_DEP_1)
	v_rcp_f32_e32 v185, v184
	v_nop
	v_fma_f32 v186, -v184, v185, 1.0
	s_delay_alu instid0(VALU_DEP_1) | instskip(NEXT) | instid1(VALU_DEP_1)
	v_fmac_f32_e32 v185, v186, v185
	v_mul_f32_e32 v186, v187, v185
	s_delay_alu instid0(VALU_DEP_1) | instskip(NEXT) | instid1(VALU_DEP_1)
	v_fma_f32 v188, -v184, v186, v187
	v_fmac_f32_e32 v186, v188, v185
	s_delay_alu instid0(VALU_DEP_1) | instskip(NEXT) | instid1(VALU_DEP_1)
	v_fma_f32 v184, -v184, v186, v187
	v_div_fmas_f32 v184, v184, v185, v186
	s_delay_alu instid0(VALU_DEP_1) | instskip(NEXT) | instid1(VALU_DEP_1)
	v_div_fixup_f32 v185, v184, v182, v183
	v_fmac_f32_e32 v182, v183, v185
	s_delay_alu instid0(VALU_DEP_1) | instskip(NEXT) | instid1(VALU_DEP_1)
	v_div_scale_f32 v183, null, v182, v182, 1.0
	v_rcp_f32_e32 v184, v183
	v_nop
	s_delay_alu instid0(TRANS32_DEP_1) | instskip(NEXT) | instid1(VALU_DEP_1)
	v_fma_f32 v186, -v183, v184, 1.0
	v_fmac_f32_e32 v184, v186, v184
	v_div_scale_f32 v186, vcc_lo, 1.0, v182, 1.0
	s_delay_alu instid0(VALU_DEP_1) | instskip(NEXT) | instid1(VALU_DEP_1)
	v_mul_f32_e32 v187, v186, v184
	v_fma_f32 v188, -v183, v187, v186
	s_delay_alu instid0(VALU_DEP_1) | instskip(NEXT) | instid1(VALU_DEP_1)
	v_fmac_f32_e32 v187, v188, v184
	v_fma_f32 v183, -v183, v187, v186
	s_delay_alu instid0(VALU_DEP_1) | instskip(NEXT) | instid1(VALU_DEP_1)
	v_div_fmas_f32 v183, v183, v184, v187
	v_div_fixup_f32 v184, v183, v182, 1.0
	s_delay_alu instid0(VALU_DEP_1)
	v_mul_f32_e64 v185, v185, -v184
.LBB71_169:
	s_or_b32 exec_lo, exec_lo, s1
	ds_store_b64 v219, v[184:185]
.LBB71_170:
	s_or_b32 exec_lo, exec_lo, s2
	s_wait_dscnt 0x0
	s_barrier_signal -1
	s_barrier_wait -1
	ds_load_b64 v[182:183], v219
	s_mov_b32 s1, exec_lo
	v_cmpx_lt_u32_e32 18, v218
	s_cbranch_execz .LBB71_172
; %bb.171:
	ds_load_2addr_b64 v[184:187], v220 offset0:19 offset1:20
	ds_load_2addr_b64 v[188:191], v220 offset0:21 offset1:22
	ds_load_2addr_b64 v[192:195], v220 offset0:23 offset1:24
	s_wait_dscnt 0x3
	v_pk_mul_f32 v[196:197], v[182:183], v[116:117] op_sel:[1,1] op_sel_hi:[0,1]
	s_delay_alu instid0(VALU_DEP_1)
	v_pk_fma_f32 v[206:207], v[182:183], v[116:117], v[196:197] op_sel_hi:[1,0,1]
	v_pk_fma_f32 v[204:205], v[182:183], v[116:117], v[196:197] op_sel_hi:[1,0,1] neg_lo:[0,0,1] neg_hi:[0,0,1]
	ds_load_2addr_b64 v[196:199], v220 offset0:25 offset1:26
	ds_load_2addr_b64 v[200:203], v220 offset0:27 offset1:28
	v_dual_mov_b32 v117, v207 :: v_dual_mov_b32 v116, v204
	s_wait_dscnt 0x4
	v_pk_mul_f32 v[208:209], v[184:185], v[206:207] op_sel:[0,1]
	v_pk_mul_f32 v[210:211], v[186:187], v[206:207] op_sel:[0,1]
	s_wait_dscnt 0x3
	v_pk_mul_f32 v[212:213], v[188:189], v[206:207] op_sel:[0,1]
	v_dual_mov_b32 v214, v191 :: v_dual_mov_b32 v215, v190
	v_dual_mul_f32 v216, v191, v207 :: v_dual_mul_f32 v222, v191, v204
	s_wait_dscnt 0x2
	v_pk_mul_f32 v[224:225], v[192:193], v[206:207] op_sel:[0,1]
	v_pk_fma_f32 v[228:229], v[184:185], v[204:205], v[208:209] op_sel:[0,0,1] op_sel_hi:[1,1,0] neg_lo:[0,0,1] neg_hi:[0,0,1]
	v_pk_fma_f32 v[184:185], v[184:185], v[204:205], v[208:209] op_sel:[0,0,1] op_sel_hi:[1,0,0]
	v_pk_mul_f32 v[226:227], v[194:195], v[206:207] op_sel:[0,1]
	v_pk_fma_f32 v[208:209], v[186:187], v[204:205], v[210:211] op_sel:[0,0,1] op_sel_hi:[1,1,0] neg_lo:[0,0,1] neg_hi:[0,0,1]
	v_pk_fma_f32 v[186:187], v[186:187], v[204:205], v[210:211] op_sel:[0,0,1] op_sel_hi:[1,0,0]
	v_pk_fma_f32 v[210:211], v[188:189], v[204:205], v[212:213] op_sel:[0,0,1] op_sel_hi:[1,1,0] neg_lo:[0,0,1] neg_hi:[0,0,1]
	v_pk_fma_f32 v[188:189], v[188:189], v[204:205], v[212:213] op_sel:[0,0,1] op_sel_hi:[1,0,0]
	v_pk_fma_f32 v[212:213], v[214:215], v[116:117], v[222:223] op_sel_hi:[1,1,0]
	s_delay_alu instid0(VALU_DEP_4)
	v_dual_mov_b32 v229, v185 :: v_dual_mov_b32 v209, v187
	v_pk_fma_f32 v[184:185], v[192:193], v[204:205], v[224:225] op_sel:[0,0,1] op_sel_hi:[1,0,0]
	v_pk_fma_f32 v[190:191], v[190:191], v[116:117], v[216:217] op_sel_hi:[1,1,0] neg_lo:[0,0,1] neg_hi:[0,0,1]
	v_pk_fma_f32 v[214:215], v[192:193], v[204:205], v[224:225] op_sel:[0,0,1] op_sel_hi:[1,1,0] neg_lo:[0,0,1] neg_hi:[0,0,1]
	v_dual_mov_b32 v211, v189 :: v_dual_mov_b32 v191, v213
	v_pk_fma_f32 v[188:189], v[194:195], v[204:205], v[226:227] op_sel:[0,0,1] op_sel_hi:[1,0,0]
	v_mov_b32_e32 v215, v185
	v_pk_fma_f32 v[192:193], v[194:195], v[204:205], v[226:227] op_sel:[0,0,1] op_sel_hi:[1,1,0] neg_lo:[0,0,1] neg_hi:[0,0,1]
	s_wait_dscnt 0x1
	v_pk_mul_f32 v[194:195], v[196:197], v[206:207] op_sel:[0,1]
	ds_load_2addr_b64 v[184:187], v220 offset0:29 offset1:30
	v_mov_b32_e32 v193, v189
	v_pk_mul_f32 v[188:189], v[198:199], v[206:207] op_sel:[0,1]
	v_pk_add_f32 v[130:131], v[130:131], v[190:191] neg_lo:[0,1] neg_hi:[0,1]
	v_pk_fma_f32 v[190:191], v[196:197], v[204:205], v[194:195] op_sel:[0,0,1] op_sel_hi:[1,0,0]
	v_pk_fma_f32 v[194:195], v[196:197], v[204:205], v[194:195] op_sel:[0,0,1] op_sel_hi:[1,1,0] neg_lo:[0,0,1] neg_hi:[0,0,1]
	v_pk_add_f32 v[144:145], v[144:145], v[192:193] neg_lo:[0,1] neg_hi:[0,1]
	v_pk_fma_f32 v[192:193], v[198:199], v[204:205], v[188:189] op_sel:[0,0,1] op_sel_hi:[1,0,0]
	v_pk_fma_f32 v[196:197], v[198:199], v[204:205], v[188:189] op_sel:[0,0,1] op_sel_hi:[1,1,0] neg_lo:[0,0,1] neg_hi:[0,0,1]
	s_wait_dscnt 0x1
	v_dual_mov_b32 v195, v191 :: v_dual_mul_f32 v192, v201, v204
	ds_load_2addr_b64 v[188:191], v220 offset0:31 offset1:32
	v_mov_b32_e32 v197, v193
	v_mul_f32_e32 v198, v201, v207
	v_pk_add_f32 v[138:139], v[138:139], v[194:195] neg_lo:[0,1] neg_hi:[0,1]
	v_pk_mul_f32 v[194:195], v[202:203], v[206:207] op_sel:[0,1]
	v_pk_add_f32 v[102:103], v[102:103], v[208:209] neg_lo:[0,1] neg_hi:[0,1]
	v_pk_fma_f32 v[192:193], v[200:201], v[116:117], v[192:193] op_sel:[1,0,0] op_sel_hi:[0,1,0]
	v_pk_add_f32 v[140:141], v[140:141], v[196:197] neg_lo:[0,1] neg_hi:[0,1]
	v_pk_fma_f32 v[196:197], v[200:201], v[116:117], v[198:199] op_sel_hi:[1,1,0] neg_lo:[0,0,1] neg_hi:[0,0,1]
	v_pk_fma_f32 v[200:201], v[202:203], v[204:205], v[194:195] op_sel:[0,0,1] op_sel_hi:[1,0,0]
	s_wait_dscnt 0x1
	v_pk_mul_f32 v[208:209], v[186:187], v[206:207] op_sel:[0,1]
	v_pk_mul_f32 v[198:199], v[184:185], v[206:207] op_sel:[0,1]
	v_pk_fma_f32 v[202:203], v[202:203], v[204:205], v[194:195] op_sel:[0,0,1] op_sel_hi:[1,1,0] neg_lo:[0,0,1] neg_hi:[0,0,1]
	v_pk_add_f32 v[128:129], v[128:129], v[210:211] neg_lo:[0,1] neg_hi:[0,1]
	v_mov_b32_e32 v203, v201
	v_pk_fma_f32 v[200:201], v[186:187], v[204:205], v[208:209] op_sel:[0,0,1] op_sel_hi:[1,0,0]
	v_mov_b32_e32 v197, v193
	ds_load_2addr_b64 v[192:195], v220 offset0:33 offset1:34
	v_pk_fma_f32 v[210:211], v[184:185], v[204:205], v[198:199] op_sel:[0,0,1] op_sel_hi:[1,0,0]
	v_pk_fma_f32 v[184:185], v[184:185], v[204:205], v[198:199] op_sel:[0,0,1] op_sel_hi:[1,1,0] neg_lo:[0,0,1] neg_hi:[0,0,1]
	ds_load_b64 v[198:199], v220 offset:280
	v_pk_fma_f32 v[186:187], v[186:187], v[204:205], v[208:209] op_sel:[0,0,1] op_sel_hi:[1,1,0] neg_lo:[0,0,1] neg_hi:[0,0,1]
	v_dual_mov_b32 v187, v201 :: v_dual_mov_b32 v185, v211
	s_wait_dscnt 0x2
	v_pk_mul_f32 v[200:201], v[188:189], v[206:207] op_sel:[0,1]
	v_pk_add_f32 v[98:99], v[98:99], v[196:197] neg_lo:[0,1] neg_hi:[0,1]
	v_mul_f32_e32 v196, v191, v207
	v_pk_add_f32 v[122:123], v[122:123], v[186:187] neg_lo:[0,1] neg_hi:[0,1]
	v_pk_add_f32 v[120:121], v[120:121], v[184:185] neg_lo:[0,1] neg_hi:[0,1]
	v_pk_fma_f32 v[184:185], v[188:189], v[204:205], v[200:201] op_sel:[0,0,1] op_sel_hi:[1,0,0]
	v_dual_mov_b32 v186, v191 :: v_dual_mov_b32 v187, v190
	v_mul_f32_e32 v184, v191, v204
	v_pk_fma_f32 v[188:189], v[188:189], v[204:205], v[200:201] op_sel:[0,0,1] op_sel_hi:[1,1,0] neg_lo:[0,0,1] neg_hi:[0,0,1]
	s_delay_alu instid0(VALU_DEP_4)
	v_mov_b32_e32 v189, v185
	v_pk_fma_f32 v[190:191], v[190:191], v[116:117], v[196:197] op_sel_hi:[1,1,0] neg_lo:[0,0,1] neg_hi:[0,0,1]
	v_pk_add_f32 v[124:125], v[124:125], v[202:203] neg_lo:[0,1] neg_hi:[0,1]
	s_wait_dscnt 0x1
	v_pk_mul_f32 v[200:201], v[192:193], v[206:207] op_sel:[0,1]
	v_pk_fma_f32 v[184:185], v[186:187], v[116:117], v[184:185] op_sel_hi:[1,1,0]
	v_pk_mul_f32 v[186:187], v[194:195], v[206:207] op_sel:[0,1]
	s_wait_dscnt 0x0
	v_pk_mul_f32 v[196:197], v[198:199], v[206:207] op_sel:[0,1]
	v_pk_add_f32 v[112:113], v[112:113], v[228:229] neg_lo:[0,1] neg_hi:[0,1]
	v_pk_fma_f32 v[202:203], v[192:193], v[204:205], v[200:201] op_sel:[0,0,1] op_sel_hi:[1,0,0]
	v_mov_b32_e32 v191, v185
	v_pk_fma_f32 v[184:185], v[194:195], v[204:205], v[186:187] op_sel:[0,0,1] op_sel_hi:[1,0,0]
	v_pk_fma_f32 v[192:193], v[192:193], v[204:205], v[200:201] op_sel:[0,0,1] op_sel_hi:[1,1,0] neg_lo:[0,0,1] neg_hi:[0,0,1]
	v_pk_fma_f32 v[200:201], v[198:199], v[204:205], v[196:197] op_sel:[0,0,1] op_sel_hi:[1,0,0]
	v_pk_fma_f32 v[186:187], v[194:195], v[204:205], v[186:187] op_sel:[0,0,1] op_sel_hi:[1,1,0] neg_lo:[0,0,1] neg_hi:[0,0,1]
	s_delay_alu instid0(VALU_DEP_4) | instskip(SKIP_1) | instid1(VALU_DEP_4)
	v_dual_mov_b32 v193, v203 :: v_dual_mov_b32 v187, v185
	v_pk_fma_f32 v[184:185], v[198:199], v[204:205], v[196:197] op_sel:[0,0,1] op_sel_hi:[1,1,0] neg_lo:[0,0,1] neg_hi:[0,0,1]
	v_mov_b32_e32 v185, v201
	v_pk_add_f32 v[126:127], v[126:127], v[214:215] neg_lo:[0,1] neg_hi:[0,1]
	v_pk_add_f32 v[118:119], v[118:119], v[188:189] neg_lo:[0,1] neg_hi:[0,1]
	;; [unrolled: 1-line block ×6, first 2 shown]
.LBB71_172:
	s_or_b32 exec_lo, exec_lo, s1
	s_delay_alu instid0(SALU_CYCLE_1)
	s_mov_b32 s2, exec_lo
	s_wait_dscnt 0x0
	s_barrier_signal -1
	s_barrier_wait -1
	v_cmpx_eq_u32_e32 19, v218
	s_cbranch_execz .LBB71_179
; %bb.173:
	v_dual_mov_b32 v184, v102 :: v_dual_mov_b32 v185, v103
	v_dual_mov_b32 v186, v128 :: v_dual_mov_b32 v187, v129
	;; [unrolled: 1-line block ×4, first 2 shown]
	ds_store_b64 v219, v[112:113]
	ds_store_2addr_b64 v220, v[184:185], v[186:187] offset0:20 offset1:21
	ds_store_2addr_b64 v220, v[188:189], v[190:191] offset0:22 offset1:23
	v_dual_mov_b32 v184, v144 :: v_dual_mov_b32 v185, v145
	v_dual_mov_b32 v186, v138 :: v_dual_mov_b32 v187, v139
	;; [unrolled: 1-line block ×11, first 2 shown]
	ds_store_2addr_b64 v220, v[184:185], v[186:187] offset0:24 offset1:25
	ds_store_2addr_b64 v220, v[188:189], v[190:191] offset0:26 offset1:27
	;; [unrolled: 1-line block ×6, first 2 shown]
	ds_load_b64 v[184:185], v219
	s_wait_dscnt 0x0
	v_cmp_neq_f32_e32 vcc_lo, 0, v184
	v_cmp_neq_f32_e64 s1, 0, v185
	s_or_b32 s1, vcc_lo, s1
	s_delay_alu instid0(SALU_CYCLE_1)
	s_and_b32 exec_lo, exec_lo, s1
	s_cbranch_execz .LBB71_179
; %bb.174:
	v_cmp_ngt_f32_e64 s1, |v184|, |v185|
                                        ; implicit-def: $vgpr186_vgpr187
	s_and_saveexec_b32 s4, s1
	s_delay_alu instid0(SALU_CYCLE_1)
	s_xor_b32 s1, exec_lo, s4
	s_cbranch_execz .LBB71_176
; %bb.175:
	v_div_scale_f32 v186, null, v185, v185, v184
	v_div_scale_f32 v189, vcc_lo, v184, v185, v184
	s_delay_alu instid0(VALU_DEP_2) | instskip(SKIP_1) | instid1(TRANS32_DEP_1)
	v_rcp_f32_e32 v187, v186
	v_nop
	v_fma_f32 v188, -v186, v187, 1.0
	s_delay_alu instid0(VALU_DEP_1) | instskip(NEXT) | instid1(VALU_DEP_1)
	v_fmac_f32_e32 v187, v188, v187
	v_mul_f32_e32 v188, v189, v187
	s_delay_alu instid0(VALU_DEP_1) | instskip(NEXT) | instid1(VALU_DEP_1)
	v_fma_f32 v190, -v186, v188, v189
	v_fmac_f32_e32 v188, v190, v187
	s_delay_alu instid0(VALU_DEP_1) | instskip(NEXT) | instid1(VALU_DEP_1)
	v_fma_f32 v186, -v186, v188, v189
	v_div_fmas_f32 v186, v186, v187, v188
	s_delay_alu instid0(VALU_DEP_1) | instskip(NEXT) | instid1(VALU_DEP_1)
	v_div_fixup_f32 v186, v186, v185, v184
	v_fmac_f32_e32 v185, v184, v186
	s_delay_alu instid0(VALU_DEP_1) | instskip(SKIP_1) | instid1(VALU_DEP_2)
	v_div_scale_f32 v184, null, v185, v185, 1.0
	v_div_scale_f32 v189, vcc_lo, 1.0, v185, 1.0
	v_rcp_f32_e32 v187, v184
	v_nop
	s_delay_alu instid0(TRANS32_DEP_1) | instskip(NEXT) | instid1(VALU_DEP_1)
	v_fma_f32 v188, -v184, v187, 1.0
	v_fmac_f32_e32 v187, v188, v187
	s_delay_alu instid0(VALU_DEP_1) | instskip(NEXT) | instid1(VALU_DEP_1)
	v_mul_f32_e32 v188, v189, v187
	v_fma_f32 v190, -v184, v188, v189
	s_delay_alu instid0(VALU_DEP_1) | instskip(NEXT) | instid1(VALU_DEP_1)
	v_fmac_f32_e32 v188, v190, v187
	v_fma_f32 v184, -v184, v188, v189
	s_delay_alu instid0(VALU_DEP_1) | instskip(NEXT) | instid1(VALU_DEP_1)
	v_div_fmas_f32 v184, v184, v187, v188
	v_div_fixup_f32 v184, v184, v185, 1.0
	s_delay_alu instid0(VALU_DEP_1)
	v_mul_f32_e32 v186, v186, v184
	v_xor_b32_e32 v187, 0x80000000, v184
                                        ; implicit-def: $vgpr184_vgpr185
.LBB71_176:
	s_and_not1_saveexec_b32 s1, s1
	s_cbranch_execz .LBB71_178
; %bb.177:
	v_div_scale_f32 v186, null, v184, v184, v185
	v_div_scale_f32 v189, vcc_lo, v185, v184, v185
	s_delay_alu instid0(VALU_DEP_2) | instskip(SKIP_1) | instid1(TRANS32_DEP_1)
	v_rcp_f32_e32 v187, v186
	v_nop
	v_fma_f32 v188, -v186, v187, 1.0
	s_delay_alu instid0(VALU_DEP_1) | instskip(NEXT) | instid1(VALU_DEP_1)
	v_fmac_f32_e32 v187, v188, v187
	v_mul_f32_e32 v188, v189, v187
	s_delay_alu instid0(VALU_DEP_1) | instskip(NEXT) | instid1(VALU_DEP_1)
	v_fma_f32 v190, -v186, v188, v189
	v_fmac_f32_e32 v188, v190, v187
	s_delay_alu instid0(VALU_DEP_1) | instskip(NEXT) | instid1(VALU_DEP_1)
	v_fma_f32 v186, -v186, v188, v189
	v_div_fmas_f32 v186, v186, v187, v188
	s_delay_alu instid0(VALU_DEP_1) | instskip(NEXT) | instid1(VALU_DEP_1)
	v_div_fixup_f32 v187, v186, v184, v185
	v_fmac_f32_e32 v184, v185, v187
	s_delay_alu instid0(VALU_DEP_1) | instskip(NEXT) | instid1(VALU_DEP_1)
	v_div_scale_f32 v185, null, v184, v184, 1.0
	v_rcp_f32_e32 v186, v185
	v_nop
	s_delay_alu instid0(TRANS32_DEP_1) | instskip(NEXT) | instid1(VALU_DEP_1)
	v_fma_f32 v188, -v185, v186, 1.0
	v_fmac_f32_e32 v186, v188, v186
	v_div_scale_f32 v188, vcc_lo, 1.0, v184, 1.0
	s_delay_alu instid0(VALU_DEP_1) | instskip(NEXT) | instid1(VALU_DEP_1)
	v_mul_f32_e32 v189, v188, v186
	v_fma_f32 v190, -v185, v189, v188
	s_delay_alu instid0(VALU_DEP_1) | instskip(NEXT) | instid1(VALU_DEP_1)
	v_fmac_f32_e32 v189, v190, v186
	v_fma_f32 v185, -v185, v189, v188
	s_delay_alu instid0(VALU_DEP_1) | instskip(NEXT) | instid1(VALU_DEP_1)
	v_div_fmas_f32 v185, v185, v186, v189
	v_div_fixup_f32 v186, v185, v184, 1.0
	s_delay_alu instid0(VALU_DEP_1)
	v_mul_f32_e64 v187, v187, -v186
.LBB71_178:
	s_or_b32 exec_lo, exec_lo, s1
	ds_store_b64 v219, v[186:187]
.LBB71_179:
	s_or_b32 exec_lo, exec_lo, s2
	s_wait_dscnt 0x0
	s_barrier_signal -1
	s_barrier_wait -1
	ds_load_b64 v[184:185], v219
	s_mov_b32 s1, exec_lo
	v_cmpx_lt_u32_e32 19, v218
	s_cbranch_execz .LBB71_181
; %bb.180:
	ds_load_2addr_b64 v[186:189], v220 offset0:20 offset1:21
	ds_load_2addr_b64 v[190:193], v220 offset0:22 offset1:23
	;; [unrolled: 1-line block ×3, first 2 shown]
	s_wait_dscnt 0x3
	v_pk_mul_f32 v[198:199], v[184:185], v[112:113] op_sel:[1,1] op_sel_hi:[0,1]
	s_delay_alu instid0(VALU_DEP_1)
	v_pk_fma_f32 v[206:207], v[184:185], v[112:113], v[198:199] op_sel_hi:[1,0,1] neg_lo:[0,0,1] neg_hi:[0,0,1]
	v_pk_fma_f32 v[208:209], v[184:185], v[112:113], v[198:199] op_sel_hi:[1,0,1]
	ds_load_2addr_b64 v[198:201], v220 offset0:26 offset1:27
	ds_load_2addr_b64 v[202:205], v220 offset0:28 offset1:29
	v_dual_mov_b32 v112, v206 :: v_dual_mov_b32 v113, v209
	s_wait_dscnt 0x4
	v_pk_mul_f32 v[210:211], v[186:187], v[208:209] op_sel:[0,1]
	v_pk_mul_f32 v[212:213], v[188:189], v[208:209] op_sel:[0,1]
	s_wait_dscnt 0x3
	v_pk_mul_f32 v[214:215], v[190:191], v[208:209] op_sel:[0,1]
	v_dual_mov_b32 v216, v193 :: v_dual_mov_b32 v217, v192
	v_dual_mul_f32 v222, v193, v209 :: v_dual_mul_f32 v224, v193, v206
	s_wait_dscnt 0x2
	v_pk_mul_f32 v[226:227], v[194:195], v[208:209] op_sel:[0,1]
	v_pk_fma_f32 v[230:231], v[186:187], v[206:207], v[210:211] op_sel:[0,0,1] op_sel_hi:[1,1,0] neg_lo:[0,0,1] neg_hi:[0,0,1]
	v_pk_fma_f32 v[186:187], v[186:187], v[206:207], v[210:211] op_sel:[0,0,1] op_sel_hi:[1,0,0]
	v_pk_fma_f32 v[210:211], v[188:189], v[206:207], v[212:213] op_sel:[0,0,1] op_sel_hi:[1,1,0] neg_lo:[0,0,1] neg_hi:[0,0,1]
	v_pk_fma_f32 v[188:189], v[188:189], v[206:207], v[212:213] op_sel:[0,0,1] op_sel_hi:[1,0,0]
	v_pk_mul_f32 v[228:229], v[196:197], v[208:209] op_sel:[0,1]
	v_pk_fma_f32 v[212:213], v[190:191], v[206:207], v[214:215] op_sel:[0,0,1] op_sel_hi:[1,1,0] neg_lo:[0,0,1] neg_hi:[0,0,1]
	v_pk_fma_f32 v[190:191], v[190:191], v[206:207], v[214:215] op_sel:[0,0,1] op_sel_hi:[1,0,0]
	v_pk_fma_f32 v[214:215], v[216:217], v[112:113], v[224:225] op_sel_hi:[1,1,0]
	v_dual_mov_b32 v231, v187 :: v_dual_mov_b32 v211, v189
	v_pk_fma_f32 v[186:187], v[194:195], v[206:207], v[226:227] op_sel:[0,0,1] op_sel_hi:[1,0,0]
	v_pk_fma_f32 v[216:217], v[194:195], v[206:207], v[226:227] op_sel:[0,0,1] op_sel_hi:[1,1,0] neg_lo:[0,0,1] neg_hi:[0,0,1]
	v_mov_b32_e32 v213, v191
	v_pk_fma_f32 v[190:191], v[196:197], v[206:207], v[228:229] op_sel:[0,0,1] op_sel_hi:[1,0,0]
	s_wait_dscnt 0x1
	v_pk_mul_f32 v[194:195], v[198:199], v[208:209] op_sel:[0,1]
	v_pk_fma_f32 v[192:193], v[192:193], v[112:113], v[222:223] op_sel_hi:[1,1,0] neg_lo:[0,0,1] neg_hi:[0,0,1]
	v_mov_b32_e32 v193, v215
	v_pk_add_f32 v[128:129], v[128:129], v[210:211] neg_lo:[0,1] neg_hi:[0,1]
	v_mov_b32_e32 v217, v187
	ds_load_2addr_b64 v[186:189], v220 offset0:30 offset1:31
	v_pk_fma_f32 v[196:197], v[196:197], v[206:207], v[228:229] op_sel:[0,0,1] op_sel_hi:[1,1,0] neg_lo:[0,0,1] neg_hi:[0,0,1]
	v_pk_mul_f32 v[210:211], v[200:201], v[208:209] op_sel:[0,1]
	v_mov_b32_e32 v197, v191
	v_pk_fma_f32 v[190:191], v[198:199], v[206:207], v[194:195] op_sel:[0,0,1] op_sel_hi:[1,0,0]
	v_pk_add_f32 v[126:127], v[126:127], v[192:193] neg_lo:[0,1] neg_hi:[0,1]
	v_pk_fma_f32 v[194:195], v[198:199], v[206:207], v[194:195] op_sel:[0,0,1] op_sel_hi:[1,1,0] neg_lo:[0,0,1] neg_hi:[0,0,1]
	v_pk_fma_f32 v[192:193], v[200:201], v[206:207], v[210:211] op_sel:[0,0,1] op_sel_hi:[1,0,0]
	v_pk_add_f32 v[138:139], v[138:139], v[196:197] neg_lo:[0,1] neg_hi:[0,1]
	v_mov_b32_e32 v195, v191
	v_pk_fma_f32 v[196:197], v[200:201], v[206:207], v[210:211] op_sel:[0,0,1] op_sel_hi:[1,1,0] neg_lo:[0,0,1] neg_hi:[0,0,1]
	s_wait_dscnt 0x1
	v_dual_mul_f32 v198, v203, v206 :: v_dual_mov_b32 v197, v193
	ds_load_2addr_b64 v[190:193], v220 offset0:32 offset1:33
	v_pk_add_f32 v[140:141], v[140:141], v[194:195] neg_lo:[0,1] neg_hi:[0,1]
	v_mul_f32_e32 v194, v203, v209
	v_pk_fma_f32 v[198:199], v[202:203], v[112:113], v[198:199] op_sel:[1,0,0] op_sel_hi:[0,1,0]
	v_pk_add_f32 v[98:99], v[98:99], v[196:197] neg_lo:[0,1] neg_hi:[0,1]
	v_pk_mul_f32 v[200:201], v[204:205], v[208:209] op_sel:[0,1]
	v_pk_add_f32 v[130:131], v[130:131], v[212:213] neg_lo:[0,1] neg_hi:[0,1]
	v_pk_fma_f32 v[202:203], v[202:203], v[112:113], v[194:195] op_sel_hi:[1,1,0] neg_lo:[0,0,1] neg_hi:[0,0,1]
	ds_load_2addr_b64 v[194:197], v220 offset0:34 offset1:35
	s_wait_dscnt 0x2
	v_pk_mul_f32 v[210:211], v[186:187], v[208:209] op_sel:[0,1]
	v_pk_fma_f32 v[212:213], v[204:205], v[206:207], v[200:201] op_sel:[0,0,1] op_sel_hi:[1,0,0]
	v_mov_b32_e32 v203, v199
	v_pk_fma_f32 v[200:201], v[204:205], v[206:207], v[200:201] op_sel:[0,0,1] op_sel_hi:[1,1,0] neg_lo:[0,0,1] neg_hi:[0,0,1]
	v_pk_mul_f32 v[204:205], v[188:189], v[208:209] op_sel:[0,1]
	v_pk_fma_f32 v[198:199], v[186:187], v[206:207], v[210:211] op_sel:[0,0,1] op_sel_hi:[1,0,0]
	v_pk_fma_f32 v[186:187], v[186:187], v[206:207], v[210:211] op_sel:[0,0,1] op_sel_hi:[1,1,0] neg_lo:[0,0,1] neg_hi:[0,0,1]
	v_mov_b32_e32 v201, v213
	v_pk_add_f32 v[124:125], v[124:125], v[202:203] neg_lo:[0,1] neg_hi:[0,1]
	v_pk_add_f32 v[102:103], v[102:103], v[230:231] neg_lo:[0,1] neg_hi:[0,1]
	v_mov_b32_e32 v187, v199
	s_wait_dscnt 0x1
	v_pk_mul_f32 v[202:203], v[190:191], v[208:209] op_sel:[0,1]
	v_pk_fma_f32 v[198:199], v[188:189], v[206:207], v[204:205] op_sel:[0,0,1] op_sel_hi:[1,0,0]
	v_mov_b32_e32 v198, v193
	v_pk_add_f32 v[120:121], v[120:121], v[200:201] neg_lo:[0,1] neg_hi:[0,1]
	v_pk_add_f32 v[122:123], v[122:123], v[186:187] neg_lo:[0,1] neg_hi:[0,1]
	v_pk_fma_f32 v[186:187], v[188:189], v[206:207], v[204:205] op_sel:[0,0,1] op_sel_hi:[1,1,0] neg_lo:[0,0,1] neg_hi:[0,0,1]
	v_pk_fma_f32 v[188:189], v[190:191], v[206:207], v[202:203] op_sel:[0,0,1] op_sel_hi:[1,1,0] neg_lo:[0,0,1] neg_hi:[0,0,1]
	v_pk_fma_f32 v[190:191], v[190:191], v[206:207], v[202:203] op_sel:[0,0,1] op_sel_hi:[1,0,0]
	v_dual_mov_b32 v187, v199 :: v_dual_mov_b32 v199, v192
	v_dual_mul_f32 v200, v193, v206 :: v_dual_mul_f32 v190, v193, v209
	s_wait_dscnt 0x0
	v_pk_mul_f32 v[202:203], v[194:195], v[208:209] op_sel:[0,1]
	v_pk_mul_f32 v[204:205], v[196:197], v[208:209] op_sel:[0,1]
	v_pk_add_f32 v[144:145], v[144:145], v[216:217] neg_lo:[0,1] neg_hi:[0,1]
	v_pk_fma_f32 v[198:199], v[198:199], v[112:113], v[200:201] op_sel_hi:[1,1,0]
	v_mov_b32_e32 v189, v191
	v_pk_fma_f32 v[200:201], v[194:195], v[206:207], v[202:203] op_sel:[0,0,1] op_sel_hi:[1,0,0]
	v_pk_fma_f32 v[190:191], v[192:193], v[112:113], v[190:191] op_sel_hi:[1,1,0] neg_lo:[0,0,1] neg_hi:[0,0,1]
	v_pk_fma_f32 v[192:193], v[196:197], v[206:207], v[204:205] op_sel:[0,0,1] op_sel_hi:[1,0,0]
	v_pk_fma_f32 v[194:195], v[194:195], v[206:207], v[202:203] op_sel:[0,0,1] op_sel_hi:[1,1,0] neg_lo:[0,0,1] neg_hi:[0,0,1]
	v_pk_fma_f32 v[196:197], v[196:197], v[206:207], v[204:205] op_sel:[0,0,1] op_sel_hi:[1,1,0] neg_lo:[0,0,1] neg_hi:[0,0,1]
	v_dual_mov_b32 v191, v199 :: v_dual_mov_b32 v195, v201
	s_delay_alu instid0(VALU_DEP_4) | instskip(SKIP_2) | instid1(VALU_DEP_4)
	v_mov_b32_e32 v197, v193
	v_pk_add_f32 v[118:119], v[118:119], v[186:187] neg_lo:[0,1] neg_hi:[0,1]
	v_pk_add_f32 v[136:137], v[136:137], v[188:189] neg_lo:[0,1] neg_hi:[0,1]
	;; [unrolled: 1-line block ×5, first 2 shown]
.LBB71_181:
	s_or_b32 exec_lo, exec_lo, s1
	s_delay_alu instid0(SALU_CYCLE_1)
	s_mov_b32 s2, exec_lo
	s_wait_dscnt 0x0
	s_barrier_signal -1
	s_barrier_wait -1
	v_cmpx_eq_u32_e32 20, v218
	s_cbranch_execz .LBB71_188
; %bb.182:
	ds_store_b64 v219, v[102:103]
	ds_store_2addr_b64 v220, v[128:129], v[130:131] offset0:21 offset1:22
	ds_store_2addr_b64 v220, v[126:127], v[144:145] offset0:23 offset1:24
	;; [unrolled: 1-line block ×7, first 2 shown]
	ds_store_b64 v220, v[142:143] offset:280
	ds_load_b64 v[186:187], v219
	s_wait_dscnt 0x0
	v_cmp_neq_f32_e32 vcc_lo, 0, v186
	v_cmp_neq_f32_e64 s1, 0, v187
	s_or_b32 s1, vcc_lo, s1
	s_delay_alu instid0(SALU_CYCLE_1)
	s_and_b32 exec_lo, exec_lo, s1
	s_cbranch_execz .LBB71_188
; %bb.183:
	v_cmp_ngt_f32_e64 s1, |v186|, |v187|
                                        ; implicit-def: $vgpr188_vgpr189
	s_and_saveexec_b32 s4, s1
	s_delay_alu instid0(SALU_CYCLE_1)
	s_xor_b32 s1, exec_lo, s4
	s_cbranch_execz .LBB71_185
; %bb.184:
	v_div_scale_f32 v188, null, v187, v187, v186
	v_div_scale_f32 v191, vcc_lo, v186, v187, v186
	s_delay_alu instid0(VALU_DEP_2) | instskip(SKIP_1) | instid1(TRANS32_DEP_1)
	v_rcp_f32_e32 v189, v188
	v_nop
	v_fma_f32 v190, -v188, v189, 1.0
	s_delay_alu instid0(VALU_DEP_1) | instskip(NEXT) | instid1(VALU_DEP_1)
	v_fmac_f32_e32 v189, v190, v189
	v_mul_f32_e32 v190, v191, v189
	s_delay_alu instid0(VALU_DEP_1) | instskip(NEXT) | instid1(VALU_DEP_1)
	v_fma_f32 v192, -v188, v190, v191
	v_fmac_f32_e32 v190, v192, v189
	s_delay_alu instid0(VALU_DEP_1) | instskip(NEXT) | instid1(VALU_DEP_1)
	v_fma_f32 v188, -v188, v190, v191
	v_div_fmas_f32 v188, v188, v189, v190
	s_delay_alu instid0(VALU_DEP_1) | instskip(NEXT) | instid1(VALU_DEP_1)
	v_div_fixup_f32 v188, v188, v187, v186
	v_fmac_f32_e32 v187, v186, v188
	s_delay_alu instid0(VALU_DEP_1) | instskip(SKIP_1) | instid1(VALU_DEP_2)
	v_div_scale_f32 v186, null, v187, v187, 1.0
	v_div_scale_f32 v191, vcc_lo, 1.0, v187, 1.0
	v_rcp_f32_e32 v189, v186
	v_nop
	s_delay_alu instid0(TRANS32_DEP_1) | instskip(NEXT) | instid1(VALU_DEP_1)
	v_fma_f32 v190, -v186, v189, 1.0
	v_fmac_f32_e32 v189, v190, v189
	s_delay_alu instid0(VALU_DEP_1) | instskip(NEXT) | instid1(VALU_DEP_1)
	v_mul_f32_e32 v190, v191, v189
	v_fma_f32 v192, -v186, v190, v191
	s_delay_alu instid0(VALU_DEP_1) | instskip(NEXT) | instid1(VALU_DEP_1)
	v_fmac_f32_e32 v190, v192, v189
	v_fma_f32 v186, -v186, v190, v191
	s_delay_alu instid0(VALU_DEP_1) | instskip(NEXT) | instid1(VALU_DEP_1)
	v_div_fmas_f32 v186, v186, v189, v190
	v_div_fixup_f32 v186, v186, v187, 1.0
	s_delay_alu instid0(VALU_DEP_1)
	v_mul_f32_e32 v188, v188, v186
	v_xor_b32_e32 v189, 0x80000000, v186
                                        ; implicit-def: $vgpr186_vgpr187
.LBB71_185:
	s_and_not1_saveexec_b32 s1, s1
	s_cbranch_execz .LBB71_187
; %bb.186:
	v_div_scale_f32 v188, null, v186, v186, v187
	v_div_scale_f32 v191, vcc_lo, v187, v186, v187
	s_delay_alu instid0(VALU_DEP_2) | instskip(SKIP_1) | instid1(TRANS32_DEP_1)
	v_rcp_f32_e32 v189, v188
	v_nop
	v_fma_f32 v190, -v188, v189, 1.0
	s_delay_alu instid0(VALU_DEP_1) | instskip(NEXT) | instid1(VALU_DEP_1)
	v_fmac_f32_e32 v189, v190, v189
	v_mul_f32_e32 v190, v191, v189
	s_delay_alu instid0(VALU_DEP_1) | instskip(NEXT) | instid1(VALU_DEP_1)
	v_fma_f32 v192, -v188, v190, v191
	v_fmac_f32_e32 v190, v192, v189
	s_delay_alu instid0(VALU_DEP_1) | instskip(NEXT) | instid1(VALU_DEP_1)
	v_fma_f32 v188, -v188, v190, v191
	v_div_fmas_f32 v188, v188, v189, v190
	s_delay_alu instid0(VALU_DEP_1) | instskip(NEXT) | instid1(VALU_DEP_1)
	v_div_fixup_f32 v189, v188, v186, v187
	v_fmac_f32_e32 v186, v187, v189
	s_delay_alu instid0(VALU_DEP_1) | instskip(NEXT) | instid1(VALU_DEP_1)
	v_div_scale_f32 v187, null, v186, v186, 1.0
	v_rcp_f32_e32 v188, v187
	v_nop
	s_delay_alu instid0(TRANS32_DEP_1) | instskip(NEXT) | instid1(VALU_DEP_1)
	v_fma_f32 v190, -v187, v188, 1.0
	v_fmac_f32_e32 v188, v190, v188
	v_div_scale_f32 v190, vcc_lo, 1.0, v186, 1.0
	s_delay_alu instid0(VALU_DEP_1) | instskip(NEXT) | instid1(VALU_DEP_1)
	v_mul_f32_e32 v191, v190, v188
	v_fma_f32 v192, -v187, v191, v190
	s_delay_alu instid0(VALU_DEP_1) | instskip(NEXT) | instid1(VALU_DEP_1)
	v_fmac_f32_e32 v191, v192, v188
	v_fma_f32 v187, -v187, v191, v190
	s_delay_alu instid0(VALU_DEP_1) | instskip(NEXT) | instid1(VALU_DEP_1)
	v_div_fmas_f32 v187, v187, v188, v191
	v_div_fixup_f32 v188, v187, v186, 1.0
	s_delay_alu instid0(VALU_DEP_1)
	v_mul_f32_e64 v189, v189, -v188
.LBB71_187:
	s_or_b32 exec_lo, exec_lo, s1
	ds_store_b64 v219, v[188:189]
.LBB71_188:
	s_or_b32 exec_lo, exec_lo, s2
	s_wait_dscnt 0x0
	s_barrier_signal -1
	s_barrier_wait -1
	ds_load_b64 v[186:187], v219
	s_mov_b32 s1, exec_lo
	v_cmpx_lt_u32_e32 20, v218
	s_cbranch_execz .LBB71_190
; %bb.189:
	ds_load_2addr_b64 v[188:191], v220 offset0:21 offset1:22
	ds_load_2addr_b64 v[192:195], v220 offset0:23 offset1:24
	;; [unrolled: 1-line block ×3, first 2 shown]
	s_wait_dscnt 0x3
	v_pk_mul_f32 v[204:205], v[186:187], v[102:103] op_sel:[1,1] op_sel_hi:[0,1]
	ds_load_2addr_b64 v[200:203], v220 offset0:27 offset1:28
	v_pk_fma_f32 v[210:211], v[186:187], v[102:103], v[204:205] op_sel_hi:[1,0,1]
	v_pk_fma_f32 v[208:209], v[186:187], v[102:103], v[204:205] op_sel_hi:[1,0,1] neg_lo:[0,0,1] neg_hi:[0,0,1]
	ds_load_2addr_b64 v[204:207], v220 offset0:29 offset1:30
	v_dual_mov_b32 v103, v211 :: v_dual_mov_b32 v102, v208
	s_wait_dscnt 0x4
	v_pk_mul_f32 v[212:213], v[188:189], v[210:211] op_sel:[0,1]
	v_pk_mul_f32 v[214:215], v[190:191], v[210:211] op_sel:[0,1]
	s_wait_dscnt 0x3
	v_pk_mul_f32 v[216:217], v[192:193], v[210:211] op_sel:[0,1]
	s_wait_dscnt 0x2
	v_pk_mul_f32 v[228:229], v[196:197], v[210:211] op_sel:[0,1]
	v_dual_mov_b32 v222, v195 :: v_dual_mov_b32 v223, v194
	v_pk_fma_f32 v[234:235], v[188:189], v[208:209], v[212:213] op_sel:[0,0,1] op_sel_hi:[1,1,0] neg_lo:[0,0,1] neg_hi:[0,0,1]
	v_pk_fma_f32 v[188:189], v[188:189], v[208:209], v[212:213] op_sel:[0,0,1] op_sel_hi:[1,0,0]
	v_pk_fma_f32 v[212:213], v[190:191], v[208:209], v[214:215] op_sel:[0,0,1] op_sel_hi:[1,1,0] neg_lo:[0,0,1] neg_hi:[0,0,1]
	v_pk_fma_f32 v[190:191], v[190:191], v[208:209], v[214:215] op_sel:[0,0,1] op_sel_hi:[1,0,0]
	v_dual_mul_f32 v224, v195, v211 :: v_dual_mul_f32 v226, v195, v208
	v_pk_fma_f32 v[214:215], v[192:193], v[208:209], v[216:217] op_sel:[0,0,1] op_sel_hi:[1,1,0] neg_lo:[0,0,1] neg_hi:[0,0,1]
	v_pk_fma_f32 v[192:193], v[192:193], v[208:209], v[216:217] op_sel:[0,0,1] op_sel_hi:[1,0,0]
	v_pk_mul_f32 v[230:231], v[198:199], v[210:211] op_sel:[0,1]
	v_dual_mov_b32 v235, v189 :: v_dual_mov_b32 v213, v191
	v_pk_fma_f32 v[188:189], v[196:197], v[208:209], v[228:229] op_sel:[0,0,1] op_sel_hi:[1,0,0]
	s_wait_dscnt 0x1
	v_pk_mul_f32 v[232:233], v[200:201], v[210:211] op_sel:[0,1]
	v_pk_fma_f32 v[216:217], v[222:223], v[102:103], v[226:227] op_sel_hi:[1,1,0]
	v_mov_b32_e32 v215, v193
	v_pk_fma_f32 v[192:193], v[196:197], v[208:209], v[228:229] op_sel:[0,0,1] op_sel_hi:[1,1,0] neg_lo:[0,0,1] neg_hi:[0,0,1]
	v_pk_fma_f32 v[196:197], v[198:199], v[208:209], v[230:231] op_sel:[0,0,1] op_sel_hi:[1,0,0]
	v_mov_b32_e32 v193, v189
	ds_load_2addr_b64 v[188:191], v220 offset0:31 offset1:32
	v_pk_fma_f32 v[194:195], v[194:195], v[102:103], v[224:225] op_sel_hi:[1,1,0] neg_lo:[0,0,1] neg_hi:[0,0,1]
	v_pk_add_f32 v[130:131], v[130:131], v[212:213] neg_lo:[0,1] neg_hi:[0,1]
	v_pk_fma_f32 v[212:213], v[200:201], v[208:209], v[232:233] op_sel:[0,0,1] op_sel_hi:[1,0,0]
	v_mov_b32_e32 v195, v217
	v_pk_fma_f32 v[198:199], v[198:199], v[208:209], v[230:231] op_sel:[0,0,1] op_sel_hi:[1,1,0] neg_lo:[0,0,1] neg_hi:[0,0,1]
	v_mov_b32_e32 v199, v197
	v_pk_fma_f32 v[196:197], v[200:201], v[208:209], v[232:233] op_sel:[0,0,1] op_sel_hi:[1,1,0] neg_lo:[0,0,1] neg_hi:[0,0,1]
	v_pk_mul_f32 v[200:201], v[202:203], v[210:211] op_sel:[0,1]
	v_mov_b32_e32 v197, v213
	v_pk_add_f32 v[144:145], v[144:145], v[194:195] neg_lo:[0,1] neg_hi:[0,1]
	v_pk_add_f32 v[138:139], v[138:139], v[192:193] neg_lo:[0,1] neg_hi:[0,1]
	ds_load_2addr_b64 v[192:195], v220 offset0:33 offset1:34
	v_pk_add_f32 v[126:127], v[126:127], v[214:215] neg_lo:[0,1] neg_hi:[0,1]
	v_pk_add_f32 v[140:141], v[140:141], v[198:199] neg_lo:[0,1] neg_hi:[0,1]
	v_pk_fma_f32 v[198:199], v[202:203], v[208:209], v[200:201] op_sel:[0,0,1] op_sel_hi:[1,0,0]
	ds_load_b64 v[214:215], v220 offset:280
	v_pk_add_f32 v[98:99], v[98:99], v[196:197] neg_lo:[0,1] neg_hi:[0,1]
	v_pk_fma_f32 v[196:197], v[202:203], v[208:209], v[200:201] op_sel:[0,0,1] op_sel_hi:[1,1,0] neg_lo:[0,0,1] neg_hi:[0,0,1]
	s_wait_dscnt 0x3
	v_dual_mul_f32 v198, v205, v208 :: v_dual_mul_f32 v202, v205, v211
	v_pk_mul_f32 v[200:201], v[206:207], v[210:211] op_sel:[0,1]
	v_pk_add_f32 v[128:129], v[128:129], v[234:235] neg_lo:[0,1] neg_hi:[0,1]
	s_delay_alu instid0(VALU_DEP_3) | instskip(NEXT) | instid1(VALU_DEP_3)
	v_pk_fma_f32 v[202:203], v[204:205], v[102:103], v[202:203] op_sel_hi:[1,1,0] neg_lo:[0,0,1] neg_hi:[0,0,1]
	v_pk_fma_f32 v[212:213], v[206:207], v[208:209], v[200:201] op_sel:[0,0,1] op_sel_hi:[1,0,0]
	v_mov_b32_e32 v197, v199
	v_pk_fma_f32 v[198:199], v[204:205], v[102:103], v[198:199] op_sel:[1,0,0] op_sel_hi:[0,1,0]
	s_wait_dscnt 0x2
	v_pk_mul_f32 v[204:205], v[188:189], v[210:211] op_sel:[0,1]
	s_delay_alu instid0(VALU_DEP_2)
	v_mov_b32_e32 v203, v199
	v_pk_fma_f32 v[198:199], v[206:207], v[208:209], v[200:201] op_sel:[0,0,1] op_sel_hi:[1,1,0] neg_lo:[0,0,1] neg_hi:[0,0,1]
	v_mov_b32_e32 v199, v213
	v_pk_add_f32 v[124:125], v[124:125], v[196:197] neg_lo:[0,1] neg_hi:[0,1]
	v_pk_fma_f32 v[196:197], v[188:189], v[208:209], v[204:205] op_sel:[0,0,1] op_sel_hi:[1,0,0]
	v_pk_mul_f32 v[200:201], v[190:191], v[210:211] op_sel:[0,1]
	v_pk_fma_f32 v[188:189], v[188:189], v[208:209], v[204:205] op_sel:[0,0,1] op_sel_hi:[1,1,0] neg_lo:[0,0,1] neg_hi:[0,0,1]
	v_pk_add_f32 v[122:123], v[122:123], v[198:199] neg_lo:[0,1] neg_hi:[0,1]
	s_wait_dscnt 0x1
	v_pk_mul_f32 v[198:199], v[192:193], v[210:211] op_sel:[0,1]
	v_mov_b32_e32 v189, v197
	v_pk_fma_f32 v[196:197], v[190:191], v[208:209], v[200:201] op_sel:[0,0,1] op_sel_hi:[1,1,0] neg_lo:[0,0,1] neg_hi:[0,0,1]
	v_pk_fma_f32 v[190:191], v[190:191], v[208:209], v[200:201] op_sel:[0,0,1] op_sel_hi:[1,0,0]
	v_dual_mov_b32 v200, v195 :: v_dual_mov_b32 v201, v194
	v_mul_f32_e32 v190, v195, v208
	v_pk_add_f32 v[120:121], v[120:121], v[202:203] neg_lo:[0,1] neg_hi:[0,1]
	s_wait_dscnt 0x0
	v_pk_mul_f32 v[202:203], v[214:215], v[210:211] op_sel:[0,1]
	v_pk_fma_f32 v[204:205], v[192:193], v[208:209], v[198:199] op_sel:[0,0,1] op_sel_hi:[1,0,0]
	v_mul_f32_e32 v204, v195, v211
	v_mov_b32_e32 v197, v191
	v_pk_fma_f32 v[190:191], v[200:201], v[102:103], v[190:191] op_sel_hi:[1,1,0]
	v_pk_fma_f32 v[192:193], v[192:193], v[208:209], v[198:199] op_sel:[0,0,1] op_sel_hi:[1,1,0] neg_lo:[0,0,1] neg_hi:[0,0,1]
	v_pk_fma_f32 v[198:199], v[214:215], v[208:209], v[202:203] op_sel:[0,0,1] op_sel_hi:[1,0,0]
	v_pk_fma_f32 v[194:195], v[194:195], v[102:103], v[204:205] op_sel_hi:[1,1,0] neg_lo:[0,0,1] neg_hi:[0,0,1]
	s_delay_alu instid0(VALU_DEP_4) | instskip(SKIP_1) | instid1(VALU_DEP_4)
	v_dual_mov_b32 v193, v205 :: v_dual_mov_b32 v195, v191
	v_pk_fma_f32 v[190:191], v[214:215], v[208:209], v[202:203] op_sel:[0,0,1] op_sel_hi:[1,1,0] neg_lo:[0,0,1] neg_hi:[0,0,1]
	v_mov_b32_e32 v191, v199
	v_pk_add_f32 v[118:119], v[118:119], v[188:189] neg_lo:[0,1] neg_hi:[0,1]
	v_pk_add_f32 v[136:137], v[136:137], v[196:197] neg_lo:[0,1] neg_hi:[0,1]
	v_pk_add_f32 v[134:135], v[134:135], v[192:193] neg_lo:[0,1] neg_hi:[0,1]
	v_pk_add_f32 v[132:133], v[132:133], v[194:195] neg_lo:[0,1] neg_hi:[0,1]
	v_pk_add_f32 v[142:143], v[142:143], v[190:191] neg_lo:[0,1] neg_hi:[0,1]
.LBB71_190:
	s_or_b32 exec_lo, exec_lo, s1
	s_delay_alu instid0(SALU_CYCLE_1)
	s_mov_b32 s2, exec_lo
	s_wait_dscnt 0x0
	s_barrier_signal -1
	s_barrier_wait -1
	v_cmpx_eq_u32_e32 21, v218
	s_cbranch_execz .LBB71_197
; %bb.191:
	v_dual_mov_b32 v188, v130 :: v_dual_mov_b32 v189, v131
	v_dual_mov_b32 v190, v126 :: v_dual_mov_b32 v191, v127
	;; [unrolled: 1-line block ×4, first 2 shown]
	ds_store_b64 v219, v[128:129]
	ds_store_2addr_b64 v220, v[188:189], v[190:191] offset0:22 offset1:23
	ds_store_2addr_b64 v220, v[192:193], v[194:195] offset0:24 offset1:25
	v_dual_mov_b32 v188, v140 :: v_dual_mov_b32 v189, v141
	v_dual_mov_b32 v190, v98 :: v_dual_mov_b32 v191, v99
	;; [unrolled: 1-line block ×9, first 2 shown]
	ds_store_2addr_b64 v220, v[188:189], v[190:191] offset0:26 offset1:27
	ds_store_2addr_b64 v220, v[192:193], v[194:195] offset0:28 offset1:29
	;; [unrolled: 1-line block ×5, first 2 shown]
	ds_load_b64 v[188:189], v219
	s_wait_dscnt 0x0
	v_cmp_neq_f32_e32 vcc_lo, 0, v188
	v_cmp_neq_f32_e64 s1, 0, v189
	s_or_b32 s1, vcc_lo, s1
	s_delay_alu instid0(SALU_CYCLE_1)
	s_and_b32 exec_lo, exec_lo, s1
	s_cbranch_execz .LBB71_197
; %bb.192:
	v_cmp_ngt_f32_e64 s1, |v188|, |v189|
                                        ; implicit-def: $vgpr190_vgpr191
	s_and_saveexec_b32 s4, s1
	s_delay_alu instid0(SALU_CYCLE_1)
	s_xor_b32 s1, exec_lo, s4
	s_cbranch_execz .LBB71_194
; %bb.193:
	v_div_scale_f32 v190, null, v189, v189, v188
	v_div_scale_f32 v193, vcc_lo, v188, v189, v188
	s_delay_alu instid0(VALU_DEP_2) | instskip(SKIP_1) | instid1(TRANS32_DEP_1)
	v_rcp_f32_e32 v191, v190
	v_nop
	v_fma_f32 v192, -v190, v191, 1.0
	s_delay_alu instid0(VALU_DEP_1) | instskip(NEXT) | instid1(VALU_DEP_1)
	v_fmac_f32_e32 v191, v192, v191
	v_mul_f32_e32 v192, v193, v191
	s_delay_alu instid0(VALU_DEP_1) | instskip(NEXT) | instid1(VALU_DEP_1)
	v_fma_f32 v194, -v190, v192, v193
	v_fmac_f32_e32 v192, v194, v191
	s_delay_alu instid0(VALU_DEP_1) | instskip(NEXT) | instid1(VALU_DEP_1)
	v_fma_f32 v190, -v190, v192, v193
	v_div_fmas_f32 v190, v190, v191, v192
	s_delay_alu instid0(VALU_DEP_1) | instskip(NEXT) | instid1(VALU_DEP_1)
	v_div_fixup_f32 v190, v190, v189, v188
	v_fmac_f32_e32 v189, v188, v190
	s_delay_alu instid0(VALU_DEP_1) | instskip(SKIP_1) | instid1(VALU_DEP_2)
	v_div_scale_f32 v188, null, v189, v189, 1.0
	v_div_scale_f32 v193, vcc_lo, 1.0, v189, 1.0
	v_rcp_f32_e32 v191, v188
	v_nop
	s_delay_alu instid0(TRANS32_DEP_1) | instskip(NEXT) | instid1(VALU_DEP_1)
	v_fma_f32 v192, -v188, v191, 1.0
	v_fmac_f32_e32 v191, v192, v191
	s_delay_alu instid0(VALU_DEP_1) | instskip(NEXT) | instid1(VALU_DEP_1)
	v_mul_f32_e32 v192, v193, v191
	v_fma_f32 v194, -v188, v192, v193
	s_delay_alu instid0(VALU_DEP_1) | instskip(NEXT) | instid1(VALU_DEP_1)
	v_fmac_f32_e32 v192, v194, v191
	v_fma_f32 v188, -v188, v192, v193
	s_delay_alu instid0(VALU_DEP_1) | instskip(NEXT) | instid1(VALU_DEP_1)
	v_div_fmas_f32 v188, v188, v191, v192
	v_div_fixup_f32 v188, v188, v189, 1.0
	s_delay_alu instid0(VALU_DEP_1)
	v_mul_f32_e32 v190, v190, v188
	v_xor_b32_e32 v191, 0x80000000, v188
                                        ; implicit-def: $vgpr188_vgpr189
.LBB71_194:
	s_and_not1_saveexec_b32 s1, s1
	s_cbranch_execz .LBB71_196
; %bb.195:
	v_div_scale_f32 v190, null, v188, v188, v189
	v_div_scale_f32 v193, vcc_lo, v189, v188, v189
	s_delay_alu instid0(VALU_DEP_2) | instskip(SKIP_1) | instid1(TRANS32_DEP_1)
	v_rcp_f32_e32 v191, v190
	v_nop
	v_fma_f32 v192, -v190, v191, 1.0
	s_delay_alu instid0(VALU_DEP_1) | instskip(NEXT) | instid1(VALU_DEP_1)
	v_fmac_f32_e32 v191, v192, v191
	v_mul_f32_e32 v192, v193, v191
	s_delay_alu instid0(VALU_DEP_1) | instskip(NEXT) | instid1(VALU_DEP_1)
	v_fma_f32 v194, -v190, v192, v193
	v_fmac_f32_e32 v192, v194, v191
	s_delay_alu instid0(VALU_DEP_1) | instskip(NEXT) | instid1(VALU_DEP_1)
	v_fma_f32 v190, -v190, v192, v193
	v_div_fmas_f32 v190, v190, v191, v192
	s_delay_alu instid0(VALU_DEP_1) | instskip(NEXT) | instid1(VALU_DEP_1)
	v_div_fixup_f32 v191, v190, v188, v189
	v_fmac_f32_e32 v188, v189, v191
	s_delay_alu instid0(VALU_DEP_1) | instskip(NEXT) | instid1(VALU_DEP_1)
	v_div_scale_f32 v189, null, v188, v188, 1.0
	v_rcp_f32_e32 v190, v189
	v_nop
	s_delay_alu instid0(TRANS32_DEP_1) | instskip(NEXT) | instid1(VALU_DEP_1)
	v_fma_f32 v192, -v189, v190, 1.0
	v_fmac_f32_e32 v190, v192, v190
	v_div_scale_f32 v192, vcc_lo, 1.0, v188, 1.0
	s_delay_alu instid0(VALU_DEP_1) | instskip(NEXT) | instid1(VALU_DEP_1)
	v_mul_f32_e32 v193, v192, v190
	v_fma_f32 v194, -v189, v193, v192
	s_delay_alu instid0(VALU_DEP_1) | instskip(NEXT) | instid1(VALU_DEP_1)
	v_fmac_f32_e32 v193, v194, v190
	v_fma_f32 v189, -v189, v193, v192
	s_delay_alu instid0(VALU_DEP_1) | instskip(NEXT) | instid1(VALU_DEP_1)
	v_div_fmas_f32 v189, v189, v190, v193
	v_div_fixup_f32 v190, v189, v188, 1.0
	s_delay_alu instid0(VALU_DEP_1)
	v_mul_f32_e64 v191, v191, -v190
.LBB71_196:
	s_or_b32 exec_lo, exec_lo, s1
	ds_store_b64 v219, v[190:191]
.LBB71_197:
	s_or_b32 exec_lo, exec_lo, s2
	s_wait_dscnt 0x0
	s_barrier_signal -1
	s_barrier_wait -1
	ds_load_b64 v[188:189], v219
	s_mov_b32 s1, exec_lo
	v_cmpx_lt_u32_e32 21, v218
	s_cbranch_execz .LBB71_199
; %bb.198:
	ds_load_2addr_b64 v[190:193], v220 offset0:22 offset1:23
	ds_load_2addr_b64 v[194:197], v220 offset0:24 offset1:25
	;; [unrolled: 1-line block ×3, first 2 shown]
	s_wait_dscnt 0x3
	v_pk_mul_f32 v[202:203], v[188:189], v[128:129] op_sel:[1,1] op_sel_hi:[0,1]
	s_delay_alu instid0(VALU_DEP_1)
	v_pk_fma_f32 v[212:213], v[188:189], v[128:129], v[202:203] op_sel_hi:[1,0,1]
	v_pk_fma_f32 v[210:211], v[188:189], v[128:129], v[202:203] op_sel_hi:[1,0,1] neg_lo:[0,0,1] neg_hi:[0,0,1]
	ds_load_2addr_b64 v[202:205], v220 offset0:28 offset1:29
	ds_load_2addr_b64 v[206:209], v220 offset0:30 offset1:31
	v_dual_mov_b32 v129, v213 :: v_dual_mov_b32 v128, v210
	s_wait_dscnt 0x4
	v_pk_mul_f32 v[214:215], v[190:191], v[212:213] op_sel:[0,1]
	v_pk_mul_f32 v[216:217], v[192:193], v[212:213] op_sel:[0,1]
	s_wait_dscnt 0x3
	v_pk_mul_f32 v[222:223], v[194:195], v[212:213] op_sel:[0,1]
	v_dual_mov_b32 v224, v197 :: v_dual_mov_b32 v225, v196
	v_dual_mul_f32 v226, v197, v213 :: v_dual_mul_f32 v228, v197, v210
	s_wait_dscnt 0x2
	v_pk_mul_f32 v[230:231], v[198:199], v[212:213] op_sel:[0,1]
	v_pk_mul_f32 v[232:233], v[200:201], v[212:213] op_sel:[0,1]
	v_pk_fma_f32 v[234:235], v[190:191], v[210:211], v[214:215] op_sel:[0,0,1] op_sel_hi:[1,1,0] neg_lo:[0,0,1] neg_hi:[0,0,1]
	v_pk_fma_f32 v[190:191], v[190:191], v[210:211], v[214:215] op_sel:[0,0,1] op_sel_hi:[1,0,0]
	v_pk_fma_f32 v[214:215], v[192:193], v[210:211], v[216:217] op_sel:[0,0,1] op_sel_hi:[1,1,0] neg_lo:[0,0,1] neg_hi:[0,0,1]
	v_pk_fma_f32 v[192:193], v[192:193], v[210:211], v[216:217] op_sel:[0,0,1] op_sel_hi:[1,0,0]
	;; [unrolled: 2-line block ×3, first 2 shown]
	v_pk_fma_f32 v[222:223], v[224:225], v[128:129], v[228:229] op_sel_hi:[1,1,0]
	v_pk_fma_f32 v[224:225], v[198:199], v[210:211], v[230:231] op_sel:[0,0,1] op_sel_hi:[1,0,0]
	v_dual_mov_b32 v235, v191 :: v_dual_mov_b32 v215, v193
	v_pk_fma_f32 v[190:191], v[200:201], v[210:211], v[232:233] op_sel:[0,0,1] op_sel_hi:[1,0,0]
	v_mov_b32_e32 v217, v195
	v_pk_fma_f32 v[194:195], v[198:199], v[210:211], v[230:231] op_sel:[0,0,1] op_sel_hi:[1,1,0] neg_lo:[0,0,1] neg_hi:[0,0,1]
	v_pk_fma_f32 v[198:199], v[200:201], v[210:211], v[232:233] op_sel:[0,0,1] op_sel_hi:[1,1,0] neg_lo:[0,0,1] neg_hi:[0,0,1]
	s_delay_alu instid0(VALU_DEP_4)
	v_dual_mov_b32 v195, v225 :: v_dual_mov_b32 v199, v191
	ds_load_2addr_b64 v[190:193], v220 offset0:32 offset1:33
	v_pk_fma_f32 v[196:197], v[196:197], v[128:129], v[226:227] op_sel_hi:[1,1,0] neg_lo:[0,0,1] neg_hi:[0,0,1]
	s_wait_dscnt 0x2
	v_pk_mul_f32 v[200:201], v[202:203], v[212:213] op_sel:[0,1]
	v_mov_b32_e32 v197, v223
	v_pk_add_f32 v[126:127], v[126:127], v[214:215] neg_lo:[0,1] neg_hi:[0,1]
	v_pk_add_f32 v[98:99], v[98:99], v[198:199] neg_lo:[0,1] neg_hi:[0,1]
	v_pk_mul_f32 v[214:215], v[204:205], v[212:213] op_sel:[0,1]
	v_pk_fma_f32 v[198:199], v[202:203], v[210:211], v[200:201] op_sel:[0,0,1] op_sel_hi:[1,0,0]
	v_pk_add_f32 v[138:139], v[138:139], v[196:197] neg_lo:[0,1] neg_hi:[0,1]
	v_pk_add_f32 v[140:141], v[140:141], v[194:195] neg_lo:[0,1] neg_hi:[0,1]
	ds_load_2addr_b64 v[194:197], v220 offset0:34 offset1:35
	v_pk_fma_f32 v[200:201], v[202:203], v[210:211], v[200:201] op_sel:[0,0,1] op_sel_hi:[1,1,0] neg_lo:[0,0,1] neg_hi:[0,0,1]
	s_wait_dscnt 0x2
	v_mul_f32_e32 v198, v207, v210
	v_pk_fma_f32 v[202:203], v[204:205], v[210:211], v[214:215] op_sel:[0,0,1] op_sel_hi:[1,0,0]
	v_mov_b32_e32 v201, v199
	v_mul_f32_e32 v202, v207, v213
	v_pk_fma_f32 v[204:205], v[204:205], v[210:211], v[214:215] op_sel:[0,0,1] op_sel_hi:[1,1,0] neg_lo:[0,0,1] neg_hi:[0,0,1]
	v_pk_fma_f32 v[198:199], v[206:207], v[128:129], v[198:199] op_sel:[1,0,0] op_sel_hi:[0,1,0]
	v_mov_b32_e32 v205, v203
	v_pk_add_f32 v[124:125], v[124:125], v[200:201] neg_lo:[0,1] neg_hi:[0,1]
	s_wait_dscnt 0x1
	v_pk_mul_f32 v[200:201], v[190:191], v[212:213] op_sel:[0,1]
	v_pk_mul_f32 v[214:215], v[208:209], v[212:213] op_sel:[0,1]
	v_pk_fma_f32 v[202:203], v[206:207], v[128:129], v[202:203] op_sel_hi:[1,1,0] neg_lo:[0,0,1] neg_hi:[0,0,1]
	v_pk_add_f32 v[120:121], v[120:121], v[204:205] neg_lo:[0,1] neg_hi:[0,1]
	v_pk_add_f32 v[130:131], v[130:131], v[234:235] neg_lo:[0,1] neg_hi:[0,1]
	v_pk_fma_f32 v[204:205], v[190:191], v[210:211], v[200:201] op_sel:[0,0,1] op_sel_hi:[1,0,0]
	v_mov_b32_e32 v203, v199
	v_pk_fma_f32 v[198:199], v[208:209], v[210:211], v[214:215] op_sel:[0,0,1] op_sel_hi:[1,0,0]
	v_pk_fma_f32 v[190:191], v[190:191], v[210:211], v[200:201] op_sel:[0,0,1] op_sel_hi:[1,1,0] neg_lo:[0,0,1] neg_hi:[0,0,1]
	v_pk_add_f32 v[144:145], v[144:145], v[216:217] neg_lo:[0,1] neg_hi:[0,1]
	v_mov_b32_e32 v191, v205
	v_pk_add_f32 v[122:123], v[122:123], v[202:203] neg_lo:[0,1] neg_hi:[0,1]
	v_pk_fma_f32 v[202:203], v[208:209], v[210:211], v[214:215] op_sel:[0,0,1] op_sel_hi:[1,1,0] neg_lo:[0,0,1] neg_hi:[0,0,1]
	v_mov_b32_e32 v203, v199
	v_pk_mul_f32 v[198:199], v[192:193], v[212:213] op_sel:[0,1]
	s_wait_dscnt 0x0
	v_pk_mul_f32 v[206:207], v[194:195], v[212:213] op_sel:[0,1]
	v_pk_mul_f32 v[200:201], v[196:197], v[212:213] op_sel:[0,1]
	v_pk_add_f32 v[136:137], v[136:137], v[190:191] neg_lo:[0,1] neg_hi:[0,1]
	v_pk_fma_f32 v[208:209], v[192:193], v[210:211], v[198:199] op_sel:[0,0,1] op_sel_hi:[1,0,0]
	s_delay_alu instid0(VALU_DEP_4)
	v_pk_fma_f32 v[204:205], v[194:195], v[210:211], v[206:207] op_sel:[0,0,1] op_sel_hi:[1,0,0]
	v_pk_fma_f32 v[192:193], v[192:193], v[210:211], v[198:199] op_sel:[0,0,1] op_sel_hi:[1,1,0] neg_lo:[0,0,1] neg_hi:[0,0,1]
	v_pk_fma_f32 v[198:199], v[196:197], v[210:211], v[200:201] op_sel:[0,0,1] op_sel_hi:[1,0,0]
	v_pk_fma_f32 v[194:195], v[194:195], v[210:211], v[206:207] op_sel:[0,0,1] op_sel_hi:[1,1,0] neg_lo:[0,0,1] neg_hi:[0,0,1]
	v_pk_fma_f32 v[196:197], v[196:197], v[210:211], v[200:201] op_sel:[0,0,1] op_sel_hi:[1,1,0] neg_lo:[0,0,1] neg_hi:[0,0,1]
	v_dual_mov_b32 v193, v209 :: v_dual_mov_b32 v195, v205
	s_delay_alu instid0(VALU_DEP_4) | instskip(SKIP_1) | instid1(VALU_DEP_3)
	v_mov_b32_e32 v197, v199
	v_pk_add_f32 v[118:119], v[118:119], v[202:203] neg_lo:[0,1] neg_hi:[0,1]
	v_pk_add_f32 v[134:135], v[134:135], v[192:193] neg_lo:[0,1] neg_hi:[0,1]
	s_delay_alu instid0(VALU_DEP_4) | instskip(NEXT) | instid1(VALU_DEP_4)
	v_pk_add_f32 v[132:133], v[132:133], v[194:195] neg_lo:[0,1] neg_hi:[0,1]
	v_pk_add_f32 v[142:143], v[142:143], v[196:197] neg_lo:[0,1] neg_hi:[0,1]
.LBB71_199:
	s_or_b32 exec_lo, exec_lo, s1
	s_delay_alu instid0(SALU_CYCLE_1)
	s_mov_b32 s2, exec_lo
	s_wait_dscnt 0x0
	s_barrier_signal -1
	s_barrier_wait -1
	v_cmpx_eq_u32_e32 22, v218
	s_cbranch_execz .LBB71_206
; %bb.200:
	ds_store_b64 v219, v[130:131]
	ds_store_2addr_b64 v220, v[126:127], v[144:145] offset0:23 offset1:24
	ds_store_2addr_b64 v220, v[138:139], v[140:141] offset0:25 offset1:26
	;; [unrolled: 1-line block ×6, first 2 shown]
	ds_store_b64 v220, v[142:143] offset:280
	ds_load_b64 v[190:191], v219
	s_wait_dscnt 0x0
	v_cmp_neq_f32_e32 vcc_lo, 0, v190
	v_cmp_neq_f32_e64 s1, 0, v191
	s_or_b32 s1, vcc_lo, s1
	s_delay_alu instid0(SALU_CYCLE_1)
	s_and_b32 exec_lo, exec_lo, s1
	s_cbranch_execz .LBB71_206
; %bb.201:
	v_cmp_ngt_f32_e64 s1, |v190|, |v191|
                                        ; implicit-def: $vgpr192_vgpr193
	s_and_saveexec_b32 s4, s1
	s_delay_alu instid0(SALU_CYCLE_1)
	s_xor_b32 s1, exec_lo, s4
	s_cbranch_execz .LBB71_203
; %bb.202:
	v_div_scale_f32 v192, null, v191, v191, v190
	v_div_scale_f32 v195, vcc_lo, v190, v191, v190
	s_delay_alu instid0(VALU_DEP_2) | instskip(SKIP_1) | instid1(TRANS32_DEP_1)
	v_rcp_f32_e32 v193, v192
	v_nop
	v_fma_f32 v194, -v192, v193, 1.0
	s_delay_alu instid0(VALU_DEP_1) | instskip(NEXT) | instid1(VALU_DEP_1)
	v_fmac_f32_e32 v193, v194, v193
	v_mul_f32_e32 v194, v195, v193
	s_delay_alu instid0(VALU_DEP_1) | instskip(NEXT) | instid1(VALU_DEP_1)
	v_fma_f32 v196, -v192, v194, v195
	v_fmac_f32_e32 v194, v196, v193
	s_delay_alu instid0(VALU_DEP_1) | instskip(NEXT) | instid1(VALU_DEP_1)
	v_fma_f32 v192, -v192, v194, v195
	v_div_fmas_f32 v192, v192, v193, v194
	s_delay_alu instid0(VALU_DEP_1) | instskip(NEXT) | instid1(VALU_DEP_1)
	v_div_fixup_f32 v192, v192, v191, v190
	v_fmac_f32_e32 v191, v190, v192
	s_delay_alu instid0(VALU_DEP_1) | instskip(SKIP_1) | instid1(VALU_DEP_2)
	v_div_scale_f32 v190, null, v191, v191, 1.0
	v_div_scale_f32 v195, vcc_lo, 1.0, v191, 1.0
	v_rcp_f32_e32 v193, v190
	v_nop
	s_delay_alu instid0(TRANS32_DEP_1) | instskip(NEXT) | instid1(VALU_DEP_1)
	v_fma_f32 v194, -v190, v193, 1.0
	v_fmac_f32_e32 v193, v194, v193
	s_delay_alu instid0(VALU_DEP_1) | instskip(NEXT) | instid1(VALU_DEP_1)
	v_mul_f32_e32 v194, v195, v193
	v_fma_f32 v196, -v190, v194, v195
	s_delay_alu instid0(VALU_DEP_1) | instskip(NEXT) | instid1(VALU_DEP_1)
	v_fmac_f32_e32 v194, v196, v193
	v_fma_f32 v190, -v190, v194, v195
	s_delay_alu instid0(VALU_DEP_1) | instskip(NEXT) | instid1(VALU_DEP_1)
	v_div_fmas_f32 v190, v190, v193, v194
	v_div_fixup_f32 v190, v190, v191, 1.0
	s_delay_alu instid0(VALU_DEP_1)
	v_mul_f32_e32 v192, v192, v190
	v_xor_b32_e32 v193, 0x80000000, v190
                                        ; implicit-def: $vgpr190_vgpr191
.LBB71_203:
	s_and_not1_saveexec_b32 s1, s1
	s_cbranch_execz .LBB71_205
; %bb.204:
	v_div_scale_f32 v192, null, v190, v190, v191
	v_div_scale_f32 v195, vcc_lo, v191, v190, v191
	s_delay_alu instid0(VALU_DEP_2) | instskip(SKIP_1) | instid1(TRANS32_DEP_1)
	v_rcp_f32_e32 v193, v192
	v_nop
	v_fma_f32 v194, -v192, v193, 1.0
	s_delay_alu instid0(VALU_DEP_1) | instskip(NEXT) | instid1(VALU_DEP_1)
	v_fmac_f32_e32 v193, v194, v193
	v_mul_f32_e32 v194, v195, v193
	s_delay_alu instid0(VALU_DEP_1) | instskip(NEXT) | instid1(VALU_DEP_1)
	v_fma_f32 v196, -v192, v194, v195
	v_fmac_f32_e32 v194, v196, v193
	s_delay_alu instid0(VALU_DEP_1) | instskip(NEXT) | instid1(VALU_DEP_1)
	v_fma_f32 v192, -v192, v194, v195
	v_div_fmas_f32 v192, v192, v193, v194
	s_delay_alu instid0(VALU_DEP_1) | instskip(NEXT) | instid1(VALU_DEP_1)
	v_div_fixup_f32 v193, v192, v190, v191
	v_fmac_f32_e32 v190, v191, v193
	s_delay_alu instid0(VALU_DEP_1) | instskip(NEXT) | instid1(VALU_DEP_1)
	v_div_scale_f32 v191, null, v190, v190, 1.0
	v_rcp_f32_e32 v192, v191
	v_nop
	s_delay_alu instid0(TRANS32_DEP_1) | instskip(NEXT) | instid1(VALU_DEP_1)
	v_fma_f32 v194, -v191, v192, 1.0
	v_fmac_f32_e32 v192, v194, v192
	v_div_scale_f32 v194, vcc_lo, 1.0, v190, 1.0
	s_delay_alu instid0(VALU_DEP_1) | instskip(NEXT) | instid1(VALU_DEP_1)
	v_mul_f32_e32 v195, v194, v192
	v_fma_f32 v196, -v191, v195, v194
	s_delay_alu instid0(VALU_DEP_1) | instskip(NEXT) | instid1(VALU_DEP_1)
	v_fmac_f32_e32 v195, v196, v192
	v_fma_f32 v191, -v191, v195, v194
	s_delay_alu instid0(VALU_DEP_1) | instskip(NEXT) | instid1(VALU_DEP_1)
	v_div_fmas_f32 v191, v191, v192, v195
	v_div_fixup_f32 v192, v191, v190, 1.0
	s_delay_alu instid0(VALU_DEP_1)
	v_mul_f32_e64 v193, v193, -v192
.LBB71_205:
	s_or_b32 exec_lo, exec_lo, s1
	ds_store_b64 v219, v[192:193]
.LBB71_206:
	s_or_b32 exec_lo, exec_lo, s2
	s_wait_dscnt 0x0
	s_barrier_signal -1
	s_barrier_wait -1
	ds_load_b64 v[190:191], v219
	s_mov_b32 s1, exec_lo
	v_cmpx_lt_u32_e32 22, v218
	s_cbranch_execz .LBB71_208
; %bb.207:
	ds_load_2addr_b64 v[192:195], v220 offset0:23 offset1:24
	ds_load_2addr_b64 v[196:199], v220 offset0:25 offset1:26
	;; [unrolled: 1-line block ×3, first 2 shown]
	s_wait_dscnt 0x3
	v_pk_mul_f32 v[204:205], v[190:191], v[130:131] op_sel:[1,1] op_sel_hi:[0,1]
	s_delay_alu instid0(VALU_DEP_1)
	v_pk_fma_f32 v[212:213], v[190:191], v[130:131], v[204:205] op_sel_hi:[1,0,1] neg_lo:[0,0,1] neg_hi:[0,0,1]
	v_pk_fma_f32 v[214:215], v[190:191], v[130:131], v[204:205] op_sel_hi:[1,0,1]
	ds_load_2addr_b64 v[204:207], v220 offset0:29 offset1:30
	ds_load_2addr_b64 v[208:211], v220 offset0:31 offset1:32
	v_dual_mov_b32 v130, v212 :: v_dual_mov_b32 v131, v215
	s_wait_dscnt 0x4
	v_pk_mul_f32 v[216:217], v[192:193], v[214:215] op_sel:[0,1]
	v_pk_mul_f32 v[222:223], v[194:195], v[214:215] op_sel:[0,1]
	s_wait_dscnt 0x3
	v_pk_mul_f32 v[224:225], v[196:197], v[214:215] op_sel:[0,1]
	v_dual_mov_b32 v226, v199 :: v_dual_mov_b32 v227, v198
	v_dual_mul_f32 v228, v199, v215 :: v_dual_mul_f32 v230, v199, v212
	s_wait_dscnt 0x2
	v_pk_mul_f32 v[232:233], v[200:201], v[214:215] op_sel:[0,1]
	v_pk_fma_f32 v[236:237], v[192:193], v[212:213], v[216:217] op_sel:[0,0,1] op_sel_hi:[1,1,0] neg_lo:[0,0,1] neg_hi:[0,0,1]
	v_pk_fma_f32 v[192:193], v[192:193], v[212:213], v[216:217] op_sel:[0,0,1] op_sel_hi:[1,0,0]
	v_pk_fma_f32 v[216:217], v[194:195], v[212:213], v[222:223] op_sel:[0,0,1] op_sel_hi:[1,1,0] neg_lo:[0,0,1] neg_hi:[0,0,1]
	v_pk_fma_f32 v[194:195], v[194:195], v[212:213], v[222:223] op_sel:[0,0,1] op_sel_hi:[1,0,0]
	;; [unrolled: 2-line block ×3, first 2 shown]
	v_pk_fma_f32 v[224:225], v[226:227], v[130:131], v[230:231] op_sel_hi:[1,1,0]
	v_pk_fma_f32 v[198:199], v[198:199], v[130:131], v[228:229] op_sel_hi:[1,1,0] neg_lo:[0,0,1] neg_hi:[0,0,1]
	v_pk_mul_f32 v[234:235], v[202:203], v[214:215] op_sel:[0,1]
	v_dual_mov_b32 v237, v193 :: v_dual_mov_b32 v217, v195
	s_delay_alu instid0(VALU_DEP_4)
	v_dual_mov_b32 v223, v197 :: v_dual_mov_b32 v199, v225
	v_pk_fma_f32 v[192:193], v[200:201], v[212:213], v[232:233] op_sel:[0,0,1] op_sel_hi:[1,0,0]
	v_pk_fma_f32 v[196:197], v[200:201], v[212:213], v[232:233] op_sel:[0,0,1] op_sel_hi:[1,1,0] neg_lo:[0,0,1] neg_hi:[0,0,1]
	v_pk_fma_f32 v[200:201], v[202:203], v[212:213], v[234:235] op_sel:[0,0,1] op_sel_hi:[1,1,0] neg_lo:[0,0,1] neg_hi:[0,0,1]
	v_pk_add_f32 v[144:145], v[144:145], v[216:217] neg_lo:[0,1] neg_hi:[0,1]
	v_pk_add_f32 v[140:141], v[140:141], v[198:199] neg_lo:[0,1] neg_hi:[0,1]
	v_pk_fma_f32 v[198:199], v[202:203], v[212:213], v[234:235] op_sel:[0,0,1] op_sel_hi:[1,0,0]
	v_mov_b32_e32 v197, v193
	s_wait_dscnt 0x1
	v_pk_mul_f32 v[202:203], v[204:205], v[214:215] op_sel:[0,1]
	ds_load_2addr_b64 v[192:195], v220 offset0:33 offset1:34
	v_pk_add_f32 v[126:127], v[126:127], v[236:237] neg_lo:[0,1] neg_hi:[0,1]
	v_mov_b32_e32 v201, v199
	v_pk_add_f32 v[98:99], v[98:99], v[196:197] neg_lo:[0,1] neg_hi:[0,1]
	ds_load_b64 v[196:197], v220 offset:280
	v_pk_mul_f32 v[198:199], v[206:207], v[214:215] op_sel:[0,1]
	v_pk_fma_f32 v[216:217], v[204:205], v[212:213], v[202:203] op_sel:[0,0,1] op_sel_hi:[1,0,0]
	v_pk_add_f32 v[124:125], v[124:125], v[200:201] neg_lo:[0,1] neg_hi:[0,1]
	v_pk_fma_f32 v[202:203], v[204:205], v[212:213], v[202:203] op_sel:[0,0,1] op_sel_hi:[1,1,0] neg_lo:[0,0,1] neg_hi:[0,0,1]
	s_wait_dscnt 0x2
	v_mul_f32_e32 v204, v209, v215
	v_pk_fma_f32 v[200:201], v[206:207], v[212:213], v[198:199] op_sel:[0,0,1] op_sel_hi:[1,0,0]
	v_mul_f32_e32 v200, v209, v212
	v_mov_b32_e32 v203, v217
	v_pk_fma_f32 v[198:199], v[206:207], v[212:213], v[198:199] op_sel:[0,0,1] op_sel_hi:[1,1,0] neg_lo:[0,0,1] neg_hi:[0,0,1]
	v_pk_add_f32 v[138:139], v[138:139], v[222:223] neg_lo:[0,1] neg_hi:[0,1]
	v_mov_b32_e32 v199, v201
	v_pk_fma_f32 v[200:201], v[208:209], v[130:131], v[200:201] op_sel:[1,0,0] op_sel_hi:[0,1,0]
	v_pk_add_f32 v[120:121], v[120:121], v[202:203] neg_lo:[0,1] neg_hi:[0,1]
	v_pk_mul_f32 v[202:203], v[210:211], v[214:215] op_sel:[0,1]
	s_delay_alu instid0(VALU_DEP_4)
	v_pk_add_f32 v[122:123], v[122:123], v[198:199] neg_lo:[0,1] neg_hi:[0,1]
	v_pk_fma_f32 v[198:199], v[208:209], v[130:131], v[204:205] op_sel_hi:[1,1,0] neg_lo:[0,0,1] neg_hi:[0,0,1]
	s_wait_dscnt 0x1
	v_pk_mul_f32 v[206:207], v[194:195], v[214:215] op_sel:[0,1]
	v_pk_fma_f32 v[204:205], v[210:211], v[212:213], v[202:203] op_sel:[0,0,1] op_sel_hi:[1,0,0]
	v_mov_b32_e32 v199, v201
	v_pk_mul_f32 v[200:201], v[192:193], v[214:215] op_sel:[0,1]
	s_wait_dscnt 0x0
	v_pk_mul_f32 v[208:209], v[196:197], v[214:215] op_sel:[0,1]
	v_pk_fma_f32 v[202:203], v[210:211], v[212:213], v[202:203] op_sel:[0,0,1] op_sel_hi:[1,1,0] neg_lo:[0,0,1] neg_hi:[0,0,1]
	v_mov_b32_e32 v203, v205
	v_pk_fma_f32 v[204:205], v[194:195], v[212:213], v[206:207] op_sel:[0,0,1] op_sel_hi:[1,0,0]
	v_pk_fma_f32 v[210:211], v[192:193], v[212:213], v[200:201] op_sel:[0,0,1] op_sel_hi:[1,0,0]
	v_pk_fma_f32 v[192:193], v[192:193], v[212:213], v[200:201] op_sel:[0,0,1] op_sel_hi:[1,1,0] neg_lo:[0,0,1] neg_hi:[0,0,1]
	v_pk_fma_f32 v[200:201], v[196:197], v[212:213], v[208:209] op_sel:[0,0,1] op_sel_hi:[1,0,0]
	v_pk_fma_f32 v[194:195], v[194:195], v[212:213], v[206:207] op_sel:[0,0,1] op_sel_hi:[1,1,0] neg_lo:[0,0,1] neg_hi:[0,0,1]
	v_pk_fma_f32 v[196:197], v[196:197], v[212:213], v[208:209] op_sel:[0,0,1] op_sel_hi:[1,1,0] neg_lo:[0,0,1] neg_hi:[0,0,1]
	v_dual_mov_b32 v193, v211 :: v_dual_mov_b32 v195, v205
	s_delay_alu instid0(VALU_DEP_4) | instskip(SKIP_2) | instid1(VALU_DEP_4)
	v_mov_b32_e32 v197, v201
	v_pk_add_f32 v[118:119], v[118:119], v[198:199] neg_lo:[0,1] neg_hi:[0,1]
	v_pk_add_f32 v[136:137], v[136:137], v[202:203] neg_lo:[0,1] neg_hi:[0,1]
	;; [unrolled: 1-line block ×5, first 2 shown]
.LBB71_208:
	s_or_b32 exec_lo, exec_lo, s1
	s_delay_alu instid0(SALU_CYCLE_1)
	s_mov_b32 s2, exec_lo
	s_wait_dscnt 0x0
	s_barrier_signal -1
	s_barrier_wait -1
	v_cmpx_eq_u32_e32 23, v218
	s_cbranch_execz .LBB71_215
; %bb.209:
	v_dual_mov_b32 v192, v144 :: v_dual_mov_b32 v193, v145
	v_dual_mov_b32 v194, v138 :: v_dual_mov_b32 v195, v139
	;; [unrolled: 1-line block ×10, first 2 shown]
	ds_store_b64 v219, v[126:127]
	v_dual_mov_b32 v212, v132 :: v_dual_mov_b32 v213, v133
	ds_store_2addr_b64 v220, v[192:193], v[194:195] offset0:24 offset1:25
	ds_store_2addr_b64 v220, v[196:197], v[198:199] offset0:26 offset1:27
	;; [unrolled: 1-line block ×6, first 2 shown]
	ds_load_b64 v[192:193], v219
	s_wait_dscnt 0x0
	v_cmp_neq_f32_e32 vcc_lo, 0, v192
	v_cmp_neq_f32_e64 s1, 0, v193
	s_or_b32 s1, vcc_lo, s1
	s_delay_alu instid0(SALU_CYCLE_1)
	s_and_b32 exec_lo, exec_lo, s1
	s_cbranch_execz .LBB71_215
; %bb.210:
	v_cmp_ngt_f32_e64 s1, |v192|, |v193|
                                        ; implicit-def: $vgpr194_vgpr195
	s_and_saveexec_b32 s4, s1
	s_delay_alu instid0(SALU_CYCLE_1)
	s_xor_b32 s1, exec_lo, s4
	s_cbranch_execz .LBB71_212
; %bb.211:
	v_div_scale_f32 v194, null, v193, v193, v192
	v_div_scale_f32 v197, vcc_lo, v192, v193, v192
	s_delay_alu instid0(VALU_DEP_2) | instskip(SKIP_1) | instid1(TRANS32_DEP_1)
	v_rcp_f32_e32 v195, v194
	v_nop
	v_fma_f32 v196, -v194, v195, 1.0
	s_delay_alu instid0(VALU_DEP_1) | instskip(NEXT) | instid1(VALU_DEP_1)
	v_fmac_f32_e32 v195, v196, v195
	v_mul_f32_e32 v196, v197, v195
	s_delay_alu instid0(VALU_DEP_1) | instskip(NEXT) | instid1(VALU_DEP_1)
	v_fma_f32 v198, -v194, v196, v197
	v_fmac_f32_e32 v196, v198, v195
	s_delay_alu instid0(VALU_DEP_1) | instskip(NEXT) | instid1(VALU_DEP_1)
	v_fma_f32 v194, -v194, v196, v197
	v_div_fmas_f32 v194, v194, v195, v196
	s_delay_alu instid0(VALU_DEP_1) | instskip(NEXT) | instid1(VALU_DEP_1)
	v_div_fixup_f32 v194, v194, v193, v192
	v_fmac_f32_e32 v193, v192, v194
	s_delay_alu instid0(VALU_DEP_1) | instskip(SKIP_1) | instid1(VALU_DEP_2)
	v_div_scale_f32 v192, null, v193, v193, 1.0
	v_div_scale_f32 v197, vcc_lo, 1.0, v193, 1.0
	v_rcp_f32_e32 v195, v192
	v_nop
	s_delay_alu instid0(TRANS32_DEP_1) | instskip(NEXT) | instid1(VALU_DEP_1)
	v_fma_f32 v196, -v192, v195, 1.0
	v_fmac_f32_e32 v195, v196, v195
	s_delay_alu instid0(VALU_DEP_1) | instskip(NEXT) | instid1(VALU_DEP_1)
	v_mul_f32_e32 v196, v197, v195
	v_fma_f32 v198, -v192, v196, v197
	s_delay_alu instid0(VALU_DEP_1) | instskip(NEXT) | instid1(VALU_DEP_1)
	v_fmac_f32_e32 v196, v198, v195
	v_fma_f32 v192, -v192, v196, v197
	s_delay_alu instid0(VALU_DEP_1) | instskip(NEXT) | instid1(VALU_DEP_1)
	v_div_fmas_f32 v192, v192, v195, v196
	v_div_fixup_f32 v192, v192, v193, 1.0
	s_delay_alu instid0(VALU_DEP_1)
	v_mul_f32_e32 v194, v194, v192
	v_xor_b32_e32 v195, 0x80000000, v192
                                        ; implicit-def: $vgpr192_vgpr193
.LBB71_212:
	s_and_not1_saveexec_b32 s1, s1
	s_cbranch_execz .LBB71_214
; %bb.213:
	v_div_scale_f32 v194, null, v192, v192, v193
	v_div_scale_f32 v197, vcc_lo, v193, v192, v193
	s_delay_alu instid0(VALU_DEP_2) | instskip(SKIP_1) | instid1(TRANS32_DEP_1)
	v_rcp_f32_e32 v195, v194
	v_nop
	v_fma_f32 v196, -v194, v195, 1.0
	s_delay_alu instid0(VALU_DEP_1) | instskip(NEXT) | instid1(VALU_DEP_1)
	v_fmac_f32_e32 v195, v196, v195
	v_mul_f32_e32 v196, v197, v195
	s_delay_alu instid0(VALU_DEP_1) | instskip(NEXT) | instid1(VALU_DEP_1)
	v_fma_f32 v198, -v194, v196, v197
	v_fmac_f32_e32 v196, v198, v195
	s_delay_alu instid0(VALU_DEP_1) | instskip(NEXT) | instid1(VALU_DEP_1)
	v_fma_f32 v194, -v194, v196, v197
	v_div_fmas_f32 v194, v194, v195, v196
	s_delay_alu instid0(VALU_DEP_1) | instskip(NEXT) | instid1(VALU_DEP_1)
	v_div_fixup_f32 v195, v194, v192, v193
	v_fmac_f32_e32 v192, v193, v195
	s_delay_alu instid0(VALU_DEP_1) | instskip(NEXT) | instid1(VALU_DEP_1)
	v_div_scale_f32 v193, null, v192, v192, 1.0
	v_rcp_f32_e32 v194, v193
	v_nop
	s_delay_alu instid0(TRANS32_DEP_1) | instskip(NEXT) | instid1(VALU_DEP_1)
	v_fma_f32 v196, -v193, v194, 1.0
	v_fmac_f32_e32 v194, v196, v194
	v_div_scale_f32 v196, vcc_lo, 1.0, v192, 1.0
	s_delay_alu instid0(VALU_DEP_1) | instskip(NEXT) | instid1(VALU_DEP_1)
	v_mul_f32_e32 v197, v196, v194
	v_fma_f32 v198, -v193, v197, v196
	s_delay_alu instid0(VALU_DEP_1) | instskip(NEXT) | instid1(VALU_DEP_1)
	v_fmac_f32_e32 v197, v198, v194
	v_fma_f32 v193, -v193, v197, v196
	s_delay_alu instid0(VALU_DEP_1) | instskip(NEXT) | instid1(VALU_DEP_1)
	v_div_fmas_f32 v193, v193, v194, v197
	v_div_fixup_f32 v194, v193, v192, 1.0
	s_delay_alu instid0(VALU_DEP_1)
	v_mul_f32_e64 v195, v195, -v194
.LBB71_214:
	s_or_b32 exec_lo, exec_lo, s1
	ds_store_b64 v219, v[194:195]
.LBB71_215:
	s_or_b32 exec_lo, exec_lo, s2
	s_wait_dscnt 0x0
	s_barrier_signal -1
	s_barrier_wait -1
	ds_load_b64 v[192:193], v219
	s_mov_b32 s1, exec_lo
	v_cmpx_lt_u32_e32 23, v218
	s_cbranch_execz .LBB71_217
; %bb.216:
	ds_load_2addr_b64 v[194:197], v220 offset0:24 offset1:25
	ds_load_2addr_b64 v[198:201], v220 offset0:26 offset1:27
	;; [unrolled: 1-line block ×3, first 2 shown]
	s_wait_dscnt 0x3
	v_pk_mul_f32 v[206:207], v[192:193], v[126:127] op_sel:[1,1] op_sel_hi:[0,1]
	s_delay_alu instid0(VALU_DEP_1)
	v_pk_fma_f32 v[216:217], v[192:193], v[126:127], v[206:207] op_sel_hi:[1,0,1]
	v_pk_fma_f32 v[214:215], v[192:193], v[126:127], v[206:207] op_sel_hi:[1,0,1] neg_lo:[0,0,1] neg_hi:[0,0,1]
	ds_load_2addr_b64 v[206:209], v220 offset0:30 offset1:31
	ds_load_2addr_b64 v[210:213], v220 offset0:32 offset1:33
	v_dual_mov_b32 v127, v217 :: v_dual_mov_b32 v126, v214
	s_wait_dscnt 0x4
	v_pk_mul_f32 v[222:223], v[194:195], v[216:217] op_sel:[0,1]
	v_pk_mul_f32 v[224:225], v[196:197], v[216:217] op_sel:[0,1]
	s_wait_dscnt 0x3
	v_pk_mul_f32 v[226:227], v[198:199], v[216:217] op_sel:[0,1]
	s_wait_dscnt 0x2
	v_pk_mul_f32 v[234:235], v[202:203], v[216:217] op_sel:[0,1]
	v_dual_mov_b32 v228, v201 :: v_dual_mov_b32 v229, v200
	v_pk_fma_f32 v[238:239], v[194:195], v[214:215], v[222:223] op_sel:[0,0,1] op_sel_hi:[1,1,0] neg_lo:[0,0,1] neg_hi:[0,0,1]
	v_pk_fma_f32 v[194:195], v[194:195], v[214:215], v[222:223] op_sel:[0,0,1] op_sel_hi:[1,0,0]
	v_dual_mul_f32 v230, v201, v217 :: v_dual_mul_f32 v232, v201, v214
	v_pk_mul_f32 v[236:237], v[204:205], v[216:217] op_sel:[0,1]
	v_pk_fma_f32 v[222:223], v[196:197], v[214:215], v[224:225] op_sel:[0,0,1] op_sel_hi:[1,1,0] neg_lo:[0,0,1] neg_hi:[0,0,1]
	v_pk_fma_f32 v[196:197], v[196:197], v[214:215], v[224:225] op_sel:[0,0,1] op_sel_hi:[1,0,0]
	v_pk_fma_f32 v[224:225], v[198:199], v[214:215], v[226:227] op_sel:[0,0,1] op_sel_hi:[1,1,0] neg_lo:[0,0,1] neg_hi:[0,0,1]
	v_pk_fma_f32 v[198:199], v[198:199], v[214:215], v[226:227] op_sel:[0,0,1] op_sel_hi:[1,0,0]
	v_mov_b32_e32 v239, v195
	v_pk_fma_f32 v[194:195], v[202:203], v[214:215], v[234:235] op_sel:[0,0,1] op_sel_hi:[1,0,0]
	v_pk_fma_f32 v[226:227], v[228:229], v[126:127], v[232:233] op_sel_hi:[1,1,0]
	v_pk_fma_f32 v[228:229], v[202:203], v[214:215], v[234:235] op_sel:[0,0,1] op_sel_hi:[1,1,0] neg_lo:[0,0,1] neg_hi:[0,0,1]
	v_dual_mov_b32 v223, v197 :: v_dual_mov_b32 v225, v199
	v_pk_fma_f32 v[198:199], v[204:205], v[214:215], v[236:237] op_sel:[0,0,1] op_sel_hi:[1,0,0]
	v_mov_b32_e32 v229, v195
	ds_load_2addr_b64 v[194:197], v220 offset0:34 offset1:35
	v_pk_fma_f32 v[200:201], v[200:201], v[126:127], v[230:231] op_sel_hi:[1,1,0] neg_lo:[0,0,1] neg_hi:[0,0,1]
	v_mov_b32_e32 v201, v227
	s_wait_dscnt 0x2
	v_pk_mul_f32 v[202:203], v[206:207], v[216:217] op_sel:[0,1]
	v_pk_add_f32 v[144:145], v[144:145], v[238:239] neg_lo:[0,1] neg_hi:[0,1]
	v_pk_add_f32 v[138:139], v[138:139], v[222:223] neg_lo:[0,1] neg_hi:[0,1]
	;; [unrolled: 1-line block ×4, first 2 shown]
	v_pk_fma_f32 v[200:201], v[204:205], v[214:215], v[236:237] op_sel:[0,0,1] op_sel_hi:[1,1,0] neg_lo:[0,0,1] neg_hi:[0,0,1]
	v_pk_fma_f32 v[204:205], v[206:207], v[214:215], v[202:203] op_sel:[0,0,1] op_sel_hi:[1,0,0]
	v_mov_b32_e32 v201, v199
	v_pk_mul_f32 v[198:199], v[208:209], v[216:217] op_sel:[0,1]
	s_wait_dscnt 0x1
	v_mul_f32_e32 v204, v211, v214
	v_pk_fma_f32 v[202:203], v[206:207], v[214:215], v[202:203] op_sel:[0,0,1] op_sel_hi:[1,1,0] neg_lo:[0,0,1] neg_hi:[0,0,1]
	v_mov_b32_e32 v203, v205
	v_pk_add_f32 v[120:121], v[120:121], v[200:201] neg_lo:[0,1] neg_hi:[0,1]
	v_pk_fma_f32 v[200:201], v[208:209], v[214:215], v[198:199] op_sel:[0,0,1] op_sel_hi:[1,0,0]
	v_mul_f32_e32 v200, v211, v217
	v_pk_fma_f32 v[204:205], v[210:211], v[126:127], v[204:205] op_sel:[1,0,0] op_sel_hi:[0,1,0]
	v_pk_add_f32 v[122:123], v[122:123], v[202:203] neg_lo:[0,1] neg_hi:[0,1]
	v_pk_fma_f32 v[198:199], v[208:209], v[214:215], v[198:199] op_sel:[0,0,1] op_sel_hi:[1,1,0] neg_lo:[0,0,1] neg_hi:[0,0,1]
	v_pk_mul_f32 v[202:203], v[212:213], v[216:217] op_sel:[0,1]
	v_mov_b32_e32 v199, v201
	v_pk_fma_f32 v[200:201], v[210:211], v[126:127], v[200:201] op_sel_hi:[1,1,0] neg_lo:[0,0,1] neg_hi:[0,0,1]
	s_wait_dscnt 0x0
	v_dual_mov_b32 v201, v205 :: v_dual_mov_b32 v206, v197
	v_pk_mul_f32 v[204:205], v[194:195], v[216:217] op_sel:[0,1]
	v_dual_mov_b32 v207, v196 :: v_dual_mul_f32 v208, v197, v214
	v_pk_fma_f32 v[210:211], v[212:213], v[214:215], v[202:203] op_sel:[0,0,1] op_sel_hi:[1,0,0]
	v_mul_f32_e32 v210, v197, v217
	v_pk_fma_f32 v[202:203], v[212:213], v[214:215], v[202:203] op_sel:[0,0,1] op_sel_hi:[1,1,0] neg_lo:[0,0,1] neg_hi:[0,0,1]
	v_pk_fma_f32 v[212:213], v[194:195], v[214:215], v[204:205] op_sel:[0,0,1] op_sel_hi:[1,0,0]
	v_pk_fma_f32 v[206:207], v[206:207], v[126:127], v[208:209] op_sel_hi:[1,1,0]
	v_mov_b32_e32 v203, v211
	v_pk_fma_f32 v[194:195], v[194:195], v[214:215], v[204:205] op_sel:[0,0,1] op_sel_hi:[1,1,0] neg_lo:[0,0,1] neg_hi:[0,0,1]
	v_pk_fma_f32 v[196:197], v[196:197], v[126:127], v[210:211] op_sel_hi:[1,1,0] neg_lo:[0,0,1] neg_hi:[0,0,1]
	s_delay_alu instid0(VALU_DEP_4)
	v_dual_mov_b32 v195, v213 :: v_dual_mov_b32 v197, v207
	v_pk_add_f32 v[124:125], v[124:125], v[228:229] neg_lo:[0,1] neg_hi:[0,1]
	v_pk_add_f32 v[118:119], v[118:119], v[198:199] neg_lo:[0,1] neg_hi:[0,1]
	;; [unrolled: 1-line block ×6, first 2 shown]
.LBB71_217:
	s_or_b32 exec_lo, exec_lo, s1
	s_delay_alu instid0(SALU_CYCLE_1)
	s_mov_b32 s2, exec_lo
	s_wait_dscnt 0x0
	s_barrier_signal -1
	s_barrier_wait -1
	v_cmpx_eq_u32_e32 24, v218
	s_cbranch_execz .LBB71_224
; %bb.218:
	ds_store_b64 v219, v[144:145]
	ds_store_2addr_b64 v220, v[138:139], v[140:141] offset0:25 offset1:26
	ds_store_2addr_b64 v220, v[98:99], v[124:125] offset0:27 offset1:28
	;; [unrolled: 1-line block ×5, first 2 shown]
	ds_store_b64 v220, v[142:143] offset:280
	ds_load_b64 v[194:195], v219
	s_wait_dscnt 0x0
	v_cmp_neq_f32_e32 vcc_lo, 0, v194
	v_cmp_neq_f32_e64 s1, 0, v195
	s_or_b32 s1, vcc_lo, s1
	s_delay_alu instid0(SALU_CYCLE_1)
	s_and_b32 exec_lo, exec_lo, s1
	s_cbranch_execz .LBB71_224
; %bb.219:
	v_cmp_ngt_f32_e64 s1, |v194|, |v195|
                                        ; implicit-def: $vgpr196_vgpr197
	s_and_saveexec_b32 s4, s1
	s_delay_alu instid0(SALU_CYCLE_1)
	s_xor_b32 s1, exec_lo, s4
	s_cbranch_execz .LBB71_221
; %bb.220:
	v_div_scale_f32 v196, null, v195, v195, v194
	v_div_scale_f32 v199, vcc_lo, v194, v195, v194
	s_delay_alu instid0(VALU_DEP_2) | instskip(SKIP_1) | instid1(TRANS32_DEP_1)
	v_rcp_f32_e32 v197, v196
	v_nop
	v_fma_f32 v198, -v196, v197, 1.0
	s_delay_alu instid0(VALU_DEP_1) | instskip(NEXT) | instid1(VALU_DEP_1)
	v_fmac_f32_e32 v197, v198, v197
	v_mul_f32_e32 v198, v199, v197
	s_delay_alu instid0(VALU_DEP_1) | instskip(NEXT) | instid1(VALU_DEP_1)
	v_fma_f32 v200, -v196, v198, v199
	v_fmac_f32_e32 v198, v200, v197
	s_delay_alu instid0(VALU_DEP_1) | instskip(NEXT) | instid1(VALU_DEP_1)
	v_fma_f32 v196, -v196, v198, v199
	v_div_fmas_f32 v196, v196, v197, v198
	s_delay_alu instid0(VALU_DEP_1) | instskip(NEXT) | instid1(VALU_DEP_1)
	v_div_fixup_f32 v196, v196, v195, v194
	v_fmac_f32_e32 v195, v194, v196
	s_delay_alu instid0(VALU_DEP_1) | instskip(SKIP_1) | instid1(VALU_DEP_2)
	v_div_scale_f32 v194, null, v195, v195, 1.0
	v_div_scale_f32 v199, vcc_lo, 1.0, v195, 1.0
	v_rcp_f32_e32 v197, v194
	v_nop
	s_delay_alu instid0(TRANS32_DEP_1) | instskip(NEXT) | instid1(VALU_DEP_1)
	v_fma_f32 v198, -v194, v197, 1.0
	v_fmac_f32_e32 v197, v198, v197
	s_delay_alu instid0(VALU_DEP_1) | instskip(NEXT) | instid1(VALU_DEP_1)
	v_mul_f32_e32 v198, v199, v197
	v_fma_f32 v200, -v194, v198, v199
	s_delay_alu instid0(VALU_DEP_1) | instskip(NEXT) | instid1(VALU_DEP_1)
	v_fmac_f32_e32 v198, v200, v197
	v_fma_f32 v194, -v194, v198, v199
	s_delay_alu instid0(VALU_DEP_1) | instskip(NEXT) | instid1(VALU_DEP_1)
	v_div_fmas_f32 v194, v194, v197, v198
	v_div_fixup_f32 v194, v194, v195, 1.0
	s_delay_alu instid0(VALU_DEP_1)
	v_mul_f32_e32 v196, v196, v194
	v_xor_b32_e32 v197, 0x80000000, v194
                                        ; implicit-def: $vgpr194_vgpr195
.LBB71_221:
	s_and_not1_saveexec_b32 s1, s1
	s_cbranch_execz .LBB71_223
; %bb.222:
	v_div_scale_f32 v196, null, v194, v194, v195
	v_div_scale_f32 v199, vcc_lo, v195, v194, v195
	s_delay_alu instid0(VALU_DEP_2) | instskip(SKIP_1) | instid1(TRANS32_DEP_1)
	v_rcp_f32_e32 v197, v196
	v_nop
	v_fma_f32 v198, -v196, v197, 1.0
	s_delay_alu instid0(VALU_DEP_1) | instskip(NEXT) | instid1(VALU_DEP_1)
	v_fmac_f32_e32 v197, v198, v197
	v_mul_f32_e32 v198, v199, v197
	s_delay_alu instid0(VALU_DEP_1) | instskip(NEXT) | instid1(VALU_DEP_1)
	v_fma_f32 v200, -v196, v198, v199
	v_fmac_f32_e32 v198, v200, v197
	s_delay_alu instid0(VALU_DEP_1) | instskip(NEXT) | instid1(VALU_DEP_1)
	v_fma_f32 v196, -v196, v198, v199
	v_div_fmas_f32 v196, v196, v197, v198
	s_delay_alu instid0(VALU_DEP_1) | instskip(NEXT) | instid1(VALU_DEP_1)
	v_div_fixup_f32 v197, v196, v194, v195
	v_fmac_f32_e32 v194, v195, v197
	s_delay_alu instid0(VALU_DEP_1) | instskip(NEXT) | instid1(VALU_DEP_1)
	v_div_scale_f32 v195, null, v194, v194, 1.0
	v_rcp_f32_e32 v196, v195
	v_nop
	s_delay_alu instid0(TRANS32_DEP_1) | instskip(NEXT) | instid1(VALU_DEP_1)
	v_fma_f32 v198, -v195, v196, 1.0
	v_fmac_f32_e32 v196, v198, v196
	v_div_scale_f32 v198, vcc_lo, 1.0, v194, 1.0
	s_delay_alu instid0(VALU_DEP_1) | instskip(NEXT) | instid1(VALU_DEP_1)
	v_mul_f32_e32 v199, v198, v196
	v_fma_f32 v200, -v195, v199, v198
	s_delay_alu instid0(VALU_DEP_1) | instskip(NEXT) | instid1(VALU_DEP_1)
	v_fmac_f32_e32 v199, v200, v196
	v_fma_f32 v195, -v195, v199, v198
	s_delay_alu instid0(VALU_DEP_1) | instskip(NEXT) | instid1(VALU_DEP_1)
	v_div_fmas_f32 v195, v195, v196, v199
	v_div_fixup_f32 v196, v195, v194, 1.0
	s_delay_alu instid0(VALU_DEP_1)
	v_mul_f32_e64 v197, v197, -v196
.LBB71_223:
	s_or_b32 exec_lo, exec_lo, s1
	ds_store_b64 v219, v[196:197]
.LBB71_224:
	s_or_b32 exec_lo, exec_lo, s2
	s_wait_dscnt 0x0
	s_barrier_signal -1
	s_barrier_wait -1
	ds_load_b64 v[194:195], v219
	s_mov_b32 s1, exec_lo
	v_cmpx_lt_u32_e32 24, v218
	s_cbranch_execz .LBB71_226
; %bb.225:
	ds_load_2addr_b64 v[196:199], v220 offset0:25 offset1:26
	ds_load_2addr_b64 v[200:203], v220 offset0:27 offset1:28
	;; [unrolled: 1-line block ×3, first 2 shown]
	s_wait_dscnt 0x3
	v_pk_mul_f32 v[208:209], v[194:195], v[144:145] op_sel:[1,1] op_sel_hi:[0,1]
	s_delay_alu instid0(VALU_DEP_1)
	v_pk_fma_f32 v[216:217], v[194:195], v[144:145], v[208:209] op_sel_hi:[1,0,1] neg_lo:[0,0,1] neg_hi:[0,0,1]
	v_pk_fma_f32 v[222:223], v[194:195], v[144:145], v[208:209] op_sel_hi:[1,0,1]
	ds_load_2addr_b64 v[208:211], v220 offset0:31 offset1:32
	ds_load_2addr_b64 v[212:215], v220 offset0:33 offset1:34
	ds_load_b64 v[224:225], v220 offset:280
	v_dual_mov_b32 v144, v216 :: v_dual_mov_b32 v145, v223
	s_wait_dscnt 0x5
	v_pk_mul_f32 v[226:227], v[196:197], v[222:223] op_sel:[0,1]
	v_pk_mul_f32 v[228:229], v[198:199], v[222:223] op_sel:[0,1]
	s_wait_dscnt 0x4
	v_pk_mul_f32 v[230:231], v[200:201], v[222:223] op_sel:[0,1]
	v_dual_mov_b32 v232, v203 :: v_dual_mov_b32 v233, v202
	v_dual_mul_f32 v234, v203, v223 :: v_dual_mul_f32 v236, v203, v216
	s_wait_dscnt 0x3
	v_pk_mul_f32 v[238:239], v[204:205], v[222:223] op_sel:[0,1]
	v_pk_fma_f32 v[242:243], v[196:197], v[216:217], v[226:227] op_sel:[0,0,1] op_sel_hi:[1,1,0] neg_lo:[0,0,1] neg_hi:[0,0,1]
	v_pk_fma_f32 v[196:197], v[196:197], v[216:217], v[226:227] op_sel:[0,0,1] op_sel_hi:[1,0,0]
	v_pk_mul_f32 v[240:241], v[206:207], v[222:223] op_sel:[0,1]
	v_pk_fma_f32 v[226:227], v[198:199], v[216:217], v[228:229] op_sel:[0,0,1] op_sel_hi:[1,1,0] neg_lo:[0,0,1] neg_hi:[0,0,1]
	v_pk_fma_f32 v[198:199], v[198:199], v[216:217], v[228:229] op_sel:[0,0,1] op_sel_hi:[1,0,0]
	v_pk_fma_f32 v[228:229], v[200:201], v[216:217], v[230:231] op_sel:[0,0,1] op_sel_hi:[1,1,0] neg_lo:[0,0,1] neg_hi:[0,0,1]
	v_pk_fma_f32 v[200:201], v[200:201], v[216:217], v[230:231] op_sel:[0,0,1] op_sel_hi:[1,0,0]
	v_pk_fma_f32 v[230:231], v[232:233], v[144:145], v[236:237] op_sel_hi:[1,1,0]
	s_delay_alu instid0(VALU_DEP_4)
	v_dual_mov_b32 v243, v197 :: v_dual_mov_b32 v227, v199
	v_pk_fma_f32 v[196:197], v[204:205], v[216:217], v[238:239] op_sel:[0,0,1] op_sel_hi:[1,0,0]
	v_pk_fma_f32 v[198:199], v[206:207], v[216:217], v[240:241] op_sel:[0,0,1] op_sel_hi:[1,0,0]
	v_mov_b32_e32 v229, v201
	v_pk_fma_f32 v[200:201], v[204:205], v[216:217], v[238:239] op_sel:[0,0,1] op_sel_hi:[1,1,0] neg_lo:[0,0,1] neg_hi:[0,0,1]
	s_wait_dscnt 0x2
	v_pk_mul_f32 v[204:205], v[208:209], v[222:223] op_sel:[0,1]
	v_pk_fma_f32 v[202:203], v[202:203], v[144:145], v[234:235] op_sel_hi:[1,1,0] neg_lo:[0,0,1] neg_hi:[0,0,1]
	v_dual_mov_b32 v203, v231 :: v_dual_mov_b32 v201, v197
	v_pk_fma_f32 v[196:197], v[206:207], v[216:217], v[240:241] op_sel:[0,0,1] op_sel_hi:[1,1,0] neg_lo:[0,0,1] neg_hi:[0,0,1]
	v_mov_b32_e32 v197, v199
	v_pk_fma_f32 v[198:199], v[208:209], v[216:217], v[204:205] op_sel:[0,0,1] op_sel_hi:[1,0,0]
	s_delay_alu instid0(VALU_DEP_4)
	v_pk_add_f32 v[124:125], v[124:125], v[202:203] neg_lo:[0,1] neg_hi:[0,1]
	v_pk_mul_f32 v[202:203], v[210:211], v[222:223] op_sel:[0,1]
	v_pk_add_f32 v[120:121], v[120:121], v[200:201] neg_lo:[0,1] neg_hi:[0,1]
	v_pk_add_f32 v[122:123], v[122:123], v[196:197] neg_lo:[0,1] neg_hi:[0,1]
	v_pk_fma_f32 v[196:197], v[208:209], v[216:217], v[204:205] op_sel:[0,0,1] op_sel_hi:[1,1,0] neg_lo:[0,0,1] neg_hi:[0,0,1]
	s_wait_dscnt 0x1
	v_dual_mov_b32 v197, v199 :: v_dual_mul_f32 v200, v213, v216
	v_pk_mul_f32 v[204:205], v[214:215], v[222:223] op_sel:[0,1]
	s_wait_dscnt 0x0
	v_pk_mul_f32 v[206:207], v[224:225], v[222:223] op_sel:[0,1]
	v_pk_fma_f32 v[198:199], v[210:211], v[216:217], v[202:203] op_sel:[0,0,1] op_sel_hi:[1,1,0] neg_lo:[0,0,1] neg_hi:[0,0,1]
	v_pk_fma_f32 v[202:203], v[210:211], v[216:217], v[202:203] op_sel:[0,0,1] op_sel_hi:[1,0,0]
	v_mul_f32_e32 v202, v213, v223
	v_pk_fma_f32 v[200:201], v[212:213], v[144:145], v[200:201] op_sel:[1,0,0] op_sel_hi:[0,1,0]
	v_pk_fma_f32 v[208:209], v[214:215], v[216:217], v[204:205] op_sel:[0,0,1] op_sel_hi:[1,0,0]
	;; [unrolled: 1-line block ×3, first 2 shown]
	v_mov_b32_e32 v199, v203
	v_pk_fma_f32 v[202:203], v[212:213], v[144:145], v[202:203] op_sel_hi:[1,1,0] neg_lo:[0,0,1] neg_hi:[0,0,1]
	v_mov_b32_e32 v203, v201
	v_pk_fma_f32 v[200:201], v[214:215], v[216:217], v[204:205] op_sel:[0,0,1] op_sel_hi:[1,1,0] neg_lo:[0,0,1] neg_hi:[0,0,1]
	v_pk_fma_f32 v[204:205], v[224:225], v[216:217], v[206:207] op_sel:[0,0,1] op_sel_hi:[1,1,0] neg_lo:[0,0,1] neg_hi:[0,0,1]
	v_dual_mov_b32 v201, v209 :: v_dual_mov_b32 v205, v211
	v_pk_add_f32 v[138:139], v[138:139], v[242:243] neg_lo:[0,1] neg_hi:[0,1]
	v_pk_add_f32 v[140:141], v[140:141], v[226:227] neg_lo:[0,1] neg_hi:[0,1]
	v_pk_add_f32 v[98:99], v[98:99], v[228:229] neg_lo:[0,1] neg_hi:[0,1]
	v_pk_add_f32 v[118:119], v[118:119], v[196:197] neg_lo:[0,1] neg_hi:[0,1]
	v_pk_add_f32 v[136:137], v[136:137], v[198:199] neg_lo:[0,1] neg_hi:[0,1]
	v_pk_add_f32 v[134:135], v[134:135], v[202:203] neg_lo:[0,1] neg_hi:[0,1]
	v_pk_add_f32 v[132:133], v[132:133], v[200:201] neg_lo:[0,1] neg_hi:[0,1]
	v_pk_add_f32 v[142:143], v[142:143], v[204:205] neg_lo:[0,1] neg_hi:[0,1]
.LBB71_226:
	s_or_b32 exec_lo, exec_lo, s1
	s_delay_alu instid0(SALU_CYCLE_1)
	s_mov_b32 s2, exec_lo
	s_wait_dscnt 0x0
	s_barrier_signal -1
	s_barrier_wait -1
	v_cmpx_eq_u32_e32 25, v218
	s_cbranch_execz .LBB71_233
; %bb.227:
	v_dual_mov_b32 v196, v140 :: v_dual_mov_b32 v197, v141
	v_dual_mov_b32 v198, v98 :: v_dual_mov_b32 v199, v99
	;; [unrolled: 1-line block ×9, first 2 shown]
	ds_store_b64 v219, v[138:139]
	ds_store_2addr_b64 v220, v[196:197], v[198:199] offset0:26 offset1:27
	ds_store_2addr_b64 v220, v[200:201], v[202:203] offset0:28 offset1:29
	;; [unrolled: 1-line block ×5, first 2 shown]
	ds_load_b64 v[196:197], v219
	s_wait_dscnt 0x0
	v_cmp_neq_f32_e32 vcc_lo, 0, v196
	v_cmp_neq_f32_e64 s1, 0, v197
	s_or_b32 s1, vcc_lo, s1
	s_delay_alu instid0(SALU_CYCLE_1)
	s_and_b32 exec_lo, exec_lo, s1
	s_cbranch_execz .LBB71_233
; %bb.228:
	v_cmp_ngt_f32_e64 s1, |v196|, |v197|
                                        ; implicit-def: $vgpr198_vgpr199
	s_and_saveexec_b32 s4, s1
	s_delay_alu instid0(SALU_CYCLE_1)
	s_xor_b32 s1, exec_lo, s4
	s_cbranch_execz .LBB71_230
; %bb.229:
	v_div_scale_f32 v198, null, v197, v197, v196
	v_div_scale_f32 v201, vcc_lo, v196, v197, v196
	s_delay_alu instid0(VALU_DEP_2) | instskip(SKIP_1) | instid1(TRANS32_DEP_1)
	v_rcp_f32_e32 v199, v198
	v_nop
	v_fma_f32 v200, -v198, v199, 1.0
	s_delay_alu instid0(VALU_DEP_1) | instskip(NEXT) | instid1(VALU_DEP_1)
	v_fmac_f32_e32 v199, v200, v199
	v_mul_f32_e32 v200, v201, v199
	s_delay_alu instid0(VALU_DEP_1) | instskip(NEXT) | instid1(VALU_DEP_1)
	v_fma_f32 v202, -v198, v200, v201
	v_fmac_f32_e32 v200, v202, v199
	s_delay_alu instid0(VALU_DEP_1) | instskip(NEXT) | instid1(VALU_DEP_1)
	v_fma_f32 v198, -v198, v200, v201
	v_div_fmas_f32 v198, v198, v199, v200
	s_delay_alu instid0(VALU_DEP_1) | instskip(NEXT) | instid1(VALU_DEP_1)
	v_div_fixup_f32 v198, v198, v197, v196
	v_fmac_f32_e32 v197, v196, v198
	s_delay_alu instid0(VALU_DEP_1) | instskip(SKIP_1) | instid1(VALU_DEP_2)
	v_div_scale_f32 v196, null, v197, v197, 1.0
	v_div_scale_f32 v201, vcc_lo, 1.0, v197, 1.0
	v_rcp_f32_e32 v199, v196
	v_nop
	s_delay_alu instid0(TRANS32_DEP_1) | instskip(NEXT) | instid1(VALU_DEP_1)
	v_fma_f32 v200, -v196, v199, 1.0
	v_fmac_f32_e32 v199, v200, v199
	s_delay_alu instid0(VALU_DEP_1) | instskip(NEXT) | instid1(VALU_DEP_1)
	v_mul_f32_e32 v200, v201, v199
	v_fma_f32 v202, -v196, v200, v201
	s_delay_alu instid0(VALU_DEP_1) | instskip(NEXT) | instid1(VALU_DEP_1)
	v_fmac_f32_e32 v200, v202, v199
	v_fma_f32 v196, -v196, v200, v201
	s_delay_alu instid0(VALU_DEP_1) | instskip(NEXT) | instid1(VALU_DEP_1)
	v_div_fmas_f32 v196, v196, v199, v200
	v_div_fixup_f32 v196, v196, v197, 1.0
	s_delay_alu instid0(VALU_DEP_1)
	v_mul_f32_e32 v198, v198, v196
	v_xor_b32_e32 v199, 0x80000000, v196
                                        ; implicit-def: $vgpr196_vgpr197
.LBB71_230:
	s_and_not1_saveexec_b32 s1, s1
	s_cbranch_execz .LBB71_232
; %bb.231:
	v_div_scale_f32 v198, null, v196, v196, v197
	v_div_scale_f32 v201, vcc_lo, v197, v196, v197
	s_delay_alu instid0(VALU_DEP_2) | instskip(SKIP_1) | instid1(TRANS32_DEP_1)
	v_rcp_f32_e32 v199, v198
	v_nop
	v_fma_f32 v200, -v198, v199, 1.0
	s_delay_alu instid0(VALU_DEP_1) | instskip(NEXT) | instid1(VALU_DEP_1)
	v_fmac_f32_e32 v199, v200, v199
	v_mul_f32_e32 v200, v201, v199
	s_delay_alu instid0(VALU_DEP_1) | instskip(NEXT) | instid1(VALU_DEP_1)
	v_fma_f32 v202, -v198, v200, v201
	v_fmac_f32_e32 v200, v202, v199
	s_delay_alu instid0(VALU_DEP_1) | instskip(NEXT) | instid1(VALU_DEP_1)
	v_fma_f32 v198, -v198, v200, v201
	v_div_fmas_f32 v198, v198, v199, v200
	s_delay_alu instid0(VALU_DEP_1) | instskip(NEXT) | instid1(VALU_DEP_1)
	v_div_fixup_f32 v199, v198, v196, v197
	v_fmac_f32_e32 v196, v197, v199
	s_delay_alu instid0(VALU_DEP_1) | instskip(NEXT) | instid1(VALU_DEP_1)
	v_div_scale_f32 v197, null, v196, v196, 1.0
	v_rcp_f32_e32 v198, v197
	v_nop
	s_delay_alu instid0(TRANS32_DEP_1) | instskip(NEXT) | instid1(VALU_DEP_1)
	v_fma_f32 v200, -v197, v198, 1.0
	v_fmac_f32_e32 v198, v200, v198
	v_div_scale_f32 v200, vcc_lo, 1.0, v196, 1.0
	s_delay_alu instid0(VALU_DEP_1) | instskip(NEXT) | instid1(VALU_DEP_1)
	v_mul_f32_e32 v201, v200, v198
	v_fma_f32 v202, -v197, v201, v200
	s_delay_alu instid0(VALU_DEP_1) | instskip(NEXT) | instid1(VALU_DEP_1)
	v_fmac_f32_e32 v201, v202, v198
	v_fma_f32 v197, -v197, v201, v200
	s_delay_alu instid0(VALU_DEP_1) | instskip(NEXT) | instid1(VALU_DEP_1)
	v_div_fmas_f32 v197, v197, v198, v201
	v_div_fixup_f32 v198, v197, v196, 1.0
	s_delay_alu instid0(VALU_DEP_1)
	v_mul_f32_e64 v199, v199, -v198
.LBB71_232:
	s_or_b32 exec_lo, exec_lo, s1
	ds_store_b64 v219, v[198:199]
.LBB71_233:
	s_or_b32 exec_lo, exec_lo, s2
	s_wait_dscnt 0x0
	s_barrier_signal -1
	s_barrier_wait -1
	ds_load_b64 v[196:197], v219
	s_mov_b32 s1, exec_lo
	v_cmpx_lt_u32_e32 25, v218
	s_cbranch_execz .LBB71_235
; %bb.234:
	ds_load_2addr_b64 v[198:201], v220 offset0:26 offset1:27
	ds_load_2addr_b64 v[202:205], v220 offset0:28 offset1:29
	;; [unrolled: 1-line block ×3, first 2 shown]
	s_wait_dscnt 0x3
	v_pk_mul_f32 v[210:211], v[196:197], v[138:139] op_sel:[1,1] op_sel_hi:[0,1]
	s_delay_alu instid0(VALU_DEP_1)
	v_pk_fma_f32 v[222:223], v[196:197], v[138:139], v[210:211] op_sel_hi:[1,0,1] neg_lo:[0,0,1] neg_hi:[0,0,1]
	v_pk_fma_f32 v[224:225], v[196:197], v[138:139], v[210:211] op_sel_hi:[1,0,1]
	ds_load_2addr_b64 v[210:213], v220 offset0:32 offset1:33
	ds_load_2addr_b64 v[214:217], v220 offset0:34 offset1:35
	v_dual_mov_b32 v138, v222 :: v_dual_mov_b32 v139, v225
	s_wait_dscnt 0x4
	v_pk_mul_f32 v[226:227], v[198:199], v[224:225] op_sel:[0,1]
	v_pk_mul_f32 v[228:229], v[200:201], v[224:225] op_sel:[0,1]
	s_wait_dscnt 0x3
	v_pk_mul_f32 v[230:231], v[202:203], v[224:225] op_sel:[0,1]
	v_dual_mov_b32 v232, v205 :: v_dual_mov_b32 v233, v204
	v_dual_mul_f32 v234, v205, v225 :: v_dual_mul_f32 v236, v205, v222
	s_wait_dscnt 0x2
	v_pk_mul_f32 v[238:239], v[206:207], v[224:225] op_sel:[0,1]
	v_pk_mul_f32 v[240:241], v[208:209], v[224:225] op_sel:[0,1]
	v_pk_fma_f32 v[242:243], v[198:199], v[222:223], v[226:227] op_sel:[0,0,1] op_sel_hi:[1,1,0] neg_lo:[0,0,1] neg_hi:[0,0,1]
	v_pk_fma_f32 v[198:199], v[198:199], v[222:223], v[226:227] op_sel:[0,0,1] op_sel_hi:[1,0,0]
	v_pk_fma_f32 v[226:227], v[200:201], v[222:223], v[228:229] op_sel:[0,0,1] op_sel_hi:[1,1,0] neg_lo:[0,0,1] neg_hi:[0,0,1]
	v_pk_fma_f32 v[200:201], v[200:201], v[222:223], v[228:229] op_sel:[0,0,1] op_sel_hi:[1,0,0]
	v_pk_fma_f32 v[228:229], v[202:203], v[222:223], v[230:231] op_sel:[0,0,1] op_sel_hi:[1,1,0] neg_lo:[0,0,1] neg_hi:[0,0,1]
	v_pk_fma_f32 v[202:203], v[202:203], v[222:223], v[230:231] op_sel:[0,0,1] op_sel_hi:[1,0,0]
	v_pk_fma_f32 v[230:231], v[232:233], v[138:139], v[236:237] op_sel_hi:[1,1,0]
	v_pk_fma_f32 v[204:205], v[204:205], v[138:139], v[234:235] op_sel_hi:[1,1,0] neg_lo:[0,0,1] neg_hi:[0,0,1]
	v_pk_fma_f32 v[232:233], v[206:207], v[222:223], v[238:239] op_sel:[0,0,1] op_sel_hi:[1,1,0] neg_lo:[0,0,1] neg_hi:[0,0,1]
	v_pk_fma_f32 v[206:207], v[206:207], v[222:223], v[238:239] op_sel:[0,0,1] op_sel_hi:[1,0,0]
	v_dual_mov_b32 v243, v199 :: v_dual_mov_b32 v227, v201
	v_pk_fma_f32 v[200:201], v[208:209], v[222:223], v[240:241] op_sel:[0,0,1] op_sel_hi:[1,0,0]
	v_dual_mov_b32 v229, v203 :: v_dual_mov_b32 v205, v231
	s_wait_dscnt 0x1
	v_pk_mul_f32 v[198:199], v[210:211], v[224:225] op_sel:[0,1]
	v_pk_fma_f32 v[202:203], v[208:209], v[222:223], v[240:241] op_sel:[0,0,1] op_sel_hi:[1,1,0] neg_lo:[0,0,1] neg_hi:[0,0,1]
	v_dual_mov_b32 v233, v207 :: v_dual_mov_b32 v203, v201
	v_pk_mul_f32 v[200:201], v[212:213], v[224:225] op_sel:[0,1]
	v_pk_add_f32 v[120:121], v[120:121], v[204:205] neg_lo:[0,1] neg_hi:[0,1]
	v_pk_fma_f32 v[204:205], v[210:211], v[222:223], v[198:199] op_sel:[0,0,1] op_sel_hi:[1,0,0]
	s_wait_dscnt 0x0
	v_mul_f32_e32 v204, v215, v222
	v_pk_mul_f32 v[206:207], v[216:217], v[224:225] op_sel:[0,1]
	v_pk_fma_f32 v[208:209], v[212:213], v[222:223], v[200:201] op_sel:[0,0,1] op_sel_hi:[1,0,0]
	v_pk_fma_f32 v[198:199], v[210:211], v[222:223], v[198:199] op_sel:[0,0,1] op_sel_hi:[1,1,0] neg_lo:[0,0,1] neg_hi:[0,0,1]
	v_dual_mul_f32 v208, v215, v225 :: v_dual_mov_b32 v199, v205
	v_pk_fma_f32 v[204:205], v[214:215], v[138:139], v[204:205] op_sel:[1,0,0] op_sel_hi:[0,1,0]
	v_pk_fma_f32 v[210:211], v[216:217], v[222:223], v[206:207] op_sel:[0,0,1] op_sel_hi:[1,0,0]
	v_pk_fma_f32 v[200:201], v[212:213], v[222:223], v[200:201] op_sel:[0,0,1] op_sel_hi:[1,1,0] neg_lo:[0,0,1] neg_hi:[0,0,1]
	v_mov_b32_e32 v201, v209
	v_pk_fma_f32 v[208:209], v[214:215], v[138:139], v[208:209] op_sel_hi:[1,1,0] neg_lo:[0,0,1] neg_hi:[0,0,1]
	v_mov_b32_e32 v209, v205
	v_pk_fma_f32 v[204:205], v[216:217], v[222:223], v[206:207] op_sel:[0,0,1] op_sel_hi:[1,1,0] neg_lo:[0,0,1] neg_hi:[0,0,1]
	v_mov_b32_e32 v205, v211
	v_pk_add_f32 v[140:141], v[140:141], v[242:243] neg_lo:[0,1] neg_hi:[0,1]
	v_pk_add_f32 v[98:99], v[98:99], v[226:227] neg_lo:[0,1] neg_hi:[0,1]
	;; [unrolled: 1-line block ×9, first 2 shown]
.LBB71_235:
	s_or_b32 exec_lo, exec_lo, s1
	s_delay_alu instid0(SALU_CYCLE_1)
	s_mov_b32 s2, exec_lo
	s_wait_dscnt 0x0
	s_barrier_signal -1
	s_barrier_wait -1
	v_cmpx_eq_u32_e32 26, v218
	s_cbranch_execz .LBB71_242
; %bb.236:
	ds_store_b64 v219, v[140:141]
	ds_store_2addr_b64 v220, v[98:99], v[124:125] offset0:27 offset1:28
	ds_store_2addr_b64 v220, v[120:121], v[122:123] offset0:29 offset1:30
	;; [unrolled: 1-line block ×4, first 2 shown]
	ds_store_b64 v220, v[142:143] offset:280
	ds_load_b64 v[198:199], v219
	s_wait_dscnt 0x0
	v_cmp_neq_f32_e32 vcc_lo, 0, v198
	v_cmp_neq_f32_e64 s1, 0, v199
	s_or_b32 s1, vcc_lo, s1
	s_delay_alu instid0(SALU_CYCLE_1)
	s_and_b32 exec_lo, exec_lo, s1
	s_cbranch_execz .LBB71_242
; %bb.237:
	v_cmp_ngt_f32_e64 s1, |v198|, |v199|
                                        ; implicit-def: $vgpr200_vgpr201
	s_and_saveexec_b32 s4, s1
	s_delay_alu instid0(SALU_CYCLE_1)
	s_xor_b32 s1, exec_lo, s4
	s_cbranch_execz .LBB71_239
; %bb.238:
	v_div_scale_f32 v200, null, v199, v199, v198
	v_div_scale_f32 v203, vcc_lo, v198, v199, v198
	s_delay_alu instid0(VALU_DEP_2) | instskip(SKIP_1) | instid1(TRANS32_DEP_1)
	v_rcp_f32_e32 v201, v200
	v_nop
	v_fma_f32 v202, -v200, v201, 1.0
	s_delay_alu instid0(VALU_DEP_1) | instskip(NEXT) | instid1(VALU_DEP_1)
	v_fmac_f32_e32 v201, v202, v201
	v_mul_f32_e32 v202, v203, v201
	s_delay_alu instid0(VALU_DEP_1) | instskip(NEXT) | instid1(VALU_DEP_1)
	v_fma_f32 v204, -v200, v202, v203
	v_fmac_f32_e32 v202, v204, v201
	s_delay_alu instid0(VALU_DEP_1) | instskip(NEXT) | instid1(VALU_DEP_1)
	v_fma_f32 v200, -v200, v202, v203
	v_div_fmas_f32 v200, v200, v201, v202
	s_delay_alu instid0(VALU_DEP_1) | instskip(NEXT) | instid1(VALU_DEP_1)
	v_div_fixup_f32 v200, v200, v199, v198
	v_fmac_f32_e32 v199, v198, v200
	s_delay_alu instid0(VALU_DEP_1) | instskip(SKIP_1) | instid1(VALU_DEP_2)
	v_div_scale_f32 v198, null, v199, v199, 1.0
	v_div_scale_f32 v203, vcc_lo, 1.0, v199, 1.0
	v_rcp_f32_e32 v201, v198
	v_nop
	s_delay_alu instid0(TRANS32_DEP_1) | instskip(NEXT) | instid1(VALU_DEP_1)
	v_fma_f32 v202, -v198, v201, 1.0
	v_fmac_f32_e32 v201, v202, v201
	s_delay_alu instid0(VALU_DEP_1) | instskip(NEXT) | instid1(VALU_DEP_1)
	v_mul_f32_e32 v202, v203, v201
	v_fma_f32 v204, -v198, v202, v203
	s_delay_alu instid0(VALU_DEP_1) | instskip(NEXT) | instid1(VALU_DEP_1)
	v_fmac_f32_e32 v202, v204, v201
	v_fma_f32 v198, -v198, v202, v203
	s_delay_alu instid0(VALU_DEP_1) | instskip(NEXT) | instid1(VALU_DEP_1)
	v_div_fmas_f32 v198, v198, v201, v202
	v_div_fixup_f32 v198, v198, v199, 1.0
	s_delay_alu instid0(VALU_DEP_1)
	v_mul_f32_e32 v200, v200, v198
	v_xor_b32_e32 v201, 0x80000000, v198
                                        ; implicit-def: $vgpr198_vgpr199
.LBB71_239:
	s_and_not1_saveexec_b32 s1, s1
	s_cbranch_execz .LBB71_241
; %bb.240:
	v_div_scale_f32 v200, null, v198, v198, v199
	v_div_scale_f32 v203, vcc_lo, v199, v198, v199
	s_delay_alu instid0(VALU_DEP_2) | instskip(SKIP_1) | instid1(TRANS32_DEP_1)
	v_rcp_f32_e32 v201, v200
	v_nop
	v_fma_f32 v202, -v200, v201, 1.0
	s_delay_alu instid0(VALU_DEP_1) | instskip(NEXT) | instid1(VALU_DEP_1)
	v_fmac_f32_e32 v201, v202, v201
	v_mul_f32_e32 v202, v203, v201
	s_delay_alu instid0(VALU_DEP_1) | instskip(NEXT) | instid1(VALU_DEP_1)
	v_fma_f32 v204, -v200, v202, v203
	v_fmac_f32_e32 v202, v204, v201
	s_delay_alu instid0(VALU_DEP_1) | instskip(NEXT) | instid1(VALU_DEP_1)
	v_fma_f32 v200, -v200, v202, v203
	v_div_fmas_f32 v200, v200, v201, v202
	s_delay_alu instid0(VALU_DEP_1) | instskip(NEXT) | instid1(VALU_DEP_1)
	v_div_fixup_f32 v201, v200, v198, v199
	v_fmac_f32_e32 v198, v199, v201
	s_delay_alu instid0(VALU_DEP_1) | instskip(NEXT) | instid1(VALU_DEP_1)
	v_div_scale_f32 v199, null, v198, v198, 1.0
	v_rcp_f32_e32 v200, v199
	v_nop
	s_delay_alu instid0(TRANS32_DEP_1) | instskip(NEXT) | instid1(VALU_DEP_1)
	v_fma_f32 v202, -v199, v200, 1.0
	v_fmac_f32_e32 v200, v202, v200
	v_div_scale_f32 v202, vcc_lo, 1.0, v198, 1.0
	s_delay_alu instid0(VALU_DEP_1) | instskip(NEXT) | instid1(VALU_DEP_1)
	v_mul_f32_e32 v203, v202, v200
	v_fma_f32 v204, -v199, v203, v202
	s_delay_alu instid0(VALU_DEP_1) | instskip(NEXT) | instid1(VALU_DEP_1)
	v_fmac_f32_e32 v203, v204, v200
	v_fma_f32 v199, -v199, v203, v202
	s_delay_alu instid0(VALU_DEP_1) | instskip(NEXT) | instid1(VALU_DEP_1)
	v_div_fmas_f32 v199, v199, v200, v203
	v_div_fixup_f32 v200, v199, v198, 1.0
	s_delay_alu instid0(VALU_DEP_1)
	v_mul_f32_e64 v201, v201, -v200
.LBB71_241:
	s_or_b32 exec_lo, exec_lo, s1
	ds_store_b64 v219, v[200:201]
.LBB71_242:
	s_or_b32 exec_lo, exec_lo, s2
	s_wait_dscnt 0x0
	s_barrier_signal -1
	s_barrier_wait -1
	ds_load_b64 v[198:199], v219
	s_mov_b32 s1, exec_lo
	v_cmpx_lt_u32_e32 26, v218
	s_cbranch_execz .LBB71_244
; %bb.243:
	ds_load_2addr_b64 v[200:203], v220 offset0:27 offset1:28
	ds_load_2addr_b64 v[204:207], v220 offset0:29 offset1:30
	;; [unrolled: 1-line block ×3, first 2 shown]
	s_wait_dscnt 0x3
	v_pk_mul_f32 v[212:213], v[198:199], v[140:141] op_sel:[1,1] op_sel_hi:[0,1]
	s_delay_alu instid0(VALU_DEP_1)
	v_pk_fma_f32 v[216:217], v[198:199], v[140:141], v[212:213] op_sel_hi:[1,0,1] neg_lo:[0,0,1] neg_hi:[0,0,1]
	v_pk_fma_f32 v[222:223], v[198:199], v[140:141], v[212:213] op_sel_hi:[1,0,1]
	ds_load_2addr_b64 v[212:215], v220 offset0:33 offset1:34
	ds_load_b64 v[224:225], v220 offset:280
	v_dual_mov_b32 v140, v216 :: v_dual_mov_b32 v141, v223
	s_wait_dscnt 0x4
	v_pk_mul_f32 v[226:227], v[200:201], v[222:223] op_sel:[0,1]
	v_pk_mul_f32 v[228:229], v[202:203], v[222:223] op_sel:[0,1]
	s_wait_dscnt 0x3
	v_pk_mul_f32 v[230:231], v[204:205], v[222:223] op_sel:[0,1]
	v_dual_mov_b32 v232, v207 :: v_dual_mov_b32 v233, v206
	v_dual_mul_f32 v234, v207, v223 :: v_dual_mul_f32 v236, v207, v216
	s_wait_dscnt 0x2
	v_pk_mul_f32 v[238:239], v[208:209], v[222:223] op_sel:[0,1]
	v_pk_fma_f32 v[242:243], v[200:201], v[216:217], v[226:227] op_sel:[0,0,1] op_sel_hi:[1,1,0] neg_lo:[0,0,1] neg_hi:[0,0,1]
	v_pk_fma_f32 v[200:201], v[200:201], v[216:217], v[226:227] op_sel:[0,0,1] op_sel_hi:[1,0,0]
	v_pk_fma_f32 v[226:227], v[202:203], v[216:217], v[228:229] op_sel:[0,0,1] op_sel_hi:[1,1,0] neg_lo:[0,0,1] neg_hi:[0,0,1]
	v_pk_fma_f32 v[202:203], v[202:203], v[216:217], v[228:229] op_sel:[0,0,1] op_sel_hi:[1,0,0]
	;; [unrolled: 2-line block ×3, first 2 shown]
	v_pk_fma_f32 v[230:231], v[232:233], v[140:141], v[236:237] op_sel_hi:[1,1,0]
	v_pk_fma_f32 v[206:207], v[206:207], v[140:141], v[234:235] op_sel_hi:[1,1,0] neg_lo:[0,0,1] neg_hi:[0,0,1]
	v_pk_mul_f32 v[240:241], v[210:211], v[222:223] op_sel:[0,1]
	v_dual_mov_b32 v243, v201 :: v_dual_mov_b32 v227, v203
	s_delay_alu instid0(VALU_DEP_4)
	v_dual_mov_b32 v229, v205 :: v_dual_mov_b32 v207, v231
	v_pk_fma_f32 v[200:201], v[208:209], v[216:217], v[238:239] op_sel:[0,0,1] op_sel_hi:[1,0,0]
	v_pk_fma_f32 v[202:203], v[208:209], v[216:217], v[238:239] op_sel:[0,0,1] op_sel_hi:[1,1,0] neg_lo:[0,0,1] neg_hi:[0,0,1]
	v_pk_fma_f32 v[204:205], v[210:211], v[216:217], v[240:241] op_sel:[0,0,1] op_sel_hi:[1,0,0]
	v_pk_fma_f32 v[208:209], v[210:211], v[216:217], v[240:241] op_sel:[0,0,1] op_sel_hi:[1,1,0] neg_lo:[0,0,1] neg_hi:[0,0,1]
	v_pk_add_f32 v[122:123], v[122:123], v[206:207] neg_lo:[0,1] neg_hi:[0,1]
	v_mov_b32_e32 v203, v201
	s_wait_dscnt 0x1
	v_pk_mul_f32 v[200:201], v[212:213], v[222:223] op_sel:[0,1]
	v_pk_mul_f32 v[206:207], v[214:215], v[222:223] op_sel:[0,1]
	s_wait_dscnt 0x0
	v_pk_mul_f32 v[210:211], v[224:225], v[222:223] op_sel:[0,1]
	v_mov_b32_e32 v209, v205
	v_pk_add_f32 v[98:99], v[98:99], v[242:243] neg_lo:[0,1] neg_hi:[0,1]
	v_pk_fma_f32 v[222:223], v[212:213], v[216:217], v[200:201] op_sel:[0,0,1] op_sel_hi:[1,0,0]
	v_pk_fma_f32 v[204:205], v[214:215], v[216:217], v[206:207] op_sel:[0,0,1] op_sel_hi:[1,0,0]
	v_pk_fma_f32 v[200:201], v[212:213], v[216:217], v[200:201] op_sel:[0,0,1] op_sel_hi:[1,1,0] neg_lo:[0,0,1] neg_hi:[0,0,1]
	v_pk_fma_f32 v[212:213], v[224:225], v[216:217], v[210:211] op_sel:[0,0,1] op_sel_hi:[1,0,0]
	v_pk_fma_f32 v[206:207], v[214:215], v[216:217], v[206:207] op_sel:[0,0,1] op_sel_hi:[1,1,0] neg_lo:[0,0,1] neg_hi:[0,0,1]
	s_delay_alu instid0(VALU_DEP_4) | instskip(SKIP_1) | instid1(VALU_DEP_4)
	v_dual_mov_b32 v201, v223 :: v_dual_mov_b32 v207, v205
	v_pk_fma_f32 v[204:205], v[224:225], v[216:217], v[210:211] op_sel:[0,0,1] op_sel_hi:[1,1,0] neg_lo:[0,0,1] neg_hi:[0,0,1]
	v_mov_b32_e32 v205, v213
	v_pk_add_f32 v[124:125], v[124:125], v[226:227] neg_lo:[0,1] neg_hi:[0,1]
	v_pk_add_f32 v[120:121], v[120:121], v[228:229] neg_lo:[0,1] neg_hi:[0,1]
	;; [unrolled: 1-line block ×7, first 2 shown]
.LBB71_244:
	s_or_b32 exec_lo, exec_lo, s1
	s_delay_alu instid0(SALU_CYCLE_1)
	s_mov_b32 s2, exec_lo
	s_wait_dscnt 0x0
	s_barrier_signal -1
	s_barrier_wait -1
	v_cmpx_eq_u32_e32 27, v218
	s_cbranch_execz .LBB71_251
; %bb.245:
	v_dual_mov_b32 v200, v124 :: v_dual_mov_b32 v201, v125
	v_dual_mov_b32 v202, v120 :: v_dual_mov_b32 v203, v121
	;; [unrolled: 1-line block ×7, first 2 shown]
	ds_store_b64 v219, v[98:99]
	ds_store_2addr_b64 v220, v[200:201], v[202:203] offset0:28 offset1:29
	ds_store_2addr_b64 v220, v[204:205], v[206:207] offset0:30 offset1:31
	ds_store_2addr_b64 v220, v[208:209], v[210:211] offset0:32 offset1:33
	ds_store_2addr_b64 v220, v[212:213], v[142:143] offset0:34 offset1:35
	ds_load_b64 v[200:201], v219
	s_wait_dscnt 0x0
	v_cmp_neq_f32_e32 vcc_lo, 0, v200
	v_cmp_neq_f32_e64 s1, 0, v201
	s_or_b32 s1, vcc_lo, s1
	s_delay_alu instid0(SALU_CYCLE_1)
	s_and_b32 exec_lo, exec_lo, s1
	s_cbranch_execz .LBB71_251
; %bb.246:
	v_cmp_ngt_f32_e64 s1, |v200|, |v201|
                                        ; implicit-def: $vgpr202_vgpr203
	s_and_saveexec_b32 s4, s1
	s_delay_alu instid0(SALU_CYCLE_1)
	s_xor_b32 s1, exec_lo, s4
	s_cbranch_execz .LBB71_248
; %bb.247:
	v_div_scale_f32 v202, null, v201, v201, v200
	v_div_scale_f32 v205, vcc_lo, v200, v201, v200
	s_delay_alu instid0(VALU_DEP_2) | instskip(SKIP_1) | instid1(TRANS32_DEP_1)
	v_rcp_f32_e32 v203, v202
	v_nop
	v_fma_f32 v204, -v202, v203, 1.0
	s_delay_alu instid0(VALU_DEP_1) | instskip(NEXT) | instid1(VALU_DEP_1)
	v_fmac_f32_e32 v203, v204, v203
	v_mul_f32_e32 v204, v205, v203
	s_delay_alu instid0(VALU_DEP_1) | instskip(NEXT) | instid1(VALU_DEP_1)
	v_fma_f32 v206, -v202, v204, v205
	v_fmac_f32_e32 v204, v206, v203
	s_delay_alu instid0(VALU_DEP_1) | instskip(NEXT) | instid1(VALU_DEP_1)
	v_fma_f32 v202, -v202, v204, v205
	v_div_fmas_f32 v202, v202, v203, v204
	s_delay_alu instid0(VALU_DEP_1) | instskip(NEXT) | instid1(VALU_DEP_1)
	v_div_fixup_f32 v202, v202, v201, v200
	v_fmac_f32_e32 v201, v200, v202
	s_delay_alu instid0(VALU_DEP_1) | instskip(SKIP_1) | instid1(VALU_DEP_2)
	v_div_scale_f32 v200, null, v201, v201, 1.0
	v_div_scale_f32 v205, vcc_lo, 1.0, v201, 1.0
	v_rcp_f32_e32 v203, v200
	v_nop
	s_delay_alu instid0(TRANS32_DEP_1) | instskip(NEXT) | instid1(VALU_DEP_1)
	v_fma_f32 v204, -v200, v203, 1.0
	v_fmac_f32_e32 v203, v204, v203
	s_delay_alu instid0(VALU_DEP_1) | instskip(NEXT) | instid1(VALU_DEP_1)
	v_mul_f32_e32 v204, v205, v203
	v_fma_f32 v206, -v200, v204, v205
	s_delay_alu instid0(VALU_DEP_1) | instskip(NEXT) | instid1(VALU_DEP_1)
	v_fmac_f32_e32 v204, v206, v203
	v_fma_f32 v200, -v200, v204, v205
	s_delay_alu instid0(VALU_DEP_1) | instskip(NEXT) | instid1(VALU_DEP_1)
	v_div_fmas_f32 v200, v200, v203, v204
	v_div_fixup_f32 v200, v200, v201, 1.0
	s_delay_alu instid0(VALU_DEP_1)
	v_mul_f32_e32 v202, v202, v200
	v_xor_b32_e32 v203, 0x80000000, v200
                                        ; implicit-def: $vgpr200_vgpr201
.LBB71_248:
	s_and_not1_saveexec_b32 s1, s1
	s_cbranch_execz .LBB71_250
; %bb.249:
	v_div_scale_f32 v202, null, v200, v200, v201
	v_div_scale_f32 v205, vcc_lo, v201, v200, v201
	s_delay_alu instid0(VALU_DEP_2) | instskip(SKIP_1) | instid1(TRANS32_DEP_1)
	v_rcp_f32_e32 v203, v202
	v_nop
	v_fma_f32 v204, -v202, v203, 1.0
	s_delay_alu instid0(VALU_DEP_1) | instskip(NEXT) | instid1(VALU_DEP_1)
	v_fmac_f32_e32 v203, v204, v203
	v_mul_f32_e32 v204, v205, v203
	s_delay_alu instid0(VALU_DEP_1) | instskip(NEXT) | instid1(VALU_DEP_1)
	v_fma_f32 v206, -v202, v204, v205
	v_fmac_f32_e32 v204, v206, v203
	s_delay_alu instid0(VALU_DEP_1) | instskip(NEXT) | instid1(VALU_DEP_1)
	v_fma_f32 v202, -v202, v204, v205
	v_div_fmas_f32 v202, v202, v203, v204
	s_delay_alu instid0(VALU_DEP_1) | instskip(NEXT) | instid1(VALU_DEP_1)
	v_div_fixup_f32 v203, v202, v200, v201
	v_fmac_f32_e32 v200, v201, v203
	s_delay_alu instid0(VALU_DEP_1) | instskip(NEXT) | instid1(VALU_DEP_1)
	v_div_scale_f32 v201, null, v200, v200, 1.0
	v_rcp_f32_e32 v202, v201
	v_nop
	s_delay_alu instid0(TRANS32_DEP_1) | instskip(NEXT) | instid1(VALU_DEP_1)
	v_fma_f32 v204, -v201, v202, 1.0
	v_fmac_f32_e32 v202, v204, v202
	v_div_scale_f32 v204, vcc_lo, 1.0, v200, 1.0
	s_delay_alu instid0(VALU_DEP_1) | instskip(NEXT) | instid1(VALU_DEP_1)
	v_mul_f32_e32 v205, v204, v202
	v_fma_f32 v206, -v201, v205, v204
	s_delay_alu instid0(VALU_DEP_1) | instskip(NEXT) | instid1(VALU_DEP_1)
	v_fmac_f32_e32 v205, v206, v202
	v_fma_f32 v201, -v201, v205, v204
	s_delay_alu instid0(VALU_DEP_1) | instskip(NEXT) | instid1(VALU_DEP_1)
	v_div_fmas_f32 v201, v201, v202, v205
	v_div_fixup_f32 v202, v201, v200, 1.0
	s_delay_alu instid0(VALU_DEP_1)
	v_mul_f32_e64 v203, v203, -v202
.LBB71_250:
	s_or_b32 exec_lo, exec_lo, s1
	ds_store_b64 v219, v[202:203]
.LBB71_251:
	s_or_b32 exec_lo, exec_lo, s2
	s_wait_dscnt 0x0
	s_barrier_signal -1
	s_barrier_wait -1
	ds_load_b64 v[200:201], v219
	s_mov_b32 s1, exec_lo
	v_cmpx_lt_u32_e32 27, v218
	s_cbranch_execz .LBB71_253
; %bb.252:
	ds_load_2addr_b64 v[202:205], v220 offset0:28 offset1:29
	ds_load_2addr_b64 v[206:209], v220 offset0:30 offset1:31
	;; [unrolled: 1-line block ×3, first 2 shown]
	s_wait_dscnt 0x3
	v_pk_mul_f32 v[222:223], v[200:201], v[98:99] op_sel:[1,1] op_sel_hi:[0,1]
	ds_load_2addr_b64 v[214:217], v220 offset0:34 offset1:35
	v_pk_fma_f32 v[224:225], v[200:201], v[98:99], v[222:223] op_sel_hi:[1,0,1] neg_lo:[0,0,1] neg_hi:[0,0,1]
	v_pk_fma_f32 v[222:223], v[200:201], v[98:99], v[222:223] op_sel_hi:[1,0,1]
	s_delay_alu instid0(VALU_DEP_1) | instskip(SKIP_1) | instid1(VALU_DEP_2)
	v_dual_mov_b32 v98, v224 :: v_dual_mov_b32 v99, v223
	s_wait_dscnt 0x3
	v_pk_mul_f32 v[226:227], v[202:203], v[222:223] op_sel:[0,1]
	v_pk_mul_f32 v[228:229], v[204:205], v[222:223] op_sel:[0,1]
	s_wait_dscnt 0x2
	v_pk_mul_f32 v[230:231], v[206:207], v[222:223] op_sel:[0,1]
	s_wait_dscnt 0x1
	v_pk_mul_f32 v[238:239], v[210:211], v[222:223] op_sel:[0,1]
	v_dual_mov_b32 v232, v209 :: v_dual_mov_b32 v233, v208
	v_pk_fma_f32 v[244:245], v[202:203], v[224:225], v[226:227] op_sel:[0,0,1] op_sel_hi:[1,1,0] neg_lo:[0,0,1] neg_hi:[0,0,1]
	v_pk_fma_f32 v[202:203], v[202:203], v[224:225], v[226:227] op_sel:[0,0,1] op_sel_hi:[1,0,0]
	v_pk_fma_f32 v[226:227], v[204:205], v[224:225], v[228:229] op_sel:[0,0,1] op_sel_hi:[1,1,0] neg_lo:[0,0,1] neg_hi:[0,0,1]
	v_pk_fma_f32 v[204:205], v[204:205], v[224:225], v[228:229] op_sel:[0,0,1] op_sel_hi:[1,0,0]
	v_dual_mul_f32 v234, v209, v223 :: v_dual_mul_f32 v236, v209, v224
	v_pk_mul_f32 v[240:241], v[212:213], v[222:223] op_sel:[0,1]
	v_pk_fma_f32 v[228:229], v[206:207], v[224:225], v[230:231] op_sel:[0,0,1] op_sel_hi:[1,1,0] neg_lo:[0,0,1] neg_hi:[0,0,1]
	v_pk_fma_f32 v[206:207], v[206:207], v[224:225], v[230:231] op_sel:[0,0,1] op_sel_hi:[1,0,0]
	s_wait_dscnt 0x0
	v_pk_mul_f32 v[242:243], v[214:215], v[222:223] op_sel:[0,1]
	v_dual_mov_b32 v245, v203 :: v_dual_mov_b32 v227, v205
	v_pk_fma_f32 v[202:203], v[210:211], v[224:225], v[238:239] op_sel:[0,0,1] op_sel_hi:[1,0,0]
	v_pk_mul_f32 v[204:205], v[216:217], v[222:223] op_sel:[0,1]
	v_pk_fma_f32 v[230:231], v[232:233], v[98:99], v[236:237] op_sel_hi:[1,1,0]
	v_pk_fma_f32 v[232:233], v[210:211], v[224:225], v[238:239] op_sel:[0,0,1] op_sel_hi:[1,1,0] neg_lo:[0,0,1] neg_hi:[0,0,1]
	v_mov_b32_e32 v229, v207
	v_pk_fma_f32 v[206:207], v[212:213], v[224:225], v[240:241] op_sel:[0,0,1] op_sel_hi:[1,0,0]
	v_mov_b32_e32 v233, v203
	v_pk_fma_f32 v[202:203], v[214:215], v[224:225], v[242:243] op_sel:[0,0,1] op_sel_hi:[1,0,0]
	v_pk_fma_f32 v[210:211], v[212:213], v[224:225], v[240:241] op_sel:[0,0,1] op_sel_hi:[1,1,0] neg_lo:[0,0,1] neg_hi:[0,0,1]
	v_pk_fma_f32 v[212:213], v[216:217], v[224:225], v[204:205] op_sel:[0,0,1] op_sel_hi:[1,0,0]
	v_mov_b32_e32 v211, v207
	v_pk_fma_f32 v[206:207], v[214:215], v[224:225], v[242:243] op_sel:[0,0,1] op_sel_hi:[1,1,0] neg_lo:[0,0,1] neg_hi:[0,0,1]
	v_pk_fma_f32 v[208:209], v[208:209], v[98:99], v[234:235] op_sel_hi:[1,1,0] neg_lo:[0,0,1] neg_hi:[0,0,1]
	v_mov_b32_e32 v207, v203
	v_pk_fma_f32 v[202:203], v[216:217], v[224:225], v[204:205] op_sel:[0,0,1] op_sel_hi:[1,1,0] neg_lo:[0,0,1] neg_hi:[0,0,1]
	v_dual_mov_b32 v209, v231 :: v_dual_mov_b32 v203, v213
	v_pk_add_f32 v[124:125], v[124:125], v[244:245] neg_lo:[0,1] neg_hi:[0,1]
	v_pk_add_f32 v[120:121], v[120:121], v[226:227] neg_lo:[0,1] neg_hi:[0,1]
	;; [unrolled: 1-line block ×3, first 2 shown]
	s_delay_alu instid0(VALU_DEP_4)
	v_pk_add_f32 v[118:119], v[118:119], v[208:209] neg_lo:[0,1] neg_hi:[0,1]
	v_pk_add_f32 v[136:137], v[136:137], v[232:233] neg_lo:[0,1] neg_hi:[0,1]
	;; [unrolled: 1-line block ×5, first 2 shown]
.LBB71_253:
	s_or_b32 exec_lo, exec_lo, s1
	s_delay_alu instid0(SALU_CYCLE_1)
	s_mov_b32 s2, exec_lo
	s_wait_dscnt 0x0
	s_barrier_signal -1
	s_barrier_wait -1
	v_cmpx_eq_u32_e32 28, v218
	s_cbranch_execz .LBB71_260
; %bb.254:
	ds_store_b64 v219, v[124:125]
	ds_store_2addr_b64 v220, v[120:121], v[122:123] offset0:29 offset1:30
	ds_store_2addr_b64 v220, v[118:119], v[136:137] offset0:31 offset1:32
	;; [unrolled: 1-line block ×3, first 2 shown]
	ds_store_b64 v220, v[142:143] offset:280
	ds_load_b64 v[202:203], v219
	s_wait_dscnt 0x0
	v_cmp_neq_f32_e32 vcc_lo, 0, v202
	v_cmp_neq_f32_e64 s1, 0, v203
	s_or_b32 s1, vcc_lo, s1
	s_delay_alu instid0(SALU_CYCLE_1)
	s_and_b32 exec_lo, exec_lo, s1
	s_cbranch_execz .LBB71_260
; %bb.255:
	v_cmp_ngt_f32_e64 s1, |v202|, |v203|
                                        ; implicit-def: $vgpr204_vgpr205
	s_and_saveexec_b32 s4, s1
	s_delay_alu instid0(SALU_CYCLE_1)
	s_xor_b32 s1, exec_lo, s4
	s_cbranch_execz .LBB71_257
; %bb.256:
	v_div_scale_f32 v204, null, v203, v203, v202
	v_div_scale_f32 v207, vcc_lo, v202, v203, v202
	s_delay_alu instid0(VALU_DEP_2) | instskip(SKIP_1) | instid1(TRANS32_DEP_1)
	v_rcp_f32_e32 v205, v204
	v_nop
	v_fma_f32 v206, -v204, v205, 1.0
	s_delay_alu instid0(VALU_DEP_1) | instskip(NEXT) | instid1(VALU_DEP_1)
	v_fmac_f32_e32 v205, v206, v205
	v_mul_f32_e32 v206, v207, v205
	s_delay_alu instid0(VALU_DEP_1) | instskip(NEXT) | instid1(VALU_DEP_1)
	v_fma_f32 v208, -v204, v206, v207
	v_fmac_f32_e32 v206, v208, v205
	s_delay_alu instid0(VALU_DEP_1) | instskip(NEXT) | instid1(VALU_DEP_1)
	v_fma_f32 v204, -v204, v206, v207
	v_div_fmas_f32 v204, v204, v205, v206
	s_delay_alu instid0(VALU_DEP_1) | instskip(NEXT) | instid1(VALU_DEP_1)
	v_div_fixup_f32 v204, v204, v203, v202
	v_fmac_f32_e32 v203, v202, v204
	s_delay_alu instid0(VALU_DEP_1) | instskip(SKIP_1) | instid1(VALU_DEP_2)
	v_div_scale_f32 v202, null, v203, v203, 1.0
	v_div_scale_f32 v207, vcc_lo, 1.0, v203, 1.0
	v_rcp_f32_e32 v205, v202
	v_nop
	s_delay_alu instid0(TRANS32_DEP_1) | instskip(NEXT) | instid1(VALU_DEP_1)
	v_fma_f32 v206, -v202, v205, 1.0
	v_fmac_f32_e32 v205, v206, v205
	s_delay_alu instid0(VALU_DEP_1) | instskip(NEXT) | instid1(VALU_DEP_1)
	v_mul_f32_e32 v206, v207, v205
	v_fma_f32 v208, -v202, v206, v207
	s_delay_alu instid0(VALU_DEP_1) | instskip(NEXT) | instid1(VALU_DEP_1)
	v_fmac_f32_e32 v206, v208, v205
	v_fma_f32 v202, -v202, v206, v207
	s_delay_alu instid0(VALU_DEP_1) | instskip(NEXT) | instid1(VALU_DEP_1)
	v_div_fmas_f32 v202, v202, v205, v206
	v_div_fixup_f32 v202, v202, v203, 1.0
	s_delay_alu instid0(VALU_DEP_1)
	v_mul_f32_e32 v204, v204, v202
	v_xor_b32_e32 v205, 0x80000000, v202
                                        ; implicit-def: $vgpr202_vgpr203
.LBB71_257:
	s_and_not1_saveexec_b32 s1, s1
	s_cbranch_execz .LBB71_259
; %bb.258:
	v_div_scale_f32 v204, null, v202, v202, v203
	v_div_scale_f32 v207, vcc_lo, v203, v202, v203
	s_delay_alu instid0(VALU_DEP_2) | instskip(SKIP_1) | instid1(TRANS32_DEP_1)
	v_rcp_f32_e32 v205, v204
	v_nop
	v_fma_f32 v206, -v204, v205, 1.0
	s_delay_alu instid0(VALU_DEP_1) | instskip(NEXT) | instid1(VALU_DEP_1)
	v_fmac_f32_e32 v205, v206, v205
	v_mul_f32_e32 v206, v207, v205
	s_delay_alu instid0(VALU_DEP_1) | instskip(NEXT) | instid1(VALU_DEP_1)
	v_fma_f32 v208, -v204, v206, v207
	v_fmac_f32_e32 v206, v208, v205
	s_delay_alu instid0(VALU_DEP_1) | instskip(NEXT) | instid1(VALU_DEP_1)
	v_fma_f32 v204, -v204, v206, v207
	v_div_fmas_f32 v204, v204, v205, v206
	s_delay_alu instid0(VALU_DEP_1) | instskip(NEXT) | instid1(VALU_DEP_1)
	v_div_fixup_f32 v205, v204, v202, v203
	v_fmac_f32_e32 v202, v203, v205
	s_delay_alu instid0(VALU_DEP_1) | instskip(NEXT) | instid1(VALU_DEP_1)
	v_div_scale_f32 v203, null, v202, v202, 1.0
	v_rcp_f32_e32 v204, v203
	v_nop
	s_delay_alu instid0(TRANS32_DEP_1) | instskip(NEXT) | instid1(VALU_DEP_1)
	v_fma_f32 v206, -v203, v204, 1.0
	v_fmac_f32_e32 v204, v206, v204
	v_div_scale_f32 v206, vcc_lo, 1.0, v202, 1.0
	s_delay_alu instid0(VALU_DEP_1) | instskip(NEXT) | instid1(VALU_DEP_1)
	v_mul_f32_e32 v207, v206, v204
	v_fma_f32 v208, -v203, v207, v206
	s_delay_alu instid0(VALU_DEP_1) | instskip(NEXT) | instid1(VALU_DEP_1)
	v_fmac_f32_e32 v207, v208, v204
	v_fma_f32 v203, -v203, v207, v206
	s_delay_alu instid0(VALU_DEP_1) | instskip(NEXT) | instid1(VALU_DEP_1)
	v_div_fmas_f32 v203, v203, v204, v207
	v_div_fixup_f32 v204, v203, v202, 1.0
	s_delay_alu instid0(VALU_DEP_1)
	v_mul_f32_e64 v205, v205, -v204
.LBB71_259:
	s_or_b32 exec_lo, exec_lo, s1
	ds_store_b64 v219, v[204:205]
.LBB71_260:
	s_or_b32 exec_lo, exec_lo, s2
	s_wait_dscnt 0x0
	s_barrier_signal -1
	s_barrier_wait -1
	ds_load_b64 v[202:203], v219
	s_mov_b32 s1, exec_lo
	v_cmpx_lt_u32_e32 28, v218
	s_cbranch_execz .LBB71_262
; %bb.261:
	ds_load_2addr_b64 v[204:207], v220 offset0:29 offset1:30
	ds_load_2addr_b64 v[208:211], v220 offset0:31 offset1:32
	;; [unrolled: 1-line block ×3, first 2 shown]
	ds_load_b64 v[222:223], v220 offset:280
	s_wait_dscnt 0x4
	v_pk_mul_f32 v[216:217], v[202:203], v[124:125] op_sel:[1,1] op_sel_hi:[0,1]
	s_delay_alu instid0(VALU_DEP_1) | instskip(SKIP_1) | instid1(VALU_DEP_1)
	v_pk_fma_f32 v[224:225], v[202:203], v[124:125], v[216:217] op_sel_hi:[1,0,1] neg_lo:[0,0,1] neg_hi:[0,0,1]
	v_pk_fma_f32 v[216:217], v[202:203], v[124:125], v[216:217] op_sel_hi:[1,0,1]
	v_dual_mov_b32 v124, v224 :: v_dual_mov_b32 v125, v217
	s_wait_dscnt 0x3
	s_delay_alu instid0(VALU_DEP_2)
	v_pk_mul_f32 v[226:227], v[204:205], v[216:217] op_sel:[0,1]
	v_pk_mul_f32 v[228:229], v[206:207], v[216:217] op_sel:[0,1]
	s_wait_dscnt 0x2
	v_pk_mul_f32 v[230:231], v[208:209], v[216:217] op_sel:[0,1]
	v_dual_mov_b32 v232, v211 :: v_dual_mov_b32 v233, v210
	v_dual_mul_f32 v234, v211, v217 :: v_dual_mul_f32 v236, v211, v224
	s_wait_dscnt 0x1
	v_pk_mul_f32 v[238:239], v[212:213], v[216:217] op_sel:[0,1]
	v_pk_mul_f32 v[240:241], v[214:215], v[216:217] op_sel:[0,1]
	v_pk_fma_f32 v[242:243], v[204:205], v[224:225], v[226:227] op_sel:[0,0,1] op_sel_hi:[1,1,0] neg_lo:[0,0,1] neg_hi:[0,0,1]
	v_pk_fma_f32 v[204:205], v[204:205], v[224:225], v[226:227] op_sel:[0,0,1] op_sel_hi:[1,0,0]
	s_wait_dscnt 0x0
	v_pk_mul_f32 v[216:217], v[222:223], v[216:217] op_sel:[0,1]
	v_pk_fma_f32 v[226:227], v[206:207], v[224:225], v[228:229] op_sel:[0,0,1] op_sel_hi:[1,1,0] neg_lo:[0,0,1] neg_hi:[0,0,1]
	v_pk_fma_f32 v[206:207], v[206:207], v[224:225], v[228:229] op_sel:[0,0,1] op_sel_hi:[1,0,0]
	v_pk_fma_f32 v[228:229], v[208:209], v[224:225], v[230:231] op_sel:[0,0,1] op_sel_hi:[1,1,0] neg_lo:[0,0,1] neg_hi:[0,0,1]
	v_pk_fma_f32 v[208:209], v[208:209], v[224:225], v[230:231] op_sel:[0,0,1] op_sel_hi:[1,0,0]
	v_pk_fma_f32 v[230:231], v[232:233], v[124:125], v[236:237] op_sel_hi:[1,1,0]
	v_pk_fma_f32 v[232:233], v[212:213], v[224:225], v[238:239] op_sel:[0,0,1] op_sel_hi:[1,1,0] neg_lo:[0,0,1] neg_hi:[0,0,1]
	v_pk_fma_f32 v[212:213], v[212:213], v[224:225], v[238:239] op_sel:[0,0,1] op_sel_hi:[1,0,0]
	v_dual_mov_b32 v243, v205 :: v_dual_mov_b32 v227, v207
	v_pk_fma_f32 v[204:205], v[214:215], v[224:225], v[240:241] op_sel:[0,0,1] op_sel_hi:[1,0,0]
	v_pk_fma_f32 v[206:207], v[222:223], v[224:225], v[216:217] op_sel:[0,0,1] op_sel_hi:[1,0,0]
	v_mov_b32_e32 v229, v209
	v_pk_fma_f32 v[208:209], v[214:215], v[224:225], v[240:241] op_sel:[0,0,1] op_sel_hi:[1,1,0] neg_lo:[0,0,1] neg_hi:[0,0,1]
	v_pk_fma_f32 v[210:211], v[210:211], v[124:125], v[234:235] op_sel_hi:[1,1,0] neg_lo:[0,0,1] neg_hi:[0,0,1]
	v_dual_mov_b32 v233, v213 :: v_dual_mov_b32 v209, v205
	v_pk_fma_f32 v[204:205], v[222:223], v[224:225], v[216:217] op_sel:[0,0,1] op_sel_hi:[1,1,0] neg_lo:[0,0,1] neg_hi:[0,0,1]
	v_dual_mov_b32 v211, v231 :: v_dual_mov_b32 v205, v207
	v_pk_add_f32 v[120:121], v[120:121], v[242:243] neg_lo:[0,1] neg_hi:[0,1]
	v_pk_add_f32 v[122:123], v[122:123], v[226:227] neg_lo:[0,1] neg_hi:[0,1]
	;; [unrolled: 1-line block ×3, first 2 shown]
	s_delay_alu instid0(VALU_DEP_4)
	v_pk_add_f32 v[136:137], v[136:137], v[210:211] neg_lo:[0,1] neg_hi:[0,1]
	v_pk_add_f32 v[134:135], v[134:135], v[232:233] neg_lo:[0,1] neg_hi:[0,1]
	;; [unrolled: 1-line block ×4, first 2 shown]
.LBB71_262:
	s_or_b32 exec_lo, exec_lo, s1
	s_delay_alu instid0(SALU_CYCLE_1)
	s_mov_b32 s2, exec_lo
	s_wait_dscnt 0x0
	s_barrier_signal -1
	s_barrier_wait -1
	v_cmpx_eq_u32_e32 29, v218
	s_cbranch_execz .LBB71_269
; %bb.263:
	v_dual_mov_b32 v204, v122 :: v_dual_mov_b32 v205, v123
	v_dual_mov_b32 v206, v118 :: v_dual_mov_b32 v207, v119
	v_dual_mov_b32 v208, v136 :: v_dual_mov_b32 v209, v137
	v_dual_mov_b32 v210, v134 :: v_dual_mov_b32 v211, v135
	v_dual_mov_b32 v212, v132 :: v_dual_mov_b32 v213, v133
	ds_store_b64 v219, v[120:121]
	ds_store_2addr_b64 v220, v[204:205], v[206:207] offset0:30 offset1:31
	ds_store_2addr_b64 v220, v[208:209], v[210:211] offset0:32 offset1:33
	;; [unrolled: 1-line block ×3, first 2 shown]
	ds_load_b64 v[204:205], v219
	s_wait_dscnt 0x0
	v_cmp_neq_f32_e32 vcc_lo, 0, v204
	v_cmp_neq_f32_e64 s1, 0, v205
	s_or_b32 s1, vcc_lo, s1
	s_delay_alu instid0(SALU_CYCLE_1)
	s_and_b32 exec_lo, exec_lo, s1
	s_cbranch_execz .LBB71_269
; %bb.264:
	v_cmp_ngt_f32_e64 s1, |v204|, |v205|
                                        ; implicit-def: $vgpr206_vgpr207
	s_and_saveexec_b32 s4, s1
	s_delay_alu instid0(SALU_CYCLE_1)
	s_xor_b32 s1, exec_lo, s4
	s_cbranch_execz .LBB71_266
; %bb.265:
	v_div_scale_f32 v206, null, v205, v205, v204
	v_div_scale_f32 v209, vcc_lo, v204, v205, v204
	s_delay_alu instid0(VALU_DEP_2) | instskip(SKIP_1) | instid1(TRANS32_DEP_1)
	v_rcp_f32_e32 v207, v206
	v_nop
	v_fma_f32 v208, -v206, v207, 1.0
	s_delay_alu instid0(VALU_DEP_1) | instskip(NEXT) | instid1(VALU_DEP_1)
	v_fmac_f32_e32 v207, v208, v207
	v_mul_f32_e32 v208, v209, v207
	s_delay_alu instid0(VALU_DEP_1) | instskip(NEXT) | instid1(VALU_DEP_1)
	v_fma_f32 v210, -v206, v208, v209
	v_fmac_f32_e32 v208, v210, v207
	s_delay_alu instid0(VALU_DEP_1) | instskip(NEXT) | instid1(VALU_DEP_1)
	v_fma_f32 v206, -v206, v208, v209
	v_div_fmas_f32 v206, v206, v207, v208
	s_delay_alu instid0(VALU_DEP_1) | instskip(NEXT) | instid1(VALU_DEP_1)
	v_div_fixup_f32 v206, v206, v205, v204
	v_fmac_f32_e32 v205, v204, v206
	s_delay_alu instid0(VALU_DEP_1) | instskip(SKIP_1) | instid1(VALU_DEP_2)
	v_div_scale_f32 v204, null, v205, v205, 1.0
	v_div_scale_f32 v209, vcc_lo, 1.0, v205, 1.0
	v_rcp_f32_e32 v207, v204
	v_nop
	s_delay_alu instid0(TRANS32_DEP_1) | instskip(NEXT) | instid1(VALU_DEP_1)
	v_fma_f32 v208, -v204, v207, 1.0
	v_fmac_f32_e32 v207, v208, v207
	s_delay_alu instid0(VALU_DEP_1) | instskip(NEXT) | instid1(VALU_DEP_1)
	v_mul_f32_e32 v208, v209, v207
	v_fma_f32 v210, -v204, v208, v209
	s_delay_alu instid0(VALU_DEP_1) | instskip(NEXT) | instid1(VALU_DEP_1)
	v_fmac_f32_e32 v208, v210, v207
	v_fma_f32 v204, -v204, v208, v209
	s_delay_alu instid0(VALU_DEP_1) | instskip(NEXT) | instid1(VALU_DEP_1)
	v_div_fmas_f32 v204, v204, v207, v208
	v_div_fixup_f32 v204, v204, v205, 1.0
	s_delay_alu instid0(VALU_DEP_1)
	v_mul_f32_e32 v206, v206, v204
	v_xor_b32_e32 v207, 0x80000000, v204
                                        ; implicit-def: $vgpr204_vgpr205
.LBB71_266:
	s_and_not1_saveexec_b32 s1, s1
	s_cbranch_execz .LBB71_268
; %bb.267:
	v_div_scale_f32 v206, null, v204, v204, v205
	v_div_scale_f32 v209, vcc_lo, v205, v204, v205
	s_delay_alu instid0(VALU_DEP_2) | instskip(SKIP_1) | instid1(TRANS32_DEP_1)
	v_rcp_f32_e32 v207, v206
	v_nop
	v_fma_f32 v208, -v206, v207, 1.0
	s_delay_alu instid0(VALU_DEP_1) | instskip(NEXT) | instid1(VALU_DEP_1)
	v_fmac_f32_e32 v207, v208, v207
	v_mul_f32_e32 v208, v209, v207
	s_delay_alu instid0(VALU_DEP_1) | instskip(NEXT) | instid1(VALU_DEP_1)
	v_fma_f32 v210, -v206, v208, v209
	v_fmac_f32_e32 v208, v210, v207
	s_delay_alu instid0(VALU_DEP_1) | instskip(NEXT) | instid1(VALU_DEP_1)
	v_fma_f32 v206, -v206, v208, v209
	v_div_fmas_f32 v206, v206, v207, v208
	s_delay_alu instid0(VALU_DEP_1) | instskip(NEXT) | instid1(VALU_DEP_1)
	v_div_fixup_f32 v207, v206, v204, v205
	v_fmac_f32_e32 v204, v205, v207
	s_delay_alu instid0(VALU_DEP_1) | instskip(NEXT) | instid1(VALU_DEP_1)
	v_div_scale_f32 v205, null, v204, v204, 1.0
	v_rcp_f32_e32 v206, v205
	v_nop
	s_delay_alu instid0(TRANS32_DEP_1) | instskip(NEXT) | instid1(VALU_DEP_1)
	v_fma_f32 v208, -v205, v206, 1.0
	v_fmac_f32_e32 v206, v208, v206
	v_div_scale_f32 v208, vcc_lo, 1.0, v204, 1.0
	s_delay_alu instid0(VALU_DEP_1) | instskip(NEXT) | instid1(VALU_DEP_1)
	v_mul_f32_e32 v209, v208, v206
	v_fma_f32 v210, -v205, v209, v208
	s_delay_alu instid0(VALU_DEP_1) | instskip(NEXT) | instid1(VALU_DEP_1)
	v_fmac_f32_e32 v209, v210, v206
	v_fma_f32 v205, -v205, v209, v208
	s_delay_alu instid0(VALU_DEP_1) | instskip(NEXT) | instid1(VALU_DEP_1)
	v_div_fmas_f32 v205, v205, v206, v209
	v_div_fixup_f32 v206, v205, v204, 1.0
	s_delay_alu instid0(VALU_DEP_1)
	v_mul_f32_e64 v207, v207, -v206
.LBB71_268:
	s_or_b32 exec_lo, exec_lo, s1
	ds_store_b64 v219, v[206:207]
.LBB71_269:
	s_or_b32 exec_lo, exec_lo, s2
	s_wait_dscnt 0x0
	s_barrier_signal -1
	s_barrier_wait -1
	ds_load_b64 v[204:205], v219
	s_mov_b32 s1, exec_lo
	v_cmpx_lt_u32_e32 29, v218
	s_cbranch_execz .LBB71_271
; %bb.270:
	ds_load_2addr_b64 v[206:209], v220 offset0:30 offset1:31
	ds_load_2addr_b64 v[210:213], v220 offset0:32 offset1:33
	;; [unrolled: 1-line block ×3, first 2 shown]
	s_wait_dscnt 0x3
	v_pk_mul_f32 v[222:223], v[204:205], v[120:121] op_sel:[1,1] op_sel_hi:[0,1]
	s_delay_alu instid0(VALU_DEP_1) | instskip(SKIP_1) | instid1(VALU_DEP_1)
	v_pk_fma_f32 v[224:225], v[204:205], v[120:121], v[222:223] op_sel_hi:[1,0,1] neg_lo:[0,0,1] neg_hi:[0,0,1]
	v_pk_fma_f32 v[222:223], v[204:205], v[120:121], v[222:223] op_sel_hi:[1,0,1]
	v_dual_mov_b32 v120, v224 :: v_dual_mov_b32 v121, v223
	s_wait_dscnt 0x2
	s_delay_alu instid0(VALU_DEP_2)
	v_pk_mul_f32 v[226:227], v[206:207], v[222:223] op_sel:[0,1]
	v_pk_mul_f32 v[228:229], v[208:209], v[222:223] op_sel:[0,1]
	s_wait_dscnt 0x1
	v_pk_mul_f32 v[230:231], v[210:211], v[222:223] op_sel:[0,1]
	v_dual_mov_b32 v232, v213 :: v_dual_mov_b32 v233, v212
	v_dual_mul_f32 v234, v213, v223 :: v_dual_mul_f32 v236, v213, v224
	s_wait_dscnt 0x0
	v_pk_mul_f32 v[238:239], v[214:215], v[222:223] op_sel:[0,1]
	v_dual_mov_b32 v240, v217 :: v_dual_mov_b32 v241, v216
	v_dual_mul_f32 v222, v217, v223 :: v_dual_mul_f32 v242, v217, v224
	v_pk_fma_f32 v[244:245], v[206:207], v[224:225], v[226:227] op_sel:[0,0,1] op_sel_hi:[1,1,0] neg_lo:[0,0,1] neg_hi:[0,0,1]
	v_pk_fma_f32 v[206:207], v[206:207], v[224:225], v[226:227] op_sel:[0,0,1] op_sel_hi:[1,0,0]
	v_pk_fma_f32 v[226:227], v[208:209], v[224:225], v[228:229] op_sel:[0,0,1] op_sel_hi:[1,1,0] neg_lo:[0,0,1] neg_hi:[0,0,1]
	v_pk_fma_f32 v[208:209], v[208:209], v[224:225], v[228:229] op_sel:[0,0,1] op_sel_hi:[1,0,0]
	;; [unrolled: 2-line block ×3, first 2 shown]
	v_pk_fma_f32 v[230:231], v[232:233], v[120:121], v[236:237] op_sel_hi:[1,1,0]
	v_pk_fma_f32 v[232:233], v[214:215], v[224:225], v[238:239] op_sel:[0,0,1] op_sel_hi:[1,1,0] neg_lo:[0,0,1] neg_hi:[0,0,1]
	v_pk_fma_f32 v[214:215], v[214:215], v[224:225], v[238:239] op_sel:[0,0,1] op_sel_hi:[1,0,0]
	v_dual_mov_b32 v245, v207 :: v_dual_mov_b32 v227, v209
	v_pk_fma_f32 v[206:207], v[240:241], v[120:121], v[242:243] op_sel_hi:[1,1,0]
	v_pk_fma_f32 v[212:213], v[212:213], v[120:121], v[234:235] op_sel_hi:[1,1,0] neg_lo:[0,0,1] neg_hi:[0,0,1]
	v_pk_fma_f32 v[208:209], v[216:217], v[120:121], v[222:223] op_sel_hi:[1,1,0] neg_lo:[0,0,1] neg_hi:[0,0,1]
	v_dual_mov_b32 v229, v211 :: v_dual_mov_b32 v213, v231
	s_delay_alu instid0(VALU_DEP_4) | instskip(SKIP_2) | instid1(VALU_DEP_4)
	v_dual_mov_b32 v233, v215 :: v_dual_mov_b32 v209, v207
	v_pk_add_f32 v[122:123], v[122:123], v[244:245] neg_lo:[0,1] neg_hi:[0,1]
	v_pk_add_f32 v[118:119], v[118:119], v[226:227] neg_lo:[0,1] neg_hi:[0,1]
	;; [unrolled: 1-line block ×6, first 2 shown]
.LBB71_271:
	s_or_b32 exec_lo, exec_lo, s1
	s_delay_alu instid0(SALU_CYCLE_1)
	s_mov_b32 s2, exec_lo
	s_wait_dscnt 0x0
	s_barrier_signal -1
	s_barrier_wait -1
	v_cmpx_eq_u32_e32 30, v218
	s_cbranch_execz .LBB71_278
; %bb.272:
	ds_store_b64 v219, v[122:123]
	ds_store_2addr_b64 v220, v[118:119], v[136:137] offset0:31 offset1:32
	ds_store_2addr_b64 v220, v[134:135], v[132:133] offset0:33 offset1:34
	ds_store_b64 v220, v[142:143] offset:280
	ds_load_b64 v[206:207], v219
	s_wait_dscnt 0x0
	v_cmp_neq_f32_e32 vcc_lo, 0, v206
	v_cmp_neq_f32_e64 s1, 0, v207
	s_or_b32 s1, vcc_lo, s1
	s_delay_alu instid0(SALU_CYCLE_1)
	s_and_b32 exec_lo, exec_lo, s1
	s_cbranch_execz .LBB71_278
; %bb.273:
	v_cmp_ngt_f32_e64 s1, |v206|, |v207|
                                        ; implicit-def: $vgpr208_vgpr209
	s_and_saveexec_b32 s4, s1
	s_delay_alu instid0(SALU_CYCLE_1)
	s_xor_b32 s1, exec_lo, s4
	s_cbranch_execz .LBB71_275
; %bb.274:
	v_div_scale_f32 v208, null, v207, v207, v206
	v_div_scale_f32 v211, vcc_lo, v206, v207, v206
	s_delay_alu instid0(VALU_DEP_2) | instskip(SKIP_1) | instid1(TRANS32_DEP_1)
	v_rcp_f32_e32 v209, v208
	v_nop
	v_fma_f32 v210, -v208, v209, 1.0
	s_delay_alu instid0(VALU_DEP_1) | instskip(NEXT) | instid1(VALU_DEP_1)
	v_fmac_f32_e32 v209, v210, v209
	v_mul_f32_e32 v210, v211, v209
	s_delay_alu instid0(VALU_DEP_1) | instskip(NEXT) | instid1(VALU_DEP_1)
	v_fma_f32 v212, -v208, v210, v211
	v_fmac_f32_e32 v210, v212, v209
	s_delay_alu instid0(VALU_DEP_1) | instskip(NEXT) | instid1(VALU_DEP_1)
	v_fma_f32 v208, -v208, v210, v211
	v_div_fmas_f32 v208, v208, v209, v210
	s_delay_alu instid0(VALU_DEP_1) | instskip(NEXT) | instid1(VALU_DEP_1)
	v_div_fixup_f32 v208, v208, v207, v206
	v_fmac_f32_e32 v207, v206, v208
	s_delay_alu instid0(VALU_DEP_1) | instskip(SKIP_1) | instid1(VALU_DEP_2)
	v_div_scale_f32 v206, null, v207, v207, 1.0
	v_div_scale_f32 v211, vcc_lo, 1.0, v207, 1.0
	v_rcp_f32_e32 v209, v206
	v_nop
	s_delay_alu instid0(TRANS32_DEP_1) | instskip(NEXT) | instid1(VALU_DEP_1)
	v_fma_f32 v210, -v206, v209, 1.0
	v_fmac_f32_e32 v209, v210, v209
	s_delay_alu instid0(VALU_DEP_1) | instskip(NEXT) | instid1(VALU_DEP_1)
	v_mul_f32_e32 v210, v211, v209
	v_fma_f32 v212, -v206, v210, v211
	s_delay_alu instid0(VALU_DEP_1) | instskip(NEXT) | instid1(VALU_DEP_1)
	v_fmac_f32_e32 v210, v212, v209
	v_fma_f32 v206, -v206, v210, v211
	s_delay_alu instid0(VALU_DEP_1) | instskip(NEXT) | instid1(VALU_DEP_1)
	v_div_fmas_f32 v206, v206, v209, v210
	v_div_fixup_f32 v206, v206, v207, 1.0
	s_delay_alu instid0(VALU_DEP_1)
	v_mul_f32_e32 v208, v208, v206
	v_xor_b32_e32 v209, 0x80000000, v206
                                        ; implicit-def: $vgpr206_vgpr207
.LBB71_275:
	s_and_not1_saveexec_b32 s1, s1
	s_cbranch_execz .LBB71_277
; %bb.276:
	v_div_scale_f32 v208, null, v206, v206, v207
	v_div_scale_f32 v211, vcc_lo, v207, v206, v207
	s_delay_alu instid0(VALU_DEP_2) | instskip(SKIP_1) | instid1(TRANS32_DEP_1)
	v_rcp_f32_e32 v209, v208
	v_nop
	v_fma_f32 v210, -v208, v209, 1.0
	s_delay_alu instid0(VALU_DEP_1) | instskip(NEXT) | instid1(VALU_DEP_1)
	v_fmac_f32_e32 v209, v210, v209
	v_mul_f32_e32 v210, v211, v209
	s_delay_alu instid0(VALU_DEP_1) | instskip(NEXT) | instid1(VALU_DEP_1)
	v_fma_f32 v212, -v208, v210, v211
	v_fmac_f32_e32 v210, v212, v209
	s_delay_alu instid0(VALU_DEP_1) | instskip(NEXT) | instid1(VALU_DEP_1)
	v_fma_f32 v208, -v208, v210, v211
	v_div_fmas_f32 v208, v208, v209, v210
	s_delay_alu instid0(VALU_DEP_1) | instskip(NEXT) | instid1(VALU_DEP_1)
	v_div_fixup_f32 v209, v208, v206, v207
	v_fmac_f32_e32 v206, v207, v209
	s_delay_alu instid0(VALU_DEP_1) | instskip(NEXT) | instid1(VALU_DEP_1)
	v_div_scale_f32 v207, null, v206, v206, 1.0
	v_rcp_f32_e32 v208, v207
	v_nop
	s_delay_alu instid0(TRANS32_DEP_1) | instskip(NEXT) | instid1(VALU_DEP_1)
	v_fma_f32 v210, -v207, v208, 1.0
	v_fmac_f32_e32 v208, v210, v208
	v_div_scale_f32 v210, vcc_lo, 1.0, v206, 1.0
	s_delay_alu instid0(VALU_DEP_1) | instskip(NEXT) | instid1(VALU_DEP_1)
	v_mul_f32_e32 v211, v210, v208
	v_fma_f32 v212, -v207, v211, v210
	s_delay_alu instid0(VALU_DEP_1) | instskip(NEXT) | instid1(VALU_DEP_1)
	v_fmac_f32_e32 v211, v212, v208
	v_fma_f32 v207, -v207, v211, v210
	s_delay_alu instid0(VALU_DEP_1) | instskip(NEXT) | instid1(VALU_DEP_1)
	v_div_fmas_f32 v207, v207, v208, v211
	v_div_fixup_f32 v208, v207, v206, 1.0
	s_delay_alu instid0(VALU_DEP_1)
	v_mul_f32_e64 v209, v209, -v208
.LBB71_277:
	s_or_b32 exec_lo, exec_lo, s1
	ds_store_b64 v219, v[208:209]
.LBB71_278:
	s_or_b32 exec_lo, exec_lo, s2
	s_wait_dscnt 0x0
	s_barrier_signal -1
	s_barrier_wait -1
	ds_load_b64 v[206:207], v219
	s_mov_b32 s1, exec_lo
	v_cmpx_lt_u32_e32 30, v218
	s_cbranch_execz .LBB71_280
; %bb.279:
	ds_load_2addr_b64 v[208:211], v220 offset0:31 offset1:32
	ds_load_2addr_b64 v[212:215], v220 offset0:33 offset1:34
	ds_load_b64 v[216:217], v220 offset:280
	s_wait_dscnt 0x3
	v_pk_mul_f32 v[222:223], v[206:207], v[122:123] op_sel:[1,1] op_sel_hi:[0,1]
	s_delay_alu instid0(VALU_DEP_1) | instskip(SKIP_1) | instid1(VALU_DEP_1)
	v_pk_fma_f32 v[224:225], v[206:207], v[122:123], v[222:223] op_sel_hi:[1,0,1] neg_lo:[0,0,1] neg_hi:[0,0,1]
	v_pk_fma_f32 v[222:223], v[206:207], v[122:123], v[222:223] op_sel_hi:[1,0,1]
	v_dual_mov_b32 v122, v224 :: v_dual_mov_b32 v123, v223
	s_wait_dscnt 0x2
	s_delay_alu instid0(VALU_DEP_2)
	v_pk_mul_f32 v[226:227], v[208:209], v[222:223] op_sel:[0,1]
	v_pk_mul_f32 v[228:229], v[210:211], v[222:223] op_sel:[0,1]
	s_wait_dscnt 0x1
	v_pk_mul_f32 v[230:231], v[212:213], v[222:223] op_sel:[0,1]
	v_dual_mov_b32 v232, v215 :: v_dual_mov_b32 v233, v214
	v_dual_mul_f32 v234, v215, v223 :: v_dual_mul_f32 v236, v215, v224
	s_wait_dscnt 0x0
	v_pk_mul_f32 v[222:223], v[216:217], v[222:223] op_sel:[0,1]
	v_pk_fma_f32 v[238:239], v[208:209], v[224:225], v[226:227] op_sel:[0,0,1] op_sel_hi:[1,1,0] neg_lo:[0,0,1] neg_hi:[0,0,1]
	v_pk_fma_f32 v[208:209], v[208:209], v[224:225], v[226:227] op_sel:[0,0,1] op_sel_hi:[1,0,0]
	v_pk_fma_f32 v[226:227], v[210:211], v[224:225], v[228:229] op_sel:[0,0,1] op_sel_hi:[1,1,0] neg_lo:[0,0,1] neg_hi:[0,0,1]
	v_pk_fma_f32 v[210:211], v[210:211], v[224:225], v[228:229] op_sel:[0,0,1] op_sel_hi:[1,0,0]
	;; [unrolled: 2-line block ×3, first 2 shown]
	v_pk_fma_f32 v[230:231], v[232:233], v[122:123], v[236:237] op_sel_hi:[1,1,0]
	v_pk_fma_f32 v[232:233], v[216:217], v[224:225], v[222:223] op_sel:[0,0,1] op_sel_hi:[1,1,0] neg_lo:[0,0,1] neg_hi:[0,0,1]
	v_pk_fma_f32 v[216:217], v[216:217], v[224:225], v[222:223] op_sel:[0,0,1] op_sel_hi:[1,0,0]
	v_pk_fma_f32 v[214:215], v[214:215], v[122:123], v[234:235] op_sel_hi:[1,1,0] neg_lo:[0,0,1] neg_hi:[0,0,1]
	v_dual_mov_b32 v239, v209 :: v_dual_mov_b32 v227, v211
	v_dual_mov_b32 v229, v213 :: v_dual_mov_b32 v215, v231
	s_delay_alu instid0(VALU_DEP_4) | instskip(NEXT) | instid1(VALU_DEP_3)
	v_mov_b32_e32 v233, v217
	v_pk_add_f32 v[118:119], v[118:119], v[238:239] neg_lo:[0,1] neg_hi:[0,1]
	s_delay_alu instid0(VALU_DEP_4) | instskip(NEXT) | instid1(VALU_DEP_4)
	v_pk_add_f32 v[136:137], v[136:137], v[226:227] neg_lo:[0,1] neg_hi:[0,1]
	v_pk_add_f32 v[134:135], v[134:135], v[228:229] neg_lo:[0,1] neg_hi:[0,1]
	;; [unrolled: 1-line block ×4, first 2 shown]
.LBB71_280:
	s_or_b32 exec_lo, exec_lo, s1
	s_delay_alu instid0(SALU_CYCLE_1)
	s_mov_b32 s2, exec_lo
	s_wait_dscnt 0x0
	s_barrier_signal -1
	s_barrier_wait -1
	v_cmpx_eq_u32_e32 31, v218
	s_cbranch_execz .LBB71_287
; %bb.281:
	v_dual_mov_b32 v208, v136 :: v_dual_mov_b32 v209, v137
	v_dual_mov_b32 v210, v134 :: v_dual_mov_b32 v211, v135
	;; [unrolled: 1-line block ×3, first 2 shown]
	ds_store_b64 v219, v[118:119]
	ds_store_2addr_b64 v220, v[208:209], v[210:211] offset0:32 offset1:33
	ds_store_2addr_b64 v220, v[212:213], v[142:143] offset0:34 offset1:35
	ds_load_b64 v[208:209], v219
	s_wait_dscnt 0x0
	v_cmp_neq_f32_e32 vcc_lo, 0, v208
	v_cmp_neq_f32_e64 s1, 0, v209
	s_or_b32 s1, vcc_lo, s1
	s_delay_alu instid0(SALU_CYCLE_1)
	s_and_b32 exec_lo, exec_lo, s1
	s_cbranch_execz .LBB71_287
; %bb.282:
	v_cmp_ngt_f32_e64 s1, |v208|, |v209|
                                        ; implicit-def: $vgpr210_vgpr211
	s_and_saveexec_b32 s4, s1
	s_delay_alu instid0(SALU_CYCLE_1)
	s_xor_b32 s1, exec_lo, s4
	s_cbranch_execz .LBB71_284
; %bb.283:
	v_div_scale_f32 v210, null, v209, v209, v208
	v_div_scale_f32 v213, vcc_lo, v208, v209, v208
	s_delay_alu instid0(VALU_DEP_2) | instskip(SKIP_1) | instid1(TRANS32_DEP_1)
	v_rcp_f32_e32 v211, v210
	v_nop
	v_fma_f32 v212, -v210, v211, 1.0
	s_delay_alu instid0(VALU_DEP_1) | instskip(NEXT) | instid1(VALU_DEP_1)
	v_fmac_f32_e32 v211, v212, v211
	v_mul_f32_e32 v212, v213, v211
	s_delay_alu instid0(VALU_DEP_1) | instskip(NEXT) | instid1(VALU_DEP_1)
	v_fma_f32 v214, -v210, v212, v213
	v_fmac_f32_e32 v212, v214, v211
	s_delay_alu instid0(VALU_DEP_1) | instskip(NEXT) | instid1(VALU_DEP_1)
	v_fma_f32 v210, -v210, v212, v213
	v_div_fmas_f32 v210, v210, v211, v212
	s_delay_alu instid0(VALU_DEP_1) | instskip(NEXT) | instid1(VALU_DEP_1)
	v_div_fixup_f32 v210, v210, v209, v208
	v_fmac_f32_e32 v209, v208, v210
	s_delay_alu instid0(VALU_DEP_1) | instskip(SKIP_1) | instid1(VALU_DEP_2)
	v_div_scale_f32 v208, null, v209, v209, 1.0
	v_div_scale_f32 v213, vcc_lo, 1.0, v209, 1.0
	v_rcp_f32_e32 v211, v208
	v_nop
	s_delay_alu instid0(TRANS32_DEP_1) | instskip(NEXT) | instid1(VALU_DEP_1)
	v_fma_f32 v212, -v208, v211, 1.0
	v_fmac_f32_e32 v211, v212, v211
	s_delay_alu instid0(VALU_DEP_1) | instskip(NEXT) | instid1(VALU_DEP_1)
	v_mul_f32_e32 v212, v213, v211
	v_fma_f32 v214, -v208, v212, v213
	s_delay_alu instid0(VALU_DEP_1) | instskip(NEXT) | instid1(VALU_DEP_1)
	v_fmac_f32_e32 v212, v214, v211
	v_fma_f32 v208, -v208, v212, v213
	s_delay_alu instid0(VALU_DEP_1) | instskip(NEXT) | instid1(VALU_DEP_1)
	v_div_fmas_f32 v208, v208, v211, v212
	v_div_fixup_f32 v208, v208, v209, 1.0
	s_delay_alu instid0(VALU_DEP_1)
	v_mul_f32_e32 v210, v210, v208
	v_xor_b32_e32 v211, 0x80000000, v208
                                        ; implicit-def: $vgpr208_vgpr209
.LBB71_284:
	s_and_not1_saveexec_b32 s1, s1
	s_cbranch_execz .LBB71_286
; %bb.285:
	v_div_scale_f32 v210, null, v208, v208, v209
	v_div_scale_f32 v213, vcc_lo, v209, v208, v209
	s_delay_alu instid0(VALU_DEP_2) | instskip(SKIP_1) | instid1(TRANS32_DEP_1)
	v_rcp_f32_e32 v211, v210
	v_nop
	v_fma_f32 v212, -v210, v211, 1.0
	s_delay_alu instid0(VALU_DEP_1) | instskip(NEXT) | instid1(VALU_DEP_1)
	v_fmac_f32_e32 v211, v212, v211
	v_mul_f32_e32 v212, v213, v211
	s_delay_alu instid0(VALU_DEP_1) | instskip(NEXT) | instid1(VALU_DEP_1)
	v_fma_f32 v214, -v210, v212, v213
	v_fmac_f32_e32 v212, v214, v211
	s_delay_alu instid0(VALU_DEP_1) | instskip(NEXT) | instid1(VALU_DEP_1)
	v_fma_f32 v210, -v210, v212, v213
	v_div_fmas_f32 v210, v210, v211, v212
	s_delay_alu instid0(VALU_DEP_1) | instskip(NEXT) | instid1(VALU_DEP_1)
	v_div_fixup_f32 v211, v210, v208, v209
	v_fmac_f32_e32 v208, v209, v211
	s_delay_alu instid0(VALU_DEP_1) | instskip(NEXT) | instid1(VALU_DEP_1)
	v_div_scale_f32 v209, null, v208, v208, 1.0
	v_rcp_f32_e32 v210, v209
	v_nop
	s_delay_alu instid0(TRANS32_DEP_1) | instskip(NEXT) | instid1(VALU_DEP_1)
	v_fma_f32 v212, -v209, v210, 1.0
	v_fmac_f32_e32 v210, v212, v210
	v_div_scale_f32 v212, vcc_lo, 1.0, v208, 1.0
	s_delay_alu instid0(VALU_DEP_1) | instskip(NEXT) | instid1(VALU_DEP_1)
	v_mul_f32_e32 v213, v212, v210
	v_fma_f32 v214, -v209, v213, v212
	s_delay_alu instid0(VALU_DEP_1) | instskip(NEXT) | instid1(VALU_DEP_1)
	v_fmac_f32_e32 v213, v214, v210
	v_fma_f32 v209, -v209, v213, v212
	s_delay_alu instid0(VALU_DEP_1) | instskip(NEXT) | instid1(VALU_DEP_1)
	v_div_fmas_f32 v209, v209, v210, v213
	v_div_fixup_f32 v210, v209, v208, 1.0
	s_delay_alu instid0(VALU_DEP_1)
	v_mul_f32_e64 v211, v211, -v210
.LBB71_286:
	s_or_b32 exec_lo, exec_lo, s1
	ds_store_b64 v219, v[210:211]
.LBB71_287:
	s_or_b32 exec_lo, exec_lo, s2
	s_wait_dscnt 0x0
	s_barrier_signal -1
	s_barrier_wait -1
	ds_load_b64 v[208:209], v219
	s_mov_b32 s1, exec_lo
	v_cmpx_lt_u32_e32 31, v218
	s_cbranch_execz .LBB71_289
; %bb.288:
	ds_load_2addr_b64 v[210:213], v220 offset0:32 offset1:33
	ds_load_2addr_b64 v[214:217], v220 offset0:34 offset1:35
	s_wait_dscnt 0x2
	v_pk_mul_f32 v[222:223], v[208:209], v[118:119] op_sel:[1,1] op_sel_hi:[0,1]
	s_delay_alu instid0(VALU_DEP_1) | instskip(SKIP_1) | instid1(VALU_DEP_1)
	v_pk_fma_f32 v[224:225], v[208:209], v[118:119], v[222:223] op_sel_hi:[1,0,1] neg_lo:[0,0,1] neg_hi:[0,0,1]
	v_pk_fma_f32 v[222:223], v[208:209], v[118:119], v[222:223] op_sel_hi:[1,0,1]
	v_dual_mov_b32 v118, v224 :: v_dual_mov_b32 v119, v223
	s_wait_dscnt 0x1
	s_delay_alu instid0(VALU_DEP_2)
	v_pk_mul_f32 v[226:227], v[210:211], v[222:223] op_sel:[0,1]
	s_wait_dscnt 0x0
	v_mov_b32_e32 v228, v217
	v_pk_mul_f32 v[230:231], v[212:213], v[222:223] op_sel:[0,1]
	v_pk_mul_f32 v[232:233], v[214:215], v[222:223] op_sel:[0,1]
	v_pk_fma_f32 v[234:235], v[210:211], v[224:225], v[226:227] op_sel:[0,0,1] op_sel_hi:[1,1,0] neg_lo:[0,0,1] neg_hi:[0,0,1]
	v_pk_fma_f32 v[210:211], v[210:211], v[224:225], v[226:227] op_sel:[0,0,1] op_sel_hi:[1,0,0]
	s_delay_alu instid0(VALU_DEP_1) | instskip(NEXT) | instid1(VALU_DEP_1)
	v_dual_mov_b32 v229, v216 :: v_dual_mov_b32 v235, v211
	v_pk_mul_f32 v[226:227], v[228:229], v[222:223] op_sel:[0,1]
	v_pk_fma_f32 v[228:229], v[212:213], v[224:225], v[230:231] op_sel:[0,0,1] op_sel_hi:[1,0,0]
	v_pk_fma_f32 v[212:213], v[212:213], v[224:225], v[230:231] op_sel:[0,0,1] op_sel_hi:[1,1,0] neg_lo:[0,0,1] neg_hi:[0,0,1]
	v_pk_fma_f32 v[230:231], v[214:215], v[224:225], v[232:233] op_sel:[0,0,1] op_sel_hi:[1,0,0]
	v_pk_fma_f32 v[214:215], v[214:215], v[224:225], v[232:233] op_sel:[0,0,1] op_sel_hi:[1,1,0] neg_lo:[0,0,1] neg_hi:[0,0,1]
	v_pk_fma_f32 v[210:211], v[216:217], v[224:225], v[226:227] op_sel_hi:[1,0,1]
	v_pk_fma_f32 v[216:217], v[216:217], v[224:225], v[226:227] neg_lo:[0,0,1] neg_hi:[0,0,1]
	s_delay_alu instid0(VALU_DEP_4) | instskip(SKIP_1) | instid1(VALU_DEP_4)
	v_dual_mov_b32 v213, v229 :: v_dual_mov_b32 v215, v231
	v_pk_add_f32 v[136:137], v[136:137], v[234:235] neg_lo:[0,1] neg_hi:[0,1]
	v_mov_b32_e32 v217, v211
	s_delay_alu instid0(VALU_DEP_3) | instskip(NEXT) | instid1(VALU_DEP_4)
	v_pk_add_f32 v[134:135], v[134:135], v[212:213] neg_lo:[0,1] neg_hi:[0,1]
	v_pk_add_f32 v[132:133], v[132:133], v[214:215] neg_lo:[0,1] neg_hi:[0,1]
	s_delay_alu instid0(VALU_DEP_3)
	v_pk_add_f32 v[142:143], v[142:143], v[216:217] neg_lo:[0,1] neg_hi:[0,1]
.LBB71_289:
	s_or_b32 exec_lo, exec_lo, s1
	s_delay_alu instid0(SALU_CYCLE_1)
	s_mov_b32 s2, exec_lo
	s_wait_dscnt 0x0
	s_barrier_signal -1
	s_barrier_wait -1
	v_cmpx_eq_u32_e32 32, v218
	s_cbranch_execz .LBB71_296
; %bb.290:
	ds_store_b64 v219, v[136:137]
	ds_store_2addr_b64 v220, v[134:135], v[132:133] offset0:33 offset1:34
	ds_store_b64 v220, v[142:143] offset:280
	ds_load_b64 v[210:211], v219
	s_wait_dscnt 0x0
	v_cmp_neq_f32_e32 vcc_lo, 0, v210
	v_cmp_neq_f32_e64 s1, 0, v211
	s_or_b32 s1, vcc_lo, s1
	s_delay_alu instid0(SALU_CYCLE_1)
	s_and_b32 exec_lo, exec_lo, s1
	s_cbranch_execz .LBB71_296
; %bb.291:
	v_cmp_ngt_f32_e64 s1, |v210|, |v211|
                                        ; implicit-def: $vgpr212_vgpr213
	s_and_saveexec_b32 s4, s1
	s_delay_alu instid0(SALU_CYCLE_1)
	s_xor_b32 s1, exec_lo, s4
	s_cbranch_execz .LBB71_293
; %bb.292:
	v_div_scale_f32 v212, null, v211, v211, v210
	v_div_scale_f32 v215, vcc_lo, v210, v211, v210
	s_delay_alu instid0(VALU_DEP_2) | instskip(SKIP_1) | instid1(TRANS32_DEP_1)
	v_rcp_f32_e32 v213, v212
	v_nop
	v_fma_f32 v214, -v212, v213, 1.0
	s_delay_alu instid0(VALU_DEP_1) | instskip(NEXT) | instid1(VALU_DEP_1)
	v_fmac_f32_e32 v213, v214, v213
	v_mul_f32_e32 v214, v215, v213
	s_delay_alu instid0(VALU_DEP_1) | instskip(NEXT) | instid1(VALU_DEP_1)
	v_fma_f32 v216, -v212, v214, v215
	v_fmac_f32_e32 v214, v216, v213
	s_delay_alu instid0(VALU_DEP_1) | instskip(NEXT) | instid1(VALU_DEP_1)
	v_fma_f32 v212, -v212, v214, v215
	v_div_fmas_f32 v212, v212, v213, v214
	s_delay_alu instid0(VALU_DEP_1) | instskip(NEXT) | instid1(VALU_DEP_1)
	v_div_fixup_f32 v212, v212, v211, v210
	v_fmac_f32_e32 v211, v210, v212
	s_delay_alu instid0(VALU_DEP_1) | instskip(SKIP_1) | instid1(VALU_DEP_2)
	v_div_scale_f32 v210, null, v211, v211, 1.0
	v_div_scale_f32 v215, vcc_lo, 1.0, v211, 1.0
	v_rcp_f32_e32 v213, v210
	v_nop
	s_delay_alu instid0(TRANS32_DEP_1) | instskip(NEXT) | instid1(VALU_DEP_1)
	v_fma_f32 v214, -v210, v213, 1.0
	v_fmac_f32_e32 v213, v214, v213
	s_delay_alu instid0(VALU_DEP_1) | instskip(NEXT) | instid1(VALU_DEP_1)
	v_mul_f32_e32 v214, v215, v213
	v_fma_f32 v216, -v210, v214, v215
	s_delay_alu instid0(VALU_DEP_1) | instskip(NEXT) | instid1(VALU_DEP_1)
	v_fmac_f32_e32 v214, v216, v213
	v_fma_f32 v210, -v210, v214, v215
	s_delay_alu instid0(VALU_DEP_1) | instskip(NEXT) | instid1(VALU_DEP_1)
	v_div_fmas_f32 v210, v210, v213, v214
	v_div_fixup_f32 v210, v210, v211, 1.0
	s_delay_alu instid0(VALU_DEP_1)
	v_mul_f32_e32 v212, v212, v210
	v_xor_b32_e32 v213, 0x80000000, v210
                                        ; implicit-def: $vgpr210_vgpr211
.LBB71_293:
	s_and_not1_saveexec_b32 s1, s1
	s_cbranch_execz .LBB71_295
; %bb.294:
	v_div_scale_f32 v212, null, v210, v210, v211
	v_div_scale_f32 v215, vcc_lo, v211, v210, v211
	s_delay_alu instid0(VALU_DEP_2) | instskip(SKIP_1) | instid1(TRANS32_DEP_1)
	v_rcp_f32_e32 v213, v212
	v_nop
	v_fma_f32 v214, -v212, v213, 1.0
	s_delay_alu instid0(VALU_DEP_1) | instskip(NEXT) | instid1(VALU_DEP_1)
	v_fmac_f32_e32 v213, v214, v213
	v_mul_f32_e32 v214, v215, v213
	s_delay_alu instid0(VALU_DEP_1) | instskip(NEXT) | instid1(VALU_DEP_1)
	v_fma_f32 v216, -v212, v214, v215
	v_fmac_f32_e32 v214, v216, v213
	s_delay_alu instid0(VALU_DEP_1) | instskip(NEXT) | instid1(VALU_DEP_1)
	v_fma_f32 v212, -v212, v214, v215
	v_div_fmas_f32 v212, v212, v213, v214
	s_delay_alu instid0(VALU_DEP_1) | instskip(NEXT) | instid1(VALU_DEP_1)
	v_div_fixup_f32 v213, v212, v210, v211
	v_fmac_f32_e32 v210, v211, v213
	s_delay_alu instid0(VALU_DEP_1) | instskip(NEXT) | instid1(VALU_DEP_1)
	v_div_scale_f32 v211, null, v210, v210, 1.0
	v_rcp_f32_e32 v212, v211
	v_nop
	s_delay_alu instid0(TRANS32_DEP_1) | instskip(NEXT) | instid1(VALU_DEP_1)
	v_fma_f32 v214, -v211, v212, 1.0
	v_fmac_f32_e32 v212, v214, v212
	v_div_scale_f32 v214, vcc_lo, 1.0, v210, 1.0
	s_delay_alu instid0(VALU_DEP_1) | instskip(NEXT) | instid1(VALU_DEP_1)
	v_mul_f32_e32 v215, v214, v212
	v_fma_f32 v216, -v211, v215, v214
	s_delay_alu instid0(VALU_DEP_1) | instskip(NEXT) | instid1(VALU_DEP_1)
	v_fmac_f32_e32 v215, v216, v212
	v_fma_f32 v211, -v211, v215, v214
	s_delay_alu instid0(VALU_DEP_1) | instskip(NEXT) | instid1(VALU_DEP_1)
	v_div_fmas_f32 v211, v211, v212, v215
	v_div_fixup_f32 v212, v211, v210, 1.0
	s_delay_alu instid0(VALU_DEP_1)
	v_mul_f32_e64 v213, v213, -v212
.LBB71_295:
	s_or_b32 exec_lo, exec_lo, s1
	ds_store_b64 v219, v[212:213]
.LBB71_296:
	s_or_b32 exec_lo, exec_lo, s2
	s_wait_dscnt 0x0
	s_barrier_signal -1
	s_barrier_wait -1
	ds_load_b64 v[210:211], v219
	s_mov_b32 s1, exec_lo
	v_cmpx_lt_u32_e32 32, v218
	s_cbranch_execz .LBB71_298
; %bb.297:
	ds_load_2addr_b64 v[212:215], v220 offset0:33 offset1:34
	ds_load_b64 v[216:217], v220 offset:280
	s_wait_dscnt 0x2
	v_pk_mul_f32 v[222:223], v[210:211], v[136:137] op_sel:[1,1] op_sel_hi:[0,1]
	s_delay_alu instid0(VALU_DEP_1) | instskip(SKIP_2) | instid1(VALU_DEP_2)
	v_pk_fma_f32 v[224:225], v[210:211], v[136:137], v[222:223] op_sel_hi:[1,0,1]
	v_pk_fma_f32 v[136:137], v[210:211], v[136:137], v[222:223] op_sel_hi:[1,0,1] neg_lo:[0,0,1] neg_hi:[0,0,1]
	s_wait_dscnt 0x1
	v_pk_mul_f32 v[222:223], v[212:213], v[224:225] op_sel:[0,1]
	v_pk_mul_f32 v[226:227], v[214:215], v[224:225] op_sel:[0,1]
	s_wait_dscnt 0x0
	v_pk_mul_f32 v[228:229], v[216:217], v[224:225] op_sel:[1,1] op_sel_hi:[0,1]
	s_delay_alu instid0(VALU_DEP_3) | instskip(SKIP_2) | instid1(VALU_DEP_4)
	v_pk_fma_f32 v[230:231], v[212:213], v[136:137], v[222:223] op_sel:[0,0,1] op_sel_hi:[1,1,0] neg_lo:[0,0,1] neg_hi:[0,0,1]
	v_pk_fma_f32 v[212:213], v[212:213], v[136:137], v[222:223] op_sel:[0,0,1] op_sel_hi:[1,0,0]
	v_pk_fma_f32 v[222:223], v[214:215], v[136:137], v[226:227] op_sel:[0,0,1] op_sel_hi:[1,0,0]
	v_pk_fma_f32 v[232:233], v[216:217], v[136:137], v[228:229] op_sel_hi:[1,0,1]
	v_pk_fma_f32 v[214:215], v[214:215], v[136:137], v[226:227] op_sel:[0,0,1] op_sel_hi:[1,1,0] neg_lo:[0,0,1] neg_hi:[0,0,1]
	v_pk_fma_f32 v[216:217], v[216:217], v[136:137], v[228:229] neg_lo:[0,0,1] neg_hi:[0,0,1]
	s_delay_alu instid0(VALU_DEP_4) | instskip(NEXT) | instid1(VALU_DEP_4)
	v_dual_mov_b32 v231, v213 :: v_dual_mov_b32 v215, v223
	v_dual_mov_b32 v217, v233 :: v_dual_mov_b32 v137, v225
	s_delay_alu instid0(VALU_DEP_2) | instskip(NEXT) | instid1(VALU_DEP_3)
	v_pk_add_f32 v[134:135], v[134:135], v[230:231] neg_lo:[0,1] neg_hi:[0,1]
	v_pk_add_f32 v[132:133], v[132:133], v[214:215] neg_lo:[0,1] neg_hi:[0,1]
	s_delay_alu instid0(VALU_DEP_3)
	v_pk_add_f32 v[142:143], v[142:143], v[216:217] neg_lo:[0,1] neg_hi:[0,1]
.LBB71_298:
	s_or_b32 exec_lo, exec_lo, s1
	s_delay_alu instid0(SALU_CYCLE_1)
	s_mov_b32 s2, exec_lo
	s_wait_dscnt 0x0
	s_barrier_signal -1
	s_barrier_wait -1
	v_cmpx_eq_u32_e32 33, v218
	s_cbranch_execz .LBB71_305
; %bb.299:
	v_dual_mov_b32 v212, v132 :: v_dual_mov_b32 v213, v133
	ds_store_b64 v219, v[134:135]
	ds_store_2addr_b64 v220, v[212:213], v[142:143] offset0:34 offset1:35
	ds_load_b64 v[212:213], v219
	s_wait_dscnt 0x0
	v_cmp_neq_f32_e32 vcc_lo, 0, v212
	v_cmp_neq_f32_e64 s1, 0, v213
	s_or_b32 s1, vcc_lo, s1
	s_delay_alu instid0(SALU_CYCLE_1)
	s_and_b32 exec_lo, exec_lo, s1
	s_cbranch_execz .LBB71_305
; %bb.300:
	v_cmp_ngt_f32_e64 s1, |v212|, |v213|
                                        ; implicit-def: $vgpr214_vgpr215
	s_and_saveexec_b32 s4, s1
	s_delay_alu instid0(SALU_CYCLE_1)
	s_xor_b32 s1, exec_lo, s4
	s_cbranch_execz .LBB71_302
; %bb.301:
	v_div_scale_f32 v214, null, v213, v213, v212
	v_div_scale_f32 v217, vcc_lo, v212, v213, v212
	s_delay_alu instid0(VALU_DEP_2) | instskip(SKIP_1) | instid1(TRANS32_DEP_1)
	v_rcp_f32_e32 v215, v214
	v_nop
	v_fma_f32 v216, -v214, v215, 1.0
	s_delay_alu instid0(VALU_DEP_1) | instskip(NEXT) | instid1(VALU_DEP_1)
	v_fmac_f32_e32 v215, v216, v215
	v_mul_f32_e32 v216, v217, v215
	s_delay_alu instid0(VALU_DEP_1) | instskip(NEXT) | instid1(VALU_DEP_1)
	v_fma_f32 v221, -v214, v216, v217
	v_fmac_f32_e32 v216, v221, v215
	s_delay_alu instid0(VALU_DEP_1) | instskip(NEXT) | instid1(VALU_DEP_1)
	v_fma_f32 v214, -v214, v216, v217
	v_div_fmas_f32 v214, v214, v215, v216
	s_delay_alu instid0(VALU_DEP_1) | instskip(NEXT) | instid1(VALU_DEP_1)
	v_div_fixup_f32 v214, v214, v213, v212
	v_fmac_f32_e32 v213, v212, v214
	s_delay_alu instid0(VALU_DEP_1) | instskip(SKIP_1) | instid1(VALU_DEP_2)
	v_div_scale_f32 v212, null, v213, v213, 1.0
	v_div_scale_f32 v217, vcc_lo, 1.0, v213, 1.0
	v_rcp_f32_e32 v215, v212
	v_nop
	s_delay_alu instid0(TRANS32_DEP_1) | instskip(NEXT) | instid1(VALU_DEP_1)
	v_fma_f32 v216, -v212, v215, 1.0
	v_fmac_f32_e32 v215, v216, v215
	s_delay_alu instid0(VALU_DEP_1) | instskip(NEXT) | instid1(VALU_DEP_1)
	v_mul_f32_e32 v216, v217, v215
	v_fma_f32 v221, -v212, v216, v217
	s_delay_alu instid0(VALU_DEP_1) | instskip(NEXT) | instid1(VALU_DEP_1)
	v_fmac_f32_e32 v216, v221, v215
	v_fma_f32 v212, -v212, v216, v217
	s_delay_alu instid0(VALU_DEP_1) | instskip(NEXT) | instid1(VALU_DEP_1)
	v_div_fmas_f32 v212, v212, v215, v216
	v_div_fixup_f32 v212, v212, v213, 1.0
	s_delay_alu instid0(VALU_DEP_1)
	v_mul_f32_e32 v214, v214, v212
	v_xor_b32_e32 v215, 0x80000000, v212
                                        ; implicit-def: $vgpr212_vgpr213
.LBB71_302:
	s_and_not1_saveexec_b32 s1, s1
	s_cbranch_execz .LBB71_304
; %bb.303:
	v_div_scale_f32 v214, null, v212, v212, v213
	v_div_scale_f32 v217, vcc_lo, v213, v212, v213
	s_delay_alu instid0(VALU_DEP_2) | instskip(SKIP_1) | instid1(TRANS32_DEP_1)
	v_rcp_f32_e32 v215, v214
	v_nop
	v_fma_f32 v216, -v214, v215, 1.0
	s_delay_alu instid0(VALU_DEP_1) | instskip(NEXT) | instid1(VALU_DEP_1)
	v_fmac_f32_e32 v215, v216, v215
	v_mul_f32_e32 v216, v217, v215
	s_delay_alu instid0(VALU_DEP_1) | instskip(NEXT) | instid1(VALU_DEP_1)
	v_fma_f32 v221, -v214, v216, v217
	v_fmac_f32_e32 v216, v221, v215
	s_delay_alu instid0(VALU_DEP_1) | instskip(NEXT) | instid1(VALU_DEP_1)
	v_fma_f32 v214, -v214, v216, v217
	v_div_fmas_f32 v214, v214, v215, v216
	s_delay_alu instid0(VALU_DEP_1) | instskip(NEXT) | instid1(VALU_DEP_1)
	v_div_fixup_f32 v215, v214, v212, v213
	v_fmac_f32_e32 v212, v213, v215
	s_delay_alu instid0(VALU_DEP_1) | instskip(NEXT) | instid1(VALU_DEP_1)
	v_div_scale_f32 v213, null, v212, v212, 1.0
	v_rcp_f32_e32 v214, v213
	v_nop
	s_delay_alu instid0(TRANS32_DEP_1) | instskip(NEXT) | instid1(VALU_DEP_1)
	v_fma_f32 v216, -v213, v214, 1.0
	v_fmac_f32_e32 v214, v216, v214
	v_div_scale_f32 v216, vcc_lo, 1.0, v212, 1.0
	s_delay_alu instid0(VALU_DEP_1) | instskip(NEXT) | instid1(VALU_DEP_1)
	v_mul_f32_e32 v217, v216, v214
	v_fma_f32 v221, -v213, v217, v216
	s_delay_alu instid0(VALU_DEP_1) | instskip(NEXT) | instid1(VALU_DEP_1)
	v_fmac_f32_e32 v217, v221, v214
	v_fma_f32 v213, -v213, v217, v216
	s_delay_alu instid0(VALU_DEP_1) | instskip(NEXT) | instid1(VALU_DEP_1)
	v_div_fmas_f32 v213, v213, v214, v217
	v_div_fixup_f32 v214, v213, v212, 1.0
	s_delay_alu instid0(VALU_DEP_1)
	v_mul_f32_e64 v215, v215, -v214
.LBB71_304:
	s_or_b32 exec_lo, exec_lo, s1
	ds_store_b64 v219, v[214:215]
.LBB71_305:
	s_or_b32 exec_lo, exec_lo, s2
	s_wait_dscnt 0x0
	s_barrier_signal -1
	s_barrier_wait -1
	ds_load_b64 v[212:213], v219
	s_mov_b32 s1, exec_lo
	v_cmpx_lt_u32_e32 33, v218
	s_cbranch_execz .LBB71_307
; %bb.306:
	ds_load_2addr_b64 v[214:217], v220 offset0:34 offset1:35
	s_wait_dscnt 0x1
	v_pk_mul_f32 v[222:223], v[212:213], v[134:135] op_sel:[1,1] op_sel_hi:[0,1]
	s_delay_alu instid0(VALU_DEP_1) | instskip(SKIP_3) | instid1(VALU_DEP_3)
	v_pk_fma_f32 v[224:225], v[212:213], v[134:135], v[222:223] op_sel_hi:[1,0,1]
	v_pk_fma_f32 v[134:135], v[212:213], v[134:135], v[222:223] op_sel_hi:[1,0,1] neg_lo:[0,0,1] neg_hi:[0,0,1]
	s_wait_dscnt 0x0
	v_dual_mov_b32 v226, v217 :: v_dual_mov_b32 v227, v216
	v_pk_mul_f32 v[222:223], v[214:215], v[224:225] op_sel:[0,1]
	s_delay_alu instid0(VALU_DEP_2) | instskip(NEXT) | instid1(VALU_DEP_2)
	v_pk_mul_f32 v[226:227], v[226:227], v[224:225] op_sel:[0,1]
	v_pk_fma_f32 v[228:229], v[214:215], v[134:135], v[222:223] op_sel:[0,0,1] op_sel_hi:[1,0,0]
	v_pk_fma_f32 v[214:215], v[214:215], v[134:135], v[222:223] op_sel:[0,0,1] op_sel_hi:[1,1,0] neg_lo:[0,0,1] neg_hi:[0,0,1]
	s_delay_alu instid0(VALU_DEP_3) | instskip(SKIP_1) | instid1(VALU_DEP_4)
	v_pk_fma_f32 v[230:231], v[216:217], v[134:135], v[226:227] op_sel_hi:[1,0,1]
	v_pk_fma_f32 v[216:217], v[216:217], v[134:135], v[226:227] neg_lo:[0,0,1] neg_hi:[0,0,1]
	v_dual_mov_b32 v215, v229 :: v_dual_mov_b32 v135, v225
	s_delay_alu instid0(VALU_DEP_3) | instskip(NEXT) | instid1(VALU_DEP_2)
	v_mov_b32_e32 v217, v231
	v_pk_add_f32 v[132:133], v[132:133], v[214:215] neg_lo:[0,1] neg_hi:[0,1]
	s_delay_alu instid0(VALU_DEP_2)
	v_pk_add_f32 v[142:143], v[142:143], v[216:217] neg_lo:[0,1] neg_hi:[0,1]
.LBB71_307:
	s_or_b32 exec_lo, exec_lo, s1
	s_delay_alu instid0(SALU_CYCLE_1)
	s_mov_b32 s2, exec_lo
	s_wait_dscnt 0x0
	s_barrier_signal -1
	s_barrier_wait -1
	v_cmpx_eq_u32_e32 34, v218
	s_cbranch_execz .LBB71_314
; %bb.308:
	ds_store_b64 v219, v[132:133]
	ds_store_b64 v220, v[142:143] offset:280
	ds_load_b64 v[214:215], v219
	s_wait_dscnt 0x0
	v_cmp_neq_f32_e32 vcc_lo, 0, v214
	v_cmp_neq_f32_e64 s1, 0, v215
	s_or_b32 s1, vcc_lo, s1
	s_delay_alu instid0(SALU_CYCLE_1)
	s_and_b32 exec_lo, exec_lo, s1
	s_cbranch_execz .LBB71_314
; %bb.309:
	v_cmp_ngt_f32_e64 s1, |v214|, |v215|
                                        ; implicit-def: $vgpr216_vgpr217
	s_and_saveexec_b32 s4, s1
	s_delay_alu instid0(SALU_CYCLE_1)
	s_xor_b32 s1, exec_lo, s4
	s_cbranch_execz .LBB71_311
; %bb.310:
	v_div_scale_f32 v216, null, v215, v215, v214
	v_div_scale_f32 v222, vcc_lo, v214, v215, v214
	s_delay_alu instid0(VALU_DEP_2) | instskip(SKIP_1) | instid1(TRANS32_DEP_1)
	v_rcp_f32_e32 v217, v216
	v_nop
	v_fma_f32 v221, -v216, v217, 1.0
	s_delay_alu instid0(VALU_DEP_1) | instskip(NEXT) | instid1(VALU_DEP_1)
	v_fmac_f32_e32 v217, v221, v217
	v_mul_f32_e32 v221, v222, v217
	s_delay_alu instid0(VALU_DEP_1) | instskip(NEXT) | instid1(VALU_DEP_1)
	v_fma_f32 v223, -v216, v221, v222
	v_fmac_f32_e32 v221, v223, v217
	s_delay_alu instid0(VALU_DEP_1) | instskip(NEXT) | instid1(VALU_DEP_1)
	v_fma_f32 v216, -v216, v221, v222
	v_div_fmas_f32 v216, v216, v217, v221
	s_delay_alu instid0(VALU_DEP_1) | instskip(NEXT) | instid1(VALU_DEP_1)
	v_div_fixup_f32 v216, v216, v215, v214
	v_fmac_f32_e32 v215, v214, v216
	s_delay_alu instid0(VALU_DEP_1) | instskip(SKIP_1) | instid1(VALU_DEP_2)
	v_div_scale_f32 v214, null, v215, v215, 1.0
	v_div_scale_f32 v222, vcc_lo, 1.0, v215, 1.0
	v_rcp_f32_e32 v217, v214
	v_nop
	s_delay_alu instid0(TRANS32_DEP_1) | instskip(NEXT) | instid1(VALU_DEP_1)
	v_fma_f32 v221, -v214, v217, 1.0
	v_fmac_f32_e32 v217, v221, v217
	s_delay_alu instid0(VALU_DEP_1) | instskip(NEXT) | instid1(VALU_DEP_1)
	v_mul_f32_e32 v221, v222, v217
	v_fma_f32 v223, -v214, v221, v222
	s_delay_alu instid0(VALU_DEP_1) | instskip(NEXT) | instid1(VALU_DEP_1)
	v_fmac_f32_e32 v221, v223, v217
	v_fma_f32 v214, -v214, v221, v222
	s_delay_alu instid0(VALU_DEP_1) | instskip(NEXT) | instid1(VALU_DEP_1)
	v_div_fmas_f32 v214, v214, v217, v221
	v_div_fixup_f32 v214, v214, v215, 1.0
	s_delay_alu instid0(VALU_DEP_1)
	v_mul_f32_e32 v216, v216, v214
	v_xor_b32_e32 v217, 0x80000000, v214
                                        ; implicit-def: $vgpr214_vgpr215
.LBB71_311:
	s_and_not1_saveexec_b32 s1, s1
	s_cbranch_execz .LBB71_313
; %bb.312:
	v_div_scale_f32 v216, null, v214, v214, v215
	v_div_scale_f32 v222, vcc_lo, v215, v214, v215
	s_delay_alu instid0(VALU_DEP_2) | instskip(SKIP_1) | instid1(TRANS32_DEP_1)
	v_rcp_f32_e32 v217, v216
	v_nop
	v_fma_f32 v221, -v216, v217, 1.0
	s_delay_alu instid0(VALU_DEP_1) | instskip(NEXT) | instid1(VALU_DEP_1)
	v_fmac_f32_e32 v217, v221, v217
	v_mul_f32_e32 v221, v222, v217
	s_delay_alu instid0(VALU_DEP_1) | instskip(NEXT) | instid1(VALU_DEP_1)
	v_fma_f32 v223, -v216, v221, v222
	v_fmac_f32_e32 v221, v223, v217
	s_delay_alu instid0(VALU_DEP_1) | instskip(NEXT) | instid1(VALU_DEP_1)
	v_fma_f32 v216, -v216, v221, v222
	v_div_fmas_f32 v216, v216, v217, v221
	s_delay_alu instid0(VALU_DEP_1) | instskip(NEXT) | instid1(VALU_DEP_1)
	v_div_fixup_f32 v217, v216, v214, v215
	v_fmac_f32_e32 v214, v215, v217
	s_delay_alu instid0(VALU_DEP_1) | instskip(NEXT) | instid1(VALU_DEP_1)
	v_div_scale_f32 v215, null, v214, v214, 1.0
	v_rcp_f32_e32 v216, v215
	v_nop
	s_delay_alu instid0(TRANS32_DEP_1) | instskip(NEXT) | instid1(VALU_DEP_1)
	v_fma_f32 v221, -v215, v216, 1.0
	v_fmac_f32_e32 v216, v221, v216
	v_div_scale_f32 v221, vcc_lo, 1.0, v214, 1.0
	s_delay_alu instid0(VALU_DEP_1) | instskip(NEXT) | instid1(VALU_DEP_1)
	v_mul_f32_e32 v222, v221, v216
	v_fma_f32 v223, -v215, v222, v221
	s_delay_alu instid0(VALU_DEP_1) | instskip(NEXT) | instid1(VALU_DEP_1)
	v_fmac_f32_e32 v222, v223, v216
	v_fma_f32 v215, -v215, v222, v221
	s_delay_alu instid0(VALU_DEP_1) | instskip(NEXT) | instid1(VALU_DEP_1)
	v_div_fmas_f32 v215, v215, v216, v222
	v_div_fixup_f32 v216, v215, v214, 1.0
	s_delay_alu instid0(VALU_DEP_1)
	v_mul_f32_e64 v217, v217, -v216
.LBB71_313:
	s_or_b32 exec_lo, exec_lo, s1
	ds_store_b64 v219, v[216:217]
.LBB71_314:
	s_or_b32 exec_lo, exec_lo, s2
	s_wait_dscnt 0x0
	s_barrier_signal -1
	s_barrier_wait -1
	ds_load_b64 v[214:215], v219
	s_mov_b32 s1, exec_lo
	v_cmpx_lt_u32_e32 34, v218
	s_cbranch_execz .LBB71_316
; %bb.315:
	ds_load_b64 v[216:217], v220 offset:280
	s_wait_dscnt 0x1
	v_pk_mul_f32 v[220:221], v[214:215], v[132:133] op_sel:[1,1] op_sel_hi:[0,1]
	s_delay_alu instid0(VALU_DEP_1) | instskip(SKIP_2) | instid1(VALU_DEP_2)
	v_pk_fma_f32 v[222:223], v[214:215], v[132:133], v[220:221] op_sel_hi:[1,0,1]
	v_pk_fma_f32 v[132:133], v[214:215], v[132:133], v[220:221] op_sel_hi:[1,0,1] neg_lo:[0,0,1] neg_hi:[0,0,1]
	s_wait_dscnt 0x0
	v_pk_mul_f32 v[220:221], v[216:217], v[222:223] op_sel:[1,1] op_sel_hi:[0,1]
	s_delay_alu instid0(VALU_DEP_1) | instskip(SKIP_1) | instid1(VALU_DEP_2)
	v_pk_fma_f32 v[224:225], v[216:217], v[132:133], v[220:221] op_sel_hi:[1,0,1]
	v_pk_fma_f32 v[216:217], v[216:217], v[132:133], v[220:221] neg_lo:[0,0,1] neg_hi:[0,0,1]
	v_dual_mov_b32 v133, v223 :: v_dual_mov_b32 v217, v225
	s_delay_alu instid0(VALU_DEP_1)
	v_pk_add_f32 v[142:143], v[142:143], v[216:217] neg_lo:[0,1] neg_hi:[0,1]
.LBB71_316:
	s_or_b32 exec_lo, exec_lo, s1
	s_delay_alu instid0(SALU_CYCLE_1)
	s_mov_b32 s2, exec_lo
	s_wait_dscnt 0x0
	s_barrier_signal -1
	s_barrier_wait -1
	v_cmpx_eq_u32_e32 35, v218
	s_cbranch_execz .LBB71_323
; %bb.317:
	v_cmp_neq_f32_e32 vcc_lo, 0, v142
	v_cmp_neq_f32_e64 s1, 0, v143
	ds_store_b64 v219, v[142:143]
	s_or_b32 s1, vcc_lo, s1
	s_delay_alu instid0(SALU_CYCLE_1)
	s_and_b32 exec_lo, exec_lo, s1
	s_cbranch_execz .LBB71_323
; %bb.318:
	v_cmp_ngt_f32_e64 s1, |v142|, |v143|
                                        ; implicit-def: $vgpr216_vgpr217
	s_and_saveexec_b32 s4, s1
	s_delay_alu instid0(SALU_CYCLE_1)
	s_xor_b32 s1, exec_lo, s4
	s_cbranch_execz .LBB71_320
; %bb.319:
	v_div_scale_f32 v216, null, v143, v143, v142
	v_div_scale_f32 v221, vcc_lo, v142, v143, v142
	s_delay_alu instid0(VALU_DEP_2) | instskip(SKIP_1) | instid1(TRANS32_DEP_1)
	v_rcp_f32_e32 v217, v216
	v_nop
	v_fma_f32 v220, -v216, v217, 1.0
	s_delay_alu instid0(VALU_DEP_1) | instskip(NEXT) | instid1(VALU_DEP_1)
	v_fmac_f32_e32 v217, v220, v217
	v_mul_f32_e32 v220, v221, v217
	s_delay_alu instid0(VALU_DEP_1) | instskip(NEXT) | instid1(VALU_DEP_1)
	v_fma_f32 v222, -v216, v220, v221
	v_fmac_f32_e32 v220, v222, v217
	s_delay_alu instid0(VALU_DEP_1) | instskip(NEXT) | instid1(VALU_DEP_1)
	v_fma_f32 v216, -v216, v220, v221
	v_div_fmas_f32 v216, v216, v217, v220
	s_delay_alu instid0(VALU_DEP_1) | instskip(NEXT) | instid1(VALU_DEP_1)
	v_div_fixup_f32 v216, v216, v143, v142
	v_fma_f32 v217, v142, v216, v143
	s_delay_alu instid0(VALU_DEP_1) | instskip(SKIP_1) | instid1(VALU_DEP_2)
	v_div_scale_f32 v220, null, v217, v217, 1.0
	v_div_scale_f32 v223, vcc_lo, 1.0, v217, 1.0
	v_rcp_f32_e32 v221, v220
	v_nop
	s_delay_alu instid0(TRANS32_DEP_1) | instskip(NEXT) | instid1(VALU_DEP_1)
	v_fma_f32 v222, -v220, v221, 1.0
	v_fmac_f32_e32 v221, v222, v221
	s_delay_alu instid0(VALU_DEP_1) | instskip(NEXT) | instid1(VALU_DEP_1)
	v_mul_f32_e32 v222, v223, v221
	v_fma_f32 v224, -v220, v222, v223
	s_delay_alu instid0(VALU_DEP_1) | instskip(NEXT) | instid1(VALU_DEP_1)
	v_fmac_f32_e32 v222, v224, v221
	v_fma_f32 v220, -v220, v222, v223
	s_delay_alu instid0(VALU_DEP_1) | instskip(NEXT) | instid1(VALU_DEP_1)
	v_div_fmas_f32 v220, v220, v221, v222
	v_div_fixup_f32 v217, v220, v217, 1.0
	s_delay_alu instid0(VALU_DEP_1)
	v_mul_f32_e32 v216, v216, v217
	v_xor_b32_e32 v217, 0x80000000, v217
.LBB71_320:
	s_and_not1_saveexec_b32 s1, s1
	s_cbranch_execz .LBB71_322
; %bb.321:
	v_div_scale_f32 v216, null, v142, v142, v143
	v_div_scale_f32 v221, vcc_lo, v143, v142, v143
	s_delay_alu instid0(VALU_DEP_2) | instskip(SKIP_1) | instid1(TRANS32_DEP_1)
	v_rcp_f32_e32 v217, v216
	v_nop
	v_fma_f32 v220, -v216, v217, 1.0
	s_delay_alu instid0(VALU_DEP_1) | instskip(NEXT) | instid1(VALU_DEP_1)
	v_fmac_f32_e32 v217, v220, v217
	v_mul_f32_e32 v220, v221, v217
	s_delay_alu instid0(VALU_DEP_1) | instskip(NEXT) | instid1(VALU_DEP_1)
	v_fma_f32 v222, -v216, v220, v221
	v_fmac_f32_e32 v220, v222, v217
	s_delay_alu instid0(VALU_DEP_1) | instskip(NEXT) | instid1(VALU_DEP_1)
	v_fma_f32 v216, -v216, v220, v221
	v_div_fmas_f32 v216, v216, v217, v220
	s_delay_alu instid0(VALU_DEP_1) | instskip(NEXT) | instid1(VALU_DEP_1)
	v_div_fixup_f32 v217, v216, v142, v143
	v_fma_f32 v216, v143, v217, v142
	s_delay_alu instid0(VALU_DEP_1) | instskip(NEXT) | instid1(VALU_DEP_1)
	v_div_scale_f32 v220, null, v216, v216, 1.0
	v_rcp_f32_e32 v221, v220
	v_nop
	s_delay_alu instid0(TRANS32_DEP_1) | instskip(NEXT) | instid1(VALU_DEP_1)
	v_fma_f32 v222, -v220, v221, 1.0
	v_fmac_f32_e32 v221, v222, v221
	v_div_scale_f32 v222, vcc_lo, 1.0, v216, 1.0
	s_delay_alu instid0(VALU_DEP_1) | instskip(NEXT) | instid1(VALU_DEP_1)
	v_mul_f32_e32 v223, v222, v221
	v_fma_f32 v224, -v220, v223, v222
	s_delay_alu instid0(VALU_DEP_1) | instskip(NEXT) | instid1(VALU_DEP_1)
	v_fmac_f32_e32 v223, v224, v221
	v_fma_f32 v220, -v220, v223, v222
	s_delay_alu instid0(VALU_DEP_1) | instskip(NEXT) | instid1(VALU_DEP_1)
	v_div_fmas_f32 v220, v220, v221, v223
	v_div_fixup_f32 v216, v220, v216, 1.0
	s_delay_alu instid0(VALU_DEP_1)
	v_mul_f32_e64 v217, v217, -v216
.LBB71_322:
	s_or_b32 exec_lo, exec_lo, s1
	ds_store_b64 v219, v[216:217]
.LBB71_323:
	s_or_b32 exec_lo, exec_lo, s2
	s_wait_dscnt 0x0
	s_barrier_signal -1
	s_barrier_wait -1
	ds_load_b64 v[216:217], v219
	s_wait_dscnt 0x0
	s_barrier_signal -1
	s_barrier_wait -1
	s_and_saveexec_b32 s4, s0
	s_cbranch_execz .LBB71_326
; %bb.324:
	v_cmp_eq_f32_e32 vcc_lo, 0, v146
	v_cmp_eq_f32_e64 s0, 0, v147
	v_cmp_neq_f32_e64 s1, 0, v148
	v_cmp_neq_f32_e64 s2, 0, v149
	v_lshl_add_u64 v[2:3], v[2:3], 2, s[6:7]
	s_and_b32 s0, vcc_lo, s0
	s_delay_alu instid0(SALU_CYCLE_1)
	v_cndmask_b32_e64 v146, 0, 1, s0
	s_or_b32 s1, s1, s2
	global_load_b32 v147, v[2:3], off
	s_or_b32 vcc_lo, s1, s0
	v_cmp_eq_f32_e64 s0, 0, v151
	v_cndmask_b32_e32 v146, 2, v146, vcc_lo
	v_cmp_eq_f32_e32 vcc_lo, 0, v150
	s_delay_alu instid0(VALU_DEP_2) | instskip(SKIP_3) | instid1(SALU_CYCLE_1)
	v_cmp_eq_u32_e64 s1, 0, v146
	s_and_b32 s0, vcc_lo, s0
	v_cmp_eq_f32_e32 vcc_lo, 0, v152
	s_and_b32 s0, s0, s1
	v_cndmask_b32_e64 v146, v146, 3, s0
	v_cmp_eq_f32_e64 s0, 0, v153
	s_delay_alu instid0(VALU_DEP_2) | instskip(SKIP_3) | instid1(SALU_CYCLE_1)
	v_cmp_eq_u32_e64 s1, 0, v146
	s_and_b32 s0, vcc_lo, s0
	v_cmp_eq_f32_e32 vcc_lo, 0, v154
	s_and_b32 s0, s0, s1
	v_cndmask_b32_e64 v146, v146, 4, s0
	v_cmp_eq_f32_e64 s0, 0, v155
	;; [unrolled: 7-line block ×33, first 2 shown]
	s_delay_alu instid0(VALU_DEP_2) | instskip(SKIP_4) | instid1(SALU_CYCLE_1)
	v_cmp_eq_u32_e64 s1, 0, v146
	s_and_b32 s0, vcc_lo, s0
	s_wait_loadcnt 0x0
	v_cmp_eq_u32_e32 vcc_lo, 0, v147
	s_and_b32 s0, s0, s1
	v_cndmask_b32_e64 v146, v146, 36, s0
	s_delay_alu instid0(VALU_DEP_1) | instskip(SKIP_1) | instid1(SALU_CYCLE_1)
	v_cmp_ne_u32_e64 s0, 0, v146
	s_and_b32 s0, vcc_lo, s0
	s_and_b32 exec_lo, exec_lo, s0
	s_cbranch_execz .LBB71_326
; %bb.325:
	v_add_nc_u32_e32 v146, s3, v146
	global_store_b32 v[2:3], v146, off
.LBB71_326:
	s_wait_xcnt 0x0
	s_or_b32 exec_lo, exec_lo, s4
	v_pk_mul_f32 v[2:3], v[216:217], v[142:143] op_sel:[1,1] op_sel_hi:[0,1]
	s_clause 0x1
	global_store_b64 v[18:19], v[84:85], off
	global_store_b64 v[34:35], v[56:57], off
	v_cmp_lt_u32_e32 vcc_lo, 35, v218
	s_clause 0x2
	global_store_b64 v[6:7], v[48:49], off
	global_store_b64 v[12:13], v[46:47], off
	;; [unrolled: 1-line block ×3, first 2 shown]
	s_wait_xcnt 0x4
	v_pk_fma_f32 v[18:19], v[216:217], v[142:143], v[2:3] op_sel_hi:[1,0,1]
	v_pk_fma_f32 v[2:3], v[216:217], v[142:143], v[2:3] neg_lo:[0,0,1] neg_hi:[0,0,1]
	s_delay_alu instid0(VALU_DEP_1)
	v_dual_cndmask_b32 v3, v143, v19 :: v_dual_cndmask_b32 v2, v142, v2
	s_clause 0x1e
	global_store_b64 v[0:1], v[24:25], off
	global_store_b64 v[4:5], v[26:27], off
	;; [unrolled: 1-line block ×31, first 2 shown]
.LBB71_327:
	s_sendmsg sendmsg(MSG_DEALLOC_VGPRS)
	s_endpgm
	.section	.rodata,"a",@progbits
	.p2align	6, 0x0
	.amdhsa_kernel _ZN9rocsolver6v33100L23getf2_npvt_small_kernelILi36E19rocblas_complex_numIfEiiPS3_EEvT1_T3_lS5_lPT2_S5_S5_
		.amdhsa_group_segment_fixed_size 0
		.amdhsa_private_segment_fixed_size 0
		.amdhsa_kernarg_size 312
		.amdhsa_user_sgpr_count 2
		.amdhsa_user_sgpr_dispatch_ptr 0
		.amdhsa_user_sgpr_queue_ptr 0
		.amdhsa_user_sgpr_kernarg_segment_ptr 1
		.amdhsa_user_sgpr_dispatch_id 0
		.amdhsa_user_sgpr_kernarg_preload_length 0
		.amdhsa_user_sgpr_kernarg_preload_offset 0
		.amdhsa_user_sgpr_private_segment_size 0
		.amdhsa_wavefront_size32 1
		.amdhsa_uses_dynamic_stack 0
		.amdhsa_enable_private_segment 0
		.amdhsa_system_sgpr_workgroup_id_x 1
		.amdhsa_system_sgpr_workgroup_id_y 1
		.amdhsa_system_sgpr_workgroup_id_z 0
		.amdhsa_system_sgpr_workgroup_info 0
		.amdhsa_system_vgpr_workitem_id 1
		.amdhsa_next_free_vgpr 246
		.amdhsa_next_free_sgpr 15
		.amdhsa_named_barrier_count 0
		.amdhsa_reserve_vcc 1
		.amdhsa_float_round_mode_32 0
		.amdhsa_float_round_mode_16_64 0
		.amdhsa_float_denorm_mode_32 3
		.amdhsa_float_denorm_mode_16_64 3
		.amdhsa_fp16_overflow 0
		.amdhsa_memory_ordered 1
		.amdhsa_forward_progress 1
		.amdhsa_inst_pref_size 255
		.amdhsa_round_robin_scheduling 0
		.amdhsa_exception_fp_ieee_invalid_op 0
		.amdhsa_exception_fp_denorm_src 0
		.amdhsa_exception_fp_ieee_div_zero 0
		.amdhsa_exception_fp_ieee_overflow 0
		.amdhsa_exception_fp_ieee_underflow 0
		.amdhsa_exception_fp_ieee_inexact 0
		.amdhsa_exception_int_div_zero 0
	.end_amdhsa_kernel
	.section	.text._ZN9rocsolver6v33100L23getf2_npvt_small_kernelILi36E19rocblas_complex_numIfEiiPS3_EEvT1_T3_lS5_lPT2_S5_S5_,"axG",@progbits,_ZN9rocsolver6v33100L23getf2_npvt_small_kernelILi36E19rocblas_complex_numIfEiiPS3_EEvT1_T3_lS5_lPT2_S5_S5_,comdat
.Lfunc_end71:
	.size	_ZN9rocsolver6v33100L23getf2_npvt_small_kernelILi36E19rocblas_complex_numIfEiiPS3_EEvT1_T3_lS5_lPT2_S5_S5_, .Lfunc_end71-_ZN9rocsolver6v33100L23getf2_npvt_small_kernelILi36E19rocblas_complex_numIfEiiPS3_EEvT1_T3_lS5_lPT2_S5_S5_
                                        ; -- End function
	.set _ZN9rocsolver6v33100L23getf2_npvt_small_kernelILi36E19rocblas_complex_numIfEiiPS3_EEvT1_T3_lS5_lPT2_S5_S5_.num_vgpr, 246
	.set _ZN9rocsolver6v33100L23getf2_npvt_small_kernelILi36E19rocblas_complex_numIfEiiPS3_EEvT1_T3_lS5_lPT2_S5_S5_.num_agpr, 0
	.set _ZN9rocsolver6v33100L23getf2_npvt_small_kernelILi36E19rocblas_complex_numIfEiiPS3_EEvT1_T3_lS5_lPT2_S5_S5_.numbered_sgpr, 15
	.set _ZN9rocsolver6v33100L23getf2_npvt_small_kernelILi36E19rocblas_complex_numIfEiiPS3_EEvT1_T3_lS5_lPT2_S5_S5_.num_named_barrier, 0
	.set _ZN9rocsolver6v33100L23getf2_npvt_small_kernelILi36E19rocblas_complex_numIfEiiPS3_EEvT1_T3_lS5_lPT2_S5_S5_.private_seg_size, 0
	.set _ZN9rocsolver6v33100L23getf2_npvt_small_kernelILi36E19rocblas_complex_numIfEiiPS3_EEvT1_T3_lS5_lPT2_S5_S5_.uses_vcc, 1
	.set _ZN9rocsolver6v33100L23getf2_npvt_small_kernelILi36E19rocblas_complex_numIfEiiPS3_EEvT1_T3_lS5_lPT2_S5_S5_.uses_flat_scratch, 0
	.set _ZN9rocsolver6v33100L23getf2_npvt_small_kernelILi36E19rocblas_complex_numIfEiiPS3_EEvT1_T3_lS5_lPT2_S5_S5_.has_dyn_sized_stack, 0
	.set _ZN9rocsolver6v33100L23getf2_npvt_small_kernelILi36E19rocblas_complex_numIfEiiPS3_EEvT1_T3_lS5_lPT2_S5_S5_.has_recursion, 0
	.set _ZN9rocsolver6v33100L23getf2_npvt_small_kernelILi36E19rocblas_complex_numIfEiiPS3_EEvT1_T3_lS5_lPT2_S5_S5_.has_indirect_call, 0
	.section	.AMDGPU.csdata,"",@progbits
; Kernel info:
; codeLenInByte = 60776
; TotalNumSgprs: 17
; NumVgprs: 246
; ScratchSize: 0
; MemoryBound: 0
; FloatMode: 240
; IeeeMode: 1
; LDSByteSize: 0 bytes/workgroup (compile time only)
; SGPRBlocks: 0
; VGPRBlocks: 15
; NumSGPRsForWavesPerEU: 17
; NumVGPRsForWavesPerEU: 246
; NamedBarCnt: 0
; Occupancy: 4
; WaveLimiterHint : 0
; COMPUTE_PGM_RSRC2:SCRATCH_EN: 0
; COMPUTE_PGM_RSRC2:USER_SGPR: 2
; COMPUTE_PGM_RSRC2:TRAP_HANDLER: 0
; COMPUTE_PGM_RSRC2:TGID_X_EN: 1
; COMPUTE_PGM_RSRC2:TGID_Y_EN: 1
; COMPUTE_PGM_RSRC2:TGID_Z_EN: 0
; COMPUTE_PGM_RSRC2:TIDIG_COMP_CNT: 1
	.section	.text._ZN9rocsolver6v33100L18getf2_small_kernelILi37E19rocblas_complex_numIfEiiPS3_EEvT1_T3_lS5_lPS5_llPT2_S5_S5_S7_l,"axG",@progbits,_ZN9rocsolver6v33100L18getf2_small_kernelILi37E19rocblas_complex_numIfEiiPS3_EEvT1_T3_lS5_lPS5_llPT2_S5_S5_S7_l,comdat
	.globl	_ZN9rocsolver6v33100L18getf2_small_kernelILi37E19rocblas_complex_numIfEiiPS3_EEvT1_T3_lS5_lPS5_llPT2_S5_S5_S7_l ; -- Begin function _ZN9rocsolver6v33100L18getf2_small_kernelILi37E19rocblas_complex_numIfEiiPS3_EEvT1_T3_lS5_lPS5_llPT2_S5_S5_S7_l
	.p2align	8
	.type	_ZN9rocsolver6v33100L18getf2_small_kernelILi37E19rocblas_complex_numIfEiiPS3_EEvT1_T3_lS5_lPS5_llPT2_S5_S5_S7_l,@function
_ZN9rocsolver6v33100L18getf2_small_kernelILi37E19rocblas_complex_numIfEiiPS3_EEvT1_T3_lS5_lPS5_llPT2_S5_S5_S7_l: ; @_ZN9rocsolver6v33100L18getf2_small_kernelILi37E19rocblas_complex_numIfEiiPS3_EEvT1_T3_lS5_lPS5_llPT2_S5_S5_S7_l
; %bb.0:
	s_clause 0x1
	s_load_u16 s2, s[0:1], 0x6e
	s_load_b64 s[16:17], s[0:1], 0x48
	s_bfe_u32 s3, ttmp6, 0x40010
	s_bfe_u32 s4, ttmp6, 0x40004
	s_add_co_i32 s3, s3, 1
	s_getreg_b32 s5, hwreg(HW_REG_IB_STS2, 6, 4)
	s_mul_i32 s3, ttmp7, s3
	v_bfe_u32 v82, v0, 10, 10
	s_add_co_i32 s4, s4, s3
	s_cmp_eq_u32 s5, 0
	s_cselect_b32 s3, ttmp7, s4
	s_wait_kmcnt 0x0
	v_mad_u32 v2, s3, s2, v82
	s_mov_b32 s2, exec_lo
	s_delay_alu instid0(VALU_DEP_1)
	v_cmpx_gt_i32_e64 s16, v2
	s_cbranch_execz .LBB72_778
; %bb.1:
	s_load_b128 s[4:7], s[0:1], 0x50
	v_mov_b64_e32 v[4:5], 0
	v_ashrrev_i32_e32 v3, 31, v2
	s_wait_kmcnt 0x0
	s_cmp_eq_u64 s[4:5], 0
	s_cselect_b32 s16, -1, 0
	s_delay_alu instid0(SALU_CYCLE_1)
	s_and_b32 vcc_lo, exec_lo, s16
	s_cbranch_vccnz .LBB72_3
; %bb.2:
	v_mul_u64_e32 v[4:5], s[6:7], v[2:3]
	s_delay_alu instid0(VALU_DEP_1)
	v_lshl_add_u64 v[4:5], v[4:5], 2, s[4:5]
.LBB72_3:
	s_clause 0x2
	s_load_b32 s2, s[0:1], 0x18
	s_load_b128 s[12:15], s[0:1], 0x8
	s_load_b32 s18, s[0:1], 0x0
	v_and_b32_e32 v87, 0x3ff, v0
	s_load_b256 s[4:11], s[0:1], 0x20
	v_mov_b32_e32 v81, 0
	s_wait_kmcnt 0x0
	s_delay_alu instid0(VALU_DEP_2) | instskip(SKIP_2) | instid1(VALU_DEP_2)
	v_add3_u32 v8, s2, s2, v87
	s_ashr_i32 s3, s2, 31
	v_mul_u64_e32 v[0:1], s[4:5], v[2:3]
	v_add_nc_u32_e32 v6, s2, v8
	s_max_i32 s4, s18, 37
	s_cmp_lt_i32 s18, 2
	s_delay_alu instid0(VALU_DEP_1) | instskip(NEXT) | instid1(VALU_DEP_1)
	v_add_nc_u32_e32 v10, s2, v6
	v_dual_add_nc_u32 v12, s2, v10 :: v_dual_ashrrev_i32 v9, 31, v8
	s_delay_alu instid0(VALU_DEP_1) | instskip(SKIP_1) | instid1(VALU_DEP_2)
	v_dual_ashrrev_i32 v7, 31, v6 :: v_dual_add_nc_u32 v14, s2, v12
	v_dual_ashrrev_i32 v11, 31, v10 :: v_dual_ashrrev_i32 v13, 31, v12
	v_add_nc_u32_e32 v16, s2, v14
	s_delay_alu instid0(VALU_DEP_1) | instskip(NEXT) | instid1(VALU_DEP_1)
	v_add_nc_u32_e32 v18, s2, v16
	v_add_nc_u32_e32 v20, s2, v18
	v_lshl_add_u64 v[0:1], v[0:1], 3, s[12:13]
	s_delay_alu instid0(VALU_DEP_2) | instskip(NEXT) | instid1(VALU_DEP_2)
	v_add_nc_u32_e32 v26, s2, v20
	v_lshl_add_u64 v[0:1], s[14:15], 3, v[0:1]
	s_delay_alu instid0(VALU_DEP_2) | instskip(NEXT) | instid1(VALU_DEP_2)
	v_dual_ashrrev_i32 v17, 31, v16 :: v_dual_add_nc_u32 v28, s2, v26
	v_lshl_add_u64 v[10:11], v[10:11], 3, v[0:1]
	v_lshl_add_u64 v[12:13], v[12:13], 3, v[0:1]
	;; [unrolled: 1-line block ×4, first 2 shown]
	v_dual_add_nc_u32 v34, s2, v28 :: v_dual_ashrrev_i32 v19, 31, v18
	v_ashrrev_i32_e32 v21, 31, v20
	v_lshl_add_u64 v[16:17], v[16:17], 3, v[0:1]
	v_ashrrev_i32_e32 v27, 31, v26
	s_delay_alu instid0(VALU_DEP_4) | instskip(SKIP_3) | instid1(VALU_DEP_4)
	v_dual_add_nc_u32 v36, s2, v34 :: v_dual_lshlrev_b32 v80, 3, v87
	v_lshl_add_u64 v[42:43], v[18:19], 3, v[0:1]
	v_lshl_add_u64 v[50:51], v[20:21], 3, v[0:1]
	v_ashrrev_i32_e32 v29, 31, v28
	v_add_nc_u32_e32 v38, s2, v36
	v_add_nc_u64_e32 v[30:31], v[0:1], v[80:81]
	v_dual_ashrrev_i32 v35, 31, v34 :: v_dual_ashrrev_i32 v37, 31, v36
	s_delay_alu instid0(VALU_DEP_3) | instskip(SKIP_1) | instid1(VALU_DEP_2)
	v_add_nc_u32_e32 v40, s2, v38
	v_ashrrev_i32_e32 v15, 31, v14
	v_dual_ashrrev_i32 v39, 31, v38 :: v_dual_add_nc_u32 v44, s2, v40
	s_delay_alu instid0(VALU_DEP_2)
	v_lshl_add_u64 v[14:15], v[14:15], 3, v[0:1]
	s_clause 0x3
	global_load_b64 v[24:25], v[10:11], off
	global_load_b64 v[20:21], v[12:13], off
	;; [unrolled: 1-line block ×4, first 2 shown]
	v_add_nc_u32_e32 v46, s2, v44
	s_wait_xcnt 0x3
	v_lshl_add_u64 v[10:11], s[2:3], 3, v[30:31]
	s_clause 0x3
	global_load_b64 v[72:73], v[8:9], off
	global_load_b64 v[70:71], v[6:7], off
	;; [unrolled: 1-line block ×4, first 2 shown]
	s_wait_xcnt 0x6
	v_lshl_add_u64 v[12:13], v[26:27], 3, v[0:1]
	v_add_nc_u32_e32 v48, s2, v46
	s_wait_xcnt 0x2
	v_lshl_add_u64 v[6:7], v[28:29], 3, v[0:1]
	s_clause 0x3
	global_load_b64 v[32:33], v[42:43], off
	global_load_b64 v[28:29], v[50:51], off
	;; [unrolled: 1-line block ×4, first 2 shown]
	s_wait_xcnt 0x4
	v_lshl_add_u64 v[10:11], v[34:35], 3, v[0:1]
	v_add_nc_u32_e32 v52, s2, v48
	v_lshl_add_u64 v[34:35], v[38:39], 3, v[0:1]
	v_dual_ashrrev_i32 v45, 31, v44 :: v_dual_ashrrev_i32 v47, 31, v46
	v_lshl_add_u64 v[16:17], v[36:37], 3, v[0:1]
	s_delay_alu instid0(VALU_DEP_4) | instskip(NEXT) | instid1(VALU_DEP_1)
	v_add_nc_u32_e32 v14, s2, v52
	v_dual_ashrrev_i32 v49, 31, v48 :: v_dual_ashrrev_i32 v15, 31, v14
	v_add_nc_u32_e32 v8, s2, v14
	s_delay_alu instid0(VALU_DEP_2) | instskip(SKIP_1) | instid1(VALU_DEP_2)
	v_lshl_add_u64 v[14:15], v[14:15], 3, v[0:1]
	s_wait_xcnt 0x0
	v_add_nc_u32_e32 v6, s2, v8
	v_ashrrev_i32_e32 v41, 31, v40
	s_delay_alu instid0(VALU_DEP_2) | instskip(NEXT) | instid1(VALU_DEP_2)
	v_dual_ashrrev_i32 v9, 31, v8 :: v_dual_add_nc_u32 v12, s2, v6
	v_lshl_add_u64 v[50:51], v[40:41], 3, v[0:1]
	s_clause 0x3
	global_load_b64 v[42:43], v[10:11], off
	global_load_b64 v[38:39], v[16:17], off
	;; [unrolled: 1-line block ×4, first 2 shown]
	s_wait_xcnt 0x2
	v_lshl_add_u64 v[16:17], v[44:45], 3, v[0:1]
	v_add_nc_u32_e32 v78, s2, v12
	v_lshl_add_u64 v[44:45], v[46:47], 3, v[0:1]
	v_lshl_add_u64 v[46:47], v[48:49], 3, v[0:1]
	v_ashrrev_i32_e32 v13, 31, v12
	v_lshl_add_u64 v[8:9], v[8:9], 3, v[0:1]
	v_add_nc_u32_e32 v10, s2, v78
	v_ashrrev_i32_e32 v7, 31, v6
	s_delay_alu instid0(VALU_DEP_4) | instskip(SKIP_1) | instid1(VALU_DEP_3)
	v_lshl_add_u64 v[12:13], v[12:13], 3, v[0:1]
	s_wait_xcnt 0x1
	v_dual_add_nc_u32 v34, s2, v10 :: v_dual_ashrrev_i32 v53, 31, v52
	v_ashrrev_i32_e32 v79, 31, v78
	v_lshl_add_u64 v[6:7], v[6:7], 3, v[0:1]
	v_ashrrev_i32_e32 v11, 31, v10
	s_wait_xcnt 0x0
	v_add_nc_u32_e32 v50, s2, v34
	v_lshl_add_u64 v[48:49], v[52:53], 3, v[0:1]
	s_clause 0x7
	global_load_b64 v[68:69], v[16:17], off
	global_load_b64 v[64:65], v[44:45], off
	;; [unrolled: 1-line block ×8, first 2 shown]
	s_wait_xcnt 0x7
	v_add_nc_u32_e32 v16, s2, v50
	s_wait_xcnt 0x2
	v_lshl_add_u64 v[8:9], v[78:79], 3, v[0:1]
	v_ashrrev_i32_e32 v51, 31, v50
	v_ashrrev_i32_e32 v35, 31, v34
	v_lshl_add_u64 v[10:11], v[10:11], 3, v[0:1]
	v_dual_add_nc_u32 v52, s2, v16 :: v_dual_ashrrev_i32 v17, 31, v16
	s_delay_alu instid0(VALU_DEP_4)
	v_lshl_add_u64 v[14:15], v[50:51], 3, v[0:1]
	s_wait_xcnt 0x0
	v_lshl_add_u64 v[12:13], v[34:35], 3, v[0:1]
	s_clause 0x3
	global_load_b64 v[50:51], v[8:9], off
	global_load_b64 v[46:47], v[10:11], off
	;; [unrolled: 1-line block ×4, first 2 shown]
	v_dual_add_nc_u32 v84, s2, v52 :: v_dual_ashrrev_i32 v53, 31, v52
	v_lshl_add_u64 v[16:17], v[16:17], 3, v[0:1]
	s_delay_alu instid0(VALU_DEP_2) | instskip(NEXT) | instid1(VALU_DEP_3)
	v_dual_add_nc_u32 v6, s2, v84 :: v_dual_ashrrev_i32 v85, 31, v84
	v_lshl_add_u64 v[52:53], v[52:53], 3, v[0:1]
	s_delay_alu instid0(VALU_DEP_2) | instskip(NEXT) | instid1(VALU_DEP_3)
	v_add_nc_u32_e32 v78, s2, v6
	v_lshl_add_u64 v[84:85], v[84:85], 3, v[0:1]
	s_delay_alu instid0(VALU_DEP_2) | instskip(NEXT) | instid1(VALU_DEP_1)
	v_add_nc_u32_e32 v34, s2, v78
	v_dual_add_nc_u32 v88, s2, v34 :: v_dual_ashrrev_i32 v35, 31, v34
	v_ashrrev_i32_e32 v7, 31, v6
	s_delay_alu instid0(VALU_DEP_2) | instskip(SKIP_1) | instid1(VALU_DEP_3)
	v_dual_ashrrev_i32 v79, 31, v78 :: v_dual_ashrrev_i32 v89, 31, v88
	v_add_nc_u32_e32 v90, s2, v88
	v_lshl_add_u64 v[6:7], v[6:7], 3, v[0:1]
	s_clause 0x3
	global_load_b64 v[14:15], v[16:17], off
	global_load_b64 v[10:11], v[52:53], off
	;; [unrolled: 1-line block ×4, first 2 shown]
	s_wait_xcnt 0x1
	v_lshl_add_u64 v[84:85], v[78:79], 3, v[0:1]
	v_dual_add_nc_u32 v92, s2, v90 :: v_dual_ashrrev_i32 v91, 31, v90
	v_lshl_add_u64 v[94:95], v[34:35], 3, v[0:1]
	v_lshl_add_u64 v[88:89], v[88:89], 3, v[0:1]
	s_delay_alu instid0(VALU_DEP_3) | instskip(NEXT) | instid1(VALU_DEP_4)
	v_ashrrev_i32_e32 v93, 31, v92
	v_lshl_add_u64 v[90:91], v[90:91], 3, v[0:1]
	s_delay_alu instid0(VALU_DEP_2)
	v_lshl_add_u64 v[92:93], v[92:93], 3, v[0:1]
	s_clause 0x4
	global_load_b64 v[6:7], v[84:85], off
	global_load_b64 v[52:53], v[94:95], off
	;; [unrolled: 1-line block ×5, first 2 shown]
	s_wait_xcnt 0x4
	v_mul_lo_u32 v85, s4, v82
	s_load_b64 s[4:5], s[0:1], 0x40
	s_delay_alu instid0(VALU_DEP_1) | instskip(NEXT) | instid1(VALU_DEP_1)
	v_lshl_add_u32 v84, v85, 3, 0
	v_dual_lshlrev_b32 v85, 3, v85 :: v_dual_add_nc_u32 v80, v84, v80
	s_wait_loadcnt 0x1e
	ds_store_b64 v80, v[74:75]
	s_wait_loadcnt_dscnt 0x0
	s_barrier_signal -1
	s_barrier_wait -1
	ds_load_b64 v[82:83], v84
	s_cbranch_scc1 .LBB72_6
; %bb.4:
	v_add3_u32 v80, v85, 0, 8
	v_mov_b32_e32 v81, 0
	s_wait_xcnt 0x0
	s_mov_b32 s0, 1
.LBB72_5:                               ; =>This Inner Loop Header: Depth=1
	ds_load_b64 v[88:89], v80
	s_wait_dscnt 0x1
	v_cmp_gt_f32_e32 vcc_lo, 0, v82
	v_cndmask_b32_e64 v90, v82, -v82, vcc_lo
	v_cmp_gt_f32_e32 vcc_lo, 0, v83
	v_cndmask_b32_e64 v92, v83, -v83, vcc_lo
	s_wait_dscnt 0x0
	v_cmp_gt_f32_e32 vcc_lo, 0, v88
	v_cndmask_b32_e64 v91, v88, -v88, vcc_lo
	v_cmp_gt_f32_e32 vcc_lo, 0, v89
	v_cndmask_b32_e64 v93, v89, -v89, vcc_lo
	s_delay_alu instid0(VALU_DEP_1) | instskip(NEXT) | instid1(VALU_DEP_1)
	v_pk_add_f32 v[90:91], v[90:91], v[92:93]
	v_cmp_lt_f32_e32 vcc_lo, v90, v91
	v_dual_cndmask_b32 v83, v83, v89 :: v_dual_add_nc_u32 v80, 8, v80
	v_cndmask_b32_e32 v82, v82, v88, vcc_lo
	v_cndmask_b32_e64 v81, v81, s0, vcc_lo
	s_add_co_i32 s0, s0, 1
	s_delay_alu instid0(SALU_CYCLE_1)
	s_cmp_eq_u32 s18, s0
	s_cbranch_scc0 .LBB72_5
.LBB72_6:
	s_wait_dscnt 0x0
	v_cmp_neq_f32_e32 vcc_lo, 0, v82
	s_wait_xcnt 0x0
	v_cmp_neq_f32_e64 s0, 0, v83
	v_dual_mov_b32 v86, 1 :: v_dual_mov_b32 v89, 1
	s_or_b32 s1, vcc_lo, s0
	s_delay_alu instid0(SALU_CYCLE_1)
	s_and_saveexec_b32 s0, s1
	s_cbranch_execz .LBB72_12
; %bb.7:
	v_cmp_ngt_f32_e64 s1, |v82|, |v83|
	s_and_saveexec_b32 s12, s1
	s_delay_alu instid0(SALU_CYCLE_1)
	s_xor_b32 s1, exec_lo, s12
	s_cbranch_execz .LBB72_9
; %bb.8:
	v_div_scale_f32 v80, null, v83, v83, v82
	v_div_scale_f32 v89, vcc_lo, v82, v83, v82
	s_delay_alu instid0(VALU_DEP_2) | instskip(SKIP_1) | instid1(TRANS32_DEP_1)
	v_rcp_f32_e32 v86, v80
	v_nop
	v_fma_f32 v88, -v80, v86, 1.0
	s_delay_alu instid0(VALU_DEP_1) | instskip(NEXT) | instid1(VALU_DEP_1)
	v_fmac_f32_e32 v86, v88, v86
	v_mul_f32_e32 v88, v89, v86
	s_delay_alu instid0(VALU_DEP_1) | instskip(NEXT) | instid1(VALU_DEP_1)
	v_fma_f32 v90, -v80, v88, v89
	v_fmac_f32_e32 v88, v90, v86
	s_delay_alu instid0(VALU_DEP_1) | instskip(NEXT) | instid1(VALU_DEP_1)
	v_fma_f32 v80, -v80, v88, v89
	v_div_fmas_f32 v80, v80, v86, v88
	s_delay_alu instid0(VALU_DEP_1) | instskip(NEXT) | instid1(VALU_DEP_1)
	v_div_fixup_f32 v80, v80, v83, v82
	v_fmac_f32_e32 v83, v82, v80
	s_delay_alu instid0(VALU_DEP_1) | instskip(SKIP_1) | instid1(VALU_DEP_2)
	v_div_scale_f32 v82, null, v83, v83, 1.0
	v_div_scale_f32 v89, vcc_lo, 1.0, v83, 1.0
	v_rcp_f32_e32 v86, v82
	v_nop
	s_delay_alu instid0(TRANS32_DEP_1) | instskip(NEXT) | instid1(VALU_DEP_1)
	v_fma_f32 v88, -v82, v86, 1.0
	v_fmac_f32_e32 v86, v88, v86
	s_delay_alu instid0(VALU_DEP_1) | instskip(NEXT) | instid1(VALU_DEP_1)
	v_mul_f32_e32 v88, v89, v86
	v_fma_f32 v90, -v82, v88, v89
	s_delay_alu instid0(VALU_DEP_1) | instskip(NEXT) | instid1(VALU_DEP_1)
	v_fmac_f32_e32 v88, v90, v86
	v_fma_f32 v82, -v82, v88, v89
	s_delay_alu instid0(VALU_DEP_1) | instskip(NEXT) | instid1(VALU_DEP_1)
	v_div_fmas_f32 v82, v82, v86, v88
	v_div_fixup_f32 v83, v82, v83, 1.0
	s_delay_alu instid0(VALU_DEP_1)
	v_mul_f32_e32 v82, v80, v83
	v_xor_b32_e32 v83, 0x80000000, v83
.LBB72_9:
	s_and_not1_saveexec_b32 s1, s1
	s_cbranch_execz .LBB72_11
; %bb.10:
	s_delay_alu instid0(VALU_DEP_1) | instskip(SKIP_1) | instid1(VALU_DEP_2)
	v_div_scale_f32 v80, null, v82, v82, v83
	v_div_scale_f32 v89, vcc_lo, v83, v82, v83
	v_rcp_f32_e32 v86, v80
	v_nop
	s_delay_alu instid0(TRANS32_DEP_1) | instskip(NEXT) | instid1(VALU_DEP_1)
	v_fma_f32 v88, -v80, v86, 1.0
	v_fmac_f32_e32 v86, v88, v86
	s_delay_alu instid0(VALU_DEP_1) | instskip(NEXT) | instid1(VALU_DEP_1)
	v_mul_f32_e32 v88, v89, v86
	v_fma_f32 v90, -v80, v88, v89
	s_delay_alu instid0(VALU_DEP_1) | instskip(NEXT) | instid1(VALU_DEP_1)
	v_fmac_f32_e32 v88, v90, v86
	v_fma_f32 v80, -v80, v88, v89
	s_delay_alu instid0(VALU_DEP_1) | instskip(NEXT) | instid1(VALU_DEP_1)
	v_div_fmas_f32 v80, v80, v86, v88
	v_div_fixup_f32 v80, v80, v82, v83
	s_delay_alu instid0(VALU_DEP_1) | instskip(NEXT) | instid1(VALU_DEP_1)
	v_fmac_f32_e32 v82, v83, v80
	v_div_scale_f32 v83, null, v82, v82, 1.0
	s_delay_alu instid0(VALU_DEP_1) | instskip(SKIP_1) | instid1(TRANS32_DEP_1)
	v_rcp_f32_e32 v86, v83
	v_nop
	v_fma_f32 v88, -v83, v86, 1.0
	s_delay_alu instid0(VALU_DEP_1) | instskip(SKIP_1) | instid1(VALU_DEP_1)
	v_fmac_f32_e32 v86, v88, v86
	v_div_scale_f32 v88, vcc_lo, 1.0, v82, 1.0
	v_mul_f32_e32 v89, v88, v86
	s_delay_alu instid0(VALU_DEP_1) | instskip(NEXT) | instid1(VALU_DEP_1)
	v_fma_f32 v90, -v83, v89, v88
	v_fmac_f32_e32 v89, v90, v86
	s_delay_alu instid0(VALU_DEP_1) | instskip(NEXT) | instid1(VALU_DEP_1)
	v_fma_f32 v83, -v83, v89, v88
	v_div_fmas_f32 v83, v83, v86, v89
	s_delay_alu instid0(VALU_DEP_1) | instskip(NEXT) | instid1(VALU_DEP_1)
	v_div_fixup_f32 v82, v83, v82, 1.0
	v_mul_f32_e64 v83, v80, -v82
.LBB72_11:
	s_or_b32 exec_lo, exec_lo, s1
	v_dual_mov_b32 v89, 0 :: v_dual_mov_b32 v86, 2
.LBB72_12:
	s_or_b32 exec_lo, exec_lo, s0
	s_delay_alu instid0(SALU_CYCLE_1)
	s_mov_b32 s0, exec_lo
	v_cmpx_ne_u32_e64 v87, v81
	s_xor_b32 s0, exec_lo, s0
	s_cbranch_execz .LBB72_18
; %bb.13:
	s_mov_b32 s1, exec_lo
	v_cmpx_eq_u32_e32 0, v87
	s_cbranch_execz .LBB72_17
; %bb.14:
	v_cmp_ne_u32_e32 vcc_lo, 0, v81
	s_xor_b32 s12, s16, -1
	s_delay_alu instid0(SALU_CYCLE_1) | instskip(NEXT) | instid1(SALU_CYCLE_1)
	s_and_b32 s13, s12, vcc_lo
	s_and_saveexec_b32 s12, s13
	s_cbranch_execz .LBB72_16
; %bb.15:
	v_dual_mov_b32 v90, v81 :: v_dual_ashrrev_i32 v91, 31, v81
	s_delay_alu instid0(VALU_DEP_1)
	v_lshl_add_u64 v[90:91], v[90:91], 2, v[4:5]
	s_clause 0x1
	global_load_b32 v80, v[90:91], off
	global_load_b32 v87, v[4:5], off
	s_wait_loadcnt 0x1
	global_store_b32 v[4:5], v80, off
	s_wait_loadcnt 0x0
	global_store_b32 v[90:91], v87, off
.LBB72_16:
	s_wait_xcnt 0x0
	s_or_b32 exec_lo, exec_lo, s12
	v_mov_b32_e32 v87, v81
.LBB72_17:
	s_or_b32 exec_lo, exec_lo, s1
.LBB72_18:
	s_or_saveexec_b32 s0, s0
	s_delay_alu instid0(VALU_DEP_1)
	v_mov_b32_e32 v88, v87
	s_xor_b32 exec_lo, exec_lo, s0
	s_cbranch_execz .LBB72_20
; %bb.19:
	v_mov_b32_e32 v88, 0
	ds_store_2addr_b64 v84, v[76:77], v[72:73] offset0:1 offset1:2
	ds_store_2addr_b64 v84, v[70:71], v[24:25] offset0:3 offset1:4
	;; [unrolled: 1-line block ×18, first 2 shown]
.LBB72_20:
	s_or_b32 exec_lo, exec_lo, s0
	s_delay_alu instid0(SALU_CYCLE_1)
	s_mov_b32 s0, exec_lo
	s_wait_storecnt_dscnt 0x0
	s_barrier_signal -1
	s_barrier_wait -1
	v_cmpx_lt_i32_e32 0, v88
	s_cbranch_execz .LBB72_22
; %bb.21:
	v_pk_mul_f32 v[90:91], v[82:83], v[74:75] op_sel:[1,1] op_sel_hi:[0,1]
	s_delay_alu instid0(VALU_DEP_1)
	v_pk_fma_f32 v[80:81], v[82:83], v[74:75], v[90:91] op_sel_hi:[1,0,1] neg_lo:[0,0,1] neg_hi:[0,0,1]
	v_pk_fma_f32 v[82:83], v[82:83], v[74:75], v[90:91] op_sel_hi:[1,0,1]
	ds_load_2addr_b64 v[90:93], v84 offset0:1 offset1:2
	v_dual_mov_b32 v74, v80 :: v_dual_mov_b32 v75, v83
	s_wait_dscnt 0x0
	v_pk_mul_f32 v[94:95], v[90:91], v[82:83] op_sel:[0,1]
	s_delay_alu instid0(VALU_DEP_1) | instskip(SKIP_1) | instid1(VALU_DEP_1)
	v_pk_fma_f32 v[96:97], v[90:91], v[80:81], v[94:95] op_sel:[0,0,1] op_sel_hi:[1,1,0] neg_lo:[0,0,1] neg_hi:[0,0,1]
	v_pk_fma_f32 v[90:91], v[90:91], v[80:81], v[94:95] op_sel:[0,0,1] op_sel_hi:[1,0,0]
	v_mov_b32_e32 v97, v91
	v_pk_mul_f32 v[90:91], v[92:93], v[82:83] op_sel:[0,1]
	s_delay_alu instid0(VALU_DEP_1) | instskip(SKIP_1) | instid1(VALU_DEP_1)
	v_pk_fma_f32 v[94:95], v[92:93], v[80:81], v[90:91] op_sel:[0,0,1] op_sel_hi:[1,1,0] neg_lo:[0,0,1] neg_hi:[0,0,1]
	v_pk_fma_f32 v[90:91], v[92:93], v[80:81], v[90:91] op_sel:[0,0,1] op_sel_hi:[1,0,0]
	v_mov_b32_e32 v95, v91
	ds_load_2addr_b64 v[90:93], v84 offset0:3 offset1:4
	v_pk_add_f32 v[76:77], v[76:77], v[96:97] neg_lo:[0,1] neg_hi:[0,1]
	v_pk_add_f32 v[72:73], v[72:73], v[94:95] neg_lo:[0,1] neg_hi:[0,1]
	s_wait_dscnt 0x0
	v_pk_mul_f32 v[94:95], v[90:91], v[82:83] op_sel:[0,1]
	s_delay_alu instid0(VALU_DEP_1) | instskip(SKIP_2) | instid1(VALU_DEP_2)
	v_pk_fma_f32 v[96:97], v[90:91], v[80:81], v[94:95] op_sel:[0,0,1] op_sel_hi:[1,1,0] neg_lo:[0,0,1] neg_hi:[0,0,1]
	v_pk_fma_f32 v[90:91], v[90:91], v[80:81], v[94:95] op_sel:[0,0,1] op_sel_hi:[1,0,0]
	v_dual_mul_f32 v94, v93, v83 :: v_dual_mov_b32 v90, v93
	v_dual_mov_b32 v97, v91 :: v_dual_mov_b32 v91, v92
	s_delay_alu instid0(VALU_DEP_2) | instskip(SKIP_1) | instid1(VALU_DEP_3)
	v_pk_fma_f32 v[94:95], v[92:93], v[74:75], v[94:95] op_sel_hi:[1,1,0] neg_lo:[0,0,1] neg_hi:[0,0,1]
	v_mul_f32_e32 v92, v93, v80
	v_pk_add_f32 v[70:71], v[70:71], v[96:97] neg_lo:[0,1] neg_hi:[0,1]
	s_delay_alu instid0(VALU_DEP_2) | instskip(NEXT) | instid1(VALU_DEP_1)
	v_pk_fma_f32 v[90:91], v[90:91], v[74:75], v[92:93] op_sel_hi:[1,1,0]
	v_mov_b32_e32 v95, v91
	ds_load_2addr_b64 v[90:93], v84 offset0:5 offset1:6
	v_pk_add_f32 v[24:25], v[24:25], v[94:95] neg_lo:[0,1] neg_hi:[0,1]
	s_wait_dscnt 0x0
	v_pk_mul_f32 v[94:95], v[90:91], v[82:83] op_sel:[0,1]
	s_delay_alu instid0(VALU_DEP_1) | instskip(SKIP_1) | instid1(VALU_DEP_1)
	v_pk_fma_f32 v[96:97], v[90:91], v[80:81], v[94:95] op_sel:[0,0,1] op_sel_hi:[1,1,0] neg_lo:[0,0,1] neg_hi:[0,0,1]
	v_pk_fma_f32 v[90:91], v[90:91], v[80:81], v[94:95] op_sel:[0,0,1] op_sel_hi:[1,0,0]
	v_mov_b32_e32 v97, v91
	v_pk_mul_f32 v[90:91], v[92:93], v[82:83] op_sel:[0,1]
	s_delay_alu instid0(VALU_DEP_1) | instskip(SKIP_1) | instid1(VALU_DEP_1)
	v_pk_fma_f32 v[94:95], v[92:93], v[80:81], v[90:91] op_sel:[0,0,1] op_sel_hi:[1,1,0] neg_lo:[0,0,1] neg_hi:[0,0,1]
	v_pk_fma_f32 v[90:91], v[92:93], v[80:81], v[90:91] op_sel:[0,0,1] op_sel_hi:[1,0,0]
	v_mov_b32_e32 v95, v91
	ds_load_2addr_b64 v[90:93], v84 offset0:7 offset1:8
	v_pk_add_f32 v[20:21], v[20:21], v[96:97] neg_lo:[0,1] neg_hi:[0,1]
	v_pk_add_f32 v[22:23], v[22:23], v[94:95] neg_lo:[0,1] neg_hi:[0,1]
	s_wait_dscnt 0x0
	v_pk_mul_f32 v[94:95], v[90:91], v[82:83] op_sel:[0,1]
	s_delay_alu instid0(VALU_DEP_1) | instskip(SKIP_1) | instid1(VALU_DEP_1)
	v_pk_fma_f32 v[96:97], v[90:91], v[80:81], v[94:95] op_sel:[0,0,1] op_sel_hi:[1,1,0] neg_lo:[0,0,1] neg_hi:[0,0,1]
	v_pk_fma_f32 v[90:91], v[90:91], v[80:81], v[94:95] op_sel:[0,0,1] op_sel_hi:[1,0,0]
	v_mov_b32_e32 v97, v91
	v_pk_mul_f32 v[90:91], v[92:93], v[82:83] op_sel:[0,1]
	s_delay_alu instid0(VALU_DEP_1) | instskip(SKIP_1) | instid1(VALU_DEP_1)
	v_pk_fma_f32 v[94:95], v[92:93], v[80:81], v[90:91] op_sel:[0,0,1] op_sel_hi:[1,1,0] neg_lo:[0,0,1] neg_hi:[0,0,1]
	v_pk_fma_f32 v[90:91], v[92:93], v[80:81], v[90:91] op_sel:[0,0,1] op_sel_hi:[1,0,0]
	v_mov_b32_e32 v95, v91
	ds_load_2addr_b64 v[90:93], v84 offset0:9 offset1:10
	v_pk_add_f32 v[18:19], v[18:19], v[96:97] neg_lo:[0,1] neg_hi:[0,1]
	v_pk_add_f32 v[32:33], v[32:33], v[94:95] neg_lo:[0,1] neg_hi:[0,1]
	s_wait_dscnt 0x0
	v_dual_mul_f32 v94, v91, v83 :: v_dual_mul_f32 v96, v91, v80
	s_delay_alu instid0(VALU_DEP_1) | instskip(NEXT) | instid1(VALU_DEP_2)
	v_pk_fma_f32 v[94:95], v[90:91], v[74:75], v[94:95] op_sel_hi:[1,1,0] neg_lo:[0,0,1] neg_hi:[0,0,1]
	v_pk_fma_f32 v[90:91], v[90:91], v[74:75], v[96:97] op_sel:[1,0,0] op_sel_hi:[0,1,0]
	s_delay_alu instid0(VALU_DEP_1) | instskip(SKIP_1) | instid1(VALU_DEP_2)
	v_mov_b32_e32 v95, v91
	v_pk_mul_f32 v[90:91], v[92:93], v[82:83] op_sel:[0,1]
	v_pk_add_f32 v[28:29], v[28:29], v[94:95] neg_lo:[0,1] neg_hi:[0,1]
	s_delay_alu instid0(VALU_DEP_2) | instskip(SKIP_1) | instid1(VALU_DEP_1)
	v_pk_fma_f32 v[94:95], v[92:93], v[80:81], v[90:91] op_sel:[0,0,1] op_sel_hi:[1,1,0] neg_lo:[0,0,1] neg_hi:[0,0,1]
	v_pk_fma_f32 v[90:91], v[92:93], v[80:81], v[90:91] op_sel:[0,0,1] op_sel_hi:[1,0,0]
	v_mov_b32_e32 v95, v91
	ds_load_2addr_b64 v[90:93], v84 offset0:11 offset1:12
	v_pk_add_f32 v[30:31], v[30:31], v[94:95] neg_lo:[0,1] neg_hi:[0,1]
	s_wait_dscnt 0x0
	v_pk_mul_f32 v[94:95], v[90:91], v[82:83] op_sel:[0,1]
	s_delay_alu instid0(VALU_DEP_1) | instskip(SKIP_1) | instid1(VALU_DEP_1)
	v_pk_fma_f32 v[96:97], v[90:91], v[80:81], v[94:95] op_sel:[0,0,1] op_sel_hi:[1,1,0] neg_lo:[0,0,1] neg_hi:[0,0,1]
	v_pk_fma_f32 v[90:91], v[90:91], v[80:81], v[94:95] op_sel:[0,0,1] op_sel_hi:[1,0,0]
	v_mov_b32_e32 v97, v91
	v_pk_mul_f32 v[90:91], v[92:93], v[82:83] op_sel:[0,1]
	s_delay_alu instid0(VALU_DEP_2) | instskip(NEXT) | instid1(VALU_DEP_2)
	v_pk_add_f32 v[26:27], v[26:27], v[96:97] neg_lo:[0,1] neg_hi:[0,1]
	v_pk_fma_f32 v[94:95], v[92:93], v[80:81], v[90:91] op_sel:[0,0,1] op_sel_hi:[1,1,0] neg_lo:[0,0,1] neg_hi:[0,0,1]
	v_pk_fma_f32 v[90:91], v[92:93], v[80:81], v[90:91] op_sel:[0,0,1] op_sel_hi:[1,0,0]
	s_delay_alu instid0(VALU_DEP_1) | instskip(SKIP_4) | instid1(VALU_DEP_1)
	v_mov_b32_e32 v95, v91
	ds_load_2addr_b64 v[90:93], v84 offset0:13 offset1:14
	v_pk_add_f32 v[42:43], v[42:43], v[94:95] neg_lo:[0,1] neg_hi:[0,1]
	s_wait_dscnt 0x0
	v_pk_mul_f32 v[94:95], v[90:91], v[82:83] op_sel:[0,1]
	v_pk_fma_f32 v[96:97], v[90:91], v[80:81], v[94:95] op_sel:[0,0,1] op_sel_hi:[1,1,0] neg_lo:[0,0,1] neg_hi:[0,0,1]
	v_pk_fma_f32 v[90:91], v[90:91], v[80:81], v[94:95] op_sel:[0,0,1] op_sel_hi:[1,0,0]
	v_dual_mul_f32 v94, v93, v83 :: v_dual_mov_b32 v90, v93
	s_delay_alu instid0(VALU_DEP_2) | instskip(NEXT) | instid1(VALU_DEP_2)
	v_dual_mov_b32 v97, v91 :: v_dual_mov_b32 v91, v92
	v_pk_fma_f32 v[94:95], v[92:93], v[74:75], v[94:95] op_sel_hi:[1,1,0] neg_lo:[0,0,1] neg_hi:[0,0,1]
	v_mul_f32_e32 v92, v93, v80
	s_delay_alu instid0(VALU_DEP_3) | instskip(NEXT) | instid1(VALU_DEP_2)
	v_pk_add_f32 v[38:39], v[38:39], v[96:97] neg_lo:[0,1] neg_hi:[0,1]
	v_pk_fma_f32 v[90:91], v[90:91], v[74:75], v[92:93] op_sel_hi:[1,1,0]
	s_delay_alu instid0(VALU_DEP_1) | instskip(SKIP_4) | instid1(VALU_DEP_1)
	v_mov_b32_e32 v95, v91
	ds_load_2addr_b64 v[90:93], v84 offset0:15 offset1:16
	v_pk_add_f32 v[40:41], v[40:41], v[94:95] neg_lo:[0,1] neg_hi:[0,1]
	s_wait_dscnt 0x0
	v_pk_mul_f32 v[94:95], v[90:91], v[82:83] op_sel:[0,1]
	v_pk_fma_f32 v[96:97], v[90:91], v[80:81], v[94:95] op_sel:[0,0,1] op_sel_hi:[1,1,0] neg_lo:[0,0,1] neg_hi:[0,0,1]
	v_pk_fma_f32 v[90:91], v[90:91], v[80:81], v[94:95] op_sel:[0,0,1] op_sel_hi:[1,0,0]
	s_delay_alu instid0(VALU_DEP_1) | instskip(SKIP_1) | instid1(VALU_DEP_1)
	v_mov_b32_e32 v97, v91
	v_pk_mul_f32 v[90:91], v[92:93], v[82:83] op_sel:[0,1]
	v_pk_fma_f32 v[94:95], v[92:93], v[80:81], v[90:91] op_sel:[0,0,1] op_sel_hi:[1,1,0] neg_lo:[0,0,1] neg_hi:[0,0,1]
	v_pk_fma_f32 v[90:91], v[92:93], v[80:81], v[90:91] op_sel:[0,0,1] op_sel_hi:[1,0,0]
	s_delay_alu instid0(VALU_DEP_1)
	v_mov_b32_e32 v95, v91
	ds_load_2addr_b64 v[90:93], v84 offset0:17 offset1:18
	v_pk_add_f32 v[36:37], v[36:37], v[96:97] neg_lo:[0,1] neg_hi:[0,1]
	v_pk_add_f32 v[68:69], v[68:69], v[94:95] neg_lo:[0,1] neg_hi:[0,1]
	s_wait_dscnt 0x0
	v_pk_mul_f32 v[94:95], v[90:91], v[82:83] op_sel:[0,1]
	s_delay_alu instid0(VALU_DEP_1) | instskip(SKIP_1) | instid1(VALU_DEP_1)
	v_pk_fma_f32 v[96:97], v[90:91], v[80:81], v[94:95] op_sel:[0,0,1] op_sel_hi:[1,1,0] neg_lo:[0,0,1] neg_hi:[0,0,1]
	v_pk_fma_f32 v[90:91], v[90:91], v[80:81], v[94:95] op_sel:[0,0,1] op_sel_hi:[1,0,0]
	v_mov_b32_e32 v97, v91
	v_pk_mul_f32 v[90:91], v[92:93], v[82:83] op_sel:[0,1]
	s_delay_alu instid0(VALU_DEP_1) | instskip(SKIP_1) | instid1(VALU_DEP_1)
	v_pk_fma_f32 v[94:95], v[92:93], v[80:81], v[90:91] op_sel:[0,0,1] op_sel_hi:[1,1,0] neg_lo:[0,0,1] neg_hi:[0,0,1]
	v_pk_fma_f32 v[90:91], v[92:93], v[80:81], v[90:91] op_sel:[0,0,1] op_sel_hi:[1,0,0]
	v_mov_b32_e32 v95, v91
	ds_load_2addr_b64 v[90:93], v84 offset0:19 offset1:20
	v_pk_add_f32 v[64:65], v[64:65], v[96:97] neg_lo:[0,1] neg_hi:[0,1]
	v_pk_add_f32 v[66:67], v[66:67], v[94:95] neg_lo:[0,1] neg_hi:[0,1]
	s_wait_dscnt 0x0
	v_dual_mul_f32 v94, v91, v83 :: v_dual_mul_f32 v96, v91, v80
	s_delay_alu instid0(VALU_DEP_1) | instskip(NEXT) | instid1(VALU_DEP_2)
	v_pk_fma_f32 v[94:95], v[90:91], v[74:75], v[94:95] op_sel_hi:[1,1,0] neg_lo:[0,0,1] neg_hi:[0,0,1]
	v_pk_fma_f32 v[90:91], v[90:91], v[74:75], v[96:97] op_sel:[1,0,0] op_sel_hi:[0,1,0]
	s_delay_alu instid0(VALU_DEP_1) | instskip(SKIP_1) | instid1(VALU_DEP_2)
	v_mov_b32_e32 v95, v91
	v_pk_mul_f32 v[90:91], v[92:93], v[82:83] op_sel:[0,1]
	v_pk_add_f32 v[62:63], v[62:63], v[94:95] neg_lo:[0,1] neg_hi:[0,1]
	s_delay_alu instid0(VALU_DEP_2) | instskip(SKIP_1) | instid1(VALU_DEP_1)
	v_pk_fma_f32 v[94:95], v[92:93], v[80:81], v[90:91] op_sel:[0,0,1] op_sel_hi:[1,1,0] neg_lo:[0,0,1] neg_hi:[0,0,1]
	v_pk_fma_f32 v[90:91], v[92:93], v[80:81], v[90:91] op_sel:[0,0,1] op_sel_hi:[1,0,0]
	v_mov_b32_e32 v95, v91
	ds_load_2addr_b64 v[90:93], v84 offset0:21 offset1:22
	v_pk_add_f32 v[60:61], v[60:61], v[94:95] neg_lo:[0,1] neg_hi:[0,1]
	s_wait_dscnt 0x0
	v_pk_mul_f32 v[94:95], v[90:91], v[82:83] op_sel:[0,1]
	s_delay_alu instid0(VALU_DEP_1) | instskip(SKIP_1) | instid1(VALU_DEP_1)
	v_pk_fma_f32 v[96:97], v[90:91], v[80:81], v[94:95] op_sel:[0,0,1] op_sel_hi:[1,1,0] neg_lo:[0,0,1] neg_hi:[0,0,1]
	v_pk_fma_f32 v[90:91], v[90:91], v[80:81], v[94:95] op_sel:[0,0,1] op_sel_hi:[1,0,0]
	v_mov_b32_e32 v97, v91
	v_pk_mul_f32 v[90:91], v[92:93], v[82:83] op_sel:[0,1]
	s_delay_alu instid0(VALU_DEP_2) | instskip(NEXT) | instid1(VALU_DEP_2)
	v_pk_add_f32 v[56:57], v[56:57], v[96:97] neg_lo:[0,1] neg_hi:[0,1]
	v_pk_fma_f32 v[94:95], v[92:93], v[80:81], v[90:91] op_sel:[0,0,1] op_sel_hi:[1,1,0] neg_lo:[0,0,1] neg_hi:[0,0,1]
	v_pk_fma_f32 v[90:91], v[92:93], v[80:81], v[90:91] op_sel:[0,0,1] op_sel_hi:[1,0,0]
	s_delay_alu instid0(VALU_DEP_1) | instskip(SKIP_4) | instid1(VALU_DEP_1)
	v_mov_b32_e32 v95, v91
	ds_load_2addr_b64 v[90:93], v84 offset0:23 offset1:24
	v_pk_add_f32 v[58:59], v[58:59], v[94:95] neg_lo:[0,1] neg_hi:[0,1]
	s_wait_dscnt 0x0
	v_pk_mul_f32 v[94:95], v[90:91], v[82:83] op_sel:[0,1]
	v_pk_fma_f32 v[96:97], v[90:91], v[80:81], v[94:95] op_sel:[0,0,1] op_sel_hi:[1,1,0] neg_lo:[0,0,1] neg_hi:[0,0,1]
	v_pk_fma_f32 v[90:91], v[90:91], v[80:81], v[94:95] op_sel:[0,0,1] op_sel_hi:[1,0,0]
	v_dual_mul_f32 v94, v93, v83 :: v_dual_mov_b32 v90, v93
	s_delay_alu instid0(VALU_DEP_2) | instskip(NEXT) | instid1(VALU_DEP_2)
	v_dual_mov_b32 v97, v91 :: v_dual_mov_b32 v91, v92
	v_pk_fma_f32 v[94:95], v[92:93], v[74:75], v[94:95] op_sel_hi:[1,1,0] neg_lo:[0,0,1] neg_hi:[0,0,1]
	v_mul_f32_e32 v92, v93, v80
	s_delay_alu instid0(VALU_DEP_3) | instskip(NEXT) | instid1(VALU_DEP_2)
	v_pk_add_f32 v[54:55], v[54:55], v[96:97] neg_lo:[0,1] neg_hi:[0,1]
	v_pk_fma_f32 v[90:91], v[90:91], v[74:75], v[92:93] op_sel_hi:[1,1,0]
	s_delay_alu instid0(VALU_DEP_1) | instskip(SKIP_4) | instid1(VALU_DEP_1)
	v_mov_b32_e32 v95, v91
	ds_load_2addr_b64 v[90:93], v84 offset0:25 offset1:26
	v_pk_add_f32 v[50:51], v[50:51], v[94:95] neg_lo:[0,1] neg_hi:[0,1]
	s_wait_dscnt 0x0
	v_pk_mul_f32 v[94:95], v[90:91], v[82:83] op_sel:[0,1]
	v_pk_fma_f32 v[96:97], v[90:91], v[80:81], v[94:95] op_sel:[0,0,1] op_sel_hi:[1,1,0] neg_lo:[0,0,1] neg_hi:[0,0,1]
	v_pk_fma_f32 v[90:91], v[90:91], v[80:81], v[94:95] op_sel:[0,0,1] op_sel_hi:[1,0,0]
	s_delay_alu instid0(VALU_DEP_1) | instskip(SKIP_1) | instid1(VALU_DEP_1)
	v_mov_b32_e32 v97, v91
	v_pk_mul_f32 v[90:91], v[92:93], v[82:83] op_sel:[0,1]
	v_pk_fma_f32 v[94:95], v[92:93], v[80:81], v[90:91] op_sel:[0,0,1] op_sel_hi:[1,1,0] neg_lo:[0,0,1] neg_hi:[0,0,1]
	v_pk_fma_f32 v[90:91], v[92:93], v[80:81], v[90:91] op_sel:[0,0,1] op_sel_hi:[1,0,0]
	s_delay_alu instid0(VALU_DEP_1)
	v_mov_b32_e32 v95, v91
	ds_load_2addr_b64 v[90:93], v84 offset0:27 offset1:28
	v_pk_add_f32 v[46:47], v[46:47], v[96:97] neg_lo:[0,1] neg_hi:[0,1]
	v_pk_add_f32 v[48:49], v[48:49], v[94:95] neg_lo:[0,1] neg_hi:[0,1]
	s_wait_dscnt 0x0
	v_pk_mul_f32 v[94:95], v[90:91], v[82:83] op_sel:[0,1]
	s_delay_alu instid0(VALU_DEP_1) | instskip(SKIP_1) | instid1(VALU_DEP_1)
	v_pk_fma_f32 v[96:97], v[90:91], v[80:81], v[94:95] op_sel:[0,0,1] op_sel_hi:[1,1,0] neg_lo:[0,0,1] neg_hi:[0,0,1]
	v_pk_fma_f32 v[90:91], v[90:91], v[80:81], v[94:95] op_sel:[0,0,1] op_sel_hi:[1,0,0]
	v_mov_b32_e32 v97, v91
	v_pk_mul_f32 v[90:91], v[92:93], v[82:83] op_sel:[0,1]
	s_delay_alu instid0(VALU_DEP_1) | instskip(SKIP_1) | instid1(VALU_DEP_1)
	v_pk_fma_f32 v[94:95], v[92:93], v[80:81], v[90:91] op_sel:[0,0,1] op_sel_hi:[1,1,0] neg_lo:[0,0,1] neg_hi:[0,0,1]
	v_pk_fma_f32 v[90:91], v[92:93], v[80:81], v[90:91] op_sel:[0,0,1] op_sel_hi:[1,0,0]
	v_mov_b32_e32 v95, v91
	ds_load_2addr_b64 v[90:93], v84 offset0:29 offset1:30
	v_pk_add_f32 v[44:45], v[44:45], v[96:97] neg_lo:[0,1] neg_hi:[0,1]
	v_pk_add_f32 v[14:15], v[14:15], v[94:95] neg_lo:[0,1] neg_hi:[0,1]
	s_wait_dscnt 0x0
	v_dual_mul_f32 v94, v91, v83 :: v_dual_mul_f32 v96, v91, v80
	s_delay_alu instid0(VALU_DEP_1) | instskip(NEXT) | instid1(VALU_DEP_2)
	v_pk_fma_f32 v[94:95], v[90:91], v[74:75], v[94:95] op_sel_hi:[1,1,0] neg_lo:[0,0,1] neg_hi:[0,0,1]
	v_pk_fma_f32 v[90:91], v[90:91], v[74:75], v[96:97] op_sel:[1,0,0] op_sel_hi:[0,1,0]
	s_delay_alu instid0(VALU_DEP_1) | instskip(SKIP_1) | instid1(VALU_DEP_2)
	v_mov_b32_e32 v95, v91
	v_pk_mul_f32 v[90:91], v[92:93], v[82:83] op_sel:[0,1]
	v_pk_add_f32 v[10:11], v[10:11], v[94:95] neg_lo:[0,1] neg_hi:[0,1]
	s_delay_alu instid0(VALU_DEP_2) | instskip(SKIP_1) | instid1(VALU_DEP_1)
	v_pk_fma_f32 v[94:95], v[92:93], v[80:81], v[90:91] op_sel:[0,0,1] op_sel_hi:[1,1,0] neg_lo:[0,0,1] neg_hi:[0,0,1]
	v_pk_fma_f32 v[90:91], v[92:93], v[80:81], v[90:91] op_sel:[0,0,1] op_sel_hi:[1,0,0]
	v_mov_b32_e32 v95, v91
	ds_load_2addr_b64 v[90:93], v84 offset0:31 offset1:32
	v_pk_add_f32 v[12:13], v[12:13], v[94:95] neg_lo:[0,1] neg_hi:[0,1]
	s_wait_dscnt 0x0
	v_pk_mul_f32 v[94:95], v[90:91], v[82:83] op_sel:[0,1]
	s_delay_alu instid0(VALU_DEP_1) | instskip(SKIP_1) | instid1(VALU_DEP_1)
	v_pk_fma_f32 v[96:97], v[90:91], v[80:81], v[94:95] op_sel:[0,0,1] op_sel_hi:[1,1,0] neg_lo:[0,0,1] neg_hi:[0,0,1]
	v_pk_fma_f32 v[90:91], v[90:91], v[80:81], v[94:95] op_sel:[0,0,1] op_sel_hi:[1,0,0]
	v_mov_b32_e32 v97, v91
	v_pk_mul_f32 v[90:91], v[92:93], v[82:83] op_sel:[0,1]
	s_delay_alu instid0(VALU_DEP_2) | instskip(NEXT) | instid1(VALU_DEP_2)
	v_pk_add_f32 v[8:9], v[8:9], v[96:97] neg_lo:[0,1] neg_hi:[0,1]
	v_pk_fma_f32 v[94:95], v[92:93], v[80:81], v[90:91] op_sel:[0,0,1] op_sel_hi:[1,1,0] neg_lo:[0,0,1] neg_hi:[0,0,1]
	v_pk_fma_f32 v[90:91], v[92:93], v[80:81], v[90:91] op_sel:[0,0,1] op_sel_hi:[1,0,0]
	s_delay_alu instid0(VALU_DEP_1) | instskip(SKIP_4) | instid1(VALU_DEP_1)
	v_mov_b32_e32 v95, v91
	ds_load_2addr_b64 v[90:93], v84 offset0:33 offset1:34
	v_pk_add_f32 v[6:7], v[6:7], v[94:95] neg_lo:[0,1] neg_hi:[0,1]
	s_wait_dscnt 0x0
	v_pk_mul_f32 v[94:95], v[90:91], v[82:83] op_sel:[0,1]
	v_pk_fma_f32 v[96:97], v[90:91], v[80:81], v[94:95] op_sel:[0,0,1] op_sel_hi:[1,1,0] neg_lo:[0,0,1] neg_hi:[0,0,1]
	v_pk_fma_f32 v[90:91], v[90:91], v[80:81], v[94:95] op_sel:[0,0,1] op_sel_hi:[1,0,0]
	v_dual_mul_f32 v94, v93, v83 :: v_dual_mov_b32 v90, v93
	s_delay_alu instid0(VALU_DEP_2) | instskip(NEXT) | instid1(VALU_DEP_2)
	v_dual_mov_b32 v97, v91 :: v_dual_mov_b32 v91, v92
	v_pk_fma_f32 v[94:95], v[92:93], v[74:75], v[94:95] op_sel_hi:[1,1,0] neg_lo:[0,0,1] neg_hi:[0,0,1]
	v_mul_f32_e32 v92, v93, v80
	s_delay_alu instid0(VALU_DEP_3) | instskip(NEXT) | instid1(VALU_DEP_2)
	v_pk_add_f32 v[52:53], v[52:53], v[96:97] neg_lo:[0,1] neg_hi:[0,1]
	v_pk_fma_f32 v[90:91], v[90:91], v[74:75], v[92:93] op_sel_hi:[1,1,0]
	s_delay_alu instid0(VALU_DEP_1)
	v_mov_b32_e32 v95, v91
	ds_load_2addr_b64 v[90:93], v84 offset0:35 offset1:36
	v_pk_add_f32 v[34:35], v[34:35], v[94:95] neg_lo:[0,1] neg_hi:[0,1]
	s_wait_dscnt 0x0
	v_pk_mul_f32 v[94:95], v[90:91], v[82:83] op_sel:[0,1]
	v_mul_f32_e32 v82, v93, v83
	s_delay_alu instid0(VALU_DEP_2) | instskip(SKIP_2) | instid1(VALU_DEP_4)
	v_pk_fma_f32 v[96:97], v[90:91], v[80:81], v[94:95] op_sel:[0,0,1] op_sel_hi:[1,1,0] neg_lo:[0,0,1] neg_hi:[0,0,1]
	v_pk_fma_f32 v[90:91], v[90:91], v[80:81], v[94:95] op_sel:[0,0,1] op_sel_hi:[1,0,0]
	v_dual_mov_b32 v90, v93 :: v_dual_mul_f32 v80, v93, v80
	v_pk_fma_f32 v[82:83], v[92:93], v[74:75], v[82:83] op_sel_hi:[1,1,0] neg_lo:[0,0,1] neg_hi:[0,0,1]
	s_delay_alu instid0(VALU_DEP_3) | instskip(NEXT) | instid1(VALU_DEP_1)
	v_dual_mov_b32 v97, v91 :: v_dual_mov_b32 v91, v92
	v_pk_add_f32 v[16:17], v[16:17], v[96:97] neg_lo:[0,1] neg_hi:[0,1]
	s_delay_alu instid0(VALU_DEP_2) | instskip(NEXT) | instid1(VALU_DEP_1)
	v_pk_fma_f32 v[80:81], v[90:91], v[74:75], v[80:81] op_sel_hi:[1,1,0]
	v_mov_b32_e32 v83, v81
	s_delay_alu instid0(VALU_DEP_1)
	v_pk_add_f32 v[78:79], v[78:79], v[82:83] neg_lo:[0,1] neg_hi:[0,1]
.LBB72_22:
	s_or_b32 exec_lo, exec_lo, s0
	v_lshl_add_u32 v80, v88, 3, v84
	s_barrier_signal -1
	s_barrier_wait -1
	ds_store_b64 v80, v[76:77]
	s_wait_dscnt 0x0
	s_barrier_signal -1
	s_barrier_wait -1
	ds_load_b64 v[82:83], v84 offset:8
	v_mov_b32_e32 v80, 1
	s_cmp_lt_i32 s18, 3
	s_cbranch_scc1 .LBB72_25
; %bb.23:
	v_add3_u32 v81, v85, 0, 16
	v_mov_b32_e32 v80, 1
	s_mov_b32 s0, 2
.LBB72_24:                              ; =>This Inner Loop Header: Depth=1
	ds_load_b64 v[90:91], v81
	s_wait_dscnt 0x1
	v_cmp_gt_f32_e32 vcc_lo, 0, v82
	v_cndmask_b32_e64 v92, v82, -v82, vcc_lo
	v_cmp_gt_f32_e32 vcc_lo, 0, v83
	v_cndmask_b32_e64 v94, v83, -v83, vcc_lo
	s_wait_dscnt 0x0
	v_cmp_gt_f32_e32 vcc_lo, 0, v90
	v_cndmask_b32_e64 v93, v90, -v90, vcc_lo
	v_cmp_gt_f32_e32 vcc_lo, 0, v91
	v_cndmask_b32_e64 v95, v91, -v91, vcc_lo
	s_delay_alu instid0(VALU_DEP_1) | instskip(NEXT) | instid1(VALU_DEP_1)
	v_pk_add_f32 v[92:93], v[92:93], v[94:95]
	v_cmp_lt_f32_e32 vcc_lo, v92, v93
	v_dual_add_nc_u32 v81, 8, v81 :: v_dual_cndmask_b32 v83, v83, v91, vcc_lo
	v_cndmask_b32_e32 v82, v82, v90, vcc_lo
	v_cndmask_b32_e64 v80, v80, s0, vcc_lo
	s_add_co_i32 s0, s0, 1
	s_delay_alu instid0(SALU_CYCLE_1)
	s_cmp_lg_u32 s18, s0
	s_cbranch_scc1 .LBB72_24
.LBB72_25:
	s_wait_dscnt 0x0
	v_cmp_neq_f32_e32 vcc_lo, 0, v82
	v_cmp_neq_f32_e64 s0, 0, v83
	s_or_b32 s1, vcc_lo, s0
	s_delay_alu instid0(SALU_CYCLE_1)
	s_and_saveexec_b32 s0, s1
	s_cbranch_execz .LBB72_31
; %bb.26:
	v_cmp_ngt_f32_e64 s1, |v82|, |v83|
	s_and_saveexec_b32 s12, s1
	s_delay_alu instid0(SALU_CYCLE_1)
	s_xor_b32 s1, exec_lo, s12
	s_cbranch_execz .LBB72_28
; %bb.27:
	v_div_scale_f32 v81, null, v83, v83, v82
	v_div_scale_f32 v91, vcc_lo, v82, v83, v82
	s_delay_alu instid0(VALU_DEP_2) | instskip(SKIP_1) | instid1(TRANS32_DEP_1)
	v_rcp_f32_e32 v86, v81
	v_nop
	v_fma_f32 v90, -v81, v86, 1.0
	s_delay_alu instid0(VALU_DEP_1) | instskip(NEXT) | instid1(VALU_DEP_1)
	v_fmac_f32_e32 v86, v90, v86
	v_mul_f32_e32 v90, v91, v86
	s_delay_alu instid0(VALU_DEP_1) | instskip(NEXT) | instid1(VALU_DEP_1)
	v_fma_f32 v92, -v81, v90, v91
	v_fmac_f32_e32 v90, v92, v86
	s_delay_alu instid0(VALU_DEP_1) | instskip(NEXT) | instid1(VALU_DEP_1)
	v_fma_f32 v81, -v81, v90, v91
	v_div_fmas_f32 v81, v81, v86, v90
	s_delay_alu instid0(VALU_DEP_1) | instskip(NEXT) | instid1(VALU_DEP_1)
	v_div_fixup_f32 v81, v81, v83, v82
	v_fmac_f32_e32 v83, v82, v81
	s_delay_alu instid0(VALU_DEP_1) | instskip(SKIP_1) | instid1(VALU_DEP_2)
	v_div_scale_f32 v82, null, v83, v83, 1.0
	v_div_scale_f32 v91, vcc_lo, 1.0, v83, 1.0
	v_rcp_f32_e32 v86, v82
	v_nop
	s_delay_alu instid0(TRANS32_DEP_1) | instskip(NEXT) | instid1(VALU_DEP_1)
	v_fma_f32 v90, -v82, v86, 1.0
	v_fmac_f32_e32 v86, v90, v86
	s_delay_alu instid0(VALU_DEP_1) | instskip(NEXT) | instid1(VALU_DEP_1)
	v_mul_f32_e32 v90, v91, v86
	v_fma_f32 v92, -v82, v90, v91
	s_delay_alu instid0(VALU_DEP_1) | instskip(NEXT) | instid1(VALU_DEP_1)
	v_fmac_f32_e32 v90, v92, v86
	v_fma_f32 v82, -v82, v90, v91
	s_delay_alu instid0(VALU_DEP_1) | instskip(NEXT) | instid1(VALU_DEP_1)
	v_div_fmas_f32 v82, v82, v86, v90
	v_div_fixup_f32 v83, v82, v83, 1.0
	s_delay_alu instid0(VALU_DEP_1)
	v_mul_f32_e32 v82, v81, v83
	v_xor_b32_e32 v83, 0x80000000, v83
.LBB72_28:
	s_and_not1_saveexec_b32 s1, s1
	s_cbranch_execz .LBB72_30
; %bb.29:
	s_delay_alu instid0(VALU_DEP_1) | instskip(SKIP_1) | instid1(VALU_DEP_2)
	v_div_scale_f32 v81, null, v82, v82, v83
	v_div_scale_f32 v91, vcc_lo, v83, v82, v83
	v_rcp_f32_e32 v86, v81
	v_nop
	s_delay_alu instid0(TRANS32_DEP_1) | instskip(NEXT) | instid1(VALU_DEP_1)
	v_fma_f32 v90, -v81, v86, 1.0
	v_fmac_f32_e32 v86, v90, v86
	s_delay_alu instid0(VALU_DEP_1) | instskip(NEXT) | instid1(VALU_DEP_1)
	v_mul_f32_e32 v90, v91, v86
	v_fma_f32 v92, -v81, v90, v91
	s_delay_alu instid0(VALU_DEP_1) | instskip(NEXT) | instid1(VALU_DEP_1)
	v_fmac_f32_e32 v90, v92, v86
	v_fma_f32 v81, -v81, v90, v91
	s_delay_alu instid0(VALU_DEP_1) | instskip(NEXT) | instid1(VALU_DEP_1)
	v_div_fmas_f32 v81, v81, v86, v90
	v_div_fixup_f32 v81, v81, v82, v83
	s_delay_alu instid0(VALU_DEP_1) | instskip(NEXT) | instid1(VALU_DEP_1)
	v_fmac_f32_e32 v82, v83, v81
	v_div_scale_f32 v83, null, v82, v82, 1.0
	s_delay_alu instid0(VALU_DEP_1) | instskip(SKIP_1) | instid1(TRANS32_DEP_1)
	v_rcp_f32_e32 v86, v83
	v_nop
	v_fma_f32 v90, -v83, v86, 1.0
	s_delay_alu instid0(VALU_DEP_1) | instskip(SKIP_1) | instid1(VALU_DEP_1)
	v_fmac_f32_e32 v86, v90, v86
	v_div_scale_f32 v90, vcc_lo, 1.0, v82, 1.0
	v_mul_f32_e32 v91, v90, v86
	s_delay_alu instid0(VALU_DEP_1) | instskip(NEXT) | instid1(VALU_DEP_1)
	v_fma_f32 v92, -v83, v91, v90
	v_fmac_f32_e32 v91, v92, v86
	s_delay_alu instid0(VALU_DEP_1) | instskip(NEXT) | instid1(VALU_DEP_1)
	v_fma_f32 v83, -v83, v91, v90
	v_div_fmas_f32 v83, v83, v86, v91
	s_delay_alu instid0(VALU_DEP_1) | instskip(NEXT) | instid1(VALU_DEP_1)
	v_div_fixup_f32 v82, v83, v82, 1.0
	v_mul_f32_e64 v83, v81, -v82
.LBB72_30:
	s_or_b32 exec_lo, exec_lo, s1
	v_mov_b32_e32 v86, v89
.LBB72_31:
	s_or_b32 exec_lo, exec_lo, s0
	s_delay_alu instid0(SALU_CYCLE_1)
	s_mov_b32 s0, exec_lo
	v_cmpx_ne_u32_e64 v88, v80
	s_xor_b32 s0, exec_lo, s0
	s_cbranch_execz .LBB72_37
; %bb.32:
	s_mov_b32 s1, exec_lo
	v_cmpx_eq_u32_e32 1, v88
	s_cbranch_execz .LBB72_36
; %bb.33:
	v_cmp_ne_u32_e32 vcc_lo, 1, v80
	s_xor_b32 s12, s16, -1
	s_delay_alu instid0(SALU_CYCLE_1) | instskip(NEXT) | instid1(SALU_CYCLE_1)
	s_and_b32 s13, s12, vcc_lo
	s_and_saveexec_b32 s12, s13
	s_cbranch_execz .LBB72_35
; %bb.34:
	v_ashrrev_i32_e32 v81, 31, v80
	s_delay_alu instid0(VALU_DEP_1)
	v_lshl_add_u64 v[88:89], v[80:81], 2, v[4:5]
	s_clause 0x1
	global_load_b32 v81, v[88:89], off
	global_load_b32 v87, v[4:5], off offset:4
	s_wait_loadcnt 0x1
	global_store_b32 v[4:5], v81, off offset:4
	s_wait_loadcnt 0x0
	global_store_b32 v[88:89], v87, off
.LBB72_35:
	s_wait_xcnt 0x0
	s_or_b32 exec_lo, exec_lo, s12
	v_dual_mov_b32 v88, v80 :: v_dual_mov_b32 v87, v80
.LBB72_36:
	s_or_b32 exec_lo, exec_lo, s1
.LBB72_37:
	s_and_not1_saveexec_b32 s0, s0
	s_cbranch_execz .LBB72_39
; %bb.38:
	v_dual_mov_b32 v80, v72 :: v_dual_mov_b32 v81, v73
	v_dual_mov_b32 v88, v70 :: v_dual_mov_b32 v89, v71
	;; [unrolled: 1-line block ×12, first 2 shown]
	ds_store_2addr_b64 v84, v[80:81], v[88:89] offset0:2 offset1:3
	ds_store_2addr_b64 v84, v[90:91], v[92:93] offset0:4 offset1:5
	;; [unrolled: 1-line block ×6, first 2 shown]
	v_dual_mov_b32 v80, v40 :: v_dual_mov_b32 v81, v41
	v_dual_mov_b32 v88, v36 :: v_dual_mov_b32 v89, v37
	;; [unrolled: 1-line block ×12, first 2 shown]
	ds_store_2addr_b64 v84, v[80:81], v[88:89] offset0:14 offset1:15
	ds_store_2addr_b64 v84, v[90:91], v[92:93] offset0:16 offset1:17
	;; [unrolled: 1-line block ×6, first 2 shown]
	v_dual_mov_b32 v80, v48 :: v_dual_mov_b32 v81, v49
	v_dual_mov_b32 v88, v44 :: v_dual_mov_b32 v89, v45
	;; [unrolled: 1-line block ×6, first 2 shown]
	ds_store_2addr_b64 v84, v[80:81], v[88:89] offset0:26 offset1:27
	ds_store_2addr_b64 v84, v[90:91], v[92:93] offset0:28 offset1:29
	v_dual_mov_b32 v88, 1 :: v_dual_mov_b32 v98, v6
	v_dual_mov_b32 v99, v7 :: v_dual_mov_b32 v100, v52
	;; [unrolled: 1-line block ×4, first 2 shown]
	v_mov_b32_e32 v105, v17
	ds_store_2addr_b64 v84, v[94:95], v[96:97] offset0:30 offset1:31
	ds_store_2addr_b64 v84, v[98:99], v[100:101] offset0:32 offset1:33
	;; [unrolled: 1-line block ×3, first 2 shown]
	ds_store_b64 v84, v[78:79] offset:288
.LBB72_39:
	s_or_b32 exec_lo, exec_lo, s0
	s_delay_alu instid0(SALU_CYCLE_1)
	s_mov_b32 s0, exec_lo
	s_wait_storecnt_dscnt 0x0
	s_barrier_signal -1
	s_barrier_wait -1
	v_cmpx_lt_i32_e32 1, v88
	s_cbranch_execz .LBB72_41
; %bb.40:
	v_pk_mul_f32 v[90:91], v[82:83], v[76:77] op_sel:[1,1] op_sel_hi:[0,1]
	s_delay_alu instid0(VALU_DEP_1)
	v_pk_fma_f32 v[80:81], v[82:83], v[76:77], v[90:91] op_sel_hi:[1,0,1] neg_lo:[0,0,1] neg_hi:[0,0,1]
	v_pk_fma_f32 v[82:83], v[82:83], v[76:77], v[90:91] op_sel_hi:[1,0,1]
	ds_load_2addr_b64 v[90:93], v84 offset0:2 offset1:3
	v_dual_mov_b32 v76, v80 :: v_dual_mov_b32 v77, v83
	s_wait_dscnt 0x0
	v_pk_mul_f32 v[94:95], v[90:91], v[82:83] op_sel:[0,1]
	s_delay_alu instid0(VALU_DEP_1) | instskip(SKIP_1) | instid1(VALU_DEP_1)
	v_pk_fma_f32 v[96:97], v[90:91], v[80:81], v[94:95] op_sel:[0,0,1] op_sel_hi:[1,1,0] neg_lo:[0,0,1] neg_hi:[0,0,1]
	v_pk_fma_f32 v[90:91], v[90:91], v[80:81], v[94:95] op_sel:[0,0,1] op_sel_hi:[1,0,0]
	v_mov_b32_e32 v97, v91
	v_pk_mul_f32 v[90:91], v[92:93], v[82:83] op_sel:[0,1]
	s_delay_alu instid0(VALU_DEP_1) | instskip(SKIP_1) | instid1(VALU_DEP_1)
	v_pk_fma_f32 v[94:95], v[92:93], v[80:81], v[90:91] op_sel:[0,0,1] op_sel_hi:[1,1,0] neg_lo:[0,0,1] neg_hi:[0,0,1]
	v_pk_fma_f32 v[90:91], v[92:93], v[80:81], v[90:91] op_sel:[0,0,1] op_sel_hi:[1,0,0]
	v_mov_b32_e32 v95, v91
	ds_load_2addr_b64 v[90:93], v84 offset0:4 offset1:5
	v_pk_add_f32 v[72:73], v[72:73], v[96:97] neg_lo:[0,1] neg_hi:[0,1]
	v_pk_add_f32 v[70:71], v[70:71], v[94:95] neg_lo:[0,1] neg_hi:[0,1]
	s_wait_dscnt 0x0
	v_pk_mul_f32 v[94:95], v[90:91], v[82:83] op_sel:[0,1]
	s_delay_alu instid0(VALU_DEP_1) | instskip(SKIP_2) | instid1(VALU_DEP_2)
	v_pk_fma_f32 v[96:97], v[90:91], v[80:81], v[94:95] op_sel:[0,0,1] op_sel_hi:[1,1,0] neg_lo:[0,0,1] neg_hi:[0,0,1]
	v_pk_fma_f32 v[90:91], v[90:91], v[80:81], v[94:95] op_sel:[0,0,1] op_sel_hi:[1,0,0]
	v_dual_mul_f32 v94, v93, v83 :: v_dual_mov_b32 v90, v93
	v_dual_mov_b32 v97, v91 :: v_dual_mov_b32 v91, v92
	s_delay_alu instid0(VALU_DEP_2) | instskip(SKIP_1) | instid1(VALU_DEP_3)
	v_pk_fma_f32 v[94:95], v[92:93], v[76:77], v[94:95] op_sel_hi:[1,1,0] neg_lo:[0,0,1] neg_hi:[0,0,1]
	v_mul_f32_e32 v92, v93, v80
	v_pk_add_f32 v[24:25], v[24:25], v[96:97] neg_lo:[0,1] neg_hi:[0,1]
	s_delay_alu instid0(VALU_DEP_2) | instskip(NEXT) | instid1(VALU_DEP_1)
	v_pk_fma_f32 v[90:91], v[90:91], v[76:77], v[92:93] op_sel_hi:[1,1,0]
	v_mov_b32_e32 v95, v91
	ds_load_2addr_b64 v[90:93], v84 offset0:6 offset1:7
	v_pk_add_f32 v[20:21], v[20:21], v[94:95] neg_lo:[0,1] neg_hi:[0,1]
	s_wait_dscnt 0x0
	v_pk_mul_f32 v[94:95], v[90:91], v[82:83] op_sel:[0,1]
	s_delay_alu instid0(VALU_DEP_1) | instskip(SKIP_1) | instid1(VALU_DEP_1)
	v_pk_fma_f32 v[96:97], v[90:91], v[80:81], v[94:95] op_sel:[0,0,1] op_sel_hi:[1,1,0] neg_lo:[0,0,1] neg_hi:[0,0,1]
	v_pk_fma_f32 v[90:91], v[90:91], v[80:81], v[94:95] op_sel:[0,0,1] op_sel_hi:[1,0,0]
	v_mov_b32_e32 v97, v91
	v_pk_mul_f32 v[90:91], v[92:93], v[82:83] op_sel:[0,1]
	s_delay_alu instid0(VALU_DEP_1) | instskip(SKIP_1) | instid1(VALU_DEP_1)
	v_pk_fma_f32 v[94:95], v[92:93], v[80:81], v[90:91] op_sel:[0,0,1] op_sel_hi:[1,1,0] neg_lo:[0,0,1] neg_hi:[0,0,1]
	v_pk_fma_f32 v[90:91], v[92:93], v[80:81], v[90:91] op_sel:[0,0,1] op_sel_hi:[1,0,0]
	v_mov_b32_e32 v95, v91
	ds_load_2addr_b64 v[90:93], v84 offset0:8 offset1:9
	v_pk_add_f32 v[22:23], v[22:23], v[96:97] neg_lo:[0,1] neg_hi:[0,1]
	v_pk_add_f32 v[18:19], v[18:19], v[94:95] neg_lo:[0,1] neg_hi:[0,1]
	s_wait_dscnt 0x0
	v_pk_mul_f32 v[94:95], v[90:91], v[82:83] op_sel:[0,1]
	s_delay_alu instid0(VALU_DEP_1) | instskip(SKIP_1) | instid1(VALU_DEP_1)
	v_pk_fma_f32 v[96:97], v[90:91], v[80:81], v[94:95] op_sel:[0,0,1] op_sel_hi:[1,1,0] neg_lo:[0,0,1] neg_hi:[0,0,1]
	v_pk_fma_f32 v[90:91], v[90:91], v[80:81], v[94:95] op_sel:[0,0,1] op_sel_hi:[1,0,0]
	v_mov_b32_e32 v97, v91
	v_pk_mul_f32 v[90:91], v[92:93], v[82:83] op_sel:[0,1]
	s_delay_alu instid0(VALU_DEP_1) | instskip(SKIP_1) | instid1(VALU_DEP_1)
	v_pk_fma_f32 v[94:95], v[92:93], v[80:81], v[90:91] op_sel:[0,0,1] op_sel_hi:[1,1,0] neg_lo:[0,0,1] neg_hi:[0,0,1]
	v_pk_fma_f32 v[90:91], v[92:93], v[80:81], v[90:91] op_sel:[0,0,1] op_sel_hi:[1,0,0]
	v_mov_b32_e32 v95, v91
	ds_load_2addr_b64 v[90:93], v84 offset0:10 offset1:11
	v_pk_add_f32 v[32:33], v[32:33], v[96:97] neg_lo:[0,1] neg_hi:[0,1]
	v_pk_add_f32 v[28:29], v[28:29], v[94:95] neg_lo:[0,1] neg_hi:[0,1]
	s_wait_dscnt 0x0
	v_dual_mul_f32 v94, v91, v83 :: v_dual_mul_f32 v96, v91, v80
	s_delay_alu instid0(VALU_DEP_1) | instskip(NEXT) | instid1(VALU_DEP_2)
	v_pk_fma_f32 v[94:95], v[90:91], v[76:77], v[94:95] op_sel_hi:[1,1,0] neg_lo:[0,0,1] neg_hi:[0,0,1]
	v_pk_fma_f32 v[90:91], v[90:91], v[76:77], v[96:97] op_sel:[1,0,0] op_sel_hi:[0,1,0]
	s_delay_alu instid0(VALU_DEP_1) | instskip(SKIP_1) | instid1(VALU_DEP_2)
	v_mov_b32_e32 v95, v91
	v_pk_mul_f32 v[90:91], v[92:93], v[82:83] op_sel:[0,1]
	v_pk_add_f32 v[30:31], v[30:31], v[94:95] neg_lo:[0,1] neg_hi:[0,1]
	s_delay_alu instid0(VALU_DEP_2) | instskip(SKIP_1) | instid1(VALU_DEP_1)
	v_pk_fma_f32 v[94:95], v[92:93], v[80:81], v[90:91] op_sel:[0,0,1] op_sel_hi:[1,1,0] neg_lo:[0,0,1] neg_hi:[0,0,1]
	v_pk_fma_f32 v[90:91], v[92:93], v[80:81], v[90:91] op_sel:[0,0,1] op_sel_hi:[1,0,0]
	v_mov_b32_e32 v95, v91
	ds_load_2addr_b64 v[90:93], v84 offset0:12 offset1:13
	v_pk_add_f32 v[26:27], v[26:27], v[94:95] neg_lo:[0,1] neg_hi:[0,1]
	s_wait_dscnt 0x0
	v_pk_mul_f32 v[94:95], v[90:91], v[82:83] op_sel:[0,1]
	s_delay_alu instid0(VALU_DEP_1) | instskip(SKIP_1) | instid1(VALU_DEP_1)
	v_pk_fma_f32 v[96:97], v[90:91], v[80:81], v[94:95] op_sel:[0,0,1] op_sel_hi:[1,1,0] neg_lo:[0,0,1] neg_hi:[0,0,1]
	v_pk_fma_f32 v[90:91], v[90:91], v[80:81], v[94:95] op_sel:[0,0,1] op_sel_hi:[1,0,0]
	v_mov_b32_e32 v97, v91
	v_pk_mul_f32 v[90:91], v[92:93], v[82:83] op_sel:[0,1]
	s_delay_alu instid0(VALU_DEP_2) | instskip(NEXT) | instid1(VALU_DEP_2)
	v_pk_add_f32 v[42:43], v[42:43], v[96:97] neg_lo:[0,1] neg_hi:[0,1]
	v_pk_fma_f32 v[94:95], v[92:93], v[80:81], v[90:91] op_sel:[0,0,1] op_sel_hi:[1,1,0] neg_lo:[0,0,1] neg_hi:[0,0,1]
	v_pk_fma_f32 v[90:91], v[92:93], v[80:81], v[90:91] op_sel:[0,0,1] op_sel_hi:[1,0,0]
	s_delay_alu instid0(VALU_DEP_1) | instskip(SKIP_4) | instid1(VALU_DEP_1)
	v_mov_b32_e32 v95, v91
	ds_load_2addr_b64 v[90:93], v84 offset0:14 offset1:15
	v_pk_add_f32 v[38:39], v[38:39], v[94:95] neg_lo:[0,1] neg_hi:[0,1]
	s_wait_dscnt 0x0
	v_pk_mul_f32 v[94:95], v[90:91], v[82:83] op_sel:[0,1]
	v_pk_fma_f32 v[96:97], v[90:91], v[80:81], v[94:95] op_sel:[0,0,1] op_sel_hi:[1,1,0] neg_lo:[0,0,1] neg_hi:[0,0,1]
	v_pk_fma_f32 v[90:91], v[90:91], v[80:81], v[94:95] op_sel:[0,0,1] op_sel_hi:[1,0,0]
	v_dual_mul_f32 v94, v93, v83 :: v_dual_mov_b32 v90, v93
	s_delay_alu instid0(VALU_DEP_2) | instskip(NEXT) | instid1(VALU_DEP_2)
	v_dual_mov_b32 v97, v91 :: v_dual_mov_b32 v91, v92
	v_pk_fma_f32 v[94:95], v[92:93], v[76:77], v[94:95] op_sel_hi:[1,1,0] neg_lo:[0,0,1] neg_hi:[0,0,1]
	v_mul_f32_e32 v92, v93, v80
	s_delay_alu instid0(VALU_DEP_3) | instskip(NEXT) | instid1(VALU_DEP_2)
	v_pk_add_f32 v[40:41], v[40:41], v[96:97] neg_lo:[0,1] neg_hi:[0,1]
	v_pk_fma_f32 v[90:91], v[90:91], v[76:77], v[92:93] op_sel_hi:[1,1,0]
	s_delay_alu instid0(VALU_DEP_1) | instskip(SKIP_4) | instid1(VALU_DEP_1)
	v_mov_b32_e32 v95, v91
	ds_load_2addr_b64 v[90:93], v84 offset0:16 offset1:17
	v_pk_add_f32 v[36:37], v[36:37], v[94:95] neg_lo:[0,1] neg_hi:[0,1]
	s_wait_dscnt 0x0
	v_pk_mul_f32 v[94:95], v[90:91], v[82:83] op_sel:[0,1]
	v_pk_fma_f32 v[96:97], v[90:91], v[80:81], v[94:95] op_sel:[0,0,1] op_sel_hi:[1,1,0] neg_lo:[0,0,1] neg_hi:[0,0,1]
	v_pk_fma_f32 v[90:91], v[90:91], v[80:81], v[94:95] op_sel:[0,0,1] op_sel_hi:[1,0,0]
	s_delay_alu instid0(VALU_DEP_1) | instskip(SKIP_1) | instid1(VALU_DEP_1)
	v_mov_b32_e32 v97, v91
	v_pk_mul_f32 v[90:91], v[92:93], v[82:83] op_sel:[0,1]
	v_pk_fma_f32 v[94:95], v[92:93], v[80:81], v[90:91] op_sel:[0,0,1] op_sel_hi:[1,1,0] neg_lo:[0,0,1] neg_hi:[0,0,1]
	v_pk_fma_f32 v[90:91], v[92:93], v[80:81], v[90:91] op_sel:[0,0,1] op_sel_hi:[1,0,0]
	s_delay_alu instid0(VALU_DEP_1)
	v_mov_b32_e32 v95, v91
	ds_load_2addr_b64 v[90:93], v84 offset0:18 offset1:19
	v_pk_add_f32 v[68:69], v[68:69], v[96:97] neg_lo:[0,1] neg_hi:[0,1]
	v_pk_add_f32 v[64:65], v[64:65], v[94:95] neg_lo:[0,1] neg_hi:[0,1]
	s_wait_dscnt 0x0
	v_pk_mul_f32 v[94:95], v[90:91], v[82:83] op_sel:[0,1]
	s_delay_alu instid0(VALU_DEP_1) | instskip(SKIP_1) | instid1(VALU_DEP_1)
	v_pk_fma_f32 v[96:97], v[90:91], v[80:81], v[94:95] op_sel:[0,0,1] op_sel_hi:[1,1,0] neg_lo:[0,0,1] neg_hi:[0,0,1]
	v_pk_fma_f32 v[90:91], v[90:91], v[80:81], v[94:95] op_sel:[0,0,1] op_sel_hi:[1,0,0]
	v_mov_b32_e32 v97, v91
	v_pk_mul_f32 v[90:91], v[92:93], v[82:83] op_sel:[0,1]
	s_delay_alu instid0(VALU_DEP_1) | instskip(SKIP_1) | instid1(VALU_DEP_1)
	v_pk_fma_f32 v[94:95], v[92:93], v[80:81], v[90:91] op_sel:[0,0,1] op_sel_hi:[1,1,0] neg_lo:[0,0,1] neg_hi:[0,0,1]
	v_pk_fma_f32 v[90:91], v[92:93], v[80:81], v[90:91] op_sel:[0,0,1] op_sel_hi:[1,0,0]
	v_mov_b32_e32 v95, v91
	ds_load_2addr_b64 v[90:93], v84 offset0:20 offset1:21
	v_pk_add_f32 v[66:67], v[66:67], v[96:97] neg_lo:[0,1] neg_hi:[0,1]
	v_pk_add_f32 v[62:63], v[62:63], v[94:95] neg_lo:[0,1] neg_hi:[0,1]
	s_wait_dscnt 0x0
	v_dual_mul_f32 v94, v91, v83 :: v_dual_mul_f32 v96, v91, v80
	s_delay_alu instid0(VALU_DEP_1) | instskip(NEXT) | instid1(VALU_DEP_2)
	v_pk_fma_f32 v[94:95], v[90:91], v[76:77], v[94:95] op_sel_hi:[1,1,0] neg_lo:[0,0,1] neg_hi:[0,0,1]
	v_pk_fma_f32 v[90:91], v[90:91], v[76:77], v[96:97] op_sel:[1,0,0] op_sel_hi:[0,1,0]
	s_delay_alu instid0(VALU_DEP_1) | instskip(SKIP_1) | instid1(VALU_DEP_2)
	v_mov_b32_e32 v95, v91
	v_pk_mul_f32 v[90:91], v[92:93], v[82:83] op_sel:[0,1]
	v_pk_add_f32 v[60:61], v[60:61], v[94:95] neg_lo:[0,1] neg_hi:[0,1]
	s_delay_alu instid0(VALU_DEP_2) | instskip(SKIP_1) | instid1(VALU_DEP_1)
	v_pk_fma_f32 v[94:95], v[92:93], v[80:81], v[90:91] op_sel:[0,0,1] op_sel_hi:[1,1,0] neg_lo:[0,0,1] neg_hi:[0,0,1]
	v_pk_fma_f32 v[90:91], v[92:93], v[80:81], v[90:91] op_sel:[0,0,1] op_sel_hi:[1,0,0]
	v_mov_b32_e32 v95, v91
	ds_load_2addr_b64 v[90:93], v84 offset0:22 offset1:23
	v_pk_add_f32 v[56:57], v[56:57], v[94:95] neg_lo:[0,1] neg_hi:[0,1]
	s_wait_dscnt 0x0
	v_pk_mul_f32 v[94:95], v[90:91], v[82:83] op_sel:[0,1]
	s_delay_alu instid0(VALU_DEP_1) | instskip(SKIP_1) | instid1(VALU_DEP_1)
	v_pk_fma_f32 v[96:97], v[90:91], v[80:81], v[94:95] op_sel:[0,0,1] op_sel_hi:[1,1,0] neg_lo:[0,0,1] neg_hi:[0,0,1]
	v_pk_fma_f32 v[90:91], v[90:91], v[80:81], v[94:95] op_sel:[0,0,1] op_sel_hi:[1,0,0]
	v_mov_b32_e32 v97, v91
	v_pk_mul_f32 v[90:91], v[92:93], v[82:83] op_sel:[0,1]
	s_delay_alu instid0(VALU_DEP_2) | instskip(NEXT) | instid1(VALU_DEP_2)
	v_pk_add_f32 v[58:59], v[58:59], v[96:97] neg_lo:[0,1] neg_hi:[0,1]
	v_pk_fma_f32 v[94:95], v[92:93], v[80:81], v[90:91] op_sel:[0,0,1] op_sel_hi:[1,1,0] neg_lo:[0,0,1] neg_hi:[0,0,1]
	v_pk_fma_f32 v[90:91], v[92:93], v[80:81], v[90:91] op_sel:[0,0,1] op_sel_hi:[1,0,0]
	s_delay_alu instid0(VALU_DEP_1) | instskip(SKIP_4) | instid1(VALU_DEP_1)
	v_mov_b32_e32 v95, v91
	ds_load_2addr_b64 v[90:93], v84 offset0:24 offset1:25
	v_pk_add_f32 v[54:55], v[54:55], v[94:95] neg_lo:[0,1] neg_hi:[0,1]
	s_wait_dscnt 0x0
	v_pk_mul_f32 v[94:95], v[90:91], v[82:83] op_sel:[0,1]
	v_pk_fma_f32 v[96:97], v[90:91], v[80:81], v[94:95] op_sel:[0,0,1] op_sel_hi:[1,1,0] neg_lo:[0,0,1] neg_hi:[0,0,1]
	v_pk_fma_f32 v[90:91], v[90:91], v[80:81], v[94:95] op_sel:[0,0,1] op_sel_hi:[1,0,0]
	v_dual_mul_f32 v94, v93, v83 :: v_dual_mov_b32 v90, v93
	s_delay_alu instid0(VALU_DEP_2) | instskip(NEXT) | instid1(VALU_DEP_2)
	v_dual_mov_b32 v97, v91 :: v_dual_mov_b32 v91, v92
	v_pk_fma_f32 v[94:95], v[92:93], v[76:77], v[94:95] op_sel_hi:[1,1,0] neg_lo:[0,0,1] neg_hi:[0,0,1]
	v_mul_f32_e32 v92, v93, v80
	s_delay_alu instid0(VALU_DEP_3) | instskip(NEXT) | instid1(VALU_DEP_2)
	v_pk_add_f32 v[50:51], v[50:51], v[96:97] neg_lo:[0,1] neg_hi:[0,1]
	v_pk_fma_f32 v[90:91], v[90:91], v[76:77], v[92:93] op_sel_hi:[1,1,0]
	s_delay_alu instid0(VALU_DEP_1) | instskip(SKIP_4) | instid1(VALU_DEP_1)
	v_mov_b32_e32 v95, v91
	ds_load_2addr_b64 v[90:93], v84 offset0:26 offset1:27
	v_pk_add_f32 v[46:47], v[46:47], v[94:95] neg_lo:[0,1] neg_hi:[0,1]
	s_wait_dscnt 0x0
	v_pk_mul_f32 v[94:95], v[90:91], v[82:83] op_sel:[0,1]
	v_pk_fma_f32 v[96:97], v[90:91], v[80:81], v[94:95] op_sel:[0,0,1] op_sel_hi:[1,1,0] neg_lo:[0,0,1] neg_hi:[0,0,1]
	v_pk_fma_f32 v[90:91], v[90:91], v[80:81], v[94:95] op_sel:[0,0,1] op_sel_hi:[1,0,0]
	s_delay_alu instid0(VALU_DEP_1) | instskip(SKIP_1) | instid1(VALU_DEP_1)
	v_mov_b32_e32 v97, v91
	v_pk_mul_f32 v[90:91], v[92:93], v[82:83] op_sel:[0,1]
	v_pk_fma_f32 v[94:95], v[92:93], v[80:81], v[90:91] op_sel:[0,0,1] op_sel_hi:[1,1,0] neg_lo:[0,0,1] neg_hi:[0,0,1]
	v_pk_fma_f32 v[90:91], v[92:93], v[80:81], v[90:91] op_sel:[0,0,1] op_sel_hi:[1,0,0]
	s_delay_alu instid0(VALU_DEP_1)
	v_mov_b32_e32 v95, v91
	ds_load_2addr_b64 v[90:93], v84 offset0:28 offset1:29
	v_pk_add_f32 v[48:49], v[48:49], v[96:97] neg_lo:[0,1] neg_hi:[0,1]
	v_pk_add_f32 v[44:45], v[44:45], v[94:95] neg_lo:[0,1] neg_hi:[0,1]
	s_wait_dscnt 0x0
	v_pk_mul_f32 v[94:95], v[90:91], v[82:83] op_sel:[0,1]
	s_delay_alu instid0(VALU_DEP_1) | instskip(SKIP_1) | instid1(VALU_DEP_1)
	v_pk_fma_f32 v[96:97], v[90:91], v[80:81], v[94:95] op_sel:[0,0,1] op_sel_hi:[1,1,0] neg_lo:[0,0,1] neg_hi:[0,0,1]
	v_pk_fma_f32 v[90:91], v[90:91], v[80:81], v[94:95] op_sel:[0,0,1] op_sel_hi:[1,0,0]
	v_mov_b32_e32 v97, v91
	v_pk_mul_f32 v[90:91], v[92:93], v[82:83] op_sel:[0,1]
	s_delay_alu instid0(VALU_DEP_1) | instskip(SKIP_1) | instid1(VALU_DEP_1)
	v_pk_fma_f32 v[94:95], v[92:93], v[80:81], v[90:91] op_sel:[0,0,1] op_sel_hi:[1,1,0] neg_lo:[0,0,1] neg_hi:[0,0,1]
	v_pk_fma_f32 v[90:91], v[92:93], v[80:81], v[90:91] op_sel:[0,0,1] op_sel_hi:[1,0,0]
	v_mov_b32_e32 v95, v91
	ds_load_2addr_b64 v[90:93], v84 offset0:30 offset1:31
	v_pk_add_f32 v[14:15], v[14:15], v[96:97] neg_lo:[0,1] neg_hi:[0,1]
	v_pk_add_f32 v[10:11], v[10:11], v[94:95] neg_lo:[0,1] neg_hi:[0,1]
	s_wait_dscnt 0x0
	v_dual_mul_f32 v94, v91, v83 :: v_dual_mul_f32 v96, v91, v80
	s_delay_alu instid0(VALU_DEP_1) | instskip(NEXT) | instid1(VALU_DEP_2)
	v_pk_fma_f32 v[94:95], v[90:91], v[76:77], v[94:95] op_sel_hi:[1,1,0] neg_lo:[0,0,1] neg_hi:[0,0,1]
	v_pk_fma_f32 v[90:91], v[90:91], v[76:77], v[96:97] op_sel:[1,0,0] op_sel_hi:[0,1,0]
	s_delay_alu instid0(VALU_DEP_1) | instskip(SKIP_1) | instid1(VALU_DEP_2)
	v_mov_b32_e32 v95, v91
	v_pk_mul_f32 v[90:91], v[92:93], v[82:83] op_sel:[0,1]
	v_pk_add_f32 v[12:13], v[12:13], v[94:95] neg_lo:[0,1] neg_hi:[0,1]
	s_delay_alu instid0(VALU_DEP_2) | instskip(SKIP_1) | instid1(VALU_DEP_1)
	v_pk_fma_f32 v[94:95], v[92:93], v[80:81], v[90:91] op_sel:[0,0,1] op_sel_hi:[1,1,0] neg_lo:[0,0,1] neg_hi:[0,0,1]
	v_pk_fma_f32 v[90:91], v[92:93], v[80:81], v[90:91] op_sel:[0,0,1] op_sel_hi:[1,0,0]
	v_mov_b32_e32 v95, v91
	ds_load_2addr_b64 v[90:93], v84 offset0:32 offset1:33
	v_pk_add_f32 v[8:9], v[8:9], v[94:95] neg_lo:[0,1] neg_hi:[0,1]
	s_wait_dscnt 0x0
	v_pk_mul_f32 v[94:95], v[90:91], v[82:83] op_sel:[0,1]
	s_delay_alu instid0(VALU_DEP_1) | instskip(SKIP_1) | instid1(VALU_DEP_1)
	v_pk_fma_f32 v[96:97], v[90:91], v[80:81], v[94:95] op_sel:[0,0,1] op_sel_hi:[1,1,0] neg_lo:[0,0,1] neg_hi:[0,0,1]
	v_pk_fma_f32 v[90:91], v[90:91], v[80:81], v[94:95] op_sel:[0,0,1] op_sel_hi:[1,0,0]
	v_mov_b32_e32 v97, v91
	v_pk_mul_f32 v[90:91], v[92:93], v[82:83] op_sel:[0,1]
	s_delay_alu instid0(VALU_DEP_2) | instskip(NEXT) | instid1(VALU_DEP_2)
	v_pk_add_f32 v[6:7], v[6:7], v[96:97] neg_lo:[0,1] neg_hi:[0,1]
	v_pk_fma_f32 v[94:95], v[92:93], v[80:81], v[90:91] op_sel:[0,0,1] op_sel_hi:[1,1,0] neg_lo:[0,0,1] neg_hi:[0,0,1]
	v_pk_fma_f32 v[90:91], v[92:93], v[80:81], v[90:91] op_sel:[0,0,1] op_sel_hi:[1,0,0]
	s_delay_alu instid0(VALU_DEP_1) | instskip(SKIP_4) | instid1(VALU_DEP_1)
	v_mov_b32_e32 v95, v91
	ds_load_2addr_b64 v[90:93], v84 offset0:34 offset1:35
	v_pk_add_f32 v[52:53], v[52:53], v[94:95] neg_lo:[0,1] neg_hi:[0,1]
	s_wait_dscnt 0x0
	v_pk_mul_f32 v[94:95], v[90:91], v[82:83] op_sel:[0,1]
	v_pk_fma_f32 v[96:97], v[90:91], v[80:81], v[94:95] op_sel:[0,0,1] op_sel_hi:[1,1,0] neg_lo:[0,0,1] neg_hi:[0,0,1]
	v_pk_fma_f32 v[90:91], v[90:91], v[80:81], v[94:95] op_sel:[0,0,1] op_sel_hi:[1,0,0]
	v_dual_mul_f32 v94, v93, v83 :: v_dual_mov_b32 v90, v93
	s_delay_alu instid0(VALU_DEP_2) | instskip(NEXT) | instid1(VALU_DEP_2)
	v_dual_mov_b32 v97, v91 :: v_dual_mov_b32 v91, v92
	v_pk_fma_f32 v[94:95], v[92:93], v[76:77], v[94:95] op_sel_hi:[1,1,0] neg_lo:[0,0,1] neg_hi:[0,0,1]
	v_mul_f32_e32 v92, v93, v80
	s_delay_alu instid0(VALU_DEP_3) | instskip(NEXT) | instid1(VALU_DEP_2)
	v_pk_add_f32 v[34:35], v[34:35], v[96:97] neg_lo:[0,1] neg_hi:[0,1]
	v_pk_fma_f32 v[90:91], v[90:91], v[76:77], v[92:93] op_sel_hi:[1,1,0]
	s_delay_alu instid0(VALU_DEP_1) | instskip(SKIP_4) | instid1(VALU_DEP_1)
	v_mov_b32_e32 v95, v91
	ds_load_b64 v[90:91], v84 offset:288
	v_pk_add_f32 v[16:17], v[16:17], v[94:95] neg_lo:[0,1] neg_hi:[0,1]
	s_wait_dscnt 0x0
	v_pk_mul_f32 v[82:83], v[90:91], v[82:83] op_sel:[0,1]
	v_pk_fma_f32 v[92:93], v[90:91], v[80:81], v[82:83] op_sel:[0,0,1] op_sel_hi:[1,1,0] neg_lo:[0,0,1] neg_hi:[0,0,1]
	v_pk_fma_f32 v[80:81], v[90:91], v[80:81], v[82:83] op_sel:[0,0,1] op_sel_hi:[1,0,0]
	s_delay_alu instid0(VALU_DEP_1) | instskip(NEXT) | instid1(VALU_DEP_1)
	v_mov_b32_e32 v93, v81
	v_pk_add_f32 v[78:79], v[78:79], v[92:93] neg_lo:[0,1] neg_hi:[0,1]
.LBB72_41:
	s_or_b32 exec_lo, exec_lo, s0
	v_lshl_add_u32 v80, v88, 3, v84
	s_barrier_signal -1
	s_barrier_wait -1
	ds_store_b64 v80, v[72:73]
	s_wait_dscnt 0x0
	s_barrier_signal -1
	s_barrier_wait -1
	ds_load_b64 v[82:83], v84 offset:16
	v_mov_b32_e32 v80, 2
	s_cmp_lt_i32 s18, 4
	s_mov_b32 s0, 3
	s_cbranch_scc1 .LBB72_44
; %bb.42:
	v_add3_u32 v81, v85, 0, 24
	v_mov_b32_e32 v80, 2
.LBB72_43:                              ; =>This Inner Loop Header: Depth=1
	ds_load_b64 v[90:91], v81
	s_wait_dscnt 0x1
	v_cmp_gt_f32_e32 vcc_lo, 0, v82
	v_cndmask_b32_e64 v92, v82, -v82, vcc_lo
	v_cmp_gt_f32_e32 vcc_lo, 0, v83
	v_cndmask_b32_e64 v94, v83, -v83, vcc_lo
	s_wait_dscnt 0x0
	v_cmp_gt_f32_e32 vcc_lo, 0, v90
	v_cndmask_b32_e64 v93, v90, -v90, vcc_lo
	v_cmp_gt_f32_e32 vcc_lo, 0, v91
	v_cndmask_b32_e64 v95, v91, -v91, vcc_lo
	s_delay_alu instid0(VALU_DEP_1) | instskip(NEXT) | instid1(VALU_DEP_1)
	v_pk_add_f32 v[92:93], v[92:93], v[94:95]
	v_cmp_lt_f32_e32 vcc_lo, v92, v93
	v_dual_add_nc_u32 v81, 8, v81 :: v_dual_cndmask_b32 v83, v83, v91, vcc_lo
	v_cndmask_b32_e32 v82, v82, v90, vcc_lo
	v_cndmask_b32_e64 v80, v80, s0, vcc_lo
	s_add_co_i32 s0, s0, 1
	s_delay_alu instid0(SALU_CYCLE_1)
	s_cmp_lg_u32 s18, s0
	s_cbranch_scc1 .LBB72_43
.LBB72_44:
	s_wait_dscnt 0x0
	v_cmp_eq_f32_e32 vcc_lo, 0, v82
	v_cmp_eq_f32_e64 s0, 0, v83
	s_and_b32 s0, vcc_lo, s0
	s_delay_alu instid0(SALU_CYCLE_1) | instskip(NEXT) | instid1(SALU_CYCLE_1)
	s_and_saveexec_b32 s1, s0
	s_xor_b32 s0, exec_lo, s1
; %bb.45:
	v_cmp_ne_u32_e32 vcc_lo, 0, v86
	v_cndmask_b32_e32 v86, 3, v86, vcc_lo
; %bb.46:
	s_and_not1_saveexec_b32 s0, s0
	s_cbranch_execz .LBB72_52
; %bb.47:
	v_cmp_ngt_f32_e64 s1, |v82|, |v83|
	s_and_saveexec_b32 s12, s1
	s_delay_alu instid0(SALU_CYCLE_1)
	s_xor_b32 s1, exec_lo, s12
	s_cbranch_execz .LBB72_49
; %bb.48:
	v_div_scale_f32 v81, null, v83, v83, v82
	v_div_scale_f32 v91, vcc_lo, v82, v83, v82
	s_delay_alu instid0(VALU_DEP_2) | instskip(SKIP_1) | instid1(TRANS32_DEP_1)
	v_rcp_f32_e32 v89, v81
	v_nop
	v_fma_f32 v90, -v81, v89, 1.0
	s_delay_alu instid0(VALU_DEP_1) | instskip(NEXT) | instid1(VALU_DEP_1)
	v_fmac_f32_e32 v89, v90, v89
	v_mul_f32_e32 v90, v91, v89
	s_delay_alu instid0(VALU_DEP_1) | instskip(NEXT) | instid1(VALU_DEP_1)
	v_fma_f32 v92, -v81, v90, v91
	v_fmac_f32_e32 v90, v92, v89
	s_delay_alu instid0(VALU_DEP_1) | instskip(NEXT) | instid1(VALU_DEP_1)
	v_fma_f32 v81, -v81, v90, v91
	v_div_fmas_f32 v81, v81, v89, v90
	s_delay_alu instid0(VALU_DEP_1) | instskip(NEXT) | instid1(VALU_DEP_1)
	v_div_fixup_f32 v81, v81, v83, v82
	v_fmac_f32_e32 v83, v82, v81
	s_delay_alu instid0(VALU_DEP_1) | instskip(SKIP_1) | instid1(VALU_DEP_2)
	v_div_scale_f32 v82, null, v83, v83, 1.0
	v_div_scale_f32 v91, vcc_lo, 1.0, v83, 1.0
	v_rcp_f32_e32 v89, v82
	v_nop
	s_delay_alu instid0(TRANS32_DEP_1) | instskip(NEXT) | instid1(VALU_DEP_1)
	v_fma_f32 v90, -v82, v89, 1.0
	v_fmac_f32_e32 v89, v90, v89
	s_delay_alu instid0(VALU_DEP_1) | instskip(NEXT) | instid1(VALU_DEP_1)
	v_mul_f32_e32 v90, v91, v89
	v_fma_f32 v92, -v82, v90, v91
	s_delay_alu instid0(VALU_DEP_1) | instskip(NEXT) | instid1(VALU_DEP_1)
	v_fmac_f32_e32 v90, v92, v89
	v_fma_f32 v82, -v82, v90, v91
	s_delay_alu instid0(VALU_DEP_1) | instskip(NEXT) | instid1(VALU_DEP_1)
	v_div_fmas_f32 v82, v82, v89, v90
	v_div_fixup_f32 v83, v82, v83, 1.0
	s_delay_alu instid0(VALU_DEP_1)
	v_mul_f32_e32 v82, v81, v83
	v_xor_b32_e32 v83, 0x80000000, v83
.LBB72_49:
	s_and_not1_saveexec_b32 s1, s1
	s_cbranch_execz .LBB72_51
; %bb.50:
	s_delay_alu instid0(VALU_DEP_1) | instskip(SKIP_1) | instid1(VALU_DEP_2)
	v_div_scale_f32 v81, null, v82, v82, v83
	v_div_scale_f32 v91, vcc_lo, v83, v82, v83
	v_rcp_f32_e32 v89, v81
	v_nop
	s_delay_alu instid0(TRANS32_DEP_1) | instskip(NEXT) | instid1(VALU_DEP_1)
	v_fma_f32 v90, -v81, v89, 1.0
	v_fmac_f32_e32 v89, v90, v89
	s_delay_alu instid0(VALU_DEP_1) | instskip(NEXT) | instid1(VALU_DEP_1)
	v_mul_f32_e32 v90, v91, v89
	v_fma_f32 v92, -v81, v90, v91
	s_delay_alu instid0(VALU_DEP_1) | instskip(NEXT) | instid1(VALU_DEP_1)
	v_fmac_f32_e32 v90, v92, v89
	v_fma_f32 v81, -v81, v90, v91
	s_delay_alu instid0(VALU_DEP_1) | instskip(NEXT) | instid1(VALU_DEP_1)
	v_div_fmas_f32 v81, v81, v89, v90
	v_div_fixup_f32 v81, v81, v82, v83
	s_delay_alu instid0(VALU_DEP_1) | instskip(NEXT) | instid1(VALU_DEP_1)
	v_fmac_f32_e32 v82, v83, v81
	v_div_scale_f32 v83, null, v82, v82, 1.0
	s_delay_alu instid0(VALU_DEP_1) | instskip(SKIP_1) | instid1(TRANS32_DEP_1)
	v_rcp_f32_e32 v89, v83
	v_nop
	v_fma_f32 v90, -v83, v89, 1.0
	s_delay_alu instid0(VALU_DEP_1) | instskip(SKIP_1) | instid1(VALU_DEP_1)
	v_fmac_f32_e32 v89, v90, v89
	v_div_scale_f32 v90, vcc_lo, 1.0, v82, 1.0
	v_mul_f32_e32 v91, v90, v89
	s_delay_alu instid0(VALU_DEP_1) | instskip(NEXT) | instid1(VALU_DEP_1)
	v_fma_f32 v92, -v83, v91, v90
	v_fmac_f32_e32 v91, v92, v89
	s_delay_alu instid0(VALU_DEP_1) | instskip(NEXT) | instid1(VALU_DEP_1)
	v_fma_f32 v83, -v83, v91, v90
	v_div_fmas_f32 v83, v83, v89, v91
	s_delay_alu instid0(VALU_DEP_1) | instskip(NEXT) | instid1(VALU_DEP_1)
	v_div_fixup_f32 v82, v83, v82, 1.0
	v_mul_f32_e64 v83, v81, -v82
.LBB72_51:
	s_or_b32 exec_lo, exec_lo, s1
.LBB72_52:
	s_delay_alu instid0(SALU_CYCLE_1) | instskip(NEXT) | instid1(SALU_CYCLE_1)
	s_or_b32 exec_lo, exec_lo, s0
	s_mov_b32 s0, exec_lo
	v_cmpx_ne_u32_e64 v88, v80
	s_xor_b32 s0, exec_lo, s0
	s_cbranch_execz .LBB72_58
; %bb.53:
	s_mov_b32 s1, exec_lo
	v_cmpx_eq_u32_e32 2, v88
	s_cbranch_execz .LBB72_57
; %bb.54:
	v_cmp_ne_u32_e32 vcc_lo, 2, v80
	s_xor_b32 s12, s16, -1
	s_delay_alu instid0(SALU_CYCLE_1) | instskip(NEXT) | instid1(SALU_CYCLE_1)
	s_and_b32 s13, s12, vcc_lo
	s_and_saveexec_b32 s12, s13
	s_cbranch_execz .LBB72_56
; %bb.55:
	v_ashrrev_i32_e32 v81, 31, v80
	s_delay_alu instid0(VALU_DEP_1)
	v_lshl_add_u64 v[88:89], v[80:81], 2, v[4:5]
	s_clause 0x1
	global_load_b32 v81, v[88:89], off
	global_load_b32 v87, v[4:5], off offset:8
	s_wait_loadcnt 0x1
	global_store_b32 v[4:5], v81, off offset:8
	s_wait_loadcnt 0x0
	global_store_b32 v[88:89], v87, off
.LBB72_56:
	s_wait_xcnt 0x0
	s_or_b32 exec_lo, exec_lo, s12
	v_dual_mov_b32 v88, v80 :: v_dual_mov_b32 v87, v80
.LBB72_57:
	s_or_b32 exec_lo, exec_lo, s1
.LBB72_58:
	s_and_not1_saveexec_b32 s0, s0
	s_cbranch_execz .LBB72_60
; %bb.59:
	v_mov_b32_e32 v88, 2
	ds_store_2addr_b64 v84, v[70:71], v[24:25] offset0:3 offset1:4
	ds_store_2addr_b64 v84, v[20:21], v[22:23] offset0:5 offset1:6
	;; [unrolled: 1-line block ×17, first 2 shown]
.LBB72_60:
	s_or_b32 exec_lo, exec_lo, s0
	s_delay_alu instid0(SALU_CYCLE_1)
	s_mov_b32 s0, exec_lo
	s_wait_storecnt_dscnt 0x0
	s_barrier_signal -1
	s_barrier_wait -1
	v_cmpx_lt_i32_e32 2, v88
	s_cbranch_execz .LBB72_62
; %bb.61:
	v_pk_mul_f32 v[90:91], v[82:83], v[72:73] op_sel:[1,1] op_sel_hi:[0,1]
	s_delay_alu instid0(VALU_DEP_1)
	v_pk_fma_f32 v[80:81], v[82:83], v[72:73], v[90:91] op_sel_hi:[1,0,1] neg_lo:[0,0,1] neg_hi:[0,0,1]
	v_pk_fma_f32 v[82:83], v[82:83], v[72:73], v[90:91] op_sel_hi:[1,0,1]
	ds_load_2addr_b64 v[90:93], v84 offset0:3 offset1:4
	v_dual_mov_b32 v72, v80 :: v_dual_mov_b32 v73, v83
	s_wait_dscnt 0x0
	v_pk_mul_f32 v[94:95], v[90:91], v[82:83] op_sel:[0,1]
	s_delay_alu instid0(VALU_DEP_1) | instskip(SKIP_1) | instid1(VALU_DEP_1)
	v_pk_fma_f32 v[96:97], v[90:91], v[80:81], v[94:95] op_sel:[0,0,1] op_sel_hi:[1,1,0] neg_lo:[0,0,1] neg_hi:[0,0,1]
	v_pk_fma_f32 v[90:91], v[90:91], v[80:81], v[94:95] op_sel:[0,0,1] op_sel_hi:[1,0,0]
	v_mov_b32_e32 v97, v91
	v_pk_mul_f32 v[90:91], v[92:93], v[82:83] op_sel:[0,1]
	s_delay_alu instid0(VALU_DEP_1) | instskip(SKIP_1) | instid1(VALU_DEP_1)
	v_pk_fma_f32 v[94:95], v[92:93], v[80:81], v[90:91] op_sel:[0,0,1] op_sel_hi:[1,1,0] neg_lo:[0,0,1] neg_hi:[0,0,1]
	v_pk_fma_f32 v[90:91], v[92:93], v[80:81], v[90:91] op_sel:[0,0,1] op_sel_hi:[1,0,0]
	v_mov_b32_e32 v95, v91
	ds_load_2addr_b64 v[90:93], v84 offset0:5 offset1:6
	v_pk_add_f32 v[70:71], v[70:71], v[96:97] neg_lo:[0,1] neg_hi:[0,1]
	v_pk_add_f32 v[24:25], v[24:25], v[94:95] neg_lo:[0,1] neg_hi:[0,1]
	s_wait_dscnt 0x0
	v_pk_mul_f32 v[94:95], v[90:91], v[82:83] op_sel:[0,1]
	s_delay_alu instid0(VALU_DEP_1) | instskip(SKIP_2) | instid1(VALU_DEP_2)
	v_pk_fma_f32 v[96:97], v[90:91], v[80:81], v[94:95] op_sel:[0,0,1] op_sel_hi:[1,1,0] neg_lo:[0,0,1] neg_hi:[0,0,1]
	v_pk_fma_f32 v[90:91], v[90:91], v[80:81], v[94:95] op_sel:[0,0,1] op_sel_hi:[1,0,0]
	v_dual_mul_f32 v94, v93, v83 :: v_dual_mov_b32 v90, v93
	v_dual_mov_b32 v97, v91 :: v_dual_mov_b32 v91, v92
	s_delay_alu instid0(VALU_DEP_2) | instskip(SKIP_1) | instid1(VALU_DEP_3)
	v_pk_fma_f32 v[94:95], v[92:93], v[72:73], v[94:95] op_sel_hi:[1,1,0] neg_lo:[0,0,1] neg_hi:[0,0,1]
	v_mul_f32_e32 v92, v93, v80
	v_pk_add_f32 v[20:21], v[20:21], v[96:97] neg_lo:[0,1] neg_hi:[0,1]
	s_delay_alu instid0(VALU_DEP_2) | instskip(NEXT) | instid1(VALU_DEP_1)
	v_pk_fma_f32 v[90:91], v[90:91], v[72:73], v[92:93] op_sel_hi:[1,1,0]
	v_mov_b32_e32 v95, v91
	ds_load_2addr_b64 v[90:93], v84 offset0:7 offset1:8
	v_pk_add_f32 v[22:23], v[22:23], v[94:95] neg_lo:[0,1] neg_hi:[0,1]
	s_wait_dscnt 0x0
	v_pk_mul_f32 v[94:95], v[90:91], v[82:83] op_sel:[0,1]
	s_delay_alu instid0(VALU_DEP_1) | instskip(SKIP_1) | instid1(VALU_DEP_1)
	v_pk_fma_f32 v[96:97], v[90:91], v[80:81], v[94:95] op_sel:[0,0,1] op_sel_hi:[1,1,0] neg_lo:[0,0,1] neg_hi:[0,0,1]
	v_pk_fma_f32 v[90:91], v[90:91], v[80:81], v[94:95] op_sel:[0,0,1] op_sel_hi:[1,0,0]
	v_mov_b32_e32 v97, v91
	v_pk_mul_f32 v[90:91], v[92:93], v[82:83] op_sel:[0,1]
	s_delay_alu instid0(VALU_DEP_1) | instskip(SKIP_1) | instid1(VALU_DEP_1)
	v_pk_fma_f32 v[94:95], v[92:93], v[80:81], v[90:91] op_sel:[0,0,1] op_sel_hi:[1,1,0] neg_lo:[0,0,1] neg_hi:[0,0,1]
	v_pk_fma_f32 v[90:91], v[92:93], v[80:81], v[90:91] op_sel:[0,0,1] op_sel_hi:[1,0,0]
	v_mov_b32_e32 v95, v91
	ds_load_2addr_b64 v[90:93], v84 offset0:9 offset1:10
	v_pk_add_f32 v[18:19], v[18:19], v[96:97] neg_lo:[0,1] neg_hi:[0,1]
	v_pk_add_f32 v[32:33], v[32:33], v[94:95] neg_lo:[0,1] neg_hi:[0,1]
	s_wait_dscnt 0x0
	v_pk_mul_f32 v[94:95], v[90:91], v[82:83] op_sel:[0,1]
	s_delay_alu instid0(VALU_DEP_1) | instskip(SKIP_1) | instid1(VALU_DEP_1)
	v_pk_fma_f32 v[96:97], v[90:91], v[80:81], v[94:95] op_sel:[0,0,1] op_sel_hi:[1,1,0] neg_lo:[0,0,1] neg_hi:[0,0,1]
	v_pk_fma_f32 v[90:91], v[90:91], v[80:81], v[94:95] op_sel:[0,0,1] op_sel_hi:[1,0,0]
	v_mov_b32_e32 v97, v91
	v_pk_mul_f32 v[90:91], v[92:93], v[82:83] op_sel:[0,1]
	s_delay_alu instid0(VALU_DEP_1) | instskip(SKIP_1) | instid1(VALU_DEP_1)
	v_pk_fma_f32 v[94:95], v[92:93], v[80:81], v[90:91] op_sel:[0,0,1] op_sel_hi:[1,1,0] neg_lo:[0,0,1] neg_hi:[0,0,1]
	v_pk_fma_f32 v[90:91], v[92:93], v[80:81], v[90:91] op_sel:[0,0,1] op_sel_hi:[1,0,0]
	v_mov_b32_e32 v95, v91
	ds_load_2addr_b64 v[90:93], v84 offset0:11 offset1:12
	v_pk_add_f32 v[28:29], v[28:29], v[96:97] neg_lo:[0,1] neg_hi:[0,1]
	v_pk_add_f32 v[30:31], v[30:31], v[94:95] neg_lo:[0,1] neg_hi:[0,1]
	s_wait_dscnt 0x0
	v_dual_mul_f32 v94, v91, v83 :: v_dual_mul_f32 v96, v91, v80
	s_delay_alu instid0(VALU_DEP_1) | instskip(NEXT) | instid1(VALU_DEP_2)
	v_pk_fma_f32 v[94:95], v[90:91], v[72:73], v[94:95] op_sel_hi:[1,1,0] neg_lo:[0,0,1] neg_hi:[0,0,1]
	v_pk_fma_f32 v[90:91], v[90:91], v[72:73], v[96:97] op_sel:[1,0,0] op_sel_hi:[0,1,0]
	s_delay_alu instid0(VALU_DEP_1) | instskip(SKIP_1) | instid1(VALU_DEP_2)
	v_mov_b32_e32 v95, v91
	v_pk_mul_f32 v[90:91], v[92:93], v[82:83] op_sel:[0,1]
	v_pk_add_f32 v[26:27], v[26:27], v[94:95] neg_lo:[0,1] neg_hi:[0,1]
	s_delay_alu instid0(VALU_DEP_2) | instskip(SKIP_1) | instid1(VALU_DEP_1)
	v_pk_fma_f32 v[94:95], v[92:93], v[80:81], v[90:91] op_sel:[0,0,1] op_sel_hi:[1,1,0] neg_lo:[0,0,1] neg_hi:[0,0,1]
	v_pk_fma_f32 v[90:91], v[92:93], v[80:81], v[90:91] op_sel:[0,0,1] op_sel_hi:[1,0,0]
	v_mov_b32_e32 v95, v91
	ds_load_2addr_b64 v[90:93], v84 offset0:13 offset1:14
	v_pk_add_f32 v[42:43], v[42:43], v[94:95] neg_lo:[0,1] neg_hi:[0,1]
	s_wait_dscnt 0x0
	v_pk_mul_f32 v[94:95], v[90:91], v[82:83] op_sel:[0,1]
	s_delay_alu instid0(VALU_DEP_1) | instskip(SKIP_1) | instid1(VALU_DEP_1)
	v_pk_fma_f32 v[96:97], v[90:91], v[80:81], v[94:95] op_sel:[0,0,1] op_sel_hi:[1,1,0] neg_lo:[0,0,1] neg_hi:[0,0,1]
	v_pk_fma_f32 v[90:91], v[90:91], v[80:81], v[94:95] op_sel:[0,0,1] op_sel_hi:[1,0,0]
	v_mov_b32_e32 v97, v91
	v_pk_mul_f32 v[90:91], v[92:93], v[82:83] op_sel:[0,1]
	s_delay_alu instid0(VALU_DEP_2) | instskip(NEXT) | instid1(VALU_DEP_2)
	v_pk_add_f32 v[38:39], v[38:39], v[96:97] neg_lo:[0,1] neg_hi:[0,1]
	v_pk_fma_f32 v[94:95], v[92:93], v[80:81], v[90:91] op_sel:[0,0,1] op_sel_hi:[1,1,0] neg_lo:[0,0,1] neg_hi:[0,0,1]
	v_pk_fma_f32 v[90:91], v[92:93], v[80:81], v[90:91] op_sel:[0,0,1] op_sel_hi:[1,0,0]
	s_delay_alu instid0(VALU_DEP_1) | instskip(SKIP_4) | instid1(VALU_DEP_1)
	v_mov_b32_e32 v95, v91
	ds_load_2addr_b64 v[90:93], v84 offset0:15 offset1:16
	v_pk_add_f32 v[40:41], v[40:41], v[94:95] neg_lo:[0,1] neg_hi:[0,1]
	s_wait_dscnt 0x0
	v_pk_mul_f32 v[94:95], v[90:91], v[82:83] op_sel:[0,1]
	v_pk_fma_f32 v[96:97], v[90:91], v[80:81], v[94:95] op_sel:[0,0,1] op_sel_hi:[1,1,0] neg_lo:[0,0,1] neg_hi:[0,0,1]
	v_pk_fma_f32 v[90:91], v[90:91], v[80:81], v[94:95] op_sel:[0,0,1] op_sel_hi:[1,0,0]
	v_dual_mul_f32 v94, v93, v83 :: v_dual_mov_b32 v90, v93
	s_delay_alu instid0(VALU_DEP_2) | instskip(NEXT) | instid1(VALU_DEP_2)
	v_dual_mov_b32 v97, v91 :: v_dual_mov_b32 v91, v92
	v_pk_fma_f32 v[94:95], v[92:93], v[72:73], v[94:95] op_sel_hi:[1,1,0] neg_lo:[0,0,1] neg_hi:[0,0,1]
	v_mul_f32_e32 v92, v93, v80
	s_delay_alu instid0(VALU_DEP_3) | instskip(NEXT) | instid1(VALU_DEP_2)
	v_pk_add_f32 v[36:37], v[36:37], v[96:97] neg_lo:[0,1] neg_hi:[0,1]
	v_pk_fma_f32 v[90:91], v[90:91], v[72:73], v[92:93] op_sel_hi:[1,1,0]
	s_delay_alu instid0(VALU_DEP_1) | instskip(SKIP_4) | instid1(VALU_DEP_1)
	v_mov_b32_e32 v95, v91
	ds_load_2addr_b64 v[90:93], v84 offset0:17 offset1:18
	v_pk_add_f32 v[68:69], v[68:69], v[94:95] neg_lo:[0,1] neg_hi:[0,1]
	s_wait_dscnt 0x0
	v_pk_mul_f32 v[94:95], v[90:91], v[82:83] op_sel:[0,1]
	v_pk_fma_f32 v[96:97], v[90:91], v[80:81], v[94:95] op_sel:[0,0,1] op_sel_hi:[1,1,0] neg_lo:[0,0,1] neg_hi:[0,0,1]
	v_pk_fma_f32 v[90:91], v[90:91], v[80:81], v[94:95] op_sel:[0,0,1] op_sel_hi:[1,0,0]
	s_delay_alu instid0(VALU_DEP_1) | instskip(SKIP_1) | instid1(VALU_DEP_1)
	v_mov_b32_e32 v97, v91
	v_pk_mul_f32 v[90:91], v[92:93], v[82:83] op_sel:[0,1]
	v_pk_fma_f32 v[94:95], v[92:93], v[80:81], v[90:91] op_sel:[0,0,1] op_sel_hi:[1,1,0] neg_lo:[0,0,1] neg_hi:[0,0,1]
	v_pk_fma_f32 v[90:91], v[92:93], v[80:81], v[90:91] op_sel:[0,0,1] op_sel_hi:[1,0,0]
	s_delay_alu instid0(VALU_DEP_1)
	v_mov_b32_e32 v95, v91
	ds_load_2addr_b64 v[90:93], v84 offset0:19 offset1:20
	v_pk_add_f32 v[64:65], v[64:65], v[96:97] neg_lo:[0,1] neg_hi:[0,1]
	v_pk_add_f32 v[66:67], v[66:67], v[94:95] neg_lo:[0,1] neg_hi:[0,1]
	s_wait_dscnt 0x0
	v_pk_mul_f32 v[94:95], v[90:91], v[82:83] op_sel:[0,1]
	s_delay_alu instid0(VALU_DEP_1) | instskip(SKIP_1) | instid1(VALU_DEP_1)
	v_pk_fma_f32 v[96:97], v[90:91], v[80:81], v[94:95] op_sel:[0,0,1] op_sel_hi:[1,1,0] neg_lo:[0,0,1] neg_hi:[0,0,1]
	v_pk_fma_f32 v[90:91], v[90:91], v[80:81], v[94:95] op_sel:[0,0,1] op_sel_hi:[1,0,0]
	v_mov_b32_e32 v97, v91
	v_pk_mul_f32 v[90:91], v[92:93], v[82:83] op_sel:[0,1]
	s_delay_alu instid0(VALU_DEP_1) | instskip(SKIP_1) | instid1(VALU_DEP_1)
	v_pk_fma_f32 v[94:95], v[92:93], v[80:81], v[90:91] op_sel:[0,0,1] op_sel_hi:[1,1,0] neg_lo:[0,0,1] neg_hi:[0,0,1]
	v_pk_fma_f32 v[90:91], v[92:93], v[80:81], v[90:91] op_sel:[0,0,1] op_sel_hi:[1,0,0]
	v_mov_b32_e32 v95, v91
	ds_load_2addr_b64 v[90:93], v84 offset0:21 offset1:22
	v_pk_add_f32 v[62:63], v[62:63], v[96:97] neg_lo:[0,1] neg_hi:[0,1]
	v_pk_add_f32 v[60:61], v[60:61], v[94:95] neg_lo:[0,1] neg_hi:[0,1]
	s_wait_dscnt 0x0
	v_dual_mul_f32 v94, v91, v83 :: v_dual_mul_f32 v96, v91, v80
	s_delay_alu instid0(VALU_DEP_1) | instskip(NEXT) | instid1(VALU_DEP_2)
	v_pk_fma_f32 v[94:95], v[90:91], v[72:73], v[94:95] op_sel_hi:[1,1,0] neg_lo:[0,0,1] neg_hi:[0,0,1]
	v_pk_fma_f32 v[90:91], v[90:91], v[72:73], v[96:97] op_sel:[1,0,0] op_sel_hi:[0,1,0]
	s_delay_alu instid0(VALU_DEP_1) | instskip(SKIP_1) | instid1(VALU_DEP_2)
	v_mov_b32_e32 v95, v91
	v_pk_mul_f32 v[90:91], v[92:93], v[82:83] op_sel:[0,1]
	v_pk_add_f32 v[56:57], v[56:57], v[94:95] neg_lo:[0,1] neg_hi:[0,1]
	s_delay_alu instid0(VALU_DEP_2) | instskip(SKIP_1) | instid1(VALU_DEP_1)
	v_pk_fma_f32 v[94:95], v[92:93], v[80:81], v[90:91] op_sel:[0,0,1] op_sel_hi:[1,1,0] neg_lo:[0,0,1] neg_hi:[0,0,1]
	v_pk_fma_f32 v[90:91], v[92:93], v[80:81], v[90:91] op_sel:[0,0,1] op_sel_hi:[1,0,0]
	v_mov_b32_e32 v95, v91
	ds_load_2addr_b64 v[90:93], v84 offset0:23 offset1:24
	v_pk_add_f32 v[58:59], v[58:59], v[94:95] neg_lo:[0,1] neg_hi:[0,1]
	s_wait_dscnt 0x0
	v_pk_mul_f32 v[94:95], v[90:91], v[82:83] op_sel:[0,1]
	s_delay_alu instid0(VALU_DEP_1) | instskip(SKIP_1) | instid1(VALU_DEP_1)
	v_pk_fma_f32 v[96:97], v[90:91], v[80:81], v[94:95] op_sel:[0,0,1] op_sel_hi:[1,1,0] neg_lo:[0,0,1] neg_hi:[0,0,1]
	v_pk_fma_f32 v[90:91], v[90:91], v[80:81], v[94:95] op_sel:[0,0,1] op_sel_hi:[1,0,0]
	v_mov_b32_e32 v97, v91
	v_pk_mul_f32 v[90:91], v[92:93], v[82:83] op_sel:[0,1]
	s_delay_alu instid0(VALU_DEP_2) | instskip(NEXT) | instid1(VALU_DEP_2)
	v_pk_add_f32 v[54:55], v[54:55], v[96:97] neg_lo:[0,1] neg_hi:[0,1]
	v_pk_fma_f32 v[94:95], v[92:93], v[80:81], v[90:91] op_sel:[0,0,1] op_sel_hi:[1,1,0] neg_lo:[0,0,1] neg_hi:[0,0,1]
	v_pk_fma_f32 v[90:91], v[92:93], v[80:81], v[90:91] op_sel:[0,0,1] op_sel_hi:[1,0,0]
	s_delay_alu instid0(VALU_DEP_1) | instskip(SKIP_4) | instid1(VALU_DEP_1)
	v_mov_b32_e32 v95, v91
	ds_load_2addr_b64 v[90:93], v84 offset0:25 offset1:26
	v_pk_add_f32 v[50:51], v[50:51], v[94:95] neg_lo:[0,1] neg_hi:[0,1]
	s_wait_dscnt 0x0
	v_pk_mul_f32 v[94:95], v[90:91], v[82:83] op_sel:[0,1]
	v_pk_fma_f32 v[96:97], v[90:91], v[80:81], v[94:95] op_sel:[0,0,1] op_sel_hi:[1,1,0] neg_lo:[0,0,1] neg_hi:[0,0,1]
	v_pk_fma_f32 v[90:91], v[90:91], v[80:81], v[94:95] op_sel:[0,0,1] op_sel_hi:[1,0,0]
	v_dual_mul_f32 v94, v93, v83 :: v_dual_mov_b32 v90, v93
	s_delay_alu instid0(VALU_DEP_2) | instskip(NEXT) | instid1(VALU_DEP_2)
	v_dual_mov_b32 v97, v91 :: v_dual_mov_b32 v91, v92
	v_pk_fma_f32 v[94:95], v[92:93], v[72:73], v[94:95] op_sel_hi:[1,1,0] neg_lo:[0,0,1] neg_hi:[0,0,1]
	v_mul_f32_e32 v92, v93, v80
	s_delay_alu instid0(VALU_DEP_3) | instskip(NEXT) | instid1(VALU_DEP_2)
	v_pk_add_f32 v[46:47], v[46:47], v[96:97] neg_lo:[0,1] neg_hi:[0,1]
	v_pk_fma_f32 v[90:91], v[90:91], v[72:73], v[92:93] op_sel_hi:[1,1,0]
	s_delay_alu instid0(VALU_DEP_1) | instskip(SKIP_4) | instid1(VALU_DEP_1)
	v_mov_b32_e32 v95, v91
	ds_load_2addr_b64 v[90:93], v84 offset0:27 offset1:28
	v_pk_add_f32 v[48:49], v[48:49], v[94:95] neg_lo:[0,1] neg_hi:[0,1]
	s_wait_dscnt 0x0
	v_pk_mul_f32 v[94:95], v[90:91], v[82:83] op_sel:[0,1]
	v_pk_fma_f32 v[96:97], v[90:91], v[80:81], v[94:95] op_sel:[0,0,1] op_sel_hi:[1,1,0] neg_lo:[0,0,1] neg_hi:[0,0,1]
	v_pk_fma_f32 v[90:91], v[90:91], v[80:81], v[94:95] op_sel:[0,0,1] op_sel_hi:[1,0,0]
	s_delay_alu instid0(VALU_DEP_1) | instskip(SKIP_1) | instid1(VALU_DEP_1)
	v_mov_b32_e32 v97, v91
	v_pk_mul_f32 v[90:91], v[92:93], v[82:83] op_sel:[0,1]
	v_pk_fma_f32 v[94:95], v[92:93], v[80:81], v[90:91] op_sel:[0,0,1] op_sel_hi:[1,1,0] neg_lo:[0,0,1] neg_hi:[0,0,1]
	v_pk_fma_f32 v[90:91], v[92:93], v[80:81], v[90:91] op_sel:[0,0,1] op_sel_hi:[1,0,0]
	s_delay_alu instid0(VALU_DEP_1)
	v_mov_b32_e32 v95, v91
	ds_load_2addr_b64 v[90:93], v84 offset0:29 offset1:30
	v_pk_add_f32 v[44:45], v[44:45], v[96:97] neg_lo:[0,1] neg_hi:[0,1]
	v_pk_add_f32 v[14:15], v[14:15], v[94:95] neg_lo:[0,1] neg_hi:[0,1]
	s_wait_dscnt 0x0
	v_pk_mul_f32 v[94:95], v[90:91], v[82:83] op_sel:[0,1]
	s_delay_alu instid0(VALU_DEP_1) | instskip(SKIP_1) | instid1(VALU_DEP_1)
	v_pk_fma_f32 v[96:97], v[90:91], v[80:81], v[94:95] op_sel:[0,0,1] op_sel_hi:[1,1,0] neg_lo:[0,0,1] neg_hi:[0,0,1]
	v_pk_fma_f32 v[90:91], v[90:91], v[80:81], v[94:95] op_sel:[0,0,1] op_sel_hi:[1,0,0]
	v_mov_b32_e32 v97, v91
	v_pk_mul_f32 v[90:91], v[92:93], v[82:83] op_sel:[0,1]
	s_delay_alu instid0(VALU_DEP_1) | instskip(SKIP_1) | instid1(VALU_DEP_1)
	v_pk_fma_f32 v[94:95], v[92:93], v[80:81], v[90:91] op_sel:[0,0,1] op_sel_hi:[1,1,0] neg_lo:[0,0,1] neg_hi:[0,0,1]
	v_pk_fma_f32 v[90:91], v[92:93], v[80:81], v[90:91] op_sel:[0,0,1] op_sel_hi:[1,0,0]
	v_mov_b32_e32 v95, v91
	ds_load_2addr_b64 v[90:93], v84 offset0:31 offset1:32
	v_pk_add_f32 v[10:11], v[10:11], v[96:97] neg_lo:[0,1] neg_hi:[0,1]
	v_pk_add_f32 v[12:13], v[12:13], v[94:95] neg_lo:[0,1] neg_hi:[0,1]
	s_wait_dscnt 0x0
	v_dual_mul_f32 v94, v91, v83 :: v_dual_mul_f32 v96, v91, v80
	s_delay_alu instid0(VALU_DEP_1) | instskip(NEXT) | instid1(VALU_DEP_2)
	v_pk_fma_f32 v[94:95], v[90:91], v[72:73], v[94:95] op_sel_hi:[1,1,0] neg_lo:[0,0,1] neg_hi:[0,0,1]
	v_pk_fma_f32 v[90:91], v[90:91], v[72:73], v[96:97] op_sel:[1,0,0] op_sel_hi:[0,1,0]
	s_delay_alu instid0(VALU_DEP_1) | instskip(SKIP_1) | instid1(VALU_DEP_2)
	v_mov_b32_e32 v95, v91
	v_pk_mul_f32 v[90:91], v[92:93], v[82:83] op_sel:[0,1]
	v_pk_add_f32 v[8:9], v[8:9], v[94:95] neg_lo:[0,1] neg_hi:[0,1]
	s_delay_alu instid0(VALU_DEP_2) | instskip(SKIP_1) | instid1(VALU_DEP_1)
	v_pk_fma_f32 v[94:95], v[92:93], v[80:81], v[90:91] op_sel:[0,0,1] op_sel_hi:[1,1,0] neg_lo:[0,0,1] neg_hi:[0,0,1]
	v_pk_fma_f32 v[90:91], v[92:93], v[80:81], v[90:91] op_sel:[0,0,1] op_sel_hi:[1,0,0]
	v_mov_b32_e32 v95, v91
	ds_load_2addr_b64 v[90:93], v84 offset0:33 offset1:34
	v_pk_add_f32 v[6:7], v[6:7], v[94:95] neg_lo:[0,1] neg_hi:[0,1]
	s_wait_dscnt 0x0
	v_pk_mul_f32 v[94:95], v[90:91], v[82:83] op_sel:[0,1]
	s_delay_alu instid0(VALU_DEP_1) | instskip(SKIP_1) | instid1(VALU_DEP_1)
	v_pk_fma_f32 v[96:97], v[90:91], v[80:81], v[94:95] op_sel:[0,0,1] op_sel_hi:[1,1,0] neg_lo:[0,0,1] neg_hi:[0,0,1]
	v_pk_fma_f32 v[90:91], v[90:91], v[80:81], v[94:95] op_sel:[0,0,1] op_sel_hi:[1,0,0]
	v_mov_b32_e32 v97, v91
	v_pk_mul_f32 v[90:91], v[92:93], v[82:83] op_sel:[0,1]
	s_delay_alu instid0(VALU_DEP_2) | instskip(NEXT) | instid1(VALU_DEP_2)
	v_pk_add_f32 v[52:53], v[52:53], v[96:97] neg_lo:[0,1] neg_hi:[0,1]
	v_pk_fma_f32 v[94:95], v[92:93], v[80:81], v[90:91] op_sel:[0,0,1] op_sel_hi:[1,1,0] neg_lo:[0,0,1] neg_hi:[0,0,1]
	v_pk_fma_f32 v[90:91], v[92:93], v[80:81], v[90:91] op_sel:[0,0,1] op_sel_hi:[1,0,0]
	s_delay_alu instid0(VALU_DEP_1)
	v_mov_b32_e32 v95, v91
	ds_load_2addr_b64 v[90:93], v84 offset0:35 offset1:36
	v_pk_add_f32 v[34:35], v[34:35], v[94:95] neg_lo:[0,1] neg_hi:[0,1]
	s_wait_dscnt 0x0
	v_pk_mul_f32 v[94:95], v[90:91], v[82:83] op_sel:[0,1]
	v_pk_mul_f32 v[82:83], v[92:93], v[82:83] op_sel:[0,1]
	s_delay_alu instid0(VALU_DEP_2) | instskip(SKIP_1) | instid1(VALU_DEP_1)
	v_pk_fma_f32 v[96:97], v[90:91], v[80:81], v[94:95] op_sel:[0,0,1] op_sel_hi:[1,1,0] neg_lo:[0,0,1] neg_hi:[0,0,1]
	v_pk_fma_f32 v[90:91], v[90:91], v[80:81], v[94:95] op_sel:[0,0,1] op_sel_hi:[1,0,0]
	v_mov_b32_e32 v97, v91
	s_delay_alu instid0(VALU_DEP_4) | instskip(SKIP_1) | instid1(VALU_DEP_3)
	v_pk_fma_f32 v[90:91], v[92:93], v[80:81], v[82:83] op_sel:[0,0,1] op_sel_hi:[1,1,0] neg_lo:[0,0,1] neg_hi:[0,0,1]
	v_pk_fma_f32 v[80:81], v[92:93], v[80:81], v[82:83] op_sel:[0,0,1] op_sel_hi:[1,0,0]
	v_pk_add_f32 v[16:17], v[16:17], v[96:97] neg_lo:[0,1] neg_hi:[0,1]
	s_delay_alu instid0(VALU_DEP_2) | instskip(NEXT) | instid1(VALU_DEP_1)
	v_mov_b32_e32 v91, v81
	v_pk_add_f32 v[78:79], v[78:79], v[90:91] neg_lo:[0,1] neg_hi:[0,1]
.LBB72_62:
	s_or_b32 exec_lo, exec_lo, s0
	v_lshl_add_u32 v80, v88, 3, v84
	s_barrier_signal -1
	s_barrier_wait -1
	ds_store_b64 v80, v[70:71]
	s_wait_dscnt 0x0
	s_barrier_signal -1
	s_barrier_wait -1
	ds_load_b64 v[82:83], v84 offset:24
	v_mov_b32_e32 v80, 3
	s_cmp_lt_i32 s18, 5
	s_cbranch_scc1 .LBB72_65
; %bb.63:
	v_mov_b32_e32 v80, 3
	v_add3_u32 v81, v85, 0, 32
	s_mov_b32 s0, 4
.LBB72_64:                              ; =>This Inner Loop Header: Depth=1
	ds_load_b64 v[90:91], v81
	s_wait_dscnt 0x1
	v_cmp_gt_f32_e32 vcc_lo, 0, v82
	v_cndmask_b32_e64 v92, v82, -v82, vcc_lo
	v_cmp_gt_f32_e32 vcc_lo, 0, v83
	v_cndmask_b32_e64 v94, v83, -v83, vcc_lo
	s_wait_dscnt 0x0
	v_cmp_gt_f32_e32 vcc_lo, 0, v90
	v_cndmask_b32_e64 v93, v90, -v90, vcc_lo
	v_cmp_gt_f32_e32 vcc_lo, 0, v91
	v_cndmask_b32_e64 v95, v91, -v91, vcc_lo
	s_delay_alu instid0(VALU_DEP_1) | instskip(NEXT) | instid1(VALU_DEP_1)
	v_pk_add_f32 v[92:93], v[92:93], v[94:95]
	v_cmp_lt_f32_e32 vcc_lo, v92, v93
	v_dual_add_nc_u32 v81, 8, v81 :: v_dual_cndmask_b32 v83, v83, v91, vcc_lo
	v_cndmask_b32_e32 v82, v82, v90, vcc_lo
	v_cndmask_b32_e64 v80, v80, s0, vcc_lo
	s_add_co_i32 s0, s0, 1
	s_delay_alu instid0(SALU_CYCLE_1)
	s_cmp_lg_u32 s18, s0
	s_cbranch_scc1 .LBB72_64
.LBB72_65:
	s_wait_dscnt 0x0
	v_cmp_eq_f32_e32 vcc_lo, 0, v82
	v_cmp_eq_f32_e64 s0, 0, v83
	s_and_b32 s0, vcc_lo, s0
	s_delay_alu instid0(SALU_CYCLE_1) | instskip(NEXT) | instid1(SALU_CYCLE_1)
	s_and_saveexec_b32 s1, s0
	s_xor_b32 s0, exec_lo, s1
; %bb.66:
	v_cmp_ne_u32_e32 vcc_lo, 0, v86
	v_cndmask_b32_e32 v86, 4, v86, vcc_lo
; %bb.67:
	s_and_not1_saveexec_b32 s0, s0
	s_cbranch_execz .LBB72_73
; %bb.68:
	v_cmp_ngt_f32_e64 s1, |v82|, |v83|
	s_and_saveexec_b32 s12, s1
	s_delay_alu instid0(SALU_CYCLE_1)
	s_xor_b32 s1, exec_lo, s12
	s_cbranch_execz .LBB72_70
; %bb.69:
	v_div_scale_f32 v81, null, v83, v83, v82
	v_div_scale_f32 v91, vcc_lo, v82, v83, v82
	s_delay_alu instid0(VALU_DEP_2) | instskip(SKIP_1) | instid1(TRANS32_DEP_1)
	v_rcp_f32_e32 v89, v81
	v_nop
	v_fma_f32 v90, -v81, v89, 1.0
	s_delay_alu instid0(VALU_DEP_1) | instskip(NEXT) | instid1(VALU_DEP_1)
	v_fmac_f32_e32 v89, v90, v89
	v_mul_f32_e32 v90, v91, v89
	s_delay_alu instid0(VALU_DEP_1) | instskip(NEXT) | instid1(VALU_DEP_1)
	v_fma_f32 v92, -v81, v90, v91
	v_fmac_f32_e32 v90, v92, v89
	s_delay_alu instid0(VALU_DEP_1) | instskip(NEXT) | instid1(VALU_DEP_1)
	v_fma_f32 v81, -v81, v90, v91
	v_div_fmas_f32 v81, v81, v89, v90
	s_delay_alu instid0(VALU_DEP_1) | instskip(NEXT) | instid1(VALU_DEP_1)
	v_div_fixup_f32 v81, v81, v83, v82
	v_fmac_f32_e32 v83, v82, v81
	s_delay_alu instid0(VALU_DEP_1) | instskip(SKIP_1) | instid1(VALU_DEP_2)
	v_div_scale_f32 v82, null, v83, v83, 1.0
	v_div_scale_f32 v91, vcc_lo, 1.0, v83, 1.0
	v_rcp_f32_e32 v89, v82
	v_nop
	s_delay_alu instid0(TRANS32_DEP_1) | instskip(NEXT) | instid1(VALU_DEP_1)
	v_fma_f32 v90, -v82, v89, 1.0
	v_fmac_f32_e32 v89, v90, v89
	s_delay_alu instid0(VALU_DEP_1) | instskip(NEXT) | instid1(VALU_DEP_1)
	v_mul_f32_e32 v90, v91, v89
	v_fma_f32 v92, -v82, v90, v91
	s_delay_alu instid0(VALU_DEP_1) | instskip(NEXT) | instid1(VALU_DEP_1)
	v_fmac_f32_e32 v90, v92, v89
	v_fma_f32 v82, -v82, v90, v91
	s_delay_alu instid0(VALU_DEP_1) | instskip(NEXT) | instid1(VALU_DEP_1)
	v_div_fmas_f32 v82, v82, v89, v90
	v_div_fixup_f32 v83, v82, v83, 1.0
	s_delay_alu instid0(VALU_DEP_1)
	v_mul_f32_e32 v82, v81, v83
	v_xor_b32_e32 v83, 0x80000000, v83
.LBB72_70:
	s_and_not1_saveexec_b32 s1, s1
	s_cbranch_execz .LBB72_72
; %bb.71:
	s_delay_alu instid0(VALU_DEP_1) | instskip(SKIP_1) | instid1(VALU_DEP_2)
	v_div_scale_f32 v81, null, v82, v82, v83
	v_div_scale_f32 v91, vcc_lo, v83, v82, v83
	v_rcp_f32_e32 v89, v81
	v_nop
	s_delay_alu instid0(TRANS32_DEP_1) | instskip(NEXT) | instid1(VALU_DEP_1)
	v_fma_f32 v90, -v81, v89, 1.0
	v_fmac_f32_e32 v89, v90, v89
	s_delay_alu instid0(VALU_DEP_1) | instskip(NEXT) | instid1(VALU_DEP_1)
	v_mul_f32_e32 v90, v91, v89
	v_fma_f32 v92, -v81, v90, v91
	s_delay_alu instid0(VALU_DEP_1) | instskip(NEXT) | instid1(VALU_DEP_1)
	v_fmac_f32_e32 v90, v92, v89
	v_fma_f32 v81, -v81, v90, v91
	s_delay_alu instid0(VALU_DEP_1) | instskip(NEXT) | instid1(VALU_DEP_1)
	v_div_fmas_f32 v81, v81, v89, v90
	v_div_fixup_f32 v81, v81, v82, v83
	s_delay_alu instid0(VALU_DEP_1) | instskip(NEXT) | instid1(VALU_DEP_1)
	v_fmac_f32_e32 v82, v83, v81
	v_div_scale_f32 v83, null, v82, v82, 1.0
	s_delay_alu instid0(VALU_DEP_1) | instskip(SKIP_1) | instid1(TRANS32_DEP_1)
	v_rcp_f32_e32 v89, v83
	v_nop
	v_fma_f32 v90, -v83, v89, 1.0
	s_delay_alu instid0(VALU_DEP_1) | instskip(SKIP_1) | instid1(VALU_DEP_1)
	v_fmac_f32_e32 v89, v90, v89
	v_div_scale_f32 v90, vcc_lo, 1.0, v82, 1.0
	v_mul_f32_e32 v91, v90, v89
	s_delay_alu instid0(VALU_DEP_1) | instskip(NEXT) | instid1(VALU_DEP_1)
	v_fma_f32 v92, -v83, v91, v90
	v_fmac_f32_e32 v91, v92, v89
	s_delay_alu instid0(VALU_DEP_1) | instskip(NEXT) | instid1(VALU_DEP_1)
	v_fma_f32 v83, -v83, v91, v90
	v_div_fmas_f32 v83, v83, v89, v91
	s_delay_alu instid0(VALU_DEP_1) | instskip(NEXT) | instid1(VALU_DEP_1)
	v_div_fixup_f32 v82, v83, v82, 1.0
	v_mul_f32_e64 v83, v81, -v82
.LBB72_72:
	s_or_b32 exec_lo, exec_lo, s1
.LBB72_73:
	s_delay_alu instid0(SALU_CYCLE_1) | instskip(NEXT) | instid1(SALU_CYCLE_1)
	s_or_b32 exec_lo, exec_lo, s0
	s_mov_b32 s0, exec_lo
	v_cmpx_ne_u32_e64 v88, v80
	s_xor_b32 s0, exec_lo, s0
	s_cbranch_execz .LBB72_79
; %bb.74:
	s_mov_b32 s1, exec_lo
	v_cmpx_eq_u32_e32 3, v88
	s_cbranch_execz .LBB72_78
; %bb.75:
	v_cmp_ne_u32_e32 vcc_lo, 3, v80
	s_xor_b32 s12, s16, -1
	s_delay_alu instid0(SALU_CYCLE_1) | instskip(NEXT) | instid1(SALU_CYCLE_1)
	s_and_b32 s13, s12, vcc_lo
	s_and_saveexec_b32 s12, s13
	s_cbranch_execz .LBB72_77
; %bb.76:
	v_ashrrev_i32_e32 v81, 31, v80
	s_delay_alu instid0(VALU_DEP_1)
	v_lshl_add_u64 v[88:89], v[80:81], 2, v[4:5]
	s_clause 0x1
	global_load_b32 v81, v[88:89], off
	global_load_b32 v87, v[4:5], off offset:12
	s_wait_loadcnt 0x1
	global_store_b32 v[4:5], v81, off offset:12
	s_wait_loadcnt 0x0
	global_store_b32 v[88:89], v87, off
.LBB72_77:
	s_wait_xcnt 0x0
	s_or_b32 exec_lo, exec_lo, s12
	v_dual_mov_b32 v88, v80 :: v_dual_mov_b32 v87, v80
.LBB72_78:
	s_or_b32 exec_lo, exec_lo, s1
.LBB72_79:
	s_and_not1_saveexec_b32 s0, s0
	s_cbranch_execz .LBB72_81
; %bb.80:
	v_dual_mov_b32 v80, v24 :: v_dual_mov_b32 v81, v25
	v_dual_mov_b32 v88, v20 :: v_dual_mov_b32 v89, v21
	v_dual_mov_b32 v90, v22 :: v_dual_mov_b32 v91, v23
	v_dual_mov_b32 v92, v18 :: v_dual_mov_b32 v93, v19
	v_dual_mov_b32 v94, v32 :: v_dual_mov_b32 v95, v33
	v_dual_mov_b32 v96, v28 :: v_dual_mov_b32 v97, v29
	v_dual_mov_b32 v98, v30 :: v_dual_mov_b32 v99, v31
	v_dual_mov_b32 v100, v26 :: v_dual_mov_b32 v101, v27
	v_dual_mov_b32 v102, v42 :: v_dual_mov_b32 v103, v43
	v_dual_mov_b32 v104, v38 :: v_dual_mov_b32 v105, v39
	v_dual_mov_b32 v106, v40 :: v_dual_mov_b32 v107, v41
	v_dual_mov_b32 v108, v36 :: v_dual_mov_b32 v109, v37
	ds_store_2addr_b64 v84, v[80:81], v[88:89] offset0:4 offset1:5
	ds_store_2addr_b64 v84, v[90:91], v[92:93] offset0:6 offset1:7
	;; [unrolled: 1-line block ×6, first 2 shown]
	v_dual_mov_b32 v80, v68 :: v_dual_mov_b32 v81, v69
	v_dual_mov_b32 v88, v64 :: v_dual_mov_b32 v89, v65
	;; [unrolled: 1-line block ×12, first 2 shown]
	ds_store_2addr_b64 v84, v[80:81], v[88:89] offset0:16 offset1:17
	ds_store_2addr_b64 v84, v[90:91], v[92:93] offset0:18 offset1:19
	;; [unrolled: 1-line block ×6, first 2 shown]
	v_dual_mov_b32 v80, v14 :: v_dual_mov_b32 v81, v15
	v_dual_mov_b32 v90, v10 :: v_dual_mov_b32 v91, v11
	;; [unrolled: 1-line block ×8, first 2 shown]
	v_mov_b32_e32 v103, v17
	ds_store_2addr_b64 v84, v[80:81], v[90:91] offset0:28 offset1:29
	ds_store_2addr_b64 v84, v[92:93], v[94:95] offset0:30 offset1:31
	;; [unrolled: 1-line block ×4, first 2 shown]
	ds_store_b64 v84, v[78:79] offset:288
.LBB72_81:
	s_or_b32 exec_lo, exec_lo, s0
	s_delay_alu instid0(SALU_CYCLE_1)
	s_mov_b32 s0, exec_lo
	s_wait_storecnt_dscnt 0x0
	s_barrier_signal -1
	s_barrier_wait -1
	v_cmpx_lt_i32_e32 3, v88
	s_cbranch_execz .LBB72_83
; %bb.82:
	v_pk_mul_f32 v[90:91], v[82:83], v[70:71] op_sel:[1,1] op_sel_hi:[0,1]
	s_delay_alu instid0(VALU_DEP_1)
	v_pk_fma_f32 v[80:81], v[82:83], v[70:71], v[90:91] op_sel_hi:[1,0,1] neg_lo:[0,0,1] neg_hi:[0,0,1]
	v_pk_fma_f32 v[82:83], v[82:83], v[70:71], v[90:91] op_sel_hi:[1,0,1]
	ds_load_2addr_b64 v[90:93], v84 offset0:4 offset1:5
	v_dual_mov_b32 v70, v80 :: v_dual_mov_b32 v71, v83
	s_wait_dscnt 0x0
	v_pk_mul_f32 v[94:95], v[90:91], v[82:83] op_sel:[0,1]
	s_delay_alu instid0(VALU_DEP_1) | instskip(SKIP_1) | instid1(VALU_DEP_1)
	v_pk_fma_f32 v[96:97], v[90:91], v[80:81], v[94:95] op_sel:[0,0,1] op_sel_hi:[1,1,0] neg_lo:[0,0,1] neg_hi:[0,0,1]
	v_pk_fma_f32 v[90:91], v[90:91], v[80:81], v[94:95] op_sel:[0,0,1] op_sel_hi:[1,0,0]
	v_mov_b32_e32 v97, v91
	v_pk_mul_f32 v[90:91], v[92:93], v[82:83] op_sel:[0,1]
	s_delay_alu instid0(VALU_DEP_1) | instskip(SKIP_1) | instid1(VALU_DEP_1)
	v_pk_fma_f32 v[94:95], v[92:93], v[80:81], v[90:91] op_sel:[0,0,1] op_sel_hi:[1,1,0] neg_lo:[0,0,1] neg_hi:[0,0,1]
	v_pk_fma_f32 v[90:91], v[92:93], v[80:81], v[90:91] op_sel:[0,0,1] op_sel_hi:[1,0,0]
	v_mov_b32_e32 v95, v91
	ds_load_2addr_b64 v[90:93], v84 offset0:6 offset1:7
	v_pk_add_f32 v[24:25], v[24:25], v[96:97] neg_lo:[0,1] neg_hi:[0,1]
	v_pk_add_f32 v[20:21], v[20:21], v[94:95] neg_lo:[0,1] neg_hi:[0,1]
	s_wait_dscnt 0x0
	v_pk_mul_f32 v[94:95], v[90:91], v[82:83] op_sel:[0,1]
	s_delay_alu instid0(VALU_DEP_1) | instskip(SKIP_2) | instid1(VALU_DEP_2)
	v_pk_fma_f32 v[96:97], v[90:91], v[80:81], v[94:95] op_sel:[0,0,1] op_sel_hi:[1,1,0] neg_lo:[0,0,1] neg_hi:[0,0,1]
	v_pk_fma_f32 v[90:91], v[90:91], v[80:81], v[94:95] op_sel:[0,0,1] op_sel_hi:[1,0,0]
	v_dual_mul_f32 v94, v93, v83 :: v_dual_mov_b32 v90, v93
	v_dual_mov_b32 v97, v91 :: v_dual_mov_b32 v91, v92
	s_delay_alu instid0(VALU_DEP_2) | instskip(SKIP_1) | instid1(VALU_DEP_3)
	v_pk_fma_f32 v[94:95], v[92:93], v[70:71], v[94:95] op_sel_hi:[1,1,0] neg_lo:[0,0,1] neg_hi:[0,0,1]
	v_mul_f32_e32 v92, v93, v80
	v_pk_add_f32 v[22:23], v[22:23], v[96:97] neg_lo:[0,1] neg_hi:[0,1]
	s_delay_alu instid0(VALU_DEP_2) | instskip(NEXT) | instid1(VALU_DEP_1)
	v_pk_fma_f32 v[90:91], v[90:91], v[70:71], v[92:93] op_sel_hi:[1,1,0]
	v_mov_b32_e32 v95, v91
	ds_load_2addr_b64 v[90:93], v84 offset0:8 offset1:9
	v_pk_add_f32 v[18:19], v[18:19], v[94:95] neg_lo:[0,1] neg_hi:[0,1]
	s_wait_dscnt 0x0
	v_pk_mul_f32 v[94:95], v[90:91], v[82:83] op_sel:[0,1]
	s_delay_alu instid0(VALU_DEP_1) | instskip(SKIP_1) | instid1(VALU_DEP_1)
	v_pk_fma_f32 v[96:97], v[90:91], v[80:81], v[94:95] op_sel:[0,0,1] op_sel_hi:[1,1,0] neg_lo:[0,0,1] neg_hi:[0,0,1]
	v_pk_fma_f32 v[90:91], v[90:91], v[80:81], v[94:95] op_sel:[0,0,1] op_sel_hi:[1,0,0]
	v_mov_b32_e32 v97, v91
	v_pk_mul_f32 v[90:91], v[92:93], v[82:83] op_sel:[0,1]
	s_delay_alu instid0(VALU_DEP_1) | instskip(SKIP_1) | instid1(VALU_DEP_1)
	v_pk_fma_f32 v[94:95], v[92:93], v[80:81], v[90:91] op_sel:[0,0,1] op_sel_hi:[1,1,0] neg_lo:[0,0,1] neg_hi:[0,0,1]
	v_pk_fma_f32 v[90:91], v[92:93], v[80:81], v[90:91] op_sel:[0,0,1] op_sel_hi:[1,0,0]
	v_mov_b32_e32 v95, v91
	ds_load_2addr_b64 v[90:93], v84 offset0:10 offset1:11
	v_pk_add_f32 v[32:33], v[32:33], v[96:97] neg_lo:[0,1] neg_hi:[0,1]
	v_pk_add_f32 v[28:29], v[28:29], v[94:95] neg_lo:[0,1] neg_hi:[0,1]
	s_wait_dscnt 0x0
	v_pk_mul_f32 v[94:95], v[90:91], v[82:83] op_sel:[0,1]
	s_delay_alu instid0(VALU_DEP_1) | instskip(SKIP_1) | instid1(VALU_DEP_1)
	v_pk_fma_f32 v[96:97], v[90:91], v[80:81], v[94:95] op_sel:[0,0,1] op_sel_hi:[1,1,0] neg_lo:[0,0,1] neg_hi:[0,0,1]
	v_pk_fma_f32 v[90:91], v[90:91], v[80:81], v[94:95] op_sel:[0,0,1] op_sel_hi:[1,0,0]
	v_mov_b32_e32 v97, v91
	v_pk_mul_f32 v[90:91], v[92:93], v[82:83] op_sel:[0,1]
	s_delay_alu instid0(VALU_DEP_1) | instskip(SKIP_1) | instid1(VALU_DEP_1)
	v_pk_fma_f32 v[94:95], v[92:93], v[80:81], v[90:91] op_sel:[0,0,1] op_sel_hi:[1,1,0] neg_lo:[0,0,1] neg_hi:[0,0,1]
	v_pk_fma_f32 v[90:91], v[92:93], v[80:81], v[90:91] op_sel:[0,0,1] op_sel_hi:[1,0,0]
	v_mov_b32_e32 v95, v91
	ds_load_2addr_b64 v[90:93], v84 offset0:12 offset1:13
	v_pk_add_f32 v[30:31], v[30:31], v[96:97] neg_lo:[0,1] neg_hi:[0,1]
	v_pk_add_f32 v[26:27], v[26:27], v[94:95] neg_lo:[0,1] neg_hi:[0,1]
	s_wait_dscnt 0x0
	v_dual_mul_f32 v94, v91, v83 :: v_dual_mul_f32 v96, v91, v80
	s_delay_alu instid0(VALU_DEP_1) | instskip(NEXT) | instid1(VALU_DEP_2)
	v_pk_fma_f32 v[94:95], v[90:91], v[70:71], v[94:95] op_sel_hi:[1,1,0] neg_lo:[0,0,1] neg_hi:[0,0,1]
	v_pk_fma_f32 v[90:91], v[90:91], v[70:71], v[96:97] op_sel:[1,0,0] op_sel_hi:[0,1,0]
	s_delay_alu instid0(VALU_DEP_1) | instskip(SKIP_1) | instid1(VALU_DEP_2)
	v_mov_b32_e32 v95, v91
	v_pk_mul_f32 v[90:91], v[92:93], v[82:83] op_sel:[0,1]
	v_pk_add_f32 v[42:43], v[42:43], v[94:95] neg_lo:[0,1] neg_hi:[0,1]
	s_delay_alu instid0(VALU_DEP_2) | instskip(SKIP_1) | instid1(VALU_DEP_1)
	v_pk_fma_f32 v[94:95], v[92:93], v[80:81], v[90:91] op_sel:[0,0,1] op_sel_hi:[1,1,0] neg_lo:[0,0,1] neg_hi:[0,0,1]
	v_pk_fma_f32 v[90:91], v[92:93], v[80:81], v[90:91] op_sel:[0,0,1] op_sel_hi:[1,0,0]
	v_mov_b32_e32 v95, v91
	ds_load_2addr_b64 v[90:93], v84 offset0:14 offset1:15
	v_pk_add_f32 v[38:39], v[38:39], v[94:95] neg_lo:[0,1] neg_hi:[0,1]
	s_wait_dscnt 0x0
	v_pk_mul_f32 v[94:95], v[90:91], v[82:83] op_sel:[0,1]
	s_delay_alu instid0(VALU_DEP_1) | instskip(SKIP_1) | instid1(VALU_DEP_1)
	v_pk_fma_f32 v[96:97], v[90:91], v[80:81], v[94:95] op_sel:[0,0,1] op_sel_hi:[1,1,0] neg_lo:[0,0,1] neg_hi:[0,0,1]
	v_pk_fma_f32 v[90:91], v[90:91], v[80:81], v[94:95] op_sel:[0,0,1] op_sel_hi:[1,0,0]
	v_mov_b32_e32 v97, v91
	v_pk_mul_f32 v[90:91], v[92:93], v[82:83] op_sel:[0,1]
	s_delay_alu instid0(VALU_DEP_2) | instskip(NEXT) | instid1(VALU_DEP_2)
	v_pk_add_f32 v[40:41], v[40:41], v[96:97] neg_lo:[0,1] neg_hi:[0,1]
	v_pk_fma_f32 v[94:95], v[92:93], v[80:81], v[90:91] op_sel:[0,0,1] op_sel_hi:[1,1,0] neg_lo:[0,0,1] neg_hi:[0,0,1]
	v_pk_fma_f32 v[90:91], v[92:93], v[80:81], v[90:91] op_sel:[0,0,1] op_sel_hi:[1,0,0]
	s_delay_alu instid0(VALU_DEP_1) | instskip(SKIP_4) | instid1(VALU_DEP_1)
	v_mov_b32_e32 v95, v91
	ds_load_2addr_b64 v[90:93], v84 offset0:16 offset1:17
	v_pk_add_f32 v[36:37], v[36:37], v[94:95] neg_lo:[0,1] neg_hi:[0,1]
	s_wait_dscnt 0x0
	v_pk_mul_f32 v[94:95], v[90:91], v[82:83] op_sel:[0,1]
	v_pk_fma_f32 v[96:97], v[90:91], v[80:81], v[94:95] op_sel:[0,0,1] op_sel_hi:[1,1,0] neg_lo:[0,0,1] neg_hi:[0,0,1]
	v_pk_fma_f32 v[90:91], v[90:91], v[80:81], v[94:95] op_sel:[0,0,1] op_sel_hi:[1,0,0]
	v_dual_mul_f32 v94, v93, v83 :: v_dual_mov_b32 v90, v93
	s_delay_alu instid0(VALU_DEP_2) | instskip(NEXT) | instid1(VALU_DEP_2)
	v_dual_mov_b32 v97, v91 :: v_dual_mov_b32 v91, v92
	v_pk_fma_f32 v[94:95], v[92:93], v[70:71], v[94:95] op_sel_hi:[1,1,0] neg_lo:[0,0,1] neg_hi:[0,0,1]
	v_mul_f32_e32 v92, v93, v80
	s_delay_alu instid0(VALU_DEP_3) | instskip(NEXT) | instid1(VALU_DEP_2)
	v_pk_add_f32 v[68:69], v[68:69], v[96:97] neg_lo:[0,1] neg_hi:[0,1]
	v_pk_fma_f32 v[90:91], v[90:91], v[70:71], v[92:93] op_sel_hi:[1,1,0]
	s_delay_alu instid0(VALU_DEP_1) | instskip(SKIP_4) | instid1(VALU_DEP_1)
	v_mov_b32_e32 v95, v91
	ds_load_2addr_b64 v[90:93], v84 offset0:18 offset1:19
	v_pk_add_f32 v[64:65], v[64:65], v[94:95] neg_lo:[0,1] neg_hi:[0,1]
	s_wait_dscnt 0x0
	v_pk_mul_f32 v[94:95], v[90:91], v[82:83] op_sel:[0,1]
	v_pk_fma_f32 v[96:97], v[90:91], v[80:81], v[94:95] op_sel:[0,0,1] op_sel_hi:[1,1,0] neg_lo:[0,0,1] neg_hi:[0,0,1]
	v_pk_fma_f32 v[90:91], v[90:91], v[80:81], v[94:95] op_sel:[0,0,1] op_sel_hi:[1,0,0]
	s_delay_alu instid0(VALU_DEP_1) | instskip(SKIP_1) | instid1(VALU_DEP_1)
	v_mov_b32_e32 v97, v91
	v_pk_mul_f32 v[90:91], v[92:93], v[82:83] op_sel:[0,1]
	v_pk_fma_f32 v[94:95], v[92:93], v[80:81], v[90:91] op_sel:[0,0,1] op_sel_hi:[1,1,0] neg_lo:[0,0,1] neg_hi:[0,0,1]
	v_pk_fma_f32 v[90:91], v[92:93], v[80:81], v[90:91] op_sel:[0,0,1] op_sel_hi:[1,0,0]
	s_delay_alu instid0(VALU_DEP_1)
	v_mov_b32_e32 v95, v91
	ds_load_2addr_b64 v[90:93], v84 offset0:20 offset1:21
	v_pk_add_f32 v[66:67], v[66:67], v[96:97] neg_lo:[0,1] neg_hi:[0,1]
	v_pk_add_f32 v[62:63], v[62:63], v[94:95] neg_lo:[0,1] neg_hi:[0,1]
	s_wait_dscnt 0x0
	v_pk_mul_f32 v[94:95], v[90:91], v[82:83] op_sel:[0,1]
	s_delay_alu instid0(VALU_DEP_1) | instskip(SKIP_1) | instid1(VALU_DEP_1)
	v_pk_fma_f32 v[96:97], v[90:91], v[80:81], v[94:95] op_sel:[0,0,1] op_sel_hi:[1,1,0] neg_lo:[0,0,1] neg_hi:[0,0,1]
	v_pk_fma_f32 v[90:91], v[90:91], v[80:81], v[94:95] op_sel:[0,0,1] op_sel_hi:[1,0,0]
	v_mov_b32_e32 v97, v91
	v_pk_mul_f32 v[90:91], v[92:93], v[82:83] op_sel:[0,1]
	s_delay_alu instid0(VALU_DEP_1) | instskip(SKIP_1) | instid1(VALU_DEP_1)
	v_pk_fma_f32 v[94:95], v[92:93], v[80:81], v[90:91] op_sel:[0,0,1] op_sel_hi:[1,1,0] neg_lo:[0,0,1] neg_hi:[0,0,1]
	v_pk_fma_f32 v[90:91], v[92:93], v[80:81], v[90:91] op_sel:[0,0,1] op_sel_hi:[1,0,0]
	v_mov_b32_e32 v95, v91
	ds_load_2addr_b64 v[90:93], v84 offset0:22 offset1:23
	v_pk_add_f32 v[60:61], v[60:61], v[96:97] neg_lo:[0,1] neg_hi:[0,1]
	v_pk_add_f32 v[56:57], v[56:57], v[94:95] neg_lo:[0,1] neg_hi:[0,1]
	s_wait_dscnt 0x0
	v_dual_mul_f32 v94, v91, v83 :: v_dual_mul_f32 v96, v91, v80
	s_delay_alu instid0(VALU_DEP_1) | instskip(NEXT) | instid1(VALU_DEP_2)
	v_pk_fma_f32 v[94:95], v[90:91], v[70:71], v[94:95] op_sel_hi:[1,1,0] neg_lo:[0,0,1] neg_hi:[0,0,1]
	v_pk_fma_f32 v[90:91], v[90:91], v[70:71], v[96:97] op_sel:[1,0,0] op_sel_hi:[0,1,0]
	s_delay_alu instid0(VALU_DEP_1) | instskip(SKIP_1) | instid1(VALU_DEP_2)
	v_mov_b32_e32 v95, v91
	v_pk_mul_f32 v[90:91], v[92:93], v[82:83] op_sel:[0,1]
	v_pk_add_f32 v[58:59], v[58:59], v[94:95] neg_lo:[0,1] neg_hi:[0,1]
	s_delay_alu instid0(VALU_DEP_2) | instskip(SKIP_1) | instid1(VALU_DEP_1)
	v_pk_fma_f32 v[94:95], v[92:93], v[80:81], v[90:91] op_sel:[0,0,1] op_sel_hi:[1,1,0] neg_lo:[0,0,1] neg_hi:[0,0,1]
	v_pk_fma_f32 v[90:91], v[92:93], v[80:81], v[90:91] op_sel:[0,0,1] op_sel_hi:[1,0,0]
	v_mov_b32_e32 v95, v91
	ds_load_2addr_b64 v[90:93], v84 offset0:24 offset1:25
	v_pk_add_f32 v[54:55], v[54:55], v[94:95] neg_lo:[0,1] neg_hi:[0,1]
	s_wait_dscnt 0x0
	v_pk_mul_f32 v[94:95], v[90:91], v[82:83] op_sel:[0,1]
	s_delay_alu instid0(VALU_DEP_1) | instskip(SKIP_1) | instid1(VALU_DEP_1)
	v_pk_fma_f32 v[96:97], v[90:91], v[80:81], v[94:95] op_sel:[0,0,1] op_sel_hi:[1,1,0] neg_lo:[0,0,1] neg_hi:[0,0,1]
	v_pk_fma_f32 v[90:91], v[90:91], v[80:81], v[94:95] op_sel:[0,0,1] op_sel_hi:[1,0,0]
	v_mov_b32_e32 v97, v91
	v_pk_mul_f32 v[90:91], v[92:93], v[82:83] op_sel:[0,1]
	s_delay_alu instid0(VALU_DEP_2) | instskip(NEXT) | instid1(VALU_DEP_2)
	v_pk_add_f32 v[50:51], v[50:51], v[96:97] neg_lo:[0,1] neg_hi:[0,1]
	v_pk_fma_f32 v[94:95], v[92:93], v[80:81], v[90:91] op_sel:[0,0,1] op_sel_hi:[1,1,0] neg_lo:[0,0,1] neg_hi:[0,0,1]
	v_pk_fma_f32 v[90:91], v[92:93], v[80:81], v[90:91] op_sel:[0,0,1] op_sel_hi:[1,0,0]
	s_delay_alu instid0(VALU_DEP_1) | instskip(SKIP_4) | instid1(VALU_DEP_1)
	v_mov_b32_e32 v95, v91
	ds_load_2addr_b64 v[90:93], v84 offset0:26 offset1:27
	v_pk_add_f32 v[46:47], v[46:47], v[94:95] neg_lo:[0,1] neg_hi:[0,1]
	s_wait_dscnt 0x0
	v_pk_mul_f32 v[94:95], v[90:91], v[82:83] op_sel:[0,1]
	v_pk_fma_f32 v[96:97], v[90:91], v[80:81], v[94:95] op_sel:[0,0,1] op_sel_hi:[1,1,0] neg_lo:[0,0,1] neg_hi:[0,0,1]
	v_pk_fma_f32 v[90:91], v[90:91], v[80:81], v[94:95] op_sel:[0,0,1] op_sel_hi:[1,0,0]
	v_dual_mul_f32 v94, v93, v83 :: v_dual_mov_b32 v90, v93
	s_delay_alu instid0(VALU_DEP_2) | instskip(NEXT) | instid1(VALU_DEP_2)
	v_dual_mov_b32 v97, v91 :: v_dual_mov_b32 v91, v92
	v_pk_fma_f32 v[94:95], v[92:93], v[70:71], v[94:95] op_sel_hi:[1,1,0] neg_lo:[0,0,1] neg_hi:[0,0,1]
	v_mul_f32_e32 v92, v93, v80
	s_delay_alu instid0(VALU_DEP_3) | instskip(NEXT) | instid1(VALU_DEP_2)
	v_pk_add_f32 v[48:49], v[48:49], v[96:97] neg_lo:[0,1] neg_hi:[0,1]
	v_pk_fma_f32 v[90:91], v[90:91], v[70:71], v[92:93] op_sel_hi:[1,1,0]
	s_delay_alu instid0(VALU_DEP_1) | instskip(SKIP_4) | instid1(VALU_DEP_1)
	v_mov_b32_e32 v95, v91
	ds_load_2addr_b64 v[90:93], v84 offset0:28 offset1:29
	v_pk_add_f32 v[44:45], v[44:45], v[94:95] neg_lo:[0,1] neg_hi:[0,1]
	s_wait_dscnt 0x0
	v_pk_mul_f32 v[94:95], v[90:91], v[82:83] op_sel:[0,1]
	v_pk_fma_f32 v[96:97], v[90:91], v[80:81], v[94:95] op_sel:[0,0,1] op_sel_hi:[1,1,0] neg_lo:[0,0,1] neg_hi:[0,0,1]
	v_pk_fma_f32 v[90:91], v[90:91], v[80:81], v[94:95] op_sel:[0,0,1] op_sel_hi:[1,0,0]
	s_delay_alu instid0(VALU_DEP_1) | instskip(SKIP_1) | instid1(VALU_DEP_1)
	v_mov_b32_e32 v97, v91
	v_pk_mul_f32 v[90:91], v[92:93], v[82:83] op_sel:[0,1]
	v_pk_fma_f32 v[94:95], v[92:93], v[80:81], v[90:91] op_sel:[0,0,1] op_sel_hi:[1,1,0] neg_lo:[0,0,1] neg_hi:[0,0,1]
	v_pk_fma_f32 v[90:91], v[92:93], v[80:81], v[90:91] op_sel:[0,0,1] op_sel_hi:[1,0,0]
	s_delay_alu instid0(VALU_DEP_1)
	v_mov_b32_e32 v95, v91
	ds_load_2addr_b64 v[90:93], v84 offset0:30 offset1:31
	v_pk_add_f32 v[14:15], v[14:15], v[96:97] neg_lo:[0,1] neg_hi:[0,1]
	v_pk_add_f32 v[10:11], v[10:11], v[94:95] neg_lo:[0,1] neg_hi:[0,1]
	s_wait_dscnt 0x0
	v_pk_mul_f32 v[94:95], v[90:91], v[82:83] op_sel:[0,1]
	s_delay_alu instid0(VALU_DEP_1) | instskip(SKIP_1) | instid1(VALU_DEP_1)
	v_pk_fma_f32 v[96:97], v[90:91], v[80:81], v[94:95] op_sel:[0,0,1] op_sel_hi:[1,1,0] neg_lo:[0,0,1] neg_hi:[0,0,1]
	v_pk_fma_f32 v[90:91], v[90:91], v[80:81], v[94:95] op_sel:[0,0,1] op_sel_hi:[1,0,0]
	v_mov_b32_e32 v97, v91
	v_pk_mul_f32 v[90:91], v[92:93], v[82:83] op_sel:[0,1]
	s_delay_alu instid0(VALU_DEP_1) | instskip(SKIP_1) | instid1(VALU_DEP_1)
	v_pk_fma_f32 v[94:95], v[92:93], v[80:81], v[90:91] op_sel:[0,0,1] op_sel_hi:[1,1,0] neg_lo:[0,0,1] neg_hi:[0,0,1]
	v_pk_fma_f32 v[90:91], v[92:93], v[80:81], v[90:91] op_sel:[0,0,1] op_sel_hi:[1,0,0]
	v_mov_b32_e32 v95, v91
	ds_load_2addr_b64 v[90:93], v84 offset0:32 offset1:33
	v_pk_add_f32 v[12:13], v[12:13], v[96:97] neg_lo:[0,1] neg_hi:[0,1]
	v_pk_add_f32 v[8:9], v[8:9], v[94:95] neg_lo:[0,1] neg_hi:[0,1]
	s_wait_dscnt 0x0
	v_dual_mul_f32 v94, v91, v83 :: v_dual_mul_f32 v96, v91, v80
	s_delay_alu instid0(VALU_DEP_1) | instskip(NEXT) | instid1(VALU_DEP_2)
	v_pk_fma_f32 v[94:95], v[90:91], v[70:71], v[94:95] op_sel_hi:[1,1,0] neg_lo:[0,0,1] neg_hi:[0,0,1]
	v_pk_fma_f32 v[90:91], v[90:91], v[70:71], v[96:97] op_sel:[1,0,0] op_sel_hi:[0,1,0]
	s_delay_alu instid0(VALU_DEP_1) | instskip(SKIP_1) | instid1(VALU_DEP_2)
	v_mov_b32_e32 v95, v91
	v_pk_mul_f32 v[90:91], v[92:93], v[82:83] op_sel:[0,1]
	v_pk_add_f32 v[6:7], v[6:7], v[94:95] neg_lo:[0,1] neg_hi:[0,1]
	s_delay_alu instid0(VALU_DEP_2) | instskip(SKIP_1) | instid1(VALU_DEP_1)
	v_pk_fma_f32 v[94:95], v[92:93], v[80:81], v[90:91] op_sel:[0,0,1] op_sel_hi:[1,1,0] neg_lo:[0,0,1] neg_hi:[0,0,1]
	v_pk_fma_f32 v[90:91], v[92:93], v[80:81], v[90:91] op_sel:[0,0,1] op_sel_hi:[1,0,0]
	v_mov_b32_e32 v95, v91
	ds_load_2addr_b64 v[90:93], v84 offset0:34 offset1:35
	v_pk_add_f32 v[52:53], v[52:53], v[94:95] neg_lo:[0,1] neg_hi:[0,1]
	s_wait_dscnt 0x0
	v_pk_mul_f32 v[94:95], v[90:91], v[82:83] op_sel:[0,1]
	s_delay_alu instid0(VALU_DEP_1) | instskip(SKIP_1) | instid1(VALU_DEP_1)
	v_pk_fma_f32 v[96:97], v[90:91], v[80:81], v[94:95] op_sel:[0,0,1] op_sel_hi:[1,1,0] neg_lo:[0,0,1] neg_hi:[0,0,1]
	v_pk_fma_f32 v[90:91], v[90:91], v[80:81], v[94:95] op_sel:[0,0,1] op_sel_hi:[1,0,0]
	v_mov_b32_e32 v97, v91
	v_pk_mul_f32 v[90:91], v[92:93], v[82:83] op_sel:[0,1]
	s_delay_alu instid0(VALU_DEP_2) | instskip(NEXT) | instid1(VALU_DEP_2)
	v_pk_add_f32 v[34:35], v[34:35], v[96:97] neg_lo:[0,1] neg_hi:[0,1]
	v_pk_fma_f32 v[94:95], v[92:93], v[80:81], v[90:91] op_sel:[0,0,1] op_sel_hi:[1,1,0] neg_lo:[0,0,1] neg_hi:[0,0,1]
	v_pk_fma_f32 v[90:91], v[92:93], v[80:81], v[90:91] op_sel:[0,0,1] op_sel_hi:[1,0,0]
	s_delay_alu instid0(VALU_DEP_1) | instskip(SKIP_4) | instid1(VALU_DEP_1)
	v_mov_b32_e32 v95, v91
	ds_load_b64 v[90:91], v84 offset:288
	v_pk_add_f32 v[16:17], v[16:17], v[94:95] neg_lo:[0,1] neg_hi:[0,1]
	s_wait_dscnt 0x0
	v_pk_mul_f32 v[82:83], v[90:91], v[82:83] op_sel:[0,1]
	v_pk_fma_f32 v[92:93], v[90:91], v[80:81], v[82:83] op_sel:[0,0,1] op_sel_hi:[1,1,0] neg_lo:[0,0,1] neg_hi:[0,0,1]
	v_pk_fma_f32 v[80:81], v[90:91], v[80:81], v[82:83] op_sel:[0,0,1] op_sel_hi:[1,0,0]
	s_delay_alu instid0(VALU_DEP_1) | instskip(NEXT) | instid1(VALU_DEP_1)
	v_mov_b32_e32 v93, v81
	v_pk_add_f32 v[78:79], v[78:79], v[92:93] neg_lo:[0,1] neg_hi:[0,1]
.LBB72_83:
	s_or_b32 exec_lo, exec_lo, s0
	v_lshl_add_u32 v80, v88, 3, v84
	s_barrier_signal -1
	s_barrier_wait -1
	ds_store_b64 v80, v[24:25]
	s_wait_dscnt 0x0
	s_barrier_signal -1
	s_barrier_wait -1
	ds_load_b64 v[82:83], v84 offset:32
	v_mov_b32_e32 v80, 4
	s_cmp_lt_i32 s18, 6
	s_cbranch_scc1 .LBB72_86
; %bb.84:
	v_add3_u32 v81, v85, 0, 40
	v_mov_b32_e32 v80, 4
	s_mov_b32 s0, 5
.LBB72_85:                              ; =>This Inner Loop Header: Depth=1
	ds_load_b64 v[90:91], v81
	s_wait_dscnt 0x1
	v_cmp_gt_f32_e32 vcc_lo, 0, v82
	v_cndmask_b32_e64 v92, v82, -v82, vcc_lo
	v_cmp_gt_f32_e32 vcc_lo, 0, v83
	v_cndmask_b32_e64 v94, v83, -v83, vcc_lo
	s_wait_dscnt 0x0
	v_cmp_gt_f32_e32 vcc_lo, 0, v90
	v_cndmask_b32_e64 v93, v90, -v90, vcc_lo
	v_cmp_gt_f32_e32 vcc_lo, 0, v91
	v_cndmask_b32_e64 v95, v91, -v91, vcc_lo
	s_delay_alu instid0(VALU_DEP_1) | instskip(NEXT) | instid1(VALU_DEP_1)
	v_pk_add_f32 v[92:93], v[92:93], v[94:95]
	v_cmp_lt_f32_e32 vcc_lo, v92, v93
	v_dual_add_nc_u32 v81, 8, v81 :: v_dual_cndmask_b32 v83, v83, v91, vcc_lo
	v_cndmask_b32_e32 v82, v82, v90, vcc_lo
	v_cndmask_b32_e64 v80, v80, s0, vcc_lo
	s_add_co_i32 s0, s0, 1
	s_delay_alu instid0(SALU_CYCLE_1)
	s_cmp_lg_u32 s18, s0
	s_cbranch_scc1 .LBB72_85
.LBB72_86:
	s_wait_dscnt 0x0
	v_cmp_eq_f32_e32 vcc_lo, 0, v82
	v_cmp_eq_f32_e64 s0, 0, v83
	s_and_b32 s0, vcc_lo, s0
	s_delay_alu instid0(SALU_CYCLE_1) | instskip(NEXT) | instid1(SALU_CYCLE_1)
	s_and_saveexec_b32 s1, s0
	s_xor_b32 s0, exec_lo, s1
; %bb.87:
	v_cmp_ne_u32_e32 vcc_lo, 0, v86
	v_cndmask_b32_e32 v86, 5, v86, vcc_lo
; %bb.88:
	s_and_not1_saveexec_b32 s0, s0
	s_cbranch_execz .LBB72_94
; %bb.89:
	v_cmp_ngt_f32_e64 s1, |v82|, |v83|
	s_and_saveexec_b32 s12, s1
	s_delay_alu instid0(SALU_CYCLE_1)
	s_xor_b32 s1, exec_lo, s12
	s_cbranch_execz .LBB72_91
; %bb.90:
	v_div_scale_f32 v81, null, v83, v83, v82
	v_div_scale_f32 v91, vcc_lo, v82, v83, v82
	s_delay_alu instid0(VALU_DEP_2) | instskip(SKIP_1) | instid1(TRANS32_DEP_1)
	v_rcp_f32_e32 v89, v81
	v_nop
	v_fma_f32 v90, -v81, v89, 1.0
	s_delay_alu instid0(VALU_DEP_1) | instskip(NEXT) | instid1(VALU_DEP_1)
	v_fmac_f32_e32 v89, v90, v89
	v_mul_f32_e32 v90, v91, v89
	s_delay_alu instid0(VALU_DEP_1) | instskip(NEXT) | instid1(VALU_DEP_1)
	v_fma_f32 v92, -v81, v90, v91
	v_fmac_f32_e32 v90, v92, v89
	s_delay_alu instid0(VALU_DEP_1) | instskip(NEXT) | instid1(VALU_DEP_1)
	v_fma_f32 v81, -v81, v90, v91
	v_div_fmas_f32 v81, v81, v89, v90
	s_delay_alu instid0(VALU_DEP_1) | instskip(NEXT) | instid1(VALU_DEP_1)
	v_div_fixup_f32 v81, v81, v83, v82
	v_fmac_f32_e32 v83, v82, v81
	s_delay_alu instid0(VALU_DEP_1) | instskip(SKIP_1) | instid1(VALU_DEP_2)
	v_div_scale_f32 v82, null, v83, v83, 1.0
	v_div_scale_f32 v91, vcc_lo, 1.0, v83, 1.0
	v_rcp_f32_e32 v89, v82
	v_nop
	s_delay_alu instid0(TRANS32_DEP_1) | instskip(NEXT) | instid1(VALU_DEP_1)
	v_fma_f32 v90, -v82, v89, 1.0
	v_fmac_f32_e32 v89, v90, v89
	s_delay_alu instid0(VALU_DEP_1) | instskip(NEXT) | instid1(VALU_DEP_1)
	v_mul_f32_e32 v90, v91, v89
	v_fma_f32 v92, -v82, v90, v91
	s_delay_alu instid0(VALU_DEP_1) | instskip(NEXT) | instid1(VALU_DEP_1)
	v_fmac_f32_e32 v90, v92, v89
	v_fma_f32 v82, -v82, v90, v91
	s_delay_alu instid0(VALU_DEP_1) | instskip(NEXT) | instid1(VALU_DEP_1)
	v_div_fmas_f32 v82, v82, v89, v90
	v_div_fixup_f32 v83, v82, v83, 1.0
	s_delay_alu instid0(VALU_DEP_1)
	v_mul_f32_e32 v82, v81, v83
	v_xor_b32_e32 v83, 0x80000000, v83
.LBB72_91:
	s_and_not1_saveexec_b32 s1, s1
	s_cbranch_execz .LBB72_93
; %bb.92:
	s_delay_alu instid0(VALU_DEP_1) | instskip(SKIP_1) | instid1(VALU_DEP_2)
	v_div_scale_f32 v81, null, v82, v82, v83
	v_div_scale_f32 v91, vcc_lo, v83, v82, v83
	v_rcp_f32_e32 v89, v81
	v_nop
	s_delay_alu instid0(TRANS32_DEP_1) | instskip(NEXT) | instid1(VALU_DEP_1)
	v_fma_f32 v90, -v81, v89, 1.0
	v_fmac_f32_e32 v89, v90, v89
	s_delay_alu instid0(VALU_DEP_1) | instskip(NEXT) | instid1(VALU_DEP_1)
	v_mul_f32_e32 v90, v91, v89
	v_fma_f32 v92, -v81, v90, v91
	s_delay_alu instid0(VALU_DEP_1) | instskip(NEXT) | instid1(VALU_DEP_1)
	v_fmac_f32_e32 v90, v92, v89
	v_fma_f32 v81, -v81, v90, v91
	s_delay_alu instid0(VALU_DEP_1) | instskip(NEXT) | instid1(VALU_DEP_1)
	v_div_fmas_f32 v81, v81, v89, v90
	v_div_fixup_f32 v81, v81, v82, v83
	s_delay_alu instid0(VALU_DEP_1) | instskip(NEXT) | instid1(VALU_DEP_1)
	v_fmac_f32_e32 v82, v83, v81
	v_div_scale_f32 v83, null, v82, v82, 1.0
	s_delay_alu instid0(VALU_DEP_1) | instskip(SKIP_1) | instid1(TRANS32_DEP_1)
	v_rcp_f32_e32 v89, v83
	v_nop
	v_fma_f32 v90, -v83, v89, 1.0
	s_delay_alu instid0(VALU_DEP_1) | instskip(SKIP_1) | instid1(VALU_DEP_1)
	v_fmac_f32_e32 v89, v90, v89
	v_div_scale_f32 v90, vcc_lo, 1.0, v82, 1.0
	v_mul_f32_e32 v91, v90, v89
	s_delay_alu instid0(VALU_DEP_1) | instskip(NEXT) | instid1(VALU_DEP_1)
	v_fma_f32 v92, -v83, v91, v90
	v_fmac_f32_e32 v91, v92, v89
	s_delay_alu instid0(VALU_DEP_1) | instskip(NEXT) | instid1(VALU_DEP_1)
	v_fma_f32 v83, -v83, v91, v90
	v_div_fmas_f32 v83, v83, v89, v91
	s_delay_alu instid0(VALU_DEP_1) | instskip(NEXT) | instid1(VALU_DEP_1)
	v_div_fixup_f32 v82, v83, v82, 1.0
	v_mul_f32_e64 v83, v81, -v82
.LBB72_93:
	s_or_b32 exec_lo, exec_lo, s1
.LBB72_94:
	s_delay_alu instid0(SALU_CYCLE_1) | instskip(NEXT) | instid1(SALU_CYCLE_1)
	s_or_b32 exec_lo, exec_lo, s0
	s_mov_b32 s0, exec_lo
	v_cmpx_ne_u32_e64 v88, v80
	s_xor_b32 s0, exec_lo, s0
	s_cbranch_execz .LBB72_100
; %bb.95:
	s_mov_b32 s1, exec_lo
	v_cmpx_eq_u32_e32 4, v88
	s_cbranch_execz .LBB72_99
; %bb.96:
	v_cmp_ne_u32_e32 vcc_lo, 4, v80
	s_xor_b32 s12, s16, -1
	s_delay_alu instid0(SALU_CYCLE_1) | instskip(NEXT) | instid1(SALU_CYCLE_1)
	s_and_b32 s13, s12, vcc_lo
	s_and_saveexec_b32 s12, s13
	s_cbranch_execz .LBB72_98
; %bb.97:
	v_ashrrev_i32_e32 v81, 31, v80
	s_delay_alu instid0(VALU_DEP_1)
	v_lshl_add_u64 v[88:89], v[80:81], 2, v[4:5]
	s_clause 0x1
	global_load_b32 v81, v[88:89], off
	global_load_b32 v87, v[4:5], off offset:16
	s_wait_loadcnt 0x1
	global_store_b32 v[4:5], v81, off offset:16
	s_wait_loadcnt 0x0
	global_store_b32 v[88:89], v87, off
.LBB72_98:
	s_wait_xcnt 0x0
	s_or_b32 exec_lo, exec_lo, s12
	v_dual_mov_b32 v88, v80 :: v_dual_mov_b32 v87, v80
.LBB72_99:
	s_or_b32 exec_lo, exec_lo, s1
.LBB72_100:
	s_and_not1_saveexec_b32 s0, s0
	s_cbranch_execz .LBB72_102
; %bb.101:
	v_mov_b32_e32 v88, 4
	ds_store_2addr_b64 v84, v[20:21], v[22:23] offset0:5 offset1:6
	ds_store_2addr_b64 v84, v[18:19], v[32:33] offset0:7 offset1:8
	;; [unrolled: 1-line block ×16, first 2 shown]
.LBB72_102:
	s_or_b32 exec_lo, exec_lo, s0
	s_delay_alu instid0(SALU_CYCLE_1)
	s_mov_b32 s0, exec_lo
	s_wait_storecnt_dscnt 0x0
	s_barrier_signal -1
	s_barrier_wait -1
	v_cmpx_lt_i32_e32 4, v88
	s_cbranch_execz .LBB72_104
; %bb.103:
	v_pk_mul_f32 v[90:91], v[82:83], v[24:25] op_sel:[1,1] op_sel_hi:[0,1]
	s_delay_alu instid0(VALU_DEP_1)
	v_pk_fma_f32 v[80:81], v[82:83], v[24:25], v[90:91] op_sel_hi:[1,0,1] neg_lo:[0,0,1] neg_hi:[0,0,1]
	v_pk_fma_f32 v[82:83], v[82:83], v[24:25], v[90:91] op_sel_hi:[1,0,1]
	ds_load_2addr_b64 v[90:93], v84 offset0:5 offset1:6
	v_dual_mov_b32 v24, v80 :: v_dual_mov_b32 v25, v83
	s_wait_dscnt 0x0
	v_pk_mul_f32 v[94:95], v[90:91], v[82:83] op_sel:[0,1]
	s_delay_alu instid0(VALU_DEP_1) | instskip(SKIP_1) | instid1(VALU_DEP_1)
	v_pk_fma_f32 v[96:97], v[90:91], v[80:81], v[94:95] op_sel:[0,0,1] op_sel_hi:[1,1,0] neg_lo:[0,0,1] neg_hi:[0,0,1]
	v_pk_fma_f32 v[90:91], v[90:91], v[80:81], v[94:95] op_sel:[0,0,1] op_sel_hi:[1,0,0]
	v_mov_b32_e32 v97, v91
	v_pk_mul_f32 v[90:91], v[92:93], v[82:83] op_sel:[0,1]
	s_delay_alu instid0(VALU_DEP_1) | instskip(SKIP_1) | instid1(VALU_DEP_1)
	v_pk_fma_f32 v[94:95], v[92:93], v[80:81], v[90:91] op_sel:[0,0,1] op_sel_hi:[1,1,0] neg_lo:[0,0,1] neg_hi:[0,0,1]
	v_pk_fma_f32 v[90:91], v[92:93], v[80:81], v[90:91] op_sel:[0,0,1] op_sel_hi:[1,0,0]
	v_mov_b32_e32 v95, v91
	ds_load_2addr_b64 v[90:93], v84 offset0:7 offset1:8
	v_pk_add_f32 v[20:21], v[20:21], v[96:97] neg_lo:[0,1] neg_hi:[0,1]
	v_pk_add_f32 v[22:23], v[22:23], v[94:95] neg_lo:[0,1] neg_hi:[0,1]
	s_wait_dscnt 0x0
	v_pk_mul_f32 v[94:95], v[90:91], v[82:83] op_sel:[0,1]
	s_delay_alu instid0(VALU_DEP_1) | instskip(SKIP_2) | instid1(VALU_DEP_2)
	v_pk_fma_f32 v[96:97], v[90:91], v[80:81], v[94:95] op_sel:[0,0,1] op_sel_hi:[1,1,0] neg_lo:[0,0,1] neg_hi:[0,0,1]
	v_pk_fma_f32 v[90:91], v[90:91], v[80:81], v[94:95] op_sel:[0,0,1] op_sel_hi:[1,0,0]
	v_dual_mul_f32 v94, v93, v83 :: v_dual_mov_b32 v90, v93
	v_dual_mov_b32 v97, v91 :: v_dual_mov_b32 v91, v92
	s_delay_alu instid0(VALU_DEP_2) | instskip(SKIP_1) | instid1(VALU_DEP_3)
	v_pk_fma_f32 v[94:95], v[92:93], v[24:25], v[94:95] op_sel_hi:[1,1,0] neg_lo:[0,0,1] neg_hi:[0,0,1]
	v_mul_f32_e32 v92, v93, v80
	v_pk_add_f32 v[18:19], v[18:19], v[96:97] neg_lo:[0,1] neg_hi:[0,1]
	s_delay_alu instid0(VALU_DEP_2) | instskip(NEXT) | instid1(VALU_DEP_1)
	v_pk_fma_f32 v[90:91], v[90:91], v[24:25], v[92:93] op_sel_hi:[1,1,0]
	v_mov_b32_e32 v95, v91
	ds_load_2addr_b64 v[90:93], v84 offset0:9 offset1:10
	v_pk_add_f32 v[32:33], v[32:33], v[94:95] neg_lo:[0,1] neg_hi:[0,1]
	s_wait_dscnt 0x0
	v_pk_mul_f32 v[94:95], v[90:91], v[82:83] op_sel:[0,1]
	s_delay_alu instid0(VALU_DEP_1) | instskip(SKIP_1) | instid1(VALU_DEP_1)
	v_pk_fma_f32 v[96:97], v[90:91], v[80:81], v[94:95] op_sel:[0,0,1] op_sel_hi:[1,1,0] neg_lo:[0,0,1] neg_hi:[0,0,1]
	v_pk_fma_f32 v[90:91], v[90:91], v[80:81], v[94:95] op_sel:[0,0,1] op_sel_hi:[1,0,0]
	v_mov_b32_e32 v97, v91
	v_pk_mul_f32 v[90:91], v[92:93], v[82:83] op_sel:[0,1]
	s_delay_alu instid0(VALU_DEP_1) | instskip(SKIP_1) | instid1(VALU_DEP_1)
	v_pk_fma_f32 v[94:95], v[92:93], v[80:81], v[90:91] op_sel:[0,0,1] op_sel_hi:[1,1,0] neg_lo:[0,0,1] neg_hi:[0,0,1]
	v_pk_fma_f32 v[90:91], v[92:93], v[80:81], v[90:91] op_sel:[0,0,1] op_sel_hi:[1,0,0]
	v_mov_b32_e32 v95, v91
	ds_load_2addr_b64 v[90:93], v84 offset0:11 offset1:12
	v_pk_add_f32 v[28:29], v[28:29], v[96:97] neg_lo:[0,1] neg_hi:[0,1]
	v_pk_add_f32 v[30:31], v[30:31], v[94:95] neg_lo:[0,1] neg_hi:[0,1]
	s_wait_dscnt 0x0
	v_pk_mul_f32 v[94:95], v[90:91], v[82:83] op_sel:[0,1]
	s_delay_alu instid0(VALU_DEP_1) | instskip(SKIP_1) | instid1(VALU_DEP_1)
	v_pk_fma_f32 v[96:97], v[90:91], v[80:81], v[94:95] op_sel:[0,0,1] op_sel_hi:[1,1,0] neg_lo:[0,0,1] neg_hi:[0,0,1]
	v_pk_fma_f32 v[90:91], v[90:91], v[80:81], v[94:95] op_sel:[0,0,1] op_sel_hi:[1,0,0]
	v_mov_b32_e32 v97, v91
	v_pk_mul_f32 v[90:91], v[92:93], v[82:83] op_sel:[0,1]
	s_delay_alu instid0(VALU_DEP_1) | instskip(SKIP_1) | instid1(VALU_DEP_1)
	v_pk_fma_f32 v[94:95], v[92:93], v[80:81], v[90:91] op_sel:[0,0,1] op_sel_hi:[1,1,0] neg_lo:[0,0,1] neg_hi:[0,0,1]
	v_pk_fma_f32 v[90:91], v[92:93], v[80:81], v[90:91] op_sel:[0,0,1] op_sel_hi:[1,0,0]
	v_mov_b32_e32 v95, v91
	ds_load_2addr_b64 v[90:93], v84 offset0:13 offset1:14
	v_pk_add_f32 v[26:27], v[26:27], v[96:97] neg_lo:[0,1] neg_hi:[0,1]
	v_pk_add_f32 v[42:43], v[42:43], v[94:95] neg_lo:[0,1] neg_hi:[0,1]
	s_wait_dscnt 0x0
	v_dual_mul_f32 v94, v91, v83 :: v_dual_mul_f32 v96, v91, v80
	s_delay_alu instid0(VALU_DEP_1) | instskip(NEXT) | instid1(VALU_DEP_2)
	v_pk_fma_f32 v[94:95], v[90:91], v[24:25], v[94:95] op_sel_hi:[1,1,0] neg_lo:[0,0,1] neg_hi:[0,0,1]
	v_pk_fma_f32 v[90:91], v[90:91], v[24:25], v[96:97] op_sel:[1,0,0] op_sel_hi:[0,1,0]
	s_delay_alu instid0(VALU_DEP_1) | instskip(SKIP_1) | instid1(VALU_DEP_2)
	v_mov_b32_e32 v95, v91
	v_pk_mul_f32 v[90:91], v[92:93], v[82:83] op_sel:[0,1]
	v_pk_add_f32 v[38:39], v[38:39], v[94:95] neg_lo:[0,1] neg_hi:[0,1]
	s_delay_alu instid0(VALU_DEP_2) | instskip(SKIP_1) | instid1(VALU_DEP_1)
	v_pk_fma_f32 v[94:95], v[92:93], v[80:81], v[90:91] op_sel:[0,0,1] op_sel_hi:[1,1,0] neg_lo:[0,0,1] neg_hi:[0,0,1]
	v_pk_fma_f32 v[90:91], v[92:93], v[80:81], v[90:91] op_sel:[0,0,1] op_sel_hi:[1,0,0]
	v_mov_b32_e32 v95, v91
	ds_load_2addr_b64 v[90:93], v84 offset0:15 offset1:16
	v_pk_add_f32 v[40:41], v[40:41], v[94:95] neg_lo:[0,1] neg_hi:[0,1]
	s_wait_dscnt 0x0
	v_pk_mul_f32 v[94:95], v[90:91], v[82:83] op_sel:[0,1]
	s_delay_alu instid0(VALU_DEP_1) | instskip(SKIP_1) | instid1(VALU_DEP_1)
	v_pk_fma_f32 v[96:97], v[90:91], v[80:81], v[94:95] op_sel:[0,0,1] op_sel_hi:[1,1,0] neg_lo:[0,0,1] neg_hi:[0,0,1]
	v_pk_fma_f32 v[90:91], v[90:91], v[80:81], v[94:95] op_sel:[0,0,1] op_sel_hi:[1,0,0]
	v_mov_b32_e32 v97, v91
	v_pk_mul_f32 v[90:91], v[92:93], v[82:83] op_sel:[0,1]
	s_delay_alu instid0(VALU_DEP_2) | instskip(NEXT) | instid1(VALU_DEP_2)
	v_pk_add_f32 v[36:37], v[36:37], v[96:97] neg_lo:[0,1] neg_hi:[0,1]
	v_pk_fma_f32 v[94:95], v[92:93], v[80:81], v[90:91] op_sel:[0,0,1] op_sel_hi:[1,1,0] neg_lo:[0,0,1] neg_hi:[0,0,1]
	v_pk_fma_f32 v[90:91], v[92:93], v[80:81], v[90:91] op_sel:[0,0,1] op_sel_hi:[1,0,0]
	s_delay_alu instid0(VALU_DEP_1) | instskip(SKIP_4) | instid1(VALU_DEP_1)
	v_mov_b32_e32 v95, v91
	ds_load_2addr_b64 v[90:93], v84 offset0:17 offset1:18
	v_pk_add_f32 v[68:69], v[68:69], v[94:95] neg_lo:[0,1] neg_hi:[0,1]
	s_wait_dscnt 0x0
	v_pk_mul_f32 v[94:95], v[90:91], v[82:83] op_sel:[0,1]
	v_pk_fma_f32 v[96:97], v[90:91], v[80:81], v[94:95] op_sel:[0,0,1] op_sel_hi:[1,1,0] neg_lo:[0,0,1] neg_hi:[0,0,1]
	v_pk_fma_f32 v[90:91], v[90:91], v[80:81], v[94:95] op_sel:[0,0,1] op_sel_hi:[1,0,0]
	v_dual_mul_f32 v94, v93, v83 :: v_dual_mov_b32 v90, v93
	s_delay_alu instid0(VALU_DEP_2) | instskip(NEXT) | instid1(VALU_DEP_2)
	v_dual_mov_b32 v97, v91 :: v_dual_mov_b32 v91, v92
	v_pk_fma_f32 v[94:95], v[92:93], v[24:25], v[94:95] op_sel_hi:[1,1,0] neg_lo:[0,0,1] neg_hi:[0,0,1]
	v_mul_f32_e32 v92, v93, v80
	s_delay_alu instid0(VALU_DEP_3) | instskip(NEXT) | instid1(VALU_DEP_2)
	v_pk_add_f32 v[64:65], v[64:65], v[96:97] neg_lo:[0,1] neg_hi:[0,1]
	v_pk_fma_f32 v[90:91], v[90:91], v[24:25], v[92:93] op_sel_hi:[1,1,0]
	s_delay_alu instid0(VALU_DEP_1) | instskip(SKIP_4) | instid1(VALU_DEP_1)
	v_mov_b32_e32 v95, v91
	ds_load_2addr_b64 v[90:93], v84 offset0:19 offset1:20
	v_pk_add_f32 v[66:67], v[66:67], v[94:95] neg_lo:[0,1] neg_hi:[0,1]
	s_wait_dscnt 0x0
	v_pk_mul_f32 v[94:95], v[90:91], v[82:83] op_sel:[0,1]
	v_pk_fma_f32 v[96:97], v[90:91], v[80:81], v[94:95] op_sel:[0,0,1] op_sel_hi:[1,1,0] neg_lo:[0,0,1] neg_hi:[0,0,1]
	v_pk_fma_f32 v[90:91], v[90:91], v[80:81], v[94:95] op_sel:[0,0,1] op_sel_hi:[1,0,0]
	s_delay_alu instid0(VALU_DEP_1) | instskip(SKIP_1) | instid1(VALU_DEP_1)
	v_mov_b32_e32 v97, v91
	v_pk_mul_f32 v[90:91], v[92:93], v[82:83] op_sel:[0,1]
	v_pk_fma_f32 v[94:95], v[92:93], v[80:81], v[90:91] op_sel:[0,0,1] op_sel_hi:[1,1,0] neg_lo:[0,0,1] neg_hi:[0,0,1]
	v_pk_fma_f32 v[90:91], v[92:93], v[80:81], v[90:91] op_sel:[0,0,1] op_sel_hi:[1,0,0]
	s_delay_alu instid0(VALU_DEP_1)
	v_mov_b32_e32 v95, v91
	ds_load_2addr_b64 v[90:93], v84 offset0:21 offset1:22
	v_pk_add_f32 v[62:63], v[62:63], v[96:97] neg_lo:[0,1] neg_hi:[0,1]
	v_pk_add_f32 v[60:61], v[60:61], v[94:95] neg_lo:[0,1] neg_hi:[0,1]
	s_wait_dscnt 0x0
	v_pk_mul_f32 v[94:95], v[90:91], v[82:83] op_sel:[0,1]
	s_delay_alu instid0(VALU_DEP_1) | instskip(SKIP_1) | instid1(VALU_DEP_1)
	v_pk_fma_f32 v[96:97], v[90:91], v[80:81], v[94:95] op_sel:[0,0,1] op_sel_hi:[1,1,0] neg_lo:[0,0,1] neg_hi:[0,0,1]
	v_pk_fma_f32 v[90:91], v[90:91], v[80:81], v[94:95] op_sel:[0,0,1] op_sel_hi:[1,0,0]
	v_mov_b32_e32 v97, v91
	v_pk_mul_f32 v[90:91], v[92:93], v[82:83] op_sel:[0,1]
	s_delay_alu instid0(VALU_DEP_1) | instskip(SKIP_1) | instid1(VALU_DEP_1)
	v_pk_fma_f32 v[94:95], v[92:93], v[80:81], v[90:91] op_sel:[0,0,1] op_sel_hi:[1,1,0] neg_lo:[0,0,1] neg_hi:[0,0,1]
	v_pk_fma_f32 v[90:91], v[92:93], v[80:81], v[90:91] op_sel:[0,0,1] op_sel_hi:[1,0,0]
	v_mov_b32_e32 v95, v91
	ds_load_2addr_b64 v[90:93], v84 offset0:23 offset1:24
	v_pk_add_f32 v[56:57], v[56:57], v[96:97] neg_lo:[0,1] neg_hi:[0,1]
	v_pk_add_f32 v[58:59], v[58:59], v[94:95] neg_lo:[0,1] neg_hi:[0,1]
	s_wait_dscnt 0x0
	v_dual_mul_f32 v94, v91, v83 :: v_dual_mul_f32 v96, v91, v80
	s_delay_alu instid0(VALU_DEP_1) | instskip(NEXT) | instid1(VALU_DEP_2)
	v_pk_fma_f32 v[94:95], v[90:91], v[24:25], v[94:95] op_sel_hi:[1,1,0] neg_lo:[0,0,1] neg_hi:[0,0,1]
	v_pk_fma_f32 v[90:91], v[90:91], v[24:25], v[96:97] op_sel:[1,0,0] op_sel_hi:[0,1,0]
	s_delay_alu instid0(VALU_DEP_1) | instskip(SKIP_1) | instid1(VALU_DEP_2)
	v_mov_b32_e32 v95, v91
	v_pk_mul_f32 v[90:91], v[92:93], v[82:83] op_sel:[0,1]
	v_pk_add_f32 v[54:55], v[54:55], v[94:95] neg_lo:[0,1] neg_hi:[0,1]
	s_delay_alu instid0(VALU_DEP_2) | instskip(SKIP_1) | instid1(VALU_DEP_1)
	v_pk_fma_f32 v[94:95], v[92:93], v[80:81], v[90:91] op_sel:[0,0,1] op_sel_hi:[1,1,0] neg_lo:[0,0,1] neg_hi:[0,0,1]
	v_pk_fma_f32 v[90:91], v[92:93], v[80:81], v[90:91] op_sel:[0,0,1] op_sel_hi:[1,0,0]
	v_mov_b32_e32 v95, v91
	ds_load_2addr_b64 v[90:93], v84 offset0:25 offset1:26
	v_pk_add_f32 v[50:51], v[50:51], v[94:95] neg_lo:[0,1] neg_hi:[0,1]
	s_wait_dscnt 0x0
	v_pk_mul_f32 v[94:95], v[90:91], v[82:83] op_sel:[0,1]
	s_delay_alu instid0(VALU_DEP_1) | instskip(SKIP_1) | instid1(VALU_DEP_1)
	v_pk_fma_f32 v[96:97], v[90:91], v[80:81], v[94:95] op_sel:[0,0,1] op_sel_hi:[1,1,0] neg_lo:[0,0,1] neg_hi:[0,0,1]
	v_pk_fma_f32 v[90:91], v[90:91], v[80:81], v[94:95] op_sel:[0,0,1] op_sel_hi:[1,0,0]
	v_mov_b32_e32 v97, v91
	v_pk_mul_f32 v[90:91], v[92:93], v[82:83] op_sel:[0,1]
	s_delay_alu instid0(VALU_DEP_2) | instskip(NEXT) | instid1(VALU_DEP_2)
	v_pk_add_f32 v[46:47], v[46:47], v[96:97] neg_lo:[0,1] neg_hi:[0,1]
	v_pk_fma_f32 v[94:95], v[92:93], v[80:81], v[90:91] op_sel:[0,0,1] op_sel_hi:[1,1,0] neg_lo:[0,0,1] neg_hi:[0,0,1]
	v_pk_fma_f32 v[90:91], v[92:93], v[80:81], v[90:91] op_sel:[0,0,1] op_sel_hi:[1,0,0]
	s_delay_alu instid0(VALU_DEP_1) | instskip(SKIP_4) | instid1(VALU_DEP_1)
	v_mov_b32_e32 v95, v91
	ds_load_2addr_b64 v[90:93], v84 offset0:27 offset1:28
	v_pk_add_f32 v[48:49], v[48:49], v[94:95] neg_lo:[0,1] neg_hi:[0,1]
	s_wait_dscnt 0x0
	v_pk_mul_f32 v[94:95], v[90:91], v[82:83] op_sel:[0,1]
	v_pk_fma_f32 v[96:97], v[90:91], v[80:81], v[94:95] op_sel:[0,0,1] op_sel_hi:[1,1,0] neg_lo:[0,0,1] neg_hi:[0,0,1]
	v_pk_fma_f32 v[90:91], v[90:91], v[80:81], v[94:95] op_sel:[0,0,1] op_sel_hi:[1,0,0]
	v_dual_mul_f32 v94, v93, v83 :: v_dual_mov_b32 v90, v93
	s_delay_alu instid0(VALU_DEP_2) | instskip(NEXT) | instid1(VALU_DEP_2)
	v_dual_mov_b32 v97, v91 :: v_dual_mov_b32 v91, v92
	v_pk_fma_f32 v[94:95], v[92:93], v[24:25], v[94:95] op_sel_hi:[1,1,0] neg_lo:[0,0,1] neg_hi:[0,0,1]
	v_mul_f32_e32 v92, v93, v80
	s_delay_alu instid0(VALU_DEP_3) | instskip(NEXT) | instid1(VALU_DEP_2)
	v_pk_add_f32 v[44:45], v[44:45], v[96:97] neg_lo:[0,1] neg_hi:[0,1]
	v_pk_fma_f32 v[90:91], v[90:91], v[24:25], v[92:93] op_sel_hi:[1,1,0]
	s_delay_alu instid0(VALU_DEP_1) | instskip(SKIP_4) | instid1(VALU_DEP_1)
	v_mov_b32_e32 v95, v91
	ds_load_2addr_b64 v[90:93], v84 offset0:29 offset1:30
	v_pk_add_f32 v[14:15], v[14:15], v[94:95] neg_lo:[0,1] neg_hi:[0,1]
	s_wait_dscnt 0x0
	v_pk_mul_f32 v[94:95], v[90:91], v[82:83] op_sel:[0,1]
	v_pk_fma_f32 v[96:97], v[90:91], v[80:81], v[94:95] op_sel:[0,0,1] op_sel_hi:[1,1,0] neg_lo:[0,0,1] neg_hi:[0,0,1]
	v_pk_fma_f32 v[90:91], v[90:91], v[80:81], v[94:95] op_sel:[0,0,1] op_sel_hi:[1,0,0]
	s_delay_alu instid0(VALU_DEP_1) | instskip(SKIP_1) | instid1(VALU_DEP_1)
	v_mov_b32_e32 v97, v91
	v_pk_mul_f32 v[90:91], v[92:93], v[82:83] op_sel:[0,1]
	v_pk_fma_f32 v[94:95], v[92:93], v[80:81], v[90:91] op_sel:[0,0,1] op_sel_hi:[1,1,0] neg_lo:[0,0,1] neg_hi:[0,0,1]
	v_pk_fma_f32 v[90:91], v[92:93], v[80:81], v[90:91] op_sel:[0,0,1] op_sel_hi:[1,0,0]
	s_delay_alu instid0(VALU_DEP_1)
	v_mov_b32_e32 v95, v91
	ds_load_2addr_b64 v[90:93], v84 offset0:31 offset1:32
	v_pk_add_f32 v[10:11], v[10:11], v[96:97] neg_lo:[0,1] neg_hi:[0,1]
	v_pk_add_f32 v[12:13], v[12:13], v[94:95] neg_lo:[0,1] neg_hi:[0,1]
	s_wait_dscnt 0x0
	v_pk_mul_f32 v[94:95], v[90:91], v[82:83] op_sel:[0,1]
	s_delay_alu instid0(VALU_DEP_1) | instskip(SKIP_1) | instid1(VALU_DEP_1)
	v_pk_fma_f32 v[96:97], v[90:91], v[80:81], v[94:95] op_sel:[0,0,1] op_sel_hi:[1,1,0] neg_lo:[0,0,1] neg_hi:[0,0,1]
	v_pk_fma_f32 v[90:91], v[90:91], v[80:81], v[94:95] op_sel:[0,0,1] op_sel_hi:[1,0,0]
	v_mov_b32_e32 v97, v91
	v_pk_mul_f32 v[90:91], v[92:93], v[82:83] op_sel:[0,1]
	s_delay_alu instid0(VALU_DEP_1) | instskip(SKIP_1) | instid1(VALU_DEP_1)
	v_pk_fma_f32 v[94:95], v[92:93], v[80:81], v[90:91] op_sel:[0,0,1] op_sel_hi:[1,1,0] neg_lo:[0,0,1] neg_hi:[0,0,1]
	v_pk_fma_f32 v[90:91], v[92:93], v[80:81], v[90:91] op_sel:[0,0,1] op_sel_hi:[1,0,0]
	v_mov_b32_e32 v95, v91
	ds_load_2addr_b64 v[90:93], v84 offset0:33 offset1:34
	v_pk_add_f32 v[8:9], v[8:9], v[96:97] neg_lo:[0,1] neg_hi:[0,1]
	v_pk_add_f32 v[6:7], v[6:7], v[94:95] neg_lo:[0,1] neg_hi:[0,1]
	s_wait_dscnt 0x0
	v_dual_mul_f32 v94, v91, v83 :: v_dual_mul_f32 v96, v91, v80
	s_delay_alu instid0(VALU_DEP_1) | instskip(NEXT) | instid1(VALU_DEP_2)
	v_pk_fma_f32 v[94:95], v[90:91], v[24:25], v[94:95] op_sel_hi:[1,1,0] neg_lo:[0,0,1] neg_hi:[0,0,1]
	v_pk_fma_f32 v[90:91], v[90:91], v[24:25], v[96:97] op_sel:[1,0,0] op_sel_hi:[0,1,0]
	s_delay_alu instid0(VALU_DEP_1) | instskip(SKIP_1) | instid1(VALU_DEP_2)
	v_mov_b32_e32 v95, v91
	v_pk_mul_f32 v[90:91], v[92:93], v[82:83] op_sel:[0,1]
	v_pk_add_f32 v[52:53], v[52:53], v[94:95] neg_lo:[0,1] neg_hi:[0,1]
	s_delay_alu instid0(VALU_DEP_2) | instskip(SKIP_1) | instid1(VALU_DEP_1)
	v_pk_fma_f32 v[94:95], v[92:93], v[80:81], v[90:91] op_sel:[0,0,1] op_sel_hi:[1,1,0] neg_lo:[0,0,1] neg_hi:[0,0,1]
	v_pk_fma_f32 v[90:91], v[92:93], v[80:81], v[90:91] op_sel:[0,0,1] op_sel_hi:[1,0,0]
	v_mov_b32_e32 v95, v91
	ds_load_2addr_b64 v[90:93], v84 offset0:35 offset1:36
	v_pk_add_f32 v[34:35], v[34:35], v[94:95] neg_lo:[0,1] neg_hi:[0,1]
	s_wait_dscnt 0x0
	v_pk_mul_f32 v[94:95], v[90:91], v[82:83] op_sel:[0,1]
	v_pk_mul_f32 v[82:83], v[92:93], v[82:83] op_sel:[0,1]
	s_delay_alu instid0(VALU_DEP_2) | instskip(SKIP_1) | instid1(VALU_DEP_1)
	v_pk_fma_f32 v[96:97], v[90:91], v[80:81], v[94:95] op_sel:[0,0,1] op_sel_hi:[1,1,0] neg_lo:[0,0,1] neg_hi:[0,0,1]
	v_pk_fma_f32 v[90:91], v[90:91], v[80:81], v[94:95] op_sel:[0,0,1] op_sel_hi:[1,0,0]
	v_mov_b32_e32 v97, v91
	s_delay_alu instid0(VALU_DEP_4) | instskip(SKIP_1) | instid1(VALU_DEP_3)
	v_pk_fma_f32 v[90:91], v[92:93], v[80:81], v[82:83] op_sel:[0,0,1] op_sel_hi:[1,1,0] neg_lo:[0,0,1] neg_hi:[0,0,1]
	v_pk_fma_f32 v[80:81], v[92:93], v[80:81], v[82:83] op_sel:[0,0,1] op_sel_hi:[1,0,0]
	v_pk_add_f32 v[16:17], v[16:17], v[96:97] neg_lo:[0,1] neg_hi:[0,1]
	s_delay_alu instid0(VALU_DEP_2) | instskip(NEXT) | instid1(VALU_DEP_1)
	v_mov_b32_e32 v91, v81
	v_pk_add_f32 v[78:79], v[78:79], v[90:91] neg_lo:[0,1] neg_hi:[0,1]
.LBB72_104:
	s_or_b32 exec_lo, exec_lo, s0
	v_lshl_add_u32 v80, v88, 3, v84
	s_barrier_signal -1
	s_barrier_wait -1
	ds_store_b64 v80, v[20:21]
	s_wait_dscnt 0x0
	s_barrier_signal -1
	s_barrier_wait -1
	ds_load_b64 v[82:83], v84 offset:40
	v_mov_b32_e32 v80, 5
	s_cmp_lt_i32 s18, 7
	s_cbranch_scc1 .LBB72_107
; %bb.105:
	v_add3_u32 v81, v85, 0, 48
	v_mov_b32_e32 v80, 5
	s_mov_b32 s0, 6
.LBB72_106:                             ; =>This Inner Loop Header: Depth=1
	ds_load_b64 v[90:91], v81
	s_wait_dscnt 0x1
	v_cmp_gt_f32_e32 vcc_lo, 0, v82
	v_cndmask_b32_e64 v92, v82, -v82, vcc_lo
	v_cmp_gt_f32_e32 vcc_lo, 0, v83
	v_cndmask_b32_e64 v94, v83, -v83, vcc_lo
	s_wait_dscnt 0x0
	v_cmp_gt_f32_e32 vcc_lo, 0, v90
	v_cndmask_b32_e64 v93, v90, -v90, vcc_lo
	v_cmp_gt_f32_e32 vcc_lo, 0, v91
	v_cndmask_b32_e64 v95, v91, -v91, vcc_lo
	s_delay_alu instid0(VALU_DEP_1) | instskip(NEXT) | instid1(VALU_DEP_1)
	v_pk_add_f32 v[92:93], v[92:93], v[94:95]
	v_cmp_lt_f32_e32 vcc_lo, v92, v93
	v_dual_add_nc_u32 v81, 8, v81 :: v_dual_cndmask_b32 v83, v83, v91, vcc_lo
	v_cndmask_b32_e32 v82, v82, v90, vcc_lo
	v_cndmask_b32_e64 v80, v80, s0, vcc_lo
	s_add_co_i32 s0, s0, 1
	s_delay_alu instid0(SALU_CYCLE_1)
	s_cmp_lg_u32 s18, s0
	s_cbranch_scc1 .LBB72_106
.LBB72_107:
	s_wait_dscnt 0x0
	v_cmp_eq_f32_e32 vcc_lo, 0, v82
	v_cmp_eq_f32_e64 s0, 0, v83
	s_and_b32 s0, vcc_lo, s0
	s_delay_alu instid0(SALU_CYCLE_1) | instskip(NEXT) | instid1(SALU_CYCLE_1)
	s_and_saveexec_b32 s1, s0
	s_xor_b32 s0, exec_lo, s1
; %bb.108:
	v_cmp_ne_u32_e32 vcc_lo, 0, v86
	v_cndmask_b32_e32 v86, 6, v86, vcc_lo
; %bb.109:
	s_and_not1_saveexec_b32 s0, s0
	s_cbranch_execz .LBB72_115
; %bb.110:
	v_cmp_ngt_f32_e64 s1, |v82|, |v83|
	s_and_saveexec_b32 s12, s1
	s_delay_alu instid0(SALU_CYCLE_1)
	s_xor_b32 s1, exec_lo, s12
	s_cbranch_execz .LBB72_112
; %bb.111:
	v_div_scale_f32 v81, null, v83, v83, v82
	v_div_scale_f32 v91, vcc_lo, v82, v83, v82
	s_delay_alu instid0(VALU_DEP_2) | instskip(SKIP_1) | instid1(TRANS32_DEP_1)
	v_rcp_f32_e32 v89, v81
	v_nop
	v_fma_f32 v90, -v81, v89, 1.0
	s_delay_alu instid0(VALU_DEP_1) | instskip(NEXT) | instid1(VALU_DEP_1)
	v_fmac_f32_e32 v89, v90, v89
	v_mul_f32_e32 v90, v91, v89
	s_delay_alu instid0(VALU_DEP_1) | instskip(NEXT) | instid1(VALU_DEP_1)
	v_fma_f32 v92, -v81, v90, v91
	v_fmac_f32_e32 v90, v92, v89
	s_delay_alu instid0(VALU_DEP_1) | instskip(NEXT) | instid1(VALU_DEP_1)
	v_fma_f32 v81, -v81, v90, v91
	v_div_fmas_f32 v81, v81, v89, v90
	s_delay_alu instid0(VALU_DEP_1) | instskip(NEXT) | instid1(VALU_DEP_1)
	v_div_fixup_f32 v81, v81, v83, v82
	v_fmac_f32_e32 v83, v82, v81
	s_delay_alu instid0(VALU_DEP_1) | instskip(SKIP_1) | instid1(VALU_DEP_2)
	v_div_scale_f32 v82, null, v83, v83, 1.0
	v_div_scale_f32 v91, vcc_lo, 1.0, v83, 1.0
	v_rcp_f32_e32 v89, v82
	v_nop
	s_delay_alu instid0(TRANS32_DEP_1) | instskip(NEXT) | instid1(VALU_DEP_1)
	v_fma_f32 v90, -v82, v89, 1.0
	v_fmac_f32_e32 v89, v90, v89
	s_delay_alu instid0(VALU_DEP_1) | instskip(NEXT) | instid1(VALU_DEP_1)
	v_mul_f32_e32 v90, v91, v89
	v_fma_f32 v92, -v82, v90, v91
	s_delay_alu instid0(VALU_DEP_1) | instskip(NEXT) | instid1(VALU_DEP_1)
	v_fmac_f32_e32 v90, v92, v89
	v_fma_f32 v82, -v82, v90, v91
	s_delay_alu instid0(VALU_DEP_1) | instskip(NEXT) | instid1(VALU_DEP_1)
	v_div_fmas_f32 v82, v82, v89, v90
	v_div_fixup_f32 v83, v82, v83, 1.0
	s_delay_alu instid0(VALU_DEP_1)
	v_mul_f32_e32 v82, v81, v83
	v_xor_b32_e32 v83, 0x80000000, v83
.LBB72_112:
	s_and_not1_saveexec_b32 s1, s1
	s_cbranch_execz .LBB72_114
; %bb.113:
	s_delay_alu instid0(VALU_DEP_1) | instskip(SKIP_1) | instid1(VALU_DEP_2)
	v_div_scale_f32 v81, null, v82, v82, v83
	v_div_scale_f32 v91, vcc_lo, v83, v82, v83
	v_rcp_f32_e32 v89, v81
	v_nop
	s_delay_alu instid0(TRANS32_DEP_1) | instskip(NEXT) | instid1(VALU_DEP_1)
	v_fma_f32 v90, -v81, v89, 1.0
	v_fmac_f32_e32 v89, v90, v89
	s_delay_alu instid0(VALU_DEP_1) | instskip(NEXT) | instid1(VALU_DEP_1)
	v_mul_f32_e32 v90, v91, v89
	v_fma_f32 v92, -v81, v90, v91
	s_delay_alu instid0(VALU_DEP_1) | instskip(NEXT) | instid1(VALU_DEP_1)
	v_fmac_f32_e32 v90, v92, v89
	v_fma_f32 v81, -v81, v90, v91
	s_delay_alu instid0(VALU_DEP_1) | instskip(NEXT) | instid1(VALU_DEP_1)
	v_div_fmas_f32 v81, v81, v89, v90
	v_div_fixup_f32 v81, v81, v82, v83
	s_delay_alu instid0(VALU_DEP_1) | instskip(NEXT) | instid1(VALU_DEP_1)
	v_fmac_f32_e32 v82, v83, v81
	v_div_scale_f32 v83, null, v82, v82, 1.0
	s_delay_alu instid0(VALU_DEP_1) | instskip(SKIP_1) | instid1(TRANS32_DEP_1)
	v_rcp_f32_e32 v89, v83
	v_nop
	v_fma_f32 v90, -v83, v89, 1.0
	s_delay_alu instid0(VALU_DEP_1) | instskip(SKIP_1) | instid1(VALU_DEP_1)
	v_fmac_f32_e32 v89, v90, v89
	v_div_scale_f32 v90, vcc_lo, 1.0, v82, 1.0
	v_mul_f32_e32 v91, v90, v89
	s_delay_alu instid0(VALU_DEP_1) | instskip(NEXT) | instid1(VALU_DEP_1)
	v_fma_f32 v92, -v83, v91, v90
	v_fmac_f32_e32 v91, v92, v89
	s_delay_alu instid0(VALU_DEP_1) | instskip(NEXT) | instid1(VALU_DEP_1)
	v_fma_f32 v83, -v83, v91, v90
	v_div_fmas_f32 v83, v83, v89, v91
	s_delay_alu instid0(VALU_DEP_1) | instskip(NEXT) | instid1(VALU_DEP_1)
	v_div_fixup_f32 v82, v83, v82, 1.0
	v_mul_f32_e64 v83, v81, -v82
.LBB72_114:
	s_or_b32 exec_lo, exec_lo, s1
.LBB72_115:
	s_delay_alu instid0(SALU_CYCLE_1) | instskip(NEXT) | instid1(SALU_CYCLE_1)
	s_or_b32 exec_lo, exec_lo, s0
	s_mov_b32 s0, exec_lo
	v_cmpx_ne_u32_e64 v88, v80
	s_xor_b32 s0, exec_lo, s0
	s_cbranch_execz .LBB72_121
; %bb.116:
	s_mov_b32 s1, exec_lo
	v_cmpx_eq_u32_e32 5, v88
	s_cbranch_execz .LBB72_120
; %bb.117:
	v_cmp_ne_u32_e32 vcc_lo, 5, v80
	s_xor_b32 s12, s16, -1
	s_delay_alu instid0(SALU_CYCLE_1) | instskip(NEXT) | instid1(SALU_CYCLE_1)
	s_and_b32 s13, s12, vcc_lo
	s_and_saveexec_b32 s12, s13
	s_cbranch_execz .LBB72_119
; %bb.118:
	v_ashrrev_i32_e32 v81, 31, v80
	s_delay_alu instid0(VALU_DEP_1)
	v_lshl_add_u64 v[88:89], v[80:81], 2, v[4:5]
	s_clause 0x1
	global_load_b32 v81, v[88:89], off
	global_load_b32 v87, v[4:5], off offset:20
	s_wait_loadcnt 0x1
	global_store_b32 v[4:5], v81, off offset:20
	s_wait_loadcnt 0x0
	global_store_b32 v[88:89], v87, off
.LBB72_119:
	s_wait_xcnt 0x0
	s_or_b32 exec_lo, exec_lo, s12
	v_dual_mov_b32 v88, v80 :: v_dual_mov_b32 v87, v80
.LBB72_120:
	s_or_b32 exec_lo, exec_lo, s1
.LBB72_121:
	s_and_not1_saveexec_b32 s0, s0
	s_cbranch_execz .LBB72_123
; %bb.122:
	v_dual_mov_b32 v80, v22 :: v_dual_mov_b32 v81, v23
	v_dual_mov_b32 v88, v18 :: v_dual_mov_b32 v89, v19
	v_dual_mov_b32 v90, v32 :: v_dual_mov_b32 v91, v33
	v_dual_mov_b32 v92, v28 :: v_dual_mov_b32 v93, v29
	v_dual_mov_b32 v94, v30 :: v_dual_mov_b32 v95, v31
	v_dual_mov_b32 v96, v26 :: v_dual_mov_b32 v97, v27
	v_dual_mov_b32 v98, v42 :: v_dual_mov_b32 v99, v43
	v_dual_mov_b32 v100, v38 :: v_dual_mov_b32 v101, v39
	ds_store_2addr_b64 v84, v[80:81], v[88:89] offset0:6 offset1:7
	ds_store_2addr_b64 v84, v[90:91], v[92:93] offset0:8 offset1:9
	;; [unrolled: 1-line block ×4, first 2 shown]
	v_dual_mov_b32 v80, v40 :: v_dual_mov_b32 v81, v41
	v_dual_mov_b32 v88, v36 :: v_dual_mov_b32 v89, v37
	;; [unrolled: 1-line block ×12, first 2 shown]
	ds_store_2addr_b64 v84, v[80:81], v[88:89] offset0:14 offset1:15
	ds_store_2addr_b64 v84, v[90:91], v[92:93] offset0:16 offset1:17
	;; [unrolled: 1-line block ×6, first 2 shown]
	v_dual_mov_b32 v80, v48 :: v_dual_mov_b32 v81, v49
	v_dual_mov_b32 v88, v44 :: v_dual_mov_b32 v89, v45
	;; [unrolled: 1-line block ×6, first 2 shown]
	ds_store_2addr_b64 v84, v[80:81], v[88:89] offset0:26 offset1:27
	ds_store_2addr_b64 v84, v[90:91], v[92:93] offset0:28 offset1:29
	v_dual_mov_b32 v88, 5 :: v_dual_mov_b32 v98, v6
	v_dual_mov_b32 v99, v7 :: v_dual_mov_b32 v100, v52
	;; [unrolled: 1-line block ×4, first 2 shown]
	v_mov_b32_e32 v105, v17
	ds_store_2addr_b64 v84, v[94:95], v[96:97] offset0:30 offset1:31
	ds_store_2addr_b64 v84, v[98:99], v[100:101] offset0:32 offset1:33
	;; [unrolled: 1-line block ×3, first 2 shown]
	ds_store_b64 v84, v[78:79] offset:288
.LBB72_123:
	s_or_b32 exec_lo, exec_lo, s0
	s_delay_alu instid0(SALU_CYCLE_1)
	s_mov_b32 s0, exec_lo
	s_wait_storecnt_dscnt 0x0
	s_barrier_signal -1
	s_barrier_wait -1
	v_cmpx_lt_i32_e32 5, v88
	s_cbranch_execz .LBB72_125
; %bb.124:
	v_pk_mul_f32 v[90:91], v[82:83], v[20:21] op_sel:[1,1] op_sel_hi:[0,1]
	s_delay_alu instid0(VALU_DEP_1)
	v_pk_fma_f32 v[80:81], v[82:83], v[20:21], v[90:91] op_sel_hi:[1,0,1] neg_lo:[0,0,1] neg_hi:[0,0,1]
	v_pk_fma_f32 v[82:83], v[82:83], v[20:21], v[90:91] op_sel_hi:[1,0,1]
	ds_load_2addr_b64 v[90:93], v84 offset0:6 offset1:7
	v_dual_mov_b32 v20, v80 :: v_dual_mov_b32 v21, v83
	s_wait_dscnt 0x0
	v_pk_mul_f32 v[94:95], v[90:91], v[82:83] op_sel:[0,1]
	s_delay_alu instid0(VALU_DEP_1) | instskip(SKIP_1) | instid1(VALU_DEP_1)
	v_pk_fma_f32 v[96:97], v[90:91], v[80:81], v[94:95] op_sel:[0,0,1] op_sel_hi:[1,1,0] neg_lo:[0,0,1] neg_hi:[0,0,1]
	v_pk_fma_f32 v[90:91], v[90:91], v[80:81], v[94:95] op_sel:[0,0,1] op_sel_hi:[1,0,0]
	v_mov_b32_e32 v97, v91
	v_pk_mul_f32 v[90:91], v[92:93], v[82:83] op_sel:[0,1]
	s_delay_alu instid0(VALU_DEP_1) | instskip(SKIP_1) | instid1(VALU_DEP_1)
	v_pk_fma_f32 v[94:95], v[92:93], v[80:81], v[90:91] op_sel:[0,0,1] op_sel_hi:[1,1,0] neg_lo:[0,0,1] neg_hi:[0,0,1]
	v_pk_fma_f32 v[90:91], v[92:93], v[80:81], v[90:91] op_sel:[0,0,1] op_sel_hi:[1,0,0]
	v_mov_b32_e32 v95, v91
	ds_load_2addr_b64 v[90:93], v84 offset0:8 offset1:9
	v_pk_add_f32 v[22:23], v[22:23], v[96:97] neg_lo:[0,1] neg_hi:[0,1]
	v_pk_add_f32 v[18:19], v[18:19], v[94:95] neg_lo:[0,1] neg_hi:[0,1]
	s_wait_dscnt 0x0
	v_pk_mul_f32 v[94:95], v[90:91], v[82:83] op_sel:[0,1]
	s_delay_alu instid0(VALU_DEP_1) | instskip(SKIP_2) | instid1(VALU_DEP_2)
	v_pk_fma_f32 v[96:97], v[90:91], v[80:81], v[94:95] op_sel:[0,0,1] op_sel_hi:[1,1,0] neg_lo:[0,0,1] neg_hi:[0,0,1]
	v_pk_fma_f32 v[90:91], v[90:91], v[80:81], v[94:95] op_sel:[0,0,1] op_sel_hi:[1,0,0]
	v_dual_mul_f32 v94, v93, v83 :: v_dual_mov_b32 v90, v93
	v_dual_mov_b32 v97, v91 :: v_dual_mov_b32 v91, v92
	s_delay_alu instid0(VALU_DEP_2) | instskip(SKIP_1) | instid1(VALU_DEP_3)
	v_pk_fma_f32 v[94:95], v[92:93], v[20:21], v[94:95] op_sel_hi:[1,1,0] neg_lo:[0,0,1] neg_hi:[0,0,1]
	v_mul_f32_e32 v92, v93, v80
	v_pk_add_f32 v[32:33], v[32:33], v[96:97] neg_lo:[0,1] neg_hi:[0,1]
	s_delay_alu instid0(VALU_DEP_2) | instskip(NEXT) | instid1(VALU_DEP_1)
	v_pk_fma_f32 v[90:91], v[90:91], v[20:21], v[92:93] op_sel_hi:[1,1,0]
	v_mov_b32_e32 v95, v91
	ds_load_2addr_b64 v[90:93], v84 offset0:10 offset1:11
	v_pk_add_f32 v[28:29], v[28:29], v[94:95] neg_lo:[0,1] neg_hi:[0,1]
	s_wait_dscnt 0x0
	v_pk_mul_f32 v[94:95], v[90:91], v[82:83] op_sel:[0,1]
	s_delay_alu instid0(VALU_DEP_1) | instskip(SKIP_1) | instid1(VALU_DEP_1)
	v_pk_fma_f32 v[96:97], v[90:91], v[80:81], v[94:95] op_sel:[0,0,1] op_sel_hi:[1,1,0] neg_lo:[0,0,1] neg_hi:[0,0,1]
	v_pk_fma_f32 v[90:91], v[90:91], v[80:81], v[94:95] op_sel:[0,0,1] op_sel_hi:[1,0,0]
	v_mov_b32_e32 v97, v91
	v_pk_mul_f32 v[90:91], v[92:93], v[82:83] op_sel:[0,1]
	s_delay_alu instid0(VALU_DEP_1) | instskip(SKIP_1) | instid1(VALU_DEP_1)
	v_pk_fma_f32 v[94:95], v[92:93], v[80:81], v[90:91] op_sel:[0,0,1] op_sel_hi:[1,1,0] neg_lo:[0,0,1] neg_hi:[0,0,1]
	v_pk_fma_f32 v[90:91], v[92:93], v[80:81], v[90:91] op_sel:[0,0,1] op_sel_hi:[1,0,0]
	v_mov_b32_e32 v95, v91
	ds_load_2addr_b64 v[90:93], v84 offset0:12 offset1:13
	v_pk_add_f32 v[30:31], v[30:31], v[96:97] neg_lo:[0,1] neg_hi:[0,1]
	v_pk_add_f32 v[26:27], v[26:27], v[94:95] neg_lo:[0,1] neg_hi:[0,1]
	s_wait_dscnt 0x0
	v_pk_mul_f32 v[94:95], v[90:91], v[82:83] op_sel:[0,1]
	s_delay_alu instid0(VALU_DEP_1) | instskip(SKIP_1) | instid1(VALU_DEP_1)
	v_pk_fma_f32 v[96:97], v[90:91], v[80:81], v[94:95] op_sel:[0,0,1] op_sel_hi:[1,1,0] neg_lo:[0,0,1] neg_hi:[0,0,1]
	v_pk_fma_f32 v[90:91], v[90:91], v[80:81], v[94:95] op_sel:[0,0,1] op_sel_hi:[1,0,0]
	v_mov_b32_e32 v97, v91
	v_pk_mul_f32 v[90:91], v[92:93], v[82:83] op_sel:[0,1]
	s_delay_alu instid0(VALU_DEP_1) | instskip(SKIP_1) | instid1(VALU_DEP_1)
	v_pk_fma_f32 v[94:95], v[92:93], v[80:81], v[90:91] op_sel:[0,0,1] op_sel_hi:[1,1,0] neg_lo:[0,0,1] neg_hi:[0,0,1]
	v_pk_fma_f32 v[90:91], v[92:93], v[80:81], v[90:91] op_sel:[0,0,1] op_sel_hi:[1,0,0]
	v_mov_b32_e32 v95, v91
	ds_load_2addr_b64 v[90:93], v84 offset0:14 offset1:15
	v_pk_add_f32 v[42:43], v[42:43], v[96:97] neg_lo:[0,1] neg_hi:[0,1]
	v_pk_add_f32 v[38:39], v[38:39], v[94:95] neg_lo:[0,1] neg_hi:[0,1]
	s_wait_dscnt 0x0
	v_dual_mul_f32 v94, v91, v83 :: v_dual_mul_f32 v96, v91, v80
	s_delay_alu instid0(VALU_DEP_1) | instskip(NEXT) | instid1(VALU_DEP_2)
	v_pk_fma_f32 v[94:95], v[90:91], v[20:21], v[94:95] op_sel_hi:[1,1,0] neg_lo:[0,0,1] neg_hi:[0,0,1]
	v_pk_fma_f32 v[90:91], v[90:91], v[20:21], v[96:97] op_sel:[1,0,0] op_sel_hi:[0,1,0]
	s_delay_alu instid0(VALU_DEP_1) | instskip(SKIP_1) | instid1(VALU_DEP_2)
	v_mov_b32_e32 v95, v91
	v_pk_mul_f32 v[90:91], v[92:93], v[82:83] op_sel:[0,1]
	v_pk_add_f32 v[40:41], v[40:41], v[94:95] neg_lo:[0,1] neg_hi:[0,1]
	s_delay_alu instid0(VALU_DEP_2) | instskip(SKIP_1) | instid1(VALU_DEP_1)
	v_pk_fma_f32 v[94:95], v[92:93], v[80:81], v[90:91] op_sel:[0,0,1] op_sel_hi:[1,1,0] neg_lo:[0,0,1] neg_hi:[0,0,1]
	v_pk_fma_f32 v[90:91], v[92:93], v[80:81], v[90:91] op_sel:[0,0,1] op_sel_hi:[1,0,0]
	v_mov_b32_e32 v95, v91
	ds_load_2addr_b64 v[90:93], v84 offset0:16 offset1:17
	v_pk_add_f32 v[36:37], v[36:37], v[94:95] neg_lo:[0,1] neg_hi:[0,1]
	s_wait_dscnt 0x0
	v_pk_mul_f32 v[94:95], v[90:91], v[82:83] op_sel:[0,1]
	s_delay_alu instid0(VALU_DEP_1) | instskip(SKIP_1) | instid1(VALU_DEP_1)
	v_pk_fma_f32 v[96:97], v[90:91], v[80:81], v[94:95] op_sel:[0,0,1] op_sel_hi:[1,1,0] neg_lo:[0,0,1] neg_hi:[0,0,1]
	v_pk_fma_f32 v[90:91], v[90:91], v[80:81], v[94:95] op_sel:[0,0,1] op_sel_hi:[1,0,0]
	v_mov_b32_e32 v97, v91
	v_pk_mul_f32 v[90:91], v[92:93], v[82:83] op_sel:[0,1]
	s_delay_alu instid0(VALU_DEP_2) | instskip(NEXT) | instid1(VALU_DEP_2)
	v_pk_add_f32 v[68:69], v[68:69], v[96:97] neg_lo:[0,1] neg_hi:[0,1]
	v_pk_fma_f32 v[94:95], v[92:93], v[80:81], v[90:91] op_sel:[0,0,1] op_sel_hi:[1,1,0] neg_lo:[0,0,1] neg_hi:[0,0,1]
	v_pk_fma_f32 v[90:91], v[92:93], v[80:81], v[90:91] op_sel:[0,0,1] op_sel_hi:[1,0,0]
	s_delay_alu instid0(VALU_DEP_1) | instskip(SKIP_4) | instid1(VALU_DEP_1)
	v_mov_b32_e32 v95, v91
	ds_load_2addr_b64 v[90:93], v84 offset0:18 offset1:19
	v_pk_add_f32 v[64:65], v[64:65], v[94:95] neg_lo:[0,1] neg_hi:[0,1]
	s_wait_dscnt 0x0
	v_pk_mul_f32 v[94:95], v[90:91], v[82:83] op_sel:[0,1]
	v_pk_fma_f32 v[96:97], v[90:91], v[80:81], v[94:95] op_sel:[0,0,1] op_sel_hi:[1,1,0] neg_lo:[0,0,1] neg_hi:[0,0,1]
	v_pk_fma_f32 v[90:91], v[90:91], v[80:81], v[94:95] op_sel:[0,0,1] op_sel_hi:[1,0,0]
	v_dual_mul_f32 v94, v93, v83 :: v_dual_mov_b32 v90, v93
	s_delay_alu instid0(VALU_DEP_2) | instskip(NEXT) | instid1(VALU_DEP_2)
	v_dual_mov_b32 v97, v91 :: v_dual_mov_b32 v91, v92
	v_pk_fma_f32 v[94:95], v[92:93], v[20:21], v[94:95] op_sel_hi:[1,1,0] neg_lo:[0,0,1] neg_hi:[0,0,1]
	v_mul_f32_e32 v92, v93, v80
	s_delay_alu instid0(VALU_DEP_3) | instskip(NEXT) | instid1(VALU_DEP_2)
	v_pk_add_f32 v[66:67], v[66:67], v[96:97] neg_lo:[0,1] neg_hi:[0,1]
	v_pk_fma_f32 v[90:91], v[90:91], v[20:21], v[92:93] op_sel_hi:[1,1,0]
	s_delay_alu instid0(VALU_DEP_1) | instskip(SKIP_4) | instid1(VALU_DEP_1)
	v_mov_b32_e32 v95, v91
	ds_load_2addr_b64 v[90:93], v84 offset0:20 offset1:21
	v_pk_add_f32 v[62:63], v[62:63], v[94:95] neg_lo:[0,1] neg_hi:[0,1]
	s_wait_dscnt 0x0
	v_pk_mul_f32 v[94:95], v[90:91], v[82:83] op_sel:[0,1]
	v_pk_fma_f32 v[96:97], v[90:91], v[80:81], v[94:95] op_sel:[0,0,1] op_sel_hi:[1,1,0] neg_lo:[0,0,1] neg_hi:[0,0,1]
	v_pk_fma_f32 v[90:91], v[90:91], v[80:81], v[94:95] op_sel:[0,0,1] op_sel_hi:[1,0,0]
	s_delay_alu instid0(VALU_DEP_1) | instskip(SKIP_1) | instid1(VALU_DEP_1)
	v_mov_b32_e32 v97, v91
	v_pk_mul_f32 v[90:91], v[92:93], v[82:83] op_sel:[0,1]
	v_pk_fma_f32 v[94:95], v[92:93], v[80:81], v[90:91] op_sel:[0,0,1] op_sel_hi:[1,1,0] neg_lo:[0,0,1] neg_hi:[0,0,1]
	v_pk_fma_f32 v[90:91], v[92:93], v[80:81], v[90:91] op_sel:[0,0,1] op_sel_hi:[1,0,0]
	s_delay_alu instid0(VALU_DEP_1)
	v_mov_b32_e32 v95, v91
	ds_load_2addr_b64 v[90:93], v84 offset0:22 offset1:23
	v_pk_add_f32 v[60:61], v[60:61], v[96:97] neg_lo:[0,1] neg_hi:[0,1]
	v_pk_add_f32 v[56:57], v[56:57], v[94:95] neg_lo:[0,1] neg_hi:[0,1]
	s_wait_dscnt 0x0
	v_pk_mul_f32 v[94:95], v[90:91], v[82:83] op_sel:[0,1]
	s_delay_alu instid0(VALU_DEP_1) | instskip(SKIP_1) | instid1(VALU_DEP_1)
	v_pk_fma_f32 v[96:97], v[90:91], v[80:81], v[94:95] op_sel:[0,0,1] op_sel_hi:[1,1,0] neg_lo:[0,0,1] neg_hi:[0,0,1]
	v_pk_fma_f32 v[90:91], v[90:91], v[80:81], v[94:95] op_sel:[0,0,1] op_sel_hi:[1,0,0]
	v_mov_b32_e32 v97, v91
	v_pk_mul_f32 v[90:91], v[92:93], v[82:83] op_sel:[0,1]
	s_delay_alu instid0(VALU_DEP_1) | instskip(SKIP_1) | instid1(VALU_DEP_1)
	v_pk_fma_f32 v[94:95], v[92:93], v[80:81], v[90:91] op_sel:[0,0,1] op_sel_hi:[1,1,0] neg_lo:[0,0,1] neg_hi:[0,0,1]
	v_pk_fma_f32 v[90:91], v[92:93], v[80:81], v[90:91] op_sel:[0,0,1] op_sel_hi:[1,0,0]
	v_mov_b32_e32 v95, v91
	ds_load_2addr_b64 v[90:93], v84 offset0:24 offset1:25
	v_pk_add_f32 v[58:59], v[58:59], v[96:97] neg_lo:[0,1] neg_hi:[0,1]
	v_pk_add_f32 v[54:55], v[54:55], v[94:95] neg_lo:[0,1] neg_hi:[0,1]
	s_wait_dscnt 0x0
	v_dual_mul_f32 v94, v91, v83 :: v_dual_mul_f32 v96, v91, v80
	s_delay_alu instid0(VALU_DEP_1) | instskip(NEXT) | instid1(VALU_DEP_2)
	v_pk_fma_f32 v[94:95], v[90:91], v[20:21], v[94:95] op_sel_hi:[1,1,0] neg_lo:[0,0,1] neg_hi:[0,0,1]
	v_pk_fma_f32 v[90:91], v[90:91], v[20:21], v[96:97] op_sel:[1,0,0] op_sel_hi:[0,1,0]
	s_delay_alu instid0(VALU_DEP_1) | instskip(SKIP_1) | instid1(VALU_DEP_2)
	v_mov_b32_e32 v95, v91
	v_pk_mul_f32 v[90:91], v[92:93], v[82:83] op_sel:[0,1]
	v_pk_add_f32 v[50:51], v[50:51], v[94:95] neg_lo:[0,1] neg_hi:[0,1]
	s_delay_alu instid0(VALU_DEP_2) | instskip(SKIP_1) | instid1(VALU_DEP_1)
	v_pk_fma_f32 v[94:95], v[92:93], v[80:81], v[90:91] op_sel:[0,0,1] op_sel_hi:[1,1,0] neg_lo:[0,0,1] neg_hi:[0,0,1]
	v_pk_fma_f32 v[90:91], v[92:93], v[80:81], v[90:91] op_sel:[0,0,1] op_sel_hi:[1,0,0]
	v_mov_b32_e32 v95, v91
	ds_load_2addr_b64 v[90:93], v84 offset0:26 offset1:27
	v_pk_add_f32 v[46:47], v[46:47], v[94:95] neg_lo:[0,1] neg_hi:[0,1]
	s_wait_dscnt 0x0
	v_pk_mul_f32 v[94:95], v[90:91], v[82:83] op_sel:[0,1]
	s_delay_alu instid0(VALU_DEP_1) | instskip(SKIP_1) | instid1(VALU_DEP_1)
	v_pk_fma_f32 v[96:97], v[90:91], v[80:81], v[94:95] op_sel:[0,0,1] op_sel_hi:[1,1,0] neg_lo:[0,0,1] neg_hi:[0,0,1]
	v_pk_fma_f32 v[90:91], v[90:91], v[80:81], v[94:95] op_sel:[0,0,1] op_sel_hi:[1,0,0]
	v_mov_b32_e32 v97, v91
	v_pk_mul_f32 v[90:91], v[92:93], v[82:83] op_sel:[0,1]
	s_delay_alu instid0(VALU_DEP_2) | instskip(NEXT) | instid1(VALU_DEP_2)
	v_pk_add_f32 v[48:49], v[48:49], v[96:97] neg_lo:[0,1] neg_hi:[0,1]
	v_pk_fma_f32 v[94:95], v[92:93], v[80:81], v[90:91] op_sel:[0,0,1] op_sel_hi:[1,1,0] neg_lo:[0,0,1] neg_hi:[0,0,1]
	v_pk_fma_f32 v[90:91], v[92:93], v[80:81], v[90:91] op_sel:[0,0,1] op_sel_hi:[1,0,0]
	s_delay_alu instid0(VALU_DEP_1) | instskip(SKIP_4) | instid1(VALU_DEP_1)
	v_mov_b32_e32 v95, v91
	ds_load_2addr_b64 v[90:93], v84 offset0:28 offset1:29
	v_pk_add_f32 v[44:45], v[44:45], v[94:95] neg_lo:[0,1] neg_hi:[0,1]
	s_wait_dscnt 0x0
	v_pk_mul_f32 v[94:95], v[90:91], v[82:83] op_sel:[0,1]
	v_pk_fma_f32 v[96:97], v[90:91], v[80:81], v[94:95] op_sel:[0,0,1] op_sel_hi:[1,1,0] neg_lo:[0,0,1] neg_hi:[0,0,1]
	v_pk_fma_f32 v[90:91], v[90:91], v[80:81], v[94:95] op_sel:[0,0,1] op_sel_hi:[1,0,0]
	v_dual_mul_f32 v94, v93, v83 :: v_dual_mov_b32 v90, v93
	s_delay_alu instid0(VALU_DEP_2) | instskip(NEXT) | instid1(VALU_DEP_2)
	v_dual_mov_b32 v97, v91 :: v_dual_mov_b32 v91, v92
	v_pk_fma_f32 v[94:95], v[92:93], v[20:21], v[94:95] op_sel_hi:[1,1,0] neg_lo:[0,0,1] neg_hi:[0,0,1]
	v_mul_f32_e32 v92, v93, v80
	s_delay_alu instid0(VALU_DEP_3) | instskip(NEXT) | instid1(VALU_DEP_2)
	v_pk_add_f32 v[14:15], v[14:15], v[96:97] neg_lo:[0,1] neg_hi:[0,1]
	v_pk_fma_f32 v[90:91], v[90:91], v[20:21], v[92:93] op_sel_hi:[1,1,0]
	s_delay_alu instid0(VALU_DEP_1) | instskip(SKIP_4) | instid1(VALU_DEP_1)
	v_mov_b32_e32 v95, v91
	ds_load_2addr_b64 v[90:93], v84 offset0:30 offset1:31
	v_pk_add_f32 v[10:11], v[10:11], v[94:95] neg_lo:[0,1] neg_hi:[0,1]
	s_wait_dscnt 0x0
	v_pk_mul_f32 v[94:95], v[90:91], v[82:83] op_sel:[0,1]
	v_pk_fma_f32 v[96:97], v[90:91], v[80:81], v[94:95] op_sel:[0,0,1] op_sel_hi:[1,1,0] neg_lo:[0,0,1] neg_hi:[0,0,1]
	v_pk_fma_f32 v[90:91], v[90:91], v[80:81], v[94:95] op_sel:[0,0,1] op_sel_hi:[1,0,0]
	s_delay_alu instid0(VALU_DEP_1) | instskip(SKIP_1) | instid1(VALU_DEP_1)
	v_mov_b32_e32 v97, v91
	v_pk_mul_f32 v[90:91], v[92:93], v[82:83] op_sel:[0,1]
	v_pk_fma_f32 v[94:95], v[92:93], v[80:81], v[90:91] op_sel:[0,0,1] op_sel_hi:[1,1,0] neg_lo:[0,0,1] neg_hi:[0,0,1]
	v_pk_fma_f32 v[90:91], v[92:93], v[80:81], v[90:91] op_sel:[0,0,1] op_sel_hi:[1,0,0]
	s_delay_alu instid0(VALU_DEP_1)
	v_mov_b32_e32 v95, v91
	ds_load_2addr_b64 v[90:93], v84 offset0:32 offset1:33
	v_pk_add_f32 v[12:13], v[12:13], v[96:97] neg_lo:[0,1] neg_hi:[0,1]
	v_pk_add_f32 v[8:9], v[8:9], v[94:95] neg_lo:[0,1] neg_hi:[0,1]
	s_wait_dscnt 0x0
	v_pk_mul_f32 v[94:95], v[90:91], v[82:83] op_sel:[0,1]
	s_delay_alu instid0(VALU_DEP_1) | instskip(SKIP_1) | instid1(VALU_DEP_1)
	v_pk_fma_f32 v[96:97], v[90:91], v[80:81], v[94:95] op_sel:[0,0,1] op_sel_hi:[1,1,0] neg_lo:[0,0,1] neg_hi:[0,0,1]
	v_pk_fma_f32 v[90:91], v[90:91], v[80:81], v[94:95] op_sel:[0,0,1] op_sel_hi:[1,0,0]
	v_mov_b32_e32 v97, v91
	v_pk_mul_f32 v[90:91], v[92:93], v[82:83] op_sel:[0,1]
	s_delay_alu instid0(VALU_DEP_1) | instskip(SKIP_1) | instid1(VALU_DEP_1)
	v_pk_fma_f32 v[94:95], v[92:93], v[80:81], v[90:91] op_sel:[0,0,1] op_sel_hi:[1,1,0] neg_lo:[0,0,1] neg_hi:[0,0,1]
	v_pk_fma_f32 v[90:91], v[92:93], v[80:81], v[90:91] op_sel:[0,0,1] op_sel_hi:[1,0,0]
	v_mov_b32_e32 v95, v91
	ds_load_2addr_b64 v[90:93], v84 offset0:34 offset1:35
	v_pk_add_f32 v[6:7], v[6:7], v[96:97] neg_lo:[0,1] neg_hi:[0,1]
	v_pk_add_f32 v[52:53], v[52:53], v[94:95] neg_lo:[0,1] neg_hi:[0,1]
	s_wait_dscnt 0x0
	v_dual_mul_f32 v94, v91, v83 :: v_dual_mul_f32 v96, v91, v80
	s_delay_alu instid0(VALU_DEP_1) | instskip(NEXT) | instid1(VALU_DEP_2)
	v_pk_fma_f32 v[94:95], v[90:91], v[20:21], v[94:95] op_sel_hi:[1,1,0] neg_lo:[0,0,1] neg_hi:[0,0,1]
	v_pk_fma_f32 v[90:91], v[90:91], v[20:21], v[96:97] op_sel:[1,0,0] op_sel_hi:[0,1,0]
	s_delay_alu instid0(VALU_DEP_1) | instskip(SKIP_1) | instid1(VALU_DEP_2)
	v_mov_b32_e32 v95, v91
	v_pk_mul_f32 v[90:91], v[92:93], v[82:83] op_sel:[0,1]
	v_pk_add_f32 v[34:35], v[34:35], v[94:95] neg_lo:[0,1] neg_hi:[0,1]
	s_delay_alu instid0(VALU_DEP_2) | instskip(SKIP_1) | instid1(VALU_DEP_1)
	v_pk_fma_f32 v[94:95], v[92:93], v[80:81], v[90:91] op_sel:[0,0,1] op_sel_hi:[1,1,0] neg_lo:[0,0,1] neg_hi:[0,0,1]
	v_pk_fma_f32 v[90:91], v[92:93], v[80:81], v[90:91] op_sel:[0,0,1] op_sel_hi:[1,0,0]
	v_mov_b32_e32 v95, v91
	ds_load_b64 v[90:91], v84 offset:288
	v_pk_add_f32 v[16:17], v[16:17], v[94:95] neg_lo:[0,1] neg_hi:[0,1]
	s_wait_dscnt 0x0
	v_pk_mul_f32 v[82:83], v[90:91], v[82:83] op_sel:[0,1]
	s_delay_alu instid0(VALU_DEP_1) | instskip(SKIP_1) | instid1(VALU_DEP_1)
	v_pk_fma_f32 v[92:93], v[90:91], v[80:81], v[82:83] op_sel:[0,0,1] op_sel_hi:[1,1,0] neg_lo:[0,0,1] neg_hi:[0,0,1]
	v_pk_fma_f32 v[80:81], v[90:91], v[80:81], v[82:83] op_sel:[0,0,1] op_sel_hi:[1,0,0]
	v_mov_b32_e32 v93, v81
	s_delay_alu instid0(VALU_DEP_1)
	v_pk_add_f32 v[78:79], v[78:79], v[92:93] neg_lo:[0,1] neg_hi:[0,1]
.LBB72_125:
	s_or_b32 exec_lo, exec_lo, s0
	v_lshl_add_u32 v80, v88, 3, v84
	s_barrier_signal -1
	s_barrier_wait -1
	ds_store_b64 v80, v[22:23]
	s_wait_dscnt 0x0
	s_barrier_signal -1
	s_barrier_wait -1
	ds_load_b64 v[82:83], v84 offset:48
	v_mov_b32_e32 v80, 6
	s_cmp_lt_i32 s18, 8
	s_cbranch_scc1 .LBB72_128
; %bb.126:
	v_add3_u32 v81, v85, 0, 56
	v_mov_b32_e32 v80, 6
	s_mov_b32 s0, 7
.LBB72_127:                             ; =>This Inner Loop Header: Depth=1
	ds_load_b64 v[90:91], v81
	s_wait_dscnt 0x1
	v_cmp_gt_f32_e32 vcc_lo, 0, v82
	v_cndmask_b32_e64 v92, v82, -v82, vcc_lo
	v_cmp_gt_f32_e32 vcc_lo, 0, v83
	v_cndmask_b32_e64 v94, v83, -v83, vcc_lo
	s_wait_dscnt 0x0
	v_cmp_gt_f32_e32 vcc_lo, 0, v90
	v_cndmask_b32_e64 v93, v90, -v90, vcc_lo
	v_cmp_gt_f32_e32 vcc_lo, 0, v91
	v_cndmask_b32_e64 v95, v91, -v91, vcc_lo
	s_delay_alu instid0(VALU_DEP_1) | instskip(NEXT) | instid1(VALU_DEP_1)
	v_pk_add_f32 v[92:93], v[92:93], v[94:95]
	v_cmp_lt_f32_e32 vcc_lo, v92, v93
	v_dual_add_nc_u32 v81, 8, v81 :: v_dual_cndmask_b32 v83, v83, v91, vcc_lo
	v_cndmask_b32_e32 v82, v82, v90, vcc_lo
	v_cndmask_b32_e64 v80, v80, s0, vcc_lo
	s_add_co_i32 s0, s0, 1
	s_delay_alu instid0(SALU_CYCLE_1)
	s_cmp_lg_u32 s18, s0
	s_cbranch_scc1 .LBB72_127
.LBB72_128:
	s_wait_dscnt 0x0
	v_cmp_eq_f32_e32 vcc_lo, 0, v82
	v_cmp_eq_f32_e64 s0, 0, v83
	s_and_b32 s0, vcc_lo, s0
	s_delay_alu instid0(SALU_CYCLE_1) | instskip(NEXT) | instid1(SALU_CYCLE_1)
	s_and_saveexec_b32 s1, s0
	s_xor_b32 s0, exec_lo, s1
; %bb.129:
	v_cmp_ne_u32_e32 vcc_lo, 0, v86
	v_cndmask_b32_e32 v86, 7, v86, vcc_lo
; %bb.130:
	s_and_not1_saveexec_b32 s0, s0
	s_cbranch_execz .LBB72_136
; %bb.131:
	v_cmp_ngt_f32_e64 s1, |v82|, |v83|
	s_and_saveexec_b32 s12, s1
	s_delay_alu instid0(SALU_CYCLE_1)
	s_xor_b32 s1, exec_lo, s12
	s_cbranch_execz .LBB72_133
; %bb.132:
	v_div_scale_f32 v81, null, v83, v83, v82
	v_div_scale_f32 v91, vcc_lo, v82, v83, v82
	s_delay_alu instid0(VALU_DEP_2) | instskip(SKIP_1) | instid1(TRANS32_DEP_1)
	v_rcp_f32_e32 v89, v81
	v_nop
	v_fma_f32 v90, -v81, v89, 1.0
	s_delay_alu instid0(VALU_DEP_1) | instskip(NEXT) | instid1(VALU_DEP_1)
	v_fmac_f32_e32 v89, v90, v89
	v_mul_f32_e32 v90, v91, v89
	s_delay_alu instid0(VALU_DEP_1) | instskip(NEXT) | instid1(VALU_DEP_1)
	v_fma_f32 v92, -v81, v90, v91
	v_fmac_f32_e32 v90, v92, v89
	s_delay_alu instid0(VALU_DEP_1) | instskip(NEXT) | instid1(VALU_DEP_1)
	v_fma_f32 v81, -v81, v90, v91
	v_div_fmas_f32 v81, v81, v89, v90
	s_delay_alu instid0(VALU_DEP_1) | instskip(NEXT) | instid1(VALU_DEP_1)
	v_div_fixup_f32 v81, v81, v83, v82
	v_fmac_f32_e32 v83, v82, v81
	s_delay_alu instid0(VALU_DEP_1) | instskip(SKIP_1) | instid1(VALU_DEP_2)
	v_div_scale_f32 v82, null, v83, v83, 1.0
	v_div_scale_f32 v91, vcc_lo, 1.0, v83, 1.0
	v_rcp_f32_e32 v89, v82
	v_nop
	s_delay_alu instid0(TRANS32_DEP_1) | instskip(NEXT) | instid1(VALU_DEP_1)
	v_fma_f32 v90, -v82, v89, 1.0
	v_fmac_f32_e32 v89, v90, v89
	s_delay_alu instid0(VALU_DEP_1) | instskip(NEXT) | instid1(VALU_DEP_1)
	v_mul_f32_e32 v90, v91, v89
	v_fma_f32 v92, -v82, v90, v91
	s_delay_alu instid0(VALU_DEP_1) | instskip(NEXT) | instid1(VALU_DEP_1)
	v_fmac_f32_e32 v90, v92, v89
	v_fma_f32 v82, -v82, v90, v91
	s_delay_alu instid0(VALU_DEP_1) | instskip(NEXT) | instid1(VALU_DEP_1)
	v_div_fmas_f32 v82, v82, v89, v90
	v_div_fixup_f32 v83, v82, v83, 1.0
	s_delay_alu instid0(VALU_DEP_1)
	v_mul_f32_e32 v82, v81, v83
	v_xor_b32_e32 v83, 0x80000000, v83
.LBB72_133:
	s_and_not1_saveexec_b32 s1, s1
	s_cbranch_execz .LBB72_135
; %bb.134:
	s_delay_alu instid0(VALU_DEP_1) | instskip(SKIP_1) | instid1(VALU_DEP_2)
	v_div_scale_f32 v81, null, v82, v82, v83
	v_div_scale_f32 v91, vcc_lo, v83, v82, v83
	v_rcp_f32_e32 v89, v81
	v_nop
	s_delay_alu instid0(TRANS32_DEP_1) | instskip(NEXT) | instid1(VALU_DEP_1)
	v_fma_f32 v90, -v81, v89, 1.0
	v_fmac_f32_e32 v89, v90, v89
	s_delay_alu instid0(VALU_DEP_1) | instskip(NEXT) | instid1(VALU_DEP_1)
	v_mul_f32_e32 v90, v91, v89
	v_fma_f32 v92, -v81, v90, v91
	s_delay_alu instid0(VALU_DEP_1) | instskip(NEXT) | instid1(VALU_DEP_1)
	v_fmac_f32_e32 v90, v92, v89
	v_fma_f32 v81, -v81, v90, v91
	s_delay_alu instid0(VALU_DEP_1) | instskip(NEXT) | instid1(VALU_DEP_1)
	v_div_fmas_f32 v81, v81, v89, v90
	v_div_fixup_f32 v81, v81, v82, v83
	s_delay_alu instid0(VALU_DEP_1) | instskip(NEXT) | instid1(VALU_DEP_1)
	v_fmac_f32_e32 v82, v83, v81
	v_div_scale_f32 v83, null, v82, v82, 1.0
	s_delay_alu instid0(VALU_DEP_1) | instskip(SKIP_1) | instid1(TRANS32_DEP_1)
	v_rcp_f32_e32 v89, v83
	v_nop
	v_fma_f32 v90, -v83, v89, 1.0
	s_delay_alu instid0(VALU_DEP_1) | instskip(SKIP_1) | instid1(VALU_DEP_1)
	v_fmac_f32_e32 v89, v90, v89
	v_div_scale_f32 v90, vcc_lo, 1.0, v82, 1.0
	v_mul_f32_e32 v91, v90, v89
	s_delay_alu instid0(VALU_DEP_1) | instskip(NEXT) | instid1(VALU_DEP_1)
	v_fma_f32 v92, -v83, v91, v90
	v_fmac_f32_e32 v91, v92, v89
	s_delay_alu instid0(VALU_DEP_1) | instskip(NEXT) | instid1(VALU_DEP_1)
	v_fma_f32 v83, -v83, v91, v90
	v_div_fmas_f32 v83, v83, v89, v91
	s_delay_alu instid0(VALU_DEP_1) | instskip(NEXT) | instid1(VALU_DEP_1)
	v_div_fixup_f32 v82, v83, v82, 1.0
	v_mul_f32_e64 v83, v81, -v82
.LBB72_135:
	s_or_b32 exec_lo, exec_lo, s1
.LBB72_136:
	s_delay_alu instid0(SALU_CYCLE_1) | instskip(NEXT) | instid1(SALU_CYCLE_1)
	s_or_b32 exec_lo, exec_lo, s0
	s_mov_b32 s0, exec_lo
	v_cmpx_ne_u32_e64 v88, v80
	s_xor_b32 s0, exec_lo, s0
	s_cbranch_execz .LBB72_142
; %bb.137:
	s_mov_b32 s1, exec_lo
	v_cmpx_eq_u32_e32 6, v88
	s_cbranch_execz .LBB72_141
; %bb.138:
	v_cmp_ne_u32_e32 vcc_lo, 6, v80
	s_xor_b32 s12, s16, -1
	s_delay_alu instid0(SALU_CYCLE_1) | instskip(NEXT) | instid1(SALU_CYCLE_1)
	s_and_b32 s13, s12, vcc_lo
	s_and_saveexec_b32 s12, s13
	s_cbranch_execz .LBB72_140
; %bb.139:
	v_ashrrev_i32_e32 v81, 31, v80
	s_delay_alu instid0(VALU_DEP_1)
	v_lshl_add_u64 v[88:89], v[80:81], 2, v[4:5]
	s_clause 0x1
	global_load_b32 v81, v[88:89], off
	global_load_b32 v87, v[4:5], off offset:24
	s_wait_loadcnt 0x1
	global_store_b32 v[4:5], v81, off offset:24
	s_wait_loadcnt 0x0
	global_store_b32 v[88:89], v87, off
.LBB72_140:
	s_wait_xcnt 0x0
	s_or_b32 exec_lo, exec_lo, s12
	v_dual_mov_b32 v88, v80 :: v_dual_mov_b32 v87, v80
.LBB72_141:
	s_or_b32 exec_lo, exec_lo, s1
.LBB72_142:
	s_and_not1_saveexec_b32 s0, s0
	s_cbranch_execz .LBB72_144
; %bb.143:
	v_mov_b32_e32 v88, 6
	ds_store_2addr_b64 v84, v[18:19], v[32:33] offset0:7 offset1:8
	ds_store_2addr_b64 v84, v[28:29], v[30:31] offset0:9 offset1:10
	;; [unrolled: 1-line block ×15, first 2 shown]
.LBB72_144:
	s_or_b32 exec_lo, exec_lo, s0
	s_delay_alu instid0(SALU_CYCLE_1)
	s_mov_b32 s0, exec_lo
	s_wait_storecnt_dscnt 0x0
	s_barrier_signal -1
	s_barrier_wait -1
	v_cmpx_lt_i32_e32 6, v88
	s_cbranch_execz .LBB72_146
; %bb.145:
	v_pk_mul_f32 v[90:91], v[82:83], v[22:23] op_sel:[1,1] op_sel_hi:[0,1]
	s_delay_alu instid0(VALU_DEP_1)
	v_pk_fma_f32 v[80:81], v[82:83], v[22:23], v[90:91] op_sel_hi:[1,0,1] neg_lo:[0,0,1] neg_hi:[0,0,1]
	v_pk_fma_f32 v[82:83], v[82:83], v[22:23], v[90:91] op_sel_hi:[1,0,1]
	ds_load_2addr_b64 v[90:93], v84 offset0:7 offset1:8
	v_dual_mov_b32 v22, v80 :: v_dual_mov_b32 v23, v83
	s_wait_dscnt 0x0
	v_pk_mul_f32 v[94:95], v[90:91], v[82:83] op_sel:[0,1]
	s_delay_alu instid0(VALU_DEP_1) | instskip(SKIP_1) | instid1(VALU_DEP_1)
	v_pk_fma_f32 v[96:97], v[90:91], v[80:81], v[94:95] op_sel:[0,0,1] op_sel_hi:[1,1,0] neg_lo:[0,0,1] neg_hi:[0,0,1]
	v_pk_fma_f32 v[90:91], v[90:91], v[80:81], v[94:95] op_sel:[0,0,1] op_sel_hi:[1,0,0]
	v_mov_b32_e32 v97, v91
	v_pk_mul_f32 v[90:91], v[92:93], v[82:83] op_sel:[0,1]
	s_delay_alu instid0(VALU_DEP_1) | instskip(SKIP_1) | instid1(VALU_DEP_1)
	v_pk_fma_f32 v[94:95], v[92:93], v[80:81], v[90:91] op_sel:[0,0,1] op_sel_hi:[1,1,0] neg_lo:[0,0,1] neg_hi:[0,0,1]
	v_pk_fma_f32 v[90:91], v[92:93], v[80:81], v[90:91] op_sel:[0,0,1] op_sel_hi:[1,0,0]
	v_mov_b32_e32 v95, v91
	ds_load_2addr_b64 v[90:93], v84 offset0:9 offset1:10
	v_pk_add_f32 v[18:19], v[18:19], v[96:97] neg_lo:[0,1] neg_hi:[0,1]
	v_pk_add_f32 v[32:33], v[32:33], v[94:95] neg_lo:[0,1] neg_hi:[0,1]
	s_wait_dscnt 0x0
	v_pk_mul_f32 v[94:95], v[90:91], v[82:83] op_sel:[0,1]
	s_delay_alu instid0(VALU_DEP_1) | instskip(SKIP_2) | instid1(VALU_DEP_2)
	v_pk_fma_f32 v[96:97], v[90:91], v[80:81], v[94:95] op_sel:[0,0,1] op_sel_hi:[1,1,0] neg_lo:[0,0,1] neg_hi:[0,0,1]
	v_pk_fma_f32 v[90:91], v[90:91], v[80:81], v[94:95] op_sel:[0,0,1] op_sel_hi:[1,0,0]
	v_dual_mul_f32 v94, v93, v83 :: v_dual_mov_b32 v90, v93
	v_dual_mov_b32 v97, v91 :: v_dual_mov_b32 v91, v92
	s_delay_alu instid0(VALU_DEP_2) | instskip(SKIP_1) | instid1(VALU_DEP_3)
	v_pk_fma_f32 v[94:95], v[92:93], v[22:23], v[94:95] op_sel_hi:[1,1,0] neg_lo:[0,0,1] neg_hi:[0,0,1]
	v_mul_f32_e32 v92, v93, v80
	v_pk_add_f32 v[28:29], v[28:29], v[96:97] neg_lo:[0,1] neg_hi:[0,1]
	s_delay_alu instid0(VALU_DEP_2) | instskip(NEXT) | instid1(VALU_DEP_1)
	v_pk_fma_f32 v[90:91], v[90:91], v[22:23], v[92:93] op_sel_hi:[1,1,0]
	v_mov_b32_e32 v95, v91
	ds_load_2addr_b64 v[90:93], v84 offset0:11 offset1:12
	v_pk_add_f32 v[30:31], v[30:31], v[94:95] neg_lo:[0,1] neg_hi:[0,1]
	s_wait_dscnt 0x0
	v_pk_mul_f32 v[94:95], v[90:91], v[82:83] op_sel:[0,1]
	s_delay_alu instid0(VALU_DEP_1) | instskip(SKIP_1) | instid1(VALU_DEP_1)
	v_pk_fma_f32 v[96:97], v[90:91], v[80:81], v[94:95] op_sel:[0,0,1] op_sel_hi:[1,1,0] neg_lo:[0,0,1] neg_hi:[0,0,1]
	v_pk_fma_f32 v[90:91], v[90:91], v[80:81], v[94:95] op_sel:[0,0,1] op_sel_hi:[1,0,0]
	v_mov_b32_e32 v97, v91
	v_pk_mul_f32 v[90:91], v[92:93], v[82:83] op_sel:[0,1]
	s_delay_alu instid0(VALU_DEP_1) | instskip(SKIP_1) | instid1(VALU_DEP_1)
	v_pk_fma_f32 v[94:95], v[92:93], v[80:81], v[90:91] op_sel:[0,0,1] op_sel_hi:[1,1,0] neg_lo:[0,0,1] neg_hi:[0,0,1]
	v_pk_fma_f32 v[90:91], v[92:93], v[80:81], v[90:91] op_sel:[0,0,1] op_sel_hi:[1,0,0]
	v_mov_b32_e32 v95, v91
	ds_load_2addr_b64 v[90:93], v84 offset0:13 offset1:14
	v_pk_add_f32 v[26:27], v[26:27], v[96:97] neg_lo:[0,1] neg_hi:[0,1]
	v_pk_add_f32 v[42:43], v[42:43], v[94:95] neg_lo:[0,1] neg_hi:[0,1]
	s_wait_dscnt 0x0
	v_pk_mul_f32 v[94:95], v[90:91], v[82:83] op_sel:[0,1]
	s_delay_alu instid0(VALU_DEP_1) | instskip(SKIP_1) | instid1(VALU_DEP_1)
	v_pk_fma_f32 v[96:97], v[90:91], v[80:81], v[94:95] op_sel:[0,0,1] op_sel_hi:[1,1,0] neg_lo:[0,0,1] neg_hi:[0,0,1]
	v_pk_fma_f32 v[90:91], v[90:91], v[80:81], v[94:95] op_sel:[0,0,1] op_sel_hi:[1,0,0]
	v_mov_b32_e32 v97, v91
	v_pk_mul_f32 v[90:91], v[92:93], v[82:83] op_sel:[0,1]
	s_delay_alu instid0(VALU_DEP_1) | instskip(SKIP_1) | instid1(VALU_DEP_1)
	v_pk_fma_f32 v[94:95], v[92:93], v[80:81], v[90:91] op_sel:[0,0,1] op_sel_hi:[1,1,0] neg_lo:[0,0,1] neg_hi:[0,0,1]
	v_pk_fma_f32 v[90:91], v[92:93], v[80:81], v[90:91] op_sel:[0,0,1] op_sel_hi:[1,0,0]
	v_mov_b32_e32 v95, v91
	ds_load_2addr_b64 v[90:93], v84 offset0:15 offset1:16
	v_pk_add_f32 v[38:39], v[38:39], v[96:97] neg_lo:[0,1] neg_hi:[0,1]
	v_pk_add_f32 v[40:41], v[40:41], v[94:95] neg_lo:[0,1] neg_hi:[0,1]
	s_wait_dscnt 0x0
	v_dual_mul_f32 v94, v91, v83 :: v_dual_mul_f32 v96, v91, v80
	s_delay_alu instid0(VALU_DEP_1) | instskip(NEXT) | instid1(VALU_DEP_2)
	v_pk_fma_f32 v[94:95], v[90:91], v[22:23], v[94:95] op_sel_hi:[1,1,0] neg_lo:[0,0,1] neg_hi:[0,0,1]
	v_pk_fma_f32 v[90:91], v[90:91], v[22:23], v[96:97] op_sel:[1,0,0] op_sel_hi:[0,1,0]
	s_delay_alu instid0(VALU_DEP_1) | instskip(SKIP_1) | instid1(VALU_DEP_2)
	v_mov_b32_e32 v95, v91
	v_pk_mul_f32 v[90:91], v[92:93], v[82:83] op_sel:[0,1]
	v_pk_add_f32 v[36:37], v[36:37], v[94:95] neg_lo:[0,1] neg_hi:[0,1]
	s_delay_alu instid0(VALU_DEP_2) | instskip(SKIP_1) | instid1(VALU_DEP_1)
	v_pk_fma_f32 v[94:95], v[92:93], v[80:81], v[90:91] op_sel:[0,0,1] op_sel_hi:[1,1,0] neg_lo:[0,0,1] neg_hi:[0,0,1]
	v_pk_fma_f32 v[90:91], v[92:93], v[80:81], v[90:91] op_sel:[0,0,1] op_sel_hi:[1,0,0]
	v_mov_b32_e32 v95, v91
	ds_load_2addr_b64 v[90:93], v84 offset0:17 offset1:18
	v_pk_add_f32 v[68:69], v[68:69], v[94:95] neg_lo:[0,1] neg_hi:[0,1]
	s_wait_dscnt 0x0
	v_pk_mul_f32 v[94:95], v[90:91], v[82:83] op_sel:[0,1]
	s_delay_alu instid0(VALU_DEP_1) | instskip(SKIP_1) | instid1(VALU_DEP_1)
	v_pk_fma_f32 v[96:97], v[90:91], v[80:81], v[94:95] op_sel:[0,0,1] op_sel_hi:[1,1,0] neg_lo:[0,0,1] neg_hi:[0,0,1]
	v_pk_fma_f32 v[90:91], v[90:91], v[80:81], v[94:95] op_sel:[0,0,1] op_sel_hi:[1,0,0]
	v_mov_b32_e32 v97, v91
	v_pk_mul_f32 v[90:91], v[92:93], v[82:83] op_sel:[0,1]
	s_delay_alu instid0(VALU_DEP_2) | instskip(NEXT) | instid1(VALU_DEP_2)
	v_pk_add_f32 v[64:65], v[64:65], v[96:97] neg_lo:[0,1] neg_hi:[0,1]
	v_pk_fma_f32 v[94:95], v[92:93], v[80:81], v[90:91] op_sel:[0,0,1] op_sel_hi:[1,1,0] neg_lo:[0,0,1] neg_hi:[0,0,1]
	v_pk_fma_f32 v[90:91], v[92:93], v[80:81], v[90:91] op_sel:[0,0,1] op_sel_hi:[1,0,0]
	s_delay_alu instid0(VALU_DEP_1) | instskip(SKIP_4) | instid1(VALU_DEP_1)
	v_mov_b32_e32 v95, v91
	ds_load_2addr_b64 v[90:93], v84 offset0:19 offset1:20
	v_pk_add_f32 v[66:67], v[66:67], v[94:95] neg_lo:[0,1] neg_hi:[0,1]
	s_wait_dscnt 0x0
	v_pk_mul_f32 v[94:95], v[90:91], v[82:83] op_sel:[0,1]
	v_pk_fma_f32 v[96:97], v[90:91], v[80:81], v[94:95] op_sel:[0,0,1] op_sel_hi:[1,1,0] neg_lo:[0,0,1] neg_hi:[0,0,1]
	v_pk_fma_f32 v[90:91], v[90:91], v[80:81], v[94:95] op_sel:[0,0,1] op_sel_hi:[1,0,0]
	v_dual_mul_f32 v94, v93, v83 :: v_dual_mov_b32 v90, v93
	s_delay_alu instid0(VALU_DEP_2) | instskip(NEXT) | instid1(VALU_DEP_2)
	v_dual_mov_b32 v97, v91 :: v_dual_mov_b32 v91, v92
	v_pk_fma_f32 v[94:95], v[92:93], v[22:23], v[94:95] op_sel_hi:[1,1,0] neg_lo:[0,0,1] neg_hi:[0,0,1]
	v_mul_f32_e32 v92, v93, v80
	s_delay_alu instid0(VALU_DEP_3) | instskip(NEXT) | instid1(VALU_DEP_2)
	v_pk_add_f32 v[62:63], v[62:63], v[96:97] neg_lo:[0,1] neg_hi:[0,1]
	v_pk_fma_f32 v[90:91], v[90:91], v[22:23], v[92:93] op_sel_hi:[1,1,0]
	s_delay_alu instid0(VALU_DEP_1) | instskip(SKIP_4) | instid1(VALU_DEP_1)
	v_mov_b32_e32 v95, v91
	ds_load_2addr_b64 v[90:93], v84 offset0:21 offset1:22
	v_pk_add_f32 v[60:61], v[60:61], v[94:95] neg_lo:[0,1] neg_hi:[0,1]
	s_wait_dscnt 0x0
	v_pk_mul_f32 v[94:95], v[90:91], v[82:83] op_sel:[0,1]
	v_pk_fma_f32 v[96:97], v[90:91], v[80:81], v[94:95] op_sel:[0,0,1] op_sel_hi:[1,1,0] neg_lo:[0,0,1] neg_hi:[0,0,1]
	v_pk_fma_f32 v[90:91], v[90:91], v[80:81], v[94:95] op_sel:[0,0,1] op_sel_hi:[1,0,0]
	s_delay_alu instid0(VALU_DEP_1) | instskip(SKIP_1) | instid1(VALU_DEP_1)
	v_mov_b32_e32 v97, v91
	v_pk_mul_f32 v[90:91], v[92:93], v[82:83] op_sel:[0,1]
	v_pk_fma_f32 v[94:95], v[92:93], v[80:81], v[90:91] op_sel:[0,0,1] op_sel_hi:[1,1,0] neg_lo:[0,0,1] neg_hi:[0,0,1]
	v_pk_fma_f32 v[90:91], v[92:93], v[80:81], v[90:91] op_sel:[0,0,1] op_sel_hi:[1,0,0]
	s_delay_alu instid0(VALU_DEP_1)
	v_mov_b32_e32 v95, v91
	ds_load_2addr_b64 v[90:93], v84 offset0:23 offset1:24
	v_pk_add_f32 v[56:57], v[56:57], v[96:97] neg_lo:[0,1] neg_hi:[0,1]
	v_pk_add_f32 v[58:59], v[58:59], v[94:95] neg_lo:[0,1] neg_hi:[0,1]
	s_wait_dscnt 0x0
	v_pk_mul_f32 v[94:95], v[90:91], v[82:83] op_sel:[0,1]
	s_delay_alu instid0(VALU_DEP_1) | instskip(SKIP_1) | instid1(VALU_DEP_1)
	v_pk_fma_f32 v[96:97], v[90:91], v[80:81], v[94:95] op_sel:[0,0,1] op_sel_hi:[1,1,0] neg_lo:[0,0,1] neg_hi:[0,0,1]
	v_pk_fma_f32 v[90:91], v[90:91], v[80:81], v[94:95] op_sel:[0,0,1] op_sel_hi:[1,0,0]
	v_mov_b32_e32 v97, v91
	v_pk_mul_f32 v[90:91], v[92:93], v[82:83] op_sel:[0,1]
	s_delay_alu instid0(VALU_DEP_1) | instskip(SKIP_1) | instid1(VALU_DEP_1)
	v_pk_fma_f32 v[94:95], v[92:93], v[80:81], v[90:91] op_sel:[0,0,1] op_sel_hi:[1,1,0] neg_lo:[0,0,1] neg_hi:[0,0,1]
	v_pk_fma_f32 v[90:91], v[92:93], v[80:81], v[90:91] op_sel:[0,0,1] op_sel_hi:[1,0,0]
	v_mov_b32_e32 v95, v91
	ds_load_2addr_b64 v[90:93], v84 offset0:25 offset1:26
	v_pk_add_f32 v[54:55], v[54:55], v[96:97] neg_lo:[0,1] neg_hi:[0,1]
	v_pk_add_f32 v[50:51], v[50:51], v[94:95] neg_lo:[0,1] neg_hi:[0,1]
	s_wait_dscnt 0x0
	v_dual_mul_f32 v94, v91, v83 :: v_dual_mul_f32 v96, v91, v80
	s_delay_alu instid0(VALU_DEP_1) | instskip(NEXT) | instid1(VALU_DEP_2)
	v_pk_fma_f32 v[94:95], v[90:91], v[22:23], v[94:95] op_sel_hi:[1,1,0] neg_lo:[0,0,1] neg_hi:[0,0,1]
	v_pk_fma_f32 v[90:91], v[90:91], v[22:23], v[96:97] op_sel:[1,0,0] op_sel_hi:[0,1,0]
	s_delay_alu instid0(VALU_DEP_1) | instskip(SKIP_1) | instid1(VALU_DEP_2)
	v_mov_b32_e32 v95, v91
	v_pk_mul_f32 v[90:91], v[92:93], v[82:83] op_sel:[0,1]
	v_pk_add_f32 v[46:47], v[46:47], v[94:95] neg_lo:[0,1] neg_hi:[0,1]
	s_delay_alu instid0(VALU_DEP_2) | instskip(SKIP_1) | instid1(VALU_DEP_1)
	v_pk_fma_f32 v[94:95], v[92:93], v[80:81], v[90:91] op_sel:[0,0,1] op_sel_hi:[1,1,0] neg_lo:[0,0,1] neg_hi:[0,0,1]
	v_pk_fma_f32 v[90:91], v[92:93], v[80:81], v[90:91] op_sel:[0,0,1] op_sel_hi:[1,0,0]
	v_mov_b32_e32 v95, v91
	ds_load_2addr_b64 v[90:93], v84 offset0:27 offset1:28
	v_pk_add_f32 v[48:49], v[48:49], v[94:95] neg_lo:[0,1] neg_hi:[0,1]
	s_wait_dscnt 0x0
	v_pk_mul_f32 v[94:95], v[90:91], v[82:83] op_sel:[0,1]
	s_delay_alu instid0(VALU_DEP_1) | instskip(SKIP_1) | instid1(VALU_DEP_1)
	v_pk_fma_f32 v[96:97], v[90:91], v[80:81], v[94:95] op_sel:[0,0,1] op_sel_hi:[1,1,0] neg_lo:[0,0,1] neg_hi:[0,0,1]
	v_pk_fma_f32 v[90:91], v[90:91], v[80:81], v[94:95] op_sel:[0,0,1] op_sel_hi:[1,0,0]
	v_mov_b32_e32 v97, v91
	v_pk_mul_f32 v[90:91], v[92:93], v[82:83] op_sel:[0,1]
	s_delay_alu instid0(VALU_DEP_2) | instskip(NEXT) | instid1(VALU_DEP_2)
	v_pk_add_f32 v[44:45], v[44:45], v[96:97] neg_lo:[0,1] neg_hi:[0,1]
	v_pk_fma_f32 v[94:95], v[92:93], v[80:81], v[90:91] op_sel:[0,0,1] op_sel_hi:[1,1,0] neg_lo:[0,0,1] neg_hi:[0,0,1]
	v_pk_fma_f32 v[90:91], v[92:93], v[80:81], v[90:91] op_sel:[0,0,1] op_sel_hi:[1,0,0]
	s_delay_alu instid0(VALU_DEP_1) | instskip(SKIP_4) | instid1(VALU_DEP_1)
	v_mov_b32_e32 v95, v91
	ds_load_2addr_b64 v[90:93], v84 offset0:29 offset1:30
	v_pk_add_f32 v[14:15], v[14:15], v[94:95] neg_lo:[0,1] neg_hi:[0,1]
	s_wait_dscnt 0x0
	v_pk_mul_f32 v[94:95], v[90:91], v[82:83] op_sel:[0,1]
	v_pk_fma_f32 v[96:97], v[90:91], v[80:81], v[94:95] op_sel:[0,0,1] op_sel_hi:[1,1,0] neg_lo:[0,0,1] neg_hi:[0,0,1]
	v_pk_fma_f32 v[90:91], v[90:91], v[80:81], v[94:95] op_sel:[0,0,1] op_sel_hi:[1,0,0]
	v_dual_mul_f32 v94, v93, v83 :: v_dual_mov_b32 v90, v93
	s_delay_alu instid0(VALU_DEP_2) | instskip(NEXT) | instid1(VALU_DEP_2)
	v_dual_mov_b32 v97, v91 :: v_dual_mov_b32 v91, v92
	v_pk_fma_f32 v[94:95], v[92:93], v[22:23], v[94:95] op_sel_hi:[1,1,0] neg_lo:[0,0,1] neg_hi:[0,0,1]
	v_mul_f32_e32 v92, v93, v80
	s_delay_alu instid0(VALU_DEP_3) | instskip(NEXT) | instid1(VALU_DEP_2)
	v_pk_add_f32 v[10:11], v[10:11], v[96:97] neg_lo:[0,1] neg_hi:[0,1]
	v_pk_fma_f32 v[90:91], v[90:91], v[22:23], v[92:93] op_sel_hi:[1,1,0]
	s_delay_alu instid0(VALU_DEP_1) | instskip(SKIP_4) | instid1(VALU_DEP_1)
	v_mov_b32_e32 v95, v91
	ds_load_2addr_b64 v[90:93], v84 offset0:31 offset1:32
	v_pk_add_f32 v[12:13], v[12:13], v[94:95] neg_lo:[0,1] neg_hi:[0,1]
	s_wait_dscnt 0x0
	v_pk_mul_f32 v[94:95], v[90:91], v[82:83] op_sel:[0,1]
	v_pk_fma_f32 v[96:97], v[90:91], v[80:81], v[94:95] op_sel:[0,0,1] op_sel_hi:[1,1,0] neg_lo:[0,0,1] neg_hi:[0,0,1]
	v_pk_fma_f32 v[90:91], v[90:91], v[80:81], v[94:95] op_sel:[0,0,1] op_sel_hi:[1,0,0]
	s_delay_alu instid0(VALU_DEP_1) | instskip(SKIP_1) | instid1(VALU_DEP_1)
	v_mov_b32_e32 v97, v91
	v_pk_mul_f32 v[90:91], v[92:93], v[82:83] op_sel:[0,1]
	v_pk_fma_f32 v[94:95], v[92:93], v[80:81], v[90:91] op_sel:[0,0,1] op_sel_hi:[1,1,0] neg_lo:[0,0,1] neg_hi:[0,0,1]
	v_pk_fma_f32 v[90:91], v[92:93], v[80:81], v[90:91] op_sel:[0,0,1] op_sel_hi:[1,0,0]
	s_delay_alu instid0(VALU_DEP_1)
	v_mov_b32_e32 v95, v91
	ds_load_2addr_b64 v[90:93], v84 offset0:33 offset1:34
	v_pk_add_f32 v[8:9], v[8:9], v[96:97] neg_lo:[0,1] neg_hi:[0,1]
	v_pk_add_f32 v[6:7], v[6:7], v[94:95] neg_lo:[0,1] neg_hi:[0,1]
	s_wait_dscnt 0x0
	v_pk_mul_f32 v[94:95], v[90:91], v[82:83] op_sel:[0,1]
	s_delay_alu instid0(VALU_DEP_1) | instskip(SKIP_1) | instid1(VALU_DEP_1)
	v_pk_fma_f32 v[96:97], v[90:91], v[80:81], v[94:95] op_sel:[0,0,1] op_sel_hi:[1,1,0] neg_lo:[0,0,1] neg_hi:[0,0,1]
	v_pk_fma_f32 v[90:91], v[90:91], v[80:81], v[94:95] op_sel:[0,0,1] op_sel_hi:[1,0,0]
	v_mov_b32_e32 v97, v91
	v_pk_mul_f32 v[90:91], v[92:93], v[82:83] op_sel:[0,1]
	s_delay_alu instid0(VALU_DEP_1) | instskip(SKIP_1) | instid1(VALU_DEP_1)
	v_pk_fma_f32 v[94:95], v[92:93], v[80:81], v[90:91] op_sel:[0,0,1] op_sel_hi:[1,1,0] neg_lo:[0,0,1] neg_hi:[0,0,1]
	v_pk_fma_f32 v[90:91], v[92:93], v[80:81], v[90:91] op_sel:[0,0,1] op_sel_hi:[1,0,0]
	v_mov_b32_e32 v95, v91
	ds_load_2addr_b64 v[90:93], v84 offset0:35 offset1:36
	v_pk_add_f32 v[52:53], v[52:53], v[96:97] neg_lo:[0,1] neg_hi:[0,1]
	v_pk_add_f32 v[34:35], v[34:35], v[94:95] neg_lo:[0,1] neg_hi:[0,1]
	s_wait_dscnt 0x0
	v_mul_f32_e32 v82, v91, v83
	s_delay_alu instid0(VALU_DEP_1) | instskip(SKIP_1) | instid1(VALU_DEP_1)
	v_pk_fma_f32 v[94:95], v[90:91], v[22:23], v[82:83] op_sel_hi:[1,1,0] neg_lo:[0,0,1] neg_hi:[0,0,1]
	v_dual_mul_f32 v82, v91, v80 :: v_dual_mul_f32 v80, v93, v80
	v_pk_fma_f32 v[90:91], v[90:91], v[22:23], v[82:83] op_sel:[1,0,0] op_sel_hi:[0,1,0]
	v_dual_mov_b32 v90, v93 :: v_dual_mul_f32 v82, v93, v83
	s_delay_alu instid0(VALU_DEP_2) | instskip(NEXT) | instid1(VALU_DEP_2)
	v_dual_mov_b32 v95, v91 :: v_dual_mov_b32 v91, v92
	v_pk_fma_f32 v[82:83], v[92:93], v[22:23], v[82:83] op_sel_hi:[1,1,0] neg_lo:[0,0,1] neg_hi:[0,0,1]
	s_delay_alu instid0(VALU_DEP_2) | instskip(NEXT) | instid1(VALU_DEP_3)
	v_pk_add_f32 v[16:17], v[16:17], v[94:95] neg_lo:[0,1] neg_hi:[0,1]
	v_pk_fma_f32 v[80:81], v[90:91], v[22:23], v[80:81] op_sel_hi:[1,1,0]
	s_delay_alu instid0(VALU_DEP_1) | instskip(NEXT) | instid1(VALU_DEP_1)
	v_mov_b32_e32 v83, v81
	v_pk_add_f32 v[78:79], v[78:79], v[82:83] neg_lo:[0,1] neg_hi:[0,1]
.LBB72_146:
	s_or_b32 exec_lo, exec_lo, s0
	v_lshl_add_u32 v80, v88, 3, v84
	s_barrier_signal -1
	s_barrier_wait -1
	ds_store_b64 v80, v[18:19]
	s_wait_dscnt 0x0
	s_barrier_signal -1
	s_barrier_wait -1
	ds_load_b64 v[82:83], v84 offset:56
	v_mov_b32_e32 v80, 7
	s_cmp_lt_i32 s18, 9
	s_cbranch_scc1 .LBB72_149
; %bb.147:
	v_add3_u32 v81, v85, 0, 64
	v_mov_b32_e32 v80, 7
	s_mov_b32 s0, 8
.LBB72_148:                             ; =>This Inner Loop Header: Depth=1
	ds_load_b64 v[90:91], v81
	s_wait_dscnt 0x1
	v_cmp_gt_f32_e32 vcc_lo, 0, v82
	v_cndmask_b32_e64 v92, v82, -v82, vcc_lo
	v_cmp_gt_f32_e32 vcc_lo, 0, v83
	v_cndmask_b32_e64 v94, v83, -v83, vcc_lo
	s_wait_dscnt 0x0
	v_cmp_gt_f32_e32 vcc_lo, 0, v90
	v_cndmask_b32_e64 v93, v90, -v90, vcc_lo
	v_cmp_gt_f32_e32 vcc_lo, 0, v91
	v_cndmask_b32_e64 v95, v91, -v91, vcc_lo
	s_delay_alu instid0(VALU_DEP_1) | instskip(NEXT) | instid1(VALU_DEP_1)
	v_pk_add_f32 v[92:93], v[92:93], v[94:95]
	v_cmp_lt_f32_e32 vcc_lo, v92, v93
	v_dual_add_nc_u32 v81, 8, v81 :: v_dual_cndmask_b32 v83, v83, v91, vcc_lo
	v_cndmask_b32_e32 v82, v82, v90, vcc_lo
	v_cndmask_b32_e64 v80, v80, s0, vcc_lo
	s_add_co_i32 s0, s0, 1
	s_delay_alu instid0(SALU_CYCLE_1)
	s_cmp_lg_u32 s18, s0
	s_cbranch_scc1 .LBB72_148
.LBB72_149:
	s_wait_dscnt 0x0
	v_cmp_eq_f32_e32 vcc_lo, 0, v82
	v_cmp_eq_f32_e64 s0, 0, v83
	s_and_b32 s0, vcc_lo, s0
	s_delay_alu instid0(SALU_CYCLE_1) | instskip(NEXT) | instid1(SALU_CYCLE_1)
	s_and_saveexec_b32 s1, s0
	s_xor_b32 s0, exec_lo, s1
; %bb.150:
	v_cmp_ne_u32_e32 vcc_lo, 0, v86
	v_cndmask_b32_e32 v86, 8, v86, vcc_lo
; %bb.151:
	s_and_not1_saveexec_b32 s0, s0
	s_cbranch_execz .LBB72_157
; %bb.152:
	v_cmp_ngt_f32_e64 s1, |v82|, |v83|
	s_and_saveexec_b32 s12, s1
	s_delay_alu instid0(SALU_CYCLE_1)
	s_xor_b32 s1, exec_lo, s12
	s_cbranch_execz .LBB72_154
; %bb.153:
	v_div_scale_f32 v81, null, v83, v83, v82
	v_div_scale_f32 v91, vcc_lo, v82, v83, v82
	s_delay_alu instid0(VALU_DEP_2) | instskip(SKIP_1) | instid1(TRANS32_DEP_1)
	v_rcp_f32_e32 v89, v81
	v_nop
	v_fma_f32 v90, -v81, v89, 1.0
	s_delay_alu instid0(VALU_DEP_1) | instskip(NEXT) | instid1(VALU_DEP_1)
	v_fmac_f32_e32 v89, v90, v89
	v_mul_f32_e32 v90, v91, v89
	s_delay_alu instid0(VALU_DEP_1) | instskip(NEXT) | instid1(VALU_DEP_1)
	v_fma_f32 v92, -v81, v90, v91
	v_fmac_f32_e32 v90, v92, v89
	s_delay_alu instid0(VALU_DEP_1) | instskip(NEXT) | instid1(VALU_DEP_1)
	v_fma_f32 v81, -v81, v90, v91
	v_div_fmas_f32 v81, v81, v89, v90
	s_delay_alu instid0(VALU_DEP_1) | instskip(NEXT) | instid1(VALU_DEP_1)
	v_div_fixup_f32 v81, v81, v83, v82
	v_fmac_f32_e32 v83, v82, v81
	s_delay_alu instid0(VALU_DEP_1) | instskip(SKIP_1) | instid1(VALU_DEP_2)
	v_div_scale_f32 v82, null, v83, v83, 1.0
	v_div_scale_f32 v91, vcc_lo, 1.0, v83, 1.0
	v_rcp_f32_e32 v89, v82
	v_nop
	s_delay_alu instid0(TRANS32_DEP_1) | instskip(NEXT) | instid1(VALU_DEP_1)
	v_fma_f32 v90, -v82, v89, 1.0
	v_fmac_f32_e32 v89, v90, v89
	s_delay_alu instid0(VALU_DEP_1) | instskip(NEXT) | instid1(VALU_DEP_1)
	v_mul_f32_e32 v90, v91, v89
	v_fma_f32 v92, -v82, v90, v91
	s_delay_alu instid0(VALU_DEP_1) | instskip(NEXT) | instid1(VALU_DEP_1)
	v_fmac_f32_e32 v90, v92, v89
	v_fma_f32 v82, -v82, v90, v91
	s_delay_alu instid0(VALU_DEP_1) | instskip(NEXT) | instid1(VALU_DEP_1)
	v_div_fmas_f32 v82, v82, v89, v90
	v_div_fixup_f32 v83, v82, v83, 1.0
	s_delay_alu instid0(VALU_DEP_1)
	v_mul_f32_e32 v82, v81, v83
	v_xor_b32_e32 v83, 0x80000000, v83
.LBB72_154:
	s_and_not1_saveexec_b32 s1, s1
	s_cbranch_execz .LBB72_156
; %bb.155:
	s_delay_alu instid0(VALU_DEP_1) | instskip(SKIP_1) | instid1(VALU_DEP_2)
	v_div_scale_f32 v81, null, v82, v82, v83
	v_div_scale_f32 v91, vcc_lo, v83, v82, v83
	v_rcp_f32_e32 v89, v81
	v_nop
	s_delay_alu instid0(TRANS32_DEP_1) | instskip(NEXT) | instid1(VALU_DEP_1)
	v_fma_f32 v90, -v81, v89, 1.0
	v_fmac_f32_e32 v89, v90, v89
	s_delay_alu instid0(VALU_DEP_1) | instskip(NEXT) | instid1(VALU_DEP_1)
	v_mul_f32_e32 v90, v91, v89
	v_fma_f32 v92, -v81, v90, v91
	s_delay_alu instid0(VALU_DEP_1) | instskip(NEXT) | instid1(VALU_DEP_1)
	v_fmac_f32_e32 v90, v92, v89
	v_fma_f32 v81, -v81, v90, v91
	s_delay_alu instid0(VALU_DEP_1) | instskip(NEXT) | instid1(VALU_DEP_1)
	v_div_fmas_f32 v81, v81, v89, v90
	v_div_fixup_f32 v81, v81, v82, v83
	s_delay_alu instid0(VALU_DEP_1) | instskip(NEXT) | instid1(VALU_DEP_1)
	v_fmac_f32_e32 v82, v83, v81
	v_div_scale_f32 v83, null, v82, v82, 1.0
	s_delay_alu instid0(VALU_DEP_1) | instskip(SKIP_1) | instid1(TRANS32_DEP_1)
	v_rcp_f32_e32 v89, v83
	v_nop
	v_fma_f32 v90, -v83, v89, 1.0
	s_delay_alu instid0(VALU_DEP_1) | instskip(SKIP_1) | instid1(VALU_DEP_1)
	v_fmac_f32_e32 v89, v90, v89
	v_div_scale_f32 v90, vcc_lo, 1.0, v82, 1.0
	v_mul_f32_e32 v91, v90, v89
	s_delay_alu instid0(VALU_DEP_1) | instskip(NEXT) | instid1(VALU_DEP_1)
	v_fma_f32 v92, -v83, v91, v90
	v_fmac_f32_e32 v91, v92, v89
	s_delay_alu instid0(VALU_DEP_1) | instskip(NEXT) | instid1(VALU_DEP_1)
	v_fma_f32 v83, -v83, v91, v90
	v_div_fmas_f32 v83, v83, v89, v91
	s_delay_alu instid0(VALU_DEP_1) | instskip(NEXT) | instid1(VALU_DEP_1)
	v_div_fixup_f32 v82, v83, v82, 1.0
	v_mul_f32_e64 v83, v81, -v82
.LBB72_156:
	s_or_b32 exec_lo, exec_lo, s1
.LBB72_157:
	s_delay_alu instid0(SALU_CYCLE_1) | instskip(NEXT) | instid1(SALU_CYCLE_1)
	s_or_b32 exec_lo, exec_lo, s0
	s_mov_b32 s0, exec_lo
	v_cmpx_ne_u32_e64 v88, v80
	s_xor_b32 s0, exec_lo, s0
	s_cbranch_execz .LBB72_163
; %bb.158:
	s_mov_b32 s1, exec_lo
	v_cmpx_eq_u32_e32 7, v88
	s_cbranch_execz .LBB72_162
; %bb.159:
	v_cmp_ne_u32_e32 vcc_lo, 7, v80
	s_xor_b32 s12, s16, -1
	s_delay_alu instid0(SALU_CYCLE_1) | instskip(NEXT) | instid1(SALU_CYCLE_1)
	s_and_b32 s13, s12, vcc_lo
	s_and_saveexec_b32 s12, s13
	s_cbranch_execz .LBB72_161
; %bb.160:
	v_ashrrev_i32_e32 v81, 31, v80
	s_delay_alu instid0(VALU_DEP_1)
	v_lshl_add_u64 v[88:89], v[80:81], 2, v[4:5]
	s_clause 0x1
	global_load_b32 v81, v[88:89], off
	global_load_b32 v87, v[4:5], off offset:28
	s_wait_loadcnt 0x1
	global_store_b32 v[4:5], v81, off offset:28
	s_wait_loadcnt 0x0
	global_store_b32 v[88:89], v87, off
.LBB72_161:
	s_wait_xcnt 0x0
	s_or_b32 exec_lo, exec_lo, s12
	v_dual_mov_b32 v88, v80 :: v_dual_mov_b32 v87, v80
.LBB72_162:
	s_or_b32 exec_lo, exec_lo, s1
.LBB72_163:
	s_and_not1_saveexec_b32 s0, s0
	s_cbranch_execz .LBB72_165
; %bb.164:
	v_dual_mov_b32 v80, v32 :: v_dual_mov_b32 v81, v33
	v_dual_mov_b32 v88, v28 :: v_dual_mov_b32 v89, v29
	;; [unrolled: 1-line block ×8, first 2 shown]
	ds_store_2addr_b64 v84, v[80:81], v[88:89] offset0:8 offset1:9
	ds_store_2addr_b64 v84, v[90:91], v[92:93] offset0:10 offset1:11
	;; [unrolled: 1-line block ×4, first 2 shown]
	v_dual_mov_b32 v80, v68 :: v_dual_mov_b32 v81, v69
	v_dual_mov_b32 v88, v64 :: v_dual_mov_b32 v89, v65
	;; [unrolled: 1-line block ×12, first 2 shown]
	ds_store_2addr_b64 v84, v[80:81], v[88:89] offset0:16 offset1:17
	ds_store_2addr_b64 v84, v[90:91], v[92:93] offset0:18 offset1:19
	;; [unrolled: 1-line block ×6, first 2 shown]
	v_dual_mov_b32 v80, v14 :: v_dual_mov_b32 v81, v15
	v_dual_mov_b32 v90, v10 :: v_dual_mov_b32 v91, v11
	;; [unrolled: 1-line block ×8, first 2 shown]
	v_mov_b32_e32 v103, v17
	ds_store_2addr_b64 v84, v[80:81], v[90:91] offset0:28 offset1:29
	ds_store_2addr_b64 v84, v[92:93], v[94:95] offset0:30 offset1:31
	;; [unrolled: 1-line block ×4, first 2 shown]
	ds_store_b64 v84, v[78:79] offset:288
.LBB72_165:
	s_or_b32 exec_lo, exec_lo, s0
	s_delay_alu instid0(SALU_CYCLE_1)
	s_mov_b32 s0, exec_lo
	s_wait_storecnt_dscnt 0x0
	s_barrier_signal -1
	s_barrier_wait -1
	v_cmpx_lt_i32_e32 7, v88
	s_cbranch_execz .LBB72_167
; %bb.166:
	v_pk_mul_f32 v[90:91], v[82:83], v[18:19] op_sel:[1,1] op_sel_hi:[0,1]
	s_delay_alu instid0(VALU_DEP_1)
	v_pk_fma_f32 v[80:81], v[82:83], v[18:19], v[90:91] op_sel_hi:[1,0,1] neg_lo:[0,0,1] neg_hi:[0,0,1]
	v_pk_fma_f32 v[82:83], v[82:83], v[18:19], v[90:91] op_sel_hi:[1,0,1]
	ds_load_2addr_b64 v[90:93], v84 offset0:8 offset1:9
	v_dual_mov_b32 v18, v80 :: v_dual_mov_b32 v19, v83
	s_wait_dscnt 0x0
	v_pk_mul_f32 v[94:95], v[90:91], v[82:83] op_sel:[0,1]
	s_delay_alu instid0(VALU_DEP_1) | instskip(SKIP_1) | instid1(VALU_DEP_1)
	v_pk_fma_f32 v[96:97], v[90:91], v[80:81], v[94:95] op_sel:[0,0,1] op_sel_hi:[1,1,0] neg_lo:[0,0,1] neg_hi:[0,0,1]
	v_pk_fma_f32 v[90:91], v[90:91], v[80:81], v[94:95] op_sel:[0,0,1] op_sel_hi:[1,0,0]
	v_mov_b32_e32 v97, v91
	v_pk_mul_f32 v[90:91], v[92:93], v[82:83] op_sel:[0,1]
	s_delay_alu instid0(VALU_DEP_1) | instskip(SKIP_1) | instid1(VALU_DEP_1)
	v_pk_fma_f32 v[94:95], v[92:93], v[80:81], v[90:91] op_sel:[0,0,1] op_sel_hi:[1,1,0] neg_lo:[0,0,1] neg_hi:[0,0,1]
	v_pk_fma_f32 v[90:91], v[92:93], v[80:81], v[90:91] op_sel:[0,0,1] op_sel_hi:[1,0,0]
	v_mov_b32_e32 v95, v91
	ds_load_2addr_b64 v[90:93], v84 offset0:10 offset1:11
	v_pk_add_f32 v[32:33], v[32:33], v[96:97] neg_lo:[0,1] neg_hi:[0,1]
	v_pk_add_f32 v[28:29], v[28:29], v[94:95] neg_lo:[0,1] neg_hi:[0,1]
	s_wait_dscnt 0x0
	v_pk_mul_f32 v[94:95], v[90:91], v[82:83] op_sel:[0,1]
	s_delay_alu instid0(VALU_DEP_1) | instskip(SKIP_2) | instid1(VALU_DEP_2)
	v_pk_fma_f32 v[96:97], v[90:91], v[80:81], v[94:95] op_sel:[0,0,1] op_sel_hi:[1,1,0] neg_lo:[0,0,1] neg_hi:[0,0,1]
	v_pk_fma_f32 v[90:91], v[90:91], v[80:81], v[94:95] op_sel:[0,0,1] op_sel_hi:[1,0,0]
	v_dual_mul_f32 v94, v93, v83 :: v_dual_mov_b32 v90, v93
	v_dual_mov_b32 v97, v91 :: v_dual_mov_b32 v91, v92
	s_delay_alu instid0(VALU_DEP_2) | instskip(SKIP_1) | instid1(VALU_DEP_3)
	v_pk_fma_f32 v[94:95], v[92:93], v[18:19], v[94:95] op_sel_hi:[1,1,0] neg_lo:[0,0,1] neg_hi:[0,0,1]
	v_mul_f32_e32 v92, v93, v80
	v_pk_add_f32 v[30:31], v[30:31], v[96:97] neg_lo:[0,1] neg_hi:[0,1]
	s_delay_alu instid0(VALU_DEP_2) | instskip(NEXT) | instid1(VALU_DEP_1)
	v_pk_fma_f32 v[90:91], v[90:91], v[18:19], v[92:93] op_sel_hi:[1,1,0]
	v_mov_b32_e32 v95, v91
	ds_load_2addr_b64 v[90:93], v84 offset0:12 offset1:13
	v_pk_add_f32 v[26:27], v[26:27], v[94:95] neg_lo:[0,1] neg_hi:[0,1]
	s_wait_dscnt 0x0
	v_pk_mul_f32 v[94:95], v[90:91], v[82:83] op_sel:[0,1]
	s_delay_alu instid0(VALU_DEP_1) | instskip(SKIP_1) | instid1(VALU_DEP_1)
	v_pk_fma_f32 v[96:97], v[90:91], v[80:81], v[94:95] op_sel:[0,0,1] op_sel_hi:[1,1,0] neg_lo:[0,0,1] neg_hi:[0,0,1]
	v_pk_fma_f32 v[90:91], v[90:91], v[80:81], v[94:95] op_sel:[0,0,1] op_sel_hi:[1,0,0]
	v_mov_b32_e32 v97, v91
	v_pk_mul_f32 v[90:91], v[92:93], v[82:83] op_sel:[0,1]
	s_delay_alu instid0(VALU_DEP_1) | instskip(SKIP_1) | instid1(VALU_DEP_1)
	v_pk_fma_f32 v[94:95], v[92:93], v[80:81], v[90:91] op_sel:[0,0,1] op_sel_hi:[1,1,0] neg_lo:[0,0,1] neg_hi:[0,0,1]
	v_pk_fma_f32 v[90:91], v[92:93], v[80:81], v[90:91] op_sel:[0,0,1] op_sel_hi:[1,0,0]
	v_mov_b32_e32 v95, v91
	ds_load_2addr_b64 v[90:93], v84 offset0:14 offset1:15
	v_pk_add_f32 v[42:43], v[42:43], v[96:97] neg_lo:[0,1] neg_hi:[0,1]
	v_pk_add_f32 v[38:39], v[38:39], v[94:95] neg_lo:[0,1] neg_hi:[0,1]
	s_wait_dscnt 0x0
	v_pk_mul_f32 v[94:95], v[90:91], v[82:83] op_sel:[0,1]
	s_delay_alu instid0(VALU_DEP_1) | instskip(SKIP_1) | instid1(VALU_DEP_1)
	v_pk_fma_f32 v[96:97], v[90:91], v[80:81], v[94:95] op_sel:[0,0,1] op_sel_hi:[1,1,0] neg_lo:[0,0,1] neg_hi:[0,0,1]
	v_pk_fma_f32 v[90:91], v[90:91], v[80:81], v[94:95] op_sel:[0,0,1] op_sel_hi:[1,0,0]
	v_mov_b32_e32 v97, v91
	v_pk_mul_f32 v[90:91], v[92:93], v[82:83] op_sel:[0,1]
	s_delay_alu instid0(VALU_DEP_1) | instskip(SKIP_1) | instid1(VALU_DEP_1)
	v_pk_fma_f32 v[94:95], v[92:93], v[80:81], v[90:91] op_sel:[0,0,1] op_sel_hi:[1,1,0] neg_lo:[0,0,1] neg_hi:[0,0,1]
	v_pk_fma_f32 v[90:91], v[92:93], v[80:81], v[90:91] op_sel:[0,0,1] op_sel_hi:[1,0,0]
	v_mov_b32_e32 v95, v91
	ds_load_2addr_b64 v[90:93], v84 offset0:16 offset1:17
	v_pk_add_f32 v[40:41], v[40:41], v[96:97] neg_lo:[0,1] neg_hi:[0,1]
	v_pk_add_f32 v[36:37], v[36:37], v[94:95] neg_lo:[0,1] neg_hi:[0,1]
	s_wait_dscnt 0x0
	v_dual_mul_f32 v94, v91, v83 :: v_dual_mul_f32 v96, v91, v80
	s_delay_alu instid0(VALU_DEP_1) | instskip(NEXT) | instid1(VALU_DEP_2)
	v_pk_fma_f32 v[94:95], v[90:91], v[18:19], v[94:95] op_sel_hi:[1,1,0] neg_lo:[0,0,1] neg_hi:[0,0,1]
	v_pk_fma_f32 v[90:91], v[90:91], v[18:19], v[96:97] op_sel:[1,0,0] op_sel_hi:[0,1,0]
	s_delay_alu instid0(VALU_DEP_1) | instskip(SKIP_1) | instid1(VALU_DEP_2)
	v_mov_b32_e32 v95, v91
	v_pk_mul_f32 v[90:91], v[92:93], v[82:83] op_sel:[0,1]
	v_pk_add_f32 v[68:69], v[68:69], v[94:95] neg_lo:[0,1] neg_hi:[0,1]
	s_delay_alu instid0(VALU_DEP_2) | instskip(SKIP_1) | instid1(VALU_DEP_1)
	v_pk_fma_f32 v[94:95], v[92:93], v[80:81], v[90:91] op_sel:[0,0,1] op_sel_hi:[1,1,0] neg_lo:[0,0,1] neg_hi:[0,0,1]
	v_pk_fma_f32 v[90:91], v[92:93], v[80:81], v[90:91] op_sel:[0,0,1] op_sel_hi:[1,0,0]
	v_mov_b32_e32 v95, v91
	ds_load_2addr_b64 v[90:93], v84 offset0:18 offset1:19
	v_pk_add_f32 v[64:65], v[64:65], v[94:95] neg_lo:[0,1] neg_hi:[0,1]
	s_wait_dscnt 0x0
	v_pk_mul_f32 v[94:95], v[90:91], v[82:83] op_sel:[0,1]
	s_delay_alu instid0(VALU_DEP_1) | instskip(SKIP_1) | instid1(VALU_DEP_1)
	v_pk_fma_f32 v[96:97], v[90:91], v[80:81], v[94:95] op_sel:[0,0,1] op_sel_hi:[1,1,0] neg_lo:[0,0,1] neg_hi:[0,0,1]
	v_pk_fma_f32 v[90:91], v[90:91], v[80:81], v[94:95] op_sel:[0,0,1] op_sel_hi:[1,0,0]
	v_mov_b32_e32 v97, v91
	v_pk_mul_f32 v[90:91], v[92:93], v[82:83] op_sel:[0,1]
	s_delay_alu instid0(VALU_DEP_2) | instskip(NEXT) | instid1(VALU_DEP_2)
	v_pk_add_f32 v[66:67], v[66:67], v[96:97] neg_lo:[0,1] neg_hi:[0,1]
	v_pk_fma_f32 v[94:95], v[92:93], v[80:81], v[90:91] op_sel:[0,0,1] op_sel_hi:[1,1,0] neg_lo:[0,0,1] neg_hi:[0,0,1]
	v_pk_fma_f32 v[90:91], v[92:93], v[80:81], v[90:91] op_sel:[0,0,1] op_sel_hi:[1,0,0]
	s_delay_alu instid0(VALU_DEP_1) | instskip(SKIP_4) | instid1(VALU_DEP_1)
	v_mov_b32_e32 v95, v91
	ds_load_2addr_b64 v[90:93], v84 offset0:20 offset1:21
	v_pk_add_f32 v[62:63], v[62:63], v[94:95] neg_lo:[0,1] neg_hi:[0,1]
	s_wait_dscnt 0x0
	v_pk_mul_f32 v[94:95], v[90:91], v[82:83] op_sel:[0,1]
	v_pk_fma_f32 v[96:97], v[90:91], v[80:81], v[94:95] op_sel:[0,0,1] op_sel_hi:[1,1,0] neg_lo:[0,0,1] neg_hi:[0,0,1]
	v_pk_fma_f32 v[90:91], v[90:91], v[80:81], v[94:95] op_sel:[0,0,1] op_sel_hi:[1,0,0]
	v_dual_mul_f32 v94, v93, v83 :: v_dual_mov_b32 v90, v93
	s_delay_alu instid0(VALU_DEP_2) | instskip(NEXT) | instid1(VALU_DEP_2)
	v_dual_mov_b32 v97, v91 :: v_dual_mov_b32 v91, v92
	v_pk_fma_f32 v[94:95], v[92:93], v[18:19], v[94:95] op_sel_hi:[1,1,0] neg_lo:[0,0,1] neg_hi:[0,0,1]
	v_mul_f32_e32 v92, v93, v80
	s_delay_alu instid0(VALU_DEP_3) | instskip(NEXT) | instid1(VALU_DEP_2)
	v_pk_add_f32 v[60:61], v[60:61], v[96:97] neg_lo:[0,1] neg_hi:[0,1]
	v_pk_fma_f32 v[90:91], v[90:91], v[18:19], v[92:93] op_sel_hi:[1,1,0]
	s_delay_alu instid0(VALU_DEP_1) | instskip(SKIP_4) | instid1(VALU_DEP_1)
	v_mov_b32_e32 v95, v91
	ds_load_2addr_b64 v[90:93], v84 offset0:22 offset1:23
	v_pk_add_f32 v[56:57], v[56:57], v[94:95] neg_lo:[0,1] neg_hi:[0,1]
	s_wait_dscnt 0x0
	v_pk_mul_f32 v[94:95], v[90:91], v[82:83] op_sel:[0,1]
	v_pk_fma_f32 v[96:97], v[90:91], v[80:81], v[94:95] op_sel:[0,0,1] op_sel_hi:[1,1,0] neg_lo:[0,0,1] neg_hi:[0,0,1]
	v_pk_fma_f32 v[90:91], v[90:91], v[80:81], v[94:95] op_sel:[0,0,1] op_sel_hi:[1,0,0]
	s_delay_alu instid0(VALU_DEP_1) | instskip(SKIP_1) | instid1(VALU_DEP_1)
	v_mov_b32_e32 v97, v91
	v_pk_mul_f32 v[90:91], v[92:93], v[82:83] op_sel:[0,1]
	v_pk_fma_f32 v[94:95], v[92:93], v[80:81], v[90:91] op_sel:[0,0,1] op_sel_hi:[1,1,0] neg_lo:[0,0,1] neg_hi:[0,0,1]
	v_pk_fma_f32 v[90:91], v[92:93], v[80:81], v[90:91] op_sel:[0,0,1] op_sel_hi:[1,0,0]
	s_delay_alu instid0(VALU_DEP_1)
	v_mov_b32_e32 v95, v91
	ds_load_2addr_b64 v[90:93], v84 offset0:24 offset1:25
	v_pk_add_f32 v[58:59], v[58:59], v[96:97] neg_lo:[0,1] neg_hi:[0,1]
	v_pk_add_f32 v[54:55], v[54:55], v[94:95] neg_lo:[0,1] neg_hi:[0,1]
	s_wait_dscnt 0x0
	v_pk_mul_f32 v[94:95], v[90:91], v[82:83] op_sel:[0,1]
	s_delay_alu instid0(VALU_DEP_1) | instskip(SKIP_1) | instid1(VALU_DEP_1)
	v_pk_fma_f32 v[96:97], v[90:91], v[80:81], v[94:95] op_sel:[0,0,1] op_sel_hi:[1,1,0] neg_lo:[0,0,1] neg_hi:[0,0,1]
	v_pk_fma_f32 v[90:91], v[90:91], v[80:81], v[94:95] op_sel:[0,0,1] op_sel_hi:[1,0,0]
	v_mov_b32_e32 v97, v91
	v_pk_mul_f32 v[90:91], v[92:93], v[82:83] op_sel:[0,1]
	s_delay_alu instid0(VALU_DEP_1) | instskip(SKIP_1) | instid1(VALU_DEP_1)
	v_pk_fma_f32 v[94:95], v[92:93], v[80:81], v[90:91] op_sel:[0,0,1] op_sel_hi:[1,1,0] neg_lo:[0,0,1] neg_hi:[0,0,1]
	v_pk_fma_f32 v[90:91], v[92:93], v[80:81], v[90:91] op_sel:[0,0,1] op_sel_hi:[1,0,0]
	v_mov_b32_e32 v95, v91
	ds_load_2addr_b64 v[90:93], v84 offset0:26 offset1:27
	v_pk_add_f32 v[50:51], v[50:51], v[96:97] neg_lo:[0,1] neg_hi:[0,1]
	v_pk_add_f32 v[46:47], v[46:47], v[94:95] neg_lo:[0,1] neg_hi:[0,1]
	s_wait_dscnt 0x0
	v_dual_mul_f32 v94, v91, v83 :: v_dual_mul_f32 v96, v91, v80
	s_delay_alu instid0(VALU_DEP_1) | instskip(NEXT) | instid1(VALU_DEP_2)
	v_pk_fma_f32 v[94:95], v[90:91], v[18:19], v[94:95] op_sel_hi:[1,1,0] neg_lo:[0,0,1] neg_hi:[0,0,1]
	v_pk_fma_f32 v[90:91], v[90:91], v[18:19], v[96:97] op_sel:[1,0,0] op_sel_hi:[0,1,0]
	s_delay_alu instid0(VALU_DEP_1) | instskip(SKIP_1) | instid1(VALU_DEP_2)
	v_mov_b32_e32 v95, v91
	v_pk_mul_f32 v[90:91], v[92:93], v[82:83] op_sel:[0,1]
	v_pk_add_f32 v[48:49], v[48:49], v[94:95] neg_lo:[0,1] neg_hi:[0,1]
	s_delay_alu instid0(VALU_DEP_2) | instskip(SKIP_1) | instid1(VALU_DEP_1)
	v_pk_fma_f32 v[94:95], v[92:93], v[80:81], v[90:91] op_sel:[0,0,1] op_sel_hi:[1,1,0] neg_lo:[0,0,1] neg_hi:[0,0,1]
	v_pk_fma_f32 v[90:91], v[92:93], v[80:81], v[90:91] op_sel:[0,0,1] op_sel_hi:[1,0,0]
	v_mov_b32_e32 v95, v91
	ds_load_2addr_b64 v[90:93], v84 offset0:28 offset1:29
	v_pk_add_f32 v[44:45], v[44:45], v[94:95] neg_lo:[0,1] neg_hi:[0,1]
	s_wait_dscnt 0x0
	v_pk_mul_f32 v[94:95], v[90:91], v[82:83] op_sel:[0,1]
	s_delay_alu instid0(VALU_DEP_1) | instskip(SKIP_1) | instid1(VALU_DEP_1)
	v_pk_fma_f32 v[96:97], v[90:91], v[80:81], v[94:95] op_sel:[0,0,1] op_sel_hi:[1,1,0] neg_lo:[0,0,1] neg_hi:[0,0,1]
	v_pk_fma_f32 v[90:91], v[90:91], v[80:81], v[94:95] op_sel:[0,0,1] op_sel_hi:[1,0,0]
	v_mov_b32_e32 v97, v91
	v_pk_mul_f32 v[90:91], v[92:93], v[82:83] op_sel:[0,1]
	s_delay_alu instid0(VALU_DEP_2) | instskip(NEXT) | instid1(VALU_DEP_2)
	v_pk_add_f32 v[14:15], v[14:15], v[96:97] neg_lo:[0,1] neg_hi:[0,1]
	v_pk_fma_f32 v[94:95], v[92:93], v[80:81], v[90:91] op_sel:[0,0,1] op_sel_hi:[1,1,0] neg_lo:[0,0,1] neg_hi:[0,0,1]
	v_pk_fma_f32 v[90:91], v[92:93], v[80:81], v[90:91] op_sel:[0,0,1] op_sel_hi:[1,0,0]
	s_delay_alu instid0(VALU_DEP_1) | instskip(SKIP_4) | instid1(VALU_DEP_1)
	v_mov_b32_e32 v95, v91
	ds_load_2addr_b64 v[90:93], v84 offset0:30 offset1:31
	v_pk_add_f32 v[10:11], v[10:11], v[94:95] neg_lo:[0,1] neg_hi:[0,1]
	s_wait_dscnt 0x0
	v_pk_mul_f32 v[94:95], v[90:91], v[82:83] op_sel:[0,1]
	v_pk_fma_f32 v[96:97], v[90:91], v[80:81], v[94:95] op_sel:[0,0,1] op_sel_hi:[1,1,0] neg_lo:[0,0,1] neg_hi:[0,0,1]
	v_pk_fma_f32 v[90:91], v[90:91], v[80:81], v[94:95] op_sel:[0,0,1] op_sel_hi:[1,0,0]
	v_dual_mul_f32 v94, v93, v83 :: v_dual_mov_b32 v90, v93
	s_delay_alu instid0(VALU_DEP_2) | instskip(NEXT) | instid1(VALU_DEP_2)
	v_dual_mov_b32 v97, v91 :: v_dual_mov_b32 v91, v92
	v_pk_fma_f32 v[94:95], v[92:93], v[18:19], v[94:95] op_sel_hi:[1,1,0] neg_lo:[0,0,1] neg_hi:[0,0,1]
	v_mul_f32_e32 v92, v93, v80
	s_delay_alu instid0(VALU_DEP_3) | instskip(NEXT) | instid1(VALU_DEP_2)
	v_pk_add_f32 v[12:13], v[12:13], v[96:97] neg_lo:[0,1] neg_hi:[0,1]
	v_pk_fma_f32 v[90:91], v[90:91], v[18:19], v[92:93] op_sel_hi:[1,1,0]
	s_delay_alu instid0(VALU_DEP_1) | instskip(SKIP_4) | instid1(VALU_DEP_1)
	v_mov_b32_e32 v95, v91
	ds_load_2addr_b64 v[90:93], v84 offset0:32 offset1:33
	v_pk_add_f32 v[8:9], v[8:9], v[94:95] neg_lo:[0,1] neg_hi:[0,1]
	s_wait_dscnt 0x0
	v_pk_mul_f32 v[94:95], v[90:91], v[82:83] op_sel:[0,1]
	v_pk_fma_f32 v[96:97], v[90:91], v[80:81], v[94:95] op_sel:[0,0,1] op_sel_hi:[1,1,0] neg_lo:[0,0,1] neg_hi:[0,0,1]
	v_pk_fma_f32 v[90:91], v[90:91], v[80:81], v[94:95] op_sel:[0,0,1] op_sel_hi:[1,0,0]
	s_delay_alu instid0(VALU_DEP_1) | instskip(SKIP_1) | instid1(VALU_DEP_1)
	v_mov_b32_e32 v97, v91
	v_pk_mul_f32 v[90:91], v[92:93], v[82:83] op_sel:[0,1]
	v_pk_fma_f32 v[94:95], v[92:93], v[80:81], v[90:91] op_sel:[0,0,1] op_sel_hi:[1,1,0] neg_lo:[0,0,1] neg_hi:[0,0,1]
	v_pk_fma_f32 v[90:91], v[92:93], v[80:81], v[90:91] op_sel:[0,0,1] op_sel_hi:[1,0,0]
	s_delay_alu instid0(VALU_DEP_1)
	v_mov_b32_e32 v95, v91
	ds_load_2addr_b64 v[90:93], v84 offset0:34 offset1:35
	v_pk_add_f32 v[6:7], v[6:7], v[96:97] neg_lo:[0,1] neg_hi:[0,1]
	v_pk_add_f32 v[52:53], v[52:53], v[94:95] neg_lo:[0,1] neg_hi:[0,1]
	s_wait_dscnt 0x0
	v_pk_mul_f32 v[94:95], v[90:91], v[82:83] op_sel:[0,1]
	s_delay_alu instid0(VALU_DEP_1) | instskip(SKIP_1) | instid1(VALU_DEP_1)
	v_pk_fma_f32 v[96:97], v[90:91], v[80:81], v[94:95] op_sel:[0,0,1] op_sel_hi:[1,1,0] neg_lo:[0,0,1] neg_hi:[0,0,1]
	v_pk_fma_f32 v[90:91], v[90:91], v[80:81], v[94:95] op_sel:[0,0,1] op_sel_hi:[1,0,0]
	v_mov_b32_e32 v97, v91
	v_pk_mul_f32 v[90:91], v[92:93], v[82:83] op_sel:[0,1]
	s_delay_alu instid0(VALU_DEP_1) | instskip(SKIP_1) | instid1(VALU_DEP_1)
	v_pk_fma_f32 v[94:95], v[92:93], v[80:81], v[90:91] op_sel:[0,0,1] op_sel_hi:[1,1,0] neg_lo:[0,0,1] neg_hi:[0,0,1]
	v_pk_fma_f32 v[90:91], v[92:93], v[80:81], v[90:91] op_sel:[0,0,1] op_sel_hi:[1,0,0]
	v_mov_b32_e32 v95, v91
	ds_load_b64 v[90:91], v84 offset:288
	v_pk_add_f32 v[34:35], v[34:35], v[96:97] neg_lo:[0,1] neg_hi:[0,1]
	v_pk_add_f32 v[16:17], v[16:17], v[94:95] neg_lo:[0,1] neg_hi:[0,1]
	s_wait_dscnt 0x0
	v_pk_mul_f32 v[82:83], v[90:91], v[82:83] op_sel:[0,1]
	s_delay_alu instid0(VALU_DEP_1) | instskip(SKIP_1) | instid1(VALU_DEP_1)
	v_pk_fma_f32 v[92:93], v[90:91], v[80:81], v[82:83] op_sel:[0,0,1] op_sel_hi:[1,1,0] neg_lo:[0,0,1] neg_hi:[0,0,1]
	v_pk_fma_f32 v[80:81], v[90:91], v[80:81], v[82:83] op_sel:[0,0,1] op_sel_hi:[1,0,0]
	v_mov_b32_e32 v93, v81
	s_delay_alu instid0(VALU_DEP_1)
	v_pk_add_f32 v[78:79], v[78:79], v[92:93] neg_lo:[0,1] neg_hi:[0,1]
.LBB72_167:
	s_or_b32 exec_lo, exec_lo, s0
	v_lshl_add_u32 v80, v88, 3, v84
	s_barrier_signal -1
	s_barrier_wait -1
	ds_store_b64 v80, v[32:33]
	s_wait_dscnt 0x0
	s_barrier_signal -1
	s_barrier_wait -1
	ds_load_b64 v[82:83], v84 offset:64
	v_mov_b32_e32 v80, 8
	s_cmp_lt_i32 s18, 10
	s_cbranch_scc1 .LBB72_170
; %bb.168:
	v_add3_u32 v81, v85, 0, 0x48
	v_mov_b32_e32 v80, 8
	s_mov_b32 s0, 9
.LBB72_169:                             ; =>This Inner Loop Header: Depth=1
	ds_load_b64 v[90:91], v81
	s_wait_dscnt 0x1
	v_cmp_gt_f32_e32 vcc_lo, 0, v82
	v_cndmask_b32_e64 v92, v82, -v82, vcc_lo
	v_cmp_gt_f32_e32 vcc_lo, 0, v83
	v_cndmask_b32_e64 v94, v83, -v83, vcc_lo
	s_wait_dscnt 0x0
	v_cmp_gt_f32_e32 vcc_lo, 0, v90
	v_cndmask_b32_e64 v93, v90, -v90, vcc_lo
	v_cmp_gt_f32_e32 vcc_lo, 0, v91
	v_cndmask_b32_e64 v95, v91, -v91, vcc_lo
	s_delay_alu instid0(VALU_DEP_1) | instskip(NEXT) | instid1(VALU_DEP_1)
	v_pk_add_f32 v[92:93], v[92:93], v[94:95]
	v_cmp_lt_f32_e32 vcc_lo, v92, v93
	v_dual_add_nc_u32 v81, 8, v81 :: v_dual_cndmask_b32 v83, v83, v91, vcc_lo
	v_cndmask_b32_e32 v82, v82, v90, vcc_lo
	v_cndmask_b32_e64 v80, v80, s0, vcc_lo
	s_add_co_i32 s0, s0, 1
	s_delay_alu instid0(SALU_CYCLE_1)
	s_cmp_lg_u32 s18, s0
	s_cbranch_scc1 .LBB72_169
.LBB72_170:
	s_wait_dscnt 0x0
	v_cmp_eq_f32_e32 vcc_lo, 0, v82
	v_cmp_eq_f32_e64 s0, 0, v83
	s_and_b32 s0, vcc_lo, s0
	s_delay_alu instid0(SALU_CYCLE_1) | instskip(NEXT) | instid1(SALU_CYCLE_1)
	s_and_saveexec_b32 s1, s0
	s_xor_b32 s0, exec_lo, s1
; %bb.171:
	v_cmp_ne_u32_e32 vcc_lo, 0, v86
	v_cndmask_b32_e32 v86, 9, v86, vcc_lo
; %bb.172:
	s_and_not1_saveexec_b32 s0, s0
	s_cbranch_execz .LBB72_178
; %bb.173:
	v_cmp_ngt_f32_e64 s1, |v82|, |v83|
	s_and_saveexec_b32 s12, s1
	s_delay_alu instid0(SALU_CYCLE_1)
	s_xor_b32 s1, exec_lo, s12
	s_cbranch_execz .LBB72_175
; %bb.174:
	v_div_scale_f32 v81, null, v83, v83, v82
	v_div_scale_f32 v91, vcc_lo, v82, v83, v82
	s_delay_alu instid0(VALU_DEP_2) | instskip(SKIP_1) | instid1(TRANS32_DEP_1)
	v_rcp_f32_e32 v89, v81
	v_nop
	v_fma_f32 v90, -v81, v89, 1.0
	s_delay_alu instid0(VALU_DEP_1) | instskip(NEXT) | instid1(VALU_DEP_1)
	v_fmac_f32_e32 v89, v90, v89
	v_mul_f32_e32 v90, v91, v89
	s_delay_alu instid0(VALU_DEP_1) | instskip(NEXT) | instid1(VALU_DEP_1)
	v_fma_f32 v92, -v81, v90, v91
	v_fmac_f32_e32 v90, v92, v89
	s_delay_alu instid0(VALU_DEP_1) | instskip(NEXT) | instid1(VALU_DEP_1)
	v_fma_f32 v81, -v81, v90, v91
	v_div_fmas_f32 v81, v81, v89, v90
	s_delay_alu instid0(VALU_DEP_1) | instskip(NEXT) | instid1(VALU_DEP_1)
	v_div_fixup_f32 v81, v81, v83, v82
	v_fmac_f32_e32 v83, v82, v81
	s_delay_alu instid0(VALU_DEP_1) | instskip(SKIP_1) | instid1(VALU_DEP_2)
	v_div_scale_f32 v82, null, v83, v83, 1.0
	v_div_scale_f32 v91, vcc_lo, 1.0, v83, 1.0
	v_rcp_f32_e32 v89, v82
	v_nop
	s_delay_alu instid0(TRANS32_DEP_1) | instskip(NEXT) | instid1(VALU_DEP_1)
	v_fma_f32 v90, -v82, v89, 1.0
	v_fmac_f32_e32 v89, v90, v89
	s_delay_alu instid0(VALU_DEP_1) | instskip(NEXT) | instid1(VALU_DEP_1)
	v_mul_f32_e32 v90, v91, v89
	v_fma_f32 v92, -v82, v90, v91
	s_delay_alu instid0(VALU_DEP_1) | instskip(NEXT) | instid1(VALU_DEP_1)
	v_fmac_f32_e32 v90, v92, v89
	v_fma_f32 v82, -v82, v90, v91
	s_delay_alu instid0(VALU_DEP_1) | instskip(NEXT) | instid1(VALU_DEP_1)
	v_div_fmas_f32 v82, v82, v89, v90
	v_div_fixup_f32 v83, v82, v83, 1.0
	s_delay_alu instid0(VALU_DEP_1)
	v_mul_f32_e32 v82, v81, v83
	v_xor_b32_e32 v83, 0x80000000, v83
.LBB72_175:
	s_and_not1_saveexec_b32 s1, s1
	s_cbranch_execz .LBB72_177
; %bb.176:
	s_delay_alu instid0(VALU_DEP_1) | instskip(SKIP_1) | instid1(VALU_DEP_2)
	v_div_scale_f32 v81, null, v82, v82, v83
	v_div_scale_f32 v91, vcc_lo, v83, v82, v83
	v_rcp_f32_e32 v89, v81
	v_nop
	s_delay_alu instid0(TRANS32_DEP_1) | instskip(NEXT) | instid1(VALU_DEP_1)
	v_fma_f32 v90, -v81, v89, 1.0
	v_fmac_f32_e32 v89, v90, v89
	s_delay_alu instid0(VALU_DEP_1) | instskip(NEXT) | instid1(VALU_DEP_1)
	v_mul_f32_e32 v90, v91, v89
	v_fma_f32 v92, -v81, v90, v91
	s_delay_alu instid0(VALU_DEP_1) | instskip(NEXT) | instid1(VALU_DEP_1)
	v_fmac_f32_e32 v90, v92, v89
	v_fma_f32 v81, -v81, v90, v91
	s_delay_alu instid0(VALU_DEP_1) | instskip(NEXT) | instid1(VALU_DEP_1)
	v_div_fmas_f32 v81, v81, v89, v90
	v_div_fixup_f32 v81, v81, v82, v83
	s_delay_alu instid0(VALU_DEP_1) | instskip(NEXT) | instid1(VALU_DEP_1)
	v_fmac_f32_e32 v82, v83, v81
	v_div_scale_f32 v83, null, v82, v82, 1.0
	s_delay_alu instid0(VALU_DEP_1) | instskip(SKIP_1) | instid1(TRANS32_DEP_1)
	v_rcp_f32_e32 v89, v83
	v_nop
	v_fma_f32 v90, -v83, v89, 1.0
	s_delay_alu instid0(VALU_DEP_1) | instskip(SKIP_1) | instid1(VALU_DEP_1)
	v_fmac_f32_e32 v89, v90, v89
	v_div_scale_f32 v90, vcc_lo, 1.0, v82, 1.0
	v_mul_f32_e32 v91, v90, v89
	s_delay_alu instid0(VALU_DEP_1) | instskip(NEXT) | instid1(VALU_DEP_1)
	v_fma_f32 v92, -v83, v91, v90
	v_fmac_f32_e32 v91, v92, v89
	s_delay_alu instid0(VALU_DEP_1) | instskip(NEXT) | instid1(VALU_DEP_1)
	v_fma_f32 v83, -v83, v91, v90
	v_div_fmas_f32 v83, v83, v89, v91
	s_delay_alu instid0(VALU_DEP_1) | instskip(NEXT) | instid1(VALU_DEP_1)
	v_div_fixup_f32 v82, v83, v82, 1.0
	v_mul_f32_e64 v83, v81, -v82
.LBB72_177:
	s_or_b32 exec_lo, exec_lo, s1
.LBB72_178:
	s_delay_alu instid0(SALU_CYCLE_1) | instskip(NEXT) | instid1(SALU_CYCLE_1)
	s_or_b32 exec_lo, exec_lo, s0
	s_mov_b32 s0, exec_lo
	v_cmpx_ne_u32_e64 v88, v80
	s_xor_b32 s0, exec_lo, s0
	s_cbranch_execz .LBB72_184
; %bb.179:
	s_mov_b32 s1, exec_lo
	v_cmpx_eq_u32_e32 8, v88
	s_cbranch_execz .LBB72_183
; %bb.180:
	v_cmp_ne_u32_e32 vcc_lo, 8, v80
	s_xor_b32 s12, s16, -1
	s_delay_alu instid0(SALU_CYCLE_1) | instskip(NEXT) | instid1(SALU_CYCLE_1)
	s_and_b32 s13, s12, vcc_lo
	s_and_saveexec_b32 s12, s13
	s_cbranch_execz .LBB72_182
; %bb.181:
	v_ashrrev_i32_e32 v81, 31, v80
	s_delay_alu instid0(VALU_DEP_1)
	v_lshl_add_u64 v[88:89], v[80:81], 2, v[4:5]
	s_clause 0x1
	global_load_b32 v81, v[88:89], off
	global_load_b32 v87, v[4:5], off offset:32
	s_wait_loadcnt 0x1
	global_store_b32 v[4:5], v81, off offset:32
	s_wait_loadcnt 0x0
	global_store_b32 v[88:89], v87, off
.LBB72_182:
	s_wait_xcnt 0x0
	s_or_b32 exec_lo, exec_lo, s12
	v_dual_mov_b32 v88, v80 :: v_dual_mov_b32 v87, v80
.LBB72_183:
	s_or_b32 exec_lo, exec_lo, s1
.LBB72_184:
	s_and_not1_saveexec_b32 s0, s0
	s_cbranch_execz .LBB72_186
; %bb.185:
	v_mov_b32_e32 v88, 8
	ds_store_2addr_b64 v84, v[28:29], v[30:31] offset0:9 offset1:10
	ds_store_2addr_b64 v84, v[26:27], v[42:43] offset0:11 offset1:12
	;; [unrolled: 1-line block ×14, first 2 shown]
.LBB72_186:
	s_or_b32 exec_lo, exec_lo, s0
	s_delay_alu instid0(SALU_CYCLE_1)
	s_mov_b32 s0, exec_lo
	s_wait_storecnt_dscnt 0x0
	s_barrier_signal -1
	s_barrier_wait -1
	v_cmpx_lt_i32_e32 8, v88
	s_cbranch_execz .LBB72_188
; %bb.187:
	v_pk_mul_f32 v[90:91], v[82:83], v[32:33] op_sel:[1,1] op_sel_hi:[0,1]
	s_delay_alu instid0(VALU_DEP_1)
	v_pk_fma_f32 v[80:81], v[82:83], v[32:33], v[90:91] op_sel_hi:[1,0,1] neg_lo:[0,0,1] neg_hi:[0,0,1]
	v_pk_fma_f32 v[82:83], v[82:83], v[32:33], v[90:91] op_sel_hi:[1,0,1]
	ds_load_2addr_b64 v[90:93], v84 offset0:9 offset1:10
	v_dual_mov_b32 v32, v80 :: v_dual_mov_b32 v33, v83
	s_wait_dscnt 0x0
	v_pk_mul_f32 v[94:95], v[90:91], v[82:83] op_sel:[0,1]
	s_delay_alu instid0(VALU_DEP_1) | instskip(SKIP_1) | instid1(VALU_DEP_1)
	v_pk_fma_f32 v[96:97], v[90:91], v[80:81], v[94:95] op_sel:[0,0,1] op_sel_hi:[1,1,0] neg_lo:[0,0,1] neg_hi:[0,0,1]
	v_pk_fma_f32 v[90:91], v[90:91], v[80:81], v[94:95] op_sel:[0,0,1] op_sel_hi:[1,0,0]
	v_mov_b32_e32 v97, v91
	v_pk_mul_f32 v[90:91], v[92:93], v[82:83] op_sel:[0,1]
	s_delay_alu instid0(VALU_DEP_1) | instskip(SKIP_1) | instid1(VALU_DEP_1)
	v_pk_fma_f32 v[94:95], v[92:93], v[80:81], v[90:91] op_sel:[0,0,1] op_sel_hi:[1,1,0] neg_lo:[0,0,1] neg_hi:[0,0,1]
	v_pk_fma_f32 v[90:91], v[92:93], v[80:81], v[90:91] op_sel:[0,0,1] op_sel_hi:[1,0,0]
	v_mov_b32_e32 v95, v91
	ds_load_2addr_b64 v[90:93], v84 offset0:11 offset1:12
	v_pk_add_f32 v[28:29], v[28:29], v[96:97] neg_lo:[0,1] neg_hi:[0,1]
	v_pk_add_f32 v[30:31], v[30:31], v[94:95] neg_lo:[0,1] neg_hi:[0,1]
	s_wait_dscnt 0x0
	v_pk_mul_f32 v[94:95], v[90:91], v[82:83] op_sel:[0,1]
	s_delay_alu instid0(VALU_DEP_1) | instskip(SKIP_2) | instid1(VALU_DEP_2)
	v_pk_fma_f32 v[96:97], v[90:91], v[80:81], v[94:95] op_sel:[0,0,1] op_sel_hi:[1,1,0] neg_lo:[0,0,1] neg_hi:[0,0,1]
	v_pk_fma_f32 v[90:91], v[90:91], v[80:81], v[94:95] op_sel:[0,0,1] op_sel_hi:[1,0,0]
	v_dual_mul_f32 v94, v93, v83 :: v_dual_mov_b32 v90, v93
	v_dual_mov_b32 v97, v91 :: v_dual_mov_b32 v91, v92
	s_delay_alu instid0(VALU_DEP_2) | instskip(SKIP_1) | instid1(VALU_DEP_3)
	v_pk_fma_f32 v[94:95], v[92:93], v[32:33], v[94:95] op_sel_hi:[1,1,0] neg_lo:[0,0,1] neg_hi:[0,0,1]
	v_mul_f32_e32 v92, v93, v80
	v_pk_add_f32 v[26:27], v[26:27], v[96:97] neg_lo:[0,1] neg_hi:[0,1]
	s_delay_alu instid0(VALU_DEP_2) | instskip(NEXT) | instid1(VALU_DEP_1)
	v_pk_fma_f32 v[90:91], v[90:91], v[32:33], v[92:93] op_sel_hi:[1,1,0]
	v_mov_b32_e32 v95, v91
	ds_load_2addr_b64 v[90:93], v84 offset0:13 offset1:14
	v_pk_add_f32 v[42:43], v[42:43], v[94:95] neg_lo:[0,1] neg_hi:[0,1]
	s_wait_dscnt 0x0
	v_pk_mul_f32 v[94:95], v[90:91], v[82:83] op_sel:[0,1]
	s_delay_alu instid0(VALU_DEP_1) | instskip(SKIP_1) | instid1(VALU_DEP_1)
	v_pk_fma_f32 v[96:97], v[90:91], v[80:81], v[94:95] op_sel:[0,0,1] op_sel_hi:[1,1,0] neg_lo:[0,0,1] neg_hi:[0,0,1]
	v_pk_fma_f32 v[90:91], v[90:91], v[80:81], v[94:95] op_sel:[0,0,1] op_sel_hi:[1,0,0]
	v_mov_b32_e32 v97, v91
	v_pk_mul_f32 v[90:91], v[92:93], v[82:83] op_sel:[0,1]
	s_delay_alu instid0(VALU_DEP_1) | instskip(SKIP_1) | instid1(VALU_DEP_1)
	v_pk_fma_f32 v[94:95], v[92:93], v[80:81], v[90:91] op_sel:[0,0,1] op_sel_hi:[1,1,0] neg_lo:[0,0,1] neg_hi:[0,0,1]
	v_pk_fma_f32 v[90:91], v[92:93], v[80:81], v[90:91] op_sel:[0,0,1] op_sel_hi:[1,0,0]
	v_mov_b32_e32 v95, v91
	ds_load_2addr_b64 v[90:93], v84 offset0:15 offset1:16
	v_pk_add_f32 v[38:39], v[38:39], v[96:97] neg_lo:[0,1] neg_hi:[0,1]
	v_pk_add_f32 v[40:41], v[40:41], v[94:95] neg_lo:[0,1] neg_hi:[0,1]
	s_wait_dscnt 0x0
	v_pk_mul_f32 v[94:95], v[90:91], v[82:83] op_sel:[0,1]
	s_delay_alu instid0(VALU_DEP_1) | instskip(SKIP_1) | instid1(VALU_DEP_1)
	v_pk_fma_f32 v[96:97], v[90:91], v[80:81], v[94:95] op_sel:[0,0,1] op_sel_hi:[1,1,0] neg_lo:[0,0,1] neg_hi:[0,0,1]
	v_pk_fma_f32 v[90:91], v[90:91], v[80:81], v[94:95] op_sel:[0,0,1] op_sel_hi:[1,0,0]
	v_mov_b32_e32 v97, v91
	v_pk_mul_f32 v[90:91], v[92:93], v[82:83] op_sel:[0,1]
	s_delay_alu instid0(VALU_DEP_1) | instskip(SKIP_1) | instid1(VALU_DEP_1)
	v_pk_fma_f32 v[94:95], v[92:93], v[80:81], v[90:91] op_sel:[0,0,1] op_sel_hi:[1,1,0] neg_lo:[0,0,1] neg_hi:[0,0,1]
	v_pk_fma_f32 v[90:91], v[92:93], v[80:81], v[90:91] op_sel:[0,0,1] op_sel_hi:[1,0,0]
	v_mov_b32_e32 v95, v91
	ds_load_2addr_b64 v[90:93], v84 offset0:17 offset1:18
	v_pk_add_f32 v[36:37], v[36:37], v[96:97] neg_lo:[0,1] neg_hi:[0,1]
	v_pk_add_f32 v[68:69], v[68:69], v[94:95] neg_lo:[0,1] neg_hi:[0,1]
	s_wait_dscnt 0x0
	v_dual_mul_f32 v94, v91, v83 :: v_dual_mul_f32 v96, v91, v80
	s_delay_alu instid0(VALU_DEP_1) | instskip(NEXT) | instid1(VALU_DEP_2)
	v_pk_fma_f32 v[94:95], v[90:91], v[32:33], v[94:95] op_sel_hi:[1,1,0] neg_lo:[0,0,1] neg_hi:[0,0,1]
	v_pk_fma_f32 v[90:91], v[90:91], v[32:33], v[96:97] op_sel:[1,0,0] op_sel_hi:[0,1,0]
	s_delay_alu instid0(VALU_DEP_1) | instskip(SKIP_1) | instid1(VALU_DEP_2)
	v_mov_b32_e32 v95, v91
	v_pk_mul_f32 v[90:91], v[92:93], v[82:83] op_sel:[0,1]
	v_pk_add_f32 v[64:65], v[64:65], v[94:95] neg_lo:[0,1] neg_hi:[0,1]
	s_delay_alu instid0(VALU_DEP_2) | instskip(SKIP_1) | instid1(VALU_DEP_1)
	v_pk_fma_f32 v[94:95], v[92:93], v[80:81], v[90:91] op_sel:[0,0,1] op_sel_hi:[1,1,0] neg_lo:[0,0,1] neg_hi:[0,0,1]
	v_pk_fma_f32 v[90:91], v[92:93], v[80:81], v[90:91] op_sel:[0,0,1] op_sel_hi:[1,0,0]
	v_mov_b32_e32 v95, v91
	ds_load_2addr_b64 v[90:93], v84 offset0:19 offset1:20
	v_pk_add_f32 v[66:67], v[66:67], v[94:95] neg_lo:[0,1] neg_hi:[0,1]
	s_wait_dscnt 0x0
	v_pk_mul_f32 v[94:95], v[90:91], v[82:83] op_sel:[0,1]
	s_delay_alu instid0(VALU_DEP_1) | instskip(SKIP_1) | instid1(VALU_DEP_1)
	v_pk_fma_f32 v[96:97], v[90:91], v[80:81], v[94:95] op_sel:[0,0,1] op_sel_hi:[1,1,0] neg_lo:[0,0,1] neg_hi:[0,0,1]
	v_pk_fma_f32 v[90:91], v[90:91], v[80:81], v[94:95] op_sel:[0,0,1] op_sel_hi:[1,0,0]
	v_mov_b32_e32 v97, v91
	v_pk_mul_f32 v[90:91], v[92:93], v[82:83] op_sel:[0,1]
	s_delay_alu instid0(VALU_DEP_2) | instskip(NEXT) | instid1(VALU_DEP_2)
	v_pk_add_f32 v[62:63], v[62:63], v[96:97] neg_lo:[0,1] neg_hi:[0,1]
	v_pk_fma_f32 v[94:95], v[92:93], v[80:81], v[90:91] op_sel:[0,0,1] op_sel_hi:[1,1,0] neg_lo:[0,0,1] neg_hi:[0,0,1]
	v_pk_fma_f32 v[90:91], v[92:93], v[80:81], v[90:91] op_sel:[0,0,1] op_sel_hi:[1,0,0]
	s_delay_alu instid0(VALU_DEP_1) | instskip(SKIP_4) | instid1(VALU_DEP_1)
	v_mov_b32_e32 v95, v91
	ds_load_2addr_b64 v[90:93], v84 offset0:21 offset1:22
	v_pk_add_f32 v[60:61], v[60:61], v[94:95] neg_lo:[0,1] neg_hi:[0,1]
	s_wait_dscnt 0x0
	v_pk_mul_f32 v[94:95], v[90:91], v[82:83] op_sel:[0,1]
	v_pk_fma_f32 v[96:97], v[90:91], v[80:81], v[94:95] op_sel:[0,0,1] op_sel_hi:[1,1,0] neg_lo:[0,0,1] neg_hi:[0,0,1]
	v_pk_fma_f32 v[90:91], v[90:91], v[80:81], v[94:95] op_sel:[0,0,1] op_sel_hi:[1,0,0]
	v_dual_mul_f32 v94, v93, v83 :: v_dual_mov_b32 v90, v93
	s_delay_alu instid0(VALU_DEP_2) | instskip(NEXT) | instid1(VALU_DEP_2)
	v_dual_mov_b32 v97, v91 :: v_dual_mov_b32 v91, v92
	v_pk_fma_f32 v[94:95], v[92:93], v[32:33], v[94:95] op_sel_hi:[1,1,0] neg_lo:[0,0,1] neg_hi:[0,0,1]
	v_mul_f32_e32 v92, v93, v80
	s_delay_alu instid0(VALU_DEP_3) | instskip(NEXT) | instid1(VALU_DEP_2)
	v_pk_add_f32 v[56:57], v[56:57], v[96:97] neg_lo:[0,1] neg_hi:[0,1]
	v_pk_fma_f32 v[90:91], v[90:91], v[32:33], v[92:93] op_sel_hi:[1,1,0]
	s_delay_alu instid0(VALU_DEP_1) | instskip(SKIP_4) | instid1(VALU_DEP_1)
	v_mov_b32_e32 v95, v91
	ds_load_2addr_b64 v[90:93], v84 offset0:23 offset1:24
	v_pk_add_f32 v[58:59], v[58:59], v[94:95] neg_lo:[0,1] neg_hi:[0,1]
	s_wait_dscnt 0x0
	v_pk_mul_f32 v[94:95], v[90:91], v[82:83] op_sel:[0,1]
	v_pk_fma_f32 v[96:97], v[90:91], v[80:81], v[94:95] op_sel:[0,0,1] op_sel_hi:[1,1,0] neg_lo:[0,0,1] neg_hi:[0,0,1]
	v_pk_fma_f32 v[90:91], v[90:91], v[80:81], v[94:95] op_sel:[0,0,1] op_sel_hi:[1,0,0]
	s_delay_alu instid0(VALU_DEP_1) | instskip(SKIP_1) | instid1(VALU_DEP_1)
	v_mov_b32_e32 v97, v91
	v_pk_mul_f32 v[90:91], v[92:93], v[82:83] op_sel:[0,1]
	v_pk_fma_f32 v[94:95], v[92:93], v[80:81], v[90:91] op_sel:[0,0,1] op_sel_hi:[1,1,0] neg_lo:[0,0,1] neg_hi:[0,0,1]
	v_pk_fma_f32 v[90:91], v[92:93], v[80:81], v[90:91] op_sel:[0,0,1] op_sel_hi:[1,0,0]
	s_delay_alu instid0(VALU_DEP_1)
	v_mov_b32_e32 v95, v91
	ds_load_2addr_b64 v[90:93], v84 offset0:25 offset1:26
	v_pk_add_f32 v[54:55], v[54:55], v[96:97] neg_lo:[0,1] neg_hi:[0,1]
	v_pk_add_f32 v[50:51], v[50:51], v[94:95] neg_lo:[0,1] neg_hi:[0,1]
	s_wait_dscnt 0x0
	v_pk_mul_f32 v[94:95], v[90:91], v[82:83] op_sel:[0,1]
	s_delay_alu instid0(VALU_DEP_1) | instskip(SKIP_1) | instid1(VALU_DEP_1)
	v_pk_fma_f32 v[96:97], v[90:91], v[80:81], v[94:95] op_sel:[0,0,1] op_sel_hi:[1,1,0] neg_lo:[0,0,1] neg_hi:[0,0,1]
	v_pk_fma_f32 v[90:91], v[90:91], v[80:81], v[94:95] op_sel:[0,0,1] op_sel_hi:[1,0,0]
	v_mov_b32_e32 v97, v91
	v_pk_mul_f32 v[90:91], v[92:93], v[82:83] op_sel:[0,1]
	s_delay_alu instid0(VALU_DEP_1) | instskip(SKIP_1) | instid1(VALU_DEP_1)
	v_pk_fma_f32 v[94:95], v[92:93], v[80:81], v[90:91] op_sel:[0,0,1] op_sel_hi:[1,1,0] neg_lo:[0,0,1] neg_hi:[0,0,1]
	v_pk_fma_f32 v[90:91], v[92:93], v[80:81], v[90:91] op_sel:[0,0,1] op_sel_hi:[1,0,0]
	v_mov_b32_e32 v95, v91
	ds_load_2addr_b64 v[90:93], v84 offset0:27 offset1:28
	v_pk_add_f32 v[46:47], v[46:47], v[96:97] neg_lo:[0,1] neg_hi:[0,1]
	v_pk_add_f32 v[48:49], v[48:49], v[94:95] neg_lo:[0,1] neg_hi:[0,1]
	s_wait_dscnt 0x0
	v_dual_mul_f32 v94, v91, v83 :: v_dual_mul_f32 v96, v91, v80
	s_delay_alu instid0(VALU_DEP_1) | instskip(NEXT) | instid1(VALU_DEP_2)
	v_pk_fma_f32 v[94:95], v[90:91], v[32:33], v[94:95] op_sel_hi:[1,1,0] neg_lo:[0,0,1] neg_hi:[0,0,1]
	v_pk_fma_f32 v[90:91], v[90:91], v[32:33], v[96:97] op_sel:[1,0,0] op_sel_hi:[0,1,0]
	s_delay_alu instid0(VALU_DEP_1) | instskip(SKIP_1) | instid1(VALU_DEP_2)
	v_mov_b32_e32 v95, v91
	v_pk_mul_f32 v[90:91], v[92:93], v[82:83] op_sel:[0,1]
	v_pk_add_f32 v[44:45], v[44:45], v[94:95] neg_lo:[0,1] neg_hi:[0,1]
	s_delay_alu instid0(VALU_DEP_2) | instskip(SKIP_1) | instid1(VALU_DEP_1)
	v_pk_fma_f32 v[94:95], v[92:93], v[80:81], v[90:91] op_sel:[0,0,1] op_sel_hi:[1,1,0] neg_lo:[0,0,1] neg_hi:[0,0,1]
	v_pk_fma_f32 v[90:91], v[92:93], v[80:81], v[90:91] op_sel:[0,0,1] op_sel_hi:[1,0,0]
	v_mov_b32_e32 v95, v91
	ds_load_2addr_b64 v[90:93], v84 offset0:29 offset1:30
	v_pk_add_f32 v[14:15], v[14:15], v[94:95] neg_lo:[0,1] neg_hi:[0,1]
	s_wait_dscnt 0x0
	v_pk_mul_f32 v[94:95], v[90:91], v[82:83] op_sel:[0,1]
	s_delay_alu instid0(VALU_DEP_1) | instskip(SKIP_1) | instid1(VALU_DEP_1)
	v_pk_fma_f32 v[96:97], v[90:91], v[80:81], v[94:95] op_sel:[0,0,1] op_sel_hi:[1,1,0] neg_lo:[0,0,1] neg_hi:[0,0,1]
	v_pk_fma_f32 v[90:91], v[90:91], v[80:81], v[94:95] op_sel:[0,0,1] op_sel_hi:[1,0,0]
	v_mov_b32_e32 v97, v91
	v_pk_mul_f32 v[90:91], v[92:93], v[82:83] op_sel:[0,1]
	s_delay_alu instid0(VALU_DEP_2) | instskip(NEXT) | instid1(VALU_DEP_2)
	v_pk_add_f32 v[10:11], v[10:11], v[96:97] neg_lo:[0,1] neg_hi:[0,1]
	v_pk_fma_f32 v[94:95], v[92:93], v[80:81], v[90:91] op_sel:[0,0,1] op_sel_hi:[1,1,0] neg_lo:[0,0,1] neg_hi:[0,0,1]
	v_pk_fma_f32 v[90:91], v[92:93], v[80:81], v[90:91] op_sel:[0,0,1] op_sel_hi:[1,0,0]
	s_delay_alu instid0(VALU_DEP_1) | instskip(SKIP_4) | instid1(VALU_DEP_1)
	v_mov_b32_e32 v95, v91
	ds_load_2addr_b64 v[90:93], v84 offset0:31 offset1:32
	v_pk_add_f32 v[12:13], v[12:13], v[94:95] neg_lo:[0,1] neg_hi:[0,1]
	s_wait_dscnt 0x0
	v_pk_mul_f32 v[94:95], v[90:91], v[82:83] op_sel:[0,1]
	v_pk_fma_f32 v[96:97], v[90:91], v[80:81], v[94:95] op_sel:[0,0,1] op_sel_hi:[1,1,0] neg_lo:[0,0,1] neg_hi:[0,0,1]
	v_pk_fma_f32 v[90:91], v[90:91], v[80:81], v[94:95] op_sel:[0,0,1] op_sel_hi:[1,0,0]
	v_dual_mul_f32 v94, v93, v83 :: v_dual_mov_b32 v90, v93
	s_delay_alu instid0(VALU_DEP_2) | instskip(NEXT) | instid1(VALU_DEP_2)
	v_dual_mov_b32 v97, v91 :: v_dual_mov_b32 v91, v92
	v_pk_fma_f32 v[94:95], v[92:93], v[32:33], v[94:95] op_sel_hi:[1,1,0] neg_lo:[0,0,1] neg_hi:[0,0,1]
	v_mul_f32_e32 v92, v93, v80
	s_delay_alu instid0(VALU_DEP_3) | instskip(NEXT) | instid1(VALU_DEP_2)
	v_pk_add_f32 v[8:9], v[8:9], v[96:97] neg_lo:[0,1] neg_hi:[0,1]
	v_pk_fma_f32 v[90:91], v[90:91], v[32:33], v[92:93] op_sel_hi:[1,1,0]
	s_delay_alu instid0(VALU_DEP_1) | instskip(SKIP_4) | instid1(VALU_DEP_1)
	v_mov_b32_e32 v95, v91
	ds_load_2addr_b64 v[90:93], v84 offset0:33 offset1:34
	v_pk_add_f32 v[6:7], v[6:7], v[94:95] neg_lo:[0,1] neg_hi:[0,1]
	s_wait_dscnt 0x0
	v_pk_mul_f32 v[94:95], v[90:91], v[82:83] op_sel:[0,1]
	v_pk_fma_f32 v[96:97], v[90:91], v[80:81], v[94:95] op_sel:[0,0,1] op_sel_hi:[1,1,0] neg_lo:[0,0,1] neg_hi:[0,0,1]
	v_pk_fma_f32 v[90:91], v[90:91], v[80:81], v[94:95] op_sel:[0,0,1] op_sel_hi:[1,0,0]
	s_delay_alu instid0(VALU_DEP_1) | instskip(SKIP_1) | instid1(VALU_DEP_1)
	v_mov_b32_e32 v97, v91
	v_pk_mul_f32 v[90:91], v[92:93], v[82:83] op_sel:[0,1]
	v_pk_fma_f32 v[94:95], v[92:93], v[80:81], v[90:91] op_sel:[0,0,1] op_sel_hi:[1,1,0] neg_lo:[0,0,1] neg_hi:[0,0,1]
	v_pk_fma_f32 v[90:91], v[92:93], v[80:81], v[90:91] op_sel:[0,0,1] op_sel_hi:[1,0,0]
	s_delay_alu instid0(VALU_DEP_1)
	v_mov_b32_e32 v95, v91
	ds_load_2addr_b64 v[90:93], v84 offset0:35 offset1:36
	v_pk_add_f32 v[52:53], v[52:53], v[96:97] neg_lo:[0,1] neg_hi:[0,1]
	v_pk_add_f32 v[34:35], v[34:35], v[94:95] neg_lo:[0,1] neg_hi:[0,1]
	s_wait_dscnt 0x0
	v_pk_mul_f32 v[94:95], v[90:91], v[82:83] op_sel:[0,1]
	v_pk_mul_f32 v[82:83], v[92:93], v[82:83] op_sel:[0,1]
	s_delay_alu instid0(VALU_DEP_2) | instskip(SKIP_1) | instid1(VALU_DEP_1)
	v_pk_fma_f32 v[96:97], v[90:91], v[80:81], v[94:95] op_sel:[0,0,1] op_sel_hi:[1,1,0] neg_lo:[0,0,1] neg_hi:[0,0,1]
	v_pk_fma_f32 v[90:91], v[90:91], v[80:81], v[94:95] op_sel:[0,0,1] op_sel_hi:[1,0,0]
	v_mov_b32_e32 v97, v91
	s_delay_alu instid0(VALU_DEP_4) | instskip(SKIP_1) | instid1(VALU_DEP_1)
	v_pk_fma_f32 v[90:91], v[92:93], v[80:81], v[82:83] op_sel:[0,0,1] op_sel_hi:[1,1,0] neg_lo:[0,0,1] neg_hi:[0,0,1]
	v_pk_fma_f32 v[80:81], v[92:93], v[80:81], v[82:83] op_sel:[0,0,1] op_sel_hi:[1,0,0]
	v_mov_b32_e32 v91, v81
	s_delay_alu instid0(VALU_DEP_4) | instskip(NEXT) | instid1(VALU_DEP_2)
	v_pk_add_f32 v[16:17], v[16:17], v[96:97] neg_lo:[0,1] neg_hi:[0,1]
	v_pk_add_f32 v[78:79], v[78:79], v[90:91] neg_lo:[0,1] neg_hi:[0,1]
.LBB72_188:
	s_or_b32 exec_lo, exec_lo, s0
	v_lshl_add_u32 v80, v88, 3, v84
	s_barrier_signal -1
	s_barrier_wait -1
	ds_store_b64 v80, v[28:29]
	s_wait_dscnt 0x0
	s_barrier_signal -1
	s_barrier_wait -1
	ds_load_b64 v[82:83], v84 offset:72
	v_mov_b32_e32 v80, 9
	s_cmp_lt_i32 s18, 11
	s_cbranch_scc1 .LBB72_191
; %bb.189:
	v_add3_u32 v81, v85, 0, 0x50
	v_mov_b32_e32 v80, 9
	s_mov_b32 s0, 10
.LBB72_190:                             ; =>This Inner Loop Header: Depth=1
	ds_load_b64 v[90:91], v81
	s_wait_dscnt 0x1
	v_cmp_gt_f32_e32 vcc_lo, 0, v82
	v_cndmask_b32_e64 v92, v82, -v82, vcc_lo
	v_cmp_gt_f32_e32 vcc_lo, 0, v83
	v_cndmask_b32_e64 v94, v83, -v83, vcc_lo
	s_wait_dscnt 0x0
	v_cmp_gt_f32_e32 vcc_lo, 0, v90
	v_cndmask_b32_e64 v93, v90, -v90, vcc_lo
	v_cmp_gt_f32_e32 vcc_lo, 0, v91
	v_cndmask_b32_e64 v95, v91, -v91, vcc_lo
	s_delay_alu instid0(VALU_DEP_1) | instskip(NEXT) | instid1(VALU_DEP_1)
	v_pk_add_f32 v[92:93], v[92:93], v[94:95]
	v_cmp_lt_f32_e32 vcc_lo, v92, v93
	v_dual_add_nc_u32 v81, 8, v81 :: v_dual_cndmask_b32 v83, v83, v91, vcc_lo
	v_cndmask_b32_e32 v82, v82, v90, vcc_lo
	v_cndmask_b32_e64 v80, v80, s0, vcc_lo
	s_add_co_i32 s0, s0, 1
	s_delay_alu instid0(SALU_CYCLE_1)
	s_cmp_lg_u32 s18, s0
	s_cbranch_scc1 .LBB72_190
.LBB72_191:
	s_wait_dscnt 0x0
	v_cmp_eq_f32_e32 vcc_lo, 0, v82
	v_cmp_eq_f32_e64 s0, 0, v83
	s_and_b32 s0, vcc_lo, s0
	s_delay_alu instid0(SALU_CYCLE_1) | instskip(NEXT) | instid1(SALU_CYCLE_1)
	s_and_saveexec_b32 s1, s0
	s_xor_b32 s0, exec_lo, s1
; %bb.192:
	v_cmp_ne_u32_e32 vcc_lo, 0, v86
	v_cndmask_b32_e32 v86, 10, v86, vcc_lo
; %bb.193:
	s_and_not1_saveexec_b32 s0, s0
	s_cbranch_execz .LBB72_199
; %bb.194:
	v_cmp_ngt_f32_e64 s1, |v82|, |v83|
	s_and_saveexec_b32 s12, s1
	s_delay_alu instid0(SALU_CYCLE_1)
	s_xor_b32 s1, exec_lo, s12
	s_cbranch_execz .LBB72_196
; %bb.195:
	v_div_scale_f32 v81, null, v83, v83, v82
	v_div_scale_f32 v91, vcc_lo, v82, v83, v82
	s_delay_alu instid0(VALU_DEP_2) | instskip(SKIP_1) | instid1(TRANS32_DEP_1)
	v_rcp_f32_e32 v89, v81
	v_nop
	v_fma_f32 v90, -v81, v89, 1.0
	s_delay_alu instid0(VALU_DEP_1) | instskip(NEXT) | instid1(VALU_DEP_1)
	v_fmac_f32_e32 v89, v90, v89
	v_mul_f32_e32 v90, v91, v89
	s_delay_alu instid0(VALU_DEP_1) | instskip(NEXT) | instid1(VALU_DEP_1)
	v_fma_f32 v92, -v81, v90, v91
	v_fmac_f32_e32 v90, v92, v89
	s_delay_alu instid0(VALU_DEP_1) | instskip(NEXT) | instid1(VALU_DEP_1)
	v_fma_f32 v81, -v81, v90, v91
	v_div_fmas_f32 v81, v81, v89, v90
	s_delay_alu instid0(VALU_DEP_1) | instskip(NEXT) | instid1(VALU_DEP_1)
	v_div_fixup_f32 v81, v81, v83, v82
	v_fmac_f32_e32 v83, v82, v81
	s_delay_alu instid0(VALU_DEP_1) | instskip(SKIP_1) | instid1(VALU_DEP_2)
	v_div_scale_f32 v82, null, v83, v83, 1.0
	v_div_scale_f32 v91, vcc_lo, 1.0, v83, 1.0
	v_rcp_f32_e32 v89, v82
	v_nop
	s_delay_alu instid0(TRANS32_DEP_1) | instskip(NEXT) | instid1(VALU_DEP_1)
	v_fma_f32 v90, -v82, v89, 1.0
	v_fmac_f32_e32 v89, v90, v89
	s_delay_alu instid0(VALU_DEP_1) | instskip(NEXT) | instid1(VALU_DEP_1)
	v_mul_f32_e32 v90, v91, v89
	v_fma_f32 v92, -v82, v90, v91
	s_delay_alu instid0(VALU_DEP_1) | instskip(NEXT) | instid1(VALU_DEP_1)
	v_fmac_f32_e32 v90, v92, v89
	v_fma_f32 v82, -v82, v90, v91
	s_delay_alu instid0(VALU_DEP_1) | instskip(NEXT) | instid1(VALU_DEP_1)
	v_div_fmas_f32 v82, v82, v89, v90
	v_div_fixup_f32 v83, v82, v83, 1.0
	s_delay_alu instid0(VALU_DEP_1)
	v_mul_f32_e32 v82, v81, v83
	v_xor_b32_e32 v83, 0x80000000, v83
.LBB72_196:
	s_and_not1_saveexec_b32 s1, s1
	s_cbranch_execz .LBB72_198
; %bb.197:
	s_delay_alu instid0(VALU_DEP_1) | instskip(SKIP_1) | instid1(VALU_DEP_2)
	v_div_scale_f32 v81, null, v82, v82, v83
	v_div_scale_f32 v91, vcc_lo, v83, v82, v83
	v_rcp_f32_e32 v89, v81
	v_nop
	s_delay_alu instid0(TRANS32_DEP_1) | instskip(NEXT) | instid1(VALU_DEP_1)
	v_fma_f32 v90, -v81, v89, 1.0
	v_fmac_f32_e32 v89, v90, v89
	s_delay_alu instid0(VALU_DEP_1) | instskip(NEXT) | instid1(VALU_DEP_1)
	v_mul_f32_e32 v90, v91, v89
	v_fma_f32 v92, -v81, v90, v91
	s_delay_alu instid0(VALU_DEP_1) | instskip(NEXT) | instid1(VALU_DEP_1)
	v_fmac_f32_e32 v90, v92, v89
	v_fma_f32 v81, -v81, v90, v91
	s_delay_alu instid0(VALU_DEP_1) | instskip(NEXT) | instid1(VALU_DEP_1)
	v_div_fmas_f32 v81, v81, v89, v90
	v_div_fixup_f32 v81, v81, v82, v83
	s_delay_alu instid0(VALU_DEP_1) | instskip(NEXT) | instid1(VALU_DEP_1)
	v_fmac_f32_e32 v82, v83, v81
	v_div_scale_f32 v83, null, v82, v82, 1.0
	s_delay_alu instid0(VALU_DEP_1) | instskip(SKIP_1) | instid1(TRANS32_DEP_1)
	v_rcp_f32_e32 v89, v83
	v_nop
	v_fma_f32 v90, -v83, v89, 1.0
	s_delay_alu instid0(VALU_DEP_1) | instskip(SKIP_1) | instid1(VALU_DEP_1)
	v_fmac_f32_e32 v89, v90, v89
	v_div_scale_f32 v90, vcc_lo, 1.0, v82, 1.0
	v_mul_f32_e32 v91, v90, v89
	s_delay_alu instid0(VALU_DEP_1) | instskip(NEXT) | instid1(VALU_DEP_1)
	v_fma_f32 v92, -v83, v91, v90
	v_fmac_f32_e32 v91, v92, v89
	s_delay_alu instid0(VALU_DEP_1) | instskip(NEXT) | instid1(VALU_DEP_1)
	v_fma_f32 v83, -v83, v91, v90
	v_div_fmas_f32 v83, v83, v89, v91
	s_delay_alu instid0(VALU_DEP_1) | instskip(NEXT) | instid1(VALU_DEP_1)
	v_div_fixup_f32 v82, v83, v82, 1.0
	v_mul_f32_e64 v83, v81, -v82
.LBB72_198:
	s_or_b32 exec_lo, exec_lo, s1
.LBB72_199:
	s_delay_alu instid0(SALU_CYCLE_1) | instskip(NEXT) | instid1(SALU_CYCLE_1)
	s_or_b32 exec_lo, exec_lo, s0
	s_mov_b32 s0, exec_lo
	v_cmpx_ne_u32_e64 v88, v80
	s_xor_b32 s0, exec_lo, s0
	s_cbranch_execz .LBB72_205
; %bb.200:
	s_mov_b32 s1, exec_lo
	v_cmpx_eq_u32_e32 9, v88
	s_cbranch_execz .LBB72_204
; %bb.201:
	v_cmp_ne_u32_e32 vcc_lo, 9, v80
	s_xor_b32 s12, s16, -1
	s_delay_alu instid0(SALU_CYCLE_1) | instskip(NEXT) | instid1(SALU_CYCLE_1)
	s_and_b32 s13, s12, vcc_lo
	s_and_saveexec_b32 s12, s13
	s_cbranch_execz .LBB72_203
; %bb.202:
	v_ashrrev_i32_e32 v81, 31, v80
	s_delay_alu instid0(VALU_DEP_1)
	v_lshl_add_u64 v[88:89], v[80:81], 2, v[4:5]
	s_clause 0x1
	global_load_b32 v81, v[88:89], off
	global_load_b32 v87, v[4:5], off offset:36
	s_wait_loadcnt 0x1
	global_store_b32 v[4:5], v81, off offset:36
	s_wait_loadcnt 0x0
	global_store_b32 v[88:89], v87, off
.LBB72_203:
	s_wait_xcnt 0x0
	s_or_b32 exec_lo, exec_lo, s12
	v_dual_mov_b32 v88, v80 :: v_dual_mov_b32 v87, v80
.LBB72_204:
	s_or_b32 exec_lo, exec_lo, s1
.LBB72_205:
	s_and_not1_saveexec_b32 s0, s0
	s_cbranch_execz .LBB72_207
; %bb.206:
	v_dual_mov_b32 v80, v30 :: v_dual_mov_b32 v81, v31
	v_dual_mov_b32 v88, v26 :: v_dual_mov_b32 v89, v27
	;; [unrolled: 1-line block ×4, first 2 shown]
	ds_store_2addr_b64 v84, v[80:81], v[88:89] offset0:10 offset1:11
	ds_store_2addr_b64 v84, v[90:91], v[92:93] offset0:12 offset1:13
	v_dual_mov_b32 v80, v40 :: v_dual_mov_b32 v81, v41
	v_dual_mov_b32 v88, v36 :: v_dual_mov_b32 v89, v37
	;; [unrolled: 1-line block ×12, first 2 shown]
	ds_store_2addr_b64 v84, v[80:81], v[88:89] offset0:14 offset1:15
	ds_store_2addr_b64 v84, v[90:91], v[92:93] offset0:16 offset1:17
	;; [unrolled: 1-line block ×6, first 2 shown]
	v_dual_mov_b32 v80, v48 :: v_dual_mov_b32 v81, v49
	v_dual_mov_b32 v88, v44 :: v_dual_mov_b32 v89, v45
	;; [unrolled: 1-line block ×6, first 2 shown]
	ds_store_2addr_b64 v84, v[80:81], v[88:89] offset0:26 offset1:27
	ds_store_2addr_b64 v84, v[90:91], v[92:93] offset0:28 offset1:29
	v_dual_mov_b32 v88, 9 :: v_dual_mov_b32 v98, v6
	v_dual_mov_b32 v99, v7 :: v_dual_mov_b32 v100, v52
	;; [unrolled: 1-line block ×4, first 2 shown]
	v_mov_b32_e32 v105, v17
	ds_store_2addr_b64 v84, v[94:95], v[96:97] offset0:30 offset1:31
	ds_store_2addr_b64 v84, v[98:99], v[100:101] offset0:32 offset1:33
	;; [unrolled: 1-line block ×3, first 2 shown]
	ds_store_b64 v84, v[78:79] offset:288
.LBB72_207:
	s_or_b32 exec_lo, exec_lo, s0
	s_delay_alu instid0(SALU_CYCLE_1)
	s_mov_b32 s0, exec_lo
	s_wait_storecnt_dscnt 0x0
	s_barrier_signal -1
	s_barrier_wait -1
	v_cmpx_lt_i32_e32 9, v88
	s_cbranch_execz .LBB72_209
; %bb.208:
	v_pk_mul_f32 v[90:91], v[82:83], v[28:29] op_sel:[1,1] op_sel_hi:[0,1]
	s_delay_alu instid0(VALU_DEP_1)
	v_pk_fma_f32 v[80:81], v[82:83], v[28:29], v[90:91] op_sel_hi:[1,0,1] neg_lo:[0,0,1] neg_hi:[0,0,1]
	v_pk_fma_f32 v[82:83], v[82:83], v[28:29], v[90:91] op_sel_hi:[1,0,1]
	ds_load_2addr_b64 v[90:93], v84 offset0:10 offset1:11
	v_dual_mov_b32 v28, v80 :: v_dual_mov_b32 v29, v83
	s_wait_dscnt 0x0
	v_pk_mul_f32 v[94:95], v[90:91], v[82:83] op_sel:[0,1]
	s_delay_alu instid0(VALU_DEP_1) | instskip(SKIP_1) | instid1(VALU_DEP_1)
	v_pk_fma_f32 v[96:97], v[90:91], v[80:81], v[94:95] op_sel:[0,0,1] op_sel_hi:[1,1,0] neg_lo:[0,0,1] neg_hi:[0,0,1]
	v_pk_fma_f32 v[90:91], v[90:91], v[80:81], v[94:95] op_sel:[0,0,1] op_sel_hi:[1,0,0]
	v_mov_b32_e32 v97, v91
	v_pk_mul_f32 v[90:91], v[92:93], v[82:83] op_sel:[0,1]
	s_delay_alu instid0(VALU_DEP_1) | instskip(SKIP_1) | instid1(VALU_DEP_1)
	v_pk_fma_f32 v[94:95], v[92:93], v[80:81], v[90:91] op_sel:[0,0,1] op_sel_hi:[1,1,0] neg_lo:[0,0,1] neg_hi:[0,0,1]
	v_pk_fma_f32 v[90:91], v[92:93], v[80:81], v[90:91] op_sel:[0,0,1] op_sel_hi:[1,0,0]
	v_mov_b32_e32 v95, v91
	ds_load_2addr_b64 v[90:93], v84 offset0:12 offset1:13
	v_pk_add_f32 v[30:31], v[30:31], v[96:97] neg_lo:[0,1] neg_hi:[0,1]
	v_pk_add_f32 v[26:27], v[26:27], v[94:95] neg_lo:[0,1] neg_hi:[0,1]
	s_wait_dscnt 0x0
	v_pk_mul_f32 v[94:95], v[90:91], v[82:83] op_sel:[0,1]
	s_delay_alu instid0(VALU_DEP_1) | instskip(SKIP_2) | instid1(VALU_DEP_2)
	v_pk_fma_f32 v[96:97], v[90:91], v[80:81], v[94:95] op_sel:[0,0,1] op_sel_hi:[1,1,0] neg_lo:[0,0,1] neg_hi:[0,0,1]
	v_pk_fma_f32 v[90:91], v[90:91], v[80:81], v[94:95] op_sel:[0,0,1] op_sel_hi:[1,0,0]
	v_dual_mul_f32 v94, v93, v83 :: v_dual_mov_b32 v90, v93
	v_dual_mov_b32 v97, v91 :: v_dual_mov_b32 v91, v92
	s_delay_alu instid0(VALU_DEP_2) | instskip(SKIP_1) | instid1(VALU_DEP_3)
	v_pk_fma_f32 v[94:95], v[92:93], v[28:29], v[94:95] op_sel_hi:[1,1,0] neg_lo:[0,0,1] neg_hi:[0,0,1]
	v_mul_f32_e32 v92, v93, v80
	v_pk_add_f32 v[42:43], v[42:43], v[96:97] neg_lo:[0,1] neg_hi:[0,1]
	s_delay_alu instid0(VALU_DEP_2) | instskip(NEXT) | instid1(VALU_DEP_1)
	v_pk_fma_f32 v[90:91], v[90:91], v[28:29], v[92:93] op_sel_hi:[1,1,0]
	v_mov_b32_e32 v95, v91
	ds_load_2addr_b64 v[90:93], v84 offset0:14 offset1:15
	v_pk_add_f32 v[38:39], v[38:39], v[94:95] neg_lo:[0,1] neg_hi:[0,1]
	s_wait_dscnt 0x0
	v_pk_mul_f32 v[94:95], v[90:91], v[82:83] op_sel:[0,1]
	s_delay_alu instid0(VALU_DEP_1) | instskip(SKIP_1) | instid1(VALU_DEP_1)
	v_pk_fma_f32 v[96:97], v[90:91], v[80:81], v[94:95] op_sel:[0,0,1] op_sel_hi:[1,1,0] neg_lo:[0,0,1] neg_hi:[0,0,1]
	v_pk_fma_f32 v[90:91], v[90:91], v[80:81], v[94:95] op_sel:[0,0,1] op_sel_hi:[1,0,0]
	v_mov_b32_e32 v97, v91
	v_pk_mul_f32 v[90:91], v[92:93], v[82:83] op_sel:[0,1]
	s_delay_alu instid0(VALU_DEP_1) | instskip(SKIP_1) | instid1(VALU_DEP_1)
	v_pk_fma_f32 v[94:95], v[92:93], v[80:81], v[90:91] op_sel:[0,0,1] op_sel_hi:[1,1,0] neg_lo:[0,0,1] neg_hi:[0,0,1]
	v_pk_fma_f32 v[90:91], v[92:93], v[80:81], v[90:91] op_sel:[0,0,1] op_sel_hi:[1,0,0]
	v_mov_b32_e32 v95, v91
	ds_load_2addr_b64 v[90:93], v84 offset0:16 offset1:17
	v_pk_add_f32 v[40:41], v[40:41], v[96:97] neg_lo:[0,1] neg_hi:[0,1]
	v_pk_add_f32 v[36:37], v[36:37], v[94:95] neg_lo:[0,1] neg_hi:[0,1]
	s_wait_dscnt 0x0
	v_pk_mul_f32 v[94:95], v[90:91], v[82:83] op_sel:[0,1]
	s_delay_alu instid0(VALU_DEP_1) | instskip(SKIP_1) | instid1(VALU_DEP_1)
	v_pk_fma_f32 v[96:97], v[90:91], v[80:81], v[94:95] op_sel:[0,0,1] op_sel_hi:[1,1,0] neg_lo:[0,0,1] neg_hi:[0,0,1]
	v_pk_fma_f32 v[90:91], v[90:91], v[80:81], v[94:95] op_sel:[0,0,1] op_sel_hi:[1,0,0]
	v_mov_b32_e32 v97, v91
	v_pk_mul_f32 v[90:91], v[92:93], v[82:83] op_sel:[0,1]
	s_delay_alu instid0(VALU_DEP_1) | instskip(SKIP_1) | instid1(VALU_DEP_1)
	v_pk_fma_f32 v[94:95], v[92:93], v[80:81], v[90:91] op_sel:[0,0,1] op_sel_hi:[1,1,0] neg_lo:[0,0,1] neg_hi:[0,0,1]
	v_pk_fma_f32 v[90:91], v[92:93], v[80:81], v[90:91] op_sel:[0,0,1] op_sel_hi:[1,0,0]
	v_mov_b32_e32 v95, v91
	ds_load_2addr_b64 v[90:93], v84 offset0:18 offset1:19
	v_pk_add_f32 v[68:69], v[68:69], v[96:97] neg_lo:[0,1] neg_hi:[0,1]
	v_pk_add_f32 v[64:65], v[64:65], v[94:95] neg_lo:[0,1] neg_hi:[0,1]
	s_wait_dscnt 0x0
	v_dual_mul_f32 v94, v91, v83 :: v_dual_mul_f32 v96, v91, v80
	s_delay_alu instid0(VALU_DEP_1) | instskip(NEXT) | instid1(VALU_DEP_2)
	v_pk_fma_f32 v[94:95], v[90:91], v[28:29], v[94:95] op_sel_hi:[1,1,0] neg_lo:[0,0,1] neg_hi:[0,0,1]
	v_pk_fma_f32 v[90:91], v[90:91], v[28:29], v[96:97] op_sel:[1,0,0] op_sel_hi:[0,1,0]
	s_delay_alu instid0(VALU_DEP_1) | instskip(SKIP_1) | instid1(VALU_DEP_2)
	v_mov_b32_e32 v95, v91
	v_pk_mul_f32 v[90:91], v[92:93], v[82:83] op_sel:[0,1]
	v_pk_add_f32 v[66:67], v[66:67], v[94:95] neg_lo:[0,1] neg_hi:[0,1]
	s_delay_alu instid0(VALU_DEP_2) | instskip(SKIP_1) | instid1(VALU_DEP_1)
	v_pk_fma_f32 v[94:95], v[92:93], v[80:81], v[90:91] op_sel:[0,0,1] op_sel_hi:[1,1,0] neg_lo:[0,0,1] neg_hi:[0,0,1]
	v_pk_fma_f32 v[90:91], v[92:93], v[80:81], v[90:91] op_sel:[0,0,1] op_sel_hi:[1,0,0]
	v_mov_b32_e32 v95, v91
	ds_load_2addr_b64 v[90:93], v84 offset0:20 offset1:21
	v_pk_add_f32 v[62:63], v[62:63], v[94:95] neg_lo:[0,1] neg_hi:[0,1]
	s_wait_dscnt 0x0
	v_pk_mul_f32 v[94:95], v[90:91], v[82:83] op_sel:[0,1]
	s_delay_alu instid0(VALU_DEP_1) | instskip(SKIP_1) | instid1(VALU_DEP_1)
	v_pk_fma_f32 v[96:97], v[90:91], v[80:81], v[94:95] op_sel:[0,0,1] op_sel_hi:[1,1,0] neg_lo:[0,0,1] neg_hi:[0,0,1]
	v_pk_fma_f32 v[90:91], v[90:91], v[80:81], v[94:95] op_sel:[0,0,1] op_sel_hi:[1,0,0]
	v_mov_b32_e32 v97, v91
	v_pk_mul_f32 v[90:91], v[92:93], v[82:83] op_sel:[0,1]
	s_delay_alu instid0(VALU_DEP_2) | instskip(NEXT) | instid1(VALU_DEP_2)
	v_pk_add_f32 v[60:61], v[60:61], v[96:97] neg_lo:[0,1] neg_hi:[0,1]
	v_pk_fma_f32 v[94:95], v[92:93], v[80:81], v[90:91] op_sel:[0,0,1] op_sel_hi:[1,1,0] neg_lo:[0,0,1] neg_hi:[0,0,1]
	v_pk_fma_f32 v[90:91], v[92:93], v[80:81], v[90:91] op_sel:[0,0,1] op_sel_hi:[1,0,0]
	s_delay_alu instid0(VALU_DEP_1) | instskip(SKIP_4) | instid1(VALU_DEP_1)
	v_mov_b32_e32 v95, v91
	ds_load_2addr_b64 v[90:93], v84 offset0:22 offset1:23
	v_pk_add_f32 v[56:57], v[56:57], v[94:95] neg_lo:[0,1] neg_hi:[0,1]
	s_wait_dscnt 0x0
	v_pk_mul_f32 v[94:95], v[90:91], v[82:83] op_sel:[0,1]
	v_pk_fma_f32 v[96:97], v[90:91], v[80:81], v[94:95] op_sel:[0,0,1] op_sel_hi:[1,1,0] neg_lo:[0,0,1] neg_hi:[0,0,1]
	v_pk_fma_f32 v[90:91], v[90:91], v[80:81], v[94:95] op_sel:[0,0,1] op_sel_hi:[1,0,0]
	v_dual_mul_f32 v94, v93, v83 :: v_dual_mov_b32 v90, v93
	s_delay_alu instid0(VALU_DEP_2) | instskip(NEXT) | instid1(VALU_DEP_2)
	v_dual_mov_b32 v97, v91 :: v_dual_mov_b32 v91, v92
	v_pk_fma_f32 v[94:95], v[92:93], v[28:29], v[94:95] op_sel_hi:[1,1,0] neg_lo:[0,0,1] neg_hi:[0,0,1]
	v_mul_f32_e32 v92, v93, v80
	s_delay_alu instid0(VALU_DEP_3) | instskip(NEXT) | instid1(VALU_DEP_2)
	v_pk_add_f32 v[58:59], v[58:59], v[96:97] neg_lo:[0,1] neg_hi:[0,1]
	v_pk_fma_f32 v[90:91], v[90:91], v[28:29], v[92:93] op_sel_hi:[1,1,0]
	s_delay_alu instid0(VALU_DEP_1) | instskip(SKIP_4) | instid1(VALU_DEP_1)
	v_mov_b32_e32 v95, v91
	ds_load_2addr_b64 v[90:93], v84 offset0:24 offset1:25
	v_pk_add_f32 v[54:55], v[54:55], v[94:95] neg_lo:[0,1] neg_hi:[0,1]
	s_wait_dscnt 0x0
	v_pk_mul_f32 v[94:95], v[90:91], v[82:83] op_sel:[0,1]
	v_pk_fma_f32 v[96:97], v[90:91], v[80:81], v[94:95] op_sel:[0,0,1] op_sel_hi:[1,1,0] neg_lo:[0,0,1] neg_hi:[0,0,1]
	v_pk_fma_f32 v[90:91], v[90:91], v[80:81], v[94:95] op_sel:[0,0,1] op_sel_hi:[1,0,0]
	s_delay_alu instid0(VALU_DEP_1) | instskip(SKIP_1) | instid1(VALU_DEP_1)
	v_mov_b32_e32 v97, v91
	v_pk_mul_f32 v[90:91], v[92:93], v[82:83] op_sel:[0,1]
	v_pk_fma_f32 v[94:95], v[92:93], v[80:81], v[90:91] op_sel:[0,0,1] op_sel_hi:[1,1,0] neg_lo:[0,0,1] neg_hi:[0,0,1]
	v_pk_fma_f32 v[90:91], v[92:93], v[80:81], v[90:91] op_sel:[0,0,1] op_sel_hi:[1,0,0]
	s_delay_alu instid0(VALU_DEP_1)
	v_mov_b32_e32 v95, v91
	ds_load_2addr_b64 v[90:93], v84 offset0:26 offset1:27
	v_pk_add_f32 v[50:51], v[50:51], v[96:97] neg_lo:[0,1] neg_hi:[0,1]
	v_pk_add_f32 v[46:47], v[46:47], v[94:95] neg_lo:[0,1] neg_hi:[0,1]
	s_wait_dscnt 0x0
	v_pk_mul_f32 v[94:95], v[90:91], v[82:83] op_sel:[0,1]
	s_delay_alu instid0(VALU_DEP_1) | instskip(SKIP_1) | instid1(VALU_DEP_1)
	v_pk_fma_f32 v[96:97], v[90:91], v[80:81], v[94:95] op_sel:[0,0,1] op_sel_hi:[1,1,0] neg_lo:[0,0,1] neg_hi:[0,0,1]
	v_pk_fma_f32 v[90:91], v[90:91], v[80:81], v[94:95] op_sel:[0,0,1] op_sel_hi:[1,0,0]
	v_mov_b32_e32 v97, v91
	v_pk_mul_f32 v[90:91], v[92:93], v[82:83] op_sel:[0,1]
	s_delay_alu instid0(VALU_DEP_1) | instskip(SKIP_1) | instid1(VALU_DEP_1)
	v_pk_fma_f32 v[94:95], v[92:93], v[80:81], v[90:91] op_sel:[0,0,1] op_sel_hi:[1,1,0] neg_lo:[0,0,1] neg_hi:[0,0,1]
	v_pk_fma_f32 v[90:91], v[92:93], v[80:81], v[90:91] op_sel:[0,0,1] op_sel_hi:[1,0,0]
	v_mov_b32_e32 v95, v91
	ds_load_2addr_b64 v[90:93], v84 offset0:28 offset1:29
	v_pk_add_f32 v[48:49], v[48:49], v[96:97] neg_lo:[0,1] neg_hi:[0,1]
	v_pk_add_f32 v[44:45], v[44:45], v[94:95] neg_lo:[0,1] neg_hi:[0,1]
	s_wait_dscnt 0x0
	v_dual_mul_f32 v94, v91, v83 :: v_dual_mul_f32 v96, v91, v80
	s_delay_alu instid0(VALU_DEP_1) | instskip(NEXT) | instid1(VALU_DEP_2)
	v_pk_fma_f32 v[94:95], v[90:91], v[28:29], v[94:95] op_sel_hi:[1,1,0] neg_lo:[0,0,1] neg_hi:[0,0,1]
	v_pk_fma_f32 v[90:91], v[90:91], v[28:29], v[96:97] op_sel:[1,0,0] op_sel_hi:[0,1,0]
	s_delay_alu instid0(VALU_DEP_1) | instskip(SKIP_1) | instid1(VALU_DEP_2)
	v_mov_b32_e32 v95, v91
	v_pk_mul_f32 v[90:91], v[92:93], v[82:83] op_sel:[0,1]
	v_pk_add_f32 v[14:15], v[14:15], v[94:95] neg_lo:[0,1] neg_hi:[0,1]
	s_delay_alu instid0(VALU_DEP_2) | instskip(SKIP_1) | instid1(VALU_DEP_1)
	v_pk_fma_f32 v[94:95], v[92:93], v[80:81], v[90:91] op_sel:[0,0,1] op_sel_hi:[1,1,0] neg_lo:[0,0,1] neg_hi:[0,0,1]
	v_pk_fma_f32 v[90:91], v[92:93], v[80:81], v[90:91] op_sel:[0,0,1] op_sel_hi:[1,0,0]
	v_mov_b32_e32 v95, v91
	ds_load_2addr_b64 v[90:93], v84 offset0:30 offset1:31
	v_pk_add_f32 v[10:11], v[10:11], v[94:95] neg_lo:[0,1] neg_hi:[0,1]
	s_wait_dscnt 0x0
	v_pk_mul_f32 v[94:95], v[90:91], v[82:83] op_sel:[0,1]
	s_delay_alu instid0(VALU_DEP_1) | instskip(SKIP_1) | instid1(VALU_DEP_1)
	v_pk_fma_f32 v[96:97], v[90:91], v[80:81], v[94:95] op_sel:[0,0,1] op_sel_hi:[1,1,0] neg_lo:[0,0,1] neg_hi:[0,0,1]
	v_pk_fma_f32 v[90:91], v[90:91], v[80:81], v[94:95] op_sel:[0,0,1] op_sel_hi:[1,0,0]
	v_mov_b32_e32 v97, v91
	v_pk_mul_f32 v[90:91], v[92:93], v[82:83] op_sel:[0,1]
	s_delay_alu instid0(VALU_DEP_2) | instskip(NEXT) | instid1(VALU_DEP_2)
	v_pk_add_f32 v[12:13], v[12:13], v[96:97] neg_lo:[0,1] neg_hi:[0,1]
	v_pk_fma_f32 v[94:95], v[92:93], v[80:81], v[90:91] op_sel:[0,0,1] op_sel_hi:[1,1,0] neg_lo:[0,0,1] neg_hi:[0,0,1]
	v_pk_fma_f32 v[90:91], v[92:93], v[80:81], v[90:91] op_sel:[0,0,1] op_sel_hi:[1,0,0]
	s_delay_alu instid0(VALU_DEP_1) | instskip(SKIP_4) | instid1(VALU_DEP_1)
	v_mov_b32_e32 v95, v91
	ds_load_2addr_b64 v[90:93], v84 offset0:32 offset1:33
	v_pk_add_f32 v[8:9], v[8:9], v[94:95] neg_lo:[0,1] neg_hi:[0,1]
	s_wait_dscnt 0x0
	v_pk_mul_f32 v[94:95], v[90:91], v[82:83] op_sel:[0,1]
	v_pk_fma_f32 v[96:97], v[90:91], v[80:81], v[94:95] op_sel:[0,0,1] op_sel_hi:[1,1,0] neg_lo:[0,0,1] neg_hi:[0,0,1]
	v_pk_fma_f32 v[90:91], v[90:91], v[80:81], v[94:95] op_sel:[0,0,1] op_sel_hi:[1,0,0]
	v_dual_mul_f32 v94, v93, v83 :: v_dual_mov_b32 v90, v93
	s_delay_alu instid0(VALU_DEP_2) | instskip(NEXT) | instid1(VALU_DEP_2)
	v_dual_mov_b32 v97, v91 :: v_dual_mov_b32 v91, v92
	v_pk_fma_f32 v[94:95], v[92:93], v[28:29], v[94:95] op_sel_hi:[1,1,0] neg_lo:[0,0,1] neg_hi:[0,0,1]
	v_mul_f32_e32 v92, v93, v80
	s_delay_alu instid0(VALU_DEP_3) | instskip(NEXT) | instid1(VALU_DEP_2)
	v_pk_add_f32 v[6:7], v[6:7], v[96:97] neg_lo:[0,1] neg_hi:[0,1]
	v_pk_fma_f32 v[90:91], v[90:91], v[28:29], v[92:93] op_sel_hi:[1,1,0]
	s_delay_alu instid0(VALU_DEP_1) | instskip(SKIP_4) | instid1(VALU_DEP_1)
	v_mov_b32_e32 v95, v91
	ds_load_2addr_b64 v[90:93], v84 offset0:34 offset1:35
	v_pk_add_f32 v[52:53], v[52:53], v[94:95] neg_lo:[0,1] neg_hi:[0,1]
	s_wait_dscnt 0x0
	v_pk_mul_f32 v[94:95], v[90:91], v[82:83] op_sel:[0,1]
	v_pk_fma_f32 v[96:97], v[90:91], v[80:81], v[94:95] op_sel:[0,0,1] op_sel_hi:[1,1,0] neg_lo:[0,0,1] neg_hi:[0,0,1]
	v_pk_fma_f32 v[90:91], v[90:91], v[80:81], v[94:95] op_sel:[0,0,1] op_sel_hi:[1,0,0]
	s_delay_alu instid0(VALU_DEP_1) | instskip(SKIP_1) | instid1(VALU_DEP_1)
	v_mov_b32_e32 v97, v91
	v_pk_mul_f32 v[90:91], v[92:93], v[82:83] op_sel:[0,1]
	v_pk_fma_f32 v[94:95], v[92:93], v[80:81], v[90:91] op_sel:[0,0,1] op_sel_hi:[1,1,0] neg_lo:[0,0,1] neg_hi:[0,0,1]
	v_pk_fma_f32 v[90:91], v[92:93], v[80:81], v[90:91] op_sel:[0,0,1] op_sel_hi:[1,0,0]
	s_delay_alu instid0(VALU_DEP_1)
	v_mov_b32_e32 v95, v91
	ds_load_b64 v[90:91], v84 offset:288
	v_pk_add_f32 v[34:35], v[34:35], v[96:97] neg_lo:[0,1] neg_hi:[0,1]
	v_pk_add_f32 v[16:17], v[16:17], v[94:95] neg_lo:[0,1] neg_hi:[0,1]
	s_wait_dscnt 0x0
	v_pk_mul_f32 v[82:83], v[90:91], v[82:83] op_sel:[0,1]
	s_delay_alu instid0(VALU_DEP_1) | instskip(SKIP_1) | instid1(VALU_DEP_1)
	v_pk_fma_f32 v[92:93], v[90:91], v[80:81], v[82:83] op_sel:[0,0,1] op_sel_hi:[1,1,0] neg_lo:[0,0,1] neg_hi:[0,0,1]
	v_pk_fma_f32 v[80:81], v[90:91], v[80:81], v[82:83] op_sel:[0,0,1] op_sel_hi:[1,0,0]
	v_mov_b32_e32 v93, v81
	s_delay_alu instid0(VALU_DEP_1)
	v_pk_add_f32 v[78:79], v[78:79], v[92:93] neg_lo:[0,1] neg_hi:[0,1]
.LBB72_209:
	s_or_b32 exec_lo, exec_lo, s0
	v_lshl_add_u32 v80, v88, 3, v84
	s_barrier_signal -1
	s_barrier_wait -1
	ds_store_b64 v80, v[30:31]
	s_wait_dscnt 0x0
	s_barrier_signal -1
	s_barrier_wait -1
	ds_load_b64 v[82:83], v84 offset:80
	v_mov_b32_e32 v80, 10
	s_cmp_lt_i32 s18, 12
	s_cbranch_scc1 .LBB72_212
; %bb.210:
	v_add3_u32 v81, v85, 0, 0x58
	v_mov_b32_e32 v80, 10
	s_mov_b32 s0, 11
.LBB72_211:                             ; =>This Inner Loop Header: Depth=1
	ds_load_b64 v[90:91], v81
	s_wait_dscnt 0x1
	v_cmp_gt_f32_e32 vcc_lo, 0, v82
	v_cndmask_b32_e64 v92, v82, -v82, vcc_lo
	v_cmp_gt_f32_e32 vcc_lo, 0, v83
	v_cndmask_b32_e64 v94, v83, -v83, vcc_lo
	s_wait_dscnt 0x0
	v_cmp_gt_f32_e32 vcc_lo, 0, v90
	v_cndmask_b32_e64 v93, v90, -v90, vcc_lo
	v_cmp_gt_f32_e32 vcc_lo, 0, v91
	v_cndmask_b32_e64 v95, v91, -v91, vcc_lo
	s_delay_alu instid0(VALU_DEP_1) | instskip(NEXT) | instid1(VALU_DEP_1)
	v_pk_add_f32 v[92:93], v[92:93], v[94:95]
	v_cmp_lt_f32_e32 vcc_lo, v92, v93
	v_dual_add_nc_u32 v81, 8, v81 :: v_dual_cndmask_b32 v83, v83, v91, vcc_lo
	v_cndmask_b32_e32 v82, v82, v90, vcc_lo
	v_cndmask_b32_e64 v80, v80, s0, vcc_lo
	s_add_co_i32 s0, s0, 1
	s_delay_alu instid0(SALU_CYCLE_1)
	s_cmp_lg_u32 s18, s0
	s_cbranch_scc1 .LBB72_211
.LBB72_212:
	s_wait_dscnt 0x0
	v_cmp_eq_f32_e32 vcc_lo, 0, v82
	v_cmp_eq_f32_e64 s0, 0, v83
	s_and_b32 s0, vcc_lo, s0
	s_delay_alu instid0(SALU_CYCLE_1) | instskip(NEXT) | instid1(SALU_CYCLE_1)
	s_and_saveexec_b32 s1, s0
	s_xor_b32 s0, exec_lo, s1
; %bb.213:
	v_cmp_ne_u32_e32 vcc_lo, 0, v86
	v_cndmask_b32_e32 v86, 11, v86, vcc_lo
; %bb.214:
	s_and_not1_saveexec_b32 s0, s0
	s_cbranch_execz .LBB72_220
; %bb.215:
	v_cmp_ngt_f32_e64 s1, |v82|, |v83|
	s_and_saveexec_b32 s12, s1
	s_delay_alu instid0(SALU_CYCLE_1)
	s_xor_b32 s1, exec_lo, s12
	s_cbranch_execz .LBB72_217
; %bb.216:
	v_div_scale_f32 v81, null, v83, v83, v82
	v_div_scale_f32 v91, vcc_lo, v82, v83, v82
	s_delay_alu instid0(VALU_DEP_2) | instskip(SKIP_1) | instid1(TRANS32_DEP_1)
	v_rcp_f32_e32 v89, v81
	v_nop
	v_fma_f32 v90, -v81, v89, 1.0
	s_delay_alu instid0(VALU_DEP_1) | instskip(NEXT) | instid1(VALU_DEP_1)
	v_fmac_f32_e32 v89, v90, v89
	v_mul_f32_e32 v90, v91, v89
	s_delay_alu instid0(VALU_DEP_1) | instskip(NEXT) | instid1(VALU_DEP_1)
	v_fma_f32 v92, -v81, v90, v91
	v_fmac_f32_e32 v90, v92, v89
	s_delay_alu instid0(VALU_DEP_1) | instskip(NEXT) | instid1(VALU_DEP_1)
	v_fma_f32 v81, -v81, v90, v91
	v_div_fmas_f32 v81, v81, v89, v90
	s_delay_alu instid0(VALU_DEP_1) | instskip(NEXT) | instid1(VALU_DEP_1)
	v_div_fixup_f32 v81, v81, v83, v82
	v_fmac_f32_e32 v83, v82, v81
	s_delay_alu instid0(VALU_DEP_1) | instskip(SKIP_1) | instid1(VALU_DEP_2)
	v_div_scale_f32 v82, null, v83, v83, 1.0
	v_div_scale_f32 v91, vcc_lo, 1.0, v83, 1.0
	v_rcp_f32_e32 v89, v82
	v_nop
	s_delay_alu instid0(TRANS32_DEP_1) | instskip(NEXT) | instid1(VALU_DEP_1)
	v_fma_f32 v90, -v82, v89, 1.0
	v_fmac_f32_e32 v89, v90, v89
	s_delay_alu instid0(VALU_DEP_1) | instskip(NEXT) | instid1(VALU_DEP_1)
	v_mul_f32_e32 v90, v91, v89
	v_fma_f32 v92, -v82, v90, v91
	s_delay_alu instid0(VALU_DEP_1) | instskip(NEXT) | instid1(VALU_DEP_1)
	v_fmac_f32_e32 v90, v92, v89
	v_fma_f32 v82, -v82, v90, v91
	s_delay_alu instid0(VALU_DEP_1) | instskip(NEXT) | instid1(VALU_DEP_1)
	v_div_fmas_f32 v82, v82, v89, v90
	v_div_fixup_f32 v83, v82, v83, 1.0
	s_delay_alu instid0(VALU_DEP_1)
	v_mul_f32_e32 v82, v81, v83
	v_xor_b32_e32 v83, 0x80000000, v83
.LBB72_217:
	s_and_not1_saveexec_b32 s1, s1
	s_cbranch_execz .LBB72_219
; %bb.218:
	s_delay_alu instid0(VALU_DEP_1) | instskip(SKIP_1) | instid1(VALU_DEP_2)
	v_div_scale_f32 v81, null, v82, v82, v83
	v_div_scale_f32 v91, vcc_lo, v83, v82, v83
	v_rcp_f32_e32 v89, v81
	v_nop
	s_delay_alu instid0(TRANS32_DEP_1) | instskip(NEXT) | instid1(VALU_DEP_1)
	v_fma_f32 v90, -v81, v89, 1.0
	v_fmac_f32_e32 v89, v90, v89
	s_delay_alu instid0(VALU_DEP_1) | instskip(NEXT) | instid1(VALU_DEP_1)
	v_mul_f32_e32 v90, v91, v89
	v_fma_f32 v92, -v81, v90, v91
	s_delay_alu instid0(VALU_DEP_1) | instskip(NEXT) | instid1(VALU_DEP_1)
	v_fmac_f32_e32 v90, v92, v89
	v_fma_f32 v81, -v81, v90, v91
	s_delay_alu instid0(VALU_DEP_1) | instskip(NEXT) | instid1(VALU_DEP_1)
	v_div_fmas_f32 v81, v81, v89, v90
	v_div_fixup_f32 v81, v81, v82, v83
	s_delay_alu instid0(VALU_DEP_1) | instskip(NEXT) | instid1(VALU_DEP_1)
	v_fmac_f32_e32 v82, v83, v81
	v_div_scale_f32 v83, null, v82, v82, 1.0
	s_delay_alu instid0(VALU_DEP_1) | instskip(SKIP_1) | instid1(TRANS32_DEP_1)
	v_rcp_f32_e32 v89, v83
	v_nop
	v_fma_f32 v90, -v83, v89, 1.0
	s_delay_alu instid0(VALU_DEP_1) | instskip(SKIP_1) | instid1(VALU_DEP_1)
	v_fmac_f32_e32 v89, v90, v89
	v_div_scale_f32 v90, vcc_lo, 1.0, v82, 1.0
	v_mul_f32_e32 v91, v90, v89
	s_delay_alu instid0(VALU_DEP_1) | instskip(NEXT) | instid1(VALU_DEP_1)
	v_fma_f32 v92, -v83, v91, v90
	v_fmac_f32_e32 v91, v92, v89
	s_delay_alu instid0(VALU_DEP_1) | instskip(NEXT) | instid1(VALU_DEP_1)
	v_fma_f32 v83, -v83, v91, v90
	v_div_fmas_f32 v83, v83, v89, v91
	s_delay_alu instid0(VALU_DEP_1) | instskip(NEXT) | instid1(VALU_DEP_1)
	v_div_fixup_f32 v82, v83, v82, 1.0
	v_mul_f32_e64 v83, v81, -v82
.LBB72_219:
	s_or_b32 exec_lo, exec_lo, s1
.LBB72_220:
	s_delay_alu instid0(SALU_CYCLE_1) | instskip(NEXT) | instid1(SALU_CYCLE_1)
	s_or_b32 exec_lo, exec_lo, s0
	s_mov_b32 s0, exec_lo
	v_cmpx_ne_u32_e64 v88, v80
	s_xor_b32 s0, exec_lo, s0
	s_cbranch_execz .LBB72_226
; %bb.221:
	s_mov_b32 s1, exec_lo
	v_cmpx_eq_u32_e32 10, v88
	s_cbranch_execz .LBB72_225
; %bb.222:
	v_cmp_ne_u32_e32 vcc_lo, 10, v80
	s_xor_b32 s12, s16, -1
	s_delay_alu instid0(SALU_CYCLE_1) | instskip(NEXT) | instid1(SALU_CYCLE_1)
	s_and_b32 s13, s12, vcc_lo
	s_and_saveexec_b32 s12, s13
	s_cbranch_execz .LBB72_224
; %bb.223:
	v_ashrrev_i32_e32 v81, 31, v80
	s_delay_alu instid0(VALU_DEP_1)
	v_lshl_add_u64 v[88:89], v[80:81], 2, v[4:5]
	s_clause 0x1
	global_load_b32 v81, v[88:89], off
	global_load_b32 v87, v[4:5], off offset:40
	s_wait_loadcnt 0x1
	global_store_b32 v[4:5], v81, off offset:40
	s_wait_loadcnt 0x0
	global_store_b32 v[88:89], v87, off
.LBB72_224:
	s_wait_xcnt 0x0
	s_or_b32 exec_lo, exec_lo, s12
	v_dual_mov_b32 v88, v80 :: v_dual_mov_b32 v87, v80
.LBB72_225:
	s_or_b32 exec_lo, exec_lo, s1
.LBB72_226:
	s_and_not1_saveexec_b32 s0, s0
	s_cbranch_execz .LBB72_228
; %bb.227:
	v_mov_b32_e32 v88, 10
	ds_store_2addr_b64 v84, v[26:27], v[42:43] offset0:11 offset1:12
	ds_store_2addr_b64 v84, v[38:39], v[40:41] offset0:13 offset1:14
	;; [unrolled: 1-line block ×13, first 2 shown]
.LBB72_228:
	s_or_b32 exec_lo, exec_lo, s0
	s_delay_alu instid0(SALU_CYCLE_1)
	s_mov_b32 s0, exec_lo
	s_wait_storecnt_dscnt 0x0
	s_barrier_signal -1
	s_barrier_wait -1
	v_cmpx_lt_i32_e32 10, v88
	s_cbranch_execz .LBB72_230
; %bb.229:
	v_pk_mul_f32 v[90:91], v[82:83], v[30:31] op_sel:[1,1] op_sel_hi:[0,1]
	s_delay_alu instid0(VALU_DEP_1)
	v_pk_fma_f32 v[80:81], v[82:83], v[30:31], v[90:91] op_sel_hi:[1,0,1] neg_lo:[0,0,1] neg_hi:[0,0,1]
	v_pk_fma_f32 v[82:83], v[82:83], v[30:31], v[90:91] op_sel_hi:[1,0,1]
	ds_load_2addr_b64 v[90:93], v84 offset0:11 offset1:12
	v_dual_mov_b32 v30, v80 :: v_dual_mov_b32 v31, v83
	s_wait_dscnt 0x0
	v_pk_mul_f32 v[94:95], v[90:91], v[82:83] op_sel:[0,1]
	s_delay_alu instid0(VALU_DEP_1) | instskip(SKIP_1) | instid1(VALU_DEP_1)
	v_pk_fma_f32 v[96:97], v[90:91], v[80:81], v[94:95] op_sel:[0,0,1] op_sel_hi:[1,1,0] neg_lo:[0,0,1] neg_hi:[0,0,1]
	v_pk_fma_f32 v[90:91], v[90:91], v[80:81], v[94:95] op_sel:[0,0,1] op_sel_hi:[1,0,0]
	v_mov_b32_e32 v97, v91
	v_pk_mul_f32 v[90:91], v[92:93], v[82:83] op_sel:[0,1]
	s_delay_alu instid0(VALU_DEP_1) | instskip(SKIP_1) | instid1(VALU_DEP_1)
	v_pk_fma_f32 v[94:95], v[92:93], v[80:81], v[90:91] op_sel:[0,0,1] op_sel_hi:[1,1,0] neg_lo:[0,0,1] neg_hi:[0,0,1]
	v_pk_fma_f32 v[90:91], v[92:93], v[80:81], v[90:91] op_sel:[0,0,1] op_sel_hi:[1,0,0]
	v_mov_b32_e32 v95, v91
	ds_load_2addr_b64 v[90:93], v84 offset0:13 offset1:14
	v_pk_add_f32 v[26:27], v[26:27], v[96:97] neg_lo:[0,1] neg_hi:[0,1]
	v_pk_add_f32 v[42:43], v[42:43], v[94:95] neg_lo:[0,1] neg_hi:[0,1]
	s_wait_dscnt 0x0
	v_pk_mul_f32 v[94:95], v[90:91], v[82:83] op_sel:[0,1]
	s_delay_alu instid0(VALU_DEP_1) | instskip(SKIP_2) | instid1(VALU_DEP_2)
	v_pk_fma_f32 v[96:97], v[90:91], v[80:81], v[94:95] op_sel:[0,0,1] op_sel_hi:[1,1,0] neg_lo:[0,0,1] neg_hi:[0,0,1]
	v_pk_fma_f32 v[90:91], v[90:91], v[80:81], v[94:95] op_sel:[0,0,1] op_sel_hi:[1,0,0]
	v_dual_mul_f32 v94, v93, v83 :: v_dual_mov_b32 v90, v93
	v_dual_mov_b32 v97, v91 :: v_dual_mov_b32 v91, v92
	s_delay_alu instid0(VALU_DEP_2) | instskip(SKIP_1) | instid1(VALU_DEP_3)
	v_pk_fma_f32 v[94:95], v[92:93], v[30:31], v[94:95] op_sel_hi:[1,1,0] neg_lo:[0,0,1] neg_hi:[0,0,1]
	v_mul_f32_e32 v92, v93, v80
	v_pk_add_f32 v[38:39], v[38:39], v[96:97] neg_lo:[0,1] neg_hi:[0,1]
	s_delay_alu instid0(VALU_DEP_2) | instskip(NEXT) | instid1(VALU_DEP_1)
	v_pk_fma_f32 v[90:91], v[90:91], v[30:31], v[92:93] op_sel_hi:[1,1,0]
	v_mov_b32_e32 v95, v91
	ds_load_2addr_b64 v[90:93], v84 offset0:15 offset1:16
	v_pk_add_f32 v[40:41], v[40:41], v[94:95] neg_lo:[0,1] neg_hi:[0,1]
	s_wait_dscnt 0x0
	v_pk_mul_f32 v[94:95], v[90:91], v[82:83] op_sel:[0,1]
	s_delay_alu instid0(VALU_DEP_1) | instskip(SKIP_1) | instid1(VALU_DEP_1)
	v_pk_fma_f32 v[96:97], v[90:91], v[80:81], v[94:95] op_sel:[0,0,1] op_sel_hi:[1,1,0] neg_lo:[0,0,1] neg_hi:[0,0,1]
	v_pk_fma_f32 v[90:91], v[90:91], v[80:81], v[94:95] op_sel:[0,0,1] op_sel_hi:[1,0,0]
	v_mov_b32_e32 v97, v91
	v_pk_mul_f32 v[90:91], v[92:93], v[82:83] op_sel:[0,1]
	s_delay_alu instid0(VALU_DEP_1) | instskip(SKIP_1) | instid1(VALU_DEP_1)
	v_pk_fma_f32 v[94:95], v[92:93], v[80:81], v[90:91] op_sel:[0,0,1] op_sel_hi:[1,1,0] neg_lo:[0,0,1] neg_hi:[0,0,1]
	v_pk_fma_f32 v[90:91], v[92:93], v[80:81], v[90:91] op_sel:[0,0,1] op_sel_hi:[1,0,0]
	v_mov_b32_e32 v95, v91
	ds_load_2addr_b64 v[90:93], v84 offset0:17 offset1:18
	v_pk_add_f32 v[36:37], v[36:37], v[96:97] neg_lo:[0,1] neg_hi:[0,1]
	v_pk_add_f32 v[68:69], v[68:69], v[94:95] neg_lo:[0,1] neg_hi:[0,1]
	s_wait_dscnt 0x0
	v_pk_mul_f32 v[94:95], v[90:91], v[82:83] op_sel:[0,1]
	s_delay_alu instid0(VALU_DEP_1) | instskip(SKIP_1) | instid1(VALU_DEP_1)
	v_pk_fma_f32 v[96:97], v[90:91], v[80:81], v[94:95] op_sel:[0,0,1] op_sel_hi:[1,1,0] neg_lo:[0,0,1] neg_hi:[0,0,1]
	v_pk_fma_f32 v[90:91], v[90:91], v[80:81], v[94:95] op_sel:[0,0,1] op_sel_hi:[1,0,0]
	v_mov_b32_e32 v97, v91
	v_pk_mul_f32 v[90:91], v[92:93], v[82:83] op_sel:[0,1]
	s_delay_alu instid0(VALU_DEP_1) | instskip(SKIP_1) | instid1(VALU_DEP_1)
	v_pk_fma_f32 v[94:95], v[92:93], v[80:81], v[90:91] op_sel:[0,0,1] op_sel_hi:[1,1,0] neg_lo:[0,0,1] neg_hi:[0,0,1]
	v_pk_fma_f32 v[90:91], v[92:93], v[80:81], v[90:91] op_sel:[0,0,1] op_sel_hi:[1,0,0]
	v_mov_b32_e32 v95, v91
	ds_load_2addr_b64 v[90:93], v84 offset0:19 offset1:20
	v_pk_add_f32 v[64:65], v[64:65], v[96:97] neg_lo:[0,1] neg_hi:[0,1]
	v_pk_add_f32 v[66:67], v[66:67], v[94:95] neg_lo:[0,1] neg_hi:[0,1]
	s_wait_dscnt 0x0
	v_dual_mul_f32 v94, v91, v83 :: v_dual_mul_f32 v96, v91, v80
	s_delay_alu instid0(VALU_DEP_1) | instskip(NEXT) | instid1(VALU_DEP_2)
	v_pk_fma_f32 v[94:95], v[90:91], v[30:31], v[94:95] op_sel_hi:[1,1,0] neg_lo:[0,0,1] neg_hi:[0,0,1]
	v_pk_fma_f32 v[90:91], v[90:91], v[30:31], v[96:97] op_sel:[1,0,0] op_sel_hi:[0,1,0]
	s_delay_alu instid0(VALU_DEP_1) | instskip(SKIP_1) | instid1(VALU_DEP_2)
	v_mov_b32_e32 v95, v91
	v_pk_mul_f32 v[90:91], v[92:93], v[82:83] op_sel:[0,1]
	v_pk_add_f32 v[62:63], v[62:63], v[94:95] neg_lo:[0,1] neg_hi:[0,1]
	s_delay_alu instid0(VALU_DEP_2) | instskip(SKIP_1) | instid1(VALU_DEP_1)
	v_pk_fma_f32 v[94:95], v[92:93], v[80:81], v[90:91] op_sel:[0,0,1] op_sel_hi:[1,1,0] neg_lo:[0,0,1] neg_hi:[0,0,1]
	v_pk_fma_f32 v[90:91], v[92:93], v[80:81], v[90:91] op_sel:[0,0,1] op_sel_hi:[1,0,0]
	v_mov_b32_e32 v95, v91
	ds_load_2addr_b64 v[90:93], v84 offset0:21 offset1:22
	v_pk_add_f32 v[60:61], v[60:61], v[94:95] neg_lo:[0,1] neg_hi:[0,1]
	s_wait_dscnt 0x0
	v_pk_mul_f32 v[94:95], v[90:91], v[82:83] op_sel:[0,1]
	s_delay_alu instid0(VALU_DEP_1) | instskip(SKIP_1) | instid1(VALU_DEP_1)
	v_pk_fma_f32 v[96:97], v[90:91], v[80:81], v[94:95] op_sel:[0,0,1] op_sel_hi:[1,1,0] neg_lo:[0,0,1] neg_hi:[0,0,1]
	v_pk_fma_f32 v[90:91], v[90:91], v[80:81], v[94:95] op_sel:[0,0,1] op_sel_hi:[1,0,0]
	v_mov_b32_e32 v97, v91
	v_pk_mul_f32 v[90:91], v[92:93], v[82:83] op_sel:[0,1]
	s_delay_alu instid0(VALU_DEP_2) | instskip(NEXT) | instid1(VALU_DEP_2)
	v_pk_add_f32 v[56:57], v[56:57], v[96:97] neg_lo:[0,1] neg_hi:[0,1]
	v_pk_fma_f32 v[94:95], v[92:93], v[80:81], v[90:91] op_sel:[0,0,1] op_sel_hi:[1,1,0] neg_lo:[0,0,1] neg_hi:[0,0,1]
	v_pk_fma_f32 v[90:91], v[92:93], v[80:81], v[90:91] op_sel:[0,0,1] op_sel_hi:[1,0,0]
	s_delay_alu instid0(VALU_DEP_1) | instskip(SKIP_4) | instid1(VALU_DEP_1)
	v_mov_b32_e32 v95, v91
	ds_load_2addr_b64 v[90:93], v84 offset0:23 offset1:24
	v_pk_add_f32 v[58:59], v[58:59], v[94:95] neg_lo:[0,1] neg_hi:[0,1]
	s_wait_dscnt 0x0
	v_pk_mul_f32 v[94:95], v[90:91], v[82:83] op_sel:[0,1]
	v_pk_fma_f32 v[96:97], v[90:91], v[80:81], v[94:95] op_sel:[0,0,1] op_sel_hi:[1,1,0] neg_lo:[0,0,1] neg_hi:[0,0,1]
	v_pk_fma_f32 v[90:91], v[90:91], v[80:81], v[94:95] op_sel:[0,0,1] op_sel_hi:[1,0,0]
	v_dual_mul_f32 v94, v93, v83 :: v_dual_mov_b32 v90, v93
	s_delay_alu instid0(VALU_DEP_2) | instskip(NEXT) | instid1(VALU_DEP_2)
	v_dual_mov_b32 v97, v91 :: v_dual_mov_b32 v91, v92
	v_pk_fma_f32 v[94:95], v[92:93], v[30:31], v[94:95] op_sel_hi:[1,1,0] neg_lo:[0,0,1] neg_hi:[0,0,1]
	v_mul_f32_e32 v92, v93, v80
	s_delay_alu instid0(VALU_DEP_3) | instskip(NEXT) | instid1(VALU_DEP_2)
	v_pk_add_f32 v[54:55], v[54:55], v[96:97] neg_lo:[0,1] neg_hi:[0,1]
	v_pk_fma_f32 v[90:91], v[90:91], v[30:31], v[92:93] op_sel_hi:[1,1,0]
	s_delay_alu instid0(VALU_DEP_1) | instskip(SKIP_4) | instid1(VALU_DEP_1)
	v_mov_b32_e32 v95, v91
	ds_load_2addr_b64 v[90:93], v84 offset0:25 offset1:26
	v_pk_add_f32 v[50:51], v[50:51], v[94:95] neg_lo:[0,1] neg_hi:[0,1]
	s_wait_dscnt 0x0
	v_pk_mul_f32 v[94:95], v[90:91], v[82:83] op_sel:[0,1]
	v_pk_fma_f32 v[96:97], v[90:91], v[80:81], v[94:95] op_sel:[0,0,1] op_sel_hi:[1,1,0] neg_lo:[0,0,1] neg_hi:[0,0,1]
	v_pk_fma_f32 v[90:91], v[90:91], v[80:81], v[94:95] op_sel:[0,0,1] op_sel_hi:[1,0,0]
	s_delay_alu instid0(VALU_DEP_1) | instskip(SKIP_1) | instid1(VALU_DEP_1)
	v_mov_b32_e32 v97, v91
	v_pk_mul_f32 v[90:91], v[92:93], v[82:83] op_sel:[0,1]
	v_pk_fma_f32 v[94:95], v[92:93], v[80:81], v[90:91] op_sel:[0,0,1] op_sel_hi:[1,1,0] neg_lo:[0,0,1] neg_hi:[0,0,1]
	v_pk_fma_f32 v[90:91], v[92:93], v[80:81], v[90:91] op_sel:[0,0,1] op_sel_hi:[1,0,0]
	s_delay_alu instid0(VALU_DEP_1)
	v_mov_b32_e32 v95, v91
	ds_load_2addr_b64 v[90:93], v84 offset0:27 offset1:28
	v_pk_add_f32 v[46:47], v[46:47], v[96:97] neg_lo:[0,1] neg_hi:[0,1]
	v_pk_add_f32 v[48:49], v[48:49], v[94:95] neg_lo:[0,1] neg_hi:[0,1]
	s_wait_dscnt 0x0
	v_pk_mul_f32 v[94:95], v[90:91], v[82:83] op_sel:[0,1]
	s_delay_alu instid0(VALU_DEP_1) | instskip(SKIP_1) | instid1(VALU_DEP_1)
	v_pk_fma_f32 v[96:97], v[90:91], v[80:81], v[94:95] op_sel:[0,0,1] op_sel_hi:[1,1,0] neg_lo:[0,0,1] neg_hi:[0,0,1]
	v_pk_fma_f32 v[90:91], v[90:91], v[80:81], v[94:95] op_sel:[0,0,1] op_sel_hi:[1,0,0]
	v_mov_b32_e32 v97, v91
	v_pk_mul_f32 v[90:91], v[92:93], v[82:83] op_sel:[0,1]
	s_delay_alu instid0(VALU_DEP_1) | instskip(SKIP_1) | instid1(VALU_DEP_1)
	v_pk_fma_f32 v[94:95], v[92:93], v[80:81], v[90:91] op_sel:[0,0,1] op_sel_hi:[1,1,0] neg_lo:[0,0,1] neg_hi:[0,0,1]
	v_pk_fma_f32 v[90:91], v[92:93], v[80:81], v[90:91] op_sel:[0,0,1] op_sel_hi:[1,0,0]
	v_mov_b32_e32 v95, v91
	ds_load_2addr_b64 v[90:93], v84 offset0:29 offset1:30
	v_pk_add_f32 v[44:45], v[44:45], v[96:97] neg_lo:[0,1] neg_hi:[0,1]
	v_pk_add_f32 v[14:15], v[14:15], v[94:95] neg_lo:[0,1] neg_hi:[0,1]
	s_wait_dscnt 0x0
	v_dual_mul_f32 v94, v91, v83 :: v_dual_mul_f32 v96, v91, v80
	s_delay_alu instid0(VALU_DEP_1) | instskip(NEXT) | instid1(VALU_DEP_2)
	v_pk_fma_f32 v[94:95], v[90:91], v[30:31], v[94:95] op_sel_hi:[1,1,0] neg_lo:[0,0,1] neg_hi:[0,0,1]
	v_pk_fma_f32 v[90:91], v[90:91], v[30:31], v[96:97] op_sel:[1,0,0] op_sel_hi:[0,1,0]
	s_delay_alu instid0(VALU_DEP_1) | instskip(SKIP_1) | instid1(VALU_DEP_2)
	v_mov_b32_e32 v95, v91
	v_pk_mul_f32 v[90:91], v[92:93], v[82:83] op_sel:[0,1]
	v_pk_add_f32 v[10:11], v[10:11], v[94:95] neg_lo:[0,1] neg_hi:[0,1]
	s_delay_alu instid0(VALU_DEP_2) | instskip(SKIP_1) | instid1(VALU_DEP_1)
	v_pk_fma_f32 v[94:95], v[92:93], v[80:81], v[90:91] op_sel:[0,0,1] op_sel_hi:[1,1,0] neg_lo:[0,0,1] neg_hi:[0,0,1]
	v_pk_fma_f32 v[90:91], v[92:93], v[80:81], v[90:91] op_sel:[0,0,1] op_sel_hi:[1,0,0]
	v_mov_b32_e32 v95, v91
	ds_load_2addr_b64 v[90:93], v84 offset0:31 offset1:32
	v_pk_add_f32 v[12:13], v[12:13], v[94:95] neg_lo:[0,1] neg_hi:[0,1]
	s_wait_dscnt 0x0
	v_pk_mul_f32 v[94:95], v[90:91], v[82:83] op_sel:[0,1]
	s_delay_alu instid0(VALU_DEP_1) | instskip(SKIP_1) | instid1(VALU_DEP_1)
	v_pk_fma_f32 v[96:97], v[90:91], v[80:81], v[94:95] op_sel:[0,0,1] op_sel_hi:[1,1,0] neg_lo:[0,0,1] neg_hi:[0,0,1]
	v_pk_fma_f32 v[90:91], v[90:91], v[80:81], v[94:95] op_sel:[0,0,1] op_sel_hi:[1,0,0]
	v_mov_b32_e32 v97, v91
	v_pk_mul_f32 v[90:91], v[92:93], v[82:83] op_sel:[0,1]
	s_delay_alu instid0(VALU_DEP_2) | instskip(NEXT) | instid1(VALU_DEP_2)
	v_pk_add_f32 v[8:9], v[8:9], v[96:97] neg_lo:[0,1] neg_hi:[0,1]
	v_pk_fma_f32 v[94:95], v[92:93], v[80:81], v[90:91] op_sel:[0,0,1] op_sel_hi:[1,1,0] neg_lo:[0,0,1] neg_hi:[0,0,1]
	v_pk_fma_f32 v[90:91], v[92:93], v[80:81], v[90:91] op_sel:[0,0,1] op_sel_hi:[1,0,0]
	s_delay_alu instid0(VALU_DEP_1) | instskip(SKIP_4) | instid1(VALU_DEP_1)
	v_mov_b32_e32 v95, v91
	ds_load_2addr_b64 v[90:93], v84 offset0:33 offset1:34
	v_pk_add_f32 v[6:7], v[6:7], v[94:95] neg_lo:[0,1] neg_hi:[0,1]
	s_wait_dscnt 0x0
	v_pk_mul_f32 v[94:95], v[90:91], v[82:83] op_sel:[0,1]
	v_pk_fma_f32 v[96:97], v[90:91], v[80:81], v[94:95] op_sel:[0,0,1] op_sel_hi:[1,1,0] neg_lo:[0,0,1] neg_hi:[0,0,1]
	v_pk_fma_f32 v[90:91], v[90:91], v[80:81], v[94:95] op_sel:[0,0,1] op_sel_hi:[1,0,0]
	v_dual_mul_f32 v94, v93, v83 :: v_dual_mov_b32 v90, v93
	s_delay_alu instid0(VALU_DEP_2) | instskip(NEXT) | instid1(VALU_DEP_2)
	v_dual_mov_b32 v97, v91 :: v_dual_mov_b32 v91, v92
	v_pk_fma_f32 v[94:95], v[92:93], v[30:31], v[94:95] op_sel_hi:[1,1,0] neg_lo:[0,0,1] neg_hi:[0,0,1]
	v_mul_f32_e32 v92, v93, v80
	s_delay_alu instid0(VALU_DEP_3) | instskip(NEXT) | instid1(VALU_DEP_2)
	v_pk_add_f32 v[52:53], v[52:53], v[96:97] neg_lo:[0,1] neg_hi:[0,1]
	v_pk_fma_f32 v[90:91], v[90:91], v[30:31], v[92:93] op_sel_hi:[1,1,0]
	s_delay_alu instid0(VALU_DEP_1)
	v_mov_b32_e32 v95, v91
	ds_load_2addr_b64 v[90:93], v84 offset0:35 offset1:36
	v_pk_add_f32 v[34:35], v[34:35], v[94:95] neg_lo:[0,1] neg_hi:[0,1]
	s_wait_dscnt 0x0
	v_pk_mul_f32 v[94:95], v[90:91], v[82:83] op_sel:[0,1]
	v_pk_mul_f32 v[82:83], v[92:93], v[82:83] op_sel:[0,1]
	s_delay_alu instid0(VALU_DEP_2) | instskip(SKIP_1) | instid1(VALU_DEP_1)
	v_pk_fma_f32 v[96:97], v[90:91], v[80:81], v[94:95] op_sel:[0,0,1] op_sel_hi:[1,1,0] neg_lo:[0,0,1] neg_hi:[0,0,1]
	v_pk_fma_f32 v[90:91], v[90:91], v[80:81], v[94:95] op_sel:[0,0,1] op_sel_hi:[1,0,0]
	v_mov_b32_e32 v97, v91
	s_delay_alu instid0(VALU_DEP_4) | instskip(SKIP_1) | instid1(VALU_DEP_1)
	v_pk_fma_f32 v[90:91], v[92:93], v[80:81], v[82:83] op_sel:[0,0,1] op_sel_hi:[1,1,0] neg_lo:[0,0,1] neg_hi:[0,0,1]
	v_pk_fma_f32 v[80:81], v[92:93], v[80:81], v[82:83] op_sel:[0,0,1] op_sel_hi:[1,0,0]
	v_mov_b32_e32 v91, v81
	s_delay_alu instid0(VALU_DEP_4) | instskip(NEXT) | instid1(VALU_DEP_2)
	v_pk_add_f32 v[16:17], v[16:17], v[96:97] neg_lo:[0,1] neg_hi:[0,1]
	v_pk_add_f32 v[78:79], v[78:79], v[90:91] neg_lo:[0,1] neg_hi:[0,1]
.LBB72_230:
	s_or_b32 exec_lo, exec_lo, s0
	v_lshl_add_u32 v80, v88, 3, v84
	s_barrier_signal -1
	s_barrier_wait -1
	ds_store_b64 v80, v[26:27]
	s_wait_dscnt 0x0
	s_barrier_signal -1
	s_barrier_wait -1
	ds_load_b64 v[82:83], v84 offset:88
	v_mov_b32_e32 v80, 11
	s_cmp_lt_i32 s18, 13
	s_cbranch_scc1 .LBB72_233
; %bb.231:
	v_add3_u32 v81, v85, 0, 0x60
	v_mov_b32_e32 v80, 11
	s_mov_b32 s0, 12
.LBB72_232:                             ; =>This Inner Loop Header: Depth=1
	ds_load_b64 v[90:91], v81
	s_wait_dscnt 0x1
	v_cmp_gt_f32_e32 vcc_lo, 0, v82
	v_cndmask_b32_e64 v92, v82, -v82, vcc_lo
	v_cmp_gt_f32_e32 vcc_lo, 0, v83
	v_cndmask_b32_e64 v94, v83, -v83, vcc_lo
	s_wait_dscnt 0x0
	v_cmp_gt_f32_e32 vcc_lo, 0, v90
	v_cndmask_b32_e64 v93, v90, -v90, vcc_lo
	v_cmp_gt_f32_e32 vcc_lo, 0, v91
	v_cndmask_b32_e64 v95, v91, -v91, vcc_lo
	s_delay_alu instid0(VALU_DEP_1) | instskip(NEXT) | instid1(VALU_DEP_1)
	v_pk_add_f32 v[92:93], v[92:93], v[94:95]
	v_cmp_lt_f32_e32 vcc_lo, v92, v93
	v_dual_add_nc_u32 v81, 8, v81 :: v_dual_cndmask_b32 v83, v83, v91, vcc_lo
	v_cndmask_b32_e32 v82, v82, v90, vcc_lo
	v_cndmask_b32_e64 v80, v80, s0, vcc_lo
	s_add_co_i32 s0, s0, 1
	s_delay_alu instid0(SALU_CYCLE_1)
	s_cmp_lg_u32 s18, s0
	s_cbranch_scc1 .LBB72_232
.LBB72_233:
	s_wait_dscnt 0x0
	v_cmp_eq_f32_e32 vcc_lo, 0, v82
	v_cmp_eq_f32_e64 s0, 0, v83
	s_and_b32 s0, vcc_lo, s0
	s_delay_alu instid0(SALU_CYCLE_1) | instskip(NEXT) | instid1(SALU_CYCLE_1)
	s_and_saveexec_b32 s1, s0
	s_xor_b32 s0, exec_lo, s1
; %bb.234:
	v_cmp_ne_u32_e32 vcc_lo, 0, v86
	v_cndmask_b32_e32 v86, 12, v86, vcc_lo
; %bb.235:
	s_and_not1_saveexec_b32 s0, s0
	s_cbranch_execz .LBB72_241
; %bb.236:
	v_cmp_ngt_f32_e64 s1, |v82|, |v83|
	s_and_saveexec_b32 s12, s1
	s_delay_alu instid0(SALU_CYCLE_1)
	s_xor_b32 s1, exec_lo, s12
	s_cbranch_execz .LBB72_238
; %bb.237:
	v_div_scale_f32 v81, null, v83, v83, v82
	v_div_scale_f32 v91, vcc_lo, v82, v83, v82
	s_delay_alu instid0(VALU_DEP_2) | instskip(SKIP_1) | instid1(TRANS32_DEP_1)
	v_rcp_f32_e32 v89, v81
	v_nop
	v_fma_f32 v90, -v81, v89, 1.0
	s_delay_alu instid0(VALU_DEP_1) | instskip(NEXT) | instid1(VALU_DEP_1)
	v_fmac_f32_e32 v89, v90, v89
	v_mul_f32_e32 v90, v91, v89
	s_delay_alu instid0(VALU_DEP_1) | instskip(NEXT) | instid1(VALU_DEP_1)
	v_fma_f32 v92, -v81, v90, v91
	v_fmac_f32_e32 v90, v92, v89
	s_delay_alu instid0(VALU_DEP_1) | instskip(NEXT) | instid1(VALU_DEP_1)
	v_fma_f32 v81, -v81, v90, v91
	v_div_fmas_f32 v81, v81, v89, v90
	s_delay_alu instid0(VALU_DEP_1) | instskip(NEXT) | instid1(VALU_DEP_1)
	v_div_fixup_f32 v81, v81, v83, v82
	v_fmac_f32_e32 v83, v82, v81
	s_delay_alu instid0(VALU_DEP_1) | instskip(SKIP_1) | instid1(VALU_DEP_2)
	v_div_scale_f32 v82, null, v83, v83, 1.0
	v_div_scale_f32 v91, vcc_lo, 1.0, v83, 1.0
	v_rcp_f32_e32 v89, v82
	v_nop
	s_delay_alu instid0(TRANS32_DEP_1) | instskip(NEXT) | instid1(VALU_DEP_1)
	v_fma_f32 v90, -v82, v89, 1.0
	v_fmac_f32_e32 v89, v90, v89
	s_delay_alu instid0(VALU_DEP_1) | instskip(NEXT) | instid1(VALU_DEP_1)
	v_mul_f32_e32 v90, v91, v89
	v_fma_f32 v92, -v82, v90, v91
	s_delay_alu instid0(VALU_DEP_1) | instskip(NEXT) | instid1(VALU_DEP_1)
	v_fmac_f32_e32 v90, v92, v89
	v_fma_f32 v82, -v82, v90, v91
	s_delay_alu instid0(VALU_DEP_1) | instskip(NEXT) | instid1(VALU_DEP_1)
	v_div_fmas_f32 v82, v82, v89, v90
	v_div_fixup_f32 v83, v82, v83, 1.0
	s_delay_alu instid0(VALU_DEP_1)
	v_mul_f32_e32 v82, v81, v83
	v_xor_b32_e32 v83, 0x80000000, v83
.LBB72_238:
	s_and_not1_saveexec_b32 s1, s1
	s_cbranch_execz .LBB72_240
; %bb.239:
	s_delay_alu instid0(VALU_DEP_1) | instskip(SKIP_1) | instid1(VALU_DEP_2)
	v_div_scale_f32 v81, null, v82, v82, v83
	v_div_scale_f32 v91, vcc_lo, v83, v82, v83
	v_rcp_f32_e32 v89, v81
	v_nop
	s_delay_alu instid0(TRANS32_DEP_1) | instskip(NEXT) | instid1(VALU_DEP_1)
	v_fma_f32 v90, -v81, v89, 1.0
	v_fmac_f32_e32 v89, v90, v89
	s_delay_alu instid0(VALU_DEP_1) | instskip(NEXT) | instid1(VALU_DEP_1)
	v_mul_f32_e32 v90, v91, v89
	v_fma_f32 v92, -v81, v90, v91
	s_delay_alu instid0(VALU_DEP_1) | instskip(NEXT) | instid1(VALU_DEP_1)
	v_fmac_f32_e32 v90, v92, v89
	v_fma_f32 v81, -v81, v90, v91
	s_delay_alu instid0(VALU_DEP_1) | instskip(NEXT) | instid1(VALU_DEP_1)
	v_div_fmas_f32 v81, v81, v89, v90
	v_div_fixup_f32 v81, v81, v82, v83
	s_delay_alu instid0(VALU_DEP_1) | instskip(NEXT) | instid1(VALU_DEP_1)
	v_fmac_f32_e32 v82, v83, v81
	v_div_scale_f32 v83, null, v82, v82, 1.0
	s_delay_alu instid0(VALU_DEP_1) | instskip(SKIP_1) | instid1(TRANS32_DEP_1)
	v_rcp_f32_e32 v89, v83
	v_nop
	v_fma_f32 v90, -v83, v89, 1.0
	s_delay_alu instid0(VALU_DEP_1) | instskip(SKIP_1) | instid1(VALU_DEP_1)
	v_fmac_f32_e32 v89, v90, v89
	v_div_scale_f32 v90, vcc_lo, 1.0, v82, 1.0
	v_mul_f32_e32 v91, v90, v89
	s_delay_alu instid0(VALU_DEP_1) | instskip(NEXT) | instid1(VALU_DEP_1)
	v_fma_f32 v92, -v83, v91, v90
	v_fmac_f32_e32 v91, v92, v89
	s_delay_alu instid0(VALU_DEP_1) | instskip(NEXT) | instid1(VALU_DEP_1)
	v_fma_f32 v83, -v83, v91, v90
	v_div_fmas_f32 v83, v83, v89, v91
	s_delay_alu instid0(VALU_DEP_1) | instskip(NEXT) | instid1(VALU_DEP_1)
	v_div_fixup_f32 v82, v83, v82, 1.0
	v_mul_f32_e64 v83, v81, -v82
.LBB72_240:
	s_or_b32 exec_lo, exec_lo, s1
.LBB72_241:
	s_delay_alu instid0(SALU_CYCLE_1) | instskip(NEXT) | instid1(SALU_CYCLE_1)
	s_or_b32 exec_lo, exec_lo, s0
	s_mov_b32 s0, exec_lo
	v_cmpx_ne_u32_e64 v88, v80
	s_xor_b32 s0, exec_lo, s0
	s_cbranch_execz .LBB72_247
; %bb.242:
	s_mov_b32 s1, exec_lo
	v_cmpx_eq_u32_e32 11, v88
	s_cbranch_execz .LBB72_246
; %bb.243:
	v_cmp_ne_u32_e32 vcc_lo, 11, v80
	s_xor_b32 s12, s16, -1
	s_delay_alu instid0(SALU_CYCLE_1) | instskip(NEXT) | instid1(SALU_CYCLE_1)
	s_and_b32 s13, s12, vcc_lo
	s_and_saveexec_b32 s12, s13
	s_cbranch_execz .LBB72_245
; %bb.244:
	v_ashrrev_i32_e32 v81, 31, v80
	s_delay_alu instid0(VALU_DEP_1)
	v_lshl_add_u64 v[88:89], v[80:81], 2, v[4:5]
	s_clause 0x1
	global_load_b32 v81, v[88:89], off
	global_load_b32 v87, v[4:5], off offset:44
	s_wait_loadcnt 0x1
	global_store_b32 v[4:5], v81, off offset:44
	s_wait_loadcnt 0x0
	global_store_b32 v[88:89], v87, off
.LBB72_245:
	s_wait_xcnt 0x0
	s_or_b32 exec_lo, exec_lo, s12
	v_dual_mov_b32 v88, v80 :: v_dual_mov_b32 v87, v80
.LBB72_246:
	s_or_b32 exec_lo, exec_lo, s1
.LBB72_247:
	s_and_not1_saveexec_b32 s0, s0
	s_cbranch_execz .LBB72_249
; %bb.248:
	v_dual_mov_b32 v80, v42 :: v_dual_mov_b32 v81, v43
	v_dual_mov_b32 v88, v38 :: v_dual_mov_b32 v89, v39
	;; [unrolled: 1-line block ×4, first 2 shown]
	ds_store_2addr_b64 v84, v[80:81], v[88:89] offset0:12 offset1:13
	ds_store_2addr_b64 v84, v[90:91], v[92:93] offset0:14 offset1:15
	v_dual_mov_b32 v80, v68 :: v_dual_mov_b32 v81, v69
	v_dual_mov_b32 v88, v64 :: v_dual_mov_b32 v89, v65
	;; [unrolled: 1-line block ×12, first 2 shown]
	ds_store_2addr_b64 v84, v[80:81], v[88:89] offset0:16 offset1:17
	ds_store_2addr_b64 v84, v[90:91], v[92:93] offset0:18 offset1:19
	;; [unrolled: 1-line block ×6, first 2 shown]
	v_dual_mov_b32 v80, v14 :: v_dual_mov_b32 v81, v15
	v_dual_mov_b32 v90, v10 :: v_dual_mov_b32 v91, v11
	;; [unrolled: 1-line block ×8, first 2 shown]
	v_mov_b32_e32 v103, v17
	ds_store_2addr_b64 v84, v[80:81], v[90:91] offset0:28 offset1:29
	ds_store_2addr_b64 v84, v[92:93], v[94:95] offset0:30 offset1:31
	;; [unrolled: 1-line block ×4, first 2 shown]
	ds_store_b64 v84, v[78:79] offset:288
.LBB72_249:
	s_or_b32 exec_lo, exec_lo, s0
	s_delay_alu instid0(SALU_CYCLE_1)
	s_mov_b32 s0, exec_lo
	s_wait_storecnt_dscnt 0x0
	s_barrier_signal -1
	s_barrier_wait -1
	v_cmpx_lt_i32_e32 11, v88
	s_cbranch_execz .LBB72_251
; %bb.250:
	v_pk_mul_f32 v[90:91], v[82:83], v[26:27] op_sel:[1,1] op_sel_hi:[0,1]
	s_delay_alu instid0(VALU_DEP_1)
	v_pk_fma_f32 v[80:81], v[82:83], v[26:27], v[90:91] op_sel_hi:[1,0,1] neg_lo:[0,0,1] neg_hi:[0,0,1]
	v_pk_fma_f32 v[82:83], v[82:83], v[26:27], v[90:91] op_sel_hi:[1,0,1]
	ds_load_2addr_b64 v[90:93], v84 offset0:12 offset1:13
	v_dual_mov_b32 v26, v80 :: v_dual_mov_b32 v27, v83
	s_wait_dscnt 0x0
	v_pk_mul_f32 v[94:95], v[90:91], v[82:83] op_sel:[0,1]
	s_delay_alu instid0(VALU_DEP_1) | instskip(SKIP_1) | instid1(VALU_DEP_1)
	v_pk_fma_f32 v[96:97], v[90:91], v[80:81], v[94:95] op_sel:[0,0,1] op_sel_hi:[1,1,0] neg_lo:[0,0,1] neg_hi:[0,0,1]
	v_pk_fma_f32 v[90:91], v[90:91], v[80:81], v[94:95] op_sel:[0,0,1] op_sel_hi:[1,0,0]
	v_mov_b32_e32 v97, v91
	v_pk_mul_f32 v[90:91], v[92:93], v[82:83] op_sel:[0,1]
	s_delay_alu instid0(VALU_DEP_1) | instskip(SKIP_1) | instid1(VALU_DEP_1)
	v_pk_fma_f32 v[94:95], v[92:93], v[80:81], v[90:91] op_sel:[0,0,1] op_sel_hi:[1,1,0] neg_lo:[0,0,1] neg_hi:[0,0,1]
	v_pk_fma_f32 v[90:91], v[92:93], v[80:81], v[90:91] op_sel:[0,0,1] op_sel_hi:[1,0,0]
	v_mov_b32_e32 v95, v91
	ds_load_2addr_b64 v[90:93], v84 offset0:14 offset1:15
	v_pk_add_f32 v[42:43], v[42:43], v[96:97] neg_lo:[0,1] neg_hi:[0,1]
	v_pk_add_f32 v[38:39], v[38:39], v[94:95] neg_lo:[0,1] neg_hi:[0,1]
	s_wait_dscnt 0x0
	v_pk_mul_f32 v[94:95], v[90:91], v[82:83] op_sel:[0,1]
	s_delay_alu instid0(VALU_DEP_1) | instskip(SKIP_2) | instid1(VALU_DEP_2)
	v_pk_fma_f32 v[96:97], v[90:91], v[80:81], v[94:95] op_sel:[0,0,1] op_sel_hi:[1,1,0] neg_lo:[0,0,1] neg_hi:[0,0,1]
	v_pk_fma_f32 v[90:91], v[90:91], v[80:81], v[94:95] op_sel:[0,0,1] op_sel_hi:[1,0,0]
	v_dual_mul_f32 v94, v93, v83 :: v_dual_mov_b32 v90, v93
	v_dual_mov_b32 v97, v91 :: v_dual_mov_b32 v91, v92
	s_delay_alu instid0(VALU_DEP_2) | instskip(SKIP_1) | instid1(VALU_DEP_3)
	v_pk_fma_f32 v[94:95], v[92:93], v[26:27], v[94:95] op_sel_hi:[1,1,0] neg_lo:[0,0,1] neg_hi:[0,0,1]
	v_mul_f32_e32 v92, v93, v80
	v_pk_add_f32 v[40:41], v[40:41], v[96:97] neg_lo:[0,1] neg_hi:[0,1]
	s_delay_alu instid0(VALU_DEP_2) | instskip(NEXT) | instid1(VALU_DEP_1)
	v_pk_fma_f32 v[90:91], v[90:91], v[26:27], v[92:93] op_sel_hi:[1,1,0]
	v_mov_b32_e32 v95, v91
	ds_load_2addr_b64 v[90:93], v84 offset0:16 offset1:17
	v_pk_add_f32 v[36:37], v[36:37], v[94:95] neg_lo:[0,1] neg_hi:[0,1]
	s_wait_dscnt 0x0
	v_pk_mul_f32 v[94:95], v[90:91], v[82:83] op_sel:[0,1]
	s_delay_alu instid0(VALU_DEP_1) | instskip(SKIP_1) | instid1(VALU_DEP_1)
	v_pk_fma_f32 v[96:97], v[90:91], v[80:81], v[94:95] op_sel:[0,0,1] op_sel_hi:[1,1,0] neg_lo:[0,0,1] neg_hi:[0,0,1]
	v_pk_fma_f32 v[90:91], v[90:91], v[80:81], v[94:95] op_sel:[0,0,1] op_sel_hi:[1,0,0]
	v_mov_b32_e32 v97, v91
	v_pk_mul_f32 v[90:91], v[92:93], v[82:83] op_sel:[0,1]
	s_delay_alu instid0(VALU_DEP_1) | instskip(SKIP_1) | instid1(VALU_DEP_1)
	v_pk_fma_f32 v[94:95], v[92:93], v[80:81], v[90:91] op_sel:[0,0,1] op_sel_hi:[1,1,0] neg_lo:[0,0,1] neg_hi:[0,0,1]
	v_pk_fma_f32 v[90:91], v[92:93], v[80:81], v[90:91] op_sel:[0,0,1] op_sel_hi:[1,0,0]
	v_mov_b32_e32 v95, v91
	ds_load_2addr_b64 v[90:93], v84 offset0:18 offset1:19
	v_pk_add_f32 v[68:69], v[68:69], v[96:97] neg_lo:[0,1] neg_hi:[0,1]
	v_pk_add_f32 v[64:65], v[64:65], v[94:95] neg_lo:[0,1] neg_hi:[0,1]
	s_wait_dscnt 0x0
	v_pk_mul_f32 v[94:95], v[90:91], v[82:83] op_sel:[0,1]
	s_delay_alu instid0(VALU_DEP_1) | instskip(SKIP_1) | instid1(VALU_DEP_1)
	v_pk_fma_f32 v[96:97], v[90:91], v[80:81], v[94:95] op_sel:[0,0,1] op_sel_hi:[1,1,0] neg_lo:[0,0,1] neg_hi:[0,0,1]
	v_pk_fma_f32 v[90:91], v[90:91], v[80:81], v[94:95] op_sel:[0,0,1] op_sel_hi:[1,0,0]
	v_mov_b32_e32 v97, v91
	v_pk_mul_f32 v[90:91], v[92:93], v[82:83] op_sel:[0,1]
	s_delay_alu instid0(VALU_DEP_1) | instskip(SKIP_1) | instid1(VALU_DEP_1)
	v_pk_fma_f32 v[94:95], v[92:93], v[80:81], v[90:91] op_sel:[0,0,1] op_sel_hi:[1,1,0] neg_lo:[0,0,1] neg_hi:[0,0,1]
	v_pk_fma_f32 v[90:91], v[92:93], v[80:81], v[90:91] op_sel:[0,0,1] op_sel_hi:[1,0,0]
	v_mov_b32_e32 v95, v91
	ds_load_2addr_b64 v[90:93], v84 offset0:20 offset1:21
	v_pk_add_f32 v[66:67], v[66:67], v[96:97] neg_lo:[0,1] neg_hi:[0,1]
	v_pk_add_f32 v[62:63], v[62:63], v[94:95] neg_lo:[0,1] neg_hi:[0,1]
	s_wait_dscnt 0x0
	v_dual_mul_f32 v94, v91, v83 :: v_dual_mul_f32 v96, v91, v80
	s_delay_alu instid0(VALU_DEP_1) | instskip(NEXT) | instid1(VALU_DEP_2)
	v_pk_fma_f32 v[94:95], v[90:91], v[26:27], v[94:95] op_sel_hi:[1,1,0] neg_lo:[0,0,1] neg_hi:[0,0,1]
	v_pk_fma_f32 v[90:91], v[90:91], v[26:27], v[96:97] op_sel:[1,0,0] op_sel_hi:[0,1,0]
	s_delay_alu instid0(VALU_DEP_1) | instskip(SKIP_1) | instid1(VALU_DEP_2)
	v_mov_b32_e32 v95, v91
	v_pk_mul_f32 v[90:91], v[92:93], v[82:83] op_sel:[0,1]
	v_pk_add_f32 v[60:61], v[60:61], v[94:95] neg_lo:[0,1] neg_hi:[0,1]
	s_delay_alu instid0(VALU_DEP_2) | instskip(SKIP_1) | instid1(VALU_DEP_1)
	v_pk_fma_f32 v[94:95], v[92:93], v[80:81], v[90:91] op_sel:[0,0,1] op_sel_hi:[1,1,0] neg_lo:[0,0,1] neg_hi:[0,0,1]
	v_pk_fma_f32 v[90:91], v[92:93], v[80:81], v[90:91] op_sel:[0,0,1] op_sel_hi:[1,0,0]
	v_mov_b32_e32 v95, v91
	ds_load_2addr_b64 v[90:93], v84 offset0:22 offset1:23
	v_pk_add_f32 v[56:57], v[56:57], v[94:95] neg_lo:[0,1] neg_hi:[0,1]
	s_wait_dscnt 0x0
	v_pk_mul_f32 v[94:95], v[90:91], v[82:83] op_sel:[0,1]
	s_delay_alu instid0(VALU_DEP_1) | instskip(SKIP_1) | instid1(VALU_DEP_1)
	v_pk_fma_f32 v[96:97], v[90:91], v[80:81], v[94:95] op_sel:[0,0,1] op_sel_hi:[1,1,0] neg_lo:[0,0,1] neg_hi:[0,0,1]
	v_pk_fma_f32 v[90:91], v[90:91], v[80:81], v[94:95] op_sel:[0,0,1] op_sel_hi:[1,0,0]
	v_mov_b32_e32 v97, v91
	v_pk_mul_f32 v[90:91], v[92:93], v[82:83] op_sel:[0,1]
	s_delay_alu instid0(VALU_DEP_2) | instskip(NEXT) | instid1(VALU_DEP_2)
	v_pk_add_f32 v[58:59], v[58:59], v[96:97] neg_lo:[0,1] neg_hi:[0,1]
	v_pk_fma_f32 v[94:95], v[92:93], v[80:81], v[90:91] op_sel:[0,0,1] op_sel_hi:[1,1,0] neg_lo:[0,0,1] neg_hi:[0,0,1]
	v_pk_fma_f32 v[90:91], v[92:93], v[80:81], v[90:91] op_sel:[0,0,1] op_sel_hi:[1,0,0]
	s_delay_alu instid0(VALU_DEP_1) | instskip(SKIP_4) | instid1(VALU_DEP_1)
	v_mov_b32_e32 v95, v91
	ds_load_2addr_b64 v[90:93], v84 offset0:24 offset1:25
	v_pk_add_f32 v[54:55], v[54:55], v[94:95] neg_lo:[0,1] neg_hi:[0,1]
	s_wait_dscnt 0x0
	v_pk_mul_f32 v[94:95], v[90:91], v[82:83] op_sel:[0,1]
	v_pk_fma_f32 v[96:97], v[90:91], v[80:81], v[94:95] op_sel:[0,0,1] op_sel_hi:[1,1,0] neg_lo:[0,0,1] neg_hi:[0,0,1]
	v_pk_fma_f32 v[90:91], v[90:91], v[80:81], v[94:95] op_sel:[0,0,1] op_sel_hi:[1,0,0]
	v_dual_mul_f32 v94, v93, v83 :: v_dual_mov_b32 v90, v93
	s_delay_alu instid0(VALU_DEP_2) | instskip(NEXT) | instid1(VALU_DEP_2)
	v_dual_mov_b32 v97, v91 :: v_dual_mov_b32 v91, v92
	v_pk_fma_f32 v[94:95], v[92:93], v[26:27], v[94:95] op_sel_hi:[1,1,0] neg_lo:[0,0,1] neg_hi:[0,0,1]
	v_mul_f32_e32 v92, v93, v80
	s_delay_alu instid0(VALU_DEP_3) | instskip(NEXT) | instid1(VALU_DEP_2)
	v_pk_add_f32 v[50:51], v[50:51], v[96:97] neg_lo:[0,1] neg_hi:[0,1]
	v_pk_fma_f32 v[90:91], v[90:91], v[26:27], v[92:93] op_sel_hi:[1,1,0]
	s_delay_alu instid0(VALU_DEP_1) | instskip(SKIP_4) | instid1(VALU_DEP_1)
	v_mov_b32_e32 v95, v91
	ds_load_2addr_b64 v[90:93], v84 offset0:26 offset1:27
	v_pk_add_f32 v[46:47], v[46:47], v[94:95] neg_lo:[0,1] neg_hi:[0,1]
	s_wait_dscnt 0x0
	v_pk_mul_f32 v[94:95], v[90:91], v[82:83] op_sel:[0,1]
	v_pk_fma_f32 v[96:97], v[90:91], v[80:81], v[94:95] op_sel:[0,0,1] op_sel_hi:[1,1,0] neg_lo:[0,0,1] neg_hi:[0,0,1]
	v_pk_fma_f32 v[90:91], v[90:91], v[80:81], v[94:95] op_sel:[0,0,1] op_sel_hi:[1,0,0]
	s_delay_alu instid0(VALU_DEP_1) | instskip(SKIP_1) | instid1(VALU_DEP_1)
	v_mov_b32_e32 v97, v91
	v_pk_mul_f32 v[90:91], v[92:93], v[82:83] op_sel:[0,1]
	v_pk_fma_f32 v[94:95], v[92:93], v[80:81], v[90:91] op_sel:[0,0,1] op_sel_hi:[1,1,0] neg_lo:[0,0,1] neg_hi:[0,0,1]
	v_pk_fma_f32 v[90:91], v[92:93], v[80:81], v[90:91] op_sel:[0,0,1] op_sel_hi:[1,0,0]
	s_delay_alu instid0(VALU_DEP_1)
	v_mov_b32_e32 v95, v91
	ds_load_2addr_b64 v[90:93], v84 offset0:28 offset1:29
	v_pk_add_f32 v[48:49], v[48:49], v[96:97] neg_lo:[0,1] neg_hi:[0,1]
	v_pk_add_f32 v[44:45], v[44:45], v[94:95] neg_lo:[0,1] neg_hi:[0,1]
	s_wait_dscnt 0x0
	v_pk_mul_f32 v[94:95], v[90:91], v[82:83] op_sel:[0,1]
	s_delay_alu instid0(VALU_DEP_1) | instskip(SKIP_1) | instid1(VALU_DEP_1)
	v_pk_fma_f32 v[96:97], v[90:91], v[80:81], v[94:95] op_sel:[0,0,1] op_sel_hi:[1,1,0] neg_lo:[0,0,1] neg_hi:[0,0,1]
	v_pk_fma_f32 v[90:91], v[90:91], v[80:81], v[94:95] op_sel:[0,0,1] op_sel_hi:[1,0,0]
	v_mov_b32_e32 v97, v91
	v_pk_mul_f32 v[90:91], v[92:93], v[82:83] op_sel:[0,1]
	s_delay_alu instid0(VALU_DEP_1) | instskip(SKIP_1) | instid1(VALU_DEP_1)
	v_pk_fma_f32 v[94:95], v[92:93], v[80:81], v[90:91] op_sel:[0,0,1] op_sel_hi:[1,1,0] neg_lo:[0,0,1] neg_hi:[0,0,1]
	v_pk_fma_f32 v[90:91], v[92:93], v[80:81], v[90:91] op_sel:[0,0,1] op_sel_hi:[1,0,0]
	v_mov_b32_e32 v95, v91
	ds_load_2addr_b64 v[90:93], v84 offset0:30 offset1:31
	v_pk_add_f32 v[14:15], v[14:15], v[96:97] neg_lo:[0,1] neg_hi:[0,1]
	v_pk_add_f32 v[10:11], v[10:11], v[94:95] neg_lo:[0,1] neg_hi:[0,1]
	s_wait_dscnt 0x0
	v_dual_mul_f32 v94, v91, v83 :: v_dual_mul_f32 v96, v91, v80
	s_delay_alu instid0(VALU_DEP_1) | instskip(NEXT) | instid1(VALU_DEP_2)
	v_pk_fma_f32 v[94:95], v[90:91], v[26:27], v[94:95] op_sel_hi:[1,1,0] neg_lo:[0,0,1] neg_hi:[0,0,1]
	v_pk_fma_f32 v[90:91], v[90:91], v[26:27], v[96:97] op_sel:[1,0,0] op_sel_hi:[0,1,0]
	s_delay_alu instid0(VALU_DEP_1) | instskip(SKIP_1) | instid1(VALU_DEP_2)
	v_mov_b32_e32 v95, v91
	v_pk_mul_f32 v[90:91], v[92:93], v[82:83] op_sel:[0,1]
	v_pk_add_f32 v[12:13], v[12:13], v[94:95] neg_lo:[0,1] neg_hi:[0,1]
	s_delay_alu instid0(VALU_DEP_2) | instskip(SKIP_1) | instid1(VALU_DEP_1)
	v_pk_fma_f32 v[94:95], v[92:93], v[80:81], v[90:91] op_sel:[0,0,1] op_sel_hi:[1,1,0] neg_lo:[0,0,1] neg_hi:[0,0,1]
	v_pk_fma_f32 v[90:91], v[92:93], v[80:81], v[90:91] op_sel:[0,0,1] op_sel_hi:[1,0,0]
	v_mov_b32_e32 v95, v91
	ds_load_2addr_b64 v[90:93], v84 offset0:32 offset1:33
	v_pk_add_f32 v[8:9], v[8:9], v[94:95] neg_lo:[0,1] neg_hi:[0,1]
	s_wait_dscnt 0x0
	v_pk_mul_f32 v[94:95], v[90:91], v[82:83] op_sel:[0,1]
	s_delay_alu instid0(VALU_DEP_1) | instskip(SKIP_1) | instid1(VALU_DEP_1)
	v_pk_fma_f32 v[96:97], v[90:91], v[80:81], v[94:95] op_sel:[0,0,1] op_sel_hi:[1,1,0] neg_lo:[0,0,1] neg_hi:[0,0,1]
	v_pk_fma_f32 v[90:91], v[90:91], v[80:81], v[94:95] op_sel:[0,0,1] op_sel_hi:[1,0,0]
	v_mov_b32_e32 v97, v91
	v_pk_mul_f32 v[90:91], v[92:93], v[82:83] op_sel:[0,1]
	s_delay_alu instid0(VALU_DEP_2) | instskip(NEXT) | instid1(VALU_DEP_2)
	v_pk_add_f32 v[6:7], v[6:7], v[96:97] neg_lo:[0,1] neg_hi:[0,1]
	v_pk_fma_f32 v[94:95], v[92:93], v[80:81], v[90:91] op_sel:[0,0,1] op_sel_hi:[1,1,0] neg_lo:[0,0,1] neg_hi:[0,0,1]
	v_pk_fma_f32 v[90:91], v[92:93], v[80:81], v[90:91] op_sel:[0,0,1] op_sel_hi:[1,0,0]
	s_delay_alu instid0(VALU_DEP_1) | instskip(SKIP_4) | instid1(VALU_DEP_1)
	v_mov_b32_e32 v95, v91
	ds_load_2addr_b64 v[90:93], v84 offset0:34 offset1:35
	v_pk_add_f32 v[52:53], v[52:53], v[94:95] neg_lo:[0,1] neg_hi:[0,1]
	s_wait_dscnt 0x0
	v_pk_mul_f32 v[94:95], v[90:91], v[82:83] op_sel:[0,1]
	v_pk_fma_f32 v[96:97], v[90:91], v[80:81], v[94:95] op_sel:[0,0,1] op_sel_hi:[1,1,0] neg_lo:[0,0,1] neg_hi:[0,0,1]
	v_pk_fma_f32 v[90:91], v[90:91], v[80:81], v[94:95] op_sel:[0,0,1] op_sel_hi:[1,0,0]
	v_dual_mul_f32 v94, v93, v83 :: v_dual_mov_b32 v90, v93
	s_delay_alu instid0(VALU_DEP_2) | instskip(NEXT) | instid1(VALU_DEP_2)
	v_dual_mov_b32 v97, v91 :: v_dual_mov_b32 v91, v92
	v_pk_fma_f32 v[94:95], v[92:93], v[26:27], v[94:95] op_sel_hi:[1,1,0] neg_lo:[0,0,1] neg_hi:[0,0,1]
	v_mul_f32_e32 v92, v93, v80
	s_delay_alu instid0(VALU_DEP_3) | instskip(NEXT) | instid1(VALU_DEP_2)
	v_pk_add_f32 v[34:35], v[34:35], v[96:97] neg_lo:[0,1] neg_hi:[0,1]
	v_pk_fma_f32 v[90:91], v[90:91], v[26:27], v[92:93] op_sel_hi:[1,1,0]
	s_delay_alu instid0(VALU_DEP_1) | instskip(SKIP_4) | instid1(VALU_DEP_1)
	v_mov_b32_e32 v95, v91
	ds_load_b64 v[90:91], v84 offset:288
	v_pk_add_f32 v[16:17], v[16:17], v[94:95] neg_lo:[0,1] neg_hi:[0,1]
	s_wait_dscnt 0x0
	v_pk_mul_f32 v[82:83], v[90:91], v[82:83] op_sel:[0,1]
	v_pk_fma_f32 v[92:93], v[90:91], v[80:81], v[82:83] op_sel:[0,0,1] op_sel_hi:[1,1,0] neg_lo:[0,0,1] neg_hi:[0,0,1]
	v_pk_fma_f32 v[80:81], v[90:91], v[80:81], v[82:83] op_sel:[0,0,1] op_sel_hi:[1,0,0]
	s_delay_alu instid0(VALU_DEP_1) | instskip(NEXT) | instid1(VALU_DEP_1)
	v_mov_b32_e32 v93, v81
	v_pk_add_f32 v[78:79], v[78:79], v[92:93] neg_lo:[0,1] neg_hi:[0,1]
.LBB72_251:
	s_or_b32 exec_lo, exec_lo, s0
	v_lshl_add_u32 v80, v88, 3, v84
	s_barrier_signal -1
	s_barrier_wait -1
	ds_store_b64 v80, v[42:43]
	s_wait_dscnt 0x0
	s_barrier_signal -1
	s_barrier_wait -1
	ds_load_b64 v[82:83], v84 offset:96
	v_mov_b32_e32 v80, 12
	s_cmp_lt_i32 s18, 14
	s_cbranch_scc1 .LBB72_254
; %bb.252:
	v_add3_u32 v81, v85, 0, 0x68
	v_mov_b32_e32 v80, 12
	s_mov_b32 s0, 13
.LBB72_253:                             ; =>This Inner Loop Header: Depth=1
	ds_load_b64 v[90:91], v81
	s_wait_dscnt 0x1
	v_cmp_gt_f32_e32 vcc_lo, 0, v82
	v_cndmask_b32_e64 v92, v82, -v82, vcc_lo
	v_cmp_gt_f32_e32 vcc_lo, 0, v83
	v_cndmask_b32_e64 v94, v83, -v83, vcc_lo
	s_wait_dscnt 0x0
	v_cmp_gt_f32_e32 vcc_lo, 0, v90
	v_cndmask_b32_e64 v93, v90, -v90, vcc_lo
	v_cmp_gt_f32_e32 vcc_lo, 0, v91
	v_cndmask_b32_e64 v95, v91, -v91, vcc_lo
	s_delay_alu instid0(VALU_DEP_1) | instskip(NEXT) | instid1(VALU_DEP_1)
	v_pk_add_f32 v[92:93], v[92:93], v[94:95]
	v_cmp_lt_f32_e32 vcc_lo, v92, v93
	v_dual_add_nc_u32 v81, 8, v81 :: v_dual_cndmask_b32 v83, v83, v91, vcc_lo
	v_cndmask_b32_e32 v82, v82, v90, vcc_lo
	v_cndmask_b32_e64 v80, v80, s0, vcc_lo
	s_add_co_i32 s0, s0, 1
	s_delay_alu instid0(SALU_CYCLE_1)
	s_cmp_lg_u32 s18, s0
	s_cbranch_scc1 .LBB72_253
.LBB72_254:
	s_wait_dscnt 0x0
	v_cmp_eq_f32_e32 vcc_lo, 0, v82
	v_cmp_eq_f32_e64 s0, 0, v83
	s_and_b32 s0, vcc_lo, s0
	s_delay_alu instid0(SALU_CYCLE_1) | instskip(NEXT) | instid1(SALU_CYCLE_1)
	s_and_saveexec_b32 s1, s0
	s_xor_b32 s0, exec_lo, s1
; %bb.255:
	v_cmp_ne_u32_e32 vcc_lo, 0, v86
	v_cndmask_b32_e32 v86, 13, v86, vcc_lo
; %bb.256:
	s_and_not1_saveexec_b32 s0, s0
	s_cbranch_execz .LBB72_262
; %bb.257:
	v_cmp_ngt_f32_e64 s1, |v82|, |v83|
	s_and_saveexec_b32 s12, s1
	s_delay_alu instid0(SALU_CYCLE_1)
	s_xor_b32 s1, exec_lo, s12
	s_cbranch_execz .LBB72_259
; %bb.258:
	v_div_scale_f32 v81, null, v83, v83, v82
	v_div_scale_f32 v91, vcc_lo, v82, v83, v82
	s_delay_alu instid0(VALU_DEP_2) | instskip(SKIP_1) | instid1(TRANS32_DEP_1)
	v_rcp_f32_e32 v89, v81
	v_nop
	v_fma_f32 v90, -v81, v89, 1.0
	s_delay_alu instid0(VALU_DEP_1) | instskip(NEXT) | instid1(VALU_DEP_1)
	v_fmac_f32_e32 v89, v90, v89
	v_mul_f32_e32 v90, v91, v89
	s_delay_alu instid0(VALU_DEP_1) | instskip(NEXT) | instid1(VALU_DEP_1)
	v_fma_f32 v92, -v81, v90, v91
	v_fmac_f32_e32 v90, v92, v89
	s_delay_alu instid0(VALU_DEP_1) | instskip(NEXT) | instid1(VALU_DEP_1)
	v_fma_f32 v81, -v81, v90, v91
	v_div_fmas_f32 v81, v81, v89, v90
	s_delay_alu instid0(VALU_DEP_1) | instskip(NEXT) | instid1(VALU_DEP_1)
	v_div_fixup_f32 v81, v81, v83, v82
	v_fmac_f32_e32 v83, v82, v81
	s_delay_alu instid0(VALU_DEP_1) | instskip(SKIP_1) | instid1(VALU_DEP_2)
	v_div_scale_f32 v82, null, v83, v83, 1.0
	v_div_scale_f32 v91, vcc_lo, 1.0, v83, 1.0
	v_rcp_f32_e32 v89, v82
	v_nop
	s_delay_alu instid0(TRANS32_DEP_1) | instskip(NEXT) | instid1(VALU_DEP_1)
	v_fma_f32 v90, -v82, v89, 1.0
	v_fmac_f32_e32 v89, v90, v89
	s_delay_alu instid0(VALU_DEP_1) | instskip(NEXT) | instid1(VALU_DEP_1)
	v_mul_f32_e32 v90, v91, v89
	v_fma_f32 v92, -v82, v90, v91
	s_delay_alu instid0(VALU_DEP_1) | instskip(NEXT) | instid1(VALU_DEP_1)
	v_fmac_f32_e32 v90, v92, v89
	v_fma_f32 v82, -v82, v90, v91
	s_delay_alu instid0(VALU_DEP_1) | instskip(NEXT) | instid1(VALU_DEP_1)
	v_div_fmas_f32 v82, v82, v89, v90
	v_div_fixup_f32 v83, v82, v83, 1.0
	s_delay_alu instid0(VALU_DEP_1)
	v_mul_f32_e32 v82, v81, v83
	v_xor_b32_e32 v83, 0x80000000, v83
.LBB72_259:
	s_and_not1_saveexec_b32 s1, s1
	s_cbranch_execz .LBB72_261
; %bb.260:
	s_delay_alu instid0(VALU_DEP_1) | instskip(SKIP_1) | instid1(VALU_DEP_2)
	v_div_scale_f32 v81, null, v82, v82, v83
	v_div_scale_f32 v91, vcc_lo, v83, v82, v83
	v_rcp_f32_e32 v89, v81
	v_nop
	s_delay_alu instid0(TRANS32_DEP_1) | instskip(NEXT) | instid1(VALU_DEP_1)
	v_fma_f32 v90, -v81, v89, 1.0
	v_fmac_f32_e32 v89, v90, v89
	s_delay_alu instid0(VALU_DEP_1) | instskip(NEXT) | instid1(VALU_DEP_1)
	v_mul_f32_e32 v90, v91, v89
	v_fma_f32 v92, -v81, v90, v91
	s_delay_alu instid0(VALU_DEP_1) | instskip(NEXT) | instid1(VALU_DEP_1)
	v_fmac_f32_e32 v90, v92, v89
	v_fma_f32 v81, -v81, v90, v91
	s_delay_alu instid0(VALU_DEP_1) | instskip(NEXT) | instid1(VALU_DEP_1)
	v_div_fmas_f32 v81, v81, v89, v90
	v_div_fixup_f32 v81, v81, v82, v83
	s_delay_alu instid0(VALU_DEP_1) | instskip(NEXT) | instid1(VALU_DEP_1)
	v_fmac_f32_e32 v82, v83, v81
	v_div_scale_f32 v83, null, v82, v82, 1.0
	s_delay_alu instid0(VALU_DEP_1) | instskip(SKIP_1) | instid1(TRANS32_DEP_1)
	v_rcp_f32_e32 v89, v83
	v_nop
	v_fma_f32 v90, -v83, v89, 1.0
	s_delay_alu instid0(VALU_DEP_1) | instskip(SKIP_1) | instid1(VALU_DEP_1)
	v_fmac_f32_e32 v89, v90, v89
	v_div_scale_f32 v90, vcc_lo, 1.0, v82, 1.0
	v_mul_f32_e32 v91, v90, v89
	s_delay_alu instid0(VALU_DEP_1) | instskip(NEXT) | instid1(VALU_DEP_1)
	v_fma_f32 v92, -v83, v91, v90
	v_fmac_f32_e32 v91, v92, v89
	s_delay_alu instid0(VALU_DEP_1) | instskip(NEXT) | instid1(VALU_DEP_1)
	v_fma_f32 v83, -v83, v91, v90
	v_div_fmas_f32 v83, v83, v89, v91
	s_delay_alu instid0(VALU_DEP_1) | instskip(NEXT) | instid1(VALU_DEP_1)
	v_div_fixup_f32 v82, v83, v82, 1.0
	v_mul_f32_e64 v83, v81, -v82
.LBB72_261:
	s_or_b32 exec_lo, exec_lo, s1
.LBB72_262:
	s_delay_alu instid0(SALU_CYCLE_1) | instskip(NEXT) | instid1(SALU_CYCLE_1)
	s_or_b32 exec_lo, exec_lo, s0
	s_mov_b32 s0, exec_lo
	v_cmpx_ne_u32_e64 v88, v80
	s_xor_b32 s0, exec_lo, s0
	s_cbranch_execz .LBB72_268
; %bb.263:
	s_mov_b32 s1, exec_lo
	v_cmpx_eq_u32_e32 12, v88
	s_cbranch_execz .LBB72_267
; %bb.264:
	v_cmp_ne_u32_e32 vcc_lo, 12, v80
	s_xor_b32 s12, s16, -1
	s_delay_alu instid0(SALU_CYCLE_1) | instskip(NEXT) | instid1(SALU_CYCLE_1)
	s_and_b32 s13, s12, vcc_lo
	s_and_saveexec_b32 s12, s13
	s_cbranch_execz .LBB72_266
; %bb.265:
	v_ashrrev_i32_e32 v81, 31, v80
	s_delay_alu instid0(VALU_DEP_1)
	v_lshl_add_u64 v[88:89], v[80:81], 2, v[4:5]
	s_clause 0x1
	global_load_b32 v81, v[88:89], off
	global_load_b32 v87, v[4:5], off offset:48
	s_wait_loadcnt 0x1
	global_store_b32 v[4:5], v81, off offset:48
	s_wait_loadcnt 0x0
	global_store_b32 v[88:89], v87, off
.LBB72_266:
	s_wait_xcnt 0x0
	s_or_b32 exec_lo, exec_lo, s12
	v_dual_mov_b32 v88, v80 :: v_dual_mov_b32 v87, v80
.LBB72_267:
	s_or_b32 exec_lo, exec_lo, s1
.LBB72_268:
	s_and_not1_saveexec_b32 s0, s0
	s_cbranch_execz .LBB72_270
; %bb.269:
	v_mov_b32_e32 v88, 12
	ds_store_2addr_b64 v84, v[38:39], v[40:41] offset0:13 offset1:14
	ds_store_2addr_b64 v84, v[36:37], v[68:69] offset0:15 offset1:16
	;; [unrolled: 1-line block ×12, first 2 shown]
.LBB72_270:
	s_or_b32 exec_lo, exec_lo, s0
	s_delay_alu instid0(SALU_CYCLE_1)
	s_mov_b32 s0, exec_lo
	s_wait_storecnt_dscnt 0x0
	s_barrier_signal -1
	s_barrier_wait -1
	v_cmpx_lt_i32_e32 12, v88
	s_cbranch_execz .LBB72_272
; %bb.271:
	v_pk_mul_f32 v[90:91], v[82:83], v[42:43] op_sel:[1,1] op_sel_hi:[0,1]
	s_delay_alu instid0(VALU_DEP_1)
	v_pk_fma_f32 v[80:81], v[82:83], v[42:43], v[90:91] op_sel_hi:[1,0,1] neg_lo:[0,0,1] neg_hi:[0,0,1]
	v_pk_fma_f32 v[82:83], v[82:83], v[42:43], v[90:91] op_sel_hi:[1,0,1]
	ds_load_2addr_b64 v[90:93], v84 offset0:13 offset1:14
	v_dual_mov_b32 v42, v80 :: v_dual_mov_b32 v43, v83
	s_wait_dscnt 0x0
	v_pk_mul_f32 v[94:95], v[90:91], v[82:83] op_sel:[0,1]
	s_delay_alu instid0(VALU_DEP_1) | instskip(SKIP_1) | instid1(VALU_DEP_1)
	v_pk_fma_f32 v[96:97], v[90:91], v[80:81], v[94:95] op_sel:[0,0,1] op_sel_hi:[1,1,0] neg_lo:[0,0,1] neg_hi:[0,0,1]
	v_pk_fma_f32 v[90:91], v[90:91], v[80:81], v[94:95] op_sel:[0,0,1] op_sel_hi:[1,0,0]
	v_mov_b32_e32 v97, v91
	v_pk_mul_f32 v[90:91], v[92:93], v[82:83] op_sel:[0,1]
	s_delay_alu instid0(VALU_DEP_1) | instskip(SKIP_1) | instid1(VALU_DEP_1)
	v_pk_fma_f32 v[94:95], v[92:93], v[80:81], v[90:91] op_sel:[0,0,1] op_sel_hi:[1,1,0] neg_lo:[0,0,1] neg_hi:[0,0,1]
	v_pk_fma_f32 v[90:91], v[92:93], v[80:81], v[90:91] op_sel:[0,0,1] op_sel_hi:[1,0,0]
	v_mov_b32_e32 v95, v91
	ds_load_2addr_b64 v[90:93], v84 offset0:15 offset1:16
	v_pk_add_f32 v[38:39], v[38:39], v[96:97] neg_lo:[0,1] neg_hi:[0,1]
	v_pk_add_f32 v[40:41], v[40:41], v[94:95] neg_lo:[0,1] neg_hi:[0,1]
	s_wait_dscnt 0x0
	v_pk_mul_f32 v[94:95], v[90:91], v[82:83] op_sel:[0,1]
	s_delay_alu instid0(VALU_DEP_1) | instskip(SKIP_2) | instid1(VALU_DEP_2)
	v_pk_fma_f32 v[96:97], v[90:91], v[80:81], v[94:95] op_sel:[0,0,1] op_sel_hi:[1,1,0] neg_lo:[0,0,1] neg_hi:[0,0,1]
	v_pk_fma_f32 v[90:91], v[90:91], v[80:81], v[94:95] op_sel:[0,0,1] op_sel_hi:[1,0,0]
	v_dual_mul_f32 v94, v93, v83 :: v_dual_mov_b32 v90, v93
	v_dual_mov_b32 v97, v91 :: v_dual_mov_b32 v91, v92
	s_delay_alu instid0(VALU_DEP_2) | instskip(SKIP_1) | instid1(VALU_DEP_3)
	v_pk_fma_f32 v[94:95], v[92:93], v[42:43], v[94:95] op_sel_hi:[1,1,0] neg_lo:[0,0,1] neg_hi:[0,0,1]
	v_mul_f32_e32 v92, v93, v80
	v_pk_add_f32 v[36:37], v[36:37], v[96:97] neg_lo:[0,1] neg_hi:[0,1]
	s_delay_alu instid0(VALU_DEP_2) | instskip(NEXT) | instid1(VALU_DEP_1)
	v_pk_fma_f32 v[90:91], v[90:91], v[42:43], v[92:93] op_sel_hi:[1,1,0]
	v_mov_b32_e32 v95, v91
	ds_load_2addr_b64 v[90:93], v84 offset0:17 offset1:18
	v_pk_add_f32 v[68:69], v[68:69], v[94:95] neg_lo:[0,1] neg_hi:[0,1]
	s_wait_dscnt 0x0
	v_pk_mul_f32 v[94:95], v[90:91], v[82:83] op_sel:[0,1]
	s_delay_alu instid0(VALU_DEP_1) | instskip(SKIP_1) | instid1(VALU_DEP_1)
	v_pk_fma_f32 v[96:97], v[90:91], v[80:81], v[94:95] op_sel:[0,0,1] op_sel_hi:[1,1,0] neg_lo:[0,0,1] neg_hi:[0,0,1]
	v_pk_fma_f32 v[90:91], v[90:91], v[80:81], v[94:95] op_sel:[0,0,1] op_sel_hi:[1,0,0]
	v_mov_b32_e32 v97, v91
	v_pk_mul_f32 v[90:91], v[92:93], v[82:83] op_sel:[0,1]
	s_delay_alu instid0(VALU_DEP_1) | instskip(SKIP_1) | instid1(VALU_DEP_1)
	v_pk_fma_f32 v[94:95], v[92:93], v[80:81], v[90:91] op_sel:[0,0,1] op_sel_hi:[1,1,0] neg_lo:[0,0,1] neg_hi:[0,0,1]
	v_pk_fma_f32 v[90:91], v[92:93], v[80:81], v[90:91] op_sel:[0,0,1] op_sel_hi:[1,0,0]
	v_mov_b32_e32 v95, v91
	ds_load_2addr_b64 v[90:93], v84 offset0:19 offset1:20
	v_pk_add_f32 v[64:65], v[64:65], v[96:97] neg_lo:[0,1] neg_hi:[0,1]
	v_pk_add_f32 v[66:67], v[66:67], v[94:95] neg_lo:[0,1] neg_hi:[0,1]
	s_wait_dscnt 0x0
	v_pk_mul_f32 v[94:95], v[90:91], v[82:83] op_sel:[0,1]
	s_delay_alu instid0(VALU_DEP_1) | instskip(SKIP_1) | instid1(VALU_DEP_1)
	v_pk_fma_f32 v[96:97], v[90:91], v[80:81], v[94:95] op_sel:[0,0,1] op_sel_hi:[1,1,0] neg_lo:[0,0,1] neg_hi:[0,0,1]
	v_pk_fma_f32 v[90:91], v[90:91], v[80:81], v[94:95] op_sel:[0,0,1] op_sel_hi:[1,0,0]
	v_mov_b32_e32 v97, v91
	v_pk_mul_f32 v[90:91], v[92:93], v[82:83] op_sel:[0,1]
	s_delay_alu instid0(VALU_DEP_1) | instskip(SKIP_1) | instid1(VALU_DEP_1)
	v_pk_fma_f32 v[94:95], v[92:93], v[80:81], v[90:91] op_sel:[0,0,1] op_sel_hi:[1,1,0] neg_lo:[0,0,1] neg_hi:[0,0,1]
	v_pk_fma_f32 v[90:91], v[92:93], v[80:81], v[90:91] op_sel:[0,0,1] op_sel_hi:[1,0,0]
	v_mov_b32_e32 v95, v91
	ds_load_2addr_b64 v[90:93], v84 offset0:21 offset1:22
	v_pk_add_f32 v[62:63], v[62:63], v[96:97] neg_lo:[0,1] neg_hi:[0,1]
	v_pk_add_f32 v[60:61], v[60:61], v[94:95] neg_lo:[0,1] neg_hi:[0,1]
	s_wait_dscnt 0x0
	v_dual_mul_f32 v94, v91, v83 :: v_dual_mul_f32 v96, v91, v80
	s_delay_alu instid0(VALU_DEP_1) | instskip(NEXT) | instid1(VALU_DEP_2)
	v_pk_fma_f32 v[94:95], v[90:91], v[42:43], v[94:95] op_sel_hi:[1,1,0] neg_lo:[0,0,1] neg_hi:[0,0,1]
	v_pk_fma_f32 v[90:91], v[90:91], v[42:43], v[96:97] op_sel:[1,0,0] op_sel_hi:[0,1,0]
	s_delay_alu instid0(VALU_DEP_1) | instskip(SKIP_1) | instid1(VALU_DEP_2)
	v_mov_b32_e32 v95, v91
	v_pk_mul_f32 v[90:91], v[92:93], v[82:83] op_sel:[0,1]
	v_pk_add_f32 v[56:57], v[56:57], v[94:95] neg_lo:[0,1] neg_hi:[0,1]
	s_delay_alu instid0(VALU_DEP_2) | instskip(SKIP_1) | instid1(VALU_DEP_1)
	v_pk_fma_f32 v[94:95], v[92:93], v[80:81], v[90:91] op_sel:[0,0,1] op_sel_hi:[1,1,0] neg_lo:[0,0,1] neg_hi:[0,0,1]
	v_pk_fma_f32 v[90:91], v[92:93], v[80:81], v[90:91] op_sel:[0,0,1] op_sel_hi:[1,0,0]
	v_mov_b32_e32 v95, v91
	ds_load_2addr_b64 v[90:93], v84 offset0:23 offset1:24
	v_pk_add_f32 v[58:59], v[58:59], v[94:95] neg_lo:[0,1] neg_hi:[0,1]
	s_wait_dscnt 0x0
	v_pk_mul_f32 v[94:95], v[90:91], v[82:83] op_sel:[0,1]
	s_delay_alu instid0(VALU_DEP_1) | instskip(SKIP_1) | instid1(VALU_DEP_1)
	v_pk_fma_f32 v[96:97], v[90:91], v[80:81], v[94:95] op_sel:[0,0,1] op_sel_hi:[1,1,0] neg_lo:[0,0,1] neg_hi:[0,0,1]
	v_pk_fma_f32 v[90:91], v[90:91], v[80:81], v[94:95] op_sel:[0,0,1] op_sel_hi:[1,0,0]
	v_mov_b32_e32 v97, v91
	v_pk_mul_f32 v[90:91], v[92:93], v[82:83] op_sel:[0,1]
	s_delay_alu instid0(VALU_DEP_2) | instskip(NEXT) | instid1(VALU_DEP_2)
	v_pk_add_f32 v[54:55], v[54:55], v[96:97] neg_lo:[0,1] neg_hi:[0,1]
	v_pk_fma_f32 v[94:95], v[92:93], v[80:81], v[90:91] op_sel:[0,0,1] op_sel_hi:[1,1,0] neg_lo:[0,0,1] neg_hi:[0,0,1]
	v_pk_fma_f32 v[90:91], v[92:93], v[80:81], v[90:91] op_sel:[0,0,1] op_sel_hi:[1,0,0]
	s_delay_alu instid0(VALU_DEP_1) | instskip(SKIP_4) | instid1(VALU_DEP_1)
	v_mov_b32_e32 v95, v91
	ds_load_2addr_b64 v[90:93], v84 offset0:25 offset1:26
	v_pk_add_f32 v[50:51], v[50:51], v[94:95] neg_lo:[0,1] neg_hi:[0,1]
	s_wait_dscnt 0x0
	v_pk_mul_f32 v[94:95], v[90:91], v[82:83] op_sel:[0,1]
	v_pk_fma_f32 v[96:97], v[90:91], v[80:81], v[94:95] op_sel:[0,0,1] op_sel_hi:[1,1,0] neg_lo:[0,0,1] neg_hi:[0,0,1]
	v_pk_fma_f32 v[90:91], v[90:91], v[80:81], v[94:95] op_sel:[0,0,1] op_sel_hi:[1,0,0]
	v_dual_mul_f32 v94, v93, v83 :: v_dual_mov_b32 v90, v93
	s_delay_alu instid0(VALU_DEP_2) | instskip(NEXT) | instid1(VALU_DEP_2)
	v_dual_mov_b32 v97, v91 :: v_dual_mov_b32 v91, v92
	v_pk_fma_f32 v[94:95], v[92:93], v[42:43], v[94:95] op_sel_hi:[1,1,0] neg_lo:[0,0,1] neg_hi:[0,0,1]
	v_mul_f32_e32 v92, v93, v80
	s_delay_alu instid0(VALU_DEP_3) | instskip(NEXT) | instid1(VALU_DEP_2)
	v_pk_add_f32 v[46:47], v[46:47], v[96:97] neg_lo:[0,1] neg_hi:[0,1]
	v_pk_fma_f32 v[90:91], v[90:91], v[42:43], v[92:93] op_sel_hi:[1,1,0]
	s_delay_alu instid0(VALU_DEP_1) | instskip(SKIP_4) | instid1(VALU_DEP_1)
	v_mov_b32_e32 v95, v91
	ds_load_2addr_b64 v[90:93], v84 offset0:27 offset1:28
	v_pk_add_f32 v[48:49], v[48:49], v[94:95] neg_lo:[0,1] neg_hi:[0,1]
	s_wait_dscnt 0x0
	v_pk_mul_f32 v[94:95], v[90:91], v[82:83] op_sel:[0,1]
	v_pk_fma_f32 v[96:97], v[90:91], v[80:81], v[94:95] op_sel:[0,0,1] op_sel_hi:[1,1,0] neg_lo:[0,0,1] neg_hi:[0,0,1]
	v_pk_fma_f32 v[90:91], v[90:91], v[80:81], v[94:95] op_sel:[0,0,1] op_sel_hi:[1,0,0]
	s_delay_alu instid0(VALU_DEP_1) | instskip(SKIP_1) | instid1(VALU_DEP_1)
	v_mov_b32_e32 v97, v91
	v_pk_mul_f32 v[90:91], v[92:93], v[82:83] op_sel:[0,1]
	v_pk_fma_f32 v[94:95], v[92:93], v[80:81], v[90:91] op_sel:[0,0,1] op_sel_hi:[1,1,0] neg_lo:[0,0,1] neg_hi:[0,0,1]
	v_pk_fma_f32 v[90:91], v[92:93], v[80:81], v[90:91] op_sel:[0,0,1] op_sel_hi:[1,0,0]
	s_delay_alu instid0(VALU_DEP_1)
	v_mov_b32_e32 v95, v91
	ds_load_2addr_b64 v[90:93], v84 offset0:29 offset1:30
	v_pk_add_f32 v[44:45], v[44:45], v[96:97] neg_lo:[0,1] neg_hi:[0,1]
	v_pk_add_f32 v[14:15], v[14:15], v[94:95] neg_lo:[0,1] neg_hi:[0,1]
	s_wait_dscnt 0x0
	v_pk_mul_f32 v[94:95], v[90:91], v[82:83] op_sel:[0,1]
	s_delay_alu instid0(VALU_DEP_1) | instskip(SKIP_1) | instid1(VALU_DEP_1)
	v_pk_fma_f32 v[96:97], v[90:91], v[80:81], v[94:95] op_sel:[0,0,1] op_sel_hi:[1,1,0] neg_lo:[0,0,1] neg_hi:[0,0,1]
	v_pk_fma_f32 v[90:91], v[90:91], v[80:81], v[94:95] op_sel:[0,0,1] op_sel_hi:[1,0,0]
	v_mov_b32_e32 v97, v91
	v_pk_mul_f32 v[90:91], v[92:93], v[82:83] op_sel:[0,1]
	s_delay_alu instid0(VALU_DEP_1) | instskip(SKIP_1) | instid1(VALU_DEP_1)
	v_pk_fma_f32 v[94:95], v[92:93], v[80:81], v[90:91] op_sel:[0,0,1] op_sel_hi:[1,1,0] neg_lo:[0,0,1] neg_hi:[0,0,1]
	v_pk_fma_f32 v[90:91], v[92:93], v[80:81], v[90:91] op_sel:[0,0,1] op_sel_hi:[1,0,0]
	v_mov_b32_e32 v95, v91
	ds_load_2addr_b64 v[90:93], v84 offset0:31 offset1:32
	v_pk_add_f32 v[10:11], v[10:11], v[96:97] neg_lo:[0,1] neg_hi:[0,1]
	v_pk_add_f32 v[12:13], v[12:13], v[94:95] neg_lo:[0,1] neg_hi:[0,1]
	s_wait_dscnt 0x0
	v_dual_mul_f32 v94, v91, v83 :: v_dual_mul_f32 v96, v91, v80
	s_delay_alu instid0(VALU_DEP_1) | instskip(NEXT) | instid1(VALU_DEP_2)
	v_pk_fma_f32 v[94:95], v[90:91], v[42:43], v[94:95] op_sel_hi:[1,1,0] neg_lo:[0,0,1] neg_hi:[0,0,1]
	v_pk_fma_f32 v[90:91], v[90:91], v[42:43], v[96:97] op_sel:[1,0,0] op_sel_hi:[0,1,0]
	s_delay_alu instid0(VALU_DEP_1) | instskip(SKIP_1) | instid1(VALU_DEP_2)
	v_mov_b32_e32 v95, v91
	v_pk_mul_f32 v[90:91], v[92:93], v[82:83] op_sel:[0,1]
	v_pk_add_f32 v[8:9], v[8:9], v[94:95] neg_lo:[0,1] neg_hi:[0,1]
	s_delay_alu instid0(VALU_DEP_2) | instskip(SKIP_1) | instid1(VALU_DEP_1)
	v_pk_fma_f32 v[94:95], v[92:93], v[80:81], v[90:91] op_sel:[0,0,1] op_sel_hi:[1,1,0] neg_lo:[0,0,1] neg_hi:[0,0,1]
	v_pk_fma_f32 v[90:91], v[92:93], v[80:81], v[90:91] op_sel:[0,0,1] op_sel_hi:[1,0,0]
	v_mov_b32_e32 v95, v91
	ds_load_2addr_b64 v[90:93], v84 offset0:33 offset1:34
	v_pk_add_f32 v[6:7], v[6:7], v[94:95] neg_lo:[0,1] neg_hi:[0,1]
	s_wait_dscnt 0x0
	v_pk_mul_f32 v[94:95], v[90:91], v[82:83] op_sel:[0,1]
	s_delay_alu instid0(VALU_DEP_1) | instskip(SKIP_1) | instid1(VALU_DEP_1)
	v_pk_fma_f32 v[96:97], v[90:91], v[80:81], v[94:95] op_sel:[0,0,1] op_sel_hi:[1,1,0] neg_lo:[0,0,1] neg_hi:[0,0,1]
	v_pk_fma_f32 v[90:91], v[90:91], v[80:81], v[94:95] op_sel:[0,0,1] op_sel_hi:[1,0,0]
	v_mov_b32_e32 v97, v91
	v_pk_mul_f32 v[90:91], v[92:93], v[82:83] op_sel:[0,1]
	s_delay_alu instid0(VALU_DEP_2) | instskip(NEXT) | instid1(VALU_DEP_2)
	v_pk_add_f32 v[52:53], v[52:53], v[96:97] neg_lo:[0,1] neg_hi:[0,1]
	v_pk_fma_f32 v[94:95], v[92:93], v[80:81], v[90:91] op_sel:[0,0,1] op_sel_hi:[1,1,0] neg_lo:[0,0,1] neg_hi:[0,0,1]
	v_pk_fma_f32 v[90:91], v[92:93], v[80:81], v[90:91] op_sel:[0,0,1] op_sel_hi:[1,0,0]
	s_delay_alu instid0(VALU_DEP_1)
	v_mov_b32_e32 v95, v91
	ds_load_2addr_b64 v[90:93], v84 offset0:35 offset1:36
	v_pk_add_f32 v[34:35], v[34:35], v[94:95] neg_lo:[0,1] neg_hi:[0,1]
	s_wait_dscnt 0x0
	v_pk_mul_f32 v[94:95], v[90:91], v[82:83] op_sel:[0,1]
	v_mul_f32_e32 v82, v93, v83
	s_delay_alu instid0(VALU_DEP_2) | instskip(SKIP_2) | instid1(VALU_DEP_4)
	v_pk_fma_f32 v[96:97], v[90:91], v[80:81], v[94:95] op_sel:[0,0,1] op_sel_hi:[1,1,0] neg_lo:[0,0,1] neg_hi:[0,0,1]
	v_pk_fma_f32 v[90:91], v[90:91], v[80:81], v[94:95] op_sel:[0,0,1] op_sel_hi:[1,0,0]
	v_dual_mov_b32 v90, v93 :: v_dual_mul_f32 v80, v93, v80
	v_pk_fma_f32 v[82:83], v[92:93], v[42:43], v[82:83] op_sel_hi:[1,1,0] neg_lo:[0,0,1] neg_hi:[0,0,1]
	s_delay_alu instid0(VALU_DEP_3) | instskip(NEXT) | instid1(VALU_DEP_1)
	v_dual_mov_b32 v97, v91 :: v_dual_mov_b32 v91, v92
	v_pk_add_f32 v[16:17], v[16:17], v[96:97] neg_lo:[0,1] neg_hi:[0,1]
	s_delay_alu instid0(VALU_DEP_2) | instskip(NEXT) | instid1(VALU_DEP_1)
	v_pk_fma_f32 v[80:81], v[90:91], v[42:43], v[80:81] op_sel_hi:[1,1,0]
	v_mov_b32_e32 v83, v81
	s_delay_alu instid0(VALU_DEP_1)
	v_pk_add_f32 v[78:79], v[78:79], v[82:83] neg_lo:[0,1] neg_hi:[0,1]
.LBB72_272:
	s_or_b32 exec_lo, exec_lo, s0
	v_lshl_add_u32 v80, v88, 3, v84
	s_barrier_signal -1
	s_barrier_wait -1
	ds_store_b64 v80, v[38:39]
	s_wait_dscnt 0x0
	s_barrier_signal -1
	s_barrier_wait -1
	ds_load_b64 v[82:83], v84 offset:104
	v_mov_b32_e32 v80, 13
	s_cmp_lt_i32 s18, 15
	s_cbranch_scc1 .LBB72_275
; %bb.273:
	v_add3_u32 v81, v85, 0, 0x70
	v_mov_b32_e32 v80, 13
	s_mov_b32 s0, 14
.LBB72_274:                             ; =>This Inner Loop Header: Depth=1
	ds_load_b64 v[90:91], v81
	s_wait_dscnt 0x1
	v_cmp_gt_f32_e32 vcc_lo, 0, v82
	v_cndmask_b32_e64 v92, v82, -v82, vcc_lo
	v_cmp_gt_f32_e32 vcc_lo, 0, v83
	v_cndmask_b32_e64 v94, v83, -v83, vcc_lo
	s_wait_dscnt 0x0
	v_cmp_gt_f32_e32 vcc_lo, 0, v90
	v_cndmask_b32_e64 v93, v90, -v90, vcc_lo
	v_cmp_gt_f32_e32 vcc_lo, 0, v91
	v_cndmask_b32_e64 v95, v91, -v91, vcc_lo
	s_delay_alu instid0(VALU_DEP_1) | instskip(NEXT) | instid1(VALU_DEP_1)
	v_pk_add_f32 v[92:93], v[92:93], v[94:95]
	v_cmp_lt_f32_e32 vcc_lo, v92, v93
	v_dual_add_nc_u32 v81, 8, v81 :: v_dual_cndmask_b32 v83, v83, v91, vcc_lo
	v_cndmask_b32_e32 v82, v82, v90, vcc_lo
	v_cndmask_b32_e64 v80, v80, s0, vcc_lo
	s_add_co_i32 s0, s0, 1
	s_delay_alu instid0(SALU_CYCLE_1)
	s_cmp_lg_u32 s18, s0
	s_cbranch_scc1 .LBB72_274
.LBB72_275:
	s_wait_dscnt 0x0
	v_cmp_eq_f32_e32 vcc_lo, 0, v82
	v_cmp_eq_f32_e64 s0, 0, v83
	s_and_b32 s0, vcc_lo, s0
	s_delay_alu instid0(SALU_CYCLE_1) | instskip(NEXT) | instid1(SALU_CYCLE_1)
	s_and_saveexec_b32 s1, s0
	s_xor_b32 s0, exec_lo, s1
; %bb.276:
	v_cmp_ne_u32_e32 vcc_lo, 0, v86
	v_cndmask_b32_e32 v86, 14, v86, vcc_lo
; %bb.277:
	s_and_not1_saveexec_b32 s0, s0
	s_cbranch_execz .LBB72_283
; %bb.278:
	v_cmp_ngt_f32_e64 s1, |v82|, |v83|
	s_and_saveexec_b32 s12, s1
	s_delay_alu instid0(SALU_CYCLE_1)
	s_xor_b32 s1, exec_lo, s12
	s_cbranch_execz .LBB72_280
; %bb.279:
	v_div_scale_f32 v81, null, v83, v83, v82
	v_div_scale_f32 v91, vcc_lo, v82, v83, v82
	s_delay_alu instid0(VALU_DEP_2) | instskip(SKIP_1) | instid1(TRANS32_DEP_1)
	v_rcp_f32_e32 v89, v81
	v_nop
	v_fma_f32 v90, -v81, v89, 1.0
	s_delay_alu instid0(VALU_DEP_1) | instskip(NEXT) | instid1(VALU_DEP_1)
	v_fmac_f32_e32 v89, v90, v89
	v_mul_f32_e32 v90, v91, v89
	s_delay_alu instid0(VALU_DEP_1) | instskip(NEXT) | instid1(VALU_DEP_1)
	v_fma_f32 v92, -v81, v90, v91
	v_fmac_f32_e32 v90, v92, v89
	s_delay_alu instid0(VALU_DEP_1) | instskip(NEXT) | instid1(VALU_DEP_1)
	v_fma_f32 v81, -v81, v90, v91
	v_div_fmas_f32 v81, v81, v89, v90
	s_delay_alu instid0(VALU_DEP_1) | instskip(NEXT) | instid1(VALU_DEP_1)
	v_div_fixup_f32 v81, v81, v83, v82
	v_fmac_f32_e32 v83, v82, v81
	s_delay_alu instid0(VALU_DEP_1) | instskip(SKIP_1) | instid1(VALU_DEP_2)
	v_div_scale_f32 v82, null, v83, v83, 1.0
	v_div_scale_f32 v91, vcc_lo, 1.0, v83, 1.0
	v_rcp_f32_e32 v89, v82
	v_nop
	s_delay_alu instid0(TRANS32_DEP_1) | instskip(NEXT) | instid1(VALU_DEP_1)
	v_fma_f32 v90, -v82, v89, 1.0
	v_fmac_f32_e32 v89, v90, v89
	s_delay_alu instid0(VALU_DEP_1) | instskip(NEXT) | instid1(VALU_DEP_1)
	v_mul_f32_e32 v90, v91, v89
	v_fma_f32 v92, -v82, v90, v91
	s_delay_alu instid0(VALU_DEP_1) | instskip(NEXT) | instid1(VALU_DEP_1)
	v_fmac_f32_e32 v90, v92, v89
	v_fma_f32 v82, -v82, v90, v91
	s_delay_alu instid0(VALU_DEP_1) | instskip(NEXT) | instid1(VALU_DEP_1)
	v_div_fmas_f32 v82, v82, v89, v90
	v_div_fixup_f32 v83, v82, v83, 1.0
	s_delay_alu instid0(VALU_DEP_1)
	v_mul_f32_e32 v82, v81, v83
	v_xor_b32_e32 v83, 0x80000000, v83
.LBB72_280:
	s_and_not1_saveexec_b32 s1, s1
	s_cbranch_execz .LBB72_282
; %bb.281:
	s_delay_alu instid0(VALU_DEP_1) | instskip(SKIP_1) | instid1(VALU_DEP_2)
	v_div_scale_f32 v81, null, v82, v82, v83
	v_div_scale_f32 v91, vcc_lo, v83, v82, v83
	v_rcp_f32_e32 v89, v81
	v_nop
	s_delay_alu instid0(TRANS32_DEP_1) | instskip(NEXT) | instid1(VALU_DEP_1)
	v_fma_f32 v90, -v81, v89, 1.0
	v_fmac_f32_e32 v89, v90, v89
	s_delay_alu instid0(VALU_DEP_1) | instskip(NEXT) | instid1(VALU_DEP_1)
	v_mul_f32_e32 v90, v91, v89
	v_fma_f32 v92, -v81, v90, v91
	s_delay_alu instid0(VALU_DEP_1) | instskip(NEXT) | instid1(VALU_DEP_1)
	v_fmac_f32_e32 v90, v92, v89
	v_fma_f32 v81, -v81, v90, v91
	s_delay_alu instid0(VALU_DEP_1) | instskip(NEXT) | instid1(VALU_DEP_1)
	v_div_fmas_f32 v81, v81, v89, v90
	v_div_fixup_f32 v81, v81, v82, v83
	s_delay_alu instid0(VALU_DEP_1) | instskip(NEXT) | instid1(VALU_DEP_1)
	v_fmac_f32_e32 v82, v83, v81
	v_div_scale_f32 v83, null, v82, v82, 1.0
	s_delay_alu instid0(VALU_DEP_1) | instskip(SKIP_1) | instid1(TRANS32_DEP_1)
	v_rcp_f32_e32 v89, v83
	v_nop
	v_fma_f32 v90, -v83, v89, 1.0
	s_delay_alu instid0(VALU_DEP_1) | instskip(SKIP_1) | instid1(VALU_DEP_1)
	v_fmac_f32_e32 v89, v90, v89
	v_div_scale_f32 v90, vcc_lo, 1.0, v82, 1.0
	v_mul_f32_e32 v91, v90, v89
	s_delay_alu instid0(VALU_DEP_1) | instskip(NEXT) | instid1(VALU_DEP_1)
	v_fma_f32 v92, -v83, v91, v90
	v_fmac_f32_e32 v91, v92, v89
	s_delay_alu instid0(VALU_DEP_1) | instskip(NEXT) | instid1(VALU_DEP_1)
	v_fma_f32 v83, -v83, v91, v90
	v_div_fmas_f32 v83, v83, v89, v91
	s_delay_alu instid0(VALU_DEP_1) | instskip(NEXT) | instid1(VALU_DEP_1)
	v_div_fixup_f32 v82, v83, v82, 1.0
	v_mul_f32_e64 v83, v81, -v82
.LBB72_282:
	s_or_b32 exec_lo, exec_lo, s1
.LBB72_283:
	s_delay_alu instid0(SALU_CYCLE_1) | instskip(NEXT) | instid1(SALU_CYCLE_1)
	s_or_b32 exec_lo, exec_lo, s0
	s_mov_b32 s0, exec_lo
	v_cmpx_ne_u32_e64 v88, v80
	s_xor_b32 s0, exec_lo, s0
	s_cbranch_execz .LBB72_289
; %bb.284:
	s_mov_b32 s1, exec_lo
	v_cmpx_eq_u32_e32 13, v88
	s_cbranch_execz .LBB72_288
; %bb.285:
	v_cmp_ne_u32_e32 vcc_lo, 13, v80
	s_xor_b32 s12, s16, -1
	s_delay_alu instid0(SALU_CYCLE_1) | instskip(NEXT) | instid1(SALU_CYCLE_1)
	s_and_b32 s13, s12, vcc_lo
	s_and_saveexec_b32 s12, s13
	s_cbranch_execz .LBB72_287
; %bb.286:
	v_ashrrev_i32_e32 v81, 31, v80
	s_delay_alu instid0(VALU_DEP_1)
	v_lshl_add_u64 v[88:89], v[80:81], 2, v[4:5]
	s_clause 0x1
	global_load_b32 v81, v[88:89], off
	global_load_b32 v87, v[4:5], off offset:52
	s_wait_loadcnt 0x1
	global_store_b32 v[4:5], v81, off offset:52
	s_wait_loadcnt 0x0
	global_store_b32 v[88:89], v87, off
.LBB72_287:
	s_wait_xcnt 0x0
	s_or_b32 exec_lo, exec_lo, s12
	v_dual_mov_b32 v88, v80 :: v_dual_mov_b32 v87, v80
.LBB72_288:
	s_or_b32 exec_lo, exec_lo, s1
.LBB72_289:
	s_and_not1_saveexec_b32 s0, s0
	s_cbranch_execz .LBB72_291
; %bb.290:
	v_dual_mov_b32 v80, v40 :: v_dual_mov_b32 v81, v41
	v_dual_mov_b32 v88, v36 :: v_dual_mov_b32 v89, v37
	;; [unrolled: 1-line block ×12, first 2 shown]
	ds_store_2addr_b64 v84, v[80:81], v[88:89] offset0:14 offset1:15
	ds_store_2addr_b64 v84, v[90:91], v[92:93] offset0:16 offset1:17
	;; [unrolled: 1-line block ×6, first 2 shown]
	v_dual_mov_b32 v80, v48 :: v_dual_mov_b32 v81, v49
	v_dual_mov_b32 v88, v44 :: v_dual_mov_b32 v89, v45
	;; [unrolled: 1-line block ×6, first 2 shown]
	ds_store_2addr_b64 v84, v[80:81], v[88:89] offset0:26 offset1:27
	ds_store_2addr_b64 v84, v[90:91], v[92:93] offset0:28 offset1:29
	v_dual_mov_b32 v88, 13 :: v_dual_mov_b32 v98, v6
	v_dual_mov_b32 v99, v7 :: v_dual_mov_b32 v100, v52
	;; [unrolled: 1-line block ×4, first 2 shown]
	v_mov_b32_e32 v105, v17
	ds_store_2addr_b64 v84, v[94:95], v[96:97] offset0:30 offset1:31
	ds_store_2addr_b64 v84, v[98:99], v[100:101] offset0:32 offset1:33
	;; [unrolled: 1-line block ×3, first 2 shown]
	ds_store_b64 v84, v[78:79] offset:288
.LBB72_291:
	s_or_b32 exec_lo, exec_lo, s0
	s_delay_alu instid0(SALU_CYCLE_1)
	s_mov_b32 s0, exec_lo
	s_wait_storecnt_dscnt 0x0
	s_barrier_signal -1
	s_barrier_wait -1
	v_cmpx_lt_i32_e32 13, v88
	s_cbranch_execz .LBB72_293
; %bb.292:
	v_pk_mul_f32 v[90:91], v[82:83], v[38:39] op_sel:[1,1] op_sel_hi:[0,1]
	s_delay_alu instid0(VALU_DEP_1)
	v_pk_fma_f32 v[80:81], v[82:83], v[38:39], v[90:91] op_sel_hi:[1,0,1] neg_lo:[0,0,1] neg_hi:[0,0,1]
	v_pk_fma_f32 v[82:83], v[82:83], v[38:39], v[90:91] op_sel_hi:[1,0,1]
	ds_load_2addr_b64 v[90:93], v84 offset0:14 offset1:15
	v_dual_mov_b32 v38, v80 :: v_dual_mov_b32 v39, v83
	s_wait_dscnt 0x0
	v_pk_mul_f32 v[94:95], v[90:91], v[82:83] op_sel:[0,1]
	s_delay_alu instid0(VALU_DEP_1) | instskip(SKIP_1) | instid1(VALU_DEP_1)
	v_pk_fma_f32 v[96:97], v[90:91], v[80:81], v[94:95] op_sel:[0,0,1] op_sel_hi:[1,1,0] neg_lo:[0,0,1] neg_hi:[0,0,1]
	v_pk_fma_f32 v[90:91], v[90:91], v[80:81], v[94:95] op_sel:[0,0,1] op_sel_hi:[1,0,0]
	v_mov_b32_e32 v97, v91
	v_pk_mul_f32 v[90:91], v[92:93], v[82:83] op_sel:[0,1]
	s_delay_alu instid0(VALU_DEP_1) | instskip(SKIP_1) | instid1(VALU_DEP_1)
	v_pk_fma_f32 v[94:95], v[92:93], v[80:81], v[90:91] op_sel:[0,0,1] op_sel_hi:[1,1,0] neg_lo:[0,0,1] neg_hi:[0,0,1]
	v_pk_fma_f32 v[90:91], v[92:93], v[80:81], v[90:91] op_sel:[0,0,1] op_sel_hi:[1,0,0]
	v_mov_b32_e32 v95, v91
	ds_load_2addr_b64 v[90:93], v84 offset0:16 offset1:17
	v_pk_add_f32 v[40:41], v[40:41], v[96:97] neg_lo:[0,1] neg_hi:[0,1]
	v_pk_add_f32 v[36:37], v[36:37], v[94:95] neg_lo:[0,1] neg_hi:[0,1]
	s_wait_dscnt 0x0
	v_pk_mul_f32 v[94:95], v[90:91], v[82:83] op_sel:[0,1]
	s_delay_alu instid0(VALU_DEP_1) | instskip(SKIP_2) | instid1(VALU_DEP_2)
	v_pk_fma_f32 v[96:97], v[90:91], v[80:81], v[94:95] op_sel:[0,0,1] op_sel_hi:[1,1,0] neg_lo:[0,0,1] neg_hi:[0,0,1]
	v_pk_fma_f32 v[90:91], v[90:91], v[80:81], v[94:95] op_sel:[0,0,1] op_sel_hi:[1,0,0]
	v_dual_mul_f32 v94, v93, v83 :: v_dual_mov_b32 v90, v93
	v_dual_mov_b32 v97, v91 :: v_dual_mov_b32 v91, v92
	s_delay_alu instid0(VALU_DEP_2) | instskip(SKIP_1) | instid1(VALU_DEP_3)
	v_pk_fma_f32 v[94:95], v[92:93], v[38:39], v[94:95] op_sel_hi:[1,1,0] neg_lo:[0,0,1] neg_hi:[0,0,1]
	v_mul_f32_e32 v92, v93, v80
	v_pk_add_f32 v[68:69], v[68:69], v[96:97] neg_lo:[0,1] neg_hi:[0,1]
	s_delay_alu instid0(VALU_DEP_2) | instskip(NEXT) | instid1(VALU_DEP_1)
	v_pk_fma_f32 v[90:91], v[90:91], v[38:39], v[92:93] op_sel_hi:[1,1,0]
	v_mov_b32_e32 v95, v91
	ds_load_2addr_b64 v[90:93], v84 offset0:18 offset1:19
	v_pk_add_f32 v[64:65], v[64:65], v[94:95] neg_lo:[0,1] neg_hi:[0,1]
	s_wait_dscnt 0x0
	v_pk_mul_f32 v[94:95], v[90:91], v[82:83] op_sel:[0,1]
	s_delay_alu instid0(VALU_DEP_1) | instskip(SKIP_1) | instid1(VALU_DEP_1)
	v_pk_fma_f32 v[96:97], v[90:91], v[80:81], v[94:95] op_sel:[0,0,1] op_sel_hi:[1,1,0] neg_lo:[0,0,1] neg_hi:[0,0,1]
	v_pk_fma_f32 v[90:91], v[90:91], v[80:81], v[94:95] op_sel:[0,0,1] op_sel_hi:[1,0,0]
	v_mov_b32_e32 v97, v91
	v_pk_mul_f32 v[90:91], v[92:93], v[82:83] op_sel:[0,1]
	s_delay_alu instid0(VALU_DEP_1) | instskip(SKIP_1) | instid1(VALU_DEP_1)
	v_pk_fma_f32 v[94:95], v[92:93], v[80:81], v[90:91] op_sel:[0,0,1] op_sel_hi:[1,1,0] neg_lo:[0,0,1] neg_hi:[0,0,1]
	v_pk_fma_f32 v[90:91], v[92:93], v[80:81], v[90:91] op_sel:[0,0,1] op_sel_hi:[1,0,0]
	v_mov_b32_e32 v95, v91
	ds_load_2addr_b64 v[90:93], v84 offset0:20 offset1:21
	v_pk_add_f32 v[66:67], v[66:67], v[96:97] neg_lo:[0,1] neg_hi:[0,1]
	v_pk_add_f32 v[62:63], v[62:63], v[94:95] neg_lo:[0,1] neg_hi:[0,1]
	s_wait_dscnt 0x0
	v_pk_mul_f32 v[94:95], v[90:91], v[82:83] op_sel:[0,1]
	s_delay_alu instid0(VALU_DEP_1) | instskip(SKIP_1) | instid1(VALU_DEP_1)
	v_pk_fma_f32 v[96:97], v[90:91], v[80:81], v[94:95] op_sel:[0,0,1] op_sel_hi:[1,1,0] neg_lo:[0,0,1] neg_hi:[0,0,1]
	v_pk_fma_f32 v[90:91], v[90:91], v[80:81], v[94:95] op_sel:[0,0,1] op_sel_hi:[1,0,0]
	v_mov_b32_e32 v97, v91
	v_pk_mul_f32 v[90:91], v[92:93], v[82:83] op_sel:[0,1]
	s_delay_alu instid0(VALU_DEP_1) | instskip(SKIP_1) | instid1(VALU_DEP_1)
	v_pk_fma_f32 v[94:95], v[92:93], v[80:81], v[90:91] op_sel:[0,0,1] op_sel_hi:[1,1,0] neg_lo:[0,0,1] neg_hi:[0,0,1]
	v_pk_fma_f32 v[90:91], v[92:93], v[80:81], v[90:91] op_sel:[0,0,1] op_sel_hi:[1,0,0]
	v_mov_b32_e32 v95, v91
	ds_load_2addr_b64 v[90:93], v84 offset0:22 offset1:23
	v_pk_add_f32 v[60:61], v[60:61], v[96:97] neg_lo:[0,1] neg_hi:[0,1]
	v_pk_add_f32 v[56:57], v[56:57], v[94:95] neg_lo:[0,1] neg_hi:[0,1]
	s_wait_dscnt 0x0
	v_dual_mul_f32 v94, v91, v83 :: v_dual_mul_f32 v96, v91, v80
	s_delay_alu instid0(VALU_DEP_1) | instskip(NEXT) | instid1(VALU_DEP_2)
	v_pk_fma_f32 v[94:95], v[90:91], v[38:39], v[94:95] op_sel_hi:[1,1,0] neg_lo:[0,0,1] neg_hi:[0,0,1]
	v_pk_fma_f32 v[90:91], v[90:91], v[38:39], v[96:97] op_sel:[1,0,0] op_sel_hi:[0,1,0]
	s_delay_alu instid0(VALU_DEP_1) | instskip(SKIP_1) | instid1(VALU_DEP_2)
	v_mov_b32_e32 v95, v91
	v_pk_mul_f32 v[90:91], v[92:93], v[82:83] op_sel:[0,1]
	v_pk_add_f32 v[58:59], v[58:59], v[94:95] neg_lo:[0,1] neg_hi:[0,1]
	s_delay_alu instid0(VALU_DEP_2) | instskip(SKIP_1) | instid1(VALU_DEP_1)
	v_pk_fma_f32 v[94:95], v[92:93], v[80:81], v[90:91] op_sel:[0,0,1] op_sel_hi:[1,1,0] neg_lo:[0,0,1] neg_hi:[0,0,1]
	v_pk_fma_f32 v[90:91], v[92:93], v[80:81], v[90:91] op_sel:[0,0,1] op_sel_hi:[1,0,0]
	v_mov_b32_e32 v95, v91
	ds_load_2addr_b64 v[90:93], v84 offset0:24 offset1:25
	v_pk_add_f32 v[54:55], v[54:55], v[94:95] neg_lo:[0,1] neg_hi:[0,1]
	s_wait_dscnt 0x0
	v_pk_mul_f32 v[94:95], v[90:91], v[82:83] op_sel:[0,1]
	s_delay_alu instid0(VALU_DEP_1) | instskip(SKIP_1) | instid1(VALU_DEP_1)
	v_pk_fma_f32 v[96:97], v[90:91], v[80:81], v[94:95] op_sel:[0,0,1] op_sel_hi:[1,1,0] neg_lo:[0,0,1] neg_hi:[0,0,1]
	v_pk_fma_f32 v[90:91], v[90:91], v[80:81], v[94:95] op_sel:[0,0,1] op_sel_hi:[1,0,0]
	v_mov_b32_e32 v97, v91
	v_pk_mul_f32 v[90:91], v[92:93], v[82:83] op_sel:[0,1]
	s_delay_alu instid0(VALU_DEP_2) | instskip(NEXT) | instid1(VALU_DEP_2)
	v_pk_add_f32 v[50:51], v[50:51], v[96:97] neg_lo:[0,1] neg_hi:[0,1]
	v_pk_fma_f32 v[94:95], v[92:93], v[80:81], v[90:91] op_sel:[0,0,1] op_sel_hi:[1,1,0] neg_lo:[0,0,1] neg_hi:[0,0,1]
	v_pk_fma_f32 v[90:91], v[92:93], v[80:81], v[90:91] op_sel:[0,0,1] op_sel_hi:[1,0,0]
	s_delay_alu instid0(VALU_DEP_1) | instskip(SKIP_4) | instid1(VALU_DEP_1)
	v_mov_b32_e32 v95, v91
	ds_load_2addr_b64 v[90:93], v84 offset0:26 offset1:27
	v_pk_add_f32 v[46:47], v[46:47], v[94:95] neg_lo:[0,1] neg_hi:[0,1]
	s_wait_dscnt 0x0
	v_pk_mul_f32 v[94:95], v[90:91], v[82:83] op_sel:[0,1]
	v_pk_fma_f32 v[96:97], v[90:91], v[80:81], v[94:95] op_sel:[0,0,1] op_sel_hi:[1,1,0] neg_lo:[0,0,1] neg_hi:[0,0,1]
	v_pk_fma_f32 v[90:91], v[90:91], v[80:81], v[94:95] op_sel:[0,0,1] op_sel_hi:[1,0,0]
	v_dual_mul_f32 v94, v93, v83 :: v_dual_mov_b32 v90, v93
	s_delay_alu instid0(VALU_DEP_2) | instskip(NEXT) | instid1(VALU_DEP_2)
	v_dual_mov_b32 v97, v91 :: v_dual_mov_b32 v91, v92
	v_pk_fma_f32 v[94:95], v[92:93], v[38:39], v[94:95] op_sel_hi:[1,1,0] neg_lo:[0,0,1] neg_hi:[0,0,1]
	v_mul_f32_e32 v92, v93, v80
	s_delay_alu instid0(VALU_DEP_3) | instskip(NEXT) | instid1(VALU_DEP_2)
	v_pk_add_f32 v[48:49], v[48:49], v[96:97] neg_lo:[0,1] neg_hi:[0,1]
	v_pk_fma_f32 v[90:91], v[90:91], v[38:39], v[92:93] op_sel_hi:[1,1,0]
	s_delay_alu instid0(VALU_DEP_1) | instskip(SKIP_4) | instid1(VALU_DEP_1)
	v_mov_b32_e32 v95, v91
	ds_load_2addr_b64 v[90:93], v84 offset0:28 offset1:29
	v_pk_add_f32 v[44:45], v[44:45], v[94:95] neg_lo:[0,1] neg_hi:[0,1]
	s_wait_dscnt 0x0
	v_pk_mul_f32 v[94:95], v[90:91], v[82:83] op_sel:[0,1]
	v_pk_fma_f32 v[96:97], v[90:91], v[80:81], v[94:95] op_sel:[0,0,1] op_sel_hi:[1,1,0] neg_lo:[0,0,1] neg_hi:[0,0,1]
	v_pk_fma_f32 v[90:91], v[90:91], v[80:81], v[94:95] op_sel:[0,0,1] op_sel_hi:[1,0,0]
	s_delay_alu instid0(VALU_DEP_1) | instskip(SKIP_1) | instid1(VALU_DEP_1)
	v_mov_b32_e32 v97, v91
	v_pk_mul_f32 v[90:91], v[92:93], v[82:83] op_sel:[0,1]
	v_pk_fma_f32 v[94:95], v[92:93], v[80:81], v[90:91] op_sel:[0,0,1] op_sel_hi:[1,1,0] neg_lo:[0,0,1] neg_hi:[0,0,1]
	v_pk_fma_f32 v[90:91], v[92:93], v[80:81], v[90:91] op_sel:[0,0,1] op_sel_hi:[1,0,0]
	s_delay_alu instid0(VALU_DEP_1)
	v_mov_b32_e32 v95, v91
	ds_load_2addr_b64 v[90:93], v84 offset0:30 offset1:31
	v_pk_add_f32 v[14:15], v[14:15], v[96:97] neg_lo:[0,1] neg_hi:[0,1]
	v_pk_add_f32 v[10:11], v[10:11], v[94:95] neg_lo:[0,1] neg_hi:[0,1]
	s_wait_dscnt 0x0
	v_pk_mul_f32 v[94:95], v[90:91], v[82:83] op_sel:[0,1]
	s_delay_alu instid0(VALU_DEP_1) | instskip(SKIP_1) | instid1(VALU_DEP_1)
	v_pk_fma_f32 v[96:97], v[90:91], v[80:81], v[94:95] op_sel:[0,0,1] op_sel_hi:[1,1,0] neg_lo:[0,0,1] neg_hi:[0,0,1]
	v_pk_fma_f32 v[90:91], v[90:91], v[80:81], v[94:95] op_sel:[0,0,1] op_sel_hi:[1,0,0]
	v_mov_b32_e32 v97, v91
	v_pk_mul_f32 v[90:91], v[92:93], v[82:83] op_sel:[0,1]
	s_delay_alu instid0(VALU_DEP_1) | instskip(SKIP_1) | instid1(VALU_DEP_1)
	v_pk_fma_f32 v[94:95], v[92:93], v[80:81], v[90:91] op_sel:[0,0,1] op_sel_hi:[1,1,0] neg_lo:[0,0,1] neg_hi:[0,0,1]
	v_pk_fma_f32 v[90:91], v[92:93], v[80:81], v[90:91] op_sel:[0,0,1] op_sel_hi:[1,0,0]
	v_mov_b32_e32 v95, v91
	ds_load_2addr_b64 v[90:93], v84 offset0:32 offset1:33
	v_pk_add_f32 v[12:13], v[12:13], v[96:97] neg_lo:[0,1] neg_hi:[0,1]
	v_pk_add_f32 v[8:9], v[8:9], v[94:95] neg_lo:[0,1] neg_hi:[0,1]
	s_wait_dscnt 0x0
	v_dual_mul_f32 v94, v91, v83 :: v_dual_mul_f32 v96, v91, v80
	s_delay_alu instid0(VALU_DEP_1) | instskip(NEXT) | instid1(VALU_DEP_2)
	v_pk_fma_f32 v[94:95], v[90:91], v[38:39], v[94:95] op_sel_hi:[1,1,0] neg_lo:[0,0,1] neg_hi:[0,0,1]
	v_pk_fma_f32 v[90:91], v[90:91], v[38:39], v[96:97] op_sel:[1,0,0] op_sel_hi:[0,1,0]
	s_delay_alu instid0(VALU_DEP_1) | instskip(SKIP_1) | instid1(VALU_DEP_2)
	v_mov_b32_e32 v95, v91
	v_pk_mul_f32 v[90:91], v[92:93], v[82:83] op_sel:[0,1]
	v_pk_add_f32 v[6:7], v[6:7], v[94:95] neg_lo:[0,1] neg_hi:[0,1]
	s_delay_alu instid0(VALU_DEP_2) | instskip(SKIP_1) | instid1(VALU_DEP_1)
	v_pk_fma_f32 v[94:95], v[92:93], v[80:81], v[90:91] op_sel:[0,0,1] op_sel_hi:[1,1,0] neg_lo:[0,0,1] neg_hi:[0,0,1]
	v_pk_fma_f32 v[90:91], v[92:93], v[80:81], v[90:91] op_sel:[0,0,1] op_sel_hi:[1,0,0]
	v_mov_b32_e32 v95, v91
	ds_load_2addr_b64 v[90:93], v84 offset0:34 offset1:35
	v_pk_add_f32 v[52:53], v[52:53], v[94:95] neg_lo:[0,1] neg_hi:[0,1]
	s_wait_dscnt 0x0
	v_pk_mul_f32 v[94:95], v[90:91], v[82:83] op_sel:[0,1]
	s_delay_alu instid0(VALU_DEP_1) | instskip(SKIP_1) | instid1(VALU_DEP_1)
	v_pk_fma_f32 v[96:97], v[90:91], v[80:81], v[94:95] op_sel:[0,0,1] op_sel_hi:[1,1,0] neg_lo:[0,0,1] neg_hi:[0,0,1]
	v_pk_fma_f32 v[90:91], v[90:91], v[80:81], v[94:95] op_sel:[0,0,1] op_sel_hi:[1,0,0]
	v_mov_b32_e32 v97, v91
	v_pk_mul_f32 v[90:91], v[92:93], v[82:83] op_sel:[0,1]
	s_delay_alu instid0(VALU_DEP_2) | instskip(NEXT) | instid1(VALU_DEP_2)
	v_pk_add_f32 v[34:35], v[34:35], v[96:97] neg_lo:[0,1] neg_hi:[0,1]
	v_pk_fma_f32 v[94:95], v[92:93], v[80:81], v[90:91] op_sel:[0,0,1] op_sel_hi:[1,1,0] neg_lo:[0,0,1] neg_hi:[0,0,1]
	v_pk_fma_f32 v[90:91], v[92:93], v[80:81], v[90:91] op_sel:[0,0,1] op_sel_hi:[1,0,0]
	s_delay_alu instid0(VALU_DEP_1) | instskip(SKIP_4) | instid1(VALU_DEP_1)
	v_mov_b32_e32 v95, v91
	ds_load_b64 v[90:91], v84 offset:288
	v_pk_add_f32 v[16:17], v[16:17], v[94:95] neg_lo:[0,1] neg_hi:[0,1]
	s_wait_dscnt 0x0
	v_pk_mul_f32 v[82:83], v[90:91], v[82:83] op_sel:[0,1]
	v_pk_fma_f32 v[92:93], v[90:91], v[80:81], v[82:83] op_sel:[0,0,1] op_sel_hi:[1,1,0] neg_lo:[0,0,1] neg_hi:[0,0,1]
	v_pk_fma_f32 v[80:81], v[90:91], v[80:81], v[82:83] op_sel:[0,0,1] op_sel_hi:[1,0,0]
	s_delay_alu instid0(VALU_DEP_1) | instskip(NEXT) | instid1(VALU_DEP_1)
	v_mov_b32_e32 v93, v81
	v_pk_add_f32 v[78:79], v[78:79], v[92:93] neg_lo:[0,1] neg_hi:[0,1]
.LBB72_293:
	s_or_b32 exec_lo, exec_lo, s0
	v_lshl_add_u32 v80, v88, 3, v84
	s_barrier_signal -1
	s_barrier_wait -1
	ds_store_b64 v80, v[40:41]
	s_wait_dscnt 0x0
	s_barrier_signal -1
	s_barrier_wait -1
	ds_load_b64 v[82:83], v84 offset:112
	v_mov_b32_e32 v80, 14
	s_cmp_lt_i32 s18, 16
	s_cbranch_scc1 .LBB72_296
; %bb.294:
	v_add3_u32 v81, v85, 0, 0x78
	v_mov_b32_e32 v80, 14
	s_mov_b32 s0, 15
.LBB72_295:                             ; =>This Inner Loop Header: Depth=1
	ds_load_b64 v[90:91], v81
	s_wait_dscnt 0x1
	v_cmp_gt_f32_e32 vcc_lo, 0, v82
	v_cndmask_b32_e64 v92, v82, -v82, vcc_lo
	v_cmp_gt_f32_e32 vcc_lo, 0, v83
	v_cndmask_b32_e64 v94, v83, -v83, vcc_lo
	s_wait_dscnt 0x0
	v_cmp_gt_f32_e32 vcc_lo, 0, v90
	v_cndmask_b32_e64 v93, v90, -v90, vcc_lo
	v_cmp_gt_f32_e32 vcc_lo, 0, v91
	v_cndmask_b32_e64 v95, v91, -v91, vcc_lo
	s_delay_alu instid0(VALU_DEP_1) | instskip(NEXT) | instid1(VALU_DEP_1)
	v_pk_add_f32 v[92:93], v[92:93], v[94:95]
	v_cmp_lt_f32_e32 vcc_lo, v92, v93
	v_dual_add_nc_u32 v81, 8, v81 :: v_dual_cndmask_b32 v83, v83, v91, vcc_lo
	v_cndmask_b32_e32 v82, v82, v90, vcc_lo
	v_cndmask_b32_e64 v80, v80, s0, vcc_lo
	s_add_co_i32 s0, s0, 1
	s_delay_alu instid0(SALU_CYCLE_1)
	s_cmp_lg_u32 s18, s0
	s_cbranch_scc1 .LBB72_295
.LBB72_296:
	s_wait_dscnt 0x0
	v_cmp_eq_f32_e32 vcc_lo, 0, v82
	v_cmp_eq_f32_e64 s0, 0, v83
	s_and_b32 s0, vcc_lo, s0
	s_delay_alu instid0(SALU_CYCLE_1) | instskip(NEXT) | instid1(SALU_CYCLE_1)
	s_and_saveexec_b32 s1, s0
	s_xor_b32 s0, exec_lo, s1
; %bb.297:
	v_cmp_ne_u32_e32 vcc_lo, 0, v86
	v_cndmask_b32_e32 v86, 15, v86, vcc_lo
; %bb.298:
	s_and_not1_saveexec_b32 s0, s0
	s_cbranch_execz .LBB72_304
; %bb.299:
	v_cmp_ngt_f32_e64 s1, |v82|, |v83|
	s_and_saveexec_b32 s12, s1
	s_delay_alu instid0(SALU_CYCLE_1)
	s_xor_b32 s1, exec_lo, s12
	s_cbranch_execz .LBB72_301
; %bb.300:
	v_div_scale_f32 v81, null, v83, v83, v82
	v_div_scale_f32 v91, vcc_lo, v82, v83, v82
	s_delay_alu instid0(VALU_DEP_2) | instskip(SKIP_1) | instid1(TRANS32_DEP_1)
	v_rcp_f32_e32 v89, v81
	v_nop
	v_fma_f32 v90, -v81, v89, 1.0
	s_delay_alu instid0(VALU_DEP_1) | instskip(NEXT) | instid1(VALU_DEP_1)
	v_fmac_f32_e32 v89, v90, v89
	v_mul_f32_e32 v90, v91, v89
	s_delay_alu instid0(VALU_DEP_1) | instskip(NEXT) | instid1(VALU_DEP_1)
	v_fma_f32 v92, -v81, v90, v91
	v_fmac_f32_e32 v90, v92, v89
	s_delay_alu instid0(VALU_DEP_1) | instskip(NEXT) | instid1(VALU_DEP_1)
	v_fma_f32 v81, -v81, v90, v91
	v_div_fmas_f32 v81, v81, v89, v90
	s_delay_alu instid0(VALU_DEP_1) | instskip(NEXT) | instid1(VALU_DEP_1)
	v_div_fixup_f32 v81, v81, v83, v82
	v_fmac_f32_e32 v83, v82, v81
	s_delay_alu instid0(VALU_DEP_1) | instskip(SKIP_1) | instid1(VALU_DEP_2)
	v_div_scale_f32 v82, null, v83, v83, 1.0
	v_div_scale_f32 v91, vcc_lo, 1.0, v83, 1.0
	v_rcp_f32_e32 v89, v82
	v_nop
	s_delay_alu instid0(TRANS32_DEP_1) | instskip(NEXT) | instid1(VALU_DEP_1)
	v_fma_f32 v90, -v82, v89, 1.0
	v_fmac_f32_e32 v89, v90, v89
	s_delay_alu instid0(VALU_DEP_1) | instskip(NEXT) | instid1(VALU_DEP_1)
	v_mul_f32_e32 v90, v91, v89
	v_fma_f32 v92, -v82, v90, v91
	s_delay_alu instid0(VALU_DEP_1) | instskip(NEXT) | instid1(VALU_DEP_1)
	v_fmac_f32_e32 v90, v92, v89
	v_fma_f32 v82, -v82, v90, v91
	s_delay_alu instid0(VALU_DEP_1) | instskip(NEXT) | instid1(VALU_DEP_1)
	v_div_fmas_f32 v82, v82, v89, v90
	v_div_fixup_f32 v83, v82, v83, 1.0
	s_delay_alu instid0(VALU_DEP_1)
	v_mul_f32_e32 v82, v81, v83
	v_xor_b32_e32 v83, 0x80000000, v83
.LBB72_301:
	s_and_not1_saveexec_b32 s1, s1
	s_cbranch_execz .LBB72_303
; %bb.302:
	s_delay_alu instid0(VALU_DEP_1) | instskip(SKIP_1) | instid1(VALU_DEP_2)
	v_div_scale_f32 v81, null, v82, v82, v83
	v_div_scale_f32 v91, vcc_lo, v83, v82, v83
	v_rcp_f32_e32 v89, v81
	v_nop
	s_delay_alu instid0(TRANS32_DEP_1) | instskip(NEXT) | instid1(VALU_DEP_1)
	v_fma_f32 v90, -v81, v89, 1.0
	v_fmac_f32_e32 v89, v90, v89
	s_delay_alu instid0(VALU_DEP_1) | instskip(NEXT) | instid1(VALU_DEP_1)
	v_mul_f32_e32 v90, v91, v89
	v_fma_f32 v92, -v81, v90, v91
	s_delay_alu instid0(VALU_DEP_1) | instskip(NEXT) | instid1(VALU_DEP_1)
	v_fmac_f32_e32 v90, v92, v89
	v_fma_f32 v81, -v81, v90, v91
	s_delay_alu instid0(VALU_DEP_1) | instskip(NEXT) | instid1(VALU_DEP_1)
	v_div_fmas_f32 v81, v81, v89, v90
	v_div_fixup_f32 v81, v81, v82, v83
	s_delay_alu instid0(VALU_DEP_1) | instskip(NEXT) | instid1(VALU_DEP_1)
	v_fmac_f32_e32 v82, v83, v81
	v_div_scale_f32 v83, null, v82, v82, 1.0
	s_delay_alu instid0(VALU_DEP_1) | instskip(SKIP_1) | instid1(TRANS32_DEP_1)
	v_rcp_f32_e32 v89, v83
	v_nop
	v_fma_f32 v90, -v83, v89, 1.0
	s_delay_alu instid0(VALU_DEP_1) | instskip(SKIP_1) | instid1(VALU_DEP_1)
	v_fmac_f32_e32 v89, v90, v89
	v_div_scale_f32 v90, vcc_lo, 1.0, v82, 1.0
	v_mul_f32_e32 v91, v90, v89
	s_delay_alu instid0(VALU_DEP_1) | instskip(NEXT) | instid1(VALU_DEP_1)
	v_fma_f32 v92, -v83, v91, v90
	v_fmac_f32_e32 v91, v92, v89
	s_delay_alu instid0(VALU_DEP_1) | instskip(NEXT) | instid1(VALU_DEP_1)
	v_fma_f32 v83, -v83, v91, v90
	v_div_fmas_f32 v83, v83, v89, v91
	s_delay_alu instid0(VALU_DEP_1) | instskip(NEXT) | instid1(VALU_DEP_1)
	v_div_fixup_f32 v82, v83, v82, 1.0
	v_mul_f32_e64 v83, v81, -v82
.LBB72_303:
	s_or_b32 exec_lo, exec_lo, s1
.LBB72_304:
	s_delay_alu instid0(SALU_CYCLE_1) | instskip(NEXT) | instid1(SALU_CYCLE_1)
	s_or_b32 exec_lo, exec_lo, s0
	s_mov_b32 s0, exec_lo
	v_cmpx_ne_u32_e64 v88, v80
	s_xor_b32 s0, exec_lo, s0
	s_cbranch_execz .LBB72_310
; %bb.305:
	s_mov_b32 s1, exec_lo
	v_cmpx_eq_u32_e32 14, v88
	s_cbranch_execz .LBB72_309
; %bb.306:
	v_cmp_ne_u32_e32 vcc_lo, 14, v80
	s_xor_b32 s12, s16, -1
	s_delay_alu instid0(SALU_CYCLE_1) | instskip(NEXT) | instid1(SALU_CYCLE_1)
	s_and_b32 s13, s12, vcc_lo
	s_and_saveexec_b32 s12, s13
	s_cbranch_execz .LBB72_308
; %bb.307:
	v_ashrrev_i32_e32 v81, 31, v80
	s_delay_alu instid0(VALU_DEP_1)
	v_lshl_add_u64 v[88:89], v[80:81], 2, v[4:5]
	s_clause 0x1
	global_load_b32 v81, v[88:89], off
	global_load_b32 v87, v[4:5], off offset:56
	s_wait_loadcnt 0x1
	global_store_b32 v[4:5], v81, off offset:56
	s_wait_loadcnt 0x0
	global_store_b32 v[88:89], v87, off
.LBB72_308:
	s_wait_xcnt 0x0
	s_or_b32 exec_lo, exec_lo, s12
	v_dual_mov_b32 v88, v80 :: v_dual_mov_b32 v87, v80
.LBB72_309:
	s_or_b32 exec_lo, exec_lo, s1
.LBB72_310:
	s_and_not1_saveexec_b32 s0, s0
	s_cbranch_execz .LBB72_312
; %bb.311:
	v_mov_b32_e32 v88, 14
	ds_store_2addr_b64 v84, v[36:37], v[68:69] offset0:15 offset1:16
	ds_store_2addr_b64 v84, v[64:65], v[66:67] offset0:17 offset1:18
	ds_store_2addr_b64 v84, v[62:63], v[60:61] offset0:19 offset1:20
	ds_store_2addr_b64 v84, v[56:57], v[58:59] offset0:21 offset1:22
	ds_store_2addr_b64 v84, v[54:55], v[50:51] offset0:23 offset1:24
	ds_store_2addr_b64 v84, v[46:47], v[48:49] offset0:25 offset1:26
	ds_store_2addr_b64 v84, v[44:45], v[14:15] offset0:27 offset1:28
	ds_store_2addr_b64 v84, v[10:11], v[12:13] offset0:29 offset1:30
	ds_store_2addr_b64 v84, v[8:9], v[6:7] offset0:31 offset1:32
	ds_store_2addr_b64 v84, v[52:53], v[34:35] offset0:33 offset1:34
	ds_store_2addr_b64 v84, v[16:17], v[78:79] offset0:35 offset1:36
.LBB72_312:
	s_or_b32 exec_lo, exec_lo, s0
	s_delay_alu instid0(SALU_CYCLE_1)
	s_mov_b32 s0, exec_lo
	s_wait_storecnt_dscnt 0x0
	s_barrier_signal -1
	s_barrier_wait -1
	v_cmpx_lt_i32_e32 14, v88
	s_cbranch_execz .LBB72_314
; %bb.313:
	v_pk_mul_f32 v[90:91], v[82:83], v[40:41] op_sel:[1,1] op_sel_hi:[0,1]
	s_delay_alu instid0(VALU_DEP_1)
	v_pk_fma_f32 v[80:81], v[82:83], v[40:41], v[90:91] op_sel_hi:[1,0,1] neg_lo:[0,0,1] neg_hi:[0,0,1]
	v_pk_fma_f32 v[82:83], v[82:83], v[40:41], v[90:91] op_sel_hi:[1,0,1]
	ds_load_2addr_b64 v[90:93], v84 offset0:15 offset1:16
	v_dual_mov_b32 v40, v80 :: v_dual_mov_b32 v41, v83
	s_wait_dscnt 0x0
	v_pk_mul_f32 v[94:95], v[90:91], v[82:83] op_sel:[0,1]
	s_delay_alu instid0(VALU_DEP_1) | instskip(SKIP_1) | instid1(VALU_DEP_1)
	v_pk_fma_f32 v[96:97], v[90:91], v[80:81], v[94:95] op_sel:[0,0,1] op_sel_hi:[1,1,0] neg_lo:[0,0,1] neg_hi:[0,0,1]
	v_pk_fma_f32 v[90:91], v[90:91], v[80:81], v[94:95] op_sel:[0,0,1] op_sel_hi:[1,0,0]
	v_mov_b32_e32 v97, v91
	v_pk_mul_f32 v[90:91], v[92:93], v[82:83] op_sel:[0,1]
	s_delay_alu instid0(VALU_DEP_1) | instskip(SKIP_1) | instid1(VALU_DEP_1)
	v_pk_fma_f32 v[94:95], v[92:93], v[80:81], v[90:91] op_sel:[0,0,1] op_sel_hi:[1,1,0] neg_lo:[0,0,1] neg_hi:[0,0,1]
	v_pk_fma_f32 v[90:91], v[92:93], v[80:81], v[90:91] op_sel:[0,0,1] op_sel_hi:[1,0,0]
	v_mov_b32_e32 v95, v91
	ds_load_2addr_b64 v[90:93], v84 offset0:17 offset1:18
	v_pk_add_f32 v[36:37], v[36:37], v[96:97] neg_lo:[0,1] neg_hi:[0,1]
	v_pk_add_f32 v[68:69], v[68:69], v[94:95] neg_lo:[0,1] neg_hi:[0,1]
	s_wait_dscnt 0x0
	v_pk_mul_f32 v[94:95], v[90:91], v[82:83] op_sel:[0,1]
	s_delay_alu instid0(VALU_DEP_1) | instskip(SKIP_2) | instid1(VALU_DEP_2)
	v_pk_fma_f32 v[96:97], v[90:91], v[80:81], v[94:95] op_sel:[0,0,1] op_sel_hi:[1,1,0] neg_lo:[0,0,1] neg_hi:[0,0,1]
	v_pk_fma_f32 v[90:91], v[90:91], v[80:81], v[94:95] op_sel:[0,0,1] op_sel_hi:[1,0,0]
	v_dual_mul_f32 v94, v93, v83 :: v_dual_mov_b32 v90, v93
	v_dual_mov_b32 v97, v91 :: v_dual_mov_b32 v91, v92
	s_delay_alu instid0(VALU_DEP_2) | instskip(SKIP_1) | instid1(VALU_DEP_3)
	v_pk_fma_f32 v[94:95], v[92:93], v[40:41], v[94:95] op_sel_hi:[1,1,0] neg_lo:[0,0,1] neg_hi:[0,0,1]
	v_mul_f32_e32 v92, v93, v80
	v_pk_add_f32 v[64:65], v[64:65], v[96:97] neg_lo:[0,1] neg_hi:[0,1]
	s_delay_alu instid0(VALU_DEP_2) | instskip(NEXT) | instid1(VALU_DEP_1)
	v_pk_fma_f32 v[90:91], v[90:91], v[40:41], v[92:93] op_sel_hi:[1,1,0]
	v_mov_b32_e32 v95, v91
	ds_load_2addr_b64 v[90:93], v84 offset0:19 offset1:20
	v_pk_add_f32 v[66:67], v[66:67], v[94:95] neg_lo:[0,1] neg_hi:[0,1]
	s_wait_dscnt 0x0
	v_pk_mul_f32 v[94:95], v[90:91], v[82:83] op_sel:[0,1]
	s_delay_alu instid0(VALU_DEP_1) | instskip(SKIP_1) | instid1(VALU_DEP_1)
	v_pk_fma_f32 v[96:97], v[90:91], v[80:81], v[94:95] op_sel:[0,0,1] op_sel_hi:[1,1,0] neg_lo:[0,0,1] neg_hi:[0,0,1]
	v_pk_fma_f32 v[90:91], v[90:91], v[80:81], v[94:95] op_sel:[0,0,1] op_sel_hi:[1,0,0]
	v_mov_b32_e32 v97, v91
	v_pk_mul_f32 v[90:91], v[92:93], v[82:83] op_sel:[0,1]
	s_delay_alu instid0(VALU_DEP_1) | instskip(SKIP_1) | instid1(VALU_DEP_1)
	v_pk_fma_f32 v[94:95], v[92:93], v[80:81], v[90:91] op_sel:[0,0,1] op_sel_hi:[1,1,0] neg_lo:[0,0,1] neg_hi:[0,0,1]
	v_pk_fma_f32 v[90:91], v[92:93], v[80:81], v[90:91] op_sel:[0,0,1] op_sel_hi:[1,0,0]
	v_mov_b32_e32 v95, v91
	ds_load_2addr_b64 v[90:93], v84 offset0:21 offset1:22
	v_pk_add_f32 v[62:63], v[62:63], v[96:97] neg_lo:[0,1] neg_hi:[0,1]
	v_pk_add_f32 v[60:61], v[60:61], v[94:95] neg_lo:[0,1] neg_hi:[0,1]
	s_wait_dscnt 0x0
	v_pk_mul_f32 v[94:95], v[90:91], v[82:83] op_sel:[0,1]
	s_delay_alu instid0(VALU_DEP_1) | instskip(SKIP_1) | instid1(VALU_DEP_1)
	v_pk_fma_f32 v[96:97], v[90:91], v[80:81], v[94:95] op_sel:[0,0,1] op_sel_hi:[1,1,0] neg_lo:[0,0,1] neg_hi:[0,0,1]
	v_pk_fma_f32 v[90:91], v[90:91], v[80:81], v[94:95] op_sel:[0,0,1] op_sel_hi:[1,0,0]
	v_mov_b32_e32 v97, v91
	v_pk_mul_f32 v[90:91], v[92:93], v[82:83] op_sel:[0,1]
	s_delay_alu instid0(VALU_DEP_1) | instskip(SKIP_1) | instid1(VALU_DEP_1)
	v_pk_fma_f32 v[94:95], v[92:93], v[80:81], v[90:91] op_sel:[0,0,1] op_sel_hi:[1,1,0] neg_lo:[0,0,1] neg_hi:[0,0,1]
	v_pk_fma_f32 v[90:91], v[92:93], v[80:81], v[90:91] op_sel:[0,0,1] op_sel_hi:[1,0,0]
	v_mov_b32_e32 v95, v91
	ds_load_2addr_b64 v[90:93], v84 offset0:23 offset1:24
	v_pk_add_f32 v[56:57], v[56:57], v[96:97] neg_lo:[0,1] neg_hi:[0,1]
	v_pk_add_f32 v[58:59], v[58:59], v[94:95] neg_lo:[0,1] neg_hi:[0,1]
	s_wait_dscnt 0x0
	v_dual_mul_f32 v94, v91, v83 :: v_dual_mul_f32 v96, v91, v80
	s_delay_alu instid0(VALU_DEP_1) | instskip(NEXT) | instid1(VALU_DEP_2)
	v_pk_fma_f32 v[94:95], v[90:91], v[40:41], v[94:95] op_sel_hi:[1,1,0] neg_lo:[0,0,1] neg_hi:[0,0,1]
	v_pk_fma_f32 v[90:91], v[90:91], v[40:41], v[96:97] op_sel:[1,0,0] op_sel_hi:[0,1,0]
	s_delay_alu instid0(VALU_DEP_1) | instskip(SKIP_1) | instid1(VALU_DEP_2)
	v_mov_b32_e32 v95, v91
	v_pk_mul_f32 v[90:91], v[92:93], v[82:83] op_sel:[0,1]
	v_pk_add_f32 v[54:55], v[54:55], v[94:95] neg_lo:[0,1] neg_hi:[0,1]
	s_delay_alu instid0(VALU_DEP_2) | instskip(SKIP_1) | instid1(VALU_DEP_1)
	v_pk_fma_f32 v[94:95], v[92:93], v[80:81], v[90:91] op_sel:[0,0,1] op_sel_hi:[1,1,0] neg_lo:[0,0,1] neg_hi:[0,0,1]
	v_pk_fma_f32 v[90:91], v[92:93], v[80:81], v[90:91] op_sel:[0,0,1] op_sel_hi:[1,0,0]
	v_mov_b32_e32 v95, v91
	ds_load_2addr_b64 v[90:93], v84 offset0:25 offset1:26
	v_pk_add_f32 v[50:51], v[50:51], v[94:95] neg_lo:[0,1] neg_hi:[0,1]
	s_wait_dscnt 0x0
	v_pk_mul_f32 v[94:95], v[90:91], v[82:83] op_sel:[0,1]
	s_delay_alu instid0(VALU_DEP_1) | instskip(SKIP_1) | instid1(VALU_DEP_1)
	v_pk_fma_f32 v[96:97], v[90:91], v[80:81], v[94:95] op_sel:[0,0,1] op_sel_hi:[1,1,0] neg_lo:[0,0,1] neg_hi:[0,0,1]
	v_pk_fma_f32 v[90:91], v[90:91], v[80:81], v[94:95] op_sel:[0,0,1] op_sel_hi:[1,0,0]
	v_mov_b32_e32 v97, v91
	v_pk_mul_f32 v[90:91], v[92:93], v[82:83] op_sel:[0,1]
	s_delay_alu instid0(VALU_DEP_2) | instskip(NEXT) | instid1(VALU_DEP_2)
	v_pk_add_f32 v[46:47], v[46:47], v[96:97] neg_lo:[0,1] neg_hi:[0,1]
	v_pk_fma_f32 v[94:95], v[92:93], v[80:81], v[90:91] op_sel:[0,0,1] op_sel_hi:[1,1,0] neg_lo:[0,0,1] neg_hi:[0,0,1]
	v_pk_fma_f32 v[90:91], v[92:93], v[80:81], v[90:91] op_sel:[0,0,1] op_sel_hi:[1,0,0]
	s_delay_alu instid0(VALU_DEP_1) | instskip(SKIP_4) | instid1(VALU_DEP_1)
	v_mov_b32_e32 v95, v91
	ds_load_2addr_b64 v[90:93], v84 offset0:27 offset1:28
	v_pk_add_f32 v[48:49], v[48:49], v[94:95] neg_lo:[0,1] neg_hi:[0,1]
	s_wait_dscnt 0x0
	v_pk_mul_f32 v[94:95], v[90:91], v[82:83] op_sel:[0,1]
	v_pk_fma_f32 v[96:97], v[90:91], v[80:81], v[94:95] op_sel:[0,0,1] op_sel_hi:[1,1,0] neg_lo:[0,0,1] neg_hi:[0,0,1]
	v_pk_fma_f32 v[90:91], v[90:91], v[80:81], v[94:95] op_sel:[0,0,1] op_sel_hi:[1,0,0]
	v_dual_mul_f32 v94, v93, v83 :: v_dual_mov_b32 v90, v93
	s_delay_alu instid0(VALU_DEP_2) | instskip(NEXT) | instid1(VALU_DEP_2)
	v_dual_mov_b32 v97, v91 :: v_dual_mov_b32 v91, v92
	v_pk_fma_f32 v[94:95], v[92:93], v[40:41], v[94:95] op_sel_hi:[1,1,0] neg_lo:[0,0,1] neg_hi:[0,0,1]
	v_mul_f32_e32 v92, v93, v80
	s_delay_alu instid0(VALU_DEP_3) | instskip(NEXT) | instid1(VALU_DEP_2)
	v_pk_add_f32 v[44:45], v[44:45], v[96:97] neg_lo:[0,1] neg_hi:[0,1]
	v_pk_fma_f32 v[90:91], v[90:91], v[40:41], v[92:93] op_sel_hi:[1,1,0]
	s_delay_alu instid0(VALU_DEP_1) | instskip(SKIP_4) | instid1(VALU_DEP_1)
	v_mov_b32_e32 v95, v91
	ds_load_2addr_b64 v[90:93], v84 offset0:29 offset1:30
	v_pk_add_f32 v[14:15], v[14:15], v[94:95] neg_lo:[0,1] neg_hi:[0,1]
	s_wait_dscnt 0x0
	v_pk_mul_f32 v[94:95], v[90:91], v[82:83] op_sel:[0,1]
	v_pk_fma_f32 v[96:97], v[90:91], v[80:81], v[94:95] op_sel:[0,0,1] op_sel_hi:[1,1,0] neg_lo:[0,0,1] neg_hi:[0,0,1]
	v_pk_fma_f32 v[90:91], v[90:91], v[80:81], v[94:95] op_sel:[0,0,1] op_sel_hi:[1,0,0]
	s_delay_alu instid0(VALU_DEP_1) | instskip(SKIP_1) | instid1(VALU_DEP_1)
	v_mov_b32_e32 v97, v91
	v_pk_mul_f32 v[90:91], v[92:93], v[82:83] op_sel:[0,1]
	v_pk_fma_f32 v[94:95], v[92:93], v[80:81], v[90:91] op_sel:[0,0,1] op_sel_hi:[1,1,0] neg_lo:[0,0,1] neg_hi:[0,0,1]
	v_pk_fma_f32 v[90:91], v[92:93], v[80:81], v[90:91] op_sel:[0,0,1] op_sel_hi:[1,0,0]
	s_delay_alu instid0(VALU_DEP_1)
	v_mov_b32_e32 v95, v91
	ds_load_2addr_b64 v[90:93], v84 offset0:31 offset1:32
	v_pk_add_f32 v[10:11], v[10:11], v[96:97] neg_lo:[0,1] neg_hi:[0,1]
	v_pk_add_f32 v[12:13], v[12:13], v[94:95] neg_lo:[0,1] neg_hi:[0,1]
	s_wait_dscnt 0x0
	v_pk_mul_f32 v[94:95], v[90:91], v[82:83] op_sel:[0,1]
	s_delay_alu instid0(VALU_DEP_1) | instskip(SKIP_1) | instid1(VALU_DEP_1)
	v_pk_fma_f32 v[96:97], v[90:91], v[80:81], v[94:95] op_sel:[0,0,1] op_sel_hi:[1,1,0] neg_lo:[0,0,1] neg_hi:[0,0,1]
	v_pk_fma_f32 v[90:91], v[90:91], v[80:81], v[94:95] op_sel:[0,0,1] op_sel_hi:[1,0,0]
	v_mov_b32_e32 v97, v91
	v_pk_mul_f32 v[90:91], v[92:93], v[82:83] op_sel:[0,1]
	s_delay_alu instid0(VALU_DEP_1) | instskip(SKIP_1) | instid1(VALU_DEP_1)
	v_pk_fma_f32 v[94:95], v[92:93], v[80:81], v[90:91] op_sel:[0,0,1] op_sel_hi:[1,1,0] neg_lo:[0,0,1] neg_hi:[0,0,1]
	v_pk_fma_f32 v[90:91], v[92:93], v[80:81], v[90:91] op_sel:[0,0,1] op_sel_hi:[1,0,0]
	v_mov_b32_e32 v95, v91
	ds_load_2addr_b64 v[90:93], v84 offset0:33 offset1:34
	v_pk_add_f32 v[8:9], v[8:9], v[96:97] neg_lo:[0,1] neg_hi:[0,1]
	v_pk_add_f32 v[6:7], v[6:7], v[94:95] neg_lo:[0,1] neg_hi:[0,1]
	s_wait_dscnt 0x0
	v_dual_mul_f32 v94, v91, v83 :: v_dual_mul_f32 v96, v91, v80
	s_delay_alu instid0(VALU_DEP_1) | instskip(NEXT) | instid1(VALU_DEP_2)
	v_pk_fma_f32 v[94:95], v[90:91], v[40:41], v[94:95] op_sel_hi:[1,1,0] neg_lo:[0,0,1] neg_hi:[0,0,1]
	v_pk_fma_f32 v[90:91], v[90:91], v[40:41], v[96:97] op_sel:[1,0,0] op_sel_hi:[0,1,0]
	s_delay_alu instid0(VALU_DEP_1) | instskip(SKIP_1) | instid1(VALU_DEP_2)
	v_mov_b32_e32 v95, v91
	v_pk_mul_f32 v[90:91], v[92:93], v[82:83] op_sel:[0,1]
	v_pk_add_f32 v[52:53], v[52:53], v[94:95] neg_lo:[0,1] neg_hi:[0,1]
	s_delay_alu instid0(VALU_DEP_2) | instskip(SKIP_1) | instid1(VALU_DEP_1)
	v_pk_fma_f32 v[94:95], v[92:93], v[80:81], v[90:91] op_sel:[0,0,1] op_sel_hi:[1,1,0] neg_lo:[0,0,1] neg_hi:[0,0,1]
	v_pk_fma_f32 v[90:91], v[92:93], v[80:81], v[90:91] op_sel:[0,0,1] op_sel_hi:[1,0,0]
	v_mov_b32_e32 v95, v91
	ds_load_2addr_b64 v[90:93], v84 offset0:35 offset1:36
	v_pk_add_f32 v[34:35], v[34:35], v[94:95] neg_lo:[0,1] neg_hi:[0,1]
	s_wait_dscnt 0x0
	v_pk_mul_f32 v[94:95], v[90:91], v[82:83] op_sel:[0,1]
	v_pk_mul_f32 v[82:83], v[92:93], v[82:83] op_sel:[0,1]
	s_delay_alu instid0(VALU_DEP_2) | instskip(SKIP_1) | instid1(VALU_DEP_1)
	v_pk_fma_f32 v[96:97], v[90:91], v[80:81], v[94:95] op_sel:[0,0,1] op_sel_hi:[1,1,0] neg_lo:[0,0,1] neg_hi:[0,0,1]
	v_pk_fma_f32 v[90:91], v[90:91], v[80:81], v[94:95] op_sel:[0,0,1] op_sel_hi:[1,0,0]
	v_mov_b32_e32 v97, v91
	s_delay_alu instid0(VALU_DEP_4) | instskip(SKIP_1) | instid1(VALU_DEP_3)
	v_pk_fma_f32 v[90:91], v[92:93], v[80:81], v[82:83] op_sel:[0,0,1] op_sel_hi:[1,1,0] neg_lo:[0,0,1] neg_hi:[0,0,1]
	v_pk_fma_f32 v[80:81], v[92:93], v[80:81], v[82:83] op_sel:[0,0,1] op_sel_hi:[1,0,0]
	v_pk_add_f32 v[16:17], v[16:17], v[96:97] neg_lo:[0,1] neg_hi:[0,1]
	s_delay_alu instid0(VALU_DEP_2) | instskip(NEXT) | instid1(VALU_DEP_1)
	v_mov_b32_e32 v91, v81
	v_pk_add_f32 v[78:79], v[78:79], v[90:91] neg_lo:[0,1] neg_hi:[0,1]
.LBB72_314:
	s_or_b32 exec_lo, exec_lo, s0
	v_lshl_add_u32 v80, v88, 3, v84
	s_barrier_signal -1
	s_barrier_wait -1
	ds_store_b64 v80, v[36:37]
	s_wait_dscnt 0x0
	s_barrier_signal -1
	s_barrier_wait -1
	ds_load_b64 v[82:83], v84 offset:120
	v_mov_b32_e32 v80, 15
	s_cmp_lt_i32 s18, 17
	s_cbranch_scc1 .LBB72_317
; %bb.315:
	v_add3_u32 v81, v85, 0, 0x80
	v_mov_b32_e32 v80, 15
	s_mov_b32 s0, 16
.LBB72_316:                             ; =>This Inner Loop Header: Depth=1
	ds_load_b64 v[90:91], v81
	s_wait_dscnt 0x1
	v_cmp_gt_f32_e32 vcc_lo, 0, v82
	v_cndmask_b32_e64 v92, v82, -v82, vcc_lo
	v_cmp_gt_f32_e32 vcc_lo, 0, v83
	v_cndmask_b32_e64 v94, v83, -v83, vcc_lo
	s_wait_dscnt 0x0
	v_cmp_gt_f32_e32 vcc_lo, 0, v90
	v_cndmask_b32_e64 v93, v90, -v90, vcc_lo
	v_cmp_gt_f32_e32 vcc_lo, 0, v91
	v_cndmask_b32_e64 v95, v91, -v91, vcc_lo
	s_delay_alu instid0(VALU_DEP_1) | instskip(NEXT) | instid1(VALU_DEP_1)
	v_pk_add_f32 v[92:93], v[92:93], v[94:95]
	v_cmp_lt_f32_e32 vcc_lo, v92, v93
	v_dual_add_nc_u32 v81, 8, v81 :: v_dual_cndmask_b32 v83, v83, v91, vcc_lo
	v_cndmask_b32_e32 v82, v82, v90, vcc_lo
	v_cndmask_b32_e64 v80, v80, s0, vcc_lo
	s_add_co_i32 s0, s0, 1
	s_delay_alu instid0(SALU_CYCLE_1)
	s_cmp_lg_u32 s18, s0
	s_cbranch_scc1 .LBB72_316
.LBB72_317:
	s_wait_dscnt 0x0
	v_cmp_eq_f32_e32 vcc_lo, 0, v82
	v_cmp_eq_f32_e64 s0, 0, v83
	s_and_b32 s0, vcc_lo, s0
	s_delay_alu instid0(SALU_CYCLE_1) | instskip(NEXT) | instid1(SALU_CYCLE_1)
	s_and_saveexec_b32 s1, s0
	s_xor_b32 s0, exec_lo, s1
; %bb.318:
	v_cmp_ne_u32_e32 vcc_lo, 0, v86
	v_cndmask_b32_e32 v86, 16, v86, vcc_lo
; %bb.319:
	s_and_not1_saveexec_b32 s0, s0
	s_cbranch_execz .LBB72_325
; %bb.320:
	v_cmp_ngt_f32_e64 s1, |v82|, |v83|
	s_and_saveexec_b32 s12, s1
	s_delay_alu instid0(SALU_CYCLE_1)
	s_xor_b32 s1, exec_lo, s12
	s_cbranch_execz .LBB72_322
; %bb.321:
	v_div_scale_f32 v81, null, v83, v83, v82
	v_div_scale_f32 v91, vcc_lo, v82, v83, v82
	s_delay_alu instid0(VALU_DEP_2) | instskip(SKIP_1) | instid1(TRANS32_DEP_1)
	v_rcp_f32_e32 v89, v81
	v_nop
	v_fma_f32 v90, -v81, v89, 1.0
	s_delay_alu instid0(VALU_DEP_1) | instskip(NEXT) | instid1(VALU_DEP_1)
	v_fmac_f32_e32 v89, v90, v89
	v_mul_f32_e32 v90, v91, v89
	s_delay_alu instid0(VALU_DEP_1) | instskip(NEXT) | instid1(VALU_DEP_1)
	v_fma_f32 v92, -v81, v90, v91
	v_fmac_f32_e32 v90, v92, v89
	s_delay_alu instid0(VALU_DEP_1) | instskip(NEXT) | instid1(VALU_DEP_1)
	v_fma_f32 v81, -v81, v90, v91
	v_div_fmas_f32 v81, v81, v89, v90
	s_delay_alu instid0(VALU_DEP_1) | instskip(NEXT) | instid1(VALU_DEP_1)
	v_div_fixup_f32 v81, v81, v83, v82
	v_fmac_f32_e32 v83, v82, v81
	s_delay_alu instid0(VALU_DEP_1) | instskip(SKIP_1) | instid1(VALU_DEP_2)
	v_div_scale_f32 v82, null, v83, v83, 1.0
	v_div_scale_f32 v91, vcc_lo, 1.0, v83, 1.0
	v_rcp_f32_e32 v89, v82
	v_nop
	s_delay_alu instid0(TRANS32_DEP_1) | instskip(NEXT) | instid1(VALU_DEP_1)
	v_fma_f32 v90, -v82, v89, 1.0
	v_fmac_f32_e32 v89, v90, v89
	s_delay_alu instid0(VALU_DEP_1) | instskip(NEXT) | instid1(VALU_DEP_1)
	v_mul_f32_e32 v90, v91, v89
	v_fma_f32 v92, -v82, v90, v91
	s_delay_alu instid0(VALU_DEP_1) | instskip(NEXT) | instid1(VALU_DEP_1)
	v_fmac_f32_e32 v90, v92, v89
	v_fma_f32 v82, -v82, v90, v91
	s_delay_alu instid0(VALU_DEP_1) | instskip(NEXT) | instid1(VALU_DEP_1)
	v_div_fmas_f32 v82, v82, v89, v90
	v_div_fixup_f32 v83, v82, v83, 1.0
	s_delay_alu instid0(VALU_DEP_1)
	v_mul_f32_e32 v82, v81, v83
	v_xor_b32_e32 v83, 0x80000000, v83
.LBB72_322:
	s_and_not1_saveexec_b32 s1, s1
	s_cbranch_execz .LBB72_324
; %bb.323:
	s_delay_alu instid0(VALU_DEP_1) | instskip(SKIP_1) | instid1(VALU_DEP_2)
	v_div_scale_f32 v81, null, v82, v82, v83
	v_div_scale_f32 v91, vcc_lo, v83, v82, v83
	v_rcp_f32_e32 v89, v81
	v_nop
	s_delay_alu instid0(TRANS32_DEP_1) | instskip(NEXT) | instid1(VALU_DEP_1)
	v_fma_f32 v90, -v81, v89, 1.0
	v_fmac_f32_e32 v89, v90, v89
	s_delay_alu instid0(VALU_DEP_1) | instskip(NEXT) | instid1(VALU_DEP_1)
	v_mul_f32_e32 v90, v91, v89
	v_fma_f32 v92, -v81, v90, v91
	s_delay_alu instid0(VALU_DEP_1) | instskip(NEXT) | instid1(VALU_DEP_1)
	v_fmac_f32_e32 v90, v92, v89
	v_fma_f32 v81, -v81, v90, v91
	s_delay_alu instid0(VALU_DEP_1) | instskip(NEXT) | instid1(VALU_DEP_1)
	v_div_fmas_f32 v81, v81, v89, v90
	v_div_fixup_f32 v81, v81, v82, v83
	s_delay_alu instid0(VALU_DEP_1) | instskip(NEXT) | instid1(VALU_DEP_1)
	v_fmac_f32_e32 v82, v83, v81
	v_div_scale_f32 v83, null, v82, v82, 1.0
	s_delay_alu instid0(VALU_DEP_1) | instskip(SKIP_1) | instid1(TRANS32_DEP_1)
	v_rcp_f32_e32 v89, v83
	v_nop
	v_fma_f32 v90, -v83, v89, 1.0
	s_delay_alu instid0(VALU_DEP_1) | instskip(SKIP_1) | instid1(VALU_DEP_1)
	v_fmac_f32_e32 v89, v90, v89
	v_div_scale_f32 v90, vcc_lo, 1.0, v82, 1.0
	v_mul_f32_e32 v91, v90, v89
	s_delay_alu instid0(VALU_DEP_1) | instskip(NEXT) | instid1(VALU_DEP_1)
	v_fma_f32 v92, -v83, v91, v90
	v_fmac_f32_e32 v91, v92, v89
	s_delay_alu instid0(VALU_DEP_1) | instskip(NEXT) | instid1(VALU_DEP_1)
	v_fma_f32 v83, -v83, v91, v90
	v_div_fmas_f32 v83, v83, v89, v91
	s_delay_alu instid0(VALU_DEP_1) | instskip(NEXT) | instid1(VALU_DEP_1)
	v_div_fixup_f32 v82, v83, v82, 1.0
	v_mul_f32_e64 v83, v81, -v82
.LBB72_324:
	s_or_b32 exec_lo, exec_lo, s1
.LBB72_325:
	s_delay_alu instid0(SALU_CYCLE_1) | instskip(NEXT) | instid1(SALU_CYCLE_1)
	s_or_b32 exec_lo, exec_lo, s0
	s_mov_b32 s0, exec_lo
	v_cmpx_ne_u32_e64 v88, v80
	s_xor_b32 s0, exec_lo, s0
	s_cbranch_execz .LBB72_331
; %bb.326:
	s_mov_b32 s1, exec_lo
	v_cmpx_eq_u32_e32 15, v88
	s_cbranch_execz .LBB72_330
; %bb.327:
	v_cmp_ne_u32_e32 vcc_lo, 15, v80
	s_xor_b32 s12, s16, -1
	s_delay_alu instid0(SALU_CYCLE_1) | instskip(NEXT) | instid1(SALU_CYCLE_1)
	s_and_b32 s13, s12, vcc_lo
	s_and_saveexec_b32 s12, s13
	s_cbranch_execz .LBB72_329
; %bb.328:
	v_ashrrev_i32_e32 v81, 31, v80
	s_delay_alu instid0(VALU_DEP_1)
	v_lshl_add_u64 v[88:89], v[80:81], 2, v[4:5]
	s_clause 0x1
	global_load_b32 v81, v[88:89], off
	global_load_b32 v87, v[4:5], off offset:60
	s_wait_loadcnt 0x1
	global_store_b32 v[4:5], v81, off offset:60
	s_wait_loadcnt 0x0
	global_store_b32 v[88:89], v87, off
.LBB72_329:
	s_wait_xcnt 0x0
	s_or_b32 exec_lo, exec_lo, s12
	v_dual_mov_b32 v88, v80 :: v_dual_mov_b32 v87, v80
.LBB72_330:
	s_or_b32 exec_lo, exec_lo, s1
.LBB72_331:
	s_and_not1_saveexec_b32 s0, s0
	s_cbranch_execz .LBB72_333
; %bb.332:
	v_dual_mov_b32 v80, v68 :: v_dual_mov_b32 v81, v69
	v_dual_mov_b32 v88, v64 :: v_dual_mov_b32 v89, v65
	;; [unrolled: 1-line block ×12, first 2 shown]
	ds_store_2addr_b64 v84, v[80:81], v[88:89] offset0:16 offset1:17
	ds_store_2addr_b64 v84, v[90:91], v[92:93] offset0:18 offset1:19
	;; [unrolled: 1-line block ×6, first 2 shown]
	v_dual_mov_b32 v80, v14 :: v_dual_mov_b32 v81, v15
	v_dual_mov_b32 v90, v10 :: v_dual_mov_b32 v91, v11
	;; [unrolled: 1-line block ×8, first 2 shown]
	v_mov_b32_e32 v103, v17
	ds_store_2addr_b64 v84, v[80:81], v[90:91] offset0:28 offset1:29
	ds_store_2addr_b64 v84, v[92:93], v[94:95] offset0:30 offset1:31
	;; [unrolled: 1-line block ×4, first 2 shown]
	ds_store_b64 v84, v[78:79] offset:288
.LBB72_333:
	s_or_b32 exec_lo, exec_lo, s0
	s_delay_alu instid0(SALU_CYCLE_1)
	s_mov_b32 s0, exec_lo
	s_wait_storecnt_dscnt 0x0
	s_barrier_signal -1
	s_barrier_wait -1
	v_cmpx_lt_i32_e32 15, v88
	s_cbranch_execz .LBB72_335
; %bb.334:
	v_pk_mul_f32 v[90:91], v[82:83], v[36:37] op_sel:[1,1] op_sel_hi:[0,1]
	s_delay_alu instid0(VALU_DEP_1)
	v_pk_fma_f32 v[80:81], v[82:83], v[36:37], v[90:91] op_sel_hi:[1,0,1] neg_lo:[0,0,1] neg_hi:[0,0,1]
	v_pk_fma_f32 v[82:83], v[82:83], v[36:37], v[90:91] op_sel_hi:[1,0,1]
	ds_load_2addr_b64 v[90:93], v84 offset0:16 offset1:17
	v_dual_mov_b32 v36, v80 :: v_dual_mov_b32 v37, v83
	s_wait_dscnt 0x0
	v_pk_mul_f32 v[94:95], v[90:91], v[82:83] op_sel:[0,1]
	s_delay_alu instid0(VALU_DEP_1) | instskip(SKIP_1) | instid1(VALU_DEP_1)
	v_pk_fma_f32 v[96:97], v[90:91], v[80:81], v[94:95] op_sel:[0,0,1] op_sel_hi:[1,1,0] neg_lo:[0,0,1] neg_hi:[0,0,1]
	v_pk_fma_f32 v[90:91], v[90:91], v[80:81], v[94:95] op_sel:[0,0,1] op_sel_hi:[1,0,0]
	v_mov_b32_e32 v97, v91
	v_pk_mul_f32 v[90:91], v[92:93], v[82:83] op_sel:[0,1]
	s_delay_alu instid0(VALU_DEP_1) | instskip(SKIP_1) | instid1(VALU_DEP_1)
	v_pk_fma_f32 v[94:95], v[92:93], v[80:81], v[90:91] op_sel:[0,0,1] op_sel_hi:[1,1,0] neg_lo:[0,0,1] neg_hi:[0,0,1]
	v_pk_fma_f32 v[90:91], v[92:93], v[80:81], v[90:91] op_sel:[0,0,1] op_sel_hi:[1,0,0]
	v_mov_b32_e32 v95, v91
	ds_load_2addr_b64 v[90:93], v84 offset0:18 offset1:19
	v_pk_add_f32 v[68:69], v[68:69], v[96:97] neg_lo:[0,1] neg_hi:[0,1]
	v_pk_add_f32 v[64:65], v[64:65], v[94:95] neg_lo:[0,1] neg_hi:[0,1]
	s_wait_dscnt 0x0
	v_pk_mul_f32 v[94:95], v[90:91], v[82:83] op_sel:[0,1]
	s_delay_alu instid0(VALU_DEP_1) | instskip(SKIP_2) | instid1(VALU_DEP_2)
	v_pk_fma_f32 v[96:97], v[90:91], v[80:81], v[94:95] op_sel:[0,0,1] op_sel_hi:[1,1,0] neg_lo:[0,0,1] neg_hi:[0,0,1]
	v_pk_fma_f32 v[90:91], v[90:91], v[80:81], v[94:95] op_sel:[0,0,1] op_sel_hi:[1,0,0]
	v_dual_mul_f32 v94, v93, v83 :: v_dual_mov_b32 v90, v93
	v_dual_mov_b32 v97, v91 :: v_dual_mov_b32 v91, v92
	s_delay_alu instid0(VALU_DEP_2) | instskip(SKIP_1) | instid1(VALU_DEP_3)
	v_pk_fma_f32 v[94:95], v[92:93], v[36:37], v[94:95] op_sel_hi:[1,1,0] neg_lo:[0,0,1] neg_hi:[0,0,1]
	v_mul_f32_e32 v92, v93, v80
	v_pk_add_f32 v[66:67], v[66:67], v[96:97] neg_lo:[0,1] neg_hi:[0,1]
	s_delay_alu instid0(VALU_DEP_2) | instskip(NEXT) | instid1(VALU_DEP_1)
	v_pk_fma_f32 v[90:91], v[90:91], v[36:37], v[92:93] op_sel_hi:[1,1,0]
	v_mov_b32_e32 v95, v91
	ds_load_2addr_b64 v[90:93], v84 offset0:20 offset1:21
	v_pk_add_f32 v[62:63], v[62:63], v[94:95] neg_lo:[0,1] neg_hi:[0,1]
	s_wait_dscnt 0x0
	v_pk_mul_f32 v[94:95], v[90:91], v[82:83] op_sel:[0,1]
	s_delay_alu instid0(VALU_DEP_1) | instskip(SKIP_1) | instid1(VALU_DEP_1)
	v_pk_fma_f32 v[96:97], v[90:91], v[80:81], v[94:95] op_sel:[0,0,1] op_sel_hi:[1,1,0] neg_lo:[0,0,1] neg_hi:[0,0,1]
	v_pk_fma_f32 v[90:91], v[90:91], v[80:81], v[94:95] op_sel:[0,0,1] op_sel_hi:[1,0,0]
	v_mov_b32_e32 v97, v91
	v_pk_mul_f32 v[90:91], v[92:93], v[82:83] op_sel:[0,1]
	s_delay_alu instid0(VALU_DEP_1) | instskip(SKIP_1) | instid1(VALU_DEP_1)
	v_pk_fma_f32 v[94:95], v[92:93], v[80:81], v[90:91] op_sel:[0,0,1] op_sel_hi:[1,1,0] neg_lo:[0,0,1] neg_hi:[0,0,1]
	v_pk_fma_f32 v[90:91], v[92:93], v[80:81], v[90:91] op_sel:[0,0,1] op_sel_hi:[1,0,0]
	v_mov_b32_e32 v95, v91
	ds_load_2addr_b64 v[90:93], v84 offset0:22 offset1:23
	v_pk_add_f32 v[60:61], v[60:61], v[96:97] neg_lo:[0,1] neg_hi:[0,1]
	v_pk_add_f32 v[56:57], v[56:57], v[94:95] neg_lo:[0,1] neg_hi:[0,1]
	s_wait_dscnt 0x0
	v_pk_mul_f32 v[94:95], v[90:91], v[82:83] op_sel:[0,1]
	s_delay_alu instid0(VALU_DEP_1) | instskip(SKIP_1) | instid1(VALU_DEP_1)
	v_pk_fma_f32 v[96:97], v[90:91], v[80:81], v[94:95] op_sel:[0,0,1] op_sel_hi:[1,1,0] neg_lo:[0,0,1] neg_hi:[0,0,1]
	v_pk_fma_f32 v[90:91], v[90:91], v[80:81], v[94:95] op_sel:[0,0,1] op_sel_hi:[1,0,0]
	v_mov_b32_e32 v97, v91
	v_pk_mul_f32 v[90:91], v[92:93], v[82:83] op_sel:[0,1]
	s_delay_alu instid0(VALU_DEP_1) | instskip(SKIP_1) | instid1(VALU_DEP_1)
	v_pk_fma_f32 v[94:95], v[92:93], v[80:81], v[90:91] op_sel:[0,0,1] op_sel_hi:[1,1,0] neg_lo:[0,0,1] neg_hi:[0,0,1]
	v_pk_fma_f32 v[90:91], v[92:93], v[80:81], v[90:91] op_sel:[0,0,1] op_sel_hi:[1,0,0]
	v_mov_b32_e32 v95, v91
	ds_load_2addr_b64 v[90:93], v84 offset0:24 offset1:25
	v_pk_add_f32 v[58:59], v[58:59], v[96:97] neg_lo:[0,1] neg_hi:[0,1]
	v_pk_add_f32 v[54:55], v[54:55], v[94:95] neg_lo:[0,1] neg_hi:[0,1]
	s_wait_dscnt 0x0
	v_dual_mul_f32 v94, v91, v83 :: v_dual_mul_f32 v96, v91, v80
	s_delay_alu instid0(VALU_DEP_1) | instskip(NEXT) | instid1(VALU_DEP_2)
	v_pk_fma_f32 v[94:95], v[90:91], v[36:37], v[94:95] op_sel_hi:[1,1,0] neg_lo:[0,0,1] neg_hi:[0,0,1]
	v_pk_fma_f32 v[90:91], v[90:91], v[36:37], v[96:97] op_sel:[1,0,0] op_sel_hi:[0,1,0]
	s_delay_alu instid0(VALU_DEP_1) | instskip(SKIP_1) | instid1(VALU_DEP_2)
	v_mov_b32_e32 v95, v91
	v_pk_mul_f32 v[90:91], v[92:93], v[82:83] op_sel:[0,1]
	v_pk_add_f32 v[50:51], v[50:51], v[94:95] neg_lo:[0,1] neg_hi:[0,1]
	s_delay_alu instid0(VALU_DEP_2) | instskip(SKIP_1) | instid1(VALU_DEP_1)
	v_pk_fma_f32 v[94:95], v[92:93], v[80:81], v[90:91] op_sel:[0,0,1] op_sel_hi:[1,1,0] neg_lo:[0,0,1] neg_hi:[0,0,1]
	v_pk_fma_f32 v[90:91], v[92:93], v[80:81], v[90:91] op_sel:[0,0,1] op_sel_hi:[1,0,0]
	v_mov_b32_e32 v95, v91
	ds_load_2addr_b64 v[90:93], v84 offset0:26 offset1:27
	v_pk_add_f32 v[46:47], v[46:47], v[94:95] neg_lo:[0,1] neg_hi:[0,1]
	s_wait_dscnt 0x0
	v_pk_mul_f32 v[94:95], v[90:91], v[82:83] op_sel:[0,1]
	s_delay_alu instid0(VALU_DEP_1) | instskip(SKIP_1) | instid1(VALU_DEP_1)
	v_pk_fma_f32 v[96:97], v[90:91], v[80:81], v[94:95] op_sel:[0,0,1] op_sel_hi:[1,1,0] neg_lo:[0,0,1] neg_hi:[0,0,1]
	v_pk_fma_f32 v[90:91], v[90:91], v[80:81], v[94:95] op_sel:[0,0,1] op_sel_hi:[1,0,0]
	v_mov_b32_e32 v97, v91
	v_pk_mul_f32 v[90:91], v[92:93], v[82:83] op_sel:[0,1]
	s_delay_alu instid0(VALU_DEP_2) | instskip(NEXT) | instid1(VALU_DEP_2)
	v_pk_add_f32 v[48:49], v[48:49], v[96:97] neg_lo:[0,1] neg_hi:[0,1]
	v_pk_fma_f32 v[94:95], v[92:93], v[80:81], v[90:91] op_sel:[0,0,1] op_sel_hi:[1,1,0] neg_lo:[0,0,1] neg_hi:[0,0,1]
	v_pk_fma_f32 v[90:91], v[92:93], v[80:81], v[90:91] op_sel:[0,0,1] op_sel_hi:[1,0,0]
	s_delay_alu instid0(VALU_DEP_1) | instskip(SKIP_4) | instid1(VALU_DEP_1)
	v_mov_b32_e32 v95, v91
	ds_load_2addr_b64 v[90:93], v84 offset0:28 offset1:29
	v_pk_add_f32 v[44:45], v[44:45], v[94:95] neg_lo:[0,1] neg_hi:[0,1]
	s_wait_dscnt 0x0
	v_pk_mul_f32 v[94:95], v[90:91], v[82:83] op_sel:[0,1]
	v_pk_fma_f32 v[96:97], v[90:91], v[80:81], v[94:95] op_sel:[0,0,1] op_sel_hi:[1,1,0] neg_lo:[0,0,1] neg_hi:[0,0,1]
	v_pk_fma_f32 v[90:91], v[90:91], v[80:81], v[94:95] op_sel:[0,0,1] op_sel_hi:[1,0,0]
	v_dual_mul_f32 v94, v93, v83 :: v_dual_mov_b32 v90, v93
	s_delay_alu instid0(VALU_DEP_2) | instskip(NEXT) | instid1(VALU_DEP_2)
	v_dual_mov_b32 v97, v91 :: v_dual_mov_b32 v91, v92
	v_pk_fma_f32 v[94:95], v[92:93], v[36:37], v[94:95] op_sel_hi:[1,1,0] neg_lo:[0,0,1] neg_hi:[0,0,1]
	v_mul_f32_e32 v92, v93, v80
	s_delay_alu instid0(VALU_DEP_3) | instskip(NEXT) | instid1(VALU_DEP_2)
	v_pk_add_f32 v[14:15], v[14:15], v[96:97] neg_lo:[0,1] neg_hi:[0,1]
	v_pk_fma_f32 v[90:91], v[90:91], v[36:37], v[92:93] op_sel_hi:[1,1,0]
	s_delay_alu instid0(VALU_DEP_1) | instskip(SKIP_4) | instid1(VALU_DEP_1)
	v_mov_b32_e32 v95, v91
	ds_load_2addr_b64 v[90:93], v84 offset0:30 offset1:31
	v_pk_add_f32 v[10:11], v[10:11], v[94:95] neg_lo:[0,1] neg_hi:[0,1]
	s_wait_dscnt 0x0
	v_pk_mul_f32 v[94:95], v[90:91], v[82:83] op_sel:[0,1]
	v_pk_fma_f32 v[96:97], v[90:91], v[80:81], v[94:95] op_sel:[0,0,1] op_sel_hi:[1,1,0] neg_lo:[0,0,1] neg_hi:[0,0,1]
	v_pk_fma_f32 v[90:91], v[90:91], v[80:81], v[94:95] op_sel:[0,0,1] op_sel_hi:[1,0,0]
	s_delay_alu instid0(VALU_DEP_1) | instskip(SKIP_1) | instid1(VALU_DEP_1)
	v_mov_b32_e32 v97, v91
	v_pk_mul_f32 v[90:91], v[92:93], v[82:83] op_sel:[0,1]
	v_pk_fma_f32 v[94:95], v[92:93], v[80:81], v[90:91] op_sel:[0,0,1] op_sel_hi:[1,1,0] neg_lo:[0,0,1] neg_hi:[0,0,1]
	v_pk_fma_f32 v[90:91], v[92:93], v[80:81], v[90:91] op_sel:[0,0,1] op_sel_hi:[1,0,0]
	s_delay_alu instid0(VALU_DEP_1)
	v_mov_b32_e32 v95, v91
	ds_load_2addr_b64 v[90:93], v84 offset0:32 offset1:33
	v_pk_add_f32 v[12:13], v[12:13], v[96:97] neg_lo:[0,1] neg_hi:[0,1]
	v_pk_add_f32 v[8:9], v[8:9], v[94:95] neg_lo:[0,1] neg_hi:[0,1]
	s_wait_dscnt 0x0
	v_pk_mul_f32 v[94:95], v[90:91], v[82:83] op_sel:[0,1]
	s_delay_alu instid0(VALU_DEP_1) | instskip(SKIP_1) | instid1(VALU_DEP_1)
	v_pk_fma_f32 v[96:97], v[90:91], v[80:81], v[94:95] op_sel:[0,0,1] op_sel_hi:[1,1,0] neg_lo:[0,0,1] neg_hi:[0,0,1]
	v_pk_fma_f32 v[90:91], v[90:91], v[80:81], v[94:95] op_sel:[0,0,1] op_sel_hi:[1,0,0]
	v_mov_b32_e32 v97, v91
	v_pk_mul_f32 v[90:91], v[92:93], v[82:83] op_sel:[0,1]
	s_delay_alu instid0(VALU_DEP_1) | instskip(SKIP_1) | instid1(VALU_DEP_1)
	v_pk_fma_f32 v[94:95], v[92:93], v[80:81], v[90:91] op_sel:[0,0,1] op_sel_hi:[1,1,0] neg_lo:[0,0,1] neg_hi:[0,0,1]
	v_pk_fma_f32 v[90:91], v[92:93], v[80:81], v[90:91] op_sel:[0,0,1] op_sel_hi:[1,0,0]
	v_mov_b32_e32 v95, v91
	ds_load_2addr_b64 v[90:93], v84 offset0:34 offset1:35
	v_pk_add_f32 v[6:7], v[6:7], v[96:97] neg_lo:[0,1] neg_hi:[0,1]
	v_pk_add_f32 v[52:53], v[52:53], v[94:95] neg_lo:[0,1] neg_hi:[0,1]
	s_wait_dscnt 0x0
	v_dual_mul_f32 v94, v91, v83 :: v_dual_mul_f32 v96, v91, v80
	s_delay_alu instid0(VALU_DEP_1) | instskip(NEXT) | instid1(VALU_DEP_2)
	v_pk_fma_f32 v[94:95], v[90:91], v[36:37], v[94:95] op_sel_hi:[1,1,0] neg_lo:[0,0,1] neg_hi:[0,0,1]
	v_pk_fma_f32 v[90:91], v[90:91], v[36:37], v[96:97] op_sel:[1,0,0] op_sel_hi:[0,1,0]
	s_delay_alu instid0(VALU_DEP_1) | instskip(SKIP_1) | instid1(VALU_DEP_2)
	v_mov_b32_e32 v95, v91
	v_pk_mul_f32 v[90:91], v[92:93], v[82:83] op_sel:[0,1]
	v_pk_add_f32 v[34:35], v[34:35], v[94:95] neg_lo:[0,1] neg_hi:[0,1]
	s_delay_alu instid0(VALU_DEP_2) | instskip(SKIP_1) | instid1(VALU_DEP_1)
	v_pk_fma_f32 v[94:95], v[92:93], v[80:81], v[90:91] op_sel:[0,0,1] op_sel_hi:[1,1,0] neg_lo:[0,0,1] neg_hi:[0,0,1]
	v_pk_fma_f32 v[90:91], v[92:93], v[80:81], v[90:91] op_sel:[0,0,1] op_sel_hi:[1,0,0]
	v_mov_b32_e32 v95, v91
	ds_load_b64 v[90:91], v84 offset:288
	v_pk_add_f32 v[16:17], v[16:17], v[94:95] neg_lo:[0,1] neg_hi:[0,1]
	s_wait_dscnt 0x0
	v_pk_mul_f32 v[82:83], v[90:91], v[82:83] op_sel:[0,1]
	s_delay_alu instid0(VALU_DEP_1) | instskip(SKIP_1) | instid1(VALU_DEP_1)
	v_pk_fma_f32 v[92:93], v[90:91], v[80:81], v[82:83] op_sel:[0,0,1] op_sel_hi:[1,1,0] neg_lo:[0,0,1] neg_hi:[0,0,1]
	v_pk_fma_f32 v[80:81], v[90:91], v[80:81], v[82:83] op_sel:[0,0,1] op_sel_hi:[1,0,0]
	v_mov_b32_e32 v93, v81
	s_delay_alu instid0(VALU_DEP_1)
	v_pk_add_f32 v[78:79], v[78:79], v[92:93] neg_lo:[0,1] neg_hi:[0,1]
.LBB72_335:
	s_or_b32 exec_lo, exec_lo, s0
	v_lshl_add_u32 v80, v88, 3, v84
	s_barrier_signal -1
	s_barrier_wait -1
	ds_store_b64 v80, v[68:69]
	s_wait_dscnt 0x0
	s_barrier_signal -1
	s_barrier_wait -1
	ds_load_b64 v[82:83], v84 offset:128
	v_mov_b32_e32 v80, 16
	s_cmp_lt_i32 s18, 18
	s_cbranch_scc1 .LBB72_338
; %bb.336:
	v_add3_u32 v81, v85, 0, 0x88
	v_mov_b32_e32 v80, 16
	s_mov_b32 s0, 17
.LBB72_337:                             ; =>This Inner Loop Header: Depth=1
	ds_load_b64 v[90:91], v81
	s_wait_dscnt 0x1
	v_cmp_gt_f32_e32 vcc_lo, 0, v82
	v_cndmask_b32_e64 v92, v82, -v82, vcc_lo
	v_cmp_gt_f32_e32 vcc_lo, 0, v83
	v_cndmask_b32_e64 v94, v83, -v83, vcc_lo
	s_wait_dscnt 0x0
	v_cmp_gt_f32_e32 vcc_lo, 0, v90
	v_cndmask_b32_e64 v93, v90, -v90, vcc_lo
	v_cmp_gt_f32_e32 vcc_lo, 0, v91
	v_cndmask_b32_e64 v95, v91, -v91, vcc_lo
	s_delay_alu instid0(VALU_DEP_1) | instskip(NEXT) | instid1(VALU_DEP_1)
	v_pk_add_f32 v[92:93], v[92:93], v[94:95]
	v_cmp_lt_f32_e32 vcc_lo, v92, v93
	v_dual_add_nc_u32 v81, 8, v81 :: v_dual_cndmask_b32 v83, v83, v91, vcc_lo
	v_cndmask_b32_e32 v82, v82, v90, vcc_lo
	v_cndmask_b32_e64 v80, v80, s0, vcc_lo
	s_add_co_i32 s0, s0, 1
	s_delay_alu instid0(SALU_CYCLE_1)
	s_cmp_lg_u32 s18, s0
	s_cbranch_scc1 .LBB72_337
.LBB72_338:
	s_wait_dscnt 0x0
	v_cmp_eq_f32_e32 vcc_lo, 0, v82
	v_cmp_eq_f32_e64 s0, 0, v83
	s_and_b32 s0, vcc_lo, s0
	s_delay_alu instid0(SALU_CYCLE_1) | instskip(NEXT) | instid1(SALU_CYCLE_1)
	s_and_saveexec_b32 s1, s0
	s_xor_b32 s0, exec_lo, s1
; %bb.339:
	v_cmp_ne_u32_e32 vcc_lo, 0, v86
	v_cndmask_b32_e32 v86, 17, v86, vcc_lo
; %bb.340:
	s_and_not1_saveexec_b32 s0, s0
	s_cbranch_execz .LBB72_346
; %bb.341:
	v_cmp_ngt_f32_e64 s1, |v82|, |v83|
	s_and_saveexec_b32 s12, s1
	s_delay_alu instid0(SALU_CYCLE_1)
	s_xor_b32 s1, exec_lo, s12
	s_cbranch_execz .LBB72_343
; %bb.342:
	v_div_scale_f32 v81, null, v83, v83, v82
	v_div_scale_f32 v91, vcc_lo, v82, v83, v82
	s_delay_alu instid0(VALU_DEP_2) | instskip(SKIP_1) | instid1(TRANS32_DEP_1)
	v_rcp_f32_e32 v89, v81
	v_nop
	v_fma_f32 v90, -v81, v89, 1.0
	s_delay_alu instid0(VALU_DEP_1) | instskip(NEXT) | instid1(VALU_DEP_1)
	v_fmac_f32_e32 v89, v90, v89
	v_mul_f32_e32 v90, v91, v89
	s_delay_alu instid0(VALU_DEP_1) | instskip(NEXT) | instid1(VALU_DEP_1)
	v_fma_f32 v92, -v81, v90, v91
	v_fmac_f32_e32 v90, v92, v89
	s_delay_alu instid0(VALU_DEP_1) | instskip(NEXT) | instid1(VALU_DEP_1)
	v_fma_f32 v81, -v81, v90, v91
	v_div_fmas_f32 v81, v81, v89, v90
	s_delay_alu instid0(VALU_DEP_1) | instskip(NEXT) | instid1(VALU_DEP_1)
	v_div_fixup_f32 v81, v81, v83, v82
	v_fmac_f32_e32 v83, v82, v81
	s_delay_alu instid0(VALU_DEP_1) | instskip(SKIP_1) | instid1(VALU_DEP_2)
	v_div_scale_f32 v82, null, v83, v83, 1.0
	v_div_scale_f32 v91, vcc_lo, 1.0, v83, 1.0
	v_rcp_f32_e32 v89, v82
	v_nop
	s_delay_alu instid0(TRANS32_DEP_1) | instskip(NEXT) | instid1(VALU_DEP_1)
	v_fma_f32 v90, -v82, v89, 1.0
	v_fmac_f32_e32 v89, v90, v89
	s_delay_alu instid0(VALU_DEP_1) | instskip(NEXT) | instid1(VALU_DEP_1)
	v_mul_f32_e32 v90, v91, v89
	v_fma_f32 v92, -v82, v90, v91
	s_delay_alu instid0(VALU_DEP_1) | instskip(NEXT) | instid1(VALU_DEP_1)
	v_fmac_f32_e32 v90, v92, v89
	v_fma_f32 v82, -v82, v90, v91
	s_delay_alu instid0(VALU_DEP_1) | instskip(NEXT) | instid1(VALU_DEP_1)
	v_div_fmas_f32 v82, v82, v89, v90
	v_div_fixup_f32 v83, v82, v83, 1.0
	s_delay_alu instid0(VALU_DEP_1)
	v_mul_f32_e32 v82, v81, v83
	v_xor_b32_e32 v83, 0x80000000, v83
.LBB72_343:
	s_and_not1_saveexec_b32 s1, s1
	s_cbranch_execz .LBB72_345
; %bb.344:
	s_delay_alu instid0(VALU_DEP_1) | instskip(SKIP_1) | instid1(VALU_DEP_2)
	v_div_scale_f32 v81, null, v82, v82, v83
	v_div_scale_f32 v91, vcc_lo, v83, v82, v83
	v_rcp_f32_e32 v89, v81
	v_nop
	s_delay_alu instid0(TRANS32_DEP_1) | instskip(NEXT) | instid1(VALU_DEP_1)
	v_fma_f32 v90, -v81, v89, 1.0
	v_fmac_f32_e32 v89, v90, v89
	s_delay_alu instid0(VALU_DEP_1) | instskip(NEXT) | instid1(VALU_DEP_1)
	v_mul_f32_e32 v90, v91, v89
	v_fma_f32 v92, -v81, v90, v91
	s_delay_alu instid0(VALU_DEP_1) | instskip(NEXT) | instid1(VALU_DEP_1)
	v_fmac_f32_e32 v90, v92, v89
	v_fma_f32 v81, -v81, v90, v91
	s_delay_alu instid0(VALU_DEP_1) | instskip(NEXT) | instid1(VALU_DEP_1)
	v_div_fmas_f32 v81, v81, v89, v90
	v_div_fixup_f32 v81, v81, v82, v83
	s_delay_alu instid0(VALU_DEP_1) | instskip(NEXT) | instid1(VALU_DEP_1)
	v_fmac_f32_e32 v82, v83, v81
	v_div_scale_f32 v83, null, v82, v82, 1.0
	s_delay_alu instid0(VALU_DEP_1) | instskip(SKIP_1) | instid1(TRANS32_DEP_1)
	v_rcp_f32_e32 v89, v83
	v_nop
	v_fma_f32 v90, -v83, v89, 1.0
	s_delay_alu instid0(VALU_DEP_1) | instskip(SKIP_1) | instid1(VALU_DEP_1)
	v_fmac_f32_e32 v89, v90, v89
	v_div_scale_f32 v90, vcc_lo, 1.0, v82, 1.0
	v_mul_f32_e32 v91, v90, v89
	s_delay_alu instid0(VALU_DEP_1) | instskip(NEXT) | instid1(VALU_DEP_1)
	v_fma_f32 v92, -v83, v91, v90
	v_fmac_f32_e32 v91, v92, v89
	s_delay_alu instid0(VALU_DEP_1) | instskip(NEXT) | instid1(VALU_DEP_1)
	v_fma_f32 v83, -v83, v91, v90
	v_div_fmas_f32 v83, v83, v89, v91
	s_delay_alu instid0(VALU_DEP_1) | instskip(NEXT) | instid1(VALU_DEP_1)
	v_div_fixup_f32 v82, v83, v82, 1.0
	v_mul_f32_e64 v83, v81, -v82
.LBB72_345:
	s_or_b32 exec_lo, exec_lo, s1
.LBB72_346:
	s_delay_alu instid0(SALU_CYCLE_1) | instskip(NEXT) | instid1(SALU_CYCLE_1)
	s_or_b32 exec_lo, exec_lo, s0
	s_mov_b32 s0, exec_lo
	v_cmpx_ne_u32_e64 v88, v80
	s_xor_b32 s0, exec_lo, s0
	s_cbranch_execz .LBB72_352
; %bb.347:
	s_mov_b32 s1, exec_lo
	v_cmpx_eq_u32_e32 16, v88
	s_cbranch_execz .LBB72_351
; %bb.348:
	v_cmp_ne_u32_e32 vcc_lo, 16, v80
	s_xor_b32 s12, s16, -1
	s_delay_alu instid0(SALU_CYCLE_1) | instskip(NEXT) | instid1(SALU_CYCLE_1)
	s_and_b32 s13, s12, vcc_lo
	s_and_saveexec_b32 s12, s13
	s_cbranch_execz .LBB72_350
; %bb.349:
	v_ashrrev_i32_e32 v81, 31, v80
	s_delay_alu instid0(VALU_DEP_1)
	v_lshl_add_u64 v[88:89], v[80:81], 2, v[4:5]
	s_clause 0x1
	global_load_b32 v81, v[88:89], off
	global_load_b32 v87, v[4:5], off offset:64
	s_wait_loadcnt 0x1
	global_store_b32 v[4:5], v81, off offset:64
	s_wait_loadcnt 0x0
	global_store_b32 v[88:89], v87, off
.LBB72_350:
	s_wait_xcnt 0x0
	s_or_b32 exec_lo, exec_lo, s12
	v_dual_mov_b32 v88, v80 :: v_dual_mov_b32 v87, v80
.LBB72_351:
	s_or_b32 exec_lo, exec_lo, s1
.LBB72_352:
	s_and_not1_saveexec_b32 s0, s0
	s_cbranch_execz .LBB72_354
; %bb.353:
	v_mov_b32_e32 v88, 16
	ds_store_2addr_b64 v84, v[64:65], v[66:67] offset0:17 offset1:18
	ds_store_2addr_b64 v84, v[62:63], v[60:61] offset0:19 offset1:20
	;; [unrolled: 1-line block ×10, first 2 shown]
.LBB72_354:
	s_or_b32 exec_lo, exec_lo, s0
	s_delay_alu instid0(SALU_CYCLE_1)
	s_mov_b32 s0, exec_lo
	s_wait_storecnt_dscnt 0x0
	s_barrier_signal -1
	s_barrier_wait -1
	v_cmpx_lt_i32_e32 16, v88
	s_cbranch_execz .LBB72_356
; %bb.355:
	v_pk_mul_f32 v[90:91], v[82:83], v[68:69] op_sel:[1,1] op_sel_hi:[0,1]
	s_delay_alu instid0(VALU_DEP_1)
	v_pk_fma_f32 v[80:81], v[82:83], v[68:69], v[90:91] op_sel_hi:[1,0,1] neg_lo:[0,0,1] neg_hi:[0,0,1]
	v_pk_fma_f32 v[82:83], v[82:83], v[68:69], v[90:91] op_sel_hi:[1,0,1]
	ds_load_2addr_b64 v[90:93], v84 offset0:17 offset1:18
	v_dual_mov_b32 v68, v80 :: v_dual_mov_b32 v69, v83
	s_wait_dscnt 0x0
	v_pk_mul_f32 v[94:95], v[90:91], v[82:83] op_sel:[0,1]
	s_delay_alu instid0(VALU_DEP_1) | instskip(SKIP_1) | instid1(VALU_DEP_1)
	v_pk_fma_f32 v[96:97], v[90:91], v[80:81], v[94:95] op_sel:[0,0,1] op_sel_hi:[1,1,0] neg_lo:[0,0,1] neg_hi:[0,0,1]
	v_pk_fma_f32 v[90:91], v[90:91], v[80:81], v[94:95] op_sel:[0,0,1] op_sel_hi:[1,0,0]
	v_mov_b32_e32 v97, v91
	v_pk_mul_f32 v[90:91], v[92:93], v[82:83] op_sel:[0,1]
	s_delay_alu instid0(VALU_DEP_1) | instskip(SKIP_1) | instid1(VALU_DEP_1)
	v_pk_fma_f32 v[94:95], v[92:93], v[80:81], v[90:91] op_sel:[0,0,1] op_sel_hi:[1,1,0] neg_lo:[0,0,1] neg_hi:[0,0,1]
	v_pk_fma_f32 v[90:91], v[92:93], v[80:81], v[90:91] op_sel:[0,0,1] op_sel_hi:[1,0,0]
	v_mov_b32_e32 v95, v91
	ds_load_2addr_b64 v[90:93], v84 offset0:19 offset1:20
	v_pk_add_f32 v[64:65], v[64:65], v[96:97] neg_lo:[0,1] neg_hi:[0,1]
	v_pk_add_f32 v[66:67], v[66:67], v[94:95] neg_lo:[0,1] neg_hi:[0,1]
	s_wait_dscnt 0x0
	v_pk_mul_f32 v[94:95], v[90:91], v[82:83] op_sel:[0,1]
	s_delay_alu instid0(VALU_DEP_1) | instskip(SKIP_2) | instid1(VALU_DEP_2)
	v_pk_fma_f32 v[96:97], v[90:91], v[80:81], v[94:95] op_sel:[0,0,1] op_sel_hi:[1,1,0] neg_lo:[0,0,1] neg_hi:[0,0,1]
	v_pk_fma_f32 v[90:91], v[90:91], v[80:81], v[94:95] op_sel:[0,0,1] op_sel_hi:[1,0,0]
	v_dual_mul_f32 v94, v93, v83 :: v_dual_mov_b32 v90, v93
	v_dual_mov_b32 v97, v91 :: v_dual_mov_b32 v91, v92
	s_delay_alu instid0(VALU_DEP_2) | instskip(SKIP_1) | instid1(VALU_DEP_3)
	v_pk_fma_f32 v[94:95], v[92:93], v[68:69], v[94:95] op_sel_hi:[1,1,0] neg_lo:[0,0,1] neg_hi:[0,0,1]
	v_mul_f32_e32 v92, v93, v80
	v_pk_add_f32 v[62:63], v[62:63], v[96:97] neg_lo:[0,1] neg_hi:[0,1]
	s_delay_alu instid0(VALU_DEP_2) | instskip(NEXT) | instid1(VALU_DEP_1)
	v_pk_fma_f32 v[90:91], v[90:91], v[68:69], v[92:93] op_sel_hi:[1,1,0]
	v_mov_b32_e32 v95, v91
	ds_load_2addr_b64 v[90:93], v84 offset0:21 offset1:22
	v_pk_add_f32 v[60:61], v[60:61], v[94:95] neg_lo:[0,1] neg_hi:[0,1]
	s_wait_dscnt 0x0
	v_pk_mul_f32 v[94:95], v[90:91], v[82:83] op_sel:[0,1]
	s_delay_alu instid0(VALU_DEP_1) | instskip(SKIP_1) | instid1(VALU_DEP_1)
	v_pk_fma_f32 v[96:97], v[90:91], v[80:81], v[94:95] op_sel:[0,0,1] op_sel_hi:[1,1,0] neg_lo:[0,0,1] neg_hi:[0,0,1]
	v_pk_fma_f32 v[90:91], v[90:91], v[80:81], v[94:95] op_sel:[0,0,1] op_sel_hi:[1,0,0]
	v_mov_b32_e32 v97, v91
	v_pk_mul_f32 v[90:91], v[92:93], v[82:83] op_sel:[0,1]
	s_delay_alu instid0(VALU_DEP_1) | instskip(SKIP_1) | instid1(VALU_DEP_1)
	v_pk_fma_f32 v[94:95], v[92:93], v[80:81], v[90:91] op_sel:[0,0,1] op_sel_hi:[1,1,0] neg_lo:[0,0,1] neg_hi:[0,0,1]
	v_pk_fma_f32 v[90:91], v[92:93], v[80:81], v[90:91] op_sel:[0,0,1] op_sel_hi:[1,0,0]
	v_mov_b32_e32 v95, v91
	ds_load_2addr_b64 v[90:93], v84 offset0:23 offset1:24
	v_pk_add_f32 v[56:57], v[56:57], v[96:97] neg_lo:[0,1] neg_hi:[0,1]
	v_pk_add_f32 v[58:59], v[58:59], v[94:95] neg_lo:[0,1] neg_hi:[0,1]
	s_wait_dscnt 0x0
	v_pk_mul_f32 v[94:95], v[90:91], v[82:83] op_sel:[0,1]
	s_delay_alu instid0(VALU_DEP_1) | instskip(SKIP_1) | instid1(VALU_DEP_1)
	v_pk_fma_f32 v[96:97], v[90:91], v[80:81], v[94:95] op_sel:[0,0,1] op_sel_hi:[1,1,0] neg_lo:[0,0,1] neg_hi:[0,0,1]
	v_pk_fma_f32 v[90:91], v[90:91], v[80:81], v[94:95] op_sel:[0,0,1] op_sel_hi:[1,0,0]
	v_mov_b32_e32 v97, v91
	v_pk_mul_f32 v[90:91], v[92:93], v[82:83] op_sel:[0,1]
	s_delay_alu instid0(VALU_DEP_1) | instskip(SKIP_1) | instid1(VALU_DEP_1)
	v_pk_fma_f32 v[94:95], v[92:93], v[80:81], v[90:91] op_sel:[0,0,1] op_sel_hi:[1,1,0] neg_lo:[0,0,1] neg_hi:[0,0,1]
	v_pk_fma_f32 v[90:91], v[92:93], v[80:81], v[90:91] op_sel:[0,0,1] op_sel_hi:[1,0,0]
	v_mov_b32_e32 v95, v91
	ds_load_2addr_b64 v[90:93], v84 offset0:25 offset1:26
	v_pk_add_f32 v[54:55], v[54:55], v[96:97] neg_lo:[0,1] neg_hi:[0,1]
	v_pk_add_f32 v[50:51], v[50:51], v[94:95] neg_lo:[0,1] neg_hi:[0,1]
	s_wait_dscnt 0x0
	v_dual_mul_f32 v94, v91, v83 :: v_dual_mul_f32 v96, v91, v80
	s_delay_alu instid0(VALU_DEP_1) | instskip(NEXT) | instid1(VALU_DEP_2)
	v_pk_fma_f32 v[94:95], v[90:91], v[68:69], v[94:95] op_sel_hi:[1,1,0] neg_lo:[0,0,1] neg_hi:[0,0,1]
	v_pk_fma_f32 v[90:91], v[90:91], v[68:69], v[96:97] op_sel:[1,0,0] op_sel_hi:[0,1,0]
	s_delay_alu instid0(VALU_DEP_1) | instskip(SKIP_1) | instid1(VALU_DEP_2)
	v_mov_b32_e32 v95, v91
	v_pk_mul_f32 v[90:91], v[92:93], v[82:83] op_sel:[0,1]
	v_pk_add_f32 v[46:47], v[46:47], v[94:95] neg_lo:[0,1] neg_hi:[0,1]
	s_delay_alu instid0(VALU_DEP_2) | instskip(SKIP_1) | instid1(VALU_DEP_1)
	v_pk_fma_f32 v[94:95], v[92:93], v[80:81], v[90:91] op_sel:[0,0,1] op_sel_hi:[1,1,0] neg_lo:[0,0,1] neg_hi:[0,0,1]
	v_pk_fma_f32 v[90:91], v[92:93], v[80:81], v[90:91] op_sel:[0,0,1] op_sel_hi:[1,0,0]
	v_mov_b32_e32 v95, v91
	ds_load_2addr_b64 v[90:93], v84 offset0:27 offset1:28
	v_pk_add_f32 v[48:49], v[48:49], v[94:95] neg_lo:[0,1] neg_hi:[0,1]
	s_wait_dscnt 0x0
	v_pk_mul_f32 v[94:95], v[90:91], v[82:83] op_sel:[0,1]
	s_delay_alu instid0(VALU_DEP_1) | instskip(SKIP_1) | instid1(VALU_DEP_1)
	v_pk_fma_f32 v[96:97], v[90:91], v[80:81], v[94:95] op_sel:[0,0,1] op_sel_hi:[1,1,0] neg_lo:[0,0,1] neg_hi:[0,0,1]
	v_pk_fma_f32 v[90:91], v[90:91], v[80:81], v[94:95] op_sel:[0,0,1] op_sel_hi:[1,0,0]
	v_mov_b32_e32 v97, v91
	v_pk_mul_f32 v[90:91], v[92:93], v[82:83] op_sel:[0,1]
	s_delay_alu instid0(VALU_DEP_2) | instskip(NEXT) | instid1(VALU_DEP_2)
	v_pk_add_f32 v[44:45], v[44:45], v[96:97] neg_lo:[0,1] neg_hi:[0,1]
	v_pk_fma_f32 v[94:95], v[92:93], v[80:81], v[90:91] op_sel:[0,0,1] op_sel_hi:[1,1,0] neg_lo:[0,0,1] neg_hi:[0,0,1]
	v_pk_fma_f32 v[90:91], v[92:93], v[80:81], v[90:91] op_sel:[0,0,1] op_sel_hi:[1,0,0]
	s_delay_alu instid0(VALU_DEP_1) | instskip(SKIP_4) | instid1(VALU_DEP_1)
	v_mov_b32_e32 v95, v91
	ds_load_2addr_b64 v[90:93], v84 offset0:29 offset1:30
	v_pk_add_f32 v[14:15], v[14:15], v[94:95] neg_lo:[0,1] neg_hi:[0,1]
	s_wait_dscnt 0x0
	v_pk_mul_f32 v[94:95], v[90:91], v[82:83] op_sel:[0,1]
	v_pk_fma_f32 v[96:97], v[90:91], v[80:81], v[94:95] op_sel:[0,0,1] op_sel_hi:[1,1,0] neg_lo:[0,0,1] neg_hi:[0,0,1]
	v_pk_fma_f32 v[90:91], v[90:91], v[80:81], v[94:95] op_sel:[0,0,1] op_sel_hi:[1,0,0]
	v_dual_mul_f32 v94, v93, v83 :: v_dual_mov_b32 v90, v93
	s_delay_alu instid0(VALU_DEP_2) | instskip(NEXT) | instid1(VALU_DEP_2)
	v_dual_mov_b32 v97, v91 :: v_dual_mov_b32 v91, v92
	v_pk_fma_f32 v[94:95], v[92:93], v[68:69], v[94:95] op_sel_hi:[1,1,0] neg_lo:[0,0,1] neg_hi:[0,0,1]
	v_mul_f32_e32 v92, v93, v80
	s_delay_alu instid0(VALU_DEP_3) | instskip(NEXT) | instid1(VALU_DEP_2)
	v_pk_add_f32 v[10:11], v[10:11], v[96:97] neg_lo:[0,1] neg_hi:[0,1]
	v_pk_fma_f32 v[90:91], v[90:91], v[68:69], v[92:93] op_sel_hi:[1,1,0]
	s_delay_alu instid0(VALU_DEP_1) | instskip(SKIP_4) | instid1(VALU_DEP_1)
	v_mov_b32_e32 v95, v91
	ds_load_2addr_b64 v[90:93], v84 offset0:31 offset1:32
	v_pk_add_f32 v[12:13], v[12:13], v[94:95] neg_lo:[0,1] neg_hi:[0,1]
	s_wait_dscnt 0x0
	v_pk_mul_f32 v[94:95], v[90:91], v[82:83] op_sel:[0,1]
	v_pk_fma_f32 v[96:97], v[90:91], v[80:81], v[94:95] op_sel:[0,0,1] op_sel_hi:[1,1,0] neg_lo:[0,0,1] neg_hi:[0,0,1]
	v_pk_fma_f32 v[90:91], v[90:91], v[80:81], v[94:95] op_sel:[0,0,1] op_sel_hi:[1,0,0]
	s_delay_alu instid0(VALU_DEP_1) | instskip(SKIP_1) | instid1(VALU_DEP_1)
	v_mov_b32_e32 v97, v91
	v_pk_mul_f32 v[90:91], v[92:93], v[82:83] op_sel:[0,1]
	v_pk_fma_f32 v[94:95], v[92:93], v[80:81], v[90:91] op_sel:[0,0,1] op_sel_hi:[1,1,0] neg_lo:[0,0,1] neg_hi:[0,0,1]
	v_pk_fma_f32 v[90:91], v[92:93], v[80:81], v[90:91] op_sel:[0,0,1] op_sel_hi:[1,0,0]
	s_delay_alu instid0(VALU_DEP_1)
	v_mov_b32_e32 v95, v91
	ds_load_2addr_b64 v[90:93], v84 offset0:33 offset1:34
	v_pk_add_f32 v[8:9], v[8:9], v[96:97] neg_lo:[0,1] neg_hi:[0,1]
	v_pk_add_f32 v[6:7], v[6:7], v[94:95] neg_lo:[0,1] neg_hi:[0,1]
	s_wait_dscnt 0x0
	v_pk_mul_f32 v[94:95], v[90:91], v[82:83] op_sel:[0,1]
	s_delay_alu instid0(VALU_DEP_1) | instskip(SKIP_1) | instid1(VALU_DEP_1)
	v_pk_fma_f32 v[96:97], v[90:91], v[80:81], v[94:95] op_sel:[0,0,1] op_sel_hi:[1,1,0] neg_lo:[0,0,1] neg_hi:[0,0,1]
	v_pk_fma_f32 v[90:91], v[90:91], v[80:81], v[94:95] op_sel:[0,0,1] op_sel_hi:[1,0,0]
	v_mov_b32_e32 v97, v91
	v_pk_mul_f32 v[90:91], v[92:93], v[82:83] op_sel:[0,1]
	s_delay_alu instid0(VALU_DEP_1) | instskip(SKIP_1) | instid1(VALU_DEP_1)
	v_pk_fma_f32 v[94:95], v[92:93], v[80:81], v[90:91] op_sel:[0,0,1] op_sel_hi:[1,1,0] neg_lo:[0,0,1] neg_hi:[0,0,1]
	v_pk_fma_f32 v[90:91], v[92:93], v[80:81], v[90:91] op_sel:[0,0,1] op_sel_hi:[1,0,0]
	v_mov_b32_e32 v95, v91
	ds_load_2addr_b64 v[90:93], v84 offset0:35 offset1:36
	v_pk_add_f32 v[52:53], v[52:53], v[96:97] neg_lo:[0,1] neg_hi:[0,1]
	v_pk_add_f32 v[34:35], v[34:35], v[94:95] neg_lo:[0,1] neg_hi:[0,1]
	s_wait_dscnt 0x0
	v_dual_mul_f32 v94, v91, v83 :: v_dual_mul_f32 v96, v91, v80
	v_pk_mul_f32 v[82:83], v[92:93], v[82:83] op_sel:[0,1]
	s_delay_alu instid0(VALU_DEP_2) | instskip(NEXT) | instid1(VALU_DEP_3)
	v_pk_fma_f32 v[94:95], v[90:91], v[68:69], v[94:95] op_sel_hi:[1,1,0] neg_lo:[0,0,1] neg_hi:[0,0,1]
	v_pk_fma_f32 v[90:91], v[90:91], v[68:69], v[96:97] op_sel:[1,0,0] op_sel_hi:[0,1,0]
	s_delay_alu instid0(VALU_DEP_1) | instskip(NEXT) | instid1(VALU_DEP_4)
	v_mov_b32_e32 v95, v91
	v_pk_fma_f32 v[90:91], v[92:93], v[80:81], v[82:83] op_sel:[0,0,1] op_sel_hi:[1,1,0] neg_lo:[0,0,1] neg_hi:[0,0,1]
	v_pk_fma_f32 v[80:81], v[92:93], v[80:81], v[82:83] op_sel:[0,0,1] op_sel_hi:[1,0,0]
	s_delay_alu instid0(VALU_DEP_1) | instskip(NEXT) | instid1(VALU_DEP_4)
	v_mov_b32_e32 v91, v81
	v_pk_add_f32 v[16:17], v[16:17], v[94:95] neg_lo:[0,1] neg_hi:[0,1]
	s_delay_alu instid0(VALU_DEP_2)
	v_pk_add_f32 v[78:79], v[78:79], v[90:91] neg_lo:[0,1] neg_hi:[0,1]
.LBB72_356:
	s_or_b32 exec_lo, exec_lo, s0
	v_lshl_add_u32 v80, v88, 3, v84
	s_barrier_signal -1
	s_barrier_wait -1
	ds_store_b64 v80, v[64:65]
	s_wait_dscnt 0x0
	s_barrier_signal -1
	s_barrier_wait -1
	ds_load_b64 v[80:81], v84 offset:136
	v_mov_b32_e32 v82, 17
	s_cmp_lt_i32 s18, 19
	s_cbranch_scc1 .LBB72_359
; %bb.357:
	v_add3_u32 v83, v85, 0, 0x90
	v_mov_b32_e32 v82, 17
	s_mov_b32 s0, 18
.LBB72_358:                             ; =>This Inner Loop Header: Depth=1
	ds_load_b64 v[90:91], v83
	s_wait_dscnt 0x1
	v_cmp_gt_f32_e32 vcc_lo, 0, v80
	v_cndmask_b32_e64 v92, v80, -v80, vcc_lo
	v_cmp_gt_f32_e32 vcc_lo, 0, v81
	v_cndmask_b32_e64 v94, v81, -v81, vcc_lo
	s_wait_dscnt 0x0
	v_cmp_gt_f32_e32 vcc_lo, 0, v90
	v_cndmask_b32_e64 v93, v90, -v90, vcc_lo
	v_cmp_gt_f32_e32 vcc_lo, 0, v91
	v_cndmask_b32_e64 v95, v91, -v91, vcc_lo
	s_delay_alu instid0(VALU_DEP_1) | instskip(NEXT) | instid1(VALU_DEP_1)
	v_pk_add_f32 v[92:93], v[92:93], v[94:95]
	v_cmp_lt_f32_e32 vcc_lo, v92, v93
	v_dual_cndmask_b32 v80, v80, v90 :: v_dual_add_nc_u32 v83, 8, v83
	v_cndmask_b32_e32 v81, v81, v91, vcc_lo
	v_cndmask_b32_e64 v82, v82, s0, vcc_lo
	s_add_co_i32 s0, s0, 1
	s_delay_alu instid0(SALU_CYCLE_1)
	s_cmp_lg_u32 s18, s0
	s_cbranch_scc1 .LBB72_358
.LBB72_359:
	s_wait_dscnt 0x0
	v_cmp_eq_f32_e32 vcc_lo, 0, v80
	v_cmp_eq_f32_e64 s0, 0, v81
	s_and_b32 s0, vcc_lo, s0
	s_delay_alu instid0(SALU_CYCLE_1) | instskip(NEXT) | instid1(SALU_CYCLE_1)
	s_and_saveexec_b32 s1, s0
	s_xor_b32 s0, exec_lo, s1
; %bb.360:
	v_cmp_ne_u32_e32 vcc_lo, 0, v86
	v_cndmask_b32_e32 v86, 18, v86, vcc_lo
; %bb.361:
	s_and_not1_saveexec_b32 s0, s0
	s_cbranch_execz .LBB72_367
; %bb.362:
	v_cmp_ngt_f32_e64 s1, |v80|, |v81|
	s_and_saveexec_b32 s12, s1
	s_delay_alu instid0(SALU_CYCLE_1)
	s_xor_b32 s1, exec_lo, s12
	s_cbranch_execz .LBB72_364
; %bb.363:
	v_div_scale_f32 v83, null, v81, v81, v80
	v_div_scale_f32 v91, vcc_lo, v80, v81, v80
	s_delay_alu instid0(VALU_DEP_2) | instskip(SKIP_1) | instid1(TRANS32_DEP_1)
	v_rcp_f32_e32 v89, v83
	v_nop
	v_fma_f32 v90, -v83, v89, 1.0
	s_delay_alu instid0(VALU_DEP_1) | instskip(NEXT) | instid1(VALU_DEP_1)
	v_fmac_f32_e32 v89, v90, v89
	v_mul_f32_e32 v90, v91, v89
	s_delay_alu instid0(VALU_DEP_1) | instskip(NEXT) | instid1(VALU_DEP_1)
	v_fma_f32 v92, -v83, v90, v91
	v_fmac_f32_e32 v90, v92, v89
	s_delay_alu instid0(VALU_DEP_1) | instskip(NEXT) | instid1(VALU_DEP_1)
	v_fma_f32 v83, -v83, v90, v91
	v_div_fmas_f32 v83, v83, v89, v90
	s_delay_alu instid0(VALU_DEP_1) | instskip(NEXT) | instid1(VALU_DEP_1)
	v_div_fixup_f32 v83, v83, v81, v80
	v_fmac_f32_e32 v81, v80, v83
	s_delay_alu instid0(VALU_DEP_1) | instskip(SKIP_1) | instid1(VALU_DEP_2)
	v_div_scale_f32 v80, null, v81, v81, 1.0
	v_div_scale_f32 v91, vcc_lo, 1.0, v81, 1.0
	v_rcp_f32_e32 v89, v80
	v_nop
	s_delay_alu instid0(TRANS32_DEP_1) | instskip(NEXT) | instid1(VALU_DEP_1)
	v_fma_f32 v90, -v80, v89, 1.0
	v_fmac_f32_e32 v89, v90, v89
	s_delay_alu instid0(VALU_DEP_1) | instskip(NEXT) | instid1(VALU_DEP_1)
	v_mul_f32_e32 v90, v91, v89
	v_fma_f32 v92, -v80, v90, v91
	s_delay_alu instid0(VALU_DEP_1) | instskip(NEXT) | instid1(VALU_DEP_1)
	v_fmac_f32_e32 v90, v92, v89
	v_fma_f32 v80, -v80, v90, v91
	s_delay_alu instid0(VALU_DEP_1) | instskip(NEXT) | instid1(VALU_DEP_1)
	v_div_fmas_f32 v80, v80, v89, v90
	v_div_fixup_f32 v81, v80, v81, 1.0
	s_delay_alu instid0(VALU_DEP_1)
	v_mul_f32_e32 v80, v83, v81
	v_xor_b32_e32 v81, 0x80000000, v81
.LBB72_364:
	s_and_not1_saveexec_b32 s1, s1
	s_cbranch_execz .LBB72_366
; %bb.365:
	s_delay_alu instid0(VALU_DEP_1) | instskip(SKIP_1) | instid1(VALU_DEP_2)
	v_div_scale_f32 v83, null, v80, v80, v81
	v_div_scale_f32 v91, vcc_lo, v81, v80, v81
	v_rcp_f32_e32 v89, v83
	v_nop
	s_delay_alu instid0(TRANS32_DEP_1) | instskip(NEXT) | instid1(VALU_DEP_1)
	v_fma_f32 v90, -v83, v89, 1.0
	v_fmac_f32_e32 v89, v90, v89
	s_delay_alu instid0(VALU_DEP_1) | instskip(NEXT) | instid1(VALU_DEP_1)
	v_mul_f32_e32 v90, v91, v89
	v_fma_f32 v92, -v83, v90, v91
	s_delay_alu instid0(VALU_DEP_1) | instskip(NEXT) | instid1(VALU_DEP_1)
	v_fmac_f32_e32 v90, v92, v89
	v_fma_f32 v83, -v83, v90, v91
	s_delay_alu instid0(VALU_DEP_1) | instskip(NEXT) | instid1(VALU_DEP_1)
	v_div_fmas_f32 v83, v83, v89, v90
	v_div_fixup_f32 v83, v83, v80, v81
	s_delay_alu instid0(VALU_DEP_1) | instskip(NEXT) | instid1(VALU_DEP_1)
	v_fmac_f32_e32 v80, v81, v83
	v_div_scale_f32 v81, null, v80, v80, 1.0
	s_delay_alu instid0(VALU_DEP_1) | instskip(SKIP_1) | instid1(TRANS32_DEP_1)
	v_rcp_f32_e32 v89, v81
	v_nop
	v_fma_f32 v90, -v81, v89, 1.0
	s_delay_alu instid0(VALU_DEP_1) | instskip(SKIP_1) | instid1(VALU_DEP_1)
	v_fmac_f32_e32 v89, v90, v89
	v_div_scale_f32 v90, vcc_lo, 1.0, v80, 1.0
	v_mul_f32_e32 v91, v90, v89
	s_delay_alu instid0(VALU_DEP_1) | instskip(NEXT) | instid1(VALU_DEP_1)
	v_fma_f32 v92, -v81, v91, v90
	v_fmac_f32_e32 v91, v92, v89
	s_delay_alu instid0(VALU_DEP_1) | instskip(NEXT) | instid1(VALU_DEP_1)
	v_fma_f32 v81, -v81, v91, v90
	v_div_fmas_f32 v81, v81, v89, v91
	s_delay_alu instid0(VALU_DEP_1) | instskip(NEXT) | instid1(VALU_DEP_1)
	v_div_fixup_f32 v80, v81, v80, 1.0
	v_mul_f32_e64 v81, v83, -v80
.LBB72_366:
	s_or_b32 exec_lo, exec_lo, s1
.LBB72_367:
	s_delay_alu instid0(SALU_CYCLE_1) | instskip(NEXT) | instid1(SALU_CYCLE_1)
	s_or_b32 exec_lo, exec_lo, s0
	s_mov_b32 s0, exec_lo
	v_cmpx_ne_u32_e64 v88, v82
	s_xor_b32 s0, exec_lo, s0
	s_cbranch_execz .LBB72_373
; %bb.368:
	s_mov_b32 s1, exec_lo
	v_cmpx_eq_u32_e32 17, v88
	s_cbranch_execz .LBB72_372
; %bb.369:
	v_cmp_ne_u32_e32 vcc_lo, 17, v82
	s_xor_b32 s12, s16, -1
	s_delay_alu instid0(SALU_CYCLE_1) | instskip(NEXT) | instid1(SALU_CYCLE_1)
	s_and_b32 s13, s12, vcc_lo
	s_and_saveexec_b32 s12, s13
	s_cbranch_execz .LBB72_371
; %bb.370:
	v_ashrrev_i32_e32 v83, 31, v82
	s_delay_alu instid0(VALU_DEP_1)
	v_lshl_add_u64 v[88:89], v[82:83], 2, v[4:5]
	s_clause 0x1
	global_load_b32 v83, v[88:89], off
	global_load_b32 v87, v[4:5], off offset:68
	s_wait_loadcnt 0x1
	global_store_b32 v[4:5], v83, off offset:68
	s_wait_loadcnt 0x0
	global_store_b32 v[88:89], v87, off
.LBB72_371:
	s_wait_xcnt 0x0
	s_or_b32 exec_lo, exec_lo, s12
	v_dual_mov_b32 v88, v82 :: v_dual_mov_b32 v87, v82
.LBB72_372:
	s_or_b32 exec_lo, exec_lo, s1
.LBB72_373:
	s_and_not1_saveexec_b32 s0, s0
	s_cbranch_execz .LBB72_375
; %bb.374:
	v_dual_mov_b32 v82, v66 :: v_dual_mov_b32 v83, v67
	v_dual_mov_b32 v88, v62 :: v_dual_mov_b32 v89, v63
	;; [unrolled: 1-line block ×8, first 2 shown]
	ds_store_2addr_b64 v84, v[82:83], v[88:89] offset0:18 offset1:19
	ds_store_2addr_b64 v84, v[90:91], v[92:93] offset0:20 offset1:21
	;; [unrolled: 1-line block ×4, first 2 shown]
	v_dual_mov_b32 v82, v48 :: v_dual_mov_b32 v83, v49
	v_dual_mov_b32 v88, v44 :: v_dual_mov_b32 v89, v45
	;; [unrolled: 1-line block ×6, first 2 shown]
	ds_store_2addr_b64 v84, v[82:83], v[88:89] offset0:26 offset1:27
	ds_store_2addr_b64 v84, v[90:91], v[92:93] offset0:28 offset1:29
	v_dual_mov_b32 v88, 17 :: v_dual_mov_b32 v98, v6
	v_dual_mov_b32 v99, v7 :: v_dual_mov_b32 v100, v52
	;; [unrolled: 1-line block ×4, first 2 shown]
	v_mov_b32_e32 v105, v17
	ds_store_2addr_b64 v84, v[94:95], v[96:97] offset0:30 offset1:31
	ds_store_2addr_b64 v84, v[98:99], v[100:101] offset0:32 offset1:33
	ds_store_2addr_b64 v84, v[102:103], v[104:105] offset0:34 offset1:35
	ds_store_b64 v84, v[78:79] offset:288
.LBB72_375:
	s_or_b32 exec_lo, exec_lo, s0
	s_delay_alu instid0(SALU_CYCLE_1)
	s_mov_b32 s0, exec_lo
	s_wait_storecnt_dscnt 0x0
	s_barrier_signal -1
	s_barrier_wait -1
	v_cmpx_lt_i32_e32 17, v88
	s_cbranch_execz .LBB72_377
; %bb.376:
	v_pk_mul_f32 v[90:91], v[80:81], v[64:65] op_sel:[1,1] op_sel_hi:[0,1]
	s_delay_alu instid0(VALU_DEP_1)
	v_pk_fma_f32 v[82:83], v[80:81], v[64:65], v[90:91] op_sel_hi:[1,0,1] neg_lo:[0,0,1] neg_hi:[0,0,1]
	v_pk_fma_f32 v[80:81], v[80:81], v[64:65], v[90:91] op_sel_hi:[1,0,1]
	ds_load_2addr_b64 v[90:93], v84 offset0:18 offset1:19
	v_dual_mov_b32 v64, v82 :: v_dual_mov_b32 v65, v81
	s_wait_dscnt 0x0
	v_pk_mul_f32 v[94:95], v[90:91], v[80:81] op_sel:[0,1]
	s_delay_alu instid0(VALU_DEP_1) | instskip(SKIP_1) | instid1(VALU_DEP_1)
	v_pk_fma_f32 v[96:97], v[90:91], v[82:83], v[94:95] op_sel:[0,0,1] op_sel_hi:[1,1,0] neg_lo:[0,0,1] neg_hi:[0,0,1]
	v_pk_fma_f32 v[90:91], v[90:91], v[82:83], v[94:95] op_sel:[0,0,1] op_sel_hi:[1,0,0]
	v_mov_b32_e32 v97, v91
	v_pk_mul_f32 v[90:91], v[92:93], v[80:81] op_sel:[0,1]
	s_delay_alu instid0(VALU_DEP_1) | instskip(SKIP_1) | instid1(VALU_DEP_1)
	v_pk_fma_f32 v[94:95], v[92:93], v[82:83], v[90:91] op_sel:[0,0,1] op_sel_hi:[1,1,0] neg_lo:[0,0,1] neg_hi:[0,0,1]
	v_pk_fma_f32 v[90:91], v[92:93], v[82:83], v[90:91] op_sel:[0,0,1] op_sel_hi:[1,0,0]
	v_mov_b32_e32 v95, v91
	ds_load_2addr_b64 v[90:93], v84 offset0:20 offset1:21
	v_pk_add_f32 v[66:67], v[66:67], v[96:97] neg_lo:[0,1] neg_hi:[0,1]
	v_pk_add_f32 v[62:63], v[62:63], v[94:95] neg_lo:[0,1] neg_hi:[0,1]
	s_wait_dscnt 0x0
	v_pk_mul_f32 v[94:95], v[90:91], v[80:81] op_sel:[0,1]
	s_delay_alu instid0(VALU_DEP_1) | instskip(SKIP_2) | instid1(VALU_DEP_2)
	v_pk_fma_f32 v[96:97], v[90:91], v[82:83], v[94:95] op_sel:[0,0,1] op_sel_hi:[1,1,0] neg_lo:[0,0,1] neg_hi:[0,0,1]
	v_pk_fma_f32 v[90:91], v[90:91], v[82:83], v[94:95] op_sel:[0,0,1] op_sel_hi:[1,0,0]
	v_dual_mul_f32 v94, v93, v81 :: v_dual_mov_b32 v90, v93
	v_dual_mov_b32 v97, v91 :: v_dual_mov_b32 v91, v92
	s_delay_alu instid0(VALU_DEP_2) | instskip(SKIP_1) | instid1(VALU_DEP_3)
	v_pk_fma_f32 v[94:95], v[92:93], v[64:65], v[94:95] op_sel_hi:[1,1,0] neg_lo:[0,0,1] neg_hi:[0,0,1]
	v_mul_f32_e32 v92, v93, v82
	v_pk_add_f32 v[60:61], v[60:61], v[96:97] neg_lo:[0,1] neg_hi:[0,1]
	s_delay_alu instid0(VALU_DEP_2) | instskip(NEXT) | instid1(VALU_DEP_1)
	v_pk_fma_f32 v[90:91], v[90:91], v[64:65], v[92:93] op_sel_hi:[1,1,0]
	v_mov_b32_e32 v95, v91
	ds_load_2addr_b64 v[90:93], v84 offset0:22 offset1:23
	v_pk_add_f32 v[56:57], v[56:57], v[94:95] neg_lo:[0,1] neg_hi:[0,1]
	s_wait_dscnt 0x0
	v_pk_mul_f32 v[94:95], v[90:91], v[80:81] op_sel:[0,1]
	s_delay_alu instid0(VALU_DEP_1) | instskip(SKIP_1) | instid1(VALU_DEP_1)
	v_pk_fma_f32 v[96:97], v[90:91], v[82:83], v[94:95] op_sel:[0,0,1] op_sel_hi:[1,1,0] neg_lo:[0,0,1] neg_hi:[0,0,1]
	v_pk_fma_f32 v[90:91], v[90:91], v[82:83], v[94:95] op_sel:[0,0,1] op_sel_hi:[1,0,0]
	v_mov_b32_e32 v97, v91
	v_pk_mul_f32 v[90:91], v[92:93], v[80:81] op_sel:[0,1]
	s_delay_alu instid0(VALU_DEP_1) | instskip(SKIP_1) | instid1(VALU_DEP_1)
	v_pk_fma_f32 v[94:95], v[92:93], v[82:83], v[90:91] op_sel:[0,0,1] op_sel_hi:[1,1,0] neg_lo:[0,0,1] neg_hi:[0,0,1]
	v_pk_fma_f32 v[90:91], v[92:93], v[82:83], v[90:91] op_sel:[0,0,1] op_sel_hi:[1,0,0]
	v_mov_b32_e32 v95, v91
	ds_load_2addr_b64 v[90:93], v84 offset0:24 offset1:25
	v_pk_add_f32 v[58:59], v[58:59], v[96:97] neg_lo:[0,1] neg_hi:[0,1]
	v_pk_add_f32 v[54:55], v[54:55], v[94:95] neg_lo:[0,1] neg_hi:[0,1]
	s_wait_dscnt 0x0
	v_pk_mul_f32 v[94:95], v[90:91], v[80:81] op_sel:[0,1]
	s_delay_alu instid0(VALU_DEP_1) | instskip(SKIP_1) | instid1(VALU_DEP_1)
	v_pk_fma_f32 v[96:97], v[90:91], v[82:83], v[94:95] op_sel:[0,0,1] op_sel_hi:[1,1,0] neg_lo:[0,0,1] neg_hi:[0,0,1]
	v_pk_fma_f32 v[90:91], v[90:91], v[82:83], v[94:95] op_sel:[0,0,1] op_sel_hi:[1,0,0]
	v_mov_b32_e32 v97, v91
	v_pk_mul_f32 v[90:91], v[92:93], v[80:81] op_sel:[0,1]
	s_delay_alu instid0(VALU_DEP_1) | instskip(SKIP_1) | instid1(VALU_DEP_1)
	v_pk_fma_f32 v[94:95], v[92:93], v[82:83], v[90:91] op_sel:[0,0,1] op_sel_hi:[1,1,0] neg_lo:[0,0,1] neg_hi:[0,0,1]
	v_pk_fma_f32 v[90:91], v[92:93], v[82:83], v[90:91] op_sel:[0,0,1] op_sel_hi:[1,0,0]
	v_mov_b32_e32 v95, v91
	ds_load_2addr_b64 v[90:93], v84 offset0:26 offset1:27
	v_pk_add_f32 v[50:51], v[50:51], v[96:97] neg_lo:[0,1] neg_hi:[0,1]
	v_pk_add_f32 v[46:47], v[46:47], v[94:95] neg_lo:[0,1] neg_hi:[0,1]
	s_wait_dscnt 0x0
	v_dual_mul_f32 v94, v91, v81 :: v_dual_mul_f32 v96, v91, v82
	s_delay_alu instid0(VALU_DEP_1) | instskip(NEXT) | instid1(VALU_DEP_2)
	v_pk_fma_f32 v[94:95], v[90:91], v[64:65], v[94:95] op_sel_hi:[1,1,0] neg_lo:[0,0,1] neg_hi:[0,0,1]
	v_pk_fma_f32 v[90:91], v[90:91], v[64:65], v[96:97] op_sel:[1,0,0] op_sel_hi:[0,1,0]
	s_delay_alu instid0(VALU_DEP_1) | instskip(SKIP_1) | instid1(VALU_DEP_2)
	v_mov_b32_e32 v95, v91
	v_pk_mul_f32 v[90:91], v[92:93], v[80:81] op_sel:[0,1]
	v_pk_add_f32 v[48:49], v[48:49], v[94:95] neg_lo:[0,1] neg_hi:[0,1]
	s_delay_alu instid0(VALU_DEP_2) | instskip(SKIP_1) | instid1(VALU_DEP_1)
	v_pk_fma_f32 v[94:95], v[92:93], v[82:83], v[90:91] op_sel:[0,0,1] op_sel_hi:[1,1,0] neg_lo:[0,0,1] neg_hi:[0,0,1]
	v_pk_fma_f32 v[90:91], v[92:93], v[82:83], v[90:91] op_sel:[0,0,1] op_sel_hi:[1,0,0]
	v_mov_b32_e32 v95, v91
	ds_load_2addr_b64 v[90:93], v84 offset0:28 offset1:29
	v_pk_add_f32 v[44:45], v[44:45], v[94:95] neg_lo:[0,1] neg_hi:[0,1]
	s_wait_dscnt 0x0
	v_pk_mul_f32 v[94:95], v[90:91], v[80:81] op_sel:[0,1]
	s_delay_alu instid0(VALU_DEP_1) | instskip(SKIP_1) | instid1(VALU_DEP_1)
	v_pk_fma_f32 v[96:97], v[90:91], v[82:83], v[94:95] op_sel:[0,0,1] op_sel_hi:[1,1,0] neg_lo:[0,0,1] neg_hi:[0,0,1]
	v_pk_fma_f32 v[90:91], v[90:91], v[82:83], v[94:95] op_sel:[0,0,1] op_sel_hi:[1,0,0]
	v_mov_b32_e32 v97, v91
	v_pk_mul_f32 v[90:91], v[92:93], v[80:81] op_sel:[0,1]
	s_delay_alu instid0(VALU_DEP_2) | instskip(NEXT) | instid1(VALU_DEP_2)
	v_pk_add_f32 v[14:15], v[14:15], v[96:97] neg_lo:[0,1] neg_hi:[0,1]
	v_pk_fma_f32 v[94:95], v[92:93], v[82:83], v[90:91] op_sel:[0,0,1] op_sel_hi:[1,1,0] neg_lo:[0,0,1] neg_hi:[0,0,1]
	v_pk_fma_f32 v[90:91], v[92:93], v[82:83], v[90:91] op_sel:[0,0,1] op_sel_hi:[1,0,0]
	s_delay_alu instid0(VALU_DEP_1) | instskip(SKIP_4) | instid1(VALU_DEP_1)
	v_mov_b32_e32 v95, v91
	ds_load_2addr_b64 v[90:93], v84 offset0:30 offset1:31
	v_pk_add_f32 v[10:11], v[10:11], v[94:95] neg_lo:[0,1] neg_hi:[0,1]
	s_wait_dscnt 0x0
	v_pk_mul_f32 v[94:95], v[90:91], v[80:81] op_sel:[0,1]
	v_pk_fma_f32 v[96:97], v[90:91], v[82:83], v[94:95] op_sel:[0,0,1] op_sel_hi:[1,1,0] neg_lo:[0,0,1] neg_hi:[0,0,1]
	v_pk_fma_f32 v[90:91], v[90:91], v[82:83], v[94:95] op_sel:[0,0,1] op_sel_hi:[1,0,0]
	v_dual_mul_f32 v94, v93, v81 :: v_dual_mov_b32 v90, v93
	s_delay_alu instid0(VALU_DEP_2) | instskip(NEXT) | instid1(VALU_DEP_2)
	v_dual_mov_b32 v97, v91 :: v_dual_mov_b32 v91, v92
	v_pk_fma_f32 v[94:95], v[92:93], v[64:65], v[94:95] op_sel_hi:[1,1,0] neg_lo:[0,0,1] neg_hi:[0,0,1]
	v_mul_f32_e32 v92, v93, v82
	s_delay_alu instid0(VALU_DEP_3) | instskip(NEXT) | instid1(VALU_DEP_2)
	v_pk_add_f32 v[12:13], v[12:13], v[96:97] neg_lo:[0,1] neg_hi:[0,1]
	v_pk_fma_f32 v[90:91], v[90:91], v[64:65], v[92:93] op_sel_hi:[1,1,0]
	s_delay_alu instid0(VALU_DEP_1) | instskip(SKIP_4) | instid1(VALU_DEP_1)
	v_mov_b32_e32 v95, v91
	ds_load_2addr_b64 v[90:93], v84 offset0:32 offset1:33
	v_pk_add_f32 v[8:9], v[8:9], v[94:95] neg_lo:[0,1] neg_hi:[0,1]
	s_wait_dscnt 0x0
	v_pk_mul_f32 v[94:95], v[90:91], v[80:81] op_sel:[0,1]
	v_pk_fma_f32 v[96:97], v[90:91], v[82:83], v[94:95] op_sel:[0,0,1] op_sel_hi:[1,1,0] neg_lo:[0,0,1] neg_hi:[0,0,1]
	v_pk_fma_f32 v[90:91], v[90:91], v[82:83], v[94:95] op_sel:[0,0,1] op_sel_hi:[1,0,0]
	s_delay_alu instid0(VALU_DEP_1) | instskip(SKIP_1) | instid1(VALU_DEP_1)
	v_mov_b32_e32 v97, v91
	v_pk_mul_f32 v[90:91], v[92:93], v[80:81] op_sel:[0,1]
	v_pk_fma_f32 v[94:95], v[92:93], v[82:83], v[90:91] op_sel:[0,0,1] op_sel_hi:[1,1,0] neg_lo:[0,0,1] neg_hi:[0,0,1]
	v_pk_fma_f32 v[90:91], v[92:93], v[82:83], v[90:91] op_sel:[0,0,1] op_sel_hi:[1,0,0]
	s_delay_alu instid0(VALU_DEP_1)
	v_mov_b32_e32 v95, v91
	ds_load_2addr_b64 v[90:93], v84 offset0:34 offset1:35
	v_pk_add_f32 v[6:7], v[6:7], v[96:97] neg_lo:[0,1] neg_hi:[0,1]
	v_pk_add_f32 v[52:53], v[52:53], v[94:95] neg_lo:[0,1] neg_hi:[0,1]
	s_wait_dscnt 0x0
	v_pk_mul_f32 v[94:95], v[90:91], v[80:81] op_sel:[0,1]
	s_delay_alu instid0(VALU_DEP_1) | instskip(SKIP_1) | instid1(VALU_DEP_1)
	v_pk_fma_f32 v[96:97], v[90:91], v[82:83], v[94:95] op_sel:[0,0,1] op_sel_hi:[1,1,0] neg_lo:[0,0,1] neg_hi:[0,0,1]
	v_pk_fma_f32 v[90:91], v[90:91], v[82:83], v[94:95] op_sel:[0,0,1] op_sel_hi:[1,0,0]
	v_mov_b32_e32 v97, v91
	v_pk_mul_f32 v[90:91], v[92:93], v[80:81] op_sel:[0,1]
	s_delay_alu instid0(VALU_DEP_1) | instskip(SKIP_1) | instid1(VALU_DEP_1)
	v_pk_fma_f32 v[94:95], v[92:93], v[82:83], v[90:91] op_sel:[0,0,1] op_sel_hi:[1,1,0] neg_lo:[0,0,1] neg_hi:[0,0,1]
	v_pk_fma_f32 v[90:91], v[92:93], v[82:83], v[90:91] op_sel:[0,0,1] op_sel_hi:[1,0,0]
	v_mov_b32_e32 v95, v91
	ds_load_b64 v[90:91], v84 offset:288
	v_pk_add_f32 v[34:35], v[34:35], v[96:97] neg_lo:[0,1] neg_hi:[0,1]
	v_pk_add_f32 v[16:17], v[16:17], v[94:95] neg_lo:[0,1] neg_hi:[0,1]
	s_wait_dscnt 0x0
	v_pk_mul_f32 v[80:81], v[90:91], v[80:81] op_sel:[0,1]
	s_delay_alu instid0(VALU_DEP_1) | instskip(SKIP_1) | instid1(VALU_DEP_1)
	v_pk_fma_f32 v[92:93], v[90:91], v[82:83], v[80:81] op_sel:[0,0,1] op_sel_hi:[1,1,0] neg_lo:[0,0,1] neg_hi:[0,0,1]
	v_pk_fma_f32 v[80:81], v[90:91], v[82:83], v[80:81] op_sel:[0,0,1] op_sel_hi:[1,0,0]
	v_mov_b32_e32 v93, v81
	s_delay_alu instid0(VALU_DEP_1)
	v_pk_add_f32 v[78:79], v[78:79], v[92:93] neg_lo:[0,1] neg_hi:[0,1]
.LBB72_377:
	s_or_b32 exec_lo, exec_lo, s0
	v_lshl_add_u32 v80, v88, 3, v84
	s_barrier_signal -1
	s_barrier_wait -1
	ds_store_b64 v80, v[66:67]
	s_wait_dscnt 0x0
	s_barrier_signal -1
	s_barrier_wait -1
	ds_load_b64 v[80:81], v84 offset:144
	v_mov_b32_e32 v82, 18
	s_cmp_lt_i32 s18, 20
	s_cbranch_scc1 .LBB72_380
; %bb.378:
	v_add3_u32 v83, v85, 0, 0x98
	v_mov_b32_e32 v82, 18
	s_mov_b32 s0, 19
.LBB72_379:                             ; =>This Inner Loop Header: Depth=1
	ds_load_b64 v[90:91], v83
	s_wait_dscnt 0x1
	v_cmp_gt_f32_e32 vcc_lo, 0, v80
	v_cndmask_b32_e64 v92, v80, -v80, vcc_lo
	v_cmp_gt_f32_e32 vcc_lo, 0, v81
	v_cndmask_b32_e64 v94, v81, -v81, vcc_lo
	s_wait_dscnt 0x0
	v_cmp_gt_f32_e32 vcc_lo, 0, v90
	v_cndmask_b32_e64 v93, v90, -v90, vcc_lo
	v_cmp_gt_f32_e32 vcc_lo, 0, v91
	v_cndmask_b32_e64 v95, v91, -v91, vcc_lo
	s_delay_alu instid0(VALU_DEP_1) | instskip(NEXT) | instid1(VALU_DEP_1)
	v_pk_add_f32 v[92:93], v[92:93], v[94:95]
	v_cmp_lt_f32_e32 vcc_lo, v92, v93
	v_dual_cndmask_b32 v80, v80, v90 :: v_dual_add_nc_u32 v83, 8, v83
	v_cndmask_b32_e32 v81, v81, v91, vcc_lo
	v_cndmask_b32_e64 v82, v82, s0, vcc_lo
	s_add_co_i32 s0, s0, 1
	s_delay_alu instid0(SALU_CYCLE_1)
	s_cmp_lg_u32 s18, s0
	s_cbranch_scc1 .LBB72_379
.LBB72_380:
	s_wait_dscnt 0x0
	v_cmp_eq_f32_e32 vcc_lo, 0, v80
	v_cmp_eq_f32_e64 s0, 0, v81
	s_and_b32 s0, vcc_lo, s0
	s_delay_alu instid0(SALU_CYCLE_1) | instskip(NEXT) | instid1(SALU_CYCLE_1)
	s_and_saveexec_b32 s1, s0
	s_xor_b32 s0, exec_lo, s1
; %bb.381:
	v_cmp_ne_u32_e32 vcc_lo, 0, v86
	v_cndmask_b32_e32 v86, 19, v86, vcc_lo
; %bb.382:
	s_and_not1_saveexec_b32 s0, s0
	s_cbranch_execz .LBB72_388
; %bb.383:
	v_cmp_ngt_f32_e64 s1, |v80|, |v81|
	s_and_saveexec_b32 s12, s1
	s_delay_alu instid0(SALU_CYCLE_1)
	s_xor_b32 s1, exec_lo, s12
	s_cbranch_execz .LBB72_385
; %bb.384:
	v_div_scale_f32 v83, null, v81, v81, v80
	v_div_scale_f32 v91, vcc_lo, v80, v81, v80
	s_delay_alu instid0(VALU_DEP_2) | instskip(SKIP_1) | instid1(TRANS32_DEP_1)
	v_rcp_f32_e32 v89, v83
	v_nop
	v_fma_f32 v90, -v83, v89, 1.0
	s_delay_alu instid0(VALU_DEP_1) | instskip(NEXT) | instid1(VALU_DEP_1)
	v_fmac_f32_e32 v89, v90, v89
	v_mul_f32_e32 v90, v91, v89
	s_delay_alu instid0(VALU_DEP_1) | instskip(NEXT) | instid1(VALU_DEP_1)
	v_fma_f32 v92, -v83, v90, v91
	v_fmac_f32_e32 v90, v92, v89
	s_delay_alu instid0(VALU_DEP_1) | instskip(NEXT) | instid1(VALU_DEP_1)
	v_fma_f32 v83, -v83, v90, v91
	v_div_fmas_f32 v83, v83, v89, v90
	s_delay_alu instid0(VALU_DEP_1) | instskip(NEXT) | instid1(VALU_DEP_1)
	v_div_fixup_f32 v83, v83, v81, v80
	v_fmac_f32_e32 v81, v80, v83
	s_delay_alu instid0(VALU_DEP_1) | instskip(SKIP_1) | instid1(VALU_DEP_2)
	v_div_scale_f32 v80, null, v81, v81, 1.0
	v_div_scale_f32 v91, vcc_lo, 1.0, v81, 1.0
	v_rcp_f32_e32 v89, v80
	v_nop
	s_delay_alu instid0(TRANS32_DEP_1) | instskip(NEXT) | instid1(VALU_DEP_1)
	v_fma_f32 v90, -v80, v89, 1.0
	v_fmac_f32_e32 v89, v90, v89
	s_delay_alu instid0(VALU_DEP_1) | instskip(NEXT) | instid1(VALU_DEP_1)
	v_mul_f32_e32 v90, v91, v89
	v_fma_f32 v92, -v80, v90, v91
	s_delay_alu instid0(VALU_DEP_1) | instskip(NEXT) | instid1(VALU_DEP_1)
	v_fmac_f32_e32 v90, v92, v89
	v_fma_f32 v80, -v80, v90, v91
	s_delay_alu instid0(VALU_DEP_1) | instskip(NEXT) | instid1(VALU_DEP_1)
	v_div_fmas_f32 v80, v80, v89, v90
	v_div_fixup_f32 v81, v80, v81, 1.0
	s_delay_alu instid0(VALU_DEP_1)
	v_mul_f32_e32 v80, v83, v81
	v_xor_b32_e32 v81, 0x80000000, v81
.LBB72_385:
	s_and_not1_saveexec_b32 s1, s1
	s_cbranch_execz .LBB72_387
; %bb.386:
	s_delay_alu instid0(VALU_DEP_1) | instskip(SKIP_1) | instid1(VALU_DEP_2)
	v_div_scale_f32 v83, null, v80, v80, v81
	v_div_scale_f32 v91, vcc_lo, v81, v80, v81
	v_rcp_f32_e32 v89, v83
	v_nop
	s_delay_alu instid0(TRANS32_DEP_1) | instskip(NEXT) | instid1(VALU_DEP_1)
	v_fma_f32 v90, -v83, v89, 1.0
	v_fmac_f32_e32 v89, v90, v89
	s_delay_alu instid0(VALU_DEP_1) | instskip(NEXT) | instid1(VALU_DEP_1)
	v_mul_f32_e32 v90, v91, v89
	v_fma_f32 v92, -v83, v90, v91
	s_delay_alu instid0(VALU_DEP_1) | instskip(NEXT) | instid1(VALU_DEP_1)
	v_fmac_f32_e32 v90, v92, v89
	v_fma_f32 v83, -v83, v90, v91
	s_delay_alu instid0(VALU_DEP_1) | instskip(NEXT) | instid1(VALU_DEP_1)
	v_div_fmas_f32 v83, v83, v89, v90
	v_div_fixup_f32 v83, v83, v80, v81
	s_delay_alu instid0(VALU_DEP_1) | instskip(NEXT) | instid1(VALU_DEP_1)
	v_fmac_f32_e32 v80, v81, v83
	v_div_scale_f32 v81, null, v80, v80, 1.0
	s_delay_alu instid0(VALU_DEP_1) | instskip(SKIP_1) | instid1(TRANS32_DEP_1)
	v_rcp_f32_e32 v89, v81
	v_nop
	v_fma_f32 v90, -v81, v89, 1.0
	s_delay_alu instid0(VALU_DEP_1) | instskip(SKIP_1) | instid1(VALU_DEP_1)
	v_fmac_f32_e32 v89, v90, v89
	v_div_scale_f32 v90, vcc_lo, 1.0, v80, 1.0
	v_mul_f32_e32 v91, v90, v89
	s_delay_alu instid0(VALU_DEP_1) | instskip(NEXT) | instid1(VALU_DEP_1)
	v_fma_f32 v92, -v81, v91, v90
	v_fmac_f32_e32 v91, v92, v89
	s_delay_alu instid0(VALU_DEP_1) | instskip(NEXT) | instid1(VALU_DEP_1)
	v_fma_f32 v81, -v81, v91, v90
	v_div_fmas_f32 v81, v81, v89, v91
	s_delay_alu instid0(VALU_DEP_1) | instskip(NEXT) | instid1(VALU_DEP_1)
	v_div_fixup_f32 v80, v81, v80, 1.0
	v_mul_f32_e64 v81, v83, -v80
.LBB72_387:
	s_or_b32 exec_lo, exec_lo, s1
.LBB72_388:
	s_delay_alu instid0(SALU_CYCLE_1) | instskip(NEXT) | instid1(SALU_CYCLE_1)
	s_or_b32 exec_lo, exec_lo, s0
	s_mov_b32 s0, exec_lo
	v_cmpx_ne_u32_e64 v88, v82
	s_xor_b32 s0, exec_lo, s0
	s_cbranch_execz .LBB72_394
; %bb.389:
	s_mov_b32 s1, exec_lo
	v_cmpx_eq_u32_e32 18, v88
	s_cbranch_execz .LBB72_393
; %bb.390:
	v_cmp_ne_u32_e32 vcc_lo, 18, v82
	s_xor_b32 s12, s16, -1
	s_delay_alu instid0(SALU_CYCLE_1) | instskip(NEXT) | instid1(SALU_CYCLE_1)
	s_and_b32 s13, s12, vcc_lo
	s_and_saveexec_b32 s12, s13
	s_cbranch_execz .LBB72_392
; %bb.391:
	v_ashrrev_i32_e32 v83, 31, v82
	s_delay_alu instid0(VALU_DEP_1)
	v_lshl_add_u64 v[88:89], v[82:83], 2, v[4:5]
	s_clause 0x1
	global_load_b32 v83, v[88:89], off
	global_load_b32 v87, v[4:5], off offset:72
	s_wait_loadcnt 0x1
	global_store_b32 v[4:5], v83, off offset:72
	s_wait_loadcnt 0x0
	global_store_b32 v[88:89], v87, off
.LBB72_392:
	s_wait_xcnt 0x0
	s_or_b32 exec_lo, exec_lo, s12
	v_dual_mov_b32 v88, v82 :: v_dual_mov_b32 v87, v82
.LBB72_393:
	s_or_b32 exec_lo, exec_lo, s1
.LBB72_394:
	s_and_not1_saveexec_b32 s0, s0
	s_cbranch_execz .LBB72_396
; %bb.395:
	v_mov_b32_e32 v88, 18
	ds_store_2addr_b64 v84, v[62:63], v[60:61] offset0:19 offset1:20
	ds_store_2addr_b64 v84, v[56:57], v[58:59] offset0:21 offset1:22
	;; [unrolled: 1-line block ×9, first 2 shown]
.LBB72_396:
	s_or_b32 exec_lo, exec_lo, s0
	s_delay_alu instid0(SALU_CYCLE_1)
	s_mov_b32 s0, exec_lo
	s_wait_storecnt_dscnt 0x0
	s_barrier_signal -1
	s_barrier_wait -1
	v_cmpx_lt_i32_e32 18, v88
	s_cbranch_execz .LBB72_398
; %bb.397:
	v_pk_mul_f32 v[90:91], v[80:81], v[66:67] op_sel:[1,1] op_sel_hi:[0,1]
	s_delay_alu instid0(VALU_DEP_1)
	v_pk_fma_f32 v[82:83], v[80:81], v[66:67], v[90:91] op_sel_hi:[1,0,1] neg_lo:[0,0,1] neg_hi:[0,0,1]
	v_pk_fma_f32 v[80:81], v[80:81], v[66:67], v[90:91] op_sel_hi:[1,0,1]
	ds_load_2addr_b64 v[90:93], v84 offset0:19 offset1:20
	v_dual_mov_b32 v66, v82 :: v_dual_mov_b32 v67, v81
	s_wait_dscnt 0x0
	v_pk_mul_f32 v[94:95], v[90:91], v[80:81] op_sel:[0,1]
	s_delay_alu instid0(VALU_DEP_1) | instskip(SKIP_1) | instid1(VALU_DEP_1)
	v_pk_fma_f32 v[96:97], v[90:91], v[82:83], v[94:95] op_sel:[0,0,1] op_sel_hi:[1,1,0] neg_lo:[0,0,1] neg_hi:[0,0,1]
	v_pk_fma_f32 v[90:91], v[90:91], v[82:83], v[94:95] op_sel:[0,0,1] op_sel_hi:[1,0,0]
	v_mov_b32_e32 v97, v91
	v_pk_mul_f32 v[90:91], v[92:93], v[80:81] op_sel:[0,1]
	s_delay_alu instid0(VALU_DEP_1) | instskip(SKIP_1) | instid1(VALU_DEP_1)
	v_pk_fma_f32 v[94:95], v[92:93], v[82:83], v[90:91] op_sel:[0,0,1] op_sel_hi:[1,1,0] neg_lo:[0,0,1] neg_hi:[0,0,1]
	v_pk_fma_f32 v[90:91], v[92:93], v[82:83], v[90:91] op_sel:[0,0,1] op_sel_hi:[1,0,0]
	v_mov_b32_e32 v95, v91
	ds_load_2addr_b64 v[90:93], v84 offset0:21 offset1:22
	v_pk_add_f32 v[62:63], v[62:63], v[96:97] neg_lo:[0,1] neg_hi:[0,1]
	v_pk_add_f32 v[60:61], v[60:61], v[94:95] neg_lo:[0,1] neg_hi:[0,1]
	s_wait_dscnt 0x0
	v_pk_mul_f32 v[94:95], v[90:91], v[80:81] op_sel:[0,1]
	s_delay_alu instid0(VALU_DEP_1) | instskip(SKIP_2) | instid1(VALU_DEP_2)
	v_pk_fma_f32 v[96:97], v[90:91], v[82:83], v[94:95] op_sel:[0,0,1] op_sel_hi:[1,1,0] neg_lo:[0,0,1] neg_hi:[0,0,1]
	v_pk_fma_f32 v[90:91], v[90:91], v[82:83], v[94:95] op_sel:[0,0,1] op_sel_hi:[1,0,0]
	v_dual_mul_f32 v94, v93, v81 :: v_dual_mov_b32 v90, v93
	v_dual_mov_b32 v97, v91 :: v_dual_mov_b32 v91, v92
	s_delay_alu instid0(VALU_DEP_2) | instskip(SKIP_1) | instid1(VALU_DEP_3)
	v_pk_fma_f32 v[94:95], v[92:93], v[66:67], v[94:95] op_sel_hi:[1,1,0] neg_lo:[0,0,1] neg_hi:[0,0,1]
	v_mul_f32_e32 v92, v93, v82
	v_pk_add_f32 v[56:57], v[56:57], v[96:97] neg_lo:[0,1] neg_hi:[0,1]
	s_delay_alu instid0(VALU_DEP_2) | instskip(NEXT) | instid1(VALU_DEP_1)
	v_pk_fma_f32 v[90:91], v[90:91], v[66:67], v[92:93] op_sel_hi:[1,1,0]
	v_mov_b32_e32 v95, v91
	ds_load_2addr_b64 v[90:93], v84 offset0:23 offset1:24
	v_pk_add_f32 v[58:59], v[58:59], v[94:95] neg_lo:[0,1] neg_hi:[0,1]
	s_wait_dscnt 0x0
	v_pk_mul_f32 v[94:95], v[90:91], v[80:81] op_sel:[0,1]
	s_delay_alu instid0(VALU_DEP_1) | instskip(SKIP_1) | instid1(VALU_DEP_1)
	v_pk_fma_f32 v[96:97], v[90:91], v[82:83], v[94:95] op_sel:[0,0,1] op_sel_hi:[1,1,0] neg_lo:[0,0,1] neg_hi:[0,0,1]
	v_pk_fma_f32 v[90:91], v[90:91], v[82:83], v[94:95] op_sel:[0,0,1] op_sel_hi:[1,0,0]
	v_mov_b32_e32 v97, v91
	v_pk_mul_f32 v[90:91], v[92:93], v[80:81] op_sel:[0,1]
	s_delay_alu instid0(VALU_DEP_1) | instskip(SKIP_1) | instid1(VALU_DEP_1)
	v_pk_fma_f32 v[94:95], v[92:93], v[82:83], v[90:91] op_sel:[0,0,1] op_sel_hi:[1,1,0] neg_lo:[0,0,1] neg_hi:[0,0,1]
	v_pk_fma_f32 v[90:91], v[92:93], v[82:83], v[90:91] op_sel:[0,0,1] op_sel_hi:[1,0,0]
	v_mov_b32_e32 v95, v91
	ds_load_2addr_b64 v[90:93], v84 offset0:25 offset1:26
	v_pk_add_f32 v[54:55], v[54:55], v[96:97] neg_lo:[0,1] neg_hi:[0,1]
	v_pk_add_f32 v[50:51], v[50:51], v[94:95] neg_lo:[0,1] neg_hi:[0,1]
	s_wait_dscnt 0x0
	v_pk_mul_f32 v[94:95], v[90:91], v[80:81] op_sel:[0,1]
	s_delay_alu instid0(VALU_DEP_1) | instskip(SKIP_1) | instid1(VALU_DEP_1)
	v_pk_fma_f32 v[96:97], v[90:91], v[82:83], v[94:95] op_sel:[0,0,1] op_sel_hi:[1,1,0] neg_lo:[0,0,1] neg_hi:[0,0,1]
	v_pk_fma_f32 v[90:91], v[90:91], v[82:83], v[94:95] op_sel:[0,0,1] op_sel_hi:[1,0,0]
	v_mov_b32_e32 v97, v91
	v_pk_mul_f32 v[90:91], v[92:93], v[80:81] op_sel:[0,1]
	s_delay_alu instid0(VALU_DEP_1) | instskip(SKIP_1) | instid1(VALU_DEP_1)
	v_pk_fma_f32 v[94:95], v[92:93], v[82:83], v[90:91] op_sel:[0,0,1] op_sel_hi:[1,1,0] neg_lo:[0,0,1] neg_hi:[0,0,1]
	v_pk_fma_f32 v[90:91], v[92:93], v[82:83], v[90:91] op_sel:[0,0,1] op_sel_hi:[1,0,0]
	v_mov_b32_e32 v95, v91
	ds_load_2addr_b64 v[90:93], v84 offset0:27 offset1:28
	v_pk_add_f32 v[46:47], v[46:47], v[96:97] neg_lo:[0,1] neg_hi:[0,1]
	v_pk_add_f32 v[48:49], v[48:49], v[94:95] neg_lo:[0,1] neg_hi:[0,1]
	s_wait_dscnt 0x0
	v_dual_mul_f32 v94, v91, v81 :: v_dual_mul_f32 v96, v91, v82
	s_delay_alu instid0(VALU_DEP_1) | instskip(NEXT) | instid1(VALU_DEP_2)
	v_pk_fma_f32 v[94:95], v[90:91], v[66:67], v[94:95] op_sel_hi:[1,1,0] neg_lo:[0,0,1] neg_hi:[0,0,1]
	v_pk_fma_f32 v[90:91], v[90:91], v[66:67], v[96:97] op_sel:[1,0,0] op_sel_hi:[0,1,0]
	s_delay_alu instid0(VALU_DEP_1) | instskip(SKIP_1) | instid1(VALU_DEP_2)
	v_mov_b32_e32 v95, v91
	v_pk_mul_f32 v[90:91], v[92:93], v[80:81] op_sel:[0,1]
	v_pk_add_f32 v[44:45], v[44:45], v[94:95] neg_lo:[0,1] neg_hi:[0,1]
	s_delay_alu instid0(VALU_DEP_2) | instskip(SKIP_1) | instid1(VALU_DEP_1)
	v_pk_fma_f32 v[94:95], v[92:93], v[82:83], v[90:91] op_sel:[0,0,1] op_sel_hi:[1,1,0] neg_lo:[0,0,1] neg_hi:[0,0,1]
	v_pk_fma_f32 v[90:91], v[92:93], v[82:83], v[90:91] op_sel:[0,0,1] op_sel_hi:[1,0,0]
	v_mov_b32_e32 v95, v91
	ds_load_2addr_b64 v[90:93], v84 offset0:29 offset1:30
	v_pk_add_f32 v[14:15], v[14:15], v[94:95] neg_lo:[0,1] neg_hi:[0,1]
	s_wait_dscnt 0x0
	v_pk_mul_f32 v[94:95], v[90:91], v[80:81] op_sel:[0,1]
	s_delay_alu instid0(VALU_DEP_1) | instskip(SKIP_1) | instid1(VALU_DEP_1)
	v_pk_fma_f32 v[96:97], v[90:91], v[82:83], v[94:95] op_sel:[0,0,1] op_sel_hi:[1,1,0] neg_lo:[0,0,1] neg_hi:[0,0,1]
	v_pk_fma_f32 v[90:91], v[90:91], v[82:83], v[94:95] op_sel:[0,0,1] op_sel_hi:[1,0,0]
	v_mov_b32_e32 v97, v91
	v_pk_mul_f32 v[90:91], v[92:93], v[80:81] op_sel:[0,1]
	s_delay_alu instid0(VALU_DEP_2) | instskip(NEXT) | instid1(VALU_DEP_2)
	v_pk_add_f32 v[10:11], v[10:11], v[96:97] neg_lo:[0,1] neg_hi:[0,1]
	v_pk_fma_f32 v[94:95], v[92:93], v[82:83], v[90:91] op_sel:[0,0,1] op_sel_hi:[1,1,0] neg_lo:[0,0,1] neg_hi:[0,0,1]
	v_pk_fma_f32 v[90:91], v[92:93], v[82:83], v[90:91] op_sel:[0,0,1] op_sel_hi:[1,0,0]
	s_delay_alu instid0(VALU_DEP_1) | instskip(SKIP_4) | instid1(VALU_DEP_1)
	v_mov_b32_e32 v95, v91
	ds_load_2addr_b64 v[90:93], v84 offset0:31 offset1:32
	v_pk_add_f32 v[12:13], v[12:13], v[94:95] neg_lo:[0,1] neg_hi:[0,1]
	s_wait_dscnt 0x0
	v_pk_mul_f32 v[94:95], v[90:91], v[80:81] op_sel:[0,1]
	v_pk_fma_f32 v[96:97], v[90:91], v[82:83], v[94:95] op_sel:[0,0,1] op_sel_hi:[1,1,0] neg_lo:[0,0,1] neg_hi:[0,0,1]
	v_pk_fma_f32 v[90:91], v[90:91], v[82:83], v[94:95] op_sel:[0,0,1] op_sel_hi:[1,0,0]
	v_dual_mul_f32 v94, v93, v81 :: v_dual_mov_b32 v90, v93
	s_delay_alu instid0(VALU_DEP_2) | instskip(NEXT) | instid1(VALU_DEP_2)
	v_dual_mov_b32 v97, v91 :: v_dual_mov_b32 v91, v92
	v_pk_fma_f32 v[94:95], v[92:93], v[66:67], v[94:95] op_sel_hi:[1,1,0] neg_lo:[0,0,1] neg_hi:[0,0,1]
	v_mul_f32_e32 v92, v93, v82
	s_delay_alu instid0(VALU_DEP_3) | instskip(NEXT) | instid1(VALU_DEP_2)
	v_pk_add_f32 v[8:9], v[8:9], v[96:97] neg_lo:[0,1] neg_hi:[0,1]
	v_pk_fma_f32 v[90:91], v[90:91], v[66:67], v[92:93] op_sel_hi:[1,1,0]
	s_delay_alu instid0(VALU_DEP_1) | instskip(SKIP_4) | instid1(VALU_DEP_1)
	v_mov_b32_e32 v95, v91
	ds_load_2addr_b64 v[90:93], v84 offset0:33 offset1:34
	v_pk_add_f32 v[6:7], v[6:7], v[94:95] neg_lo:[0,1] neg_hi:[0,1]
	s_wait_dscnt 0x0
	v_pk_mul_f32 v[94:95], v[90:91], v[80:81] op_sel:[0,1]
	v_pk_fma_f32 v[96:97], v[90:91], v[82:83], v[94:95] op_sel:[0,0,1] op_sel_hi:[1,1,0] neg_lo:[0,0,1] neg_hi:[0,0,1]
	v_pk_fma_f32 v[90:91], v[90:91], v[82:83], v[94:95] op_sel:[0,0,1] op_sel_hi:[1,0,0]
	s_delay_alu instid0(VALU_DEP_1) | instskip(SKIP_1) | instid1(VALU_DEP_1)
	v_mov_b32_e32 v97, v91
	v_pk_mul_f32 v[90:91], v[92:93], v[80:81] op_sel:[0,1]
	v_pk_fma_f32 v[94:95], v[92:93], v[82:83], v[90:91] op_sel:[0,0,1] op_sel_hi:[1,1,0] neg_lo:[0,0,1] neg_hi:[0,0,1]
	v_pk_fma_f32 v[90:91], v[92:93], v[82:83], v[90:91] op_sel:[0,0,1] op_sel_hi:[1,0,0]
	s_delay_alu instid0(VALU_DEP_1)
	v_mov_b32_e32 v95, v91
	ds_load_2addr_b64 v[90:93], v84 offset0:35 offset1:36
	v_pk_add_f32 v[52:53], v[52:53], v[96:97] neg_lo:[0,1] neg_hi:[0,1]
	v_pk_add_f32 v[34:35], v[34:35], v[94:95] neg_lo:[0,1] neg_hi:[0,1]
	s_wait_dscnt 0x0
	v_pk_mul_f32 v[94:95], v[90:91], v[80:81] op_sel:[0,1]
	v_mul_f32_e32 v80, v93, v81
	s_delay_alu instid0(VALU_DEP_2) | instskip(SKIP_2) | instid1(VALU_DEP_4)
	v_pk_fma_f32 v[96:97], v[90:91], v[82:83], v[94:95] op_sel:[0,0,1] op_sel_hi:[1,1,0] neg_lo:[0,0,1] neg_hi:[0,0,1]
	v_pk_fma_f32 v[90:91], v[90:91], v[82:83], v[94:95] op_sel:[0,0,1] op_sel_hi:[1,0,0]
	v_dual_mov_b32 v90, v93 :: v_dual_mul_f32 v82, v93, v82
	v_pk_fma_f32 v[80:81], v[92:93], v[66:67], v[80:81] op_sel_hi:[1,1,0] neg_lo:[0,0,1] neg_hi:[0,0,1]
	s_delay_alu instid0(VALU_DEP_3) | instskip(NEXT) | instid1(VALU_DEP_1)
	v_dual_mov_b32 v97, v91 :: v_dual_mov_b32 v91, v92
	v_pk_add_f32 v[16:17], v[16:17], v[96:97] neg_lo:[0,1] neg_hi:[0,1]
	s_delay_alu instid0(VALU_DEP_2) | instskip(NEXT) | instid1(VALU_DEP_1)
	v_pk_fma_f32 v[82:83], v[90:91], v[66:67], v[82:83] op_sel_hi:[1,1,0]
	v_mov_b32_e32 v81, v83
	s_delay_alu instid0(VALU_DEP_1)
	v_pk_add_f32 v[78:79], v[78:79], v[80:81] neg_lo:[0,1] neg_hi:[0,1]
.LBB72_398:
	s_or_b32 exec_lo, exec_lo, s0
	v_lshl_add_u32 v80, v88, 3, v84
	s_barrier_signal -1
	s_barrier_wait -1
	ds_store_b64 v80, v[62:63]
	s_wait_dscnt 0x0
	s_barrier_signal -1
	s_barrier_wait -1
	ds_load_b64 v[80:81], v84 offset:152
	v_mov_b32_e32 v82, 19
	s_cmp_lt_i32 s18, 21
	s_cbranch_scc1 .LBB72_401
; %bb.399:
	v_add3_u32 v83, v85, 0, 0xa0
	v_mov_b32_e32 v82, 19
	s_mov_b32 s0, 20
.LBB72_400:                             ; =>This Inner Loop Header: Depth=1
	ds_load_b64 v[90:91], v83
	s_wait_dscnt 0x1
	v_cmp_gt_f32_e32 vcc_lo, 0, v80
	v_cndmask_b32_e64 v92, v80, -v80, vcc_lo
	v_cmp_gt_f32_e32 vcc_lo, 0, v81
	v_cndmask_b32_e64 v94, v81, -v81, vcc_lo
	s_wait_dscnt 0x0
	v_cmp_gt_f32_e32 vcc_lo, 0, v90
	v_cndmask_b32_e64 v93, v90, -v90, vcc_lo
	v_cmp_gt_f32_e32 vcc_lo, 0, v91
	v_cndmask_b32_e64 v95, v91, -v91, vcc_lo
	s_delay_alu instid0(VALU_DEP_1) | instskip(NEXT) | instid1(VALU_DEP_1)
	v_pk_add_f32 v[92:93], v[92:93], v[94:95]
	v_cmp_lt_f32_e32 vcc_lo, v92, v93
	v_dual_cndmask_b32 v80, v80, v90 :: v_dual_add_nc_u32 v83, 8, v83
	v_cndmask_b32_e32 v81, v81, v91, vcc_lo
	v_cndmask_b32_e64 v82, v82, s0, vcc_lo
	s_add_co_i32 s0, s0, 1
	s_delay_alu instid0(SALU_CYCLE_1)
	s_cmp_lg_u32 s18, s0
	s_cbranch_scc1 .LBB72_400
.LBB72_401:
	s_wait_dscnt 0x0
	v_cmp_eq_f32_e32 vcc_lo, 0, v80
	v_cmp_eq_f32_e64 s0, 0, v81
	s_and_b32 s0, vcc_lo, s0
	s_delay_alu instid0(SALU_CYCLE_1) | instskip(NEXT) | instid1(SALU_CYCLE_1)
	s_and_saveexec_b32 s1, s0
	s_xor_b32 s0, exec_lo, s1
; %bb.402:
	v_cmp_ne_u32_e32 vcc_lo, 0, v86
	v_cndmask_b32_e32 v86, 20, v86, vcc_lo
; %bb.403:
	s_and_not1_saveexec_b32 s0, s0
	s_cbranch_execz .LBB72_409
; %bb.404:
	v_cmp_ngt_f32_e64 s1, |v80|, |v81|
	s_and_saveexec_b32 s12, s1
	s_delay_alu instid0(SALU_CYCLE_1)
	s_xor_b32 s1, exec_lo, s12
	s_cbranch_execz .LBB72_406
; %bb.405:
	v_div_scale_f32 v83, null, v81, v81, v80
	v_div_scale_f32 v91, vcc_lo, v80, v81, v80
	s_delay_alu instid0(VALU_DEP_2) | instskip(SKIP_1) | instid1(TRANS32_DEP_1)
	v_rcp_f32_e32 v89, v83
	v_nop
	v_fma_f32 v90, -v83, v89, 1.0
	s_delay_alu instid0(VALU_DEP_1) | instskip(NEXT) | instid1(VALU_DEP_1)
	v_fmac_f32_e32 v89, v90, v89
	v_mul_f32_e32 v90, v91, v89
	s_delay_alu instid0(VALU_DEP_1) | instskip(NEXT) | instid1(VALU_DEP_1)
	v_fma_f32 v92, -v83, v90, v91
	v_fmac_f32_e32 v90, v92, v89
	s_delay_alu instid0(VALU_DEP_1) | instskip(NEXT) | instid1(VALU_DEP_1)
	v_fma_f32 v83, -v83, v90, v91
	v_div_fmas_f32 v83, v83, v89, v90
	s_delay_alu instid0(VALU_DEP_1) | instskip(NEXT) | instid1(VALU_DEP_1)
	v_div_fixup_f32 v83, v83, v81, v80
	v_fmac_f32_e32 v81, v80, v83
	s_delay_alu instid0(VALU_DEP_1) | instskip(SKIP_1) | instid1(VALU_DEP_2)
	v_div_scale_f32 v80, null, v81, v81, 1.0
	v_div_scale_f32 v91, vcc_lo, 1.0, v81, 1.0
	v_rcp_f32_e32 v89, v80
	v_nop
	s_delay_alu instid0(TRANS32_DEP_1) | instskip(NEXT) | instid1(VALU_DEP_1)
	v_fma_f32 v90, -v80, v89, 1.0
	v_fmac_f32_e32 v89, v90, v89
	s_delay_alu instid0(VALU_DEP_1) | instskip(NEXT) | instid1(VALU_DEP_1)
	v_mul_f32_e32 v90, v91, v89
	v_fma_f32 v92, -v80, v90, v91
	s_delay_alu instid0(VALU_DEP_1) | instskip(NEXT) | instid1(VALU_DEP_1)
	v_fmac_f32_e32 v90, v92, v89
	v_fma_f32 v80, -v80, v90, v91
	s_delay_alu instid0(VALU_DEP_1) | instskip(NEXT) | instid1(VALU_DEP_1)
	v_div_fmas_f32 v80, v80, v89, v90
	v_div_fixup_f32 v81, v80, v81, 1.0
	s_delay_alu instid0(VALU_DEP_1)
	v_mul_f32_e32 v80, v83, v81
	v_xor_b32_e32 v81, 0x80000000, v81
.LBB72_406:
	s_and_not1_saveexec_b32 s1, s1
	s_cbranch_execz .LBB72_408
; %bb.407:
	s_delay_alu instid0(VALU_DEP_1) | instskip(SKIP_1) | instid1(VALU_DEP_2)
	v_div_scale_f32 v83, null, v80, v80, v81
	v_div_scale_f32 v91, vcc_lo, v81, v80, v81
	v_rcp_f32_e32 v89, v83
	v_nop
	s_delay_alu instid0(TRANS32_DEP_1) | instskip(NEXT) | instid1(VALU_DEP_1)
	v_fma_f32 v90, -v83, v89, 1.0
	v_fmac_f32_e32 v89, v90, v89
	s_delay_alu instid0(VALU_DEP_1) | instskip(NEXT) | instid1(VALU_DEP_1)
	v_mul_f32_e32 v90, v91, v89
	v_fma_f32 v92, -v83, v90, v91
	s_delay_alu instid0(VALU_DEP_1) | instskip(NEXT) | instid1(VALU_DEP_1)
	v_fmac_f32_e32 v90, v92, v89
	v_fma_f32 v83, -v83, v90, v91
	s_delay_alu instid0(VALU_DEP_1) | instskip(NEXT) | instid1(VALU_DEP_1)
	v_div_fmas_f32 v83, v83, v89, v90
	v_div_fixup_f32 v83, v83, v80, v81
	s_delay_alu instid0(VALU_DEP_1) | instskip(NEXT) | instid1(VALU_DEP_1)
	v_fmac_f32_e32 v80, v81, v83
	v_div_scale_f32 v81, null, v80, v80, 1.0
	s_delay_alu instid0(VALU_DEP_1) | instskip(SKIP_1) | instid1(TRANS32_DEP_1)
	v_rcp_f32_e32 v89, v81
	v_nop
	v_fma_f32 v90, -v81, v89, 1.0
	s_delay_alu instid0(VALU_DEP_1) | instskip(SKIP_1) | instid1(VALU_DEP_1)
	v_fmac_f32_e32 v89, v90, v89
	v_div_scale_f32 v90, vcc_lo, 1.0, v80, 1.0
	v_mul_f32_e32 v91, v90, v89
	s_delay_alu instid0(VALU_DEP_1) | instskip(NEXT) | instid1(VALU_DEP_1)
	v_fma_f32 v92, -v81, v91, v90
	v_fmac_f32_e32 v91, v92, v89
	s_delay_alu instid0(VALU_DEP_1) | instskip(NEXT) | instid1(VALU_DEP_1)
	v_fma_f32 v81, -v81, v91, v90
	v_div_fmas_f32 v81, v81, v89, v91
	s_delay_alu instid0(VALU_DEP_1) | instskip(NEXT) | instid1(VALU_DEP_1)
	v_div_fixup_f32 v80, v81, v80, 1.0
	v_mul_f32_e64 v81, v83, -v80
.LBB72_408:
	s_or_b32 exec_lo, exec_lo, s1
.LBB72_409:
	s_delay_alu instid0(SALU_CYCLE_1) | instskip(NEXT) | instid1(SALU_CYCLE_1)
	s_or_b32 exec_lo, exec_lo, s0
	s_mov_b32 s0, exec_lo
	v_cmpx_ne_u32_e64 v88, v82
	s_xor_b32 s0, exec_lo, s0
	s_cbranch_execz .LBB72_415
; %bb.410:
	s_mov_b32 s1, exec_lo
	v_cmpx_eq_u32_e32 19, v88
	s_cbranch_execz .LBB72_414
; %bb.411:
	v_cmp_ne_u32_e32 vcc_lo, 19, v82
	s_xor_b32 s12, s16, -1
	s_delay_alu instid0(SALU_CYCLE_1) | instskip(NEXT) | instid1(SALU_CYCLE_1)
	s_and_b32 s13, s12, vcc_lo
	s_and_saveexec_b32 s12, s13
	s_cbranch_execz .LBB72_413
; %bb.412:
	v_ashrrev_i32_e32 v83, 31, v82
	s_delay_alu instid0(VALU_DEP_1)
	v_lshl_add_u64 v[88:89], v[82:83], 2, v[4:5]
	s_clause 0x1
	global_load_b32 v83, v[88:89], off
	global_load_b32 v87, v[4:5], off offset:76
	s_wait_loadcnt 0x1
	global_store_b32 v[4:5], v83, off offset:76
	s_wait_loadcnt 0x0
	global_store_b32 v[88:89], v87, off
.LBB72_413:
	s_wait_xcnt 0x0
	s_or_b32 exec_lo, exec_lo, s12
	v_dual_mov_b32 v88, v82 :: v_dual_mov_b32 v87, v82
.LBB72_414:
	s_or_b32 exec_lo, exec_lo, s1
.LBB72_415:
	s_and_not1_saveexec_b32 s0, s0
	s_cbranch_execz .LBB72_417
; %bb.416:
	v_dual_mov_b32 v82, v60 :: v_dual_mov_b32 v83, v61
	v_dual_mov_b32 v88, v56 :: v_dual_mov_b32 v89, v57
	;; [unrolled: 1-line block ×8, first 2 shown]
	ds_store_2addr_b64 v84, v[82:83], v[88:89] offset0:20 offset1:21
	ds_store_2addr_b64 v84, v[90:91], v[92:93] offset0:22 offset1:23
	;; [unrolled: 1-line block ×4, first 2 shown]
	v_dual_mov_b32 v82, v14 :: v_dual_mov_b32 v83, v15
	v_dual_mov_b32 v90, v10 :: v_dual_mov_b32 v91, v11
	;; [unrolled: 1-line block ×8, first 2 shown]
	v_mov_b32_e32 v103, v17
	ds_store_2addr_b64 v84, v[82:83], v[90:91] offset0:28 offset1:29
	ds_store_2addr_b64 v84, v[92:93], v[94:95] offset0:30 offset1:31
	;; [unrolled: 1-line block ×4, first 2 shown]
	ds_store_b64 v84, v[78:79] offset:288
.LBB72_417:
	s_or_b32 exec_lo, exec_lo, s0
	s_delay_alu instid0(SALU_CYCLE_1)
	s_mov_b32 s0, exec_lo
	s_wait_storecnt_dscnt 0x0
	s_barrier_signal -1
	s_barrier_wait -1
	v_cmpx_lt_i32_e32 19, v88
	s_cbranch_execz .LBB72_419
; %bb.418:
	v_pk_mul_f32 v[90:91], v[80:81], v[62:63] op_sel:[1,1] op_sel_hi:[0,1]
	s_delay_alu instid0(VALU_DEP_1)
	v_pk_fma_f32 v[82:83], v[80:81], v[62:63], v[90:91] op_sel_hi:[1,0,1] neg_lo:[0,0,1] neg_hi:[0,0,1]
	v_pk_fma_f32 v[80:81], v[80:81], v[62:63], v[90:91] op_sel_hi:[1,0,1]
	ds_load_2addr_b64 v[90:93], v84 offset0:20 offset1:21
	v_dual_mov_b32 v62, v82 :: v_dual_mov_b32 v63, v81
	s_wait_dscnt 0x0
	v_pk_mul_f32 v[94:95], v[90:91], v[80:81] op_sel:[0,1]
	s_delay_alu instid0(VALU_DEP_1) | instskip(SKIP_1) | instid1(VALU_DEP_1)
	v_pk_fma_f32 v[96:97], v[90:91], v[82:83], v[94:95] op_sel:[0,0,1] op_sel_hi:[1,1,0] neg_lo:[0,0,1] neg_hi:[0,0,1]
	v_pk_fma_f32 v[90:91], v[90:91], v[82:83], v[94:95] op_sel:[0,0,1] op_sel_hi:[1,0,0]
	v_mov_b32_e32 v97, v91
	v_pk_mul_f32 v[90:91], v[92:93], v[80:81] op_sel:[0,1]
	s_delay_alu instid0(VALU_DEP_1) | instskip(SKIP_1) | instid1(VALU_DEP_1)
	v_pk_fma_f32 v[94:95], v[92:93], v[82:83], v[90:91] op_sel:[0,0,1] op_sel_hi:[1,1,0] neg_lo:[0,0,1] neg_hi:[0,0,1]
	v_pk_fma_f32 v[90:91], v[92:93], v[82:83], v[90:91] op_sel:[0,0,1] op_sel_hi:[1,0,0]
	v_mov_b32_e32 v95, v91
	ds_load_2addr_b64 v[90:93], v84 offset0:22 offset1:23
	v_pk_add_f32 v[60:61], v[60:61], v[96:97] neg_lo:[0,1] neg_hi:[0,1]
	v_pk_add_f32 v[56:57], v[56:57], v[94:95] neg_lo:[0,1] neg_hi:[0,1]
	s_wait_dscnt 0x0
	v_pk_mul_f32 v[94:95], v[90:91], v[80:81] op_sel:[0,1]
	s_delay_alu instid0(VALU_DEP_1) | instskip(SKIP_2) | instid1(VALU_DEP_2)
	v_pk_fma_f32 v[96:97], v[90:91], v[82:83], v[94:95] op_sel:[0,0,1] op_sel_hi:[1,1,0] neg_lo:[0,0,1] neg_hi:[0,0,1]
	v_pk_fma_f32 v[90:91], v[90:91], v[82:83], v[94:95] op_sel:[0,0,1] op_sel_hi:[1,0,0]
	v_dual_mul_f32 v94, v93, v81 :: v_dual_mov_b32 v90, v93
	v_dual_mov_b32 v97, v91 :: v_dual_mov_b32 v91, v92
	s_delay_alu instid0(VALU_DEP_2) | instskip(SKIP_1) | instid1(VALU_DEP_3)
	v_pk_fma_f32 v[94:95], v[92:93], v[62:63], v[94:95] op_sel_hi:[1,1,0] neg_lo:[0,0,1] neg_hi:[0,0,1]
	v_mul_f32_e32 v92, v93, v82
	v_pk_add_f32 v[58:59], v[58:59], v[96:97] neg_lo:[0,1] neg_hi:[0,1]
	s_delay_alu instid0(VALU_DEP_2) | instskip(NEXT) | instid1(VALU_DEP_1)
	v_pk_fma_f32 v[90:91], v[90:91], v[62:63], v[92:93] op_sel_hi:[1,1,0]
	v_mov_b32_e32 v95, v91
	ds_load_2addr_b64 v[90:93], v84 offset0:24 offset1:25
	v_pk_add_f32 v[54:55], v[54:55], v[94:95] neg_lo:[0,1] neg_hi:[0,1]
	s_wait_dscnt 0x0
	v_pk_mul_f32 v[94:95], v[90:91], v[80:81] op_sel:[0,1]
	s_delay_alu instid0(VALU_DEP_1) | instskip(SKIP_1) | instid1(VALU_DEP_1)
	v_pk_fma_f32 v[96:97], v[90:91], v[82:83], v[94:95] op_sel:[0,0,1] op_sel_hi:[1,1,0] neg_lo:[0,0,1] neg_hi:[0,0,1]
	v_pk_fma_f32 v[90:91], v[90:91], v[82:83], v[94:95] op_sel:[0,0,1] op_sel_hi:[1,0,0]
	v_mov_b32_e32 v97, v91
	v_pk_mul_f32 v[90:91], v[92:93], v[80:81] op_sel:[0,1]
	s_delay_alu instid0(VALU_DEP_1) | instskip(SKIP_1) | instid1(VALU_DEP_1)
	v_pk_fma_f32 v[94:95], v[92:93], v[82:83], v[90:91] op_sel:[0,0,1] op_sel_hi:[1,1,0] neg_lo:[0,0,1] neg_hi:[0,0,1]
	v_pk_fma_f32 v[90:91], v[92:93], v[82:83], v[90:91] op_sel:[0,0,1] op_sel_hi:[1,0,0]
	v_mov_b32_e32 v95, v91
	ds_load_2addr_b64 v[90:93], v84 offset0:26 offset1:27
	v_pk_add_f32 v[50:51], v[50:51], v[96:97] neg_lo:[0,1] neg_hi:[0,1]
	v_pk_add_f32 v[46:47], v[46:47], v[94:95] neg_lo:[0,1] neg_hi:[0,1]
	s_wait_dscnt 0x0
	v_pk_mul_f32 v[94:95], v[90:91], v[80:81] op_sel:[0,1]
	s_delay_alu instid0(VALU_DEP_1) | instskip(SKIP_1) | instid1(VALU_DEP_1)
	v_pk_fma_f32 v[96:97], v[90:91], v[82:83], v[94:95] op_sel:[0,0,1] op_sel_hi:[1,1,0] neg_lo:[0,0,1] neg_hi:[0,0,1]
	v_pk_fma_f32 v[90:91], v[90:91], v[82:83], v[94:95] op_sel:[0,0,1] op_sel_hi:[1,0,0]
	v_mov_b32_e32 v97, v91
	v_pk_mul_f32 v[90:91], v[92:93], v[80:81] op_sel:[0,1]
	s_delay_alu instid0(VALU_DEP_1) | instskip(SKIP_1) | instid1(VALU_DEP_1)
	v_pk_fma_f32 v[94:95], v[92:93], v[82:83], v[90:91] op_sel:[0,0,1] op_sel_hi:[1,1,0] neg_lo:[0,0,1] neg_hi:[0,0,1]
	v_pk_fma_f32 v[90:91], v[92:93], v[82:83], v[90:91] op_sel:[0,0,1] op_sel_hi:[1,0,0]
	v_mov_b32_e32 v95, v91
	ds_load_2addr_b64 v[90:93], v84 offset0:28 offset1:29
	v_pk_add_f32 v[48:49], v[48:49], v[96:97] neg_lo:[0,1] neg_hi:[0,1]
	v_pk_add_f32 v[44:45], v[44:45], v[94:95] neg_lo:[0,1] neg_hi:[0,1]
	s_wait_dscnt 0x0
	v_dual_mul_f32 v94, v91, v81 :: v_dual_mul_f32 v96, v91, v82
	s_delay_alu instid0(VALU_DEP_1) | instskip(NEXT) | instid1(VALU_DEP_2)
	v_pk_fma_f32 v[94:95], v[90:91], v[62:63], v[94:95] op_sel_hi:[1,1,0] neg_lo:[0,0,1] neg_hi:[0,0,1]
	v_pk_fma_f32 v[90:91], v[90:91], v[62:63], v[96:97] op_sel:[1,0,0] op_sel_hi:[0,1,0]
	s_delay_alu instid0(VALU_DEP_1) | instskip(SKIP_1) | instid1(VALU_DEP_2)
	v_mov_b32_e32 v95, v91
	v_pk_mul_f32 v[90:91], v[92:93], v[80:81] op_sel:[0,1]
	v_pk_add_f32 v[14:15], v[14:15], v[94:95] neg_lo:[0,1] neg_hi:[0,1]
	s_delay_alu instid0(VALU_DEP_2) | instskip(SKIP_1) | instid1(VALU_DEP_1)
	v_pk_fma_f32 v[94:95], v[92:93], v[82:83], v[90:91] op_sel:[0,0,1] op_sel_hi:[1,1,0] neg_lo:[0,0,1] neg_hi:[0,0,1]
	v_pk_fma_f32 v[90:91], v[92:93], v[82:83], v[90:91] op_sel:[0,0,1] op_sel_hi:[1,0,0]
	v_mov_b32_e32 v95, v91
	ds_load_2addr_b64 v[90:93], v84 offset0:30 offset1:31
	v_pk_add_f32 v[10:11], v[10:11], v[94:95] neg_lo:[0,1] neg_hi:[0,1]
	s_wait_dscnt 0x0
	v_pk_mul_f32 v[94:95], v[90:91], v[80:81] op_sel:[0,1]
	s_delay_alu instid0(VALU_DEP_1) | instskip(SKIP_1) | instid1(VALU_DEP_1)
	v_pk_fma_f32 v[96:97], v[90:91], v[82:83], v[94:95] op_sel:[0,0,1] op_sel_hi:[1,1,0] neg_lo:[0,0,1] neg_hi:[0,0,1]
	v_pk_fma_f32 v[90:91], v[90:91], v[82:83], v[94:95] op_sel:[0,0,1] op_sel_hi:[1,0,0]
	v_mov_b32_e32 v97, v91
	v_pk_mul_f32 v[90:91], v[92:93], v[80:81] op_sel:[0,1]
	s_delay_alu instid0(VALU_DEP_2) | instskip(NEXT) | instid1(VALU_DEP_2)
	v_pk_add_f32 v[12:13], v[12:13], v[96:97] neg_lo:[0,1] neg_hi:[0,1]
	v_pk_fma_f32 v[94:95], v[92:93], v[82:83], v[90:91] op_sel:[0,0,1] op_sel_hi:[1,1,0] neg_lo:[0,0,1] neg_hi:[0,0,1]
	v_pk_fma_f32 v[90:91], v[92:93], v[82:83], v[90:91] op_sel:[0,0,1] op_sel_hi:[1,0,0]
	s_delay_alu instid0(VALU_DEP_1) | instskip(SKIP_4) | instid1(VALU_DEP_1)
	v_mov_b32_e32 v95, v91
	ds_load_2addr_b64 v[90:93], v84 offset0:32 offset1:33
	v_pk_add_f32 v[8:9], v[8:9], v[94:95] neg_lo:[0,1] neg_hi:[0,1]
	s_wait_dscnt 0x0
	v_pk_mul_f32 v[94:95], v[90:91], v[80:81] op_sel:[0,1]
	v_pk_fma_f32 v[96:97], v[90:91], v[82:83], v[94:95] op_sel:[0,0,1] op_sel_hi:[1,1,0] neg_lo:[0,0,1] neg_hi:[0,0,1]
	v_pk_fma_f32 v[90:91], v[90:91], v[82:83], v[94:95] op_sel:[0,0,1] op_sel_hi:[1,0,0]
	v_dual_mul_f32 v94, v93, v81 :: v_dual_mov_b32 v90, v93
	s_delay_alu instid0(VALU_DEP_2) | instskip(NEXT) | instid1(VALU_DEP_2)
	v_dual_mov_b32 v97, v91 :: v_dual_mov_b32 v91, v92
	v_pk_fma_f32 v[94:95], v[92:93], v[62:63], v[94:95] op_sel_hi:[1,1,0] neg_lo:[0,0,1] neg_hi:[0,0,1]
	v_mul_f32_e32 v92, v93, v82
	s_delay_alu instid0(VALU_DEP_3) | instskip(NEXT) | instid1(VALU_DEP_2)
	v_pk_add_f32 v[6:7], v[6:7], v[96:97] neg_lo:[0,1] neg_hi:[0,1]
	v_pk_fma_f32 v[90:91], v[90:91], v[62:63], v[92:93] op_sel_hi:[1,1,0]
	s_delay_alu instid0(VALU_DEP_1) | instskip(SKIP_4) | instid1(VALU_DEP_1)
	v_mov_b32_e32 v95, v91
	ds_load_2addr_b64 v[90:93], v84 offset0:34 offset1:35
	v_pk_add_f32 v[52:53], v[52:53], v[94:95] neg_lo:[0,1] neg_hi:[0,1]
	s_wait_dscnt 0x0
	v_pk_mul_f32 v[94:95], v[90:91], v[80:81] op_sel:[0,1]
	v_pk_fma_f32 v[96:97], v[90:91], v[82:83], v[94:95] op_sel:[0,0,1] op_sel_hi:[1,1,0] neg_lo:[0,0,1] neg_hi:[0,0,1]
	v_pk_fma_f32 v[90:91], v[90:91], v[82:83], v[94:95] op_sel:[0,0,1] op_sel_hi:[1,0,0]
	s_delay_alu instid0(VALU_DEP_1) | instskip(SKIP_1) | instid1(VALU_DEP_1)
	v_mov_b32_e32 v97, v91
	v_pk_mul_f32 v[90:91], v[92:93], v[80:81] op_sel:[0,1]
	v_pk_fma_f32 v[94:95], v[92:93], v[82:83], v[90:91] op_sel:[0,0,1] op_sel_hi:[1,1,0] neg_lo:[0,0,1] neg_hi:[0,0,1]
	v_pk_fma_f32 v[90:91], v[92:93], v[82:83], v[90:91] op_sel:[0,0,1] op_sel_hi:[1,0,0]
	s_delay_alu instid0(VALU_DEP_1)
	v_mov_b32_e32 v95, v91
	ds_load_b64 v[90:91], v84 offset:288
	v_pk_add_f32 v[34:35], v[34:35], v[96:97] neg_lo:[0,1] neg_hi:[0,1]
	v_pk_add_f32 v[16:17], v[16:17], v[94:95] neg_lo:[0,1] neg_hi:[0,1]
	s_wait_dscnt 0x0
	v_pk_mul_f32 v[80:81], v[90:91], v[80:81] op_sel:[0,1]
	s_delay_alu instid0(VALU_DEP_1) | instskip(SKIP_1) | instid1(VALU_DEP_1)
	v_pk_fma_f32 v[92:93], v[90:91], v[82:83], v[80:81] op_sel:[0,0,1] op_sel_hi:[1,1,0] neg_lo:[0,0,1] neg_hi:[0,0,1]
	v_pk_fma_f32 v[80:81], v[90:91], v[82:83], v[80:81] op_sel:[0,0,1] op_sel_hi:[1,0,0]
	v_mov_b32_e32 v93, v81
	s_delay_alu instid0(VALU_DEP_1)
	v_pk_add_f32 v[78:79], v[78:79], v[92:93] neg_lo:[0,1] neg_hi:[0,1]
.LBB72_419:
	s_or_b32 exec_lo, exec_lo, s0
	v_lshl_add_u32 v80, v88, 3, v84
	s_barrier_signal -1
	s_barrier_wait -1
	ds_store_b64 v80, v[60:61]
	s_wait_dscnt 0x0
	s_barrier_signal -1
	s_barrier_wait -1
	ds_load_b64 v[80:81], v84 offset:160
	v_mov_b32_e32 v82, 20
	s_cmp_lt_i32 s18, 22
	s_cbranch_scc1 .LBB72_422
; %bb.420:
	v_add3_u32 v83, v85, 0, 0xa8
	v_mov_b32_e32 v82, 20
	s_mov_b32 s0, 21
.LBB72_421:                             ; =>This Inner Loop Header: Depth=1
	ds_load_b64 v[90:91], v83
	s_wait_dscnt 0x1
	v_cmp_gt_f32_e32 vcc_lo, 0, v80
	v_cndmask_b32_e64 v92, v80, -v80, vcc_lo
	v_cmp_gt_f32_e32 vcc_lo, 0, v81
	v_cndmask_b32_e64 v94, v81, -v81, vcc_lo
	s_wait_dscnt 0x0
	v_cmp_gt_f32_e32 vcc_lo, 0, v90
	v_cndmask_b32_e64 v93, v90, -v90, vcc_lo
	v_cmp_gt_f32_e32 vcc_lo, 0, v91
	v_cndmask_b32_e64 v95, v91, -v91, vcc_lo
	s_delay_alu instid0(VALU_DEP_1) | instskip(NEXT) | instid1(VALU_DEP_1)
	v_pk_add_f32 v[92:93], v[92:93], v[94:95]
	v_cmp_lt_f32_e32 vcc_lo, v92, v93
	v_dual_cndmask_b32 v80, v80, v90 :: v_dual_add_nc_u32 v83, 8, v83
	v_cndmask_b32_e32 v81, v81, v91, vcc_lo
	v_cndmask_b32_e64 v82, v82, s0, vcc_lo
	s_add_co_i32 s0, s0, 1
	s_delay_alu instid0(SALU_CYCLE_1)
	s_cmp_lg_u32 s18, s0
	s_cbranch_scc1 .LBB72_421
.LBB72_422:
	s_wait_dscnt 0x0
	v_cmp_eq_f32_e32 vcc_lo, 0, v80
	v_cmp_eq_f32_e64 s0, 0, v81
	s_and_b32 s0, vcc_lo, s0
	s_delay_alu instid0(SALU_CYCLE_1) | instskip(NEXT) | instid1(SALU_CYCLE_1)
	s_and_saveexec_b32 s1, s0
	s_xor_b32 s0, exec_lo, s1
; %bb.423:
	v_cmp_ne_u32_e32 vcc_lo, 0, v86
	v_cndmask_b32_e32 v86, 21, v86, vcc_lo
; %bb.424:
	s_and_not1_saveexec_b32 s0, s0
	s_cbranch_execz .LBB72_430
; %bb.425:
	v_cmp_ngt_f32_e64 s1, |v80|, |v81|
	s_and_saveexec_b32 s12, s1
	s_delay_alu instid0(SALU_CYCLE_1)
	s_xor_b32 s1, exec_lo, s12
	s_cbranch_execz .LBB72_427
; %bb.426:
	v_div_scale_f32 v83, null, v81, v81, v80
	v_div_scale_f32 v91, vcc_lo, v80, v81, v80
	s_delay_alu instid0(VALU_DEP_2) | instskip(SKIP_1) | instid1(TRANS32_DEP_1)
	v_rcp_f32_e32 v89, v83
	v_nop
	v_fma_f32 v90, -v83, v89, 1.0
	s_delay_alu instid0(VALU_DEP_1) | instskip(NEXT) | instid1(VALU_DEP_1)
	v_fmac_f32_e32 v89, v90, v89
	v_mul_f32_e32 v90, v91, v89
	s_delay_alu instid0(VALU_DEP_1) | instskip(NEXT) | instid1(VALU_DEP_1)
	v_fma_f32 v92, -v83, v90, v91
	v_fmac_f32_e32 v90, v92, v89
	s_delay_alu instid0(VALU_DEP_1) | instskip(NEXT) | instid1(VALU_DEP_1)
	v_fma_f32 v83, -v83, v90, v91
	v_div_fmas_f32 v83, v83, v89, v90
	s_delay_alu instid0(VALU_DEP_1) | instskip(NEXT) | instid1(VALU_DEP_1)
	v_div_fixup_f32 v83, v83, v81, v80
	v_fmac_f32_e32 v81, v80, v83
	s_delay_alu instid0(VALU_DEP_1) | instskip(SKIP_1) | instid1(VALU_DEP_2)
	v_div_scale_f32 v80, null, v81, v81, 1.0
	v_div_scale_f32 v91, vcc_lo, 1.0, v81, 1.0
	v_rcp_f32_e32 v89, v80
	v_nop
	s_delay_alu instid0(TRANS32_DEP_1) | instskip(NEXT) | instid1(VALU_DEP_1)
	v_fma_f32 v90, -v80, v89, 1.0
	v_fmac_f32_e32 v89, v90, v89
	s_delay_alu instid0(VALU_DEP_1) | instskip(NEXT) | instid1(VALU_DEP_1)
	v_mul_f32_e32 v90, v91, v89
	v_fma_f32 v92, -v80, v90, v91
	s_delay_alu instid0(VALU_DEP_1) | instskip(NEXT) | instid1(VALU_DEP_1)
	v_fmac_f32_e32 v90, v92, v89
	v_fma_f32 v80, -v80, v90, v91
	s_delay_alu instid0(VALU_DEP_1) | instskip(NEXT) | instid1(VALU_DEP_1)
	v_div_fmas_f32 v80, v80, v89, v90
	v_div_fixup_f32 v81, v80, v81, 1.0
	s_delay_alu instid0(VALU_DEP_1)
	v_mul_f32_e32 v80, v83, v81
	v_xor_b32_e32 v81, 0x80000000, v81
.LBB72_427:
	s_and_not1_saveexec_b32 s1, s1
	s_cbranch_execz .LBB72_429
; %bb.428:
	s_delay_alu instid0(VALU_DEP_1) | instskip(SKIP_1) | instid1(VALU_DEP_2)
	v_div_scale_f32 v83, null, v80, v80, v81
	v_div_scale_f32 v91, vcc_lo, v81, v80, v81
	v_rcp_f32_e32 v89, v83
	v_nop
	s_delay_alu instid0(TRANS32_DEP_1) | instskip(NEXT) | instid1(VALU_DEP_1)
	v_fma_f32 v90, -v83, v89, 1.0
	v_fmac_f32_e32 v89, v90, v89
	s_delay_alu instid0(VALU_DEP_1) | instskip(NEXT) | instid1(VALU_DEP_1)
	v_mul_f32_e32 v90, v91, v89
	v_fma_f32 v92, -v83, v90, v91
	s_delay_alu instid0(VALU_DEP_1) | instskip(NEXT) | instid1(VALU_DEP_1)
	v_fmac_f32_e32 v90, v92, v89
	v_fma_f32 v83, -v83, v90, v91
	s_delay_alu instid0(VALU_DEP_1) | instskip(NEXT) | instid1(VALU_DEP_1)
	v_div_fmas_f32 v83, v83, v89, v90
	v_div_fixup_f32 v83, v83, v80, v81
	s_delay_alu instid0(VALU_DEP_1) | instskip(NEXT) | instid1(VALU_DEP_1)
	v_fmac_f32_e32 v80, v81, v83
	v_div_scale_f32 v81, null, v80, v80, 1.0
	s_delay_alu instid0(VALU_DEP_1) | instskip(SKIP_1) | instid1(TRANS32_DEP_1)
	v_rcp_f32_e32 v89, v81
	v_nop
	v_fma_f32 v90, -v81, v89, 1.0
	s_delay_alu instid0(VALU_DEP_1) | instskip(SKIP_1) | instid1(VALU_DEP_1)
	v_fmac_f32_e32 v89, v90, v89
	v_div_scale_f32 v90, vcc_lo, 1.0, v80, 1.0
	v_mul_f32_e32 v91, v90, v89
	s_delay_alu instid0(VALU_DEP_1) | instskip(NEXT) | instid1(VALU_DEP_1)
	v_fma_f32 v92, -v81, v91, v90
	v_fmac_f32_e32 v91, v92, v89
	s_delay_alu instid0(VALU_DEP_1) | instskip(NEXT) | instid1(VALU_DEP_1)
	v_fma_f32 v81, -v81, v91, v90
	v_div_fmas_f32 v81, v81, v89, v91
	s_delay_alu instid0(VALU_DEP_1) | instskip(NEXT) | instid1(VALU_DEP_1)
	v_div_fixup_f32 v80, v81, v80, 1.0
	v_mul_f32_e64 v81, v83, -v80
.LBB72_429:
	s_or_b32 exec_lo, exec_lo, s1
.LBB72_430:
	s_delay_alu instid0(SALU_CYCLE_1) | instskip(NEXT) | instid1(SALU_CYCLE_1)
	s_or_b32 exec_lo, exec_lo, s0
	s_mov_b32 s0, exec_lo
	v_cmpx_ne_u32_e64 v88, v82
	s_xor_b32 s0, exec_lo, s0
	s_cbranch_execz .LBB72_436
; %bb.431:
	s_mov_b32 s1, exec_lo
	v_cmpx_eq_u32_e32 20, v88
	s_cbranch_execz .LBB72_435
; %bb.432:
	v_cmp_ne_u32_e32 vcc_lo, 20, v82
	s_xor_b32 s12, s16, -1
	s_delay_alu instid0(SALU_CYCLE_1) | instskip(NEXT) | instid1(SALU_CYCLE_1)
	s_and_b32 s13, s12, vcc_lo
	s_and_saveexec_b32 s12, s13
	s_cbranch_execz .LBB72_434
; %bb.433:
	v_ashrrev_i32_e32 v83, 31, v82
	s_delay_alu instid0(VALU_DEP_1)
	v_lshl_add_u64 v[88:89], v[82:83], 2, v[4:5]
	s_clause 0x1
	global_load_b32 v83, v[88:89], off
	global_load_b32 v87, v[4:5], off offset:80
	s_wait_loadcnt 0x1
	global_store_b32 v[4:5], v83, off offset:80
	s_wait_loadcnt 0x0
	global_store_b32 v[88:89], v87, off
.LBB72_434:
	s_wait_xcnt 0x0
	s_or_b32 exec_lo, exec_lo, s12
	v_dual_mov_b32 v88, v82 :: v_dual_mov_b32 v87, v82
.LBB72_435:
	s_or_b32 exec_lo, exec_lo, s1
.LBB72_436:
	s_and_not1_saveexec_b32 s0, s0
	s_cbranch_execz .LBB72_438
; %bb.437:
	v_mov_b32_e32 v88, 20
	ds_store_2addr_b64 v84, v[56:57], v[58:59] offset0:21 offset1:22
	ds_store_2addr_b64 v84, v[54:55], v[50:51] offset0:23 offset1:24
	;; [unrolled: 1-line block ×8, first 2 shown]
.LBB72_438:
	s_or_b32 exec_lo, exec_lo, s0
	s_delay_alu instid0(SALU_CYCLE_1)
	s_mov_b32 s0, exec_lo
	s_wait_storecnt_dscnt 0x0
	s_barrier_signal -1
	s_barrier_wait -1
	v_cmpx_lt_i32_e32 20, v88
	s_cbranch_execz .LBB72_440
; %bb.439:
	v_pk_mul_f32 v[90:91], v[80:81], v[60:61] op_sel:[1,1] op_sel_hi:[0,1]
	s_delay_alu instid0(VALU_DEP_1)
	v_pk_fma_f32 v[82:83], v[80:81], v[60:61], v[90:91] op_sel_hi:[1,0,1] neg_lo:[0,0,1] neg_hi:[0,0,1]
	v_pk_fma_f32 v[80:81], v[80:81], v[60:61], v[90:91] op_sel_hi:[1,0,1]
	ds_load_2addr_b64 v[90:93], v84 offset0:21 offset1:22
	v_dual_mov_b32 v60, v82 :: v_dual_mov_b32 v61, v81
	s_wait_dscnt 0x0
	v_pk_mul_f32 v[94:95], v[90:91], v[80:81] op_sel:[0,1]
	s_delay_alu instid0(VALU_DEP_1) | instskip(SKIP_1) | instid1(VALU_DEP_1)
	v_pk_fma_f32 v[96:97], v[90:91], v[82:83], v[94:95] op_sel:[0,0,1] op_sel_hi:[1,1,0] neg_lo:[0,0,1] neg_hi:[0,0,1]
	v_pk_fma_f32 v[90:91], v[90:91], v[82:83], v[94:95] op_sel:[0,0,1] op_sel_hi:[1,0,0]
	v_mov_b32_e32 v97, v91
	v_pk_mul_f32 v[90:91], v[92:93], v[80:81] op_sel:[0,1]
	s_delay_alu instid0(VALU_DEP_1) | instskip(SKIP_1) | instid1(VALU_DEP_1)
	v_pk_fma_f32 v[94:95], v[92:93], v[82:83], v[90:91] op_sel:[0,0,1] op_sel_hi:[1,1,0] neg_lo:[0,0,1] neg_hi:[0,0,1]
	v_pk_fma_f32 v[90:91], v[92:93], v[82:83], v[90:91] op_sel:[0,0,1] op_sel_hi:[1,0,0]
	v_mov_b32_e32 v95, v91
	ds_load_2addr_b64 v[90:93], v84 offset0:23 offset1:24
	v_pk_add_f32 v[56:57], v[56:57], v[96:97] neg_lo:[0,1] neg_hi:[0,1]
	v_pk_add_f32 v[58:59], v[58:59], v[94:95] neg_lo:[0,1] neg_hi:[0,1]
	s_wait_dscnt 0x0
	v_pk_mul_f32 v[94:95], v[90:91], v[80:81] op_sel:[0,1]
	s_delay_alu instid0(VALU_DEP_1) | instskip(SKIP_2) | instid1(VALU_DEP_2)
	v_pk_fma_f32 v[96:97], v[90:91], v[82:83], v[94:95] op_sel:[0,0,1] op_sel_hi:[1,1,0] neg_lo:[0,0,1] neg_hi:[0,0,1]
	v_pk_fma_f32 v[90:91], v[90:91], v[82:83], v[94:95] op_sel:[0,0,1] op_sel_hi:[1,0,0]
	v_dual_mul_f32 v94, v93, v81 :: v_dual_mov_b32 v90, v93
	v_dual_mov_b32 v97, v91 :: v_dual_mov_b32 v91, v92
	s_delay_alu instid0(VALU_DEP_2) | instskip(SKIP_1) | instid1(VALU_DEP_3)
	v_pk_fma_f32 v[94:95], v[92:93], v[60:61], v[94:95] op_sel_hi:[1,1,0] neg_lo:[0,0,1] neg_hi:[0,0,1]
	v_mul_f32_e32 v92, v93, v82
	v_pk_add_f32 v[54:55], v[54:55], v[96:97] neg_lo:[0,1] neg_hi:[0,1]
	s_delay_alu instid0(VALU_DEP_2) | instskip(NEXT) | instid1(VALU_DEP_1)
	v_pk_fma_f32 v[90:91], v[90:91], v[60:61], v[92:93] op_sel_hi:[1,1,0]
	v_mov_b32_e32 v95, v91
	ds_load_2addr_b64 v[90:93], v84 offset0:25 offset1:26
	v_pk_add_f32 v[50:51], v[50:51], v[94:95] neg_lo:[0,1] neg_hi:[0,1]
	s_wait_dscnt 0x0
	v_pk_mul_f32 v[94:95], v[90:91], v[80:81] op_sel:[0,1]
	s_delay_alu instid0(VALU_DEP_1) | instskip(SKIP_1) | instid1(VALU_DEP_1)
	v_pk_fma_f32 v[96:97], v[90:91], v[82:83], v[94:95] op_sel:[0,0,1] op_sel_hi:[1,1,0] neg_lo:[0,0,1] neg_hi:[0,0,1]
	v_pk_fma_f32 v[90:91], v[90:91], v[82:83], v[94:95] op_sel:[0,0,1] op_sel_hi:[1,0,0]
	v_mov_b32_e32 v97, v91
	v_pk_mul_f32 v[90:91], v[92:93], v[80:81] op_sel:[0,1]
	s_delay_alu instid0(VALU_DEP_1) | instskip(SKIP_1) | instid1(VALU_DEP_1)
	v_pk_fma_f32 v[94:95], v[92:93], v[82:83], v[90:91] op_sel:[0,0,1] op_sel_hi:[1,1,0] neg_lo:[0,0,1] neg_hi:[0,0,1]
	v_pk_fma_f32 v[90:91], v[92:93], v[82:83], v[90:91] op_sel:[0,0,1] op_sel_hi:[1,0,0]
	v_mov_b32_e32 v95, v91
	ds_load_2addr_b64 v[90:93], v84 offset0:27 offset1:28
	v_pk_add_f32 v[46:47], v[46:47], v[96:97] neg_lo:[0,1] neg_hi:[0,1]
	v_pk_add_f32 v[48:49], v[48:49], v[94:95] neg_lo:[0,1] neg_hi:[0,1]
	s_wait_dscnt 0x0
	v_pk_mul_f32 v[94:95], v[90:91], v[80:81] op_sel:[0,1]
	s_delay_alu instid0(VALU_DEP_1) | instskip(SKIP_1) | instid1(VALU_DEP_1)
	v_pk_fma_f32 v[96:97], v[90:91], v[82:83], v[94:95] op_sel:[0,0,1] op_sel_hi:[1,1,0] neg_lo:[0,0,1] neg_hi:[0,0,1]
	v_pk_fma_f32 v[90:91], v[90:91], v[82:83], v[94:95] op_sel:[0,0,1] op_sel_hi:[1,0,0]
	v_mov_b32_e32 v97, v91
	v_pk_mul_f32 v[90:91], v[92:93], v[80:81] op_sel:[0,1]
	s_delay_alu instid0(VALU_DEP_1) | instskip(SKIP_1) | instid1(VALU_DEP_1)
	v_pk_fma_f32 v[94:95], v[92:93], v[82:83], v[90:91] op_sel:[0,0,1] op_sel_hi:[1,1,0] neg_lo:[0,0,1] neg_hi:[0,0,1]
	v_pk_fma_f32 v[90:91], v[92:93], v[82:83], v[90:91] op_sel:[0,0,1] op_sel_hi:[1,0,0]
	v_mov_b32_e32 v95, v91
	ds_load_2addr_b64 v[90:93], v84 offset0:29 offset1:30
	v_pk_add_f32 v[44:45], v[44:45], v[96:97] neg_lo:[0,1] neg_hi:[0,1]
	v_pk_add_f32 v[14:15], v[14:15], v[94:95] neg_lo:[0,1] neg_hi:[0,1]
	s_wait_dscnt 0x0
	v_dual_mul_f32 v94, v91, v81 :: v_dual_mul_f32 v96, v91, v82
	s_delay_alu instid0(VALU_DEP_1) | instskip(NEXT) | instid1(VALU_DEP_2)
	v_pk_fma_f32 v[94:95], v[90:91], v[60:61], v[94:95] op_sel_hi:[1,1,0] neg_lo:[0,0,1] neg_hi:[0,0,1]
	v_pk_fma_f32 v[90:91], v[90:91], v[60:61], v[96:97] op_sel:[1,0,0] op_sel_hi:[0,1,0]
	s_delay_alu instid0(VALU_DEP_1) | instskip(SKIP_1) | instid1(VALU_DEP_2)
	v_mov_b32_e32 v95, v91
	v_pk_mul_f32 v[90:91], v[92:93], v[80:81] op_sel:[0,1]
	v_pk_add_f32 v[10:11], v[10:11], v[94:95] neg_lo:[0,1] neg_hi:[0,1]
	s_delay_alu instid0(VALU_DEP_2) | instskip(SKIP_1) | instid1(VALU_DEP_1)
	v_pk_fma_f32 v[94:95], v[92:93], v[82:83], v[90:91] op_sel:[0,0,1] op_sel_hi:[1,1,0] neg_lo:[0,0,1] neg_hi:[0,0,1]
	v_pk_fma_f32 v[90:91], v[92:93], v[82:83], v[90:91] op_sel:[0,0,1] op_sel_hi:[1,0,0]
	v_mov_b32_e32 v95, v91
	ds_load_2addr_b64 v[90:93], v84 offset0:31 offset1:32
	v_pk_add_f32 v[12:13], v[12:13], v[94:95] neg_lo:[0,1] neg_hi:[0,1]
	s_wait_dscnt 0x0
	v_pk_mul_f32 v[94:95], v[90:91], v[80:81] op_sel:[0,1]
	s_delay_alu instid0(VALU_DEP_1) | instskip(SKIP_1) | instid1(VALU_DEP_1)
	v_pk_fma_f32 v[96:97], v[90:91], v[82:83], v[94:95] op_sel:[0,0,1] op_sel_hi:[1,1,0] neg_lo:[0,0,1] neg_hi:[0,0,1]
	v_pk_fma_f32 v[90:91], v[90:91], v[82:83], v[94:95] op_sel:[0,0,1] op_sel_hi:[1,0,0]
	v_mov_b32_e32 v97, v91
	v_pk_mul_f32 v[90:91], v[92:93], v[80:81] op_sel:[0,1]
	s_delay_alu instid0(VALU_DEP_2) | instskip(NEXT) | instid1(VALU_DEP_2)
	v_pk_add_f32 v[8:9], v[8:9], v[96:97] neg_lo:[0,1] neg_hi:[0,1]
	v_pk_fma_f32 v[94:95], v[92:93], v[82:83], v[90:91] op_sel:[0,0,1] op_sel_hi:[1,1,0] neg_lo:[0,0,1] neg_hi:[0,0,1]
	v_pk_fma_f32 v[90:91], v[92:93], v[82:83], v[90:91] op_sel:[0,0,1] op_sel_hi:[1,0,0]
	s_delay_alu instid0(VALU_DEP_1) | instskip(SKIP_4) | instid1(VALU_DEP_1)
	v_mov_b32_e32 v95, v91
	ds_load_2addr_b64 v[90:93], v84 offset0:33 offset1:34
	v_pk_add_f32 v[6:7], v[6:7], v[94:95] neg_lo:[0,1] neg_hi:[0,1]
	s_wait_dscnt 0x0
	v_pk_mul_f32 v[94:95], v[90:91], v[80:81] op_sel:[0,1]
	v_pk_fma_f32 v[96:97], v[90:91], v[82:83], v[94:95] op_sel:[0,0,1] op_sel_hi:[1,1,0] neg_lo:[0,0,1] neg_hi:[0,0,1]
	v_pk_fma_f32 v[90:91], v[90:91], v[82:83], v[94:95] op_sel:[0,0,1] op_sel_hi:[1,0,0]
	v_dual_mul_f32 v94, v93, v81 :: v_dual_mov_b32 v90, v93
	s_delay_alu instid0(VALU_DEP_2) | instskip(NEXT) | instid1(VALU_DEP_2)
	v_dual_mov_b32 v97, v91 :: v_dual_mov_b32 v91, v92
	v_pk_fma_f32 v[94:95], v[92:93], v[60:61], v[94:95] op_sel_hi:[1,1,0] neg_lo:[0,0,1] neg_hi:[0,0,1]
	v_mul_f32_e32 v92, v93, v82
	s_delay_alu instid0(VALU_DEP_3) | instskip(NEXT) | instid1(VALU_DEP_2)
	v_pk_add_f32 v[52:53], v[52:53], v[96:97] neg_lo:[0,1] neg_hi:[0,1]
	v_pk_fma_f32 v[90:91], v[90:91], v[60:61], v[92:93] op_sel_hi:[1,1,0]
	s_delay_alu instid0(VALU_DEP_1)
	v_mov_b32_e32 v95, v91
	ds_load_2addr_b64 v[90:93], v84 offset0:35 offset1:36
	v_pk_add_f32 v[34:35], v[34:35], v[94:95] neg_lo:[0,1] neg_hi:[0,1]
	s_wait_dscnt 0x0
	v_pk_mul_f32 v[94:95], v[90:91], v[80:81] op_sel:[0,1]
	v_pk_mul_f32 v[80:81], v[92:93], v[80:81] op_sel:[0,1]
	s_delay_alu instid0(VALU_DEP_2) | instskip(SKIP_1) | instid1(VALU_DEP_1)
	v_pk_fma_f32 v[96:97], v[90:91], v[82:83], v[94:95] op_sel:[0,0,1] op_sel_hi:[1,1,0] neg_lo:[0,0,1] neg_hi:[0,0,1]
	v_pk_fma_f32 v[90:91], v[90:91], v[82:83], v[94:95] op_sel:[0,0,1] op_sel_hi:[1,0,0]
	v_mov_b32_e32 v97, v91
	s_delay_alu instid0(VALU_DEP_4) | instskip(SKIP_1) | instid1(VALU_DEP_1)
	v_pk_fma_f32 v[90:91], v[92:93], v[82:83], v[80:81] op_sel:[0,0,1] op_sel_hi:[1,1,0] neg_lo:[0,0,1] neg_hi:[0,0,1]
	v_pk_fma_f32 v[80:81], v[92:93], v[82:83], v[80:81] op_sel:[0,0,1] op_sel_hi:[1,0,0]
	v_mov_b32_e32 v91, v81
	s_delay_alu instid0(VALU_DEP_4) | instskip(NEXT) | instid1(VALU_DEP_2)
	v_pk_add_f32 v[16:17], v[16:17], v[96:97] neg_lo:[0,1] neg_hi:[0,1]
	v_pk_add_f32 v[78:79], v[78:79], v[90:91] neg_lo:[0,1] neg_hi:[0,1]
.LBB72_440:
	s_or_b32 exec_lo, exec_lo, s0
	v_lshl_add_u32 v80, v88, 3, v84
	s_barrier_signal -1
	s_barrier_wait -1
	ds_store_b64 v80, v[56:57]
	s_wait_dscnt 0x0
	s_barrier_signal -1
	s_barrier_wait -1
	ds_load_b64 v[80:81], v84 offset:168
	v_mov_b32_e32 v82, 21
	s_cmp_lt_i32 s18, 23
	s_cbranch_scc1 .LBB72_443
; %bb.441:
	v_add3_u32 v83, v85, 0, 0xb0
	v_mov_b32_e32 v82, 21
	s_mov_b32 s0, 22
.LBB72_442:                             ; =>This Inner Loop Header: Depth=1
	ds_load_b64 v[90:91], v83
	s_wait_dscnt 0x1
	v_cmp_gt_f32_e32 vcc_lo, 0, v80
	v_cndmask_b32_e64 v92, v80, -v80, vcc_lo
	v_cmp_gt_f32_e32 vcc_lo, 0, v81
	v_cndmask_b32_e64 v94, v81, -v81, vcc_lo
	s_wait_dscnt 0x0
	v_cmp_gt_f32_e32 vcc_lo, 0, v90
	v_cndmask_b32_e64 v93, v90, -v90, vcc_lo
	v_cmp_gt_f32_e32 vcc_lo, 0, v91
	v_cndmask_b32_e64 v95, v91, -v91, vcc_lo
	s_delay_alu instid0(VALU_DEP_1) | instskip(NEXT) | instid1(VALU_DEP_1)
	v_pk_add_f32 v[92:93], v[92:93], v[94:95]
	v_cmp_lt_f32_e32 vcc_lo, v92, v93
	v_dual_cndmask_b32 v80, v80, v90 :: v_dual_add_nc_u32 v83, 8, v83
	v_cndmask_b32_e32 v81, v81, v91, vcc_lo
	v_cndmask_b32_e64 v82, v82, s0, vcc_lo
	s_add_co_i32 s0, s0, 1
	s_delay_alu instid0(SALU_CYCLE_1)
	s_cmp_lg_u32 s18, s0
	s_cbranch_scc1 .LBB72_442
.LBB72_443:
	s_wait_dscnt 0x0
	v_cmp_eq_f32_e32 vcc_lo, 0, v80
	v_cmp_eq_f32_e64 s0, 0, v81
	s_and_b32 s0, vcc_lo, s0
	s_delay_alu instid0(SALU_CYCLE_1) | instskip(NEXT) | instid1(SALU_CYCLE_1)
	s_and_saveexec_b32 s1, s0
	s_xor_b32 s0, exec_lo, s1
; %bb.444:
	v_cmp_ne_u32_e32 vcc_lo, 0, v86
	v_cndmask_b32_e32 v86, 22, v86, vcc_lo
; %bb.445:
	s_and_not1_saveexec_b32 s0, s0
	s_cbranch_execz .LBB72_451
; %bb.446:
	v_cmp_ngt_f32_e64 s1, |v80|, |v81|
	s_and_saveexec_b32 s12, s1
	s_delay_alu instid0(SALU_CYCLE_1)
	s_xor_b32 s1, exec_lo, s12
	s_cbranch_execz .LBB72_448
; %bb.447:
	v_div_scale_f32 v83, null, v81, v81, v80
	v_div_scale_f32 v91, vcc_lo, v80, v81, v80
	s_delay_alu instid0(VALU_DEP_2) | instskip(SKIP_1) | instid1(TRANS32_DEP_1)
	v_rcp_f32_e32 v89, v83
	v_nop
	v_fma_f32 v90, -v83, v89, 1.0
	s_delay_alu instid0(VALU_DEP_1) | instskip(NEXT) | instid1(VALU_DEP_1)
	v_fmac_f32_e32 v89, v90, v89
	v_mul_f32_e32 v90, v91, v89
	s_delay_alu instid0(VALU_DEP_1) | instskip(NEXT) | instid1(VALU_DEP_1)
	v_fma_f32 v92, -v83, v90, v91
	v_fmac_f32_e32 v90, v92, v89
	s_delay_alu instid0(VALU_DEP_1) | instskip(NEXT) | instid1(VALU_DEP_1)
	v_fma_f32 v83, -v83, v90, v91
	v_div_fmas_f32 v83, v83, v89, v90
	s_delay_alu instid0(VALU_DEP_1) | instskip(NEXT) | instid1(VALU_DEP_1)
	v_div_fixup_f32 v83, v83, v81, v80
	v_fmac_f32_e32 v81, v80, v83
	s_delay_alu instid0(VALU_DEP_1) | instskip(SKIP_1) | instid1(VALU_DEP_2)
	v_div_scale_f32 v80, null, v81, v81, 1.0
	v_div_scale_f32 v91, vcc_lo, 1.0, v81, 1.0
	v_rcp_f32_e32 v89, v80
	v_nop
	s_delay_alu instid0(TRANS32_DEP_1) | instskip(NEXT) | instid1(VALU_DEP_1)
	v_fma_f32 v90, -v80, v89, 1.0
	v_fmac_f32_e32 v89, v90, v89
	s_delay_alu instid0(VALU_DEP_1) | instskip(NEXT) | instid1(VALU_DEP_1)
	v_mul_f32_e32 v90, v91, v89
	v_fma_f32 v92, -v80, v90, v91
	s_delay_alu instid0(VALU_DEP_1) | instskip(NEXT) | instid1(VALU_DEP_1)
	v_fmac_f32_e32 v90, v92, v89
	v_fma_f32 v80, -v80, v90, v91
	s_delay_alu instid0(VALU_DEP_1) | instskip(NEXT) | instid1(VALU_DEP_1)
	v_div_fmas_f32 v80, v80, v89, v90
	v_div_fixup_f32 v81, v80, v81, 1.0
	s_delay_alu instid0(VALU_DEP_1)
	v_mul_f32_e32 v80, v83, v81
	v_xor_b32_e32 v81, 0x80000000, v81
.LBB72_448:
	s_and_not1_saveexec_b32 s1, s1
	s_cbranch_execz .LBB72_450
; %bb.449:
	s_delay_alu instid0(VALU_DEP_1) | instskip(SKIP_1) | instid1(VALU_DEP_2)
	v_div_scale_f32 v83, null, v80, v80, v81
	v_div_scale_f32 v91, vcc_lo, v81, v80, v81
	v_rcp_f32_e32 v89, v83
	v_nop
	s_delay_alu instid0(TRANS32_DEP_1) | instskip(NEXT) | instid1(VALU_DEP_1)
	v_fma_f32 v90, -v83, v89, 1.0
	v_fmac_f32_e32 v89, v90, v89
	s_delay_alu instid0(VALU_DEP_1) | instskip(NEXT) | instid1(VALU_DEP_1)
	v_mul_f32_e32 v90, v91, v89
	v_fma_f32 v92, -v83, v90, v91
	s_delay_alu instid0(VALU_DEP_1) | instskip(NEXT) | instid1(VALU_DEP_1)
	v_fmac_f32_e32 v90, v92, v89
	v_fma_f32 v83, -v83, v90, v91
	s_delay_alu instid0(VALU_DEP_1) | instskip(NEXT) | instid1(VALU_DEP_1)
	v_div_fmas_f32 v83, v83, v89, v90
	v_div_fixup_f32 v83, v83, v80, v81
	s_delay_alu instid0(VALU_DEP_1) | instskip(NEXT) | instid1(VALU_DEP_1)
	v_fmac_f32_e32 v80, v81, v83
	v_div_scale_f32 v81, null, v80, v80, 1.0
	s_delay_alu instid0(VALU_DEP_1) | instskip(SKIP_1) | instid1(TRANS32_DEP_1)
	v_rcp_f32_e32 v89, v81
	v_nop
	v_fma_f32 v90, -v81, v89, 1.0
	s_delay_alu instid0(VALU_DEP_1) | instskip(SKIP_1) | instid1(VALU_DEP_1)
	v_fmac_f32_e32 v89, v90, v89
	v_div_scale_f32 v90, vcc_lo, 1.0, v80, 1.0
	v_mul_f32_e32 v91, v90, v89
	s_delay_alu instid0(VALU_DEP_1) | instskip(NEXT) | instid1(VALU_DEP_1)
	v_fma_f32 v92, -v81, v91, v90
	v_fmac_f32_e32 v91, v92, v89
	s_delay_alu instid0(VALU_DEP_1) | instskip(NEXT) | instid1(VALU_DEP_1)
	v_fma_f32 v81, -v81, v91, v90
	v_div_fmas_f32 v81, v81, v89, v91
	s_delay_alu instid0(VALU_DEP_1) | instskip(NEXT) | instid1(VALU_DEP_1)
	v_div_fixup_f32 v80, v81, v80, 1.0
	v_mul_f32_e64 v81, v83, -v80
.LBB72_450:
	s_or_b32 exec_lo, exec_lo, s1
.LBB72_451:
	s_delay_alu instid0(SALU_CYCLE_1) | instskip(NEXT) | instid1(SALU_CYCLE_1)
	s_or_b32 exec_lo, exec_lo, s0
	s_mov_b32 s0, exec_lo
	v_cmpx_ne_u32_e64 v88, v82
	s_xor_b32 s0, exec_lo, s0
	s_cbranch_execz .LBB72_457
; %bb.452:
	s_mov_b32 s1, exec_lo
	v_cmpx_eq_u32_e32 21, v88
	s_cbranch_execz .LBB72_456
; %bb.453:
	v_cmp_ne_u32_e32 vcc_lo, 21, v82
	s_xor_b32 s12, s16, -1
	s_delay_alu instid0(SALU_CYCLE_1) | instskip(NEXT) | instid1(SALU_CYCLE_1)
	s_and_b32 s13, s12, vcc_lo
	s_and_saveexec_b32 s12, s13
	s_cbranch_execz .LBB72_455
; %bb.454:
	v_ashrrev_i32_e32 v83, 31, v82
	s_delay_alu instid0(VALU_DEP_1)
	v_lshl_add_u64 v[88:89], v[82:83], 2, v[4:5]
	s_clause 0x1
	global_load_b32 v83, v[88:89], off
	global_load_b32 v87, v[4:5], off offset:84
	s_wait_loadcnt 0x1
	global_store_b32 v[4:5], v83, off offset:84
	s_wait_loadcnt 0x0
	global_store_b32 v[88:89], v87, off
.LBB72_455:
	s_wait_xcnt 0x0
	s_or_b32 exec_lo, exec_lo, s12
	v_dual_mov_b32 v88, v82 :: v_dual_mov_b32 v87, v82
.LBB72_456:
	s_or_b32 exec_lo, exec_lo, s1
.LBB72_457:
	s_and_not1_saveexec_b32 s0, s0
	s_cbranch_execz .LBB72_459
; %bb.458:
	v_dual_mov_b32 v82, v58 :: v_dual_mov_b32 v83, v59
	v_dual_mov_b32 v88, v54 :: v_dual_mov_b32 v89, v55
	;; [unrolled: 1-line block ×4, first 2 shown]
	ds_store_2addr_b64 v84, v[82:83], v[88:89] offset0:22 offset1:23
	ds_store_2addr_b64 v84, v[90:91], v[92:93] offset0:24 offset1:25
	v_dual_mov_b32 v82, v48 :: v_dual_mov_b32 v83, v49
	v_dual_mov_b32 v88, v44 :: v_dual_mov_b32 v89, v45
	;; [unrolled: 1-line block ×6, first 2 shown]
	ds_store_2addr_b64 v84, v[82:83], v[88:89] offset0:26 offset1:27
	ds_store_2addr_b64 v84, v[90:91], v[92:93] offset0:28 offset1:29
	v_dual_mov_b32 v88, 21 :: v_dual_mov_b32 v98, v6
	v_dual_mov_b32 v99, v7 :: v_dual_mov_b32 v100, v52
	;; [unrolled: 1-line block ×4, first 2 shown]
	v_mov_b32_e32 v105, v17
	ds_store_2addr_b64 v84, v[94:95], v[96:97] offset0:30 offset1:31
	ds_store_2addr_b64 v84, v[98:99], v[100:101] offset0:32 offset1:33
	;; [unrolled: 1-line block ×3, first 2 shown]
	ds_store_b64 v84, v[78:79] offset:288
.LBB72_459:
	s_or_b32 exec_lo, exec_lo, s0
	s_delay_alu instid0(SALU_CYCLE_1)
	s_mov_b32 s0, exec_lo
	s_wait_storecnt_dscnt 0x0
	s_barrier_signal -1
	s_barrier_wait -1
	v_cmpx_lt_i32_e32 21, v88
	s_cbranch_execz .LBB72_461
; %bb.460:
	v_pk_mul_f32 v[90:91], v[80:81], v[56:57] op_sel:[1,1] op_sel_hi:[0,1]
	s_delay_alu instid0(VALU_DEP_1)
	v_pk_fma_f32 v[82:83], v[80:81], v[56:57], v[90:91] op_sel_hi:[1,0,1] neg_lo:[0,0,1] neg_hi:[0,0,1]
	v_pk_fma_f32 v[80:81], v[80:81], v[56:57], v[90:91] op_sel_hi:[1,0,1]
	ds_load_2addr_b64 v[90:93], v84 offset0:22 offset1:23
	v_dual_mov_b32 v56, v82 :: v_dual_mov_b32 v57, v81
	s_wait_dscnt 0x0
	v_pk_mul_f32 v[94:95], v[90:91], v[80:81] op_sel:[0,1]
	s_delay_alu instid0(VALU_DEP_1) | instskip(SKIP_1) | instid1(VALU_DEP_1)
	v_pk_fma_f32 v[96:97], v[90:91], v[82:83], v[94:95] op_sel:[0,0,1] op_sel_hi:[1,1,0] neg_lo:[0,0,1] neg_hi:[0,0,1]
	v_pk_fma_f32 v[90:91], v[90:91], v[82:83], v[94:95] op_sel:[0,0,1] op_sel_hi:[1,0,0]
	v_mov_b32_e32 v97, v91
	v_pk_mul_f32 v[90:91], v[92:93], v[80:81] op_sel:[0,1]
	s_delay_alu instid0(VALU_DEP_1) | instskip(SKIP_1) | instid1(VALU_DEP_1)
	v_pk_fma_f32 v[94:95], v[92:93], v[82:83], v[90:91] op_sel:[0,0,1] op_sel_hi:[1,1,0] neg_lo:[0,0,1] neg_hi:[0,0,1]
	v_pk_fma_f32 v[90:91], v[92:93], v[82:83], v[90:91] op_sel:[0,0,1] op_sel_hi:[1,0,0]
	v_mov_b32_e32 v95, v91
	ds_load_2addr_b64 v[90:93], v84 offset0:24 offset1:25
	v_pk_add_f32 v[58:59], v[58:59], v[96:97] neg_lo:[0,1] neg_hi:[0,1]
	v_pk_add_f32 v[54:55], v[54:55], v[94:95] neg_lo:[0,1] neg_hi:[0,1]
	s_wait_dscnt 0x0
	v_pk_mul_f32 v[94:95], v[90:91], v[80:81] op_sel:[0,1]
	s_delay_alu instid0(VALU_DEP_1) | instskip(SKIP_2) | instid1(VALU_DEP_2)
	v_pk_fma_f32 v[96:97], v[90:91], v[82:83], v[94:95] op_sel:[0,0,1] op_sel_hi:[1,1,0] neg_lo:[0,0,1] neg_hi:[0,0,1]
	v_pk_fma_f32 v[90:91], v[90:91], v[82:83], v[94:95] op_sel:[0,0,1] op_sel_hi:[1,0,0]
	v_dual_mul_f32 v94, v93, v81 :: v_dual_mov_b32 v90, v93
	v_dual_mov_b32 v97, v91 :: v_dual_mov_b32 v91, v92
	s_delay_alu instid0(VALU_DEP_2) | instskip(SKIP_1) | instid1(VALU_DEP_3)
	v_pk_fma_f32 v[94:95], v[92:93], v[56:57], v[94:95] op_sel_hi:[1,1,0] neg_lo:[0,0,1] neg_hi:[0,0,1]
	v_mul_f32_e32 v92, v93, v82
	v_pk_add_f32 v[50:51], v[50:51], v[96:97] neg_lo:[0,1] neg_hi:[0,1]
	s_delay_alu instid0(VALU_DEP_2) | instskip(NEXT) | instid1(VALU_DEP_1)
	v_pk_fma_f32 v[90:91], v[90:91], v[56:57], v[92:93] op_sel_hi:[1,1,0]
	v_mov_b32_e32 v95, v91
	ds_load_2addr_b64 v[90:93], v84 offset0:26 offset1:27
	v_pk_add_f32 v[46:47], v[46:47], v[94:95] neg_lo:[0,1] neg_hi:[0,1]
	s_wait_dscnt 0x0
	v_pk_mul_f32 v[94:95], v[90:91], v[80:81] op_sel:[0,1]
	s_delay_alu instid0(VALU_DEP_1) | instskip(SKIP_1) | instid1(VALU_DEP_1)
	v_pk_fma_f32 v[96:97], v[90:91], v[82:83], v[94:95] op_sel:[0,0,1] op_sel_hi:[1,1,0] neg_lo:[0,0,1] neg_hi:[0,0,1]
	v_pk_fma_f32 v[90:91], v[90:91], v[82:83], v[94:95] op_sel:[0,0,1] op_sel_hi:[1,0,0]
	v_mov_b32_e32 v97, v91
	v_pk_mul_f32 v[90:91], v[92:93], v[80:81] op_sel:[0,1]
	s_delay_alu instid0(VALU_DEP_1) | instskip(SKIP_1) | instid1(VALU_DEP_1)
	v_pk_fma_f32 v[94:95], v[92:93], v[82:83], v[90:91] op_sel:[0,0,1] op_sel_hi:[1,1,0] neg_lo:[0,0,1] neg_hi:[0,0,1]
	v_pk_fma_f32 v[90:91], v[92:93], v[82:83], v[90:91] op_sel:[0,0,1] op_sel_hi:[1,0,0]
	v_mov_b32_e32 v95, v91
	ds_load_2addr_b64 v[90:93], v84 offset0:28 offset1:29
	v_pk_add_f32 v[48:49], v[48:49], v[96:97] neg_lo:[0,1] neg_hi:[0,1]
	v_pk_add_f32 v[44:45], v[44:45], v[94:95] neg_lo:[0,1] neg_hi:[0,1]
	s_wait_dscnt 0x0
	v_pk_mul_f32 v[94:95], v[90:91], v[80:81] op_sel:[0,1]
	s_delay_alu instid0(VALU_DEP_1) | instskip(SKIP_1) | instid1(VALU_DEP_1)
	v_pk_fma_f32 v[96:97], v[90:91], v[82:83], v[94:95] op_sel:[0,0,1] op_sel_hi:[1,1,0] neg_lo:[0,0,1] neg_hi:[0,0,1]
	v_pk_fma_f32 v[90:91], v[90:91], v[82:83], v[94:95] op_sel:[0,0,1] op_sel_hi:[1,0,0]
	v_mov_b32_e32 v97, v91
	v_pk_mul_f32 v[90:91], v[92:93], v[80:81] op_sel:[0,1]
	s_delay_alu instid0(VALU_DEP_1) | instskip(SKIP_1) | instid1(VALU_DEP_1)
	v_pk_fma_f32 v[94:95], v[92:93], v[82:83], v[90:91] op_sel:[0,0,1] op_sel_hi:[1,1,0] neg_lo:[0,0,1] neg_hi:[0,0,1]
	v_pk_fma_f32 v[90:91], v[92:93], v[82:83], v[90:91] op_sel:[0,0,1] op_sel_hi:[1,0,0]
	v_mov_b32_e32 v95, v91
	ds_load_2addr_b64 v[90:93], v84 offset0:30 offset1:31
	v_pk_add_f32 v[14:15], v[14:15], v[96:97] neg_lo:[0,1] neg_hi:[0,1]
	v_pk_add_f32 v[10:11], v[10:11], v[94:95] neg_lo:[0,1] neg_hi:[0,1]
	s_wait_dscnt 0x0
	v_dual_mul_f32 v94, v91, v81 :: v_dual_mul_f32 v96, v91, v82
	s_delay_alu instid0(VALU_DEP_1) | instskip(NEXT) | instid1(VALU_DEP_2)
	v_pk_fma_f32 v[94:95], v[90:91], v[56:57], v[94:95] op_sel_hi:[1,1,0] neg_lo:[0,0,1] neg_hi:[0,0,1]
	v_pk_fma_f32 v[90:91], v[90:91], v[56:57], v[96:97] op_sel:[1,0,0] op_sel_hi:[0,1,0]
	s_delay_alu instid0(VALU_DEP_1) | instskip(SKIP_1) | instid1(VALU_DEP_2)
	v_mov_b32_e32 v95, v91
	v_pk_mul_f32 v[90:91], v[92:93], v[80:81] op_sel:[0,1]
	v_pk_add_f32 v[12:13], v[12:13], v[94:95] neg_lo:[0,1] neg_hi:[0,1]
	s_delay_alu instid0(VALU_DEP_2) | instskip(SKIP_1) | instid1(VALU_DEP_1)
	v_pk_fma_f32 v[94:95], v[92:93], v[82:83], v[90:91] op_sel:[0,0,1] op_sel_hi:[1,1,0] neg_lo:[0,0,1] neg_hi:[0,0,1]
	v_pk_fma_f32 v[90:91], v[92:93], v[82:83], v[90:91] op_sel:[0,0,1] op_sel_hi:[1,0,0]
	v_mov_b32_e32 v95, v91
	ds_load_2addr_b64 v[90:93], v84 offset0:32 offset1:33
	v_pk_add_f32 v[8:9], v[8:9], v[94:95] neg_lo:[0,1] neg_hi:[0,1]
	s_wait_dscnt 0x0
	v_pk_mul_f32 v[94:95], v[90:91], v[80:81] op_sel:[0,1]
	s_delay_alu instid0(VALU_DEP_1) | instskip(SKIP_1) | instid1(VALU_DEP_1)
	v_pk_fma_f32 v[96:97], v[90:91], v[82:83], v[94:95] op_sel:[0,0,1] op_sel_hi:[1,1,0] neg_lo:[0,0,1] neg_hi:[0,0,1]
	v_pk_fma_f32 v[90:91], v[90:91], v[82:83], v[94:95] op_sel:[0,0,1] op_sel_hi:[1,0,0]
	v_mov_b32_e32 v97, v91
	v_pk_mul_f32 v[90:91], v[92:93], v[80:81] op_sel:[0,1]
	s_delay_alu instid0(VALU_DEP_2) | instskip(NEXT) | instid1(VALU_DEP_2)
	v_pk_add_f32 v[6:7], v[6:7], v[96:97] neg_lo:[0,1] neg_hi:[0,1]
	v_pk_fma_f32 v[94:95], v[92:93], v[82:83], v[90:91] op_sel:[0,0,1] op_sel_hi:[1,1,0] neg_lo:[0,0,1] neg_hi:[0,0,1]
	v_pk_fma_f32 v[90:91], v[92:93], v[82:83], v[90:91] op_sel:[0,0,1] op_sel_hi:[1,0,0]
	s_delay_alu instid0(VALU_DEP_1) | instskip(SKIP_4) | instid1(VALU_DEP_1)
	v_mov_b32_e32 v95, v91
	ds_load_2addr_b64 v[90:93], v84 offset0:34 offset1:35
	v_pk_add_f32 v[52:53], v[52:53], v[94:95] neg_lo:[0,1] neg_hi:[0,1]
	s_wait_dscnt 0x0
	v_pk_mul_f32 v[94:95], v[90:91], v[80:81] op_sel:[0,1]
	v_pk_fma_f32 v[96:97], v[90:91], v[82:83], v[94:95] op_sel:[0,0,1] op_sel_hi:[1,1,0] neg_lo:[0,0,1] neg_hi:[0,0,1]
	v_pk_fma_f32 v[90:91], v[90:91], v[82:83], v[94:95] op_sel:[0,0,1] op_sel_hi:[1,0,0]
	v_dual_mul_f32 v94, v93, v81 :: v_dual_mov_b32 v90, v93
	s_delay_alu instid0(VALU_DEP_2) | instskip(NEXT) | instid1(VALU_DEP_2)
	v_dual_mov_b32 v97, v91 :: v_dual_mov_b32 v91, v92
	v_pk_fma_f32 v[94:95], v[92:93], v[56:57], v[94:95] op_sel_hi:[1,1,0] neg_lo:[0,0,1] neg_hi:[0,0,1]
	v_mul_f32_e32 v92, v93, v82
	s_delay_alu instid0(VALU_DEP_3) | instskip(NEXT) | instid1(VALU_DEP_2)
	v_pk_add_f32 v[34:35], v[34:35], v[96:97] neg_lo:[0,1] neg_hi:[0,1]
	v_pk_fma_f32 v[90:91], v[90:91], v[56:57], v[92:93] op_sel_hi:[1,1,0]
	s_delay_alu instid0(VALU_DEP_1) | instskip(SKIP_4) | instid1(VALU_DEP_1)
	v_mov_b32_e32 v95, v91
	ds_load_b64 v[90:91], v84 offset:288
	v_pk_add_f32 v[16:17], v[16:17], v[94:95] neg_lo:[0,1] neg_hi:[0,1]
	s_wait_dscnt 0x0
	v_pk_mul_f32 v[80:81], v[90:91], v[80:81] op_sel:[0,1]
	v_pk_fma_f32 v[92:93], v[90:91], v[82:83], v[80:81] op_sel:[0,0,1] op_sel_hi:[1,1,0] neg_lo:[0,0,1] neg_hi:[0,0,1]
	v_pk_fma_f32 v[80:81], v[90:91], v[82:83], v[80:81] op_sel:[0,0,1] op_sel_hi:[1,0,0]
	s_delay_alu instid0(VALU_DEP_1) | instskip(NEXT) | instid1(VALU_DEP_1)
	v_mov_b32_e32 v93, v81
	v_pk_add_f32 v[78:79], v[78:79], v[92:93] neg_lo:[0,1] neg_hi:[0,1]
.LBB72_461:
	s_or_b32 exec_lo, exec_lo, s0
	v_lshl_add_u32 v80, v88, 3, v84
	s_barrier_signal -1
	s_barrier_wait -1
	ds_store_b64 v80, v[58:59]
	s_wait_dscnt 0x0
	s_barrier_signal -1
	s_barrier_wait -1
	ds_load_b64 v[80:81], v84 offset:176
	v_mov_b32_e32 v82, 22
	s_cmp_lt_i32 s18, 24
	s_cbranch_scc1 .LBB72_464
; %bb.462:
	v_add3_u32 v83, v85, 0, 0xb8
	v_mov_b32_e32 v82, 22
	s_mov_b32 s0, 23
.LBB72_463:                             ; =>This Inner Loop Header: Depth=1
	ds_load_b64 v[90:91], v83
	s_wait_dscnt 0x1
	v_cmp_gt_f32_e32 vcc_lo, 0, v80
	v_cndmask_b32_e64 v92, v80, -v80, vcc_lo
	v_cmp_gt_f32_e32 vcc_lo, 0, v81
	v_cndmask_b32_e64 v94, v81, -v81, vcc_lo
	s_wait_dscnt 0x0
	v_cmp_gt_f32_e32 vcc_lo, 0, v90
	v_cndmask_b32_e64 v93, v90, -v90, vcc_lo
	v_cmp_gt_f32_e32 vcc_lo, 0, v91
	v_cndmask_b32_e64 v95, v91, -v91, vcc_lo
	s_delay_alu instid0(VALU_DEP_1) | instskip(NEXT) | instid1(VALU_DEP_1)
	v_pk_add_f32 v[92:93], v[92:93], v[94:95]
	v_cmp_lt_f32_e32 vcc_lo, v92, v93
	v_dual_cndmask_b32 v80, v80, v90 :: v_dual_add_nc_u32 v83, 8, v83
	v_cndmask_b32_e32 v81, v81, v91, vcc_lo
	v_cndmask_b32_e64 v82, v82, s0, vcc_lo
	s_add_co_i32 s0, s0, 1
	s_delay_alu instid0(SALU_CYCLE_1)
	s_cmp_lg_u32 s18, s0
	s_cbranch_scc1 .LBB72_463
.LBB72_464:
	s_wait_dscnt 0x0
	v_cmp_eq_f32_e32 vcc_lo, 0, v80
	v_cmp_eq_f32_e64 s0, 0, v81
	s_and_b32 s0, vcc_lo, s0
	s_delay_alu instid0(SALU_CYCLE_1) | instskip(NEXT) | instid1(SALU_CYCLE_1)
	s_and_saveexec_b32 s1, s0
	s_xor_b32 s0, exec_lo, s1
; %bb.465:
	v_cmp_ne_u32_e32 vcc_lo, 0, v86
	v_cndmask_b32_e32 v86, 23, v86, vcc_lo
; %bb.466:
	s_and_not1_saveexec_b32 s0, s0
	s_cbranch_execz .LBB72_472
; %bb.467:
	v_cmp_ngt_f32_e64 s1, |v80|, |v81|
	s_and_saveexec_b32 s12, s1
	s_delay_alu instid0(SALU_CYCLE_1)
	s_xor_b32 s1, exec_lo, s12
	s_cbranch_execz .LBB72_469
; %bb.468:
	v_div_scale_f32 v83, null, v81, v81, v80
	v_div_scale_f32 v91, vcc_lo, v80, v81, v80
	s_delay_alu instid0(VALU_DEP_2) | instskip(SKIP_1) | instid1(TRANS32_DEP_1)
	v_rcp_f32_e32 v89, v83
	v_nop
	v_fma_f32 v90, -v83, v89, 1.0
	s_delay_alu instid0(VALU_DEP_1) | instskip(NEXT) | instid1(VALU_DEP_1)
	v_fmac_f32_e32 v89, v90, v89
	v_mul_f32_e32 v90, v91, v89
	s_delay_alu instid0(VALU_DEP_1) | instskip(NEXT) | instid1(VALU_DEP_1)
	v_fma_f32 v92, -v83, v90, v91
	v_fmac_f32_e32 v90, v92, v89
	s_delay_alu instid0(VALU_DEP_1) | instskip(NEXT) | instid1(VALU_DEP_1)
	v_fma_f32 v83, -v83, v90, v91
	v_div_fmas_f32 v83, v83, v89, v90
	s_delay_alu instid0(VALU_DEP_1) | instskip(NEXT) | instid1(VALU_DEP_1)
	v_div_fixup_f32 v83, v83, v81, v80
	v_fmac_f32_e32 v81, v80, v83
	s_delay_alu instid0(VALU_DEP_1) | instskip(SKIP_1) | instid1(VALU_DEP_2)
	v_div_scale_f32 v80, null, v81, v81, 1.0
	v_div_scale_f32 v91, vcc_lo, 1.0, v81, 1.0
	v_rcp_f32_e32 v89, v80
	v_nop
	s_delay_alu instid0(TRANS32_DEP_1) | instskip(NEXT) | instid1(VALU_DEP_1)
	v_fma_f32 v90, -v80, v89, 1.0
	v_fmac_f32_e32 v89, v90, v89
	s_delay_alu instid0(VALU_DEP_1) | instskip(NEXT) | instid1(VALU_DEP_1)
	v_mul_f32_e32 v90, v91, v89
	v_fma_f32 v92, -v80, v90, v91
	s_delay_alu instid0(VALU_DEP_1) | instskip(NEXT) | instid1(VALU_DEP_1)
	v_fmac_f32_e32 v90, v92, v89
	v_fma_f32 v80, -v80, v90, v91
	s_delay_alu instid0(VALU_DEP_1) | instskip(NEXT) | instid1(VALU_DEP_1)
	v_div_fmas_f32 v80, v80, v89, v90
	v_div_fixup_f32 v81, v80, v81, 1.0
	s_delay_alu instid0(VALU_DEP_1)
	v_mul_f32_e32 v80, v83, v81
	v_xor_b32_e32 v81, 0x80000000, v81
.LBB72_469:
	s_and_not1_saveexec_b32 s1, s1
	s_cbranch_execz .LBB72_471
; %bb.470:
	s_delay_alu instid0(VALU_DEP_1) | instskip(SKIP_1) | instid1(VALU_DEP_2)
	v_div_scale_f32 v83, null, v80, v80, v81
	v_div_scale_f32 v91, vcc_lo, v81, v80, v81
	v_rcp_f32_e32 v89, v83
	v_nop
	s_delay_alu instid0(TRANS32_DEP_1) | instskip(NEXT) | instid1(VALU_DEP_1)
	v_fma_f32 v90, -v83, v89, 1.0
	v_fmac_f32_e32 v89, v90, v89
	s_delay_alu instid0(VALU_DEP_1) | instskip(NEXT) | instid1(VALU_DEP_1)
	v_mul_f32_e32 v90, v91, v89
	v_fma_f32 v92, -v83, v90, v91
	s_delay_alu instid0(VALU_DEP_1) | instskip(NEXT) | instid1(VALU_DEP_1)
	v_fmac_f32_e32 v90, v92, v89
	v_fma_f32 v83, -v83, v90, v91
	s_delay_alu instid0(VALU_DEP_1) | instskip(NEXT) | instid1(VALU_DEP_1)
	v_div_fmas_f32 v83, v83, v89, v90
	v_div_fixup_f32 v83, v83, v80, v81
	s_delay_alu instid0(VALU_DEP_1) | instskip(NEXT) | instid1(VALU_DEP_1)
	v_fmac_f32_e32 v80, v81, v83
	v_div_scale_f32 v81, null, v80, v80, 1.0
	s_delay_alu instid0(VALU_DEP_1) | instskip(SKIP_1) | instid1(TRANS32_DEP_1)
	v_rcp_f32_e32 v89, v81
	v_nop
	v_fma_f32 v90, -v81, v89, 1.0
	s_delay_alu instid0(VALU_DEP_1) | instskip(SKIP_1) | instid1(VALU_DEP_1)
	v_fmac_f32_e32 v89, v90, v89
	v_div_scale_f32 v90, vcc_lo, 1.0, v80, 1.0
	v_mul_f32_e32 v91, v90, v89
	s_delay_alu instid0(VALU_DEP_1) | instskip(NEXT) | instid1(VALU_DEP_1)
	v_fma_f32 v92, -v81, v91, v90
	v_fmac_f32_e32 v91, v92, v89
	s_delay_alu instid0(VALU_DEP_1) | instskip(NEXT) | instid1(VALU_DEP_1)
	v_fma_f32 v81, -v81, v91, v90
	v_div_fmas_f32 v81, v81, v89, v91
	s_delay_alu instid0(VALU_DEP_1) | instskip(NEXT) | instid1(VALU_DEP_1)
	v_div_fixup_f32 v80, v81, v80, 1.0
	v_mul_f32_e64 v81, v83, -v80
.LBB72_471:
	s_or_b32 exec_lo, exec_lo, s1
.LBB72_472:
	s_delay_alu instid0(SALU_CYCLE_1) | instskip(NEXT) | instid1(SALU_CYCLE_1)
	s_or_b32 exec_lo, exec_lo, s0
	s_mov_b32 s0, exec_lo
	v_cmpx_ne_u32_e64 v88, v82
	s_xor_b32 s0, exec_lo, s0
	s_cbranch_execz .LBB72_478
; %bb.473:
	s_mov_b32 s1, exec_lo
	v_cmpx_eq_u32_e32 22, v88
	s_cbranch_execz .LBB72_477
; %bb.474:
	v_cmp_ne_u32_e32 vcc_lo, 22, v82
	s_xor_b32 s12, s16, -1
	s_delay_alu instid0(SALU_CYCLE_1) | instskip(NEXT) | instid1(SALU_CYCLE_1)
	s_and_b32 s13, s12, vcc_lo
	s_and_saveexec_b32 s12, s13
	s_cbranch_execz .LBB72_476
; %bb.475:
	v_ashrrev_i32_e32 v83, 31, v82
	s_delay_alu instid0(VALU_DEP_1)
	v_lshl_add_u64 v[88:89], v[82:83], 2, v[4:5]
	s_clause 0x1
	global_load_b32 v83, v[88:89], off
	global_load_b32 v87, v[4:5], off offset:88
	s_wait_loadcnt 0x1
	global_store_b32 v[4:5], v83, off offset:88
	s_wait_loadcnt 0x0
	global_store_b32 v[88:89], v87, off
.LBB72_476:
	s_wait_xcnt 0x0
	s_or_b32 exec_lo, exec_lo, s12
	v_dual_mov_b32 v88, v82 :: v_dual_mov_b32 v87, v82
.LBB72_477:
	s_or_b32 exec_lo, exec_lo, s1
.LBB72_478:
	s_and_not1_saveexec_b32 s0, s0
	s_cbranch_execz .LBB72_480
; %bb.479:
	v_mov_b32_e32 v88, 22
	ds_store_2addr_b64 v84, v[54:55], v[50:51] offset0:23 offset1:24
	ds_store_2addr_b64 v84, v[46:47], v[48:49] offset0:25 offset1:26
	;; [unrolled: 1-line block ×7, first 2 shown]
.LBB72_480:
	s_or_b32 exec_lo, exec_lo, s0
	s_delay_alu instid0(SALU_CYCLE_1)
	s_mov_b32 s0, exec_lo
	s_wait_storecnt_dscnt 0x0
	s_barrier_signal -1
	s_barrier_wait -1
	v_cmpx_lt_i32_e32 22, v88
	s_cbranch_execz .LBB72_482
; %bb.481:
	v_pk_mul_f32 v[82:83], v[80:81], v[58:59] op_sel:[1,1] op_sel_hi:[0,1]
	s_delay_alu instid0(VALU_DEP_1)
	v_pk_fma_f32 v[90:91], v[80:81], v[58:59], v[82:83] op_sel_hi:[1,0,1] neg_lo:[0,0,1] neg_hi:[0,0,1]
	v_pk_fma_f32 v[92:93], v[80:81], v[58:59], v[82:83] op_sel_hi:[1,0,1]
	ds_load_2addr_b64 v[80:83], v84 offset0:23 offset1:24
	v_dual_mov_b32 v58, v90 :: v_dual_mov_b32 v59, v93
	s_wait_dscnt 0x0
	v_pk_mul_f32 v[94:95], v[80:81], v[92:93] op_sel:[0,1]
	s_delay_alu instid0(VALU_DEP_1) | instskip(SKIP_1) | instid1(VALU_DEP_1)
	v_pk_fma_f32 v[96:97], v[80:81], v[90:91], v[94:95] op_sel:[0,0,1] op_sel_hi:[1,1,0] neg_lo:[0,0,1] neg_hi:[0,0,1]
	v_pk_fma_f32 v[80:81], v[80:81], v[90:91], v[94:95] op_sel:[0,0,1] op_sel_hi:[1,0,0]
	v_mov_b32_e32 v97, v81
	v_pk_mul_f32 v[80:81], v[82:83], v[92:93] op_sel:[0,1]
	s_delay_alu instid0(VALU_DEP_1) | instskip(SKIP_1) | instid1(VALU_DEP_1)
	v_pk_fma_f32 v[94:95], v[82:83], v[90:91], v[80:81] op_sel:[0,0,1] op_sel_hi:[1,1,0] neg_lo:[0,0,1] neg_hi:[0,0,1]
	v_pk_fma_f32 v[80:81], v[82:83], v[90:91], v[80:81] op_sel:[0,0,1] op_sel_hi:[1,0,0]
	v_mov_b32_e32 v95, v81
	ds_load_2addr_b64 v[80:83], v84 offset0:25 offset1:26
	v_pk_add_f32 v[54:55], v[54:55], v[96:97] neg_lo:[0,1] neg_hi:[0,1]
	v_pk_add_f32 v[50:51], v[50:51], v[94:95] neg_lo:[0,1] neg_hi:[0,1]
	s_wait_dscnt 0x0
	v_pk_mul_f32 v[94:95], v[80:81], v[92:93] op_sel:[0,1]
	s_delay_alu instid0(VALU_DEP_1) | instskip(SKIP_2) | instid1(VALU_DEP_2)
	v_pk_fma_f32 v[96:97], v[80:81], v[90:91], v[94:95] op_sel:[0,0,1] op_sel_hi:[1,1,0] neg_lo:[0,0,1] neg_hi:[0,0,1]
	v_pk_fma_f32 v[80:81], v[80:81], v[90:91], v[94:95] op_sel:[0,0,1] op_sel_hi:[1,0,0]
	v_dual_mul_f32 v94, v83, v93 :: v_dual_mov_b32 v80, v83
	v_dual_mov_b32 v97, v81 :: v_dual_mov_b32 v81, v82
	s_delay_alu instid0(VALU_DEP_2) | instskip(SKIP_1) | instid1(VALU_DEP_3)
	v_pk_fma_f32 v[94:95], v[82:83], v[58:59], v[94:95] op_sel_hi:[1,1,0] neg_lo:[0,0,1] neg_hi:[0,0,1]
	v_mul_f32_e32 v82, v83, v90
	v_pk_add_f32 v[46:47], v[46:47], v[96:97] neg_lo:[0,1] neg_hi:[0,1]
	s_delay_alu instid0(VALU_DEP_2) | instskip(NEXT) | instid1(VALU_DEP_1)
	v_pk_fma_f32 v[80:81], v[80:81], v[58:59], v[82:83] op_sel_hi:[1,1,0]
	v_mov_b32_e32 v95, v81
	ds_load_2addr_b64 v[80:83], v84 offset0:27 offset1:28
	v_pk_add_f32 v[48:49], v[48:49], v[94:95] neg_lo:[0,1] neg_hi:[0,1]
	s_wait_dscnt 0x0
	v_pk_mul_f32 v[94:95], v[80:81], v[92:93] op_sel:[0,1]
	s_delay_alu instid0(VALU_DEP_1) | instskip(SKIP_1) | instid1(VALU_DEP_1)
	v_pk_fma_f32 v[96:97], v[80:81], v[90:91], v[94:95] op_sel:[0,0,1] op_sel_hi:[1,1,0] neg_lo:[0,0,1] neg_hi:[0,0,1]
	v_pk_fma_f32 v[80:81], v[80:81], v[90:91], v[94:95] op_sel:[0,0,1] op_sel_hi:[1,0,0]
	v_mov_b32_e32 v97, v81
	v_pk_mul_f32 v[80:81], v[82:83], v[92:93] op_sel:[0,1]
	s_delay_alu instid0(VALU_DEP_1) | instskip(SKIP_1) | instid1(VALU_DEP_1)
	v_pk_fma_f32 v[94:95], v[82:83], v[90:91], v[80:81] op_sel:[0,0,1] op_sel_hi:[1,1,0] neg_lo:[0,0,1] neg_hi:[0,0,1]
	v_pk_fma_f32 v[80:81], v[82:83], v[90:91], v[80:81] op_sel:[0,0,1] op_sel_hi:[1,0,0]
	v_mov_b32_e32 v95, v81
	ds_load_2addr_b64 v[80:83], v84 offset0:29 offset1:30
	v_pk_add_f32 v[44:45], v[44:45], v[96:97] neg_lo:[0,1] neg_hi:[0,1]
	v_pk_add_f32 v[14:15], v[14:15], v[94:95] neg_lo:[0,1] neg_hi:[0,1]
	s_wait_dscnt 0x0
	v_pk_mul_f32 v[94:95], v[80:81], v[92:93] op_sel:[0,1]
	s_delay_alu instid0(VALU_DEP_1) | instskip(SKIP_1) | instid1(VALU_DEP_1)
	v_pk_fma_f32 v[96:97], v[80:81], v[90:91], v[94:95] op_sel:[0,0,1] op_sel_hi:[1,1,0] neg_lo:[0,0,1] neg_hi:[0,0,1]
	v_pk_fma_f32 v[80:81], v[80:81], v[90:91], v[94:95] op_sel:[0,0,1] op_sel_hi:[1,0,0]
	v_mov_b32_e32 v97, v81
	v_pk_mul_f32 v[80:81], v[82:83], v[92:93] op_sel:[0,1]
	s_delay_alu instid0(VALU_DEP_1) | instskip(SKIP_1) | instid1(VALU_DEP_1)
	v_pk_fma_f32 v[94:95], v[82:83], v[90:91], v[80:81] op_sel:[0,0,1] op_sel_hi:[1,1,0] neg_lo:[0,0,1] neg_hi:[0,0,1]
	v_pk_fma_f32 v[80:81], v[82:83], v[90:91], v[80:81] op_sel:[0,0,1] op_sel_hi:[1,0,0]
	v_mov_b32_e32 v95, v81
	ds_load_2addr_b64 v[80:83], v84 offset0:31 offset1:32
	v_pk_add_f32 v[10:11], v[10:11], v[96:97] neg_lo:[0,1] neg_hi:[0,1]
	v_pk_add_f32 v[12:13], v[12:13], v[94:95] neg_lo:[0,1] neg_hi:[0,1]
	s_wait_dscnt 0x0
	v_dual_mul_f32 v94, v81, v93 :: v_dual_mul_f32 v96, v81, v90
	s_delay_alu instid0(VALU_DEP_1) | instskip(NEXT) | instid1(VALU_DEP_2)
	v_pk_fma_f32 v[94:95], v[80:81], v[58:59], v[94:95] op_sel_hi:[1,1,0] neg_lo:[0,0,1] neg_hi:[0,0,1]
	v_pk_fma_f32 v[80:81], v[80:81], v[58:59], v[96:97] op_sel:[1,0,0] op_sel_hi:[0,1,0]
	s_delay_alu instid0(VALU_DEP_1) | instskip(SKIP_1) | instid1(VALU_DEP_2)
	v_mov_b32_e32 v95, v81
	v_pk_mul_f32 v[80:81], v[82:83], v[92:93] op_sel:[0,1]
	v_pk_add_f32 v[8:9], v[8:9], v[94:95] neg_lo:[0,1] neg_hi:[0,1]
	s_delay_alu instid0(VALU_DEP_2) | instskip(SKIP_1) | instid1(VALU_DEP_1)
	v_pk_fma_f32 v[94:95], v[82:83], v[90:91], v[80:81] op_sel:[0,0,1] op_sel_hi:[1,1,0] neg_lo:[0,0,1] neg_hi:[0,0,1]
	v_pk_fma_f32 v[80:81], v[82:83], v[90:91], v[80:81] op_sel:[0,0,1] op_sel_hi:[1,0,0]
	v_mov_b32_e32 v95, v81
	ds_load_2addr_b64 v[80:83], v84 offset0:33 offset1:34
	v_pk_add_f32 v[6:7], v[6:7], v[94:95] neg_lo:[0,1] neg_hi:[0,1]
	s_wait_dscnt 0x0
	v_pk_mul_f32 v[94:95], v[80:81], v[92:93] op_sel:[0,1]
	s_delay_alu instid0(VALU_DEP_1) | instskip(SKIP_1) | instid1(VALU_DEP_1)
	v_pk_fma_f32 v[96:97], v[80:81], v[90:91], v[94:95] op_sel:[0,0,1] op_sel_hi:[1,1,0] neg_lo:[0,0,1] neg_hi:[0,0,1]
	v_pk_fma_f32 v[80:81], v[80:81], v[90:91], v[94:95] op_sel:[0,0,1] op_sel_hi:[1,0,0]
	v_mov_b32_e32 v97, v81
	v_pk_mul_f32 v[80:81], v[82:83], v[92:93] op_sel:[0,1]
	s_delay_alu instid0(VALU_DEP_2) | instskip(NEXT) | instid1(VALU_DEP_2)
	v_pk_add_f32 v[52:53], v[52:53], v[96:97] neg_lo:[0,1] neg_hi:[0,1]
	v_pk_fma_f32 v[94:95], v[82:83], v[90:91], v[80:81] op_sel:[0,0,1] op_sel_hi:[1,1,0] neg_lo:[0,0,1] neg_hi:[0,0,1]
	v_pk_fma_f32 v[80:81], v[82:83], v[90:91], v[80:81] op_sel:[0,0,1] op_sel_hi:[1,0,0]
	s_delay_alu instid0(VALU_DEP_1) | instskip(SKIP_4) | instid1(VALU_DEP_1)
	v_mov_b32_e32 v95, v81
	ds_load_2addr_b64 v[80:83], v84 offset0:35 offset1:36
	v_pk_add_f32 v[34:35], v[34:35], v[94:95] neg_lo:[0,1] neg_hi:[0,1]
	s_wait_dscnt 0x0
	v_pk_mul_f32 v[94:95], v[80:81], v[92:93] op_sel:[0,1]
	v_pk_fma_f32 v[96:97], v[80:81], v[90:91], v[94:95] op_sel:[0,0,1] op_sel_hi:[1,1,0] neg_lo:[0,0,1] neg_hi:[0,0,1]
	v_pk_fma_f32 v[80:81], v[80:81], v[90:91], v[94:95] op_sel:[0,0,1] op_sel_hi:[1,0,0]
	s_delay_alu instid0(VALU_DEP_1) | instskip(SKIP_1) | instid1(VALU_DEP_2)
	v_mov_b32_e32 v97, v81
	v_pk_mul_f32 v[80:81], v[82:83], v[92:93] op_sel:[0,1]
	v_pk_add_f32 v[16:17], v[16:17], v[96:97] neg_lo:[0,1] neg_hi:[0,1]
	s_delay_alu instid0(VALU_DEP_2) | instskip(SKIP_1) | instid1(VALU_DEP_1)
	v_pk_fma_f32 v[92:93], v[82:83], v[90:91], v[80:81] op_sel:[0,0,1] op_sel_hi:[1,1,0] neg_lo:[0,0,1] neg_hi:[0,0,1]
	v_pk_fma_f32 v[80:81], v[82:83], v[90:91], v[80:81] op_sel:[0,0,1] op_sel_hi:[1,0,0]
	v_mov_b32_e32 v93, v81
	s_delay_alu instid0(VALU_DEP_1)
	v_pk_add_f32 v[78:79], v[78:79], v[92:93] neg_lo:[0,1] neg_hi:[0,1]
.LBB72_482:
	s_or_b32 exec_lo, exec_lo, s0
	v_lshl_add_u32 v80, v88, 3, v84
	s_barrier_signal -1
	s_barrier_wait -1
	ds_store_b64 v80, v[54:55]
	s_wait_dscnt 0x0
	s_barrier_signal -1
	s_barrier_wait -1
	ds_load_b64 v[80:81], v84 offset:184
	v_mov_b32_e32 v82, 23
	s_cmp_lt_i32 s18, 25
	s_cbranch_scc1 .LBB72_485
; %bb.483:
	v_add3_u32 v83, v85, 0, 0xc0
	v_mov_b32_e32 v82, 23
	s_mov_b32 s0, 24
.LBB72_484:                             ; =>This Inner Loop Header: Depth=1
	ds_load_b64 v[90:91], v83
	s_wait_dscnt 0x1
	v_cmp_gt_f32_e32 vcc_lo, 0, v80
	v_cndmask_b32_e64 v92, v80, -v80, vcc_lo
	v_cmp_gt_f32_e32 vcc_lo, 0, v81
	v_cndmask_b32_e64 v94, v81, -v81, vcc_lo
	s_wait_dscnt 0x0
	v_cmp_gt_f32_e32 vcc_lo, 0, v90
	v_cndmask_b32_e64 v93, v90, -v90, vcc_lo
	v_cmp_gt_f32_e32 vcc_lo, 0, v91
	v_cndmask_b32_e64 v95, v91, -v91, vcc_lo
	s_delay_alu instid0(VALU_DEP_1) | instskip(NEXT) | instid1(VALU_DEP_1)
	v_pk_add_f32 v[92:93], v[92:93], v[94:95]
	v_cmp_lt_f32_e32 vcc_lo, v92, v93
	v_dual_cndmask_b32 v80, v80, v90 :: v_dual_add_nc_u32 v83, 8, v83
	v_cndmask_b32_e32 v81, v81, v91, vcc_lo
	v_cndmask_b32_e64 v82, v82, s0, vcc_lo
	s_add_co_i32 s0, s0, 1
	s_delay_alu instid0(SALU_CYCLE_1)
	s_cmp_lg_u32 s18, s0
	s_cbranch_scc1 .LBB72_484
.LBB72_485:
	s_wait_dscnt 0x0
	v_cmp_eq_f32_e32 vcc_lo, 0, v80
	v_cmp_eq_f32_e64 s0, 0, v81
	s_and_b32 s0, vcc_lo, s0
	s_delay_alu instid0(SALU_CYCLE_1) | instskip(NEXT) | instid1(SALU_CYCLE_1)
	s_and_saveexec_b32 s1, s0
	s_xor_b32 s0, exec_lo, s1
; %bb.486:
	v_cmp_ne_u32_e32 vcc_lo, 0, v86
	v_cndmask_b32_e32 v86, 24, v86, vcc_lo
; %bb.487:
	s_and_not1_saveexec_b32 s0, s0
	s_cbranch_execz .LBB72_493
; %bb.488:
	v_cmp_ngt_f32_e64 s1, |v80|, |v81|
	s_and_saveexec_b32 s12, s1
	s_delay_alu instid0(SALU_CYCLE_1)
	s_xor_b32 s1, exec_lo, s12
	s_cbranch_execz .LBB72_490
; %bb.489:
	v_div_scale_f32 v83, null, v81, v81, v80
	v_div_scale_f32 v91, vcc_lo, v80, v81, v80
	s_delay_alu instid0(VALU_DEP_2) | instskip(SKIP_1) | instid1(TRANS32_DEP_1)
	v_rcp_f32_e32 v89, v83
	v_nop
	v_fma_f32 v90, -v83, v89, 1.0
	s_delay_alu instid0(VALU_DEP_1) | instskip(NEXT) | instid1(VALU_DEP_1)
	v_fmac_f32_e32 v89, v90, v89
	v_mul_f32_e32 v90, v91, v89
	s_delay_alu instid0(VALU_DEP_1) | instskip(NEXT) | instid1(VALU_DEP_1)
	v_fma_f32 v92, -v83, v90, v91
	v_fmac_f32_e32 v90, v92, v89
	s_delay_alu instid0(VALU_DEP_1) | instskip(NEXT) | instid1(VALU_DEP_1)
	v_fma_f32 v83, -v83, v90, v91
	v_div_fmas_f32 v83, v83, v89, v90
	s_delay_alu instid0(VALU_DEP_1) | instskip(NEXT) | instid1(VALU_DEP_1)
	v_div_fixup_f32 v83, v83, v81, v80
	v_fmac_f32_e32 v81, v80, v83
	s_delay_alu instid0(VALU_DEP_1) | instskip(SKIP_1) | instid1(VALU_DEP_2)
	v_div_scale_f32 v80, null, v81, v81, 1.0
	v_div_scale_f32 v91, vcc_lo, 1.0, v81, 1.0
	v_rcp_f32_e32 v89, v80
	v_nop
	s_delay_alu instid0(TRANS32_DEP_1) | instskip(NEXT) | instid1(VALU_DEP_1)
	v_fma_f32 v90, -v80, v89, 1.0
	v_fmac_f32_e32 v89, v90, v89
	s_delay_alu instid0(VALU_DEP_1) | instskip(NEXT) | instid1(VALU_DEP_1)
	v_mul_f32_e32 v90, v91, v89
	v_fma_f32 v92, -v80, v90, v91
	s_delay_alu instid0(VALU_DEP_1) | instskip(NEXT) | instid1(VALU_DEP_1)
	v_fmac_f32_e32 v90, v92, v89
	v_fma_f32 v80, -v80, v90, v91
	s_delay_alu instid0(VALU_DEP_1) | instskip(NEXT) | instid1(VALU_DEP_1)
	v_div_fmas_f32 v80, v80, v89, v90
	v_div_fixup_f32 v81, v80, v81, 1.0
	s_delay_alu instid0(VALU_DEP_1)
	v_mul_f32_e32 v80, v83, v81
	v_xor_b32_e32 v81, 0x80000000, v81
.LBB72_490:
	s_and_not1_saveexec_b32 s1, s1
	s_cbranch_execz .LBB72_492
; %bb.491:
	s_delay_alu instid0(VALU_DEP_1) | instskip(SKIP_1) | instid1(VALU_DEP_2)
	v_div_scale_f32 v83, null, v80, v80, v81
	v_div_scale_f32 v91, vcc_lo, v81, v80, v81
	v_rcp_f32_e32 v89, v83
	v_nop
	s_delay_alu instid0(TRANS32_DEP_1) | instskip(NEXT) | instid1(VALU_DEP_1)
	v_fma_f32 v90, -v83, v89, 1.0
	v_fmac_f32_e32 v89, v90, v89
	s_delay_alu instid0(VALU_DEP_1) | instskip(NEXT) | instid1(VALU_DEP_1)
	v_mul_f32_e32 v90, v91, v89
	v_fma_f32 v92, -v83, v90, v91
	s_delay_alu instid0(VALU_DEP_1) | instskip(NEXT) | instid1(VALU_DEP_1)
	v_fmac_f32_e32 v90, v92, v89
	v_fma_f32 v83, -v83, v90, v91
	s_delay_alu instid0(VALU_DEP_1) | instskip(NEXT) | instid1(VALU_DEP_1)
	v_div_fmas_f32 v83, v83, v89, v90
	v_div_fixup_f32 v83, v83, v80, v81
	s_delay_alu instid0(VALU_DEP_1) | instskip(NEXT) | instid1(VALU_DEP_1)
	v_fmac_f32_e32 v80, v81, v83
	v_div_scale_f32 v81, null, v80, v80, 1.0
	s_delay_alu instid0(VALU_DEP_1) | instskip(SKIP_1) | instid1(TRANS32_DEP_1)
	v_rcp_f32_e32 v89, v81
	v_nop
	v_fma_f32 v90, -v81, v89, 1.0
	s_delay_alu instid0(VALU_DEP_1) | instskip(SKIP_1) | instid1(VALU_DEP_1)
	v_fmac_f32_e32 v89, v90, v89
	v_div_scale_f32 v90, vcc_lo, 1.0, v80, 1.0
	v_mul_f32_e32 v91, v90, v89
	s_delay_alu instid0(VALU_DEP_1) | instskip(NEXT) | instid1(VALU_DEP_1)
	v_fma_f32 v92, -v81, v91, v90
	v_fmac_f32_e32 v91, v92, v89
	s_delay_alu instid0(VALU_DEP_1) | instskip(NEXT) | instid1(VALU_DEP_1)
	v_fma_f32 v81, -v81, v91, v90
	v_div_fmas_f32 v81, v81, v89, v91
	s_delay_alu instid0(VALU_DEP_1) | instskip(NEXT) | instid1(VALU_DEP_1)
	v_div_fixup_f32 v80, v81, v80, 1.0
	v_mul_f32_e64 v81, v83, -v80
.LBB72_492:
	s_or_b32 exec_lo, exec_lo, s1
.LBB72_493:
	s_delay_alu instid0(SALU_CYCLE_1) | instskip(NEXT) | instid1(SALU_CYCLE_1)
	s_or_b32 exec_lo, exec_lo, s0
	s_mov_b32 s0, exec_lo
	v_cmpx_ne_u32_e64 v88, v82
	s_xor_b32 s0, exec_lo, s0
	s_cbranch_execz .LBB72_499
; %bb.494:
	s_mov_b32 s1, exec_lo
	v_cmpx_eq_u32_e32 23, v88
	s_cbranch_execz .LBB72_498
; %bb.495:
	v_cmp_ne_u32_e32 vcc_lo, 23, v82
	s_xor_b32 s12, s16, -1
	s_delay_alu instid0(SALU_CYCLE_1) | instskip(NEXT) | instid1(SALU_CYCLE_1)
	s_and_b32 s13, s12, vcc_lo
	s_and_saveexec_b32 s12, s13
	s_cbranch_execz .LBB72_497
; %bb.496:
	v_ashrrev_i32_e32 v83, 31, v82
	s_delay_alu instid0(VALU_DEP_1)
	v_lshl_add_u64 v[88:89], v[82:83], 2, v[4:5]
	s_clause 0x1
	global_load_b32 v83, v[88:89], off
	global_load_b32 v87, v[4:5], off offset:92
	s_wait_loadcnt 0x1
	global_store_b32 v[4:5], v83, off offset:92
	s_wait_loadcnt 0x0
	global_store_b32 v[88:89], v87, off
.LBB72_497:
	s_wait_xcnt 0x0
	s_or_b32 exec_lo, exec_lo, s12
	v_dual_mov_b32 v88, v82 :: v_dual_mov_b32 v87, v82
.LBB72_498:
	s_or_b32 exec_lo, exec_lo, s1
.LBB72_499:
	s_and_not1_saveexec_b32 s0, s0
	s_cbranch_execz .LBB72_501
; %bb.500:
	v_dual_mov_b32 v82, v50 :: v_dual_mov_b32 v83, v51
	v_dual_mov_b32 v88, v46 :: v_dual_mov_b32 v89, v47
	;; [unrolled: 1-line block ×4, first 2 shown]
	ds_store_2addr_b64 v84, v[82:83], v[88:89] offset0:24 offset1:25
	ds_store_2addr_b64 v84, v[90:91], v[92:93] offset0:26 offset1:27
	v_dual_mov_b32 v82, v14 :: v_dual_mov_b32 v83, v15
	v_dual_mov_b32 v90, v10 :: v_dual_mov_b32 v91, v11
	;; [unrolled: 1-line block ×8, first 2 shown]
	v_mov_b32_e32 v103, v17
	ds_store_2addr_b64 v84, v[82:83], v[90:91] offset0:28 offset1:29
	ds_store_2addr_b64 v84, v[92:93], v[94:95] offset0:30 offset1:31
	;; [unrolled: 1-line block ×4, first 2 shown]
	ds_store_b64 v84, v[78:79] offset:288
.LBB72_501:
	s_or_b32 exec_lo, exec_lo, s0
	s_delay_alu instid0(SALU_CYCLE_1)
	s_mov_b32 s0, exec_lo
	s_wait_storecnt_dscnt 0x0
	s_barrier_signal -1
	s_barrier_wait -1
	v_cmpx_lt_i32_e32 23, v88
	s_cbranch_execz .LBB72_503
; %bb.502:
	v_pk_mul_f32 v[82:83], v[80:81], v[54:55] op_sel:[1,1] op_sel_hi:[0,1]
	s_delay_alu instid0(VALU_DEP_1)
	v_pk_fma_f32 v[90:91], v[80:81], v[54:55], v[82:83] op_sel_hi:[1,0,1] neg_lo:[0,0,1] neg_hi:[0,0,1]
	v_pk_fma_f32 v[92:93], v[80:81], v[54:55], v[82:83] op_sel_hi:[1,0,1]
	ds_load_2addr_b64 v[80:83], v84 offset0:24 offset1:25
	v_dual_mov_b32 v54, v90 :: v_dual_mov_b32 v55, v93
	s_wait_dscnt 0x0
	v_pk_mul_f32 v[94:95], v[80:81], v[92:93] op_sel:[0,1]
	s_delay_alu instid0(VALU_DEP_1) | instskip(SKIP_1) | instid1(VALU_DEP_1)
	v_pk_fma_f32 v[96:97], v[80:81], v[90:91], v[94:95] op_sel:[0,0,1] op_sel_hi:[1,1,0] neg_lo:[0,0,1] neg_hi:[0,0,1]
	v_pk_fma_f32 v[80:81], v[80:81], v[90:91], v[94:95] op_sel:[0,0,1] op_sel_hi:[1,0,0]
	v_mov_b32_e32 v97, v81
	v_pk_mul_f32 v[80:81], v[82:83], v[92:93] op_sel:[0,1]
	s_delay_alu instid0(VALU_DEP_1) | instskip(SKIP_1) | instid1(VALU_DEP_1)
	v_pk_fma_f32 v[94:95], v[82:83], v[90:91], v[80:81] op_sel:[0,0,1] op_sel_hi:[1,1,0] neg_lo:[0,0,1] neg_hi:[0,0,1]
	v_pk_fma_f32 v[80:81], v[82:83], v[90:91], v[80:81] op_sel:[0,0,1] op_sel_hi:[1,0,0]
	v_mov_b32_e32 v95, v81
	ds_load_2addr_b64 v[80:83], v84 offset0:26 offset1:27
	v_pk_add_f32 v[50:51], v[50:51], v[96:97] neg_lo:[0,1] neg_hi:[0,1]
	v_pk_add_f32 v[46:47], v[46:47], v[94:95] neg_lo:[0,1] neg_hi:[0,1]
	s_wait_dscnt 0x0
	v_pk_mul_f32 v[94:95], v[80:81], v[92:93] op_sel:[0,1]
	s_delay_alu instid0(VALU_DEP_1) | instskip(SKIP_2) | instid1(VALU_DEP_2)
	v_pk_fma_f32 v[96:97], v[80:81], v[90:91], v[94:95] op_sel:[0,0,1] op_sel_hi:[1,1,0] neg_lo:[0,0,1] neg_hi:[0,0,1]
	v_pk_fma_f32 v[80:81], v[80:81], v[90:91], v[94:95] op_sel:[0,0,1] op_sel_hi:[1,0,0]
	v_dual_mul_f32 v94, v83, v93 :: v_dual_mov_b32 v80, v83
	v_dual_mov_b32 v97, v81 :: v_dual_mov_b32 v81, v82
	s_delay_alu instid0(VALU_DEP_2) | instskip(SKIP_1) | instid1(VALU_DEP_3)
	v_pk_fma_f32 v[94:95], v[82:83], v[54:55], v[94:95] op_sel_hi:[1,1,0] neg_lo:[0,0,1] neg_hi:[0,0,1]
	v_mul_f32_e32 v82, v83, v90
	v_pk_add_f32 v[48:49], v[48:49], v[96:97] neg_lo:[0,1] neg_hi:[0,1]
	s_delay_alu instid0(VALU_DEP_2) | instskip(NEXT) | instid1(VALU_DEP_1)
	v_pk_fma_f32 v[80:81], v[80:81], v[54:55], v[82:83] op_sel_hi:[1,1,0]
	v_mov_b32_e32 v95, v81
	ds_load_2addr_b64 v[80:83], v84 offset0:28 offset1:29
	v_pk_add_f32 v[44:45], v[44:45], v[94:95] neg_lo:[0,1] neg_hi:[0,1]
	s_wait_dscnt 0x0
	v_pk_mul_f32 v[94:95], v[80:81], v[92:93] op_sel:[0,1]
	s_delay_alu instid0(VALU_DEP_1) | instskip(SKIP_1) | instid1(VALU_DEP_1)
	v_pk_fma_f32 v[96:97], v[80:81], v[90:91], v[94:95] op_sel:[0,0,1] op_sel_hi:[1,1,0] neg_lo:[0,0,1] neg_hi:[0,0,1]
	v_pk_fma_f32 v[80:81], v[80:81], v[90:91], v[94:95] op_sel:[0,0,1] op_sel_hi:[1,0,0]
	v_mov_b32_e32 v97, v81
	v_pk_mul_f32 v[80:81], v[82:83], v[92:93] op_sel:[0,1]
	s_delay_alu instid0(VALU_DEP_1) | instskip(SKIP_1) | instid1(VALU_DEP_1)
	v_pk_fma_f32 v[94:95], v[82:83], v[90:91], v[80:81] op_sel:[0,0,1] op_sel_hi:[1,1,0] neg_lo:[0,0,1] neg_hi:[0,0,1]
	v_pk_fma_f32 v[80:81], v[82:83], v[90:91], v[80:81] op_sel:[0,0,1] op_sel_hi:[1,0,0]
	v_mov_b32_e32 v95, v81
	ds_load_2addr_b64 v[80:83], v84 offset0:30 offset1:31
	v_pk_add_f32 v[14:15], v[14:15], v[96:97] neg_lo:[0,1] neg_hi:[0,1]
	v_pk_add_f32 v[10:11], v[10:11], v[94:95] neg_lo:[0,1] neg_hi:[0,1]
	s_wait_dscnt 0x0
	v_pk_mul_f32 v[94:95], v[80:81], v[92:93] op_sel:[0,1]
	s_delay_alu instid0(VALU_DEP_1) | instskip(SKIP_1) | instid1(VALU_DEP_1)
	v_pk_fma_f32 v[96:97], v[80:81], v[90:91], v[94:95] op_sel:[0,0,1] op_sel_hi:[1,1,0] neg_lo:[0,0,1] neg_hi:[0,0,1]
	v_pk_fma_f32 v[80:81], v[80:81], v[90:91], v[94:95] op_sel:[0,0,1] op_sel_hi:[1,0,0]
	v_mov_b32_e32 v97, v81
	v_pk_mul_f32 v[80:81], v[82:83], v[92:93] op_sel:[0,1]
	s_delay_alu instid0(VALU_DEP_1) | instskip(SKIP_1) | instid1(VALU_DEP_1)
	v_pk_fma_f32 v[94:95], v[82:83], v[90:91], v[80:81] op_sel:[0,0,1] op_sel_hi:[1,1,0] neg_lo:[0,0,1] neg_hi:[0,0,1]
	v_pk_fma_f32 v[80:81], v[82:83], v[90:91], v[80:81] op_sel:[0,0,1] op_sel_hi:[1,0,0]
	v_mov_b32_e32 v95, v81
	ds_load_2addr_b64 v[80:83], v84 offset0:32 offset1:33
	v_pk_add_f32 v[12:13], v[12:13], v[96:97] neg_lo:[0,1] neg_hi:[0,1]
	v_pk_add_f32 v[8:9], v[8:9], v[94:95] neg_lo:[0,1] neg_hi:[0,1]
	s_wait_dscnt 0x0
	v_dual_mul_f32 v94, v81, v93 :: v_dual_mul_f32 v96, v81, v90
	s_delay_alu instid0(VALU_DEP_1) | instskip(NEXT) | instid1(VALU_DEP_2)
	v_pk_fma_f32 v[94:95], v[80:81], v[54:55], v[94:95] op_sel_hi:[1,1,0] neg_lo:[0,0,1] neg_hi:[0,0,1]
	v_pk_fma_f32 v[80:81], v[80:81], v[54:55], v[96:97] op_sel:[1,0,0] op_sel_hi:[0,1,0]
	s_delay_alu instid0(VALU_DEP_1) | instskip(SKIP_1) | instid1(VALU_DEP_2)
	v_mov_b32_e32 v95, v81
	v_pk_mul_f32 v[80:81], v[82:83], v[92:93] op_sel:[0,1]
	v_pk_add_f32 v[6:7], v[6:7], v[94:95] neg_lo:[0,1] neg_hi:[0,1]
	s_delay_alu instid0(VALU_DEP_2) | instskip(SKIP_1) | instid1(VALU_DEP_1)
	v_pk_fma_f32 v[94:95], v[82:83], v[90:91], v[80:81] op_sel:[0,0,1] op_sel_hi:[1,1,0] neg_lo:[0,0,1] neg_hi:[0,0,1]
	v_pk_fma_f32 v[80:81], v[82:83], v[90:91], v[80:81] op_sel:[0,0,1] op_sel_hi:[1,0,0]
	v_mov_b32_e32 v95, v81
	ds_load_2addr_b64 v[80:83], v84 offset0:34 offset1:35
	v_pk_add_f32 v[52:53], v[52:53], v[94:95] neg_lo:[0,1] neg_hi:[0,1]
	s_wait_dscnt 0x0
	v_pk_mul_f32 v[94:95], v[80:81], v[92:93] op_sel:[0,1]
	s_delay_alu instid0(VALU_DEP_1) | instskip(SKIP_1) | instid1(VALU_DEP_1)
	v_pk_fma_f32 v[96:97], v[80:81], v[90:91], v[94:95] op_sel:[0,0,1] op_sel_hi:[1,1,0] neg_lo:[0,0,1] neg_hi:[0,0,1]
	v_pk_fma_f32 v[80:81], v[80:81], v[90:91], v[94:95] op_sel:[0,0,1] op_sel_hi:[1,0,0]
	v_mov_b32_e32 v97, v81
	v_pk_mul_f32 v[80:81], v[82:83], v[92:93] op_sel:[0,1]
	s_delay_alu instid0(VALU_DEP_2) | instskip(NEXT) | instid1(VALU_DEP_2)
	v_pk_add_f32 v[34:35], v[34:35], v[96:97] neg_lo:[0,1] neg_hi:[0,1]
	v_pk_fma_f32 v[94:95], v[82:83], v[90:91], v[80:81] op_sel:[0,0,1] op_sel_hi:[1,1,0] neg_lo:[0,0,1] neg_hi:[0,0,1]
	v_pk_fma_f32 v[80:81], v[82:83], v[90:91], v[80:81] op_sel:[0,0,1] op_sel_hi:[1,0,0]
	s_delay_alu instid0(VALU_DEP_1) | instskip(SKIP_4) | instid1(VALU_DEP_1)
	v_mov_b32_e32 v95, v81
	ds_load_b64 v[80:81], v84 offset:288
	v_pk_add_f32 v[16:17], v[16:17], v[94:95] neg_lo:[0,1] neg_hi:[0,1]
	s_wait_dscnt 0x0
	v_pk_mul_f32 v[82:83], v[80:81], v[92:93] op_sel:[0,1]
	v_pk_fma_f32 v[92:93], v[80:81], v[90:91], v[82:83] op_sel:[0,0,1] op_sel_hi:[1,1,0] neg_lo:[0,0,1] neg_hi:[0,0,1]
	v_pk_fma_f32 v[80:81], v[80:81], v[90:91], v[82:83] op_sel:[0,0,1] op_sel_hi:[1,0,0]
	s_delay_alu instid0(VALU_DEP_1) | instskip(NEXT) | instid1(VALU_DEP_1)
	v_mov_b32_e32 v93, v81
	v_pk_add_f32 v[78:79], v[78:79], v[92:93] neg_lo:[0,1] neg_hi:[0,1]
.LBB72_503:
	s_or_b32 exec_lo, exec_lo, s0
	v_lshl_add_u32 v80, v88, 3, v84
	s_barrier_signal -1
	s_barrier_wait -1
	ds_store_b64 v80, v[50:51]
	s_wait_dscnt 0x0
	s_barrier_signal -1
	s_barrier_wait -1
	ds_load_b64 v[80:81], v84 offset:192
	v_mov_b32_e32 v82, 24
	s_cmp_lt_i32 s18, 26
	s_cbranch_scc1 .LBB72_506
; %bb.504:
	v_add3_u32 v83, v85, 0, 0xc8
	v_mov_b32_e32 v82, 24
	s_mov_b32 s0, 25
.LBB72_505:                             ; =>This Inner Loop Header: Depth=1
	ds_load_b64 v[90:91], v83
	s_wait_dscnt 0x1
	v_cmp_gt_f32_e32 vcc_lo, 0, v80
	v_cndmask_b32_e64 v92, v80, -v80, vcc_lo
	v_cmp_gt_f32_e32 vcc_lo, 0, v81
	v_cndmask_b32_e64 v94, v81, -v81, vcc_lo
	s_wait_dscnt 0x0
	v_cmp_gt_f32_e32 vcc_lo, 0, v90
	v_cndmask_b32_e64 v93, v90, -v90, vcc_lo
	v_cmp_gt_f32_e32 vcc_lo, 0, v91
	v_cndmask_b32_e64 v95, v91, -v91, vcc_lo
	s_delay_alu instid0(VALU_DEP_1) | instskip(NEXT) | instid1(VALU_DEP_1)
	v_pk_add_f32 v[92:93], v[92:93], v[94:95]
	v_cmp_lt_f32_e32 vcc_lo, v92, v93
	v_dual_cndmask_b32 v80, v80, v90 :: v_dual_add_nc_u32 v83, 8, v83
	v_cndmask_b32_e32 v81, v81, v91, vcc_lo
	v_cndmask_b32_e64 v82, v82, s0, vcc_lo
	s_add_co_i32 s0, s0, 1
	s_delay_alu instid0(SALU_CYCLE_1)
	s_cmp_lg_u32 s18, s0
	s_cbranch_scc1 .LBB72_505
.LBB72_506:
	s_wait_dscnt 0x0
	v_cmp_eq_f32_e32 vcc_lo, 0, v80
	v_cmp_eq_f32_e64 s0, 0, v81
	s_and_b32 s0, vcc_lo, s0
	s_delay_alu instid0(SALU_CYCLE_1) | instskip(NEXT) | instid1(SALU_CYCLE_1)
	s_and_saveexec_b32 s1, s0
	s_xor_b32 s0, exec_lo, s1
; %bb.507:
	v_cmp_ne_u32_e32 vcc_lo, 0, v86
	v_cndmask_b32_e32 v86, 25, v86, vcc_lo
; %bb.508:
	s_and_not1_saveexec_b32 s0, s0
	s_cbranch_execz .LBB72_514
; %bb.509:
	v_cmp_ngt_f32_e64 s1, |v80|, |v81|
	s_and_saveexec_b32 s12, s1
	s_delay_alu instid0(SALU_CYCLE_1)
	s_xor_b32 s1, exec_lo, s12
	s_cbranch_execz .LBB72_511
; %bb.510:
	v_div_scale_f32 v83, null, v81, v81, v80
	v_div_scale_f32 v91, vcc_lo, v80, v81, v80
	s_delay_alu instid0(VALU_DEP_2) | instskip(SKIP_1) | instid1(TRANS32_DEP_1)
	v_rcp_f32_e32 v89, v83
	v_nop
	v_fma_f32 v90, -v83, v89, 1.0
	s_delay_alu instid0(VALU_DEP_1) | instskip(NEXT) | instid1(VALU_DEP_1)
	v_fmac_f32_e32 v89, v90, v89
	v_mul_f32_e32 v90, v91, v89
	s_delay_alu instid0(VALU_DEP_1) | instskip(NEXT) | instid1(VALU_DEP_1)
	v_fma_f32 v92, -v83, v90, v91
	v_fmac_f32_e32 v90, v92, v89
	s_delay_alu instid0(VALU_DEP_1) | instskip(NEXT) | instid1(VALU_DEP_1)
	v_fma_f32 v83, -v83, v90, v91
	v_div_fmas_f32 v83, v83, v89, v90
	s_delay_alu instid0(VALU_DEP_1) | instskip(NEXT) | instid1(VALU_DEP_1)
	v_div_fixup_f32 v83, v83, v81, v80
	v_fmac_f32_e32 v81, v80, v83
	s_delay_alu instid0(VALU_DEP_1) | instskip(SKIP_1) | instid1(VALU_DEP_2)
	v_div_scale_f32 v80, null, v81, v81, 1.0
	v_div_scale_f32 v91, vcc_lo, 1.0, v81, 1.0
	v_rcp_f32_e32 v89, v80
	v_nop
	s_delay_alu instid0(TRANS32_DEP_1) | instskip(NEXT) | instid1(VALU_DEP_1)
	v_fma_f32 v90, -v80, v89, 1.0
	v_fmac_f32_e32 v89, v90, v89
	s_delay_alu instid0(VALU_DEP_1) | instskip(NEXT) | instid1(VALU_DEP_1)
	v_mul_f32_e32 v90, v91, v89
	v_fma_f32 v92, -v80, v90, v91
	s_delay_alu instid0(VALU_DEP_1) | instskip(NEXT) | instid1(VALU_DEP_1)
	v_fmac_f32_e32 v90, v92, v89
	v_fma_f32 v80, -v80, v90, v91
	s_delay_alu instid0(VALU_DEP_1) | instskip(NEXT) | instid1(VALU_DEP_1)
	v_div_fmas_f32 v80, v80, v89, v90
	v_div_fixup_f32 v81, v80, v81, 1.0
	s_delay_alu instid0(VALU_DEP_1)
	v_mul_f32_e32 v80, v83, v81
	v_xor_b32_e32 v81, 0x80000000, v81
.LBB72_511:
	s_and_not1_saveexec_b32 s1, s1
	s_cbranch_execz .LBB72_513
; %bb.512:
	s_delay_alu instid0(VALU_DEP_1) | instskip(SKIP_1) | instid1(VALU_DEP_2)
	v_div_scale_f32 v83, null, v80, v80, v81
	v_div_scale_f32 v91, vcc_lo, v81, v80, v81
	v_rcp_f32_e32 v89, v83
	v_nop
	s_delay_alu instid0(TRANS32_DEP_1) | instskip(NEXT) | instid1(VALU_DEP_1)
	v_fma_f32 v90, -v83, v89, 1.0
	v_fmac_f32_e32 v89, v90, v89
	s_delay_alu instid0(VALU_DEP_1) | instskip(NEXT) | instid1(VALU_DEP_1)
	v_mul_f32_e32 v90, v91, v89
	v_fma_f32 v92, -v83, v90, v91
	s_delay_alu instid0(VALU_DEP_1) | instskip(NEXT) | instid1(VALU_DEP_1)
	v_fmac_f32_e32 v90, v92, v89
	v_fma_f32 v83, -v83, v90, v91
	s_delay_alu instid0(VALU_DEP_1) | instskip(NEXT) | instid1(VALU_DEP_1)
	v_div_fmas_f32 v83, v83, v89, v90
	v_div_fixup_f32 v83, v83, v80, v81
	s_delay_alu instid0(VALU_DEP_1) | instskip(NEXT) | instid1(VALU_DEP_1)
	v_fmac_f32_e32 v80, v81, v83
	v_div_scale_f32 v81, null, v80, v80, 1.0
	s_delay_alu instid0(VALU_DEP_1) | instskip(SKIP_1) | instid1(TRANS32_DEP_1)
	v_rcp_f32_e32 v89, v81
	v_nop
	v_fma_f32 v90, -v81, v89, 1.0
	s_delay_alu instid0(VALU_DEP_1) | instskip(SKIP_1) | instid1(VALU_DEP_1)
	v_fmac_f32_e32 v89, v90, v89
	v_div_scale_f32 v90, vcc_lo, 1.0, v80, 1.0
	v_mul_f32_e32 v91, v90, v89
	s_delay_alu instid0(VALU_DEP_1) | instskip(NEXT) | instid1(VALU_DEP_1)
	v_fma_f32 v92, -v81, v91, v90
	v_fmac_f32_e32 v91, v92, v89
	s_delay_alu instid0(VALU_DEP_1) | instskip(NEXT) | instid1(VALU_DEP_1)
	v_fma_f32 v81, -v81, v91, v90
	v_div_fmas_f32 v81, v81, v89, v91
	s_delay_alu instid0(VALU_DEP_1) | instskip(NEXT) | instid1(VALU_DEP_1)
	v_div_fixup_f32 v80, v81, v80, 1.0
	v_mul_f32_e64 v81, v83, -v80
.LBB72_513:
	s_or_b32 exec_lo, exec_lo, s1
.LBB72_514:
	s_delay_alu instid0(SALU_CYCLE_1) | instskip(NEXT) | instid1(SALU_CYCLE_1)
	s_or_b32 exec_lo, exec_lo, s0
	s_mov_b32 s0, exec_lo
	v_cmpx_ne_u32_e64 v88, v82
	s_xor_b32 s0, exec_lo, s0
	s_cbranch_execz .LBB72_520
; %bb.515:
	s_mov_b32 s1, exec_lo
	v_cmpx_eq_u32_e32 24, v88
	s_cbranch_execz .LBB72_519
; %bb.516:
	v_cmp_ne_u32_e32 vcc_lo, 24, v82
	s_xor_b32 s12, s16, -1
	s_delay_alu instid0(SALU_CYCLE_1) | instskip(NEXT) | instid1(SALU_CYCLE_1)
	s_and_b32 s13, s12, vcc_lo
	s_and_saveexec_b32 s12, s13
	s_cbranch_execz .LBB72_518
; %bb.517:
	v_ashrrev_i32_e32 v83, 31, v82
	s_delay_alu instid0(VALU_DEP_1)
	v_lshl_add_u64 v[88:89], v[82:83], 2, v[4:5]
	s_clause 0x1
	global_load_b32 v83, v[88:89], off
	global_load_b32 v87, v[4:5], off offset:96
	s_wait_loadcnt 0x1
	global_store_b32 v[4:5], v83, off offset:96
	s_wait_loadcnt 0x0
	global_store_b32 v[88:89], v87, off
.LBB72_518:
	s_wait_xcnt 0x0
	s_or_b32 exec_lo, exec_lo, s12
	v_dual_mov_b32 v88, v82 :: v_dual_mov_b32 v87, v82
.LBB72_519:
	s_or_b32 exec_lo, exec_lo, s1
.LBB72_520:
	s_and_not1_saveexec_b32 s0, s0
	s_cbranch_execz .LBB72_522
; %bb.521:
	v_mov_b32_e32 v88, 24
	ds_store_2addr_b64 v84, v[46:47], v[48:49] offset0:25 offset1:26
	ds_store_2addr_b64 v84, v[44:45], v[14:15] offset0:27 offset1:28
	;; [unrolled: 1-line block ×6, first 2 shown]
.LBB72_522:
	s_or_b32 exec_lo, exec_lo, s0
	s_delay_alu instid0(SALU_CYCLE_1)
	s_mov_b32 s0, exec_lo
	s_wait_storecnt_dscnt 0x0
	s_barrier_signal -1
	s_barrier_wait -1
	v_cmpx_lt_i32_e32 24, v88
	s_cbranch_execz .LBB72_524
; %bb.523:
	v_pk_mul_f32 v[82:83], v[80:81], v[50:51] op_sel:[1,1] op_sel_hi:[0,1]
	s_delay_alu instid0(VALU_DEP_1)
	v_pk_fma_f32 v[90:91], v[80:81], v[50:51], v[82:83] op_sel_hi:[1,0,1] neg_lo:[0,0,1] neg_hi:[0,0,1]
	v_pk_fma_f32 v[92:93], v[80:81], v[50:51], v[82:83] op_sel_hi:[1,0,1]
	ds_load_2addr_b64 v[80:83], v84 offset0:25 offset1:26
	v_dual_mov_b32 v50, v90 :: v_dual_mov_b32 v51, v93
	s_wait_dscnt 0x0
	v_pk_mul_f32 v[94:95], v[80:81], v[92:93] op_sel:[0,1]
	s_delay_alu instid0(VALU_DEP_1) | instskip(SKIP_1) | instid1(VALU_DEP_1)
	v_pk_fma_f32 v[96:97], v[80:81], v[90:91], v[94:95] op_sel:[0,0,1] op_sel_hi:[1,1,0] neg_lo:[0,0,1] neg_hi:[0,0,1]
	v_pk_fma_f32 v[80:81], v[80:81], v[90:91], v[94:95] op_sel:[0,0,1] op_sel_hi:[1,0,0]
	v_mov_b32_e32 v97, v81
	v_pk_mul_f32 v[80:81], v[82:83], v[92:93] op_sel:[0,1]
	s_delay_alu instid0(VALU_DEP_1) | instskip(SKIP_1) | instid1(VALU_DEP_1)
	v_pk_fma_f32 v[94:95], v[82:83], v[90:91], v[80:81] op_sel:[0,0,1] op_sel_hi:[1,1,0] neg_lo:[0,0,1] neg_hi:[0,0,1]
	v_pk_fma_f32 v[80:81], v[82:83], v[90:91], v[80:81] op_sel:[0,0,1] op_sel_hi:[1,0,0]
	v_mov_b32_e32 v95, v81
	ds_load_2addr_b64 v[80:83], v84 offset0:27 offset1:28
	v_pk_add_f32 v[46:47], v[46:47], v[96:97] neg_lo:[0,1] neg_hi:[0,1]
	v_pk_add_f32 v[48:49], v[48:49], v[94:95] neg_lo:[0,1] neg_hi:[0,1]
	s_wait_dscnt 0x0
	v_pk_mul_f32 v[94:95], v[80:81], v[92:93] op_sel:[0,1]
	s_delay_alu instid0(VALU_DEP_1) | instskip(SKIP_2) | instid1(VALU_DEP_2)
	v_pk_fma_f32 v[96:97], v[80:81], v[90:91], v[94:95] op_sel:[0,0,1] op_sel_hi:[1,1,0] neg_lo:[0,0,1] neg_hi:[0,0,1]
	v_pk_fma_f32 v[80:81], v[80:81], v[90:91], v[94:95] op_sel:[0,0,1] op_sel_hi:[1,0,0]
	v_dual_mul_f32 v94, v83, v93 :: v_dual_mov_b32 v80, v83
	v_dual_mov_b32 v97, v81 :: v_dual_mov_b32 v81, v82
	s_delay_alu instid0(VALU_DEP_2) | instskip(SKIP_1) | instid1(VALU_DEP_3)
	v_pk_fma_f32 v[94:95], v[82:83], v[50:51], v[94:95] op_sel_hi:[1,1,0] neg_lo:[0,0,1] neg_hi:[0,0,1]
	v_mul_f32_e32 v82, v83, v90
	v_pk_add_f32 v[44:45], v[44:45], v[96:97] neg_lo:[0,1] neg_hi:[0,1]
	s_delay_alu instid0(VALU_DEP_2) | instskip(NEXT) | instid1(VALU_DEP_1)
	v_pk_fma_f32 v[80:81], v[80:81], v[50:51], v[82:83] op_sel_hi:[1,1,0]
	v_mov_b32_e32 v95, v81
	ds_load_2addr_b64 v[80:83], v84 offset0:29 offset1:30
	v_pk_add_f32 v[14:15], v[14:15], v[94:95] neg_lo:[0,1] neg_hi:[0,1]
	s_wait_dscnt 0x0
	v_pk_mul_f32 v[94:95], v[80:81], v[92:93] op_sel:[0,1]
	s_delay_alu instid0(VALU_DEP_1) | instskip(SKIP_1) | instid1(VALU_DEP_1)
	v_pk_fma_f32 v[96:97], v[80:81], v[90:91], v[94:95] op_sel:[0,0,1] op_sel_hi:[1,1,0] neg_lo:[0,0,1] neg_hi:[0,0,1]
	v_pk_fma_f32 v[80:81], v[80:81], v[90:91], v[94:95] op_sel:[0,0,1] op_sel_hi:[1,0,0]
	v_mov_b32_e32 v97, v81
	v_pk_mul_f32 v[80:81], v[82:83], v[92:93] op_sel:[0,1]
	s_delay_alu instid0(VALU_DEP_1) | instskip(SKIP_1) | instid1(VALU_DEP_1)
	v_pk_fma_f32 v[94:95], v[82:83], v[90:91], v[80:81] op_sel:[0,0,1] op_sel_hi:[1,1,0] neg_lo:[0,0,1] neg_hi:[0,0,1]
	v_pk_fma_f32 v[80:81], v[82:83], v[90:91], v[80:81] op_sel:[0,0,1] op_sel_hi:[1,0,0]
	v_mov_b32_e32 v95, v81
	ds_load_2addr_b64 v[80:83], v84 offset0:31 offset1:32
	v_pk_add_f32 v[10:11], v[10:11], v[96:97] neg_lo:[0,1] neg_hi:[0,1]
	v_pk_add_f32 v[12:13], v[12:13], v[94:95] neg_lo:[0,1] neg_hi:[0,1]
	s_wait_dscnt 0x0
	v_pk_mul_f32 v[94:95], v[80:81], v[92:93] op_sel:[0,1]
	s_delay_alu instid0(VALU_DEP_1) | instskip(SKIP_1) | instid1(VALU_DEP_1)
	v_pk_fma_f32 v[96:97], v[80:81], v[90:91], v[94:95] op_sel:[0,0,1] op_sel_hi:[1,1,0] neg_lo:[0,0,1] neg_hi:[0,0,1]
	v_pk_fma_f32 v[80:81], v[80:81], v[90:91], v[94:95] op_sel:[0,0,1] op_sel_hi:[1,0,0]
	v_mov_b32_e32 v97, v81
	v_pk_mul_f32 v[80:81], v[82:83], v[92:93] op_sel:[0,1]
	s_delay_alu instid0(VALU_DEP_1) | instskip(SKIP_1) | instid1(VALU_DEP_1)
	v_pk_fma_f32 v[94:95], v[82:83], v[90:91], v[80:81] op_sel:[0,0,1] op_sel_hi:[1,1,0] neg_lo:[0,0,1] neg_hi:[0,0,1]
	v_pk_fma_f32 v[80:81], v[82:83], v[90:91], v[80:81] op_sel:[0,0,1] op_sel_hi:[1,0,0]
	v_mov_b32_e32 v95, v81
	ds_load_2addr_b64 v[80:83], v84 offset0:33 offset1:34
	v_pk_add_f32 v[8:9], v[8:9], v[96:97] neg_lo:[0,1] neg_hi:[0,1]
	v_pk_add_f32 v[6:7], v[6:7], v[94:95] neg_lo:[0,1] neg_hi:[0,1]
	s_wait_dscnt 0x0
	v_dual_mul_f32 v94, v81, v93 :: v_dual_mul_f32 v96, v81, v90
	s_delay_alu instid0(VALU_DEP_1) | instskip(NEXT) | instid1(VALU_DEP_2)
	v_pk_fma_f32 v[94:95], v[80:81], v[50:51], v[94:95] op_sel_hi:[1,1,0] neg_lo:[0,0,1] neg_hi:[0,0,1]
	v_pk_fma_f32 v[80:81], v[80:81], v[50:51], v[96:97] op_sel:[1,0,0] op_sel_hi:[0,1,0]
	s_delay_alu instid0(VALU_DEP_1) | instskip(SKIP_1) | instid1(VALU_DEP_2)
	v_mov_b32_e32 v95, v81
	v_pk_mul_f32 v[80:81], v[82:83], v[92:93] op_sel:[0,1]
	v_pk_add_f32 v[52:53], v[52:53], v[94:95] neg_lo:[0,1] neg_hi:[0,1]
	s_delay_alu instid0(VALU_DEP_2) | instskip(SKIP_1) | instid1(VALU_DEP_1)
	v_pk_fma_f32 v[94:95], v[82:83], v[90:91], v[80:81] op_sel:[0,0,1] op_sel_hi:[1,1,0] neg_lo:[0,0,1] neg_hi:[0,0,1]
	v_pk_fma_f32 v[80:81], v[82:83], v[90:91], v[80:81] op_sel:[0,0,1] op_sel_hi:[1,0,0]
	v_mov_b32_e32 v95, v81
	ds_load_2addr_b64 v[80:83], v84 offset0:35 offset1:36
	v_pk_add_f32 v[34:35], v[34:35], v[94:95] neg_lo:[0,1] neg_hi:[0,1]
	s_wait_dscnt 0x0
	v_pk_mul_f32 v[94:95], v[80:81], v[92:93] op_sel:[0,1]
	v_mul_f32_e32 v92, v83, v93
	s_delay_alu instid0(VALU_DEP_2) | instskip(SKIP_2) | instid1(VALU_DEP_4)
	v_pk_fma_f32 v[96:97], v[80:81], v[90:91], v[94:95] op_sel:[0,0,1] op_sel_hi:[1,1,0] neg_lo:[0,0,1] neg_hi:[0,0,1]
	v_pk_fma_f32 v[80:81], v[80:81], v[90:91], v[94:95] op_sel:[0,0,1] op_sel_hi:[1,0,0]
	v_mov_b32_e32 v80, v83
	v_pk_fma_f32 v[92:93], v[82:83], v[50:51], v[92:93] op_sel_hi:[1,1,0] neg_lo:[0,0,1] neg_hi:[0,0,1]
	s_delay_alu instid0(VALU_DEP_3) | instskip(SKIP_1) | instid1(VALU_DEP_2)
	v_dual_mov_b32 v97, v81 :: v_dual_mov_b32 v81, v82
	v_mul_f32_e32 v82, v83, v90
	v_pk_add_f32 v[16:17], v[16:17], v[96:97] neg_lo:[0,1] neg_hi:[0,1]
	s_delay_alu instid0(VALU_DEP_2) | instskip(NEXT) | instid1(VALU_DEP_1)
	v_pk_fma_f32 v[80:81], v[80:81], v[50:51], v[82:83] op_sel_hi:[1,1,0]
	v_mov_b32_e32 v93, v81
	s_delay_alu instid0(VALU_DEP_1)
	v_pk_add_f32 v[78:79], v[78:79], v[92:93] neg_lo:[0,1] neg_hi:[0,1]
.LBB72_524:
	s_or_b32 exec_lo, exec_lo, s0
	v_lshl_add_u32 v80, v88, 3, v84
	s_barrier_signal -1
	s_barrier_wait -1
	ds_store_b64 v80, v[46:47]
	s_wait_dscnt 0x0
	s_barrier_signal -1
	s_barrier_wait -1
	ds_load_b64 v[80:81], v84 offset:200
	v_mov_b32_e32 v82, 25
	s_cmp_lt_i32 s18, 27
	s_cbranch_scc1 .LBB72_527
; %bb.525:
	v_add3_u32 v83, v85, 0, 0xd0
	v_mov_b32_e32 v82, 25
	s_mov_b32 s0, 26
.LBB72_526:                             ; =>This Inner Loop Header: Depth=1
	ds_load_b64 v[90:91], v83
	s_wait_dscnt 0x1
	v_cmp_gt_f32_e32 vcc_lo, 0, v80
	v_cndmask_b32_e64 v92, v80, -v80, vcc_lo
	v_cmp_gt_f32_e32 vcc_lo, 0, v81
	v_cndmask_b32_e64 v94, v81, -v81, vcc_lo
	s_wait_dscnt 0x0
	v_cmp_gt_f32_e32 vcc_lo, 0, v90
	v_cndmask_b32_e64 v93, v90, -v90, vcc_lo
	v_cmp_gt_f32_e32 vcc_lo, 0, v91
	v_cndmask_b32_e64 v95, v91, -v91, vcc_lo
	s_delay_alu instid0(VALU_DEP_1) | instskip(NEXT) | instid1(VALU_DEP_1)
	v_pk_add_f32 v[92:93], v[92:93], v[94:95]
	v_cmp_lt_f32_e32 vcc_lo, v92, v93
	v_dual_cndmask_b32 v80, v80, v90 :: v_dual_add_nc_u32 v83, 8, v83
	v_cndmask_b32_e32 v81, v81, v91, vcc_lo
	v_cndmask_b32_e64 v82, v82, s0, vcc_lo
	s_add_co_i32 s0, s0, 1
	s_delay_alu instid0(SALU_CYCLE_1)
	s_cmp_lg_u32 s18, s0
	s_cbranch_scc1 .LBB72_526
.LBB72_527:
	s_wait_dscnt 0x0
	v_cmp_eq_f32_e32 vcc_lo, 0, v80
	v_cmp_eq_f32_e64 s0, 0, v81
	s_and_b32 s0, vcc_lo, s0
	s_delay_alu instid0(SALU_CYCLE_1) | instskip(NEXT) | instid1(SALU_CYCLE_1)
	s_and_saveexec_b32 s1, s0
	s_xor_b32 s0, exec_lo, s1
; %bb.528:
	v_cmp_ne_u32_e32 vcc_lo, 0, v86
	v_cndmask_b32_e32 v86, 26, v86, vcc_lo
; %bb.529:
	s_and_not1_saveexec_b32 s0, s0
	s_cbranch_execz .LBB72_535
; %bb.530:
	v_cmp_ngt_f32_e64 s1, |v80|, |v81|
	s_and_saveexec_b32 s12, s1
	s_delay_alu instid0(SALU_CYCLE_1)
	s_xor_b32 s1, exec_lo, s12
	s_cbranch_execz .LBB72_532
; %bb.531:
	v_div_scale_f32 v83, null, v81, v81, v80
	v_div_scale_f32 v91, vcc_lo, v80, v81, v80
	s_delay_alu instid0(VALU_DEP_2) | instskip(SKIP_1) | instid1(TRANS32_DEP_1)
	v_rcp_f32_e32 v89, v83
	v_nop
	v_fma_f32 v90, -v83, v89, 1.0
	s_delay_alu instid0(VALU_DEP_1) | instskip(NEXT) | instid1(VALU_DEP_1)
	v_fmac_f32_e32 v89, v90, v89
	v_mul_f32_e32 v90, v91, v89
	s_delay_alu instid0(VALU_DEP_1) | instskip(NEXT) | instid1(VALU_DEP_1)
	v_fma_f32 v92, -v83, v90, v91
	v_fmac_f32_e32 v90, v92, v89
	s_delay_alu instid0(VALU_DEP_1) | instskip(NEXT) | instid1(VALU_DEP_1)
	v_fma_f32 v83, -v83, v90, v91
	v_div_fmas_f32 v83, v83, v89, v90
	s_delay_alu instid0(VALU_DEP_1) | instskip(NEXT) | instid1(VALU_DEP_1)
	v_div_fixup_f32 v83, v83, v81, v80
	v_fmac_f32_e32 v81, v80, v83
	s_delay_alu instid0(VALU_DEP_1) | instskip(SKIP_1) | instid1(VALU_DEP_2)
	v_div_scale_f32 v80, null, v81, v81, 1.0
	v_div_scale_f32 v91, vcc_lo, 1.0, v81, 1.0
	v_rcp_f32_e32 v89, v80
	v_nop
	s_delay_alu instid0(TRANS32_DEP_1) | instskip(NEXT) | instid1(VALU_DEP_1)
	v_fma_f32 v90, -v80, v89, 1.0
	v_fmac_f32_e32 v89, v90, v89
	s_delay_alu instid0(VALU_DEP_1) | instskip(NEXT) | instid1(VALU_DEP_1)
	v_mul_f32_e32 v90, v91, v89
	v_fma_f32 v92, -v80, v90, v91
	s_delay_alu instid0(VALU_DEP_1) | instskip(NEXT) | instid1(VALU_DEP_1)
	v_fmac_f32_e32 v90, v92, v89
	v_fma_f32 v80, -v80, v90, v91
	s_delay_alu instid0(VALU_DEP_1) | instskip(NEXT) | instid1(VALU_DEP_1)
	v_div_fmas_f32 v80, v80, v89, v90
	v_div_fixup_f32 v81, v80, v81, 1.0
	s_delay_alu instid0(VALU_DEP_1)
	v_mul_f32_e32 v80, v83, v81
	v_xor_b32_e32 v81, 0x80000000, v81
.LBB72_532:
	s_and_not1_saveexec_b32 s1, s1
	s_cbranch_execz .LBB72_534
; %bb.533:
	s_delay_alu instid0(VALU_DEP_1) | instskip(SKIP_1) | instid1(VALU_DEP_2)
	v_div_scale_f32 v83, null, v80, v80, v81
	v_div_scale_f32 v91, vcc_lo, v81, v80, v81
	v_rcp_f32_e32 v89, v83
	v_nop
	s_delay_alu instid0(TRANS32_DEP_1) | instskip(NEXT) | instid1(VALU_DEP_1)
	v_fma_f32 v90, -v83, v89, 1.0
	v_fmac_f32_e32 v89, v90, v89
	s_delay_alu instid0(VALU_DEP_1) | instskip(NEXT) | instid1(VALU_DEP_1)
	v_mul_f32_e32 v90, v91, v89
	v_fma_f32 v92, -v83, v90, v91
	s_delay_alu instid0(VALU_DEP_1) | instskip(NEXT) | instid1(VALU_DEP_1)
	v_fmac_f32_e32 v90, v92, v89
	v_fma_f32 v83, -v83, v90, v91
	s_delay_alu instid0(VALU_DEP_1) | instskip(NEXT) | instid1(VALU_DEP_1)
	v_div_fmas_f32 v83, v83, v89, v90
	v_div_fixup_f32 v83, v83, v80, v81
	s_delay_alu instid0(VALU_DEP_1) | instskip(NEXT) | instid1(VALU_DEP_1)
	v_fmac_f32_e32 v80, v81, v83
	v_div_scale_f32 v81, null, v80, v80, 1.0
	s_delay_alu instid0(VALU_DEP_1) | instskip(SKIP_1) | instid1(TRANS32_DEP_1)
	v_rcp_f32_e32 v89, v81
	v_nop
	v_fma_f32 v90, -v81, v89, 1.0
	s_delay_alu instid0(VALU_DEP_1) | instskip(SKIP_1) | instid1(VALU_DEP_1)
	v_fmac_f32_e32 v89, v90, v89
	v_div_scale_f32 v90, vcc_lo, 1.0, v80, 1.0
	v_mul_f32_e32 v91, v90, v89
	s_delay_alu instid0(VALU_DEP_1) | instskip(NEXT) | instid1(VALU_DEP_1)
	v_fma_f32 v92, -v81, v91, v90
	v_fmac_f32_e32 v91, v92, v89
	s_delay_alu instid0(VALU_DEP_1) | instskip(NEXT) | instid1(VALU_DEP_1)
	v_fma_f32 v81, -v81, v91, v90
	v_div_fmas_f32 v81, v81, v89, v91
	s_delay_alu instid0(VALU_DEP_1) | instskip(NEXT) | instid1(VALU_DEP_1)
	v_div_fixup_f32 v80, v81, v80, 1.0
	v_mul_f32_e64 v81, v83, -v80
.LBB72_534:
	s_or_b32 exec_lo, exec_lo, s1
.LBB72_535:
	s_delay_alu instid0(SALU_CYCLE_1) | instskip(NEXT) | instid1(SALU_CYCLE_1)
	s_or_b32 exec_lo, exec_lo, s0
	s_mov_b32 s0, exec_lo
	v_cmpx_ne_u32_e64 v88, v82
	s_xor_b32 s0, exec_lo, s0
	s_cbranch_execz .LBB72_541
; %bb.536:
	s_mov_b32 s1, exec_lo
	v_cmpx_eq_u32_e32 25, v88
	s_cbranch_execz .LBB72_540
; %bb.537:
	v_cmp_ne_u32_e32 vcc_lo, 25, v82
	s_xor_b32 s12, s16, -1
	s_delay_alu instid0(SALU_CYCLE_1) | instskip(NEXT) | instid1(SALU_CYCLE_1)
	s_and_b32 s13, s12, vcc_lo
	s_and_saveexec_b32 s12, s13
	s_cbranch_execz .LBB72_539
; %bb.538:
	v_ashrrev_i32_e32 v83, 31, v82
	s_delay_alu instid0(VALU_DEP_1)
	v_lshl_add_u64 v[88:89], v[82:83], 2, v[4:5]
	s_clause 0x1
	global_load_b32 v83, v[88:89], off
	global_load_b32 v87, v[4:5], off offset:100
	s_wait_loadcnt 0x1
	global_store_b32 v[4:5], v83, off offset:100
	s_wait_loadcnt 0x0
	global_store_b32 v[88:89], v87, off
.LBB72_539:
	s_wait_xcnt 0x0
	s_or_b32 exec_lo, exec_lo, s12
	v_dual_mov_b32 v88, v82 :: v_dual_mov_b32 v87, v82
.LBB72_540:
	s_or_b32 exec_lo, exec_lo, s1
.LBB72_541:
	s_and_not1_saveexec_b32 s0, s0
	s_cbranch_execz .LBB72_543
; %bb.542:
	v_dual_mov_b32 v82, v48 :: v_dual_mov_b32 v83, v49
	v_dual_mov_b32 v88, v44 :: v_dual_mov_b32 v89, v45
	;; [unrolled: 1-line block ×6, first 2 shown]
	ds_store_2addr_b64 v84, v[82:83], v[88:89] offset0:26 offset1:27
	ds_store_2addr_b64 v84, v[90:91], v[92:93] offset0:28 offset1:29
	v_dual_mov_b32 v88, 25 :: v_dual_mov_b32 v98, v6
	v_dual_mov_b32 v99, v7 :: v_dual_mov_b32 v100, v52
	;; [unrolled: 1-line block ×4, first 2 shown]
	v_mov_b32_e32 v105, v17
	ds_store_2addr_b64 v84, v[94:95], v[96:97] offset0:30 offset1:31
	ds_store_2addr_b64 v84, v[98:99], v[100:101] offset0:32 offset1:33
	;; [unrolled: 1-line block ×3, first 2 shown]
	ds_store_b64 v84, v[78:79] offset:288
.LBB72_543:
	s_or_b32 exec_lo, exec_lo, s0
	s_delay_alu instid0(SALU_CYCLE_1)
	s_mov_b32 s0, exec_lo
	s_wait_storecnt_dscnt 0x0
	s_barrier_signal -1
	s_barrier_wait -1
	v_cmpx_lt_i32_e32 25, v88
	s_cbranch_execz .LBB72_545
; %bb.544:
	v_pk_mul_f32 v[82:83], v[80:81], v[46:47] op_sel:[1,1] op_sel_hi:[0,1]
	s_delay_alu instid0(VALU_DEP_1)
	v_pk_fma_f32 v[90:91], v[80:81], v[46:47], v[82:83] op_sel_hi:[1,0,1] neg_lo:[0,0,1] neg_hi:[0,0,1]
	v_pk_fma_f32 v[92:93], v[80:81], v[46:47], v[82:83] op_sel_hi:[1,0,1]
	ds_load_2addr_b64 v[80:83], v84 offset0:26 offset1:27
	v_dual_mov_b32 v46, v90 :: v_dual_mov_b32 v47, v93
	s_wait_dscnt 0x0
	v_pk_mul_f32 v[94:95], v[80:81], v[92:93] op_sel:[0,1]
	s_delay_alu instid0(VALU_DEP_1) | instskip(SKIP_1) | instid1(VALU_DEP_1)
	v_pk_fma_f32 v[96:97], v[80:81], v[90:91], v[94:95] op_sel:[0,0,1] op_sel_hi:[1,1,0] neg_lo:[0,0,1] neg_hi:[0,0,1]
	v_pk_fma_f32 v[80:81], v[80:81], v[90:91], v[94:95] op_sel:[0,0,1] op_sel_hi:[1,0,0]
	v_mov_b32_e32 v97, v81
	v_pk_mul_f32 v[80:81], v[82:83], v[92:93] op_sel:[0,1]
	s_delay_alu instid0(VALU_DEP_1) | instskip(SKIP_1) | instid1(VALU_DEP_1)
	v_pk_fma_f32 v[94:95], v[82:83], v[90:91], v[80:81] op_sel:[0,0,1] op_sel_hi:[1,1,0] neg_lo:[0,0,1] neg_hi:[0,0,1]
	v_pk_fma_f32 v[80:81], v[82:83], v[90:91], v[80:81] op_sel:[0,0,1] op_sel_hi:[1,0,0]
	v_mov_b32_e32 v95, v81
	ds_load_2addr_b64 v[80:83], v84 offset0:28 offset1:29
	v_pk_add_f32 v[48:49], v[48:49], v[96:97] neg_lo:[0,1] neg_hi:[0,1]
	v_pk_add_f32 v[44:45], v[44:45], v[94:95] neg_lo:[0,1] neg_hi:[0,1]
	s_wait_dscnt 0x0
	v_pk_mul_f32 v[94:95], v[80:81], v[92:93] op_sel:[0,1]
	s_delay_alu instid0(VALU_DEP_1) | instskip(SKIP_2) | instid1(VALU_DEP_2)
	v_pk_fma_f32 v[96:97], v[80:81], v[90:91], v[94:95] op_sel:[0,0,1] op_sel_hi:[1,1,0] neg_lo:[0,0,1] neg_hi:[0,0,1]
	v_pk_fma_f32 v[80:81], v[80:81], v[90:91], v[94:95] op_sel:[0,0,1] op_sel_hi:[1,0,0]
	v_dual_mul_f32 v94, v83, v93 :: v_dual_mov_b32 v80, v83
	v_dual_mov_b32 v97, v81 :: v_dual_mov_b32 v81, v82
	s_delay_alu instid0(VALU_DEP_2) | instskip(SKIP_1) | instid1(VALU_DEP_3)
	v_pk_fma_f32 v[94:95], v[82:83], v[46:47], v[94:95] op_sel_hi:[1,1,0] neg_lo:[0,0,1] neg_hi:[0,0,1]
	v_mul_f32_e32 v82, v83, v90
	v_pk_add_f32 v[14:15], v[14:15], v[96:97] neg_lo:[0,1] neg_hi:[0,1]
	s_delay_alu instid0(VALU_DEP_2) | instskip(NEXT) | instid1(VALU_DEP_1)
	v_pk_fma_f32 v[80:81], v[80:81], v[46:47], v[82:83] op_sel_hi:[1,1,0]
	v_mov_b32_e32 v95, v81
	ds_load_2addr_b64 v[80:83], v84 offset0:30 offset1:31
	v_pk_add_f32 v[10:11], v[10:11], v[94:95] neg_lo:[0,1] neg_hi:[0,1]
	s_wait_dscnt 0x0
	v_pk_mul_f32 v[94:95], v[80:81], v[92:93] op_sel:[0,1]
	s_delay_alu instid0(VALU_DEP_1) | instskip(SKIP_1) | instid1(VALU_DEP_1)
	v_pk_fma_f32 v[96:97], v[80:81], v[90:91], v[94:95] op_sel:[0,0,1] op_sel_hi:[1,1,0] neg_lo:[0,0,1] neg_hi:[0,0,1]
	v_pk_fma_f32 v[80:81], v[80:81], v[90:91], v[94:95] op_sel:[0,0,1] op_sel_hi:[1,0,0]
	v_mov_b32_e32 v97, v81
	v_pk_mul_f32 v[80:81], v[82:83], v[92:93] op_sel:[0,1]
	s_delay_alu instid0(VALU_DEP_1) | instskip(SKIP_1) | instid1(VALU_DEP_1)
	v_pk_fma_f32 v[94:95], v[82:83], v[90:91], v[80:81] op_sel:[0,0,1] op_sel_hi:[1,1,0] neg_lo:[0,0,1] neg_hi:[0,0,1]
	v_pk_fma_f32 v[80:81], v[82:83], v[90:91], v[80:81] op_sel:[0,0,1] op_sel_hi:[1,0,0]
	v_mov_b32_e32 v95, v81
	ds_load_2addr_b64 v[80:83], v84 offset0:32 offset1:33
	v_pk_add_f32 v[12:13], v[12:13], v[96:97] neg_lo:[0,1] neg_hi:[0,1]
	v_pk_add_f32 v[8:9], v[8:9], v[94:95] neg_lo:[0,1] neg_hi:[0,1]
	s_wait_dscnt 0x0
	v_pk_mul_f32 v[94:95], v[80:81], v[92:93] op_sel:[0,1]
	s_delay_alu instid0(VALU_DEP_1) | instskip(SKIP_1) | instid1(VALU_DEP_1)
	v_pk_fma_f32 v[96:97], v[80:81], v[90:91], v[94:95] op_sel:[0,0,1] op_sel_hi:[1,1,0] neg_lo:[0,0,1] neg_hi:[0,0,1]
	v_pk_fma_f32 v[80:81], v[80:81], v[90:91], v[94:95] op_sel:[0,0,1] op_sel_hi:[1,0,0]
	v_mov_b32_e32 v97, v81
	v_pk_mul_f32 v[80:81], v[82:83], v[92:93] op_sel:[0,1]
	s_delay_alu instid0(VALU_DEP_1) | instskip(SKIP_1) | instid1(VALU_DEP_1)
	v_pk_fma_f32 v[94:95], v[82:83], v[90:91], v[80:81] op_sel:[0,0,1] op_sel_hi:[1,1,0] neg_lo:[0,0,1] neg_hi:[0,0,1]
	v_pk_fma_f32 v[80:81], v[82:83], v[90:91], v[80:81] op_sel:[0,0,1] op_sel_hi:[1,0,0]
	v_mov_b32_e32 v95, v81
	ds_load_2addr_b64 v[80:83], v84 offset0:34 offset1:35
	v_pk_add_f32 v[6:7], v[6:7], v[96:97] neg_lo:[0,1] neg_hi:[0,1]
	v_pk_add_f32 v[52:53], v[52:53], v[94:95] neg_lo:[0,1] neg_hi:[0,1]
	s_wait_dscnt 0x0
	v_dual_mul_f32 v94, v81, v93 :: v_dual_mul_f32 v96, v81, v90
	s_delay_alu instid0(VALU_DEP_1) | instskip(NEXT) | instid1(VALU_DEP_2)
	v_pk_fma_f32 v[94:95], v[80:81], v[46:47], v[94:95] op_sel_hi:[1,1,0] neg_lo:[0,0,1] neg_hi:[0,0,1]
	v_pk_fma_f32 v[80:81], v[80:81], v[46:47], v[96:97] op_sel:[1,0,0] op_sel_hi:[0,1,0]
	s_delay_alu instid0(VALU_DEP_1) | instskip(SKIP_1) | instid1(VALU_DEP_2)
	v_mov_b32_e32 v95, v81
	v_pk_mul_f32 v[80:81], v[82:83], v[92:93] op_sel:[0,1]
	v_pk_add_f32 v[34:35], v[34:35], v[94:95] neg_lo:[0,1] neg_hi:[0,1]
	s_delay_alu instid0(VALU_DEP_2) | instskip(SKIP_1) | instid1(VALU_DEP_1)
	v_pk_fma_f32 v[94:95], v[82:83], v[90:91], v[80:81] op_sel:[0,0,1] op_sel_hi:[1,1,0] neg_lo:[0,0,1] neg_hi:[0,0,1]
	v_pk_fma_f32 v[80:81], v[82:83], v[90:91], v[80:81] op_sel:[0,0,1] op_sel_hi:[1,0,0]
	v_mov_b32_e32 v95, v81
	ds_load_b64 v[80:81], v84 offset:288
	v_pk_add_f32 v[16:17], v[16:17], v[94:95] neg_lo:[0,1] neg_hi:[0,1]
	s_wait_dscnt 0x0
	v_pk_mul_f32 v[82:83], v[80:81], v[92:93] op_sel:[0,1]
	s_delay_alu instid0(VALU_DEP_1) | instskip(SKIP_1) | instid1(VALU_DEP_1)
	v_pk_fma_f32 v[92:93], v[80:81], v[90:91], v[82:83] op_sel:[0,0,1] op_sel_hi:[1,1,0] neg_lo:[0,0,1] neg_hi:[0,0,1]
	v_pk_fma_f32 v[80:81], v[80:81], v[90:91], v[82:83] op_sel:[0,0,1] op_sel_hi:[1,0,0]
	v_mov_b32_e32 v93, v81
	s_delay_alu instid0(VALU_DEP_1)
	v_pk_add_f32 v[78:79], v[78:79], v[92:93] neg_lo:[0,1] neg_hi:[0,1]
.LBB72_545:
	s_or_b32 exec_lo, exec_lo, s0
	v_lshl_add_u32 v80, v88, 3, v84
	s_barrier_signal -1
	s_barrier_wait -1
	ds_store_b64 v80, v[48:49]
	s_wait_dscnt 0x0
	s_barrier_signal -1
	s_barrier_wait -1
	ds_load_b64 v[80:81], v84 offset:208
	v_mov_b32_e32 v82, 26
	s_cmp_lt_i32 s18, 28
	s_cbranch_scc1 .LBB72_548
; %bb.546:
	v_add3_u32 v83, v85, 0, 0xd8
	v_mov_b32_e32 v82, 26
	s_mov_b32 s0, 27
.LBB72_547:                             ; =>This Inner Loop Header: Depth=1
	ds_load_b64 v[90:91], v83
	s_wait_dscnt 0x1
	v_cmp_gt_f32_e32 vcc_lo, 0, v80
	v_cndmask_b32_e64 v92, v80, -v80, vcc_lo
	v_cmp_gt_f32_e32 vcc_lo, 0, v81
	v_cndmask_b32_e64 v94, v81, -v81, vcc_lo
	s_wait_dscnt 0x0
	v_cmp_gt_f32_e32 vcc_lo, 0, v90
	v_cndmask_b32_e64 v93, v90, -v90, vcc_lo
	v_cmp_gt_f32_e32 vcc_lo, 0, v91
	v_cndmask_b32_e64 v95, v91, -v91, vcc_lo
	s_delay_alu instid0(VALU_DEP_1) | instskip(NEXT) | instid1(VALU_DEP_1)
	v_pk_add_f32 v[92:93], v[92:93], v[94:95]
	v_cmp_lt_f32_e32 vcc_lo, v92, v93
	v_dual_cndmask_b32 v80, v80, v90 :: v_dual_add_nc_u32 v83, 8, v83
	v_cndmask_b32_e32 v81, v81, v91, vcc_lo
	v_cndmask_b32_e64 v82, v82, s0, vcc_lo
	s_add_co_i32 s0, s0, 1
	s_delay_alu instid0(SALU_CYCLE_1)
	s_cmp_lg_u32 s18, s0
	s_cbranch_scc1 .LBB72_547
.LBB72_548:
	s_wait_dscnt 0x0
	v_cmp_eq_f32_e32 vcc_lo, 0, v80
	v_cmp_eq_f32_e64 s0, 0, v81
	s_and_b32 s0, vcc_lo, s0
	s_delay_alu instid0(SALU_CYCLE_1) | instskip(NEXT) | instid1(SALU_CYCLE_1)
	s_and_saveexec_b32 s1, s0
	s_xor_b32 s0, exec_lo, s1
; %bb.549:
	v_cmp_ne_u32_e32 vcc_lo, 0, v86
	v_cndmask_b32_e32 v86, 27, v86, vcc_lo
; %bb.550:
	s_and_not1_saveexec_b32 s0, s0
	s_cbranch_execz .LBB72_556
; %bb.551:
	v_cmp_ngt_f32_e64 s1, |v80|, |v81|
	s_and_saveexec_b32 s12, s1
	s_delay_alu instid0(SALU_CYCLE_1)
	s_xor_b32 s1, exec_lo, s12
	s_cbranch_execz .LBB72_553
; %bb.552:
	v_div_scale_f32 v83, null, v81, v81, v80
	v_div_scale_f32 v91, vcc_lo, v80, v81, v80
	s_delay_alu instid0(VALU_DEP_2) | instskip(SKIP_1) | instid1(TRANS32_DEP_1)
	v_rcp_f32_e32 v89, v83
	v_nop
	v_fma_f32 v90, -v83, v89, 1.0
	s_delay_alu instid0(VALU_DEP_1) | instskip(NEXT) | instid1(VALU_DEP_1)
	v_fmac_f32_e32 v89, v90, v89
	v_mul_f32_e32 v90, v91, v89
	s_delay_alu instid0(VALU_DEP_1) | instskip(NEXT) | instid1(VALU_DEP_1)
	v_fma_f32 v92, -v83, v90, v91
	v_fmac_f32_e32 v90, v92, v89
	s_delay_alu instid0(VALU_DEP_1) | instskip(NEXT) | instid1(VALU_DEP_1)
	v_fma_f32 v83, -v83, v90, v91
	v_div_fmas_f32 v83, v83, v89, v90
	s_delay_alu instid0(VALU_DEP_1) | instskip(NEXT) | instid1(VALU_DEP_1)
	v_div_fixup_f32 v83, v83, v81, v80
	v_fmac_f32_e32 v81, v80, v83
	s_delay_alu instid0(VALU_DEP_1) | instskip(SKIP_1) | instid1(VALU_DEP_2)
	v_div_scale_f32 v80, null, v81, v81, 1.0
	v_div_scale_f32 v91, vcc_lo, 1.0, v81, 1.0
	v_rcp_f32_e32 v89, v80
	v_nop
	s_delay_alu instid0(TRANS32_DEP_1) | instskip(NEXT) | instid1(VALU_DEP_1)
	v_fma_f32 v90, -v80, v89, 1.0
	v_fmac_f32_e32 v89, v90, v89
	s_delay_alu instid0(VALU_DEP_1) | instskip(NEXT) | instid1(VALU_DEP_1)
	v_mul_f32_e32 v90, v91, v89
	v_fma_f32 v92, -v80, v90, v91
	s_delay_alu instid0(VALU_DEP_1) | instskip(NEXT) | instid1(VALU_DEP_1)
	v_fmac_f32_e32 v90, v92, v89
	v_fma_f32 v80, -v80, v90, v91
	s_delay_alu instid0(VALU_DEP_1) | instskip(NEXT) | instid1(VALU_DEP_1)
	v_div_fmas_f32 v80, v80, v89, v90
	v_div_fixup_f32 v81, v80, v81, 1.0
	s_delay_alu instid0(VALU_DEP_1)
	v_mul_f32_e32 v80, v83, v81
	v_xor_b32_e32 v81, 0x80000000, v81
.LBB72_553:
	s_and_not1_saveexec_b32 s1, s1
	s_cbranch_execz .LBB72_555
; %bb.554:
	s_delay_alu instid0(VALU_DEP_1) | instskip(SKIP_1) | instid1(VALU_DEP_2)
	v_div_scale_f32 v83, null, v80, v80, v81
	v_div_scale_f32 v91, vcc_lo, v81, v80, v81
	v_rcp_f32_e32 v89, v83
	v_nop
	s_delay_alu instid0(TRANS32_DEP_1) | instskip(NEXT) | instid1(VALU_DEP_1)
	v_fma_f32 v90, -v83, v89, 1.0
	v_fmac_f32_e32 v89, v90, v89
	s_delay_alu instid0(VALU_DEP_1) | instskip(NEXT) | instid1(VALU_DEP_1)
	v_mul_f32_e32 v90, v91, v89
	v_fma_f32 v92, -v83, v90, v91
	s_delay_alu instid0(VALU_DEP_1) | instskip(NEXT) | instid1(VALU_DEP_1)
	v_fmac_f32_e32 v90, v92, v89
	v_fma_f32 v83, -v83, v90, v91
	s_delay_alu instid0(VALU_DEP_1) | instskip(NEXT) | instid1(VALU_DEP_1)
	v_div_fmas_f32 v83, v83, v89, v90
	v_div_fixup_f32 v83, v83, v80, v81
	s_delay_alu instid0(VALU_DEP_1) | instskip(NEXT) | instid1(VALU_DEP_1)
	v_fmac_f32_e32 v80, v81, v83
	v_div_scale_f32 v81, null, v80, v80, 1.0
	s_delay_alu instid0(VALU_DEP_1) | instskip(SKIP_1) | instid1(TRANS32_DEP_1)
	v_rcp_f32_e32 v89, v81
	v_nop
	v_fma_f32 v90, -v81, v89, 1.0
	s_delay_alu instid0(VALU_DEP_1) | instskip(SKIP_1) | instid1(VALU_DEP_1)
	v_fmac_f32_e32 v89, v90, v89
	v_div_scale_f32 v90, vcc_lo, 1.0, v80, 1.0
	v_mul_f32_e32 v91, v90, v89
	s_delay_alu instid0(VALU_DEP_1) | instskip(NEXT) | instid1(VALU_DEP_1)
	v_fma_f32 v92, -v81, v91, v90
	v_fmac_f32_e32 v91, v92, v89
	s_delay_alu instid0(VALU_DEP_1) | instskip(NEXT) | instid1(VALU_DEP_1)
	v_fma_f32 v81, -v81, v91, v90
	v_div_fmas_f32 v81, v81, v89, v91
	s_delay_alu instid0(VALU_DEP_1) | instskip(NEXT) | instid1(VALU_DEP_1)
	v_div_fixup_f32 v80, v81, v80, 1.0
	v_mul_f32_e64 v81, v83, -v80
.LBB72_555:
	s_or_b32 exec_lo, exec_lo, s1
.LBB72_556:
	s_delay_alu instid0(SALU_CYCLE_1) | instskip(NEXT) | instid1(SALU_CYCLE_1)
	s_or_b32 exec_lo, exec_lo, s0
	s_mov_b32 s0, exec_lo
	v_cmpx_ne_u32_e64 v88, v82
	s_xor_b32 s0, exec_lo, s0
	s_cbranch_execz .LBB72_562
; %bb.557:
	s_mov_b32 s1, exec_lo
	v_cmpx_eq_u32_e32 26, v88
	s_cbranch_execz .LBB72_561
; %bb.558:
	v_cmp_ne_u32_e32 vcc_lo, 26, v82
	s_xor_b32 s12, s16, -1
	s_delay_alu instid0(SALU_CYCLE_1) | instskip(NEXT) | instid1(SALU_CYCLE_1)
	s_and_b32 s13, s12, vcc_lo
	s_and_saveexec_b32 s12, s13
	s_cbranch_execz .LBB72_560
; %bb.559:
	v_ashrrev_i32_e32 v83, 31, v82
	s_delay_alu instid0(VALU_DEP_1)
	v_lshl_add_u64 v[88:89], v[82:83], 2, v[4:5]
	s_clause 0x1
	global_load_b32 v83, v[88:89], off
	global_load_b32 v87, v[4:5], off offset:104
	s_wait_loadcnt 0x1
	global_store_b32 v[4:5], v83, off offset:104
	s_wait_loadcnt 0x0
	global_store_b32 v[88:89], v87, off
.LBB72_560:
	s_wait_xcnt 0x0
	s_or_b32 exec_lo, exec_lo, s12
	v_dual_mov_b32 v88, v82 :: v_dual_mov_b32 v87, v82
.LBB72_561:
	s_or_b32 exec_lo, exec_lo, s1
.LBB72_562:
	s_and_not1_saveexec_b32 s0, s0
	s_cbranch_execz .LBB72_564
; %bb.563:
	v_mov_b32_e32 v88, 26
	ds_store_2addr_b64 v84, v[44:45], v[14:15] offset0:27 offset1:28
	ds_store_2addr_b64 v84, v[10:11], v[12:13] offset0:29 offset1:30
	ds_store_2addr_b64 v84, v[8:9], v[6:7] offset0:31 offset1:32
	ds_store_2addr_b64 v84, v[52:53], v[34:35] offset0:33 offset1:34
	ds_store_2addr_b64 v84, v[16:17], v[78:79] offset0:35 offset1:36
.LBB72_564:
	s_or_b32 exec_lo, exec_lo, s0
	s_delay_alu instid0(SALU_CYCLE_1)
	s_mov_b32 s0, exec_lo
	s_wait_storecnt_dscnt 0x0
	s_barrier_signal -1
	s_barrier_wait -1
	v_cmpx_lt_i32_e32 26, v88
	s_cbranch_execz .LBB72_566
; %bb.565:
	v_pk_mul_f32 v[82:83], v[80:81], v[48:49] op_sel:[1,1] op_sel_hi:[0,1]
	s_delay_alu instid0(VALU_DEP_1)
	v_pk_fma_f32 v[90:91], v[80:81], v[48:49], v[82:83] op_sel_hi:[1,0,1] neg_lo:[0,0,1] neg_hi:[0,0,1]
	v_pk_fma_f32 v[92:93], v[80:81], v[48:49], v[82:83] op_sel_hi:[1,0,1]
	ds_load_2addr_b64 v[80:83], v84 offset0:27 offset1:28
	v_dual_mov_b32 v48, v90 :: v_dual_mov_b32 v49, v93
	s_wait_dscnt 0x0
	v_pk_mul_f32 v[94:95], v[80:81], v[92:93] op_sel:[0,1]
	s_delay_alu instid0(VALU_DEP_1) | instskip(SKIP_1) | instid1(VALU_DEP_1)
	v_pk_fma_f32 v[96:97], v[80:81], v[90:91], v[94:95] op_sel:[0,0,1] op_sel_hi:[1,1,0] neg_lo:[0,0,1] neg_hi:[0,0,1]
	v_pk_fma_f32 v[80:81], v[80:81], v[90:91], v[94:95] op_sel:[0,0,1] op_sel_hi:[1,0,0]
	v_mov_b32_e32 v97, v81
	v_pk_mul_f32 v[80:81], v[82:83], v[92:93] op_sel:[0,1]
	s_delay_alu instid0(VALU_DEP_1) | instskip(SKIP_1) | instid1(VALU_DEP_1)
	v_pk_fma_f32 v[94:95], v[82:83], v[90:91], v[80:81] op_sel:[0,0,1] op_sel_hi:[1,1,0] neg_lo:[0,0,1] neg_hi:[0,0,1]
	v_pk_fma_f32 v[80:81], v[82:83], v[90:91], v[80:81] op_sel:[0,0,1] op_sel_hi:[1,0,0]
	v_mov_b32_e32 v95, v81
	ds_load_2addr_b64 v[80:83], v84 offset0:29 offset1:30
	v_pk_add_f32 v[44:45], v[44:45], v[96:97] neg_lo:[0,1] neg_hi:[0,1]
	v_pk_add_f32 v[14:15], v[14:15], v[94:95] neg_lo:[0,1] neg_hi:[0,1]
	s_wait_dscnt 0x0
	v_pk_mul_f32 v[94:95], v[80:81], v[92:93] op_sel:[0,1]
	s_delay_alu instid0(VALU_DEP_1) | instskip(SKIP_2) | instid1(VALU_DEP_2)
	v_pk_fma_f32 v[96:97], v[80:81], v[90:91], v[94:95] op_sel:[0,0,1] op_sel_hi:[1,1,0] neg_lo:[0,0,1] neg_hi:[0,0,1]
	v_pk_fma_f32 v[80:81], v[80:81], v[90:91], v[94:95] op_sel:[0,0,1] op_sel_hi:[1,0,0]
	v_dual_mul_f32 v94, v83, v93 :: v_dual_mov_b32 v80, v83
	v_dual_mov_b32 v97, v81 :: v_dual_mov_b32 v81, v82
	s_delay_alu instid0(VALU_DEP_2) | instskip(SKIP_1) | instid1(VALU_DEP_3)
	v_pk_fma_f32 v[94:95], v[82:83], v[48:49], v[94:95] op_sel_hi:[1,1,0] neg_lo:[0,0,1] neg_hi:[0,0,1]
	v_mul_f32_e32 v82, v83, v90
	v_pk_add_f32 v[10:11], v[10:11], v[96:97] neg_lo:[0,1] neg_hi:[0,1]
	s_delay_alu instid0(VALU_DEP_2) | instskip(NEXT) | instid1(VALU_DEP_1)
	v_pk_fma_f32 v[80:81], v[80:81], v[48:49], v[82:83] op_sel_hi:[1,1,0]
	v_mov_b32_e32 v95, v81
	ds_load_2addr_b64 v[80:83], v84 offset0:31 offset1:32
	v_pk_add_f32 v[12:13], v[12:13], v[94:95] neg_lo:[0,1] neg_hi:[0,1]
	s_wait_dscnt 0x0
	v_pk_mul_f32 v[94:95], v[80:81], v[92:93] op_sel:[0,1]
	s_delay_alu instid0(VALU_DEP_1) | instskip(SKIP_1) | instid1(VALU_DEP_1)
	v_pk_fma_f32 v[96:97], v[80:81], v[90:91], v[94:95] op_sel:[0,0,1] op_sel_hi:[1,1,0] neg_lo:[0,0,1] neg_hi:[0,0,1]
	v_pk_fma_f32 v[80:81], v[80:81], v[90:91], v[94:95] op_sel:[0,0,1] op_sel_hi:[1,0,0]
	v_mov_b32_e32 v97, v81
	v_pk_mul_f32 v[80:81], v[82:83], v[92:93] op_sel:[0,1]
	s_delay_alu instid0(VALU_DEP_1) | instskip(SKIP_1) | instid1(VALU_DEP_1)
	v_pk_fma_f32 v[94:95], v[82:83], v[90:91], v[80:81] op_sel:[0,0,1] op_sel_hi:[1,1,0] neg_lo:[0,0,1] neg_hi:[0,0,1]
	v_pk_fma_f32 v[80:81], v[82:83], v[90:91], v[80:81] op_sel:[0,0,1] op_sel_hi:[1,0,0]
	v_mov_b32_e32 v95, v81
	ds_load_2addr_b64 v[80:83], v84 offset0:33 offset1:34
	v_pk_add_f32 v[8:9], v[8:9], v[96:97] neg_lo:[0,1] neg_hi:[0,1]
	v_pk_add_f32 v[6:7], v[6:7], v[94:95] neg_lo:[0,1] neg_hi:[0,1]
	s_wait_dscnt 0x0
	v_pk_mul_f32 v[94:95], v[80:81], v[92:93] op_sel:[0,1]
	s_delay_alu instid0(VALU_DEP_1) | instskip(SKIP_1) | instid1(VALU_DEP_1)
	v_pk_fma_f32 v[96:97], v[80:81], v[90:91], v[94:95] op_sel:[0,0,1] op_sel_hi:[1,1,0] neg_lo:[0,0,1] neg_hi:[0,0,1]
	v_pk_fma_f32 v[80:81], v[80:81], v[90:91], v[94:95] op_sel:[0,0,1] op_sel_hi:[1,0,0]
	v_mov_b32_e32 v97, v81
	v_pk_mul_f32 v[80:81], v[82:83], v[92:93] op_sel:[0,1]
	s_delay_alu instid0(VALU_DEP_1) | instskip(SKIP_1) | instid1(VALU_DEP_1)
	v_pk_fma_f32 v[94:95], v[82:83], v[90:91], v[80:81] op_sel:[0,0,1] op_sel_hi:[1,1,0] neg_lo:[0,0,1] neg_hi:[0,0,1]
	v_pk_fma_f32 v[80:81], v[82:83], v[90:91], v[80:81] op_sel:[0,0,1] op_sel_hi:[1,0,0]
	v_mov_b32_e32 v95, v81
	ds_load_2addr_b64 v[80:83], v84 offset0:35 offset1:36
	v_pk_add_f32 v[52:53], v[52:53], v[96:97] neg_lo:[0,1] neg_hi:[0,1]
	v_pk_add_f32 v[34:35], v[34:35], v[94:95] neg_lo:[0,1] neg_hi:[0,1]
	s_wait_dscnt 0x0
	v_dual_mul_f32 v94, v81, v93 :: v_dual_mul_f32 v96, v81, v90
	s_delay_alu instid0(VALU_DEP_1) | instskip(NEXT) | instid1(VALU_DEP_2)
	v_pk_fma_f32 v[94:95], v[80:81], v[48:49], v[94:95] op_sel_hi:[1,1,0] neg_lo:[0,0,1] neg_hi:[0,0,1]
	v_pk_fma_f32 v[80:81], v[80:81], v[48:49], v[96:97] op_sel:[1,0,0] op_sel_hi:[0,1,0]
	s_delay_alu instid0(VALU_DEP_1) | instskip(SKIP_1) | instid1(VALU_DEP_1)
	v_mov_b32_e32 v95, v81
	v_pk_mul_f32 v[80:81], v[82:83], v[92:93] op_sel:[0,1]
	v_pk_fma_f32 v[92:93], v[82:83], v[90:91], v[80:81] op_sel:[0,0,1] op_sel_hi:[1,1,0] neg_lo:[0,0,1] neg_hi:[0,0,1]
	v_pk_fma_f32 v[80:81], v[82:83], v[90:91], v[80:81] op_sel:[0,0,1] op_sel_hi:[1,0,0]
	s_delay_alu instid0(VALU_DEP_1) | instskip(SKIP_1) | instid1(VALU_DEP_2)
	v_mov_b32_e32 v93, v81
	v_pk_add_f32 v[16:17], v[16:17], v[94:95] neg_lo:[0,1] neg_hi:[0,1]
	v_pk_add_f32 v[78:79], v[78:79], v[92:93] neg_lo:[0,1] neg_hi:[0,1]
.LBB72_566:
	s_or_b32 exec_lo, exec_lo, s0
	v_lshl_add_u32 v80, v88, 3, v84
	s_barrier_signal -1
	s_barrier_wait -1
	ds_store_b64 v80, v[44:45]
	s_wait_dscnt 0x0
	s_barrier_signal -1
	s_barrier_wait -1
	ds_load_b64 v[80:81], v84 offset:216
	v_mov_b32_e32 v82, 27
	s_cmp_lt_i32 s18, 29
	s_cbranch_scc1 .LBB72_569
; %bb.567:
	v_add3_u32 v83, v85, 0, 0xe0
	v_mov_b32_e32 v82, 27
	s_mov_b32 s0, 28
.LBB72_568:                             ; =>This Inner Loop Header: Depth=1
	ds_load_b64 v[90:91], v83
	s_wait_dscnt 0x1
	v_cmp_gt_f32_e32 vcc_lo, 0, v80
	v_cndmask_b32_e64 v92, v80, -v80, vcc_lo
	v_cmp_gt_f32_e32 vcc_lo, 0, v81
	v_cndmask_b32_e64 v94, v81, -v81, vcc_lo
	s_wait_dscnt 0x0
	v_cmp_gt_f32_e32 vcc_lo, 0, v90
	v_cndmask_b32_e64 v93, v90, -v90, vcc_lo
	v_cmp_gt_f32_e32 vcc_lo, 0, v91
	v_cndmask_b32_e64 v95, v91, -v91, vcc_lo
	s_delay_alu instid0(VALU_DEP_1) | instskip(NEXT) | instid1(VALU_DEP_1)
	v_pk_add_f32 v[92:93], v[92:93], v[94:95]
	v_cmp_lt_f32_e32 vcc_lo, v92, v93
	v_dual_cndmask_b32 v80, v80, v90 :: v_dual_add_nc_u32 v83, 8, v83
	v_cndmask_b32_e32 v81, v81, v91, vcc_lo
	v_cndmask_b32_e64 v82, v82, s0, vcc_lo
	s_add_co_i32 s0, s0, 1
	s_delay_alu instid0(SALU_CYCLE_1)
	s_cmp_lg_u32 s18, s0
	s_cbranch_scc1 .LBB72_568
.LBB72_569:
	s_wait_dscnt 0x0
	v_cmp_eq_f32_e32 vcc_lo, 0, v80
	v_cmp_eq_f32_e64 s0, 0, v81
	s_and_b32 s0, vcc_lo, s0
	s_delay_alu instid0(SALU_CYCLE_1) | instskip(NEXT) | instid1(SALU_CYCLE_1)
	s_and_saveexec_b32 s1, s0
	s_xor_b32 s0, exec_lo, s1
; %bb.570:
	v_cmp_ne_u32_e32 vcc_lo, 0, v86
	v_cndmask_b32_e32 v86, 28, v86, vcc_lo
; %bb.571:
	s_and_not1_saveexec_b32 s0, s0
	s_cbranch_execz .LBB72_577
; %bb.572:
	v_cmp_ngt_f32_e64 s1, |v80|, |v81|
	s_and_saveexec_b32 s12, s1
	s_delay_alu instid0(SALU_CYCLE_1)
	s_xor_b32 s1, exec_lo, s12
	s_cbranch_execz .LBB72_574
; %bb.573:
	v_div_scale_f32 v83, null, v81, v81, v80
	v_div_scale_f32 v91, vcc_lo, v80, v81, v80
	s_delay_alu instid0(VALU_DEP_2) | instskip(SKIP_1) | instid1(TRANS32_DEP_1)
	v_rcp_f32_e32 v89, v83
	v_nop
	v_fma_f32 v90, -v83, v89, 1.0
	s_delay_alu instid0(VALU_DEP_1) | instskip(NEXT) | instid1(VALU_DEP_1)
	v_fmac_f32_e32 v89, v90, v89
	v_mul_f32_e32 v90, v91, v89
	s_delay_alu instid0(VALU_DEP_1) | instskip(NEXT) | instid1(VALU_DEP_1)
	v_fma_f32 v92, -v83, v90, v91
	v_fmac_f32_e32 v90, v92, v89
	s_delay_alu instid0(VALU_DEP_1) | instskip(NEXT) | instid1(VALU_DEP_1)
	v_fma_f32 v83, -v83, v90, v91
	v_div_fmas_f32 v83, v83, v89, v90
	s_delay_alu instid0(VALU_DEP_1) | instskip(NEXT) | instid1(VALU_DEP_1)
	v_div_fixup_f32 v83, v83, v81, v80
	v_fmac_f32_e32 v81, v80, v83
	s_delay_alu instid0(VALU_DEP_1) | instskip(SKIP_1) | instid1(VALU_DEP_2)
	v_div_scale_f32 v80, null, v81, v81, 1.0
	v_div_scale_f32 v91, vcc_lo, 1.0, v81, 1.0
	v_rcp_f32_e32 v89, v80
	v_nop
	s_delay_alu instid0(TRANS32_DEP_1) | instskip(NEXT) | instid1(VALU_DEP_1)
	v_fma_f32 v90, -v80, v89, 1.0
	v_fmac_f32_e32 v89, v90, v89
	s_delay_alu instid0(VALU_DEP_1) | instskip(NEXT) | instid1(VALU_DEP_1)
	v_mul_f32_e32 v90, v91, v89
	v_fma_f32 v92, -v80, v90, v91
	s_delay_alu instid0(VALU_DEP_1) | instskip(NEXT) | instid1(VALU_DEP_1)
	v_fmac_f32_e32 v90, v92, v89
	v_fma_f32 v80, -v80, v90, v91
	s_delay_alu instid0(VALU_DEP_1) | instskip(NEXT) | instid1(VALU_DEP_1)
	v_div_fmas_f32 v80, v80, v89, v90
	v_div_fixup_f32 v81, v80, v81, 1.0
	s_delay_alu instid0(VALU_DEP_1)
	v_mul_f32_e32 v80, v83, v81
	v_xor_b32_e32 v81, 0x80000000, v81
.LBB72_574:
	s_and_not1_saveexec_b32 s1, s1
	s_cbranch_execz .LBB72_576
; %bb.575:
	s_delay_alu instid0(VALU_DEP_1) | instskip(SKIP_1) | instid1(VALU_DEP_2)
	v_div_scale_f32 v83, null, v80, v80, v81
	v_div_scale_f32 v91, vcc_lo, v81, v80, v81
	v_rcp_f32_e32 v89, v83
	v_nop
	s_delay_alu instid0(TRANS32_DEP_1) | instskip(NEXT) | instid1(VALU_DEP_1)
	v_fma_f32 v90, -v83, v89, 1.0
	v_fmac_f32_e32 v89, v90, v89
	s_delay_alu instid0(VALU_DEP_1) | instskip(NEXT) | instid1(VALU_DEP_1)
	v_mul_f32_e32 v90, v91, v89
	v_fma_f32 v92, -v83, v90, v91
	s_delay_alu instid0(VALU_DEP_1) | instskip(NEXT) | instid1(VALU_DEP_1)
	v_fmac_f32_e32 v90, v92, v89
	v_fma_f32 v83, -v83, v90, v91
	s_delay_alu instid0(VALU_DEP_1) | instskip(NEXT) | instid1(VALU_DEP_1)
	v_div_fmas_f32 v83, v83, v89, v90
	v_div_fixup_f32 v83, v83, v80, v81
	s_delay_alu instid0(VALU_DEP_1) | instskip(NEXT) | instid1(VALU_DEP_1)
	v_fmac_f32_e32 v80, v81, v83
	v_div_scale_f32 v81, null, v80, v80, 1.0
	s_delay_alu instid0(VALU_DEP_1) | instskip(SKIP_1) | instid1(TRANS32_DEP_1)
	v_rcp_f32_e32 v89, v81
	v_nop
	v_fma_f32 v90, -v81, v89, 1.0
	s_delay_alu instid0(VALU_DEP_1) | instskip(SKIP_1) | instid1(VALU_DEP_1)
	v_fmac_f32_e32 v89, v90, v89
	v_div_scale_f32 v90, vcc_lo, 1.0, v80, 1.0
	v_mul_f32_e32 v91, v90, v89
	s_delay_alu instid0(VALU_DEP_1) | instskip(NEXT) | instid1(VALU_DEP_1)
	v_fma_f32 v92, -v81, v91, v90
	v_fmac_f32_e32 v91, v92, v89
	s_delay_alu instid0(VALU_DEP_1) | instskip(NEXT) | instid1(VALU_DEP_1)
	v_fma_f32 v81, -v81, v91, v90
	v_div_fmas_f32 v81, v81, v89, v91
	s_delay_alu instid0(VALU_DEP_1) | instskip(NEXT) | instid1(VALU_DEP_1)
	v_div_fixup_f32 v80, v81, v80, 1.0
	v_mul_f32_e64 v81, v83, -v80
.LBB72_576:
	s_or_b32 exec_lo, exec_lo, s1
.LBB72_577:
	s_delay_alu instid0(SALU_CYCLE_1) | instskip(NEXT) | instid1(SALU_CYCLE_1)
	s_or_b32 exec_lo, exec_lo, s0
	s_mov_b32 s0, exec_lo
	v_cmpx_ne_u32_e64 v88, v82
	s_xor_b32 s0, exec_lo, s0
	s_cbranch_execz .LBB72_583
; %bb.578:
	s_mov_b32 s1, exec_lo
	v_cmpx_eq_u32_e32 27, v88
	s_cbranch_execz .LBB72_582
; %bb.579:
	v_cmp_ne_u32_e32 vcc_lo, 27, v82
	s_xor_b32 s12, s16, -1
	s_delay_alu instid0(SALU_CYCLE_1) | instskip(NEXT) | instid1(SALU_CYCLE_1)
	s_and_b32 s13, s12, vcc_lo
	s_and_saveexec_b32 s12, s13
	s_cbranch_execz .LBB72_581
; %bb.580:
	v_ashrrev_i32_e32 v83, 31, v82
	s_delay_alu instid0(VALU_DEP_1)
	v_lshl_add_u64 v[88:89], v[82:83], 2, v[4:5]
	s_clause 0x1
	global_load_b32 v83, v[88:89], off
	global_load_b32 v87, v[4:5], off offset:108
	s_wait_loadcnt 0x1
	global_store_b32 v[4:5], v83, off offset:108
	s_wait_loadcnt 0x0
	global_store_b32 v[88:89], v87, off
.LBB72_581:
	s_wait_xcnt 0x0
	s_or_b32 exec_lo, exec_lo, s12
	v_dual_mov_b32 v88, v82 :: v_dual_mov_b32 v87, v82
.LBB72_582:
	s_or_b32 exec_lo, exec_lo, s1
.LBB72_583:
	s_and_not1_saveexec_b32 s0, s0
	s_cbranch_execz .LBB72_585
; %bb.584:
	v_dual_mov_b32 v82, v14 :: v_dual_mov_b32 v83, v15
	v_dual_mov_b32 v90, v10 :: v_dual_mov_b32 v91, v11
	;; [unrolled: 1-line block ×8, first 2 shown]
	v_mov_b32_e32 v103, v17
	ds_store_2addr_b64 v84, v[82:83], v[90:91] offset0:28 offset1:29
	ds_store_2addr_b64 v84, v[92:93], v[94:95] offset0:30 offset1:31
	;; [unrolled: 1-line block ×4, first 2 shown]
	ds_store_b64 v84, v[78:79] offset:288
.LBB72_585:
	s_or_b32 exec_lo, exec_lo, s0
	s_delay_alu instid0(SALU_CYCLE_1)
	s_mov_b32 s0, exec_lo
	s_wait_storecnt_dscnt 0x0
	s_barrier_signal -1
	s_barrier_wait -1
	v_cmpx_lt_i32_e32 27, v88
	s_cbranch_execz .LBB72_587
; %bb.586:
	v_pk_mul_f32 v[82:83], v[80:81], v[44:45] op_sel:[1,1] op_sel_hi:[0,1]
	s_delay_alu instid0(VALU_DEP_1)
	v_pk_fma_f32 v[90:91], v[80:81], v[44:45], v[82:83] op_sel_hi:[1,0,1] neg_lo:[0,0,1] neg_hi:[0,0,1]
	v_pk_fma_f32 v[92:93], v[80:81], v[44:45], v[82:83] op_sel_hi:[1,0,1]
	ds_load_2addr_b64 v[80:83], v84 offset0:28 offset1:29
	v_dual_mov_b32 v44, v90 :: v_dual_mov_b32 v45, v93
	s_wait_dscnt 0x0
	v_pk_mul_f32 v[94:95], v[80:81], v[92:93] op_sel:[0,1]
	s_delay_alu instid0(VALU_DEP_1) | instskip(SKIP_1) | instid1(VALU_DEP_1)
	v_pk_fma_f32 v[96:97], v[80:81], v[90:91], v[94:95] op_sel:[0,0,1] op_sel_hi:[1,1,0] neg_lo:[0,0,1] neg_hi:[0,0,1]
	v_pk_fma_f32 v[80:81], v[80:81], v[90:91], v[94:95] op_sel:[0,0,1] op_sel_hi:[1,0,0]
	v_mov_b32_e32 v97, v81
	v_pk_mul_f32 v[80:81], v[82:83], v[92:93] op_sel:[0,1]
	s_delay_alu instid0(VALU_DEP_1) | instskip(SKIP_1) | instid1(VALU_DEP_1)
	v_pk_fma_f32 v[94:95], v[82:83], v[90:91], v[80:81] op_sel:[0,0,1] op_sel_hi:[1,1,0] neg_lo:[0,0,1] neg_hi:[0,0,1]
	v_pk_fma_f32 v[80:81], v[82:83], v[90:91], v[80:81] op_sel:[0,0,1] op_sel_hi:[1,0,0]
	v_mov_b32_e32 v95, v81
	ds_load_2addr_b64 v[80:83], v84 offset0:30 offset1:31
	v_pk_add_f32 v[14:15], v[14:15], v[96:97] neg_lo:[0,1] neg_hi:[0,1]
	v_pk_add_f32 v[10:11], v[10:11], v[94:95] neg_lo:[0,1] neg_hi:[0,1]
	s_wait_dscnt 0x0
	v_pk_mul_f32 v[94:95], v[80:81], v[92:93] op_sel:[0,1]
	s_delay_alu instid0(VALU_DEP_1) | instskip(SKIP_2) | instid1(VALU_DEP_2)
	v_pk_fma_f32 v[96:97], v[80:81], v[90:91], v[94:95] op_sel:[0,0,1] op_sel_hi:[1,1,0] neg_lo:[0,0,1] neg_hi:[0,0,1]
	v_pk_fma_f32 v[80:81], v[80:81], v[90:91], v[94:95] op_sel:[0,0,1] op_sel_hi:[1,0,0]
	v_dual_mul_f32 v94, v83, v93 :: v_dual_mov_b32 v80, v83
	v_dual_mov_b32 v97, v81 :: v_dual_mov_b32 v81, v82
	s_delay_alu instid0(VALU_DEP_2) | instskip(SKIP_1) | instid1(VALU_DEP_3)
	v_pk_fma_f32 v[94:95], v[82:83], v[44:45], v[94:95] op_sel_hi:[1,1,0] neg_lo:[0,0,1] neg_hi:[0,0,1]
	v_mul_f32_e32 v82, v83, v90
	v_pk_add_f32 v[12:13], v[12:13], v[96:97] neg_lo:[0,1] neg_hi:[0,1]
	s_delay_alu instid0(VALU_DEP_2) | instskip(NEXT) | instid1(VALU_DEP_1)
	v_pk_fma_f32 v[80:81], v[80:81], v[44:45], v[82:83] op_sel_hi:[1,1,0]
	v_mov_b32_e32 v95, v81
	ds_load_2addr_b64 v[80:83], v84 offset0:32 offset1:33
	v_pk_add_f32 v[8:9], v[8:9], v[94:95] neg_lo:[0,1] neg_hi:[0,1]
	s_wait_dscnt 0x0
	v_pk_mul_f32 v[94:95], v[80:81], v[92:93] op_sel:[0,1]
	s_delay_alu instid0(VALU_DEP_1) | instskip(SKIP_1) | instid1(VALU_DEP_1)
	v_pk_fma_f32 v[96:97], v[80:81], v[90:91], v[94:95] op_sel:[0,0,1] op_sel_hi:[1,1,0] neg_lo:[0,0,1] neg_hi:[0,0,1]
	v_pk_fma_f32 v[80:81], v[80:81], v[90:91], v[94:95] op_sel:[0,0,1] op_sel_hi:[1,0,0]
	v_mov_b32_e32 v97, v81
	v_pk_mul_f32 v[80:81], v[82:83], v[92:93] op_sel:[0,1]
	s_delay_alu instid0(VALU_DEP_1) | instskip(SKIP_1) | instid1(VALU_DEP_1)
	v_pk_fma_f32 v[94:95], v[82:83], v[90:91], v[80:81] op_sel:[0,0,1] op_sel_hi:[1,1,0] neg_lo:[0,0,1] neg_hi:[0,0,1]
	v_pk_fma_f32 v[80:81], v[82:83], v[90:91], v[80:81] op_sel:[0,0,1] op_sel_hi:[1,0,0]
	v_mov_b32_e32 v95, v81
	ds_load_2addr_b64 v[80:83], v84 offset0:34 offset1:35
	v_pk_add_f32 v[6:7], v[6:7], v[96:97] neg_lo:[0,1] neg_hi:[0,1]
	v_pk_add_f32 v[52:53], v[52:53], v[94:95] neg_lo:[0,1] neg_hi:[0,1]
	s_wait_dscnt 0x0
	v_pk_mul_f32 v[94:95], v[80:81], v[92:93] op_sel:[0,1]
	s_delay_alu instid0(VALU_DEP_1) | instskip(SKIP_1) | instid1(VALU_DEP_1)
	v_pk_fma_f32 v[96:97], v[80:81], v[90:91], v[94:95] op_sel:[0,0,1] op_sel_hi:[1,1,0] neg_lo:[0,0,1] neg_hi:[0,0,1]
	v_pk_fma_f32 v[80:81], v[80:81], v[90:91], v[94:95] op_sel:[0,0,1] op_sel_hi:[1,0,0]
	v_mov_b32_e32 v97, v81
	v_pk_mul_f32 v[80:81], v[82:83], v[92:93] op_sel:[0,1]
	s_delay_alu instid0(VALU_DEP_1) | instskip(SKIP_1) | instid1(VALU_DEP_1)
	v_pk_fma_f32 v[94:95], v[82:83], v[90:91], v[80:81] op_sel:[0,0,1] op_sel_hi:[1,1,0] neg_lo:[0,0,1] neg_hi:[0,0,1]
	v_pk_fma_f32 v[80:81], v[82:83], v[90:91], v[80:81] op_sel:[0,0,1] op_sel_hi:[1,0,0]
	v_mov_b32_e32 v95, v81
	ds_load_b64 v[80:81], v84 offset:288
	v_pk_add_f32 v[34:35], v[34:35], v[96:97] neg_lo:[0,1] neg_hi:[0,1]
	v_pk_add_f32 v[16:17], v[16:17], v[94:95] neg_lo:[0,1] neg_hi:[0,1]
	s_wait_dscnt 0x0
	v_pk_mul_f32 v[82:83], v[80:81], v[92:93] op_sel:[0,1]
	s_delay_alu instid0(VALU_DEP_1) | instskip(SKIP_1) | instid1(VALU_DEP_1)
	v_pk_fma_f32 v[92:93], v[80:81], v[90:91], v[82:83] op_sel:[0,0,1] op_sel_hi:[1,1,0] neg_lo:[0,0,1] neg_hi:[0,0,1]
	v_pk_fma_f32 v[80:81], v[80:81], v[90:91], v[82:83] op_sel:[0,0,1] op_sel_hi:[1,0,0]
	v_mov_b32_e32 v93, v81
	s_delay_alu instid0(VALU_DEP_1)
	v_pk_add_f32 v[78:79], v[78:79], v[92:93] neg_lo:[0,1] neg_hi:[0,1]
.LBB72_587:
	s_or_b32 exec_lo, exec_lo, s0
	v_lshl_add_u32 v80, v88, 3, v84
	s_barrier_signal -1
	s_barrier_wait -1
	ds_store_b64 v80, v[14:15]
	s_wait_dscnt 0x0
	s_barrier_signal -1
	s_barrier_wait -1
	ds_load_b64 v[80:81], v84 offset:224
	v_mov_b32_e32 v82, 28
	s_cmp_lt_i32 s18, 30
	s_cbranch_scc1 .LBB72_590
; %bb.588:
	v_add3_u32 v83, v85, 0, 0xe8
	v_mov_b32_e32 v82, 28
	s_mov_b32 s0, 29
.LBB72_589:                             ; =>This Inner Loop Header: Depth=1
	ds_load_b64 v[90:91], v83
	s_wait_dscnt 0x1
	v_cmp_gt_f32_e32 vcc_lo, 0, v80
	v_cndmask_b32_e64 v92, v80, -v80, vcc_lo
	v_cmp_gt_f32_e32 vcc_lo, 0, v81
	v_cndmask_b32_e64 v94, v81, -v81, vcc_lo
	s_wait_dscnt 0x0
	v_cmp_gt_f32_e32 vcc_lo, 0, v90
	v_cndmask_b32_e64 v93, v90, -v90, vcc_lo
	v_cmp_gt_f32_e32 vcc_lo, 0, v91
	v_cndmask_b32_e64 v95, v91, -v91, vcc_lo
	s_delay_alu instid0(VALU_DEP_1) | instskip(NEXT) | instid1(VALU_DEP_1)
	v_pk_add_f32 v[92:93], v[92:93], v[94:95]
	v_cmp_lt_f32_e32 vcc_lo, v92, v93
	v_dual_cndmask_b32 v80, v80, v90 :: v_dual_add_nc_u32 v83, 8, v83
	v_cndmask_b32_e32 v81, v81, v91, vcc_lo
	v_cndmask_b32_e64 v82, v82, s0, vcc_lo
	s_add_co_i32 s0, s0, 1
	s_delay_alu instid0(SALU_CYCLE_1)
	s_cmp_lg_u32 s18, s0
	s_cbranch_scc1 .LBB72_589
.LBB72_590:
	s_wait_dscnt 0x0
	v_cmp_eq_f32_e32 vcc_lo, 0, v80
	v_cmp_eq_f32_e64 s0, 0, v81
	s_and_b32 s0, vcc_lo, s0
	s_delay_alu instid0(SALU_CYCLE_1) | instskip(NEXT) | instid1(SALU_CYCLE_1)
	s_and_saveexec_b32 s1, s0
	s_xor_b32 s0, exec_lo, s1
; %bb.591:
	v_cmp_ne_u32_e32 vcc_lo, 0, v86
	v_cndmask_b32_e32 v86, 29, v86, vcc_lo
; %bb.592:
	s_and_not1_saveexec_b32 s0, s0
	s_cbranch_execz .LBB72_598
; %bb.593:
	v_cmp_ngt_f32_e64 s1, |v80|, |v81|
	s_and_saveexec_b32 s12, s1
	s_delay_alu instid0(SALU_CYCLE_1)
	s_xor_b32 s1, exec_lo, s12
	s_cbranch_execz .LBB72_595
; %bb.594:
	v_div_scale_f32 v83, null, v81, v81, v80
	v_div_scale_f32 v91, vcc_lo, v80, v81, v80
	s_delay_alu instid0(VALU_DEP_2) | instskip(SKIP_1) | instid1(TRANS32_DEP_1)
	v_rcp_f32_e32 v89, v83
	v_nop
	v_fma_f32 v90, -v83, v89, 1.0
	s_delay_alu instid0(VALU_DEP_1) | instskip(NEXT) | instid1(VALU_DEP_1)
	v_fmac_f32_e32 v89, v90, v89
	v_mul_f32_e32 v90, v91, v89
	s_delay_alu instid0(VALU_DEP_1) | instskip(NEXT) | instid1(VALU_DEP_1)
	v_fma_f32 v92, -v83, v90, v91
	v_fmac_f32_e32 v90, v92, v89
	s_delay_alu instid0(VALU_DEP_1) | instskip(NEXT) | instid1(VALU_DEP_1)
	v_fma_f32 v83, -v83, v90, v91
	v_div_fmas_f32 v83, v83, v89, v90
	s_delay_alu instid0(VALU_DEP_1) | instskip(NEXT) | instid1(VALU_DEP_1)
	v_div_fixup_f32 v83, v83, v81, v80
	v_fmac_f32_e32 v81, v80, v83
	s_delay_alu instid0(VALU_DEP_1) | instskip(SKIP_1) | instid1(VALU_DEP_2)
	v_div_scale_f32 v80, null, v81, v81, 1.0
	v_div_scale_f32 v91, vcc_lo, 1.0, v81, 1.0
	v_rcp_f32_e32 v89, v80
	v_nop
	s_delay_alu instid0(TRANS32_DEP_1) | instskip(NEXT) | instid1(VALU_DEP_1)
	v_fma_f32 v90, -v80, v89, 1.0
	v_fmac_f32_e32 v89, v90, v89
	s_delay_alu instid0(VALU_DEP_1) | instskip(NEXT) | instid1(VALU_DEP_1)
	v_mul_f32_e32 v90, v91, v89
	v_fma_f32 v92, -v80, v90, v91
	s_delay_alu instid0(VALU_DEP_1) | instskip(NEXT) | instid1(VALU_DEP_1)
	v_fmac_f32_e32 v90, v92, v89
	v_fma_f32 v80, -v80, v90, v91
	s_delay_alu instid0(VALU_DEP_1) | instskip(NEXT) | instid1(VALU_DEP_1)
	v_div_fmas_f32 v80, v80, v89, v90
	v_div_fixup_f32 v81, v80, v81, 1.0
	s_delay_alu instid0(VALU_DEP_1)
	v_mul_f32_e32 v80, v83, v81
	v_xor_b32_e32 v81, 0x80000000, v81
.LBB72_595:
	s_and_not1_saveexec_b32 s1, s1
	s_cbranch_execz .LBB72_597
; %bb.596:
	s_delay_alu instid0(VALU_DEP_1) | instskip(SKIP_1) | instid1(VALU_DEP_2)
	v_div_scale_f32 v83, null, v80, v80, v81
	v_div_scale_f32 v91, vcc_lo, v81, v80, v81
	v_rcp_f32_e32 v89, v83
	v_nop
	s_delay_alu instid0(TRANS32_DEP_1) | instskip(NEXT) | instid1(VALU_DEP_1)
	v_fma_f32 v90, -v83, v89, 1.0
	v_fmac_f32_e32 v89, v90, v89
	s_delay_alu instid0(VALU_DEP_1) | instskip(NEXT) | instid1(VALU_DEP_1)
	v_mul_f32_e32 v90, v91, v89
	v_fma_f32 v92, -v83, v90, v91
	s_delay_alu instid0(VALU_DEP_1) | instskip(NEXT) | instid1(VALU_DEP_1)
	v_fmac_f32_e32 v90, v92, v89
	v_fma_f32 v83, -v83, v90, v91
	s_delay_alu instid0(VALU_DEP_1) | instskip(NEXT) | instid1(VALU_DEP_1)
	v_div_fmas_f32 v83, v83, v89, v90
	v_div_fixup_f32 v83, v83, v80, v81
	s_delay_alu instid0(VALU_DEP_1) | instskip(NEXT) | instid1(VALU_DEP_1)
	v_fmac_f32_e32 v80, v81, v83
	v_div_scale_f32 v81, null, v80, v80, 1.0
	s_delay_alu instid0(VALU_DEP_1) | instskip(SKIP_1) | instid1(TRANS32_DEP_1)
	v_rcp_f32_e32 v89, v81
	v_nop
	v_fma_f32 v90, -v81, v89, 1.0
	s_delay_alu instid0(VALU_DEP_1) | instskip(SKIP_1) | instid1(VALU_DEP_1)
	v_fmac_f32_e32 v89, v90, v89
	v_div_scale_f32 v90, vcc_lo, 1.0, v80, 1.0
	v_mul_f32_e32 v91, v90, v89
	s_delay_alu instid0(VALU_DEP_1) | instskip(NEXT) | instid1(VALU_DEP_1)
	v_fma_f32 v92, -v81, v91, v90
	v_fmac_f32_e32 v91, v92, v89
	s_delay_alu instid0(VALU_DEP_1) | instskip(NEXT) | instid1(VALU_DEP_1)
	v_fma_f32 v81, -v81, v91, v90
	v_div_fmas_f32 v81, v81, v89, v91
	s_delay_alu instid0(VALU_DEP_1) | instskip(NEXT) | instid1(VALU_DEP_1)
	v_div_fixup_f32 v80, v81, v80, 1.0
	v_mul_f32_e64 v81, v83, -v80
.LBB72_597:
	s_or_b32 exec_lo, exec_lo, s1
.LBB72_598:
	s_delay_alu instid0(SALU_CYCLE_1) | instskip(NEXT) | instid1(SALU_CYCLE_1)
	s_or_b32 exec_lo, exec_lo, s0
	s_mov_b32 s0, exec_lo
	v_cmpx_ne_u32_e64 v88, v82
	s_xor_b32 s0, exec_lo, s0
	s_cbranch_execz .LBB72_604
; %bb.599:
	s_mov_b32 s1, exec_lo
	v_cmpx_eq_u32_e32 28, v88
	s_cbranch_execz .LBB72_603
; %bb.600:
	v_cmp_ne_u32_e32 vcc_lo, 28, v82
	s_xor_b32 s12, s16, -1
	s_delay_alu instid0(SALU_CYCLE_1) | instskip(NEXT) | instid1(SALU_CYCLE_1)
	s_and_b32 s13, s12, vcc_lo
	s_and_saveexec_b32 s12, s13
	s_cbranch_execz .LBB72_602
; %bb.601:
	v_ashrrev_i32_e32 v83, 31, v82
	s_delay_alu instid0(VALU_DEP_1)
	v_lshl_add_u64 v[88:89], v[82:83], 2, v[4:5]
	s_clause 0x1
	global_load_b32 v83, v[88:89], off
	global_load_b32 v87, v[4:5], off offset:112
	s_wait_loadcnt 0x1
	global_store_b32 v[4:5], v83, off offset:112
	s_wait_loadcnt 0x0
	global_store_b32 v[88:89], v87, off
.LBB72_602:
	s_wait_xcnt 0x0
	s_or_b32 exec_lo, exec_lo, s12
	v_dual_mov_b32 v88, v82 :: v_dual_mov_b32 v87, v82
.LBB72_603:
	s_or_b32 exec_lo, exec_lo, s1
.LBB72_604:
	s_and_not1_saveexec_b32 s0, s0
	s_cbranch_execz .LBB72_606
; %bb.605:
	v_mov_b32_e32 v88, 28
	ds_store_2addr_b64 v84, v[10:11], v[12:13] offset0:29 offset1:30
	ds_store_2addr_b64 v84, v[8:9], v[6:7] offset0:31 offset1:32
	;; [unrolled: 1-line block ×4, first 2 shown]
.LBB72_606:
	s_or_b32 exec_lo, exec_lo, s0
	s_delay_alu instid0(SALU_CYCLE_1)
	s_mov_b32 s0, exec_lo
	s_wait_storecnt_dscnt 0x0
	s_barrier_signal -1
	s_barrier_wait -1
	v_cmpx_lt_i32_e32 28, v88
	s_cbranch_execz .LBB72_608
; %bb.607:
	v_pk_mul_f32 v[82:83], v[80:81], v[14:15] op_sel:[1,1] op_sel_hi:[0,1]
	s_delay_alu instid0(VALU_DEP_1)
	v_pk_fma_f32 v[90:91], v[80:81], v[14:15], v[82:83] op_sel_hi:[1,0,1] neg_lo:[0,0,1] neg_hi:[0,0,1]
	v_pk_fma_f32 v[92:93], v[80:81], v[14:15], v[82:83] op_sel_hi:[1,0,1]
	ds_load_2addr_b64 v[80:83], v84 offset0:29 offset1:30
	v_dual_mov_b32 v14, v90 :: v_dual_mov_b32 v15, v93
	s_wait_dscnt 0x0
	v_pk_mul_f32 v[94:95], v[80:81], v[92:93] op_sel:[0,1]
	s_delay_alu instid0(VALU_DEP_1) | instskip(SKIP_1) | instid1(VALU_DEP_1)
	v_pk_fma_f32 v[96:97], v[80:81], v[90:91], v[94:95] op_sel:[0,0,1] op_sel_hi:[1,1,0] neg_lo:[0,0,1] neg_hi:[0,0,1]
	v_pk_fma_f32 v[80:81], v[80:81], v[90:91], v[94:95] op_sel:[0,0,1] op_sel_hi:[1,0,0]
	v_mov_b32_e32 v97, v81
	v_pk_mul_f32 v[80:81], v[82:83], v[92:93] op_sel:[0,1]
	s_delay_alu instid0(VALU_DEP_1) | instskip(SKIP_1) | instid1(VALU_DEP_1)
	v_pk_fma_f32 v[94:95], v[82:83], v[90:91], v[80:81] op_sel:[0,0,1] op_sel_hi:[1,1,0] neg_lo:[0,0,1] neg_hi:[0,0,1]
	v_pk_fma_f32 v[80:81], v[82:83], v[90:91], v[80:81] op_sel:[0,0,1] op_sel_hi:[1,0,0]
	v_mov_b32_e32 v95, v81
	ds_load_2addr_b64 v[80:83], v84 offset0:31 offset1:32
	v_pk_add_f32 v[10:11], v[10:11], v[96:97] neg_lo:[0,1] neg_hi:[0,1]
	v_pk_add_f32 v[12:13], v[12:13], v[94:95] neg_lo:[0,1] neg_hi:[0,1]
	s_wait_dscnt 0x0
	v_pk_mul_f32 v[94:95], v[80:81], v[92:93] op_sel:[0,1]
	s_delay_alu instid0(VALU_DEP_1) | instskip(SKIP_2) | instid1(VALU_DEP_2)
	v_pk_fma_f32 v[96:97], v[80:81], v[90:91], v[94:95] op_sel:[0,0,1] op_sel_hi:[1,1,0] neg_lo:[0,0,1] neg_hi:[0,0,1]
	v_pk_fma_f32 v[80:81], v[80:81], v[90:91], v[94:95] op_sel:[0,0,1] op_sel_hi:[1,0,0]
	v_dual_mul_f32 v94, v83, v93 :: v_dual_mov_b32 v80, v83
	v_dual_mov_b32 v97, v81 :: v_dual_mov_b32 v81, v82
	s_delay_alu instid0(VALU_DEP_2) | instskip(SKIP_1) | instid1(VALU_DEP_3)
	v_pk_fma_f32 v[94:95], v[82:83], v[14:15], v[94:95] op_sel_hi:[1,1,0] neg_lo:[0,0,1] neg_hi:[0,0,1]
	v_mul_f32_e32 v82, v83, v90
	v_pk_add_f32 v[8:9], v[8:9], v[96:97] neg_lo:[0,1] neg_hi:[0,1]
	s_delay_alu instid0(VALU_DEP_2) | instskip(NEXT) | instid1(VALU_DEP_1)
	v_pk_fma_f32 v[80:81], v[80:81], v[14:15], v[82:83] op_sel_hi:[1,1,0]
	v_mov_b32_e32 v95, v81
	ds_load_2addr_b64 v[80:83], v84 offset0:33 offset1:34
	v_pk_add_f32 v[6:7], v[6:7], v[94:95] neg_lo:[0,1] neg_hi:[0,1]
	s_wait_dscnt 0x0
	v_pk_mul_f32 v[94:95], v[80:81], v[92:93] op_sel:[0,1]
	s_delay_alu instid0(VALU_DEP_1) | instskip(SKIP_1) | instid1(VALU_DEP_1)
	v_pk_fma_f32 v[96:97], v[80:81], v[90:91], v[94:95] op_sel:[0,0,1] op_sel_hi:[1,1,0] neg_lo:[0,0,1] neg_hi:[0,0,1]
	v_pk_fma_f32 v[80:81], v[80:81], v[90:91], v[94:95] op_sel:[0,0,1] op_sel_hi:[1,0,0]
	v_mov_b32_e32 v97, v81
	v_pk_mul_f32 v[80:81], v[82:83], v[92:93] op_sel:[0,1]
	s_delay_alu instid0(VALU_DEP_1) | instskip(SKIP_1) | instid1(VALU_DEP_1)
	v_pk_fma_f32 v[94:95], v[82:83], v[90:91], v[80:81] op_sel:[0,0,1] op_sel_hi:[1,1,0] neg_lo:[0,0,1] neg_hi:[0,0,1]
	v_pk_fma_f32 v[80:81], v[82:83], v[90:91], v[80:81] op_sel:[0,0,1] op_sel_hi:[1,0,0]
	v_mov_b32_e32 v95, v81
	ds_load_2addr_b64 v[80:83], v84 offset0:35 offset1:36
	v_pk_add_f32 v[52:53], v[52:53], v[96:97] neg_lo:[0,1] neg_hi:[0,1]
	v_pk_add_f32 v[34:35], v[34:35], v[94:95] neg_lo:[0,1] neg_hi:[0,1]
	s_wait_dscnt 0x0
	v_pk_mul_f32 v[94:95], v[80:81], v[92:93] op_sel:[0,1]
	s_delay_alu instid0(VALU_DEP_1) | instskip(SKIP_1) | instid1(VALU_DEP_1)
	v_pk_fma_f32 v[96:97], v[80:81], v[90:91], v[94:95] op_sel:[0,0,1] op_sel_hi:[1,1,0] neg_lo:[0,0,1] neg_hi:[0,0,1]
	v_pk_fma_f32 v[80:81], v[80:81], v[90:91], v[94:95] op_sel:[0,0,1] op_sel_hi:[1,0,0]
	v_mov_b32_e32 v97, v81
	v_pk_mul_f32 v[80:81], v[82:83], v[92:93] op_sel:[0,1]
	s_delay_alu instid0(VALU_DEP_1) | instskip(SKIP_1) | instid1(VALU_DEP_1)
	v_pk_fma_f32 v[92:93], v[82:83], v[90:91], v[80:81] op_sel:[0,0,1] op_sel_hi:[1,1,0] neg_lo:[0,0,1] neg_hi:[0,0,1]
	v_pk_fma_f32 v[80:81], v[82:83], v[90:91], v[80:81] op_sel:[0,0,1] op_sel_hi:[1,0,0]
	v_mov_b32_e32 v93, v81
	v_pk_add_f32 v[16:17], v[16:17], v[96:97] neg_lo:[0,1] neg_hi:[0,1]
	s_delay_alu instid0(VALU_DEP_2)
	v_pk_add_f32 v[78:79], v[78:79], v[92:93] neg_lo:[0,1] neg_hi:[0,1]
.LBB72_608:
	s_or_b32 exec_lo, exec_lo, s0
	v_lshl_add_u32 v80, v88, 3, v84
	s_barrier_signal -1
	s_barrier_wait -1
	ds_store_b64 v80, v[10:11]
	s_wait_dscnt 0x0
	s_barrier_signal -1
	s_barrier_wait -1
	ds_load_b64 v[80:81], v84 offset:232
	v_mov_b32_e32 v82, 29
	s_cmp_lt_i32 s18, 31
	s_cbranch_scc1 .LBB72_611
; %bb.609:
	v_add3_u32 v83, v85, 0, 0xf0
	v_mov_b32_e32 v82, 29
	s_mov_b32 s0, 30
.LBB72_610:                             ; =>This Inner Loop Header: Depth=1
	ds_load_b64 v[90:91], v83
	s_wait_dscnt 0x1
	v_cmp_gt_f32_e32 vcc_lo, 0, v80
	v_cndmask_b32_e64 v92, v80, -v80, vcc_lo
	v_cmp_gt_f32_e32 vcc_lo, 0, v81
	v_cndmask_b32_e64 v94, v81, -v81, vcc_lo
	s_wait_dscnt 0x0
	v_cmp_gt_f32_e32 vcc_lo, 0, v90
	v_cndmask_b32_e64 v93, v90, -v90, vcc_lo
	v_cmp_gt_f32_e32 vcc_lo, 0, v91
	v_cndmask_b32_e64 v95, v91, -v91, vcc_lo
	s_delay_alu instid0(VALU_DEP_1) | instskip(NEXT) | instid1(VALU_DEP_1)
	v_pk_add_f32 v[92:93], v[92:93], v[94:95]
	v_cmp_lt_f32_e32 vcc_lo, v92, v93
	v_dual_cndmask_b32 v80, v80, v90 :: v_dual_add_nc_u32 v83, 8, v83
	v_cndmask_b32_e32 v81, v81, v91, vcc_lo
	v_cndmask_b32_e64 v82, v82, s0, vcc_lo
	s_add_co_i32 s0, s0, 1
	s_delay_alu instid0(SALU_CYCLE_1)
	s_cmp_lg_u32 s18, s0
	s_cbranch_scc1 .LBB72_610
.LBB72_611:
	s_wait_dscnt 0x0
	v_cmp_eq_f32_e32 vcc_lo, 0, v80
	v_cmp_eq_f32_e64 s0, 0, v81
	s_and_b32 s0, vcc_lo, s0
	s_delay_alu instid0(SALU_CYCLE_1) | instskip(NEXT) | instid1(SALU_CYCLE_1)
	s_and_saveexec_b32 s1, s0
	s_xor_b32 s0, exec_lo, s1
; %bb.612:
	v_cmp_ne_u32_e32 vcc_lo, 0, v86
	v_cndmask_b32_e32 v86, 30, v86, vcc_lo
; %bb.613:
	s_and_not1_saveexec_b32 s0, s0
	s_cbranch_execz .LBB72_619
; %bb.614:
	v_cmp_ngt_f32_e64 s1, |v80|, |v81|
	s_and_saveexec_b32 s12, s1
	s_delay_alu instid0(SALU_CYCLE_1)
	s_xor_b32 s1, exec_lo, s12
	s_cbranch_execz .LBB72_616
; %bb.615:
	v_div_scale_f32 v83, null, v81, v81, v80
	v_div_scale_f32 v91, vcc_lo, v80, v81, v80
	s_delay_alu instid0(VALU_DEP_2) | instskip(SKIP_1) | instid1(TRANS32_DEP_1)
	v_rcp_f32_e32 v89, v83
	v_nop
	v_fma_f32 v90, -v83, v89, 1.0
	s_delay_alu instid0(VALU_DEP_1) | instskip(NEXT) | instid1(VALU_DEP_1)
	v_fmac_f32_e32 v89, v90, v89
	v_mul_f32_e32 v90, v91, v89
	s_delay_alu instid0(VALU_DEP_1) | instskip(NEXT) | instid1(VALU_DEP_1)
	v_fma_f32 v92, -v83, v90, v91
	v_fmac_f32_e32 v90, v92, v89
	s_delay_alu instid0(VALU_DEP_1) | instskip(NEXT) | instid1(VALU_DEP_1)
	v_fma_f32 v83, -v83, v90, v91
	v_div_fmas_f32 v83, v83, v89, v90
	s_delay_alu instid0(VALU_DEP_1) | instskip(NEXT) | instid1(VALU_DEP_1)
	v_div_fixup_f32 v83, v83, v81, v80
	v_fmac_f32_e32 v81, v80, v83
	s_delay_alu instid0(VALU_DEP_1) | instskip(SKIP_1) | instid1(VALU_DEP_2)
	v_div_scale_f32 v80, null, v81, v81, 1.0
	v_div_scale_f32 v91, vcc_lo, 1.0, v81, 1.0
	v_rcp_f32_e32 v89, v80
	v_nop
	s_delay_alu instid0(TRANS32_DEP_1) | instskip(NEXT) | instid1(VALU_DEP_1)
	v_fma_f32 v90, -v80, v89, 1.0
	v_fmac_f32_e32 v89, v90, v89
	s_delay_alu instid0(VALU_DEP_1) | instskip(NEXT) | instid1(VALU_DEP_1)
	v_mul_f32_e32 v90, v91, v89
	v_fma_f32 v92, -v80, v90, v91
	s_delay_alu instid0(VALU_DEP_1) | instskip(NEXT) | instid1(VALU_DEP_1)
	v_fmac_f32_e32 v90, v92, v89
	v_fma_f32 v80, -v80, v90, v91
	s_delay_alu instid0(VALU_DEP_1) | instskip(NEXT) | instid1(VALU_DEP_1)
	v_div_fmas_f32 v80, v80, v89, v90
	v_div_fixup_f32 v81, v80, v81, 1.0
	s_delay_alu instid0(VALU_DEP_1)
	v_mul_f32_e32 v80, v83, v81
	v_xor_b32_e32 v81, 0x80000000, v81
.LBB72_616:
	s_and_not1_saveexec_b32 s1, s1
	s_cbranch_execz .LBB72_618
; %bb.617:
	s_delay_alu instid0(VALU_DEP_1) | instskip(SKIP_1) | instid1(VALU_DEP_2)
	v_div_scale_f32 v83, null, v80, v80, v81
	v_div_scale_f32 v91, vcc_lo, v81, v80, v81
	v_rcp_f32_e32 v89, v83
	v_nop
	s_delay_alu instid0(TRANS32_DEP_1) | instskip(NEXT) | instid1(VALU_DEP_1)
	v_fma_f32 v90, -v83, v89, 1.0
	v_fmac_f32_e32 v89, v90, v89
	s_delay_alu instid0(VALU_DEP_1) | instskip(NEXT) | instid1(VALU_DEP_1)
	v_mul_f32_e32 v90, v91, v89
	v_fma_f32 v92, -v83, v90, v91
	s_delay_alu instid0(VALU_DEP_1) | instskip(NEXT) | instid1(VALU_DEP_1)
	v_fmac_f32_e32 v90, v92, v89
	v_fma_f32 v83, -v83, v90, v91
	s_delay_alu instid0(VALU_DEP_1) | instskip(NEXT) | instid1(VALU_DEP_1)
	v_div_fmas_f32 v83, v83, v89, v90
	v_div_fixup_f32 v83, v83, v80, v81
	s_delay_alu instid0(VALU_DEP_1) | instskip(NEXT) | instid1(VALU_DEP_1)
	v_fmac_f32_e32 v80, v81, v83
	v_div_scale_f32 v81, null, v80, v80, 1.0
	s_delay_alu instid0(VALU_DEP_1) | instskip(SKIP_1) | instid1(TRANS32_DEP_1)
	v_rcp_f32_e32 v89, v81
	v_nop
	v_fma_f32 v90, -v81, v89, 1.0
	s_delay_alu instid0(VALU_DEP_1) | instskip(SKIP_1) | instid1(VALU_DEP_1)
	v_fmac_f32_e32 v89, v90, v89
	v_div_scale_f32 v90, vcc_lo, 1.0, v80, 1.0
	v_mul_f32_e32 v91, v90, v89
	s_delay_alu instid0(VALU_DEP_1) | instskip(NEXT) | instid1(VALU_DEP_1)
	v_fma_f32 v92, -v81, v91, v90
	v_fmac_f32_e32 v91, v92, v89
	s_delay_alu instid0(VALU_DEP_1) | instskip(NEXT) | instid1(VALU_DEP_1)
	v_fma_f32 v81, -v81, v91, v90
	v_div_fmas_f32 v81, v81, v89, v91
	s_delay_alu instid0(VALU_DEP_1) | instskip(NEXT) | instid1(VALU_DEP_1)
	v_div_fixup_f32 v80, v81, v80, 1.0
	v_mul_f32_e64 v81, v83, -v80
.LBB72_618:
	s_or_b32 exec_lo, exec_lo, s1
.LBB72_619:
	s_delay_alu instid0(SALU_CYCLE_1) | instskip(NEXT) | instid1(SALU_CYCLE_1)
	s_or_b32 exec_lo, exec_lo, s0
	s_mov_b32 s0, exec_lo
	v_cmpx_ne_u32_e64 v88, v82
	s_xor_b32 s0, exec_lo, s0
	s_cbranch_execz .LBB72_625
; %bb.620:
	s_mov_b32 s1, exec_lo
	v_cmpx_eq_u32_e32 29, v88
	s_cbranch_execz .LBB72_624
; %bb.621:
	v_cmp_ne_u32_e32 vcc_lo, 29, v82
	s_xor_b32 s12, s16, -1
	s_delay_alu instid0(SALU_CYCLE_1) | instskip(NEXT) | instid1(SALU_CYCLE_1)
	s_and_b32 s13, s12, vcc_lo
	s_and_saveexec_b32 s12, s13
	s_cbranch_execz .LBB72_623
; %bb.622:
	v_ashrrev_i32_e32 v83, 31, v82
	s_delay_alu instid0(VALU_DEP_1)
	v_lshl_add_u64 v[88:89], v[82:83], 2, v[4:5]
	s_clause 0x1
	global_load_b32 v83, v[88:89], off
	global_load_b32 v87, v[4:5], off offset:116
	s_wait_loadcnt 0x1
	global_store_b32 v[4:5], v83, off offset:116
	s_wait_loadcnt 0x0
	global_store_b32 v[88:89], v87, off
.LBB72_623:
	s_wait_xcnt 0x0
	s_or_b32 exec_lo, exec_lo, s12
	v_dual_mov_b32 v88, v82 :: v_dual_mov_b32 v87, v82
.LBB72_624:
	s_or_b32 exec_lo, exec_lo, s1
.LBB72_625:
	s_and_not1_saveexec_b32 s0, s0
	s_cbranch_execz .LBB72_627
; %bb.626:
	v_dual_mov_b32 v82, v12 :: v_dual_mov_b32 v83, v13
	v_dual_mov_b32 v90, v8 :: v_dual_mov_b32 v91, v9
	;; [unrolled: 1-line block ×6, first 2 shown]
	v_mov_b32_e32 v99, v17
	ds_store_2addr_b64 v84, v[82:83], v[90:91] offset0:30 offset1:31
	ds_store_2addr_b64 v84, v[92:93], v[94:95] offset0:32 offset1:33
	;; [unrolled: 1-line block ×3, first 2 shown]
	ds_store_b64 v84, v[78:79] offset:288
.LBB72_627:
	s_or_b32 exec_lo, exec_lo, s0
	s_delay_alu instid0(SALU_CYCLE_1)
	s_mov_b32 s0, exec_lo
	s_wait_storecnt_dscnt 0x0
	s_barrier_signal -1
	s_barrier_wait -1
	v_cmpx_lt_i32_e32 29, v88
	s_cbranch_execz .LBB72_629
; %bb.628:
	v_pk_mul_f32 v[82:83], v[80:81], v[10:11] op_sel:[1,1] op_sel_hi:[0,1]
	s_delay_alu instid0(VALU_DEP_1)
	v_pk_fma_f32 v[90:91], v[80:81], v[10:11], v[82:83] op_sel_hi:[1,0,1] neg_lo:[0,0,1] neg_hi:[0,0,1]
	v_pk_fma_f32 v[92:93], v[80:81], v[10:11], v[82:83] op_sel_hi:[1,0,1]
	ds_load_2addr_b64 v[80:83], v84 offset0:30 offset1:31
	v_dual_mov_b32 v10, v90 :: v_dual_mov_b32 v11, v93
	s_wait_dscnt 0x0
	v_pk_mul_f32 v[94:95], v[80:81], v[92:93] op_sel:[0,1]
	s_delay_alu instid0(VALU_DEP_1) | instskip(SKIP_1) | instid1(VALU_DEP_1)
	v_pk_fma_f32 v[96:97], v[80:81], v[90:91], v[94:95] op_sel:[0,0,1] op_sel_hi:[1,1,0] neg_lo:[0,0,1] neg_hi:[0,0,1]
	v_pk_fma_f32 v[80:81], v[80:81], v[90:91], v[94:95] op_sel:[0,0,1] op_sel_hi:[1,0,0]
	v_mov_b32_e32 v97, v81
	v_pk_mul_f32 v[80:81], v[82:83], v[92:93] op_sel:[0,1]
	s_delay_alu instid0(VALU_DEP_1) | instskip(SKIP_1) | instid1(VALU_DEP_1)
	v_pk_fma_f32 v[94:95], v[82:83], v[90:91], v[80:81] op_sel:[0,0,1] op_sel_hi:[1,1,0] neg_lo:[0,0,1] neg_hi:[0,0,1]
	v_pk_fma_f32 v[80:81], v[82:83], v[90:91], v[80:81] op_sel:[0,0,1] op_sel_hi:[1,0,0]
	v_mov_b32_e32 v95, v81
	ds_load_2addr_b64 v[80:83], v84 offset0:32 offset1:33
	v_pk_add_f32 v[12:13], v[12:13], v[96:97] neg_lo:[0,1] neg_hi:[0,1]
	v_pk_add_f32 v[8:9], v[8:9], v[94:95] neg_lo:[0,1] neg_hi:[0,1]
	s_wait_dscnt 0x0
	v_pk_mul_f32 v[94:95], v[80:81], v[92:93] op_sel:[0,1]
	s_delay_alu instid0(VALU_DEP_1) | instskip(SKIP_2) | instid1(VALU_DEP_2)
	v_pk_fma_f32 v[96:97], v[80:81], v[90:91], v[94:95] op_sel:[0,0,1] op_sel_hi:[1,1,0] neg_lo:[0,0,1] neg_hi:[0,0,1]
	v_pk_fma_f32 v[80:81], v[80:81], v[90:91], v[94:95] op_sel:[0,0,1] op_sel_hi:[1,0,0]
	v_dual_mul_f32 v94, v83, v93 :: v_dual_mov_b32 v80, v83
	v_dual_mov_b32 v97, v81 :: v_dual_mov_b32 v81, v82
	s_delay_alu instid0(VALU_DEP_2) | instskip(SKIP_1) | instid1(VALU_DEP_3)
	v_pk_fma_f32 v[94:95], v[82:83], v[10:11], v[94:95] op_sel_hi:[1,1,0] neg_lo:[0,0,1] neg_hi:[0,0,1]
	v_mul_f32_e32 v82, v83, v90
	v_pk_add_f32 v[6:7], v[6:7], v[96:97] neg_lo:[0,1] neg_hi:[0,1]
	s_delay_alu instid0(VALU_DEP_2) | instskip(NEXT) | instid1(VALU_DEP_1)
	v_pk_fma_f32 v[80:81], v[80:81], v[10:11], v[82:83] op_sel_hi:[1,1,0]
	v_mov_b32_e32 v95, v81
	ds_load_2addr_b64 v[80:83], v84 offset0:34 offset1:35
	v_pk_add_f32 v[52:53], v[52:53], v[94:95] neg_lo:[0,1] neg_hi:[0,1]
	s_wait_dscnt 0x0
	v_pk_mul_f32 v[94:95], v[80:81], v[92:93] op_sel:[0,1]
	s_delay_alu instid0(VALU_DEP_1) | instskip(SKIP_1) | instid1(VALU_DEP_1)
	v_pk_fma_f32 v[96:97], v[80:81], v[90:91], v[94:95] op_sel:[0,0,1] op_sel_hi:[1,1,0] neg_lo:[0,0,1] neg_hi:[0,0,1]
	v_pk_fma_f32 v[80:81], v[80:81], v[90:91], v[94:95] op_sel:[0,0,1] op_sel_hi:[1,0,0]
	v_mov_b32_e32 v97, v81
	v_pk_mul_f32 v[80:81], v[82:83], v[92:93] op_sel:[0,1]
	s_delay_alu instid0(VALU_DEP_1) | instskip(SKIP_1) | instid1(VALU_DEP_1)
	v_pk_fma_f32 v[94:95], v[82:83], v[90:91], v[80:81] op_sel:[0,0,1] op_sel_hi:[1,1,0] neg_lo:[0,0,1] neg_hi:[0,0,1]
	v_pk_fma_f32 v[80:81], v[82:83], v[90:91], v[80:81] op_sel:[0,0,1] op_sel_hi:[1,0,0]
	v_mov_b32_e32 v95, v81
	ds_load_b64 v[80:81], v84 offset:288
	v_pk_add_f32 v[34:35], v[34:35], v[96:97] neg_lo:[0,1] neg_hi:[0,1]
	v_pk_add_f32 v[16:17], v[16:17], v[94:95] neg_lo:[0,1] neg_hi:[0,1]
	s_wait_dscnt 0x0
	v_pk_mul_f32 v[82:83], v[80:81], v[92:93] op_sel:[0,1]
	s_delay_alu instid0(VALU_DEP_1) | instskip(SKIP_1) | instid1(VALU_DEP_1)
	v_pk_fma_f32 v[92:93], v[80:81], v[90:91], v[82:83] op_sel:[0,0,1] op_sel_hi:[1,1,0] neg_lo:[0,0,1] neg_hi:[0,0,1]
	v_pk_fma_f32 v[80:81], v[80:81], v[90:91], v[82:83] op_sel:[0,0,1] op_sel_hi:[1,0,0]
	v_mov_b32_e32 v93, v81
	s_delay_alu instid0(VALU_DEP_1)
	v_pk_add_f32 v[78:79], v[78:79], v[92:93] neg_lo:[0,1] neg_hi:[0,1]
.LBB72_629:
	s_or_b32 exec_lo, exec_lo, s0
	v_lshl_add_u32 v80, v88, 3, v84
	s_barrier_signal -1
	s_barrier_wait -1
	ds_store_b64 v80, v[12:13]
	s_wait_dscnt 0x0
	s_barrier_signal -1
	s_barrier_wait -1
	ds_load_b64 v[80:81], v84 offset:240
	v_mov_b32_e32 v82, 30
	s_cmp_lt_i32 s18, 32
	s_cbranch_scc1 .LBB72_632
; %bb.630:
	v_add3_u32 v83, v85, 0, 0xf8
	v_mov_b32_e32 v82, 30
	s_mov_b32 s0, 31
.LBB72_631:                             ; =>This Inner Loop Header: Depth=1
	ds_load_b64 v[90:91], v83
	s_wait_dscnt 0x1
	v_cmp_gt_f32_e32 vcc_lo, 0, v80
	v_cndmask_b32_e64 v92, v80, -v80, vcc_lo
	v_cmp_gt_f32_e32 vcc_lo, 0, v81
	v_cndmask_b32_e64 v94, v81, -v81, vcc_lo
	s_wait_dscnt 0x0
	v_cmp_gt_f32_e32 vcc_lo, 0, v90
	v_cndmask_b32_e64 v93, v90, -v90, vcc_lo
	v_cmp_gt_f32_e32 vcc_lo, 0, v91
	v_cndmask_b32_e64 v95, v91, -v91, vcc_lo
	s_delay_alu instid0(VALU_DEP_1) | instskip(NEXT) | instid1(VALU_DEP_1)
	v_pk_add_f32 v[92:93], v[92:93], v[94:95]
	v_cmp_lt_f32_e32 vcc_lo, v92, v93
	v_dual_cndmask_b32 v80, v80, v90 :: v_dual_add_nc_u32 v83, 8, v83
	v_cndmask_b32_e32 v81, v81, v91, vcc_lo
	v_cndmask_b32_e64 v82, v82, s0, vcc_lo
	s_add_co_i32 s0, s0, 1
	s_delay_alu instid0(SALU_CYCLE_1)
	s_cmp_lg_u32 s18, s0
	s_cbranch_scc1 .LBB72_631
.LBB72_632:
	s_wait_dscnt 0x0
	v_cmp_eq_f32_e32 vcc_lo, 0, v80
	v_cmp_eq_f32_e64 s0, 0, v81
	s_and_b32 s0, vcc_lo, s0
	s_delay_alu instid0(SALU_CYCLE_1) | instskip(NEXT) | instid1(SALU_CYCLE_1)
	s_and_saveexec_b32 s1, s0
	s_xor_b32 s0, exec_lo, s1
; %bb.633:
	v_cmp_ne_u32_e32 vcc_lo, 0, v86
	v_cndmask_b32_e32 v86, 31, v86, vcc_lo
; %bb.634:
	s_and_not1_saveexec_b32 s0, s0
	s_cbranch_execz .LBB72_640
; %bb.635:
	v_cmp_ngt_f32_e64 s1, |v80|, |v81|
	s_and_saveexec_b32 s12, s1
	s_delay_alu instid0(SALU_CYCLE_1)
	s_xor_b32 s1, exec_lo, s12
	s_cbranch_execz .LBB72_637
; %bb.636:
	v_div_scale_f32 v83, null, v81, v81, v80
	v_div_scale_f32 v91, vcc_lo, v80, v81, v80
	s_delay_alu instid0(VALU_DEP_2) | instskip(SKIP_1) | instid1(TRANS32_DEP_1)
	v_rcp_f32_e32 v89, v83
	v_nop
	v_fma_f32 v90, -v83, v89, 1.0
	s_delay_alu instid0(VALU_DEP_1) | instskip(NEXT) | instid1(VALU_DEP_1)
	v_fmac_f32_e32 v89, v90, v89
	v_mul_f32_e32 v90, v91, v89
	s_delay_alu instid0(VALU_DEP_1) | instskip(NEXT) | instid1(VALU_DEP_1)
	v_fma_f32 v92, -v83, v90, v91
	v_fmac_f32_e32 v90, v92, v89
	s_delay_alu instid0(VALU_DEP_1) | instskip(NEXT) | instid1(VALU_DEP_1)
	v_fma_f32 v83, -v83, v90, v91
	v_div_fmas_f32 v83, v83, v89, v90
	s_delay_alu instid0(VALU_DEP_1) | instskip(NEXT) | instid1(VALU_DEP_1)
	v_div_fixup_f32 v83, v83, v81, v80
	v_fmac_f32_e32 v81, v80, v83
	s_delay_alu instid0(VALU_DEP_1) | instskip(SKIP_1) | instid1(VALU_DEP_2)
	v_div_scale_f32 v80, null, v81, v81, 1.0
	v_div_scale_f32 v91, vcc_lo, 1.0, v81, 1.0
	v_rcp_f32_e32 v89, v80
	v_nop
	s_delay_alu instid0(TRANS32_DEP_1) | instskip(NEXT) | instid1(VALU_DEP_1)
	v_fma_f32 v90, -v80, v89, 1.0
	v_fmac_f32_e32 v89, v90, v89
	s_delay_alu instid0(VALU_DEP_1) | instskip(NEXT) | instid1(VALU_DEP_1)
	v_mul_f32_e32 v90, v91, v89
	v_fma_f32 v92, -v80, v90, v91
	s_delay_alu instid0(VALU_DEP_1) | instskip(NEXT) | instid1(VALU_DEP_1)
	v_fmac_f32_e32 v90, v92, v89
	v_fma_f32 v80, -v80, v90, v91
	s_delay_alu instid0(VALU_DEP_1) | instskip(NEXT) | instid1(VALU_DEP_1)
	v_div_fmas_f32 v80, v80, v89, v90
	v_div_fixup_f32 v81, v80, v81, 1.0
	s_delay_alu instid0(VALU_DEP_1)
	v_mul_f32_e32 v80, v83, v81
	v_xor_b32_e32 v81, 0x80000000, v81
.LBB72_637:
	s_and_not1_saveexec_b32 s1, s1
	s_cbranch_execz .LBB72_639
; %bb.638:
	s_delay_alu instid0(VALU_DEP_1) | instskip(SKIP_1) | instid1(VALU_DEP_2)
	v_div_scale_f32 v83, null, v80, v80, v81
	v_div_scale_f32 v91, vcc_lo, v81, v80, v81
	v_rcp_f32_e32 v89, v83
	v_nop
	s_delay_alu instid0(TRANS32_DEP_1) | instskip(NEXT) | instid1(VALU_DEP_1)
	v_fma_f32 v90, -v83, v89, 1.0
	v_fmac_f32_e32 v89, v90, v89
	s_delay_alu instid0(VALU_DEP_1) | instskip(NEXT) | instid1(VALU_DEP_1)
	v_mul_f32_e32 v90, v91, v89
	v_fma_f32 v92, -v83, v90, v91
	s_delay_alu instid0(VALU_DEP_1) | instskip(NEXT) | instid1(VALU_DEP_1)
	v_fmac_f32_e32 v90, v92, v89
	v_fma_f32 v83, -v83, v90, v91
	s_delay_alu instid0(VALU_DEP_1) | instskip(NEXT) | instid1(VALU_DEP_1)
	v_div_fmas_f32 v83, v83, v89, v90
	v_div_fixup_f32 v83, v83, v80, v81
	s_delay_alu instid0(VALU_DEP_1) | instskip(NEXT) | instid1(VALU_DEP_1)
	v_fmac_f32_e32 v80, v81, v83
	v_div_scale_f32 v81, null, v80, v80, 1.0
	s_delay_alu instid0(VALU_DEP_1) | instskip(SKIP_1) | instid1(TRANS32_DEP_1)
	v_rcp_f32_e32 v89, v81
	v_nop
	v_fma_f32 v90, -v81, v89, 1.0
	s_delay_alu instid0(VALU_DEP_1) | instskip(SKIP_1) | instid1(VALU_DEP_1)
	v_fmac_f32_e32 v89, v90, v89
	v_div_scale_f32 v90, vcc_lo, 1.0, v80, 1.0
	v_mul_f32_e32 v91, v90, v89
	s_delay_alu instid0(VALU_DEP_1) | instskip(NEXT) | instid1(VALU_DEP_1)
	v_fma_f32 v92, -v81, v91, v90
	v_fmac_f32_e32 v91, v92, v89
	s_delay_alu instid0(VALU_DEP_1) | instskip(NEXT) | instid1(VALU_DEP_1)
	v_fma_f32 v81, -v81, v91, v90
	v_div_fmas_f32 v81, v81, v89, v91
	s_delay_alu instid0(VALU_DEP_1) | instskip(NEXT) | instid1(VALU_DEP_1)
	v_div_fixup_f32 v80, v81, v80, 1.0
	v_mul_f32_e64 v81, v83, -v80
.LBB72_639:
	s_or_b32 exec_lo, exec_lo, s1
.LBB72_640:
	s_delay_alu instid0(SALU_CYCLE_1) | instskip(NEXT) | instid1(SALU_CYCLE_1)
	s_or_b32 exec_lo, exec_lo, s0
	s_mov_b32 s0, exec_lo
	v_cmpx_ne_u32_e64 v88, v82
	s_xor_b32 s0, exec_lo, s0
	s_cbranch_execz .LBB72_646
; %bb.641:
	s_mov_b32 s1, exec_lo
	v_cmpx_eq_u32_e32 30, v88
	s_cbranch_execz .LBB72_645
; %bb.642:
	v_cmp_ne_u32_e32 vcc_lo, 30, v82
	s_xor_b32 s12, s16, -1
	s_delay_alu instid0(SALU_CYCLE_1) | instskip(NEXT) | instid1(SALU_CYCLE_1)
	s_and_b32 s13, s12, vcc_lo
	s_and_saveexec_b32 s12, s13
	s_cbranch_execz .LBB72_644
; %bb.643:
	v_ashrrev_i32_e32 v83, 31, v82
	s_delay_alu instid0(VALU_DEP_1)
	v_lshl_add_u64 v[88:89], v[82:83], 2, v[4:5]
	s_clause 0x1
	global_load_b32 v83, v[88:89], off
	global_load_b32 v87, v[4:5], off offset:120
	s_wait_loadcnt 0x1
	global_store_b32 v[4:5], v83, off offset:120
	s_wait_loadcnt 0x0
	global_store_b32 v[88:89], v87, off
.LBB72_644:
	s_wait_xcnt 0x0
	s_or_b32 exec_lo, exec_lo, s12
	v_dual_mov_b32 v88, v82 :: v_dual_mov_b32 v87, v82
.LBB72_645:
	s_or_b32 exec_lo, exec_lo, s1
.LBB72_646:
	s_and_not1_saveexec_b32 s0, s0
	s_cbranch_execz .LBB72_648
; %bb.647:
	v_mov_b32_e32 v88, 30
	ds_store_2addr_b64 v84, v[8:9], v[6:7] offset0:31 offset1:32
	ds_store_2addr_b64 v84, v[52:53], v[34:35] offset0:33 offset1:34
	;; [unrolled: 1-line block ×3, first 2 shown]
.LBB72_648:
	s_or_b32 exec_lo, exec_lo, s0
	s_delay_alu instid0(SALU_CYCLE_1)
	s_mov_b32 s0, exec_lo
	s_wait_storecnt_dscnt 0x0
	s_barrier_signal -1
	s_barrier_wait -1
	v_cmpx_lt_i32_e32 30, v88
	s_cbranch_execz .LBB72_650
; %bb.649:
	v_pk_mul_f32 v[82:83], v[80:81], v[12:13] op_sel:[1,1] op_sel_hi:[0,1]
	s_delay_alu instid0(VALU_DEP_1)
	v_pk_fma_f32 v[90:91], v[80:81], v[12:13], v[82:83] op_sel_hi:[1,0,1] neg_lo:[0,0,1] neg_hi:[0,0,1]
	v_pk_fma_f32 v[92:93], v[80:81], v[12:13], v[82:83] op_sel_hi:[1,0,1]
	ds_load_2addr_b64 v[80:83], v84 offset0:31 offset1:32
	v_dual_mov_b32 v12, v90 :: v_dual_mov_b32 v13, v93
	s_wait_dscnt 0x0
	v_pk_mul_f32 v[94:95], v[80:81], v[92:93] op_sel:[0,1]
	s_delay_alu instid0(VALU_DEP_1) | instskip(SKIP_1) | instid1(VALU_DEP_1)
	v_pk_fma_f32 v[96:97], v[80:81], v[90:91], v[94:95] op_sel:[0,0,1] op_sel_hi:[1,1,0] neg_lo:[0,0,1] neg_hi:[0,0,1]
	v_pk_fma_f32 v[80:81], v[80:81], v[90:91], v[94:95] op_sel:[0,0,1] op_sel_hi:[1,0,0]
	v_mov_b32_e32 v97, v81
	v_pk_mul_f32 v[80:81], v[82:83], v[92:93] op_sel:[0,1]
	s_delay_alu instid0(VALU_DEP_1) | instskip(SKIP_1) | instid1(VALU_DEP_1)
	v_pk_fma_f32 v[94:95], v[82:83], v[90:91], v[80:81] op_sel:[0,0,1] op_sel_hi:[1,1,0] neg_lo:[0,0,1] neg_hi:[0,0,1]
	v_pk_fma_f32 v[80:81], v[82:83], v[90:91], v[80:81] op_sel:[0,0,1] op_sel_hi:[1,0,0]
	v_mov_b32_e32 v95, v81
	ds_load_2addr_b64 v[80:83], v84 offset0:33 offset1:34
	v_pk_add_f32 v[8:9], v[8:9], v[96:97] neg_lo:[0,1] neg_hi:[0,1]
	v_pk_add_f32 v[6:7], v[6:7], v[94:95] neg_lo:[0,1] neg_hi:[0,1]
	s_wait_dscnt 0x0
	v_pk_mul_f32 v[94:95], v[80:81], v[92:93] op_sel:[0,1]
	s_delay_alu instid0(VALU_DEP_1) | instskip(SKIP_2) | instid1(VALU_DEP_2)
	v_pk_fma_f32 v[96:97], v[80:81], v[90:91], v[94:95] op_sel:[0,0,1] op_sel_hi:[1,1,0] neg_lo:[0,0,1] neg_hi:[0,0,1]
	v_pk_fma_f32 v[80:81], v[80:81], v[90:91], v[94:95] op_sel:[0,0,1] op_sel_hi:[1,0,0]
	v_dual_mul_f32 v94, v83, v93 :: v_dual_mov_b32 v80, v83
	v_dual_mov_b32 v97, v81 :: v_dual_mov_b32 v81, v82
	s_delay_alu instid0(VALU_DEP_2) | instskip(SKIP_1) | instid1(VALU_DEP_3)
	v_pk_fma_f32 v[94:95], v[82:83], v[12:13], v[94:95] op_sel_hi:[1,1,0] neg_lo:[0,0,1] neg_hi:[0,0,1]
	v_mul_f32_e32 v82, v83, v90
	v_pk_add_f32 v[52:53], v[52:53], v[96:97] neg_lo:[0,1] neg_hi:[0,1]
	s_delay_alu instid0(VALU_DEP_2) | instskip(NEXT) | instid1(VALU_DEP_1)
	v_pk_fma_f32 v[80:81], v[80:81], v[12:13], v[82:83] op_sel_hi:[1,1,0]
	v_mov_b32_e32 v95, v81
	ds_load_2addr_b64 v[80:83], v84 offset0:35 offset1:36
	v_pk_add_f32 v[34:35], v[34:35], v[94:95] neg_lo:[0,1] neg_hi:[0,1]
	s_wait_dscnt 0x0
	v_pk_mul_f32 v[94:95], v[80:81], v[92:93] op_sel:[0,1]
	v_mul_f32_e32 v92, v83, v93
	s_delay_alu instid0(VALU_DEP_2) | instskip(SKIP_2) | instid1(VALU_DEP_4)
	v_pk_fma_f32 v[96:97], v[80:81], v[90:91], v[94:95] op_sel:[0,0,1] op_sel_hi:[1,1,0] neg_lo:[0,0,1] neg_hi:[0,0,1]
	v_pk_fma_f32 v[80:81], v[80:81], v[90:91], v[94:95] op_sel:[0,0,1] op_sel_hi:[1,0,0]
	v_mov_b32_e32 v80, v83
	v_pk_fma_f32 v[92:93], v[82:83], v[12:13], v[92:93] op_sel_hi:[1,1,0] neg_lo:[0,0,1] neg_hi:[0,0,1]
	s_delay_alu instid0(VALU_DEP_3) | instskip(SKIP_1) | instid1(VALU_DEP_2)
	v_dual_mov_b32 v97, v81 :: v_dual_mov_b32 v81, v82
	v_mul_f32_e32 v82, v83, v90
	v_pk_add_f32 v[16:17], v[16:17], v[96:97] neg_lo:[0,1] neg_hi:[0,1]
	s_delay_alu instid0(VALU_DEP_2) | instskip(NEXT) | instid1(VALU_DEP_1)
	v_pk_fma_f32 v[80:81], v[80:81], v[12:13], v[82:83] op_sel_hi:[1,1,0]
	v_mov_b32_e32 v93, v81
	s_delay_alu instid0(VALU_DEP_1)
	v_pk_add_f32 v[78:79], v[78:79], v[92:93] neg_lo:[0,1] neg_hi:[0,1]
.LBB72_650:
	s_or_b32 exec_lo, exec_lo, s0
	v_lshl_add_u32 v80, v88, 3, v84
	s_barrier_signal -1
	s_barrier_wait -1
	ds_store_b64 v80, v[8:9]
	s_wait_dscnt 0x0
	s_barrier_signal -1
	s_barrier_wait -1
	ds_load_b64 v[80:81], v84 offset:248
	v_mov_b32_e32 v82, 31
	s_cmp_lt_i32 s18, 33
	s_cbranch_scc1 .LBB72_653
; %bb.651:
	v_add3_u32 v83, v85, 0, 0x100
	v_mov_b32_e32 v82, 31
	s_mov_b32 s0, 32
.LBB72_652:                             ; =>This Inner Loop Header: Depth=1
	ds_load_b64 v[90:91], v83
	s_wait_dscnt 0x1
	v_cmp_gt_f32_e32 vcc_lo, 0, v80
	v_cndmask_b32_e64 v92, v80, -v80, vcc_lo
	v_cmp_gt_f32_e32 vcc_lo, 0, v81
	v_cndmask_b32_e64 v94, v81, -v81, vcc_lo
	s_wait_dscnt 0x0
	v_cmp_gt_f32_e32 vcc_lo, 0, v90
	v_cndmask_b32_e64 v93, v90, -v90, vcc_lo
	v_cmp_gt_f32_e32 vcc_lo, 0, v91
	v_cndmask_b32_e64 v95, v91, -v91, vcc_lo
	s_delay_alu instid0(VALU_DEP_1) | instskip(NEXT) | instid1(VALU_DEP_1)
	v_pk_add_f32 v[92:93], v[92:93], v[94:95]
	v_cmp_lt_f32_e32 vcc_lo, v92, v93
	v_dual_cndmask_b32 v80, v80, v90 :: v_dual_add_nc_u32 v83, 8, v83
	v_cndmask_b32_e32 v81, v81, v91, vcc_lo
	v_cndmask_b32_e64 v82, v82, s0, vcc_lo
	s_add_co_i32 s0, s0, 1
	s_delay_alu instid0(SALU_CYCLE_1)
	s_cmp_lg_u32 s18, s0
	s_cbranch_scc1 .LBB72_652
.LBB72_653:
	s_wait_dscnt 0x0
	v_cmp_eq_f32_e32 vcc_lo, 0, v80
	v_cmp_eq_f32_e64 s0, 0, v81
	s_and_b32 s0, vcc_lo, s0
	s_delay_alu instid0(SALU_CYCLE_1) | instskip(NEXT) | instid1(SALU_CYCLE_1)
	s_and_saveexec_b32 s1, s0
	s_xor_b32 s0, exec_lo, s1
; %bb.654:
	v_cmp_ne_u32_e32 vcc_lo, 0, v86
	v_cndmask_b32_e32 v86, 32, v86, vcc_lo
; %bb.655:
	s_and_not1_saveexec_b32 s0, s0
	s_cbranch_execz .LBB72_661
; %bb.656:
	v_cmp_ngt_f32_e64 s1, |v80|, |v81|
	s_and_saveexec_b32 s12, s1
	s_delay_alu instid0(SALU_CYCLE_1)
	s_xor_b32 s1, exec_lo, s12
	s_cbranch_execz .LBB72_658
; %bb.657:
	v_div_scale_f32 v83, null, v81, v81, v80
	v_div_scale_f32 v91, vcc_lo, v80, v81, v80
	s_delay_alu instid0(VALU_DEP_2) | instskip(SKIP_1) | instid1(TRANS32_DEP_1)
	v_rcp_f32_e32 v89, v83
	v_nop
	v_fma_f32 v90, -v83, v89, 1.0
	s_delay_alu instid0(VALU_DEP_1) | instskip(NEXT) | instid1(VALU_DEP_1)
	v_fmac_f32_e32 v89, v90, v89
	v_mul_f32_e32 v90, v91, v89
	s_delay_alu instid0(VALU_DEP_1) | instskip(NEXT) | instid1(VALU_DEP_1)
	v_fma_f32 v92, -v83, v90, v91
	v_fmac_f32_e32 v90, v92, v89
	s_delay_alu instid0(VALU_DEP_1) | instskip(NEXT) | instid1(VALU_DEP_1)
	v_fma_f32 v83, -v83, v90, v91
	v_div_fmas_f32 v83, v83, v89, v90
	s_delay_alu instid0(VALU_DEP_1) | instskip(NEXT) | instid1(VALU_DEP_1)
	v_div_fixup_f32 v83, v83, v81, v80
	v_fmac_f32_e32 v81, v80, v83
	s_delay_alu instid0(VALU_DEP_1) | instskip(SKIP_1) | instid1(VALU_DEP_2)
	v_div_scale_f32 v80, null, v81, v81, 1.0
	v_div_scale_f32 v91, vcc_lo, 1.0, v81, 1.0
	v_rcp_f32_e32 v89, v80
	v_nop
	s_delay_alu instid0(TRANS32_DEP_1) | instskip(NEXT) | instid1(VALU_DEP_1)
	v_fma_f32 v90, -v80, v89, 1.0
	v_fmac_f32_e32 v89, v90, v89
	s_delay_alu instid0(VALU_DEP_1) | instskip(NEXT) | instid1(VALU_DEP_1)
	v_mul_f32_e32 v90, v91, v89
	v_fma_f32 v92, -v80, v90, v91
	s_delay_alu instid0(VALU_DEP_1) | instskip(NEXT) | instid1(VALU_DEP_1)
	v_fmac_f32_e32 v90, v92, v89
	v_fma_f32 v80, -v80, v90, v91
	s_delay_alu instid0(VALU_DEP_1) | instskip(NEXT) | instid1(VALU_DEP_1)
	v_div_fmas_f32 v80, v80, v89, v90
	v_div_fixup_f32 v81, v80, v81, 1.0
	s_delay_alu instid0(VALU_DEP_1)
	v_mul_f32_e32 v80, v83, v81
	v_xor_b32_e32 v81, 0x80000000, v81
.LBB72_658:
	s_and_not1_saveexec_b32 s1, s1
	s_cbranch_execz .LBB72_660
; %bb.659:
	s_delay_alu instid0(VALU_DEP_1) | instskip(SKIP_1) | instid1(VALU_DEP_2)
	v_div_scale_f32 v83, null, v80, v80, v81
	v_div_scale_f32 v91, vcc_lo, v81, v80, v81
	v_rcp_f32_e32 v89, v83
	v_nop
	s_delay_alu instid0(TRANS32_DEP_1) | instskip(NEXT) | instid1(VALU_DEP_1)
	v_fma_f32 v90, -v83, v89, 1.0
	v_fmac_f32_e32 v89, v90, v89
	s_delay_alu instid0(VALU_DEP_1) | instskip(NEXT) | instid1(VALU_DEP_1)
	v_mul_f32_e32 v90, v91, v89
	v_fma_f32 v92, -v83, v90, v91
	s_delay_alu instid0(VALU_DEP_1) | instskip(NEXT) | instid1(VALU_DEP_1)
	v_fmac_f32_e32 v90, v92, v89
	v_fma_f32 v83, -v83, v90, v91
	s_delay_alu instid0(VALU_DEP_1) | instskip(NEXT) | instid1(VALU_DEP_1)
	v_div_fmas_f32 v83, v83, v89, v90
	v_div_fixup_f32 v83, v83, v80, v81
	s_delay_alu instid0(VALU_DEP_1) | instskip(NEXT) | instid1(VALU_DEP_1)
	v_fmac_f32_e32 v80, v81, v83
	v_div_scale_f32 v81, null, v80, v80, 1.0
	s_delay_alu instid0(VALU_DEP_1) | instskip(SKIP_1) | instid1(TRANS32_DEP_1)
	v_rcp_f32_e32 v89, v81
	v_nop
	v_fma_f32 v90, -v81, v89, 1.0
	s_delay_alu instid0(VALU_DEP_1) | instskip(SKIP_1) | instid1(VALU_DEP_1)
	v_fmac_f32_e32 v89, v90, v89
	v_div_scale_f32 v90, vcc_lo, 1.0, v80, 1.0
	v_mul_f32_e32 v91, v90, v89
	s_delay_alu instid0(VALU_DEP_1) | instskip(NEXT) | instid1(VALU_DEP_1)
	v_fma_f32 v92, -v81, v91, v90
	v_fmac_f32_e32 v91, v92, v89
	s_delay_alu instid0(VALU_DEP_1) | instskip(NEXT) | instid1(VALU_DEP_1)
	v_fma_f32 v81, -v81, v91, v90
	v_div_fmas_f32 v81, v81, v89, v91
	s_delay_alu instid0(VALU_DEP_1) | instskip(NEXT) | instid1(VALU_DEP_1)
	v_div_fixup_f32 v80, v81, v80, 1.0
	v_mul_f32_e64 v81, v83, -v80
.LBB72_660:
	s_or_b32 exec_lo, exec_lo, s1
.LBB72_661:
	s_delay_alu instid0(SALU_CYCLE_1) | instskip(NEXT) | instid1(SALU_CYCLE_1)
	s_or_b32 exec_lo, exec_lo, s0
	s_mov_b32 s0, exec_lo
	v_cmpx_ne_u32_e64 v88, v82
	s_xor_b32 s0, exec_lo, s0
	s_cbranch_execz .LBB72_667
; %bb.662:
	s_mov_b32 s1, exec_lo
	v_cmpx_eq_u32_e32 31, v88
	s_cbranch_execz .LBB72_666
; %bb.663:
	v_cmp_ne_u32_e32 vcc_lo, 31, v82
	s_xor_b32 s12, s16, -1
	s_delay_alu instid0(SALU_CYCLE_1) | instskip(NEXT) | instid1(SALU_CYCLE_1)
	s_and_b32 s13, s12, vcc_lo
	s_and_saveexec_b32 s12, s13
	s_cbranch_execz .LBB72_665
; %bb.664:
	v_ashrrev_i32_e32 v83, 31, v82
	s_delay_alu instid0(VALU_DEP_1)
	v_lshl_add_u64 v[88:89], v[82:83], 2, v[4:5]
	s_clause 0x1
	global_load_b32 v83, v[88:89], off
	global_load_b32 v87, v[4:5], off offset:124
	s_wait_loadcnt 0x1
	global_store_b32 v[4:5], v83, off offset:124
	s_wait_loadcnt 0x0
	global_store_b32 v[88:89], v87, off
.LBB72_665:
	s_wait_xcnt 0x0
	s_or_b32 exec_lo, exec_lo, s12
	v_dual_mov_b32 v88, v82 :: v_dual_mov_b32 v87, v82
.LBB72_666:
	s_or_b32 exec_lo, exec_lo, s1
.LBB72_667:
	s_and_not1_saveexec_b32 s0, s0
	s_cbranch_execz .LBB72_669
; %bb.668:
	v_dual_mov_b32 v82, v6 :: v_dual_mov_b32 v83, v7
	v_dual_mov_b32 v90, v52 :: v_dual_mov_b32 v91, v53
	v_dual_mov_b32 v88, 31 :: v_dual_mov_b32 v92, v34
	v_dual_mov_b32 v93, v35 :: v_dual_mov_b32 v94, v16
	v_mov_b32_e32 v95, v17
	ds_store_2addr_b64 v84, v[82:83], v[90:91] offset0:32 offset1:33
	ds_store_2addr_b64 v84, v[92:93], v[94:95] offset0:34 offset1:35
	ds_store_b64 v84, v[78:79] offset:288
.LBB72_669:
	s_or_b32 exec_lo, exec_lo, s0
	s_delay_alu instid0(SALU_CYCLE_1)
	s_mov_b32 s0, exec_lo
	s_wait_storecnt_dscnt 0x0
	s_barrier_signal -1
	s_barrier_wait -1
	v_cmpx_lt_i32_e32 31, v88
	s_cbranch_execz .LBB72_671
; %bb.670:
	ds_load_2addr_b64 v[90:93], v84 offset0:32 offset1:33
	ds_load_2addr_b64 v[94:97], v84 offset0:34 offset1:35
	ds_load_b64 v[82:83], v84 offset:288
	v_pk_mul_f32 v[98:99], v[80:81], v[8:9] op_sel:[1,1] op_sel_hi:[0,1]
	s_delay_alu instid0(VALU_DEP_1) | instskip(SKIP_1) | instid1(VALU_DEP_1)
	v_pk_fma_f32 v[100:101], v[80:81], v[8:9], v[98:99] op_sel_hi:[1,0,1] neg_lo:[0,0,1] neg_hi:[0,0,1]
	v_pk_fma_f32 v[80:81], v[80:81], v[8:9], v[98:99] op_sel_hi:[1,0,1]
	v_dual_mov_b32 v8, v100 :: v_dual_mov_b32 v9, v81
	s_wait_dscnt 0x2
	s_delay_alu instid0(VALU_DEP_2)
	v_pk_mul_f32 v[98:99], v[90:91], v[80:81] op_sel:[0,1]
	v_pk_mul_f32 v[102:103], v[92:93], v[80:81] op_sel:[0,1]
	s_wait_dscnt 0x1
	v_pk_mul_f32 v[104:105], v[94:95], v[80:81] op_sel:[0,1]
	v_dual_mov_b32 v106, v97 :: v_dual_mov_b32 v107, v96
	v_dual_mul_f32 v108, v97, v81 :: v_dual_mul_f32 v110, v97, v100
	s_wait_dscnt 0x0
	v_pk_mul_f32 v[80:81], v[82:83], v[80:81] op_sel:[0,1]
	v_pk_fma_f32 v[112:113], v[90:91], v[100:101], v[98:99] op_sel:[0,0,1] op_sel_hi:[1,1,0] neg_lo:[0,0,1] neg_hi:[0,0,1]
	v_pk_fma_f32 v[90:91], v[90:91], v[100:101], v[98:99] op_sel:[0,0,1] op_sel_hi:[1,0,0]
	v_pk_fma_f32 v[98:99], v[92:93], v[100:101], v[102:103] op_sel:[0,0,1] op_sel_hi:[1,1,0] neg_lo:[0,0,1] neg_hi:[0,0,1]
	v_pk_fma_f32 v[92:93], v[92:93], v[100:101], v[102:103] op_sel:[0,0,1] op_sel_hi:[1,0,0]
	;; [unrolled: 2-line block ×3, first 2 shown]
	v_pk_fma_f32 v[104:105], v[106:107], v[8:9], v[110:111] op_sel_hi:[1,1,0]
	v_pk_fma_f32 v[106:107], v[82:83], v[100:101], v[80:81] op_sel:[0,0,1] op_sel_hi:[1,1,0] neg_lo:[0,0,1] neg_hi:[0,0,1]
	v_pk_fma_f32 v[80:81], v[82:83], v[100:101], v[80:81] op_sel:[0,0,1] op_sel_hi:[1,0,0]
	v_pk_fma_f32 v[96:97], v[96:97], v[8:9], v[108:109] op_sel_hi:[1,1,0] neg_lo:[0,0,1] neg_hi:[0,0,1]
	v_dual_mov_b32 v113, v91 :: v_dual_mov_b32 v99, v93
	v_dual_mov_b32 v103, v95 :: v_dual_mov_b32 v97, v105
	s_delay_alu instid0(VALU_DEP_4) | instskip(NEXT) | instid1(VALU_DEP_3)
	v_mov_b32_e32 v107, v81
	v_pk_add_f32 v[6:7], v[6:7], v[112:113] neg_lo:[0,1] neg_hi:[0,1]
	s_delay_alu instid0(VALU_DEP_4) | instskip(NEXT) | instid1(VALU_DEP_4)
	v_pk_add_f32 v[52:53], v[52:53], v[98:99] neg_lo:[0,1] neg_hi:[0,1]
	v_pk_add_f32 v[34:35], v[34:35], v[102:103] neg_lo:[0,1] neg_hi:[0,1]
	;; [unrolled: 1-line block ×4, first 2 shown]
.LBB72_671:
	s_or_b32 exec_lo, exec_lo, s0
	v_lshl_add_u32 v80, v88, 3, v84
	s_barrier_signal -1
	s_barrier_wait -1
	ds_store_b64 v80, v[6:7]
	s_wait_dscnt 0x0
	s_barrier_signal -1
	s_barrier_wait -1
	ds_load_b64 v[80:81], v84 offset:256
	v_mov_b32_e32 v82, 32
	s_cmp_lt_i32 s18, 34
	s_cbranch_scc1 .LBB72_674
; %bb.672:
	v_add3_u32 v83, v85, 0, 0x108
	v_mov_b32_e32 v82, 32
	s_mov_b32 s0, 33
.LBB72_673:                             ; =>This Inner Loop Header: Depth=1
	ds_load_b64 v[90:91], v83
	s_wait_dscnt 0x1
	v_cmp_gt_f32_e32 vcc_lo, 0, v80
	v_cndmask_b32_e64 v92, v80, -v80, vcc_lo
	v_cmp_gt_f32_e32 vcc_lo, 0, v81
	v_cndmask_b32_e64 v94, v81, -v81, vcc_lo
	s_wait_dscnt 0x0
	v_cmp_gt_f32_e32 vcc_lo, 0, v90
	v_cndmask_b32_e64 v93, v90, -v90, vcc_lo
	v_cmp_gt_f32_e32 vcc_lo, 0, v91
	v_cndmask_b32_e64 v95, v91, -v91, vcc_lo
	s_delay_alu instid0(VALU_DEP_1) | instskip(NEXT) | instid1(VALU_DEP_1)
	v_pk_add_f32 v[92:93], v[92:93], v[94:95]
	v_cmp_lt_f32_e32 vcc_lo, v92, v93
	v_dual_cndmask_b32 v80, v80, v90 :: v_dual_add_nc_u32 v83, 8, v83
	v_cndmask_b32_e32 v81, v81, v91, vcc_lo
	v_cndmask_b32_e64 v82, v82, s0, vcc_lo
	s_add_co_i32 s0, s0, 1
	s_delay_alu instid0(SALU_CYCLE_1)
	s_cmp_lg_u32 s18, s0
	s_cbranch_scc1 .LBB72_673
.LBB72_674:
	s_wait_dscnt 0x0
	v_cmp_eq_f32_e32 vcc_lo, 0, v80
	v_cmp_eq_f32_e64 s0, 0, v81
	s_and_b32 s0, vcc_lo, s0
	s_delay_alu instid0(SALU_CYCLE_1) | instskip(NEXT) | instid1(SALU_CYCLE_1)
	s_and_saveexec_b32 s1, s0
	s_xor_b32 s0, exec_lo, s1
; %bb.675:
	v_cmp_ne_u32_e32 vcc_lo, 0, v86
	v_cndmask_b32_e32 v86, 33, v86, vcc_lo
; %bb.676:
	s_and_not1_saveexec_b32 s0, s0
	s_cbranch_execz .LBB72_682
; %bb.677:
	v_cmp_ngt_f32_e64 s1, |v80|, |v81|
	s_and_saveexec_b32 s12, s1
	s_delay_alu instid0(SALU_CYCLE_1)
	s_xor_b32 s1, exec_lo, s12
	s_cbranch_execz .LBB72_679
; %bb.678:
	v_div_scale_f32 v83, null, v81, v81, v80
	v_div_scale_f32 v91, vcc_lo, v80, v81, v80
	s_delay_alu instid0(VALU_DEP_2) | instskip(SKIP_1) | instid1(TRANS32_DEP_1)
	v_rcp_f32_e32 v89, v83
	v_nop
	v_fma_f32 v90, -v83, v89, 1.0
	s_delay_alu instid0(VALU_DEP_1) | instskip(NEXT) | instid1(VALU_DEP_1)
	v_fmac_f32_e32 v89, v90, v89
	v_mul_f32_e32 v90, v91, v89
	s_delay_alu instid0(VALU_DEP_1) | instskip(NEXT) | instid1(VALU_DEP_1)
	v_fma_f32 v92, -v83, v90, v91
	v_fmac_f32_e32 v90, v92, v89
	s_delay_alu instid0(VALU_DEP_1) | instskip(NEXT) | instid1(VALU_DEP_1)
	v_fma_f32 v83, -v83, v90, v91
	v_div_fmas_f32 v83, v83, v89, v90
	s_delay_alu instid0(VALU_DEP_1) | instskip(NEXT) | instid1(VALU_DEP_1)
	v_div_fixup_f32 v83, v83, v81, v80
	v_fmac_f32_e32 v81, v80, v83
	s_delay_alu instid0(VALU_DEP_1) | instskip(SKIP_1) | instid1(VALU_DEP_2)
	v_div_scale_f32 v80, null, v81, v81, 1.0
	v_div_scale_f32 v91, vcc_lo, 1.0, v81, 1.0
	v_rcp_f32_e32 v89, v80
	v_nop
	s_delay_alu instid0(TRANS32_DEP_1) | instskip(NEXT) | instid1(VALU_DEP_1)
	v_fma_f32 v90, -v80, v89, 1.0
	v_fmac_f32_e32 v89, v90, v89
	s_delay_alu instid0(VALU_DEP_1) | instskip(NEXT) | instid1(VALU_DEP_1)
	v_mul_f32_e32 v90, v91, v89
	v_fma_f32 v92, -v80, v90, v91
	s_delay_alu instid0(VALU_DEP_1) | instskip(NEXT) | instid1(VALU_DEP_1)
	v_fmac_f32_e32 v90, v92, v89
	v_fma_f32 v80, -v80, v90, v91
	s_delay_alu instid0(VALU_DEP_1) | instskip(NEXT) | instid1(VALU_DEP_1)
	v_div_fmas_f32 v80, v80, v89, v90
	v_div_fixup_f32 v81, v80, v81, 1.0
	s_delay_alu instid0(VALU_DEP_1)
	v_mul_f32_e32 v80, v83, v81
	v_xor_b32_e32 v81, 0x80000000, v81
.LBB72_679:
	s_and_not1_saveexec_b32 s1, s1
	s_cbranch_execz .LBB72_681
; %bb.680:
	s_delay_alu instid0(VALU_DEP_1) | instskip(SKIP_1) | instid1(VALU_DEP_2)
	v_div_scale_f32 v83, null, v80, v80, v81
	v_div_scale_f32 v91, vcc_lo, v81, v80, v81
	v_rcp_f32_e32 v89, v83
	v_nop
	s_delay_alu instid0(TRANS32_DEP_1) | instskip(NEXT) | instid1(VALU_DEP_1)
	v_fma_f32 v90, -v83, v89, 1.0
	v_fmac_f32_e32 v89, v90, v89
	s_delay_alu instid0(VALU_DEP_1) | instskip(NEXT) | instid1(VALU_DEP_1)
	v_mul_f32_e32 v90, v91, v89
	v_fma_f32 v92, -v83, v90, v91
	s_delay_alu instid0(VALU_DEP_1) | instskip(NEXT) | instid1(VALU_DEP_1)
	v_fmac_f32_e32 v90, v92, v89
	v_fma_f32 v83, -v83, v90, v91
	s_delay_alu instid0(VALU_DEP_1) | instskip(NEXT) | instid1(VALU_DEP_1)
	v_div_fmas_f32 v83, v83, v89, v90
	v_div_fixup_f32 v83, v83, v80, v81
	s_delay_alu instid0(VALU_DEP_1) | instskip(NEXT) | instid1(VALU_DEP_1)
	v_fmac_f32_e32 v80, v81, v83
	v_div_scale_f32 v81, null, v80, v80, 1.0
	s_delay_alu instid0(VALU_DEP_1) | instskip(SKIP_1) | instid1(TRANS32_DEP_1)
	v_rcp_f32_e32 v89, v81
	v_nop
	v_fma_f32 v90, -v81, v89, 1.0
	s_delay_alu instid0(VALU_DEP_1) | instskip(SKIP_1) | instid1(VALU_DEP_1)
	v_fmac_f32_e32 v89, v90, v89
	v_div_scale_f32 v90, vcc_lo, 1.0, v80, 1.0
	v_mul_f32_e32 v91, v90, v89
	s_delay_alu instid0(VALU_DEP_1) | instskip(NEXT) | instid1(VALU_DEP_1)
	v_fma_f32 v92, -v81, v91, v90
	v_fmac_f32_e32 v91, v92, v89
	s_delay_alu instid0(VALU_DEP_1) | instskip(NEXT) | instid1(VALU_DEP_1)
	v_fma_f32 v81, -v81, v91, v90
	v_div_fmas_f32 v81, v81, v89, v91
	s_delay_alu instid0(VALU_DEP_1) | instskip(NEXT) | instid1(VALU_DEP_1)
	v_div_fixup_f32 v80, v81, v80, 1.0
	v_mul_f32_e64 v81, v83, -v80
.LBB72_681:
	s_or_b32 exec_lo, exec_lo, s1
.LBB72_682:
	s_delay_alu instid0(SALU_CYCLE_1) | instskip(NEXT) | instid1(SALU_CYCLE_1)
	s_or_b32 exec_lo, exec_lo, s0
	s_mov_b32 s0, exec_lo
	v_cmpx_ne_u32_e64 v88, v82
	s_xor_b32 s0, exec_lo, s0
	s_cbranch_execz .LBB72_688
; %bb.683:
	s_mov_b32 s1, exec_lo
	v_cmpx_eq_u32_e32 32, v88
	s_cbranch_execz .LBB72_687
; %bb.684:
	v_cmp_ne_u32_e32 vcc_lo, 32, v82
	s_xor_b32 s12, s16, -1
	s_delay_alu instid0(SALU_CYCLE_1) | instskip(NEXT) | instid1(SALU_CYCLE_1)
	s_and_b32 s13, s12, vcc_lo
	s_and_saveexec_b32 s12, s13
	s_cbranch_execz .LBB72_686
; %bb.685:
	v_ashrrev_i32_e32 v83, 31, v82
	s_delay_alu instid0(VALU_DEP_1)
	v_lshl_add_u64 v[88:89], v[82:83], 2, v[4:5]
	s_clause 0x1
	global_load_b32 v83, v[88:89], off
	global_load_b32 v87, v[4:5], off offset:128
	s_wait_loadcnt 0x1
	global_store_b32 v[4:5], v83, off offset:128
	s_wait_loadcnt 0x0
	global_store_b32 v[88:89], v87, off
.LBB72_686:
	s_wait_xcnt 0x0
	s_or_b32 exec_lo, exec_lo, s12
	v_dual_mov_b32 v88, v82 :: v_dual_mov_b32 v87, v82
.LBB72_687:
	s_or_b32 exec_lo, exec_lo, s1
.LBB72_688:
	s_and_not1_saveexec_b32 s0, s0
	s_cbranch_execz .LBB72_690
; %bb.689:
	v_mov_b32_e32 v88, 32
	ds_store_2addr_b64 v84, v[52:53], v[34:35] offset0:33 offset1:34
	ds_store_2addr_b64 v84, v[16:17], v[78:79] offset0:35 offset1:36
.LBB72_690:
	s_or_b32 exec_lo, exec_lo, s0
	s_delay_alu instid0(SALU_CYCLE_1)
	s_mov_b32 s0, exec_lo
	s_wait_storecnt_dscnt 0x0
	s_barrier_signal -1
	s_barrier_wait -1
	v_cmpx_lt_i32_e32 32, v88
	s_cbranch_execz .LBB72_692
; %bb.691:
	ds_load_2addr_b64 v[90:93], v84 offset0:33 offset1:34
	ds_load_2addr_b64 v[94:97], v84 offset0:35 offset1:36
	v_pk_mul_f32 v[82:83], v[80:81], v[6:7] op_sel:[1,1] op_sel_hi:[0,1]
	s_delay_alu instid0(VALU_DEP_1) | instskip(SKIP_1) | instid1(VALU_DEP_1)
	v_pk_fma_f32 v[98:99], v[80:81], v[6:7], v[82:83] op_sel_hi:[1,0,1] neg_lo:[0,0,1] neg_hi:[0,0,1]
	v_pk_fma_f32 v[80:81], v[80:81], v[6:7], v[82:83] op_sel_hi:[1,0,1]
	v_dual_mov_b32 v6, v98 :: v_dual_mov_b32 v7, v81
	s_wait_dscnt 0x1
	s_delay_alu instid0(VALU_DEP_2)
	v_pk_mul_f32 v[82:83], v[90:91], v[80:81] op_sel:[0,1]
	s_wait_dscnt 0x0
	v_mov_b32_e32 v100, v97
	v_pk_mul_f32 v[102:103], v[92:93], v[80:81] op_sel:[0,1]
	v_pk_mul_f32 v[104:105], v[94:95], v[80:81] op_sel:[0,1]
	v_pk_fma_f32 v[106:107], v[90:91], v[98:99], v[82:83] op_sel:[0,0,1] op_sel_hi:[1,1,0] neg_lo:[0,0,1] neg_hi:[0,0,1]
	v_pk_fma_f32 v[82:83], v[90:91], v[98:99], v[82:83] op_sel:[0,0,1] op_sel_hi:[1,0,0]
	s_delay_alu instid0(VALU_DEP_1) | instskip(NEXT) | instid1(VALU_DEP_1)
	v_dual_mov_b32 v101, v96 :: v_dual_mov_b32 v107, v83
	v_pk_mul_f32 v[90:91], v[100:101], v[80:81] op_sel:[0,1]
	v_pk_fma_f32 v[100:101], v[92:93], v[98:99], v[102:103] op_sel:[0,0,1] op_sel_hi:[1,0,0]
	v_pk_fma_f32 v[92:93], v[92:93], v[98:99], v[102:103] op_sel:[0,0,1] op_sel_hi:[1,1,0] neg_lo:[0,0,1] neg_hi:[0,0,1]
	v_pk_fma_f32 v[102:103], v[94:95], v[98:99], v[104:105] op_sel:[0,0,1] op_sel_hi:[1,0,0]
	v_pk_fma_f32 v[94:95], v[94:95], v[98:99], v[104:105] op_sel:[0,0,1] op_sel_hi:[1,1,0] neg_lo:[0,0,1] neg_hi:[0,0,1]
	v_pk_fma_f32 v[82:83], v[96:97], v[98:99], v[90:91] op_sel_hi:[1,0,1]
	v_pk_fma_f32 v[90:91], v[96:97], v[98:99], v[90:91] neg_lo:[0,0,1] neg_hi:[0,0,1]
	s_delay_alu instid0(VALU_DEP_4) | instskip(SKIP_1) | instid1(VALU_DEP_4)
	v_dual_mov_b32 v93, v101 :: v_dual_mov_b32 v95, v103
	v_pk_add_f32 v[52:53], v[52:53], v[106:107] neg_lo:[0,1] neg_hi:[0,1]
	v_mov_b32_e32 v91, v83
	s_delay_alu instid0(VALU_DEP_3) | instskip(NEXT) | instid1(VALU_DEP_4)
	v_pk_add_f32 v[34:35], v[34:35], v[92:93] neg_lo:[0,1] neg_hi:[0,1]
	v_pk_add_f32 v[16:17], v[16:17], v[94:95] neg_lo:[0,1] neg_hi:[0,1]
	s_delay_alu instid0(VALU_DEP_3)
	v_pk_add_f32 v[78:79], v[78:79], v[90:91] neg_lo:[0,1] neg_hi:[0,1]
.LBB72_692:
	s_or_b32 exec_lo, exec_lo, s0
	v_lshl_add_u32 v80, v88, 3, v84
	s_barrier_signal -1
	s_barrier_wait -1
	ds_store_b64 v80, v[52:53]
	s_wait_dscnt 0x0
	s_barrier_signal -1
	s_barrier_wait -1
	ds_load_b64 v[80:81], v84 offset:264
	v_mov_b32_e32 v82, 33
	s_cmp_lt_i32 s18, 35
	s_cbranch_scc1 .LBB72_695
; %bb.693:
	v_add3_u32 v83, v85, 0, 0x110
	v_mov_b32_e32 v82, 33
	s_mov_b32 s0, 34
.LBB72_694:                             ; =>This Inner Loop Header: Depth=1
	ds_load_b64 v[90:91], v83
	s_wait_dscnt 0x1
	v_cmp_gt_f32_e32 vcc_lo, 0, v80
	v_cndmask_b32_e64 v92, v80, -v80, vcc_lo
	v_cmp_gt_f32_e32 vcc_lo, 0, v81
	v_cndmask_b32_e64 v94, v81, -v81, vcc_lo
	s_wait_dscnt 0x0
	v_cmp_gt_f32_e32 vcc_lo, 0, v90
	v_cndmask_b32_e64 v93, v90, -v90, vcc_lo
	v_cmp_gt_f32_e32 vcc_lo, 0, v91
	v_cndmask_b32_e64 v95, v91, -v91, vcc_lo
	s_delay_alu instid0(VALU_DEP_1) | instskip(NEXT) | instid1(VALU_DEP_1)
	v_pk_add_f32 v[92:93], v[92:93], v[94:95]
	v_cmp_lt_f32_e32 vcc_lo, v92, v93
	v_dual_cndmask_b32 v80, v80, v90 :: v_dual_add_nc_u32 v83, 8, v83
	v_cndmask_b32_e32 v81, v81, v91, vcc_lo
	v_cndmask_b32_e64 v82, v82, s0, vcc_lo
	s_add_co_i32 s0, s0, 1
	s_delay_alu instid0(SALU_CYCLE_1)
	s_cmp_lg_u32 s18, s0
	s_cbranch_scc1 .LBB72_694
.LBB72_695:
	s_wait_dscnt 0x0
	v_cmp_eq_f32_e32 vcc_lo, 0, v80
	v_cmp_eq_f32_e64 s0, 0, v81
	s_and_b32 s0, vcc_lo, s0
	s_delay_alu instid0(SALU_CYCLE_1) | instskip(NEXT) | instid1(SALU_CYCLE_1)
	s_and_saveexec_b32 s1, s0
	s_xor_b32 s0, exec_lo, s1
; %bb.696:
	v_cmp_ne_u32_e32 vcc_lo, 0, v86
	v_cndmask_b32_e32 v86, 34, v86, vcc_lo
; %bb.697:
	s_and_not1_saveexec_b32 s0, s0
	s_cbranch_execz .LBB72_703
; %bb.698:
	v_cmp_ngt_f32_e64 s1, |v80|, |v81|
	s_and_saveexec_b32 s12, s1
	s_delay_alu instid0(SALU_CYCLE_1)
	s_xor_b32 s1, exec_lo, s12
	s_cbranch_execz .LBB72_700
; %bb.699:
	v_div_scale_f32 v83, null, v81, v81, v80
	v_div_scale_f32 v91, vcc_lo, v80, v81, v80
	s_delay_alu instid0(VALU_DEP_2) | instskip(SKIP_1) | instid1(TRANS32_DEP_1)
	v_rcp_f32_e32 v89, v83
	v_nop
	v_fma_f32 v90, -v83, v89, 1.0
	s_delay_alu instid0(VALU_DEP_1) | instskip(NEXT) | instid1(VALU_DEP_1)
	v_fmac_f32_e32 v89, v90, v89
	v_mul_f32_e32 v90, v91, v89
	s_delay_alu instid0(VALU_DEP_1) | instskip(NEXT) | instid1(VALU_DEP_1)
	v_fma_f32 v92, -v83, v90, v91
	v_fmac_f32_e32 v90, v92, v89
	s_delay_alu instid0(VALU_DEP_1) | instskip(NEXT) | instid1(VALU_DEP_1)
	v_fma_f32 v83, -v83, v90, v91
	v_div_fmas_f32 v83, v83, v89, v90
	s_delay_alu instid0(VALU_DEP_1) | instskip(NEXT) | instid1(VALU_DEP_1)
	v_div_fixup_f32 v83, v83, v81, v80
	v_fmac_f32_e32 v81, v80, v83
	s_delay_alu instid0(VALU_DEP_1) | instskip(SKIP_1) | instid1(VALU_DEP_2)
	v_div_scale_f32 v80, null, v81, v81, 1.0
	v_div_scale_f32 v91, vcc_lo, 1.0, v81, 1.0
	v_rcp_f32_e32 v89, v80
	v_nop
	s_delay_alu instid0(TRANS32_DEP_1) | instskip(NEXT) | instid1(VALU_DEP_1)
	v_fma_f32 v90, -v80, v89, 1.0
	v_fmac_f32_e32 v89, v90, v89
	s_delay_alu instid0(VALU_DEP_1) | instskip(NEXT) | instid1(VALU_DEP_1)
	v_mul_f32_e32 v90, v91, v89
	v_fma_f32 v92, -v80, v90, v91
	s_delay_alu instid0(VALU_DEP_1) | instskip(NEXT) | instid1(VALU_DEP_1)
	v_fmac_f32_e32 v90, v92, v89
	v_fma_f32 v80, -v80, v90, v91
	s_delay_alu instid0(VALU_DEP_1) | instskip(NEXT) | instid1(VALU_DEP_1)
	v_div_fmas_f32 v80, v80, v89, v90
	v_div_fixup_f32 v81, v80, v81, 1.0
	s_delay_alu instid0(VALU_DEP_1)
	v_mul_f32_e32 v80, v83, v81
	v_xor_b32_e32 v81, 0x80000000, v81
.LBB72_700:
	s_and_not1_saveexec_b32 s1, s1
	s_cbranch_execz .LBB72_702
; %bb.701:
	s_delay_alu instid0(VALU_DEP_1) | instskip(SKIP_1) | instid1(VALU_DEP_2)
	v_div_scale_f32 v83, null, v80, v80, v81
	v_div_scale_f32 v91, vcc_lo, v81, v80, v81
	v_rcp_f32_e32 v89, v83
	v_nop
	s_delay_alu instid0(TRANS32_DEP_1) | instskip(NEXT) | instid1(VALU_DEP_1)
	v_fma_f32 v90, -v83, v89, 1.0
	v_fmac_f32_e32 v89, v90, v89
	s_delay_alu instid0(VALU_DEP_1) | instskip(NEXT) | instid1(VALU_DEP_1)
	v_mul_f32_e32 v90, v91, v89
	v_fma_f32 v92, -v83, v90, v91
	s_delay_alu instid0(VALU_DEP_1) | instskip(NEXT) | instid1(VALU_DEP_1)
	v_fmac_f32_e32 v90, v92, v89
	v_fma_f32 v83, -v83, v90, v91
	s_delay_alu instid0(VALU_DEP_1) | instskip(NEXT) | instid1(VALU_DEP_1)
	v_div_fmas_f32 v83, v83, v89, v90
	v_div_fixup_f32 v83, v83, v80, v81
	s_delay_alu instid0(VALU_DEP_1) | instskip(NEXT) | instid1(VALU_DEP_1)
	v_fmac_f32_e32 v80, v81, v83
	v_div_scale_f32 v81, null, v80, v80, 1.0
	s_delay_alu instid0(VALU_DEP_1) | instskip(SKIP_1) | instid1(TRANS32_DEP_1)
	v_rcp_f32_e32 v89, v81
	v_nop
	v_fma_f32 v90, -v81, v89, 1.0
	s_delay_alu instid0(VALU_DEP_1) | instskip(SKIP_1) | instid1(VALU_DEP_1)
	v_fmac_f32_e32 v89, v90, v89
	v_div_scale_f32 v90, vcc_lo, 1.0, v80, 1.0
	v_mul_f32_e32 v91, v90, v89
	s_delay_alu instid0(VALU_DEP_1) | instskip(NEXT) | instid1(VALU_DEP_1)
	v_fma_f32 v92, -v81, v91, v90
	v_fmac_f32_e32 v91, v92, v89
	s_delay_alu instid0(VALU_DEP_1) | instskip(NEXT) | instid1(VALU_DEP_1)
	v_fma_f32 v81, -v81, v91, v90
	v_div_fmas_f32 v81, v81, v89, v91
	s_delay_alu instid0(VALU_DEP_1) | instskip(NEXT) | instid1(VALU_DEP_1)
	v_div_fixup_f32 v80, v81, v80, 1.0
	v_mul_f32_e64 v81, v83, -v80
.LBB72_702:
	s_or_b32 exec_lo, exec_lo, s1
.LBB72_703:
	s_delay_alu instid0(SALU_CYCLE_1) | instskip(NEXT) | instid1(SALU_CYCLE_1)
	s_or_b32 exec_lo, exec_lo, s0
	s_mov_b32 s0, exec_lo
	v_cmpx_ne_u32_e64 v88, v82
	s_xor_b32 s0, exec_lo, s0
	s_cbranch_execz .LBB72_709
; %bb.704:
	s_mov_b32 s1, exec_lo
	v_cmpx_eq_u32_e32 33, v88
	s_cbranch_execz .LBB72_708
; %bb.705:
	v_cmp_ne_u32_e32 vcc_lo, 33, v82
	s_xor_b32 s12, s16, -1
	s_delay_alu instid0(SALU_CYCLE_1) | instskip(NEXT) | instid1(SALU_CYCLE_1)
	s_and_b32 s13, s12, vcc_lo
	s_and_saveexec_b32 s12, s13
	s_cbranch_execz .LBB72_707
; %bb.706:
	v_ashrrev_i32_e32 v83, 31, v82
	s_delay_alu instid0(VALU_DEP_1)
	v_lshl_add_u64 v[88:89], v[82:83], 2, v[4:5]
	s_clause 0x1
	global_load_b32 v83, v[88:89], off
	global_load_b32 v87, v[4:5], off offset:132
	s_wait_loadcnt 0x1
	global_store_b32 v[4:5], v83, off offset:132
	s_wait_loadcnt 0x0
	global_store_b32 v[88:89], v87, off
.LBB72_707:
	s_wait_xcnt 0x0
	s_or_b32 exec_lo, exec_lo, s12
	v_dual_mov_b32 v88, v82 :: v_dual_mov_b32 v87, v82
.LBB72_708:
	s_or_b32 exec_lo, exec_lo, s1
.LBB72_709:
	s_and_not1_saveexec_b32 s0, s0
	s_cbranch_execz .LBB72_711
; %bb.710:
	v_dual_mov_b32 v82, v34 :: v_dual_mov_b32 v83, v35
	v_dual_mov_b32 v90, v16 :: v_dual_mov_b32 v91, v17
	v_mov_b32_e32 v88, 33
	ds_store_2addr_b64 v84, v[82:83], v[90:91] offset0:34 offset1:35
	ds_store_b64 v84, v[78:79] offset:288
.LBB72_711:
	s_or_b32 exec_lo, exec_lo, s0
	s_delay_alu instid0(SALU_CYCLE_1)
	s_mov_b32 s0, exec_lo
	s_wait_storecnt_dscnt 0x0
	s_barrier_signal -1
	s_barrier_wait -1
	v_cmpx_lt_i32_e32 33, v88
	s_cbranch_execz .LBB72_713
; %bb.712:
	ds_load_2addr_b64 v[90:93], v84 offset0:34 offset1:35
	ds_load_b64 v[82:83], v84 offset:288
	v_pk_mul_f32 v[94:95], v[80:81], v[52:53] op_sel:[1,1] op_sel_hi:[0,1]
	s_delay_alu instid0(VALU_DEP_1) | instskip(SKIP_2) | instid1(VALU_DEP_2)
	v_pk_fma_f32 v[96:97], v[80:81], v[52:53], v[94:95] op_sel_hi:[1,0,1]
	v_pk_fma_f32 v[52:53], v[80:81], v[52:53], v[94:95] op_sel_hi:[1,0,1] neg_lo:[0,0,1] neg_hi:[0,0,1]
	s_wait_dscnt 0x1
	v_pk_mul_f32 v[80:81], v[90:91], v[96:97] op_sel:[0,1]
	v_pk_mul_f32 v[94:95], v[92:93], v[96:97] op_sel:[0,1]
	s_wait_dscnt 0x0
	v_pk_mul_f32 v[98:99], v[82:83], v[96:97] op_sel:[1,1] op_sel_hi:[0,1]
	s_delay_alu instid0(VALU_DEP_3) | instskip(SKIP_2) | instid1(VALU_DEP_4)
	v_pk_fma_f32 v[100:101], v[90:91], v[52:53], v[80:81] op_sel:[0,0,1] op_sel_hi:[1,1,0] neg_lo:[0,0,1] neg_hi:[0,0,1]
	v_pk_fma_f32 v[80:81], v[90:91], v[52:53], v[80:81] op_sel:[0,0,1] op_sel_hi:[1,0,0]
	v_pk_fma_f32 v[90:91], v[92:93], v[52:53], v[94:95] op_sel:[0,0,1] op_sel_hi:[1,0,0]
	v_pk_fma_f32 v[102:103], v[82:83], v[52:53], v[98:99] op_sel_hi:[1,0,1]
	v_pk_fma_f32 v[92:93], v[92:93], v[52:53], v[94:95] op_sel:[0,0,1] op_sel_hi:[1,1,0] neg_lo:[0,0,1] neg_hi:[0,0,1]
	v_pk_fma_f32 v[82:83], v[82:83], v[52:53], v[98:99] neg_lo:[0,0,1] neg_hi:[0,0,1]
	s_delay_alu instid0(VALU_DEP_4) | instskip(NEXT) | instid1(VALU_DEP_4)
	v_dual_mov_b32 v101, v81 :: v_dual_mov_b32 v93, v91
	v_dual_mov_b32 v83, v103 :: v_dual_mov_b32 v53, v97
	s_delay_alu instid0(VALU_DEP_2) | instskip(NEXT) | instid1(VALU_DEP_3)
	v_pk_add_f32 v[34:35], v[34:35], v[100:101] neg_lo:[0,1] neg_hi:[0,1]
	v_pk_add_f32 v[16:17], v[16:17], v[92:93] neg_lo:[0,1] neg_hi:[0,1]
	s_delay_alu instid0(VALU_DEP_3)
	v_pk_add_f32 v[78:79], v[78:79], v[82:83] neg_lo:[0,1] neg_hi:[0,1]
.LBB72_713:
	s_or_b32 exec_lo, exec_lo, s0
	v_lshl_add_u32 v80, v88, 3, v84
	s_barrier_signal -1
	s_barrier_wait -1
	ds_store_b64 v80, v[34:35]
	s_wait_dscnt 0x0
	s_barrier_signal -1
	s_barrier_wait -1
	ds_load_b64 v[80:81], v84 offset:272
	v_mov_b32_e32 v82, 34
	s_cmp_lt_i32 s18, 36
	s_cbranch_scc1 .LBB72_716
; %bb.714:
	v_add3_u32 v83, v85, 0, 0x118
	v_mov_b32_e32 v82, 34
	s_mov_b32 s0, 35
.LBB72_715:                             ; =>This Inner Loop Header: Depth=1
	ds_load_b64 v[90:91], v83
	s_wait_dscnt 0x1
	v_cmp_gt_f32_e32 vcc_lo, 0, v80
	v_cndmask_b32_e64 v92, v80, -v80, vcc_lo
	v_cmp_gt_f32_e32 vcc_lo, 0, v81
	v_cndmask_b32_e64 v94, v81, -v81, vcc_lo
	s_wait_dscnt 0x0
	v_cmp_gt_f32_e32 vcc_lo, 0, v90
	v_cndmask_b32_e64 v93, v90, -v90, vcc_lo
	v_cmp_gt_f32_e32 vcc_lo, 0, v91
	v_cndmask_b32_e64 v95, v91, -v91, vcc_lo
	s_delay_alu instid0(VALU_DEP_1) | instskip(NEXT) | instid1(VALU_DEP_1)
	v_pk_add_f32 v[92:93], v[92:93], v[94:95]
	v_cmp_lt_f32_e32 vcc_lo, v92, v93
	v_dual_cndmask_b32 v80, v80, v90 :: v_dual_add_nc_u32 v83, 8, v83
	v_cndmask_b32_e32 v81, v81, v91, vcc_lo
	v_cndmask_b32_e64 v82, v82, s0, vcc_lo
	s_add_co_i32 s0, s0, 1
	s_delay_alu instid0(SALU_CYCLE_1)
	s_cmp_lg_u32 s18, s0
	s_cbranch_scc1 .LBB72_715
.LBB72_716:
	s_wait_dscnt 0x0
	v_cmp_eq_f32_e32 vcc_lo, 0, v80
	v_cmp_eq_f32_e64 s0, 0, v81
	s_and_b32 s0, vcc_lo, s0
	s_delay_alu instid0(SALU_CYCLE_1) | instskip(NEXT) | instid1(SALU_CYCLE_1)
	s_and_saveexec_b32 s1, s0
	s_xor_b32 s0, exec_lo, s1
; %bb.717:
	v_cmp_ne_u32_e32 vcc_lo, 0, v86
	v_cndmask_b32_e32 v86, 35, v86, vcc_lo
; %bb.718:
	s_and_not1_saveexec_b32 s0, s0
	s_cbranch_execz .LBB72_724
; %bb.719:
	v_cmp_ngt_f32_e64 s1, |v80|, |v81|
	s_and_saveexec_b32 s12, s1
	s_delay_alu instid0(SALU_CYCLE_1)
	s_xor_b32 s1, exec_lo, s12
	s_cbranch_execz .LBB72_721
; %bb.720:
	v_div_scale_f32 v83, null, v81, v81, v80
	v_div_scale_f32 v91, vcc_lo, v80, v81, v80
	s_delay_alu instid0(VALU_DEP_2) | instskip(SKIP_1) | instid1(TRANS32_DEP_1)
	v_rcp_f32_e32 v89, v83
	v_nop
	v_fma_f32 v90, -v83, v89, 1.0
	s_delay_alu instid0(VALU_DEP_1) | instskip(NEXT) | instid1(VALU_DEP_1)
	v_fmac_f32_e32 v89, v90, v89
	v_mul_f32_e32 v90, v91, v89
	s_delay_alu instid0(VALU_DEP_1) | instskip(NEXT) | instid1(VALU_DEP_1)
	v_fma_f32 v92, -v83, v90, v91
	v_fmac_f32_e32 v90, v92, v89
	s_delay_alu instid0(VALU_DEP_1) | instskip(NEXT) | instid1(VALU_DEP_1)
	v_fma_f32 v83, -v83, v90, v91
	v_div_fmas_f32 v83, v83, v89, v90
	s_delay_alu instid0(VALU_DEP_1) | instskip(NEXT) | instid1(VALU_DEP_1)
	v_div_fixup_f32 v83, v83, v81, v80
	v_fmac_f32_e32 v81, v80, v83
	s_delay_alu instid0(VALU_DEP_1) | instskip(SKIP_1) | instid1(VALU_DEP_2)
	v_div_scale_f32 v80, null, v81, v81, 1.0
	v_div_scale_f32 v91, vcc_lo, 1.0, v81, 1.0
	v_rcp_f32_e32 v89, v80
	v_nop
	s_delay_alu instid0(TRANS32_DEP_1) | instskip(NEXT) | instid1(VALU_DEP_1)
	v_fma_f32 v90, -v80, v89, 1.0
	v_fmac_f32_e32 v89, v90, v89
	s_delay_alu instid0(VALU_DEP_1) | instskip(NEXT) | instid1(VALU_DEP_1)
	v_mul_f32_e32 v90, v91, v89
	v_fma_f32 v92, -v80, v90, v91
	s_delay_alu instid0(VALU_DEP_1) | instskip(NEXT) | instid1(VALU_DEP_1)
	v_fmac_f32_e32 v90, v92, v89
	v_fma_f32 v80, -v80, v90, v91
	s_delay_alu instid0(VALU_DEP_1) | instskip(NEXT) | instid1(VALU_DEP_1)
	v_div_fmas_f32 v80, v80, v89, v90
	v_div_fixup_f32 v81, v80, v81, 1.0
	s_delay_alu instid0(VALU_DEP_1)
	v_mul_f32_e32 v80, v83, v81
	v_xor_b32_e32 v81, 0x80000000, v81
.LBB72_721:
	s_and_not1_saveexec_b32 s1, s1
	s_cbranch_execz .LBB72_723
; %bb.722:
	s_delay_alu instid0(VALU_DEP_1) | instskip(SKIP_1) | instid1(VALU_DEP_2)
	v_div_scale_f32 v83, null, v80, v80, v81
	v_div_scale_f32 v91, vcc_lo, v81, v80, v81
	v_rcp_f32_e32 v89, v83
	v_nop
	s_delay_alu instid0(TRANS32_DEP_1) | instskip(NEXT) | instid1(VALU_DEP_1)
	v_fma_f32 v90, -v83, v89, 1.0
	v_fmac_f32_e32 v89, v90, v89
	s_delay_alu instid0(VALU_DEP_1) | instskip(NEXT) | instid1(VALU_DEP_1)
	v_mul_f32_e32 v90, v91, v89
	v_fma_f32 v92, -v83, v90, v91
	s_delay_alu instid0(VALU_DEP_1) | instskip(NEXT) | instid1(VALU_DEP_1)
	v_fmac_f32_e32 v90, v92, v89
	v_fma_f32 v83, -v83, v90, v91
	s_delay_alu instid0(VALU_DEP_1) | instskip(NEXT) | instid1(VALU_DEP_1)
	v_div_fmas_f32 v83, v83, v89, v90
	v_div_fixup_f32 v83, v83, v80, v81
	s_delay_alu instid0(VALU_DEP_1) | instskip(NEXT) | instid1(VALU_DEP_1)
	v_fmac_f32_e32 v80, v81, v83
	v_div_scale_f32 v81, null, v80, v80, 1.0
	s_delay_alu instid0(VALU_DEP_1) | instskip(SKIP_1) | instid1(TRANS32_DEP_1)
	v_rcp_f32_e32 v89, v81
	v_nop
	v_fma_f32 v90, -v81, v89, 1.0
	s_delay_alu instid0(VALU_DEP_1) | instskip(SKIP_1) | instid1(VALU_DEP_1)
	v_fmac_f32_e32 v89, v90, v89
	v_div_scale_f32 v90, vcc_lo, 1.0, v80, 1.0
	v_mul_f32_e32 v91, v90, v89
	s_delay_alu instid0(VALU_DEP_1) | instskip(NEXT) | instid1(VALU_DEP_1)
	v_fma_f32 v92, -v81, v91, v90
	v_fmac_f32_e32 v91, v92, v89
	s_delay_alu instid0(VALU_DEP_1) | instskip(NEXT) | instid1(VALU_DEP_1)
	v_fma_f32 v81, -v81, v91, v90
	v_div_fmas_f32 v81, v81, v89, v91
	s_delay_alu instid0(VALU_DEP_1) | instskip(NEXT) | instid1(VALU_DEP_1)
	v_div_fixup_f32 v80, v81, v80, 1.0
	v_mul_f32_e64 v81, v83, -v80
.LBB72_723:
	s_or_b32 exec_lo, exec_lo, s1
.LBB72_724:
	s_delay_alu instid0(SALU_CYCLE_1) | instskip(NEXT) | instid1(SALU_CYCLE_1)
	s_or_b32 exec_lo, exec_lo, s0
	s_mov_b32 s0, exec_lo
	v_cmpx_ne_u32_e64 v88, v82
	s_xor_b32 s0, exec_lo, s0
	s_cbranch_execz .LBB72_730
; %bb.725:
	s_mov_b32 s1, exec_lo
	v_cmpx_eq_u32_e32 34, v88
	s_cbranch_execz .LBB72_729
; %bb.726:
	v_cmp_ne_u32_e32 vcc_lo, 34, v82
	s_xor_b32 s12, s16, -1
	s_delay_alu instid0(SALU_CYCLE_1) | instskip(NEXT) | instid1(SALU_CYCLE_1)
	s_and_b32 s13, s12, vcc_lo
	s_and_saveexec_b32 s12, s13
	s_cbranch_execz .LBB72_728
; %bb.727:
	v_ashrrev_i32_e32 v83, 31, v82
	s_delay_alu instid0(VALU_DEP_1)
	v_lshl_add_u64 v[88:89], v[82:83], 2, v[4:5]
	s_clause 0x1
	global_load_b32 v83, v[88:89], off
	global_load_b32 v87, v[4:5], off offset:136
	s_wait_loadcnt 0x1
	global_store_b32 v[4:5], v83, off offset:136
	s_wait_loadcnt 0x0
	global_store_b32 v[88:89], v87, off
.LBB72_728:
	s_wait_xcnt 0x0
	s_or_b32 exec_lo, exec_lo, s12
	v_dual_mov_b32 v88, v82 :: v_dual_mov_b32 v87, v82
.LBB72_729:
	s_or_b32 exec_lo, exec_lo, s1
.LBB72_730:
	s_and_not1_saveexec_b32 s0, s0
; %bb.731:
	v_mov_b32_e32 v88, 34
	ds_store_2addr_b64 v84, v[16:17], v[78:79] offset0:35 offset1:36
; %bb.732:
	s_or_b32 exec_lo, exec_lo, s0
	s_delay_alu instid0(SALU_CYCLE_1)
	s_mov_b32 s0, exec_lo
	s_wait_storecnt_dscnt 0x0
	s_barrier_signal -1
	s_barrier_wait -1
	v_cmpx_lt_i32_e32 34, v88
	s_cbranch_execz .LBB72_734
; %bb.733:
	ds_load_2addr_b64 v[90:93], v84 offset0:35 offset1:36
	v_pk_mul_f32 v[82:83], v[80:81], v[34:35] op_sel:[1,1] op_sel_hi:[0,1]
	s_delay_alu instid0(VALU_DEP_1) | instskip(SKIP_3) | instid1(VALU_DEP_3)
	v_pk_fma_f32 v[94:95], v[80:81], v[34:35], v[82:83] op_sel_hi:[1,0,1]
	v_pk_fma_f32 v[34:35], v[80:81], v[34:35], v[82:83] op_sel_hi:[1,0,1] neg_lo:[0,0,1] neg_hi:[0,0,1]
	s_wait_dscnt 0x0
	v_dual_mov_b32 v96, v93 :: v_dual_mov_b32 v97, v92
	v_pk_mul_f32 v[80:81], v[90:91], v[94:95] op_sel:[0,1]
	s_delay_alu instid0(VALU_DEP_2) | instskip(NEXT) | instid1(VALU_DEP_2)
	v_pk_mul_f32 v[82:83], v[96:97], v[94:95] op_sel:[0,1]
	v_pk_fma_f32 v[96:97], v[90:91], v[34:35], v[80:81] op_sel:[0,0,1] op_sel_hi:[1,0,0]
	v_pk_fma_f32 v[80:81], v[90:91], v[34:35], v[80:81] op_sel:[0,0,1] op_sel_hi:[1,1,0] neg_lo:[0,0,1] neg_hi:[0,0,1]
	s_delay_alu instid0(VALU_DEP_3) | instskip(SKIP_1) | instid1(VALU_DEP_4)
	v_pk_fma_f32 v[98:99], v[92:93], v[34:35], v[82:83] op_sel_hi:[1,0,1]
	v_pk_fma_f32 v[82:83], v[92:93], v[34:35], v[82:83] neg_lo:[0,0,1] neg_hi:[0,0,1]
	v_dual_mov_b32 v81, v97 :: v_dual_mov_b32 v35, v95
	s_delay_alu instid0(VALU_DEP_3) | instskip(NEXT) | instid1(VALU_DEP_2)
	v_mov_b32_e32 v83, v99
	v_pk_add_f32 v[16:17], v[16:17], v[80:81] neg_lo:[0,1] neg_hi:[0,1]
	s_delay_alu instid0(VALU_DEP_2)
	v_pk_add_f32 v[78:79], v[78:79], v[82:83] neg_lo:[0,1] neg_hi:[0,1]
.LBB72_734:
	s_or_b32 exec_lo, exec_lo, s0
	v_lshl_add_u32 v80, v88, 3, v84
	s_barrier_signal -1
	s_barrier_wait -1
	ds_store_b64 v80, v[16:17]
	s_wait_dscnt 0x0
	s_barrier_signal -1
	s_barrier_wait -1
	ds_load_b64 v[80:81], v84 offset:280
	v_mov_b32_e32 v82, 35
	s_cmp_lt_i32 s18, 37
	s_cbranch_scc1 .LBB72_737
; %bb.735:
	v_add3_u32 v83, v85, 0, 0x120
	v_mov_b32_e32 v82, 35
	s_mov_b32 s0, 36
.LBB72_736:                             ; =>This Inner Loop Header: Depth=1
	ds_load_b64 v[90:91], v83
	s_wait_dscnt 0x1
	v_cmp_gt_f32_e32 vcc_lo, 0, v80
	v_cndmask_b32_e64 v92, v80, -v80, vcc_lo
	v_cmp_gt_f32_e32 vcc_lo, 0, v81
	v_cndmask_b32_e64 v94, v81, -v81, vcc_lo
	s_wait_dscnt 0x0
	v_cmp_gt_f32_e32 vcc_lo, 0, v90
	v_cndmask_b32_e64 v93, v90, -v90, vcc_lo
	v_cmp_gt_f32_e32 vcc_lo, 0, v91
	v_cndmask_b32_e64 v95, v91, -v91, vcc_lo
	s_delay_alu instid0(VALU_DEP_1) | instskip(NEXT) | instid1(VALU_DEP_1)
	v_pk_add_f32 v[92:93], v[92:93], v[94:95]
	v_cmp_lt_f32_e32 vcc_lo, v92, v93
	v_dual_cndmask_b32 v80, v80, v90 :: v_dual_add_nc_u32 v83, 8, v83
	v_cndmask_b32_e32 v81, v81, v91, vcc_lo
	v_cndmask_b32_e64 v82, v82, s0, vcc_lo
	s_add_co_i32 s0, s0, 1
	s_delay_alu instid0(SALU_CYCLE_1)
	s_cmp_lg_u32 s18, s0
	s_cbranch_scc1 .LBB72_736
.LBB72_737:
	s_wait_dscnt 0x0
	v_cmp_eq_f32_e32 vcc_lo, 0, v80
	v_cmp_eq_f32_e64 s0, 0, v81
	s_and_b32 s0, vcc_lo, s0
	s_delay_alu instid0(SALU_CYCLE_1) | instskip(NEXT) | instid1(SALU_CYCLE_1)
	s_and_saveexec_b32 s1, s0
	s_xor_b32 s0, exec_lo, s1
; %bb.738:
	v_cmp_ne_u32_e32 vcc_lo, 0, v86
	v_cndmask_b32_e32 v86, 36, v86, vcc_lo
; %bb.739:
	s_and_not1_saveexec_b32 s0, s0
	s_cbranch_execz .LBB72_745
; %bb.740:
	v_cmp_ngt_f32_e64 s1, |v80|, |v81|
	s_and_saveexec_b32 s12, s1
	s_delay_alu instid0(SALU_CYCLE_1)
	s_xor_b32 s1, exec_lo, s12
	s_cbranch_execz .LBB72_742
; %bb.741:
	v_div_scale_f32 v83, null, v81, v81, v80
	v_div_scale_f32 v91, vcc_lo, v80, v81, v80
	s_delay_alu instid0(VALU_DEP_2) | instskip(SKIP_1) | instid1(TRANS32_DEP_1)
	v_rcp_f32_e32 v89, v83
	v_nop
	v_fma_f32 v90, -v83, v89, 1.0
	s_delay_alu instid0(VALU_DEP_1) | instskip(NEXT) | instid1(VALU_DEP_1)
	v_fmac_f32_e32 v89, v90, v89
	v_mul_f32_e32 v90, v91, v89
	s_delay_alu instid0(VALU_DEP_1) | instskip(NEXT) | instid1(VALU_DEP_1)
	v_fma_f32 v92, -v83, v90, v91
	v_fmac_f32_e32 v90, v92, v89
	s_delay_alu instid0(VALU_DEP_1) | instskip(NEXT) | instid1(VALU_DEP_1)
	v_fma_f32 v83, -v83, v90, v91
	v_div_fmas_f32 v83, v83, v89, v90
	s_delay_alu instid0(VALU_DEP_1) | instskip(NEXT) | instid1(VALU_DEP_1)
	v_div_fixup_f32 v83, v83, v81, v80
	v_fmac_f32_e32 v81, v80, v83
	s_delay_alu instid0(VALU_DEP_1) | instskip(SKIP_1) | instid1(VALU_DEP_2)
	v_div_scale_f32 v80, null, v81, v81, 1.0
	v_div_scale_f32 v91, vcc_lo, 1.0, v81, 1.0
	v_rcp_f32_e32 v89, v80
	v_nop
	s_delay_alu instid0(TRANS32_DEP_1) | instskip(NEXT) | instid1(VALU_DEP_1)
	v_fma_f32 v90, -v80, v89, 1.0
	v_fmac_f32_e32 v89, v90, v89
	s_delay_alu instid0(VALU_DEP_1) | instskip(NEXT) | instid1(VALU_DEP_1)
	v_mul_f32_e32 v90, v91, v89
	v_fma_f32 v92, -v80, v90, v91
	s_delay_alu instid0(VALU_DEP_1) | instskip(NEXT) | instid1(VALU_DEP_1)
	v_fmac_f32_e32 v90, v92, v89
	v_fma_f32 v80, -v80, v90, v91
	s_delay_alu instid0(VALU_DEP_1) | instskip(NEXT) | instid1(VALU_DEP_1)
	v_div_fmas_f32 v80, v80, v89, v90
	v_div_fixup_f32 v81, v80, v81, 1.0
	s_delay_alu instid0(VALU_DEP_1)
	v_mul_f32_e32 v80, v83, v81
	v_xor_b32_e32 v81, 0x80000000, v81
.LBB72_742:
	s_and_not1_saveexec_b32 s1, s1
	s_cbranch_execz .LBB72_744
; %bb.743:
	s_delay_alu instid0(VALU_DEP_1) | instskip(SKIP_1) | instid1(VALU_DEP_2)
	v_div_scale_f32 v83, null, v80, v80, v81
	v_div_scale_f32 v91, vcc_lo, v81, v80, v81
	v_rcp_f32_e32 v89, v83
	v_nop
	s_delay_alu instid0(TRANS32_DEP_1) | instskip(NEXT) | instid1(VALU_DEP_1)
	v_fma_f32 v90, -v83, v89, 1.0
	v_fmac_f32_e32 v89, v90, v89
	s_delay_alu instid0(VALU_DEP_1) | instskip(NEXT) | instid1(VALU_DEP_1)
	v_mul_f32_e32 v90, v91, v89
	v_fma_f32 v92, -v83, v90, v91
	s_delay_alu instid0(VALU_DEP_1) | instskip(NEXT) | instid1(VALU_DEP_1)
	v_fmac_f32_e32 v90, v92, v89
	v_fma_f32 v83, -v83, v90, v91
	s_delay_alu instid0(VALU_DEP_1) | instskip(NEXT) | instid1(VALU_DEP_1)
	v_div_fmas_f32 v83, v83, v89, v90
	v_div_fixup_f32 v83, v83, v80, v81
	s_delay_alu instid0(VALU_DEP_1) | instskip(NEXT) | instid1(VALU_DEP_1)
	v_fmac_f32_e32 v80, v81, v83
	v_div_scale_f32 v81, null, v80, v80, 1.0
	s_delay_alu instid0(VALU_DEP_1) | instskip(SKIP_1) | instid1(TRANS32_DEP_1)
	v_rcp_f32_e32 v89, v81
	v_nop
	v_fma_f32 v90, -v81, v89, 1.0
	s_delay_alu instid0(VALU_DEP_1) | instskip(SKIP_1) | instid1(VALU_DEP_1)
	v_fmac_f32_e32 v89, v90, v89
	v_div_scale_f32 v90, vcc_lo, 1.0, v80, 1.0
	v_mul_f32_e32 v91, v90, v89
	s_delay_alu instid0(VALU_DEP_1) | instskip(NEXT) | instid1(VALU_DEP_1)
	v_fma_f32 v92, -v81, v91, v90
	v_fmac_f32_e32 v91, v92, v89
	s_delay_alu instid0(VALU_DEP_1) | instskip(NEXT) | instid1(VALU_DEP_1)
	v_fma_f32 v81, -v81, v91, v90
	v_div_fmas_f32 v81, v81, v89, v91
	s_delay_alu instid0(VALU_DEP_1) | instskip(NEXT) | instid1(VALU_DEP_1)
	v_div_fixup_f32 v80, v81, v80, 1.0
	v_mul_f32_e64 v81, v83, -v80
.LBB72_744:
	s_or_b32 exec_lo, exec_lo, s1
.LBB72_745:
	s_delay_alu instid0(SALU_CYCLE_1) | instskip(NEXT) | instid1(SALU_CYCLE_1)
	s_or_b32 exec_lo, exec_lo, s0
	s_mov_b32 s0, exec_lo
	v_cmpx_ne_u32_e64 v88, v82
	s_xor_b32 s0, exec_lo, s0
	s_cbranch_execz .LBB72_751
; %bb.746:
	s_mov_b32 s1, exec_lo
	v_cmpx_eq_u32_e32 35, v88
	s_cbranch_execz .LBB72_750
; %bb.747:
	v_cmp_ne_u32_e32 vcc_lo, 35, v82
	s_xor_b32 s12, s16, -1
	s_delay_alu instid0(SALU_CYCLE_1) | instskip(NEXT) | instid1(SALU_CYCLE_1)
	s_and_b32 s13, s12, vcc_lo
	s_and_saveexec_b32 s12, s13
	s_cbranch_execz .LBB72_749
; %bb.748:
	v_ashrrev_i32_e32 v83, 31, v82
	s_delay_alu instid0(VALU_DEP_1)
	v_lshl_add_u64 v[88:89], v[82:83], 2, v[4:5]
	s_clause 0x1
	global_load_b32 v83, v[88:89], off
	global_load_b32 v87, v[4:5], off offset:140
	s_wait_loadcnt 0x1
	global_store_b32 v[4:5], v83, off offset:140
	s_wait_loadcnt 0x0
	global_store_b32 v[88:89], v87, off
.LBB72_749:
	s_wait_xcnt 0x0
	s_or_b32 exec_lo, exec_lo, s12
	v_dual_mov_b32 v88, v82 :: v_dual_mov_b32 v87, v82
.LBB72_750:
	s_or_b32 exec_lo, exec_lo, s1
.LBB72_751:
	s_and_not1_saveexec_b32 s0, s0
; %bb.752:
	v_mov_b32_e32 v88, 35
	ds_store_b64 v84, v[78:79] offset:288
; %bb.753:
	s_or_b32 exec_lo, exec_lo, s0
	s_delay_alu instid0(SALU_CYCLE_1)
	s_mov_b32 s0, exec_lo
	s_wait_storecnt_dscnt 0x0
	s_barrier_signal -1
	s_barrier_wait -1
	v_cmpx_lt_i32_e32 35, v88
	s_cbranch_execz .LBB72_755
; %bb.754:
	ds_load_b64 v[82:83], v84 offset:288
	v_pk_mul_f32 v[90:91], v[80:81], v[16:17] op_sel:[1,1] op_sel_hi:[0,1]
	s_delay_alu instid0(VALU_DEP_1) | instskip(SKIP_2) | instid1(VALU_DEP_2)
	v_pk_fma_f32 v[92:93], v[80:81], v[16:17], v[90:91] op_sel_hi:[1,0,1]
	v_pk_fma_f32 v[16:17], v[80:81], v[16:17], v[90:91] op_sel_hi:[1,0,1] neg_lo:[0,0,1] neg_hi:[0,0,1]
	s_wait_dscnt 0x0
	v_pk_mul_f32 v[80:81], v[82:83], v[92:93] op_sel:[1,1] op_sel_hi:[0,1]
	s_delay_alu instid0(VALU_DEP_1) | instskip(SKIP_1) | instid1(VALU_DEP_2)
	v_pk_fma_f32 v[90:91], v[82:83], v[16:17], v[80:81] op_sel_hi:[1,0,1]
	v_pk_fma_f32 v[80:81], v[82:83], v[16:17], v[80:81] neg_lo:[0,0,1] neg_hi:[0,0,1]
	v_dual_mov_b32 v17, v93 :: v_dual_mov_b32 v81, v91
	s_delay_alu instid0(VALU_DEP_1)
	v_pk_add_f32 v[78:79], v[78:79], v[80:81] neg_lo:[0,1] neg_hi:[0,1]
.LBB72_755:
	s_or_b32 exec_lo, exec_lo, s0
	v_lshl_add_u32 v80, v88, 3, v84
	s_barrier_signal -1
	s_barrier_wait -1
	ds_store_b64 v80, v[78:79]
	s_wait_dscnt 0x0
	s_barrier_signal -1
	s_barrier_wait -1
	ds_load_b64 v[80:81], v84 offset:288
	v_mov_b32_e32 v82, 36
	s_cmp_lt_i32 s18, 38
	s_cbranch_scc1 .LBB72_758
; %bb.756:
	v_add3_u32 v83, v85, 0, 0x128
	v_mov_b32_e32 v82, 36
	s_mov_b32 s0, 37
.LBB72_757:                             ; =>This Inner Loop Header: Depth=1
	ds_load_b64 v[84:85], v83
	s_wait_dscnt 0x1
	v_cmp_gt_f32_e32 vcc_lo, 0, v80
	v_cndmask_b32_e64 v90, v80, -v80, vcc_lo
	v_cmp_gt_f32_e32 vcc_lo, 0, v81
	v_cndmask_b32_e64 v92, v81, -v81, vcc_lo
	s_wait_dscnt 0x0
	v_cmp_gt_f32_e32 vcc_lo, 0, v84
	v_cndmask_b32_e64 v91, v84, -v84, vcc_lo
	v_cmp_gt_f32_e32 vcc_lo, 0, v85
	v_cndmask_b32_e64 v93, v85, -v85, vcc_lo
	s_delay_alu instid0(VALU_DEP_1) | instskip(NEXT) | instid1(VALU_DEP_1)
	v_pk_add_f32 v[90:91], v[90:91], v[92:93]
	v_cmp_lt_f32_e32 vcc_lo, v90, v91
	v_dual_add_nc_u32 v83, 8, v83 :: v_dual_cndmask_b32 v81, v81, v85, vcc_lo
	v_cndmask_b32_e32 v80, v80, v84, vcc_lo
	v_cndmask_b32_e64 v82, v82, s0, vcc_lo
	s_add_co_i32 s0, s0, 1
	s_delay_alu instid0(SALU_CYCLE_1)
	s_cmp_lg_u32 s18, s0
	s_cbranch_scc1 .LBB72_757
.LBB72_758:
	s_wait_dscnt 0x0
	v_cmp_eq_f32_e32 vcc_lo, 0, v80
	v_cmp_eq_f32_e64 s0, 0, v81
	s_and_b32 s0, vcc_lo, s0
	s_delay_alu instid0(SALU_CYCLE_1) | instskip(NEXT) | instid1(SALU_CYCLE_1)
	s_and_saveexec_b32 s1, s0
	s_xor_b32 s0, exec_lo, s1
; %bb.759:
	v_cmp_ne_u32_e32 vcc_lo, 0, v86
	v_cndmask_b32_e32 v86, 37, v86, vcc_lo
; %bb.760:
	s_and_not1_saveexec_b32 s0, s0
	s_cbranch_execz .LBB72_766
; %bb.761:
	v_cmp_ngt_f32_e64 s1, |v80|, |v81|
	s_and_saveexec_b32 s12, s1
	s_delay_alu instid0(SALU_CYCLE_1)
	s_xor_b32 s1, exec_lo, s12
	s_cbranch_execz .LBB72_763
; %bb.762:
	v_div_scale_f32 v83, null, v81, v81, v80
	v_div_scale_f32 v89, vcc_lo, v80, v81, v80
	s_delay_alu instid0(VALU_DEP_2) | instskip(SKIP_1) | instid1(TRANS32_DEP_1)
	v_rcp_f32_e32 v84, v83
	v_nop
	v_fma_f32 v85, -v83, v84, 1.0
	s_delay_alu instid0(VALU_DEP_1) | instskip(NEXT) | instid1(VALU_DEP_1)
	v_fmac_f32_e32 v84, v85, v84
	v_mul_f32_e32 v85, v89, v84
	s_delay_alu instid0(VALU_DEP_1) | instskip(NEXT) | instid1(VALU_DEP_1)
	v_fma_f32 v90, -v83, v85, v89
	v_fmac_f32_e32 v85, v90, v84
	s_delay_alu instid0(VALU_DEP_1) | instskip(NEXT) | instid1(VALU_DEP_1)
	v_fma_f32 v83, -v83, v85, v89
	v_div_fmas_f32 v83, v83, v84, v85
	s_delay_alu instid0(VALU_DEP_1) | instskip(NEXT) | instid1(VALU_DEP_1)
	v_div_fixup_f32 v83, v83, v81, v80
	v_fmac_f32_e32 v81, v80, v83
	s_delay_alu instid0(VALU_DEP_1) | instskip(SKIP_1) | instid1(VALU_DEP_2)
	v_div_scale_f32 v80, null, v81, v81, 1.0
	v_div_scale_f32 v89, vcc_lo, 1.0, v81, 1.0
	v_rcp_f32_e32 v84, v80
	v_nop
	s_delay_alu instid0(TRANS32_DEP_1) | instskip(NEXT) | instid1(VALU_DEP_1)
	v_fma_f32 v85, -v80, v84, 1.0
	v_fmac_f32_e32 v84, v85, v84
	s_delay_alu instid0(VALU_DEP_1) | instskip(NEXT) | instid1(VALU_DEP_1)
	v_mul_f32_e32 v85, v89, v84
	v_fma_f32 v90, -v80, v85, v89
	s_delay_alu instid0(VALU_DEP_1) | instskip(NEXT) | instid1(VALU_DEP_1)
	v_fmac_f32_e32 v85, v90, v84
	v_fma_f32 v80, -v80, v85, v89
	s_delay_alu instid0(VALU_DEP_1) | instskip(NEXT) | instid1(VALU_DEP_1)
	v_div_fmas_f32 v80, v80, v84, v85
	v_div_fixup_f32 v81, v80, v81, 1.0
	s_delay_alu instid0(VALU_DEP_1)
	v_mul_f32_e32 v80, v83, v81
	v_xor_b32_e32 v81, 0x80000000, v81
.LBB72_763:
	s_and_not1_saveexec_b32 s1, s1
	s_cbranch_execz .LBB72_765
; %bb.764:
	s_delay_alu instid0(VALU_DEP_1) | instskip(SKIP_1) | instid1(VALU_DEP_2)
	v_div_scale_f32 v83, null, v80, v80, v81
	v_div_scale_f32 v89, vcc_lo, v81, v80, v81
	v_rcp_f32_e32 v84, v83
	v_nop
	s_delay_alu instid0(TRANS32_DEP_1) | instskip(NEXT) | instid1(VALU_DEP_1)
	v_fma_f32 v85, -v83, v84, 1.0
	v_fmac_f32_e32 v84, v85, v84
	s_delay_alu instid0(VALU_DEP_1) | instskip(NEXT) | instid1(VALU_DEP_1)
	v_mul_f32_e32 v85, v89, v84
	v_fma_f32 v90, -v83, v85, v89
	s_delay_alu instid0(VALU_DEP_1) | instskip(NEXT) | instid1(VALU_DEP_1)
	v_fmac_f32_e32 v85, v90, v84
	v_fma_f32 v83, -v83, v85, v89
	s_delay_alu instid0(VALU_DEP_1) | instskip(NEXT) | instid1(VALU_DEP_1)
	v_div_fmas_f32 v83, v83, v84, v85
	v_div_fixup_f32 v83, v83, v80, v81
	s_delay_alu instid0(VALU_DEP_1) | instskip(NEXT) | instid1(VALU_DEP_1)
	v_fmac_f32_e32 v80, v81, v83
	v_div_scale_f32 v81, null, v80, v80, 1.0
	s_delay_alu instid0(VALU_DEP_1) | instskip(SKIP_1) | instid1(TRANS32_DEP_1)
	v_rcp_f32_e32 v84, v81
	v_nop
	v_fma_f32 v85, -v81, v84, 1.0
	s_delay_alu instid0(VALU_DEP_1) | instskip(SKIP_1) | instid1(VALU_DEP_1)
	v_fmac_f32_e32 v84, v85, v84
	v_div_scale_f32 v85, vcc_lo, 1.0, v80, 1.0
	v_mul_f32_e32 v89, v85, v84
	s_delay_alu instid0(VALU_DEP_1) | instskip(NEXT) | instid1(VALU_DEP_1)
	v_fma_f32 v90, -v81, v89, v85
	v_fmac_f32_e32 v89, v90, v84
	s_delay_alu instid0(VALU_DEP_1) | instskip(NEXT) | instid1(VALU_DEP_1)
	v_fma_f32 v81, -v81, v89, v85
	v_div_fmas_f32 v81, v81, v84, v89
	s_delay_alu instid0(VALU_DEP_1) | instskip(NEXT) | instid1(VALU_DEP_1)
	v_div_fixup_f32 v80, v81, v80, 1.0
	v_mul_f32_e64 v81, v83, -v80
.LBB72_765:
	s_or_b32 exec_lo, exec_lo, s1
.LBB72_766:
	s_delay_alu instid0(SALU_CYCLE_1)
	s_or_b32 exec_lo, exec_lo, s0
	v_mov_b32_e32 v84, 36
	s_mov_b32 s0, exec_lo
	v_cmpx_ne_u32_e64 v88, v82
	s_cbranch_execz .LBB72_772
; %bb.767:
	s_mov_b32 s1, exec_lo
	v_cmpx_eq_u32_e32 36, v88
	s_cbranch_execz .LBB72_771
; %bb.768:
	v_cmp_ne_u32_e32 vcc_lo, 36, v82
	s_xor_b32 s12, s16, -1
	s_delay_alu instid0(SALU_CYCLE_1) | instskip(NEXT) | instid1(SALU_CYCLE_1)
	s_and_b32 s13, s12, vcc_lo
	s_and_saveexec_b32 s12, s13
	s_cbranch_execz .LBB72_770
; %bb.769:
	v_ashrrev_i32_e32 v83, 31, v82
	s_delay_alu instid0(VALU_DEP_1)
	v_lshl_add_u64 v[84:85], v[82:83], 2, v[4:5]
	s_clause 0x1
	global_load_b32 v83, v[84:85], off
	global_load_b32 v87, v[4:5], off offset:144
	s_wait_loadcnt 0x1
	global_store_b32 v[4:5], v83, off offset:144
	s_wait_loadcnt 0x0
	global_store_b32 v[84:85], v87, off
.LBB72_770:
	s_wait_xcnt 0x0
	s_or_b32 exec_lo, exec_lo, s12
	v_dual_mov_b32 v88, v82 :: v_dual_mov_b32 v87, v82
.LBB72_771:
	s_or_b32 exec_lo, exec_lo, s1
	s_delay_alu instid0(VALU_DEP_1)
	v_mov_b32_e32 v84, v88
.LBB72_772:
	s_or_b32 exec_lo, exec_lo, s0
	s_delay_alu instid0(VALU_DEP_1)
	v_ashrrev_i32_e32 v85, 31, v84
	s_mov_b32 s0, exec_lo
	s_wait_storecnt 0x0
	s_barrier_signal -1
	s_barrier_wait -1
	s_barrier_signal -1
	s_barrier_wait -1
	v_cmpx_gt_i32_e32 37, v84
	s_cbranch_execz .LBB72_774
; %bb.773:
	v_mul_u64_e32 v[4:5], s[10:11], v[2:3]
	v_add3_u32 v82, v87, s17, 1
	s_delay_alu instid0(VALU_DEP_2) | instskip(NEXT) | instid1(VALU_DEP_1)
	v_lshl_add_u64 v[4:5], v[4:5], 2, s[6:7]
	v_lshl_add_u64 v[4:5], s[8:9], 2, v[4:5]
	s_delay_alu instid0(VALU_DEP_1)
	v_lshl_add_u64 v[4:5], v[84:85], 2, v[4:5]
	global_store_b32 v[4:5], v82, off
.LBB72_774:
	s_wait_xcnt 0x0
	s_or_b32 exec_lo, exec_lo, s0
	s_delay_alu instid0(SALU_CYCLE_1)
	s_mov_b32 s1, exec_lo
	v_cmpx_eq_u32_e32 0, v84
	s_cbranch_execz .LBB72_777
; %bb.775:
	s_wait_kmcnt 0x0
	v_lshl_add_u64 v[2:3], v[2:3], 2, s[4:5]
	v_cmp_ne_u32_e64 s0, 0, v86
	global_load_b32 v4, v[2:3], off
	s_wait_loadcnt 0x0
	v_cmp_eq_u32_e32 vcc_lo, 0, v4
	s_and_b32 s0, vcc_lo, s0
	s_wait_xcnt 0x0
	s_and_b32 exec_lo, exec_lo, s0
	s_cbranch_execz .LBB72_777
; %bb.776:
	v_add_nc_u32_e32 v4, s17, v86
	global_store_b32 v[2:3], v4, off
.LBB72_777:
	s_wait_xcnt 0x0
	s_or_b32 exec_lo, exec_lo, s1
	v_add3_u32 v4, s2, s2, v84
	v_pk_mul_f32 v[2:3], v[80:81], v[78:79] op_sel:[1,1] op_sel_hi:[0,1]
	v_cmp_lt_i32_e32 vcc_lo, 36, v84
	v_lshl_add_u64 v[84:85], v[84:85], 3, v[0:1]
	s_delay_alu instid0(VALU_DEP_4) | instskip(NEXT) | instid1(VALU_DEP_4)
	v_add_nc_u32_e32 v82, s2, v4
	v_pk_fma_f32 v[102:103], v[80:81], v[78:79], v[2:3] op_sel_hi:[1,0,1]
	v_pk_fma_f32 v[2:3], v[80:81], v[78:79], v[2:3] neg_lo:[0,0,1] neg_hi:[0,0,1]
	s_delay_alu instid0(VALU_DEP_3) | instskip(NEXT) | instid1(VALU_DEP_3)
	v_dual_ashrrev_i32 v5, 31, v4 :: v_dual_add_nc_u32 v86, s2, v82
	v_cndmask_b32_e32 v3, v79, v103, vcc_lo
	s_delay_alu instid0(VALU_DEP_2) | instskip(NEXT) | instid1(VALU_DEP_3)
	v_lshl_add_u64 v[4:5], v[4:5], 3, v[0:1]
	v_add_nc_u32_e32 v88, s2, v86
	s_delay_alu instid0(VALU_DEP_1) | instskip(NEXT) | instid1(VALU_DEP_1)
	v_dual_add_nc_u32 v90, s2, v88 :: v_dual_ashrrev_i32 v89, 31, v88
	v_add_nc_u32_e32 v92, s2, v90
	s_delay_alu instid0(VALU_DEP_1) | instskip(NEXT) | instid1(VALU_DEP_1)
	v_add_nc_u32_e32 v94, s2, v92
	v_add_nc_u32_e32 v96, s2, v94
	s_delay_alu instid0(VALU_DEP_1) | instskip(NEXT) | instid1(VALU_DEP_1)
	v_dual_add_nc_u32 v98, s2, v96 :: v_dual_ashrrev_i32 v87, 31, v86
	v_dual_ashrrev_i32 v93, 31, v92 :: v_dual_add_nc_u32 v100, s2, v98
	s_delay_alu instid0(VALU_DEP_1) | instskip(SKIP_2) | instid1(VALU_DEP_3)
	v_dual_add_nc_u32 v80, s2, v100 :: v_dual_ashrrev_i32 v83, 31, v82
	v_ashrrev_i32_e32 v97, 31, v96
	v_ashrrev_i32_e32 v101, 31, v100
	v_add_nc_u32_e32 v102, s2, v80
	s_delay_alu instid0(VALU_DEP_4) | instskip(NEXT) | instid1(VALU_DEP_2)
	v_lshl_add_u64 v[82:83], v[82:83], 3, v[0:1]
	v_dual_ashrrev_i32 v81, 31, v80 :: v_dual_add_nc_u32 v104, s2, v102
	v_cndmask_b32_e32 v2, v78, v2, vcc_lo
	v_lshl_add_u64 v[78:79], s[2:3], 3, v[84:85]
	s_clause 0x3
	global_store_b64 v[84:85], v[74:75], off
	global_store_b64 v[78:79], v[76:77], off
	global_store_b64 v[4:5], v[72:73], off
	global_store_b64 v[82:83], v[70:71], off
	s_wait_xcnt 0x1
	v_dual_add_nc_u32 v4, s2, v104 :: v_dual_ashrrev_i32 v91, 31, v90
	v_lshl_add_u64 v[72:73], v[86:87], 3, v[0:1]
	v_lshl_add_u64 v[74:75], v[88:89], 3, v[0:1]
	;; [unrolled: 1-line block ×3, first 2 shown]
	s_wait_xcnt 0x0
	v_add_nc_u32_e32 v70, s2, v4
	v_lshl_add_u64 v[76:77], v[90:91], 3, v[0:1]
	s_clause 0x3
	global_store_b64 v[72:73], v[24:25], off
	global_store_b64 v[74:75], v[20:21], off
	;; [unrolled: 1-line block ×4, first 2 shown]
	v_add_nc_u32_e32 v82, s2, v70
	s_wait_xcnt 0x3
	v_lshl_add_u64 v[24:25], v[96:97], 3, v[0:1]
	s_wait_xcnt 0x2
	v_lshl_add_u64 v[74:75], v[100:101], 3, v[0:1]
	v_dual_ashrrev_i32 v103, 31, v102 :: v_dual_ashrrev_i32 v105, 31, v104
	s_wait_xcnt 0x0
	v_add_nc_u32_e32 v18, s2, v82
	v_ashrrev_i32_e32 v71, 31, v70
	v_ashrrev_i32_e32 v83, 31, v82
	s_delay_alu instid0(VALU_DEP_3) | instskip(SKIP_1) | instid1(VALU_DEP_2)
	v_add_nc_u32_e32 v20, s2, v18
	v_ashrrev_i32_e32 v95, 31, v94
	v_dual_ashrrev_i32 v19, 31, v18 :: v_dual_ashrrev_i32 v21, 31, v20
	v_dual_add_nc_u32 v76, s2, v20 :: v_dual_ashrrev_i32 v99, 31, v98
	s_delay_alu instid0(VALU_DEP_3) | instskip(NEXT) | instid1(VALU_DEP_3)
	v_lshl_add_u64 v[22:23], v[94:95], 3, v[0:1]
	v_lshl_add_u64 v[18:19], v[18:19], 3, v[0:1]
	s_delay_alu instid0(VALU_DEP_4) | instskip(NEXT) | instid1(VALU_DEP_4)
	v_lshl_add_u64 v[20:21], v[20:21], 3, v[0:1]
	v_ashrrev_i32_e32 v77, 31, v76
	v_lshl_add_u64 v[72:73], v[98:99], 3, v[0:1]
	s_clause 0x3
	global_store_b64 v[22:23], v[32:33], off
	global_store_b64 v[24:25], v[28:29], off
	;; [unrolled: 1-line block ×4, first 2 shown]
	s_wait_xcnt 0x3
	v_add_nc_u32_e32 v22, s2, v76
	v_ashrrev_i32_e32 v5, 31, v4
	s_wait_xcnt 0x0
	v_lshl_add_u64 v[26:27], v[80:81], 3, v[0:1]
	v_lshl_add_u64 v[28:29], v[102:103], 3, v[0:1]
	;; [unrolled: 1-line block ×3, first 2 shown]
	v_add_nc_u32_e32 v24, s2, v22
	v_lshl_add_u64 v[4:5], v[4:5], 3, v[0:1]
	s_clause 0x3
	global_store_b64 v[26:27], v[42:43], off
	global_store_b64 v[28:29], v[38:39], off
	;; [unrolled: 1-line block ×4, first 2 shown]
	s_wait_xcnt 0x2
	v_lshl_add_u64 v[28:29], v[70:71], 3, v[0:1]
	v_dual_add_nc_u32 v32, s2, v24 :: v_dual_ashrrev_i32 v23, 31, v22
	s_wait_xcnt 0x1
	v_lshl_add_u64 v[30:31], v[82:83], 3, v[0:1]
	s_clause 0x3
	global_store_b64 v[28:29], v[68:69], off
	global_store_b64 v[30:31], v[64:65], off
	;; [unrolled: 1-line block ×4, first 2 shown]
	s_wait_xcnt 0x4
	v_dual_add_nc_u32 v4, s2, v32 :: v_dual_ashrrev_i32 v33, 31, v32
	v_lshl_add_u64 v[22:23], v[22:23], 3, v[0:1]
	s_wait_xcnt 0x3
	v_lshl_add_u64 v[28:29], v[76:77], 3, v[0:1]
	s_delay_alu instid0(VALU_DEP_3) | instskip(SKIP_2) | instid1(VALU_DEP_2)
	v_add_nc_u32_e32 v26, s2, v4
	s_wait_xcnt 0x2
	v_lshl_add_u64 v[30:31], v[32:33], 3, v[0:1]
	v_dual_add_nc_u32 v36, s2, v26 :: v_dual_ashrrev_i32 v27, 31, v26
	s_wait_xcnt 0x1
	s_delay_alu instid0(VALU_DEP_1) | instskip(SKIP_1) | instid1(VALU_DEP_3)
	v_add_nc_u32_e32 v18, s2, v36
	v_ashrrev_i32_e32 v25, 31, v24
	v_lshl_add_u64 v[26:27], v[26:27], 3, v[0:1]
	s_wait_xcnt 0x0
	s_delay_alu instid0(VALU_DEP_3) | instskip(NEXT) | instid1(VALU_DEP_3)
	v_add_nc_u32_e32 v20, s2, v18
	v_lshl_add_u64 v[24:25], v[24:25], 3, v[0:1]
	s_clause 0x3
	global_store_b64 v[28:29], v[60:61], off
	global_store_b64 v[22:23], v[56:57], off
	;; [unrolled: 1-line block ×4, first 2 shown]
	v_dual_add_nc_u32 v32, s2, v20 :: v_dual_ashrrev_i32 v19, 31, v18
	s_wait_xcnt 0x2
	s_delay_alu instid0(VALU_DEP_1) | instskip(SKIP_1) | instid1(VALU_DEP_3)
	v_add_nc_u32_e32 v22, s2, v32
	v_ashrrev_i32_e32 v5, 31, v4
	v_lshl_add_u64 v[18:19], v[18:19], 3, v[0:1]
	s_wait_xcnt 0x1
	s_delay_alu instid0(VALU_DEP_3) | instskip(NEXT) | instid1(VALU_DEP_3)
	v_dual_add_nc_u32 v24, s2, v22 :: v_dual_ashrrev_i32 v23, 31, v22
	v_lshl_add_u64 v[4:5], v[4:5], 3, v[0:1]
	s_wait_xcnt 0x0
	s_delay_alu instid0(VALU_DEP_2) | instskip(SKIP_3) | instid1(VALU_DEP_4)
	v_add_nc_u32_e32 v30, s2, v24
	v_ashrrev_i32_e32 v37, 31, v36
	v_ashrrev_i32_e32 v33, 31, v32
	v_lshl_add_u64 v[22:23], v[22:23], 3, v[0:1]
	v_ashrrev_i32_e32 v31, 31, v30
	s_delay_alu instid0(VALU_DEP_4)
	v_lshl_add_u64 v[28:29], v[36:37], 3, v[0:1]
	s_clause 0x3
	global_store_b64 v[4:5], v[50:51], off
	global_store_b64 v[26:27], v[46:47], off
	;; [unrolled: 1-line block ×4, first 2 shown]
	s_wait_xcnt 0x3
	v_add_nc_u32_e32 v4, s2, v30
	s_wait_xcnt 0x2
	v_lshl_add_u64 v[26:27], v[32:33], 3, v[0:1]
	s_wait_xcnt 0x0
	s_delay_alu instid0(VALU_DEP_2) | instskip(SKIP_1) | instid1(VALU_DEP_2)
	v_dual_add_nc_u32 v18, s2, v4 :: v_dual_ashrrev_i32 v5, 31, v4
	v_ashrrev_i32_e32 v21, 31, v20
	v_dual_ashrrev_i32 v25, 31, v24 :: v_dual_ashrrev_i32 v19, 31, v18
	v_add_nc_u32_e32 v28, s2, v18
	s_delay_alu instid0(VALU_DEP_3) | instskip(NEXT) | instid1(VALU_DEP_3)
	v_lshl_add_u64 v[20:21], v[20:21], 3, v[0:1]
	v_lshl_add_u64 v[24:25], v[24:25], 3, v[0:1]
	s_clause 0x3
	global_store_b64 v[20:21], v[14:15], off
	global_store_b64 v[26:27], v[10:11], off
	;; [unrolled: 1-line block ×4, first 2 shown]
	s_wait_xcnt 0x0
	v_dual_add_nc_u32 v8, s2, v28 :: v_dual_ashrrev_i32 v29, 31, v28
	v_lshl_add_u64 v[10:11], v[30:31], 3, v[0:1]
	v_lshl_add_u64 v[4:5], v[4:5], 3, v[0:1]
	;; [unrolled: 1-line block ×3, first 2 shown]
	s_delay_alu instid0(VALU_DEP_4) | instskip(SKIP_1) | instid1(VALU_DEP_2)
	v_ashrrev_i32_e32 v9, 31, v8
	v_lshl_add_u64 v[14:15], v[28:29], 3, v[0:1]
	v_lshl_add_u64 v[0:1], v[8:9], 3, v[0:1]
	s_clause 0x4
	global_store_b64 v[10:11], v[6:7], off
	global_store_b64 v[4:5], v[52:53], off
	;; [unrolled: 1-line block ×5, first 2 shown]
.LBB72_778:
	s_sendmsg sendmsg(MSG_DEALLOC_VGPRS)
	s_endpgm
	.section	.rodata,"a",@progbits
	.p2align	6, 0x0
	.amdhsa_kernel _ZN9rocsolver6v33100L18getf2_small_kernelILi37E19rocblas_complex_numIfEiiPS3_EEvT1_T3_lS5_lPS5_llPT2_S5_S5_S7_l
		.amdhsa_group_segment_fixed_size 0
		.amdhsa_private_segment_fixed_size 0
		.amdhsa_kernarg_size 352
		.amdhsa_user_sgpr_count 2
		.amdhsa_user_sgpr_dispatch_ptr 0
		.amdhsa_user_sgpr_queue_ptr 0
		.amdhsa_user_sgpr_kernarg_segment_ptr 1
		.amdhsa_user_sgpr_dispatch_id 0
		.amdhsa_user_sgpr_kernarg_preload_length 0
		.amdhsa_user_sgpr_kernarg_preload_offset 0
		.amdhsa_user_sgpr_private_segment_size 0
		.amdhsa_wavefront_size32 1
		.amdhsa_uses_dynamic_stack 0
		.amdhsa_enable_private_segment 0
		.amdhsa_system_sgpr_workgroup_id_x 1
		.amdhsa_system_sgpr_workgroup_id_y 1
		.amdhsa_system_sgpr_workgroup_id_z 0
		.amdhsa_system_sgpr_workgroup_info 0
		.amdhsa_system_vgpr_workitem_id 1
		.amdhsa_next_free_vgpr 114
		.amdhsa_next_free_sgpr 19
		.amdhsa_named_barrier_count 0
		.amdhsa_reserve_vcc 1
		.amdhsa_float_round_mode_32 0
		.amdhsa_float_round_mode_16_64 0
		.amdhsa_float_denorm_mode_32 3
		.amdhsa_float_denorm_mode_16_64 3
		.amdhsa_fp16_overflow 0
		.amdhsa_memory_ordered 1
		.amdhsa_forward_progress 1
		.amdhsa_inst_pref_size 255
		.amdhsa_round_robin_scheduling 0
		.amdhsa_exception_fp_ieee_invalid_op 0
		.amdhsa_exception_fp_denorm_src 0
		.amdhsa_exception_fp_ieee_div_zero 0
		.amdhsa_exception_fp_ieee_overflow 0
		.amdhsa_exception_fp_ieee_underflow 0
		.amdhsa_exception_fp_ieee_inexact 0
		.amdhsa_exception_int_div_zero 0
	.end_amdhsa_kernel
	.section	.text._ZN9rocsolver6v33100L18getf2_small_kernelILi37E19rocblas_complex_numIfEiiPS3_EEvT1_T3_lS5_lPS5_llPT2_S5_S5_S7_l,"axG",@progbits,_ZN9rocsolver6v33100L18getf2_small_kernelILi37E19rocblas_complex_numIfEiiPS3_EEvT1_T3_lS5_lPS5_llPT2_S5_S5_S7_l,comdat
.Lfunc_end72:
	.size	_ZN9rocsolver6v33100L18getf2_small_kernelILi37E19rocblas_complex_numIfEiiPS3_EEvT1_T3_lS5_lPS5_llPT2_S5_S5_S7_l, .Lfunc_end72-_ZN9rocsolver6v33100L18getf2_small_kernelILi37E19rocblas_complex_numIfEiiPS3_EEvT1_T3_lS5_lPS5_llPT2_S5_S5_S7_l
                                        ; -- End function
	.set _ZN9rocsolver6v33100L18getf2_small_kernelILi37E19rocblas_complex_numIfEiiPS3_EEvT1_T3_lS5_lPS5_llPT2_S5_S5_S7_l.num_vgpr, 114
	.set _ZN9rocsolver6v33100L18getf2_small_kernelILi37E19rocblas_complex_numIfEiiPS3_EEvT1_T3_lS5_lPS5_llPT2_S5_S5_S7_l.num_agpr, 0
	.set _ZN9rocsolver6v33100L18getf2_small_kernelILi37E19rocblas_complex_numIfEiiPS3_EEvT1_T3_lS5_lPS5_llPT2_S5_S5_S7_l.numbered_sgpr, 19
	.set _ZN9rocsolver6v33100L18getf2_small_kernelILi37E19rocblas_complex_numIfEiiPS3_EEvT1_T3_lS5_lPS5_llPT2_S5_S5_S7_l.num_named_barrier, 0
	.set _ZN9rocsolver6v33100L18getf2_small_kernelILi37E19rocblas_complex_numIfEiiPS3_EEvT1_T3_lS5_lPS5_llPT2_S5_S5_S7_l.private_seg_size, 0
	.set _ZN9rocsolver6v33100L18getf2_small_kernelILi37E19rocblas_complex_numIfEiiPS3_EEvT1_T3_lS5_lPS5_llPT2_S5_S5_S7_l.uses_vcc, 1
	.set _ZN9rocsolver6v33100L18getf2_small_kernelILi37E19rocblas_complex_numIfEiiPS3_EEvT1_T3_lS5_lPS5_llPT2_S5_S5_S7_l.uses_flat_scratch, 0
	.set _ZN9rocsolver6v33100L18getf2_small_kernelILi37E19rocblas_complex_numIfEiiPS3_EEvT1_T3_lS5_lPS5_llPT2_S5_S5_S7_l.has_dyn_sized_stack, 0
	.set _ZN9rocsolver6v33100L18getf2_small_kernelILi37E19rocblas_complex_numIfEiiPS3_EEvT1_T3_lS5_lPS5_llPT2_S5_S5_S7_l.has_recursion, 0
	.set _ZN9rocsolver6v33100L18getf2_small_kernelILi37E19rocblas_complex_numIfEiiPS3_EEvT1_T3_lS5_lPS5_llPT2_S5_S5_S7_l.has_indirect_call, 0
	.section	.AMDGPU.csdata,"",@progbits
; Kernel info:
; codeLenInByte = 75980
; TotalNumSgprs: 21
; NumVgprs: 114
; ScratchSize: 0
; MemoryBound: 0
; FloatMode: 240
; IeeeMode: 1
; LDSByteSize: 0 bytes/workgroup (compile time only)
; SGPRBlocks: 0
; VGPRBlocks: 7
; NumSGPRsForWavesPerEU: 21
; NumVGPRsForWavesPerEU: 114
; NamedBarCnt: 0
; Occupancy: 8
; WaveLimiterHint : 0
; COMPUTE_PGM_RSRC2:SCRATCH_EN: 0
; COMPUTE_PGM_RSRC2:USER_SGPR: 2
; COMPUTE_PGM_RSRC2:TRAP_HANDLER: 0
; COMPUTE_PGM_RSRC2:TGID_X_EN: 1
; COMPUTE_PGM_RSRC2:TGID_Y_EN: 1
; COMPUTE_PGM_RSRC2:TGID_Z_EN: 0
; COMPUTE_PGM_RSRC2:TIDIG_COMP_CNT: 1
	.section	.text._ZN9rocsolver6v33100L23getf2_npvt_small_kernelILi37E19rocblas_complex_numIfEiiPS3_EEvT1_T3_lS5_lPT2_S5_S5_,"axG",@progbits,_ZN9rocsolver6v33100L23getf2_npvt_small_kernelILi37E19rocblas_complex_numIfEiiPS3_EEvT1_T3_lS5_lPT2_S5_S5_,comdat
	.globl	_ZN9rocsolver6v33100L23getf2_npvt_small_kernelILi37E19rocblas_complex_numIfEiiPS3_EEvT1_T3_lS5_lPT2_S5_S5_ ; -- Begin function _ZN9rocsolver6v33100L23getf2_npvt_small_kernelILi37E19rocblas_complex_numIfEiiPS3_EEvT1_T3_lS5_lPT2_S5_S5_
	.p2align	8
	.type	_ZN9rocsolver6v33100L23getf2_npvt_small_kernelILi37E19rocblas_complex_numIfEiiPS3_EEvT1_T3_lS5_lPT2_S5_S5_,@function
_ZN9rocsolver6v33100L23getf2_npvt_small_kernelILi37E19rocblas_complex_numIfEiiPS3_EEvT1_T3_lS5_lPT2_S5_S5_: ; @_ZN9rocsolver6v33100L23getf2_npvt_small_kernelILi37E19rocblas_complex_numIfEiiPS3_EEvT1_T3_lS5_lPT2_S5_S5_
; %bb.0:
	s_clause 0x1
	s_load_u16 s14, s[0:1], 0x46
	s_load_b64 s[2:3], s[0:1], 0x30
	s_bfe_u32 s4, ttmp6, 0x40010
	s_bfe_u32 s5, ttmp6, 0x40004
	s_add_co_i32 s4, s4, 1
	s_getreg_b32 s6, hwreg(HW_REG_IB_STS2, 6, 4)
	s_mul_i32 s4, ttmp7, s4
	v_bfe_u32 v150, v0, 10, 10
	s_add_co_i32 s5, s5, s4
	s_cmp_eq_u32 s6, 0
	s_cselect_b32 s4, ttmp7, s5
	s_wait_kmcnt 0x0
	v_mad_u32 v2, s4, s14, v150
	s_delay_alu instid0(VALU_DEP_1)
	v_cmp_gt_i32_e32 vcc_lo, s2, v2
	s_and_saveexec_b32 s2, vcc_lo
	s_cbranch_execz .LBB73_336
; %bb.1:
	s_clause 0x1
	s_load_b32 s12, s[0:1], 0x18
	s_load_b128 s[8:11], s[0:1], 0x8
	v_and_b32_e32 v224, 0x3ff, v0
	s_load_b128 s[4:7], s[0:1], 0x20
	v_lshlrev_b32_e32 v151, 3, v150
	s_mulk_i32 s14, 0x128
	v_mad_u32_u24 v226, 0x128, v150, 0
	s_wait_xcnt 0x0
	v_cmp_ne_u32_e64 s1, 0, v224
	v_cmp_eq_u32_e64 s0, 0, v224
	v_add3_u32 v225, 0, s14, v151
	v_dual_ashrrev_i32 v3, 31, v2 :: v_dual_mov_b32 v13, 0
	s_wait_kmcnt 0x0
	v_add3_u32 v0, s12, s12, v224
	s_ashr_i32 s13, s12, 31
	s_delay_alu instid0(VALU_DEP_2) | instskip(NEXT) | instid1(VALU_DEP_2)
	v_mul_u64_e32 v[6:7], s[4:5], v[2:3]
	v_add_nc_u32_e32 v4, s12, v0
	s_delay_alu instid0(VALU_DEP_1) | instskip(NEXT) | instid1(VALU_DEP_1)
	v_add_nc_u32_e32 v8, s12, v4
	v_add_nc_u32_e32 v10, s12, v8
	s_delay_alu instid0(VALU_DEP_1) | instskip(NEXT) | instid1(VALU_DEP_1)
	v_dual_add_nc_u32 v16, s12, v10 :: v_dual_ashrrev_i32 v11, 31, v10
	v_add_nc_u32_e32 v22, s12, v16
	s_delay_alu instid0(VALU_DEP_1) | instskip(NEXT) | instid1(VALU_DEP_1)
	v_add_nc_u32_e32 v24, s12, v22
	v_add_nc_u32_e32 v26, s12, v24
	v_lshl_add_u64 v[6:7], v[6:7], 3, s[8:9]
	s_delay_alu instid0(VALU_DEP_2) | instskip(SKIP_1) | instid1(VALU_DEP_3)
	v_dual_add_nc_u32 v20, s12, v26 :: v_dual_lshlrev_b32 v12, 3, v224
	v_ashrrev_i32_e32 v23, 31, v22
	v_lshl_add_u64 v[100:101], s[10:11], 3, v[6:7]
	s_delay_alu instid0(VALU_DEP_3) | instskip(SKIP_1) | instid1(VALU_DEP_3)
	v_add_nc_u32_e32 v30, s12, v20
	v_ashrrev_i32_e32 v17, 31, v16
	v_add_nc_u64_e32 v[18:19], v[100:101], v[12:13]
	s_delay_alu instid0(VALU_DEP_3) | instskip(SKIP_1) | instid1(VALU_DEP_2)
	v_dual_add_nc_u32 v32, s12, v30 :: v_dual_ashrrev_i32 v5, 31, v4
	v_ashrrev_i32_e32 v27, 31, v26
	v_dual_ashrrev_i32 v31, 31, v30 :: v_dual_add_nc_u32 v44, s12, v32
	s_delay_alu instid0(VALU_DEP_3) | instskip(SKIP_1) | instid1(VALU_DEP_4)
	v_lshl_add_u64 v[12:13], v[4:5], 3, v[100:101]
	v_lshl_add_u64 v[4:5], v[16:17], 3, v[100:101]
	;; [unrolled: 1-line block ×3, first 2 shown]
	s_delay_alu instid0(VALU_DEP_4) | instskip(SKIP_3) | instid1(VALU_DEP_3)
	v_lshl_add_u64 v[30:31], v[30:31], 3, v[100:101]
	v_add_nc_u32_e32 v50, s12, v44
	v_ashrrev_i32_e32 v21, 31, v20
	v_lshl_add_u64 v[34:35], s[12:13], 3, v[18:19]
	v_dual_add_nc_u32 v52, s12, v50 :: v_dual_ashrrev_i32 v51, 31, v50
	s_delay_alu instid0(VALU_DEP_3) | instskip(NEXT) | instid1(VALU_DEP_2)
	v_lshl_add_u64 v[20:21], v[20:21], 3, v[100:101]
	v_add_nc_u32_e32 v54, s12, v52
	v_ashrrev_i32_e32 v1, 31, v0
	s_delay_alu instid0(VALU_DEP_4) | instskip(NEXT) | instid1(VALU_DEP_3)
	v_lshl_add_u64 v[50:51], v[50:51], 3, v[100:101]
	v_dual_add_nc_u32 v62, s12, v54 :: v_dual_ashrrev_i32 v9, 31, v8
	v_ashrrev_i32_e32 v33, 31, v32
	s_delay_alu instid0(VALU_DEP_4) | instskip(SKIP_1) | instid1(VALU_DEP_4)
	v_lshl_add_u64 v[6:7], v[0:1], 3, v[100:101]
	v_lshl_add_u64 v[0:1], v[10:11], 3, v[100:101]
	v_dual_add_nc_u32 v64, s12, v62 :: v_dual_ashrrev_i32 v63, 31, v62
	v_lshl_add_u64 v[14:15], v[8:9], 3, v[100:101]
	v_lshl_add_u64 v[32:33], v[32:33], 3, v[100:101]
	;; [unrolled: 1-line block ×3, first 2 shown]
	s_delay_alu instid0(VALU_DEP_4) | instskip(SKIP_1) | instid1(VALU_DEP_2)
	v_add_nc_u32_e32 v66, s12, v64
	v_lshl_add_u64 v[62:63], v[62:63], 3, v[100:101]
	v_add_nc_u32_e32 v68, s12, v66
	s_delay_alu instid0(VALU_DEP_1) | instskip(SKIP_2) | instid1(VALU_DEP_3)
	v_dual_ashrrev_i32 v55, 31, v54 :: v_dual_add_nc_u32 v70, s12, v68
	v_ashrrev_i32_e32 v25, 31, v24
	v_ashrrev_i32_e32 v53, 31, v52
	v_lshl_add_u64 v[54:55], v[54:55], 3, v[100:101]
	s_delay_alu instid0(VALU_DEP_4) | instskip(NEXT) | instid1(VALU_DEP_4)
	v_dual_add_nc_u32 v72, s12, v70 :: v_dual_ashrrev_i32 v71, 31, v70
	v_lshl_add_u64 v[10:11], v[24:25], 3, v[100:101]
	s_delay_alu instid0(VALU_DEP_4)
	v_lshl_add_u64 v[52:53], v[52:53], 3, v[100:101]
	s_clause 0x3
	global_load_b64 v[28:29], v[14:15], off
	global_load_b64 v[24:25], v[0:1], off
	;; [unrolled: 1-line block ×4, first 2 shown]
	v_add_nc_u32_e32 v74, s12, v72
	v_lshl_add_u64 v[70:71], v[70:71], 3, v[100:101]
	s_clause 0x7
	global_load_b64 v[56:57], v[18:19], off
	global_load_b64 v[58:59], v[34:35], off
	;; [unrolled: 1-line block ×8, first 2 shown]
	v_add_nc_u32_e32 v76, s12, v74
	v_dual_ashrrev_i32 v67, 31, v66 :: v_dual_ashrrev_i32 v65, 31, v64
	s_delay_alu instid0(VALU_DEP_2) | instskip(NEXT) | instid1(VALU_DEP_2)
	v_dual_ashrrev_i32 v75, 31, v74 :: v_dual_add_nc_u32 v80, s12, v76
	v_lshl_add_u64 v[66:67], v[66:67], 3, v[100:101]
	s_delay_alu instid0(VALU_DEP_3) | instskip(NEXT) | instid1(VALU_DEP_3)
	v_lshl_add_u64 v[64:65], v[64:65], 3, v[100:101]
	v_lshl_add_u64 v[74:75], v[74:75], 3, v[100:101]
	s_delay_alu instid0(VALU_DEP_4) | instskip(NEXT) | instid1(VALU_DEP_1)
	v_add_nc_u32_e32 v82, s12, v80
	v_dual_ashrrev_i32 v45, 31, v44 :: v_dual_add_nc_u32 v84, s12, v82
	s_delay_alu instid0(VALU_DEP_1)
	v_lshl_add_u64 v[44:45], v[44:45], 3, v[100:101]
	s_clause 0x3
	global_load_b64 v[60:61], v[32:33], off
	global_load_b64 v[78:79], v[44:45], off
	;; [unrolled: 1-line block ×4, first 2 shown]
	v_add_nc_u32_e32 v86, s12, v84
	s_clause 0x3
	global_load_b64 v[116:117], v[54:55], off
	global_load_b64 v[88:89], v[62:63], off
	;; [unrolled: 1-line block ×4, first 2 shown]
	v_add_nc_u32_e32 v94, s12, v86
	s_delay_alu instid0(VALU_DEP_1) | instskip(SKIP_2) | instid1(VALU_DEP_3)
	v_add_nc_u32_e32 v96, s12, v94
	v_dual_ashrrev_i32 v83, 31, v82 :: v_dual_ashrrev_i32 v73, 31, v72
	v_ashrrev_i32_e32 v87, 31, v86
	v_dual_ashrrev_i32 v95, 31, v94 :: v_dual_add_nc_u32 v98, s12, v96
	v_ashrrev_i32_e32 v69, 31, v68
	v_ashrrev_i32_e32 v81, 31, v80
	s_delay_alu instid0(VALU_DEP_4) | instskip(NEXT) | instid1(VALU_DEP_4)
	v_lshl_add_u64 v[86:87], v[86:87], 3, v[100:101]
	v_lshl_add_u64 v[94:95], v[94:95], 3, v[100:101]
	v_dual_add_nc_u32 v104, s12, v98 :: v_dual_ashrrev_i32 v99, 31, v98
	v_lshl_add_u64 v[68:69], v[68:69], 3, v[100:101]
	v_lshl_add_u64 v[80:81], v[80:81], 3, v[100:101]
	;; [unrolled: 1-line block ×3, first 2 shown]
	s_delay_alu instid0(VALU_DEP_4) | instskip(SKIP_3) | instid1(VALU_DEP_4)
	v_dual_add_nc_u32 v106, s12, v104 :: v_dual_ashrrev_i32 v105, 31, v104
	v_ashrrev_i32_e32 v77, 31, v76
	v_ashrrev_i32_e32 v97, 31, v96
	v_lshl_add_u64 v[82:83], v[82:83], 3, v[100:101]
	v_dual_add_nc_u32 v108, s12, v106 :: v_dual_ashrrev_i32 v107, 31, v106
	s_delay_alu instid0(VALU_DEP_4) | instskip(NEXT) | instid1(VALU_DEP_4)
	v_lshl_add_u64 v[76:77], v[76:77], 3, v[100:101]
	v_lshl_add_u64 v[96:97], v[96:97], 3, v[100:101]
	;; [unrolled: 1-line block ×3, first 2 shown]
	s_delay_alu instid0(VALU_DEP_4)
	v_dual_add_nc_u32 v110, s12, v108 :: v_dual_ashrrev_i32 v109, 31, v108
	v_ashrrev_i32_e32 v85, 31, v84
	v_lshl_add_u64 v[104:105], v[104:105], 3, v[100:101]
	s_clause 0x3
	global_load_b64 v[132:133], v[68:69], off
	global_load_b64 v[102:103], v[70:71], off
	;; [unrolled: 1-line block ×4, first 2 shown]
	v_dual_add_nc_u32 v118, s12, v110 :: v_dual_ashrrev_i32 v111, 31, v110
	v_lshl_add_u64 v[84:85], v[84:85], 3, v[100:101]
	s_clause 0x3
	global_load_b64 v[144:145], v[76:77], off
	global_load_b64 v[148:149], v[80:81], off
	;; [unrolled: 1-line block ×4, first 2 shown]
	v_ashrrev_i32_e32 v119, 31, v118
	v_lshl_add_u64 v[106:107], v[106:107], 3, v[100:101]
	v_lshl_add_u64 v[108:109], v[108:109], 3, v[100:101]
	;; [unrolled: 1-line block ×3, first 2 shown]
	s_delay_alu instid0(VALU_DEP_4)
	v_lshl_add_u64 v[100:101], v[118:119], 3, v[100:101]
	s_clause 0x8
	global_load_b64 v[126:127], v[86:87], off
	global_load_b64 v[120:121], v[94:95], off
	;; [unrolled: 1-line block ×9, first 2 shown]
	s_wait_xcnt 0x0
	s_and_saveexec_b32 s4, s0
	s_cbranch_execz .LBB73_8
; %bb.2:
	s_wait_loadcnt 0x20
	ds_store_b64 v225, v[56:57]
	s_wait_loadcnt 0x1e
	ds_store_2addr_b64 v226, v[58:59], v[48:49] offset0:1 offset1:2
	s_wait_loadcnt 0x1d
	ds_store_2addr_b64 v226, v[46:47], v[28:29] offset0:3 offset1:4
	ds_store_2addr_b64 v226, v[24:25], v[26:27] offset0:5 offset1:6
	s_wait_loadcnt 0x1c
	ds_store_2addr_b64 v226, v[22:23], v[42:43] offset0:7 offset1:8
	s_wait_loadcnt 0x1a
	;; [unrolled: 2-line block ×15, first 2 shown]
	ds_store_2addr_b64 v226, v[134:135], v[146:147] offset0:35 offset1:36
	ds_load_b64 v[150:151], v225
	s_wait_dscnt 0x0
	v_cmp_neq_f32_e32 vcc_lo, 0, v150
	v_cmp_neq_f32_e64 s2, 0, v151
	s_or_b32 s2, vcc_lo, s2
	s_delay_alu instid0(SALU_CYCLE_1)
	s_and_b32 exec_lo, exec_lo, s2
	s_cbranch_execz .LBB73_8
; %bb.3:
	v_cmp_ngt_f32_e64 s2, |v150|, |v151|
                                        ; implicit-def: $vgpr152_vgpr153
	s_and_saveexec_b32 s5, s2
	s_delay_alu instid0(SALU_CYCLE_1)
	s_xor_b32 s2, exec_lo, s5
	s_cbranch_execz .LBB73_5
; %bb.4:
	v_div_scale_f32 v152, null, v151, v151, v150
	v_div_scale_f32 v155, vcc_lo, v150, v151, v150
	s_delay_alu instid0(VALU_DEP_2) | instskip(SKIP_1) | instid1(TRANS32_DEP_1)
	v_rcp_f32_e32 v153, v152
	v_nop
	v_fma_f32 v154, -v152, v153, 1.0
	s_delay_alu instid0(VALU_DEP_1) | instskip(NEXT) | instid1(VALU_DEP_1)
	v_fmac_f32_e32 v153, v154, v153
	v_mul_f32_e32 v154, v155, v153
	s_delay_alu instid0(VALU_DEP_1) | instskip(NEXT) | instid1(VALU_DEP_1)
	v_fma_f32 v156, -v152, v154, v155
	v_fmac_f32_e32 v154, v156, v153
	s_delay_alu instid0(VALU_DEP_1) | instskip(NEXT) | instid1(VALU_DEP_1)
	v_fma_f32 v152, -v152, v154, v155
	v_div_fmas_f32 v152, v152, v153, v154
	s_delay_alu instid0(VALU_DEP_1) | instskip(NEXT) | instid1(VALU_DEP_1)
	v_div_fixup_f32 v152, v152, v151, v150
	v_fmac_f32_e32 v151, v150, v152
	s_delay_alu instid0(VALU_DEP_1) | instskip(SKIP_1) | instid1(VALU_DEP_2)
	v_div_scale_f32 v150, null, v151, v151, 1.0
	v_div_scale_f32 v155, vcc_lo, 1.0, v151, 1.0
	v_rcp_f32_e32 v153, v150
	v_nop
	s_delay_alu instid0(TRANS32_DEP_1) | instskip(NEXT) | instid1(VALU_DEP_1)
	v_fma_f32 v154, -v150, v153, 1.0
	v_fmac_f32_e32 v153, v154, v153
	s_delay_alu instid0(VALU_DEP_1) | instskip(NEXT) | instid1(VALU_DEP_1)
	v_mul_f32_e32 v154, v155, v153
	v_fma_f32 v156, -v150, v154, v155
	s_delay_alu instid0(VALU_DEP_1) | instskip(NEXT) | instid1(VALU_DEP_1)
	v_fmac_f32_e32 v154, v156, v153
	v_fma_f32 v150, -v150, v154, v155
	s_delay_alu instid0(VALU_DEP_1) | instskip(NEXT) | instid1(VALU_DEP_1)
	v_div_fmas_f32 v150, v150, v153, v154
	v_div_fixup_f32 v150, v150, v151, 1.0
	s_delay_alu instid0(VALU_DEP_1)
	v_mul_f32_e32 v152, v152, v150
	v_xor_b32_e32 v153, 0x80000000, v150
                                        ; implicit-def: $vgpr150_vgpr151
.LBB73_5:
	s_and_not1_saveexec_b32 s2, s2
	s_cbranch_execz .LBB73_7
; %bb.6:
	v_div_scale_f32 v152, null, v150, v150, v151
	v_div_scale_f32 v155, vcc_lo, v151, v150, v151
	s_delay_alu instid0(VALU_DEP_2) | instskip(SKIP_1) | instid1(TRANS32_DEP_1)
	v_rcp_f32_e32 v153, v152
	v_nop
	v_fma_f32 v154, -v152, v153, 1.0
	s_delay_alu instid0(VALU_DEP_1) | instskip(NEXT) | instid1(VALU_DEP_1)
	v_fmac_f32_e32 v153, v154, v153
	v_mul_f32_e32 v154, v155, v153
	s_delay_alu instid0(VALU_DEP_1) | instskip(NEXT) | instid1(VALU_DEP_1)
	v_fma_f32 v156, -v152, v154, v155
	v_fmac_f32_e32 v154, v156, v153
	s_delay_alu instid0(VALU_DEP_1) | instskip(NEXT) | instid1(VALU_DEP_1)
	v_fma_f32 v152, -v152, v154, v155
	v_div_fmas_f32 v152, v152, v153, v154
	s_delay_alu instid0(VALU_DEP_1) | instskip(NEXT) | instid1(VALU_DEP_1)
	v_div_fixup_f32 v153, v152, v150, v151
	v_fmac_f32_e32 v150, v151, v153
	s_delay_alu instid0(VALU_DEP_1) | instskip(NEXT) | instid1(VALU_DEP_1)
	v_div_scale_f32 v151, null, v150, v150, 1.0
	v_rcp_f32_e32 v152, v151
	v_nop
	s_delay_alu instid0(TRANS32_DEP_1) | instskip(NEXT) | instid1(VALU_DEP_1)
	v_fma_f32 v154, -v151, v152, 1.0
	v_fmac_f32_e32 v152, v154, v152
	v_div_scale_f32 v154, vcc_lo, 1.0, v150, 1.0
	s_delay_alu instid0(VALU_DEP_1) | instskip(NEXT) | instid1(VALU_DEP_1)
	v_mul_f32_e32 v155, v154, v152
	v_fma_f32 v156, -v151, v155, v154
	s_delay_alu instid0(VALU_DEP_1) | instskip(NEXT) | instid1(VALU_DEP_1)
	v_fmac_f32_e32 v155, v156, v152
	v_fma_f32 v151, -v151, v155, v154
	s_delay_alu instid0(VALU_DEP_1) | instskip(NEXT) | instid1(VALU_DEP_1)
	v_div_fmas_f32 v151, v151, v152, v155
	v_div_fixup_f32 v152, v151, v150, 1.0
	s_delay_alu instid0(VALU_DEP_1)
	v_mul_f32_e64 v153, v153, -v152
.LBB73_7:
	s_or_b32 exec_lo, exec_lo, s2
	ds_store_b64 v225, v[152:153]
.LBB73_8:
	s_or_b32 exec_lo, exec_lo, s4
	s_wait_loadcnt_dscnt 0x0
	s_barrier_signal -1
	s_barrier_wait -1
	ds_load_b64 v[150:151], v225
	s_and_saveexec_b32 s2, s1
	s_cbranch_execz .LBB73_10
; %bb.9:
	ds_load_2addr_b64 v[156:159], v226 offset0:1 offset1:2
	s_wait_dscnt 0x1
	v_pk_mul_f32 v[154:155], v[150:151], v[56:57] op_sel:[1,1] op_sel_hi:[0,1]
	s_delay_alu instid0(VALU_DEP_1) | instskip(SKIP_1) | instid1(VALU_DEP_1)
	v_pk_fma_f32 v[152:153], v[150:151], v[56:57], v[154:155] op_sel_hi:[1,0,1] neg_lo:[0,0,1] neg_hi:[0,0,1]
	v_pk_fma_f32 v[154:155], v[150:151], v[56:57], v[154:155] op_sel_hi:[1,0,1]
	v_dual_mov_b32 v56, v152 :: v_dual_mov_b32 v57, v155
	s_wait_dscnt 0x0
	s_delay_alu instid0(VALU_DEP_2) | instskip(NEXT) | instid1(VALU_DEP_1)
	v_pk_mul_f32 v[160:161], v[156:157], v[154:155] op_sel:[0,1]
	v_pk_fma_f32 v[162:163], v[156:157], v[152:153], v[160:161] op_sel:[0,0,1] op_sel_hi:[1,1,0] neg_lo:[0,0,1] neg_hi:[0,0,1]
	v_pk_fma_f32 v[156:157], v[156:157], v[152:153], v[160:161] op_sel:[0,0,1] op_sel_hi:[1,0,0]
	s_delay_alu instid0(VALU_DEP_1) | instskip(SKIP_1) | instid1(VALU_DEP_1)
	v_mov_b32_e32 v163, v157
	v_pk_mul_f32 v[156:157], v[158:159], v[154:155] op_sel:[0,1]
	v_pk_fma_f32 v[160:161], v[158:159], v[152:153], v[156:157] op_sel:[0,0,1] op_sel_hi:[1,1,0] neg_lo:[0,0,1] neg_hi:[0,0,1]
	v_pk_fma_f32 v[156:157], v[158:159], v[152:153], v[156:157] op_sel:[0,0,1] op_sel_hi:[1,0,0]
	s_delay_alu instid0(VALU_DEP_1)
	v_mov_b32_e32 v161, v157
	ds_load_2addr_b64 v[156:159], v226 offset0:3 offset1:4
	v_pk_add_f32 v[58:59], v[58:59], v[162:163] neg_lo:[0,1] neg_hi:[0,1]
	v_pk_add_f32 v[48:49], v[48:49], v[160:161] neg_lo:[0,1] neg_hi:[0,1]
	s_wait_dscnt 0x0
	v_pk_mul_f32 v[160:161], v[156:157], v[154:155] op_sel:[0,1]
	s_delay_alu instid0(VALU_DEP_1) | instskip(SKIP_2) | instid1(VALU_DEP_2)
	v_pk_fma_f32 v[162:163], v[156:157], v[152:153], v[160:161] op_sel:[0,0,1] op_sel_hi:[1,1,0] neg_lo:[0,0,1] neg_hi:[0,0,1]
	v_pk_fma_f32 v[156:157], v[156:157], v[152:153], v[160:161] op_sel:[0,0,1] op_sel_hi:[1,0,0]
	v_dual_mul_f32 v160, v159, v155 :: v_dual_mov_b32 v156, v159
	v_dual_mov_b32 v163, v157 :: v_dual_mov_b32 v157, v158
	s_delay_alu instid0(VALU_DEP_2) | instskip(SKIP_1) | instid1(VALU_DEP_3)
	v_pk_fma_f32 v[160:161], v[158:159], v[56:57], v[160:161] op_sel_hi:[1,1,0] neg_lo:[0,0,1] neg_hi:[0,0,1]
	v_mul_f32_e32 v158, v159, v152
	v_pk_add_f32 v[46:47], v[46:47], v[162:163] neg_lo:[0,1] neg_hi:[0,1]
	s_delay_alu instid0(VALU_DEP_2) | instskip(NEXT) | instid1(VALU_DEP_1)
	v_pk_fma_f32 v[156:157], v[156:157], v[56:57], v[158:159] op_sel_hi:[1,1,0]
	v_mov_b32_e32 v161, v157
	ds_load_2addr_b64 v[156:159], v226 offset0:5 offset1:6
	v_pk_add_f32 v[28:29], v[28:29], v[160:161] neg_lo:[0,1] neg_hi:[0,1]
	s_wait_dscnt 0x0
	v_pk_mul_f32 v[160:161], v[156:157], v[154:155] op_sel:[0,1]
	s_delay_alu instid0(VALU_DEP_1) | instskip(SKIP_1) | instid1(VALU_DEP_1)
	v_pk_fma_f32 v[162:163], v[156:157], v[152:153], v[160:161] op_sel:[0,0,1] op_sel_hi:[1,1,0] neg_lo:[0,0,1] neg_hi:[0,0,1]
	v_pk_fma_f32 v[156:157], v[156:157], v[152:153], v[160:161] op_sel:[0,0,1] op_sel_hi:[1,0,0]
	v_mov_b32_e32 v163, v157
	v_pk_mul_f32 v[156:157], v[158:159], v[154:155] op_sel:[0,1]
	s_delay_alu instid0(VALU_DEP_1) | instskip(SKIP_1) | instid1(VALU_DEP_1)
	v_pk_fma_f32 v[160:161], v[158:159], v[152:153], v[156:157] op_sel:[0,0,1] op_sel_hi:[1,1,0] neg_lo:[0,0,1] neg_hi:[0,0,1]
	v_pk_fma_f32 v[156:157], v[158:159], v[152:153], v[156:157] op_sel:[0,0,1] op_sel_hi:[1,0,0]
	v_mov_b32_e32 v161, v157
	ds_load_2addr_b64 v[156:159], v226 offset0:7 offset1:8
	v_pk_add_f32 v[24:25], v[24:25], v[162:163] neg_lo:[0,1] neg_hi:[0,1]
	v_pk_add_f32 v[26:27], v[26:27], v[160:161] neg_lo:[0,1] neg_hi:[0,1]
	s_wait_dscnt 0x0
	v_pk_mul_f32 v[160:161], v[156:157], v[154:155] op_sel:[0,1]
	s_delay_alu instid0(VALU_DEP_1) | instskip(SKIP_1) | instid1(VALU_DEP_1)
	v_pk_fma_f32 v[162:163], v[156:157], v[152:153], v[160:161] op_sel:[0,0,1] op_sel_hi:[1,1,0] neg_lo:[0,0,1] neg_hi:[0,0,1]
	v_pk_fma_f32 v[156:157], v[156:157], v[152:153], v[160:161] op_sel:[0,0,1] op_sel_hi:[1,0,0]
	v_mov_b32_e32 v163, v157
	v_pk_mul_f32 v[156:157], v[158:159], v[154:155] op_sel:[0,1]
	s_delay_alu instid0(VALU_DEP_1) | instskip(SKIP_1) | instid1(VALU_DEP_1)
	v_pk_fma_f32 v[160:161], v[158:159], v[152:153], v[156:157] op_sel:[0,0,1] op_sel_hi:[1,1,0] neg_lo:[0,0,1] neg_hi:[0,0,1]
	v_pk_fma_f32 v[156:157], v[158:159], v[152:153], v[156:157] op_sel:[0,0,1] op_sel_hi:[1,0,0]
	v_mov_b32_e32 v161, v157
	ds_load_2addr_b64 v[156:159], v226 offset0:9 offset1:10
	v_pk_add_f32 v[22:23], v[22:23], v[162:163] neg_lo:[0,1] neg_hi:[0,1]
	v_pk_add_f32 v[42:43], v[42:43], v[160:161] neg_lo:[0,1] neg_hi:[0,1]
	s_wait_dscnt 0x0
	v_dual_mul_f32 v160, v157, v155 :: v_dual_mul_f32 v162, v157, v152
	s_delay_alu instid0(VALU_DEP_1) | instskip(NEXT) | instid1(VALU_DEP_2)
	v_pk_fma_f32 v[160:161], v[156:157], v[56:57], v[160:161] op_sel_hi:[1,1,0] neg_lo:[0,0,1] neg_hi:[0,0,1]
	v_pk_fma_f32 v[156:157], v[156:157], v[56:57], v[162:163] op_sel:[1,0,0] op_sel_hi:[0,1,0]
	s_delay_alu instid0(VALU_DEP_1) | instskip(SKIP_1) | instid1(VALU_DEP_2)
	v_mov_b32_e32 v161, v157
	v_pk_mul_f32 v[156:157], v[158:159], v[154:155] op_sel:[0,1]
	v_pk_add_f32 v[38:39], v[38:39], v[160:161] neg_lo:[0,1] neg_hi:[0,1]
	s_delay_alu instid0(VALU_DEP_2) | instskip(SKIP_1) | instid1(VALU_DEP_1)
	v_pk_fma_f32 v[160:161], v[158:159], v[152:153], v[156:157] op_sel:[0,0,1] op_sel_hi:[1,1,0] neg_lo:[0,0,1] neg_hi:[0,0,1]
	v_pk_fma_f32 v[156:157], v[158:159], v[152:153], v[156:157] op_sel:[0,0,1] op_sel_hi:[1,0,0]
	v_mov_b32_e32 v161, v157
	ds_load_2addr_b64 v[156:159], v226 offset0:11 offset1:12
	v_pk_add_f32 v[40:41], v[40:41], v[160:161] neg_lo:[0,1] neg_hi:[0,1]
	s_wait_dscnt 0x0
	v_pk_mul_f32 v[160:161], v[156:157], v[154:155] op_sel:[0,1]
	s_delay_alu instid0(VALU_DEP_1) | instskip(SKIP_1) | instid1(VALU_DEP_1)
	v_pk_fma_f32 v[162:163], v[156:157], v[152:153], v[160:161] op_sel:[0,0,1] op_sel_hi:[1,1,0] neg_lo:[0,0,1] neg_hi:[0,0,1]
	v_pk_fma_f32 v[156:157], v[156:157], v[152:153], v[160:161] op_sel:[0,0,1] op_sel_hi:[1,0,0]
	v_mov_b32_e32 v163, v157
	v_pk_mul_f32 v[156:157], v[158:159], v[154:155] op_sel:[0,1]
	s_delay_alu instid0(VALU_DEP_2) | instskip(NEXT) | instid1(VALU_DEP_2)
	v_pk_add_f32 v[36:37], v[36:37], v[162:163] neg_lo:[0,1] neg_hi:[0,1]
	v_pk_fma_f32 v[160:161], v[158:159], v[152:153], v[156:157] op_sel:[0,0,1] op_sel_hi:[1,1,0] neg_lo:[0,0,1] neg_hi:[0,0,1]
	v_pk_fma_f32 v[156:157], v[158:159], v[152:153], v[156:157] op_sel:[0,0,1] op_sel_hi:[1,0,0]
	s_delay_alu instid0(VALU_DEP_1) | instskip(SKIP_4) | instid1(VALU_DEP_1)
	v_mov_b32_e32 v161, v157
	ds_load_2addr_b64 v[156:159], v226 offset0:13 offset1:14
	v_pk_add_f32 v[60:61], v[60:61], v[160:161] neg_lo:[0,1] neg_hi:[0,1]
	s_wait_dscnt 0x0
	v_pk_mul_f32 v[160:161], v[156:157], v[154:155] op_sel:[0,1]
	v_pk_fma_f32 v[162:163], v[156:157], v[152:153], v[160:161] op_sel:[0,0,1] op_sel_hi:[1,1,0] neg_lo:[0,0,1] neg_hi:[0,0,1]
	v_pk_fma_f32 v[156:157], v[156:157], v[152:153], v[160:161] op_sel:[0,0,1] op_sel_hi:[1,0,0]
	v_dual_mul_f32 v160, v159, v155 :: v_dual_mov_b32 v156, v159
	s_delay_alu instid0(VALU_DEP_2) | instskip(NEXT) | instid1(VALU_DEP_2)
	v_dual_mov_b32 v163, v157 :: v_dual_mov_b32 v157, v158
	v_pk_fma_f32 v[160:161], v[158:159], v[56:57], v[160:161] op_sel_hi:[1,1,0] neg_lo:[0,0,1] neg_hi:[0,0,1]
	v_mul_f32_e32 v158, v159, v152
	s_delay_alu instid0(VALU_DEP_3) | instskip(NEXT) | instid1(VALU_DEP_2)
	v_pk_add_f32 v[78:79], v[78:79], v[162:163] neg_lo:[0,1] neg_hi:[0,1]
	v_pk_fma_f32 v[156:157], v[156:157], v[56:57], v[158:159] op_sel_hi:[1,1,0]
	s_delay_alu instid0(VALU_DEP_1) | instskip(SKIP_4) | instid1(VALU_DEP_1)
	v_mov_b32_e32 v161, v157
	ds_load_2addr_b64 v[156:159], v226 offset0:15 offset1:16
	v_pk_add_f32 v[92:93], v[92:93], v[160:161] neg_lo:[0,1] neg_hi:[0,1]
	s_wait_dscnt 0x0
	v_pk_mul_f32 v[160:161], v[156:157], v[154:155] op_sel:[0,1]
	v_pk_fma_f32 v[162:163], v[156:157], v[152:153], v[160:161] op_sel:[0,0,1] op_sel_hi:[1,1,0] neg_lo:[0,0,1] neg_hi:[0,0,1]
	v_pk_fma_f32 v[156:157], v[156:157], v[152:153], v[160:161] op_sel:[0,0,1] op_sel_hi:[1,0,0]
	s_delay_alu instid0(VALU_DEP_1) | instskip(SKIP_1) | instid1(VALU_DEP_1)
	v_mov_b32_e32 v163, v157
	v_pk_mul_f32 v[156:157], v[158:159], v[154:155] op_sel:[0,1]
	v_pk_fma_f32 v[160:161], v[158:159], v[152:153], v[156:157] op_sel:[0,0,1] op_sel_hi:[1,1,0] neg_lo:[0,0,1] neg_hi:[0,0,1]
	v_pk_fma_f32 v[156:157], v[158:159], v[152:153], v[156:157] op_sel:[0,0,1] op_sel_hi:[1,0,0]
	s_delay_alu instid0(VALU_DEP_1)
	v_mov_b32_e32 v161, v157
	ds_load_2addr_b64 v[156:159], v226 offset0:17 offset1:18
	v_pk_add_f32 v[90:91], v[90:91], v[162:163] neg_lo:[0,1] neg_hi:[0,1]
	v_pk_add_f32 v[116:117], v[116:117], v[160:161] neg_lo:[0,1] neg_hi:[0,1]
	s_wait_dscnt 0x0
	v_pk_mul_f32 v[160:161], v[156:157], v[154:155] op_sel:[0,1]
	s_delay_alu instid0(VALU_DEP_1) | instskip(SKIP_1) | instid1(VALU_DEP_1)
	v_pk_fma_f32 v[162:163], v[156:157], v[152:153], v[160:161] op_sel:[0,0,1] op_sel_hi:[1,1,0] neg_lo:[0,0,1] neg_hi:[0,0,1]
	v_pk_fma_f32 v[156:157], v[156:157], v[152:153], v[160:161] op_sel:[0,0,1] op_sel_hi:[1,0,0]
	v_mov_b32_e32 v163, v157
	v_pk_mul_f32 v[156:157], v[158:159], v[154:155] op_sel:[0,1]
	s_delay_alu instid0(VALU_DEP_1) | instskip(SKIP_1) | instid1(VALU_DEP_1)
	v_pk_fma_f32 v[160:161], v[158:159], v[152:153], v[156:157] op_sel:[0,0,1] op_sel_hi:[1,1,0] neg_lo:[0,0,1] neg_hi:[0,0,1]
	v_pk_fma_f32 v[156:157], v[158:159], v[152:153], v[156:157] op_sel:[0,0,1] op_sel_hi:[1,0,0]
	v_mov_b32_e32 v161, v157
	ds_load_2addr_b64 v[156:159], v226 offset0:19 offset1:20
	v_pk_add_f32 v[88:89], v[88:89], v[162:163] neg_lo:[0,1] neg_hi:[0,1]
	v_pk_add_f32 v[114:115], v[114:115], v[160:161] neg_lo:[0,1] neg_hi:[0,1]
	s_wait_dscnt 0x0
	v_dual_mul_f32 v160, v157, v155 :: v_dual_mul_f32 v162, v157, v152
	s_delay_alu instid0(VALU_DEP_1) | instskip(NEXT) | instid1(VALU_DEP_2)
	v_pk_fma_f32 v[160:161], v[156:157], v[56:57], v[160:161] op_sel_hi:[1,1,0] neg_lo:[0,0,1] neg_hi:[0,0,1]
	v_pk_fma_f32 v[156:157], v[156:157], v[56:57], v[162:163] op_sel:[1,0,0] op_sel_hi:[0,1,0]
	s_delay_alu instid0(VALU_DEP_1) | instskip(SKIP_1) | instid1(VALU_DEP_2)
	v_mov_b32_e32 v161, v157
	v_pk_mul_f32 v[156:157], v[158:159], v[154:155] op_sel:[0,1]
	v_pk_add_f32 v[112:113], v[112:113], v[160:161] neg_lo:[0,1] neg_hi:[0,1]
	s_delay_alu instid0(VALU_DEP_2) | instskip(SKIP_1) | instid1(VALU_DEP_1)
	v_pk_fma_f32 v[160:161], v[158:159], v[152:153], v[156:157] op_sel:[0,0,1] op_sel_hi:[1,1,0] neg_lo:[0,0,1] neg_hi:[0,0,1]
	v_pk_fma_f32 v[156:157], v[158:159], v[152:153], v[156:157] op_sel:[0,0,1] op_sel_hi:[1,0,0]
	v_mov_b32_e32 v161, v157
	ds_load_2addr_b64 v[156:159], v226 offset0:21 offset1:22
	v_pk_add_f32 v[132:133], v[132:133], v[160:161] neg_lo:[0,1] neg_hi:[0,1]
	s_wait_dscnt 0x0
	v_pk_mul_f32 v[160:161], v[156:157], v[154:155] op_sel:[0,1]
	s_delay_alu instid0(VALU_DEP_1) | instskip(SKIP_1) | instid1(VALU_DEP_1)
	v_pk_fma_f32 v[162:163], v[156:157], v[152:153], v[160:161] op_sel:[0,0,1] op_sel_hi:[1,1,0] neg_lo:[0,0,1] neg_hi:[0,0,1]
	v_pk_fma_f32 v[156:157], v[156:157], v[152:153], v[160:161] op_sel:[0,0,1] op_sel_hi:[1,0,0]
	v_mov_b32_e32 v163, v157
	v_pk_mul_f32 v[156:157], v[158:159], v[154:155] op_sel:[0,1]
	s_delay_alu instid0(VALU_DEP_2) | instskip(NEXT) | instid1(VALU_DEP_2)
	v_pk_add_f32 v[102:103], v[102:103], v[162:163] neg_lo:[0,1] neg_hi:[0,1]
	v_pk_fma_f32 v[160:161], v[158:159], v[152:153], v[156:157] op_sel:[0,0,1] op_sel_hi:[1,1,0] neg_lo:[0,0,1] neg_hi:[0,0,1]
	v_pk_fma_f32 v[156:157], v[158:159], v[152:153], v[156:157] op_sel:[0,0,1] op_sel_hi:[1,0,0]
	s_delay_alu instid0(VALU_DEP_1) | instskip(SKIP_4) | instid1(VALU_DEP_1)
	v_mov_b32_e32 v161, v157
	ds_load_2addr_b64 v[156:159], v226 offset0:23 offset1:24
	v_pk_add_f32 v[130:131], v[130:131], v[160:161] neg_lo:[0,1] neg_hi:[0,1]
	s_wait_dscnt 0x0
	v_pk_mul_f32 v[160:161], v[156:157], v[154:155] op_sel:[0,1]
	v_pk_fma_f32 v[162:163], v[156:157], v[152:153], v[160:161] op_sel:[0,0,1] op_sel_hi:[1,1,0] neg_lo:[0,0,1] neg_hi:[0,0,1]
	v_pk_fma_f32 v[156:157], v[156:157], v[152:153], v[160:161] op_sel:[0,0,1] op_sel_hi:[1,0,0]
	v_dual_mul_f32 v160, v159, v155 :: v_dual_mov_b32 v156, v159
	s_delay_alu instid0(VALU_DEP_2) | instskip(NEXT) | instid1(VALU_DEP_2)
	v_dual_mov_b32 v163, v157 :: v_dual_mov_b32 v157, v158
	v_pk_fma_f32 v[160:161], v[158:159], v[56:57], v[160:161] op_sel_hi:[1,1,0] neg_lo:[0,0,1] neg_hi:[0,0,1]
	v_mul_f32_e32 v158, v159, v152
	s_delay_alu instid0(VALU_DEP_3) | instskip(NEXT) | instid1(VALU_DEP_2)
	v_pk_add_f32 v[128:129], v[128:129], v[162:163] neg_lo:[0,1] neg_hi:[0,1]
	v_pk_fma_f32 v[156:157], v[156:157], v[56:57], v[158:159] op_sel_hi:[1,1,0]
	s_delay_alu instid0(VALU_DEP_1) | instskip(SKIP_4) | instid1(VALU_DEP_1)
	v_mov_b32_e32 v161, v157
	ds_load_2addr_b64 v[156:159], v226 offset0:25 offset1:26
	v_pk_add_f32 v[144:145], v[144:145], v[160:161] neg_lo:[0,1] neg_hi:[0,1]
	s_wait_dscnt 0x0
	v_pk_mul_f32 v[160:161], v[156:157], v[154:155] op_sel:[0,1]
	v_pk_fma_f32 v[162:163], v[156:157], v[152:153], v[160:161] op_sel:[0,0,1] op_sel_hi:[1,1,0] neg_lo:[0,0,1] neg_hi:[0,0,1]
	v_pk_fma_f32 v[156:157], v[156:157], v[152:153], v[160:161] op_sel:[0,0,1] op_sel_hi:[1,0,0]
	s_delay_alu instid0(VALU_DEP_1) | instskip(SKIP_1) | instid1(VALU_DEP_1)
	v_mov_b32_e32 v163, v157
	v_pk_mul_f32 v[156:157], v[158:159], v[154:155] op_sel:[0,1]
	v_pk_fma_f32 v[160:161], v[158:159], v[152:153], v[156:157] op_sel:[0,0,1] op_sel_hi:[1,1,0] neg_lo:[0,0,1] neg_hi:[0,0,1]
	v_pk_fma_f32 v[156:157], v[158:159], v[152:153], v[156:157] op_sel:[0,0,1] op_sel_hi:[1,0,0]
	s_delay_alu instid0(VALU_DEP_1)
	v_mov_b32_e32 v161, v157
	ds_load_2addr_b64 v[156:159], v226 offset0:27 offset1:28
	v_pk_add_f32 v[148:149], v[148:149], v[162:163] neg_lo:[0,1] neg_hi:[0,1]
	v_pk_add_f32 v[142:143], v[142:143], v[160:161] neg_lo:[0,1] neg_hi:[0,1]
	s_wait_dscnt 0x0
	v_pk_mul_f32 v[160:161], v[156:157], v[154:155] op_sel:[0,1]
	s_delay_alu instid0(VALU_DEP_1) | instskip(SKIP_1) | instid1(VALU_DEP_1)
	v_pk_fma_f32 v[162:163], v[156:157], v[152:153], v[160:161] op_sel:[0,0,1] op_sel_hi:[1,1,0] neg_lo:[0,0,1] neg_hi:[0,0,1]
	v_pk_fma_f32 v[156:157], v[156:157], v[152:153], v[160:161] op_sel:[0,0,1] op_sel_hi:[1,0,0]
	v_mov_b32_e32 v163, v157
	v_pk_mul_f32 v[156:157], v[158:159], v[154:155] op_sel:[0,1]
	s_delay_alu instid0(VALU_DEP_1) | instskip(SKIP_1) | instid1(VALU_DEP_1)
	v_pk_fma_f32 v[160:161], v[158:159], v[152:153], v[156:157] op_sel:[0,0,1] op_sel_hi:[1,1,0] neg_lo:[0,0,1] neg_hi:[0,0,1]
	v_pk_fma_f32 v[156:157], v[158:159], v[152:153], v[156:157] op_sel:[0,0,1] op_sel_hi:[1,0,0]
	v_mov_b32_e32 v161, v157
	ds_load_2addr_b64 v[156:159], v226 offset0:29 offset1:30
	v_pk_add_f32 v[140:141], v[140:141], v[162:163] neg_lo:[0,1] neg_hi:[0,1]
	v_pk_add_f32 v[126:127], v[126:127], v[160:161] neg_lo:[0,1] neg_hi:[0,1]
	s_wait_dscnt 0x0
	v_dual_mul_f32 v160, v157, v155 :: v_dual_mul_f32 v162, v157, v152
	s_delay_alu instid0(VALU_DEP_1) | instskip(NEXT) | instid1(VALU_DEP_2)
	v_pk_fma_f32 v[160:161], v[156:157], v[56:57], v[160:161] op_sel_hi:[1,1,0] neg_lo:[0,0,1] neg_hi:[0,0,1]
	v_pk_fma_f32 v[156:157], v[156:157], v[56:57], v[162:163] op_sel:[1,0,0] op_sel_hi:[0,1,0]
	s_delay_alu instid0(VALU_DEP_1) | instskip(SKIP_1) | instid1(VALU_DEP_2)
	v_mov_b32_e32 v161, v157
	v_pk_mul_f32 v[156:157], v[158:159], v[154:155] op_sel:[0,1]
	v_pk_add_f32 v[120:121], v[120:121], v[160:161] neg_lo:[0,1] neg_hi:[0,1]
	s_delay_alu instid0(VALU_DEP_2) | instskip(SKIP_1) | instid1(VALU_DEP_1)
	v_pk_fma_f32 v[160:161], v[158:159], v[152:153], v[156:157] op_sel:[0,0,1] op_sel_hi:[1,1,0] neg_lo:[0,0,1] neg_hi:[0,0,1]
	v_pk_fma_f32 v[156:157], v[158:159], v[152:153], v[156:157] op_sel:[0,0,1] op_sel_hi:[1,0,0]
	v_mov_b32_e32 v161, v157
	ds_load_2addr_b64 v[156:159], v226 offset0:31 offset1:32
	v_pk_add_f32 v[124:125], v[124:125], v[160:161] neg_lo:[0,1] neg_hi:[0,1]
	s_wait_dscnt 0x0
	v_pk_mul_f32 v[160:161], v[156:157], v[154:155] op_sel:[0,1]
	s_delay_alu instid0(VALU_DEP_1) | instskip(SKIP_1) | instid1(VALU_DEP_1)
	v_pk_fma_f32 v[162:163], v[156:157], v[152:153], v[160:161] op_sel:[0,0,1] op_sel_hi:[1,1,0] neg_lo:[0,0,1] neg_hi:[0,0,1]
	v_pk_fma_f32 v[156:157], v[156:157], v[152:153], v[160:161] op_sel:[0,0,1] op_sel_hi:[1,0,0]
	v_mov_b32_e32 v163, v157
	v_pk_mul_f32 v[156:157], v[158:159], v[154:155] op_sel:[0,1]
	s_delay_alu instid0(VALU_DEP_2) | instskip(NEXT) | instid1(VALU_DEP_2)
	v_pk_add_f32 v[118:119], v[118:119], v[162:163] neg_lo:[0,1] neg_hi:[0,1]
	v_pk_fma_f32 v[160:161], v[158:159], v[152:153], v[156:157] op_sel:[0,0,1] op_sel_hi:[1,1,0] neg_lo:[0,0,1] neg_hi:[0,0,1]
	v_pk_fma_f32 v[156:157], v[158:159], v[152:153], v[156:157] op_sel:[0,0,1] op_sel_hi:[1,0,0]
	s_delay_alu instid0(VALU_DEP_1) | instskip(SKIP_4) | instid1(VALU_DEP_1)
	v_mov_b32_e32 v161, v157
	ds_load_2addr_b64 v[156:159], v226 offset0:33 offset1:34
	v_pk_add_f32 v[122:123], v[122:123], v[160:161] neg_lo:[0,1] neg_hi:[0,1]
	s_wait_dscnt 0x0
	v_pk_mul_f32 v[160:161], v[156:157], v[154:155] op_sel:[0,1]
	v_pk_fma_f32 v[162:163], v[156:157], v[152:153], v[160:161] op_sel:[0,0,1] op_sel_hi:[1,1,0] neg_lo:[0,0,1] neg_hi:[0,0,1]
	v_pk_fma_f32 v[156:157], v[156:157], v[152:153], v[160:161] op_sel:[0,0,1] op_sel_hi:[1,0,0]
	v_dual_mul_f32 v160, v159, v155 :: v_dual_mov_b32 v156, v159
	s_delay_alu instid0(VALU_DEP_2) | instskip(NEXT) | instid1(VALU_DEP_2)
	v_dual_mov_b32 v163, v157 :: v_dual_mov_b32 v157, v158
	v_pk_fma_f32 v[160:161], v[158:159], v[56:57], v[160:161] op_sel_hi:[1,1,0] neg_lo:[0,0,1] neg_hi:[0,0,1]
	v_mul_f32_e32 v158, v159, v152
	s_delay_alu instid0(VALU_DEP_3) | instskip(NEXT) | instid1(VALU_DEP_2)
	v_pk_add_f32 v[138:139], v[138:139], v[162:163] neg_lo:[0,1] neg_hi:[0,1]
	v_pk_fma_f32 v[156:157], v[156:157], v[56:57], v[158:159] op_sel_hi:[1,1,0]
	s_delay_alu instid0(VALU_DEP_1)
	v_mov_b32_e32 v161, v157
	ds_load_2addr_b64 v[156:159], v226 offset0:35 offset1:36
	v_pk_add_f32 v[136:137], v[136:137], v[160:161] neg_lo:[0,1] neg_hi:[0,1]
	s_wait_dscnt 0x0
	v_pk_mul_f32 v[160:161], v[156:157], v[154:155] op_sel:[0,1]
	v_mul_f32_e32 v154, v159, v155
	s_delay_alu instid0(VALU_DEP_2) | instskip(SKIP_2) | instid1(VALU_DEP_4)
	v_pk_fma_f32 v[162:163], v[156:157], v[152:153], v[160:161] op_sel:[0,0,1] op_sel_hi:[1,1,0] neg_lo:[0,0,1] neg_hi:[0,0,1]
	v_pk_fma_f32 v[156:157], v[156:157], v[152:153], v[160:161] op_sel:[0,0,1] op_sel_hi:[1,0,0]
	v_dual_mov_b32 v156, v159 :: v_dual_mul_f32 v152, v159, v152
	v_pk_fma_f32 v[154:155], v[158:159], v[56:57], v[154:155] op_sel_hi:[1,1,0] neg_lo:[0,0,1] neg_hi:[0,0,1]
	s_delay_alu instid0(VALU_DEP_3) | instskip(NEXT) | instid1(VALU_DEP_1)
	v_dual_mov_b32 v163, v157 :: v_dual_mov_b32 v157, v158
	v_pk_add_f32 v[134:135], v[134:135], v[162:163] neg_lo:[0,1] neg_hi:[0,1]
	s_delay_alu instid0(VALU_DEP_2) | instskip(NEXT) | instid1(VALU_DEP_1)
	v_pk_fma_f32 v[152:153], v[156:157], v[56:57], v[152:153] op_sel_hi:[1,1,0]
	v_mov_b32_e32 v155, v153
	s_delay_alu instid0(VALU_DEP_1)
	v_pk_add_f32 v[146:147], v[146:147], v[154:155] neg_lo:[0,1] neg_hi:[0,1]
.LBB73_10:
	s_or_b32 exec_lo, exec_lo, s2
	s_delay_alu instid0(SALU_CYCLE_1)
	s_mov_b32 s2, exec_lo
	s_wait_dscnt 0x0
	s_barrier_signal -1
	s_barrier_wait -1
	v_cmpx_eq_u32_e32 1, v224
	s_cbranch_execz .LBB73_17
; %bb.11:
	v_dual_mov_b32 v152, v48 :: v_dual_mov_b32 v153, v49
	v_dual_mov_b32 v154, v46 :: v_dual_mov_b32 v155, v47
	;; [unrolled: 1-line block ×10, first 2 shown]
	ds_store_b64 v225, v[58:59]
	v_dual_mov_b32 v172, v60 :: v_dual_mov_b32 v173, v61
	v_dual_mov_b32 v174, v78 :: v_dual_mov_b32 v175, v79
	ds_store_2addr_b64 v226, v[152:153], v[154:155] offset0:2 offset1:3
	ds_store_2addr_b64 v226, v[156:157], v[158:159] offset0:4 offset1:5
	;; [unrolled: 1-line block ×6, first 2 shown]
	v_dual_mov_b32 v152, v92 :: v_dual_mov_b32 v153, v93
	v_dual_mov_b32 v154, v90 :: v_dual_mov_b32 v155, v91
	;; [unrolled: 1-line block ×12, first 2 shown]
	ds_store_2addr_b64 v226, v[152:153], v[154:155] offset0:14 offset1:15
	ds_store_2addr_b64 v226, v[156:157], v[158:159] offset0:16 offset1:17
	ds_store_2addr_b64 v226, v[160:161], v[162:163] offset0:18 offset1:19
	ds_store_2addr_b64 v226, v[164:165], v[166:167] offset0:20 offset1:21
	ds_store_2addr_b64 v226, v[168:169], v[170:171] offset0:22 offset1:23
	ds_store_2addr_b64 v226, v[172:173], v[174:175] offset0:24 offset1:25
	v_dual_mov_b32 v152, v142 :: v_dual_mov_b32 v153, v143
	v_dual_mov_b32 v154, v140 :: v_dual_mov_b32 v155, v141
	;; [unrolled: 1-line block ×10, first 2 shown]
	ds_store_2addr_b64 v226, v[152:153], v[154:155] offset0:26 offset1:27
	ds_store_2addr_b64 v226, v[156:157], v[158:159] offset0:28 offset1:29
	;; [unrolled: 1-line block ×5, first 2 shown]
	ds_store_b64 v226, v[146:147] offset:288
	ds_load_b64 v[152:153], v225
	s_wait_dscnt 0x0
	v_cmp_neq_f32_e32 vcc_lo, 0, v152
	v_cmp_neq_f32_e64 s1, 0, v153
	s_or_b32 s1, vcc_lo, s1
	s_delay_alu instid0(SALU_CYCLE_1)
	s_and_b32 exec_lo, exec_lo, s1
	s_cbranch_execz .LBB73_17
; %bb.12:
	v_cmp_ngt_f32_e64 s1, |v152|, |v153|
                                        ; implicit-def: $vgpr154_vgpr155
	s_and_saveexec_b32 s4, s1
	s_delay_alu instid0(SALU_CYCLE_1)
	s_xor_b32 s1, exec_lo, s4
	s_cbranch_execz .LBB73_14
; %bb.13:
	v_div_scale_f32 v154, null, v153, v153, v152
	v_div_scale_f32 v157, vcc_lo, v152, v153, v152
	s_delay_alu instid0(VALU_DEP_2) | instskip(SKIP_1) | instid1(TRANS32_DEP_1)
	v_rcp_f32_e32 v155, v154
	v_nop
	v_fma_f32 v156, -v154, v155, 1.0
	s_delay_alu instid0(VALU_DEP_1) | instskip(NEXT) | instid1(VALU_DEP_1)
	v_fmac_f32_e32 v155, v156, v155
	v_mul_f32_e32 v156, v157, v155
	s_delay_alu instid0(VALU_DEP_1) | instskip(NEXT) | instid1(VALU_DEP_1)
	v_fma_f32 v158, -v154, v156, v157
	v_fmac_f32_e32 v156, v158, v155
	s_delay_alu instid0(VALU_DEP_1) | instskip(NEXT) | instid1(VALU_DEP_1)
	v_fma_f32 v154, -v154, v156, v157
	v_div_fmas_f32 v154, v154, v155, v156
	s_delay_alu instid0(VALU_DEP_1) | instskip(NEXT) | instid1(VALU_DEP_1)
	v_div_fixup_f32 v154, v154, v153, v152
	v_fmac_f32_e32 v153, v152, v154
	s_delay_alu instid0(VALU_DEP_1) | instskip(SKIP_1) | instid1(VALU_DEP_2)
	v_div_scale_f32 v152, null, v153, v153, 1.0
	v_div_scale_f32 v157, vcc_lo, 1.0, v153, 1.0
	v_rcp_f32_e32 v155, v152
	v_nop
	s_delay_alu instid0(TRANS32_DEP_1) | instskip(NEXT) | instid1(VALU_DEP_1)
	v_fma_f32 v156, -v152, v155, 1.0
	v_fmac_f32_e32 v155, v156, v155
	s_delay_alu instid0(VALU_DEP_1) | instskip(NEXT) | instid1(VALU_DEP_1)
	v_mul_f32_e32 v156, v157, v155
	v_fma_f32 v158, -v152, v156, v157
	s_delay_alu instid0(VALU_DEP_1) | instskip(NEXT) | instid1(VALU_DEP_1)
	v_fmac_f32_e32 v156, v158, v155
	v_fma_f32 v152, -v152, v156, v157
	s_delay_alu instid0(VALU_DEP_1) | instskip(NEXT) | instid1(VALU_DEP_1)
	v_div_fmas_f32 v152, v152, v155, v156
	v_div_fixup_f32 v152, v152, v153, 1.0
	s_delay_alu instid0(VALU_DEP_1)
	v_mul_f32_e32 v154, v154, v152
	v_xor_b32_e32 v155, 0x80000000, v152
                                        ; implicit-def: $vgpr152_vgpr153
.LBB73_14:
	s_and_not1_saveexec_b32 s1, s1
	s_cbranch_execz .LBB73_16
; %bb.15:
	v_div_scale_f32 v154, null, v152, v152, v153
	v_div_scale_f32 v157, vcc_lo, v153, v152, v153
	s_delay_alu instid0(VALU_DEP_2) | instskip(SKIP_1) | instid1(TRANS32_DEP_1)
	v_rcp_f32_e32 v155, v154
	v_nop
	v_fma_f32 v156, -v154, v155, 1.0
	s_delay_alu instid0(VALU_DEP_1) | instskip(NEXT) | instid1(VALU_DEP_1)
	v_fmac_f32_e32 v155, v156, v155
	v_mul_f32_e32 v156, v157, v155
	s_delay_alu instid0(VALU_DEP_1) | instskip(NEXT) | instid1(VALU_DEP_1)
	v_fma_f32 v158, -v154, v156, v157
	v_fmac_f32_e32 v156, v158, v155
	s_delay_alu instid0(VALU_DEP_1) | instskip(NEXT) | instid1(VALU_DEP_1)
	v_fma_f32 v154, -v154, v156, v157
	v_div_fmas_f32 v154, v154, v155, v156
	s_delay_alu instid0(VALU_DEP_1) | instskip(NEXT) | instid1(VALU_DEP_1)
	v_div_fixup_f32 v155, v154, v152, v153
	v_fmac_f32_e32 v152, v153, v155
	s_delay_alu instid0(VALU_DEP_1) | instskip(NEXT) | instid1(VALU_DEP_1)
	v_div_scale_f32 v153, null, v152, v152, 1.0
	v_rcp_f32_e32 v154, v153
	v_nop
	s_delay_alu instid0(TRANS32_DEP_1) | instskip(NEXT) | instid1(VALU_DEP_1)
	v_fma_f32 v156, -v153, v154, 1.0
	v_fmac_f32_e32 v154, v156, v154
	v_div_scale_f32 v156, vcc_lo, 1.0, v152, 1.0
	s_delay_alu instid0(VALU_DEP_1) | instskip(NEXT) | instid1(VALU_DEP_1)
	v_mul_f32_e32 v157, v156, v154
	v_fma_f32 v158, -v153, v157, v156
	s_delay_alu instid0(VALU_DEP_1) | instskip(NEXT) | instid1(VALU_DEP_1)
	v_fmac_f32_e32 v157, v158, v154
	v_fma_f32 v153, -v153, v157, v156
	s_delay_alu instid0(VALU_DEP_1) | instskip(NEXT) | instid1(VALU_DEP_1)
	v_div_fmas_f32 v153, v153, v154, v157
	v_div_fixup_f32 v154, v153, v152, 1.0
	s_delay_alu instid0(VALU_DEP_1)
	v_mul_f32_e64 v155, v155, -v154
.LBB73_16:
	s_or_b32 exec_lo, exec_lo, s1
	ds_store_b64 v225, v[154:155]
.LBB73_17:
	s_or_b32 exec_lo, exec_lo, s2
	s_wait_dscnt 0x0
	s_barrier_signal -1
	s_barrier_wait -1
	ds_load_b64 v[152:153], v225
	s_mov_b32 s1, exec_lo
	v_cmpx_lt_u32_e32 1, v224
	s_cbranch_execz .LBB73_19
; %bb.18:
	ds_load_2addr_b64 v[158:161], v226 offset0:2 offset1:3
	s_wait_dscnt 0x1
	v_pk_mul_f32 v[156:157], v[152:153], v[58:59] op_sel:[1,1] op_sel_hi:[0,1]
	s_delay_alu instid0(VALU_DEP_1) | instskip(SKIP_1) | instid1(VALU_DEP_1)
	v_pk_fma_f32 v[154:155], v[152:153], v[58:59], v[156:157] op_sel_hi:[1,0,1] neg_lo:[0,0,1] neg_hi:[0,0,1]
	v_pk_fma_f32 v[156:157], v[152:153], v[58:59], v[156:157] op_sel_hi:[1,0,1]
	v_dual_mov_b32 v58, v154 :: v_dual_mov_b32 v59, v157
	s_wait_dscnt 0x0
	s_delay_alu instid0(VALU_DEP_2) | instskip(NEXT) | instid1(VALU_DEP_1)
	v_pk_mul_f32 v[162:163], v[158:159], v[156:157] op_sel:[0,1]
	v_pk_fma_f32 v[164:165], v[158:159], v[154:155], v[162:163] op_sel:[0,0,1] op_sel_hi:[1,1,0] neg_lo:[0,0,1] neg_hi:[0,0,1]
	v_pk_fma_f32 v[158:159], v[158:159], v[154:155], v[162:163] op_sel:[0,0,1] op_sel_hi:[1,0,0]
	s_delay_alu instid0(VALU_DEP_1) | instskip(SKIP_1) | instid1(VALU_DEP_1)
	v_mov_b32_e32 v165, v159
	v_pk_mul_f32 v[158:159], v[160:161], v[156:157] op_sel:[0,1]
	v_pk_fma_f32 v[162:163], v[160:161], v[154:155], v[158:159] op_sel:[0,0,1] op_sel_hi:[1,1,0] neg_lo:[0,0,1] neg_hi:[0,0,1]
	v_pk_fma_f32 v[158:159], v[160:161], v[154:155], v[158:159] op_sel:[0,0,1] op_sel_hi:[1,0,0]
	s_delay_alu instid0(VALU_DEP_1)
	v_mov_b32_e32 v163, v159
	ds_load_2addr_b64 v[158:161], v226 offset0:4 offset1:5
	v_pk_add_f32 v[48:49], v[48:49], v[164:165] neg_lo:[0,1] neg_hi:[0,1]
	v_pk_add_f32 v[46:47], v[46:47], v[162:163] neg_lo:[0,1] neg_hi:[0,1]
	s_wait_dscnt 0x0
	v_pk_mul_f32 v[162:163], v[158:159], v[156:157] op_sel:[0,1]
	s_delay_alu instid0(VALU_DEP_1) | instskip(SKIP_2) | instid1(VALU_DEP_2)
	v_pk_fma_f32 v[164:165], v[158:159], v[154:155], v[162:163] op_sel:[0,0,1] op_sel_hi:[1,1,0] neg_lo:[0,0,1] neg_hi:[0,0,1]
	v_pk_fma_f32 v[158:159], v[158:159], v[154:155], v[162:163] op_sel:[0,0,1] op_sel_hi:[1,0,0]
	v_dual_mul_f32 v162, v161, v157 :: v_dual_mov_b32 v158, v161
	v_dual_mov_b32 v165, v159 :: v_dual_mov_b32 v159, v160
	s_delay_alu instid0(VALU_DEP_2) | instskip(SKIP_1) | instid1(VALU_DEP_3)
	v_pk_fma_f32 v[162:163], v[160:161], v[58:59], v[162:163] op_sel_hi:[1,1,0] neg_lo:[0,0,1] neg_hi:[0,0,1]
	v_mul_f32_e32 v160, v161, v154
	v_pk_add_f32 v[28:29], v[28:29], v[164:165] neg_lo:[0,1] neg_hi:[0,1]
	s_delay_alu instid0(VALU_DEP_2) | instskip(NEXT) | instid1(VALU_DEP_1)
	v_pk_fma_f32 v[158:159], v[158:159], v[58:59], v[160:161] op_sel_hi:[1,1,0]
	v_mov_b32_e32 v163, v159
	ds_load_2addr_b64 v[158:161], v226 offset0:6 offset1:7
	v_pk_add_f32 v[24:25], v[24:25], v[162:163] neg_lo:[0,1] neg_hi:[0,1]
	s_wait_dscnt 0x0
	v_pk_mul_f32 v[162:163], v[158:159], v[156:157] op_sel:[0,1]
	s_delay_alu instid0(VALU_DEP_1) | instskip(SKIP_1) | instid1(VALU_DEP_1)
	v_pk_fma_f32 v[164:165], v[158:159], v[154:155], v[162:163] op_sel:[0,0,1] op_sel_hi:[1,1,0] neg_lo:[0,0,1] neg_hi:[0,0,1]
	v_pk_fma_f32 v[158:159], v[158:159], v[154:155], v[162:163] op_sel:[0,0,1] op_sel_hi:[1,0,0]
	v_mov_b32_e32 v165, v159
	v_pk_mul_f32 v[158:159], v[160:161], v[156:157] op_sel:[0,1]
	s_delay_alu instid0(VALU_DEP_1) | instskip(SKIP_1) | instid1(VALU_DEP_1)
	v_pk_fma_f32 v[162:163], v[160:161], v[154:155], v[158:159] op_sel:[0,0,1] op_sel_hi:[1,1,0] neg_lo:[0,0,1] neg_hi:[0,0,1]
	v_pk_fma_f32 v[158:159], v[160:161], v[154:155], v[158:159] op_sel:[0,0,1] op_sel_hi:[1,0,0]
	v_mov_b32_e32 v163, v159
	ds_load_2addr_b64 v[158:161], v226 offset0:8 offset1:9
	v_pk_add_f32 v[26:27], v[26:27], v[164:165] neg_lo:[0,1] neg_hi:[0,1]
	v_pk_add_f32 v[22:23], v[22:23], v[162:163] neg_lo:[0,1] neg_hi:[0,1]
	s_wait_dscnt 0x0
	v_pk_mul_f32 v[162:163], v[158:159], v[156:157] op_sel:[0,1]
	s_delay_alu instid0(VALU_DEP_1) | instskip(SKIP_1) | instid1(VALU_DEP_1)
	v_pk_fma_f32 v[164:165], v[158:159], v[154:155], v[162:163] op_sel:[0,0,1] op_sel_hi:[1,1,0] neg_lo:[0,0,1] neg_hi:[0,0,1]
	v_pk_fma_f32 v[158:159], v[158:159], v[154:155], v[162:163] op_sel:[0,0,1] op_sel_hi:[1,0,0]
	v_mov_b32_e32 v165, v159
	v_pk_mul_f32 v[158:159], v[160:161], v[156:157] op_sel:[0,1]
	s_delay_alu instid0(VALU_DEP_1) | instskip(SKIP_1) | instid1(VALU_DEP_1)
	v_pk_fma_f32 v[162:163], v[160:161], v[154:155], v[158:159] op_sel:[0,0,1] op_sel_hi:[1,1,0] neg_lo:[0,0,1] neg_hi:[0,0,1]
	v_pk_fma_f32 v[158:159], v[160:161], v[154:155], v[158:159] op_sel:[0,0,1] op_sel_hi:[1,0,0]
	v_mov_b32_e32 v163, v159
	ds_load_2addr_b64 v[158:161], v226 offset0:10 offset1:11
	v_pk_add_f32 v[42:43], v[42:43], v[164:165] neg_lo:[0,1] neg_hi:[0,1]
	v_pk_add_f32 v[38:39], v[38:39], v[162:163] neg_lo:[0,1] neg_hi:[0,1]
	s_wait_dscnt 0x0
	v_dual_mul_f32 v162, v159, v157 :: v_dual_mul_f32 v164, v159, v154
	s_delay_alu instid0(VALU_DEP_1) | instskip(NEXT) | instid1(VALU_DEP_2)
	v_pk_fma_f32 v[162:163], v[158:159], v[58:59], v[162:163] op_sel_hi:[1,1,0] neg_lo:[0,0,1] neg_hi:[0,0,1]
	v_pk_fma_f32 v[158:159], v[158:159], v[58:59], v[164:165] op_sel:[1,0,0] op_sel_hi:[0,1,0]
	s_delay_alu instid0(VALU_DEP_1) | instskip(SKIP_1) | instid1(VALU_DEP_2)
	v_mov_b32_e32 v163, v159
	v_pk_mul_f32 v[158:159], v[160:161], v[156:157] op_sel:[0,1]
	v_pk_add_f32 v[40:41], v[40:41], v[162:163] neg_lo:[0,1] neg_hi:[0,1]
	s_delay_alu instid0(VALU_DEP_2) | instskip(SKIP_1) | instid1(VALU_DEP_1)
	v_pk_fma_f32 v[162:163], v[160:161], v[154:155], v[158:159] op_sel:[0,0,1] op_sel_hi:[1,1,0] neg_lo:[0,0,1] neg_hi:[0,0,1]
	v_pk_fma_f32 v[158:159], v[160:161], v[154:155], v[158:159] op_sel:[0,0,1] op_sel_hi:[1,0,0]
	v_mov_b32_e32 v163, v159
	ds_load_2addr_b64 v[158:161], v226 offset0:12 offset1:13
	v_pk_add_f32 v[36:37], v[36:37], v[162:163] neg_lo:[0,1] neg_hi:[0,1]
	s_wait_dscnt 0x0
	v_pk_mul_f32 v[162:163], v[158:159], v[156:157] op_sel:[0,1]
	s_delay_alu instid0(VALU_DEP_1) | instskip(SKIP_1) | instid1(VALU_DEP_1)
	v_pk_fma_f32 v[164:165], v[158:159], v[154:155], v[162:163] op_sel:[0,0,1] op_sel_hi:[1,1,0] neg_lo:[0,0,1] neg_hi:[0,0,1]
	v_pk_fma_f32 v[158:159], v[158:159], v[154:155], v[162:163] op_sel:[0,0,1] op_sel_hi:[1,0,0]
	v_mov_b32_e32 v165, v159
	v_pk_mul_f32 v[158:159], v[160:161], v[156:157] op_sel:[0,1]
	s_delay_alu instid0(VALU_DEP_2) | instskip(NEXT) | instid1(VALU_DEP_2)
	v_pk_add_f32 v[60:61], v[60:61], v[164:165] neg_lo:[0,1] neg_hi:[0,1]
	v_pk_fma_f32 v[162:163], v[160:161], v[154:155], v[158:159] op_sel:[0,0,1] op_sel_hi:[1,1,0] neg_lo:[0,0,1] neg_hi:[0,0,1]
	v_pk_fma_f32 v[158:159], v[160:161], v[154:155], v[158:159] op_sel:[0,0,1] op_sel_hi:[1,0,0]
	s_delay_alu instid0(VALU_DEP_1) | instskip(SKIP_4) | instid1(VALU_DEP_1)
	v_mov_b32_e32 v163, v159
	ds_load_2addr_b64 v[158:161], v226 offset0:14 offset1:15
	v_pk_add_f32 v[78:79], v[78:79], v[162:163] neg_lo:[0,1] neg_hi:[0,1]
	s_wait_dscnt 0x0
	v_pk_mul_f32 v[162:163], v[158:159], v[156:157] op_sel:[0,1]
	v_pk_fma_f32 v[164:165], v[158:159], v[154:155], v[162:163] op_sel:[0,0,1] op_sel_hi:[1,1,0] neg_lo:[0,0,1] neg_hi:[0,0,1]
	v_pk_fma_f32 v[158:159], v[158:159], v[154:155], v[162:163] op_sel:[0,0,1] op_sel_hi:[1,0,0]
	v_dual_mul_f32 v162, v161, v157 :: v_dual_mov_b32 v158, v161
	s_delay_alu instid0(VALU_DEP_2) | instskip(NEXT) | instid1(VALU_DEP_2)
	v_dual_mov_b32 v165, v159 :: v_dual_mov_b32 v159, v160
	v_pk_fma_f32 v[162:163], v[160:161], v[58:59], v[162:163] op_sel_hi:[1,1,0] neg_lo:[0,0,1] neg_hi:[0,0,1]
	v_mul_f32_e32 v160, v161, v154
	s_delay_alu instid0(VALU_DEP_3) | instskip(NEXT) | instid1(VALU_DEP_2)
	v_pk_add_f32 v[92:93], v[92:93], v[164:165] neg_lo:[0,1] neg_hi:[0,1]
	v_pk_fma_f32 v[158:159], v[158:159], v[58:59], v[160:161] op_sel_hi:[1,1,0]
	s_delay_alu instid0(VALU_DEP_1) | instskip(SKIP_4) | instid1(VALU_DEP_1)
	v_mov_b32_e32 v163, v159
	ds_load_2addr_b64 v[158:161], v226 offset0:16 offset1:17
	v_pk_add_f32 v[90:91], v[90:91], v[162:163] neg_lo:[0,1] neg_hi:[0,1]
	s_wait_dscnt 0x0
	v_pk_mul_f32 v[162:163], v[158:159], v[156:157] op_sel:[0,1]
	v_pk_fma_f32 v[164:165], v[158:159], v[154:155], v[162:163] op_sel:[0,0,1] op_sel_hi:[1,1,0] neg_lo:[0,0,1] neg_hi:[0,0,1]
	v_pk_fma_f32 v[158:159], v[158:159], v[154:155], v[162:163] op_sel:[0,0,1] op_sel_hi:[1,0,0]
	s_delay_alu instid0(VALU_DEP_1) | instskip(SKIP_1) | instid1(VALU_DEP_1)
	v_mov_b32_e32 v165, v159
	v_pk_mul_f32 v[158:159], v[160:161], v[156:157] op_sel:[0,1]
	v_pk_fma_f32 v[162:163], v[160:161], v[154:155], v[158:159] op_sel:[0,0,1] op_sel_hi:[1,1,0] neg_lo:[0,0,1] neg_hi:[0,0,1]
	v_pk_fma_f32 v[158:159], v[160:161], v[154:155], v[158:159] op_sel:[0,0,1] op_sel_hi:[1,0,0]
	s_delay_alu instid0(VALU_DEP_1)
	v_mov_b32_e32 v163, v159
	ds_load_2addr_b64 v[158:161], v226 offset0:18 offset1:19
	v_pk_add_f32 v[116:117], v[116:117], v[164:165] neg_lo:[0,1] neg_hi:[0,1]
	v_pk_add_f32 v[88:89], v[88:89], v[162:163] neg_lo:[0,1] neg_hi:[0,1]
	s_wait_dscnt 0x0
	v_pk_mul_f32 v[162:163], v[158:159], v[156:157] op_sel:[0,1]
	s_delay_alu instid0(VALU_DEP_1) | instskip(SKIP_1) | instid1(VALU_DEP_1)
	v_pk_fma_f32 v[164:165], v[158:159], v[154:155], v[162:163] op_sel:[0,0,1] op_sel_hi:[1,1,0] neg_lo:[0,0,1] neg_hi:[0,0,1]
	v_pk_fma_f32 v[158:159], v[158:159], v[154:155], v[162:163] op_sel:[0,0,1] op_sel_hi:[1,0,0]
	v_mov_b32_e32 v165, v159
	v_pk_mul_f32 v[158:159], v[160:161], v[156:157] op_sel:[0,1]
	s_delay_alu instid0(VALU_DEP_1) | instskip(SKIP_1) | instid1(VALU_DEP_1)
	v_pk_fma_f32 v[162:163], v[160:161], v[154:155], v[158:159] op_sel:[0,0,1] op_sel_hi:[1,1,0] neg_lo:[0,0,1] neg_hi:[0,0,1]
	v_pk_fma_f32 v[158:159], v[160:161], v[154:155], v[158:159] op_sel:[0,0,1] op_sel_hi:[1,0,0]
	v_mov_b32_e32 v163, v159
	ds_load_2addr_b64 v[158:161], v226 offset0:20 offset1:21
	v_pk_add_f32 v[114:115], v[114:115], v[164:165] neg_lo:[0,1] neg_hi:[0,1]
	v_pk_add_f32 v[112:113], v[112:113], v[162:163] neg_lo:[0,1] neg_hi:[0,1]
	s_wait_dscnt 0x0
	v_dual_mul_f32 v162, v159, v157 :: v_dual_mul_f32 v164, v159, v154
	s_delay_alu instid0(VALU_DEP_1) | instskip(NEXT) | instid1(VALU_DEP_2)
	v_pk_fma_f32 v[162:163], v[158:159], v[58:59], v[162:163] op_sel_hi:[1,1,0] neg_lo:[0,0,1] neg_hi:[0,0,1]
	v_pk_fma_f32 v[158:159], v[158:159], v[58:59], v[164:165] op_sel:[1,0,0] op_sel_hi:[0,1,0]
	s_delay_alu instid0(VALU_DEP_1) | instskip(SKIP_1) | instid1(VALU_DEP_2)
	v_mov_b32_e32 v163, v159
	v_pk_mul_f32 v[158:159], v[160:161], v[156:157] op_sel:[0,1]
	v_pk_add_f32 v[132:133], v[132:133], v[162:163] neg_lo:[0,1] neg_hi:[0,1]
	s_delay_alu instid0(VALU_DEP_2) | instskip(SKIP_1) | instid1(VALU_DEP_1)
	v_pk_fma_f32 v[162:163], v[160:161], v[154:155], v[158:159] op_sel:[0,0,1] op_sel_hi:[1,1,0] neg_lo:[0,0,1] neg_hi:[0,0,1]
	v_pk_fma_f32 v[158:159], v[160:161], v[154:155], v[158:159] op_sel:[0,0,1] op_sel_hi:[1,0,0]
	v_mov_b32_e32 v163, v159
	ds_load_2addr_b64 v[158:161], v226 offset0:22 offset1:23
	v_pk_add_f32 v[102:103], v[102:103], v[162:163] neg_lo:[0,1] neg_hi:[0,1]
	s_wait_dscnt 0x0
	v_pk_mul_f32 v[162:163], v[158:159], v[156:157] op_sel:[0,1]
	s_delay_alu instid0(VALU_DEP_1) | instskip(SKIP_1) | instid1(VALU_DEP_1)
	v_pk_fma_f32 v[164:165], v[158:159], v[154:155], v[162:163] op_sel:[0,0,1] op_sel_hi:[1,1,0] neg_lo:[0,0,1] neg_hi:[0,0,1]
	v_pk_fma_f32 v[158:159], v[158:159], v[154:155], v[162:163] op_sel:[0,0,1] op_sel_hi:[1,0,0]
	v_mov_b32_e32 v165, v159
	v_pk_mul_f32 v[158:159], v[160:161], v[156:157] op_sel:[0,1]
	s_delay_alu instid0(VALU_DEP_2) | instskip(NEXT) | instid1(VALU_DEP_2)
	v_pk_add_f32 v[130:131], v[130:131], v[164:165] neg_lo:[0,1] neg_hi:[0,1]
	v_pk_fma_f32 v[162:163], v[160:161], v[154:155], v[158:159] op_sel:[0,0,1] op_sel_hi:[1,1,0] neg_lo:[0,0,1] neg_hi:[0,0,1]
	v_pk_fma_f32 v[158:159], v[160:161], v[154:155], v[158:159] op_sel:[0,0,1] op_sel_hi:[1,0,0]
	s_delay_alu instid0(VALU_DEP_1) | instskip(SKIP_4) | instid1(VALU_DEP_1)
	v_mov_b32_e32 v163, v159
	ds_load_2addr_b64 v[158:161], v226 offset0:24 offset1:25
	v_pk_add_f32 v[128:129], v[128:129], v[162:163] neg_lo:[0,1] neg_hi:[0,1]
	s_wait_dscnt 0x0
	v_pk_mul_f32 v[162:163], v[158:159], v[156:157] op_sel:[0,1]
	v_pk_fma_f32 v[164:165], v[158:159], v[154:155], v[162:163] op_sel:[0,0,1] op_sel_hi:[1,1,0] neg_lo:[0,0,1] neg_hi:[0,0,1]
	v_pk_fma_f32 v[158:159], v[158:159], v[154:155], v[162:163] op_sel:[0,0,1] op_sel_hi:[1,0,0]
	v_dual_mul_f32 v162, v161, v157 :: v_dual_mov_b32 v158, v161
	s_delay_alu instid0(VALU_DEP_2) | instskip(NEXT) | instid1(VALU_DEP_2)
	v_dual_mov_b32 v165, v159 :: v_dual_mov_b32 v159, v160
	v_pk_fma_f32 v[162:163], v[160:161], v[58:59], v[162:163] op_sel_hi:[1,1,0] neg_lo:[0,0,1] neg_hi:[0,0,1]
	v_mul_f32_e32 v160, v161, v154
	s_delay_alu instid0(VALU_DEP_3) | instskip(NEXT) | instid1(VALU_DEP_2)
	v_pk_add_f32 v[144:145], v[144:145], v[164:165] neg_lo:[0,1] neg_hi:[0,1]
	v_pk_fma_f32 v[158:159], v[158:159], v[58:59], v[160:161] op_sel_hi:[1,1,0]
	s_delay_alu instid0(VALU_DEP_1) | instskip(SKIP_4) | instid1(VALU_DEP_1)
	v_mov_b32_e32 v163, v159
	ds_load_2addr_b64 v[158:161], v226 offset0:26 offset1:27
	v_pk_add_f32 v[148:149], v[148:149], v[162:163] neg_lo:[0,1] neg_hi:[0,1]
	s_wait_dscnt 0x0
	v_pk_mul_f32 v[162:163], v[158:159], v[156:157] op_sel:[0,1]
	v_pk_fma_f32 v[164:165], v[158:159], v[154:155], v[162:163] op_sel:[0,0,1] op_sel_hi:[1,1,0] neg_lo:[0,0,1] neg_hi:[0,0,1]
	v_pk_fma_f32 v[158:159], v[158:159], v[154:155], v[162:163] op_sel:[0,0,1] op_sel_hi:[1,0,0]
	s_delay_alu instid0(VALU_DEP_1) | instskip(SKIP_1) | instid1(VALU_DEP_1)
	v_mov_b32_e32 v165, v159
	v_pk_mul_f32 v[158:159], v[160:161], v[156:157] op_sel:[0,1]
	v_pk_fma_f32 v[162:163], v[160:161], v[154:155], v[158:159] op_sel:[0,0,1] op_sel_hi:[1,1,0] neg_lo:[0,0,1] neg_hi:[0,0,1]
	v_pk_fma_f32 v[158:159], v[160:161], v[154:155], v[158:159] op_sel:[0,0,1] op_sel_hi:[1,0,0]
	s_delay_alu instid0(VALU_DEP_1)
	v_mov_b32_e32 v163, v159
	ds_load_2addr_b64 v[158:161], v226 offset0:28 offset1:29
	v_pk_add_f32 v[142:143], v[142:143], v[164:165] neg_lo:[0,1] neg_hi:[0,1]
	v_pk_add_f32 v[140:141], v[140:141], v[162:163] neg_lo:[0,1] neg_hi:[0,1]
	s_wait_dscnt 0x0
	v_pk_mul_f32 v[162:163], v[158:159], v[156:157] op_sel:[0,1]
	s_delay_alu instid0(VALU_DEP_1) | instskip(SKIP_1) | instid1(VALU_DEP_1)
	v_pk_fma_f32 v[164:165], v[158:159], v[154:155], v[162:163] op_sel:[0,0,1] op_sel_hi:[1,1,0] neg_lo:[0,0,1] neg_hi:[0,0,1]
	v_pk_fma_f32 v[158:159], v[158:159], v[154:155], v[162:163] op_sel:[0,0,1] op_sel_hi:[1,0,0]
	v_mov_b32_e32 v165, v159
	v_pk_mul_f32 v[158:159], v[160:161], v[156:157] op_sel:[0,1]
	s_delay_alu instid0(VALU_DEP_1) | instskip(SKIP_1) | instid1(VALU_DEP_1)
	v_pk_fma_f32 v[162:163], v[160:161], v[154:155], v[158:159] op_sel:[0,0,1] op_sel_hi:[1,1,0] neg_lo:[0,0,1] neg_hi:[0,0,1]
	v_pk_fma_f32 v[158:159], v[160:161], v[154:155], v[158:159] op_sel:[0,0,1] op_sel_hi:[1,0,0]
	v_mov_b32_e32 v163, v159
	ds_load_2addr_b64 v[158:161], v226 offset0:30 offset1:31
	v_pk_add_f32 v[126:127], v[126:127], v[164:165] neg_lo:[0,1] neg_hi:[0,1]
	v_pk_add_f32 v[120:121], v[120:121], v[162:163] neg_lo:[0,1] neg_hi:[0,1]
	s_wait_dscnt 0x0
	v_dual_mul_f32 v162, v159, v157 :: v_dual_mul_f32 v164, v159, v154
	s_delay_alu instid0(VALU_DEP_1) | instskip(NEXT) | instid1(VALU_DEP_2)
	v_pk_fma_f32 v[162:163], v[158:159], v[58:59], v[162:163] op_sel_hi:[1,1,0] neg_lo:[0,0,1] neg_hi:[0,0,1]
	v_pk_fma_f32 v[158:159], v[158:159], v[58:59], v[164:165] op_sel:[1,0,0] op_sel_hi:[0,1,0]
	s_delay_alu instid0(VALU_DEP_1) | instskip(SKIP_1) | instid1(VALU_DEP_2)
	v_mov_b32_e32 v163, v159
	v_pk_mul_f32 v[158:159], v[160:161], v[156:157] op_sel:[0,1]
	v_pk_add_f32 v[124:125], v[124:125], v[162:163] neg_lo:[0,1] neg_hi:[0,1]
	s_delay_alu instid0(VALU_DEP_2) | instskip(SKIP_1) | instid1(VALU_DEP_1)
	v_pk_fma_f32 v[162:163], v[160:161], v[154:155], v[158:159] op_sel:[0,0,1] op_sel_hi:[1,1,0] neg_lo:[0,0,1] neg_hi:[0,0,1]
	v_pk_fma_f32 v[158:159], v[160:161], v[154:155], v[158:159] op_sel:[0,0,1] op_sel_hi:[1,0,0]
	v_mov_b32_e32 v163, v159
	ds_load_2addr_b64 v[158:161], v226 offset0:32 offset1:33
	v_pk_add_f32 v[118:119], v[118:119], v[162:163] neg_lo:[0,1] neg_hi:[0,1]
	s_wait_dscnt 0x0
	v_pk_mul_f32 v[162:163], v[158:159], v[156:157] op_sel:[0,1]
	s_delay_alu instid0(VALU_DEP_1) | instskip(SKIP_1) | instid1(VALU_DEP_1)
	v_pk_fma_f32 v[164:165], v[158:159], v[154:155], v[162:163] op_sel:[0,0,1] op_sel_hi:[1,1,0] neg_lo:[0,0,1] neg_hi:[0,0,1]
	v_pk_fma_f32 v[158:159], v[158:159], v[154:155], v[162:163] op_sel:[0,0,1] op_sel_hi:[1,0,0]
	v_mov_b32_e32 v165, v159
	v_pk_mul_f32 v[158:159], v[160:161], v[156:157] op_sel:[0,1]
	s_delay_alu instid0(VALU_DEP_2) | instskip(NEXT) | instid1(VALU_DEP_2)
	v_pk_add_f32 v[122:123], v[122:123], v[164:165] neg_lo:[0,1] neg_hi:[0,1]
	v_pk_fma_f32 v[162:163], v[160:161], v[154:155], v[158:159] op_sel:[0,0,1] op_sel_hi:[1,1,0] neg_lo:[0,0,1] neg_hi:[0,0,1]
	v_pk_fma_f32 v[158:159], v[160:161], v[154:155], v[158:159] op_sel:[0,0,1] op_sel_hi:[1,0,0]
	s_delay_alu instid0(VALU_DEP_1) | instskip(SKIP_4) | instid1(VALU_DEP_1)
	v_mov_b32_e32 v163, v159
	ds_load_2addr_b64 v[158:161], v226 offset0:34 offset1:35
	v_pk_add_f32 v[138:139], v[138:139], v[162:163] neg_lo:[0,1] neg_hi:[0,1]
	s_wait_dscnt 0x0
	v_pk_mul_f32 v[162:163], v[158:159], v[156:157] op_sel:[0,1]
	v_pk_fma_f32 v[164:165], v[158:159], v[154:155], v[162:163] op_sel:[0,0,1] op_sel_hi:[1,1,0] neg_lo:[0,0,1] neg_hi:[0,0,1]
	v_pk_fma_f32 v[158:159], v[158:159], v[154:155], v[162:163] op_sel:[0,0,1] op_sel_hi:[1,0,0]
	v_dual_mul_f32 v162, v161, v157 :: v_dual_mov_b32 v158, v161
	s_delay_alu instid0(VALU_DEP_2) | instskip(NEXT) | instid1(VALU_DEP_2)
	v_dual_mov_b32 v165, v159 :: v_dual_mov_b32 v159, v160
	v_pk_fma_f32 v[162:163], v[160:161], v[58:59], v[162:163] op_sel_hi:[1,1,0] neg_lo:[0,0,1] neg_hi:[0,0,1]
	v_mul_f32_e32 v160, v161, v154
	s_delay_alu instid0(VALU_DEP_3) | instskip(NEXT) | instid1(VALU_DEP_2)
	v_pk_add_f32 v[136:137], v[136:137], v[164:165] neg_lo:[0,1] neg_hi:[0,1]
	v_pk_fma_f32 v[158:159], v[158:159], v[58:59], v[160:161] op_sel_hi:[1,1,0]
	s_delay_alu instid0(VALU_DEP_1) | instskip(SKIP_4) | instid1(VALU_DEP_1)
	v_mov_b32_e32 v163, v159
	ds_load_b64 v[158:159], v226 offset:288
	v_pk_add_f32 v[134:135], v[134:135], v[162:163] neg_lo:[0,1] neg_hi:[0,1]
	s_wait_dscnt 0x0
	v_pk_mul_f32 v[156:157], v[158:159], v[156:157] op_sel:[0,1]
	v_pk_fma_f32 v[160:161], v[158:159], v[154:155], v[156:157] op_sel:[0,0,1] op_sel_hi:[1,1,0] neg_lo:[0,0,1] neg_hi:[0,0,1]
	v_pk_fma_f32 v[154:155], v[158:159], v[154:155], v[156:157] op_sel:[0,0,1] op_sel_hi:[1,0,0]
	s_delay_alu instid0(VALU_DEP_1) | instskip(NEXT) | instid1(VALU_DEP_1)
	v_mov_b32_e32 v161, v155
	v_pk_add_f32 v[146:147], v[146:147], v[160:161] neg_lo:[0,1] neg_hi:[0,1]
.LBB73_19:
	s_or_b32 exec_lo, exec_lo, s1
	s_delay_alu instid0(SALU_CYCLE_1)
	s_mov_b32 s2, exec_lo
	s_wait_dscnt 0x0
	s_barrier_signal -1
	s_barrier_wait -1
	v_cmpx_eq_u32_e32 2, v224
	s_cbranch_execz .LBB73_26
; %bb.20:
	ds_store_b64 v225, v[48:49]
	ds_store_2addr_b64 v226, v[46:47], v[28:29] offset0:3 offset1:4
	ds_store_2addr_b64 v226, v[24:25], v[26:27] offset0:5 offset1:6
	;; [unrolled: 1-line block ×17, first 2 shown]
	ds_load_b64 v[154:155], v225
	s_wait_dscnt 0x0
	v_cmp_neq_f32_e32 vcc_lo, 0, v154
	v_cmp_neq_f32_e64 s1, 0, v155
	s_or_b32 s1, vcc_lo, s1
	s_delay_alu instid0(SALU_CYCLE_1)
	s_and_b32 exec_lo, exec_lo, s1
	s_cbranch_execz .LBB73_26
; %bb.21:
	v_cmp_ngt_f32_e64 s1, |v154|, |v155|
                                        ; implicit-def: $vgpr156_vgpr157
	s_and_saveexec_b32 s4, s1
	s_delay_alu instid0(SALU_CYCLE_1)
	s_xor_b32 s1, exec_lo, s4
	s_cbranch_execz .LBB73_23
; %bb.22:
	v_div_scale_f32 v156, null, v155, v155, v154
	v_div_scale_f32 v159, vcc_lo, v154, v155, v154
	s_delay_alu instid0(VALU_DEP_2) | instskip(SKIP_1) | instid1(TRANS32_DEP_1)
	v_rcp_f32_e32 v157, v156
	v_nop
	v_fma_f32 v158, -v156, v157, 1.0
	s_delay_alu instid0(VALU_DEP_1) | instskip(NEXT) | instid1(VALU_DEP_1)
	v_fmac_f32_e32 v157, v158, v157
	v_mul_f32_e32 v158, v159, v157
	s_delay_alu instid0(VALU_DEP_1) | instskip(NEXT) | instid1(VALU_DEP_1)
	v_fma_f32 v160, -v156, v158, v159
	v_fmac_f32_e32 v158, v160, v157
	s_delay_alu instid0(VALU_DEP_1) | instskip(NEXT) | instid1(VALU_DEP_1)
	v_fma_f32 v156, -v156, v158, v159
	v_div_fmas_f32 v156, v156, v157, v158
	s_delay_alu instid0(VALU_DEP_1) | instskip(NEXT) | instid1(VALU_DEP_1)
	v_div_fixup_f32 v156, v156, v155, v154
	v_fmac_f32_e32 v155, v154, v156
	s_delay_alu instid0(VALU_DEP_1) | instskip(SKIP_1) | instid1(VALU_DEP_2)
	v_div_scale_f32 v154, null, v155, v155, 1.0
	v_div_scale_f32 v159, vcc_lo, 1.0, v155, 1.0
	v_rcp_f32_e32 v157, v154
	v_nop
	s_delay_alu instid0(TRANS32_DEP_1) | instskip(NEXT) | instid1(VALU_DEP_1)
	v_fma_f32 v158, -v154, v157, 1.0
	v_fmac_f32_e32 v157, v158, v157
	s_delay_alu instid0(VALU_DEP_1) | instskip(NEXT) | instid1(VALU_DEP_1)
	v_mul_f32_e32 v158, v159, v157
	v_fma_f32 v160, -v154, v158, v159
	s_delay_alu instid0(VALU_DEP_1) | instskip(NEXT) | instid1(VALU_DEP_1)
	v_fmac_f32_e32 v158, v160, v157
	v_fma_f32 v154, -v154, v158, v159
	s_delay_alu instid0(VALU_DEP_1) | instskip(NEXT) | instid1(VALU_DEP_1)
	v_div_fmas_f32 v154, v154, v157, v158
	v_div_fixup_f32 v154, v154, v155, 1.0
	s_delay_alu instid0(VALU_DEP_1)
	v_mul_f32_e32 v156, v156, v154
	v_xor_b32_e32 v157, 0x80000000, v154
                                        ; implicit-def: $vgpr154_vgpr155
.LBB73_23:
	s_and_not1_saveexec_b32 s1, s1
	s_cbranch_execz .LBB73_25
; %bb.24:
	v_div_scale_f32 v156, null, v154, v154, v155
	v_div_scale_f32 v159, vcc_lo, v155, v154, v155
	s_delay_alu instid0(VALU_DEP_2) | instskip(SKIP_1) | instid1(TRANS32_DEP_1)
	v_rcp_f32_e32 v157, v156
	v_nop
	v_fma_f32 v158, -v156, v157, 1.0
	s_delay_alu instid0(VALU_DEP_1) | instskip(NEXT) | instid1(VALU_DEP_1)
	v_fmac_f32_e32 v157, v158, v157
	v_mul_f32_e32 v158, v159, v157
	s_delay_alu instid0(VALU_DEP_1) | instskip(NEXT) | instid1(VALU_DEP_1)
	v_fma_f32 v160, -v156, v158, v159
	v_fmac_f32_e32 v158, v160, v157
	s_delay_alu instid0(VALU_DEP_1) | instskip(NEXT) | instid1(VALU_DEP_1)
	v_fma_f32 v156, -v156, v158, v159
	v_div_fmas_f32 v156, v156, v157, v158
	s_delay_alu instid0(VALU_DEP_1) | instskip(NEXT) | instid1(VALU_DEP_1)
	v_div_fixup_f32 v157, v156, v154, v155
	v_fmac_f32_e32 v154, v155, v157
	s_delay_alu instid0(VALU_DEP_1) | instskip(NEXT) | instid1(VALU_DEP_1)
	v_div_scale_f32 v155, null, v154, v154, 1.0
	v_rcp_f32_e32 v156, v155
	v_nop
	s_delay_alu instid0(TRANS32_DEP_1) | instskip(NEXT) | instid1(VALU_DEP_1)
	v_fma_f32 v158, -v155, v156, 1.0
	v_fmac_f32_e32 v156, v158, v156
	v_div_scale_f32 v158, vcc_lo, 1.0, v154, 1.0
	s_delay_alu instid0(VALU_DEP_1) | instskip(NEXT) | instid1(VALU_DEP_1)
	v_mul_f32_e32 v159, v158, v156
	v_fma_f32 v160, -v155, v159, v158
	s_delay_alu instid0(VALU_DEP_1) | instskip(NEXT) | instid1(VALU_DEP_1)
	v_fmac_f32_e32 v159, v160, v156
	v_fma_f32 v155, -v155, v159, v158
	s_delay_alu instid0(VALU_DEP_1) | instskip(NEXT) | instid1(VALU_DEP_1)
	v_div_fmas_f32 v155, v155, v156, v159
	v_div_fixup_f32 v156, v155, v154, 1.0
	s_delay_alu instid0(VALU_DEP_1)
	v_mul_f32_e64 v157, v157, -v156
.LBB73_25:
	s_or_b32 exec_lo, exec_lo, s1
	ds_store_b64 v225, v[156:157]
.LBB73_26:
	s_or_b32 exec_lo, exec_lo, s2
	s_wait_dscnt 0x0
	s_barrier_signal -1
	s_barrier_wait -1
	ds_load_b64 v[154:155], v225
	s_mov_b32 s1, exec_lo
	v_cmpx_lt_u32_e32 2, v224
	s_cbranch_execz .LBB73_28
; %bb.27:
	ds_load_2addr_b64 v[160:163], v226 offset0:3 offset1:4
	s_wait_dscnt 0x1
	v_pk_mul_f32 v[158:159], v[154:155], v[48:49] op_sel:[1,1] op_sel_hi:[0,1]
	s_delay_alu instid0(VALU_DEP_1) | instskip(SKIP_1) | instid1(VALU_DEP_1)
	v_pk_fma_f32 v[156:157], v[154:155], v[48:49], v[158:159] op_sel_hi:[1,0,1] neg_lo:[0,0,1] neg_hi:[0,0,1]
	v_pk_fma_f32 v[158:159], v[154:155], v[48:49], v[158:159] op_sel_hi:[1,0,1]
	v_dual_mov_b32 v48, v156 :: v_dual_mov_b32 v49, v159
	s_wait_dscnt 0x0
	s_delay_alu instid0(VALU_DEP_2) | instskip(NEXT) | instid1(VALU_DEP_1)
	v_pk_mul_f32 v[164:165], v[160:161], v[158:159] op_sel:[0,1]
	v_pk_fma_f32 v[166:167], v[160:161], v[156:157], v[164:165] op_sel:[0,0,1] op_sel_hi:[1,1,0] neg_lo:[0,0,1] neg_hi:[0,0,1]
	v_pk_fma_f32 v[160:161], v[160:161], v[156:157], v[164:165] op_sel:[0,0,1] op_sel_hi:[1,0,0]
	s_delay_alu instid0(VALU_DEP_1) | instskip(SKIP_1) | instid1(VALU_DEP_1)
	v_mov_b32_e32 v167, v161
	v_pk_mul_f32 v[160:161], v[162:163], v[158:159] op_sel:[0,1]
	v_pk_fma_f32 v[164:165], v[162:163], v[156:157], v[160:161] op_sel:[0,0,1] op_sel_hi:[1,1,0] neg_lo:[0,0,1] neg_hi:[0,0,1]
	v_pk_fma_f32 v[160:161], v[162:163], v[156:157], v[160:161] op_sel:[0,0,1] op_sel_hi:[1,0,0]
	s_delay_alu instid0(VALU_DEP_1)
	v_mov_b32_e32 v165, v161
	ds_load_2addr_b64 v[160:163], v226 offset0:5 offset1:6
	v_pk_add_f32 v[46:47], v[46:47], v[166:167] neg_lo:[0,1] neg_hi:[0,1]
	v_pk_add_f32 v[28:29], v[28:29], v[164:165] neg_lo:[0,1] neg_hi:[0,1]
	s_wait_dscnt 0x0
	v_pk_mul_f32 v[164:165], v[160:161], v[158:159] op_sel:[0,1]
	s_delay_alu instid0(VALU_DEP_1) | instskip(SKIP_2) | instid1(VALU_DEP_2)
	v_pk_fma_f32 v[166:167], v[160:161], v[156:157], v[164:165] op_sel:[0,0,1] op_sel_hi:[1,1,0] neg_lo:[0,0,1] neg_hi:[0,0,1]
	v_pk_fma_f32 v[160:161], v[160:161], v[156:157], v[164:165] op_sel:[0,0,1] op_sel_hi:[1,0,0]
	v_dual_mul_f32 v164, v163, v159 :: v_dual_mov_b32 v160, v163
	v_dual_mov_b32 v167, v161 :: v_dual_mov_b32 v161, v162
	s_delay_alu instid0(VALU_DEP_2) | instskip(SKIP_1) | instid1(VALU_DEP_3)
	v_pk_fma_f32 v[164:165], v[162:163], v[48:49], v[164:165] op_sel_hi:[1,1,0] neg_lo:[0,0,1] neg_hi:[0,0,1]
	v_mul_f32_e32 v162, v163, v156
	v_pk_add_f32 v[24:25], v[24:25], v[166:167] neg_lo:[0,1] neg_hi:[0,1]
	s_delay_alu instid0(VALU_DEP_2) | instskip(NEXT) | instid1(VALU_DEP_1)
	v_pk_fma_f32 v[160:161], v[160:161], v[48:49], v[162:163] op_sel_hi:[1,1,0]
	v_mov_b32_e32 v165, v161
	ds_load_2addr_b64 v[160:163], v226 offset0:7 offset1:8
	v_pk_add_f32 v[26:27], v[26:27], v[164:165] neg_lo:[0,1] neg_hi:[0,1]
	s_wait_dscnt 0x0
	v_pk_mul_f32 v[164:165], v[160:161], v[158:159] op_sel:[0,1]
	s_delay_alu instid0(VALU_DEP_1) | instskip(SKIP_1) | instid1(VALU_DEP_1)
	v_pk_fma_f32 v[166:167], v[160:161], v[156:157], v[164:165] op_sel:[0,0,1] op_sel_hi:[1,1,0] neg_lo:[0,0,1] neg_hi:[0,0,1]
	v_pk_fma_f32 v[160:161], v[160:161], v[156:157], v[164:165] op_sel:[0,0,1] op_sel_hi:[1,0,0]
	v_mov_b32_e32 v167, v161
	v_pk_mul_f32 v[160:161], v[162:163], v[158:159] op_sel:[0,1]
	s_delay_alu instid0(VALU_DEP_1) | instskip(SKIP_1) | instid1(VALU_DEP_1)
	v_pk_fma_f32 v[164:165], v[162:163], v[156:157], v[160:161] op_sel:[0,0,1] op_sel_hi:[1,1,0] neg_lo:[0,0,1] neg_hi:[0,0,1]
	v_pk_fma_f32 v[160:161], v[162:163], v[156:157], v[160:161] op_sel:[0,0,1] op_sel_hi:[1,0,0]
	v_mov_b32_e32 v165, v161
	ds_load_2addr_b64 v[160:163], v226 offset0:9 offset1:10
	v_pk_add_f32 v[22:23], v[22:23], v[166:167] neg_lo:[0,1] neg_hi:[0,1]
	v_pk_add_f32 v[42:43], v[42:43], v[164:165] neg_lo:[0,1] neg_hi:[0,1]
	s_wait_dscnt 0x0
	v_pk_mul_f32 v[164:165], v[160:161], v[158:159] op_sel:[0,1]
	s_delay_alu instid0(VALU_DEP_1) | instskip(SKIP_1) | instid1(VALU_DEP_1)
	v_pk_fma_f32 v[166:167], v[160:161], v[156:157], v[164:165] op_sel:[0,0,1] op_sel_hi:[1,1,0] neg_lo:[0,0,1] neg_hi:[0,0,1]
	v_pk_fma_f32 v[160:161], v[160:161], v[156:157], v[164:165] op_sel:[0,0,1] op_sel_hi:[1,0,0]
	v_mov_b32_e32 v167, v161
	v_pk_mul_f32 v[160:161], v[162:163], v[158:159] op_sel:[0,1]
	s_delay_alu instid0(VALU_DEP_1) | instskip(SKIP_1) | instid1(VALU_DEP_1)
	v_pk_fma_f32 v[164:165], v[162:163], v[156:157], v[160:161] op_sel:[0,0,1] op_sel_hi:[1,1,0] neg_lo:[0,0,1] neg_hi:[0,0,1]
	v_pk_fma_f32 v[160:161], v[162:163], v[156:157], v[160:161] op_sel:[0,0,1] op_sel_hi:[1,0,0]
	v_mov_b32_e32 v165, v161
	ds_load_2addr_b64 v[160:163], v226 offset0:11 offset1:12
	v_pk_add_f32 v[38:39], v[38:39], v[166:167] neg_lo:[0,1] neg_hi:[0,1]
	v_pk_add_f32 v[40:41], v[40:41], v[164:165] neg_lo:[0,1] neg_hi:[0,1]
	s_wait_dscnt 0x0
	v_dual_mul_f32 v164, v161, v159 :: v_dual_mul_f32 v166, v161, v156
	s_delay_alu instid0(VALU_DEP_1) | instskip(NEXT) | instid1(VALU_DEP_2)
	v_pk_fma_f32 v[164:165], v[160:161], v[48:49], v[164:165] op_sel_hi:[1,1,0] neg_lo:[0,0,1] neg_hi:[0,0,1]
	v_pk_fma_f32 v[160:161], v[160:161], v[48:49], v[166:167] op_sel:[1,0,0] op_sel_hi:[0,1,0]
	s_delay_alu instid0(VALU_DEP_1) | instskip(SKIP_1) | instid1(VALU_DEP_2)
	v_mov_b32_e32 v165, v161
	v_pk_mul_f32 v[160:161], v[162:163], v[158:159] op_sel:[0,1]
	v_pk_add_f32 v[36:37], v[36:37], v[164:165] neg_lo:[0,1] neg_hi:[0,1]
	s_delay_alu instid0(VALU_DEP_2) | instskip(SKIP_1) | instid1(VALU_DEP_1)
	v_pk_fma_f32 v[164:165], v[162:163], v[156:157], v[160:161] op_sel:[0,0,1] op_sel_hi:[1,1,0] neg_lo:[0,0,1] neg_hi:[0,0,1]
	v_pk_fma_f32 v[160:161], v[162:163], v[156:157], v[160:161] op_sel:[0,0,1] op_sel_hi:[1,0,0]
	v_mov_b32_e32 v165, v161
	ds_load_2addr_b64 v[160:163], v226 offset0:13 offset1:14
	v_pk_add_f32 v[60:61], v[60:61], v[164:165] neg_lo:[0,1] neg_hi:[0,1]
	s_wait_dscnt 0x0
	v_pk_mul_f32 v[164:165], v[160:161], v[158:159] op_sel:[0,1]
	s_delay_alu instid0(VALU_DEP_1) | instskip(SKIP_1) | instid1(VALU_DEP_1)
	v_pk_fma_f32 v[166:167], v[160:161], v[156:157], v[164:165] op_sel:[0,0,1] op_sel_hi:[1,1,0] neg_lo:[0,0,1] neg_hi:[0,0,1]
	v_pk_fma_f32 v[160:161], v[160:161], v[156:157], v[164:165] op_sel:[0,0,1] op_sel_hi:[1,0,0]
	v_mov_b32_e32 v167, v161
	v_pk_mul_f32 v[160:161], v[162:163], v[158:159] op_sel:[0,1]
	s_delay_alu instid0(VALU_DEP_2) | instskip(NEXT) | instid1(VALU_DEP_2)
	v_pk_add_f32 v[78:79], v[78:79], v[166:167] neg_lo:[0,1] neg_hi:[0,1]
	v_pk_fma_f32 v[164:165], v[162:163], v[156:157], v[160:161] op_sel:[0,0,1] op_sel_hi:[1,1,0] neg_lo:[0,0,1] neg_hi:[0,0,1]
	v_pk_fma_f32 v[160:161], v[162:163], v[156:157], v[160:161] op_sel:[0,0,1] op_sel_hi:[1,0,0]
	s_delay_alu instid0(VALU_DEP_1) | instskip(SKIP_4) | instid1(VALU_DEP_1)
	v_mov_b32_e32 v165, v161
	ds_load_2addr_b64 v[160:163], v226 offset0:15 offset1:16
	v_pk_add_f32 v[92:93], v[92:93], v[164:165] neg_lo:[0,1] neg_hi:[0,1]
	s_wait_dscnt 0x0
	v_pk_mul_f32 v[164:165], v[160:161], v[158:159] op_sel:[0,1]
	v_pk_fma_f32 v[166:167], v[160:161], v[156:157], v[164:165] op_sel:[0,0,1] op_sel_hi:[1,1,0] neg_lo:[0,0,1] neg_hi:[0,0,1]
	v_pk_fma_f32 v[160:161], v[160:161], v[156:157], v[164:165] op_sel:[0,0,1] op_sel_hi:[1,0,0]
	v_dual_mul_f32 v164, v163, v159 :: v_dual_mov_b32 v160, v163
	s_delay_alu instid0(VALU_DEP_2) | instskip(NEXT) | instid1(VALU_DEP_2)
	v_dual_mov_b32 v167, v161 :: v_dual_mov_b32 v161, v162
	v_pk_fma_f32 v[164:165], v[162:163], v[48:49], v[164:165] op_sel_hi:[1,1,0] neg_lo:[0,0,1] neg_hi:[0,0,1]
	v_mul_f32_e32 v162, v163, v156
	s_delay_alu instid0(VALU_DEP_3) | instskip(NEXT) | instid1(VALU_DEP_2)
	v_pk_add_f32 v[90:91], v[90:91], v[166:167] neg_lo:[0,1] neg_hi:[0,1]
	v_pk_fma_f32 v[160:161], v[160:161], v[48:49], v[162:163] op_sel_hi:[1,1,0]
	s_delay_alu instid0(VALU_DEP_1) | instskip(SKIP_4) | instid1(VALU_DEP_1)
	v_mov_b32_e32 v165, v161
	ds_load_2addr_b64 v[160:163], v226 offset0:17 offset1:18
	v_pk_add_f32 v[116:117], v[116:117], v[164:165] neg_lo:[0,1] neg_hi:[0,1]
	s_wait_dscnt 0x0
	v_pk_mul_f32 v[164:165], v[160:161], v[158:159] op_sel:[0,1]
	v_pk_fma_f32 v[166:167], v[160:161], v[156:157], v[164:165] op_sel:[0,0,1] op_sel_hi:[1,1,0] neg_lo:[0,0,1] neg_hi:[0,0,1]
	v_pk_fma_f32 v[160:161], v[160:161], v[156:157], v[164:165] op_sel:[0,0,1] op_sel_hi:[1,0,0]
	s_delay_alu instid0(VALU_DEP_1) | instskip(SKIP_1) | instid1(VALU_DEP_1)
	v_mov_b32_e32 v167, v161
	v_pk_mul_f32 v[160:161], v[162:163], v[158:159] op_sel:[0,1]
	v_pk_fma_f32 v[164:165], v[162:163], v[156:157], v[160:161] op_sel:[0,0,1] op_sel_hi:[1,1,0] neg_lo:[0,0,1] neg_hi:[0,0,1]
	v_pk_fma_f32 v[160:161], v[162:163], v[156:157], v[160:161] op_sel:[0,0,1] op_sel_hi:[1,0,0]
	s_delay_alu instid0(VALU_DEP_1)
	v_mov_b32_e32 v165, v161
	ds_load_2addr_b64 v[160:163], v226 offset0:19 offset1:20
	v_pk_add_f32 v[88:89], v[88:89], v[166:167] neg_lo:[0,1] neg_hi:[0,1]
	v_pk_add_f32 v[114:115], v[114:115], v[164:165] neg_lo:[0,1] neg_hi:[0,1]
	s_wait_dscnt 0x0
	v_pk_mul_f32 v[164:165], v[160:161], v[158:159] op_sel:[0,1]
	s_delay_alu instid0(VALU_DEP_1) | instskip(SKIP_1) | instid1(VALU_DEP_1)
	v_pk_fma_f32 v[166:167], v[160:161], v[156:157], v[164:165] op_sel:[0,0,1] op_sel_hi:[1,1,0] neg_lo:[0,0,1] neg_hi:[0,0,1]
	v_pk_fma_f32 v[160:161], v[160:161], v[156:157], v[164:165] op_sel:[0,0,1] op_sel_hi:[1,0,0]
	v_mov_b32_e32 v167, v161
	v_pk_mul_f32 v[160:161], v[162:163], v[158:159] op_sel:[0,1]
	s_delay_alu instid0(VALU_DEP_1) | instskip(SKIP_1) | instid1(VALU_DEP_1)
	v_pk_fma_f32 v[164:165], v[162:163], v[156:157], v[160:161] op_sel:[0,0,1] op_sel_hi:[1,1,0] neg_lo:[0,0,1] neg_hi:[0,0,1]
	v_pk_fma_f32 v[160:161], v[162:163], v[156:157], v[160:161] op_sel:[0,0,1] op_sel_hi:[1,0,0]
	v_mov_b32_e32 v165, v161
	ds_load_2addr_b64 v[160:163], v226 offset0:21 offset1:22
	v_pk_add_f32 v[112:113], v[112:113], v[166:167] neg_lo:[0,1] neg_hi:[0,1]
	v_pk_add_f32 v[132:133], v[132:133], v[164:165] neg_lo:[0,1] neg_hi:[0,1]
	s_wait_dscnt 0x0
	v_dual_mul_f32 v164, v161, v159 :: v_dual_mul_f32 v166, v161, v156
	s_delay_alu instid0(VALU_DEP_1) | instskip(NEXT) | instid1(VALU_DEP_2)
	v_pk_fma_f32 v[164:165], v[160:161], v[48:49], v[164:165] op_sel_hi:[1,1,0] neg_lo:[0,0,1] neg_hi:[0,0,1]
	v_pk_fma_f32 v[160:161], v[160:161], v[48:49], v[166:167] op_sel:[1,0,0] op_sel_hi:[0,1,0]
	s_delay_alu instid0(VALU_DEP_1) | instskip(SKIP_1) | instid1(VALU_DEP_2)
	v_mov_b32_e32 v165, v161
	v_pk_mul_f32 v[160:161], v[162:163], v[158:159] op_sel:[0,1]
	v_pk_add_f32 v[102:103], v[102:103], v[164:165] neg_lo:[0,1] neg_hi:[0,1]
	s_delay_alu instid0(VALU_DEP_2) | instskip(SKIP_1) | instid1(VALU_DEP_1)
	v_pk_fma_f32 v[164:165], v[162:163], v[156:157], v[160:161] op_sel:[0,0,1] op_sel_hi:[1,1,0] neg_lo:[0,0,1] neg_hi:[0,0,1]
	v_pk_fma_f32 v[160:161], v[162:163], v[156:157], v[160:161] op_sel:[0,0,1] op_sel_hi:[1,0,0]
	v_mov_b32_e32 v165, v161
	ds_load_2addr_b64 v[160:163], v226 offset0:23 offset1:24
	v_pk_add_f32 v[130:131], v[130:131], v[164:165] neg_lo:[0,1] neg_hi:[0,1]
	s_wait_dscnt 0x0
	v_pk_mul_f32 v[164:165], v[160:161], v[158:159] op_sel:[0,1]
	s_delay_alu instid0(VALU_DEP_1) | instskip(SKIP_1) | instid1(VALU_DEP_1)
	v_pk_fma_f32 v[166:167], v[160:161], v[156:157], v[164:165] op_sel:[0,0,1] op_sel_hi:[1,1,0] neg_lo:[0,0,1] neg_hi:[0,0,1]
	v_pk_fma_f32 v[160:161], v[160:161], v[156:157], v[164:165] op_sel:[0,0,1] op_sel_hi:[1,0,0]
	v_mov_b32_e32 v167, v161
	v_pk_mul_f32 v[160:161], v[162:163], v[158:159] op_sel:[0,1]
	s_delay_alu instid0(VALU_DEP_2) | instskip(NEXT) | instid1(VALU_DEP_2)
	v_pk_add_f32 v[128:129], v[128:129], v[166:167] neg_lo:[0,1] neg_hi:[0,1]
	v_pk_fma_f32 v[164:165], v[162:163], v[156:157], v[160:161] op_sel:[0,0,1] op_sel_hi:[1,1,0] neg_lo:[0,0,1] neg_hi:[0,0,1]
	v_pk_fma_f32 v[160:161], v[162:163], v[156:157], v[160:161] op_sel:[0,0,1] op_sel_hi:[1,0,0]
	s_delay_alu instid0(VALU_DEP_1) | instskip(SKIP_4) | instid1(VALU_DEP_1)
	v_mov_b32_e32 v165, v161
	ds_load_2addr_b64 v[160:163], v226 offset0:25 offset1:26
	v_pk_add_f32 v[144:145], v[144:145], v[164:165] neg_lo:[0,1] neg_hi:[0,1]
	s_wait_dscnt 0x0
	v_pk_mul_f32 v[164:165], v[160:161], v[158:159] op_sel:[0,1]
	v_pk_fma_f32 v[166:167], v[160:161], v[156:157], v[164:165] op_sel:[0,0,1] op_sel_hi:[1,1,0] neg_lo:[0,0,1] neg_hi:[0,0,1]
	v_pk_fma_f32 v[160:161], v[160:161], v[156:157], v[164:165] op_sel:[0,0,1] op_sel_hi:[1,0,0]
	v_dual_mul_f32 v164, v163, v159 :: v_dual_mov_b32 v160, v163
	s_delay_alu instid0(VALU_DEP_2) | instskip(NEXT) | instid1(VALU_DEP_2)
	v_dual_mov_b32 v167, v161 :: v_dual_mov_b32 v161, v162
	v_pk_fma_f32 v[164:165], v[162:163], v[48:49], v[164:165] op_sel_hi:[1,1,0] neg_lo:[0,0,1] neg_hi:[0,0,1]
	v_mul_f32_e32 v162, v163, v156
	s_delay_alu instid0(VALU_DEP_3) | instskip(NEXT) | instid1(VALU_DEP_2)
	v_pk_add_f32 v[148:149], v[148:149], v[166:167] neg_lo:[0,1] neg_hi:[0,1]
	v_pk_fma_f32 v[160:161], v[160:161], v[48:49], v[162:163] op_sel_hi:[1,1,0]
	s_delay_alu instid0(VALU_DEP_1) | instskip(SKIP_4) | instid1(VALU_DEP_1)
	v_mov_b32_e32 v165, v161
	ds_load_2addr_b64 v[160:163], v226 offset0:27 offset1:28
	v_pk_add_f32 v[142:143], v[142:143], v[164:165] neg_lo:[0,1] neg_hi:[0,1]
	s_wait_dscnt 0x0
	v_pk_mul_f32 v[164:165], v[160:161], v[158:159] op_sel:[0,1]
	v_pk_fma_f32 v[166:167], v[160:161], v[156:157], v[164:165] op_sel:[0,0,1] op_sel_hi:[1,1,0] neg_lo:[0,0,1] neg_hi:[0,0,1]
	v_pk_fma_f32 v[160:161], v[160:161], v[156:157], v[164:165] op_sel:[0,0,1] op_sel_hi:[1,0,0]
	s_delay_alu instid0(VALU_DEP_1) | instskip(SKIP_1) | instid1(VALU_DEP_1)
	v_mov_b32_e32 v167, v161
	v_pk_mul_f32 v[160:161], v[162:163], v[158:159] op_sel:[0,1]
	v_pk_fma_f32 v[164:165], v[162:163], v[156:157], v[160:161] op_sel:[0,0,1] op_sel_hi:[1,1,0] neg_lo:[0,0,1] neg_hi:[0,0,1]
	v_pk_fma_f32 v[160:161], v[162:163], v[156:157], v[160:161] op_sel:[0,0,1] op_sel_hi:[1,0,0]
	s_delay_alu instid0(VALU_DEP_1)
	v_mov_b32_e32 v165, v161
	ds_load_2addr_b64 v[160:163], v226 offset0:29 offset1:30
	v_pk_add_f32 v[140:141], v[140:141], v[166:167] neg_lo:[0,1] neg_hi:[0,1]
	v_pk_add_f32 v[126:127], v[126:127], v[164:165] neg_lo:[0,1] neg_hi:[0,1]
	s_wait_dscnt 0x0
	v_pk_mul_f32 v[164:165], v[160:161], v[158:159] op_sel:[0,1]
	s_delay_alu instid0(VALU_DEP_1) | instskip(SKIP_1) | instid1(VALU_DEP_1)
	v_pk_fma_f32 v[166:167], v[160:161], v[156:157], v[164:165] op_sel:[0,0,1] op_sel_hi:[1,1,0] neg_lo:[0,0,1] neg_hi:[0,0,1]
	v_pk_fma_f32 v[160:161], v[160:161], v[156:157], v[164:165] op_sel:[0,0,1] op_sel_hi:[1,0,0]
	v_mov_b32_e32 v167, v161
	v_pk_mul_f32 v[160:161], v[162:163], v[158:159] op_sel:[0,1]
	s_delay_alu instid0(VALU_DEP_1) | instskip(SKIP_1) | instid1(VALU_DEP_1)
	v_pk_fma_f32 v[164:165], v[162:163], v[156:157], v[160:161] op_sel:[0,0,1] op_sel_hi:[1,1,0] neg_lo:[0,0,1] neg_hi:[0,0,1]
	v_pk_fma_f32 v[160:161], v[162:163], v[156:157], v[160:161] op_sel:[0,0,1] op_sel_hi:[1,0,0]
	v_mov_b32_e32 v165, v161
	ds_load_2addr_b64 v[160:163], v226 offset0:31 offset1:32
	v_pk_add_f32 v[120:121], v[120:121], v[166:167] neg_lo:[0,1] neg_hi:[0,1]
	v_pk_add_f32 v[124:125], v[124:125], v[164:165] neg_lo:[0,1] neg_hi:[0,1]
	s_wait_dscnt 0x0
	v_dual_mul_f32 v164, v161, v159 :: v_dual_mul_f32 v166, v161, v156
	s_delay_alu instid0(VALU_DEP_1) | instskip(NEXT) | instid1(VALU_DEP_2)
	v_pk_fma_f32 v[164:165], v[160:161], v[48:49], v[164:165] op_sel_hi:[1,1,0] neg_lo:[0,0,1] neg_hi:[0,0,1]
	v_pk_fma_f32 v[160:161], v[160:161], v[48:49], v[166:167] op_sel:[1,0,0] op_sel_hi:[0,1,0]
	s_delay_alu instid0(VALU_DEP_1) | instskip(SKIP_1) | instid1(VALU_DEP_2)
	v_mov_b32_e32 v165, v161
	v_pk_mul_f32 v[160:161], v[162:163], v[158:159] op_sel:[0,1]
	v_pk_add_f32 v[118:119], v[118:119], v[164:165] neg_lo:[0,1] neg_hi:[0,1]
	s_delay_alu instid0(VALU_DEP_2) | instskip(SKIP_1) | instid1(VALU_DEP_1)
	v_pk_fma_f32 v[164:165], v[162:163], v[156:157], v[160:161] op_sel:[0,0,1] op_sel_hi:[1,1,0] neg_lo:[0,0,1] neg_hi:[0,0,1]
	v_pk_fma_f32 v[160:161], v[162:163], v[156:157], v[160:161] op_sel:[0,0,1] op_sel_hi:[1,0,0]
	v_mov_b32_e32 v165, v161
	ds_load_2addr_b64 v[160:163], v226 offset0:33 offset1:34
	v_pk_add_f32 v[122:123], v[122:123], v[164:165] neg_lo:[0,1] neg_hi:[0,1]
	s_wait_dscnt 0x0
	v_pk_mul_f32 v[164:165], v[160:161], v[158:159] op_sel:[0,1]
	s_delay_alu instid0(VALU_DEP_1) | instskip(SKIP_1) | instid1(VALU_DEP_1)
	v_pk_fma_f32 v[166:167], v[160:161], v[156:157], v[164:165] op_sel:[0,0,1] op_sel_hi:[1,1,0] neg_lo:[0,0,1] neg_hi:[0,0,1]
	v_pk_fma_f32 v[160:161], v[160:161], v[156:157], v[164:165] op_sel:[0,0,1] op_sel_hi:[1,0,0]
	v_mov_b32_e32 v167, v161
	v_pk_mul_f32 v[160:161], v[162:163], v[158:159] op_sel:[0,1]
	s_delay_alu instid0(VALU_DEP_2) | instskip(NEXT) | instid1(VALU_DEP_2)
	v_pk_add_f32 v[138:139], v[138:139], v[166:167] neg_lo:[0,1] neg_hi:[0,1]
	v_pk_fma_f32 v[164:165], v[162:163], v[156:157], v[160:161] op_sel:[0,0,1] op_sel_hi:[1,1,0] neg_lo:[0,0,1] neg_hi:[0,0,1]
	v_pk_fma_f32 v[160:161], v[162:163], v[156:157], v[160:161] op_sel:[0,0,1] op_sel_hi:[1,0,0]
	s_delay_alu instid0(VALU_DEP_1)
	v_mov_b32_e32 v165, v161
	ds_load_2addr_b64 v[160:163], v226 offset0:35 offset1:36
	v_pk_add_f32 v[136:137], v[136:137], v[164:165] neg_lo:[0,1] neg_hi:[0,1]
	s_wait_dscnt 0x0
	v_pk_mul_f32 v[164:165], v[160:161], v[158:159] op_sel:[0,1]
	v_pk_mul_f32 v[158:159], v[162:163], v[158:159] op_sel:[0,1]
	s_delay_alu instid0(VALU_DEP_2) | instskip(SKIP_1) | instid1(VALU_DEP_1)
	v_pk_fma_f32 v[166:167], v[160:161], v[156:157], v[164:165] op_sel:[0,0,1] op_sel_hi:[1,1,0] neg_lo:[0,0,1] neg_hi:[0,0,1]
	v_pk_fma_f32 v[160:161], v[160:161], v[156:157], v[164:165] op_sel:[0,0,1] op_sel_hi:[1,0,0]
	v_mov_b32_e32 v167, v161
	s_delay_alu instid0(VALU_DEP_4) | instskip(SKIP_1) | instid1(VALU_DEP_3)
	v_pk_fma_f32 v[160:161], v[162:163], v[156:157], v[158:159] op_sel:[0,0,1] op_sel_hi:[1,1,0] neg_lo:[0,0,1] neg_hi:[0,0,1]
	v_pk_fma_f32 v[156:157], v[162:163], v[156:157], v[158:159] op_sel:[0,0,1] op_sel_hi:[1,0,0]
	v_pk_add_f32 v[134:135], v[134:135], v[166:167] neg_lo:[0,1] neg_hi:[0,1]
	s_delay_alu instid0(VALU_DEP_2) | instskip(NEXT) | instid1(VALU_DEP_1)
	v_mov_b32_e32 v161, v157
	v_pk_add_f32 v[146:147], v[146:147], v[160:161] neg_lo:[0,1] neg_hi:[0,1]
.LBB73_28:
	s_or_b32 exec_lo, exec_lo, s1
	s_delay_alu instid0(SALU_CYCLE_1)
	s_mov_b32 s2, exec_lo
	s_wait_dscnt 0x0
	s_barrier_signal -1
	s_barrier_wait -1
	v_cmpx_eq_u32_e32 3, v224
	s_cbranch_execz .LBB73_35
; %bb.29:
	v_dual_mov_b32 v156, v28 :: v_dual_mov_b32 v157, v29
	v_dual_mov_b32 v158, v24 :: v_dual_mov_b32 v159, v25
	;; [unrolled: 1-line block ×8, first 2 shown]
	ds_store_b64 v225, v[46:47]
	ds_store_2addr_b64 v226, v[156:157], v[158:159] offset0:4 offset1:5
	ds_store_2addr_b64 v226, v[160:161], v[162:163] offset0:6 offset1:7
	;; [unrolled: 1-line block ×4, first 2 shown]
	v_dual_mov_b32 v156, v60 :: v_dual_mov_b32 v157, v61
	v_dual_mov_b32 v158, v78 :: v_dual_mov_b32 v159, v79
	;; [unrolled: 1-line block ×12, first 2 shown]
	ds_store_2addr_b64 v226, v[156:157], v[158:159] offset0:12 offset1:13
	ds_store_2addr_b64 v226, v[160:161], v[162:163] offset0:14 offset1:15
	;; [unrolled: 1-line block ×6, first 2 shown]
	v_dual_mov_b32 v156, v144 :: v_dual_mov_b32 v157, v145
	v_dual_mov_b32 v158, v148 :: v_dual_mov_b32 v159, v149
	;; [unrolled: 1-line block ×12, first 2 shown]
	ds_store_2addr_b64 v226, v[156:157], v[158:159] offset0:24 offset1:25
	ds_store_2addr_b64 v226, v[160:161], v[162:163] offset0:26 offset1:27
	;; [unrolled: 1-line block ×6, first 2 shown]
	ds_store_b64 v226, v[146:147] offset:288
	ds_load_b64 v[156:157], v225
	s_wait_dscnt 0x0
	v_cmp_neq_f32_e32 vcc_lo, 0, v156
	v_cmp_neq_f32_e64 s1, 0, v157
	s_or_b32 s1, vcc_lo, s1
	s_delay_alu instid0(SALU_CYCLE_1)
	s_and_b32 exec_lo, exec_lo, s1
	s_cbranch_execz .LBB73_35
; %bb.30:
	v_cmp_ngt_f32_e64 s1, |v156|, |v157|
                                        ; implicit-def: $vgpr158_vgpr159
	s_and_saveexec_b32 s4, s1
	s_delay_alu instid0(SALU_CYCLE_1)
	s_xor_b32 s1, exec_lo, s4
	s_cbranch_execz .LBB73_32
; %bb.31:
	v_div_scale_f32 v158, null, v157, v157, v156
	v_div_scale_f32 v161, vcc_lo, v156, v157, v156
	s_delay_alu instid0(VALU_DEP_2) | instskip(SKIP_1) | instid1(TRANS32_DEP_1)
	v_rcp_f32_e32 v159, v158
	v_nop
	v_fma_f32 v160, -v158, v159, 1.0
	s_delay_alu instid0(VALU_DEP_1) | instskip(NEXT) | instid1(VALU_DEP_1)
	v_fmac_f32_e32 v159, v160, v159
	v_mul_f32_e32 v160, v161, v159
	s_delay_alu instid0(VALU_DEP_1) | instskip(NEXT) | instid1(VALU_DEP_1)
	v_fma_f32 v162, -v158, v160, v161
	v_fmac_f32_e32 v160, v162, v159
	s_delay_alu instid0(VALU_DEP_1) | instskip(NEXT) | instid1(VALU_DEP_1)
	v_fma_f32 v158, -v158, v160, v161
	v_div_fmas_f32 v158, v158, v159, v160
	s_delay_alu instid0(VALU_DEP_1) | instskip(NEXT) | instid1(VALU_DEP_1)
	v_div_fixup_f32 v158, v158, v157, v156
	v_fmac_f32_e32 v157, v156, v158
	s_delay_alu instid0(VALU_DEP_1) | instskip(SKIP_1) | instid1(VALU_DEP_2)
	v_div_scale_f32 v156, null, v157, v157, 1.0
	v_div_scale_f32 v161, vcc_lo, 1.0, v157, 1.0
	v_rcp_f32_e32 v159, v156
	v_nop
	s_delay_alu instid0(TRANS32_DEP_1) | instskip(NEXT) | instid1(VALU_DEP_1)
	v_fma_f32 v160, -v156, v159, 1.0
	v_fmac_f32_e32 v159, v160, v159
	s_delay_alu instid0(VALU_DEP_1) | instskip(NEXT) | instid1(VALU_DEP_1)
	v_mul_f32_e32 v160, v161, v159
	v_fma_f32 v162, -v156, v160, v161
	s_delay_alu instid0(VALU_DEP_1) | instskip(NEXT) | instid1(VALU_DEP_1)
	v_fmac_f32_e32 v160, v162, v159
	v_fma_f32 v156, -v156, v160, v161
	s_delay_alu instid0(VALU_DEP_1) | instskip(NEXT) | instid1(VALU_DEP_1)
	v_div_fmas_f32 v156, v156, v159, v160
	v_div_fixup_f32 v156, v156, v157, 1.0
	s_delay_alu instid0(VALU_DEP_1)
	v_mul_f32_e32 v158, v158, v156
	v_xor_b32_e32 v159, 0x80000000, v156
                                        ; implicit-def: $vgpr156_vgpr157
.LBB73_32:
	s_and_not1_saveexec_b32 s1, s1
	s_cbranch_execz .LBB73_34
; %bb.33:
	v_div_scale_f32 v158, null, v156, v156, v157
	v_div_scale_f32 v161, vcc_lo, v157, v156, v157
	s_delay_alu instid0(VALU_DEP_2) | instskip(SKIP_1) | instid1(TRANS32_DEP_1)
	v_rcp_f32_e32 v159, v158
	v_nop
	v_fma_f32 v160, -v158, v159, 1.0
	s_delay_alu instid0(VALU_DEP_1) | instskip(NEXT) | instid1(VALU_DEP_1)
	v_fmac_f32_e32 v159, v160, v159
	v_mul_f32_e32 v160, v161, v159
	s_delay_alu instid0(VALU_DEP_1) | instskip(NEXT) | instid1(VALU_DEP_1)
	v_fma_f32 v162, -v158, v160, v161
	v_fmac_f32_e32 v160, v162, v159
	s_delay_alu instid0(VALU_DEP_1) | instskip(NEXT) | instid1(VALU_DEP_1)
	v_fma_f32 v158, -v158, v160, v161
	v_div_fmas_f32 v158, v158, v159, v160
	s_delay_alu instid0(VALU_DEP_1) | instskip(NEXT) | instid1(VALU_DEP_1)
	v_div_fixup_f32 v159, v158, v156, v157
	v_fmac_f32_e32 v156, v157, v159
	s_delay_alu instid0(VALU_DEP_1) | instskip(NEXT) | instid1(VALU_DEP_1)
	v_div_scale_f32 v157, null, v156, v156, 1.0
	v_rcp_f32_e32 v158, v157
	v_nop
	s_delay_alu instid0(TRANS32_DEP_1) | instskip(NEXT) | instid1(VALU_DEP_1)
	v_fma_f32 v160, -v157, v158, 1.0
	v_fmac_f32_e32 v158, v160, v158
	v_div_scale_f32 v160, vcc_lo, 1.0, v156, 1.0
	s_delay_alu instid0(VALU_DEP_1) | instskip(NEXT) | instid1(VALU_DEP_1)
	v_mul_f32_e32 v161, v160, v158
	v_fma_f32 v162, -v157, v161, v160
	s_delay_alu instid0(VALU_DEP_1) | instskip(NEXT) | instid1(VALU_DEP_1)
	v_fmac_f32_e32 v161, v162, v158
	v_fma_f32 v157, -v157, v161, v160
	s_delay_alu instid0(VALU_DEP_1) | instskip(NEXT) | instid1(VALU_DEP_1)
	v_div_fmas_f32 v157, v157, v158, v161
	v_div_fixup_f32 v158, v157, v156, 1.0
	s_delay_alu instid0(VALU_DEP_1)
	v_mul_f32_e64 v159, v159, -v158
.LBB73_34:
	s_or_b32 exec_lo, exec_lo, s1
	ds_store_b64 v225, v[158:159]
.LBB73_35:
	s_or_b32 exec_lo, exec_lo, s2
	s_wait_dscnt 0x0
	s_barrier_signal -1
	s_barrier_wait -1
	ds_load_b64 v[156:157], v225
	s_mov_b32 s1, exec_lo
	v_cmpx_lt_u32_e32 3, v224
	s_cbranch_execz .LBB73_37
; %bb.36:
	ds_load_2addr_b64 v[162:165], v226 offset0:4 offset1:5
	s_wait_dscnt 0x1
	v_pk_mul_f32 v[160:161], v[156:157], v[46:47] op_sel:[1,1] op_sel_hi:[0,1]
	s_delay_alu instid0(VALU_DEP_1) | instskip(SKIP_1) | instid1(VALU_DEP_1)
	v_pk_fma_f32 v[158:159], v[156:157], v[46:47], v[160:161] op_sel_hi:[1,0,1] neg_lo:[0,0,1] neg_hi:[0,0,1]
	v_pk_fma_f32 v[160:161], v[156:157], v[46:47], v[160:161] op_sel_hi:[1,0,1]
	v_dual_mov_b32 v46, v158 :: v_dual_mov_b32 v47, v161
	s_wait_dscnt 0x0
	s_delay_alu instid0(VALU_DEP_2) | instskip(NEXT) | instid1(VALU_DEP_1)
	v_pk_mul_f32 v[166:167], v[162:163], v[160:161] op_sel:[0,1]
	v_pk_fma_f32 v[168:169], v[162:163], v[158:159], v[166:167] op_sel:[0,0,1] op_sel_hi:[1,1,0] neg_lo:[0,0,1] neg_hi:[0,0,1]
	v_pk_fma_f32 v[162:163], v[162:163], v[158:159], v[166:167] op_sel:[0,0,1] op_sel_hi:[1,0,0]
	s_delay_alu instid0(VALU_DEP_1) | instskip(SKIP_1) | instid1(VALU_DEP_1)
	v_mov_b32_e32 v169, v163
	v_pk_mul_f32 v[162:163], v[164:165], v[160:161] op_sel:[0,1]
	v_pk_fma_f32 v[166:167], v[164:165], v[158:159], v[162:163] op_sel:[0,0,1] op_sel_hi:[1,1,0] neg_lo:[0,0,1] neg_hi:[0,0,1]
	v_pk_fma_f32 v[162:163], v[164:165], v[158:159], v[162:163] op_sel:[0,0,1] op_sel_hi:[1,0,0]
	s_delay_alu instid0(VALU_DEP_1)
	v_mov_b32_e32 v167, v163
	ds_load_2addr_b64 v[162:165], v226 offset0:6 offset1:7
	v_pk_add_f32 v[28:29], v[28:29], v[168:169] neg_lo:[0,1] neg_hi:[0,1]
	v_pk_add_f32 v[24:25], v[24:25], v[166:167] neg_lo:[0,1] neg_hi:[0,1]
	s_wait_dscnt 0x0
	v_pk_mul_f32 v[166:167], v[162:163], v[160:161] op_sel:[0,1]
	s_delay_alu instid0(VALU_DEP_1) | instskip(SKIP_2) | instid1(VALU_DEP_2)
	v_pk_fma_f32 v[168:169], v[162:163], v[158:159], v[166:167] op_sel:[0,0,1] op_sel_hi:[1,1,0] neg_lo:[0,0,1] neg_hi:[0,0,1]
	v_pk_fma_f32 v[162:163], v[162:163], v[158:159], v[166:167] op_sel:[0,0,1] op_sel_hi:[1,0,0]
	v_dual_mul_f32 v166, v165, v161 :: v_dual_mov_b32 v162, v165
	v_dual_mov_b32 v169, v163 :: v_dual_mov_b32 v163, v164
	s_delay_alu instid0(VALU_DEP_2) | instskip(SKIP_1) | instid1(VALU_DEP_3)
	v_pk_fma_f32 v[166:167], v[164:165], v[46:47], v[166:167] op_sel_hi:[1,1,0] neg_lo:[0,0,1] neg_hi:[0,0,1]
	v_mul_f32_e32 v164, v165, v158
	v_pk_add_f32 v[26:27], v[26:27], v[168:169] neg_lo:[0,1] neg_hi:[0,1]
	s_delay_alu instid0(VALU_DEP_2) | instskip(NEXT) | instid1(VALU_DEP_1)
	v_pk_fma_f32 v[162:163], v[162:163], v[46:47], v[164:165] op_sel_hi:[1,1,0]
	v_mov_b32_e32 v167, v163
	ds_load_2addr_b64 v[162:165], v226 offset0:8 offset1:9
	v_pk_add_f32 v[22:23], v[22:23], v[166:167] neg_lo:[0,1] neg_hi:[0,1]
	s_wait_dscnt 0x0
	v_pk_mul_f32 v[166:167], v[162:163], v[160:161] op_sel:[0,1]
	s_delay_alu instid0(VALU_DEP_1) | instskip(SKIP_1) | instid1(VALU_DEP_1)
	v_pk_fma_f32 v[168:169], v[162:163], v[158:159], v[166:167] op_sel:[0,0,1] op_sel_hi:[1,1,0] neg_lo:[0,0,1] neg_hi:[0,0,1]
	v_pk_fma_f32 v[162:163], v[162:163], v[158:159], v[166:167] op_sel:[0,0,1] op_sel_hi:[1,0,0]
	v_mov_b32_e32 v169, v163
	v_pk_mul_f32 v[162:163], v[164:165], v[160:161] op_sel:[0,1]
	s_delay_alu instid0(VALU_DEP_1) | instskip(SKIP_1) | instid1(VALU_DEP_1)
	v_pk_fma_f32 v[166:167], v[164:165], v[158:159], v[162:163] op_sel:[0,0,1] op_sel_hi:[1,1,0] neg_lo:[0,0,1] neg_hi:[0,0,1]
	v_pk_fma_f32 v[162:163], v[164:165], v[158:159], v[162:163] op_sel:[0,0,1] op_sel_hi:[1,0,0]
	v_mov_b32_e32 v167, v163
	ds_load_2addr_b64 v[162:165], v226 offset0:10 offset1:11
	v_pk_add_f32 v[42:43], v[42:43], v[168:169] neg_lo:[0,1] neg_hi:[0,1]
	v_pk_add_f32 v[38:39], v[38:39], v[166:167] neg_lo:[0,1] neg_hi:[0,1]
	s_wait_dscnt 0x0
	v_pk_mul_f32 v[166:167], v[162:163], v[160:161] op_sel:[0,1]
	s_delay_alu instid0(VALU_DEP_1) | instskip(SKIP_1) | instid1(VALU_DEP_1)
	v_pk_fma_f32 v[168:169], v[162:163], v[158:159], v[166:167] op_sel:[0,0,1] op_sel_hi:[1,1,0] neg_lo:[0,0,1] neg_hi:[0,0,1]
	v_pk_fma_f32 v[162:163], v[162:163], v[158:159], v[166:167] op_sel:[0,0,1] op_sel_hi:[1,0,0]
	v_mov_b32_e32 v169, v163
	v_pk_mul_f32 v[162:163], v[164:165], v[160:161] op_sel:[0,1]
	s_delay_alu instid0(VALU_DEP_1) | instskip(SKIP_1) | instid1(VALU_DEP_1)
	v_pk_fma_f32 v[166:167], v[164:165], v[158:159], v[162:163] op_sel:[0,0,1] op_sel_hi:[1,1,0] neg_lo:[0,0,1] neg_hi:[0,0,1]
	v_pk_fma_f32 v[162:163], v[164:165], v[158:159], v[162:163] op_sel:[0,0,1] op_sel_hi:[1,0,0]
	v_mov_b32_e32 v167, v163
	ds_load_2addr_b64 v[162:165], v226 offset0:12 offset1:13
	v_pk_add_f32 v[40:41], v[40:41], v[168:169] neg_lo:[0,1] neg_hi:[0,1]
	v_pk_add_f32 v[36:37], v[36:37], v[166:167] neg_lo:[0,1] neg_hi:[0,1]
	s_wait_dscnt 0x0
	v_dual_mul_f32 v166, v163, v161 :: v_dual_mul_f32 v168, v163, v158
	s_delay_alu instid0(VALU_DEP_1) | instskip(NEXT) | instid1(VALU_DEP_2)
	v_pk_fma_f32 v[166:167], v[162:163], v[46:47], v[166:167] op_sel_hi:[1,1,0] neg_lo:[0,0,1] neg_hi:[0,0,1]
	v_pk_fma_f32 v[162:163], v[162:163], v[46:47], v[168:169] op_sel:[1,0,0] op_sel_hi:[0,1,0]
	s_delay_alu instid0(VALU_DEP_1) | instskip(SKIP_1) | instid1(VALU_DEP_2)
	v_mov_b32_e32 v167, v163
	v_pk_mul_f32 v[162:163], v[164:165], v[160:161] op_sel:[0,1]
	v_pk_add_f32 v[60:61], v[60:61], v[166:167] neg_lo:[0,1] neg_hi:[0,1]
	s_delay_alu instid0(VALU_DEP_2) | instskip(SKIP_1) | instid1(VALU_DEP_1)
	v_pk_fma_f32 v[166:167], v[164:165], v[158:159], v[162:163] op_sel:[0,0,1] op_sel_hi:[1,1,0] neg_lo:[0,0,1] neg_hi:[0,0,1]
	v_pk_fma_f32 v[162:163], v[164:165], v[158:159], v[162:163] op_sel:[0,0,1] op_sel_hi:[1,0,0]
	v_mov_b32_e32 v167, v163
	ds_load_2addr_b64 v[162:165], v226 offset0:14 offset1:15
	v_pk_add_f32 v[78:79], v[78:79], v[166:167] neg_lo:[0,1] neg_hi:[0,1]
	s_wait_dscnt 0x0
	v_pk_mul_f32 v[166:167], v[162:163], v[160:161] op_sel:[0,1]
	s_delay_alu instid0(VALU_DEP_1) | instskip(SKIP_1) | instid1(VALU_DEP_1)
	v_pk_fma_f32 v[168:169], v[162:163], v[158:159], v[166:167] op_sel:[0,0,1] op_sel_hi:[1,1,0] neg_lo:[0,0,1] neg_hi:[0,0,1]
	v_pk_fma_f32 v[162:163], v[162:163], v[158:159], v[166:167] op_sel:[0,0,1] op_sel_hi:[1,0,0]
	v_mov_b32_e32 v169, v163
	v_pk_mul_f32 v[162:163], v[164:165], v[160:161] op_sel:[0,1]
	s_delay_alu instid0(VALU_DEP_2) | instskip(NEXT) | instid1(VALU_DEP_2)
	v_pk_add_f32 v[92:93], v[92:93], v[168:169] neg_lo:[0,1] neg_hi:[0,1]
	v_pk_fma_f32 v[166:167], v[164:165], v[158:159], v[162:163] op_sel:[0,0,1] op_sel_hi:[1,1,0] neg_lo:[0,0,1] neg_hi:[0,0,1]
	v_pk_fma_f32 v[162:163], v[164:165], v[158:159], v[162:163] op_sel:[0,0,1] op_sel_hi:[1,0,0]
	s_delay_alu instid0(VALU_DEP_1) | instskip(SKIP_4) | instid1(VALU_DEP_1)
	v_mov_b32_e32 v167, v163
	ds_load_2addr_b64 v[162:165], v226 offset0:16 offset1:17
	v_pk_add_f32 v[90:91], v[90:91], v[166:167] neg_lo:[0,1] neg_hi:[0,1]
	s_wait_dscnt 0x0
	v_pk_mul_f32 v[166:167], v[162:163], v[160:161] op_sel:[0,1]
	v_pk_fma_f32 v[168:169], v[162:163], v[158:159], v[166:167] op_sel:[0,0,1] op_sel_hi:[1,1,0] neg_lo:[0,0,1] neg_hi:[0,0,1]
	v_pk_fma_f32 v[162:163], v[162:163], v[158:159], v[166:167] op_sel:[0,0,1] op_sel_hi:[1,0,0]
	v_dual_mul_f32 v166, v165, v161 :: v_dual_mov_b32 v162, v165
	s_delay_alu instid0(VALU_DEP_2) | instskip(NEXT) | instid1(VALU_DEP_2)
	v_dual_mov_b32 v169, v163 :: v_dual_mov_b32 v163, v164
	v_pk_fma_f32 v[166:167], v[164:165], v[46:47], v[166:167] op_sel_hi:[1,1,0] neg_lo:[0,0,1] neg_hi:[0,0,1]
	v_mul_f32_e32 v164, v165, v158
	s_delay_alu instid0(VALU_DEP_3) | instskip(NEXT) | instid1(VALU_DEP_2)
	v_pk_add_f32 v[116:117], v[116:117], v[168:169] neg_lo:[0,1] neg_hi:[0,1]
	v_pk_fma_f32 v[162:163], v[162:163], v[46:47], v[164:165] op_sel_hi:[1,1,0]
	s_delay_alu instid0(VALU_DEP_1) | instskip(SKIP_4) | instid1(VALU_DEP_1)
	v_mov_b32_e32 v167, v163
	ds_load_2addr_b64 v[162:165], v226 offset0:18 offset1:19
	v_pk_add_f32 v[88:89], v[88:89], v[166:167] neg_lo:[0,1] neg_hi:[0,1]
	s_wait_dscnt 0x0
	v_pk_mul_f32 v[166:167], v[162:163], v[160:161] op_sel:[0,1]
	v_pk_fma_f32 v[168:169], v[162:163], v[158:159], v[166:167] op_sel:[0,0,1] op_sel_hi:[1,1,0] neg_lo:[0,0,1] neg_hi:[0,0,1]
	v_pk_fma_f32 v[162:163], v[162:163], v[158:159], v[166:167] op_sel:[0,0,1] op_sel_hi:[1,0,0]
	s_delay_alu instid0(VALU_DEP_1) | instskip(SKIP_1) | instid1(VALU_DEP_1)
	v_mov_b32_e32 v169, v163
	v_pk_mul_f32 v[162:163], v[164:165], v[160:161] op_sel:[0,1]
	v_pk_fma_f32 v[166:167], v[164:165], v[158:159], v[162:163] op_sel:[0,0,1] op_sel_hi:[1,1,0] neg_lo:[0,0,1] neg_hi:[0,0,1]
	v_pk_fma_f32 v[162:163], v[164:165], v[158:159], v[162:163] op_sel:[0,0,1] op_sel_hi:[1,0,0]
	s_delay_alu instid0(VALU_DEP_1)
	v_mov_b32_e32 v167, v163
	ds_load_2addr_b64 v[162:165], v226 offset0:20 offset1:21
	v_pk_add_f32 v[114:115], v[114:115], v[168:169] neg_lo:[0,1] neg_hi:[0,1]
	v_pk_add_f32 v[112:113], v[112:113], v[166:167] neg_lo:[0,1] neg_hi:[0,1]
	s_wait_dscnt 0x0
	v_pk_mul_f32 v[166:167], v[162:163], v[160:161] op_sel:[0,1]
	s_delay_alu instid0(VALU_DEP_1) | instskip(SKIP_1) | instid1(VALU_DEP_1)
	v_pk_fma_f32 v[168:169], v[162:163], v[158:159], v[166:167] op_sel:[0,0,1] op_sel_hi:[1,1,0] neg_lo:[0,0,1] neg_hi:[0,0,1]
	v_pk_fma_f32 v[162:163], v[162:163], v[158:159], v[166:167] op_sel:[0,0,1] op_sel_hi:[1,0,0]
	v_mov_b32_e32 v169, v163
	v_pk_mul_f32 v[162:163], v[164:165], v[160:161] op_sel:[0,1]
	s_delay_alu instid0(VALU_DEP_1) | instskip(SKIP_1) | instid1(VALU_DEP_1)
	v_pk_fma_f32 v[166:167], v[164:165], v[158:159], v[162:163] op_sel:[0,0,1] op_sel_hi:[1,1,0] neg_lo:[0,0,1] neg_hi:[0,0,1]
	v_pk_fma_f32 v[162:163], v[164:165], v[158:159], v[162:163] op_sel:[0,0,1] op_sel_hi:[1,0,0]
	v_mov_b32_e32 v167, v163
	ds_load_2addr_b64 v[162:165], v226 offset0:22 offset1:23
	v_pk_add_f32 v[132:133], v[132:133], v[168:169] neg_lo:[0,1] neg_hi:[0,1]
	v_pk_add_f32 v[102:103], v[102:103], v[166:167] neg_lo:[0,1] neg_hi:[0,1]
	s_wait_dscnt 0x0
	v_dual_mul_f32 v166, v163, v161 :: v_dual_mul_f32 v168, v163, v158
	s_delay_alu instid0(VALU_DEP_1) | instskip(NEXT) | instid1(VALU_DEP_2)
	v_pk_fma_f32 v[166:167], v[162:163], v[46:47], v[166:167] op_sel_hi:[1,1,0] neg_lo:[0,0,1] neg_hi:[0,0,1]
	v_pk_fma_f32 v[162:163], v[162:163], v[46:47], v[168:169] op_sel:[1,0,0] op_sel_hi:[0,1,0]
	s_delay_alu instid0(VALU_DEP_1) | instskip(SKIP_1) | instid1(VALU_DEP_2)
	v_mov_b32_e32 v167, v163
	v_pk_mul_f32 v[162:163], v[164:165], v[160:161] op_sel:[0,1]
	v_pk_add_f32 v[130:131], v[130:131], v[166:167] neg_lo:[0,1] neg_hi:[0,1]
	s_delay_alu instid0(VALU_DEP_2) | instskip(SKIP_1) | instid1(VALU_DEP_1)
	v_pk_fma_f32 v[166:167], v[164:165], v[158:159], v[162:163] op_sel:[0,0,1] op_sel_hi:[1,1,0] neg_lo:[0,0,1] neg_hi:[0,0,1]
	v_pk_fma_f32 v[162:163], v[164:165], v[158:159], v[162:163] op_sel:[0,0,1] op_sel_hi:[1,0,0]
	v_mov_b32_e32 v167, v163
	ds_load_2addr_b64 v[162:165], v226 offset0:24 offset1:25
	v_pk_add_f32 v[128:129], v[128:129], v[166:167] neg_lo:[0,1] neg_hi:[0,1]
	s_wait_dscnt 0x0
	v_pk_mul_f32 v[166:167], v[162:163], v[160:161] op_sel:[0,1]
	s_delay_alu instid0(VALU_DEP_1) | instskip(SKIP_1) | instid1(VALU_DEP_1)
	v_pk_fma_f32 v[168:169], v[162:163], v[158:159], v[166:167] op_sel:[0,0,1] op_sel_hi:[1,1,0] neg_lo:[0,0,1] neg_hi:[0,0,1]
	v_pk_fma_f32 v[162:163], v[162:163], v[158:159], v[166:167] op_sel:[0,0,1] op_sel_hi:[1,0,0]
	v_mov_b32_e32 v169, v163
	v_pk_mul_f32 v[162:163], v[164:165], v[160:161] op_sel:[0,1]
	s_delay_alu instid0(VALU_DEP_2) | instskip(NEXT) | instid1(VALU_DEP_2)
	v_pk_add_f32 v[144:145], v[144:145], v[168:169] neg_lo:[0,1] neg_hi:[0,1]
	v_pk_fma_f32 v[166:167], v[164:165], v[158:159], v[162:163] op_sel:[0,0,1] op_sel_hi:[1,1,0] neg_lo:[0,0,1] neg_hi:[0,0,1]
	v_pk_fma_f32 v[162:163], v[164:165], v[158:159], v[162:163] op_sel:[0,0,1] op_sel_hi:[1,0,0]
	s_delay_alu instid0(VALU_DEP_1) | instskip(SKIP_4) | instid1(VALU_DEP_1)
	v_mov_b32_e32 v167, v163
	ds_load_2addr_b64 v[162:165], v226 offset0:26 offset1:27
	v_pk_add_f32 v[148:149], v[148:149], v[166:167] neg_lo:[0,1] neg_hi:[0,1]
	s_wait_dscnt 0x0
	v_pk_mul_f32 v[166:167], v[162:163], v[160:161] op_sel:[0,1]
	v_pk_fma_f32 v[168:169], v[162:163], v[158:159], v[166:167] op_sel:[0,0,1] op_sel_hi:[1,1,0] neg_lo:[0,0,1] neg_hi:[0,0,1]
	v_pk_fma_f32 v[162:163], v[162:163], v[158:159], v[166:167] op_sel:[0,0,1] op_sel_hi:[1,0,0]
	v_dual_mul_f32 v166, v165, v161 :: v_dual_mov_b32 v162, v165
	s_delay_alu instid0(VALU_DEP_2) | instskip(NEXT) | instid1(VALU_DEP_2)
	v_dual_mov_b32 v169, v163 :: v_dual_mov_b32 v163, v164
	v_pk_fma_f32 v[166:167], v[164:165], v[46:47], v[166:167] op_sel_hi:[1,1,0] neg_lo:[0,0,1] neg_hi:[0,0,1]
	v_mul_f32_e32 v164, v165, v158
	s_delay_alu instid0(VALU_DEP_3) | instskip(NEXT) | instid1(VALU_DEP_2)
	v_pk_add_f32 v[142:143], v[142:143], v[168:169] neg_lo:[0,1] neg_hi:[0,1]
	v_pk_fma_f32 v[162:163], v[162:163], v[46:47], v[164:165] op_sel_hi:[1,1,0]
	s_delay_alu instid0(VALU_DEP_1) | instskip(SKIP_4) | instid1(VALU_DEP_1)
	v_mov_b32_e32 v167, v163
	ds_load_2addr_b64 v[162:165], v226 offset0:28 offset1:29
	v_pk_add_f32 v[140:141], v[140:141], v[166:167] neg_lo:[0,1] neg_hi:[0,1]
	s_wait_dscnt 0x0
	v_pk_mul_f32 v[166:167], v[162:163], v[160:161] op_sel:[0,1]
	v_pk_fma_f32 v[168:169], v[162:163], v[158:159], v[166:167] op_sel:[0,0,1] op_sel_hi:[1,1,0] neg_lo:[0,0,1] neg_hi:[0,0,1]
	v_pk_fma_f32 v[162:163], v[162:163], v[158:159], v[166:167] op_sel:[0,0,1] op_sel_hi:[1,0,0]
	s_delay_alu instid0(VALU_DEP_1) | instskip(SKIP_1) | instid1(VALU_DEP_1)
	v_mov_b32_e32 v169, v163
	v_pk_mul_f32 v[162:163], v[164:165], v[160:161] op_sel:[0,1]
	v_pk_fma_f32 v[166:167], v[164:165], v[158:159], v[162:163] op_sel:[0,0,1] op_sel_hi:[1,1,0] neg_lo:[0,0,1] neg_hi:[0,0,1]
	v_pk_fma_f32 v[162:163], v[164:165], v[158:159], v[162:163] op_sel:[0,0,1] op_sel_hi:[1,0,0]
	s_delay_alu instid0(VALU_DEP_1)
	v_mov_b32_e32 v167, v163
	ds_load_2addr_b64 v[162:165], v226 offset0:30 offset1:31
	v_pk_add_f32 v[126:127], v[126:127], v[168:169] neg_lo:[0,1] neg_hi:[0,1]
	v_pk_add_f32 v[120:121], v[120:121], v[166:167] neg_lo:[0,1] neg_hi:[0,1]
	s_wait_dscnt 0x0
	v_pk_mul_f32 v[166:167], v[162:163], v[160:161] op_sel:[0,1]
	s_delay_alu instid0(VALU_DEP_1) | instskip(SKIP_1) | instid1(VALU_DEP_1)
	v_pk_fma_f32 v[168:169], v[162:163], v[158:159], v[166:167] op_sel:[0,0,1] op_sel_hi:[1,1,0] neg_lo:[0,0,1] neg_hi:[0,0,1]
	v_pk_fma_f32 v[162:163], v[162:163], v[158:159], v[166:167] op_sel:[0,0,1] op_sel_hi:[1,0,0]
	v_mov_b32_e32 v169, v163
	v_pk_mul_f32 v[162:163], v[164:165], v[160:161] op_sel:[0,1]
	s_delay_alu instid0(VALU_DEP_1) | instskip(SKIP_1) | instid1(VALU_DEP_1)
	v_pk_fma_f32 v[166:167], v[164:165], v[158:159], v[162:163] op_sel:[0,0,1] op_sel_hi:[1,1,0] neg_lo:[0,0,1] neg_hi:[0,0,1]
	v_pk_fma_f32 v[162:163], v[164:165], v[158:159], v[162:163] op_sel:[0,0,1] op_sel_hi:[1,0,0]
	v_mov_b32_e32 v167, v163
	ds_load_2addr_b64 v[162:165], v226 offset0:32 offset1:33
	v_pk_add_f32 v[124:125], v[124:125], v[168:169] neg_lo:[0,1] neg_hi:[0,1]
	v_pk_add_f32 v[118:119], v[118:119], v[166:167] neg_lo:[0,1] neg_hi:[0,1]
	s_wait_dscnt 0x0
	v_dual_mul_f32 v166, v163, v161 :: v_dual_mul_f32 v168, v163, v158
	s_delay_alu instid0(VALU_DEP_1) | instskip(NEXT) | instid1(VALU_DEP_2)
	v_pk_fma_f32 v[166:167], v[162:163], v[46:47], v[166:167] op_sel_hi:[1,1,0] neg_lo:[0,0,1] neg_hi:[0,0,1]
	v_pk_fma_f32 v[162:163], v[162:163], v[46:47], v[168:169] op_sel:[1,0,0] op_sel_hi:[0,1,0]
	s_delay_alu instid0(VALU_DEP_1) | instskip(SKIP_1) | instid1(VALU_DEP_2)
	v_mov_b32_e32 v167, v163
	v_pk_mul_f32 v[162:163], v[164:165], v[160:161] op_sel:[0,1]
	v_pk_add_f32 v[122:123], v[122:123], v[166:167] neg_lo:[0,1] neg_hi:[0,1]
	s_delay_alu instid0(VALU_DEP_2) | instskip(SKIP_1) | instid1(VALU_DEP_1)
	v_pk_fma_f32 v[166:167], v[164:165], v[158:159], v[162:163] op_sel:[0,0,1] op_sel_hi:[1,1,0] neg_lo:[0,0,1] neg_hi:[0,0,1]
	v_pk_fma_f32 v[162:163], v[164:165], v[158:159], v[162:163] op_sel:[0,0,1] op_sel_hi:[1,0,0]
	v_mov_b32_e32 v167, v163
	ds_load_2addr_b64 v[162:165], v226 offset0:34 offset1:35
	v_pk_add_f32 v[138:139], v[138:139], v[166:167] neg_lo:[0,1] neg_hi:[0,1]
	s_wait_dscnt 0x0
	v_pk_mul_f32 v[166:167], v[162:163], v[160:161] op_sel:[0,1]
	s_delay_alu instid0(VALU_DEP_1) | instskip(SKIP_1) | instid1(VALU_DEP_1)
	v_pk_fma_f32 v[168:169], v[162:163], v[158:159], v[166:167] op_sel:[0,0,1] op_sel_hi:[1,1,0] neg_lo:[0,0,1] neg_hi:[0,0,1]
	v_pk_fma_f32 v[162:163], v[162:163], v[158:159], v[166:167] op_sel:[0,0,1] op_sel_hi:[1,0,0]
	v_mov_b32_e32 v169, v163
	v_pk_mul_f32 v[162:163], v[164:165], v[160:161] op_sel:[0,1]
	s_delay_alu instid0(VALU_DEP_2) | instskip(NEXT) | instid1(VALU_DEP_2)
	v_pk_add_f32 v[136:137], v[136:137], v[168:169] neg_lo:[0,1] neg_hi:[0,1]
	v_pk_fma_f32 v[166:167], v[164:165], v[158:159], v[162:163] op_sel:[0,0,1] op_sel_hi:[1,1,0] neg_lo:[0,0,1] neg_hi:[0,0,1]
	v_pk_fma_f32 v[162:163], v[164:165], v[158:159], v[162:163] op_sel:[0,0,1] op_sel_hi:[1,0,0]
	s_delay_alu instid0(VALU_DEP_1) | instskip(SKIP_4) | instid1(VALU_DEP_1)
	v_mov_b32_e32 v167, v163
	ds_load_b64 v[162:163], v226 offset:288
	v_pk_add_f32 v[134:135], v[134:135], v[166:167] neg_lo:[0,1] neg_hi:[0,1]
	s_wait_dscnt 0x0
	v_pk_mul_f32 v[160:161], v[162:163], v[160:161] op_sel:[0,1]
	v_pk_fma_f32 v[164:165], v[162:163], v[158:159], v[160:161] op_sel:[0,0,1] op_sel_hi:[1,1,0] neg_lo:[0,0,1] neg_hi:[0,0,1]
	v_pk_fma_f32 v[158:159], v[162:163], v[158:159], v[160:161] op_sel:[0,0,1] op_sel_hi:[1,0,0]
	s_delay_alu instid0(VALU_DEP_1) | instskip(NEXT) | instid1(VALU_DEP_1)
	v_mov_b32_e32 v165, v159
	v_pk_add_f32 v[146:147], v[146:147], v[164:165] neg_lo:[0,1] neg_hi:[0,1]
.LBB73_37:
	s_or_b32 exec_lo, exec_lo, s1
	s_delay_alu instid0(SALU_CYCLE_1)
	s_mov_b32 s2, exec_lo
	s_wait_dscnt 0x0
	s_barrier_signal -1
	s_barrier_wait -1
	v_cmpx_eq_u32_e32 4, v224
	s_cbranch_execz .LBB73_44
; %bb.38:
	ds_store_b64 v225, v[28:29]
	ds_store_2addr_b64 v226, v[24:25], v[26:27] offset0:5 offset1:6
	ds_store_2addr_b64 v226, v[22:23], v[42:43] offset0:7 offset1:8
	;; [unrolled: 1-line block ×16, first 2 shown]
	ds_load_b64 v[158:159], v225
	s_wait_dscnt 0x0
	v_cmp_neq_f32_e32 vcc_lo, 0, v158
	v_cmp_neq_f32_e64 s1, 0, v159
	s_or_b32 s1, vcc_lo, s1
	s_delay_alu instid0(SALU_CYCLE_1)
	s_and_b32 exec_lo, exec_lo, s1
	s_cbranch_execz .LBB73_44
; %bb.39:
	v_cmp_ngt_f32_e64 s1, |v158|, |v159|
                                        ; implicit-def: $vgpr160_vgpr161
	s_and_saveexec_b32 s4, s1
	s_delay_alu instid0(SALU_CYCLE_1)
	s_xor_b32 s1, exec_lo, s4
	s_cbranch_execz .LBB73_41
; %bb.40:
	v_div_scale_f32 v160, null, v159, v159, v158
	v_div_scale_f32 v163, vcc_lo, v158, v159, v158
	s_delay_alu instid0(VALU_DEP_2) | instskip(SKIP_1) | instid1(TRANS32_DEP_1)
	v_rcp_f32_e32 v161, v160
	v_nop
	v_fma_f32 v162, -v160, v161, 1.0
	s_delay_alu instid0(VALU_DEP_1) | instskip(NEXT) | instid1(VALU_DEP_1)
	v_fmac_f32_e32 v161, v162, v161
	v_mul_f32_e32 v162, v163, v161
	s_delay_alu instid0(VALU_DEP_1) | instskip(NEXT) | instid1(VALU_DEP_1)
	v_fma_f32 v164, -v160, v162, v163
	v_fmac_f32_e32 v162, v164, v161
	s_delay_alu instid0(VALU_DEP_1) | instskip(NEXT) | instid1(VALU_DEP_1)
	v_fma_f32 v160, -v160, v162, v163
	v_div_fmas_f32 v160, v160, v161, v162
	s_delay_alu instid0(VALU_DEP_1) | instskip(NEXT) | instid1(VALU_DEP_1)
	v_div_fixup_f32 v160, v160, v159, v158
	v_fmac_f32_e32 v159, v158, v160
	s_delay_alu instid0(VALU_DEP_1) | instskip(SKIP_1) | instid1(VALU_DEP_2)
	v_div_scale_f32 v158, null, v159, v159, 1.0
	v_div_scale_f32 v163, vcc_lo, 1.0, v159, 1.0
	v_rcp_f32_e32 v161, v158
	v_nop
	s_delay_alu instid0(TRANS32_DEP_1) | instskip(NEXT) | instid1(VALU_DEP_1)
	v_fma_f32 v162, -v158, v161, 1.0
	v_fmac_f32_e32 v161, v162, v161
	s_delay_alu instid0(VALU_DEP_1) | instskip(NEXT) | instid1(VALU_DEP_1)
	v_mul_f32_e32 v162, v163, v161
	v_fma_f32 v164, -v158, v162, v163
	s_delay_alu instid0(VALU_DEP_1) | instskip(NEXT) | instid1(VALU_DEP_1)
	v_fmac_f32_e32 v162, v164, v161
	v_fma_f32 v158, -v158, v162, v163
	s_delay_alu instid0(VALU_DEP_1) | instskip(NEXT) | instid1(VALU_DEP_1)
	v_div_fmas_f32 v158, v158, v161, v162
	v_div_fixup_f32 v158, v158, v159, 1.0
	s_delay_alu instid0(VALU_DEP_1)
	v_mul_f32_e32 v160, v160, v158
	v_xor_b32_e32 v161, 0x80000000, v158
                                        ; implicit-def: $vgpr158_vgpr159
.LBB73_41:
	s_and_not1_saveexec_b32 s1, s1
	s_cbranch_execz .LBB73_43
; %bb.42:
	v_div_scale_f32 v160, null, v158, v158, v159
	v_div_scale_f32 v163, vcc_lo, v159, v158, v159
	s_delay_alu instid0(VALU_DEP_2) | instskip(SKIP_1) | instid1(TRANS32_DEP_1)
	v_rcp_f32_e32 v161, v160
	v_nop
	v_fma_f32 v162, -v160, v161, 1.0
	s_delay_alu instid0(VALU_DEP_1) | instskip(NEXT) | instid1(VALU_DEP_1)
	v_fmac_f32_e32 v161, v162, v161
	v_mul_f32_e32 v162, v163, v161
	s_delay_alu instid0(VALU_DEP_1) | instskip(NEXT) | instid1(VALU_DEP_1)
	v_fma_f32 v164, -v160, v162, v163
	v_fmac_f32_e32 v162, v164, v161
	s_delay_alu instid0(VALU_DEP_1) | instskip(NEXT) | instid1(VALU_DEP_1)
	v_fma_f32 v160, -v160, v162, v163
	v_div_fmas_f32 v160, v160, v161, v162
	s_delay_alu instid0(VALU_DEP_1) | instskip(NEXT) | instid1(VALU_DEP_1)
	v_div_fixup_f32 v161, v160, v158, v159
	v_fmac_f32_e32 v158, v159, v161
	s_delay_alu instid0(VALU_DEP_1) | instskip(NEXT) | instid1(VALU_DEP_1)
	v_div_scale_f32 v159, null, v158, v158, 1.0
	v_rcp_f32_e32 v160, v159
	v_nop
	s_delay_alu instid0(TRANS32_DEP_1) | instskip(NEXT) | instid1(VALU_DEP_1)
	v_fma_f32 v162, -v159, v160, 1.0
	v_fmac_f32_e32 v160, v162, v160
	v_div_scale_f32 v162, vcc_lo, 1.0, v158, 1.0
	s_delay_alu instid0(VALU_DEP_1) | instskip(NEXT) | instid1(VALU_DEP_1)
	v_mul_f32_e32 v163, v162, v160
	v_fma_f32 v164, -v159, v163, v162
	s_delay_alu instid0(VALU_DEP_1) | instskip(NEXT) | instid1(VALU_DEP_1)
	v_fmac_f32_e32 v163, v164, v160
	v_fma_f32 v159, -v159, v163, v162
	s_delay_alu instid0(VALU_DEP_1) | instskip(NEXT) | instid1(VALU_DEP_1)
	v_div_fmas_f32 v159, v159, v160, v163
	v_div_fixup_f32 v160, v159, v158, 1.0
	s_delay_alu instid0(VALU_DEP_1)
	v_mul_f32_e64 v161, v161, -v160
.LBB73_43:
	s_or_b32 exec_lo, exec_lo, s1
	ds_store_b64 v225, v[160:161]
.LBB73_44:
	s_or_b32 exec_lo, exec_lo, s2
	s_wait_dscnt 0x0
	s_barrier_signal -1
	s_barrier_wait -1
	ds_load_b64 v[158:159], v225
	s_mov_b32 s1, exec_lo
	v_cmpx_lt_u32_e32 4, v224
	s_cbranch_execz .LBB73_46
; %bb.45:
	ds_load_2addr_b64 v[164:167], v226 offset0:5 offset1:6
	s_wait_dscnt 0x1
	v_pk_mul_f32 v[162:163], v[158:159], v[28:29] op_sel:[1,1] op_sel_hi:[0,1]
	s_delay_alu instid0(VALU_DEP_1) | instskip(SKIP_1) | instid1(VALU_DEP_1)
	v_pk_fma_f32 v[160:161], v[158:159], v[28:29], v[162:163] op_sel_hi:[1,0,1] neg_lo:[0,0,1] neg_hi:[0,0,1]
	v_pk_fma_f32 v[162:163], v[158:159], v[28:29], v[162:163] op_sel_hi:[1,0,1]
	v_dual_mov_b32 v28, v160 :: v_dual_mov_b32 v29, v163
	s_wait_dscnt 0x0
	s_delay_alu instid0(VALU_DEP_2) | instskip(NEXT) | instid1(VALU_DEP_1)
	v_pk_mul_f32 v[168:169], v[164:165], v[162:163] op_sel:[0,1]
	v_pk_fma_f32 v[170:171], v[164:165], v[160:161], v[168:169] op_sel:[0,0,1] op_sel_hi:[1,1,0] neg_lo:[0,0,1] neg_hi:[0,0,1]
	v_pk_fma_f32 v[164:165], v[164:165], v[160:161], v[168:169] op_sel:[0,0,1] op_sel_hi:[1,0,0]
	s_delay_alu instid0(VALU_DEP_1) | instskip(SKIP_1) | instid1(VALU_DEP_1)
	v_mov_b32_e32 v171, v165
	v_pk_mul_f32 v[164:165], v[166:167], v[162:163] op_sel:[0,1]
	v_pk_fma_f32 v[168:169], v[166:167], v[160:161], v[164:165] op_sel:[0,0,1] op_sel_hi:[1,1,0] neg_lo:[0,0,1] neg_hi:[0,0,1]
	v_pk_fma_f32 v[164:165], v[166:167], v[160:161], v[164:165] op_sel:[0,0,1] op_sel_hi:[1,0,0]
	s_delay_alu instid0(VALU_DEP_1)
	v_mov_b32_e32 v169, v165
	ds_load_2addr_b64 v[164:167], v226 offset0:7 offset1:8
	v_pk_add_f32 v[24:25], v[24:25], v[170:171] neg_lo:[0,1] neg_hi:[0,1]
	v_pk_add_f32 v[26:27], v[26:27], v[168:169] neg_lo:[0,1] neg_hi:[0,1]
	s_wait_dscnt 0x0
	v_pk_mul_f32 v[168:169], v[164:165], v[162:163] op_sel:[0,1]
	s_delay_alu instid0(VALU_DEP_1) | instskip(SKIP_2) | instid1(VALU_DEP_2)
	v_pk_fma_f32 v[170:171], v[164:165], v[160:161], v[168:169] op_sel:[0,0,1] op_sel_hi:[1,1,0] neg_lo:[0,0,1] neg_hi:[0,0,1]
	v_pk_fma_f32 v[164:165], v[164:165], v[160:161], v[168:169] op_sel:[0,0,1] op_sel_hi:[1,0,0]
	v_dual_mul_f32 v168, v167, v163 :: v_dual_mov_b32 v164, v167
	v_dual_mov_b32 v171, v165 :: v_dual_mov_b32 v165, v166
	s_delay_alu instid0(VALU_DEP_2) | instskip(SKIP_1) | instid1(VALU_DEP_3)
	v_pk_fma_f32 v[168:169], v[166:167], v[28:29], v[168:169] op_sel_hi:[1,1,0] neg_lo:[0,0,1] neg_hi:[0,0,1]
	v_mul_f32_e32 v166, v167, v160
	v_pk_add_f32 v[22:23], v[22:23], v[170:171] neg_lo:[0,1] neg_hi:[0,1]
	s_delay_alu instid0(VALU_DEP_2) | instskip(NEXT) | instid1(VALU_DEP_1)
	v_pk_fma_f32 v[164:165], v[164:165], v[28:29], v[166:167] op_sel_hi:[1,1,0]
	v_mov_b32_e32 v169, v165
	ds_load_2addr_b64 v[164:167], v226 offset0:9 offset1:10
	v_pk_add_f32 v[42:43], v[42:43], v[168:169] neg_lo:[0,1] neg_hi:[0,1]
	s_wait_dscnt 0x0
	v_pk_mul_f32 v[168:169], v[164:165], v[162:163] op_sel:[0,1]
	s_delay_alu instid0(VALU_DEP_1) | instskip(SKIP_1) | instid1(VALU_DEP_1)
	v_pk_fma_f32 v[170:171], v[164:165], v[160:161], v[168:169] op_sel:[0,0,1] op_sel_hi:[1,1,0] neg_lo:[0,0,1] neg_hi:[0,0,1]
	v_pk_fma_f32 v[164:165], v[164:165], v[160:161], v[168:169] op_sel:[0,0,1] op_sel_hi:[1,0,0]
	v_mov_b32_e32 v171, v165
	v_pk_mul_f32 v[164:165], v[166:167], v[162:163] op_sel:[0,1]
	s_delay_alu instid0(VALU_DEP_1) | instskip(SKIP_1) | instid1(VALU_DEP_1)
	v_pk_fma_f32 v[168:169], v[166:167], v[160:161], v[164:165] op_sel:[0,0,1] op_sel_hi:[1,1,0] neg_lo:[0,0,1] neg_hi:[0,0,1]
	v_pk_fma_f32 v[164:165], v[166:167], v[160:161], v[164:165] op_sel:[0,0,1] op_sel_hi:[1,0,0]
	v_mov_b32_e32 v169, v165
	ds_load_2addr_b64 v[164:167], v226 offset0:11 offset1:12
	v_pk_add_f32 v[38:39], v[38:39], v[170:171] neg_lo:[0,1] neg_hi:[0,1]
	v_pk_add_f32 v[40:41], v[40:41], v[168:169] neg_lo:[0,1] neg_hi:[0,1]
	s_wait_dscnt 0x0
	v_pk_mul_f32 v[168:169], v[164:165], v[162:163] op_sel:[0,1]
	s_delay_alu instid0(VALU_DEP_1) | instskip(SKIP_1) | instid1(VALU_DEP_1)
	v_pk_fma_f32 v[170:171], v[164:165], v[160:161], v[168:169] op_sel:[0,0,1] op_sel_hi:[1,1,0] neg_lo:[0,0,1] neg_hi:[0,0,1]
	v_pk_fma_f32 v[164:165], v[164:165], v[160:161], v[168:169] op_sel:[0,0,1] op_sel_hi:[1,0,0]
	v_mov_b32_e32 v171, v165
	v_pk_mul_f32 v[164:165], v[166:167], v[162:163] op_sel:[0,1]
	s_delay_alu instid0(VALU_DEP_1) | instskip(SKIP_1) | instid1(VALU_DEP_1)
	v_pk_fma_f32 v[168:169], v[166:167], v[160:161], v[164:165] op_sel:[0,0,1] op_sel_hi:[1,1,0] neg_lo:[0,0,1] neg_hi:[0,0,1]
	v_pk_fma_f32 v[164:165], v[166:167], v[160:161], v[164:165] op_sel:[0,0,1] op_sel_hi:[1,0,0]
	v_mov_b32_e32 v169, v165
	ds_load_2addr_b64 v[164:167], v226 offset0:13 offset1:14
	v_pk_add_f32 v[36:37], v[36:37], v[170:171] neg_lo:[0,1] neg_hi:[0,1]
	v_pk_add_f32 v[60:61], v[60:61], v[168:169] neg_lo:[0,1] neg_hi:[0,1]
	s_wait_dscnt 0x0
	v_dual_mul_f32 v168, v165, v163 :: v_dual_mul_f32 v170, v165, v160
	s_delay_alu instid0(VALU_DEP_1) | instskip(NEXT) | instid1(VALU_DEP_2)
	v_pk_fma_f32 v[168:169], v[164:165], v[28:29], v[168:169] op_sel_hi:[1,1,0] neg_lo:[0,0,1] neg_hi:[0,0,1]
	v_pk_fma_f32 v[164:165], v[164:165], v[28:29], v[170:171] op_sel:[1,0,0] op_sel_hi:[0,1,0]
	s_delay_alu instid0(VALU_DEP_1) | instskip(SKIP_1) | instid1(VALU_DEP_2)
	v_mov_b32_e32 v169, v165
	v_pk_mul_f32 v[164:165], v[166:167], v[162:163] op_sel:[0,1]
	v_pk_add_f32 v[78:79], v[78:79], v[168:169] neg_lo:[0,1] neg_hi:[0,1]
	s_delay_alu instid0(VALU_DEP_2) | instskip(SKIP_1) | instid1(VALU_DEP_1)
	v_pk_fma_f32 v[168:169], v[166:167], v[160:161], v[164:165] op_sel:[0,0,1] op_sel_hi:[1,1,0] neg_lo:[0,0,1] neg_hi:[0,0,1]
	v_pk_fma_f32 v[164:165], v[166:167], v[160:161], v[164:165] op_sel:[0,0,1] op_sel_hi:[1,0,0]
	v_mov_b32_e32 v169, v165
	ds_load_2addr_b64 v[164:167], v226 offset0:15 offset1:16
	v_pk_add_f32 v[92:93], v[92:93], v[168:169] neg_lo:[0,1] neg_hi:[0,1]
	s_wait_dscnt 0x0
	v_pk_mul_f32 v[168:169], v[164:165], v[162:163] op_sel:[0,1]
	s_delay_alu instid0(VALU_DEP_1) | instskip(SKIP_1) | instid1(VALU_DEP_1)
	v_pk_fma_f32 v[170:171], v[164:165], v[160:161], v[168:169] op_sel:[0,0,1] op_sel_hi:[1,1,0] neg_lo:[0,0,1] neg_hi:[0,0,1]
	v_pk_fma_f32 v[164:165], v[164:165], v[160:161], v[168:169] op_sel:[0,0,1] op_sel_hi:[1,0,0]
	v_mov_b32_e32 v171, v165
	v_pk_mul_f32 v[164:165], v[166:167], v[162:163] op_sel:[0,1]
	s_delay_alu instid0(VALU_DEP_2) | instskip(NEXT) | instid1(VALU_DEP_2)
	v_pk_add_f32 v[90:91], v[90:91], v[170:171] neg_lo:[0,1] neg_hi:[0,1]
	v_pk_fma_f32 v[168:169], v[166:167], v[160:161], v[164:165] op_sel:[0,0,1] op_sel_hi:[1,1,0] neg_lo:[0,0,1] neg_hi:[0,0,1]
	v_pk_fma_f32 v[164:165], v[166:167], v[160:161], v[164:165] op_sel:[0,0,1] op_sel_hi:[1,0,0]
	s_delay_alu instid0(VALU_DEP_1) | instskip(SKIP_4) | instid1(VALU_DEP_1)
	v_mov_b32_e32 v169, v165
	ds_load_2addr_b64 v[164:167], v226 offset0:17 offset1:18
	v_pk_add_f32 v[116:117], v[116:117], v[168:169] neg_lo:[0,1] neg_hi:[0,1]
	s_wait_dscnt 0x0
	v_pk_mul_f32 v[168:169], v[164:165], v[162:163] op_sel:[0,1]
	v_pk_fma_f32 v[170:171], v[164:165], v[160:161], v[168:169] op_sel:[0,0,1] op_sel_hi:[1,1,0] neg_lo:[0,0,1] neg_hi:[0,0,1]
	v_pk_fma_f32 v[164:165], v[164:165], v[160:161], v[168:169] op_sel:[0,0,1] op_sel_hi:[1,0,0]
	v_dual_mul_f32 v168, v167, v163 :: v_dual_mov_b32 v164, v167
	s_delay_alu instid0(VALU_DEP_2) | instskip(NEXT) | instid1(VALU_DEP_2)
	v_dual_mov_b32 v171, v165 :: v_dual_mov_b32 v165, v166
	v_pk_fma_f32 v[168:169], v[166:167], v[28:29], v[168:169] op_sel_hi:[1,1,0] neg_lo:[0,0,1] neg_hi:[0,0,1]
	v_mul_f32_e32 v166, v167, v160
	s_delay_alu instid0(VALU_DEP_3) | instskip(NEXT) | instid1(VALU_DEP_2)
	v_pk_add_f32 v[88:89], v[88:89], v[170:171] neg_lo:[0,1] neg_hi:[0,1]
	v_pk_fma_f32 v[164:165], v[164:165], v[28:29], v[166:167] op_sel_hi:[1,1,0]
	s_delay_alu instid0(VALU_DEP_1) | instskip(SKIP_4) | instid1(VALU_DEP_1)
	v_mov_b32_e32 v169, v165
	ds_load_2addr_b64 v[164:167], v226 offset0:19 offset1:20
	v_pk_add_f32 v[114:115], v[114:115], v[168:169] neg_lo:[0,1] neg_hi:[0,1]
	s_wait_dscnt 0x0
	v_pk_mul_f32 v[168:169], v[164:165], v[162:163] op_sel:[0,1]
	v_pk_fma_f32 v[170:171], v[164:165], v[160:161], v[168:169] op_sel:[0,0,1] op_sel_hi:[1,1,0] neg_lo:[0,0,1] neg_hi:[0,0,1]
	v_pk_fma_f32 v[164:165], v[164:165], v[160:161], v[168:169] op_sel:[0,0,1] op_sel_hi:[1,0,0]
	s_delay_alu instid0(VALU_DEP_1) | instskip(SKIP_1) | instid1(VALU_DEP_1)
	v_mov_b32_e32 v171, v165
	v_pk_mul_f32 v[164:165], v[166:167], v[162:163] op_sel:[0,1]
	v_pk_fma_f32 v[168:169], v[166:167], v[160:161], v[164:165] op_sel:[0,0,1] op_sel_hi:[1,1,0] neg_lo:[0,0,1] neg_hi:[0,0,1]
	v_pk_fma_f32 v[164:165], v[166:167], v[160:161], v[164:165] op_sel:[0,0,1] op_sel_hi:[1,0,0]
	s_delay_alu instid0(VALU_DEP_1)
	v_mov_b32_e32 v169, v165
	ds_load_2addr_b64 v[164:167], v226 offset0:21 offset1:22
	v_pk_add_f32 v[112:113], v[112:113], v[170:171] neg_lo:[0,1] neg_hi:[0,1]
	v_pk_add_f32 v[132:133], v[132:133], v[168:169] neg_lo:[0,1] neg_hi:[0,1]
	s_wait_dscnt 0x0
	v_pk_mul_f32 v[168:169], v[164:165], v[162:163] op_sel:[0,1]
	s_delay_alu instid0(VALU_DEP_1) | instskip(SKIP_1) | instid1(VALU_DEP_1)
	v_pk_fma_f32 v[170:171], v[164:165], v[160:161], v[168:169] op_sel:[0,0,1] op_sel_hi:[1,1,0] neg_lo:[0,0,1] neg_hi:[0,0,1]
	v_pk_fma_f32 v[164:165], v[164:165], v[160:161], v[168:169] op_sel:[0,0,1] op_sel_hi:[1,0,0]
	v_mov_b32_e32 v171, v165
	v_pk_mul_f32 v[164:165], v[166:167], v[162:163] op_sel:[0,1]
	s_delay_alu instid0(VALU_DEP_1) | instskip(SKIP_1) | instid1(VALU_DEP_1)
	v_pk_fma_f32 v[168:169], v[166:167], v[160:161], v[164:165] op_sel:[0,0,1] op_sel_hi:[1,1,0] neg_lo:[0,0,1] neg_hi:[0,0,1]
	v_pk_fma_f32 v[164:165], v[166:167], v[160:161], v[164:165] op_sel:[0,0,1] op_sel_hi:[1,0,0]
	v_mov_b32_e32 v169, v165
	ds_load_2addr_b64 v[164:167], v226 offset0:23 offset1:24
	v_pk_add_f32 v[102:103], v[102:103], v[170:171] neg_lo:[0,1] neg_hi:[0,1]
	v_pk_add_f32 v[130:131], v[130:131], v[168:169] neg_lo:[0,1] neg_hi:[0,1]
	s_wait_dscnt 0x0
	v_dual_mul_f32 v168, v165, v163 :: v_dual_mul_f32 v170, v165, v160
	s_delay_alu instid0(VALU_DEP_1) | instskip(NEXT) | instid1(VALU_DEP_2)
	v_pk_fma_f32 v[168:169], v[164:165], v[28:29], v[168:169] op_sel_hi:[1,1,0] neg_lo:[0,0,1] neg_hi:[0,0,1]
	v_pk_fma_f32 v[164:165], v[164:165], v[28:29], v[170:171] op_sel:[1,0,0] op_sel_hi:[0,1,0]
	s_delay_alu instid0(VALU_DEP_1) | instskip(SKIP_1) | instid1(VALU_DEP_2)
	v_mov_b32_e32 v169, v165
	v_pk_mul_f32 v[164:165], v[166:167], v[162:163] op_sel:[0,1]
	v_pk_add_f32 v[128:129], v[128:129], v[168:169] neg_lo:[0,1] neg_hi:[0,1]
	s_delay_alu instid0(VALU_DEP_2) | instskip(SKIP_1) | instid1(VALU_DEP_1)
	v_pk_fma_f32 v[168:169], v[166:167], v[160:161], v[164:165] op_sel:[0,0,1] op_sel_hi:[1,1,0] neg_lo:[0,0,1] neg_hi:[0,0,1]
	v_pk_fma_f32 v[164:165], v[166:167], v[160:161], v[164:165] op_sel:[0,0,1] op_sel_hi:[1,0,0]
	v_mov_b32_e32 v169, v165
	ds_load_2addr_b64 v[164:167], v226 offset0:25 offset1:26
	v_pk_add_f32 v[144:145], v[144:145], v[168:169] neg_lo:[0,1] neg_hi:[0,1]
	s_wait_dscnt 0x0
	v_pk_mul_f32 v[168:169], v[164:165], v[162:163] op_sel:[0,1]
	s_delay_alu instid0(VALU_DEP_1) | instskip(SKIP_1) | instid1(VALU_DEP_1)
	v_pk_fma_f32 v[170:171], v[164:165], v[160:161], v[168:169] op_sel:[0,0,1] op_sel_hi:[1,1,0] neg_lo:[0,0,1] neg_hi:[0,0,1]
	v_pk_fma_f32 v[164:165], v[164:165], v[160:161], v[168:169] op_sel:[0,0,1] op_sel_hi:[1,0,0]
	v_mov_b32_e32 v171, v165
	v_pk_mul_f32 v[164:165], v[166:167], v[162:163] op_sel:[0,1]
	s_delay_alu instid0(VALU_DEP_2) | instskip(NEXT) | instid1(VALU_DEP_2)
	v_pk_add_f32 v[148:149], v[148:149], v[170:171] neg_lo:[0,1] neg_hi:[0,1]
	v_pk_fma_f32 v[168:169], v[166:167], v[160:161], v[164:165] op_sel:[0,0,1] op_sel_hi:[1,1,0] neg_lo:[0,0,1] neg_hi:[0,0,1]
	v_pk_fma_f32 v[164:165], v[166:167], v[160:161], v[164:165] op_sel:[0,0,1] op_sel_hi:[1,0,0]
	s_delay_alu instid0(VALU_DEP_1) | instskip(SKIP_4) | instid1(VALU_DEP_1)
	v_mov_b32_e32 v169, v165
	ds_load_2addr_b64 v[164:167], v226 offset0:27 offset1:28
	v_pk_add_f32 v[142:143], v[142:143], v[168:169] neg_lo:[0,1] neg_hi:[0,1]
	s_wait_dscnt 0x0
	v_pk_mul_f32 v[168:169], v[164:165], v[162:163] op_sel:[0,1]
	v_pk_fma_f32 v[170:171], v[164:165], v[160:161], v[168:169] op_sel:[0,0,1] op_sel_hi:[1,1,0] neg_lo:[0,0,1] neg_hi:[0,0,1]
	v_pk_fma_f32 v[164:165], v[164:165], v[160:161], v[168:169] op_sel:[0,0,1] op_sel_hi:[1,0,0]
	v_dual_mul_f32 v168, v167, v163 :: v_dual_mov_b32 v164, v167
	s_delay_alu instid0(VALU_DEP_2) | instskip(NEXT) | instid1(VALU_DEP_2)
	v_dual_mov_b32 v171, v165 :: v_dual_mov_b32 v165, v166
	v_pk_fma_f32 v[168:169], v[166:167], v[28:29], v[168:169] op_sel_hi:[1,1,0] neg_lo:[0,0,1] neg_hi:[0,0,1]
	v_mul_f32_e32 v166, v167, v160
	s_delay_alu instid0(VALU_DEP_3) | instskip(NEXT) | instid1(VALU_DEP_2)
	v_pk_add_f32 v[140:141], v[140:141], v[170:171] neg_lo:[0,1] neg_hi:[0,1]
	v_pk_fma_f32 v[164:165], v[164:165], v[28:29], v[166:167] op_sel_hi:[1,1,0]
	s_delay_alu instid0(VALU_DEP_1) | instskip(SKIP_4) | instid1(VALU_DEP_1)
	v_mov_b32_e32 v169, v165
	ds_load_2addr_b64 v[164:167], v226 offset0:29 offset1:30
	v_pk_add_f32 v[126:127], v[126:127], v[168:169] neg_lo:[0,1] neg_hi:[0,1]
	s_wait_dscnt 0x0
	v_pk_mul_f32 v[168:169], v[164:165], v[162:163] op_sel:[0,1]
	v_pk_fma_f32 v[170:171], v[164:165], v[160:161], v[168:169] op_sel:[0,0,1] op_sel_hi:[1,1,0] neg_lo:[0,0,1] neg_hi:[0,0,1]
	v_pk_fma_f32 v[164:165], v[164:165], v[160:161], v[168:169] op_sel:[0,0,1] op_sel_hi:[1,0,0]
	s_delay_alu instid0(VALU_DEP_1) | instskip(SKIP_1) | instid1(VALU_DEP_1)
	v_mov_b32_e32 v171, v165
	v_pk_mul_f32 v[164:165], v[166:167], v[162:163] op_sel:[0,1]
	v_pk_fma_f32 v[168:169], v[166:167], v[160:161], v[164:165] op_sel:[0,0,1] op_sel_hi:[1,1,0] neg_lo:[0,0,1] neg_hi:[0,0,1]
	v_pk_fma_f32 v[164:165], v[166:167], v[160:161], v[164:165] op_sel:[0,0,1] op_sel_hi:[1,0,0]
	s_delay_alu instid0(VALU_DEP_1)
	v_mov_b32_e32 v169, v165
	ds_load_2addr_b64 v[164:167], v226 offset0:31 offset1:32
	v_pk_add_f32 v[120:121], v[120:121], v[170:171] neg_lo:[0,1] neg_hi:[0,1]
	v_pk_add_f32 v[124:125], v[124:125], v[168:169] neg_lo:[0,1] neg_hi:[0,1]
	s_wait_dscnt 0x0
	v_pk_mul_f32 v[168:169], v[164:165], v[162:163] op_sel:[0,1]
	s_delay_alu instid0(VALU_DEP_1) | instskip(SKIP_1) | instid1(VALU_DEP_1)
	v_pk_fma_f32 v[170:171], v[164:165], v[160:161], v[168:169] op_sel:[0,0,1] op_sel_hi:[1,1,0] neg_lo:[0,0,1] neg_hi:[0,0,1]
	v_pk_fma_f32 v[164:165], v[164:165], v[160:161], v[168:169] op_sel:[0,0,1] op_sel_hi:[1,0,0]
	v_mov_b32_e32 v171, v165
	v_pk_mul_f32 v[164:165], v[166:167], v[162:163] op_sel:[0,1]
	s_delay_alu instid0(VALU_DEP_1) | instskip(SKIP_1) | instid1(VALU_DEP_1)
	v_pk_fma_f32 v[168:169], v[166:167], v[160:161], v[164:165] op_sel:[0,0,1] op_sel_hi:[1,1,0] neg_lo:[0,0,1] neg_hi:[0,0,1]
	v_pk_fma_f32 v[164:165], v[166:167], v[160:161], v[164:165] op_sel:[0,0,1] op_sel_hi:[1,0,0]
	v_mov_b32_e32 v169, v165
	ds_load_2addr_b64 v[164:167], v226 offset0:33 offset1:34
	v_pk_add_f32 v[118:119], v[118:119], v[170:171] neg_lo:[0,1] neg_hi:[0,1]
	v_pk_add_f32 v[122:123], v[122:123], v[168:169] neg_lo:[0,1] neg_hi:[0,1]
	s_wait_dscnt 0x0
	v_dual_mul_f32 v168, v165, v163 :: v_dual_mul_f32 v170, v165, v160
	s_delay_alu instid0(VALU_DEP_1) | instskip(NEXT) | instid1(VALU_DEP_2)
	v_pk_fma_f32 v[168:169], v[164:165], v[28:29], v[168:169] op_sel_hi:[1,1,0] neg_lo:[0,0,1] neg_hi:[0,0,1]
	v_pk_fma_f32 v[164:165], v[164:165], v[28:29], v[170:171] op_sel:[1,0,0] op_sel_hi:[0,1,0]
	s_delay_alu instid0(VALU_DEP_1) | instskip(SKIP_1) | instid1(VALU_DEP_2)
	v_mov_b32_e32 v169, v165
	v_pk_mul_f32 v[164:165], v[166:167], v[162:163] op_sel:[0,1]
	v_pk_add_f32 v[138:139], v[138:139], v[168:169] neg_lo:[0,1] neg_hi:[0,1]
	s_delay_alu instid0(VALU_DEP_2) | instskip(SKIP_1) | instid1(VALU_DEP_1)
	v_pk_fma_f32 v[168:169], v[166:167], v[160:161], v[164:165] op_sel:[0,0,1] op_sel_hi:[1,1,0] neg_lo:[0,0,1] neg_hi:[0,0,1]
	v_pk_fma_f32 v[164:165], v[166:167], v[160:161], v[164:165] op_sel:[0,0,1] op_sel_hi:[1,0,0]
	v_mov_b32_e32 v169, v165
	ds_load_2addr_b64 v[164:167], v226 offset0:35 offset1:36
	v_pk_add_f32 v[136:137], v[136:137], v[168:169] neg_lo:[0,1] neg_hi:[0,1]
	s_wait_dscnt 0x0
	v_pk_mul_f32 v[168:169], v[164:165], v[162:163] op_sel:[0,1]
	v_pk_mul_f32 v[162:163], v[166:167], v[162:163] op_sel:[0,1]
	s_delay_alu instid0(VALU_DEP_2) | instskip(SKIP_1) | instid1(VALU_DEP_1)
	v_pk_fma_f32 v[170:171], v[164:165], v[160:161], v[168:169] op_sel:[0,0,1] op_sel_hi:[1,1,0] neg_lo:[0,0,1] neg_hi:[0,0,1]
	v_pk_fma_f32 v[164:165], v[164:165], v[160:161], v[168:169] op_sel:[0,0,1] op_sel_hi:[1,0,0]
	v_mov_b32_e32 v171, v165
	s_delay_alu instid0(VALU_DEP_4) | instskip(SKIP_1) | instid1(VALU_DEP_3)
	v_pk_fma_f32 v[164:165], v[166:167], v[160:161], v[162:163] op_sel:[0,0,1] op_sel_hi:[1,1,0] neg_lo:[0,0,1] neg_hi:[0,0,1]
	v_pk_fma_f32 v[160:161], v[166:167], v[160:161], v[162:163] op_sel:[0,0,1] op_sel_hi:[1,0,0]
	v_pk_add_f32 v[134:135], v[134:135], v[170:171] neg_lo:[0,1] neg_hi:[0,1]
	s_delay_alu instid0(VALU_DEP_2) | instskip(NEXT) | instid1(VALU_DEP_1)
	v_mov_b32_e32 v165, v161
	v_pk_add_f32 v[146:147], v[146:147], v[164:165] neg_lo:[0,1] neg_hi:[0,1]
.LBB73_46:
	s_or_b32 exec_lo, exec_lo, s1
	s_delay_alu instid0(SALU_CYCLE_1)
	s_mov_b32 s2, exec_lo
	s_wait_dscnt 0x0
	s_barrier_signal -1
	s_barrier_wait -1
	v_cmpx_eq_u32_e32 5, v224
	s_cbranch_execz .LBB73_53
; %bb.47:
	v_dual_mov_b32 v160, v26 :: v_dual_mov_b32 v161, v27
	v_dual_mov_b32 v162, v22 :: v_dual_mov_b32 v163, v23
	;; [unrolled: 1-line block ×8, first 2 shown]
	ds_store_b64 v225, v[24:25]
	ds_store_2addr_b64 v226, v[160:161], v[162:163] offset0:6 offset1:7
	ds_store_2addr_b64 v226, v[164:165], v[166:167] offset0:8 offset1:9
	;; [unrolled: 1-line block ×4, first 2 shown]
	v_dual_mov_b32 v160, v92 :: v_dual_mov_b32 v161, v93
	v_dual_mov_b32 v162, v90 :: v_dual_mov_b32 v163, v91
	;; [unrolled: 1-line block ×12, first 2 shown]
	ds_store_2addr_b64 v226, v[160:161], v[162:163] offset0:14 offset1:15
	ds_store_2addr_b64 v226, v[164:165], v[166:167] offset0:16 offset1:17
	ds_store_2addr_b64 v226, v[168:169], v[170:171] offset0:18 offset1:19
	ds_store_2addr_b64 v226, v[172:173], v[174:175] offset0:20 offset1:21
	ds_store_2addr_b64 v226, v[176:177], v[178:179] offset0:22 offset1:23
	ds_store_2addr_b64 v226, v[180:181], v[182:183] offset0:24 offset1:25
	v_dual_mov_b32 v160, v142 :: v_dual_mov_b32 v161, v143
	v_dual_mov_b32 v162, v140 :: v_dual_mov_b32 v163, v141
	;; [unrolled: 1-line block ×10, first 2 shown]
	ds_store_2addr_b64 v226, v[160:161], v[162:163] offset0:26 offset1:27
	ds_store_2addr_b64 v226, v[164:165], v[166:167] offset0:28 offset1:29
	ds_store_2addr_b64 v226, v[168:169], v[170:171] offset0:30 offset1:31
	ds_store_2addr_b64 v226, v[172:173], v[174:175] offset0:32 offset1:33
	ds_store_2addr_b64 v226, v[176:177], v[178:179] offset0:34 offset1:35
	ds_store_b64 v226, v[146:147] offset:288
	ds_load_b64 v[160:161], v225
	s_wait_dscnt 0x0
	v_cmp_neq_f32_e32 vcc_lo, 0, v160
	v_cmp_neq_f32_e64 s1, 0, v161
	s_or_b32 s1, vcc_lo, s1
	s_delay_alu instid0(SALU_CYCLE_1)
	s_and_b32 exec_lo, exec_lo, s1
	s_cbranch_execz .LBB73_53
; %bb.48:
	v_cmp_ngt_f32_e64 s1, |v160|, |v161|
                                        ; implicit-def: $vgpr162_vgpr163
	s_and_saveexec_b32 s4, s1
	s_delay_alu instid0(SALU_CYCLE_1)
	s_xor_b32 s1, exec_lo, s4
	s_cbranch_execz .LBB73_50
; %bb.49:
	v_div_scale_f32 v162, null, v161, v161, v160
	v_div_scale_f32 v165, vcc_lo, v160, v161, v160
	s_delay_alu instid0(VALU_DEP_2) | instskip(SKIP_1) | instid1(TRANS32_DEP_1)
	v_rcp_f32_e32 v163, v162
	v_nop
	v_fma_f32 v164, -v162, v163, 1.0
	s_delay_alu instid0(VALU_DEP_1) | instskip(NEXT) | instid1(VALU_DEP_1)
	v_fmac_f32_e32 v163, v164, v163
	v_mul_f32_e32 v164, v165, v163
	s_delay_alu instid0(VALU_DEP_1) | instskip(NEXT) | instid1(VALU_DEP_1)
	v_fma_f32 v166, -v162, v164, v165
	v_fmac_f32_e32 v164, v166, v163
	s_delay_alu instid0(VALU_DEP_1) | instskip(NEXT) | instid1(VALU_DEP_1)
	v_fma_f32 v162, -v162, v164, v165
	v_div_fmas_f32 v162, v162, v163, v164
	s_delay_alu instid0(VALU_DEP_1) | instskip(NEXT) | instid1(VALU_DEP_1)
	v_div_fixup_f32 v162, v162, v161, v160
	v_fmac_f32_e32 v161, v160, v162
	s_delay_alu instid0(VALU_DEP_1) | instskip(SKIP_1) | instid1(VALU_DEP_2)
	v_div_scale_f32 v160, null, v161, v161, 1.0
	v_div_scale_f32 v165, vcc_lo, 1.0, v161, 1.0
	v_rcp_f32_e32 v163, v160
	v_nop
	s_delay_alu instid0(TRANS32_DEP_1) | instskip(NEXT) | instid1(VALU_DEP_1)
	v_fma_f32 v164, -v160, v163, 1.0
	v_fmac_f32_e32 v163, v164, v163
	s_delay_alu instid0(VALU_DEP_1) | instskip(NEXT) | instid1(VALU_DEP_1)
	v_mul_f32_e32 v164, v165, v163
	v_fma_f32 v166, -v160, v164, v165
	s_delay_alu instid0(VALU_DEP_1) | instskip(NEXT) | instid1(VALU_DEP_1)
	v_fmac_f32_e32 v164, v166, v163
	v_fma_f32 v160, -v160, v164, v165
	s_delay_alu instid0(VALU_DEP_1) | instskip(NEXT) | instid1(VALU_DEP_1)
	v_div_fmas_f32 v160, v160, v163, v164
	v_div_fixup_f32 v160, v160, v161, 1.0
	s_delay_alu instid0(VALU_DEP_1)
	v_mul_f32_e32 v162, v162, v160
	v_xor_b32_e32 v163, 0x80000000, v160
                                        ; implicit-def: $vgpr160_vgpr161
.LBB73_50:
	s_and_not1_saveexec_b32 s1, s1
	s_cbranch_execz .LBB73_52
; %bb.51:
	v_div_scale_f32 v162, null, v160, v160, v161
	v_div_scale_f32 v165, vcc_lo, v161, v160, v161
	s_delay_alu instid0(VALU_DEP_2) | instskip(SKIP_1) | instid1(TRANS32_DEP_1)
	v_rcp_f32_e32 v163, v162
	v_nop
	v_fma_f32 v164, -v162, v163, 1.0
	s_delay_alu instid0(VALU_DEP_1) | instskip(NEXT) | instid1(VALU_DEP_1)
	v_fmac_f32_e32 v163, v164, v163
	v_mul_f32_e32 v164, v165, v163
	s_delay_alu instid0(VALU_DEP_1) | instskip(NEXT) | instid1(VALU_DEP_1)
	v_fma_f32 v166, -v162, v164, v165
	v_fmac_f32_e32 v164, v166, v163
	s_delay_alu instid0(VALU_DEP_1) | instskip(NEXT) | instid1(VALU_DEP_1)
	v_fma_f32 v162, -v162, v164, v165
	v_div_fmas_f32 v162, v162, v163, v164
	s_delay_alu instid0(VALU_DEP_1) | instskip(NEXT) | instid1(VALU_DEP_1)
	v_div_fixup_f32 v163, v162, v160, v161
	v_fmac_f32_e32 v160, v161, v163
	s_delay_alu instid0(VALU_DEP_1) | instskip(NEXT) | instid1(VALU_DEP_1)
	v_div_scale_f32 v161, null, v160, v160, 1.0
	v_rcp_f32_e32 v162, v161
	v_nop
	s_delay_alu instid0(TRANS32_DEP_1) | instskip(NEXT) | instid1(VALU_DEP_1)
	v_fma_f32 v164, -v161, v162, 1.0
	v_fmac_f32_e32 v162, v164, v162
	v_div_scale_f32 v164, vcc_lo, 1.0, v160, 1.0
	s_delay_alu instid0(VALU_DEP_1) | instskip(NEXT) | instid1(VALU_DEP_1)
	v_mul_f32_e32 v165, v164, v162
	v_fma_f32 v166, -v161, v165, v164
	s_delay_alu instid0(VALU_DEP_1) | instskip(NEXT) | instid1(VALU_DEP_1)
	v_fmac_f32_e32 v165, v166, v162
	v_fma_f32 v161, -v161, v165, v164
	s_delay_alu instid0(VALU_DEP_1) | instskip(NEXT) | instid1(VALU_DEP_1)
	v_div_fmas_f32 v161, v161, v162, v165
	v_div_fixup_f32 v162, v161, v160, 1.0
	s_delay_alu instid0(VALU_DEP_1)
	v_mul_f32_e64 v163, v163, -v162
.LBB73_52:
	s_or_b32 exec_lo, exec_lo, s1
	ds_store_b64 v225, v[162:163]
.LBB73_53:
	s_or_b32 exec_lo, exec_lo, s2
	s_wait_dscnt 0x0
	s_barrier_signal -1
	s_barrier_wait -1
	ds_load_b64 v[160:161], v225
	s_mov_b32 s1, exec_lo
	v_cmpx_lt_u32_e32 5, v224
	s_cbranch_execz .LBB73_55
; %bb.54:
	ds_load_2addr_b64 v[166:169], v226 offset0:6 offset1:7
	s_wait_dscnt 0x1
	v_pk_mul_f32 v[164:165], v[160:161], v[24:25] op_sel:[1,1] op_sel_hi:[0,1]
	s_delay_alu instid0(VALU_DEP_1) | instskip(SKIP_1) | instid1(VALU_DEP_1)
	v_pk_fma_f32 v[162:163], v[160:161], v[24:25], v[164:165] op_sel_hi:[1,0,1] neg_lo:[0,0,1] neg_hi:[0,0,1]
	v_pk_fma_f32 v[164:165], v[160:161], v[24:25], v[164:165] op_sel_hi:[1,0,1]
	v_dual_mov_b32 v24, v162 :: v_dual_mov_b32 v25, v165
	s_wait_dscnt 0x0
	s_delay_alu instid0(VALU_DEP_2) | instskip(NEXT) | instid1(VALU_DEP_1)
	v_pk_mul_f32 v[170:171], v[166:167], v[164:165] op_sel:[0,1]
	v_pk_fma_f32 v[172:173], v[166:167], v[162:163], v[170:171] op_sel:[0,0,1] op_sel_hi:[1,1,0] neg_lo:[0,0,1] neg_hi:[0,0,1]
	v_pk_fma_f32 v[166:167], v[166:167], v[162:163], v[170:171] op_sel:[0,0,1] op_sel_hi:[1,0,0]
	s_delay_alu instid0(VALU_DEP_1) | instskip(SKIP_1) | instid1(VALU_DEP_1)
	v_mov_b32_e32 v173, v167
	v_pk_mul_f32 v[166:167], v[168:169], v[164:165] op_sel:[0,1]
	v_pk_fma_f32 v[170:171], v[168:169], v[162:163], v[166:167] op_sel:[0,0,1] op_sel_hi:[1,1,0] neg_lo:[0,0,1] neg_hi:[0,0,1]
	v_pk_fma_f32 v[166:167], v[168:169], v[162:163], v[166:167] op_sel:[0,0,1] op_sel_hi:[1,0,0]
	s_delay_alu instid0(VALU_DEP_1)
	v_mov_b32_e32 v171, v167
	ds_load_2addr_b64 v[166:169], v226 offset0:8 offset1:9
	v_pk_add_f32 v[26:27], v[26:27], v[172:173] neg_lo:[0,1] neg_hi:[0,1]
	v_pk_add_f32 v[22:23], v[22:23], v[170:171] neg_lo:[0,1] neg_hi:[0,1]
	s_wait_dscnt 0x0
	v_pk_mul_f32 v[170:171], v[166:167], v[164:165] op_sel:[0,1]
	s_delay_alu instid0(VALU_DEP_1) | instskip(SKIP_2) | instid1(VALU_DEP_2)
	v_pk_fma_f32 v[172:173], v[166:167], v[162:163], v[170:171] op_sel:[0,0,1] op_sel_hi:[1,1,0] neg_lo:[0,0,1] neg_hi:[0,0,1]
	v_pk_fma_f32 v[166:167], v[166:167], v[162:163], v[170:171] op_sel:[0,0,1] op_sel_hi:[1,0,0]
	v_dual_mul_f32 v170, v169, v165 :: v_dual_mov_b32 v166, v169
	v_dual_mov_b32 v173, v167 :: v_dual_mov_b32 v167, v168
	s_delay_alu instid0(VALU_DEP_2) | instskip(SKIP_1) | instid1(VALU_DEP_3)
	v_pk_fma_f32 v[170:171], v[168:169], v[24:25], v[170:171] op_sel_hi:[1,1,0] neg_lo:[0,0,1] neg_hi:[0,0,1]
	v_mul_f32_e32 v168, v169, v162
	v_pk_add_f32 v[42:43], v[42:43], v[172:173] neg_lo:[0,1] neg_hi:[0,1]
	s_delay_alu instid0(VALU_DEP_2) | instskip(NEXT) | instid1(VALU_DEP_1)
	v_pk_fma_f32 v[166:167], v[166:167], v[24:25], v[168:169] op_sel_hi:[1,1,0]
	v_mov_b32_e32 v171, v167
	ds_load_2addr_b64 v[166:169], v226 offset0:10 offset1:11
	v_pk_add_f32 v[38:39], v[38:39], v[170:171] neg_lo:[0,1] neg_hi:[0,1]
	s_wait_dscnt 0x0
	v_pk_mul_f32 v[170:171], v[166:167], v[164:165] op_sel:[0,1]
	s_delay_alu instid0(VALU_DEP_1) | instskip(SKIP_1) | instid1(VALU_DEP_1)
	v_pk_fma_f32 v[172:173], v[166:167], v[162:163], v[170:171] op_sel:[0,0,1] op_sel_hi:[1,1,0] neg_lo:[0,0,1] neg_hi:[0,0,1]
	v_pk_fma_f32 v[166:167], v[166:167], v[162:163], v[170:171] op_sel:[0,0,1] op_sel_hi:[1,0,0]
	v_mov_b32_e32 v173, v167
	v_pk_mul_f32 v[166:167], v[168:169], v[164:165] op_sel:[0,1]
	s_delay_alu instid0(VALU_DEP_1) | instskip(SKIP_1) | instid1(VALU_DEP_1)
	v_pk_fma_f32 v[170:171], v[168:169], v[162:163], v[166:167] op_sel:[0,0,1] op_sel_hi:[1,1,0] neg_lo:[0,0,1] neg_hi:[0,0,1]
	v_pk_fma_f32 v[166:167], v[168:169], v[162:163], v[166:167] op_sel:[0,0,1] op_sel_hi:[1,0,0]
	v_mov_b32_e32 v171, v167
	ds_load_2addr_b64 v[166:169], v226 offset0:12 offset1:13
	v_pk_add_f32 v[40:41], v[40:41], v[172:173] neg_lo:[0,1] neg_hi:[0,1]
	v_pk_add_f32 v[36:37], v[36:37], v[170:171] neg_lo:[0,1] neg_hi:[0,1]
	s_wait_dscnt 0x0
	v_pk_mul_f32 v[170:171], v[166:167], v[164:165] op_sel:[0,1]
	s_delay_alu instid0(VALU_DEP_1) | instskip(SKIP_1) | instid1(VALU_DEP_1)
	v_pk_fma_f32 v[172:173], v[166:167], v[162:163], v[170:171] op_sel:[0,0,1] op_sel_hi:[1,1,0] neg_lo:[0,0,1] neg_hi:[0,0,1]
	v_pk_fma_f32 v[166:167], v[166:167], v[162:163], v[170:171] op_sel:[0,0,1] op_sel_hi:[1,0,0]
	v_mov_b32_e32 v173, v167
	v_pk_mul_f32 v[166:167], v[168:169], v[164:165] op_sel:[0,1]
	s_delay_alu instid0(VALU_DEP_1) | instskip(SKIP_1) | instid1(VALU_DEP_1)
	v_pk_fma_f32 v[170:171], v[168:169], v[162:163], v[166:167] op_sel:[0,0,1] op_sel_hi:[1,1,0] neg_lo:[0,0,1] neg_hi:[0,0,1]
	v_pk_fma_f32 v[166:167], v[168:169], v[162:163], v[166:167] op_sel:[0,0,1] op_sel_hi:[1,0,0]
	v_mov_b32_e32 v171, v167
	ds_load_2addr_b64 v[166:169], v226 offset0:14 offset1:15
	v_pk_add_f32 v[60:61], v[60:61], v[172:173] neg_lo:[0,1] neg_hi:[0,1]
	v_pk_add_f32 v[78:79], v[78:79], v[170:171] neg_lo:[0,1] neg_hi:[0,1]
	s_wait_dscnt 0x0
	v_dual_mul_f32 v170, v167, v165 :: v_dual_mul_f32 v172, v167, v162
	s_delay_alu instid0(VALU_DEP_1) | instskip(NEXT) | instid1(VALU_DEP_2)
	v_pk_fma_f32 v[170:171], v[166:167], v[24:25], v[170:171] op_sel_hi:[1,1,0] neg_lo:[0,0,1] neg_hi:[0,0,1]
	v_pk_fma_f32 v[166:167], v[166:167], v[24:25], v[172:173] op_sel:[1,0,0] op_sel_hi:[0,1,0]
	s_delay_alu instid0(VALU_DEP_1) | instskip(SKIP_1) | instid1(VALU_DEP_2)
	v_mov_b32_e32 v171, v167
	v_pk_mul_f32 v[166:167], v[168:169], v[164:165] op_sel:[0,1]
	v_pk_add_f32 v[92:93], v[92:93], v[170:171] neg_lo:[0,1] neg_hi:[0,1]
	s_delay_alu instid0(VALU_DEP_2) | instskip(SKIP_1) | instid1(VALU_DEP_1)
	v_pk_fma_f32 v[170:171], v[168:169], v[162:163], v[166:167] op_sel:[0,0,1] op_sel_hi:[1,1,0] neg_lo:[0,0,1] neg_hi:[0,0,1]
	v_pk_fma_f32 v[166:167], v[168:169], v[162:163], v[166:167] op_sel:[0,0,1] op_sel_hi:[1,0,0]
	v_mov_b32_e32 v171, v167
	ds_load_2addr_b64 v[166:169], v226 offset0:16 offset1:17
	v_pk_add_f32 v[90:91], v[90:91], v[170:171] neg_lo:[0,1] neg_hi:[0,1]
	s_wait_dscnt 0x0
	v_pk_mul_f32 v[170:171], v[166:167], v[164:165] op_sel:[0,1]
	s_delay_alu instid0(VALU_DEP_1) | instskip(SKIP_1) | instid1(VALU_DEP_1)
	v_pk_fma_f32 v[172:173], v[166:167], v[162:163], v[170:171] op_sel:[0,0,1] op_sel_hi:[1,1,0] neg_lo:[0,0,1] neg_hi:[0,0,1]
	v_pk_fma_f32 v[166:167], v[166:167], v[162:163], v[170:171] op_sel:[0,0,1] op_sel_hi:[1,0,0]
	v_mov_b32_e32 v173, v167
	v_pk_mul_f32 v[166:167], v[168:169], v[164:165] op_sel:[0,1]
	s_delay_alu instid0(VALU_DEP_2) | instskip(NEXT) | instid1(VALU_DEP_2)
	v_pk_add_f32 v[116:117], v[116:117], v[172:173] neg_lo:[0,1] neg_hi:[0,1]
	v_pk_fma_f32 v[170:171], v[168:169], v[162:163], v[166:167] op_sel:[0,0,1] op_sel_hi:[1,1,0] neg_lo:[0,0,1] neg_hi:[0,0,1]
	v_pk_fma_f32 v[166:167], v[168:169], v[162:163], v[166:167] op_sel:[0,0,1] op_sel_hi:[1,0,0]
	s_delay_alu instid0(VALU_DEP_1) | instskip(SKIP_4) | instid1(VALU_DEP_1)
	v_mov_b32_e32 v171, v167
	ds_load_2addr_b64 v[166:169], v226 offset0:18 offset1:19
	v_pk_add_f32 v[88:89], v[88:89], v[170:171] neg_lo:[0,1] neg_hi:[0,1]
	s_wait_dscnt 0x0
	v_pk_mul_f32 v[170:171], v[166:167], v[164:165] op_sel:[0,1]
	v_pk_fma_f32 v[172:173], v[166:167], v[162:163], v[170:171] op_sel:[0,0,1] op_sel_hi:[1,1,0] neg_lo:[0,0,1] neg_hi:[0,0,1]
	v_pk_fma_f32 v[166:167], v[166:167], v[162:163], v[170:171] op_sel:[0,0,1] op_sel_hi:[1,0,0]
	v_dual_mul_f32 v170, v169, v165 :: v_dual_mov_b32 v166, v169
	s_delay_alu instid0(VALU_DEP_2) | instskip(NEXT) | instid1(VALU_DEP_2)
	v_dual_mov_b32 v173, v167 :: v_dual_mov_b32 v167, v168
	v_pk_fma_f32 v[170:171], v[168:169], v[24:25], v[170:171] op_sel_hi:[1,1,0] neg_lo:[0,0,1] neg_hi:[0,0,1]
	v_mul_f32_e32 v168, v169, v162
	s_delay_alu instid0(VALU_DEP_3) | instskip(NEXT) | instid1(VALU_DEP_2)
	v_pk_add_f32 v[114:115], v[114:115], v[172:173] neg_lo:[0,1] neg_hi:[0,1]
	v_pk_fma_f32 v[166:167], v[166:167], v[24:25], v[168:169] op_sel_hi:[1,1,0]
	s_delay_alu instid0(VALU_DEP_1) | instskip(SKIP_4) | instid1(VALU_DEP_1)
	v_mov_b32_e32 v171, v167
	ds_load_2addr_b64 v[166:169], v226 offset0:20 offset1:21
	v_pk_add_f32 v[112:113], v[112:113], v[170:171] neg_lo:[0,1] neg_hi:[0,1]
	s_wait_dscnt 0x0
	v_pk_mul_f32 v[170:171], v[166:167], v[164:165] op_sel:[0,1]
	v_pk_fma_f32 v[172:173], v[166:167], v[162:163], v[170:171] op_sel:[0,0,1] op_sel_hi:[1,1,0] neg_lo:[0,0,1] neg_hi:[0,0,1]
	v_pk_fma_f32 v[166:167], v[166:167], v[162:163], v[170:171] op_sel:[0,0,1] op_sel_hi:[1,0,0]
	s_delay_alu instid0(VALU_DEP_1) | instskip(SKIP_1) | instid1(VALU_DEP_1)
	v_mov_b32_e32 v173, v167
	v_pk_mul_f32 v[166:167], v[168:169], v[164:165] op_sel:[0,1]
	v_pk_fma_f32 v[170:171], v[168:169], v[162:163], v[166:167] op_sel:[0,0,1] op_sel_hi:[1,1,0] neg_lo:[0,0,1] neg_hi:[0,0,1]
	v_pk_fma_f32 v[166:167], v[168:169], v[162:163], v[166:167] op_sel:[0,0,1] op_sel_hi:[1,0,0]
	s_delay_alu instid0(VALU_DEP_1)
	v_mov_b32_e32 v171, v167
	ds_load_2addr_b64 v[166:169], v226 offset0:22 offset1:23
	v_pk_add_f32 v[132:133], v[132:133], v[172:173] neg_lo:[0,1] neg_hi:[0,1]
	v_pk_add_f32 v[102:103], v[102:103], v[170:171] neg_lo:[0,1] neg_hi:[0,1]
	s_wait_dscnt 0x0
	v_pk_mul_f32 v[170:171], v[166:167], v[164:165] op_sel:[0,1]
	s_delay_alu instid0(VALU_DEP_1) | instskip(SKIP_1) | instid1(VALU_DEP_1)
	v_pk_fma_f32 v[172:173], v[166:167], v[162:163], v[170:171] op_sel:[0,0,1] op_sel_hi:[1,1,0] neg_lo:[0,0,1] neg_hi:[0,0,1]
	v_pk_fma_f32 v[166:167], v[166:167], v[162:163], v[170:171] op_sel:[0,0,1] op_sel_hi:[1,0,0]
	v_mov_b32_e32 v173, v167
	v_pk_mul_f32 v[166:167], v[168:169], v[164:165] op_sel:[0,1]
	s_delay_alu instid0(VALU_DEP_1) | instskip(SKIP_1) | instid1(VALU_DEP_1)
	v_pk_fma_f32 v[170:171], v[168:169], v[162:163], v[166:167] op_sel:[0,0,1] op_sel_hi:[1,1,0] neg_lo:[0,0,1] neg_hi:[0,0,1]
	v_pk_fma_f32 v[166:167], v[168:169], v[162:163], v[166:167] op_sel:[0,0,1] op_sel_hi:[1,0,0]
	v_mov_b32_e32 v171, v167
	ds_load_2addr_b64 v[166:169], v226 offset0:24 offset1:25
	v_pk_add_f32 v[130:131], v[130:131], v[172:173] neg_lo:[0,1] neg_hi:[0,1]
	v_pk_add_f32 v[128:129], v[128:129], v[170:171] neg_lo:[0,1] neg_hi:[0,1]
	s_wait_dscnt 0x0
	v_dual_mul_f32 v170, v167, v165 :: v_dual_mul_f32 v172, v167, v162
	s_delay_alu instid0(VALU_DEP_1) | instskip(NEXT) | instid1(VALU_DEP_2)
	v_pk_fma_f32 v[170:171], v[166:167], v[24:25], v[170:171] op_sel_hi:[1,1,0] neg_lo:[0,0,1] neg_hi:[0,0,1]
	v_pk_fma_f32 v[166:167], v[166:167], v[24:25], v[172:173] op_sel:[1,0,0] op_sel_hi:[0,1,0]
	s_delay_alu instid0(VALU_DEP_1) | instskip(SKIP_1) | instid1(VALU_DEP_2)
	v_mov_b32_e32 v171, v167
	v_pk_mul_f32 v[166:167], v[168:169], v[164:165] op_sel:[0,1]
	v_pk_add_f32 v[144:145], v[144:145], v[170:171] neg_lo:[0,1] neg_hi:[0,1]
	s_delay_alu instid0(VALU_DEP_2) | instskip(SKIP_1) | instid1(VALU_DEP_1)
	v_pk_fma_f32 v[170:171], v[168:169], v[162:163], v[166:167] op_sel:[0,0,1] op_sel_hi:[1,1,0] neg_lo:[0,0,1] neg_hi:[0,0,1]
	v_pk_fma_f32 v[166:167], v[168:169], v[162:163], v[166:167] op_sel:[0,0,1] op_sel_hi:[1,0,0]
	v_mov_b32_e32 v171, v167
	ds_load_2addr_b64 v[166:169], v226 offset0:26 offset1:27
	v_pk_add_f32 v[148:149], v[148:149], v[170:171] neg_lo:[0,1] neg_hi:[0,1]
	s_wait_dscnt 0x0
	v_pk_mul_f32 v[170:171], v[166:167], v[164:165] op_sel:[0,1]
	s_delay_alu instid0(VALU_DEP_1) | instskip(SKIP_1) | instid1(VALU_DEP_1)
	v_pk_fma_f32 v[172:173], v[166:167], v[162:163], v[170:171] op_sel:[0,0,1] op_sel_hi:[1,1,0] neg_lo:[0,0,1] neg_hi:[0,0,1]
	v_pk_fma_f32 v[166:167], v[166:167], v[162:163], v[170:171] op_sel:[0,0,1] op_sel_hi:[1,0,0]
	v_mov_b32_e32 v173, v167
	v_pk_mul_f32 v[166:167], v[168:169], v[164:165] op_sel:[0,1]
	s_delay_alu instid0(VALU_DEP_2) | instskip(NEXT) | instid1(VALU_DEP_2)
	v_pk_add_f32 v[142:143], v[142:143], v[172:173] neg_lo:[0,1] neg_hi:[0,1]
	v_pk_fma_f32 v[170:171], v[168:169], v[162:163], v[166:167] op_sel:[0,0,1] op_sel_hi:[1,1,0] neg_lo:[0,0,1] neg_hi:[0,0,1]
	v_pk_fma_f32 v[166:167], v[168:169], v[162:163], v[166:167] op_sel:[0,0,1] op_sel_hi:[1,0,0]
	s_delay_alu instid0(VALU_DEP_1) | instskip(SKIP_4) | instid1(VALU_DEP_1)
	v_mov_b32_e32 v171, v167
	ds_load_2addr_b64 v[166:169], v226 offset0:28 offset1:29
	v_pk_add_f32 v[140:141], v[140:141], v[170:171] neg_lo:[0,1] neg_hi:[0,1]
	s_wait_dscnt 0x0
	v_pk_mul_f32 v[170:171], v[166:167], v[164:165] op_sel:[0,1]
	v_pk_fma_f32 v[172:173], v[166:167], v[162:163], v[170:171] op_sel:[0,0,1] op_sel_hi:[1,1,0] neg_lo:[0,0,1] neg_hi:[0,0,1]
	v_pk_fma_f32 v[166:167], v[166:167], v[162:163], v[170:171] op_sel:[0,0,1] op_sel_hi:[1,0,0]
	v_dual_mul_f32 v170, v169, v165 :: v_dual_mov_b32 v166, v169
	s_delay_alu instid0(VALU_DEP_2) | instskip(NEXT) | instid1(VALU_DEP_2)
	v_dual_mov_b32 v173, v167 :: v_dual_mov_b32 v167, v168
	v_pk_fma_f32 v[170:171], v[168:169], v[24:25], v[170:171] op_sel_hi:[1,1,0] neg_lo:[0,0,1] neg_hi:[0,0,1]
	v_mul_f32_e32 v168, v169, v162
	s_delay_alu instid0(VALU_DEP_3) | instskip(NEXT) | instid1(VALU_DEP_2)
	v_pk_add_f32 v[126:127], v[126:127], v[172:173] neg_lo:[0,1] neg_hi:[0,1]
	v_pk_fma_f32 v[166:167], v[166:167], v[24:25], v[168:169] op_sel_hi:[1,1,0]
	s_delay_alu instid0(VALU_DEP_1) | instskip(SKIP_4) | instid1(VALU_DEP_1)
	v_mov_b32_e32 v171, v167
	ds_load_2addr_b64 v[166:169], v226 offset0:30 offset1:31
	v_pk_add_f32 v[120:121], v[120:121], v[170:171] neg_lo:[0,1] neg_hi:[0,1]
	s_wait_dscnt 0x0
	v_pk_mul_f32 v[170:171], v[166:167], v[164:165] op_sel:[0,1]
	v_pk_fma_f32 v[172:173], v[166:167], v[162:163], v[170:171] op_sel:[0,0,1] op_sel_hi:[1,1,0] neg_lo:[0,0,1] neg_hi:[0,0,1]
	v_pk_fma_f32 v[166:167], v[166:167], v[162:163], v[170:171] op_sel:[0,0,1] op_sel_hi:[1,0,0]
	s_delay_alu instid0(VALU_DEP_1) | instskip(SKIP_1) | instid1(VALU_DEP_1)
	v_mov_b32_e32 v173, v167
	v_pk_mul_f32 v[166:167], v[168:169], v[164:165] op_sel:[0,1]
	v_pk_fma_f32 v[170:171], v[168:169], v[162:163], v[166:167] op_sel:[0,0,1] op_sel_hi:[1,1,0] neg_lo:[0,0,1] neg_hi:[0,0,1]
	v_pk_fma_f32 v[166:167], v[168:169], v[162:163], v[166:167] op_sel:[0,0,1] op_sel_hi:[1,0,0]
	s_delay_alu instid0(VALU_DEP_1)
	v_mov_b32_e32 v171, v167
	ds_load_2addr_b64 v[166:169], v226 offset0:32 offset1:33
	v_pk_add_f32 v[124:125], v[124:125], v[172:173] neg_lo:[0,1] neg_hi:[0,1]
	v_pk_add_f32 v[118:119], v[118:119], v[170:171] neg_lo:[0,1] neg_hi:[0,1]
	s_wait_dscnt 0x0
	v_pk_mul_f32 v[170:171], v[166:167], v[164:165] op_sel:[0,1]
	s_delay_alu instid0(VALU_DEP_1) | instskip(SKIP_1) | instid1(VALU_DEP_1)
	v_pk_fma_f32 v[172:173], v[166:167], v[162:163], v[170:171] op_sel:[0,0,1] op_sel_hi:[1,1,0] neg_lo:[0,0,1] neg_hi:[0,0,1]
	v_pk_fma_f32 v[166:167], v[166:167], v[162:163], v[170:171] op_sel:[0,0,1] op_sel_hi:[1,0,0]
	v_mov_b32_e32 v173, v167
	v_pk_mul_f32 v[166:167], v[168:169], v[164:165] op_sel:[0,1]
	s_delay_alu instid0(VALU_DEP_1) | instskip(SKIP_1) | instid1(VALU_DEP_1)
	v_pk_fma_f32 v[170:171], v[168:169], v[162:163], v[166:167] op_sel:[0,0,1] op_sel_hi:[1,1,0] neg_lo:[0,0,1] neg_hi:[0,0,1]
	v_pk_fma_f32 v[166:167], v[168:169], v[162:163], v[166:167] op_sel:[0,0,1] op_sel_hi:[1,0,0]
	v_mov_b32_e32 v171, v167
	ds_load_2addr_b64 v[166:169], v226 offset0:34 offset1:35
	v_pk_add_f32 v[122:123], v[122:123], v[172:173] neg_lo:[0,1] neg_hi:[0,1]
	v_pk_add_f32 v[138:139], v[138:139], v[170:171] neg_lo:[0,1] neg_hi:[0,1]
	s_wait_dscnt 0x0
	v_dual_mul_f32 v170, v167, v165 :: v_dual_mul_f32 v172, v167, v162
	s_delay_alu instid0(VALU_DEP_1) | instskip(NEXT) | instid1(VALU_DEP_2)
	v_pk_fma_f32 v[170:171], v[166:167], v[24:25], v[170:171] op_sel_hi:[1,1,0] neg_lo:[0,0,1] neg_hi:[0,0,1]
	v_pk_fma_f32 v[166:167], v[166:167], v[24:25], v[172:173] op_sel:[1,0,0] op_sel_hi:[0,1,0]
	s_delay_alu instid0(VALU_DEP_1) | instskip(SKIP_1) | instid1(VALU_DEP_2)
	v_mov_b32_e32 v171, v167
	v_pk_mul_f32 v[166:167], v[168:169], v[164:165] op_sel:[0,1]
	v_pk_add_f32 v[136:137], v[136:137], v[170:171] neg_lo:[0,1] neg_hi:[0,1]
	s_delay_alu instid0(VALU_DEP_2) | instskip(SKIP_1) | instid1(VALU_DEP_1)
	v_pk_fma_f32 v[170:171], v[168:169], v[162:163], v[166:167] op_sel:[0,0,1] op_sel_hi:[1,1,0] neg_lo:[0,0,1] neg_hi:[0,0,1]
	v_pk_fma_f32 v[166:167], v[168:169], v[162:163], v[166:167] op_sel:[0,0,1] op_sel_hi:[1,0,0]
	v_mov_b32_e32 v171, v167
	ds_load_b64 v[166:167], v226 offset:288
	v_pk_add_f32 v[134:135], v[134:135], v[170:171] neg_lo:[0,1] neg_hi:[0,1]
	s_wait_dscnt 0x0
	v_pk_mul_f32 v[164:165], v[166:167], v[164:165] op_sel:[0,1]
	s_delay_alu instid0(VALU_DEP_1) | instskip(SKIP_1) | instid1(VALU_DEP_1)
	v_pk_fma_f32 v[168:169], v[166:167], v[162:163], v[164:165] op_sel:[0,0,1] op_sel_hi:[1,1,0] neg_lo:[0,0,1] neg_hi:[0,0,1]
	v_pk_fma_f32 v[162:163], v[166:167], v[162:163], v[164:165] op_sel:[0,0,1] op_sel_hi:[1,0,0]
	v_mov_b32_e32 v169, v163
	s_delay_alu instid0(VALU_DEP_1)
	v_pk_add_f32 v[146:147], v[146:147], v[168:169] neg_lo:[0,1] neg_hi:[0,1]
.LBB73_55:
	s_or_b32 exec_lo, exec_lo, s1
	s_delay_alu instid0(SALU_CYCLE_1)
	s_mov_b32 s2, exec_lo
	s_wait_dscnt 0x0
	s_barrier_signal -1
	s_barrier_wait -1
	v_cmpx_eq_u32_e32 6, v224
	s_cbranch_execz .LBB73_62
; %bb.56:
	ds_store_b64 v225, v[26:27]
	ds_store_2addr_b64 v226, v[22:23], v[42:43] offset0:7 offset1:8
	ds_store_2addr_b64 v226, v[38:39], v[40:41] offset0:9 offset1:10
	;; [unrolled: 1-line block ×15, first 2 shown]
	ds_load_b64 v[162:163], v225
	s_wait_dscnt 0x0
	v_cmp_neq_f32_e32 vcc_lo, 0, v162
	v_cmp_neq_f32_e64 s1, 0, v163
	s_or_b32 s1, vcc_lo, s1
	s_delay_alu instid0(SALU_CYCLE_1)
	s_and_b32 exec_lo, exec_lo, s1
	s_cbranch_execz .LBB73_62
; %bb.57:
	v_cmp_ngt_f32_e64 s1, |v162|, |v163|
                                        ; implicit-def: $vgpr164_vgpr165
	s_and_saveexec_b32 s4, s1
	s_delay_alu instid0(SALU_CYCLE_1)
	s_xor_b32 s1, exec_lo, s4
	s_cbranch_execz .LBB73_59
; %bb.58:
	v_div_scale_f32 v164, null, v163, v163, v162
	v_div_scale_f32 v167, vcc_lo, v162, v163, v162
	s_delay_alu instid0(VALU_DEP_2) | instskip(SKIP_1) | instid1(TRANS32_DEP_1)
	v_rcp_f32_e32 v165, v164
	v_nop
	v_fma_f32 v166, -v164, v165, 1.0
	s_delay_alu instid0(VALU_DEP_1) | instskip(NEXT) | instid1(VALU_DEP_1)
	v_fmac_f32_e32 v165, v166, v165
	v_mul_f32_e32 v166, v167, v165
	s_delay_alu instid0(VALU_DEP_1) | instskip(NEXT) | instid1(VALU_DEP_1)
	v_fma_f32 v168, -v164, v166, v167
	v_fmac_f32_e32 v166, v168, v165
	s_delay_alu instid0(VALU_DEP_1) | instskip(NEXT) | instid1(VALU_DEP_1)
	v_fma_f32 v164, -v164, v166, v167
	v_div_fmas_f32 v164, v164, v165, v166
	s_delay_alu instid0(VALU_DEP_1) | instskip(NEXT) | instid1(VALU_DEP_1)
	v_div_fixup_f32 v164, v164, v163, v162
	v_fmac_f32_e32 v163, v162, v164
	s_delay_alu instid0(VALU_DEP_1) | instskip(SKIP_1) | instid1(VALU_DEP_2)
	v_div_scale_f32 v162, null, v163, v163, 1.0
	v_div_scale_f32 v167, vcc_lo, 1.0, v163, 1.0
	v_rcp_f32_e32 v165, v162
	v_nop
	s_delay_alu instid0(TRANS32_DEP_1) | instskip(NEXT) | instid1(VALU_DEP_1)
	v_fma_f32 v166, -v162, v165, 1.0
	v_fmac_f32_e32 v165, v166, v165
	s_delay_alu instid0(VALU_DEP_1) | instskip(NEXT) | instid1(VALU_DEP_1)
	v_mul_f32_e32 v166, v167, v165
	v_fma_f32 v168, -v162, v166, v167
	s_delay_alu instid0(VALU_DEP_1) | instskip(NEXT) | instid1(VALU_DEP_1)
	v_fmac_f32_e32 v166, v168, v165
	v_fma_f32 v162, -v162, v166, v167
	s_delay_alu instid0(VALU_DEP_1) | instskip(NEXT) | instid1(VALU_DEP_1)
	v_div_fmas_f32 v162, v162, v165, v166
	v_div_fixup_f32 v162, v162, v163, 1.0
	s_delay_alu instid0(VALU_DEP_1)
	v_mul_f32_e32 v164, v164, v162
	v_xor_b32_e32 v165, 0x80000000, v162
                                        ; implicit-def: $vgpr162_vgpr163
.LBB73_59:
	s_and_not1_saveexec_b32 s1, s1
	s_cbranch_execz .LBB73_61
; %bb.60:
	v_div_scale_f32 v164, null, v162, v162, v163
	v_div_scale_f32 v167, vcc_lo, v163, v162, v163
	s_delay_alu instid0(VALU_DEP_2) | instskip(SKIP_1) | instid1(TRANS32_DEP_1)
	v_rcp_f32_e32 v165, v164
	v_nop
	v_fma_f32 v166, -v164, v165, 1.0
	s_delay_alu instid0(VALU_DEP_1) | instskip(NEXT) | instid1(VALU_DEP_1)
	v_fmac_f32_e32 v165, v166, v165
	v_mul_f32_e32 v166, v167, v165
	s_delay_alu instid0(VALU_DEP_1) | instskip(NEXT) | instid1(VALU_DEP_1)
	v_fma_f32 v168, -v164, v166, v167
	v_fmac_f32_e32 v166, v168, v165
	s_delay_alu instid0(VALU_DEP_1) | instskip(NEXT) | instid1(VALU_DEP_1)
	v_fma_f32 v164, -v164, v166, v167
	v_div_fmas_f32 v164, v164, v165, v166
	s_delay_alu instid0(VALU_DEP_1) | instskip(NEXT) | instid1(VALU_DEP_1)
	v_div_fixup_f32 v165, v164, v162, v163
	v_fmac_f32_e32 v162, v163, v165
	s_delay_alu instid0(VALU_DEP_1) | instskip(NEXT) | instid1(VALU_DEP_1)
	v_div_scale_f32 v163, null, v162, v162, 1.0
	v_rcp_f32_e32 v164, v163
	v_nop
	s_delay_alu instid0(TRANS32_DEP_1) | instskip(NEXT) | instid1(VALU_DEP_1)
	v_fma_f32 v166, -v163, v164, 1.0
	v_fmac_f32_e32 v164, v166, v164
	v_div_scale_f32 v166, vcc_lo, 1.0, v162, 1.0
	s_delay_alu instid0(VALU_DEP_1) | instskip(NEXT) | instid1(VALU_DEP_1)
	v_mul_f32_e32 v167, v166, v164
	v_fma_f32 v168, -v163, v167, v166
	s_delay_alu instid0(VALU_DEP_1) | instskip(NEXT) | instid1(VALU_DEP_1)
	v_fmac_f32_e32 v167, v168, v164
	v_fma_f32 v163, -v163, v167, v166
	s_delay_alu instid0(VALU_DEP_1) | instskip(NEXT) | instid1(VALU_DEP_1)
	v_div_fmas_f32 v163, v163, v164, v167
	v_div_fixup_f32 v164, v163, v162, 1.0
	s_delay_alu instid0(VALU_DEP_1)
	v_mul_f32_e64 v165, v165, -v164
.LBB73_61:
	s_or_b32 exec_lo, exec_lo, s1
	ds_store_b64 v225, v[164:165]
.LBB73_62:
	s_or_b32 exec_lo, exec_lo, s2
	s_wait_dscnt 0x0
	s_barrier_signal -1
	s_barrier_wait -1
	ds_load_b64 v[162:163], v225
	s_mov_b32 s1, exec_lo
	v_cmpx_lt_u32_e32 6, v224
	s_cbranch_execz .LBB73_64
; %bb.63:
	ds_load_2addr_b64 v[168:171], v226 offset0:7 offset1:8
	s_wait_dscnt 0x1
	v_pk_mul_f32 v[166:167], v[162:163], v[26:27] op_sel:[1,1] op_sel_hi:[0,1]
	s_delay_alu instid0(VALU_DEP_1) | instskip(SKIP_1) | instid1(VALU_DEP_1)
	v_pk_fma_f32 v[164:165], v[162:163], v[26:27], v[166:167] op_sel_hi:[1,0,1] neg_lo:[0,0,1] neg_hi:[0,0,1]
	v_pk_fma_f32 v[166:167], v[162:163], v[26:27], v[166:167] op_sel_hi:[1,0,1]
	v_dual_mov_b32 v26, v164 :: v_dual_mov_b32 v27, v167
	s_wait_dscnt 0x0
	s_delay_alu instid0(VALU_DEP_2) | instskip(NEXT) | instid1(VALU_DEP_1)
	v_pk_mul_f32 v[172:173], v[168:169], v[166:167] op_sel:[0,1]
	v_pk_fma_f32 v[174:175], v[168:169], v[164:165], v[172:173] op_sel:[0,0,1] op_sel_hi:[1,1,0] neg_lo:[0,0,1] neg_hi:[0,0,1]
	v_pk_fma_f32 v[168:169], v[168:169], v[164:165], v[172:173] op_sel:[0,0,1] op_sel_hi:[1,0,0]
	s_delay_alu instid0(VALU_DEP_1) | instskip(SKIP_1) | instid1(VALU_DEP_1)
	v_mov_b32_e32 v175, v169
	v_pk_mul_f32 v[168:169], v[170:171], v[166:167] op_sel:[0,1]
	v_pk_fma_f32 v[172:173], v[170:171], v[164:165], v[168:169] op_sel:[0,0,1] op_sel_hi:[1,1,0] neg_lo:[0,0,1] neg_hi:[0,0,1]
	v_pk_fma_f32 v[168:169], v[170:171], v[164:165], v[168:169] op_sel:[0,0,1] op_sel_hi:[1,0,0]
	s_delay_alu instid0(VALU_DEP_1)
	v_mov_b32_e32 v173, v169
	ds_load_2addr_b64 v[168:171], v226 offset0:9 offset1:10
	v_pk_add_f32 v[22:23], v[22:23], v[174:175] neg_lo:[0,1] neg_hi:[0,1]
	v_pk_add_f32 v[42:43], v[42:43], v[172:173] neg_lo:[0,1] neg_hi:[0,1]
	s_wait_dscnt 0x0
	v_pk_mul_f32 v[172:173], v[168:169], v[166:167] op_sel:[0,1]
	s_delay_alu instid0(VALU_DEP_1) | instskip(SKIP_2) | instid1(VALU_DEP_2)
	v_pk_fma_f32 v[174:175], v[168:169], v[164:165], v[172:173] op_sel:[0,0,1] op_sel_hi:[1,1,0] neg_lo:[0,0,1] neg_hi:[0,0,1]
	v_pk_fma_f32 v[168:169], v[168:169], v[164:165], v[172:173] op_sel:[0,0,1] op_sel_hi:[1,0,0]
	v_dual_mul_f32 v172, v171, v167 :: v_dual_mov_b32 v168, v171
	v_dual_mov_b32 v175, v169 :: v_dual_mov_b32 v169, v170
	s_delay_alu instid0(VALU_DEP_2) | instskip(SKIP_1) | instid1(VALU_DEP_3)
	v_pk_fma_f32 v[172:173], v[170:171], v[26:27], v[172:173] op_sel_hi:[1,1,0] neg_lo:[0,0,1] neg_hi:[0,0,1]
	v_mul_f32_e32 v170, v171, v164
	v_pk_add_f32 v[38:39], v[38:39], v[174:175] neg_lo:[0,1] neg_hi:[0,1]
	s_delay_alu instid0(VALU_DEP_2) | instskip(NEXT) | instid1(VALU_DEP_1)
	v_pk_fma_f32 v[168:169], v[168:169], v[26:27], v[170:171] op_sel_hi:[1,1,0]
	v_mov_b32_e32 v173, v169
	ds_load_2addr_b64 v[168:171], v226 offset0:11 offset1:12
	v_pk_add_f32 v[40:41], v[40:41], v[172:173] neg_lo:[0,1] neg_hi:[0,1]
	s_wait_dscnt 0x0
	v_pk_mul_f32 v[172:173], v[168:169], v[166:167] op_sel:[0,1]
	s_delay_alu instid0(VALU_DEP_1) | instskip(SKIP_1) | instid1(VALU_DEP_1)
	v_pk_fma_f32 v[174:175], v[168:169], v[164:165], v[172:173] op_sel:[0,0,1] op_sel_hi:[1,1,0] neg_lo:[0,0,1] neg_hi:[0,0,1]
	v_pk_fma_f32 v[168:169], v[168:169], v[164:165], v[172:173] op_sel:[0,0,1] op_sel_hi:[1,0,0]
	v_mov_b32_e32 v175, v169
	v_pk_mul_f32 v[168:169], v[170:171], v[166:167] op_sel:[0,1]
	s_delay_alu instid0(VALU_DEP_1) | instskip(SKIP_1) | instid1(VALU_DEP_1)
	v_pk_fma_f32 v[172:173], v[170:171], v[164:165], v[168:169] op_sel:[0,0,1] op_sel_hi:[1,1,0] neg_lo:[0,0,1] neg_hi:[0,0,1]
	v_pk_fma_f32 v[168:169], v[170:171], v[164:165], v[168:169] op_sel:[0,0,1] op_sel_hi:[1,0,0]
	v_mov_b32_e32 v173, v169
	ds_load_2addr_b64 v[168:171], v226 offset0:13 offset1:14
	v_pk_add_f32 v[36:37], v[36:37], v[174:175] neg_lo:[0,1] neg_hi:[0,1]
	v_pk_add_f32 v[60:61], v[60:61], v[172:173] neg_lo:[0,1] neg_hi:[0,1]
	s_wait_dscnt 0x0
	v_pk_mul_f32 v[172:173], v[168:169], v[166:167] op_sel:[0,1]
	s_delay_alu instid0(VALU_DEP_1) | instskip(SKIP_1) | instid1(VALU_DEP_1)
	v_pk_fma_f32 v[174:175], v[168:169], v[164:165], v[172:173] op_sel:[0,0,1] op_sel_hi:[1,1,0] neg_lo:[0,0,1] neg_hi:[0,0,1]
	v_pk_fma_f32 v[168:169], v[168:169], v[164:165], v[172:173] op_sel:[0,0,1] op_sel_hi:[1,0,0]
	v_mov_b32_e32 v175, v169
	v_pk_mul_f32 v[168:169], v[170:171], v[166:167] op_sel:[0,1]
	s_delay_alu instid0(VALU_DEP_1) | instskip(SKIP_1) | instid1(VALU_DEP_1)
	v_pk_fma_f32 v[172:173], v[170:171], v[164:165], v[168:169] op_sel:[0,0,1] op_sel_hi:[1,1,0] neg_lo:[0,0,1] neg_hi:[0,0,1]
	v_pk_fma_f32 v[168:169], v[170:171], v[164:165], v[168:169] op_sel:[0,0,1] op_sel_hi:[1,0,0]
	v_mov_b32_e32 v173, v169
	ds_load_2addr_b64 v[168:171], v226 offset0:15 offset1:16
	v_pk_add_f32 v[78:79], v[78:79], v[174:175] neg_lo:[0,1] neg_hi:[0,1]
	v_pk_add_f32 v[92:93], v[92:93], v[172:173] neg_lo:[0,1] neg_hi:[0,1]
	s_wait_dscnt 0x0
	v_dual_mul_f32 v172, v169, v167 :: v_dual_mul_f32 v174, v169, v164
	s_delay_alu instid0(VALU_DEP_1) | instskip(NEXT) | instid1(VALU_DEP_2)
	v_pk_fma_f32 v[172:173], v[168:169], v[26:27], v[172:173] op_sel_hi:[1,1,0] neg_lo:[0,0,1] neg_hi:[0,0,1]
	v_pk_fma_f32 v[168:169], v[168:169], v[26:27], v[174:175] op_sel:[1,0,0] op_sel_hi:[0,1,0]
	s_delay_alu instid0(VALU_DEP_1) | instskip(SKIP_1) | instid1(VALU_DEP_2)
	v_mov_b32_e32 v173, v169
	v_pk_mul_f32 v[168:169], v[170:171], v[166:167] op_sel:[0,1]
	v_pk_add_f32 v[90:91], v[90:91], v[172:173] neg_lo:[0,1] neg_hi:[0,1]
	s_delay_alu instid0(VALU_DEP_2) | instskip(SKIP_1) | instid1(VALU_DEP_1)
	v_pk_fma_f32 v[172:173], v[170:171], v[164:165], v[168:169] op_sel:[0,0,1] op_sel_hi:[1,1,0] neg_lo:[0,0,1] neg_hi:[0,0,1]
	v_pk_fma_f32 v[168:169], v[170:171], v[164:165], v[168:169] op_sel:[0,0,1] op_sel_hi:[1,0,0]
	v_mov_b32_e32 v173, v169
	ds_load_2addr_b64 v[168:171], v226 offset0:17 offset1:18
	v_pk_add_f32 v[116:117], v[116:117], v[172:173] neg_lo:[0,1] neg_hi:[0,1]
	s_wait_dscnt 0x0
	v_pk_mul_f32 v[172:173], v[168:169], v[166:167] op_sel:[0,1]
	s_delay_alu instid0(VALU_DEP_1) | instskip(SKIP_1) | instid1(VALU_DEP_1)
	v_pk_fma_f32 v[174:175], v[168:169], v[164:165], v[172:173] op_sel:[0,0,1] op_sel_hi:[1,1,0] neg_lo:[0,0,1] neg_hi:[0,0,1]
	v_pk_fma_f32 v[168:169], v[168:169], v[164:165], v[172:173] op_sel:[0,0,1] op_sel_hi:[1,0,0]
	v_mov_b32_e32 v175, v169
	v_pk_mul_f32 v[168:169], v[170:171], v[166:167] op_sel:[0,1]
	s_delay_alu instid0(VALU_DEP_2) | instskip(NEXT) | instid1(VALU_DEP_2)
	v_pk_add_f32 v[88:89], v[88:89], v[174:175] neg_lo:[0,1] neg_hi:[0,1]
	v_pk_fma_f32 v[172:173], v[170:171], v[164:165], v[168:169] op_sel:[0,0,1] op_sel_hi:[1,1,0] neg_lo:[0,0,1] neg_hi:[0,0,1]
	v_pk_fma_f32 v[168:169], v[170:171], v[164:165], v[168:169] op_sel:[0,0,1] op_sel_hi:[1,0,0]
	s_delay_alu instid0(VALU_DEP_1) | instskip(SKIP_4) | instid1(VALU_DEP_1)
	v_mov_b32_e32 v173, v169
	ds_load_2addr_b64 v[168:171], v226 offset0:19 offset1:20
	v_pk_add_f32 v[114:115], v[114:115], v[172:173] neg_lo:[0,1] neg_hi:[0,1]
	s_wait_dscnt 0x0
	v_pk_mul_f32 v[172:173], v[168:169], v[166:167] op_sel:[0,1]
	v_pk_fma_f32 v[174:175], v[168:169], v[164:165], v[172:173] op_sel:[0,0,1] op_sel_hi:[1,1,0] neg_lo:[0,0,1] neg_hi:[0,0,1]
	v_pk_fma_f32 v[168:169], v[168:169], v[164:165], v[172:173] op_sel:[0,0,1] op_sel_hi:[1,0,0]
	v_dual_mul_f32 v172, v171, v167 :: v_dual_mov_b32 v168, v171
	s_delay_alu instid0(VALU_DEP_2) | instskip(NEXT) | instid1(VALU_DEP_2)
	v_dual_mov_b32 v175, v169 :: v_dual_mov_b32 v169, v170
	v_pk_fma_f32 v[172:173], v[170:171], v[26:27], v[172:173] op_sel_hi:[1,1,0] neg_lo:[0,0,1] neg_hi:[0,0,1]
	v_mul_f32_e32 v170, v171, v164
	s_delay_alu instid0(VALU_DEP_3) | instskip(NEXT) | instid1(VALU_DEP_2)
	v_pk_add_f32 v[112:113], v[112:113], v[174:175] neg_lo:[0,1] neg_hi:[0,1]
	v_pk_fma_f32 v[168:169], v[168:169], v[26:27], v[170:171] op_sel_hi:[1,1,0]
	s_delay_alu instid0(VALU_DEP_1) | instskip(SKIP_4) | instid1(VALU_DEP_1)
	v_mov_b32_e32 v173, v169
	ds_load_2addr_b64 v[168:171], v226 offset0:21 offset1:22
	v_pk_add_f32 v[132:133], v[132:133], v[172:173] neg_lo:[0,1] neg_hi:[0,1]
	s_wait_dscnt 0x0
	v_pk_mul_f32 v[172:173], v[168:169], v[166:167] op_sel:[0,1]
	v_pk_fma_f32 v[174:175], v[168:169], v[164:165], v[172:173] op_sel:[0,0,1] op_sel_hi:[1,1,0] neg_lo:[0,0,1] neg_hi:[0,0,1]
	v_pk_fma_f32 v[168:169], v[168:169], v[164:165], v[172:173] op_sel:[0,0,1] op_sel_hi:[1,0,0]
	s_delay_alu instid0(VALU_DEP_1) | instskip(SKIP_1) | instid1(VALU_DEP_1)
	v_mov_b32_e32 v175, v169
	v_pk_mul_f32 v[168:169], v[170:171], v[166:167] op_sel:[0,1]
	v_pk_fma_f32 v[172:173], v[170:171], v[164:165], v[168:169] op_sel:[0,0,1] op_sel_hi:[1,1,0] neg_lo:[0,0,1] neg_hi:[0,0,1]
	v_pk_fma_f32 v[168:169], v[170:171], v[164:165], v[168:169] op_sel:[0,0,1] op_sel_hi:[1,0,0]
	s_delay_alu instid0(VALU_DEP_1)
	v_mov_b32_e32 v173, v169
	ds_load_2addr_b64 v[168:171], v226 offset0:23 offset1:24
	v_pk_add_f32 v[102:103], v[102:103], v[174:175] neg_lo:[0,1] neg_hi:[0,1]
	v_pk_add_f32 v[130:131], v[130:131], v[172:173] neg_lo:[0,1] neg_hi:[0,1]
	s_wait_dscnt 0x0
	v_pk_mul_f32 v[172:173], v[168:169], v[166:167] op_sel:[0,1]
	s_delay_alu instid0(VALU_DEP_1) | instskip(SKIP_1) | instid1(VALU_DEP_1)
	v_pk_fma_f32 v[174:175], v[168:169], v[164:165], v[172:173] op_sel:[0,0,1] op_sel_hi:[1,1,0] neg_lo:[0,0,1] neg_hi:[0,0,1]
	v_pk_fma_f32 v[168:169], v[168:169], v[164:165], v[172:173] op_sel:[0,0,1] op_sel_hi:[1,0,0]
	v_mov_b32_e32 v175, v169
	v_pk_mul_f32 v[168:169], v[170:171], v[166:167] op_sel:[0,1]
	s_delay_alu instid0(VALU_DEP_1) | instskip(SKIP_1) | instid1(VALU_DEP_1)
	v_pk_fma_f32 v[172:173], v[170:171], v[164:165], v[168:169] op_sel:[0,0,1] op_sel_hi:[1,1,0] neg_lo:[0,0,1] neg_hi:[0,0,1]
	v_pk_fma_f32 v[168:169], v[170:171], v[164:165], v[168:169] op_sel:[0,0,1] op_sel_hi:[1,0,0]
	v_mov_b32_e32 v173, v169
	ds_load_2addr_b64 v[168:171], v226 offset0:25 offset1:26
	v_pk_add_f32 v[128:129], v[128:129], v[174:175] neg_lo:[0,1] neg_hi:[0,1]
	v_pk_add_f32 v[144:145], v[144:145], v[172:173] neg_lo:[0,1] neg_hi:[0,1]
	s_wait_dscnt 0x0
	v_dual_mul_f32 v172, v169, v167 :: v_dual_mul_f32 v174, v169, v164
	s_delay_alu instid0(VALU_DEP_1) | instskip(NEXT) | instid1(VALU_DEP_2)
	v_pk_fma_f32 v[172:173], v[168:169], v[26:27], v[172:173] op_sel_hi:[1,1,0] neg_lo:[0,0,1] neg_hi:[0,0,1]
	v_pk_fma_f32 v[168:169], v[168:169], v[26:27], v[174:175] op_sel:[1,0,0] op_sel_hi:[0,1,0]
	s_delay_alu instid0(VALU_DEP_1) | instskip(SKIP_1) | instid1(VALU_DEP_2)
	v_mov_b32_e32 v173, v169
	v_pk_mul_f32 v[168:169], v[170:171], v[166:167] op_sel:[0,1]
	v_pk_add_f32 v[148:149], v[148:149], v[172:173] neg_lo:[0,1] neg_hi:[0,1]
	s_delay_alu instid0(VALU_DEP_2) | instskip(SKIP_1) | instid1(VALU_DEP_1)
	v_pk_fma_f32 v[172:173], v[170:171], v[164:165], v[168:169] op_sel:[0,0,1] op_sel_hi:[1,1,0] neg_lo:[0,0,1] neg_hi:[0,0,1]
	v_pk_fma_f32 v[168:169], v[170:171], v[164:165], v[168:169] op_sel:[0,0,1] op_sel_hi:[1,0,0]
	v_mov_b32_e32 v173, v169
	ds_load_2addr_b64 v[168:171], v226 offset0:27 offset1:28
	v_pk_add_f32 v[142:143], v[142:143], v[172:173] neg_lo:[0,1] neg_hi:[0,1]
	s_wait_dscnt 0x0
	v_pk_mul_f32 v[172:173], v[168:169], v[166:167] op_sel:[0,1]
	s_delay_alu instid0(VALU_DEP_1) | instskip(SKIP_1) | instid1(VALU_DEP_1)
	v_pk_fma_f32 v[174:175], v[168:169], v[164:165], v[172:173] op_sel:[0,0,1] op_sel_hi:[1,1,0] neg_lo:[0,0,1] neg_hi:[0,0,1]
	v_pk_fma_f32 v[168:169], v[168:169], v[164:165], v[172:173] op_sel:[0,0,1] op_sel_hi:[1,0,0]
	v_mov_b32_e32 v175, v169
	v_pk_mul_f32 v[168:169], v[170:171], v[166:167] op_sel:[0,1]
	s_delay_alu instid0(VALU_DEP_2) | instskip(NEXT) | instid1(VALU_DEP_2)
	v_pk_add_f32 v[140:141], v[140:141], v[174:175] neg_lo:[0,1] neg_hi:[0,1]
	v_pk_fma_f32 v[172:173], v[170:171], v[164:165], v[168:169] op_sel:[0,0,1] op_sel_hi:[1,1,0] neg_lo:[0,0,1] neg_hi:[0,0,1]
	v_pk_fma_f32 v[168:169], v[170:171], v[164:165], v[168:169] op_sel:[0,0,1] op_sel_hi:[1,0,0]
	s_delay_alu instid0(VALU_DEP_1) | instskip(SKIP_4) | instid1(VALU_DEP_1)
	v_mov_b32_e32 v173, v169
	ds_load_2addr_b64 v[168:171], v226 offset0:29 offset1:30
	v_pk_add_f32 v[126:127], v[126:127], v[172:173] neg_lo:[0,1] neg_hi:[0,1]
	s_wait_dscnt 0x0
	v_pk_mul_f32 v[172:173], v[168:169], v[166:167] op_sel:[0,1]
	v_pk_fma_f32 v[174:175], v[168:169], v[164:165], v[172:173] op_sel:[0,0,1] op_sel_hi:[1,1,0] neg_lo:[0,0,1] neg_hi:[0,0,1]
	v_pk_fma_f32 v[168:169], v[168:169], v[164:165], v[172:173] op_sel:[0,0,1] op_sel_hi:[1,0,0]
	v_dual_mul_f32 v172, v171, v167 :: v_dual_mov_b32 v168, v171
	s_delay_alu instid0(VALU_DEP_2) | instskip(NEXT) | instid1(VALU_DEP_2)
	v_dual_mov_b32 v175, v169 :: v_dual_mov_b32 v169, v170
	v_pk_fma_f32 v[172:173], v[170:171], v[26:27], v[172:173] op_sel_hi:[1,1,0] neg_lo:[0,0,1] neg_hi:[0,0,1]
	v_mul_f32_e32 v170, v171, v164
	s_delay_alu instid0(VALU_DEP_3) | instskip(NEXT) | instid1(VALU_DEP_2)
	v_pk_add_f32 v[120:121], v[120:121], v[174:175] neg_lo:[0,1] neg_hi:[0,1]
	v_pk_fma_f32 v[168:169], v[168:169], v[26:27], v[170:171] op_sel_hi:[1,1,0]
	s_delay_alu instid0(VALU_DEP_1) | instskip(SKIP_4) | instid1(VALU_DEP_1)
	v_mov_b32_e32 v173, v169
	ds_load_2addr_b64 v[168:171], v226 offset0:31 offset1:32
	v_pk_add_f32 v[124:125], v[124:125], v[172:173] neg_lo:[0,1] neg_hi:[0,1]
	s_wait_dscnt 0x0
	v_pk_mul_f32 v[172:173], v[168:169], v[166:167] op_sel:[0,1]
	v_pk_fma_f32 v[174:175], v[168:169], v[164:165], v[172:173] op_sel:[0,0,1] op_sel_hi:[1,1,0] neg_lo:[0,0,1] neg_hi:[0,0,1]
	v_pk_fma_f32 v[168:169], v[168:169], v[164:165], v[172:173] op_sel:[0,0,1] op_sel_hi:[1,0,0]
	s_delay_alu instid0(VALU_DEP_1) | instskip(SKIP_1) | instid1(VALU_DEP_1)
	v_mov_b32_e32 v175, v169
	v_pk_mul_f32 v[168:169], v[170:171], v[166:167] op_sel:[0,1]
	v_pk_fma_f32 v[172:173], v[170:171], v[164:165], v[168:169] op_sel:[0,0,1] op_sel_hi:[1,1,0] neg_lo:[0,0,1] neg_hi:[0,0,1]
	v_pk_fma_f32 v[168:169], v[170:171], v[164:165], v[168:169] op_sel:[0,0,1] op_sel_hi:[1,0,0]
	s_delay_alu instid0(VALU_DEP_1)
	v_mov_b32_e32 v173, v169
	ds_load_2addr_b64 v[168:171], v226 offset0:33 offset1:34
	v_pk_add_f32 v[118:119], v[118:119], v[174:175] neg_lo:[0,1] neg_hi:[0,1]
	v_pk_add_f32 v[122:123], v[122:123], v[172:173] neg_lo:[0,1] neg_hi:[0,1]
	s_wait_dscnt 0x0
	v_pk_mul_f32 v[172:173], v[168:169], v[166:167] op_sel:[0,1]
	s_delay_alu instid0(VALU_DEP_1) | instskip(SKIP_1) | instid1(VALU_DEP_1)
	v_pk_fma_f32 v[174:175], v[168:169], v[164:165], v[172:173] op_sel:[0,0,1] op_sel_hi:[1,1,0] neg_lo:[0,0,1] neg_hi:[0,0,1]
	v_pk_fma_f32 v[168:169], v[168:169], v[164:165], v[172:173] op_sel:[0,0,1] op_sel_hi:[1,0,0]
	v_mov_b32_e32 v175, v169
	v_pk_mul_f32 v[168:169], v[170:171], v[166:167] op_sel:[0,1]
	s_delay_alu instid0(VALU_DEP_1) | instskip(SKIP_1) | instid1(VALU_DEP_1)
	v_pk_fma_f32 v[172:173], v[170:171], v[164:165], v[168:169] op_sel:[0,0,1] op_sel_hi:[1,1,0] neg_lo:[0,0,1] neg_hi:[0,0,1]
	v_pk_fma_f32 v[168:169], v[170:171], v[164:165], v[168:169] op_sel:[0,0,1] op_sel_hi:[1,0,0]
	v_mov_b32_e32 v173, v169
	ds_load_2addr_b64 v[168:171], v226 offset0:35 offset1:36
	v_pk_add_f32 v[138:139], v[138:139], v[174:175] neg_lo:[0,1] neg_hi:[0,1]
	v_pk_add_f32 v[136:137], v[136:137], v[172:173] neg_lo:[0,1] neg_hi:[0,1]
	s_wait_dscnt 0x0
	v_mul_f32_e32 v166, v169, v167
	s_delay_alu instid0(VALU_DEP_1) | instskip(SKIP_1) | instid1(VALU_DEP_1)
	v_pk_fma_f32 v[172:173], v[168:169], v[26:27], v[166:167] op_sel_hi:[1,1,0] neg_lo:[0,0,1] neg_hi:[0,0,1]
	v_dual_mul_f32 v166, v169, v164 :: v_dual_mul_f32 v164, v171, v164
	v_pk_fma_f32 v[168:169], v[168:169], v[26:27], v[166:167] op_sel:[1,0,0] op_sel_hi:[0,1,0]
	v_dual_mov_b32 v168, v171 :: v_dual_mul_f32 v166, v171, v167
	s_delay_alu instid0(VALU_DEP_2) | instskip(NEXT) | instid1(VALU_DEP_2)
	v_dual_mov_b32 v173, v169 :: v_dual_mov_b32 v169, v170
	v_pk_fma_f32 v[166:167], v[170:171], v[26:27], v[166:167] op_sel_hi:[1,1,0] neg_lo:[0,0,1] neg_hi:[0,0,1]
	s_delay_alu instid0(VALU_DEP_2) | instskip(NEXT) | instid1(VALU_DEP_3)
	v_pk_add_f32 v[134:135], v[134:135], v[172:173] neg_lo:[0,1] neg_hi:[0,1]
	v_pk_fma_f32 v[164:165], v[168:169], v[26:27], v[164:165] op_sel_hi:[1,1,0]
	s_delay_alu instid0(VALU_DEP_1) | instskip(NEXT) | instid1(VALU_DEP_1)
	v_mov_b32_e32 v167, v165
	v_pk_add_f32 v[146:147], v[146:147], v[166:167] neg_lo:[0,1] neg_hi:[0,1]
.LBB73_64:
	s_or_b32 exec_lo, exec_lo, s1
	s_delay_alu instid0(SALU_CYCLE_1)
	s_mov_b32 s2, exec_lo
	s_wait_dscnt 0x0
	s_barrier_signal -1
	s_barrier_wait -1
	v_cmpx_eq_u32_e32 7, v224
	s_cbranch_execz .LBB73_71
; %bb.65:
	v_dual_mov_b32 v164, v42 :: v_dual_mov_b32 v165, v43
	v_dual_mov_b32 v166, v38 :: v_dual_mov_b32 v167, v39
	;; [unrolled: 1-line block ×4, first 2 shown]
	ds_store_b64 v225, v[22:23]
	ds_store_2addr_b64 v226, v[164:165], v[166:167] offset0:8 offset1:9
	ds_store_2addr_b64 v226, v[168:169], v[170:171] offset0:10 offset1:11
	v_dual_mov_b32 v164, v60 :: v_dual_mov_b32 v165, v61
	v_dual_mov_b32 v166, v78 :: v_dual_mov_b32 v167, v79
	;; [unrolled: 1-line block ×12, first 2 shown]
	ds_store_2addr_b64 v226, v[164:165], v[166:167] offset0:12 offset1:13
	ds_store_2addr_b64 v226, v[168:169], v[170:171] offset0:14 offset1:15
	;; [unrolled: 1-line block ×6, first 2 shown]
	v_dual_mov_b32 v164, v144 :: v_dual_mov_b32 v165, v145
	v_dual_mov_b32 v166, v148 :: v_dual_mov_b32 v167, v149
	;; [unrolled: 1-line block ×12, first 2 shown]
	ds_store_2addr_b64 v226, v[164:165], v[166:167] offset0:24 offset1:25
	ds_store_2addr_b64 v226, v[168:169], v[170:171] offset0:26 offset1:27
	ds_store_2addr_b64 v226, v[172:173], v[174:175] offset0:28 offset1:29
	ds_store_2addr_b64 v226, v[176:177], v[178:179] offset0:30 offset1:31
	ds_store_2addr_b64 v226, v[180:181], v[182:183] offset0:32 offset1:33
	ds_store_2addr_b64 v226, v[184:185], v[186:187] offset0:34 offset1:35
	ds_store_b64 v226, v[146:147] offset:288
	ds_load_b64 v[164:165], v225
	s_wait_dscnt 0x0
	v_cmp_neq_f32_e32 vcc_lo, 0, v164
	v_cmp_neq_f32_e64 s1, 0, v165
	s_or_b32 s1, vcc_lo, s1
	s_delay_alu instid0(SALU_CYCLE_1)
	s_and_b32 exec_lo, exec_lo, s1
	s_cbranch_execz .LBB73_71
; %bb.66:
	v_cmp_ngt_f32_e64 s1, |v164|, |v165|
                                        ; implicit-def: $vgpr166_vgpr167
	s_and_saveexec_b32 s4, s1
	s_delay_alu instid0(SALU_CYCLE_1)
	s_xor_b32 s1, exec_lo, s4
	s_cbranch_execz .LBB73_68
; %bb.67:
	v_div_scale_f32 v166, null, v165, v165, v164
	v_div_scale_f32 v169, vcc_lo, v164, v165, v164
	s_delay_alu instid0(VALU_DEP_2) | instskip(SKIP_1) | instid1(TRANS32_DEP_1)
	v_rcp_f32_e32 v167, v166
	v_nop
	v_fma_f32 v168, -v166, v167, 1.0
	s_delay_alu instid0(VALU_DEP_1) | instskip(NEXT) | instid1(VALU_DEP_1)
	v_fmac_f32_e32 v167, v168, v167
	v_mul_f32_e32 v168, v169, v167
	s_delay_alu instid0(VALU_DEP_1) | instskip(NEXT) | instid1(VALU_DEP_1)
	v_fma_f32 v170, -v166, v168, v169
	v_fmac_f32_e32 v168, v170, v167
	s_delay_alu instid0(VALU_DEP_1) | instskip(NEXT) | instid1(VALU_DEP_1)
	v_fma_f32 v166, -v166, v168, v169
	v_div_fmas_f32 v166, v166, v167, v168
	s_delay_alu instid0(VALU_DEP_1) | instskip(NEXT) | instid1(VALU_DEP_1)
	v_div_fixup_f32 v166, v166, v165, v164
	v_fmac_f32_e32 v165, v164, v166
	s_delay_alu instid0(VALU_DEP_1) | instskip(SKIP_1) | instid1(VALU_DEP_2)
	v_div_scale_f32 v164, null, v165, v165, 1.0
	v_div_scale_f32 v169, vcc_lo, 1.0, v165, 1.0
	v_rcp_f32_e32 v167, v164
	v_nop
	s_delay_alu instid0(TRANS32_DEP_1) | instskip(NEXT) | instid1(VALU_DEP_1)
	v_fma_f32 v168, -v164, v167, 1.0
	v_fmac_f32_e32 v167, v168, v167
	s_delay_alu instid0(VALU_DEP_1) | instskip(NEXT) | instid1(VALU_DEP_1)
	v_mul_f32_e32 v168, v169, v167
	v_fma_f32 v170, -v164, v168, v169
	s_delay_alu instid0(VALU_DEP_1) | instskip(NEXT) | instid1(VALU_DEP_1)
	v_fmac_f32_e32 v168, v170, v167
	v_fma_f32 v164, -v164, v168, v169
	s_delay_alu instid0(VALU_DEP_1) | instskip(NEXT) | instid1(VALU_DEP_1)
	v_div_fmas_f32 v164, v164, v167, v168
	v_div_fixup_f32 v164, v164, v165, 1.0
	s_delay_alu instid0(VALU_DEP_1)
	v_mul_f32_e32 v166, v166, v164
	v_xor_b32_e32 v167, 0x80000000, v164
                                        ; implicit-def: $vgpr164_vgpr165
.LBB73_68:
	s_and_not1_saveexec_b32 s1, s1
	s_cbranch_execz .LBB73_70
; %bb.69:
	v_div_scale_f32 v166, null, v164, v164, v165
	v_div_scale_f32 v169, vcc_lo, v165, v164, v165
	s_delay_alu instid0(VALU_DEP_2) | instskip(SKIP_1) | instid1(TRANS32_DEP_1)
	v_rcp_f32_e32 v167, v166
	v_nop
	v_fma_f32 v168, -v166, v167, 1.0
	s_delay_alu instid0(VALU_DEP_1) | instskip(NEXT) | instid1(VALU_DEP_1)
	v_fmac_f32_e32 v167, v168, v167
	v_mul_f32_e32 v168, v169, v167
	s_delay_alu instid0(VALU_DEP_1) | instskip(NEXT) | instid1(VALU_DEP_1)
	v_fma_f32 v170, -v166, v168, v169
	v_fmac_f32_e32 v168, v170, v167
	s_delay_alu instid0(VALU_DEP_1) | instskip(NEXT) | instid1(VALU_DEP_1)
	v_fma_f32 v166, -v166, v168, v169
	v_div_fmas_f32 v166, v166, v167, v168
	s_delay_alu instid0(VALU_DEP_1) | instskip(NEXT) | instid1(VALU_DEP_1)
	v_div_fixup_f32 v167, v166, v164, v165
	v_fmac_f32_e32 v164, v165, v167
	s_delay_alu instid0(VALU_DEP_1) | instskip(NEXT) | instid1(VALU_DEP_1)
	v_div_scale_f32 v165, null, v164, v164, 1.0
	v_rcp_f32_e32 v166, v165
	v_nop
	s_delay_alu instid0(TRANS32_DEP_1) | instskip(NEXT) | instid1(VALU_DEP_1)
	v_fma_f32 v168, -v165, v166, 1.0
	v_fmac_f32_e32 v166, v168, v166
	v_div_scale_f32 v168, vcc_lo, 1.0, v164, 1.0
	s_delay_alu instid0(VALU_DEP_1) | instskip(NEXT) | instid1(VALU_DEP_1)
	v_mul_f32_e32 v169, v168, v166
	v_fma_f32 v170, -v165, v169, v168
	s_delay_alu instid0(VALU_DEP_1) | instskip(NEXT) | instid1(VALU_DEP_1)
	v_fmac_f32_e32 v169, v170, v166
	v_fma_f32 v165, -v165, v169, v168
	s_delay_alu instid0(VALU_DEP_1) | instskip(NEXT) | instid1(VALU_DEP_1)
	v_div_fmas_f32 v165, v165, v166, v169
	v_div_fixup_f32 v166, v165, v164, 1.0
	s_delay_alu instid0(VALU_DEP_1)
	v_mul_f32_e64 v167, v167, -v166
.LBB73_70:
	s_or_b32 exec_lo, exec_lo, s1
	ds_store_b64 v225, v[166:167]
.LBB73_71:
	s_or_b32 exec_lo, exec_lo, s2
	s_wait_dscnt 0x0
	s_barrier_signal -1
	s_barrier_wait -1
	ds_load_b64 v[164:165], v225
	s_mov_b32 s1, exec_lo
	v_cmpx_lt_u32_e32 7, v224
	s_cbranch_execz .LBB73_73
; %bb.72:
	ds_load_2addr_b64 v[170:173], v226 offset0:8 offset1:9
	s_wait_dscnt 0x1
	v_pk_mul_f32 v[168:169], v[164:165], v[22:23] op_sel:[1,1] op_sel_hi:[0,1]
	s_delay_alu instid0(VALU_DEP_1) | instskip(SKIP_1) | instid1(VALU_DEP_1)
	v_pk_fma_f32 v[166:167], v[164:165], v[22:23], v[168:169] op_sel_hi:[1,0,1] neg_lo:[0,0,1] neg_hi:[0,0,1]
	v_pk_fma_f32 v[168:169], v[164:165], v[22:23], v[168:169] op_sel_hi:[1,0,1]
	v_dual_mov_b32 v22, v166 :: v_dual_mov_b32 v23, v169
	s_wait_dscnt 0x0
	s_delay_alu instid0(VALU_DEP_2) | instskip(NEXT) | instid1(VALU_DEP_1)
	v_pk_mul_f32 v[174:175], v[170:171], v[168:169] op_sel:[0,1]
	v_pk_fma_f32 v[176:177], v[170:171], v[166:167], v[174:175] op_sel:[0,0,1] op_sel_hi:[1,1,0] neg_lo:[0,0,1] neg_hi:[0,0,1]
	v_pk_fma_f32 v[170:171], v[170:171], v[166:167], v[174:175] op_sel:[0,0,1] op_sel_hi:[1,0,0]
	s_delay_alu instid0(VALU_DEP_1) | instskip(SKIP_1) | instid1(VALU_DEP_1)
	v_mov_b32_e32 v177, v171
	v_pk_mul_f32 v[170:171], v[172:173], v[168:169] op_sel:[0,1]
	v_pk_fma_f32 v[174:175], v[172:173], v[166:167], v[170:171] op_sel:[0,0,1] op_sel_hi:[1,1,0] neg_lo:[0,0,1] neg_hi:[0,0,1]
	v_pk_fma_f32 v[170:171], v[172:173], v[166:167], v[170:171] op_sel:[0,0,1] op_sel_hi:[1,0,0]
	s_delay_alu instid0(VALU_DEP_1)
	v_mov_b32_e32 v175, v171
	ds_load_2addr_b64 v[170:173], v226 offset0:10 offset1:11
	v_pk_add_f32 v[42:43], v[42:43], v[176:177] neg_lo:[0,1] neg_hi:[0,1]
	v_pk_add_f32 v[38:39], v[38:39], v[174:175] neg_lo:[0,1] neg_hi:[0,1]
	s_wait_dscnt 0x0
	v_pk_mul_f32 v[174:175], v[170:171], v[168:169] op_sel:[0,1]
	s_delay_alu instid0(VALU_DEP_1) | instskip(SKIP_2) | instid1(VALU_DEP_2)
	v_pk_fma_f32 v[176:177], v[170:171], v[166:167], v[174:175] op_sel:[0,0,1] op_sel_hi:[1,1,0] neg_lo:[0,0,1] neg_hi:[0,0,1]
	v_pk_fma_f32 v[170:171], v[170:171], v[166:167], v[174:175] op_sel:[0,0,1] op_sel_hi:[1,0,0]
	v_dual_mul_f32 v174, v173, v169 :: v_dual_mov_b32 v170, v173
	v_dual_mov_b32 v177, v171 :: v_dual_mov_b32 v171, v172
	s_delay_alu instid0(VALU_DEP_2) | instskip(SKIP_1) | instid1(VALU_DEP_3)
	v_pk_fma_f32 v[174:175], v[172:173], v[22:23], v[174:175] op_sel_hi:[1,1,0] neg_lo:[0,0,1] neg_hi:[0,0,1]
	v_mul_f32_e32 v172, v173, v166
	v_pk_add_f32 v[40:41], v[40:41], v[176:177] neg_lo:[0,1] neg_hi:[0,1]
	s_delay_alu instid0(VALU_DEP_2) | instskip(NEXT) | instid1(VALU_DEP_1)
	v_pk_fma_f32 v[170:171], v[170:171], v[22:23], v[172:173] op_sel_hi:[1,1,0]
	v_mov_b32_e32 v175, v171
	ds_load_2addr_b64 v[170:173], v226 offset0:12 offset1:13
	v_pk_add_f32 v[36:37], v[36:37], v[174:175] neg_lo:[0,1] neg_hi:[0,1]
	s_wait_dscnt 0x0
	v_pk_mul_f32 v[174:175], v[170:171], v[168:169] op_sel:[0,1]
	s_delay_alu instid0(VALU_DEP_1) | instskip(SKIP_1) | instid1(VALU_DEP_1)
	v_pk_fma_f32 v[176:177], v[170:171], v[166:167], v[174:175] op_sel:[0,0,1] op_sel_hi:[1,1,0] neg_lo:[0,0,1] neg_hi:[0,0,1]
	v_pk_fma_f32 v[170:171], v[170:171], v[166:167], v[174:175] op_sel:[0,0,1] op_sel_hi:[1,0,0]
	v_mov_b32_e32 v177, v171
	v_pk_mul_f32 v[170:171], v[172:173], v[168:169] op_sel:[0,1]
	s_delay_alu instid0(VALU_DEP_1) | instskip(SKIP_1) | instid1(VALU_DEP_1)
	v_pk_fma_f32 v[174:175], v[172:173], v[166:167], v[170:171] op_sel:[0,0,1] op_sel_hi:[1,1,0] neg_lo:[0,0,1] neg_hi:[0,0,1]
	v_pk_fma_f32 v[170:171], v[172:173], v[166:167], v[170:171] op_sel:[0,0,1] op_sel_hi:[1,0,0]
	v_mov_b32_e32 v175, v171
	ds_load_2addr_b64 v[170:173], v226 offset0:14 offset1:15
	v_pk_add_f32 v[60:61], v[60:61], v[176:177] neg_lo:[0,1] neg_hi:[0,1]
	v_pk_add_f32 v[78:79], v[78:79], v[174:175] neg_lo:[0,1] neg_hi:[0,1]
	s_wait_dscnt 0x0
	v_pk_mul_f32 v[174:175], v[170:171], v[168:169] op_sel:[0,1]
	s_delay_alu instid0(VALU_DEP_1) | instskip(SKIP_1) | instid1(VALU_DEP_1)
	v_pk_fma_f32 v[176:177], v[170:171], v[166:167], v[174:175] op_sel:[0,0,1] op_sel_hi:[1,1,0] neg_lo:[0,0,1] neg_hi:[0,0,1]
	v_pk_fma_f32 v[170:171], v[170:171], v[166:167], v[174:175] op_sel:[0,0,1] op_sel_hi:[1,0,0]
	v_mov_b32_e32 v177, v171
	v_pk_mul_f32 v[170:171], v[172:173], v[168:169] op_sel:[0,1]
	s_delay_alu instid0(VALU_DEP_1) | instskip(SKIP_1) | instid1(VALU_DEP_1)
	v_pk_fma_f32 v[174:175], v[172:173], v[166:167], v[170:171] op_sel:[0,0,1] op_sel_hi:[1,1,0] neg_lo:[0,0,1] neg_hi:[0,0,1]
	v_pk_fma_f32 v[170:171], v[172:173], v[166:167], v[170:171] op_sel:[0,0,1] op_sel_hi:[1,0,0]
	v_mov_b32_e32 v175, v171
	ds_load_2addr_b64 v[170:173], v226 offset0:16 offset1:17
	v_pk_add_f32 v[92:93], v[92:93], v[176:177] neg_lo:[0,1] neg_hi:[0,1]
	v_pk_add_f32 v[90:91], v[90:91], v[174:175] neg_lo:[0,1] neg_hi:[0,1]
	s_wait_dscnt 0x0
	v_dual_mul_f32 v174, v171, v169 :: v_dual_mul_f32 v176, v171, v166
	s_delay_alu instid0(VALU_DEP_1) | instskip(NEXT) | instid1(VALU_DEP_2)
	v_pk_fma_f32 v[174:175], v[170:171], v[22:23], v[174:175] op_sel_hi:[1,1,0] neg_lo:[0,0,1] neg_hi:[0,0,1]
	v_pk_fma_f32 v[170:171], v[170:171], v[22:23], v[176:177] op_sel:[1,0,0] op_sel_hi:[0,1,0]
	s_delay_alu instid0(VALU_DEP_1) | instskip(SKIP_1) | instid1(VALU_DEP_2)
	v_mov_b32_e32 v175, v171
	v_pk_mul_f32 v[170:171], v[172:173], v[168:169] op_sel:[0,1]
	v_pk_add_f32 v[116:117], v[116:117], v[174:175] neg_lo:[0,1] neg_hi:[0,1]
	s_delay_alu instid0(VALU_DEP_2) | instskip(SKIP_1) | instid1(VALU_DEP_1)
	v_pk_fma_f32 v[174:175], v[172:173], v[166:167], v[170:171] op_sel:[0,0,1] op_sel_hi:[1,1,0] neg_lo:[0,0,1] neg_hi:[0,0,1]
	v_pk_fma_f32 v[170:171], v[172:173], v[166:167], v[170:171] op_sel:[0,0,1] op_sel_hi:[1,0,0]
	v_mov_b32_e32 v175, v171
	ds_load_2addr_b64 v[170:173], v226 offset0:18 offset1:19
	v_pk_add_f32 v[88:89], v[88:89], v[174:175] neg_lo:[0,1] neg_hi:[0,1]
	s_wait_dscnt 0x0
	v_pk_mul_f32 v[174:175], v[170:171], v[168:169] op_sel:[0,1]
	s_delay_alu instid0(VALU_DEP_1) | instskip(SKIP_1) | instid1(VALU_DEP_1)
	v_pk_fma_f32 v[176:177], v[170:171], v[166:167], v[174:175] op_sel:[0,0,1] op_sel_hi:[1,1,0] neg_lo:[0,0,1] neg_hi:[0,0,1]
	v_pk_fma_f32 v[170:171], v[170:171], v[166:167], v[174:175] op_sel:[0,0,1] op_sel_hi:[1,0,0]
	v_mov_b32_e32 v177, v171
	v_pk_mul_f32 v[170:171], v[172:173], v[168:169] op_sel:[0,1]
	s_delay_alu instid0(VALU_DEP_2) | instskip(NEXT) | instid1(VALU_DEP_2)
	v_pk_add_f32 v[114:115], v[114:115], v[176:177] neg_lo:[0,1] neg_hi:[0,1]
	v_pk_fma_f32 v[174:175], v[172:173], v[166:167], v[170:171] op_sel:[0,0,1] op_sel_hi:[1,1,0] neg_lo:[0,0,1] neg_hi:[0,0,1]
	v_pk_fma_f32 v[170:171], v[172:173], v[166:167], v[170:171] op_sel:[0,0,1] op_sel_hi:[1,0,0]
	s_delay_alu instid0(VALU_DEP_1) | instskip(SKIP_4) | instid1(VALU_DEP_1)
	v_mov_b32_e32 v175, v171
	ds_load_2addr_b64 v[170:173], v226 offset0:20 offset1:21
	v_pk_add_f32 v[112:113], v[112:113], v[174:175] neg_lo:[0,1] neg_hi:[0,1]
	s_wait_dscnt 0x0
	v_pk_mul_f32 v[174:175], v[170:171], v[168:169] op_sel:[0,1]
	v_pk_fma_f32 v[176:177], v[170:171], v[166:167], v[174:175] op_sel:[0,0,1] op_sel_hi:[1,1,0] neg_lo:[0,0,1] neg_hi:[0,0,1]
	v_pk_fma_f32 v[170:171], v[170:171], v[166:167], v[174:175] op_sel:[0,0,1] op_sel_hi:[1,0,0]
	v_dual_mul_f32 v174, v173, v169 :: v_dual_mov_b32 v170, v173
	s_delay_alu instid0(VALU_DEP_2) | instskip(NEXT) | instid1(VALU_DEP_2)
	v_dual_mov_b32 v177, v171 :: v_dual_mov_b32 v171, v172
	v_pk_fma_f32 v[174:175], v[172:173], v[22:23], v[174:175] op_sel_hi:[1,1,0] neg_lo:[0,0,1] neg_hi:[0,0,1]
	v_mul_f32_e32 v172, v173, v166
	s_delay_alu instid0(VALU_DEP_3) | instskip(NEXT) | instid1(VALU_DEP_2)
	v_pk_add_f32 v[132:133], v[132:133], v[176:177] neg_lo:[0,1] neg_hi:[0,1]
	v_pk_fma_f32 v[170:171], v[170:171], v[22:23], v[172:173] op_sel_hi:[1,1,0]
	s_delay_alu instid0(VALU_DEP_1) | instskip(SKIP_4) | instid1(VALU_DEP_1)
	v_mov_b32_e32 v175, v171
	ds_load_2addr_b64 v[170:173], v226 offset0:22 offset1:23
	v_pk_add_f32 v[102:103], v[102:103], v[174:175] neg_lo:[0,1] neg_hi:[0,1]
	s_wait_dscnt 0x0
	v_pk_mul_f32 v[174:175], v[170:171], v[168:169] op_sel:[0,1]
	v_pk_fma_f32 v[176:177], v[170:171], v[166:167], v[174:175] op_sel:[0,0,1] op_sel_hi:[1,1,0] neg_lo:[0,0,1] neg_hi:[0,0,1]
	v_pk_fma_f32 v[170:171], v[170:171], v[166:167], v[174:175] op_sel:[0,0,1] op_sel_hi:[1,0,0]
	s_delay_alu instid0(VALU_DEP_1) | instskip(SKIP_1) | instid1(VALU_DEP_1)
	v_mov_b32_e32 v177, v171
	v_pk_mul_f32 v[170:171], v[172:173], v[168:169] op_sel:[0,1]
	v_pk_fma_f32 v[174:175], v[172:173], v[166:167], v[170:171] op_sel:[0,0,1] op_sel_hi:[1,1,0] neg_lo:[0,0,1] neg_hi:[0,0,1]
	v_pk_fma_f32 v[170:171], v[172:173], v[166:167], v[170:171] op_sel:[0,0,1] op_sel_hi:[1,0,0]
	s_delay_alu instid0(VALU_DEP_1)
	v_mov_b32_e32 v175, v171
	ds_load_2addr_b64 v[170:173], v226 offset0:24 offset1:25
	v_pk_add_f32 v[130:131], v[130:131], v[176:177] neg_lo:[0,1] neg_hi:[0,1]
	v_pk_add_f32 v[128:129], v[128:129], v[174:175] neg_lo:[0,1] neg_hi:[0,1]
	s_wait_dscnt 0x0
	v_pk_mul_f32 v[174:175], v[170:171], v[168:169] op_sel:[0,1]
	s_delay_alu instid0(VALU_DEP_1) | instskip(SKIP_1) | instid1(VALU_DEP_1)
	v_pk_fma_f32 v[176:177], v[170:171], v[166:167], v[174:175] op_sel:[0,0,1] op_sel_hi:[1,1,0] neg_lo:[0,0,1] neg_hi:[0,0,1]
	v_pk_fma_f32 v[170:171], v[170:171], v[166:167], v[174:175] op_sel:[0,0,1] op_sel_hi:[1,0,0]
	v_mov_b32_e32 v177, v171
	v_pk_mul_f32 v[170:171], v[172:173], v[168:169] op_sel:[0,1]
	s_delay_alu instid0(VALU_DEP_1) | instskip(SKIP_1) | instid1(VALU_DEP_1)
	v_pk_fma_f32 v[174:175], v[172:173], v[166:167], v[170:171] op_sel:[0,0,1] op_sel_hi:[1,1,0] neg_lo:[0,0,1] neg_hi:[0,0,1]
	v_pk_fma_f32 v[170:171], v[172:173], v[166:167], v[170:171] op_sel:[0,0,1] op_sel_hi:[1,0,0]
	v_mov_b32_e32 v175, v171
	ds_load_2addr_b64 v[170:173], v226 offset0:26 offset1:27
	v_pk_add_f32 v[144:145], v[144:145], v[176:177] neg_lo:[0,1] neg_hi:[0,1]
	v_pk_add_f32 v[148:149], v[148:149], v[174:175] neg_lo:[0,1] neg_hi:[0,1]
	s_wait_dscnt 0x0
	v_dual_mul_f32 v174, v171, v169 :: v_dual_mul_f32 v176, v171, v166
	s_delay_alu instid0(VALU_DEP_1) | instskip(NEXT) | instid1(VALU_DEP_2)
	v_pk_fma_f32 v[174:175], v[170:171], v[22:23], v[174:175] op_sel_hi:[1,1,0] neg_lo:[0,0,1] neg_hi:[0,0,1]
	v_pk_fma_f32 v[170:171], v[170:171], v[22:23], v[176:177] op_sel:[1,0,0] op_sel_hi:[0,1,0]
	s_delay_alu instid0(VALU_DEP_1) | instskip(SKIP_1) | instid1(VALU_DEP_2)
	v_mov_b32_e32 v175, v171
	v_pk_mul_f32 v[170:171], v[172:173], v[168:169] op_sel:[0,1]
	v_pk_add_f32 v[142:143], v[142:143], v[174:175] neg_lo:[0,1] neg_hi:[0,1]
	s_delay_alu instid0(VALU_DEP_2) | instskip(SKIP_1) | instid1(VALU_DEP_1)
	v_pk_fma_f32 v[174:175], v[172:173], v[166:167], v[170:171] op_sel:[0,0,1] op_sel_hi:[1,1,0] neg_lo:[0,0,1] neg_hi:[0,0,1]
	v_pk_fma_f32 v[170:171], v[172:173], v[166:167], v[170:171] op_sel:[0,0,1] op_sel_hi:[1,0,0]
	v_mov_b32_e32 v175, v171
	ds_load_2addr_b64 v[170:173], v226 offset0:28 offset1:29
	v_pk_add_f32 v[140:141], v[140:141], v[174:175] neg_lo:[0,1] neg_hi:[0,1]
	s_wait_dscnt 0x0
	v_pk_mul_f32 v[174:175], v[170:171], v[168:169] op_sel:[0,1]
	s_delay_alu instid0(VALU_DEP_1) | instskip(SKIP_1) | instid1(VALU_DEP_1)
	v_pk_fma_f32 v[176:177], v[170:171], v[166:167], v[174:175] op_sel:[0,0,1] op_sel_hi:[1,1,0] neg_lo:[0,0,1] neg_hi:[0,0,1]
	v_pk_fma_f32 v[170:171], v[170:171], v[166:167], v[174:175] op_sel:[0,0,1] op_sel_hi:[1,0,0]
	v_mov_b32_e32 v177, v171
	v_pk_mul_f32 v[170:171], v[172:173], v[168:169] op_sel:[0,1]
	s_delay_alu instid0(VALU_DEP_2) | instskip(NEXT) | instid1(VALU_DEP_2)
	v_pk_add_f32 v[126:127], v[126:127], v[176:177] neg_lo:[0,1] neg_hi:[0,1]
	v_pk_fma_f32 v[174:175], v[172:173], v[166:167], v[170:171] op_sel:[0,0,1] op_sel_hi:[1,1,0] neg_lo:[0,0,1] neg_hi:[0,0,1]
	v_pk_fma_f32 v[170:171], v[172:173], v[166:167], v[170:171] op_sel:[0,0,1] op_sel_hi:[1,0,0]
	s_delay_alu instid0(VALU_DEP_1) | instskip(SKIP_4) | instid1(VALU_DEP_1)
	v_mov_b32_e32 v175, v171
	ds_load_2addr_b64 v[170:173], v226 offset0:30 offset1:31
	v_pk_add_f32 v[120:121], v[120:121], v[174:175] neg_lo:[0,1] neg_hi:[0,1]
	s_wait_dscnt 0x0
	v_pk_mul_f32 v[174:175], v[170:171], v[168:169] op_sel:[0,1]
	v_pk_fma_f32 v[176:177], v[170:171], v[166:167], v[174:175] op_sel:[0,0,1] op_sel_hi:[1,1,0] neg_lo:[0,0,1] neg_hi:[0,0,1]
	v_pk_fma_f32 v[170:171], v[170:171], v[166:167], v[174:175] op_sel:[0,0,1] op_sel_hi:[1,0,0]
	v_dual_mul_f32 v174, v173, v169 :: v_dual_mov_b32 v170, v173
	s_delay_alu instid0(VALU_DEP_2) | instskip(NEXT) | instid1(VALU_DEP_2)
	v_dual_mov_b32 v177, v171 :: v_dual_mov_b32 v171, v172
	v_pk_fma_f32 v[174:175], v[172:173], v[22:23], v[174:175] op_sel_hi:[1,1,0] neg_lo:[0,0,1] neg_hi:[0,0,1]
	v_mul_f32_e32 v172, v173, v166
	s_delay_alu instid0(VALU_DEP_3) | instskip(NEXT) | instid1(VALU_DEP_2)
	v_pk_add_f32 v[124:125], v[124:125], v[176:177] neg_lo:[0,1] neg_hi:[0,1]
	v_pk_fma_f32 v[170:171], v[170:171], v[22:23], v[172:173] op_sel_hi:[1,1,0]
	s_delay_alu instid0(VALU_DEP_1) | instskip(SKIP_4) | instid1(VALU_DEP_1)
	v_mov_b32_e32 v175, v171
	ds_load_2addr_b64 v[170:173], v226 offset0:32 offset1:33
	v_pk_add_f32 v[118:119], v[118:119], v[174:175] neg_lo:[0,1] neg_hi:[0,1]
	s_wait_dscnt 0x0
	v_pk_mul_f32 v[174:175], v[170:171], v[168:169] op_sel:[0,1]
	v_pk_fma_f32 v[176:177], v[170:171], v[166:167], v[174:175] op_sel:[0,0,1] op_sel_hi:[1,1,0] neg_lo:[0,0,1] neg_hi:[0,0,1]
	v_pk_fma_f32 v[170:171], v[170:171], v[166:167], v[174:175] op_sel:[0,0,1] op_sel_hi:[1,0,0]
	s_delay_alu instid0(VALU_DEP_1) | instskip(SKIP_1) | instid1(VALU_DEP_1)
	v_mov_b32_e32 v177, v171
	v_pk_mul_f32 v[170:171], v[172:173], v[168:169] op_sel:[0,1]
	v_pk_fma_f32 v[174:175], v[172:173], v[166:167], v[170:171] op_sel:[0,0,1] op_sel_hi:[1,1,0] neg_lo:[0,0,1] neg_hi:[0,0,1]
	v_pk_fma_f32 v[170:171], v[172:173], v[166:167], v[170:171] op_sel:[0,0,1] op_sel_hi:[1,0,0]
	s_delay_alu instid0(VALU_DEP_1)
	v_mov_b32_e32 v175, v171
	ds_load_2addr_b64 v[170:173], v226 offset0:34 offset1:35
	v_pk_add_f32 v[122:123], v[122:123], v[176:177] neg_lo:[0,1] neg_hi:[0,1]
	v_pk_add_f32 v[138:139], v[138:139], v[174:175] neg_lo:[0,1] neg_hi:[0,1]
	s_wait_dscnt 0x0
	v_pk_mul_f32 v[174:175], v[170:171], v[168:169] op_sel:[0,1]
	s_delay_alu instid0(VALU_DEP_1) | instskip(SKIP_1) | instid1(VALU_DEP_1)
	v_pk_fma_f32 v[176:177], v[170:171], v[166:167], v[174:175] op_sel:[0,0,1] op_sel_hi:[1,1,0] neg_lo:[0,0,1] neg_hi:[0,0,1]
	v_pk_fma_f32 v[170:171], v[170:171], v[166:167], v[174:175] op_sel:[0,0,1] op_sel_hi:[1,0,0]
	v_mov_b32_e32 v177, v171
	v_pk_mul_f32 v[170:171], v[172:173], v[168:169] op_sel:[0,1]
	s_delay_alu instid0(VALU_DEP_1) | instskip(SKIP_1) | instid1(VALU_DEP_1)
	v_pk_fma_f32 v[174:175], v[172:173], v[166:167], v[170:171] op_sel:[0,0,1] op_sel_hi:[1,1,0] neg_lo:[0,0,1] neg_hi:[0,0,1]
	v_pk_fma_f32 v[170:171], v[172:173], v[166:167], v[170:171] op_sel:[0,0,1] op_sel_hi:[1,0,0]
	v_mov_b32_e32 v175, v171
	ds_load_b64 v[170:171], v226 offset:288
	v_pk_add_f32 v[136:137], v[136:137], v[176:177] neg_lo:[0,1] neg_hi:[0,1]
	v_pk_add_f32 v[134:135], v[134:135], v[174:175] neg_lo:[0,1] neg_hi:[0,1]
	s_wait_dscnt 0x0
	v_pk_mul_f32 v[168:169], v[170:171], v[168:169] op_sel:[0,1]
	s_delay_alu instid0(VALU_DEP_1) | instskip(SKIP_1) | instid1(VALU_DEP_1)
	v_pk_fma_f32 v[172:173], v[170:171], v[166:167], v[168:169] op_sel:[0,0,1] op_sel_hi:[1,1,0] neg_lo:[0,0,1] neg_hi:[0,0,1]
	v_pk_fma_f32 v[166:167], v[170:171], v[166:167], v[168:169] op_sel:[0,0,1] op_sel_hi:[1,0,0]
	v_mov_b32_e32 v173, v167
	s_delay_alu instid0(VALU_DEP_1)
	v_pk_add_f32 v[146:147], v[146:147], v[172:173] neg_lo:[0,1] neg_hi:[0,1]
.LBB73_73:
	s_or_b32 exec_lo, exec_lo, s1
	s_delay_alu instid0(SALU_CYCLE_1)
	s_mov_b32 s2, exec_lo
	s_wait_dscnt 0x0
	s_barrier_signal -1
	s_barrier_wait -1
	v_cmpx_eq_u32_e32 8, v224
	s_cbranch_execz .LBB73_80
; %bb.74:
	ds_store_b64 v225, v[42:43]
	ds_store_2addr_b64 v226, v[38:39], v[40:41] offset0:9 offset1:10
	ds_store_2addr_b64 v226, v[36:37], v[60:61] offset0:11 offset1:12
	;; [unrolled: 1-line block ×14, first 2 shown]
	ds_load_b64 v[166:167], v225
	s_wait_dscnt 0x0
	v_cmp_neq_f32_e32 vcc_lo, 0, v166
	v_cmp_neq_f32_e64 s1, 0, v167
	s_or_b32 s1, vcc_lo, s1
	s_delay_alu instid0(SALU_CYCLE_1)
	s_and_b32 exec_lo, exec_lo, s1
	s_cbranch_execz .LBB73_80
; %bb.75:
	v_cmp_ngt_f32_e64 s1, |v166|, |v167|
                                        ; implicit-def: $vgpr168_vgpr169
	s_and_saveexec_b32 s4, s1
	s_delay_alu instid0(SALU_CYCLE_1)
	s_xor_b32 s1, exec_lo, s4
	s_cbranch_execz .LBB73_77
; %bb.76:
	v_div_scale_f32 v168, null, v167, v167, v166
	v_div_scale_f32 v171, vcc_lo, v166, v167, v166
	s_delay_alu instid0(VALU_DEP_2) | instskip(SKIP_1) | instid1(TRANS32_DEP_1)
	v_rcp_f32_e32 v169, v168
	v_nop
	v_fma_f32 v170, -v168, v169, 1.0
	s_delay_alu instid0(VALU_DEP_1) | instskip(NEXT) | instid1(VALU_DEP_1)
	v_fmac_f32_e32 v169, v170, v169
	v_mul_f32_e32 v170, v171, v169
	s_delay_alu instid0(VALU_DEP_1) | instskip(NEXT) | instid1(VALU_DEP_1)
	v_fma_f32 v172, -v168, v170, v171
	v_fmac_f32_e32 v170, v172, v169
	s_delay_alu instid0(VALU_DEP_1) | instskip(NEXT) | instid1(VALU_DEP_1)
	v_fma_f32 v168, -v168, v170, v171
	v_div_fmas_f32 v168, v168, v169, v170
	s_delay_alu instid0(VALU_DEP_1) | instskip(NEXT) | instid1(VALU_DEP_1)
	v_div_fixup_f32 v168, v168, v167, v166
	v_fmac_f32_e32 v167, v166, v168
	s_delay_alu instid0(VALU_DEP_1) | instskip(SKIP_1) | instid1(VALU_DEP_2)
	v_div_scale_f32 v166, null, v167, v167, 1.0
	v_div_scale_f32 v171, vcc_lo, 1.0, v167, 1.0
	v_rcp_f32_e32 v169, v166
	v_nop
	s_delay_alu instid0(TRANS32_DEP_1) | instskip(NEXT) | instid1(VALU_DEP_1)
	v_fma_f32 v170, -v166, v169, 1.0
	v_fmac_f32_e32 v169, v170, v169
	s_delay_alu instid0(VALU_DEP_1) | instskip(NEXT) | instid1(VALU_DEP_1)
	v_mul_f32_e32 v170, v171, v169
	v_fma_f32 v172, -v166, v170, v171
	s_delay_alu instid0(VALU_DEP_1) | instskip(NEXT) | instid1(VALU_DEP_1)
	v_fmac_f32_e32 v170, v172, v169
	v_fma_f32 v166, -v166, v170, v171
	s_delay_alu instid0(VALU_DEP_1) | instskip(NEXT) | instid1(VALU_DEP_1)
	v_div_fmas_f32 v166, v166, v169, v170
	v_div_fixup_f32 v166, v166, v167, 1.0
	s_delay_alu instid0(VALU_DEP_1)
	v_mul_f32_e32 v168, v168, v166
	v_xor_b32_e32 v169, 0x80000000, v166
                                        ; implicit-def: $vgpr166_vgpr167
.LBB73_77:
	s_and_not1_saveexec_b32 s1, s1
	s_cbranch_execz .LBB73_79
; %bb.78:
	v_div_scale_f32 v168, null, v166, v166, v167
	v_div_scale_f32 v171, vcc_lo, v167, v166, v167
	s_delay_alu instid0(VALU_DEP_2) | instskip(SKIP_1) | instid1(TRANS32_DEP_1)
	v_rcp_f32_e32 v169, v168
	v_nop
	v_fma_f32 v170, -v168, v169, 1.0
	s_delay_alu instid0(VALU_DEP_1) | instskip(NEXT) | instid1(VALU_DEP_1)
	v_fmac_f32_e32 v169, v170, v169
	v_mul_f32_e32 v170, v171, v169
	s_delay_alu instid0(VALU_DEP_1) | instskip(NEXT) | instid1(VALU_DEP_1)
	v_fma_f32 v172, -v168, v170, v171
	v_fmac_f32_e32 v170, v172, v169
	s_delay_alu instid0(VALU_DEP_1) | instskip(NEXT) | instid1(VALU_DEP_1)
	v_fma_f32 v168, -v168, v170, v171
	v_div_fmas_f32 v168, v168, v169, v170
	s_delay_alu instid0(VALU_DEP_1) | instskip(NEXT) | instid1(VALU_DEP_1)
	v_div_fixup_f32 v169, v168, v166, v167
	v_fmac_f32_e32 v166, v167, v169
	s_delay_alu instid0(VALU_DEP_1) | instskip(NEXT) | instid1(VALU_DEP_1)
	v_div_scale_f32 v167, null, v166, v166, 1.0
	v_rcp_f32_e32 v168, v167
	v_nop
	s_delay_alu instid0(TRANS32_DEP_1) | instskip(NEXT) | instid1(VALU_DEP_1)
	v_fma_f32 v170, -v167, v168, 1.0
	v_fmac_f32_e32 v168, v170, v168
	v_div_scale_f32 v170, vcc_lo, 1.0, v166, 1.0
	s_delay_alu instid0(VALU_DEP_1) | instskip(NEXT) | instid1(VALU_DEP_1)
	v_mul_f32_e32 v171, v170, v168
	v_fma_f32 v172, -v167, v171, v170
	s_delay_alu instid0(VALU_DEP_1) | instskip(NEXT) | instid1(VALU_DEP_1)
	v_fmac_f32_e32 v171, v172, v168
	v_fma_f32 v167, -v167, v171, v170
	s_delay_alu instid0(VALU_DEP_1) | instskip(NEXT) | instid1(VALU_DEP_1)
	v_div_fmas_f32 v167, v167, v168, v171
	v_div_fixup_f32 v168, v167, v166, 1.0
	s_delay_alu instid0(VALU_DEP_1)
	v_mul_f32_e64 v169, v169, -v168
.LBB73_79:
	s_or_b32 exec_lo, exec_lo, s1
	ds_store_b64 v225, v[168:169]
.LBB73_80:
	s_or_b32 exec_lo, exec_lo, s2
	s_wait_dscnt 0x0
	s_barrier_signal -1
	s_barrier_wait -1
	ds_load_b64 v[166:167], v225
	s_mov_b32 s1, exec_lo
	v_cmpx_lt_u32_e32 8, v224
	s_cbranch_execz .LBB73_82
; %bb.81:
	ds_load_2addr_b64 v[172:175], v226 offset0:9 offset1:10
	s_wait_dscnt 0x1
	v_pk_mul_f32 v[170:171], v[166:167], v[42:43] op_sel:[1,1] op_sel_hi:[0,1]
	s_delay_alu instid0(VALU_DEP_1) | instskip(SKIP_1) | instid1(VALU_DEP_1)
	v_pk_fma_f32 v[168:169], v[166:167], v[42:43], v[170:171] op_sel_hi:[1,0,1] neg_lo:[0,0,1] neg_hi:[0,0,1]
	v_pk_fma_f32 v[170:171], v[166:167], v[42:43], v[170:171] op_sel_hi:[1,0,1]
	v_dual_mov_b32 v42, v168 :: v_dual_mov_b32 v43, v171
	s_wait_dscnt 0x0
	s_delay_alu instid0(VALU_DEP_2) | instskip(NEXT) | instid1(VALU_DEP_1)
	v_pk_mul_f32 v[176:177], v[172:173], v[170:171] op_sel:[0,1]
	v_pk_fma_f32 v[178:179], v[172:173], v[168:169], v[176:177] op_sel:[0,0,1] op_sel_hi:[1,1,0] neg_lo:[0,0,1] neg_hi:[0,0,1]
	v_pk_fma_f32 v[172:173], v[172:173], v[168:169], v[176:177] op_sel:[0,0,1] op_sel_hi:[1,0,0]
	s_delay_alu instid0(VALU_DEP_1) | instskip(SKIP_1) | instid1(VALU_DEP_1)
	v_mov_b32_e32 v179, v173
	v_pk_mul_f32 v[172:173], v[174:175], v[170:171] op_sel:[0,1]
	v_pk_fma_f32 v[176:177], v[174:175], v[168:169], v[172:173] op_sel:[0,0,1] op_sel_hi:[1,1,0] neg_lo:[0,0,1] neg_hi:[0,0,1]
	v_pk_fma_f32 v[172:173], v[174:175], v[168:169], v[172:173] op_sel:[0,0,1] op_sel_hi:[1,0,0]
	s_delay_alu instid0(VALU_DEP_1)
	v_mov_b32_e32 v177, v173
	ds_load_2addr_b64 v[172:175], v226 offset0:11 offset1:12
	v_pk_add_f32 v[38:39], v[38:39], v[178:179] neg_lo:[0,1] neg_hi:[0,1]
	v_pk_add_f32 v[40:41], v[40:41], v[176:177] neg_lo:[0,1] neg_hi:[0,1]
	s_wait_dscnt 0x0
	v_pk_mul_f32 v[176:177], v[172:173], v[170:171] op_sel:[0,1]
	s_delay_alu instid0(VALU_DEP_1) | instskip(SKIP_2) | instid1(VALU_DEP_2)
	v_pk_fma_f32 v[178:179], v[172:173], v[168:169], v[176:177] op_sel:[0,0,1] op_sel_hi:[1,1,0] neg_lo:[0,0,1] neg_hi:[0,0,1]
	v_pk_fma_f32 v[172:173], v[172:173], v[168:169], v[176:177] op_sel:[0,0,1] op_sel_hi:[1,0,0]
	v_dual_mul_f32 v176, v175, v171 :: v_dual_mov_b32 v172, v175
	v_dual_mov_b32 v179, v173 :: v_dual_mov_b32 v173, v174
	s_delay_alu instid0(VALU_DEP_2) | instskip(SKIP_1) | instid1(VALU_DEP_3)
	v_pk_fma_f32 v[176:177], v[174:175], v[42:43], v[176:177] op_sel_hi:[1,1,0] neg_lo:[0,0,1] neg_hi:[0,0,1]
	v_mul_f32_e32 v174, v175, v168
	v_pk_add_f32 v[36:37], v[36:37], v[178:179] neg_lo:[0,1] neg_hi:[0,1]
	s_delay_alu instid0(VALU_DEP_2) | instskip(NEXT) | instid1(VALU_DEP_1)
	v_pk_fma_f32 v[172:173], v[172:173], v[42:43], v[174:175] op_sel_hi:[1,1,0]
	v_mov_b32_e32 v177, v173
	ds_load_2addr_b64 v[172:175], v226 offset0:13 offset1:14
	v_pk_add_f32 v[60:61], v[60:61], v[176:177] neg_lo:[0,1] neg_hi:[0,1]
	s_wait_dscnt 0x0
	v_pk_mul_f32 v[176:177], v[172:173], v[170:171] op_sel:[0,1]
	s_delay_alu instid0(VALU_DEP_1) | instskip(SKIP_1) | instid1(VALU_DEP_1)
	v_pk_fma_f32 v[178:179], v[172:173], v[168:169], v[176:177] op_sel:[0,0,1] op_sel_hi:[1,1,0] neg_lo:[0,0,1] neg_hi:[0,0,1]
	v_pk_fma_f32 v[172:173], v[172:173], v[168:169], v[176:177] op_sel:[0,0,1] op_sel_hi:[1,0,0]
	v_mov_b32_e32 v179, v173
	v_pk_mul_f32 v[172:173], v[174:175], v[170:171] op_sel:[0,1]
	s_delay_alu instid0(VALU_DEP_1) | instskip(SKIP_1) | instid1(VALU_DEP_1)
	v_pk_fma_f32 v[176:177], v[174:175], v[168:169], v[172:173] op_sel:[0,0,1] op_sel_hi:[1,1,0] neg_lo:[0,0,1] neg_hi:[0,0,1]
	v_pk_fma_f32 v[172:173], v[174:175], v[168:169], v[172:173] op_sel:[0,0,1] op_sel_hi:[1,0,0]
	v_mov_b32_e32 v177, v173
	ds_load_2addr_b64 v[172:175], v226 offset0:15 offset1:16
	v_pk_add_f32 v[78:79], v[78:79], v[178:179] neg_lo:[0,1] neg_hi:[0,1]
	v_pk_add_f32 v[92:93], v[92:93], v[176:177] neg_lo:[0,1] neg_hi:[0,1]
	s_wait_dscnt 0x0
	v_pk_mul_f32 v[176:177], v[172:173], v[170:171] op_sel:[0,1]
	s_delay_alu instid0(VALU_DEP_1) | instskip(SKIP_1) | instid1(VALU_DEP_1)
	v_pk_fma_f32 v[178:179], v[172:173], v[168:169], v[176:177] op_sel:[0,0,1] op_sel_hi:[1,1,0] neg_lo:[0,0,1] neg_hi:[0,0,1]
	v_pk_fma_f32 v[172:173], v[172:173], v[168:169], v[176:177] op_sel:[0,0,1] op_sel_hi:[1,0,0]
	v_mov_b32_e32 v179, v173
	v_pk_mul_f32 v[172:173], v[174:175], v[170:171] op_sel:[0,1]
	s_delay_alu instid0(VALU_DEP_1) | instskip(SKIP_1) | instid1(VALU_DEP_1)
	v_pk_fma_f32 v[176:177], v[174:175], v[168:169], v[172:173] op_sel:[0,0,1] op_sel_hi:[1,1,0] neg_lo:[0,0,1] neg_hi:[0,0,1]
	v_pk_fma_f32 v[172:173], v[174:175], v[168:169], v[172:173] op_sel:[0,0,1] op_sel_hi:[1,0,0]
	v_mov_b32_e32 v177, v173
	ds_load_2addr_b64 v[172:175], v226 offset0:17 offset1:18
	v_pk_add_f32 v[90:91], v[90:91], v[178:179] neg_lo:[0,1] neg_hi:[0,1]
	v_pk_add_f32 v[116:117], v[116:117], v[176:177] neg_lo:[0,1] neg_hi:[0,1]
	s_wait_dscnt 0x0
	v_dual_mul_f32 v176, v173, v171 :: v_dual_mul_f32 v178, v173, v168
	s_delay_alu instid0(VALU_DEP_1) | instskip(NEXT) | instid1(VALU_DEP_2)
	v_pk_fma_f32 v[176:177], v[172:173], v[42:43], v[176:177] op_sel_hi:[1,1,0] neg_lo:[0,0,1] neg_hi:[0,0,1]
	v_pk_fma_f32 v[172:173], v[172:173], v[42:43], v[178:179] op_sel:[1,0,0] op_sel_hi:[0,1,0]
	s_delay_alu instid0(VALU_DEP_1) | instskip(SKIP_1) | instid1(VALU_DEP_2)
	v_mov_b32_e32 v177, v173
	v_pk_mul_f32 v[172:173], v[174:175], v[170:171] op_sel:[0,1]
	v_pk_add_f32 v[88:89], v[88:89], v[176:177] neg_lo:[0,1] neg_hi:[0,1]
	s_delay_alu instid0(VALU_DEP_2) | instskip(SKIP_1) | instid1(VALU_DEP_1)
	v_pk_fma_f32 v[176:177], v[174:175], v[168:169], v[172:173] op_sel:[0,0,1] op_sel_hi:[1,1,0] neg_lo:[0,0,1] neg_hi:[0,0,1]
	v_pk_fma_f32 v[172:173], v[174:175], v[168:169], v[172:173] op_sel:[0,0,1] op_sel_hi:[1,0,0]
	v_mov_b32_e32 v177, v173
	ds_load_2addr_b64 v[172:175], v226 offset0:19 offset1:20
	v_pk_add_f32 v[114:115], v[114:115], v[176:177] neg_lo:[0,1] neg_hi:[0,1]
	s_wait_dscnt 0x0
	v_pk_mul_f32 v[176:177], v[172:173], v[170:171] op_sel:[0,1]
	s_delay_alu instid0(VALU_DEP_1) | instskip(SKIP_1) | instid1(VALU_DEP_1)
	v_pk_fma_f32 v[178:179], v[172:173], v[168:169], v[176:177] op_sel:[0,0,1] op_sel_hi:[1,1,0] neg_lo:[0,0,1] neg_hi:[0,0,1]
	v_pk_fma_f32 v[172:173], v[172:173], v[168:169], v[176:177] op_sel:[0,0,1] op_sel_hi:[1,0,0]
	v_mov_b32_e32 v179, v173
	v_pk_mul_f32 v[172:173], v[174:175], v[170:171] op_sel:[0,1]
	s_delay_alu instid0(VALU_DEP_2) | instskip(NEXT) | instid1(VALU_DEP_2)
	v_pk_add_f32 v[112:113], v[112:113], v[178:179] neg_lo:[0,1] neg_hi:[0,1]
	v_pk_fma_f32 v[176:177], v[174:175], v[168:169], v[172:173] op_sel:[0,0,1] op_sel_hi:[1,1,0] neg_lo:[0,0,1] neg_hi:[0,0,1]
	v_pk_fma_f32 v[172:173], v[174:175], v[168:169], v[172:173] op_sel:[0,0,1] op_sel_hi:[1,0,0]
	s_delay_alu instid0(VALU_DEP_1) | instskip(SKIP_4) | instid1(VALU_DEP_1)
	v_mov_b32_e32 v177, v173
	ds_load_2addr_b64 v[172:175], v226 offset0:21 offset1:22
	v_pk_add_f32 v[132:133], v[132:133], v[176:177] neg_lo:[0,1] neg_hi:[0,1]
	s_wait_dscnt 0x0
	v_pk_mul_f32 v[176:177], v[172:173], v[170:171] op_sel:[0,1]
	v_pk_fma_f32 v[178:179], v[172:173], v[168:169], v[176:177] op_sel:[0,0,1] op_sel_hi:[1,1,0] neg_lo:[0,0,1] neg_hi:[0,0,1]
	v_pk_fma_f32 v[172:173], v[172:173], v[168:169], v[176:177] op_sel:[0,0,1] op_sel_hi:[1,0,0]
	v_dual_mul_f32 v176, v175, v171 :: v_dual_mov_b32 v172, v175
	s_delay_alu instid0(VALU_DEP_2) | instskip(NEXT) | instid1(VALU_DEP_2)
	v_dual_mov_b32 v179, v173 :: v_dual_mov_b32 v173, v174
	v_pk_fma_f32 v[176:177], v[174:175], v[42:43], v[176:177] op_sel_hi:[1,1,0] neg_lo:[0,0,1] neg_hi:[0,0,1]
	v_mul_f32_e32 v174, v175, v168
	s_delay_alu instid0(VALU_DEP_3) | instskip(NEXT) | instid1(VALU_DEP_2)
	v_pk_add_f32 v[102:103], v[102:103], v[178:179] neg_lo:[0,1] neg_hi:[0,1]
	v_pk_fma_f32 v[172:173], v[172:173], v[42:43], v[174:175] op_sel_hi:[1,1,0]
	s_delay_alu instid0(VALU_DEP_1) | instskip(SKIP_4) | instid1(VALU_DEP_1)
	v_mov_b32_e32 v177, v173
	ds_load_2addr_b64 v[172:175], v226 offset0:23 offset1:24
	v_pk_add_f32 v[130:131], v[130:131], v[176:177] neg_lo:[0,1] neg_hi:[0,1]
	s_wait_dscnt 0x0
	v_pk_mul_f32 v[176:177], v[172:173], v[170:171] op_sel:[0,1]
	v_pk_fma_f32 v[178:179], v[172:173], v[168:169], v[176:177] op_sel:[0,0,1] op_sel_hi:[1,1,0] neg_lo:[0,0,1] neg_hi:[0,0,1]
	v_pk_fma_f32 v[172:173], v[172:173], v[168:169], v[176:177] op_sel:[0,0,1] op_sel_hi:[1,0,0]
	s_delay_alu instid0(VALU_DEP_1) | instskip(SKIP_1) | instid1(VALU_DEP_1)
	v_mov_b32_e32 v179, v173
	v_pk_mul_f32 v[172:173], v[174:175], v[170:171] op_sel:[0,1]
	v_pk_fma_f32 v[176:177], v[174:175], v[168:169], v[172:173] op_sel:[0,0,1] op_sel_hi:[1,1,0] neg_lo:[0,0,1] neg_hi:[0,0,1]
	v_pk_fma_f32 v[172:173], v[174:175], v[168:169], v[172:173] op_sel:[0,0,1] op_sel_hi:[1,0,0]
	s_delay_alu instid0(VALU_DEP_1)
	v_mov_b32_e32 v177, v173
	ds_load_2addr_b64 v[172:175], v226 offset0:25 offset1:26
	v_pk_add_f32 v[128:129], v[128:129], v[178:179] neg_lo:[0,1] neg_hi:[0,1]
	v_pk_add_f32 v[144:145], v[144:145], v[176:177] neg_lo:[0,1] neg_hi:[0,1]
	s_wait_dscnt 0x0
	v_pk_mul_f32 v[176:177], v[172:173], v[170:171] op_sel:[0,1]
	s_delay_alu instid0(VALU_DEP_1) | instskip(SKIP_1) | instid1(VALU_DEP_1)
	v_pk_fma_f32 v[178:179], v[172:173], v[168:169], v[176:177] op_sel:[0,0,1] op_sel_hi:[1,1,0] neg_lo:[0,0,1] neg_hi:[0,0,1]
	v_pk_fma_f32 v[172:173], v[172:173], v[168:169], v[176:177] op_sel:[0,0,1] op_sel_hi:[1,0,0]
	v_mov_b32_e32 v179, v173
	v_pk_mul_f32 v[172:173], v[174:175], v[170:171] op_sel:[0,1]
	s_delay_alu instid0(VALU_DEP_1) | instskip(SKIP_1) | instid1(VALU_DEP_1)
	v_pk_fma_f32 v[176:177], v[174:175], v[168:169], v[172:173] op_sel:[0,0,1] op_sel_hi:[1,1,0] neg_lo:[0,0,1] neg_hi:[0,0,1]
	v_pk_fma_f32 v[172:173], v[174:175], v[168:169], v[172:173] op_sel:[0,0,1] op_sel_hi:[1,0,0]
	v_mov_b32_e32 v177, v173
	ds_load_2addr_b64 v[172:175], v226 offset0:27 offset1:28
	v_pk_add_f32 v[148:149], v[148:149], v[178:179] neg_lo:[0,1] neg_hi:[0,1]
	v_pk_add_f32 v[142:143], v[142:143], v[176:177] neg_lo:[0,1] neg_hi:[0,1]
	s_wait_dscnt 0x0
	v_dual_mul_f32 v176, v173, v171 :: v_dual_mul_f32 v178, v173, v168
	s_delay_alu instid0(VALU_DEP_1) | instskip(NEXT) | instid1(VALU_DEP_2)
	v_pk_fma_f32 v[176:177], v[172:173], v[42:43], v[176:177] op_sel_hi:[1,1,0] neg_lo:[0,0,1] neg_hi:[0,0,1]
	v_pk_fma_f32 v[172:173], v[172:173], v[42:43], v[178:179] op_sel:[1,0,0] op_sel_hi:[0,1,0]
	s_delay_alu instid0(VALU_DEP_1) | instskip(SKIP_1) | instid1(VALU_DEP_2)
	v_mov_b32_e32 v177, v173
	v_pk_mul_f32 v[172:173], v[174:175], v[170:171] op_sel:[0,1]
	v_pk_add_f32 v[140:141], v[140:141], v[176:177] neg_lo:[0,1] neg_hi:[0,1]
	s_delay_alu instid0(VALU_DEP_2) | instskip(SKIP_1) | instid1(VALU_DEP_1)
	v_pk_fma_f32 v[176:177], v[174:175], v[168:169], v[172:173] op_sel:[0,0,1] op_sel_hi:[1,1,0] neg_lo:[0,0,1] neg_hi:[0,0,1]
	v_pk_fma_f32 v[172:173], v[174:175], v[168:169], v[172:173] op_sel:[0,0,1] op_sel_hi:[1,0,0]
	v_mov_b32_e32 v177, v173
	ds_load_2addr_b64 v[172:175], v226 offset0:29 offset1:30
	v_pk_add_f32 v[126:127], v[126:127], v[176:177] neg_lo:[0,1] neg_hi:[0,1]
	s_wait_dscnt 0x0
	v_pk_mul_f32 v[176:177], v[172:173], v[170:171] op_sel:[0,1]
	s_delay_alu instid0(VALU_DEP_1) | instskip(SKIP_1) | instid1(VALU_DEP_1)
	v_pk_fma_f32 v[178:179], v[172:173], v[168:169], v[176:177] op_sel:[0,0,1] op_sel_hi:[1,1,0] neg_lo:[0,0,1] neg_hi:[0,0,1]
	v_pk_fma_f32 v[172:173], v[172:173], v[168:169], v[176:177] op_sel:[0,0,1] op_sel_hi:[1,0,0]
	v_mov_b32_e32 v179, v173
	v_pk_mul_f32 v[172:173], v[174:175], v[170:171] op_sel:[0,1]
	s_delay_alu instid0(VALU_DEP_2) | instskip(NEXT) | instid1(VALU_DEP_2)
	v_pk_add_f32 v[120:121], v[120:121], v[178:179] neg_lo:[0,1] neg_hi:[0,1]
	v_pk_fma_f32 v[176:177], v[174:175], v[168:169], v[172:173] op_sel:[0,0,1] op_sel_hi:[1,1,0] neg_lo:[0,0,1] neg_hi:[0,0,1]
	v_pk_fma_f32 v[172:173], v[174:175], v[168:169], v[172:173] op_sel:[0,0,1] op_sel_hi:[1,0,0]
	s_delay_alu instid0(VALU_DEP_1) | instskip(SKIP_4) | instid1(VALU_DEP_1)
	v_mov_b32_e32 v177, v173
	ds_load_2addr_b64 v[172:175], v226 offset0:31 offset1:32
	v_pk_add_f32 v[124:125], v[124:125], v[176:177] neg_lo:[0,1] neg_hi:[0,1]
	s_wait_dscnt 0x0
	v_pk_mul_f32 v[176:177], v[172:173], v[170:171] op_sel:[0,1]
	v_pk_fma_f32 v[178:179], v[172:173], v[168:169], v[176:177] op_sel:[0,0,1] op_sel_hi:[1,1,0] neg_lo:[0,0,1] neg_hi:[0,0,1]
	v_pk_fma_f32 v[172:173], v[172:173], v[168:169], v[176:177] op_sel:[0,0,1] op_sel_hi:[1,0,0]
	v_dual_mul_f32 v176, v175, v171 :: v_dual_mov_b32 v172, v175
	s_delay_alu instid0(VALU_DEP_2) | instskip(NEXT) | instid1(VALU_DEP_2)
	v_dual_mov_b32 v179, v173 :: v_dual_mov_b32 v173, v174
	v_pk_fma_f32 v[176:177], v[174:175], v[42:43], v[176:177] op_sel_hi:[1,1,0] neg_lo:[0,0,1] neg_hi:[0,0,1]
	v_mul_f32_e32 v174, v175, v168
	s_delay_alu instid0(VALU_DEP_3) | instskip(NEXT) | instid1(VALU_DEP_2)
	v_pk_add_f32 v[118:119], v[118:119], v[178:179] neg_lo:[0,1] neg_hi:[0,1]
	v_pk_fma_f32 v[172:173], v[172:173], v[42:43], v[174:175] op_sel_hi:[1,1,0]
	s_delay_alu instid0(VALU_DEP_1) | instskip(SKIP_4) | instid1(VALU_DEP_1)
	v_mov_b32_e32 v177, v173
	ds_load_2addr_b64 v[172:175], v226 offset0:33 offset1:34
	v_pk_add_f32 v[122:123], v[122:123], v[176:177] neg_lo:[0,1] neg_hi:[0,1]
	s_wait_dscnt 0x0
	v_pk_mul_f32 v[176:177], v[172:173], v[170:171] op_sel:[0,1]
	v_pk_fma_f32 v[178:179], v[172:173], v[168:169], v[176:177] op_sel:[0,0,1] op_sel_hi:[1,1,0] neg_lo:[0,0,1] neg_hi:[0,0,1]
	v_pk_fma_f32 v[172:173], v[172:173], v[168:169], v[176:177] op_sel:[0,0,1] op_sel_hi:[1,0,0]
	s_delay_alu instid0(VALU_DEP_1) | instskip(SKIP_1) | instid1(VALU_DEP_1)
	v_mov_b32_e32 v179, v173
	v_pk_mul_f32 v[172:173], v[174:175], v[170:171] op_sel:[0,1]
	v_pk_fma_f32 v[176:177], v[174:175], v[168:169], v[172:173] op_sel:[0,0,1] op_sel_hi:[1,1,0] neg_lo:[0,0,1] neg_hi:[0,0,1]
	v_pk_fma_f32 v[172:173], v[174:175], v[168:169], v[172:173] op_sel:[0,0,1] op_sel_hi:[1,0,0]
	s_delay_alu instid0(VALU_DEP_1)
	v_mov_b32_e32 v177, v173
	ds_load_2addr_b64 v[172:175], v226 offset0:35 offset1:36
	v_pk_add_f32 v[138:139], v[138:139], v[178:179] neg_lo:[0,1] neg_hi:[0,1]
	v_pk_add_f32 v[136:137], v[136:137], v[176:177] neg_lo:[0,1] neg_hi:[0,1]
	s_wait_dscnt 0x0
	v_pk_mul_f32 v[176:177], v[172:173], v[170:171] op_sel:[0,1]
	v_pk_mul_f32 v[170:171], v[174:175], v[170:171] op_sel:[0,1]
	s_delay_alu instid0(VALU_DEP_2) | instskip(SKIP_1) | instid1(VALU_DEP_1)
	v_pk_fma_f32 v[178:179], v[172:173], v[168:169], v[176:177] op_sel:[0,0,1] op_sel_hi:[1,1,0] neg_lo:[0,0,1] neg_hi:[0,0,1]
	v_pk_fma_f32 v[172:173], v[172:173], v[168:169], v[176:177] op_sel:[0,0,1] op_sel_hi:[1,0,0]
	v_mov_b32_e32 v179, v173
	s_delay_alu instid0(VALU_DEP_4) | instskip(SKIP_1) | instid1(VALU_DEP_1)
	v_pk_fma_f32 v[172:173], v[174:175], v[168:169], v[170:171] op_sel:[0,0,1] op_sel_hi:[1,1,0] neg_lo:[0,0,1] neg_hi:[0,0,1]
	v_pk_fma_f32 v[168:169], v[174:175], v[168:169], v[170:171] op_sel:[0,0,1] op_sel_hi:[1,0,0]
	v_mov_b32_e32 v173, v169
	s_delay_alu instid0(VALU_DEP_4) | instskip(NEXT) | instid1(VALU_DEP_2)
	v_pk_add_f32 v[134:135], v[134:135], v[178:179] neg_lo:[0,1] neg_hi:[0,1]
	v_pk_add_f32 v[146:147], v[146:147], v[172:173] neg_lo:[0,1] neg_hi:[0,1]
.LBB73_82:
	s_or_b32 exec_lo, exec_lo, s1
	s_delay_alu instid0(SALU_CYCLE_1)
	s_mov_b32 s2, exec_lo
	s_wait_dscnt 0x0
	s_barrier_signal -1
	s_barrier_wait -1
	v_cmpx_eq_u32_e32 9, v224
	s_cbranch_execz .LBB73_89
; %bb.83:
	v_dual_mov_b32 v168, v40 :: v_dual_mov_b32 v169, v41
	v_dual_mov_b32 v170, v36 :: v_dual_mov_b32 v171, v37
	ds_store_b64 v225, v[38:39]
	ds_store_2addr_b64 v226, v[168:169], v[170:171] offset0:10 offset1:11
	v_dual_mov_b32 v168, v60 :: v_dual_mov_b32 v169, v61
	v_dual_mov_b32 v170, v78 :: v_dual_mov_b32 v171, v79
	ds_store_2addr_b64 v226, v[168:169], v[170:171] offset0:12 offset1:13
	v_dual_mov_b32 v168, v92 :: v_dual_mov_b32 v169, v93
	v_dual_mov_b32 v170, v90 :: v_dual_mov_b32 v171, v91
	;; [unrolled: 3-line block ×12, first 2 shown]
	ds_store_2addr_b64 v226, v[168:169], v[170:171] offset0:34 offset1:35
	ds_store_b64 v226, v[146:147] offset:288
	ds_load_b64 v[168:169], v225
	s_wait_dscnt 0x0
	v_cmp_neq_f32_e32 vcc_lo, 0, v168
	v_cmp_neq_f32_e64 s1, 0, v169
	s_or_b32 s1, vcc_lo, s1
	s_delay_alu instid0(SALU_CYCLE_1)
	s_and_b32 exec_lo, exec_lo, s1
	s_cbranch_execz .LBB73_89
; %bb.84:
	v_cmp_ngt_f32_e64 s1, |v168|, |v169|
                                        ; implicit-def: $vgpr170_vgpr171
	s_and_saveexec_b32 s4, s1
	s_delay_alu instid0(SALU_CYCLE_1)
	s_xor_b32 s1, exec_lo, s4
	s_cbranch_execz .LBB73_86
; %bb.85:
	v_div_scale_f32 v170, null, v169, v169, v168
	v_div_scale_f32 v173, vcc_lo, v168, v169, v168
	s_delay_alu instid0(VALU_DEP_2) | instskip(SKIP_1) | instid1(TRANS32_DEP_1)
	v_rcp_f32_e32 v171, v170
	v_nop
	v_fma_f32 v172, -v170, v171, 1.0
	s_delay_alu instid0(VALU_DEP_1) | instskip(NEXT) | instid1(VALU_DEP_1)
	v_fmac_f32_e32 v171, v172, v171
	v_mul_f32_e32 v172, v173, v171
	s_delay_alu instid0(VALU_DEP_1) | instskip(NEXT) | instid1(VALU_DEP_1)
	v_fma_f32 v174, -v170, v172, v173
	v_fmac_f32_e32 v172, v174, v171
	s_delay_alu instid0(VALU_DEP_1) | instskip(NEXT) | instid1(VALU_DEP_1)
	v_fma_f32 v170, -v170, v172, v173
	v_div_fmas_f32 v170, v170, v171, v172
	s_delay_alu instid0(VALU_DEP_1) | instskip(NEXT) | instid1(VALU_DEP_1)
	v_div_fixup_f32 v170, v170, v169, v168
	v_fmac_f32_e32 v169, v168, v170
	s_delay_alu instid0(VALU_DEP_1) | instskip(SKIP_1) | instid1(VALU_DEP_2)
	v_div_scale_f32 v168, null, v169, v169, 1.0
	v_div_scale_f32 v173, vcc_lo, 1.0, v169, 1.0
	v_rcp_f32_e32 v171, v168
	v_nop
	s_delay_alu instid0(TRANS32_DEP_1) | instskip(NEXT) | instid1(VALU_DEP_1)
	v_fma_f32 v172, -v168, v171, 1.0
	v_fmac_f32_e32 v171, v172, v171
	s_delay_alu instid0(VALU_DEP_1) | instskip(NEXT) | instid1(VALU_DEP_1)
	v_mul_f32_e32 v172, v173, v171
	v_fma_f32 v174, -v168, v172, v173
	s_delay_alu instid0(VALU_DEP_1) | instskip(NEXT) | instid1(VALU_DEP_1)
	v_fmac_f32_e32 v172, v174, v171
	v_fma_f32 v168, -v168, v172, v173
	s_delay_alu instid0(VALU_DEP_1) | instskip(NEXT) | instid1(VALU_DEP_1)
	v_div_fmas_f32 v168, v168, v171, v172
	v_div_fixup_f32 v168, v168, v169, 1.0
	s_delay_alu instid0(VALU_DEP_1)
	v_mul_f32_e32 v170, v170, v168
	v_xor_b32_e32 v171, 0x80000000, v168
                                        ; implicit-def: $vgpr168_vgpr169
.LBB73_86:
	s_and_not1_saveexec_b32 s1, s1
	s_cbranch_execz .LBB73_88
; %bb.87:
	v_div_scale_f32 v170, null, v168, v168, v169
	v_div_scale_f32 v173, vcc_lo, v169, v168, v169
	s_delay_alu instid0(VALU_DEP_2) | instskip(SKIP_1) | instid1(TRANS32_DEP_1)
	v_rcp_f32_e32 v171, v170
	v_nop
	v_fma_f32 v172, -v170, v171, 1.0
	s_delay_alu instid0(VALU_DEP_1) | instskip(NEXT) | instid1(VALU_DEP_1)
	v_fmac_f32_e32 v171, v172, v171
	v_mul_f32_e32 v172, v173, v171
	s_delay_alu instid0(VALU_DEP_1) | instskip(NEXT) | instid1(VALU_DEP_1)
	v_fma_f32 v174, -v170, v172, v173
	v_fmac_f32_e32 v172, v174, v171
	s_delay_alu instid0(VALU_DEP_1) | instskip(NEXT) | instid1(VALU_DEP_1)
	v_fma_f32 v170, -v170, v172, v173
	v_div_fmas_f32 v170, v170, v171, v172
	s_delay_alu instid0(VALU_DEP_1) | instskip(NEXT) | instid1(VALU_DEP_1)
	v_div_fixup_f32 v171, v170, v168, v169
	v_fmac_f32_e32 v168, v169, v171
	s_delay_alu instid0(VALU_DEP_1) | instskip(NEXT) | instid1(VALU_DEP_1)
	v_div_scale_f32 v169, null, v168, v168, 1.0
	v_rcp_f32_e32 v170, v169
	v_nop
	s_delay_alu instid0(TRANS32_DEP_1) | instskip(NEXT) | instid1(VALU_DEP_1)
	v_fma_f32 v172, -v169, v170, 1.0
	v_fmac_f32_e32 v170, v172, v170
	v_div_scale_f32 v172, vcc_lo, 1.0, v168, 1.0
	s_delay_alu instid0(VALU_DEP_1) | instskip(NEXT) | instid1(VALU_DEP_1)
	v_mul_f32_e32 v173, v172, v170
	v_fma_f32 v174, -v169, v173, v172
	s_delay_alu instid0(VALU_DEP_1) | instskip(NEXT) | instid1(VALU_DEP_1)
	v_fmac_f32_e32 v173, v174, v170
	v_fma_f32 v169, -v169, v173, v172
	s_delay_alu instid0(VALU_DEP_1) | instskip(NEXT) | instid1(VALU_DEP_1)
	v_div_fmas_f32 v169, v169, v170, v173
	v_div_fixup_f32 v170, v169, v168, 1.0
	s_delay_alu instid0(VALU_DEP_1)
	v_mul_f32_e64 v171, v171, -v170
.LBB73_88:
	s_or_b32 exec_lo, exec_lo, s1
	ds_store_b64 v225, v[170:171]
.LBB73_89:
	s_or_b32 exec_lo, exec_lo, s2
	s_wait_dscnt 0x0
	s_barrier_signal -1
	s_barrier_wait -1
	ds_load_b64 v[168:169], v225
	s_mov_b32 s1, exec_lo
	v_cmpx_lt_u32_e32 9, v224
	s_cbranch_execz .LBB73_91
; %bb.90:
	ds_load_2addr_b64 v[174:177], v226 offset0:10 offset1:11
	s_wait_dscnt 0x1
	v_pk_mul_f32 v[172:173], v[168:169], v[38:39] op_sel:[1,1] op_sel_hi:[0,1]
	s_delay_alu instid0(VALU_DEP_1) | instskip(SKIP_1) | instid1(VALU_DEP_1)
	v_pk_fma_f32 v[170:171], v[168:169], v[38:39], v[172:173] op_sel_hi:[1,0,1] neg_lo:[0,0,1] neg_hi:[0,0,1]
	v_pk_fma_f32 v[172:173], v[168:169], v[38:39], v[172:173] op_sel_hi:[1,0,1]
	v_dual_mov_b32 v38, v170 :: v_dual_mov_b32 v39, v173
	s_wait_dscnt 0x0
	s_delay_alu instid0(VALU_DEP_2) | instskip(NEXT) | instid1(VALU_DEP_1)
	v_pk_mul_f32 v[178:179], v[174:175], v[172:173] op_sel:[0,1]
	v_pk_fma_f32 v[180:181], v[174:175], v[170:171], v[178:179] op_sel:[0,0,1] op_sel_hi:[1,1,0] neg_lo:[0,0,1] neg_hi:[0,0,1]
	v_pk_fma_f32 v[174:175], v[174:175], v[170:171], v[178:179] op_sel:[0,0,1] op_sel_hi:[1,0,0]
	s_delay_alu instid0(VALU_DEP_1) | instskip(SKIP_1) | instid1(VALU_DEP_1)
	v_mov_b32_e32 v181, v175
	v_pk_mul_f32 v[174:175], v[176:177], v[172:173] op_sel:[0,1]
	v_pk_fma_f32 v[178:179], v[176:177], v[170:171], v[174:175] op_sel:[0,0,1] op_sel_hi:[1,1,0] neg_lo:[0,0,1] neg_hi:[0,0,1]
	v_pk_fma_f32 v[174:175], v[176:177], v[170:171], v[174:175] op_sel:[0,0,1] op_sel_hi:[1,0,0]
	s_delay_alu instid0(VALU_DEP_1)
	v_mov_b32_e32 v179, v175
	ds_load_2addr_b64 v[174:177], v226 offset0:12 offset1:13
	v_pk_add_f32 v[40:41], v[40:41], v[180:181] neg_lo:[0,1] neg_hi:[0,1]
	v_pk_add_f32 v[36:37], v[36:37], v[178:179] neg_lo:[0,1] neg_hi:[0,1]
	s_wait_dscnt 0x0
	v_pk_mul_f32 v[178:179], v[174:175], v[172:173] op_sel:[0,1]
	s_delay_alu instid0(VALU_DEP_1) | instskip(SKIP_2) | instid1(VALU_DEP_2)
	v_pk_fma_f32 v[180:181], v[174:175], v[170:171], v[178:179] op_sel:[0,0,1] op_sel_hi:[1,1,0] neg_lo:[0,0,1] neg_hi:[0,0,1]
	v_pk_fma_f32 v[174:175], v[174:175], v[170:171], v[178:179] op_sel:[0,0,1] op_sel_hi:[1,0,0]
	v_dual_mul_f32 v178, v177, v173 :: v_dual_mov_b32 v174, v177
	v_dual_mov_b32 v181, v175 :: v_dual_mov_b32 v175, v176
	s_delay_alu instid0(VALU_DEP_2) | instskip(SKIP_1) | instid1(VALU_DEP_3)
	v_pk_fma_f32 v[178:179], v[176:177], v[38:39], v[178:179] op_sel_hi:[1,1,0] neg_lo:[0,0,1] neg_hi:[0,0,1]
	v_mul_f32_e32 v176, v177, v170
	v_pk_add_f32 v[60:61], v[60:61], v[180:181] neg_lo:[0,1] neg_hi:[0,1]
	s_delay_alu instid0(VALU_DEP_2) | instskip(NEXT) | instid1(VALU_DEP_1)
	v_pk_fma_f32 v[174:175], v[174:175], v[38:39], v[176:177] op_sel_hi:[1,1,0]
	v_mov_b32_e32 v179, v175
	ds_load_2addr_b64 v[174:177], v226 offset0:14 offset1:15
	v_pk_add_f32 v[78:79], v[78:79], v[178:179] neg_lo:[0,1] neg_hi:[0,1]
	s_wait_dscnt 0x0
	v_pk_mul_f32 v[178:179], v[174:175], v[172:173] op_sel:[0,1]
	s_delay_alu instid0(VALU_DEP_1) | instskip(SKIP_1) | instid1(VALU_DEP_1)
	v_pk_fma_f32 v[180:181], v[174:175], v[170:171], v[178:179] op_sel:[0,0,1] op_sel_hi:[1,1,0] neg_lo:[0,0,1] neg_hi:[0,0,1]
	v_pk_fma_f32 v[174:175], v[174:175], v[170:171], v[178:179] op_sel:[0,0,1] op_sel_hi:[1,0,0]
	v_mov_b32_e32 v181, v175
	v_pk_mul_f32 v[174:175], v[176:177], v[172:173] op_sel:[0,1]
	s_delay_alu instid0(VALU_DEP_1) | instskip(SKIP_1) | instid1(VALU_DEP_1)
	v_pk_fma_f32 v[178:179], v[176:177], v[170:171], v[174:175] op_sel:[0,0,1] op_sel_hi:[1,1,0] neg_lo:[0,0,1] neg_hi:[0,0,1]
	v_pk_fma_f32 v[174:175], v[176:177], v[170:171], v[174:175] op_sel:[0,0,1] op_sel_hi:[1,0,0]
	v_mov_b32_e32 v179, v175
	ds_load_2addr_b64 v[174:177], v226 offset0:16 offset1:17
	v_pk_add_f32 v[92:93], v[92:93], v[180:181] neg_lo:[0,1] neg_hi:[0,1]
	v_pk_add_f32 v[90:91], v[90:91], v[178:179] neg_lo:[0,1] neg_hi:[0,1]
	s_wait_dscnt 0x0
	v_pk_mul_f32 v[178:179], v[174:175], v[172:173] op_sel:[0,1]
	s_delay_alu instid0(VALU_DEP_1) | instskip(SKIP_1) | instid1(VALU_DEP_1)
	v_pk_fma_f32 v[180:181], v[174:175], v[170:171], v[178:179] op_sel:[0,0,1] op_sel_hi:[1,1,0] neg_lo:[0,0,1] neg_hi:[0,0,1]
	v_pk_fma_f32 v[174:175], v[174:175], v[170:171], v[178:179] op_sel:[0,0,1] op_sel_hi:[1,0,0]
	v_mov_b32_e32 v181, v175
	v_pk_mul_f32 v[174:175], v[176:177], v[172:173] op_sel:[0,1]
	s_delay_alu instid0(VALU_DEP_1) | instskip(SKIP_1) | instid1(VALU_DEP_1)
	v_pk_fma_f32 v[178:179], v[176:177], v[170:171], v[174:175] op_sel:[0,0,1] op_sel_hi:[1,1,0] neg_lo:[0,0,1] neg_hi:[0,0,1]
	v_pk_fma_f32 v[174:175], v[176:177], v[170:171], v[174:175] op_sel:[0,0,1] op_sel_hi:[1,0,0]
	v_mov_b32_e32 v179, v175
	ds_load_2addr_b64 v[174:177], v226 offset0:18 offset1:19
	v_pk_add_f32 v[116:117], v[116:117], v[180:181] neg_lo:[0,1] neg_hi:[0,1]
	v_pk_add_f32 v[88:89], v[88:89], v[178:179] neg_lo:[0,1] neg_hi:[0,1]
	s_wait_dscnt 0x0
	v_dual_mul_f32 v178, v175, v173 :: v_dual_mul_f32 v180, v175, v170
	s_delay_alu instid0(VALU_DEP_1) | instskip(NEXT) | instid1(VALU_DEP_2)
	v_pk_fma_f32 v[178:179], v[174:175], v[38:39], v[178:179] op_sel_hi:[1,1,0] neg_lo:[0,0,1] neg_hi:[0,0,1]
	v_pk_fma_f32 v[174:175], v[174:175], v[38:39], v[180:181] op_sel:[1,0,0] op_sel_hi:[0,1,0]
	s_delay_alu instid0(VALU_DEP_1) | instskip(SKIP_1) | instid1(VALU_DEP_2)
	v_mov_b32_e32 v179, v175
	v_pk_mul_f32 v[174:175], v[176:177], v[172:173] op_sel:[0,1]
	v_pk_add_f32 v[114:115], v[114:115], v[178:179] neg_lo:[0,1] neg_hi:[0,1]
	s_delay_alu instid0(VALU_DEP_2) | instskip(SKIP_1) | instid1(VALU_DEP_1)
	v_pk_fma_f32 v[178:179], v[176:177], v[170:171], v[174:175] op_sel:[0,0,1] op_sel_hi:[1,1,0] neg_lo:[0,0,1] neg_hi:[0,0,1]
	v_pk_fma_f32 v[174:175], v[176:177], v[170:171], v[174:175] op_sel:[0,0,1] op_sel_hi:[1,0,0]
	v_mov_b32_e32 v179, v175
	ds_load_2addr_b64 v[174:177], v226 offset0:20 offset1:21
	v_pk_add_f32 v[112:113], v[112:113], v[178:179] neg_lo:[0,1] neg_hi:[0,1]
	s_wait_dscnt 0x0
	v_pk_mul_f32 v[178:179], v[174:175], v[172:173] op_sel:[0,1]
	s_delay_alu instid0(VALU_DEP_1) | instskip(SKIP_1) | instid1(VALU_DEP_1)
	v_pk_fma_f32 v[180:181], v[174:175], v[170:171], v[178:179] op_sel:[0,0,1] op_sel_hi:[1,1,0] neg_lo:[0,0,1] neg_hi:[0,0,1]
	v_pk_fma_f32 v[174:175], v[174:175], v[170:171], v[178:179] op_sel:[0,0,1] op_sel_hi:[1,0,0]
	v_mov_b32_e32 v181, v175
	v_pk_mul_f32 v[174:175], v[176:177], v[172:173] op_sel:[0,1]
	s_delay_alu instid0(VALU_DEP_2) | instskip(NEXT) | instid1(VALU_DEP_2)
	v_pk_add_f32 v[132:133], v[132:133], v[180:181] neg_lo:[0,1] neg_hi:[0,1]
	v_pk_fma_f32 v[178:179], v[176:177], v[170:171], v[174:175] op_sel:[0,0,1] op_sel_hi:[1,1,0] neg_lo:[0,0,1] neg_hi:[0,0,1]
	v_pk_fma_f32 v[174:175], v[176:177], v[170:171], v[174:175] op_sel:[0,0,1] op_sel_hi:[1,0,0]
	s_delay_alu instid0(VALU_DEP_1) | instskip(SKIP_4) | instid1(VALU_DEP_1)
	v_mov_b32_e32 v179, v175
	ds_load_2addr_b64 v[174:177], v226 offset0:22 offset1:23
	v_pk_add_f32 v[102:103], v[102:103], v[178:179] neg_lo:[0,1] neg_hi:[0,1]
	s_wait_dscnt 0x0
	v_pk_mul_f32 v[178:179], v[174:175], v[172:173] op_sel:[0,1]
	v_pk_fma_f32 v[180:181], v[174:175], v[170:171], v[178:179] op_sel:[0,0,1] op_sel_hi:[1,1,0] neg_lo:[0,0,1] neg_hi:[0,0,1]
	v_pk_fma_f32 v[174:175], v[174:175], v[170:171], v[178:179] op_sel:[0,0,1] op_sel_hi:[1,0,0]
	v_dual_mul_f32 v178, v177, v173 :: v_dual_mov_b32 v174, v177
	s_delay_alu instid0(VALU_DEP_2) | instskip(NEXT) | instid1(VALU_DEP_2)
	v_dual_mov_b32 v181, v175 :: v_dual_mov_b32 v175, v176
	v_pk_fma_f32 v[178:179], v[176:177], v[38:39], v[178:179] op_sel_hi:[1,1,0] neg_lo:[0,0,1] neg_hi:[0,0,1]
	v_mul_f32_e32 v176, v177, v170
	s_delay_alu instid0(VALU_DEP_3) | instskip(NEXT) | instid1(VALU_DEP_2)
	v_pk_add_f32 v[130:131], v[130:131], v[180:181] neg_lo:[0,1] neg_hi:[0,1]
	v_pk_fma_f32 v[174:175], v[174:175], v[38:39], v[176:177] op_sel_hi:[1,1,0]
	s_delay_alu instid0(VALU_DEP_1) | instskip(SKIP_4) | instid1(VALU_DEP_1)
	v_mov_b32_e32 v179, v175
	ds_load_2addr_b64 v[174:177], v226 offset0:24 offset1:25
	v_pk_add_f32 v[128:129], v[128:129], v[178:179] neg_lo:[0,1] neg_hi:[0,1]
	s_wait_dscnt 0x0
	v_pk_mul_f32 v[178:179], v[174:175], v[172:173] op_sel:[0,1]
	v_pk_fma_f32 v[180:181], v[174:175], v[170:171], v[178:179] op_sel:[0,0,1] op_sel_hi:[1,1,0] neg_lo:[0,0,1] neg_hi:[0,0,1]
	v_pk_fma_f32 v[174:175], v[174:175], v[170:171], v[178:179] op_sel:[0,0,1] op_sel_hi:[1,0,0]
	s_delay_alu instid0(VALU_DEP_1) | instskip(SKIP_1) | instid1(VALU_DEP_1)
	v_mov_b32_e32 v181, v175
	v_pk_mul_f32 v[174:175], v[176:177], v[172:173] op_sel:[0,1]
	v_pk_fma_f32 v[178:179], v[176:177], v[170:171], v[174:175] op_sel:[0,0,1] op_sel_hi:[1,1,0] neg_lo:[0,0,1] neg_hi:[0,0,1]
	v_pk_fma_f32 v[174:175], v[176:177], v[170:171], v[174:175] op_sel:[0,0,1] op_sel_hi:[1,0,0]
	s_delay_alu instid0(VALU_DEP_1)
	v_mov_b32_e32 v179, v175
	ds_load_2addr_b64 v[174:177], v226 offset0:26 offset1:27
	v_pk_add_f32 v[144:145], v[144:145], v[180:181] neg_lo:[0,1] neg_hi:[0,1]
	v_pk_add_f32 v[148:149], v[148:149], v[178:179] neg_lo:[0,1] neg_hi:[0,1]
	s_wait_dscnt 0x0
	v_pk_mul_f32 v[178:179], v[174:175], v[172:173] op_sel:[0,1]
	s_delay_alu instid0(VALU_DEP_1) | instskip(SKIP_1) | instid1(VALU_DEP_1)
	v_pk_fma_f32 v[180:181], v[174:175], v[170:171], v[178:179] op_sel:[0,0,1] op_sel_hi:[1,1,0] neg_lo:[0,0,1] neg_hi:[0,0,1]
	v_pk_fma_f32 v[174:175], v[174:175], v[170:171], v[178:179] op_sel:[0,0,1] op_sel_hi:[1,0,0]
	v_mov_b32_e32 v181, v175
	v_pk_mul_f32 v[174:175], v[176:177], v[172:173] op_sel:[0,1]
	s_delay_alu instid0(VALU_DEP_1) | instskip(SKIP_1) | instid1(VALU_DEP_1)
	v_pk_fma_f32 v[178:179], v[176:177], v[170:171], v[174:175] op_sel:[0,0,1] op_sel_hi:[1,1,0] neg_lo:[0,0,1] neg_hi:[0,0,1]
	v_pk_fma_f32 v[174:175], v[176:177], v[170:171], v[174:175] op_sel:[0,0,1] op_sel_hi:[1,0,0]
	v_mov_b32_e32 v179, v175
	ds_load_2addr_b64 v[174:177], v226 offset0:28 offset1:29
	v_pk_add_f32 v[142:143], v[142:143], v[180:181] neg_lo:[0,1] neg_hi:[0,1]
	v_pk_add_f32 v[140:141], v[140:141], v[178:179] neg_lo:[0,1] neg_hi:[0,1]
	s_wait_dscnt 0x0
	v_dual_mul_f32 v178, v175, v173 :: v_dual_mul_f32 v180, v175, v170
	s_delay_alu instid0(VALU_DEP_1) | instskip(NEXT) | instid1(VALU_DEP_2)
	v_pk_fma_f32 v[178:179], v[174:175], v[38:39], v[178:179] op_sel_hi:[1,1,0] neg_lo:[0,0,1] neg_hi:[0,0,1]
	v_pk_fma_f32 v[174:175], v[174:175], v[38:39], v[180:181] op_sel:[1,0,0] op_sel_hi:[0,1,0]
	s_delay_alu instid0(VALU_DEP_1) | instskip(SKIP_1) | instid1(VALU_DEP_2)
	v_mov_b32_e32 v179, v175
	v_pk_mul_f32 v[174:175], v[176:177], v[172:173] op_sel:[0,1]
	v_pk_add_f32 v[126:127], v[126:127], v[178:179] neg_lo:[0,1] neg_hi:[0,1]
	s_delay_alu instid0(VALU_DEP_2) | instskip(SKIP_1) | instid1(VALU_DEP_1)
	v_pk_fma_f32 v[178:179], v[176:177], v[170:171], v[174:175] op_sel:[0,0,1] op_sel_hi:[1,1,0] neg_lo:[0,0,1] neg_hi:[0,0,1]
	v_pk_fma_f32 v[174:175], v[176:177], v[170:171], v[174:175] op_sel:[0,0,1] op_sel_hi:[1,0,0]
	v_mov_b32_e32 v179, v175
	ds_load_2addr_b64 v[174:177], v226 offset0:30 offset1:31
	v_pk_add_f32 v[120:121], v[120:121], v[178:179] neg_lo:[0,1] neg_hi:[0,1]
	s_wait_dscnt 0x0
	v_pk_mul_f32 v[178:179], v[174:175], v[172:173] op_sel:[0,1]
	s_delay_alu instid0(VALU_DEP_1) | instskip(SKIP_1) | instid1(VALU_DEP_1)
	v_pk_fma_f32 v[180:181], v[174:175], v[170:171], v[178:179] op_sel:[0,0,1] op_sel_hi:[1,1,0] neg_lo:[0,0,1] neg_hi:[0,0,1]
	v_pk_fma_f32 v[174:175], v[174:175], v[170:171], v[178:179] op_sel:[0,0,1] op_sel_hi:[1,0,0]
	v_mov_b32_e32 v181, v175
	v_pk_mul_f32 v[174:175], v[176:177], v[172:173] op_sel:[0,1]
	s_delay_alu instid0(VALU_DEP_2) | instskip(NEXT) | instid1(VALU_DEP_2)
	v_pk_add_f32 v[124:125], v[124:125], v[180:181] neg_lo:[0,1] neg_hi:[0,1]
	v_pk_fma_f32 v[178:179], v[176:177], v[170:171], v[174:175] op_sel:[0,0,1] op_sel_hi:[1,1,0] neg_lo:[0,0,1] neg_hi:[0,0,1]
	v_pk_fma_f32 v[174:175], v[176:177], v[170:171], v[174:175] op_sel:[0,0,1] op_sel_hi:[1,0,0]
	s_delay_alu instid0(VALU_DEP_1) | instskip(SKIP_4) | instid1(VALU_DEP_1)
	v_mov_b32_e32 v179, v175
	ds_load_2addr_b64 v[174:177], v226 offset0:32 offset1:33
	v_pk_add_f32 v[118:119], v[118:119], v[178:179] neg_lo:[0,1] neg_hi:[0,1]
	s_wait_dscnt 0x0
	v_pk_mul_f32 v[178:179], v[174:175], v[172:173] op_sel:[0,1]
	v_pk_fma_f32 v[180:181], v[174:175], v[170:171], v[178:179] op_sel:[0,0,1] op_sel_hi:[1,1,0] neg_lo:[0,0,1] neg_hi:[0,0,1]
	v_pk_fma_f32 v[174:175], v[174:175], v[170:171], v[178:179] op_sel:[0,0,1] op_sel_hi:[1,0,0]
	v_dual_mul_f32 v178, v177, v173 :: v_dual_mov_b32 v174, v177
	s_delay_alu instid0(VALU_DEP_2) | instskip(NEXT) | instid1(VALU_DEP_2)
	v_dual_mov_b32 v181, v175 :: v_dual_mov_b32 v175, v176
	v_pk_fma_f32 v[178:179], v[176:177], v[38:39], v[178:179] op_sel_hi:[1,1,0] neg_lo:[0,0,1] neg_hi:[0,0,1]
	v_mul_f32_e32 v176, v177, v170
	s_delay_alu instid0(VALU_DEP_3) | instskip(NEXT) | instid1(VALU_DEP_2)
	v_pk_add_f32 v[122:123], v[122:123], v[180:181] neg_lo:[0,1] neg_hi:[0,1]
	v_pk_fma_f32 v[174:175], v[174:175], v[38:39], v[176:177] op_sel_hi:[1,1,0]
	s_delay_alu instid0(VALU_DEP_1) | instskip(SKIP_4) | instid1(VALU_DEP_1)
	v_mov_b32_e32 v179, v175
	ds_load_2addr_b64 v[174:177], v226 offset0:34 offset1:35
	v_pk_add_f32 v[138:139], v[138:139], v[178:179] neg_lo:[0,1] neg_hi:[0,1]
	s_wait_dscnt 0x0
	v_pk_mul_f32 v[178:179], v[174:175], v[172:173] op_sel:[0,1]
	v_pk_fma_f32 v[180:181], v[174:175], v[170:171], v[178:179] op_sel:[0,0,1] op_sel_hi:[1,1,0] neg_lo:[0,0,1] neg_hi:[0,0,1]
	v_pk_fma_f32 v[174:175], v[174:175], v[170:171], v[178:179] op_sel:[0,0,1] op_sel_hi:[1,0,0]
	s_delay_alu instid0(VALU_DEP_1) | instskip(SKIP_1) | instid1(VALU_DEP_1)
	v_mov_b32_e32 v181, v175
	v_pk_mul_f32 v[174:175], v[176:177], v[172:173] op_sel:[0,1]
	v_pk_fma_f32 v[178:179], v[176:177], v[170:171], v[174:175] op_sel:[0,0,1] op_sel_hi:[1,1,0] neg_lo:[0,0,1] neg_hi:[0,0,1]
	v_pk_fma_f32 v[174:175], v[176:177], v[170:171], v[174:175] op_sel:[0,0,1] op_sel_hi:[1,0,0]
	s_delay_alu instid0(VALU_DEP_1)
	v_mov_b32_e32 v179, v175
	ds_load_b64 v[174:175], v226 offset:288
	v_pk_add_f32 v[136:137], v[136:137], v[180:181] neg_lo:[0,1] neg_hi:[0,1]
	v_pk_add_f32 v[134:135], v[134:135], v[178:179] neg_lo:[0,1] neg_hi:[0,1]
	s_wait_dscnt 0x0
	v_pk_mul_f32 v[172:173], v[174:175], v[172:173] op_sel:[0,1]
	s_delay_alu instid0(VALU_DEP_1) | instskip(SKIP_1) | instid1(VALU_DEP_1)
	v_pk_fma_f32 v[176:177], v[174:175], v[170:171], v[172:173] op_sel:[0,0,1] op_sel_hi:[1,1,0] neg_lo:[0,0,1] neg_hi:[0,0,1]
	v_pk_fma_f32 v[170:171], v[174:175], v[170:171], v[172:173] op_sel:[0,0,1] op_sel_hi:[1,0,0]
	v_mov_b32_e32 v177, v171
	s_delay_alu instid0(VALU_DEP_1)
	v_pk_add_f32 v[146:147], v[146:147], v[176:177] neg_lo:[0,1] neg_hi:[0,1]
.LBB73_91:
	s_or_b32 exec_lo, exec_lo, s1
	s_delay_alu instid0(SALU_CYCLE_1)
	s_mov_b32 s2, exec_lo
	s_wait_dscnt 0x0
	s_barrier_signal -1
	s_barrier_wait -1
	v_cmpx_eq_u32_e32 10, v224
	s_cbranch_execz .LBB73_98
; %bb.92:
	ds_store_b64 v225, v[40:41]
	ds_store_2addr_b64 v226, v[36:37], v[60:61] offset0:11 offset1:12
	ds_store_2addr_b64 v226, v[78:79], v[92:93] offset0:13 offset1:14
	;; [unrolled: 1-line block ×13, first 2 shown]
	ds_load_b64 v[170:171], v225
	s_wait_dscnt 0x0
	v_cmp_neq_f32_e32 vcc_lo, 0, v170
	v_cmp_neq_f32_e64 s1, 0, v171
	s_or_b32 s1, vcc_lo, s1
	s_delay_alu instid0(SALU_CYCLE_1)
	s_and_b32 exec_lo, exec_lo, s1
	s_cbranch_execz .LBB73_98
; %bb.93:
	v_cmp_ngt_f32_e64 s1, |v170|, |v171|
                                        ; implicit-def: $vgpr172_vgpr173
	s_and_saveexec_b32 s4, s1
	s_delay_alu instid0(SALU_CYCLE_1)
	s_xor_b32 s1, exec_lo, s4
	s_cbranch_execz .LBB73_95
; %bb.94:
	v_div_scale_f32 v172, null, v171, v171, v170
	v_div_scale_f32 v175, vcc_lo, v170, v171, v170
	s_delay_alu instid0(VALU_DEP_2) | instskip(SKIP_1) | instid1(TRANS32_DEP_1)
	v_rcp_f32_e32 v173, v172
	v_nop
	v_fma_f32 v174, -v172, v173, 1.0
	s_delay_alu instid0(VALU_DEP_1) | instskip(NEXT) | instid1(VALU_DEP_1)
	v_fmac_f32_e32 v173, v174, v173
	v_mul_f32_e32 v174, v175, v173
	s_delay_alu instid0(VALU_DEP_1) | instskip(NEXT) | instid1(VALU_DEP_1)
	v_fma_f32 v176, -v172, v174, v175
	v_fmac_f32_e32 v174, v176, v173
	s_delay_alu instid0(VALU_DEP_1) | instskip(NEXT) | instid1(VALU_DEP_1)
	v_fma_f32 v172, -v172, v174, v175
	v_div_fmas_f32 v172, v172, v173, v174
	s_delay_alu instid0(VALU_DEP_1) | instskip(NEXT) | instid1(VALU_DEP_1)
	v_div_fixup_f32 v172, v172, v171, v170
	v_fmac_f32_e32 v171, v170, v172
	s_delay_alu instid0(VALU_DEP_1) | instskip(SKIP_1) | instid1(VALU_DEP_2)
	v_div_scale_f32 v170, null, v171, v171, 1.0
	v_div_scale_f32 v175, vcc_lo, 1.0, v171, 1.0
	v_rcp_f32_e32 v173, v170
	v_nop
	s_delay_alu instid0(TRANS32_DEP_1) | instskip(NEXT) | instid1(VALU_DEP_1)
	v_fma_f32 v174, -v170, v173, 1.0
	v_fmac_f32_e32 v173, v174, v173
	s_delay_alu instid0(VALU_DEP_1) | instskip(NEXT) | instid1(VALU_DEP_1)
	v_mul_f32_e32 v174, v175, v173
	v_fma_f32 v176, -v170, v174, v175
	s_delay_alu instid0(VALU_DEP_1) | instskip(NEXT) | instid1(VALU_DEP_1)
	v_fmac_f32_e32 v174, v176, v173
	v_fma_f32 v170, -v170, v174, v175
	s_delay_alu instid0(VALU_DEP_1) | instskip(NEXT) | instid1(VALU_DEP_1)
	v_div_fmas_f32 v170, v170, v173, v174
	v_div_fixup_f32 v170, v170, v171, 1.0
	s_delay_alu instid0(VALU_DEP_1)
	v_mul_f32_e32 v172, v172, v170
	v_xor_b32_e32 v173, 0x80000000, v170
                                        ; implicit-def: $vgpr170_vgpr171
.LBB73_95:
	s_and_not1_saveexec_b32 s1, s1
	s_cbranch_execz .LBB73_97
; %bb.96:
	v_div_scale_f32 v172, null, v170, v170, v171
	v_div_scale_f32 v175, vcc_lo, v171, v170, v171
	s_delay_alu instid0(VALU_DEP_2) | instskip(SKIP_1) | instid1(TRANS32_DEP_1)
	v_rcp_f32_e32 v173, v172
	v_nop
	v_fma_f32 v174, -v172, v173, 1.0
	s_delay_alu instid0(VALU_DEP_1) | instskip(NEXT) | instid1(VALU_DEP_1)
	v_fmac_f32_e32 v173, v174, v173
	v_mul_f32_e32 v174, v175, v173
	s_delay_alu instid0(VALU_DEP_1) | instskip(NEXT) | instid1(VALU_DEP_1)
	v_fma_f32 v176, -v172, v174, v175
	v_fmac_f32_e32 v174, v176, v173
	s_delay_alu instid0(VALU_DEP_1) | instskip(NEXT) | instid1(VALU_DEP_1)
	v_fma_f32 v172, -v172, v174, v175
	v_div_fmas_f32 v172, v172, v173, v174
	s_delay_alu instid0(VALU_DEP_1) | instskip(NEXT) | instid1(VALU_DEP_1)
	v_div_fixup_f32 v173, v172, v170, v171
	v_fmac_f32_e32 v170, v171, v173
	s_delay_alu instid0(VALU_DEP_1) | instskip(NEXT) | instid1(VALU_DEP_1)
	v_div_scale_f32 v171, null, v170, v170, 1.0
	v_rcp_f32_e32 v172, v171
	v_nop
	s_delay_alu instid0(TRANS32_DEP_1) | instskip(NEXT) | instid1(VALU_DEP_1)
	v_fma_f32 v174, -v171, v172, 1.0
	v_fmac_f32_e32 v172, v174, v172
	v_div_scale_f32 v174, vcc_lo, 1.0, v170, 1.0
	s_delay_alu instid0(VALU_DEP_1) | instskip(NEXT) | instid1(VALU_DEP_1)
	v_mul_f32_e32 v175, v174, v172
	v_fma_f32 v176, -v171, v175, v174
	s_delay_alu instid0(VALU_DEP_1) | instskip(NEXT) | instid1(VALU_DEP_1)
	v_fmac_f32_e32 v175, v176, v172
	v_fma_f32 v171, -v171, v175, v174
	s_delay_alu instid0(VALU_DEP_1) | instskip(NEXT) | instid1(VALU_DEP_1)
	v_div_fmas_f32 v171, v171, v172, v175
	v_div_fixup_f32 v172, v171, v170, 1.0
	s_delay_alu instid0(VALU_DEP_1)
	v_mul_f32_e64 v173, v173, -v172
.LBB73_97:
	s_or_b32 exec_lo, exec_lo, s1
	ds_store_b64 v225, v[172:173]
.LBB73_98:
	s_or_b32 exec_lo, exec_lo, s2
	s_wait_dscnt 0x0
	s_barrier_signal -1
	s_barrier_wait -1
	ds_load_b64 v[170:171], v225
	s_mov_b32 s1, exec_lo
	v_cmpx_lt_u32_e32 10, v224
	s_cbranch_execz .LBB73_100
; %bb.99:
	ds_load_2addr_b64 v[176:179], v226 offset0:11 offset1:12
	s_wait_dscnt 0x1
	v_pk_mul_f32 v[174:175], v[170:171], v[40:41] op_sel:[1,1] op_sel_hi:[0,1]
	s_delay_alu instid0(VALU_DEP_1) | instskip(SKIP_1) | instid1(VALU_DEP_1)
	v_pk_fma_f32 v[172:173], v[170:171], v[40:41], v[174:175] op_sel_hi:[1,0,1] neg_lo:[0,0,1] neg_hi:[0,0,1]
	v_pk_fma_f32 v[174:175], v[170:171], v[40:41], v[174:175] op_sel_hi:[1,0,1]
	v_dual_mov_b32 v40, v172 :: v_dual_mov_b32 v41, v175
	s_wait_dscnt 0x0
	s_delay_alu instid0(VALU_DEP_2) | instskip(NEXT) | instid1(VALU_DEP_1)
	v_pk_mul_f32 v[180:181], v[176:177], v[174:175] op_sel:[0,1]
	v_pk_fma_f32 v[182:183], v[176:177], v[172:173], v[180:181] op_sel:[0,0,1] op_sel_hi:[1,1,0] neg_lo:[0,0,1] neg_hi:[0,0,1]
	v_pk_fma_f32 v[176:177], v[176:177], v[172:173], v[180:181] op_sel:[0,0,1] op_sel_hi:[1,0,0]
	s_delay_alu instid0(VALU_DEP_1) | instskip(SKIP_1) | instid1(VALU_DEP_1)
	v_mov_b32_e32 v183, v177
	v_pk_mul_f32 v[176:177], v[178:179], v[174:175] op_sel:[0,1]
	v_pk_fma_f32 v[180:181], v[178:179], v[172:173], v[176:177] op_sel:[0,0,1] op_sel_hi:[1,1,0] neg_lo:[0,0,1] neg_hi:[0,0,1]
	v_pk_fma_f32 v[176:177], v[178:179], v[172:173], v[176:177] op_sel:[0,0,1] op_sel_hi:[1,0,0]
	s_delay_alu instid0(VALU_DEP_1)
	v_mov_b32_e32 v181, v177
	ds_load_2addr_b64 v[176:179], v226 offset0:13 offset1:14
	v_pk_add_f32 v[36:37], v[36:37], v[182:183] neg_lo:[0,1] neg_hi:[0,1]
	v_pk_add_f32 v[60:61], v[60:61], v[180:181] neg_lo:[0,1] neg_hi:[0,1]
	s_wait_dscnt 0x0
	v_pk_mul_f32 v[180:181], v[176:177], v[174:175] op_sel:[0,1]
	s_delay_alu instid0(VALU_DEP_1) | instskip(SKIP_2) | instid1(VALU_DEP_2)
	v_pk_fma_f32 v[182:183], v[176:177], v[172:173], v[180:181] op_sel:[0,0,1] op_sel_hi:[1,1,0] neg_lo:[0,0,1] neg_hi:[0,0,1]
	v_pk_fma_f32 v[176:177], v[176:177], v[172:173], v[180:181] op_sel:[0,0,1] op_sel_hi:[1,0,0]
	v_dual_mul_f32 v180, v179, v175 :: v_dual_mov_b32 v176, v179
	v_dual_mov_b32 v183, v177 :: v_dual_mov_b32 v177, v178
	s_delay_alu instid0(VALU_DEP_2) | instskip(SKIP_1) | instid1(VALU_DEP_3)
	v_pk_fma_f32 v[180:181], v[178:179], v[40:41], v[180:181] op_sel_hi:[1,1,0] neg_lo:[0,0,1] neg_hi:[0,0,1]
	v_mul_f32_e32 v178, v179, v172
	v_pk_add_f32 v[78:79], v[78:79], v[182:183] neg_lo:[0,1] neg_hi:[0,1]
	s_delay_alu instid0(VALU_DEP_2) | instskip(NEXT) | instid1(VALU_DEP_1)
	v_pk_fma_f32 v[176:177], v[176:177], v[40:41], v[178:179] op_sel_hi:[1,1,0]
	v_mov_b32_e32 v181, v177
	ds_load_2addr_b64 v[176:179], v226 offset0:15 offset1:16
	v_pk_add_f32 v[92:93], v[92:93], v[180:181] neg_lo:[0,1] neg_hi:[0,1]
	s_wait_dscnt 0x0
	v_pk_mul_f32 v[180:181], v[176:177], v[174:175] op_sel:[0,1]
	s_delay_alu instid0(VALU_DEP_1) | instskip(SKIP_1) | instid1(VALU_DEP_1)
	v_pk_fma_f32 v[182:183], v[176:177], v[172:173], v[180:181] op_sel:[0,0,1] op_sel_hi:[1,1,0] neg_lo:[0,0,1] neg_hi:[0,0,1]
	v_pk_fma_f32 v[176:177], v[176:177], v[172:173], v[180:181] op_sel:[0,0,1] op_sel_hi:[1,0,0]
	v_mov_b32_e32 v183, v177
	v_pk_mul_f32 v[176:177], v[178:179], v[174:175] op_sel:[0,1]
	s_delay_alu instid0(VALU_DEP_1) | instskip(SKIP_1) | instid1(VALU_DEP_1)
	v_pk_fma_f32 v[180:181], v[178:179], v[172:173], v[176:177] op_sel:[0,0,1] op_sel_hi:[1,1,0] neg_lo:[0,0,1] neg_hi:[0,0,1]
	v_pk_fma_f32 v[176:177], v[178:179], v[172:173], v[176:177] op_sel:[0,0,1] op_sel_hi:[1,0,0]
	v_mov_b32_e32 v181, v177
	ds_load_2addr_b64 v[176:179], v226 offset0:17 offset1:18
	v_pk_add_f32 v[90:91], v[90:91], v[182:183] neg_lo:[0,1] neg_hi:[0,1]
	v_pk_add_f32 v[116:117], v[116:117], v[180:181] neg_lo:[0,1] neg_hi:[0,1]
	s_wait_dscnt 0x0
	v_pk_mul_f32 v[180:181], v[176:177], v[174:175] op_sel:[0,1]
	s_delay_alu instid0(VALU_DEP_1) | instskip(SKIP_1) | instid1(VALU_DEP_1)
	v_pk_fma_f32 v[182:183], v[176:177], v[172:173], v[180:181] op_sel:[0,0,1] op_sel_hi:[1,1,0] neg_lo:[0,0,1] neg_hi:[0,0,1]
	v_pk_fma_f32 v[176:177], v[176:177], v[172:173], v[180:181] op_sel:[0,0,1] op_sel_hi:[1,0,0]
	v_mov_b32_e32 v183, v177
	v_pk_mul_f32 v[176:177], v[178:179], v[174:175] op_sel:[0,1]
	s_delay_alu instid0(VALU_DEP_1) | instskip(SKIP_1) | instid1(VALU_DEP_1)
	v_pk_fma_f32 v[180:181], v[178:179], v[172:173], v[176:177] op_sel:[0,0,1] op_sel_hi:[1,1,0] neg_lo:[0,0,1] neg_hi:[0,0,1]
	v_pk_fma_f32 v[176:177], v[178:179], v[172:173], v[176:177] op_sel:[0,0,1] op_sel_hi:[1,0,0]
	v_mov_b32_e32 v181, v177
	ds_load_2addr_b64 v[176:179], v226 offset0:19 offset1:20
	v_pk_add_f32 v[88:89], v[88:89], v[182:183] neg_lo:[0,1] neg_hi:[0,1]
	v_pk_add_f32 v[114:115], v[114:115], v[180:181] neg_lo:[0,1] neg_hi:[0,1]
	s_wait_dscnt 0x0
	v_dual_mul_f32 v180, v177, v175 :: v_dual_mul_f32 v182, v177, v172
	s_delay_alu instid0(VALU_DEP_1) | instskip(NEXT) | instid1(VALU_DEP_2)
	v_pk_fma_f32 v[180:181], v[176:177], v[40:41], v[180:181] op_sel_hi:[1,1,0] neg_lo:[0,0,1] neg_hi:[0,0,1]
	v_pk_fma_f32 v[176:177], v[176:177], v[40:41], v[182:183] op_sel:[1,0,0] op_sel_hi:[0,1,0]
	s_delay_alu instid0(VALU_DEP_1) | instskip(SKIP_1) | instid1(VALU_DEP_2)
	v_mov_b32_e32 v181, v177
	v_pk_mul_f32 v[176:177], v[178:179], v[174:175] op_sel:[0,1]
	v_pk_add_f32 v[112:113], v[112:113], v[180:181] neg_lo:[0,1] neg_hi:[0,1]
	s_delay_alu instid0(VALU_DEP_2) | instskip(SKIP_1) | instid1(VALU_DEP_1)
	v_pk_fma_f32 v[180:181], v[178:179], v[172:173], v[176:177] op_sel:[0,0,1] op_sel_hi:[1,1,0] neg_lo:[0,0,1] neg_hi:[0,0,1]
	v_pk_fma_f32 v[176:177], v[178:179], v[172:173], v[176:177] op_sel:[0,0,1] op_sel_hi:[1,0,0]
	v_mov_b32_e32 v181, v177
	ds_load_2addr_b64 v[176:179], v226 offset0:21 offset1:22
	v_pk_add_f32 v[132:133], v[132:133], v[180:181] neg_lo:[0,1] neg_hi:[0,1]
	s_wait_dscnt 0x0
	v_pk_mul_f32 v[180:181], v[176:177], v[174:175] op_sel:[0,1]
	s_delay_alu instid0(VALU_DEP_1) | instskip(SKIP_1) | instid1(VALU_DEP_1)
	v_pk_fma_f32 v[182:183], v[176:177], v[172:173], v[180:181] op_sel:[0,0,1] op_sel_hi:[1,1,0] neg_lo:[0,0,1] neg_hi:[0,0,1]
	v_pk_fma_f32 v[176:177], v[176:177], v[172:173], v[180:181] op_sel:[0,0,1] op_sel_hi:[1,0,0]
	v_mov_b32_e32 v183, v177
	v_pk_mul_f32 v[176:177], v[178:179], v[174:175] op_sel:[0,1]
	s_delay_alu instid0(VALU_DEP_2) | instskip(NEXT) | instid1(VALU_DEP_2)
	v_pk_add_f32 v[102:103], v[102:103], v[182:183] neg_lo:[0,1] neg_hi:[0,1]
	v_pk_fma_f32 v[180:181], v[178:179], v[172:173], v[176:177] op_sel:[0,0,1] op_sel_hi:[1,1,0] neg_lo:[0,0,1] neg_hi:[0,0,1]
	v_pk_fma_f32 v[176:177], v[178:179], v[172:173], v[176:177] op_sel:[0,0,1] op_sel_hi:[1,0,0]
	s_delay_alu instid0(VALU_DEP_1) | instskip(SKIP_4) | instid1(VALU_DEP_1)
	v_mov_b32_e32 v181, v177
	ds_load_2addr_b64 v[176:179], v226 offset0:23 offset1:24
	v_pk_add_f32 v[130:131], v[130:131], v[180:181] neg_lo:[0,1] neg_hi:[0,1]
	s_wait_dscnt 0x0
	v_pk_mul_f32 v[180:181], v[176:177], v[174:175] op_sel:[0,1]
	v_pk_fma_f32 v[182:183], v[176:177], v[172:173], v[180:181] op_sel:[0,0,1] op_sel_hi:[1,1,0] neg_lo:[0,0,1] neg_hi:[0,0,1]
	v_pk_fma_f32 v[176:177], v[176:177], v[172:173], v[180:181] op_sel:[0,0,1] op_sel_hi:[1,0,0]
	v_dual_mul_f32 v180, v179, v175 :: v_dual_mov_b32 v176, v179
	s_delay_alu instid0(VALU_DEP_2) | instskip(NEXT) | instid1(VALU_DEP_2)
	v_dual_mov_b32 v183, v177 :: v_dual_mov_b32 v177, v178
	v_pk_fma_f32 v[180:181], v[178:179], v[40:41], v[180:181] op_sel_hi:[1,1,0] neg_lo:[0,0,1] neg_hi:[0,0,1]
	v_mul_f32_e32 v178, v179, v172
	s_delay_alu instid0(VALU_DEP_3) | instskip(NEXT) | instid1(VALU_DEP_2)
	v_pk_add_f32 v[128:129], v[128:129], v[182:183] neg_lo:[0,1] neg_hi:[0,1]
	v_pk_fma_f32 v[176:177], v[176:177], v[40:41], v[178:179] op_sel_hi:[1,1,0]
	s_delay_alu instid0(VALU_DEP_1) | instskip(SKIP_4) | instid1(VALU_DEP_1)
	v_mov_b32_e32 v181, v177
	ds_load_2addr_b64 v[176:179], v226 offset0:25 offset1:26
	v_pk_add_f32 v[144:145], v[144:145], v[180:181] neg_lo:[0,1] neg_hi:[0,1]
	s_wait_dscnt 0x0
	v_pk_mul_f32 v[180:181], v[176:177], v[174:175] op_sel:[0,1]
	v_pk_fma_f32 v[182:183], v[176:177], v[172:173], v[180:181] op_sel:[0,0,1] op_sel_hi:[1,1,0] neg_lo:[0,0,1] neg_hi:[0,0,1]
	v_pk_fma_f32 v[176:177], v[176:177], v[172:173], v[180:181] op_sel:[0,0,1] op_sel_hi:[1,0,0]
	s_delay_alu instid0(VALU_DEP_1) | instskip(SKIP_1) | instid1(VALU_DEP_1)
	v_mov_b32_e32 v183, v177
	v_pk_mul_f32 v[176:177], v[178:179], v[174:175] op_sel:[0,1]
	v_pk_fma_f32 v[180:181], v[178:179], v[172:173], v[176:177] op_sel:[0,0,1] op_sel_hi:[1,1,0] neg_lo:[0,0,1] neg_hi:[0,0,1]
	v_pk_fma_f32 v[176:177], v[178:179], v[172:173], v[176:177] op_sel:[0,0,1] op_sel_hi:[1,0,0]
	s_delay_alu instid0(VALU_DEP_1)
	v_mov_b32_e32 v181, v177
	ds_load_2addr_b64 v[176:179], v226 offset0:27 offset1:28
	v_pk_add_f32 v[148:149], v[148:149], v[182:183] neg_lo:[0,1] neg_hi:[0,1]
	v_pk_add_f32 v[142:143], v[142:143], v[180:181] neg_lo:[0,1] neg_hi:[0,1]
	s_wait_dscnt 0x0
	v_pk_mul_f32 v[180:181], v[176:177], v[174:175] op_sel:[0,1]
	s_delay_alu instid0(VALU_DEP_1) | instskip(SKIP_1) | instid1(VALU_DEP_1)
	v_pk_fma_f32 v[182:183], v[176:177], v[172:173], v[180:181] op_sel:[0,0,1] op_sel_hi:[1,1,0] neg_lo:[0,0,1] neg_hi:[0,0,1]
	v_pk_fma_f32 v[176:177], v[176:177], v[172:173], v[180:181] op_sel:[0,0,1] op_sel_hi:[1,0,0]
	v_mov_b32_e32 v183, v177
	v_pk_mul_f32 v[176:177], v[178:179], v[174:175] op_sel:[0,1]
	s_delay_alu instid0(VALU_DEP_1) | instskip(SKIP_1) | instid1(VALU_DEP_1)
	v_pk_fma_f32 v[180:181], v[178:179], v[172:173], v[176:177] op_sel:[0,0,1] op_sel_hi:[1,1,0] neg_lo:[0,0,1] neg_hi:[0,0,1]
	v_pk_fma_f32 v[176:177], v[178:179], v[172:173], v[176:177] op_sel:[0,0,1] op_sel_hi:[1,0,0]
	v_mov_b32_e32 v181, v177
	ds_load_2addr_b64 v[176:179], v226 offset0:29 offset1:30
	v_pk_add_f32 v[140:141], v[140:141], v[182:183] neg_lo:[0,1] neg_hi:[0,1]
	v_pk_add_f32 v[126:127], v[126:127], v[180:181] neg_lo:[0,1] neg_hi:[0,1]
	s_wait_dscnt 0x0
	v_dual_mul_f32 v180, v177, v175 :: v_dual_mul_f32 v182, v177, v172
	s_delay_alu instid0(VALU_DEP_1) | instskip(NEXT) | instid1(VALU_DEP_2)
	v_pk_fma_f32 v[180:181], v[176:177], v[40:41], v[180:181] op_sel_hi:[1,1,0] neg_lo:[0,0,1] neg_hi:[0,0,1]
	v_pk_fma_f32 v[176:177], v[176:177], v[40:41], v[182:183] op_sel:[1,0,0] op_sel_hi:[0,1,0]
	s_delay_alu instid0(VALU_DEP_1) | instskip(SKIP_1) | instid1(VALU_DEP_2)
	v_mov_b32_e32 v181, v177
	v_pk_mul_f32 v[176:177], v[178:179], v[174:175] op_sel:[0,1]
	v_pk_add_f32 v[120:121], v[120:121], v[180:181] neg_lo:[0,1] neg_hi:[0,1]
	s_delay_alu instid0(VALU_DEP_2) | instskip(SKIP_1) | instid1(VALU_DEP_1)
	v_pk_fma_f32 v[180:181], v[178:179], v[172:173], v[176:177] op_sel:[0,0,1] op_sel_hi:[1,1,0] neg_lo:[0,0,1] neg_hi:[0,0,1]
	v_pk_fma_f32 v[176:177], v[178:179], v[172:173], v[176:177] op_sel:[0,0,1] op_sel_hi:[1,0,0]
	v_mov_b32_e32 v181, v177
	ds_load_2addr_b64 v[176:179], v226 offset0:31 offset1:32
	v_pk_add_f32 v[124:125], v[124:125], v[180:181] neg_lo:[0,1] neg_hi:[0,1]
	s_wait_dscnt 0x0
	v_pk_mul_f32 v[180:181], v[176:177], v[174:175] op_sel:[0,1]
	s_delay_alu instid0(VALU_DEP_1) | instskip(SKIP_1) | instid1(VALU_DEP_1)
	v_pk_fma_f32 v[182:183], v[176:177], v[172:173], v[180:181] op_sel:[0,0,1] op_sel_hi:[1,1,0] neg_lo:[0,0,1] neg_hi:[0,0,1]
	v_pk_fma_f32 v[176:177], v[176:177], v[172:173], v[180:181] op_sel:[0,0,1] op_sel_hi:[1,0,0]
	v_mov_b32_e32 v183, v177
	v_pk_mul_f32 v[176:177], v[178:179], v[174:175] op_sel:[0,1]
	s_delay_alu instid0(VALU_DEP_2) | instskip(NEXT) | instid1(VALU_DEP_2)
	v_pk_add_f32 v[118:119], v[118:119], v[182:183] neg_lo:[0,1] neg_hi:[0,1]
	v_pk_fma_f32 v[180:181], v[178:179], v[172:173], v[176:177] op_sel:[0,0,1] op_sel_hi:[1,1,0] neg_lo:[0,0,1] neg_hi:[0,0,1]
	v_pk_fma_f32 v[176:177], v[178:179], v[172:173], v[176:177] op_sel:[0,0,1] op_sel_hi:[1,0,0]
	s_delay_alu instid0(VALU_DEP_1) | instskip(SKIP_4) | instid1(VALU_DEP_1)
	v_mov_b32_e32 v181, v177
	ds_load_2addr_b64 v[176:179], v226 offset0:33 offset1:34
	v_pk_add_f32 v[122:123], v[122:123], v[180:181] neg_lo:[0,1] neg_hi:[0,1]
	s_wait_dscnt 0x0
	v_pk_mul_f32 v[180:181], v[176:177], v[174:175] op_sel:[0,1]
	v_pk_fma_f32 v[182:183], v[176:177], v[172:173], v[180:181] op_sel:[0,0,1] op_sel_hi:[1,1,0] neg_lo:[0,0,1] neg_hi:[0,0,1]
	v_pk_fma_f32 v[176:177], v[176:177], v[172:173], v[180:181] op_sel:[0,0,1] op_sel_hi:[1,0,0]
	v_dual_mul_f32 v180, v179, v175 :: v_dual_mov_b32 v176, v179
	s_delay_alu instid0(VALU_DEP_2) | instskip(NEXT) | instid1(VALU_DEP_2)
	v_dual_mov_b32 v183, v177 :: v_dual_mov_b32 v177, v178
	v_pk_fma_f32 v[180:181], v[178:179], v[40:41], v[180:181] op_sel_hi:[1,1,0] neg_lo:[0,0,1] neg_hi:[0,0,1]
	v_mul_f32_e32 v178, v179, v172
	s_delay_alu instid0(VALU_DEP_3) | instskip(NEXT) | instid1(VALU_DEP_2)
	v_pk_add_f32 v[138:139], v[138:139], v[182:183] neg_lo:[0,1] neg_hi:[0,1]
	v_pk_fma_f32 v[176:177], v[176:177], v[40:41], v[178:179] op_sel_hi:[1,1,0]
	s_delay_alu instid0(VALU_DEP_1)
	v_mov_b32_e32 v181, v177
	ds_load_2addr_b64 v[176:179], v226 offset0:35 offset1:36
	v_pk_add_f32 v[136:137], v[136:137], v[180:181] neg_lo:[0,1] neg_hi:[0,1]
	s_wait_dscnt 0x0
	v_pk_mul_f32 v[180:181], v[176:177], v[174:175] op_sel:[0,1]
	v_pk_mul_f32 v[174:175], v[178:179], v[174:175] op_sel:[0,1]
	s_delay_alu instid0(VALU_DEP_2) | instskip(SKIP_1) | instid1(VALU_DEP_1)
	v_pk_fma_f32 v[182:183], v[176:177], v[172:173], v[180:181] op_sel:[0,0,1] op_sel_hi:[1,1,0] neg_lo:[0,0,1] neg_hi:[0,0,1]
	v_pk_fma_f32 v[176:177], v[176:177], v[172:173], v[180:181] op_sel:[0,0,1] op_sel_hi:[1,0,0]
	v_mov_b32_e32 v183, v177
	s_delay_alu instid0(VALU_DEP_4) | instskip(SKIP_1) | instid1(VALU_DEP_1)
	v_pk_fma_f32 v[176:177], v[178:179], v[172:173], v[174:175] op_sel:[0,0,1] op_sel_hi:[1,1,0] neg_lo:[0,0,1] neg_hi:[0,0,1]
	v_pk_fma_f32 v[172:173], v[178:179], v[172:173], v[174:175] op_sel:[0,0,1] op_sel_hi:[1,0,0]
	v_mov_b32_e32 v177, v173
	s_delay_alu instid0(VALU_DEP_4) | instskip(NEXT) | instid1(VALU_DEP_2)
	v_pk_add_f32 v[134:135], v[134:135], v[182:183] neg_lo:[0,1] neg_hi:[0,1]
	v_pk_add_f32 v[146:147], v[146:147], v[176:177] neg_lo:[0,1] neg_hi:[0,1]
.LBB73_100:
	s_or_b32 exec_lo, exec_lo, s1
	s_delay_alu instid0(SALU_CYCLE_1)
	s_mov_b32 s2, exec_lo
	s_wait_dscnt 0x0
	s_barrier_signal -1
	s_barrier_wait -1
	v_cmpx_eq_u32_e32 11, v224
	s_cbranch_execz .LBB73_107
; %bb.101:
	v_dual_mov_b32 v172, v60 :: v_dual_mov_b32 v173, v61
	v_dual_mov_b32 v174, v78 :: v_dual_mov_b32 v175, v79
	ds_store_b64 v225, v[36:37]
	ds_store_2addr_b64 v226, v[172:173], v[174:175] offset0:12 offset1:13
	v_dual_mov_b32 v172, v92 :: v_dual_mov_b32 v173, v93
	v_dual_mov_b32 v174, v90 :: v_dual_mov_b32 v175, v91
	ds_store_2addr_b64 v226, v[172:173], v[174:175] offset0:14 offset1:15
	v_dual_mov_b32 v172, v116 :: v_dual_mov_b32 v173, v117
	v_dual_mov_b32 v174, v88 :: v_dual_mov_b32 v175, v89
	;; [unrolled: 3-line block ×11, first 2 shown]
	ds_store_2addr_b64 v226, v[172:173], v[174:175] offset0:34 offset1:35
	ds_store_b64 v226, v[146:147] offset:288
	ds_load_b64 v[172:173], v225
	s_wait_dscnt 0x0
	v_cmp_neq_f32_e32 vcc_lo, 0, v172
	v_cmp_neq_f32_e64 s1, 0, v173
	s_or_b32 s1, vcc_lo, s1
	s_delay_alu instid0(SALU_CYCLE_1)
	s_and_b32 exec_lo, exec_lo, s1
	s_cbranch_execz .LBB73_107
; %bb.102:
	v_cmp_ngt_f32_e64 s1, |v172|, |v173|
                                        ; implicit-def: $vgpr174_vgpr175
	s_and_saveexec_b32 s4, s1
	s_delay_alu instid0(SALU_CYCLE_1)
	s_xor_b32 s1, exec_lo, s4
	s_cbranch_execz .LBB73_104
; %bb.103:
	v_div_scale_f32 v174, null, v173, v173, v172
	v_div_scale_f32 v177, vcc_lo, v172, v173, v172
	s_delay_alu instid0(VALU_DEP_2) | instskip(SKIP_1) | instid1(TRANS32_DEP_1)
	v_rcp_f32_e32 v175, v174
	v_nop
	v_fma_f32 v176, -v174, v175, 1.0
	s_delay_alu instid0(VALU_DEP_1) | instskip(NEXT) | instid1(VALU_DEP_1)
	v_fmac_f32_e32 v175, v176, v175
	v_mul_f32_e32 v176, v177, v175
	s_delay_alu instid0(VALU_DEP_1) | instskip(NEXT) | instid1(VALU_DEP_1)
	v_fma_f32 v178, -v174, v176, v177
	v_fmac_f32_e32 v176, v178, v175
	s_delay_alu instid0(VALU_DEP_1) | instskip(NEXT) | instid1(VALU_DEP_1)
	v_fma_f32 v174, -v174, v176, v177
	v_div_fmas_f32 v174, v174, v175, v176
	s_delay_alu instid0(VALU_DEP_1) | instskip(NEXT) | instid1(VALU_DEP_1)
	v_div_fixup_f32 v174, v174, v173, v172
	v_fmac_f32_e32 v173, v172, v174
	s_delay_alu instid0(VALU_DEP_1) | instskip(SKIP_1) | instid1(VALU_DEP_2)
	v_div_scale_f32 v172, null, v173, v173, 1.0
	v_div_scale_f32 v177, vcc_lo, 1.0, v173, 1.0
	v_rcp_f32_e32 v175, v172
	v_nop
	s_delay_alu instid0(TRANS32_DEP_1) | instskip(NEXT) | instid1(VALU_DEP_1)
	v_fma_f32 v176, -v172, v175, 1.0
	v_fmac_f32_e32 v175, v176, v175
	s_delay_alu instid0(VALU_DEP_1) | instskip(NEXT) | instid1(VALU_DEP_1)
	v_mul_f32_e32 v176, v177, v175
	v_fma_f32 v178, -v172, v176, v177
	s_delay_alu instid0(VALU_DEP_1) | instskip(NEXT) | instid1(VALU_DEP_1)
	v_fmac_f32_e32 v176, v178, v175
	v_fma_f32 v172, -v172, v176, v177
	s_delay_alu instid0(VALU_DEP_1) | instskip(NEXT) | instid1(VALU_DEP_1)
	v_div_fmas_f32 v172, v172, v175, v176
	v_div_fixup_f32 v172, v172, v173, 1.0
	s_delay_alu instid0(VALU_DEP_1)
	v_mul_f32_e32 v174, v174, v172
	v_xor_b32_e32 v175, 0x80000000, v172
                                        ; implicit-def: $vgpr172_vgpr173
.LBB73_104:
	s_and_not1_saveexec_b32 s1, s1
	s_cbranch_execz .LBB73_106
; %bb.105:
	v_div_scale_f32 v174, null, v172, v172, v173
	v_div_scale_f32 v177, vcc_lo, v173, v172, v173
	s_delay_alu instid0(VALU_DEP_2) | instskip(SKIP_1) | instid1(TRANS32_DEP_1)
	v_rcp_f32_e32 v175, v174
	v_nop
	v_fma_f32 v176, -v174, v175, 1.0
	s_delay_alu instid0(VALU_DEP_1) | instskip(NEXT) | instid1(VALU_DEP_1)
	v_fmac_f32_e32 v175, v176, v175
	v_mul_f32_e32 v176, v177, v175
	s_delay_alu instid0(VALU_DEP_1) | instskip(NEXT) | instid1(VALU_DEP_1)
	v_fma_f32 v178, -v174, v176, v177
	v_fmac_f32_e32 v176, v178, v175
	s_delay_alu instid0(VALU_DEP_1) | instskip(NEXT) | instid1(VALU_DEP_1)
	v_fma_f32 v174, -v174, v176, v177
	v_div_fmas_f32 v174, v174, v175, v176
	s_delay_alu instid0(VALU_DEP_1) | instskip(NEXT) | instid1(VALU_DEP_1)
	v_div_fixup_f32 v175, v174, v172, v173
	v_fmac_f32_e32 v172, v173, v175
	s_delay_alu instid0(VALU_DEP_1) | instskip(NEXT) | instid1(VALU_DEP_1)
	v_div_scale_f32 v173, null, v172, v172, 1.0
	v_rcp_f32_e32 v174, v173
	v_nop
	s_delay_alu instid0(TRANS32_DEP_1) | instskip(NEXT) | instid1(VALU_DEP_1)
	v_fma_f32 v176, -v173, v174, 1.0
	v_fmac_f32_e32 v174, v176, v174
	v_div_scale_f32 v176, vcc_lo, 1.0, v172, 1.0
	s_delay_alu instid0(VALU_DEP_1) | instskip(NEXT) | instid1(VALU_DEP_1)
	v_mul_f32_e32 v177, v176, v174
	v_fma_f32 v178, -v173, v177, v176
	s_delay_alu instid0(VALU_DEP_1) | instskip(NEXT) | instid1(VALU_DEP_1)
	v_fmac_f32_e32 v177, v178, v174
	v_fma_f32 v173, -v173, v177, v176
	s_delay_alu instid0(VALU_DEP_1) | instskip(NEXT) | instid1(VALU_DEP_1)
	v_div_fmas_f32 v173, v173, v174, v177
	v_div_fixup_f32 v174, v173, v172, 1.0
	s_delay_alu instid0(VALU_DEP_1)
	v_mul_f32_e64 v175, v175, -v174
.LBB73_106:
	s_or_b32 exec_lo, exec_lo, s1
	ds_store_b64 v225, v[174:175]
.LBB73_107:
	s_or_b32 exec_lo, exec_lo, s2
	s_wait_dscnt 0x0
	s_barrier_signal -1
	s_barrier_wait -1
	ds_load_b64 v[172:173], v225
	s_mov_b32 s1, exec_lo
	v_cmpx_lt_u32_e32 11, v224
	s_cbranch_execz .LBB73_109
; %bb.108:
	ds_load_2addr_b64 v[178:181], v226 offset0:12 offset1:13
	s_wait_dscnt 0x1
	v_pk_mul_f32 v[176:177], v[172:173], v[36:37] op_sel:[1,1] op_sel_hi:[0,1]
	s_delay_alu instid0(VALU_DEP_1) | instskip(SKIP_1) | instid1(VALU_DEP_1)
	v_pk_fma_f32 v[174:175], v[172:173], v[36:37], v[176:177] op_sel_hi:[1,0,1] neg_lo:[0,0,1] neg_hi:[0,0,1]
	v_pk_fma_f32 v[176:177], v[172:173], v[36:37], v[176:177] op_sel_hi:[1,0,1]
	v_dual_mov_b32 v36, v174 :: v_dual_mov_b32 v37, v177
	s_wait_dscnt 0x0
	s_delay_alu instid0(VALU_DEP_2) | instskip(NEXT) | instid1(VALU_DEP_1)
	v_pk_mul_f32 v[182:183], v[178:179], v[176:177] op_sel:[0,1]
	v_pk_fma_f32 v[184:185], v[178:179], v[174:175], v[182:183] op_sel:[0,0,1] op_sel_hi:[1,1,0] neg_lo:[0,0,1] neg_hi:[0,0,1]
	v_pk_fma_f32 v[178:179], v[178:179], v[174:175], v[182:183] op_sel:[0,0,1] op_sel_hi:[1,0,0]
	s_delay_alu instid0(VALU_DEP_1) | instskip(SKIP_1) | instid1(VALU_DEP_1)
	v_mov_b32_e32 v185, v179
	v_pk_mul_f32 v[178:179], v[180:181], v[176:177] op_sel:[0,1]
	v_pk_fma_f32 v[182:183], v[180:181], v[174:175], v[178:179] op_sel:[0,0,1] op_sel_hi:[1,1,0] neg_lo:[0,0,1] neg_hi:[0,0,1]
	v_pk_fma_f32 v[178:179], v[180:181], v[174:175], v[178:179] op_sel:[0,0,1] op_sel_hi:[1,0,0]
	s_delay_alu instid0(VALU_DEP_1)
	v_mov_b32_e32 v183, v179
	ds_load_2addr_b64 v[178:181], v226 offset0:14 offset1:15
	v_pk_add_f32 v[60:61], v[60:61], v[184:185] neg_lo:[0,1] neg_hi:[0,1]
	v_pk_add_f32 v[78:79], v[78:79], v[182:183] neg_lo:[0,1] neg_hi:[0,1]
	s_wait_dscnt 0x0
	v_pk_mul_f32 v[182:183], v[178:179], v[176:177] op_sel:[0,1]
	s_delay_alu instid0(VALU_DEP_1) | instskip(SKIP_2) | instid1(VALU_DEP_2)
	v_pk_fma_f32 v[184:185], v[178:179], v[174:175], v[182:183] op_sel:[0,0,1] op_sel_hi:[1,1,0] neg_lo:[0,0,1] neg_hi:[0,0,1]
	v_pk_fma_f32 v[178:179], v[178:179], v[174:175], v[182:183] op_sel:[0,0,1] op_sel_hi:[1,0,0]
	v_dual_mul_f32 v182, v181, v177 :: v_dual_mov_b32 v178, v181
	v_dual_mov_b32 v185, v179 :: v_dual_mov_b32 v179, v180
	s_delay_alu instid0(VALU_DEP_2) | instskip(SKIP_1) | instid1(VALU_DEP_3)
	v_pk_fma_f32 v[182:183], v[180:181], v[36:37], v[182:183] op_sel_hi:[1,1,0] neg_lo:[0,0,1] neg_hi:[0,0,1]
	v_mul_f32_e32 v180, v181, v174
	v_pk_add_f32 v[92:93], v[92:93], v[184:185] neg_lo:[0,1] neg_hi:[0,1]
	s_delay_alu instid0(VALU_DEP_2) | instskip(NEXT) | instid1(VALU_DEP_1)
	v_pk_fma_f32 v[178:179], v[178:179], v[36:37], v[180:181] op_sel_hi:[1,1,0]
	v_mov_b32_e32 v183, v179
	ds_load_2addr_b64 v[178:181], v226 offset0:16 offset1:17
	v_pk_add_f32 v[90:91], v[90:91], v[182:183] neg_lo:[0,1] neg_hi:[0,1]
	s_wait_dscnt 0x0
	v_pk_mul_f32 v[182:183], v[178:179], v[176:177] op_sel:[0,1]
	s_delay_alu instid0(VALU_DEP_1) | instskip(SKIP_1) | instid1(VALU_DEP_1)
	v_pk_fma_f32 v[184:185], v[178:179], v[174:175], v[182:183] op_sel:[0,0,1] op_sel_hi:[1,1,0] neg_lo:[0,0,1] neg_hi:[0,0,1]
	v_pk_fma_f32 v[178:179], v[178:179], v[174:175], v[182:183] op_sel:[0,0,1] op_sel_hi:[1,0,0]
	v_mov_b32_e32 v185, v179
	v_pk_mul_f32 v[178:179], v[180:181], v[176:177] op_sel:[0,1]
	s_delay_alu instid0(VALU_DEP_1) | instskip(SKIP_1) | instid1(VALU_DEP_1)
	v_pk_fma_f32 v[182:183], v[180:181], v[174:175], v[178:179] op_sel:[0,0,1] op_sel_hi:[1,1,0] neg_lo:[0,0,1] neg_hi:[0,0,1]
	v_pk_fma_f32 v[178:179], v[180:181], v[174:175], v[178:179] op_sel:[0,0,1] op_sel_hi:[1,0,0]
	v_mov_b32_e32 v183, v179
	ds_load_2addr_b64 v[178:181], v226 offset0:18 offset1:19
	v_pk_add_f32 v[116:117], v[116:117], v[184:185] neg_lo:[0,1] neg_hi:[0,1]
	v_pk_add_f32 v[88:89], v[88:89], v[182:183] neg_lo:[0,1] neg_hi:[0,1]
	s_wait_dscnt 0x0
	v_pk_mul_f32 v[182:183], v[178:179], v[176:177] op_sel:[0,1]
	s_delay_alu instid0(VALU_DEP_1) | instskip(SKIP_1) | instid1(VALU_DEP_1)
	v_pk_fma_f32 v[184:185], v[178:179], v[174:175], v[182:183] op_sel:[0,0,1] op_sel_hi:[1,1,0] neg_lo:[0,0,1] neg_hi:[0,0,1]
	v_pk_fma_f32 v[178:179], v[178:179], v[174:175], v[182:183] op_sel:[0,0,1] op_sel_hi:[1,0,0]
	v_mov_b32_e32 v185, v179
	v_pk_mul_f32 v[178:179], v[180:181], v[176:177] op_sel:[0,1]
	s_delay_alu instid0(VALU_DEP_1) | instskip(SKIP_1) | instid1(VALU_DEP_1)
	v_pk_fma_f32 v[182:183], v[180:181], v[174:175], v[178:179] op_sel:[0,0,1] op_sel_hi:[1,1,0] neg_lo:[0,0,1] neg_hi:[0,0,1]
	v_pk_fma_f32 v[178:179], v[180:181], v[174:175], v[178:179] op_sel:[0,0,1] op_sel_hi:[1,0,0]
	v_mov_b32_e32 v183, v179
	ds_load_2addr_b64 v[178:181], v226 offset0:20 offset1:21
	v_pk_add_f32 v[114:115], v[114:115], v[184:185] neg_lo:[0,1] neg_hi:[0,1]
	v_pk_add_f32 v[112:113], v[112:113], v[182:183] neg_lo:[0,1] neg_hi:[0,1]
	s_wait_dscnt 0x0
	v_dual_mul_f32 v182, v179, v177 :: v_dual_mul_f32 v184, v179, v174
	s_delay_alu instid0(VALU_DEP_1) | instskip(NEXT) | instid1(VALU_DEP_2)
	v_pk_fma_f32 v[182:183], v[178:179], v[36:37], v[182:183] op_sel_hi:[1,1,0] neg_lo:[0,0,1] neg_hi:[0,0,1]
	v_pk_fma_f32 v[178:179], v[178:179], v[36:37], v[184:185] op_sel:[1,0,0] op_sel_hi:[0,1,0]
	s_delay_alu instid0(VALU_DEP_1) | instskip(SKIP_1) | instid1(VALU_DEP_2)
	v_mov_b32_e32 v183, v179
	v_pk_mul_f32 v[178:179], v[180:181], v[176:177] op_sel:[0,1]
	v_pk_add_f32 v[132:133], v[132:133], v[182:183] neg_lo:[0,1] neg_hi:[0,1]
	s_delay_alu instid0(VALU_DEP_2) | instskip(SKIP_1) | instid1(VALU_DEP_1)
	v_pk_fma_f32 v[182:183], v[180:181], v[174:175], v[178:179] op_sel:[0,0,1] op_sel_hi:[1,1,0] neg_lo:[0,0,1] neg_hi:[0,0,1]
	v_pk_fma_f32 v[178:179], v[180:181], v[174:175], v[178:179] op_sel:[0,0,1] op_sel_hi:[1,0,0]
	v_mov_b32_e32 v183, v179
	ds_load_2addr_b64 v[178:181], v226 offset0:22 offset1:23
	v_pk_add_f32 v[102:103], v[102:103], v[182:183] neg_lo:[0,1] neg_hi:[0,1]
	s_wait_dscnt 0x0
	v_pk_mul_f32 v[182:183], v[178:179], v[176:177] op_sel:[0,1]
	s_delay_alu instid0(VALU_DEP_1) | instskip(SKIP_1) | instid1(VALU_DEP_1)
	v_pk_fma_f32 v[184:185], v[178:179], v[174:175], v[182:183] op_sel:[0,0,1] op_sel_hi:[1,1,0] neg_lo:[0,0,1] neg_hi:[0,0,1]
	v_pk_fma_f32 v[178:179], v[178:179], v[174:175], v[182:183] op_sel:[0,0,1] op_sel_hi:[1,0,0]
	v_mov_b32_e32 v185, v179
	v_pk_mul_f32 v[178:179], v[180:181], v[176:177] op_sel:[0,1]
	s_delay_alu instid0(VALU_DEP_2) | instskip(NEXT) | instid1(VALU_DEP_2)
	v_pk_add_f32 v[130:131], v[130:131], v[184:185] neg_lo:[0,1] neg_hi:[0,1]
	v_pk_fma_f32 v[182:183], v[180:181], v[174:175], v[178:179] op_sel:[0,0,1] op_sel_hi:[1,1,0] neg_lo:[0,0,1] neg_hi:[0,0,1]
	v_pk_fma_f32 v[178:179], v[180:181], v[174:175], v[178:179] op_sel:[0,0,1] op_sel_hi:[1,0,0]
	s_delay_alu instid0(VALU_DEP_1) | instskip(SKIP_4) | instid1(VALU_DEP_1)
	v_mov_b32_e32 v183, v179
	ds_load_2addr_b64 v[178:181], v226 offset0:24 offset1:25
	v_pk_add_f32 v[128:129], v[128:129], v[182:183] neg_lo:[0,1] neg_hi:[0,1]
	s_wait_dscnt 0x0
	v_pk_mul_f32 v[182:183], v[178:179], v[176:177] op_sel:[0,1]
	v_pk_fma_f32 v[184:185], v[178:179], v[174:175], v[182:183] op_sel:[0,0,1] op_sel_hi:[1,1,0] neg_lo:[0,0,1] neg_hi:[0,0,1]
	v_pk_fma_f32 v[178:179], v[178:179], v[174:175], v[182:183] op_sel:[0,0,1] op_sel_hi:[1,0,0]
	v_dual_mul_f32 v182, v181, v177 :: v_dual_mov_b32 v178, v181
	s_delay_alu instid0(VALU_DEP_2) | instskip(NEXT) | instid1(VALU_DEP_2)
	v_dual_mov_b32 v185, v179 :: v_dual_mov_b32 v179, v180
	v_pk_fma_f32 v[182:183], v[180:181], v[36:37], v[182:183] op_sel_hi:[1,1,0] neg_lo:[0,0,1] neg_hi:[0,0,1]
	v_mul_f32_e32 v180, v181, v174
	s_delay_alu instid0(VALU_DEP_3) | instskip(NEXT) | instid1(VALU_DEP_2)
	v_pk_add_f32 v[144:145], v[144:145], v[184:185] neg_lo:[0,1] neg_hi:[0,1]
	v_pk_fma_f32 v[178:179], v[178:179], v[36:37], v[180:181] op_sel_hi:[1,1,0]
	s_delay_alu instid0(VALU_DEP_1) | instskip(SKIP_4) | instid1(VALU_DEP_1)
	v_mov_b32_e32 v183, v179
	ds_load_2addr_b64 v[178:181], v226 offset0:26 offset1:27
	v_pk_add_f32 v[148:149], v[148:149], v[182:183] neg_lo:[0,1] neg_hi:[0,1]
	s_wait_dscnt 0x0
	v_pk_mul_f32 v[182:183], v[178:179], v[176:177] op_sel:[0,1]
	v_pk_fma_f32 v[184:185], v[178:179], v[174:175], v[182:183] op_sel:[0,0,1] op_sel_hi:[1,1,0] neg_lo:[0,0,1] neg_hi:[0,0,1]
	v_pk_fma_f32 v[178:179], v[178:179], v[174:175], v[182:183] op_sel:[0,0,1] op_sel_hi:[1,0,0]
	s_delay_alu instid0(VALU_DEP_1) | instskip(SKIP_1) | instid1(VALU_DEP_1)
	v_mov_b32_e32 v185, v179
	v_pk_mul_f32 v[178:179], v[180:181], v[176:177] op_sel:[0,1]
	v_pk_fma_f32 v[182:183], v[180:181], v[174:175], v[178:179] op_sel:[0,0,1] op_sel_hi:[1,1,0] neg_lo:[0,0,1] neg_hi:[0,0,1]
	v_pk_fma_f32 v[178:179], v[180:181], v[174:175], v[178:179] op_sel:[0,0,1] op_sel_hi:[1,0,0]
	s_delay_alu instid0(VALU_DEP_1)
	v_mov_b32_e32 v183, v179
	ds_load_2addr_b64 v[178:181], v226 offset0:28 offset1:29
	v_pk_add_f32 v[142:143], v[142:143], v[184:185] neg_lo:[0,1] neg_hi:[0,1]
	v_pk_add_f32 v[140:141], v[140:141], v[182:183] neg_lo:[0,1] neg_hi:[0,1]
	s_wait_dscnt 0x0
	v_pk_mul_f32 v[182:183], v[178:179], v[176:177] op_sel:[0,1]
	s_delay_alu instid0(VALU_DEP_1) | instskip(SKIP_1) | instid1(VALU_DEP_1)
	v_pk_fma_f32 v[184:185], v[178:179], v[174:175], v[182:183] op_sel:[0,0,1] op_sel_hi:[1,1,0] neg_lo:[0,0,1] neg_hi:[0,0,1]
	v_pk_fma_f32 v[178:179], v[178:179], v[174:175], v[182:183] op_sel:[0,0,1] op_sel_hi:[1,0,0]
	v_mov_b32_e32 v185, v179
	v_pk_mul_f32 v[178:179], v[180:181], v[176:177] op_sel:[0,1]
	s_delay_alu instid0(VALU_DEP_1) | instskip(SKIP_1) | instid1(VALU_DEP_1)
	v_pk_fma_f32 v[182:183], v[180:181], v[174:175], v[178:179] op_sel:[0,0,1] op_sel_hi:[1,1,0] neg_lo:[0,0,1] neg_hi:[0,0,1]
	v_pk_fma_f32 v[178:179], v[180:181], v[174:175], v[178:179] op_sel:[0,0,1] op_sel_hi:[1,0,0]
	v_mov_b32_e32 v183, v179
	ds_load_2addr_b64 v[178:181], v226 offset0:30 offset1:31
	v_pk_add_f32 v[126:127], v[126:127], v[184:185] neg_lo:[0,1] neg_hi:[0,1]
	v_pk_add_f32 v[120:121], v[120:121], v[182:183] neg_lo:[0,1] neg_hi:[0,1]
	s_wait_dscnt 0x0
	v_dual_mul_f32 v182, v179, v177 :: v_dual_mul_f32 v184, v179, v174
	s_delay_alu instid0(VALU_DEP_1) | instskip(NEXT) | instid1(VALU_DEP_2)
	v_pk_fma_f32 v[182:183], v[178:179], v[36:37], v[182:183] op_sel_hi:[1,1,0] neg_lo:[0,0,1] neg_hi:[0,0,1]
	v_pk_fma_f32 v[178:179], v[178:179], v[36:37], v[184:185] op_sel:[1,0,0] op_sel_hi:[0,1,0]
	s_delay_alu instid0(VALU_DEP_1) | instskip(SKIP_1) | instid1(VALU_DEP_2)
	v_mov_b32_e32 v183, v179
	v_pk_mul_f32 v[178:179], v[180:181], v[176:177] op_sel:[0,1]
	v_pk_add_f32 v[124:125], v[124:125], v[182:183] neg_lo:[0,1] neg_hi:[0,1]
	s_delay_alu instid0(VALU_DEP_2) | instskip(SKIP_1) | instid1(VALU_DEP_1)
	v_pk_fma_f32 v[182:183], v[180:181], v[174:175], v[178:179] op_sel:[0,0,1] op_sel_hi:[1,1,0] neg_lo:[0,0,1] neg_hi:[0,0,1]
	v_pk_fma_f32 v[178:179], v[180:181], v[174:175], v[178:179] op_sel:[0,0,1] op_sel_hi:[1,0,0]
	v_mov_b32_e32 v183, v179
	ds_load_2addr_b64 v[178:181], v226 offset0:32 offset1:33
	v_pk_add_f32 v[118:119], v[118:119], v[182:183] neg_lo:[0,1] neg_hi:[0,1]
	s_wait_dscnt 0x0
	v_pk_mul_f32 v[182:183], v[178:179], v[176:177] op_sel:[0,1]
	s_delay_alu instid0(VALU_DEP_1) | instskip(SKIP_1) | instid1(VALU_DEP_1)
	v_pk_fma_f32 v[184:185], v[178:179], v[174:175], v[182:183] op_sel:[0,0,1] op_sel_hi:[1,1,0] neg_lo:[0,0,1] neg_hi:[0,0,1]
	v_pk_fma_f32 v[178:179], v[178:179], v[174:175], v[182:183] op_sel:[0,0,1] op_sel_hi:[1,0,0]
	v_mov_b32_e32 v185, v179
	v_pk_mul_f32 v[178:179], v[180:181], v[176:177] op_sel:[0,1]
	s_delay_alu instid0(VALU_DEP_2) | instskip(NEXT) | instid1(VALU_DEP_2)
	v_pk_add_f32 v[122:123], v[122:123], v[184:185] neg_lo:[0,1] neg_hi:[0,1]
	v_pk_fma_f32 v[182:183], v[180:181], v[174:175], v[178:179] op_sel:[0,0,1] op_sel_hi:[1,1,0] neg_lo:[0,0,1] neg_hi:[0,0,1]
	v_pk_fma_f32 v[178:179], v[180:181], v[174:175], v[178:179] op_sel:[0,0,1] op_sel_hi:[1,0,0]
	s_delay_alu instid0(VALU_DEP_1) | instskip(SKIP_4) | instid1(VALU_DEP_1)
	v_mov_b32_e32 v183, v179
	ds_load_2addr_b64 v[178:181], v226 offset0:34 offset1:35
	v_pk_add_f32 v[138:139], v[138:139], v[182:183] neg_lo:[0,1] neg_hi:[0,1]
	s_wait_dscnt 0x0
	v_pk_mul_f32 v[182:183], v[178:179], v[176:177] op_sel:[0,1]
	v_pk_fma_f32 v[184:185], v[178:179], v[174:175], v[182:183] op_sel:[0,0,1] op_sel_hi:[1,1,0] neg_lo:[0,0,1] neg_hi:[0,0,1]
	v_pk_fma_f32 v[178:179], v[178:179], v[174:175], v[182:183] op_sel:[0,0,1] op_sel_hi:[1,0,0]
	v_dual_mul_f32 v182, v181, v177 :: v_dual_mov_b32 v178, v181
	s_delay_alu instid0(VALU_DEP_2) | instskip(NEXT) | instid1(VALU_DEP_2)
	v_dual_mov_b32 v185, v179 :: v_dual_mov_b32 v179, v180
	v_pk_fma_f32 v[182:183], v[180:181], v[36:37], v[182:183] op_sel_hi:[1,1,0] neg_lo:[0,0,1] neg_hi:[0,0,1]
	v_mul_f32_e32 v180, v181, v174
	s_delay_alu instid0(VALU_DEP_3) | instskip(NEXT) | instid1(VALU_DEP_2)
	v_pk_add_f32 v[136:137], v[136:137], v[184:185] neg_lo:[0,1] neg_hi:[0,1]
	v_pk_fma_f32 v[178:179], v[178:179], v[36:37], v[180:181] op_sel_hi:[1,1,0]
	s_delay_alu instid0(VALU_DEP_1) | instskip(SKIP_4) | instid1(VALU_DEP_1)
	v_mov_b32_e32 v183, v179
	ds_load_b64 v[178:179], v226 offset:288
	v_pk_add_f32 v[134:135], v[134:135], v[182:183] neg_lo:[0,1] neg_hi:[0,1]
	s_wait_dscnt 0x0
	v_pk_mul_f32 v[176:177], v[178:179], v[176:177] op_sel:[0,1]
	v_pk_fma_f32 v[180:181], v[178:179], v[174:175], v[176:177] op_sel:[0,0,1] op_sel_hi:[1,1,0] neg_lo:[0,0,1] neg_hi:[0,0,1]
	v_pk_fma_f32 v[174:175], v[178:179], v[174:175], v[176:177] op_sel:[0,0,1] op_sel_hi:[1,0,0]
	s_delay_alu instid0(VALU_DEP_1) | instskip(NEXT) | instid1(VALU_DEP_1)
	v_mov_b32_e32 v181, v175
	v_pk_add_f32 v[146:147], v[146:147], v[180:181] neg_lo:[0,1] neg_hi:[0,1]
.LBB73_109:
	s_or_b32 exec_lo, exec_lo, s1
	s_delay_alu instid0(SALU_CYCLE_1)
	s_mov_b32 s2, exec_lo
	s_wait_dscnt 0x0
	s_barrier_signal -1
	s_barrier_wait -1
	v_cmpx_eq_u32_e32 12, v224
	s_cbranch_execz .LBB73_116
; %bb.110:
	ds_store_b64 v225, v[60:61]
	ds_store_2addr_b64 v226, v[78:79], v[92:93] offset0:13 offset1:14
	ds_store_2addr_b64 v226, v[90:91], v[116:117] offset0:15 offset1:16
	;; [unrolled: 1-line block ×12, first 2 shown]
	ds_load_b64 v[174:175], v225
	s_wait_dscnt 0x0
	v_cmp_neq_f32_e32 vcc_lo, 0, v174
	v_cmp_neq_f32_e64 s1, 0, v175
	s_or_b32 s1, vcc_lo, s1
	s_delay_alu instid0(SALU_CYCLE_1)
	s_and_b32 exec_lo, exec_lo, s1
	s_cbranch_execz .LBB73_116
; %bb.111:
	v_cmp_ngt_f32_e64 s1, |v174|, |v175|
                                        ; implicit-def: $vgpr176_vgpr177
	s_and_saveexec_b32 s4, s1
	s_delay_alu instid0(SALU_CYCLE_1)
	s_xor_b32 s1, exec_lo, s4
	s_cbranch_execz .LBB73_113
; %bb.112:
	v_div_scale_f32 v176, null, v175, v175, v174
	v_div_scale_f32 v179, vcc_lo, v174, v175, v174
	s_delay_alu instid0(VALU_DEP_2) | instskip(SKIP_1) | instid1(TRANS32_DEP_1)
	v_rcp_f32_e32 v177, v176
	v_nop
	v_fma_f32 v178, -v176, v177, 1.0
	s_delay_alu instid0(VALU_DEP_1) | instskip(NEXT) | instid1(VALU_DEP_1)
	v_fmac_f32_e32 v177, v178, v177
	v_mul_f32_e32 v178, v179, v177
	s_delay_alu instid0(VALU_DEP_1) | instskip(NEXT) | instid1(VALU_DEP_1)
	v_fma_f32 v180, -v176, v178, v179
	v_fmac_f32_e32 v178, v180, v177
	s_delay_alu instid0(VALU_DEP_1) | instskip(NEXT) | instid1(VALU_DEP_1)
	v_fma_f32 v176, -v176, v178, v179
	v_div_fmas_f32 v176, v176, v177, v178
	s_delay_alu instid0(VALU_DEP_1) | instskip(NEXT) | instid1(VALU_DEP_1)
	v_div_fixup_f32 v176, v176, v175, v174
	v_fmac_f32_e32 v175, v174, v176
	s_delay_alu instid0(VALU_DEP_1) | instskip(SKIP_1) | instid1(VALU_DEP_2)
	v_div_scale_f32 v174, null, v175, v175, 1.0
	v_div_scale_f32 v179, vcc_lo, 1.0, v175, 1.0
	v_rcp_f32_e32 v177, v174
	v_nop
	s_delay_alu instid0(TRANS32_DEP_1) | instskip(NEXT) | instid1(VALU_DEP_1)
	v_fma_f32 v178, -v174, v177, 1.0
	v_fmac_f32_e32 v177, v178, v177
	s_delay_alu instid0(VALU_DEP_1) | instskip(NEXT) | instid1(VALU_DEP_1)
	v_mul_f32_e32 v178, v179, v177
	v_fma_f32 v180, -v174, v178, v179
	s_delay_alu instid0(VALU_DEP_1) | instskip(NEXT) | instid1(VALU_DEP_1)
	v_fmac_f32_e32 v178, v180, v177
	v_fma_f32 v174, -v174, v178, v179
	s_delay_alu instid0(VALU_DEP_1) | instskip(NEXT) | instid1(VALU_DEP_1)
	v_div_fmas_f32 v174, v174, v177, v178
	v_div_fixup_f32 v174, v174, v175, 1.0
	s_delay_alu instid0(VALU_DEP_1)
	v_mul_f32_e32 v176, v176, v174
	v_xor_b32_e32 v177, 0x80000000, v174
                                        ; implicit-def: $vgpr174_vgpr175
.LBB73_113:
	s_and_not1_saveexec_b32 s1, s1
	s_cbranch_execz .LBB73_115
; %bb.114:
	v_div_scale_f32 v176, null, v174, v174, v175
	v_div_scale_f32 v179, vcc_lo, v175, v174, v175
	s_delay_alu instid0(VALU_DEP_2) | instskip(SKIP_1) | instid1(TRANS32_DEP_1)
	v_rcp_f32_e32 v177, v176
	v_nop
	v_fma_f32 v178, -v176, v177, 1.0
	s_delay_alu instid0(VALU_DEP_1) | instskip(NEXT) | instid1(VALU_DEP_1)
	v_fmac_f32_e32 v177, v178, v177
	v_mul_f32_e32 v178, v179, v177
	s_delay_alu instid0(VALU_DEP_1) | instskip(NEXT) | instid1(VALU_DEP_1)
	v_fma_f32 v180, -v176, v178, v179
	v_fmac_f32_e32 v178, v180, v177
	s_delay_alu instid0(VALU_DEP_1) | instskip(NEXT) | instid1(VALU_DEP_1)
	v_fma_f32 v176, -v176, v178, v179
	v_div_fmas_f32 v176, v176, v177, v178
	s_delay_alu instid0(VALU_DEP_1) | instskip(NEXT) | instid1(VALU_DEP_1)
	v_div_fixup_f32 v177, v176, v174, v175
	v_fmac_f32_e32 v174, v175, v177
	s_delay_alu instid0(VALU_DEP_1) | instskip(NEXT) | instid1(VALU_DEP_1)
	v_div_scale_f32 v175, null, v174, v174, 1.0
	v_rcp_f32_e32 v176, v175
	v_nop
	s_delay_alu instid0(TRANS32_DEP_1) | instskip(NEXT) | instid1(VALU_DEP_1)
	v_fma_f32 v178, -v175, v176, 1.0
	v_fmac_f32_e32 v176, v178, v176
	v_div_scale_f32 v178, vcc_lo, 1.0, v174, 1.0
	s_delay_alu instid0(VALU_DEP_1) | instskip(NEXT) | instid1(VALU_DEP_1)
	v_mul_f32_e32 v179, v178, v176
	v_fma_f32 v180, -v175, v179, v178
	s_delay_alu instid0(VALU_DEP_1) | instskip(NEXT) | instid1(VALU_DEP_1)
	v_fmac_f32_e32 v179, v180, v176
	v_fma_f32 v175, -v175, v179, v178
	s_delay_alu instid0(VALU_DEP_1) | instskip(NEXT) | instid1(VALU_DEP_1)
	v_div_fmas_f32 v175, v175, v176, v179
	v_div_fixup_f32 v176, v175, v174, 1.0
	s_delay_alu instid0(VALU_DEP_1)
	v_mul_f32_e64 v177, v177, -v176
.LBB73_115:
	s_or_b32 exec_lo, exec_lo, s1
	ds_store_b64 v225, v[176:177]
.LBB73_116:
	s_or_b32 exec_lo, exec_lo, s2
	s_wait_dscnt 0x0
	s_barrier_signal -1
	s_barrier_wait -1
	ds_load_b64 v[174:175], v225
	s_mov_b32 s1, exec_lo
	v_cmpx_lt_u32_e32 12, v224
	s_cbranch_execz .LBB73_118
; %bb.117:
	ds_load_2addr_b64 v[180:183], v226 offset0:13 offset1:14
	s_wait_dscnt 0x1
	v_pk_mul_f32 v[178:179], v[174:175], v[60:61] op_sel:[1,1] op_sel_hi:[0,1]
	s_delay_alu instid0(VALU_DEP_1) | instskip(SKIP_1) | instid1(VALU_DEP_1)
	v_pk_fma_f32 v[176:177], v[174:175], v[60:61], v[178:179] op_sel_hi:[1,0,1] neg_lo:[0,0,1] neg_hi:[0,0,1]
	v_pk_fma_f32 v[178:179], v[174:175], v[60:61], v[178:179] op_sel_hi:[1,0,1]
	v_dual_mov_b32 v60, v176 :: v_dual_mov_b32 v61, v179
	s_wait_dscnt 0x0
	s_delay_alu instid0(VALU_DEP_2) | instskip(NEXT) | instid1(VALU_DEP_1)
	v_pk_mul_f32 v[184:185], v[180:181], v[178:179] op_sel:[0,1]
	v_pk_fma_f32 v[186:187], v[180:181], v[176:177], v[184:185] op_sel:[0,0,1] op_sel_hi:[1,1,0] neg_lo:[0,0,1] neg_hi:[0,0,1]
	v_pk_fma_f32 v[180:181], v[180:181], v[176:177], v[184:185] op_sel:[0,0,1] op_sel_hi:[1,0,0]
	s_delay_alu instid0(VALU_DEP_1) | instskip(SKIP_1) | instid1(VALU_DEP_1)
	v_mov_b32_e32 v187, v181
	v_pk_mul_f32 v[180:181], v[182:183], v[178:179] op_sel:[0,1]
	v_pk_fma_f32 v[184:185], v[182:183], v[176:177], v[180:181] op_sel:[0,0,1] op_sel_hi:[1,1,0] neg_lo:[0,0,1] neg_hi:[0,0,1]
	v_pk_fma_f32 v[180:181], v[182:183], v[176:177], v[180:181] op_sel:[0,0,1] op_sel_hi:[1,0,0]
	s_delay_alu instid0(VALU_DEP_1)
	v_mov_b32_e32 v185, v181
	ds_load_2addr_b64 v[180:183], v226 offset0:15 offset1:16
	v_pk_add_f32 v[78:79], v[78:79], v[186:187] neg_lo:[0,1] neg_hi:[0,1]
	v_pk_add_f32 v[92:93], v[92:93], v[184:185] neg_lo:[0,1] neg_hi:[0,1]
	s_wait_dscnt 0x0
	v_pk_mul_f32 v[184:185], v[180:181], v[178:179] op_sel:[0,1]
	s_delay_alu instid0(VALU_DEP_1) | instskip(SKIP_2) | instid1(VALU_DEP_2)
	v_pk_fma_f32 v[186:187], v[180:181], v[176:177], v[184:185] op_sel:[0,0,1] op_sel_hi:[1,1,0] neg_lo:[0,0,1] neg_hi:[0,0,1]
	v_pk_fma_f32 v[180:181], v[180:181], v[176:177], v[184:185] op_sel:[0,0,1] op_sel_hi:[1,0,0]
	v_dual_mul_f32 v184, v183, v179 :: v_dual_mov_b32 v180, v183
	v_dual_mov_b32 v187, v181 :: v_dual_mov_b32 v181, v182
	s_delay_alu instid0(VALU_DEP_2) | instskip(SKIP_1) | instid1(VALU_DEP_3)
	v_pk_fma_f32 v[184:185], v[182:183], v[60:61], v[184:185] op_sel_hi:[1,1,0] neg_lo:[0,0,1] neg_hi:[0,0,1]
	v_mul_f32_e32 v182, v183, v176
	v_pk_add_f32 v[90:91], v[90:91], v[186:187] neg_lo:[0,1] neg_hi:[0,1]
	s_delay_alu instid0(VALU_DEP_2) | instskip(NEXT) | instid1(VALU_DEP_1)
	v_pk_fma_f32 v[180:181], v[180:181], v[60:61], v[182:183] op_sel_hi:[1,1,0]
	v_mov_b32_e32 v185, v181
	ds_load_2addr_b64 v[180:183], v226 offset0:17 offset1:18
	v_pk_add_f32 v[116:117], v[116:117], v[184:185] neg_lo:[0,1] neg_hi:[0,1]
	s_wait_dscnt 0x0
	v_pk_mul_f32 v[184:185], v[180:181], v[178:179] op_sel:[0,1]
	s_delay_alu instid0(VALU_DEP_1) | instskip(SKIP_1) | instid1(VALU_DEP_1)
	v_pk_fma_f32 v[186:187], v[180:181], v[176:177], v[184:185] op_sel:[0,0,1] op_sel_hi:[1,1,0] neg_lo:[0,0,1] neg_hi:[0,0,1]
	v_pk_fma_f32 v[180:181], v[180:181], v[176:177], v[184:185] op_sel:[0,0,1] op_sel_hi:[1,0,0]
	v_mov_b32_e32 v187, v181
	v_pk_mul_f32 v[180:181], v[182:183], v[178:179] op_sel:[0,1]
	s_delay_alu instid0(VALU_DEP_1) | instskip(SKIP_1) | instid1(VALU_DEP_1)
	v_pk_fma_f32 v[184:185], v[182:183], v[176:177], v[180:181] op_sel:[0,0,1] op_sel_hi:[1,1,0] neg_lo:[0,0,1] neg_hi:[0,0,1]
	v_pk_fma_f32 v[180:181], v[182:183], v[176:177], v[180:181] op_sel:[0,0,1] op_sel_hi:[1,0,0]
	v_mov_b32_e32 v185, v181
	ds_load_2addr_b64 v[180:183], v226 offset0:19 offset1:20
	v_pk_add_f32 v[88:89], v[88:89], v[186:187] neg_lo:[0,1] neg_hi:[0,1]
	v_pk_add_f32 v[114:115], v[114:115], v[184:185] neg_lo:[0,1] neg_hi:[0,1]
	s_wait_dscnt 0x0
	v_pk_mul_f32 v[184:185], v[180:181], v[178:179] op_sel:[0,1]
	s_delay_alu instid0(VALU_DEP_1) | instskip(SKIP_1) | instid1(VALU_DEP_1)
	v_pk_fma_f32 v[186:187], v[180:181], v[176:177], v[184:185] op_sel:[0,0,1] op_sel_hi:[1,1,0] neg_lo:[0,0,1] neg_hi:[0,0,1]
	v_pk_fma_f32 v[180:181], v[180:181], v[176:177], v[184:185] op_sel:[0,0,1] op_sel_hi:[1,0,0]
	v_mov_b32_e32 v187, v181
	v_pk_mul_f32 v[180:181], v[182:183], v[178:179] op_sel:[0,1]
	s_delay_alu instid0(VALU_DEP_1) | instskip(SKIP_1) | instid1(VALU_DEP_1)
	v_pk_fma_f32 v[184:185], v[182:183], v[176:177], v[180:181] op_sel:[0,0,1] op_sel_hi:[1,1,0] neg_lo:[0,0,1] neg_hi:[0,0,1]
	v_pk_fma_f32 v[180:181], v[182:183], v[176:177], v[180:181] op_sel:[0,0,1] op_sel_hi:[1,0,0]
	v_mov_b32_e32 v185, v181
	ds_load_2addr_b64 v[180:183], v226 offset0:21 offset1:22
	v_pk_add_f32 v[112:113], v[112:113], v[186:187] neg_lo:[0,1] neg_hi:[0,1]
	v_pk_add_f32 v[132:133], v[132:133], v[184:185] neg_lo:[0,1] neg_hi:[0,1]
	s_wait_dscnt 0x0
	v_dual_mul_f32 v184, v181, v179 :: v_dual_mul_f32 v186, v181, v176
	s_delay_alu instid0(VALU_DEP_1) | instskip(NEXT) | instid1(VALU_DEP_2)
	v_pk_fma_f32 v[184:185], v[180:181], v[60:61], v[184:185] op_sel_hi:[1,1,0] neg_lo:[0,0,1] neg_hi:[0,0,1]
	v_pk_fma_f32 v[180:181], v[180:181], v[60:61], v[186:187] op_sel:[1,0,0] op_sel_hi:[0,1,0]
	s_delay_alu instid0(VALU_DEP_1) | instskip(SKIP_1) | instid1(VALU_DEP_2)
	v_mov_b32_e32 v185, v181
	v_pk_mul_f32 v[180:181], v[182:183], v[178:179] op_sel:[0,1]
	v_pk_add_f32 v[102:103], v[102:103], v[184:185] neg_lo:[0,1] neg_hi:[0,1]
	s_delay_alu instid0(VALU_DEP_2) | instskip(SKIP_1) | instid1(VALU_DEP_1)
	v_pk_fma_f32 v[184:185], v[182:183], v[176:177], v[180:181] op_sel:[0,0,1] op_sel_hi:[1,1,0] neg_lo:[0,0,1] neg_hi:[0,0,1]
	v_pk_fma_f32 v[180:181], v[182:183], v[176:177], v[180:181] op_sel:[0,0,1] op_sel_hi:[1,0,0]
	v_mov_b32_e32 v185, v181
	ds_load_2addr_b64 v[180:183], v226 offset0:23 offset1:24
	v_pk_add_f32 v[130:131], v[130:131], v[184:185] neg_lo:[0,1] neg_hi:[0,1]
	s_wait_dscnt 0x0
	v_pk_mul_f32 v[184:185], v[180:181], v[178:179] op_sel:[0,1]
	s_delay_alu instid0(VALU_DEP_1) | instskip(SKIP_1) | instid1(VALU_DEP_1)
	v_pk_fma_f32 v[186:187], v[180:181], v[176:177], v[184:185] op_sel:[0,0,1] op_sel_hi:[1,1,0] neg_lo:[0,0,1] neg_hi:[0,0,1]
	v_pk_fma_f32 v[180:181], v[180:181], v[176:177], v[184:185] op_sel:[0,0,1] op_sel_hi:[1,0,0]
	v_mov_b32_e32 v187, v181
	v_pk_mul_f32 v[180:181], v[182:183], v[178:179] op_sel:[0,1]
	s_delay_alu instid0(VALU_DEP_2) | instskip(NEXT) | instid1(VALU_DEP_2)
	v_pk_add_f32 v[128:129], v[128:129], v[186:187] neg_lo:[0,1] neg_hi:[0,1]
	v_pk_fma_f32 v[184:185], v[182:183], v[176:177], v[180:181] op_sel:[0,0,1] op_sel_hi:[1,1,0] neg_lo:[0,0,1] neg_hi:[0,0,1]
	v_pk_fma_f32 v[180:181], v[182:183], v[176:177], v[180:181] op_sel:[0,0,1] op_sel_hi:[1,0,0]
	s_delay_alu instid0(VALU_DEP_1) | instskip(SKIP_4) | instid1(VALU_DEP_1)
	v_mov_b32_e32 v185, v181
	ds_load_2addr_b64 v[180:183], v226 offset0:25 offset1:26
	v_pk_add_f32 v[144:145], v[144:145], v[184:185] neg_lo:[0,1] neg_hi:[0,1]
	s_wait_dscnt 0x0
	v_pk_mul_f32 v[184:185], v[180:181], v[178:179] op_sel:[0,1]
	v_pk_fma_f32 v[186:187], v[180:181], v[176:177], v[184:185] op_sel:[0,0,1] op_sel_hi:[1,1,0] neg_lo:[0,0,1] neg_hi:[0,0,1]
	v_pk_fma_f32 v[180:181], v[180:181], v[176:177], v[184:185] op_sel:[0,0,1] op_sel_hi:[1,0,0]
	v_dual_mul_f32 v184, v183, v179 :: v_dual_mov_b32 v180, v183
	s_delay_alu instid0(VALU_DEP_2) | instskip(NEXT) | instid1(VALU_DEP_2)
	v_dual_mov_b32 v187, v181 :: v_dual_mov_b32 v181, v182
	v_pk_fma_f32 v[184:185], v[182:183], v[60:61], v[184:185] op_sel_hi:[1,1,0] neg_lo:[0,0,1] neg_hi:[0,0,1]
	v_mul_f32_e32 v182, v183, v176
	s_delay_alu instid0(VALU_DEP_3) | instskip(NEXT) | instid1(VALU_DEP_2)
	v_pk_add_f32 v[148:149], v[148:149], v[186:187] neg_lo:[0,1] neg_hi:[0,1]
	v_pk_fma_f32 v[180:181], v[180:181], v[60:61], v[182:183] op_sel_hi:[1,1,0]
	s_delay_alu instid0(VALU_DEP_1) | instskip(SKIP_4) | instid1(VALU_DEP_1)
	v_mov_b32_e32 v185, v181
	ds_load_2addr_b64 v[180:183], v226 offset0:27 offset1:28
	v_pk_add_f32 v[142:143], v[142:143], v[184:185] neg_lo:[0,1] neg_hi:[0,1]
	s_wait_dscnt 0x0
	v_pk_mul_f32 v[184:185], v[180:181], v[178:179] op_sel:[0,1]
	v_pk_fma_f32 v[186:187], v[180:181], v[176:177], v[184:185] op_sel:[0,0,1] op_sel_hi:[1,1,0] neg_lo:[0,0,1] neg_hi:[0,0,1]
	v_pk_fma_f32 v[180:181], v[180:181], v[176:177], v[184:185] op_sel:[0,0,1] op_sel_hi:[1,0,0]
	s_delay_alu instid0(VALU_DEP_1) | instskip(SKIP_1) | instid1(VALU_DEP_1)
	v_mov_b32_e32 v187, v181
	v_pk_mul_f32 v[180:181], v[182:183], v[178:179] op_sel:[0,1]
	v_pk_fma_f32 v[184:185], v[182:183], v[176:177], v[180:181] op_sel:[0,0,1] op_sel_hi:[1,1,0] neg_lo:[0,0,1] neg_hi:[0,0,1]
	v_pk_fma_f32 v[180:181], v[182:183], v[176:177], v[180:181] op_sel:[0,0,1] op_sel_hi:[1,0,0]
	s_delay_alu instid0(VALU_DEP_1)
	v_mov_b32_e32 v185, v181
	ds_load_2addr_b64 v[180:183], v226 offset0:29 offset1:30
	v_pk_add_f32 v[140:141], v[140:141], v[186:187] neg_lo:[0,1] neg_hi:[0,1]
	v_pk_add_f32 v[126:127], v[126:127], v[184:185] neg_lo:[0,1] neg_hi:[0,1]
	s_wait_dscnt 0x0
	v_pk_mul_f32 v[184:185], v[180:181], v[178:179] op_sel:[0,1]
	s_delay_alu instid0(VALU_DEP_1) | instskip(SKIP_1) | instid1(VALU_DEP_1)
	v_pk_fma_f32 v[186:187], v[180:181], v[176:177], v[184:185] op_sel:[0,0,1] op_sel_hi:[1,1,0] neg_lo:[0,0,1] neg_hi:[0,0,1]
	v_pk_fma_f32 v[180:181], v[180:181], v[176:177], v[184:185] op_sel:[0,0,1] op_sel_hi:[1,0,0]
	v_mov_b32_e32 v187, v181
	v_pk_mul_f32 v[180:181], v[182:183], v[178:179] op_sel:[0,1]
	s_delay_alu instid0(VALU_DEP_1) | instskip(SKIP_1) | instid1(VALU_DEP_1)
	v_pk_fma_f32 v[184:185], v[182:183], v[176:177], v[180:181] op_sel:[0,0,1] op_sel_hi:[1,1,0] neg_lo:[0,0,1] neg_hi:[0,0,1]
	v_pk_fma_f32 v[180:181], v[182:183], v[176:177], v[180:181] op_sel:[0,0,1] op_sel_hi:[1,0,0]
	v_mov_b32_e32 v185, v181
	ds_load_2addr_b64 v[180:183], v226 offset0:31 offset1:32
	v_pk_add_f32 v[120:121], v[120:121], v[186:187] neg_lo:[0,1] neg_hi:[0,1]
	v_pk_add_f32 v[124:125], v[124:125], v[184:185] neg_lo:[0,1] neg_hi:[0,1]
	s_wait_dscnt 0x0
	v_dual_mul_f32 v184, v181, v179 :: v_dual_mul_f32 v186, v181, v176
	s_delay_alu instid0(VALU_DEP_1) | instskip(NEXT) | instid1(VALU_DEP_2)
	v_pk_fma_f32 v[184:185], v[180:181], v[60:61], v[184:185] op_sel_hi:[1,1,0] neg_lo:[0,0,1] neg_hi:[0,0,1]
	v_pk_fma_f32 v[180:181], v[180:181], v[60:61], v[186:187] op_sel:[1,0,0] op_sel_hi:[0,1,0]
	s_delay_alu instid0(VALU_DEP_1) | instskip(SKIP_1) | instid1(VALU_DEP_2)
	v_mov_b32_e32 v185, v181
	v_pk_mul_f32 v[180:181], v[182:183], v[178:179] op_sel:[0,1]
	v_pk_add_f32 v[118:119], v[118:119], v[184:185] neg_lo:[0,1] neg_hi:[0,1]
	s_delay_alu instid0(VALU_DEP_2) | instskip(SKIP_1) | instid1(VALU_DEP_1)
	v_pk_fma_f32 v[184:185], v[182:183], v[176:177], v[180:181] op_sel:[0,0,1] op_sel_hi:[1,1,0] neg_lo:[0,0,1] neg_hi:[0,0,1]
	v_pk_fma_f32 v[180:181], v[182:183], v[176:177], v[180:181] op_sel:[0,0,1] op_sel_hi:[1,0,0]
	v_mov_b32_e32 v185, v181
	ds_load_2addr_b64 v[180:183], v226 offset0:33 offset1:34
	v_pk_add_f32 v[122:123], v[122:123], v[184:185] neg_lo:[0,1] neg_hi:[0,1]
	s_wait_dscnt 0x0
	v_pk_mul_f32 v[184:185], v[180:181], v[178:179] op_sel:[0,1]
	s_delay_alu instid0(VALU_DEP_1) | instskip(SKIP_1) | instid1(VALU_DEP_1)
	v_pk_fma_f32 v[186:187], v[180:181], v[176:177], v[184:185] op_sel:[0,0,1] op_sel_hi:[1,1,0] neg_lo:[0,0,1] neg_hi:[0,0,1]
	v_pk_fma_f32 v[180:181], v[180:181], v[176:177], v[184:185] op_sel:[0,0,1] op_sel_hi:[1,0,0]
	v_mov_b32_e32 v187, v181
	v_pk_mul_f32 v[180:181], v[182:183], v[178:179] op_sel:[0,1]
	s_delay_alu instid0(VALU_DEP_2) | instskip(NEXT) | instid1(VALU_DEP_2)
	v_pk_add_f32 v[138:139], v[138:139], v[186:187] neg_lo:[0,1] neg_hi:[0,1]
	v_pk_fma_f32 v[184:185], v[182:183], v[176:177], v[180:181] op_sel:[0,0,1] op_sel_hi:[1,1,0] neg_lo:[0,0,1] neg_hi:[0,0,1]
	v_pk_fma_f32 v[180:181], v[182:183], v[176:177], v[180:181] op_sel:[0,0,1] op_sel_hi:[1,0,0]
	s_delay_alu instid0(VALU_DEP_1)
	v_mov_b32_e32 v185, v181
	ds_load_2addr_b64 v[180:183], v226 offset0:35 offset1:36
	v_pk_add_f32 v[136:137], v[136:137], v[184:185] neg_lo:[0,1] neg_hi:[0,1]
	s_wait_dscnt 0x0
	v_pk_mul_f32 v[184:185], v[180:181], v[178:179] op_sel:[0,1]
	v_mul_f32_e32 v178, v183, v179
	s_delay_alu instid0(VALU_DEP_2) | instskip(SKIP_2) | instid1(VALU_DEP_4)
	v_pk_fma_f32 v[186:187], v[180:181], v[176:177], v[184:185] op_sel:[0,0,1] op_sel_hi:[1,1,0] neg_lo:[0,0,1] neg_hi:[0,0,1]
	v_pk_fma_f32 v[180:181], v[180:181], v[176:177], v[184:185] op_sel:[0,0,1] op_sel_hi:[1,0,0]
	v_dual_mov_b32 v180, v183 :: v_dual_mul_f32 v176, v183, v176
	v_pk_fma_f32 v[178:179], v[182:183], v[60:61], v[178:179] op_sel_hi:[1,1,0] neg_lo:[0,0,1] neg_hi:[0,0,1]
	s_delay_alu instid0(VALU_DEP_3) | instskip(NEXT) | instid1(VALU_DEP_1)
	v_dual_mov_b32 v187, v181 :: v_dual_mov_b32 v181, v182
	v_pk_add_f32 v[134:135], v[134:135], v[186:187] neg_lo:[0,1] neg_hi:[0,1]
	s_delay_alu instid0(VALU_DEP_2) | instskip(NEXT) | instid1(VALU_DEP_1)
	v_pk_fma_f32 v[176:177], v[180:181], v[60:61], v[176:177] op_sel_hi:[1,1,0]
	v_mov_b32_e32 v179, v177
	s_delay_alu instid0(VALU_DEP_1)
	v_pk_add_f32 v[146:147], v[146:147], v[178:179] neg_lo:[0,1] neg_hi:[0,1]
.LBB73_118:
	s_or_b32 exec_lo, exec_lo, s1
	s_delay_alu instid0(SALU_CYCLE_1)
	s_mov_b32 s2, exec_lo
	s_wait_dscnt 0x0
	s_barrier_signal -1
	s_barrier_wait -1
	v_cmpx_eq_u32_e32 13, v224
	s_cbranch_execz .LBB73_125
; %bb.119:
	v_dual_mov_b32 v176, v92 :: v_dual_mov_b32 v177, v93
	v_dual_mov_b32 v178, v90 :: v_dual_mov_b32 v179, v91
	ds_store_b64 v225, v[78:79]
	ds_store_2addr_b64 v226, v[176:177], v[178:179] offset0:14 offset1:15
	v_dual_mov_b32 v176, v116 :: v_dual_mov_b32 v177, v117
	v_dual_mov_b32 v178, v88 :: v_dual_mov_b32 v179, v89
	ds_store_2addr_b64 v226, v[176:177], v[178:179] offset0:16 offset1:17
	v_dual_mov_b32 v176, v114 :: v_dual_mov_b32 v177, v115
	v_dual_mov_b32 v178, v112 :: v_dual_mov_b32 v179, v113
	;; [unrolled: 3-line block ×10, first 2 shown]
	ds_store_2addr_b64 v226, v[176:177], v[178:179] offset0:34 offset1:35
	ds_store_b64 v226, v[146:147] offset:288
	ds_load_b64 v[176:177], v225
	s_wait_dscnt 0x0
	v_cmp_neq_f32_e32 vcc_lo, 0, v176
	v_cmp_neq_f32_e64 s1, 0, v177
	s_or_b32 s1, vcc_lo, s1
	s_delay_alu instid0(SALU_CYCLE_1)
	s_and_b32 exec_lo, exec_lo, s1
	s_cbranch_execz .LBB73_125
; %bb.120:
	v_cmp_ngt_f32_e64 s1, |v176|, |v177|
                                        ; implicit-def: $vgpr178_vgpr179
	s_and_saveexec_b32 s4, s1
	s_delay_alu instid0(SALU_CYCLE_1)
	s_xor_b32 s1, exec_lo, s4
	s_cbranch_execz .LBB73_122
; %bb.121:
	v_div_scale_f32 v178, null, v177, v177, v176
	v_div_scale_f32 v181, vcc_lo, v176, v177, v176
	s_delay_alu instid0(VALU_DEP_2) | instskip(SKIP_1) | instid1(TRANS32_DEP_1)
	v_rcp_f32_e32 v179, v178
	v_nop
	v_fma_f32 v180, -v178, v179, 1.0
	s_delay_alu instid0(VALU_DEP_1) | instskip(NEXT) | instid1(VALU_DEP_1)
	v_fmac_f32_e32 v179, v180, v179
	v_mul_f32_e32 v180, v181, v179
	s_delay_alu instid0(VALU_DEP_1) | instskip(NEXT) | instid1(VALU_DEP_1)
	v_fma_f32 v182, -v178, v180, v181
	v_fmac_f32_e32 v180, v182, v179
	s_delay_alu instid0(VALU_DEP_1) | instskip(NEXT) | instid1(VALU_DEP_1)
	v_fma_f32 v178, -v178, v180, v181
	v_div_fmas_f32 v178, v178, v179, v180
	s_delay_alu instid0(VALU_DEP_1) | instskip(NEXT) | instid1(VALU_DEP_1)
	v_div_fixup_f32 v178, v178, v177, v176
	v_fmac_f32_e32 v177, v176, v178
	s_delay_alu instid0(VALU_DEP_1) | instskip(SKIP_1) | instid1(VALU_DEP_2)
	v_div_scale_f32 v176, null, v177, v177, 1.0
	v_div_scale_f32 v181, vcc_lo, 1.0, v177, 1.0
	v_rcp_f32_e32 v179, v176
	v_nop
	s_delay_alu instid0(TRANS32_DEP_1) | instskip(NEXT) | instid1(VALU_DEP_1)
	v_fma_f32 v180, -v176, v179, 1.0
	v_fmac_f32_e32 v179, v180, v179
	s_delay_alu instid0(VALU_DEP_1) | instskip(NEXT) | instid1(VALU_DEP_1)
	v_mul_f32_e32 v180, v181, v179
	v_fma_f32 v182, -v176, v180, v181
	s_delay_alu instid0(VALU_DEP_1) | instskip(NEXT) | instid1(VALU_DEP_1)
	v_fmac_f32_e32 v180, v182, v179
	v_fma_f32 v176, -v176, v180, v181
	s_delay_alu instid0(VALU_DEP_1) | instskip(NEXT) | instid1(VALU_DEP_1)
	v_div_fmas_f32 v176, v176, v179, v180
	v_div_fixup_f32 v176, v176, v177, 1.0
	s_delay_alu instid0(VALU_DEP_1)
	v_mul_f32_e32 v178, v178, v176
	v_xor_b32_e32 v179, 0x80000000, v176
                                        ; implicit-def: $vgpr176_vgpr177
.LBB73_122:
	s_and_not1_saveexec_b32 s1, s1
	s_cbranch_execz .LBB73_124
; %bb.123:
	v_div_scale_f32 v178, null, v176, v176, v177
	v_div_scale_f32 v181, vcc_lo, v177, v176, v177
	s_delay_alu instid0(VALU_DEP_2) | instskip(SKIP_1) | instid1(TRANS32_DEP_1)
	v_rcp_f32_e32 v179, v178
	v_nop
	v_fma_f32 v180, -v178, v179, 1.0
	s_delay_alu instid0(VALU_DEP_1) | instskip(NEXT) | instid1(VALU_DEP_1)
	v_fmac_f32_e32 v179, v180, v179
	v_mul_f32_e32 v180, v181, v179
	s_delay_alu instid0(VALU_DEP_1) | instskip(NEXT) | instid1(VALU_DEP_1)
	v_fma_f32 v182, -v178, v180, v181
	v_fmac_f32_e32 v180, v182, v179
	s_delay_alu instid0(VALU_DEP_1) | instskip(NEXT) | instid1(VALU_DEP_1)
	v_fma_f32 v178, -v178, v180, v181
	v_div_fmas_f32 v178, v178, v179, v180
	s_delay_alu instid0(VALU_DEP_1) | instskip(NEXT) | instid1(VALU_DEP_1)
	v_div_fixup_f32 v179, v178, v176, v177
	v_fmac_f32_e32 v176, v177, v179
	s_delay_alu instid0(VALU_DEP_1) | instskip(NEXT) | instid1(VALU_DEP_1)
	v_div_scale_f32 v177, null, v176, v176, 1.0
	v_rcp_f32_e32 v178, v177
	v_nop
	s_delay_alu instid0(TRANS32_DEP_1) | instskip(NEXT) | instid1(VALU_DEP_1)
	v_fma_f32 v180, -v177, v178, 1.0
	v_fmac_f32_e32 v178, v180, v178
	v_div_scale_f32 v180, vcc_lo, 1.0, v176, 1.0
	s_delay_alu instid0(VALU_DEP_1) | instskip(NEXT) | instid1(VALU_DEP_1)
	v_mul_f32_e32 v181, v180, v178
	v_fma_f32 v182, -v177, v181, v180
	s_delay_alu instid0(VALU_DEP_1) | instskip(NEXT) | instid1(VALU_DEP_1)
	v_fmac_f32_e32 v181, v182, v178
	v_fma_f32 v177, -v177, v181, v180
	s_delay_alu instid0(VALU_DEP_1) | instskip(NEXT) | instid1(VALU_DEP_1)
	v_div_fmas_f32 v177, v177, v178, v181
	v_div_fixup_f32 v178, v177, v176, 1.0
	s_delay_alu instid0(VALU_DEP_1)
	v_mul_f32_e64 v179, v179, -v178
.LBB73_124:
	s_or_b32 exec_lo, exec_lo, s1
	ds_store_b64 v225, v[178:179]
.LBB73_125:
	s_or_b32 exec_lo, exec_lo, s2
	s_wait_dscnt 0x0
	s_barrier_signal -1
	s_barrier_wait -1
	ds_load_b64 v[176:177], v225
	s_mov_b32 s1, exec_lo
	v_cmpx_lt_u32_e32 13, v224
	s_cbranch_execz .LBB73_127
; %bb.126:
	ds_load_2addr_b64 v[178:181], v226 offset0:14 offset1:15
	ds_load_2addr_b64 v[182:185], v226 offset0:16 offset1:17
	;; [unrolled: 1-line block ×3, first 2 shown]
	s_wait_dscnt 0x3
	v_pk_mul_f32 v[194:195], v[176:177], v[78:79] op_sel:[1,1] op_sel_hi:[0,1]
	ds_load_2addr_b64 v[190:193], v226 offset0:20 offset1:21
	v_pk_fma_f32 v[200:201], v[176:177], v[78:79], v[194:195] op_sel_hi:[1,0,1]
	v_pk_fma_f32 v[198:199], v[176:177], v[78:79], v[194:195] op_sel_hi:[1,0,1] neg_lo:[0,0,1] neg_hi:[0,0,1]
	ds_load_2addr_b64 v[194:197], v226 offset0:22 offset1:23
	v_dual_mov_b32 v79, v201 :: v_dual_mov_b32 v78, v198
	s_wait_dscnt 0x4
	v_pk_mul_f32 v[202:203], v[178:179], v[200:201] op_sel:[0,1]
	v_pk_mul_f32 v[204:205], v[180:181], v[200:201] op_sel:[0,1]
	s_wait_dscnt 0x3
	v_pk_mul_f32 v[206:207], v[182:183], v[200:201] op_sel:[0,1]
	v_dual_mov_b32 v208, v185 :: v_dual_mov_b32 v209, v184
	v_pk_fma_f32 v[220:221], v[178:179], v[198:199], v[202:203] op_sel:[0,0,1] op_sel_hi:[1,1,0] neg_lo:[0,0,1] neg_hi:[0,0,1]
	v_pk_fma_f32 v[178:179], v[178:179], v[198:199], v[202:203] op_sel:[0,0,1] op_sel_hi:[1,0,0]
	v_pk_fma_f32 v[202:203], v[180:181], v[198:199], v[204:205] op_sel:[0,0,1] op_sel_hi:[1,1,0] neg_lo:[0,0,1] neg_hi:[0,0,1]
	v_pk_fma_f32 v[180:181], v[180:181], v[198:199], v[204:205] op_sel:[0,0,1] op_sel_hi:[1,0,0]
	v_dual_mul_f32 v210, v185, v201 :: v_dual_mul_f32 v212, v185, v198
	s_wait_dscnt 0x2
	v_pk_mul_f32 v[214:215], v[186:187], v[200:201] op_sel:[0,1]
	v_pk_fma_f32 v[204:205], v[182:183], v[198:199], v[206:207] op_sel:[0,0,1] op_sel_hi:[1,1,0] neg_lo:[0,0,1] neg_hi:[0,0,1]
	v_pk_fma_f32 v[182:183], v[182:183], v[198:199], v[206:207] op_sel:[0,0,1] op_sel_hi:[1,0,0]
	v_dual_mov_b32 v221, v179 :: v_dual_mov_b32 v203, v181
	ds_load_2addr_b64 v[178:181], v226 offset0:24 offset1:25
	v_pk_mul_f32 v[216:217], v[188:189], v[200:201] op_sel:[0,1]
	s_wait_dscnt 0x2
	v_pk_mul_f32 v[218:219], v[190:191], v[200:201] op_sel:[0,1]
	v_pk_fma_f32 v[206:207], v[208:209], v[78:79], v[212:213] op_sel_hi:[1,1,0]
	v_mov_b32_e32 v205, v183
	v_pk_fma_f32 v[182:183], v[186:187], v[198:199], v[214:215] op_sel:[0,0,1] op_sel_hi:[1,0,0]
	v_pk_fma_f32 v[184:185], v[184:185], v[78:79], v[210:211] op_sel_hi:[1,1,0] neg_lo:[0,0,1] neg_hi:[0,0,1]
	v_pk_fma_f32 v[186:187], v[186:187], v[198:199], v[214:215] op_sel:[0,0,1] op_sel_hi:[1,1,0] neg_lo:[0,0,1] neg_hi:[0,0,1]
	v_mov_b32_e32 v185, v207
	v_pk_add_f32 v[90:91], v[90:91], v[202:203] neg_lo:[0,1] neg_hi:[0,1]
	v_pk_add_f32 v[116:117], v[116:117], v[204:205] neg_lo:[0,1] neg_hi:[0,1]
	v_pk_fma_f32 v[202:203], v[188:189], v[198:199], v[216:217] op_sel:[0,0,1] op_sel_hi:[1,0,0]
	v_pk_fma_f32 v[204:205], v[190:191], v[198:199], v[218:219] op_sel:[0,0,1] op_sel_hi:[1,0,0]
	v_mov_b32_e32 v187, v183
	v_pk_fma_f32 v[182:183], v[188:189], v[198:199], v[216:217] op_sel:[0,0,1] op_sel_hi:[1,1,0] neg_lo:[0,0,1] neg_hi:[0,0,1]
	v_pk_fma_f32 v[188:189], v[190:191], v[198:199], v[218:219] op_sel:[0,0,1] op_sel_hi:[1,1,0] neg_lo:[0,0,1] neg_hi:[0,0,1]
	v_pk_mul_f32 v[190:191], v[192:193], v[200:201] op_sel:[0,1]
	v_mov_b32_e32 v183, v203
	v_pk_add_f32 v[114:115], v[114:115], v[186:187] neg_lo:[0,1] neg_hi:[0,1]
	v_mov_b32_e32 v189, v205
	v_pk_add_f32 v[88:89], v[88:89], v[184:185] neg_lo:[0,1] neg_hi:[0,1]
	v_pk_fma_f32 v[186:187], v[192:193], v[198:199], v[190:191] op_sel:[0,0,1] op_sel_hi:[1,0,0]
	s_wait_dscnt 0x1
	v_mul_f32_e32 v186, v195, v198
	v_pk_add_f32 v[112:113], v[112:113], v[182:183] neg_lo:[0,1] neg_hi:[0,1]
	ds_load_2addr_b64 v[182:185], v226 offset0:26 offset1:27
	v_pk_add_f32 v[132:133], v[132:133], v[188:189] neg_lo:[0,1] neg_hi:[0,1]
	v_pk_fma_f32 v[202:203], v[192:193], v[198:199], v[190:191] op_sel:[0,0,1] op_sel_hi:[1,1,0] neg_lo:[0,0,1] neg_hi:[0,0,1]
	v_pk_mul_f32 v[190:191], v[196:197], v[200:201] op_sel:[0,1]
	s_wait_dscnt 0x1
	v_pk_mul_f32 v[192:193], v[178:179], v[200:201] op_sel:[0,1]
	v_pk_fma_f32 v[204:205], v[194:195], v[78:79], v[186:187] op_sel:[1,0,0] op_sel_hi:[0,1,0]
	v_mul_f32_e32 v188, v195, v201
	v_mov_b32_e32 v203, v187
	v_pk_fma_f32 v[186:187], v[196:197], v[198:199], v[190:191] op_sel:[0,0,1] op_sel_hi:[1,0,0]
	v_pk_fma_f32 v[190:191], v[196:197], v[198:199], v[190:191] op_sel:[0,0,1] op_sel_hi:[1,1,0] neg_lo:[0,0,1] neg_hi:[0,0,1]
	v_pk_add_f32 v[92:93], v[92:93], v[220:221] neg_lo:[0,1] neg_hi:[0,1]
	v_pk_fma_f32 v[194:195], v[194:195], v[78:79], v[188:189] op_sel_hi:[1,1,0] neg_lo:[0,0,1] neg_hi:[0,0,1]
	v_pk_fma_f32 v[188:189], v[178:179], v[198:199], v[192:193] op_sel:[0,0,1] op_sel_hi:[1,0,0]
	v_pk_fma_f32 v[178:179], v[178:179], v[198:199], v[192:193] op_sel:[0,0,1] op_sel_hi:[1,1,0] neg_lo:[0,0,1] neg_hi:[0,0,1]
	v_dual_mov_b32 v191, v187 :: v_dual_mov_b32 v195, v205
	v_pk_mul_f32 v[192:193], v[180:181], v[200:201] op_sel:[0,1]
	s_delay_alu instid0(VALU_DEP_4)
	v_mov_b32_e32 v179, v189
	ds_load_2addr_b64 v[186:189], v226 offset0:28 offset1:29
	v_pk_add_f32 v[102:103], v[102:103], v[202:203] neg_lo:[0,1] neg_hi:[0,1]
	v_pk_add_f32 v[130:131], v[130:131], v[194:195] neg_lo:[0,1] neg_hi:[0,1]
	s_wait_dscnt 0x1
	v_pk_mul_f32 v[194:195], v[182:183], v[200:201] op_sel:[0,1]
	v_pk_add_f32 v[128:129], v[128:129], v[190:191] neg_lo:[0,1] neg_hi:[0,1]
	v_pk_fma_f32 v[190:191], v[180:181], v[198:199], v[192:193] op_sel:[0,0,1] op_sel_hi:[1,1,0] neg_lo:[0,0,1] neg_hi:[0,0,1]
	v_pk_fma_f32 v[192:193], v[180:181], v[198:199], v[192:193] op_sel:[0,0,1] op_sel_hi:[1,0,0]
	v_mov_b32_e32 v196, v185
	v_pk_fma_f32 v[202:203], v[182:183], v[198:199], v[194:195] op_sel:[0,0,1] op_sel_hi:[1,0,0]
	v_pk_add_f32 v[144:145], v[144:145], v[178:179] neg_lo:[0,1] neg_hi:[0,1]
	v_dual_mov_b32 v197, v184 :: v_dual_mul_f32 v192, v185, v198
	ds_load_2addr_b64 v[178:181], v226 offset0:30 offset1:31
	v_mul_f32_e32 v202, v185, v201
	v_pk_fma_f32 v[194:195], v[182:183], v[198:199], v[194:195] op_sel:[0,0,1] op_sel_hi:[1,1,0] neg_lo:[0,0,1] neg_hi:[0,0,1]
	v_mov_b32_e32 v191, v193
	v_pk_fma_f32 v[192:193], v[196:197], v[78:79], v[192:193] op_sel_hi:[1,1,0]
	v_mov_b32_e32 v195, v203
	v_pk_fma_f32 v[196:197], v[184:185], v[78:79], v[202:203] op_sel_hi:[1,1,0] neg_lo:[0,0,1] neg_hi:[0,0,1]
	ds_load_2addr_b64 v[182:185], v226 offset0:32 offset1:33
	s_wait_dscnt 0x2
	v_pk_mul_f32 v[202:203], v[186:187], v[200:201] op_sel:[0,1]
	v_mov_b32_e32 v197, v193
	v_pk_add_f32 v[148:149], v[148:149], v[190:191] neg_lo:[0,1] neg_hi:[0,1]
	v_pk_mul_f32 v[190:191], v[188:189], v[200:201] op_sel:[0,1]
	v_pk_add_f32 v[142:143], v[142:143], v[194:195] neg_lo:[0,1] neg_hi:[0,1]
	v_pk_fma_f32 v[192:193], v[186:187], v[198:199], v[202:203] op_sel:[0,0,1] op_sel_hi:[1,0,0]
	v_pk_fma_f32 v[194:195], v[186:187], v[198:199], v[202:203] op_sel:[0,0,1] op_sel_hi:[1,1,0] neg_lo:[0,0,1] neg_hi:[0,0,1]
	v_pk_add_f32 v[140:141], v[140:141], v[196:197] neg_lo:[0,1] neg_hi:[0,1]
	v_pk_fma_f32 v[196:197], v[188:189], v[198:199], v[190:191] op_sel:[0,0,1] op_sel_hi:[1,0,0]
	v_pk_fma_f32 v[190:191], v[188:189], v[198:199], v[190:191] op_sel:[0,0,1] op_sel_hi:[1,1,0] neg_lo:[0,0,1] neg_hi:[0,0,1]
	v_mov_b32_e32 v195, v193
	ds_load_2addr_b64 v[186:189], v226 offset0:34 offset1:35
	s_wait_dscnt 0x2
	v_pk_mul_f32 v[192:193], v[178:179], v[200:201] op_sel:[0,1]
	v_mov_b32_e32 v191, v197
	v_pk_mul_f32 v[196:197], v[180:181], v[200:201] op_sel:[0,1]
	v_pk_add_f32 v[126:127], v[126:127], v[194:195] neg_lo:[0,1] neg_hi:[0,1]
	ds_load_b64 v[194:195], v226 offset:288
	v_pk_fma_f32 v[202:203], v[178:179], v[198:199], v[192:193] op_sel:[0,0,1] op_sel_hi:[1,0,0]
	v_pk_add_f32 v[120:121], v[120:121], v[190:191] neg_lo:[0,1] neg_hi:[0,1]
	v_pk_fma_f32 v[190:191], v[180:181], v[198:199], v[196:197] op_sel:[0,0,1] op_sel_hi:[1,0,0]
	v_pk_fma_f32 v[178:179], v[178:179], v[198:199], v[192:193] op_sel:[0,0,1] op_sel_hi:[1,1,0] neg_lo:[0,0,1] neg_hi:[0,0,1]
	s_wait_dscnt 0x2
	v_dual_mul_f32 v190, v183, v198 :: v_dual_mul_f32 v192, v183, v201
	v_mov_b32_e32 v179, v203
	v_pk_fma_f32 v[180:181], v[180:181], v[198:199], v[196:197] op_sel:[0,0,1] op_sel_hi:[1,1,0] neg_lo:[0,0,1] neg_hi:[0,0,1]
	v_mov_b32_e32 v181, v191
	s_delay_alu instid0(VALU_DEP_4) | instskip(NEXT) | instid1(VALU_DEP_4)
	v_pk_fma_f32 v[190:191], v[182:183], v[78:79], v[190:191] op_sel:[1,0,0] op_sel_hi:[0,1,0]
	v_pk_add_f32 v[124:125], v[124:125], v[178:179] neg_lo:[0,1] neg_hi:[0,1]
	v_pk_mul_f32 v[178:179], v[184:185], v[200:201] op_sel:[0,1]
	s_delay_alu instid0(VALU_DEP_4)
	v_pk_add_f32 v[118:119], v[118:119], v[180:181] neg_lo:[0,1] neg_hi:[0,1]
	v_pk_fma_f32 v[180:181], v[182:183], v[78:79], v[192:193] op_sel_hi:[1,1,0] neg_lo:[0,0,1] neg_hi:[0,0,1]
	v_mov_b32_e32 v181, v191
	s_wait_dscnt 0x1
	v_pk_mul_f32 v[182:183], v[186:187], v[200:201] op_sel:[0,1]
	v_pk_fma_f32 v[190:191], v[184:185], v[198:199], v[178:179] op_sel:[0,0,1] op_sel_hi:[1,0,0]
	v_pk_mul_f32 v[192:193], v[188:189], v[200:201] op_sel:[0,1]
	v_pk_fma_f32 v[178:179], v[184:185], v[198:199], v[178:179] op_sel:[0,0,1] op_sel_hi:[1,1,0] neg_lo:[0,0,1] neg_hi:[0,0,1]
	s_wait_dscnt 0x0
	v_pk_mul_f32 v[184:185], v[194:195], v[200:201] op_sel:[0,1]
	v_pk_fma_f32 v[196:197], v[186:187], v[198:199], v[182:183] op_sel:[0,0,1] op_sel_hi:[1,0,0]
	v_mov_b32_e32 v179, v191
	v_pk_fma_f32 v[190:191], v[188:189], v[198:199], v[192:193] op_sel:[0,0,1] op_sel_hi:[1,0,0]
	v_pk_fma_f32 v[182:183], v[186:187], v[198:199], v[182:183] op_sel:[0,0,1] op_sel_hi:[1,1,0] neg_lo:[0,0,1] neg_hi:[0,0,1]
	v_pk_fma_f32 v[186:187], v[194:195], v[198:199], v[184:185] op_sel:[0,0,1] op_sel_hi:[1,0,0]
	v_pk_fma_f32 v[188:189], v[188:189], v[198:199], v[192:193] op_sel:[0,0,1] op_sel_hi:[1,1,0] neg_lo:[0,0,1] neg_hi:[0,0,1]
	v_pk_fma_f32 v[184:185], v[194:195], v[198:199], v[184:185] op_sel:[0,0,1] op_sel_hi:[1,1,0] neg_lo:[0,0,1] neg_hi:[0,0,1]
	v_dual_mov_b32 v183, v197 :: v_dual_mov_b32 v189, v191
	s_delay_alu instid0(VALU_DEP_4) | instskip(SKIP_2) | instid1(VALU_DEP_4)
	v_mov_b32_e32 v185, v187
	v_pk_add_f32 v[122:123], v[122:123], v[180:181] neg_lo:[0,1] neg_hi:[0,1]
	v_pk_add_f32 v[138:139], v[138:139], v[178:179] neg_lo:[0,1] neg_hi:[0,1]
	;; [unrolled: 1-line block ×5, first 2 shown]
.LBB73_127:
	s_or_b32 exec_lo, exec_lo, s1
	s_delay_alu instid0(SALU_CYCLE_1)
	s_mov_b32 s2, exec_lo
	s_wait_dscnt 0x0
	s_barrier_signal -1
	s_barrier_wait -1
	v_cmpx_eq_u32_e32 14, v224
	s_cbranch_execz .LBB73_134
; %bb.128:
	ds_store_b64 v225, v[92:93]
	ds_store_2addr_b64 v226, v[90:91], v[116:117] offset0:15 offset1:16
	ds_store_2addr_b64 v226, v[88:89], v[114:115] offset0:17 offset1:18
	ds_store_2addr_b64 v226, v[112:113], v[132:133] offset0:19 offset1:20
	ds_store_2addr_b64 v226, v[102:103], v[130:131] offset0:21 offset1:22
	ds_store_2addr_b64 v226, v[128:129], v[144:145] offset0:23 offset1:24
	ds_store_2addr_b64 v226, v[148:149], v[142:143] offset0:25 offset1:26
	ds_store_2addr_b64 v226, v[140:141], v[126:127] offset0:27 offset1:28
	ds_store_2addr_b64 v226, v[120:121], v[124:125] offset0:29 offset1:30
	ds_store_2addr_b64 v226, v[118:119], v[122:123] offset0:31 offset1:32
	ds_store_2addr_b64 v226, v[138:139], v[136:137] offset0:33 offset1:34
	ds_store_2addr_b64 v226, v[134:135], v[146:147] offset0:35 offset1:36
	ds_load_b64 v[178:179], v225
	s_wait_dscnt 0x0
	v_cmp_neq_f32_e32 vcc_lo, 0, v178
	v_cmp_neq_f32_e64 s1, 0, v179
	s_or_b32 s1, vcc_lo, s1
	s_delay_alu instid0(SALU_CYCLE_1)
	s_and_b32 exec_lo, exec_lo, s1
	s_cbranch_execz .LBB73_134
; %bb.129:
	v_cmp_ngt_f32_e64 s1, |v178|, |v179|
                                        ; implicit-def: $vgpr180_vgpr181
	s_and_saveexec_b32 s4, s1
	s_delay_alu instid0(SALU_CYCLE_1)
	s_xor_b32 s1, exec_lo, s4
	s_cbranch_execz .LBB73_131
; %bb.130:
	v_div_scale_f32 v180, null, v179, v179, v178
	v_div_scale_f32 v183, vcc_lo, v178, v179, v178
	s_delay_alu instid0(VALU_DEP_2) | instskip(SKIP_1) | instid1(TRANS32_DEP_1)
	v_rcp_f32_e32 v181, v180
	v_nop
	v_fma_f32 v182, -v180, v181, 1.0
	s_delay_alu instid0(VALU_DEP_1) | instskip(NEXT) | instid1(VALU_DEP_1)
	v_fmac_f32_e32 v181, v182, v181
	v_mul_f32_e32 v182, v183, v181
	s_delay_alu instid0(VALU_DEP_1) | instskip(NEXT) | instid1(VALU_DEP_1)
	v_fma_f32 v184, -v180, v182, v183
	v_fmac_f32_e32 v182, v184, v181
	s_delay_alu instid0(VALU_DEP_1) | instskip(NEXT) | instid1(VALU_DEP_1)
	v_fma_f32 v180, -v180, v182, v183
	v_div_fmas_f32 v180, v180, v181, v182
	s_delay_alu instid0(VALU_DEP_1) | instskip(NEXT) | instid1(VALU_DEP_1)
	v_div_fixup_f32 v180, v180, v179, v178
	v_fmac_f32_e32 v179, v178, v180
	s_delay_alu instid0(VALU_DEP_1) | instskip(SKIP_1) | instid1(VALU_DEP_2)
	v_div_scale_f32 v178, null, v179, v179, 1.0
	v_div_scale_f32 v183, vcc_lo, 1.0, v179, 1.0
	v_rcp_f32_e32 v181, v178
	v_nop
	s_delay_alu instid0(TRANS32_DEP_1) | instskip(NEXT) | instid1(VALU_DEP_1)
	v_fma_f32 v182, -v178, v181, 1.0
	v_fmac_f32_e32 v181, v182, v181
	s_delay_alu instid0(VALU_DEP_1) | instskip(NEXT) | instid1(VALU_DEP_1)
	v_mul_f32_e32 v182, v183, v181
	v_fma_f32 v184, -v178, v182, v183
	s_delay_alu instid0(VALU_DEP_1) | instskip(NEXT) | instid1(VALU_DEP_1)
	v_fmac_f32_e32 v182, v184, v181
	v_fma_f32 v178, -v178, v182, v183
	s_delay_alu instid0(VALU_DEP_1) | instskip(NEXT) | instid1(VALU_DEP_1)
	v_div_fmas_f32 v178, v178, v181, v182
	v_div_fixup_f32 v178, v178, v179, 1.0
	s_delay_alu instid0(VALU_DEP_1)
	v_mul_f32_e32 v180, v180, v178
	v_xor_b32_e32 v181, 0x80000000, v178
                                        ; implicit-def: $vgpr178_vgpr179
.LBB73_131:
	s_and_not1_saveexec_b32 s1, s1
	s_cbranch_execz .LBB73_133
; %bb.132:
	v_div_scale_f32 v180, null, v178, v178, v179
	v_div_scale_f32 v183, vcc_lo, v179, v178, v179
	s_delay_alu instid0(VALU_DEP_2) | instskip(SKIP_1) | instid1(TRANS32_DEP_1)
	v_rcp_f32_e32 v181, v180
	v_nop
	v_fma_f32 v182, -v180, v181, 1.0
	s_delay_alu instid0(VALU_DEP_1) | instskip(NEXT) | instid1(VALU_DEP_1)
	v_fmac_f32_e32 v181, v182, v181
	v_mul_f32_e32 v182, v183, v181
	s_delay_alu instid0(VALU_DEP_1) | instskip(NEXT) | instid1(VALU_DEP_1)
	v_fma_f32 v184, -v180, v182, v183
	v_fmac_f32_e32 v182, v184, v181
	s_delay_alu instid0(VALU_DEP_1) | instskip(NEXT) | instid1(VALU_DEP_1)
	v_fma_f32 v180, -v180, v182, v183
	v_div_fmas_f32 v180, v180, v181, v182
	s_delay_alu instid0(VALU_DEP_1) | instskip(NEXT) | instid1(VALU_DEP_1)
	v_div_fixup_f32 v181, v180, v178, v179
	v_fmac_f32_e32 v178, v179, v181
	s_delay_alu instid0(VALU_DEP_1) | instskip(NEXT) | instid1(VALU_DEP_1)
	v_div_scale_f32 v179, null, v178, v178, 1.0
	v_rcp_f32_e32 v180, v179
	v_nop
	s_delay_alu instid0(TRANS32_DEP_1) | instskip(NEXT) | instid1(VALU_DEP_1)
	v_fma_f32 v182, -v179, v180, 1.0
	v_fmac_f32_e32 v180, v182, v180
	v_div_scale_f32 v182, vcc_lo, 1.0, v178, 1.0
	s_delay_alu instid0(VALU_DEP_1) | instskip(NEXT) | instid1(VALU_DEP_1)
	v_mul_f32_e32 v183, v182, v180
	v_fma_f32 v184, -v179, v183, v182
	s_delay_alu instid0(VALU_DEP_1) | instskip(NEXT) | instid1(VALU_DEP_1)
	v_fmac_f32_e32 v183, v184, v180
	v_fma_f32 v179, -v179, v183, v182
	s_delay_alu instid0(VALU_DEP_1) | instskip(NEXT) | instid1(VALU_DEP_1)
	v_div_fmas_f32 v179, v179, v180, v183
	v_div_fixup_f32 v180, v179, v178, 1.0
	s_delay_alu instid0(VALU_DEP_1)
	v_mul_f32_e64 v181, v181, -v180
.LBB73_133:
	s_or_b32 exec_lo, exec_lo, s1
	ds_store_b64 v225, v[180:181]
.LBB73_134:
	s_or_b32 exec_lo, exec_lo, s2
	s_wait_dscnt 0x0
	s_barrier_signal -1
	s_barrier_wait -1
	ds_load_b64 v[178:179], v225
	s_mov_b32 s1, exec_lo
	v_cmpx_lt_u32_e32 14, v224
	s_cbranch_execz .LBB73_136
; %bb.135:
	ds_load_2addr_b64 v[180:183], v226 offset0:15 offset1:16
	ds_load_2addr_b64 v[184:187], v226 offset0:17 offset1:18
	;; [unrolled: 1-line block ×3, first 2 shown]
	s_wait_dscnt 0x3
	v_pk_mul_f32 v[192:193], v[178:179], v[92:93] op_sel:[1,1] op_sel_hi:[0,1]
	s_delay_alu instid0(VALU_DEP_1)
	v_pk_fma_f32 v[200:201], v[178:179], v[92:93], v[192:193] op_sel_hi:[1,0,1] neg_lo:[0,0,1] neg_hi:[0,0,1]
	v_pk_fma_f32 v[202:203], v[178:179], v[92:93], v[192:193] op_sel_hi:[1,0,1]
	ds_load_2addr_b64 v[192:195], v226 offset0:21 offset1:22
	ds_load_2addr_b64 v[196:199], v226 offset0:23 offset1:24
	v_dual_mov_b32 v92, v200 :: v_dual_mov_b32 v93, v203
	s_wait_dscnt 0x4
	v_pk_mul_f32 v[204:205], v[180:181], v[202:203] op_sel:[0,1]
	v_pk_mul_f32 v[206:207], v[182:183], v[202:203] op_sel:[0,1]
	s_wait_dscnt 0x3
	v_pk_mul_f32 v[208:209], v[184:185], v[202:203] op_sel:[0,1]
	v_dual_mov_b32 v210, v187 :: v_dual_mov_b32 v211, v186
	v_dual_mul_f32 v212, v187, v203 :: v_dual_mul_f32 v214, v187, v200
	s_wait_dscnt 0x2
	v_pk_mul_f32 v[216:217], v[188:189], v[202:203] op_sel:[0,1]
	v_pk_mul_f32 v[218:219], v[190:191], v[202:203] op_sel:[0,1]
	v_pk_fma_f32 v[220:221], v[180:181], v[200:201], v[204:205] op_sel:[0,0,1] op_sel_hi:[1,1,0] neg_lo:[0,0,1] neg_hi:[0,0,1]
	v_pk_fma_f32 v[180:181], v[180:181], v[200:201], v[204:205] op_sel:[0,0,1] op_sel_hi:[1,0,0]
	v_pk_fma_f32 v[204:205], v[182:183], v[200:201], v[206:207] op_sel:[0,0,1] op_sel_hi:[1,1,0] neg_lo:[0,0,1] neg_hi:[0,0,1]
	v_pk_fma_f32 v[182:183], v[182:183], v[200:201], v[206:207] op_sel:[0,0,1] op_sel_hi:[1,0,0]
	;; [unrolled: 2-line block ×3, first 2 shown]
	v_pk_fma_f32 v[208:209], v[210:211], v[92:93], v[214:215] op_sel_hi:[1,1,0]
	v_pk_fma_f32 v[210:211], v[188:189], v[200:201], v[216:217] op_sel:[0,0,1] op_sel_hi:[1,1,0] neg_lo:[0,0,1] neg_hi:[0,0,1]
	v_pk_fma_f32 v[188:189], v[188:189], v[200:201], v[216:217] op_sel:[0,0,1] op_sel_hi:[1,0,0]
	v_dual_mov_b32 v221, v181 :: v_dual_mov_b32 v205, v183
	v_pk_fma_f32 v[180:181], v[190:191], v[200:201], v[218:219] op_sel:[0,0,1] op_sel_hi:[1,0,0]
	v_pk_fma_f32 v[186:187], v[186:187], v[92:93], v[212:213] op_sel_hi:[1,1,0] neg_lo:[0,0,1] neg_hi:[0,0,1]
	v_dual_mov_b32 v207, v185 :: v_dual_mov_b32 v187, v209
	v_mov_b32_e32 v211, v189
	s_wait_dscnt 0x1
	v_pk_mul_f32 v[184:185], v[192:193], v[202:203] op_sel:[0,1]
	v_pk_fma_f32 v[188:189], v[190:191], v[200:201], v[218:219] op_sel:[0,0,1] op_sel_hi:[1,1,0] neg_lo:[0,0,1] neg_hi:[0,0,1]
	v_mov_b32_e32 v189, v181
	ds_load_2addr_b64 v[180:183], v226 offset0:25 offset1:26
	v_pk_add_f32 v[114:115], v[114:115], v[186:187] neg_lo:[0,1] neg_hi:[0,1]
	v_pk_fma_f32 v[190:191], v[192:193], v[200:201], v[184:185] op_sel:[0,0,1] op_sel_hi:[1,0,0]
	v_pk_fma_f32 v[192:193], v[192:193], v[200:201], v[184:185] op_sel:[0,0,1] op_sel_hi:[1,1,0] neg_lo:[0,0,1] neg_hi:[0,0,1]
	ds_load_2addr_b64 v[184:187], v226 offset0:27 offset1:28
	v_pk_add_f32 v[116:117], v[116:117], v[204:205] neg_lo:[0,1] neg_hi:[0,1]
	v_pk_mul_f32 v[204:205], v[194:195], v[202:203] op_sel:[0,1]
	v_pk_add_f32 v[88:89], v[88:89], v[206:207] neg_lo:[0,1] neg_hi:[0,1]
	s_wait_dscnt 0x2
	v_dual_mul_f32 v190, v197, v200 :: v_dual_mov_b32 v193, v191
	v_pk_add_f32 v[132:133], v[132:133], v[188:189] neg_lo:[0,1] neg_hi:[0,1]
	v_pk_fma_f32 v[206:207], v[194:195], v[200:201], v[204:205] op_sel:[0,0,1] op_sel_hi:[1,0,0]
	v_pk_fma_f32 v[194:195], v[194:195], v[200:201], v[204:205] op_sel:[0,0,1] op_sel_hi:[1,1,0] neg_lo:[0,0,1] neg_hi:[0,0,1]
	v_pk_mul_f32 v[204:205], v[198:199], v[202:203] op_sel:[0,1]
	v_mul_f32_e32 v206, v197, v203
	v_pk_fma_f32 v[190:191], v[196:197], v[92:93], v[190:191] op_sel:[1,0,0] op_sel_hi:[0,1,0]
	v_mov_b32_e32 v195, v207
	v_pk_add_f32 v[102:103], v[102:103], v[192:193] neg_lo:[0,1] neg_hi:[0,1]
	v_pk_fma_f32 v[188:189], v[198:199], v[200:201], v[204:205] op_sel:[0,0,1] op_sel_hi:[1,0,0]
	v_pk_fma_f32 v[196:197], v[196:197], v[92:93], v[206:207] op_sel_hi:[1,1,0] neg_lo:[0,0,1] neg_hi:[0,0,1]
	v_pk_fma_f32 v[192:193], v[198:199], v[200:201], v[204:205] op_sel:[0,0,1] op_sel_hi:[1,1,0] neg_lo:[0,0,1] neg_hi:[0,0,1]
	v_mov_b32_e32 v197, v191
	v_pk_add_f32 v[130:131], v[130:131], v[194:195] neg_lo:[0,1] neg_hi:[0,1]
	v_mov_b32_e32 v193, v189
	s_wait_dscnt 0x1
	v_pk_mul_f32 v[194:195], v[180:181], v[202:203] op_sel:[0,1]
	ds_load_2addr_b64 v[188:191], v226 offset0:29 offset1:30
	s_wait_dscnt 0x1
	v_pk_mul_f32 v[198:199], v[184:185], v[202:203] op_sel:[0,1]
	v_pk_add_f32 v[128:129], v[128:129], v[196:197] neg_lo:[0,1] neg_hi:[0,1]
	v_pk_mul_f32 v[196:197], v[182:183], v[202:203] op_sel:[0,1]
	v_pk_add_f32 v[144:145], v[144:145], v[192:193] neg_lo:[0,1] neg_hi:[0,1]
	v_pk_fma_f32 v[204:205], v[180:181], v[200:201], v[194:195] op_sel:[0,0,1] op_sel_hi:[1,0,0]
	v_pk_fma_f32 v[180:181], v[180:181], v[200:201], v[194:195] op_sel:[0,0,1] op_sel_hi:[1,1,0] neg_lo:[0,0,1] neg_hi:[0,0,1]
	ds_load_2addr_b64 v[192:195], v226 offset0:31 offset1:32
	v_pk_fma_f32 v[208:209], v[184:185], v[200:201], v[198:199] op_sel:[0,0,1] op_sel_hi:[1,0,0]
	v_pk_fma_f32 v[206:207], v[182:183], v[200:201], v[196:197] op_sel:[0,0,1] op_sel_hi:[1,0,0]
	v_pk_fma_f32 v[184:185], v[184:185], v[200:201], v[198:199] op_sel:[0,0,1] op_sel_hi:[1,1,0] neg_lo:[0,0,1] neg_hi:[0,0,1]
	v_pk_fma_f32 v[182:183], v[182:183], v[200:201], v[196:197] op_sel:[0,0,1] op_sel_hi:[1,1,0] neg_lo:[0,0,1] neg_hi:[0,0,1]
	s_delay_alu instid0(VALU_DEP_4) | instskip(SKIP_2) | instid1(VALU_DEP_3)
	v_dual_mov_b32 v196, v187 :: v_dual_mov_b32 v185, v209
	v_dual_mov_b32 v197, v186 :: v_dual_mul_f32 v198, v187, v200
	v_dual_mov_b32 v181, v205 :: v_dual_mov_b32 v183, v207
	v_pk_add_f32 v[140:141], v[140:141], v[184:185] neg_lo:[0,1] neg_hi:[0,1]
	v_pk_add_f32 v[112:113], v[112:113], v[210:211] neg_lo:[0,1] neg_hi:[0,1]
	s_delay_alu instid0(VALU_DEP_4)
	v_pk_fma_f32 v[196:197], v[196:197], v[92:93], v[198:199] op_sel_hi:[1,1,0]
	v_mul_f32_e32 v184, v187, v203
	v_pk_add_f32 v[148:149], v[148:149], v[180:181] neg_lo:[0,1] neg_hi:[0,1]
	v_pk_add_f32 v[142:143], v[142:143], v[182:183] neg_lo:[0,1] neg_hi:[0,1]
	s_wait_dscnt 0x1
	v_pk_mul_f32 v[198:199], v[188:189], v[202:203] op_sel:[0,1]
	ds_load_2addr_b64 v[180:183], v226 offset0:33 offset1:34
	v_pk_mul_f32 v[204:205], v[190:191], v[202:203] op_sel:[0,1]
	v_pk_fma_f32 v[206:207], v[186:187], v[92:93], v[184:185] op_sel_hi:[1,1,0] neg_lo:[0,0,1] neg_hi:[0,0,1]
	v_mov_b32_e32 v207, v197
	v_pk_fma_f32 v[196:197], v[188:189], v[200:201], v[198:199] op_sel:[0,0,1] op_sel_hi:[1,0,0]
	s_wait_dscnt 0x1
	v_pk_mul_f32 v[208:209], v[192:193], v[202:203] op_sel:[0,1]
	ds_load_2addr_b64 v[184:187], v226 offset0:35 offset1:36
	v_pk_fma_f32 v[210:211], v[190:191], v[200:201], v[204:205] op_sel:[0,0,1] op_sel_hi:[1,0,0]
	v_pk_fma_f32 v[188:189], v[188:189], v[200:201], v[198:199] op_sel:[0,0,1] op_sel_hi:[1,1,0] neg_lo:[0,0,1] neg_hi:[0,0,1]
	v_mov_b32_e32 v189, v197
	v_pk_fma_f32 v[196:197], v[192:193], v[200:201], v[208:209] op_sel:[0,0,1] op_sel_hi:[1,0,0]
	v_pk_mul_f32 v[198:199], v[194:195], v[202:203] op_sel:[0,1]
	v_pk_fma_f32 v[190:191], v[190:191], v[200:201], v[204:205] op_sel:[0,0,1] op_sel_hi:[1,1,0] neg_lo:[0,0,1] neg_hi:[0,0,1]
	v_mov_b32_e32 v191, v211
	v_pk_fma_f32 v[192:193], v[192:193], v[200:201], v[208:209] op_sel:[0,0,1] op_sel_hi:[1,1,0] neg_lo:[0,0,1] neg_hi:[0,0,1]
	v_pk_add_f32 v[120:121], v[120:121], v[188:189] neg_lo:[0,1] neg_hi:[0,1]
	v_pk_fma_f32 v[188:189], v[194:195], v[200:201], v[198:199] op_sel:[0,0,1] op_sel_hi:[1,0,0]
	v_mov_b32_e32 v193, v197
	v_pk_add_f32 v[124:125], v[124:125], v[190:191] neg_lo:[0,1] neg_hi:[0,1]
	v_pk_fma_f32 v[190:191], v[194:195], v[200:201], v[198:199] op_sel:[0,0,1] op_sel_hi:[1,1,0] neg_lo:[0,0,1] neg_hi:[0,0,1]
	s_wait_dscnt 0x1
	v_mul_f32_e32 v188, v181, v200
	v_mov_b32_e32 v191, v189
	v_pk_add_f32 v[118:119], v[118:119], v[192:193] neg_lo:[0,1] neg_hi:[0,1]
	v_mul_f32_e32 v192, v181, v203
	v_pk_mul_f32 v[194:195], v[182:183], v[202:203] op_sel:[0,1]
	v_pk_fma_f32 v[188:189], v[180:181], v[92:93], v[188:189] op_sel:[1,0,0] op_sel_hi:[0,1,0]
	s_wait_dscnt 0x0
	v_pk_mul_f32 v[196:197], v[184:185], v[202:203] op_sel:[0,1]
	v_pk_add_f32 v[90:91], v[90:91], v[220:221] neg_lo:[0,1] neg_hi:[0,1]
	v_pk_fma_f32 v[180:181], v[180:181], v[92:93], v[192:193] op_sel_hi:[1,1,0] neg_lo:[0,0,1] neg_hi:[0,0,1]
	v_pk_mul_f32 v[192:193], v[186:187], v[202:203] op_sel:[0,1]
	v_pk_fma_f32 v[198:199], v[182:183], v[200:201], v[194:195] op_sel:[0,0,1] op_sel_hi:[1,0,0]
	v_mov_b32_e32 v181, v189
	v_pk_fma_f32 v[188:189], v[184:185], v[200:201], v[196:197] op_sel:[0,0,1] op_sel_hi:[1,0,0]
	v_pk_fma_f32 v[182:183], v[182:183], v[200:201], v[194:195] op_sel:[0,0,1] op_sel_hi:[1,1,0] neg_lo:[0,0,1] neg_hi:[0,0,1]
	v_pk_fma_f32 v[194:195], v[186:187], v[200:201], v[192:193] op_sel:[0,0,1] op_sel_hi:[1,0,0]
	v_pk_fma_f32 v[184:185], v[184:185], v[200:201], v[196:197] op_sel:[0,0,1] op_sel_hi:[1,1,0] neg_lo:[0,0,1] neg_hi:[0,0,1]
	v_pk_fma_f32 v[186:187], v[186:187], v[200:201], v[192:193] op_sel:[0,0,1] op_sel_hi:[1,1,0] neg_lo:[0,0,1] neg_hi:[0,0,1]
	v_dual_mov_b32 v183, v199 :: v_dual_mov_b32 v185, v189
	s_delay_alu instid0(VALU_DEP_4)
	v_mov_b32_e32 v187, v195
	v_pk_add_f32 v[126:127], v[126:127], v[206:207] neg_lo:[0,1] neg_hi:[0,1]
	v_pk_add_f32 v[122:123], v[122:123], v[190:191] neg_lo:[0,1] neg_hi:[0,1]
	;; [unrolled: 1-line block ×6, first 2 shown]
.LBB73_136:
	s_or_b32 exec_lo, exec_lo, s1
	s_delay_alu instid0(SALU_CYCLE_1)
	s_mov_b32 s2, exec_lo
	s_wait_dscnt 0x0
	s_barrier_signal -1
	s_barrier_wait -1
	v_cmpx_eq_u32_e32 15, v224
	s_cbranch_execz .LBB73_143
; %bb.137:
	v_dual_mov_b32 v180, v116 :: v_dual_mov_b32 v181, v117
	v_dual_mov_b32 v182, v88 :: v_dual_mov_b32 v183, v89
	;; [unrolled: 1-line block ×8, first 2 shown]
	ds_store_b64 v225, v[90:91]
	ds_store_2addr_b64 v226, v[180:181], v[182:183] offset0:16 offset1:17
	ds_store_2addr_b64 v226, v[184:185], v[186:187] offset0:18 offset1:19
	;; [unrolled: 1-line block ×4, first 2 shown]
	v_dual_mov_b32 v180, v144 :: v_dual_mov_b32 v181, v145
	v_dual_mov_b32 v182, v148 :: v_dual_mov_b32 v183, v149
	;; [unrolled: 1-line block ×12, first 2 shown]
	ds_store_2addr_b64 v226, v[180:181], v[182:183] offset0:24 offset1:25
	ds_store_2addr_b64 v226, v[184:185], v[186:187] offset0:26 offset1:27
	;; [unrolled: 1-line block ×6, first 2 shown]
	ds_store_b64 v226, v[146:147] offset:288
	ds_load_b64 v[180:181], v225
	s_wait_dscnt 0x0
	v_cmp_neq_f32_e32 vcc_lo, 0, v180
	v_cmp_neq_f32_e64 s1, 0, v181
	s_or_b32 s1, vcc_lo, s1
	s_delay_alu instid0(SALU_CYCLE_1)
	s_and_b32 exec_lo, exec_lo, s1
	s_cbranch_execz .LBB73_143
; %bb.138:
	v_cmp_ngt_f32_e64 s1, |v180|, |v181|
                                        ; implicit-def: $vgpr182_vgpr183
	s_and_saveexec_b32 s4, s1
	s_delay_alu instid0(SALU_CYCLE_1)
	s_xor_b32 s1, exec_lo, s4
	s_cbranch_execz .LBB73_140
; %bb.139:
	v_div_scale_f32 v182, null, v181, v181, v180
	v_div_scale_f32 v185, vcc_lo, v180, v181, v180
	s_delay_alu instid0(VALU_DEP_2) | instskip(SKIP_1) | instid1(TRANS32_DEP_1)
	v_rcp_f32_e32 v183, v182
	v_nop
	v_fma_f32 v184, -v182, v183, 1.0
	s_delay_alu instid0(VALU_DEP_1) | instskip(NEXT) | instid1(VALU_DEP_1)
	v_fmac_f32_e32 v183, v184, v183
	v_mul_f32_e32 v184, v185, v183
	s_delay_alu instid0(VALU_DEP_1) | instskip(NEXT) | instid1(VALU_DEP_1)
	v_fma_f32 v186, -v182, v184, v185
	v_fmac_f32_e32 v184, v186, v183
	s_delay_alu instid0(VALU_DEP_1) | instskip(NEXT) | instid1(VALU_DEP_1)
	v_fma_f32 v182, -v182, v184, v185
	v_div_fmas_f32 v182, v182, v183, v184
	s_delay_alu instid0(VALU_DEP_1) | instskip(NEXT) | instid1(VALU_DEP_1)
	v_div_fixup_f32 v182, v182, v181, v180
	v_fmac_f32_e32 v181, v180, v182
	s_delay_alu instid0(VALU_DEP_1) | instskip(SKIP_1) | instid1(VALU_DEP_2)
	v_div_scale_f32 v180, null, v181, v181, 1.0
	v_div_scale_f32 v185, vcc_lo, 1.0, v181, 1.0
	v_rcp_f32_e32 v183, v180
	v_nop
	s_delay_alu instid0(TRANS32_DEP_1) | instskip(NEXT) | instid1(VALU_DEP_1)
	v_fma_f32 v184, -v180, v183, 1.0
	v_fmac_f32_e32 v183, v184, v183
	s_delay_alu instid0(VALU_DEP_1) | instskip(NEXT) | instid1(VALU_DEP_1)
	v_mul_f32_e32 v184, v185, v183
	v_fma_f32 v186, -v180, v184, v185
	s_delay_alu instid0(VALU_DEP_1) | instskip(NEXT) | instid1(VALU_DEP_1)
	v_fmac_f32_e32 v184, v186, v183
	v_fma_f32 v180, -v180, v184, v185
	s_delay_alu instid0(VALU_DEP_1) | instskip(NEXT) | instid1(VALU_DEP_1)
	v_div_fmas_f32 v180, v180, v183, v184
	v_div_fixup_f32 v180, v180, v181, 1.0
	s_delay_alu instid0(VALU_DEP_1)
	v_mul_f32_e32 v182, v182, v180
	v_xor_b32_e32 v183, 0x80000000, v180
                                        ; implicit-def: $vgpr180_vgpr181
.LBB73_140:
	s_and_not1_saveexec_b32 s1, s1
	s_cbranch_execz .LBB73_142
; %bb.141:
	v_div_scale_f32 v182, null, v180, v180, v181
	v_div_scale_f32 v185, vcc_lo, v181, v180, v181
	s_delay_alu instid0(VALU_DEP_2) | instskip(SKIP_1) | instid1(TRANS32_DEP_1)
	v_rcp_f32_e32 v183, v182
	v_nop
	v_fma_f32 v184, -v182, v183, 1.0
	s_delay_alu instid0(VALU_DEP_1) | instskip(NEXT) | instid1(VALU_DEP_1)
	v_fmac_f32_e32 v183, v184, v183
	v_mul_f32_e32 v184, v185, v183
	s_delay_alu instid0(VALU_DEP_1) | instskip(NEXT) | instid1(VALU_DEP_1)
	v_fma_f32 v186, -v182, v184, v185
	v_fmac_f32_e32 v184, v186, v183
	s_delay_alu instid0(VALU_DEP_1) | instskip(NEXT) | instid1(VALU_DEP_1)
	v_fma_f32 v182, -v182, v184, v185
	v_div_fmas_f32 v182, v182, v183, v184
	s_delay_alu instid0(VALU_DEP_1) | instskip(NEXT) | instid1(VALU_DEP_1)
	v_div_fixup_f32 v183, v182, v180, v181
	v_fmac_f32_e32 v180, v181, v183
	s_delay_alu instid0(VALU_DEP_1) | instskip(NEXT) | instid1(VALU_DEP_1)
	v_div_scale_f32 v181, null, v180, v180, 1.0
	v_rcp_f32_e32 v182, v181
	v_nop
	s_delay_alu instid0(TRANS32_DEP_1) | instskip(NEXT) | instid1(VALU_DEP_1)
	v_fma_f32 v184, -v181, v182, 1.0
	v_fmac_f32_e32 v182, v184, v182
	v_div_scale_f32 v184, vcc_lo, 1.0, v180, 1.0
	s_delay_alu instid0(VALU_DEP_1) | instskip(NEXT) | instid1(VALU_DEP_1)
	v_mul_f32_e32 v185, v184, v182
	v_fma_f32 v186, -v181, v185, v184
	s_delay_alu instid0(VALU_DEP_1) | instskip(NEXT) | instid1(VALU_DEP_1)
	v_fmac_f32_e32 v185, v186, v182
	v_fma_f32 v181, -v181, v185, v184
	s_delay_alu instid0(VALU_DEP_1) | instskip(NEXT) | instid1(VALU_DEP_1)
	v_div_fmas_f32 v181, v181, v182, v185
	v_div_fixup_f32 v182, v181, v180, 1.0
	s_delay_alu instid0(VALU_DEP_1)
	v_mul_f32_e64 v183, v183, -v182
.LBB73_142:
	s_or_b32 exec_lo, exec_lo, s1
	ds_store_b64 v225, v[182:183]
.LBB73_143:
	s_or_b32 exec_lo, exec_lo, s2
	s_wait_dscnt 0x0
	s_barrier_signal -1
	s_barrier_wait -1
	ds_load_b64 v[180:181], v225
	s_mov_b32 s1, exec_lo
	v_cmpx_lt_u32_e32 15, v224
	s_cbranch_execz .LBB73_145
; %bb.144:
	ds_load_2addr_b64 v[182:185], v226 offset0:16 offset1:17
	ds_load_2addr_b64 v[186:189], v226 offset0:18 offset1:19
	;; [unrolled: 1-line block ×3, first 2 shown]
	s_wait_dscnt 0x3
	v_pk_mul_f32 v[194:195], v[180:181], v[90:91] op_sel:[1,1] op_sel_hi:[0,1]
	s_delay_alu instid0(VALU_DEP_1)
	v_pk_fma_f32 v[204:205], v[180:181], v[90:91], v[194:195] op_sel_hi:[1,0,1]
	v_pk_fma_f32 v[202:203], v[180:181], v[90:91], v[194:195] op_sel_hi:[1,0,1] neg_lo:[0,0,1] neg_hi:[0,0,1]
	ds_load_2addr_b64 v[194:197], v226 offset0:22 offset1:23
	ds_load_2addr_b64 v[198:201], v226 offset0:24 offset1:25
	v_dual_mov_b32 v91, v205 :: v_dual_mov_b32 v90, v202
	s_wait_dscnt 0x4
	v_pk_mul_f32 v[206:207], v[182:183], v[204:205] op_sel:[0,1]
	v_pk_mul_f32 v[208:209], v[184:185], v[204:205] op_sel:[0,1]
	s_wait_dscnt 0x3
	v_pk_mul_f32 v[210:211], v[186:187], v[204:205] op_sel:[0,1]
	s_wait_dscnt 0x2
	v_pk_mul_f32 v[218:219], v[190:191], v[204:205] op_sel:[0,1]
	v_dual_mov_b32 v212, v189 :: v_dual_mov_b32 v213, v188
	v_pk_fma_f32 v[222:223], v[182:183], v[202:203], v[206:207] op_sel:[0,0,1] op_sel_hi:[1,1,0] neg_lo:[0,0,1] neg_hi:[0,0,1]
	v_pk_fma_f32 v[182:183], v[182:183], v[202:203], v[206:207] op_sel:[0,0,1] op_sel_hi:[1,0,0]
	v_dual_mul_f32 v214, v189, v205 :: v_dual_mul_f32 v216, v189, v202
	v_pk_mul_f32 v[220:221], v[192:193], v[204:205] op_sel:[0,1]
	v_pk_fma_f32 v[206:207], v[184:185], v[202:203], v[208:209] op_sel:[0,0,1] op_sel_hi:[1,1,0] neg_lo:[0,0,1] neg_hi:[0,0,1]
	v_pk_fma_f32 v[184:185], v[184:185], v[202:203], v[208:209] op_sel:[0,0,1] op_sel_hi:[1,0,0]
	v_pk_fma_f32 v[208:209], v[186:187], v[202:203], v[210:211] op_sel:[0,0,1] op_sel_hi:[1,1,0] neg_lo:[0,0,1] neg_hi:[0,0,1]
	v_pk_fma_f32 v[186:187], v[186:187], v[202:203], v[210:211] op_sel:[0,0,1] op_sel_hi:[1,0,0]
	v_mov_b32_e32 v223, v183
	v_pk_fma_f32 v[182:183], v[190:191], v[202:203], v[218:219] op_sel:[0,0,1] op_sel_hi:[1,0,0]
	v_pk_fma_f32 v[210:211], v[212:213], v[90:91], v[216:217] op_sel_hi:[1,1,0]
	v_pk_fma_f32 v[212:213], v[190:191], v[202:203], v[218:219] op_sel:[0,0,1] op_sel_hi:[1,1,0] neg_lo:[0,0,1] neg_hi:[0,0,1]
	v_dual_mov_b32 v207, v185 :: v_dual_mov_b32 v209, v187
	v_pk_fma_f32 v[186:187], v[192:193], v[202:203], v[220:221] op_sel:[0,0,1] op_sel_hi:[1,0,0]
	v_mov_b32_e32 v213, v183
	s_wait_dscnt 0x1
	v_pk_mul_f32 v[190:191], v[194:195], v[204:205] op_sel:[0,1]
	ds_load_2addr_b64 v[182:185], v226 offset0:26 offset1:27
	v_pk_fma_f32 v[188:189], v[188:189], v[90:91], v[214:215] op_sel_hi:[1,1,0] neg_lo:[0,0,1] neg_hi:[0,0,1]
	v_pk_fma_f32 v[192:193], v[192:193], v[202:203], v[220:221] op_sel:[0,0,1] op_sel_hi:[1,1,0] neg_lo:[0,0,1] neg_hi:[0,0,1]
	v_mov_b32_e32 v189, v211
	v_pk_add_f32 v[88:89], v[88:89], v[206:207] neg_lo:[0,1] neg_hi:[0,1]
	v_mov_b32_e32 v193, v187
	v_pk_mul_f32 v[206:207], v[196:197], v[204:205] op_sel:[0,1]
	v_pk_fma_f32 v[186:187], v[194:195], v[202:203], v[190:191] op_sel:[0,0,1] op_sel_hi:[1,0,0]
	v_pk_fma_f32 v[190:191], v[194:195], v[202:203], v[190:191] op_sel:[0,0,1] op_sel_hi:[1,1,0] neg_lo:[0,0,1] neg_hi:[0,0,1]
	v_pk_add_f32 v[112:113], v[112:113], v[188:189] neg_lo:[0,1] neg_hi:[0,1]
	v_pk_add_f32 v[102:103], v[102:103], v[192:193] neg_lo:[0,1] neg_hi:[0,1]
	v_pk_fma_f32 v[192:193], v[196:197], v[202:203], v[206:207] op_sel:[0,0,1] op_sel_hi:[1,0,0]
	v_mov_b32_e32 v191, v187
	ds_load_2addr_b64 v[186:189], v226 offset0:28 offset1:29
	v_pk_fma_f32 v[194:195], v[196:197], v[202:203], v[206:207] op_sel:[0,0,1] op_sel_hi:[1,1,0] neg_lo:[0,0,1] neg_hi:[0,0,1]
	s_wait_dscnt 0x2
	v_dual_mul_f32 v192, v199, v202 :: v_dual_mul_f32 v196, v199, v205
	v_mov_b32_e32 v195, v193
	v_pk_add_f32 v[130:131], v[130:131], v[190:191] neg_lo:[0,1] neg_hi:[0,1]
	v_pk_mul_f32 v[190:191], v[200:201], v[204:205] op_sel:[0,1]
	s_delay_alu instid0(VALU_DEP_4)
	v_pk_fma_f32 v[192:193], v[198:199], v[90:91], v[192:193] op_sel:[1,0,0] op_sel_hi:[0,1,0]
	v_pk_fma_f32 v[196:197], v[198:199], v[90:91], v[196:197] op_sel_hi:[1,1,0] neg_lo:[0,0,1] neg_hi:[0,0,1]
	v_pk_add_f32 v[128:129], v[128:129], v[194:195] neg_lo:[0,1] neg_hi:[0,1]
	s_wait_dscnt 0x1
	v_pk_mul_f32 v[194:195], v[182:183], v[204:205] op_sel:[0,1]
	v_pk_fma_f32 v[206:207], v[200:201], v[202:203], v[190:191] op_sel:[0,0,1] op_sel_hi:[1,0,0]
	v_mov_b32_e32 v197, v193
	v_pk_fma_f32 v[198:199], v[200:201], v[202:203], v[190:191] op_sel:[0,0,1] op_sel_hi:[1,1,0] neg_lo:[0,0,1] neg_hi:[0,0,1]
	ds_load_2addr_b64 v[190:193], v226 offset0:30 offset1:31
	v_pk_fma_f32 v[200:201], v[182:183], v[202:203], v[194:195] op_sel:[0,0,1] op_sel_hi:[1,0,0]
	v_pk_fma_f32 v[182:183], v[182:183], v[202:203], v[194:195] op_sel:[0,0,1] op_sel_hi:[1,1,0] neg_lo:[0,0,1] neg_hi:[0,0,1]
	v_pk_mul_f32 v[194:195], v[184:185], v[204:205] op_sel:[0,1]
	v_mov_b32_e32 v199, v207
	v_pk_add_f32 v[144:145], v[144:145], v[196:197] neg_lo:[0,1] neg_hi:[0,1]
	v_pk_add_f32 v[114:115], v[114:115], v[208:209] neg_lo:[0,1] neg_hi:[0,1]
	;; [unrolled: 1-line block ×3, first 2 shown]
	v_pk_fma_f32 v[196:197], v[184:185], v[202:203], v[194:195] op_sel:[0,0,1] op_sel_hi:[1,0,0]
	v_mov_b32_e32 v183, v201
	s_wait_dscnt 0x1
	v_pk_mul_f32 v[200:201], v[186:187], v[204:205] op_sel:[0,1]
	v_pk_fma_f32 v[194:195], v[184:185], v[202:203], v[194:195] op_sel:[0,0,1] op_sel_hi:[1,1,0] neg_lo:[0,0,1] neg_hi:[0,0,1]
	v_pk_add_f32 v[148:149], v[148:149], v[198:199] neg_lo:[0,1] neg_hi:[0,1]
	v_mov_b32_e32 v195, v197
	v_pk_add_f32 v[142:143], v[142:143], v[182:183] neg_lo:[0,1] neg_hi:[0,1]
	v_pk_fma_f32 v[198:199], v[186:187], v[202:203], v[200:201] op_sel:[0,0,1] op_sel_hi:[1,0,0]
	ds_load_2addr_b64 v[182:185], v226 offset0:32 offset1:33
	v_pk_fma_f32 v[186:187], v[186:187], v[202:203], v[200:201] op_sel:[0,0,1] op_sel_hi:[1,1,0] neg_lo:[0,0,1] neg_hi:[0,0,1]
	v_dual_mov_b32 v196, v189 :: v_dual_mov_b32 v197, v188
	v_dual_mul_f32 v198, v189, v202 :: v_dual_mov_b32 v187, v199
	v_pk_add_f32 v[140:141], v[140:141], v[194:195] neg_lo:[0,1] neg_hi:[0,1]
	ds_load_b64 v[208:209], v226 offset:288
	s_wait_dscnt 0x2
	v_pk_mul_f32 v[200:201], v[190:191], v[204:205] op_sel:[0,1]
	v_pk_fma_f32 v[198:199], v[196:197], v[90:91], v[198:199] op_sel_hi:[1,1,0]
	ds_load_2addr_b64 v[194:197], v226 offset0:34 offset1:35
	v_pk_add_f32 v[126:127], v[126:127], v[186:187] neg_lo:[0,1] neg_hi:[0,1]
	v_mul_f32_e32 v186, v189, v205
	v_pk_mul_f32 v[206:207], v[192:193], v[204:205] op_sel:[0,1]
	v_pk_add_f32 v[132:133], v[132:133], v[212:213] neg_lo:[0,1] neg_hi:[0,1]
	s_delay_alu instid0(VALU_DEP_3)
	v_pk_fma_f32 v[186:187], v[188:189], v[90:91], v[186:187] op_sel_hi:[1,1,0] neg_lo:[0,0,1] neg_hi:[0,0,1]
	v_pk_fma_f32 v[188:189], v[190:191], v[202:203], v[200:201] op_sel:[0,0,1] op_sel_hi:[1,0,0]
	v_mov_b32_e32 v187, v199
	v_pk_fma_f32 v[198:199], v[192:193], v[202:203], v[206:207] op_sel:[0,0,1] op_sel_hi:[1,0,0]
	v_pk_fma_f32 v[190:191], v[190:191], v[202:203], v[200:201] op_sel:[0,0,1] op_sel_hi:[1,1,0] neg_lo:[0,0,1] neg_hi:[0,0,1]
	s_wait_dscnt 0x2
	v_pk_mul_f32 v[200:201], v[182:183], v[204:205] op_sel:[0,1]
	v_mov_b32_e32 v191, v189
	v_pk_fma_f32 v[188:189], v[192:193], v[202:203], v[206:207] op_sel:[0,0,1] op_sel_hi:[1,1,0] neg_lo:[0,0,1] neg_hi:[0,0,1]
	v_mov_b32_e32 v189, v199
	v_pk_add_f32 v[120:121], v[120:121], v[186:187] neg_lo:[0,1] neg_hi:[0,1]
	v_pk_fma_f32 v[186:187], v[182:183], v[202:203], v[200:201] op_sel:[0,0,1] op_sel_hi:[1,0,0]
	v_pk_mul_f32 v[192:193], v[184:185], v[204:205] op_sel:[0,1]
	v_pk_fma_f32 v[182:183], v[182:183], v[202:203], v[200:201] op_sel:[0,0,1] op_sel_hi:[1,1,0] neg_lo:[0,0,1] neg_hi:[0,0,1]
	v_pk_add_f32 v[118:119], v[118:119], v[188:189] neg_lo:[0,1] neg_hi:[0,1]
	s_wait_dscnt 0x0
	v_mul_f32_e32 v188, v195, v202
	v_mov_b32_e32 v183, v187
	v_pk_fma_f32 v[186:187], v[184:185], v[202:203], v[192:193] op_sel:[0,0,1] op_sel_hi:[1,1,0] neg_lo:[0,0,1] neg_hi:[0,0,1]
	v_pk_fma_f32 v[184:185], v[184:185], v[202:203], v[192:193] op_sel:[0,0,1] op_sel_hi:[1,0,0]
	v_pk_add_f32 v[124:125], v[124:125], v[190:191] neg_lo:[0,1] neg_hi:[0,1]
	v_pk_mul_f32 v[190:191], v[196:197], v[204:205] op_sel:[0,1]
	v_mul_f32_e32 v184, v195, v205
	v_pk_mul_f32 v[192:193], v[208:209], v[204:205] op_sel:[0,1]
	v_pk_fma_f32 v[188:189], v[194:195], v[90:91], v[188:189] op_sel:[1,0,0] op_sel_hi:[0,1,0]
	v_mov_b32_e32 v187, v185
	v_pk_fma_f32 v[198:199], v[196:197], v[202:203], v[190:191] op_sel:[0,0,1] op_sel_hi:[1,0,0]
	v_pk_fma_f32 v[184:185], v[194:195], v[90:91], v[184:185] op_sel_hi:[1,1,0] neg_lo:[0,0,1] neg_hi:[0,0,1]
	v_pk_fma_f32 v[194:195], v[208:209], v[202:203], v[192:193] op_sel:[0,0,1] op_sel_hi:[1,0,0]
	v_mov_b32_e32 v185, v189
	v_pk_fma_f32 v[188:189], v[196:197], v[202:203], v[190:191] op_sel:[0,0,1] op_sel_hi:[1,1,0] neg_lo:[0,0,1] neg_hi:[0,0,1]
	v_pk_fma_f32 v[190:191], v[208:209], v[202:203], v[192:193] op_sel:[0,0,1] op_sel_hi:[1,1,0] neg_lo:[0,0,1] neg_hi:[0,0,1]
	s_delay_alu instid0(VALU_DEP_4) | instskip(SKIP_3) | instid1(VALU_DEP_4)
	v_dual_mov_b32 v189, v199 :: v_dual_mov_b32 v191, v195
	v_pk_add_f32 v[122:123], v[122:123], v[182:183] neg_lo:[0,1] neg_hi:[0,1]
	v_pk_add_f32 v[138:139], v[138:139], v[186:187] neg_lo:[0,1] neg_hi:[0,1]
	;; [unrolled: 1-line block ×5, first 2 shown]
.LBB73_145:
	s_or_b32 exec_lo, exec_lo, s1
	s_delay_alu instid0(SALU_CYCLE_1)
	s_mov_b32 s2, exec_lo
	s_wait_dscnt 0x0
	s_barrier_signal -1
	s_barrier_wait -1
	v_cmpx_eq_u32_e32 16, v224
	s_cbranch_execz .LBB73_152
; %bb.146:
	ds_store_b64 v225, v[116:117]
	ds_store_2addr_b64 v226, v[88:89], v[114:115] offset0:17 offset1:18
	ds_store_2addr_b64 v226, v[112:113], v[132:133] offset0:19 offset1:20
	ds_store_2addr_b64 v226, v[102:103], v[130:131] offset0:21 offset1:22
	ds_store_2addr_b64 v226, v[128:129], v[144:145] offset0:23 offset1:24
	ds_store_2addr_b64 v226, v[148:149], v[142:143] offset0:25 offset1:26
	ds_store_2addr_b64 v226, v[140:141], v[126:127] offset0:27 offset1:28
	ds_store_2addr_b64 v226, v[120:121], v[124:125] offset0:29 offset1:30
	ds_store_2addr_b64 v226, v[118:119], v[122:123] offset0:31 offset1:32
	ds_store_2addr_b64 v226, v[138:139], v[136:137] offset0:33 offset1:34
	ds_store_2addr_b64 v226, v[134:135], v[146:147] offset0:35 offset1:36
	ds_load_b64 v[182:183], v225
	s_wait_dscnt 0x0
	v_cmp_neq_f32_e32 vcc_lo, 0, v182
	v_cmp_neq_f32_e64 s1, 0, v183
	s_or_b32 s1, vcc_lo, s1
	s_delay_alu instid0(SALU_CYCLE_1)
	s_and_b32 exec_lo, exec_lo, s1
	s_cbranch_execz .LBB73_152
; %bb.147:
	v_cmp_ngt_f32_e64 s1, |v182|, |v183|
                                        ; implicit-def: $vgpr184_vgpr185
	s_and_saveexec_b32 s4, s1
	s_delay_alu instid0(SALU_CYCLE_1)
	s_xor_b32 s1, exec_lo, s4
	s_cbranch_execz .LBB73_149
; %bb.148:
	v_div_scale_f32 v184, null, v183, v183, v182
	v_div_scale_f32 v187, vcc_lo, v182, v183, v182
	s_delay_alu instid0(VALU_DEP_2) | instskip(SKIP_1) | instid1(TRANS32_DEP_1)
	v_rcp_f32_e32 v185, v184
	v_nop
	v_fma_f32 v186, -v184, v185, 1.0
	s_delay_alu instid0(VALU_DEP_1) | instskip(NEXT) | instid1(VALU_DEP_1)
	v_fmac_f32_e32 v185, v186, v185
	v_mul_f32_e32 v186, v187, v185
	s_delay_alu instid0(VALU_DEP_1) | instskip(NEXT) | instid1(VALU_DEP_1)
	v_fma_f32 v188, -v184, v186, v187
	v_fmac_f32_e32 v186, v188, v185
	s_delay_alu instid0(VALU_DEP_1) | instskip(NEXT) | instid1(VALU_DEP_1)
	v_fma_f32 v184, -v184, v186, v187
	v_div_fmas_f32 v184, v184, v185, v186
	s_delay_alu instid0(VALU_DEP_1) | instskip(NEXT) | instid1(VALU_DEP_1)
	v_div_fixup_f32 v184, v184, v183, v182
	v_fmac_f32_e32 v183, v182, v184
	s_delay_alu instid0(VALU_DEP_1) | instskip(SKIP_1) | instid1(VALU_DEP_2)
	v_div_scale_f32 v182, null, v183, v183, 1.0
	v_div_scale_f32 v187, vcc_lo, 1.0, v183, 1.0
	v_rcp_f32_e32 v185, v182
	v_nop
	s_delay_alu instid0(TRANS32_DEP_1) | instskip(NEXT) | instid1(VALU_DEP_1)
	v_fma_f32 v186, -v182, v185, 1.0
	v_fmac_f32_e32 v185, v186, v185
	s_delay_alu instid0(VALU_DEP_1) | instskip(NEXT) | instid1(VALU_DEP_1)
	v_mul_f32_e32 v186, v187, v185
	v_fma_f32 v188, -v182, v186, v187
	s_delay_alu instid0(VALU_DEP_1) | instskip(NEXT) | instid1(VALU_DEP_1)
	v_fmac_f32_e32 v186, v188, v185
	v_fma_f32 v182, -v182, v186, v187
	s_delay_alu instid0(VALU_DEP_1) | instskip(NEXT) | instid1(VALU_DEP_1)
	v_div_fmas_f32 v182, v182, v185, v186
	v_div_fixup_f32 v182, v182, v183, 1.0
	s_delay_alu instid0(VALU_DEP_1)
	v_mul_f32_e32 v184, v184, v182
	v_xor_b32_e32 v185, 0x80000000, v182
                                        ; implicit-def: $vgpr182_vgpr183
.LBB73_149:
	s_and_not1_saveexec_b32 s1, s1
	s_cbranch_execz .LBB73_151
; %bb.150:
	v_div_scale_f32 v184, null, v182, v182, v183
	v_div_scale_f32 v187, vcc_lo, v183, v182, v183
	s_delay_alu instid0(VALU_DEP_2) | instskip(SKIP_1) | instid1(TRANS32_DEP_1)
	v_rcp_f32_e32 v185, v184
	v_nop
	v_fma_f32 v186, -v184, v185, 1.0
	s_delay_alu instid0(VALU_DEP_1) | instskip(NEXT) | instid1(VALU_DEP_1)
	v_fmac_f32_e32 v185, v186, v185
	v_mul_f32_e32 v186, v187, v185
	s_delay_alu instid0(VALU_DEP_1) | instskip(NEXT) | instid1(VALU_DEP_1)
	v_fma_f32 v188, -v184, v186, v187
	v_fmac_f32_e32 v186, v188, v185
	s_delay_alu instid0(VALU_DEP_1) | instskip(NEXT) | instid1(VALU_DEP_1)
	v_fma_f32 v184, -v184, v186, v187
	v_div_fmas_f32 v184, v184, v185, v186
	s_delay_alu instid0(VALU_DEP_1) | instskip(NEXT) | instid1(VALU_DEP_1)
	v_div_fixup_f32 v185, v184, v182, v183
	v_fmac_f32_e32 v182, v183, v185
	s_delay_alu instid0(VALU_DEP_1) | instskip(NEXT) | instid1(VALU_DEP_1)
	v_div_scale_f32 v183, null, v182, v182, 1.0
	v_rcp_f32_e32 v184, v183
	v_nop
	s_delay_alu instid0(TRANS32_DEP_1) | instskip(NEXT) | instid1(VALU_DEP_1)
	v_fma_f32 v186, -v183, v184, 1.0
	v_fmac_f32_e32 v184, v186, v184
	v_div_scale_f32 v186, vcc_lo, 1.0, v182, 1.0
	s_delay_alu instid0(VALU_DEP_1) | instskip(NEXT) | instid1(VALU_DEP_1)
	v_mul_f32_e32 v187, v186, v184
	v_fma_f32 v188, -v183, v187, v186
	s_delay_alu instid0(VALU_DEP_1) | instskip(NEXT) | instid1(VALU_DEP_1)
	v_fmac_f32_e32 v187, v188, v184
	v_fma_f32 v183, -v183, v187, v186
	s_delay_alu instid0(VALU_DEP_1) | instskip(NEXT) | instid1(VALU_DEP_1)
	v_div_fmas_f32 v183, v183, v184, v187
	v_div_fixup_f32 v184, v183, v182, 1.0
	s_delay_alu instid0(VALU_DEP_1)
	v_mul_f32_e64 v185, v185, -v184
.LBB73_151:
	s_or_b32 exec_lo, exec_lo, s1
	ds_store_b64 v225, v[184:185]
.LBB73_152:
	s_or_b32 exec_lo, exec_lo, s2
	s_wait_dscnt 0x0
	s_barrier_signal -1
	s_barrier_wait -1
	ds_load_b64 v[182:183], v225
	s_mov_b32 s1, exec_lo
	v_cmpx_lt_u32_e32 16, v224
	s_cbranch_execz .LBB73_154
; %bb.153:
	ds_load_2addr_b64 v[184:187], v226 offset0:17 offset1:18
	ds_load_2addr_b64 v[188:191], v226 offset0:19 offset1:20
	;; [unrolled: 1-line block ×3, first 2 shown]
	s_wait_dscnt 0x3
	v_pk_mul_f32 v[196:197], v[182:183], v[116:117] op_sel:[1,1] op_sel_hi:[0,1]
	s_delay_alu instid0(VALU_DEP_1)
	v_pk_fma_f32 v[204:205], v[182:183], v[116:117], v[196:197] op_sel_hi:[1,0,1] neg_lo:[0,0,1] neg_hi:[0,0,1]
	v_pk_fma_f32 v[206:207], v[182:183], v[116:117], v[196:197] op_sel_hi:[1,0,1]
	ds_load_2addr_b64 v[196:199], v226 offset0:23 offset1:24
	ds_load_2addr_b64 v[200:203], v226 offset0:25 offset1:26
	v_dual_mov_b32 v116, v204 :: v_dual_mov_b32 v117, v207
	s_wait_dscnt 0x4
	v_pk_mul_f32 v[208:209], v[184:185], v[206:207] op_sel:[0,1]
	v_pk_mul_f32 v[210:211], v[186:187], v[206:207] op_sel:[0,1]
	s_wait_dscnt 0x3
	v_pk_mul_f32 v[212:213], v[188:189], v[206:207] op_sel:[0,1]
	v_dual_mov_b32 v214, v191 :: v_dual_mov_b32 v215, v190
	v_dual_mul_f32 v216, v191, v207 :: v_dual_mul_f32 v218, v191, v204
	v_pk_fma_f32 v[228:229], v[184:185], v[204:205], v[208:209] op_sel:[0,0,1] op_sel_hi:[1,1,0] neg_lo:[0,0,1] neg_hi:[0,0,1]
	v_pk_fma_f32 v[184:185], v[184:185], v[204:205], v[208:209] op_sel:[0,0,1] op_sel_hi:[1,0,0]
	v_pk_fma_f32 v[208:209], v[186:187], v[204:205], v[210:211] op_sel:[0,0,1] op_sel_hi:[1,1,0] neg_lo:[0,0,1] neg_hi:[0,0,1]
	v_pk_fma_f32 v[186:187], v[186:187], v[204:205], v[210:211] op_sel:[0,0,1] op_sel_hi:[1,0,0]
	;; [unrolled: 2-line block ×3, first 2 shown]
	v_pk_fma_f32 v[212:213], v[214:215], v[116:117], v[218:219] op_sel_hi:[1,1,0]
	s_wait_dscnt 0x2
	v_pk_mul_f32 v[220:221], v[192:193], v[206:207] op_sel:[0,1]
	v_pk_fma_f32 v[190:191], v[190:191], v[116:117], v[216:217] op_sel_hi:[1,1,0] neg_lo:[0,0,1] neg_hi:[0,0,1]
	v_pk_mul_f32 v[222:223], v[194:195], v[206:207] op_sel:[0,1]
	v_dual_mov_b32 v211, v189 :: v_dual_mov_b32 v191, v213
	v_dual_mov_b32 v229, v185 :: v_dual_mov_b32 v209, v187
	v_pk_fma_f32 v[184:185], v[192:193], v[204:205], v[220:221] op_sel:[0,0,1] op_sel_hi:[1,0,0]
	s_wait_dscnt 0x1
	v_pk_mul_f32 v[188:189], v[196:197], v[206:207] op_sel:[0,1]
	v_pk_add_f32 v[132:133], v[132:133], v[190:191] neg_lo:[0,1] neg_hi:[0,1]
	v_pk_fma_f32 v[190:191], v[192:193], v[204:205], v[220:221] op_sel:[0,0,1] op_sel_hi:[1,1,0] neg_lo:[0,0,1] neg_hi:[0,0,1]
	v_pk_fma_f32 v[192:193], v[194:195], v[204:205], v[222:223] op_sel:[0,0,1] op_sel_hi:[1,0,0]
	v_mov_b32_e32 v191, v185
	ds_load_2addr_b64 v[184:187], v226 offset0:27 offset1:28
	v_pk_add_f32 v[112:113], v[112:113], v[210:211] neg_lo:[0,1] neg_hi:[0,1]
	v_pk_mul_f32 v[210:211], v[198:199], v[206:207] op_sel:[0,1]
	v_pk_add_f32 v[114:115], v[114:115], v[208:209] neg_lo:[0,1] neg_hi:[0,1]
	v_pk_fma_f32 v[208:209], v[196:197], v[204:205], v[188:189] op_sel:[0,0,1] op_sel_hi:[1,0,0]
	v_pk_fma_f32 v[194:195], v[194:195], v[204:205], v[222:223] op_sel:[0,0,1] op_sel_hi:[1,1,0] neg_lo:[0,0,1] neg_hi:[0,0,1]
	v_mov_b32_e32 v195, v193
	v_pk_fma_f32 v[188:189], v[196:197], v[204:205], v[188:189] op_sel:[0,0,1] op_sel_hi:[1,1,0] neg_lo:[0,0,1] neg_hi:[0,0,1]
	v_pk_add_f32 v[102:103], v[102:103], v[190:191] neg_lo:[0,1] neg_hi:[0,1]
	v_pk_fma_f32 v[190:191], v[198:199], v[204:205], v[210:211] op_sel:[0,0,1] op_sel_hi:[1,0,0]
	v_mov_b32_e32 v189, v209
	s_wait_dscnt 0x1
	v_mul_f32_e32 v190, v201, v204
	v_pk_fma_f32 v[192:193], v[198:199], v[204:205], v[210:211] op_sel:[0,0,1] op_sel_hi:[1,1,0] neg_lo:[0,0,1] neg_hi:[0,0,1]
	v_pk_add_f32 v[130:131], v[130:131], v[194:195] neg_lo:[0,1] neg_hi:[0,1]
	v_mov_b32_e32 v193, v191
	v_pk_add_f32 v[128:129], v[128:129], v[188:189] neg_lo:[0,1] neg_hi:[0,1]
	v_mul_f32_e32 v194, v201, v207
	v_pk_fma_f32 v[196:197], v[200:201], v[116:117], v[190:191] op_sel:[1,0,0] op_sel_hi:[0,1,0]
	ds_load_2addr_b64 v[188:191], v226 offset0:29 offset1:30
	v_pk_mul_f32 v[198:199], v[202:203], v[206:207] op_sel:[0,1]
	s_wait_dscnt 0x1
	v_pk_mul_f32 v[208:209], v[184:185], v[206:207] op_sel:[0,1]
	v_pk_fma_f32 v[200:201], v[200:201], v[116:117], v[194:195] op_sel_hi:[1,1,0] neg_lo:[0,0,1] neg_hi:[0,0,1]
	v_pk_add_f32 v[144:145], v[144:145], v[192:193] neg_lo:[0,1] neg_hi:[0,1]
	v_mov_b32_e32 v201, v197
	v_pk_fma_f32 v[196:197], v[202:203], v[204:205], v[198:199] op_sel:[0,0,1] op_sel_hi:[1,0,0]
	v_pk_mul_f32 v[210:211], v[186:187], v[206:207] op_sel:[0,1]
	ds_load_2addr_b64 v[192:195], v226 offset0:31 offset1:32
	v_pk_fma_f32 v[212:213], v[184:185], v[204:205], v[208:209] op_sel:[0,0,1] op_sel_hi:[1,0,0]
	v_pk_fma_f32 v[198:199], v[202:203], v[204:205], v[198:199] op_sel:[0,0,1] op_sel_hi:[1,1,0] neg_lo:[0,0,1] neg_hi:[0,0,1]
	v_pk_fma_f32 v[184:185], v[184:185], v[204:205], v[208:209] op_sel:[0,0,1] op_sel_hi:[1,1,0] neg_lo:[0,0,1] neg_hi:[0,0,1]
	v_mov_b32_e32 v199, v197
	v_pk_fma_f32 v[196:197], v[186:187], v[204:205], v[210:211] op_sel:[0,0,1] op_sel_hi:[1,0,0]
	v_mov_b32_e32 v185, v213
	v_pk_add_f32 v[148:149], v[148:149], v[200:201] neg_lo:[0,1] neg_hi:[0,1]
	v_pk_fma_f32 v[200:201], v[186:187], v[204:205], v[210:211] op_sel:[0,0,1] op_sel_hi:[1,1,0] neg_lo:[0,0,1] neg_hi:[0,0,1]
	v_pk_add_f32 v[142:143], v[142:143], v[198:199] neg_lo:[0,1] neg_hi:[0,1]
	v_mov_b32_e32 v201, v197
	v_pk_add_f32 v[140:141], v[140:141], v[184:185] neg_lo:[0,1] neg_hi:[0,1]
	ds_load_2addr_b64 v[184:187], v226 offset0:33 offset1:34
	s_wait_dscnt 0x2
	v_pk_mul_f32 v[202:203], v[188:189], v[206:207] op_sel:[0,1]
	v_mul_f32_e32 v208, v191, v204
	v_pk_add_f32 v[126:127], v[126:127], v[200:201] neg_lo:[0,1] neg_hi:[0,1]
	v_dual_mov_b32 v200, v191 :: v_dual_mov_b32 v201, v190
	s_delay_alu instid0(VALU_DEP_4)
	v_pk_fma_f32 v[210:211], v[188:189], v[204:205], v[202:203] op_sel:[0,0,1] op_sel_hi:[1,0,0]
	v_mul_f32_e32 v210, v191, v207
	ds_load_2addr_b64 v[196:199], v226 offset0:35 offset1:36
	s_wait_dscnt 0x2
	v_pk_mul_f32 v[212:213], v[192:193], v[206:207] op_sel:[0,1]
	v_pk_fma_f32 v[200:201], v[200:201], v[116:117], v[208:209] op_sel_hi:[1,1,0]
	v_pk_fma_f32 v[188:189], v[188:189], v[204:205], v[202:203] op_sel:[0,0,1] op_sel_hi:[1,1,0] neg_lo:[0,0,1] neg_hi:[0,0,1]
	v_pk_fma_f32 v[190:191], v[190:191], v[116:117], v[210:211] op_sel_hi:[1,1,0] neg_lo:[0,0,1] neg_hi:[0,0,1]
	v_mov_b32_e32 v189, v211
	v_pk_fma_f32 v[202:203], v[192:193], v[204:205], v[212:213] op_sel:[0,0,1] op_sel_hi:[1,0,0]
	v_mov_b32_e32 v191, v201
	v_pk_mul_f32 v[200:201], v[194:195], v[206:207] op_sel:[0,1]
	v_pk_fma_f32 v[192:193], v[192:193], v[204:205], v[212:213] op_sel:[0,0,1] op_sel_hi:[1,1,0] neg_lo:[0,0,1] neg_hi:[0,0,1]
	v_pk_add_f32 v[120:121], v[120:121], v[188:189] neg_lo:[0,1] neg_hi:[0,1]
	v_mov_b32_e32 v193, v203
	s_wait_dscnt 0x1
	v_pk_mul_f32 v[188:189], v[184:185], v[206:207] op_sel:[0,1]
	v_pk_fma_f32 v[202:203], v[194:195], v[204:205], v[200:201] op_sel:[0,0,1] op_sel_hi:[1,0,0]
	v_pk_add_f32 v[124:125], v[124:125], v[190:191] neg_lo:[0,1] neg_hi:[0,1]
	v_pk_fma_f32 v[190:191], v[194:195], v[204:205], v[200:201] op_sel:[0,0,1] op_sel_hi:[1,1,0] neg_lo:[0,0,1] neg_hi:[0,0,1]
	v_pk_mul_f32 v[194:195], v[186:187], v[206:207] op_sel:[0,1]
	v_pk_add_f32 v[88:89], v[88:89], v[228:229] neg_lo:[0,1] neg_hi:[0,1]
	v_mov_b32_e32 v191, v203
	v_pk_add_f32 v[118:119], v[118:119], v[192:193] neg_lo:[0,1] neg_hi:[0,1]
	v_pk_fma_f32 v[192:193], v[184:185], v[204:205], v[188:189] op_sel:[0,0,1] op_sel_hi:[1,0,0]
	v_pk_fma_f32 v[184:185], v[184:185], v[204:205], v[188:189] op_sel:[0,0,1] op_sel_hi:[1,1,0] neg_lo:[0,0,1] neg_hi:[0,0,1]
	s_wait_dscnt 0x0
	v_mul_f32_e32 v188, v197, v204
	v_pk_fma_f32 v[200:201], v[186:187], v[204:205], v[194:195] op_sel:[0,0,1] op_sel_hi:[1,0,0]
	v_mul_f32_e32 v200, v197, v207
	v_mov_b32_e32 v185, v193
	v_pk_mul_f32 v[192:193], v[198:199], v[206:207] op_sel:[0,1]
	v_pk_fma_f32 v[188:189], v[196:197], v[116:117], v[188:189] op_sel:[1,0,0] op_sel_hi:[0,1,0]
	v_pk_fma_f32 v[186:187], v[186:187], v[204:205], v[194:195] op_sel:[0,0,1] op_sel_hi:[1,1,0] neg_lo:[0,0,1] neg_hi:[0,0,1]
	v_pk_fma_f32 v[196:197], v[196:197], v[116:117], v[200:201] op_sel_hi:[1,1,0] neg_lo:[0,0,1] neg_hi:[0,0,1]
	v_mov_b32_e32 v187, v201
	v_pk_fma_f32 v[194:195], v[198:199], v[204:205], v[192:193] op_sel:[0,0,1] op_sel_hi:[1,0,0]
	v_mov_b32_e32 v197, v189
	v_pk_fma_f32 v[188:189], v[198:199], v[204:205], v[192:193] op_sel:[0,0,1] op_sel_hi:[1,1,0] neg_lo:[0,0,1] neg_hi:[0,0,1]
	v_pk_add_f32 v[122:123], v[122:123], v[190:191] neg_lo:[0,1] neg_hi:[0,1]
	v_pk_add_f32 v[138:139], v[138:139], v[184:185] neg_lo:[0,1] neg_hi:[0,1]
	v_mov_b32_e32 v189, v195
	v_pk_add_f32 v[136:137], v[136:137], v[186:187] neg_lo:[0,1] neg_hi:[0,1]
	v_pk_add_f32 v[134:135], v[134:135], v[196:197] neg_lo:[0,1] neg_hi:[0,1]
	s_delay_alu instid0(VALU_DEP_3)
	v_pk_add_f32 v[146:147], v[146:147], v[188:189] neg_lo:[0,1] neg_hi:[0,1]
.LBB73_154:
	s_or_b32 exec_lo, exec_lo, s1
	s_delay_alu instid0(SALU_CYCLE_1)
	s_mov_b32 s2, exec_lo
	s_wait_dscnt 0x0
	s_barrier_signal -1
	s_barrier_wait -1
	v_cmpx_eq_u32_e32 17, v224
	s_cbranch_execz .LBB73_161
; %bb.155:
	v_dual_mov_b32 v184, v114 :: v_dual_mov_b32 v185, v115
	v_dual_mov_b32 v186, v112 :: v_dual_mov_b32 v187, v113
	;; [unrolled: 1-line block ×8, first 2 shown]
	ds_store_b64 v225, v[88:89]
	ds_store_2addr_b64 v226, v[184:185], v[186:187] offset0:18 offset1:19
	ds_store_2addr_b64 v226, v[188:189], v[190:191] offset0:20 offset1:21
	;; [unrolled: 1-line block ×4, first 2 shown]
	v_dual_mov_b32 v184, v142 :: v_dual_mov_b32 v185, v143
	v_dual_mov_b32 v186, v140 :: v_dual_mov_b32 v187, v141
	;; [unrolled: 1-line block ×10, first 2 shown]
	ds_store_2addr_b64 v226, v[184:185], v[186:187] offset0:26 offset1:27
	ds_store_2addr_b64 v226, v[188:189], v[190:191] offset0:28 offset1:29
	;; [unrolled: 1-line block ×5, first 2 shown]
	ds_store_b64 v226, v[146:147] offset:288
	ds_load_b64 v[184:185], v225
	s_wait_dscnt 0x0
	v_cmp_neq_f32_e32 vcc_lo, 0, v184
	v_cmp_neq_f32_e64 s1, 0, v185
	s_or_b32 s1, vcc_lo, s1
	s_delay_alu instid0(SALU_CYCLE_1)
	s_and_b32 exec_lo, exec_lo, s1
	s_cbranch_execz .LBB73_161
; %bb.156:
	v_cmp_ngt_f32_e64 s1, |v184|, |v185|
                                        ; implicit-def: $vgpr186_vgpr187
	s_and_saveexec_b32 s4, s1
	s_delay_alu instid0(SALU_CYCLE_1)
	s_xor_b32 s1, exec_lo, s4
	s_cbranch_execz .LBB73_158
; %bb.157:
	v_div_scale_f32 v186, null, v185, v185, v184
	v_div_scale_f32 v189, vcc_lo, v184, v185, v184
	s_delay_alu instid0(VALU_DEP_2) | instskip(SKIP_1) | instid1(TRANS32_DEP_1)
	v_rcp_f32_e32 v187, v186
	v_nop
	v_fma_f32 v188, -v186, v187, 1.0
	s_delay_alu instid0(VALU_DEP_1) | instskip(NEXT) | instid1(VALU_DEP_1)
	v_fmac_f32_e32 v187, v188, v187
	v_mul_f32_e32 v188, v189, v187
	s_delay_alu instid0(VALU_DEP_1) | instskip(NEXT) | instid1(VALU_DEP_1)
	v_fma_f32 v190, -v186, v188, v189
	v_fmac_f32_e32 v188, v190, v187
	s_delay_alu instid0(VALU_DEP_1) | instskip(NEXT) | instid1(VALU_DEP_1)
	v_fma_f32 v186, -v186, v188, v189
	v_div_fmas_f32 v186, v186, v187, v188
	s_delay_alu instid0(VALU_DEP_1) | instskip(NEXT) | instid1(VALU_DEP_1)
	v_div_fixup_f32 v186, v186, v185, v184
	v_fmac_f32_e32 v185, v184, v186
	s_delay_alu instid0(VALU_DEP_1) | instskip(SKIP_1) | instid1(VALU_DEP_2)
	v_div_scale_f32 v184, null, v185, v185, 1.0
	v_div_scale_f32 v189, vcc_lo, 1.0, v185, 1.0
	v_rcp_f32_e32 v187, v184
	v_nop
	s_delay_alu instid0(TRANS32_DEP_1) | instskip(NEXT) | instid1(VALU_DEP_1)
	v_fma_f32 v188, -v184, v187, 1.0
	v_fmac_f32_e32 v187, v188, v187
	s_delay_alu instid0(VALU_DEP_1) | instskip(NEXT) | instid1(VALU_DEP_1)
	v_mul_f32_e32 v188, v189, v187
	v_fma_f32 v190, -v184, v188, v189
	s_delay_alu instid0(VALU_DEP_1) | instskip(NEXT) | instid1(VALU_DEP_1)
	v_fmac_f32_e32 v188, v190, v187
	v_fma_f32 v184, -v184, v188, v189
	s_delay_alu instid0(VALU_DEP_1) | instskip(NEXT) | instid1(VALU_DEP_1)
	v_div_fmas_f32 v184, v184, v187, v188
	v_div_fixup_f32 v184, v184, v185, 1.0
	s_delay_alu instid0(VALU_DEP_1)
	v_mul_f32_e32 v186, v186, v184
	v_xor_b32_e32 v187, 0x80000000, v184
                                        ; implicit-def: $vgpr184_vgpr185
.LBB73_158:
	s_and_not1_saveexec_b32 s1, s1
	s_cbranch_execz .LBB73_160
; %bb.159:
	v_div_scale_f32 v186, null, v184, v184, v185
	v_div_scale_f32 v189, vcc_lo, v185, v184, v185
	s_delay_alu instid0(VALU_DEP_2) | instskip(SKIP_1) | instid1(TRANS32_DEP_1)
	v_rcp_f32_e32 v187, v186
	v_nop
	v_fma_f32 v188, -v186, v187, 1.0
	s_delay_alu instid0(VALU_DEP_1) | instskip(NEXT) | instid1(VALU_DEP_1)
	v_fmac_f32_e32 v187, v188, v187
	v_mul_f32_e32 v188, v189, v187
	s_delay_alu instid0(VALU_DEP_1) | instskip(NEXT) | instid1(VALU_DEP_1)
	v_fma_f32 v190, -v186, v188, v189
	v_fmac_f32_e32 v188, v190, v187
	s_delay_alu instid0(VALU_DEP_1) | instskip(NEXT) | instid1(VALU_DEP_1)
	v_fma_f32 v186, -v186, v188, v189
	v_div_fmas_f32 v186, v186, v187, v188
	s_delay_alu instid0(VALU_DEP_1) | instskip(NEXT) | instid1(VALU_DEP_1)
	v_div_fixup_f32 v187, v186, v184, v185
	v_fmac_f32_e32 v184, v185, v187
	s_delay_alu instid0(VALU_DEP_1) | instskip(NEXT) | instid1(VALU_DEP_1)
	v_div_scale_f32 v185, null, v184, v184, 1.0
	v_rcp_f32_e32 v186, v185
	v_nop
	s_delay_alu instid0(TRANS32_DEP_1) | instskip(NEXT) | instid1(VALU_DEP_1)
	v_fma_f32 v188, -v185, v186, 1.0
	v_fmac_f32_e32 v186, v188, v186
	v_div_scale_f32 v188, vcc_lo, 1.0, v184, 1.0
	s_delay_alu instid0(VALU_DEP_1) | instskip(NEXT) | instid1(VALU_DEP_1)
	v_mul_f32_e32 v189, v188, v186
	v_fma_f32 v190, -v185, v189, v188
	s_delay_alu instid0(VALU_DEP_1) | instskip(NEXT) | instid1(VALU_DEP_1)
	v_fmac_f32_e32 v189, v190, v186
	v_fma_f32 v185, -v185, v189, v188
	s_delay_alu instid0(VALU_DEP_1) | instskip(NEXT) | instid1(VALU_DEP_1)
	v_div_fmas_f32 v185, v185, v186, v189
	v_div_fixup_f32 v186, v185, v184, 1.0
	s_delay_alu instid0(VALU_DEP_1)
	v_mul_f32_e64 v187, v187, -v186
.LBB73_160:
	s_or_b32 exec_lo, exec_lo, s1
	ds_store_b64 v225, v[186:187]
.LBB73_161:
	s_or_b32 exec_lo, exec_lo, s2
	s_wait_dscnt 0x0
	s_barrier_signal -1
	s_barrier_wait -1
	ds_load_b64 v[184:185], v225
	s_mov_b32 s1, exec_lo
	v_cmpx_lt_u32_e32 17, v224
	s_cbranch_execz .LBB73_163
; %bb.162:
	ds_load_2addr_b64 v[186:189], v226 offset0:18 offset1:19
	ds_load_2addr_b64 v[190:193], v226 offset0:20 offset1:21
	;; [unrolled: 1-line block ×3, first 2 shown]
	s_wait_dscnt 0x3
	v_pk_mul_f32 v[202:203], v[184:185], v[88:89] op_sel:[1,1] op_sel_hi:[0,1]
	ds_load_2addr_b64 v[198:201], v226 offset0:24 offset1:25
	v_pk_fma_f32 v[208:209], v[184:185], v[88:89], v[202:203] op_sel_hi:[1,0,1]
	v_pk_fma_f32 v[206:207], v[184:185], v[88:89], v[202:203] op_sel_hi:[1,0,1] neg_lo:[0,0,1] neg_hi:[0,0,1]
	ds_load_2addr_b64 v[202:205], v226 offset0:26 offset1:27
	v_dual_mov_b32 v89, v209 :: v_dual_mov_b32 v88, v206
	s_wait_dscnt 0x4
	v_pk_mul_f32 v[210:211], v[186:187], v[208:209] op_sel:[0,1]
	v_pk_mul_f32 v[212:213], v[188:189], v[208:209] op_sel:[0,1]
	s_wait_dscnt 0x3
	v_pk_mul_f32 v[214:215], v[190:191], v[208:209] op_sel:[0,1]
	v_dual_mov_b32 v216, v193 :: v_dual_mov_b32 v217, v192
	v_dual_mul_f32 v218, v193, v209 :: v_dual_mul_f32 v220, v193, v206
	v_pk_fma_f32 v[232:233], v[186:187], v[206:207], v[210:211] op_sel:[0,0,1] op_sel_hi:[1,1,0] neg_lo:[0,0,1] neg_hi:[0,0,1]
	v_pk_fma_f32 v[186:187], v[186:187], v[206:207], v[210:211] op_sel:[0,0,1] op_sel_hi:[1,0,0]
	v_pk_fma_f32 v[210:211], v[188:189], v[206:207], v[212:213] op_sel:[0,0,1] op_sel_hi:[1,1,0] neg_lo:[0,0,1] neg_hi:[0,0,1]
	v_pk_fma_f32 v[188:189], v[188:189], v[206:207], v[212:213] op_sel:[0,0,1] op_sel_hi:[1,0,0]
	;; [unrolled: 2-line block ×3, first 2 shown]
	s_wait_dscnt 0x2
	v_pk_mul_f32 v[222:223], v[194:195], v[208:209] op_sel:[0,1]
	s_wait_dscnt 0x1
	v_pk_mul_f32 v[230:231], v[198:199], v[208:209] op_sel:[0,1]
	v_pk_fma_f32 v[214:215], v[216:217], v[88:89], v[220:221] op_sel_hi:[1,1,0]
	v_pk_mul_f32 v[228:229], v[196:197], v[208:209] op_sel:[0,1]
	v_dual_mov_b32 v213, v191 :: v_dual_mov_b32 v233, v187
	v_mov_b32_e32 v211, v189
	v_pk_fma_f32 v[190:191], v[194:195], v[206:207], v[222:223] op_sel:[0,0,1] op_sel_hi:[1,0,0]
	v_pk_fma_f32 v[192:193], v[192:193], v[88:89], v[218:219] op_sel_hi:[1,1,0] neg_lo:[0,0,1] neg_hi:[0,0,1]
	ds_load_2addr_b64 v[186:189], v226 offset0:28 offset1:29
	v_mov_b32_e32 v193, v215
	v_pk_add_f32 v[132:133], v[132:133], v[212:213] neg_lo:[0,1] neg_hi:[0,1]
	v_pk_fma_f32 v[212:213], v[198:199], v[206:207], v[230:231] op_sel:[0,0,1] op_sel_hi:[1,0,0]
	v_pk_fma_f32 v[194:195], v[194:195], v[206:207], v[222:223] op_sel:[0,0,1] op_sel_hi:[1,1,0] neg_lo:[0,0,1] neg_hi:[0,0,1]
	v_pk_add_f32 v[112:113], v[112:113], v[210:211] neg_lo:[0,1] neg_hi:[0,1]
	v_pk_fma_f32 v[210:211], v[196:197], v[206:207], v[228:229] op_sel:[0,0,1] op_sel_hi:[1,0,0]
	v_mov_b32_e32 v195, v191
	v_pk_fma_f32 v[190:191], v[196:197], v[206:207], v[228:229] op_sel:[0,0,1] op_sel_hi:[1,1,0] neg_lo:[0,0,1] neg_hi:[0,0,1]
	v_pk_fma_f32 v[196:197], v[198:199], v[206:207], v[230:231] op_sel:[0,0,1] op_sel_hi:[1,1,0] neg_lo:[0,0,1] neg_hi:[0,0,1]
	v_mov_b32_e32 v197, v213
	v_pk_mul_f32 v[198:199], v[200:201], v[208:209] op_sel:[0,1]
	v_mov_b32_e32 v191, v211
	v_pk_add_f32 v[130:131], v[130:131], v[194:195] neg_lo:[0,1] neg_hi:[0,1]
	s_wait_dscnt 0x1
	v_mul_f32_e32 v194, v203, v206
	v_pk_add_f32 v[144:145], v[144:145], v[196:197] neg_lo:[0,1] neg_hi:[0,1]
	v_pk_fma_f32 v[196:197], v[200:201], v[206:207], v[198:199] op_sel:[0,0,1] op_sel_hi:[1,0,0]
	v_mul_f32_e32 v196, v203, v209
	v_pk_add_f32 v[102:103], v[102:103], v[192:193] neg_lo:[0,1] neg_hi:[0,1]
	v_pk_add_f32 v[128:129], v[128:129], v[190:191] neg_lo:[0,1] neg_hi:[0,1]
	v_pk_fma_f32 v[210:211], v[200:201], v[206:207], v[198:199] op_sel:[0,0,1] op_sel_hi:[1,1,0] neg_lo:[0,0,1] neg_hi:[0,0,1]
	v_pk_mul_f32 v[198:199], v[204:205], v[208:209] op_sel:[0,1]
	ds_load_2addr_b64 v[190:193], v226 offset0:30 offset1:31
	v_pk_fma_f32 v[194:195], v[202:203], v[88:89], v[194:195] op_sel:[1,0,0] op_sel_hi:[0,1,0]
	v_mov_b32_e32 v211, v197
	v_pk_fma_f32 v[202:203], v[202:203], v[88:89], v[196:197] op_sel_hi:[1,1,0] neg_lo:[0,0,1] neg_hi:[0,0,1]
	v_pk_fma_f32 v[212:213], v[204:205], v[206:207], v[198:199] op_sel:[0,0,1] op_sel_hi:[1,0,0]
	s_wait_dscnt 0x1
	v_pk_mul_f32 v[200:201], v[186:187], v[208:209] op_sel:[0,1]
	v_mov_b32_e32 v203, v195
	ds_load_2addr_b64 v[194:197], v226 offset0:32 offset1:33
	v_pk_fma_f32 v[198:199], v[204:205], v[206:207], v[198:199] op_sel:[0,0,1] op_sel_hi:[1,1,0] neg_lo:[0,0,1] neg_hi:[0,0,1]
	v_mov_b32_e32 v199, v213
	v_pk_fma_f32 v[214:215], v[186:187], v[206:207], v[200:201] op_sel:[0,0,1] op_sel_hi:[1,0,0]
	v_pk_fma_f32 v[186:187], v[186:187], v[206:207], v[200:201] op_sel:[0,0,1] op_sel_hi:[1,1,0] neg_lo:[0,0,1] neg_hi:[0,0,1]
	v_pk_mul_f32 v[200:201], v[188:189], v[208:209] op_sel:[0,1]
	v_pk_add_f32 v[142:143], v[142:143], v[202:203] neg_lo:[0,1] neg_hi:[0,1]
	v_pk_add_f32 v[140:141], v[140:141], v[198:199] neg_lo:[0,1] neg_hi:[0,1]
	v_mov_b32_e32 v187, v215
	v_pk_add_f32 v[148:149], v[148:149], v[210:211] neg_lo:[0,1] neg_hi:[0,1]
	v_pk_fma_f32 v[198:199], v[188:189], v[206:207], v[200:201] op_sel:[0,0,1] op_sel_hi:[1,1,0] neg_lo:[0,0,1] neg_hi:[0,0,1]
	v_pk_fma_f32 v[200:201], v[188:189], v[206:207], v[200:201] op_sel:[0,0,1] op_sel_hi:[1,0,0]
	ds_load_b64 v[210:211], v226 offset:288
	s_wait_dscnt 0x2
	v_pk_mul_f32 v[202:203], v[190:191], v[208:209] op_sel:[0,1]
	v_mov_b32_e32 v204, v193
	v_pk_add_f32 v[126:127], v[126:127], v[186:187] neg_lo:[0,1] neg_hi:[0,1]
	ds_load_2addr_b64 v[186:189], v226 offset0:34 offset1:35
	v_dual_mov_b32 v205, v192 :: v_dual_mul_f32 v200, v193, v206
	v_pk_fma_f32 v[212:213], v[190:191], v[206:207], v[202:203] op_sel:[0,0,1] op_sel_hi:[1,0,0]
	v_mov_b32_e32 v199, v201
	v_pk_fma_f32 v[190:191], v[190:191], v[206:207], v[202:203] op_sel:[0,0,1] op_sel_hi:[1,1,0] neg_lo:[0,0,1] neg_hi:[0,0,1]
	s_wait_dscnt 0x2
	v_pk_mul_f32 v[202:203], v[194:195], v[208:209] op_sel:[0,1]
	v_pk_fma_f32 v[200:201], v[204:205], v[88:89], v[200:201] op_sel_hi:[1,1,0]
	v_mov_b32_e32 v191, v213
	v_pk_add_f32 v[120:121], v[120:121], v[198:199] neg_lo:[0,1] neg_hi:[0,1]
	v_pk_add_f32 v[114:115], v[114:115], v[232:233] neg_lo:[0,1] neg_hi:[0,1]
	v_pk_fma_f32 v[198:199], v[194:195], v[206:207], v[202:203] op_sel:[0,0,1] op_sel_hi:[1,0,0]
	v_mul_f32_e32 v212, v193, v209
	v_pk_add_f32 v[124:125], v[124:125], v[190:191] neg_lo:[0,1] neg_hi:[0,1]
	v_pk_mul_f32 v[190:191], v[196:197], v[208:209] op_sel:[0,1]
	s_delay_alu instid0(VALU_DEP_3) | instskip(SKIP_3) | instid1(VALU_DEP_2)
	v_pk_fma_f32 v[192:193], v[192:193], v[88:89], v[212:213] op_sel_hi:[1,1,0] neg_lo:[0,0,1] neg_hi:[0,0,1]
	v_mov_b32_e32 v193, v201
	s_wait_dscnt 0x0
	v_pk_mul_f32 v[200:201], v[188:189], v[208:209] op_sel:[0,1]
	v_pk_add_f32 v[118:119], v[118:119], v[192:193] neg_lo:[0,1] neg_hi:[0,1]
	v_pk_fma_f32 v[192:193], v[194:195], v[206:207], v[202:203] op_sel:[0,0,1] op_sel_hi:[1,1,0] neg_lo:[0,0,1] neg_hi:[0,0,1]
	v_mov_b32_e32 v193, v199
	v_pk_mul_f32 v[194:195], v[186:187], v[208:209] op_sel:[0,1]
	v_pk_fma_f32 v[198:199], v[196:197], v[206:207], v[190:191] op_sel:[0,0,1] op_sel_hi:[1,0,0]
	v_pk_fma_f32 v[190:191], v[196:197], v[206:207], v[190:191] op_sel:[0,0,1] op_sel_hi:[1,1,0] neg_lo:[0,0,1] neg_hi:[0,0,1]
	v_pk_mul_f32 v[196:197], v[210:211], v[208:209] op_sel:[0,1]
	v_pk_add_f32 v[122:123], v[122:123], v[192:193] neg_lo:[0,1] neg_hi:[0,1]
	v_pk_fma_f32 v[202:203], v[186:187], v[206:207], v[194:195] op_sel:[0,0,1] op_sel_hi:[1,0,0]
	v_mov_b32_e32 v191, v199
	v_pk_fma_f32 v[198:199], v[188:189], v[206:207], v[200:201] op_sel:[0,0,1] op_sel_hi:[1,0,0]
	v_pk_fma_f32 v[186:187], v[186:187], v[206:207], v[194:195] op_sel:[0,0,1] op_sel_hi:[1,1,0] neg_lo:[0,0,1] neg_hi:[0,0,1]
	v_pk_fma_f32 v[194:195], v[210:211], v[206:207], v[196:197] op_sel:[0,0,1] op_sel_hi:[1,0,0]
	v_pk_fma_f32 v[188:189], v[188:189], v[206:207], v[200:201] op_sel:[0,0,1] op_sel_hi:[1,1,0] neg_lo:[0,0,1] neg_hi:[0,0,1]
	v_pk_fma_f32 v[196:197], v[210:211], v[206:207], v[196:197] op_sel:[0,0,1] op_sel_hi:[1,1,0] neg_lo:[0,0,1] neg_hi:[0,0,1]
	v_dual_mov_b32 v187, v203 :: v_dual_mov_b32 v189, v199
	s_delay_alu instid0(VALU_DEP_4) | instskip(SKIP_1) | instid1(VALU_DEP_3)
	v_mov_b32_e32 v197, v195
	v_pk_add_f32 v[138:139], v[138:139], v[190:191] neg_lo:[0,1] neg_hi:[0,1]
	v_pk_add_f32 v[136:137], v[136:137], v[186:187] neg_lo:[0,1] neg_hi:[0,1]
	s_delay_alu instid0(VALU_DEP_4) | instskip(NEXT) | instid1(VALU_DEP_4)
	v_pk_add_f32 v[134:135], v[134:135], v[188:189] neg_lo:[0,1] neg_hi:[0,1]
	v_pk_add_f32 v[146:147], v[146:147], v[196:197] neg_lo:[0,1] neg_hi:[0,1]
.LBB73_163:
	s_or_b32 exec_lo, exec_lo, s1
	s_delay_alu instid0(SALU_CYCLE_1)
	s_mov_b32 s2, exec_lo
	s_wait_dscnt 0x0
	s_barrier_signal -1
	s_barrier_wait -1
	v_cmpx_eq_u32_e32 18, v224
	s_cbranch_execz .LBB73_170
; %bb.164:
	ds_store_b64 v225, v[114:115]
	ds_store_2addr_b64 v226, v[112:113], v[132:133] offset0:19 offset1:20
	ds_store_2addr_b64 v226, v[102:103], v[130:131] offset0:21 offset1:22
	;; [unrolled: 1-line block ×9, first 2 shown]
	ds_load_b64 v[186:187], v225
	s_wait_dscnt 0x0
	v_cmp_neq_f32_e32 vcc_lo, 0, v186
	v_cmp_neq_f32_e64 s1, 0, v187
	s_or_b32 s1, vcc_lo, s1
	s_delay_alu instid0(SALU_CYCLE_1)
	s_and_b32 exec_lo, exec_lo, s1
	s_cbranch_execz .LBB73_170
; %bb.165:
	v_cmp_ngt_f32_e64 s1, |v186|, |v187|
                                        ; implicit-def: $vgpr188_vgpr189
	s_and_saveexec_b32 s4, s1
	s_delay_alu instid0(SALU_CYCLE_1)
	s_xor_b32 s1, exec_lo, s4
	s_cbranch_execz .LBB73_167
; %bb.166:
	v_div_scale_f32 v188, null, v187, v187, v186
	v_div_scale_f32 v191, vcc_lo, v186, v187, v186
	s_delay_alu instid0(VALU_DEP_2) | instskip(SKIP_1) | instid1(TRANS32_DEP_1)
	v_rcp_f32_e32 v189, v188
	v_nop
	v_fma_f32 v190, -v188, v189, 1.0
	s_delay_alu instid0(VALU_DEP_1) | instskip(NEXT) | instid1(VALU_DEP_1)
	v_fmac_f32_e32 v189, v190, v189
	v_mul_f32_e32 v190, v191, v189
	s_delay_alu instid0(VALU_DEP_1) | instskip(NEXT) | instid1(VALU_DEP_1)
	v_fma_f32 v192, -v188, v190, v191
	v_fmac_f32_e32 v190, v192, v189
	s_delay_alu instid0(VALU_DEP_1) | instskip(NEXT) | instid1(VALU_DEP_1)
	v_fma_f32 v188, -v188, v190, v191
	v_div_fmas_f32 v188, v188, v189, v190
	s_delay_alu instid0(VALU_DEP_1) | instskip(NEXT) | instid1(VALU_DEP_1)
	v_div_fixup_f32 v188, v188, v187, v186
	v_fmac_f32_e32 v187, v186, v188
	s_delay_alu instid0(VALU_DEP_1) | instskip(SKIP_1) | instid1(VALU_DEP_2)
	v_div_scale_f32 v186, null, v187, v187, 1.0
	v_div_scale_f32 v191, vcc_lo, 1.0, v187, 1.0
	v_rcp_f32_e32 v189, v186
	v_nop
	s_delay_alu instid0(TRANS32_DEP_1) | instskip(NEXT) | instid1(VALU_DEP_1)
	v_fma_f32 v190, -v186, v189, 1.0
	v_fmac_f32_e32 v189, v190, v189
	s_delay_alu instid0(VALU_DEP_1) | instskip(NEXT) | instid1(VALU_DEP_1)
	v_mul_f32_e32 v190, v191, v189
	v_fma_f32 v192, -v186, v190, v191
	s_delay_alu instid0(VALU_DEP_1) | instskip(NEXT) | instid1(VALU_DEP_1)
	v_fmac_f32_e32 v190, v192, v189
	v_fma_f32 v186, -v186, v190, v191
	s_delay_alu instid0(VALU_DEP_1) | instskip(NEXT) | instid1(VALU_DEP_1)
	v_div_fmas_f32 v186, v186, v189, v190
	v_div_fixup_f32 v186, v186, v187, 1.0
	s_delay_alu instid0(VALU_DEP_1)
	v_mul_f32_e32 v188, v188, v186
	v_xor_b32_e32 v189, 0x80000000, v186
                                        ; implicit-def: $vgpr186_vgpr187
.LBB73_167:
	s_and_not1_saveexec_b32 s1, s1
	s_cbranch_execz .LBB73_169
; %bb.168:
	v_div_scale_f32 v188, null, v186, v186, v187
	v_div_scale_f32 v191, vcc_lo, v187, v186, v187
	s_delay_alu instid0(VALU_DEP_2) | instskip(SKIP_1) | instid1(TRANS32_DEP_1)
	v_rcp_f32_e32 v189, v188
	v_nop
	v_fma_f32 v190, -v188, v189, 1.0
	s_delay_alu instid0(VALU_DEP_1) | instskip(NEXT) | instid1(VALU_DEP_1)
	v_fmac_f32_e32 v189, v190, v189
	v_mul_f32_e32 v190, v191, v189
	s_delay_alu instid0(VALU_DEP_1) | instskip(NEXT) | instid1(VALU_DEP_1)
	v_fma_f32 v192, -v188, v190, v191
	v_fmac_f32_e32 v190, v192, v189
	s_delay_alu instid0(VALU_DEP_1) | instskip(NEXT) | instid1(VALU_DEP_1)
	v_fma_f32 v188, -v188, v190, v191
	v_div_fmas_f32 v188, v188, v189, v190
	s_delay_alu instid0(VALU_DEP_1) | instskip(NEXT) | instid1(VALU_DEP_1)
	v_div_fixup_f32 v189, v188, v186, v187
	v_fmac_f32_e32 v186, v187, v189
	s_delay_alu instid0(VALU_DEP_1) | instskip(NEXT) | instid1(VALU_DEP_1)
	v_div_scale_f32 v187, null, v186, v186, 1.0
	v_rcp_f32_e32 v188, v187
	v_nop
	s_delay_alu instid0(TRANS32_DEP_1) | instskip(NEXT) | instid1(VALU_DEP_1)
	v_fma_f32 v190, -v187, v188, 1.0
	v_fmac_f32_e32 v188, v190, v188
	v_div_scale_f32 v190, vcc_lo, 1.0, v186, 1.0
	s_delay_alu instid0(VALU_DEP_1) | instskip(NEXT) | instid1(VALU_DEP_1)
	v_mul_f32_e32 v191, v190, v188
	v_fma_f32 v192, -v187, v191, v190
	s_delay_alu instid0(VALU_DEP_1) | instskip(NEXT) | instid1(VALU_DEP_1)
	v_fmac_f32_e32 v191, v192, v188
	v_fma_f32 v187, -v187, v191, v190
	s_delay_alu instid0(VALU_DEP_1) | instskip(NEXT) | instid1(VALU_DEP_1)
	v_div_fmas_f32 v187, v187, v188, v191
	v_div_fixup_f32 v188, v187, v186, 1.0
	s_delay_alu instid0(VALU_DEP_1)
	v_mul_f32_e64 v189, v189, -v188
.LBB73_169:
	s_or_b32 exec_lo, exec_lo, s1
	ds_store_b64 v225, v[188:189]
.LBB73_170:
	s_or_b32 exec_lo, exec_lo, s2
	s_wait_dscnt 0x0
	s_barrier_signal -1
	s_barrier_wait -1
	ds_load_b64 v[186:187], v225
	s_mov_b32 s1, exec_lo
	v_cmpx_lt_u32_e32 18, v224
	s_cbranch_execz .LBB73_172
; %bb.171:
	ds_load_2addr_b64 v[188:191], v226 offset0:19 offset1:20
	ds_load_2addr_b64 v[192:195], v226 offset0:21 offset1:22
	;; [unrolled: 1-line block ×3, first 2 shown]
	s_wait_dscnt 0x3
	v_pk_mul_f32 v[200:201], v[186:187], v[114:115] op_sel:[1,1] op_sel_hi:[0,1]
	s_delay_alu instid0(VALU_DEP_1)
	v_pk_fma_f32 v[208:209], v[186:187], v[114:115], v[200:201] op_sel_hi:[1,0,1] neg_lo:[0,0,1] neg_hi:[0,0,1]
	v_pk_fma_f32 v[210:211], v[186:187], v[114:115], v[200:201] op_sel_hi:[1,0,1]
	ds_load_2addr_b64 v[200:203], v226 offset0:25 offset1:26
	ds_load_2addr_b64 v[204:207], v226 offset0:27 offset1:28
	v_dual_mov_b32 v114, v208 :: v_dual_mov_b32 v115, v211
	s_wait_dscnt 0x4
	v_pk_mul_f32 v[212:213], v[188:189], v[210:211] op_sel:[0,1]
	v_pk_mul_f32 v[214:215], v[190:191], v[210:211] op_sel:[0,1]
	s_wait_dscnt 0x3
	v_pk_mul_f32 v[216:217], v[192:193], v[210:211] op_sel:[0,1]
	s_wait_dscnt 0x2
	v_pk_mul_f32 v[228:229], v[196:197], v[210:211] op_sel:[0,1]
	v_dual_mov_b32 v218, v195 :: v_dual_mov_b32 v219, v194
	v_pk_fma_f32 v[232:233], v[188:189], v[208:209], v[212:213] op_sel:[0,0,1] op_sel_hi:[1,1,0] neg_lo:[0,0,1] neg_hi:[0,0,1]
	v_pk_fma_f32 v[188:189], v[188:189], v[208:209], v[212:213] op_sel:[0,0,1] op_sel_hi:[1,0,0]
	v_dual_mul_f32 v220, v195, v211 :: v_dual_mul_f32 v222, v195, v208
	v_pk_mul_f32 v[230:231], v[198:199], v[210:211] op_sel:[0,1]
	v_pk_fma_f32 v[212:213], v[190:191], v[208:209], v[214:215] op_sel:[0,0,1] op_sel_hi:[1,1,0] neg_lo:[0,0,1] neg_hi:[0,0,1]
	v_pk_fma_f32 v[190:191], v[190:191], v[208:209], v[214:215] op_sel:[0,0,1] op_sel_hi:[1,0,0]
	v_pk_fma_f32 v[214:215], v[192:193], v[208:209], v[216:217] op_sel:[0,0,1] op_sel_hi:[1,1,0] neg_lo:[0,0,1] neg_hi:[0,0,1]
	v_pk_fma_f32 v[192:193], v[192:193], v[208:209], v[216:217] op_sel:[0,0,1] op_sel_hi:[1,0,0]
	v_mov_b32_e32 v233, v189
	v_pk_fma_f32 v[188:189], v[196:197], v[208:209], v[228:229] op_sel:[0,0,1] op_sel_hi:[1,0,0]
	v_pk_fma_f32 v[216:217], v[218:219], v[114:115], v[222:223] op_sel_hi:[1,1,0]
	v_pk_fma_f32 v[218:219], v[196:197], v[208:209], v[228:229] op_sel:[0,0,1] op_sel_hi:[1,1,0] neg_lo:[0,0,1] neg_hi:[0,0,1]
	v_dual_mov_b32 v213, v191 :: v_dual_mov_b32 v215, v193
	v_pk_fma_f32 v[192:193], v[198:199], v[208:209], v[230:231] op_sel:[0,0,1] op_sel_hi:[1,0,0]
	s_wait_dscnt 0x1
	v_pk_mul_f32 v[196:197], v[200:201], v[210:211] op_sel:[0,1]
	v_mov_b32_e32 v219, v189
	ds_load_2addr_b64 v[188:191], v226 offset0:29 offset1:30
	v_pk_fma_f32 v[194:195], v[194:195], v[114:115], v[220:221] op_sel_hi:[1,1,0] neg_lo:[0,0,1] neg_hi:[0,0,1]
	v_pk_fma_f32 v[198:199], v[198:199], v[208:209], v[230:231] op_sel:[0,0,1] op_sel_hi:[1,1,0] neg_lo:[0,0,1] neg_hi:[0,0,1]
	v_mov_b32_e32 v195, v217
	v_pk_add_f32 v[132:133], v[132:133], v[212:213] neg_lo:[0,1] neg_hi:[0,1]
	v_pk_mul_f32 v[212:213], v[202:203], v[210:211] op_sel:[0,1]
	v_mov_b32_e32 v199, v193
	v_pk_fma_f32 v[192:193], v[200:201], v[208:209], v[196:197] op_sel:[0,0,1] op_sel_hi:[1,0,0]
	v_pk_fma_f32 v[196:197], v[200:201], v[208:209], v[196:197] op_sel:[0,0,1] op_sel_hi:[1,1,0] neg_lo:[0,0,1] neg_hi:[0,0,1]
	v_pk_add_f32 v[130:131], v[130:131], v[194:195] neg_lo:[0,1] neg_hi:[0,1]
	v_pk_fma_f32 v[194:195], v[202:203], v[208:209], v[212:213] op_sel:[0,0,1] op_sel_hi:[1,0,0]
	v_pk_add_f32 v[144:145], v[144:145], v[198:199] neg_lo:[0,1] neg_hi:[0,1]
	v_mov_b32_e32 v197, v193
	v_pk_fma_f32 v[198:199], v[202:203], v[208:209], v[212:213] op_sel:[0,0,1] op_sel_hi:[1,1,0] neg_lo:[0,0,1] neg_hi:[0,0,1]
	s_wait_dscnt 0x1
	v_dual_mul_f32 v200, v205, v208 :: v_dual_mov_b32 v199, v195
	ds_load_2addr_b64 v[192:195], v226 offset0:31 offset1:32
	v_pk_add_f32 v[148:149], v[148:149], v[196:197] neg_lo:[0,1] neg_hi:[0,1]
	v_mul_f32_e32 v196, v205, v211
	v_pk_mul_f32 v[202:203], v[206:207], v[210:211] op_sel:[0,1]
	v_pk_fma_f32 v[200:201], v[204:205], v[114:115], v[200:201] op_sel:[1,0,0] op_sel_hi:[0,1,0]
	v_pk_add_f32 v[142:143], v[142:143], v[198:199] neg_lo:[0,1] neg_hi:[0,1]
	v_pk_add_f32 v[102:103], v[102:103], v[214:215] neg_lo:[0,1] neg_hi:[0,1]
	v_pk_fma_f32 v[204:205], v[204:205], v[114:115], v[196:197] op_sel_hi:[1,1,0] neg_lo:[0,0,1] neg_hi:[0,0,1]
	ds_load_2addr_b64 v[196:199], v226 offset0:33 offset1:34
	s_wait_dscnt 0x2
	v_pk_mul_f32 v[212:213], v[188:189], v[210:211] op_sel:[0,1]
	v_pk_fma_f32 v[214:215], v[206:207], v[208:209], v[202:203] op_sel:[0,0,1] op_sel_hi:[1,0,0]
	v_pk_fma_f32 v[202:203], v[206:207], v[208:209], v[202:203] op_sel:[0,0,1] op_sel_hi:[1,1,0] neg_lo:[0,0,1] neg_hi:[0,0,1]
	v_mov_b32_e32 v205, v201
	v_pk_mul_f32 v[206:207], v[190:191], v[210:211] op_sel:[0,1]
	v_pk_fma_f32 v[200:201], v[188:189], v[208:209], v[212:213] op_sel:[0,0,1] op_sel_hi:[1,0,0]
	v_mov_b32_e32 v203, v215
	v_pk_fma_f32 v[188:189], v[188:189], v[208:209], v[212:213] op_sel:[0,0,1] op_sel_hi:[1,1,0] neg_lo:[0,0,1] neg_hi:[0,0,1]
	v_pk_add_f32 v[140:141], v[140:141], v[204:205] neg_lo:[0,1] neg_hi:[0,1]
	v_pk_fma_f32 v[204:205], v[190:191], v[208:209], v[206:207] op_sel:[0,0,1] op_sel_hi:[1,0,0]
	s_wait_dscnt 0x1
	v_dual_mov_b32 v189, v201 :: v_dual_mov_b32 v204, v195
	v_pk_add_f32 v[126:127], v[126:127], v[202:203] neg_lo:[0,1] neg_hi:[0,1]
	ds_load_2addr_b64 v[200:203], v226 offset0:35 offset1:36
	v_pk_mul_f32 v[212:213], v[192:193], v[210:211] op_sel:[0,1]
	v_pk_add_f32 v[120:121], v[120:121], v[188:189] neg_lo:[0,1] neg_hi:[0,1]
	v_pk_fma_f32 v[188:189], v[190:191], v[208:209], v[206:207] op_sel:[0,0,1] op_sel_hi:[1,1,0] neg_lo:[0,0,1] neg_hi:[0,0,1]
	v_dual_mov_b32 v189, v205 :: v_dual_mov_b32 v205, v194
	s_delay_alu instid0(VALU_DEP_4)
	v_pk_fma_f32 v[190:191], v[192:193], v[208:209], v[212:213] op_sel:[0,0,1] op_sel_hi:[1,0,0]
	s_wait_dscnt 0x1
	v_pk_mul_f32 v[206:207], v[196:197], v[210:211] op_sel:[0,1]
	v_mul_f32_e32 v190, v195, v208
	v_pk_fma_f32 v[192:193], v[192:193], v[208:209], v[212:213] op_sel:[0,0,1] op_sel_hi:[1,1,0] neg_lo:[0,0,1] neg_hi:[0,0,1]
	v_mul_f32_e32 v212, v195, v211
	v_pk_add_f32 v[124:125], v[124:125], v[188:189] neg_lo:[0,1] neg_hi:[0,1]
	v_pk_fma_f32 v[188:189], v[196:197], v[208:209], v[206:207] op_sel:[0,0,1] op_sel_hi:[1,0,0]
	v_mov_b32_e32 v193, v191
	v_pk_fma_f32 v[190:191], v[204:205], v[114:115], v[190:191] op_sel_hi:[1,1,0]
	v_pk_add_f32 v[112:113], v[112:113], v[232:233] neg_lo:[0,1] neg_hi:[0,1]
	v_pk_add_f32 v[128:129], v[128:129], v[218:219] neg_lo:[0,1] neg_hi:[0,1]
	s_delay_alu instid0(VALU_DEP_4)
	v_pk_add_f32 v[118:119], v[118:119], v[192:193] neg_lo:[0,1] neg_hi:[0,1]
	v_pk_fma_f32 v[192:193], v[194:195], v[114:115], v[212:213] op_sel_hi:[1,1,0] neg_lo:[0,0,1] neg_hi:[0,0,1]
	v_mov_b32_e32 v193, v191
	v_pk_fma_f32 v[190:191], v[196:197], v[208:209], v[206:207] op_sel:[0,0,1] op_sel_hi:[1,1,0] neg_lo:[0,0,1] neg_hi:[0,0,1]
	v_mov_b32_e32 v191, v189
	v_pk_mul_f32 v[188:189], v[198:199], v[210:211] op_sel:[0,1]
	s_wait_dscnt 0x0
	v_pk_mul_f32 v[194:195], v[200:201], v[210:211] op_sel:[0,1]
	v_dual_mov_b32 v196, v203 :: v_dual_mov_b32 v197, v202
	v_mul_f32_e32 v204, v203, v208
	v_pk_fma_f32 v[206:207], v[198:199], v[208:209], v[188:189] op_sel:[0,0,1] op_sel_hi:[1,0,0]
	v_pk_fma_f32 v[188:189], v[198:199], v[208:209], v[188:189] op_sel:[0,0,1] op_sel_hi:[1,1,0] neg_lo:[0,0,1] neg_hi:[0,0,1]
	v_pk_fma_f32 v[198:199], v[200:201], v[208:209], v[194:195] op_sel:[0,0,1] op_sel_hi:[1,0,0]
	v_pk_fma_f32 v[194:195], v[200:201], v[208:209], v[194:195] op_sel:[0,0,1] op_sel_hi:[1,1,0] neg_lo:[0,0,1] neg_hi:[0,0,1]
	v_pk_fma_f32 v[196:197], v[196:197], v[114:115], v[204:205] op_sel_hi:[1,1,0]
	v_mul_f32_e32 v198, v203, v211
	s_delay_alu instid0(VALU_DEP_4) | instskip(SKIP_2) | instid1(VALU_DEP_4)
	v_dual_mov_b32 v189, v207 :: v_dual_mov_b32 v195, v199
	v_pk_add_f32 v[122:123], v[122:123], v[192:193] neg_lo:[0,1] neg_hi:[0,1]
	v_pk_add_f32 v[138:139], v[138:139], v[190:191] neg_lo:[0,1] neg_hi:[0,1]
	v_pk_fma_f32 v[198:199], v[202:203], v[114:115], v[198:199] op_sel_hi:[1,1,0] neg_lo:[0,0,1] neg_hi:[0,0,1]
	v_mov_b32_e32 v199, v197
	v_pk_add_f32 v[136:137], v[136:137], v[188:189] neg_lo:[0,1] neg_hi:[0,1]
	v_pk_add_f32 v[134:135], v[134:135], v[194:195] neg_lo:[0,1] neg_hi:[0,1]
	s_delay_alu instid0(VALU_DEP_3)
	v_pk_add_f32 v[146:147], v[146:147], v[198:199] neg_lo:[0,1] neg_hi:[0,1]
.LBB73_172:
	s_or_b32 exec_lo, exec_lo, s1
	s_delay_alu instid0(SALU_CYCLE_1)
	s_mov_b32 s2, exec_lo
	s_wait_dscnt 0x0
	s_barrier_signal -1
	s_barrier_wait -1
	v_cmpx_eq_u32_e32 19, v224
	s_cbranch_execz .LBB73_179
; %bb.173:
	v_dual_mov_b32 v188, v132 :: v_dual_mov_b32 v189, v133
	v_dual_mov_b32 v190, v102 :: v_dual_mov_b32 v191, v103
	;; [unrolled: 1-line block ×4, first 2 shown]
	ds_store_b64 v225, v[112:113]
	ds_store_2addr_b64 v226, v[188:189], v[190:191] offset0:20 offset1:21
	ds_store_2addr_b64 v226, v[192:193], v[194:195] offset0:22 offset1:23
	v_dual_mov_b32 v188, v144 :: v_dual_mov_b32 v189, v145
	v_dual_mov_b32 v190, v148 :: v_dual_mov_b32 v191, v149
	;; [unrolled: 1-line block ×12, first 2 shown]
	ds_store_2addr_b64 v226, v[188:189], v[190:191] offset0:24 offset1:25
	ds_store_2addr_b64 v226, v[192:193], v[194:195] offset0:26 offset1:27
	;; [unrolled: 1-line block ×6, first 2 shown]
	ds_store_b64 v226, v[146:147] offset:288
	ds_load_b64 v[188:189], v225
	s_wait_dscnt 0x0
	v_cmp_neq_f32_e32 vcc_lo, 0, v188
	v_cmp_neq_f32_e64 s1, 0, v189
	s_or_b32 s1, vcc_lo, s1
	s_delay_alu instid0(SALU_CYCLE_1)
	s_and_b32 exec_lo, exec_lo, s1
	s_cbranch_execz .LBB73_179
; %bb.174:
	v_cmp_ngt_f32_e64 s1, |v188|, |v189|
                                        ; implicit-def: $vgpr190_vgpr191
	s_and_saveexec_b32 s4, s1
	s_delay_alu instid0(SALU_CYCLE_1)
	s_xor_b32 s1, exec_lo, s4
	s_cbranch_execz .LBB73_176
; %bb.175:
	v_div_scale_f32 v190, null, v189, v189, v188
	v_div_scale_f32 v193, vcc_lo, v188, v189, v188
	s_delay_alu instid0(VALU_DEP_2) | instskip(SKIP_1) | instid1(TRANS32_DEP_1)
	v_rcp_f32_e32 v191, v190
	v_nop
	v_fma_f32 v192, -v190, v191, 1.0
	s_delay_alu instid0(VALU_DEP_1) | instskip(NEXT) | instid1(VALU_DEP_1)
	v_fmac_f32_e32 v191, v192, v191
	v_mul_f32_e32 v192, v193, v191
	s_delay_alu instid0(VALU_DEP_1) | instskip(NEXT) | instid1(VALU_DEP_1)
	v_fma_f32 v194, -v190, v192, v193
	v_fmac_f32_e32 v192, v194, v191
	s_delay_alu instid0(VALU_DEP_1) | instskip(NEXT) | instid1(VALU_DEP_1)
	v_fma_f32 v190, -v190, v192, v193
	v_div_fmas_f32 v190, v190, v191, v192
	s_delay_alu instid0(VALU_DEP_1) | instskip(NEXT) | instid1(VALU_DEP_1)
	v_div_fixup_f32 v190, v190, v189, v188
	v_fmac_f32_e32 v189, v188, v190
	s_delay_alu instid0(VALU_DEP_1) | instskip(SKIP_1) | instid1(VALU_DEP_2)
	v_div_scale_f32 v188, null, v189, v189, 1.0
	v_div_scale_f32 v193, vcc_lo, 1.0, v189, 1.0
	v_rcp_f32_e32 v191, v188
	v_nop
	s_delay_alu instid0(TRANS32_DEP_1) | instskip(NEXT) | instid1(VALU_DEP_1)
	v_fma_f32 v192, -v188, v191, 1.0
	v_fmac_f32_e32 v191, v192, v191
	s_delay_alu instid0(VALU_DEP_1) | instskip(NEXT) | instid1(VALU_DEP_1)
	v_mul_f32_e32 v192, v193, v191
	v_fma_f32 v194, -v188, v192, v193
	s_delay_alu instid0(VALU_DEP_1) | instskip(NEXT) | instid1(VALU_DEP_1)
	v_fmac_f32_e32 v192, v194, v191
	v_fma_f32 v188, -v188, v192, v193
	s_delay_alu instid0(VALU_DEP_1) | instskip(NEXT) | instid1(VALU_DEP_1)
	v_div_fmas_f32 v188, v188, v191, v192
	v_div_fixup_f32 v188, v188, v189, 1.0
	s_delay_alu instid0(VALU_DEP_1)
	v_mul_f32_e32 v190, v190, v188
	v_xor_b32_e32 v191, 0x80000000, v188
                                        ; implicit-def: $vgpr188_vgpr189
.LBB73_176:
	s_and_not1_saveexec_b32 s1, s1
	s_cbranch_execz .LBB73_178
; %bb.177:
	v_div_scale_f32 v190, null, v188, v188, v189
	v_div_scale_f32 v193, vcc_lo, v189, v188, v189
	s_delay_alu instid0(VALU_DEP_2) | instskip(SKIP_1) | instid1(TRANS32_DEP_1)
	v_rcp_f32_e32 v191, v190
	v_nop
	v_fma_f32 v192, -v190, v191, 1.0
	s_delay_alu instid0(VALU_DEP_1) | instskip(NEXT) | instid1(VALU_DEP_1)
	v_fmac_f32_e32 v191, v192, v191
	v_mul_f32_e32 v192, v193, v191
	s_delay_alu instid0(VALU_DEP_1) | instskip(NEXT) | instid1(VALU_DEP_1)
	v_fma_f32 v194, -v190, v192, v193
	v_fmac_f32_e32 v192, v194, v191
	s_delay_alu instid0(VALU_DEP_1) | instskip(NEXT) | instid1(VALU_DEP_1)
	v_fma_f32 v190, -v190, v192, v193
	v_div_fmas_f32 v190, v190, v191, v192
	s_delay_alu instid0(VALU_DEP_1) | instskip(NEXT) | instid1(VALU_DEP_1)
	v_div_fixup_f32 v191, v190, v188, v189
	v_fmac_f32_e32 v188, v189, v191
	s_delay_alu instid0(VALU_DEP_1) | instskip(NEXT) | instid1(VALU_DEP_1)
	v_div_scale_f32 v189, null, v188, v188, 1.0
	v_rcp_f32_e32 v190, v189
	v_nop
	s_delay_alu instid0(TRANS32_DEP_1) | instskip(NEXT) | instid1(VALU_DEP_1)
	v_fma_f32 v192, -v189, v190, 1.0
	v_fmac_f32_e32 v190, v192, v190
	v_div_scale_f32 v192, vcc_lo, 1.0, v188, 1.0
	s_delay_alu instid0(VALU_DEP_1) | instskip(NEXT) | instid1(VALU_DEP_1)
	v_mul_f32_e32 v193, v192, v190
	v_fma_f32 v194, -v189, v193, v192
	s_delay_alu instid0(VALU_DEP_1) | instskip(NEXT) | instid1(VALU_DEP_1)
	v_fmac_f32_e32 v193, v194, v190
	v_fma_f32 v189, -v189, v193, v192
	s_delay_alu instid0(VALU_DEP_1) | instskip(NEXT) | instid1(VALU_DEP_1)
	v_div_fmas_f32 v189, v189, v190, v193
	v_div_fixup_f32 v190, v189, v188, 1.0
	s_delay_alu instid0(VALU_DEP_1)
	v_mul_f32_e64 v191, v191, -v190
.LBB73_178:
	s_or_b32 exec_lo, exec_lo, s1
	ds_store_b64 v225, v[190:191]
.LBB73_179:
	s_or_b32 exec_lo, exec_lo, s2
	s_wait_dscnt 0x0
	s_barrier_signal -1
	s_barrier_wait -1
	ds_load_b64 v[188:189], v225
	s_mov_b32 s1, exec_lo
	v_cmpx_lt_u32_e32 19, v224
	s_cbranch_execz .LBB73_181
; %bb.180:
	ds_load_2addr_b64 v[190:193], v226 offset0:20 offset1:21
	ds_load_2addr_b64 v[194:197], v226 offset0:22 offset1:23
	ds_load_2addr_b64 v[198:201], v226 offset0:24 offset1:25
	s_wait_dscnt 0x3
	v_pk_mul_f32 v[202:203], v[188:189], v[112:113] op_sel:[1,1] op_sel_hi:[0,1]
	s_delay_alu instid0(VALU_DEP_1)
	v_pk_fma_f32 v[212:213], v[188:189], v[112:113], v[202:203] op_sel_hi:[1,0,1]
	v_pk_fma_f32 v[210:211], v[188:189], v[112:113], v[202:203] op_sel_hi:[1,0,1] neg_lo:[0,0,1] neg_hi:[0,0,1]
	ds_load_2addr_b64 v[202:205], v226 offset0:26 offset1:27
	ds_load_2addr_b64 v[206:209], v226 offset0:28 offset1:29
	v_dual_mov_b32 v113, v213 :: v_dual_mov_b32 v112, v210
	s_wait_dscnt 0x4
	v_pk_mul_f32 v[214:215], v[190:191], v[212:213] op_sel:[0,1]
	v_pk_mul_f32 v[216:217], v[192:193], v[212:213] op_sel:[0,1]
	s_wait_dscnt 0x3
	v_pk_mul_f32 v[218:219], v[194:195], v[212:213] op_sel:[0,1]
	v_dual_mov_b32 v220, v197 :: v_dual_mov_b32 v221, v196
	v_dual_mul_f32 v222, v197, v213 :: v_dual_mul_f32 v228, v197, v210
	s_wait_dscnt 0x2
	v_pk_mul_f32 v[230:231], v[198:199], v[212:213] op_sel:[0,1]
	v_pk_fma_f32 v[234:235], v[190:191], v[210:211], v[214:215] op_sel:[0,0,1] op_sel_hi:[1,1,0] neg_lo:[0,0,1] neg_hi:[0,0,1]
	v_pk_fma_f32 v[190:191], v[190:191], v[210:211], v[214:215] op_sel:[0,0,1] op_sel_hi:[1,0,0]
	v_pk_mul_f32 v[232:233], v[200:201], v[212:213] op_sel:[0,1]
	v_pk_fma_f32 v[214:215], v[192:193], v[210:211], v[216:217] op_sel:[0,0,1] op_sel_hi:[1,1,0] neg_lo:[0,0,1] neg_hi:[0,0,1]
	v_pk_fma_f32 v[192:193], v[192:193], v[210:211], v[216:217] op_sel:[0,0,1] op_sel_hi:[1,0,0]
	v_pk_fma_f32 v[216:217], v[194:195], v[210:211], v[218:219] op_sel:[0,0,1] op_sel_hi:[1,1,0] neg_lo:[0,0,1] neg_hi:[0,0,1]
	v_pk_fma_f32 v[194:195], v[194:195], v[210:211], v[218:219] op_sel:[0,0,1] op_sel_hi:[1,0,0]
	v_pk_fma_f32 v[218:219], v[220:221], v[112:113], v[228:229] op_sel_hi:[1,1,0]
	s_delay_alu instid0(VALU_DEP_4)
	v_dual_mov_b32 v235, v191 :: v_dual_mov_b32 v215, v193
	v_pk_fma_f32 v[190:191], v[198:199], v[210:211], v[230:231] op_sel:[0,0,1] op_sel_hi:[1,0,0]
	v_pk_fma_f32 v[196:197], v[196:197], v[112:113], v[222:223] op_sel_hi:[1,1,0] neg_lo:[0,0,1] neg_hi:[0,0,1]
	v_pk_fma_f32 v[220:221], v[198:199], v[210:211], v[230:231] op_sel:[0,0,1] op_sel_hi:[1,1,0] neg_lo:[0,0,1] neg_hi:[0,0,1]
	v_dual_mov_b32 v217, v195 :: v_dual_mov_b32 v197, v219
	v_pk_fma_f32 v[194:195], v[200:201], v[210:211], v[232:233] op_sel:[0,0,1] op_sel_hi:[1,0,0]
	v_mov_b32_e32 v221, v191
	v_pk_fma_f32 v[198:199], v[200:201], v[210:211], v[232:233] op_sel:[0,0,1] op_sel_hi:[1,1,0] neg_lo:[0,0,1] neg_hi:[0,0,1]
	s_wait_dscnt 0x1
	v_pk_mul_f32 v[200:201], v[202:203], v[212:213] op_sel:[0,1]
	ds_load_2addr_b64 v[190:193], v226 offset0:30 offset1:31
	v_mov_b32_e32 v199, v195
	v_pk_mul_f32 v[194:195], v[204:205], v[212:213] op_sel:[0,1]
	v_pk_add_f32 v[128:129], v[128:129], v[196:197] neg_lo:[0,1] neg_hi:[0,1]
	v_pk_fma_f32 v[196:197], v[202:203], v[210:211], v[200:201] op_sel:[0,0,1] op_sel_hi:[1,0,0]
	v_pk_fma_f32 v[200:201], v[202:203], v[210:211], v[200:201] op_sel:[0,0,1] op_sel_hi:[1,1,0] neg_lo:[0,0,1] neg_hi:[0,0,1]
	v_pk_add_f32 v[148:149], v[148:149], v[198:199] neg_lo:[0,1] neg_hi:[0,1]
	v_pk_fma_f32 v[198:199], v[204:205], v[210:211], v[194:195] op_sel:[0,0,1] op_sel_hi:[1,0,0]
	v_pk_fma_f32 v[202:203], v[204:205], v[210:211], v[194:195] op_sel:[0,0,1] op_sel_hi:[1,1,0] neg_lo:[0,0,1] neg_hi:[0,0,1]
	s_wait_dscnt 0x1
	v_dual_mov_b32 v201, v197 :: v_dual_mul_f32 v198, v207, v210
	ds_load_2addr_b64 v[194:197], v226 offset0:32 offset1:33
	v_mov_b32_e32 v203, v199
	v_mul_f32_e32 v204, v207, v213
	v_pk_add_f32 v[142:143], v[142:143], v[200:201] neg_lo:[0,1] neg_hi:[0,1]
	v_pk_mul_f32 v[200:201], v[208:209], v[212:213] op_sel:[0,1]
	v_pk_add_f32 v[102:103], v[102:103], v[214:215] neg_lo:[0,1] neg_hi:[0,1]
	v_pk_fma_f32 v[198:199], v[206:207], v[112:113], v[198:199] op_sel:[1,0,0] op_sel_hi:[0,1,0]
	v_pk_add_f32 v[140:141], v[140:141], v[202:203] neg_lo:[0,1] neg_hi:[0,1]
	v_pk_fma_f32 v[202:203], v[206:207], v[112:113], v[204:205] op_sel_hi:[1,1,0] neg_lo:[0,0,1] neg_hi:[0,0,1]
	v_pk_fma_f32 v[206:207], v[208:209], v[210:211], v[200:201] op_sel:[0,0,1] op_sel_hi:[1,0,0]
	s_wait_dscnt 0x1
	v_pk_mul_f32 v[214:215], v[192:193], v[212:213] op_sel:[0,1]
	v_pk_mul_f32 v[204:205], v[190:191], v[212:213] op_sel:[0,1]
	v_pk_fma_f32 v[208:209], v[208:209], v[210:211], v[200:201] op_sel:[0,0,1] op_sel_hi:[1,1,0] neg_lo:[0,0,1] neg_hi:[0,0,1]
	v_pk_add_f32 v[130:131], v[130:131], v[216:217] neg_lo:[0,1] neg_hi:[0,1]
	v_mov_b32_e32 v209, v207
	v_pk_fma_f32 v[206:207], v[192:193], v[210:211], v[214:215] op_sel:[0,0,1] op_sel_hi:[1,0,0]
	v_mov_b32_e32 v203, v199
	ds_load_2addr_b64 v[198:201], v226 offset0:34 offset1:35
	v_pk_fma_f32 v[216:217], v[190:191], v[210:211], v[204:205] op_sel:[0,0,1] op_sel_hi:[1,0,0]
	v_pk_fma_f32 v[190:191], v[190:191], v[210:211], v[204:205] op_sel:[0,0,1] op_sel_hi:[1,1,0] neg_lo:[0,0,1] neg_hi:[0,0,1]
	ds_load_b64 v[204:205], v226 offset:288
	v_pk_fma_f32 v[192:193], v[192:193], v[210:211], v[214:215] op_sel:[0,0,1] op_sel_hi:[1,1,0] neg_lo:[0,0,1] neg_hi:[0,0,1]
	v_dual_mov_b32 v193, v207 :: v_dual_mov_b32 v191, v217
	s_wait_dscnt 0x2
	v_pk_mul_f32 v[206:207], v[194:195], v[212:213] op_sel:[0,1]
	v_pk_add_f32 v[126:127], v[126:127], v[202:203] neg_lo:[0,1] neg_hi:[0,1]
	v_mul_f32_e32 v202, v197, v213
	v_pk_add_f32 v[118:119], v[118:119], v[192:193] neg_lo:[0,1] neg_hi:[0,1]
	v_pk_add_f32 v[124:125], v[124:125], v[190:191] neg_lo:[0,1] neg_hi:[0,1]
	v_pk_fma_f32 v[190:191], v[194:195], v[210:211], v[206:207] op_sel:[0,0,1] op_sel_hi:[1,0,0]
	v_dual_mov_b32 v192, v197 :: v_dual_mov_b32 v193, v196
	v_mul_f32_e32 v190, v197, v210
	v_pk_fma_f32 v[194:195], v[194:195], v[210:211], v[206:207] op_sel:[0,0,1] op_sel_hi:[1,1,0] neg_lo:[0,0,1] neg_hi:[0,0,1]
	s_delay_alu instid0(VALU_DEP_4)
	v_mov_b32_e32 v195, v191
	v_pk_fma_f32 v[196:197], v[196:197], v[112:113], v[202:203] op_sel_hi:[1,1,0] neg_lo:[0,0,1] neg_hi:[0,0,1]
	v_pk_add_f32 v[120:121], v[120:121], v[208:209] neg_lo:[0,1] neg_hi:[0,1]
	s_wait_dscnt 0x1
	v_pk_mul_f32 v[206:207], v[198:199], v[212:213] op_sel:[0,1]
	v_pk_fma_f32 v[190:191], v[192:193], v[112:113], v[190:191] op_sel_hi:[1,1,0]
	v_pk_mul_f32 v[192:193], v[200:201], v[212:213] op_sel:[0,1]
	s_wait_dscnt 0x0
	v_pk_mul_f32 v[202:203], v[204:205], v[212:213] op_sel:[0,1]
	v_pk_add_f32 v[132:133], v[132:133], v[234:235] neg_lo:[0,1] neg_hi:[0,1]
	v_pk_fma_f32 v[208:209], v[198:199], v[210:211], v[206:207] op_sel:[0,0,1] op_sel_hi:[1,0,0]
	v_mov_b32_e32 v197, v191
	v_pk_fma_f32 v[190:191], v[200:201], v[210:211], v[192:193] op_sel:[0,0,1] op_sel_hi:[1,0,0]
	v_pk_fma_f32 v[198:199], v[198:199], v[210:211], v[206:207] op_sel:[0,0,1] op_sel_hi:[1,1,0] neg_lo:[0,0,1] neg_hi:[0,0,1]
	v_pk_fma_f32 v[206:207], v[204:205], v[210:211], v[202:203] op_sel:[0,0,1] op_sel_hi:[1,0,0]
	v_pk_fma_f32 v[192:193], v[200:201], v[210:211], v[192:193] op_sel:[0,0,1] op_sel_hi:[1,1,0] neg_lo:[0,0,1] neg_hi:[0,0,1]
	s_delay_alu instid0(VALU_DEP_4) | instskip(SKIP_1) | instid1(VALU_DEP_4)
	v_dual_mov_b32 v199, v209 :: v_dual_mov_b32 v193, v191
	v_pk_fma_f32 v[190:191], v[204:205], v[210:211], v[202:203] op_sel:[0,0,1] op_sel_hi:[1,1,0] neg_lo:[0,0,1] neg_hi:[0,0,1]
	v_mov_b32_e32 v191, v207
	v_pk_add_f32 v[144:145], v[144:145], v[220:221] neg_lo:[0,1] neg_hi:[0,1]
	v_pk_add_f32 v[122:123], v[122:123], v[194:195] neg_lo:[0,1] neg_hi:[0,1]
	;; [unrolled: 1-line block ×6, first 2 shown]
.LBB73_181:
	s_or_b32 exec_lo, exec_lo, s1
	s_delay_alu instid0(SALU_CYCLE_1)
	s_mov_b32 s2, exec_lo
	s_wait_dscnt 0x0
	s_barrier_signal -1
	s_barrier_wait -1
	v_cmpx_eq_u32_e32 20, v224
	s_cbranch_execz .LBB73_188
; %bb.182:
	ds_store_b64 v225, v[132:133]
	ds_store_2addr_b64 v226, v[102:103], v[130:131] offset0:21 offset1:22
	ds_store_2addr_b64 v226, v[128:129], v[144:145] offset0:23 offset1:24
	ds_store_2addr_b64 v226, v[148:149], v[142:143] offset0:25 offset1:26
	ds_store_2addr_b64 v226, v[140:141], v[126:127] offset0:27 offset1:28
	ds_store_2addr_b64 v226, v[120:121], v[124:125] offset0:29 offset1:30
	ds_store_2addr_b64 v226, v[118:119], v[122:123] offset0:31 offset1:32
	ds_store_2addr_b64 v226, v[138:139], v[136:137] offset0:33 offset1:34
	ds_store_2addr_b64 v226, v[134:135], v[146:147] offset0:35 offset1:36
	ds_load_b64 v[190:191], v225
	s_wait_dscnt 0x0
	v_cmp_neq_f32_e32 vcc_lo, 0, v190
	v_cmp_neq_f32_e64 s1, 0, v191
	s_or_b32 s1, vcc_lo, s1
	s_delay_alu instid0(SALU_CYCLE_1)
	s_and_b32 exec_lo, exec_lo, s1
	s_cbranch_execz .LBB73_188
; %bb.183:
	v_cmp_ngt_f32_e64 s1, |v190|, |v191|
                                        ; implicit-def: $vgpr192_vgpr193
	s_and_saveexec_b32 s4, s1
	s_delay_alu instid0(SALU_CYCLE_1)
	s_xor_b32 s1, exec_lo, s4
	s_cbranch_execz .LBB73_185
; %bb.184:
	v_div_scale_f32 v192, null, v191, v191, v190
	v_div_scale_f32 v195, vcc_lo, v190, v191, v190
	s_delay_alu instid0(VALU_DEP_2) | instskip(SKIP_1) | instid1(TRANS32_DEP_1)
	v_rcp_f32_e32 v193, v192
	v_nop
	v_fma_f32 v194, -v192, v193, 1.0
	s_delay_alu instid0(VALU_DEP_1) | instskip(NEXT) | instid1(VALU_DEP_1)
	v_fmac_f32_e32 v193, v194, v193
	v_mul_f32_e32 v194, v195, v193
	s_delay_alu instid0(VALU_DEP_1) | instskip(NEXT) | instid1(VALU_DEP_1)
	v_fma_f32 v196, -v192, v194, v195
	v_fmac_f32_e32 v194, v196, v193
	s_delay_alu instid0(VALU_DEP_1) | instskip(NEXT) | instid1(VALU_DEP_1)
	v_fma_f32 v192, -v192, v194, v195
	v_div_fmas_f32 v192, v192, v193, v194
	s_delay_alu instid0(VALU_DEP_1) | instskip(NEXT) | instid1(VALU_DEP_1)
	v_div_fixup_f32 v192, v192, v191, v190
	v_fmac_f32_e32 v191, v190, v192
	s_delay_alu instid0(VALU_DEP_1) | instskip(SKIP_1) | instid1(VALU_DEP_2)
	v_div_scale_f32 v190, null, v191, v191, 1.0
	v_div_scale_f32 v195, vcc_lo, 1.0, v191, 1.0
	v_rcp_f32_e32 v193, v190
	v_nop
	s_delay_alu instid0(TRANS32_DEP_1) | instskip(NEXT) | instid1(VALU_DEP_1)
	v_fma_f32 v194, -v190, v193, 1.0
	v_fmac_f32_e32 v193, v194, v193
	s_delay_alu instid0(VALU_DEP_1) | instskip(NEXT) | instid1(VALU_DEP_1)
	v_mul_f32_e32 v194, v195, v193
	v_fma_f32 v196, -v190, v194, v195
	s_delay_alu instid0(VALU_DEP_1) | instskip(NEXT) | instid1(VALU_DEP_1)
	v_fmac_f32_e32 v194, v196, v193
	v_fma_f32 v190, -v190, v194, v195
	s_delay_alu instid0(VALU_DEP_1) | instskip(NEXT) | instid1(VALU_DEP_1)
	v_div_fmas_f32 v190, v190, v193, v194
	v_div_fixup_f32 v190, v190, v191, 1.0
	s_delay_alu instid0(VALU_DEP_1)
	v_mul_f32_e32 v192, v192, v190
	v_xor_b32_e32 v193, 0x80000000, v190
                                        ; implicit-def: $vgpr190_vgpr191
.LBB73_185:
	s_and_not1_saveexec_b32 s1, s1
	s_cbranch_execz .LBB73_187
; %bb.186:
	v_div_scale_f32 v192, null, v190, v190, v191
	v_div_scale_f32 v195, vcc_lo, v191, v190, v191
	s_delay_alu instid0(VALU_DEP_2) | instskip(SKIP_1) | instid1(TRANS32_DEP_1)
	v_rcp_f32_e32 v193, v192
	v_nop
	v_fma_f32 v194, -v192, v193, 1.0
	s_delay_alu instid0(VALU_DEP_1) | instskip(NEXT) | instid1(VALU_DEP_1)
	v_fmac_f32_e32 v193, v194, v193
	v_mul_f32_e32 v194, v195, v193
	s_delay_alu instid0(VALU_DEP_1) | instskip(NEXT) | instid1(VALU_DEP_1)
	v_fma_f32 v196, -v192, v194, v195
	v_fmac_f32_e32 v194, v196, v193
	s_delay_alu instid0(VALU_DEP_1) | instskip(NEXT) | instid1(VALU_DEP_1)
	v_fma_f32 v192, -v192, v194, v195
	v_div_fmas_f32 v192, v192, v193, v194
	s_delay_alu instid0(VALU_DEP_1) | instskip(NEXT) | instid1(VALU_DEP_1)
	v_div_fixup_f32 v193, v192, v190, v191
	v_fmac_f32_e32 v190, v191, v193
	s_delay_alu instid0(VALU_DEP_1) | instskip(NEXT) | instid1(VALU_DEP_1)
	v_div_scale_f32 v191, null, v190, v190, 1.0
	v_rcp_f32_e32 v192, v191
	v_nop
	s_delay_alu instid0(TRANS32_DEP_1) | instskip(NEXT) | instid1(VALU_DEP_1)
	v_fma_f32 v194, -v191, v192, 1.0
	v_fmac_f32_e32 v192, v194, v192
	v_div_scale_f32 v194, vcc_lo, 1.0, v190, 1.0
	s_delay_alu instid0(VALU_DEP_1) | instskip(NEXT) | instid1(VALU_DEP_1)
	v_mul_f32_e32 v195, v194, v192
	v_fma_f32 v196, -v191, v195, v194
	s_delay_alu instid0(VALU_DEP_1) | instskip(NEXT) | instid1(VALU_DEP_1)
	v_fmac_f32_e32 v195, v196, v192
	v_fma_f32 v191, -v191, v195, v194
	s_delay_alu instid0(VALU_DEP_1) | instskip(NEXT) | instid1(VALU_DEP_1)
	v_div_fmas_f32 v191, v191, v192, v195
	v_div_fixup_f32 v192, v191, v190, 1.0
	s_delay_alu instid0(VALU_DEP_1)
	v_mul_f32_e64 v193, v193, -v192
.LBB73_187:
	s_or_b32 exec_lo, exec_lo, s1
	ds_store_b64 v225, v[192:193]
.LBB73_188:
	s_or_b32 exec_lo, exec_lo, s2
	s_wait_dscnt 0x0
	s_barrier_signal -1
	s_barrier_wait -1
	ds_load_b64 v[190:191], v225
	s_mov_b32 s1, exec_lo
	v_cmpx_lt_u32_e32 20, v224
	s_cbranch_execz .LBB73_190
; %bb.189:
	ds_load_2addr_b64 v[192:195], v226 offset0:21 offset1:22
	ds_load_2addr_b64 v[196:199], v226 offset0:23 offset1:24
	;; [unrolled: 1-line block ×3, first 2 shown]
	s_wait_dscnt 0x3
	v_pk_mul_f32 v[204:205], v[190:191], v[132:133] op_sel:[1,1] op_sel_hi:[0,1]
	s_delay_alu instid0(VALU_DEP_1)
	v_pk_fma_f32 v[212:213], v[190:191], v[132:133], v[204:205] op_sel_hi:[1,0,1] neg_lo:[0,0,1] neg_hi:[0,0,1]
	v_pk_fma_f32 v[214:215], v[190:191], v[132:133], v[204:205] op_sel_hi:[1,0,1]
	ds_load_2addr_b64 v[204:207], v226 offset0:27 offset1:28
	ds_load_2addr_b64 v[208:211], v226 offset0:29 offset1:30
	v_dual_mov_b32 v132, v212 :: v_dual_mov_b32 v133, v215
	s_wait_dscnt 0x4
	v_pk_mul_f32 v[216:217], v[192:193], v[214:215] op_sel:[0,1]
	v_pk_mul_f32 v[218:219], v[194:195], v[214:215] op_sel:[0,1]
	s_wait_dscnt 0x3
	v_pk_mul_f32 v[220:221], v[196:197], v[214:215] op_sel:[0,1]
	v_dual_mov_b32 v222, v199 :: v_dual_mov_b32 v223, v198
	v_dual_mul_f32 v228, v199, v215 :: v_dual_mul_f32 v230, v199, v212
	s_wait_dscnt 0x2
	v_pk_mul_f32 v[232:233], v[200:201], v[214:215] op_sel:[0,1]
	v_pk_fma_f32 v[236:237], v[192:193], v[212:213], v[216:217] op_sel:[0,0,1] op_sel_hi:[1,1,0] neg_lo:[0,0,1] neg_hi:[0,0,1]
	v_pk_fma_f32 v[192:193], v[192:193], v[212:213], v[216:217] op_sel:[0,0,1] op_sel_hi:[1,0,0]
	v_pk_fma_f32 v[216:217], v[194:195], v[212:213], v[218:219] op_sel:[0,0,1] op_sel_hi:[1,1,0] neg_lo:[0,0,1] neg_hi:[0,0,1]
	v_pk_fma_f32 v[194:195], v[194:195], v[212:213], v[218:219] op_sel:[0,0,1] op_sel_hi:[1,0,0]
	v_pk_mul_f32 v[234:235], v[202:203], v[214:215] op_sel:[0,1]
	v_pk_fma_f32 v[218:219], v[196:197], v[212:213], v[220:221] op_sel:[0,0,1] op_sel_hi:[1,1,0] neg_lo:[0,0,1] neg_hi:[0,0,1]
	v_pk_fma_f32 v[196:197], v[196:197], v[212:213], v[220:221] op_sel:[0,0,1] op_sel_hi:[1,0,0]
	v_pk_fma_f32 v[220:221], v[222:223], v[132:133], v[230:231] op_sel_hi:[1,1,0]
	v_dual_mov_b32 v237, v193 :: v_dual_mov_b32 v217, v195
	v_pk_fma_f32 v[192:193], v[200:201], v[212:213], v[232:233] op_sel:[0,0,1] op_sel_hi:[1,0,0]
	v_pk_fma_f32 v[222:223], v[200:201], v[212:213], v[232:233] op_sel:[0,0,1] op_sel_hi:[1,1,0] neg_lo:[0,0,1] neg_hi:[0,0,1]
	v_mov_b32_e32 v219, v197
	v_pk_fma_f32 v[196:197], v[202:203], v[212:213], v[234:235] op_sel:[0,0,1] op_sel_hi:[1,0,0]
	s_wait_dscnt 0x1
	v_pk_mul_f32 v[200:201], v[204:205], v[214:215] op_sel:[0,1]
	v_pk_fma_f32 v[198:199], v[198:199], v[132:133], v[228:229] op_sel_hi:[1,1,0] neg_lo:[0,0,1] neg_hi:[0,0,1]
	v_mov_b32_e32 v199, v221
	v_pk_add_f32 v[130:131], v[130:131], v[216:217] neg_lo:[0,1] neg_hi:[0,1]
	v_mov_b32_e32 v223, v193
	ds_load_2addr_b64 v[192:195], v226 offset0:31 offset1:32
	v_pk_fma_f32 v[202:203], v[202:203], v[212:213], v[234:235] op_sel:[0,0,1] op_sel_hi:[1,1,0] neg_lo:[0,0,1] neg_hi:[0,0,1]
	v_pk_mul_f32 v[216:217], v[206:207], v[214:215] op_sel:[0,1]
	v_mov_b32_e32 v203, v197
	v_pk_fma_f32 v[196:197], v[204:205], v[212:213], v[200:201] op_sel:[0,0,1] op_sel_hi:[1,0,0]
	v_pk_add_f32 v[144:145], v[144:145], v[198:199] neg_lo:[0,1] neg_hi:[0,1]
	v_pk_fma_f32 v[200:201], v[204:205], v[212:213], v[200:201] op_sel:[0,0,1] op_sel_hi:[1,1,0] neg_lo:[0,0,1] neg_hi:[0,0,1]
	v_pk_fma_f32 v[198:199], v[206:207], v[212:213], v[216:217] op_sel:[0,0,1] op_sel_hi:[1,0,0]
	v_pk_add_f32 v[142:143], v[142:143], v[202:203] neg_lo:[0,1] neg_hi:[0,1]
	v_mov_b32_e32 v201, v197
	v_pk_fma_f32 v[202:203], v[206:207], v[212:213], v[216:217] op_sel:[0,0,1] op_sel_hi:[1,1,0] neg_lo:[0,0,1] neg_hi:[0,0,1]
	s_wait_dscnt 0x1
	v_dual_mul_f32 v204, v209, v212 :: v_dual_mov_b32 v203, v199
	ds_load_2addr_b64 v[196:199], v226 offset0:33 offset1:34
	v_pk_add_f32 v[140:141], v[140:141], v[200:201] neg_lo:[0,1] neg_hi:[0,1]
	v_mul_f32_e32 v200, v209, v215
	v_pk_fma_f32 v[204:205], v[208:209], v[132:133], v[204:205] op_sel:[1,0,0] op_sel_hi:[0,1,0]
	v_pk_add_f32 v[126:127], v[126:127], v[202:203] neg_lo:[0,1] neg_hi:[0,1]
	v_pk_mul_f32 v[206:207], v[210:211], v[214:215] op_sel:[0,1]
	v_pk_add_f32 v[128:129], v[128:129], v[218:219] neg_lo:[0,1] neg_hi:[0,1]
	v_pk_fma_f32 v[208:209], v[208:209], v[132:133], v[200:201] op_sel_hi:[1,1,0] neg_lo:[0,0,1] neg_hi:[0,0,1]
	ds_load_2addr_b64 v[200:203], v226 offset0:35 offset1:36
	s_wait_dscnt 0x2
	v_pk_mul_f32 v[216:217], v[192:193], v[214:215] op_sel:[0,1]
	v_pk_fma_f32 v[218:219], v[210:211], v[212:213], v[206:207] op_sel:[0,0,1] op_sel_hi:[1,0,0]
	v_mov_b32_e32 v209, v205
	v_pk_fma_f32 v[206:207], v[210:211], v[212:213], v[206:207] op_sel:[0,0,1] op_sel_hi:[1,1,0] neg_lo:[0,0,1] neg_hi:[0,0,1]
	v_pk_mul_f32 v[210:211], v[194:195], v[214:215] op_sel:[0,1]
	v_pk_fma_f32 v[204:205], v[192:193], v[212:213], v[216:217] op_sel:[0,0,1] op_sel_hi:[1,0,0]
	v_pk_fma_f32 v[192:193], v[192:193], v[212:213], v[216:217] op_sel:[0,0,1] op_sel_hi:[1,1,0] neg_lo:[0,0,1] neg_hi:[0,0,1]
	v_mov_b32_e32 v207, v219
	v_pk_add_f32 v[120:121], v[120:121], v[208:209] neg_lo:[0,1] neg_hi:[0,1]
	v_pk_add_f32 v[102:103], v[102:103], v[236:237] neg_lo:[0,1] neg_hi:[0,1]
	v_mov_b32_e32 v193, v205
	s_wait_dscnt 0x1
	v_pk_mul_f32 v[208:209], v[196:197], v[214:215] op_sel:[0,1]
	v_pk_fma_f32 v[204:205], v[194:195], v[212:213], v[210:211] op_sel:[0,0,1] op_sel_hi:[1,0,0]
	v_mov_b32_e32 v204, v199
	v_pk_add_f32 v[124:125], v[124:125], v[206:207] neg_lo:[0,1] neg_hi:[0,1]
	v_pk_add_f32 v[118:119], v[118:119], v[192:193] neg_lo:[0,1] neg_hi:[0,1]
	v_pk_fma_f32 v[192:193], v[194:195], v[212:213], v[210:211] op_sel:[0,0,1] op_sel_hi:[1,1,0] neg_lo:[0,0,1] neg_hi:[0,0,1]
	v_pk_fma_f32 v[194:195], v[196:197], v[212:213], v[208:209] op_sel:[0,0,1] op_sel_hi:[1,1,0] neg_lo:[0,0,1] neg_hi:[0,0,1]
	v_pk_fma_f32 v[196:197], v[196:197], v[212:213], v[208:209] op_sel:[0,0,1] op_sel_hi:[1,0,0]
	v_dual_mov_b32 v193, v205 :: v_dual_mov_b32 v205, v198
	v_dual_mul_f32 v206, v199, v212 :: v_dual_mul_f32 v196, v199, v215
	s_wait_dscnt 0x0
	v_pk_mul_f32 v[208:209], v[200:201], v[214:215] op_sel:[0,1]
	v_pk_mul_f32 v[210:211], v[202:203], v[214:215] op_sel:[0,1]
	v_pk_add_f32 v[148:149], v[148:149], v[222:223] neg_lo:[0,1] neg_hi:[0,1]
	v_pk_fma_f32 v[204:205], v[204:205], v[132:133], v[206:207] op_sel_hi:[1,1,0]
	v_mov_b32_e32 v195, v197
	v_pk_fma_f32 v[206:207], v[200:201], v[212:213], v[208:209] op_sel:[0,0,1] op_sel_hi:[1,0,0]
	v_pk_fma_f32 v[196:197], v[198:199], v[132:133], v[196:197] op_sel_hi:[1,1,0] neg_lo:[0,0,1] neg_hi:[0,0,1]
	v_pk_fma_f32 v[198:199], v[202:203], v[212:213], v[210:211] op_sel:[0,0,1] op_sel_hi:[1,0,0]
	v_pk_fma_f32 v[200:201], v[200:201], v[212:213], v[208:209] op_sel:[0,0,1] op_sel_hi:[1,1,0] neg_lo:[0,0,1] neg_hi:[0,0,1]
	v_pk_fma_f32 v[202:203], v[202:203], v[212:213], v[210:211] op_sel:[0,0,1] op_sel_hi:[1,1,0] neg_lo:[0,0,1] neg_hi:[0,0,1]
	v_dual_mov_b32 v197, v205 :: v_dual_mov_b32 v201, v207
	s_delay_alu instid0(VALU_DEP_4) | instskip(SKIP_2) | instid1(VALU_DEP_4)
	v_mov_b32_e32 v203, v199
	v_pk_add_f32 v[122:123], v[122:123], v[192:193] neg_lo:[0,1] neg_hi:[0,1]
	v_pk_add_f32 v[138:139], v[138:139], v[194:195] neg_lo:[0,1] neg_hi:[0,1]
	;; [unrolled: 1-line block ×5, first 2 shown]
.LBB73_190:
	s_or_b32 exec_lo, exec_lo, s1
	s_delay_alu instid0(SALU_CYCLE_1)
	s_mov_b32 s2, exec_lo
	s_wait_dscnt 0x0
	s_barrier_signal -1
	s_barrier_wait -1
	v_cmpx_eq_u32_e32 21, v224
	s_cbranch_execz .LBB73_197
; %bb.191:
	v_dual_mov_b32 v192, v130 :: v_dual_mov_b32 v193, v131
	v_dual_mov_b32 v194, v128 :: v_dual_mov_b32 v195, v129
	;; [unrolled: 1-line block ×4, first 2 shown]
	ds_store_b64 v225, v[102:103]
	ds_store_2addr_b64 v226, v[192:193], v[194:195] offset0:22 offset1:23
	ds_store_2addr_b64 v226, v[196:197], v[198:199] offset0:24 offset1:25
	v_dual_mov_b32 v192, v142 :: v_dual_mov_b32 v193, v143
	v_dual_mov_b32 v194, v140 :: v_dual_mov_b32 v195, v141
	;; [unrolled: 1-line block ×10, first 2 shown]
	ds_store_2addr_b64 v226, v[192:193], v[194:195] offset0:26 offset1:27
	ds_store_2addr_b64 v226, v[196:197], v[198:199] offset0:28 offset1:29
	;; [unrolled: 1-line block ×5, first 2 shown]
	ds_store_b64 v226, v[146:147] offset:288
	ds_load_b64 v[192:193], v225
	s_wait_dscnt 0x0
	v_cmp_neq_f32_e32 vcc_lo, 0, v192
	v_cmp_neq_f32_e64 s1, 0, v193
	s_or_b32 s1, vcc_lo, s1
	s_delay_alu instid0(SALU_CYCLE_1)
	s_and_b32 exec_lo, exec_lo, s1
	s_cbranch_execz .LBB73_197
; %bb.192:
	v_cmp_ngt_f32_e64 s1, |v192|, |v193|
                                        ; implicit-def: $vgpr194_vgpr195
	s_and_saveexec_b32 s4, s1
	s_delay_alu instid0(SALU_CYCLE_1)
	s_xor_b32 s1, exec_lo, s4
	s_cbranch_execz .LBB73_194
; %bb.193:
	v_div_scale_f32 v194, null, v193, v193, v192
	v_div_scale_f32 v197, vcc_lo, v192, v193, v192
	s_delay_alu instid0(VALU_DEP_2) | instskip(SKIP_1) | instid1(TRANS32_DEP_1)
	v_rcp_f32_e32 v195, v194
	v_nop
	v_fma_f32 v196, -v194, v195, 1.0
	s_delay_alu instid0(VALU_DEP_1) | instskip(NEXT) | instid1(VALU_DEP_1)
	v_fmac_f32_e32 v195, v196, v195
	v_mul_f32_e32 v196, v197, v195
	s_delay_alu instid0(VALU_DEP_1) | instskip(NEXT) | instid1(VALU_DEP_1)
	v_fma_f32 v198, -v194, v196, v197
	v_fmac_f32_e32 v196, v198, v195
	s_delay_alu instid0(VALU_DEP_1) | instskip(NEXT) | instid1(VALU_DEP_1)
	v_fma_f32 v194, -v194, v196, v197
	v_div_fmas_f32 v194, v194, v195, v196
	s_delay_alu instid0(VALU_DEP_1) | instskip(NEXT) | instid1(VALU_DEP_1)
	v_div_fixup_f32 v194, v194, v193, v192
	v_fmac_f32_e32 v193, v192, v194
	s_delay_alu instid0(VALU_DEP_1) | instskip(SKIP_1) | instid1(VALU_DEP_2)
	v_div_scale_f32 v192, null, v193, v193, 1.0
	v_div_scale_f32 v197, vcc_lo, 1.0, v193, 1.0
	v_rcp_f32_e32 v195, v192
	v_nop
	s_delay_alu instid0(TRANS32_DEP_1) | instskip(NEXT) | instid1(VALU_DEP_1)
	v_fma_f32 v196, -v192, v195, 1.0
	v_fmac_f32_e32 v195, v196, v195
	s_delay_alu instid0(VALU_DEP_1) | instskip(NEXT) | instid1(VALU_DEP_1)
	v_mul_f32_e32 v196, v197, v195
	v_fma_f32 v198, -v192, v196, v197
	s_delay_alu instid0(VALU_DEP_1) | instskip(NEXT) | instid1(VALU_DEP_1)
	v_fmac_f32_e32 v196, v198, v195
	v_fma_f32 v192, -v192, v196, v197
	s_delay_alu instid0(VALU_DEP_1) | instskip(NEXT) | instid1(VALU_DEP_1)
	v_div_fmas_f32 v192, v192, v195, v196
	v_div_fixup_f32 v192, v192, v193, 1.0
	s_delay_alu instid0(VALU_DEP_1)
	v_mul_f32_e32 v194, v194, v192
	v_xor_b32_e32 v195, 0x80000000, v192
                                        ; implicit-def: $vgpr192_vgpr193
.LBB73_194:
	s_and_not1_saveexec_b32 s1, s1
	s_cbranch_execz .LBB73_196
; %bb.195:
	v_div_scale_f32 v194, null, v192, v192, v193
	v_div_scale_f32 v197, vcc_lo, v193, v192, v193
	s_delay_alu instid0(VALU_DEP_2) | instskip(SKIP_1) | instid1(TRANS32_DEP_1)
	v_rcp_f32_e32 v195, v194
	v_nop
	v_fma_f32 v196, -v194, v195, 1.0
	s_delay_alu instid0(VALU_DEP_1) | instskip(NEXT) | instid1(VALU_DEP_1)
	v_fmac_f32_e32 v195, v196, v195
	v_mul_f32_e32 v196, v197, v195
	s_delay_alu instid0(VALU_DEP_1) | instskip(NEXT) | instid1(VALU_DEP_1)
	v_fma_f32 v198, -v194, v196, v197
	v_fmac_f32_e32 v196, v198, v195
	s_delay_alu instid0(VALU_DEP_1) | instskip(NEXT) | instid1(VALU_DEP_1)
	v_fma_f32 v194, -v194, v196, v197
	v_div_fmas_f32 v194, v194, v195, v196
	s_delay_alu instid0(VALU_DEP_1) | instskip(NEXT) | instid1(VALU_DEP_1)
	v_div_fixup_f32 v195, v194, v192, v193
	v_fmac_f32_e32 v192, v193, v195
	s_delay_alu instid0(VALU_DEP_1) | instskip(NEXT) | instid1(VALU_DEP_1)
	v_div_scale_f32 v193, null, v192, v192, 1.0
	v_rcp_f32_e32 v194, v193
	v_nop
	s_delay_alu instid0(TRANS32_DEP_1) | instskip(NEXT) | instid1(VALU_DEP_1)
	v_fma_f32 v196, -v193, v194, 1.0
	v_fmac_f32_e32 v194, v196, v194
	v_div_scale_f32 v196, vcc_lo, 1.0, v192, 1.0
	s_delay_alu instid0(VALU_DEP_1) | instskip(NEXT) | instid1(VALU_DEP_1)
	v_mul_f32_e32 v197, v196, v194
	v_fma_f32 v198, -v193, v197, v196
	s_delay_alu instid0(VALU_DEP_1) | instskip(NEXT) | instid1(VALU_DEP_1)
	v_fmac_f32_e32 v197, v198, v194
	v_fma_f32 v193, -v193, v197, v196
	s_delay_alu instid0(VALU_DEP_1) | instskip(NEXT) | instid1(VALU_DEP_1)
	v_div_fmas_f32 v193, v193, v194, v197
	v_div_fixup_f32 v194, v193, v192, 1.0
	s_delay_alu instid0(VALU_DEP_1)
	v_mul_f32_e64 v195, v195, -v194
.LBB73_196:
	s_or_b32 exec_lo, exec_lo, s1
	ds_store_b64 v225, v[194:195]
.LBB73_197:
	s_or_b32 exec_lo, exec_lo, s2
	s_wait_dscnt 0x0
	s_barrier_signal -1
	s_barrier_wait -1
	ds_load_b64 v[192:193], v225
	s_mov_b32 s1, exec_lo
	v_cmpx_lt_u32_e32 21, v224
	s_cbranch_execz .LBB73_199
; %bb.198:
	ds_load_2addr_b64 v[194:197], v226 offset0:22 offset1:23
	ds_load_2addr_b64 v[198:201], v226 offset0:24 offset1:25
	;; [unrolled: 1-line block ×3, first 2 shown]
	s_wait_dscnt 0x3
	v_pk_mul_f32 v[210:211], v[192:193], v[102:103] op_sel:[1,1] op_sel_hi:[0,1]
	ds_load_2addr_b64 v[206:209], v226 offset0:28 offset1:29
	v_pk_fma_f32 v[216:217], v[192:193], v[102:103], v[210:211] op_sel_hi:[1,0,1]
	v_pk_fma_f32 v[214:215], v[192:193], v[102:103], v[210:211] op_sel_hi:[1,0,1] neg_lo:[0,0,1] neg_hi:[0,0,1]
	ds_load_2addr_b64 v[210:213], v226 offset0:30 offset1:31
	v_dual_mov_b32 v103, v217 :: v_dual_mov_b32 v102, v214
	s_wait_dscnt 0x4
	v_pk_mul_f32 v[218:219], v[194:195], v[216:217] op_sel:[0,1]
	v_pk_mul_f32 v[220:221], v[196:197], v[216:217] op_sel:[0,1]
	s_wait_dscnt 0x3
	v_pk_mul_f32 v[222:223], v[198:199], v[216:217] op_sel:[0,1]
	s_wait_dscnt 0x2
	v_pk_mul_f32 v[234:235], v[202:203], v[216:217] op_sel:[0,1]
	v_dual_mov_b32 v228, v201 :: v_dual_mov_b32 v229, v200
	v_pk_fma_f32 v[240:241], v[194:195], v[214:215], v[218:219] op_sel:[0,0,1] op_sel_hi:[1,1,0] neg_lo:[0,0,1] neg_hi:[0,0,1]
	v_pk_fma_f32 v[194:195], v[194:195], v[214:215], v[218:219] op_sel:[0,0,1] op_sel_hi:[1,0,0]
	v_pk_fma_f32 v[218:219], v[196:197], v[214:215], v[220:221] op_sel:[0,0,1] op_sel_hi:[1,1,0] neg_lo:[0,0,1] neg_hi:[0,0,1]
	v_pk_fma_f32 v[196:197], v[196:197], v[214:215], v[220:221] op_sel:[0,0,1] op_sel_hi:[1,0,0]
	v_dual_mul_f32 v230, v201, v217 :: v_dual_mul_f32 v232, v201, v214
	v_pk_fma_f32 v[220:221], v[198:199], v[214:215], v[222:223] op_sel:[0,0,1] op_sel_hi:[1,1,0] neg_lo:[0,0,1] neg_hi:[0,0,1]
	v_pk_fma_f32 v[198:199], v[198:199], v[214:215], v[222:223] op_sel:[0,0,1] op_sel_hi:[1,0,0]
	v_pk_mul_f32 v[236:237], v[204:205], v[216:217] op_sel:[0,1]
	v_dual_mov_b32 v241, v195 :: v_dual_mov_b32 v219, v197
	v_pk_fma_f32 v[194:195], v[202:203], v[214:215], v[234:235] op_sel:[0,0,1] op_sel_hi:[1,0,0]
	s_wait_dscnt 0x1
	v_pk_mul_f32 v[238:239], v[206:207], v[216:217] op_sel:[0,1]
	v_pk_fma_f32 v[222:223], v[228:229], v[102:103], v[232:233] op_sel_hi:[1,1,0]
	v_mov_b32_e32 v221, v199
	v_pk_fma_f32 v[198:199], v[202:203], v[214:215], v[234:235] op_sel:[0,0,1] op_sel_hi:[1,1,0] neg_lo:[0,0,1] neg_hi:[0,0,1]
	v_pk_fma_f32 v[202:203], v[204:205], v[214:215], v[236:237] op_sel:[0,0,1] op_sel_hi:[1,0,0]
	v_mov_b32_e32 v199, v195
	ds_load_2addr_b64 v[194:197], v226 offset0:32 offset1:33
	v_pk_fma_f32 v[200:201], v[200:201], v[102:103], v[230:231] op_sel_hi:[1,1,0] neg_lo:[0,0,1] neg_hi:[0,0,1]
	v_pk_add_f32 v[128:129], v[128:129], v[218:219] neg_lo:[0,1] neg_hi:[0,1]
	v_pk_fma_f32 v[218:219], v[206:207], v[214:215], v[238:239] op_sel:[0,0,1] op_sel_hi:[1,0,0]
	v_mov_b32_e32 v201, v223
	v_pk_fma_f32 v[204:205], v[204:205], v[214:215], v[236:237] op_sel:[0,0,1] op_sel_hi:[1,1,0] neg_lo:[0,0,1] neg_hi:[0,0,1]
	v_mov_b32_e32 v205, v203
	v_pk_fma_f32 v[202:203], v[206:207], v[214:215], v[238:239] op_sel:[0,0,1] op_sel_hi:[1,1,0] neg_lo:[0,0,1] neg_hi:[0,0,1]
	v_pk_mul_f32 v[206:207], v[208:209], v[216:217] op_sel:[0,1]
	v_mov_b32_e32 v203, v219
	v_pk_add_f32 v[148:149], v[148:149], v[200:201] neg_lo:[0,1] neg_hi:[0,1]
	v_pk_add_f32 v[142:143], v[142:143], v[198:199] neg_lo:[0,1] neg_hi:[0,1]
	ds_load_2addr_b64 v[198:201], v226 offset0:34 offset1:35
	v_pk_add_f32 v[144:145], v[144:145], v[220:221] neg_lo:[0,1] neg_hi:[0,1]
	v_pk_add_f32 v[140:141], v[140:141], v[204:205] neg_lo:[0,1] neg_hi:[0,1]
	v_pk_fma_f32 v[204:205], v[208:209], v[214:215], v[206:207] op_sel:[0,0,1] op_sel_hi:[1,0,0]
	ds_load_b64 v[220:221], v226 offset:288
	v_pk_add_f32 v[126:127], v[126:127], v[202:203] neg_lo:[0,1] neg_hi:[0,1]
	v_pk_fma_f32 v[202:203], v[208:209], v[214:215], v[206:207] op_sel:[0,0,1] op_sel_hi:[1,1,0] neg_lo:[0,0,1] neg_hi:[0,0,1]
	s_wait_dscnt 0x3
	v_dual_mul_f32 v204, v211, v214 :: v_dual_mul_f32 v208, v211, v217
	v_pk_mul_f32 v[206:207], v[212:213], v[216:217] op_sel:[0,1]
	v_pk_add_f32 v[130:131], v[130:131], v[240:241] neg_lo:[0,1] neg_hi:[0,1]
	s_delay_alu instid0(VALU_DEP_3) | instskip(NEXT) | instid1(VALU_DEP_3)
	v_pk_fma_f32 v[208:209], v[210:211], v[102:103], v[208:209] op_sel_hi:[1,1,0] neg_lo:[0,0,1] neg_hi:[0,0,1]
	v_pk_fma_f32 v[218:219], v[212:213], v[214:215], v[206:207] op_sel:[0,0,1] op_sel_hi:[1,0,0]
	v_mov_b32_e32 v203, v205
	v_pk_fma_f32 v[204:205], v[210:211], v[102:103], v[204:205] op_sel:[1,0,0] op_sel_hi:[0,1,0]
	s_wait_dscnt 0x2
	v_pk_mul_f32 v[210:211], v[194:195], v[216:217] op_sel:[0,1]
	s_delay_alu instid0(VALU_DEP_2)
	v_mov_b32_e32 v209, v205
	v_pk_fma_f32 v[204:205], v[212:213], v[214:215], v[206:207] op_sel:[0,0,1] op_sel_hi:[1,1,0] neg_lo:[0,0,1] neg_hi:[0,0,1]
	v_mov_b32_e32 v205, v219
	v_pk_add_f32 v[120:121], v[120:121], v[202:203] neg_lo:[0,1] neg_hi:[0,1]
	v_pk_fma_f32 v[202:203], v[194:195], v[214:215], v[210:211] op_sel:[0,0,1] op_sel_hi:[1,0,0]
	v_pk_mul_f32 v[206:207], v[196:197], v[216:217] op_sel:[0,1]
	v_pk_fma_f32 v[194:195], v[194:195], v[214:215], v[210:211] op_sel:[0,0,1] op_sel_hi:[1,1,0] neg_lo:[0,0,1] neg_hi:[0,0,1]
	v_pk_add_f32 v[118:119], v[118:119], v[204:205] neg_lo:[0,1] neg_hi:[0,1]
	s_wait_dscnt 0x1
	v_pk_mul_f32 v[204:205], v[198:199], v[216:217] op_sel:[0,1]
	v_mov_b32_e32 v195, v203
	v_pk_fma_f32 v[202:203], v[196:197], v[214:215], v[206:207] op_sel:[0,0,1] op_sel_hi:[1,1,0] neg_lo:[0,0,1] neg_hi:[0,0,1]
	v_pk_fma_f32 v[196:197], v[196:197], v[214:215], v[206:207] op_sel:[0,0,1] op_sel_hi:[1,0,0]
	v_dual_mov_b32 v206, v201 :: v_dual_mov_b32 v207, v200
	v_mul_f32_e32 v196, v201, v214
	v_pk_add_f32 v[124:125], v[124:125], v[208:209] neg_lo:[0,1] neg_hi:[0,1]
	s_wait_dscnt 0x0
	v_pk_mul_f32 v[208:209], v[220:221], v[216:217] op_sel:[0,1]
	v_pk_fma_f32 v[210:211], v[198:199], v[214:215], v[204:205] op_sel:[0,0,1] op_sel_hi:[1,0,0]
	v_mul_f32_e32 v210, v201, v217
	v_mov_b32_e32 v203, v197
	v_pk_fma_f32 v[196:197], v[206:207], v[102:103], v[196:197] op_sel_hi:[1,1,0]
	v_pk_fma_f32 v[198:199], v[198:199], v[214:215], v[204:205] op_sel:[0,0,1] op_sel_hi:[1,1,0] neg_lo:[0,0,1] neg_hi:[0,0,1]
	v_pk_fma_f32 v[204:205], v[220:221], v[214:215], v[208:209] op_sel:[0,0,1] op_sel_hi:[1,0,0]
	v_pk_fma_f32 v[200:201], v[200:201], v[102:103], v[210:211] op_sel_hi:[1,1,0] neg_lo:[0,0,1] neg_hi:[0,0,1]
	s_delay_alu instid0(VALU_DEP_4) | instskip(SKIP_1) | instid1(VALU_DEP_4)
	v_dual_mov_b32 v199, v211 :: v_dual_mov_b32 v201, v197
	v_pk_fma_f32 v[196:197], v[220:221], v[214:215], v[208:209] op_sel:[0,0,1] op_sel_hi:[1,1,0] neg_lo:[0,0,1] neg_hi:[0,0,1]
	v_mov_b32_e32 v197, v205
	v_pk_add_f32 v[122:123], v[122:123], v[194:195] neg_lo:[0,1] neg_hi:[0,1]
	v_pk_add_f32 v[138:139], v[138:139], v[202:203] neg_lo:[0,1] neg_hi:[0,1]
	;; [unrolled: 1-line block ×5, first 2 shown]
.LBB73_199:
	s_or_b32 exec_lo, exec_lo, s1
	s_delay_alu instid0(SALU_CYCLE_1)
	s_mov_b32 s2, exec_lo
	s_wait_dscnt 0x0
	s_barrier_signal -1
	s_barrier_wait -1
	v_cmpx_eq_u32_e32 22, v224
	s_cbranch_execz .LBB73_206
; %bb.200:
	ds_store_b64 v225, v[130:131]
	ds_store_2addr_b64 v226, v[128:129], v[144:145] offset0:23 offset1:24
	ds_store_2addr_b64 v226, v[148:149], v[142:143] offset0:25 offset1:26
	;; [unrolled: 1-line block ×7, first 2 shown]
	ds_load_b64 v[194:195], v225
	s_wait_dscnt 0x0
	v_cmp_neq_f32_e32 vcc_lo, 0, v194
	v_cmp_neq_f32_e64 s1, 0, v195
	s_or_b32 s1, vcc_lo, s1
	s_delay_alu instid0(SALU_CYCLE_1)
	s_and_b32 exec_lo, exec_lo, s1
	s_cbranch_execz .LBB73_206
; %bb.201:
	v_cmp_ngt_f32_e64 s1, |v194|, |v195|
                                        ; implicit-def: $vgpr196_vgpr197
	s_and_saveexec_b32 s4, s1
	s_delay_alu instid0(SALU_CYCLE_1)
	s_xor_b32 s1, exec_lo, s4
	s_cbranch_execz .LBB73_203
; %bb.202:
	v_div_scale_f32 v196, null, v195, v195, v194
	v_div_scale_f32 v199, vcc_lo, v194, v195, v194
	s_delay_alu instid0(VALU_DEP_2) | instskip(SKIP_1) | instid1(TRANS32_DEP_1)
	v_rcp_f32_e32 v197, v196
	v_nop
	v_fma_f32 v198, -v196, v197, 1.0
	s_delay_alu instid0(VALU_DEP_1) | instskip(NEXT) | instid1(VALU_DEP_1)
	v_fmac_f32_e32 v197, v198, v197
	v_mul_f32_e32 v198, v199, v197
	s_delay_alu instid0(VALU_DEP_1) | instskip(NEXT) | instid1(VALU_DEP_1)
	v_fma_f32 v200, -v196, v198, v199
	v_fmac_f32_e32 v198, v200, v197
	s_delay_alu instid0(VALU_DEP_1) | instskip(NEXT) | instid1(VALU_DEP_1)
	v_fma_f32 v196, -v196, v198, v199
	v_div_fmas_f32 v196, v196, v197, v198
	s_delay_alu instid0(VALU_DEP_1) | instskip(NEXT) | instid1(VALU_DEP_1)
	v_div_fixup_f32 v196, v196, v195, v194
	v_fmac_f32_e32 v195, v194, v196
	s_delay_alu instid0(VALU_DEP_1) | instskip(SKIP_1) | instid1(VALU_DEP_2)
	v_div_scale_f32 v194, null, v195, v195, 1.0
	v_div_scale_f32 v199, vcc_lo, 1.0, v195, 1.0
	v_rcp_f32_e32 v197, v194
	v_nop
	s_delay_alu instid0(TRANS32_DEP_1) | instskip(NEXT) | instid1(VALU_DEP_1)
	v_fma_f32 v198, -v194, v197, 1.0
	v_fmac_f32_e32 v197, v198, v197
	s_delay_alu instid0(VALU_DEP_1) | instskip(NEXT) | instid1(VALU_DEP_1)
	v_mul_f32_e32 v198, v199, v197
	v_fma_f32 v200, -v194, v198, v199
	s_delay_alu instid0(VALU_DEP_1) | instskip(NEXT) | instid1(VALU_DEP_1)
	v_fmac_f32_e32 v198, v200, v197
	v_fma_f32 v194, -v194, v198, v199
	s_delay_alu instid0(VALU_DEP_1) | instskip(NEXT) | instid1(VALU_DEP_1)
	v_div_fmas_f32 v194, v194, v197, v198
	v_div_fixup_f32 v194, v194, v195, 1.0
	s_delay_alu instid0(VALU_DEP_1)
	v_mul_f32_e32 v196, v196, v194
	v_xor_b32_e32 v197, 0x80000000, v194
                                        ; implicit-def: $vgpr194_vgpr195
.LBB73_203:
	s_and_not1_saveexec_b32 s1, s1
	s_cbranch_execz .LBB73_205
; %bb.204:
	v_div_scale_f32 v196, null, v194, v194, v195
	v_div_scale_f32 v199, vcc_lo, v195, v194, v195
	s_delay_alu instid0(VALU_DEP_2) | instskip(SKIP_1) | instid1(TRANS32_DEP_1)
	v_rcp_f32_e32 v197, v196
	v_nop
	v_fma_f32 v198, -v196, v197, 1.0
	s_delay_alu instid0(VALU_DEP_1) | instskip(NEXT) | instid1(VALU_DEP_1)
	v_fmac_f32_e32 v197, v198, v197
	v_mul_f32_e32 v198, v199, v197
	s_delay_alu instid0(VALU_DEP_1) | instskip(NEXT) | instid1(VALU_DEP_1)
	v_fma_f32 v200, -v196, v198, v199
	v_fmac_f32_e32 v198, v200, v197
	s_delay_alu instid0(VALU_DEP_1) | instskip(NEXT) | instid1(VALU_DEP_1)
	v_fma_f32 v196, -v196, v198, v199
	v_div_fmas_f32 v196, v196, v197, v198
	s_delay_alu instid0(VALU_DEP_1) | instskip(NEXT) | instid1(VALU_DEP_1)
	v_div_fixup_f32 v197, v196, v194, v195
	v_fmac_f32_e32 v194, v195, v197
	s_delay_alu instid0(VALU_DEP_1) | instskip(NEXT) | instid1(VALU_DEP_1)
	v_div_scale_f32 v195, null, v194, v194, 1.0
	v_rcp_f32_e32 v196, v195
	v_nop
	s_delay_alu instid0(TRANS32_DEP_1) | instskip(NEXT) | instid1(VALU_DEP_1)
	v_fma_f32 v198, -v195, v196, 1.0
	v_fmac_f32_e32 v196, v198, v196
	v_div_scale_f32 v198, vcc_lo, 1.0, v194, 1.0
	s_delay_alu instid0(VALU_DEP_1) | instskip(NEXT) | instid1(VALU_DEP_1)
	v_mul_f32_e32 v199, v198, v196
	v_fma_f32 v200, -v195, v199, v198
	s_delay_alu instid0(VALU_DEP_1) | instskip(NEXT) | instid1(VALU_DEP_1)
	v_fmac_f32_e32 v199, v200, v196
	v_fma_f32 v195, -v195, v199, v198
	s_delay_alu instid0(VALU_DEP_1) | instskip(NEXT) | instid1(VALU_DEP_1)
	v_div_fmas_f32 v195, v195, v196, v199
	v_div_fixup_f32 v196, v195, v194, 1.0
	s_delay_alu instid0(VALU_DEP_1)
	v_mul_f32_e64 v197, v197, -v196
.LBB73_205:
	s_or_b32 exec_lo, exec_lo, s1
	ds_store_b64 v225, v[196:197]
.LBB73_206:
	s_or_b32 exec_lo, exec_lo, s2
	s_wait_dscnt 0x0
	s_barrier_signal -1
	s_barrier_wait -1
	ds_load_b64 v[194:195], v225
	s_mov_b32 s1, exec_lo
	v_cmpx_lt_u32_e32 22, v224
	s_cbranch_execz .LBB73_208
; %bb.207:
	ds_load_2addr_b64 v[196:199], v226 offset0:23 offset1:24
	ds_load_2addr_b64 v[200:203], v226 offset0:25 offset1:26
	;; [unrolled: 1-line block ×3, first 2 shown]
	s_wait_dscnt 0x3
	v_pk_mul_f32 v[208:209], v[194:195], v[130:131] op_sel:[1,1] op_sel_hi:[0,1]
	s_delay_alu instid0(VALU_DEP_1)
	v_pk_fma_f32 v[218:219], v[194:195], v[130:131], v[208:209] op_sel_hi:[1,0,1]
	v_pk_fma_f32 v[216:217], v[194:195], v[130:131], v[208:209] op_sel_hi:[1,0,1] neg_lo:[0,0,1] neg_hi:[0,0,1]
	ds_load_2addr_b64 v[208:211], v226 offset0:29 offset1:30
	ds_load_2addr_b64 v[212:215], v226 offset0:31 offset1:32
	v_dual_mov_b32 v131, v219 :: v_dual_mov_b32 v130, v216
	s_wait_dscnt 0x4
	v_pk_mul_f32 v[220:221], v[196:197], v[218:219] op_sel:[0,1]
	v_pk_mul_f32 v[222:223], v[198:199], v[218:219] op_sel:[0,1]
	s_wait_dscnt 0x3
	v_pk_mul_f32 v[228:229], v[200:201], v[218:219] op_sel:[0,1]
	v_dual_mov_b32 v230, v203 :: v_dual_mov_b32 v231, v202
	v_dual_mul_f32 v232, v203, v219 :: v_dual_mul_f32 v234, v203, v216
	s_wait_dscnt 0x2
	v_pk_mul_f32 v[236:237], v[204:205], v[218:219] op_sel:[0,1]
	v_pk_mul_f32 v[238:239], v[206:207], v[218:219] op_sel:[0,1]
	v_pk_fma_f32 v[240:241], v[196:197], v[216:217], v[220:221] op_sel:[0,0,1] op_sel_hi:[1,1,0] neg_lo:[0,0,1] neg_hi:[0,0,1]
	v_pk_fma_f32 v[196:197], v[196:197], v[216:217], v[220:221] op_sel:[0,0,1] op_sel_hi:[1,0,0]
	v_pk_fma_f32 v[220:221], v[198:199], v[216:217], v[222:223] op_sel:[0,0,1] op_sel_hi:[1,1,0] neg_lo:[0,0,1] neg_hi:[0,0,1]
	v_pk_fma_f32 v[198:199], v[198:199], v[216:217], v[222:223] op_sel:[0,0,1] op_sel_hi:[1,0,0]
	;; [unrolled: 2-line block ×3, first 2 shown]
	v_pk_fma_f32 v[228:229], v[230:231], v[130:131], v[234:235] op_sel_hi:[1,1,0]
	v_pk_fma_f32 v[230:231], v[204:205], v[216:217], v[236:237] op_sel:[0,0,1] op_sel_hi:[1,0,0]
	v_dual_mov_b32 v241, v197 :: v_dual_mov_b32 v221, v199
	v_pk_fma_f32 v[196:197], v[206:207], v[216:217], v[238:239] op_sel:[0,0,1] op_sel_hi:[1,0,0]
	v_mov_b32_e32 v223, v201
	v_pk_fma_f32 v[200:201], v[204:205], v[216:217], v[236:237] op_sel:[0,0,1] op_sel_hi:[1,1,0] neg_lo:[0,0,1] neg_hi:[0,0,1]
	v_pk_fma_f32 v[204:205], v[206:207], v[216:217], v[238:239] op_sel:[0,0,1] op_sel_hi:[1,1,0] neg_lo:[0,0,1] neg_hi:[0,0,1]
	s_delay_alu instid0(VALU_DEP_4)
	v_dual_mov_b32 v201, v231 :: v_dual_mov_b32 v205, v197
	ds_load_2addr_b64 v[196:199], v226 offset0:33 offset1:34
	v_pk_fma_f32 v[202:203], v[202:203], v[130:131], v[232:233] op_sel_hi:[1,1,0] neg_lo:[0,0,1] neg_hi:[0,0,1]
	s_wait_dscnt 0x2
	v_pk_mul_f32 v[206:207], v[208:209], v[218:219] op_sel:[0,1]
	v_mov_b32_e32 v203, v229
	v_pk_add_f32 v[144:145], v[144:145], v[220:221] neg_lo:[0,1] neg_hi:[0,1]
	v_pk_add_f32 v[126:127], v[126:127], v[204:205] neg_lo:[0,1] neg_hi:[0,1]
	v_pk_mul_f32 v[220:221], v[210:211], v[218:219] op_sel:[0,1]
	v_pk_fma_f32 v[204:205], v[208:209], v[216:217], v[206:207] op_sel:[0,0,1] op_sel_hi:[1,0,0]
	v_pk_add_f32 v[142:143], v[142:143], v[202:203] neg_lo:[0,1] neg_hi:[0,1]
	v_pk_add_f32 v[140:141], v[140:141], v[200:201] neg_lo:[0,1] neg_hi:[0,1]
	ds_load_2addr_b64 v[200:203], v226 offset0:35 offset1:36
	v_pk_fma_f32 v[206:207], v[208:209], v[216:217], v[206:207] op_sel:[0,0,1] op_sel_hi:[1,1,0] neg_lo:[0,0,1] neg_hi:[0,0,1]
	s_wait_dscnt 0x2
	v_mul_f32_e32 v204, v213, v216
	v_pk_fma_f32 v[208:209], v[210:211], v[216:217], v[220:221] op_sel:[0,0,1] op_sel_hi:[1,0,0]
	v_mov_b32_e32 v207, v205
	v_mul_f32_e32 v208, v213, v219
	v_pk_fma_f32 v[210:211], v[210:211], v[216:217], v[220:221] op_sel:[0,0,1] op_sel_hi:[1,1,0] neg_lo:[0,0,1] neg_hi:[0,0,1]
	v_pk_fma_f32 v[204:205], v[212:213], v[130:131], v[204:205] op_sel:[1,0,0] op_sel_hi:[0,1,0]
	v_mov_b32_e32 v211, v209
	v_pk_add_f32 v[120:121], v[120:121], v[206:207] neg_lo:[0,1] neg_hi:[0,1]
	s_wait_dscnt 0x1
	v_pk_mul_f32 v[206:207], v[196:197], v[218:219] op_sel:[0,1]
	v_pk_mul_f32 v[220:221], v[214:215], v[218:219] op_sel:[0,1]
	v_pk_fma_f32 v[208:209], v[212:213], v[130:131], v[208:209] op_sel_hi:[1,1,0] neg_lo:[0,0,1] neg_hi:[0,0,1]
	v_pk_add_f32 v[124:125], v[124:125], v[210:211] neg_lo:[0,1] neg_hi:[0,1]
	v_pk_add_f32 v[128:129], v[128:129], v[240:241] neg_lo:[0,1] neg_hi:[0,1]
	v_pk_fma_f32 v[210:211], v[196:197], v[216:217], v[206:207] op_sel:[0,0,1] op_sel_hi:[1,0,0]
	v_mov_b32_e32 v209, v205
	v_pk_fma_f32 v[204:205], v[214:215], v[216:217], v[220:221] op_sel:[0,0,1] op_sel_hi:[1,0,0]
	v_pk_fma_f32 v[196:197], v[196:197], v[216:217], v[206:207] op_sel:[0,0,1] op_sel_hi:[1,1,0] neg_lo:[0,0,1] neg_hi:[0,0,1]
	v_pk_add_f32 v[148:149], v[148:149], v[222:223] neg_lo:[0,1] neg_hi:[0,1]
	v_mov_b32_e32 v197, v211
	v_pk_add_f32 v[118:119], v[118:119], v[208:209] neg_lo:[0,1] neg_hi:[0,1]
	v_pk_fma_f32 v[208:209], v[214:215], v[216:217], v[220:221] op_sel:[0,0,1] op_sel_hi:[1,1,0] neg_lo:[0,0,1] neg_hi:[0,0,1]
	v_mov_b32_e32 v209, v205
	v_pk_mul_f32 v[204:205], v[198:199], v[218:219] op_sel:[0,1]
	s_wait_dscnt 0x0
	v_pk_mul_f32 v[212:213], v[200:201], v[218:219] op_sel:[0,1]
	v_pk_mul_f32 v[206:207], v[202:203], v[218:219] op_sel:[0,1]
	v_pk_add_f32 v[138:139], v[138:139], v[196:197] neg_lo:[0,1] neg_hi:[0,1]
	v_pk_fma_f32 v[214:215], v[198:199], v[216:217], v[204:205] op_sel:[0,0,1] op_sel_hi:[1,0,0]
	s_delay_alu instid0(VALU_DEP_4)
	v_pk_fma_f32 v[210:211], v[200:201], v[216:217], v[212:213] op_sel:[0,0,1] op_sel_hi:[1,0,0]
	v_pk_fma_f32 v[198:199], v[198:199], v[216:217], v[204:205] op_sel:[0,0,1] op_sel_hi:[1,1,0] neg_lo:[0,0,1] neg_hi:[0,0,1]
	v_pk_fma_f32 v[204:205], v[202:203], v[216:217], v[206:207] op_sel:[0,0,1] op_sel_hi:[1,0,0]
	v_pk_fma_f32 v[200:201], v[200:201], v[216:217], v[212:213] op_sel:[0,0,1] op_sel_hi:[1,1,0] neg_lo:[0,0,1] neg_hi:[0,0,1]
	v_pk_fma_f32 v[202:203], v[202:203], v[216:217], v[206:207] op_sel:[0,0,1] op_sel_hi:[1,1,0] neg_lo:[0,0,1] neg_hi:[0,0,1]
	v_dual_mov_b32 v199, v215 :: v_dual_mov_b32 v201, v211
	s_delay_alu instid0(VALU_DEP_4) | instskip(SKIP_1) | instid1(VALU_DEP_3)
	v_mov_b32_e32 v203, v205
	v_pk_add_f32 v[122:123], v[122:123], v[208:209] neg_lo:[0,1] neg_hi:[0,1]
	v_pk_add_f32 v[136:137], v[136:137], v[198:199] neg_lo:[0,1] neg_hi:[0,1]
	s_delay_alu instid0(VALU_DEP_4) | instskip(NEXT) | instid1(VALU_DEP_4)
	v_pk_add_f32 v[134:135], v[134:135], v[200:201] neg_lo:[0,1] neg_hi:[0,1]
	v_pk_add_f32 v[146:147], v[146:147], v[202:203] neg_lo:[0,1] neg_hi:[0,1]
.LBB73_208:
	s_or_b32 exec_lo, exec_lo, s1
	s_delay_alu instid0(SALU_CYCLE_1)
	s_mov_b32 s2, exec_lo
	s_wait_dscnt 0x0
	s_barrier_signal -1
	s_barrier_wait -1
	v_cmpx_eq_u32_e32 23, v224
	s_cbranch_execz .LBB73_215
; %bb.209:
	v_dual_mov_b32 v196, v144 :: v_dual_mov_b32 v197, v145
	v_dual_mov_b32 v198, v148 :: v_dual_mov_b32 v199, v149
	;; [unrolled: 1-line block ×10, first 2 shown]
	ds_store_b64 v225, v[128:129]
	v_dual_mov_b32 v216, v136 :: v_dual_mov_b32 v217, v137
	v_dual_mov_b32 v218, v134 :: v_dual_mov_b32 v219, v135
	ds_store_2addr_b64 v226, v[196:197], v[198:199] offset0:24 offset1:25
	ds_store_2addr_b64 v226, v[200:201], v[202:203] offset0:26 offset1:27
	;; [unrolled: 1-line block ×6, first 2 shown]
	ds_store_b64 v226, v[146:147] offset:288
	ds_load_b64 v[196:197], v225
	s_wait_dscnt 0x0
	v_cmp_neq_f32_e32 vcc_lo, 0, v196
	v_cmp_neq_f32_e64 s1, 0, v197
	s_or_b32 s1, vcc_lo, s1
	s_delay_alu instid0(SALU_CYCLE_1)
	s_and_b32 exec_lo, exec_lo, s1
	s_cbranch_execz .LBB73_215
; %bb.210:
	v_cmp_ngt_f32_e64 s1, |v196|, |v197|
                                        ; implicit-def: $vgpr198_vgpr199
	s_and_saveexec_b32 s4, s1
	s_delay_alu instid0(SALU_CYCLE_1)
	s_xor_b32 s1, exec_lo, s4
	s_cbranch_execz .LBB73_212
; %bb.211:
	v_div_scale_f32 v198, null, v197, v197, v196
	v_div_scale_f32 v201, vcc_lo, v196, v197, v196
	s_delay_alu instid0(VALU_DEP_2) | instskip(SKIP_1) | instid1(TRANS32_DEP_1)
	v_rcp_f32_e32 v199, v198
	v_nop
	v_fma_f32 v200, -v198, v199, 1.0
	s_delay_alu instid0(VALU_DEP_1) | instskip(NEXT) | instid1(VALU_DEP_1)
	v_fmac_f32_e32 v199, v200, v199
	v_mul_f32_e32 v200, v201, v199
	s_delay_alu instid0(VALU_DEP_1) | instskip(NEXT) | instid1(VALU_DEP_1)
	v_fma_f32 v202, -v198, v200, v201
	v_fmac_f32_e32 v200, v202, v199
	s_delay_alu instid0(VALU_DEP_1) | instskip(NEXT) | instid1(VALU_DEP_1)
	v_fma_f32 v198, -v198, v200, v201
	v_div_fmas_f32 v198, v198, v199, v200
	s_delay_alu instid0(VALU_DEP_1) | instskip(NEXT) | instid1(VALU_DEP_1)
	v_div_fixup_f32 v198, v198, v197, v196
	v_fmac_f32_e32 v197, v196, v198
	s_delay_alu instid0(VALU_DEP_1) | instskip(SKIP_1) | instid1(VALU_DEP_2)
	v_div_scale_f32 v196, null, v197, v197, 1.0
	v_div_scale_f32 v201, vcc_lo, 1.0, v197, 1.0
	v_rcp_f32_e32 v199, v196
	v_nop
	s_delay_alu instid0(TRANS32_DEP_1) | instskip(NEXT) | instid1(VALU_DEP_1)
	v_fma_f32 v200, -v196, v199, 1.0
	v_fmac_f32_e32 v199, v200, v199
	s_delay_alu instid0(VALU_DEP_1) | instskip(NEXT) | instid1(VALU_DEP_1)
	v_mul_f32_e32 v200, v201, v199
	v_fma_f32 v202, -v196, v200, v201
	s_delay_alu instid0(VALU_DEP_1) | instskip(NEXT) | instid1(VALU_DEP_1)
	v_fmac_f32_e32 v200, v202, v199
	v_fma_f32 v196, -v196, v200, v201
	s_delay_alu instid0(VALU_DEP_1) | instskip(NEXT) | instid1(VALU_DEP_1)
	v_div_fmas_f32 v196, v196, v199, v200
	v_div_fixup_f32 v196, v196, v197, 1.0
	s_delay_alu instid0(VALU_DEP_1)
	v_mul_f32_e32 v198, v198, v196
	v_xor_b32_e32 v199, 0x80000000, v196
                                        ; implicit-def: $vgpr196_vgpr197
.LBB73_212:
	s_and_not1_saveexec_b32 s1, s1
	s_cbranch_execz .LBB73_214
; %bb.213:
	v_div_scale_f32 v198, null, v196, v196, v197
	v_div_scale_f32 v201, vcc_lo, v197, v196, v197
	s_delay_alu instid0(VALU_DEP_2) | instskip(SKIP_1) | instid1(TRANS32_DEP_1)
	v_rcp_f32_e32 v199, v198
	v_nop
	v_fma_f32 v200, -v198, v199, 1.0
	s_delay_alu instid0(VALU_DEP_1) | instskip(NEXT) | instid1(VALU_DEP_1)
	v_fmac_f32_e32 v199, v200, v199
	v_mul_f32_e32 v200, v201, v199
	s_delay_alu instid0(VALU_DEP_1) | instskip(NEXT) | instid1(VALU_DEP_1)
	v_fma_f32 v202, -v198, v200, v201
	v_fmac_f32_e32 v200, v202, v199
	s_delay_alu instid0(VALU_DEP_1) | instskip(NEXT) | instid1(VALU_DEP_1)
	v_fma_f32 v198, -v198, v200, v201
	v_div_fmas_f32 v198, v198, v199, v200
	s_delay_alu instid0(VALU_DEP_1) | instskip(NEXT) | instid1(VALU_DEP_1)
	v_div_fixup_f32 v199, v198, v196, v197
	v_fmac_f32_e32 v196, v197, v199
	s_delay_alu instid0(VALU_DEP_1) | instskip(NEXT) | instid1(VALU_DEP_1)
	v_div_scale_f32 v197, null, v196, v196, 1.0
	v_rcp_f32_e32 v198, v197
	v_nop
	s_delay_alu instid0(TRANS32_DEP_1) | instskip(NEXT) | instid1(VALU_DEP_1)
	v_fma_f32 v200, -v197, v198, 1.0
	v_fmac_f32_e32 v198, v200, v198
	v_div_scale_f32 v200, vcc_lo, 1.0, v196, 1.0
	s_delay_alu instid0(VALU_DEP_1) | instskip(NEXT) | instid1(VALU_DEP_1)
	v_mul_f32_e32 v201, v200, v198
	v_fma_f32 v202, -v197, v201, v200
	s_delay_alu instid0(VALU_DEP_1) | instskip(NEXT) | instid1(VALU_DEP_1)
	v_fmac_f32_e32 v201, v202, v198
	v_fma_f32 v197, -v197, v201, v200
	s_delay_alu instid0(VALU_DEP_1) | instskip(NEXT) | instid1(VALU_DEP_1)
	v_div_fmas_f32 v197, v197, v198, v201
	v_div_fixup_f32 v198, v197, v196, 1.0
	s_delay_alu instid0(VALU_DEP_1)
	v_mul_f32_e64 v199, v199, -v198
.LBB73_214:
	s_or_b32 exec_lo, exec_lo, s1
	ds_store_b64 v225, v[198:199]
.LBB73_215:
	s_or_b32 exec_lo, exec_lo, s2
	s_wait_dscnt 0x0
	s_barrier_signal -1
	s_barrier_wait -1
	ds_load_b64 v[196:197], v225
	s_mov_b32 s1, exec_lo
	v_cmpx_lt_u32_e32 23, v224
	s_cbranch_execz .LBB73_217
; %bb.216:
	ds_load_2addr_b64 v[198:201], v226 offset0:24 offset1:25
	ds_load_2addr_b64 v[202:205], v226 offset0:26 offset1:27
	;; [unrolled: 1-line block ×3, first 2 shown]
	s_wait_dscnt 0x3
	v_pk_mul_f32 v[210:211], v[196:197], v[128:129] op_sel:[1,1] op_sel_hi:[0,1]
	s_delay_alu instid0(VALU_DEP_1)
	v_pk_fma_f32 v[218:219], v[196:197], v[128:129], v[210:211] op_sel_hi:[1,0,1] neg_lo:[0,0,1] neg_hi:[0,0,1]
	v_pk_fma_f32 v[220:221], v[196:197], v[128:129], v[210:211] op_sel_hi:[1,0,1]
	ds_load_2addr_b64 v[210:213], v226 offset0:30 offset1:31
	ds_load_2addr_b64 v[214:217], v226 offset0:32 offset1:33
	v_dual_mov_b32 v128, v218 :: v_dual_mov_b32 v129, v221
	s_wait_dscnt 0x4
	v_pk_mul_f32 v[222:223], v[198:199], v[220:221] op_sel:[0,1]
	v_pk_mul_f32 v[228:229], v[200:201], v[220:221] op_sel:[0,1]
	s_wait_dscnt 0x3
	v_pk_mul_f32 v[230:231], v[202:203], v[220:221] op_sel:[0,1]
	v_dual_mov_b32 v232, v205 :: v_dual_mov_b32 v233, v204
	v_dual_mul_f32 v234, v205, v221 :: v_dual_mul_f32 v236, v205, v218
	s_wait_dscnt 0x2
	v_pk_mul_f32 v[238:239], v[206:207], v[220:221] op_sel:[0,1]
	v_pk_fma_f32 v[242:243], v[198:199], v[218:219], v[222:223] op_sel:[0,0,1] op_sel_hi:[1,1,0] neg_lo:[0,0,1] neg_hi:[0,0,1]
	v_pk_fma_f32 v[198:199], v[198:199], v[218:219], v[222:223] op_sel:[0,0,1] op_sel_hi:[1,0,0]
	v_pk_fma_f32 v[222:223], v[200:201], v[218:219], v[228:229] op_sel:[0,0,1] op_sel_hi:[1,1,0] neg_lo:[0,0,1] neg_hi:[0,0,1]
	v_pk_fma_f32 v[200:201], v[200:201], v[218:219], v[228:229] op_sel:[0,0,1] op_sel_hi:[1,0,0]
	;; [unrolled: 2-line block ×3, first 2 shown]
	v_pk_fma_f32 v[230:231], v[232:233], v[128:129], v[236:237] op_sel_hi:[1,1,0]
	v_pk_fma_f32 v[204:205], v[204:205], v[128:129], v[234:235] op_sel_hi:[1,1,0] neg_lo:[0,0,1] neg_hi:[0,0,1]
	v_pk_mul_f32 v[240:241], v[208:209], v[220:221] op_sel:[0,1]
	v_dual_mov_b32 v243, v199 :: v_dual_mov_b32 v223, v201
	s_delay_alu instid0(VALU_DEP_4)
	v_dual_mov_b32 v229, v203 :: v_dual_mov_b32 v205, v231
	v_pk_fma_f32 v[198:199], v[206:207], v[218:219], v[238:239] op_sel:[0,0,1] op_sel_hi:[1,0,0]
	v_pk_fma_f32 v[202:203], v[206:207], v[218:219], v[238:239] op_sel:[0,0,1] op_sel_hi:[1,1,0] neg_lo:[0,0,1] neg_hi:[0,0,1]
	v_pk_fma_f32 v[206:207], v[208:209], v[218:219], v[240:241] op_sel:[0,0,1] op_sel_hi:[1,1,0] neg_lo:[0,0,1] neg_hi:[0,0,1]
	v_pk_add_f32 v[148:149], v[148:149], v[222:223] neg_lo:[0,1] neg_hi:[0,1]
	v_pk_add_f32 v[140:141], v[140:141], v[204:205] neg_lo:[0,1] neg_hi:[0,1]
	v_pk_fma_f32 v[204:205], v[208:209], v[218:219], v[240:241] op_sel:[0,0,1] op_sel_hi:[1,0,0]
	v_mov_b32_e32 v203, v199
	s_wait_dscnt 0x1
	v_pk_mul_f32 v[208:209], v[210:211], v[220:221] op_sel:[0,1]
	ds_load_2addr_b64 v[198:201], v226 offset0:34 offset1:35
	v_pk_add_f32 v[144:145], v[144:145], v[242:243] neg_lo:[0,1] neg_hi:[0,1]
	v_mov_b32_e32 v207, v205
	v_pk_add_f32 v[126:127], v[126:127], v[202:203] neg_lo:[0,1] neg_hi:[0,1]
	ds_load_b64 v[202:203], v226 offset:288
	v_pk_mul_f32 v[204:205], v[212:213], v[220:221] op_sel:[0,1]
	v_pk_fma_f32 v[222:223], v[210:211], v[218:219], v[208:209] op_sel:[0,0,1] op_sel_hi:[1,0,0]
	v_pk_add_f32 v[120:121], v[120:121], v[206:207] neg_lo:[0,1] neg_hi:[0,1]
	v_pk_fma_f32 v[208:209], v[210:211], v[218:219], v[208:209] op_sel:[0,0,1] op_sel_hi:[1,1,0] neg_lo:[0,0,1] neg_hi:[0,0,1]
	s_wait_dscnt 0x2
	v_mul_f32_e32 v210, v215, v221
	v_pk_fma_f32 v[206:207], v[212:213], v[218:219], v[204:205] op_sel:[0,0,1] op_sel_hi:[1,0,0]
	v_mul_f32_e32 v206, v215, v218
	v_mov_b32_e32 v209, v223
	v_pk_fma_f32 v[204:205], v[212:213], v[218:219], v[204:205] op_sel:[0,0,1] op_sel_hi:[1,1,0] neg_lo:[0,0,1] neg_hi:[0,0,1]
	v_pk_add_f32 v[142:143], v[142:143], v[228:229] neg_lo:[0,1] neg_hi:[0,1]
	v_mov_b32_e32 v205, v207
	v_pk_fma_f32 v[206:207], v[214:215], v[128:129], v[206:207] op_sel:[1,0,0] op_sel_hi:[0,1,0]
	v_pk_add_f32 v[124:125], v[124:125], v[208:209] neg_lo:[0,1] neg_hi:[0,1]
	v_pk_mul_f32 v[208:209], v[216:217], v[220:221] op_sel:[0,1]
	s_delay_alu instid0(VALU_DEP_4)
	v_pk_add_f32 v[118:119], v[118:119], v[204:205] neg_lo:[0,1] neg_hi:[0,1]
	v_pk_fma_f32 v[204:205], v[214:215], v[128:129], v[210:211] op_sel_hi:[1,1,0] neg_lo:[0,0,1] neg_hi:[0,0,1]
	s_wait_dscnt 0x1
	v_pk_mul_f32 v[212:213], v[200:201], v[220:221] op_sel:[0,1]
	v_pk_fma_f32 v[210:211], v[216:217], v[218:219], v[208:209] op_sel:[0,0,1] op_sel_hi:[1,0,0]
	v_mov_b32_e32 v205, v207
	v_pk_mul_f32 v[206:207], v[198:199], v[220:221] op_sel:[0,1]
	s_wait_dscnt 0x0
	v_pk_mul_f32 v[214:215], v[202:203], v[220:221] op_sel:[0,1]
	v_pk_fma_f32 v[208:209], v[216:217], v[218:219], v[208:209] op_sel:[0,0,1] op_sel_hi:[1,1,0] neg_lo:[0,0,1] neg_hi:[0,0,1]
	v_mov_b32_e32 v209, v211
	v_pk_fma_f32 v[210:211], v[200:201], v[218:219], v[212:213] op_sel:[0,0,1] op_sel_hi:[1,0,0]
	v_pk_fma_f32 v[216:217], v[198:199], v[218:219], v[206:207] op_sel:[0,0,1] op_sel_hi:[1,0,0]
	v_pk_fma_f32 v[198:199], v[198:199], v[218:219], v[206:207] op_sel:[0,0,1] op_sel_hi:[1,1,0] neg_lo:[0,0,1] neg_hi:[0,0,1]
	v_pk_fma_f32 v[206:207], v[202:203], v[218:219], v[214:215] op_sel:[0,0,1] op_sel_hi:[1,0,0]
	v_pk_fma_f32 v[200:201], v[200:201], v[218:219], v[212:213] op_sel:[0,0,1] op_sel_hi:[1,1,0] neg_lo:[0,0,1] neg_hi:[0,0,1]
	v_pk_fma_f32 v[202:203], v[202:203], v[218:219], v[214:215] op_sel:[0,0,1] op_sel_hi:[1,1,0] neg_lo:[0,0,1] neg_hi:[0,0,1]
	v_dual_mov_b32 v199, v217 :: v_dual_mov_b32 v201, v211
	s_delay_alu instid0(VALU_DEP_4) | instskip(SKIP_2) | instid1(VALU_DEP_4)
	v_mov_b32_e32 v203, v207
	v_pk_add_f32 v[122:123], v[122:123], v[204:205] neg_lo:[0,1] neg_hi:[0,1]
	v_pk_add_f32 v[138:139], v[138:139], v[208:209] neg_lo:[0,1] neg_hi:[0,1]
	;; [unrolled: 1-line block ×5, first 2 shown]
.LBB73_217:
	s_or_b32 exec_lo, exec_lo, s1
	s_delay_alu instid0(SALU_CYCLE_1)
	s_mov_b32 s2, exec_lo
	s_wait_dscnt 0x0
	s_barrier_signal -1
	s_barrier_wait -1
	v_cmpx_eq_u32_e32 24, v224
	s_cbranch_execz .LBB73_224
; %bb.218:
	ds_store_b64 v225, v[144:145]
	ds_store_2addr_b64 v226, v[148:149], v[142:143] offset0:25 offset1:26
	ds_store_2addr_b64 v226, v[140:141], v[126:127] offset0:27 offset1:28
	;; [unrolled: 1-line block ×6, first 2 shown]
	ds_load_b64 v[198:199], v225
	s_wait_dscnt 0x0
	v_cmp_neq_f32_e32 vcc_lo, 0, v198
	v_cmp_neq_f32_e64 s1, 0, v199
	s_or_b32 s1, vcc_lo, s1
	s_delay_alu instid0(SALU_CYCLE_1)
	s_and_b32 exec_lo, exec_lo, s1
	s_cbranch_execz .LBB73_224
; %bb.219:
	v_cmp_ngt_f32_e64 s1, |v198|, |v199|
                                        ; implicit-def: $vgpr200_vgpr201
	s_and_saveexec_b32 s4, s1
	s_delay_alu instid0(SALU_CYCLE_1)
	s_xor_b32 s1, exec_lo, s4
	s_cbranch_execz .LBB73_221
; %bb.220:
	v_div_scale_f32 v200, null, v199, v199, v198
	v_div_scale_f32 v203, vcc_lo, v198, v199, v198
	s_delay_alu instid0(VALU_DEP_2) | instskip(SKIP_1) | instid1(TRANS32_DEP_1)
	v_rcp_f32_e32 v201, v200
	v_nop
	v_fma_f32 v202, -v200, v201, 1.0
	s_delay_alu instid0(VALU_DEP_1) | instskip(NEXT) | instid1(VALU_DEP_1)
	v_fmac_f32_e32 v201, v202, v201
	v_mul_f32_e32 v202, v203, v201
	s_delay_alu instid0(VALU_DEP_1) | instskip(NEXT) | instid1(VALU_DEP_1)
	v_fma_f32 v204, -v200, v202, v203
	v_fmac_f32_e32 v202, v204, v201
	s_delay_alu instid0(VALU_DEP_1) | instskip(NEXT) | instid1(VALU_DEP_1)
	v_fma_f32 v200, -v200, v202, v203
	v_div_fmas_f32 v200, v200, v201, v202
	s_delay_alu instid0(VALU_DEP_1) | instskip(NEXT) | instid1(VALU_DEP_1)
	v_div_fixup_f32 v200, v200, v199, v198
	v_fmac_f32_e32 v199, v198, v200
	s_delay_alu instid0(VALU_DEP_1) | instskip(SKIP_1) | instid1(VALU_DEP_2)
	v_div_scale_f32 v198, null, v199, v199, 1.0
	v_div_scale_f32 v203, vcc_lo, 1.0, v199, 1.0
	v_rcp_f32_e32 v201, v198
	v_nop
	s_delay_alu instid0(TRANS32_DEP_1) | instskip(NEXT) | instid1(VALU_DEP_1)
	v_fma_f32 v202, -v198, v201, 1.0
	v_fmac_f32_e32 v201, v202, v201
	s_delay_alu instid0(VALU_DEP_1) | instskip(NEXT) | instid1(VALU_DEP_1)
	v_mul_f32_e32 v202, v203, v201
	v_fma_f32 v204, -v198, v202, v203
	s_delay_alu instid0(VALU_DEP_1) | instskip(NEXT) | instid1(VALU_DEP_1)
	v_fmac_f32_e32 v202, v204, v201
	v_fma_f32 v198, -v198, v202, v203
	s_delay_alu instid0(VALU_DEP_1) | instskip(NEXT) | instid1(VALU_DEP_1)
	v_div_fmas_f32 v198, v198, v201, v202
	v_div_fixup_f32 v198, v198, v199, 1.0
	s_delay_alu instid0(VALU_DEP_1)
	v_mul_f32_e32 v200, v200, v198
	v_xor_b32_e32 v201, 0x80000000, v198
                                        ; implicit-def: $vgpr198_vgpr199
.LBB73_221:
	s_and_not1_saveexec_b32 s1, s1
	s_cbranch_execz .LBB73_223
; %bb.222:
	v_div_scale_f32 v200, null, v198, v198, v199
	v_div_scale_f32 v203, vcc_lo, v199, v198, v199
	s_delay_alu instid0(VALU_DEP_2) | instskip(SKIP_1) | instid1(TRANS32_DEP_1)
	v_rcp_f32_e32 v201, v200
	v_nop
	v_fma_f32 v202, -v200, v201, 1.0
	s_delay_alu instid0(VALU_DEP_1) | instskip(NEXT) | instid1(VALU_DEP_1)
	v_fmac_f32_e32 v201, v202, v201
	v_mul_f32_e32 v202, v203, v201
	s_delay_alu instid0(VALU_DEP_1) | instskip(NEXT) | instid1(VALU_DEP_1)
	v_fma_f32 v204, -v200, v202, v203
	v_fmac_f32_e32 v202, v204, v201
	s_delay_alu instid0(VALU_DEP_1) | instskip(NEXT) | instid1(VALU_DEP_1)
	v_fma_f32 v200, -v200, v202, v203
	v_div_fmas_f32 v200, v200, v201, v202
	s_delay_alu instid0(VALU_DEP_1) | instskip(NEXT) | instid1(VALU_DEP_1)
	v_div_fixup_f32 v201, v200, v198, v199
	v_fmac_f32_e32 v198, v199, v201
	s_delay_alu instid0(VALU_DEP_1) | instskip(NEXT) | instid1(VALU_DEP_1)
	v_div_scale_f32 v199, null, v198, v198, 1.0
	v_rcp_f32_e32 v200, v199
	v_nop
	s_delay_alu instid0(TRANS32_DEP_1) | instskip(NEXT) | instid1(VALU_DEP_1)
	v_fma_f32 v202, -v199, v200, 1.0
	v_fmac_f32_e32 v200, v202, v200
	v_div_scale_f32 v202, vcc_lo, 1.0, v198, 1.0
	s_delay_alu instid0(VALU_DEP_1) | instskip(NEXT) | instid1(VALU_DEP_1)
	v_mul_f32_e32 v203, v202, v200
	v_fma_f32 v204, -v199, v203, v202
	s_delay_alu instid0(VALU_DEP_1) | instskip(NEXT) | instid1(VALU_DEP_1)
	v_fmac_f32_e32 v203, v204, v200
	v_fma_f32 v199, -v199, v203, v202
	s_delay_alu instid0(VALU_DEP_1) | instskip(NEXT) | instid1(VALU_DEP_1)
	v_div_fmas_f32 v199, v199, v200, v203
	v_div_fixup_f32 v200, v199, v198, 1.0
	s_delay_alu instid0(VALU_DEP_1)
	v_mul_f32_e64 v201, v201, -v200
.LBB73_223:
	s_or_b32 exec_lo, exec_lo, s1
	ds_store_b64 v225, v[200:201]
.LBB73_224:
	s_or_b32 exec_lo, exec_lo, s2
	s_wait_dscnt 0x0
	s_barrier_signal -1
	s_barrier_wait -1
	ds_load_b64 v[198:199], v225
	s_mov_b32 s1, exec_lo
	v_cmpx_lt_u32_e32 24, v224
	s_cbranch_execz .LBB73_226
; %bb.225:
	ds_load_2addr_b64 v[200:203], v226 offset0:25 offset1:26
	ds_load_2addr_b64 v[204:207], v226 offset0:27 offset1:28
	ds_load_2addr_b64 v[208:211], v226 offset0:29 offset1:30
	s_wait_dscnt 0x3
	v_pk_mul_f32 v[212:213], v[198:199], v[144:145] op_sel:[1,1] op_sel_hi:[0,1]
	s_delay_alu instid0(VALU_DEP_1)
	v_pk_fma_f32 v[222:223], v[198:199], v[144:145], v[212:213] op_sel_hi:[1,0,1]
	v_pk_fma_f32 v[220:221], v[198:199], v[144:145], v[212:213] op_sel_hi:[1,0,1] neg_lo:[0,0,1] neg_hi:[0,0,1]
	ds_load_2addr_b64 v[212:215], v226 offset0:31 offset1:32
	ds_load_2addr_b64 v[216:219], v226 offset0:33 offset1:34
	v_dual_mov_b32 v145, v223 :: v_dual_mov_b32 v144, v220
	s_wait_dscnt 0x4
	v_pk_mul_f32 v[228:229], v[200:201], v[222:223] op_sel:[0,1]
	v_pk_mul_f32 v[230:231], v[202:203], v[222:223] op_sel:[0,1]
	s_wait_dscnt 0x3
	v_pk_mul_f32 v[232:233], v[204:205], v[222:223] op_sel:[0,1]
	s_wait_dscnt 0x2
	v_pk_mul_f32 v[240:241], v[208:209], v[222:223] op_sel:[0,1]
	v_dual_mov_b32 v234, v207 :: v_dual_mov_b32 v235, v206
	v_pk_fma_f32 v[244:245], v[200:201], v[220:221], v[228:229] op_sel:[0,0,1] op_sel_hi:[1,1,0] neg_lo:[0,0,1] neg_hi:[0,0,1]
	v_pk_fma_f32 v[200:201], v[200:201], v[220:221], v[228:229] op_sel:[0,0,1] op_sel_hi:[1,0,0]
	v_dual_mul_f32 v236, v207, v223 :: v_dual_mul_f32 v238, v207, v220
	v_pk_mul_f32 v[242:243], v[210:211], v[222:223] op_sel:[0,1]
	v_pk_fma_f32 v[228:229], v[202:203], v[220:221], v[230:231] op_sel:[0,0,1] op_sel_hi:[1,1,0] neg_lo:[0,0,1] neg_hi:[0,0,1]
	v_pk_fma_f32 v[202:203], v[202:203], v[220:221], v[230:231] op_sel:[0,0,1] op_sel_hi:[1,0,0]
	v_pk_fma_f32 v[230:231], v[204:205], v[220:221], v[232:233] op_sel:[0,0,1] op_sel_hi:[1,1,0] neg_lo:[0,0,1] neg_hi:[0,0,1]
	v_pk_fma_f32 v[204:205], v[204:205], v[220:221], v[232:233] op_sel:[0,0,1] op_sel_hi:[1,0,0]
	v_mov_b32_e32 v245, v201
	v_pk_fma_f32 v[200:201], v[208:209], v[220:221], v[240:241] op_sel:[0,0,1] op_sel_hi:[1,0,0]
	v_pk_fma_f32 v[232:233], v[234:235], v[144:145], v[238:239] op_sel_hi:[1,1,0]
	v_pk_fma_f32 v[234:235], v[208:209], v[220:221], v[240:241] op_sel:[0,0,1] op_sel_hi:[1,1,0] neg_lo:[0,0,1] neg_hi:[0,0,1]
	v_dual_mov_b32 v229, v203 :: v_dual_mov_b32 v231, v205
	v_pk_fma_f32 v[204:205], v[210:211], v[220:221], v[242:243] op_sel:[0,0,1] op_sel_hi:[1,0,0]
	v_mov_b32_e32 v235, v201
	ds_load_2addr_b64 v[200:203], v226 offset0:35 offset1:36
	v_pk_fma_f32 v[206:207], v[206:207], v[144:145], v[236:237] op_sel_hi:[1,1,0] neg_lo:[0,0,1] neg_hi:[0,0,1]
	v_mov_b32_e32 v207, v233
	s_wait_dscnt 0x2
	v_pk_mul_f32 v[208:209], v[212:213], v[222:223] op_sel:[0,1]
	v_pk_add_f32 v[148:149], v[148:149], v[244:245] neg_lo:[0,1] neg_hi:[0,1]
	v_pk_add_f32 v[142:143], v[142:143], v[228:229] neg_lo:[0,1] neg_hi:[0,1]
	;; [unrolled: 1-line block ×4, first 2 shown]
	v_pk_fma_f32 v[206:207], v[210:211], v[220:221], v[242:243] op_sel:[0,0,1] op_sel_hi:[1,1,0] neg_lo:[0,0,1] neg_hi:[0,0,1]
	v_pk_fma_f32 v[210:211], v[212:213], v[220:221], v[208:209] op_sel:[0,0,1] op_sel_hi:[1,0,0]
	v_mov_b32_e32 v207, v205
	v_pk_mul_f32 v[204:205], v[214:215], v[222:223] op_sel:[0,1]
	s_wait_dscnt 0x1
	v_mul_f32_e32 v210, v217, v220
	v_pk_fma_f32 v[208:209], v[212:213], v[220:221], v[208:209] op_sel:[0,0,1] op_sel_hi:[1,1,0] neg_lo:[0,0,1] neg_hi:[0,0,1]
	v_mov_b32_e32 v209, v211
	v_pk_add_f32 v[124:125], v[124:125], v[206:207] neg_lo:[0,1] neg_hi:[0,1]
	v_pk_fma_f32 v[206:207], v[214:215], v[220:221], v[204:205] op_sel:[0,0,1] op_sel_hi:[1,0,0]
	v_mul_f32_e32 v206, v217, v223
	v_pk_fma_f32 v[210:211], v[216:217], v[144:145], v[210:211] op_sel:[1,0,0] op_sel_hi:[0,1,0]
	v_pk_add_f32 v[118:119], v[118:119], v[208:209] neg_lo:[0,1] neg_hi:[0,1]
	v_pk_fma_f32 v[204:205], v[214:215], v[220:221], v[204:205] op_sel:[0,0,1] op_sel_hi:[1,1,0] neg_lo:[0,0,1] neg_hi:[0,0,1]
	v_pk_mul_f32 v[208:209], v[218:219], v[222:223] op_sel:[0,1]
	v_mov_b32_e32 v205, v207
	v_pk_fma_f32 v[206:207], v[216:217], v[144:145], v[206:207] op_sel_hi:[1,1,0] neg_lo:[0,0,1] neg_hi:[0,0,1]
	s_wait_dscnt 0x0
	v_dual_mov_b32 v207, v211 :: v_dual_mov_b32 v212, v203
	v_pk_mul_f32 v[210:211], v[200:201], v[222:223] op_sel:[0,1]
	v_dual_mov_b32 v213, v202 :: v_dual_mul_f32 v214, v203, v220
	v_pk_fma_f32 v[216:217], v[218:219], v[220:221], v[208:209] op_sel:[0,0,1] op_sel_hi:[1,0,0]
	v_mul_f32_e32 v216, v203, v223
	v_pk_fma_f32 v[208:209], v[218:219], v[220:221], v[208:209] op_sel:[0,0,1] op_sel_hi:[1,1,0] neg_lo:[0,0,1] neg_hi:[0,0,1]
	v_pk_fma_f32 v[218:219], v[200:201], v[220:221], v[210:211] op_sel:[0,0,1] op_sel_hi:[1,0,0]
	v_pk_fma_f32 v[212:213], v[212:213], v[144:145], v[214:215] op_sel_hi:[1,1,0]
	v_mov_b32_e32 v209, v217
	v_pk_fma_f32 v[200:201], v[200:201], v[220:221], v[210:211] op_sel:[0,0,1] op_sel_hi:[1,1,0] neg_lo:[0,0,1] neg_hi:[0,0,1]
	v_pk_fma_f32 v[202:203], v[202:203], v[144:145], v[216:217] op_sel_hi:[1,1,0] neg_lo:[0,0,1] neg_hi:[0,0,1]
	s_delay_alu instid0(VALU_DEP_4)
	v_dual_mov_b32 v201, v219 :: v_dual_mov_b32 v203, v213
	v_pk_add_f32 v[120:121], v[120:121], v[234:235] neg_lo:[0,1] neg_hi:[0,1]
	v_pk_add_f32 v[122:123], v[122:123], v[204:205] neg_lo:[0,1] neg_hi:[0,1]
	;; [unrolled: 1-line block ×6, first 2 shown]
.LBB73_226:
	s_or_b32 exec_lo, exec_lo, s1
	s_delay_alu instid0(SALU_CYCLE_1)
	s_mov_b32 s2, exec_lo
	s_wait_dscnt 0x0
	s_barrier_signal -1
	s_barrier_wait -1
	v_cmpx_eq_u32_e32 25, v224
	s_cbranch_execz .LBB73_233
; %bb.227:
	v_dual_mov_b32 v200, v142 :: v_dual_mov_b32 v201, v143
	v_dual_mov_b32 v202, v140 :: v_dual_mov_b32 v203, v141
	;; [unrolled: 1-line block ×10, first 2 shown]
	ds_store_b64 v225, v[148:149]
	ds_store_2addr_b64 v226, v[200:201], v[202:203] offset0:26 offset1:27
	ds_store_2addr_b64 v226, v[204:205], v[206:207] offset0:28 offset1:29
	;; [unrolled: 1-line block ×5, first 2 shown]
	ds_store_b64 v226, v[146:147] offset:288
	ds_load_b64 v[200:201], v225
	s_wait_dscnt 0x0
	v_cmp_neq_f32_e32 vcc_lo, 0, v200
	v_cmp_neq_f32_e64 s1, 0, v201
	s_or_b32 s1, vcc_lo, s1
	s_delay_alu instid0(SALU_CYCLE_1)
	s_and_b32 exec_lo, exec_lo, s1
	s_cbranch_execz .LBB73_233
; %bb.228:
	v_cmp_ngt_f32_e64 s1, |v200|, |v201|
                                        ; implicit-def: $vgpr202_vgpr203
	s_and_saveexec_b32 s4, s1
	s_delay_alu instid0(SALU_CYCLE_1)
	s_xor_b32 s1, exec_lo, s4
	s_cbranch_execz .LBB73_230
; %bb.229:
	v_div_scale_f32 v202, null, v201, v201, v200
	v_div_scale_f32 v205, vcc_lo, v200, v201, v200
	s_delay_alu instid0(VALU_DEP_2) | instskip(SKIP_1) | instid1(TRANS32_DEP_1)
	v_rcp_f32_e32 v203, v202
	v_nop
	v_fma_f32 v204, -v202, v203, 1.0
	s_delay_alu instid0(VALU_DEP_1) | instskip(NEXT) | instid1(VALU_DEP_1)
	v_fmac_f32_e32 v203, v204, v203
	v_mul_f32_e32 v204, v205, v203
	s_delay_alu instid0(VALU_DEP_1) | instskip(NEXT) | instid1(VALU_DEP_1)
	v_fma_f32 v206, -v202, v204, v205
	v_fmac_f32_e32 v204, v206, v203
	s_delay_alu instid0(VALU_DEP_1) | instskip(NEXT) | instid1(VALU_DEP_1)
	v_fma_f32 v202, -v202, v204, v205
	v_div_fmas_f32 v202, v202, v203, v204
	s_delay_alu instid0(VALU_DEP_1) | instskip(NEXT) | instid1(VALU_DEP_1)
	v_div_fixup_f32 v202, v202, v201, v200
	v_fmac_f32_e32 v201, v200, v202
	s_delay_alu instid0(VALU_DEP_1) | instskip(SKIP_1) | instid1(VALU_DEP_2)
	v_div_scale_f32 v200, null, v201, v201, 1.0
	v_div_scale_f32 v205, vcc_lo, 1.0, v201, 1.0
	v_rcp_f32_e32 v203, v200
	v_nop
	s_delay_alu instid0(TRANS32_DEP_1) | instskip(NEXT) | instid1(VALU_DEP_1)
	v_fma_f32 v204, -v200, v203, 1.0
	v_fmac_f32_e32 v203, v204, v203
	s_delay_alu instid0(VALU_DEP_1) | instskip(NEXT) | instid1(VALU_DEP_1)
	v_mul_f32_e32 v204, v205, v203
	v_fma_f32 v206, -v200, v204, v205
	s_delay_alu instid0(VALU_DEP_1) | instskip(NEXT) | instid1(VALU_DEP_1)
	v_fmac_f32_e32 v204, v206, v203
	v_fma_f32 v200, -v200, v204, v205
	s_delay_alu instid0(VALU_DEP_1) | instskip(NEXT) | instid1(VALU_DEP_1)
	v_div_fmas_f32 v200, v200, v203, v204
	v_div_fixup_f32 v200, v200, v201, 1.0
	s_delay_alu instid0(VALU_DEP_1)
	v_mul_f32_e32 v202, v202, v200
	v_xor_b32_e32 v203, 0x80000000, v200
                                        ; implicit-def: $vgpr200_vgpr201
.LBB73_230:
	s_and_not1_saveexec_b32 s1, s1
	s_cbranch_execz .LBB73_232
; %bb.231:
	v_div_scale_f32 v202, null, v200, v200, v201
	v_div_scale_f32 v205, vcc_lo, v201, v200, v201
	s_delay_alu instid0(VALU_DEP_2) | instskip(SKIP_1) | instid1(TRANS32_DEP_1)
	v_rcp_f32_e32 v203, v202
	v_nop
	v_fma_f32 v204, -v202, v203, 1.0
	s_delay_alu instid0(VALU_DEP_1) | instskip(NEXT) | instid1(VALU_DEP_1)
	v_fmac_f32_e32 v203, v204, v203
	v_mul_f32_e32 v204, v205, v203
	s_delay_alu instid0(VALU_DEP_1) | instskip(NEXT) | instid1(VALU_DEP_1)
	v_fma_f32 v206, -v202, v204, v205
	v_fmac_f32_e32 v204, v206, v203
	s_delay_alu instid0(VALU_DEP_1) | instskip(NEXT) | instid1(VALU_DEP_1)
	v_fma_f32 v202, -v202, v204, v205
	v_div_fmas_f32 v202, v202, v203, v204
	s_delay_alu instid0(VALU_DEP_1) | instskip(NEXT) | instid1(VALU_DEP_1)
	v_div_fixup_f32 v203, v202, v200, v201
	v_fmac_f32_e32 v200, v201, v203
	s_delay_alu instid0(VALU_DEP_1) | instskip(NEXT) | instid1(VALU_DEP_1)
	v_div_scale_f32 v201, null, v200, v200, 1.0
	v_rcp_f32_e32 v202, v201
	v_nop
	s_delay_alu instid0(TRANS32_DEP_1) | instskip(NEXT) | instid1(VALU_DEP_1)
	v_fma_f32 v204, -v201, v202, 1.0
	v_fmac_f32_e32 v202, v204, v202
	v_div_scale_f32 v204, vcc_lo, 1.0, v200, 1.0
	s_delay_alu instid0(VALU_DEP_1) | instskip(NEXT) | instid1(VALU_DEP_1)
	v_mul_f32_e32 v205, v204, v202
	v_fma_f32 v206, -v201, v205, v204
	s_delay_alu instid0(VALU_DEP_1) | instskip(NEXT) | instid1(VALU_DEP_1)
	v_fmac_f32_e32 v205, v206, v202
	v_fma_f32 v201, -v201, v205, v204
	s_delay_alu instid0(VALU_DEP_1) | instskip(NEXT) | instid1(VALU_DEP_1)
	v_div_fmas_f32 v201, v201, v202, v205
	v_div_fixup_f32 v202, v201, v200, 1.0
	s_delay_alu instid0(VALU_DEP_1)
	v_mul_f32_e64 v203, v203, -v202
.LBB73_232:
	s_or_b32 exec_lo, exec_lo, s1
	ds_store_b64 v225, v[202:203]
.LBB73_233:
	s_or_b32 exec_lo, exec_lo, s2
	s_wait_dscnt 0x0
	s_barrier_signal -1
	s_barrier_wait -1
	ds_load_b64 v[200:201], v225
	s_mov_b32 s1, exec_lo
	v_cmpx_lt_u32_e32 25, v224
	s_cbranch_execz .LBB73_235
; %bb.234:
	ds_load_2addr_b64 v[202:205], v226 offset0:26 offset1:27
	ds_load_2addr_b64 v[206:209], v226 offset0:28 offset1:29
	;; [unrolled: 1-line block ×3, first 2 shown]
	s_wait_dscnt 0x3
	v_pk_mul_f32 v[214:215], v[200:201], v[148:149] op_sel:[1,1] op_sel_hi:[0,1]
	s_delay_alu instid0(VALU_DEP_1)
	v_pk_fma_f32 v[222:223], v[200:201], v[148:149], v[214:215] op_sel_hi:[1,0,1] neg_lo:[0,0,1] neg_hi:[0,0,1]
	v_pk_fma_f32 v[228:229], v[200:201], v[148:149], v[214:215] op_sel_hi:[1,0,1]
	ds_load_2addr_b64 v[214:217], v226 offset0:32 offset1:33
	ds_load_2addr_b64 v[218:221], v226 offset0:34 offset1:35
	ds_load_b64 v[230:231], v226 offset:288
	v_dual_mov_b32 v148, v222 :: v_dual_mov_b32 v149, v229
	s_wait_dscnt 0x5
	v_pk_mul_f32 v[232:233], v[202:203], v[228:229] op_sel:[0,1]
	v_pk_mul_f32 v[234:235], v[204:205], v[228:229] op_sel:[0,1]
	s_wait_dscnt 0x4
	v_pk_mul_f32 v[236:237], v[206:207], v[228:229] op_sel:[0,1]
	v_dual_mov_b32 v238, v209 :: v_dual_mov_b32 v239, v208
	v_dual_mul_f32 v240, v209, v229 :: v_dual_mul_f32 v242, v209, v222
	s_wait_dscnt 0x3
	v_pk_mul_f32 v[244:245], v[210:211], v[228:229] op_sel:[0,1]
	v_pk_fma_f32 v[248:249], v[202:203], v[222:223], v[232:233] op_sel:[0,0,1] op_sel_hi:[1,1,0] neg_lo:[0,0,1] neg_hi:[0,0,1]
	v_pk_fma_f32 v[202:203], v[202:203], v[222:223], v[232:233] op_sel:[0,0,1] op_sel_hi:[1,0,0]
	v_pk_mul_f32 v[246:247], v[212:213], v[228:229] op_sel:[0,1]
	v_pk_fma_f32 v[232:233], v[204:205], v[222:223], v[234:235] op_sel:[0,0,1] op_sel_hi:[1,1,0] neg_lo:[0,0,1] neg_hi:[0,0,1]
	v_pk_fma_f32 v[204:205], v[204:205], v[222:223], v[234:235] op_sel:[0,0,1] op_sel_hi:[1,0,0]
	v_pk_fma_f32 v[234:235], v[206:207], v[222:223], v[236:237] op_sel:[0,0,1] op_sel_hi:[1,1,0] neg_lo:[0,0,1] neg_hi:[0,0,1]
	v_pk_fma_f32 v[206:207], v[206:207], v[222:223], v[236:237] op_sel:[0,0,1] op_sel_hi:[1,0,0]
	v_pk_fma_f32 v[236:237], v[238:239], v[148:149], v[242:243] op_sel_hi:[1,1,0]
	s_delay_alu instid0(VALU_DEP_4)
	v_dual_mov_b32 v249, v203 :: v_dual_mov_b32 v233, v205
	v_pk_fma_f32 v[202:203], v[210:211], v[222:223], v[244:245] op_sel:[0,0,1] op_sel_hi:[1,0,0]
	v_pk_fma_f32 v[204:205], v[212:213], v[222:223], v[246:247] op_sel:[0,0,1] op_sel_hi:[1,0,0]
	v_mov_b32_e32 v235, v207
	v_pk_fma_f32 v[206:207], v[210:211], v[222:223], v[244:245] op_sel:[0,0,1] op_sel_hi:[1,1,0] neg_lo:[0,0,1] neg_hi:[0,0,1]
	s_wait_dscnt 0x2
	v_pk_mul_f32 v[210:211], v[214:215], v[228:229] op_sel:[0,1]
	v_pk_fma_f32 v[208:209], v[208:209], v[148:149], v[240:241] op_sel_hi:[1,1,0] neg_lo:[0,0,1] neg_hi:[0,0,1]
	v_dual_mov_b32 v209, v237 :: v_dual_mov_b32 v207, v203
	v_pk_fma_f32 v[202:203], v[212:213], v[222:223], v[246:247] op_sel:[0,0,1] op_sel_hi:[1,1,0] neg_lo:[0,0,1] neg_hi:[0,0,1]
	v_mov_b32_e32 v203, v205
	v_pk_fma_f32 v[204:205], v[214:215], v[222:223], v[210:211] op_sel:[0,0,1] op_sel_hi:[1,0,0]
	s_delay_alu instid0(VALU_DEP_4)
	v_pk_add_f32 v[120:121], v[120:121], v[208:209] neg_lo:[0,1] neg_hi:[0,1]
	v_pk_mul_f32 v[208:209], v[216:217], v[228:229] op_sel:[0,1]
	v_pk_add_f32 v[124:125], v[124:125], v[206:207] neg_lo:[0,1] neg_hi:[0,1]
	v_pk_add_f32 v[118:119], v[118:119], v[202:203] neg_lo:[0,1] neg_hi:[0,1]
	v_pk_fma_f32 v[202:203], v[214:215], v[222:223], v[210:211] op_sel:[0,0,1] op_sel_hi:[1,1,0] neg_lo:[0,0,1] neg_hi:[0,0,1]
	s_wait_dscnt 0x1
	v_dual_mov_b32 v203, v205 :: v_dual_mul_f32 v206, v219, v222
	v_pk_mul_f32 v[210:211], v[220:221], v[228:229] op_sel:[0,1]
	s_wait_dscnt 0x0
	v_pk_mul_f32 v[212:213], v[230:231], v[228:229] op_sel:[0,1]
	v_pk_fma_f32 v[204:205], v[216:217], v[222:223], v[208:209] op_sel:[0,0,1] op_sel_hi:[1,1,0] neg_lo:[0,0,1] neg_hi:[0,0,1]
	v_pk_fma_f32 v[208:209], v[216:217], v[222:223], v[208:209] op_sel:[0,0,1] op_sel_hi:[1,0,0]
	v_mul_f32_e32 v208, v219, v229
	v_pk_fma_f32 v[206:207], v[218:219], v[148:149], v[206:207] op_sel:[1,0,0] op_sel_hi:[0,1,0]
	v_pk_fma_f32 v[214:215], v[220:221], v[222:223], v[210:211] op_sel:[0,0,1] op_sel_hi:[1,0,0]
	;; [unrolled: 1-line block ×3, first 2 shown]
	v_mov_b32_e32 v205, v209
	v_pk_fma_f32 v[208:209], v[218:219], v[148:149], v[208:209] op_sel_hi:[1,1,0] neg_lo:[0,0,1] neg_hi:[0,0,1]
	v_mov_b32_e32 v209, v207
	v_pk_fma_f32 v[206:207], v[220:221], v[222:223], v[210:211] op_sel:[0,0,1] op_sel_hi:[1,1,0] neg_lo:[0,0,1] neg_hi:[0,0,1]
	v_pk_fma_f32 v[210:211], v[230:231], v[222:223], v[212:213] op_sel:[0,0,1] op_sel_hi:[1,1,0] neg_lo:[0,0,1] neg_hi:[0,0,1]
	v_dual_mov_b32 v207, v215 :: v_dual_mov_b32 v211, v217
	v_pk_add_f32 v[142:143], v[142:143], v[248:249] neg_lo:[0,1] neg_hi:[0,1]
	v_pk_add_f32 v[140:141], v[140:141], v[232:233] neg_lo:[0,1] neg_hi:[0,1]
	v_pk_add_f32 v[126:127], v[126:127], v[234:235] neg_lo:[0,1] neg_hi:[0,1]
	v_pk_add_f32 v[122:123], v[122:123], v[202:203] neg_lo:[0,1] neg_hi:[0,1]
	v_pk_add_f32 v[138:139], v[138:139], v[204:205] neg_lo:[0,1] neg_hi:[0,1]
	v_pk_add_f32 v[136:137], v[136:137], v[208:209] neg_lo:[0,1] neg_hi:[0,1]
	v_pk_add_f32 v[134:135], v[134:135], v[206:207] neg_lo:[0,1] neg_hi:[0,1]
	v_pk_add_f32 v[146:147], v[146:147], v[210:211] neg_lo:[0,1] neg_hi:[0,1]
.LBB73_235:
	s_or_b32 exec_lo, exec_lo, s1
	s_delay_alu instid0(SALU_CYCLE_1)
	s_mov_b32 s2, exec_lo
	s_wait_dscnt 0x0
	s_barrier_signal -1
	s_barrier_wait -1
	v_cmpx_eq_u32_e32 26, v224
	s_cbranch_execz .LBB73_242
; %bb.236:
	ds_store_b64 v225, v[142:143]
	ds_store_2addr_b64 v226, v[140:141], v[126:127] offset0:27 offset1:28
	ds_store_2addr_b64 v226, v[120:121], v[124:125] offset0:29 offset1:30
	;; [unrolled: 1-line block ×5, first 2 shown]
	ds_load_b64 v[202:203], v225
	s_wait_dscnt 0x0
	v_cmp_neq_f32_e32 vcc_lo, 0, v202
	v_cmp_neq_f32_e64 s1, 0, v203
	s_or_b32 s1, vcc_lo, s1
	s_delay_alu instid0(SALU_CYCLE_1)
	s_and_b32 exec_lo, exec_lo, s1
	s_cbranch_execz .LBB73_242
; %bb.237:
	v_cmp_ngt_f32_e64 s1, |v202|, |v203|
                                        ; implicit-def: $vgpr204_vgpr205
	s_and_saveexec_b32 s4, s1
	s_delay_alu instid0(SALU_CYCLE_1)
	s_xor_b32 s1, exec_lo, s4
	s_cbranch_execz .LBB73_239
; %bb.238:
	v_div_scale_f32 v204, null, v203, v203, v202
	v_div_scale_f32 v207, vcc_lo, v202, v203, v202
	s_delay_alu instid0(VALU_DEP_2) | instskip(SKIP_1) | instid1(TRANS32_DEP_1)
	v_rcp_f32_e32 v205, v204
	v_nop
	v_fma_f32 v206, -v204, v205, 1.0
	s_delay_alu instid0(VALU_DEP_1) | instskip(NEXT) | instid1(VALU_DEP_1)
	v_fmac_f32_e32 v205, v206, v205
	v_mul_f32_e32 v206, v207, v205
	s_delay_alu instid0(VALU_DEP_1) | instskip(NEXT) | instid1(VALU_DEP_1)
	v_fma_f32 v208, -v204, v206, v207
	v_fmac_f32_e32 v206, v208, v205
	s_delay_alu instid0(VALU_DEP_1) | instskip(NEXT) | instid1(VALU_DEP_1)
	v_fma_f32 v204, -v204, v206, v207
	v_div_fmas_f32 v204, v204, v205, v206
	s_delay_alu instid0(VALU_DEP_1) | instskip(NEXT) | instid1(VALU_DEP_1)
	v_div_fixup_f32 v204, v204, v203, v202
	v_fmac_f32_e32 v203, v202, v204
	s_delay_alu instid0(VALU_DEP_1) | instskip(SKIP_1) | instid1(VALU_DEP_2)
	v_div_scale_f32 v202, null, v203, v203, 1.0
	v_div_scale_f32 v207, vcc_lo, 1.0, v203, 1.0
	v_rcp_f32_e32 v205, v202
	v_nop
	s_delay_alu instid0(TRANS32_DEP_1) | instskip(NEXT) | instid1(VALU_DEP_1)
	v_fma_f32 v206, -v202, v205, 1.0
	v_fmac_f32_e32 v205, v206, v205
	s_delay_alu instid0(VALU_DEP_1) | instskip(NEXT) | instid1(VALU_DEP_1)
	v_mul_f32_e32 v206, v207, v205
	v_fma_f32 v208, -v202, v206, v207
	s_delay_alu instid0(VALU_DEP_1) | instskip(NEXT) | instid1(VALU_DEP_1)
	v_fmac_f32_e32 v206, v208, v205
	v_fma_f32 v202, -v202, v206, v207
	s_delay_alu instid0(VALU_DEP_1) | instskip(NEXT) | instid1(VALU_DEP_1)
	v_div_fmas_f32 v202, v202, v205, v206
	v_div_fixup_f32 v202, v202, v203, 1.0
	s_delay_alu instid0(VALU_DEP_1)
	v_mul_f32_e32 v204, v204, v202
	v_xor_b32_e32 v205, 0x80000000, v202
                                        ; implicit-def: $vgpr202_vgpr203
.LBB73_239:
	s_and_not1_saveexec_b32 s1, s1
	s_cbranch_execz .LBB73_241
; %bb.240:
	v_div_scale_f32 v204, null, v202, v202, v203
	v_div_scale_f32 v207, vcc_lo, v203, v202, v203
	s_delay_alu instid0(VALU_DEP_2) | instskip(SKIP_1) | instid1(TRANS32_DEP_1)
	v_rcp_f32_e32 v205, v204
	v_nop
	v_fma_f32 v206, -v204, v205, 1.0
	s_delay_alu instid0(VALU_DEP_1) | instskip(NEXT) | instid1(VALU_DEP_1)
	v_fmac_f32_e32 v205, v206, v205
	v_mul_f32_e32 v206, v207, v205
	s_delay_alu instid0(VALU_DEP_1) | instskip(NEXT) | instid1(VALU_DEP_1)
	v_fma_f32 v208, -v204, v206, v207
	v_fmac_f32_e32 v206, v208, v205
	s_delay_alu instid0(VALU_DEP_1) | instskip(NEXT) | instid1(VALU_DEP_1)
	v_fma_f32 v204, -v204, v206, v207
	v_div_fmas_f32 v204, v204, v205, v206
	s_delay_alu instid0(VALU_DEP_1) | instskip(NEXT) | instid1(VALU_DEP_1)
	v_div_fixup_f32 v205, v204, v202, v203
	v_fmac_f32_e32 v202, v203, v205
	s_delay_alu instid0(VALU_DEP_1) | instskip(NEXT) | instid1(VALU_DEP_1)
	v_div_scale_f32 v203, null, v202, v202, 1.0
	v_rcp_f32_e32 v204, v203
	v_nop
	s_delay_alu instid0(TRANS32_DEP_1) | instskip(NEXT) | instid1(VALU_DEP_1)
	v_fma_f32 v206, -v203, v204, 1.0
	v_fmac_f32_e32 v204, v206, v204
	v_div_scale_f32 v206, vcc_lo, 1.0, v202, 1.0
	s_delay_alu instid0(VALU_DEP_1) | instskip(NEXT) | instid1(VALU_DEP_1)
	v_mul_f32_e32 v207, v206, v204
	v_fma_f32 v208, -v203, v207, v206
	s_delay_alu instid0(VALU_DEP_1) | instskip(NEXT) | instid1(VALU_DEP_1)
	v_fmac_f32_e32 v207, v208, v204
	v_fma_f32 v203, -v203, v207, v206
	s_delay_alu instid0(VALU_DEP_1) | instskip(NEXT) | instid1(VALU_DEP_1)
	v_div_fmas_f32 v203, v203, v204, v207
	v_div_fixup_f32 v204, v203, v202, 1.0
	s_delay_alu instid0(VALU_DEP_1)
	v_mul_f32_e64 v205, v205, -v204
.LBB73_241:
	s_or_b32 exec_lo, exec_lo, s1
	ds_store_b64 v225, v[204:205]
.LBB73_242:
	s_or_b32 exec_lo, exec_lo, s2
	s_wait_dscnt 0x0
	s_barrier_signal -1
	s_barrier_wait -1
	ds_load_b64 v[202:203], v225
	s_mov_b32 s1, exec_lo
	v_cmpx_lt_u32_e32 26, v224
	s_cbranch_execz .LBB73_244
; %bb.243:
	ds_load_2addr_b64 v[204:207], v226 offset0:27 offset1:28
	ds_load_2addr_b64 v[208:211], v226 offset0:29 offset1:30
	;; [unrolled: 1-line block ×3, first 2 shown]
	s_wait_dscnt 0x3
	v_pk_mul_f32 v[216:217], v[202:203], v[142:143] op_sel:[1,1] op_sel_hi:[0,1]
	s_delay_alu instid0(VALU_DEP_1)
	v_pk_fma_f32 v[228:229], v[202:203], v[142:143], v[216:217] op_sel_hi:[1,0,1] neg_lo:[0,0,1] neg_hi:[0,0,1]
	v_pk_fma_f32 v[230:231], v[202:203], v[142:143], v[216:217] op_sel_hi:[1,0,1]
	ds_load_2addr_b64 v[216:219], v226 offset0:33 offset1:34
	ds_load_2addr_b64 v[220:223], v226 offset0:35 offset1:36
	v_dual_mov_b32 v142, v228 :: v_dual_mov_b32 v143, v231
	s_wait_dscnt 0x4
	v_pk_mul_f32 v[232:233], v[204:205], v[230:231] op_sel:[0,1]
	v_pk_mul_f32 v[234:235], v[206:207], v[230:231] op_sel:[0,1]
	s_wait_dscnt 0x3
	v_pk_mul_f32 v[236:237], v[208:209], v[230:231] op_sel:[0,1]
	v_dual_mov_b32 v238, v211 :: v_dual_mov_b32 v239, v210
	v_dual_mul_f32 v240, v211, v231 :: v_dual_mul_f32 v242, v211, v228
	s_wait_dscnt 0x2
	v_pk_mul_f32 v[244:245], v[212:213], v[230:231] op_sel:[0,1]
	v_pk_mul_f32 v[246:247], v[214:215], v[230:231] op_sel:[0,1]
	v_pk_fma_f32 v[248:249], v[204:205], v[228:229], v[232:233] op_sel:[0,0,1] op_sel_hi:[1,1,0] neg_lo:[0,0,1] neg_hi:[0,0,1]
	v_pk_fma_f32 v[204:205], v[204:205], v[228:229], v[232:233] op_sel:[0,0,1] op_sel_hi:[1,0,0]
	v_pk_fma_f32 v[232:233], v[206:207], v[228:229], v[234:235] op_sel:[0,0,1] op_sel_hi:[1,1,0] neg_lo:[0,0,1] neg_hi:[0,0,1]
	v_pk_fma_f32 v[206:207], v[206:207], v[228:229], v[234:235] op_sel:[0,0,1] op_sel_hi:[1,0,0]
	v_pk_fma_f32 v[234:235], v[208:209], v[228:229], v[236:237] op_sel:[0,0,1] op_sel_hi:[1,1,0] neg_lo:[0,0,1] neg_hi:[0,0,1]
	v_pk_fma_f32 v[208:209], v[208:209], v[228:229], v[236:237] op_sel:[0,0,1] op_sel_hi:[1,0,0]
	v_pk_fma_f32 v[236:237], v[238:239], v[142:143], v[242:243] op_sel_hi:[1,1,0]
	v_pk_fma_f32 v[210:211], v[210:211], v[142:143], v[240:241] op_sel_hi:[1,1,0] neg_lo:[0,0,1] neg_hi:[0,0,1]
	v_pk_fma_f32 v[238:239], v[212:213], v[228:229], v[244:245] op_sel:[0,0,1] op_sel_hi:[1,1,0] neg_lo:[0,0,1] neg_hi:[0,0,1]
	v_pk_fma_f32 v[212:213], v[212:213], v[228:229], v[244:245] op_sel:[0,0,1] op_sel_hi:[1,0,0]
	v_dual_mov_b32 v249, v205 :: v_dual_mov_b32 v233, v207
	v_pk_fma_f32 v[206:207], v[214:215], v[228:229], v[246:247] op_sel:[0,0,1] op_sel_hi:[1,0,0]
	v_dual_mov_b32 v235, v209 :: v_dual_mov_b32 v211, v237
	s_wait_dscnt 0x1
	v_pk_mul_f32 v[204:205], v[216:217], v[230:231] op_sel:[0,1]
	v_pk_fma_f32 v[208:209], v[214:215], v[228:229], v[246:247] op_sel:[0,0,1] op_sel_hi:[1,1,0] neg_lo:[0,0,1] neg_hi:[0,0,1]
	v_dual_mov_b32 v239, v213 :: v_dual_mov_b32 v209, v207
	v_pk_mul_f32 v[206:207], v[218:219], v[230:231] op_sel:[0,1]
	v_pk_add_f32 v[124:125], v[124:125], v[210:211] neg_lo:[0,1] neg_hi:[0,1]
	v_pk_fma_f32 v[210:211], v[216:217], v[228:229], v[204:205] op_sel:[0,0,1] op_sel_hi:[1,0,0]
	s_wait_dscnt 0x0
	v_mul_f32_e32 v210, v221, v228
	v_pk_mul_f32 v[212:213], v[222:223], v[230:231] op_sel:[0,1]
	v_pk_fma_f32 v[214:215], v[218:219], v[228:229], v[206:207] op_sel:[0,0,1] op_sel_hi:[1,0,0]
	v_pk_fma_f32 v[204:205], v[216:217], v[228:229], v[204:205] op_sel:[0,0,1] op_sel_hi:[1,1,0] neg_lo:[0,0,1] neg_hi:[0,0,1]
	v_dual_mul_f32 v214, v221, v231 :: v_dual_mov_b32 v205, v211
	v_pk_fma_f32 v[210:211], v[220:221], v[142:143], v[210:211] op_sel:[1,0,0] op_sel_hi:[0,1,0]
	v_pk_fma_f32 v[216:217], v[222:223], v[228:229], v[212:213] op_sel:[0,0,1] op_sel_hi:[1,0,0]
	v_pk_fma_f32 v[206:207], v[218:219], v[228:229], v[206:207] op_sel:[0,0,1] op_sel_hi:[1,1,0] neg_lo:[0,0,1] neg_hi:[0,0,1]
	v_mov_b32_e32 v207, v215
	v_pk_fma_f32 v[214:215], v[220:221], v[142:143], v[214:215] op_sel_hi:[1,1,0] neg_lo:[0,0,1] neg_hi:[0,0,1]
	v_mov_b32_e32 v215, v211
	v_pk_fma_f32 v[210:211], v[222:223], v[228:229], v[212:213] op_sel:[0,0,1] op_sel_hi:[1,1,0] neg_lo:[0,0,1] neg_hi:[0,0,1]
	v_mov_b32_e32 v211, v217
	v_pk_add_f32 v[140:141], v[140:141], v[248:249] neg_lo:[0,1] neg_hi:[0,1]
	v_pk_add_f32 v[126:127], v[126:127], v[232:233] neg_lo:[0,1] neg_hi:[0,1]
	v_pk_add_f32 v[120:121], v[120:121], v[234:235] neg_lo:[0,1] neg_hi:[0,1]
	v_pk_add_f32 v[118:119], v[118:119], v[238:239] neg_lo:[0,1] neg_hi:[0,1]
	v_pk_add_f32 v[122:123], v[122:123], v[208:209] neg_lo:[0,1] neg_hi:[0,1]
	v_pk_add_f32 v[138:139], v[138:139], v[204:205] neg_lo:[0,1] neg_hi:[0,1]
	v_pk_add_f32 v[136:137], v[136:137], v[206:207] neg_lo:[0,1] neg_hi:[0,1]
	v_pk_add_f32 v[134:135], v[134:135], v[214:215] neg_lo:[0,1] neg_hi:[0,1]
	v_pk_add_f32 v[146:147], v[146:147], v[210:211] neg_lo:[0,1] neg_hi:[0,1]
.LBB73_244:
	s_or_b32 exec_lo, exec_lo, s1
	s_delay_alu instid0(SALU_CYCLE_1)
	s_mov_b32 s2, exec_lo
	s_wait_dscnt 0x0
	s_barrier_signal -1
	s_barrier_wait -1
	v_cmpx_eq_u32_e32 27, v224
	s_cbranch_execz .LBB73_251
; %bb.245:
	v_dual_mov_b32 v204, v126 :: v_dual_mov_b32 v205, v127
	v_dual_mov_b32 v206, v120 :: v_dual_mov_b32 v207, v121
	;; [unrolled: 1-line block ×8, first 2 shown]
	ds_store_b64 v225, v[140:141]
	ds_store_2addr_b64 v226, v[204:205], v[206:207] offset0:28 offset1:29
	ds_store_2addr_b64 v226, v[208:209], v[210:211] offset0:30 offset1:31
	ds_store_2addr_b64 v226, v[212:213], v[214:215] offset0:32 offset1:33
	ds_store_2addr_b64 v226, v[216:217], v[218:219] offset0:34 offset1:35
	ds_store_b64 v226, v[146:147] offset:288
	ds_load_b64 v[204:205], v225
	s_wait_dscnt 0x0
	v_cmp_neq_f32_e32 vcc_lo, 0, v204
	v_cmp_neq_f32_e64 s1, 0, v205
	s_or_b32 s1, vcc_lo, s1
	s_delay_alu instid0(SALU_CYCLE_1)
	s_and_b32 exec_lo, exec_lo, s1
	s_cbranch_execz .LBB73_251
; %bb.246:
	v_cmp_ngt_f32_e64 s1, |v204|, |v205|
                                        ; implicit-def: $vgpr206_vgpr207
	s_and_saveexec_b32 s4, s1
	s_delay_alu instid0(SALU_CYCLE_1)
	s_xor_b32 s1, exec_lo, s4
	s_cbranch_execz .LBB73_248
; %bb.247:
	v_div_scale_f32 v206, null, v205, v205, v204
	v_div_scale_f32 v209, vcc_lo, v204, v205, v204
	s_delay_alu instid0(VALU_DEP_2) | instskip(SKIP_1) | instid1(TRANS32_DEP_1)
	v_rcp_f32_e32 v207, v206
	v_nop
	v_fma_f32 v208, -v206, v207, 1.0
	s_delay_alu instid0(VALU_DEP_1) | instskip(NEXT) | instid1(VALU_DEP_1)
	v_fmac_f32_e32 v207, v208, v207
	v_mul_f32_e32 v208, v209, v207
	s_delay_alu instid0(VALU_DEP_1) | instskip(NEXT) | instid1(VALU_DEP_1)
	v_fma_f32 v210, -v206, v208, v209
	v_fmac_f32_e32 v208, v210, v207
	s_delay_alu instid0(VALU_DEP_1) | instskip(NEXT) | instid1(VALU_DEP_1)
	v_fma_f32 v206, -v206, v208, v209
	v_div_fmas_f32 v206, v206, v207, v208
	s_delay_alu instid0(VALU_DEP_1) | instskip(NEXT) | instid1(VALU_DEP_1)
	v_div_fixup_f32 v206, v206, v205, v204
	v_fmac_f32_e32 v205, v204, v206
	s_delay_alu instid0(VALU_DEP_1) | instskip(SKIP_1) | instid1(VALU_DEP_2)
	v_div_scale_f32 v204, null, v205, v205, 1.0
	v_div_scale_f32 v209, vcc_lo, 1.0, v205, 1.0
	v_rcp_f32_e32 v207, v204
	v_nop
	s_delay_alu instid0(TRANS32_DEP_1) | instskip(NEXT) | instid1(VALU_DEP_1)
	v_fma_f32 v208, -v204, v207, 1.0
	v_fmac_f32_e32 v207, v208, v207
	s_delay_alu instid0(VALU_DEP_1) | instskip(NEXT) | instid1(VALU_DEP_1)
	v_mul_f32_e32 v208, v209, v207
	v_fma_f32 v210, -v204, v208, v209
	s_delay_alu instid0(VALU_DEP_1) | instskip(NEXT) | instid1(VALU_DEP_1)
	v_fmac_f32_e32 v208, v210, v207
	v_fma_f32 v204, -v204, v208, v209
	s_delay_alu instid0(VALU_DEP_1) | instskip(NEXT) | instid1(VALU_DEP_1)
	v_div_fmas_f32 v204, v204, v207, v208
	v_div_fixup_f32 v204, v204, v205, 1.0
	s_delay_alu instid0(VALU_DEP_1)
	v_mul_f32_e32 v206, v206, v204
	v_xor_b32_e32 v207, 0x80000000, v204
                                        ; implicit-def: $vgpr204_vgpr205
.LBB73_248:
	s_and_not1_saveexec_b32 s1, s1
	s_cbranch_execz .LBB73_250
; %bb.249:
	v_div_scale_f32 v206, null, v204, v204, v205
	v_div_scale_f32 v209, vcc_lo, v205, v204, v205
	s_delay_alu instid0(VALU_DEP_2) | instskip(SKIP_1) | instid1(TRANS32_DEP_1)
	v_rcp_f32_e32 v207, v206
	v_nop
	v_fma_f32 v208, -v206, v207, 1.0
	s_delay_alu instid0(VALU_DEP_1) | instskip(NEXT) | instid1(VALU_DEP_1)
	v_fmac_f32_e32 v207, v208, v207
	v_mul_f32_e32 v208, v209, v207
	s_delay_alu instid0(VALU_DEP_1) | instskip(NEXT) | instid1(VALU_DEP_1)
	v_fma_f32 v210, -v206, v208, v209
	v_fmac_f32_e32 v208, v210, v207
	s_delay_alu instid0(VALU_DEP_1) | instskip(NEXT) | instid1(VALU_DEP_1)
	v_fma_f32 v206, -v206, v208, v209
	v_div_fmas_f32 v206, v206, v207, v208
	s_delay_alu instid0(VALU_DEP_1) | instskip(NEXT) | instid1(VALU_DEP_1)
	v_div_fixup_f32 v207, v206, v204, v205
	v_fmac_f32_e32 v204, v205, v207
	s_delay_alu instid0(VALU_DEP_1) | instskip(NEXT) | instid1(VALU_DEP_1)
	v_div_scale_f32 v205, null, v204, v204, 1.0
	v_rcp_f32_e32 v206, v205
	v_nop
	s_delay_alu instid0(TRANS32_DEP_1) | instskip(NEXT) | instid1(VALU_DEP_1)
	v_fma_f32 v208, -v205, v206, 1.0
	v_fmac_f32_e32 v206, v208, v206
	v_div_scale_f32 v208, vcc_lo, 1.0, v204, 1.0
	s_delay_alu instid0(VALU_DEP_1) | instskip(NEXT) | instid1(VALU_DEP_1)
	v_mul_f32_e32 v209, v208, v206
	v_fma_f32 v210, -v205, v209, v208
	s_delay_alu instid0(VALU_DEP_1) | instskip(NEXT) | instid1(VALU_DEP_1)
	v_fmac_f32_e32 v209, v210, v206
	v_fma_f32 v205, -v205, v209, v208
	s_delay_alu instid0(VALU_DEP_1) | instskip(NEXT) | instid1(VALU_DEP_1)
	v_div_fmas_f32 v205, v205, v206, v209
	v_div_fixup_f32 v206, v205, v204, 1.0
	s_delay_alu instid0(VALU_DEP_1)
	v_mul_f32_e64 v207, v207, -v206
.LBB73_250:
	s_or_b32 exec_lo, exec_lo, s1
	ds_store_b64 v225, v[206:207]
.LBB73_251:
	s_or_b32 exec_lo, exec_lo, s2
	s_wait_dscnt 0x0
	s_barrier_signal -1
	s_barrier_wait -1
	ds_load_b64 v[204:205], v225
	s_mov_b32 s1, exec_lo
	v_cmpx_lt_u32_e32 27, v224
	s_cbranch_execz .LBB73_253
; %bb.252:
	ds_load_2addr_b64 v[206:209], v226 offset0:28 offset1:29
	ds_load_2addr_b64 v[210:213], v226 offset0:30 offset1:31
	;; [unrolled: 1-line block ×3, first 2 shown]
	s_wait_dscnt 0x3
	v_pk_mul_f32 v[218:219], v[204:205], v[140:141] op_sel:[1,1] op_sel_hi:[0,1]
	s_delay_alu instid0(VALU_DEP_1)
	v_pk_fma_f32 v[222:223], v[204:205], v[140:141], v[218:219] op_sel_hi:[1,0,1] neg_lo:[0,0,1] neg_hi:[0,0,1]
	v_pk_fma_f32 v[228:229], v[204:205], v[140:141], v[218:219] op_sel_hi:[1,0,1]
	ds_load_2addr_b64 v[218:221], v226 offset0:34 offset1:35
	ds_load_b64 v[230:231], v226 offset:288
	v_dual_mov_b32 v140, v222 :: v_dual_mov_b32 v141, v229
	s_wait_dscnt 0x4
	v_pk_mul_f32 v[232:233], v[206:207], v[228:229] op_sel:[0,1]
	v_pk_mul_f32 v[234:235], v[208:209], v[228:229] op_sel:[0,1]
	s_wait_dscnt 0x3
	v_pk_mul_f32 v[236:237], v[210:211], v[228:229] op_sel:[0,1]
	v_dual_mov_b32 v238, v213 :: v_dual_mov_b32 v239, v212
	v_dual_mul_f32 v240, v213, v229 :: v_dual_mul_f32 v242, v213, v222
	s_wait_dscnt 0x2
	v_pk_mul_f32 v[244:245], v[214:215], v[228:229] op_sel:[0,1]
	v_pk_fma_f32 v[248:249], v[206:207], v[222:223], v[232:233] op_sel:[0,0,1] op_sel_hi:[1,1,0] neg_lo:[0,0,1] neg_hi:[0,0,1]
	v_pk_fma_f32 v[206:207], v[206:207], v[222:223], v[232:233] op_sel:[0,0,1] op_sel_hi:[1,0,0]
	v_pk_fma_f32 v[232:233], v[208:209], v[222:223], v[234:235] op_sel:[0,0,1] op_sel_hi:[1,1,0] neg_lo:[0,0,1] neg_hi:[0,0,1]
	v_pk_fma_f32 v[208:209], v[208:209], v[222:223], v[234:235] op_sel:[0,0,1] op_sel_hi:[1,0,0]
	;; [unrolled: 2-line block ×3, first 2 shown]
	v_pk_fma_f32 v[236:237], v[238:239], v[140:141], v[242:243] op_sel_hi:[1,1,0]
	v_pk_fma_f32 v[212:213], v[212:213], v[140:141], v[240:241] op_sel_hi:[1,1,0] neg_lo:[0,0,1] neg_hi:[0,0,1]
	v_pk_mul_f32 v[246:247], v[216:217], v[228:229] op_sel:[0,1]
	v_dual_mov_b32 v249, v207 :: v_dual_mov_b32 v233, v209
	s_delay_alu instid0(VALU_DEP_4)
	v_dual_mov_b32 v235, v211 :: v_dual_mov_b32 v213, v237
	v_pk_fma_f32 v[206:207], v[214:215], v[222:223], v[244:245] op_sel:[0,0,1] op_sel_hi:[1,0,0]
	v_pk_fma_f32 v[208:209], v[214:215], v[222:223], v[244:245] op_sel:[0,0,1] op_sel_hi:[1,1,0] neg_lo:[0,0,1] neg_hi:[0,0,1]
	v_pk_fma_f32 v[210:211], v[216:217], v[222:223], v[246:247] op_sel:[0,0,1] op_sel_hi:[1,0,0]
	v_pk_fma_f32 v[214:215], v[216:217], v[222:223], v[246:247] op_sel:[0,0,1] op_sel_hi:[1,1,0] neg_lo:[0,0,1] neg_hi:[0,0,1]
	v_pk_add_f32 v[118:119], v[118:119], v[212:213] neg_lo:[0,1] neg_hi:[0,1]
	v_mov_b32_e32 v209, v207
	s_wait_dscnt 0x1
	v_pk_mul_f32 v[206:207], v[218:219], v[228:229] op_sel:[0,1]
	v_pk_mul_f32 v[212:213], v[220:221], v[228:229] op_sel:[0,1]
	s_wait_dscnt 0x0
	v_pk_mul_f32 v[216:217], v[230:231], v[228:229] op_sel:[0,1]
	v_mov_b32_e32 v215, v211
	v_pk_add_f32 v[126:127], v[126:127], v[248:249] neg_lo:[0,1] neg_hi:[0,1]
	v_pk_fma_f32 v[228:229], v[218:219], v[222:223], v[206:207] op_sel:[0,0,1] op_sel_hi:[1,0,0]
	v_pk_fma_f32 v[210:211], v[220:221], v[222:223], v[212:213] op_sel:[0,0,1] op_sel_hi:[1,0,0]
	v_pk_fma_f32 v[206:207], v[218:219], v[222:223], v[206:207] op_sel:[0,0,1] op_sel_hi:[1,1,0] neg_lo:[0,0,1] neg_hi:[0,0,1]
	v_pk_fma_f32 v[218:219], v[230:231], v[222:223], v[216:217] op_sel:[0,0,1] op_sel_hi:[1,0,0]
	v_pk_fma_f32 v[212:213], v[220:221], v[222:223], v[212:213] op_sel:[0,0,1] op_sel_hi:[1,1,0] neg_lo:[0,0,1] neg_hi:[0,0,1]
	s_delay_alu instid0(VALU_DEP_4) | instskip(SKIP_1) | instid1(VALU_DEP_4)
	v_dual_mov_b32 v207, v229 :: v_dual_mov_b32 v213, v211
	v_pk_fma_f32 v[210:211], v[230:231], v[222:223], v[216:217] op_sel:[0,0,1] op_sel_hi:[1,1,0] neg_lo:[0,0,1] neg_hi:[0,0,1]
	v_mov_b32_e32 v211, v219
	v_pk_add_f32 v[120:121], v[120:121], v[232:233] neg_lo:[0,1] neg_hi:[0,1]
	v_pk_add_f32 v[124:125], v[124:125], v[234:235] neg_lo:[0,1] neg_hi:[0,1]
	;; [unrolled: 1-line block ×7, first 2 shown]
.LBB73_253:
	s_or_b32 exec_lo, exec_lo, s1
	s_delay_alu instid0(SALU_CYCLE_1)
	s_mov_b32 s2, exec_lo
	s_wait_dscnt 0x0
	s_barrier_signal -1
	s_barrier_wait -1
	v_cmpx_eq_u32_e32 28, v224
	s_cbranch_execz .LBB73_260
; %bb.254:
	ds_store_b64 v225, v[126:127]
	ds_store_2addr_b64 v226, v[120:121], v[124:125] offset0:29 offset1:30
	ds_store_2addr_b64 v226, v[118:119], v[122:123] offset0:31 offset1:32
	;; [unrolled: 1-line block ×4, first 2 shown]
	ds_load_b64 v[206:207], v225
	s_wait_dscnt 0x0
	v_cmp_neq_f32_e32 vcc_lo, 0, v206
	v_cmp_neq_f32_e64 s1, 0, v207
	s_or_b32 s1, vcc_lo, s1
	s_delay_alu instid0(SALU_CYCLE_1)
	s_and_b32 exec_lo, exec_lo, s1
	s_cbranch_execz .LBB73_260
; %bb.255:
	v_cmp_ngt_f32_e64 s1, |v206|, |v207|
                                        ; implicit-def: $vgpr208_vgpr209
	s_and_saveexec_b32 s4, s1
	s_delay_alu instid0(SALU_CYCLE_1)
	s_xor_b32 s1, exec_lo, s4
	s_cbranch_execz .LBB73_257
; %bb.256:
	v_div_scale_f32 v208, null, v207, v207, v206
	v_div_scale_f32 v211, vcc_lo, v206, v207, v206
	s_delay_alu instid0(VALU_DEP_2) | instskip(SKIP_1) | instid1(TRANS32_DEP_1)
	v_rcp_f32_e32 v209, v208
	v_nop
	v_fma_f32 v210, -v208, v209, 1.0
	s_delay_alu instid0(VALU_DEP_1) | instskip(NEXT) | instid1(VALU_DEP_1)
	v_fmac_f32_e32 v209, v210, v209
	v_mul_f32_e32 v210, v211, v209
	s_delay_alu instid0(VALU_DEP_1) | instskip(NEXT) | instid1(VALU_DEP_1)
	v_fma_f32 v212, -v208, v210, v211
	v_fmac_f32_e32 v210, v212, v209
	s_delay_alu instid0(VALU_DEP_1) | instskip(NEXT) | instid1(VALU_DEP_1)
	v_fma_f32 v208, -v208, v210, v211
	v_div_fmas_f32 v208, v208, v209, v210
	s_delay_alu instid0(VALU_DEP_1) | instskip(NEXT) | instid1(VALU_DEP_1)
	v_div_fixup_f32 v208, v208, v207, v206
	v_fmac_f32_e32 v207, v206, v208
	s_delay_alu instid0(VALU_DEP_1) | instskip(SKIP_1) | instid1(VALU_DEP_2)
	v_div_scale_f32 v206, null, v207, v207, 1.0
	v_div_scale_f32 v211, vcc_lo, 1.0, v207, 1.0
	v_rcp_f32_e32 v209, v206
	v_nop
	s_delay_alu instid0(TRANS32_DEP_1) | instskip(NEXT) | instid1(VALU_DEP_1)
	v_fma_f32 v210, -v206, v209, 1.0
	v_fmac_f32_e32 v209, v210, v209
	s_delay_alu instid0(VALU_DEP_1) | instskip(NEXT) | instid1(VALU_DEP_1)
	v_mul_f32_e32 v210, v211, v209
	v_fma_f32 v212, -v206, v210, v211
	s_delay_alu instid0(VALU_DEP_1) | instskip(NEXT) | instid1(VALU_DEP_1)
	v_fmac_f32_e32 v210, v212, v209
	v_fma_f32 v206, -v206, v210, v211
	s_delay_alu instid0(VALU_DEP_1) | instskip(NEXT) | instid1(VALU_DEP_1)
	v_div_fmas_f32 v206, v206, v209, v210
	v_div_fixup_f32 v206, v206, v207, 1.0
	s_delay_alu instid0(VALU_DEP_1)
	v_mul_f32_e32 v208, v208, v206
	v_xor_b32_e32 v209, 0x80000000, v206
                                        ; implicit-def: $vgpr206_vgpr207
.LBB73_257:
	s_and_not1_saveexec_b32 s1, s1
	s_cbranch_execz .LBB73_259
; %bb.258:
	v_div_scale_f32 v208, null, v206, v206, v207
	v_div_scale_f32 v211, vcc_lo, v207, v206, v207
	s_delay_alu instid0(VALU_DEP_2) | instskip(SKIP_1) | instid1(TRANS32_DEP_1)
	v_rcp_f32_e32 v209, v208
	v_nop
	v_fma_f32 v210, -v208, v209, 1.0
	s_delay_alu instid0(VALU_DEP_1) | instskip(NEXT) | instid1(VALU_DEP_1)
	v_fmac_f32_e32 v209, v210, v209
	v_mul_f32_e32 v210, v211, v209
	s_delay_alu instid0(VALU_DEP_1) | instskip(NEXT) | instid1(VALU_DEP_1)
	v_fma_f32 v212, -v208, v210, v211
	v_fmac_f32_e32 v210, v212, v209
	s_delay_alu instid0(VALU_DEP_1) | instskip(NEXT) | instid1(VALU_DEP_1)
	v_fma_f32 v208, -v208, v210, v211
	v_div_fmas_f32 v208, v208, v209, v210
	s_delay_alu instid0(VALU_DEP_1) | instskip(NEXT) | instid1(VALU_DEP_1)
	v_div_fixup_f32 v209, v208, v206, v207
	v_fmac_f32_e32 v206, v207, v209
	s_delay_alu instid0(VALU_DEP_1) | instskip(NEXT) | instid1(VALU_DEP_1)
	v_div_scale_f32 v207, null, v206, v206, 1.0
	v_rcp_f32_e32 v208, v207
	v_nop
	s_delay_alu instid0(TRANS32_DEP_1) | instskip(NEXT) | instid1(VALU_DEP_1)
	v_fma_f32 v210, -v207, v208, 1.0
	v_fmac_f32_e32 v208, v210, v208
	v_div_scale_f32 v210, vcc_lo, 1.0, v206, 1.0
	s_delay_alu instid0(VALU_DEP_1) | instskip(NEXT) | instid1(VALU_DEP_1)
	v_mul_f32_e32 v211, v210, v208
	v_fma_f32 v212, -v207, v211, v210
	s_delay_alu instid0(VALU_DEP_1) | instskip(NEXT) | instid1(VALU_DEP_1)
	v_fmac_f32_e32 v211, v212, v208
	v_fma_f32 v207, -v207, v211, v210
	s_delay_alu instid0(VALU_DEP_1) | instskip(NEXT) | instid1(VALU_DEP_1)
	v_div_fmas_f32 v207, v207, v208, v211
	v_div_fixup_f32 v208, v207, v206, 1.0
	s_delay_alu instid0(VALU_DEP_1)
	v_mul_f32_e64 v209, v209, -v208
.LBB73_259:
	s_or_b32 exec_lo, exec_lo, s1
	ds_store_b64 v225, v[208:209]
.LBB73_260:
	s_or_b32 exec_lo, exec_lo, s2
	s_wait_dscnt 0x0
	s_barrier_signal -1
	s_barrier_wait -1
	ds_load_b64 v[206:207], v225
	s_mov_b32 s1, exec_lo
	v_cmpx_lt_u32_e32 28, v224
	s_cbranch_execz .LBB73_262
; %bb.261:
	ds_load_2addr_b64 v[208:211], v226 offset0:29 offset1:30
	ds_load_2addr_b64 v[212:215], v226 offset0:31 offset1:32
	;; [unrolled: 1-line block ×3, first 2 shown]
	s_wait_dscnt 0x3
	v_pk_mul_f32 v[228:229], v[206:207], v[126:127] op_sel:[1,1] op_sel_hi:[0,1]
	ds_load_2addr_b64 v[220:223], v226 offset0:35 offset1:36
	v_pk_fma_f32 v[230:231], v[206:207], v[126:127], v[228:229] op_sel_hi:[1,0,1] neg_lo:[0,0,1] neg_hi:[0,0,1]
	v_pk_fma_f32 v[228:229], v[206:207], v[126:127], v[228:229] op_sel_hi:[1,0,1]
	s_delay_alu instid0(VALU_DEP_1) | instskip(SKIP_1) | instid1(VALU_DEP_2)
	v_dual_mov_b32 v126, v230 :: v_dual_mov_b32 v127, v229
	s_wait_dscnt 0x3
	v_pk_mul_f32 v[232:233], v[208:209], v[228:229] op_sel:[0,1]
	v_pk_mul_f32 v[234:235], v[210:211], v[228:229] op_sel:[0,1]
	s_wait_dscnt 0x2
	v_pk_mul_f32 v[236:237], v[212:213], v[228:229] op_sel:[0,1]
	s_wait_dscnt 0x1
	v_pk_mul_f32 v[244:245], v[216:217], v[228:229] op_sel:[0,1]
	v_dual_mov_b32 v238, v215 :: v_dual_mov_b32 v239, v214
	v_pk_fma_f32 v[250:251], v[208:209], v[230:231], v[232:233] op_sel:[0,0,1] op_sel_hi:[1,1,0] neg_lo:[0,0,1] neg_hi:[0,0,1]
	v_pk_fma_f32 v[208:209], v[208:209], v[230:231], v[232:233] op_sel:[0,0,1] op_sel_hi:[1,0,0]
	v_pk_fma_f32 v[232:233], v[210:211], v[230:231], v[234:235] op_sel:[0,0,1] op_sel_hi:[1,1,0] neg_lo:[0,0,1] neg_hi:[0,0,1]
	v_pk_fma_f32 v[210:211], v[210:211], v[230:231], v[234:235] op_sel:[0,0,1] op_sel_hi:[1,0,0]
	v_dual_mul_f32 v240, v215, v229 :: v_dual_mul_f32 v242, v215, v230
	v_pk_mul_f32 v[246:247], v[218:219], v[228:229] op_sel:[0,1]
	v_pk_fma_f32 v[234:235], v[212:213], v[230:231], v[236:237] op_sel:[0,0,1] op_sel_hi:[1,1,0] neg_lo:[0,0,1] neg_hi:[0,0,1]
	v_pk_fma_f32 v[212:213], v[212:213], v[230:231], v[236:237] op_sel:[0,0,1] op_sel_hi:[1,0,0]
	s_wait_dscnt 0x0
	v_pk_mul_f32 v[248:249], v[220:221], v[228:229] op_sel:[0,1]
	v_dual_mov_b32 v251, v209 :: v_dual_mov_b32 v233, v211
	v_pk_fma_f32 v[208:209], v[216:217], v[230:231], v[244:245] op_sel:[0,0,1] op_sel_hi:[1,0,0]
	v_pk_mul_f32 v[210:211], v[222:223], v[228:229] op_sel:[0,1]
	v_pk_fma_f32 v[236:237], v[238:239], v[126:127], v[242:243] op_sel_hi:[1,1,0]
	v_pk_fma_f32 v[238:239], v[216:217], v[230:231], v[244:245] op_sel:[0,0,1] op_sel_hi:[1,1,0] neg_lo:[0,0,1] neg_hi:[0,0,1]
	v_mov_b32_e32 v235, v213
	v_pk_fma_f32 v[212:213], v[218:219], v[230:231], v[246:247] op_sel:[0,0,1] op_sel_hi:[1,0,0]
	v_mov_b32_e32 v239, v209
	v_pk_fma_f32 v[208:209], v[220:221], v[230:231], v[248:249] op_sel:[0,0,1] op_sel_hi:[1,0,0]
	v_pk_fma_f32 v[216:217], v[218:219], v[230:231], v[246:247] op_sel:[0,0,1] op_sel_hi:[1,1,0] neg_lo:[0,0,1] neg_hi:[0,0,1]
	v_pk_fma_f32 v[218:219], v[222:223], v[230:231], v[210:211] op_sel:[0,0,1] op_sel_hi:[1,0,0]
	v_mov_b32_e32 v217, v213
	v_pk_fma_f32 v[212:213], v[220:221], v[230:231], v[248:249] op_sel:[0,0,1] op_sel_hi:[1,1,0] neg_lo:[0,0,1] neg_hi:[0,0,1]
	v_pk_fma_f32 v[214:215], v[214:215], v[126:127], v[240:241] op_sel_hi:[1,1,0] neg_lo:[0,0,1] neg_hi:[0,0,1]
	v_mov_b32_e32 v213, v209
	v_pk_fma_f32 v[208:209], v[222:223], v[230:231], v[210:211] op_sel:[0,0,1] op_sel_hi:[1,1,0] neg_lo:[0,0,1] neg_hi:[0,0,1]
	v_dual_mov_b32 v215, v237 :: v_dual_mov_b32 v209, v219
	v_pk_add_f32 v[120:121], v[120:121], v[250:251] neg_lo:[0,1] neg_hi:[0,1]
	v_pk_add_f32 v[124:125], v[124:125], v[232:233] neg_lo:[0,1] neg_hi:[0,1]
	;; [unrolled: 1-line block ×3, first 2 shown]
	s_delay_alu instid0(VALU_DEP_4)
	v_pk_add_f32 v[122:123], v[122:123], v[214:215] neg_lo:[0,1] neg_hi:[0,1]
	v_pk_add_f32 v[138:139], v[138:139], v[238:239] neg_lo:[0,1] neg_hi:[0,1]
	;; [unrolled: 1-line block ×5, first 2 shown]
.LBB73_262:
	s_or_b32 exec_lo, exec_lo, s1
	s_delay_alu instid0(SALU_CYCLE_1)
	s_mov_b32 s2, exec_lo
	s_wait_dscnt 0x0
	s_barrier_signal -1
	s_barrier_wait -1
	v_cmpx_eq_u32_e32 29, v224
	s_cbranch_execz .LBB73_269
; %bb.263:
	v_dual_mov_b32 v208, v124 :: v_dual_mov_b32 v209, v125
	v_dual_mov_b32 v210, v118 :: v_dual_mov_b32 v211, v119
	v_dual_mov_b32 v212, v122 :: v_dual_mov_b32 v213, v123
	v_dual_mov_b32 v214, v138 :: v_dual_mov_b32 v215, v139
	v_dual_mov_b32 v216, v136 :: v_dual_mov_b32 v217, v137
	v_dual_mov_b32 v218, v134 :: v_dual_mov_b32 v219, v135
	ds_store_b64 v225, v[120:121]
	ds_store_2addr_b64 v226, v[208:209], v[210:211] offset0:30 offset1:31
	ds_store_2addr_b64 v226, v[212:213], v[214:215] offset0:32 offset1:33
	;; [unrolled: 1-line block ×3, first 2 shown]
	ds_store_b64 v226, v[146:147] offset:288
	ds_load_b64 v[208:209], v225
	s_wait_dscnt 0x0
	v_cmp_neq_f32_e32 vcc_lo, 0, v208
	v_cmp_neq_f32_e64 s1, 0, v209
	s_or_b32 s1, vcc_lo, s1
	s_delay_alu instid0(SALU_CYCLE_1)
	s_and_b32 exec_lo, exec_lo, s1
	s_cbranch_execz .LBB73_269
; %bb.264:
	v_cmp_ngt_f32_e64 s1, |v208|, |v209|
                                        ; implicit-def: $vgpr210_vgpr211
	s_and_saveexec_b32 s4, s1
	s_delay_alu instid0(SALU_CYCLE_1)
	s_xor_b32 s1, exec_lo, s4
	s_cbranch_execz .LBB73_266
; %bb.265:
	v_div_scale_f32 v210, null, v209, v209, v208
	v_div_scale_f32 v213, vcc_lo, v208, v209, v208
	s_delay_alu instid0(VALU_DEP_2) | instskip(SKIP_1) | instid1(TRANS32_DEP_1)
	v_rcp_f32_e32 v211, v210
	v_nop
	v_fma_f32 v212, -v210, v211, 1.0
	s_delay_alu instid0(VALU_DEP_1) | instskip(NEXT) | instid1(VALU_DEP_1)
	v_fmac_f32_e32 v211, v212, v211
	v_mul_f32_e32 v212, v213, v211
	s_delay_alu instid0(VALU_DEP_1) | instskip(NEXT) | instid1(VALU_DEP_1)
	v_fma_f32 v214, -v210, v212, v213
	v_fmac_f32_e32 v212, v214, v211
	s_delay_alu instid0(VALU_DEP_1) | instskip(NEXT) | instid1(VALU_DEP_1)
	v_fma_f32 v210, -v210, v212, v213
	v_div_fmas_f32 v210, v210, v211, v212
	s_delay_alu instid0(VALU_DEP_1) | instskip(NEXT) | instid1(VALU_DEP_1)
	v_div_fixup_f32 v210, v210, v209, v208
	v_fmac_f32_e32 v209, v208, v210
	s_delay_alu instid0(VALU_DEP_1) | instskip(SKIP_1) | instid1(VALU_DEP_2)
	v_div_scale_f32 v208, null, v209, v209, 1.0
	v_div_scale_f32 v213, vcc_lo, 1.0, v209, 1.0
	v_rcp_f32_e32 v211, v208
	v_nop
	s_delay_alu instid0(TRANS32_DEP_1) | instskip(NEXT) | instid1(VALU_DEP_1)
	v_fma_f32 v212, -v208, v211, 1.0
	v_fmac_f32_e32 v211, v212, v211
	s_delay_alu instid0(VALU_DEP_1) | instskip(NEXT) | instid1(VALU_DEP_1)
	v_mul_f32_e32 v212, v213, v211
	v_fma_f32 v214, -v208, v212, v213
	s_delay_alu instid0(VALU_DEP_1) | instskip(NEXT) | instid1(VALU_DEP_1)
	v_fmac_f32_e32 v212, v214, v211
	v_fma_f32 v208, -v208, v212, v213
	s_delay_alu instid0(VALU_DEP_1) | instskip(NEXT) | instid1(VALU_DEP_1)
	v_div_fmas_f32 v208, v208, v211, v212
	v_div_fixup_f32 v208, v208, v209, 1.0
	s_delay_alu instid0(VALU_DEP_1)
	v_mul_f32_e32 v210, v210, v208
	v_xor_b32_e32 v211, 0x80000000, v208
                                        ; implicit-def: $vgpr208_vgpr209
.LBB73_266:
	s_and_not1_saveexec_b32 s1, s1
	s_cbranch_execz .LBB73_268
; %bb.267:
	v_div_scale_f32 v210, null, v208, v208, v209
	v_div_scale_f32 v213, vcc_lo, v209, v208, v209
	s_delay_alu instid0(VALU_DEP_2) | instskip(SKIP_1) | instid1(TRANS32_DEP_1)
	v_rcp_f32_e32 v211, v210
	v_nop
	v_fma_f32 v212, -v210, v211, 1.0
	s_delay_alu instid0(VALU_DEP_1) | instskip(NEXT) | instid1(VALU_DEP_1)
	v_fmac_f32_e32 v211, v212, v211
	v_mul_f32_e32 v212, v213, v211
	s_delay_alu instid0(VALU_DEP_1) | instskip(NEXT) | instid1(VALU_DEP_1)
	v_fma_f32 v214, -v210, v212, v213
	v_fmac_f32_e32 v212, v214, v211
	s_delay_alu instid0(VALU_DEP_1) | instskip(NEXT) | instid1(VALU_DEP_1)
	v_fma_f32 v210, -v210, v212, v213
	v_div_fmas_f32 v210, v210, v211, v212
	s_delay_alu instid0(VALU_DEP_1) | instskip(NEXT) | instid1(VALU_DEP_1)
	v_div_fixup_f32 v211, v210, v208, v209
	v_fmac_f32_e32 v208, v209, v211
	s_delay_alu instid0(VALU_DEP_1) | instskip(NEXT) | instid1(VALU_DEP_1)
	v_div_scale_f32 v209, null, v208, v208, 1.0
	v_rcp_f32_e32 v210, v209
	v_nop
	s_delay_alu instid0(TRANS32_DEP_1) | instskip(NEXT) | instid1(VALU_DEP_1)
	v_fma_f32 v212, -v209, v210, 1.0
	v_fmac_f32_e32 v210, v212, v210
	v_div_scale_f32 v212, vcc_lo, 1.0, v208, 1.0
	s_delay_alu instid0(VALU_DEP_1) | instskip(NEXT) | instid1(VALU_DEP_1)
	v_mul_f32_e32 v213, v212, v210
	v_fma_f32 v214, -v209, v213, v212
	s_delay_alu instid0(VALU_DEP_1) | instskip(NEXT) | instid1(VALU_DEP_1)
	v_fmac_f32_e32 v213, v214, v210
	v_fma_f32 v209, -v209, v213, v212
	s_delay_alu instid0(VALU_DEP_1) | instskip(NEXT) | instid1(VALU_DEP_1)
	v_div_fmas_f32 v209, v209, v210, v213
	v_div_fixup_f32 v210, v209, v208, 1.0
	s_delay_alu instid0(VALU_DEP_1)
	v_mul_f32_e64 v211, v211, -v210
.LBB73_268:
	s_or_b32 exec_lo, exec_lo, s1
	ds_store_b64 v225, v[210:211]
.LBB73_269:
	s_or_b32 exec_lo, exec_lo, s2
	s_wait_dscnt 0x0
	s_barrier_signal -1
	s_barrier_wait -1
	ds_load_b64 v[208:209], v225
	s_mov_b32 s1, exec_lo
	v_cmpx_lt_u32_e32 29, v224
	s_cbranch_execz .LBB73_271
; %bb.270:
	ds_load_2addr_b64 v[210:213], v226 offset0:30 offset1:31
	ds_load_2addr_b64 v[214:217], v226 offset0:32 offset1:33
	;; [unrolled: 1-line block ×3, first 2 shown]
	ds_load_b64 v[228:229], v226 offset:288
	s_wait_dscnt 0x4
	v_pk_mul_f32 v[222:223], v[208:209], v[120:121] op_sel:[1,1] op_sel_hi:[0,1]
	s_delay_alu instid0(VALU_DEP_1) | instskip(SKIP_1) | instid1(VALU_DEP_1)
	v_pk_fma_f32 v[230:231], v[208:209], v[120:121], v[222:223] op_sel_hi:[1,0,1] neg_lo:[0,0,1] neg_hi:[0,0,1]
	v_pk_fma_f32 v[222:223], v[208:209], v[120:121], v[222:223] op_sel_hi:[1,0,1]
	v_dual_mov_b32 v120, v230 :: v_dual_mov_b32 v121, v223
	s_wait_dscnt 0x3
	s_delay_alu instid0(VALU_DEP_2)
	v_pk_mul_f32 v[232:233], v[210:211], v[222:223] op_sel:[0,1]
	v_pk_mul_f32 v[234:235], v[212:213], v[222:223] op_sel:[0,1]
	s_wait_dscnt 0x2
	v_pk_mul_f32 v[236:237], v[214:215], v[222:223] op_sel:[0,1]
	v_dual_mov_b32 v238, v217 :: v_dual_mov_b32 v239, v216
	v_dual_mul_f32 v240, v217, v223 :: v_dual_mul_f32 v242, v217, v230
	s_wait_dscnt 0x1
	v_pk_mul_f32 v[244:245], v[218:219], v[222:223] op_sel:[0,1]
	v_pk_mul_f32 v[246:247], v[220:221], v[222:223] op_sel:[0,1]
	v_pk_fma_f32 v[248:249], v[210:211], v[230:231], v[232:233] op_sel:[0,0,1] op_sel_hi:[1,1,0] neg_lo:[0,0,1] neg_hi:[0,0,1]
	v_pk_fma_f32 v[210:211], v[210:211], v[230:231], v[232:233] op_sel:[0,0,1] op_sel_hi:[1,0,0]
	s_wait_dscnt 0x0
	v_pk_mul_f32 v[222:223], v[228:229], v[222:223] op_sel:[0,1]
	v_pk_fma_f32 v[232:233], v[212:213], v[230:231], v[234:235] op_sel:[0,0,1] op_sel_hi:[1,1,0] neg_lo:[0,0,1] neg_hi:[0,0,1]
	v_pk_fma_f32 v[212:213], v[212:213], v[230:231], v[234:235] op_sel:[0,0,1] op_sel_hi:[1,0,0]
	v_pk_fma_f32 v[234:235], v[214:215], v[230:231], v[236:237] op_sel:[0,0,1] op_sel_hi:[1,1,0] neg_lo:[0,0,1] neg_hi:[0,0,1]
	v_pk_fma_f32 v[214:215], v[214:215], v[230:231], v[236:237] op_sel:[0,0,1] op_sel_hi:[1,0,0]
	v_pk_fma_f32 v[236:237], v[238:239], v[120:121], v[242:243] op_sel_hi:[1,1,0]
	v_pk_fma_f32 v[238:239], v[218:219], v[230:231], v[244:245] op_sel:[0,0,1] op_sel_hi:[1,1,0] neg_lo:[0,0,1] neg_hi:[0,0,1]
	v_pk_fma_f32 v[218:219], v[218:219], v[230:231], v[244:245] op_sel:[0,0,1] op_sel_hi:[1,0,0]
	v_dual_mov_b32 v249, v211 :: v_dual_mov_b32 v233, v213
	v_pk_fma_f32 v[210:211], v[220:221], v[230:231], v[246:247] op_sel:[0,0,1] op_sel_hi:[1,0,0]
	v_pk_fma_f32 v[212:213], v[228:229], v[230:231], v[222:223] op_sel:[0,0,1] op_sel_hi:[1,0,0]
	v_mov_b32_e32 v235, v215
	v_pk_fma_f32 v[214:215], v[220:221], v[230:231], v[246:247] op_sel:[0,0,1] op_sel_hi:[1,1,0] neg_lo:[0,0,1] neg_hi:[0,0,1]
	v_pk_fma_f32 v[216:217], v[216:217], v[120:121], v[240:241] op_sel_hi:[1,1,0] neg_lo:[0,0,1] neg_hi:[0,0,1]
	v_dual_mov_b32 v239, v219 :: v_dual_mov_b32 v215, v211
	v_pk_fma_f32 v[210:211], v[228:229], v[230:231], v[222:223] op_sel:[0,0,1] op_sel_hi:[1,1,0] neg_lo:[0,0,1] neg_hi:[0,0,1]
	v_dual_mov_b32 v217, v237 :: v_dual_mov_b32 v211, v213
	v_pk_add_f32 v[124:125], v[124:125], v[248:249] neg_lo:[0,1] neg_hi:[0,1]
	v_pk_add_f32 v[118:119], v[118:119], v[232:233] neg_lo:[0,1] neg_hi:[0,1]
	;; [unrolled: 1-line block ×3, first 2 shown]
	s_delay_alu instid0(VALU_DEP_4)
	v_pk_add_f32 v[138:139], v[138:139], v[216:217] neg_lo:[0,1] neg_hi:[0,1]
	v_pk_add_f32 v[136:137], v[136:137], v[238:239] neg_lo:[0,1] neg_hi:[0,1]
	v_pk_add_f32 v[134:135], v[134:135], v[214:215] neg_lo:[0,1] neg_hi:[0,1]
	v_pk_add_f32 v[146:147], v[146:147], v[210:211] neg_lo:[0,1] neg_hi:[0,1]
.LBB73_271:
	s_or_b32 exec_lo, exec_lo, s1
	s_delay_alu instid0(SALU_CYCLE_1)
	s_mov_b32 s2, exec_lo
	s_wait_dscnt 0x0
	s_barrier_signal -1
	s_barrier_wait -1
	v_cmpx_eq_u32_e32 30, v224
	s_cbranch_execz .LBB73_278
; %bb.272:
	ds_store_b64 v225, v[124:125]
	ds_store_2addr_b64 v226, v[118:119], v[122:123] offset0:31 offset1:32
	ds_store_2addr_b64 v226, v[138:139], v[136:137] offset0:33 offset1:34
	;; [unrolled: 1-line block ×3, first 2 shown]
	ds_load_b64 v[210:211], v225
	s_wait_dscnt 0x0
	v_cmp_neq_f32_e32 vcc_lo, 0, v210
	v_cmp_neq_f32_e64 s1, 0, v211
	s_or_b32 s1, vcc_lo, s1
	s_delay_alu instid0(SALU_CYCLE_1)
	s_and_b32 exec_lo, exec_lo, s1
	s_cbranch_execz .LBB73_278
; %bb.273:
	v_cmp_ngt_f32_e64 s1, |v210|, |v211|
                                        ; implicit-def: $vgpr212_vgpr213
	s_and_saveexec_b32 s4, s1
	s_delay_alu instid0(SALU_CYCLE_1)
	s_xor_b32 s1, exec_lo, s4
	s_cbranch_execz .LBB73_275
; %bb.274:
	v_div_scale_f32 v212, null, v211, v211, v210
	v_div_scale_f32 v215, vcc_lo, v210, v211, v210
	s_delay_alu instid0(VALU_DEP_2) | instskip(SKIP_1) | instid1(TRANS32_DEP_1)
	v_rcp_f32_e32 v213, v212
	v_nop
	v_fma_f32 v214, -v212, v213, 1.0
	s_delay_alu instid0(VALU_DEP_1) | instskip(NEXT) | instid1(VALU_DEP_1)
	v_fmac_f32_e32 v213, v214, v213
	v_mul_f32_e32 v214, v215, v213
	s_delay_alu instid0(VALU_DEP_1) | instskip(NEXT) | instid1(VALU_DEP_1)
	v_fma_f32 v216, -v212, v214, v215
	v_fmac_f32_e32 v214, v216, v213
	s_delay_alu instid0(VALU_DEP_1) | instskip(NEXT) | instid1(VALU_DEP_1)
	v_fma_f32 v212, -v212, v214, v215
	v_div_fmas_f32 v212, v212, v213, v214
	s_delay_alu instid0(VALU_DEP_1) | instskip(NEXT) | instid1(VALU_DEP_1)
	v_div_fixup_f32 v212, v212, v211, v210
	v_fmac_f32_e32 v211, v210, v212
	s_delay_alu instid0(VALU_DEP_1) | instskip(SKIP_1) | instid1(VALU_DEP_2)
	v_div_scale_f32 v210, null, v211, v211, 1.0
	v_div_scale_f32 v215, vcc_lo, 1.0, v211, 1.0
	v_rcp_f32_e32 v213, v210
	v_nop
	s_delay_alu instid0(TRANS32_DEP_1) | instskip(NEXT) | instid1(VALU_DEP_1)
	v_fma_f32 v214, -v210, v213, 1.0
	v_fmac_f32_e32 v213, v214, v213
	s_delay_alu instid0(VALU_DEP_1) | instskip(NEXT) | instid1(VALU_DEP_1)
	v_mul_f32_e32 v214, v215, v213
	v_fma_f32 v216, -v210, v214, v215
	s_delay_alu instid0(VALU_DEP_1) | instskip(NEXT) | instid1(VALU_DEP_1)
	v_fmac_f32_e32 v214, v216, v213
	v_fma_f32 v210, -v210, v214, v215
	s_delay_alu instid0(VALU_DEP_1) | instskip(NEXT) | instid1(VALU_DEP_1)
	v_div_fmas_f32 v210, v210, v213, v214
	v_div_fixup_f32 v210, v210, v211, 1.0
	s_delay_alu instid0(VALU_DEP_1)
	v_mul_f32_e32 v212, v212, v210
	v_xor_b32_e32 v213, 0x80000000, v210
                                        ; implicit-def: $vgpr210_vgpr211
.LBB73_275:
	s_and_not1_saveexec_b32 s1, s1
	s_cbranch_execz .LBB73_277
; %bb.276:
	v_div_scale_f32 v212, null, v210, v210, v211
	v_div_scale_f32 v215, vcc_lo, v211, v210, v211
	s_delay_alu instid0(VALU_DEP_2) | instskip(SKIP_1) | instid1(TRANS32_DEP_1)
	v_rcp_f32_e32 v213, v212
	v_nop
	v_fma_f32 v214, -v212, v213, 1.0
	s_delay_alu instid0(VALU_DEP_1) | instskip(NEXT) | instid1(VALU_DEP_1)
	v_fmac_f32_e32 v213, v214, v213
	v_mul_f32_e32 v214, v215, v213
	s_delay_alu instid0(VALU_DEP_1) | instskip(NEXT) | instid1(VALU_DEP_1)
	v_fma_f32 v216, -v212, v214, v215
	v_fmac_f32_e32 v214, v216, v213
	s_delay_alu instid0(VALU_DEP_1) | instskip(NEXT) | instid1(VALU_DEP_1)
	v_fma_f32 v212, -v212, v214, v215
	v_div_fmas_f32 v212, v212, v213, v214
	s_delay_alu instid0(VALU_DEP_1) | instskip(NEXT) | instid1(VALU_DEP_1)
	v_div_fixup_f32 v213, v212, v210, v211
	v_fmac_f32_e32 v210, v211, v213
	s_delay_alu instid0(VALU_DEP_1) | instskip(NEXT) | instid1(VALU_DEP_1)
	v_div_scale_f32 v211, null, v210, v210, 1.0
	v_rcp_f32_e32 v212, v211
	v_nop
	s_delay_alu instid0(TRANS32_DEP_1) | instskip(NEXT) | instid1(VALU_DEP_1)
	v_fma_f32 v214, -v211, v212, 1.0
	v_fmac_f32_e32 v212, v214, v212
	v_div_scale_f32 v214, vcc_lo, 1.0, v210, 1.0
	s_delay_alu instid0(VALU_DEP_1) | instskip(NEXT) | instid1(VALU_DEP_1)
	v_mul_f32_e32 v215, v214, v212
	v_fma_f32 v216, -v211, v215, v214
	s_delay_alu instid0(VALU_DEP_1) | instskip(NEXT) | instid1(VALU_DEP_1)
	v_fmac_f32_e32 v215, v216, v212
	v_fma_f32 v211, -v211, v215, v214
	s_delay_alu instid0(VALU_DEP_1) | instskip(NEXT) | instid1(VALU_DEP_1)
	v_div_fmas_f32 v211, v211, v212, v215
	v_div_fixup_f32 v212, v211, v210, 1.0
	s_delay_alu instid0(VALU_DEP_1)
	v_mul_f32_e64 v213, v213, -v212
.LBB73_277:
	s_or_b32 exec_lo, exec_lo, s1
	ds_store_b64 v225, v[212:213]
.LBB73_278:
	s_or_b32 exec_lo, exec_lo, s2
	s_wait_dscnt 0x0
	s_barrier_signal -1
	s_barrier_wait -1
	ds_load_b64 v[210:211], v225
	s_mov_b32 s1, exec_lo
	v_cmpx_lt_u32_e32 30, v224
	s_cbranch_execz .LBB73_280
; %bb.279:
	ds_load_2addr_b64 v[212:215], v226 offset0:31 offset1:32
	ds_load_2addr_b64 v[216:219], v226 offset0:33 offset1:34
	;; [unrolled: 1-line block ×3, first 2 shown]
	s_wait_dscnt 0x3
	v_pk_mul_f32 v[228:229], v[210:211], v[124:125] op_sel:[1,1] op_sel_hi:[0,1]
	s_delay_alu instid0(VALU_DEP_1) | instskip(SKIP_1) | instid1(VALU_DEP_1)
	v_pk_fma_f32 v[230:231], v[210:211], v[124:125], v[228:229] op_sel_hi:[1,0,1] neg_lo:[0,0,1] neg_hi:[0,0,1]
	v_pk_fma_f32 v[228:229], v[210:211], v[124:125], v[228:229] op_sel_hi:[1,0,1]
	v_dual_mov_b32 v124, v230 :: v_dual_mov_b32 v125, v229
	s_wait_dscnt 0x2
	s_delay_alu instid0(VALU_DEP_2)
	v_pk_mul_f32 v[232:233], v[212:213], v[228:229] op_sel:[0,1]
	v_pk_mul_f32 v[234:235], v[214:215], v[228:229] op_sel:[0,1]
	s_wait_dscnt 0x1
	v_pk_mul_f32 v[236:237], v[216:217], v[228:229] op_sel:[0,1]
	v_dual_mov_b32 v238, v219 :: v_dual_mov_b32 v239, v218
	v_dual_mul_f32 v240, v219, v229 :: v_dual_mul_f32 v242, v219, v230
	s_wait_dscnt 0x0
	v_pk_mul_f32 v[244:245], v[220:221], v[228:229] op_sel:[0,1]
	v_dual_mov_b32 v246, v223 :: v_dual_mov_b32 v247, v222
	v_dual_mul_f32 v228, v223, v229 :: v_dual_mul_f32 v248, v223, v230
	v_pk_fma_f32 v[250:251], v[212:213], v[230:231], v[232:233] op_sel:[0,0,1] op_sel_hi:[1,1,0] neg_lo:[0,0,1] neg_hi:[0,0,1]
	v_pk_fma_f32 v[212:213], v[212:213], v[230:231], v[232:233] op_sel:[0,0,1] op_sel_hi:[1,0,0]
	v_pk_fma_f32 v[232:233], v[214:215], v[230:231], v[234:235] op_sel:[0,0,1] op_sel_hi:[1,1,0] neg_lo:[0,0,1] neg_hi:[0,0,1]
	v_pk_fma_f32 v[214:215], v[214:215], v[230:231], v[234:235] op_sel:[0,0,1] op_sel_hi:[1,0,0]
	;; [unrolled: 2-line block ×3, first 2 shown]
	v_pk_fma_f32 v[236:237], v[238:239], v[124:125], v[242:243] op_sel_hi:[1,1,0]
	v_pk_fma_f32 v[238:239], v[220:221], v[230:231], v[244:245] op_sel:[0,0,1] op_sel_hi:[1,1,0] neg_lo:[0,0,1] neg_hi:[0,0,1]
	v_pk_fma_f32 v[220:221], v[220:221], v[230:231], v[244:245] op_sel:[0,0,1] op_sel_hi:[1,0,0]
	v_dual_mov_b32 v251, v213 :: v_dual_mov_b32 v233, v215
	v_pk_fma_f32 v[212:213], v[246:247], v[124:125], v[248:249] op_sel_hi:[1,1,0]
	v_pk_fma_f32 v[218:219], v[218:219], v[124:125], v[240:241] op_sel_hi:[1,1,0] neg_lo:[0,0,1] neg_hi:[0,0,1]
	v_pk_fma_f32 v[214:215], v[222:223], v[124:125], v[228:229] op_sel_hi:[1,1,0] neg_lo:[0,0,1] neg_hi:[0,0,1]
	v_dual_mov_b32 v235, v217 :: v_dual_mov_b32 v219, v237
	s_delay_alu instid0(VALU_DEP_4) | instskip(SKIP_2) | instid1(VALU_DEP_4)
	v_dual_mov_b32 v239, v221 :: v_dual_mov_b32 v215, v213
	v_pk_add_f32 v[118:119], v[118:119], v[250:251] neg_lo:[0,1] neg_hi:[0,1]
	v_pk_add_f32 v[122:123], v[122:123], v[232:233] neg_lo:[0,1] neg_hi:[0,1]
	v_pk_add_f32 v[138:139], v[138:139], v[234:235] neg_lo:[0,1] neg_hi:[0,1]
	v_pk_add_f32 v[136:137], v[136:137], v[218:219] neg_lo:[0,1] neg_hi:[0,1]
	v_pk_add_f32 v[134:135], v[134:135], v[238:239] neg_lo:[0,1] neg_hi:[0,1]
	v_pk_add_f32 v[146:147], v[146:147], v[214:215] neg_lo:[0,1] neg_hi:[0,1]
.LBB73_280:
	s_or_b32 exec_lo, exec_lo, s1
	s_delay_alu instid0(SALU_CYCLE_1)
	s_mov_b32 s2, exec_lo
	s_wait_dscnt 0x0
	s_barrier_signal -1
	s_barrier_wait -1
	v_cmpx_eq_u32_e32 31, v224
	s_cbranch_execz .LBB73_287
; %bb.281:
	v_dual_mov_b32 v212, v122 :: v_dual_mov_b32 v213, v123
	v_dual_mov_b32 v214, v138 :: v_dual_mov_b32 v215, v139
	;; [unrolled: 1-line block ×4, first 2 shown]
	ds_store_b64 v225, v[118:119]
	ds_store_2addr_b64 v226, v[212:213], v[214:215] offset0:32 offset1:33
	ds_store_2addr_b64 v226, v[216:217], v[218:219] offset0:34 offset1:35
	ds_store_b64 v226, v[146:147] offset:288
	ds_load_b64 v[212:213], v225
	s_wait_dscnt 0x0
	v_cmp_neq_f32_e32 vcc_lo, 0, v212
	v_cmp_neq_f32_e64 s1, 0, v213
	s_or_b32 s1, vcc_lo, s1
	s_delay_alu instid0(SALU_CYCLE_1)
	s_and_b32 exec_lo, exec_lo, s1
	s_cbranch_execz .LBB73_287
; %bb.282:
	v_cmp_ngt_f32_e64 s1, |v212|, |v213|
                                        ; implicit-def: $vgpr214_vgpr215
	s_and_saveexec_b32 s4, s1
	s_delay_alu instid0(SALU_CYCLE_1)
	s_xor_b32 s1, exec_lo, s4
	s_cbranch_execz .LBB73_284
; %bb.283:
	v_div_scale_f32 v214, null, v213, v213, v212
	v_div_scale_f32 v217, vcc_lo, v212, v213, v212
	s_delay_alu instid0(VALU_DEP_2) | instskip(SKIP_1) | instid1(TRANS32_DEP_1)
	v_rcp_f32_e32 v215, v214
	v_nop
	v_fma_f32 v216, -v214, v215, 1.0
	s_delay_alu instid0(VALU_DEP_1) | instskip(NEXT) | instid1(VALU_DEP_1)
	v_fmac_f32_e32 v215, v216, v215
	v_mul_f32_e32 v216, v217, v215
	s_delay_alu instid0(VALU_DEP_1) | instskip(NEXT) | instid1(VALU_DEP_1)
	v_fma_f32 v218, -v214, v216, v217
	v_fmac_f32_e32 v216, v218, v215
	s_delay_alu instid0(VALU_DEP_1) | instskip(NEXT) | instid1(VALU_DEP_1)
	v_fma_f32 v214, -v214, v216, v217
	v_div_fmas_f32 v214, v214, v215, v216
	s_delay_alu instid0(VALU_DEP_1) | instskip(NEXT) | instid1(VALU_DEP_1)
	v_div_fixup_f32 v214, v214, v213, v212
	v_fmac_f32_e32 v213, v212, v214
	s_delay_alu instid0(VALU_DEP_1) | instskip(SKIP_1) | instid1(VALU_DEP_2)
	v_div_scale_f32 v212, null, v213, v213, 1.0
	v_div_scale_f32 v217, vcc_lo, 1.0, v213, 1.0
	v_rcp_f32_e32 v215, v212
	v_nop
	s_delay_alu instid0(TRANS32_DEP_1) | instskip(NEXT) | instid1(VALU_DEP_1)
	v_fma_f32 v216, -v212, v215, 1.0
	v_fmac_f32_e32 v215, v216, v215
	s_delay_alu instid0(VALU_DEP_1) | instskip(NEXT) | instid1(VALU_DEP_1)
	v_mul_f32_e32 v216, v217, v215
	v_fma_f32 v218, -v212, v216, v217
	s_delay_alu instid0(VALU_DEP_1) | instskip(NEXT) | instid1(VALU_DEP_1)
	v_fmac_f32_e32 v216, v218, v215
	v_fma_f32 v212, -v212, v216, v217
	s_delay_alu instid0(VALU_DEP_1) | instskip(NEXT) | instid1(VALU_DEP_1)
	v_div_fmas_f32 v212, v212, v215, v216
	v_div_fixup_f32 v212, v212, v213, 1.0
	s_delay_alu instid0(VALU_DEP_1)
	v_mul_f32_e32 v214, v214, v212
	v_xor_b32_e32 v215, 0x80000000, v212
                                        ; implicit-def: $vgpr212_vgpr213
.LBB73_284:
	s_and_not1_saveexec_b32 s1, s1
	s_cbranch_execz .LBB73_286
; %bb.285:
	v_div_scale_f32 v214, null, v212, v212, v213
	v_div_scale_f32 v217, vcc_lo, v213, v212, v213
	s_delay_alu instid0(VALU_DEP_2) | instskip(SKIP_1) | instid1(TRANS32_DEP_1)
	v_rcp_f32_e32 v215, v214
	v_nop
	v_fma_f32 v216, -v214, v215, 1.0
	s_delay_alu instid0(VALU_DEP_1) | instskip(NEXT) | instid1(VALU_DEP_1)
	v_fmac_f32_e32 v215, v216, v215
	v_mul_f32_e32 v216, v217, v215
	s_delay_alu instid0(VALU_DEP_1) | instskip(NEXT) | instid1(VALU_DEP_1)
	v_fma_f32 v218, -v214, v216, v217
	v_fmac_f32_e32 v216, v218, v215
	s_delay_alu instid0(VALU_DEP_1) | instskip(NEXT) | instid1(VALU_DEP_1)
	v_fma_f32 v214, -v214, v216, v217
	v_div_fmas_f32 v214, v214, v215, v216
	s_delay_alu instid0(VALU_DEP_1) | instskip(NEXT) | instid1(VALU_DEP_1)
	v_div_fixup_f32 v215, v214, v212, v213
	v_fmac_f32_e32 v212, v213, v215
	s_delay_alu instid0(VALU_DEP_1) | instskip(NEXT) | instid1(VALU_DEP_1)
	v_div_scale_f32 v213, null, v212, v212, 1.0
	v_rcp_f32_e32 v214, v213
	v_nop
	s_delay_alu instid0(TRANS32_DEP_1) | instskip(NEXT) | instid1(VALU_DEP_1)
	v_fma_f32 v216, -v213, v214, 1.0
	v_fmac_f32_e32 v214, v216, v214
	v_div_scale_f32 v216, vcc_lo, 1.0, v212, 1.0
	s_delay_alu instid0(VALU_DEP_1) | instskip(NEXT) | instid1(VALU_DEP_1)
	v_mul_f32_e32 v217, v216, v214
	v_fma_f32 v218, -v213, v217, v216
	s_delay_alu instid0(VALU_DEP_1) | instskip(NEXT) | instid1(VALU_DEP_1)
	v_fmac_f32_e32 v217, v218, v214
	v_fma_f32 v213, -v213, v217, v216
	s_delay_alu instid0(VALU_DEP_1) | instskip(NEXT) | instid1(VALU_DEP_1)
	v_div_fmas_f32 v213, v213, v214, v217
	v_div_fixup_f32 v214, v213, v212, 1.0
	s_delay_alu instid0(VALU_DEP_1)
	v_mul_f32_e64 v215, v215, -v214
.LBB73_286:
	s_or_b32 exec_lo, exec_lo, s1
	ds_store_b64 v225, v[214:215]
.LBB73_287:
	s_or_b32 exec_lo, exec_lo, s2
	s_wait_dscnt 0x0
	s_barrier_signal -1
	s_barrier_wait -1
	ds_load_b64 v[212:213], v225
	s_mov_b32 s1, exec_lo
	v_cmpx_lt_u32_e32 31, v224
	s_cbranch_execz .LBB73_289
; %bb.288:
	ds_load_2addr_b64 v[214:217], v226 offset0:32 offset1:33
	ds_load_2addr_b64 v[218:221], v226 offset0:34 offset1:35
	ds_load_b64 v[222:223], v226 offset:288
	s_wait_dscnt 0x3
	v_pk_mul_f32 v[228:229], v[212:213], v[118:119] op_sel:[1,1] op_sel_hi:[0,1]
	s_delay_alu instid0(VALU_DEP_1) | instskip(SKIP_1) | instid1(VALU_DEP_1)
	v_pk_fma_f32 v[230:231], v[212:213], v[118:119], v[228:229] op_sel_hi:[1,0,1] neg_lo:[0,0,1] neg_hi:[0,0,1]
	v_pk_fma_f32 v[228:229], v[212:213], v[118:119], v[228:229] op_sel_hi:[1,0,1]
	v_dual_mov_b32 v118, v230 :: v_dual_mov_b32 v119, v229
	s_wait_dscnt 0x2
	s_delay_alu instid0(VALU_DEP_2)
	v_pk_mul_f32 v[232:233], v[214:215], v[228:229] op_sel:[0,1]
	v_pk_mul_f32 v[234:235], v[216:217], v[228:229] op_sel:[0,1]
	s_wait_dscnt 0x1
	v_pk_mul_f32 v[236:237], v[218:219], v[228:229] op_sel:[0,1]
	v_dual_mov_b32 v238, v221 :: v_dual_mov_b32 v239, v220
	v_dual_mul_f32 v240, v221, v229 :: v_dual_mul_f32 v242, v221, v230
	s_wait_dscnt 0x0
	v_pk_mul_f32 v[228:229], v[222:223], v[228:229] op_sel:[0,1]
	v_pk_fma_f32 v[244:245], v[214:215], v[230:231], v[232:233] op_sel:[0,0,1] op_sel_hi:[1,1,0] neg_lo:[0,0,1] neg_hi:[0,0,1]
	v_pk_fma_f32 v[214:215], v[214:215], v[230:231], v[232:233] op_sel:[0,0,1] op_sel_hi:[1,0,0]
	v_pk_fma_f32 v[232:233], v[216:217], v[230:231], v[234:235] op_sel:[0,0,1] op_sel_hi:[1,1,0] neg_lo:[0,0,1] neg_hi:[0,0,1]
	v_pk_fma_f32 v[216:217], v[216:217], v[230:231], v[234:235] op_sel:[0,0,1] op_sel_hi:[1,0,0]
	;; [unrolled: 2-line block ×3, first 2 shown]
	v_pk_fma_f32 v[236:237], v[238:239], v[118:119], v[242:243] op_sel_hi:[1,1,0]
	v_pk_fma_f32 v[238:239], v[222:223], v[230:231], v[228:229] op_sel:[0,0,1] op_sel_hi:[1,1,0] neg_lo:[0,0,1] neg_hi:[0,0,1]
	v_pk_fma_f32 v[222:223], v[222:223], v[230:231], v[228:229] op_sel:[0,0,1] op_sel_hi:[1,0,0]
	v_pk_fma_f32 v[220:221], v[220:221], v[118:119], v[240:241] op_sel_hi:[1,1,0] neg_lo:[0,0,1] neg_hi:[0,0,1]
	v_dual_mov_b32 v245, v215 :: v_dual_mov_b32 v233, v217
	v_dual_mov_b32 v235, v219 :: v_dual_mov_b32 v221, v237
	s_delay_alu instid0(VALU_DEP_4) | instskip(NEXT) | instid1(VALU_DEP_3)
	v_mov_b32_e32 v239, v223
	v_pk_add_f32 v[122:123], v[122:123], v[244:245] neg_lo:[0,1] neg_hi:[0,1]
	s_delay_alu instid0(VALU_DEP_4) | instskip(NEXT) | instid1(VALU_DEP_4)
	v_pk_add_f32 v[138:139], v[138:139], v[232:233] neg_lo:[0,1] neg_hi:[0,1]
	v_pk_add_f32 v[136:137], v[136:137], v[234:235] neg_lo:[0,1] neg_hi:[0,1]
	;; [unrolled: 1-line block ×4, first 2 shown]
.LBB73_289:
	s_or_b32 exec_lo, exec_lo, s1
	s_delay_alu instid0(SALU_CYCLE_1)
	s_mov_b32 s2, exec_lo
	s_wait_dscnt 0x0
	s_barrier_signal -1
	s_barrier_wait -1
	v_cmpx_eq_u32_e32 32, v224
	s_cbranch_execz .LBB73_296
; %bb.290:
	ds_store_b64 v225, v[122:123]
	ds_store_2addr_b64 v226, v[138:139], v[136:137] offset0:33 offset1:34
	ds_store_2addr_b64 v226, v[134:135], v[146:147] offset0:35 offset1:36
	ds_load_b64 v[214:215], v225
	s_wait_dscnt 0x0
	v_cmp_neq_f32_e32 vcc_lo, 0, v214
	v_cmp_neq_f32_e64 s1, 0, v215
	s_or_b32 s1, vcc_lo, s1
	s_delay_alu instid0(SALU_CYCLE_1)
	s_and_b32 exec_lo, exec_lo, s1
	s_cbranch_execz .LBB73_296
; %bb.291:
	v_cmp_ngt_f32_e64 s1, |v214|, |v215|
                                        ; implicit-def: $vgpr216_vgpr217
	s_and_saveexec_b32 s4, s1
	s_delay_alu instid0(SALU_CYCLE_1)
	s_xor_b32 s1, exec_lo, s4
	s_cbranch_execz .LBB73_293
; %bb.292:
	v_div_scale_f32 v216, null, v215, v215, v214
	v_div_scale_f32 v219, vcc_lo, v214, v215, v214
	s_delay_alu instid0(VALU_DEP_2) | instskip(SKIP_1) | instid1(TRANS32_DEP_1)
	v_rcp_f32_e32 v217, v216
	v_nop
	v_fma_f32 v218, -v216, v217, 1.0
	s_delay_alu instid0(VALU_DEP_1) | instskip(NEXT) | instid1(VALU_DEP_1)
	v_fmac_f32_e32 v217, v218, v217
	v_mul_f32_e32 v218, v219, v217
	s_delay_alu instid0(VALU_DEP_1) | instskip(NEXT) | instid1(VALU_DEP_1)
	v_fma_f32 v220, -v216, v218, v219
	v_fmac_f32_e32 v218, v220, v217
	s_delay_alu instid0(VALU_DEP_1) | instskip(NEXT) | instid1(VALU_DEP_1)
	v_fma_f32 v216, -v216, v218, v219
	v_div_fmas_f32 v216, v216, v217, v218
	s_delay_alu instid0(VALU_DEP_1) | instskip(NEXT) | instid1(VALU_DEP_1)
	v_div_fixup_f32 v216, v216, v215, v214
	v_fmac_f32_e32 v215, v214, v216
	s_delay_alu instid0(VALU_DEP_1) | instskip(SKIP_1) | instid1(VALU_DEP_2)
	v_div_scale_f32 v214, null, v215, v215, 1.0
	v_div_scale_f32 v219, vcc_lo, 1.0, v215, 1.0
	v_rcp_f32_e32 v217, v214
	v_nop
	s_delay_alu instid0(TRANS32_DEP_1) | instskip(NEXT) | instid1(VALU_DEP_1)
	v_fma_f32 v218, -v214, v217, 1.0
	v_fmac_f32_e32 v217, v218, v217
	s_delay_alu instid0(VALU_DEP_1) | instskip(NEXT) | instid1(VALU_DEP_1)
	v_mul_f32_e32 v218, v219, v217
	v_fma_f32 v220, -v214, v218, v219
	s_delay_alu instid0(VALU_DEP_1) | instskip(NEXT) | instid1(VALU_DEP_1)
	v_fmac_f32_e32 v218, v220, v217
	v_fma_f32 v214, -v214, v218, v219
	s_delay_alu instid0(VALU_DEP_1) | instskip(NEXT) | instid1(VALU_DEP_1)
	v_div_fmas_f32 v214, v214, v217, v218
	v_div_fixup_f32 v214, v214, v215, 1.0
	s_delay_alu instid0(VALU_DEP_1)
	v_mul_f32_e32 v216, v216, v214
	v_xor_b32_e32 v217, 0x80000000, v214
                                        ; implicit-def: $vgpr214_vgpr215
.LBB73_293:
	s_and_not1_saveexec_b32 s1, s1
	s_cbranch_execz .LBB73_295
; %bb.294:
	v_div_scale_f32 v216, null, v214, v214, v215
	v_div_scale_f32 v219, vcc_lo, v215, v214, v215
	s_delay_alu instid0(VALU_DEP_2) | instskip(SKIP_1) | instid1(TRANS32_DEP_1)
	v_rcp_f32_e32 v217, v216
	v_nop
	v_fma_f32 v218, -v216, v217, 1.0
	s_delay_alu instid0(VALU_DEP_1) | instskip(NEXT) | instid1(VALU_DEP_1)
	v_fmac_f32_e32 v217, v218, v217
	v_mul_f32_e32 v218, v219, v217
	s_delay_alu instid0(VALU_DEP_1) | instskip(NEXT) | instid1(VALU_DEP_1)
	v_fma_f32 v220, -v216, v218, v219
	v_fmac_f32_e32 v218, v220, v217
	s_delay_alu instid0(VALU_DEP_1) | instskip(NEXT) | instid1(VALU_DEP_1)
	v_fma_f32 v216, -v216, v218, v219
	v_div_fmas_f32 v216, v216, v217, v218
	s_delay_alu instid0(VALU_DEP_1) | instskip(NEXT) | instid1(VALU_DEP_1)
	v_div_fixup_f32 v217, v216, v214, v215
	v_fmac_f32_e32 v214, v215, v217
	s_delay_alu instid0(VALU_DEP_1) | instskip(NEXT) | instid1(VALU_DEP_1)
	v_div_scale_f32 v215, null, v214, v214, 1.0
	v_rcp_f32_e32 v216, v215
	v_nop
	s_delay_alu instid0(TRANS32_DEP_1) | instskip(NEXT) | instid1(VALU_DEP_1)
	v_fma_f32 v218, -v215, v216, 1.0
	v_fmac_f32_e32 v216, v218, v216
	v_div_scale_f32 v218, vcc_lo, 1.0, v214, 1.0
	s_delay_alu instid0(VALU_DEP_1) | instskip(NEXT) | instid1(VALU_DEP_1)
	v_mul_f32_e32 v219, v218, v216
	v_fma_f32 v220, -v215, v219, v218
	s_delay_alu instid0(VALU_DEP_1) | instskip(NEXT) | instid1(VALU_DEP_1)
	v_fmac_f32_e32 v219, v220, v216
	v_fma_f32 v215, -v215, v219, v218
	s_delay_alu instid0(VALU_DEP_1) | instskip(NEXT) | instid1(VALU_DEP_1)
	v_div_fmas_f32 v215, v215, v216, v219
	v_div_fixup_f32 v216, v215, v214, 1.0
	s_delay_alu instid0(VALU_DEP_1)
	v_mul_f32_e64 v217, v217, -v216
.LBB73_295:
	s_or_b32 exec_lo, exec_lo, s1
	ds_store_b64 v225, v[216:217]
.LBB73_296:
	s_or_b32 exec_lo, exec_lo, s2
	s_wait_dscnt 0x0
	s_barrier_signal -1
	s_barrier_wait -1
	ds_load_b64 v[214:215], v225
	s_mov_b32 s1, exec_lo
	v_cmpx_lt_u32_e32 32, v224
	s_cbranch_execz .LBB73_298
; %bb.297:
	ds_load_2addr_b64 v[216:219], v226 offset0:33 offset1:34
	ds_load_2addr_b64 v[220:223], v226 offset0:35 offset1:36
	s_wait_dscnt 0x2
	v_pk_mul_f32 v[228:229], v[214:215], v[122:123] op_sel:[1,1] op_sel_hi:[0,1]
	s_delay_alu instid0(VALU_DEP_1) | instskip(SKIP_1) | instid1(VALU_DEP_1)
	v_pk_fma_f32 v[230:231], v[214:215], v[122:123], v[228:229] op_sel_hi:[1,0,1] neg_lo:[0,0,1] neg_hi:[0,0,1]
	v_pk_fma_f32 v[228:229], v[214:215], v[122:123], v[228:229] op_sel_hi:[1,0,1]
	v_dual_mov_b32 v122, v230 :: v_dual_mov_b32 v123, v229
	s_wait_dscnt 0x1
	s_delay_alu instid0(VALU_DEP_2)
	v_pk_mul_f32 v[232:233], v[216:217], v[228:229] op_sel:[0,1]
	s_wait_dscnt 0x0
	v_mov_b32_e32 v234, v223
	v_pk_mul_f32 v[236:237], v[218:219], v[228:229] op_sel:[0,1]
	v_pk_mul_f32 v[238:239], v[220:221], v[228:229] op_sel:[0,1]
	v_pk_fma_f32 v[240:241], v[216:217], v[230:231], v[232:233] op_sel:[0,0,1] op_sel_hi:[1,1,0] neg_lo:[0,0,1] neg_hi:[0,0,1]
	v_pk_fma_f32 v[216:217], v[216:217], v[230:231], v[232:233] op_sel:[0,0,1] op_sel_hi:[1,0,0]
	s_delay_alu instid0(VALU_DEP_1) | instskip(NEXT) | instid1(VALU_DEP_1)
	v_dual_mov_b32 v235, v222 :: v_dual_mov_b32 v241, v217
	v_pk_mul_f32 v[232:233], v[234:235], v[228:229] op_sel:[0,1]
	v_pk_fma_f32 v[234:235], v[218:219], v[230:231], v[236:237] op_sel:[0,0,1] op_sel_hi:[1,0,0]
	v_pk_fma_f32 v[218:219], v[218:219], v[230:231], v[236:237] op_sel:[0,0,1] op_sel_hi:[1,1,0] neg_lo:[0,0,1] neg_hi:[0,0,1]
	v_pk_fma_f32 v[236:237], v[220:221], v[230:231], v[238:239] op_sel:[0,0,1] op_sel_hi:[1,0,0]
	v_pk_fma_f32 v[220:221], v[220:221], v[230:231], v[238:239] op_sel:[0,0,1] op_sel_hi:[1,1,0] neg_lo:[0,0,1] neg_hi:[0,0,1]
	v_pk_fma_f32 v[216:217], v[222:223], v[230:231], v[232:233] op_sel_hi:[1,0,1]
	v_pk_fma_f32 v[222:223], v[222:223], v[230:231], v[232:233] neg_lo:[0,0,1] neg_hi:[0,0,1]
	s_delay_alu instid0(VALU_DEP_4) | instskip(SKIP_1) | instid1(VALU_DEP_4)
	v_dual_mov_b32 v219, v235 :: v_dual_mov_b32 v221, v237
	v_pk_add_f32 v[138:139], v[138:139], v[240:241] neg_lo:[0,1] neg_hi:[0,1]
	v_mov_b32_e32 v223, v217
	s_delay_alu instid0(VALU_DEP_3) | instskip(NEXT) | instid1(VALU_DEP_4)
	v_pk_add_f32 v[136:137], v[136:137], v[218:219] neg_lo:[0,1] neg_hi:[0,1]
	v_pk_add_f32 v[134:135], v[134:135], v[220:221] neg_lo:[0,1] neg_hi:[0,1]
	s_delay_alu instid0(VALU_DEP_3)
	v_pk_add_f32 v[146:147], v[146:147], v[222:223] neg_lo:[0,1] neg_hi:[0,1]
.LBB73_298:
	s_or_b32 exec_lo, exec_lo, s1
	s_delay_alu instid0(SALU_CYCLE_1)
	s_mov_b32 s2, exec_lo
	s_wait_dscnt 0x0
	s_barrier_signal -1
	s_barrier_wait -1
	v_cmpx_eq_u32_e32 33, v224
	s_cbranch_execz .LBB73_305
; %bb.299:
	v_dual_mov_b32 v216, v136 :: v_dual_mov_b32 v217, v137
	v_dual_mov_b32 v218, v134 :: v_dual_mov_b32 v219, v135
	ds_store_b64 v225, v[138:139]
	ds_store_2addr_b64 v226, v[216:217], v[218:219] offset0:34 offset1:35
	ds_store_b64 v226, v[146:147] offset:288
	ds_load_b64 v[216:217], v225
	s_wait_dscnt 0x0
	v_cmp_neq_f32_e32 vcc_lo, 0, v216
	v_cmp_neq_f32_e64 s1, 0, v217
	s_or_b32 s1, vcc_lo, s1
	s_delay_alu instid0(SALU_CYCLE_1)
	s_and_b32 exec_lo, exec_lo, s1
	s_cbranch_execz .LBB73_305
; %bb.300:
	v_cmp_ngt_f32_e64 s1, |v216|, |v217|
                                        ; implicit-def: $vgpr218_vgpr219
	s_and_saveexec_b32 s4, s1
	s_delay_alu instid0(SALU_CYCLE_1)
	s_xor_b32 s1, exec_lo, s4
	s_cbranch_execz .LBB73_302
; %bb.301:
	v_div_scale_f32 v218, null, v217, v217, v216
	v_div_scale_f32 v221, vcc_lo, v216, v217, v216
	s_delay_alu instid0(VALU_DEP_2) | instskip(SKIP_1) | instid1(TRANS32_DEP_1)
	v_rcp_f32_e32 v219, v218
	v_nop
	v_fma_f32 v220, -v218, v219, 1.0
	s_delay_alu instid0(VALU_DEP_1) | instskip(NEXT) | instid1(VALU_DEP_1)
	v_fmac_f32_e32 v219, v220, v219
	v_mul_f32_e32 v220, v221, v219
	s_delay_alu instid0(VALU_DEP_1) | instskip(NEXT) | instid1(VALU_DEP_1)
	v_fma_f32 v222, -v218, v220, v221
	v_fmac_f32_e32 v220, v222, v219
	s_delay_alu instid0(VALU_DEP_1) | instskip(NEXT) | instid1(VALU_DEP_1)
	v_fma_f32 v218, -v218, v220, v221
	v_div_fmas_f32 v218, v218, v219, v220
	s_delay_alu instid0(VALU_DEP_1) | instskip(NEXT) | instid1(VALU_DEP_1)
	v_div_fixup_f32 v218, v218, v217, v216
	v_fmac_f32_e32 v217, v216, v218
	s_delay_alu instid0(VALU_DEP_1) | instskip(SKIP_1) | instid1(VALU_DEP_2)
	v_div_scale_f32 v216, null, v217, v217, 1.0
	v_div_scale_f32 v221, vcc_lo, 1.0, v217, 1.0
	v_rcp_f32_e32 v219, v216
	v_nop
	s_delay_alu instid0(TRANS32_DEP_1) | instskip(NEXT) | instid1(VALU_DEP_1)
	v_fma_f32 v220, -v216, v219, 1.0
	v_fmac_f32_e32 v219, v220, v219
	s_delay_alu instid0(VALU_DEP_1) | instskip(NEXT) | instid1(VALU_DEP_1)
	v_mul_f32_e32 v220, v221, v219
	v_fma_f32 v222, -v216, v220, v221
	s_delay_alu instid0(VALU_DEP_1) | instskip(NEXT) | instid1(VALU_DEP_1)
	v_fmac_f32_e32 v220, v222, v219
	v_fma_f32 v216, -v216, v220, v221
	s_delay_alu instid0(VALU_DEP_1) | instskip(NEXT) | instid1(VALU_DEP_1)
	v_div_fmas_f32 v216, v216, v219, v220
	v_div_fixup_f32 v216, v216, v217, 1.0
	s_delay_alu instid0(VALU_DEP_1)
	v_mul_f32_e32 v218, v218, v216
	v_xor_b32_e32 v219, 0x80000000, v216
                                        ; implicit-def: $vgpr216_vgpr217
.LBB73_302:
	s_and_not1_saveexec_b32 s1, s1
	s_cbranch_execz .LBB73_304
; %bb.303:
	v_div_scale_f32 v218, null, v216, v216, v217
	v_div_scale_f32 v221, vcc_lo, v217, v216, v217
	s_delay_alu instid0(VALU_DEP_2) | instskip(SKIP_1) | instid1(TRANS32_DEP_1)
	v_rcp_f32_e32 v219, v218
	v_nop
	v_fma_f32 v220, -v218, v219, 1.0
	s_delay_alu instid0(VALU_DEP_1) | instskip(NEXT) | instid1(VALU_DEP_1)
	v_fmac_f32_e32 v219, v220, v219
	v_mul_f32_e32 v220, v221, v219
	s_delay_alu instid0(VALU_DEP_1) | instskip(NEXT) | instid1(VALU_DEP_1)
	v_fma_f32 v222, -v218, v220, v221
	v_fmac_f32_e32 v220, v222, v219
	s_delay_alu instid0(VALU_DEP_1) | instskip(NEXT) | instid1(VALU_DEP_1)
	v_fma_f32 v218, -v218, v220, v221
	v_div_fmas_f32 v218, v218, v219, v220
	s_delay_alu instid0(VALU_DEP_1) | instskip(NEXT) | instid1(VALU_DEP_1)
	v_div_fixup_f32 v219, v218, v216, v217
	v_fmac_f32_e32 v216, v217, v219
	s_delay_alu instid0(VALU_DEP_1) | instskip(NEXT) | instid1(VALU_DEP_1)
	v_div_scale_f32 v217, null, v216, v216, 1.0
	v_rcp_f32_e32 v218, v217
	v_nop
	s_delay_alu instid0(TRANS32_DEP_1) | instskip(NEXT) | instid1(VALU_DEP_1)
	v_fma_f32 v220, -v217, v218, 1.0
	v_fmac_f32_e32 v218, v220, v218
	v_div_scale_f32 v220, vcc_lo, 1.0, v216, 1.0
	s_delay_alu instid0(VALU_DEP_1) | instskip(NEXT) | instid1(VALU_DEP_1)
	v_mul_f32_e32 v221, v220, v218
	v_fma_f32 v222, -v217, v221, v220
	s_delay_alu instid0(VALU_DEP_1) | instskip(NEXT) | instid1(VALU_DEP_1)
	v_fmac_f32_e32 v221, v222, v218
	v_fma_f32 v217, -v217, v221, v220
	s_delay_alu instid0(VALU_DEP_1) | instskip(NEXT) | instid1(VALU_DEP_1)
	v_div_fmas_f32 v217, v217, v218, v221
	v_div_fixup_f32 v218, v217, v216, 1.0
	s_delay_alu instid0(VALU_DEP_1)
	v_mul_f32_e64 v219, v219, -v218
.LBB73_304:
	s_or_b32 exec_lo, exec_lo, s1
	ds_store_b64 v225, v[218:219]
.LBB73_305:
	s_or_b32 exec_lo, exec_lo, s2
	s_wait_dscnt 0x0
	s_barrier_signal -1
	s_barrier_wait -1
	ds_load_b64 v[216:217], v225
	s_mov_b32 s1, exec_lo
	v_cmpx_lt_u32_e32 33, v224
	s_cbranch_execz .LBB73_307
; %bb.306:
	ds_load_2addr_b64 v[218:221], v226 offset0:34 offset1:35
	ds_load_b64 v[222:223], v226 offset:288
	s_wait_dscnt 0x2
	v_pk_mul_f32 v[228:229], v[216:217], v[138:139] op_sel:[1,1] op_sel_hi:[0,1]
	s_delay_alu instid0(VALU_DEP_1) | instskip(SKIP_2) | instid1(VALU_DEP_2)
	v_pk_fma_f32 v[230:231], v[216:217], v[138:139], v[228:229] op_sel_hi:[1,0,1]
	v_pk_fma_f32 v[138:139], v[216:217], v[138:139], v[228:229] op_sel_hi:[1,0,1] neg_lo:[0,0,1] neg_hi:[0,0,1]
	s_wait_dscnt 0x1
	v_pk_mul_f32 v[228:229], v[218:219], v[230:231] op_sel:[0,1]
	v_pk_mul_f32 v[232:233], v[220:221], v[230:231] op_sel:[0,1]
	s_wait_dscnt 0x0
	v_pk_mul_f32 v[234:235], v[222:223], v[230:231] op_sel:[1,1] op_sel_hi:[0,1]
	s_delay_alu instid0(VALU_DEP_3) | instskip(SKIP_2) | instid1(VALU_DEP_4)
	v_pk_fma_f32 v[236:237], v[218:219], v[138:139], v[228:229] op_sel:[0,0,1] op_sel_hi:[1,1,0] neg_lo:[0,0,1] neg_hi:[0,0,1]
	v_pk_fma_f32 v[218:219], v[218:219], v[138:139], v[228:229] op_sel:[0,0,1] op_sel_hi:[1,0,0]
	v_pk_fma_f32 v[228:229], v[220:221], v[138:139], v[232:233] op_sel:[0,0,1] op_sel_hi:[1,0,0]
	v_pk_fma_f32 v[238:239], v[222:223], v[138:139], v[234:235] op_sel_hi:[1,0,1]
	v_pk_fma_f32 v[220:221], v[220:221], v[138:139], v[232:233] op_sel:[0,0,1] op_sel_hi:[1,1,0] neg_lo:[0,0,1] neg_hi:[0,0,1]
	v_pk_fma_f32 v[222:223], v[222:223], v[138:139], v[234:235] neg_lo:[0,0,1] neg_hi:[0,0,1]
	s_delay_alu instid0(VALU_DEP_4) | instskip(NEXT) | instid1(VALU_DEP_4)
	v_dual_mov_b32 v237, v219 :: v_dual_mov_b32 v221, v229
	v_dual_mov_b32 v223, v239 :: v_dual_mov_b32 v139, v231
	s_delay_alu instid0(VALU_DEP_2) | instskip(NEXT) | instid1(VALU_DEP_3)
	v_pk_add_f32 v[136:137], v[136:137], v[236:237] neg_lo:[0,1] neg_hi:[0,1]
	v_pk_add_f32 v[134:135], v[134:135], v[220:221] neg_lo:[0,1] neg_hi:[0,1]
	s_delay_alu instid0(VALU_DEP_3)
	v_pk_add_f32 v[146:147], v[146:147], v[222:223] neg_lo:[0,1] neg_hi:[0,1]
.LBB73_307:
	s_or_b32 exec_lo, exec_lo, s1
	s_delay_alu instid0(SALU_CYCLE_1)
	s_mov_b32 s2, exec_lo
	s_wait_dscnt 0x0
	s_barrier_signal -1
	s_barrier_wait -1
	v_cmpx_eq_u32_e32 34, v224
	s_cbranch_execz .LBB73_314
; %bb.308:
	ds_store_b64 v225, v[136:137]
	ds_store_2addr_b64 v226, v[134:135], v[146:147] offset0:35 offset1:36
	ds_load_b64 v[218:219], v225
	s_wait_dscnt 0x0
	v_cmp_neq_f32_e32 vcc_lo, 0, v218
	v_cmp_neq_f32_e64 s1, 0, v219
	s_or_b32 s1, vcc_lo, s1
	s_delay_alu instid0(SALU_CYCLE_1)
	s_and_b32 exec_lo, exec_lo, s1
	s_cbranch_execz .LBB73_314
; %bb.309:
	v_cmp_ngt_f32_e64 s1, |v218|, |v219|
                                        ; implicit-def: $vgpr220_vgpr221
	s_and_saveexec_b32 s4, s1
	s_delay_alu instid0(SALU_CYCLE_1)
	s_xor_b32 s1, exec_lo, s4
	s_cbranch_execz .LBB73_311
; %bb.310:
	v_div_scale_f32 v220, null, v219, v219, v218
	v_div_scale_f32 v223, vcc_lo, v218, v219, v218
	s_delay_alu instid0(VALU_DEP_2) | instskip(SKIP_1) | instid1(TRANS32_DEP_1)
	v_rcp_f32_e32 v221, v220
	v_nop
	v_fma_f32 v222, -v220, v221, 1.0
	s_delay_alu instid0(VALU_DEP_1) | instskip(NEXT) | instid1(VALU_DEP_1)
	v_fmac_f32_e32 v221, v222, v221
	v_mul_f32_e32 v222, v223, v221
	s_delay_alu instid0(VALU_DEP_1) | instskip(NEXT) | instid1(VALU_DEP_1)
	v_fma_f32 v227, -v220, v222, v223
	v_fmac_f32_e32 v222, v227, v221
	s_delay_alu instid0(VALU_DEP_1) | instskip(NEXT) | instid1(VALU_DEP_1)
	v_fma_f32 v220, -v220, v222, v223
	v_div_fmas_f32 v220, v220, v221, v222
	s_delay_alu instid0(VALU_DEP_1) | instskip(NEXT) | instid1(VALU_DEP_1)
	v_div_fixup_f32 v220, v220, v219, v218
	v_fmac_f32_e32 v219, v218, v220
	s_delay_alu instid0(VALU_DEP_1) | instskip(SKIP_1) | instid1(VALU_DEP_2)
	v_div_scale_f32 v218, null, v219, v219, 1.0
	v_div_scale_f32 v223, vcc_lo, 1.0, v219, 1.0
	v_rcp_f32_e32 v221, v218
	v_nop
	s_delay_alu instid0(TRANS32_DEP_1) | instskip(NEXT) | instid1(VALU_DEP_1)
	v_fma_f32 v222, -v218, v221, 1.0
	v_fmac_f32_e32 v221, v222, v221
	s_delay_alu instid0(VALU_DEP_1) | instskip(NEXT) | instid1(VALU_DEP_1)
	v_mul_f32_e32 v222, v223, v221
	v_fma_f32 v227, -v218, v222, v223
	s_delay_alu instid0(VALU_DEP_1) | instskip(NEXT) | instid1(VALU_DEP_1)
	v_fmac_f32_e32 v222, v227, v221
	v_fma_f32 v218, -v218, v222, v223
	s_delay_alu instid0(VALU_DEP_1) | instskip(NEXT) | instid1(VALU_DEP_1)
	v_div_fmas_f32 v218, v218, v221, v222
	v_div_fixup_f32 v218, v218, v219, 1.0
	s_delay_alu instid0(VALU_DEP_1)
	v_mul_f32_e32 v220, v220, v218
	v_xor_b32_e32 v221, 0x80000000, v218
                                        ; implicit-def: $vgpr218_vgpr219
.LBB73_311:
	s_and_not1_saveexec_b32 s1, s1
	s_cbranch_execz .LBB73_313
; %bb.312:
	v_div_scale_f32 v220, null, v218, v218, v219
	v_div_scale_f32 v223, vcc_lo, v219, v218, v219
	s_delay_alu instid0(VALU_DEP_2) | instskip(SKIP_1) | instid1(TRANS32_DEP_1)
	v_rcp_f32_e32 v221, v220
	v_nop
	v_fma_f32 v222, -v220, v221, 1.0
	s_delay_alu instid0(VALU_DEP_1) | instskip(NEXT) | instid1(VALU_DEP_1)
	v_fmac_f32_e32 v221, v222, v221
	v_mul_f32_e32 v222, v223, v221
	s_delay_alu instid0(VALU_DEP_1) | instskip(NEXT) | instid1(VALU_DEP_1)
	v_fma_f32 v227, -v220, v222, v223
	v_fmac_f32_e32 v222, v227, v221
	s_delay_alu instid0(VALU_DEP_1) | instskip(NEXT) | instid1(VALU_DEP_1)
	v_fma_f32 v220, -v220, v222, v223
	v_div_fmas_f32 v220, v220, v221, v222
	s_delay_alu instid0(VALU_DEP_1) | instskip(NEXT) | instid1(VALU_DEP_1)
	v_div_fixup_f32 v221, v220, v218, v219
	v_fmac_f32_e32 v218, v219, v221
	s_delay_alu instid0(VALU_DEP_1) | instskip(NEXT) | instid1(VALU_DEP_1)
	v_div_scale_f32 v219, null, v218, v218, 1.0
	v_rcp_f32_e32 v220, v219
	v_nop
	s_delay_alu instid0(TRANS32_DEP_1) | instskip(NEXT) | instid1(VALU_DEP_1)
	v_fma_f32 v222, -v219, v220, 1.0
	v_fmac_f32_e32 v220, v222, v220
	v_div_scale_f32 v222, vcc_lo, 1.0, v218, 1.0
	s_delay_alu instid0(VALU_DEP_1) | instskip(NEXT) | instid1(VALU_DEP_1)
	v_mul_f32_e32 v223, v222, v220
	v_fma_f32 v227, -v219, v223, v222
	s_delay_alu instid0(VALU_DEP_1) | instskip(NEXT) | instid1(VALU_DEP_1)
	v_fmac_f32_e32 v223, v227, v220
	v_fma_f32 v219, -v219, v223, v222
	s_delay_alu instid0(VALU_DEP_1) | instskip(NEXT) | instid1(VALU_DEP_1)
	v_div_fmas_f32 v219, v219, v220, v223
	v_div_fixup_f32 v220, v219, v218, 1.0
	s_delay_alu instid0(VALU_DEP_1)
	v_mul_f32_e64 v221, v221, -v220
.LBB73_313:
	s_or_b32 exec_lo, exec_lo, s1
	ds_store_b64 v225, v[220:221]
.LBB73_314:
	s_or_b32 exec_lo, exec_lo, s2
	s_wait_dscnt 0x0
	s_barrier_signal -1
	s_barrier_wait -1
	ds_load_b64 v[218:219], v225
	s_mov_b32 s1, exec_lo
	v_cmpx_lt_u32_e32 34, v224
	s_cbranch_execz .LBB73_316
; %bb.315:
	ds_load_2addr_b64 v[220:223], v226 offset0:35 offset1:36
	s_wait_dscnt 0x1
	v_pk_mul_f32 v[228:229], v[218:219], v[136:137] op_sel:[1,1] op_sel_hi:[0,1]
	s_delay_alu instid0(VALU_DEP_1) | instskip(SKIP_3) | instid1(VALU_DEP_3)
	v_pk_fma_f32 v[230:231], v[218:219], v[136:137], v[228:229] op_sel_hi:[1,0,1]
	v_pk_fma_f32 v[136:137], v[218:219], v[136:137], v[228:229] op_sel_hi:[1,0,1] neg_lo:[0,0,1] neg_hi:[0,0,1]
	s_wait_dscnt 0x0
	v_dual_mov_b32 v232, v223 :: v_dual_mov_b32 v233, v222
	v_pk_mul_f32 v[228:229], v[220:221], v[230:231] op_sel:[0,1]
	s_delay_alu instid0(VALU_DEP_2) | instskip(NEXT) | instid1(VALU_DEP_2)
	v_pk_mul_f32 v[232:233], v[232:233], v[230:231] op_sel:[0,1]
	v_pk_fma_f32 v[234:235], v[220:221], v[136:137], v[228:229] op_sel:[0,0,1] op_sel_hi:[1,0,0]
	v_pk_fma_f32 v[220:221], v[220:221], v[136:137], v[228:229] op_sel:[0,0,1] op_sel_hi:[1,1,0] neg_lo:[0,0,1] neg_hi:[0,0,1]
	s_delay_alu instid0(VALU_DEP_3) | instskip(SKIP_1) | instid1(VALU_DEP_4)
	v_pk_fma_f32 v[236:237], v[222:223], v[136:137], v[232:233] op_sel_hi:[1,0,1]
	v_pk_fma_f32 v[222:223], v[222:223], v[136:137], v[232:233] neg_lo:[0,0,1] neg_hi:[0,0,1]
	v_dual_mov_b32 v221, v235 :: v_dual_mov_b32 v137, v231
	s_delay_alu instid0(VALU_DEP_3) | instskip(NEXT) | instid1(VALU_DEP_2)
	v_mov_b32_e32 v223, v237
	v_pk_add_f32 v[134:135], v[134:135], v[220:221] neg_lo:[0,1] neg_hi:[0,1]
	s_delay_alu instid0(VALU_DEP_2)
	v_pk_add_f32 v[146:147], v[146:147], v[222:223] neg_lo:[0,1] neg_hi:[0,1]
.LBB73_316:
	s_or_b32 exec_lo, exec_lo, s1
	s_delay_alu instid0(SALU_CYCLE_1)
	s_mov_b32 s2, exec_lo
	s_wait_dscnt 0x0
	s_barrier_signal -1
	s_barrier_wait -1
	v_cmpx_eq_u32_e32 35, v224
	s_cbranch_execz .LBB73_323
; %bb.317:
	ds_store_b64 v225, v[134:135]
	ds_store_b64 v226, v[146:147] offset:288
	ds_load_b64 v[220:221], v225
	s_wait_dscnt 0x0
	v_cmp_neq_f32_e32 vcc_lo, 0, v220
	v_cmp_neq_f32_e64 s1, 0, v221
	s_or_b32 s1, vcc_lo, s1
	s_delay_alu instid0(SALU_CYCLE_1)
	s_and_b32 exec_lo, exec_lo, s1
	s_cbranch_execz .LBB73_323
; %bb.318:
	v_cmp_ngt_f32_e64 s1, |v220|, |v221|
                                        ; implicit-def: $vgpr222_vgpr223
	s_and_saveexec_b32 s4, s1
	s_delay_alu instid0(SALU_CYCLE_1)
	s_xor_b32 s1, exec_lo, s4
	s_cbranch_execz .LBB73_320
; %bb.319:
	v_div_scale_f32 v222, null, v221, v221, v220
	v_div_scale_f32 v228, vcc_lo, v220, v221, v220
	s_delay_alu instid0(VALU_DEP_2) | instskip(SKIP_1) | instid1(TRANS32_DEP_1)
	v_rcp_f32_e32 v223, v222
	v_nop
	v_fma_f32 v227, -v222, v223, 1.0
	s_delay_alu instid0(VALU_DEP_1) | instskip(NEXT) | instid1(VALU_DEP_1)
	v_fmac_f32_e32 v223, v227, v223
	v_mul_f32_e32 v227, v228, v223
	s_delay_alu instid0(VALU_DEP_1) | instskip(NEXT) | instid1(VALU_DEP_1)
	v_fma_f32 v229, -v222, v227, v228
	v_fmac_f32_e32 v227, v229, v223
	s_delay_alu instid0(VALU_DEP_1) | instskip(NEXT) | instid1(VALU_DEP_1)
	v_fma_f32 v222, -v222, v227, v228
	v_div_fmas_f32 v222, v222, v223, v227
	s_delay_alu instid0(VALU_DEP_1) | instskip(NEXT) | instid1(VALU_DEP_1)
	v_div_fixup_f32 v222, v222, v221, v220
	v_fmac_f32_e32 v221, v220, v222
	s_delay_alu instid0(VALU_DEP_1) | instskip(SKIP_1) | instid1(VALU_DEP_2)
	v_div_scale_f32 v220, null, v221, v221, 1.0
	v_div_scale_f32 v228, vcc_lo, 1.0, v221, 1.0
	v_rcp_f32_e32 v223, v220
	v_nop
	s_delay_alu instid0(TRANS32_DEP_1) | instskip(NEXT) | instid1(VALU_DEP_1)
	v_fma_f32 v227, -v220, v223, 1.0
	v_fmac_f32_e32 v223, v227, v223
	s_delay_alu instid0(VALU_DEP_1) | instskip(NEXT) | instid1(VALU_DEP_1)
	v_mul_f32_e32 v227, v228, v223
	v_fma_f32 v229, -v220, v227, v228
	s_delay_alu instid0(VALU_DEP_1) | instskip(NEXT) | instid1(VALU_DEP_1)
	v_fmac_f32_e32 v227, v229, v223
	v_fma_f32 v220, -v220, v227, v228
	s_delay_alu instid0(VALU_DEP_1) | instskip(NEXT) | instid1(VALU_DEP_1)
	v_div_fmas_f32 v220, v220, v223, v227
	v_div_fixup_f32 v220, v220, v221, 1.0
	s_delay_alu instid0(VALU_DEP_1)
	v_mul_f32_e32 v222, v222, v220
	v_xor_b32_e32 v223, 0x80000000, v220
                                        ; implicit-def: $vgpr220_vgpr221
.LBB73_320:
	s_and_not1_saveexec_b32 s1, s1
	s_cbranch_execz .LBB73_322
; %bb.321:
	v_div_scale_f32 v222, null, v220, v220, v221
	v_div_scale_f32 v228, vcc_lo, v221, v220, v221
	s_delay_alu instid0(VALU_DEP_2) | instskip(SKIP_1) | instid1(TRANS32_DEP_1)
	v_rcp_f32_e32 v223, v222
	v_nop
	v_fma_f32 v227, -v222, v223, 1.0
	s_delay_alu instid0(VALU_DEP_1) | instskip(NEXT) | instid1(VALU_DEP_1)
	v_fmac_f32_e32 v223, v227, v223
	v_mul_f32_e32 v227, v228, v223
	s_delay_alu instid0(VALU_DEP_1) | instskip(NEXT) | instid1(VALU_DEP_1)
	v_fma_f32 v229, -v222, v227, v228
	v_fmac_f32_e32 v227, v229, v223
	s_delay_alu instid0(VALU_DEP_1) | instskip(NEXT) | instid1(VALU_DEP_1)
	v_fma_f32 v222, -v222, v227, v228
	v_div_fmas_f32 v222, v222, v223, v227
	s_delay_alu instid0(VALU_DEP_1) | instskip(NEXT) | instid1(VALU_DEP_1)
	v_div_fixup_f32 v223, v222, v220, v221
	v_fmac_f32_e32 v220, v221, v223
	s_delay_alu instid0(VALU_DEP_1) | instskip(NEXT) | instid1(VALU_DEP_1)
	v_div_scale_f32 v221, null, v220, v220, 1.0
	v_rcp_f32_e32 v222, v221
	v_nop
	s_delay_alu instid0(TRANS32_DEP_1) | instskip(NEXT) | instid1(VALU_DEP_1)
	v_fma_f32 v227, -v221, v222, 1.0
	v_fmac_f32_e32 v222, v227, v222
	v_div_scale_f32 v227, vcc_lo, 1.0, v220, 1.0
	s_delay_alu instid0(VALU_DEP_1) | instskip(NEXT) | instid1(VALU_DEP_1)
	v_mul_f32_e32 v228, v227, v222
	v_fma_f32 v229, -v221, v228, v227
	s_delay_alu instid0(VALU_DEP_1) | instskip(NEXT) | instid1(VALU_DEP_1)
	v_fmac_f32_e32 v228, v229, v222
	v_fma_f32 v221, -v221, v228, v227
	s_delay_alu instid0(VALU_DEP_1) | instskip(NEXT) | instid1(VALU_DEP_1)
	v_div_fmas_f32 v221, v221, v222, v228
	v_div_fixup_f32 v222, v221, v220, 1.0
	s_delay_alu instid0(VALU_DEP_1)
	v_mul_f32_e64 v223, v223, -v222
.LBB73_322:
	s_or_b32 exec_lo, exec_lo, s1
	ds_store_b64 v225, v[222:223]
.LBB73_323:
	s_or_b32 exec_lo, exec_lo, s2
	s_wait_dscnt 0x0
	s_barrier_signal -1
	s_barrier_wait -1
	ds_load_b64 v[220:221], v225
	s_mov_b32 s1, exec_lo
	v_cmpx_lt_u32_e32 35, v224
	s_cbranch_execz .LBB73_325
; %bb.324:
	ds_load_b64 v[222:223], v226 offset:288
	s_wait_dscnt 0x1
	v_pk_mul_f32 v[226:227], v[220:221], v[134:135] op_sel:[1,1] op_sel_hi:[0,1]
	s_delay_alu instid0(VALU_DEP_1) | instskip(SKIP_2) | instid1(VALU_DEP_2)
	v_pk_fma_f32 v[228:229], v[220:221], v[134:135], v[226:227] op_sel_hi:[1,0,1]
	v_pk_fma_f32 v[134:135], v[220:221], v[134:135], v[226:227] op_sel_hi:[1,0,1] neg_lo:[0,0,1] neg_hi:[0,0,1]
	s_wait_dscnt 0x0
	v_pk_mul_f32 v[226:227], v[222:223], v[228:229] op_sel:[1,1] op_sel_hi:[0,1]
	s_delay_alu instid0(VALU_DEP_1) | instskip(SKIP_1) | instid1(VALU_DEP_2)
	v_pk_fma_f32 v[230:231], v[222:223], v[134:135], v[226:227] op_sel_hi:[1,0,1]
	v_pk_fma_f32 v[222:223], v[222:223], v[134:135], v[226:227] neg_lo:[0,0,1] neg_hi:[0,0,1]
	v_dual_mov_b32 v135, v229 :: v_dual_mov_b32 v223, v231
	s_delay_alu instid0(VALU_DEP_1)
	v_pk_add_f32 v[146:147], v[146:147], v[222:223] neg_lo:[0,1] neg_hi:[0,1]
.LBB73_325:
	s_or_b32 exec_lo, exec_lo, s1
	s_delay_alu instid0(SALU_CYCLE_1)
	s_mov_b32 s2, exec_lo
	s_wait_dscnt 0x0
	s_barrier_signal -1
	s_barrier_wait -1
	v_cmpx_eq_u32_e32 36, v224
	s_cbranch_execz .LBB73_332
; %bb.326:
	v_cmp_neq_f32_e32 vcc_lo, 0, v146
	v_cmp_neq_f32_e64 s1, 0, v147
	ds_store_b64 v225, v[146:147]
	s_or_b32 s1, vcc_lo, s1
	s_delay_alu instid0(SALU_CYCLE_1)
	s_and_b32 exec_lo, exec_lo, s1
	s_cbranch_execz .LBB73_332
; %bb.327:
	v_cmp_ngt_f32_e64 s1, |v146|, |v147|
                                        ; implicit-def: $vgpr222_vgpr223
	s_and_saveexec_b32 s4, s1
	s_delay_alu instid0(SALU_CYCLE_1)
	s_xor_b32 s1, exec_lo, s4
	s_cbranch_execz .LBB73_329
; %bb.328:
	v_div_scale_f32 v222, null, v147, v147, v146
	v_div_scale_f32 v227, vcc_lo, v146, v147, v146
	s_delay_alu instid0(VALU_DEP_2) | instskip(SKIP_1) | instid1(TRANS32_DEP_1)
	v_rcp_f32_e32 v223, v222
	v_nop
	v_fma_f32 v226, -v222, v223, 1.0
	s_delay_alu instid0(VALU_DEP_1) | instskip(NEXT) | instid1(VALU_DEP_1)
	v_fmac_f32_e32 v223, v226, v223
	v_mul_f32_e32 v226, v227, v223
	s_delay_alu instid0(VALU_DEP_1) | instskip(NEXT) | instid1(VALU_DEP_1)
	v_fma_f32 v228, -v222, v226, v227
	v_fmac_f32_e32 v226, v228, v223
	s_delay_alu instid0(VALU_DEP_1) | instskip(NEXT) | instid1(VALU_DEP_1)
	v_fma_f32 v222, -v222, v226, v227
	v_div_fmas_f32 v222, v222, v223, v226
	s_delay_alu instid0(VALU_DEP_1) | instskip(NEXT) | instid1(VALU_DEP_1)
	v_div_fixup_f32 v222, v222, v147, v146
	v_fma_f32 v223, v146, v222, v147
	s_delay_alu instid0(VALU_DEP_1) | instskip(SKIP_1) | instid1(VALU_DEP_2)
	v_div_scale_f32 v226, null, v223, v223, 1.0
	v_div_scale_f32 v229, vcc_lo, 1.0, v223, 1.0
	v_rcp_f32_e32 v227, v226
	v_nop
	s_delay_alu instid0(TRANS32_DEP_1) | instskip(NEXT) | instid1(VALU_DEP_1)
	v_fma_f32 v228, -v226, v227, 1.0
	v_fmac_f32_e32 v227, v228, v227
	s_delay_alu instid0(VALU_DEP_1) | instskip(NEXT) | instid1(VALU_DEP_1)
	v_mul_f32_e32 v228, v229, v227
	v_fma_f32 v230, -v226, v228, v229
	s_delay_alu instid0(VALU_DEP_1) | instskip(NEXT) | instid1(VALU_DEP_1)
	v_fmac_f32_e32 v228, v230, v227
	v_fma_f32 v226, -v226, v228, v229
	s_delay_alu instid0(VALU_DEP_1) | instskip(NEXT) | instid1(VALU_DEP_1)
	v_div_fmas_f32 v226, v226, v227, v228
	v_div_fixup_f32 v223, v226, v223, 1.0
	s_delay_alu instid0(VALU_DEP_1)
	v_mul_f32_e32 v222, v222, v223
	v_xor_b32_e32 v223, 0x80000000, v223
.LBB73_329:
	s_and_not1_saveexec_b32 s1, s1
	s_cbranch_execz .LBB73_331
; %bb.330:
	v_div_scale_f32 v222, null, v146, v146, v147
	v_div_scale_f32 v227, vcc_lo, v147, v146, v147
	s_delay_alu instid0(VALU_DEP_2) | instskip(SKIP_1) | instid1(TRANS32_DEP_1)
	v_rcp_f32_e32 v223, v222
	v_nop
	v_fma_f32 v226, -v222, v223, 1.0
	s_delay_alu instid0(VALU_DEP_1) | instskip(NEXT) | instid1(VALU_DEP_1)
	v_fmac_f32_e32 v223, v226, v223
	v_mul_f32_e32 v226, v227, v223
	s_delay_alu instid0(VALU_DEP_1) | instskip(NEXT) | instid1(VALU_DEP_1)
	v_fma_f32 v228, -v222, v226, v227
	v_fmac_f32_e32 v226, v228, v223
	s_delay_alu instid0(VALU_DEP_1) | instskip(NEXT) | instid1(VALU_DEP_1)
	v_fma_f32 v222, -v222, v226, v227
	v_div_fmas_f32 v222, v222, v223, v226
	s_delay_alu instid0(VALU_DEP_1) | instskip(NEXT) | instid1(VALU_DEP_1)
	v_div_fixup_f32 v223, v222, v146, v147
	v_fma_f32 v222, v147, v223, v146
	s_delay_alu instid0(VALU_DEP_1) | instskip(NEXT) | instid1(VALU_DEP_1)
	v_div_scale_f32 v226, null, v222, v222, 1.0
	v_rcp_f32_e32 v227, v226
	v_nop
	s_delay_alu instid0(TRANS32_DEP_1) | instskip(NEXT) | instid1(VALU_DEP_1)
	v_fma_f32 v228, -v226, v227, 1.0
	v_fmac_f32_e32 v227, v228, v227
	v_div_scale_f32 v228, vcc_lo, 1.0, v222, 1.0
	s_delay_alu instid0(VALU_DEP_1) | instskip(NEXT) | instid1(VALU_DEP_1)
	v_mul_f32_e32 v229, v228, v227
	v_fma_f32 v230, -v226, v229, v228
	s_delay_alu instid0(VALU_DEP_1) | instskip(NEXT) | instid1(VALU_DEP_1)
	v_fmac_f32_e32 v229, v230, v227
	v_fma_f32 v226, -v226, v229, v228
	s_delay_alu instid0(VALU_DEP_1) | instskip(NEXT) | instid1(VALU_DEP_1)
	v_div_fmas_f32 v226, v226, v227, v229
	v_div_fixup_f32 v222, v226, v222, 1.0
	s_delay_alu instid0(VALU_DEP_1)
	v_mul_f32_e64 v223, v223, -v222
.LBB73_331:
	s_or_b32 exec_lo, exec_lo, s1
	ds_store_b64 v225, v[222:223]
.LBB73_332:
	s_or_b32 exec_lo, exec_lo, s2
	s_wait_dscnt 0x0
	s_barrier_signal -1
	s_barrier_wait -1
	ds_load_b64 v[222:223], v225
	s_wait_dscnt 0x0
	s_barrier_signal -1
	s_barrier_wait -1
	s_and_saveexec_b32 s4, s0
	s_cbranch_execz .LBB73_335
; %bb.333:
	v_cmp_eq_f32_e32 vcc_lo, 0, v150
	v_cmp_eq_f32_e64 s0, 0, v151
	v_cmp_neq_f32_e64 s1, 0, v152
	v_cmp_neq_f32_e64 s2, 0, v153
	v_lshl_add_u64 v[2:3], v[2:3], 2, s[6:7]
	s_and_b32 s0, vcc_lo, s0
	s_delay_alu instid0(SALU_CYCLE_1)
	v_cndmask_b32_e64 v150, 0, 1, s0
	s_or_b32 s1, s1, s2
	global_load_b32 v151, v[2:3], off
	s_or_b32 vcc_lo, s1, s0
	v_cmp_eq_f32_e64 s0, 0, v155
	v_cndmask_b32_e32 v150, 2, v150, vcc_lo
	v_cmp_eq_f32_e32 vcc_lo, 0, v154
	s_delay_alu instid0(VALU_DEP_2) | instskip(SKIP_3) | instid1(SALU_CYCLE_1)
	v_cmp_eq_u32_e64 s1, 0, v150
	s_and_b32 s0, vcc_lo, s0
	v_cmp_eq_f32_e32 vcc_lo, 0, v156
	s_and_b32 s0, s0, s1
	v_cndmask_b32_e64 v150, v150, 3, s0
	v_cmp_eq_f32_e64 s0, 0, v157
	s_delay_alu instid0(VALU_DEP_2) | instskip(SKIP_3) | instid1(SALU_CYCLE_1)
	v_cmp_eq_u32_e64 s1, 0, v150
	s_and_b32 s0, vcc_lo, s0
	v_cmp_eq_f32_e32 vcc_lo, 0, v158
	s_and_b32 s0, s0, s1
	v_cndmask_b32_e64 v150, v150, 4, s0
	v_cmp_eq_f32_e64 s0, 0, v159
	;; [unrolled: 7-line block ×34, first 2 shown]
	s_delay_alu instid0(VALU_DEP_2) | instskip(SKIP_4) | instid1(SALU_CYCLE_1)
	v_cmp_eq_u32_e64 s1, 0, v150
	s_and_b32 s0, vcc_lo, s0
	s_wait_loadcnt 0x0
	v_cmp_eq_u32_e32 vcc_lo, 0, v151
	s_and_b32 s0, s0, s1
	v_cndmask_b32_e64 v150, v150, 37, s0
	s_delay_alu instid0(VALU_DEP_1) | instskip(SKIP_1) | instid1(SALU_CYCLE_1)
	v_cmp_ne_u32_e64 s0, 0, v150
	s_and_b32 s0, vcc_lo, s0
	s_and_b32 exec_lo, exec_lo, s0
	s_cbranch_execz .LBB73_335
; %bb.334:
	v_add_nc_u32_e32 v150, s3, v150
	global_store_b32 v[2:3], v150, off
.LBB73_335:
	s_wait_xcnt 0x0
	s_or_b32 exec_lo, exec_lo, s4
	v_pk_mul_f32 v[2:3], v[222:223], v[146:147] op_sel:[1,1] op_sel_hi:[0,1]
	s_clause 0x1
	global_store_b64 v[18:19], v[56:57], off
	global_store_b64 v[34:35], v[58:59], off
	v_cmp_lt_u32_e32 vcc_lo, 36, v224
	s_clause 0x2
	global_store_b64 v[6:7], v[48:49], off
	global_store_b64 v[12:13], v[46:47], off
	;; [unrolled: 1-line block ×3, first 2 shown]
	s_wait_xcnt 0x4
	v_pk_fma_f32 v[18:19], v[222:223], v[146:147], v[2:3] op_sel_hi:[1,0,1]
	v_pk_fma_f32 v[2:3], v[222:223], v[146:147], v[2:3] neg_lo:[0,0,1] neg_hi:[0,0,1]
	s_delay_alu instid0(VALU_DEP_1)
	v_dual_cndmask_b32 v3, v147, v19 :: v_dual_cndmask_b32 v2, v146, v2
	s_clause 0x1f
	global_store_b64 v[0:1], v[24:25], off
	global_store_b64 v[4:5], v[26:27], off
	;; [unrolled: 1-line block ×32, first 2 shown]
.LBB73_336:
	s_sendmsg sendmsg(MSG_DEALLOC_VGPRS)
	s_endpgm
	.section	.rodata,"a",@progbits
	.p2align	6, 0x0
	.amdhsa_kernel _ZN9rocsolver6v33100L23getf2_npvt_small_kernelILi37E19rocblas_complex_numIfEiiPS3_EEvT1_T3_lS5_lPT2_S5_S5_
		.amdhsa_group_segment_fixed_size 0
		.amdhsa_private_segment_fixed_size 0
		.amdhsa_kernarg_size 312
		.amdhsa_user_sgpr_count 2
		.amdhsa_user_sgpr_dispatch_ptr 0
		.amdhsa_user_sgpr_queue_ptr 0
		.amdhsa_user_sgpr_kernarg_segment_ptr 1
		.amdhsa_user_sgpr_dispatch_id 0
		.amdhsa_user_sgpr_kernarg_preload_length 0
		.amdhsa_user_sgpr_kernarg_preload_offset 0
		.amdhsa_user_sgpr_private_segment_size 0
		.amdhsa_wavefront_size32 1
		.amdhsa_uses_dynamic_stack 0
		.amdhsa_enable_private_segment 0
		.amdhsa_system_sgpr_workgroup_id_x 1
		.amdhsa_system_sgpr_workgroup_id_y 1
		.amdhsa_system_sgpr_workgroup_id_z 0
		.amdhsa_system_sgpr_workgroup_info 0
		.amdhsa_system_vgpr_workitem_id 1
		.amdhsa_next_free_vgpr 252
		.amdhsa_next_free_sgpr 15
		.amdhsa_named_barrier_count 0
		.amdhsa_reserve_vcc 1
		.amdhsa_float_round_mode_32 0
		.amdhsa_float_round_mode_16_64 0
		.amdhsa_float_denorm_mode_32 3
		.amdhsa_float_denorm_mode_16_64 3
		.amdhsa_fp16_overflow 0
		.amdhsa_memory_ordered 1
		.amdhsa_forward_progress 1
		.amdhsa_inst_pref_size 255
		.amdhsa_round_robin_scheduling 0
		.amdhsa_exception_fp_ieee_invalid_op 0
		.amdhsa_exception_fp_denorm_src 0
		.amdhsa_exception_fp_ieee_div_zero 0
		.amdhsa_exception_fp_ieee_overflow 0
		.amdhsa_exception_fp_ieee_underflow 0
		.amdhsa_exception_fp_ieee_inexact 0
		.amdhsa_exception_int_div_zero 0
	.end_amdhsa_kernel
	.section	.text._ZN9rocsolver6v33100L23getf2_npvt_small_kernelILi37E19rocblas_complex_numIfEiiPS3_EEvT1_T3_lS5_lPT2_S5_S5_,"axG",@progbits,_ZN9rocsolver6v33100L23getf2_npvt_small_kernelILi37E19rocblas_complex_numIfEiiPS3_EEvT1_T3_lS5_lPT2_S5_S5_,comdat
.Lfunc_end73:
	.size	_ZN9rocsolver6v33100L23getf2_npvt_small_kernelILi37E19rocblas_complex_numIfEiiPS3_EEvT1_T3_lS5_lPT2_S5_S5_, .Lfunc_end73-_ZN9rocsolver6v33100L23getf2_npvt_small_kernelILi37E19rocblas_complex_numIfEiiPS3_EEvT1_T3_lS5_lPT2_S5_S5_
                                        ; -- End function
	.set _ZN9rocsolver6v33100L23getf2_npvt_small_kernelILi37E19rocblas_complex_numIfEiiPS3_EEvT1_T3_lS5_lPT2_S5_S5_.num_vgpr, 252
	.set _ZN9rocsolver6v33100L23getf2_npvt_small_kernelILi37E19rocblas_complex_numIfEiiPS3_EEvT1_T3_lS5_lPT2_S5_S5_.num_agpr, 0
	.set _ZN9rocsolver6v33100L23getf2_npvt_small_kernelILi37E19rocblas_complex_numIfEiiPS3_EEvT1_T3_lS5_lPT2_S5_S5_.numbered_sgpr, 15
	.set _ZN9rocsolver6v33100L23getf2_npvt_small_kernelILi37E19rocblas_complex_numIfEiiPS3_EEvT1_T3_lS5_lPT2_S5_S5_.num_named_barrier, 0
	.set _ZN9rocsolver6v33100L23getf2_npvt_small_kernelILi37E19rocblas_complex_numIfEiiPS3_EEvT1_T3_lS5_lPT2_S5_S5_.private_seg_size, 0
	.set _ZN9rocsolver6v33100L23getf2_npvt_small_kernelILi37E19rocblas_complex_numIfEiiPS3_EEvT1_T3_lS5_lPT2_S5_S5_.uses_vcc, 1
	.set _ZN9rocsolver6v33100L23getf2_npvt_small_kernelILi37E19rocblas_complex_numIfEiiPS3_EEvT1_T3_lS5_lPT2_S5_S5_.uses_flat_scratch, 0
	.set _ZN9rocsolver6v33100L23getf2_npvt_small_kernelILi37E19rocblas_complex_numIfEiiPS3_EEvT1_T3_lS5_lPT2_S5_S5_.has_dyn_sized_stack, 0
	.set _ZN9rocsolver6v33100L23getf2_npvt_small_kernelILi37E19rocblas_complex_numIfEiiPS3_EEvT1_T3_lS5_lPT2_S5_S5_.has_recursion, 0
	.set _ZN9rocsolver6v33100L23getf2_npvt_small_kernelILi37E19rocblas_complex_numIfEiiPS3_EEvT1_T3_lS5_lPT2_S5_S5_.has_indirect_call, 0
	.section	.AMDGPU.csdata,"",@progbits
; Kernel info:
; codeLenInByte = 63404
; TotalNumSgprs: 17
; NumVgprs: 252
; ScratchSize: 0
; MemoryBound: 0
; FloatMode: 240
; IeeeMode: 1
; LDSByteSize: 0 bytes/workgroup (compile time only)
; SGPRBlocks: 0
; VGPRBlocks: 15
; NumSGPRsForWavesPerEU: 17
; NumVGPRsForWavesPerEU: 252
; NamedBarCnt: 0
; Occupancy: 4
; WaveLimiterHint : 0
; COMPUTE_PGM_RSRC2:SCRATCH_EN: 0
; COMPUTE_PGM_RSRC2:USER_SGPR: 2
; COMPUTE_PGM_RSRC2:TRAP_HANDLER: 0
; COMPUTE_PGM_RSRC2:TGID_X_EN: 1
; COMPUTE_PGM_RSRC2:TGID_Y_EN: 1
; COMPUTE_PGM_RSRC2:TGID_Z_EN: 0
; COMPUTE_PGM_RSRC2:TIDIG_COMP_CNT: 1
	.section	.text._ZN9rocsolver6v33100L18getf2_small_kernelILi38E19rocblas_complex_numIfEiiPS3_EEvT1_T3_lS5_lPS5_llPT2_S5_S5_S7_l,"axG",@progbits,_ZN9rocsolver6v33100L18getf2_small_kernelILi38E19rocblas_complex_numIfEiiPS3_EEvT1_T3_lS5_lPS5_llPT2_S5_S5_S7_l,comdat
	.globl	_ZN9rocsolver6v33100L18getf2_small_kernelILi38E19rocblas_complex_numIfEiiPS3_EEvT1_T3_lS5_lPS5_llPT2_S5_S5_S7_l ; -- Begin function _ZN9rocsolver6v33100L18getf2_small_kernelILi38E19rocblas_complex_numIfEiiPS3_EEvT1_T3_lS5_lPS5_llPT2_S5_S5_S7_l
	.p2align	8
	.type	_ZN9rocsolver6v33100L18getf2_small_kernelILi38E19rocblas_complex_numIfEiiPS3_EEvT1_T3_lS5_lPS5_llPT2_S5_S5_S7_l,@function
_ZN9rocsolver6v33100L18getf2_small_kernelILi38E19rocblas_complex_numIfEiiPS3_EEvT1_T3_lS5_lPS5_llPT2_S5_S5_S7_l: ; @_ZN9rocsolver6v33100L18getf2_small_kernelILi38E19rocblas_complex_numIfEiiPS3_EEvT1_T3_lS5_lPS5_llPT2_S5_S5_S7_l
; %bb.0:
	s_clause 0x1
	s_load_u16 s2, s[0:1], 0x6e
	s_load_b64 s[16:17], s[0:1], 0x48
	s_bfe_u32 s3, ttmp6, 0x40010
	s_bfe_u32 s4, ttmp6, 0x40004
	s_add_co_i32 s3, s3, 1
	s_getreg_b32 s5, hwreg(HW_REG_IB_STS2, 6, 4)
	s_mul_i32 s3, ttmp7, s3
	v_bfe_u32 v84, v0, 10, 10
	s_add_co_i32 s4, s4, s3
	s_cmp_eq_u32 s5, 0
	s_cselect_b32 s3, ttmp7, s4
	s_wait_kmcnt 0x0
	v_mad_u32 v2, s3, s2, v84
	s_mov_b32 s2, exec_lo
	s_delay_alu instid0(VALU_DEP_1)
	v_cmpx_gt_i32_e64 s16, v2
	s_cbranch_execz .LBB74_799
; %bb.1:
	s_load_b128 s[4:7], s[0:1], 0x50
	v_mov_b64_e32 v[4:5], 0
	v_ashrrev_i32_e32 v3, 31, v2
	s_wait_kmcnt 0x0
	s_cmp_eq_u64 s[4:5], 0
	s_cselect_b32 s16, -1, 0
	s_delay_alu instid0(SALU_CYCLE_1)
	s_and_b32 vcc_lo, exec_lo, s16
	s_cbranch_vccnz .LBB74_3
; %bb.2:
	v_mul_u64_e32 v[4:5], s[6:7], v[2:3]
	s_delay_alu instid0(VALU_DEP_1)
	v_lshl_add_u64 v[4:5], v[4:5], 2, s[4:5]
.LBB74_3:
	s_clause 0x2
	s_load_b32 s2, s[0:1], 0x18
	s_load_b128 s[12:15], s[0:1], 0x8
	s_load_b32 s18, s[0:1], 0x0
	v_and_b32_e32 v89, 0x3ff, v0
	s_load_b256 s[4:11], s[0:1], 0x20
	v_mov_b32_e32 v83, 0
	s_wait_kmcnt 0x0
	s_delay_alu instid0(VALU_DEP_2) | instskip(SKIP_2) | instid1(VALU_DEP_2)
	v_add3_u32 v8, s2, s2, v89
	s_ashr_i32 s3, s2, 31
	v_mul_u64_e32 v[0:1], s[4:5], v[2:3]
	v_add_nc_u32_e32 v6, s2, v8
	s_max_i32 s4, s18, 38
	s_cmp_lt_i32 s18, 2
	s_delay_alu instid0(VALU_DEP_1) | instskip(NEXT) | instid1(VALU_DEP_1)
	v_add_nc_u32_e32 v10, s2, v6
	v_dual_add_nc_u32 v12, s2, v10 :: v_dual_ashrrev_i32 v9, 31, v8
	s_delay_alu instid0(VALU_DEP_1) | instskip(SKIP_1) | instid1(VALU_DEP_2)
	v_dual_ashrrev_i32 v7, 31, v6 :: v_dual_add_nc_u32 v14, s2, v12
	v_dual_ashrrev_i32 v11, 31, v10 :: v_dual_ashrrev_i32 v13, 31, v12
	v_add_nc_u32_e32 v16, s2, v14
	s_delay_alu instid0(VALU_DEP_1) | instskip(NEXT) | instid1(VALU_DEP_1)
	v_add_nc_u32_e32 v18, s2, v16
	v_add_nc_u32_e32 v20, s2, v18
	v_lshl_add_u64 v[0:1], v[0:1], 3, s[12:13]
	s_delay_alu instid0(VALU_DEP_2) | instskip(NEXT) | instid1(VALU_DEP_2)
	v_add_nc_u32_e32 v22, s2, v20
	v_lshl_add_u64 v[0:1], s[14:15], 3, v[0:1]
	s_delay_alu instid0(VALU_DEP_2) | instskip(NEXT) | instid1(VALU_DEP_2)
	v_dual_ashrrev_i32 v17, 31, v16 :: v_dual_add_nc_u32 v24, s2, v22
	v_lshl_add_u64 v[10:11], v[10:11], 3, v[0:1]
	v_lshl_add_u64 v[12:13], v[12:13], 3, v[0:1]
	;; [unrolled: 1-line block ×4, first 2 shown]
	v_dual_add_nc_u32 v26, s2, v24 :: v_dual_ashrrev_i32 v19, 31, v18
	v_ashrrev_i32_e32 v21, 31, v20
	v_lshl_add_u64 v[44:45], v[16:17], 3, v[0:1]
	s_delay_alu instid0(VALU_DEP_3) | instskip(SKIP_3) | instid1(VALU_DEP_4)
	v_dual_ashrrev_i32 v25, 31, v24 :: v_dual_add_nc_u32 v28, s2, v26
	v_lshlrev_b32_e32 v82, 3, v89
	v_lshl_add_u64 v[46:47], v[18:19], 3, v[0:1]
	v_lshl_add_u64 v[48:49], v[20:21], 3, v[0:1]
	v_add_nc_u32_e32 v30, s2, v28
	s_delay_alu instid0(VALU_DEP_4) | instskip(NEXT) | instid1(VALU_DEP_2)
	v_add_nc_u64_e32 v[36:37], v[0:1], v[82:83]
	v_dual_ashrrev_i32 v29, 31, v28 :: v_dual_add_nc_u32 v32, s2, v30
	s_delay_alu instid0(VALU_DEP_1) | instskip(NEXT) | instid1(VALU_DEP_1)
	v_dual_ashrrev_i32 v15, 31, v14 :: v_dual_add_nc_u32 v34, s2, v32
	v_lshl_add_u64 v[40:41], v[14:15], 3, v[0:1]
	s_clause 0x3
	global_load_b64 v[60:61], v[10:11], off
	global_load_b64 v[16:17], v[12:13], off
	;; [unrolled: 1-line block ×4, first 2 shown]
	v_add_nc_u32_e32 v38, s2, v34
	s_wait_xcnt 0x3
	v_lshl_add_u64 v[10:11], s[2:3], 3, v[36:37]
	s_clause 0x3
	global_load_b64 v[74:75], v[8:9], off
	global_load_b64 v[72:73], v[6:7], off
	;; [unrolled: 1-line block ×4, first 2 shown]
	s_wait_xcnt 0x2
	v_lshl_add_u64 v[6:7], v[24:25], 3, v[0:1]
	v_add_nc_u32_e32 v42, s2, v38
	v_ashrrev_i32_e32 v35, 31, v34
	v_dual_ashrrev_i32 v39, 31, v38 :: v_dual_ashrrev_i32 v33, 31, v32
	s_delay_alu instid0(VALU_DEP_3) | instskip(NEXT) | instid1(VALU_DEP_2)
	v_add_nc_u32_e32 v50, s2, v42
	v_lshl_add_u64 v[44:45], v[32:33], 3, v[0:1]
	s_delay_alu instid0(VALU_DEP_2) | instskip(SKIP_1) | instid1(VALU_DEP_2)
	v_add_nc_u32_e32 v40, s2, v50
	v_ashrrev_i32_e32 v31, 31, v30
	v_dual_ashrrev_i32 v51, 31, v50 :: v_dual_add_nc_u32 v8, s2, v40
	v_dual_ashrrev_i32 v23, 31, v22 :: v_dual_ashrrev_i32 v41, 31, v40
	s_wait_xcnt 0x1
	s_delay_alu instid0(VALU_DEP_3) | instskip(NEXT) | instid1(VALU_DEP_3)
	v_lshl_add_u64 v[36:37], v[30:31], 3, v[0:1]
	v_dual_ashrrev_i32 v43, 31, v42 :: v_dual_ashrrev_i32 v9, 31, v8
	s_delay_alu instid0(VALU_DEP_3)
	v_lshl_add_u64 v[12:13], v[22:23], 3, v[0:1]
	s_clause 0x3
	global_load_b64 v[62:63], v[46:47], off
	global_load_b64 v[22:23], v[48:49], off
	;; [unrolled: 1-line block ×4, first 2 shown]
	s_wait_xcnt 0x0
	v_add_nc_u32_e32 v6, s2, v8
	v_lshl_add_u64 v[8:9], v[8:9], 3, v[0:1]
	s_delay_alu instid0(VALU_DEP_2) | instskip(SKIP_1) | instid1(VALU_DEP_2)
	v_add_nc_u32_e32 v12, s2, v6
	v_ashrrev_i32_e32 v27, 31, v26
	v_dual_ashrrev_i32 v7, 31, v6 :: v_dual_add_nc_u32 v46, s2, v12
	s_delay_alu instid0(VALU_DEP_2)
	v_lshl_add_u64 v[10:11], v[26:27], 3, v[0:1]
	v_lshl_add_u64 v[26:27], v[28:29], 3, v[0:1]
	s_clause 0x3
	global_load_b64 v[64:65], v[10:11], off
	global_load_b64 v[30:31], v[26:27], off
	;; [unrolled: 1-line block ×4, first 2 shown]
	s_wait_xcnt 0x3
	v_dual_add_nc_u32 v10, s2, v46 :: v_dual_ashrrev_i32 v13, 31, v12
	s_wait_xcnt 0x2
	v_lshl_add_u64 v[26:27], v[34:35], 3, v[0:1]
	s_wait_xcnt 0x1
	v_lshl_add_u64 v[36:37], v[38:39], 3, v[0:1]
	v_lshl_add_u64 v[38:39], v[42:43], 3, v[0:1]
	v_dual_add_nc_u32 v34, s2, v10 :: v_dual_ashrrev_i32 v11, 31, v10
	v_lshl_add_u64 v[42:43], v[50:51], 3, v[0:1]
	s_clause 0x3
	global_load_b64 v[70:71], v[26:27], off
	global_load_b64 v[50:51], v[36:37], off
	;; [unrolled: 1-line block ×4, first 2 shown]
	v_add_nc_u32_e32 v54, s2, v34
	s_wait_xcnt 0x2
	v_lshl_add_u64 v[36:37], v[40:41], 3, v[0:1]
	v_lshl_add_u64 v[6:7], v[6:7], 3, v[0:1]
	;; [unrolled: 1-line block ×3, first 2 shown]
	v_ashrrev_i32_e32 v47, 31, v46
	v_dual_add_nc_u32 v26, s2, v54 :: v_dual_ashrrev_i32 v55, 31, v54
	s_clause 0x3
	global_load_b64 v[68:69], v[36:37], off
	global_load_b64 v[42:43], v[8:9], off
	;; [unrolled: 1-line block ×4, first 2 shown]
	v_ashrrev_i32_e32 v35, 31, v34
	s_wait_xcnt 0x2
	v_lshl_add_u64 v[8:9], v[46:47], 3, v[0:1]
	v_dual_add_nc_u32 v56, s2, v26 :: v_dual_ashrrev_i32 v27, 31, v26
	v_lshl_add_u64 v[10:11], v[10:11], 3, v[0:1]
	s_wait_xcnt 0x0
	v_lshl_add_u64 v[12:13], v[34:35], 3, v[0:1]
	v_lshl_add_u64 v[54:55], v[54:55], 3, v[0:1]
	v_add_nc_u32_e32 v58, s2, v56
	s_clause 0x3
	global_load_b64 v[66:67], v[8:9], off
	global_load_b64 v[36:37], v[10:11], off
	;; [unrolled: 1-line block ×4, first 2 shown]
	v_ashrrev_i32_e32 v57, 31, v56
	v_lshl_add_u64 v[26:27], v[26:27], 3, v[0:1]
	v_dual_add_nc_u32 v6, s2, v58 :: v_dual_ashrrev_i32 v59, 31, v58
	s_delay_alu instid0(VALU_DEP_3) | instskip(NEXT) | instid1(VALU_DEP_2)
	v_lshl_add_u64 v[56:57], v[56:57], 3, v[0:1]
	v_add_nc_u32_e32 v46, s2, v6
	s_delay_alu instid0(VALU_DEP_3) | instskip(NEXT) | instid1(VALU_DEP_2)
	v_lshl_add_u64 v[90:91], v[58:59], 3, v[0:1]
	v_add_nc_u32_e32 v80, s2, v46
	s_delay_alu instid0(VALU_DEP_1) | instskip(SKIP_2) | instid1(VALU_DEP_2)
	v_dual_ashrrev_i32 v7, 31, v6 :: v_dual_ashrrev_i32 v81, 31, v80
	s_wait_xcnt 0x0
	v_add_nc_u32_e32 v54, s2, v80
	v_lshl_add_u64 v[6:7], v[6:7], 3, v[0:1]
	s_clause 0x3
	global_load_b64 v[58:59], v[26:27], off
	global_load_b64 v[10:11], v[56:57], off
	global_load_b64 v[12:13], v[90:91], off
	global_load_b64 v[8:9], v[6:7], off
	v_lshl_add_u64 v[94:95], v[80:81], 3, v[0:1]
	v_dual_add_nc_u32 v86, s2, v54 :: v_dual_ashrrev_i32 v55, 31, v54
	s_delay_alu instid0(VALU_DEP_1) | instskip(SKIP_1) | instid1(VALU_DEP_3)
	v_dual_add_nc_u32 v92, s2, v86 :: v_dual_ashrrev_i32 v87, 31, v86
	v_ashrrev_i32_e32 v47, 31, v46
	v_lshl_add_u64 v[96:97], v[54:55], 3, v[0:1]
	s_wait_xcnt 0x0
	s_delay_alu instid0(VALU_DEP_3) | instskip(NEXT) | instid1(VALU_DEP_3)
	v_dual_add_nc_u32 v6, s2, v92 :: v_dual_ashrrev_i32 v93, 31, v92
	v_lshl_add_u64 v[90:91], v[46:47], 3, v[0:1]
	v_lshl_add_u64 v[86:87], v[86:87], 3, v[0:1]
	s_delay_alu instid0(VALU_DEP_3) | instskip(NEXT) | instid1(VALU_DEP_4)
	v_ashrrev_i32_e32 v7, 31, v6
	v_lshl_add_u64 v[92:93], v[92:93], 3, v[0:1]
	s_delay_alu instid0(VALU_DEP_2)
	v_lshl_add_u64 v[98:99], v[6:7], 3, v[0:1]
	s_clause 0x5
	global_load_b64 v[56:57], v[90:91], off
	global_load_b64 v[6:7], v[94:95], off
	;; [unrolled: 1-line block ×6, first 2 shown]
	s_wait_xcnt 0x2
	v_mul_lo_u32 v87, s4, v84
	s_load_b64 s[4:5], s[0:1], 0x40
	s_delay_alu instid0(VALU_DEP_1) | instskip(NEXT) | instid1(VALU_DEP_1)
	v_lshl_add_u32 v86, v87, 3, 0
	v_dual_lshlrev_b32 v87, 3, v87 :: v_dual_add_nc_u32 v82, v86, v82
	s_wait_loadcnt 0x1f
	ds_store_b64 v82, v[78:79]
	s_wait_loadcnt_dscnt 0x0
	s_barrier_signal -1
	s_barrier_wait -1
	ds_load_b64 v[84:85], v86
	s_cbranch_scc1 .LBB74_6
; %bb.4:
	v_add3_u32 v82, v87, 0, 8
	v_mov_b32_e32 v83, 0
	s_wait_xcnt 0x0
	s_mov_b32 s1, 1
.LBB74_5:                               ; =>This Inner Loop Header: Depth=1
	ds_load_b64 v[90:91], v82
	s_wait_dscnt 0x1
	v_cmp_gt_f32_e32 vcc_lo, 0, v84
	v_cmp_gt_f32_e64 s0, 0, v85
	s_delay_alu instid0(VALU_DEP_1) | instskip(SKIP_3) | instid1(VALU_DEP_1)
	v_dual_cndmask_b32 v92, v84, -v84, vcc_lo :: v_dual_cndmask_b32 v94, v85, -v85, s0
	s_wait_dscnt 0x0
	v_cmp_gt_f32_e32 vcc_lo, 0, v90
	v_cmp_gt_f32_e64 s0, 0, v91
	v_dual_cndmask_b32 v93, v90, -v90, vcc_lo :: v_dual_cndmask_b32 v95, v91, -v91, s0
	s_delay_alu instid0(VALU_DEP_1) | instskip(NEXT) | instid1(VALU_DEP_1)
	v_pk_add_f32 v[92:93], v[92:93], v[94:95]
	v_cmp_lt_f32_e32 vcc_lo, v92, v93
	v_dual_cndmask_b32 v85, v85, v91 :: v_dual_add_nc_u32 v82, 8, v82
	v_cndmask_b32_e32 v84, v84, v90, vcc_lo
	v_cndmask_b32_e64 v83, v83, s1, vcc_lo
	s_add_co_i32 s1, s1, 1
	s_delay_alu instid0(SALU_CYCLE_1)
	s_cmp_eq_u32 s18, s1
	s_cbranch_scc0 .LBB74_5
.LBB74_6:
	s_wait_dscnt 0x0
	v_cmp_neq_f32_e32 vcc_lo, 0, v84
	s_wait_xcnt 0x0
	v_cmp_neq_f32_e64 s0, 0, v85
	v_dual_mov_b32 v88, 1 :: v_dual_mov_b32 v91, 1
	s_or_b32 s1, vcc_lo, s0
	s_delay_alu instid0(SALU_CYCLE_1)
	s_and_saveexec_b32 s0, s1
	s_cbranch_execz .LBB74_12
; %bb.7:
	v_cmp_ngt_f32_e64 s1, |v84|, |v85|
	s_and_saveexec_b32 s12, s1
	s_delay_alu instid0(SALU_CYCLE_1)
	s_xor_b32 s1, exec_lo, s12
	s_cbranch_execz .LBB74_9
; %bb.8:
	v_div_scale_f32 v82, null, v85, v85, v84
	v_div_scale_f32 v91, vcc_lo, v84, v85, v84
	s_delay_alu instid0(VALU_DEP_2) | instskip(SKIP_1) | instid1(TRANS32_DEP_1)
	v_rcp_f32_e32 v88, v82
	v_nop
	v_fma_f32 v90, -v82, v88, 1.0
	s_delay_alu instid0(VALU_DEP_1) | instskip(NEXT) | instid1(VALU_DEP_1)
	v_fmac_f32_e32 v88, v90, v88
	v_mul_f32_e32 v90, v91, v88
	s_delay_alu instid0(VALU_DEP_1) | instskip(NEXT) | instid1(VALU_DEP_1)
	v_fma_f32 v92, -v82, v90, v91
	v_fmac_f32_e32 v90, v92, v88
	s_delay_alu instid0(VALU_DEP_1) | instskip(NEXT) | instid1(VALU_DEP_1)
	v_fma_f32 v82, -v82, v90, v91
	v_div_fmas_f32 v82, v82, v88, v90
	s_delay_alu instid0(VALU_DEP_1) | instskip(NEXT) | instid1(VALU_DEP_1)
	v_div_fixup_f32 v82, v82, v85, v84
	v_fmac_f32_e32 v85, v84, v82
	s_delay_alu instid0(VALU_DEP_1) | instskip(SKIP_1) | instid1(VALU_DEP_2)
	v_div_scale_f32 v84, null, v85, v85, 1.0
	v_div_scale_f32 v91, vcc_lo, 1.0, v85, 1.0
	v_rcp_f32_e32 v88, v84
	v_nop
	s_delay_alu instid0(TRANS32_DEP_1) | instskip(NEXT) | instid1(VALU_DEP_1)
	v_fma_f32 v90, -v84, v88, 1.0
	v_fmac_f32_e32 v88, v90, v88
	s_delay_alu instid0(VALU_DEP_1) | instskip(NEXT) | instid1(VALU_DEP_1)
	v_mul_f32_e32 v90, v91, v88
	v_fma_f32 v92, -v84, v90, v91
	s_delay_alu instid0(VALU_DEP_1) | instskip(NEXT) | instid1(VALU_DEP_1)
	v_fmac_f32_e32 v90, v92, v88
	v_fma_f32 v84, -v84, v90, v91
	s_delay_alu instid0(VALU_DEP_1) | instskip(NEXT) | instid1(VALU_DEP_1)
	v_div_fmas_f32 v84, v84, v88, v90
	v_div_fixup_f32 v85, v84, v85, 1.0
	s_delay_alu instid0(VALU_DEP_1)
	v_mul_f32_e32 v84, v82, v85
	v_xor_b32_e32 v85, 0x80000000, v85
.LBB74_9:
	s_and_not1_saveexec_b32 s1, s1
	s_cbranch_execz .LBB74_11
; %bb.10:
	s_delay_alu instid0(VALU_DEP_1) | instskip(SKIP_1) | instid1(VALU_DEP_2)
	v_div_scale_f32 v82, null, v84, v84, v85
	v_div_scale_f32 v91, vcc_lo, v85, v84, v85
	v_rcp_f32_e32 v88, v82
	v_nop
	s_delay_alu instid0(TRANS32_DEP_1) | instskip(NEXT) | instid1(VALU_DEP_1)
	v_fma_f32 v90, -v82, v88, 1.0
	v_fmac_f32_e32 v88, v90, v88
	s_delay_alu instid0(VALU_DEP_1) | instskip(NEXT) | instid1(VALU_DEP_1)
	v_mul_f32_e32 v90, v91, v88
	v_fma_f32 v92, -v82, v90, v91
	s_delay_alu instid0(VALU_DEP_1) | instskip(NEXT) | instid1(VALU_DEP_1)
	v_fmac_f32_e32 v90, v92, v88
	v_fma_f32 v82, -v82, v90, v91
	s_delay_alu instid0(VALU_DEP_1) | instskip(NEXT) | instid1(VALU_DEP_1)
	v_div_fmas_f32 v82, v82, v88, v90
	v_div_fixup_f32 v82, v82, v84, v85
	s_delay_alu instid0(VALU_DEP_1) | instskip(NEXT) | instid1(VALU_DEP_1)
	v_fmac_f32_e32 v84, v85, v82
	v_div_scale_f32 v85, null, v84, v84, 1.0
	s_delay_alu instid0(VALU_DEP_1) | instskip(SKIP_1) | instid1(TRANS32_DEP_1)
	v_rcp_f32_e32 v88, v85
	v_nop
	v_fma_f32 v90, -v85, v88, 1.0
	s_delay_alu instid0(VALU_DEP_1) | instskip(SKIP_1) | instid1(VALU_DEP_1)
	v_fmac_f32_e32 v88, v90, v88
	v_div_scale_f32 v90, vcc_lo, 1.0, v84, 1.0
	v_mul_f32_e32 v91, v90, v88
	s_delay_alu instid0(VALU_DEP_1) | instskip(NEXT) | instid1(VALU_DEP_1)
	v_fma_f32 v92, -v85, v91, v90
	v_fmac_f32_e32 v91, v92, v88
	s_delay_alu instid0(VALU_DEP_1) | instskip(NEXT) | instid1(VALU_DEP_1)
	v_fma_f32 v85, -v85, v91, v90
	v_div_fmas_f32 v85, v85, v88, v91
	s_delay_alu instid0(VALU_DEP_1) | instskip(NEXT) | instid1(VALU_DEP_1)
	v_div_fixup_f32 v84, v85, v84, 1.0
	v_mul_f32_e64 v85, v82, -v84
.LBB74_11:
	s_or_b32 exec_lo, exec_lo, s1
	v_dual_mov_b32 v91, 0 :: v_dual_mov_b32 v88, 2
.LBB74_12:
	s_or_b32 exec_lo, exec_lo, s0
	s_delay_alu instid0(SALU_CYCLE_1)
	s_mov_b32 s0, exec_lo
	v_cmpx_ne_u32_e64 v89, v83
	s_xor_b32 s0, exec_lo, s0
	s_cbranch_execz .LBB74_18
; %bb.13:
	s_mov_b32 s1, exec_lo
	v_cmpx_eq_u32_e32 0, v89
	s_cbranch_execz .LBB74_17
; %bb.14:
	v_cmp_ne_u32_e32 vcc_lo, 0, v83
	s_xor_b32 s12, s16, -1
	s_delay_alu instid0(SALU_CYCLE_1) | instskip(NEXT) | instid1(SALU_CYCLE_1)
	s_and_b32 s13, s12, vcc_lo
	s_and_saveexec_b32 s12, s13
	s_cbranch_execz .LBB74_16
; %bb.15:
	v_dual_mov_b32 v92, v83 :: v_dual_ashrrev_i32 v93, 31, v83
	s_delay_alu instid0(VALU_DEP_1)
	v_lshl_add_u64 v[92:93], v[92:93], 2, v[4:5]
	s_clause 0x1
	global_load_b32 v82, v[92:93], off
	global_load_b32 v89, v[4:5], off
	s_wait_loadcnt 0x1
	global_store_b32 v[4:5], v82, off
	s_wait_loadcnt 0x0
	global_store_b32 v[92:93], v89, off
.LBB74_16:
	s_wait_xcnt 0x0
	s_or_b32 exec_lo, exec_lo, s12
	v_mov_b32_e32 v89, v83
.LBB74_17:
	s_or_b32 exec_lo, exec_lo, s1
.LBB74_18:
	s_or_saveexec_b32 s0, s0
	s_delay_alu instid0(VALU_DEP_1)
	v_mov_b32_e32 v90, v89
	s_xor_b32 exec_lo, exec_lo, s0
	s_cbranch_execz .LBB74_20
; %bb.19:
	v_mov_b32_e32 v90, 0
	ds_store_2addr_b64 v86, v[76:77], v[74:75] offset0:1 offset1:2
	ds_store_2addr_b64 v86, v[72:73], v[60:61] offset0:3 offset1:4
	;; [unrolled: 1-line block ×18, first 2 shown]
	ds_store_b64 v86, v[80:81] offset:296
.LBB74_20:
	s_or_b32 exec_lo, exec_lo, s0
	s_delay_alu instid0(SALU_CYCLE_1)
	s_mov_b32 s0, exec_lo
	s_wait_storecnt_dscnt 0x0
	s_barrier_signal -1
	s_barrier_wait -1
	v_cmpx_lt_i32_e32 0, v90
	s_cbranch_execz .LBB74_22
; %bb.21:
	v_pk_mul_f32 v[92:93], v[84:85], v[78:79] op_sel:[1,1] op_sel_hi:[0,1]
	s_delay_alu instid0(VALU_DEP_1)
	v_pk_fma_f32 v[82:83], v[84:85], v[78:79], v[92:93] op_sel_hi:[1,0,1] neg_lo:[0,0,1] neg_hi:[0,0,1]
	v_pk_fma_f32 v[84:85], v[84:85], v[78:79], v[92:93] op_sel_hi:[1,0,1]
	ds_load_2addr_b64 v[92:95], v86 offset0:1 offset1:2
	v_dual_mov_b32 v78, v82 :: v_dual_mov_b32 v79, v85
	s_wait_dscnt 0x0
	v_pk_mul_f32 v[96:97], v[92:93], v[84:85] op_sel:[0,1]
	s_delay_alu instid0(VALU_DEP_1) | instskip(SKIP_1) | instid1(VALU_DEP_1)
	v_pk_fma_f32 v[98:99], v[92:93], v[82:83], v[96:97] op_sel:[0,0,1] op_sel_hi:[1,1,0] neg_lo:[0,0,1] neg_hi:[0,0,1]
	v_pk_fma_f32 v[92:93], v[92:93], v[82:83], v[96:97] op_sel:[0,0,1] op_sel_hi:[1,0,0]
	v_mov_b32_e32 v99, v93
	v_pk_mul_f32 v[92:93], v[94:95], v[84:85] op_sel:[0,1]
	s_delay_alu instid0(VALU_DEP_1) | instskip(SKIP_1) | instid1(VALU_DEP_1)
	v_pk_fma_f32 v[96:97], v[94:95], v[82:83], v[92:93] op_sel:[0,0,1] op_sel_hi:[1,1,0] neg_lo:[0,0,1] neg_hi:[0,0,1]
	v_pk_fma_f32 v[92:93], v[94:95], v[82:83], v[92:93] op_sel:[0,0,1] op_sel_hi:[1,0,0]
	v_mov_b32_e32 v97, v93
	ds_load_2addr_b64 v[92:95], v86 offset0:3 offset1:4
	v_pk_add_f32 v[76:77], v[76:77], v[98:99] neg_lo:[0,1] neg_hi:[0,1]
	v_pk_add_f32 v[74:75], v[74:75], v[96:97] neg_lo:[0,1] neg_hi:[0,1]
	s_wait_dscnt 0x0
	v_pk_mul_f32 v[96:97], v[92:93], v[84:85] op_sel:[0,1]
	s_delay_alu instid0(VALU_DEP_1) | instskip(SKIP_2) | instid1(VALU_DEP_2)
	v_pk_fma_f32 v[98:99], v[92:93], v[82:83], v[96:97] op_sel:[0,0,1] op_sel_hi:[1,1,0] neg_lo:[0,0,1] neg_hi:[0,0,1]
	v_pk_fma_f32 v[92:93], v[92:93], v[82:83], v[96:97] op_sel:[0,0,1] op_sel_hi:[1,0,0]
	v_dual_mul_f32 v96, v95, v85 :: v_dual_mov_b32 v92, v95
	v_dual_mov_b32 v99, v93 :: v_dual_mov_b32 v93, v94
	s_delay_alu instid0(VALU_DEP_2) | instskip(SKIP_1) | instid1(VALU_DEP_3)
	v_pk_fma_f32 v[96:97], v[94:95], v[78:79], v[96:97] op_sel_hi:[1,1,0] neg_lo:[0,0,1] neg_hi:[0,0,1]
	v_mul_f32_e32 v94, v95, v82
	v_pk_add_f32 v[72:73], v[72:73], v[98:99] neg_lo:[0,1] neg_hi:[0,1]
	s_delay_alu instid0(VALU_DEP_2) | instskip(NEXT) | instid1(VALU_DEP_1)
	v_pk_fma_f32 v[92:93], v[92:93], v[78:79], v[94:95] op_sel_hi:[1,1,0]
	v_mov_b32_e32 v97, v93
	ds_load_2addr_b64 v[92:95], v86 offset0:5 offset1:6
	v_pk_add_f32 v[60:61], v[60:61], v[96:97] neg_lo:[0,1] neg_hi:[0,1]
	s_wait_dscnt 0x0
	v_pk_mul_f32 v[96:97], v[92:93], v[84:85] op_sel:[0,1]
	s_delay_alu instid0(VALU_DEP_1) | instskip(SKIP_1) | instid1(VALU_DEP_1)
	v_pk_fma_f32 v[98:99], v[92:93], v[82:83], v[96:97] op_sel:[0,0,1] op_sel_hi:[1,1,0] neg_lo:[0,0,1] neg_hi:[0,0,1]
	v_pk_fma_f32 v[92:93], v[92:93], v[82:83], v[96:97] op_sel:[0,0,1] op_sel_hi:[1,0,0]
	v_mov_b32_e32 v99, v93
	v_pk_mul_f32 v[92:93], v[94:95], v[84:85] op_sel:[0,1]
	s_delay_alu instid0(VALU_DEP_1) | instskip(SKIP_1) | instid1(VALU_DEP_1)
	v_pk_fma_f32 v[96:97], v[94:95], v[82:83], v[92:93] op_sel:[0,0,1] op_sel_hi:[1,1,0] neg_lo:[0,0,1] neg_hi:[0,0,1]
	v_pk_fma_f32 v[92:93], v[94:95], v[82:83], v[92:93] op_sel:[0,0,1] op_sel_hi:[1,0,0]
	v_mov_b32_e32 v97, v93
	ds_load_2addr_b64 v[92:95], v86 offset0:7 offset1:8
	v_pk_add_f32 v[16:17], v[16:17], v[98:99] neg_lo:[0,1] neg_hi:[0,1]
	v_pk_add_f32 v[18:19], v[18:19], v[96:97] neg_lo:[0,1] neg_hi:[0,1]
	s_wait_dscnt 0x0
	v_pk_mul_f32 v[96:97], v[92:93], v[84:85] op_sel:[0,1]
	s_delay_alu instid0(VALU_DEP_1) | instskip(SKIP_1) | instid1(VALU_DEP_1)
	v_pk_fma_f32 v[98:99], v[92:93], v[82:83], v[96:97] op_sel:[0,0,1] op_sel_hi:[1,1,0] neg_lo:[0,0,1] neg_hi:[0,0,1]
	v_pk_fma_f32 v[92:93], v[92:93], v[82:83], v[96:97] op_sel:[0,0,1] op_sel_hi:[1,0,0]
	v_mov_b32_e32 v99, v93
	v_pk_mul_f32 v[92:93], v[94:95], v[84:85] op_sel:[0,1]
	s_delay_alu instid0(VALU_DEP_1) | instskip(SKIP_1) | instid1(VALU_DEP_1)
	v_pk_fma_f32 v[96:97], v[94:95], v[82:83], v[92:93] op_sel:[0,0,1] op_sel_hi:[1,1,0] neg_lo:[0,0,1] neg_hi:[0,0,1]
	v_pk_fma_f32 v[92:93], v[94:95], v[82:83], v[92:93] op_sel:[0,0,1] op_sel_hi:[1,0,0]
	v_mov_b32_e32 v97, v93
	ds_load_2addr_b64 v[92:95], v86 offset0:9 offset1:10
	v_pk_add_f32 v[14:15], v[14:15], v[98:99] neg_lo:[0,1] neg_hi:[0,1]
	v_pk_add_f32 v[62:63], v[62:63], v[96:97] neg_lo:[0,1] neg_hi:[0,1]
	s_wait_dscnt 0x0
	v_dual_mul_f32 v96, v93, v85 :: v_dual_mul_f32 v98, v93, v82
	s_delay_alu instid0(VALU_DEP_1) | instskip(NEXT) | instid1(VALU_DEP_2)
	v_pk_fma_f32 v[96:97], v[92:93], v[78:79], v[96:97] op_sel_hi:[1,1,0] neg_lo:[0,0,1] neg_hi:[0,0,1]
	v_pk_fma_f32 v[92:93], v[92:93], v[78:79], v[98:99] op_sel:[1,0,0] op_sel_hi:[0,1,0]
	s_delay_alu instid0(VALU_DEP_1) | instskip(SKIP_1) | instid1(VALU_DEP_2)
	v_mov_b32_e32 v97, v93
	v_pk_mul_f32 v[92:93], v[94:95], v[84:85] op_sel:[0,1]
	v_pk_add_f32 v[22:23], v[22:23], v[96:97] neg_lo:[0,1] neg_hi:[0,1]
	s_delay_alu instid0(VALU_DEP_2) | instskip(SKIP_1) | instid1(VALU_DEP_1)
	v_pk_fma_f32 v[96:97], v[94:95], v[82:83], v[92:93] op_sel:[0,0,1] op_sel_hi:[1,1,0] neg_lo:[0,0,1] neg_hi:[0,0,1]
	v_pk_fma_f32 v[92:93], v[94:95], v[82:83], v[92:93] op_sel:[0,0,1] op_sel_hi:[1,0,0]
	v_mov_b32_e32 v97, v93
	ds_load_2addr_b64 v[92:95], v86 offset0:11 offset1:12
	v_pk_add_f32 v[24:25], v[24:25], v[96:97] neg_lo:[0,1] neg_hi:[0,1]
	s_wait_dscnt 0x0
	v_pk_mul_f32 v[96:97], v[92:93], v[84:85] op_sel:[0,1]
	s_delay_alu instid0(VALU_DEP_1) | instskip(SKIP_1) | instid1(VALU_DEP_1)
	v_pk_fma_f32 v[98:99], v[92:93], v[82:83], v[96:97] op_sel:[0,0,1] op_sel_hi:[1,1,0] neg_lo:[0,0,1] neg_hi:[0,0,1]
	v_pk_fma_f32 v[92:93], v[92:93], v[82:83], v[96:97] op_sel:[0,0,1] op_sel_hi:[1,0,0]
	v_mov_b32_e32 v99, v93
	v_pk_mul_f32 v[92:93], v[94:95], v[84:85] op_sel:[0,1]
	s_delay_alu instid0(VALU_DEP_2) | instskip(NEXT) | instid1(VALU_DEP_2)
	v_pk_add_f32 v[20:21], v[20:21], v[98:99] neg_lo:[0,1] neg_hi:[0,1]
	v_pk_fma_f32 v[96:97], v[94:95], v[82:83], v[92:93] op_sel:[0,0,1] op_sel_hi:[1,1,0] neg_lo:[0,0,1] neg_hi:[0,0,1]
	v_pk_fma_f32 v[92:93], v[94:95], v[82:83], v[92:93] op_sel:[0,0,1] op_sel_hi:[1,0,0]
	s_delay_alu instid0(VALU_DEP_1) | instskip(SKIP_4) | instid1(VALU_DEP_1)
	v_mov_b32_e32 v97, v93
	ds_load_2addr_b64 v[92:95], v86 offset0:13 offset1:14
	v_pk_add_f32 v[64:65], v[64:65], v[96:97] neg_lo:[0,1] neg_hi:[0,1]
	s_wait_dscnt 0x0
	v_pk_mul_f32 v[96:97], v[92:93], v[84:85] op_sel:[0,1]
	v_pk_fma_f32 v[98:99], v[92:93], v[82:83], v[96:97] op_sel:[0,0,1] op_sel_hi:[1,1,0] neg_lo:[0,0,1] neg_hi:[0,0,1]
	v_pk_fma_f32 v[92:93], v[92:93], v[82:83], v[96:97] op_sel:[0,0,1] op_sel_hi:[1,0,0]
	v_dual_mul_f32 v96, v95, v85 :: v_dual_mov_b32 v92, v95
	s_delay_alu instid0(VALU_DEP_2) | instskip(NEXT) | instid1(VALU_DEP_2)
	v_dual_mov_b32 v99, v93 :: v_dual_mov_b32 v93, v94
	v_pk_fma_f32 v[96:97], v[94:95], v[78:79], v[96:97] op_sel_hi:[1,1,0] neg_lo:[0,0,1] neg_hi:[0,0,1]
	v_mul_f32_e32 v94, v95, v82
	s_delay_alu instid0(VALU_DEP_3) | instskip(NEXT) | instid1(VALU_DEP_2)
	v_pk_add_f32 v[30:31], v[30:31], v[98:99] neg_lo:[0,1] neg_hi:[0,1]
	v_pk_fma_f32 v[92:93], v[92:93], v[78:79], v[94:95] op_sel_hi:[1,1,0]
	s_delay_alu instid0(VALU_DEP_1) | instskip(SKIP_4) | instid1(VALU_DEP_1)
	v_mov_b32_e32 v97, v93
	ds_load_2addr_b64 v[92:95], v86 offset0:15 offset1:16
	v_pk_add_f32 v[32:33], v[32:33], v[96:97] neg_lo:[0,1] neg_hi:[0,1]
	s_wait_dscnt 0x0
	v_pk_mul_f32 v[96:97], v[92:93], v[84:85] op_sel:[0,1]
	v_pk_fma_f32 v[98:99], v[92:93], v[82:83], v[96:97] op_sel:[0,0,1] op_sel_hi:[1,1,0] neg_lo:[0,0,1] neg_hi:[0,0,1]
	v_pk_fma_f32 v[92:93], v[92:93], v[82:83], v[96:97] op_sel:[0,0,1] op_sel_hi:[1,0,0]
	s_delay_alu instid0(VALU_DEP_1) | instskip(SKIP_1) | instid1(VALU_DEP_1)
	v_mov_b32_e32 v99, v93
	v_pk_mul_f32 v[92:93], v[94:95], v[84:85] op_sel:[0,1]
	v_pk_fma_f32 v[96:97], v[94:95], v[82:83], v[92:93] op_sel:[0,0,1] op_sel_hi:[1,1,0] neg_lo:[0,0,1] neg_hi:[0,0,1]
	v_pk_fma_f32 v[92:93], v[94:95], v[82:83], v[92:93] op_sel:[0,0,1] op_sel_hi:[1,0,0]
	s_delay_alu instid0(VALU_DEP_1)
	v_mov_b32_e32 v97, v93
	ds_load_2addr_b64 v[92:95], v86 offset0:17 offset1:18
	v_pk_add_f32 v[28:29], v[28:29], v[98:99] neg_lo:[0,1] neg_hi:[0,1]
	v_pk_add_f32 v[70:71], v[70:71], v[96:97] neg_lo:[0,1] neg_hi:[0,1]
	s_wait_dscnt 0x0
	v_pk_mul_f32 v[96:97], v[92:93], v[84:85] op_sel:[0,1]
	s_delay_alu instid0(VALU_DEP_1) | instskip(SKIP_1) | instid1(VALU_DEP_1)
	v_pk_fma_f32 v[98:99], v[92:93], v[82:83], v[96:97] op_sel:[0,0,1] op_sel_hi:[1,1,0] neg_lo:[0,0,1] neg_hi:[0,0,1]
	v_pk_fma_f32 v[92:93], v[92:93], v[82:83], v[96:97] op_sel:[0,0,1] op_sel_hi:[1,0,0]
	v_mov_b32_e32 v99, v93
	v_pk_mul_f32 v[92:93], v[94:95], v[84:85] op_sel:[0,1]
	s_delay_alu instid0(VALU_DEP_1) | instskip(SKIP_1) | instid1(VALU_DEP_1)
	v_pk_fma_f32 v[96:97], v[94:95], v[82:83], v[92:93] op_sel:[0,0,1] op_sel_hi:[1,1,0] neg_lo:[0,0,1] neg_hi:[0,0,1]
	v_pk_fma_f32 v[92:93], v[94:95], v[82:83], v[92:93] op_sel:[0,0,1] op_sel_hi:[1,0,0]
	v_mov_b32_e32 v97, v93
	ds_load_2addr_b64 v[92:95], v86 offset0:19 offset1:20
	v_pk_add_f32 v[50:51], v[50:51], v[98:99] neg_lo:[0,1] neg_hi:[0,1]
	v_pk_add_f32 v[52:53], v[52:53], v[96:97] neg_lo:[0,1] neg_hi:[0,1]
	s_wait_dscnt 0x0
	v_dual_mul_f32 v96, v93, v85 :: v_dual_mul_f32 v98, v93, v82
	s_delay_alu instid0(VALU_DEP_1) | instskip(NEXT) | instid1(VALU_DEP_2)
	v_pk_fma_f32 v[96:97], v[92:93], v[78:79], v[96:97] op_sel_hi:[1,1,0] neg_lo:[0,0,1] neg_hi:[0,0,1]
	v_pk_fma_f32 v[92:93], v[92:93], v[78:79], v[98:99] op_sel:[1,0,0] op_sel_hi:[0,1,0]
	s_delay_alu instid0(VALU_DEP_1) | instskip(SKIP_1) | instid1(VALU_DEP_2)
	v_mov_b32_e32 v97, v93
	v_pk_mul_f32 v[92:93], v[94:95], v[84:85] op_sel:[0,1]
	v_pk_add_f32 v[48:49], v[48:49], v[96:97] neg_lo:[0,1] neg_hi:[0,1]
	s_delay_alu instid0(VALU_DEP_2) | instskip(SKIP_1) | instid1(VALU_DEP_1)
	v_pk_fma_f32 v[96:97], v[94:95], v[82:83], v[92:93] op_sel:[0,0,1] op_sel_hi:[1,1,0] neg_lo:[0,0,1] neg_hi:[0,0,1]
	v_pk_fma_f32 v[92:93], v[94:95], v[82:83], v[92:93] op_sel:[0,0,1] op_sel_hi:[1,0,0]
	v_mov_b32_e32 v97, v93
	ds_load_2addr_b64 v[92:95], v86 offset0:21 offset1:22
	v_pk_add_f32 v[68:69], v[68:69], v[96:97] neg_lo:[0,1] neg_hi:[0,1]
	s_wait_dscnt 0x0
	v_pk_mul_f32 v[96:97], v[92:93], v[84:85] op_sel:[0,1]
	s_delay_alu instid0(VALU_DEP_1) | instskip(SKIP_1) | instid1(VALU_DEP_1)
	v_pk_fma_f32 v[98:99], v[92:93], v[82:83], v[96:97] op_sel:[0,0,1] op_sel_hi:[1,1,0] neg_lo:[0,0,1] neg_hi:[0,0,1]
	v_pk_fma_f32 v[92:93], v[92:93], v[82:83], v[96:97] op_sel:[0,0,1] op_sel_hi:[1,0,0]
	v_mov_b32_e32 v99, v93
	v_pk_mul_f32 v[92:93], v[94:95], v[84:85] op_sel:[0,1]
	s_delay_alu instid0(VALU_DEP_2) | instskip(NEXT) | instid1(VALU_DEP_2)
	v_pk_add_f32 v[42:43], v[42:43], v[98:99] neg_lo:[0,1] neg_hi:[0,1]
	v_pk_fma_f32 v[96:97], v[94:95], v[82:83], v[92:93] op_sel:[0,0,1] op_sel_hi:[1,1,0] neg_lo:[0,0,1] neg_hi:[0,0,1]
	v_pk_fma_f32 v[92:93], v[94:95], v[82:83], v[92:93] op_sel:[0,0,1] op_sel_hi:[1,0,0]
	s_delay_alu instid0(VALU_DEP_1) | instskip(SKIP_4) | instid1(VALU_DEP_1)
	v_mov_b32_e32 v97, v93
	ds_load_2addr_b64 v[92:95], v86 offset0:23 offset1:24
	v_pk_add_f32 v[44:45], v[44:45], v[96:97] neg_lo:[0,1] neg_hi:[0,1]
	s_wait_dscnt 0x0
	v_pk_mul_f32 v[96:97], v[92:93], v[84:85] op_sel:[0,1]
	v_pk_fma_f32 v[98:99], v[92:93], v[82:83], v[96:97] op_sel:[0,0,1] op_sel_hi:[1,1,0] neg_lo:[0,0,1] neg_hi:[0,0,1]
	v_pk_fma_f32 v[92:93], v[92:93], v[82:83], v[96:97] op_sel:[0,0,1] op_sel_hi:[1,0,0]
	v_dual_mul_f32 v96, v95, v85 :: v_dual_mov_b32 v92, v95
	s_delay_alu instid0(VALU_DEP_2) | instskip(NEXT) | instid1(VALU_DEP_2)
	v_dual_mov_b32 v99, v93 :: v_dual_mov_b32 v93, v94
	v_pk_fma_f32 v[96:97], v[94:95], v[78:79], v[96:97] op_sel_hi:[1,1,0] neg_lo:[0,0,1] neg_hi:[0,0,1]
	v_mul_f32_e32 v94, v95, v82
	s_delay_alu instid0(VALU_DEP_3) | instskip(NEXT) | instid1(VALU_DEP_2)
	v_pk_add_f32 v[40:41], v[40:41], v[98:99] neg_lo:[0,1] neg_hi:[0,1]
	v_pk_fma_f32 v[92:93], v[92:93], v[78:79], v[94:95] op_sel_hi:[1,1,0]
	s_delay_alu instid0(VALU_DEP_1) | instskip(SKIP_4) | instid1(VALU_DEP_1)
	v_mov_b32_e32 v97, v93
	ds_load_2addr_b64 v[92:95], v86 offset0:25 offset1:26
	v_pk_add_f32 v[66:67], v[66:67], v[96:97] neg_lo:[0,1] neg_hi:[0,1]
	s_wait_dscnt 0x0
	v_pk_mul_f32 v[96:97], v[92:93], v[84:85] op_sel:[0,1]
	v_pk_fma_f32 v[98:99], v[92:93], v[82:83], v[96:97] op_sel:[0,0,1] op_sel_hi:[1,1,0] neg_lo:[0,0,1] neg_hi:[0,0,1]
	v_pk_fma_f32 v[92:93], v[92:93], v[82:83], v[96:97] op_sel:[0,0,1] op_sel_hi:[1,0,0]
	s_delay_alu instid0(VALU_DEP_1) | instskip(SKIP_1) | instid1(VALU_DEP_1)
	v_mov_b32_e32 v99, v93
	v_pk_mul_f32 v[92:93], v[94:95], v[84:85] op_sel:[0,1]
	v_pk_fma_f32 v[96:97], v[94:95], v[82:83], v[92:93] op_sel:[0,0,1] op_sel_hi:[1,1,0] neg_lo:[0,0,1] neg_hi:[0,0,1]
	v_pk_fma_f32 v[92:93], v[94:95], v[82:83], v[92:93] op_sel:[0,0,1] op_sel_hi:[1,0,0]
	s_delay_alu instid0(VALU_DEP_1)
	v_mov_b32_e32 v97, v93
	ds_load_2addr_b64 v[92:95], v86 offset0:27 offset1:28
	v_pk_add_f32 v[36:37], v[36:37], v[98:99] neg_lo:[0,1] neg_hi:[0,1]
	v_pk_add_f32 v[38:39], v[38:39], v[96:97] neg_lo:[0,1] neg_hi:[0,1]
	s_wait_dscnt 0x0
	v_pk_mul_f32 v[96:97], v[92:93], v[84:85] op_sel:[0,1]
	s_delay_alu instid0(VALU_DEP_1) | instskip(SKIP_1) | instid1(VALU_DEP_1)
	v_pk_fma_f32 v[98:99], v[92:93], v[82:83], v[96:97] op_sel:[0,0,1] op_sel_hi:[1,1,0] neg_lo:[0,0,1] neg_hi:[0,0,1]
	v_pk_fma_f32 v[92:93], v[92:93], v[82:83], v[96:97] op_sel:[0,0,1] op_sel_hi:[1,0,0]
	v_mov_b32_e32 v99, v93
	v_pk_mul_f32 v[92:93], v[94:95], v[84:85] op_sel:[0,1]
	s_delay_alu instid0(VALU_DEP_1) | instskip(SKIP_1) | instid1(VALU_DEP_1)
	v_pk_fma_f32 v[96:97], v[94:95], v[82:83], v[92:93] op_sel:[0,0,1] op_sel_hi:[1,1,0] neg_lo:[0,0,1] neg_hi:[0,0,1]
	v_pk_fma_f32 v[92:93], v[94:95], v[82:83], v[92:93] op_sel:[0,0,1] op_sel_hi:[1,0,0]
	v_mov_b32_e32 v97, v93
	ds_load_2addr_b64 v[92:95], v86 offset0:29 offset1:30
	v_pk_add_f32 v[34:35], v[34:35], v[98:99] neg_lo:[0,1] neg_hi:[0,1]
	v_pk_add_f32 v[58:59], v[58:59], v[96:97] neg_lo:[0,1] neg_hi:[0,1]
	s_wait_dscnt 0x0
	v_dual_mul_f32 v96, v93, v85 :: v_dual_mul_f32 v98, v93, v82
	s_delay_alu instid0(VALU_DEP_1) | instskip(NEXT) | instid1(VALU_DEP_2)
	v_pk_fma_f32 v[96:97], v[92:93], v[78:79], v[96:97] op_sel_hi:[1,1,0] neg_lo:[0,0,1] neg_hi:[0,0,1]
	v_pk_fma_f32 v[92:93], v[92:93], v[78:79], v[98:99] op_sel:[1,0,0] op_sel_hi:[0,1,0]
	s_delay_alu instid0(VALU_DEP_1) | instskip(SKIP_1) | instid1(VALU_DEP_2)
	v_mov_b32_e32 v97, v93
	v_pk_mul_f32 v[92:93], v[94:95], v[84:85] op_sel:[0,1]
	v_pk_add_f32 v[10:11], v[10:11], v[96:97] neg_lo:[0,1] neg_hi:[0,1]
	s_delay_alu instid0(VALU_DEP_2) | instskip(SKIP_1) | instid1(VALU_DEP_1)
	v_pk_fma_f32 v[96:97], v[94:95], v[82:83], v[92:93] op_sel:[0,0,1] op_sel_hi:[1,1,0] neg_lo:[0,0,1] neg_hi:[0,0,1]
	v_pk_fma_f32 v[92:93], v[94:95], v[82:83], v[92:93] op_sel:[0,0,1] op_sel_hi:[1,0,0]
	v_mov_b32_e32 v97, v93
	ds_load_2addr_b64 v[92:95], v86 offset0:31 offset1:32
	v_pk_add_f32 v[12:13], v[12:13], v[96:97] neg_lo:[0,1] neg_hi:[0,1]
	s_wait_dscnt 0x0
	v_pk_mul_f32 v[96:97], v[92:93], v[84:85] op_sel:[0,1]
	s_delay_alu instid0(VALU_DEP_1) | instskip(SKIP_1) | instid1(VALU_DEP_1)
	v_pk_fma_f32 v[98:99], v[92:93], v[82:83], v[96:97] op_sel:[0,0,1] op_sel_hi:[1,1,0] neg_lo:[0,0,1] neg_hi:[0,0,1]
	v_pk_fma_f32 v[92:93], v[92:93], v[82:83], v[96:97] op_sel:[0,0,1] op_sel_hi:[1,0,0]
	v_mov_b32_e32 v99, v93
	v_pk_mul_f32 v[92:93], v[94:95], v[84:85] op_sel:[0,1]
	s_delay_alu instid0(VALU_DEP_2) | instskip(NEXT) | instid1(VALU_DEP_2)
	v_pk_add_f32 v[8:9], v[8:9], v[98:99] neg_lo:[0,1] neg_hi:[0,1]
	v_pk_fma_f32 v[96:97], v[94:95], v[82:83], v[92:93] op_sel:[0,0,1] op_sel_hi:[1,1,0] neg_lo:[0,0,1] neg_hi:[0,0,1]
	v_pk_fma_f32 v[92:93], v[94:95], v[82:83], v[92:93] op_sel:[0,0,1] op_sel_hi:[1,0,0]
	s_delay_alu instid0(VALU_DEP_1) | instskip(SKIP_4) | instid1(VALU_DEP_1)
	v_mov_b32_e32 v97, v93
	ds_load_2addr_b64 v[92:95], v86 offset0:33 offset1:34
	v_pk_add_f32 v[56:57], v[56:57], v[96:97] neg_lo:[0,1] neg_hi:[0,1]
	s_wait_dscnt 0x0
	v_pk_mul_f32 v[96:97], v[92:93], v[84:85] op_sel:[0,1]
	v_pk_fma_f32 v[98:99], v[92:93], v[82:83], v[96:97] op_sel:[0,0,1] op_sel_hi:[1,1,0] neg_lo:[0,0,1] neg_hi:[0,0,1]
	v_pk_fma_f32 v[92:93], v[92:93], v[82:83], v[96:97] op_sel:[0,0,1] op_sel_hi:[1,0,0]
	v_dual_mul_f32 v96, v95, v85 :: v_dual_mov_b32 v92, v95
	s_delay_alu instid0(VALU_DEP_2) | instskip(NEXT) | instid1(VALU_DEP_2)
	v_dual_mov_b32 v99, v93 :: v_dual_mov_b32 v93, v94
	v_pk_fma_f32 v[96:97], v[94:95], v[78:79], v[96:97] op_sel_hi:[1,1,0] neg_lo:[0,0,1] neg_hi:[0,0,1]
	v_mul_f32_e32 v94, v95, v82
	s_delay_alu instid0(VALU_DEP_3) | instskip(NEXT) | instid1(VALU_DEP_2)
	v_pk_add_f32 v[6:7], v[6:7], v[98:99] neg_lo:[0,1] neg_hi:[0,1]
	v_pk_fma_f32 v[92:93], v[92:93], v[78:79], v[94:95] op_sel_hi:[1,1,0]
	s_delay_alu instid0(VALU_DEP_1) | instskip(SKIP_4) | instid1(VALU_DEP_1)
	v_mov_b32_e32 v97, v93
	ds_load_2addr_b64 v[92:95], v86 offset0:35 offset1:36
	v_pk_add_f32 v[54:55], v[54:55], v[96:97] neg_lo:[0,1] neg_hi:[0,1]
	s_wait_dscnt 0x0
	v_pk_mul_f32 v[96:97], v[92:93], v[84:85] op_sel:[0,1]
	v_pk_fma_f32 v[98:99], v[92:93], v[82:83], v[96:97] op_sel:[0,0,1] op_sel_hi:[1,1,0] neg_lo:[0,0,1] neg_hi:[0,0,1]
	v_pk_fma_f32 v[92:93], v[92:93], v[82:83], v[96:97] op_sel:[0,0,1] op_sel_hi:[1,0,0]
	s_delay_alu instid0(VALU_DEP_1) | instskip(SKIP_1) | instid1(VALU_DEP_1)
	v_mov_b32_e32 v99, v93
	v_pk_mul_f32 v[92:93], v[94:95], v[84:85] op_sel:[0,1]
	v_pk_fma_f32 v[96:97], v[94:95], v[82:83], v[92:93] op_sel:[0,0,1] op_sel_hi:[1,1,0] neg_lo:[0,0,1] neg_hi:[0,0,1]
	v_pk_fma_f32 v[92:93], v[94:95], v[82:83], v[92:93] op_sel:[0,0,1] op_sel_hi:[1,0,0]
	s_delay_alu instid0(VALU_DEP_1)
	v_mov_b32_e32 v97, v93
	ds_load_b64 v[92:93], v86 offset:296
	v_pk_add_f32 v[46:47], v[46:47], v[98:99] neg_lo:[0,1] neg_hi:[0,1]
	v_pk_add_f32 v[26:27], v[26:27], v[96:97] neg_lo:[0,1] neg_hi:[0,1]
	s_wait_dscnt 0x0
	v_pk_mul_f32 v[84:85], v[92:93], v[84:85] op_sel:[0,1]
	s_delay_alu instid0(VALU_DEP_1) | instskip(SKIP_1) | instid1(VALU_DEP_1)
	v_pk_fma_f32 v[94:95], v[92:93], v[82:83], v[84:85] op_sel:[0,0,1] op_sel_hi:[1,1,0] neg_lo:[0,0,1] neg_hi:[0,0,1]
	v_pk_fma_f32 v[82:83], v[92:93], v[82:83], v[84:85] op_sel:[0,0,1] op_sel_hi:[1,0,0]
	v_mov_b32_e32 v95, v83
	s_delay_alu instid0(VALU_DEP_1)
	v_pk_add_f32 v[80:81], v[80:81], v[94:95] neg_lo:[0,1] neg_hi:[0,1]
.LBB74_22:
	s_or_b32 exec_lo, exec_lo, s0
	v_lshl_add_u32 v82, v90, 3, v86
	s_barrier_signal -1
	s_barrier_wait -1
	ds_store_b64 v82, v[76:77]
	s_wait_dscnt 0x0
	s_barrier_signal -1
	s_barrier_wait -1
	ds_load_b64 v[84:85], v86 offset:8
	v_mov_b32_e32 v82, 1
	s_cmp_lt_i32 s18, 3
	s_cbranch_scc1 .LBB74_25
; %bb.23:
	v_add3_u32 v83, v87, 0, 16
	v_mov_b32_e32 v82, 1
	s_mov_b32 s0, 2
.LBB74_24:                              ; =>This Inner Loop Header: Depth=1
	ds_load_b64 v[92:93], v83
	s_wait_dscnt 0x1
	v_cmp_gt_f32_e32 vcc_lo, 0, v84
	v_cndmask_b32_e64 v94, v84, -v84, vcc_lo
	v_cmp_gt_f32_e32 vcc_lo, 0, v85
	v_cndmask_b32_e64 v96, v85, -v85, vcc_lo
	s_wait_dscnt 0x0
	v_cmp_gt_f32_e32 vcc_lo, 0, v92
	v_cndmask_b32_e64 v95, v92, -v92, vcc_lo
	v_cmp_gt_f32_e32 vcc_lo, 0, v93
	v_cndmask_b32_e64 v97, v93, -v93, vcc_lo
	s_delay_alu instid0(VALU_DEP_1) | instskip(NEXT) | instid1(VALU_DEP_1)
	v_pk_add_f32 v[94:95], v[94:95], v[96:97]
	v_cmp_lt_f32_e32 vcc_lo, v94, v95
	v_dual_add_nc_u32 v83, 8, v83 :: v_dual_cndmask_b32 v85, v85, v93, vcc_lo
	v_cndmask_b32_e32 v84, v84, v92, vcc_lo
	v_cndmask_b32_e64 v82, v82, s0, vcc_lo
	s_add_co_i32 s0, s0, 1
	s_delay_alu instid0(SALU_CYCLE_1)
	s_cmp_lg_u32 s18, s0
	s_cbranch_scc1 .LBB74_24
.LBB74_25:
	s_wait_dscnt 0x0
	v_cmp_neq_f32_e32 vcc_lo, 0, v84
	v_cmp_neq_f32_e64 s0, 0, v85
	s_or_b32 s1, vcc_lo, s0
	s_delay_alu instid0(SALU_CYCLE_1)
	s_and_saveexec_b32 s0, s1
	s_cbranch_execz .LBB74_31
; %bb.26:
	v_cmp_ngt_f32_e64 s1, |v84|, |v85|
	s_and_saveexec_b32 s12, s1
	s_delay_alu instid0(SALU_CYCLE_1)
	s_xor_b32 s1, exec_lo, s12
	s_cbranch_execz .LBB74_28
; %bb.27:
	v_div_scale_f32 v83, null, v85, v85, v84
	v_div_scale_f32 v93, vcc_lo, v84, v85, v84
	s_delay_alu instid0(VALU_DEP_2) | instskip(SKIP_1) | instid1(TRANS32_DEP_1)
	v_rcp_f32_e32 v88, v83
	v_nop
	v_fma_f32 v92, -v83, v88, 1.0
	s_delay_alu instid0(VALU_DEP_1) | instskip(NEXT) | instid1(VALU_DEP_1)
	v_fmac_f32_e32 v88, v92, v88
	v_mul_f32_e32 v92, v93, v88
	s_delay_alu instid0(VALU_DEP_1) | instskip(NEXT) | instid1(VALU_DEP_1)
	v_fma_f32 v94, -v83, v92, v93
	v_fmac_f32_e32 v92, v94, v88
	s_delay_alu instid0(VALU_DEP_1) | instskip(NEXT) | instid1(VALU_DEP_1)
	v_fma_f32 v83, -v83, v92, v93
	v_div_fmas_f32 v83, v83, v88, v92
	s_delay_alu instid0(VALU_DEP_1) | instskip(NEXT) | instid1(VALU_DEP_1)
	v_div_fixup_f32 v83, v83, v85, v84
	v_fmac_f32_e32 v85, v84, v83
	s_delay_alu instid0(VALU_DEP_1) | instskip(SKIP_1) | instid1(VALU_DEP_2)
	v_div_scale_f32 v84, null, v85, v85, 1.0
	v_div_scale_f32 v93, vcc_lo, 1.0, v85, 1.0
	v_rcp_f32_e32 v88, v84
	v_nop
	s_delay_alu instid0(TRANS32_DEP_1) | instskip(NEXT) | instid1(VALU_DEP_1)
	v_fma_f32 v92, -v84, v88, 1.0
	v_fmac_f32_e32 v88, v92, v88
	s_delay_alu instid0(VALU_DEP_1) | instskip(NEXT) | instid1(VALU_DEP_1)
	v_mul_f32_e32 v92, v93, v88
	v_fma_f32 v94, -v84, v92, v93
	s_delay_alu instid0(VALU_DEP_1) | instskip(NEXT) | instid1(VALU_DEP_1)
	v_fmac_f32_e32 v92, v94, v88
	v_fma_f32 v84, -v84, v92, v93
	s_delay_alu instid0(VALU_DEP_1) | instskip(NEXT) | instid1(VALU_DEP_1)
	v_div_fmas_f32 v84, v84, v88, v92
	v_div_fixup_f32 v85, v84, v85, 1.0
	s_delay_alu instid0(VALU_DEP_1)
	v_mul_f32_e32 v84, v83, v85
	v_xor_b32_e32 v85, 0x80000000, v85
.LBB74_28:
	s_and_not1_saveexec_b32 s1, s1
	s_cbranch_execz .LBB74_30
; %bb.29:
	s_delay_alu instid0(VALU_DEP_1) | instskip(SKIP_1) | instid1(VALU_DEP_2)
	v_div_scale_f32 v83, null, v84, v84, v85
	v_div_scale_f32 v93, vcc_lo, v85, v84, v85
	v_rcp_f32_e32 v88, v83
	v_nop
	s_delay_alu instid0(TRANS32_DEP_1) | instskip(NEXT) | instid1(VALU_DEP_1)
	v_fma_f32 v92, -v83, v88, 1.0
	v_fmac_f32_e32 v88, v92, v88
	s_delay_alu instid0(VALU_DEP_1) | instskip(NEXT) | instid1(VALU_DEP_1)
	v_mul_f32_e32 v92, v93, v88
	v_fma_f32 v94, -v83, v92, v93
	s_delay_alu instid0(VALU_DEP_1) | instskip(NEXT) | instid1(VALU_DEP_1)
	v_fmac_f32_e32 v92, v94, v88
	v_fma_f32 v83, -v83, v92, v93
	s_delay_alu instid0(VALU_DEP_1) | instskip(NEXT) | instid1(VALU_DEP_1)
	v_div_fmas_f32 v83, v83, v88, v92
	v_div_fixup_f32 v83, v83, v84, v85
	s_delay_alu instid0(VALU_DEP_1) | instskip(NEXT) | instid1(VALU_DEP_1)
	v_fmac_f32_e32 v84, v85, v83
	v_div_scale_f32 v85, null, v84, v84, 1.0
	s_delay_alu instid0(VALU_DEP_1) | instskip(SKIP_1) | instid1(TRANS32_DEP_1)
	v_rcp_f32_e32 v88, v85
	v_nop
	v_fma_f32 v92, -v85, v88, 1.0
	s_delay_alu instid0(VALU_DEP_1) | instskip(SKIP_1) | instid1(VALU_DEP_1)
	v_fmac_f32_e32 v88, v92, v88
	v_div_scale_f32 v92, vcc_lo, 1.0, v84, 1.0
	v_mul_f32_e32 v93, v92, v88
	s_delay_alu instid0(VALU_DEP_1) | instskip(NEXT) | instid1(VALU_DEP_1)
	v_fma_f32 v94, -v85, v93, v92
	v_fmac_f32_e32 v93, v94, v88
	s_delay_alu instid0(VALU_DEP_1) | instskip(NEXT) | instid1(VALU_DEP_1)
	v_fma_f32 v85, -v85, v93, v92
	v_div_fmas_f32 v85, v85, v88, v93
	s_delay_alu instid0(VALU_DEP_1) | instskip(NEXT) | instid1(VALU_DEP_1)
	v_div_fixup_f32 v84, v85, v84, 1.0
	v_mul_f32_e64 v85, v83, -v84
.LBB74_30:
	s_or_b32 exec_lo, exec_lo, s1
	v_mov_b32_e32 v88, v91
.LBB74_31:
	s_or_b32 exec_lo, exec_lo, s0
	s_delay_alu instid0(SALU_CYCLE_1)
	s_mov_b32 s0, exec_lo
	v_cmpx_ne_u32_e64 v90, v82
	s_xor_b32 s0, exec_lo, s0
	s_cbranch_execz .LBB74_37
; %bb.32:
	s_mov_b32 s1, exec_lo
	v_cmpx_eq_u32_e32 1, v90
	s_cbranch_execz .LBB74_36
; %bb.33:
	v_cmp_ne_u32_e32 vcc_lo, 1, v82
	s_xor_b32 s12, s16, -1
	s_delay_alu instid0(SALU_CYCLE_1) | instskip(NEXT) | instid1(SALU_CYCLE_1)
	s_and_b32 s13, s12, vcc_lo
	s_and_saveexec_b32 s12, s13
	s_cbranch_execz .LBB74_35
; %bb.34:
	v_ashrrev_i32_e32 v83, 31, v82
	s_delay_alu instid0(VALU_DEP_1)
	v_lshl_add_u64 v[90:91], v[82:83], 2, v[4:5]
	s_clause 0x1
	global_load_b32 v83, v[90:91], off
	global_load_b32 v89, v[4:5], off offset:4
	s_wait_loadcnt 0x1
	global_store_b32 v[4:5], v83, off offset:4
	s_wait_loadcnt 0x0
	global_store_b32 v[90:91], v89, off
.LBB74_35:
	s_wait_xcnt 0x0
	s_or_b32 exec_lo, exec_lo, s12
	v_dual_mov_b32 v90, v82 :: v_dual_mov_b32 v89, v82
.LBB74_36:
	s_or_b32 exec_lo, exec_lo, s1
.LBB74_37:
	s_and_not1_saveexec_b32 s0, s0
	s_cbranch_execz .LBB74_39
; %bb.38:
	v_dual_mov_b32 v82, v74 :: v_dual_mov_b32 v83, v75
	v_dual_mov_b32 v90, v72 :: v_dual_mov_b32 v91, v73
	;; [unrolled: 1-line block ×4, first 2 shown]
	ds_store_2addr_b64 v86, v[82:83], v[90:91] offset0:2 offset1:3
	ds_store_2addr_b64 v86, v[92:93], v[94:95] offset0:4 offset1:5
	v_dual_mov_b32 v82, v18 :: v_dual_mov_b32 v83, v19
	v_dual_mov_b32 v90, v14 :: v_dual_mov_b32 v91, v15
	;; [unrolled: 1-line block ×12, first 2 shown]
	ds_store_2addr_b64 v86, v[82:83], v[90:91] offset0:6 offset1:7
	ds_store_2addr_b64 v86, v[92:93], v[94:95] offset0:8 offset1:9
	;; [unrolled: 1-line block ×6, first 2 shown]
	v_dual_mov_b32 v82, v52 :: v_dual_mov_b32 v83, v53
	v_dual_mov_b32 v90, v48 :: v_dual_mov_b32 v91, v49
	;; [unrolled: 1-line block ×12, first 2 shown]
	ds_store_2addr_b64 v86, v[82:83], v[90:91] offset0:18 offset1:19
	ds_store_2addr_b64 v86, v[92:93], v[94:95] offset0:20 offset1:21
	;; [unrolled: 1-line block ×6, first 2 shown]
	v_dual_mov_b32 v82, v12 :: v_dual_mov_b32 v83, v13
	v_dual_mov_b32 v92, v8 :: v_dual_mov_b32 v93, v9
	;; [unrolled: 1-line block ×7, first 2 shown]
	v_mov_b32_e32 v103, v27
	ds_store_2addr_b64 v86, v[82:83], v[92:93] offset0:30 offset1:31
	ds_store_2addr_b64 v86, v[94:95], v[96:97] offset0:32 offset1:33
	;; [unrolled: 1-line block ×4, first 2 shown]
.LBB74_39:
	s_or_b32 exec_lo, exec_lo, s0
	s_delay_alu instid0(SALU_CYCLE_1)
	s_mov_b32 s0, exec_lo
	s_wait_storecnt_dscnt 0x0
	s_barrier_signal -1
	s_barrier_wait -1
	v_cmpx_lt_i32_e32 1, v90
	s_cbranch_execz .LBB74_41
; %bb.40:
	v_pk_mul_f32 v[92:93], v[84:85], v[76:77] op_sel:[1,1] op_sel_hi:[0,1]
	s_delay_alu instid0(VALU_DEP_1)
	v_pk_fma_f32 v[82:83], v[84:85], v[76:77], v[92:93] op_sel_hi:[1,0,1] neg_lo:[0,0,1] neg_hi:[0,0,1]
	v_pk_fma_f32 v[84:85], v[84:85], v[76:77], v[92:93] op_sel_hi:[1,0,1]
	ds_load_2addr_b64 v[92:95], v86 offset0:2 offset1:3
	v_dual_mov_b32 v76, v82 :: v_dual_mov_b32 v77, v85
	s_wait_dscnt 0x0
	v_pk_mul_f32 v[96:97], v[92:93], v[84:85] op_sel:[0,1]
	s_delay_alu instid0(VALU_DEP_1) | instskip(SKIP_1) | instid1(VALU_DEP_1)
	v_pk_fma_f32 v[98:99], v[92:93], v[82:83], v[96:97] op_sel:[0,0,1] op_sel_hi:[1,1,0] neg_lo:[0,0,1] neg_hi:[0,0,1]
	v_pk_fma_f32 v[92:93], v[92:93], v[82:83], v[96:97] op_sel:[0,0,1] op_sel_hi:[1,0,0]
	v_mov_b32_e32 v99, v93
	v_pk_mul_f32 v[92:93], v[94:95], v[84:85] op_sel:[0,1]
	s_delay_alu instid0(VALU_DEP_1) | instskip(SKIP_1) | instid1(VALU_DEP_1)
	v_pk_fma_f32 v[96:97], v[94:95], v[82:83], v[92:93] op_sel:[0,0,1] op_sel_hi:[1,1,0] neg_lo:[0,0,1] neg_hi:[0,0,1]
	v_pk_fma_f32 v[92:93], v[94:95], v[82:83], v[92:93] op_sel:[0,0,1] op_sel_hi:[1,0,0]
	v_mov_b32_e32 v97, v93
	ds_load_2addr_b64 v[92:95], v86 offset0:4 offset1:5
	v_pk_add_f32 v[74:75], v[74:75], v[98:99] neg_lo:[0,1] neg_hi:[0,1]
	v_pk_add_f32 v[72:73], v[72:73], v[96:97] neg_lo:[0,1] neg_hi:[0,1]
	s_wait_dscnt 0x0
	v_pk_mul_f32 v[96:97], v[92:93], v[84:85] op_sel:[0,1]
	s_delay_alu instid0(VALU_DEP_1) | instskip(SKIP_2) | instid1(VALU_DEP_2)
	v_pk_fma_f32 v[98:99], v[92:93], v[82:83], v[96:97] op_sel:[0,0,1] op_sel_hi:[1,1,0] neg_lo:[0,0,1] neg_hi:[0,0,1]
	v_pk_fma_f32 v[92:93], v[92:93], v[82:83], v[96:97] op_sel:[0,0,1] op_sel_hi:[1,0,0]
	v_dual_mul_f32 v96, v95, v85 :: v_dual_mov_b32 v92, v95
	v_dual_mov_b32 v99, v93 :: v_dual_mov_b32 v93, v94
	s_delay_alu instid0(VALU_DEP_2) | instskip(SKIP_1) | instid1(VALU_DEP_3)
	v_pk_fma_f32 v[96:97], v[94:95], v[76:77], v[96:97] op_sel_hi:[1,1,0] neg_lo:[0,0,1] neg_hi:[0,0,1]
	v_mul_f32_e32 v94, v95, v82
	v_pk_add_f32 v[60:61], v[60:61], v[98:99] neg_lo:[0,1] neg_hi:[0,1]
	s_delay_alu instid0(VALU_DEP_2) | instskip(NEXT) | instid1(VALU_DEP_1)
	v_pk_fma_f32 v[92:93], v[92:93], v[76:77], v[94:95] op_sel_hi:[1,1,0]
	v_mov_b32_e32 v97, v93
	ds_load_2addr_b64 v[92:95], v86 offset0:6 offset1:7
	v_pk_add_f32 v[16:17], v[16:17], v[96:97] neg_lo:[0,1] neg_hi:[0,1]
	s_wait_dscnt 0x0
	v_pk_mul_f32 v[96:97], v[92:93], v[84:85] op_sel:[0,1]
	s_delay_alu instid0(VALU_DEP_1) | instskip(SKIP_1) | instid1(VALU_DEP_1)
	v_pk_fma_f32 v[98:99], v[92:93], v[82:83], v[96:97] op_sel:[0,0,1] op_sel_hi:[1,1,0] neg_lo:[0,0,1] neg_hi:[0,0,1]
	v_pk_fma_f32 v[92:93], v[92:93], v[82:83], v[96:97] op_sel:[0,0,1] op_sel_hi:[1,0,0]
	v_mov_b32_e32 v99, v93
	v_pk_mul_f32 v[92:93], v[94:95], v[84:85] op_sel:[0,1]
	s_delay_alu instid0(VALU_DEP_1) | instskip(SKIP_1) | instid1(VALU_DEP_1)
	v_pk_fma_f32 v[96:97], v[94:95], v[82:83], v[92:93] op_sel:[0,0,1] op_sel_hi:[1,1,0] neg_lo:[0,0,1] neg_hi:[0,0,1]
	v_pk_fma_f32 v[92:93], v[94:95], v[82:83], v[92:93] op_sel:[0,0,1] op_sel_hi:[1,0,0]
	v_mov_b32_e32 v97, v93
	ds_load_2addr_b64 v[92:95], v86 offset0:8 offset1:9
	v_pk_add_f32 v[18:19], v[18:19], v[98:99] neg_lo:[0,1] neg_hi:[0,1]
	v_pk_add_f32 v[14:15], v[14:15], v[96:97] neg_lo:[0,1] neg_hi:[0,1]
	s_wait_dscnt 0x0
	v_pk_mul_f32 v[96:97], v[92:93], v[84:85] op_sel:[0,1]
	s_delay_alu instid0(VALU_DEP_1) | instskip(SKIP_1) | instid1(VALU_DEP_1)
	v_pk_fma_f32 v[98:99], v[92:93], v[82:83], v[96:97] op_sel:[0,0,1] op_sel_hi:[1,1,0] neg_lo:[0,0,1] neg_hi:[0,0,1]
	v_pk_fma_f32 v[92:93], v[92:93], v[82:83], v[96:97] op_sel:[0,0,1] op_sel_hi:[1,0,0]
	v_mov_b32_e32 v99, v93
	v_pk_mul_f32 v[92:93], v[94:95], v[84:85] op_sel:[0,1]
	s_delay_alu instid0(VALU_DEP_1) | instskip(SKIP_1) | instid1(VALU_DEP_1)
	v_pk_fma_f32 v[96:97], v[94:95], v[82:83], v[92:93] op_sel:[0,0,1] op_sel_hi:[1,1,0] neg_lo:[0,0,1] neg_hi:[0,0,1]
	v_pk_fma_f32 v[92:93], v[94:95], v[82:83], v[92:93] op_sel:[0,0,1] op_sel_hi:[1,0,0]
	v_mov_b32_e32 v97, v93
	ds_load_2addr_b64 v[92:95], v86 offset0:10 offset1:11
	v_pk_add_f32 v[62:63], v[62:63], v[98:99] neg_lo:[0,1] neg_hi:[0,1]
	v_pk_add_f32 v[22:23], v[22:23], v[96:97] neg_lo:[0,1] neg_hi:[0,1]
	s_wait_dscnt 0x0
	v_dual_mul_f32 v96, v93, v85 :: v_dual_mul_f32 v98, v93, v82
	s_delay_alu instid0(VALU_DEP_1) | instskip(NEXT) | instid1(VALU_DEP_2)
	v_pk_fma_f32 v[96:97], v[92:93], v[76:77], v[96:97] op_sel_hi:[1,1,0] neg_lo:[0,0,1] neg_hi:[0,0,1]
	v_pk_fma_f32 v[92:93], v[92:93], v[76:77], v[98:99] op_sel:[1,0,0] op_sel_hi:[0,1,0]
	s_delay_alu instid0(VALU_DEP_1) | instskip(SKIP_1) | instid1(VALU_DEP_2)
	v_mov_b32_e32 v97, v93
	v_pk_mul_f32 v[92:93], v[94:95], v[84:85] op_sel:[0,1]
	v_pk_add_f32 v[24:25], v[24:25], v[96:97] neg_lo:[0,1] neg_hi:[0,1]
	s_delay_alu instid0(VALU_DEP_2) | instskip(SKIP_1) | instid1(VALU_DEP_1)
	v_pk_fma_f32 v[96:97], v[94:95], v[82:83], v[92:93] op_sel:[0,0,1] op_sel_hi:[1,1,0] neg_lo:[0,0,1] neg_hi:[0,0,1]
	v_pk_fma_f32 v[92:93], v[94:95], v[82:83], v[92:93] op_sel:[0,0,1] op_sel_hi:[1,0,0]
	v_mov_b32_e32 v97, v93
	ds_load_2addr_b64 v[92:95], v86 offset0:12 offset1:13
	v_pk_add_f32 v[20:21], v[20:21], v[96:97] neg_lo:[0,1] neg_hi:[0,1]
	s_wait_dscnt 0x0
	v_pk_mul_f32 v[96:97], v[92:93], v[84:85] op_sel:[0,1]
	s_delay_alu instid0(VALU_DEP_1) | instskip(SKIP_1) | instid1(VALU_DEP_1)
	v_pk_fma_f32 v[98:99], v[92:93], v[82:83], v[96:97] op_sel:[0,0,1] op_sel_hi:[1,1,0] neg_lo:[0,0,1] neg_hi:[0,0,1]
	v_pk_fma_f32 v[92:93], v[92:93], v[82:83], v[96:97] op_sel:[0,0,1] op_sel_hi:[1,0,0]
	v_mov_b32_e32 v99, v93
	v_pk_mul_f32 v[92:93], v[94:95], v[84:85] op_sel:[0,1]
	s_delay_alu instid0(VALU_DEP_2) | instskip(NEXT) | instid1(VALU_DEP_2)
	v_pk_add_f32 v[64:65], v[64:65], v[98:99] neg_lo:[0,1] neg_hi:[0,1]
	v_pk_fma_f32 v[96:97], v[94:95], v[82:83], v[92:93] op_sel:[0,0,1] op_sel_hi:[1,1,0] neg_lo:[0,0,1] neg_hi:[0,0,1]
	v_pk_fma_f32 v[92:93], v[94:95], v[82:83], v[92:93] op_sel:[0,0,1] op_sel_hi:[1,0,0]
	s_delay_alu instid0(VALU_DEP_1) | instskip(SKIP_4) | instid1(VALU_DEP_1)
	v_mov_b32_e32 v97, v93
	ds_load_2addr_b64 v[92:95], v86 offset0:14 offset1:15
	v_pk_add_f32 v[30:31], v[30:31], v[96:97] neg_lo:[0,1] neg_hi:[0,1]
	s_wait_dscnt 0x0
	v_pk_mul_f32 v[96:97], v[92:93], v[84:85] op_sel:[0,1]
	v_pk_fma_f32 v[98:99], v[92:93], v[82:83], v[96:97] op_sel:[0,0,1] op_sel_hi:[1,1,0] neg_lo:[0,0,1] neg_hi:[0,0,1]
	v_pk_fma_f32 v[92:93], v[92:93], v[82:83], v[96:97] op_sel:[0,0,1] op_sel_hi:[1,0,0]
	v_dual_mul_f32 v96, v95, v85 :: v_dual_mov_b32 v92, v95
	s_delay_alu instid0(VALU_DEP_2) | instskip(NEXT) | instid1(VALU_DEP_2)
	v_dual_mov_b32 v99, v93 :: v_dual_mov_b32 v93, v94
	v_pk_fma_f32 v[96:97], v[94:95], v[76:77], v[96:97] op_sel_hi:[1,1,0] neg_lo:[0,0,1] neg_hi:[0,0,1]
	v_mul_f32_e32 v94, v95, v82
	s_delay_alu instid0(VALU_DEP_3) | instskip(NEXT) | instid1(VALU_DEP_2)
	v_pk_add_f32 v[32:33], v[32:33], v[98:99] neg_lo:[0,1] neg_hi:[0,1]
	v_pk_fma_f32 v[92:93], v[92:93], v[76:77], v[94:95] op_sel_hi:[1,1,0]
	s_delay_alu instid0(VALU_DEP_1) | instskip(SKIP_4) | instid1(VALU_DEP_1)
	v_mov_b32_e32 v97, v93
	ds_load_2addr_b64 v[92:95], v86 offset0:16 offset1:17
	v_pk_add_f32 v[28:29], v[28:29], v[96:97] neg_lo:[0,1] neg_hi:[0,1]
	s_wait_dscnt 0x0
	v_pk_mul_f32 v[96:97], v[92:93], v[84:85] op_sel:[0,1]
	v_pk_fma_f32 v[98:99], v[92:93], v[82:83], v[96:97] op_sel:[0,0,1] op_sel_hi:[1,1,0] neg_lo:[0,0,1] neg_hi:[0,0,1]
	v_pk_fma_f32 v[92:93], v[92:93], v[82:83], v[96:97] op_sel:[0,0,1] op_sel_hi:[1,0,0]
	s_delay_alu instid0(VALU_DEP_1) | instskip(SKIP_1) | instid1(VALU_DEP_1)
	v_mov_b32_e32 v99, v93
	v_pk_mul_f32 v[92:93], v[94:95], v[84:85] op_sel:[0,1]
	v_pk_fma_f32 v[96:97], v[94:95], v[82:83], v[92:93] op_sel:[0,0,1] op_sel_hi:[1,1,0] neg_lo:[0,0,1] neg_hi:[0,0,1]
	v_pk_fma_f32 v[92:93], v[94:95], v[82:83], v[92:93] op_sel:[0,0,1] op_sel_hi:[1,0,0]
	s_delay_alu instid0(VALU_DEP_1)
	v_mov_b32_e32 v97, v93
	ds_load_2addr_b64 v[92:95], v86 offset0:18 offset1:19
	v_pk_add_f32 v[70:71], v[70:71], v[98:99] neg_lo:[0,1] neg_hi:[0,1]
	v_pk_add_f32 v[50:51], v[50:51], v[96:97] neg_lo:[0,1] neg_hi:[0,1]
	s_wait_dscnt 0x0
	v_pk_mul_f32 v[96:97], v[92:93], v[84:85] op_sel:[0,1]
	s_delay_alu instid0(VALU_DEP_1) | instskip(SKIP_1) | instid1(VALU_DEP_1)
	v_pk_fma_f32 v[98:99], v[92:93], v[82:83], v[96:97] op_sel:[0,0,1] op_sel_hi:[1,1,0] neg_lo:[0,0,1] neg_hi:[0,0,1]
	v_pk_fma_f32 v[92:93], v[92:93], v[82:83], v[96:97] op_sel:[0,0,1] op_sel_hi:[1,0,0]
	v_mov_b32_e32 v99, v93
	v_pk_mul_f32 v[92:93], v[94:95], v[84:85] op_sel:[0,1]
	s_delay_alu instid0(VALU_DEP_1) | instskip(SKIP_1) | instid1(VALU_DEP_1)
	v_pk_fma_f32 v[96:97], v[94:95], v[82:83], v[92:93] op_sel:[0,0,1] op_sel_hi:[1,1,0] neg_lo:[0,0,1] neg_hi:[0,0,1]
	v_pk_fma_f32 v[92:93], v[94:95], v[82:83], v[92:93] op_sel:[0,0,1] op_sel_hi:[1,0,0]
	v_mov_b32_e32 v97, v93
	ds_load_2addr_b64 v[92:95], v86 offset0:20 offset1:21
	v_pk_add_f32 v[52:53], v[52:53], v[98:99] neg_lo:[0,1] neg_hi:[0,1]
	v_pk_add_f32 v[48:49], v[48:49], v[96:97] neg_lo:[0,1] neg_hi:[0,1]
	s_wait_dscnt 0x0
	v_dual_mul_f32 v96, v93, v85 :: v_dual_mul_f32 v98, v93, v82
	s_delay_alu instid0(VALU_DEP_1) | instskip(NEXT) | instid1(VALU_DEP_2)
	v_pk_fma_f32 v[96:97], v[92:93], v[76:77], v[96:97] op_sel_hi:[1,1,0] neg_lo:[0,0,1] neg_hi:[0,0,1]
	v_pk_fma_f32 v[92:93], v[92:93], v[76:77], v[98:99] op_sel:[1,0,0] op_sel_hi:[0,1,0]
	s_delay_alu instid0(VALU_DEP_1) | instskip(SKIP_1) | instid1(VALU_DEP_2)
	v_mov_b32_e32 v97, v93
	v_pk_mul_f32 v[92:93], v[94:95], v[84:85] op_sel:[0,1]
	v_pk_add_f32 v[68:69], v[68:69], v[96:97] neg_lo:[0,1] neg_hi:[0,1]
	s_delay_alu instid0(VALU_DEP_2) | instskip(SKIP_1) | instid1(VALU_DEP_1)
	v_pk_fma_f32 v[96:97], v[94:95], v[82:83], v[92:93] op_sel:[0,0,1] op_sel_hi:[1,1,0] neg_lo:[0,0,1] neg_hi:[0,0,1]
	v_pk_fma_f32 v[92:93], v[94:95], v[82:83], v[92:93] op_sel:[0,0,1] op_sel_hi:[1,0,0]
	v_mov_b32_e32 v97, v93
	ds_load_2addr_b64 v[92:95], v86 offset0:22 offset1:23
	v_pk_add_f32 v[42:43], v[42:43], v[96:97] neg_lo:[0,1] neg_hi:[0,1]
	s_wait_dscnt 0x0
	v_pk_mul_f32 v[96:97], v[92:93], v[84:85] op_sel:[0,1]
	s_delay_alu instid0(VALU_DEP_1) | instskip(SKIP_1) | instid1(VALU_DEP_1)
	v_pk_fma_f32 v[98:99], v[92:93], v[82:83], v[96:97] op_sel:[0,0,1] op_sel_hi:[1,1,0] neg_lo:[0,0,1] neg_hi:[0,0,1]
	v_pk_fma_f32 v[92:93], v[92:93], v[82:83], v[96:97] op_sel:[0,0,1] op_sel_hi:[1,0,0]
	v_mov_b32_e32 v99, v93
	v_pk_mul_f32 v[92:93], v[94:95], v[84:85] op_sel:[0,1]
	s_delay_alu instid0(VALU_DEP_2) | instskip(NEXT) | instid1(VALU_DEP_2)
	v_pk_add_f32 v[44:45], v[44:45], v[98:99] neg_lo:[0,1] neg_hi:[0,1]
	v_pk_fma_f32 v[96:97], v[94:95], v[82:83], v[92:93] op_sel:[0,0,1] op_sel_hi:[1,1,0] neg_lo:[0,0,1] neg_hi:[0,0,1]
	v_pk_fma_f32 v[92:93], v[94:95], v[82:83], v[92:93] op_sel:[0,0,1] op_sel_hi:[1,0,0]
	s_delay_alu instid0(VALU_DEP_1) | instskip(SKIP_4) | instid1(VALU_DEP_1)
	v_mov_b32_e32 v97, v93
	ds_load_2addr_b64 v[92:95], v86 offset0:24 offset1:25
	v_pk_add_f32 v[40:41], v[40:41], v[96:97] neg_lo:[0,1] neg_hi:[0,1]
	s_wait_dscnt 0x0
	v_pk_mul_f32 v[96:97], v[92:93], v[84:85] op_sel:[0,1]
	v_pk_fma_f32 v[98:99], v[92:93], v[82:83], v[96:97] op_sel:[0,0,1] op_sel_hi:[1,1,0] neg_lo:[0,0,1] neg_hi:[0,0,1]
	v_pk_fma_f32 v[92:93], v[92:93], v[82:83], v[96:97] op_sel:[0,0,1] op_sel_hi:[1,0,0]
	v_dual_mul_f32 v96, v95, v85 :: v_dual_mov_b32 v92, v95
	s_delay_alu instid0(VALU_DEP_2) | instskip(NEXT) | instid1(VALU_DEP_2)
	v_dual_mov_b32 v99, v93 :: v_dual_mov_b32 v93, v94
	v_pk_fma_f32 v[96:97], v[94:95], v[76:77], v[96:97] op_sel_hi:[1,1,0] neg_lo:[0,0,1] neg_hi:[0,0,1]
	v_mul_f32_e32 v94, v95, v82
	s_delay_alu instid0(VALU_DEP_3) | instskip(NEXT) | instid1(VALU_DEP_2)
	v_pk_add_f32 v[66:67], v[66:67], v[98:99] neg_lo:[0,1] neg_hi:[0,1]
	v_pk_fma_f32 v[92:93], v[92:93], v[76:77], v[94:95] op_sel_hi:[1,1,0]
	s_delay_alu instid0(VALU_DEP_1) | instskip(SKIP_4) | instid1(VALU_DEP_1)
	v_mov_b32_e32 v97, v93
	ds_load_2addr_b64 v[92:95], v86 offset0:26 offset1:27
	v_pk_add_f32 v[36:37], v[36:37], v[96:97] neg_lo:[0,1] neg_hi:[0,1]
	s_wait_dscnt 0x0
	v_pk_mul_f32 v[96:97], v[92:93], v[84:85] op_sel:[0,1]
	v_pk_fma_f32 v[98:99], v[92:93], v[82:83], v[96:97] op_sel:[0,0,1] op_sel_hi:[1,1,0] neg_lo:[0,0,1] neg_hi:[0,0,1]
	v_pk_fma_f32 v[92:93], v[92:93], v[82:83], v[96:97] op_sel:[0,0,1] op_sel_hi:[1,0,0]
	s_delay_alu instid0(VALU_DEP_1) | instskip(SKIP_1) | instid1(VALU_DEP_1)
	v_mov_b32_e32 v99, v93
	v_pk_mul_f32 v[92:93], v[94:95], v[84:85] op_sel:[0,1]
	v_pk_fma_f32 v[96:97], v[94:95], v[82:83], v[92:93] op_sel:[0,0,1] op_sel_hi:[1,1,0] neg_lo:[0,0,1] neg_hi:[0,0,1]
	v_pk_fma_f32 v[92:93], v[94:95], v[82:83], v[92:93] op_sel:[0,0,1] op_sel_hi:[1,0,0]
	s_delay_alu instid0(VALU_DEP_1)
	v_mov_b32_e32 v97, v93
	ds_load_2addr_b64 v[92:95], v86 offset0:28 offset1:29
	v_pk_add_f32 v[38:39], v[38:39], v[98:99] neg_lo:[0,1] neg_hi:[0,1]
	v_pk_add_f32 v[34:35], v[34:35], v[96:97] neg_lo:[0,1] neg_hi:[0,1]
	s_wait_dscnt 0x0
	v_pk_mul_f32 v[96:97], v[92:93], v[84:85] op_sel:[0,1]
	s_delay_alu instid0(VALU_DEP_1) | instskip(SKIP_1) | instid1(VALU_DEP_1)
	v_pk_fma_f32 v[98:99], v[92:93], v[82:83], v[96:97] op_sel:[0,0,1] op_sel_hi:[1,1,0] neg_lo:[0,0,1] neg_hi:[0,0,1]
	v_pk_fma_f32 v[92:93], v[92:93], v[82:83], v[96:97] op_sel:[0,0,1] op_sel_hi:[1,0,0]
	v_mov_b32_e32 v99, v93
	v_pk_mul_f32 v[92:93], v[94:95], v[84:85] op_sel:[0,1]
	s_delay_alu instid0(VALU_DEP_1) | instskip(SKIP_1) | instid1(VALU_DEP_1)
	v_pk_fma_f32 v[96:97], v[94:95], v[82:83], v[92:93] op_sel:[0,0,1] op_sel_hi:[1,1,0] neg_lo:[0,0,1] neg_hi:[0,0,1]
	v_pk_fma_f32 v[92:93], v[94:95], v[82:83], v[92:93] op_sel:[0,0,1] op_sel_hi:[1,0,0]
	v_mov_b32_e32 v97, v93
	ds_load_2addr_b64 v[92:95], v86 offset0:30 offset1:31
	v_pk_add_f32 v[58:59], v[58:59], v[98:99] neg_lo:[0,1] neg_hi:[0,1]
	v_pk_add_f32 v[10:11], v[10:11], v[96:97] neg_lo:[0,1] neg_hi:[0,1]
	s_wait_dscnt 0x0
	v_dual_mul_f32 v96, v93, v85 :: v_dual_mul_f32 v98, v93, v82
	s_delay_alu instid0(VALU_DEP_1) | instskip(NEXT) | instid1(VALU_DEP_2)
	v_pk_fma_f32 v[96:97], v[92:93], v[76:77], v[96:97] op_sel_hi:[1,1,0] neg_lo:[0,0,1] neg_hi:[0,0,1]
	v_pk_fma_f32 v[92:93], v[92:93], v[76:77], v[98:99] op_sel:[1,0,0] op_sel_hi:[0,1,0]
	s_delay_alu instid0(VALU_DEP_1) | instskip(SKIP_1) | instid1(VALU_DEP_2)
	v_mov_b32_e32 v97, v93
	v_pk_mul_f32 v[92:93], v[94:95], v[84:85] op_sel:[0,1]
	v_pk_add_f32 v[12:13], v[12:13], v[96:97] neg_lo:[0,1] neg_hi:[0,1]
	s_delay_alu instid0(VALU_DEP_2) | instskip(SKIP_1) | instid1(VALU_DEP_1)
	v_pk_fma_f32 v[96:97], v[94:95], v[82:83], v[92:93] op_sel:[0,0,1] op_sel_hi:[1,1,0] neg_lo:[0,0,1] neg_hi:[0,0,1]
	v_pk_fma_f32 v[92:93], v[94:95], v[82:83], v[92:93] op_sel:[0,0,1] op_sel_hi:[1,0,0]
	v_mov_b32_e32 v97, v93
	ds_load_2addr_b64 v[92:95], v86 offset0:32 offset1:33
	v_pk_add_f32 v[8:9], v[8:9], v[96:97] neg_lo:[0,1] neg_hi:[0,1]
	s_wait_dscnt 0x0
	v_pk_mul_f32 v[96:97], v[92:93], v[84:85] op_sel:[0,1]
	s_delay_alu instid0(VALU_DEP_1) | instskip(SKIP_1) | instid1(VALU_DEP_1)
	v_pk_fma_f32 v[98:99], v[92:93], v[82:83], v[96:97] op_sel:[0,0,1] op_sel_hi:[1,1,0] neg_lo:[0,0,1] neg_hi:[0,0,1]
	v_pk_fma_f32 v[92:93], v[92:93], v[82:83], v[96:97] op_sel:[0,0,1] op_sel_hi:[1,0,0]
	v_mov_b32_e32 v99, v93
	v_pk_mul_f32 v[92:93], v[94:95], v[84:85] op_sel:[0,1]
	s_delay_alu instid0(VALU_DEP_2) | instskip(NEXT) | instid1(VALU_DEP_2)
	v_pk_add_f32 v[56:57], v[56:57], v[98:99] neg_lo:[0,1] neg_hi:[0,1]
	v_pk_fma_f32 v[96:97], v[94:95], v[82:83], v[92:93] op_sel:[0,0,1] op_sel_hi:[1,1,0] neg_lo:[0,0,1] neg_hi:[0,0,1]
	v_pk_fma_f32 v[92:93], v[94:95], v[82:83], v[92:93] op_sel:[0,0,1] op_sel_hi:[1,0,0]
	s_delay_alu instid0(VALU_DEP_1) | instskip(SKIP_4) | instid1(VALU_DEP_1)
	v_mov_b32_e32 v97, v93
	ds_load_2addr_b64 v[92:95], v86 offset0:34 offset1:35
	v_pk_add_f32 v[6:7], v[6:7], v[96:97] neg_lo:[0,1] neg_hi:[0,1]
	s_wait_dscnt 0x0
	v_pk_mul_f32 v[96:97], v[92:93], v[84:85] op_sel:[0,1]
	v_pk_fma_f32 v[98:99], v[92:93], v[82:83], v[96:97] op_sel:[0,0,1] op_sel_hi:[1,1,0] neg_lo:[0,0,1] neg_hi:[0,0,1]
	v_pk_fma_f32 v[92:93], v[92:93], v[82:83], v[96:97] op_sel:[0,0,1] op_sel_hi:[1,0,0]
	v_dual_mul_f32 v96, v95, v85 :: v_dual_mov_b32 v92, v95
	s_delay_alu instid0(VALU_DEP_2) | instskip(NEXT) | instid1(VALU_DEP_2)
	v_dual_mov_b32 v99, v93 :: v_dual_mov_b32 v93, v94
	v_pk_fma_f32 v[96:97], v[94:95], v[76:77], v[96:97] op_sel_hi:[1,1,0] neg_lo:[0,0,1] neg_hi:[0,0,1]
	v_mul_f32_e32 v94, v95, v82
	s_delay_alu instid0(VALU_DEP_3) | instskip(NEXT) | instid1(VALU_DEP_2)
	v_pk_add_f32 v[54:55], v[54:55], v[98:99] neg_lo:[0,1] neg_hi:[0,1]
	v_pk_fma_f32 v[92:93], v[92:93], v[76:77], v[94:95] op_sel_hi:[1,1,0]
	s_delay_alu instid0(VALU_DEP_1)
	v_mov_b32_e32 v97, v93
	ds_load_2addr_b64 v[92:95], v86 offset0:36 offset1:37
	v_pk_add_f32 v[46:47], v[46:47], v[96:97] neg_lo:[0,1] neg_hi:[0,1]
	s_wait_dscnt 0x0
	v_pk_mul_f32 v[96:97], v[92:93], v[84:85] op_sel:[0,1]
	v_mul_f32_e32 v84, v95, v85
	s_delay_alu instid0(VALU_DEP_2) | instskip(SKIP_2) | instid1(VALU_DEP_4)
	v_pk_fma_f32 v[98:99], v[92:93], v[82:83], v[96:97] op_sel:[0,0,1] op_sel_hi:[1,1,0] neg_lo:[0,0,1] neg_hi:[0,0,1]
	v_pk_fma_f32 v[92:93], v[92:93], v[82:83], v[96:97] op_sel:[0,0,1] op_sel_hi:[1,0,0]
	v_dual_mov_b32 v92, v95 :: v_dual_mul_f32 v82, v95, v82
	v_pk_fma_f32 v[84:85], v[94:95], v[76:77], v[84:85] op_sel_hi:[1,1,0] neg_lo:[0,0,1] neg_hi:[0,0,1]
	s_delay_alu instid0(VALU_DEP_3) | instskip(NEXT) | instid1(VALU_DEP_1)
	v_dual_mov_b32 v99, v93 :: v_dual_mov_b32 v93, v94
	v_pk_add_f32 v[26:27], v[26:27], v[98:99] neg_lo:[0,1] neg_hi:[0,1]
	s_delay_alu instid0(VALU_DEP_2) | instskip(NEXT) | instid1(VALU_DEP_1)
	v_pk_fma_f32 v[82:83], v[92:93], v[76:77], v[82:83] op_sel_hi:[1,1,0]
	v_mov_b32_e32 v85, v83
	s_delay_alu instid0(VALU_DEP_1)
	v_pk_add_f32 v[80:81], v[80:81], v[84:85] neg_lo:[0,1] neg_hi:[0,1]
.LBB74_41:
	s_or_b32 exec_lo, exec_lo, s0
	v_lshl_add_u32 v82, v90, 3, v86
	s_barrier_signal -1
	s_barrier_wait -1
	ds_store_b64 v82, v[74:75]
	s_wait_dscnt 0x0
	s_barrier_signal -1
	s_barrier_wait -1
	ds_load_b64 v[84:85], v86 offset:16
	v_mov_b32_e32 v82, 2
	s_cmp_lt_i32 s18, 4
	s_mov_b32 s0, 3
	s_cbranch_scc1 .LBB74_44
; %bb.42:
	v_add3_u32 v83, v87, 0, 24
	v_mov_b32_e32 v82, 2
.LBB74_43:                              ; =>This Inner Loop Header: Depth=1
	ds_load_b64 v[92:93], v83
	s_wait_dscnt 0x1
	v_cmp_gt_f32_e32 vcc_lo, 0, v84
	v_cndmask_b32_e64 v94, v84, -v84, vcc_lo
	v_cmp_gt_f32_e32 vcc_lo, 0, v85
	v_cndmask_b32_e64 v96, v85, -v85, vcc_lo
	s_wait_dscnt 0x0
	v_cmp_gt_f32_e32 vcc_lo, 0, v92
	v_cndmask_b32_e64 v95, v92, -v92, vcc_lo
	v_cmp_gt_f32_e32 vcc_lo, 0, v93
	v_cndmask_b32_e64 v97, v93, -v93, vcc_lo
	s_delay_alu instid0(VALU_DEP_1) | instskip(NEXT) | instid1(VALU_DEP_1)
	v_pk_add_f32 v[94:95], v[94:95], v[96:97]
	v_cmp_lt_f32_e32 vcc_lo, v94, v95
	v_dual_add_nc_u32 v83, 8, v83 :: v_dual_cndmask_b32 v85, v85, v93, vcc_lo
	v_cndmask_b32_e32 v84, v84, v92, vcc_lo
	v_cndmask_b32_e64 v82, v82, s0, vcc_lo
	s_add_co_i32 s0, s0, 1
	s_delay_alu instid0(SALU_CYCLE_1)
	s_cmp_lg_u32 s18, s0
	s_cbranch_scc1 .LBB74_43
.LBB74_44:
	s_wait_dscnt 0x0
	v_cmp_eq_f32_e32 vcc_lo, 0, v84
	v_cmp_eq_f32_e64 s0, 0, v85
	s_and_b32 s0, vcc_lo, s0
	s_delay_alu instid0(SALU_CYCLE_1) | instskip(NEXT) | instid1(SALU_CYCLE_1)
	s_and_saveexec_b32 s1, s0
	s_xor_b32 s0, exec_lo, s1
; %bb.45:
	v_cmp_ne_u32_e32 vcc_lo, 0, v88
	v_cndmask_b32_e32 v88, 3, v88, vcc_lo
; %bb.46:
	s_and_not1_saveexec_b32 s0, s0
	s_cbranch_execz .LBB74_52
; %bb.47:
	v_cmp_ngt_f32_e64 s1, |v84|, |v85|
	s_and_saveexec_b32 s12, s1
	s_delay_alu instid0(SALU_CYCLE_1)
	s_xor_b32 s1, exec_lo, s12
	s_cbranch_execz .LBB74_49
; %bb.48:
	v_div_scale_f32 v83, null, v85, v85, v84
	v_div_scale_f32 v93, vcc_lo, v84, v85, v84
	s_delay_alu instid0(VALU_DEP_2) | instskip(SKIP_1) | instid1(TRANS32_DEP_1)
	v_rcp_f32_e32 v91, v83
	v_nop
	v_fma_f32 v92, -v83, v91, 1.0
	s_delay_alu instid0(VALU_DEP_1) | instskip(NEXT) | instid1(VALU_DEP_1)
	v_fmac_f32_e32 v91, v92, v91
	v_mul_f32_e32 v92, v93, v91
	s_delay_alu instid0(VALU_DEP_1) | instskip(NEXT) | instid1(VALU_DEP_1)
	v_fma_f32 v94, -v83, v92, v93
	v_fmac_f32_e32 v92, v94, v91
	s_delay_alu instid0(VALU_DEP_1) | instskip(NEXT) | instid1(VALU_DEP_1)
	v_fma_f32 v83, -v83, v92, v93
	v_div_fmas_f32 v83, v83, v91, v92
	s_delay_alu instid0(VALU_DEP_1) | instskip(NEXT) | instid1(VALU_DEP_1)
	v_div_fixup_f32 v83, v83, v85, v84
	v_fmac_f32_e32 v85, v84, v83
	s_delay_alu instid0(VALU_DEP_1) | instskip(SKIP_1) | instid1(VALU_DEP_2)
	v_div_scale_f32 v84, null, v85, v85, 1.0
	v_div_scale_f32 v93, vcc_lo, 1.0, v85, 1.0
	v_rcp_f32_e32 v91, v84
	v_nop
	s_delay_alu instid0(TRANS32_DEP_1) | instskip(NEXT) | instid1(VALU_DEP_1)
	v_fma_f32 v92, -v84, v91, 1.0
	v_fmac_f32_e32 v91, v92, v91
	s_delay_alu instid0(VALU_DEP_1) | instskip(NEXT) | instid1(VALU_DEP_1)
	v_mul_f32_e32 v92, v93, v91
	v_fma_f32 v94, -v84, v92, v93
	s_delay_alu instid0(VALU_DEP_1) | instskip(NEXT) | instid1(VALU_DEP_1)
	v_fmac_f32_e32 v92, v94, v91
	v_fma_f32 v84, -v84, v92, v93
	s_delay_alu instid0(VALU_DEP_1) | instskip(NEXT) | instid1(VALU_DEP_1)
	v_div_fmas_f32 v84, v84, v91, v92
	v_div_fixup_f32 v85, v84, v85, 1.0
	s_delay_alu instid0(VALU_DEP_1)
	v_mul_f32_e32 v84, v83, v85
	v_xor_b32_e32 v85, 0x80000000, v85
.LBB74_49:
	s_and_not1_saveexec_b32 s1, s1
	s_cbranch_execz .LBB74_51
; %bb.50:
	s_delay_alu instid0(VALU_DEP_1) | instskip(SKIP_1) | instid1(VALU_DEP_2)
	v_div_scale_f32 v83, null, v84, v84, v85
	v_div_scale_f32 v93, vcc_lo, v85, v84, v85
	v_rcp_f32_e32 v91, v83
	v_nop
	s_delay_alu instid0(TRANS32_DEP_1) | instskip(NEXT) | instid1(VALU_DEP_1)
	v_fma_f32 v92, -v83, v91, 1.0
	v_fmac_f32_e32 v91, v92, v91
	s_delay_alu instid0(VALU_DEP_1) | instskip(NEXT) | instid1(VALU_DEP_1)
	v_mul_f32_e32 v92, v93, v91
	v_fma_f32 v94, -v83, v92, v93
	s_delay_alu instid0(VALU_DEP_1) | instskip(NEXT) | instid1(VALU_DEP_1)
	v_fmac_f32_e32 v92, v94, v91
	v_fma_f32 v83, -v83, v92, v93
	s_delay_alu instid0(VALU_DEP_1) | instskip(NEXT) | instid1(VALU_DEP_1)
	v_div_fmas_f32 v83, v83, v91, v92
	v_div_fixup_f32 v83, v83, v84, v85
	s_delay_alu instid0(VALU_DEP_1) | instskip(NEXT) | instid1(VALU_DEP_1)
	v_fmac_f32_e32 v84, v85, v83
	v_div_scale_f32 v85, null, v84, v84, 1.0
	s_delay_alu instid0(VALU_DEP_1) | instskip(SKIP_1) | instid1(TRANS32_DEP_1)
	v_rcp_f32_e32 v91, v85
	v_nop
	v_fma_f32 v92, -v85, v91, 1.0
	s_delay_alu instid0(VALU_DEP_1) | instskip(SKIP_1) | instid1(VALU_DEP_1)
	v_fmac_f32_e32 v91, v92, v91
	v_div_scale_f32 v92, vcc_lo, 1.0, v84, 1.0
	v_mul_f32_e32 v93, v92, v91
	s_delay_alu instid0(VALU_DEP_1) | instskip(NEXT) | instid1(VALU_DEP_1)
	v_fma_f32 v94, -v85, v93, v92
	v_fmac_f32_e32 v93, v94, v91
	s_delay_alu instid0(VALU_DEP_1) | instskip(NEXT) | instid1(VALU_DEP_1)
	v_fma_f32 v85, -v85, v93, v92
	v_div_fmas_f32 v85, v85, v91, v93
	s_delay_alu instid0(VALU_DEP_1) | instskip(NEXT) | instid1(VALU_DEP_1)
	v_div_fixup_f32 v84, v85, v84, 1.0
	v_mul_f32_e64 v85, v83, -v84
.LBB74_51:
	s_or_b32 exec_lo, exec_lo, s1
.LBB74_52:
	s_delay_alu instid0(SALU_CYCLE_1) | instskip(NEXT) | instid1(SALU_CYCLE_1)
	s_or_b32 exec_lo, exec_lo, s0
	s_mov_b32 s0, exec_lo
	v_cmpx_ne_u32_e64 v90, v82
	s_xor_b32 s0, exec_lo, s0
	s_cbranch_execz .LBB74_58
; %bb.53:
	s_mov_b32 s1, exec_lo
	v_cmpx_eq_u32_e32 2, v90
	s_cbranch_execz .LBB74_57
; %bb.54:
	v_cmp_ne_u32_e32 vcc_lo, 2, v82
	s_xor_b32 s12, s16, -1
	s_delay_alu instid0(SALU_CYCLE_1) | instskip(NEXT) | instid1(SALU_CYCLE_1)
	s_and_b32 s13, s12, vcc_lo
	s_and_saveexec_b32 s12, s13
	s_cbranch_execz .LBB74_56
; %bb.55:
	v_ashrrev_i32_e32 v83, 31, v82
	s_delay_alu instid0(VALU_DEP_1)
	v_lshl_add_u64 v[90:91], v[82:83], 2, v[4:5]
	s_clause 0x1
	global_load_b32 v83, v[90:91], off
	global_load_b32 v89, v[4:5], off offset:8
	s_wait_loadcnt 0x1
	global_store_b32 v[4:5], v83, off offset:8
	s_wait_loadcnt 0x0
	global_store_b32 v[90:91], v89, off
.LBB74_56:
	s_wait_xcnt 0x0
	s_or_b32 exec_lo, exec_lo, s12
	v_dual_mov_b32 v90, v82 :: v_dual_mov_b32 v89, v82
.LBB74_57:
	s_or_b32 exec_lo, exec_lo, s1
.LBB74_58:
	s_and_not1_saveexec_b32 s0, s0
	s_cbranch_execz .LBB74_60
; %bb.59:
	v_mov_b32_e32 v90, 2
	ds_store_2addr_b64 v86, v[72:73], v[60:61] offset0:3 offset1:4
	ds_store_2addr_b64 v86, v[16:17], v[18:19] offset0:5 offset1:6
	;; [unrolled: 1-line block ×17, first 2 shown]
	ds_store_b64 v86, v[80:81] offset:296
.LBB74_60:
	s_or_b32 exec_lo, exec_lo, s0
	s_delay_alu instid0(SALU_CYCLE_1)
	s_mov_b32 s0, exec_lo
	s_wait_storecnt_dscnt 0x0
	s_barrier_signal -1
	s_barrier_wait -1
	v_cmpx_lt_i32_e32 2, v90
	s_cbranch_execz .LBB74_62
; %bb.61:
	v_pk_mul_f32 v[92:93], v[84:85], v[74:75] op_sel:[1,1] op_sel_hi:[0,1]
	s_delay_alu instid0(VALU_DEP_1)
	v_pk_fma_f32 v[82:83], v[84:85], v[74:75], v[92:93] op_sel_hi:[1,0,1] neg_lo:[0,0,1] neg_hi:[0,0,1]
	v_pk_fma_f32 v[84:85], v[84:85], v[74:75], v[92:93] op_sel_hi:[1,0,1]
	ds_load_2addr_b64 v[92:95], v86 offset0:3 offset1:4
	v_dual_mov_b32 v74, v82 :: v_dual_mov_b32 v75, v85
	s_wait_dscnt 0x0
	v_pk_mul_f32 v[96:97], v[92:93], v[84:85] op_sel:[0,1]
	s_delay_alu instid0(VALU_DEP_1) | instskip(SKIP_1) | instid1(VALU_DEP_1)
	v_pk_fma_f32 v[98:99], v[92:93], v[82:83], v[96:97] op_sel:[0,0,1] op_sel_hi:[1,1,0] neg_lo:[0,0,1] neg_hi:[0,0,1]
	v_pk_fma_f32 v[92:93], v[92:93], v[82:83], v[96:97] op_sel:[0,0,1] op_sel_hi:[1,0,0]
	v_mov_b32_e32 v99, v93
	v_pk_mul_f32 v[92:93], v[94:95], v[84:85] op_sel:[0,1]
	s_delay_alu instid0(VALU_DEP_1) | instskip(SKIP_1) | instid1(VALU_DEP_1)
	v_pk_fma_f32 v[96:97], v[94:95], v[82:83], v[92:93] op_sel:[0,0,1] op_sel_hi:[1,1,0] neg_lo:[0,0,1] neg_hi:[0,0,1]
	v_pk_fma_f32 v[92:93], v[94:95], v[82:83], v[92:93] op_sel:[0,0,1] op_sel_hi:[1,0,0]
	v_mov_b32_e32 v97, v93
	ds_load_2addr_b64 v[92:95], v86 offset0:5 offset1:6
	v_pk_add_f32 v[72:73], v[72:73], v[98:99] neg_lo:[0,1] neg_hi:[0,1]
	v_pk_add_f32 v[60:61], v[60:61], v[96:97] neg_lo:[0,1] neg_hi:[0,1]
	s_wait_dscnt 0x0
	v_pk_mul_f32 v[96:97], v[92:93], v[84:85] op_sel:[0,1]
	s_delay_alu instid0(VALU_DEP_1) | instskip(SKIP_2) | instid1(VALU_DEP_2)
	v_pk_fma_f32 v[98:99], v[92:93], v[82:83], v[96:97] op_sel:[0,0,1] op_sel_hi:[1,1,0] neg_lo:[0,0,1] neg_hi:[0,0,1]
	v_pk_fma_f32 v[92:93], v[92:93], v[82:83], v[96:97] op_sel:[0,0,1] op_sel_hi:[1,0,0]
	v_dual_mul_f32 v96, v95, v85 :: v_dual_mov_b32 v92, v95
	v_dual_mov_b32 v99, v93 :: v_dual_mov_b32 v93, v94
	s_delay_alu instid0(VALU_DEP_2) | instskip(SKIP_1) | instid1(VALU_DEP_3)
	v_pk_fma_f32 v[96:97], v[94:95], v[74:75], v[96:97] op_sel_hi:[1,1,0] neg_lo:[0,0,1] neg_hi:[0,0,1]
	v_mul_f32_e32 v94, v95, v82
	v_pk_add_f32 v[16:17], v[16:17], v[98:99] neg_lo:[0,1] neg_hi:[0,1]
	s_delay_alu instid0(VALU_DEP_2) | instskip(NEXT) | instid1(VALU_DEP_1)
	v_pk_fma_f32 v[92:93], v[92:93], v[74:75], v[94:95] op_sel_hi:[1,1,0]
	v_mov_b32_e32 v97, v93
	ds_load_2addr_b64 v[92:95], v86 offset0:7 offset1:8
	v_pk_add_f32 v[18:19], v[18:19], v[96:97] neg_lo:[0,1] neg_hi:[0,1]
	s_wait_dscnt 0x0
	v_pk_mul_f32 v[96:97], v[92:93], v[84:85] op_sel:[0,1]
	s_delay_alu instid0(VALU_DEP_1) | instskip(SKIP_1) | instid1(VALU_DEP_1)
	v_pk_fma_f32 v[98:99], v[92:93], v[82:83], v[96:97] op_sel:[0,0,1] op_sel_hi:[1,1,0] neg_lo:[0,0,1] neg_hi:[0,0,1]
	v_pk_fma_f32 v[92:93], v[92:93], v[82:83], v[96:97] op_sel:[0,0,1] op_sel_hi:[1,0,0]
	v_mov_b32_e32 v99, v93
	v_pk_mul_f32 v[92:93], v[94:95], v[84:85] op_sel:[0,1]
	s_delay_alu instid0(VALU_DEP_1) | instskip(SKIP_1) | instid1(VALU_DEP_1)
	v_pk_fma_f32 v[96:97], v[94:95], v[82:83], v[92:93] op_sel:[0,0,1] op_sel_hi:[1,1,0] neg_lo:[0,0,1] neg_hi:[0,0,1]
	v_pk_fma_f32 v[92:93], v[94:95], v[82:83], v[92:93] op_sel:[0,0,1] op_sel_hi:[1,0,0]
	v_mov_b32_e32 v97, v93
	ds_load_2addr_b64 v[92:95], v86 offset0:9 offset1:10
	v_pk_add_f32 v[14:15], v[14:15], v[98:99] neg_lo:[0,1] neg_hi:[0,1]
	v_pk_add_f32 v[62:63], v[62:63], v[96:97] neg_lo:[0,1] neg_hi:[0,1]
	s_wait_dscnt 0x0
	v_pk_mul_f32 v[96:97], v[92:93], v[84:85] op_sel:[0,1]
	s_delay_alu instid0(VALU_DEP_1) | instskip(SKIP_1) | instid1(VALU_DEP_1)
	v_pk_fma_f32 v[98:99], v[92:93], v[82:83], v[96:97] op_sel:[0,0,1] op_sel_hi:[1,1,0] neg_lo:[0,0,1] neg_hi:[0,0,1]
	v_pk_fma_f32 v[92:93], v[92:93], v[82:83], v[96:97] op_sel:[0,0,1] op_sel_hi:[1,0,0]
	v_mov_b32_e32 v99, v93
	v_pk_mul_f32 v[92:93], v[94:95], v[84:85] op_sel:[0,1]
	s_delay_alu instid0(VALU_DEP_1) | instskip(SKIP_1) | instid1(VALU_DEP_1)
	v_pk_fma_f32 v[96:97], v[94:95], v[82:83], v[92:93] op_sel:[0,0,1] op_sel_hi:[1,1,0] neg_lo:[0,0,1] neg_hi:[0,0,1]
	v_pk_fma_f32 v[92:93], v[94:95], v[82:83], v[92:93] op_sel:[0,0,1] op_sel_hi:[1,0,0]
	v_mov_b32_e32 v97, v93
	ds_load_2addr_b64 v[92:95], v86 offset0:11 offset1:12
	v_pk_add_f32 v[22:23], v[22:23], v[98:99] neg_lo:[0,1] neg_hi:[0,1]
	v_pk_add_f32 v[24:25], v[24:25], v[96:97] neg_lo:[0,1] neg_hi:[0,1]
	s_wait_dscnt 0x0
	v_dual_mul_f32 v96, v93, v85 :: v_dual_mul_f32 v98, v93, v82
	s_delay_alu instid0(VALU_DEP_1) | instskip(NEXT) | instid1(VALU_DEP_2)
	v_pk_fma_f32 v[96:97], v[92:93], v[74:75], v[96:97] op_sel_hi:[1,1,0] neg_lo:[0,0,1] neg_hi:[0,0,1]
	v_pk_fma_f32 v[92:93], v[92:93], v[74:75], v[98:99] op_sel:[1,0,0] op_sel_hi:[0,1,0]
	s_delay_alu instid0(VALU_DEP_1) | instskip(SKIP_1) | instid1(VALU_DEP_2)
	v_mov_b32_e32 v97, v93
	v_pk_mul_f32 v[92:93], v[94:95], v[84:85] op_sel:[0,1]
	v_pk_add_f32 v[20:21], v[20:21], v[96:97] neg_lo:[0,1] neg_hi:[0,1]
	s_delay_alu instid0(VALU_DEP_2) | instskip(SKIP_1) | instid1(VALU_DEP_1)
	v_pk_fma_f32 v[96:97], v[94:95], v[82:83], v[92:93] op_sel:[0,0,1] op_sel_hi:[1,1,0] neg_lo:[0,0,1] neg_hi:[0,0,1]
	v_pk_fma_f32 v[92:93], v[94:95], v[82:83], v[92:93] op_sel:[0,0,1] op_sel_hi:[1,0,0]
	v_mov_b32_e32 v97, v93
	ds_load_2addr_b64 v[92:95], v86 offset0:13 offset1:14
	v_pk_add_f32 v[64:65], v[64:65], v[96:97] neg_lo:[0,1] neg_hi:[0,1]
	s_wait_dscnt 0x0
	v_pk_mul_f32 v[96:97], v[92:93], v[84:85] op_sel:[0,1]
	s_delay_alu instid0(VALU_DEP_1) | instskip(SKIP_1) | instid1(VALU_DEP_1)
	v_pk_fma_f32 v[98:99], v[92:93], v[82:83], v[96:97] op_sel:[0,0,1] op_sel_hi:[1,1,0] neg_lo:[0,0,1] neg_hi:[0,0,1]
	v_pk_fma_f32 v[92:93], v[92:93], v[82:83], v[96:97] op_sel:[0,0,1] op_sel_hi:[1,0,0]
	v_mov_b32_e32 v99, v93
	v_pk_mul_f32 v[92:93], v[94:95], v[84:85] op_sel:[0,1]
	s_delay_alu instid0(VALU_DEP_2) | instskip(NEXT) | instid1(VALU_DEP_2)
	v_pk_add_f32 v[30:31], v[30:31], v[98:99] neg_lo:[0,1] neg_hi:[0,1]
	v_pk_fma_f32 v[96:97], v[94:95], v[82:83], v[92:93] op_sel:[0,0,1] op_sel_hi:[1,1,0] neg_lo:[0,0,1] neg_hi:[0,0,1]
	v_pk_fma_f32 v[92:93], v[94:95], v[82:83], v[92:93] op_sel:[0,0,1] op_sel_hi:[1,0,0]
	s_delay_alu instid0(VALU_DEP_1) | instskip(SKIP_4) | instid1(VALU_DEP_1)
	v_mov_b32_e32 v97, v93
	ds_load_2addr_b64 v[92:95], v86 offset0:15 offset1:16
	v_pk_add_f32 v[32:33], v[32:33], v[96:97] neg_lo:[0,1] neg_hi:[0,1]
	s_wait_dscnt 0x0
	v_pk_mul_f32 v[96:97], v[92:93], v[84:85] op_sel:[0,1]
	v_pk_fma_f32 v[98:99], v[92:93], v[82:83], v[96:97] op_sel:[0,0,1] op_sel_hi:[1,1,0] neg_lo:[0,0,1] neg_hi:[0,0,1]
	v_pk_fma_f32 v[92:93], v[92:93], v[82:83], v[96:97] op_sel:[0,0,1] op_sel_hi:[1,0,0]
	v_dual_mul_f32 v96, v95, v85 :: v_dual_mov_b32 v92, v95
	s_delay_alu instid0(VALU_DEP_2) | instskip(NEXT) | instid1(VALU_DEP_2)
	v_dual_mov_b32 v99, v93 :: v_dual_mov_b32 v93, v94
	v_pk_fma_f32 v[96:97], v[94:95], v[74:75], v[96:97] op_sel_hi:[1,1,0] neg_lo:[0,0,1] neg_hi:[0,0,1]
	v_mul_f32_e32 v94, v95, v82
	s_delay_alu instid0(VALU_DEP_3) | instskip(NEXT) | instid1(VALU_DEP_2)
	v_pk_add_f32 v[28:29], v[28:29], v[98:99] neg_lo:[0,1] neg_hi:[0,1]
	v_pk_fma_f32 v[92:93], v[92:93], v[74:75], v[94:95] op_sel_hi:[1,1,0]
	s_delay_alu instid0(VALU_DEP_1) | instskip(SKIP_4) | instid1(VALU_DEP_1)
	v_mov_b32_e32 v97, v93
	ds_load_2addr_b64 v[92:95], v86 offset0:17 offset1:18
	v_pk_add_f32 v[70:71], v[70:71], v[96:97] neg_lo:[0,1] neg_hi:[0,1]
	s_wait_dscnt 0x0
	v_pk_mul_f32 v[96:97], v[92:93], v[84:85] op_sel:[0,1]
	v_pk_fma_f32 v[98:99], v[92:93], v[82:83], v[96:97] op_sel:[0,0,1] op_sel_hi:[1,1,0] neg_lo:[0,0,1] neg_hi:[0,0,1]
	v_pk_fma_f32 v[92:93], v[92:93], v[82:83], v[96:97] op_sel:[0,0,1] op_sel_hi:[1,0,0]
	s_delay_alu instid0(VALU_DEP_1) | instskip(SKIP_1) | instid1(VALU_DEP_1)
	v_mov_b32_e32 v99, v93
	v_pk_mul_f32 v[92:93], v[94:95], v[84:85] op_sel:[0,1]
	v_pk_fma_f32 v[96:97], v[94:95], v[82:83], v[92:93] op_sel:[0,0,1] op_sel_hi:[1,1,0] neg_lo:[0,0,1] neg_hi:[0,0,1]
	v_pk_fma_f32 v[92:93], v[94:95], v[82:83], v[92:93] op_sel:[0,0,1] op_sel_hi:[1,0,0]
	s_delay_alu instid0(VALU_DEP_1)
	v_mov_b32_e32 v97, v93
	ds_load_2addr_b64 v[92:95], v86 offset0:19 offset1:20
	v_pk_add_f32 v[50:51], v[50:51], v[98:99] neg_lo:[0,1] neg_hi:[0,1]
	v_pk_add_f32 v[52:53], v[52:53], v[96:97] neg_lo:[0,1] neg_hi:[0,1]
	s_wait_dscnt 0x0
	v_pk_mul_f32 v[96:97], v[92:93], v[84:85] op_sel:[0,1]
	s_delay_alu instid0(VALU_DEP_1) | instskip(SKIP_1) | instid1(VALU_DEP_1)
	v_pk_fma_f32 v[98:99], v[92:93], v[82:83], v[96:97] op_sel:[0,0,1] op_sel_hi:[1,1,0] neg_lo:[0,0,1] neg_hi:[0,0,1]
	v_pk_fma_f32 v[92:93], v[92:93], v[82:83], v[96:97] op_sel:[0,0,1] op_sel_hi:[1,0,0]
	v_mov_b32_e32 v99, v93
	v_pk_mul_f32 v[92:93], v[94:95], v[84:85] op_sel:[0,1]
	s_delay_alu instid0(VALU_DEP_1) | instskip(SKIP_1) | instid1(VALU_DEP_1)
	v_pk_fma_f32 v[96:97], v[94:95], v[82:83], v[92:93] op_sel:[0,0,1] op_sel_hi:[1,1,0] neg_lo:[0,0,1] neg_hi:[0,0,1]
	v_pk_fma_f32 v[92:93], v[94:95], v[82:83], v[92:93] op_sel:[0,0,1] op_sel_hi:[1,0,0]
	v_mov_b32_e32 v97, v93
	ds_load_2addr_b64 v[92:95], v86 offset0:21 offset1:22
	v_pk_add_f32 v[48:49], v[48:49], v[98:99] neg_lo:[0,1] neg_hi:[0,1]
	v_pk_add_f32 v[68:69], v[68:69], v[96:97] neg_lo:[0,1] neg_hi:[0,1]
	s_wait_dscnt 0x0
	v_dual_mul_f32 v96, v93, v85 :: v_dual_mul_f32 v98, v93, v82
	s_delay_alu instid0(VALU_DEP_1) | instskip(NEXT) | instid1(VALU_DEP_2)
	v_pk_fma_f32 v[96:97], v[92:93], v[74:75], v[96:97] op_sel_hi:[1,1,0] neg_lo:[0,0,1] neg_hi:[0,0,1]
	v_pk_fma_f32 v[92:93], v[92:93], v[74:75], v[98:99] op_sel:[1,0,0] op_sel_hi:[0,1,0]
	s_delay_alu instid0(VALU_DEP_1) | instskip(SKIP_1) | instid1(VALU_DEP_2)
	v_mov_b32_e32 v97, v93
	v_pk_mul_f32 v[92:93], v[94:95], v[84:85] op_sel:[0,1]
	v_pk_add_f32 v[42:43], v[42:43], v[96:97] neg_lo:[0,1] neg_hi:[0,1]
	s_delay_alu instid0(VALU_DEP_2) | instskip(SKIP_1) | instid1(VALU_DEP_1)
	v_pk_fma_f32 v[96:97], v[94:95], v[82:83], v[92:93] op_sel:[0,0,1] op_sel_hi:[1,1,0] neg_lo:[0,0,1] neg_hi:[0,0,1]
	v_pk_fma_f32 v[92:93], v[94:95], v[82:83], v[92:93] op_sel:[0,0,1] op_sel_hi:[1,0,0]
	v_mov_b32_e32 v97, v93
	ds_load_2addr_b64 v[92:95], v86 offset0:23 offset1:24
	v_pk_add_f32 v[44:45], v[44:45], v[96:97] neg_lo:[0,1] neg_hi:[0,1]
	s_wait_dscnt 0x0
	v_pk_mul_f32 v[96:97], v[92:93], v[84:85] op_sel:[0,1]
	s_delay_alu instid0(VALU_DEP_1) | instskip(SKIP_1) | instid1(VALU_DEP_1)
	v_pk_fma_f32 v[98:99], v[92:93], v[82:83], v[96:97] op_sel:[0,0,1] op_sel_hi:[1,1,0] neg_lo:[0,0,1] neg_hi:[0,0,1]
	v_pk_fma_f32 v[92:93], v[92:93], v[82:83], v[96:97] op_sel:[0,0,1] op_sel_hi:[1,0,0]
	v_mov_b32_e32 v99, v93
	v_pk_mul_f32 v[92:93], v[94:95], v[84:85] op_sel:[0,1]
	s_delay_alu instid0(VALU_DEP_2) | instskip(NEXT) | instid1(VALU_DEP_2)
	v_pk_add_f32 v[40:41], v[40:41], v[98:99] neg_lo:[0,1] neg_hi:[0,1]
	v_pk_fma_f32 v[96:97], v[94:95], v[82:83], v[92:93] op_sel:[0,0,1] op_sel_hi:[1,1,0] neg_lo:[0,0,1] neg_hi:[0,0,1]
	v_pk_fma_f32 v[92:93], v[94:95], v[82:83], v[92:93] op_sel:[0,0,1] op_sel_hi:[1,0,0]
	s_delay_alu instid0(VALU_DEP_1) | instskip(SKIP_4) | instid1(VALU_DEP_1)
	v_mov_b32_e32 v97, v93
	ds_load_2addr_b64 v[92:95], v86 offset0:25 offset1:26
	v_pk_add_f32 v[66:67], v[66:67], v[96:97] neg_lo:[0,1] neg_hi:[0,1]
	s_wait_dscnt 0x0
	v_pk_mul_f32 v[96:97], v[92:93], v[84:85] op_sel:[0,1]
	v_pk_fma_f32 v[98:99], v[92:93], v[82:83], v[96:97] op_sel:[0,0,1] op_sel_hi:[1,1,0] neg_lo:[0,0,1] neg_hi:[0,0,1]
	v_pk_fma_f32 v[92:93], v[92:93], v[82:83], v[96:97] op_sel:[0,0,1] op_sel_hi:[1,0,0]
	v_dual_mul_f32 v96, v95, v85 :: v_dual_mov_b32 v92, v95
	s_delay_alu instid0(VALU_DEP_2) | instskip(NEXT) | instid1(VALU_DEP_2)
	v_dual_mov_b32 v99, v93 :: v_dual_mov_b32 v93, v94
	v_pk_fma_f32 v[96:97], v[94:95], v[74:75], v[96:97] op_sel_hi:[1,1,0] neg_lo:[0,0,1] neg_hi:[0,0,1]
	v_mul_f32_e32 v94, v95, v82
	s_delay_alu instid0(VALU_DEP_3) | instskip(NEXT) | instid1(VALU_DEP_2)
	v_pk_add_f32 v[36:37], v[36:37], v[98:99] neg_lo:[0,1] neg_hi:[0,1]
	v_pk_fma_f32 v[92:93], v[92:93], v[74:75], v[94:95] op_sel_hi:[1,1,0]
	s_delay_alu instid0(VALU_DEP_1) | instskip(SKIP_4) | instid1(VALU_DEP_1)
	v_mov_b32_e32 v97, v93
	ds_load_2addr_b64 v[92:95], v86 offset0:27 offset1:28
	v_pk_add_f32 v[38:39], v[38:39], v[96:97] neg_lo:[0,1] neg_hi:[0,1]
	s_wait_dscnt 0x0
	v_pk_mul_f32 v[96:97], v[92:93], v[84:85] op_sel:[0,1]
	v_pk_fma_f32 v[98:99], v[92:93], v[82:83], v[96:97] op_sel:[0,0,1] op_sel_hi:[1,1,0] neg_lo:[0,0,1] neg_hi:[0,0,1]
	v_pk_fma_f32 v[92:93], v[92:93], v[82:83], v[96:97] op_sel:[0,0,1] op_sel_hi:[1,0,0]
	s_delay_alu instid0(VALU_DEP_1) | instskip(SKIP_1) | instid1(VALU_DEP_1)
	v_mov_b32_e32 v99, v93
	v_pk_mul_f32 v[92:93], v[94:95], v[84:85] op_sel:[0,1]
	v_pk_fma_f32 v[96:97], v[94:95], v[82:83], v[92:93] op_sel:[0,0,1] op_sel_hi:[1,1,0] neg_lo:[0,0,1] neg_hi:[0,0,1]
	v_pk_fma_f32 v[92:93], v[94:95], v[82:83], v[92:93] op_sel:[0,0,1] op_sel_hi:[1,0,0]
	s_delay_alu instid0(VALU_DEP_1)
	v_mov_b32_e32 v97, v93
	ds_load_2addr_b64 v[92:95], v86 offset0:29 offset1:30
	v_pk_add_f32 v[34:35], v[34:35], v[98:99] neg_lo:[0,1] neg_hi:[0,1]
	v_pk_add_f32 v[58:59], v[58:59], v[96:97] neg_lo:[0,1] neg_hi:[0,1]
	s_wait_dscnt 0x0
	v_pk_mul_f32 v[96:97], v[92:93], v[84:85] op_sel:[0,1]
	s_delay_alu instid0(VALU_DEP_1) | instskip(SKIP_1) | instid1(VALU_DEP_1)
	v_pk_fma_f32 v[98:99], v[92:93], v[82:83], v[96:97] op_sel:[0,0,1] op_sel_hi:[1,1,0] neg_lo:[0,0,1] neg_hi:[0,0,1]
	v_pk_fma_f32 v[92:93], v[92:93], v[82:83], v[96:97] op_sel:[0,0,1] op_sel_hi:[1,0,0]
	v_mov_b32_e32 v99, v93
	v_pk_mul_f32 v[92:93], v[94:95], v[84:85] op_sel:[0,1]
	s_delay_alu instid0(VALU_DEP_1) | instskip(SKIP_1) | instid1(VALU_DEP_1)
	v_pk_fma_f32 v[96:97], v[94:95], v[82:83], v[92:93] op_sel:[0,0,1] op_sel_hi:[1,1,0] neg_lo:[0,0,1] neg_hi:[0,0,1]
	v_pk_fma_f32 v[92:93], v[94:95], v[82:83], v[92:93] op_sel:[0,0,1] op_sel_hi:[1,0,0]
	v_mov_b32_e32 v97, v93
	ds_load_2addr_b64 v[92:95], v86 offset0:31 offset1:32
	v_pk_add_f32 v[10:11], v[10:11], v[98:99] neg_lo:[0,1] neg_hi:[0,1]
	v_pk_add_f32 v[12:13], v[12:13], v[96:97] neg_lo:[0,1] neg_hi:[0,1]
	s_wait_dscnt 0x0
	v_dual_mul_f32 v96, v93, v85 :: v_dual_mul_f32 v98, v93, v82
	s_delay_alu instid0(VALU_DEP_1) | instskip(NEXT) | instid1(VALU_DEP_2)
	v_pk_fma_f32 v[96:97], v[92:93], v[74:75], v[96:97] op_sel_hi:[1,1,0] neg_lo:[0,0,1] neg_hi:[0,0,1]
	v_pk_fma_f32 v[92:93], v[92:93], v[74:75], v[98:99] op_sel:[1,0,0] op_sel_hi:[0,1,0]
	s_delay_alu instid0(VALU_DEP_1) | instskip(SKIP_1) | instid1(VALU_DEP_2)
	v_mov_b32_e32 v97, v93
	v_pk_mul_f32 v[92:93], v[94:95], v[84:85] op_sel:[0,1]
	v_pk_add_f32 v[8:9], v[8:9], v[96:97] neg_lo:[0,1] neg_hi:[0,1]
	s_delay_alu instid0(VALU_DEP_2) | instskip(SKIP_1) | instid1(VALU_DEP_1)
	v_pk_fma_f32 v[96:97], v[94:95], v[82:83], v[92:93] op_sel:[0,0,1] op_sel_hi:[1,1,0] neg_lo:[0,0,1] neg_hi:[0,0,1]
	v_pk_fma_f32 v[92:93], v[94:95], v[82:83], v[92:93] op_sel:[0,0,1] op_sel_hi:[1,0,0]
	v_mov_b32_e32 v97, v93
	ds_load_2addr_b64 v[92:95], v86 offset0:33 offset1:34
	v_pk_add_f32 v[56:57], v[56:57], v[96:97] neg_lo:[0,1] neg_hi:[0,1]
	s_wait_dscnt 0x0
	v_pk_mul_f32 v[96:97], v[92:93], v[84:85] op_sel:[0,1]
	s_delay_alu instid0(VALU_DEP_1) | instskip(SKIP_1) | instid1(VALU_DEP_1)
	v_pk_fma_f32 v[98:99], v[92:93], v[82:83], v[96:97] op_sel:[0,0,1] op_sel_hi:[1,1,0] neg_lo:[0,0,1] neg_hi:[0,0,1]
	v_pk_fma_f32 v[92:93], v[92:93], v[82:83], v[96:97] op_sel:[0,0,1] op_sel_hi:[1,0,0]
	v_mov_b32_e32 v99, v93
	v_pk_mul_f32 v[92:93], v[94:95], v[84:85] op_sel:[0,1]
	s_delay_alu instid0(VALU_DEP_2) | instskip(NEXT) | instid1(VALU_DEP_2)
	v_pk_add_f32 v[6:7], v[6:7], v[98:99] neg_lo:[0,1] neg_hi:[0,1]
	v_pk_fma_f32 v[96:97], v[94:95], v[82:83], v[92:93] op_sel:[0,0,1] op_sel_hi:[1,1,0] neg_lo:[0,0,1] neg_hi:[0,0,1]
	v_pk_fma_f32 v[92:93], v[94:95], v[82:83], v[92:93] op_sel:[0,0,1] op_sel_hi:[1,0,0]
	s_delay_alu instid0(VALU_DEP_1) | instskip(SKIP_4) | instid1(VALU_DEP_1)
	v_mov_b32_e32 v97, v93
	ds_load_2addr_b64 v[92:95], v86 offset0:35 offset1:36
	v_pk_add_f32 v[54:55], v[54:55], v[96:97] neg_lo:[0,1] neg_hi:[0,1]
	s_wait_dscnt 0x0
	v_pk_mul_f32 v[96:97], v[92:93], v[84:85] op_sel:[0,1]
	v_pk_fma_f32 v[98:99], v[92:93], v[82:83], v[96:97] op_sel:[0,0,1] op_sel_hi:[1,1,0] neg_lo:[0,0,1] neg_hi:[0,0,1]
	v_pk_fma_f32 v[92:93], v[92:93], v[82:83], v[96:97] op_sel:[0,0,1] op_sel_hi:[1,0,0]
	v_dual_mul_f32 v96, v95, v85 :: v_dual_mov_b32 v92, v95
	s_delay_alu instid0(VALU_DEP_2) | instskip(NEXT) | instid1(VALU_DEP_2)
	v_dual_mov_b32 v99, v93 :: v_dual_mov_b32 v93, v94
	v_pk_fma_f32 v[96:97], v[94:95], v[74:75], v[96:97] op_sel_hi:[1,1,0] neg_lo:[0,0,1] neg_hi:[0,0,1]
	v_mul_f32_e32 v94, v95, v82
	s_delay_alu instid0(VALU_DEP_3) | instskip(NEXT) | instid1(VALU_DEP_2)
	v_pk_add_f32 v[46:47], v[46:47], v[98:99] neg_lo:[0,1] neg_hi:[0,1]
	v_pk_fma_f32 v[92:93], v[92:93], v[74:75], v[94:95] op_sel_hi:[1,1,0]
	s_delay_alu instid0(VALU_DEP_1) | instskip(SKIP_4) | instid1(VALU_DEP_1)
	v_mov_b32_e32 v97, v93
	ds_load_b64 v[92:93], v86 offset:296
	v_pk_add_f32 v[26:27], v[26:27], v[96:97] neg_lo:[0,1] neg_hi:[0,1]
	s_wait_dscnt 0x0
	v_pk_mul_f32 v[84:85], v[92:93], v[84:85] op_sel:[0,1]
	v_pk_fma_f32 v[94:95], v[92:93], v[82:83], v[84:85] op_sel:[0,0,1] op_sel_hi:[1,1,0] neg_lo:[0,0,1] neg_hi:[0,0,1]
	v_pk_fma_f32 v[82:83], v[92:93], v[82:83], v[84:85] op_sel:[0,0,1] op_sel_hi:[1,0,0]
	s_delay_alu instid0(VALU_DEP_1) | instskip(NEXT) | instid1(VALU_DEP_1)
	v_mov_b32_e32 v95, v83
	v_pk_add_f32 v[80:81], v[80:81], v[94:95] neg_lo:[0,1] neg_hi:[0,1]
.LBB74_62:
	s_or_b32 exec_lo, exec_lo, s0
	v_lshl_add_u32 v82, v90, 3, v86
	s_barrier_signal -1
	s_barrier_wait -1
	ds_store_b64 v82, v[72:73]
	s_wait_dscnt 0x0
	s_barrier_signal -1
	s_barrier_wait -1
	ds_load_b64 v[84:85], v86 offset:24
	v_mov_b32_e32 v82, 3
	s_cmp_lt_i32 s18, 5
	s_cbranch_scc1 .LBB74_65
; %bb.63:
	v_mov_b32_e32 v82, 3
	v_add3_u32 v83, v87, 0, 32
	s_mov_b32 s0, 4
.LBB74_64:                              ; =>This Inner Loop Header: Depth=1
	ds_load_b64 v[92:93], v83
	s_wait_dscnt 0x1
	v_cmp_gt_f32_e32 vcc_lo, 0, v84
	v_cndmask_b32_e64 v94, v84, -v84, vcc_lo
	v_cmp_gt_f32_e32 vcc_lo, 0, v85
	v_cndmask_b32_e64 v96, v85, -v85, vcc_lo
	s_wait_dscnt 0x0
	v_cmp_gt_f32_e32 vcc_lo, 0, v92
	v_cndmask_b32_e64 v95, v92, -v92, vcc_lo
	v_cmp_gt_f32_e32 vcc_lo, 0, v93
	v_cndmask_b32_e64 v97, v93, -v93, vcc_lo
	s_delay_alu instid0(VALU_DEP_1) | instskip(NEXT) | instid1(VALU_DEP_1)
	v_pk_add_f32 v[94:95], v[94:95], v[96:97]
	v_cmp_lt_f32_e32 vcc_lo, v94, v95
	v_dual_add_nc_u32 v83, 8, v83 :: v_dual_cndmask_b32 v85, v85, v93, vcc_lo
	v_cndmask_b32_e32 v84, v84, v92, vcc_lo
	v_cndmask_b32_e64 v82, v82, s0, vcc_lo
	s_add_co_i32 s0, s0, 1
	s_delay_alu instid0(SALU_CYCLE_1)
	s_cmp_lg_u32 s18, s0
	s_cbranch_scc1 .LBB74_64
.LBB74_65:
	s_wait_dscnt 0x0
	v_cmp_eq_f32_e32 vcc_lo, 0, v84
	v_cmp_eq_f32_e64 s0, 0, v85
	s_and_b32 s0, vcc_lo, s0
	s_delay_alu instid0(SALU_CYCLE_1) | instskip(NEXT) | instid1(SALU_CYCLE_1)
	s_and_saveexec_b32 s1, s0
	s_xor_b32 s0, exec_lo, s1
; %bb.66:
	v_cmp_ne_u32_e32 vcc_lo, 0, v88
	v_cndmask_b32_e32 v88, 4, v88, vcc_lo
; %bb.67:
	s_and_not1_saveexec_b32 s0, s0
	s_cbranch_execz .LBB74_73
; %bb.68:
	v_cmp_ngt_f32_e64 s1, |v84|, |v85|
	s_and_saveexec_b32 s12, s1
	s_delay_alu instid0(SALU_CYCLE_1)
	s_xor_b32 s1, exec_lo, s12
	s_cbranch_execz .LBB74_70
; %bb.69:
	v_div_scale_f32 v83, null, v85, v85, v84
	v_div_scale_f32 v93, vcc_lo, v84, v85, v84
	s_delay_alu instid0(VALU_DEP_2) | instskip(SKIP_1) | instid1(TRANS32_DEP_1)
	v_rcp_f32_e32 v91, v83
	v_nop
	v_fma_f32 v92, -v83, v91, 1.0
	s_delay_alu instid0(VALU_DEP_1) | instskip(NEXT) | instid1(VALU_DEP_1)
	v_fmac_f32_e32 v91, v92, v91
	v_mul_f32_e32 v92, v93, v91
	s_delay_alu instid0(VALU_DEP_1) | instskip(NEXT) | instid1(VALU_DEP_1)
	v_fma_f32 v94, -v83, v92, v93
	v_fmac_f32_e32 v92, v94, v91
	s_delay_alu instid0(VALU_DEP_1) | instskip(NEXT) | instid1(VALU_DEP_1)
	v_fma_f32 v83, -v83, v92, v93
	v_div_fmas_f32 v83, v83, v91, v92
	s_delay_alu instid0(VALU_DEP_1) | instskip(NEXT) | instid1(VALU_DEP_1)
	v_div_fixup_f32 v83, v83, v85, v84
	v_fmac_f32_e32 v85, v84, v83
	s_delay_alu instid0(VALU_DEP_1) | instskip(SKIP_1) | instid1(VALU_DEP_2)
	v_div_scale_f32 v84, null, v85, v85, 1.0
	v_div_scale_f32 v93, vcc_lo, 1.0, v85, 1.0
	v_rcp_f32_e32 v91, v84
	v_nop
	s_delay_alu instid0(TRANS32_DEP_1) | instskip(NEXT) | instid1(VALU_DEP_1)
	v_fma_f32 v92, -v84, v91, 1.0
	v_fmac_f32_e32 v91, v92, v91
	s_delay_alu instid0(VALU_DEP_1) | instskip(NEXT) | instid1(VALU_DEP_1)
	v_mul_f32_e32 v92, v93, v91
	v_fma_f32 v94, -v84, v92, v93
	s_delay_alu instid0(VALU_DEP_1) | instskip(NEXT) | instid1(VALU_DEP_1)
	v_fmac_f32_e32 v92, v94, v91
	v_fma_f32 v84, -v84, v92, v93
	s_delay_alu instid0(VALU_DEP_1) | instskip(NEXT) | instid1(VALU_DEP_1)
	v_div_fmas_f32 v84, v84, v91, v92
	v_div_fixup_f32 v85, v84, v85, 1.0
	s_delay_alu instid0(VALU_DEP_1)
	v_mul_f32_e32 v84, v83, v85
	v_xor_b32_e32 v85, 0x80000000, v85
.LBB74_70:
	s_and_not1_saveexec_b32 s1, s1
	s_cbranch_execz .LBB74_72
; %bb.71:
	s_delay_alu instid0(VALU_DEP_1) | instskip(SKIP_1) | instid1(VALU_DEP_2)
	v_div_scale_f32 v83, null, v84, v84, v85
	v_div_scale_f32 v93, vcc_lo, v85, v84, v85
	v_rcp_f32_e32 v91, v83
	v_nop
	s_delay_alu instid0(TRANS32_DEP_1) | instskip(NEXT) | instid1(VALU_DEP_1)
	v_fma_f32 v92, -v83, v91, 1.0
	v_fmac_f32_e32 v91, v92, v91
	s_delay_alu instid0(VALU_DEP_1) | instskip(NEXT) | instid1(VALU_DEP_1)
	v_mul_f32_e32 v92, v93, v91
	v_fma_f32 v94, -v83, v92, v93
	s_delay_alu instid0(VALU_DEP_1) | instskip(NEXT) | instid1(VALU_DEP_1)
	v_fmac_f32_e32 v92, v94, v91
	v_fma_f32 v83, -v83, v92, v93
	s_delay_alu instid0(VALU_DEP_1) | instskip(NEXT) | instid1(VALU_DEP_1)
	v_div_fmas_f32 v83, v83, v91, v92
	v_div_fixup_f32 v83, v83, v84, v85
	s_delay_alu instid0(VALU_DEP_1) | instskip(NEXT) | instid1(VALU_DEP_1)
	v_fmac_f32_e32 v84, v85, v83
	v_div_scale_f32 v85, null, v84, v84, 1.0
	s_delay_alu instid0(VALU_DEP_1) | instskip(SKIP_1) | instid1(TRANS32_DEP_1)
	v_rcp_f32_e32 v91, v85
	v_nop
	v_fma_f32 v92, -v85, v91, 1.0
	s_delay_alu instid0(VALU_DEP_1) | instskip(SKIP_1) | instid1(VALU_DEP_1)
	v_fmac_f32_e32 v91, v92, v91
	v_div_scale_f32 v92, vcc_lo, 1.0, v84, 1.0
	v_mul_f32_e32 v93, v92, v91
	s_delay_alu instid0(VALU_DEP_1) | instskip(NEXT) | instid1(VALU_DEP_1)
	v_fma_f32 v94, -v85, v93, v92
	v_fmac_f32_e32 v93, v94, v91
	s_delay_alu instid0(VALU_DEP_1) | instskip(NEXT) | instid1(VALU_DEP_1)
	v_fma_f32 v85, -v85, v93, v92
	v_div_fmas_f32 v85, v85, v91, v93
	s_delay_alu instid0(VALU_DEP_1) | instskip(NEXT) | instid1(VALU_DEP_1)
	v_div_fixup_f32 v84, v85, v84, 1.0
	v_mul_f32_e64 v85, v83, -v84
.LBB74_72:
	s_or_b32 exec_lo, exec_lo, s1
.LBB74_73:
	s_delay_alu instid0(SALU_CYCLE_1) | instskip(NEXT) | instid1(SALU_CYCLE_1)
	s_or_b32 exec_lo, exec_lo, s0
	s_mov_b32 s0, exec_lo
	v_cmpx_ne_u32_e64 v90, v82
	s_xor_b32 s0, exec_lo, s0
	s_cbranch_execz .LBB74_79
; %bb.74:
	s_mov_b32 s1, exec_lo
	v_cmpx_eq_u32_e32 3, v90
	s_cbranch_execz .LBB74_78
; %bb.75:
	v_cmp_ne_u32_e32 vcc_lo, 3, v82
	s_xor_b32 s12, s16, -1
	s_delay_alu instid0(SALU_CYCLE_1) | instskip(NEXT) | instid1(SALU_CYCLE_1)
	s_and_b32 s13, s12, vcc_lo
	s_and_saveexec_b32 s12, s13
	s_cbranch_execz .LBB74_77
; %bb.76:
	v_ashrrev_i32_e32 v83, 31, v82
	s_delay_alu instid0(VALU_DEP_1)
	v_lshl_add_u64 v[90:91], v[82:83], 2, v[4:5]
	s_clause 0x1
	global_load_b32 v83, v[90:91], off
	global_load_b32 v89, v[4:5], off offset:12
	s_wait_loadcnt 0x1
	global_store_b32 v[4:5], v83, off offset:12
	s_wait_loadcnt 0x0
	global_store_b32 v[90:91], v89, off
.LBB74_77:
	s_wait_xcnt 0x0
	s_or_b32 exec_lo, exec_lo, s12
	v_dual_mov_b32 v90, v82 :: v_dual_mov_b32 v89, v82
.LBB74_78:
	s_or_b32 exec_lo, exec_lo, s1
.LBB74_79:
	s_and_not1_saveexec_b32 s0, s0
	s_cbranch_execz .LBB74_81
; %bb.80:
	v_dual_mov_b32 v82, v60 :: v_dual_mov_b32 v83, v61
	v_dual_mov_b32 v90, v16 :: v_dual_mov_b32 v91, v17
	;; [unrolled: 1-line block ×12, first 2 shown]
	ds_store_2addr_b64 v86, v[82:83], v[90:91] offset0:4 offset1:5
	ds_store_2addr_b64 v86, v[92:93], v[94:95] offset0:6 offset1:7
	;; [unrolled: 1-line block ×6, first 2 shown]
	v_dual_mov_b32 v82, v70 :: v_dual_mov_b32 v83, v71
	v_dual_mov_b32 v90, v50 :: v_dual_mov_b32 v91, v51
	;; [unrolled: 1-line block ×12, first 2 shown]
	ds_store_2addr_b64 v86, v[82:83], v[90:91] offset0:16 offset1:17
	ds_store_2addr_b64 v86, v[92:93], v[94:95] offset0:18 offset1:19
	;; [unrolled: 1-line block ×6, first 2 shown]
	v_dual_mov_b32 v82, v58 :: v_dual_mov_b32 v83, v59
	v_dual_mov_b32 v92, v10 :: v_dual_mov_b32 v93, v11
	;; [unrolled: 1-line block ×9, first 2 shown]
	v_mov_b32_e32 v107, v27
	ds_store_2addr_b64 v86, v[82:83], v[92:93] offset0:28 offset1:29
	ds_store_2addr_b64 v86, v[94:95], v[96:97] offset0:30 offset1:31
	;; [unrolled: 1-line block ×5, first 2 shown]
.LBB74_81:
	s_or_b32 exec_lo, exec_lo, s0
	s_delay_alu instid0(SALU_CYCLE_1)
	s_mov_b32 s0, exec_lo
	s_wait_storecnt_dscnt 0x0
	s_barrier_signal -1
	s_barrier_wait -1
	v_cmpx_lt_i32_e32 3, v90
	s_cbranch_execz .LBB74_83
; %bb.82:
	v_pk_mul_f32 v[92:93], v[84:85], v[72:73] op_sel:[1,1] op_sel_hi:[0,1]
	s_delay_alu instid0(VALU_DEP_1)
	v_pk_fma_f32 v[82:83], v[84:85], v[72:73], v[92:93] op_sel_hi:[1,0,1] neg_lo:[0,0,1] neg_hi:[0,0,1]
	v_pk_fma_f32 v[84:85], v[84:85], v[72:73], v[92:93] op_sel_hi:[1,0,1]
	ds_load_2addr_b64 v[92:95], v86 offset0:4 offset1:5
	v_dual_mov_b32 v72, v82 :: v_dual_mov_b32 v73, v85
	s_wait_dscnt 0x0
	v_pk_mul_f32 v[96:97], v[92:93], v[84:85] op_sel:[0,1]
	s_delay_alu instid0(VALU_DEP_1) | instskip(SKIP_1) | instid1(VALU_DEP_1)
	v_pk_fma_f32 v[98:99], v[92:93], v[82:83], v[96:97] op_sel:[0,0,1] op_sel_hi:[1,1,0] neg_lo:[0,0,1] neg_hi:[0,0,1]
	v_pk_fma_f32 v[92:93], v[92:93], v[82:83], v[96:97] op_sel:[0,0,1] op_sel_hi:[1,0,0]
	v_mov_b32_e32 v99, v93
	v_pk_mul_f32 v[92:93], v[94:95], v[84:85] op_sel:[0,1]
	s_delay_alu instid0(VALU_DEP_1) | instskip(SKIP_1) | instid1(VALU_DEP_1)
	v_pk_fma_f32 v[96:97], v[94:95], v[82:83], v[92:93] op_sel:[0,0,1] op_sel_hi:[1,1,0] neg_lo:[0,0,1] neg_hi:[0,0,1]
	v_pk_fma_f32 v[92:93], v[94:95], v[82:83], v[92:93] op_sel:[0,0,1] op_sel_hi:[1,0,0]
	v_mov_b32_e32 v97, v93
	ds_load_2addr_b64 v[92:95], v86 offset0:6 offset1:7
	v_pk_add_f32 v[60:61], v[60:61], v[98:99] neg_lo:[0,1] neg_hi:[0,1]
	v_pk_add_f32 v[16:17], v[16:17], v[96:97] neg_lo:[0,1] neg_hi:[0,1]
	s_wait_dscnt 0x0
	v_pk_mul_f32 v[96:97], v[92:93], v[84:85] op_sel:[0,1]
	s_delay_alu instid0(VALU_DEP_1) | instskip(SKIP_2) | instid1(VALU_DEP_2)
	v_pk_fma_f32 v[98:99], v[92:93], v[82:83], v[96:97] op_sel:[0,0,1] op_sel_hi:[1,1,0] neg_lo:[0,0,1] neg_hi:[0,0,1]
	v_pk_fma_f32 v[92:93], v[92:93], v[82:83], v[96:97] op_sel:[0,0,1] op_sel_hi:[1,0,0]
	v_dual_mul_f32 v96, v95, v85 :: v_dual_mov_b32 v92, v95
	v_dual_mov_b32 v99, v93 :: v_dual_mov_b32 v93, v94
	s_delay_alu instid0(VALU_DEP_2) | instskip(SKIP_1) | instid1(VALU_DEP_3)
	v_pk_fma_f32 v[96:97], v[94:95], v[72:73], v[96:97] op_sel_hi:[1,1,0] neg_lo:[0,0,1] neg_hi:[0,0,1]
	v_mul_f32_e32 v94, v95, v82
	v_pk_add_f32 v[18:19], v[18:19], v[98:99] neg_lo:[0,1] neg_hi:[0,1]
	s_delay_alu instid0(VALU_DEP_2) | instskip(NEXT) | instid1(VALU_DEP_1)
	v_pk_fma_f32 v[92:93], v[92:93], v[72:73], v[94:95] op_sel_hi:[1,1,0]
	v_mov_b32_e32 v97, v93
	ds_load_2addr_b64 v[92:95], v86 offset0:8 offset1:9
	v_pk_add_f32 v[14:15], v[14:15], v[96:97] neg_lo:[0,1] neg_hi:[0,1]
	s_wait_dscnt 0x0
	v_pk_mul_f32 v[96:97], v[92:93], v[84:85] op_sel:[0,1]
	s_delay_alu instid0(VALU_DEP_1) | instskip(SKIP_1) | instid1(VALU_DEP_1)
	v_pk_fma_f32 v[98:99], v[92:93], v[82:83], v[96:97] op_sel:[0,0,1] op_sel_hi:[1,1,0] neg_lo:[0,0,1] neg_hi:[0,0,1]
	v_pk_fma_f32 v[92:93], v[92:93], v[82:83], v[96:97] op_sel:[0,0,1] op_sel_hi:[1,0,0]
	v_mov_b32_e32 v99, v93
	v_pk_mul_f32 v[92:93], v[94:95], v[84:85] op_sel:[0,1]
	s_delay_alu instid0(VALU_DEP_1) | instskip(SKIP_1) | instid1(VALU_DEP_1)
	v_pk_fma_f32 v[96:97], v[94:95], v[82:83], v[92:93] op_sel:[0,0,1] op_sel_hi:[1,1,0] neg_lo:[0,0,1] neg_hi:[0,0,1]
	v_pk_fma_f32 v[92:93], v[94:95], v[82:83], v[92:93] op_sel:[0,0,1] op_sel_hi:[1,0,0]
	v_mov_b32_e32 v97, v93
	ds_load_2addr_b64 v[92:95], v86 offset0:10 offset1:11
	v_pk_add_f32 v[62:63], v[62:63], v[98:99] neg_lo:[0,1] neg_hi:[0,1]
	v_pk_add_f32 v[22:23], v[22:23], v[96:97] neg_lo:[0,1] neg_hi:[0,1]
	s_wait_dscnt 0x0
	v_pk_mul_f32 v[96:97], v[92:93], v[84:85] op_sel:[0,1]
	s_delay_alu instid0(VALU_DEP_1) | instskip(SKIP_1) | instid1(VALU_DEP_1)
	v_pk_fma_f32 v[98:99], v[92:93], v[82:83], v[96:97] op_sel:[0,0,1] op_sel_hi:[1,1,0] neg_lo:[0,0,1] neg_hi:[0,0,1]
	v_pk_fma_f32 v[92:93], v[92:93], v[82:83], v[96:97] op_sel:[0,0,1] op_sel_hi:[1,0,0]
	v_mov_b32_e32 v99, v93
	v_pk_mul_f32 v[92:93], v[94:95], v[84:85] op_sel:[0,1]
	s_delay_alu instid0(VALU_DEP_1) | instskip(SKIP_1) | instid1(VALU_DEP_1)
	v_pk_fma_f32 v[96:97], v[94:95], v[82:83], v[92:93] op_sel:[0,0,1] op_sel_hi:[1,1,0] neg_lo:[0,0,1] neg_hi:[0,0,1]
	v_pk_fma_f32 v[92:93], v[94:95], v[82:83], v[92:93] op_sel:[0,0,1] op_sel_hi:[1,0,0]
	v_mov_b32_e32 v97, v93
	ds_load_2addr_b64 v[92:95], v86 offset0:12 offset1:13
	v_pk_add_f32 v[24:25], v[24:25], v[98:99] neg_lo:[0,1] neg_hi:[0,1]
	v_pk_add_f32 v[20:21], v[20:21], v[96:97] neg_lo:[0,1] neg_hi:[0,1]
	s_wait_dscnt 0x0
	v_dual_mul_f32 v96, v93, v85 :: v_dual_mul_f32 v98, v93, v82
	s_delay_alu instid0(VALU_DEP_1) | instskip(NEXT) | instid1(VALU_DEP_2)
	v_pk_fma_f32 v[96:97], v[92:93], v[72:73], v[96:97] op_sel_hi:[1,1,0] neg_lo:[0,0,1] neg_hi:[0,0,1]
	v_pk_fma_f32 v[92:93], v[92:93], v[72:73], v[98:99] op_sel:[1,0,0] op_sel_hi:[0,1,0]
	s_delay_alu instid0(VALU_DEP_1) | instskip(SKIP_1) | instid1(VALU_DEP_2)
	v_mov_b32_e32 v97, v93
	v_pk_mul_f32 v[92:93], v[94:95], v[84:85] op_sel:[0,1]
	v_pk_add_f32 v[64:65], v[64:65], v[96:97] neg_lo:[0,1] neg_hi:[0,1]
	s_delay_alu instid0(VALU_DEP_2) | instskip(SKIP_1) | instid1(VALU_DEP_1)
	v_pk_fma_f32 v[96:97], v[94:95], v[82:83], v[92:93] op_sel:[0,0,1] op_sel_hi:[1,1,0] neg_lo:[0,0,1] neg_hi:[0,0,1]
	v_pk_fma_f32 v[92:93], v[94:95], v[82:83], v[92:93] op_sel:[0,0,1] op_sel_hi:[1,0,0]
	v_mov_b32_e32 v97, v93
	ds_load_2addr_b64 v[92:95], v86 offset0:14 offset1:15
	v_pk_add_f32 v[30:31], v[30:31], v[96:97] neg_lo:[0,1] neg_hi:[0,1]
	s_wait_dscnt 0x0
	v_pk_mul_f32 v[96:97], v[92:93], v[84:85] op_sel:[0,1]
	s_delay_alu instid0(VALU_DEP_1) | instskip(SKIP_1) | instid1(VALU_DEP_1)
	v_pk_fma_f32 v[98:99], v[92:93], v[82:83], v[96:97] op_sel:[0,0,1] op_sel_hi:[1,1,0] neg_lo:[0,0,1] neg_hi:[0,0,1]
	v_pk_fma_f32 v[92:93], v[92:93], v[82:83], v[96:97] op_sel:[0,0,1] op_sel_hi:[1,0,0]
	v_mov_b32_e32 v99, v93
	v_pk_mul_f32 v[92:93], v[94:95], v[84:85] op_sel:[0,1]
	s_delay_alu instid0(VALU_DEP_2) | instskip(NEXT) | instid1(VALU_DEP_2)
	v_pk_add_f32 v[32:33], v[32:33], v[98:99] neg_lo:[0,1] neg_hi:[0,1]
	v_pk_fma_f32 v[96:97], v[94:95], v[82:83], v[92:93] op_sel:[0,0,1] op_sel_hi:[1,1,0] neg_lo:[0,0,1] neg_hi:[0,0,1]
	v_pk_fma_f32 v[92:93], v[94:95], v[82:83], v[92:93] op_sel:[0,0,1] op_sel_hi:[1,0,0]
	s_delay_alu instid0(VALU_DEP_1) | instskip(SKIP_4) | instid1(VALU_DEP_1)
	v_mov_b32_e32 v97, v93
	ds_load_2addr_b64 v[92:95], v86 offset0:16 offset1:17
	v_pk_add_f32 v[28:29], v[28:29], v[96:97] neg_lo:[0,1] neg_hi:[0,1]
	s_wait_dscnt 0x0
	v_pk_mul_f32 v[96:97], v[92:93], v[84:85] op_sel:[0,1]
	v_pk_fma_f32 v[98:99], v[92:93], v[82:83], v[96:97] op_sel:[0,0,1] op_sel_hi:[1,1,0] neg_lo:[0,0,1] neg_hi:[0,0,1]
	v_pk_fma_f32 v[92:93], v[92:93], v[82:83], v[96:97] op_sel:[0,0,1] op_sel_hi:[1,0,0]
	v_dual_mul_f32 v96, v95, v85 :: v_dual_mov_b32 v92, v95
	s_delay_alu instid0(VALU_DEP_2) | instskip(NEXT) | instid1(VALU_DEP_2)
	v_dual_mov_b32 v99, v93 :: v_dual_mov_b32 v93, v94
	v_pk_fma_f32 v[96:97], v[94:95], v[72:73], v[96:97] op_sel_hi:[1,1,0] neg_lo:[0,0,1] neg_hi:[0,0,1]
	v_mul_f32_e32 v94, v95, v82
	s_delay_alu instid0(VALU_DEP_3) | instskip(NEXT) | instid1(VALU_DEP_2)
	v_pk_add_f32 v[70:71], v[70:71], v[98:99] neg_lo:[0,1] neg_hi:[0,1]
	v_pk_fma_f32 v[92:93], v[92:93], v[72:73], v[94:95] op_sel_hi:[1,1,0]
	s_delay_alu instid0(VALU_DEP_1) | instskip(SKIP_4) | instid1(VALU_DEP_1)
	v_mov_b32_e32 v97, v93
	ds_load_2addr_b64 v[92:95], v86 offset0:18 offset1:19
	v_pk_add_f32 v[50:51], v[50:51], v[96:97] neg_lo:[0,1] neg_hi:[0,1]
	s_wait_dscnt 0x0
	v_pk_mul_f32 v[96:97], v[92:93], v[84:85] op_sel:[0,1]
	v_pk_fma_f32 v[98:99], v[92:93], v[82:83], v[96:97] op_sel:[0,0,1] op_sel_hi:[1,1,0] neg_lo:[0,0,1] neg_hi:[0,0,1]
	v_pk_fma_f32 v[92:93], v[92:93], v[82:83], v[96:97] op_sel:[0,0,1] op_sel_hi:[1,0,0]
	s_delay_alu instid0(VALU_DEP_1) | instskip(SKIP_1) | instid1(VALU_DEP_1)
	v_mov_b32_e32 v99, v93
	v_pk_mul_f32 v[92:93], v[94:95], v[84:85] op_sel:[0,1]
	v_pk_fma_f32 v[96:97], v[94:95], v[82:83], v[92:93] op_sel:[0,0,1] op_sel_hi:[1,1,0] neg_lo:[0,0,1] neg_hi:[0,0,1]
	v_pk_fma_f32 v[92:93], v[94:95], v[82:83], v[92:93] op_sel:[0,0,1] op_sel_hi:[1,0,0]
	s_delay_alu instid0(VALU_DEP_1)
	v_mov_b32_e32 v97, v93
	ds_load_2addr_b64 v[92:95], v86 offset0:20 offset1:21
	v_pk_add_f32 v[52:53], v[52:53], v[98:99] neg_lo:[0,1] neg_hi:[0,1]
	v_pk_add_f32 v[48:49], v[48:49], v[96:97] neg_lo:[0,1] neg_hi:[0,1]
	s_wait_dscnt 0x0
	v_pk_mul_f32 v[96:97], v[92:93], v[84:85] op_sel:[0,1]
	s_delay_alu instid0(VALU_DEP_1) | instskip(SKIP_1) | instid1(VALU_DEP_1)
	v_pk_fma_f32 v[98:99], v[92:93], v[82:83], v[96:97] op_sel:[0,0,1] op_sel_hi:[1,1,0] neg_lo:[0,0,1] neg_hi:[0,0,1]
	v_pk_fma_f32 v[92:93], v[92:93], v[82:83], v[96:97] op_sel:[0,0,1] op_sel_hi:[1,0,0]
	v_mov_b32_e32 v99, v93
	v_pk_mul_f32 v[92:93], v[94:95], v[84:85] op_sel:[0,1]
	s_delay_alu instid0(VALU_DEP_1) | instskip(SKIP_1) | instid1(VALU_DEP_1)
	v_pk_fma_f32 v[96:97], v[94:95], v[82:83], v[92:93] op_sel:[0,0,1] op_sel_hi:[1,1,0] neg_lo:[0,0,1] neg_hi:[0,0,1]
	v_pk_fma_f32 v[92:93], v[94:95], v[82:83], v[92:93] op_sel:[0,0,1] op_sel_hi:[1,0,0]
	v_mov_b32_e32 v97, v93
	ds_load_2addr_b64 v[92:95], v86 offset0:22 offset1:23
	v_pk_add_f32 v[68:69], v[68:69], v[98:99] neg_lo:[0,1] neg_hi:[0,1]
	v_pk_add_f32 v[42:43], v[42:43], v[96:97] neg_lo:[0,1] neg_hi:[0,1]
	s_wait_dscnt 0x0
	v_dual_mul_f32 v96, v93, v85 :: v_dual_mul_f32 v98, v93, v82
	s_delay_alu instid0(VALU_DEP_1) | instskip(NEXT) | instid1(VALU_DEP_2)
	v_pk_fma_f32 v[96:97], v[92:93], v[72:73], v[96:97] op_sel_hi:[1,1,0] neg_lo:[0,0,1] neg_hi:[0,0,1]
	v_pk_fma_f32 v[92:93], v[92:93], v[72:73], v[98:99] op_sel:[1,0,0] op_sel_hi:[0,1,0]
	s_delay_alu instid0(VALU_DEP_1) | instskip(SKIP_1) | instid1(VALU_DEP_2)
	v_mov_b32_e32 v97, v93
	v_pk_mul_f32 v[92:93], v[94:95], v[84:85] op_sel:[0,1]
	v_pk_add_f32 v[44:45], v[44:45], v[96:97] neg_lo:[0,1] neg_hi:[0,1]
	s_delay_alu instid0(VALU_DEP_2) | instskip(SKIP_1) | instid1(VALU_DEP_1)
	v_pk_fma_f32 v[96:97], v[94:95], v[82:83], v[92:93] op_sel:[0,0,1] op_sel_hi:[1,1,0] neg_lo:[0,0,1] neg_hi:[0,0,1]
	v_pk_fma_f32 v[92:93], v[94:95], v[82:83], v[92:93] op_sel:[0,0,1] op_sel_hi:[1,0,0]
	v_mov_b32_e32 v97, v93
	ds_load_2addr_b64 v[92:95], v86 offset0:24 offset1:25
	v_pk_add_f32 v[40:41], v[40:41], v[96:97] neg_lo:[0,1] neg_hi:[0,1]
	s_wait_dscnt 0x0
	v_pk_mul_f32 v[96:97], v[92:93], v[84:85] op_sel:[0,1]
	s_delay_alu instid0(VALU_DEP_1) | instskip(SKIP_1) | instid1(VALU_DEP_1)
	v_pk_fma_f32 v[98:99], v[92:93], v[82:83], v[96:97] op_sel:[0,0,1] op_sel_hi:[1,1,0] neg_lo:[0,0,1] neg_hi:[0,0,1]
	v_pk_fma_f32 v[92:93], v[92:93], v[82:83], v[96:97] op_sel:[0,0,1] op_sel_hi:[1,0,0]
	v_mov_b32_e32 v99, v93
	v_pk_mul_f32 v[92:93], v[94:95], v[84:85] op_sel:[0,1]
	s_delay_alu instid0(VALU_DEP_2) | instskip(NEXT) | instid1(VALU_DEP_2)
	v_pk_add_f32 v[66:67], v[66:67], v[98:99] neg_lo:[0,1] neg_hi:[0,1]
	v_pk_fma_f32 v[96:97], v[94:95], v[82:83], v[92:93] op_sel:[0,0,1] op_sel_hi:[1,1,0] neg_lo:[0,0,1] neg_hi:[0,0,1]
	v_pk_fma_f32 v[92:93], v[94:95], v[82:83], v[92:93] op_sel:[0,0,1] op_sel_hi:[1,0,0]
	s_delay_alu instid0(VALU_DEP_1) | instskip(SKIP_4) | instid1(VALU_DEP_1)
	v_mov_b32_e32 v97, v93
	ds_load_2addr_b64 v[92:95], v86 offset0:26 offset1:27
	v_pk_add_f32 v[36:37], v[36:37], v[96:97] neg_lo:[0,1] neg_hi:[0,1]
	s_wait_dscnt 0x0
	v_pk_mul_f32 v[96:97], v[92:93], v[84:85] op_sel:[0,1]
	v_pk_fma_f32 v[98:99], v[92:93], v[82:83], v[96:97] op_sel:[0,0,1] op_sel_hi:[1,1,0] neg_lo:[0,0,1] neg_hi:[0,0,1]
	v_pk_fma_f32 v[92:93], v[92:93], v[82:83], v[96:97] op_sel:[0,0,1] op_sel_hi:[1,0,0]
	v_dual_mul_f32 v96, v95, v85 :: v_dual_mov_b32 v92, v95
	s_delay_alu instid0(VALU_DEP_2) | instskip(NEXT) | instid1(VALU_DEP_2)
	v_dual_mov_b32 v99, v93 :: v_dual_mov_b32 v93, v94
	v_pk_fma_f32 v[96:97], v[94:95], v[72:73], v[96:97] op_sel_hi:[1,1,0] neg_lo:[0,0,1] neg_hi:[0,0,1]
	v_mul_f32_e32 v94, v95, v82
	s_delay_alu instid0(VALU_DEP_3) | instskip(NEXT) | instid1(VALU_DEP_2)
	v_pk_add_f32 v[38:39], v[38:39], v[98:99] neg_lo:[0,1] neg_hi:[0,1]
	v_pk_fma_f32 v[92:93], v[92:93], v[72:73], v[94:95] op_sel_hi:[1,1,0]
	s_delay_alu instid0(VALU_DEP_1) | instskip(SKIP_4) | instid1(VALU_DEP_1)
	v_mov_b32_e32 v97, v93
	ds_load_2addr_b64 v[92:95], v86 offset0:28 offset1:29
	v_pk_add_f32 v[34:35], v[34:35], v[96:97] neg_lo:[0,1] neg_hi:[0,1]
	s_wait_dscnt 0x0
	v_pk_mul_f32 v[96:97], v[92:93], v[84:85] op_sel:[0,1]
	v_pk_fma_f32 v[98:99], v[92:93], v[82:83], v[96:97] op_sel:[0,0,1] op_sel_hi:[1,1,0] neg_lo:[0,0,1] neg_hi:[0,0,1]
	v_pk_fma_f32 v[92:93], v[92:93], v[82:83], v[96:97] op_sel:[0,0,1] op_sel_hi:[1,0,0]
	s_delay_alu instid0(VALU_DEP_1) | instskip(SKIP_1) | instid1(VALU_DEP_1)
	v_mov_b32_e32 v99, v93
	v_pk_mul_f32 v[92:93], v[94:95], v[84:85] op_sel:[0,1]
	v_pk_fma_f32 v[96:97], v[94:95], v[82:83], v[92:93] op_sel:[0,0,1] op_sel_hi:[1,1,0] neg_lo:[0,0,1] neg_hi:[0,0,1]
	v_pk_fma_f32 v[92:93], v[94:95], v[82:83], v[92:93] op_sel:[0,0,1] op_sel_hi:[1,0,0]
	s_delay_alu instid0(VALU_DEP_1)
	v_mov_b32_e32 v97, v93
	ds_load_2addr_b64 v[92:95], v86 offset0:30 offset1:31
	v_pk_add_f32 v[58:59], v[58:59], v[98:99] neg_lo:[0,1] neg_hi:[0,1]
	v_pk_add_f32 v[10:11], v[10:11], v[96:97] neg_lo:[0,1] neg_hi:[0,1]
	s_wait_dscnt 0x0
	v_pk_mul_f32 v[96:97], v[92:93], v[84:85] op_sel:[0,1]
	s_delay_alu instid0(VALU_DEP_1) | instskip(SKIP_1) | instid1(VALU_DEP_1)
	v_pk_fma_f32 v[98:99], v[92:93], v[82:83], v[96:97] op_sel:[0,0,1] op_sel_hi:[1,1,0] neg_lo:[0,0,1] neg_hi:[0,0,1]
	v_pk_fma_f32 v[92:93], v[92:93], v[82:83], v[96:97] op_sel:[0,0,1] op_sel_hi:[1,0,0]
	v_mov_b32_e32 v99, v93
	v_pk_mul_f32 v[92:93], v[94:95], v[84:85] op_sel:[0,1]
	s_delay_alu instid0(VALU_DEP_1) | instskip(SKIP_1) | instid1(VALU_DEP_1)
	v_pk_fma_f32 v[96:97], v[94:95], v[82:83], v[92:93] op_sel:[0,0,1] op_sel_hi:[1,1,0] neg_lo:[0,0,1] neg_hi:[0,0,1]
	v_pk_fma_f32 v[92:93], v[94:95], v[82:83], v[92:93] op_sel:[0,0,1] op_sel_hi:[1,0,0]
	v_mov_b32_e32 v97, v93
	ds_load_2addr_b64 v[92:95], v86 offset0:32 offset1:33
	v_pk_add_f32 v[12:13], v[12:13], v[98:99] neg_lo:[0,1] neg_hi:[0,1]
	v_pk_add_f32 v[8:9], v[8:9], v[96:97] neg_lo:[0,1] neg_hi:[0,1]
	s_wait_dscnt 0x0
	v_dual_mul_f32 v96, v93, v85 :: v_dual_mul_f32 v98, v93, v82
	s_delay_alu instid0(VALU_DEP_1) | instskip(NEXT) | instid1(VALU_DEP_2)
	v_pk_fma_f32 v[96:97], v[92:93], v[72:73], v[96:97] op_sel_hi:[1,1,0] neg_lo:[0,0,1] neg_hi:[0,0,1]
	v_pk_fma_f32 v[92:93], v[92:93], v[72:73], v[98:99] op_sel:[1,0,0] op_sel_hi:[0,1,0]
	s_delay_alu instid0(VALU_DEP_1) | instskip(SKIP_1) | instid1(VALU_DEP_2)
	v_mov_b32_e32 v97, v93
	v_pk_mul_f32 v[92:93], v[94:95], v[84:85] op_sel:[0,1]
	v_pk_add_f32 v[56:57], v[56:57], v[96:97] neg_lo:[0,1] neg_hi:[0,1]
	s_delay_alu instid0(VALU_DEP_2) | instskip(SKIP_1) | instid1(VALU_DEP_1)
	v_pk_fma_f32 v[96:97], v[94:95], v[82:83], v[92:93] op_sel:[0,0,1] op_sel_hi:[1,1,0] neg_lo:[0,0,1] neg_hi:[0,0,1]
	v_pk_fma_f32 v[92:93], v[94:95], v[82:83], v[92:93] op_sel:[0,0,1] op_sel_hi:[1,0,0]
	v_mov_b32_e32 v97, v93
	ds_load_2addr_b64 v[92:95], v86 offset0:34 offset1:35
	v_pk_add_f32 v[6:7], v[6:7], v[96:97] neg_lo:[0,1] neg_hi:[0,1]
	s_wait_dscnt 0x0
	v_pk_mul_f32 v[96:97], v[92:93], v[84:85] op_sel:[0,1]
	s_delay_alu instid0(VALU_DEP_1) | instskip(SKIP_1) | instid1(VALU_DEP_1)
	v_pk_fma_f32 v[98:99], v[92:93], v[82:83], v[96:97] op_sel:[0,0,1] op_sel_hi:[1,1,0] neg_lo:[0,0,1] neg_hi:[0,0,1]
	v_pk_fma_f32 v[92:93], v[92:93], v[82:83], v[96:97] op_sel:[0,0,1] op_sel_hi:[1,0,0]
	v_mov_b32_e32 v99, v93
	v_pk_mul_f32 v[92:93], v[94:95], v[84:85] op_sel:[0,1]
	s_delay_alu instid0(VALU_DEP_2) | instskip(NEXT) | instid1(VALU_DEP_2)
	v_pk_add_f32 v[54:55], v[54:55], v[98:99] neg_lo:[0,1] neg_hi:[0,1]
	v_pk_fma_f32 v[96:97], v[94:95], v[82:83], v[92:93] op_sel:[0,0,1] op_sel_hi:[1,1,0] neg_lo:[0,0,1] neg_hi:[0,0,1]
	v_pk_fma_f32 v[92:93], v[94:95], v[82:83], v[92:93] op_sel:[0,0,1] op_sel_hi:[1,0,0]
	s_delay_alu instid0(VALU_DEP_1)
	v_mov_b32_e32 v97, v93
	ds_load_2addr_b64 v[92:95], v86 offset0:36 offset1:37
	v_pk_add_f32 v[46:47], v[46:47], v[96:97] neg_lo:[0,1] neg_hi:[0,1]
	s_wait_dscnt 0x0
	v_pk_mul_f32 v[96:97], v[92:93], v[84:85] op_sel:[0,1]
	v_pk_mul_f32 v[84:85], v[94:95], v[84:85] op_sel:[0,1]
	s_delay_alu instid0(VALU_DEP_2) | instskip(SKIP_1) | instid1(VALU_DEP_1)
	v_pk_fma_f32 v[98:99], v[92:93], v[82:83], v[96:97] op_sel:[0,0,1] op_sel_hi:[1,1,0] neg_lo:[0,0,1] neg_hi:[0,0,1]
	v_pk_fma_f32 v[92:93], v[92:93], v[82:83], v[96:97] op_sel:[0,0,1] op_sel_hi:[1,0,0]
	v_mov_b32_e32 v99, v93
	s_delay_alu instid0(VALU_DEP_4) | instskip(SKIP_1) | instid1(VALU_DEP_3)
	v_pk_fma_f32 v[92:93], v[94:95], v[82:83], v[84:85] op_sel:[0,0,1] op_sel_hi:[1,1,0] neg_lo:[0,0,1] neg_hi:[0,0,1]
	v_pk_fma_f32 v[82:83], v[94:95], v[82:83], v[84:85] op_sel:[0,0,1] op_sel_hi:[1,0,0]
	v_pk_add_f32 v[26:27], v[26:27], v[98:99] neg_lo:[0,1] neg_hi:[0,1]
	s_delay_alu instid0(VALU_DEP_2) | instskip(NEXT) | instid1(VALU_DEP_1)
	v_mov_b32_e32 v93, v83
	v_pk_add_f32 v[80:81], v[80:81], v[92:93] neg_lo:[0,1] neg_hi:[0,1]
.LBB74_83:
	s_or_b32 exec_lo, exec_lo, s0
	v_lshl_add_u32 v82, v90, 3, v86
	s_barrier_signal -1
	s_barrier_wait -1
	ds_store_b64 v82, v[60:61]
	s_wait_dscnt 0x0
	s_barrier_signal -1
	s_barrier_wait -1
	ds_load_b64 v[84:85], v86 offset:32
	v_mov_b32_e32 v82, 4
	s_cmp_lt_i32 s18, 6
	s_cbranch_scc1 .LBB74_86
; %bb.84:
	v_add3_u32 v83, v87, 0, 40
	v_mov_b32_e32 v82, 4
	s_mov_b32 s0, 5
.LBB74_85:                              ; =>This Inner Loop Header: Depth=1
	ds_load_b64 v[92:93], v83
	s_wait_dscnt 0x1
	v_cmp_gt_f32_e32 vcc_lo, 0, v84
	v_cndmask_b32_e64 v94, v84, -v84, vcc_lo
	v_cmp_gt_f32_e32 vcc_lo, 0, v85
	v_cndmask_b32_e64 v96, v85, -v85, vcc_lo
	s_wait_dscnt 0x0
	v_cmp_gt_f32_e32 vcc_lo, 0, v92
	v_cndmask_b32_e64 v95, v92, -v92, vcc_lo
	v_cmp_gt_f32_e32 vcc_lo, 0, v93
	v_cndmask_b32_e64 v97, v93, -v93, vcc_lo
	s_delay_alu instid0(VALU_DEP_1) | instskip(NEXT) | instid1(VALU_DEP_1)
	v_pk_add_f32 v[94:95], v[94:95], v[96:97]
	v_cmp_lt_f32_e32 vcc_lo, v94, v95
	v_dual_add_nc_u32 v83, 8, v83 :: v_dual_cndmask_b32 v85, v85, v93, vcc_lo
	v_cndmask_b32_e32 v84, v84, v92, vcc_lo
	v_cndmask_b32_e64 v82, v82, s0, vcc_lo
	s_add_co_i32 s0, s0, 1
	s_delay_alu instid0(SALU_CYCLE_1)
	s_cmp_lg_u32 s18, s0
	s_cbranch_scc1 .LBB74_85
.LBB74_86:
	s_wait_dscnt 0x0
	v_cmp_eq_f32_e32 vcc_lo, 0, v84
	v_cmp_eq_f32_e64 s0, 0, v85
	s_and_b32 s0, vcc_lo, s0
	s_delay_alu instid0(SALU_CYCLE_1) | instskip(NEXT) | instid1(SALU_CYCLE_1)
	s_and_saveexec_b32 s1, s0
	s_xor_b32 s0, exec_lo, s1
; %bb.87:
	v_cmp_ne_u32_e32 vcc_lo, 0, v88
	v_cndmask_b32_e32 v88, 5, v88, vcc_lo
; %bb.88:
	s_and_not1_saveexec_b32 s0, s0
	s_cbranch_execz .LBB74_94
; %bb.89:
	v_cmp_ngt_f32_e64 s1, |v84|, |v85|
	s_and_saveexec_b32 s12, s1
	s_delay_alu instid0(SALU_CYCLE_1)
	s_xor_b32 s1, exec_lo, s12
	s_cbranch_execz .LBB74_91
; %bb.90:
	v_div_scale_f32 v83, null, v85, v85, v84
	v_div_scale_f32 v93, vcc_lo, v84, v85, v84
	s_delay_alu instid0(VALU_DEP_2) | instskip(SKIP_1) | instid1(TRANS32_DEP_1)
	v_rcp_f32_e32 v91, v83
	v_nop
	v_fma_f32 v92, -v83, v91, 1.0
	s_delay_alu instid0(VALU_DEP_1) | instskip(NEXT) | instid1(VALU_DEP_1)
	v_fmac_f32_e32 v91, v92, v91
	v_mul_f32_e32 v92, v93, v91
	s_delay_alu instid0(VALU_DEP_1) | instskip(NEXT) | instid1(VALU_DEP_1)
	v_fma_f32 v94, -v83, v92, v93
	v_fmac_f32_e32 v92, v94, v91
	s_delay_alu instid0(VALU_DEP_1) | instskip(NEXT) | instid1(VALU_DEP_1)
	v_fma_f32 v83, -v83, v92, v93
	v_div_fmas_f32 v83, v83, v91, v92
	s_delay_alu instid0(VALU_DEP_1) | instskip(NEXT) | instid1(VALU_DEP_1)
	v_div_fixup_f32 v83, v83, v85, v84
	v_fmac_f32_e32 v85, v84, v83
	s_delay_alu instid0(VALU_DEP_1) | instskip(SKIP_1) | instid1(VALU_DEP_2)
	v_div_scale_f32 v84, null, v85, v85, 1.0
	v_div_scale_f32 v93, vcc_lo, 1.0, v85, 1.0
	v_rcp_f32_e32 v91, v84
	v_nop
	s_delay_alu instid0(TRANS32_DEP_1) | instskip(NEXT) | instid1(VALU_DEP_1)
	v_fma_f32 v92, -v84, v91, 1.0
	v_fmac_f32_e32 v91, v92, v91
	s_delay_alu instid0(VALU_DEP_1) | instskip(NEXT) | instid1(VALU_DEP_1)
	v_mul_f32_e32 v92, v93, v91
	v_fma_f32 v94, -v84, v92, v93
	s_delay_alu instid0(VALU_DEP_1) | instskip(NEXT) | instid1(VALU_DEP_1)
	v_fmac_f32_e32 v92, v94, v91
	v_fma_f32 v84, -v84, v92, v93
	s_delay_alu instid0(VALU_DEP_1) | instskip(NEXT) | instid1(VALU_DEP_1)
	v_div_fmas_f32 v84, v84, v91, v92
	v_div_fixup_f32 v85, v84, v85, 1.0
	s_delay_alu instid0(VALU_DEP_1)
	v_mul_f32_e32 v84, v83, v85
	v_xor_b32_e32 v85, 0x80000000, v85
.LBB74_91:
	s_and_not1_saveexec_b32 s1, s1
	s_cbranch_execz .LBB74_93
; %bb.92:
	s_delay_alu instid0(VALU_DEP_1) | instskip(SKIP_1) | instid1(VALU_DEP_2)
	v_div_scale_f32 v83, null, v84, v84, v85
	v_div_scale_f32 v93, vcc_lo, v85, v84, v85
	v_rcp_f32_e32 v91, v83
	v_nop
	s_delay_alu instid0(TRANS32_DEP_1) | instskip(NEXT) | instid1(VALU_DEP_1)
	v_fma_f32 v92, -v83, v91, 1.0
	v_fmac_f32_e32 v91, v92, v91
	s_delay_alu instid0(VALU_DEP_1) | instskip(NEXT) | instid1(VALU_DEP_1)
	v_mul_f32_e32 v92, v93, v91
	v_fma_f32 v94, -v83, v92, v93
	s_delay_alu instid0(VALU_DEP_1) | instskip(NEXT) | instid1(VALU_DEP_1)
	v_fmac_f32_e32 v92, v94, v91
	v_fma_f32 v83, -v83, v92, v93
	s_delay_alu instid0(VALU_DEP_1) | instskip(NEXT) | instid1(VALU_DEP_1)
	v_div_fmas_f32 v83, v83, v91, v92
	v_div_fixup_f32 v83, v83, v84, v85
	s_delay_alu instid0(VALU_DEP_1) | instskip(NEXT) | instid1(VALU_DEP_1)
	v_fmac_f32_e32 v84, v85, v83
	v_div_scale_f32 v85, null, v84, v84, 1.0
	s_delay_alu instid0(VALU_DEP_1) | instskip(SKIP_1) | instid1(TRANS32_DEP_1)
	v_rcp_f32_e32 v91, v85
	v_nop
	v_fma_f32 v92, -v85, v91, 1.0
	s_delay_alu instid0(VALU_DEP_1) | instskip(SKIP_1) | instid1(VALU_DEP_1)
	v_fmac_f32_e32 v91, v92, v91
	v_div_scale_f32 v92, vcc_lo, 1.0, v84, 1.0
	v_mul_f32_e32 v93, v92, v91
	s_delay_alu instid0(VALU_DEP_1) | instskip(NEXT) | instid1(VALU_DEP_1)
	v_fma_f32 v94, -v85, v93, v92
	v_fmac_f32_e32 v93, v94, v91
	s_delay_alu instid0(VALU_DEP_1) | instskip(NEXT) | instid1(VALU_DEP_1)
	v_fma_f32 v85, -v85, v93, v92
	v_div_fmas_f32 v85, v85, v91, v93
	s_delay_alu instid0(VALU_DEP_1) | instskip(NEXT) | instid1(VALU_DEP_1)
	v_div_fixup_f32 v84, v85, v84, 1.0
	v_mul_f32_e64 v85, v83, -v84
.LBB74_93:
	s_or_b32 exec_lo, exec_lo, s1
.LBB74_94:
	s_delay_alu instid0(SALU_CYCLE_1) | instskip(NEXT) | instid1(SALU_CYCLE_1)
	s_or_b32 exec_lo, exec_lo, s0
	s_mov_b32 s0, exec_lo
	v_cmpx_ne_u32_e64 v90, v82
	s_xor_b32 s0, exec_lo, s0
	s_cbranch_execz .LBB74_100
; %bb.95:
	s_mov_b32 s1, exec_lo
	v_cmpx_eq_u32_e32 4, v90
	s_cbranch_execz .LBB74_99
; %bb.96:
	v_cmp_ne_u32_e32 vcc_lo, 4, v82
	s_xor_b32 s12, s16, -1
	s_delay_alu instid0(SALU_CYCLE_1) | instskip(NEXT) | instid1(SALU_CYCLE_1)
	s_and_b32 s13, s12, vcc_lo
	s_and_saveexec_b32 s12, s13
	s_cbranch_execz .LBB74_98
; %bb.97:
	v_ashrrev_i32_e32 v83, 31, v82
	s_delay_alu instid0(VALU_DEP_1)
	v_lshl_add_u64 v[90:91], v[82:83], 2, v[4:5]
	s_clause 0x1
	global_load_b32 v83, v[90:91], off
	global_load_b32 v89, v[4:5], off offset:16
	s_wait_loadcnt 0x1
	global_store_b32 v[4:5], v83, off offset:16
	s_wait_loadcnt 0x0
	global_store_b32 v[90:91], v89, off
.LBB74_98:
	s_wait_xcnt 0x0
	s_or_b32 exec_lo, exec_lo, s12
	v_dual_mov_b32 v90, v82 :: v_dual_mov_b32 v89, v82
.LBB74_99:
	s_or_b32 exec_lo, exec_lo, s1
.LBB74_100:
	s_and_not1_saveexec_b32 s0, s0
	s_cbranch_execz .LBB74_102
; %bb.101:
	v_mov_b32_e32 v90, 4
	ds_store_2addr_b64 v86, v[16:17], v[18:19] offset0:5 offset1:6
	ds_store_2addr_b64 v86, v[14:15], v[62:63] offset0:7 offset1:8
	;; [unrolled: 1-line block ×16, first 2 shown]
	ds_store_b64 v86, v[80:81] offset:296
.LBB74_102:
	s_or_b32 exec_lo, exec_lo, s0
	s_delay_alu instid0(SALU_CYCLE_1)
	s_mov_b32 s0, exec_lo
	s_wait_storecnt_dscnt 0x0
	s_barrier_signal -1
	s_barrier_wait -1
	v_cmpx_lt_i32_e32 4, v90
	s_cbranch_execz .LBB74_104
; %bb.103:
	v_pk_mul_f32 v[92:93], v[84:85], v[60:61] op_sel:[1,1] op_sel_hi:[0,1]
	s_delay_alu instid0(VALU_DEP_1)
	v_pk_fma_f32 v[82:83], v[84:85], v[60:61], v[92:93] op_sel_hi:[1,0,1] neg_lo:[0,0,1] neg_hi:[0,0,1]
	v_pk_fma_f32 v[84:85], v[84:85], v[60:61], v[92:93] op_sel_hi:[1,0,1]
	ds_load_2addr_b64 v[92:95], v86 offset0:5 offset1:6
	v_dual_mov_b32 v60, v82 :: v_dual_mov_b32 v61, v85
	s_wait_dscnt 0x0
	v_pk_mul_f32 v[96:97], v[92:93], v[84:85] op_sel:[0,1]
	s_delay_alu instid0(VALU_DEP_1) | instskip(SKIP_1) | instid1(VALU_DEP_1)
	v_pk_fma_f32 v[98:99], v[92:93], v[82:83], v[96:97] op_sel:[0,0,1] op_sel_hi:[1,1,0] neg_lo:[0,0,1] neg_hi:[0,0,1]
	v_pk_fma_f32 v[92:93], v[92:93], v[82:83], v[96:97] op_sel:[0,0,1] op_sel_hi:[1,0,0]
	v_mov_b32_e32 v99, v93
	v_pk_mul_f32 v[92:93], v[94:95], v[84:85] op_sel:[0,1]
	s_delay_alu instid0(VALU_DEP_1) | instskip(SKIP_1) | instid1(VALU_DEP_1)
	v_pk_fma_f32 v[96:97], v[94:95], v[82:83], v[92:93] op_sel:[0,0,1] op_sel_hi:[1,1,0] neg_lo:[0,0,1] neg_hi:[0,0,1]
	v_pk_fma_f32 v[92:93], v[94:95], v[82:83], v[92:93] op_sel:[0,0,1] op_sel_hi:[1,0,0]
	v_mov_b32_e32 v97, v93
	ds_load_2addr_b64 v[92:95], v86 offset0:7 offset1:8
	v_pk_add_f32 v[16:17], v[16:17], v[98:99] neg_lo:[0,1] neg_hi:[0,1]
	v_pk_add_f32 v[18:19], v[18:19], v[96:97] neg_lo:[0,1] neg_hi:[0,1]
	s_wait_dscnt 0x0
	v_pk_mul_f32 v[96:97], v[92:93], v[84:85] op_sel:[0,1]
	s_delay_alu instid0(VALU_DEP_1) | instskip(SKIP_2) | instid1(VALU_DEP_2)
	v_pk_fma_f32 v[98:99], v[92:93], v[82:83], v[96:97] op_sel:[0,0,1] op_sel_hi:[1,1,0] neg_lo:[0,0,1] neg_hi:[0,0,1]
	v_pk_fma_f32 v[92:93], v[92:93], v[82:83], v[96:97] op_sel:[0,0,1] op_sel_hi:[1,0,0]
	v_dual_mul_f32 v96, v95, v85 :: v_dual_mov_b32 v92, v95
	v_dual_mov_b32 v99, v93 :: v_dual_mov_b32 v93, v94
	s_delay_alu instid0(VALU_DEP_2) | instskip(SKIP_1) | instid1(VALU_DEP_3)
	v_pk_fma_f32 v[96:97], v[94:95], v[60:61], v[96:97] op_sel_hi:[1,1,0] neg_lo:[0,0,1] neg_hi:[0,0,1]
	v_mul_f32_e32 v94, v95, v82
	v_pk_add_f32 v[14:15], v[14:15], v[98:99] neg_lo:[0,1] neg_hi:[0,1]
	s_delay_alu instid0(VALU_DEP_2) | instskip(NEXT) | instid1(VALU_DEP_1)
	v_pk_fma_f32 v[92:93], v[92:93], v[60:61], v[94:95] op_sel_hi:[1,1,0]
	v_mov_b32_e32 v97, v93
	ds_load_2addr_b64 v[92:95], v86 offset0:9 offset1:10
	v_pk_add_f32 v[62:63], v[62:63], v[96:97] neg_lo:[0,1] neg_hi:[0,1]
	s_wait_dscnt 0x0
	v_pk_mul_f32 v[96:97], v[92:93], v[84:85] op_sel:[0,1]
	s_delay_alu instid0(VALU_DEP_1) | instskip(SKIP_1) | instid1(VALU_DEP_1)
	v_pk_fma_f32 v[98:99], v[92:93], v[82:83], v[96:97] op_sel:[0,0,1] op_sel_hi:[1,1,0] neg_lo:[0,0,1] neg_hi:[0,0,1]
	v_pk_fma_f32 v[92:93], v[92:93], v[82:83], v[96:97] op_sel:[0,0,1] op_sel_hi:[1,0,0]
	v_mov_b32_e32 v99, v93
	v_pk_mul_f32 v[92:93], v[94:95], v[84:85] op_sel:[0,1]
	s_delay_alu instid0(VALU_DEP_1) | instskip(SKIP_1) | instid1(VALU_DEP_1)
	v_pk_fma_f32 v[96:97], v[94:95], v[82:83], v[92:93] op_sel:[0,0,1] op_sel_hi:[1,1,0] neg_lo:[0,0,1] neg_hi:[0,0,1]
	v_pk_fma_f32 v[92:93], v[94:95], v[82:83], v[92:93] op_sel:[0,0,1] op_sel_hi:[1,0,0]
	v_mov_b32_e32 v97, v93
	ds_load_2addr_b64 v[92:95], v86 offset0:11 offset1:12
	v_pk_add_f32 v[22:23], v[22:23], v[98:99] neg_lo:[0,1] neg_hi:[0,1]
	v_pk_add_f32 v[24:25], v[24:25], v[96:97] neg_lo:[0,1] neg_hi:[0,1]
	s_wait_dscnt 0x0
	v_pk_mul_f32 v[96:97], v[92:93], v[84:85] op_sel:[0,1]
	s_delay_alu instid0(VALU_DEP_1) | instskip(SKIP_1) | instid1(VALU_DEP_1)
	v_pk_fma_f32 v[98:99], v[92:93], v[82:83], v[96:97] op_sel:[0,0,1] op_sel_hi:[1,1,0] neg_lo:[0,0,1] neg_hi:[0,0,1]
	v_pk_fma_f32 v[92:93], v[92:93], v[82:83], v[96:97] op_sel:[0,0,1] op_sel_hi:[1,0,0]
	v_mov_b32_e32 v99, v93
	v_pk_mul_f32 v[92:93], v[94:95], v[84:85] op_sel:[0,1]
	s_delay_alu instid0(VALU_DEP_1) | instskip(SKIP_1) | instid1(VALU_DEP_1)
	v_pk_fma_f32 v[96:97], v[94:95], v[82:83], v[92:93] op_sel:[0,0,1] op_sel_hi:[1,1,0] neg_lo:[0,0,1] neg_hi:[0,0,1]
	v_pk_fma_f32 v[92:93], v[94:95], v[82:83], v[92:93] op_sel:[0,0,1] op_sel_hi:[1,0,0]
	v_mov_b32_e32 v97, v93
	ds_load_2addr_b64 v[92:95], v86 offset0:13 offset1:14
	v_pk_add_f32 v[20:21], v[20:21], v[98:99] neg_lo:[0,1] neg_hi:[0,1]
	v_pk_add_f32 v[64:65], v[64:65], v[96:97] neg_lo:[0,1] neg_hi:[0,1]
	s_wait_dscnt 0x0
	v_dual_mul_f32 v96, v93, v85 :: v_dual_mul_f32 v98, v93, v82
	s_delay_alu instid0(VALU_DEP_1) | instskip(NEXT) | instid1(VALU_DEP_2)
	v_pk_fma_f32 v[96:97], v[92:93], v[60:61], v[96:97] op_sel_hi:[1,1,0] neg_lo:[0,0,1] neg_hi:[0,0,1]
	v_pk_fma_f32 v[92:93], v[92:93], v[60:61], v[98:99] op_sel:[1,0,0] op_sel_hi:[0,1,0]
	s_delay_alu instid0(VALU_DEP_1) | instskip(SKIP_1) | instid1(VALU_DEP_2)
	v_mov_b32_e32 v97, v93
	v_pk_mul_f32 v[92:93], v[94:95], v[84:85] op_sel:[0,1]
	v_pk_add_f32 v[30:31], v[30:31], v[96:97] neg_lo:[0,1] neg_hi:[0,1]
	s_delay_alu instid0(VALU_DEP_2) | instskip(SKIP_1) | instid1(VALU_DEP_1)
	v_pk_fma_f32 v[96:97], v[94:95], v[82:83], v[92:93] op_sel:[0,0,1] op_sel_hi:[1,1,0] neg_lo:[0,0,1] neg_hi:[0,0,1]
	v_pk_fma_f32 v[92:93], v[94:95], v[82:83], v[92:93] op_sel:[0,0,1] op_sel_hi:[1,0,0]
	v_mov_b32_e32 v97, v93
	ds_load_2addr_b64 v[92:95], v86 offset0:15 offset1:16
	v_pk_add_f32 v[32:33], v[32:33], v[96:97] neg_lo:[0,1] neg_hi:[0,1]
	s_wait_dscnt 0x0
	v_pk_mul_f32 v[96:97], v[92:93], v[84:85] op_sel:[0,1]
	s_delay_alu instid0(VALU_DEP_1) | instskip(SKIP_1) | instid1(VALU_DEP_1)
	v_pk_fma_f32 v[98:99], v[92:93], v[82:83], v[96:97] op_sel:[0,0,1] op_sel_hi:[1,1,0] neg_lo:[0,0,1] neg_hi:[0,0,1]
	v_pk_fma_f32 v[92:93], v[92:93], v[82:83], v[96:97] op_sel:[0,0,1] op_sel_hi:[1,0,0]
	v_mov_b32_e32 v99, v93
	v_pk_mul_f32 v[92:93], v[94:95], v[84:85] op_sel:[0,1]
	s_delay_alu instid0(VALU_DEP_2) | instskip(NEXT) | instid1(VALU_DEP_2)
	v_pk_add_f32 v[28:29], v[28:29], v[98:99] neg_lo:[0,1] neg_hi:[0,1]
	v_pk_fma_f32 v[96:97], v[94:95], v[82:83], v[92:93] op_sel:[0,0,1] op_sel_hi:[1,1,0] neg_lo:[0,0,1] neg_hi:[0,0,1]
	v_pk_fma_f32 v[92:93], v[94:95], v[82:83], v[92:93] op_sel:[0,0,1] op_sel_hi:[1,0,0]
	s_delay_alu instid0(VALU_DEP_1) | instskip(SKIP_4) | instid1(VALU_DEP_1)
	v_mov_b32_e32 v97, v93
	ds_load_2addr_b64 v[92:95], v86 offset0:17 offset1:18
	v_pk_add_f32 v[70:71], v[70:71], v[96:97] neg_lo:[0,1] neg_hi:[0,1]
	s_wait_dscnt 0x0
	v_pk_mul_f32 v[96:97], v[92:93], v[84:85] op_sel:[0,1]
	v_pk_fma_f32 v[98:99], v[92:93], v[82:83], v[96:97] op_sel:[0,0,1] op_sel_hi:[1,1,0] neg_lo:[0,0,1] neg_hi:[0,0,1]
	v_pk_fma_f32 v[92:93], v[92:93], v[82:83], v[96:97] op_sel:[0,0,1] op_sel_hi:[1,0,0]
	v_dual_mul_f32 v96, v95, v85 :: v_dual_mov_b32 v92, v95
	s_delay_alu instid0(VALU_DEP_2) | instskip(NEXT) | instid1(VALU_DEP_2)
	v_dual_mov_b32 v99, v93 :: v_dual_mov_b32 v93, v94
	v_pk_fma_f32 v[96:97], v[94:95], v[60:61], v[96:97] op_sel_hi:[1,1,0] neg_lo:[0,0,1] neg_hi:[0,0,1]
	v_mul_f32_e32 v94, v95, v82
	s_delay_alu instid0(VALU_DEP_3) | instskip(NEXT) | instid1(VALU_DEP_2)
	v_pk_add_f32 v[50:51], v[50:51], v[98:99] neg_lo:[0,1] neg_hi:[0,1]
	v_pk_fma_f32 v[92:93], v[92:93], v[60:61], v[94:95] op_sel_hi:[1,1,0]
	s_delay_alu instid0(VALU_DEP_1) | instskip(SKIP_4) | instid1(VALU_DEP_1)
	v_mov_b32_e32 v97, v93
	ds_load_2addr_b64 v[92:95], v86 offset0:19 offset1:20
	v_pk_add_f32 v[52:53], v[52:53], v[96:97] neg_lo:[0,1] neg_hi:[0,1]
	s_wait_dscnt 0x0
	v_pk_mul_f32 v[96:97], v[92:93], v[84:85] op_sel:[0,1]
	v_pk_fma_f32 v[98:99], v[92:93], v[82:83], v[96:97] op_sel:[0,0,1] op_sel_hi:[1,1,0] neg_lo:[0,0,1] neg_hi:[0,0,1]
	v_pk_fma_f32 v[92:93], v[92:93], v[82:83], v[96:97] op_sel:[0,0,1] op_sel_hi:[1,0,0]
	s_delay_alu instid0(VALU_DEP_1) | instskip(SKIP_1) | instid1(VALU_DEP_1)
	v_mov_b32_e32 v99, v93
	v_pk_mul_f32 v[92:93], v[94:95], v[84:85] op_sel:[0,1]
	v_pk_fma_f32 v[96:97], v[94:95], v[82:83], v[92:93] op_sel:[0,0,1] op_sel_hi:[1,1,0] neg_lo:[0,0,1] neg_hi:[0,0,1]
	v_pk_fma_f32 v[92:93], v[94:95], v[82:83], v[92:93] op_sel:[0,0,1] op_sel_hi:[1,0,0]
	s_delay_alu instid0(VALU_DEP_1)
	v_mov_b32_e32 v97, v93
	ds_load_2addr_b64 v[92:95], v86 offset0:21 offset1:22
	v_pk_add_f32 v[48:49], v[48:49], v[98:99] neg_lo:[0,1] neg_hi:[0,1]
	v_pk_add_f32 v[68:69], v[68:69], v[96:97] neg_lo:[0,1] neg_hi:[0,1]
	s_wait_dscnt 0x0
	v_pk_mul_f32 v[96:97], v[92:93], v[84:85] op_sel:[0,1]
	s_delay_alu instid0(VALU_DEP_1) | instskip(SKIP_1) | instid1(VALU_DEP_1)
	v_pk_fma_f32 v[98:99], v[92:93], v[82:83], v[96:97] op_sel:[0,0,1] op_sel_hi:[1,1,0] neg_lo:[0,0,1] neg_hi:[0,0,1]
	v_pk_fma_f32 v[92:93], v[92:93], v[82:83], v[96:97] op_sel:[0,0,1] op_sel_hi:[1,0,0]
	v_mov_b32_e32 v99, v93
	v_pk_mul_f32 v[92:93], v[94:95], v[84:85] op_sel:[0,1]
	s_delay_alu instid0(VALU_DEP_1) | instskip(SKIP_1) | instid1(VALU_DEP_1)
	v_pk_fma_f32 v[96:97], v[94:95], v[82:83], v[92:93] op_sel:[0,0,1] op_sel_hi:[1,1,0] neg_lo:[0,0,1] neg_hi:[0,0,1]
	v_pk_fma_f32 v[92:93], v[94:95], v[82:83], v[92:93] op_sel:[0,0,1] op_sel_hi:[1,0,0]
	v_mov_b32_e32 v97, v93
	ds_load_2addr_b64 v[92:95], v86 offset0:23 offset1:24
	v_pk_add_f32 v[42:43], v[42:43], v[98:99] neg_lo:[0,1] neg_hi:[0,1]
	v_pk_add_f32 v[44:45], v[44:45], v[96:97] neg_lo:[0,1] neg_hi:[0,1]
	s_wait_dscnt 0x0
	v_dual_mul_f32 v96, v93, v85 :: v_dual_mul_f32 v98, v93, v82
	s_delay_alu instid0(VALU_DEP_1) | instskip(NEXT) | instid1(VALU_DEP_2)
	v_pk_fma_f32 v[96:97], v[92:93], v[60:61], v[96:97] op_sel_hi:[1,1,0] neg_lo:[0,0,1] neg_hi:[0,0,1]
	v_pk_fma_f32 v[92:93], v[92:93], v[60:61], v[98:99] op_sel:[1,0,0] op_sel_hi:[0,1,0]
	s_delay_alu instid0(VALU_DEP_1) | instskip(SKIP_1) | instid1(VALU_DEP_2)
	v_mov_b32_e32 v97, v93
	v_pk_mul_f32 v[92:93], v[94:95], v[84:85] op_sel:[0,1]
	v_pk_add_f32 v[40:41], v[40:41], v[96:97] neg_lo:[0,1] neg_hi:[0,1]
	s_delay_alu instid0(VALU_DEP_2) | instskip(SKIP_1) | instid1(VALU_DEP_1)
	v_pk_fma_f32 v[96:97], v[94:95], v[82:83], v[92:93] op_sel:[0,0,1] op_sel_hi:[1,1,0] neg_lo:[0,0,1] neg_hi:[0,0,1]
	v_pk_fma_f32 v[92:93], v[94:95], v[82:83], v[92:93] op_sel:[0,0,1] op_sel_hi:[1,0,0]
	v_mov_b32_e32 v97, v93
	ds_load_2addr_b64 v[92:95], v86 offset0:25 offset1:26
	v_pk_add_f32 v[66:67], v[66:67], v[96:97] neg_lo:[0,1] neg_hi:[0,1]
	s_wait_dscnt 0x0
	v_pk_mul_f32 v[96:97], v[92:93], v[84:85] op_sel:[0,1]
	s_delay_alu instid0(VALU_DEP_1) | instskip(SKIP_1) | instid1(VALU_DEP_1)
	v_pk_fma_f32 v[98:99], v[92:93], v[82:83], v[96:97] op_sel:[0,0,1] op_sel_hi:[1,1,0] neg_lo:[0,0,1] neg_hi:[0,0,1]
	v_pk_fma_f32 v[92:93], v[92:93], v[82:83], v[96:97] op_sel:[0,0,1] op_sel_hi:[1,0,0]
	v_mov_b32_e32 v99, v93
	v_pk_mul_f32 v[92:93], v[94:95], v[84:85] op_sel:[0,1]
	s_delay_alu instid0(VALU_DEP_2) | instskip(NEXT) | instid1(VALU_DEP_2)
	v_pk_add_f32 v[36:37], v[36:37], v[98:99] neg_lo:[0,1] neg_hi:[0,1]
	v_pk_fma_f32 v[96:97], v[94:95], v[82:83], v[92:93] op_sel:[0,0,1] op_sel_hi:[1,1,0] neg_lo:[0,0,1] neg_hi:[0,0,1]
	v_pk_fma_f32 v[92:93], v[94:95], v[82:83], v[92:93] op_sel:[0,0,1] op_sel_hi:[1,0,0]
	s_delay_alu instid0(VALU_DEP_1) | instskip(SKIP_4) | instid1(VALU_DEP_1)
	v_mov_b32_e32 v97, v93
	ds_load_2addr_b64 v[92:95], v86 offset0:27 offset1:28
	v_pk_add_f32 v[38:39], v[38:39], v[96:97] neg_lo:[0,1] neg_hi:[0,1]
	s_wait_dscnt 0x0
	v_pk_mul_f32 v[96:97], v[92:93], v[84:85] op_sel:[0,1]
	v_pk_fma_f32 v[98:99], v[92:93], v[82:83], v[96:97] op_sel:[0,0,1] op_sel_hi:[1,1,0] neg_lo:[0,0,1] neg_hi:[0,0,1]
	v_pk_fma_f32 v[92:93], v[92:93], v[82:83], v[96:97] op_sel:[0,0,1] op_sel_hi:[1,0,0]
	v_dual_mul_f32 v96, v95, v85 :: v_dual_mov_b32 v92, v95
	s_delay_alu instid0(VALU_DEP_2) | instskip(NEXT) | instid1(VALU_DEP_2)
	v_dual_mov_b32 v99, v93 :: v_dual_mov_b32 v93, v94
	v_pk_fma_f32 v[96:97], v[94:95], v[60:61], v[96:97] op_sel_hi:[1,1,0] neg_lo:[0,0,1] neg_hi:[0,0,1]
	v_mul_f32_e32 v94, v95, v82
	s_delay_alu instid0(VALU_DEP_3) | instskip(NEXT) | instid1(VALU_DEP_2)
	v_pk_add_f32 v[34:35], v[34:35], v[98:99] neg_lo:[0,1] neg_hi:[0,1]
	v_pk_fma_f32 v[92:93], v[92:93], v[60:61], v[94:95] op_sel_hi:[1,1,0]
	s_delay_alu instid0(VALU_DEP_1) | instskip(SKIP_4) | instid1(VALU_DEP_1)
	v_mov_b32_e32 v97, v93
	ds_load_2addr_b64 v[92:95], v86 offset0:29 offset1:30
	v_pk_add_f32 v[58:59], v[58:59], v[96:97] neg_lo:[0,1] neg_hi:[0,1]
	s_wait_dscnt 0x0
	v_pk_mul_f32 v[96:97], v[92:93], v[84:85] op_sel:[0,1]
	v_pk_fma_f32 v[98:99], v[92:93], v[82:83], v[96:97] op_sel:[0,0,1] op_sel_hi:[1,1,0] neg_lo:[0,0,1] neg_hi:[0,0,1]
	v_pk_fma_f32 v[92:93], v[92:93], v[82:83], v[96:97] op_sel:[0,0,1] op_sel_hi:[1,0,0]
	s_delay_alu instid0(VALU_DEP_1) | instskip(SKIP_1) | instid1(VALU_DEP_1)
	v_mov_b32_e32 v99, v93
	v_pk_mul_f32 v[92:93], v[94:95], v[84:85] op_sel:[0,1]
	v_pk_fma_f32 v[96:97], v[94:95], v[82:83], v[92:93] op_sel:[0,0,1] op_sel_hi:[1,1,0] neg_lo:[0,0,1] neg_hi:[0,0,1]
	v_pk_fma_f32 v[92:93], v[94:95], v[82:83], v[92:93] op_sel:[0,0,1] op_sel_hi:[1,0,0]
	s_delay_alu instid0(VALU_DEP_1)
	v_mov_b32_e32 v97, v93
	ds_load_2addr_b64 v[92:95], v86 offset0:31 offset1:32
	v_pk_add_f32 v[10:11], v[10:11], v[98:99] neg_lo:[0,1] neg_hi:[0,1]
	v_pk_add_f32 v[12:13], v[12:13], v[96:97] neg_lo:[0,1] neg_hi:[0,1]
	s_wait_dscnt 0x0
	v_pk_mul_f32 v[96:97], v[92:93], v[84:85] op_sel:[0,1]
	s_delay_alu instid0(VALU_DEP_1) | instskip(SKIP_1) | instid1(VALU_DEP_1)
	v_pk_fma_f32 v[98:99], v[92:93], v[82:83], v[96:97] op_sel:[0,0,1] op_sel_hi:[1,1,0] neg_lo:[0,0,1] neg_hi:[0,0,1]
	v_pk_fma_f32 v[92:93], v[92:93], v[82:83], v[96:97] op_sel:[0,0,1] op_sel_hi:[1,0,0]
	v_mov_b32_e32 v99, v93
	v_pk_mul_f32 v[92:93], v[94:95], v[84:85] op_sel:[0,1]
	s_delay_alu instid0(VALU_DEP_1) | instskip(SKIP_1) | instid1(VALU_DEP_1)
	v_pk_fma_f32 v[96:97], v[94:95], v[82:83], v[92:93] op_sel:[0,0,1] op_sel_hi:[1,1,0] neg_lo:[0,0,1] neg_hi:[0,0,1]
	v_pk_fma_f32 v[92:93], v[94:95], v[82:83], v[92:93] op_sel:[0,0,1] op_sel_hi:[1,0,0]
	v_mov_b32_e32 v97, v93
	ds_load_2addr_b64 v[92:95], v86 offset0:33 offset1:34
	v_pk_add_f32 v[8:9], v[8:9], v[98:99] neg_lo:[0,1] neg_hi:[0,1]
	v_pk_add_f32 v[56:57], v[56:57], v[96:97] neg_lo:[0,1] neg_hi:[0,1]
	s_wait_dscnt 0x0
	v_dual_mul_f32 v96, v93, v85 :: v_dual_mul_f32 v98, v93, v82
	s_delay_alu instid0(VALU_DEP_1) | instskip(NEXT) | instid1(VALU_DEP_2)
	v_pk_fma_f32 v[96:97], v[92:93], v[60:61], v[96:97] op_sel_hi:[1,1,0] neg_lo:[0,0,1] neg_hi:[0,0,1]
	v_pk_fma_f32 v[92:93], v[92:93], v[60:61], v[98:99] op_sel:[1,0,0] op_sel_hi:[0,1,0]
	s_delay_alu instid0(VALU_DEP_1) | instskip(SKIP_1) | instid1(VALU_DEP_2)
	v_mov_b32_e32 v97, v93
	v_pk_mul_f32 v[92:93], v[94:95], v[84:85] op_sel:[0,1]
	v_pk_add_f32 v[6:7], v[6:7], v[96:97] neg_lo:[0,1] neg_hi:[0,1]
	s_delay_alu instid0(VALU_DEP_2) | instskip(SKIP_1) | instid1(VALU_DEP_1)
	v_pk_fma_f32 v[96:97], v[94:95], v[82:83], v[92:93] op_sel:[0,0,1] op_sel_hi:[1,1,0] neg_lo:[0,0,1] neg_hi:[0,0,1]
	v_pk_fma_f32 v[92:93], v[94:95], v[82:83], v[92:93] op_sel:[0,0,1] op_sel_hi:[1,0,0]
	v_mov_b32_e32 v97, v93
	ds_load_2addr_b64 v[92:95], v86 offset0:35 offset1:36
	v_pk_add_f32 v[54:55], v[54:55], v[96:97] neg_lo:[0,1] neg_hi:[0,1]
	s_wait_dscnt 0x0
	v_pk_mul_f32 v[96:97], v[92:93], v[84:85] op_sel:[0,1]
	s_delay_alu instid0(VALU_DEP_1) | instskip(SKIP_1) | instid1(VALU_DEP_1)
	v_pk_fma_f32 v[98:99], v[92:93], v[82:83], v[96:97] op_sel:[0,0,1] op_sel_hi:[1,1,0] neg_lo:[0,0,1] neg_hi:[0,0,1]
	v_pk_fma_f32 v[92:93], v[92:93], v[82:83], v[96:97] op_sel:[0,0,1] op_sel_hi:[1,0,0]
	v_mov_b32_e32 v99, v93
	v_pk_mul_f32 v[92:93], v[94:95], v[84:85] op_sel:[0,1]
	s_delay_alu instid0(VALU_DEP_2) | instskip(NEXT) | instid1(VALU_DEP_2)
	v_pk_add_f32 v[46:47], v[46:47], v[98:99] neg_lo:[0,1] neg_hi:[0,1]
	v_pk_fma_f32 v[96:97], v[94:95], v[82:83], v[92:93] op_sel:[0,0,1] op_sel_hi:[1,1,0] neg_lo:[0,0,1] neg_hi:[0,0,1]
	v_pk_fma_f32 v[92:93], v[94:95], v[82:83], v[92:93] op_sel:[0,0,1] op_sel_hi:[1,0,0]
	s_delay_alu instid0(VALU_DEP_1) | instskip(SKIP_4) | instid1(VALU_DEP_1)
	v_mov_b32_e32 v97, v93
	ds_load_b64 v[92:93], v86 offset:296
	v_pk_add_f32 v[26:27], v[26:27], v[96:97] neg_lo:[0,1] neg_hi:[0,1]
	s_wait_dscnt 0x0
	v_pk_mul_f32 v[84:85], v[92:93], v[84:85] op_sel:[0,1]
	v_pk_fma_f32 v[94:95], v[92:93], v[82:83], v[84:85] op_sel:[0,0,1] op_sel_hi:[1,1,0] neg_lo:[0,0,1] neg_hi:[0,0,1]
	v_pk_fma_f32 v[82:83], v[92:93], v[82:83], v[84:85] op_sel:[0,0,1] op_sel_hi:[1,0,0]
	s_delay_alu instid0(VALU_DEP_1) | instskip(NEXT) | instid1(VALU_DEP_1)
	v_mov_b32_e32 v95, v83
	v_pk_add_f32 v[80:81], v[80:81], v[94:95] neg_lo:[0,1] neg_hi:[0,1]
.LBB74_104:
	s_or_b32 exec_lo, exec_lo, s0
	v_lshl_add_u32 v82, v90, 3, v86
	s_barrier_signal -1
	s_barrier_wait -1
	ds_store_b64 v82, v[16:17]
	s_wait_dscnt 0x0
	s_barrier_signal -1
	s_barrier_wait -1
	ds_load_b64 v[84:85], v86 offset:40
	v_mov_b32_e32 v82, 5
	s_cmp_lt_i32 s18, 7
	s_cbranch_scc1 .LBB74_107
; %bb.105:
	v_add3_u32 v83, v87, 0, 48
	v_mov_b32_e32 v82, 5
	s_mov_b32 s0, 6
.LBB74_106:                             ; =>This Inner Loop Header: Depth=1
	ds_load_b64 v[92:93], v83
	s_wait_dscnt 0x1
	v_cmp_gt_f32_e32 vcc_lo, 0, v84
	v_cndmask_b32_e64 v94, v84, -v84, vcc_lo
	v_cmp_gt_f32_e32 vcc_lo, 0, v85
	v_cndmask_b32_e64 v96, v85, -v85, vcc_lo
	s_wait_dscnt 0x0
	v_cmp_gt_f32_e32 vcc_lo, 0, v92
	v_cndmask_b32_e64 v95, v92, -v92, vcc_lo
	v_cmp_gt_f32_e32 vcc_lo, 0, v93
	v_cndmask_b32_e64 v97, v93, -v93, vcc_lo
	s_delay_alu instid0(VALU_DEP_1) | instskip(NEXT) | instid1(VALU_DEP_1)
	v_pk_add_f32 v[94:95], v[94:95], v[96:97]
	v_cmp_lt_f32_e32 vcc_lo, v94, v95
	v_dual_add_nc_u32 v83, 8, v83 :: v_dual_cndmask_b32 v85, v85, v93, vcc_lo
	v_cndmask_b32_e32 v84, v84, v92, vcc_lo
	v_cndmask_b32_e64 v82, v82, s0, vcc_lo
	s_add_co_i32 s0, s0, 1
	s_delay_alu instid0(SALU_CYCLE_1)
	s_cmp_lg_u32 s18, s0
	s_cbranch_scc1 .LBB74_106
.LBB74_107:
	s_wait_dscnt 0x0
	v_cmp_eq_f32_e32 vcc_lo, 0, v84
	v_cmp_eq_f32_e64 s0, 0, v85
	s_and_b32 s0, vcc_lo, s0
	s_delay_alu instid0(SALU_CYCLE_1) | instskip(NEXT) | instid1(SALU_CYCLE_1)
	s_and_saveexec_b32 s1, s0
	s_xor_b32 s0, exec_lo, s1
; %bb.108:
	v_cmp_ne_u32_e32 vcc_lo, 0, v88
	v_cndmask_b32_e32 v88, 6, v88, vcc_lo
; %bb.109:
	s_and_not1_saveexec_b32 s0, s0
	s_cbranch_execz .LBB74_115
; %bb.110:
	v_cmp_ngt_f32_e64 s1, |v84|, |v85|
	s_and_saveexec_b32 s12, s1
	s_delay_alu instid0(SALU_CYCLE_1)
	s_xor_b32 s1, exec_lo, s12
	s_cbranch_execz .LBB74_112
; %bb.111:
	v_div_scale_f32 v83, null, v85, v85, v84
	v_div_scale_f32 v93, vcc_lo, v84, v85, v84
	s_delay_alu instid0(VALU_DEP_2) | instskip(SKIP_1) | instid1(TRANS32_DEP_1)
	v_rcp_f32_e32 v91, v83
	v_nop
	v_fma_f32 v92, -v83, v91, 1.0
	s_delay_alu instid0(VALU_DEP_1) | instskip(NEXT) | instid1(VALU_DEP_1)
	v_fmac_f32_e32 v91, v92, v91
	v_mul_f32_e32 v92, v93, v91
	s_delay_alu instid0(VALU_DEP_1) | instskip(NEXT) | instid1(VALU_DEP_1)
	v_fma_f32 v94, -v83, v92, v93
	v_fmac_f32_e32 v92, v94, v91
	s_delay_alu instid0(VALU_DEP_1) | instskip(NEXT) | instid1(VALU_DEP_1)
	v_fma_f32 v83, -v83, v92, v93
	v_div_fmas_f32 v83, v83, v91, v92
	s_delay_alu instid0(VALU_DEP_1) | instskip(NEXT) | instid1(VALU_DEP_1)
	v_div_fixup_f32 v83, v83, v85, v84
	v_fmac_f32_e32 v85, v84, v83
	s_delay_alu instid0(VALU_DEP_1) | instskip(SKIP_1) | instid1(VALU_DEP_2)
	v_div_scale_f32 v84, null, v85, v85, 1.0
	v_div_scale_f32 v93, vcc_lo, 1.0, v85, 1.0
	v_rcp_f32_e32 v91, v84
	v_nop
	s_delay_alu instid0(TRANS32_DEP_1) | instskip(NEXT) | instid1(VALU_DEP_1)
	v_fma_f32 v92, -v84, v91, 1.0
	v_fmac_f32_e32 v91, v92, v91
	s_delay_alu instid0(VALU_DEP_1) | instskip(NEXT) | instid1(VALU_DEP_1)
	v_mul_f32_e32 v92, v93, v91
	v_fma_f32 v94, -v84, v92, v93
	s_delay_alu instid0(VALU_DEP_1) | instskip(NEXT) | instid1(VALU_DEP_1)
	v_fmac_f32_e32 v92, v94, v91
	v_fma_f32 v84, -v84, v92, v93
	s_delay_alu instid0(VALU_DEP_1) | instskip(NEXT) | instid1(VALU_DEP_1)
	v_div_fmas_f32 v84, v84, v91, v92
	v_div_fixup_f32 v85, v84, v85, 1.0
	s_delay_alu instid0(VALU_DEP_1)
	v_mul_f32_e32 v84, v83, v85
	v_xor_b32_e32 v85, 0x80000000, v85
.LBB74_112:
	s_and_not1_saveexec_b32 s1, s1
	s_cbranch_execz .LBB74_114
; %bb.113:
	s_delay_alu instid0(VALU_DEP_1) | instskip(SKIP_1) | instid1(VALU_DEP_2)
	v_div_scale_f32 v83, null, v84, v84, v85
	v_div_scale_f32 v93, vcc_lo, v85, v84, v85
	v_rcp_f32_e32 v91, v83
	v_nop
	s_delay_alu instid0(TRANS32_DEP_1) | instskip(NEXT) | instid1(VALU_DEP_1)
	v_fma_f32 v92, -v83, v91, 1.0
	v_fmac_f32_e32 v91, v92, v91
	s_delay_alu instid0(VALU_DEP_1) | instskip(NEXT) | instid1(VALU_DEP_1)
	v_mul_f32_e32 v92, v93, v91
	v_fma_f32 v94, -v83, v92, v93
	s_delay_alu instid0(VALU_DEP_1) | instskip(NEXT) | instid1(VALU_DEP_1)
	v_fmac_f32_e32 v92, v94, v91
	v_fma_f32 v83, -v83, v92, v93
	s_delay_alu instid0(VALU_DEP_1) | instskip(NEXT) | instid1(VALU_DEP_1)
	v_div_fmas_f32 v83, v83, v91, v92
	v_div_fixup_f32 v83, v83, v84, v85
	s_delay_alu instid0(VALU_DEP_1) | instskip(NEXT) | instid1(VALU_DEP_1)
	v_fmac_f32_e32 v84, v85, v83
	v_div_scale_f32 v85, null, v84, v84, 1.0
	s_delay_alu instid0(VALU_DEP_1) | instskip(SKIP_1) | instid1(TRANS32_DEP_1)
	v_rcp_f32_e32 v91, v85
	v_nop
	v_fma_f32 v92, -v85, v91, 1.0
	s_delay_alu instid0(VALU_DEP_1) | instskip(SKIP_1) | instid1(VALU_DEP_1)
	v_fmac_f32_e32 v91, v92, v91
	v_div_scale_f32 v92, vcc_lo, 1.0, v84, 1.0
	v_mul_f32_e32 v93, v92, v91
	s_delay_alu instid0(VALU_DEP_1) | instskip(NEXT) | instid1(VALU_DEP_1)
	v_fma_f32 v94, -v85, v93, v92
	v_fmac_f32_e32 v93, v94, v91
	s_delay_alu instid0(VALU_DEP_1) | instskip(NEXT) | instid1(VALU_DEP_1)
	v_fma_f32 v85, -v85, v93, v92
	v_div_fmas_f32 v85, v85, v91, v93
	s_delay_alu instid0(VALU_DEP_1) | instskip(NEXT) | instid1(VALU_DEP_1)
	v_div_fixup_f32 v84, v85, v84, 1.0
	v_mul_f32_e64 v85, v83, -v84
.LBB74_114:
	s_or_b32 exec_lo, exec_lo, s1
.LBB74_115:
	s_delay_alu instid0(SALU_CYCLE_1) | instskip(NEXT) | instid1(SALU_CYCLE_1)
	s_or_b32 exec_lo, exec_lo, s0
	s_mov_b32 s0, exec_lo
	v_cmpx_ne_u32_e64 v90, v82
	s_xor_b32 s0, exec_lo, s0
	s_cbranch_execz .LBB74_121
; %bb.116:
	s_mov_b32 s1, exec_lo
	v_cmpx_eq_u32_e32 5, v90
	s_cbranch_execz .LBB74_120
; %bb.117:
	v_cmp_ne_u32_e32 vcc_lo, 5, v82
	s_xor_b32 s12, s16, -1
	s_delay_alu instid0(SALU_CYCLE_1) | instskip(NEXT) | instid1(SALU_CYCLE_1)
	s_and_b32 s13, s12, vcc_lo
	s_and_saveexec_b32 s12, s13
	s_cbranch_execz .LBB74_119
; %bb.118:
	v_ashrrev_i32_e32 v83, 31, v82
	s_delay_alu instid0(VALU_DEP_1)
	v_lshl_add_u64 v[90:91], v[82:83], 2, v[4:5]
	s_clause 0x1
	global_load_b32 v83, v[90:91], off
	global_load_b32 v89, v[4:5], off offset:20
	s_wait_loadcnt 0x1
	global_store_b32 v[4:5], v83, off offset:20
	s_wait_loadcnt 0x0
	global_store_b32 v[90:91], v89, off
.LBB74_119:
	s_wait_xcnt 0x0
	s_or_b32 exec_lo, exec_lo, s12
	v_dual_mov_b32 v90, v82 :: v_dual_mov_b32 v89, v82
.LBB74_120:
	s_or_b32 exec_lo, exec_lo, s1
.LBB74_121:
	s_and_not1_saveexec_b32 s0, s0
	s_cbranch_execz .LBB74_123
; %bb.122:
	v_dual_mov_b32 v82, v18 :: v_dual_mov_b32 v83, v19
	v_dual_mov_b32 v90, v14 :: v_dual_mov_b32 v91, v15
	;; [unrolled: 1-line block ×12, first 2 shown]
	ds_store_2addr_b64 v86, v[82:83], v[90:91] offset0:6 offset1:7
	ds_store_2addr_b64 v86, v[92:93], v[94:95] offset0:8 offset1:9
	;; [unrolled: 1-line block ×6, first 2 shown]
	v_dual_mov_b32 v82, v52 :: v_dual_mov_b32 v83, v53
	v_dual_mov_b32 v90, v48 :: v_dual_mov_b32 v91, v49
	;; [unrolled: 1-line block ×12, first 2 shown]
	ds_store_2addr_b64 v86, v[82:83], v[90:91] offset0:18 offset1:19
	ds_store_2addr_b64 v86, v[92:93], v[94:95] offset0:20 offset1:21
	;; [unrolled: 1-line block ×6, first 2 shown]
	v_dual_mov_b32 v82, v12 :: v_dual_mov_b32 v83, v13
	v_dual_mov_b32 v92, v8 :: v_dual_mov_b32 v93, v9
	;; [unrolled: 1-line block ×7, first 2 shown]
	v_mov_b32_e32 v103, v27
	ds_store_2addr_b64 v86, v[82:83], v[92:93] offset0:30 offset1:31
	ds_store_2addr_b64 v86, v[94:95], v[96:97] offset0:32 offset1:33
	;; [unrolled: 1-line block ×4, first 2 shown]
.LBB74_123:
	s_or_b32 exec_lo, exec_lo, s0
	s_delay_alu instid0(SALU_CYCLE_1)
	s_mov_b32 s0, exec_lo
	s_wait_storecnt_dscnt 0x0
	s_barrier_signal -1
	s_barrier_wait -1
	v_cmpx_lt_i32_e32 5, v90
	s_cbranch_execz .LBB74_125
; %bb.124:
	v_pk_mul_f32 v[92:93], v[84:85], v[16:17] op_sel:[1,1] op_sel_hi:[0,1]
	s_delay_alu instid0(VALU_DEP_1)
	v_pk_fma_f32 v[82:83], v[84:85], v[16:17], v[92:93] op_sel_hi:[1,0,1] neg_lo:[0,0,1] neg_hi:[0,0,1]
	v_pk_fma_f32 v[84:85], v[84:85], v[16:17], v[92:93] op_sel_hi:[1,0,1]
	ds_load_2addr_b64 v[92:95], v86 offset0:6 offset1:7
	v_dual_mov_b32 v16, v82 :: v_dual_mov_b32 v17, v85
	s_wait_dscnt 0x0
	v_pk_mul_f32 v[96:97], v[92:93], v[84:85] op_sel:[0,1]
	s_delay_alu instid0(VALU_DEP_1) | instskip(SKIP_1) | instid1(VALU_DEP_1)
	v_pk_fma_f32 v[98:99], v[92:93], v[82:83], v[96:97] op_sel:[0,0,1] op_sel_hi:[1,1,0] neg_lo:[0,0,1] neg_hi:[0,0,1]
	v_pk_fma_f32 v[92:93], v[92:93], v[82:83], v[96:97] op_sel:[0,0,1] op_sel_hi:[1,0,0]
	v_mov_b32_e32 v99, v93
	v_pk_mul_f32 v[92:93], v[94:95], v[84:85] op_sel:[0,1]
	s_delay_alu instid0(VALU_DEP_1) | instskip(SKIP_1) | instid1(VALU_DEP_1)
	v_pk_fma_f32 v[96:97], v[94:95], v[82:83], v[92:93] op_sel:[0,0,1] op_sel_hi:[1,1,0] neg_lo:[0,0,1] neg_hi:[0,0,1]
	v_pk_fma_f32 v[92:93], v[94:95], v[82:83], v[92:93] op_sel:[0,0,1] op_sel_hi:[1,0,0]
	v_mov_b32_e32 v97, v93
	ds_load_2addr_b64 v[92:95], v86 offset0:8 offset1:9
	v_pk_add_f32 v[18:19], v[18:19], v[98:99] neg_lo:[0,1] neg_hi:[0,1]
	v_pk_add_f32 v[14:15], v[14:15], v[96:97] neg_lo:[0,1] neg_hi:[0,1]
	s_wait_dscnt 0x0
	v_pk_mul_f32 v[96:97], v[92:93], v[84:85] op_sel:[0,1]
	s_delay_alu instid0(VALU_DEP_1) | instskip(SKIP_2) | instid1(VALU_DEP_2)
	v_pk_fma_f32 v[98:99], v[92:93], v[82:83], v[96:97] op_sel:[0,0,1] op_sel_hi:[1,1,0] neg_lo:[0,0,1] neg_hi:[0,0,1]
	v_pk_fma_f32 v[92:93], v[92:93], v[82:83], v[96:97] op_sel:[0,0,1] op_sel_hi:[1,0,0]
	v_dual_mul_f32 v96, v95, v85 :: v_dual_mov_b32 v92, v95
	v_dual_mov_b32 v99, v93 :: v_dual_mov_b32 v93, v94
	s_delay_alu instid0(VALU_DEP_2) | instskip(SKIP_1) | instid1(VALU_DEP_3)
	v_pk_fma_f32 v[96:97], v[94:95], v[16:17], v[96:97] op_sel_hi:[1,1,0] neg_lo:[0,0,1] neg_hi:[0,0,1]
	v_mul_f32_e32 v94, v95, v82
	v_pk_add_f32 v[62:63], v[62:63], v[98:99] neg_lo:[0,1] neg_hi:[0,1]
	s_delay_alu instid0(VALU_DEP_2) | instskip(NEXT) | instid1(VALU_DEP_1)
	v_pk_fma_f32 v[92:93], v[92:93], v[16:17], v[94:95] op_sel_hi:[1,1,0]
	v_mov_b32_e32 v97, v93
	ds_load_2addr_b64 v[92:95], v86 offset0:10 offset1:11
	v_pk_add_f32 v[22:23], v[22:23], v[96:97] neg_lo:[0,1] neg_hi:[0,1]
	s_wait_dscnt 0x0
	v_pk_mul_f32 v[96:97], v[92:93], v[84:85] op_sel:[0,1]
	s_delay_alu instid0(VALU_DEP_1) | instskip(SKIP_1) | instid1(VALU_DEP_1)
	v_pk_fma_f32 v[98:99], v[92:93], v[82:83], v[96:97] op_sel:[0,0,1] op_sel_hi:[1,1,0] neg_lo:[0,0,1] neg_hi:[0,0,1]
	v_pk_fma_f32 v[92:93], v[92:93], v[82:83], v[96:97] op_sel:[0,0,1] op_sel_hi:[1,0,0]
	v_mov_b32_e32 v99, v93
	v_pk_mul_f32 v[92:93], v[94:95], v[84:85] op_sel:[0,1]
	s_delay_alu instid0(VALU_DEP_1) | instskip(SKIP_1) | instid1(VALU_DEP_1)
	v_pk_fma_f32 v[96:97], v[94:95], v[82:83], v[92:93] op_sel:[0,0,1] op_sel_hi:[1,1,0] neg_lo:[0,0,1] neg_hi:[0,0,1]
	v_pk_fma_f32 v[92:93], v[94:95], v[82:83], v[92:93] op_sel:[0,0,1] op_sel_hi:[1,0,0]
	v_mov_b32_e32 v97, v93
	ds_load_2addr_b64 v[92:95], v86 offset0:12 offset1:13
	v_pk_add_f32 v[24:25], v[24:25], v[98:99] neg_lo:[0,1] neg_hi:[0,1]
	v_pk_add_f32 v[20:21], v[20:21], v[96:97] neg_lo:[0,1] neg_hi:[0,1]
	s_wait_dscnt 0x0
	v_pk_mul_f32 v[96:97], v[92:93], v[84:85] op_sel:[0,1]
	s_delay_alu instid0(VALU_DEP_1) | instskip(SKIP_1) | instid1(VALU_DEP_1)
	v_pk_fma_f32 v[98:99], v[92:93], v[82:83], v[96:97] op_sel:[0,0,1] op_sel_hi:[1,1,0] neg_lo:[0,0,1] neg_hi:[0,0,1]
	v_pk_fma_f32 v[92:93], v[92:93], v[82:83], v[96:97] op_sel:[0,0,1] op_sel_hi:[1,0,0]
	v_mov_b32_e32 v99, v93
	v_pk_mul_f32 v[92:93], v[94:95], v[84:85] op_sel:[0,1]
	s_delay_alu instid0(VALU_DEP_1) | instskip(SKIP_1) | instid1(VALU_DEP_1)
	v_pk_fma_f32 v[96:97], v[94:95], v[82:83], v[92:93] op_sel:[0,0,1] op_sel_hi:[1,1,0] neg_lo:[0,0,1] neg_hi:[0,0,1]
	v_pk_fma_f32 v[92:93], v[94:95], v[82:83], v[92:93] op_sel:[0,0,1] op_sel_hi:[1,0,0]
	v_mov_b32_e32 v97, v93
	ds_load_2addr_b64 v[92:95], v86 offset0:14 offset1:15
	v_pk_add_f32 v[64:65], v[64:65], v[98:99] neg_lo:[0,1] neg_hi:[0,1]
	v_pk_add_f32 v[30:31], v[30:31], v[96:97] neg_lo:[0,1] neg_hi:[0,1]
	s_wait_dscnt 0x0
	v_dual_mul_f32 v96, v93, v85 :: v_dual_mul_f32 v98, v93, v82
	s_delay_alu instid0(VALU_DEP_1) | instskip(NEXT) | instid1(VALU_DEP_2)
	v_pk_fma_f32 v[96:97], v[92:93], v[16:17], v[96:97] op_sel_hi:[1,1,0] neg_lo:[0,0,1] neg_hi:[0,0,1]
	v_pk_fma_f32 v[92:93], v[92:93], v[16:17], v[98:99] op_sel:[1,0,0] op_sel_hi:[0,1,0]
	s_delay_alu instid0(VALU_DEP_1) | instskip(SKIP_1) | instid1(VALU_DEP_2)
	v_mov_b32_e32 v97, v93
	v_pk_mul_f32 v[92:93], v[94:95], v[84:85] op_sel:[0,1]
	v_pk_add_f32 v[32:33], v[32:33], v[96:97] neg_lo:[0,1] neg_hi:[0,1]
	s_delay_alu instid0(VALU_DEP_2) | instskip(SKIP_1) | instid1(VALU_DEP_1)
	v_pk_fma_f32 v[96:97], v[94:95], v[82:83], v[92:93] op_sel:[0,0,1] op_sel_hi:[1,1,0] neg_lo:[0,0,1] neg_hi:[0,0,1]
	v_pk_fma_f32 v[92:93], v[94:95], v[82:83], v[92:93] op_sel:[0,0,1] op_sel_hi:[1,0,0]
	v_mov_b32_e32 v97, v93
	ds_load_2addr_b64 v[92:95], v86 offset0:16 offset1:17
	v_pk_add_f32 v[28:29], v[28:29], v[96:97] neg_lo:[0,1] neg_hi:[0,1]
	s_wait_dscnt 0x0
	v_pk_mul_f32 v[96:97], v[92:93], v[84:85] op_sel:[0,1]
	s_delay_alu instid0(VALU_DEP_1) | instskip(SKIP_1) | instid1(VALU_DEP_1)
	v_pk_fma_f32 v[98:99], v[92:93], v[82:83], v[96:97] op_sel:[0,0,1] op_sel_hi:[1,1,0] neg_lo:[0,0,1] neg_hi:[0,0,1]
	v_pk_fma_f32 v[92:93], v[92:93], v[82:83], v[96:97] op_sel:[0,0,1] op_sel_hi:[1,0,0]
	v_mov_b32_e32 v99, v93
	v_pk_mul_f32 v[92:93], v[94:95], v[84:85] op_sel:[0,1]
	s_delay_alu instid0(VALU_DEP_2) | instskip(NEXT) | instid1(VALU_DEP_2)
	v_pk_add_f32 v[70:71], v[70:71], v[98:99] neg_lo:[0,1] neg_hi:[0,1]
	v_pk_fma_f32 v[96:97], v[94:95], v[82:83], v[92:93] op_sel:[0,0,1] op_sel_hi:[1,1,0] neg_lo:[0,0,1] neg_hi:[0,0,1]
	v_pk_fma_f32 v[92:93], v[94:95], v[82:83], v[92:93] op_sel:[0,0,1] op_sel_hi:[1,0,0]
	s_delay_alu instid0(VALU_DEP_1) | instskip(SKIP_4) | instid1(VALU_DEP_1)
	v_mov_b32_e32 v97, v93
	ds_load_2addr_b64 v[92:95], v86 offset0:18 offset1:19
	v_pk_add_f32 v[50:51], v[50:51], v[96:97] neg_lo:[0,1] neg_hi:[0,1]
	s_wait_dscnt 0x0
	v_pk_mul_f32 v[96:97], v[92:93], v[84:85] op_sel:[0,1]
	v_pk_fma_f32 v[98:99], v[92:93], v[82:83], v[96:97] op_sel:[0,0,1] op_sel_hi:[1,1,0] neg_lo:[0,0,1] neg_hi:[0,0,1]
	v_pk_fma_f32 v[92:93], v[92:93], v[82:83], v[96:97] op_sel:[0,0,1] op_sel_hi:[1,0,0]
	v_dual_mul_f32 v96, v95, v85 :: v_dual_mov_b32 v92, v95
	s_delay_alu instid0(VALU_DEP_2) | instskip(NEXT) | instid1(VALU_DEP_2)
	v_dual_mov_b32 v99, v93 :: v_dual_mov_b32 v93, v94
	v_pk_fma_f32 v[96:97], v[94:95], v[16:17], v[96:97] op_sel_hi:[1,1,0] neg_lo:[0,0,1] neg_hi:[0,0,1]
	v_mul_f32_e32 v94, v95, v82
	s_delay_alu instid0(VALU_DEP_3) | instskip(NEXT) | instid1(VALU_DEP_2)
	v_pk_add_f32 v[52:53], v[52:53], v[98:99] neg_lo:[0,1] neg_hi:[0,1]
	v_pk_fma_f32 v[92:93], v[92:93], v[16:17], v[94:95] op_sel_hi:[1,1,0]
	s_delay_alu instid0(VALU_DEP_1) | instskip(SKIP_4) | instid1(VALU_DEP_1)
	v_mov_b32_e32 v97, v93
	ds_load_2addr_b64 v[92:95], v86 offset0:20 offset1:21
	v_pk_add_f32 v[48:49], v[48:49], v[96:97] neg_lo:[0,1] neg_hi:[0,1]
	s_wait_dscnt 0x0
	v_pk_mul_f32 v[96:97], v[92:93], v[84:85] op_sel:[0,1]
	v_pk_fma_f32 v[98:99], v[92:93], v[82:83], v[96:97] op_sel:[0,0,1] op_sel_hi:[1,1,0] neg_lo:[0,0,1] neg_hi:[0,0,1]
	v_pk_fma_f32 v[92:93], v[92:93], v[82:83], v[96:97] op_sel:[0,0,1] op_sel_hi:[1,0,0]
	s_delay_alu instid0(VALU_DEP_1) | instskip(SKIP_1) | instid1(VALU_DEP_1)
	v_mov_b32_e32 v99, v93
	v_pk_mul_f32 v[92:93], v[94:95], v[84:85] op_sel:[0,1]
	v_pk_fma_f32 v[96:97], v[94:95], v[82:83], v[92:93] op_sel:[0,0,1] op_sel_hi:[1,1,0] neg_lo:[0,0,1] neg_hi:[0,0,1]
	v_pk_fma_f32 v[92:93], v[94:95], v[82:83], v[92:93] op_sel:[0,0,1] op_sel_hi:[1,0,0]
	s_delay_alu instid0(VALU_DEP_1)
	v_mov_b32_e32 v97, v93
	ds_load_2addr_b64 v[92:95], v86 offset0:22 offset1:23
	v_pk_add_f32 v[68:69], v[68:69], v[98:99] neg_lo:[0,1] neg_hi:[0,1]
	v_pk_add_f32 v[42:43], v[42:43], v[96:97] neg_lo:[0,1] neg_hi:[0,1]
	s_wait_dscnt 0x0
	v_pk_mul_f32 v[96:97], v[92:93], v[84:85] op_sel:[0,1]
	s_delay_alu instid0(VALU_DEP_1) | instskip(SKIP_1) | instid1(VALU_DEP_1)
	v_pk_fma_f32 v[98:99], v[92:93], v[82:83], v[96:97] op_sel:[0,0,1] op_sel_hi:[1,1,0] neg_lo:[0,0,1] neg_hi:[0,0,1]
	v_pk_fma_f32 v[92:93], v[92:93], v[82:83], v[96:97] op_sel:[0,0,1] op_sel_hi:[1,0,0]
	v_mov_b32_e32 v99, v93
	v_pk_mul_f32 v[92:93], v[94:95], v[84:85] op_sel:[0,1]
	s_delay_alu instid0(VALU_DEP_1) | instskip(SKIP_1) | instid1(VALU_DEP_1)
	v_pk_fma_f32 v[96:97], v[94:95], v[82:83], v[92:93] op_sel:[0,0,1] op_sel_hi:[1,1,0] neg_lo:[0,0,1] neg_hi:[0,0,1]
	v_pk_fma_f32 v[92:93], v[94:95], v[82:83], v[92:93] op_sel:[0,0,1] op_sel_hi:[1,0,0]
	v_mov_b32_e32 v97, v93
	ds_load_2addr_b64 v[92:95], v86 offset0:24 offset1:25
	v_pk_add_f32 v[44:45], v[44:45], v[98:99] neg_lo:[0,1] neg_hi:[0,1]
	v_pk_add_f32 v[40:41], v[40:41], v[96:97] neg_lo:[0,1] neg_hi:[0,1]
	s_wait_dscnt 0x0
	v_dual_mul_f32 v96, v93, v85 :: v_dual_mul_f32 v98, v93, v82
	s_delay_alu instid0(VALU_DEP_1) | instskip(NEXT) | instid1(VALU_DEP_2)
	v_pk_fma_f32 v[96:97], v[92:93], v[16:17], v[96:97] op_sel_hi:[1,1,0] neg_lo:[0,0,1] neg_hi:[0,0,1]
	v_pk_fma_f32 v[92:93], v[92:93], v[16:17], v[98:99] op_sel:[1,0,0] op_sel_hi:[0,1,0]
	s_delay_alu instid0(VALU_DEP_1) | instskip(SKIP_1) | instid1(VALU_DEP_2)
	v_mov_b32_e32 v97, v93
	v_pk_mul_f32 v[92:93], v[94:95], v[84:85] op_sel:[0,1]
	v_pk_add_f32 v[66:67], v[66:67], v[96:97] neg_lo:[0,1] neg_hi:[0,1]
	s_delay_alu instid0(VALU_DEP_2) | instskip(SKIP_1) | instid1(VALU_DEP_1)
	v_pk_fma_f32 v[96:97], v[94:95], v[82:83], v[92:93] op_sel:[0,0,1] op_sel_hi:[1,1,0] neg_lo:[0,0,1] neg_hi:[0,0,1]
	v_pk_fma_f32 v[92:93], v[94:95], v[82:83], v[92:93] op_sel:[0,0,1] op_sel_hi:[1,0,0]
	v_mov_b32_e32 v97, v93
	ds_load_2addr_b64 v[92:95], v86 offset0:26 offset1:27
	v_pk_add_f32 v[36:37], v[36:37], v[96:97] neg_lo:[0,1] neg_hi:[0,1]
	s_wait_dscnt 0x0
	v_pk_mul_f32 v[96:97], v[92:93], v[84:85] op_sel:[0,1]
	s_delay_alu instid0(VALU_DEP_1) | instskip(SKIP_1) | instid1(VALU_DEP_1)
	v_pk_fma_f32 v[98:99], v[92:93], v[82:83], v[96:97] op_sel:[0,0,1] op_sel_hi:[1,1,0] neg_lo:[0,0,1] neg_hi:[0,0,1]
	v_pk_fma_f32 v[92:93], v[92:93], v[82:83], v[96:97] op_sel:[0,0,1] op_sel_hi:[1,0,0]
	v_mov_b32_e32 v99, v93
	v_pk_mul_f32 v[92:93], v[94:95], v[84:85] op_sel:[0,1]
	s_delay_alu instid0(VALU_DEP_2) | instskip(NEXT) | instid1(VALU_DEP_2)
	v_pk_add_f32 v[38:39], v[38:39], v[98:99] neg_lo:[0,1] neg_hi:[0,1]
	v_pk_fma_f32 v[96:97], v[94:95], v[82:83], v[92:93] op_sel:[0,0,1] op_sel_hi:[1,1,0] neg_lo:[0,0,1] neg_hi:[0,0,1]
	v_pk_fma_f32 v[92:93], v[94:95], v[82:83], v[92:93] op_sel:[0,0,1] op_sel_hi:[1,0,0]
	s_delay_alu instid0(VALU_DEP_1) | instskip(SKIP_4) | instid1(VALU_DEP_1)
	v_mov_b32_e32 v97, v93
	ds_load_2addr_b64 v[92:95], v86 offset0:28 offset1:29
	v_pk_add_f32 v[34:35], v[34:35], v[96:97] neg_lo:[0,1] neg_hi:[0,1]
	s_wait_dscnt 0x0
	v_pk_mul_f32 v[96:97], v[92:93], v[84:85] op_sel:[0,1]
	v_pk_fma_f32 v[98:99], v[92:93], v[82:83], v[96:97] op_sel:[0,0,1] op_sel_hi:[1,1,0] neg_lo:[0,0,1] neg_hi:[0,0,1]
	v_pk_fma_f32 v[92:93], v[92:93], v[82:83], v[96:97] op_sel:[0,0,1] op_sel_hi:[1,0,0]
	v_dual_mul_f32 v96, v95, v85 :: v_dual_mov_b32 v92, v95
	s_delay_alu instid0(VALU_DEP_2) | instskip(NEXT) | instid1(VALU_DEP_2)
	v_dual_mov_b32 v99, v93 :: v_dual_mov_b32 v93, v94
	v_pk_fma_f32 v[96:97], v[94:95], v[16:17], v[96:97] op_sel_hi:[1,1,0] neg_lo:[0,0,1] neg_hi:[0,0,1]
	v_mul_f32_e32 v94, v95, v82
	s_delay_alu instid0(VALU_DEP_3) | instskip(NEXT) | instid1(VALU_DEP_2)
	v_pk_add_f32 v[58:59], v[58:59], v[98:99] neg_lo:[0,1] neg_hi:[0,1]
	v_pk_fma_f32 v[92:93], v[92:93], v[16:17], v[94:95] op_sel_hi:[1,1,0]
	s_delay_alu instid0(VALU_DEP_1) | instskip(SKIP_4) | instid1(VALU_DEP_1)
	v_mov_b32_e32 v97, v93
	ds_load_2addr_b64 v[92:95], v86 offset0:30 offset1:31
	v_pk_add_f32 v[10:11], v[10:11], v[96:97] neg_lo:[0,1] neg_hi:[0,1]
	s_wait_dscnt 0x0
	v_pk_mul_f32 v[96:97], v[92:93], v[84:85] op_sel:[0,1]
	v_pk_fma_f32 v[98:99], v[92:93], v[82:83], v[96:97] op_sel:[0,0,1] op_sel_hi:[1,1,0] neg_lo:[0,0,1] neg_hi:[0,0,1]
	v_pk_fma_f32 v[92:93], v[92:93], v[82:83], v[96:97] op_sel:[0,0,1] op_sel_hi:[1,0,0]
	s_delay_alu instid0(VALU_DEP_1) | instskip(SKIP_1) | instid1(VALU_DEP_1)
	v_mov_b32_e32 v99, v93
	v_pk_mul_f32 v[92:93], v[94:95], v[84:85] op_sel:[0,1]
	v_pk_fma_f32 v[96:97], v[94:95], v[82:83], v[92:93] op_sel:[0,0,1] op_sel_hi:[1,1,0] neg_lo:[0,0,1] neg_hi:[0,0,1]
	v_pk_fma_f32 v[92:93], v[94:95], v[82:83], v[92:93] op_sel:[0,0,1] op_sel_hi:[1,0,0]
	s_delay_alu instid0(VALU_DEP_1)
	v_mov_b32_e32 v97, v93
	ds_load_2addr_b64 v[92:95], v86 offset0:32 offset1:33
	v_pk_add_f32 v[12:13], v[12:13], v[98:99] neg_lo:[0,1] neg_hi:[0,1]
	v_pk_add_f32 v[8:9], v[8:9], v[96:97] neg_lo:[0,1] neg_hi:[0,1]
	s_wait_dscnt 0x0
	v_pk_mul_f32 v[96:97], v[92:93], v[84:85] op_sel:[0,1]
	s_delay_alu instid0(VALU_DEP_1) | instskip(SKIP_1) | instid1(VALU_DEP_1)
	v_pk_fma_f32 v[98:99], v[92:93], v[82:83], v[96:97] op_sel:[0,0,1] op_sel_hi:[1,1,0] neg_lo:[0,0,1] neg_hi:[0,0,1]
	v_pk_fma_f32 v[92:93], v[92:93], v[82:83], v[96:97] op_sel:[0,0,1] op_sel_hi:[1,0,0]
	v_mov_b32_e32 v99, v93
	v_pk_mul_f32 v[92:93], v[94:95], v[84:85] op_sel:[0,1]
	s_delay_alu instid0(VALU_DEP_1) | instskip(SKIP_1) | instid1(VALU_DEP_1)
	v_pk_fma_f32 v[96:97], v[94:95], v[82:83], v[92:93] op_sel:[0,0,1] op_sel_hi:[1,1,0] neg_lo:[0,0,1] neg_hi:[0,0,1]
	v_pk_fma_f32 v[92:93], v[94:95], v[82:83], v[92:93] op_sel:[0,0,1] op_sel_hi:[1,0,0]
	v_mov_b32_e32 v97, v93
	ds_load_2addr_b64 v[92:95], v86 offset0:34 offset1:35
	v_pk_add_f32 v[56:57], v[56:57], v[98:99] neg_lo:[0,1] neg_hi:[0,1]
	v_pk_add_f32 v[6:7], v[6:7], v[96:97] neg_lo:[0,1] neg_hi:[0,1]
	s_wait_dscnt 0x0
	v_dual_mul_f32 v96, v93, v85 :: v_dual_mul_f32 v98, v93, v82
	s_delay_alu instid0(VALU_DEP_1) | instskip(NEXT) | instid1(VALU_DEP_2)
	v_pk_fma_f32 v[96:97], v[92:93], v[16:17], v[96:97] op_sel_hi:[1,1,0] neg_lo:[0,0,1] neg_hi:[0,0,1]
	v_pk_fma_f32 v[92:93], v[92:93], v[16:17], v[98:99] op_sel:[1,0,0] op_sel_hi:[0,1,0]
	s_delay_alu instid0(VALU_DEP_1) | instskip(SKIP_1) | instid1(VALU_DEP_2)
	v_mov_b32_e32 v97, v93
	v_pk_mul_f32 v[92:93], v[94:95], v[84:85] op_sel:[0,1]
	v_pk_add_f32 v[54:55], v[54:55], v[96:97] neg_lo:[0,1] neg_hi:[0,1]
	s_delay_alu instid0(VALU_DEP_2) | instskip(SKIP_1) | instid1(VALU_DEP_1)
	v_pk_fma_f32 v[96:97], v[94:95], v[82:83], v[92:93] op_sel:[0,0,1] op_sel_hi:[1,1,0] neg_lo:[0,0,1] neg_hi:[0,0,1]
	v_pk_fma_f32 v[92:93], v[94:95], v[82:83], v[92:93] op_sel:[0,0,1] op_sel_hi:[1,0,0]
	v_mov_b32_e32 v97, v93
	ds_load_2addr_b64 v[92:95], v86 offset0:36 offset1:37
	v_pk_add_f32 v[46:47], v[46:47], v[96:97] neg_lo:[0,1] neg_hi:[0,1]
	s_wait_dscnt 0x0
	v_pk_mul_f32 v[96:97], v[92:93], v[84:85] op_sel:[0,1]
	v_pk_mul_f32 v[84:85], v[94:95], v[84:85] op_sel:[0,1]
	s_delay_alu instid0(VALU_DEP_2) | instskip(SKIP_1) | instid1(VALU_DEP_1)
	v_pk_fma_f32 v[98:99], v[92:93], v[82:83], v[96:97] op_sel:[0,0,1] op_sel_hi:[1,1,0] neg_lo:[0,0,1] neg_hi:[0,0,1]
	v_pk_fma_f32 v[92:93], v[92:93], v[82:83], v[96:97] op_sel:[0,0,1] op_sel_hi:[1,0,0]
	v_mov_b32_e32 v99, v93
	s_delay_alu instid0(VALU_DEP_4) | instskip(SKIP_1) | instid1(VALU_DEP_3)
	v_pk_fma_f32 v[92:93], v[94:95], v[82:83], v[84:85] op_sel:[0,0,1] op_sel_hi:[1,1,0] neg_lo:[0,0,1] neg_hi:[0,0,1]
	v_pk_fma_f32 v[82:83], v[94:95], v[82:83], v[84:85] op_sel:[0,0,1] op_sel_hi:[1,0,0]
	v_pk_add_f32 v[26:27], v[26:27], v[98:99] neg_lo:[0,1] neg_hi:[0,1]
	s_delay_alu instid0(VALU_DEP_2) | instskip(NEXT) | instid1(VALU_DEP_1)
	v_mov_b32_e32 v93, v83
	v_pk_add_f32 v[80:81], v[80:81], v[92:93] neg_lo:[0,1] neg_hi:[0,1]
.LBB74_125:
	s_or_b32 exec_lo, exec_lo, s0
	v_lshl_add_u32 v82, v90, 3, v86
	s_barrier_signal -1
	s_barrier_wait -1
	ds_store_b64 v82, v[18:19]
	s_wait_dscnt 0x0
	s_barrier_signal -1
	s_barrier_wait -1
	ds_load_b64 v[84:85], v86 offset:48
	v_mov_b32_e32 v82, 6
	s_cmp_lt_i32 s18, 8
	s_cbranch_scc1 .LBB74_128
; %bb.126:
	v_add3_u32 v83, v87, 0, 56
	v_mov_b32_e32 v82, 6
	s_mov_b32 s0, 7
.LBB74_127:                             ; =>This Inner Loop Header: Depth=1
	ds_load_b64 v[92:93], v83
	s_wait_dscnt 0x1
	v_cmp_gt_f32_e32 vcc_lo, 0, v84
	v_cndmask_b32_e64 v94, v84, -v84, vcc_lo
	v_cmp_gt_f32_e32 vcc_lo, 0, v85
	v_cndmask_b32_e64 v96, v85, -v85, vcc_lo
	s_wait_dscnt 0x0
	v_cmp_gt_f32_e32 vcc_lo, 0, v92
	v_cndmask_b32_e64 v95, v92, -v92, vcc_lo
	v_cmp_gt_f32_e32 vcc_lo, 0, v93
	v_cndmask_b32_e64 v97, v93, -v93, vcc_lo
	s_delay_alu instid0(VALU_DEP_1) | instskip(NEXT) | instid1(VALU_DEP_1)
	v_pk_add_f32 v[94:95], v[94:95], v[96:97]
	v_cmp_lt_f32_e32 vcc_lo, v94, v95
	v_dual_add_nc_u32 v83, 8, v83 :: v_dual_cndmask_b32 v85, v85, v93, vcc_lo
	v_cndmask_b32_e32 v84, v84, v92, vcc_lo
	v_cndmask_b32_e64 v82, v82, s0, vcc_lo
	s_add_co_i32 s0, s0, 1
	s_delay_alu instid0(SALU_CYCLE_1)
	s_cmp_lg_u32 s18, s0
	s_cbranch_scc1 .LBB74_127
.LBB74_128:
	s_wait_dscnt 0x0
	v_cmp_eq_f32_e32 vcc_lo, 0, v84
	v_cmp_eq_f32_e64 s0, 0, v85
	s_and_b32 s0, vcc_lo, s0
	s_delay_alu instid0(SALU_CYCLE_1) | instskip(NEXT) | instid1(SALU_CYCLE_1)
	s_and_saveexec_b32 s1, s0
	s_xor_b32 s0, exec_lo, s1
; %bb.129:
	v_cmp_ne_u32_e32 vcc_lo, 0, v88
	v_cndmask_b32_e32 v88, 7, v88, vcc_lo
; %bb.130:
	s_and_not1_saveexec_b32 s0, s0
	s_cbranch_execz .LBB74_136
; %bb.131:
	v_cmp_ngt_f32_e64 s1, |v84|, |v85|
	s_and_saveexec_b32 s12, s1
	s_delay_alu instid0(SALU_CYCLE_1)
	s_xor_b32 s1, exec_lo, s12
	s_cbranch_execz .LBB74_133
; %bb.132:
	v_div_scale_f32 v83, null, v85, v85, v84
	v_div_scale_f32 v93, vcc_lo, v84, v85, v84
	s_delay_alu instid0(VALU_DEP_2) | instskip(SKIP_1) | instid1(TRANS32_DEP_1)
	v_rcp_f32_e32 v91, v83
	v_nop
	v_fma_f32 v92, -v83, v91, 1.0
	s_delay_alu instid0(VALU_DEP_1) | instskip(NEXT) | instid1(VALU_DEP_1)
	v_fmac_f32_e32 v91, v92, v91
	v_mul_f32_e32 v92, v93, v91
	s_delay_alu instid0(VALU_DEP_1) | instskip(NEXT) | instid1(VALU_DEP_1)
	v_fma_f32 v94, -v83, v92, v93
	v_fmac_f32_e32 v92, v94, v91
	s_delay_alu instid0(VALU_DEP_1) | instskip(NEXT) | instid1(VALU_DEP_1)
	v_fma_f32 v83, -v83, v92, v93
	v_div_fmas_f32 v83, v83, v91, v92
	s_delay_alu instid0(VALU_DEP_1) | instskip(NEXT) | instid1(VALU_DEP_1)
	v_div_fixup_f32 v83, v83, v85, v84
	v_fmac_f32_e32 v85, v84, v83
	s_delay_alu instid0(VALU_DEP_1) | instskip(SKIP_1) | instid1(VALU_DEP_2)
	v_div_scale_f32 v84, null, v85, v85, 1.0
	v_div_scale_f32 v93, vcc_lo, 1.0, v85, 1.0
	v_rcp_f32_e32 v91, v84
	v_nop
	s_delay_alu instid0(TRANS32_DEP_1) | instskip(NEXT) | instid1(VALU_DEP_1)
	v_fma_f32 v92, -v84, v91, 1.0
	v_fmac_f32_e32 v91, v92, v91
	s_delay_alu instid0(VALU_DEP_1) | instskip(NEXT) | instid1(VALU_DEP_1)
	v_mul_f32_e32 v92, v93, v91
	v_fma_f32 v94, -v84, v92, v93
	s_delay_alu instid0(VALU_DEP_1) | instskip(NEXT) | instid1(VALU_DEP_1)
	v_fmac_f32_e32 v92, v94, v91
	v_fma_f32 v84, -v84, v92, v93
	s_delay_alu instid0(VALU_DEP_1) | instskip(NEXT) | instid1(VALU_DEP_1)
	v_div_fmas_f32 v84, v84, v91, v92
	v_div_fixup_f32 v85, v84, v85, 1.0
	s_delay_alu instid0(VALU_DEP_1)
	v_mul_f32_e32 v84, v83, v85
	v_xor_b32_e32 v85, 0x80000000, v85
.LBB74_133:
	s_and_not1_saveexec_b32 s1, s1
	s_cbranch_execz .LBB74_135
; %bb.134:
	s_delay_alu instid0(VALU_DEP_1) | instskip(SKIP_1) | instid1(VALU_DEP_2)
	v_div_scale_f32 v83, null, v84, v84, v85
	v_div_scale_f32 v93, vcc_lo, v85, v84, v85
	v_rcp_f32_e32 v91, v83
	v_nop
	s_delay_alu instid0(TRANS32_DEP_1) | instskip(NEXT) | instid1(VALU_DEP_1)
	v_fma_f32 v92, -v83, v91, 1.0
	v_fmac_f32_e32 v91, v92, v91
	s_delay_alu instid0(VALU_DEP_1) | instskip(NEXT) | instid1(VALU_DEP_1)
	v_mul_f32_e32 v92, v93, v91
	v_fma_f32 v94, -v83, v92, v93
	s_delay_alu instid0(VALU_DEP_1) | instskip(NEXT) | instid1(VALU_DEP_1)
	v_fmac_f32_e32 v92, v94, v91
	v_fma_f32 v83, -v83, v92, v93
	s_delay_alu instid0(VALU_DEP_1) | instskip(NEXT) | instid1(VALU_DEP_1)
	v_div_fmas_f32 v83, v83, v91, v92
	v_div_fixup_f32 v83, v83, v84, v85
	s_delay_alu instid0(VALU_DEP_1) | instskip(NEXT) | instid1(VALU_DEP_1)
	v_fmac_f32_e32 v84, v85, v83
	v_div_scale_f32 v85, null, v84, v84, 1.0
	s_delay_alu instid0(VALU_DEP_1) | instskip(SKIP_1) | instid1(TRANS32_DEP_1)
	v_rcp_f32_e32 v91, v85
	v_nop
	v_fma_f32 v92, -v85, v91, 1.0
	s_delay_alu instid0(VALU_DEP_1) | instskip(SKIP_1) | instid1(VALU_DEP_1)
	v_fmac_f32_e32 v91, v92, v91
	v_div_scale_f32 v92, vcc_lo, 1.0, v84, 1.0
	v_mul_f32_e32 v93, v92, v91
	s_delay_alu instid0(VALU_DEP_1) | instskip(NEXT) | instid1(VALU_DEP_1)
	v_fma_f32 v94, -v85, v93, v92
	v_fmac_f32_e32 v93, v94, v91
	s_delay_alu instid0(VALU_DEP_1) | instskip(NEXT) | instid1(VALU_DEP_1)
	v_fma_f32 v85, -v85, v93, v92
	v_div_fmas_f32 v85, v85, v91, v93
	s_delay_alu instid0(VALU_DEP_1) | instskip(NEXT) | instid1(VALU_DEP_1)
	v_div_fixup_f32 v84, v85, v84, 1.0
	v_mul_f32_e64 v85, v83, -v84
.LBB74_135:
	s_or_b32 exec_lo, exec_lo, s1
.LBB74_136:
	s_delay_alu instid0(SALU_CYCLE_1) | instskip(NEXT) | instid1(SALU_CYCLE_1)
	s_or_b32 exec_lo, exec_lo, s0
	s_mov_b32 s0, exec_lo
	v_cmpx_ne_u32_e64 v90, v82
	s_xor_b32 s0, exec_lo, s0
	s_cbranch_execz .LBB74_142
; %bb.137:
	s_mov_b32 s1, exec_lo
	v_cmpx_eq_u32_e32 6, v90
	s_cbranch_execz .LBB74_141
; %bb.138:
	v_cmp_ne_u32_e32 vcc_lo, 6, v82
	s_xor_b32 s12, s16, -1
	s_delay_alu instid0(SALU_CYCLE_1) | instskip(NEXT) | instid1(SALU_CYCLE_1)
	s_and_b32 s13, s12, vcc_lo
	s_and_saveexec_b32 s12, s13
	s_cbranch_execz .LBB74_140
; %bb.139:
	v_ashrrev_i32_e32 v83, 31, v82
	s_delay_alu instid0(VALU_DEP_1)
	v_lshl_add_u64 v[90:91], v[82:83], 2, v[4:5]
	s_clause 0x1
	global_load_b32 v83, v[90:91], off
	global_load_b32 v89, v[4:5], off offset:24
	s_wait_loadcnt 0x1
	global_store_b32 v[4:5], v83, off offset:24
	s_wait_loadcnt 0x0
	global_store_b32 v[90:91], v89, off
.LBB74_140:
	s_wait_xcnt 0x0
	s_or_b32 exec_lo, exec_lo, s12
	v_dual_mov_b32 v90, v82 :: v_dual_mov_b32 v89, v82
.LBB74_141:
	s_or_b32 exec_lo, exec_lo, s1
.LBB74_142:
	s_and_not1_saveexec_b32 s0, s0
	s_cbranch_execz .LBB74_144
; %bb.143:
	v_mov_b32_e32 v90, 6
	ds_store_2addr_b64 v86, v[14:15], v[62:63] offset0:7 offset1:8
	ds_store_2addr_b64 v86, v[22:23], v[24:25] offset0:9 offset1:10
	;; [unrolled: 1-line block ×15, first 2 shown]
	ds_store_b64 v86, v[80:81] offset:296
.LBB74_144:
	s_or_b32 exec_lo, exec_lo, s0
	s_delay_alu instid0(SALU_CYCLE_1)
	s_mov_b32 s0, exec_lo
	s_wait_storecnt_dscnt 0x0
	s_barrier_signal -1
	s_barrier_wait -1
	v_cmpx_lt_i32_e32 6, v90
	s_cbranch_execz .LBB74_146
; %bb.145:
	v_pk_mul_f32 v[92:93], v[84:85], v[18:19] op_sel:[1,1] op_sel_hi:[0,1]
	s_delay_alu instid0(VALU_DEP_1)
	v_pk_fma_f32 v[82:83], v[84:85], v[18:19], v[92:93] op_sel_hi:[1,0,1] neg_lo:[0,0,1] neg_hi:[0,0,1]
	v_pk_fma_f32 v[84:85], v[84:85], v[18:19], v[92:93] op_sel_hi:[1,0,1]
	ds_load_2addr_b64 v[92:95], v86 offset0:7 offset1:8
	v_dual_mov_b32 v18, v82 :: v_dual_mov_b32 v19, v85
	s_wait_dscnt 0x0
	v_pk_mul_f32 v[96:97], v[92:93], v[84:85] op_sel:[0,1]
	s_delay_alu instid0(VALU_DEP_1) | instskip(SKIP_1) | instid1(VALU_DEP_1)
	v_pk_fma_f32 v[98:99], v[92:93], v[82:83], v[96:97] op_sel:[0,0,1] op_sel_hi:[1,1,0] neg_lo:[0,0,1] neg_hi:[0,0,1]
	v_pk_fma_f32 v[92:93], v[92:93], v[82:83], v[96:97] op_sel:[0,0,1] op_sel_hi:[1,0,0]
	v_mov_b32_e32 v99, v93
	v_pk_mul_f32 v[92:93], v[94:95], v[84:85] op_sel:[0,1]
	s_delay_alu instid0(VALU_DEP_1) | instskip(SKIP_1) | instid1(VALU_DEP_1)
	v_pk_fma_f32 v[96:97], v[94:95], v[82:83], v[92:93] op_sel:[0,0,1] op_sel_hi:[1,1,0] neg_lo:[0,0,1] neg_hi:[0,0,1]
	v_pk_fma_f32 v[92:93], v[94:95], v[82:83], v[92:93] op_sel:[0,0,1] op_sel_hi:[1,0,0]
	v_mov_b32_e32 v97, v93
	ds_load_2addr_b64 v[92:95], v86 offset0:9 offset1:10
	v_pk_add_f32 v[14:15], v[14:15], v[98:99] neg_lo:[0,1] neg_hi:[0,1]
	v_pk_add_f32 v[62:63], v[62:63], v[96:97] neg_lo:[0,1] neg_hi:[0,1]
	s_wait_dscnt 0x0
	v_pk_mul_f32 v[96:97], v[92:93], v[84:85] op_sel:[0,1]
	s_delay_alu instid0(VALU_DEP_1) | instskip(SKIP_2) | instid1(VALU_DEP_2)
	v_pk_fma_f32 v[98:99], v[92:93], v[82:83], v[96:97] op_sel:[0,0,1] op_sel_hi:[1,1,0] neg_lo:[0,0,1] neg_hi:[0,0,1]
	v_pk_fma_f32 v[92:93], v[92:93], v[82:83], v[96:97] op_sel:[0,0,1] op_sel_hi:[1,0,0]
	v_dual_mul_f32 v96, v95, v85 :: v_dual_mov_b32 v92, v95
	v_dual_mov_b32 v99, v93 :: v_dual_mov_b32 v93, v94
	s_delay_alu instid0(VALU_DEP_2) | instskip(SKIP_1) | instid1(VALU_DEP_3)
	v_pk_fma_f32 v[96:97], v[94:95], v[18:19], v[96:97] op_sel_hi:[1,1,0] neg_lo:[0,0,1] neg_hi:[0,0,1]
	v_mul_f32_e32 v94, v95, v82
	v_pk_add_f32 v[22:23], v[22:23], v[98:99] neg_lo:[0,1] neg_hi:[0,1]
	s_delay_alu instid0(VALU_DEP_2) | instskip(NEXT) | instid1(VALU_DEP_1)
	v_pk_fma_f32 v[92:93], v[92:93], v[18:19], v[94:95] op_sel_hi:[1,1,0]
	v_mov_b32_e32 v97, v93
	ds_load_2addr_b64 v[92:95], v86 offset0:11 offset1:12
	v_pk_add_f32 v[24:25], v[24:25], v[96:97] neg_lo:[0,1] neg_hi:[0,1]
	s_wait_dscnt 0x0
	v_pk_mul_f32 v[96:97], v[92:93], v[84:85] op_sel:[0,1]
	s_delay_alu instid0(VALU_DEP_1) | instskip(SKIP_1) | instid1(VALU_DEP_1)
	v_pk_fma_f32 v[98:99], v[92:93], v[82:83], v[96:97] op_sel:[0,0,1] op_sel_hi:[1,1,0] neg_lo:[0,0,1] neg_hi:[0,0,1]
	v_pk_fma_f32 v[92:93], v[92:93], v[82:83], v[96:97] op_sel:[0,0,1] op_sel_hi:[1,0,0]
	v_mov_b32_e32 v99, v93
	v_pk_mul_f32 v[92:93], v[94:95], v[84:85] op_sel:[0,1]
	s_delay_alu instid0(VALU_DEP_1) | instskip(SKIP_1) | instid1(VALU_DEP_1)
	v_pk_fma_f32 v[96:97], v[94:95], v[82:83], v[92:93] op_sel:[0,0,1] op_sel_hi:[1,1,0] neg_lo:[0,0,1] neg_hi:[0,0,1]
	v_pk_fma_f32 v[92:93], v[94:95], v[82:83], v[92:93] op_sel:[0,0,1] op_sel_hi:[1,0,0]
	v_mov_b32_e32 v97, v93
	ds_load_2addr_b64 v[92:95], v86 offset0:13 offset1:14
	v_pk_add_f32 v[20:21], v[20:21], v[98:99] neg_lo:[0,1] neg_hi:[0,1]
	v_pk_add_f32 v[64:65], v[64:65], v[96:97] neg_lo:[0,1] neg_hi:[0,1]
	s_wait_dscnt 0x0
	v_pk_mul_f32 v[96:97], v[92:93], v[84:85] op_sel:[0,1]
	s_delay_alu instid0(VALU_DEP_1) | instskip(SKIP_1) | instid1(VALU_DEP_1)
	v_pk_fma_f32 v[98:99], v[92:93], v[82:83], v[96:97] op_sel:[0,0,1] op_sel_hi:[1,1,0] neg_lo:[0,0,1] neg_hi:[0,0,1]
	v_pk_fma_f32 v[92:93], v[92:93], v[82:83], v[96:97] op_sel:[0,0,1] op_sel_hi:[1,0,0]
	v_mov_b32_e32 v99, v93
	v_pk_mul_f32 v[92:93], v[94:95], v[84:85] op_sel:[0,1]
	s_delay_alu instid0(VALU_DEP_1) | instskip(SKIP_1) | instid1(VALU_DEP_1)
	v_pk_fma_f32 v[96:97], v[94:95], v[82:83], v[92:93] op_sel:[0,0,1] op_sel_hi:[1,1,0] neg_lo:[0,0,1] neg_hi:[0,0,1]
	v_pk_fma_f32 v[92:93], v[94:95], v[82:83], v[92:93] op_sel:[0,0,1] op_sel_hi:[1,0,0]
	v_mov_b32_e32 v97, v93
	ds_load_2addr_b64 v[92:95], v86 offset0:15 offset1:16
	v_pk_add_f32 v[30:31], v[30:31], v[98:99] neg_lo:[0,1] neg_hi:[0,1]
	v_pk_add_f32 v[32:33], v[32:33], v[96:97] neg_lo:[0,1] neg_hi:[0,1]
	s_wait_dscnt 0x0
	v_dual_mul_f32 v96, v93, v85 :: v_dual_mul_f32 v98, v93, v82
	s_delay_alu instid0(VALU_DEP_1) | instskip(NEXT) | instid1(VALU_DEP_2)
	v_pk_fma_f32 v[96:97], v[92:93], v[18:19], v[96:97] op_sel_hi:[1,1,0] neg_lo:[0,0,1] neg_hi:[0,0,1]
	v_pk_fma_f32 v[92:93], v[92:93], v[18:19], v[98:99] op_sel:[1,0,0] op_sel_hi:[0,1,0]
	s_delay_alu instid0(VALU_DEP_1) | instskip(SKIP_1) | instid1(VALU_DEP_2)
	v_mov_b32_e32 v97, v93
	v_pk_mul_f32 v[92:93], v[94:95], v[84:85] op_sel:[0,1]
	v_pk_add_f32 v[28:29], v[28:29], v[96:97] neg_lo:[0,1] neg_hi:[0,1]
	s_delay_alu instid0(VALU_DEP_2) | instskip(SKIP_1) | instid1(VALU_DEP_1)
	v_pk_fma_f32 v[96:97], v[94:95], v[82:83], v[92:93] op_sel:[0,0,1] op_sel_hi:[1,1,0] neg_lo:[0,0,1] neg_hi:[0,0,1]
	v_pk_fma_f32 v[92:93], v[94:95], v[82:83], v[92:93] op_sel:[0,0,1] op_sel_hi:[1,0,0]
	v_mov_b32_e32 v97, v93
	ds_load_2addr_b64 v[92:95], v86 offset0:17 offset1:18
	v_pk_add_f32 v[70:71], v[70:71], v[96:97] neg_lo:[0,1] neg_hi:[0,1]
	s_wait_dscnt 0x0
	v_pk_mul_f32 v[96:97], v[92:93], v[84:85] op_sel:[0,1]
	s_delay_alu instid0(VALU_DEP_1) | instskip(SKIP_1) | instid1(VALU_DEP_1)
	v_pk_fma_f32 v[98:99], v[92:93], v[82:83], v[96:97] op_sel:[0,0,1] op_sel_hi:[1,1,0] neg_lo:[0,0,1] neg_hi:[0,0,1]
	v_pk_fma_f32 v[92:93], v[92:93], v[82:83], v[96:97] op_sel:[0,0,1] op_sel_hi:[1,0,0]
	v_mov_b32_e32 v99, v93
	v_pk_mul_f32 v[92:93], v[94:95], v[84:85] op_sel:[0,1]
	s_delay_alu instid0(VALU_DEP_2) | instskip(NEXT) | instid1(VALU_DEP_2)
	v_pk_add_f32 v[50:51], v[50:51], v[98:99] neg_lo:[0,1] neg_hi:[0,1]
	v_pk_fma_f32 v[96:97], v[94:95], v[82:83], v[92:93] op_sel:[0,0,1] op_sel_hi:[1,1,0] neg_lo:[0,0,1] neg_hi:[0,0,1]
	v_pk_fma_f32 v[92:93], v[94:95], v[82:83], v[92:93] op_sel:[0,0,1] op_sel_hi:[1,0,0]
	s_delay_alu instid0(VALU_DEP_1) | instskip(SKIP_4) | instid1(VALU_DEP_1)
	v_mov_b32_e32 v97, v93
	ds_load_2addr_b64 v[92:95], v86 offset0:19 offset1:20
	v_pk_add_f32 v[52:53], v[52:53], v[96:97] neg_lo:[0,1] neg_hi:[0,1]
	s_wait_dscnt 0x0
	v_pk_mul_f32 v[96:97], v[92:93], v[84:85] op_sel:[0,1]
	v_pk_fma_f32 v[98:99], v[92:93], v[82:83], v[96:97] op_sel:[0,0,1] op_sel_hi:[1,1,0] neg_lo:[0,0,1] neg_hi:[0,0,1]
	v_pk_fma_f32 v[92:93], v[92:93], v[82:83], v[96:97] op_sel:[0,0,1] op_sel_hi:[1,0,0]
	v_dual_mul_f32 v96, v95, v85 :: v_dual_mov_b32 v92, v95
	s_delay_alu instid0(VALU_DEP_2) | instskip(NEXT) | instid1(VALU_DEP_2)
	v_dual_mov_b32 v99, v93 :: v_dual_mov_b32 v93, v94
	v_pk_fma_f32 v[96:97], v[94:95], v[18:19], v[96:97] op_sel_hi:[1,1,0] neg_lo:[0,0,1] neg_hi:[0,0,1]
	v_mul_f32_e32 v94, v95, v82
	s_delay_alu instid0(VALU_DEP_3) | instskip(NEXT) | instid1(VALU_DEP_2)
	v_pk_add_f32 v[48:49], v[48:49], v[98:99] neg_lo:[0,1] neg_hi:[0,1]
	v_pk_fma_f32 v[92:93], v[92:93], v[18:19], v[94:95] op_sel_hi:[1,1,0]
	s_delay_alu instid0(VALU_DEP_1) | instskip(SKIP_4) | instid1(VALU_DEP_1)
	v_mov_b32_e32 v97, v93
	ds_load_2addr_b64 v[92:95], v86 offset0:21 offset1:22
	v_pk_add_f32 v[68:69], v[68:69], v[96:97] neg_lo:[0,1] neg_hi:[0,1]
	s_wait_dscnt 0x0
	v_pk_mul_f32 v[96:97], v[92:93], v[84:85] op_sel:[0,1]
	v_pk_fma_f32 v[98:99], v[92:93], v[82:83], v[96:97] op_sel:[0,0,1] op_sel_hi:[1,1,0] neg_lo:[0,0,1] neg_hi:[0,0,1]
	v_pk_fma_f32 v[92:93], v[92:93], v[82:83], v[96:97] op_sel:[0,0,1] op_sel_hi:[1,0,0]
	s_delay_alu instid0(VALU_DEP_1) | instskip(SKIP_1) | instid1(VALU_DEP_1)
	v_mov_b32_e32 v99, v93
	v_pk_mul_f32 v[92:93], v[94:95], v[84:85] op_sel:[0,1]
	v_pk_fma_f32 v[96:97], v[94:95], v[82:83], v[92:93] op_sel:[0,0,1] op_sel_hi:[1,1,0] neg_lo:[0,0,1] neg_hi:[0,0,1]
	v_pk_fma_f32 v[92:93], v[94:95], v[82:83], v[92:93] op_sel:[0,0,1] op_sel_hi:[1,0,0]
	s_delay_alu instid0(VALU_DEP_1)
	v_mov_b32_e32 v97, v93
	ds_load_2addr_b64 v[92:95], v86 offset0:23 offset1:24
	v_pk_add_f32 v[42:43], v[42:43], v[98:99] neg_lo:[0,1] neg_hi:[0,1]
	v_pk_add_f32 v[44:45], v[44:45], v[96:97] neg_lo:[0,1] neg_hi:[0,1]
	s_wait_dscnt 0x0
	v_pk_mul_f32 v[96:97], v[92:93], v[84:85] op_sel:[0,1]
	s_delay_alu instid0(VALU_DEP_1) | instskip(SKIP_1) | instid1(VALU_DEP_1)
	v_pk_fma_f32 v[98:99], v[92:93], v[82:83], v[96:97] op_sel:[0,0,1] op_sel_hi:[1,1,0] neg_lo:[0,0,1] neg_hi:[0,0,1]
	v_pk_fma_f32 v[92:93], v[92:93], v[82:83], v[96:97] op_sel:[0,0,1] op_sel_hi:[1,0,0]
	v_mov_b32_e32 v99, v93
	v_pk_mul_f32 v[92:93], v[94:95], v[84:85] op_sel:[0,1]
	s_delay_alu instid0(VALU_DEP_1) | instskip(SKIP_1) | instid1(VALU_DEP_1)
	v_pk_fma_f32 v[96:97], v[94:95], v[82:83], v[92:93] op_sel:[0,0,1] op_sel_hi:[1,1,0] neg_lo:[0,0,1] neg_hi:[0,0,1]
	v_pk_fma_f32 v[92:93], v[94:95], v[82:83], v[92:93] op_sel:[0,0,1] op_sel_hi:[1,0,0]
	v_mov_b32_e32 v97, v93
	ds_load_2addr_b64 v[92:95], v86 offset0:25 offset1:26
	v_pk_add_f32 v[40:41], v[40:41], v[98:99] neg_lo:[0,1] neg_hi:[0,1]
	v_pk_add_f32 v[66:67], v[66:67], v[96:97] neg_lo:[0,1] neg_hi:[0,1]
	s_wait_dscnt 0x0
	v_dual_mul_f32 v96, v93, v85 :: v_dual_mul_f32 v98, v93, v82
	s_delay_alu instid0(VALU_DEP_1) | instskip(NEXT) | instid1(VALU_DEP_2)
	v_pk_fma_f32 v[96:97], v[92:93], v[18:19], v[96:97] op_sel_hi:[1,1,0] neg_lo:[0,0,1] neg_hi:[0,0,1]
	v_pk_fma_f32 v[92:93], v[92:93], v[18:19], v[98:99] op_sel:[1,0,0] op_sel_hi:[0,1,0]
	s_delay_alu instid0(VALU_DEP_1) | instskip(SKIP_1) | instid1(VALU_DEP_2)
	v_mov_b32_e32 v97, v93
	v_pk_mul_f32 v[92:93], v[94:95], v[84:85] op_sel:[0,1]
	v_pk_add_f32 v[36:37], v[36:37], v[96:97] neg_lo:[0,1] neg_hi:[0,1]
	s_delay_alu instid0(VALU_DEP_2) | instskip(SKIP_1) | instid1(VALU_DEP_1)
	v_pk_fma_f32 v[96:97], v[94:95], v[82:83], v[92:93] op_sel:[0,0,1] op_sel_hi:[1,1,0] neg_lo:[0,0,1] neg_hi:[0,0,1]
	v_pk_fma_f32 v[92:93], v[94:95], v[82:83], v[92:93] op_sel:[0,0,1] op_sel_hi:[1,0,0]
	v_mov_b32_e32 v97, v93
	ds_load_2addr_b64 v[92:95], v86 offset0:27 offset1:28
	v_pk_add_f32 v[38:39], v[38:39], v[96:97] neg_lo:[0,1] neg_hi:[0,1]
	s_wait_dscnt 0x0
	v_pk_mul_f32 v[96:97], v[92:93], v[84:85] op_sel:[0,1]
	s_delay_alu instid0(VALU_DEP_1) | instskip(SKIP_1) | instid1(VALU_DEP_1)
	v_pk_fma_f32 v[98:99], v[92:93], v[82:83], v[96:97] op_sel:[0,0,1] op_sel_hi:[1,1,0] neg_lo:[0,0,1] neg_hi:[0,0,1]
	v_pk_fma_f32 v[92:93], v[92:93], v[82:83], v[96:97] op_sel:[0,0,1] op_sel_hi:[1,0,0]
	v_mov_b32_e32 v99, v93
	v_pk_mul_f32 v[92:93], v[94:95], v[84:85] op_sel:[0,1]
	s_delay_alu instid0(VALU_DEP_2) | instskip(NEXT) | instid1(VALU_DEP_2)
	v_pk_add_f32 v[34:35], v[34:35], v[98:99] neg_lo:[0,1] neg_hi:[0,1]
	v_pk_fma_f32 v[96:97], v[94:95], v[82:83], v[92:93] op_sel:[0,0,1] op_sel_hi:[1,1,0] neg_lo:[0,0,1] neg_hi:[0,0,1]
	v_pk_fma_f32 v[92:93], v[94:95], v[82:83], v[92:93] op_sel:[0,0,1] op_sel_hi:[1,0,0]
	s_delay_alu instid0(VALU_DEP_1) | instskip(SKIP_4) | instid1(VALU_DEP_1)
	v_mov_b32_e32 v97, v93
	ds_load_2addr_b64 v[92:95], v86 offset0:29 offset1:30
	v_pk_add_f32 v[58:59], v[58:59], v[96:97] neg_lo:[0,1] neg_hi:[0,1]
	s_wait_dscnt 0x0
	v_pk_mul_f32 v[96:97], v[92:93], v[84:85] op_sel:[0,1]
	v_pk_fma_f32 v[98:99], v[92:93], v[82:83], v[96:97] op_sel:[0,0,1] op_sel_hi:[1,1,0] neg_lo:[0,0,1] neg_hi:[0,0,1]
	v_pk_fma_f32 v[92:93], v[92:93], v[82:83], v[96:97] op_sel:[0,0,1] op_sel_hi:[1,0,0]
	v_dual_mul_f32 v96, v95, v85 :: v_dual_mov_b32 v92, v95
	s_delay_alu instid0(VALU_DEP_2) | instskip(NEXT) | instid1(VALU_DEP_2)
	v_dual_mov_b32 v99, v93 :: v_dual_mov_b32 v93, v94
	v_pk_fma_f32 v[96:97], v[94:95], v[18:19], v[96:97] op_sel_hi:[1,1,0] neg_lo:[0,0,1] neg_hi:[0,0,1]
	v_mul_f32_e32 v94, v95, v82
	s_delay_alu instid0(VALU_DEP_3) | instskip(NEXT) | instid1(VALU_DEP_2)
	v_pk_add_f32 v[10:11], v[10:11], v[98:99] neg_lo:[0,1] neg_hi:[0,1]
	v_pk_fma_f32 v[92:93], v[92:93], v[18:19], v[94:95] op_sel_hi:[1,1,0]
	s_delay_alu instid0(VALU_DEP_1) | instskip(SKIP_4) | instid1(VALU_DEP_1)
	v_mov_b32_e32 v97, v93
	ds_load_2addr_b64 v[92:95], v86 offset0:31 offset1:32
	v_pk_add_f32 v[12:13], v[12:13], v[96:97] neg_lo:[0,1] neg_hi:[0,1]
	s_wait_dscnt 0x0
	v_pk_mul_f32 v[96:97], v[92:93], v[84:85] op_sel:[0,1]
	v_pk_fma_f32 v[98:99], v[92:93], v[82:83], v[96:97] op_sel:[0,0,1] op_sel_hi:[1,1,0] neg_lo:[0,0,1] neg_hi:[0,0,1]
	v_pk_fma_f32 v[92:93], v[92:93], v[82:83], v[96:97] op_sel:[0,0,1] op_sel_hi:[1,0,0]
	s_delay_alu instid0(VALU_DEP_1) | instskip(SKIP_1) | instid1(VALU_DEP_1)
	v_mov_b32_e32 v99, v93
	v_pk_mul_f32 v[92:93], v[94:95], v[84:85] op_sel:[0,1]
	v_pk_fma_f32 v[96:97], v[94:95], v[82:83], v[92:93] op_sel:[0,0,1] op_sel_hi:[1,1,0] neg_lo:[0,0,1] neg_hi:[0,0,1]
	v_pk_fma_f32 v[92:93], v[94:95], v[82:83], v[92:93] op_sel:[0,0,1] op_sel_hi:[1,0,0]
	s_delay_alu instid0(VALU_DEP_1)
	v_mov_b32_e32 v97, v93
	ds_load_2addr_b64 v[92:95], v86 offset0:33 offset1:34
	v_pk_add_f32 v[8:9], v[8:9], v[98:99] neg_lo:[0,1] neg_hi:[0,1]
	v_pk_add_f32 v[56:57], v[56:57], v[96:97] neg_lo:[0,1] neg_hi:[0,1]
	s_wait_dscnt 0x0
	v_pk_mul_f32 v[96:97], v[92:93], v[84:85] op_sel:[0,1]
	s_delay_alu instid0(VALU_DEP_1) | instskip(SKIP_1) | instid1(VALU_DEP_1)
	v_pk_fma_f32 v[98:99], v[92:93], v[82:83], v[96:97] op_sel:[0,0,1] op_sel_hi:[1,1,0] neg_lo:[0,0,1] neg_hi:[0,0,1]
	v_pk_fma_f32 v[92:93], v[92:93], v[82:83], v[96:97] op_sel:[0,0,1] op_sel_hi:[1,0,0]
	v_mov_b32_e32 v99, v93
	v_pk_mul_f32 v[92:93], v[94:95], v[84:85] op_sel:[0,1]
	s_delay_alu instid0(VALU_DEP_1) | instskip(SKIP_1) | instid1(VALU_DEP_1)
	v_pk_fma_f32 v[96:97], v[94:95], v[82:83], v[92:93] op_sel:[0,0,1] op_sel_hi:[1,1,0] neg_lo:[0,0,1] neg_hi:[0,0,1]
	v_pk_fma_f32 v[92:93], v[94:95], v[82:83], v[92:93] op_sel:[0,0,1] op_sel_hi:[1,0,0]
	v_mov_b32_e32 v97, v93
	ds_load_2addr_b64 v[92:95], v86 offset0:35 offset1:36
	v_pk_add_f32 v[6:7], v[6:7], v[98:99] neg_lo:[0,1] neg_hi:[0,1]
	v_pk_add_f32 v[54:55], v[54:55], v[96:97] neg_lo:[0,1] neg_hi:[0,1]
	s_wait_dscnt 0x0
	v_dual_mul_f32 v96, v93, v85 :: v_dual_mul_f32 v98, v93, v82
	s_delay_alu instid0(VALU_DEP_1) | instskip(NEXT) | instid1(VALU_DEP_2)
	v_pk_fma_f32 v[96:97], v[92:93], v[18:19], v[96:97] op_sel_hi:[1,1,0] neg_lo:[0,0,1] neg_hi:[0,0,1]
	v_pk_fma_f32 v[92:93], v[92:93], v[18:19], v[98:99] op_sel:[1,0,0] op_sel_hi:[0,1,0]
	s_delay_alu instid0(VALU_DEP_1) | instskip(SKIP_1) | instid1(VALU_DEP_2)
	v_mov_b32_e32 v97, v93
	v_pk_mul_f32 v[92:93], v[94:95], v[84:85] op_sel:[0,1]
	v_pk_add_f32 v[46:47], v[46:47], v[96:97] neg_lo:[0,1] neg_hi:[0,1]
	s_delay_alu instid0(VALU_DEP_2) | instskip(SKIP_1) | instid1(VALU_DEP_1)
	v_pk_fma_f32 v[96:97], v[94:95], v[82:83], v[92:93] op_sel:[0,0,1] op_sel_hi:[1,1,0] neg_lo:[0,0,1] neg_hi:[0,0,1]
	v_pk_fma_f32 v[92:93], v[94:95], v[82:83], v[92:93] op_sel:[0,0,1] op_sel_hi:[1,0,0]
	v_mov_b32_e32 v97, v93
	ds_load_b64 v[92:93], v86 offset:296
	v_pk_add_f32 v[26:27], v[26:27], v[96:97] neg_lo:[0,1] neg_hi:[0,1]
	s_wait_dscnt 0x0
	v_pk_mul_f32 v[84:85], v[92:93], v[84:85] op_sel:[0,1]
	s_delay_alu instid0(VALU_DEP_1) | instskip(SKIP_1) | instid1(VALU_DEP_1)
	v_pk_fma_f32 v[94:95], v[92:93], v[82:83], v[84:85] op_sel:[0,0,1] op_sel_hi:[1,1,0] neg_lo:[0,0,1] neg_hi:[0,0,1]
	v_pk_fma_f32 v[82:83], v[92:93], v[82:83], v[84:85] op_sel:[0,0,1] op_sel_hi:[1,0,0]
	v_mov_b32_e32 v95, v83
	s_delay_alu instid0(VALU_DEP_1)
	v_pk_add_f32 v[80:81], v[80:81], v[94:95] neg_lo:[0,1] neg_hi:[0,1]
.LBB74_146:
	s_or_b32 exec_lo, exec_lo, s0
	v_lshl_add_u32 v82, v90, 3, v86
	s_barrier_signal -1
	s_barrier_wait -1
	ds_store_b64 v82, v[14:15]
	s_wait_dscnt 0x0
	s_barrier_signal -1
	s_barrier_wait -1
	ds_load_b64 v[84:85], v86 offset:56
	v_mov_b32_e32 v82, 7
	s_cmp_lt_i32 s18, 9
	s_cbranch_scc1 .LBB74_149
; %bb.147:
	v_add3_u32 v83, v87, 0, 64
	v_mov_b32_e32 v82, 7
	s_mov_b32 s0, 8
.LBB74_148:                             ; =>This Inner Loop Header: Depth=1
	ds_load_b64 v[92:93], v83
	s_wait_dscnt 0x1
	v_cmp_gt_f32_e32 vcc_lo, 0, v84
	v_cndmask_b32_e64 v94, v84, -v84, vcc_lo
	v_cmp_gt_f32_e32 vcc_lo, 0, v85
	v_cndmask_b32_e64 v96, v85, -v85, vcc_lo
	s_wait_dscnt 0x0
	v_cmp_gt_f32_e32 vcc_lo, 0, v92
	v_cndmask_b32_e64 v95, v92, -v92, vcc_lo
	v_cmp_gt_f32_e32 vcc_lo, 0, v93
	v_cndmask_b32_e64 v97, v93, -v93, vcc_lo
	s_delay_alu instid0(VALU_DEP_1) | instskip(NEXT) | instid1(VALU_DEP_1)
	v_pk_add_f32 v[94:95], v[94:95], v[96:97]
	v_cmp_lt_f32_e32 vcc_lo, v94, v95
	v_dual_add_nc_u32 v83, 8, v83 :: v_dual_cndmask_b32 v85, v85, v93, vcc_lo
	v_cndmask_b32_e32 v84, v84, v92, vcc_lo
	v_cndmask_b32_e64 v82, v82, s0, vcc_lo
	s_add_co_i32 s0, s0, 1
	s_delay_alu instid0(SALU_CYCLE_1)
	s_cmp_lg_u32 s18, s0
	s_cbranch_scc1 .LBB74_148
.LBB74_149:
	s_wait_dscnt 0x0
	v_cmp_eq_f32_e32 vcc_lo, 0, v84
	v_cmp_eq_f32_e64 s0, 0, v85
	s_and_b32 s0, vcc_lo, s0
	s_delay_alu instid0(SALU_CYCLE_1) | instskip(NEXT) | instid1(SALU_CYCLE_1)
	s_and_saveexec_b32 s1, s0
	s_xor_b32 s0, exec_lo, s1
; %bb.150:
	v_cmp_ne_u32_e32 vcc_lo, 0, v88
	v_cndmask_b32_e32 v88, 8, v88, vcc_lo
; %bb.151:
	s_and_not1_saveexec_b32 s0, s0
	s_cbranch_execz .LBB74_157
; %bb.152:
	v_cmp_ngt_f32_e64 s1, |v84|, |v85|
	s_and_saveexec_b32 s12, s1
	s_delay_alu instid0(SALU_CYCLE_1)
	s_xor_b32 s1, exec_lo, s12
	s_cbranch_execz .LBB74_154
; %bb.153:
	v_div_scale_f32 v83, null, v85, v85, v84
	v_div_scale_f32 v93, vcc_lo, v84, v85, v84
	s_delay_alu instid0(VALU_DEP_2) | instskip(SKIP_1) | instid1(TRANS32_DEP_1)
	v_rcp_f32_e32 v91, v83
	v_nop
	v_fma_f32 v92, -v83, v91, 1.0
	s_delay_alu instid0(VALU_DEP_1) | instskip(NEXT) | instid1(VALU_DEP_1)
	v_fmac_f32_e32 v91, v92, v91
	v_mul_f32_e32 v92, v93, v91
	s_delay_alu instid0(VALU_DEP_1) | instskip(NEXT) | instid1(VALU_DEP_1)
	v_fma_f32 v94, -v83, v92, v93
	v_fmac_f32_e32 v92, v94, v91
	s_delay_alu instid0(VALU_DEP_1) | instskip(NEXT) | instid1(VALU_DEP_1)
	v_fma_f32 v83, -v83, v92, v93
	v_div_fmas_f32 v83, v83, v91, v92
	s_delay_alu instid0(VALU_DEP_1) | instskip(NEXT) | instid1(VALU_DEP_1)
	v_div_fixup_f32 v83, v83, v85, v84
	v_fmac_f32_e32 v85, v84, v83
	s_delay_alu instid0(VALU_DEP_1) | instskip(SKIP_1) | instid1(VALU_DEP_2)
	v_div_scale_f32 v84, null, v85, v85, 1.0
	v_div_scale_f32 v93, vcc_lo, 1.0, v85, 1.0
	v_rcp_f32_e32 v91, v84
	v_nop
	s_delay_alu instid0(TRANS32_DEP_1) | instskip(NEXT) | instid1(VALU_DEP_1)
	v_fma_f32 v92, -v84, v91, 1.0
	v_fmac_f32_e32 v91, v92, v91
	s_delay_alu instid0(VALU_DEP_1) | instskip(NEXT) | instid1(VALU_DEP_1)
	v_mul_f32_e32 v92, v93, v91
	v_fma_f32 v94, -v84, v92, v93
	s_delay_alu instid0(VALU_DEP_1) | instskip(NEXT) | instid1(VALU_DEP_1)
	v_fmac_f32_e32 v92, v94, v91
	v_fma_f32 v84, -v84, v92, v93
	s_delay_alu instid0(VALU_DEP_1) | instskip(NEXT) | instid1(VALU_DEP_1)
	v_div_fmas_f32 v84, v84, v91, v92
	v_div_fixup_f32 v85, v84, v85, 1.0
	s_delay_alu instid0(VALU_DEP_1)
	v_mul_f32_e32 v84, v83, v85
	v_xor_b32_e32 v85, 0x80000000, v85
.LBB74_154:
	s_and_not1_saveexec_b32 s1, s1
	s_cbranch_execz .LBB74_156
; %bb.155:
	s_delay_alu instid0(VALU_DEP_1) | instskip(SKIP_1) | instid1(VALU_DEP_2)
	v_div_scale_f32 v83, null, v84, v84, v85
	v_div_scale_f32 v93, vcc_lo, v85, v84, v85
	v_rcp_f32_e32 v91, v83
	v_nop
	s_delay_alu instid0(TRANS32_DEP_1) | instskip(NEXT) | instid1(VALU_DEP_1)
	v_fma_f32 v92, -v83, v91, 1.0
	v_fmac_f32_e32 v91, v92, v91
	s_delay_alu instid0(VALU_DEP_1) | instskip(NEXT) | instid1(VALU_DEP_1)
	v_mul_f32_e32 v92, v93, v91
	v_fma_f32 v94, -v83, v92, v93
	s_delay_alu instid0(VALU_DEP_1) | instskip(NEXT) | instid1(VALU_DEP_1)
	v_fmac_f32_e32 v92, v94, v91
	v_fma_f32 v83, -v83, v92, v93
	s_delay_alu instid0(VALU_DEP_1) | instskip(NEXT) | instid1(VALU_DEP_1)
	v_div_fmas_f32 v83, v83, v91, v92
	v_div_fixup_f32 v83, v83, v84, v85
	s_delay_alu instid0(VALU_DEP_1) | instskip(NEXT) | instid1(VALU_DEP_1)
	v_fmac_f32_e32 v84, v85, v83
	v_div_scale_f32 v85, null, v84, v84, 1.0
	s_delay_alu instid0(VALU_DEP_1) | instskip(SKIP_1) | instid1(TRANS32_DEP_1)
	v_rcp_f32_e32 v91, v85
	v_nop
	v_fma_f32 v92, -v85, v91, 1.0
	s_delay_alu instid0(VALU_DEP_1) | instskip(SKIP_1) | instid1(VALU_DEP_1)
	v_fmac_f32_e32 v91, v92, v91
	v_div_scale_f32 v92, vcc_lo, 1.0, v84, 1.0
	v_mul_f32_e32 v93, v92, v91
	s_delay_alu instid0(VALU_DEP_1) | instskip(NEXT) | instid1(VALU_DEP_1)
	v_fma_f32 v94, -v85, v93, v92
	v_fmac_f32_e32 v93, v94, v91
	s_delay_alu instid0(VALU_DEP_1) | instskip(NEXT) | instid1(VALU_DEP_1)
	v_fma_f32 v85, -v85, v93, v92
	v_div_fmas_f32 v85, v85, v91, v93
	s_delay_alu instid0(VALU_DEP_1) | instskip(NEXT) | instid1(VALU_DEP_1)
	v_div_fixup_f32 v84, v85, v84, 1.0
	v_mul_f32_e64 v85, v83, -v84
.LBB74_156:
	s_or_b32 exec_lo, exec_lo, s1
.LBB74_157:
	s_delay_alu instid0(SALU_CYCLE_1) | instskip(NEXT) | instid1(SALU_CYCLE_1)
	s_or_b32 exec_lo, exec_lo, s0
	s_mov_b32 s0, exec_lo
	v_cmpx_ne_u32_e64 v90, v82
	s_xor_b32 s0, exec_lo, s0
	s_cbranch_execz .LBB74_163
; %bb.158:
	s_mov_b32 s1, exec_lo
	v_cmpx_eq_u32_e32 7, v90
	s_cbranch_execz .LBB74_162
; %bb.159:
	v_cmp_ne_u32_e32 vcc_lo, 7, v82
	s_xor_b32 s12, s16, -1
	s_delay_alu instid0(SALU_CYCLE_1) | instskip(NEXT) | instid1(SALU_CYCLE_1)
	s_and_b32 s13, s12, vcc_lo
	s_and_saveexec_b32 s12, s13
	s_cbranch_execz .LBB74_161
; %bb.160:
	v_ashrrev_i32_e32 v83, 31, v82
	s_delay_alu instid0(VALU_DEP_1)
	v_lshl_add_u64 v[90:91], v[82:83], 2, v[4:5]
	s_clause 0x1
	global_load_b32 v83, v[90:91], off
	global_load_b32 v89, v[4:5], off offset:28
	s_wait_loadcnt 0x1
	global_store_b32 v[4:5], v83, off offset:28
	s_wait_loadcnt 0x0
	global_store_b32 v[90:91], v89, off
.LBB74_161:
	s_wait_xcnt 0x0
	s_or_b32 exec_lo, exec_lo, s12
	v_dual_mov_b32 v90, v82 :: v_dual_mov_b32 v89, v82
.LBB74_162:
	s_or_b32 exec_lo, exec_lo, s1
.LBB74_163:
	s_and_not1_saveexec_b32 s0, s0
	s_cbranch_execz .LBB74_165
; %bb.164:
	v_dual_mov_b32 v82, v62 :: v_dual_mov_b32 v83, v63
	v_dual_mov_b32 v90, v22 :: v_dual_mov_b32 v91, v23
	;; [unrolled: 1-line block ×8, first 2 shown]
	ds_store_2addr_b64 v86, v[82:83], v[90:91] offset0:8 offset1:9
	ds_store_2addr_b64 v86, v[92:93], v[94:95] offset0:10 offset1:11
	;; [unrolled: 1-line block ×4, first 2 shown]
	v_dual_mov_b32 v82, v70 :: v_dual_mov_b32 v83, v71
	v_dual_mov_b32 v90, v50 :: v_dual_mov_b32 v91, v51
	;; [unrolled: 1-line block ×12, first 2 shown]
	ds_store_2addr_b64 v86, v[82:83], v[90:91] offset0:16 offset1:17
	ds_store_2addr_b64 v86, v[92:93], v[94:95] offset0:18 offset1:19
	ds_store_2addr_b64 v86, v[96:97], v[98:99] offset0:20 offset1:21
	ds_store_2addr_b64 v86, v[100:101], v[102:103] offset0:22 offset1:23
	ds_store_2addr_b64 v86, v[104:105], v[106:107] offset0:24 offset1:25
	ds_store_2addr_b64 v86, v[108:109], v[110:111] offset0:26 offset1:27
	v_dual_mov_b32 v82, v58 :: v_dual_mov_b32 v83, v59
	v_dual_mov_b32 v92, v10 :: v_dual_mov_b32 v93, v11
	;; [unrolled: 1-line block ×9, first 2 shown]
	v_mov_b32_e32 v107, v27
	ds_store_2addr_b64 v86, v[82:83], v[92:93] offset0:28 offset1:29
	ds_store_2addr_b64 v86, v[94:95], v[96:97] offset0:30 offset1:31
	ds_store_2addr_b64 v86, v[98:99], v[100:101] offset0:32 offset1:33
	ds_store_2addr_b64 v86, v[102:103], v[104:105] offset0:34 offset1:35
	ds_store_2addr_b64 v86, v[106:107], v[80:81] offset0:36 offset1:37
.LBB74_165:
	s_or_b32 exec_lo, exec_lo, s0
	s_delay_alu instid0(SALU_CYCLE_1)
	s_mov_b32 s0, exec_lo
	s_wait_storecnt_dscnt 0x0
	s_barrier_signal -1
	s_barrier_wait -1
	v_cmpx_lt_i32_e32 7, v90
	s_cbranch_execz .LBB74_167
; %bb.166:
	v_pk_mul_f32 v[92:93], v[84:85], v[14:15] op_sel:[1,1] op_sel_hi:[0,1]
	s_delay_alu instid0(VALU_DEP_1)
	v_pk_fma_f32 v[82:83], v[84:85], v[14:15], v[92:93] op_sel_hi:[1,0,1] neg_lo:[0,0,1] neg_hi:[0,0,1]
	v_pk_fma_f32 v[84:85], v[84:85], v[14:15], v[92:93] op_sel_hi:[1,0,1]
	ds_load_2addr_b64 v[92:95], v86 offset0:8 offset1:9
	v_dual_mov_b32 v14, v82 :: v_dual_mov_b32 v15, v85
	s_wait_dscnt 0x0
	v_pk_mul_f32 v[96:97], v[92:93], v[84:85] op_sel:[0,1]
	s_delay_alu instid0(VALU_DEP_1) | instskip(SKIP_1) | instid1(VALU_DEP_1)
	v_pk_fma_f32 v[98:99], v[92:93], v[82:83], v[96:97] op_sel:[0,0,1] op_sel_hi:[1,1,0] neg_lo:[0,0,1] neg_hi:[0,0,1]
	v_pk_fma_f32 v[92:93], v[92:93], v[82:83], v[96:97] op_sel:[0,0,1] op_sel_hi:[1,0,0]
	v_mov_b32_e32 v99, v93
	v_pk_mul_f32 v[92:93], v[94:95], v[84:85] op_sel:[0,1]
	s_delay_alu instid0(VALU_DEP_1) | instskip(SKIP_1) | instid1(VALU_DEP_1)
	v_pk_fma_f32 v[96:97], v[94:95], v[82:83], v[92:93] op_sel:[0,0,1] op_sel_hi:[1,1,0] neg_lo:[0,0,1] neg_hi:[0,0,1]
	v_pk_fma_f32 v[92:93], v[94:95], v[82:83], v[92:93] op_sel:[0,0,1] op_sel_hi:[1,0,0]
	v_mov_b32_e32 v97, v93
	ds_load_2addr_b64 v[92:95], v86 offset0:10 offset1:11
	v_pk_add_f32 v[62:63], v[62:63], v[98:99] neg_lo:[0,1] neg_hi:[0,1]
	v_pk_add_f32 v[22:23], v[22:23], v[96:97] neg_lo:[0,1] neg_hi:[0,1]
	s_wait_dscnt 0x0
	v_pk_mul_f32 v[96:97], v[92:93], v[84:85] op_sel:[0,1]
	s_delay_alu instid0(VALU_DEP_1) | instskip(SKIP_2) | instid1(VALU_DEP_2)
	v_pk_fma_f32 v[98:99], v[92:93], v[82:83], v[96:97] op_sel:[0,0,1] op_sel_hi:[1,1,0] neg_lo:[0,0,1] neg_hi:[0,0,1]
	v_pk_fma_f32 v[92:93], v[92:93], v[82:83], v[96:97] op_sel:[0,0,1] op_sel_hi:[1,0,0]
	v_dual_mul_f32 v96, v95, v85 :: v_dual_mov_b32 v92, v95
	v_dual_mov_b32 v99, v93 :: v_dual_mov_b32 v93, v94
	s_delay_alu instid0(VALU_DEP_2) | instskip(SKIP_1) | instid1(VALU_DEP_3)
	v_pk_fma_f32 v[96:97], v[94:95], v[14:15], v[96:97] op_sel_hi:[1,1,0] neg_lo:[0,0,1] neg_hi:[0,0,1]
	v_mul_f32_e32 v94, v95, v82
	v_pk_add_f32 v[24:25], v[24:25], v[98:99] neg_lo:[0,1] neg_hi:[0,1]
	s_delay_alu instid0(VALU_DEP_2) | instskip(NEXT) | instid1(VALU_DEP_1)
	v_pk_fma_f32 v[92:93], v[92:93], v[14:15], v[94:95] op_sel_hi:[1,1,0]
	v_mov_b32_e32 v97, v93
	ds_load_2addr_b64 v[92:95], v86 offset0:12 offset1:13
	v_pk_add_f32 v[20:21], v[20:21], v[96:97] neg_lo:[0,1] neg_hi:[0,1]
	s_wait_dscnt 0x0
	v_pk_mul_f32 v[96:97], v[92:93], v[84:85] op_sel:[0,1]
	s_delay_alu instid0(VALU_DEP_1) | instskip(SKIP_1) | instid1(VALU_DEP_1)
	v_pk_fma_f32 v[98:99], v[92:93], v[82:83], v[96:97] op_sel:[0,0,1] op_sel_hi:[1,1,0] neg_lo:[0,0,1] neg_hi:[0,0,1]
	v_pk_fma_f32 v[92:93], v[92:93], v[82:83], v[96:97] op_sel:[0,0,1] op_sel_hi:[1,0,0]
	v_mov_b32_e32 v99, v93
	v_pk_mul_f32 v[92:93], v[94:95], v[84:85] op_sel:[0,1]
	s_delay_alu instid0(VALU_DEP_1) | instskip(SKIP_1) | instid1(VALU_DEP_1)
	v_pk_fma_f32 v[96:97], v[94:95], v[82:83], v[92:93] op_sel:[0,0,1] op_sel_hi:[1,1,0] neg_lo:[0,0,1] neg_hi:[0,0,1]
	v_pk_fma_f32 v[92:93], v[94:95], v[82:83], v[92:93] op_sel:[0,0,1] op_sel_hi:[1,0,0]
	v_mov_b32_e32 v97, v93
	ds_load_2addr_b64 v[92:95], v86 offset0:14 offset1:15
	v_pk_add_f32 v[64:65], v[64:65], v[98:99] neg_lo:[0,1] neg_hi:[0,1]
	v_pk_add_f32 v[30:31], v[30:31], v[96:97] neg_lo:[0,1] neg_hi:[0,1]
	s_wait_dscnt 0x0
	v_pk_mul_f32 v[96:97], v[92:93], v[84:85] op_sel:[0,1]
	s_delay_alu instid0(VALU_DEP_1) | instskip(SKIP_1) | instid1(VALU_DEP_1)
	v_pk_fma_f32 v[98:99], v[92:93], v[82:83], v[96:97] op_sel:[0,0,1] op_sel_hi:[1,1,0] neg_lo:[0,0,1] neg_hi:[0,0,1]
	v_pk_fma_f32 v[92:93], v[92:93], v[82:83], v[96:97] op_sel:[0,0,1] op_sel_hi:[1,0,0]
	v_mov_b32_e32 v99, v93
	v_pk_mul_f32 v[92:93], v[94:95], v[84:85] op_sel:[0,1]
	s_delay_alu instid0(VALU_DEP_1) | instskip(SKIP_1) | instid1(VALU_DEP_1)
	v_pk_fma_f32 v[96:97], v[94:95], v[82:83], v[92:93] op_sel:[0,0,1] op_sel_hi:[1,1,0] neg_lo:[0,0,1] neg_hi:[0,0,1]
	v_pk_fma_f32 v[92:93], v[94:95], v[82:83], v[92:93] op_sel:[0,0,1] op_sel_hi:[1,0,0]
	v_mov_b32_e32 v97, v93
	ds_load_2addr_b64 v[92:95], v86 offset0:16 offset1:17
	v_pk_add_f32 v[32:33], v[32:33], v[98:99] neg_lo:[0,1] neg_hi:[0,1]
	v_pk_add_f32 v[28:29], v[28:29], v[96:97] neg_lo:[0,1] neg_hi:[0,1]
	s_wait_dscnt 0x0
	v_dual_mul_f32 v96, v93, v85 :: v_dual_mul_f32 v98, v93, v82
	s_delay_alu instid0(VALU_DEP_1) | instskip(NEXT) | instid1(VALU_DEP_2)
	v_pk_fma_f32 v[96:97], v[92:93], v[14:15], v[96:97] op_sel_hi:[1,1,0] neg_lo:[0,0,1] neg_hi:[0,0,1]
	v_pk_fma_f32 v[92:93], v[92:93], v[14:15], v[98:99] op_sel:[1,0,0] op_sel_hi:[0,1,0]
	s_delay_alu instid0(VALU_DEP_1) | instskip(SKIP_1) | instid1(VALU_DEP_2)
	v_mov_b32_e32 v97, v93
	v_pk_mul_f32 v[92:93], v[94:95], v[84:85] op_sel:[0,1]
	v_pk_add_f32 v[70:71], v[70:71], v[96:97] neg_lo:[0,1] neg_hi:[0,1]
	s_delay_alu instid0(VALU_DEP_2) | instskip(SKIP_1) | instid1(VALU_DEP_1)
	v_pk_fma_f32 v[96:97], v[94:95], v[82:83], v[92:93] op_sel:[0,0,1] op_sel_hi:[1,1,0] neg_lo:[0,0,1] neg_hi:[0,0,1]
	v_pk_fma_f32 v[92:93], v[94:95], v[82:83], v[92:93] op_sel:[0,0,1] op_sel_hi:[1,0,0]
	v_mov_b32_e32 v97, v93
	ds_load_2addr_b64 v[92:95], v86 offset0:18 offset1:19
	v_pk_add_f32 v[50:51], v[50:51], v[96:97] neg_lo:[0,1] neg_hi:[0,1]
	s_wait_dscnt 0x0
	v_pk_mul_f32 v[96:97], v[92:93], v[84:85] op_sel:[0,1]
	s_delay_alu instid0(VALU_DEP_1) | instskip(SKIP_1) | instid1(VALU_DEP_1)
	v_pk_fma_f32 v[98:99], v[92:93], v[82:83], v[96:97] op_sel:[0,0,1] op_sel_hi:[1,1,0] neg_lo:[0,0,1] neg_hi:[0,0,1]
	v_pk_fma_f32 v[92:93], v[92:93], v[82:83], v[96:97] op_sel:[0,0,1] op_sel_hi:[1,0,0]
	v_mov_b32_e32 v99, v93
	v_pk_mul_f32 v[92:93], v[94:95], v[84:85] op_sel:[0,1]
	s_delay_alu instid0(VALU_DEP_2) | instskip(NEXT) | instid1(VALU_DEP_2)
	v_pk_add_f32 v[52:53], v[52:53], v[98:99] neg_lo:[0,1] neg_hi:[0,1]
	v_pk_fma_f32 v[96:97], v[94:95], v[82:83], v[92:93] op_sel:[0,0,1] op_sel_hi:[1,1,0] neg_lo:[0,0,1] neg_hi:[0,0,1]
	v_pk_fma_f32 v[92:93], v[94:95], v[82:83], v[92:93] op_sel:[0,0,1] op_sel_hi:[1,0,0]
	s_delay_alu instid0(VALU_DEP_1) | instskip(SKIP_4) | instid1(VALU_DEP_1)
	v_mov_b32_e32 v97, v93
	ds_load_2addr_b64 v[92:95], v86 offset0:20 offset1:21
	v_pk_add_f32 v[48:49], v[48:49], v[96:97] neg_lo:[0,1] neg_hi:[0,1]
	s_wait_dscnt 0x0
	v_pk_mul_f32 v[96:97], v[92:93], v[84:85] op_sel:[0,1]
	v_pk_fma_f32 v[98:99], v[92:93], v[82:83], v[96:97] op_sel:[0,0,1] op_sel_hi:[1,1,0] neg_lo:[0,0,1] neg_hi:[0,0,1]
	v_pk_fma_f32 v[92:93], v[92:93], v[82:83], v[96:97] op_sel:[0,0,1] op_sel_hi:[1,0,0]
	v_dual_mul_f32 v96, v95, v85 :: v_dual_mov_b32 v92, v95
	s_delay_alu instid0(VALU_DEP_2) | instskip(NEXT) | instid1(VALU_DEP_2)
	v_dual_mov_b32 v99, v93 :: v_dual_mov_b32 v93, v94
	v_pk_fma_f32 v[96:97], v[94:95], v[14:15], v[96:97] op_sel_hi:[1,1,0] neg_lo:[0,0,1] neg_hi:[0,0,1]
	v_mul_f32_e32 v94, v95, v82
	s_delay_alu instid0(VALU_DEP_3) | instskip(NEXT) | instid1(VALU_DEP_2)
	v_pk_add_f32 v[68:69], v[68:69], v[98:99] neg_lo:[0,1] neg_hi:[0,1]
	v_pk_fma_f32 v[92:93], v[92:93], v[14:15], v[94:95] op_sel_hi:[1,1,0]
	s_delay_alu instid0(VALU_DEP_1) | instskip(SKIP_4) | instid1(VALU_DEP_1)
	v_mov_b32_e32 v97, v93
	ds_load_2addr_b64 v[92:95], v86 offset0:22 offset1:23
	v_pk_add_f32 v[42:43], v[42:43], v[96:97] neg_lo:[0,1] neg_hi:[0,1]
	s_wait_dscnt 0x0
	v_pk_mul_f32 v[96:97], v[92:93], v[84:85] op_sel:[0,1]
	v_pk_fma_f32 v[98:99], v[92:93], v[82:83], v[96:97] op_sel:[0,0,1] op_sel_hi:[1,1,0] neg_lo:[0,0,1] neg_hi:[0,0,1]
	v_pk_fma_f32 v[92:93], v[92:93], v[82:83], v[96:97] op_sel:[0,0,1] op_sel_hi:[1,0,0]
	s_delay_alu instid0(VALU_DEP_1) | instskip(SKIP_1) | instid1(VALU_DEP_1)
	v_mov_b32_e32 v99, v93
	v_pk_mul_f32 v[92:93], v[94:95], v[84:85] op_sel:[0,1]
	v_pk_fma_f32 v[96:97], v[94:95], v[82:83], v[92:93] op_sel:[0,0,1] op_sel_hi:[1,1,0] neg_lo:[0,0,1] neg_hi:[0,0,1]
	v_pk_fma_f32 v[92:93], v[94:95], v[82:83], v[92:93] op_sel:[0,0,1] op_sel_hi:[1,0,0]
	s_delay_alu instid0(VALU_DEP_1)
	v_mov_b32_e32 v97, v93
	ds_load_2addr_b64 v[92:95], v86 offset0:24 offset1:25
	v_pk_add_f32 v[44:45], v[44:45], v[98:99] neg_lo:[0,1] neg_hi:[0,1]
	v_pk_add_f32 v[40:41], v[40:41], v[96:97] neg_lo:[0,1] neg_hi:[0,1]
	s_wait_dscnt 0x0
	v_pk_mul_f32 v[96:97], v[92:93], v[84:85] op_sel:[0,1]
	s_delay_alu instid0(VALU_DEP_1) | instskip(SKIP_1) | instid1(VALU_DEP_1)
	v_pk_fma_f32 v[98:99], v[92:93], v[82:83], v[96:97] op_sel:[0,0,1] op_sel_hi:[1,1,0] neg_lo:[0,0,1] neg_hi:[0,0,1]
	v_pk_fma_f32 v[92:93], v[92:93], v[82:83], v[96:97] op_sel:[0,0,1] op_sel_hi:[1,0,0]
	v_mov_b32_e32 v99, v93
	v_pk_mul_f32 v[92:93], v[94:95], v[84:85] op_sel:[0,1]
	s_delay_alu instid0(VALU_DEP_1) | instskip(SKIP_1) | instid1(VALU_DEP_1)
	v_pk_fma_f32 v[96:97], v[94:95], v[82:83], v[92:93] op_sel:[0,0,1] op_sel_hi:[1,1,0] neg_lo:[0,0,1] neg_hi:[0,0,1]
	v_pk_fma_f32 v[92:93], v[94:95], v[82:83], v[92:93] op_sel:[0,0,1] op_sel_hi:[1,0,0]
	v_mov_b32_e32 v97, v93
	ds_load_2addr_b64 v[92:95], v86 offset0:26 offset1:27
	v_pk_add_f32 v[66:67], v[66:67], v[98:99] neg_lo:[0,1] neg_hi:[0,1]
	v_pk_add_f32 v[36:37], v[36:37], v[96:97] neg_lo:[0,1] neg_hi:[0,1]
	s_wait_dscnt 0x0
	v_dual_mul_f32 v96, v93, v85 :: v_dual_mul_f32 v98, v93, v82
	s_delay_alu instid0(VALU_DEP_1) | instskip(NEXT) | instid1(VALU_DEP_2)
	v_pk_fma_f32 v[96:97], v[92:93], v[14:15], v[96:97] op_sel_hi:[1,1,0] neg_lo:[0,0,1] neg_hi:[0,0,1]
	v_pk_fma_f32 v[92:93], v[92:93], v[14:15], v[98:99] op_sel:[1,0,0] op_sel_hi:[0,1,0]
	s_delay_alu instid0(VALU_DEP_1) | instskip(SKIP_1) | instid1(VALU_DEP_2)
	v_mov_b32_e32 v97, v93
	v_pk_mul_f32 v[92:93], v[94:95], v[84:85] op_sel:[0,1]
	v_pk_add_f32 v[38:39], v[38:39], v[96:97] neg_lo:[0,1] neg_hi:[0,1]
	s_delay_alu instid0(VALU_DEP_2) | instskip(SKIP_1) | instid1(VALU_DEP_1)
	v_pk_fma_f32 v[96:97], v[94:95], v[82:83], v[92:93] op_sel:[0,0,1] op_sel_hi:[1,1,0] neg_lo:[0,0,1] neg_hi:[0,0,1]
	v_pk_fma_f32 v[92:93], v[94:95], v[82:83], v[92:93] op_sel:[0,0,1] op_sel_hi:[1,0,0]
	v_mov_b32_e32 v97, v93
	ds_load_2addr_b64 v[92:95], v86 offset0:28 offset1:29
	v_pk_add_f32 v[34:35], v[34:35], v[96:97] neg_lo:[0,1] neg_hi:[0,1]
	s_wait_dscnt 0x0
	v_pk_mul_f32 v[96:97], v[92:93], v[84:85] op_sel:[0,1]
	s_delay_alu instid0(VALU_DEP_1) | instskip(SKIP_1) | instid1(VALU_DEP_1)
	v_pk_fma_f32 v[98:99], v[92:93], v[82:83], v[96:97] op_sel:[0,0,1] op_sel_hi:[1,1,0] neg_lo:[0,0,1] neg_hi:[0,0,1]
	v_pk_fma_f32 v[92:93], v[92:93], v[82:83], v[96:97] op_sel:[0,0,1] op_sel_hi:[1,0,0]
	v_mov_b32_e32 v99, v93
	v_pk_mul_f32 v[92:93], v[94:95], v[84:85] op_sel:[0,1]
	s_delay_alu instid0(VALU_DEP_2) | instskip(NEXT) | instid1(VALU_DEP_2)
	v_pk_add_f32 v[58:59], v[58:59], v[98:99] neg_lo:[0,1] neg_hi:[0,1]
	v_pk_fma_f32 v[96:97], v[94:95], v[82:83], v[92:93] op_sel:[0,0,1] op_sel_hi:[1,1,0] neg_lo:[0,0,1] neg_hi:[0,0,1]
	v_pk_fma_f32 v[92:93], v[94:95], v[82:83], v[92:93] op_sel:[0,0,1] op_sel_hi:[1,0,0]
	s_delay_alu instid0(VALU_DEP_1) | instskip(SKIP_4) | instid1(VALU_DEP_1)
	v_mov_b32_e32 v97, v93
	ds_load_2addr_b64 v[92:95], v86 offset0:30 offset1:31
	v_pk_add_f32 v[10:11], v[10:11], v[96:97] neg_lo:[0,1] neg_hi:[0,1]
	s_wait_dscnt 0x0
	v_pk_mul_f32 v[96:97], v[92:93], v[84:85] op_sel:[0,1]
	v_pk_fma_f32 v[98:99], v[92:93], v[82:83], v[96:97] op_sel:[0,0,1] op_sel_hi:[1,1,0] neg_lo:[0,0,1] neg_hi:[0,0,1]
	v_pk_fma_f32 v[92:93], v[92:93], v[82:83], v[96:97] op_sel:[0,0,1] op_sel_hi:[1,0,0]
	v_dual_mul_f32 v96, v95, v85 :: v_dual_mov_b32 v92, v95
	s_delay_alu instid0(VALU_DEP_2) | instskip(NEXT) | instid1(VALU_DEP_2)
	v_dual_mov_b32 v99, v93 :: v_dual_mov_b32 v93, v94
	v_pk_fma_f32 v[96:97], v[94:95], v[14:15], v[96:97] op_sel_hi:[1,1,0] neg_lo:[0,0,1] neg_hi:[0,0,1]
	v_mul_f32_e32 v94, v95, v82
	s_delay_alu instid0(VALU_DEP_3) | instskip(NEXT) | instid1(VALU_DEP_2)
	v_pk_add_f32 v[12:13], v[12:13], v[98:99] neg_lo:[0,1] neg_hi:[0,1]
	v_pk_fma_f32 v[92:93], v[92:93], v[14:15], v[94:95] op_sel_hi:[1,1,0]
	s_delay_alu instid0(VALU_DEP_1) | instskip(SKIP_4) | instid1(VALU_DEP_1)
	v_mov_b32_e32 v97, v93
	ds_load_2addr_b64 v[92:95], v86 offset0:32 offset1:33
	v_pk_add_f32 v[8:9], v[8:9], v[96:97] neg_lo:[0,1] neg_hi:[0,1]
	s_wait_dscnt 0x0
	v_pk_mul_f32 v[96:97], v[92:93], v[84:85] op_sel:[0,1]
	v_pk_fma_f32 v[98:99], v[92:93], v[82:83], v[96:97] op_sel:[0,0,1] op_sel_hi:[1,1,0] neg_lo:[0,0,1] neg_hi:[0,0,1]
	v_pk_fma_f32 v[92:93], v[92:93], v[82:83], v[96:97] op_sel:[0,0,1] op_sel_hi:[1,0,0]
	s_delay_alu instid0(VALU_DEP_1) | instskip(SKIP_1) | instid1(VALU_DEP_1)
	v_mov_b32_e32 v99, v93
	v_pk_mul_f32 v[92:93], v[94:95], v[84:85] op_sel:[0,1]
	v_pk_fma_f32 v[96:97], v[94:95], v[82:83], v[92:93] op_sel:[0,0,1] op_sel_hi:[1,1,0] neg_lo:[0,0,1] neg_hi:[0,0,1]
	v_pk_fma_f32 v[92:93], v[94:95], v[82:83], v[92:93] op_sel:[0,0,1] op_sel_hi:[1,0,0]
	s_delay_alu instid0(VALU_DEP_1)
	v_mov_b32_e32 v97, v93
	ds_load_2addr_b64 v[92:95], v86 offset0:34 offset1:35
	v_pk_add_f32 v[56:57], v[56:57], v[98:99] neg_lo:[0,1] neg_hi:[0,1]
	v_pk_add_f32 v[6:7], v[6:7], v[96:97] neg_lo:[0,1] neg_hi:[0,1]
	s_wait_dscnt 0x0
	v_pk_mul_f32 v[96:97], v[92:93], v[84:85] op_sel:[0,1]
	s_delay_alu instid0(VALU_DEP_1) | instskip(SKIP_1) | instid1(VALU_DEP_1)
	v_pk_fma_f32 v[98:99], v[92:93], v[82:83], v[96:97] op_sel:[0,0,1] op_sel_hi:[1,1,0] neg_lo:[0,0,1] neg_hi:[0,0,1]
	v_pk_fma_f32 v[92:93], v[92:93], v[82:83], v[96:97] op_sel:[0,0,1] op_sel_hi:[1,0,0]
	v_mov_b32_e32 v99, v93
	v_pk_mul_f32 v[92:93], v[94:95], v[84:85] op_sel:[0,1]
	s_delay_alu instid0(VALU_DEP_1) | instskip(SKIP_1) | instid1(VALU_DEP_1)
	v_pk_fma_f32 v[96:97], v[94:95], v[82:83], v[92:93] op_sel:[0,0,1] op_sel_hi:[1,1,0] neg_lo:[0,0,1] neg_hi:[0,0,1]
	v_pk_fma_f32 v[92:93], v[94:95], v[82:83], v[92:93] op_sel:[0,0,1] op_sel_hi:[1,0,0]
	v_mov_b32_e32 v97, v93
	ds_load_2addr_b64 v[92:95], v86 offset0:36 offset1:37
	v_pk_add_f32 v[54:55], v[54:55], v[98:99] neg_lo:[0,1] neg_hi:[0,1]
	v_pk_add_f32 v[46:47], v[46:47], v[96:97] neg_lo:[0,1] neg_hi:[0,1]
	s_wait_dscnt 0x0
	v_mul_f32_e32 v84, v93, v85
	s_delay_alu instid0(VALU_DEP_1) | instskip(SKIP_1) | instid1(VALU_DEP_1)
	v_pk_fma_f32 v[96:97], v[92:93], v[14:15], v[84:85] op_sel_hi:[1,1,0] neg_lo:[0,0,1] neg_hi:[0,0,1]
	v_dual_mul_f32 v84, v93, v82 :: v_dual_mul_f32 v82, v95, v82
	v_pk_fma_f32 v[92:93], v[92:93], v[14:15], v[84:85] op_sel:[1,0,0] op_sel_hi:[0,1,0]
	v_dual_mov_b32 v92, v95 :: v_dual_mul_f32 v84, v95, v85
	s_delay_alu instid0(VALU_DEP_2) | instskip(NEXT) | instid1(VALU_DEP_2)
	v_dual_mov_b32 v97, v93 :: v_dual_mov_b32 v93, v94
	v_pk_fma_f32 v[84:85], v[94:95], v[14:15], v[84:85] op_sel_hi:[1,1,0] neg_lo:[0,0,1] neg_hi:[0,0,1]
	s_delay_alu instid0(VALU_DEP_2) | instskip(NEXT) | instid1(VALU_DEP_3)
	v_pk_add_f32 v[26:27], v[26:27], v[96:97] neg_lo:[0,1] neg_hi:[0,1]
	v_pk_fma_f32 v[82:83], v[92:93], v[14:15], v[82:83] op_sel_hi:[1,1,0]
	s_delay_alu instid0(VALU_DEP_1) | instskip(NEXT) | instid1(VALU_DEP_1)
	v_mov_b32_e32 v85, v83
	v_pk_add_f32 v[80:81], v[80:81], v[84:85] neg_lo:[0,1] neg_hi:[0,1]
.LBB74_167:
	s_or_b32 exec_lo, exec_lo, s0
	v_lshl_add_u32 v82, v90, 3, v86
	s_barrier_signal -1
	s_barrier_wait -1
	ds_store_b64 v82, v[62:63]
	s_wait_dscnt 0x0
	s_barrier_signal -1
	s_barrier_wait -1
	ds_load_b64 v[84:85], v86 offset:64
	v_mov_b32_e32 v82, 8
	s_cmp_lt_i32 s18, 10
	s_cbranch_scc1 .LBB74_170
; %bb.168:
	v_add3_u32 v83, v87, 0, 0x48
	v_mov_b32_e32 v82, 8
	s_mov_b32 s0, 9
.LBB74_169:                             ; =>This Inner Loop Header: Depth=1
	ds_load_b64 v[92:93], v83
	s_wait_dscnt 0x1
	v_cmp_gt_f32_e32 vcc_lo, 0, v84
	v_cndmask_b32_e64 v94, v84, -v84, vcc_lo
	v_cmp_gt_f32_e32 vcc_lo, 0, v85
	v_cndmask_b32_e64 v96, v85, -v85, vcc_lo
	s_wait_dscnt 0x0
	v_cmp_gt_f32_e32 vcc_lo, 0, v92
	v_cndmask_b32_e64 v95, v92, -v92, vcc_lo
	v_cmp_gt_f32_e32 vcc_lo, 0, v93
	v_cndmask_b32_e64 v97, v93, -v93, vcc_lo
	s_delay_alu instid0(VALU_DEP_1) | instskip(NEXT) | instid1(VALU_DEP_1)
	v_pk_add_f32 v[94:95], v[94:95], v[96:97]
	v_cmp_lt_f32_e32 vcc_lo, v94, v95
	v_dual_add_nc_u32 v83, 8, v83 :: v_dual_cndmask_b32 v85, v85, v93, vcc_lo
	v_cndmask_b32_e32 v84, v84, v92, vcc_lo
	v_cndmask_b32_e64 v82, v82, s0, vcc_lo
	s_add_co_i32 s0, s0, 1
	s_delay_alu instid0(SALU_CYCLE_1)
	s_cmp_lg_u32 s18, s0
	s_cbranch_scc1 .LBB74_169
.LBB74_170:
	s_wait_dscnt 0x0
	v_cmp_eq_f32_e32 vcc_lo, 0, v84
	v_cmp_eq_f32_e64 s0, 0, v85
	s_and_b32 s0, vcc_lo, s0
	s_delay_alu instid0(SALU_CYCLE_1) | instskip(NEXT) | instid1(SALU_CYCLE_1)
	s_and_saveexec_b32 s1, s0
	s_xor_b32 s0, exec_lo, s1
; %bb.171:
	v_cmp_ne_u32_e32 vcc_lo, 0, v88
	v_cndmask_b32_e32 v88, 9, v88, vcc_lo
; %bb.172:
	s_and_not1_saveexec_b32 s0, s0
	s_cbranch_execz .LBB74_178
; %bb.173:
	v_cmp_ngt_f32_e64 s1, |v84|, |v85|
	s_and_saveexec_b32 s12, s1
	s_delay_alu instid0(SALU_CYCLE_1)
	s_xor_b32 s1, exec_lo, s12
	s_cbranch_execz .LBB74_175
; %bb.174:
	v_div_scale_f32 v83, null, v85, v85, v84
	v_div_scale_f32 v93, vcc_lo, v84, v85, v84
	s_delay_alu instid0(VALU_DEP_2) | instskip(SKIP_1) | instid1(TRANS32_DEP_1)
	v_rcp_f32_e32 v91, v83
	v_nop
	v_fma_f32 v92, -v83, v91, 1.0
	s_delay_alu instid0(VALU_DEP_1) | instskip(NEXT) | instid1(VALU_DEP_1)
	v_fmac_f32_e32 v91, v92, v91
	v_mul_f32_e32 v92, v93, v91
	s_delay_alu instid0(VALU_DEP_1) | instskip(NEXT) | instid1(VALU_DEP_1)
	v_fma_f32 v94, -v83, v92, v93
	v_fmac_f32_e32 v92, v94, v91
	s_delay_alu instid0(VALU_DEP_1) | instskip(NEXT) | instid1(VALU_DEP_1)
	v_fma_f32 v83, -v83, v92, v93
	v_div_fmas_f32 v83, v83, v91, v92
	s_delay_alu instid0(VALU_DEP_1) | instskip(NEXT) | instid1(VALU_DEP_1)
	v_div_fixup_f32 v83, v83, v85, v84
	v_fmac_f32_e32 v85, v84, v83
	s_delay_alu instid0(VALU_DEP_1) | instskip(SKIP_1) | instid1(VALU_DEP_2)
	v_div_scale_f32 v84, null, v85, v85, 1.0
	v_div_scale_f32 v93, vcc_lo, 1.0, v85, 1.0
	v_rcp_f32_e32 v91, v84
	v_nop
	s_delay_alu instid0(TRANS32_DEP_1) | instskip(NEXT) | instid1(VALU_DEP_1)
	v_fma_f32 v92, -v84, v91, 1.0
	v_fmac_f32_e32 v91, v92, v91
	s_delay_alu instid0(VALU_DEP_1) | instskip(NEXT) | instid1(VALU_DEP_1)
	v_mul_f32_e32 v92, v93, v91
	v_fma_f32 v94, -v84, v92, v93
	s_delay_alu instid0(VALU_DEP_1) | instskip(NEXT) | instid1(VALU_DEP_1)
	v_fmac_f32_e32 v92, v94, v91
	v_fma_f32 v84, -v84, v92, v93
	s_delay_alu instid0(VALU_DEP_1) | instskip(NEXT) | instid1(VALU_DEP_1)
	v_div_fmas_f32 v84, v84, v91, v92
	v_div_fixup_f32 v85, v84, v85, 1.0
	s_delay_alu instid0(VALU_DEP_1)
	v_mul_f32_e32 v84, v83, v85
	v_xor_b32_e32 v85, 0x80000000, v85
.LBB74_175:
	s_and_not1_saveexec_b32 s1, s1
	s_cbranch_execz .LBB74_177
; %bb.176:
	s_delay_alu instid0(VALU_DEP_1) | instskip(SKIP_1) | instid1(VALU_DEP_2)
	v_div_scale_f32 v83, null, v84, v84, v85
	v_div_scale_f32 v93, vcc_lo, v85, v84, v85
	v_rcp_f32_e32 v91, v83
	v_nop
	s_delay_alu instid0(TRANS32_DEP_1) | instskip(NEXT) | instid1(VALU_DEP_1)
	v_fma_f32 v92, -v83, v91, 1.0
	v_fmac_f32_e32 v91, v92, v91
	s_delay_alu instid0(VALU_DEP_1) | instskip(NEXT) | instid1(VALU_DEP_1)
	v_mul_f32_e32 v92, v93, v91
	v_fma_f32 v94, -v83, v92, v93
	s_delay_alu instid0(VALU_DEP_1) | instskip(NEXT) | instid1(VALU_DEP_1)
	v_fmac_f32_e32 v92, v94, v91
	v_fma_f32 v83, -v83, v92, v93
	s_delay_alu instid0(VALU_DEP_1) | instskip(NEXT) | instid1(VALU_DEP_1)
	v_div_fmas_f32 v83, v83, v91, v92
	v_div_fixup_f32 v83, v83, v84, v85
	s_delay_alu instid0(VALU_DEP_1) | instskip(NEXT) | instid1(VALU_DEP_1)
	v_fmac_f32_e32 v84, v85, v83
	v_div_scale_f32 v85, null, v84, v84, 1.0
	s_delay_alu instid0(VALU_DEP_1) | instskip(SKIP_1) | instid1(TRANS32_DEP_1)
	v_rcp_f32_e32 v91, v85
	v_nop
	v_fma_f32 v92, -v85, v91, 1.0
	s_delay_alu instid0(VALU_DEP_1) | instskip(SKIP_1) | instid1(VALU_DEP_1)
	v_fmac_f32_e32 v91, v92, v91
	v_div_scale_f32 v92, vcc_lo, 1.0, v84, 1.0
	v_mul_f32_e32 v93, v92, v91
	s_delay_alu instid0(VALU_DEP_1) | instskip(NEXT) | instid1(VALU_DEP_1)
	v_fma_f32 v94, -v85, v93, v92
	v_fmac_f32_e32 v93, v94, v91
	s_delay_alu instid0(VALU_DEP_1) | instskip(NEXT) | instid1(VALU_DEP_1)
	v_fma_f32 v85, -v85, v93, v92
	v_div_fmas_f32 v85, v85, v91, v93
	s_delay_alu instid0(VALU_DEP_1) | instskip(NEXT) | instid1(VALU_DEP_1)
	v_div_fixup_f32 v84, v85, v84, 1.0
	v_mul_f32_e64 v85, v83, -v84
.LBB74_177:
	s_or_b32 exec_lo, exec_lo, s1
.LBB74_178:
	s_delay_alu instid0(SALU_CYCLE_1) | instskip(NEXT) | instid1(SALU_CYCLE_1)
	s_or_b32 exec_lo, exec_lo, s0
	s_mov_b32 s0, exec_lo
	v_cmpx_ne_u32_e64 v90, v82
	s_xor_b32 s0, exec_lo, s0
	s_cbranch_execz .LBB74_184
; %bb.179:
	s_mov_b32 s1, exec_lo
	v_cmpx_eq_u32_e32 8, v90
	s_cbranch_execz .LBB74_183
; %bb.180:
	v_cmp_ne_u32_e32 vcc_lo, 8, v82
	s_xor_b32 s12, s16, -1
	s_delay_alu instid0(SALU_CYCLE_1) | instskip(NEXT) | instid1(SALU_CYCLE_1)
	s_and_b32 s13, s12, vcc_lo
	s_and_saveexec_b32 s12, s13
	s_cbranch_execz .LBB74_182
; %bb.181:
	v_ashrrev_i32_e32 v83, 31, v82
	s_delay_alu instid0(VALU_DEP_1)
	v_lshl_add_u64 v[90:91], v[82:83], 2, v[4:5]
	s_clause 0x1
	global_load_b32 v83, v[90:91], off
	global_load_b32 v89, v[4:5], off offset:32
	s_wait_loadcnt 0x1
	global_store_b32 v[4:5], v83, off offset:32
	s_wait_loadcnt 0x0
	global_store_b32 v[90:91], v89, off
.LBB74_182:
	s_wait_xcnt 0x0
	s_or_b32 exec_lo, exec_lo, s12
	v_dual_mov_b32 v90, v82 :: v_dual_mov_b32 v89, v82
.LBB74_183:
	s_or_b32 exec_lo, exec_lo, s1
.LBB74_184:
	s_and_not1_saveexec_b32 s0, s0
	s_cbranch_execz .LBB74_186
; %bb.185:
	v_mov_b32_e32 v90, 8
	ds_store_2addr_b64 v86, v[22:23], v[24:25] offset0:9 offset1:10
	ds_store_2addr_b64 v86, v[20:21], v[64:65] offset0:11 offset1:12
	;; [unrolled: 1-line block ×14, first 2 shown]
	ds_store_b64 v86, v[80:81] offset:296
.LBB74_186:
	s_or_b32 exec_lo, exec_lo, s0
	s_delay_alu instid0(SALU_CYCLE_1)
	s_mov_b32 s0, exec_lo
	s_wait_storecnt_dscnt 0x0
	s_barrier_signal -1
	s_barrier_wait -1
	v_cmpx_lt_i32_e32 8, v90
	s_cbranch_execz .LBB74_188
; %bb.187:
	v_pk_mul_f32 v[92:93], v[84:85], v[62:63] op_sel:[1,1] op_sel_hi:[0,1]
	s_delay_alu instid0(VALU_DEP_1)
	v_pk_fma_f32 v[82:83], v[84:85], v[62:63], v[92:93] op_sel_hi:[1,0,1] neg_lo:[0,0,1] neg_hi:[0,0,1]
	v_pk_fma_f32 v[84:85], v[84:85], v[62:63], v[92:93] op_sel_hi:[1,0,1]
	ds_load_2addr_b64 v[92:95], v86 offset0:9 offset1:10
	v_dual_mov_b32 v62, v82 :: v_dual_mov_b32 v63, v85
	s_wait_dscnt 0x0
	v_pk_mul_f32 v[96:97], v[92:93], v[84:85] op_sel:[0,1]
	s_delay_alu instid0(VALU_DEP_1) | instskip(SKIP_1) | instid1(VALU_DEP_1)
	v_pk_fma_f32 v[98:99], v[92:93], v[82:83], v[96:97] op_sel:[0,0,1] op_sel_hi:[1,1,0] neg_lo:[0,0,1] neg_hi:[0,0,1]
	v_pk_fma_f32 v[92:93], v[92:93], v[82:83], v[96:97] op_sel:[0,0,1] op_sel_hi:[1,0,0]
	v_mov_b32_e32 v99, v93
	v_pk_mul_f32 v[92:93], v[94:95], v[84:85] op_sel:[0,1]
	s_delay_alu instid0(VALU_DEP_1) | instskip(SKIP_1) | instid1(VALU_DEP_1)
	v_pk_fma_f32 v[96:97], v[94:95], v[82:83], v[92:93] op_sel:[0,0,1] op_sel_hi:[1,1,0] neg_lo:[0,0,1] neg_hi:[0,0,1]
	v_pk_fma_f32 v[92:93], v[94:95], v[82:83], v[92:93] op_sel:[0,0,1] op_sel_hi:[1,0,0]
	v_mov_b32_e32 v97, v93
	ds_load_2addr_b64 v[92:95], v86 offset0:11 offset1:12
	v_pk_add_f32 v[22:23], v[22:23], v[98:99] neg_lo:[0,1] neg_hi:[0,1]
	v_pk_add_f32 v[24:25], v[24:25], v[96:97] neg_lo:[0,1] neg_hi:[0,1]
	s_wait_dscnt 0x0
	v_pk_mul_f32 v[96:97], v[92:93], v[84:85] op_sel:[0,1]
	s_delay_alu instid0(VALU_DEP_1) | instskip(SKIP_2) | instid1(VALU_DEP_2)
	v_pk_fma_f32 v[98:99], v[92:93], v[82:83], v[96:97] op_sel:[0,0,1] op_sel_hi:[1,1,0] neg_lo:[0,0,1] neg_hi:[0,0,1]
	v_pk_fma_f32 v[92:93], v[92:93], v[82:83], v[96:97] op_sel:[0,0,1] op_sel_hi:[1,0,0]
	v_dual_mul_f32 v96, v95, v85 :: v_dual_mov_b32 v92, v95
	v_dual_mov_b32 v99, v93 :: v_dual_mov_b32 v93, v94
	s_delay_alu instid0(VALU_DEP_2) | instskip(SKIP_1) | instid1(VALU_DEP_3)
	v_pk_fma_f32 v[96:97], v[94:95], v[62:63], v[96:97] op_sel_hi:[1,1,0] neg_lo:[0,0,1] neg_hi:[0,0,1]
	v_mul_f32_e32 v94, v95, v82
	v_pk_add_f32 v[20:21], v[20:21], v[98:99] neg_lo:[0,1] neg_hi:[0,1]
	s_delay_alu instid0(VALU_DEP_2) | instskip(NEXT) | instid1(VALU_DEP_1)
	v_pk_fma_f32 v[92:93], v[92:93], v[62:63], v[94:95] op_sel_hi:[1,1,0]
	v_mov_b32_e32 v97, v93
	ds_load_2addr_b64 v[92:95], v86 offset0:13 offset1:14
	v_pk_add_f32 v[64:65], v[64:65], v[96:97] neg_lo:[0,1] neg_hi:[0,1]
	s_wait_dscnt 0x0
	v_pk_mul_f32 v[96:97], v[92:93], v[84:85] op_sel:[0,1]
	s_delay_alu instid0(VALU_DEP_1) | instskip(SKIP_1) | instid1(VALU_DEP_1)
	v_pk_fma_f32 v[98:99], v[92:93], v[82:83], v[96:97] op_sel:[0,0,1] op_sel_hi:[1,1,0] neg_lo:[0,0,1] neg_hi:[0,0,1]
	v_pk_fma_f32 v[92:93], v[92:93], v[82:83], v[96:97] op_sel:[0,0,1] op_sel_hi:[1,0,0]
	v_mov_b32_e32 v99, v93
	v_pk_mul_f32 v[92:93], v[94:95], v[84:85] op_sel:[0,1]
	s_delay_alu instid0(VALU_DEP_1) | instskip(SKIP_1) | instid1(VALU_DEP_1)
	v_pk_fma_f32 v[96:97], v[94:95], v[82:83], v[92:93] op_sel:[0,0,1] op_sel_hi:[1,1,0] neg_lo:[0,0,1] neg_hi:[0,0,1]
	v_pk_fma_f32 v[92:93], v[94:95], v[82:83], v[92:93] op_sel:[0,0,1] op_sel_hi:[1,0,0]
	v_mov_b32_e32 v97, v93
	ds_load_2addr_b64 v[92:95], v86 offset0:15 offset1:16
	v_pk_add_f32 v[30:31], v[30:31], v[98:99] neg_lo:[0,1] neg_hi:[0,1]
	v_pk_add_f32 v[32:33], v[32:33], v[96:97] neg_lo:[0,1] neg_hi:[0,1]
	s_wait_dscnt 0x0
	v_pk_mul_f32 v[96:97], v[92:93], v[84:85] op_sel:[0,1]
	s_delay_alu instid0(VALU_DEP_1) | instskip(SKIP_1) | instid1(VALU_DEP_1)
	v_pk_fma_f32 v[98:99], v[92:93], v[82:83], v[96:97] op_sel:[0,0,1] op_sel_hi:[1,1,0] neg_lo:[0,0,1] neg_hi:[0,0,1]
	v_pk_fma_f32 v[92:93], v[92:93], v[82:83], v[96:97] op_sel:[0,0,1] op_sel_hi:[1,0,0]
	v_mov_b32_e32 v99, v93
	v_pk_mul_f32 v[92:93], v[94:95], v[84:85] op_sel:[0,1]
	s_delay_alu instid0(VALU_DEP_1) | instskip(SKIP_1) | instid1(VALU_DEP_1)
	v_pk_fma_f32 v[96:97], v[94:95], v[82:83], v[92:93] op_sel:[0,0,1] op_sel_hi:[1,1,0] neg_lo:[0,0,1] neg_hi:[0,0,1]
	v_pk_fma_f32 v[92:93], v[94:95], v[82:83], v[92:93] op_sel:[0,0,1] op_sel_hi:[1,0,0]
	v_mov_b32_e32 v97, v93
	ds_load_2addr_b64 v[92:95], v86 offset0:17 offset1:18
	v_pk_add_f32 v[28:29], v[28:29], v[98:99] neg_lo:[0,1] neg_hi:[0,1]
	v_pk_add_f32 v[70:71], v[70:71], v[96:97] neg_lo:[0,1] neg_hi:[0,1]
	s_wait_dscnt 0x0
	v_dual_mul_f32 v96, v93, v85 :: v_dual_mul_f32 v98, v93, v82
	s_delay_alu instid0(VALU_DEP_1) | instskip(NEXT) | instid1(VALU_DEP_2)
	v_pk_fma_f32 v[96:97], v[92:93], v[62:63], v[96:97] op_sel_hi:[1,1,0] neg_lo:[0,0,1] neg_hi:[0,0,1]
	v_pk_fma_f32 v[92:93], v[92:93], v[62:63], v[98:99] op_sel:[1,0,0] op_sel_hi:[0,1,0]
	s_delay_alu instid0(VALU_DEP_1) | instskip(SKIP_1) | instid1(VALU_DEP_2)
	v_mov_b32_e32 v97, v93
	v_pk_mul_f32 v[92:93], v[94:95], v[84:85] op_sel:[0,1]
	v_pk_add_f32 v[50:51], v[50:51], v[96:97] neg_lo:[0,1] neg_hi:[0,1]
	s_delay_alu instid0(VALU_DEP_2) | instskip(SKIP_1) | instid1(VALU_DEP_1)
	v_pk_fma_f32 v[96:97], v[94:95], v[82:83], v[92:93] op_sel:[0,0,1] op_sel_hi:[1,1,0] neg_lo:[0,0,1] neg_hi:[0,0,1]
	v_pk_fma_f32 v[92:93], v[94:95], v[82:83], v[92:93] op_sel:[0,0,1] op_sel_hi:[1,0,0]
	v_mov_b32_e32 v97, v93
	ds_load_2addr_b64 v[92:95], v86 offset0:19 offset1:20
	v_pk_add_f32 v[52:53], v[52:53], v[96:97] neg_lo:[0,1] neg_hi:[0,1]
	s_wait_dscnt 0x0
	v_pk_mul_f32 v[96:97], v[92:93], v[84:85] op_sel:[0,1]
	s_delay_alu instid0(VALU_DEP_1) | instskip(SKIP_1) | instid1(VALU_DEP_1)
	v_pk_fma_f32 v[98:99], v[92:93], v[82:83], v[96:97] op_sel:[0,0,1] op_sel_hi:[1,1,0] neg_lo:[0,0,1] neg_hi:[0,0,1]
	v_pk_fma_f32 v[92:93], v[92:93], v[82:83], v[96:97] op_sel:[0,0,1] op_sel_hi:[1,0,0]
	v_mov_b32_e32 v99, v93
	v_pk_mul_f32 v[92:93], v[94:95], v[84:85] op_sel:[0,1]
	s_delay_alu instid0(VALU_DEP_2) | instskip(NEXT) | instid1(VALU_DEP_2)
	v_pk_add_f32 v[48:49], v[48:49], v[98:99] neg_lo:[0,1] neg_hi:[0,1]
	v_pk_fma_f32 v[96:97], v[94:95], v[82:83], v[92:93] op_sel:[0,0,1] op_sel_hi:[1,1,0] neg_lo:[0,0,1] neg_hi:[0,0,1]
	v_pk_fma_f32 v[92:93], v[94:95], v[82:83], v[92:93] op_sel:[0,0,1] op_sel_hi:[1,0,0]
	s_delay_alu instid0(VALU_DEP_1) | instskip(SKIP_4) | instid1(VALU_DEP_1)
	v_mov_b32_e32 v97, v93
	ds_load_2addr_b64 v[92:95], v86 offset0:21 offset1:22
	v_pk_add_f32 v[68:69], v[68:69], v[96:97] neg_lo:[0,1] neg_hi:[0,1]
	s_wait_dscnt 0x0
	v_pk_mul_f32 v[96:97], v[92:93], v[84:85] op_sel:[0,1]
	v_pk_fma_f32 v[98:99], v[92:93], v[82:83], v[96:97] op_sel:[0,0,1] op_sel_hi:[1,1,0] neg_lo:[0,0,1] neg_hi:[0,0,1]
	v_pk_fma_f32 v[92:93], v[92:93], v[82:83], v[96:97] op_sel:[0,0,1] op_sel_hi:[1,0,0]
	v_dual_mul_f32 v96, v95, v85 :: v_dual_mov_b32 v92, v95
	s_delay_alu instid0(VALU_DEP_2) | instskip(NEXT) | instid1(VALU_DEP_2)
	v_dual_mov_b32 v99, v93 :: v_dual_mov_b32 v93, v94
	v_pk_fma_f32 v[96:97], v[94:95], v[62:63], v[96:97] op_sel_hi:[1,1,0] neg_lo:[0,0,1] neg_hi:[0,0,1]
	v_mul_f32_e32 v94, v95, v82
	s_delay_alu instid0(VALU_DEP_3) | instskip(NEXT) | instid1(VALU_DEP_2)
	v_pk_add_f32 v[42:43], v[42:43], v[98:99] neg_lo:[0,1] neg_hi:[0,1]
	v_pk_fma_f32 v[92:93], v[92:93], v[62:63], v[94:95] op_sel_hi:[1,1,0]
	s_delay_alu instid0(VALU_DEP_1) | instskip(SKIP_4) | instid1(VALU_DEP_1)
	v_mov_b32_e32 v97, v93
	ds_load_2addr_b64 v[92:95], v86 offset0:23 offset1:24
	v_pk_add_f32 v[44:45], v[44:45], v[96:97] neg_lo:[0,1] neg_hi:[0,1]
	s_wait_dscnt 0x0
	v_pk_mul_f32 v[96:97], v[92:93], v[84:85] op_sel:[0,1]
	v_pk_fma_f32 v[98:99], v[92:93], v[82:83], v[96:97] op_sel:[0,0,1] op_sel_hi:[1,1,0] neg_lo:[0,0,1] neg_hi:[0,0,1]
	v_pk_fma_f32 v[92:93], v[92:93], v[82:83], v[96:97] op_sel:[0,0,1] op_sel_hi:[1,0,0]
	s_delay_alu instid0(VALU_DEP_1) | instskip(SKIP_1) | instid1(VALU_DEP_1)
	v_mov_b32_e32 v99, v93
	v_pk_mul_f32 v[92:93], v[94:95], v[84:85] op_sel:[0,1]
	v_pk_fma_f32 v[96:97], v[94:95], v[82:83], v[92:93] op_sel:[0,0,1] op_sel_hi:[1,1,0] neg_lo:[0,0,1] neg_hi:[0,0,1]
	v_pk_fma_f32 v[92:93], v[94:95], v[82:83], v[92:93] op_sel:[0,0,1] op_sel_hi:[1,0,0]
	s_delay_alu instid0(VALU_DEP_1)
	v_mov_b32_e32 v97, v93
	ds_load_2addr_b64 v[92:95], v86 offset0:25 offset1:26
	v_pk_add_f32 v[40:41], v[40:41], v[98:99] neg_lo:[0,1] neg_hi:[0,1]
	v_pk_add_f32 v[66:67], v[66:67], v[96:97] neg_lo:[0,1] neg_hi:[0,1]
	s_wait_dscnt 0x0
	v_pk_mul_f32 v[96:97], v[92:93], v[84:85] op_sel:[0,1]
	s_delay_alu instid0(VALU_DEP_1) | instskip(SKIP_1) | instid1(VALU_DEP_1)
	v_pk_fma_f32 v[98:99], v[92:93], v[82:83], v[96:97] op_sel:[0,0,1] op_sel_hi:[1,1,0] neg_lo:[0,0,1] neg_hi:[0,0,1]
	v_pk_fma_f32 v[92:93], v[92:93], v[82:83], v[96:97] op_sel:[0,0,1] op_sel_hi:[1,0,0]
	v_mov_b32_e32 v99, v93
	v_pk_mul_f32 v[92:93], v[94:95], v[84:85] op_sel:[0,1]
	s_delay_alu instid0(VALU_DEP_1) | instskip(SKIP_1) | instid1(VALU_DEP_1)
	v_pk_fma_f32 v[96:97], v[94:95], v[82:83], v[92:93] op_sel:[0,0,1] op_sel_hi:[1,1,0] neg_lo:[0,0,1] neg_hi:[0,0,1]
	v_pk_fma_f32 v[92:93], v[94:95], v[82:83], v[92:93] op_sel:[0,0,1] op_sel_hi:[1,0,0]
	v_mov_b32_e32 v97, v93
	ds_load_2addr_b64 v[92:95], v86 offset0:27 offset1:28
	v_pk_add_f32 v[36:37], v[36:37], v[98:99] neg_lo:[0,1] neg_hi:[0,1]
	v_pk_add_f32 v[38:39], v[38:39], v[96:97] neg_lo:[0,1] neg_hi:[0,1]
	s_wait_dscnt 0x0
	v_dual_mul_f32 v96, v93, v85 :: v_dual_mul_f32 v98, v93, v82
	s_delay_alu instid0(VALU_DEP_1) | instskip(NEXT) | instid1(VALU_DEP_2)
	v_pk_fma_f32 v[96:97], v[92:93], v[62:63], v[96:97] op_sel_hi:[1,1,0] neg_lo:[0,0,1] neg_hi:[0,0,1]
	v_pk_fma_f32 v[92:93], v[92:93], v[62:63], v[98:99] op_sel:[1,0,0] op_sel_hi:[0,1,0]
	s_delay_alu instid0(VALU_DEP_1) | instskip(SKIP_1) | instid1(VALU_DEP_2)
	v_mov_b32_e32 v97, v93
	v_pk_mul_f32 v[92:93], v[94:95], v[84:85] op_sel:[0,1]
	v_pk_add_f32 v[34:35], v[34:35], v[96:97] neg_lo:[0,1] neg_hi:[0,1]
	s_delay_alu instid0(VALU_DEP_2) | instskip(SKIP_1) | instid1(VALU_DEP_1)
	v_pk_fma_f32 v[96:97], v[94:95], v[82:83], v[92:93] op_sel:[0,0,1] op_sel_hi:[1,1,0] neg_lo:[0,0,1] neg_hi:[0,0,1]
	v_pk_fma_f32 v[92:93], v[94:95], v[82:83], v[92:93] op_sel:[0,0,1] op_sel_hi:[1,0,0]
	v_mov_b32_e32 v97, v93
	ds_load_2addr_b64 v[92:95], v86 offset0:29 offset1:30
	v_pk_add_f32 v[58:59], v[58:59], v[96:97] neg_lo:[0,1] neg_hi:[0,1]
	s_wait_dscnt 0x0
	v_pk_mul_f32 v[96:97], v[92:93], v[84:85] op_sel:[0,1]
	s_delay_alu instid0(VALU_DEP_1) | instskip(SKIP_1) | instid1(VALU_DEP_1)
	v_pk_fma_f32 v[98:99], v[92:93], v[82:83], v[96:97] op_sel:[0,0,1] op_sel_hi:[1,1,0] neg_lo:[0,0,1] neg_hi:[0,0,1]
	v_pk_fma_f32 v[92:93], v[92:93], v[82:83], v[96:97] op_sel:[0,0,1] op_sel_hi:[1,0,0]
	v_mov_b32_e32 v99, v93
	v_pk_mul_f32 v[92:93], v[94:95], v[84:85] op_sel:[0,1]
	s_delay_alu instid0(VALU_DEP_2) | instskip(NEXT) | instid1(VALU_DEP_2)
	v_pk_add_f32 v[10:11], v[10:11], v[98:99] neg_lo:[0,1] neg_hi:[0,1]
	v_pk_fma_f32 v[96:97], v[94:95], v[82:83], v[92:93] op_sel:[0,0,1] op_sel_hi:[1,1,0] neg_lo:[0,0,1] neg_hi:[0,0,1]
	v_pk_fma_f32 v[92:93], v[94:95], v[82:83], v[92:93] op_sel:[0,0,1] op_sel_hi:[1,0,0]
	s_delay_alu instid0(VALU_DEP_1) | instskip(SKIP_4) | instid1(VALU_DEP_1)
	v_mov_b32_e32 v97, v93
	ds_load_2addr_b64 v[92:95], v86 offset0:31 offset1:32
	v_pk_add_f32 v[12:13], v[12:13], v[96:97] neg_lo:[0,1] neg_hi:[0,1]
	s_wait_dscnt 0x0
	v_pk_mul_f32 v[96:97], v[92:93], v[84:85] op_sel:[0,1]
	v_pk_fma_f32 v[98:99], v[92:93], v[82:83], v[96:97] op_sel:[0,0,1] op_sel_hi:[1,1,0] neg_lo:[0,0,1] neg_hi:[0,0,1]
	v_pk_fma_f32 v[92:93], v[92:93], v[82:83], v[96:97] op_sel:[0,0,1] op_sel_hi:[1,0,0]
	v_dual_mul_f32 v96, v95, v85 :: v_dual_mov_b32 v92, v95
	s_delay_alu instid0(VALU_DEP_2) | instskip(NEXT) | instid1(VALU_DEP_2)
	v_dual_mov_b32 v99, v93 :: v_dual_mov_b32 v93, v94
	v_pk_fma_f32 v[96:97], v[94:95], v[62:63], v[96:97] op_sel_hi:[1,1,0] neg_lo:[0,0,1] neg_hi:[0,0,1]
	v_mul_f32_e32 v94, v95, v82
	s_delay_alu instid0(VALU_DEP_3) | instskip(NEXT) | instid1(VALU_DEP_2)
	v_pk_add_f32 v[8:9], v[8:9], v[98:99] neg_lo:[0,1] neg_hi:[0,1]
	v_pk_fma_f32 v[92:93], v[92:93], v[62:63], v[94:95] op_sel_hi:[1,1,0]
	s_delay_alu instid0(VALU_DEP_1) | instskip(SKIP_4) | instid1(VALU_DEP_1)
	v_mov_b32_e32 v97, v93
	ds_load_2addr_b64 v[92:95], v86 offset0:33 offset1:34
	v_pk_add_f32 v[56:57], v[56:57], v[96:97] neg_lo:[0,1] neg_hi:[0,1]
	s_wait_dscnt 0x0
	v_pk_mul_f32 v[96:97], v[92:93], v[84:85] op_sel:[0,1]
	v_pk_fma_f32 v[98:99], v[92:93], v[82:83], v[96:97] op_sel:[0,0,1] op_sel_hi:[1,1,0] neg_lo:[0,0,1] neg_hi:[0,0,1]
	v_pk_fma_f32 v[92:93], v[92:93], v[82:83], v[96:97] op_sel:[0,0,1] op_sel_hi:[1,0,0]
	s_delay_alu instid0(VALU_DEP_1) | instskip(SKIP_1) | instid1(VALU_DEP_1)
	v_mov_b32_e32 v99, v93
	v_pk_mul_f32 v[92:93], v[94:95], v[84:85] op_sel:[0,1]
	v_pk_fma_f32 v[96:97], v[94:95], v[82:83], v[92:93] op_sel:[0,0,1] op_sel_hi:[1,1,0] neg_lo:[0,0,1] neg_hi:[0,0,1]
	v_pk_fma_f32 v[92:93], v[94:95], v[82:83], v[92:93] op_sel:[0,0,1] op_sel_hi:[1,0,0]
	s_delay_alu instid0(VALU_DEP_1)
	v_mov_b32_e32 v97, v93
	ds_load_2addr_b64 v[92:95], v86 offset0:35 offset1:36
	v_pk_add_f32 v[6:7], v[6:7], v[98:99] neg_lo:[0,1] neg_hi:[0,1]
	v_pk_add_f32 v[54:55], v[54:55], v[96:97] neg_lo:[0,1] neg_hi:[0,1]
	s_wait_dscnt 0x0
	v_pk_mul_f32 v[96:97], v[92:93], v[84:85] op_sel:[0,1]
	s_delay_alu instid0(VALU_DEP_1) | instskip(SKIP_1) | instid1(VALU_DEP_1)
	v_pk_fma_f32 v[98:99], v[92:93], v[82:83], v[96:97] op_sel:[0,0,1] op_sel_hi:[1,1,0] neg_lo:[0,0,1] neg_hi:[0,0,1]
	v_pk_fma_f32 v[92:93], v[92:93], v[82:83], v[96:97] op_sel:[0,0,1] op_sel_hi:[1,0,0]
	v_mov_b32_e32 v99, v93
	v_pk_mul_f32 v[92:93], v[94:95], v[84:85] op_sel:[0,1]
	s_delay_alu instid0(VALU_DEP_1) | instskip(SKIP_1) | instid1(VALU_DEP_1)
	v_pk_fma_f32 v[96:97], v[94:95], v[82:83], v[92:93] op_sel:[0,0,1] op_sel_hi:[1,1,0] neg_lo:[0,0,1] neg_hi:[0,0,1]
	v_pk_fma_f32 v[92:93], v[94:95], v[82:83], v[92:93] op_sel:[0,0,1] op_sel_hi:[1,0,0]
	v_mov_b32_e32 v97, v93
	ds_load_b64 v[92:93], v86 offset:296
	v_pk_add_f32 v[46:47], v[46:47], v[98:99] neg_lo:[0,1] neg_hi:[0,1]
	v_pk_add_f32 v[26:27], v[26:27], v[96:97] neg_lo:[0,1] neg_hi:[0,1]
	s_wait_dscnt 0x0
	v_pk_mul_f32 v[84:85], v[92:93], v[84:85] op_sel:[0,1]
	s_delay_alu instid0(VALU_DEP_1) | instskip(SKIP_1) | instid1(VALU_DEP_1)
	v_pk_fma_f32 v[94:95], v[92:93], v[82:83], v[84:85] op_sel:[0,0,1] op_sel_hi:[1,1,0] neg_lo:[0,0,1] neg_hi:[0,0,1]
	v_pk_fma_f32 v[82:83], v[92:93], v[82:83], v[84:85] op_sel:[0,0,1] op_sel_hi:[1,0,0]
	v_mov_b32_e32 v95, v83
	s_delay_alu instid0(VALU_DEP_1)
	v_pk_add_f32 v[80:81], v[80:81], v[94:95] neg_lo:[0,1] neg_hi:[0,1]
.LBB74_188:
	s_or_b32 exec_lo, exec_lo, s0
	v_lshl_add_u32 v82, v90, 3, v86
	s_barrier_signal -1
	s_barrier_wait -1
	ds_store_b64 v82, v[22:23]
	s_wait_dscnt 0x0
	s_barrier_signal -1
	s_barrier_wait -1
	ds_load_b64 v[84:85], v86 offset:72
	v_mov_b32_e32 v82, 9
	s_cmp_lt_i32 s18, 11
	s_cbranch_scc1 .LBB74_191
; %bb.189:
	v_add3_u32 v83, v87, 0, 0x50
	v_mov_b32_e32 v82, 9
	s_mov_b32 s0, 10
.LBB74_190:                             ; =>This Inner Loop Header: Depth=1
	ds_load_b64 v[92:93], v83
	s_wait_dscnt 0x1
	v_cmp_gt_f32_e32 vcc_lo, 0, v84
	v_cndmask_b32_e64 v94, v84, -v84, vcc_lo
	v_cmp_gt_f32_e32 vcc_lo, 0, v85
	v_cndmask_b32_e64 v96, v85, -v85, vcc_lo
	s_wait_dscnt 0x0
	v_cmp_gt_f32_e32 vcc_lo, 0, v92
	v_cndmask_b32_e64 v95, v92, -v92, vcc_lo
	v_cmp_gt_f32_e32 vcc_lo, 0, v93
	v_cndmask_b32_e64 v97, v93, -v93, vcc_lo
	s_delay_alu instid0(VALU_DEP_1) | instskip(NEXT) | instid1(VALU_DEP_1)
	v_pk_add_f32 v[94:95], v[94:95], v[96:97]
	v_cmp_lt_f32_e32 vcc_lo, v94, v95
	v_dual_add_nc_u32 v83, 8, v83 :: v_dual_cndmask_b32 v85, v85, v93, vcc_lo
	v_cndmask_b32_e32 v84, v84, v92, vcc_lo
	v_cndmask_b32_e64 v82, v82, s0, vcc_lo
	s_add_co_i32 s0, s0, 1
	s_delay_alu instid0(SALU_CYCLE_1)
	s_cmp_lg_u32 s18, s0
	s_cbranch_scc1 .LBB74_190
.LBB74_191:
	s_wait_dscnt 0x0
	v_cmp_eq_f32_e32 vcc_lo, 0, v84
	v_cmp_eq_f32_e64 s0, 0, v85
	s_and_b32 s0, vcc_lo, s0
	s_delay_alu instid0(SALU_CYCLE_1) | instskip(NEXT) | instid1(SALU_CYCLE_1)
	s_and_saveexec_b32 s1, s0
	s_xor_b32 s0, exec_lo, s1
; %bb.192:
	v_cmp_ne_u32_e32 vcc_lo, 0, v88
	v_cndmask_b32_e32 v88, 10, v88, vcc_lo
; %bb.193:
	s_and_not1_saveexec_b32 s0, s0
	s_cbranch_execz .LBB74_199
; %bb.194:
	v_cmp_ngt_f32_e64 s1, |v84|, |v85|
	s_and_saveexec_b32 s12, s1
	s_delay_alu instid0(SALU_CYCLE_1)
	s_xor_b32 s1, exec_lo, s12
	s_cbranch_execz .LBB74_196
; %bb.195:
	v_div_scale_f32 v83, null, v85, v85, v84
	v_div_scale_f32 v93, vcc_lo, v84, v85, v84
	s_delay_alu instid0(VALU_DEP_2) | instskip(SKIP_1) | instid1(TRANS32_DEP_1)
	v_rcp_f32_e32 v91, v83
	v_nop
	v_fma_f32 v92, -v83, v91, 1.0
	s_delay_alu instid0(VALU_DEP_1) | instskip(NEXT) | instid1(VALU_DEP_1)
	v_fmac_f32_e32 v91, v92, v91
	v_mul_f32_e32 v92, v93, v91
	s_delay_alu instid0(VALU_DEP_1) | instskip(NEXT) | instid1(VALU_DEP_1)
	v_fma_f32 v94, -v83, v92, v93
	v_fmac_f32_e32 v92, v94, v91
	s_delay_alu instid0(VALU_DEP_1) | instskip(NEXT) | instid1(VALU_DEP_1)
	v_fma_f32 v83, -v83, v92, v93
	v_div_fmas_f32 v83, v83, v91, v92
	s_delay_alu instid0(VALU_DEP_1) | instskip(NEXT) | instid1(VALU_DEP_1)
	v_div_fixup_f32 v83, v83, v85, v84
	v_fmac_f32_e32 v85, v84, v83
	s_delay_alu instid0(VALU_DEP_1) | instskip(SKIP_1) | instid1(VALU_DEP_2)
	v_div_scale_f32 v84, null, v85, v85, 1.0
	v_div_scale_f32 v93, vcc_lo, 1.0, v85, 1.0
	v_rcp_f32_e32 v91, v84
	v_nop
	s_delay_alu instid0(TRANS32_DEP_1) | instskip(NEXT) | instid1(VALU_DEP_1)
	v_fma_f32 v92, -v84, v91, 1.0
	v_fmac_f32_e32 v91, v92, v91
	s_delay_alu instid0(VALU_DEP_1) | instskip(NEXT) | instid1(VALU_DEP_1)
	v_mul_f32_e32 v92, v93, v91
	v_fma_f32 v94, -v84, v92, v93
	s_delay_alu instid0(VALU_DEP_1) | instskip(NEXT) | instid1(VALU_DEP_1)
	v_fmac_f32_e32 v92, v94, v91
	v_fma_f32 v84, -v84, v92, v93
	s_delay_alu instid0(VALU_DEP_1) | instskip(NEXT) | instid1(VALU_DEP_1)
	v_div_fmas_f32 v84, v84, v91, v92
	v_div_fixup_f32 v85, v84, v85, 1.0
	s_delay_alu instid0(VALU_DEP_1)
	v_mul_f32_e32 v84, v83, v85
	v_xor_b32_e32 v85, 0x80000000, v85
.LBB74_196:
	s_and_not1_saveexec_b32 s1, s1
	s_cbranch_execz .LBB74_198
; %bb.197:
	s_delay_alu instid0(VALU_DEP_1) | instskip(SKIP_1) | instid1(VALU_DEP_2)
	v_div_scale_f32 v83, null, v84, v84, v85
	v_div_scale_f32 v93, vcc_lo, v85, v84, v85
	v_rcp_f32_e32 v91, v83
	v_nop
	s_delay_alu instid0(TRANS32_DEP_1) | instskip(NEXT) | instid1(VALU_DEP_1)
	v_fma_f32 v92, -v83, v91, 1.0
	v_fmac_f32_e32 v91, v92, v91
	s_delay_alu instid0(VALU_DEP_1) | instskip(NEXT) | instid1(VALU_DEP_1)
	v_mul_f32_e32 v92, v93, v91
	v_fma_f32 v94, -v83, v92, v93
	s_delay_alu instid0(VALU_DEP_1) | instskip(NEXT) | instid1(VALU_DEP_1)
	v_fmac_f32_e32 v92, v94, v91
	v_fma_f32 v83, -v83, v92, v93
	s_delay_alu instid0(VALU_DEP_1) | instskip(NEXT) | instid1(VALU_DEP_1)
	v_div_fmas_f32 v83, v83, v91, v92
	v_div_fixup_f32 v83, v83, v84, v85
	s_delay_alu instid0(VALU_DEP_1) | instskip(NEXT) | instid1(VALU_DEP_1)
	v_fmac_f32_e32 v84, v85, v83
	v_div_scale_f32 v85, null, v84, v84, 1.0
	s_delay_alu instid0(VALU_DEP_1) | instskip(SKIP_1) | instid1(TRANS32_DEP_1)
	v_rcp_f32_e32 v91, v85
	v_nop
	v_fma_f32 v92, -v85, v91, 1.0
	s_delay_alu instid0(VALU_DEP_1) | instskip(SKIP_1) | instid1(VALU_DEP_1)
	v_fmac_f32_e32 v91, v92, v91
	v_div_scale_f32 v92, vcc_lo, 1.0, v84, 1.0
	v_mul_f32_e32 v93, v92, v91
	s_delay_alu instid0(VALU_DEP_1) | instskip(NEXT) | instid1(VALU_DEP_1)
	v_fma_f32 v94, -v85, v93, v92
	v_fmac_f32_e32 v93, v94, v91
	s_delay_alu instid0(VALU_DEP_1) | instskip(NEXT) | instid1(VALU_DEP_1)
	v_fma_f32 v85, -v85, v93, v92
	v_div_fmas_f32 v85, v85, v91, v93
	s_delay_alu instid0(VALU_DEP_1) | instskip(NEXT) | instid1(VALU_DEP_1)
	v_div_fixup_f32 v84, v85, v84, 1.0
	v_mul_f32_e64 v85, v83, -v84
.LBB74_198:
	s_or_b32 exec_lo, exec_lo, s1
.LBB74_199:
	s_delay_alu instid0(SALU_CYCLE_1) | instskip(NEXT) | instid1(SALU_CYCLE_1)
	s_or_b32 exec_lo, exec_lo, s0
	s_mov_b32 s0, exec_lo
	v_cmpx_ne_u32_e64 v90, v82
	s_xor_b32 s0, exec_lo, s0
	s_cbranch_execz .LBB74_205
; %bb.200:
	s_mov_b32 s1, exec_lo
	v_cmpx_eq_u32_e32 9, v90
	s_cbranch_execz .LBB74_204
; %bb.201:
	v_cmp_ne_u32_e32 vcc_lo, 9, v82
	s_xor_b32 s12, s16, -1
	s_delay_alu instid0(SALU_CYCLE_1) | instskip(NEXT) | instid1(SALU_CYCLE_1)
	s_and_b32 s13, s12, vcc_lo
	s_and_saveexec_b32 s12, s13
	s_cbranch_execz .LBB74_203
; %bb.202:
	v_ashrrev_i32_e32 v83, 31, v82
	s_delay_alu instid0(VALU_DEP_1)
	v_lshl_add_u64 v[90:91], v[82:83], 2, v[4:5]
	s_clause 0x1
	global_load_b32 v83, v[90:91], off
	global_load_b32 v89, v[4:5], off offset:36
	s_wait_loadcnt 0x1
	global_store_b32 v[4:5], v83, off offset:36
	s_wait_loadcnt 0x0
	global_store_b32 v[90:91], v89, off
.LBB74_203:
	s_wait_xcnt 0x0
	s_or_b32 exec_lo, exec_lo, s12
	v_dual_mov_b32 v90, v82 :: v_dual_mov_b32 v89, v82
.LBB74_204:
	s_or_b32 exec_lo, exec_lo, s1
.LBB74_205:
	s_and_not1_saveexec_b32 s0, s0
	s_cbranch_execz .LBB74_207
; %bb.206:
	v_dual_mov_b32 v82, v24 :: v_dual_mov_b32 v83, v25
	v_dual_mov_b32 v90, v20 :: v_dual_mov_b32 v91, v21
	;; [unrolled: 1-line block ×8, first 2 shown]
	ds_store_2addr_b64 v86, v[82:83], v[90:91] offset0:10 offset1:11
	ds_store_2addr_b64 v86, v[92:93], v[94:95] offset0:12 offset1:13
	;; [unrolled: 1-line block ×4, first 2 shown]
	v_dual_mov_b32 v82, v52 :: v_dual_mov_b32 v83, v53
	v_dual_mov_b32 v90, v48 :: v_dual_mov_b32 v91, v49
	;; [unrolled: 1-line block ×12, first 2 shown]
	ds_store_2addr_b64 v86, v[82:83], v[90:91] offset0:18 offset1:19
	ds_store_2addr_b64 v86, v[92:93], v[94:95] offset0:20 offset1:21
	ds_store_2addr_b64 v86, v[96:97], v[98:99] offset0:22 offset1:23
	ds_store_2addr_b64 v86, v[100:101], v[102:103] offset0:24 offset1:25
	ds_store_2addr_b64 v86, v[104:105], v[106:107] offset0:26 offset1:27
	ds_store_2addr_b64 v86, v[108:109], v[110:111] offset0:28 offset1:29
	v_dual_mov_b32 v82, v12 :: v_dual_mov_b32 v83, v13
	v_dual_mov_b32 v92, v8 :: v_dual_mov_b32 v93, v9
	v_dual_mov_b32 v90, 9 :: v_dual_mov_b32 v94, v56
	v_dual_mov_b32 v95, v57 :: v_dual_mov_b32 v96, v6
	v_dual_mov_b32 v97, v7 :: v_dual_mov_b32 v98, v54
	v_dual_mov_b32 v99, v55 :: v_dual_mov_b32 v100, v46
	v_dual_mov_b32 v101, v47 :: v_dual_mov_b32 v102, v26
	v_mov_b32_e32 v103, v27
	ds_store_2addr_b64 v86, v[82:83], v[92:93] offset0:30 offset1:31
	ds_store_2addr_b64 v86, v[94:95], v[96:97] offset0:32 offset1:33
	;; [unrolled: 1-line block ×4, first 2 shown]
.LBB74_207:
	s_or_b32 exec_lo, exec_lo, s0
	s_delay_alu instid0(SALU_CYCLE_1)
	s_mov_b32 s0, exec_lo
	s_wait_storecnt_dscnt 0x0
	s_barrier_signal -1
	s_barrier_wait -1
	v_cmpx_lt_i32_e32 9, v90
	s_cbranch_execz .LBB74_209
; %bb.208:
	v_pk_mul_f32 v[92:93], v[84:85], v[22:23] op_sel:[1,1] op_sel_hi:[0,1]
	s_delay_alu instid0(VALU_DEP_1)
	v_pk_fma_f32 v[82:83], v[84:85], v[22:23], v[92:93] op_sel_hi:[1,0,1] neg_lo:[0,0,1] neg_hi:[0,0,1]
	v_pk_fma_f32 v[84:85], v[84:85], v[22:23], v[92:93] op_sel_hi:[1,0,1]
	ds_load_2addr_b64 v[92:95], v86 offset0:10 offset1:11
	v_dual_mov_b32 v22, v82 :: v_dual_mov_b32 v23, v85
	s_wait_dscnt 0x0
	v_pk_mul_f32 v[96:97], v[92:93], v[84:85] op_sel:[0,1]
	s_delay_alu instid0(VALU_DEP_1) | instskip(SKIP_1) | instid1(VALU_DEP_1)
	v_pk_fma_f32 v[98:99], v[92:93], v[82:83], v[96:97] op_sel:[0,0,1] op_sel_hi:[1,1,0] neg_lo:[0,0,1] neg_hi:[0,0,1]
	v_pk_fma_f32 v[92:93], v[92:93], v[82:83], v[96:97] op_sel:[0,0,1] op_sel_hi:[1,0,0]
	v_mov_b32_e32 v99, v93
	v_pk_mul_f32 v[92:93], v[94:95], v[84:85] op_sel:[0,1]
	s_delay_alu instid0(VALU_DEP_1) | instskip(SKIP_1) | instid1(VALU_DEP_1)
	v_pk_fma_f32 v[96:97], v[94:95], v[82:83], v[92:93] op_sel:[0,0,1] op_sel_hi:[1,1,0] neg_lo:[0,0,1] neg_hi:[0,0,1]
	v_pk_fma_f32 v[92:93], v[94:95], v[82:83], v[92:93] op_sel:[0,0,1] op_sel_hi:[1,0,0]
	v_mov_b32_e32 v97, v93
	ds_load_2addr_b64 v[92:95], v86 offset0:12 offset1:13
	v_pk_add_f32 v[24:25], v[24:25], v[98:99] neg_lo:[0,1] neg_hi:[0,1]
	v_pk_add_f32 v[20:21], v[20:21], v[96:97] neg_lo:[0,1] neg_hi:[0,1]
	s_wait_dscnt 0x0
	v_pk_mul_f32 v[96:97], v[92:93], v[84:85] op_sel:[0,1]
	s_delay_alu instid0(VALU_DEP_1) | instskip(SKIP_2) | instid1(VALU_DEP_2)
	v_pk_fma_f32 v[98:99], v[92:93], v[82:83], v[96:97] op_sel:[0,0,1] op_sel_hi:[1,1,0] neg_lo:[0,0,1] neg_hi:[0,0,1]
	v_pk_fma_f32 v[92:93], v[92:93], v[82:83], v[96:97] op_sel:[0,0,1] op_sel_hi:[1,0,0]
	v_dual_mul_f32 v96, v95, v85 :: v_dual_mov_b32 v92, v95
	v_dual_mov_b32 v99, v93 :: v_dual_mov_b32 v93, v94
	s_delay_alu instid0(VALU_DEP_2) | instskip(SKIP_1) | instid1(VALU_DEP_3)
	v_pk_fma_f32 v[96:97], v[94:95], v[22:23], v[96:97] op_sel_hi:[1,1,0] neg_lo:[0,0,1] neg_hi:[0,0,1]
	v_mul_f32_e32 v94, v95, v82
	v_pk_add_f32 v[64:65], v[64:65], v[98:99] neg_lo:[0,1] neg_hi:[0,1]
	s_delay_alu instid0(VALU_DEP_2) | instskip(NEXT) | instid1(VALU_DEP_1)
	v_pk_fma_f32 v[92:93], v[92:93], v[22:23], v[94:95] op_sel_hi:[1,1,0]
	v_mov_b32_e32 v97, v93
	ds_load_2addr_b64 v[92:95], v86 offset0:14 offset1:15
	v_pk_add_f32 v[30:31], v[30:31], v[96:97] neg_lo:[0,1] neg_hi:[0,1]
	s_wait_dscnt 0x0
	v_pk_mul_f32 v[96:97], v[92:93], v[84:85] op_sel:[0,1]
	s_delay_alu instid0(VALU_DEP_1) | instskip(SKIP_1) | instid1(VALU_DEP_1)
	v_pk_fma_f32 v[98:99], v[92:93], v[82:83], v[96:97] op_sel:[0,0,1] op_sel_hi:[1,1,0] neg_lo:[0,0,1] neg_hi:[0,0,1]
	v_pk_fma_f32 v[92:93], v[92:93], v[82:83], v[96:97] op_sel:[0,0,1] op_sel_hi:[1,0,0]
	v_mov_b32_e32 v99, v93
	v_pk_mul_f32 v[92:93], v[94:95], v[84:85] op_sel:[0,1]
	s_delay_alu instid0(VALU_DEP_1) | instskip(SKIP_1) | instid1(VALU_DEP_1)
	v_pk_fma_f32 v[96:97], v[94:95], v[82:83], v[92:93] op_sel:[0,0,1] op_sel_hi:[1,1,0] neg_lo:[0,0,1] neg_hi:[0,0,1]
	v_pk_fma_f32 v[92:93], v[94:95], v[82:83], v[92:93] op_sel:[0,0,1] op_sel_hi:[1,0,0]
	v_mov_b32_e32 v97, v93
	ds_load_2addr_b64 v[92:95], v86 offset0:16 offset1:17
	v_pk_add_f32 v[32:33], v[32:33], v[98:99] neg_lo:[0,1] neg_hi:[0,1]
	v_pk_add_f32 v[28:29], v[28:29], v[96:97] neg_lo:[0,1] neg_hi:[0,1]
	s_wait_dscnt 0x0
	v_pk_mul_f32 v[96:97], v[92:93], v[84:85] op_sel:[0,1]
	s_delay_alu instid0(VALU_DEP_1) | instskip(SKIP_1) | instid1(VALU_DEP_1)
	v_pk_fma_f32 v[98:99], v[92:93], v[82:83], v[96:97] op_sel:[0,0,1] op_sel_hi:[1,1,0] neg_lo:[0,0,1] neg_hi:[0,0,1]
	v_pk_fma_f32 v[92:93], v[92:93], v[82:83], v[96:97] op_sel:[0,0,1] op_sel_hi:[1,0,0]
	v_mov_b32_e32 v99, v93
	v_pk_mul_f32 v[92:93], v[94:95], v[84:85] op_sel:[0,1]
	s_delay_alu instid0(VALU_DEP_1) | instskip(SKIP_1) | instid1(VALU_DEP_1)
	v_pk_fma_f32 v[96:97], v[94:95], v[82:83], v[92:93] op_sel:[0,0,1] op_sel_hi:[1,1,0] neg_lo:[0,0,1] neg_hi:[0,0,1]
	v_pk_fma_f32 v[92:93], v[94:95], v[82:83], v[92:93] op_sel:[0,0,1] op_sel_hi:[1,0,0]
	v_mov_b32_e32 v97, v93
	ds_load_2addr_b64 v[92:95], v86 offset0:18 offset1:19
	v_pk_add_f32 v[70:71], v[70:71], v[98:99] neg_lo:[0,1] neg_hi:[0,1]
	v_pk_add_f32 v[50:51], v[50:51], v[96:97] neg_lo:[0,1] neg_hi:[0,1]
	s_wait_dscnt 0x0
	v_dual_mul_f32 v96, v93, v85 :: v_dual_mul_f32 v98, v93, v82
	s_delay_alu instid0(VALU_DEP_1) | instskip(NEXT) | instid1(VALU_DEP_2)
	v_pk_fma_f32 v[96:97], v[92:93], v[22:23], v[96:97] op_sel_hi:[1,1,0] neg_lo:[0,0,1] neg_hi:[0,0,1]
	v_pk_fma_f32 v[92:93], v[92:93], v[22:23], v[98:99] op_sel:[1,0,0] op_sel_hi:[0,1,0]
	s_delay_alu instid0(VALU_DEP_1) | instskip(SKIP_1) | instid1(VALU_DEP_2)
	v_mov_b32_e32 v97, v93
	v_pk_mul_f32 v[92:93], v[94:95], v[84:85] op_sel:[0,1]
	v_pk_add_f32 v[52:53], v[52:53], v[96:97] neg_lo:[0,1] neg_hi:[0,1]
	s_delay_alu instid0(VALU_DEP_2) | instskip(SKIP_1) | instid1(VALU_DEP_1)
	v_pk_fma_f32 v[96:97], v[94:95], v[82:83], v[92:93] op_sel:[0,0,1] op_sel_hi:[1,1,0] neg_lo:[0,0,1] neg_hi:[0,0,1]
	v_pk_fma_f32 v[92:93], v[94:95], v[82:83], v[92:93] op_sel:[0,0,1] op_sel_hi:[1,0,0]
	v_mov_b32_e32 v97, v93
	ds_load_2addr_b64 v[92:95], v86 offset0:20 offset1:21
	v_pk_add_f32 v[48:49], v[48:49], v[96:97] neg_lo:[0,1] neg_hi:[0,1]
	s_wait_dscnt 0x0
	v_pk_mul_f32 v[96:97], v[92:93], v[84:85] op_sel:[0,1]
	s_delay_alu instid0(VALU_DEP_1) | instskip(SKIP_1) | instid1(VALU_DEP_1)
	v_pk_fma_f32 v[98:99], v[92:93], v[82:83], v[96:97] op_sel:[0,0,1] op_sel_hi:[1,1,0] neg_lo:[0,0,1] neg_hi:[0,0,1]
	v_pk_fma_f32 v[92:93], v[92:93], v[82:83], v[96:97] op_sel:[0,0,1] op_sel_hi:[1,0,0]
	v_mov_b32_e32 v99, v93
	v_pk_mul_f32 v[92:93], v[94:95], v[84:85] op_sel:[0,1]
	s_delay_alu instid0(VALU_DEP_2) | instskip(NEXT) | instid1(VALU_DEP_2)
	v_pk_add_f32 v[68:69], v[68:69], v[98:99] neg_lo:[0,1] neg_hi:[0,1]
	v_pk_fma_f32 v[96:97], v[94:95], v[82:83], v[92:93] op_sel:[0,0,1] op_sel_hi:[1,1,0] neg_lo:[0,0,1] neg_hi:[0,0,1]
	v_pk_fma_f32 v[92:93], v[94:95], v[82:83], v[92:93] op_sel:[0,0,1] op_sel_hi:[1,0,0]
	s_delay_alu instid0(VALU_DEP_1) | instskip(SKIP_4) | instid1(VALU_DEP_1)
	v_mov_b32_e32 v97, v93
	ds_load_2addr_b64 v[92:95], v86 offset0:22 offset1:23
	v_pk_add_f32 v[42:43], v[42:43], v[96:97] neg_lo:[0,1] neg_hi:[0,1]
	s_wait_dscnt 0x0
	v_pk_mul_f32 v[96:97], v[92:93], v[84:85] op_sel:[0,1]
	v_pk_fma_f32 v[98:99], v[92:93], v[82:83], v[96:97] op_sel:[0,0,1] op_sel_hi:[1,1,0] neg_lo:[0,0,1] neg_hi:[0,0,1]
	v_pk_fma_f32 v[92:93], v[92:93], v[82:83], v[96:97] op_sel:[0,0,1] op_sel_hi:[1,0,0]
	v_dual_mul_f32 v96, v95, v85 :: v_dual_mov_b32 v92, v95
	s_delay_alu instid0(VALU_DEP_2) | instskip(NEXT) | instid1(VALU_DEP_2)
	v_dual_mov_b32 v99, v93 :: v_dual_mov_b32 v93, v94
	v_pk_fma_f32 v[96:97], v[94:95], v[22:23], v[96:97] op_sel_hi:[1,1,0] neg_lo:[0,0,1] neg_hi:[0,0,1]
	v_mul_f32_e32 v94, v95, v82
	s_delay_alu instid0(VALU_DEP_3) | instskip(NEXT) | instid1(VALU_DEP_2)
	v_pk_add_f32 v[44:45], v[44:45], v[98:99] neg_lo:[0,1] neg_hi:[0,1]
	v_pk_fma_f32 v[92:93], v[92:93], v[22:23], v[94:95] op_sel_hi:[1,1,0]
	s_delay_alu instid0(VALU_DEP_1) | instskip(SKIP_4) | instid1(VALU_DEP_1)
	v_mov_b32_e32 v97, v93
	ds_load_2addr_b64 v[92:95], v86 offset0:24 offset1:25
	v_pk_add_f32 v[40:41], v[40:41], v[96:97] neg_lo:[0,1] neg_hi:[0,1]
	s_wait_dscnt 0x0
	v_pk_mul_f32 v[96:97], v[92:93], v[84:85] op_sel:[0,1]
	v_pk_fma_f32 v[98:99], v[92:93], v[82:83], v[96:97] op_sel:[0,0,1] op_sel_hi:[1,1,0] neg_lo:[0,0,1] neg_hi:[0,0,1]
	v_pk_fma_f32 v[92:93], v[92:93], v[82:83], v[96:97] op_sel:[0,0,1] op_sel_hi:[1,0,0]
	s_delay_alu instid0(VALU_DEP_1) | instskip(SKIP_1) | instid1(VALU_DEP_1)
	v_mov_b32_e32 v99, v93
	v_pk_mul_f32 v[92:93], v[94:95], v[84:85] op_sel:[0,1]
	v_pk_fma_f32 v[96:97], v[94:95], v[82:83], v[92:93] op_sel:[0,0,1] op_sel_hi:[1,1,0] neg_lo:[0,0,1] neg_hi:[0,0,1]
	v_pk_fma_f32 v[92:93], v[94:95], v[82:83], v[92:93] op_sel:[0,0,1] op_sel_hi:[1,0,0]
	s_delay_alu instid0(VALU_DEP_1)
	v_mov_b32_e32 v97, v93
	ds_load_2addr_b64 v[92:95], v86 offset0:26 offset1:27
	v_pk_add_f32 v[66:67], v[66:67], v[98:99] neg_lo:[0,1] neg_hi:[0,1]
	v_pk_add_f32 v[36:37], v[36:37], v[96:97] neg_lo:[0,1] neg_hi:[0,1]
	s_wait_dscnt 0x0
	v_pk_mul_f32 v[96:97], v[92:93], v[84:85] op_sel:[0,1]
	s_delay_alu instid0(VALU_DEP_1) | instskip(SKIP_1) | instid1(VALU_DEP_1)
	v_pk_fma_f32 v[98:99], v[92:93], v[82:83], v[96:97] op_sel:[0,0,1] op_sel_hi:[1,1,0] neg_lo:[0,0,1] neg_hi:[0,0,1]
	v_pk_fma_f32 v[92:93], v[92:93], v[82:83], v[96:97] op_sel:[0,0,1] op_sel_hi:[1,0,0]
	v_mov_b32_e32 v99, v93
	v_pk_mul_f32 v[92:93], v[94:95], v[84:85] op_sel:[0,1]
	s_delay_alu instid0(VALU_DEP_1) | instskip(SKIP_1) | instid1(VALU_DEP_1)
	v_pk_fma_f32 v[96:97], v[94:95], v[82:83], v[92:93] op_sel:[0,0,1] op_sel_hi:[1,1,0] neg_lo:[0,0,1] neg_hi:[0,0,1]
	v_pk_fma_f32 v[92:93], v[94:95], v[82:83], v[92:93] op_sel:[0,0,1] op_sel_hi:[1,0,0]
	v_mov_b32_e32 v97, v93
	ds_load_2addr_b64 v[92:95], v86 offset0:28 offset1:29
	v_pk_add_f32 v[38:39], v[38:39], v[98:99] neg_lo:[0,1] neg_hi:[0,1]
	v_pk_add_f32 v[34:35], v[34:35], v[96:97] neg_lo:[0,1] neg_hi:[0,1]
	s_wait_dscnt 0x0
	v_dual_mul_f32 v96, v93, v85 :: v_dual_mul_f32 v98, v93, v82
	s_delay_alu instid0(VALU_DEP_1) | instskip(NEXT) | instid1(VALU_DEP_2)
	v_pk_fma_f32 v[96:97], v[92:93], v[22:23], v[96:97] op_sel_hi:[1,1,0] neg_lo:[0,0,1] neg_hi:[0,0,1]
	v_pk_fma_f32 v[92:93], v[92:93], v[22:23], v[98:99] op_sel:[1,0,0] op_sel_hi:[0,1,0]
	s_delay_alu instid0(VALU_DEP_1) | instskip(SKIP_1) | instid1(VALU_DEP_2)
	v_mov_b32_e32 v97, v93
	v_pk_mul_f32 v[92:93], v[94:95], v[84:85] op_sel:[0,1]
	v_pk_add_f32 v[58:59], v[58:59], v[96:97] neg_lo:[0,1] neg_hi:[0,1]
	s_delay_alu instid0(VALU_DEP_2) | instskip(SKIP_1) | instid1(VALU_DEP_1)
	v_pk_fma_f32 v[96:97], v[94:95], v[82:83], v[92:93] op_sel:[0,0,1] op_sel_hi:[1,1,0] neg_lo:[0,0,1] neg_hi:[0,0,1]
	v_pk_fma_f32 v[92:93], v[94:95], v[82:83], v[92:93] op_sel:[0,0,1] op_sel_hi:[1,0,0]
	v_mov_b32_e32 v97, v93
	ds_load_2addr_b64 v[92:95], v86 offset0:30 offset1:31
	v_pk_add_f32 v[10:11], v[10:11], v[96:97] neg_lo:[0,1] neg_hi:[0,1]
	s_wait_dscnt 0x0
	v_pk_mul_f32 v[96:97], v[92:93], v[84:85] op_sel:[0,1]
	s_delay_alu instid0(VALU_DEP_1) | instskip(SKIP_1) | instid1(VALU_DEP_1)
	v_pk_fma_f32 v[98:99], v[92:93], v[82:83], v[96:97] op_sel:[0,0,1] op_sel_hi:[1,1,0] neg_lo:[0,0,1] neg_hi:[0,0,1]
	v_pk_fma_f32 v[92:93], v[92:93], v[82:83], v[96:97] op_sel:[0,0,1] op_sel_hi:[1,0,0]
	v_mov_b32_e32 v99, v93
	v_pk_mul_f32 v[92:93], v[94:95], v[84:85] op_sel:[0,1]
	s_delay_alu instid0(VALU_DEP_2) | instskip(NEXT) | instid1(VALU_DEP_2)
	v_pk_add_f32 v[12:13], v[12:13], v[98:99] neg_lo:[0,1] neg_hi:[0,1]
	v_pk_fma_f32 v[96:97], v[94:95], v[82:83], v[92:93] op_sel:[0,0,1] op_sel_hi:[1,1,0] neg_lo:[0,0,1] neg_hi:[0,0,1]
	v_pk_fma_f32 v[92:93], v[94:95], v[82:83], v[92:93] op_sel:[0,0,1] op_sel_hi:[1,0,0]
	s_delay_alu instid0(VALU_DEP_1) | instskip(SKIP_4) | instid1(VALU_DEP_1)
	v_mov_b32_e32 v97, v93
	ds_load_2addr_b64 v[92:95], v86 offset0:32 offset1:33
	v_pk_add_f32 v[8:9], v[8:9], v[96:97] neg_lo:[0,1] neg_hi:[0,1]
	s_wait_dscnt 0x0
	v_pk_mul_f32 v[96:97], v[92:93], v[84:85] op_sel:[0,1]
	v_pk_fma_f32 v[98:99], v[92:93], v[82:83], v[96:97] op_sel:[0,0,1] op_sel_hi:[1,1,0] neg_lo:[0,0,1] neg_hi:[0,0,1]
	v_pk_fma_f32 v[92:93], v[92:93], v[82:83], v[96:97] op_sel:[0,0,1] op_sel_hi:[1,0,0]
	v_dual_mul_f32 v96, v95, v85 :: v_dual_mov_b32 v92, v95
	s_delay_alu instid0(VALU_DEP_2) | instskip(NEXT) | instid1(VALU_DEP_2)
	v_dual_mov_b32 v99, v93 :: v_dual_mov_b32 v93, v94
	v_pk_fma_f32 v[96:97], v[94:95], v[22:23], v[96:97] op_sel_hi:[1,1,0] neg_lo:[0,0,1] neg_hi:[0,0,1]
	v_mul_f32_e32 v94, v95, v82
	s_delay_alu instid0(VALU_DEP_3) | instskip(NEXT) | instid1(VALU_DEP_2)
	v_pk_add_f32 v[56:57], v[56:57], v[98:99] neg_lo:[0,1] neg_hi:[0,1]
	v_pk_fma_f32 v[92:93], v[92:93], v[22:23], v[94:95] op_sel_hi:[1,1,0]
	s_delay_alu instid0(VALU_DEP_1) | instskip(SKIP_4) | instid1(VALU_DEP_1)
	v_mov_b32_e32 v97, v93
	ds_load_2addr_b64 v[92:95], v86 offset0:34 offset1:35
	v_pk_add_f32 v[6:7], v[6:7], v[96:97] neg_lo:[0,1] neg_hi:[0,1]
	s_wait_dscnt 0x0
	v_pk_mul_f32 v[96:97], v[92:93], v[84:85] op_sel:[0,1]
	v_pk_fma_f32 v[98:99], v[92:93], v[82:83], v[96:97] op_sel:[0,0,1] op_sel_hi:[1,1,0] neg_lo:[0,0,1] neg_hi:[0,0,1]
	v_pk_fma_f32 v[92:93], v[92:93], v[82:83], v[96:97] op_sel:[0,0,1] op_sel_hi:[1,0,0]
	s_delay_alu instid0(VALU_DEP_1) | instskip(SKIP_1) | instid1(VALU_DEP_1)
	v_mov_b32_e32 v99, v93
	v_pk_mul_f32 v[92:93], v[94:95], v[84:85] op_sel:[0,1]
	v_pk_fma_f32 v[96:97], v[94:95], v[82:83], v[92:93] op_sel:[0,0,1] op_sel_hi:[1,1,0] neg_lo:[0,0,1] neg_hi:[0,0,1]
	v_pk_fma_f32 v[92:93], v[94:95], v[82:83], v[92:93] op_sel:[0,0,1] op_sel_hi:[1,0,0]
	s_delay_alu instid0(VALU_DEP_1)
	v_mov_b32_e32 v97, v93
	ds_load_2addr_b64 v[92:95], v86 offset0:36 offset1:37
	v_pk_add_f32 v[54:55], v[54:55], v[98:99] neg_lo:[0,1] neg_hi:[0,1]
	v_pk_add_f32 v[46:47], v[46:47], v[96:97] neg_lo:[0,1] neg_hi:[0,1]
	s_wait_dscnt 0x0
	v_pk_mul_f32 v[96:97], v[92:93], v[84:85] op_sel:[0,1]
	v_pk_mul_f32 v[84:85], v[94:95], v[84:85] op_sel:[0,1]
	s_delay_alu instid0(VALU_DEP_2) | instskip(SKIP_1) | instid1(VALU_DEP_1)
	v_pk_fma_f32 v[98:99], v[92:93], v[82:83], v[96:97] op_sel:[0,0,1] op_sel_hi:[1,1,0] neg_lo:[0,0,1] neg_hi:[0,0,1]
	v_pk_fma_f32 v[92:93], v[92:93], v[82:83], v[96:97] op_sel:[0,0,1] op_sel_hi:[1,0,0]
	v_mov_b32_e32 v99, v93
	s_delay_alu instid0(VALU_DEP_4) | instskip(SKIP_1) | instid1(VALU_DEP_1)
	v_pk_fma_f32 v[92:93], v[94:95], v[82:83], v[84:85] op_sel:[0,0,1] op_sel_hi:[1,1,0] neg_lo:[0,0,1] neg_hi:[0,0,1]
	v_pk_fma_f32 v[82:83], v[94:95], v[82:83], v[84:85] op_sel:[0,0,1] op_sel_hi:[1,0,0]
	v_mov_b32_e32 v93, v83
	s_delay_alu instid0(VALU_DEP_4) | instskip(NEXT) | instid1(VALU_DEP_2)
	v_pk_add_f32 v[26:27], v[26:27], v[98:99] neg_lo:[0,1] neg_hi:[0,1]
	v_pk_add_f32 v[80:81], v[80:81], v[92:93] neg_lo:[0,1] neg_hi:[0,1]
.LBB74_209:
	s_or_b32 exec_lo, exec_lo, s0
	v_lshl_add_u32 v82, v90, 3, v86
	s_barrier_signal -1
	s_barrier_wait -1
	ds_store_b64 v82, v[24:25]
	s_wait_dscnt 0x0
	s_barrier_signal -1
	s_barrier_wait -1
	ds_load_b64 v[84:85], v86 offset:80
	v_mov_b32_e32 v82, 10
	s_cmp_lt_i32 s18, 12
	s_cbranch_scc1 .LBB74_212
; %bb.210:
	v_add3_u32 v83, v87, 0, 0x58
	v_mov_b32_e32 v82, 10
	s_mov_b32 s0, 11
.LBB74_211:                             ; =>This Inner Loop Header: Depth=1
	ds_load_b64 v[92:93], v83
	s_wait_dscnt 0x1
	v_cmp_gt_f32_e32 vcc_lo, 0, v84
	v_cndmask_b32_e64 v94, v84, -v84, vcc_lo
	v_cmp_gt_f32_e32 vcc_lo, 0, v85
	v_cndmask_b32_e64 v96, v85, -v85, vcc_lo
	s_wait_dscnt 0x0
	v_cmp_gt_f32_e32 vcc_lo, 0, v92
	v_cndmask_b32_e64 v95, v92, -v92, vcc_lo
	v_cmp_gt_f32_e32 vcc_lo, 0, v93
	v_cndmask_b32_e64 v97, v93, -v93, vcc_lo
	s_delay_alu instid0(VALU_DEP_1) | instskip(NEXT) | instid1(VALU_DEP_1)
	v_pk_add_f32 v[94:95], v[94:95], v[96:97]
	v_cmp_lt_f32_e32 vcc_lo, v94, v95
	v_dual_add_nc_u32 v83, 8, v83 :: v_dual_cndmask_b32 v85, v85, v93, vcc_lo
	v_cndmask_b32_e32 v84, v84, v92, vcc_lo
	v_cndmask_b32_e64 v82, v82, s0, vcc_lo
	s_add_co_i32 s0, s0, 1
	s_delay_alu instid0(SALU_CYCLE_1)
	s_cmp_lg_u32 s18, s0
	s_cbranch_scc1 .LBB74_211
.LBB74_212:
	s_wait_dscnt 0x0
	v_cmp_eq_f32_e32 vcc_lo, 0, v84
	v_cmp_eq_f32_e64 s0, 0, v85
	s_and_b32 s0, vcc_lo, s0
	s_delay_alu instid0(SALU_CYCLE_1) | instskip(NEXT) | instid1(SALU_CYCLE_1)
	s_and_saveexec_b32 s1, s0
	s_xor_b32 s0, exec_lo, s1
; %bb.213:
	v_cmp_ne_u32_e32 vcc_lo, 0, v88
	v_cndmask_b32_e32 v88, 11, v88, vcc_lo
; %bb.214:
	s_and_not1_saveexec_b32 s0, s0
	s_cbranch_execz .LBB74_220
; %bb.215:
	v_cmp_ngt_f32_e64 s1, |v84|, |v85|
	s_and_saveexec_b32 s12, s1
	s_delay_alu instid0(SALU_CYCLE_1)
	s_xor_b32 s1, exec_lo, s12
	s_cbranch_execz .LBB74_217
; %bb.216:
	v_div_scale_f32 v83, null, v85, v85, v84
	v_div_scale_f32 v93, vcc_lo, v84, v85, v84
	s_delay_alu instid0(VALU_DEP_2) | instskip(SKIP_1) | instid1(TRANS32_DEP_1)
	v_rcp_f32_e32 v91, v83
	v_nop
	v_fma_f32 v92, -v83, v91, 1.0
	s_delay_alu instid0(VALU_DEP_1) | instskip(NEXT) | instid1(VALU_DEP_1)
	v_fmac_f32_e32 v91, v92, v91
	v_mul_f32_e32 v92, v93, v91
	s_delay_alu instid0(VALU_DEP_1) | instskip(NEXT) | instid1(VALU_DEP_1)
	v_fma_f32 v94, -v83, v92, v93
	v_fmac_f32_e32 v92, v94, v91
	s_delay_alu instid0(VALU_DEP_1) | instskip(NEXT) | instid1(VALU_DEP_1)
	v_fma_f32 v83, -v83, v92, v93
	v_div_fmas_f32 v83, v83, v91, v92
	s_delay_alu instid0(VALU_DEP_1) | instskip(NEXT) | instid1(VALU_DEP_1)
	v_div_fixup_f32 v83, v83, v85, v84
	v_fmac_f32_e32 v85, v84, v83
	s_delay_alu instid0(VALU_DEP_1) | instskip(SKIP_1) | instid1(VALU_DEP_2)
	v_div_scale_f32 v84, null, v85, v85, 1.0
	v_div_scale_f32 v93, vcc_lo, 1.0, v85, 1.0
	v_rcp_f32_e32 v91, v84
	v_nop
	s_delay_alu instid0(TRANS32_DEP_1) | instskip(NEXT) | instid1(VALU_DEP_1)
	v_fma_f32 v92, -v84, v91, 1.0
	v_fmac_f32_e32 v91, v92, v91
	s_delay_alu instid0(VALU_DEP_1) | instskip(NEXT) | instid1(VALU_DEP_1)
	v_mul_f32_e32 v92, v93, v91
	v_fma_f32 v94, -v84, v92, v93
	s_delay_alu instid0(VALU_DEP_1) | instskip(NEXT) | instid1(VALU_DEP_1)
	v_fmac_f32_e32 v92, v94, v91
	v_fma_f32 v84, -v84, v92, v93
	s_delay_alu instid0(VALU_DEP_1) | instskip(NEXT) | instid1(VALU_DEP_1)
	v_div_fmas_f32 v84, v84, v91, v92
	v_div_fixup_f32 v85, v84, v85, 1.0
	s_delay_alu instid0(VALU_DEP_1)
	v_mul_f32_e32 v84, v83, v85
	v_xor_b32_e32 v85, 0x80000000, v85
.LBB74_217:
	s_and_not1_saveexec_b32 s1, s1
	s_cbranch_execz .LBB74_219
; %bb.218:
	s_delay_alu instid0(VALU_DEP_1) | instskip(SKIP_1) | instid1(VALU_DEP_2)
	v_div_scale_f32 v83, null, v84, v84, v85
	v_div_scale_f32 v93, vcc_lo, v85, v84, v85
	v_rcp_f32_e32 v91, v83
	v_nop
	s_delay_alu instid0(TRANS32_DEP_1) | instskip(NEXT) | instid1(VALU_DEP_1)
	v_fma_f32 v92, -v83, v91, 1.0
	v_fmac_f32_e32 v91, v92, v91
	s_delay_alu instid0(VALU_DEP_1) | instskip(NEXT) | instid1(VALU_DEP_1)
	v_mul_f32_e32 v92, v93, v91
	v_fma_f32 v94, -v83, v92, v93
	s_delay_alu instid0(VALU_DEP_1) | instskip(NEXT) | instid1(VALU_DEP_1)
	v_fmac_f32_e32 v92, v94, v91
	v_fma_f32 v83, -v83, v92, v93
	s_delay_alu instid0(VALU_DEP_1) | instskip(NEXT) | instid1(VALU_DEP_1)
	v_div_fmas_f32 v83, v83, v91, v92
	v_div_fixup_f32 v83, v83, v84, v85
	s_delay_alu instid0(VALU_DEP_1) | instskip(NEXT) | instid1(VALU_DEP_1)
	v_fmac_f32_e32 v84, v85, v83
	v_div_scale_f32 v85, null, v84, v84, 1.0
	s_delay_alu instid0(VALU_DEP_1) | instskip(SKIP_1) | instid1(TRANS32_DEP_1)
	v_rcp_f32_e32 v91, v85
	v_nop
	v_fma_f32 v92, -v85, v91, 1.0
	s_delay_alu instid0(VALU_DEP_1) | instskip(SKIP_1) | instid1(VALU_DEP_1)
	v_fmac_f32_e32 v91, v92, v91
	v_div_scale_f32 v92, vcc_lo, 1.0, v84, 1.0
	v_mul_f32_e32 v93, v92, v91
	s_delay_alu instid0(VALU_DEP_1) | instskip(NEXT) | instid1(VALU_DEP_1)
	v_fma_f32 v94, -v85, v93, v92
	v_fmac_f32_e32 v93, v94, v91
	s_delay_alu instid0(VALU_DEP_1) | instskip(NEXT) | instid1(VALU_DEP_1)
	v_fma_f32 v85, -v85, v93, v92
	v_div_fmas_f32 v85, v85, v91, v93
	s_delay_alu instid0(VALU_DEP_1) | instskip(NEXT) | instid1(VALU_DEP_1)
	v_div_fixup_f32 v84, v85, v84, 1.0
	v_mul_f32_e64 v85, v83, -v84
.LBB74_219:
	s_or_b32 exec_lo, exec_lo, s1
.LBB74_220:
	s_delay_alu instid0(SALU_CYCLE_1) | instskip(NEXT) | instid1(SALU_CYCLE_1)
	s_or_b32 exec_lo, exec_lo, s0
	s_mov_b32 s0, exec_lo
	v_cmpx_ne_u32_e64 v90, v82
	s_xor_b32 s0, exec_lo, s0
	s_cbranch_execz .LBB74_226
; %bb.221:
	s_mov_b32 s1, exec_lo
	v_cmpx_eq_u32_e32 10, v90
	s_cbranch_execz .LBB74_225
; %bb.222:
	v_cmp_ne_u32_e32 vcc_lo, 10, v82
	s_xor_b32 s12, s16, -1
	s_delay_alu instid0(SALU_CYCLE_1) | instskip(NEXT) | instid1(SALU_CYCLE_1)
	s_and_b32 s13, s12, vcc_lo
	s_and_saveexec_b32 s12, s13
	s_cbranch_execz .LBB74_224
; %bb.223:
	v_ashrrev_i32_e32 v83, 31, v82
	s_delay_alu instid0(VALU_DEP_1)
	v_lshl_add_u64 v[90:91], v[82:83], 2, v[4:5]
	s_clause 0x1
	global_load_b32 v83, v[90:91], off
	global_load_b32 v89, v[4:5], off offset:40
	s_wait_loadcnt 0x1
	global_store_b32 v[4:5], v83, off offset:40
	s_wait_loadcnt 0x0
	global_store_b32 v[90:91], v89, off
.LBB74_224:
	s_wait_xcnt 0x0
	s_or_b32 exec_lo, exec_lo, s12
	v_dual_mov_b32 v90, v82 :: v_dual_mov_b32 v89, v82
.LBB74_225:
	s_or_b32 exec_lo, exec_lo, s1
.LBB74_226:
	s_and_not1_saveexec_b32 s0, s0
	s_cbranch_execz .LBB74_228
; %bb.227:
	v_mov_b32_e32 v90, 10
	ds_store_2addr_b64 v86, v[20:21], v[64:65] offset0:11 offset1:12
	ds_store_2addr_b64 v86, v[30:31], v[32:33] offset0:13 offset1:14
	;; [unrolled: 1-line block ×13, first 2 shown]
	ds_store_b64 v86, v[80:81] offset:296
.LBB74_228:
	s_or_b32 exec_lo, exec_lo, s0
	s_delay_alu instid0(SALU_CYCLE_1)
	s_mov_b32 s0, exec_lo
	s_wait_storecnt_dscnt 0x0
	s_barrier_signal -1
	s_barrier_wait -1
	v_cmpx_lt_i32_e32 10, v90
	s_cbranch_execz .LBB74_230
; %bb.229:
	v_pk_mul_f32 v[92:93], v[84:85], v[24:25] op_sel:[1,1] op_sel_hi:[0,1]
	s_delay_alu instid0(VALU_DEP_1)
	v_pk_fma_f32 v[82:83], v[84:85], v[24:25], v[92:93] op_sel_hi:[1,0,1] neg_lo:[0,0,1] neg_hi:[0,0,1]
	v_pk_fma_f32 v[84:85], v[84:85], v[24:25], v[92:93] op_sel_hi:[1,0,1]
	ds_load_2addr_b64 v[92:95], v86 offset0:11 offset1:12
	v_dual_mov_b32 v24, v82 :: v_dual_mov_b32 v25, v85
	s_wait_dscnt 0x0
	v_pk_mul_f32 v[96:97], v[92:93], v[84:85] op_sel:[0,1]
	s_delay_alu instid0(VALU_DEP_1) | instskip(SKIP_1) | instid1(VALU_DEP_1)
	v_pk_fma_f32 v[98:99], v[92:93], v[82:83], v[96:97] op_sel:[0,0,1] op_sel_hi:[1,1,0] neg_lo:[0,0,1] neg_hi:[0,0,1]
	v_pk_fma_f32 v[92:93], v[92:93], v[82:83], v[96:97] op_sel:[0,0,1] op_sel_hi:[1,0,0]
	v_mov_b32_e32 v99, v93
	v_pk_mul_f32 v[92:93], v[94:95], v[84:85] op_sel:[0,1]
	s_delay_alu instid0(VALU_DEP_1) | instskip(SKIP_1) | instid1(VALU_DEP_1)
	v_pk_fma_f32 v[96:97], v[94:95], v[82:83], v[92:93] op_sel:[0,0,1] op_sel_hi:[1,1,0] neg_lo:[0,0,1] neg_hi:[0,0,1]
	v_pk_fma_f32 v[92:93], v[94:95], v[82:83], v[92:93] op_sel:[0,0,1] op_sel_hi:[1,0,0]
	v_mov_b32_e32 v97, v93
	ds_load_2addr_b64 v[92:95], v86 offset0:13 offset1:14
	v_pk_add_f32 v[20:21], v[20:21], v[98:99] neg_lo:[0,1] neg_hi:[0,1]
	v_pk_add_f32 v[64:65], v[64:65], v[96:97] neg_lo:[0,1] neg_hi:[0,1]
	s_wait_dscnt 0x0
	v_pk_mul_f32 v[96:97], v[92:93], v[84:85] op_sel:[0,1]
	s_delay_alu instid0(VALU_DEP_1) | instskip(SKIP_2) | instid1(VALU_DEP_2)
	v_pk_fma_f32 v[98:99], v[92:93], v[82:83], v[96:97] op_sel:[0,0,1] op_sel_hi:[1,1,0] neg_lo:[0,0,1] neg_hi:[0,0,1]
	v_pk_fma_f32 v[92:93], v[92:93], v[82:83], v[96:97] op_sel:[0,0,1] op_sel_hi:[1,0,0]
	v_dual_mul_f32 v96, v95, v85 :: v_dual_mov_b32 v92, v95
	v_dual_mov_b32 v99, v93 :: v_dual_mov_b32 v93, v94
	s_delay_alu instid0(VALU_DEP_2) | instskip(SKIP_1) | instid1(VALU_DEP_3)
	v_pk_fma_f32 v[96:97], v[94:95], v[24:25], v[96:97] op_sel_hi:[1,1,0] neg_lo:[0,0,1] neg_hi:[0,0,1]
	v_mul_f32_e32 v94, v95, v82
	v_pk_add_f32 v[30:31], v[30:31], v[98:99] neg_lo:[0,1] neg_hi:[0,1]
	s_delay_alu instid0(VALU_DEP_2) | instskip(NEXT) | instid1(VALU_DEP_1)
	v_pk_fma_f32 v[92:93], v[92:93], v[24:25], v[94:95] op_sel_hi:[1,1,0]
	v_mov_b32_e32 v97, v93
	ds_load_2addr_b64 v[92:95], v86 offset0:15 offset1:16
	v_pk_add_f32 v[32:33], v[32:33], v[96:97] neg_lo:[0,1] neg_hi:[0,1]
	s_wait_dscnt 0x0
	v_pk_mul_f32 v[96:97], v[92:93], v[84:85] op_sel:[0,1]
	s_delay_alu instid0(VALU_DEP_1) | instskip(SKIP_1) | instid1(VALU_DEP_1)
	v_pk_fma_f32 v[98:99], v[92:93], v[82:83], v[96:97] op_sel:[0,0,1] op_sel_hi:[1,1,0] neg_lo:[0,0,1] neg_hi:[0,0,1]
	v_pk_fma_f32 v[92:93], v[92:93], v[82:83], v[96:97] op_sel:[0,0,1] op_sel_hi:[1,0,0]
	v_mov_b32_e32 v99, v93
	v_pk_mul_f32 v[92:93], v[94:95], v[84:85] op_sel:[0,1]
	s_delay_alu instid0(VALU_DEP_1) | instskip(SKIP_1) | instid1(VALU_DEP_1)
	v_pk_fma_f32 v[96:97], v[94:95], v[82:83], v[92:93] op_sel:[0,0,1] op_sel_hi:[1,1,0] neg_lo:[0,0,1] neg_hi:[0,0,1]
	v_pk_fma_f32 v[92:93], v[94:95], v[82:83], v[92:93] op_sel:[0,0,1] op_sel_hi:[1,0,0]
	v_mov_b32_e32 v97, v93
	ds_load_2addr_b64 v[92:95], v86 offset0:17 offset1:18
	v_pk_add_f32 v[28:29], v[28:29], v[98:99] neg_lo:[0,1] neg_hi:[0,1]
	v_pk_add_f32 v[70:71], v[70:71], v[96:97] neg_lo:[0,1] neg_hi:[0,1]
	s_wait_dscnt 0x0
	v_pk_mul_f32 v[96:97], v[92:93], v[84:85] op_sel:[0,1]
	s_delay_alu instid0(VALU_DEP_1) | instskip(SKIP_1) | instid1(VALU_DEP_1)
	v_pk_fma_f32 v[98:99], v[92:93], v[82:83], v[96:97] op_sel:[0,0,1] op_sel_hi:[1,1,0] neg_lo:[0,0,1] neg_hi:[0,0,1]
	v_pk_fma_f32 v[92:93], v[92:93], v[82:83], v[96:97] op_sel:[0,0,1] op_sel_hi:[1,0,0]
	v_mov_b32_e32 v99, v93
	v_pk_mul_f32 v[92:93], v[94:95], v[84:85] op_sel:[0,1]
	s_delay_alu instid0(VALU_DEP_1) | instskip(SKIP_1) | instid1(VALU_DEP_1)
	v_pk_fma_f32 v[96:97], v[94:95], v[82:83], v[92:93] op_sel:[0,0,1] op_sel_hi:[1,1,0] neg_lo:[0,0,1] neg_hi:[0,0,1]
	v_pk_fma_f32 v[92:93], v[94:95], v[82:83], v[92:93] op_sel:[0,0,1] op_sel_hi:[1,0,0]
	v_mov_b32_e32 v97, v93
	ds_load_2addr_b64 v[92:95], v86 offset0:19 offset1:20
	v_pk_add_f32 v[50:51], v[50:51], v[98:99] neg_lo:[0,1] neg_hi:[0,1]
	v_pk_add_f32 v[52:53], v[52:53], v[96:97] neg_lo:[0,1] neg_hi:[0,1]
	s_wait_dscnt 0x0
	v_dual_mul_f32 v96, v93, v85 :: v_dual_mul_f32 v98, v93, v82
	s_delay_alu instid0(VALU_DEP_1) | instskip(NEXT) | instid1(VALU_DEP_2)
	v_pk_fma_f32 v[96:97], v[92:93], v[24:25], v[96:97] op_sel_hi:[1,1,0] neg_lo:[0,0,1] neg_hi:[0,0,1]
	v_pk_fma_f32 v[92:93], v[92:93], v[24:25], v[98:99] op_sel:[1,0,0] op_sel_hi:[0,1,0]
	s_delay_alu instid0(VALU_DEP_1) | instskip(SKIP_1) | instid1(VALU_DEP_2)
	v_mov_b32_e32 v97, v93
	v_pk_mul_f32 v[92:93], v[94:95], v[84:85] op_sel:[0,1]
	v_pk_add_f32 v[48:49], v[48:49], v[96:97] neg_lo:[0,1] neg_hi:[0,1]
	s_delay_alu instid0(VALU_DEP_2) | instskip(SKIP_1) | instid1(VALU_DEP_1)
	v_pk_fma_f32 v[96:97], v[94:95], v[82:83], v[92:93] op_sel:[0,0,1] op_sel_hi:[1,1,0] neg_lo:[0,0,1] neg_hi:[0,0,1]
	v_pk_fma_f32 v[92:93], v[94:95], v[82:83], v[92:93] op_sel:[0,0,1] op_sel_hi:[1,0,0]
	v_mov_b32_e32 v97, v93
	ds_load_2addr_b64 v[92:95], v86 offset0:21 offset1:22
	v_pk_add_f32 v[68:69], v[68:69], v[96:97] neg_lo:[0,1] neg_hi:[0,1]
	s_wait_dscnt 0x0
	v_pk_mul_f32 v[96:97], v[92:93], v[84:85] op_sel:[0,1]
	s_delay_alu instid0(VALU_DEP_1) | instskip(SKIP_1) | instid1(VALU_DEP_1)
	v_pk_fma_f32 v[98:99], v[92:93], v[82:83], v[96:97] op_sel:[0,0,1] op_sel_hi:[1,1,0] neg_lo:[0,0,1] neg_hi:[0,0,1]
	v_pk_fma_f32 v[92:93], v[92:93], v[82:83], v[96:97] op_sel:[0,0,1] op_sel_hi:[1,0,0]
	v_mov_b32_e32 v99, v93
	v_pk_mul_f32 v[92:93], v[94:95], v[84:85] op_sel:[0,1]
	s_delay_alu instid0(VALU_DEP_2) | instskip(NEXT) | instid1(VALU_DEP_2)
	v_pk_add_f32 v[42:43], v[42:43], v[98:99] neg_lo:[0,1] neg_hi:[0,1]
	v_pk_fma_f32 v[96:97], v[94:95], v[82:83], v[92:93] op_sel:[0,0,1] op_sel_hi:[1,1,0] neg_lo:[0,0,1] neg_hi:[0,0,1]
	v_pk_fma_f32 v[92:93], v[94:95], v[82:83], v[92:93] op_sel:[0,0,1] op_sel_hi:[1,0,0]
	s_delay_alu instid0(VALU_DEP_1) | instskip(SKIP_4) | instid1(VALU_DEP_1)
	v_mov_b32_e32 v97, v93
	ds_load_2addr_b64 v[92:95], v86 offset0:23 offset1:24
	v_pk_add_f32 v[44:45], v[44:45], v[96:97] neg_lo:[0,1] neg_hi:[0,1]
	s_wait_dscnt 0x0
	v_pk_mul_f32 v[96:97], v[92:93], v[84:85] op_sel:[0,1]
	v_pk_fma_f32 v[98:99], v[92:93], v[82:83], v[96:97] op_sel:[0,0,1] op_sel_hi:[1,1,0] neg_lo:[0,0,1] neg_hi:[0,0,1]
	v_pk_fma_f32 v[92:93], v[92:93], v[82:83], v[96:97] op_sel:[0,0,1] op_sel_hi:[1,0,0]
	v_dual_mul_f32 v96, v95, v85 :: v_dual_mov_b32 v92, v95
	s_delay_alu instid0(VALU_DEP_2) | instskip(NEXT) | instid1(VALU_DEP_2)
	v_dual_mov_b32 v99, v93 :: v_dual_mov_b32 v93, v94
	v_pk_fma_f32 v[96:97], v[94:95], v[24:25], v[96:97] op_sel_hi:[1,1,0] neg_lo:[0,0,1] neg_hi:[0,0,1]
	v_mul_f32_e32 v94, v95, v82
	s_delay_alu instid0(VALU_DEP_3) | instskip(NEXT) | instid1(VALU_DEP_2)
	v_pk_add_f32 v[40:41], v[40:41], v[98:99] neg_lo:[0,1] neg_hi:[0,1]
	v_pk_fma_f32 v[92:93], v[92:93], v[24:25], v[94:95] op_sel_hi:[1,1,0]
	s_delay_alu instid0(VALU_DEP_1) | instskip(SKIP_4) | instid1(VALU_DEP_1)
	v_mov_b32_e32 v97, v93
	ds_load_2addr_b64 v[92:95], v86 offset0:25 offset1:26
	v_pk_add_f32 v[66:67], v[66:67], v[96:97] neg_lo:[0,1] neg_hi:[0,1]
	s_wait_dscnt 0x0
	v_pk_mul_f32 v[96:97], v[92:93], v[84:85] op_sel:[0,1]
	v_pk_fma_f32 v[98:99], v[92:93], v[82:83], v[96:97] op_sel:[0,0,1] op_sel_hi:[1,1,0] neg_lo:[0,0,1] neg_hi:[0,0,1]
	v_pk_fma_f32 v[92:93], v[92:93], v[82:83], v[96:97] op_sel:[0,0,1] op_sel_hi:[1,0,0]
	s_delay_alu instid0(VALU_DEP_1) | instskip(SKIP_1) | instid1(VALU_DEP_1)
	v_mov_b32_e32 v99, v93
	v_pk_mul_f32 v[92:93], v[94:95], v[84:85] op_sel:[0,1]
	v_pk_fma_f32 v[96:97], v[94:95], v[82:83], v[92:93] op_sel:[0,0,1] op_sel_hi:[1,1,0] neg_lo:[0,0,1] neg_hi:[0,0,1]
	v_pk_fma_f32 v[92:93], v[94:95], v[82:83], v[92:93] op_sel:[0,0,1] op_sel_hi:[1,0,0]
	s_delay_alu instid0(VALU_DEP_1)
	v_mov_b32_e32 v97, v93
	ds_load_2addr_b64 v[92:95], v86 offset0:27 offset1:28
	v_pk_add_f32 v[36:37], v[36:37], v[98:99] neg_lo:[0,1] neg_hi:[0,1]
	v_pk_add_f32 v[38:39], v[38:39], v[96:97] neg_lo:[0,1] neg_hi:[0,1]
	s_wait_dscnt 0x0
	v_pk_mul_f32 v[96:97], v[92:93], v[84:85] op_sel:[0,1]
	s_delay_alu instid0(VALU_DEP_1) | instskip(SKIP_1) | instid1(VALU_DEP_1)
	v_pk_fma_f32 v[98:99], v[92:93], v[82:83], v[96:97] op_sel:[0,0,1] op_sel_hi:[1,1,0] neg_lo:[0,0,1] neg_hi:[0,0,1]
	v_pk_fma_f32 v[92:93], v[92:93], v[82:83], v[96:97] op_sel:[0,0,1] op_sel_hi:[1,0,0]
	v_mov_b32_e32 v99, v93
	v_pk_mul_f32 v[92:93], v[94:95], v[84:85] op_sel:[0,1]
	s_delay_alu instid0(VALU_DEP_1) | instskip(SKIP_1) | instid1(VALU_DEP_1)
	v_pk_fma_f32 v[96:97], v[94:95], v[82:83], v[92:93] op_sel:[0,0,1] op_sel_hi:[1,1,0] neg_lo:[0,0,1] neg_hi:[0,0,1]
	v_pk_fma_f32 v[92:93], v[94:95], v[82:83], v[92:93] op_sel:[0,0,1] op_sel_hi:[1,0,0]
	v_mov_b32_e32 v97, v93
	ds_load_2addr_b64 v[92:95], v86 offset0:29 offset1:30
	v_pk_add_f32 v[34:35], v[34:35], v[98:99] neg_lo:[0,1] neg_hi:[0,1]
	v_pk_add_f32 v[58:59], v[58:59], v[96:97] neg_lo:[0,1] neg_hi:[0,1]
	s_wait_dscnt 0x0
	v_dual_mul_f32 v96, v93, v85 :: v_dual_mul_f32 v98, v93, v82
	s_delay_alu instid0(VALU_DEP_1) | instskip(NEXT) | instid1(VALU_DEP_2)
	v_pk_fma_f32 v[96:97], v[92:93], v[24:25], v[96:97] op_sel_hi:[1,1,0] neg_lo:[0,0,1] neg_hi:[0,0,1]
	v_pk_fma_f32 v[92:93], v[92:93], v[24:25], v[98:99] op_sel:[1,0,0] op_sel_hi:[0,1,0]
	s_delay_alu instid0(VALU_DEP_1) | instskip(SKIP_1) | instid1(VALU_DEP_2)
	v_mov_b32_e32 v97, v93
	v_pk_mul_f32 v[92:93], v[94:95], v[84:85] op_sel:[0,1]
	v_pk_add_f32 v[10:11], v[10:11], v[96:97] neg_lo:[0,1] neg_hi:[0,1]
	s_delay_alu instid0(VALU_DEP_2) | instskip(SKIP_1) | instid1(VALU_DEP_1)
	v_pk_fma_f32 v[96:97], v[94:95], v[82:83], v[92:93] op_sel:[0,0,1] op_sel_hi:[1,1,0] neg_lo:[0,0,1] neg_hi:[0,0,1]
	v_pk_fma_f32 v[92:93], v[94:95], v[82:83], v[92:93] op_sel:[0,0,1] op_sel_hi:[1,0,0]
	v_mov_b32_e32 v97, v93
	ds_load_2addr_b64 v[92:95], v86 offset0:31 offset1:32
	v_pk_add_f32 v[12:13], v[12:13], v[96:97] neg_lo:[0,1] neg_hi:[0,1]
	s_wait_dscnt 0x0
	v_pk_mul_f32 v[96:97], v[92:93], v[84:85] op_sel:[0,1]
	s_delay_alu instid0(VALU_DEP_1) | instskip(SKIP_1) | instid1(VALU_DEP_1)
	v_pk_fma_f32 v[98:99], v[92:93], v[82:83], v[96:97] op_sel:[0,0,1] op_sel_hi:[1,1,0] neg_lo:[0,0,1] neg_hi:[0,0,1]
	v_pk_fma_f32 v[92:93], v[92:93], v[82:83], v[96:97] op_sel:[0,0,1] op_sel_hi:[1,0,0]
	v_mov_b32_e32 v99, v93
	v_pk_mul_f32 v[92:93], v[94:95], v[84:85] op_sel:[0,1]
	s_delay_alu instid0(VALU_DEP_2) | instskip(NEXT) | instid1(VALU_DEP_2)
	v_pk_add_f32 v[8:9], v[8:9], v[98:99] neg_lo:[0,1] neg_hi:[0,1]
	v_pk_fma_f32 v[96:97], v[94:95], v[82:83], v[92:93] op_sel:[0,0,1] op_sel_hi:[1,1,0] neg_lo:[0,0,1] neg_hi:[0,0,1]
	v_pk_fma_f32 v[92:93], v[94:95], v[82:83], v[92:93] op_sel:[0,0,1] op_sel_hi:[1,0,0]
	s_delay_alu instid0(VALU_DEP_1) | instskip(SKIP_4) | instid1(VALU_DEP_1)
	v_mov_b32_e32 v97, v93
	ds_load_2addr_b64 v[92:95], v86 offset0:33 offset1:34
	v_pk_add_f32 v[56:57], v[56:57], v[96:97] neg_lo:[0,1] neg_hi:[0,1]
	s_wait_dscnt 0x0
	v_pk_mul_f32 v[96:97], v[92:93], v[84:85] op_sel:[0,1]
	v_pk_fma_f32 v[98:99], v[92:93], v[82:83], v[96:97] op_sel:[0,0,1] op_sel_hi:[1,1,0] neg_lo:[0,0,1] neg_hi:[0,0,1]
	v_pk_fma_f32 v[92:93], v[92:93], v[82:83], v[96:97] op_sel:[0,0,1] op_sel_hi:[1,0,0]
	v_dual_mul_f32 v96, v95, v85 :: v_dual_mov_b32 v92, v95
	s_delay_alu instid0(VALU_DEP_2) | instskip(NEXT) | instid1(VALU_DEP_2)
	v_dual_mov_b32 v99, v93 :: v_dual_mov_b32 v93, v94
	v_pk_fma_f32 v[96:97], v[94:95], v[24:25], v[96:97] op_sel_hi:[1,1,0] neg_lo:[0,0,1] neg_hi:[0,0,1]
	v_mul_f32_e32 v94, v95, v82
	s_delay_alu instid0(VALU_DEP_3) | instskip(NEXT) | instid1(VALU_DEP_2)
	v_pk_add_f32 v[6:7], v[6:7], v[98:99] neg_lo:[0,1] neg_hi:[0,1]
	v_pk_fma_f32 v[92:93], v[92:93], v[24:25], v[94:95] op_sel_hi:[1,1,0]
	s_delay_alu instid0(VALU_DEP_1) | instskip(SKIP_4) | instid1(VALU_DEP_1)
	v_mov_b32_e32 v97, v93
	ds_load_2addr_b64 v[92:95], v86 offset0:35 offset1:36
	v_pk_add_f32 v[54:55], v[54:55], v[96:97] neg_lo:[0,1] neg_hi:[0,1]
	s_wait_dscnt 0x0
	v_pk_mul_f32 v[96:97], v[92:93], v[84:85] op_sel:[0,1]
	v_pk_fma_f32 v[98:99], v[92:93], v[82:83], v[96:97] op_sel:[0,0,1] op_sel_hi:[1,1,0] neg_lo:[0,0,1] neg_hi:[0,0,1]
	v_pk_fma_f32 v[92:93], v[92:93], v[82:83], v[96:97] op_sel:[0,0,1] op_sel_hi:[1,0,0]
	s_delay_alu instid0(VALU_DEP_1) | instskip(SKIP_1) | instid1(VALU_DEP_1)
	v_mov_b32_e32 v99, v93
	v_pk_mul_f32 v[92:93], v[94:95], v[84:85] op_sel:[0,1]
	v_pk_fma_f32 v[96:97], v[94:95], v[82:83], v[92:93] op_sel:[0,0,1] op_sel_hi:[1,1,0] neg_lo:[0,0,1] neg_hi:[0,0,1]
	v_pk_fma_f32 v[92:93], v[94:95], v[82:83], v[92:93] op_sel:[0,0,1] op_sel_hi:[1,0,0]
	s_delay_alu instid0(VALU_DEP_1)
	v_mov_b32_e32 v97, v93
	ds_load_b64 v[92:93], v86 offset:296
	v_pk_add_f32 v[46:47], v[46:47], v[98:99] neg_lo:[0,1] neg_hi:[0,1]
	v_pk_add_f32 v[26:27], v[26:27], v[96:97] neg_lo:[0,1] neg_hi:[0,1]
	s_wait_dscnt 0x0
	v_pk_mul_f32 v[84:85], v[92:93], v[84:85] op_sel:[0,1]
	s_delay_alu instid0(VALU_DEP_1) | instskip(SKIP_1) | instid1(VALU_DEP_1)
	v_pk_fma_f32 v[94:95], v[92:93], v[82:83], v[84:85] op_sel:[0,0,1] op_sel_hi:[1,1,0] neg_lo:[0,0,1] neg_hi:[0,0,1]
	v_pk_fma_f32 v[82:83], v[92:93], v[82:83], v[84:85] op_sel:[0,0,1] op_sel_hi:[1,0,0]
	v_mov_b32_e32 v95, v83
	s_delay_alu instid0(VALU_DEP_1)
	v_pk_add_f32 v[80:81], v[80:81], v[94:95] neg_lo:[0,1] neg_hi:[0,1]
.LBB74_230:
	s_or_b32 exec_lo, exec_lo, s0
	v_lshl_add_u32 v82, v90, 3, v86
	s_barrier_signal -1
	s_barrier_wait -1
	ds_store_b64 v82, v[20:21]
	s_wait_dscnt 0x0
	s_barrier_signal -1
	s_barrier_wait -1
	ds_load_b64 v[84:85], v86 offset:88
	v_mov_b32_e32 v82, 11
	s_cmp_lt_i32 s18, 13
	s_cbranch_scc1 .LBB74_233
; %bb.231:
	v_add3_u32 v83, v87, 0, 0x60
	v_mov_b32_e32 v82, 11
	s_mov_b32 s0, 12
.LBB74_232:                             ; =>This Inner Loop Header: Depth=1
	ds_load_b64 v[92:93], v83
	s_wait_dscnt 0x1
	v_cmp_gt_f32_e32 vcc_lo, 0, v84
	v_cndmask_b32_e64 v94, v84, -v84, vcc_lo
	v_cmp_gt_f32_e32 vcc_lo, 0, v85
	v_cndmask_b32_e64 v96, v85, -v85, vcc_lo
	s_wait_dscnt 0x0
	v_cmp_gt_f32_e32 vcc_lo, 0, v92
	v_cndmask_b32_e64 v95, v92, -v92, vcc_lo
	v_cmp_gt_f32_e32 vcc_lo, 0, v93
	v_cndmask_b32_e64 v97, v93, -v93, vcc_lo
	s_delay_alu instid0(VALU_DEP_1) | instskip(NEXT) | instid1(VALU_DEP_1)
	v_pk_add_f32 v[94:95], v[94:95], v[96:97]
	v_cmp_lt_f32_e32 vcc_lo, v94, v95
	v_dual_add_nc_u32 v83, 8, v83 :: v_dual_cndmask_b32 v85, v85, v93, vcc_lo
	v_cndmask_b32_e32 v84, v84, v92, vcc_lo
	v_cndmask_b32_e64 v82, v82, s0, vcc_lo
	s_add_co_i32 s0, s0, 1
	s_delay_alu instid0(SALU_CYCLE_1)
	s_cmp_lg_u32 s18, s0
	s_cbranch_scc1 .LBB74_232
.LBB74_233:
	s_wait_dscnt 0x0
	v_cmp_eq_f32_e32 vcc_lo, 0, v84
	v_cmp_eq_f32_e64 s0, 0, v85
	s_and_b32 s0, vcc_lo, s0
	s_delay_alu instid0(SALU_CYCLE_1) | instskip(NEXT) | instid1(SALU_CYCLE_1)
	s_and_saveexec_b32 s1, s0
	s_xor_b32 s0, exec_lo, s1
; %bb.234:
	v_cmp_ne_u32_e32 vcc_lo, 0, v88
	v_cndmask_b32_e32 v88, 12, v88, vcc_lo
; %bb.235:
	s_and_not1_saveexec_b32 s0, s0
	s_cbranch_execz .LBB74_241
; %bb.236:
	v_cmp_ngt_f32_e64 s1, |v84|, |v85|
	s_and_saveexec_b32 s12, s1
	s_delay_alu instid0(SALU_CYCLE_1)
	s_xor_b32 s1, exec_lo, s12
	s_cbranch_execz .LBB74_238
; %bb.237:
	v_div_scale_f32 v83, null, v85, v85, v84
	v_div_scale_f32 v93, vcc_lo, v84, v85, v84
	s_delay_alu instid0(VALU_DEP_2) | instskip(SKIP_1) | instid1(TRANS32_DEP_1)
	v_rcp_f32_e32 v91, v83
	v_nop
	v_fma_f32 v92, -v83, v91, 1.0
	s_delay_alu instid0(VALU_DEP_1) | instskip(NEXT) | instid1(VALU_DEP_1)
	v_fmac_f32_e32 v91, v92, v91
	v_mul_f32_e32 v92, v93, v91
	s_delay_alu instid0(VALU_DEP_1) | instskip(NEXT) | instid1(VALU_DEP_1)
	v_fma_f32 v94, -v83, v92, v93
	v_fmac_f32_e32 v92, v94, v91
	s_delay_alu instid0(VALU_DEP_1) | instskip(NEXT) | instid1(VALU_DEP_1)
	v_fma_f32 v83, -v83, v92, v93
	v_div_fmas_f32 v83, v83, v91, v92
	s_delay_alu instid0(VALU_DEP_1) | instskip(NEXT) | instid1(VALU_DEP_1)
	v_div_fixup_f32 v83, v83, v85, v84
	v_fmac_f32_e32 v85, v84, v83
	s_delay_alu instid0(VALU_DEP_1) | instskip(SKIP_1) | instid1(VALU_DEP_2)
	v_div_scale_f32 v84, null, v85, v85, 1.0
	v_div_scale_f32 v93, vcc_lo, 1.0, v85, 1.0
	v_rcp_f32_e32 v91, v84
	v_nop
	s_delay_alu instid0(TRANS32_DEP_1) | instskip(NEXT) | instid1(VALU_DEP_1)
	v_fma_f32 v92, -v84, v91, 1.0
	v_fmac_f32_e32 v91, v92, v91
	s_delay_alu instid0(VALU_DEP_1) | instskip(NEXT) | instid1(VALU_DEP_1)
	v_mul_f32_e32 v92, v93, v91
	v_fma_f32 v94, -v84, v92, v93
	s_delay_alu instid0(VALU_DEP_1) | instskip(NEXT) | instid1(VALU_DEP_1)
	v_fmac_f32_e32 v92, v94, v91
	v_fma_f32 v84, -v84, v92, v93
	s_delay_alu instid0(VALU_DEP_1) | instskip(NEXT) | instid1(VALU_DEP_1)
	v_div_fmas_f32 v84, v84, v91, v92
	v_div_fixup_f32 v85, v84, v85, 1.0
	s_delay_alu instid0(VALU_DEP_1)
	v_mul_f32_e32 v84, v83, v85
	v_xor_b32_e32 v85, 0x80000000, v85
.LBB74_238:
	s_and_not1_saveexec_b32 s1, s1
	s_cbranch_execz .LBB74_240
; %bb.239:
	s_delay_alu instid0(VALU_DEP_1) | instskip(SKIP_1) | instid1(VALU_DEP_2)
	v_div_scale_f32 v83, null, v84, v84, v85
	v_div_scale_f32 v93, vcc_lo, v85, v84, v85
	v_rcp_f32_e32 v91, v83
	v_nop
	s_delay_alu instid0(TRANS32_DEP_1) | instskip(NEXT) | instid1(VALU_DEP_1)
	v_fma_f32 v92, -v83, v91, 1.0
	v_fmac_f32_e32 v91, v92, v91
	s_delay_alu instid0(VALU_DEP_1) | instskip(NEXT) | instid1(VALU_DEP_1)
	v_mul_f32_e32 v92, v93, v91
	v_fma_f32 v94, -v83, v92, v93
	s_delay_alu instid0(VALU_DEP_1) | instskip(NEXT) | instid1(VALU_DEP_1)
	v_fmac_f32_e32 v92, v94, v91
	v_fma_f32 v83, -v83, v92, v93
	s_delay_alu instid0(VALU_DEP_1) | instskip(NEXT) | instid1(VALU_DEP_1)
	v_div_fmas_f32 v83, v83, v91, v92
	v_div_fixup_f32 v83, v83, v84, v85
	s_delay_alu instid0(VALU_DEP_1) | instskip(NEXT) | instid1(VALU_DEP_1)
	v_fmac_f32_e32 v84, v85, v83
	v_div_scale_f32 v85, null, v84, v84, 1.0
	s_delay_alu instid0(VALU_DEP_1) | instskip(SKIP_1) | instid1(TRANS32_DEP_1)
	v_rcp_f32_e32 v91, v85
	v_nop
	v_fma_f32 v92, -v85, v91, 1.0
	s_delay_alu instid0(VALU_DEP_1) | instskip(SKIP_1) | instid1(VALU_DEP_1)
	v_fmac_f32_e32 v91, v92, v91
	v_div_scale_f32 v92, vcc_lo, 1.0, v84, 1.0
	v_mul_f32_e32 v93, v92, v91
	s_delay_alu instid0(VALU_DEP_1) | instskip(NEXT) | instid1(VALU_DEP_1)
	v_fma_f32 v94, -v85, v93, v92
	v_fmac_f32_e32 v93, v94, v91
	s_delay_alu instid0(VALU_DEP_1) | instskip(NEXT) | instid1(VALU_DEP_1)
	v_fma_f32 v85, -v85, v93, v92
	v_div_fmas_f32 v85, v85, v91, v93
	s_delay_alu instid0(VALU_DEP_1) | instskip(NEXT) | instid1(VALU_DEP_1)
	v_div_fixup_f32 v84, v85, v84, 1.0
	v_mul_f32_e64 v85, v83, -v84
.LBB74_240:
	s_or_b32 exec_lo, exec_lo, s1
.LBB74_241:
	s_delay_alu instid0(SALU_CYCLE_1) | instskip(NEXT) | instid1(SALU_CYCLE_1)
	s_or_b32 exec_lo, exec_lo, s0
	s_mov_b32 s0, exec_lo
	v_cmpx_ne_u32_e64 v90, v82
	s_xor_b32 s0, exec_lo, s0
	s_cbranch_execz .LBB74_247
; %bb.242:
	s_mov_b32 s1, exec_lo
	v_cmpx_eq_u32_e32 11, v90
	s_cbranch_execz .LBB74_246
; %bb.243:
	v_cmp_ne_u32_e32 vcc_lo, 11, v82
	s_xor_b32 s12, s16, -1
	s_delay_alu instid0(SALU_CYCLE_1) | instskip(NEXT) | instid1(SALU_CYCLE_1)
	s_and_b32 s13, s12, vcc_lo
	s_and_saveexec_b32 s12, s13
	s_cbranch_execz .LBB74_245
; %bb.244:
	v_ashrrev_i32_e32 v83, 31, v82
	s_delay_alu instid0(VALU_DEP_1)
	v_lshl_add_u64 v[90:91], v[82:83], 2, v[4:5]
	s_clause 0x1
	global_load_b32 v83, v[90:91], off
	global_load_b32 v89, v[4:5], off offset:44
	s_wait_loadcnt 0x1
	global_store_b32 v[4:5], v83, off offset:44
	s_wait_loadcnt 0x0
	global_store_b32 v[90:91], v89, off
.LBB74_245:
	s_wait_xcnt 0x0
	s_or_b32 exec_lo, exec_lo, s12
	v_dual_mov_b32 v90, v82 :: v_dual_mov_b32 v89, v82
.LBB74_246:
	s_or_b32 exec_lo, exec_lo, s1
.LBB74_247:
	s_and_not1_saveexec_b32 s0, s0
	s_cbranch_execz .LBB74_249
; %bb.248:
	v_dual_mov_b32 v82, v64 :: v_dual_mov_b32 v83, v65
	v_dual_mov_b32 v90, v30 :: v_dual_mov_b32 v91, v31
	;; [unrolled: 1-line block ×4, first 2 shown]
	ds_store_2addr_b64 v86, v[82:83], v[90:91] offset0:12 offset1:13
	ds_store_2addr_b64 v86, v[92:93], v[94:95] offset0:14 offset1:15
	v_dual_mov_b32 v82, v70 :: v_dual_mov_b32 v83, v71
	v_dual_mov_b32 v90, v50 :: v_dual_mov_b32 v91, v51
	;; [unrolled: 1-line block ×12, first 2 shown]
	ds_store_2addr_b64 v86, v[82:83], v[90:91] offset0:16 offset1:17
	ds_store_2addr_b64 v86, v[92:93], v[94:95] offset0:18 offset1:19
	;; [unrolled: 1-line block ×6, first 2 shown]
	v_dual_mov_b32 v82, v58 :: v_dual_mov_b32 v83, v59
	v_dual_mov_b32 v92, v10 :: v_dual_mov_b32 v93, v11
	;; [unrolled: 1-line block ×9, first 2 shown]
	v_mov_b32_e32 v107, v27
	ds_store_2addr_b64 v86, v[82:83], v[92:93] offset0:28 offset1:29
	ds_store_2addr_b64 v86, v[94:95], v[96:97] offset0:30 offset1:31
	;; [unrolled: 1-line block ×5, first 2 shown]
.LBB74_249:
	s_or_b32 exec_lo, exec_lo, s0
	s_delay_alu instid0(SALU_CYCLE_1)
	s_mov_b32 s0, exec_lo
	s_wait_storecnt_dscnt 0x0
	s_barrier_signal -1
	s_barrier_wait -1
	v_cmpx_lt_i32_e32 11, v90
	s_cbranch_execz .LBB74_251
; %bb.250:
	v_pk_mul_f32 v[92:93], v[84:85], v[20:21] op_sel:[1,1] op_sel_hi:[0,1]
	s_delay_alu instid0(VALU_DEP_1)
	v_pk_fma_f32 v[82:83], v[84:85], v[20:21], v[92:93] op_sel_hi:[1,0,1] neg_lo:[0,0,1] neg_hi:[0,0,1]
	v_pk_fma_f32 v[84:85], v[84:85], v[20:21], v[92:93] op_sel_hi:[1,0,1]
	ds_load_2addr_b64 v[92:95], v86 offset0:12 offset1:13
	v_dual_mov_b32 v20, v82 :: v_dual_mov_b32 v21, v85
	s_wait_dscnt 0x0
	v_pk_mul_f32 v[96:97], v[92:93], v[84:85] op_sel:[0,1]
	s_delay_alu instid0(VALU_DEP_1) | instskip(SKIP_1) | instid1(VALU_DEP_1)
	v_pk_fma_f32 v[98:99], v[92:93], v[82:83], v[96:97] op_sel:[0,0,1] op_sel_hi:[1,1,0] neg_lo:[0,0,1] neg_hi:[0,0,1]
	v_pk_fma_f32 v[92:93], v[92:93], v[82:83], v[96:97] op_sel:[0,0,1] op_sel_hi:[1,0,0]
	v_mov_b32_e32 v99, v93
	v_pk_mul_f32 v[92:93], v[94:95], v[84:85] op_sel:[0,1]
	s_delay_alu instid0(VALU_DEP_1) | instskip(SKIP_1) | instid1(VALU_DEP_1)
	v_pk_fma_f32 v[96:97], v[94:95], v[82:83], v[92:93] op_sel:[0,0,1] op_sel_hi:[1,1,0] neg_lo:[0,0,1] neg_hi:[0,0,1]
	v_pk_fma_f32 v[92:93], v[94:95], v[82:83], v[92:93] op_sel:[0,0,1] op_sel_hi:[1,0,0]
	v_mov_b32_e32 v97, v93
	ds_load_2addr_b64 v[92:95], v86 offset0:14 offset1:15
	v_pk_add_f32 v[64:65], v[64:65], v[98:99] neg_lo:[0,1] neg_hi:[0,1]
	v_pk_add_f32 v[30:31], v[30:31], v[96:97] neg_lo:[0,1] neg_hi:[0,1]
	s_wait_dscnt 0x0
	v_pk_mul_f32 v[96:97], v[92:93], v[84:85] op_sel:[0,1]
	s_delay_alu instid0(VALU_DEP_1) | instskip(SKIP_2) | instid1(VALU_DEP_2)
	v_pk_fma_f32 v[98:99], v[92:93], v[82:83], v[96:97] op_sel:[0,0,1] op_sel_hi:[1,1,0] neg_lo:[0,0,1] neg_hi:[0,0,1]
	v_pk_fma_f32 v[92:93], v[92:93], v[82:83], v[96:97] op_sel:[0,0,1] op_sel_hi:[1,0,0]
	v_dual_mul_f32 v96, v95, v85 :: v_dual_mov_b32 v92, v95
	v_dual_mov_b32 v99, v93 :: v_dual_mov_b32 v93, v94
	s_delay_alu instid0(VALU_DEP_2) | instskip(SKIP_1) | instid1(VALU_DEP_3)
	v_pk_fma_f32 v[96:97], v[94:95], v[20:21], v[96:97] op_sel_hi:[1,1,0] neg_lo:[0,0,1] neg_hi:[0,0,1]
	v_mul_f32_e32 v94, v95, v82
	v_pk_add_f32 v[32:33], v[32:33], v[98:99] neg_lo:[0,1] neg_hi:[0,1]
	s_delay_alu instid0(VALU_DEP_2) | instskip(NEXT) | instid1(VALU_DEP_1)
	v_pk_fma_f32 v[92:93], v[92:93], v[20:21], v[94:95] op_sel_hi:[1,1,0]
	v_mov_b32_e32 v97, v93
	ds_load_2addr_b64 v[92:95], v86 offset0:16 offset1:17
	v_pk_add_f32 v[28:29], v[28:29], v[96:97] neg_lo:[0,1] neg_hi:[0,1]
	s_wait_dscnt 0x0
	v_pk_mul_f32 v[96:97], v[92:93], v[84:85] op_sel:[0,1]
	s_delay_alu instid0(VALU_DEP_1) | instskip(SKIP_1) | instid1(VALU_DEP_1)
	v_pk_fma_f32 v[98:99], v[92:93], v[82:83], v[96:97] op_sel:[0,0,1] op_sel_hi:[1,1,0] neg_lo:[0,0,1] neg_hi:[0,0,1]
	v_pk_fma_f32 v[92:93], v[92:93], v[82:83], v[96:97] op_sel:[0,0,1] op_sel_hi:[1,0,0]
	v_mov_b32_e32 v99, v93
	v_pk_mul_f32 v[92:93], v[94:95], v[84:85] op_sel:[0,1]
	s_delay_alu instid0(VALU_DEP_1) | instskip(SKIP_1) | instid1(VALU_DEP_1)
	v_pk_fma_f32 v[96:97], v[94:95], v[82:83], v[92:93] op_sel:[0,0,1] op_sel_hi:[1,1,0] neg_lo:[0,0,1] neg_hi:[0,0,1]
	v_pk_fma_f32 v[92:93], v[94:95], v[82:83], v[92:93] op_sel:[0,0,1] op_sel_hi:[1,0,0]
	v_mov_b32_e32 v97, v93
	ds_load_2addr_b64 v[92:95], v86 offset0:18 offset1:19
	v_pk_add_f32 v[70:71], v[70:71], v[98:99] neg_lo:[0,1] neg_hi:[0,1]
	v_pk_add_f32 v[50:51], v[50:51], v[96:97] neg_lo:[0,1] neg_hi:[0,1]
	s_wait_dscnt 0x0
	v_pk_mul_f32 v[96:97], v[92:93], v[84:85] op_sel:[0,1]
	s_delay_alu instid0(VALU_DEP_1) | instskip(SKIP_1) | instid1(VALU_DEP_1)
	v_pk_fma_f32 v[98:99], v[92:93], v[82:83], v[96:97] op_sel:[0,0,1] op_sel_hi:[1,1,0] neg_lo:[0,0,1] neg_hi:[0,0,1]
	v_pk_fma_f32 v[92:93], v[92:93], v[82:83], v[96:97] op_sel:[0,0,1] op_sel_hi:[1,0,0]
	v_mov_b32_e32 v99, v93
	v_pk_mul_f32 v[92:93], v[94:95], v[84:85] op_sel:[0,1]
	s_delay_alu instid0(VALU_DEP_1) | instskip(SKIP_1) | instid1(VALU_DEP_1)
	v_pk_fma_f32 v[96:97], v[94:95], v[82:83], v[92:93] op_sel:[0,0,1] op_sel_hi:[1,1,0] neg_lo:[0,0,1] neg_hi:[0,0,1]
	v_pk_fma_f32 v[92:93], v[94:95], v[82:83], v[92:93] op_sel:[0,0,1] op_sel_hi:[1,0,0]
	v_mov_b32_e32 v97, v93
	ds_load_2addr_b64 v[92:95], v86 offset0:20 offset1:21
	v_pk_add_f32 v[52:53], v[52:53], v[98:99] neg_lo:[0,1] neg_hi:[0,1]
	v_pk_add_f32 v[48:49], v[48:49], v[96:97] neg_lo:[0,1] neg_hi:[0,1]
	s_wait_dscnt 0x0
	v_dual_mul_f32 v96, v93, v85 :: v_dual_mul_f32 v98, v93, v82
	s_delay_alu instid0(VALU_DEP_1) | instskip(NEXT) | instid1(VALU_DEP_2)
	v_pk_fma_f32 v[96:97], v[92:93], v[20:21], v[96:97] op_sel_hi:[1,1,0] neg_lo:[0,0,1] neg_hi:[0,0,1]
	v_pk_fma_f32 v[92:93], v[92:93], v[20:21], v[98:99] op_sel:[1,0,0] op_sel_hi:[0,1,0]
	s_delay_alu instid0(VALU_DEP_1) | instskip(SKIP_1) | instid1(VALU_DEP_2)
	v_mov_b32_e32 v97, v93
	v_pk_mul_f32 v[92:93], v[94:95], v[84:85] op_sel:[0,1]
	v_pk_add_f32 v[68:69], v[68:69], v[96:97] neg_lo:[0,1] neg_hi:[0,1]
	s_delay_alu instid0(VALU_DEP_2) | instskip(SKIP_1) | instid1(VALU_DEP_1)
	v_pk_fma_f32 v[96:97], v[94:95], v[82:83], v[92:93] op_sel:[0,0,1] op_sel_hi:[1,1,0] neg_lo:[0,0,1] neg_hi:[0,0,1]
	v_pk_fma_f32 v[92:93], v[94:95], v[82:83], v[92:93] op_sel:[0,0,1] op_sel_hi:[1,0,0]
	v_mov_b32_e32 v97, v93
	ds_load_2addr_b64 v[92:95], v86 offset0:22 offset1:23
	v_pk_add_f32 v[42:43], v[42:43], v[96:97] neg_lo:[0,1] neg_hi:[0,1]
	s_wait_dscnt 0x0
	v_pk_mul_f32 v[96:97], v[92:93], v[84:85] op_sel:[0,1]
	s_delay_alu instid0(VALU_DEP_1) | instskip(SKIP_1) | instid1(VALU_DEP_1)
	v_pk_fma_f32 v[98:99], v[92:93], v[82:83], v[96:97] op_sel:[0,0,1] op_sel_hi:[1,1,0] neg_lo:[0,0,1] neg_hi:[0,0,1]
	v_pk_fma_f32 v[92:93], v[92:93], v[82:83], v[96:97] op_sel:[0,0,1] op_sel_hi:[1,0,0]
	v_mov_b32_e32 v99, v93
	v_pk_mul_f32 v[92:93], v[94:95], v[84:85] op_sel:[0,1]
	s_delay_alu instid0(VALU_DEP_2) | instskip(NEXT) | instid1(VALU_DEP_2)
	v_pk_add_f32 v[44:45], v[44:45], v[98:99] neg_lo:[0,1] neg_hi:[0,1]
	v_pk_fma_f32 v[96:97], v[94:95], v[82:83], v[92:93] op_sel:[0,0,1] op_sel_hi:[1,1,0] neg_lo:[0,0,1] neg_hi:[0,0,1]
	v_pk_fma_f32 v[92:93], v[94:95], v[82:83], v[92:93] op_sel:[0,0,1] op_sel_hi:[1,0,0]
	s_delay_alu instid0(VALU_DEP_1) | instskip(SKIP_4) | instid1(VALU_DEP_1)
	v_mov_b32_e32 v97, v93
	ds_load_2addr_b64 v[92:95], v86 offset0:24 offset1:25
	v_pk_add_f32 v[40:41], v[40:41], v[96:97] neg_lo:[0,1] neg_hi:[0,1]
	s_wait_dscnt 0x0
	v_pk_mul_f32 v[96:97], v[92:93], v[84:85] op_sel:[0,1]
	v_pk_fma_f32 v[98:99], v[92:93], v[82:83], v[96:97] op_sel:[0,0,1] op_sel_hi:[1,1,0] neg_lo:[0,0,1] neg_hi:[0,0,1]
	v_pk_fma_f32 v[92:93], v[92:93], v[82:83], v[96:97] op_sel:[0,0,1] op_sel_hi:[1,0,0]
	v_dual_mul_f32 v96, v95, v85 :: v_dual_mov_b32 v92, v95
	s_delay_alu instid0(VALU_DEP_2) | instskip(NEXT) | instid1(VALU_DEP_2)
	v_dual_mov_b32 v99, v93 :: v_dual_mov_b32 v93, v94
	v_pk_fma_f32 v[96:97], v[94:95], v[20:21], v[96:97] op_sel_hi:[1,1,0] neg_lo:[0,0,1] neg_hi:[0,0,1]
	v_mul_f32_e32 v94, v95, v82
	s_delay_alu instid0(VALU_DEP_3) | instskip(NEXT) | instid1(VALU_DEP_2)
	v_pk_add_f32 v[66:67], v[66:67], v[98:99] neg_lo:[0,1] neg_hi:[0,1]
	v_pk_fma_f32 v[92:93], v[92:93], v[20:21], v[94:95] op_sel_hi:[1,1,0]
	s_delay_alu instid0(VALU_DEP_1) | instskip(SKIP_4) | instid1(VALU_DEP_1)
	v_mov_b32_e32 v97, v93
	ds_load_2addr_b64 v[92:95], v86 offset0:26 offset1:27
	v_pk_add_f32 v[36:37], v[36:37], v[96:97] neg_lo:[0,1] neg_hi:[0,1]
	s_wait_dscnt 0x0
	v_pk_mul_f32 v[96:97], v[92:93], v[84:85] op_sel:[0,1]
	v_pk_fma_f32 v[98:99], v[92:93], v[82:83], v[96:97] op_sel:[0,0,1] op_sel_hi:[1,1,0] neg_lo:[0,0,1] neg_hi:[0,0,1]
	v_pk_fma_f32 v[92:93], v[92:93], v[82:83], v[96:97] op_sel:[0,0,1] op_sel_hi:[1,0,0]
	s_delay_alu instid0(VALU_DEP_1) | instskip(SKIP_1) | instid1(VALU_DEP_1)
	v_mov_b32_e32 v99, v93
	v_pk_mul_f32 v[92:93], v[94:95], v[84:85] op_sel:[0,1]
	v_pk_fma_f32 v[96:97], v[94:95], v[82:83], v[92:93] op_sel:[0,0,1] op_sel_hi:[1,1,0] neg_lo:[0,0,1] neg_hi:[0,0,1]
	v_pk_fma_f32 v[92:93], v[94:95], v[82:83], v[92:93] op_sel:[0,0,1] op_sel_hi:[1,0,0]
	s_delay_alu instid0(VALU_DEP_1)
	v_mov_b32_e32 v97, v93
	ds_load_2addr_b64 v[92:95], v86 offset0:28 offset1:29
	v_pk_add_f32 v[38:39], v[38:39], v[98:99] neg_lo:[0,1] neg_hi:[0,1]
	v_pk_add_f32 v[34:35], v[34:35], v[96:97] neg_lo:[0,1] neg_hi:[0,1]
	s_wait_dscnt 0x0
	v_pk_mul_f32 v[96:97], v[92:93], v[84:85] op_sel:[0,1]
	s_delay_alu instid0(VALU_DEP_1) | instskip(SKIP_1) | instid1(VALU_DEP_1)
	v_pk_fma_f32 v[98:99], v[92:93], v[82:83], v[96:97] op_sel:[0,0,1] op_sel_hi:[1,1,0] neg_lo:[0,0,1] neg_hi:[0,0,1]
	v_pk_fma_f32 v[92:93], v[92:93], v[82:83], v[96:97] op_sel:[0,0,1] op_sel_hi:[1,0,0]
	v_mov_b32_e32 v99, v93
	v_pk_mul_f32 v[92:93], v[94:95], v[84:85] op_sel:[0,1]
	s_delay_alu instid0(VALU_DEP_1) | instskip(SKIP_1) | instid1(VALU_DEP_1)
	v_pk_fma_f32 v[96:97], v[94:95], v[82:83], v[92:93] op_sel:[0,0,1] op_sel_hi:[1,1,0] neg_lo:[0,0,1] neg_hi:[0,0,1]
	v_pk_fma_f32 v[92:93], v[94:95], v[82:83], v[92:93] op_sel:[0,0,1] op_sel_hi:[1,0,0]
	v_mov_b32_e32 v97, v93
	ds_load_2addr_b64 v[92:95], v86 offset0:30 offset1:31
	v_pk_add_f32 v[58:59], v[58:59], v[98:99] neg_lo:[0,1] neg_hi:[0,1]
	v_pk_add_f32 v[10:11], v[10:11], v[96:97] neg_lo:[0,1] neg_hi:[0,1]
	s_wait_dscnt 0x0
	v_dual_mul_f32 v96, v93, v85 :: v_dual_mul_f32 v98, v93, v82
	s_delay_alu instid0(VALU_DEP_1) | instskip(NEXT) | instid1(VALU_DEP_2)
	v_pk_fma_f32 v[96:97], v[92:93], v[20:21], v[96:97] op_sel_hi:[1,1,0] neg_lo:[0,0,1] neg_hi:[0,0,1]
	v_pk_fma_f32 v[92:93], v[92:93], v[20:21], v[98:99] op_sel:[1,0,0] op_sel_hi:[0,1,0]
	s_delay_alu instid0(VALU_DEP_1) | instskip(SKIP_1) | instid1(VALU_DEP_2)
	v_mov_b32_e32 v97, v93
	v_pk_mul_f32 v[92:93], v[94:95], v[84:85] op_sel:[0,1]
	v_pk_add_f32 v[12:13], v[12:13], v[96:97] neg_lo:[0,1] neg_hi:[0,1]
	s_delay_alu instid0(VALU_DEP_2) | instskip(SKIP_1) | instid1(VALU_DEP_1)
	v_pk_fma_f32 v[96:97], v[94:95], v[82:83], v[92:93] op_sel:[0,0,1] op_sel_hi:[1,1,0] neg_lo:[0,0,1] neg_hi:[0,0,1]
	v_pk_fma_f32 v[92:93], v[94:95], v[82:83], v[92:93] op_sel:[0,0,1] op_sel_hi:[1,0,0]
	v_mov_b32_e32 v97, v93
	ds_load_2addr_b64 v[92:95], v86 offset0:32 offset1:33
	v_pk_add_f32 v[8:9], v[8:9], v[96:97] neg_lo:[0,1] neg_hi:[0,1]
	s_wait_dscnt 0x0
	v_pk_mul_f32 v[96:97], v[92:93], v[84:85] op_sel:[0,1]
	s_delay_alu instid0(VALU_DEP_1) | instskip(SKIP_1) | instid1(VALU_DEP_1)
	v_pk_fma_f32 v[98:99], v[92:93], v[82:83], v[96:97] op_sel:[0,0,1] op_sel_hi:[1,1,0] neg_lo:[0,0,1] neg_hi:[0,0,1]
	v_pk_fma_f32 v[92:93], v[92:93], v[82:83], v[96:97] op_sel:[0,0,1] op_sel_hi:[1,0,0]
	v_mov_b32_e32 v99, v93
	v_pk_mul_f32 v[92:93], v[94:95], v[84:85] op_sel:[0,1]
	s_delay_alu instid0(VALU_DEP_2) | instskip(NEXT) | instid1(VALU_DEP_2)
	v_pk_add_f32 v[56:57], v[56:57], v[98:99] neg_lo:[0,1] neg_hi:[0,1]
	v_pk_fma_f32 v[96:97], v[94:95], v[82:83], v[92:93] op_sel:[0,0,1] op_sel_hi:[1,1,0] neg_lo:[0,0,1] neg_hi:[0,0,1]
	v_pk_fma_f32 v[92:93], v[94:95], v[82:83], v[92:93] op_sel:[0,0,1] op_sel_hi:[1,0,0]
	s_delay_alu instid0(VALU_DEP_1) | instskip(SKIP_4) | instid1(VALU_DEP_1)
	v_mov_b32_e32 v97, v93
	ds_load_2addr_b64 v[92:95], v86 offset0:34 offset1:35
	v_pk_add_f32 v[6:7], v[6:7], v[96:97] neg_lo:[0,1] neg_hi:[0,1]
	s_wait_dscnt 0x0
	v_pk_mul_f32 v[96:97], v[92:93], v[84:85] op_sel:[0,1]
	v_pk_fma_f32 v[98:99], v[92:93], v[82:83], v[96:97] op_sel:[0,0,1] op_sel_hi:[1,1,0] neg_lo:[0,0,1] neg_hi:[0,0,1]
	v_pk_fma_f32 v[92:93], v[92:93], v[82:83], v[96:97] op_sel:[0,0,1] op_sel_hi:[1,0,0]
	v_dual_mul_f32 v96, v95, v85 :: v_dual_mov_b32 v92, v95
	s_delay_alu instid0(VALU_DEP_2) | instskip(NEXT) | instid1(VALU_DEP_2)
	v_dual_mov_b32 v99, v93 :: v_dual_mov_b32 v93, v94
	v_pk_fma_f32 v[96:97], v[94:95], v[20:21], v[96:97] op_sel_hi:[1,1,0] neg_lo:[0,0,1] neg_hi:[0,0,1]
	v_mul_f32_e32 v94, v95, v82
	s_delay_alu instid0(VALU_DEP_3) | instskip(NEXT) | instid1(VALU_DEP_2)
	v_pk_add_f32 v[54:55], v[54:55], v[98:99] neg_lo:[0,1] neg_hi:[0,1]
	v_pk_fma_f32 v[92:93], v[92:93], v[20:21], v[94:95] op_sel_hi:[1,1,0]
	s_delay_alu instid0(VALU_DEP_1)
	v_mov_b32_e32 v97, v93
	ds_load_2addr_b64 v[92:95], v86 offset0:36 offset1:37
	v_pk_add_f32 v[46:47], v[46:47], v[96:97] neg_lo:[0,1] neg_hi:[0,1]
	s_wait_dscnt 0x0
	v_pk_mul_f32 v[96:97], v[92:93], v[84:85] op_sel:[0,1]
	v_pk_mul_f32 v[84:85], v[94:95], v[84:85] op_sel:[0,1]
	s_delay_alu instid0(VALU_DEP_2) | instskip(SKIP_1) | instid1(VALU_DEP_1)
	v_pk_fma_f32 v[98:99], v[92:93], v[82:83], v[96:97] op_sel:[0,0,1] op_sel_hi:[1,1,0] neg_lo:[0,0,1] neg_hi:[0,0,1]
	v_pk_fma_f32 v[92:93], v[92:93], v[82:83], v[96:97] op_sel:[0,0,1] op_sel_hi:[1,0,0]
	v_mov_b32_e32 v99, v93
	s_delay_alu instid0(VALU_DEP_4) | instskip(SKIP_1) | instid1(VALU_DEP_1)
	v_pk_fma_f32 v[92:93], v[94:95], v[82:83], v[84:85] op_sel:[0,0,1] op_sel_hi:[1,1,0] neg_lo:[0,0,1] neg_hi:[0,0,1]
	v_pk_fma_f32 v[82:83], v[94:95], v[82:83], v[84:85] op_sel:[0,0,1] op_sel_hi:[1,0,0]
	v_mov_b32_e32 v93, v83
	s_delay_alu instid0(VALU_DEP_4) | instskip(NEXT) | instid1(VALU_DEP_2)
	v_pk_add_f32 v[26:27], v[26:27], v[98:99] neg_lo:[0,1] neg_hi:[0,1]
	v_pk_add_f32 v[80:81], v[80:81], v[92:93] neg_lo:[0,1] neg_hi:[0,1]
.LBB74_251:
	s_or_b32 exec_lo, exec_lo, s0
	v_lshl_add_u32 v82, v90, 3, v86
	s_barrier_signal -1
	s_barrier_wait -1
	ds_store_b64 v82, v[64:65]
	s_wait_dscnt 0x0
	s_barrier_signal -1
	s_barrier_wait -1
	ds_load_b64 v[84:85], v86 offset:96
	v_mov_b32_e32 v82, 12
	s_cmp_lt_i32 s18, 14
	s_cbranch_scc1 .LBB74_254
; %bb.252:
	v_add3_u32 v83, v87, 0, 0x68
	v_mov_b32_e32 v82, 12
	s_mov_b32 s0, 13
.LBB74_253:                             ; =>This Inner Loop Header: Depth=1
	ds_load_b64 v[92:93], v83
	s_wait_dscnt 0x1
	v_cmp_gt_f32_e32 vcc_lo, 0, v84
	v_cndmask_b32_e64 v94, v84, -v84, vcc_lo
	v_cmp_gt_f32_e32 vcc_lo, 0, v85
	v_cndmask_b32_e64 v96, v85, -v85, vcc_lo
	s_wait_dscnt 0x0
	v_cmp_gt_f32_e32 vcc_lo, 0, v92
	v_cndmask_b32_e64 v95, v92, -v92, vcc_lo
	v_cmp_gt_f32_e32 vcc_lo, 0, v93
	v_cndmask_b32_e64 v97, v93, -v93, vcc_lo
	s_delay_alu instid0(VALU_DEP_1) | instskip(NEXT) | instid1(VALU_DEP_1)
	v_pk_add_f32 v[94:95], v[94:95], v[96:97]
	v_cmp_lt_f32_e32 vcc_lo, v94, v95
	v_dual_add_nc_u32 v83, 8, v83 :: v_dual_cndmask_b32 v85, v85, v93, vcc_lo
	v_cndmask_b32_e32 v84, v84, v92, vcc_lo
	v_cndmask_b32_e64 v82, v82, s0, vcc_lo
	s_add_co_i32 s0, s0, 1
	s_delay_alu instid0(SALU_CYCLE_1)
	s_cmp_lg_u32 s18, s0
	s_cbranch_scc1 .LBB74_253
.LBB74_254:
	s_wait_dscnt 0x0
	v_cmp_eq_f32_e32 vcc_lo, 0, v84
	v_cmp_eq_f32_e64 s0, 0, v85
	s_and_b32 s0, vcc_lo, s0
	s_delay_alu instid0(SALU_CYCLE_1) | instskip(NEXT) | instid1(SALU_CYCLE_1)
	s_and_saveexec_b32 s1, s0
	s_xor_b32 s0, exec_lo, s1
; %bb.255:
	v_cmp_ne_u32_e32 vcc_lo, 0, v88
	v_cndmask_b32_e32 v88, 13, v88, vcc_lo
; %bb.256:
	s_and_not1_saveexec_b32 s0, s0
	s_cbranch_execz .LBB74_262
; %bb.257:
	v_cmp_ngt_f32_e64 s1, |v84|, |v85|
	s_and_saveexec_b32 s12, s1
	s_delay_alu instid0(SALU_CYCLE_1)
	s_xor_b32 s1, exec_lo, s12
	s_cbranch_execz .LBB74_259
; %bb.258:
	v_div_scale_f32 v83, null, v85, v85, v84
	v_div_scale_f32 v93, vcc_lo, v84, v85, v84
	s_delay_alu instid0(VALU_DEP_2) | instskip(SKIP_1) | instid1(TRANS32_DEP_1)
	v_rcp_f32_e32 v91, v83
	v_nop
	v_fma_f32 v92, -v83, v91, 1.0
	s_delay_alu instid0(VALU_DEP_1) | instskip(NEXT) | instid1(VALU_DEP_1)
	v_fmac_f32_e32 v91, v92, v91
	v_mul_f32_e32 v92, v93, v91
	s_delay_alu instid0(VALU_DEP_1) | instskip(NEXT) | instid1(VALU_DEP_1)
	v_fma_f32 v94, -v83, v92, v93
	v_fmac_f32_e32 v92, v94, v91
	s_delay_alu instid0(VALU_DEP_1) | instskip(NEXT) | instid1(VALU_DEP_1)
	v_fma_f32 v83, -v83, v92, v93
	v_div_fmas_f32 v83, v83, v91, v92
	s_delay_alu instid0(VALU_DEP_1) | instskip(NEXT) | instid1(VALU_DEP_1)
	v_div_fixup_f32 v83, v83, v85, v84
	v_fmac_f32_e32 v85, v84, v83
	s_delay_alu instid0(VALU_DEP_1) | instskip(SKIP_1) | instid1(VALU_DEP_2)
	v_div_scale_f32 v84, null, v85, v85, 1.0
	v_div_scale_f32 v93, vcc_lo, 1.0, v85, 1.0
	v_rcp_f32_e32 v91, v84
	v_nop
	s_delay_alu instid0(TRANS32_DEP_1) | instskip(NEXT) | instid1(VALU_DEP_1)
	v_fma_f32 v92, -v84, v91, 1.0
	v_fmac_f32_e32 v91, v92, v91
	s_delay_alu instid0(VALU_DEP_1) | instskip(NEXT) | instid1(VALU_DEP_1)
	v_mul_f32_e32 v92, v93, v91
	v_fma_f32 v94, -v84, v92, v93
	s_delay_alu instid0(VALU_DEP_1) | instskip(NEXT) | instid1(VALU_DEP_1)
	v_fmac_f32_e32 v92, v94, v91
	v_fma_f32 v84, -v84, v92, v93
	s_delay_alu instid0(VALU_DEP_1) | instskip(NEXT) | instid1(VALU_DEP_1)
	v_div_fmas_f32 v84, v84, v91, v92
	v_div_fixup_f32 v85, v84, v85, 1.0
	s_delay_alu instid0(VALU_DEP_1)
	v_mul_f32_e32 v84, v83, v85
	v_xor_b32_e32 v85, 0x80000000, v85
.LBB74_259:
	s_and_not1_saveexec_b32 s1, s1
	s_cbranch_execz .LBB74_261
; %bb.260:
	s_delay_alu instid0(VALU_DEP_1) | instskip(SKIP_1) | instid1(VALU_DEP_2)
	v_div_scale_f32 v83, null, v84, v84, v85
	v_div_scale_f32 v93, vcc_lo, v85, v84, v85
	v_rcp_f32_e32 v91, v83
	v_nop
	s_delay_alu instid0(TRANS32_DEP_1) | instskip(NEXT) | instid1(VALU_DEP_1)
	v_fma_f32 v92, -v83, v91, 1.0
	v_fmac_f32_e32 v91, v92, v91
	s_delay_alu instid0(VALU_DEP_1) | instskip(NEXT) | instid1(VALU_DEP_1)
	v_mul_f32_e32 v92, v93, v91
	v_fma_f32 v94, -v83, v92, v93
	s_delay_alu instid0(VALU_DEP_1) | instskip(NEXT) | instid1(VALU_DEP_1)
	v_fmac_f32_e32 v92, v94, v91
	v_fma_f32 v83, -v83, v92, v93
	s_delay_alu instid0(VALU_DEP_1) | instskip(NEXT) | instid1(VALU_DEP_1)
	v_div_fmas_f32 v83, v83, v91, v92
	v_div_fixup_f32 v83, v83, v84, v85
	s_delay_alu instid0(VALU_DEP_1) | instskip(NEXT) | instid1(VALU_DEP_1)
	v_fmac_f32_e32 v84, v85, v83
	v_div_scale_f32 v85, null, v84, v84, 1.0
	s_delay_alu instid0(VALU_DEP_1) | instskip(SKIP_1) | instid1(TRANS32_DEP_1)
	v_rcp_f32_e32 v91, v85
	v_nop
	v_fma_f32 v92, -v85, v91, 1.0
	s_delay_alu instid0(VALU_DEP_1) | instskip(SKIP_1) | instid1(VALU_DEP_1)
	v_fmac_f32_e32 v91, v92, v91
	v_div_scale_f32 v92, vcc_lo, 1.0, v84, 1.0
	v_mul_f32_e32 v93, v92, v91
	s_delay_alu instid0(VALU_DEP_1) | instskip(NEXT) | instid1(VALU_DEP_1)
	v_fma_f32 v94, -v85, v93, v92
	v_fmac_f32_e32 v93, v94, v91
	s_delay_alu instid0(VALU_DEP_1) | instskip(NEXT) | instid1(VALU_DEP_1)
	v_fma_f32 v85, -v85, v93, v92
	v_div_fmas_f32 v85, v85, v91, v93
	s_delay_alu instid0(VALU_DEP_1) | instskip(NEXT) | instid1(VALU_DEP_1)
	v_div_fixup_f32 v84, v85, v84, 1.0
	v_mul_f32_e64 v85, v83, -v84
.LBB74_261:
	s_or_b32 exec_lo, exec_lo, s1
.LBB74_262:
	s_delay_alu instid0(SALU_CYCLE_1) | instskip(NEXT) | instid1(SALU_CYCLE_1)
	s_or_b32 exec_lo, exec_lo, s0
	s_mov_b32 s0, exec_lo
	v_cmpx_ne_u32_e64 v90, v82
	s_xor_b32 s0, exec_lo, s0
	s_cbranch_execz .LBB74_268
; %bb.263:
	s_mov_b32 s1, exec_lo
	v_cmpx_eq_u32_e32 12, v90
	s_cbranch_execz .LBB74_267
; %bb.264:
	v_cmp_ne_u32_e32 vcc_lo, 12, v82
	s_xor_b32 s12, s16, -1
	s_delay_alu instid0(SALU_CYCLE_1) | instskip(NEXT) | instid1(SALU_CYCLE_1)
	s_and_b32 s13, s12, vcc_lo
	s_and_saveexec_b32 s12, s13
	s_cbranch_execz .LBB74_266
; %bb.265:
	v_ashrrev_i32_e32 v83, 31, v82
	s_delay_alu instid0(VALU_DEP_1)
	v_lshl_add_u64 v[90:91], v[82:83], 2, v[4:5]
	s_clause 0x1
	global_load_b32 v83, v[90:91], off
	global_load_b32 v89, v[4:5], off offset:48
	s_wait_loadcnt 0x1
	global_store_b32 v[4:5], v83, off offset:48
	s_wait_loadcnt 0x0
	global_store_b32 v[90:91], v89, off
.LBB74_266:
	s_wait_xcnt 0x0
	s_or_b32 exec_lo, exec_lo, s12
	v_dual_mov_b32 v90, v82 :: v_dual_mov_b32 v89, v82
.LBB74_267:
	s_or_b32 exec_lo, exec_lo, s1
.LBB74_268:
	s_and_not1_saveexec_b32 s0, s0
	s_cbranch_execz .LBB74_270
; %bb.269:
	v_mov_b32_e32 v90, 12
	ds_store_2addr_b64 v86, v[30:31], v[32:33] offset0:13 offset1:14
	ds_store_2addr_b64 v86, v[28:29], v[70:71] offset0:15 offset1:16
	;; [unrolled: 1-line block ×12, first 2 shown]
	ds_store_b64 v86, v[80:81] offset:296
.LBB74_270:
	s_or_b32 exec_lo, exec_lo, s0
	s_delay_alu instid0(SALU_CYCLE_1)
	s_mov_b32 s0, exec_lo
	s_wait_storecnt_dscnt 0x0
	s_barrier_signal -1
	s_barrier_wait -1
	v_cmpx_lt_i32_e32 12, v90
	s_cbranch_execz .LBB74_272
; %bb.271:
	v_pk_mul_f32 v[92:93], v[84:85], v[64:65] op_sel:[1,1] op_sel_hi:[0,1]
	s_delay_alu instid0(VALU_DEP_1)
	v_pk_fma_f32 v[82:83], v[84:85], v[64:65], v[92:93] op_sel_hi:[1,0,1] neg_lo:[0,0,1] neg_hi:[0,0,1]
	v_pk_fma_f32 v[84:85], v[84:85], v[64:65], v[92:93] op_sel_hi:[1,0,1]
	ds_load_2addr_b64 v[92:95], v86 offset0:13 offset1:14
	v_dual_mov_b32 v64, v82 :: v_dual_mov_b32 v65, v85
	s_wait_dscnt 0x0
	v_pk_mul_f32 v[96:97], v[92:93], v[84:85] op_sel:[0,1]
	s_delay_alu instid0(VALU_DEP_1) | instskip(SKIP_1) | instid1(VALU_DEP_1)
	v_pk_fma_f32 v[98:99], v[92:93], v[82:83], v[96:97] op_sel:[0,0,1] op_sel_hi:[1,1,0] neg_lo:[0,0,1] neg_hi:[0,0,1]
	v_pk_fma_f32 v[92:93], v[92:93], v[82:83], v[96:97] op_sel:[0,0,1] op_sel_hi:[1,0,0]
	v_mov_b32_e32 v99, v93
	v_pk_mul_f32 v[92:93], v[94:95], v[84:85] op_sel:[0,1]
	s_delay_alu instid0(VALU_DEP_1) | instskip(SKIP_1) | instid1(VALU_DEP_1)
	v_pk_fma_f32 v[96:97], v[94:95], v[82:83], v[92:93] op_sel:[0,0,1] op_sel_hi:[1,1,0] neg_lo:[0,0,1] neg_hi:[0,0,1]
	v_pk_fma_f32 v[92:93], v[94:95], v[82:83], v[92:93] op_sel:[0,0,1] op_sel_hi:[1,0,0]
	v_mov_b32_e32 v97, v93
	ds_load_2addr_b64 v[92:95], v86 offset0:15 offset1:16
	v_pk_add_f32 v[30:31], v[30:31], v[98:99] neg_lo:[0,1] neg_hi:[0,1]
	v_pk_add_f32 v[32:33], v[32:33], v[96:97] neg_lo:[0,1] neg_hi:[0,1]
	s_wait_dscnt 0x0
	v_pk_mul_f32 v[96:97], v[92:93], v[84:85] op_sel:[0,1]
	s_delay_alu instid0(VALU_DEP_1) | instskip(SKIP_2) | instid1(VALU_DEP_2)
	v_pk_fma_f32 v[98:99], v[92:93], v[82:83], v[96:97] op_sel:[0,0,1] op_sel_hi:[1,1,0] neg_lo:[0,0,1] neg_hi:[0,0,1]
	v_pk_fma_f32 v[92:93], v[92:93], v[82:83], v[96:97] op_sel:[0,0,1] op_sel_hi:[1,0,0]
	v_dual_mul_f32 v96, v95, v85 :: v_dual_mov_b32 v92, v95
	v_dual_mov_b32 v99, v93 :: v_dual_mov_b32 v93, v94
	s_delay_alu instid0(VALU_DEP_2) | instskip(SKIP_1) | instid1(VALU_DEP_3)
	v_pk_fma_f32 v[96:97], v[94:95], v[64:65], v[96:97] op_sel_hi:[1,1,0] neg_lo:[0,0,1] neg_hi:[0,0,1]
	v_mul_f32_e32 v94, v95, v82
	v_pk_add_f32 v[28:29], v[28:29], v[98:99] neg_lo:[0,1] neg_hi:[0,1]
	s_delay_alu instid0(VALU_DEP_2) | instskip(NEXT) | instid1(VALU_DEP_1)
	v_pk_fma_f32 v[92:93], v[92:93], v[64:65], v[94:95] op_sel_hi:[1,1,0]
	v_mov_b32_e32 v97, v93
	ds_load_2addr_b64 v[92:95], v86 offset0:17 offset1:18
	v_pk_add_f32 v[70:71], v[70:71], v[96:97] neg_lo:[0,1] neg_hi:[0,1]
	s_wait_dscnt 0x0
	v_pk_mul_f32 v[96:97], v[92:93], v[84:85] op_sel:[0,1]
	s_delay_alu instid0(VALU_DEP_1) | instskip(SKIP_1) | instid1(VALU_DEP_1)
	v_pk_fma_f32 v[98:99], v[92:93], v[82:83], v[96:97] op_sel:[0,0,1] op_sel_hi:[1,1,0] neg_lo:[0,0,1] neg_hi:[0,0,1]
	v_pk_fma_f32 v[92:93], v[92:93], v[82:83], v[96:97] op_sel:[0,0,1] op_sel_hi:[1,0,0]
	v_mov_b32_e32 v99, v93
	v_pk_mul_f32 v[92:93], v[94:95], v[84:85] op_sel:[0,1]
	s_delay_alu instid0(VALU_DEP_1) | instskip(SKIP_1) | instid1(VALU_DEP_1)
	v_pk_fma_f32 v[96:97], v[94:95], v[82:83], v[92:93] op_sel:[0,0,1] op_sel_hi:[1,1,0] neg_lo:[0,0,1] neg_hi:[0,0,1]
	v_pk_fma_f32 v[92:93], v[94:95], v[82:83], v[92:93] op_sel:[0,0,1] op_sel_hi:[1,0,0]
	v_mov_b32_e32 v97, v93
	ds_load_2addr_b64 v[92:95], v86 offset0:19 offset1:20
	v_pk_add_f32 v[50:51], v[50:51], v[98:99] neg_lo:[0,1] neg_hi:[0,1]
	v_pk_add_f32 v[52:53], v[52:53], v[96:97] neg_lo:[0,1] neg_hi:[0,1]
	s_wait_dscnt 0x0
	v_pk_mul_f32 v[96:97], v[92:93], v[84:85] op_sel:[0,1]
	s_delay_alu instid0(VALU_DEP_1) | instskip(SKIP_1) | instid1(VALU_DEP_1)
	v_pk_fma_f32 v[98:99], v[92:93], v[82:83], v[96:97] op_sel:[0,0,1] op_sel_hi:[1,1,0] neg_lo:[0,0,1] neg_hi:[0,0,1]
	v_pk_fma_f32 v[92:93], v[92:93], v[82:83], v[96:97] op_sel:[0,0,1] op_sel_hi:[1,0,0]
	v_mov_b32_e32 v99, v93
	v_pk_mul_f32 v[92:93], v[94:95], v[84:85] op_sel:[0,1]
	s_delay_alu instid0(VALU_DEP_1) | instskip(SKIP_1) | instid1(VALU_DEP_1)
	v_pk_fma_f32 v[96:97], v[94:95], v[82:83], v[92:93] op_sel:[0,0,1] op_sel_hi:[1,1,0] neg_lo:[0,0,1] neg_hi:[0,0,1]
	v_pk_fma_f32 v[92:93], v[94:95], v[82:83], v[92:93] op_sel:[0,0,1] op_sel_hi:[1,0,0]
	v_mov_b32_e32 v97, v93
	ds_load_2addr_b64 v[92:95], v86 offset0:21 offset1:22
	v_pk_add_f32 v[48:49], v[48:49], v[98:99] neg_lo:[0,1] neg_hi:[0,1]
	v_pk_add_f32 v[68:69], v[68:69], v[96:97] neg_lo:[0,1] neg_hi:[0,1]
	s_wait_dscnt 0x0
	v_dual_mul_f32 v96, v93, v85 :: v_dual_mul_f32 v98, v93, v82
	s_delay_alu instid0(VALU_DEP_1) | instskip(NEXT) | instid1(VALU_DEP_2)
	v_pk_fma_f32 v[96:97], v[92:93], v[64:65], v[96:97] op_sel_hi:[1,1,0] neg_lo:[0,0,1] neg_hi:[0,0,1]
	v_pk_fma_f32 v[92:93], v[92:93], v[64:65], v[98:99] op_sel:[1,0,0] op_sel_hi:[0,1,0]
	s_delay_alu instid0(VALU_DEP_1) | instskip(SKIP_1) | instid1(VALU_DEP_2)
	v_mov_b32_e32 v97, v93
	v_pk_mul_f32 v[92:93], v[94:95], v[84:85] op_sel:[0,1]
	v_pk_add_f32 v[42:43], v[42:43], v[96:97] neg_lo:[0,1] neg_hi:[0,1]
	s_delay_alu instid0(VALU_DEP_2) | instskip(SKIP_1) | instid1(VALU_DEP_1)
	v_pk_fma_f32 v[96:97], v[94:95], v[82:83], v[92:93] op_sel:[0,0,1] op_sel_hi:[1,1,0] neg_lo:[0,0,1] neg_hi:[0,0,1]
	v_pk_fma_f32 v[92:93], v[94:95], v[82:83], v[92:93] op_sel:[0,0,1] op_sel_hi:[1,0,0]
	v_mov_b32_e32 v97, v93
	ds_load_2addr_b64 v[92:95], v86 offset0:23 offset1:24
	v_pk_add_f32 v[44:45], v[44:45], v[96:97] neg_lo:[0,1] neg_hi:[0,1]
	s_wait_dscnt 0x0
	v_pk_mul_f32 v[96:97], v[92:93], v[84:85] op_sel:[0,1]
	s_delay_alu instid0(VALU_DEP_1) | instskip(SKIP_1) | instid1(VALU_DEP_1)
	v_pk_fma_f32 v[98:99], v[92:93], v[82:83], v[96:97] op_sel:[0,0,1] op_sel_hi:[1,1,0] neg_lo:[0,0,1] neg_hi:[0,0,1]
	v_pk_fma_f32 v[92:93], v[92:93], v[82:83], v[96:97] op_sel:[0,0,1] op_sel_hi:[1,0,0]
	v_mov_b32_e32 v99, v93
	v_pk_mul_f32 v[92:93], v[94:95], v[84:85] op_sel:[0,1]
	s_delay_alu instid0(VALU_DEP_2) | instskip(NEXT) | instid1(VALU_DEP_2)
	v_pk_add_f32 v[40:41], v[40:41], v[98:99] neg_lo:[0,1] neg_hi:[0,1]
	v_pk_fma_f32 v[96:97], v[94:95], v[82:83], v[92:93] op_sel:[0,0,1] op_sel_hi:[1,1,0] neg_lo:[0,0,1] neg_hi:[0,0,1]
	v_pk_fma_f32 v[92:93], v[94:95], v[82:83], v[92:93] op_sel:[0,0,1] op_sel_hi:[1,0,0]
	s_delay_alu instid0(VALU_DEP_1) | instskip(SKIP_4) | instid1(VALU_DEP_1)
	v_mov_b32_e32 v97, v93
	ds_load_2addr_b64 v[92:95], v86 offset0:25 offset1:26
	v_pk_add_f32 v[66:67], v[66:67], v[96:97] neg_lo:[0,1] neg_hi:[0,1]
	s_wait_dscnt 0x0
	v_pk_mul_f32 v[96:97], v[92:93], v[84:85] op_sel:[0,1]
	v_pk_fma_f32 v[98:99], v[92:93], v[82:83], v[96:97] op_sel:[0,0,1] op_sel_hi:[1,1,0] neg_lo:[0,0,1] neg_hi:[0,0,1]
	v_pk_fma_f32 v[92:93], v[92:93], v[82:83], v[96:97] op_sel:[0,0,1] op_sel_hi:[1,0,0]
	v_dual_mul_f32 v96, v95, v85 :: v_dual_mov_b32 v92, v95
	s_delay_alu instid0(VALU_DEP_2) | instskip(NEXT) | instid1(VALU_DEP_2)
	v_dual_mov_b32 v99, v93 :: v_dual_mov_b32 v93, v94
	v_pk_fma_f32 v[96:97], v[94:95], v[64:65], v[96:97] op_sel_hi:[1,1,0] neg_lo:[0,0,1] neg_hi:[0,0,1]
	v_mul_f32_e32 v94, v95, v82
	s_delay_alu instid0(VALU_DEP_3) | instskip(NEXT) | instid1(VALU_DEP_2)
	v_pk_add_f32 v[36:37], v[36:37], v[98:99] neg_lo:[0,1] neg_hi:[0,1]
	v_pk_fma_f32 v[92:93], v[92:93], v[64:65], v[94:95] op_sel_hi:[1,1,0]
	s_delay_alu instid0(VALU_DEP_1) | instskip(SKIP_4) | instid1(VALU_DEP_1)
	v_mov_b32_e32 v97, v93
	ds_load_2addr_b64 v[92:95], v86 offset0:27 offset1:28
	v_pk_add_f32 v[38:39], v[38:39], v[96:97] neg_lo:[0,1] neg_hi:[0,1]
	s_wait_dscnt 0x0
	v_pk_mul_f32 v[96:97], v[92:93], v[84:85] op_sel:[0,1]
	v_pk_fma_f32 v[98:99], v[92:93], v[82:83], v[96:97] op_sel:[0,0,1] op_sel_hi:[1,1,0] neg_lo:[0,0,1] neg_hi:[0,0,1]
	v_pk_fma_f32 v[92:93], v[92:93], v[82:83], v[96:97] op_sel:[0,0,1] op_sel_hi:[1,0,0]
	s_delay_alu instid0(VALU_DEP_1) | instskip(SKIP_1) | instid1(VALU_DEP_1)
	v_mov_b32_e32 v99, v93
	v_pk_mul_f32 v[92:93], v[94:95], v[84:85] op_sel:[0,1]
	v_pk_fma_f32 v[96:97], v[94:95], v[82:83], v[92:93] op_sel:[0,0,1] op_sel_hi:[1,1,0] neg_lo:[0,0,1] neg_hi:[0,0,1]
	v_pk_fma_f32 v[92:93], v[94:95], v[82:83], v[92:93] op_sel:[0,0,1] op_sel_hi:[1,0,0]
	s_delay_alu instid0(VALU_DEP_1)
	v_mov_b32_e32 v97, v93
	ds_load_2addr_b64 v[92:95], v86 offset0:29 offset1:30
	v_pk_add_f32 v[34:35], v[34:35], v[98:99] neg_lo:[0,1] neg_hi:[0,1]
	v_pk_add_f32 v[58:59], v[58:59], v[96:97] neg_lo:[0,1] neg_hi:[0,1]
	s_wait_dscnt 0x0
	v_pk_mul_f32 v[96:97], v[92:93], v[84:85] op_sel:[0,1]
	s_delay_alu instid0(VALU_DEP_1) | instskip(SKIP_1) | instid1(VALU_DEP_1)
	v_pk_fma_f32 v[98:99], v[92:93], v[82:83], v[96:97] op_sel:[0,0,1] op_sel_hi:[1,1,0] neg_lo:[0,0,1] neg_hi:[0,0,1]
	v_pk_fma_f32 v[92:93], v[92:93], v[82:83], v[96:97] op_sel:[0,0,1] op_sel_hi:[1,0,0]
	v_mov_b32_e32 v99, v93
	v_pk_mul_f32 v[92:93], v[94:95], v[84:85] op_sel:[0,1]
	s_delay_alu instid0(VALU_DEP_1) | instskip(SKIP_1) | instid1(VALU_DEP_1)
	v_pk_fma_f32 v[96:97], v[94:95], v[82:83], v[92:93] op_sel:[0,0,1] op_sel_hi:[1,1,0] neg_lo:[0,0,1] neg_hi:[0,0,1]
	v_pk_fma_f32 v[92:93], v[94:95], v[82:83], v[92:93] op_sel:[0,0,1] op_sel_hi:[1,0,0]
	v_mov_b32_e32 v97, v93
	ds_load_2addr_b64 v[92:95], v86 offset0:31 offset1:32
	v_pk_add_f32 v[10:11], v[10:11], v[98:99] neg_lo:[0,1] neg_hi:[0,1]
	v_pk_add_f32 v[12:13], v[12:13], v[96:97] neg_lo:[0,1] neg_hi:[0,1]
	s_wait_dscnt 0x0
	v_dual_mul_f32 v96, v93, v85 :: v_dual_mul_f32 v98, v93, v82
	s_delay_alu instid0(VALU_DEP_1) | instskip(NEXT) | instid1(VALU_DEP_2)
	v_pk_fma_f32 v[96:97], v[92:93], v[64:65], v[96:97] op_sel_hi:[1,1,0] neg_lo:[0,0,1] neg_hi:[0,0,1]
	v_pk_fma_f32 v[92:93], v[92:93], v[64:65], v[98:99] op_sel:[1,0,0] op_sel_hi:[0,1,0]
	s_delay_alu instid0(VALU_DEP_1) | instskip(SKIP_1) | instid1(VALU_DEP_2)
	v_mov_b32_e32 v97, v93
	v_pk_mul_f32 v[92:93], v[94:95], v[84:85] op_sel:[0,1]
	v_pk_add_f32 v[8:9], v[8:9], v[96:97] neg_lo:[0,1] neg_hi:[0,1]
	s_delay_alu instid0(VALU_DEP_2) | instskip(SKIP_1) | instid1(VALU_DEP_1)
	v_pk_fma_f32 v[96:97], v[94:95], v[82:83], v[92:93] op_sel:[0,0,1] op_sel_hi:[1,1,0] neg_lo:[0,0,1] neg_hi:[0,0,1]
	v_pk_fma_f32 v[92:93], v[94:95], v[82:83], v[92:93] op_sel:[0,0,1] op_sel_hi:[1,0,0]
	v_mov_b32_e32 v97, v93
	ds_load_2addr_b64 v[92:95], v86 offset0:33 offset1:34
	v_pk_add_f32 v[56:57], v[56:57], v[96:97] neg_lo:[0,1] neg_hi:[0,1]
	s_wait_dscnt 0x0
	v_pk_mul_f32 v[96:97], v[92:93], v[84:85] op_sel:[0,1]
	s_delay_alu instid0(VALU_DEP_1) | instskip(SKIP_1) | instid1(VALU_DEP_1)
	v_pk_fma_f32 v[98:99], v[92:93], v[82:83], v[96:97] op_sel:[0,0,1] op_sel_hi:[1,1,0] neg_lo:[0,0,1] neg_hi:[0,0,1]
	v_pk_fma_f32 v[92:93], v[92:93], v[82:83], v[96:97] op_sel:[0,0,1] op_sel_hi:[1,0,0]
	v_mov_b32_e32 v99, v93
	v_pk_mul_f32 v[92:93], v[94:95], v[84:85] op_sel:[0,1]
	s_delay_alu instid0(VALU_DEP_2) | instskip(NEXT) | instid1(VALU_DEP_2)
	v_pk_add_f32 v[6:7], v[6:7], v[98:99] neg_lo:[0,1] neg_hi:[0,1]
	v_pk_fma_f32 v[96:97], v[94:95], v[82:83], v[92:93] op_sel:[0,0,1] op_sel_hi:[1,1,0] neg_lo:[0,0,1] neg_hi:[0,0,1]
	v_pk_fma_f32 v[92:93], v[94:95], v[82:83], v[92:93] op_sel:[0,0,1] op_sel_hi:[1,0,0]
	s_delay_alu instid0(VALU_DEP_1) | instskip(SKIP_4) | instid1(VALU_DEP_1)
	v_mov_b32_e32 v97, v93
	ds_load_2addr_b64 v[92:95], v86 offset0:35 offset1:36
	v_pk_add_f32 v[54:55], v[54:55], v[96:97] neg_lo:[0,1] neg_hi:[0,1]
	s_wait_dscnt 0x0
	v_pk_mul_f32 v[96:97], v[92:93], v[84:85] op_sel:[0,1]
	v_pk_fma_f32 v[98:99], v[92:93], v[82:83], v[96:97] op_sel:[0,0,1] op_sel_hi:[1,1,0] neg_lo:[0,0,1] neg_hi:[0,0,1]
	v_pk_fma_f32 v[92:93], v[92:93], v[82:83], v[96:97] op_sel:[0,0,1] op_sel_hi:[1,0,0]
	v_dual_mul_f32 v96, v95, v85 :: v_dual_mov_b32 v92, v95
	s_delay_alu instid0(VALU_DEP_2) | instskip(NEXT) | instid1(VALU_DEP_2)
	v_dual_mov_b32 v99, v93 :: v_dual_mov_b32 v93, v94
	v_pk_fma_f32 v[96:97], v[94:95], v[64:65], v[96:97] op_sel_hi:[1,1,0] neg_lo:[0,0,1] neg_hi:[0,0,1]
	v_mul_f32_e32 v94, v95, v82
	s_delay_alu instid0(VALU_DEP_3) | instskip(NEXT) | instid1(VALU_DEP_2)
	v_pk_add_f32 v[46:47], v[46:47], v[98:99] neg_lo:[0,1] neg_hi:[0,1]
	v_pk_fma_f32 v[92:93], v[92:93], v[64:65], v[94:95] op_sel_hi:[1,1,0]
	s_delay_alu instid0(VALU_DEP_1) | instskip(SKIP_4) | instid1(VALU_DEP_1)
	v_mov_b32_e32 v97, v93
	ds_load_b64 v[92:93], v86 offset:296
	v_pk_add_f32 v[26:27], v[26:27], v[96:97] neg_lo:[0,1] neg_hi:[0,1]
	s_wait_dscnt 0x0
	v_pk_mul_f32 v[84:85], v[92:93], v[84:85] op_sel:[0,1]
	v_pk_fma_f32 v[94:95], v[92:93], v[82:83], v[84:85] op_sel:[0,0,1] op_sel_hi:[1,1,0] neg_lo:[0,0,1] neg_hi:[0,0,1]
	v_pk_fma_f32 v[82:83], v[92:93], v[82:83], v[84:85] op_sel:[0,0,1] op_sel_hi:[1,0,0]
	s_delay_alu instid0(VALU_DEP_1) | instskip(NEXT) | instid1(VALU_DEP_1)
	v_mov_b32_e32 v95, v83
	v_pk_add_f32 v[80:81], v[80:81], v[94:95] neg_lo:[0,1] neg_hi:[0,1]
.LBB74_272:
	s_or_b32 exec_lo, exec_lo, s0
	v_lshl_add_u32 v82, v90, 3, v86
	s_barrier_signal -1
	s_barrier_wait -1
	ds_store_b64 v82, v[30:31]
	s_wait_dscnt 0x0
	s_barrier_signal -1
	s_barrier_wait -1
	ds_load_b64 v[84:85], v86 offset:104
	v_mov_b32_e32 v82, 13
	s_cmp_lt_i32 s18, 15
	s_cbranch_scc1 .LBB74_275
; %bb.273:
	v_add3_u32 v83, v87, 0, 0x70
	v_mov_b32_e32 v82, 13
	s_mov_b32 s0, 14
.LBB74_274:                             ; =>This Inner Loop Header: Depth=1
	ds_load_b64 v[92:93], v83
	s_wait_dscnt 0x1
	v_cmp_gt_f32_e32 vcc_lo, 0, v84
	v_cndmask_b32_e64 v94, v84, -v84, vcc_lo
	v_cmp_gt_f32_e32 vcc_lo, 0, v85
	v_cndmask_b32_e64 v96, v85, -v85, vcc_lo
	s_wait_dscnt 0x0
	v_cmp_gt_f32_e32 vcc_lo, 0, v92
	v_cndmask_b32_e64 v95, v92, -v92, vcc_lo
	v_cmp_gt_f32_e32 vcc_lo, 0, v93
	v_cndmask_b32_e64 v97, v93, -v93, vcc_lo
	s_delay_alu instid0(VALU_DEP_1) | instskip(NEXT) | instid1(VALU_DEP_1)
	v_pk_add_f32 v[94:95], v[94:95], v[96:97]
	v_cmp_lt_f32_e32 vcc_lo, v94, v95
	v_dual_add_nc_u32 v83, 8, v83 :: v_dual_cndmask_b32 v85, v85, v93, vcc_lo
	v_cndmask_b32_e32 v84, v84, v92, vcc_lo
	v_cndmask_b32_e64 v82, v82, s0, vcc_lo
	s_add_co_i32 s0, s0, 1
	s_delay_alu instid0(SALU_CYCLE_1)
	s_cmp_lg_u32 s18, s0
	s_cbranch_scc1 .LBB74_274
.LBB74_275:
	s_wait_dscnt 0x0
	v_cmp_eq_f32_e32 vcc_lo, 0, v84
	v_cmp_eq_f32_e64 s0, 0, v85
	s_and_b32 s0, vcc_lo, s0
	s_delay_alu instid0(SALU_CYCLE_1) | instskip(NEXT) | instid1(SALU_CYCLE_1)
	s_and_saveexec_b32 s1, s0
	s_xor_b32 s0, exec_lo, s1
; %bb.276:
	v_cmp_ne_u32_e32 vcc_lo, 0, v88
	v_cndmask_b32_e32 v88, 14, v88, vcc_lo
; %bb.277:
	s_and_not1_saveexec_b32 s0, s0
	s_cbranch_execz .LBB74_283
; %bb.278:
	v_cmp_ngt_f32_e64 s1, |v84|, |v85|
	s_and_saveexec_b32 s12, s1
	s_delay_alu instid0(SALU_CYCLE_1)
	s_xor_b32 s1, exec_lo, s12
	s_cbranch_execz .LBB74_280
; %bb.279:
	v_div_scale_f32 v83, null, v85, v85, v84
	v_div_scale_f32 v93, vcc_lo, v84, v85, v84
	s_delay_alu instid0(VALU_DEP_2) | instskip(SKIP_1) | instid1(TRANS32_DEP_1)
	v_rcp_f32_e32 v91, v83
	v_nop
	v_fma_f32 v92, -v83, v91, 1.0
	s_delay_alu instid0(VALU_DEP_1) | instskip(NEXT) | instid1(VALU_DEP_1)
	v_fmac_f32_e32 v91, v92, v91
	v_mul_f32_e32 v92, v93, v91
	s_delay_alu instid0(VALU_DEP_1) | instskip(NEXT) | instid1(VALU_DEP_1)
	v_fma_f32 v94, -v83, v92, v93
	v_fmac_f32_e32 v92, v94, v91
	s_delay_alu instid0(VALU_DEP_1) | instskip(NEXT) | instid1(VALU_DEP_1)
	v_fma_f32 v83, -v83, v92, v93
	v_div_fmas_f32 v83, v83, v91, v92
	s_delay_alu instid0(VALU_DEP_1) | instskip(NEXT) | instid1(VALU_DEP_1)
	v_div_fixup_f32 v83, v83, v85, v84
	v_fmac_f32_e32 v85, v84, v83
	s_delay_alu instid0(VALU_DEP_1) | instskip(SKIP_1) | instid1(VALU_DEP_2)
	v_div_scale_f32 v84, null, v85, v85, 1.0
	v_div_scale_f32 v93, vcc_lo, 1.0, v85, 1.0
	v_rcp_f32_e32 v91, v84
	v_nop
	s_delay_alu instid0(TRANS32_DEP_1) | instskip(NEXT) | instid1(VALU_DEP_1)
	v_fma_f32 v92, -v84, v91, 1.0
	v_fmac_f32_e32 v91, v92, v91
	s_delay_alu instid0(VALU_DEP_1) | instskip(NEXT) | instid1(VALU_DEP_1)
	v_mul_f32_e32 v92, v93, v91
	v_fma_f32 v94, -v84, v92, v93
	s_delay_alu instid0(VALU_DEP_1) | instskip(NEXT) | instid1(VALU_DEP_1)
	v_fmac_f32_e32 v92, v94, v91
	v_fma_f32 v84, -v84, v92, v93
	s_delay_alu instid0(VALU_DEP_1) | instskip(NEXT) | instid1(VALU_DEP_1)
	v_div_fmas_f32 v84, v84, v91, v92
	v_div_fixup_f32 v85, v84, v85, 1.0
	s_delay_alu instid0(VALU_DEP_1)
	v_mul_f32_e32 v84, v83, v85
	v_xor_b32_e32 v85, 0x80000000, v85
.LBB74_280:
	s_and_not1_saveexec_b32 s1, s1
	s_cbranch_execz .LBB74_282
; %bb.281:
	s_delay_alu instid0(VALU_DEP_1) | instskip(SKIP_1) | instid1(VALU_DEP_2)
	v_div_scale_f32 v83, null, v84, v84, v85
	v_div_scale_f32 v93, vcc_lo, v85, v84, v85
	v_rcp_f32_e32 v91, v83
	v_nop
	s_delay_alu instid0(TRANS32_DEP_1) | instskip(NEXT) | instid1(VALU_DEP_1)
	v_fma_f32 v92, -v83, v91, 1.0
	v_fmac_f32_e32 v91, v92, v91
	s_delay_alu instid0(VALU_DEP_1) | instskip(NEXT) | instid1(VALU_DEP_1)
	v_mul_f32_e32 v92, v93, v91
	v_fma_f32 v94, -v83, v92, v93
	s_delay_alu instid0(VALU_DEP_1) | instskip(NEXT) | instid1(VALU_DEP_1)
	v_fmac_f32_e32 v92, v94, v91
	v_fma_f32 v83, -v83, v92, v93
	s_delay_alu instid0(VALU_DEP_1) | instskip(NEXT) | instid1(VALU_DEP_1)
	v_div_fmas_f32 v83, v83, v91, v92
	v_div_fixup_f32 v83, v83, v84, v85
	s_delay_alu instid0(VALU_DEP_1) | instskip(NEXT) | instid1(VALU_DEP_1)
	v_fmac_f32_e32 v84, v85, v83
	v_div_scale_f32 v85, null, v84, v84, 1.0
	s_delay_alu instid0(VALU_DEP_1) | instskip(SKIP_1) | instid1(TRANS32_DEP_1)
	v_rcp_f32_e32 v91, v85
	v_nop
	v_fma_f32 v92, -v85, v91, 1.0
	s_delay_alu instid0(VALU_DEP_1) | instskip(SKIP_1) | instid1(VALU_DEP_1)
	v_fmac_f32_e32 v91, v92, v91
	v_div_scale_f32 v92, vcc_lo, 1.0, v84, 1.0
	v_mul_f32_e32 v93, v92, v91
	s_delay_alu instid0(VALU_DEP_1) | instskip(NEXT) | instid1(VALU_DEP_1)
	v_fma_f32 v94, -v85, v93, v92
	v_fmac_f32_e32 v93, v94, v91
	s_delay_alu instid0(VALU_DEP_1) | instskip(NEXT) | instid1(VALU_DEP_1)
	v_fma_f32 v85, -v85, v93, v92
	v_div_fmas_f32 v85, v85, v91, v93
	s_delay_alu instid0(VALU_DEP_1) | instskip(NEXT) | instid1(VALU_DEP_1)
	v_div_fixup_f32 v84, v85, v84, 1.0
	v_mul_f32_e64 v85, v83, -v84
.LBB74_282:
	s_or_b32 exec_lo, exec_lo, s1
.LBB74_283:
	s_delay_alu instid0(SALU_CYCLE_1) | instskip(NEXT) | instid1(SALU_CYCLE_1)
	s_or_b32 exec_lo, exec_lo, s0
	s_mov_b32 s0, exec_lo
	v_cmpx_ne_u32_e64 v90, v82
	s_xor_b32 s0, exec_lo, s0
	s_cbranch_execz .LBB74_289
; %bb.284:
	s_mov_b32 s1, exec_lo
	v_cmpx_eq_u32_e32 13, v90
	s_cbranch_execz .LBB74_288
; %bb.285:
	v_cmp_ne_u32_e32 vcc_lo, 13, v82
	s_xor_b32 s12, s16, -1
	s_delay_alu instid0(SALU_CYCLE_1) | instskip(NEXT) | instid1(SALU_CYCLE_1)
	s_and_b32 s13, s12, vcc_lo
	s_and_saveexec_b32 s12, s13
	s_cbranch_execz .LBB74_287
; %bb.286:
	v_ashrrev_i32_e32 v83, 31, v82
	s_delay_alu instid0(VALU_DEP_1)
	v_lshl_add_u64 v[90:91], v[82:83], 2, v[4:5]
	s_clause 0x1
	global_load_b32 v83, v[90:91], off
	global_load_b32 v89, v[4:5], off offset:52
	s_wait_loadcnt 0x1
	global_store_b32 v[4:5], v83, off offset:52
	s_wait_loadcnt 0x0
	global_store_b32 v[90:91], v89, off
.LBB74_287:
	s_wait_xcnt 0x0
	s_or_b32 exec_lo, exec_lo, s12
	v_dual_mov_b32 v90, v82 :: v_dual_mov_b32 v89, v82
.LBB74_288:
	s_or_b32 exec_lo, exec_lo, s1
.LBB74_289:
	s_and_not1_saveexec_b32 s0, s0
	s_cbranch_execz .LBB74_291
; %bb.290:
	v_dual_mov_b32 v82, v32 :: v_dual_mov_b32 v83, v33
	v_dual_mov_b32 v90, v28 :: v_dual_mov_b32 v91, v29
	;; [unrolled: 1-line block ×4, first 2 shown]
	ds_store_2addr_b64 v86, v[82:83], v[90:91] offset0:14 offset1:15
	ds_store_2addr_b64 v86, v[92:93], v[94:95] offset0:16 offset1:17
	v_dual_mov_b32 v82, v52 :: v_dual_mov_b32 v83, v53
	v_dual_mov_b32 v90, v48 :: v_dual_mov_b32 v91, v49
	;; [unrolled: 1-line block ×12, first 2 shown]
	ds_store_2addr_b64 v86, v[82:83], v[90:91] offset0:18 offset1:19
	ds_store_2addr_b64 v86, v[92:93], v[94:95] offset0:20 offset1:21
	;; [unrolled: 1-line block ×6, first 2 shown]
	v_dual_mov_b32 v82, v12 :: v_dual_mov_b32 v83, v13
	v_dual_mov_b32 v92, v8 :: v_dual_mov_b32 v93, v9
	;; [unrolled: 1-line block ×7, first 2 shown]
	v_mov_b32_e32 v103, v27
	ds_store_2addr_b64 v86, v[82:83], v[92:93] offset0:30 offset1:31
	ds_store_2addr_b64 v86, v[94:95], v[96:97] offset0:32 offset1:33
	;; [unrolled: 1-line block ×4, first 2 shown]
.LBB74_291:
	s_or_b32 exec_lo, exec_lo, s0
	s_delay_alu instid0(SALU_CYCLE_1)
	s_mov_b32 s0, exec_lo
	s_wait_storecnt_dscnt 0x0
	s_barrier_signal -1
	s_barrier_wait -1
	v_cmpx_lt_i32_e32 13, v90
	s_cbranch_execz .LBB74_293
; %bb.292:
	v_pk_mul_f32 v[92:93], v[84:85], v[30:31] op_sel:[1,1] op_sel_hi:[0,1]
	s_delay_alu instid0(VALU_DEP_1)
	v_pk_fma_f32 v[82:83], v[84:85], v[30:31], v[92:93] op_sel_hi:[1,0,1] neg_lo:[0,0,1] neg_hi:[0,0,1]
	v_pk_fma_f32 v[84:85], v[84:85], v[30:31], v[92:93] op_sel_hi:[1,0,1]
	ds_load_2addr_b64 v[92:95], v86 offset0:14 offset1:15
	v_dual_mov_b32 v30, v82 :: v_dual_mov_b32 v31, v85
	s_wait_dscnt 0x0
	v_pk_mul_f32 v[96:97], v[92:93], v[84:85] op_sel:[0,1]
	s_delay_alu instid0(VALU_DEP_1) | instskip(SKIP_1) | instid1(VALU_DEP_1)
	v_pk_fma_f32 v[98:99], v[92:93], v[82:83], v[96:97] op_sel:[0,0,1] op_sel_hi:[1,1,0] neg_lo:[0,0,1] neg_hi:[0,0,1]
	v_pk_fma_f32 v[92:93], v[92:93], v[82:83], v[96:97] op_sel:[0,0,1] op_sel_hi:[1,0,0]
	v_mov_b32_e32 v99, v93
	v_pk_mul_f32 v[92:93], v[94:95], v[84:85] op_sel:[0,1]
	s_delay_alu instid0(VALU_DEP_1) | instskip(SKIP_1) | instid1(VALU_DEP_1)
	v_pk_fma_f32 v[96:97], v[94:95], v[82:83], v[92:93] op_sel:[0,0,1] op_sel_hi:[1,1,0] neg_lo:[0,0,1] neg_hi:[0,0,1]
	v_pk_fma_f32 v[92:93], v[94:95], v[82:83], v[92:93] op_sel:[0,0,1] op_sel_hi:[1,0,0]
	v_mov_b32_e32 v97, v93
	ds_load_2addr_b64 v[92:95], v86 offset0:16 offset1:17
	v_pk_add_f32 v[32:33], v[32:33], v[98:99] neg_lo:[0,1] neg_hi:[0,1]
	v_pk_add_f32 v[28:29], v[28:29], v[96:97] neg_lo:[0,1] neg_hi:[0,1]
	s_wait_dscnt 0x0
	v_pk_mul_f32 v[96:97], v[92:93], v[84:85] op_sel:[0,1]
	s_delay_alu instid0(VALU_DEP_1) | instskip(SKIP_2) | instid1(VALU_DEP_2)
	v_pk_fma_f32 v[98:99], v[92:93], v[82:83], v[96:97] op_sel:[0,0,1] op_sel_hi:[1,1,0] neg_lo:[0,0,1] neg_hi:[0,0,1]
	v_pk_fma_f32 v[92:93], v[92:93], v[82:83], v[96:97] op_sel:[0,0,1] op_sel_hi:[1,0,0]
	v_dual_mul_f32 v96, v95, v85 :: v_dual_mov_b32 v92, v95
	v_dual_mov_b32 v99, v93 :: v_dual_mov_b32 v93, v94
	s_delay_alu instid0(VALU_DEP_2) | instskip(SKIP_1) | instid1(VALU_DEP_3)
	v_pk_fma_f32 v[96:97], v[94:95], v[30:31], v[96:97] op_sel_hi:[1,1,0] neg_lo:[0,0,1] neg_hi:[0,0,1]
	v_mul_f32_e32 v94, v95, v82
	v_pk_add_f32 v[70:71], v[70:71], v[98:99] neg_lo:[0,1] neg_hi:[0,1]
	s_delay_alu instid0(VALU_DEP_2) | instskip(NEXT) | instid1(VALU_DEP_1)
	v_pk_fma_f32 v[92:93], v[92:93], v[30:31], v[94:95] op_sel_hi:[1,1,0]
	v_mov_b32_e32 v97, v93
	ds_load_2addr_b64 v[92:95], v86 offset0:18 offset1:19
	v_pk_add_f32 v[50:51], v[50:51], v[96:97] neg_lo:[0,1] neg_hi:[0,1]
	s_wait_dscnt 0x0
	v_pk_mul_f32 v[96:97], v[92:93], v[84:85] op_sel:[0,1]
	s_delay_alu instid0(VALU_DEP_1) | instskip(SKIP_1) | instid1(VALU_DEP_1)
	v_pk_fma_f32 v[98:99], v[92:93], v[82:83], v[96:97] op_sel:[0,0,1] op_sel_hi:[1,1,0] neg_lo:[0,0,1] neg_hi:[0,0,1]
	v_pk_fma_f32 v[92:93], v[92:93], v[82:83], v[96:97] op_sel:[0,0,1] op_sel_hi:[1,0,0]
	v_mov_b32_e32 v99, v93
	v_pk_mul_f32 v[92:93], v[94:95], v[84:85] op_sel:[0,1]
	s_delay_alu instid0(VALU_DEP_1) | instskip(SKIP_1) | instid1(VALU_DEP_1)
	v_pk_fma_f32 v[96:97], v[94:95], v[82:83], v[92:93] op_sel:[0,0,1] op_sel_hi:[1,1,0] neg_lo:[0,0,1] neg_hi:[0,0,1]
	v_pk_fma_f32 v[92:93], v[94:95], v[82:83], v[92:93] op_sel:[0,0,1] op_sel_hi:[1,0,0]
	v_mov_b32_e32 v97, v93
	ds_load_2addr_b64 v[92:95], v86 offset0:20 offset1:21
	v_pk_add_f32 v[52:53], v[52:53], v[98:99] neg_lo:[0,1] neg_hi:[0,1]
	v_pk_add_f32 v[48:49], v[48:49], v[96:97] neg_lo:[0,1] neg_hi:[0,1]
	s_wait_dscnt 0x0
	v_pk_mul_f32 v[96:97], v[92:93], v[84:85] op_sel:[0,1]
	s_delay_alu instid0(VALU_DEP_1) | instskip(SKIP_1) | instid1(VALU_DEP_1)
	v_pk_fma_f32 v[98:99], v[92:93], v[82:83], v[96:97] op_sel:[0,0,1] op_sel_hi:[1,1,0] neg_lo:[0,0,1] neg_hi:[0,0,1]
	v_pk_fma_f32 v[92:93], v[92:93], v[82:83], v[96:97] op_sel:[0,0,1] op_sel_hi:[1,0,0]
	v_mov_b32_e32 v99, v93
	v_pk_mul_f32 v[92:93], v[94:95], v[84:85] op_sel:[0,1]
	s_delay_alu instid0(VALU_DEP_1) | instskip(SKIP_1) | instid1(VALU_DEP_1)
	v_pk_fma_f32 v[96:97], v[94:95], v[82:83], v[92:93] op_sel:[0,0,1] op_sel_hi:[1,1,0] neg_lo:[0,0,1] neg_hi:[0,0,1]
	v_pk_fma_f32 v[92:93], v[94:95], v[82:83], v[92:93] op_sel:[0,0,1] op_sel_hi:[1,0,0]
	v_mov_b32_e32 v97, v93
	ds_load_2addr_b64 v[92:95], v86 offset0:22 offset1:23
	v_pk_add_f32 v[68:69], v[68:69], v[98:99] neg_lo:[0,1] neg_hi:[0,1]
	v_pk_add_f32 v[42:43], v[42:43], v[96:97] neg_lo:[0,1] neg_hi:[0,1]
	s_wait_dscnt 0x0
	v_dual_mul_f32 v96, v93, v85 :: v_dual_mul_f32 v98, v93, v82
	s_delay_alu instid0(VALU_DEP_1) | instskip(NEXT) | instid1(VALU_DEP_2)
	v_pk_fma_f32 v[96:97], v[92:93], v[30:31], v[96:97] op_sel_hi:[1,1,0] neg_lo:[0,0,1] neg_hi:[0,0,1]
	v_pk_fma_f32 v[92:93], v[92:93], v[30:31], v[98:99] op_sel:[1,0,0] op_sel_hi:[0,1,0]
	s_delay_alu instid0(VALU_DEP_1) | instskip(SKIP_1) | instid1(VALU_DEP_2)
	v_mov_b32_e32 v97, v93
	v_pk_mul_f32 v[92:93], v[94:95], v[84:85] op_sel:[0,1]
	v_pk_add_f32 v[44:45], v[44:45], v[96:97] neg_lo:[0,1] neg_hi:[0,1]
	s_delay_alu instid0(VALU_DEP_2) | instskip(SKIP_1) | instid1(VALU_DEP_1)
	v_pk_fma_f32 v[96:97], v[94:95], v[82:83], v[92:93] op_sel:[0,0,1] op_sel_hi:[1,1,0] neg_lo:[0,0,1] neg_hi:[0,0,1]
	v_pk_fma_f32 v[92:93], v[94:95], v[82:83], v[92:93] op_sel:[0,0,1] op_sel_hi:[1,0,0]
	v_mov_b32_e32 v97, v93
	ds_load_2addr_b64 v[92:95], v86 offset0:24 offset1:25
	v_pk_add_f32 v[40:41], v[40:41], v[96:97] neg_lo:[0,1] neg_hi:[0,1]
	s_wait_dscnt 0x0
	v_pk_mul_f32 v[96:97], v[92:93], v[84:85] op_sel:[0,1]
	s_delay_alu instid0(VALU_DEP_1) | instskip(SKIP_1) | instid1(VALU_DEP_1)
	v_pk_fma_f32 v[98:99], v[92:93], v[82:83], v[96:97] op_sel:[0,0,1] op_sel_hi:[1,1,0] neg_lo:[0,0,1] neg_hi:[0,0,1]
	v_pk_fma_f32 v[92:93], v[92:93], v[82:83], v[96:97] op_sel:[0,0,1] op_sel_hi:[1,0,0]
	v_mov_b32_e32 v99, v93
	v_pk_mul_f32 v[92:93], v[94:95], v[84:85] op_sel:[0,1]
	s_delay_alu instid0(VALU_DEP_2) | instskip(NEXT) | instid1(VALU_DEP_2)
	v_pk_add_f32 v[66:67], v[66:67], v[98:99] neg_lo:[0,1] neg_hi:[0,1]
	v_pk_fma_f32 v[96:97], v[94:95], v[82:83], v[92:93] op_sel:[0,0,1] op_sel_hi:[1,1,0] neg_lo:[0,0,1] neg_hi:[0,0,1]
	v_pk_fma_f32 v[92:93], v[94:95], v[82:83], v[92:93] op_sel:[0,0,1] op_sel_hi:[1,0,0]
	s_delay_alu instid0(VALU_DEP_1) | instskip(SKIP_4) | instid1(VALU_DEP_1)
	v_mov_b32_e32 v97, v93
	ds_load_2addr_b64 v[92:95], v86 offset0:26 offset1:27
	v_pk_add_f32 v[36:37], v[36:37], v[96:97] neg_lo:[0,1] neg_hi:[0,1]
	s_wait_dscnt 0x0
	v_pk_mul_f32 v[96:97], v[92:93], v[84:85] op_sel:[0,1]
	v_pk_fma_f32 v[98:99], v[92:93], v[82:83], v[96:97] op_sel:[0,0,1] op_sel_hi:[1,1,0] neg_lo:[0,0,1] neg_hi:[0,0,1]
	v_pk_fma_f32 v[92:93], v[92:93], v[82:83], v[96:97] op_sel:[0,0,1] op_sel_hi:[1,0,0]
	v_dual_mul_f32 v96, v95, v85 :: v_dual_mov_b32 v92, v95
	s_delay_alu instid0(VALU_DEP_2) | instskip(NEXT) | instid1(VALU_DEP_2)
	v_dual_mov_b32 v99, v93 :: v_dual_mov_b32 v93, v94
	v_pk_fma_f32 v[96:97], v[94:95], v[30:31], v[96:97] op_sel_hi:[1,1,0] neg_lo:[0,0,1] neg_hi:[0,0,1]
	v_mul_f32_e32 v94, v95, v82
	s_delay_alu instid0(VALU_DEP_3) | instskip(NEXT) | instid1(VALU_DEP_2)
	v_pk_add_f32 v[38:39], v[38:39], v[98:99] neg_lo:[0,1] neg_hi:[0,1]
	v_pk_fma_f32 v[92:93], v[92:93], v[30:31], v[94:95] op_sel_hi:[1,1,0]
	s_delay_alu instid0(VALU_DEP_1) | instskip(SKIP_4) | instid1(VALU_DEP_1)
	v_mov_b32_e32 v97, v93
	ds_load_2addr_b64 v[92:95], v86 offset0:28 offset1:29
	v_pk_add_f32 v[34:35], v[34:35], v[96:97] neg_lo:[0,1] neg_hi:[0,1]
	s_wait_dscnt 0x0
	v_pk_mul_f32 v[96:97], v[92:93], v[84:85] op_sel:[0,1]
	v_pk_fma_f32 v[98:99], v[92:93], v[82:83], v[96:97] op_sel:[0,0,1] op_sel_hi:[1,1,0] neg_lo:[0,0,1] neg_hi:[0,0,1]
	v_pk_fma_f32 v[92:93], v[92:93], v[82:83], v[96:97] op_sel:[0,0,1] op_sel_hi:[1,0,0]
	s_delay_alu instid0(VALU_DEP_1) | instskip(SKIP_1) | instid1(VALU_DEP_1)
	v_mov_b32_e32 v99, v93
	v_pk_mul_f32 v[92:93], v[94:95], v[84:85] op_sel:[0,1]
	v_pk_fma_f32 v[96:97], v[94:95], v[82:83], v[92:93] op_sel:[0,0,1] op_sel_hi:[1,1,0] neg_lo:[0,0,1] neg_hi:[0,0,1]
	v_pk_fma_f32 v[92:93], v[94:95], v[82:83], v[92:93] op_sel:[0,0,1] op_sel_hi:[1,0,0]
	s_delay_alu instid0(VALU_DEP_1)
	v_mov_b32_e32 v97, v93
	ds_load_2addr_b64 v[92:95], v86 offset0:30 offset1:31
	v_pk_add_f32 v[58:59], v[58:59], v[98:99] neg_lo:[0,1] neg_hi:[0,1]
	v_pk_add_f32 v[10:11], v[10:11], v[96:97] neg_lo:[0,1] neg_hi:[0,1]
	s_wait_dscnt 0x0
	v_pk_mul_f32 v[96:97], v[92:93], v[84:85] op_sel:[0,1]
	s_delay_alu instid0(VALU_DEP_1) | instskip(SKIP_1) | instid1(VALU_DEP_1)
	v_pk_fma_f32 v[98:99], v[92:93], v[82:83], v[96:97] op_sel:[0,0,1] op_sel_hi:[1,1,0] neg_lo:[0,0,1] neg_hi:[0,0,1]
	v_pk_fma_f32 v[92:93], v[92:93], v[82:83], v[96:97] op_sel:[0,0,1] op_sel_hi:[1,0,0]
	v_mov_b32_e32 v99, v93
	v_pk_mul_f32 v[92:93], v[94:95], v[84:85] op_sel:[0,1]
	s_delay_alu instid0(VALU_DEP_1) | instskip(SKIP_1) | instid1(VALU_DEP_1)
	v_pk_fma_f32 v[96:97], v[94:95], v[82:83], v[92:93] op_sel:[0,0,1] op_sel_hi:[1,1,0] neg_lo:[0,0,1] neg_hi:[0,0,1]
	v_pk_fma_f32 v[92:93], v[94:95], v[82:83], v[92:93] op_sel:[0,0,1] op_sel_hi:[1,0,0]
	v_mov_b32_e32 v97, v93
	ds_load_2addr_b64 v[92:95], v86 offset0:32 offset1:33
	v_pk_add_f32 v[12:13], v[12:13], v[98:99] neg_lo:[0,1] neg_hi:[0,1]
	v_pk_add_f32 v[8:9], v[8:9], v[96:97] neg_lo:[0,1] neg_hi:[0,1]
	s_wait_dscnt 0x0
	v_dual_mul_f32 v96, v93, v85 :: v_dual_mul_f32 v98, v93, v82
	s_delay_alu instid0(VALU_DEP_1) | instskip(NEXT) | instid1(VALU_DEP_2)
	v_pk_fma_f32 v[96:97], v[92:93], v[30:31], v[96:97] op_sel_hi:[1,1,0] neg_lo:[0,0,1] neg_hi:[0,0,1]
	v_pk_fma_f32 v[92:93], v[92:93], v[30:31], v[98:99] op_sel:[1,0,0] op_sel_hi:[0,1,0]
	s_delay_alu instid0(VALU_DEP_1) | instskip(SKIP_1) | instid1(VALU_DEP_2)
	v_mov_b32_e32 v97, v93
	v_pk_mul_f32 v[92:93], v[94:95], v[84:85] op_sel:[0,1]
	v_pk_add_f32 v[56:57], v[56:57], v[96:97] neg_lo:[0,1] neg_hi:[0,1]
	s_delay_alu instid0(VALU_DEP_2) | instskip(SKIP_1) | instid1(VALU_DEP_1)
	v_pk_fma_f32 v[96:97], v[94:95], v[82:83], v[92:93] op_sel:[0,0,1] op_sel_hi:[1,1,0] neg_lo:[0,0,1] neg_hi:[0,0,1]
	v_pk_fma_f32 v[92:93], v[94:95], v[82:83], v[92:93] op_sel:[0,0,1] op_sel_hi:[1,0,0]
	v_mov_b32_e32 v97, v93
	ds_load_2addr_b64 v[92:95], v86 offset0:34 offset1:35
	v_pk_add_f32 v[6:7], v[6:7], v[96:97] neg_lo:[0,1] neg_hi:[0,1]
	s_wait_dscnt 0x0
	v_pk_mul_f32 v[96:97], v[92:93], v[84:85] op_sel:[0,1]
	s_delay_alu instid0(VALU_DEP_1) | instskip(SKIP_1) | instid1(VALU_DEP_1)
	v_pk_fma_f32 v[98:99], v[92:93], v[82:83], v[96:97] op_sel:[0,0,1] op_sel_hi:[1,1,0] neg_lo:[0,0,1] neg_hi:[0,0,1]
	v_pk_fma_f32 v[92:93], v[92:93], v[82:83], v[96:97] op_sel:[0,0,1] op_sel_hi:[1,0,0]
	v_mov_b32_e32 v99, v93
	v_pk_mul_f32 v[92:93], v[94:95], v[84:85] op_sel:[0,1]
	s_delay_alu instid0(VALU_DEP_2) | instskip(NEXT) | instid1(VALU_DEP_2)
	v_pk_add_f32 v[54:55], v[54:55], v[98:99] neg_lo:[0,1] neg_hi:[0,1]
	v_pk_fma_f32 v[96:97], v[94:95], v[82:83], v[92:93] op_sel:[0,0,1] op_sel_hi:[1,1,0] neg_lo:[0,0,1] neg_hi:[0,0,1]
	v_pk_fma_f32 v[92:93], v[94:95], v[82:83], v[92:93] op_sel:[0,0,1] op_sel_hi:[1,0,0]
	s_delay_alu instid0(VALU_DEP_1)
	v_mov_b32_e32 v97, v93
	ds_load_2addr_b64 v[92:95], v86 offset0:36 offset1:37
	v_pk_add_f32 v[46:47], v[46:47], v[96:97] neg_lo:[0,1] neg_hi:[0,1]
	s_wait_dscnt 0x0
	v_pk_mul_f32 v[96:97], v[92:93], v[84:85] op_sel:[0,1]
	v_mul_f32_e32 v84, v95, v85
	s_delay_alu instid0(VALU_DEP_2) | instskip(SKIP_2) | instid1(VALU_DEP_4)
	v_pk_fma_f32 v[98:99], v[92:93], v[82:83], v[96:97] op_sel:[0,0,1] op_sel_hi:[1,1,0] neg_lo:[0,0,1] neg_hi:[0,0,1]
	v_pk_fma_f32 v[92:93], v[92:93], v[82:83], v[96:97] op_sel:[0,0,1] op_sel_hi:[1,0,0]
	v_dual_mov_b32 v92, v95 :: v_dual_mul_f32 v82, v95, v82
	v_pk_fma_f32 v[84:85], v[94:95], v[30:31], v[84:85] op_sel_hi:[1,1,0] neg_lo:[0,0,1] neg_hi:[0,0,1]
	s_delay_alu instid0(VALU_DEP_3) | instskip(NEXT) | instid1(VALU_DEP_1)
	v_dual_mov_b32 v99, v93 :: v_dual_mov_b32 v93, v94
	v_pk_add_f32 v[26:27], v[26:27], v[98:99] neg_lo:[0,1] neg_hi:[0,1]
	s_delay_alu instid0(VALU_DEP_2) | instskip(NEXT) | instid1(VALU_DEP_1)
	v_pk_fma_f32 v[82:83], v[92:93], v[30:31], v[82:83] op_sel_hi:[1,1,0]
	v_mov_b32_e32 v85, v83
	s_delay_alu instid0(VALU_DEP_1)
	v_pk_add_f32 v[80:81], v[80:81], v[84:85] neg_lo:[0,1] neg_hi:[0,1]
.LBB74_293:
	s_or_b32 exec_lo, exec_lo, s0
	v_lshl_add_u32 v82, v90, 3, v86
	s_barrier_signal -1
	s_barrier_wait -1
	ds_store_b64 v82, v[32:33]
	s_wait_dscnt 0x0
	s_barrier_signal -1
	s_barrier_wait -1
	ds_load_b64 v[84:85], v86 offset:112
	v_mov_b32_e32 v82, 14
	s_cmp_lt_i32 s18, 16
	s_cbranch_scc1 .LBB74_296
; %bb.294:
	v_add3_u32 v83, v87, 0, 0x78
	v_mov_b32_e32 v82, 14
	s_mov_b32 s0, 15
.LBB74_295:                             ; =>This Inner Loop Header: Depth=1
	ds_load_b64 v[92:93], v83
	s_wait_dscnt 0x1
	v_cmp_gt_f32_e32 vcc_lo, 0, v84
	v_cndmask_b32_e64 v94, v84, -v84, vcc_lo
	v_cmp_gt_f32_e32 vcc_lo, 0, v85
	v_cndmask_b32_e64 v96, v85, -v85, vcc_lo
	s_wait_dscnt 0x0
	v_cmp_gt_f32_e32 vcc_lo, 0, v92
	v_cndmask_b32_e64 v95, v92, -v92, vcc_lo
	v_cmp_gt_f32_e32 vcc_lo, 0, v93
	v_cndmask_b32_e64 v97, v93, -v93, vcc_lo
	s_delay_alu instid0(VALU_DEP_1) | instskip(NEXT) | instid1(VALU_DEP_1)
	v_pk_add_f32 v[94:95], v[94:95], v[96:97]
	v_cmp_lt_f32_e32 vcc_lo, v94, v95
	v_dual_add_nc_u32 v83, 8, v83 :: v_dual_cndmask_b32 v85, v85, v93, vcc_lo
	v_cndmask_b32_e32 v84, v84, v92, vcc_lo
	v_cndmask_b32_e64 v82, v82, s0, vcc_lo
	s_add_co_i32 s0, s0, 1
	s_delay_alu instid0(SALU_CYCLE_1)
	s_cmp_lg_u32 s18, s0
	s_cbranch_scc1 .LBB74_295
.LBB74_296:
	s_wait_dscnt 0x0
	v_cmp_eq_f32_e32 vcc_lo, 0, v84
	v_cmp_eq_f32_e64 s0, 0, v85
	s_and_b32 s0, vcc_lo, s0
	s_delay_alu instid0(SALU_CYCLE_1) | instskip(NEXT) | instid1(SALU_CYCLE_1)
	s_and_saveexec_b32 s1, s0
	s_xor_b32 s0, exec_lo, s1
; %bb.297:
	v_cmp_ne_u32_e32 vcc_lo, 0, v88
	v_cndmask_b32_e32 v88, 15, v88, vcc_lo
; %bb.298:
	s_and_not1_saveexec_b32 s0, s0
	s_cbranch_execz .LBB74_304
; %bb.299:
	v_cmp_ngt_f32_e64 s1, |v84|, |v85|
	s_and_saveexec_b32 s12, s1
	s_delay_alu instid0(SALU_CYCLE_1)
	s_xor_b32 s1, exec_lo, s12
	s_cbranch_execz .LBB74_301
; %bb.300:
	v_div_scale_f32 v83, null, v85, v85, v84
	v_div_scale_f32 v93, vcc_lo, v84, v85, v84
	s_delay_alu instid0(VALU_DEP_2) | instskip(SKIP_1) | instid1(TRANS32_DEP_1)
	v_rcp_f32_e32 v91, v83
	v_nop
	v_fma_f32 v92, -v83, v91, 1.0
	s_delay_alu instid0(VALU_DEP_1) | instskip(NEXT) | instid1(VALU_DEP_1)
	v_fmac_f32_e32 v91, v92, v91
	v_mul_f32_e32 v92, v93, v91
	s_delay_alu instid0(VALU_DEP_1) | instskip(NEXT) | instid1(VALU_DEP_1)
	v_fma_f32 v94, -v83, v92, v93
	v_fmac_f32_e32 v92, v94, v91
	s_delay_alu instid0(VALU_DEP_1) | instskip(NEXT) | instid1(VALU_DEP_1)
	v_fma_f32 v83, -v83, v92, v93
	v_div_fmas_f32 v83, v83, v91, v92
	s_delay_alu instid0(VALU_DEP_1) | instskip(NEXT) | instid1(VALU_DEP_1)
	v_div_fixup_f32 v83, v83, v85, v84
	v_fmac_f32_e32 v85, v84, v83
	s_delay_alu instid0(VALU_DEP_1) | instskip(SKIP_1) | instid1(VALU_DEP_2)
	v_div_scale_f32 v84, null, v85, v85, 1.0
	v_div_scale_f32 v93, vcc_lo, 1.0, v85, 1.0
	v_rcp_f32_e32 v91, v84
	v_nop
	s_delay_alu instid0(TRANS32_DEP_1) | instskip(NEXT) | instid1(VALU_DEP_1)
	v_fma_f32 v92, -v84, v91, 1.0
	v_fmac_f32_e32 v91, v92, v91
	s_delay_alu instid0(VALU_DEP_1) | instskip(NEXT) | instid1(VALU_DEP_1)
	v_mul_f32_e32 v92, v93, v91
	v_fma_f32 v94, -v84, v92, v93
	s_delay_alu instid0(VALU_DEP_1) | instskip(NEXT) | instid1(VALU_DEP_1)
	v_fmac_f32_e32 v92, v94, v91
	v_fma_f32 v84, -v84, v92, v93
	s_delay_alu instid0(VALU_DEP_1) | instskip(NEXT) | instid1(VALU_DEP_1)
	v_div_fmas_f32 v84, v84, v91, v92
	v_div_fixup_f32 v85, v84, v85, 1.0
	s_delay_alu instid0(VALU_DEP_1)
	v_mul_f32_e32 v84, v83, v85
	v_xor_b32_e32 v85, 0x80000000, v85
.LBB74_301:
	s_and_not1_saveexec_b32 s1, s1
	s_cbranch_execz .LBB74_303
; %bb.302:
	s_delay_alu instid0(VALU_DEP_1) | instskip(SKIP_1) | instid1(VALU_DEP_2)
	v_div_scale_f32 v83, null, v84, v84, v85
	v_div_scale_f32 v93, vcc_lo, v85, v84, v85
	v_rcp_f32_e32 v91, v83
	v_nop
	s_delay_alu instid0(TRANS32_DEP_1) | instskip(NEXT) | instid1(VALU_DEP_1)
	v_fma_f32 v92, -v83, v91, 1.0
	v_fmac_f32_e32 v91, v92, v91
	s_delay_alu instid0(VALU_DEP_1) | instskip(NEXT) | instid1(VALU_DEP_1)
	v_mul_f32_e32 v92, v93, v91
	v_fma_f32 v94, -v83, v92, v93
	s_delay_alu instid0(VALU_DEP_1) | instskip(NEXT) | instid1(VALU_DEP_1)
	v_fmac_f32_e32 v92, v94, v91
	v_fma_f32 v83, -v83, v92, v93
	s_delay_alu instid0(VALU_DEP_1) | instskip(NEXT) | instid1(VALU_DEP_1)
	v_div_fmas_f32 v83, v83, v91, v92
	v_div_fixup_f32 v83, v83, v84, v85
	s_delay_alu instid0(VALU_DEP_1) | instskip(NEXT) | instid1(VALU_DEP_1)
	v_fmac_f32_e32 v84, v85, v83
	v_div_scale_f32 v85, null, v84, v84, 1.0
	s_delay_alu instid0(VALU_DEP_1) | instskip(SKIP_1) | instid1(TRANS32_DEP_1)
	v_rcp_f32_e32 v91, v85
	v_nop
	v_fma_f32 v92, -v85, v91, 1.0
	s_delay_alu instid0(VALU_DEP_1) | instskip(SKIP_1) | instid1(VALU_DEP_1)
	v_fmac_f32_e32 v91, v92, v91
	v_div_scale_f32 v92, vcc_lo, 1.0, v84, 1.0
	v_mul_f32_e32 v93, v92, v91
	s_delay_alu instid0(VALU_DEP_1) | instskip(NEXT) | instid1(VALU_DEP_1)
	v_fma_f32 v94, -v85, v93, v92
	v_fmac_f32_e32 v93, v94, v91
	s_delay_alu instid0(VALU_DEP_1) | instskip(NEXT) | instid1(VALU_DEP_1)
	v_fma_f32 v85, -v85, v93, v92
	v_div_fmas_f32 v85, v85, v91, v93
	s_delay_alu instid0(VALU_DEP_1) | instskip(NEXT) | instid1(VALU_DEP_1)
	v_div_fixup_f32 v84, v85, v84, 1.0
	v_mul_f32_e64 v85, v83, -v84
.LBB74_303:
	s_or_b32 exec_lo, exec_lo, s1
.LBB74_304:
	s_delay_alu instid0(SALU_CYCLE_1) | instskip(NEXT) | instid1(SALU_CYCLE_1)
	s_or_b32 exec_lo, exec_lo, s0
	s_mov_b32 s0, exec_lo
	v_cmpx_ne_u32_e64 v90, v82
	s_xor_b32 s0, exec_lo, s0
	s_cbranch_execz .LBB74_310
; %bb.305:
	s_mov_b32 s1, exec_lo
	v_cmpx_eq_u32_e32 14, v90
	s_cbranch_execz .LBB74_309
; %bb.306:
	v_cmp_ne_u32_e32 vcc_lo, 14, v82
	s_xor_b32 s12, s16, -1
	s_delay_alu instid0(SALU_CYCLE_1) | instskip(NEXT) | instid1(SALU_CYCLE_1)
	s_and_b32 s13, s12, vcc_lo
	s_and_saveexec_b32 s12, s13
	s_cbranch_execz .LBB74_308
; %bb.307:
	v_ashrrev_i32_e32 v83, 31, v82
	s_delay_alu instid0(VALU_DEP_1)
	v_lshl_add_u64 v[90:91], v[82:83], 2, v[4:5]
	s_clause 0x1
	global_load_b32 v83, v[90:91], off
	global_load_b32 v89, v[4:5], off offset:56
	s_wait_loadcnt 0x1
	global_store_b32 v[4:5], v83, off offset:56
	s_wait_loadcnt 0x0
	global_store_b32 v[90:91], v89, off
.LBB74_308:
	s_wait_xcnt 0x0
	s_or_b32 exec_lo, exec_lo, s12
	v_dual_mov_b32 v90, v82 :: v_dual_mov_b32 v89, v82
.LBB74_309:
	s_or_b32 exec_lo, exec_lo, s1
.LBB74_310:
	s_and_not1_saveexec_b32 s0, s0
	s_cbranch_execz .LBB74_312
; %bb.311:
	v_mov_b32_e32 v90, 14
	ds_store_2addr_b64 v86, v[28:29], v[70:71] offset0:15 offset1:16
	ds_store_2addr_b64 v86, v[50:51], v[52:53] offset0:17 offset1:18
	;; [unrolled: 1-line block ×11, first 2 shown]
	ds_store_b64 v86, v[80:81] offset:296
.LBB74_312:
	s_or_b32 exec_lo, exec_lo, s0
	s_delay_alu instid0(SALU_CYCLE_1)
	s_mov_b32 s0, exec_lo
	s_wait_storecnt_dscnt 0x0
	s_barrier_signal -1
	s_barrier_wait -1
	v_cmpx_lt_i32_e32 14, v90
	s_cbranch_execz .LBB74_314
; %bb.313:
	v_pk_mul_f32 v[92:93], v[84:85], v[32:33] op_sel:[1,1] op_sel_hi:[0,1]
	s_delay_alu instid0(VALU_DEP_1)
	v_pk_fma_f32 v[82:83], v[84:85], v[32:33], v[92:93] op_sel_hi:[1,0,1] neg_lo:[0,0,1] neg_hi:[0,0,1]
	v_pk_fma_f32 v[84:85], v[84:85], v[32:33], v[92:93] op_sel_hi:[1,0,1]
	ds_load_2addr_b64 v[92:95], v86 offset0:15 offset1:16
	v_dual_mov_b32 v32, v82 :: v_dual_mov_b32 v33, v85
	s_wait_dscnt 0x0
	v_pk_mul_f32 v[96:97], v[92:93], v[84:85] op_sel:[0,1]
	s_delay_alu instid0(VALU_DEP_1) | instskip(SKIP_1) | instid1(VALU_DEP_1)
	v_pk_fma_f32 v[98:99], v[92:93], v[82:83], v[96:97] op_sel:[0,0,1] op_sel_hi:[1,1,0] neg_lo:[0,0,1] neg_hi:[0,0,1]
	v_pk_fma_f32 v[92:93], v[92:93], v[82:83], v[96:97] op_sel:[0,0,1] op_sel_hi:[1,0,0]
	v_mov_b32_e32 v99, v93
	v_pk_mul_f32 v[92:93], v[94:95], v[84:85] op_sel:[0,1]
	s_delay_alu instid0(VALU_DEP_1) | instskip(SKIP_1) | instid1(VALU_DEP_1)
	v_pk_fma_f32 v[96:97], v[94:95], v[82:83], v[92:93] op_sel:[0,0,1] op_sel_hi:[1,1,0] neg_lo:[0,0,1] neg_hi:[0,0,1]
	v_pk_fma_f32 v[92:93], v[94:95], v[82:83], v[92:93] op_sel:[0,0,1] op_sel_hi:[1,0,0]
	v_mov_b32_e32 v97, v93
	ds_load_2addr_b64 v[92:95], v86 offset0:17 offset1:18
	v_pk_add_f32 v[28:29], v[28:29], v[98:99] neg_lo:[0,1] neg_hi:[0,1]
	v_pk_add_f32 v[70:71], v[70:71], v[96:97] neg_lo:[0,1] neg_hi:[0,1]
	s_wait_dscnt 0x0
	v_pk_mul_f32 v[96:97], v[92:93], v[84:85] op_sel:[0,1]
	s_delay_alu instid0(VALU_DEP_1) | instskip(SKIP_2) | instid1(VALU_DEP_2)
	v_pk_fma_f32 v[98:99], v[92:93], v[82:83], v[96:97] op_sel:[0,0,1] op_sel_hi:[1,1,0] neg_lo:[0,0,1] neg_hi:[0,0,1]
	v_pk_fma_f32 v[92:93], v[92:93], v[82:83], v[96:97] op_sel:[0,0,1] op_sel_hi:[1,0,0]
	v_dual_mul_f32 v96, v95, v85 :: v_dual_mov_b32 v92, v95
	v_dual_mov_b32 v99, v93 :: v_dual_mov_b32 v93, v94
	s_delay_alu instid0(VALU_DEP_2) | instskip(SKIP_1) | instid1(VALU_DEP_3)
	v_pk_fma_f32 v[96:97], v[94:95], v[32:33], v[96:97] op_sel_hi:[1,1,0] neg_lo:[0,0,1] neg_hi:[0,0,1]
	v_mul_f32_e32 v94, v95, v82
	v_pk_add_f32 v[50:51], v[50:51], v[98:99] neg_lo:[0,1] neg_hi:[0,1]
	s_delay_alu instid0(VALU_DEP_2) | instskip(NEXT) | instid1(VALU_DEP_1)
	v_pk_fma_f32 v[92:93], v[92:93], v[32:33], v[94:95] op_sel_hi:[1,1,0]
	v_mov_b32_e32 v97, v93
	ds_load_2addr_b64 v[92:95], v86 offset0:19 offset1:20
	v_pk_add_f32 v[52:53], v[52:53], v[96:97] neg_lo:[0,1] neg_hi:[0,1]
	s_wait_dscnt 0x0
	v_pk_mul_f32 v[96:97], v[92:93], v[84:85] op_sel:[0,1]
	s_delay_alu instid0(VALU_DEP_1) | instskip(SKIP_1) | instid1(VALU_DEP_1)
	v_pk_fma_f32 v[98:99], v[92:93], v[82:83], v[96:97] op_sel:[0,0,1] op_sel_hi:[1,1,0] neg_lo:[0,0,1] neg_hi:[0,0,1]
	v_pk_fma_f32 v[92:93], v[92:93], v[82:83], v[96:97] op_sel:[0,0,1] op_sel_hi:[1,0,0]
	v_mov_b32_e32 v99, v93
	v_pk_mul_f32 v[92:93], v[94:95], v[84:85] op_sel:[0,1]
	s_delay_alu instid0(VALU_DEP_1) | instskip(SKIP_1) | instid1(VALU_DEP_1)
	v_pk_fma_f32 v[96:97], v[94:95], v[82:83], v[92:93] op_sel:[0,0,1] op_sel_hi:[1,1,0] neg_lo:[0,0,1] neg_hi:[0,0,1]
	v_pk_fma_f32 v[92:93], v[94:95], v[82:83], v[92:93] op_sel:[0,0,1] op_sel_hi:[1,0,0]
	v_mov_b32_e32 v97, v93
	ds_load_2addr_b64 v[92:95], v86 offset0:21 offset1:22
	v_pk_add_f32 v[48:49], v[48:49], v[98:99] neg_lo:[0,1] neg_hi:[0,1]
	v_pk_add_f32 v[68:69], v[68:69], v[96:97] neg_lo:[0,1] neg_hi:[0,1]
	s_wait_dscnt 0x0
	v_pk_mul_f32 v[96:97], v[92:93], v[84:85] op_sel:[0,1]
	s_delay_alu instid0(VALU_DEP_1) | instskip(SKIP_1) | instid1(VALU_DEP_1)
	v_pk_fma_f32 v[98:99], v[92:93], v[82:83], v[96:97] op_sel:[0,0,1] op_sel_hi:[1,1,0] neg_lo:[0,0,1] neg_hi:[0,0,1]
	v_pk_fma_f32 v[92:93], v[92:93], v[82:83], v[96:97] op_sel:[0,0,1] op_sel_hi:[1,0,0]
	v_mov_b32_e32 v99, v93
	v_pk_mul_f32 v[92:93], v[94:95], v[84:85] op_sel:[0,1]
	s_delay_alu instid0(VALU_DEP_1) | instskip(SKIP_1) | instid1(VALU_DEP_1)
	v_pk_fma_f32 v[96:97], v[94:95], v[82:83], v[92:93] op_sel:[0,0,1] op_sel_hi:[1,1,0] neg_lo:[0,0,1] neg_hi:[0,0,1]
	v_pk_fma_f32 v[92:93], v[94:95], v[82:83], v[92:93] op_sel:[0,0,1] op_sel_hi:[1,0,0]
	v_mov_b32_e32 v97, v93
	ds_load_2addr_b64 v[92:95], v86 offset0:23 offset1:24
	v_pk_add_f32 v[42:43], v[42:43], v[98:99] neg_lo:[0,1] neg_hi:[0,1]
	v_pk_add_f32 v[44:45], v[44:45], v[96:97] neg_lo:[0,1] neg_hi:[0,1]
	s_wait_dscnt 0x0
	v_dual_mul_f32 v96, v93, v85 :: v_dual_mul_f32 v98, v93, v82
	s_delay_alu instid0(VALU_DEP_1) | instskip(NEXT) | instid1(VALU_DEP_2)
	v_pk_fma_f32 v[96:97], v[92:93], v[32:33], v[96:97] op_sel_hi:[1,1,0] neg_lo:[0,0,1] neg_hi:[0,0,1]
	v_pk_fma_f32 v[92:93], v[92:93], v[32:33], v[98:99] op_sel:[1,0,0] op_sel_hi:[0,1,0]
	s_delay_alu instid0(VALU_DEP_1) | instskip(SKIP_1) | instid1(VALU_DEP_2)
	v_mov_b32_e32 v97, v93
	v_pk_mul_f32 v[92:93], v[94:95], v[84:85] op_sel:[0,1]
	v_pk_add_f32 v[40:41], v[40:41], v[96:97] neg_lo:[0,1] neg_hi:[0,1]
	s_delay_alu instid0(VALU_DEP_2) | instskip(SKIP_1) | instid1(VALU_DEP_1)
	v_pk_fma_f32 v[96:97], v[94:95], v[82:83], v[92:93] op_sel:[0,0,1] op_sel_hi:[1,1,0] neg_lo:[0,0,1] neg_hi:[0,0,1]
	v_pk_fma_f32 v[92:93], v[94:95], v[82:83], v[92:93] op_sel:[0,0,1] op_sel_hi:[1,0,0]
	v_mov_b32_e32 v97, v93
	ds_load_2addr_b64 v[92:95], v86 offset0:25 offset1:26
	v_pk_add_f32 v[66:67], v[66:67], v[96:97] neg_lo:[0,1] neg_hi:[0,1]
	s_wait_dscnt 0x0
	v_pk_mul_f32 v[96:97], v[92:93], v[84:85] op_sel:[0,1]
	s_delay_alu instid0(VALU_DEP_1) | instskip(SKIP_1) | instid1(VALU_DEP_1)
	v_pk_fma_f32 v[98:99], v[92:93], v[82:83], v[96:97] op_sel:[0,0,1] op_sel_hi:[1,1,0] neg_lo:[0,0,1] neg_hi:[0,0,1]
	v_pk_fma_f32 v[92:93], v[92:93], v[82:83], v[96:97] op_sel:[0,0,1] op_sel_hi:[1,0,0]
	v_mov_b32_e32 v99, v93
	v_pk_mul_f32 v[92:93], v[94:95], v[84:85] op_sel:[0,1]
	s_delay_alu instid0(VALU_DEP_2) | instskip(NEXT) | instid1(VALU_DEP_2)
	v_pk_add_f32 v[36:37], v[36:37], v[98:99] neg_lo:[0,1] neg_hi:[0,1]
	v_pk_fma_f32 v[96:97], v[94:95], v[82:83], v[92:93] op_sel:[0,0,1] op_sel_hi:[1,1,0] neg_lo:[0,0,1] neg_hi:[0,0,1]
	v_pk_fma_f32 v[92:93], v[94:95], v[82:83], v[92:93] op_sel:[0,0,1] op_sel_hi:[1,0,0]
	s_delay_alu instid0(VALU_DEP_1) | instskip(SKIP_4) | instid1(VALU_DEP_1)
	v_mov_b32_e32 v97, v93
	ds_load_2addr_b64 v[92:95], v86 offset0:27 offset1:28
	v_pk_add_f32 v[38:39], v[38:39], v[96:97] neg_lo:[0,1] neg_hi:[0,1]
	s_wait_dscnt 0x0
	v_pk_mul_f32 v[96:97], v[92:93], v[84:85] op_sel:[0,1]
	v_pk_fma_f32 v[98:99], v[92:93], v[82:83], v[96:97] op_sel:[0,0,1] op_sel_hi:[1,1,0] neg_lo:[0,0,1] neg_hi:[0,0,1]
	v_pk_fma_f32 v[92:93], v[92:93], v[82:83], v[96:97] op_sel:[0,0,1] op_sel_hi:[1,0,0]
	v_dual_mul_f32 v96, v95, v85 :: v_dual_mov_b32 v92, v95
	s_delay_alu instid0(VALU_DEP_2) | instskip(NEXT) | instid1(VALU_DEP_2)
	v_dual_mov_b32 v99, v93 :: v_dual_mov_b32 v93, v94
	v_pk_fma_f32 v[96:97], v[94:95], v[32:33], v[96:97] op_sel_hi:[1,1,0] neg_lo:[0,0,1] neg_hi:[0,0,1]
	v_mul_f32_e32 v94, v95, v82
	s_delay_alu instid0(VALU_DEP_3) | instskip(NEXT) | instid1(VALU_DEP_2)
	v_pk_add_f32 v[34:35], v[34:35], v[98:99] neg_lo:[0,1] neg_hi:[0,1]
	v_pk_fma_f32 v[92:93], v[92:93], v[32:33], v[94:95] op_sel_hi:[1,1,0]
	s_delay_alu instid0(VALU_DEP_1) | instskip(SKIP_4) | instid1(VALU_DEP_1)
	v_mov_b32_e32 v97, v93
	ds_load_2addr_b64 v[92:95], v86 offset0:29 offset1:30
	v_pk_add_f32 v[58:59], v[58:59], v[96:97] neg_lo:[0,1] neg_hi:[0,1]
	s_wait_dscnt 0x0
	v_pk_mul_f32 v[96:97], v[92:93], v[84:85] op_sel:[0,1]
	v_pk_fma_f32 v[98:99], v[92:93], v[82:83], v[96:97] op_sel:[0,0,1] op_sel_hi:[1,1,0] neg_lo:[0,0,1] neg_hi:[0,0,1]
	v_pk_fma_f32 v[92:93], v[92:93], v[82:83], v[96:97] op_sel:[0,0,1] op_sel_hi:[1,0,0]
	s_delay_alu instid0(VALU_DEP_1) | instskip(SKIP_1) | instid1(VALU_DEP_1)
	v_mov_b32_e32 v99, v93
	v_pk_mul_f32 v[92:93], v[94:95], v[84:85] op_sel:[0,1]
	v_pk_fma_f32 v[96:97], v[94:95], v[82:83], v[92:93] op_sel:[0,0,1] op_sel_hi:[1,1,0] neg_lo:[0,0,1] neg_hi:[0,0,1]
	v_pk_fma_f32 v[92:93], v[94:95], v[82:83], v[92:93] op_sel:[0,0,1] op_sel_hi:[1,0,0]
	s_delay_alu instid0(VALU_DEP_1)
	v_mov_b32_e32 v97, v93
	ds_load_2addr_b64 v[92:95], v86 offset0:31 offset1:32
	v_pk_add_f32 v[10:11], v[10:11], v[98:99] neg_lo:[0,1] neg_hi:[0,1]
	v_pk_add_f32 v[12:13], v[12:13], v[96:97] neg_lo:[0,1] neg_hi:[0,1]
	s_wait_dscnt 0x0
	v_pk_mul_f32 v[96:97], v[92:93], v[84:85] op_sel:[0,1]
	s_delay_alu instid0(VALU_DEP_1) | instskip(SKIP_1) | instid1(VALU_DEP_1)
	v_pk_fma_f32 v[98:99], v[92:93], v[82:83], v[96:97] op_sel:[0,0,1] op_sel_hi:[1,1,0] neg_lo:[0,0,1] neg_hi:[0,0,1]
	v_pk_fma_f32 v[92:93], v[92:93], v[82:83], v[96:97] op_sel:[0,0,1] op_sel_hi:[1,0,0]
	v_mov_b32_e32 v99, v93
	v_pk_mul_f32 v[92:93], v[94:95], v[84:85] op_sel:[0,1]
	s_delay_alu instid0(VALU_DEP_1) | instskip(SKIP_1) | instid1(VALU_DEP_1)
	v_pk_fma_f32 v[96:97], v[94:95], v[82:83], v[92:93] op_sel:[0,0,1] op_sel_hi:[1,1,0] neg_lo:[0,0,1] neg_hi:[0,0,1]
	v_pk_fma_f32 v[92:93], v[94:95], v[82:83], v[92:93] op_sel:[0,0,1] op_sel_hi:[1,0,0]
	v_mov_b32_e32 v97, v93
	ds_load_2addr_b64 v[92:95], v86 offset0:33 offset1:34
	v_pk_add_f32 v[8:9], v[8:9], v[98:99] neg_lo:[0,1] neg_hi:[0,1]
	v_pk_add_f32 v[56:57], v[56:57], v[96:97] neg_lo:[0,1] neg_hi:[0,1]
	s_wait_dscnt 0x0
	v_dual_mul_f32 v96, v93, v85 :: v_dual_mul_f32 v98, v93, v82
	s_delay_alu instid0(VALU_DEP_1) | instskip(NEXT) | instid1(VALU_DEP_2)
	v_pk_fma_f32 v[96:97], v[92:93], v[32:33], v[96:97] op_sel_hi:[1,1,0] neg_lo:[0,0,1] neg_hi:[0,0,1]
	v_pk_fma_f32 v[92:93], v[92:93], v[32:33], v[98:99] op_sel:[1,0,0] op_sel_hi:[0,1,0]
	s_delay_alu instid0(VALU_DEP_1) | instskip(SKIP_1) | instid1(VALU_DEP_2)
	v_mov_b32_e32 v97, v93
	v_pk_mul_f32 v[92:93], v[94:95], v[84:85] op_sel:[0,1]
	v_pk_add_f32 v[6:7], v[6:7], v[96:97] neg_lo:[0,1] neg_hi:[0,1]
	s_delay_alu instid0(VALU_DEP_2) | instskip(SKIP_1) | instid1(VALU_DEP_1)
	v_pk_fma_f32 v[96:97], v[94:95], v[82:83], v[92:93] op_sel:[0,0,1] op_sel_hi:[1,1,0] neg_lo:[0,0,1] neg_hi:[0,0,1]
	v_pk_fma_f32 v[92:93], v[94:95], v[82:83], v[92:93] op_sel:[0,0,1] op_sel_hi:[1,0,0]
	v_mov_b32_e32 v97, v93
	ds_load_2addr_b64 v[92:95], v86 offset0:35 offset1:36
	v_pk_add_f32 v[54:55], v[54:55], v[96:97] neg_lo:[0,1] neg_hi:[0,1]
	s_wait_dscnt 0x0
	v_pk_mul_f32 v[96:97], v[92:93], v[84:85] op_sel:[0,1]
	s_delay_alu instid0(VALU_DEP_1) | instskip(SKIP_1) | instid1(VALU_DEP_1)
	v_pk_fma_f32 v[98:99], v[92:93], v[82:83], v[96:97] op_sel:[0,0,1] op_sel_hi:[1,1,0] neg_lo:[0,0,1] neg_hi:[0,0,1]
	v_pk_fma_f32 v[92:93], v[92:93], v[82:83], v[96:97] op_sel:[0,0,1] op_sel_hi:[1,0,0]
	v_mov_b32_e32 v99, v93
	v_pk_mul_f32 v[92:93], v[94:95], v[84:85] op_sel:[0,1]
	s_delay_alu instid0(VALU_DEP_2) | instskip(NEXT) | instid1(VALU_DEP_2)
	v_pk_add_f32 v[46:47], v[46:47], v[98:99] neg_lo:[0,1] neg_hi:[0,1]
	v_pk_fma_f32 v[96:97], v[94:95], v[82:83], v[92:93] op_sel:[0,0,1] op_sel_hi:[1,1,0] neg_lo:[0,0,1] neg_hi:[0,0,1]
	v_pk_fma_f32 v[92:93], v[94:95], v[82:83], v[92:93] op_sel:[0,0,1] op_sel_hi:[1,0,0]
	s_delay_alu instid0(VALU_DEP_1) | instskip(SKIP_4) | instid1(VALU_DEP_1)
	v_mov_b32_e32 v97, v93
	ds_load_b64 v[92:93], v86 offset:296
	v_pk_add_f32 v[26:27], v[26:27], v[96:97] neg_lo:[0,1] neg_hi:[0,1]
	s_wait_dscnt 0x0
	v_pk_mul_f32 v[84:85], v[92:93], v[84:85] op_sel:[0,1]
	v_pk_fma_f32 v[94:95], v[92:93], v[82:83], v[84:85] op_sel:[0,0,1] op_sel_hi:[1,1,0] neg_lo:[0,0,1] neg_hi:[0,0,1]
	v_pk_fma_f32 v[82:83], v[92:93], v[82:83], v[84:85] op_sel:[0,0,1] op_sel_hi:[1,0,0]
	s_delay_alu instid0(VALU_DEP_1) | instskip(NEXT) | instid1(VALU_DEP_1)
	v_mov_b32_e32 v95, v83
	v_pk_add_f32 v[80:81], v[80:81], v[94:95] neg_lo:[0,1] neg_hi:[0,1]
.LBB74_314:
	s_or_b32 exec_lo, exec_lo, s0
	v_lshl_add_u32 v82, v90, 3, v86
	s_barrier_signal -1
	s_barrier_wait -1
	ds_store_b64 v82, v[28:29]
	s_wait_dscnt 0x0
	s_barrier_signal -1
	s_barrier_wait -1
	ds_load_b64 v[84:85], v86 offset:120
	v_mov_b32_e32 v82, 15
	s_cmp_lt_i32 s18, 17
	s_cbranch_scc1 .LBB74_317
; %bb.315:
	v_add3_u32 v83, v87, 0, 0x80
	v_mov_b32_e32 v82, 15
	s_mov_b32 s0, 16
.LBB74_316:                             ; =>This Inner Loop Header: Depth=1
	ds_load_b64 v[92:93], v83
	s_wait_dscnt 0x1
	v_cmp_gt_f32_e32 vcc_lo, 0, v84
	v_cndmask_b32_e64 v94, v84, -v84, vcc_lo
	v_cmp_gt_f32_e32 vcc_lo, 0, v85
	v_cndmask_b32_e64 v96, v85, -v85, vcc_lo
	s_wait_dscnt 0x0
	v_cmp_gt_f32_e32 vcc_lo, 0, v92
	v_cndmask_b32_e64 v95, v92, -v92, vcc_lo
	v_cmp_gt_f32_e32 vcc_lo, 0, v93
	v_cndmask_b32_e64 v97, v93, -v93, vcc_lo
	s_delay_alu instid0(VALU_DEP_1) | instskip(NEXT) | instid1(VALU_DEP_1)
	v_pk_add_f32 v[94:95], v[94:95], v[96:97]
	v_cmp_lt_f32_e32 vcc_lo, v94, v95
	v_dual_add_nc_u32 v83, 8, v83 :: v_dual_cndmask_b32 v85, v85, v93, vcc_lo
	v_cndmask_b32_e32 v84, v84, v92, vcc_lo
	v_cndmask_b32_e64 v82, v82, s0, vcc_lo
	s_add_co_i32 s0, s0, 1
	s_delay_alu instid0(SALU_CYCLE_1)
	s_cmp_lg_u32 s18, s0
	s_cbranch_scc1 .LBB74_316
.LBB74_317:
	s_wait_dscnt 0x0
	v_cmp_eq_f32_e32 vcc_lo, 0, v84
	v_cmp_eq_f32_e64 s0, 0, v85
	s_and_b32 s0, vcc_lo, s0
	s_delay_alu instid0(SALU_CYCLE_1) | instskip(NEXT) | instid1(SALU_CYCLE_1)
	s_and_saveexec_b32 s1, s0
	s_xor_b32 s0, exec_lo, s1
; %bb.318:
	v_cmp_ne_u32_e32 vcc_lo, 0, v88
	v_cndmask_b32_e32 v88, 16, v88, vcc_lo
; %bb.319:
	s_and_not1_saveexec_b32 s0, s0
	s_cbranch_execz .LBB74_325
; %bb.320:
	v_cmp_ngt_f32_e64 s1, |v84|, |v85|
	s_and_saveexec_b32 s12, s1
	s_delay_alu instid0(SALU_CYCLE_1)
	s_xor_b32 s1, exec_lo, s12
	s_cbranch_execz .LBB74_322
; %bb.321:
	v_div_scale_f32 v83, null, v85, v85, v84
	v_div_scale_f32 v93, vcc_lo, v84, v85, v84
	s_delay_alu instid0(VALU_DEP_2) | instskip(SKIP_1) | instid1(TRANS32_DEP_1)
	v_rcp_f32_e32 v91, v83
	v_nop
	v_fma_f32 v92, -v83, v91, 1.0
	s_delay_alu instid0(VALU_DEP_1) | instskip(NEXT) | instid1(VALU_DEP_1)
	v_fmac_f32_e32 v91, v92, v91
	v_mul_f32_e32 v92, v93, v91
	s_delay_alu instid0(VALU_DEP_1) | instskip(NEXT) | instid1(VALU_DEP_1)
	v_fma_f32 v94, -v83, v92, v93
	v_fmac_f32_e32 v92, v94, v91
	s_delay_alu instid0(VALU_DEP_1) | instskip(NEXT) | instid1(VALU_DEP_1)
	v_fma_f32 v83, -v83, v92, v93
	v_div_fmas_f32 v83, v83, v91, v92
	s_delay_alu instid0(VALU_DEP_1) | instskip(NEXT) | instid1(VALU_DEP_1)
	v_div_fixup_f32 v83, v83, v85, v84
	v_fmac_f32_e32 v85, v84, v83
	s_delay_alu instid0(VALU_DEP_1) | instskip(SKIP_1) | instid1(VALU_DEP_2)
	v_div_scale_f32 v84, null, v85, v85, 1.0
	v_div_scale_f32 v93, vcc_lo, 1.0, v85, 1.0
	v_rcp_f32_e32 v91, v84
	v_nop
	s_delay_alu instid0(TRANS32_DEP_1) | instskip(NEXT) | instid1(VALU_DEP_1)
	v_fma_f32 v92, -v84, v91, 1.0
	v_fmac_f32_e32 v91, v92, v91
	s_delay_alu instid0(VALU_DEP_1) | instskip(NEXT) | instid1(VALU_DEP_1)
	v_mul_f32_e32 v92, v93, v91
	v_fma_f32 v94, -v84, v92, v93
	s_delay_alu instid0(VALU_DEP_1) | instskip(NEXT) | instid1(VALU_DEP_1)
	v_fmac_f32_e32 v92, v94, v91
	v_fma_f32 v84, -v84, v92, v93
	s_delay_alu instid0(VALU_DEP_1) | instskip(NEXT) | instid1(VALU_DEP_1)
	v_div_fmas_f32 v84, v84, v91, v92
	v_div_fixup_f32 v85, v84, v85, 1.0
	s_delay_alu instid0(VALU_DEP_1)
	v_mul_f32_e32 v84, v83, v85
	v_xor_b32_e32 v85, 0x80000000, v85
.LBB74_322:
	s_and_not1_saveexec_b32 s1, s1
	s_cbranch_execz .LBB74_324
; %bb.323:
	s_delay_alu instid0(VALU_DEP_1) | instskip(SKIP_1) | instid1(VALU_DEP_2)
	v_div_scale_f32 v83, null, v84, v84, v85
	v_div_scale_f32 v93, vcc_lo, v85, v84, v85
	v_rcp_f32_e32 v91, v83
	v_nop
	s_delay_alu instid0(TRANS32_DEP_1) | instskip(NEXT) | instid1(VALU_DEP_1)
	v_fma_f32 v92, -v83, v91, 1.0
	v_fmac_f32_e32 v91, v92, v91
	s_delay_alu instid0(VALU_DEP_1) | instskip(NEXT) | instid1(VALU_DEP_1)
	v_mul_f32_e32 v92, v93, v91
	v_fma_f32 v94, -v83, v92, v93
	s_delay_alu instid0(VALU_DEP_1) | instskip(NEXT) | instid1(VALU_DEP_1)
	v_fmac_f32_e32 v92, v94, v91
	v_fma_f32 v83, -v83, v92, v93
	s_delay_alu instid0(VALU_DEP_1) | instskip(NEXT) | instid1(VALU_DEP_1)
	v_div_fmas_f32 v83, v83, v91, v92
	v_div_fixup_f32 v83, v83, v84, v85
	s_delay_alu instid0(VALU_DEP_1) | instskip(NEXT) | instid1(VALU_DEP_1)
	v_fmac_f32_e32 v84, v85, v83
	v_div_scale_f32 v85, null, v84, v84, 1.0
	s_delay_alu instid0(VALU_DEP_1) | instskip(SKIP_1) | instid1(TRANS32_DEP_1)
	v_rcp_f32_e32 v91, v85
	v_nop
	v_fma_f32 v92, -v85, v91, 1.0
	s_delay_alu instid0(VALU_DEP_1) | instskip(SKIP_1) | instid1(VALU_DEP_1)
	v_fmac_f32_e32 v91, v92, v91
	v_div_scale_f32 v92, vcc_lo, 1.0, v84, 1.0
	v_mul_f32_e32 v93, v92, v91
	s_delay_alu instid0(VALU_DEP_1) | instskip(NEXT) | instid1(VALU_DEP_1)
	v_fma_f32 v94, -v85, v93, v92
	v_fmac_f32_e32 v93, v94, v91
	s_delay_alu instid0(VALU_DEP_1) | instskip(NEXT) | instid1(VALU_DEP_1)
	v_fma_f32 v85, -v85, v93, v92
	v_div_fmas_f32 v85, v85, v91, v93
	s_delay_alu instid0(VALU_DEP_1) | instskip(NEXT) | instid1(VALU_DEP_1)
	v_div_fixup_f32 v84, v85, v84, 1.0
	v_mul_f32_e64 v85, v83, -v84
.LBB74_324:
	s_or_b32 exec_lo, exec_lo, s1
.LBB74_325:
	s_delay_alu instid0(SALU_CYCLE_1) | instskip(NEXT) | instid1(SALU_CYCLE_1)
	s_or_b32 exec_lo, exec_lo, s0
	s_mov_b32 s0, exec_lo
	v_cmpx_ne_u32_e64 v90, v82
	s_xor_b32 s0, exec_lo, s0
	s_cbranch_execz .LBB74_331
; %bb.326:
	s_mov_b32 s1, exec_lo
	v_cmpx_eq_u32_e32 15, v90
	s_cbranch_execz .LBB74_330
; %bb.327:
	v_cmp_ne_u32_e32 vcc_lo, 15, v82
	s_xor_b32 s12, s16, -1
	s_delay_alu instid0(SALU_CYCLE_1) | instskip(NEXT) | instid1(SALU_CYCLE_1)
	s_and_b32 s13, s12, vcc_lo
	s_and_saveexec_b32 s12, s13
	s_cbranch_execz .LBB74_329
; %bb.328:
	v_ashrrev_i32_e32 v83, 31, v82
	s_delay_alu instid0(VALU_DEP_1)
	v_lshl_add_u64 v[90:91], v[82:83], 2, v[4:5]
	s_clause 0x1
	global_load_b32 v83, v[90:91], off
	global_load_b32 v89, v[4:5], off offset:60
	s_wait_loadcnt 0x1
	global_store_b32 v[4:5], v83, off offset:60
	s_wait_loadcnt 0x0
	global_store_b32 v[90:91], v89, off
.LBB74_329:
	s_wait_xcnt 0x0
	s_or_b32 exec_lo, exec_lo, s12
	v_dual_mov_b32 v90, v82 :: v_dual_mov_b32 v89, v82
.LBB74_330:
	s_or_b32 exec_lo, exec_lo, s1
.LBB74_331:
	s_and_not1_saveexec_b32 s0, s0
	s_cbranch_execz .LBB74_333
; %bb.332:
	v_dual_mov_b32 v82, v70 :: v_dual_mov_b32 v83, v71
	v_dual_mov_b32 v90, v50 :: v_dual_mov_b32 v91, v51
	;; [unrolled: 1-line block ×12, first 2 shown]
	ds_store_2addr_b64 v86, v[82:83], v[90:91] offset0:16 offset1:17
	ds_store_2addr_b64 v86, v[92:93], v[94:95] offset0:18 offset1:19
	;; [unrolled: 1-line block ×6, first 2 shown]
	v_dual_mov_b32 v82, v58 :: v_dual_mov_b32 v83, v59
	v_dual_mov_b32 v92, v10 :: v_dual_mov_b32 v93, v11
	;; [unrolled: 1-line block ×9, first 2 shown]
	v_mov_b32_e32 v107, v27
	ds_store_2addr_b64 v86, v[82:83], v[92:93] offset0:28 offset1:29
	ds_store_2addr_b64 v86, v[94:95], v[96:97] offset0:30 offset1:31
	;; [unrolled: 1-line block ×5, first 2 shown]
.LBB74_333:
	s_or_b32 exec_lo, exec_lo, s0
	s_delay_alu instid0(SALU_CYCLE_1)
	s_mov_b32 s0, exec_lo
	s_wait_storecnt_dscnt 0x0
	s_barrier_signal -1
	s_barrier_wait -1
	v_cmpx_lt_i32_e32 15, v90
	s_cbranch_execz .LBB74_335
; %bb.334:
	v_pk_mul_f32 v[92:93], v[84:85], v[28:29] op_sel:[1,1] op_sel_hi:[0,1]
	s_delay_alu instid0(VALU_DEP_1)
	v_pk_fma_f32 v[82:83], v[84:85], v[28:29], v[92:93] op_sel_hi:[1,0,1] neg_lo:[0,0,1] neg_hi:[0,0,1]
	v_pk_fma_f32 v[84:85], v[84:85], v[28:29], v[92:93] op_sel_hi:[1,0,1]
	ds_load_2addr_b64 v[92:95], v86 offset0:16 offset1:17
	v_dual_mov_b32 v28, v82 :: v_dual_mov_b32 v29, v85
	s_wait_dscnt 0x0
	v_pk_mul_f32 v[96:97], v[92:93], v[84:85] op_sel:[0,1]
	s_delay_alu instid0(VALU_DEP_1) | instskip(SKIP_1) | instid1(VALU_DEP_1)
	v_pk_fma_f32 v[98:99], v[92:93], v[82:83], v[96:97] op_sel:[0,0,1] op_sel_hi:[1,1,0] neg_lo:[0,0,1] neg_hi:[0,0,1]
	v_pk_fma_f32 v[92:93], v[92:93], v[82:83], v[96:97] op_sel:[0,0,1] op_sel_hi:[1,0,0]
	v_mov_b32_e32 v99, v93
	v_pk_mul_f32 v[92:93], v[94:95], v[84:85] op_sel:[0,1]
	s_delay_alu instid0(VALU_DEP_1) | instskip(SKIP_1) | instid1(VALU_DEP_1)
	v_pk_fma_f32 v[96:97], v[94:95], v[82:83], v[92:93] op_sel:[0,0,1] op_sel_hi:[1,1,0] neg_lo:[0,0,1] neg_hi:[0,0,1]
	v_pk_fma_f32 v[92:93], v[94:95], v[82:83], v[92:93] op_sel:[0,0,1] op_sel_hi:[1,0,0]
	v_mov_b32_e32 v97, v93
	ds_load_2addr_b64 v[92:95], v86 offset0:18 offset1:19
	v_pk_add_f32 v[70:71], v[70:71], v[98:99] neg_lo:[0,1] neg_hi:[0,1]
	v_pk_add_f32 v[50:51], v[50:51], v[96:97] neg_lo:[0,1] neg_hi:[0,1]
	s_wait_dscnt 0x0
	v_pk_mul_f32 v[96:97], v[92:93], v[84:85] op_sel:[0,1]
	s_delay_alu instid0(VALU_DEP_1) | instskip(SKIP_2) | instid1(VALU_DEP_2)
	v_pk_fma_f32 v[98:99], v[92:93], v[82:83], v[96:97] op_sel:[0,0,1] op_sel_hi:[1,1,0] neg_lo:[0,0,1] neg_hi:[0,0,1]
	v_pk_fma_f32 v[92:93], v[92:93], v[82:83], v[96:97] op_sel:[0,0,1] op_sel_hi:[1,0,0]
	v_dual_mul_f32 v96, v95, v85 :: v_dual_mov_b32 v92, v95
	v_dual_mov_b32 v99, v93 :: v_dual_mov_b32 v93, v94
	s_delay_alu instid0(VALU_DEP_2) | instskip(SKIP_1) | instid1(VALU_DEP_3)
	v_pk_fma_f32 v[96:97], v[94:95], v[28:29], v[96:97] op_sel_hi:[1,1,0] neg_lo:[0,0,1] neg_hi:[0,0,1]
	v_mul_f32_e32 v94, v95, v82
	v_pk_add_f32 v[52:53], v[52:53], v[98:99] neg_lo:[0,1] neg_hi:[0,1]
	s_delay_alu instid0(VALU_DEP_2) | instskip(NEXT) | instid1(VALU_DEP_1)
	v_pk_fma_f32 v[92:93], v[92:93], v[28:29], v[94:95] op_sel_hi:[1,1,0]
	v_mov_b32_e32 v97, v93
	ds_load_2addr_b64 v[92:95], v86 offset0:20 offset1:21
	v_pk_add_f32 v[48:49], v[48:49], v[96:97] neg_lo:[0,1] neg_hi:[0,1]
	s_wait_dscnt 0x0
	v_pk_mul_f32 v[96:97], v[92:93], v[84:85] op_sel:[0,1]
	s_delay_alu instid0(VALU_DEP_1) | instskip(SKIP_1) | instid1(VALU_DEP_1)
	v_pk_fma_f32 v[98:99], v[92:93], v[82:83], v[96:97] op_sel:[0,0,1] op_sel_hi:[1,1,0] neg_lo:[0,0,1] neg_hi:[0,0,1]
	v_pk_fma_f32 v[92:93], v[92:93], v[82:83], v[96:97] op_sel:[0,0,1] op_sel_hi:[1,0,0]
	v_mov_b32_e32 v99, v93
	v_pk_mul_f32 v[92:93], v[94:95], v[84:85] op_sel:[0,1]
	s_delay_alu instid0(VALU_DEP_1) | instskip(SKIP_1) | instid1(VALU_DEP_1)
	v_pk_fma_f32 v[96:97], v[94:95], v[82:83], v[92:93] op_sel:[0,0,1] op_sel_hi:[1,1,0] neg_lo:[0,0,1] neg_hi:[0,0,1]
	v_pk_fma_f32 v[92:93], v[94:95], v[82:83], v[92:93] op_sel:[0,0,1] op_sel_hi:[1,0,0]
	v_mov_b32_e32 v97, v93
	ds_load_2addr_b64 v[92:95], v86 offset0:22 offset1:23
	v_pk_add_f32 v[68:69], v[68:69], v[98:99] neg_lo:[0,1] neg_hi:[0,1]
	v_pk_add_f32 v[42:43], v[42:43], v[96:97] neg_lo:[0,1] neg_hi:[0,1]
	s_wait_dscnt 0x0
	v_pk_mul_f32 v[96:97], v[92:93], v[84:85] op_sel:[0,1]
	s_delay_alu instid0(VALU_DEP_1) | instskip(SKIP_1) | instid1(VALU_DEP_1)
	v_pk_fma_f32 v[98:99], v[92:93], v[82:83], v[96:97] op_sel:[0,0,1] op_sel_hi:[1,1,0] neg_lo:[0,0,1] neg_hi:[0,0,1]
	v_pk_fma_f32 v[92:93], v[92:93], v[82:83], v[96:97] op_sel:[0,0,1] op_sel_hi:[1,0,0]
	v_mov_b32_e32 v99, v93
	v_pk_mul_f32 v[92:93], v[94:95], v[84:85] op_sel:[0,1]
	s_delay_alu instid0(VALU_DEP_1) | instskip(SKIP_1) | instid1(VALU_DEP_1)
	v_pk_fma_f32 v[96:97], v[94:95], v[82:83], v[92:93] op_sel:[0,0,1] op_sel_hi:[1,1,0] neg_lo:[0,0,1] neg_hi:[0,0,1]
	v_pk_fma_f32 v[92:93], v[94:95], v[82:83], v[92:93] op_sel:[0,0,1] op_sel_hi:[1,0,0]
	v_mov_b32_e32 v97, v93
	ds_load_2addr_b64 v[92:95], v86 offset0:24 offset1:25
	v_pk_add_f32 v[44:45], v[44:45], v[98:99] neg_lo:[0,1] neg_hi:[0,1]
	v_pk_add_f32 v[40:41], v[40:41], v[96:97] neg_lo:[0,1] neg_hi:[0,1]
	s_wait_dscnt 0x0
	v_dual_mul_f32 v96, v93, v85 :: v_dual_mul_f32 v98, v93, v82
	s_delay_alu instid0(VALU_DEP_1) | instskip(NEXT) | instid1(VALU_DEP_2)
	v_pk_fma_f32 v[96:97], v[92:93], v[28:29], v[96:97] op_sel_hi:[1,1,0] neg_lo:[0,0,1] neg_hi:[0,0,1]
	v_pk_fma_f32 v[92:93], v[92:93], v[28:29], v[98:99] op_sel:[1,0,0] op_sel_hi:[0,1,0]
	s_delay_alu instid0(VALU_DEP_1) | instskip(SKIP_1) | instid1(VALU_DEP_2)
	v_mov_b32_e32 v97, v93
	v_pk_mul_f32 v[92:93], v[94:95], v[84:85] op_sel:[0,1]
	v_pk_add_f32 v[66:67], v[66:67], v[96:97] neg_lo:[0,1] neg_hi:[0,1]
	s_delay_alu instid0(VALU_DEP_2) | instskip(SKIP_1) | instid1(VALU_DEP_1)
	v_pk_fma_f32 v[96:97], v[94:95], v[82:83], v[92:93] op_sel:[0,0,1] op_sel_hi:[1,1,0] neg_lo:[0,0,1] neg_hi:[0,0,1]
	v_pk_fma_f32 v[92:93], v[94:95], v[82:83], v[92:93] op_sel:[0,0,1] op_sel_hi:[1,0,0]
	v_mov_b32_e32 v97, v93
	ds_load_2addr_b64 v[92:95], v86 offset0:26 offset1:27
	v_pk_add_f32 v[36:37], v[36:37], v[96:97] neg_lo:[0,1] neg_hi:[0,1]
	s_wait_dscnt 0x0
	v_pk_mul_f32 v[96:97], v[92:93], v[84:85] op_sel:[0,1]
	s_delay_alu instid0(VALU_DEP_1) | instskip(SKIP_1) | instid1(VALU_DEP_1)
	v_pk_fma_f32 v[98:99], v[92:93], v[82:83], v[96:97] op_sel:[0,0,1] op_sel_hi:[1,1,0] neg_lo:[0,0,1] neg_hi:[0,0,1]
	v_pk_fma_f32 v[92:93], v[92:93], v[82:83], v[96:97] op_sel:[0,0,1] op_sel_hi:[1,0,0]
	v_mov_b32_e32 v99, v93
	v_pk_mul_f32 v[92:93], v[94:95], v[84:85] op_sel:[0,1]
	s_delay_alu instid0(VALU_DEP_2) | instskip(NEXT) | instid1(VALU_DEP_2)
	v_pk_add_f32 v[38:39], v[38:39], v[98:99] neg_lo:[0,1] neg_hi:[0,1]
	v_pk_fma_f32 v[96:97], v[94:95], v[82:83], v[92:93] op_sel:[0,0,1] op_sel_hi:[1,1,0] neg_lo:[0,0,1] neg_hi:[0,0,1]
	v_pk_fma_f32 v[92:93], v[94:95], v[82:83], v[92:93] op_sel:[0,0,1] op_sel_hi:[1,0,0]
	s_delay_alu instid0(VALU_DEP_1) | instskip(SKIP_4) | instid1(VALU_DEP_1)
	v_mov_b32_e32 v97, v93
	ds_load_2addr_b64 v[92:95], v86 offset0:28 offset1:29
	v_pk_add_f32 v[34:35], v[34:35], v[96:97] neg_lo:[0,1] neg_hi:[0,1]
	s_wait_dscnt 0x0
	v_pk_mul_f32 v[96:97], v[92:93], v[84:85] op_sel:[0,1]
	v_pk_fma_f32 v[98:99], v[92:93], v[82:83], v[96:97] op_sel:[0,0,1] op_sel_hi:[1,1,0] neg_lo:[0,0,1] neg_hi:[0,0,1]
	v_pk_fma_f32 v[92:93], v[92:93], v[82:83], v[96:97] op_sel:[0,0,1] op_sel_hi:[1,0,0]
	v_dual_mul_f32 v96, v95, v85 :: v_dual_mov_b32 v92, v95
	s_delay_alu instid0(VALU_DEP_2) | instskip(NEXT) | instid1(VALU_DEP_2)
	v_dual_mov_b32 v99, v93 :: v_dual_mov_b32 v93, v94
	v_pk_fma_f32 v[96:97], v[94:95], v[28:29], v[96:97] op_sel_hi:[1,1,0] neg_lo:[0,0,1] neg_hi:[0,0,1]
	v_mul_f32_e32 v94, v95, v82
	s_delay_alu instid0(VALU_DEP_3) | instskip(NEXT) | instid1(VALU_DEP_2)
	v_pk_add_f32 v[58:59], v[58:59], v[98:99] neg_lo:[0,1] neg_hi:[0,1]
	v_pk_fma_f32 v[92:93], v[92:93], v[28:29], v[94:95] op_sel_hi:[1,1,0]
	s_delay_alu instid0(VALU_DEP_1) | instskip(SKIP_4) | instid1(VALU_DEP_1)
	v_mov_b32_e32 v97, v93
	ds_load_2addr_b64 v[92:95], v86 offset0:30 offset1:31
	v_pk_add_f32 v[10:11], v[10:11], v[96:97] neg_lo:[0,1] neg_hi:[0,1]
	s_wait_dscnt 0x0
	v_pk_mul_f32 v[96:97], v[92:93], v[84:85] op_sel:[0,1]
	v_pk_fma_f32 v[98:99], v[92:93], v[82:83], v[96:97] op_sel:[0,0,1] op_sel_hi:[1,1,0] neg_lo:[0,0,1] neg_hi:[0,0,1]
	v_pk_fma_f32 v[92:93], v[92:93], v[82:83], v[96:97] op_sel:[0,0,1] op_sel_hi:[1,0,0]
	s_delay_alu instid0(VALU_DEP_1) | instskip(SKIP_1) | instid1(VALU_DEP_1)
	v_mov_b32_e32 v99, v93
	v_pk_mul_f32 v[92:93], v[94:95], v[84:85] op_sel:[0,1]
	v_pk_fma_f32 v[96:97], v[94:95], v[82:83], v[92:93] op_sel:[0,0,1] op_sel_hi:[1,1,0] neg_lo:[0,0,1] neg_hi:[0,0,1]
	v_pk_fma_f32 v[92:93], v[94:95], v[82:83], v[92:93] op_sel:[0,0,1] op_sel_hi:[1,0,0]
	s_delay_alu instid0(VALU_DEP_1)
	v_mov_b32_e32 v97, v93
	ds_load_2addr_b64 v[92:95], v86 offset0:32 offset1:33
	v_pk_add_f32 v[12:13], v[12:13], v[98:99] neg_lo:[0,1] neg_hi:[0,1]
	v_pk_add_f32 v[8:9], v[8:9], v[96:97] neg_lo:[0,1] neg_hi:[0,1]
	s_wait_dscnt 0x0
	v_pk_mul_f32 v[96:97], v[92:93], v[84:85] op_sel:[0,1]
	s_delay_alu instid0(VALU_DEP_1) | instskip(SKIP_1) | instid1(VALU_DEP_1)
	v_pk_fma_f32 v[98:99], v[92:93], v[82:83], v[96:97] op_sel:[0,0,1] op_sel_hi:[1,1,0] neg_lo:[0,0,1] neg_hi:[0,0,1]
	v_pk_fma_f32 v[92:93], v[92:93], v[82:83], v[96:97] op_sel:[0,0,1] op_sel_hi:[1,0,0]
	v_mov_b32_e32 v99, v93
	v_pk_mul_f32 v[92:93], v[94:95], v[84:85] op_sel:[0,1]
	s_delay_alu instid0(VALU_DEP_1) | instskip(SKIP_1) | instid1(VALU_DEP_1)
	v_pk_fma_f32 v[96:97], v[94:95], v[82:83], v[92:93] op_sel:[0,0,1] op_sel_hi:[1,1,0] neg_lo:[0,0,1] neg_hi:[0,0,1]
	v_pk_fma_f32 v[92:93], v[94:95], v[82:83], v[92:93] op_sel:[0,0,1] op_sel_hi:[1,0,0]
	v_mov_b32_e32 v97, v93
	ds_load_2addr_b64 v[92:95], v86 offset0:34 offset1:35
	v_pk_add_f32 v[56:57], v[56:57], v[98:99] neg_lo:[0,1] neg_hi:[0,1]
	v_pk_add_f32 v[6:7], v[6:7], v[96:97] neg_lo:[0,1] neg_hi:[0,1]
	s_wait_dscnt 0x0
	v_dual_mul_f32 v96, v93, v85 :: v_dual_mul_f32 v98, v93, v82
	s_delay_alu instid0(VALU_DEP_1) | instskip(NEXT) | instid1(VALU_DEP_2)
	v_pk_fma_f32 v[96:97], v[92:93], v[28:29], v[96:97] op_sel_hi:[1,1,0] neg_lo:[0,0,1] neg_hi:[0,0,1]
	v_pk_fma_f32 v[92:93], v[92:93], v[28:29], v[98:99] op_sel:[1,0,0] op_sel_hi:[0,1,0]
	s_delay_alu instid0(VALU_DEP_1) | instskip(SKIP_1) | instid1(VALU_DEP_2)
	v_mov_b32_e32 v97, v93
	v_pk_mul_f32 v[92:93], v[94:95], v[84:85] op_sel:[0,1]
	v_pk_add_f32 v[54:55], v[54:55], v[96:97] neg_lo:[0,1] neg_hi:[0,1]
	s_delay_alu instid0(VALU_DEP_2) | instskip(SKIP_1) | instid1(VALU_DEP_1)
	v_pk_fma_f32 v[96:97], v[94:95], v[82:83], v[92:93] op_sel:[0,0,1] op_sel_hi:[1,1,0] neg_lo:[0,0,1] neg_hi:[0,0,1]
	v_pk_fma_f32 v[92:93], v[94:95], v[82:83], v[92:93] op_sel:[0,0,1] op_sel_hi:[1,0,0]
	v_mov_b32_e32 v97, v93
	ds_load_2addr_b64 v[92:95], v86 offset0:36 offset1:37
	v_pk_add_f32 v[46:47], v[46:47], v[96:97] neg_lo:[0,1] neg_hi:[0,1]
	s_wait_dscnt 0x0
	v_pk_mul_f32 v[96:97], v[92:93], v[84:85] op_sel:[0,1]
	v_pk_mul_f32 v[84:85], v[94:95], v[84:85] op_sel:[0,1]
	s_delay_alu instid0(VALU_DEP_2) | instskip(SKIP_1) | instid1(VALU_DEP_1)
	v_pk_fma_f32 v[98:99], v[92:93], v[82:83], v[96:97] op_sel:[0,0,1] op_sel_hi:[1,1,0] neg_lo:[0,0,1] neg_hi:[0,0,1]
	v_pk_fma_f32 v[92:93], v[92:93], v[82:83], v[96:97] op_sel:[0,0,1] op_sel_hi:[1,0,0]
	v_mov_b32_e32 v99, v93
	s_delay_alu instid0(VALU_DEP_4) | instskip(SKIP_1) | instid1(VALU_DEP_3)
	v_pk_fma_f32 v[92:93], v[94:95], v[82:83], v[84:85] op_sel:[0,0,1] op_sel_hi:[1,1,0] neg_lo:[0,0,1] neg_hi:[0,0,1]
	v_pk_fma_f32 v[82:83], v[94:95], v[82:83], v[84:85] op_sel:[0,0,1] op_sel_hi:[1,0,0]
	v_pk_add_f32 v[26:27], v[26:27], v[98:99] neg_lo:[0,1] neg_hi:[0,1]
	s_delay_alu instid0(VALU_DEP_2) | instskip(NEXT) | instid1(VALU_DEP_1)
	v_mov_b32_e32 v93, v83
	v_pk_add_f32 v[80:81], v[80:81], v[92:93] neg_lo:[0,1] neg_hi:[0,1]
.LBB74_335:
	s_or_b32 exec_lo, exec_lo, s0
	v_lshl_add_u32 v82, v90, 3, v86
	s_barrier_signal -1
	s_barrier_wait -1
	ds_store_b64 v82, v[70:71]
	s_wait_dscnt 0x0
	s_barrier_signal -1
	s_barrier_wait -1
	ds_load_b64 v[84:85], v86 offset:128
	v_mov_b32_e32 v82, 16
	s_cmp_lt_i32 s18, 18
	s_cbranch_scc1 .LBB74_338
; %bb.336:
	v_add3_u32 v83, v87, 0, 0x88
	v_mov_b32_e32 v82, 16
	s_mov_b32 s0, 17
.LBB74_337:                             ; =>This Inner Loop Header: Depth=1
	ds_load_b64 v[92:93], v83
	s_wait_dscnt 0x1
	v_cmp_gt_f32_e32 vcc_lo, 0, v84
	v_cndmask_b32_e64 v94, v84, -v84, vcc_lo
	v_cmp_gt_f32_e32 vcc_lo, 0, v85
	v_cndmask_b32_e64 v96, v85, -v85, vcc_lo
	s_wait_dscnt 0x0
	v_cmp_gt_f32_e32 vcc_lo, 0, v92
	v_cndmask_b32_e64 v95, v92, -v92, vcc_lo
	v_cmp_gt_f32_e32 vcc_lo, 0, v93
	v_cndmask_b32_e64 v97, v93, -v93, vcc_lo
	s_delay_alu instid0(VALU_DEP_1) | instskip(NEXT) | instid1(VALU_DEP_1)
	v_pk_add_f32 v[94:95], v[94:95], v[96:97]
	v_cmp_lt_f32_e32 vcc_lo, v94, v95
	v_dual_add_nc_u32 v83, 8, v83 :: v_dual_cndmask_b32 v85, v85, v93, vcc_lo
	v_cndmask_b32_e32 v84, v84, v92, vcc_lo
	v_cndmask_b32_e64 v82, v82, s0, vcc_lo
	s_add_co_i32 s0, s0, 1
	s_delay_alu instid0(SALU_CYCLE_1)
	s_cmp_lg_u32 s18, s0
	s_cbranch_scc1 .LBB74_337
.LBB74_338:
	s_wait_dscnt 0x0
	v_cmp_eq_f32_e32 vcc_lo, 0, v84
	v_cmp_eq_f32_e64 s0, 0, v85
	s_and_b32 s0, vcc_lo, s0
	s_delay_alu instid0(SALU_CYCLE_1) | instskip(NEXT) | instid1(SALU_CYCLE_1)
	s_and_saveexec_b32 s1, s0
	s_xor_b32 s0, exec_lo, s1
; %bb.339:
	v_cmp_ne_u32_e32 vcc_lo, 0, v88
	v_cndmask_b32_e32 v88, 17, v88, vcc_lo
; %bb.340:
	s_and_not1_saveexec_b32 s0, s0
	s_cbranch_execz .LBB74_346
; %bb.341:
	v_cmp_ngt_f32_e64 s1, |v84|, |v85|
	s_and_saveexec_b32 s12, s1
	s_delay_alu instid0(SALU_CYCLE_1)
	s_xor_b32 s1, exec_lo, s12
	s_cbranch_execz .LBB74_343
; %bb.342:
	v_div_scale_f32 v83, null, v85, v85, v84
	v_div_scale_f32 v93, vcc_lo, v84, v85, v84
	s_delay_alu instid0(VALU_DEP_2) | instskip(SKIP_1) | instid1(TRANS32_DEP_1)
	v_rcp_f32_e32 v91, v83
	v_nop
	v_fma_f32 v92, -v83, v91, 1.0
	s_delay_alu instid0(VALU_DEP_1) | instskip(NEXT) | instid1(VALU_DEP_1)
	v_fmac_f32_e32 v91, v92, v91
	v_mul_f32_e32 v92, v93, v91
	s_delay_alu instid0(VALU_DEP_1) | instskip(NEXT) | instid1(VALU_DEP_1)
	v_fma_f32 v94, -v83, v92, v93
	v_fmac_f32_e32 v92, v94, v91
	s_delay_alu instid0(VALU_DEP_1) | instskip(NEXT) | instid1(VALU_DEP_1)
	v_fma_f32 v83, -v83, v92, v93
	v_div_fmas_f32 v83, v83, v91, v92
	s_delay_alu instid0(VALU_DEP_1) | instskip(NEXT) | instid1(VALU_DEP_1)
	v_div_fixup_f32 v83, v83, v85, v84
	v_fmac_f32_e32 v85, v84, v83
	s_delay_alu instid0(VALU_DEP_1) | instskip(SKIP_1) | instid1(VALU_DEP_2)
	v_div_scale_f32 v84, null, v85, v85, 1.0
	v_div_scale_f32 v93, vcc_lo, 1.0, v85, 1.0
	v_rcp_f32_e32 v91, v84
	v_nop
	s_delay_alu instid0(TRANS32_DEP_1) | instskip(NEXT) | instid1(VALU_DEP_1)
	v_fma_f32 v92, -v84, v91, 1.0
	v_fmac_f32_e32 v91, v92, v91
	s_delay_alu instid0(VALU_DEP_1) | instskip(NEXT) | instid1(VALU_DEP_1)
	v_mul_f32_e32 v92, v93, v91
	v_fma_f32 v94, -v84, v92, v93
	s_delay_alu instid0(VALU_DEP_1) | instskip(NEXT) | instid1(VALU_DEP_1)
	v_fmac_f32_e32 v92, v94, v91
	v_fma_f32 v84, -v84, v92, v93
	s_delay_alu instid0(VALU_DEP_1) | instskip(NEXT) | instid1(VALU_DEP_1)
	v_div_fmas_f32 v84, v84, v91, v92
	v_div_fixup_f32 v85, v84, v85, 1.0
	s_delay_alu instid0(VALU_DEP_1)
	v_mul_f32_e32 v84, v83, v85
	v_xor_b32_e32 v85, 0x80000000, v85
.LBB74_343:
	s_and_not1_saveexec_b32 s1, s1
	s_cbranch_execz .LBB74_345
; %bb.344:
	s_delay_alu instid0(VALU_DEP_1) | instskip(SKIP_1) | instid1(VALU_DEP_2)
	v_div_scale_f32 v83, null, v84, v84, v85
	v_div_scale_f32 v93, vcc_lo, v85, v84, v85
	v_rcp_f32_e32 v91, v83
	v_nop
	s_delay_alu instid0(TRANS32_DEP_1) | instskip(NEXT) | instid1(VALU_DEP_1)
	v_fma_f32 v92, -v83, v91, 1.0
	v_fmac_f32_e32 v91, v92, v91
	s_delay_alu instid0(VALU_DEP_1) | instskip(NEXT) | instid1(VALU_DEP_1)
	v_mul_f32_e32 v92, v93, v91
	v_fma_f32 v94, -v83, v92, v93
	s_delay_alu instid0(VALU_DEP_1) | instskip(NEXT) | instid1(VALU_DEP_1)
	v_fmac_f32_e32 v92, v94, v91
	v_fma_f32 v83, -v83, v92, v93
	s_delay_alu instid0(VALU_DEP_1) | instskip(NEXT) | instid1(VALU_DEP_1)
	v_div_fmas_f32 v83, v83, v91, v92
	v_div_fixup_f32 v83, v83, v84, v85
	s_delay_alu instid0(VALU_DEP_1) | instskip(NEXT) | instid1(VALU_DEP_1)
	v_fmac_f32_e32 v84, v85, v83
	v_div_scale_f32 v85, null, v84, v84, 1.0
	s_delay_alu instid0(VALU_DEP_1) | instskip(SKIP_1) | instid1(TRANS32_DEP_1)
	v_rcp_f32_e32 v91, v85
	v_nop
	v_fma_f32 v92, -v85, v91, 1.0
	s_delay_alu instid0(VALU_DEP_1) | instskip(SKIP_1) | instid1(VALU_DEP_1)
	v_fmac_f32_e32 v91, v92, v91
	v_div_scale_f32 v92, vcc_lo, 1.0, v84, 1.0
	v_mul_f32_e32 v93, v92, v91
	s_delay_alu instid0(VALU_DEP_1) | instskip(NEXT) | instid1(VALU_DEP_1)
	v_fma_f32 v94, -v85, v93, v92
	v_fmac_f32_e32 v93, v94, v91
	s_delay_alu instid0(VALU_DEP_1) | instskip(NEXT) | instid1(VALU_DEP_1)
	v_fma_f32 v85, -v85, v93, v92
	v_div_fmas_f32 v85, v85, v91, v93
	s_delay_alu instid0(VALU_DEP_1) | instskip(NEXT) | instid1(VALU_DEP_1)
	v_div_fixup_f32 v84, v85, v84, 1.0
	v_mul_f32_e64 v85, v83, -v84
.LBB74_345:
	s_or_b32 exec_lo, exec_lo, s1
.LBB74_346:
	s_delay_alu instid0(SALU_CYCLE_1) | instskip(NEXT) | instid1(SALU_CYCLE_1)
	s_or_b32 exec_lo, exec_lo, s0
	s_mov_b32 s0, exec_lo
	v_cmpx_ne_u32_e64 v90, v82
	s_xor_b32 s0, exec_lo, s0
	s_cbranch_execz .LBB74_352
; %bb.347:
	s_mov_b32 s1, exec_lo
	v_cmpx_eq_u32_e32 16, v90
	s_cbranch_execz .LBB74_351
; %bb.348:
	v_cmp_ne_u32_e32 vcc_lo, 16, v82
	s_xor_b32 s12, s16, -1
	s_delay_alu instid0(SALU_CYCLE_1) | instskip(NEXT) | instid1(SALU_CYCLE_1)
	s_and_b32 s13, s12, vcc_lo
	s_and_saveexec_b32 s12, s13
	s_cbranch_execz .LBB74_350
; %bb.349:
	v_ashrrev_i32_e32 v83, 31, v82
	s_delay_alu instid0(VALU_DEP_1)
	v_lshl_add_u64 v[90:91], v[82:83], 2, v[4:5]
	s_clause 0x1
	global_load_b32 v83, v[90:91], off
	global_load_b32 v89, v[4:5], off offset:64
	s_wait_loadcnt 0x1
	global_store_b32 v[4:5], v83, off offset:64
	s_wait_loadcnt 0x0
	global_store_b32 v[90:91], v89, off
.LBB74_350:
	s_wait_xcnt 0x0
	s_or_b32 exec_lo, exec_lo, s12
	v_dual_mov_b32 v90, v82 :: v_dual_mov_b32 v89, v82
.LBB74_351:
	s_or_b32 exec_lo, exec_lo, s1
.LBB74_352:
	s_and_not1_saveexec_b32 s0, s0
	s_cbranch_execz .LBB74_354
; %bb.353:
	v_mov_b32_e32 v90, 16
	ds_store_2addr_b64 v86, v[50:51], v[52:53] offset0:17 offset1:18
	ds_store_2addr_b64 v86, v[48:49], v[68:69] offset0:19 offset1:20
	;; [unrolled: 1-line block ×10, first 2 shown]
	ds_store_b64 v86, v[80:81] offset:296
.LBB74_354:
	s_or_b32 exec_lo, exec_lo, s0
	s_delay_alu instid0(SALU_CYCLE_1)
	s_mov_b32 s0, exec_lo
	s_wait_storecnt_dscnt 0x0
	s_barrier_signal -1
	s_barrier_wait -1
	v_cmpx_lt_i32_e32 16, v90
	s_cbranch_execz .LBB74_356
; %bb.355:
	v_pk_mul_f32 v[92:93], v[84:85], v[70:71] op_sel:[1,1] op_sel_hi:[0,1]
	s_delay_alu instid0(VALU_DEP_1)
	v_pk_fma_f32 v[82:83], v[84:85], v[70:71], v[92:93] op_sel_hi:[1,0,1] neg_lo:[0,0,1] neg_hi:[0,0,1]
	v_pk_fma_f32 v[84:85], v[84:85], v[70:71], v[92:93] op_sel_hi:[1,0,1]
	ds_load_2addr_b64 v[92:95], v86 offset0:17 offset1:18
	v_dual_mov_b32 v70, v82 :: v_dual_mov_b32 v71, v85
	s_wait_dscnt 0x0
	v_pk_mul_f32 v[96:97], v[92:93], v[84:85] op_sel:[0,1]
	s_delay_alu instid0(VALU_DEP_1) | instskip(SKIP_1) | instid1(VALU_DEP_1)
	v_pk_fma_f32 v[98:99], v[92:93], v[82:83], v[96:97] op_sel:[0,0,1] op_sel_hi:[1,1,0] neg_lo:[0,0,1] neg_hi:[0,0,1]
	v_pk_fma_f32 v[92:93], v[92:93], v[82:83], v[96:97] op_sel:[0,0,1] op_sel_hi:[1,0,0]
	v_mov_b32_e32 v99, v93
	v_pk_mul_f32 v[92:93], v[94:95], v[84:85] op_sel:[0,1]
	s_delay_alu instid0(VALU_DEP_1) | instskip(SKIP_1) | instid1(VALU_DEP_1)
	v_pk_fma_f32 v[96:97], v[94:95], v[82:83], v[92:93] op_sel:[0,0,1] op_sel_hi:[1,1,0] neg_lo:[0,0,1] neg_hi:[0,0,1]
	v_pk_fma_f32 v[92:93], v[94:95], v[82:83], v[92:93] op_sel:[0,0,1] op_sel_hi:[1,0,0]
	v_mov_b32_e32 v97, v93
	ds_load_2addr_b64 v[92:95], v86 offset0:19 offset1:20
	v_pk_add_f32 v[50:51], v[50:51], v[98:99] neg_lo:[0,1] neg_hi:[0,1]
	v_pk_add_f32 v[52:53], v[52:53], v[96:97] neg_lo:[0,1] neg_hi:[0,1]
	s_wait_dscnt 0x0
	v_pk_mul_f32 v[96:97], v[92:93], v[84:85] op_sel:[0,1]
	s_delay_alu instid0(VALU_DEP_1) | instskip(SKIP_2) | instid1(VALU_DEP_2)
	v_pk_fma_f32 v[98:99], v[92:93], v[82:83], v[96:97] op_sel:[0,0,1] op_sel_hi:[1,1,0] neg_lo:[0,0,1] neg_hi:[0,0,1]
	v_pk_fma_f32 v[92:93], v[92:93], v[82:83], v[96:97] op_sel:[0,0,1] op_sel_hi:[1,0,0]
	v_dual_mul_f32 v96, v95, v85 :: v_dual_mov_b32 v92, v95
	v_dual_mov_b32 v99, v93 :: v_dual_mov_b32 v93, v94
	s_delay_alu instid0(VALU_DEP_2) | instskip(SKIP_1) | instid1(VALU_DEP_3)
	v_pk_fma_f32 v[96:97], v[94:95], v[70:71], v[96:97] op_sel_hi:[1,1,0] neg_lo:[0,0,1] neg_hi:[0,0,1]
	v_mul_f32_e32 v94, v95, v82
	v_pk_add_f32 v[48:49], v[48:49], v[98:99] neg_lo:[0,1] neg_hi:[0,1]
	s_delay_alu instid0(VALU_DEP_2) | instskip(NEXT) | instid1(VALU_DEP_1)
	v_pk_fma_f32 v[92:93], v[92:93], v[70:71], v[94:95] op_sel_hi:[1,1,0]
	v_mov_b32_e32 v97, v93
	ds_load_2addr_b64 v[92:95], v86 offset0:21 offset1:22
	v_pk_add_f32 v[68:69], v[68:69], v[96:97] neg_lo:[0,1] neg_hi:[0,1]
	s_wait_dscnt 0x0
	v_pk_mul_f32 v[96:97], v[92:93], v[84:85] op_sel:[0,1]
	s_delay_alu instid0(VALU_DEP_1) | instskip(SKIP_1) | instid1(VALU_DEP_1)
	v_pk_fma_f32 v[98:99], v[92:93], v[82:83], v[96:97] op_sel:[0,0,1] op_sel_hi:[1,1,0] neg_lo:[0,0,1] neg_hi:[0,0,1]
	v_pk_fma_f32 v[92:93], v[92:93], v[82:83], v[96:97] op_sel:[0,0,1] op_sel_hi:[1,0,0]
	v_mov_b32_e32 v99, v93
	v_pk_mul_f32 v[92:93], v[94:95], v[84:85] op_sel:[0,1]
	s_delay_alu instid0(VALU_DEP_1) | instskip(SKIP_1) | instid1(VALU_DEP_1)
	v_pk_fma_f32 v[96:97], v[94:95], v[82:83], v[92:93] op_sel:[0,0,1] op_sel_hi:[1,1,0] neg_lo:[0,0,1] neg_hi:[0,0,1]
	v_pk_fma_f32 v[92:93], v[94:95], v[82:83], v[92:93] op_sel:[0,0,1] op_sel_hi:[1,0,0]
	v_mov_b32_e32 v97, v93
	ds_load_2addr_b64 v[92:95], v86 offset0:23 offset1:24
	v_pk_add_f32 v[42:43], v[42:43], v[98:99] neg_lo:[0,1] neg_hi:[0,1]
	v_pk_add_f32 v[44:45], v[44:45], v[96:97] neg_lo:[0,1] neg_hi:[0,1]
	s_wait_dscnt 0x0
	v_pk_mul_f32 v[96:97], v[92:93], v[84:85] op_sel:[0,1]
	s_delay_alu instid0(VALU_DEP_1) | instskip(SKIP_1) | instid1(VALU_DEP_1)
	v_pk_fma_f32 v[98:99], v[92:93], v[82:83], v[96:97] op_sel:[0,0,1] op_sel_hi:[1,1,0] neg_lo:[0,0,1] neg_hi:[0,0,1]
	v_pk_fma_f32 v[92:93], v[92:93], v[82:83], v[96:97] op_sel:[0,0,1] op_sel_hi:[1,0,0]
	v_mov_b32_e32 v99, v93
	v_pk_mul_f32 v[92:93], v[94:95], v[84:85] op_sel:[0,1]
	s_delay_alu instid0(VALU_DEP_1) | instskip(SKIP_1) | instid1(VALU_DEP_1)
	v_pk_fma_f32 v[96:97], v[94:95], v[82:83], v[92:93] op_sel:[0,0,1] op_sel_hi:[1,1,0] neg_lo:[0,0,1] neg_hi:[0,0,1]
	v_pk_fma_f32 v[92:93], v[94:95], v[82:83], v[92:93] op_sel:[0,0,1] op_sel_hi:[1,0,0]
	v_mov_b32_e32 v97, v93
	ds_load_2addr_b64 v[92:95], v86 offset0:25 offset1:26
	v_pk_add_f32 v[40:41], v[40:41], v[98:99] neg_lo:[0,1] neg_hi:[0,1]
	v_pk_add_f32 v[66:67], v[66:67], v[96:97] neg_lo:[0,1] neg_hi:[0,1]
	s_wait_dscnt 0x0
	v_dual_mul_f32 v96, v93, v85 :: v_dual_mul_f32 v98, v93, v82
	s_delay_alu instid0(VALU_DEP_1) | instskip(NEXT) | instid1(VALU_DEP_2)
	v_pk_fma_f32 v[96:97], v[92:93], v[70:71], v[96:97] op_sel_hi:[1,1,0] neg_lo:[0,0,1] neg_hi:[0,0,1]
	v_pk_fma_f32 v[92:93], v[92:93], v[70:71], v[98:99] op_sel:[1,0,0] op_sel_hi:[0,1,0]
	s_delay_alu instid0(VALU_DEP_1) | instskip(SKIP_1) | instid1(VALU_DEP_2)
	v_mov_b32_e32 v97, v93
	v_pk_mul_f32 v[92:93], v[94:95], v[84:85] op_sel:[0,1]
	v_pk_add_f32 v[36:37], v[36:37], v[96:97] neg_lo:[0,1] neg_hi:[0,1]
	s_delay_alu instid0(VALU_DEP_2) | instskip(SKIP_1) | instid1(VALU_DEP_1)
	v_pk_fma_f32 v[96:97], v[94:95], v[82:83], v[92:93] op_sel:[0,0,1] op_sel_hi:[1,1,0] neg_lo:[0,0,1] neg_hi:[0,0,1]
	v_pk_fma_f32 v[92:93], v[94:95], v[82:83], v[92:93] op_sel:[0,0,1] op_sel_hi:[1,0,0]
	v_mov_b32_e32 v97, v93
	ds_load_2addr_b64 v[92:95], v86 offset0:27 offset1:28
	v_pk_add_f32 v[38:39], v[38:39], v[96:97] neg_lo:[0,1] neg_hi:[0,1]
	s_wait_dscnt 0x0
	v_pk_mul_f32 v[96:97], v[92:93], v[84:85] op_sel:[0,1]
	s_delay_alu instid0(VALU_DEP_1) | instskip(SKIP_1) | instid1(VALU_DEP_1)
	v_pk_fma_f32 v[98:99], v[92:93], v[82:83], v[96:97] op_sel:[0,0,1] op_sel_hi:[1,1,0] neg_lo:[0,0,1] neg_hi:[0,0,1]
	v_pk_fma_f32 v[92:93], v[92:93], v[82:83], v[96:97] op_sel:[0,0,1] op_sel_hi:[1,0,0]
	v_mov_b32_e32 v99, v93
	v_pk_mul_f32 v[92:93], v[94:95], v[84:85] op_sel:[0,1]
	s_delay_alu instid0(VALU_DEP_2) | instskip(NEXT) | instid1(VALU_DEP_2)
	v_pk_add_f32 v[34:35], v[34:35], v[98:99] neg_lo:[0,1] neg_hi:[0,1]
	v_pk_fma_f32 v[96:97], v[94:95], v[82:83], v[92:93] op_sel:[0,0,1] op_sel_hi:[1,1,0] neg_lo:[0,0,1] neg_hi:[0,0,1]
	v_pk_fma_f32 v[92:93], v[94:95], v[82:83], v[92:93] op_sel:[0,0,1] op_sel_hi:[1,0,0]
	s_delay_alu instid0(VALU_DEP_1) | instskip(SKIP_4) | instid1(VALU_DEP_1)
	v_mov_b32_e32 v97, v93
	ds_load_2addr_b64 v[92:95], v86 offset0:29 offset1:30
	v_pk_add_f32 v[58:59], v[58:59], v[96:97] neg_lo:[0,1] neg_hi:[0,1]
	s_wait_dscnt 0x0
	v_pk_mul_f32 v[96:97], v[92:93], v[84:85] op_sel:[0,1]
	v_pk_fma_f32 v[98:99], v[92:93], v[82:83], v[96:97] op_sel:[0,0,1] op_sel_hi:[1,1,0] neg_lo:[0,0,1] neg_hi:[0,0,1]
	v_pk_fma_f32 v[92:93], v[92:93], v[82:83], v[96:97] op_sel:[0,0,1] op_sel_hi:[1,0,0]
	v_dual_mul_f32 v96, v95, v85 :: v_dual_mov_b32 v92, v95
	s_delay_alu instid0(VALU_DEP_2) | instskip(NEXT) | instid1(VALU_DEP_2)
	v_dual_mov_b32 v99, v93 :: v_dual_mov_b32 v93, v94
	v_pk_fma_f32 v[96:97], v[94:95], v[70:71], v[96:97] op_sel_hi:[1,1,0] neg_lo:[0,0,1] neg_hi:[0,0,1]
	v_mul_f32_e32 v94, v95, v82
	s_delay_alu instid0(VALU_DEP_3) | instskip(NEXT) | instid1(VALU_DEP_2)
	v_pk_add_f32 v[10:11], v[10:11], v[98:99] neg_lo:[0,1] neg_hi:[0,1]
	v_pk_fma_f32 v[92:93], v[92:93], v[70:71], v[94:95] op_sel_hi:[1,1,0]
	s_delay_alu instid0(VALU_DEP_1) | instskip(SKIP_4) | instid1(VALU_DEP_1)
	v_mov_b32_e32 v97, v93
	ds_load_2addr_b64 v[92:95], v86 offset0:31 offset1:32
	v_pk_add_f32 v[12:13], v[12:13], v[96:97] neg_lo:[0,1] neg_hi:[0,1]
	s_wait_dscnt 0x0
	v_pk_mul_f32 v[96:97], v[92:93], v[84:85] op_sel:[0,1]
	v_pk_fma_f32 v[98:99], v[92:93], v[82:83], v[96:97] op_sel:[0,0,1] op_sel_hi:[1,1,0] neg_lo:[0,0,1] neg_hi:[0,0,1]
	v_pk_fma_f32 v[92:93], v[92:93], v[82:83], v[96:97] op_sel:[0,0,1] op_sel_hi:[1,0,0]
	s_delay_alu instid0(VALU_DEP_1) | instskip(SKIP_1) | instid1(VALU_DEP_1)
	v_mov_b32_e32 v99, v93
	v_pk_mul_f32 v[92:93], v[94:95], v[84:85] op_sel:[0,1]
	v_pk_fma_f32 v[96:97], v[94:95], v[82:83], v[92:93] op_sel:[0,0,1] op_sel_hi:[1,1,0] neg_lo:[0,0,1] neg_hi:[0,0,1]
	v_pk_fma_f32 v[92:93], v[94:95], v[82:83], v[92:93] op_sel:[0,0,1] op_sel_hi:[1,0,0]
	s_delay_alu instid0(VALU_DEP_1)
	v_mov_b32_e32 v97, v93
	ds_load_2addr_b64 v[92:95], v86 offset0:33 offset1:34
	v_pk_add_f32 v[8:9], v[8:9], v[98:99] neg_lo:[0,1] neg_hi:[0,1]
	v_pk_add_f32 v[56:57], v[56:57], v[96:97] neg_lo:[0,1] neg_hi:[0,1]
	s_wait_dscnt 0x0
	v_pk_mul_f32 v[96:97], v[92:93], v[84:85] op_sel:[0,1]
	s_delay_alu instid0(VALU_DEP_1) | instskip(SKIP_1) | instid1(VALU_DEP_1)
	v_pk_fma_f32 v[98:99], v[92:93], v[82:83], v[96:97] op_sel:[0,0,1] op_sel_hi:[1,1,0] neg_lo:[0,0,1] neg_hi:[0,0,1]
	v_pk_fma_f32 v[92:93], v[92:93], v[82:83], v[96:97] op_sel:[0,0,1] op_sel_hi:[1,0,0]
	v_mov_b32_e32 v99, v93
	v_pk_mul_f32 v[92:93], v[94:95], v[84:85] op_sel:[0,1]
	s_delay_alu instid0(VALU_DEP_1) | instskip(SKIP_1) | instid1(VALU_DEP_1)
	v_pk_fma_f32 v[96:97], v[94:95], v[82:83], v[92:93] op_sel:[0,0,1] op_sel_hi:[1,1,0] neg_lo:[0,0,1] neg_hi:[0,0,1]
	v_pk_fma_f32 v[92:93], v[94:95], v[82:83], v[92:93] op_sel:[0,0,1] op_sel_hi:[1,0,0]
	v_mov_b32_e32 v97, v93
	ds_load_2addr_b64 v[92:95], v86 offset0:35 offset1:36
	v_pk_add_f32 v[6:7], v[6:7], v[98:99] neg_lo:[0,1] neg_hi:[0,1]
	v_pk_add_f32 v[54:55], v[54:55], v[96:97] neg_lo:[0,1] neg_hi:[0,1]
	s_wait_dscnt 0x0
	v_dual_mul_f32 v96, v93, v85 :: v_dual_mul_f32 v98, v93, v82
	s_delay_alu instid0(VALU_DEP_1) | instskip(NEXT) | instid1(VALU_DEP_2)
	v_pk_fma_f32 v[96:97], v[92:93], v[70:71], v[96:97] op_sel_hi:[1,1,0] neg_lo:[0,0,1] neg_hi:[0,0,1]
	v_pk_fma_f32 v[92:93], v[92:93], v[70:71], v[98:99] op_sel:[1,0,0] op_sel_hi:[0,1,0]
	s_delay_alu instid0(VALU_DEP_1) | instskip(SKIP_1) | instid1(VALU_DEP_2)
	v_mov_b32_e32 v97, v93
	v_pk_mul_f32 v[92:93], v[94:95], v[84:85] op_sel:[0,1]
	v_pk_add_f32 v[46:47], v[46:47], v[96:97] neg_lo:[0,1] neg_hi:[0,1]
	s_delay_alu instid0(VALU_DEP_2) | instskip(SKIP_1) | instid1(VALU_DEP_1)
	v_pk_fma_f32 v[96:97], v[94:95], v[82:83], v[92:93] op_sel:[0,0,1] op_sel_hi:[1,1,0] neg_lo:[0,0,1] neg_hi:[0,0,1]
	v_pk_fma_f32 v[92:93], v[94:95], v[82:83], v[92:93] op_sel:[0,0,1] op_sel_hi:[1,0,0]
	v_mov_b32_e32 v97, v93
	ds_load_b64 v[92:93], v86 offset:296
	v_pk_add_f32 v[26:27], v[26:27], v[96:97] neg_lo:[0,1] neg_hi:[0,1]
	s_wait_dscnt 0x0
	v_pk_mul_f32 v[84:85], v[92:93], v[84:85] op_sel:[0,1]
	s_delay_alu instid0(VALU_DEP_1) | instskip(SKIP_1) | instid1(VALU_DEP_1)
	v_pk_fma_f32 v[94:95], v[92:93], v[82:83], v[84:85] op_sel:[0,0,1] op_sel_hi:[1,1,0] neg_lo:[0,0,1] neg_hi:[0,0,1]
	v_pk_fma_f32 v[82:83], v[92:93], v[82:83], v[84:85] op_sel:[0,0,1] op_sel_hi:[1,0,0]
	v_mov_b32_e32 v95, v83
	s_delay_alu instid0(VALU_DEP_1)
	v_pk_add_f32 v[80:81], v[80:81], v[94:95] neg_lo:[0,1] neg_hi:[0,1]
.LBB74_356:
	s_or_b32 exec_lo, exec_lo, s0
	v_lshl_add_u32 v82, v90, 3, v86
	s_barrier_signal -1
	s_barrier_wait -1
	ds_store_b64 v82, v[50:51]
	s_wait_dscnt 0x0
	s_barrier_signal -1
	s_barrier_wait -1
	ds_load_b64 v[84:85], v86 offset:136
	v_mov_b32_e32 v82, 17
	s_cmp_lt_i32 s18, 19
	s_cbranch_scc1 .LBB74_359
; %bb.357:
	v_add3_u32 v83, v87, 0, 0x90
	v_mov_b32_e32 v82, 17
	s_mov_b32 s0, 18
.LBB74_358:                             ; =>This Inner Loop Header: Depth=1
	ds_load_b64 v[92:93], v83
	s_wait_dscnt 0x1
	v_cmp_gt_f32_e32 vcc_lo, 0, v84
	v_cndmask_b32_e64 v94, v84, -v84, vcc_lo
	v_cmp_gt_f32_e32 vcc_lo, 0, v85
	v_cndmask_b32_e64 v96, v85, -v85, vcc_lo
	s_wait_dscnt 0x0
	v_cmp_gt_f32_e32 vcc_lo, 0, v92
	v_cndmask_b32_e64 v95, v92, -v92, vcc_lo
	v_cmp_gt_f32_e32 vcc_lo, 0, v93
	v_cndmask_b32_e64 v97, v93, -v93, vcc_lo
	s_delay_alu instid0(VALU_DEP_1) | instskip(NEXT) | instid1(VALU_DEP_1)
	v_pk_add_f32 v[94:95], v[94:95], v[96:97]
	v_cmp_lt_f32_e32 vcc_lo, v94, v95
	v_dual_add_nc_u32 v83, 8, v83 :: v_dual_cndmask_b32 v85, v85, v93, vcc_lo
	v_cndmask_b32_e32 v84, v84, v92, vcc_lo
	v_cndmask_b32_e64 v82, v82, s0, vcc_lo
	s_add_co_i32 s0, s0, 1
	s_delay_alu instid0(SALU_CYCLE_1)
	s_cmp_lg_u32 s18, s0
	s_cbranch_scc1 .LBB74_358
.LBB74_359:
	s_wait_dscnt 0x0
	v_cmp_eq_f32_e32 vcc_lo, 0, v84
	v_cmp_eq_f32_e64 s0, 0, v85
	s_and_b32 s0, vcc_lo, s0
	s_delay_alu instid0(SALU_CYCLE_1) | instskip(NEXT) | instid1(SALU_CYCLE_1)
	s_and_saveexec_b32 s1, s0
	s_xor_b32 s0, exec_lo, s1
; %bb.360:
	v_cmp_ne_u32_e32 vcc_lo, 0, v88
	v_cndmask_b32_e32 v88, 18, v88, vcc_lo
; %bb.361:
	s_and_not1_saveexec_b32 s0, s0
	s_cbranch_execz .LBB74_367
; %bb.362:
	v_cmp_ngt_f32_e64 s1, |v84|, |v85|
	s_and_saveexec_b32 s12, s1
	s_delay_alu instid0(SALU_CYCLE_1)
	s_xor_b32 s1, exec_lo, s12
	s_cbranch_execz .LBB74_364
; %bb.363:
	v_div_scale_f32 v83, null, v85, v85, v84
	v_div_scale_f32 v93, vcc_lo, v84, v85, v84
	s_delay_alu instid0(VALU_DEP_2) | instskip(SKIP_1) | instid1(TRANS32_DEP_1)
	v_rcp_f32_e32 v91, v83
	v_nop
	v_fma_f32 v92, -v83, v91, 1.0
	s_delay_alu instid0(VALU_DEP_1) | instskip(NEXT) | instid1(VALU_DEP_1)
	v_fmac_f32_e32 v91, v92, v91
	v_mul_f32_e32 v92, v93, v91
	s_delay_alu instid0(VALU_DEP_1) | instskip(NEXT) | instid1(VALU_DEP_1)
	v_fma_f32 v94, -v83, v92, v93
	v_fmac_f32_e32 v92, v94, v91
	s_delay_alu instid0(VALU_DEP_1) | instskip(NEXT) | instid1(VALU_DEP_1)
	v_fma_f32 v83, -v83, v92, v93
	v_div_fmas_f32 v83, v83, v91, v92
	s_delay_alu instid0(VALU_DEP_1) | instskip(NEXT) | instid1(VALU_DEP_1)
	v_div_fixup_f32 v83, v83, v85, v84
	v_fmac_f32_e32 v85, v84, v83
	s_delay_alu instid0(VALU_DEP_1) | instskip(SKIP_1) | instid1(VALU_DEP_2)
	v_div_scale_f32 v84, null, v85, v85, 1.0
	v_div_scale_f32 v93, vcc_lo, 1.0, v85, 1.0
	v_rcp_f32_e32 v91, v84
	v_nop
	s_delay_alu instid0(TRANS32_DEP_1) | instskip(NEXT) | instid1(VALU_DEP_1)
	v_fma_f32 v92, -v84, v91, 1.0
	v_fmac_f32_e32 v91, v92, v91
	s_delay_alu instid0(VALU_DEP_1) | instskip(NEXT) | instid1(VALU_DEP_1)
	v_mul_f32_e32 v92, v93, v91
	v_fma_f32 v94, -v84, v92, v93
	s_delay_alu instid0(VALU_DEP_1) | instskip(NEXT) | instid1(VALU_DEP_1)
	v_fmac_f32_e32 v92, v94, v91
	v_fma_f32 v84, -v84, v92, v93
	s_delay_alu instid0(VALU_DEP_1) | instskip(NEXT) | instid1(VALU_DEP_1)
	v_div_fmas_f32 v84, v84, v91, v92
	v_div_fixup_f32 v85, v84, v85, 1.0
	s_delay_alu instid0(VALU_DEP_1)
	v_mul_f32_e32 v84, v83, v85
	v_xor_b32_e32 v85, 0x80000000, v85
.LBB74_364:
	s_and_not1_saveexec_b32 s1, s1
	s_cbranch_execz .LBB74_366
; %bb.365:
	s_delay_alu instid0(VALU_DEP_1) | instskip(SKIP_1) | instid1(VALU_DEP_2)
	v_div_scale_f32 v83, null, v84, v84, v85
	v_div_scale_f32 v93, vcc_lo, v85, v84, v85
	v_rcp_f32_e32 v91, v83
	v_nop
	s_delay_alu instid0(TRANS32_DEP_1) | instskip(NEXT) | instid1(VALU_DEP_1)
	v_fma_f32 v92, -v83, v91, 1.0
	v_fmac_f32_e32 v91, v92, v91
	s_delay_alu instid0(VALU_DEP_1) | instskip(NEXT) | instid1(VALU_DEP_1)
	v_mul_f32_e32 v92, v93, v91
	v_fma_f32 v94, -v83, v92, v93
	s_delay_alu instid0(VALU_DEP_1) | instskip(NEXT) | instid1(VALU_DEP_1)
	v_fmac_f32_e32 v92, v94, v91
	v_fma_f32 v83, -v83, v92, v93
	s_delay_alu instid0(VALU_DEP_1) | instskip(NEXT) | instid1(VALU_DEP_1)
	v_div_fmas_f32 v83, v83, v91, v92
	v_div_fixup_f32 v83, v83, v84, v85
	s_delay_alu instid0(VALU_DEP_1) | instskip(NEXT) | instid1(VALU_DEP_1)
	v_fmac_f32_e32 v84, v85, v83
	v_div_scale_f32 v85, null, v84, v84, 1.0
	s_delay_alu instid0(VALU_DEP_1) | instskip(SKIP_1) | instid1(TRANS32_DEP_1)
	v_rcp_f32_e32 v91, v85
	v_nop
	v_fma_f32 v92, -v85, v91, 1.0
	s_delay_alu instid0(VALU_DEP_1) | instskip(SKIP_1) | instid1(VALU_DEP_1)
	v_fmac_f32_e32 v91, v92, v91
	v_div_scale_f32 v92, vcc_lo, 1.0, v84, 1.0
	v_mul_f32_e32 v93, v92, v91
	s_delay_alu instid0(VALU_DEP_1) | instskip(NEXT) | instid1(VALU_DEP_1)
	v_fma_f32 v94, -v85, v93, v92
	v_fmac_f32_e32 v93, v94, v91
	s_delay_alu instid0(VALU_DEP_1) | instskip(NEXT) | instid1(VALU_DEP_1)
	v_fma_f32 v85, -v85, v93, v92
	v_div_fmas_f32 v85, v85, v91, v93
	s_delay_alu instid0(VALU_DEP_1) | instskip(NEXT) | instid1(VALU_DEP_1)
	v_div_fixup_f32 v84, v85, v84, 1.0
	v_mul_f32_e64 v85, v83, -v84
.LBB74_366:
	s_or_b32 exec_lo, exec_lo, s1
.LBB74_367:
	s_delay_alu instid0(SALU_CYCLE_1) | instskip(NEXT) | instid1(SALU_CYCLE_1)
	s_or_b32 exec_lo, exec_lo, s0
	s_mov_b32 s0, exec_lo
	v_cmpx_ne_u32_e64 v90, v82
	s_xor_b32 s0, exec_lo, s0
	s_cbranch_execz .LBB74_373
; %bb.368:
	s_mov_b32 s1, exec_lo
	v_cmpx_eq_u32_e32 17, v90
	s_cbranch_execz .LBB74_372
; %bb.369:
	v_cmp_ne_u32_e32 vcc_lo, 17, v82
	s_xor_b32 s12, s16, -1
	s_delay_alu instid0(SALU_CYCLE_1) | instskip(NEXT) | instid1(SALU_CYCLE_1)
	s_and_b32 s13, s12, vcc_lo
	s_and_saveexec_b32 s12, s13
	s_cbranch_execz .LBB74_371
; %bb.370:
	v_ashrrev_i32_e32 v83, 31, v82
	s_delay_alu instid0(VALU_DEP_1)
	v_lshl_add_u64 v[90:91], v[82:83], 2, v[4:5]
	s_clause 0x1
	global_load_b32 v83, v[90:91], off
	global_load_b32 v89, v[4:5], off offset:68
	s_wait_loadcnt 0x1
	global_store_b32 v[4:5], v83, off offset:68
	s_wait_loadcnt 0x0
	global_store_b32 v[90:91], v89, off
.LBB74_371:
	s_wait_xcnt 0x0
	s_or_b32 exec_lo, exec_lo, s12
	v_dual_mov_b32 v90, v82 :: v_dual_mov_b32 v89, v82
.LBB74_372:
	s_or_b32 exec_lo, exec_lo, s1
.LBB74_373:
	s_and_not1_saveexec_b32 s0, s0
	s_cbranch_execz .LBB74_375
; %bb.374:
	v_dual_mov_b32 v82, v52 :: v_dual_mov_b32 v83, v53
	v_dual_mov_b32 v90, v48 :: v_dual_mov_b32 v91, v49
	;; [unrolled: 1-line block ×12, first 2 shown]
	ds_store_2addr_b64 v86, v[82:83], v[90:91] offset0:18 offset1:19
	ds_store_2addr_b64 v86, v[92:93], v[94:95] offset0:20 offset1:21
	;; [unrolled: 1-line block ×6, first 2 shown]
	v_dual_mov_b32 v82, v12 :: v_dual_mov_b32 v83, v13
	v_dual_mov_b32 v92, v8 :: v_dual_mov_b32 v93, v9
	;; [unrolled: 1-line block ×7, first 2 shown]
	v_mov_b32_e32 v103, v27
	ds_store_2addr_b64 v86, v[82:83], v[92:93] offset0:30 offset1:31
	ds_store_2addr_b64 v86, v[94:95], v[96:97] offset0:32 offset1:33
	;; [unrolled: 1-line block ×4, first 2 shown]
.LBB74_375:
	s_or_b32 exec_lo, exec_lo, s0
	s_delay_alu instid0(SALU_CYCLE_1)
	s_mov_b32 s0, exec_lo
	s_wait_storecnt_dscnt 0x0
	s_barrier_signal -1
	s_barrier_wait -1
	v_cmpx_lt_i32_e32 17, v90
	s_cbranch_execz .LBB74_377
; %bb.376:
	v_pk_mul_f32 v[92:93], v[84:85], v[50:51] op_sel:[1,1] op_sel_hi:[0,1]
	s_delay_alu instid0(VALU_DEP_1)
	v_pk_fma_f32 v[82:83], v[84:85], v[50:51], v[92:93] op_sel_hi:[1,0,1] neg_lo:[0,0,1] neg_hi:[0,0,1]
	v_pk_fma_f32 v[84:85], v[84:85], v[50:51], v[92:93] op_sel_hi:[1,0,1]
	ds_load_2addr_b64 v[92:95], v86 offset0:18 offset1:19
	v_dual_mov_b32 v50, v82 :: v_dual_mov_b32 v51, v85
	s_wait_dscnt 0x0
	v_pk_mul_f32 v[96:97], v[92:93], v[84:85] op_sel:[0,1]
	s_delay_alu instid0(VALU_DEP_1) | instskip(SKIP_1) | instid1(VALU_DEP_1)
	v_pk_fma_f32 v[98:99], v[92:93], v[82:83], v[96:97] op_sel:[0,0,1] op_sel_hi:[1,1,0] neg_lo:[0,0,1] neg_hi:[0,0,1]
	v_pk_fma_f32 v[92:93], v[92:93], v[82:83], v[96:97] op_sel:[0,0,1] op_sel_hi:[1,0,0]
	v_mov_b32_e32 v99, v93
	v_pk_mul_f32 v[92:93], v[94:95], v[84:85] op_sel:[0,1]
	s_delay_alu instid0(VALU_DEP_1) | instskip(SKIP_1) | instid1(VALU_DEP_1)
	v_pk_fma_f32 v[96:97], v[94:95], v[82:83], v[92:93] op_sel:[0,0,1] op_sel_hi:[1,1,0] neg_lo:[0,0,1] neg_hi:[0,0,1]
	v_pk_fma_f32 v[92:93], v[94:95], v[82:83], v[92:93] op_sel:[0,0,1] op_sel_hi:[1,0,0]
	v_mov_b32_e32 v97, v93
	ds_load_2addr_b64 v[92:95], v86 offset0:20 offset1:21
	v_pk_add_f32 v[52:53], v[52:53], v[98:99] neg_lo:[0,1] neg_hi:[0,1]
	v_pk_add_f32 v[48:49], v[48:49], v[96:97] neg_lo:[0,1] neg_hi:[0,1]
	s_wait_dscnt 0x0
	v_pk_mul_f32 v[96:97], v[92:93], v[84:85] op_sel:[0,1]
	s_delay_alu instid0(VALU_DEP_1) | instskip(SKIP_2) | instid1(VALU_DEP_2)
	v_pk_fma_f32 v[98:99], v[92:93], v[82:83], v[96:97] op_sel:[0,0,1] op_sel_hi:[1,1,0] neg_lo:[0,0,1] neg_hi:[0,0,1]
	v_pk_fma_f32 v[92:93], v[92:93], v[82:83], v[96:97] op_sel:[0,0,1] op_sel_hi:[1,0,0]
	v_dual_mul_f32 v96, v95, v85 :: v_dual_mov_b32 v92, v95
	v_dual_mov_b32 v99, v93 :: v_dual_mov_b32 v93, v94
	s_delay_alu instid0(VALU_DEP_2) | instskip(SKIP_1) | instid1(VALU_DEP_3)
	v_pk_fma_f32 v[96:97], v[94:95], v[50:51], v[96:97] op_sel_hi:[1,1,0] neg_lo:[0,0,1] neg_hi:[0,0,1]
	v_mul_f32_e32 v94, v95, v82
	v_pk_add_f32 v[68:69], v[68:69], v[98:99] neg_lo:[0,1] neg_hi:[0,1]
	s_delay_alu instid0(VALU_DEP_2) | instskip(NEXT) | instid1(VALU_DEP_1)
	v_pk_fma_f32 v[92:93], v[92:93], v[50:51], v[94:95] op_sel_hi:[1,1,0]
	v_mov_b32_e32 v97, v93
	ds_load_2addr_b64 v[92:95], v86 offset0:22 offset1:23
	v_pk_add_f32 v[42:43], v[42:43], v[96:97] neg_lo:[0,1] neg_hi:[0,1]
	s_wait_dscnt 0x0
	v_pk_mul_f32 v[96:97], v[92:93], v[84:85] op_sel:[0,1]
	s_delay_alu instid0(VALU_DEP_1) | instskip(SKIP_1) | instid1(VALU_DEP_1)
	v_pk_fma_f32 v[98:99], v[92:93], v[82:83], v[96:97] op_sel:[0,0,1] op_sel_hi:[1,1,0] neg_lo:[0,0,1] neg_hi:[0,0,1]
	v_pk_fma_f32 v[92:93], v[92:93], v[82:83], v[96:97] op_sel:[0,0,1] op_sel_hi:[1,0,0]
	v_mov_b32_e32 v99, v93
	v_pk_mul_f32 v[92:93], v[94:95], v[84:85] op_sel:[0,1]
	s_delay_alu instid0(VALU_DEP_1) | instskip(SKIP_1) | instid1(VALU_DEP_1)
	v_pk_fma_f32 v[96:97], v[94:95], v[82:83], v[92:93] op_sel:[0,0,1] op_sel_hi:[1,1,0] neg_lo:[0,0,1] neg_hi:[0,0,1]
	v_pk_fma_f32 v[92:93], v[94:95], v[82:83], v[92:93] op_sel:[0,0,1] op_sel_hi:[1,0,0]
	v_mov_b32_e32 v97, v93
	ds_load_2addr_b64 v[92:95], v86 offset0:24 offset1:25
	v_pk_add_f32 v[44:45], v[44:45], v[98:99] neg_lo:[0,1] neg_hi:[0,1]
	v_pk_add_f32 v[40:41], v[40:41], v[96:97] neg_lo:[0,1] neg_hi:[0,1]
	s_wait_dscnt 0x0
	v_pk_mul_f32 v[96:97], v[92:93], v[84:85] op_sel:[0,1]
	s_delay_alu instid0(VALU_DEP_1) | instskip(SKIP_1) | instid1(VALU_DEP_1)
	v_pk_fma_f32 v[98:99], v[92:93], v[82:83], v[96:97] op_sel:[0,0,1] op_sel_hi:[1,1,0] neg_lo:[0,0,1] neg_hi:[0,0,1]
	v_pk_fma_f32 v[92:93], v[92:93], v[82:83], v[96:97] op_sel:[0,0,1] op_sel_hi:[1,0,0]
	v_mov_b32_e32 v99, v93
	v_pk_mul_f32 v[92:93], v[94:95], v[84:85] op_sel:[0,1]
	s_delay_alu instid0(VALU_DEP_1) | instskip(SKIP_1) | instid1(VALU_DEP_1)
	v_pk_fma_f32 v[96:97], v[94:95], v[82:83], v[92:93] op_sel:[0,0,1] op_sel_hi:[1,1,0] neg_lo:[0,0,1] neg_hi:[0,0,1]
	v_pk_fma_f32 v[92:93], v[94:95], v[82:83], v[92:93] op_sel:[0,0,1] op_sel_hi:[1,0,0]
	v_mov_b32_e32 v97, v93
	ds_load_2addr_b64 v[92:95], v86 offset0:26 offset1:27
	v_pk_add_f32 v[66:67], v[66:67], v[98:99] neg_lo:[0,1] neg_hi:[0,1]
	v_pk_add_f32 v[36:37], v[36:37], v[96:97] neg_lo:[0,1] neg_hi:[0,1]
	s_wait_dscnt 0x0
	v_dual_mul_f32 v96, v93, v85 :: v_dual_mul_f32 v98, v93, v82
	s_delay_alu instid0(VALU_DEP_1) | instskip(NEXT) | instid1(VALU_DEP_2)
	v_pk_fma_f32 v[96:97], v[92:93], v[50:51], v[96:97] op_sel_hi:[1,1,0] neg_lo:[0,0,1] neg_hi:[0,0,1]
	v_pk_fma_f32 v[92:93], v[92:93], v[50:51], v[98:99] op_sel:[1,0,0] op_sel_hi:[0,1,0]
	s_delay_alu instid0(VALU_DEP_1) | instskip(SKIP_1) | instid1(VALU_DEP_2)
	v_mov_b32_e32 v97, v93
	v_pk_mul_f32 v[92:93], v[94:95], v[84:85] op_sel:[0,1]
	v_pk_add_f32 v[38:39], v[38:39], v[96:97] neg_lo:[0,1] neg_hi:[0,1]
	s_delay_alu instid0(VALU_DEP_2) | instskip(SKIP_1) | instid1(VALU_DEP_1)
	v_pk_fma_f32 v[96:97], v[94:95], v[82:83], v[92:93] op_sel:[0,0,1] op_sel_hi:[1,1,0] neg_lo:[0,0,1] neg_hi:[0,0,1]
	v_pk_fma_f32 v[92:93], v[94:95], v[82:83], v[92:93] op_sel:[0,0,1] op_sel_hi:[1,0,0]
	v_mov_b32_e32 v97, v93
	ds_load_2addr_b64 v[92:95], v86 offset0:28 offset1:29
	v_pk_add_f32 v[34:35], v[34:35], v[96:97] neg_lo:[0,1] neg_hi:[0,1]
	s_wait_dscnt 0x0
	v_pk_mul_f32 v[96:97], v[92:93], v[84:85] op_sel:[0,1]
	s_delay_alu instid0(VALU_DEP_1) | instskip(SKIP_1) | instid1(VALU_DEP_1)
	v_pk_fma_f32 v[98:99], v[92:93], v[82:83], v[96:97] op_sel:[0,0,1] op_sel_hi:[1,1,0] neg_lo:[0,0,1] neg_hi:[0,0,1]
	v_pk_fma_f32 v[92:93], v[92:93], v[82:83], v[96:97] op_sel:[0,0,1] op_sel_hi:[1,0,0]
	v_mov_b32_e32 v99, v93
	v_pk_mul_f32 v[92:93], v[94:95], v[84:85] op_sel:[0,1]
	s_delay_alu instid0(VALU_DEP_2) | instskip(NEXT) | instid1(VALU_DEP_2)
	v_pk_add_f32 v[58:59], v[58:59], v[98:99] neg_lo:[0,1] neg_hi:[0,1]
	v_pk_fma_f32 v[96:97], v[94:95], v[82:83], v[92:93] op_sel:[0,0,1] op_sel_hi:[1,1,0] neg_lo:[0,0,1] neg_hi:[0,0,1]
	v_pk_fma_f32 v[92:93], v[94:95], v[82:83], v[92:93] op_sel:[0,0,1] op_sel_hi:[1,0,0]
	s_delay_alu instid0(VALU_DEP_1) | instskip(SKIP_4) | instid1(VALU_DEP_1)
	v_mov_b32_e32 v97, v93
	ds_load_2addr_b64 v[92:95], v86 offset0:30 offset1:31
	v_pk_add_f32 v[10:11], v[10:11], v[96:97] neg_lo:[0,1] neg_hi:[0,1]
	s_wait_dscnt 0x0
	v_pk_mul_f32 v[96:97], v[92:93], v[84:85] op_sel:[0,1]
	v_pk_fma_f32 v[98:99], v[92:93], v[82:83], v[96:97] op_sel:[0,0,1] op_sel_hi:[1,1,0] neg_lo:[0,0,1] neg_hi:[0,0,1]
	v_pk_fma_f32 v[92:93], v[92:93], v[82:83], v[96:97] op_sel:[0,0,1] op_sel_hi:[1,0,0]
	v_dual_mul_f32 v96, v95, v85 :: v_dual_mov_b32 v92, v95
	s_delay_alu instid0(VALU_DEP_2) | instskip(NEXT) | instid1(VALU_DEP_2)
	v_dual_mov_b32 v99, v93 :: v_dual_mov_b32 v93, v94
	v_pk_fma_f32 v[96:97], v[94:95], v[50:51], v[96:97] op_sel_hi:[1,1,0] neg_lo:[0,0,1] neg_hi:[0,0,1]
	v_mul_f32_e32 v94, v95, v82
	s_delay_alu instid0(VALU_DEP_3) | instskip(NEXT) | instid1(VALU_DEP_2)
	v_pk_add_f32 v[12:13], v[12:13], v[98:99] neg_lo:[0,1] neg_hi:[0,1]
	v_pk_fma_f32 v[92:93], v[92:93], v[50:51], v[94:95] op_sel_hi:[1,1,0]
	s_delay_alu instid0(VALU_DEP_1) | instskip(SKIP_4) | instid1(VALU_DEP_1)
	v_mov_b32_e32 v97, v93
	ds_load_2addr_b64 v[92:95], v86 offset0:32 offset1:33
	v_pk_add_f32 v[8:9], v[8:9], v[96:97] neg_lo:[0,1] neg_hi:[0,1]
	s_wait_dscnt 0x0
	v_pk_mul_f32 v[96:97], v[92:93], v[84:85] op_sel:[0,1]
	v_pk_fma_f32 v[98:99], v[92:93], v[82:83], v[96:97] op_sel:[0,0,1] op_sel_hi:[1,1,0] neg_lo:[0,0,1] neg_hi:[0,0,1]
	v_pk_fma_f32 v[92:93], v[92:93], v[82:83], v[96:97] op_sel:[0,0,1] op_sel_hi:[1,0,0]
	s_delay_alu instid0(VALU_DEP_1) | instskip(SKIP_1) | instid1(VALU_DEP_1)
	v_mov_b32_e32 v99, v93
	v_pk_mul_f32 v[92:93], v[94:95], v[84:85] op_sel:[0,1]
	v_pk_fma_f32 v[96:97], v[94:95], v[82:83], v[92:93] op_sel:[0,0,1] op_sel_hi:[1,1,0] neg_lo:[0,0,1] neg_hi:[0,0,1]
	v_pk_fma_f32 v[92:93], v[94:95], v[82:83], v[92:93] op_sel:[0,0,1] op_sel_hi:[1,0,0]
	s_delay_alu instid0(VALU_DEP_1)
	v_mov_b32_e32 v97, v93
	ds_load_2addr_b64 v[92:95], v86 offset0:34 offset1:35
	v_pk_add_f32 v[56:57], v[56:57], v[98:99] neg_lo:[0,1] neg_hi:[0,1]
	v_pk_add_f32 v[6:7], v[6:7], v[96:97] neg_lo:[0,1] neg_hi:[0,1]
	s_wait_dscnt 0x0
	v_pk_mul_f32 v[96:97], v[92:93], v[84:85] op_sel:[0,1]
	s_delay_alu instid0(VALU_DEP_1) | instskip(SKIP_1) | instid1(VALU_DEP_1)
	v_pk_fma_f32 v[98:99], v[92:93], v[82:83], v[96:97] op_sel:[0,0,1] op_sel_hi:[1,1,0] neg_lo:[0,0,1] neg_hi:[0,0,1]
	v_pk_fma_f32 v[92:93], v[92:93], v[82:83], v[96:97] op_sel:[0,0,1] op_sel_hi:[1,0,0]
	v_mov_b32_e32 v99, v93
	v_pk_mul_f32 v[92:93], v[94:95], v[84:85] op_sel:[0,1]
	s_delay_alu instid0(VALU_DEP_1) | instskip(SKIP_1) | instid1(VALU_DEP_1)
	v_pk_fma_f32 v[96:97], v[94:95], v[82:83], v[92:93] op_sel:[0,0,1] op_sel_hi:[1,1,0] neg_lo:[0,0,1] neg_hi:[0,0,1]
	v_pk_fma_f32 v[92:93], v[94:95], v[82:83], v[92:93] op_sel:[0,0,1] op_sel_hi:[1,0,0]
	v_mov_b32_e32 v97, v93
	ds_load_2addr_b64 v[92:95], v86 offset0:36 offset1:37
	v_pk_add_f32 v[54:55], v[54:55], v[98:99] neg_lo:[0,1] neg_hi:[0,1]
	v_pk_add_f32 v[46:47], v[46:47], v[96:97] neg_lo:[0,1] neg_hi:[0,1]
	s_wait_dscnt 0x0
	v_dual_mul_f32 v96, v93, v85 :: v_dual_mul_f32 v98, v93, v82
	v_pk_mul_f32 v[84:85], v[94:95], v[84:85] op_sel:[0,1]
	s_delay_alu instid0(VALU_DEP_2) | instskip(NEXT) | instid1(VALU_DEP_3)
	v_pk_fma_f32 v[96:97], v[92:93], v[50:51], v[96:97] op_sel_hi:[1,1,0] neg_lo:[0,0,1] neg_hi:[0,0,1]
	v_pk_fma_f32 v[92:93], v[92:93], v[50:51], v[98:99] op_sel:[1,0,0] op_sel_hi:[0,1,0]
	s_delay_alu instid0(VALU_DEP_1) | instskip(NEXT) | instid1(VALU_DEP_4)
	v_mov_b32_e32 v97, v93
	v_pk_fma_f32 v[92:93], v[94:95], v[82:83], v[84:85] op_sel:[0,0,1] op_sel_hi:[1,1,0] neg_lo:[0,0,1] neg_hi:[0,0,1]
	v_pk_fma_f32 v[82:83], v[94:95], v[82:83], v[84:85] op_sel:[0,0,1] op_sel_hi:[1,0,0]
	s_delay_alu instid0(VALU_DEP_1) | instskip(NEXT) | instid1(VALU_DEP_4)
	v_mov_b32_e32 v93, v83
	v_pk_add_f32 v[26:27], v[26:27], v[96:97] neg_lo:[0,1] neg_hi:[0,1]
	s_delay_alu instid0(VALU_DEP_2)
	v_pk_add_f32 v[80:81], v[80:81], v[92:93] neg_lo:[0,1] neg_hi:[0,1]
.LBB74_377:
	s_or_b32 exec_lo, exec_lo, s0
	v_lshl_add_u32 v82, v90, 3, v86
	s_barrier_signal -1
	s_barrier_wait -1
	ds_store_b64 v82, v[52:53]
	s_wait_dscnt 0x0
	s_barrier_signal -1
	s_barrier_wait -1
	ds_load_b64 v[84:85], v86 offset:144
	v_mov_b32_e32 v82, 18
	s_cmp_lt_i32 s18, 20
	s_cbranch_scc1 .LBB74_380
; %bb.378:
	v_add3_u32 v83, v87, 0, 0x98
	v_mov_b32_e32 v82, 18
	s_mov_b32 s0, 19
.LBB74_379:                             ; =>This Inner Loop Header: Depth=1
	ds_load_b64 v[92:93], v83
	s_wait_dscnt 0x1
	v_cmp_gt_f32_e32 vcc_lo, 0, v84
	v_cndmask_b32_e64 v94, v84, -v84, vcc_lo
	v_cmp_gt_f32_e32 vcc_lo, 0, v85
	v_cndmask_b32_e64 v96, v85, -v85, vcc_lo
	s_wait_dscnt 0x0
	v_cmp_gt_f32_e32 vcc_lo, 0, v92
	v_cndmask_b32_e64 v95, v92, -v92, vcc_lo
	v_cmp_gt_f32_e32 vcc_lo, 0, v93
	v_cndmask_b32_e64 v97, v93, -v93, vcc_lo
	s_delay_alu instid0(VALU_DEP_1) | instskip(NEXT) | instid1(VALU_DEP_1)
	v_pk_add_f32 v[94:95], v[94:95], v[96:97]
	v_cmp_lt_f32_e32 vcc_lo, v94, v95
	v_dual_add_nc_u32 v83, 8, v83 :: v_dual_cndmask_b32 v85, v85, v93, vcc_lo
	v_cndmask_b32_e32 v84, v84, v92, vcc_lo
	v_cndmask_b32_e64 v82, v82, s0, vcc_lo
	s_add_co_i32 s0, s0, 1
	s_delay_alu instid0(SALU_CYCLE_1)
	s_cmp_lg_u32 s18, s0
	s_cbranch_scc1 .LBB74_379
.LBB74_380:
	s_wait_dscnt 0x0
	v_cmp_eq_f32_e32 vcc_lo, 0, v84
	v_cmp_eq_f32_e64 s0, 0, v85
	s_and_b32 s0, vcc_lo, s0
	s_delay_alu instid0(SALU_CYCLE_1) | instskip(NEXT) | instid1(SALU_CYCLE_1)
	s_and_saveexec_b32 s1, s0
	s_xor_b32 s0, exec_lo, s1
; %bb.381:
	v_cmp_ne_u32_e32 vcc_lo, 0, v88
	v_cndmask_b32_e32 v88, 19, v88, vcc_lo
; %bb.382:
	s_and_not1_saveexec_b32 s0, s0
	s_cbranch_execz .LBB74_388
; %bb.383:
	v_cmp_ngt_f32_e64 s1, |v84|, |v85|
	s_and_saveexec_b32 s12, s1
	s_delay_alu instid0(SALU_CYCLE_1)
	s_xor_b32 s1, exec_lo, s12
	s_cbranch_execz .LBB74_385
; %bb.384:
	v_div_scale_f32 v83, null, v85, v85, v84
	v_div_scale_f32 v93, vcc_lo, v84, v85, v84
	s_delay_alu instid0(VALU_DEP_2) | instskip(SKIP_1) | instid1(TRANS32_DEP_1)
	v_rcp_f32_e32 v91, v83
	v_nop
	v_fma_f32 v92, -v83, v91, 1.0
	s_delay_alu instid0(VALU_DEP_1) | instskip(NEXT) | instid1(VALU_DEP_1)
	v_fmac_f32_e32 v91, v92, v91
	v_mul_f32_e32 v92, v93, v91
	s_delay_alu instid0(VALU_DEP_1) | instskip(NEXT) | instid1(VALU_DEP_1)
	v_fma_f32 v94, -v83, v92, v93
	v_fmac_f32_e32 v92, v94, v91
	s_delay_alu instid0(VALU_DEP_1) | instskip(NEXT) | instid1(VALU_DEP_1)
	v_fma_f32 v83, -v83, v92, v93
	v_div_fmas_f32 v83, v83, v91, v92
	s_delay_alu instid0(VALU_DEP_1) | instskip(NEXT) | instid1(VALU_DEP_1)
	v_div_fixup_f32 v83, v83, v85, v84
	v_fmac_f32_e32 v85, v84, v83
	s_delay_alu instid0(VALU_DEP_1) | instskip(SKIP_1) | instid1(VALU_DEP_2)
	v_div_scale_f32 v84, null, v85, v85, 1.0
	v_div_scale_f32 v93, vcc_lo, 1.0, v85, 1.0
	v_rcp_f32_e32 v91, v84
	v_nop
	s_delay_alu instid0(TRANS32_DEP_1) | instskip(NEXT) | instid1(VALU_DEP_1)
	v_fma_f32 v92, -v84, v91, 1.0
	v_fmac_f32_e32 v91, v92, v91
	s_delay_alu instid0(VALU_DEP_1) | instskip(NEXT) | instid1(VALU_DEP_1)
	v_mul_f32_e32 v92, v93, v91
	v_fma_f32 v94, -v84, v92, v93
	s_delay_alu instid0(VALU_DEP_1) | instskip(NEXT) | instid1(VALU_DEP_1)
	v_fmac_f32_e32 v92, v94, v91
	v_fma_f32 v84, -v84, v92, v93
	s_delay_alu instid0(VALU_DEP_1) | instskip(NEXT) | instid1(VALU_DEP_1)
	v_div_fmas_f32 v84, v84, v91, v92
	v_div_fixup_f32 v85, v84, v85, 1.0
	s_delay_alu instid0(VALU_DEP_1)
	v_mul_f32_e32 v84, v83, v85
	v_xor_b32_e32 v85, 0x80000000, v85
.LBB74_385:
	s_and_not1_saveexec_b32 s1, s1
	s_cbranch_execz .LBB74_387
; %bb.386:
	s_delay_alu instid0(VALU_DEP_1) | instskip(SKIP_1) | instid1(VALU_DEP_2)
	v_div_scale_f32 v83, null, v84, v84, v85
	v_div_scale_f32 v93, vcc_lo, v85, v84, v85
	v_rcp_f32_e32 v91, v83
	v_nop
	s_delay_alu instid0(TRANS32_DEP_1) | instskip(NEXT) | instid1(VALU_DEP_1)
	v_fma_f32 v92, -v83, v91, 1.0
	v_fmac_f32_e32 v91, v92, v91
	s_delay_alu instid0(VALU_DEP_1) | instskip(NEXT) | instid1(VALU_DEP_1)
	v_mul_f32_e32 v92, v93, v91
	v_fma_f32 v94, -v83, v92, v93
	s_delay_alu instid0(VALU_DEP_1) | instskip(NEXT) | instid1(VALU_DEP_1)
	v_fmac_f32_e32 v92, v94, v91
	v_fma_f32 v83, -v83, v92, v93
	s_delay_alu instid0(VALU_DEP_1) | instskip(NEXT) | instid1(VALU_DEP_1)
	v_div_fmas_f32 v83, v83, v91, v92
	v_div_fixup_f32 v83, v83, v84, v85
	s_delay_alu instid0(VALU_DEP_1) | instskip(NEXT) | instid1(VALU_DEP_1)
	v_fmac_f32_e32 v84, v85, v83
	v_div_scale_f32 v85, null, v84, v84, 1.0
	s_delay_alu instid0(VALU_DEP_1) | instskip(SKIP_1) | instid1(TRANS32_DEP_1)
	v_rcp_f32_e32 v91, v85
	v_nop
	v_fma_f32 v92, -v85, v91, 1.0
	s_delay_alu instid0(VALU_DEP_1) | instskip(SKIP_1) | instid1(VALU_DEP_1)
	v_fmac_f32_e32 v91, v92, v91
	v_div_scale_f32 v92, vcc_lo, 1.0, v84, 1.0
	v_mul_f32_e32 v93, v92, v91
	s_delay_alu instid0(VALU_DEP_1) | instskip(NEXT) | instid1(VALU_DEP_1)
	v_fma_f32 v94, -v85, v93, v92
	v_fmac_f32_e32 v93, v94, v91
	s_delay_alu instid0(VALU_DEP_1) | instskip(NEXT) | instid1(VALU_DEP_1)
	v_fma_f32 v85, -v85, v93, v92
	v_div_fmas_f32 v85, v85, v91, v93
	s_delay_alu instid0(VALU_DEP_1) | instskip(NEXT) | instid1(VALU_DEP_1)
	v_div_fixup_f32 v84, v85, v84, 1.0
	v_mul_f32_e64 v85, v83, -v84
.LBB74_387:
	s_or_b32 exec_lo, exec_lo, s1
.LBB74_388:
	s_delay_alu instid0(SALU_CYCLE_1) | instskip(NEXT) | instid1(SALU_CYCLE_1)
	s_or_b32 exec_lo, exec_lo, s0
	s_mov_b32 s0, exec_lo
	v_cmpx_ne_u32_e64 v90, v82
	s_xor_b32 s0, exec_lo, s0
	s_cbranch_execz .LBB74_394
; %bb.389:
	s_mov_b32 s1, exec_lo
	v_cmpx_eq_u32_e32 18, v90
	s_cbranch_execz .LBB74_393
; %bb.390:
	v_cmp_ne_u32_e32 vcc_lo, 18, v82
	s_xor_b32 s12, s16, -1
	s_delay_alu instid0(SALU_CYCLE_1) | instskip(NEXT) | instid1(SALU_CYCLE_1)
	s_and_b32 s13, s12, vcc_lo
	s_and_saveexec_b32 s12, s13
	s_cbranch_execz .LBB74_392
; %bb.391:
	v_ashrrev_i32_e32 v83, 31, v82
	s_delay_alu instid0(VALU_DEP_1)
	v_lshl_add_u64 v[90:91], v[82:83], 2, v[4:5]
	s_clause 0x1
	global_load_b32 v83, v[90:91], off
	global_load_b32 v89, v[4:5], off offset:72
	s_wait_loadcnt 0x1
	global_store_b32 v[4:5], v83, off offset:72
	s_wait_loadcnt 0x0
	global_store_b32 v[90:91], v89, off
.LBB74_392:
	s_wait_xcnt 0x0
	s_or_b32 exec_lo, exec_lo, s12
	v_dual_mov_b32 v90, v82 :: v_dual_mov_b32 v89, v82
.LBB74_393:
	s_or_b32 exec_lo, exec_lo, s1
.LBB74_394:
	s_and_not1_saveexec_b32 s0, s0
	s_cbranch_execz .LBB74_396
; %bb.395:
	v_mov_b32_e32 v90, 18
	ds_store_2addr_b64 v86, v[48:49], v[68:69] offset0:19 offset1:20
	ds_store_2addr_b64 v86, v[42:43], v[44:45] offset0:21 offset1:22
	;; [unrolled: 1-line block ×9, first 2 shown]
	ds_store_b64 v86, v[80:81] offset:296
.LBB74_396:
	s_or_b32 exec_lo, exec_lo, s0
	s_delay_alu instid0(SALU_CYCLE_1)
	s_mov_b32 s0, exec_lo
	s_wait_storecnt_dscnt 0x0
	s_barrier_signal -1
	s_barrier_wait -1
	v_cmpx_lt_i32_e32 18, v90
	s_cbranch_execz .LBB74_398
; %bb.397:
	v_pk_mul_f32 v[92:93], v[84:85], v[52:53] op_sel:[1,1] op_sel_hi:[0,1]
	s_delay_alu instid0(VALU_DEP_1)
	v_pk_fma_f32 v[82:83], v[84:85], v[52:53], v[92:93] op_sel_hi:[1,0,1] neg_lo:[0,0,1] neg_hi:[0,0,1]
	v_pk_fma_f32 v[84:85], v[84:85], v[52:53], v[92:93] op_sel_hi:[1,0,1]
	ds_load_2addr_b64 v[92:95], v86 offset0:19 offset1:20
	v_dual_mov_b32 v52, v82 :: v_dual_mov_b32 v53, v85
	s_wait_dscnt 0x0
	v_pk_mul_f32 v[96:97], v[92:93], v[84:85] op_sel:[0,1]
	s_delay_alu instid0(VALU_DEP_1) | instskip(SKIP_1) | instid1(VALU_DEP_1)
	v_pk_fma_f32 v[98:99], v[92:93], v[82:83], v[96:97] op_sel:[0,0,1] op_sel_hi:[1,1,0] neg_lo:[0,0,1] neg_hi:[0,0,1]
	v_pk_fma_f32 v[92:93], v[92:93], v[82:83], v[96:97] op_sel:[0,0,1] op_sel_hi:[1,0,0]
	v_mov_b32_e32 v99, v93
	v_pk_mul_f32 v[92:93], v[94:95], v[84:85] op_sel:[0,1]
	s_delay_alu instid0(VALU_DEP_1) | instskip(SKIP_1) | instid1(VALU_DEP_1)
	v_pk_fma_f32 v[96:97], v[94:95], v[82:83], v[92:93] op_sel:[0,0,1] op_sel_hi:[1,1,0] neg_lo:[0,0,1] neg_hi:[0,0,1]
	v_pk_fma_f32 v[92:93], v[94:95], v[82:83], v[92:93] op_sel:[0,0,1] op_sel_hi:[1,0,0]
	v_mov_b32_e32 v97, v93
	ds_load_2addr_b64 v[92:95], v86 offset0:21 offset1:22
	v_pk_add_f32 v[48:49], v[48:49], v[98:99] neg_lo:[0,1] neg_hi:[0,1]
	v_pk_add_f32 v[68:69], v[68:69], v[96:97] neg_lo:[0,1] neg_hi:[0,1]
	s_wait_dscnt 0x0
	v_pk_mul_f32 v[96:97], v[92:93], v[84:85] op_sel:[0,1]
	s_delay_alu instid0(VALU_DEP_1) | instskip(SKIP_2) | instid1(VALU_DEP_2)
	v_pk_fma_f32 v[98:99], v[92:93], v[82:83], v[96:97] op_sel:[0,0,1] op_sel_hi:[1,1,0] neg_lo:[0,0,1] neg_hi:[0,0,1]
	v_pk_fma_f32 v[92:93], v[92:93], v[82:83], v[96:97] op_sel:[0,0,1] op_sel_hi:[1,0,0]
	v_dual_mul_f32 v96, v95, v85 :: v_dual_mov_b32 v92, v95
	v_dual_mov_b32 v99, v93 :: v_dual_mov_b32 v93, v94
	s_delay_alu instid0(VALU_DEP_2) | instskip(SKIP_1) | instid1(VALU_DEP_3)
	v_pk_fma_f32 v[96:97], v[94:95], v[52:53], v[96:97] op_sel_hi:[1,1,0] neg_lo:[0,0,1] neg_hi:[0,0,1]
	v_mul_f32_e32 v94, v95, v82
	v_pk_add_f32 v[42:43], v[42:43], v[98:99] neg_lo:[0,1] neg_hi:[0,1]
	s_delay_alu instid0(VALU_DEP_2) | instskip(NEXT) | instid1(VALU_DEP_1)
	v_pk_fma_f32 v[92:93], v[92:93], v[52:53], v[94:95] op_sel_hi:[1,1,0]
	v_mov_b32_e32 v97, v93
	ds_load_2addr_b64 v[92:95], v86 offset0:23 offset1:24
	v_pk_add_f32 v[44:45], v[44:45], v[96:97] neg_lo:[0,1] neg_hi:[0,1]
	s_wait_dscnt 0x0
	v_pk_mul_f32 v[96:97], v[92:93], v[84:85] op_sel:[0,1]
	s_delay_alu instid0(VALU_DEP_1) | instskip(SKIP_1) | instid1(VALU_DEP_1)
	v_pk_fma_f32 v[98:99], v[92:93], v[82:83], v[96:97] op_sel:[0,0,1] op_sel_hi:[1,1,0] neg_lo:[0,0,1] neg_hi:[0,0,1]
	v_pk_fma_f32 v[92:93], v[92:93], v[82:83], v[96:97] op_sel:[0,0,1] op_sel_hi:[1,0,0]
	v_mov_b32_e32 v99, v93
	v_pk_mul_f32 v[92:93], v[94:95], v[84:85] op_sel:[0,1]
	s_delay_alu instid0(VALU_DEP_1) | instskip(SKIP_1) | instid1(VALU_DEP_1)
	v_pk_fma_f32 v[96:97], v[94:95], v[82:83], v[92:93] op_sel:[0,0,1] op_sel_hi:[1,1,0] neg_lo:[0,0,1] neg_hi:[0,0,1]
	v_pk_fma_f32 v[92:93], v[94:95], v[82:83], v[92:93] op_sel:[0,0,1] op_sel_hi:[1,0,0]
	v_mov_b32_e32 v97, v93
	ds_load_2addr_b64 v[92:95], v86 offset0:25 offset1:26
	v_pk_add_f32 v[40:41], v[40:41], v[98:99] neg_lo:[0,1] neg_hi:[0,1]
	v_pk_add_f32 v[66:67], v[66:67], v[96:97] neg_lo:[0,1] neg_hi:[0,1]
	s_wait_dscnt 0x0
	v_pk_mul_f32 v[96:97], v[92:93], v[84:85] op_sel:[0,1]
	s_delay_alu instid0(VALU_DEP_1) | instskip(SKIP_1) | instid1(VALU_DEP_1)
	v_pk_fma_f32 v[98:99], v[92:93], v[82:83], v[96:97] op_sel:[0,0,1] op_sel_hi:[1,1,0] neg_lo:[0,0,1] neg_hi:[0,0,1]
	v_pk_fma_f32 v[92:93], v[92:93], v[82:83], v[96:97] op_sel:[0,0,1] op_sel_hi:[1,0,0]
	v_mov_b32_e32 v99, v93
	v_pk_mul_f32 v[92:93], v[94:95], v[84:85] op_sel:[0,1]
	s_delay_alu instid0(VALU_DEP_1) | instskip(SKIP_1) | instid1(VALU_DEP_1)
	v_pk_fma_f32 v[96:97], v[94:95], v[82:83], v[92:93] op_sel:[0,0,1] op_sel_hi:[1,1,0] neg_lo:[0,0,1] neg_hi:[0,0,1]
	v_pk_fma_f32 v[92:93], v[94:95], v[82:83], v[92:93] op_sel:[0,0,1] op_sel_hi:[1,0,0]
	v_mov_b32_e32 v97, v93
	ds_load_2addr_b64 v[92:95], v86 offset0:27 offset1:28
	v_pk_add_f32 v[36:37], v[36:37], v[98:99] neg_lo:[0,1] neg_hi:[0,1]
	v_pk_add_f32 v[38:39], v[38:39], v[96:97] neg_lo:[0,1] neg_hi:[0,1]
	s_wait_dscnt 0x0
	v_dual_mul_f32 v96, v93, v85 :: v_dual_mul_f32 v98, v93, v82
	s_delay_alu instid0(VALU_DEP_1) | instskip(NEXT) | instid1(VALU_DEP_2)
	v_pk_fma_f32 v[96:97], v[92:93], v[52:53], v[96:97] op_sel_hi:[1,1,0] neg_lo:[0,0,1] neg_hi:[0,0,1]
	v_pk_fma_f32 v[92:93], v[92:93], v[52:53], v[98:99] op_sel:[1,0,0] op_sel_hi:[0,1,0]
	s_delay_alu instid0(VALU_DEP_1) | instskip(SKIP_1) | instid1(VALU_DEP_2)
	v_mov_b32_e32 v97, v93
	v_pk_mul_f32 v[92:93], v[94:95], v[84:85] op_sel:[0,1]
	v_pk_add_f32 v[34:35], v[34:35], v[96:97] neg_lo:[0,1] neg_hi:[0,1]
	s_delay_alu instid0(VALU_DEP_2) | instskip(SKIP_1) | instid1(VALU_DEP_1)
	v_pk_fma_f32 v[96:97], v[94:95], v[82:83], v[92:93] op_sel:[0,0,1] op_sel_hi:[1,1,0] neg_lo:[0,0,1] neg_hi:[0,0,1]
	v_pk_fma_f32 v[92:93], v[94:95], v[82:83], v[92:93] op_sel:[0,0,1] op_sel_hi:[1,0,0]
	v_mov_b32_e32 v97, v93
	ds_load_2addr_b64 v[92:95], v86 offset0:29 offset1:30
	v_pk_add_f32 v[58:59], v[58:59], v[96:97] neg_lo:[0,1] neg_hi:[0,1]
	s_wait_dscnt 0x0
	v_pk_mul_f32 v[96:97], v[92:93], v[84:85] op_sel:[0,1]
	s_delay_alu instid0(VALU_DEP_1) | instskip(SKIP_1) | instid1(VALU_DEP_1)
	v_pk_fma_f32 v[98:99], v[92:93], v[82:83], v[96:97] op_sel:[0,0,1] op_sel_hi:[1,1,0] neg_lo:[0,0,1] neg_hi:[0,0,1]
	v_pk_fma_f32 v[92:93], v[92:93], v[82:83], v[96:97] op_sel:[0,0,1] op_sel_hi:[1,0,0]
	v_mov_b32_e32 v99, v93
	v_pk_mul_f32 v[92:93], v[94:95], v[84:85] op_sel:[0,1]
	s_delay_alu instid0(VALU_DEP_2) | instskip(NEXT) | instid1(VALU_DEP_2)
	v_pk_add_f32 v[10:11], v[10:11], v[98:99] neg_lo:[0,1] neg_hi:[0,1]
	v_pk_fma_f32 v[96:97], v[94:95], v[82:83], v[92:93] op_sel:[0,0,1] op_sel_hi:[1,1,0] neg_lo:[0,0,1] neg_hi:[0,0,1]
	v_pk_fma_f32 v[92:93], v[94:95], v[82:83], v[92:93] op_sel:[0,0,1] op_sel_hi:[1,0,0]
	s_delay_alu instid0(VALU_DEP_1) | instskip(SKIP_4) | instid1(VALU_DEP_1)
	v_mov_b32_e32 v97, v93
	ds_load_2addr_b64 v[92:95], v86 offset0:31 offset1:32
	v_pk_add_f32 v[12:13], v[12:13], v[96:97] neg_lo:[0,1] neg_hi:[0,1]
	s_wait_dscnt 0x0
	v_pk_mul_f32 v[96:97], v[92:93], v[84:85] op_sel:[0,1]
	v_pk_fma_f32 v[98:99], v[92:93], v[82:83], v[96:97] op_sel:[0,0,1] op_sel_hi:[1,1,0] neg_lo:[0,0,1] neg_hi:[0,0,1]
	v_pk_fma_f32 v[92:93], v[92:93], v[82:83], v[96:97] op_sel:[0,0,1] op_sel_hi:[1,0,0]
	v_dual_mul_f32 v96, v95, v85 :: v_dual_mov_b32 v92, v95
	s_delay_alu instid0(VALU_DEP_2) | instskip(NEXT) | instid1(VALU_DEP_2)
	v_dual_mov_b32 v99, v93 :: v_dual_mov_b32 v93, v94
	v_pk_fma_f32 v[96:97], v[94:95], v[52:53], v[96:97] op_sel_hi:[1,1,0] neg_lo:[0,0,1] neg_hi:[0,0,1]
	v_mul_f32_e32 v94, v95, v82
	s_delay_alu instid0(VALU_DEP_3) | instskip(NEXT) | instid1(VALU_DEP_2)
	v_pk_add_f32 v[8:9], v[8:9], v[98:99] neg_lo:[0,1] neg_hi:[0,1]
	v_pk_fma_f32 v[92:93], v[92:93], v[52:53], v[94:95] op_sel_hi:[1,1,0]
	s_delay_alu instid0(VALU_DEP_1) | instskip(SKIP_4) | instid1(VALU_DEP_1)
	v_mov_b32_e32 v97, v93
	ds_load_2addr_b64 v[92:95], v86 offset0:33 offset1:34
	v_pk_add_f32 v[56:57], v[56:57], v[96:97] neg_lo:[0,1] neg_hi:[0,1]
	s_wait_dscnt 0x0
	v_pk_mul_f32 v[96:97], v[92:93], v[84:85] op_sel:[0,1]
	v_pk_fma_f32 v[98:99], v[92:93], v[82:83], v[96:97] op_sel:[0,0,1] op_sel_hi:[1,1,0] neg_lo:[0,0,1] neg_hi:[0,0,1]
	v_pk_fma_f32 v[92:93], v[92:93], v[82:83], v[96:97] op_sel:[0,0,1] op_sel_hi:[1,0,0]
	s_delay_alu instid0(VALU_DEP_1) | instskip(SKIP_1) | instid1(VALU_DEP_1)
	v_mov_b32_e32 v99, v93
	v_pk_mul_f32 v[92:93], v[94:95], v[84:85] op_sel:[0,1]
	v_pk_fma_f32 v[96:97], v[94:95], v[82:83], v[92:93] op_sel:[0,0,1] op_sel_hi:[1,1,0] neg_lo:[0,0,1] neg_hi:[0,0,1]
	v_pk_fma_f32 v[92:93], v[94:95], v[82:83], v[92:93] op_sel:[0,0,1] op_sel_hi:[1,0,0]
	s_delay_alu instid0(VALU_DEP_1)
	v_mov_b32_e32 v97, v93
	ds_load_2addr_b64 v[92:95], v86 offset0:35 offset1:36
	v_pk_add_f32 v[6:7], v[6:7], v[98:99] neg_lo:[0,1] neg_hi:[0,1]
	v_pk_add_f32 v[54:55], v[54:55], v[96:97] neg_lo:[0,1] neg_hi:[0,1]
	s_wait_dscnt 0x0
	v_pk_mul_f32 v[96:97], v[92:93], v[84:85] op_sel:[0,1]
	s_delay_alu instid0(VALU_DEP_1) | instskip(SKIP_1) | instid1(VALU_DEP_1)
	v_pk_fma_f32 v[98:99], v[92:93], v[82:83], v[96:97] op_sel:[0,0,1] op_sel_hi:[1,1,0] neg_lo:[0,0,1] neg_hi:[0,0,1]
	v_pk_fma_f32 v[92:93], v[92:93], v[82:83], v[96:97] op_sel:[0,0,1] op_sel_hi:[1,0,0]
	v_mov_b32_e32 v99, v93
	v_pk_mul_f32 v[92:93], v[94:95], v[84:85] op_sel:[0,1]
	s_delay_alu instid0(VALU_DEP_1) | instskip(SKIP_1) | instid1(VALU_DEP_1)
	v_pk_fma_f32 v[96:97], v[94:95], v[82:83], v[92:93] op_sel:[0,0,1] op_sel_hi:[1,1,0] neg_lo:[0,0,1] neg_hi:[0,0,1]
	v_pk_fma_f32 v[92:93], v[94:95], v[82:83], v[92:93] op_sel:[0,0,1] op_sel_hi:[1,0,0]
	v_mov_b32_e32 v97, v93
	ds_load_b64 v[92:93], v86 offset:296
	v_pk_add_f32 v[46:47], v[46:47], v[98:99] neg_lo:[0,1] neg_hi:[0,1]
	v_pk_add_f32 v[26:27], v[26:27], v[96:97] neg_lo:[0,1] neg_hi:[0,1]
	s_wait_dscnt 0x0
	v_pk_mul_f32 v[84:85], v[92:93], v[84:85] op_sel:[0,1]
	s_delay_alu instid0(VALU_DEP_1) | instskip(SKIP_1) | instid1(VALU_DEP_1)
	v_pk_fma_f32 v[94:95], v[92:93], v[82:83], v[84:85] op_sel:[0,0,1] op_sel_hi:[1,1,0] neg_lo:[0,0,1] neg_hi:[0,0,1]
	v_pk_fma_f32 v[82:83], v[92:93], v[82:83], v[84:85] op_sel:[0,0,1] op_sel_hi:[1,0,0]
	v_mov_b32_e32 v95, v83
	s_delay_alu instid0(VALU_DEP_1)
	v_pk_add_f32 v[80:81], v[80:81], v[94:95] neg_lo:[0,1] neg_hi:[0,1]
.LBB74_398:
	s_or_b32 exec_lo, exec_lo, s0
	v_lshl_add_u32 v82, v90, 3, v86
	s_barrier_signal -1
	s_barrier_wait -1
	ds_store_b64 v82, v[48:49]
	s_wait_dscnt 0x0
	s_barrier_signal -1
	s_barrier_wait -1
	ds_load_b64 v[82:83], v86 offset:152
	v_mov_b32_e32 v84, 19
	s_cmp_lt_i32 s18, 21
	s_cbranch_scc1 .LBB74_401
; %bb.399:
	v_add3_u32 v85, v87, 0, 0xa0
	v_mov_b32_e32 v84, 19
	s_mov_b32 s0, 20
.LBB74_400:                             ; =>This Inner Loop Header: Depth=1
	ds_load_b64 v[92:93], v85
	s_wait_dscnt 0x1
	v_cmp_gt_f32_e32 vcc_lo, 0, v82
	v_cndmask_b32_e64 v94, v82, -v82, vcc_lo
	v_cmp_gt_f32_e32 vcc_lo, 0, v83
	v_cndmask_b32_e64 v96, v83, -v83, vcc_lo
	s_wait_dscnt 0x0
	v_cmp_gt_f32_e32 vcc_lo, 0, v92
	v_cndmask_b32_e64 v95, v92, -v92, vcc_lo
	v_cmp_gt_f32_e32 vcc_lo, 0, v93
	v_cndmask_b32_e64 v97, v93, -v93, vcc_lo
	s_delay_alu instid0(VALU_DEP_1) | instskip(NEXT) | instid1(VALU_DEP_1)
	v_pk_add_f32 v[94:95], v[94:95], v[96:97]
	v_cmp_lt_f32_e32 vcc_lo, v94, v95
	v_dual_cndmask_b32 v82, v82, v92 :: v_dual_add_nc_u32 v85, 8, v85
	v_cndmask_b32_e32 v83, v83, v93, vcc_lo
	v_cndmask_b32_e64 v84, v84, s0, vcc_lo
	s_add_co_i32 s0, s0, 1
	s_delay_alu instid0(SALU_CYCLE_1)
	s_cmp_lg_u32 s18, s0
	s_cbranch_scc1 .LBB74_400
.LBB74_401:
	s_wait_dscnt 0x0
	v_cmp_eq_f32_e32 vcc_lo, 0, v82
	v_cmp_eq_f32_e64 s0, 0, v83
	s_and_b32 s0, vcc_lo, s0
	s_delay_alu instid0(SALU_CYCLE_1) | instskip(NEXT) | instid1(SALU_CYCLE_1)
	s_and_saveexec_b32 s1, s0
	s_xor_b32 s0, exec_lo, s1
; %bb.402:
	v_cmp_ne_u32_e32 vcc_lo, 0, v88
	v_cndmask_b32_e32 v88, 20, v88, vcc_lo
; %bb.403:
	s_and_not1_saveexec_b32 s0, s0
	s_cbranch_execz .LBB74_409
; %bb.404:
	v_cmp_ngt_f32_e64 s1, |v82|, |v83|
	s_and_saveexec_b32 s12, s1
	s_delay_alu instid0(SALU_CYCLE_1)
	s_xor_b32 s1, exec_lo, s12
	s_cbranch_execz .LBB74_406
; %bb.405:
	v_div_scale_f32 v85, null, v83, v83, v82
	v_div_scale_f32 v93, vcc_lo, v82, v83, v82
	s_delay_alu instid0(VALU_DEP_2) | instskip(SKIP_1) | instid1(TRANS32_DEP_1)
	v_rcp_f32_e32 v91, v85
	v_nop
	v_fma_f32 v92, -v85, v91, 1.0
	s_delay_alu instid0(VALU_DEP_1) | instskip(NEXT) | instid1(VALU_DEP_1)
	v_fmac_f32_e32 v91, v92, v91
	v_mul_f32_e32 v92, v93, v91
	s_delay_alu instid0(VALU_DEP_1) | instskip(NEXT) | instid1(VALU_DEP_1)
	v_fma_f32 v94, -v85, v92, v93
	v_fmac_f32_e32 v92, v94, v91
	s_delay_alu instid0(VALU_DEP_1) | instskip(NEXT) | instid1(VALU_DEP_1)
	v_fma_f32 v85, -v85, v92, v93
	v_div_fmas_f32 v85, v85, v91, v92
	s_delay_alu instid0(VALU_DEP_1) | instskip(NEXT) | instid1(VALU_DEP_1)
	v_div_fixup_f32 v85, v85, v83, v82
	v_fmac_f32_e32 v83, v82, v85
	s_delay_alu instid0(VALU_DEP_1) | instskip(SKIP_1) | instid1(VALU_DEP_2)
	v_div_scale_f32 v82, null, v83, v83, 1.0
	v_div_scale_f32 v93, vcc_lo, 1.0, v83, 1.0
	v_rcp_f32_e32 v91, v82
	v_nop
	s_delay_alu instid0(TRANS32_DEP_1) | instskip(NEXT) | instid1(VALU_DEP_1)
	v_fma_f32 v92, -v82, v91, 1.0
	v_fmac_f32_e32 v91, v92, v91
	s_delay_alu instid0(VALU_DEP_1) | instskip(NEXT) | instid1(VALU_DEP_1)
	v_mul_f32_e32 v92, v93, v91
	v_fma_f32 v94, -v82, v92, v93
	s_delay_alu instid0(VALU_DEP_1) | instskip(NEXT) | instid1(VALU_DEP_1)
	v_fmac_f32_e32 v92, v94, v91
	v_fma_f32 v82, -v82, v92, v93
	s_delay_alu instid0(VALU_DEP_1) | instskip(NEXT) | instid1(VALU_DEP_1)
	v_div_fmas_f32 v82, v82, v91, v92
	v_div_fixup_f32 v83, v82, v83, 1.0
	s_delay_alu instid0(VALU_DEP_1)
	v_mul_f32_e32 v82, v85, v83
	v_xor_b32_e32 v83, 0x80000000, v83
.LBB74_406:
	s_and_not1_saveexec_b32 s1, s1
	s_cbranch_execz .LBB74_408
; %bb.407:
	s_delay_alu instid0(VALU_DEP_1) | instskip(SKIP_1) | instid1(VALU_DEP_2)
	v_div_scale_f32 v85, null, v82, v82, v83
	v_div_scale_f32 v93, vcc_lo, v83, v82, v83
	v_rcp_f32_e32 v91, v85
	v_nop
	s_delay_alu instid0(TRANS32_DEP_1) | instskip(NEXT) | instid1(VALU_DEP_1)
	v_fma_f32 v92, -v85, v91, 1.0
	v_fmac_f32_e32 v91, v92, v91
	s_delay_alu instid0(VALU_DEP_1) | instskip(NEXT) | instid1(VALU_DEP_1)
	v_mul_f32_e32 v92, v93, v91
	v_fma_f32 v94, -v85, v92, v93
	s_delay_alu instid0(VALU_DEP_1) | instskip(NEXT) | instid1(VALU_DEP_1)
	v_fmac_f32_e32 v92, v94, v91
	v_fma_f32 v85, -v85, v92, v93
	s_delay_alu instid0(VALU_DEP_1) | instskip(NEXT) | instid1(VALU_DEP_1)
	v_div_fmas_f32 v85, v85, v91, v92
	v_div_fixup_f32 v85, v85, v82, v83
	s_delay_alu instid0(VALU_DEP_1) | instskip(NEXT) | instid1(VALU_DEP_1)
	v_fmac_f32_e32 v82, v83, v85
	v_div_scale_f32 v83, null, v82, v82, 1.0
	s_delay_alu instid0(VALU_DEP_1) | instskip(SKIP_1) | instid1(TRANS32_DEP_1)
	v_rcp_f32_e32 v91, v83
	v_nop
	v_fma_f32 v92, -v83, v91, 1.0
	s_delay_alu instid0(VALU_DEP_1) | instskip(SKIP_1) | instid1(VALU_DEP_1)
	v_fmac_f32_e32 v91, v92, v91
	v_div_scale_f32 v92, vcc_lo, 1.0, v82, 1.0
	v_mul_f32_e32 v93, v92, v91
	s_delay_alu instid0(VALU_DEP_1) | instskip(NEXT) | instid1(VALU_DEP_1)
	v_fma_f32 v94, -v83, v93, v92
	v_fmac_f32_e32 v93, v94, v91
	s_delay_alu instid0(VALU_DEP_1) | instskip(NEXT) | instid1(VALU_DEP_1)
	v_fma_f32 v83, -v83, v93, v92
	v_div_fmas_f32 v83, v83, v91, v93
	s_delay_alu instid0(VALU_DEP_1) | instskip(NEXT) | instid1(VALU_DEP_1)
	v_div_fixup_f32 v82, v83, v82, 1.0
	v_mul_f32_e64 v83, v85, -v82
.LBB74_408:
	s_or_b32 exec_lo, exec_lo, s1
.LBB74_409:
	s_delay_alu instid0(SALU_CYCLE_1) | instskip(NEXT) | instid1(SALU_CYCLE_1)
	s_or_b32 exec_lo, exec_lo, s0
	s_mov_b32 s0, exec_lo
	v_cmpx_ne_u32_e64 v90, v84
	s_xor_b32 s0, exec_lo, s0
	s_cbranch_execz .LBB74_415
; %bb.410:
	s_mov_b32 s1, exec_lo
	v_cmpx_eq_u32_e32 19, v90
	s_cbranch_execz .LBB74_414
; %bb.411:
	v_cmp_ne_u32_e32 vcc_lo, 19, v84
	s_xor_b32 s12, s16, -1
	s_delay_alu instid0(SALU_CYCLE_1) | instskip(NEXT) | instid1(SALU_CYCLE_1)
	s_and_b32 s13, s12, vcc_lo
	s_and_saveexec_b32 s12, s13
	s_cbranch_execz .LBB74_413
; %bb.412:
	v_ashrrev_i32_e32 v85, 31, v84
	s_delay_alu instid0(VALU_DEP_1)
	v_lshl_add_u64 v[90:91], v[84:85], 2, v[4:5]
	s_clause 0x1
	global_load_b32 v85, v[90:91], off
	global_load_b32 v89, v[4:5], off offset:76
	s_wait_loadcnt 0x1
	global_store_b32 v[4:5], v85, off offset:76
	s_wait_loadcnt 0x0
	global_store_b32 v[90:91], v89, off
.LBB74_413:
	s_wait_xcnt 0x0
	s_or_b32 exec_lo, exec_lo, s12
	v_dual_mov_b32 v90, v84 :: v_dual_mov_b32 v89, v84
.LBB74_414:
	s_or_b32 exec_lo, exec_lo, s1
.LBB74_415:
	s_and_not1_saveexec_b32 s0, s0
	s_cbranch_execz .LBB74_417
; %bb.416:
	v_dual_mov_b32 v84, v68 :: v_dual_mov_b32 v85, v69
	v_dual_mov_b32 v90, v42 :: v_dual_mov_b32 v91, v43
	;; [unrolled: 1-line block ×8, first 2 shown]
	ds_store_2addr_b64 v86, v[84:85], v[90:91] offset0:20 offset1:21
	ds_store_2addr_b64 v86, v[92:93], v[94:95] offset0:22 offset1:23
	;; [unrolled: 1-line block ×4, first 2 shown]
	v_dual_mov_b32 v84, v58 :: v_dual_mov_b32 v85, v59
	v_dual_mov_b32 v92, v10 :: v_dual_mov_b32 v93, v11
	;; [unrolled: 1-line block ×9, first 2 shown]
	v_mov_b32_e32 v107, v27
	ds_store_2addr_b64 v86, v[84:85], v[92:93] offset0:28 offset1:29
	ds_store_2addr_b64 v86, v[94:95], v[96:97] offset0:30 offset1:31
	;; [unrolled: 1-line block ×5, first 2 shown]
.LBB74_417:
	s_or_b32 exec_lo, exec_lo, s0
	s_delay_alu instid0(SALU_CYCLE_1)
	s_mov_b32 s0, exec_lo
	s_wait_storecnt_dscnt 0x0
	s_barrier_signal -1
	s_barrier_wait -1
	v_cmpx_lt_i32_e32 19, v90
	s_cbranch_execz .LBB74_419
; %bb.418:
	v_pk_mul_f32 v[92:93], v[82:83], v[48:49] op_sel:[1,1] op_sel_hi:[0,1]
	s_delay_alu instid0(VALU_DEP_1)
	v_pk_fma_f32 v[84:85], v[82:83], v[48:49], v[92:93] op_sel_hi:[1,0,1] neg_lo:[0,0,1] neg_hi:[0,0,1]
	v_pk_fma_f32 v[82:83], v[82:83], v[48:49], v[92:93] op_sel_hi:[1,0,1]
	ds_load_2addr_b64 v[92:95], v86 offset0:20 offset1:21
	v_dual_mov_b32 v48, v84 :: v_dual_mov_b32 v49, v83
	s_wait_dscnt 0x0
	v_pk_mul_f32 v[96:97], v[92:93], v[82:83] op_sel:[0,1]
	s_delay_alu instid0(VALU_DEP_1) | instskip(SKIP_1) | instid1(VALU_DEP_1)
	v_pk_fma_f32 v[98:99], v[92:93], v[84:85], v[96:97] op_sel:[0,0,1] op_sel_hi:[1,1,0] neg_lo:[0,0,1] neg_hi:[0,0,1]
	v_pk_fma_f32 v[92:93], v[92:93], v[84:85], v[96:97] op_sel:[0,0,1] op_sel_hi:[1,0,0]
	v_mov_b32_e32 v99, v93
	v_pk_mul_f32 v[92:93], v[94:95], v[82:83] op_sel:[0,1]
	s_delay_alu instid0(VALU_DEP_1) | instskip(SKIP_1) | instid1(VALU_DEP_1)
	v_pk_fma_f32 v[96:97], v[94:95], v[84:85], v[92:93] op_sel:[0,0,1] op_sel_hi:[1,1,0] neg_lo:[0,0,1] neg_hi:[0,0,1]
	v_pk_fma_f32 v[92:93], v[94:95], v[84:85], v[92:93] op_sel:[0,0,1] op_sel_hi:[1,0,0]
	v_mov_b32_e32 v97, v93
	ds_load_2addr_b64 v[92:95], v86 offset0:22 offset1:23
	v_pk_add_f32 v[68:69], v[68:69], v[98:99] neg_lo:[0,1] neg_hi:[0,1]
	v_pk_add_f32 v[42:43], v[42:43], v[96:97] neg_lo:[0,1] neg_hi:[0,1]
	s_wait_dscnt 0x0
	v_pk_mul_f32 v[96:97], v[92:93], v[82:83] op_sel:[0,1]
	s_delay_alu instid0(VALU_DEP_1) | instskip(SKIP_2) | instid1(VALU_DEP_2)
	v_pk_fma_f32 v[98:99], v[92:93], v[84:85], v[96:97] op_sel:[0,0,1] op_sel_hi:[1,1,0] neg_lo:[0,0,1] neg_hi:[0,0,1]
	v_pk_fma_f32 v[92:93], v[92:93], v[84:85], v[96:97] op_sel:[0,0,1] op_sel_hi:[1,0,0]
	v_dual_mul_f32 v96, v95, v83 :: v_dual_mov_b32 v92, v95
	v_dual_mov_b32 v99, v93 :: v_dual_mov_b32 v93, v94
	s_delay_alu instid0(VALU_DEP_2) | instskip(SKIP_1) | instid1(VALU_DEP_3)
	v_pk_fma_f32 v[96:97], v[94:95], v[48:49], v[96:97] op_sel_hi:[1,1,0] neg_lo:[0,0,1] neg_hi:[0,0,1]
	v_mul_f32_e32 v94, v95, v84
	v_pk_add_f32 v[44:45], v[44:45], v[98:99] neg_lo:[0,1] neg_hi:[0,1]
	s_delay_alu instid0(VALU_DEP_2) | instskip(NEXT) | instid1(VALU_DEP_1)
	v_pk_fma_f32 v[92:93], v[92:93], v[48:49], v[94:95] op_sel_hi:[1,1,0]
	v_mov_b32_e32 v97, v93
	ds_load_2addr_b64 v[92:95], v86 offset0:24 offset1:25
	v_pk_add_f32 v[40:41], v[40:41], v[96:97] neg_lo:[0,1] neg_hi:[0,1]
	s_wait_dscnt 0x0
	v_pk_mul_f32 v[96:97], v[92:93], v[82:83] op_sel:[0,1]
	s_delay_alu instid0(VALU_DEP_1) | instskip(SKIP_1) | instid1(VALU_DEP_1)
	v_pk_fma_f32 v[98:99], v[92:93], v[84:85], v[96:97] op_sel:[0,0,1] op_sel_hi:[1,1,0] neg_lo:[0,0,1] neg_hi:[0,0,1]
	v_pk_fma_f32 v[92:93], v[92:93], v[84:85], v[96:97] op_sel:[0,0,1] op_sel_hi:[1,0,0]
	v_mov_b32_e32 v99, v93
	v_pk_mul_f32 v[92:93], v[94:95], v[82:83] op_sel:[0,1]
	s_delay_alu instid0(VALU_DEP_1) | instskip(SKIP_1) | instid1(VALU_DEP_1)
	v_pk_fma_f32 v[96:97], v[94:95], v[84:85], v[92:93] op_sel:[0,0,1] op_sel_hi:[1,1,0] neg_lo:[0,0,1] neg_hi:[0,0,1]
	v_pk_fma_f32 v[92:93], v[94:95], v[84:85], v[92:93] op_sel:[0,0,1] op_sel_hi:[1,0,0]
	v_mov_b32_e32 v97, v93
	ds_load_2addr_b64 v[92:95], v86 offset0:26 offset1:27
	v_pk_add_f32 v[66:67], v[66:67], v[98:99] neg_lo:[0,1] neg_hi:[0,1]
	v_pk_add_f32 v[36:37], v[36:37], v[96:97] neg_lo:[0,1] neg_hi:[0,1]
	s_wait_dscnt 0x0
	v_pk_mul_f32 v[96:97], v[92:93], v[82:83] op_sel:[0,1]
	s_delay_alu instid0(VALU_DEP_1) | instskip(SKIP_1) | instid1(VALU_DEP_1)
	v_pk_fma_f32 v[98:99], v[92:93], v[84:85], v[96:97] op_sel:[0,0,1] op_sel_hi:[1,1,0] neg_lo:[0,0,1] neg_hi:[0,0,1]
	v_pk_fma_f32 v[92:93], v[92:93], v[84:85], v[96:97] op_sel:[0,0,1] op_sel_hi:[1,0,0]
	v_mov_b32_e32 v99, v93
	v_pk_mul_f32 v[92:93], v[94:95], v[82:83] op_sel:[0,1]
	s_delay_alu instid0(VALU_DEP_1) | instskip(SKIP_1) | instid1(VALU_DEP_1)
	v_pk_fma_f32 v[96:97], v[94:95], v[84:85], v[92:93] op_sel:[0,0,1] op_sel_hi:[1,1,0] neg_lo:[0,0,1] neg_hi:[0,0,1]
	v_pk_fma_f32 v[92:93], v[94:95], v[84:85], v[92:93] op_sel:[0,0,1] op_sel_hi:[1,0,0]
	v_mov_b32_e32 v97, v93
	ds_load_2addr_b64 v[92:95], v86 offset0:28 offset1:29
	v_pk_add_f32 v[38:39], v[38:39], v[98:99] neg_lo:[0,1] neg_hi:[0,1]
	v_pk_add_f32 v[34:35], v[34:35], v[96:97] neg_lo:[0,1] neg_hi:[0,1]
	s_wait_dscnt 0x0
	v_dual_mul_f32 v96, v93, v83 :: v_dual_mul_f32 v98, v93, v84
	s_delay_alu instid0(VALU_DEP_1) | instskip(NEXT) | instid1(VALU_DEP_2)
	v_pk_fma_f32 v[96:97], v[92:93], v[48:49], v[96:97] op_sel_hi:[1,1,0] neg_lo:[0,0,1] neg_hi:[0,0,1]
	v_pk_fma_f32 v[92:93], v[92:93], v[48:49], v[98:99] op_sel:[1,0,0] op_sel_hi:[0,1,0]
	s_delay_alu instid0(VALU_DEP_1) | instskip(SKIP_1) | instid1(VALU_DEP_2)
	v_mov_b32_e32 v97, v93
	v_pk_mul_f32 v[92:93], v[94:95], v[82:83] op_sel:[0,1]
	v_pk_add_f32 v[58:59], v[58:59], v[96:97] neg_lo:[0,1] neg_hi:[0,1]
	s_delay_alu instid0(VALU_DEP_2) | instskip(SKIP_1) | instid1(VALU_DEP_1)
	v_pk_fma_f32 v[96:97], v[94:95], v[84:85], v[92:93] op_sel:[0,0,1] op_sel_hi:[1,1,0] neg_lo:[0,0,1] neg_hi:[0,0,1]
	v_pk_fma_f32 v[92:93], v[94:95], v[84:85], v[92:93] op_sel:[0,0,1] op_sel_hi:[1,0,0]
	v_mov_b32_e32 v97, v93
	ds_load_2addr_b64 v[92:95], v86 offset0:30 offset1:31
	v_pk_add_f32 v[10:11], v[10:11], v[96:97] neg_lo:[0,1] neg_hi:[0,1]
	s_wait_dscnt 0x0
	v_pk_mul_f32 v[96:97], v[92:93], v[82:83] op_sel:[0,1]
	s_delay_alu instid0(VALU_DEP_1) | instskip(SKIP_1) | instid1(VALU_DEP_1)
	v_pk_fma_f32 v[98:99], v[92:93], v[84:85], v[96:97] op_sel:[0,0,1] op_sel_hi:[1,1,0] neg_lo:[0,0,1] neg_hi:[0,0,1]
	v_pk_fma_f32 v[92:93], v[92:93], v[84:85], v[96:97] op_sel:[0,0,1] op_sel_hi:[1,0,0]
	v_mov_b32_e32 v99, v93
	v_pk_mul_f32 v[92:93], v[94:95], v[82:83] op_sel:[0,1]
	s_delay_alu instid0(VALU_DEP_2) | instskip(NEXT) | instid1(VALU_DEP_2)
	v_pk_add_f32 v[12:13], v[12:13], v[98:99] neg_lo:[0,1] neg_hi:[0,1]
	v_pk_fma_f32 v[96:97], v[94:95], v[84:85], v[92:93] op_sel:[0,0,1] op_sel_hi:[1,1,0] neg_lo:[0,0,1] neg_hi:[0,0,1]
	v_pk_fma_f32 v[92:93], v[94:95], v[84:85], v[92:93] op_sel:[0,0,1] op_sel_hi:[1,0,0]
	s_delay_alu instid0(VALU_DEP_1) | instskip(SKIP_4) | instid1(VALU_DEP_1)
	v_mov_b32_e32 v97, v93
	ds_load_2addr_b64 v[92:95], v86 offset0:32 offset1:33
	v_pk_add_f32 v[8:9], v[8:9], v[96:97] neg_lo:[0,1] neg_hi:[0,1]
	s_wait_dscnt 0x0
	v_pk_mul_f32 v[96:97], v[92:93], v[82:83] op_sel:[0,1]
	v_pk_fma_f32 v[98:99], v[92:93], v[84:85], v[96:97] op_sel:[0,0,1] op_sel_hi:[1,1,0] neg_lo:[0,0,1] neg_hi:[0,0,1]
	v_pk_fma_f32 v[92:93], v[92:93], v[84:85], v[96:97] op_sel:[0,0,1] op_sel_hi:[1,0,0]
	v_dual_mul_f32 v96, v95, v83 :: v_dual_mov_b32 v92, v95
	s_delay_alu instid0(VALU_DEP_2) | instskip(NEXT) | instid1(VALU_DEP_2)
	v_dual_mov_b32 v99, v93 :: v_dual_mov_b32 v93, v94
	v_pk_fma_f32 v[96:97], v[94:95], v[48:49], v[96:97] op_sel_hi:[1,1,0] neg_lo:[0,0,1] neg_hi:[0,0,1]
	v_mul_f32_e32 v94, v95, v84
	s_delay_alu instid0(VALU_DEP_3) | instskip(NEXT) | instid1(VALU_DEP_2)
	v_pk_add_f32 v[56:57], v[56:57], v[98:99] neg_lo:[0,1] neg_hi:[0,1]
	v_pk_fma_f32 v[92:93], v[92:93], v[48:49], v[94:95] op_sel_hi:[1,1,0]
	s_delay_alu instid0(VALU_DEP_1) | instskip(SKIP_4) | instid1(VALU_DEP_1)
	v_mov_b32_e32 v97, v93
	ds_load_2addr_b64 v[92:95], v86 offset0:34 offset1:35
	v_pk_add_f32 v[6:7], v[6:7], v[96:97] neg_lo:[0,1] neg_hi:[0,1]
	s_wait_dscnt 0x0
	v_pk_mul_f32 v[96:97], v[92:93], v[82:83] op_sel:[0,1]
	v_pk_fma_f32 v[98:99], v[92:93], v[84:85], v[96:97] op_sel:[0,0,1] op_sel_hi:[1,1,0] neg_lo:[0,0,1] neg_hi:[0,0,1]
	v_pk_fma_f32 v[92:93], v[92:93], v[84:85], v[96:97] op_sel:[0,0,1] op_sel_hi:[1,0,0]
	s_delay_alu instid0(VALU_DEP_1) | instskip(SKIP_1) | instid1(VALU_DEP_1)
	v_mov_b32_e32 v99, v93
	v_pk_mul_f32 v[92:93], v[94:95], v[82:83] op_sel:[0,1]
	v_pk_fma_f32 v[96:97], v[94:95], v[84:85], v[92:93] op_sel:[0,0,1] op_sel_hi:[1,1,0] neg_lo:[0,0,1] neg_hi:[0,0,1]
	v_pk_fma_f32 v[92:93], v[94:95], v[84:85], v[92:93] op_sel:[0,0,1] op_sel_hi:[1,0,0]
	s_delay_alu instid0(VALU_DEP_1)
	v_mov_b32_e32 v97, v93
	ds_load_2addr_b64 v[92:95], v86 offset0:36 offset1:37
	v_pk_add_f32 v[54:55], v[54:55], v[98:99] neg_lo:[0,1] neg_hi:[0,1]
	v_pk_add_f32 v[46:47], v[46:47], v[96:97] neg_lo:[0,1] neg_hi:[0,1]
	s_wait_dscnt 0x0
	v_pk_mul_f32 v[96:97], v[92:93], v[82:83] op_sel:[0,1]
	v_mul_f32_e32 v82, v95, v83
	s_delay_alu instid0(VALU_DEP_2) | instskip(SKIP_2) | instid1(VALU_DEP_4)
	v_pk_fma_f32 v[98:99], v[92:93], v[84:85], v[96:97] op_sel:[0,0,1] op_sel_hi:[1,1,0] neg_lo:[0,0,1] neg_hi:[0,0,1]
	v_pk_fma_f32 v[92:93], v[92:93], v[84:85], v[96:97] op_sel:[0,0,1] op_sel_hi:[1,0,0]
	v_dual_mov_b32 v92, v95 :: v_dual_mul_f32 v84, v95, v84
	v_pk_fma_f32 v[82:83], v[94:95], v[48:49], v[82:83] op_sel_hi:[1,1,0] neg_lo:[0,0,1] neg_hi:[0,0,1]
	s_delay_alu instid0(VALU_DEP_3) | instskip(NEXT) | instid1(VALU_DEP_1)
	v_dual_mov_b32 v99, v93 :: v_dual_mov_b32 v93, v94
	v_pk_add_f32 v[26:27], v[26:27], v[98:99] neg_lo:[0,1] neg_hi:[0,1]
	s_delay_alu instid0(VALU_DEP_2) | instskip(NEXT) | instid1(VALU_DEP_1)
	v_pk_fma_f32 v[84:85], v[92:93], v[48:49], v[84:85] op_sel_hi:[1,1,0]
	v_mov_b32_e32 v83, v85
	s_delay_alu instid0(VALU_DEP_1)
	v_pk_add_f32 v[80:81], v[80:81], v[82:83] neg_lo:[0,1] neg_hi:[0,1]
.LBB74_419:
	s_or_b32 exec_lo, exec_lo, s0
	v_lshl_add_u32 v82, v90, 3, v86
	s_barrier_signal -1
	s_barrier_wait -1
	ds_store_b64 v82, v[68:69]
	s_wait_dscnt 0x0
	s_barrier_signal -1
	s_barrier_wait -1
	ds_load_b64 v[82:83], v86 offset:160
	v_mov_b32_e32 v84, 20
	s_cmp_lt_i32 s18, 22
	s_cbranch_scc1 .LBB74_422
; %bb.420:
	v_add3_u32 v85, v87, 0, 0xa8
	v_mov_b32_e32 v84, 20
	s_mov_b32 s0, 21
.LBB74_421:                             ; =>This Inner Loop Header: Depth=1
	ds_load_b64 v[92:93], v85
	s_wait_dscnt 0x1
	v_cmp_gt_f32_e32 vcc_lo, 0, v82
	v_cndmask_b32_e64 v94, v82, -v82, vcc_lo
	v_cmp_gt_f32_e32 vcc_lo, 0, v83
	v_cndmask_b32_e64 v96, v83, -v83, vcc_lo
	s_wait_dscnt 0x0
	v_cmp_gt_f32_e32 vcc_lo, 0, v92
	v_cndmask_b32_e64 v95, v92, -v92, vcc_lo
	v_cmp_gt_f32_e32 vcc_lo, 0, v93
	v_cndmask_b32_e64 v97, v93, -v93, vcc_lo
	s_delay_alu instid0(VALU_DEP_1) | instskip(NEXT) | instid1(VALU_DEP_1)
	v_pk_add_f32 v[94:95], v[94:95], v[96:97]
	v_cmp_lt_f32_e32 vcc_lo, v94, v95
	v_dual_cndmask_b32 v82, v82, v92 :: v_dual_add_nc_u32 v85, 8, v85
	v_cndmask_b32_e32 v83, v83, v93, vcc_lo
	v_cndmask_b32_e64 v84, v84, s0, vcc_lo
	s_add_co_i32 s0, s0, 1
	s_delay_alu instid0(SALU_CYCLE_1)
	s_cmp_lg_u32 s18, s0
	s_cbranch_scc1 .LBB74_421
.LBB74_422:
	s_wait_dscnt 0x0
	v_cmp_eq_f32_e32 vcc_lo, 0, v82
	v_cmp_eq_f32_e64 s0, 0, v83
	s_and_b32 s0, vcc_lo, s0
	s_delay_alu instid0(SALU_CYCLE_1) | instskip(NEXT) | instid1(SALU_CYCLE_1)
	s_and_saveexec_b32 s1, s0
	s_xor_b32 s0, exec_lo, s1
; %bb.423:
	v_cmp_ne_u32_e32 vcc_lo, 0, v88
	v_cndmask_b32_e32 v88, 21, v88, vcc_lo
; %bb.424:
	s_and_not1_saveexec_b32 s0, s0
	s_cbranch_execz .LBB74_430
; %bb.425:
	v_cmp_ngt_f32_e64 s1, |v82|, |v83|
	s_and_saveexec_b32 s12, s1
	s_delay_alu instid0(SALU_CYCLE_1)
	s_xor_b32 s1, exec_lo, s12
	s_cbranch_execz .LBB74_427
; %bb.426:
	v_div_scale_f32 v85, null, v83, v83, v82
	v_div_scale_f32 v93, vcc_lo, v82, v83, v82
	s_delay_alu instid0(VALU_DEP_2) | instskip(SKIP_1) | instid1(TRANS32_DEP_1)
	v_rcp_f32_e32 v91, v85
	v_nop
	v_fma_f32 v92, -v85, v91, 1.0
	s_delay_alu instid0(VALU_DEP_1) | instskip(NEXT) | instid1(VALU_DEP_1)
	v_fmac_f32_e32 v91, v92, v91
	v_mul_f32_e32 v92, v93, v91
	s_delay_alu instid0(VALU_DEP_1) | instskip(NEXT) | instid1(VALU_DEP_1)
	v_fma_f32 v94, -v85, v92, v93
	v_fmac_f32_e32 v92, v94, v91
	s_delay_alu instid0(VALU_DEP_1) | instskip(NEXT) | instid1(VALU_DEP_1)
	v_fma_f32 v85, -v85, v92, v93
	v_div_fmas_f32 v85, v85, v91, v92
	s_delay_alu instid0(VALU_DEP_1) | instskip(NEXT) | instid1(VALU_DEP_1)
	v_div_fixup_f32 v85, v85, v83, v82
	v_fmac_f32_e32 v83, v82, v85
	s_delay_alu instid0(VALU_DEP_1) | instskip(SKIP_1) | instid1(VALU_DEP_2)
	v_div_scale_f32 v82, null, v83, v83, 1.0
	v_div_scale_f32 v93, vcc_lo, 1.0, v83, 1.0
	v_rcp_f32_e32 v91, v82
	v_nop
	s_delay_alu instid0(TRANS32_DEP_1) | instskip(NEXT) | instid1(VALU_DEP_1)
	v_fma_f32 v92, -v82, v91, 1.0
	v_fmac_f32_e32 v91, v92, v91
	s_delay_alu instid0(VALU_DEP_1) | instskip(NEXT) | instid1(VALU_DEP_1)
	v_mul_f32_e32 v92, v93, v91
	v_fma_f32 v94, -v82, v92, v93
	s_delay_alu instid0(VALU_DEP_1) | instskip(NEXT) | instid1(VALU_DEP_1)
	v_fmac_f32_e32 v92, v94, v91
	v_fma_f32 v82, -v82, v92, v93
	s_delay_alu instid0(VALU_DEP_1) | instskip(NEXT) | instid1(VALU_DEP_1)
	v_div_fmas_f32 v82, v82, v91, v92
	v_div_fixup_f32 v83, v82, v83, 1.0
	s_delay_alu instid0(VALU_DEP_1)
	v_mul_f32_e32 v82, v85, v83
	v_xor_b32_e32 v83, 0x80000000, v83
.LBB74_427:
	s_and_not1_saveexec_b32 s1, s1
	s_cbranch_execz .LBB74_429
; %bb.428:
	s_delay_alu instid0(VALU_DEP_1) | instskip(SKIP_1) | instid1(VALU_DEP_2)
	v_div_scale_f32 v85, null, v82, v82, v83
	v_div_scale_f32 v93, vcc_lo, v83, v82, v83
	v_rcp_f32_e32 v91, v85
	v_nop
	s_delay_alu instid0(TRANS32_DEP_1) | instskip(NEXT) | instid1(VALU_DEP_1)
	v_fma_f32 v92, -v85, v91, 1.0
	v_fmac_f32_e32 v91, v92, v91
	s_delay_alu instid0(VALU_DEP_1) | instskip(NEXT) | instid1(VALU_DEP_1)
	v_mul_f32_e32 v92, v93, v91
	v_fma_f32 v94, -v85, v92, v93
	s_delay_alu instid0(VALU_DEP_1) | instskip(NEXT) | instid1(VALU_DEP_1)
	v_fmac_f32_e32 v92, v94, v91
	v_fma_f32 v85, -v85, v92, v93
	s_delay_alu instid0(VALU_DEP_1) | instskip(NEXT) | instid1(VALU_DEP_1)
	v_div_fmas_f32 v85, v85, v91, v92
	v_div_fixup_f32 v85, v85, v82, v83
	s_delay_alu instid0(VALU_DEP_1) | instskip(NEXT) | instid1(VALU_DEP_1)
	v_fmac_f32_e32 v82, v83, v85
	v_div_scale_f32 v83, null, v82, v82, 1.0
	s_delay_alu instid0(VALU_DEP_1) | instskip(SKIP_1) | instid1(TRANS32_DEP_1)
	v_rcp_f32_e32 v91, v83
	v_nop
	v_fma_f32 v92, -v83, v91, 1.0
	s_delay_alu instid0(VALU_DEP_1) | instskip(SKIP_1) | instid1(VALU_DEP_1)
	v_fmac_f32_e32 v91, v92, v91
	v_div_scale_f32 v92, vcc_lo, 1.0, v82, 1.0
	v_mul_f32_e32 v93, v92, v91
	s_delay_alu instid0(VALU_DEP_1) | instskip(NEXT) | instid1(VALU_DEP_1)
	v_fma_f32 v94, -v83, v93, v92
	v_fmac_f32_e32 v93, v94, v91
	s_delay_alu instid0(VALU_DEP_1) | instskip(NEXT) | instid1(VALU_DEP_1)
	v_fma_f32 v83, -v83, v93, v92
	v_div_fmas_f32 v83, v83, v91, v93
	s_delay_alu instid0(VALU_DEP_1) | instskip(NEXT) | instid1(VALU_DEP_1)
	v_div_fixup_f32 v82, v83, v82, 1.0
	v_mul_f32_e64 v83, v85, -v82
.LBB74_429:
	s_or_b32 exec_lo, exec_lo, s1
.LBB74_430:
	s_delay_alu instid0(SALU_CYCLE_1) | instskip(NEXT) | instid1(SALU_CYCLE_1)
	s_or_b32 exec_lo, exec_lo, s0
	s_mov_b32 s0, exec_lo
	v_cmpx_ne_u32_e64 v90, v84
	s_xor_b32 s0, exec_lo, s0
	s_cbranch_execz .LBB74_436
; %bb.431:
	s_mov_b32 s1, exec_lo
	v_cmpx_eq_u32_e32 20, v90
	s_cbranch_execz .LBB74_435
; %bb.432:
	v_cmp_ne_u32_e32 vcc_lo, 20, v84
	s_xor_b32 s12, s16, -1
	s_delay_alu instid0(SALU_CYCLE_1) | instskip(NEXT) | instid1(SALU_CYCLE_1)
	s_and_b32 s13, s12, vcc_lo
	s_and_saveexec_b32 s12, s13
	s_cbranch_execz .LBB74_434
; %bb.433:
	v_ashrrev_i32_e32 v85, 31, v84
	s_delay_alu instid0(VALU_DEP_1)
	v_lshl_add_u64 v[90:91], v[84:85], 2, v[4:5]
	s_clause 0x1
	global_load_b32 v85, v[90:91], off
	global_load_b32 v89, v[4:5], off offset:80
	s_wait_loadcnt 0x1
	global_store_b32 v[4:5], v85, off offset:80
	s_wait_loadcnt 0x0
	global_store_b32 v[90:91], v89, off
.LBB74_434:
	s_wait_xcnt 0x0
	s_or_b32 exec_lo, exec_lo, s12
	v_dual_mov_b32 v90, v84 :: v_dual_mov_b32 v89, v84
.LBB74_435:
	s_or_b32 exec_lo, exec_lo, s1
.LBB74_436:
	s_and_not1_saveexec_b32 s0, s0
	s_cbranch_execz .LBB74_438
; %bb.437:
	v_mov_b32_e32 v90, 20
	ds_store_2addr_b64 v86, v[42:43], v[44:45] offset0:21 offset1:22
	ds_store_2addr_b64 v86, v[40:41], v[66:67] offset0:23 offset1:24
	;; [unrolled: 1-line block ×8, first 2 shown]
	ds_store_b64 v86, v[80:81] offset:296
.LBB74_438:
	s_or_b32 exec_lo, exec_lo, s0
	s_delay_alu instid0(SALU_CYCLE_1)
	s_mov_b32 s0, exec_lo
	s_wait_storecnt_dscnt 0x0
	s_barrier_signal -1
	s_barrier_wait -1
	v_cmpx_lt_i32_e32 20, v90
	s_cbranch_execz .LBB74_440
; %bb.439:
	v_pk_mul_f32 v[92:93], v[82:83], v[68:69] op_sel:[1,1] op_sel_hi:[0,1]
	s_delay_alu instid0(VALU_DEP_1)
	v_pk_fma_f32 v[84:85], v[82:83], v[68:69], v[92:93] op_sel_hi:[1,0,1] neg_lo:[0,0,1] neg_hi:[0,0,1]
	v_pk_fma_f32 v[82:83], v[82:83], v[68:69], v[92:93] op_sel_hi:[1,0,1]
	ds_load_2addr_b64 v[92:95], v86 offset0:21 offset1:22
	v_dual_mov_b32 v68, v84 :: v_dual_mov_b32 v69, v83
	s_wait_dscnt 0x0
	v_pk_mul_f32 v[96:97], v[92:93], v[82:83] op_sel:[0,1]
	s_delay_alu instid0(VALU_DEP_1) | instskip(SKIP_1) | instid1(VALU_DEP_1)
	v_pk_fma_f32 v[98:99], v[92:93], v[84:85], v[96:97] op_sel:[0,0,1] op_sel_hi:[1,1,0] neg_lo:[0,0,1] neg_hi:[0,0,1]
	v_pk_fma_f32 v[92:93], v[92:93], v[84:85], v[96:97] op_sel:[0,0,1] op_sel_hi:[1,0,0]
	v_mov_b32_e32 v99, v93
	v_pk_mul_f32 v[92:93], v[94:95], v[82:83] op_sel:[0,1]
	s_delay_alu instid0(VALU_DEP_1) | instskip(SKIP_1) | instid1(VALU_DEP_1)
	v_pk_fma_f32 v[96:97], v[94:95], v[84:85], v[92:93] op_sel:[0,0,1] op_sel_hi:[1,1,0] neg_lo:[0,0,1] neg_hi:[0,0,1]
	v_pk_fma_f32 v[92:93], v[94:95], v[84:85], v[92:93] op_sel:[0,0,1] op_sel_hi:[1,0,0]
	v_mov_b32_e32 v97, v93
	ds_load_2addr_b64 v[92:95], v86 offset0:23 offset1:24
	v_pk_add_f32 v[42:43], v[42:43], v[98:99] neg_lo:[0,1] neg_hi:[0,1]
	v_pk_add_f32 v[44:45], v[44:45], v[96:97] neg_lo:[0,1] neg_hi:[0,1]
	s_wait_dscnt 0x0
	v_pk_mul_f32 v[96:97], v[92:93], v[82:83] op_sel:[0,1]
	s_delay_alu instid0(VALU_DEP_1) | instskip(SKIP_2) | instid1(VALU_DEP_2)
	v_pk_fma_f32 v[98:99], v[92:93], v[84:85], v[96:97] op_sel:[0,0,1] op_sel_hi:[1,1,0] neg_lo:[0,0,1] neg_hi:[0,0,1]
	v_pk_fma_f32 v[92:93], v[92:93], v[84:85], v[96:97] op_sel:[0,0,1] op_sel_hi:[1,0,0]
	v_dual_mul_f32 v96, v95, v83 :: v_dual_mov_b32 v92, v95
	v_dual_mov_b32 v99, v93 :: v_dual_mov_b32 v93, v94
	s_delay_alu instid0(VALU_DEP_2) | instskip(SKIP_1) | instid1(VALU_DEP_3)
	v_pk_fma_f32 v[96:97], v[94:95], v[68:69], v[96:97] op_sel_hi:[1,1,0] neg_lo:[0,0,1] neg_hi:[0,0,1]
	v_mul_f32_e32 v94, v95, v84
	v_pk_add_f32 v[40:41], v[40:41], v[98:99] neg_lo:[0,1] neg_hi:[0,1]
	s_delay_alu instid0(VALU_DEP_2) | instskip(NEXT) | instid1(VALU_DEP_1)
	v_pk_fma_f32 v[92:93], v[92:93], v[68:69], v[94:95] op_sel_hi:[1,1,0]
	v_mov_b32_e32 v97, v93
	ds_load_2addr_b64 v[92:95], v86 offset0:25 offset1:26
	v_pk_add_f32 v[66:67], v[66:67], v[96:97] neg_lo:[0,1] neg_hi:[0,1]
	s_wait_dscnt 0x0
	v_pk_mul_f32 v[96:97], v[92:93], v[82:83] op_sel:[0,1]
	s_delay_alu instid0(VALU_DEP_1) | instskip(SKIP_1) | instid1(VALU_DEP_1)
	v_pk_fma_f32 v[98:99], v[92:93], v[84:85], v[96:97] op_sel:[0,0,1] op_sel_hi:[1,1,0] neg_lo:[0,0,1] neg_hi:[0,0,1]
	v_pk_fma_f32 v[92:93], v[92:93], v[84:85], v[96:97] op_sel:[0,0,1] op_sel_hi:[1,0,0]
	v_mov_b32_e32 v99, v93
	v_pk_mul_f32 v[92:93], v[94:95], v[82:83] op_sel:[0,1]
	s_delay_alu instid0(VALU_DEP_1) | instskip(SKIP_1) | instid1(VALU_DEP_1)
	v_pk_fma_f32 v[96:97], v[94:95], v[84:85], v[92:93] op_sel:[0,0,1] op_sel_hi:[1,1,0] neg_lo:[0,0,1] neg_hi:[0,0,1]
	v_pk_fma_f32 v[92:93], v[94:95], v[84:85], v[92:93] op_sel:[0,0,1] op_sel_hi:[1,0,0]
	v_mov_b32_e32 v97, v93
	ds_load_2addr_b64 v[92:95], v86 offset0:27 offset1:28
	v_pk_add_f32 v[36:37], v[36:37], v[98:99] neg_lo:[0,1] neg_hi:[0,1]
	v_pk_add_f32 v[38:39], v[38:39], v[96:97] neg_lo:[0,1] neg_hi:[0,1]
	s_wait_dscnt 0x0
	v_pk_mul_f32 v[96:97], v[92:93], v[82:83] op_sel:[0,1]
	s_delay_alu instid0(VALU_DEP_1) | instskip(SKIP_1) | instid1(VALU_DEP_1)
	v_pk_fma_f32 v[98:99], v[92:93], v[84:85], v[96:97] op_sel:[0,0,1] op_sel_hi:[1,1,0] neg_lo:[0,0,1] neg_hi:[0,0,1]
	v_pk_fma_f32 v[92:93], v[92:93], v[84:85], v[96:97] op_sel:[0,0,1] op_sel_hi:[1,0,0]
	v_mov_b32_e32 v99, v93
	v_pk_mul_f32 v[92:93], v[94:95], v[82:83] op_sel:[0,1]
	s_delay_alu instid0(VALU_DEP_1) | instskip(SKIP_1) | instid1(VALU_DEP_1)
	v_pk_fma_f32 v[96:97], v[94:95], v[84:85], v[92:93] op_sel:[0,0,1] op_sel_hi:[1,1,0] neg_lo:[0,0,1] neg_hi:[0,0,1]
	v_pk_fma_f32 v[92:93], v[94:95], v[84:85], v[92:93] op_sel:[0,0,1] op_sel_hi:[1,0,0]
	v_mov_b32_e32 v97, v93
	ds_load_2addr_b64 v[92:95], v86 offset0:29 offset1:30
	v_pk_add_f32 v[34:35], v[34:35], v[98:99] neg_lo:[0,1] neg_hi:[0,1]
	v_pk_add_f32 v[58:59], v[58:59], v[96:97] neg_lo:[0,1] neg_hi:[0,1]
	s_wait_dscnt 0x0
	v_dual_mul_f32 v96, v93, v83 :: v_dual_mul_f32 v98, v93, v84
	s_delay_alu instid0(VALU_DEP_1) | instskip(NEXT) | instid1(VALU_DEP_2)
	v_pk_fma_f32 v[96:97], v[92:93], v[68:69], v[96:97] op_sel_hi:[1,1,0] neg_lo:[0,0,1] neg_hi:[0,0,1]
	v_pk_fma_f32 v[92:93], v[92:93], v[68:69], v[98:99] op_sel:[1,0,0] op_sel_hi:[0,1,0]
	s_delay_alu instid0(VALU_DEP_1) | instskip(SKIP_1) | instid1(VALU_DEP_2)
	v_mov_b32_e32 v97, v93
	v_pk_mul_f32 v[92:93], v[94:95], v[82:83] op_sel:[0,1]
	v_pk_add_f32 v[10:11], v[10:11], v[96:97] neg_lo:[0,1] neg_hi:[0,1]
	s_delay_alu instid0(VALU_DEP_2) | instskip(SKIP_1) | instid1(VALU_DEP_1)
	v_pk_fma_f32 v[96:97], v[94:95], v[84:85], v[92:93] op_sel:[0,0,1] op_sel_hi:[1,1,0] neg_lo:[0,0,1] neg_hi:[0,0,1]
	v_pk_fma_f32 v[92:93], v[94:95], v[84:85], v[92:93] op_sel:[0,0,1] op_sel_hi:[1,0,0]
	v_mov_b32_e32 v97, v93
	ds_load_2addr_b64 v[92:95], v86 offset0:31 offset1:32
	v_pk_add_f32 v[12:13], v[12:13], v[96:97] neg_lo:[0,1] neg_hi:[0,1]
	s_wait_dscnt 0x0
	v_pk_mul_f32 v[96:97], v[92:93], v[82:83] op_sel:[0,1]
	s_delay_alu instid0(VALU_DEP_1) | instskip(SKIP_1) | instid1(VALU_DEP_1)
	v_pk_fma_f32 v[98:99], v[92:93], v[84:85], v[96:97] op_sel:[0,0,1] op_sel_hi:[1,1,0] neg_lo:[0,0,1] neg_hi:[0,0,1]
	v_pk_fma_f32 v[92:93], v[92:93], v[84:85], v[96:97] op_sel:[0,0,1] op_sel_hi:[1,0,0]
	v_mov_b32_e32 v99, v93
	v_pk_mul_f32 v[92:93], v[94:95], v[82:83] op_sel:[0,1]
	s_delay_alu instid0(VALU_DEP_2) | instskip(NEXT) | instid1(VALU_DEP_2)
	v_pk_add_f32 v[8:9], v[8:9], v[98:99] neg_lo:[0,1] neg_hi:[0,1]
	v_pk_fma_f32 v[96:97], v[94:95], v[84:85], v[92:93] op_sel:[0,0,1] op_sel_hi:[1,1,0] neg_lo:[0,0,1] neg_hi:[0,0,1]
	v_pk_fma_f32 v[92:93], v[94:95], v[84:85], v[92:93] op_sel:[0,0,1] op_sel_hi:[1,0,0]
	s_delay_alu instid0(VALU_DEP_1) | instskip(SKIP_4) | instid1(VALU_DEP_1)
	v_mov_b32_e32 v97, v93
	ds_load_2addr_b64 v[92:95], v86 offset0:33 offset1:34
	v_pk_add_f32 v[56:57], v[56:57], v[96:97] neg_lo:[0,1] neg_hi:[0,1]
	s_wait_dscnt 0x0
	v_pk_mul_f32 v[96:97], v[92:93], v[82:83] op_sel:[0,1]
	v_pk_fma_f32 v[98:99], v[92:93], v[84:85], v[96:97] op_sel:[0,0,1] op_sel_hi:[1,1,0] neg_lo:[0,0,1] neg_hi:[0,0,1]
	v_pk_fma_f32 v[92:93], v[92:93], v[84:85], v[96:97] op_sel:[0,0,1] op_sel_hi:[1,0,0]
	v_dual_mul_f32 v96, v95, v83 :: v_dual_mov_b32 v92, v95
	s_delay_alu instid0(VALU_DEP_2) | instskip(NEXT) | instid1(VALU_DEP_2)
	v_dual_mov_b32 v99, v93 :: v_dual_mov_b32 v93, v94
	v_pk_fma_f32 v[96:97], v[94:95], v[68:69], v[96:97] op_sel_hi:[1,1,0] neg_lo:[0,0,1] neg_hi:[0,0,1]
	v_mul_f32_e32 v94, v95, v84
	s_delay_alu instid0(VALU_DEP_3) | instskip(NEXT) | instid1(VALU_DEP_2)
	v_pk_add_f32 v[6:7], v[6:7], v[98:99] neg_lo:[0,1] neg_hi:[0,1]
	v_pk_fma_f32 v[92:93], v[92:93], v[68:69], v[94:95] op_sel_hi:[1,1,0]
	s_delay_alu instid0(VALU_DEP_1) | instskip(SKIP_4) | instid1(VALU_DEP_1)
	v_mov_b32_e32 v97, v93
	ds_load_2addr_b64 v[92:95], v86 offset0:35 offset1:36
	v_pk_add_f32 v[54:55], v[54:55], v[96:97] neg_lo:[0,1] neg_hi:[0,1]
	s_wait_dscnt 0x0
	v_pk_mul_f32 v[96:97], v[92:93], v[82:83] op_sel:[0,1]
	v_pk_fma_f32 v[98:99], v[92:93], v[84:85], v[96:97] op_sel:[0,0,1] op_sel_hi:[1,1,0] neg_lo:[0,0,1] neg_hi:[0,0,1]
	v_pk_fma_f32 v[92:93], v[92:93], v[84:85], v[96:97] op_sel:[0,0,1] op_sel_hi:[1,0,0]
	s_delay_alu instid0(VALU_DEP_1) | instskip(SKIP_1) | instid1(VALU_DEP_1)
	v_mov_b32_e32 v99, v93
	v_pk_mul_f32 v[92:93], v[94:95], v[82:83] op_sel:[0,1]
	v_pk_fma_f32 v[96:97], v[94:95], v[84:85], v[92:93] op_sel:[0,0,1] op_sel_hi:[1,1,0] neg_lo:[0,0,1] neg_hi:[0,0,1]
	v_pk_fma_f32 v[92:93], v[94:95], v[84:85], v[92:93] op_sel:[0,0,1] op_sel_hi:[1,0,0]
	s_delay_alu instid0(VALU_DEP_1)
	v_mov_b32_e32 v97, v93
	ds_load_b64 v[92:93], v86 offset:296
	v_pk_add_f32 v[46:47], v[46:47], v[98:99] neg_lo:[0,1] neg_hi:[0,1]
	v_pk_add_f32 v[26:27], v[26:27], v[96:97] neg_lo:[0,1] neg_hi:[0,1]
	s_wait_dscnt 0x0
	v_pk_mul_f32 v[82:83], v[92:93], v[82:83] op_sel:[0,1]
	s_delay_alu instid0(VALU_DEP_1) | instskip(SKIP_1) | instid1(VALU_DEP_1)
	v_pk_fma_f32 v[94:95], v[92:93], v[84:85], v[82:83] op_sel:[0,0,1] op_sel_hi:[1,1,0] neg_lo:[0,0,1] neg_hi:[0,0,1]
	v_pk_fma_f32 v[82:83], v[92:93], v[84:85], v[82:83] op_sel:[0,0,1] op_sel_hi:[1,0,0]
	v_mov_b32_e32 v95, v83
	s_delay_alu instid0(VALU_DEP_1)
	v_pk_add_f32 v[80:81], v[80:81], v[94:95] neg_lo:[0,1] neg_hi:[0,1]
.LBB74_440:
	s_or_b32 exec_lo, exec_lo, s0
	v_lshl_add_u32 v82, v90, 3, v86
	s_barrier_signal -1
	s_barrier_wait -1
	ds_store_b64 v82, v[42:43]
	s_wait_dscnt 0x0
	s_barrier_signal -1
	s_barrier_wait -1
	ds_load_b64 v[82:83], v86 offset:168
	v_mov_b32_e32 v84, 21
	s_cmp_lt_i32 s18, 23
	s_cbranch_scc1 .LBB74_443
; %bb.441:
	v_add3_u32 v85, v87, 0, 0xb0
	v_mov_b32_e32 v84, 21
	s_mov_b32 s0, 22
.LBB74_442:                             ; =>This Inner Loop Header: Depth=1
	ds_load_b64 v[92:93], v85
	s_wait_dscnt 0x1
	v_cmp_gt_f32_e32 vcc_lo, 0, v82
	v_cndmask_b32_e64 v94, v82, -v82, vcc_lo
	v_cmp_gt_f32_e32 vcc_lo, 0, v83
	v_cndmask_b32_e64 v96, v83, -v83, vcc_lo
	s_wait_dscnt 0x0
	v_cmp_gt_f32_e32 vcc_lo, 0, v92
	v_cndmask_b32_e64 v95, v92, -v92, vcc_lo
	v_cmp_gt_f32_e32 vcc_lo, 0, v93
	v_cndmask_b32_e64 v97, v93, -v93, vcc_lo
	s_delay_alu instid0(VALU_DEP_1) | instskip(NEXT) | instid1(VALU_DEP_1)
	v_pk_add_f32 v[94:95], v[94:95], v[96:97]
	v_cmp_lt_f32_e32 vcc_lo, v94, v95
	v_dual_cndmask_b32 v82, v82, v92 :: v_dual_add_nc_u32 v85, 8, v85
	v_cndmask_b32_e32 v83, v83, v93, vcc_lo
	v_cndmask_b32_e64 v84, v84, s0, vcc_lo
	s_add_co_i32 s0, s0, 1
	s_delay_alu instid0(SALU_CYCLE_1)
	s_cmp_lg_u32 s18, s0
	s_cbranch_scc1 .LBB74_442
.LBB74_443:
	s_wait_dscnt 0x0
	v_cmp_eq_f32_e32 vcc_lo, 0, v82
	v_cmp_eq_f32_e64 s0, 0, v83
	s_and_b32 s0, vcc_lo, s0
	s_delay_alu instid0(SALU_CYCLE_1) | instskip(NEXT) | instid1(SALU_CYCLE_1)
	s_and_saveexec_b32 s1, s0
	s_xor_b32 s0, exec_lo, s1
; %bb.444:
	v_cmp_ne_u32_e32 vcc_lo, 0, v88
	v_cndmask_b32_e32 v88, 22, v88, vcc_lo
; %bb.445:
	s_and_not1_saveexec_b32 s0, s0
	s_cbranch_execz .LBB74_451
; %bb.446:
	v_cmp_ngt_f32_e64 s1, |v82|, |v83|
	s_and_saveexec_b32 s12, s1
	s_delay_alu instid0(SALU_CYCLE_1)
	s_xor_b32 s1, exec_lo, s12
	s_cbranch_execz .LBB74_448
; %bb.447:
	v_div_scale_f32 v85, null, v83, v83, v82
	v_div_scale_f32 v93, vcc_lo, v82, v83, v82
	s_delay_alu instid0(VALU_DEP_2) | instskip(SKIP_1) | instid1(TRANS32_DEP_1)
	v_rcp_f32_e32 v91, v85
	v_nop
	v_fma_f32 v92, -v85, v91, 1.0
	s_delay_alu instid0(VALU_DEP_1) | instskip(NEXT) | instid1(VALU_DEP_1)
	v_fmac_f32_e32 v91, v92, v91
	v_mul_f32_e32 v92, v93, v91
	s_delay_alu instid0(VALU_DEP_1) | instskip(NEXT) | instid1(VALU_DEP_1)
	v_fma_f32 v94, -v85, v92, v93
	v_fmac_f32_e32 v92, v94, v91
	s_delay_alu instid0(VALU_DEP_1) | instskip(NEXT) | instid1(VALU_DEP_1)
	v_fma_f32 v85, -v85, v92, v93
	v_div_fmas_f32 v85, v85, v91, v92
	s_delay_alu instid0(VALU_DEP_1) | instskip(NEXT) | instid1(VALU_DEP_1)
	v_div_fixup_f32 v85, v85, v83, v82
	v_fmac_f32_e32 v83, v82, v85
	s_delay_alu instid0(VALU_DEP_1) | instskip(SKIP_1) | instid1(VALU_DEP_2)
	v_div_scale_f32 v82, null, v83, v83, 1.0
	v_div_scale_f32 v93, vcc_lo, 1.0, v83, 1.0
	v_rcp_f32_e32 v91, v82
	v_nop
	s_delay_alu instid0(TRANS32_DEP_1) | instskip(NEXT) | instid1(VALU_DEP_1)
	v_fma_f32 v92, -v82, v91, 1.0
	v_fmac_f32_e32 v91, v92, v91
	s_delay_alu instid0(VALU_DEP_1) | instskip(NEXT) | instid1(VALU_DEP_1)
	v_mul_f32_e32 v92, v93, v91
	v_fma_f32 v94, -v82, v92, v93
	s_delay_alu instid0(VALU_DEP_1) | instskip(NEXT) | instid1(VALU_DEP_1)
	v_fmac_f32_e32 v92, v94, v91
	v_fma_f32 v82, -v82, v92, v93
	s_delay_alu instid0(VALU_DEP_1) | instskip(NEXT) | instid1(VALU_DEP_1)
	v_div_fmas_f32 v82, v82, v91, v92
	v_div_fixup_f32 v83, v82, v83, 1.0
	s_delay_alu instid0(VALU_DEP_1)
	v_mul_f32_e32 v82, v85, v83
	v_xor_b32_e32 v83, 0x80000000, v83
.LBB74_448:
	s_and_not1_saveexec_b32 s1, s1
	s_cbranch_execz .LBB74_450
; %bb.449:
	s_delay_alu instid0(VALU_DEP_1) | instskip(SKIP_1) | instid1(VALU_DEP_2)
	v_div_scale_f32 v85, null, v82, v82, v83
	v_div_scale_f32 v93, vcc_lo, v83, v82, v83
	v_rcp_f32_e32 v91, v85
	v_nop
	s_delay_alu instid0(TRANS32_DEP_1) | instskip(NEXT) | instid1(VALU_DEP_1)
	v_fma_f32 v92, -v85, v91, 1.0
	v_fmac_f32_e32 v91, v92, v91
	s_delay_alu instid0(VALU_DEP_1) | instskip(NEXT) | instid1(VALU_DEP_1)
	v_mul_f32_e32 v92, v93, v91
	v_fma_f32 v94, -v85, v92, v93
	s_delay_alu instid0(VALU_DEP_1) | instskip(NEXT) | instid1(VALU_DEP_1)
	v_fmac_f32_e32 v92, v94, v91
	v_fma_f32 v85, -v85, v92, v93
	s_delay_alu instid0(VALU_DEP_1) | instskip(NEXT) | instid1(VALU_DEP_1)
	v_div_fmas_f32 v85, v85, v91, v92
	v_div_fixup_f32 v85, v85, v82, v83
	s_delay_alu instid0(VALU_DEP_1) | instskip(NEXT) | instid1(VALU_DEP_1)
	v_fmac_f32_e32 v82, v83, v85
	v_div_scale_f32 v83, null, v82, v82, 1.0
	s_delay_alu instid0(VALU_DEP_1) | instskip(SKIP_1) | instid1(TRANS32_DEP_1)
	v_rcp_f32_e32 v91, v83
	v_nop
	v_fma_f32 v92, -v83, v91, 1.0
	s_delay_alu instid0(VALU_DEP_1) | instskip(SKIP_1) | instid1(VALU_DEP_1)
	v_fmac_f32_e32 v91, v92, v91
	v_div_scale_f32 v92, vcc_lo, 1.0, v82, 1.0
	v_mul_f32_e32 v93, v92, v91
	s_delay_alu instid0(VALU_DEP_1) | instskip(NEXT) | instid1(VALU_DEP_1)
	v_fma_f32 v94, -v83, v93, v92
	v_fmac_f32_e32 v93, v94, v91
	s_delay_alu instid0(VALU_DEP_1) | instskip(NEXT) | instid1(VALU_DEP_1)
	v_fma_f32 v83, -v83, v93, v92
	v_div_fmas_f32 v83, v83, v91, v93
	s_delay_alu instid0(VALU_DEP_1) | instskip(NEXT) | instid1(VALU_DEP_1)
	v_div_fixup_f32 v82, v83, v82, 1.0
	v_mul_f32_e64 v83, v85, -v82
.LBB74_450:
	s_or_b32 exec_lo, exec_lo, s1
.LBB74_451:
	s_delay_alu instid0(SALU_CYCLE_1) | instskip(NEXT) | instid1(SALU_CYCLE_1)
	s_or_b32 exec_lo, exec_lo, s0
	s_mov_b32 s0, exec_lo
	v_cmpx_ne_u32_e64 v90, v84
	s_xor_b32 s0, exec_lo, s0
	s_cbranch_execz .LBB74_457
; %bb.452:
	s_mov_b32 s1, exec_lo
	v_cmpx_eq_u32_e32 21, v90
	s_cbranch_execz .LBB74_456
; %bb.453:
	v_cmp_ne_u32_e32 vcc_lo, 21, v84
	s_xor_b32 s12, s16, -1
	s_delay_alu instid0(SALU_CYCLE_1) | instskip(NEXT) | instid1(SALU_CYCLE_1)
	s_and_b32 s13, s12, vcc_lo
	s_and_saveexec_b32 s12, s13
	s_cbranch_execz .LBB74_455
; %bb.454:
	v_ashrrev_i32_e32 v85, 31, v84
	s_delay_alu instid0(VALU_DEP_1)
	v_lshl_add_u64 v[90:91], v[84:85], 2, v[4:5]
	s_clause 0x1
	global_load_b32 v85, v[90:91], off
	global_load_b32 v89, v[4:5], off offset:84
	s_wait_loadcnt 0x1
	global_store_b32 v[4:5], v85, off offset:84
	s_wait_loadcnt 0x0
	global_store_b32 v[90:91], v89, off
.LBB74_455:
	s_wait_xcnt 0x0
	s_or_b32 exec_lo, exec_lo, s12
	v_dual_mov_b32 v90, v84 :: v_dual_mov_b32 v89, v84
.LBB74_456:
	s_or_b32 exec_lo, exec_lo, s1
.LBB74_457:
	s_and_not1_saveexec_b32 s0, s0
	s_cbranch_execz .LBB74_459
; %bb.458:
	v_dual_mov_b32 v84, v44 :: v_dual_mov_b32 v85, v45
	v_dual_mov_b32 v90, v40 :: v_dual_mov_b32 v91, v41
	;; [unrolled: 1-line block ×8, first 2 shown]
	ds_store_2addr_b64 v86, v[84:85], v[90:91] offset0:22 offset1:23
	ds_store_2addr_b64 v86, v[92:93], v[94:95] offset0:24 offset1:25
	;; [unrolled: 1-line block ×4, first 2 shown]
	v_dual_mov_b32 v84, v12 :: v_dual_mov_b32 v85, v13
	v_dual_mov_b32 v92, v8 :: v_dual_mov_b32 v93, v9
	;; [unrolled: 1-line block ×7, first 2 shown]
	v_mov_b32_e32 v103, v27
	ds_store_2addr_b64 v86, v[84:85], v[92:93] offset0:30 offset1:31
	ds_store_2addr_b64 v86, v[94:95], v[96:97] offset0:32 offset1:33
	;; [unrolled: 1-line block ×4, first 2 shown]
.LBB74_459:
	s_or_b32 exec_lo, exec_lo, s0
	s_delay_alu instid0(SALU_CYCLE_1)
	s_mov_b32 s0, exec_lo
	s_wait_storecnt_dscnt 0x0
	s_barrier_signal -1
	s_barrier_wait -1
	v_cmpx_lt_i32_e32 21, v90
	s_cbranch_execz .LBB74_461
; %bb.460:
	v_pk_mul_f32 v[92:93], v[82:83], v[42:43] op_sel:[1,1] op_sel_hi:[0,1]
	s_delay_alu instid0(VALU_DEP_1)
	v_pk_fma_f32 v[84:85], v[82:83], v[42:43], v[92:93] op_sel_hi:[1,0,1] neg_lo:[0,0,1] neg_hi:[0,0,1]
	v_pk_fma_f32 v[82:83], v[82:83], v[42:43], v[92:93] op_sel_hi:[1,0,1]
	ds_load_2addr_b64 v[92:95], v86 offset0:22 offset1:23
	v_dual_mov_b32 v42, v84 :: v_dual_mov_b32 v43, v83
	s_wait_dscnt 0x0
	v_pk_mul_f32 v[96:97], v[92:93], v[82:83] op_sel:[0,1]
	s_delay_alu instid0(VALU_DEP_1) | instskip(SKIP_1) | instid1(VALU_DEP_1)
	v_pk_fma_f32 v[98:99], v[92:93], v[84:85], v[96:97] op_sel:[0,0,1] op_sel_hi:[1,1,0] neg_lo:[0,0,1] neg_hi:[0,0,1]
	v_pk_fma_f32 v[92:93], v[92:93], v[84:85], v[96:97] op_sel:[0,0,1] op_sel_hi:[1,0,0]
	v_mov_b32_e32 v99, v93
	v_pk_mul_f32 v[92:93], v[94:95], v[82:83] op_sel:[0,1]
	s_delay_alu instid0(VALU_DEP_1) | instskip(SKIP_1) | instid1(VALU_DEP_1)
	v_pk_fma_f32 v[96:97], v[94:95], v[84:85], v[92:93] op_sel:[0,0,1] op_sel_hi:[1,1,0] neg_lo:[0,0,1] neg_hi:[0,0,1]
	v_pk_fma_f32 v[92:93], v[94:95], v[84:85], v[92:93] op_sel:[0,0,1] op_sel_hi:[1,0,0]
	v_mov_b32_e32 v97, v93
	ds_load_2addr_b64 v[92:95], v86 offset0:24 offset1:25
	v_pk_add_f32 v[44:45], v[44:45], v[98:99] neg_lo:[0,1] neg_hi:[0,1]
	v_pk_add_f32 v[40:41], v[40:41], v[96:97] neg_lo:[0,1] neg_hi:[0,1]
	s_wait_dscnt 0x0
	v_pk_mul_f32 v[96:97], v[92:93], v[82:83] op_sel:[0,1]
	s_delay_alu instid0(VALU_DEP_1) | instskip(SKIP_2) | instid1(VALU_DEP_2)
	v_pk_fma_f32 v[98:99], v[92:93], v[84:85], v[96:97] op_sel:[0,0,1] op_sel_hi:[1,1,0] neg_lo:[0,0,1] neg_hi:[0,0,1]
	v_pk_fma_f32 v[92:93], v[92:93], v[84:85], v[96:97] op_sel:[0,0,1] op_sel_hi:[1,0,0]
	v_dual_mul_f32 v96, v95, v83 :: v_dual_mov_b32 v92, v95
	v_dual_mov_b32 v99, v93 :: v_dual_mov_b32 v93, v94
	s_delay_alu instid0(VALU_DEP_2) | instskip(SKIP_1) | instid1(VALU_DEP_3)
	v_pk_fma_f32 v[96:97], v[94:95], v[42:43], v[96:97] op_sel_hi:[1,1,0] neg_lo:[0,0,1] neg_hi:[0,0,1]
	v_mul_f32_e32 v94, v95, v84
	v_pk_add_f32 v[66:67], v[66:67], v[98:99] neg_lo:[0,1] neg_hi:[0,1]
	s_delay_alu instid0(VALU_DEP_2) | instskip(NEXT) | instid1(VALU_DEP_1)
	v_pk_fma_f32 v[92:93], v[92:93], v[42:43], v[94:95] op_sel_hi:[1,1,0]
	v_mov_b32_e32 v97, v93
	ds_load_2addr_b64 v[92:95], v86 offset0:26 offset1:27
	v_pk_add_f32 v[36:37], v[36:37], v[96:97] neg_lo:[0,1] neg_hi:[0,1]
	s_wait_dscnt 0x0
	v_pk_mul_f32 v[96:97], v[92:93], v[82:83] op_sel:[0,1]
	s_delay_alu instid0(VALU_DEP_1) | instskip(SKIP_1) | instid1(VALU_DEP_1)
	v_pk_fma_f32 v[98:99], v[92:93], v[84:85], v[96:97] op_sel:[0,0,1] op_sel_hi:[1,1,0] neg_lo:[0,0,1] neg_hi:[0,0,1]
	v_pk_fma_f32 v[92:93], v[92:93], v[84:85], v[96:97] op_sel:[0,0,1] op_sel_hi:[1,0,0]
	v_mov_b32_e32 v99, v93
	v_pk_mul_f32 v[92:93], v[94:95], v[82:83] op_sel:[0,1]
	s_delay_alu instid0(VALU_DEP_1) | instskip(SKIP_1) | instid1(VALU_DEP_1)
	v_pk_fma_f32 v[96:97], v[94:95], v[84:85], v[92:93] op_sel:[0,0,1] op_sel_hi:[1,1,0] neg_lo:[0,0,1] neg_hi:[0,0,1]
	v_pk_fma_f32 v[92:93], v[94:95], v[84:85], v[92:93] op_sel:[0,0,1] op_sel_hi:[1,0,0]
	v_mov_b32_e32 v97, v93
	ds_load_2addr_b64 v[92:95], v86 offset0:28 offset1:29
	v_pk_add_f32 v[38:39], v[38:39], v[98:99] neg_lo:[0,1] neg_hi:[0,1]
	v_pk_add_f32 v[34:35], v[34:35], v[96:97] neg_lo:[0,1] neg_hi:[0,1]
	s_wait_dscnt 0x0
	v_pk_mul_f32 v[96:97], v[92:93], v[82:83] op_sel:[0,1]
	s_delay_alu instid0(VALU_DEP_1) | instskip(SKIP_1) | instid1(VALU_DEP_1)
	v_pk_fma_f32 v[98:99], v[92:93], v[84:85], v[96:97] op_sel:[0,0,1] op_sel_hi:[1,1,0] neg_lo:[0,0,1] neg_hi:[0,0,1]
	v_pk_fma_f32 v[92:93], v[92:93], v[84:85], v[96:97] op_sel:[0,0,1] op_sel_hi:[1,0,0]
	v_mov_b32_e32 v99, v93
	v_pk_mul_f32 v[92:93], v[94:95], v[82:83] op_sel:[0,1]
	s_delay_alu instid0(VALU_DEP_1) | instskip(SKIP_1) | instid1(VALU_DEP_1)
	v_pk_fma_f32 v[96:97], v[94:95], v[84:85], v[92:93] op_sel:[0,0,1] op_sel_hi:[1,1,0] neg_lo:[0,0,1] neg_hi:[0,0,1]
	v_pk_fma_f32 v[92:93], v[94:95], v[84:85], v[92:93] op_sel:[0,0,1] op_sel_hi:[1,0,0]
	v_mov_b32_e32 v97, v93
	ds_load_2addr_b64 v[92:95], v86 offset0:30 offset1:31
	v_pk_add_f32 v[58:59], v[58:59], v[98:99] neg_lo:[0,1] neg_hi:[0,1]
	v_pk_add_f32 v[10:11], v[10:11], v[96:97] neg_lo:[0,1] neg_hi:[0,1]
	s_wait_dscnt 0x0
	v_dual_mul_f32 v96, v93, v83 :: v_dual_mul_f32 v98, v93, v84
	s_delay_alu instid0(VALU_DEP_1) | instskip(NEXT) | instid1(VALU_DEP_2)
	v_pk_fma_f32 v[96:97], v[92:93], v[42:43], v[96:97] op_sel_hi:[1,1,0] neg_lo:[0,0,1] neg_hi:[0,0,1]
	v_pk_fma_f32 v[92:93], v[92:93], v[42:43], v[98:99] op_sel:[1,0,0] op_sel_hi:[0,1,0]
	s_delay_alu instid0(VALU_DEP_1) | instskip(SKIP_1) | instid1(VALU_DEP_2)
	v_mov_b32_e32 v97, v93
	v_pk_mul_f32 v[92:93], v[94:95], v[82:83] op_sel:[0,1]
	v_pk_add_f32 v[12:13], v[12:13], v[96:97] neg_lo:[0,1] neg_hi:[0,1]
	s_delay_alu instid0(VALU_DEP_2) | instskip(SKIP_1) | instid1(VALU_DEP_1)
	v_pk_fma_f32 v[96:97], v[94:95], v[84:85], v[92:93] op_sel:[0,0,1] op_sel_hi:[1,1,0] neg_lo:[0,0,1] neg_hi:[0,0,1]
	v_pk_fma_f32 v[92:93], v[94:95], v[84:85], v[92:93] op_sel:[0,0,1] op_sel_hi:[1,0,0]
	v_mov_b32_e32 v97, v93
	ds_load_2addr_b64 v[92:95], v86 offset0:32 offset1:33
	v_pk_add_f32 v[8:9], v[8:9], v[96:97] neg_lo:[0,1] neg_hi:[0,1]
	s_wait_dscnt 0x0
	v_pk_mul_f32 v[96:97], v[92:93], v[82:83] op_sel:[0,1]
	s_delay_alu instid0(VALU_DEP_1) | instskip(SKIP_1) | instid1(VALU_DEP_1)
	v_pk_fma_f32 v[98:99], v[92:93], v[84:85], v[96:97] op_sel:[0,0,1] op_sel_hi:[1,1,0] neg_lo:[0,0,1] neg_hi:[0,0,1]
	v_pk_fma_f32 v[92:93], v[92:93], v[84:85], v[96:97] op_sel:[0,0,1] op_sel_hi:[1,0,0]
	v_mov_b32_e32 v99, v93
	v_pk_mul_f32 v[92:93], v[94:95], v[82:83] op_sel:[0,1]
	s_delay_alu instid0(VALU_DEP_2) | instskip(NEXT) | instid1(VALU_DEP_2)
	v_pk_add_f32 v[56:57], v[56:57], v[98:99] neg_lo:[0,1] neg_hi:[0,1]
	v_pk_fma_f32 v[96:97], v[94:95], v[84:85], v[92:93] op_sel:[0,0,1] op_sel_hi:[1,1,0] neg_lo:[0,0,1] neg_hi:[0,0,1]
	v_pk_fma_f32 v[92:93], v[94:95], v[84:85], v[92:93] op_sel:[0,0,1] op_sel_hi:[1,0,0]
	s_delay_alu instid0(VALU_DEP_1) | instskip(SKIP_4) | instid1(VALU_DEP_1)
	v_mov_b32_e32 v97, v93
	ds_load_2addr_b64 v[92:95], v86 offset0:34 offset1:35
	v_pk_add_f32 v[6:7], v[6:7], v[96:97] neg_lo:[0,1] neg_hi:[0,1]
	s_wait_dscnt 0x0
	v_pk_mul_f32 v[96:97], v[92:93], v[82:83] op_sel:[0,1]
	v_pk_fma_f32 v[98:99], v[92:93], v[84:85], v[96:97] op_sel:[0,0,1] op_sel_hi:[1,1,0] neg_lo:[0,0,1] neg_hi:[0,0,1]
	v_pk_fma_f32 v[92:93], v[92:93], v[84:85], v[96:97] op_sel:[0,0,1] op_sel_hi:[1,0,0]
	v_dual_mul_f32 v96, v95, v83 :: v_dual_mov_b32 v92, v95
	s_delay_alu instid0(VALU_DEP_2) | instskip(NEXT) | instid1(VALU_DEP_2)
	v_dual_mov_b32 v99, v93 :: v_dual_mov_b32 v93, v94
	v_pk_fma_f32 v[96:97], v[94:95], v[42:43], v[96:97] op_sel_hi:[1,1,0] neg_lo:[0,0,1] neg_hi:[0,0,1]
	v_mul_f32_e32 v94, v95, v84
	s_delay_alu instid0(VALU_DEP_3) | instskip(NEXT) | instid1(VALU_DEP_2)
	v_pk_add_f32 v[54:55], v[54:55], v[98:99] neg_lo:[0,1] neg_hi:[0,1]
	v_pk_fma_f32 v[92:93], v[92:93], v[42:43], v[94:95] op_sel_hi:[1,1,0]
	s_delay_alu instid0(VALU_DEP_1)
	v_mov_b32_e32 v97, v93
	ds_load_2addr_b64 v[92:95], v86 offset0:36 offset1:37
	v_pk_add_f32 v[46:47], v[46:47], v[96:97] neg_lo:[0,1] neg_hi:[0,1]
	s_wait_dscnt 0x0
	v_pk_mul_f32 v[96:97], v[92:93], v[82:83] op_sel:[0,1]
	v_pk_mul_f32 v[82:83], v[94:95], v[82:83] op_sel:[0,1]
	s_delay_alu instid0(VALU_DEP_2) | instskip(SKIP_1) | instid1(VALU_DEP_1)
	v_pk_fma_f32 v[98:99], v[92:93], v[84:85], v[96:97] op_sel:[0,0,1] op_sel_hi:[1,1,0] neg_lo:[0,0,1] neg_hi:[0,0,1]
	v_pk_fma_f32 v[92:93], v[92:93], v[84:85], v[96:97] op_sel:[0,0,1] op_sel_hi:[1,0,0]
	v_mov_b32_e32 v99, v93
	s_delay_alu instid0(VALU_DEP_4) | instskip(SKIP_1) | instid1(VALU_DEP_1)
	v_pk_fma_f32 v[92:93], v[94:95], v[84:85], v[82:83] op_sel:[0,0,1] op_sel_hi:[1,1,0] neg_lo:[0,0,1] neg_hi:[0,0,1]
	v_pk_fma_f32 v[82:83], v[94:95], v[84:85], v[82:83] op_sel:[0,0,1] op_sel_hi:[1,0,0]
	v_mov_b32_e32 v93, v83
	s_delay_alu instid0(VALU_DEP_4) | instskip(NEXT) | instid1(VALU_DEP_2)
	v_pk_add_f32 v[26:27], v[26:27], v[98:99] neg_lo:[0,1] neg_hi:[0,1]
	v_pk_add_f32 v[80:81], v[80:81], v[92:93] neg_lo:[0,1] neg_hi:[0,1]
.LBB74_461:
	s_or_b32 exec_lo, exec_lo, s0
	v_lshl_add_u32 v82, v90, 3, v86
	s_barrier_signal -1
	s_barrier_wait -1
	ds_store_b64 v82, v[44:45]
	s_wait_dscnt 0x0
	s_barrier_signal -1
	s_barrier_wait -1
	ds_load_b64 v[82:83], v86 offset:176
	v_mov_b32_e32 v84, 22
	s_cmp_lt_i32 s18, 24
	s_cbranch_scc1 .LBB74_464
; %bb.462:
	v_add3_u32 v85, v87, 0, 0xb8
	v_mov_b32_e32 v84, 22
	s_mov_b32 s0, 23
.LBB74_463:                             ; =>This Inner Loop Header: Depth=1
	ds_load_b64 v[92:93], v85
	s_wait_dscnt 0x1
	v_cmp_gt_f32_e32 vcc_lo, 0, v82
	v_cndmask_b32_e64 v94, v82, -v82, vcc_lo
	v_cmp_gt_f32_e32 vcc_lo, 0, v83
	v_cndmask_b32_e64 v96, v83, -v83, vcc_lo
	s_wait_dscnt 0x0
	v_cmp_gt_f32_e32 vcc_lo, 0, v92
	v_cndmask_b32_e64 v95, v92, -v92, vcc_lo
	v_cmp_gt_f32_e32 vcc_lo, 0, v93
	v_cndmask_b32_e64 v97, v93, -v93, vcc_lo
	s_delay_alu instid0(VALU_DEP_1) | instskip(NEXT) | instid1(VALU_DEP_1)
	v_pk_add_f32 v[94:95], v[94:95], v[96:97]
	v_cmp_lt_f32_e32 vcc_lo, v94, v95
	v_dual_cndmask_b32 v82, v82, v92 :: v_dual_add_nc_u32 v85, 8, v85
	v_cndmask_b32_e32 v83, v83, v93, vcc_lo
	v_cndmask_b32_e64 v84, v84, s0, vcc_lo
	s_add_co_i32 s0, s0, 1
	s_delay_alu instid0(SALU_CYCLE_1)
	s_cmp_lg_u32 s18, s0
	s_cbranch_scc1 .LBB74_463
.LBB74_464:
	s_wait_dscnt 0x0
	v_cmp_eq_f32_e32 vcc_lo, 0, v82
	v_cmp_eq_f32_e64 s0, 0, v83
	s_and_b32 s0, vcc_lo, s0
	s_delay_alu instid0(SALU_CYCLE_1) | instskip(NEXT) | instid1(SALU_CYCLE_1)
	s_and_saveexec_b32 s1, s0
	s_xor_b32 s0, exec_lo, s1
; %bb.465:
	v_cmp_ne_u32_e32 vcc_lo, 0, v88
	v_cndmask_b32_e32 v88, 23, v88, vcc_lo
; %bb.466:
	s_and_not1_saveexec_b32 s0, s0
	s_cbranch_execz .LBB74_472
; %bb.467:
	v_cmp_ngt_f32_e64 s1, |v82|, |v83|
	s_and_saveexec_b32 s12, s1
	s_delay_alu instid0(SALU_CYCLE_1)
	s_xor_b32 s1, exec_lo, s12
	s_cbranch_execz .LBB74_469
; %bb.468:
	v_div_scale_f32 v85, null, v83, v83, v82
	v_div_scale_f32 v93, vcc_lo, v82, v83, v82
	s_delay_alu instid0(VALU_DEP_2) | instskip(SKIP_1) | instid1(TRANS32_DEP_1)
	v_rcp_f32_e32 v91, v85
	v_nop
	v_fma_f32 v92, -v85, v91, 1.0
	s_delay_alu instid0(VALU_DEP_1) | instskip(NEXT) | instid1(VALU_DEP_1)
	v_fmac_f32_e32 v91, v92, v91
	v_mul_f32_e32 v92, v93, v91
	s_delay_alu instid0(VALU_DEP_1) | instskip(NEXT) | instid1(VALU_DEP_1)
	v_fma_f32 v94, -v85, v92, v93
	v_fmac_f32_e32 v92, v94, v91
	s_delay_alu instid0(VALU_DEP_1) | instskip(NEXT) | instid1(VALU_DEP_1)
	v_fma_f32 v85, -v85, v92, v93
	v_div_fmas_f32 v85, v85, v91, v92
	s_delay_alu instid0(VALU_DEP_1) | instskip(NEXT) | instid1(VALU_DEP_1)
	v_div_fixup_f32 v85, v85, v83, v82
	v_fmac_f32_e32 v83, v82, v85
	s_delay_alu instid0(VALU_DEP_1) | instskip(SKIP_1) | instid1(VALU_DEP_2)
	v_div_scale_f32 v82, null, v83, v83, 1.0
	v_div_scale_f32 v93, vcc_lo, 1.0, v83, 1.0
	v_rcp_f32_e32 v91, v82
	v_nop
	s_delay_alu instid0(TRANS32_DEP_1) | instskip(NEXT) | instid1(VALU_DEP_1)
	v_fma_f32 v92, -v82, v91, 1.0
	v_fmac_f32_e32 v91, v92, v91
	s_delay_alu instid0(VALU_DEP_1) | instskip(NEXT) | instid1(VALU_DEP_1)
	v_mul_f32_e32 v92, v93, v91
	v_fma_f32 v94, -v82, v92, v93
	s_delay_alu instid0(VALU_DEP_1) | instskip(NEXT) | instid1(VALU_DEP_1)
	v_fmac_f32_e32 v92, v94, v91
	v_fma_f32 v82, -v82, v92, v93
	s_delay_alu instid0(VALU_DEP_1) | instskip(NEXT) | instid1(VALU_DEP_1)
	v_div_fmas_f32 v82, v82, v91, v92
	v_div_fixup_f32 v83, v82, v83, 1.0
	s_delay_alu instid0(VALU_DEP_1)
	v_mul_f32_e32 v82, v85, v83
	v_xor_b32_e32 v83, 0x80000000, v83
.LBB74_469:
	s_and_not1_saveexec_b32 s1, s1
	s_cbranch_execz .LBB74_471
; %bb.470:
	s_delay_alu instid0(VALU_DEP_1) | instskip(SKIP_1) | instid1(VALU_DEP_2)
	v_div_scale_f32 v85, null, v82, v82, v83
	v_div_scale_f32 v93, vcc_lo, v83, v82, v83
	v_rcp_f32_e32 v91, v85
	v_nop
	s_delay_alu instid0(TRANS32_DEP_1) | instskip(NEXT) | instid1(VALU_DEP_1)
	v_fma_f32 v92, -v85, v91, 1.0
	v_fmac_f32_e32 v91, v92, v91
	s_delay_alu instid0(VALU_DEP_1) | instskip(NEXT) | instid1(VALU_DEP_1)
	v_mul_f32_e32 v92, v93, v91
	v_fma_f32 v94, -v85, v92, v93
	s_delay_alu instid0(VALU_DEP_1) | instskip(NEXT) | instid1(VALU_DEP_1)
	v_fmac_f32_e32 v92, v94, v91
	v_fma_f32 v85, -v85, v92, v93
	s_delay_alu instid0(VALU_DEP_1) | instskip(NEXT) | instid1(VALU_DEP_1)
	v_div_fmas_f32 v85, v85, v91, v92
	v_div_fixup_f32 v85, v85, v82, v83
	s_delay_alu instid0(VALU_DEP_1) | instskip(NEXT) | instid1(VALU_DEP_1)
	v_fmac_f32_e32 v82, v83, v85
	v_div_scale_f32 v83, null, v82, v82, 1.0
	s_delay_alu instid0(VALU_DEP_1) | instskip(SKIP_1) | instid1(TRANS32_DEP_1)
	v_rcp_f32_e32 v91, v83
	v_nop
	v_fma_f32 v92, -v83, v91, 1.0
	s_delay_alu instid0(VALU_DEP_1) | instskip(SKIP_1) | instid1(VALU_DEP_1)
	v_fmac_f32_e32 v91, v92, v91
	v_div_scale_f32 v92, vcc_lo, 1.0, v82, 1.0
	v_mul_f32_e32 v93, v92, v91
	s_delay_alu instid0(VALU_DEP_1) | instskip(NEXT) | instid1(VALU_DEP_1)
	v_fma_f32 v94, -v83, v93, v92
	v_fmac_f32_e32 v93, v94, v91
	s_delay_alu instid0(VALU_DEP_1) | instskip(NEXT) | instid1(VALU_DEP_1)
	v_fma_f32 v83, -v83, v93, v92
	v_div_fmas_f32 v83, v83, v91, v93
	s_delay_alu instid0(VALU_DEP_1) | instskip(NEXT) | instid1(VALU_DEP_1)
	v_div_fixup_f32 v82, v83, v82, 1.0
	v_mul_f32_e64 v83, v85, -v82
.LBB74_471:
	s_or_b32 exec_lo, exec_lo, s1
.LBB74_472:
	s_delay_alu instid0(SALU_CYCLE_1) | instskip(NEXT) | instid1(SALU_CYCLE_1)
	s_or_b32 exec_lo, exec_lo, s0
	s_mov_b32 s0, exec_lo
	v_cmpx_ne_u32_e64 v90, v84
	s_xor_b32 s0, exec_lo, s0
	s_cbranch_execz .LBB74_478
; %bb.473:
	s_mov_b32 s1, exec_lo
	v_cmpx_eq_u32_e32 22, v90
	s_cbranch_execz .LBB74_477
; %bb.474:
	v_cmp_ne_u32_e32 vcc_lo, 22, v84
	s_xor_b32 s12, s16, -1
	s_delay_alu instid0(SALU_CYCLE_1) | instskip(NEXT) | instid1(SALU_CYCLE_1)
	s_and_b32 s13, s12, vcc_lo
	s_and_saveexec_b32 s12, s13
	s_cbranch_execz .LBB74_476
; %bb.475:
	v_ashrrev_i32_e32 v85, 31, v84
	s_delay_alu instid0(VALU_DEP_1)
	v_lshl_add_u64 v[90:91], v[84:85], 2, v[4:5]
	s_clause 0x1
	global_load_b32 v85, v[90:91], off
	global_load_b32 v89, v[4:5], off offset:88
	s_wait_loadcnt 0x1
	global_store_b32 v[4:5], v85, off offset:88
	s_wait_loadcnt 0x0
	global_store_b32 v[90:91], v89, off
.LBB74_476:
	s_wait_xcnt 0x0
	s_or_b32 exec_lo, exec_lo, s12
	v_dual_mov_b32 v90, v84 :: v_dual_mov_b32 v89, v84
.LBB74_477:
	s_or_b32 exec_lo, exec_lo, s1
.LBB74_478:
	s_and_not1_saveexec_b32 s0, s0
	s_cbranch_execz .LBB74_480
; %bb.479:
	v_mov_b32_e32 v90, 22
	ds_store_2addr_b64 v86, v[40:41], v[66:67] offset0:23 offset1:24
	ds_store_2addr_b64 v86, v[36:37], v[38:39] offset0:25 offset1:26
	;; [unrolled: 1-line block ×7, first 2 shown]
	ds_store_b64 v86, v[80:81] offset:296
.LBB74_480:
	s_or_b32 exec_lo, exec_lo, s0
	s_delay_alu instid0(SALU_CYCLE_1)
	s_mov_b32 s0, exec_lo
	s_wait_storecnt_dscnt 0x0
	s_barrier_signal -1
	s_barrier_wait -1
	v_cmpx_lt_i32_e32 22, v90
	s_cbranch_execz .LBB74_482
; %bb.481:
	v_pk_mul_f32 v[92:93], v[82:83], v[44:45] op_sel:[1,1] op_sel_hi:[0,1]
	s_delay_alu instid0(VALU_DEP_1)
	v_pk_fma_f32 v[84:85], v[82:83], v[44:45], v[92:93] op_sel_hi:[1,0,1] neg_lo:[0,0,1] neg_hi:[0,0,1]
	v_pk_fma_f32 v[82:83], v[82:83], v[44:45], v[92:93] op_sel_hi:[1,0,1]
	ds_load_2addr_b64 v[92:95], v86 offset0:23 offset1:24
	v_dual_mov_b32 v44, v84 :: v_dual_mov_b32 v45, v83
	s_wait_dscnt 0x0
	v_pk_mul_f32 v[96:97], v[92:93], v[82:83] op_sel:[0,1]
	s_delay_alu instid0(VALU_DEP_1) | instskip(SKIP_1) | instid1(VALU_DEP_1)
	v_pk_fma_f32 v[98:99], v[92:93], v[84:85], v[96:97] op_sel:[0,0,1] op_sel_hi:[1,1,0] neg_lo:[0,0,1] neg_hi:[0,0,1]
	v_pk_fma_f32 v[92:93], v[92:93], v[84:85], v[96:97] op_sel:[0,0,1] op_sel_hi:[1,0,0]
	v_mov_b32_e32 v99, v93
	v_pk_mul_f32 v[92:93], v[94:95], v[82:83] op_sel:[0,1]
	s_delay_alu instid0(VALU_DEP_1) | instskip(SKIP_1) | instid1(VALU_DEP_1)
	v_pk_fma_f32 v[96:97], v[94:95], v[84:85], v[92:93] op_sel:[0,0,1] op_sel_hi:[1,1,0] neg_lo:[0,0,1] neg_hi:[0,0,1]
	v_pk_fma_f32 v[92:93], v[94:95], v[84:85], v[92:93] op_sel:[0,0,1] op_sel_hi:[1,0,0]
	v_mov_b32_e32 v97, v93
	ds_load_2addr_b64 v[92:95], v86 offset0:25 offset1:26
	v_pk_add_f32 v[40:41], v[40:41], v[98:99] neg_lo:[0,1] neg_hi:[0,1]
	v_pk_add_f32 v[66:67], v[66:67], v[96:97] neg_lo:[0,1] neg_hi:[0,1]
	s_wait_dscnt 0x0
	v_pk_mul_f32 v[96:97], v[92:93], v[82:83] op_sel:[0,1]
	s_delay_alu instid0(VALU_DEP_1) | instskip(SKIP_2) | instid1(VALU_DEP_2)
	v_pk_fma_f32 v[98:99], v[92:93], v[84:85], v[96:97] op_sel:[0,0,1] op_sel_hi:[1,1,0] neg_lo:[0,0,1] neg_hi:[0,0,1]
	v_pk_fma_f32 v[92:93], v[92:93], v[84:85], v[96:97] op_sel:[0,0,1] op_sel_hi:[1,0,0]
	v_dual_mul_f32 v96, v95, v83 :: v_dual_mov_b32 v92, v95
	v_dual_mov_b32 v99, v93 :: v_dual_mov_b32 v93, v94
	s_delay_alu instid0(VALU_DEP_2) | instskip(SKIP_1) | instid1(VALU_DEP_3)
	v_pk_fma_f32 v[96:97], v[94:95], v[44:45], v[96:97] op_sel_hi:[1,1,0] neg_lo:[0,0,1] neg_hi:[0,0,1]
	v_mul_f32_e32 v94, v95, v84
	v_pk_add_f32 v[36:37], v[36:37], v[98:99] neg_lo:[0,1] neg_hi:[0,1]
	s_delay_alu instid0(VALU_DEP_2) | instskip(NEXT) | instid1(VALU_DEP_1)
	v_pk_fma_f32 v[92:93], v[92:93], v[44:45], v[94:95] op_sel_hi:[1,1,0]
	v_mov_b32_e32 v97, v93
	ds_load_2addr_b64 v[92:95], v86 offset0:27 offset1:28
	v_pk_add_f32 v[38:39], v[38:39], v[96:97] neg_lo:[0,1] neg_hi:[0,1]
	s_wait_dscnt 0x0
	v_pk_mul_f32 v[96:97], v[92:93], v[82:83] op_sel:[0,1]
	s_delay_alu instid0(VALU_DEP_1) | instskip(SKIP_1) | instid1(VALU_DEP_1)
	v_pk_fma_f32 v[98:99], v[92:93], v[84:85], v[96:97] op_sel:[0,0,1] op_sel_hi:[1,1,0] neg_lo:[0,0,1] neg_hi:[0,0,1]
	v_pk_fma_f32 v[92:93], v[92:93], v[84:85], v[96:97] op_sel:[0,0,1] op_sel_hi:[1,0,0]
	v_mov_b32_e32 v99, v93
	v_pk_mul_f32 v[92:93], v[94:95], v[82:83] op_sel:[0,1]
	s_delay_alu instid0(VALU_DEP_1) | instskip(SKIP_1) | instid1(VALU_DEP_1)
	v_pk_fma_f32 v[96:97], v[94:95], v[84:85], v[92:93] op_sel:[0,0,1] op_sel_hi:[1,1,0] neg_lo:[0,0,1] neg_hi:[0,0,1]
	v_pk_fma_f32 v[92:93], v[94:95], v[84:85], v[92:93] op_sel:[0,0,1] op_sel_hi:[1,0,0]
	v_mov_b32_e32 v97, v93
	ds_load_2addr_b64 v[92:95], v86 offset0:29 offset1:30
	v_pk_add_f32 v[34:35], v[34:35], v[98:99] neg_lo:[0,1] neg_hi:[0,1]
	v_pk_add_f32 v[58:59], v[58:59], v[96:97] neg_lo:[0,1] neg_hi:[0,1]
	s_wait_dscnt 0x0
	v_pk_mul_f32 v[96:97], v[92:93], v[82:83] op_sel:[0,1]
	s_delay_alu instid0(VALU_DEP_1) | instskip(SKIP_1) | instid1(VALU_DEP_1)
	v_pk_fma_f32 v[98:99], v[92:93], v[84:85], v[96:97] op_sel:[0,0,1] op_sel_hi:[1,1,0] neg_lo:[0,0,1] neg_hi:[0,0,1]
	v_pk_fma_f32 v[92:93], v[92:93], v[84:85], v[96:97] op_sel:[0,0,1] op_sel_hi:[1,0,0]
	v_mov_b32_e32 v99, v93
	v_pk_mul_f32 v[92:93], v[94:95], v[82:83] op_sel:[0,1]
	s_delay_alu instid0(VALU_DEP_1) | instskip(SKIP_1) | instid1(VALU_DEP_1)
	v_pk_fma_f32 v[96:97], v[94:95], v[84:85], v[92:93] op_sel:[0,0,1] op_sel_hi:[1,1,0] neg_lo:[0,0,1] neg_hi:[0,0,1]
	v_pk_fma_f32 v[92:93], v[94:95], v[84:85], v[92:93] op_sel:[0,0,1] op_sel_hi:[1,0,0]
	v_mov_b32_e32 v97, v93
	ds_load_2addr_b64 v[92:95], v86 offset0:31 offset1:32
	v_pk_add_f32 v[10:11], v[10:11], v[98:99] neg_lo:[0,1] neg_hi:[0,1]
	v_pk_add_f32 v[12:13], v[12:13], v[96:97] neg_lo:[0,1] neg_hi:[0,1]
	s_wait_dscnt 0x0
	v_dual_mul_f32 v96, v93, v83 :: v_dual_mul_f32 v98, v93, v84
	s_delay_alu instid0(VALU_DEP_1) | instskip(NEXT) | instid1(VALU_DEP_2)
	v_pk_fma_f32 v[96:97], v[92:93], v[44:45], v[96:97] op_sel_hi:[1,1,0] neg_lo:[0,0,1] neg_hi:[0,0,1]
	v_pk_fma_f32 v[92:93], v[92:93], v[44:45], v[98:99] op_sel:[1,0,0] op_sel_hi:[0,1,0]
	s_delay_alu instid0(VALU_DEP_1) | instskip(SKIP_1) | instid1(VALU_DEP_2)
	v_mov_b32_e32 v97, v93
	v_pk_mul_f32 v[92:93], v[94:95], v[82:83] op_sel:[0,1]
	v_pk_add_f32 v[8:9], v[8:9], v[96:97] neg_lo:[0,1] neg_hi:[0,1]
	s_delay_alu instid0(VALU_DEP_2) | instskip(SKIP_1) | instid1(VALU_DEP_1)
	v_pk_fma_f32 v[96:97], v[94:95], v[84:85], v[92:93] op_sel:[0,0,1] op_sel_hi:[1,1,0] neg_lo:[0,0,1] neg_hi:[0,0,1]
	v_pk_fma_f32 v[92:93], v[94:95], v[84:85], v[92:93] op_sel:[0,0,1] op_sel_hi:[1,0,0]
	v_mov_b32_e32 v97, v93
	ds_load_2addr_b64 v[92:95], v86 offset0:33 offset1:34
	v_pk_add_f32 v[56:57], v[56:57], v[96:97] neg_lo:[0,1] neg_hi:[0,1]
	s_wait_dscnt 0x0
	v_pk_mul_f32 v[96:97], v[92:93], v[82:83] op_sel:[0,1]
	s_delay_alu instid0(VALU_DEP_1) | instskip(SKIP_1) | instid1(VALU_DEP_1)
	v_pk_fma_f32 v[98:99], v[92:93], v[84:85], v[96:97] op_sel:[0,0,1] op_sel_hi:[1,1,0] neg_lo:[0,0,1] neg_hi:[0,0,1]
	v_pk_fma_f32 v[92:93], v[92:93], v[84:85], v[96:97] op_sel:[0,0,1] op_sel_hi:[1,0,0]
	v_mov_b32_e32 v99, v93
	v_pk_mul_f32 v[92:93], v[94:95], v[82:83] op_sel:[0,1]
	s_delay_alu instid0(VALU_DEP_2) | instskip(NEXT) | instid1(VALU_DEP_2)
	v_pk_add_f32 v[6:7], v[6:7], v[98:99] neg_lo:[0,1] neg_hi:[0,1]
	v_pk_fma_f32 v[96:97], v[94:95], v[84:85], v[92:93] op_sel:[0,0,1] op_sel_hi:[1,1,0] neg_lo:[0,0,1] neg_hi:[0,0,1]
	v_pk_fma_f32 v[92:93], v[94:95], v[84:85], v[92:93] op_sel:[0,0,1] op_sel_hi:[1,0,0]
	s_delay_alu instid0(VALU_DEP_1) | instskip(SKIP_4) | instid1(VALU_DEP_1)
	v_mov_b32_e32 v97, v93
	ds_load_2addr_b64 v[92:95], v86 offset0:35 offset1:36
	v_pk_add_f32 v[54:55], v[54:55], v[96:97] neg_lo:[0,1] neg_hi:[0,1]
	s_wait_dscnt 0x0
	v_pk_mul_f32 v[96:97], v[92:93], v[82:83] op_sel:[0,1]
	v_pk_fma_f32 v[98:99], v[92:93], v[84:85], v[96:97] op_sel:[0,0,1] op_sel_hi:[1,1,0] neg_lo:[0,0,1] neg_hi:[0,0,1]
	v_pk_fma_f32 v[92:93], v[92:93], v[84:85], v[96:97] op_sel:[0,0,1] op_sel_hi:[1,0,0]
	v_dual_mul_f32 v96, v95, v83 :: v_dual_mov_b32 v92, v95
	s_delay_alu instid0(VALU_DEP_2) | instskip(NEXT) | instid1(VALU_DEP_2)
	v_dual_mov_b32 v99, v93 :: v_dual_mov_b32 v93, v94
	v_pk_fma_f32 v[96:97], v[94:95], v[44:45], v[96:97] op_sel_hi:[1,1,0] neg_lo:[0,0,1] neg_hi:[0,0,1]
	v_mul_f32_e32 v94, v95, v84
	s_delay_alu instid0(VALU_DEP_3) | instskip(NEXT) | instid1(VALU_DEP_2)
	v_pk_add_f32 v[46:47], v[46:47], v[98:99] neg_lo:[0,1] neg_hi:[0,1]
	v_pk_fma_f32 v[92:93], v[92:93], v[44:45], v[94:95] op_sel_hi:[1,1,0]
	s_delay_alu instid0(VALU_DEP_1) | instskip(SKIP_4) | instid1(VALU_DEP_1)
	v_mov_b32_e32 v97, v93
	ds_load_b64 v[92:93], v86 offset:296
	v_pk_add_f32 v[26:27], v[26:27], v[96:97] neg_lo:[0,1] neg_hi:[0,1]
	s_wait_dscnt 0x0
	v_pk_mul_f32 v[82:83], v[92:93], v[82:83] op_sel:[0,1]
	v_pk_fma_f32 v[94:95], v[92:93], v[84:85], v[82:83] op_sel:[0,0,1] op_sel_hi:[1,1,0] neg_lo:[0,0,1] neg_hi:[0,0,1]
	v_pk_fma_f32 v[82:83], v[92:93], v[84:85], v[82:83] op_sel:[0,0,1] op_sel_hi:[1,0,0]
	s_delay_alu instid0(VALU_DEP_1) | instskip(NEXT) | instid1(VALU_DEP_1)
	v_mov_b32_e32 v95, v83
	v_pk_add_f32 v[80:81], v[80:81], v[94:95] neg_lo:[0,1] neg_hi:[0,1]
.LBB74_482:
	s_or_b32 exec_lo, exec_lo, s0
	v_lshl_add_u32 v82, v90, 3, v86
	s_barrier_signal -1
	s_barrier_wait -1
	ds_store_b64 v82, v[40:41]
	s_wait_dscnt 0x0
	s_barrier_signal -1
	s_barrier_wait -1
	ds_load_b64 v[82:83], v86 offset:184
	v_mov_b32_e32 v84, 23
	s_cmp_lt_i32 s18, 25
	s_cbranch_scc1 .LBB74_485
; %bb.483:
	v_add3_u32 v85, v87, 0, 0xc0
	v_mov_b32_e32 v84, 23
	s_mov_b32 s0, 24
.LBB74_484:                             ; =>This Inner Loop Header: Depth=1
	ds_load_b64 v[92:93], v85
	s_wait_dscnt 0x1
	v_cmp_gt_f32_e32 vcc_lo, 0, v82
	v_cndmask_b32_e64 v94, v82, -v82, vcc_lo
	v_cmp_gt_f32_e32 vcc_lo, 0, v83
	v_cndmask_b32_e64 v96, v83, -v83, vcc_lo
	s_wait_dscnt 0x0
	v_cmp_gt_f32_e32 vcc_lo, 0, v92
	v_cndmask_b32_e64 v95, v92, -v92, vcc_lo
	v_cmp_gt_f32_e32 vcc_lo, 0, v93
	v_cndmask_b32_e64 v97, v93, -v93, vcc_lo
	s_delay_alu instid0(VALU_DEP_1) | instskip(NEXT) | instid1(VALU_DEP_1)
	v_pk_add_f32 v[94:95], v[94:95], v[96:97]
	v_cmp_lt_f32_e32 vcc_lo, v94, v95
	v_dual_cndmask_b32 v82, v82, v92 :: v_dual_add_nc_u32 v85, 8, v85
	v_cndmask_b32_e32 v83, v83, v93, vcc_lo
	v_cndmask_b32_e64 v84, v84, s0, vcc_lo
	s_add_co_i32 s0, s0, 1
	s_delay_alu instid0(SALU_CYCLE_1)
	s_cmp_lg_u32 s18, s0
	s_cbranch_scc1 .LBB74_484
.LBB74_485:
	s_wait_dscnt 0x0
	v_cmp_eq_f32_e32 vcc_lo, 0, v82
	v_cmp_eq_f32_e64 s0, 0, v83
	s_and_b32 s0, vcc_lo, s0
	s_delay_alu instid0(SALU_CYCLE_1) | instskip(NEXT) | instid1(SALU_CYCLE_1)
	s_and_saveexec_b32 s1, s0
	s_xor_b32 s0, exec_lo, s1
; %bb.486:
	v_cmp_ne_u32_e32 vcc_lo, 0, v88
	v_cndmask_b32_e32 v88, 24, v88, vcc_lo
; %bb.487:
	s_and_not1_saveexec_b32 s0, s0
	s_cbranch_execz .LBB74_493
; %bb.488:
	v_cmp_ngt_f32_e64 s1, |v82|, |v83|
	s_and_saveexec_b32 s12, s1
	s_delay_alu instid0(SALU_CYCLE_1)
	s_xor_b32 s1, exec_lo, s12
	s_cbranch_execz .LBB74_490
; %bb.489:
	v_div_scale_f32 v85, null, v83, v83, v82
	v_div_scale_f32 v93, vcc_lo, v82, v83, v82
	s_delay_alu instid0(VALU_DEP_2) | instskip(SKIP_1) | instid1(TRANS32_DEP_1)
	v_rcp_f32_e32 v91, v85
	v_nop
	v_fma_f32 v92, -v85, v91, 1.0
	s_delay_alu instid0(VALU_DEP_1) | instskip(NEXT) | instid1(VALU_DEP_1)
	v_fmac_f32_e32 v91, v92, v91
	v_mul_f32_e32 v92, v93, v91
	s_delay_alu instid0(VALU_DEP_1) | instskip(NEXT) | instid1(VALU_DEP_1)
	v_fma_f32 v94, -v85, v92, v93
	v_fmac_f32_e32 v92, v94, v91
	s_delay_alu instid0(VALU_DEP_1) | instskip(NEXT) | instid1(VALU_DEP_1)
	v_fma_f32 v85, -v85, v92, v93
	v_div_fmas_f32 v85, v85, v91, v92
	s_delay_alu instid0(VALU_DEP_1) | instskip(NEXT) | instid1(VALU_DEP_1)
	v_div_fixup_f32 v85, v85, v83, v82
	v_fmac_f32_e32 v83, v82, v85
	s_delay_alu instid0(VALU_DEP_1) | instskip(SKIP_1) | instid1(VALU_DEP_2)
	v_div_scale_f32 v82, null, v83, v83, 1.0
	v_div_scale_f32 v93, vcc_lo, 1.0, v83, 1.0
	v_rcp_f32_e32 v91, v82
	v_nop
	s_delay_alu instid0(TRANS32_DEP_1) | instskip(NEXT) | instid1(VALU_DEP_1)
	v_fma_f32 v92, -v82, v91, 1.0
	v_fmac_f32_e32 v91, v92, v91
	s_delay_alu instid0(VALU_DEP_1) | instskip(NEXT) | instid1(VALU_DEP_1)
	v_mul_f32_e32 v92, v93, v91
	v_fma_f32 v94, -v82, v92, v93
	s_delay_alu instid0(VALU_DEP_1) | instskip(NEXT) | instid1(VALU_DEP_1)
	v_fmac_f32_e32 v92, v94, v91
	v_fma_f32 v82, -v82, v92, v93
	s_delay_alu instid0(VALU_DEP_1) | instskip(NEXT) | instid1(VALU_DEP_1)
	v_div_fmas_f32 v82, v82, v91, v92
	v_div_fixup_f32 v83, v82, v83, 1.0
	s_delay_alu instid0(VALU_DEP_1)
	v_mul_f32_e32 v82, v85, v83
	v_xor_b32_e32 v83, 0x80000000, v83
.LBB74_490:
	s_and_not1_saveexec_b32 s1, s1
	s_cbranch_execz .LBB74_492
; %bb.491:
	s_delay_alu instid0(VALU_DEP_1) | instskip(SKIP_1) | instid1(VALU_DEP_2)
	v_div_scale_f32 v85, null, v82, v82, v83
	v_div_scale_f32 v93, vcc_lo, v83, v82, v83
	v_rcp_f32_e32 v91, v85
	v_nop
	s_delay_alu instid0(TRANS32_DEP_1) | instskip(NEXT) | instid1(VALU_DEP_1)
	v_fma_f32 v92, -v85, v91, 1.0
	v_fmac_f32_e32 v91, v92, v91
	s_delay_alu instid0(VALU_DEP_1) | instskip(NEXT) | instid1(VALU_DEP_1)
	v_mul_f32_e32 v92, v93, v91
	v_fma_f32 v94, -v85, v92, v93
	s_delay_alu instid0(VALU_DEP_1) | instskip(NEXT) | instid1(VALU_DEP_1)
	v_fmac_f32_e32 v92, v94, v91
	v_fma_f32 v85, -v85, v92, v93
	s_delay_alu instid0(VALU_DEP_1) | instskip(NEXT) | instid1(VALU_DEP_1)
	v_div_fmas_f32 v85, v85, v91, v92
	v_div_fixup_f32 v85, v85, v82, v83
	s_delay_alu instid0(VALU_DEP_1) | instskip(NEXT) | instid1(VALU_DEP_1)
	v_fmac_f32_e32 v82, v83, v85
	v_div_scale_f32 v83, null, v82, v82, 1.0
	s_delay_alu instid0(VALU_DEP_1) | instskip(SKIP_1) | instid1(TRANS32_DEP_1)
	v_rcp_f32_e32 v91, v83
	v_nop
	v_fma_f32 v92, -v83, v91, 1.0
	s_delay_alu instid0(VALU_DEP_1) | instskip(SKIP_1) | instid1(VALU_DEP_1)
	v_fmac_f32_e32 v91, v92, v91
	v_div_scale_f32 v92, vcc_lo, 1.0, v82, 1.0
	v_mul_f32_e32 v93, v92, v91
	s_delay_alu instid0(VALU_DEP_1) | instskip(NEXT) | instid1(VALU_DEP_1)
	v_fma_f32 v94, -v83, v93, v92
	v_fmac_f32_e32 v93, v94, v91
	s_delay_alu instid0(VALU_DEP_1) | instskip(NEXT) | instid1(VALU_DEP_1)
	v_fma_f32 v83, -v83, v93, v92
	v_div_fmas_f32 v83, v83, v91, v93
	s_delay_alu instid0(VALU_DEP_1) | instskip(NEXT) | instid1(VALU_DEP_1)
	v_div_fixup_f32 v82, v83, v82, 1.0
	v_mul_f32_e64 v83, v85, -v82
.LBB74_492:
	s_or_b32 exec_lo, exec_lo, s1
.LBB74_493:
	s_delay_alu instid0(SALU_CYCLE_1) | instskip(NEXT) | instid1(SALU_CYCLE_1)
	s_or_b32 exec_lo, exec_lo, s0
	s_mov_b32 s0, exec_lo
	v_cmpx_ne_u32_e64 v90, v84
	s_xor_b32 s0, exec_lo, s0
	s_cbranch_execz .LBB74_499
; %bb.494:
	s_mov_b32 s1, exec_lo
	v_cmpx_eq_u32_e32 23, v90
	s_cbranch_execz .LBB74_498
; %bb.495:
	v_cmp_ne_u32_e32 vcc_lo, 23, v84
	s_xor_b32 s12, s16, -1
	s_delay_alu instid0(SALU_CYCLE_1) | instskip(NEXT) | instid1(SALU_CYCLE_1)
	s_and_b32 s13, s12, vcc_lo
	s_and_saveexec_b32 s12, s13
	s_cbranch_execz .LBB74_497
; %bb.496:
	v_ashrrev_i32_e32 v85, 31, v84
	s_delay_alu instid0(VALU_DEP_1)
	v_lshl_add_u64 v[90:91], v[84:85], 2, v[4:5]
	s_clause 0x1
	global_load_b32 v85, v[90:91], off
	global_load_b32 v89, v[4:5], off offset:92
	s_wait_loadcnt 0x1
	global_store_b32 v[4:5], v85, off offset:92
	s_wait_loadcnt 0x0
	global_store_b32 v[90:91], v89, off
.LBB74_497:
	s_wait_xcnt 0x0
	s_or_b32 exec_lo, exec_lo, s12
	v_dual_mov_b32 v90, v84 :: v_dual_mov_b32 v89, v84
.LBB74_498:
	s_or_b32 exec_lo, exec_lo, s1
.LBB74_499:
	s_and_not1_saveexec_b32 s0, s0
	s_cbranch_execz .LBB74_501
; %bb.500:
	v_dual_mov_b32 v84, v66 :: v_dual_mov_b32 v85, v67
	v_dual_mov_b32 v90, v36 :: v_dual_mov_b32 v91, v37
	v_dual_mov_b32 v92, v38 :: v_dual_mov_b32 v93, v39
	v_dual_mov_b32 v94, v34 :: v_dual_mov_b32 v95, v35
	ds_store_2addr_b64 v86, v[84:85], v[90:91] offset0:24 offset1:25
	ds_store_2addr_b64 v86, v[92:93], v[94:95] offset0:26 offset1:27
	v_dual_mov_b32 v84, v58 :: v_dual_mov_b32 v85, v59
	v_dual_mov_b32 v92, v10 :: v_dual_mov_b32 v93, v11
	;; [unrolled: 1-line block ×9, first 2 shown]
	v_mov_b32_e32 v107, v27
	ds_store_2addr_b64 v86, v[84:85], v[92:93] offset0:28 offset1:29
	ds_store_2addr_b64 v86, v[94:95], v[96:97] offset0:30 offset1:31
	;; [unrolled: 1-line block ×5, first 2 shown]
.LBB74_501:
	s_or_b32 exec_lo, exec_lo, s0
	s_delay_alu instid0(SALU_CYCLE_1)
	s_mov_b32 s0, exec_lo
	s_wait_storecnt_dscnt 0x0
	s_barrier_signal -1
	s_barrier_wait -1
	v_cmpx_lt_i32_e32 23, v90
	s_cbranch_execz .LBB74_503
; %bb.502:
	v_pk_mul_f32 v[84:85], v[82:83], v[40:41] op_sel:[1,1] op_sel_hi:[0,1]
	s_delay_alu instid0(VALU_DEP_1)
	v_pk_fma_f32 v[92:93], v[82:83], v[40:41], v[84:85] op_sel_hi:[1,0,1] neg_lo:[0,0,1] neg_hi:[0,0,1]
	v_pk_fma_f32 v[94:95], v[82:83], v[40:41], v[84:85] op_sel_hi:[1,0,1]
	ds_load_2addr_b64 v[82:85], v86 offset0:24 offset1:25
	v_dual_mov_b32 v40, v92 :: v_dual_mov_b32 v41, v95
	s_wait_dscnt 0x0
	v_pk_mul_f32 v[96:97], v[82:83], v[94:95] op_sel:[0,1]
	s_delay_alu instid0(VALU_DEP_1) | instskip(SKIP_1) | instid1(VALU_DEP_1)
	v_pk_fma_f32 v[98:99], v[82:83], v[92:93], v[96:97] op_sel:[0,0,1] op_sel_hi:[1,1,0] neg_lo:[0,0,1] neg_hi:[0,0,1]
	v_pk_fma_f32 v[82:83], v[82:83], v[92:93], v[96:97] op_sel:[0,0,1] op_sel_hi:[1,0,0]
	v_mov_b32_e32 v99, v83
	v_pk_mul_f32 v[82:83], v[84:85], v[94:95] op_sel:[0,1]
	s_delay_alu instid0(VALU_DEP_1) | instskip(SKIP_1) | instid1(VALU_DEP_1)
	v_pk_fma_f32 v[96:97], v[84:85], v[92:93], v[82:83] op_sel:[0,0,1] op_sel_hi:[1,1,0] neg_lo:[0,0,1] neg_hi:[0,0,1]
	v_pk_fma_f32 v[82:83], v[84:85], v[92:93], v[82:83] op_sel:[0,0,1] op_sel_hi:[1,0,0]
	v_mov_b32_e32 v97, v83
	ds_load_2addr_b64 v[82:85], v86 offset0:26 offset1:27
	v_pk_add_f32 v[66:67], v[66:67], v[98:99] neg_lo:[0,1] neg_hi:[0,1]
	v_pk_add_f32 v[36:37], v[36:37], v[96:97] neg_lo:[0,1] neg_hi:[0,1]
	s_wait_dscnt 0x0
	v_pk_mul_f32 v[96:97], v[82:83], v[94:95] op_sel:[0,1]
	s_delay_alu instid0(VALU_DEP_1) | instskip(SKIP_2) | instid1(VALU_DEP_2)
	v_pk_fma_f32 v[98:99], v[82:83], v[92:93], v[96:97] op_sel:[0,0,1] op_sel_hi:[1,1,0] neg_lo:[0,0,1] neg_hi:[0,0,1]
	v_pk_fma_f32 v[82:83], v[82:83], v[92:93], v[96:97] op_sel:[0,0,1] op_sel_hi:[1,0,0]
	v_dual_mul_f32 v96, v85, v95 :: v_dual_mov_b32 v82, v85
	v_dual_mov_b32 v99, v83 :: v_dual_mov_b32 v83, v84
	s_delay_alu instid0(VALU_DEP_2) | instskip(SKIP_1) | instid1(VALU_DEP_3)
	v_pk_fma_f32 v[96:97], v[84:85], v[40:41], v[96:97] op_sel_hi:[1,1,0] neg_lo:[0,0,1] neg_hi:[0,0,1]
	v_mul_f32_e32 v84, v85, v92
	v_pk_add_f32 v[38:39], v[38:39], v[98:99] neg_lo:[0,1] neg_hi:[0,1]
	s_delay_alu instid0(VALU_DEP_2) | instskip(NEXT) | instid1(VALU_DEP_1)
	v_pk_fma_f32 v[82:83], v[82:83], v[40:41], v[84:85] op_sel_hi:[1,1,0]
	v_mov_b32_e32 v97, v83
	ds_load_2addr_b64 v[82:85], v86 offset0:28 offset1:29
	v_pk_add_f32 v[34:35], v[34:35], v[96:97] neg_lo:[0,1] neg_hi:[0,1]
	s_wait_dscnt 0x0
	v_pk_mul_f32 v[96:97], v[82:83], v[94:95] op_sel:[0,1]
	s_delay_alu instid0(VALU_DEP_1) | instskip(SKIP_1) | instid1(VALU_DEP_1)
	v_pk_fma_f32 v[98:99], v[82:83], v[92:93], v[96:97] op_sel:[0,0,1] op_sel_hi:[1,1,0] neg_lo:[0,0,1] neg_hi:[0,0,1]
	v_pk_fma_f32 v[82:83], v[82:83], v[92:93], v[96:97] op_sel:[0,0,1] op_sel_hi:[1,0,0]
	v_mov_b32_e32 v99, v83
	v_pk_mul_f32 v[82:83], v[84:85], v[94:95] op_sel:[0,1]
	s_delay_alu instid0(VALU_DEP_1) | instskip(SKIP_1) | instid1(VALU_DEP_1)
	v_pk_fma_f32 v[96:97], v[84:85], v[92:93], v[82:83] op_sel:[0,0,1] op_sel_hi:[1,1,0] neg_lo:[0,0,1] neg_hi:[0,0,1]
	v_pk_fma_f32 v[82:83], v[84:85], v[92:93], v[82:83] op_sel:[0,0,1] op_sel_hi:[1,0,0]
	v_mov_b32_e32 v97, v83
	ds_load_2addr_b64 v[82:85], v86 offset0:30 offset1:31
	v_pk_add_f32 v[58:59], v[58:59], v[98:99] neg_lo:[0,1] neg_hi:[0,1]
	v_pk_add_f32 v[10:11], v[10:11], v[96:97] neg_lo:[0,1] neg_hi:[0,1]
	s_wait_dscnt 0x0
	v_pk_mul_f32 v[96:97], v[82:83], v[94:95] op_sel:[0,1]
	s_delay_alu instid0(VALU_DEP_1) | instskip(SKIP_1) | instid1(VALU_DEP_1)
	v_pk_fma_f32 v[98:99], v[82:83], v[92:93], v[96:97] op_sel:[0,0,1] op_sel_hi:[1,1,0] neg_lo:[0,0,1] neg_hi:[0,0,1]
	v_pk_fma_f32 v[82:83], v[82:83], v[92:93], v[96:97] op_sel:[0,0,1] op_sel_hi:[1,0,0]
	v_mov_b32_e32 v99, v83
	v_pk_mul_f32 v[82:83], v[84:85], v[94:95] op_sel:[0,1]
	s_delay_alu instid0(VALU_DEP_1) | instskip(SKIP_1) | instid1(VALU_DEP_1)
	v_pk_fma_f32 v[96:97], v[84:85], v[92:93], v[82:83] op_sel:[0,0,1] op_sel_hi:[1,1,0] neg_lo:[0,0,1] neg_hi:[0,0,1]
	v_pk_fma_f32 v[82:83], v[84:85], v[92:93], v[82:83] op_sel:[0,0,1] op_sel_hi:[1,0,0]
	v_mov_b32_e32 v97, v83
	ds_load_2addr_b64 v[82:85], v86 offset0:32 offset1:33
	v_pk_add_f32 v[12:13], v[12:13], v[98:99] neg_lo:[0,1] neg_hi:[0,1]
	v_pk_add_f32 v[8:9], v[8:9], v[96:97] neg_lo:[0,1] neg_hi:[0,1]
	s_wait_dscnt 0x0
	v_dual_mul_f32 v96, v83, v95 :: v_dual_mul_f32 v98, v83, v92
	s_delay_alu instid0(VALU_DEP_1) | instskip(NEXT) | instid1(VALU_DEP_2)
	v_pk_fma_f32 v[96:97], v[82:83], v[40:41], v[96:97] op_sel_hi:[1,1,0] neg_lo:[0,0,1] neg_hi:[0,0,1]
	v_pk_fma_f32 v[82:83], v[82:83], v[40:41], v[98:99] op_sel:[1,0,0] op_sel_hi:[0,1,0]
	s_delay_alu instid0(VALU_DEP_1) | instskip(SKIP_1) | instid1(VALU_DEP_2)
	v_mov_b32_e32 v97, v83
	v_pk_mul_f32 v[82:83], v[84:85], v[94:95] op_sel:[0,1]
	v_pk_add_f32 v[56:57], v[56:57], v[96:97] neg_lo:[0,1] neg_hi:[0,1]
	s_delay_alu instid0(VALU_DEP_2) | instskip(SKIP_1) | instid1(VALU_DEP_1)
	v_pk_fma_f32 v[96:97], v[84:85], v[92:93], v[82:83] op_sel:[0,0,1] op_sel_hi:[1,1,0] neg_lo:[0,0,1] neg_hi:[0,0,1]
	v_pk_fma_f32 v[82:83], v[84:85], v[92:93], v[82:83] op_sel:[0,0,1] op_sel_hi:[1,0,0]
	v_mov_b32_e32 v97, v83
	ds_load_2addr_b64 v[82:85], v86 offset0:34 offset1:35
	v_pk_add_f32 v[6:7], v[6:7], v[96:97] neg_lo:[0,1] neg_hi:[0,1]
	s_wait_dscnt 0x0
	v_pk_mul_f32 v[96:97], v[82:83], v[94:95] op_sel:[0,1]
	s_delay_alu instid0(VALU_DEP_1) | instskip(SKIP_1) | instid1(VALU_DEP_1)
	v_pk_fma_f32 v[98:99], v[82:83], v[92:93], v[96:97] op_sel:[0,0,1] op_sel_hi:[1,1,0] neg_lo:[0,0,1] neg_hi:[0,0,1]
	v_pk_fma_f32 v[82:83], v[82:83], v[92:93], v[96:97] op_sel:[0,0,1] op_sel_hi:[1,0,0]
	v_mov_b32_e32 v99, v83
	v_pk_mul_f32 v[82:83], v[84:85], v[94:95] op_sel:[0,1]
	s_delay_alu instid0(VALU_DEP_2) | instskip(NEXT) | instid1(VALU_DEP_2)
	v_pk_add_f32 v[54:55], v[54:55], v[98:99] neg_lo:[0,1] neg_hi:[0,1]
	v_pk_fma_f32 v[96:97], v[84:85], v[92:93], v[82:83] op_sel:[0,0,1] op_sel_hi:[1,1,0] neg_lo:[0,0,1] neg_hi:[0,0,1]
	v_pk_fma_f32 v[82:83], v[84:85], v[92:93], v[82:83] op_sel:[0,0,1] op_sel_hi:[1,0,0]
	s_delay_alu instid0(VALU_DEP_1) | instskip(SKIP_4) | instid1(VALU_DEP_1)
	v_mov_b32_e32 v97, v83
	ds_load_2addr_b64 v[82:85], v86 offset0:36 offset1:37
	v_pk_add_f32 v[46:47], v[46:47], v[96:97] neg_lo:[0,1] neg_hi:[0,1]
	s_wait_dscnt 0x0
	v_pk_mul_f32 v[96:97], v[82:83], v[94:95] op_sel:[0,1]
	v_pk_fma_f32 v[98:99], v[82:83], v[92:93], v[96:97] op_sel:[0,0,1] op_sel_hi:[1,1,0] neg_lo:[0,0,1] neg_hi:[0,0,1]
	v_pk_fma_f32 v[82:83], v[82:83], v[92:93], v[96:97] op_sel:[0,0,1] op_sel_hi:[1,0,0]
	s_delay_alu instid0(VALU_DEP_1) | instskip(SKIP_1) | instid1(VALU_DEP_2)
	v_mov_b32_e32 v99, v83
	v_pk_mul_f32 v[82:83], v[84:85], v[94:95] op_sel:[0,1]
	v_pk_add_f32 v[26:27], v[26:27], v[98:99] neg_lo:[0,1] neg_hi:[0,1]
	s_delay_alu instid0(VALU_DEP_2) | instskip(SKIP_1) | instid1(VALU_DEP_1)
	v_pk_fma_f32 v[94:95], v[84:85], v[92:93], v[82:83] op_sel:[0,0,1] op_sel_hi:[1,1,0] neg_lo:[0,0,1] neg_hi:[0,0,1]
	v_pk_fma_f32 v[82:83], v[84:85], v[92:93], v[82:83] op_sel:[0,0,1] op_sel_hi:[1,0,0]
	v_mov_b32_e32 v95, v83
	s_delay_alu instid0(VALU_DEP_1)
	v_pk_add_f32 v[80:81], v[80:81], v[94:95] neg_lo:[0,1] neg_hi:[0,1]
.LBB74_503:
	s_or_b32 exec_lo, exec_lo, s0
	v_lshl_add_u32 v82, v90, 3, v86
	s_barrier_signal -1
	s_barrier_wait -1
	ds_store_b64 v82, v[66:67]
	s_wait_dscnt 0x0
	s_barrier_signal -1
	s_barrier_wait -1
	ds_load_b64 v[82:83], v86 offset:192
	v_mov_b32_e32 v84, 24
	s_cmp_lt_i32 s18, 26
	s_cbranch_scc1 .LBB74_506
; %bb.504:
	v_add3_u32 v85, v87, 0, 0xc8
	v_mov_b32_e32 v84, 24
	s_mov_b32 s0, 25
.LBB74_505:                             ; =>This Inner Loop Header: Depth=1
	ds_load_b64 v[92:93], v85
	s_wait_dscnt 0x1
	v_cmp_gt_f32_e32 vcc_lo, 0, v82
	v_cndmask_b32_e64 v94, v82, -v82, vcc_lo
	v_cmp_gt_f32_e32 vcc_lo, 0, v83
	v_cndmask_b32_e64 v96, v83, -v83, vcc_lo
	s_wait_dscnt 0x0
	v_cmp_gt_f32_e32 vcc_lo, 0, v92
	v_cndmask_b32_e64 v95, v92, -v92, vcc_lo
	v_cmp_gt_f32_e32 vcc_lo, 0, v93
	v_cndmask_b32_e64 v97, v93, -v93, vcc_lo
	s_delay_alu instid0(VALU_DEP_1) | instskip(NEXT) | instid1(VALU_DEP_1)
	v_pk_add_f32 v[94:95], v[94:95], v[96:97]
	v_cmp_lt_f32_e32 vcc_lo, v94, v95
	v_dual_cndmask_b32 v82, v82, v92 :: v_dual_add_nc_u32 v85, 8, v85
	v_cndmask_b32_e32 v83, v83, v93, vcc_lo
	v_cndmask_b32_e64 v84, v84, s0, vcc_lo
	s_add_co_i32 s0, s0, 1
	s_delay_alu instid0(SALU_CYCLE_1)
	s_cmp_lg_u32 s18, s0
	s_cbranch_scc1 .LBB74_505
.LBB74_506:
	s_wait_dscnt 0x0
	v_cmp_eq_f32_e32 vcc_lo, 0, v82
	v_cmp_eq_f32_e64 s0, 0, v83
	s_and_b32 s0, vcc_lo, s0
	s_delay_alu instid0(SALU_CYCLE_1) | instskip(NEXT) | instid1(SALU_CYCLE_1)
	s_and_saveexec_b32 s1, s0
	s_xor_b32 s0, exec_lo, s1
; %bb.507:
	v_cmp_ne_u32_e32 vcc_lo, 0, v88
	v_cndmask_b32_e32 v88, 25, v88, vcc_lo
; %bb.508:
	s_and_not1_saveexec_b32 s0, s0
	s_cbranch_execz .LBB74_514
; %bb.509:
	v_cmp_ngt_f32_e64 s1, |v82|, |v83|
	s_and_saveexec_b32 s12, s1
	s_delay_alu instid0(SALU_CYCLE_1)
	s_xor_b32 s1, exec_lo, s12
	s_cbranch_execz .LBB74_511
; %bb.510:
	v_div_scale_f32 v85, null, v83, v83, v82
	v_div_scale_f32 v93, vcc_lo, v82, v83, v82
	s_delay_alu instid0(VALU_DEP_2) | instskip(SKIP_1) | instid1(TRANS32_DEP_1)
	v_rcp_f32_e32 v91, v85
	v_nop
	v_fma_f32 v92, -v85, v91, 1.0
	s_delay_alu instid0(VALU_DEP_1) | instskip(NEXT) | instid1(VALU_DEP_1)
	v_fmac_f32_e32 v91, v92, v91
	v_mul_f32_e32 v92, v93, v91
	s_delay_alu instid0(VALU_DEP_1) | instskip(NEXT) | instid1(VALU_DEP_1)
	v_fma_f32 v94, -v85, v92, v93
	v_fmac_f32_e32 v92, v94, v91
	s_delay_alu instid0(VALU_DEP_1) | instskip(NEXT) | instid1(VALU_DEP_1)
	v_fma_f32 v85, -v85, v92, v93
	v_div_fmas_f32 v85, v85, v91, v92
	s_delay_alu instid0(VALU_DEP_1) | instskip(NEXT) | instid1(VALU_DEP_1)
	v_div_fixup_f32 v85, v85, v83, v82
	v_fmac_f32_e32 v83, v82, v85
	s_delay_alu instid0(VALU_DEP_1) | instskip(SKIP_1) | instid1(VALU_DEP_2)
	v_div_scale_f32 v82, null, v83, v83, 1.0
	v_div_scale_f32 v93, vcc_lo, 1.0, v83, 1.0
	v_rcp_f32_e32 v91, v82
	v_nop
	s_delay_alu instid0(TRANS32_DEP_1) | instskip(NEXT) | instid1(VALU_DEP_1)
	v_fma_f32 v92, -v82, v91, 1.0
	v_fmac_f32_e32 v91, v92, v91
	s_delay_alu instid0(VALU_DEP_1) | instskip(NEXT) | instid1(VALU_DEP_1)
	v_mul_f32_e32 v92, v93, v91
	v_fma_f32 v94, -v82, v92, v93
	s_delay_alu instid0(VALU_DEP_1) | instskip(NEXT) | instid1(VALU_DEP_1)
	v_fmac_f32_e32 v92, v94, v91
	v_fma_f32 v82, -v82, v92, v93
	s_delay_alu instid0(VALU_DEP_1) | instskip(NEXT) | instid1(VALU_DEP_1)
	v_div_fmas_f32 v82, v82, v91, v92
	v_div_fixup_f32 v83, v82, v83, 1.0
	s_delay_alu instid0(VALU_DEP_1)
	v_mul_f32_e32 v82, v85, v83
	v_xor_b32_e32 v83, 0x80000000, v83
.LBB74_511:
	s_and_not1_saveexec_b32 s1, s1
	s_cbranch_execz .LBB74_513
; %bb.512:
	s_delay_alu instid0(VALU_DEP_1) | instskip(SKIP_1) | instid1(VALU_DEP_2)
	v_div_scale_f32 v85, null, v82, v82, v83
	v_div_scale_f32 v93, vcc_lo, v83, v82, v83
	v_rcp_f32_e32 v91, v85
	v_nop
	s_delay_alu instid0(TRANS32_DEP_1) | instskip(NEXT) | instid1(VALU_DEP_1)
	v_fma_f32 v92, -v85, v91, 1.0
	v_fmac_f32_e32 v91, v92, v91
	s_delay_alu instid0(VALU_DEP_1) | instskip(NEXT) | instid1(VALU_DEP_1)
	v_mul_f32_e32 v92, v93, v91
	v_fma_f32 v94, -v85, v92, v93
	s_delay_alu instid0(VALU_DEP_1) | instskip(NEXT) | instid1(VALU_DEP_1)
	v_fmac_f32_e32 v92, v94, v91
	v_fma_f32 v85, -v85, v92, v93
	s_delay_alu instid0(VALU_DEP_1) | instskip(NEXT) | instid1(VALU_DEP_1)
	v_div_fmas_f32 v85, v85, v91, v92
	v_div_fixup_f32 v85, v85, v82, v83
	s_delay_alu instid0(VALU_DEP_1) | instskip(NEXT) | instid1(VALU_DEP_1)
	v_fmac_f32_e32 v82, v83, v85
	v_div_scale_f32 v83, null, v82, v82, 1.0
	s_delay_alu instid0(VALU_DEP_1) | instskip(SKIP_1) | instid1(TRANS32_DEP_1)
	v_rcp_f32_e32 v91, v83
	v_nop
	v_fma_f32 v92, -v83, v91, 1.0
	s_delay_alu instid0(VALU_DEP_1) | instskip(SKIP_1) | instid1(VALU_DEP_1)
	v_fmac_f32_e32 v91, v92, v91
	v_div_scale_f32 v92, vcc_lo, 1.0, v82, 1.0
	v_mul_f32_e32 v93, v92, v91
	s_delay_alu instid0(VALU_DEP_1) | instskip(NEXT) | instid1(VALU_DEP_1)
	v_fma_f32 v94, -v83, v93, v92
	v_fmac_f32_e32 v93, v94, v91
	s_delay_alu instid0(VALU_DEP_1) | instskip(NEXT) | instid1(VALU_DEP_1)
	v_fma_f32 v83, -v83, v93, v92
	v_div_fmas_f32 v83, v83, v91, v93
	s_delay_alu instid0(VALU_DEP_1) | instskip(NEXT) | instid1(VALU_DEP_1)
	v_div_fixup_f32 v82, v83, v82, 1.0
	v_mul_f32_e64 v83, v85, -v82
.LBB74_513:
	s_or_b32 exec_lo, exec_lo, s1
.LBB74_514:
	s_delay_alu instid0(SALU_CYCLE_1) | instskip(NEXT) | instid1(SALU_CYCLE_1)
	s_or_b32 exec_lo, exec_lo, s0
	s_mov_b32 s0, exec_lo
	v_cmpx_ne_u32_e64 v90, v84
	s_xor_b32 s0, exec_lo, s0
	s_cbranch_execz .LBB74_520
; %bb.515:
	s_mov_b32 s1, exec_lo
	v_cmpx_eq_u32_e32 24, v90
	s_cbranch_execz .LBB74_519
; %bb.516:
	v_cmp_ne_u32_e32 vcc_lo, 24, v84
	s_xor_b32 s12, s16, -1
	s_delay_alu instid0(SALU_CYCLE_1) | instskip(NEXT) | instid1(SALU_CYCLE_1)
	s_and_b32 s13, s12, vcc_lo
	s_and_saveexec_b32 s12, s13
	s_cbranch_execz .LBB74_518
; %bb.517:
	v_ashrrev_i32_e32 v85, 31, v84
	s_delay_alu instid0(VALU_DEP_1)
	v_lshl_add_u64 v[90:91], v[84:85], 2, v[4:5]
	s_clause 0x1
	global_load_b32 v85, v[90:91], off
	global_load_b32 v89, v[4:5], off offset:96
	s_wait_loadcnt 0x1
	global_store_b32 v[4:5], v85, off offset:96
	s_wait_loadcnt 0x0
	global_store_b32 v[90:91], v89, off
.LBB74_518:
	s_wait_xcnt 0x0
	s_or_b32 exec_lo, exec_lo, s12
	v_dual_mov_b32 v90, v84 :: v_dual_mov_b32 v89, v84
.LBB74_519:
	s_or_b32 exec_lo, exec_lo, s1
.LBB74_520:
	s_and_not1_saveexec_b32 s0, s0
	s_cbranch_execz .LBB74_522
; %bb.521:
	v_mov_b32_e32 v90, 24
	ds_store_2addr_b64 v86, v[36:37], v[38:39] offset0:25 offset1:26
	ds_store_2addr_b64 v86, v[34:35], v[58:59] offset0:27 offset1:28
	;; [unrolled: 1-line block ×6, first 2 shown]
	ds_store_b64 v86, v[80:81] offset:296
.LBB74_522:
	s_or_b32 exec_lo, exec_lo, s0
	s_delay_alu instid0(SALU_CYCLE_1)
	s_mov_b32 s0, exec_lo
	s_wait_storecnt_dscnt 0x0
	s_barrier_signal -1
	s_barrier_wait -1
	v_cmpx_lt_i32_e32 24, v90
	s_cbranch_execz .LBB74_524
; %bb.523:
	v_pk_mul_f32 v[84:85], v[82:83], v[66:67] op_sel:[1,1] op_sel_hi:[0,1]
	s_delay_alu instid0(VALU_DEP_1)
	v_pk_fma_f32 v[92:93], v[82:83], v[66:67], v[84:85] op_sel_hi:[1,0,1] neg_lo:[0,0,1] neg_hi:[0,0,1]
	v_pk_fma_f32 v[94:95], v[82:83], v[66:67], v[84:85] op_sel_hi:[1,0,1]
	ds_load_2addr_b64 v[82:85], v86 offset0:25 offset1:26
	v_dual_mov_b32 v66, v92 :: v_dual_mov_b32 v67, v95
	s_wait_dscnt 0x0
	v_pk_mul_f32 v[96:97], v[82:83], v[94:95] op_sel:[0,1]
	s_delay_alu instid0(VALU_DEP_1) | instskip(SKIP_1) | instid1(VALU_DEP_1)
	v_pk_fma_f32 v[98:99], v[82:83], v[92:93], v[96:97] op_sel:[0,0,1] op_sel_hi:[1,1,0] neg_lo:[0,0,1] neg_hi:[0,0,1]
	v_pk_fma_f32 v[82:83], v[82:83], v[92:93], v[96:97] op_sel:[0,0,1] op_sel_hi:[1,0,0]
	v_mov_b32_e32 v99, v83
	v_pk_mul_f32 v[82:83], v[84:85], v[94:95] op_sel:[0,1]
	s_delay_alu instid0(VALU_DEP_1) | instskip(SKIP_1) | instid1(VALU_DEP_1)
	v_pk_fma_f32 v[96:97], v[84:85], v[92:93], v[82:83] op_sel:[0,0,1] op_sel_hi:[1,1,0] neg_lo:[0,0,1] neg_hi:[0,0,1]
	v_pk_fma_f32 v[82:83], v[84:85], v[92:93], v[82:83] op_sel:[0,0,1] op_sel_hi:[1,0,0]
	v_mov_b32_e32 v97, v83
	ds_load_2addr_b64 v[82:85], v86 offset0:27 offset1:28
	v_pk_add_f32 v[36:37], v[36:37], v[98:99] neg_lo:[0,1] neg_hi:[0,1]
	v_pk_add_f32 v[38:39], v[38:39], v[96:97] neg_lo:[0,1] neg_hi:[0,1]
	s_wait_dscnt 0x0
	v_pk_mul_f32 v[96:97], v[82:83], v[94:95] op_sel:[0,1]
	s_delay_alu instid0(VALU_DEP_1) | instskip(SKIP_2) | instid1(VALU_DEP_2)
	v_pk_fma_f32 v[98:99], v[82:83], v[92:93], v[96:97] op_sel:[0,0,1] op_sel_hi:[1,1,0] neg_lo:[0,0,1] neg_hi:[0,0,1]
	v_pk_fma_f32 v[82:83], v[82:83], v[92:93], v[96:97] op_sel:[0,0,1] op_sel_hi:[1,0,0]
	v_dual_mul_f32 v96, v85, v95 :: v_dual_mov_b32 v82, v85
	v_dual_mov_b32 v99, v83 :: v_dual_mov_b32 v83, v84
	s_delay_alu instid0(VALU_DEP_2) | instskip(SKIP_1) | instid1(VALU_DEP_3)
	v_pk_fma_f32 v[96:97], v[84:85], v[66:67], v[96:97] op_sel_hi:[1,1,0] neg_lo:[0,0,1] neg_hi:[0,0,1]
	v_mul_f32_e32 v84, v85, v92
	v_pk_add_f32 v[34:35], v[34:35], v[98:99] neg_lo:[0,1] neg_hi:[0,1]
	s_delay_alu instid0(VALU_DEP_2) | instskip(NEXT) | instid1(VALU_DEP_1)
	v_pk_fma_f32 v[82:83], v[82:83], v[66:67], v[84:85] op_sel_hi:[1,1,0]
	v_mov_b32_e32 v97, v83
	ds_load_2addr_b64 v[82:85], v86 offset0:29 offset1:30
	v_pk_add_f32 v[58:59], v[58:59], v[96:97] neg_lo:[0,1] neg_hi:[0,1]
	s_wait_dscnt 0x0
	v_pk_mul_f32 v[96:97], v[82:83], v[94:95] op_sel:[0,1]
	s_delay_alu instid0(VALU_DEP_1) | instskip(SKIP_1) | instid1(VALU_DEP_1)
	v_pk_fma_f32 v[98:99], v[82:83], v[92:93], v[96:97] op_sel:[0,0,1] op_sel_hi:[1,1,0] neg_lo:[0,0,1] neg_hi:[0,0,1]
	v_pk_fma_f32 v[82:83], v[82:83], v[92:93], v[96:97] op_sel:[0,0,1] op_sel_hi:[1,0,0]
	v_mov_b32_e32 v99, v83
	v_pk_mul_f32 v[82:83], v[84:85], v[94:95] op_sel:[0,1]
	s_delay_alu instid0(VALU_DEP_1) | instskip(SKIP_1) | instid1(VALU_DEP_1)
	v_pk_fma_f32 v[96:97], v[84:85], v[92:93], v[82:83] op_sel:[0,0,1] op_sel_hi:[1,1,0] neg_lo:[0,0,1] neg_hi:[0,0,1]
	v_pk_fma_f32 v[82:83], v[84:85], v[92:93], v[82:83] op_sel:[0,0,1] op_sel_hi:[1,0,0]
	v_mov_b32_e32 v97, v83
	ds_load_2addr_b64 v[82:85], v86 offset0:31 offset1:32
	v_pk_add_f32 v[10:11], v[10:11], v[98:99] neg_lo:[0,1] neg_hi:[0,1]
	v_pk_add_f32 v[12:13], v[12:13], v[96:97] neg_lo:[0,1] neg_hi:[0,1]
	s_wait_dscnt 0x0
	v_pk_mul_f32 v[96:97], v[82:83], v[94:95] op_sel:[0,1]
	s_delay_alu instid0(VALU_DEP_1) | instskip(SKIP_1) | instid1(VALU_DEP_1)
	v_pk_fma_f32 v[98:99], v[82:83], v[92:93], v[96:97] op_sel:[0,0,1] op_sel_hi:[1,1,0] neg_lo:[0,0,1] neg_hi:[0,0,1]
	v_pk_fma_f32 v[82:83], v[82:83], v[92:93], v[96:97] op_sel:[0,0,1] op_sel_hi:[1,0,0]
	v_mov_b32_e32 v99, v83
	v_pk_mul_f32 v[82:83], v[84:85], v[94:95] op_sel:[0,1]
	s_delay_alu instid0(VALU_DEP_1) | instskip(SKIP_1) | instid1(VALU_DEP_1)
	v_pk_fma_f32 v[96:97], v[84:85], v[92:93], v[82:83] op_sel:[0,0,1] op_sel_hi:[1,1,0] neg_lo:[0,0,1] neg_hi:[0,0,1]
	v_pk_fma_f32 v[82:83], v[84:85], v[92:93], v[82:83] op_sel:[0,0,1] op_sel_hi:[1,0,0]
	v_mov_b32_e32 v97, v83
	ds_load_2addr_b64 v[82:85], v86 offset0:33 offset1:34
	v_pk_add_f32 v[8:9], v[8:9], v[98:99] neg_lo:[0,1] neg_hi:[0,1]
	v_pk_add_f32 v[56:57], v[56:57], v[96:97] neg_lo:[0,1] neg_hi:[0,1]
	s_wait_dscnt 0x0
	v_dual_mul_f32 v96, v83, v95 :: v_dual_mul_f32 v98, v83, v92
	s_delay_alu instid0(VALU_DEP_1) | instskip(NEXT) | instid1(VALU_DEP_2)
	v_pk_fma_f32 v[96:97], v[82:83], v[66:67], v[96:97] op_sel_hi:[1,1,0] neg_lo:[0,0,1] neg_hi:[0,0,1]
	v_pk_fma_f32 v[82:83], v[82:83], v[66:67], v[98:99] op_sel:[1,0,0] op_sel_hi:[0,1,0]
	s_delay_alu instid0(VALU_DEP_1) | instskip(SKIP_1) | instid1(VALU_DEP_2)
	v_mov_b32_e32 v97, v83
	v_pk_mul_f32 v[82:83], v[84:85], v[94:95] op_sel:[0,1]
	v_pk_add_f32 v[6:7], v[6:7], v[96:97] neg_lo:[0,1] neg_hi:[0,1]
	s_delay_alu instid0(VALU_DEP_2) | instskip(SKIP_1) | instid1(VALU_DEP_1)
	v_pk_fma_f32 v[96:97], v[84:85], v[92:93], v[82:83] op_sel:[0,0,1] op_sel_hi:[1,1,0] neg_lo:[0,0,1] neg_hi:[0,0,1]
	v_pk_fma_f32 v[82:83], v[84:85], v[92:93], v[82:83] op_sel:[0,0,1] op_sel_hi:[1,0,0]
	v_mov_b32_e32 v97, v83
	ds_load_2addr_b64 v[82:85], v86 offset0:35 offset1:36
	v_pk_add_f32 v[54:55], v[54:55], v[96:97] neg_lo:[0,1] neg_hi:[0,1]
	s_wait_dscnt 0x0
	v_pk_mul_f32 v[96:97], v[82:83], v[94:95] op_sel:[0,1]
	s_delay_alu instid0(VALU_DEP_1) | instskip(SKIP_1) | instid1(VALU_DEP_1)
	v_pk_fma_f32 v[98:99], v[82:83], v[92:93], v[96:97] op_sel:[0,0,1] op_sel_hi:[1,1,0] neg_lo:[0,0,1] neg_hi:[0,0,1]
	v_pk_fma_f32 v[82:83], v[82:83], v[92:93], v[96:97] op_sel:[0,0,1] op_sel_hi:[1,0,0]
	v_mov_b32_e32 v99, v83
	v_pk_mul_f32 v[82:83], v[84:85], v[94:95] op_sel:[0,1]
	s_delay_alu instid0(VALU_DEP_2) | instskip(NEXT) | instid1(VALU_DEP_2)
	v_pk_add_f32 v[46:47], v[46:47], v[98:99] neg_lo:[0,1] neg_hi:[0,1]
	v_pk_fma_f32 v[96:97], v[84:85], v[92:93], v[82:83] op_sel:[0,0,1] op_sel_hi:[1,1,0] neg_lo:[0,0,1] neg_hi:[0,0,1]
	v_pk_fma_f32 v[82:83], v[84:85], v[92:93], v[82:83] op_sel:[0,0,1] op_sel_hi:[1,0,0]
	s_delay_alu instid0(VALU_DEP_1) | instskip(SKIP_4) | instid1(VALU_DEP_1)
	v_mov_b32_e32 v97, v83
	ds_load_b64 v[82:83], v86 offset:296
	v_pk_add_f32 v[26:27], v[26:27], v[96:97] neg_lo:[0,1] neg_hi:[0,1]
	s_wait_dscnt 0x0
	v_pk_mul_f32 v[84:85], v[82:83], v[94:95] op_sel:[0,1]
	v_pk_fma_f32 v[94:95], v[82:83], v[92:93], v[84:85] op_sel:[0,0,1] op_sel_hi:[1,1,0] neg_lo:[0,0,1] neg_hi:[0,0,1]
	v_pk_fma_f32 v[82:83], v[82:83], v[92:93], v[84:85] op_sel:[0,0,1] op_sel_hi:[1,0,0]
	s_delay_alu instid0(VALU_DEP_1) | instskip(NEXT) | instid1(VALU_DEP_1)
	v_mov_b32_e32 v95, v83
	v_pk_add_f32 v[80:81], v[80:81], v[94:95] neg_lo:[0,1] neg_hi:[0,1]
.LBB74_524:
	s_or_b32 exec_lo, exec_lo, s0
	v_lshl_add_u32 v82, v90, 3, v86
	s_barrier_signal -1
	s_barrier_wait -1
	ds_store_b64 v82, v[36:37]
	s_wait_dscnt 0x0
	s_barrier_signal -1
	s_barrier_wait -1
	ds_load_b64 v[82:83], v86 offset:200
	v_mov_b32_e32 v84, 25
	s_cmp_lt_i32 s18, 27
	s_cbranch_scc1 .LBB74_527
; %bb.525:
	v_add3_u32 v85, v87, 0, 0xd0
	v_mov_b32_e32 v84, 25
	s_mov_b32 s0, 26
.LBB74_526:                             ; =>This Inner Loop Header: Depth=1
	ds_load_b64 v[92:93], v85
	s_wait_dscnt 0x1
	v_cmp_gt_f32_e32 vcc_lo, 0, v82
	v_cndmask_b32_e64 v94, v82, -v82, vcc_lo
	v_cmp_gt_f32_e32 vcc_lo, 0, v83
	v_cndmask_b32_e64 v96, v83, -v83, vcc_lo
	s_wait_dscnt 0x0
	v_cmp_gt_f32_e32 vcc_lo, 0, v92
	v_cndmask_b32_e64 v95, v92, -v92, vcc_lo
	v_cmp_gt_f32_e32 vcc_lo, 0, v93
	v_cndmask_b32_e64 v97, v93, -v93, vcc_lo
	s_delay_alu instid0(VALU_DEP_1) | instskip(NEXT) | instid1(VALU_DEP_1)
	v_pk_add_f32 v[94:95], v[94:95], v[96:97]
	v_cmp_lt_f32_e32 vcc_lo, v94, v95
	v_dual_cndmask_b32 v82, v82, v92 :: v_dual_add_nc_u32 v85, 8, v85
	v_cndmask_b32_e32 v83, v83, v93, vcc_lo
	v_cndmask_b32_e64 v84, v84, s0, vcc_lo
	s_add_co_i32 s0, s0, 1
	s_delay_alu instid0(SALU_CYCLE_1)
	s_cmp_lg_u32 s18, s0
	s_cbranch_scc1 .LBB74_526
.LBB74_527:
	s_wait_dscnt 0x0
	v_cmp_eq_f32_e32 vcc_lo, 0, v82
	v_cmp_eq_f32_e64 s0, 0, v83
	s_and_b32 s0, vcc_lo, s0
	s_delay_alu instid0(SALU_CYCLE_1) | instskip(NEXT) | instid1(SALU_CYCLE_1)
	s_and_saveexec_b32 s1, s0
	s_xor_b32 s0, exec_lo, s1
; %bb.528:
	v_cmp_ne_u32_e32 vcc_lo, 0, v88
	v_cndmask_b32_e32 v88, 26, v88, vcc_lo
; %bb.529:
	s_and_not1_saveexec_b32 s0, s0
	s_cbranch_execz .LBB74_535
; %bb.530:
	v_cmp_ngt_f32_e64 s1, |v82|, |v83|
	s_and_saveexec_b32 s12, s1
	s_delay_alu instid0(SALU_CYCLE_1)
	s_xor_b32 s1, exec_lo, s12
	s_cbranch_execz .LBB74_532
; %bb.531:
	v_div_scale_f32 v85, null, v83, v83, v82
	v_div_scale_f32 v93, vcc_lo, v82, v83, v82
	s_delay_alu instid0(VALU_DEP_2) | instskip(SKIP_1) | instid1(TRANS32_DEP_1)
	v_rcp_f32_e32 v91, v85
	v_nop
	v_fma_f32 v92, -v85, v91, 1.0
	s_delay_alu instid0(VALU_DEP_1) | instskip(NEXT) | instid1(VALU_DEP_1)
	v_fmac_f32_e32 v91, v92, v91
	v_mul_f32_e32 v92, v93, v91
	s_delay_alu instid0(VALU_DEP_1) | instskip(NEXT) | instid1(VALU_DEP_1)
	v_fma_f32 v94, -v85, v92, v93
	v_fmac_f32_e32 v92, v94, v91
	s_delay_alu instid0(VALU_DEP_1) | instskip(NEXT) | instid1(VALU_DEP_1)
	v_fma_f32 v85, -v85, v92, v93
	v_div_fmas_f32 v85, v85, v91, v92
	s_delay_alu instid0(VALU_DEP_1) | instskip(NEXT) | instid1(VALU_DEP_1)
	v_div_fixup_f32 v85, v85, v83, v82
	v_fmac_f32_e32 v83, v82, v85
	s_delay_alu instid0(VALU_DEP_1) | instskip(SKIP_1) | instid1(VALU_DEP_2)
	v_div_scale_f32 v82, null, v83, v83, 1.0
	v_div_scale_f32 v93, vcc_lo, 1.0, v83, 1.0
	v_rcp_f32_e32 v91, v82
	v_nop
	s_delay_alu instid0(TRANS32_DEP_1) | instskip(NEXT) | instid1(VALU_DEP_1)
	v_fma_f32 v92, -v82, v91, 1.0
	v_fmac_f32_e32 v91, v92, v91
	s_delay_alu instid0(VALU_DEP_1) | instskip(NEXT) | instid1(VALU_DEP_1)
	v_mul_f32_e32 v92, v93, v91
	v_fma_f32 v94, -v82, v92, v93
	s_delay_alu instid0(VALU_DEP_1) | instskip(NEXT) | instid1(VALU_DEP_1)
	v_fmac_f32_e32 v92, v94, v91
	v_fma_f32 v82, -v82, v92, v93
	s_delay_alu instid0(VALU_DEP_1) | instskip(NEXT) | instid1(VALU_DEP_1)
	v_div_fmas_f32 v82, v82, v91, v92
	v_div_fixup_f32 v83, v82, v83, 1.0
	s_delay_alu instid0(VALU_DEP_1)
	v_mul_f32_e32 v82, v85, v83
	v_xor_b32_e32 v83, 0x80000000, v83
.LBB74_532:
	s_and_not1_saveexec_b32 s1, s1
	s_cbranch_execz .LBB74_534
; %bb.533:
	s_delay_alu instid0(VALU_DEP_1) | instskip(SKIP_1) | instid1(VALU_DEP_2)
	v_div_scale_f32 v85, null, v82, v82, v83
	v_div_scale_f32 v93, vcc_lo, v83, v82, v83
	v_rcp_f32_e32 v91, v85
	v_nop
	s_delay_alu instid0(TRANS32_DEP_1) | instskip(NEXT) | instid1(VALU_DEP_1)
	v_fma_f32 v92, -v85, v91, 1.0
	v_fmac_f32_e32 v91, v92, v91
	s_delay_alu instid0(VALU_DEP_1) | instskip(NEXT) | instid1(VALU_DEP_1)
	v_mul_f32_e32 v92, v93, v91
	v_fma_f32 v94, -v85, v92, v93
	s_delay_alu instid0(VALU_DEP_1) | instskip(NEXT) | instid1(VALU_DEP_1)
	v_fmac_f32_e32 v92, v94, v91
	v_fma_f32 v85, -v85, v92, v93
	s_delay_alu instid0(VALU_DEP_1) | instskip(NEXT) | instid1(VALU_DEP_1)
	v_div_fmas_f32 v85, v85, v91, v92
	v_div_fixup_f32 v85, v85, v82, v83
	s_delay_alu instid0(VALU_DEP_1) | instskip(NEXT) | instid1(VALU_DEP_1)
	v_fmac_f32_e32 v82, v83, v85
	v_div_scale_f32 v83, null, v82, v82, 1.0
	s_delay_alu instid0(VALU_DEP_1) | instskip(SKIP_1) | instid1(TRANS32_DEP_1)
	v_rcp_f32_e32 v91, v83
	v_nop
	v_fma_f32 v92, -v83, v91, 1.0
	s_delay_alu instid0(VALU_DEP_1) | instskip(SKIP_1) | instid1(VALU_DEP_1)
	v_fmac_f32_e32 v91, v92, v91
	v_div_scale_f32 v92, vcc_lo, 1.0, v82, 1.0
	v_mul_f32_e32 v93, v92, v91
	s_delay_alu instid0(VALU_DEP_1) | instskip(NEXT) | instid1(VALU_DEP_1)
	v_fma_f32 v94, -v83, v93, v92
	v_fmac_f32_e32 v93, v94, v91
	s_delay_alu instid0(VALU_DEP_1) | instskip(NEXT) | instid1(VALU_DEP_1)
	v_fma_f32 v83, -v83, v93, v92
	v_div_fmas_f32 v83, v83, v91, v93
	s_delay_alu instid0(VALU_DEP_1) | instskip(NEXT) | instid1(VALU_DEP_1)
	v_div_fixup_f32 v82, v83, v82, 1.0
	v_mul_f32_e64 v83, v85, -v82
.LBB74_534:
	s_or_b32 exec_lo, exec_lo, s1
.LBB74_535:
	s_delay_alu instid0(SALU_CYCLE_1) | instskip(NEXT) | instid1(SALU_CYCLE_1)
	s_or_b32 exec_lo, exec_lo, s0
	s_mov_b32 s0, exec_lo
	v_cmpx_ne_u32_e64 v90, v84
	s_xor_b32 s0, exec_lo, s0
	s_cbranch_execz .LBB74_541
; %bb.536:
	s_mov_b32 s1, exec_lo
	v_cmpx_eq_u32_e32 25, v90
	s_cbranch_execz .LBB74_540
; %bb.537:
	v_cmp_ne_u32_e32 vcc_lo, 25, v84
	s_xor_b32 s12, s16, -1
	s_delay_alu instid0(SALU_CYCLE_1) | instskip(NEXT) | instid1(SALU_CYCLE_1)
	s_and_b32 s13, s12, vcc_lo
	s_and_saveexec_b32 s12, s13
	s_cbranch_execz .LBB74_539
; %bb.538:
	v_ashrrev_i32_e32 v85, 31, v84
	s_delay_alu instid0(VALU_DEP_1)
	v_lshl_add_u64 v[90:91], v[84:85], 2, v[4:5]
	s_clause 0x1
	global_load_b32 v85, v[90:91], off
	global_load_b32 v89, v[4:5], off offset:100
	s_wait_loadcnt 0x1
	global_store_b32 v[4:5], v85, off offset:100
	s_wait_loadcnt 0x0
	global_store_b32 v[90:91], v89, off
.LBB74_539:
	s_wait_xcnt 0x0
	s_or_b32 exec_lo, exec_lo, s12
	v_dual_mov_b32 v90, v84 :: v_dual_mov_b32 v89, v84
.LBB74_540:
	s_or_b32 exec_lo, exec_lo, s1
.LBB74_541:
	s_and_not1_saveexec_b32 s0, s0
	s_cbranch_execz .LBB74_543
; %bb.542:
	v_dual_mov_b32 v84, v38 :: v_dual_mov_b32 v85, v39
	v_dual_mov_b32 v90, v34 :: v_dual_mov_b32 v91, v35
	;; [unrolled: 1-line block ×4, first 2 shown]
	ds_store_2addr_b64 v86, v[84:85], v[90:91] offset0:26 offset1:27
	ds_store_2addr_b64 v86, v[92:93], v[94:95] offset0:28 offset1:29
	v_dual_mov_b32 v84, v12 :: v_dual_mov_b32 v85, v13
	v_dual_mov_b32 v92, v8 :: v_dual_mov_b32 v93, v9
	;; [unrolled: 1-line block ×7, first 2 shown]
	v_mov_b32_e32 v103, v27
	ds_store_2addr_b64 v86, v[84:85], v[92:93] offset0:30 offset1:31
	ds_store_2addr_b64 v86, v[94:95], v[96:97] offset0:32 offset1:33
	;; [unrolled: 1-line block ×4, first 2 shown]
.LBB74_543:
	s_or_b32 exec_lo, exec_lo, s0
	s_delay_alu instid0(SALU_CYCLE_1)
	s_mov_b32 s0, exec_lo
	s_wait_storecnt_dscnt 0x0
	s_barrier_signal -1
	s_barrier_wait -1
	v_cmpx_lt_i32_e32 25, v90
	s_cbranch_execz .LBB74_545
; %bb.544:
	v_pk_mul_f32 v[84:85], v[82:83], v[36:37] op_sel:[1,1] op_sel_hi:[0,1]
	s_delay_alu instid0(VALU_DEP_1)
	v_pk_fma_f32 v[92:93], v[82:83], v[36:37], v[84:85] op_sel_hi:[1,0,1] neg_lo:[0,0,1] neg_hi:[0,0,1]
	v_pk_fma_f32 v[94:95], v[82:83], v[36:37], v[84:85] op_sel_hi:[1,0,1]
	ds_load_2addr_b64 v[82:85], v86 offset0:26 offset1:27
	v_dual_mov_b32 v36, v92 :: v_dual_mov_b32 v37, v95
	s_wait_dscnt 0x0
	v_pk_mul_f32 v[96:97], v[82:83], v[94:95] op_sel:[0,1]
	s_delay_alu instid0(VALU_DEP_1) | instskip(SKIP_1) | instid1(VALU_DEP_1)
	v_pk_fma_f32 v[98:99], v[82:83], v[92:93], v[96:97] op_sel:[0,0,1] op_sel_hi:[1,1,0] neg_lo:[0,0,1] neg_hi:[0,0,1]
	v_pk_fma_f32 v[82:83], v[82:83], v[92:93], v[96:97] op_sel:[0,0,1] op_sel_hi:[1,0,0]
	v_mov_b32_e32 v99, v83
	v_pk_mul_f32 v[82:83], v[84:85], v[94:95] op_sel:[0,1]
	s_delay_alu instid0(VALU_DEP_1) | instskip(SKIP_1) | instid1(VALU_DEP_1)
	v_pk_fma_f32 v[96:97], v[84:85], v[92:93], v[82:83] op_sel:[0,0,1] op_sel_hi:[1,1,0] neg_lo:[0,0,1] neg_hi:[0,0,1]
	v_pk_fma_f32 v[82:83], v[84:85], v[92:93], v[82:83] op_sel:[0,0,1] op_sel_hi:[1,0,0]
	v_mov_b32_e32 v97, v83
	ds_load_2addr_b64 v[82:85], v86 offset0:28 offset1:29
	v_pk_add_f32 v[38:39], v[38:39], v[98:99] neg_lo:[0,1] neg_hi:[0,1]
	v_pk_add_f32 v[34:35], v[34:35], v[96:97] neg_lo:[0,1] neg_hi:[0,1]
	s_wait_dscnt 0x0
	v_pk_mul_f32 v[96:97], v[82:83], v[94:95] op_sel:[0,1]
	s_delay_alu instid0(VALU_DEP_1) | instskip(SKIP_2) | instid1(VALU_DEP_2)
	v_pk_fma_f32 v[98:99], v[82:83], v[92:93], v[96:97] op_sel:[0,0,1] op_sel_hi:[1,1,0] neg_lo:[0,0,1] neg_hi:[0,0,1]
	v_pk_fma_f32 v[82:83], v[82:83], v[92:93], v[96:97] op_sel:[0,0,1] op_sel_hi:[1,0,0]
	v_dual_mul_f32 v96, v85, v95 :: v_dual_mov_b32 v82, v85
	v_dual_mov_b32 v99, v83 :: v_dual_mov_b32 v83, v84
	s_delay_alu instid0(VALU_DEP_2) | instskip(SKIP_1) | instid1(VALU_DEP_3)
	v_pk_fma_f32 v[96:97], v[84:85], v[36:37], v[96:97] op_sel_hi:[1,1,0] neg_lo:[0,0,1] neg_hi:[0,0,1]
	v_mul_f32_e32 v84, v85, v92
	v_pk_add_f32 v[58:59], v[58:59], v[98:99] neg_lo:[0,1] neg_hi:[0,1]
	s_delay_alu instid0(VALU_DEP_2) | instskip(NEXT) | instid1(VALU_DEP_1)
	v_pk_fma_f32 v[82:83], v[82:83], v[36:37], v[84:85] op_sel_hi:[1,1,0]
	v_mov_b32_e32 v97, v83
	ds_load_2addr_b64 v[82:85], v86 offset0:30 offset1:31
	v_pk_add_f32 v[10:11], v[10:11], v[96:97] neg_lo:[0,1] neg_hi:[0,1]
	s_wait_dscnt 0x0
	v_pk_mul_f32 v[96:97], v[82:83], v[94:95] op_sel:[0,1]
	s_delay_alu instid0(VALU_DEP_1) | instskip(SKIP_1) | instid1(VALU_DEP_1)
	v_pk_fma_f32 v[98:99], v[82:83], v[92:93], v[96:97] op_sel:[0,0,1] op_sel_hi:[1,1,0] neg_lo:[0,0,1] neg_hi:[0,0,1]
	v_pk_fma_f32 v[82:83], v[82:83], v[92:93], v[96:97] op_sel:[0,0,1] op_sel_hi:[1,0,0]
	v_mov_b32_e32 v99, v83
	v_pk_mul_f32 v[82:83], v[84:85], v[94:95] op_sel:[0,1]
	s_delay_alu instid0(VALU_DEP_1) | instskip(SKIP_1) | instid1(VALU_DEP_1)
	v_pk_fma_f32 v[96:97], v[84:85], v[92:93], v[82:83] op_sel:[0,0,1] op_sel_hi:[1,1,0] neg_lo:[0,0,1] neg_hi:[0,0,1]
	v_pk_fma_f32 v[82:83], v[84:85], v[92:93], v[82:83] op_sel:[0,0,1] op_sel_hi:[1,0,0]
	v_mov_b32_e32 v97, v83
	ds_load_2addr_b64 v[82:85], v86 offset0:32 offset1:33
	v_pk_add_f32 v[12:13], v[12:13], v[98:99] neg_lo:[0,1] neg_hi:[0,1]
	v_pk_add_f32 v[8:9], v[8:9], v[96:97] neg_lo:[0,1] neg_hi:[0,1]
	s_wait_dscnt 0x0
	v_pk_mul_f32 v[96:97], v[82:83], v[94:95] op_sel:[0,1]
	s_delay_alu instid0(VALU_DEP_1) | instskip(SKIP_1) | instid1(VALU_DEP_1)
	v_pk_fma_f32 v[98:99], v[82:83], v[92:93], v[96:97] op_sel:[0,0,1] op_sel_hi:[1,1,0] neg_lo:[0,0,1] neg_hi:[0,0,1]
	v_pk_fma_f32 v[82:83], v[82:83], v[92:93], v[96:97] op_sel:[0,0,1] op_sel_hi:[1,0,0]
	v_mov_b32_e32 v99, v83
	v_pk_mul_f32 v[82:83], v[84:85], v[94:95] op_sel:[0,1]
	s_delay_alu instid0(VALU_DEP_1) | instskip(SKIP_1) | instid1(VALU_DEP_1)
	v_pk_fma_f32 v[96:97], v[84:85], v[92:93], v[82:83] op_sel:[0,0,1] op_sel_hi:[1,1,0] neg_lo:[0,0,1] neg_hi:[0,0,1]
	v_pk_fma_f32 v[82:83], v[84:85], v[92:93], v[82:83] op_sel:[0,0,1] op_sel_hi:[1,0,0]
	v_mov_b32_e32 v97, v83
	ds_load_2addr_b64 v[82:85], v86 offset0:34 offset1:35
	v_pk_add_f32 v[56:57], v[56:57], v[98:99] neg_lo:[0,1] neg_hi:[0,1]
	v_pk_add_f32 v[6:7], v[6:7], v[96:97] neg_lo:[0,1] neg_hi:[0,1]
	s_wait_dscnt 0x0
	v_dual_mul_f32 v96, v83, v95 :: v_dual_mul_f32 v98, v83, v92
	s_delay_alu instid0(VALU_DEP_1) | instskip(NEXT) | instid1(VALU_DEP_2)
	v_pk_fma_f32 v[96:97], v[82:83], v[36:37], v[96:97] op_sel_hi:[1,1,0] neg_lo:[0,0,1] neg_hi:[0,0,1]
	v_pk_fma_f32 v[82:83], v[82:83], v[36:37], v[98:99] op_sel:[1,0,0] op_sel_hi:[0,1,0]
	s_delay_alu instid0(VALU_DEP_1) | instskip(SKIP_1) | instid1(VALU_DEP_2)
	v_mov_b32_e32 v97, v83
	v_pk_mul_f32 v[82:83], v[84:85], v[94:95] op_sel:[0,1]
	v_pk_add_f32 v[54:55], v[54:55], v[96:97] neg_lo:[0,1] neg_hi:[0,1]
	s_delay_alu instid0(VALU_DEP_2) | instskip(SKIP_1) | instid1(VALU_DEP_1)
	v_pk_fma_f32 v[96:97], v[84:85], v[92:93], v[82:83] op_sel:[0,0,1] op_sel_hi:[1,1,0] neg_lo:[0,0,1] neg_hi:[0,0,1]
	v_pk_fma_f32 v[82:83], v[84:85], v[92:93], v[82:83] op_sel:[0,0,1] op_sel_hi:[1,0,0]
	v_mov_b32_e32 v97, v83
	ds_load_2addr_b64 v[82:85], v86 offset0:36 offset1:37
	v_pk_add_f32 v[46:47], v[46:47], v[96:97] neg_lo:[0,1] neg_hi:[0,1]
	s_wait_dscnt 0x0
	v_pk_mul_f32 v[96:97], v[82:83], v[94:95] op_sel:[0,1]
	v_mul_f32_e32 v94, v85, v95
	s_delay_alu instid0(VALU_DEP_2) | instskip(SKIP_2) | instid1(VALU_DEP_4)
	v_pk_fma_f32 v[98:99], v[82:83], v[92:93], v[96:97] op_sel:[0,0,1] op_sel_hi:[1,1,0] neg_lo:[0,0,1] neg_hi:[0,0,1]
	v_pk_fma_f32 v[82:83], v[82:83], v[92:93], v[96:97] op_sel:[0,0,1] op_sel_hi:[1,0,0]
	v_mov_b32_e32 v82, v85
	v_pk_fma_f32 v[94:95], v[84:85], v[36:37], v[94:95] op_sel_hi:[1,1,0] neg_lo:[0,0,1] neg_hi:[0,0,1]
	s_delay_alu instid0(VALU_DEP_3) | instskip(SKIP_1) | instid1(VALU_DEP_2)
	v_dual_mov_b32 v99, v83 :: v_dual_mov_b32 v83, v84
	v_mul_f32_e32 v84, v85, v92
	v_pk_add_f32 v[26:27], v[26:27], v[98:99] neg_lo:[0,1] neg_hi:[0,1]
	s_delay_alu instid0(VALU_DEP_2) | instskip(NEXT) | instid1(VALU_DEP_1)
	v_pk_fma_f32 v[82:83], v[82:83], v[36:37], v[84:85] op_sel_hi:[1,1,0]
	v_mov_b32_e32 v95, v83
	s_delay_alu instid0(VALU_DEP_1)
	v_pk_add_f32 v[80:81], v[80:81], v[94:95] neg_lo:[0,1] neg_hi:[0,1]
.LBB74_545:
	s_or_b32 exec_lo, exec_lo, s0
	v_lshl_add_u32 v82, v90, 3, v86
	s_barrier_signal -1
	s_barrier_wait -1
	ds_store_b64 v82, v[38:39]
	s_wait_dscnt 0x0
	s_barrier_signal -1
	s_barrier_wait -1
	ds_load_b64 v[82:83], v86 offset:208
	v_mov_b32_e32 v84, 26
	s_cmp_lt_i32 s18, 28
	s_cbranch_scc1 .LBB74_548
; %bb.546:
	v_add3_u32 v85, v87, 0, 0xd8
	v_mov_b32_e32 v84, 26
	s_mov_b32 s0, 27
.LBB74_547:                             ; =>This Inner Loop Header: Depth=1
	ds_load_b64 v[92:93], v85
	s_wait_dscnt 0x1
	v_cmp_gt_f32_e32 vcc_lo, 0, v82
	v_cndmask_b32_e64 v94, v82, -v82, vcc_lo
	v_cmp_gt_f32_e32 vcc_lo, 0, v83
	v_cndmask_b32_e64 v96, v83, -v83, vcc_lo
	s_wait_dscnt 0x0
	v_cmp_gt_f32_e32 vcc_lo, 0, v92
	v_cndmask_b32_e64 v95, v92, -v92, vcc_lo
	v_cmp_gt_f32_e32 vcc_lo, 0, v93
	v_cndmask_b32_e64 v97, v93, -v93, vcc_lo
	s_delay_alu instid0(VALU_DEP_1) | instskip(NEXT) | instid1(VALU_DEP_1)
	v_pk_add_f32 v[94:95], v[94:95], v[96:97]
	v_cmp_lt_f32_e32 vcc_lo, v94, v95
	v_dual_cndmask_b32 v82, v82, v92 :: v_dual_add_nc_u32 v85, 8, v85
	v_cndmask_b32_e32 v83, v83, v93, vcc_lo
	v_cndmask_b32_e64 v84, v84, s0, vcc_lo
	s_add_co_i32 s0, s0, 1
	s_delay_alu instid0(SALU_CYCLE_1)
	s_cmp_lg_u32 s18, s0
	s_cbranch_scc1 .LBB74_547
.LBB74_548:
	s_wait_dscnt 0x0
	v_cmp_eq_f32_e32 vcc_lo, 0, v82
	v_cmp_eq_f32_e64 s0, 0, v83
	s_and_b32 s0, vcc_lo, s0
	s_delay_alu instid0(SALU_CYCLE_1) | instskip(NEXT) | instid1(SALU_CYCLE_1)
	s_and_saveexec_b32 s1, s0
	s_xor_b32 s0, exec_lo, s1
; %bb.549:
	v_cmp_ne_u32_e32 vcc_lo, 0, v88
	v_cndmask_b32_e32 v88, 27, v88, vcc_lo
; %bb.550:
	s_and_not1_saveexec_b32 s0, s0
	s_cbranch_execz .LBB74_556
; %bb.551:
	v_cmp_ngt_f32_e64 s1, |v82|, |v83|
	s_and_saveexec_b32 s12, s1
	s_delay_alu instid0(SALU_CYCLE_1)
	s_xor_b32 s1, exec_lo, s12
	s_cbranch_execz .LBB74_553
; %bb.552:
	v_div_scale_f32 v85, null, v83, v83, v82
	v_div_scale_f32 v93, vcc_lo, v82, v83, v82
	s_delay_alu instid0(VALU_DEP_2) | instskip(SKIP_1) | instid1(TRANS32_DEP_1)
	v_rcp_f32_e32 v91, v85
	v_nop
	v_fma_f32 v92, -v85, v91, 1.0
	s_delay_alu instid0(VALU_DEP_1) | instskip(NEXT) | instid1(VALU_DEP_1)
	v_fmac_f32_e32 v91, v92, v91
	v_mul_f32_e32 v92, v93, v91
	s_delay_alu instid0(VALU_DEP_1) | instskip(NEXT) | instid1(VALU_DEP_1)
	v_fma_f32 v94, -v85, v92, v93
	v_fmac_f32_e32 v92, v94, v91
	s_delay_alu instid0(VALU_DEP_1) | instskip(NEXT) | instid1(VALU_DEP_1)
	v_fma_f32 v85, -v85, v92, v93
	v_div_fmas_f32 v85, v85, v91, v92
	s_delay_alu instid0(VALU_DEP_1) | instskip(NEXT) | instid1(VALU_DEP_1)
	v_div_fixup_f32 v85, v85, v83, v82
	v_fmac_f32_e32 v83, v82, v85
	s_delay_alu instid0(VALU_DEP_1) | instskip(SKIP_1) | instid1(VALU_DEP_2)
	v_div_scale_f32 v82, null, v83, v83, 1.0
	v_div_scale_f32 v93, vcc_lo, 1.0, v83, 1.0
	v_rcp_f32_e32 v91, v82
	v_nop
	s_delay_alu instid0(TRANS32_DEP_1) | instskip(NEXT) | instid1(VALU_DEP_1)
	v_fma_f32 v92, -v82, v91, 1.0
	v_fmac_f32_e32 v91, v92, v91
	s_delay_alu instid0(VALU_DEP_1) | instskip(NEXT) | instid1(VALU_DEP_1)
	v_mul_f32_e32 v92, v93, v91
	v_fma_f32 v94, -v82, v92, v93
	s_delay_alu instid0(VALU_DEP_1) | instskip(NEXT) | instid1(VALU_DEP_1)
	v_fmac_f32_e32 v92, v94, v91
	v_fma_f32 v82, -v82, v92, v93
	s_delay_alu instid0(VALU_DEP_1) | instskip(NEXT) | instid1(VALU_DEP_1)
	v_div_fmas_f32 v82, v82, v91, v92
	v_div_fixup_f32 v83, v82, v83, 1.0
	s_delay_alu instid0(VALU_DEP_1)
	v_mul_f32_e32 v82, v85, v83
	v_xor_b32_e32 v83, 0x80000000, v83
.LBB74_553:
	s_and_not1_saveexec_b32 s1, s1
	s_cbranch_execz .LBB74_555
; %bb.554:
	s_delay_alu instid0(VALU_DEP_1) | instskip(SKIP_1) | instid1(VALU_DEP_2)
	v_div_scale_f32 v85, null, v82, v82, v83
	v_div_scale_f32 v93, vcc_lo, v83, v82, v83
	v_rcp_f32_e32 v91, v85
	v_nop
	s_delay_alu instid0(TRANS32_DEP_1) | instskip(NEXT) | instid1(VALU_DEP_1)
	v_fma_f32 v92, -v85, v91, 1.0
	v_fmac_f32_e32 v91, v92, v91
	s_delay_alu instid0(VALU_DEP_1) | instskip(NEXT) | instid1(VALU_DEP_1)
	v_mul_f32_e32 v92, v93, v91
	v_fma_f32 v94, -v85, v92, v93
	s_delay_alu instid0(VALU_DEP_1) | instskip(NEXT) | instid1(VALU_DEP_1)
	v_fmac_f32_e32 v92, v94, v91
	v_fma_f32 v85, -v85, v92, v93
	s_delay_alu instid0(VALU_DEP_1) | instskip(NEXT) | instid1(VALU_DEP_1)
	v_div_fmas_f32 v85, v85, v91, v92
	v_div_fixup_f32 v85, v85, v82, v83
	s_delay_alu instid0(VALU_DEP_1) | instskip(NEXT) | instid1(VALU_DEP_1)
	v_fmac_f32_e32 v82, v83, v85
	v_div_scale_f32 v83, null, v82, v82, 1.0
	s_delay_alu instid0(VALU_DEP_1) | instskip(SKIP_1) | instid1(TRANS32_DEP_1)
	v_rcp_f32_e32 v91, v83
	v_nop
	v_fma_f32 v92, -v83, v91, 1.0
	s_delay_alu instid0(VALU_DEP_1) | instskip(SKIP_1) | instid1(VALU_DEP_1)
	v_fmac_f32_e32 v91, v92, v91
	v_div_scale_f32 v92, vcc_lo, 1.0, v82, 1.0
	v_mul_f32_e32 v93, v92, v91
	s_delay_alu instid0(VALU_DEP_1) | instskip(NEXT) | instid1(VALU_DEP_1)
	v_fma_f32 v94, -v83, v93, v92
	v_fmac_f32_e32 v93, v94, v91
	s_delay_alu instid0(VALU_DEP_1) | instskip(NEXT) | instid1(VALU_DEP_1)
	v_fma_f32 v83, -v83, v93, v92
	v_div_fmas_f32 v83, v83, v91, v93
	s_delay_alu instid0(VALU_DEP_1) | instskip(NEXT) | instid1(VALU_DEP_1)
	v_div_fixup_f32 v82, v83, v82, 1.0
	v_mul_f32_e64 v83, v85, -v82
.LBB74_555:
	s_or_b32 exec_lo, exec_lo, s1
.LBB74_556:
	s_delay_alu instid0(SALU_CYCLE_1) | instskip(NEXT) | instid1(SALU_CYCLE_1)
	s_or_b32 exec_lo, exec_lo, s0
	s_mov_b32 s0, exec_lo
	v_cmpx_ne_u32_e64 v90, v84
	s_xor_b32 s0, exec_lo, s0
	s_cbranch_execz .LBB74_562
; %bb.557:
	s_mov_b32 s1, exec_lo
	v_cmpx_eq_u32_e32 26, v90
	s_cbranch_execz .LBB74_561
; %bb.558:
	v_cmp_ne_u32_e32 vcc_lo, 26, v84
	s_xor_b32 s12, s16, -1
	s_delay_alu instid0(SALU_CYCLE_1) | instskip(NEXT) | instid1(SALU_CYCLE_1)
	s_and_b32 s13, s12, vcc_lo
	s_and_saveexec_b32 s12, s13
	s_cbranch_execz .LBB74_560
; %bb.559:
	v_ashrrev_i32_e32 v85, 31, v84
	s_delay_alu instid0(VALU_DEP_1)
	v_lshl_add_u64 v[90:91], v[84:85], 2, v[4:5]
	s_clause 0x1
	global_load_b32 v85, v[90:91], off
	global_load_b32 v89, v[4:5], off offset:104
	s_wait_loadcnt 0x1
	global_store_b32 v[4:5], v85, off offset:104
	s_wait_loadcnt 0x0
	global_store_b32 v[90:91], v89, off
.LBB74_560:
	s_wait_xcnt 0x0
	s_or_b32 exec_lo, exec_lo, s12
	v_dual_mov_b32 v90, v84 :: v_dual_mov_b32 v89, v84
.LBB74_561:
	s_or_b32 exec_lo, exec_lo, s1
.LBB74_562:
	s_and_not1_saveexec_b32 s0, s0
	s_cbranch_execz .LBB74_564
; %bb.563:
	v_mov_b32_e32 v90, 26
	ds_store_2addr_b64 v86, v[34:35], v[58:59] offset0:27 offset1:28
	ds_store_2addr_b64 v86, v[10:11], v[12:13] offset0:29 offset1:30
	;; [unrolled: 1-line block ×5, first 2 shown]
	ds_store_b64 v86, v[80:81] offset:296
.LBB74_564:
	s_or_b32 exec_lo, exec_lo, s0
	s_delay_alu instid0(SALU_CYCLE_1)
	s_mov_b32 s0, exec_lo
	s_wait_storecnt_dscnt 0x0
	s_barrier_signal -1
	s_barrier_wait -1
	v_cmpx_lt_i32_e32 26, v90
	s_cbranch_execz .LBB74_566
; %bb.565:
	v_pk_mul_f32 v[84:85], v[82:83], v[38:39] op_sel:[1,1] op_sel_hi:[0,1]
	s_delay_alu instid0(VALU_DEP_1)
	v_pk_fma_f32 v[92:93], v[82:83], v[38:39], v[84:85] op_sel_hi:[1,0,1] neg_lo:[0,0,1] neg_hi:[0,0,1]
	v_pk_fma_f32 v[94:95], v[82:83], v[38:39], v[84:85] op_sel_hi:[1,0,1]
	ds_load_2addr_b64 v[82:85], v86 offset0:27 offset1:28
	v_dual_mov_b32 v38, v92 :: v_dual_mov_b32 v39, v95
	s_wait_dscnt 0x0
	v_pk_mul_f32 v[96:97], v[82:83], v[94:95] op_sel:[0,1]
	s_delay_alu instid0(VALU_DEP_1) | instskip(SKIP_1) | instid1(VALU_DEP_1)
	v_pk_fma_f32 v[98:99], v[82:83], v[92:93], v[96:97] op_sel:[0,0,1] op_sel_hi:[1,1,0] neg_lo:[0,0,1] neg_hi:[0,0,1]
	v_pk_fma_f32 v[82:83], v[82:83], v[92:93], v[96:97] op_sel:[0,0,1] op_sel_hi:[1,0,0]
	v_mov_b32_e32 v99, v83
	v_pk_mul_f32 v[82:83], v[84:85], v[94:95] op_sel:[0,1]
	s_delay_alu instid0(VALU_DEP_1) | instskip(SKIP_1) | instid1(VALU_DEP_1)
	v_pk_fma_f32 v[96:97], v[84:85], v[92:93], v[82:83] op_sel:[0,0,1] op_sel_hi:[1,1,0] neg_lo:[0,0,1] neg_hi:[0,0,1]
	v_pk_fma_f32 v[82:83], v[84:85], v[92:93], v[82:83] op_sel:[0,0,1] op_sel_hi:[1,0,0]
	v_mov_b32_e32 v97, v83
	ds_load_2addr_b64 v[82:85], v86 offset0:29 offset1:30
	v_pk_add_f32 v[34:35], v[34:35], v[98:99] neg_lo:[0,1] neg_hi:[0,1]
	v_pk_add_f32 v[58:59], v[58:59], v[96:97] neg_lo:[0,1] neg_hi:[0,1]
	s_wait_dscnt 0x0
	v_pk_mul_f32 v[96:97], v[82:83], v[94:95] op_sel:[0,1]
	s_delay_alu instid0(VALU_DEP_1) | instskip(SKIP_2) | instid1(VALU_DEP_2)
	v_pk_fma_f32 v[98:99], v[82:83], v[92:93], v[96:97] op_sel:[0,0,1] op_sel_hi:[1,1,0] neg_lo:[0,0,1] neg_hi:[0,0,1]
	v_pk_fma_f32 v[82:83], v[82:83], v[92:93], v[96:97] op_sel:[0,0,1] op_sel_hi:[1,0,0]
	v_dual_mul_f32 v96, v85, v95 :: v_dual_mov_b32 v82, v85
	v_dual_mov_b32 v99, v83 :: v_dual_mov_b32 v83, v84
	s_delay_alu instid0(VALU_DEP_2) | instskip(SKIP_1) | instid1(VALU_DEP_3)
	v_pk_fma_f32 v[96:97], v[84:85], v[38:39], v[96:97] op_sel_hi:[1,1,0] neg_lo:[0,0,1] neg_hi:[0,0,1]
	v_mul_f32_e32 v84, v85, v92
	v_pk_add_f32 v[10:11], v[10:11], v[98:99] neg_lo:[0,1] neg_hi:[0,1]
	s_delay_alu instid0(VALU_DEP_2) | instskip(NEXT) | instid1(VALU_DEP_1)
	v_pk_fma_f32 v[82:83], v[82:83], v[38:39], v[84:85] op_sel_hi:[1,1,0]
	v_mov_b32_e32 v97, v83
	ds_load_2addr_b64 v[82:85], v86 offset0:31 offset1:32
	v_pk_add_f32 v[12:13], v[12:13], v[96:97] neg_lo:[0,1] neg_hi:[0,1]
	s_wait_dscnt 0x0
	v_pk_mul_f32 v[96:97], v[82:83], v[94:95] op_sel:[0,1]
	s_delay_alu instid0(VALU_DEP_1) | instskip(SKIP_1) | instid1(VALU_DEP_1)
	v_pk_fma_f32 v[98:99], v[82:83], v[92:93], v[96:97] op_sel:[0,0,1] op_sel_hi:[1,1,0] neg_lo:[0,0,1] neg_hi:[0,0,1]
	v_pk_fma_f32 v[82:83], v[82:83], v[92:93], v[96:97] op_sel:[0,0,1] op_sel_hi:[1,0,0]
	v_mov_b32_e32 v99, v83
	v_pk_mul_f32 v[82:83], v[84:85], v[94:95] op_sel:[0,1]
	s_delay_alu instid0(VALU_DEP_1) | instskip(SKIP_1) | instid1(VALU_DEP_1)
	v_pk_fma_f32 v[96:97], v[84:85], v[92:93], v[82:83] op_sel:[0,0,1] op_sel_hi:[1,1,0] neg_lo:[0,0,1] neg_hi:[0,0,1]
	v_pk_fma_f32 v[82:83], v[84:85], v[92:93], v[82:83] op_sel:[0,0,1] op_sel_hi:[1,0,0]
	v_mov_b32_e32 v97, v83
	ds_load_2addr_b64 v[82:85], v86 offset0:33 offset1:34
	v_pk_add_f32 v[8:9], v[8:9], v[98:99] neg_lo:[0,1] neg_hi:[0,1]
	v_pk_add_f32 v[56:57], v[56:57], v[96:97] neg_lo:[0,1] neg_hi:[0,1]
	s_wait_dscnt 0x0
	v_pk_mul_f32 v[96:97], v[82:83], v[94:95] op_sel:[0,1]
	s_delay_alu instid0(VALU_DEP_1) | instskip(SKIP_1) | instid1(VALU_DEP_1)
	v_pk_fma_f32 v[98:99], v[82:83], v[92:93], v[96:97] op_sel:[0,0,1] op_sel_hi:[1,1,0] neg_lo:[0,0,1] neg_hi:[0,0,1]
	v_pk_fma_f32 v[82:83], v[82:83], v[92:93], v[96:97] op_sel:[0,0,1] op_sel_hi:[1,0,0]
	v_mov_b32_e32 v99, v83
	v_pk_mul_f32 v[82:83], v[84:85], v[94:95] op_sel:[0,1]
	s_delay_alu instid0(VALU_DEP_1) | instskip(SKIP_1) | instid1(VALU_DEP_1)
	v_pk_fma_f32 v[96:97], v[84:85], v[92:93], v[82:83] op_sel:[0,0,1] op_sel_hi:[1,1,0] neg_lo:[0,0,1] neg_hi:[0,0,1]
	v_pk_fma_f32 v[82:83], v[84:85], v[92:93], v[82:83] op_sel:[0,0,1] op_sel_hi:[1,0,0]
	v_mov_b32_e32 v97, v83
	ds_load_2addr_b64 v[82:85], v86 offset0:35 offset1:36
	v_pk_add_f32 v[6:7], v[6:7], v[98:99] neg_lo:[0,1] neg_hi:[0,1]
	v_pk_add_f32 v[54:55], v[54:55], v[96:97] neg_lo:[0,1] neg_hi:[0,1]
	s_wait_dscnt 0x0
	v_dual_mul_f32 v96, v83, v95 :: v_dual_mul_f32 v98, v83, v92
	s_delay_alu instid0(VALU_DEP_1) | instskip(NEXT) | instid1(VALU_DEP_2)
	v_pk_fma_f32 v[96:97], v[82:83], v[38:39], v[96:97] op_sel_hi:[1,1,0] neg_lo:[0,0,1] neg_hi:[0,0,1]
	v_pk_fma_f32 v[82:83], v[82:83], v[38:39], v[98:99] op_sel:[1,0,0] op_sel_hi:[0,1,0]
	s_delay_alu instid0(VALU_DEP_1) | instskip(SKIP_1) | instid1(VALU_DEP_2)
	v_mov_b32_e32 v97, v83
	v_pk_mul_f32 v[82:83], v[84:85], v[94:95] op_sel:[0,1]
	v_pk_add_f32 v[46:47], v[46:47], v[96:97] neg_lo:[0,1] neg_hi:[0,1]
	s_delay_alu instid0(VALU_DEP_2) | instskip(SKIP_1) | instid1(VALU_DEP_1)
	v_pk_fma_f32 v[96:97], v[84:85], v[92:93], v[82:83] op_sel:[0,0,1] op_sel_hi:[1,1,0] neg_lo:[0,0,1] neg_hi:[0,0,1]
	v_pk_fma_f32 v[82:83], v[84:85], v[92:93], v[82:83] op_sel:[0,0,1] op_sel_hi:[1,0,0]
	v_mov_b32_e32 v97, v83
	ds_load_b64 v[82:83], v86 offset:296
	v_pk_add_f32 v[26:27], v[26:27], v[96:97] neg_lo:[0,1] neg_hi:[0,1]
	s_wait_dscnt 0x0
	v_pk_mul_f32 v[84:85], v[82:83], v[94:95] op_sel:[0,1]
	s_delay_alu instid0(VALU_DEP_1) | instskip(SKIP_1) | instid1(VALU_DEP_1)
	v_pk_fma_f32 v[94:95], v[82:83], v[92:93], v[84:85] op_sel:[0,0,1] op_sel_hi:[1,1,0] neg_lo:[0,0,1] neg_hi:[0,0,1]
	v_pk_fma_f32 v[82:83], v[82:83], v[92:93], v[84:85] op_sel:[0,0,1] op_sel_hi:[1,0,0]
	v_mov_b32_e32 v95, v83
	s_delay_alu instid0(VALU_DEP_1)
	v_pk_add_f32 v[80:81], v[80:81], v[94:95] neg_lo:[0,1] neg_hi:[0,1]
.LBB74_566:
	s_or_b32 exec_lo, exec_lo, s0
	v_lshl_add_u32 v82, v90, 3, v86
	s_barrier_signal -1
	s_barrier_wait -1
	ds_store_b64 v82, v[34:35]
	s_wait_dscnt 0x0
	s_barrier_signal -1
	s_barrier_wait -1
	ds_load_b64 v[82:83], v86 offset:216
	v_mov_b32_e32 v84, 27
	s_cmp_lt_i32 s18, 29
	s_cbranch_scc1 .LBB74_569
; %bb.567:
	v_add3_u32 v85, v87, 0, 0xe0
	v_mov_b32_e32 v84, 27
	s_mov_b32 s0, 28
.LBB74_568:                             ; =>This Inner Loop Header: Depth=1
	ds_load_b64 v[92:93], v85
	s_wait_dscnt 0x1
	v_cmp_gt_f32_e32 vcc_lo, 0, v82
	v_cndmask_b32_e64 v94, v82, -v82, vcc_lo
	v_cmp_gt_f32_e32 vcc_lo, 0, v83
	v_cndmask_b32_e64 v96, v83, -v83, vcc_lo
	s_wait_dscnt 0x0
	v_cmp_gt_f32_e32 vcc_lo, 0, v92
	v_cndmask_b32_e64 v95, v92, -v92, vcc_lo
	v_cmp_gt_f32_e32 vcc_lo, 0, v93
	v_cndmask_b32_e64 v97, v93, -v93, vcc_lo
	s_delay_alu instid0(VALU_DEP_1) | instskip(NEXT) | instid1(VALU_DEP_1)
	v_pk_add_f32 v[94:95], v[94:95], v[96:97]
	v_cmp_lt_f32_e32 vcc_lo, v94, v95
	v_dual_cndmask_b32 v82, v82, v92 :: v_dual_add_nc_u32 v85, 8, v85
	v_cndmask_b32_e32 v83, v83, v93, vcc_lo
	v_cndmask_b32_e64 v84, v84, s0, vcc_lo
	s_add_co_i32 s0, s0, 1
	s_delay_alu instid0(SALU_CYCLE_1)
	s_cmp_lg_u32 s18, s0
	s_cbranch_scc1 .LBB74_568
.LBB74_569:
	s_wait_dscnt 0x0
	v_cmp_eq_f32_e32 vcc_lo, 0, v82
	v_cmp_eq_f32_e64 s0, 0, v83
	s_and_b32 s0, vcc_lo, s0
	s_delay_alu instid0(SALU_CYCLE_1) | instskip(NEXT) | instid1(SALU_CYCLE_1)
	s_and_saveexec_b32 s1, s0
	s_xor_b32 s0, exec_lo, s1
; %bb.570:
	v_cmp_ne_u32_e32 vcc_lo, 0, v88
	v_cndmask_b32_e32 v88, 28, v88, vcc_lo
; %bb.571:
	s_and_not1_saveexec_b32 s0, s0
	s_cbranch_execz .LBB74_577
; %bb.572:
	v_cmp_ngt_f32_e64 s1, |v82|, |v83|
	s_and_saveexec_b32 s12, s1
	s_delay_alu instid0(SALU_CYCLE_1)
	s_xor_b32 s1, exec_lo, s12
	s_cbranch_execz .LBB74_574
; %bb.573:
	v_div_scale_f32 v85, null, v83, v83, v82
	v_div_scale_f32 v93, vcc_lo, v82, v83, v82
	s_delay_alu instid0(VALU_DEP_2) | instskip(SKIP_1) | instid1(TRANS32_DEP_1)
	v_rcp_f32_e32 v91, v85
	v_nop
	v_fma_f32 v92, -v85, v91, 1.0
	s_delay_alu instid0(VALU_DEP_1) | instskip(NEXT) | instid1(VALU_DEP_1)
	v_fmac_f32_e32 v91, v92, v91
	v_mul_f32_e32 v92, v93, v91
	s_delay_alu instid0(VALU_DEP_1) | instskip(NEXT) | instid1(VALU_DEP_1)
	v_fma_f32 v94, -v85, v92, v93
	v_fmac_f32_e32 v92, v94, v91
	s_delay_alu instid0(VALU_DEP_1) | instskip(NEXT) | instid1(VALU_DEP_1)
	v_fma_f32 v85, -v85, v92, v93
	v_div_fmas_f32 v85, v85, v91, v92
	s_delay_alu instid0(VALU_DEP_1) | instskip(NEXT) | instid1(VALU_DEP_1)
	v_div_fixup_f32 v85, v85, v83, v82
	v_fmac_f32_e32 v83, v82, v85
	s_delay_alu instid0(VALU_DEP_1) | instskip(SKIP_1) | instid1(VALU_DEP_2)
	v_div_scale_f32 v82, null, v83, v83, 1.0
	v_div_scale_f32 v93, vcc_lo, 1.0, v83, 1.0
	v_rcp_f32_e32 v91, v82
	v_nop
	s_delay_alu instid0(TRANS32_DEP_1) | instskip(NEXT) | instid1(VALU_DEP_1)
	v_fma_f32 v92, -v82, v91, 1.0
	v_fmac_f32_e32 v91, v92, v91
	s_delay_alu instid0(VALU_DEP_1) | instskip(NEXT) | instid1(VALU_DEP_1)
	v_mul_f32_e32 v92, v93, v91
	v_fma_f32 v94, -v82, v92, v93
	s_delay_alu instid0(VALU_DEP_1) | instskip(NEXT) | instid1(VALU_DEP_1)
	v_fmac_f32_e32 v92, v94, v91
	v_fma_f32 v82, -v82, v92, v93
	s_delay_alu instid0(VALU_DEP_1) | instskip(NEXT) | instid1(VALU_DEP_1)
	v_div_fmas_f32 v82, v82, v91, v92
	v_div_fixup_f32 v83, v82, v83, 1.0
	s_delay_alu instid0(VALU_DEP_1)
	v_mul_f32_e32 v82, v85, v83
	v_xor_b32_e32 v83, 0x80000000, v83
.LBB74_574:
	s_and_not1_saveexec_b32 s1, s1
	s_cbranch_execz .LBB74_576
; %bb.575:
	s_delay_alu instid0(VALU_DEP_1) | instskip(SKIP_1) | instid1(VALU_DEP_2)
	v_div_scale_f32 v85, null, v82, v82, v83
	v_div_scale_f32 v93, vcc_lo, v83, v82, v83
	v_rcp_f32_e32 v91, v85
	v_nop
	s_delay_alu instid0(TRANS32_DEP_1) | instskip(NEXT) | instid1(VALU_DEP_1)
	v_fma_f32 v92, -v85, v91, 1.0
	v_fmac_f32_e32 v91, v92, v91
	s_delay_alu instid0(VALU_DEP_1) | instskip(NEXT) | instid1(VALU_DEP_1)
	v_mul_f32_e32 v92, v93, v91
	v_fma_f32 v94, -v85, v92, v93
	s_delay_alu instid0(VALU_DEP_1) | instskip(NEXT) | instid1(VALU_DEP_1)
	v_fmac_f32_e32 v92, v94, v91
	v_fma_f32 v85, -v85, v92, v93
	s_delay_alu instid0(VALU_DEP_1) | instskip(NEXT) | instid1(VALU_DEP_1)
	v_div_fmas_f32 v85, v85, v91, v92
	v_div_fixup_f32 v85, v85, v82, v83
	s_delay_alu instid0(VALU_DEP_1) | instskip(NEXT) | instid1(VALU_DEP_1)
	v_fmac_f32_e32 v82, v83, v85
	v_div_scale_f32 v83, null, v82, v82, 1.0
	s_delay_alu instid0(VALU_DEP_1) | instskip(SKIP_1) | instid1(TRANS32_DEP_1)
	v_rcp_f32_e32 v91, v83
	v_nop
	v_fma_f32 v92, -v83, v91, 1.0
	s_delay_alu instid0(VALU_DEP_1) | instskip(SKIP_1) | instid1(VALU_DEP_1)
	v_fmac_f32_e32 v91, v92, v91
	v_div_scale_f32 v92, vcc_lo, 1.0, v82, 1.0
	v_mul_f32_e32 v93, v92, v91
	s_delay_alu instid0(VALU_DEP_1) | instskip(NEXT) | instid1(VALU_DEP_1)
	v_fma_f32 v94, -v83, v93, v92
	v_fmac_f32_e32 v93, v94, v91
	s_delay_alu instid0(VALU_DEP_1) | instskip(NEXT) | instid1(VALU_DEP_1)
	v_fma_f32 v83, -v83, v93, v92
	v_div_fmas_f32 v83, v83, v91, v93
	s_delay_alu instid0(VALU_DEP_1) | instskip(NEXT) | instid1(VALU_DEP_1)
	v_div_fixup_f32 v82, v83, v82, 1.0
	v_mul_f32_e64 v83, v85, -v82
.LBB74_576:
	s_or_b32 exec_lo, exec_lo, s1
.LBB74_577:
	s_delay_alu instid0(SALU_CYCLE_1) | instskip(NEXT) | instid1(SALU_CYCLE_1)
	s_or_b32 exec_lo, exec_lo, s0
	s_mov_b32 s0, exec_lo
	v_cmpx_ne_u32_e64 v90, v84
	s_xor_b32 s0, exec_lo, s0
	s_cbranch_execz .LBB74_583
; %bb.578:
	s_mov_b32 s1, exec_lo
	v_cmpx_eq_u32_e32 27, v90
	s_cbranch_execz .LBB74_582
; %bb.579:
	v_cmp_ne_u32_e32 vcc_lo, 27, v84
	s_xor_b32 s12, s16, -1
	s_delay_alu instid0(SALU_CYCLE_1) | instskip(NEXT) | instid1(SALU_CYCLE_1)
	s_and_b32 s13, s12, vcc_lo
	s_and_saveexec_b32 s12, s13
	s_cbranch_execz .LBB74_581
; %bb.580:
	v_ashrrev_i32_e32 v85, 31, v84
	s_delay_alu instid0(VALU_DEP_1)
	v_lshl_add_u64 v[90:91], v[84:85], 2, v[4:5]
	s_clause 0x1
	global_load_b32 v85, v[90:91], off
	global_load_b32 v89, v[4:5], off offset:108
	s_wait_loadcnt 0x1
	global_store_b32 v[4:5], v85, off offset:108
	s_wait_loadcnt 0x0
	global_store_b32 v[90:91], v89, off
.LBB74_581:
	s_wait_xcnt 0x0
	s_or_b32 exec_lo, exec_lo, s12
	v_dual_mov_b32 v90, v84 :: v_dual_mov_b32 v89, v84
.LBB74_582:
	s_or_b32 exec_lo, exec_lo, s1
.LBB74_583:
	s_and_not1_saveexec_b32 s0, s0
	s_cbranch_execz .LBB74_585
; %bb.584:
	v_dual_mov_b32 v84, v58 :: v_dual_mov_b32 v85, v59
	v_dual_mov_b32 v92, v10 :: v_dual_mov_b32 v93, v11
	;; [unrolled: 1-line block ×9, first 2 shown]
	v_mov_b32_e32 v107, v27
	ds_store_2addr_b64 v86, v[84:85], v[92:93] offset0:28 offset1:29
	ds_store_2addr_b64 v86, v[94:95], v[96:97] offset0:30 offset1:31
	;; [unrolled: 1-line block ×5, first 2 shown]
.LBB74_585:
	s_or_b32 exec_lo, exec_lo, s0
	s_delay_alu instid0(SALU_CYCLE_1)
	s_mov_b32 s0, exec_lo
	s_wait_storecnt_dscnt 0x0
	s_barrier_signal -1
	s_barrier_wait -1
	v_cmpx_lt_i32_e32 27, v90
	s_cbranch_execz .LBB74_587
; %bb.586:
	v_pk_mul_f32 v[84:85], v[82:83], v[34:35] op_sel:[1,1] op_sel_hi:[0,1]
	s_delay_alu instid0(VALU_DEP_1)
	v_pk_fma_f32 v[92:93], v[82:83], v[34:35], v[84:85] op_sel_hi:[1,0,1] neg_lo:[0,0,1] neg_hi:[0,0,1]
	v_pk_fma_f32 v[94:95], v[82:83], v[34:35], v[84:85] op_sel_hi:[1,0,1]
	ds_load_2addr_b64 v[82:85], v86 offset0:28 offset1:29
	v_dual_mov_b32 v34, v92 :: v_dual_mov_b32 v35, v95
	s_wait_dscnt 0x0
	v_pk_mul_f32 v[96:97], v[82:83], v[94:95] op_sel:[0,1]
	s_delay_alu instid0(VALU_DEP_1) | instskip(SKIP_1) | instid1(VALU_DEP_1)
	v_pk_fma_f32 v[98:99], v[82:83], v[92:93], v[96:97] op_sel:[0,0,1] op_sel_hi:[1,1,0] neg_lo:[0,0,1] neg_hi:[0,0,1]
	v_pk_fma_f32 v[82:83], v[82:83], v[92:93], v[96:97] op_sel:[0,0,1] op_sel_hi:[1,0,0]
	v_mov_b32_e32 v99, v83
	v_pk_mul_f32 v[82:83], v[84:85], v[94:95] op_sel:[0,1]
	s_delay_alu instid0(VALU_DEP_1) | instskip(SKIP_1) | instid1(VALU_DEP_1)
	v_pk_fma_f32 v[96:97], v[84:85], v[92:93], v[82:83] op_sel:[0,0,1] op_sel_hi:[1,1,0] neg_lo:[0,0,1] neg_hi:[0,0,1]
	v_pk_fma_f32 v[82:83], v[84:85], v[92:93], v[82:83] op_sel:[0,0,1] op_sel_hi:[1,0,0]
	v_mov_b32_e32 v97, v83
	ds_load_2addr_b64 v[82:85], v86 offset0:30 offset1:31
	v_pk_add_f32 v[58:59], v[58:59], v[98:99] neg_lo:[0,1] neg_hi:[0,1]
	v_pk_add_f32 v[10:11], v[10:11], v[96:97] neg_lo:[0,1] neg_hi:[0,1]
	s_wait_dscnt 0x0
	v_pk_mul_f32 v[96:97], v[82:83], v[94:95] op_sel:[0,1]
	s_delay_alu instid0(VALU_DEP_1) | instskip(SKIP_2) | instid1(VALU_DEP_2)
	v_pk_fma_f32 v[98:99], v[82:83], v[92:93], v[96:97] op_sel:[0,0,1] op_sel_hi:[1,1,0] neg_lo:[0,0,1] neg_hi:[0,0,1]
	v_pk_fma_f32 v[82:83], v[82:83], v[92:93], v[96:97] op_sel:[0,0,1] op_sel_hi:[1,0,0]
	v_dual_mul_f32 v96, v85, v95 :: v_dual_mov_b32 v82, v85
	v_dual_mov_b32 v99, v83 :: v_dual_mov_b32 v83, v84
	s_delay_alu instid0(VALU_DEP_2) | instskip(SKIP_1) | instid1(VALU_DEP_3)
	v_pk_fma_f32 v[96:97], v[84:85], v[34:35], v[96:97] op_sel_hi:[1,1,0] neg_lo:[0,0,1] neg_hi:[0,0,1]
	v_mul_f32_e32 v84, v85, v92
	v_pk_add_f32 v[12:13], v[12:13], v[98:99] neg_lo:[0,1] neg_hi:[0,1]
	s_delay_alu instid0(VALU_DEP_2) | instskip(NEXT) | instid1(VALU_DEP_1)
	v_pk_fma_f32 v[82:83], v[82:83], v[34:35], v[84:85] op_sel_hi:[1,1,0]
	v_mov_b32_e32 v97, v83
	ds_load_2addr_b64 v[82:85], v86 offset0:32 offset1:33
	v_pk_add_f32 v[8:9], v[8:9], v[96:97] neg_lo:[0,1] neg_hi:[0,1]
	s_wait_dscnt 0x0
	v_pk_mul_f32 v[96:97], v[82:83], v[94:95] op_sel:[0,1]
	s_delay_alu instid0(VALU_DEP_1) | instskip(SKIP_1) | instid1(VALU_DEP_1)
	v_pk_fma_f32 v[98:99], v[82:83], v[92:93], v[96:97] op_sel:[0,0,1] op_sel_hi:[1,1,0] neg_lo:[0,0,1] neg_hi:[0,0,1]
	v_pk_fma_f32 v[82:83], v[82:83], v[92:93], v[96:97] op_sel:[0,0,1] op_sel_hi:[1,0,0]
	v_mov_b32_e32 v99, v83
	v_pk_mul_f32 v[82:83], v[84:85], v[94:95] op_sel:[0,1]
	s_delay_alu instid0(VALU_DEP_1) | instskip(SKIP_1) | instid1(VALU_DEP_1)
	v_pk_fma_f32 v[96:97], v[84:85], v[92:93], v[82:83] op_sel:[0,0,1] op_sel_hi:[1,1,0] neg_lo:[0,0,1] neg_hi:[0,0,1]
	v_pk_fma_f32 v[82:83], v[84:85], v[92:93], v[82:83] op_sel:[0,0,1] op_sel_hi:[1,0,0]
	v_mov_b32_e32 v97, v83
	ds_load_2addr_b64 v[82:85], v86 offset0:34 offset1:35
	v_pk_add_f32 v[56:57], v[56:57], v[98:99] neg_lo:[0,1] neg_hi:[0,1]
	v_pk_add_f32 v[6:7], v[6:7], v[96:97] neg_lo:[0,1] neg_hi:[0,1]
	s_wait_dscnt 0x0
	v_pk_mul_f32 v[96:97], v[82:83], v[94:95] op_sel:[0,1]
	s_delay_alu instid0(VALU_DEP_1) | instskip(SKIP_1) | instid1(VALU_DEP_1)
	v_pk_fma_f32 v[98:99], v[82:83], v[92:93], v[96:97] op_sel:[0,0,1] op_sel_hi:[1,1,0] neg_lo:[0,0,1] neg_hi:[0,0,1]
	v_pk_fma_f32 v[82:83], v[82:83], v[92:93], v[96:97] op_sel:[0,0,1] op_sel_hi:[1,0,0]
	v_mov_b32_e32 v99, v83
	v_pk_mul_f32 v[82:83], v[84:85], v[94:95] op_sel:[0,1]
	s_delay_alu instid0(VALU_DEP_1) | instskip(SKIP_1) | instid1(VALU_DEP_1)
	v_pk_fma_f32 v[96:97], v[84:85], v[92:93], v[82:83] op_sel:[0,0,1] op_sel_hi:[1,1,0] neg_lo:[0,0,1] neg_hi:[0,0,1]
	v_pk_fma_f32 v[82:83], v[84:85], v[92:93], v[82:83] op_sel:[0,0,1] op_sel_hi:[1,0,0]
	v_mov_b32_e32 v97, v83
	ds_load_2addr_b64 v[82:85], v86 offset0:36 offset1:37
	v_pk_add_f32 v[54:55], v[54:55], v[98:99] neg_lo:[0,1] neg_hi:[0,1]
	v_pk_add_f32 v[46:47], v[46:47], v[96:97] neg_lo:[0,1] neg_hi:[0,1]
	s_wait_dscnt 0x0
	v_dual_mul_f32 v96, v83, v95 :: v_dual_mul_f32 v98, v83, v92
	s_delay_alu instid0(VALU_DEP_1) | instskip(NEXT) | instid1(VALU_DEP_2)
	v_pk_fma_f32 v[96:97], v[82:83], v[34:35], v[96:97] op_sel_hi:[1,1,0] neg_lo:[0,0,1] neg_hi:[0,0,1]
	v_pk_fma_f32 v[82:83], v[82:83], v[34:35], v[98:99] op_sel:[1,0,0] op_sel_hi:[0,1,0]
	s_delay_alu instid0(VALU_DEP_1) | instskip(SKIP_1) | instid1(VALU_DEP_1)
	v_mov_b32_e32 v97, v83
	v_pk_mul_f32 v[82:83], v[84:85], v[94:95] op_sel:[0,1]
	v_pk_fma_f32 v[94:95], v[84:85], v[92:93], v[82:83] op_sel:[0,0,1] op_sel_hi:[1,1,0] neg_lo:[0,0,1] neg_hi:[0,0,1]
	v_pk_fma_f32 v[82:83], v[84:85], v[92:93], v[82:83] op_sel:[0,0,1] op_sel_hi:[1,0,0]
	s_delay_alu instid0(VALU_DEP_1) | instskip(SKIP_1) | instid1(VALU_DEP_2)
	v_mov_b32_e32 v95, v83
	v_pk_add_f32 v[26:27], v[26:27], v[96:97] neg_lo:[0,1] neg_hi:[0,1]
	v_pk_add_f32 v[80:81], v[80:81], v[94:95] neg_lo:[0,1] neg_hi:[0,1]
.LBB74_587:
	s_or_b32 exec_lo, exec_lo, s0
	v_lshl_add_u32 v82, v90, 3, v86
	s_barrier_signal -1
	s_barrier_wait -1
	ds_store_b64 v82, v[58:59]
	s_wait_dscnt 0x0
	s_barrier_signal -1
	s_barrier_wait -1
	ds_load_b64 v[82:83], v86 offset:224
	v_mov_b32_e32 v84, 28
	s_cmp_lt_i32 s18, 30
	s_cbranch_scc1 .LBB74_590
; %bb.588:
	v_add3_u32 v85, v87, 0, 0xe8
	v_mov_b32_e32 v84, 28
	s_mov_b32 s0, 29
.LBB74_589:                             ; =>This Inner Loop Header: Depth=1
	ds_load_b64 v[92:93], v85
	s_wait_dscnt 0x1
	v_cmp_gt_f32_e32 vcc_lo, 0, v82
	v_cndmask_b32_e64 v94, v82, -v82, vcc_lo
	v_cmp_gt_f32_e32 vcc_lo, 0, v83
	v_cndmask_b32_e64 v96, v83, -v83, vcc_lo
	s_wait_dscnt 0x0
	v_cmp_gt_f32_e32 vcc_lo, 0, v92
	v_cndmask_b32_e64 v95, v92, -v92, vcc_lo
	v_cmp_gt_f32_e32 vcc_lo, 0, v93
	v_cndmask_b32_e64 v97, v93, -v93, vcc_lo
	s_delay_alu instid0(VALU_DEP_1) | instskip(NEXT) | instid1(VALU_DEP_1)
	v_pk_add_f32 v[94:95], v[94:95], v[96:97]
	v_cmp_lt_f32_e32 vcc_lo, v94, v95
	v_dual_cndmask_b32 v82, v82, v92 :: v_dual_add_nc_u32 v85, 8, v85
	v_cndmask_b32_e32 v83, v83, v93, vcc_lo
	v_cndmask_b32_e64 v84, v84, s0, vcc_lo
	s_add_co_i32 s0, s0, 1
	s_delay_alu instid0(SALU_CYCLE_1)
	s_cmp_lg_u32 s18, s0
	s_cbranch_scc1 .LBB74_589
.LBB74_590:
	s_wait_dscnt 0x0
	v_cmp_eq_f32_e32 vcc_lo, 0, v82
	v_cmp_eq_f32_e64 s0, 0, v83
	s_and_b32 s0, vcc_lo, s0
	s_delay_alu instid0(SALU_CYCLE_1) | instskip(NEXT) | instid1(SALU_CYCLE_1)
	s_and_saveexec_b32 s1, s0
	s_xor_b32 s0, exec_lo, s1
; %bb.591:
	v_cmp_ne_u32_e32 vcc_lo, 0, v88
	v_cndmask_b32_e32 v88, 29, v88, vcc_lo
; %bb.592:
	s_and_not1_saveexec_b32 s0, s0
	s_cbranch_execz .LBB74_598
; %bb.593:
	v_cmp_ngt_f32_e64 s1, |v82|, |v83|
	s_and_saveexec_b32 s12, s1
	s_delay_alu instid0(SALU_CYCLE_1)
	s_xor_b32 s1, exec_lo, s12
	s_cbranch_execz .LBB74_595
; %bb.594:
	v_div_scale_f32 v85, null, v83, v83, v82
	v_div_scale_f32 v93, vcc_lo, v82, v83, v82
	s_delay_alu instid0(VALU_DEP_2) | instskip(SKIP_1) | instid1(TRANS32_DEP_1)
	v_rcp_f32_e32 v91, v85
	v_nop
	v_fma_f32 v92, -v85, v91, 1.0
	s_delay_alu instid0(VALU_DEP_1) | instskip(NEXT) | instid1(VALU_DEP_1)
	v_fmac_f32_e32 v91, v92, v91
	v_mul_f32_e32 v92, v93, v91
	s_delay_alu instid0(VALU_DEP_1) | instskip(NEXT) | instid1(VALU_DEP_1)
	v_fma_f32 v94, -v85, v92, v93
	v_fmac_f32_e32 v92, v94, v91
	s_delay_alu instid0(VALU_DEP_1) | instskip(NEXT) | instid1(VALU_DEP_1)
	v_fma_f32 v85, -v85, v92, v93
	v_div_fmas_f32 v85, v85, v91, v92
	s_delay_alu instid0(VALU_DEP_1) | instskip(NEXT) | instid1(VALU_DEP_1)
	v_div_fixup_f32 v85, v85, v83, v82
	v_fmac_f32_e32 v83, v82, v85
	s_delay_alu instid0(VALU_DEP_1) | instskip(SKIP_1) | instid1(VALU_DEP_2)
	v_div_scale_f32 v82, null, v83, v83, 1.0
	v_div_scale_f32 v93, vcc_lo, 1.0, v83, 1.0
	v_rcp_f32_e32 v91, v82
	v_nop
	s_delay_alu instid0(TRANS32_DEP_1) | instskip(NEXT) | instid1(VALU_DEP_1)
	v_fma_f32 v92, -v82, v91, 1.0
	v_fmac_f32_e32 v91, v92, v91
	s_delay_alu instid0(VALU_DEP_1) | instskip(NEXT) | instid1(VALU_DEP_1)
	v_mul_f32_e32 v92, v93, v91
	v_fma_f32 v94, -v82, v92, v93
	s_delay_alu instid0(VALU_DEP_1) | instskip(NEXT) | instid1(VALU_DEP_1)
	v_fmac_f32_e32 v92, v94, v91
	v_fma_f32 v82, -v82, v92, v93
	s_delay_alu instid0(VALU_DEP_1) | instskip(NEXT) | instid1(VALU_DEP_1)
	v_div_fmas_f32 v82, v82, v91, v92
	v_div_fixup_f32 v83, v82, v83, 1.0
	s_delay_alu instid0(VALU_DEP_1)
	v_mul_f32_e32 v82, v85, v83
	v_xor_b32_e32 v83, 0x80000000, v83
.LBB74_595:
	s_and_not1_saveexec_b32 s1, s1
	s_cbranch_execz .LBB74_597
; %bb.596:
	s_delay_alu instid0(VALU_DEP_1) | instskip(SKIP_1) | instid1(VALU_DEP_2)
	v_div_scale_f32 v85, null, v82, v82, v83
	v_div_scale_f32 v93, vcc_lo, v83, v82, v83
	v_rcp_f32_e32 v91, v85
	v_nop
	s_delay_alu instid0(TRANS32_DEP_1) | instskip(NEXT) | instid1(VALU_DEP_1)
	v_fma_f32 v92, -v85, v91, 1.0
	v_fmac_f32_e32 v91, v92, v91
	s_delay_alu instid0(VALU_DEP_1) | instskip(NEXT) | instid1(VALU_DEP_1)
	v_mul_f32_e32 v92, v93, v91
	v_fma_f32 v94, -v85, v92, v93
	s_delay_alu instid0(VALU_DEP_1) | instskip(NEXT) | instid1(VALU_DEP_1)
	v_fmac_f32_e32 v92, v94, v91
	v_fma_f32 v85, -v85, v92, v93
	s_delay_alu instid0(VALU_DEP_1) | instskip(NEXT) | instid1(VALU_DEP_1)
	v_div_fmas_f32 v85, v85, v91, v92
	v_div_fixup_f32 v85, v85, v82, v83
	s_delay_alu instid0(VALU_DEP_1) | instskip(NEXT) | instid1(VALU_DEP_1)
	v_fmac_f32_e32 v82, v83, v85
	v_div_scale_f32 v83, null, v82, v82, 1.0
	s_delay_alu instid0(VALU_DEP_1) | instskip(SKIP_1) | instid1(TRANS32_DEP_1)
	v_rcp_f32_e32 v91, v83
	v_nop
	v_fma_f32 v92, -v83, v91, 1.0
	s_delay_alu instid0(VALU_DEP_1) | instskip(SKIP_1) | instid1(VALU_DEP_1)
	v_fmac_f32_e32 v91, v92, v91
	v_div_scale_f32 v92, vcc_lo, 1.0, v82, 1.0
	v_mul_f32_e32 v93, v92, v91
	s_delay_alu instid0(VALU_DEP_1) | instskip(NEXT) | instid1(VALU_DEP_1)
	v_fma_f32 v94, -v83, v93, v92
	v_fmac_f32_e32 v93, v94, v91
	s_delay_alu instid0(VALU_DEP_1) | instskip(NEXT) | instid1(VALU_DEP_1)
	v_fma_f32 v83, -v83, v93, v92
	v_div_fmas_f32 v83, v83, v91, v93
	s_delay_alu instid0(VALU_DEP_1) | instskip(NEXT) | instid1(VALU_DEP_1)
	v_div_fixup_f32 v82, v83, v82, 1.0
	v_mul_f32_e64 v83, v85, -v82
.LBB74_597:
	s_or_b32 exec_lo, exec_lo, s1
.LBB74_598:
	s_delay_alu instid0(SALU_CYCLE_1) | instskip(NEXT) | instid1(SALU_CYCLE_1)
	s_or_b32 exec_lo, exec_lo, s0
	s_mov_b32 s0, exec_lo
	v_cmpx_ne_u32_e64 v90, v84
	s_xor_b32 s0, exec_lo, s0
	s_cbranch_execz .LBB74_604
; %bb.599:
	s_mov_b32 s1, exec_lo
	v_cmpx_eq_u32_e32 28, v90
	s_cbranch_execz .LBB74_603
; %bb.600:
	v_cmp_ne_u32_e32 vcc_lo, 28, v84
	s_xor_b32 s12, s16, -1
	s_delay_alu instid0(SALU_CYCLE_1) | instskip(NEXT) | instid1(SALU_CYCLE_1)
	s_and_b32 s13, s12, vcc_lo
	s_and_saveexec_b32 s12, s13
	s_cbranch_execz .LBB74_602
; %bb.601:
	v_ashrrev_i32_e32 v85, 31, v84
	s_delay_alu instid0(VALU_DEP_1)
	v_lshl_add_u64 v[90:91], v[84:85], 2, v[4:5]
	s_clause 0x1
	global_load_b32 v85, v[90:91], off
	global_load_b32 v89, v[4:5], off offset:112
	s_wait_loadcnt 0x1
	global_store_b32 v[4:5], v85, off offset:112
	s_wait_loadcnt 0x0
	global_store_b32 v[90:91], v89, off
.LBB74_602:
	s_wait_xcnt 0x0
	s_or_b32 exec_lo, exec_lo, s12
	v_dual_mov_b32 v90, v84 :: v_dual_mov_b32 v89, v84
.LBB74_603:
	s_or_b32 exec_lo, exec_lo, s1
.LBB74_604:
	s_and_not1_saveexec_b32 s0, s0
	s_cbranch_execz .LBB74_606
; %bb.605:
	v_mov_b32_e32 v90, 28
	ds_store_2addr_b64 v86, v[10:11], v[12:13] offset0:29 offset1:30
	ds_store_2addr_b64 v86, v[8:9], v[56:57] offset0:31 offset1:32
	;; [unrolled: 1-line block ×4, first 2 shown]
	ds_store_b64 v86, v[80:81] offset:296
.LBB74_606:
	s_or_b32 exec_lo, exec_lo, s0
	s_delay_alu instid0(SALU_CYCLE_1)
	s_mov_b32 s0, exec_lo
	s_wait_storecnt_dscnt 0x0
	s_barrier_signal -1
	s_barrier_wait -1
	v_cmpx_lt_i32_e32 28, v90
	s_cbranch_execz .LBB74_608
; %bb.607:
	v_pk_mul_f32 v[84:85], v[82:83], v[58:59] op_sel:[1,1] op_sel_hi:[0,1]
	s_delay_alu instid0(VALU_DEP_1)
	v_pk_fma_f32 v[92:93], v[82:83], v[58:59], v[84:85] op_sel_hi:[1,0,1] neg_lo:[0,0,1] neg_hi:[0,0,1]
	v_pk_fma_f32 v[94:95], v[82:83], v[58:59], v[84:85] op_sel_hi:[1,0,1]
	ds_load_2addr_b64 v[82:85], v86 offset0:29 offset1:30
	v_dual_mov_b32 v58, v92 :: v_dual_mov_b32 v59, v95
	s_wait_dscnt 0x0
	v_pk_mul_f32 v[96:97], v[82:83], v[94:95] op_sel:[0,1]
	s_delay_alu instid0(VALU_DEP_1) | instskip(SKIP_1) | instid1(VALU_DEP_1)
	v_pk_fma_f32 v[98:99], v[82:83], v[92:93], v[96:97] op_sel:[0,0,1] op_sel_hi:[1,1,0] neg_lo:[0,0,1] neg_hi:[0,0,1]
	v_pk_fma_f32 v[82:83], v[82:83], v[92:93], v[96:97] op_sel:[0,0,1] op_sel_hi:[1,0,0]
	v_mov_b32_e32 v99, v83
	v_pk_mul_f32 v[82:83], v[84:85], v[94:95] op_sel:[0,1]
	s_delay_alu instid0(VALU_DEP_1) | instskip(SKIP_1) | instid1(VALU_DEP_1)
	v_pk_fma_f32 v[96:97], v[84:85], v[92:93], v[82:83] op_sel:[0,0,1] op_sel_hi:[1,1,0] neg_lo:[0,0,1] neg_hi:[0,0,1]
	v_pk_fma_f32 v[82:83], v[84:85], v[92:93], v[82:83] op_sel:[0,0,1] op_sel_hi:[1,0,0]
	v_mov_b32_e32 v97, v83
	ds_load_2addr_b64 v[82:85], v86 offset0:31 offset1:32
	v_pk_add_f32 v[10:11], v[10:11], v[98:99] neg_lo:[0,1] neg_hi:[0,1]
	v_pk_add_f32 v[12:13], v[12:13], v[96:97] neg_lo:[0,1] neg_hi:[0,1]
	s_wait_dscnt 0x0
	v_pk_mul_f32 v[96:97], v[82:83], v[94:95] op_sel:[0,1]
	s_delay_alu instid0(VALU_DEP_1) | instskip(SKIP_2) | instid1(VALU_DEP_2)
	v_pk_fma_f32 v[98:99], v[82:83], v[92:93], v[96:97] op_sel:[0,0,1] op_sel_hi:[1,1,0] neg_lo:[0,0,1] neg_hi:[0,0,1]
	v_pk_fma_f32 v[82:83], v[82:83], v[92:93], v[96:97] op_sel:[0,0,1] op_sel_hi:[1,0,0]
	v_dual_mul_f32 v96, v85, v95 :: v_dual_mov_b32 v82, v85
	v_dual_mov_b32 v99, v83 :: v_dual_mov_b32 v83, v84
	s_delay_alu instid0(VALU_DEP_2) | instskip(SKIP_1) | instid1(VALU_DEP_3)
	v_pk_fma_f32 v[96:97], v[84:85], v[58:59], v[96:97] op_sel_hi:[1,1,0] neg_lo:[0,0,1] neg_hi:[0,0,1]
	v_mul_f32_e32 v84, v85, v92
	v_pk_add_f32 v[8:9], v[8:9], v[98:99] neg_lo:[0,1] neg_hi:[0,1]
	s_delay_alu instid0(VALU_DEP_2) | instskip(NEXT) | instid1(VALU_DEP_1)
	v_pk_fma_f32 v[82:83], v[82:83], v[58:59], v[84:85] op_sel_hi:[1,1,0]
	v_mov_b32_e32 v97, v83
	ds_load_2addr_b64 v[82:85], v86 offset0:33 offset1:34
	v_pk_add_f32 v[56:57], v[56:57], v[96:97] neg_lo:[0,1] neg_hi:[0,1]
	s_wait_dscnt 0x0
	v_pk_mul_f32 v[96:97], v[82:83], v[94:95] op_sel:[0,1]
	s_delay_alu instid0(VALU_DEP_1) | instskip(SKIP_1) | instid1(VALU_DEP_1)
	v_pk_fma_f32 v[98:99], v[82:83], v[92:93], v[96:97] op_sel:[0,0,1] op_sel_hi:[1,1,0] neg_lo:[0,0,1] neg_hi:[0,0,1]
	v_pk_fma_f32 v[82:83], v[82:83], v[92:93], v[96:97] op_sel:[0,0,1] op_sel_hi:[1,0,0]
	v_mov_b32_e32 v99, v83
	v_pk_mul_f32 v[82:83], v[84:85], v[94:95] op_sel:[0,1]
	s_delay_alu instid0(VALU_DEP_1) | instskip(SKIP_1) | instid1(VALU_DEP_1)
	v_pk_fma_f32 v[96:97], v[84:85], v[92:93], v[82:83] op_sel:[0,0,1] op_sel_hi:[1,1,0] neg_lo:[0,0,1] neg_hi:[0,0,1]
	v_pk_fma_f32 v[82:83], v[84:85], v[92:93], v[82:83] op_sel:[0,0,1] op_sel_hi:[1,0,0]
	v_mov_b32_e32 v97, v83
	ds_load_2addr_b64 v[82:85], v86 offset0:35 offset1:36
	v_pk_add_f32 v[6:7], v[6:7], v[98:99] neg_lo:[0,1] neg_hi:[0,1]
	v_pk_add_f32 v[54:55], v[54:55], v[96:97] neg_lo:[0,1] neg_hi:[0,1]
	s_wait_dscnt 0x0
	v_pk_mul_f32 v[96:97], v[82:83], v[94:95] op_sel:[0,1]
	s_delay_alu instid0(VALU_DEP_1) | instskip(SKIP_1) | instid1(VALU_DEP_1)
	v_pk_fma_f32 v[98:99], v[82:83], v[92:93], v[96:97] op_sel:[0,0,1] op_sel_hi:[1,1,0] neg_lo:[0,0,1] neg_hi:[0,0,1]
	v_pk_fma_f32 v[82:83], v[82:83], v[92:93], v[96:97] op_sel:[0,0,1] op_sel_hi:[1,0,0]
	v_mov_b32_e32 v99, v83
	v_pk_mul_f32 v[82:83], v[84:85], v[94:95] op_sel:[0,1]
	s_delay_alu instid0(VALU_DEP_1) | instskip(SKIP_1) | instid1(VALU_DEP_1)
	v_pk_fma_f32 v[96:97], v[84:85], v[92:93], v[82:83] op_sel:[0,0,1] op_sel_hi:[1,1,0] neg_lo:[0,0,1] neg_hi:[0,0,1]
	v_pk_fma_f32 v[82:83], v[84:85], v[92:93], v[82:83] op_sel:[0,0,1] op_sel_hi:[1,0,0]
	v_mov_b32_e32 v97, v83
	ds_load_b64 v[82:83], v86 offset:296
	v_pk_add_f32 v[46:47], v[46:47], v[98:99] neg_lo:[0,1] neg_hi:[0,1]
	v_pk_add_f32 v[26:27], v[26:27], v[96:97] neg_lo:[0,1] neg_hi:[0,1]
	s_wait_dscnt 0x0
	v_pk_mul_f32 v[84:85], v[82:83], v[94:95] op_sel:[0,1]
	s_delay_alu instid0(VALU_DEP_1) | instskip(SKIP_1) | instid1(VALU_DEP_1)
	v_pk_fma_f32 v[94:95], v[82:83], v[92:93], v[84:85] op_sel:[0,0,1] op_sel_hi:[1,1,0] neg_lo:[0,0,1] neg_hi:[0,0,1]
	v_pk_fma_f32 v[82:83], v[82:83], v[92:93], v[84:85] op_sel:[0,0,1] op_sel_hi:[1,0,0]
	v_mov_b32_e32 v95, v83
	s_delay_alu instid0(VALU_DEP_1)
	v_pk_add_f32 v[80:81], v[80:81], v[94:95] neg_lo:[0,1] neg_hi:[0,1]
.LBB74_608:
	s_or_b32 exec_lo, exec_lo, s0
	v_lshl_add_u32 v82, v90, 3, v86
	s_barrier_signal -1
	s_barrier_wait -1
	ds_store_b64 v82, v[10:11]
	s_wait_dscnt 0x0
	s_barrier_signal -1
	s_barrier_wait -1
	ds_load_b64 v[82:83], v86 offset:232
	v_mov_b32_e32 v84, 29
	s_cmp_lt_i32 s18, 31
	s_cbranch_scc1 .LBB74_611
; %bb.609:
	v_add3_u32 v85, v87, 0, 0xf0
	v_mov_b32_e32 v84, 29
	s_mov_b32 s0, 30
.LBB74_610:                             ; =>This Inner Loop Header: Depth=1
	ds_load_b64 v[92:93], v85
	s_wait_dscnt 0x1
	v_cmp_gt_f32_e32 vcc_lo, 0, v82
	v_cndmask_b32_e64 v94, v82, -v82, vcc_lo
	v_cmp_gt_f32_e32 vcc_lo, 0, v83
	v_cndmask_b32_e64 v96, v83, -v83, vcc_lo
	s_wait_dscnt 0x0
	v_cmp_gt_f32_e32 vcc_lo, 0, v92
	v_cndmask_b32_e64 v95, v92, -v92, vcc_lo
	v_cmp_gt_f32_e32 vcc_lo, 0, v93
	v_cndmask_b32_e64 v97, v93, -v93, vcc_lo
	s_delay_alu instid0(VALU_DEP_1) | instskip(NEXT) | instid1(VALU_DEP_1)
	v_pk_add_f32 v[94:95], v[94:95], v[96:97]
	v_cmp_lt_f32_e32 vcc_lo, v94, v95
	v_dual_cndmask_b32 v82, v82, v92 :: v_dual_add_nc_u32 v85, 8, v85
	v_cndmask_b32_e32 v83, v83, v93, vcc_lo
	v_cndmask_b32_e64 v84, v84, s0, vcc_lo
	s_add_co_i32 s0, s0, 1
	s_delay_alu instid0(SALU_CYCLE_1)
	s_cmp_lg_u32 s18, s0
	s_cbranch_scc1 .LBB74_610
.LBB74_611:
	s_wait_dscnt 0x0
	v_cmp_eq_f32_e32 vcc_lo, 0, v82
	v_cmp_eq_f32_e64 s0, 0, v83
	s_and_b32 s0, vcc_lo, s0
	s_delay_alu instid0(SALU_CYCLE_1) | instskip(NEXT) | instid1(SALU_CYCLE_1)
	s_and_saveexec_b32 s1, s0
	s_xor_b32 s0, exec_lo, s1
; %bb.612:
	v_cmp_ne_u32_e32 vcc_lo, 0, v88
	v_cndmask_b32_e32 v88, 30, v88, vcc_lo
; %bb.613:
	s_and_not1_saveexec_b32 s0, s0
	s_cbranch_execz .LBB74_619
; %bb.614:
	v_cmp_ngt_f32_e64 s1, |v82|, |v83|
	s_and_saveexec_b32 s12, s1
	s_delay_alu instid0(SALU_CYCLE_1)
	s_xor_b32 s1, exec_lo, s12
	s_cbranch_execz .LBB74_616
; %bb.615:
	v_div_scale_f32 v85, null, v83, v83, v82
	v_div_scale_f32 v93, vcc_lo, v82, v83, v82
	s_delay_alu instid0(VALU_DEP_2) | instskip(SKIP_1) | instid1(TRANS32_DEP_1)
	v_rcp_f32_e32 v91, v85
	v_nop
	v_fma_f32 v92, -v85, v91, 1.0
	s_delay_alu instid0(VALU_DEP_1) | instskip(NEXT) | instid1(VALU_DEP_1)
	v_fmac_f32_e32 v91, v92, v91
	v_mul_f32_e32 v92, v93, v91
	s_delay_alu instid0(VALU_DEP_1) | instskip(NEXT) | instid1(VALU_DEP_1)
	v_fma_f32 v94, -v85, v92, v93
	v_fmac_f32_e32 v92, v94, v91
	s_delay_alu instid0(VALU_DEP_1) | instskip(NEXT) | instid1(VALU_DEP_1)
	v_fma_f32 v85, -v85, v92, v93
	v_div_fmas_f32 v85, v85, v91, v92
	s_delay_alu instid0(VALU_DEP_1) | instskip(NEXT) | instid1(VALU_DEP_1)
	v_div_fixup_f32 v85, v85, v83, v82
	v_fmac_f32_e32 v83, v82, v85
	s_delay_alu instid0(VALU_DEP_1) | instskip(SKIP_1) | instid1(VALU_DEP_2)
	v_div_scale_f32 v82, null, v83, v83, 1.0
	v_div_scale_f32 v93, vcc_lo, 1.0, v83, 1.0
	v_rcp_f32_e32 v91, v82
	v_nop
	s_delay_alu instid0(TRANS32_DEP_1) | instskip(NEXT) | instid1(VALU_DEP_1)
	v_fma_f32 v92, -v82, v91, 1.0
	v_fmac_f32_e32 v91, v92, v91
	s_delay_alu instid0(VALU_DEP_1) | instskip(NEXT) | instid1(VALU_DEP_1)
	v_mul_f32_e32 v92, v93, v91
	v_fma_f32 v94, -v82, v92, v93
	s_delay_alu instid0(VALU_DEP_1) | instskip(NEXT) | instid1(VALU_DEP_1)
	v_fmac_f32_e32 v92, v94, v91
	v_fma_f32 v82, -v82, v92, v93
	s_delay_alu instid0(VALU_DEP_1) | instskip(NEXT) | instid1(VALU_DEP_1)
	v_div_fmas_f32 v82, v82, v91, v92
	v_div_fixup_f32 v83, v82, v83, 1.0
	s_delay_alu instid0(VALU_DEP_1)
	v_mul_f32_e32 v82, v85, v83
	v_xor_b32_e32 v83, 0x80000000, v83
.LBB74_616:
	s_and_not1_saveexec_b32 s1, s1
	s_cbranch_execz .LBB74_618
; %bb.617:
	s_delay_alu instid0(VALU_DEP_1) | instskip(SKIP_1) | instid1(VALU_DEP_2)
	v_div_scale_f32 v85, null, v82, v82, v83
	v_div_scale_f32 v93, vcc_lo, v83, v82, v83
	v_rcp_f32_e32 v91, v85
	v_nop
	s_delay_alu instid0(TRANS32_DEP_1) | instskip(NEXT) | instid1(VALU_DEP_1)
	v_fma_f32 v92, -v85, v91, 1.0
	v_fmac_f32_e32 v91, v92, v91
	s_delay_alu instid0(VALU_DEP_1) | instskip(NEXT) | instid1(VALU_DEP_1)
	v_mul_f32_e32 v92, v93, v91
	v_fma_f32 v94, -v85, v92, v93
	s_delay_alu instid0(VALU_DEP_1) | instskip(NEXT) | instid1(VALU_DEP_1)
	v_fmac_f32_e32 v92, v94, v91
	v_fma_f32 v85, -v85, v92, v93
	s_delay_alu instid0(VALU_DEP_1) | instskip(NEXT) | instid1(VALU_DEP_1)
	v_div_fmas_f32 v85, v85, v91, v92
	v_div_fixup_f32 v85, v85, v82, v83
	s_delay_alu instid0(VALU_DEP_1) | instskip(NEXT) | instid1(VALU_DEP_1)
	v_fmac_f32_e32 v82, v83, v85
	v_div_scale_f32 v83, null, v82, v82, 1.0
	s_delay_alu instid0(VALU_DEP_1) | instskip(SKIP_1) | instid1(TRANS32_DEP_1)
	v_rcp_f32_e32 v91, v83
	v_nop
	v_fma_f32 v92, -v83, v91, 1.0
	s_delay_alu instid0(VALU_DEP_1) | instskip(SKIP_1) | instid1(VALU_DEP_1)
	v_fmac_f32_e32 v91, v92, v91
	v_div_scale_f32 v92, vcc_lo, 1.0, v82, 1.0
	v_mul_f32_e32 v93, v92, v91
	s_delay_alu instid0(VALU_DEP_1) | instskip(NEXT) | instid1(VALU_DEP_1)
	v_fma_f32 v94, -v83, v93, v92
	v_fmac_f32_e32 v93, v94, v91
	s_delay_alu instid0(VALU_DEP_1) | instskip(NEXT) | instid1(VALU_DEP_1)
	v_fma_f32 v83, -v83, v93, v92
	v_div_fmas_f32 v83, v83, v91, v93
	s_delay_alu instid0(VALU_DEP_1) | instskip(NEXT) | instid1(VALU_DEP_1)
	v_div_fixup_f32 v82, v83, v82, 1.0
	v_mul_f32_e64 v83, v85, -v82
.LBB74_618:
	s_or_b32 exec_lo, exec_lo, s1
.LBB74_619:
	s_delay_alu instid0(SALU_CYCLE_1) | instskip(NEXT) | instid1(SALU_CYCLE_1)
	s_or_b32 exec_lo, exec_lo, s0
	s_mov_b32 s0, exec_lo
	v_cmpx_ne_u32_e64 v90, v84
	s_xor_b32 s0, exec_lo, s0
	s_cbranch_execz .LBB74_625
; %bb.620:
	s_mov_b32 s1, exec_lo
	v_cmpx_eq_u32_e32 29, v90
	s_cbranch_execz .LBB74_624
; %bb.621:
	v_cmp_ne_u32_e32 vcc_lo, 29, v84
	s_xor_b32 s12, s16, -1
	s_delay_alu instid0(SALU_CYCLE_1) | instskip(NEXT) | instid1(SALU_CYCLE_1)
	s_and_b32 s13, s12, vcc_lo
	s_and_saveexec_b32 s12, s13
	s_cbranch_execz .LBB74_623
; %bb.622:
	v_ashrrev_i32_e32 v85, 31, v84
	s_delay_alu instid0(VALU_DEP_1)
	v_lshl_add_u64 v[90:91], v[84:85], 2, v[4:5]
	s_clause 0x1
	global_load_b32 v85, v[90:91], off
	global_load_b32 v89, v[4:5], off offset:116
	s_wait_loadcnt 0x1
	global_store_b32 v[4:5], v85, off offset:116
	s_wait_loadcnt 0x0
	global_store_b32 v[90:91], v89, off
.LBB74_623:
	s_wait_xcnt 0x0
	s_or_b32 exec_lo, exec_lo, s12
	v_dual_mov_b32 v90, v84 :: v_dual_mov_b32 v89, v84
.LBB74_624:
	s_or_b32 exec_lo, exec_lo, s1
.LBB74_625:
	s_and_not1_saveexec_b32 s0, s0
	s_cbranch_execz .LBB74_627
; %bb.626:
	v_dual_mov_b32 v84, v12 :: v_dual_mov_b32 v85, v13
	v_dual_mov_b32 v92, v8 :: v_dual_mov_b32 v93, v9
	;; [unrolled: 1-line block ×7, first 2 shown]
	v_mov_b32_e32 v103, v27
	ds_store_2addr_b64 v86, v[84:85], v[92:93] offset0:30 offset1:31
	ds_store_2addr_b64 v86, v[94:95], v[96:97] offset0:32 offset1:33
	;; [unrolled: 1-line block ×4, first 2 shown]
.LBB74_627:
	s_or_b32 exec_lo, exec_lo, s0
	s_delay_alu instid0(SALU_CYCLE_1)
	s_mov_b32 s0, exec_lo
	s_wait_storecnt_dscnt 0x0
	s_barrier_signal -1
	s_barrier_wait -1
	v_cmpx_lt_i32_e32 29, v90
	s_cbranch_execz .LBB74_629
; %bb.628:
	v_pk_mul_f32 v[84:85], v[82:83], v[10:11] op_sel:[1,1] op_sel_hi:[0,1]
	s_delay_alu instid0(VALU_DEP_1)
	v_pk_fma_f32 v[92:93], v[82:83], v[10:11], v[84:85] op_sel_hi:[1,0,1] neg_lo:[0,0,1] neg_hi:[0,0,1]
	v_pk_fma_f32 v[94:95], v[82:83], v[10:11], v[84:85] op_sel_hi:[1,0,1]
	ds_load_2addr_b64 v[82:85], v86 offset0:30 offset1:31
	v_dual_mov_b32 v10, v92 :: v_dual_mov_b32 v11, v95
	s_wait_dscnt 0x0
	v_pk_mul_f32 v[96:97], v[82:83], v[94:95] op_sel:[0,1]
	s_delay_alu instid0(VALU_DEP_1) | instskip(SKIP_1) | instid1(VALU_DEP_1)
	v_pk_fma_f32 v[98:99], v[82:83], v[92:93], v[96:97] op_sel:[0,0,1] op_sel_hi:[1,1,0] neg_lo:[0,0,1] neg_hi:[0,0,1]
	v_pk_fma_f32 v[82:83], v[82:83], v[92:93], v[96:97] op_sel:[0,0,1] op_sel_hi:[1,0,0]
	v_mov_b32_e32 v99, v83
	v_pk_mul_f32 v[82:83], v[84:85], v[94:95] op_sel:[0,1]
	s_delay_alu instid0(VALU_DEP_1) | instskip(SKIP_1) | instid1(VALU_DEP_1)
	v_pk_fma_f32 v[96:97], v[84:85], v[92:93], v[82:83] op_sel:[0,0,1] op_sel_hi:[1,1,0] neg_lo:[0,0,1] neg_hi:[0,0,1]
	v_pk_fma_f32 v[82:83], v[84:85], v[92:93], v[82:83] op_sel:[0,0,1] op_sel_hi:[1,0,0]
	v_mov_b32_e32 v97, v83
	ds_load_2addr_b64 v[82:85], v86 offset0:32 offset1:33
	v_pk_add_f32 v[12:13], v[12:13], v[98:99] neg_lo:[0,1] neg_hi:[0,1]
	v_pk_add_f32 v[8:9], v[8:9], v[96:97] neg_lo:[0,1] neg_hi:[0,1]
	s_wait_dscnt 0x0
	v_pk_mul_f32 v[96:97], v[82:83], v[94:95] op_sel:[0,1]
	s_delay_alu instid0(VALU_DEP_1) | instskip(SKIP_2) | instid1(VALU_DEP_2)
	v_pk_fma_f32 v[98:99], v[82:83], v[92:93], v[96:97] op_sel:[0,0,1] op_sel_hi:[1,1,0] neg_lo:[0,0,1] neg_hi:[0,0,1]
	v_pk_fma_f32 v[82:83], v[82:83], v[92:93], v[96:97] op_sel:[0,0,1] op_sel_hi:[1,0,0]
	v_dual_mul_f32 v96, v85, v95 :: v_dual_mov_b32 v82, v85
	v_dual_mov_b32 v99, v83 :: v_dual_mov_b32 v83, v84
	s_delay_alu instid0(VALU_DEP_2) | instskip(SKIP_1) | instid1(VALU_DEP_3)
	v_pk_fma_f32 v[96:97], v[84:85], v[10:11], v[96:97] op_sel_hi:[1,1,0] neg_lo:[0,0,1] neg_hi:[0,0,1]
	v_mul_f32_e32 v84, v85, v92
	v_pk_add_f32 v[56:57], v[56:57], v[98:99] neg_lo:[0,1] neg_hi:[0,1]
	s_delay_alu instid0(VALU_DEP_2) | instskip(NEXT) | instid1(VALU_DEP_1)
	v_pk_fma_f32 v[82:83], v[82:83], v[10:11], v[84:85] op_sel_hi:[1,1,0]
	v_mov_b32_e32 v97, v83
	ds_load_2addr_b64 v[82:85], v86 offset0:34 offset1:35
	v_pk_add_f32 v[6:7], v[6:7], v[96:97] neg_lo:[0,1] neg_hi:[0,1]
	s_wait_dscnt 0x0
	v_pk_mul_f32 v[96:97], v[82:83], v[94:95] op_sel:[0,1]
	s_delay_alu instid0(VALU_DEP_1) | instskip(SKIP_1) | instid1(VALU_DEP_1)
	v_pk_fma_f32 v[98:99], v[82:83], v[92:93], v[96:97] op_sel:[0,0,1] op_sel_hi:[1,1,0] neg_lo:[0,0,1] neg_hi:[0,0,1]
	v_pk_fma_f32 v[82:83], v[82:83], v[92:93], v[96:97] op_sel:[0,0,1] op_sel_hi:[1,0,0]
	v_mov_b32_e32 v99, v83
	v_pk_mul_f32 v[82:83], v[84:85], v[94:95] op_sel:[0,1]
	s_delay_alu instid0(VALU_DEP_1) | instskip(SKIP_1) | instid1(VALU_DEP_1)
	v_pk_fma_f32 v[96:97], v[84:85], v[92:93], v[82:83] op_sel:[0,0,1] op_sel_hi:[1,1,0] neg_lo:[0,0,1] neg_hi:[0,0,1]
	v_pk_fma_f32 v[82:83], v[84:85], v[92:93], v[82:83] op_sel:[0,0,1] op_sel_hi:[1,0,0]
	v_mov_b32_e32 v97, v83
	ds_load_2addr_b64 v[82:85], v86 offset0:36 offset1:37
	v_pk_add_f32 v[54:55], v[54:55], v[98:99] neg_lo:[0,1] neg_hi:[0,1]
	v_pk_add_f32 v[46:47], v[46:47], v[96:97] neg_lo:[0,1] neg_hi:[0,1]
	s_wait_dscnt 0x0
	v_pk_mul_f32 v[96:97], v[82:83], v[94:95] op_sel:[0,1]
	s_delay_alu instid0(VALU_DEP_1) | instskip(SKIP_1) | instid1(VALU_DEP_1)
	v_pk_fma_f32 v[98:99], v[82:83], v[92:93], v[96:97] op_sel:[0,0,1] op_sel_hi:[1,1,0] neg_lo:[0,0,1] neg_hi:[0,0,1]
	v_pk_fma_f32 v[82:83], v[82:83], v[92:93], v[96:97] op_sel:[0,0,1] op_sel_hi:[1,0,0]
	v_mov_b32_e32 v99, v83
	v_pk_mul_f32 v[82:83], v[84:85], v[94:95] op_sel:[0,1]
	s_delay_alu instid0(VALU_DEP_1) | instskip(SKIP_1) | instid1(VALU_DEP_1)
	v_pk_fma_f32 v[94:95], v[84:85], v[92:93], v[82:83] op_sel:[0,0,1] op_sel_hi:[1,1,0] neg_lo:[0,0,1] neg_hi:[0,0,1]
	v_pk_fma_f32 v[82:83], v[84:85], v[92:93], v[82:83] op_sel:[0,0,1] op_sel_hi:[1,0,0]
	v_mov_b32_e32 v95, v83
	v_pk_add_f32 v[26:27], v[26:27], v[98:99] neg_lo:[0,1] neg_hi:[0,1]
	s_delay_alu instid0(VALU_DEP_2)
	v_pk_add_f32 v[80:81], v[80:81], v[94:95] neg_lo:[0,1] neg_hi:[0,1]
.LBB74_629:
	s_or_b32 exec_lo, exec_lo, s0
	v_lshl_add_u32 v82, v90, 3, v86
	s_barrier_signal -1
	s_barrier_wait -1
	ds_store_b64 v82, v[12:13]
	s_wait_dscnt 0x0
	s_barrier_signal -1
	s_barrier_wait -1
	ds_load_b64 v[82:83], v86 offset:240
	v_mov_b32_e32 v84, 30
	s_cmp_lt_i32 s18, 32
	s_cbranch_scc1 .LBB74_632
; %bb.630:
	v_add3_u32 v85, v87, 0, 0xf8
	v_mov_b32_e32 v84, 30
	s_mov_b32 s0, 31
.LBB74_631:                             ; =>This Inner Loop Header: Depth=1
	ds_load_b64 v[92:93], v85
	s_wait_dscnt 0x1
	v_cmp_gt_f32_e32 vcc_lo, 0, v82
	v_cndmask_b32_e64 v94, v82, -v82, vcc_lo
	v_cmp_gt_f32_e32 vcc_lo, 0, v83
	v_cndmask_b32_e64 v96, v83, -v83, vcc_lo
	s_wait_dscnt 0x0
	v_cmp_gt_f32_e32 vcc_lo, 0, v92
	v_cndmask_b32_e64 v95, v92, -v92, vcc_lo
	v_cmp_gt_f32_e32 vcc_lo, 0, v93
	v_cndmask_b32_e64 v97, v93, -v93, vcc_lo
	s_delay_alu instid0(VALU_DEP_1) | instskip(NEXT) | instid1(VALU_DEP_1)
	v_pk_add_f32 v[94:95], v[94:95], v[96:97]
	v_cmp_lt_f32_e32 vcc_lo, v94, v95
	v_dual_cndmask_b32 v82, v82, v92 :: v_dual_add_nc_u32 v85, 8, v85
	v_cndmask_b32_e32 v83, v83, v93, vcc_lo
	v_cndmask_b32_e64 v84, v84, s0, vcc_lo
	s_add_co_i32 s0, s0, 1
	s_delay_alu instid0(SALU_CYCLE_1)
	s_cmp_lg_u32 s18, s0
	s_cbranch_scc1 .LBB74_631
.LBB74_632:
	s_wait_dscnt 0x0
	v_cmp_eq_f32_e32 vcc_lo, 0, v82
	v_cmp_eq_f32_e64 s0, 0, v83
	s_and_b32 s0, vcc_lo, s0
	s_delay_alu instid0(SALU_CYCLE_1) | instskip(NEXT) | instid1(SALU_CYCLE_1)
	s_and_saveexec_b32 s1, s0
	s_xor_b32 s0, exec_lo, s1
; %bb.633:
	v_cmp_ne_u32_e32 vcc_lo, 0, v88
	v_cndmask_b32_e32 v88, 31, v88, vcc_lo
; %bb.634:
	s_and_not1_saveexec_b32 s0, s0
	s_cbranch_execz .LBB74_640
; %bb.635:
	v_cmp_ngt_f32_e64 s1, |v82|, |v83|
	s_and_saveexec_b32 s12, s1
	s_delay_alu instid0(SALU_CYCLE_1)
	s_xor_b32 s1, exec_lo, s12
	s_cbranch_execz .LBB74_637
; %bb.636:
	v_div_scale_f32 v85, null, v83, v83, v82
	v_div_scale_f32 v93, vcc_lo, v82, v83, v82
	s_delay_alu instid0(VALU_DEP_2) | instskip(SKIP_1) | instid1(TRANS32_DEP_1)
	v_rcp_f32_e32 v91, v85
	v_nop
	v_fma_f32 v92, -v85, v91, 1.0
	s_delay_alu instid0(VALU_DEP_1) | instskip(NEXT) | instid1(VALU_DEP_1)
	v_fmac_f32_e32 v91, v92, v91
	v_mul_f32_e32 v92, v93, v91
	s_delay_alu instid0(VALU_DEP_1) | instskip(NEXT) | instid1(VALU_DEP_1)
	v_fma_f32 v94, -v85, v92, v93
	v_fmac_f32_e32 v92, v94, v91
	s_delay_alu instid0(VALU_DEP_1) | instskip(NEXT) | instid1(VALU_DEP_1)
	v_fma_f32 v85, -v85, v92, v93
	v_div_fmas_f32 v85, v85, v91, v92
	s_delay_alu instid0(VALU_DEP_1) | instskip(NEXT) | instid1(VALU_DEP_1)
	v_div_fixup_f32 v85, v85, v83, v82
	v_fmac_f32_e32 v83, v82, v85
	s_delay_alu instid0(VALU_DEP_1) | instskip(SKIP_1) | instid1(VALU_DEP_2)
	v_div_scale_f32 v82, null, v83, v83, 1.0
	v_div_scale_f32 v93, vcc_lo, 1.0, v83, 1.0
	v_rcp_f32_e32 v91, v82
	v_nop
	s_delay_alu instid0(TRANS32_DEP_1) | instskip(NEXT) | instid1(VALU_DEP_1)
	v_fma_f32 v92, -v82, v91, 1.0
	v_fmac_f32_e32 v91, v92, v91
	s_delay_alu instid0(VALU_DEP_1) | instskip(NEXT) | instid1(VALU_DEP_1)
	v_mul_f32_e32 v92, v93, v91
	v_fma_f32 v94, -v82, v92, v93
	s_delay_alu instid0(VALU_DEP_1) | instskip(NEXT) | instid1(VALU_DEP_1)
	v_fmac_f32_e32 v92, v94, v91
	v_fma_f32 v82, -v82, v92, v93
	s_delay_alu instid0(VALU_DEP_1) | instskip(NEXT) | instid1(VALU_DEP_1)
	v_div_fmas_f32 v82, v82, v91, v92
	v_div_fixup_f32 v83, v82, v83, 1.0
	s_delay_alu instid0(VALU_DEP_1)
	v_mul_f32_e32 v82, v85, v83
	v_xor_b32_e32 v83, 0x80000000, v83
.LBB74_637:
	s_and_not1_saveexec_b32 s1, s1
	s_cbranch_execz .LBB74_639
; %bb.638:
	s_delay_alu instid0(VALU_DEP_1) | instskip(SKIP_1) | instid1(VALU_DEP_2)
	v_div_scale_f32 v85, null, v82, v82, v83
	v_div_scale_f32 v93, vcc_lo, v83, v82, v83
	v_rcp_f32_e32 v91, v85
	v_nop
	s_delay_alu instid0(TRANS32_DEP_1) | instskip(NEXT) | instid1(VALU_DEP_1)
	v_fma_f32 v92, -v85, v91, 1.0
	v_fmac_f32_e32 v91, v92, v91
	s_delay_alu instid0(VALU_DEP_1) | instskip(NEXT) | instid1(VALU_DEP_1)
	v_mul_f32_e32 v92, v93, v91
	v_fma_f32 v94, -v85, v92, v93
	s_delay_alu instid0(VALU_DEP_1) | instskip(NEXT) | instid1(VALU_DEP_1)
	v_fmac_f32_e32 v92, v94, v91
	v_fma_f32 v85, -v85, v92, v93
	s_delay_alu instid0(VALU_DEP_1) | instskip(NEXT) | instid1(VALU_DEP_1)
	v_div_fmas_f32 v85, v85, v91, v92
	v_div_fixup_f32 v85, v85, v82, v83
	s_delay_alu instid0(VALU_DEP_1) | instskip(NEXT) | instid1(VALU_DEP_1)
	v_fmac_f32_e32 v82, v83, v85
	v_div_scale_f32 v83, null, v82, v82, 1.0
	s_delay_alu instid0(VALU_DEP_1) | instskip(SKIP_1) | instid1(TRANS32_DEP_1)
	v_rcp_f32_e32 v91, v83
	v_nop
	v_fma_f32 v92, -v83, v91, 1.0
	s_delay_alu instid0(VALU_DEP_1) | instskip(SKIP_1) | instid1(VALU_DEP_1)
	v_fmac_f32_e32 v91, v92, v91
	v_div_scale_f32 v92, vcc_lo, 1.0, v82, 1.0
	v_mul_f32_e32 v93, v92, v91
	s_delay_alu instid0(VALU_DEP_1) | instskip(NEXT) | instid1(VALU_DEP_1)
	v_fma_f32 v94, -v83, v93, v92
	v_fmac_f32_e32 v93, v94, v91
	s_delay_alu instid0(VALU_DEP_1) | instskip(NEXT) | instid1(VALU_DEP_1)
	v_fma_f32 v83, -v83, v93, v92
	v_div_fmas_f32 v83, v83, v91, v93
	s_delay_alu instid0(VALU_DEP_1) | instskip(NEXT) | instid1(VALU_DEP_1)
	v_div_fixup_f32 v82, v83, v82, 1.0
	v_mul_f32_e64 v83, v85, -v82
.LBB74_639:
	s_or_b32 exec_lo, exec_lo, s1
.LBB74_640:
	s_delay_alu instid0(SALU_CYCLE_1) | instskip(NEXT) | instid1(SALU_CYCLE_1)
	s_or_b32 exec_lo, exec_lo, s0
	s_mov_b32 s0, exec_lo
	v_cmpx_ne_u32_e64 v90, v84
	s_xor_b32 s0, exec_lo, s0
	s_cbranch_execz .LBB74_646
; %bb.641:
	s_mov_b32 s1, exec_lo
	v_cmpx_eq_u32_e32 30, v90
	s_cbranch_execz .LBB74_645
; %bb.642:
	v_cmp_ne_u32_e32 vcc_lo, 30, v84
	s_xor_b32 s12, s16, -1
	s_delay_alu instid0(SALU_CYCLE_1) | instskip(NEXT) | instid1(SALU_CYCLE_1)
	s_and_b32 s13, s12, vcc_lo
	s_and_saveexec_b32 s12, s13
	s_cbranch_execz .LBB74_644
; %bb.643:
	v_ashrrev_i32_e32 v85, 31, v84
	s_delay_alu instid0(VALU_DEP_1)
	v_lshl_add_u64 v[90:91], v[84:85], 2, v[4:5]
	s_clause 0x1
	global_load_b32 v85, v[90:91], off
	global_load_b32 v89, v[4:5], off offset:120
	s_wait_loadcnt 0x1
	global_store_b32 v[4:5], v85, off offset:120
	s_wait_loadcnt 0x0
	global_store_b32 v[90:91], v89, off
.LBB74_644:
	s_wait_xcnt 0x0
	s_or_b32 exec_lo, exec_lo, s12
	v_dual_mov_b32 v90, v84 :: v_dual_mov_b32 v89, v84
.LBB74_645:
	s_or_b32 exec_lo, exec_lo, s1
.LBB74_646:
	s_and_not1_saveexec_b32 s0, s0
	s_cbranch_execz .LBB74_648
; %bb.647:
	v_mov_b32_e32 v90, 30
	ds_store_2addr_b64 v86, v[8:9], v[56:57] offset0:31 offset1:32
	ds_store_2addr_b64 v86, v[6:7], v[54:55] offset0:33 offset1:34
	;; [unrolled: 1-line block ×3, first 2 shown]
	ds_store_b64 v86, v[80:81] offset:296
.LBB74_648:
	s_or_b32 exec_lo, exec_lo, s0
	s_delay_alu instid0(SALU_CYCLE_1)
	s_mov_b32 s0, exec_lo
	s_wait_storecnt_dscnt 0x0
	s_barrier_signal -1
	s_barrier_wait -1
	v_cmpx_lt_i32_e32 30, v90
	s_cbranch_execz .LBB74_650
; %bb.649:
	v_pk_mul_f32 v[84:85], v[82:83], v[12:13] op_sel:[1,1] op_sel_hi:[0,1]
	s_delay_alu instid0(VALU_DEP_1)
	v_pk_fma_f32 v[92:93], v[82:83], v[12:13], v[84:85] op_sel_hi:[1,0,1] neg_lo:[0,0,1] neg_hi:[0,0,1]
	v_pk_fma_f32 v[94:95], v[82:83], v[12:13], v[84:85] op_sel_hi:[1,0,1]
	ds_load_2addr_b64 v[82:85], v86 offset0:31 offset1:32
	v_dual_mov_b32 v12, v92 :: v_dual_mov_b32 v13, v95
	s_wait_dscnt 0x0
	v_pk_mul_f32 v[96:97], v[82:83], v[94:95] op_sel:[0,1]
	s_delay_alu instid0(VALU_DEP_1) | instskip(SKIP_1) | instid1(VALU_DEP_1)
	v_pk_fma_f32 v[98:99], v[82:83], v[92:93], v[96:97] op_sel:[0,0,1] op_sel_hi:[1,1,0] neg_lo:[0,0,1] neg_hi:[0,0,1]
	v_pk_fma_f32 v[82:83], v[82:83], v[92:93], v[96:97] op_sel:[0,0,1] op_sel_hi:[1,0,0]
	v_mov_b32_e32 v99, v83
	v_pk_mul_f32 v[82:83], v[84:85], v[94:95] op_sel:[0,1]
	s_delay_alu instid0(VALU_DEP_1) | instskip(SKIP_1) | instid1(VALU_DEP_1)
	v_pk_fma_f32 v[96:97], v[84:85], v[92:93], v[82:83] op_sel:[0,0,1] op_sel_hi:[1,1,0] neg_lo:[0,0,1] neg_hi:[0,0,1]
	v_pk_fma_f32 v[82:83], v[84:85], v[92:93], v[82:83] op_sel:[0,0,1] op_sel_hi:[1,0,0]
	v_mov_b32_e32 v97, v83
	ds_load_2addr_b64 v[82:85], v86 offset0:33 offset1:34
	v_pk_add_f32 v[8:9], v[8:9], v[98:99] neg_lo:[0,1] neg_hi:[0,1]
	v_pk_add_f32 v[56:57], v[56:57], v[96:97] neg_lo:[0,1] neg_hi:[0,1]
	s_wait_dscnt 0x0
	v_pk_mul_f32 v[96:97], v[82:83], v[94:95] op_sel:[0,1]
	s_delay_alu instid0(VALU_DEP_1) | instskip(SKIP_2) | instid1(VALU_DEP_2)
	v_pk_fma_f32 v[98:99], v[82:83], v[92:93], v[96:97] op_sel:[0,0,1] op_sel_hi:[1,1,0] neg_lo:[0,0,1] neg_hi:[0,0,1]
	v_pk_fma_f32 v[82:83], v[82:83], v[92:93], v[96:97] op_sel:[0,0,1] op_sel_hi:[1,0,0]
	v_dual_mul_f32 v96, v85, v95 :: v_dual_mov_b32 v82, v85
	v_dual_mov_b32 v99, v83 :: v_dual_mov_b32 v83, v84
	s_delay_alu instid0(VALU_DEP_2) | instskip(SKIP_1) | instid1(VALU_DEP_3)
	v_pk_fma_f32 v[96:97], v[84:85], v[12:13], v[96:97] op_sel_hi:[1,1,0] neg_lo:[0,0,1] neg_hi:[0,0,1]
	v_mul_f32_e32 v84, v85, v92
	v_pk_add_f32 v[6:7], v[6:7], v[98:99] neg_lo:[0,1] neg_hi:[0,1]
	s_delay_alu instid0(VALU_DEP_2) | instskip(NEXT) | instid1(VALU_DEP_1)
	v_pk_fma_f32 v[82:83], v[82:83], v[12:13], v[84:85] op_sel_hi:[1,1,0]
	v_mov_b32_e32 v97, v83
	ds_load_2addr_b64 v[82:85], v86 offset0:35 offset1:36
	v_pk_add_f32 v[54:55], v[54:55], v[96:97] neg_lo:[0,1] neg_hi:[0,1]
	s_wait_dscnt 0x0
	v_pk_mul_f32 v[96:97], v[82:83], v[94:95] op_sel:[0,1]
	s_delay_alu instid0(VALU_DEP_1) | instskip(SKIP_1) | instid1(VALU_DEP_1)
	v_pk_fma_f32 v[98:99], v[82:83], v[92:93], v[96:97] op_sel:[0,0,1] op_sel_hi:[1,1,0] neg_lo:[0,0,1] neg_hi:[0,0,1]
	v_pk_fma_f32 v[82:83], v[82:83], v[92:93], v[96:97] op_sel:[0,0,1] op_sel_hi:[1,0,0]
	v_mov_b32_e32 v99, v83
	v_pk_mul_f32 v[82:83], v[84:85], v[94:95] op_sel:[0,1]
	s_delay_alu instid0(VALU_DEP_1) | instskip(SKIP_1) | instid1(VALU_DEP_1)
	v_pk_fma_f32 v[96:97], v[84:85], v[92:93], v[82:83] op_sel:[0,0,1] op_sel_hi:[1,1,0] neg_lo:[0,0,1] neg_hi:[0,0,1]
	v_pk_fma_f32 v[82:83], v[84:85], v[92:93], v[82:83] op_sel:[0,0,1] op_sel_hi:[1,0,0]
	v_mov_b32_e32 v97, v83
	ds_load_b64 v[82:83], v86 offset:296
	v_pk_add_f32 v[46:47], v[46:47], v[98:99] neg_lo:[0,1] neg_hi:[0,1]
	v_pk_add_f32 v[26:27], v[26:27], v[96:97] neg_lo:[0,1] neg_hi:[0,1]
	s_wait_dscnt 0x0
	v_pk_mul_f32 v[84:85], v[82:83], v[94:95] op_sel:[0,1]
	s_delay_alu instid0(VALU_DEP_1) | instskip(SKIP_1) | instid1(VALU_DEP_1)
	v_pk_fma_f32 v[94:95], v[82:83], v[92:93], v[84:85] op_sel:[0,0,1] op_sel_hi:[1,1,0] neg_lo:[0,0,1] neg_hi:[0,0,1]
	v_pk_fma_f32 v[82:83], v[82:83], v[92:93], v[84:85] op_sel:[0,0,1] op_sel_hi:[1,0,0]
	v_mov_b32_e32 v95, v83
	s_delay_alu instid0(VALU_DEP_1)
	v_pk_add_f32 v[80:81], v[80:81], v[94:95] neg_lo:[0,1] neg_hi:[0,1]
.LBB74_650:
	s_or_b32 exec_lo, exec_lo, s0
	v_lshl_add_u32 v82, v90, 3, v86
	s_barrier_signal -1
	s_barrier_wait -1
	ds_store_b64 v82, v[8:9]
	s_wait_dscnt 0x0
	s_barrier_signal -1
	s_barrier_wait -1
	ds_load_b64 v[82:83], v86 offset:248
	v_mov_b32_e32 v84, 31
	s_cmp_lt_i32 s18, 33
	s_cbranch_scc1 .LBB74_653
; %bb.651:
	v_add3_u32 v85, v87, 0, 0x100
	v_mov_b32_e32 v84, 31
	s_mov_b32 s0, 32
.LBB74_652:                             ; =>This Inner Loop Header: Depth=1
	ds_load_b64 v[92:93], v85
	s_wait_dscnt 0x1
	v_cmp_gt_f32_e32 vcc_lo, 0, v82
	v_cndmask_b32_e64 v94, v82, -v82, vcc_lo
	v_cmp_gt_f32_e32 vcc_lo, 0, v83
	v_cndmask_b32_e64 v96, v83, -v83, vcc_lo
	s_wait_dscnt 0x0
	v_cmp_gt_f32_e32 vcc_lo, 0, v92
	v_cndmask_b32_e64 v95, v92, -v92, vcc_lo
	v_cmp_gt_f32_e32 vcc_lo, 0, v93
	v_cndmask_b32_e64 v97, v93, -v93, vcc_lo
	s_delay_alu instid0(VALU_DEP_1) | instskip(NEXT) | instid1(VALU_DEP_1)
	v_pk_add_f32 v[94:95], v[94:95], v[96:97]
	v_cmp_lt_f32_e32 vcc_lo, v94, v95
	v_dual_cndmask_b32 v82, v82, v92 :: v_dual_add_nc_u32 v85, 8, v85
	v_cndmask_b32_e32 v83, v83, v93, vcc_lo
	v_cndmask_b32_e64 v84, v84, s0, vcc_lo
	s_add_co_i32 s0, s0, 1
	s_delay_alu instid0(SALU_CYCLE_1)
	s_cmp_lg_u32 s18, s0
	s_cbranch_scc1 .LBB74_652
.LBB74_653:
	s_wait_dscnt 0x0
	v_cmp_eq_f32_e32 vcc_lo, 0, v82
	v_cmp_eq_f32_e64 s0, 0, v83
	s_and_b32 s0, vcc_lo, s0
	s_delay_alu instid0(SALU_CYCLE_1) | instskip(NEXT) | instid1(SALU_CYCLE_1)
	s_and_saveexec_b32 s1, s0
	s_xor_b32 s0, exec_lo, s1
; %bb.654:
	v_cmp_ne_u32_e32 vcc_lo, 0, v88
	v_cndmask_b32_e32 v88, 32, v88, vcc_lo
; %bb.655:
	s_and_not1_saveexec_b32 s0, s0
	s_cbranch_execz .LBB74_661
; %bb.656:
	v_cmp_ngt_f32_e64 s1, |v82|, |v83|
	s_and_saveexec_b32 s12, s1
	s_delay_alu instid0(SALU_CYCLE_1)
	s_xor_b32 s1, exec_lo, s12
	s_cbranch_execz .LBB74_658
; %bb.657:
	v_div_scale_f32 v85, null, v83, v83, v82
	v_div_scale_f32 v93, vcc_lo, v82, v83, v82
	s_delay_alu instid0(VALU_DEP_2) | instskip(SKIP_1) | instid1(TRANS32_DEP_1)
	v_rcp_f32_e32 v91, v85
	v_nop
	v_fma_f32 v92, -v85, v91, 1.0
	s_delay_alu instid0(VALU_DEP_1) | instskip(NEXT) | instid1(VALU_DEP_1)
	v_fmac_f32_e32 v91, v92, v91
	v_mul_f32_e32 v92, v93, v91
	s_delay_alu instid0(VALU_DEP_1) | instskip(NEXT) | instid1(VALU_DEP_1)
	v_fma_f32 v94, -v85, v92, v93
	v_fmac_f32_e32 v92, v94, v91
	s_delay_alu instid0(VALU_DEP_1) | instskip(NEXT) | instid1(VALU_DEP_1)
	v_fma_f32 v85, -v85, v92, v93
	v_div_fmas_f32 v85, v85, v91, v92
	s_delay_alu instid0(VALU_DEP_1) | instskip(NEXT) | instid1(VALU_DEP_1)
	v_div_fixup_f32 v85, v85, v83, v82
	v_fmac_f32_e32 v83, v82, v85
	s_delay_alu instid0(VALU_DEP_1) | instskip(SKIP_1) | instid1(VALU_DEP_2)
	v_div_scale_f32 v82, null, v83, v83, 1.0
	v_div_scale_f32 v93, vcc_lo, 1.0, v83, 1.0
	v_rcp_f32_e32 v91, v82
	v_nop
	s_delay_alu instid0(TRANS32_DEP_1) | instskip(NEXT) | instid1(VALU_DEP_1)
	v_fma_f32 v92, -v82, v91, 1.0
	v_fmac_f32_e32 v91, v92, v91
	s_delay_alu instid0(VALU_DEP_1) | instskip(NEXT) | instid1(VALU_DEP_1)
	v_mul_f32_e32 v92, v93, v91
	v_fma_f32 v94, -v82, v92, v93
	s_delay_alu instid0(VALU_DEP_1) | instskip(NEXT) | instid1(VALU_DEP_1)
	v_fmac_f32_e32 v92, v94, v91
	v_fma_f32 v82, -v82, v92, v93
	s_delay_alu instid0(VALU_DEP_1) | instskip(NEXT) | instid1(VALU_DEP_1)
	v_div_fmas_f32 v82, v82, v91, v92
	v_div_fixup_f32 v83, v82, v83, 1.0
	s_delay_alu instid0(VALU_DEP_1)
	v_mul_f32_e32 v82, v85, v83
	v_xor_b32_e32 v83, 0x80000000, v83
.LBB74_658:
	s_and_not1_saveexec_b32 s1, s1
	s_cbranch_execz .LBB74_660
; %bb.659:
	s_delay_alu instid0(VALU_DEP_1) | instskip(SKIP_1) | instid1(VALU_DEP_2)
	v_div_scale_f32 v85, null, v82, v82, v83
	v_div_scale_f32 v93, vcc_lo, v83, v82, v83
	v_rcp_f32_e32 v91, v85
	v_nop
	s_delay_alu instid0(TRANS32_DEP_1) | instskip(NEXT) | instid1(VALU_DEP_1)
	v_fma_f32 v92, -v85, v91, 1.0
	v_fmac_f32_e32 v91, v92, v91
	s_delay_alu instid0(VALU_DEP_1) | instskip(NEXT) | instid1(VALU_DEP_1)
	v_mul_f32_e32 v92, v93, v91
	v_fma_f32 v94, -v85, v92, v93
	s_delay_alu instid0(VALU_DEP_1) | instskip(NEXT) | instid1(VALU_DEP_1)
	v_fmac_f32_e32 v92, v94, v91
	v_fma_f32 v85, -v85, v92, v93
	s_delay_alu instid0(VALU_DEP_1) | instskip(NEXT) | instid1(VALU_DEP_1)
	v_div_fmas_f32 v85, v85, v91, v92
	v_div_fixup_f32 v85, v85, v82, v83
	s_delay_alu instid0(VALU_DEP_1) | instskip(NEXT) | instid1(VALU_DEP_1)
	v_fmac_f32_e32 v82, v83, v85
	v_div_scale_f32 v83, null, v82, v82, 1.0
	s_delay_alu instid0(VALU_DEP_1) | instskip(SKIP_1) | instid1(TRANS32_DEP_1)
	v_rcp_f32_e32 v91, v83
	v_nop
	v_fma_f32 v92, -v83, v91, 1.0
	s_delay_alu instid0(VALU_DEP_1) | instskip(SKIP_1) | instid1(VALU_DEP_1)
	v_fmac_f32_e32 v91, v92, v91
	v_div_scale_f32 v92, vcc_lo, 1.0, v82, 1.0
	v_mul_f32_e32 v93, v92, v91
	s_delay_alu instid0(VALU_DEP_1) | instskip(NEXT) | instid1(VALU_DEP_1)
	v_fma_f32 v94, -v83, v93, v92
	v_fmac_f32_e32 v93, v94, v91
	s_delay_alu instid0(VALU_DEP_1) | instskip(NEXT) | instid1(VALU_DEP_1)
	v_fma_f32 v83, -v83, v93, v92
	v_div_fmas_f32 v83, v83, v91, v93
	s_delay_alu instid0(VALU_DEP_1) | instskip(NEXT) | instid1(VALU_DEP_1)
	v_div_fixup_f32 v82, v83, v82, 1.0
	v_mul_f32_e64 v83, v85, -v82
.LBB74_660:
	s_or_b32 exec_lo, exec_lo, s1
.LBB74_661:
	s_delay_alu instid0(SALU_CYCLE_1) | instskip(NEXT) | instid1(SALU_CYCLE_1)
	s_or_b32 exec_lo, exec_lo, s0
	s_mov_b32 s0, exec_lo
	v_cmpx_ne_u32_e64 v90, v84
	s_xor_b32 s0, exec_lo, s0
	s_cbranch_execz .LBB74_667
; %bb.662:
	s_mov_b32 s1, exec_lo
	v_cmpx_eq_u32_e32 31, v90
	s_cbranch_execz .LBB74_666
; %bb.663:
	v_cmp_ne_u32_e32 vcc_lo, 31, v84
	s_xor_b32 s12, s16, -1
	s_delay_alu instid0(SALU_CYCLE_1) | instskip(NEXT) | instid1(SALU_CYCLE_1)
	s_and_b32 s13, s12, vcc_lo
	s_and_saveexec_b32 s12, s13
	s_cbranch_execz .LBB74_665
; %bb.664:
	v_ashrrev_i32_e32 v85, 31, v84
	s_delay_alu instid0(VALU_DEP_1)
	v_lshl_add_u64 v[90:91], v[84:85], 2, v[4:5]
	s_clause 0x1
	global_load_b32 v85, v[90:91], off
	global_load_b32 v89, v[4:5], off offset:124
	s_wait_loadcnt 0x1
	global_store_b32 v[4:5], v85, off offset:124
	s_wait_loadcnt 0x0
	global_store_b32 v[90:91], v89, off
.LBB74_665:
	s_wait_xcnt 0x0
	s_or_b32 exec_lo, exec_lo, s12
	v_dual_mov_b32 v90, v84 :: v_dual_mov_b32 v89, v84
.LBB74_666:
	s_or_b32 exec_lo, exec_lo, s1
.LBB74_667:
	s_and_not1_saveexec_b32 s0, s0
	s_cbranch_execz .LBB74_669
; %bb.668:
	v_dual_mov_b32 v84, v56 :: v_dual_mov_b32 v85, v57
	v_dual_mov_b32 v92, v6 :: v_dual_mov_b32 v93, v7
	;; [unrolled: 1-line block ×5, first 2 shown]
	v_mov_b32_e32 v99, v27
	ds_store_2addr_b64 v86, v[84:85], v[92:93] offset0:32 offset1:33
	ds_store_2addr_b64 v86, v[94:95], v[96:97] offset0:34 offset1:35
	;; [unrolled: 1-line block ×3, first 2 shown]
.LBB74_669:
	s_or_b32 exec_lo, exec_lo, s0
	s_delay_alu instid0(SALU_CYCLE_1)
	s_mov_b32 s0, exec_lo
	s_wait_storecnt_dscnt 0x0
	s_barrier_signal -1
	s_barrier_wait -1
	v_cmpx_lt_i32_e32 31, v90
	s_cbranch_execz .LBB74_671
; %bb.670:
	v_pk_mul_f32 v[84:85], v[82:83], v[8:9] op_sel:[1,1] op_sel_hi:[0,1]
	s_delay_alu instid0(VALU_DEP_1)
	v_pk_fma_f32 v[92:93], v[82:83], v[8:9], v[84:85] op_sel_hi:[1,0,1] neg_lo:[0,0,1] neg_hi:[0,0,1]
	v_pk_fma_f32 v[94:95], v[82:83], v[8:9], v[84:85] op_sel_hi:[1,0,1]
	ds_load_2addr_b64 v[82:85], v86 offset0:32 offset1:33
	v_dual_mov_b32 v8, v92 :: v_dual_mov_b32 v9, v95
	s_wait_dscnt 0x0
	v_pk_mul_f32 v[96:97], v[82:83], v[94:95] op_sel:[0,1]
	s_delay_alu instid0(VALU_DEP_1) | instskip(SKIP_1) | instid1(VALU_DEP_1)
	v_pk_fma_f32 v[98:99], v[82:83], v[92:93], v[96:97] op_sel:[0,0,1] op_sel_hi:[1,1,0] neg_lo:[0,0,1] neg_hi:[0,0,1]
	v_pk_fma_f32 v[82:83], v[82:83], v[92:93], v[96:97] op_sel:[0,0,1] op_sel_hi:[1,0,0]
	v_mov_b32_e32 v99, v83
	v_pk_mul_f32 v[82:83], v[84:85], v[94:95] op_sel:[0,1]
	s_delay_alu instid0(VALU_DEP_1) | instskip(SKIP_1) | instid1(VALU_DEP_1)
	v_pk_fma_f32 v[96:97], v[84:85], v[92:93], v[82:83] op_sel:[0,0,1] op_sel_hi:[1,1,0] neg_lo:[0,0,1] neg_hi:[0,0,1]
	v_pk_fma_f32 v[82:83], v[84:85], v[92:93], v[82:83] op_sel:[0,0,1] op_sel_hi:[1,0,0]
	v_mov_b32_e32 v97, v83
	ds_load_2addr_b64 v[82:85], v86 offset0:34 offset1:35
	v_pk_add_f32 v[56:57], v[56:57], v[98:99] neg_lo:[0,1] neg_hi:[0,1]
	v_pk_add_f32 v[6:7], v[6:7], v[96:97] neg_lo:[0,1] neg_hi:[0,1]
	s_wait_dscnt 0x0
	v_pk_mul_f32 v[96:97], v[82:83], v[94:95] op_sel:[0,1]
	s_delay_alu instid0(VALU_DEP_1) | instskip(SKIP_2) | instid1(VALU_DEP_2)
	v_pk_fma_f32 v[98:99], v[82:83], v[92:93], v[96:97] op_sel:[0,0,1] op_sel_hi:[1,1,0] neg_lo:[0,0,1] neg_hi:[0,0,1]
	v_pk_fma_f32 v[82:83], v[82:83], v[92:93], v[96:97] op_sel:[0,0,1] op_sel_hi:[1,0,0]
	v_dual_mul_f32 v96, v85, v95 :: v_dual_mov_b32 v82, v85
	v_dual_mov_b32 v99, v83 :: v_dual_mov_b32 v83, v84
	s_delay_alu instid0(VALU_DEP_2) | instskip(SKIP_1) | instid1(VALU_DEP_3)
	v_pk_fma_f32 v[96:97], v[84:85], v[8:9], v[96:97] op_sel_hi:[1,1,0] neg_lo:[0,0,1] neg_hi:[0,0,1]
	v_mul_f32_e32 v84, v85, v92
	v_pk_add_f32 v[54:55], v[54:55], v[98:99] neg_lo:[0,1] neg_hi:[0,1]
	s_delay_alu instid0(VALU_DEP_2) | instskip(NEXT) | instid1(VALU_DEP_1)
	v_pk_fma_f32 v[82:83], v[82:83], v[8:9], v[84:85] op_sel_hi:[1,1,0]
	v_mov_b32_e32 v97, v83
	ds_load_2addr_b64 v[82:85], v86 offset0:36 offset1:37
	v_pk_add_f32 v[46:47], v[46:47], v[96:97] neg_lo:[0,1] neg_hi:[0,1]
	s_wait_dscnt 0x0
	v_pk_mul_f32 v[96:97], v[82:83], v[94:95] op_sel:[0,1]
	v_mul_f32_e32 v94, v85, v95
	s_delay_alu instid0(VALU_DEP_2) | instskip(SKIP_2) | instid1(VALU_DEP_4)
	v_pk_fma_f32 v[98:99], v[82:83], v[92:93], v[96:97] op_sel:[0,0,1] op_sel_hi:[1,1,0] neg_lo:[0,0,1] neg_hi:[0,0,1]
	v_pk_fma_f32 v[82:83], v[82:83], v[92:93], v[96:97] op_sel:[0,0,1] op_sel_hi:[1,0,0]
	v_mov_b32_e32 v82, v85
	v_pk_fma_f32 v[94:95], v[84:85], v[8:9], v[94:95] op_sel_hi:[1,1,0] neg_lo:[0,0,1] neg_hi:[0,0,1]
	s_delay_alu instid0(VALU_DEP_3) | instskip(SKIP_1) | instid1(VALU_DEP_2)
	v_dual_mov_b32 v99, v83 :: v_dual_mov_b32 v83, v84
	v_mul_f32_e32 v84, v85, v92
	v_pk_add_f32 v[26:27], v[26:27], v[98:99] neg_lo:[0,1] neg_hi:[0,1]
	s_delay_alu instid0(VALU_DEP_2) | instskip(NEXT) | instid1(VALU_DEP_1)
	v_pk_fma_f32 v[82:83], v[82:83], v[8:9], v[84:85] op_sel_hi:[1,1,0]
	v_mov_b32_e32 v95, v83
	s_delay_alu instid0(VALU_DEP_1)
	v_pk_add_f32 v[80:81], v[80:81], v[94:95] neg_lo:[0,1] neg_hi:[0,1]
.LBB74_671:
	s_or_b32 exec_lo, exec_lo, s0
	v_lshl_add_u32 v82, v90, 3, v86
	s_barrier_signal -1
	s_barrier_wait -1
	ds_store_b64 v82, v[56:57]
	s_wait_dscnt 0x0
	s_barrier_signal -1
	s_barrier_wait -1
	ds_load_b64 v[82:83], v86 offset:256
	v_mov_b32_e32 v84, 32
	s_cmp_lt_i32 s18, 34
	s_cbranch_scc1 .LBB74_674
; %bb.672:
	v_add3_u32 v85, v87, 0, 0x108
	v_mov_b32_e32 v84, 32
	s_mov_b32 s0, 33
.LBB74_673:                             ; =>This Inner Loop Header: Depth=1
	ds_load_b64 v[92:93], v85
	s_wait_dscnt 0x1
	v_cmp_gt_f32_e32 vcc_lo, 0, v82
	v_cndmask_b32_e64 v94, v82, -v82, vcc_lo
	v_cmp_gt_f32_e32 vcc_lo, 0, v83
	v_cndmask_b32_e64 v96, v83, -v83, vcc_lo
	s_wait_dscnt 0x0
	v_cmp_gt_f32_e32 vcc_lo, 0, v92
	v_cndmask_b32_e64 v95, v92, -v92, vcc_lo
	v_cmp_gt_f32_e32 vcc_lo, 0, v93
	v_cndmask_b32_e64 v97, v93, -v93, vcc_lo
	s_delay_alu instid0(VALU_DEP_1) | instskip(NEXT) | instid1(VALU_DEP_1)
	v_pk_add_f32 v[94:95], v[94:95], v[96:97]
	v_cmp_lt_f32_e32 vcc_lo, v94, v95
	v_dual_cndmask_b32 v82, v82, v92 :: v_dual_add_nc_u32 v85, 8, v85
	v_cndmask_b32_e32 v83, v83, v93, vcc_lo
	v_cndmask_b32_e64 v84, v84, s0, vcc_lo
	s_add_co_i32 s0, s0, 1
	s_delay_alu instid0(SALU_CYCLE_1)
	s_cmp_lg_u32 s18, s0
	s_cbranch_scc1 .LBB74_673
.LBB74_674:
	s_wait_dscnt 0x0
	v_cmp_eq_f32_e32 vcc_lo, 0, v82
	v_cmp_eq_f32_e64 s0, 0, v83
	s_and_b32 s0, vcc_lo, s0
	s_delay_alu instid0(SALU_CYCLE_1) | instskip(NEXT) | instid1(SALU_CYCLE_1)
	s_and_saveexec_b32 s1, s0
	s_xor_b32 s0, exec_lo, s1
; %bb.675:
	v_cmp_ne_u32_e32 vcc_lo, 0, v88
	v_cndmask_b32_e32 v88, 33, v88, vcc_lo
; %bb.676:
	s_and_not1_saveexec_b32 s0, s0
	s_cbranch_execz .LBB74_682
; %bb.677:
	v_cmp_ngt_f32_e64 s1, |v82|, |v83|
	s_and_saveexec_b32 s12, s1
	s_delay_alu instid0(SALU_CYCLE_1)
	s_xor_b32 s1, exec_lo, s12
	s_cbranch_execz .LBB74_679
; %bb.678:
	v_div_scale_f32 v85, null, v83, v83, v82
	v_div_scale_f32 v93, vcc_lo, v82, v83, v82
	s_delay_alu instid0(VALU_DEP_2) | instskip(SKIP_1) | instid1(TRANS32_DEP_1)
	v_rcp_f32_e32 v91, v85
	v_nop
	v_fma_f32 v92, -v85, v91, 1.0
	s_delay_alu instid0(VALU_DEP_1) | instskip(NEXT) | instid1(VALU_DEP_1)
	v_fmac_f32_e32 v91, v92, v91
	v_mul_f32_e32 v92, v93, v91
	s_delay_alu instid0(VALU_DEP_1) | instskip(NEXT) | instid1(VALU_DEP_1)
	v_fma_f32 v94, -v85, v92, v93
	v_fmac_f32_e32 v92, v94, v91
	s_delay_alu instid0(VALU_DEP_1) | instskip(NEXT) | instid1(VALU_DEP_1)
	v_fma_f32 v85, -v85, v92, v93
	v_div_fmas_f32 v85, v85, v91, v92
	s_delay_alu instid0(VALU_DEP_1) | instskip(NEXT) | instid1(VALU_DEP_1)
	v_div_fixup_f32 v85, v85, v83, v82
	v_fmac_f32_e32 v83, v82, v85
	s_delay_alu instid0(VALU_DEP_1) | instskip(SKIP_1) | instid1(VALU_DEP_2)
	v_div_scale_f32 v82, null, v83, v83, 1.0
	v_div_scale_f32 v93, vcc_lo, 1.0, v83, 1.0
	v_rcp_f32_e32 v91, v82
	v_nop
	s_delay_alu instid0(TRANS32_DEP_1) | instskip(NEXT) | instid1(VALU_DEP_1)
	v_fma_f32 v92, -v82, v91, 1.0
	v_fmac_f32_e32 v91, v92, v91
	s_delay_alu instid0(VALU_DEP_1) | instskip(NEXT) | instid1(VALU_DEP_1)
	v_mul_f32_e32 v92, v93, v91
	v_fma_f32 v94, -v82, v92, v93
	s_delay_alu instid0(VALU_DEP_1) | instskip(NEXT) | instid1(VALU_DEP_1)
	v_fmac_f32_e32 v92, v94, v91
	v_fma_f32 v82, -v82, v92, v93
	s_delay_alu instid0(VALU_DEP_1) | instskip(NEXT) | instid1(VALU_DEP_1)
	v_div_fmas_f32 v82, v82, v91, v92
	v_div_fixup_f32 v83, v82, v83, 1.0
	s_delay_alu instid0(VALU_DEP_1)
	v_mul_f32_e32 v82, v85, v83
	v_xor_b32_e32 v83, 0x80000000, v83
.LBB74_679:
	s_and_not1_saveexec_b32 s1, s1
	s_cbranch_execz .LBB74_681
; %bb.680:
	s_delay_alu instid0(VALU_DEP_1) | instskip(SKIP_1) | instid1(VALU_DEP_2)
	v_div_scale_f32 v85, null, v82, v82, v83
	v_div_scale_f32 v93, vcc_lo, v83, v82, v83
	v_rcp_f32_e32 v91, v85
	v_nop
	s_delay_alu instid0(TRANS32_DEP_1) | instskip(NEXT) | instid1(VALU_DEP_1)
	v_fma_f32 v92, -v85, v91, 1.0
	v_fmac_f32_e32 v91, v92, v91
	s_delay_alu instid0(VALU_DEP_1) | instskip(NEXT) | instid1(VALU_DEP_1)
	v_mul_f32_e32 v92, v93, v91
	v_fma_f32 v94, -v85, v92, v93
	s_delay_alu instid0(VALU_DEP_1) | instskip(NEXT) | instid1(VALU_DEP_1)
	v_fmac_f32_e32 v92, v94, v91
	v_fma_f32 v85, -v85, v92, v93
	s_delay_alu instid0(VALU_DEP_1) | instskip(NEXT) | instid1(VALU_DEP_1)
	v_div_fmas_f32 v85, v85, v91, v92
	v_div_fixup_f32 v85, v85, v82, v83
	s_delay_alu instid0(VALU_DEP_1) | instskip(NEXT) | instid1(VALU_DEP_1)
	v_fmac_f32_e32 v82, v83, v85
	v_div_scale_f32 v83, null, v82, v82, 1.0
	s_delay_alu instid0(VALU_DEP_1) | instskip(SKIP_1) | instid1(TRANS32_DEP_1)
	v_rcp_f32_e32 v91, v83
	v_nop
	v_fma_f32 v92, -v83, v91, 1.0
	s_delay_alu instid0(VALU_DEP_1) | instskip(SKIP_1) | instid1(VALU_DEP_1)
	v_fmac_f32_e32 v91, v92, v91
	v_div_scale_f32 v92, vcc_lo, 1.0, v82, 1.0
	v_mul_f32_e32 v93, v92, v91
	s_delay_alu instid0(VALU_DEP_1) | instskip(NEXT) | instid1(VALU_DEP_1)
	v_fma_f32 v94, -v83, v93, v92
	v_fmac_f32_e32 v93, v94, v91
	s_delay_alu instid0(VALU_DEP_1) | instskip(NEXT) | instid1(VALU_DEP_1)
	v_fma_f32 v83, -v83, v93, v92
	v_div_fmas_f32 v83, v83, v91, v93
	s_delay_alu instid0(VALU_DEP_1) | instskip(NEXT) | instid1(VALU_DEP_1)
	v_div_fixup_f32 v82, v83, v82, 1.0
	v_mul_f32_e64 v83, v85, -v82
.LBB74_681:
	s_or_b32 exec_lo, exec_lo, s1
.LBB74_682:
	s_delay_alu instid0(SALU_CYCLE_1) | instskip(NEXT) | instid1(SALU_CYCLE_1)
	s_or_b32 exec_lo, exec_lo, s0
	s_mov_b32 s0, exec_lo
	v_cmpx_ne_u32_e64 v90, v84
	s_xor_b32 s0, exec_lo, s0
	s_cbranch_execz .LBB74_688
; %bb.683:
	s_mov_b32 s1, exec_lo
	v_cmpx_eq_u32_e32 32, v90
	s_cbranch_execz .LBB74_687
; %bb.684:
	v_cmp_ne_u32_e32 vcc_lo, 32, v84
	s_xor_b32 s12, s16, -1
	s_delay_alu instid0(SALU_CYCLE_1) | instskip(NEXT) | instid1(SALU_CYCLE_1)
	s_and_b32 s13, s12, vcc_lo
	s_and_saveexec_b32 s12, s13
	s_cbranch_execz .LBB74_686
; %bb.685:
	v_ashrrev_i32_e32 v85, 31, v84
	s_delay_alu instid0(VALU_DEP_1)
	v_lshl_add_u64 v[90:91], v[84:85], 2, v[4:5]
	s_clause 0x1
	global_load_b32 v85, v[90:91], off
	global_load_b32 v89, v[4:5], off offset:128
	s_wait_loadcnt 0x1
	global_store_b32 v[4:5], v85, off offset:128
	s_wait_loadcnt 0x0
	global_store_b32 v[90:91], v89, off
.LBB74_686:
	s_wait_xcnt 0x0
	s_or_b32 exec_lo, exec_lo, s12
	v_dual_mov_b32 v90, v84 :: v_dual_mov_b32 v89, v84
.LBB74_687:
	s_or_b32 exec_lo, exec_lo, s1
.LBB74_688:
	s_and_not1_saveexec_b32 s0, s0
	s_cbranch_execz .LBB74_690
; %bb.689:
	v_mov_b32_e32 v90, 32
	ds_store_2addr_b64 v86, v[6:7], v[54:55] offset0:33 offset1:34
	ds_store_2addr_b64 v86, v[46:47], v[26:27] offset0:35 offset1:36
	ds_store_b64 v86, v[80:81] offset:296
.LBB74_690:
	s_or_b32 exec_lo, exec_lo, s0
	s_delay_alu instid0(SALU_CYCLE_1)
	s_mov_b32 s0, exec_lo
	s_wait_storecnt_dscnt 0x0
	s_barrier_signal -1
	s_barrier_wait -1
	v_cmpx_lt_i32_e32 32, v90
	s_cbranch_execz .LBB74_692
; %bb.691:
	v_pk_mul_f32 v[84:85], v[82:83], v[56:57] op_sel:[1,1] op_sel_hi:[0,1]
	s_delay_alu instid0(VALU_DEP_1)
	v_pk_fma_f32 v[92:93], v[82:83], v[56:57], v[84:85] op_sel_hi:[1,0,1] neg_lo:[0,0,1] neg_hi:[0,0,1]
	v_pk_fma_f32 v[94:95], v[82:83], v[56:57], v[84:85] op_sel_hi:[1,0,1]
	ds_load_2addr_b64 v[82:85], v86 offset0:33 offset1:34
	v_dual_mov_b32 v56, v92 :: v_dual_mov_b32 v57, v95
	s_wait_dscnt 0x0
	v_pk_mul_f32 v[96:97], v[82:83], v[94:95] op_sel:[0,1]
	s_delay_alu instid0(VALU_DEP_1) | instskip(SKIP_1) | instid1(VALU_DEP_1)
	v_pk_fma_f32 v[98:99], v[82:83], v[92:93], v[96:97] op_sel:[0,0,1] op_sel_hi:[1,1,0] neg_lo:[0,0,1] neg_hi:[0,0,1]
	v_pk_fma_f32 v[82:83], v[82:83], v[92:93], v[96:97] op_sel:[0,0,1] op_sel_hi:[1,0,0]
	v_mov_b32_e32 v99, v83
	v_pk_mul_f32 v[82:83], v[84:85], v[94:95] op_sel:[0,1]
	s_delay_alu instid0(VALU_DEP_1) | instskip(SKIP_1) | instid1(VALU_DEP_1)
	v_pk_fma_f32 v[96:97], v[84:85], v[92:93], v[82:83] op_sel:[0,0,1] op_sel_hi:[1,1,0] neg_lo:[0,0,1] neg_hi:[0,0,1]
	v_pk_fma_f32 v[82:83], v[84:85], v[92:93], v[82:83] op_sel:[0,0,1] op_sel_hi:[1,0,0]
	v_mov_b32_e32 v97, v83
	ds_load_2addr_b64 v[82:85], v86 offset0:35 offset1:36
	v_pk_add_f32 v[6:7], v[6:7], v[98:99] neg_lo:[0,1] neg_hi:[0,1]
	v_pk_add_f32 v[54:55], v[54:55], v[96:97] neg_lo:[0,1] neg_hi:[0,1]
	s_wait_dscnt 0x0
	v_pk_mul_f32 v[96:97], v[82:83], v[94:95] op_sel:[0,1]
	s_delay_alu instid0(VALU_DEP_1) | instskip(SKIP_2) | instid1(VALU_DEP_2)
	v_pk_fma_f32 v[98:99], v[82:83], v[92:93], v[96:97] op_sel:[0,0,1] op_sel_hi:[1,1,0] neg_lo:[0,0,1] neg_hi:[0,0,1]
	v_pk_fma_f32 v[82:83], v[82:83], v[92:93], v[96:97] op_sel:[0,0,1] op_sel_hi:[1,0,0]
	v_dual_mul_f32 v96, v85, v95 :: v_dual_mov_b32 v82, v85
	v_dual_mov_b32 v99, v83 :: v_dual_mov_b32 v83, v84
	s_delay_alu instid0(VALU_DEP_2) | instskip(SKIP_1) | instid1(VALU_DEP_3)
	v_pk_fma_f32 v[96:97], v[84:85], v[56:57], v[96:97] op_sel_hi:[1,1,0] neg_lo:[0,0,1] neg_hi:[0,0,1]
	v_mul_f32_e32 v84, v85, v92
	v_pk_add_f32 v[46:47], v[46:47], v[98:99] neg_lo:[0,1] neg_hi:[0,1]
	s_delay_alu instid0(VALU_DEP_2) | instskip(NEXT) | instid1(VALU_DEP_1)
	v_pk_fma_f32 v[82:83], v[82:83], v[56:57], v[84:85] op_sel_hi:[1,1,0]
	v_mov_b32_e32 v97, v83
	ds_load_b64 v[82:83], v86 offset:296
	v_pk_add_f32 v[26:27], v[26:27], v[96:97] neg_lo:[0,1] neg_hi:[0,1]
	s_wait_dscnt 0x0
	v_pk_mul_f32 v[84:85], v[82:83], v[94:95] op_sel:[0,1]
	s_delay_alu instid0(VALU_DEP_1) | instskip(SKIP_1) | instid1(VALU_DEP_1)
	v_pk_fma_f32 v[94:95], v[82:83], v[92:93], v[84:85] op_sel:[0,0,1] op_sel_hi:[1,1,0] neg_lo:[0,0,1] neg_hi:[0,0,1]
	v_pk_fma_f32 v[82:83], v[82:83], v[92:93], v[84:85] op_sel:[0,0,1] op_sel_hi:[1,0,0]
	v_mov_b32_e32 v95, v83
	s_delay_alu instid0(VALU_DEP_1)
	v_pk_add_f32 v[80:81], v[80:81], v[94:95] neg_lo:[0,1] neg_hi:[0,1]
.LBB74_692:
	s_or_b32 exec_lo, exec_lo, s0
	v_lshl_add_u32 v82, v90, 3, v86
	s_barrier_signal -1
	s_barrier_wait -1
	ds_store_b64 v82, v[6:7]
	s_wait_dscnt 0x0
	s_barrier_signal -1
	s_barrier_wait -1
	ds_load_b64 v[82:83], v86 offset:264
	v_mov_b32_e32 v84, 33
	s_cmp_lt_i32 s18, 35
	s_cbranch_scc1 .LBB74_695
; %bb.693:
	v_add3_u32 v85, v87, 0, 0x110
	v_mov_b32_e32 v84, 33
	s_mov_b32 s0, 34
.LBB74_694:                             ; =>This Inner Loop Header: Depth=1
	ds_load_b64 v[92:93], v85
	s_wait_dscnt 0x1
	v_cmp_gt_f32_e32 vcc_lo, 0, v82
	v_cndmask_b32_e64 v94, v82, -v82, vcc_lo
	v_cmp_gt_f32_e32 vcc_lo, 0, v83
	v_cndmask_b32_e64 v96, v83, -v83, vcc_lo
	s_wait_dscnt 0x0
	v_cmp_gt_f32_e32 vcc_lo, 0, v92
	v_cndmask_b32_e64 v95, v92, -v92, vcc_lo
	v_cmp_gt_f32_e32 vcc_lo, 0, v93
	v_cndmask_b32_e64 v97, v93, -v93, vcc_lo
	s_delay_alu instid0(VALU_DEP_1) | instskip(NEXT) | instid1(VALU_DEP_1)
	v_pk_add_f32 v[94:95], v[94:95], v[96:97]
	v_cmp_lt_f32_e32 vcc_lo, v94, v95
	v_dual_cndmask_b32 v82, v82, v92 :: v_dual_add_nc_u32 v85, 8, v85
	v_cndmask_b32_e32 v83, v83, v93, vcc_lo
	v_cndmask_b32_e64 v84, v84, s0, vcc_lo
	s_add_co_i32 s0, s0, 1
	s_delay_alu instid0(SALU_CYCLE_1)
	s_cmp_lg_u32 s18, s0
	s_cbranch_scc1 .LBB74_694
.LBB74_695:
	s_wait_dscnt 0x0
	v_cmp_eq_f32_e32 vcc_lo, 0, v82
	v_cmp_eq_f32_e64 s0, 0, v83
	s_and_b32 s0, vcc_lo, s0
	s_delay_alu instid0(SALU_CYCLE_1) | instskip(NEXT) | instid1(SALU_CYCLE_1)
	s_and_saveexec_b32 s1, s0
	s_xor_b32 s0, exec_lo, s1
; %bb.696:
	v_cmp_ne_u32_e32 vcc_lo, 0, v88
	v_cndmask_b32_e32 v88, 34, v88, vcc_lo
; %bb.697:
	s_and_not1_saveexec_b32 s0, s0
	s_cbranch_execz .LBB74_703
; %bb.698:
	v_cmp_ngt_f32_e64 s1, |v82|, |v83|
	s_and_saveexec_b32 s12, s1
	s_delay_alu instid0(SALU_CYCLE_1)
	s_xor_b32 s1, exec_lo, s12
	s_cbranch_execz .LBB74_700
; %bb.699:
	v_div_scale_f32 v85, null, v83, v83, v82
	v_div_scale_f32 v93, vcc_lo, v82, v83, v82
	s_delay_alu instid0(VALU_DEP_2) | instskip(SKIP_1) | instid1(TRANS32_DEP_1)
	v_rcp_f32_e32 v91, v85
	v_nop
	v_fma_f32 v92, -v85, v91, 1.0
	s_delay_alu instid0(VALU_DEP_1) | instskip(NEXT) | instid1(VALU_DEP_1)
	v_fmac_f32_e32 v91, v92, v91
	v_mul_f32_e32 v92, v93, v91
	s_delay_alu instid0(VALU_DEP_1) | instskip(NEXT) | instid1(VALU_DEP_1)
	v_fma_f32 v94, -v85, v92, v93
	v_fmac_f32_e32 v92, v94, v91
	s_delay_alu instid0(VALU_DEP_1) | instskip(NEXT) | instid1(VALU_DEP_1)
	v_fma_f32 v85, -v85, v92, v93
	v_div_fmas_f32 v85, v85, v91, v92
	s_delay_alu instid0(VALU_DEP_1) | instskip(NEXT) | instid1(VALU_DEP_1)
	v_div_fixup_f32 v85, v85, v83, v82
	v_fmac_f32_e32 v83, v82, v85
	s_delay_alu instid0(VALU_DEP_1) | instskip(SKIP_1) | instid1(VALU_DEP_2)
	v_div_scale_f32 v82, null, v83, v83, 1.0
	v_div_scale_f32 v93, vcc_lo, 1.0, v83, 1.0
	v_rcp_f32_e32 v91, v82
	v_nop
	s_delay_alu instid0(TRANS32_DEP_1) | instskip(NEXT) | instid1(VALU_DEP_1)
	v_fma_f32 v92, -v82, v91, 1.0
	v_fmac_f32_e32 v91, v92, v91
	s_delay_alu instid0(VALU_DEP_1) | instskip(NEXT) | instid1(VALU_DEP_1)
	v_mul_f32_e32 v92, v93, v91
	v_fma_f32 v94, -v82, v92, v93
	s_delay_alu instid0(VALU_DEP_1) | instskip(NEXT) | instid1(VALU_DEP_1)
	v_fmac_f32_e32 v92, v94, v91
	v_fma_f32 v82, -v82, v92, v93
	s_delay_alu instid0(VALU_DEP_1) | instskip(NEXT) | instid1(VALU_DEP_1)
	v_div_fmas_f32 v82, v82, v91, v92
	v_div_fixup_f32 v83, v82, v83, 1.0
	s_delay_alu instid0(VALU_DEP_1)
	v_mul_f32_e32 v82, v85, v83
	v_xor_b32_e32 v83, 0x80000000, v83
.LBB74_700:
	s_and_not1_saveexec_b32 s1, s1
	s_cbranch_execz .LBB74_702
; %bb.701:
	s_delay_alu instid0(VALU_DEP_1) | instskip(SKIP_1) | instid1(VALU_DEP_2)
	v_div_scale_f32 v85, null, v82, v82, v83
	v_div_scale_f32 v93, vcc_lo, v83, v82, v83
	v_rcp_f32_e32 v91, v85
	v_nop
	s_delay_alu instid0(TRANS32_DEP_1) | instskip(NEXT) | instid1(VALU_DEP_1)
	v_fma_f32 v92, -v85, v91, 1.0
	v_fmac_f32_e32 v91, v92, v91
	s_delay_alu instid0(VALU_DEP_1) | instskip(NEXT) | instid1(VALU_DEP_1)
	v_mul_f32_e32 v92, v93, v91
	v_fma_f32 v94, -v85, v92, v93
	s_delay_alu instid0(VALU_DEP_1) | instskip(NEXT) | instid1(VALU_DEP_1)
	v_fmac_f32_e32 v92, v94, v91
	v_fma_f32 v85, -v85, v92, v93
	s_delay_alu instid0(VALU_DEP_1) | instskip(NEXT) | instid1(VALU_DEP_1)
	v_div_fmas_f32 v85, v85, v91, v92
	v_div_fixup_f32 v85, v85, v82, v83
	s_delay_alu instid0(VALU_DEP_1) | instskip(NEXT) | instid1(VALU_DEP_1)
	v_fmac_f32_e32 v82, v83, v85
	v_div_scale_f32 v83, null, v82, v82, 1.0
	s_delay_alu instid0(VALU_DEP_1) | instskip(SKIP_1) | instid1(TRANS32_DEP_1)
	v_rcp_f32_e32 v91, v83
	v_nop
	v_fma_f32 v92, -v83, v91, 1.0
	s_delay_alu instid0(VALU_DEP_1) | instskip(SKIP_1) | instid1(VALU_DEP_1)
	v_fmac_f32_e32 v91, v92, v91
	v_div_scale_f32 v92, vcc_lo, 1.0, v82, 1.0
	v_mul_f32_e32 v93, v92, v91
	s_delay_alu instid0(VALU_DEP_1) | instskip(NEXT) | instid1(VALU_DEP_1)
	v_fma_f32 v94, -v83, v93, v92
	v_fmac_f32_e32 v93, v94, v91
	s_delay_alu instid0(VALU_DEP_1) | instskip(NEXT) | instid1(VALU_DEP_1)
	v_fma_f32 v83, -v83, v93, v92
	v_div_fmas_f32 v83, v83, v91, v93
	s_delay_alu instid0(VALU_DEP_1) | instskip(NEXT) | instid1(VALU_DEP_1)
	v_div_fixup_f32 v82, v83, v82, 1.0
	v_mul_f32_e64 v83, v85, -v82
.LBB74_702:
	s_or_b32 exec_lo, exec_lo, s1
.LBB74_703:
	s_delay_alu instid0(SALU_CYCLE_1) | instskip(NEXT) | instid1(SALU_CYCLE_1)
	s_or_b32 exec_lo, exec_lo, s0
	s_mov_b32 s0, exec_lo
	v_cmpx_ne_u32_e64 v90, v84
	s_xor_b32 s0, exec_lo, s0
	s_cbranch_execz .LBB74_709
; %bb.704:
	s_mov_b32 s1, exec_lo
	v_cmpx_eq_u32_e32 33, v90
	s_cbranch_execz .LBB74_708
; %bb.705:
	v_cmp_ne_u32_e32 vcc_lo, 33, v84
	s_xor_b32 s12, s16, -1
	s_delay_alu instid0(SALU_CYCLE_1) | instskip(NEXT) | instid1(SALU_CYCLE_1)
	s_and_b32 s13, s12, vcc_lo
	s_and_saveexec_b32 s12, s13
	s_cbranch_execz .LBB74_707
; %bb.706:
	v_ashrrev_i32_e32 v85, 31, v84
	s_delay_alu instid0(VALU_DEP_1)
	v_lshl_add_u64 v[90:91], v[84:85], 2, v[4:5]
	s_clause 0x1
	global_load_b32 v85, v[90:91], off
	global_load_b32 v89, v[4:5], off offset:132
	s_wait_loadcnt 0x1
	global_store_b32 v[4:5], v85, off offset:132
	s_wait_loadcnt 0x0
	global_store_b32 v[90:91], v89, off
.LBB74_707:
	s_wait_xcnt 0x0
	s_or_b32 exec_lo, exec_lo, s12
	v_dual_mov_b32 v90, v84 :: v_dual_mov_b32 v89, v84
.LBB74_708:
	s_or_b32 exec_lo, exec_lo, s1
.LBB74_709:
	s_and_not1_saveexec_b32 s0, s0
	s_cbranch_execz .LBB74_711
; %bb.710:
	v_dual_mov_b32 v84, v54 :: v_dual_mov_b32 v85, v55
	v_dual_mov_b32 v92, v46 :: v_dual_mov_b32 v93, v47
	;; [unrolled: 1-line block ×3, first 2 shown]
	v_mov_b32_e32 v95, v27
	ds_store_2addr_b64 v86, v[84:85], v[92:93] offset0:34 offset1:35
	ds_store_2addr_b64 v86, v[94:95], v[80:81] offset0:36 offset1:37
.LBB74_711:
	s_or_b32 exec_lo, exec_lo, s0
	s_delay_alu instid0(SALU_CYCLE_1)
	s_mov_b32 s0, exec_lo
	s_wait_storecnt_dscnt 0x0
	s_barrier_signal -1
	s_barrier_wait -1
	v_cmpx_lt_i32_e32 33, v90
	s_cbranch_execz .LBB74_713
; %bb.712:
	ds_load_2addr_b64 v[92:95], v86 offset0:34 offset1:35
	ds_load_2addr_b64 v[96:99], v86 offset0:36 offset1:37
	v_pk_mul_f32 v[84:85], v[82:83], v[6:7] op_sel:[1,1] op_sel_hi:[0,1]
	s_delay_alu instid0(VALU_DEP_1) | instskip(SKIP_1) | instid1(VALU_DEP_1)
	v_pk_fma_f32 v[100:101], v[82:83], v[6:7], v[84:85] op_sel_hi:[1,0,1] neg_lo:[0,0,1] neg_hi:[0,0,1]
	v_pk_fma_f32 v[82:83], v[82:83], v[6:7], v[84:85] op_sel_hi:[1,0,1]
	v_dual_mov_b32 v6, v100 :: v_dual_mov_b32 v7, v83
	s_wait_dscnt 0x1
	s_delay_alu instid0(VALU_DEP_2)
	v_pk_mul_f32 v[84:85], v[92:93], v[82:83] op_sel:[0,1]
	s_wait_dscnt 0x0
	v_mov_b32_e32 v102, v99
	v_pk_mul_f32 v[104:105], v[94:95], v[82:83] op_sel:[0,1]
	v_pk_mul_f32 v[106:107], v[96:97], v[82:83] op_sel:[0,1]
	v_pk_fma_f32 v[108:109], v[92:93], v[100:101], v[84:85] op_sel:[0,0,1] op_sel_hi:[1,1,0] neg_lo:[0,0,1] neg_hi:[0,0,1]
	v_pk_fma_f32 v[84:85], v[92:93], v[100:101], v[84:85] op_sel:[0,0,1] op_sel_hi:[1,0,0]
	s_delay_alu instid0(VALU_DEP_1) | instskip(NEXT) | instid1(VALU_DEP_1)
	v_dual_mov_b32 v103, v98 :: v_dual_mov_b32 v109, v85
	v_pk_mul_f32 v[92:93], v[102:103], v[82:83] op_sel:[0,1]
	v_pk_fma_f32 v[102:103], v[94:95], v[100:101], v[104:105] op_sel:[0,0,1] op_sel_hi:[1,0,0]
	v_pk_fma_f32 v[94:95], v[94:95], v[100:101], v[104:105] op_sel:[0,0,1] op_sel_hi:[1,1,0] neg_lo:[0,0,1] neg_hi:[0,0,1]
	v_pk_fma_f32 v[104:105], v[96:97], v[100:101], v[106:107] op_sel:[0,0,1] op_sel_hi:[1,0,0]
	v_pk_fma_f32 v[96:97], v[96:97], v[100:101], v[106:107] op_sel:[0,0,1] op_sel_hi:[1,1,0] neg_lo:[0,0,1] neg_hi:[0,0,1]
	v_pk_fma_f32 v[84:85], v[98:99], v[100:101], v[92:93] op_sel_hi:[1,0,1]
	v_pk_fma_f32 v[92:93], v[98:99], v[100:101], v[92:93] neg_lo:[0,0,1] neg_hi:[0,0,1]
	s_delay_alu instid0(VALU_DEP_4) | instskip(SKIP_1) | instid1(VALU_DEP_4)
	v_dual_mov_b32 v95, v103 :: v_dual_mov_b32 v97, v105
	v_pk_add_f32 v[54:55], v[54:55], v[108:109] neg_lo:[0,1] neg_hi:[0,1]
	v_mov_b32_e32 v93, v85
	s_delay_alu instid0(VALU_DEP_3) | instskip(NEXT) | instid1(VALU_DEP_4)
	v_pk_add_f32 v[46:47], v[46:47], v[94:95] neg_lo:[0,1] neg_hi:[0,1]
	v_pk_add_f32 v[26:27], v[26:27], v[96:97] neg_lo:[0,1] neg_hi:[0,1]
	s_delay_alu instid0(VALU_DEP_3)
	v_pk_add_f32 v[80:81], v[80:81], v[92:93] neg_lo:[0,1] neg_hi:[0,1]
.LBB74_713:
	s_or_b32 exec_lo, exec_lo, s0
	v_lshl_add_u32 v82, v90, 3, v86
	s_barrier_signal -1
	s_barrier_wait -1
	ds_store_b64 v82, v[54:55]
	s_wait_dscnt 0x0
	s_barrier_signal -1
	s_barrier_wait -1
	ds_load_b64 v[82:83], v86 offset:272
	v_mov_b32_e32 v84, 34
	s_cmp_lt_i32 s18, 36
	s_cbranch_scc1 .LBB74_716
; %bb.714:
	v_add3_u32 v85, v87, 0, 0x118
	v_mov_b32_e32 v84, 34
	s_mov_b32 s0, 35
.LBB74_715:                             ; =>This Inner Loop Header: Depth=1
	ds_load_b64 v[92:93], v85
	s_wait_dscnt 0x1
	v_cmp_gt_f32_e32 vcc_lo, 0, v82
	v_cndmask_b32_e64 v94, v82, -v82, vcc_lo
	v_cmp_gt_f32_e32 vcc_lo, 0, v83
	v_cndmask_b32_e64 v96, v83, -v83, vcc_lo
	s_wait_dscnt 0x0
	v_cmp_gt_f32_e32 vcc_lo, 0, v92
	v_cndmask_b32_e64 v95, v92, -v92, vcc_lo
	v_cmp_gt_f32_e32 vcc_lo, 0, v93
	v_cndmask_b32_e64 v97, v93, -v93, vcc_lo
	s_delay_alu instid0(VALU_DEP_1) | instskip(NEXT) | instid1(VALU_DEP_1)
	v_pk_add_f32 v[94:95], v[94:95], v[96:97]
	v_cmp_lt_f32_e32 vcc_lo, v94, v95
	v_dual_cndmask_b32 v82, v82, v92 :: v_dual_add_nc_u32 v85, 8, v85
	v_cndmask_b32_e32 v83, v83, v93, vcc_lo
	v_cndmask_b32_e64 v84, v84, s0, vcc_lo
	s_add_co_i32 s0, s0, 1
	s_delay_alu instid0(SALU_CYCLE_1)
	s_cmp_lg_u32 s18, s0
	s_cbranch_scc1 .LBB74_715
.LBB74_716:
	s_wait_dscnt 0x0
	v_cmp_eq_f32_e32 vcc_lo, 0, v82
	v_cmp_eq_f32_e64 s0, 0, v83
	s_and_b32 s0, vcc_lo, s0
	s_delay_alu instid0(SALU_CYCLE_1) | instskip(NEXT) | instid1(SALU_CYCLE_1)
	s_and_saveexec_b32 s1, s0
	s_xor_b32 s0, exec_lo, s1
; %bb.717:
	v_cmp_ne_u32_e32 vcc_lo, 0, v88
	v_cndmask_b32_e32 v88, 35, v88, vcc_lo
; %bb.718:
	s_and_not1_saveexec_b32 s0, s0
	s_cbranch_execz .LBB74_724
; %bb.719:
	v_cmp_ngt_f32_e64 s1, |v82|, |v83|
	s_and_saveexec_b32 s12, s1
	s_delay_alu instid0(SALU_CYCLE_1)
	s_xor_b32 s1, exec_lo, s12
	s_cbranch_execz .LBB74_721
; %bb.720:
	v_div_scale_f32 v85, null, v83, v83, v82
	v_div_scale_f32 v93, vcc_lo, v82, v83, v82
	s_delay_alu instid0(VALU_DEP_2) | instskip(SKIP_1) | instid1(TRANS32_DEP_1)
	v_rcp_f32_e32 v91, v85
	v_nop
	v_fma_f32 v92, -v85, v91, 1.0
	s_delay_alu instid0(VALU_DEP_1) | instskip(NEXT) | instid1(VALU_DEP_1)
	v_fmac_f32_e32 v91, v92, v91
	v_mul_f32_e32 v92, v93, v91
	s_delay_alu instid0(VALU_DEP_1) | instskip(NEXT) | instid1(VALU_DEP_1)
	v_fma_f32 v94, -v85, v92, v93
	v_fmac_f32_e32 v92, v94, v91
	s_delay_alu instid0(VALU_DEP_1) | instskip(NEXT) | instid1(VALU_DEP_1)
	v_fma_f32 v85, -v85, v92, v93
	v_div_fmas_f32 v85, v85, v91, v92
	s_delay_alu instid0(VALU_DEP_1) | instskip(NEXT) | instid1(VALU_DEP_1)
	v_div_fixup_f32 v85, v85, v83, v82
	v_fmac_f32_e32 v83, v82, v85
	s_delay_alu instid0(VALU_DEP_1) | instskip(SKIP_1) | instid1(VALU_DEP_2)
	v_div_scale_f32 v82, null, v83, v83, 1.0
	v_div_scale_f32 v93, vcc_lo, 1.0, v83, 1.0
	v_rcp_f32_e32 v91, v82
	v_nop
	s_delay_alu instid0(TRANS32_DEP_1) | instskip(NEXT) | instid1(VALU_DEP_1)
	v_fma_f32 v92, -v82, v91, 1.0
	v_fmac_f32_e32 v91, v92, v91
	s_delay_alu instid0(VALU_DEP_1) | instskip(NEXT) | instid1(VALU_DEP_1)
	v_mul_f32_e32 v92, v93, v91
	v_fma_f32 v94, -v82, v92, v93
	s_delay_alu instid0(VALU_DEP_1) | instskip(NEXT) | instid1(VALU_DEP_1)
	v_fmac_f32_e32 v92, v94, v91
	v_fma_f32 v82, -v82, v92, v93
	s_delay_alu instid0(VALU_DEP_1) | instskip(NEXT) | instid1(VALU_DEP_1)
	v_div_fmas_f32 v82, v82, v91, v92
	v_div_fixup_f32 v83, v82, v83, 1.0
	s_delay_alu instid0(VALU_DEP_1)
	v_mul_f32_e32 v82, v85, v83
	v_xor_b32_e32 v83, 0x80000000, v83
.LBB74_721:
	s_and_not1_saveexec_b32 s1, s1
	s_cbranch_execz .LBB74_723
; %bb.722:
	s_delay_alu instid0(VALU_DEP_1) | instskip(SKIP_1) | instid1(VALU_DEP_2)
	v_div_scale_f32 v85, null, v82, v82, v83
	v_div_scale_f32 v93, vcc_lo, v83, v82, v83
	v_rcp_f32_e32 v91, v85
	v_nop
	s_delay_alu instid0(TRANS32_DEP_1) | instskip(NEXT) | instid1(VALU_DEP_1)
	v_fma_f32 v92, -v85, v91, 1.0
	v_fmac_f32_e32 v91, v92, v91
	s_delay_alu instid0(VALU_DEP_1) | instskip(NEXT) | instid1(VALU_DEP_1)
	v_mul_f32_e32 v92, v93, v91
	v_fma_f32 v94, -v85, v92, v93
	s_delay_alu instid0(VALU_DEP_1) | instskip(NEXT) | instid1(VALU_DEP_1)
	v_fmac_f32_e32 v92, v94, v91
	v_fma_f32 v85, -v85, v92, v93
	s_delay_alu instid0(VALU_DEP_1) | instskip(NEXT) | instid1(VALU_DEP_1)
	v_div_fmas_f32 v85, v85, v91, v92
	v_div_fixup_f32 v85, v85, v82, v83
	s_delay_alu instid0(VALU_DEP_1) | instskip(NEXT) | instid1(VALU_DEP_1)
	v_fmac_f32_e32 v82, v83, v85
	v_div_scale_f32 v83, null, v82, v82, 1.0
	s_delay_alu instid0(VALU_DEP_1) | instskip(SKIP_1) | instid1(TRANS32_DEP_1)
	v_rcp_f32_e32 v91, v83
	v_nop
	v_fma_f32 v92, -v83, v91, 1.0
	s_delay_alu instid0(VALU_DEP_1) | instskip(SKIP_1) | instid1(VALU_DEP_1)
	v_fmac_f32_e32 v91, v92, v91
	v_div_scale_f32 v92, vcc_lo, 1.0, v82, 1.0
	v_mul_f32_e32 v93, v92, v91
	s_delay_alu instid0(VALU_DEP_1) | instskip(NEXT) | instid1(VALU_DEP_1)
	v_fma_f32 v94, -v83, v93, v92
	v_fmac_f32_e32 v93, v94, v91
	s_delay_alu instid0(VALU_DEP_1) | instskip(NEXT) | instid1(VALU_DEP_1)
	v_fma_f32 v83, -v83, v93, v92
	v_div_fmas_f32 v83, v83, v91, v93
	s_delay_alu instid0(VALU_DEP_1) | instskip(NEXT) | instid1(VALU_DEP_1)
	v_div_fixup_f32 v82, v83, v82, 1.0
	v_mul_f32_e64 v83, v85, -v82
.LBB74_723:
	s_or_b32 exec_lo, exec_lo, s1
.LBB74_724:
	s_delay_alu instid0(SALU_CYCLE_1) | instskip(NEXT) | instid1(SALU_CYCLE_1)
	s_or_b32 exec_lo, exec_lo, s0
	s_mov_b32 s0, exec_lo
	v_cmpx_ne_u32_e64 v90, v84
	s_xor_b32 s0, exec_lo, s0
	s_cbranch_execz .LBB74_730
; %bb.725:
	s_mov_b32 s1, exec_lo
	v_cmpx_eq_u32_e32 34, v90
	s_cbranch_execz .LBB74_729
; %bb.726:
	v_cmp_ne_u32_e32 vcc_lo, 34, v84
	s_xor_b32 s12, s16, -1
	s_delay_alu instid0(SALU_CYCLE_1) | instskip(NEXT) | instid1(SALU_CYCLE_1)
	s_and_b32 s13, s12, vcc_lo
	s_and_saveexec_b32 s12, s13
	s_cbranch_execz .LBB74_728
; %bb.727:
	v_ashrrev_i32_e32 v85, 31, v84
	s_delay_alu instid0(VALU_DEP_1)
	v_lshl_add_u64 v[90:91], v[84:85], 2, v[4:5]
	s_clause 0x1
	global_load_b32 v85, v[90:91], off
	global_load_b32 v89, v[4:5], off offset:136
	s_wait_loadcnt 0x1
	global_store_b32 v[4:5], v85, off offset:136
	s_wait_loadcnt 0x0
	global_store_b32 v[90:91], v89, off
.LBB74_728:
	s_wait_xcnt 0x0
	s_or_b32 exec_lo, exec_lo, s12
	v_dual_mov_b32 v90, v84 :: v_dual_mov_b32 v89, v84
.LBB74_729:
	s_or_b32 exec_lo, exec_lo, s1
.LBB74_730:
	s_and_not1_saveexec_b32 s0, s0
	s_cbranch_execz .LBB74_732
; %bb.731:
	v_mov_b32_e32 v90, 34
	ds_store_2addr_b64 v86, v[46:47], v[26:27] offset0:35 offset1:36
	ds_store_b64 v86, v[80:81] offset:296
.LBB74_732:
	s_or_b32 exec_lo, exec_lo, s0
	s_delay_alu instid0(SALU_CYCLE_1)
	s_mov_b32 s0, exec_lo
	s_wait_storecnt_dscnt 0x0
	s_barrier_signal -1
	s_barrier_wait -1
	v_cmpx_lt_i32_e32 34, v90
	s_cbranch_execz .LBB74_734
; %bb.733:
	ds_load_2addr_b64 v[92:95], v86 offset0:35 offset1:36
	ds_load_b64 v[84:85], v86 offset:296
	v_pk_mul_f32 v[96:97], v[82:83], v[54:55] op_sel:[1,1] op_sel_hi:[0,1]
	s_delay_alu instid0(VALU_DEP_1) | instskip(SKIP_2) | instid1(VALU_DEP_2)
	v_pk_fma_f32 v[98:99], v[82:83], v[54:55], v[96:97] op_sel_hi:[1,0,1]
	v_pk_fma_f32 v[54:55], v[82:83], v[54:55], v[96:97] op_sel_hi:[1,0,1] neg_lo:[0,0,1] neg_hi:[0,0,1]
	s_wait_dscnt 0x1
	v_pk_mul_f32 v[82:83], v[92:93], v[98:99] op_sel:[0,1]
	v_pk_mul_f32 v[96:97], v[94:95], v[98:99] op_sel:[0,1]
	s_wait_dscnt 0x0
	v_pk_mul_f32 v[100:101], v[84:85], v[98:99] op_sel:[1,1] op_sel_hi:[0,1]
	s_delay_alu instid0(VALU_DEP_3) | instskip(SKIP_2) | instid1(VALU_DEP_4)
	v_pk_fma_f32 v[102:103], v[92:93], v[54:55], v[82:83] op_sel:[0,0,1] op_sel_hi:[1,1,0] neg_lo:[0,0,1] neg_hi:[0,0,1]
	v_pk_fma_f32 v[82:83], v[92:93], v[54:55], v[82:83] op_sel:[0,0,1] op_sel_hi:[1,0,0]
	v_pk_fma_f32 v[92:93], v[94:95], v[54:55], v[96:97] op_sel:[0,0,1] op_sel_hi:[1,0,0]
	v_pk_fma_f32 v[104:105], v[84:85], v[54:55], v[100:101] op_sel_hi:[1,0,1]
	v_pk_fma_f32 v[94:95], v[94:95], v[54:55], v[96:97] op_sel:[0,0,1] op_sel_hi:[1,1,0] neg_lo:[0,0,1] neg_hi:[0,0,1]
	v_pk_fma_f32 v[84:85], v[84:85], v[54:55], v[100:101] neg_lo:[0,0,1] neg_hi:[0,0,1]
	s_delay_alu instid0(VALU_DEP_4) | instskip(NEXT) | instid1(VALU_DEP_4)
	v_dual_mov_b32 v103, v83 :: v_dual_mov_b32 v95, v93
	v_dual_mov_b32 v85, v105 :: v_dual_mov_b32 v55, v99
	s_delay_alu instid0(VALU_DEP_2) | instskip(NEXT) | instid1(VALU_DEP_3)
	v_pk_add_f32 v[46:47], v[46:47], v[102:103] neg_lo:[0,1] neg_hi:[0,1]
	v_pk_add_f32 v[26:27], v[26:27], v[94:95] neg_lo:[0,1] neg_hi:[0,1]
	s_delay_alu instid0(VALU_DEP_3)
	v_pk_add_f32 v[80:81], v[80:81], v[84:85] neg_lo:[0,1] neg_hi:[0,1]
.LBB74_734:
	s_or_b32 exec_lo, exec_lo, s0
	v_lshl_add_u32 v82, v90, 3, v86
	s_barrier_signal -1
	s_barrier_wait -1
	ds_store_b64 v82, v[46:47]
	s_wait_dscnt 0x0
	s_barrier_signal -1
	s_barrier_wait -1
	ds_load_b64 v[82:83], v86 offset:280
	v_mov_b32_e32 v84, 35
	s_cmp_lt_i32 s18, 37
	s_cbranch_scc1 .LBB74_737
; %bb.735:
	v_add3_u32 v85, v87, 0, 0x120
	v_mov_b32_e32 v84, 35
	s_mov_b32 s0, 36
.LBB74_736:                             ; =>This Inner Loop Header: Depth=1
	ds_load_b64 v[92:93], v85
	s_wait_dscnt 0x1
	v_cmp_gt_f32_e32 vcc_lo, 0, v82
	v_cndmask_b32_e64 v94, v82, -v82, vcc_lo
	v_cmp_gt_f32_e32 vcc_lo, 0, v83
	v_cndmask_b32_e64 v96, v83, -v83, vcc_lo
	s_wait_dscnt 0x0
	v_cmp_gt_f32_e32 vcc_lo, 0, v92
	v_cndmask_b32_e64 v95, v92, -v92, vcc_lo
	v_cmp_gt_f32_e32 vcc_lo, 0, v93
	v_cndmask_b32_e64 v97, v93, -v93, vcc_lo
	s_delay_alu instid0(VALU_DEP_1) | instskip(NEXT) | instid1(VALU_DEP_1)
	v_pk_add_f32 v[94:95], v[94:95], v[96:97]
	v_cmp_lt_f32_e32 vcc_lo, v94, v95
	v_dual_cndmask_b32 v82, v82, v92 :: v_dual_add_nc_u32 v85, 8, v85
	v_cndmask_b32_e32 v83, v83, v93, vcc_lo
	v_cndmask_b32_e64 v84, v84, s0, vcc_lo
	s_add_co_i32 s0, s0, 1
	s_delay_alu instid0(SALU_CYCLE_1)
	s_cmp_lg_u32 s18, s0
	s_cbranch_scc1 .LBB74_736
.LBB74_737:
	s_wait_dscnt 0x0
	v_cmp_eq_f32_e32 vcc_lo, 0, v82
	v_cmp_eq_f32_e64 s0, 0, v83
	s_and_b32 s0, vcc_lo, s0
	s_delay_alu instid0(SALU_CYCLE_1) | instskip(NEXT) | instid1(SALU_CYCLE_1)
	s_and_saveexec_b32 s1, s0
	s_xor_b32 s0, exec_lo, s1
; %bb.738:
	v_cmp_ne_u32_e32 vcc_lo, 0, v88
	v_cndmask_b32_e32 v88, 36, v88, vcc_lo
; %bb.739:
	s_and_not1_saveexec_b32 s0, s0
	s_cbranch_execz .LBB74_745
; %bb.740:
	v_cmp_ngt_f32_e64 s1, |v82|, |v83|
	s_and_saveexec_b32 s12, s1
	s_delay_alu instid0(SALU_CYCLE_1)
	s_xor_b32 s1, exec_lo, s12
	s_cbranch_execz .LBB74_742
; %bb.741:
	v_div_scale_f32 v85, null, v83, v83, v82
	v_div_scale_f32 v93, vcc_lo, v82, v83, v82
	s_delay_alu instid0(VALU_DEP_2) | instskip(SKIP_1) | instid1(TRANS32_DEP_1)
	v_rcp_f32_e32 v91, v85
	v_nop
	v_fma_f32 v92, -v85, v91, 1.0
	s_delay_alu instid0(VALU_DEP_1) | instskip(NEXT) | instid1(VALU_DEP_1)
	v_fmac_f32_e32 v91, v92, v91
	v_mul_f32_e32 v92, v93, v91
	s_delay_alu instid0(VALU_DEP_1) | instskip(NEXT) | instid1(VALU_DEP_1)
	v_fma_f32 v94, -v85, v92, v93
	v_fmac_f32_e32 v92, v94, v91
	s_delay_alu instid0(VALU_DEP_1) | instskip(NEXT) | instid1(VALU_DEP_1)
	v_fma_f32 v85, -v85, v92, v93
	v_div_fmas_f32 v85, v85, v91, v92
	s_delay_alu instid0(VALU_DEP_1) | instskip(NEXT) | instid1(VALU_DEP_1)
	v_div_fixup_f32 v85, v85, v83, v82
	v_fmac_f32_e32 v83, v82, v85
	s_delay_alu instid0(VALU_DEP_1) | instskip(SKIP_1) | instid1(VALU_DEP_2)
	v_div_scale_f32 v82, null, v83, v83, 1.0
	v_div_scale_f32 v93, vcc_lo, 1.0, v83, 1.0
	v_rcp_f32_e32 v91, v82
	v_nop
	s_delay_alu instid0(TRANS32_DEP_1) | instskip(NEXT) | instid1(VALU_DEP_1)
	v_fma_f32 v92, -v82, v91, 1.0
	v_fmac_f32_e32 v91, v92, v91
	s_delay_alu instid0(VALU_DEP_1) | instskip(NEXT) | instid1(VALU_DEP_1)
	v_mul_f32_e32 v92, v93, v91
	v_fma_f32 v94, -v82, v92, v93
	s_delay_alu instid0(VALU_DEP_1) | instskip(NEXT) | instid1(VALU_DEP_1)
	v_fmac_f32_e32 v92, v94, v91
	v_fma_f32 v82, -v82, v92, v93
	s_delay_alu instid0(VALU_DEP_1) | instskip(NEXT) | instid1(VALU_DEP_1)
	v_div_fmas_f32 v82, v82, v91, v92
	v_div_fixup_f32 v83, v82, v83, 1.0
	s_delay_alu instid0(VALU_DEP_1)
	v_mul_f32_e32 v82, v85, v83
	v_xor_b32_e32 v83, 0x80000000, v83
.LBB74_742:
	s_and_not1_saveexec_b32 s1, s1
	s_cbranch_execz .LBB74_744
; %bb.743:
	s_delay_alu instid0(VALU_DEP_1) | instskip(SKIP_1) | instid1(VALU_DEP_2)
	v_div_scale_f32 v85, null, v82, v82, v83
	v_div_scale_f32 v93, vcc_lo, v83, v82, v83
	v_rcp_f32_e32 v91, v85
	v_nop
	s_delay_alu instid0(TRANS32_DEP_1) | instskip(NEXT) | instid1(VALU_DEP_1)
	v_fma_f32 v92, -v85, v91, 1.0
	v_fmac_f32_e32 v91, v92, v91
	s_delay_alu instid0(VALU_DEP_1) | instskip(NEXT) | instid1(VALU_DEP_1)
	v_mul_f32_e32 v92, v93, v91
	v_fma_f32 v94, -v85, v92, v93
	s_delay_alu instid0(VALU_DEP_1) | instskip(NEXT) | instid1(VALU_DEP_1)
	v_fmac_f32_e32 v92, v94, v91
	v_fma_f32 v85, -v85, v92, v93
	s_delay_alu instid0(VALU_DEP_1) | instskip(NEXT) | instid1(VALU_DEP_1)
	v_div_fmas_f32 v85, v85, v91, v92
	v_div_fixup_f32 v85, v85, v82, v83
	s_delay_alu instid0(VALU_DEP_1) | instskip(NEXT) | instid1(VALU_DEP_1)
	v_fmac_f32_e32 v82, v83, v85
	v_div_scale_f32 v83, null, v82, v82, 1.0
	s_delay_alu instid0(VALU_DEP_1) | instskip(SKIP_1) | instid1(TRANS32_DEP_1)
	v_rcp_f32_e32 v91, v83
	v_nop
	v_fma_f32 v92, -v83, v91, 1.0
	s_delay_alu instid0(VALU_DEP_1) | instskip(SKIP_1) | instid1(VALU_DEP_1)
	v_fmac_f32_e32 v91, v92, v91
	v_div_scale_f32 v92, vcc_lo, 1.0, v82, 1.0
	v_mul_f32_e32 v93, v92, v91
	s_delay_alu instid0(VALU_DEP_1) | instskip(NEXT) | instid1(VALU_DEP_1)
	v_fma_f32 v94, -v83, v93, v92
	v_fmac_f32_e32 v93, v94, v91
	s_delay_alu instid0(VALU_DEP_1) | instskip(NEXT) | instid1(VALU_DEP_1)
	v_fma_f32 v83, -v83, v93, v92
	v_div_fmas_f32 v83, v83, v91, v93
	s_delay_alu instid0(VALU_DEP_1) | instskip(NEXT) | instid1(VALU_DEP_1)
	v_div_fixup_f32 v82, v83, v82, 1.0
	v_mul_f32_e64 v83, v85, -v82
.LBB74_744:
	s_or_b32 exec_lo, exec_lo, s1
.LBB74_745:
	s_delay_alu instid0(SALU_CYCLE_1) | instskip(NEXT) | instid1(SALU_CYCLE_1)
	s_or_b32 exec_lo, exec_lo, s0
	s_mov_b32 s0, exec_lo
	v_cmpx_ne_u32_e64 v90, v84
	s_xor_b32 s0, exec_lo, s0
	s_cbranch_execz .LBB74_751
; %bb.746:
	s_mov_b32 s1, exec_lo
	v_cmpx_eq_u32_e32 35, v90
	s_cbranch_execz .LBB74_750
; %bb.747:
	v_cmp_ne_u32_e32 vcc_lo, 35, v84
	s_xor_b32 s12, s16, -1
	s_delay_alu instid0(SALU_CYCLE_1) | instskip(NEXT) | instid1(SALU_CYCLE_1)
	s_and_b32 s13, s12, vcc_lo
	s_and_saveexec_b32 s12, s13
	s_cbranch_execz .LBB74_749
; %bb.748:
	v_ashrrev_i32_e32 v85, 31, v84
	s_delay_alu instid0(VALU_DEP_1)
	v_lshl_add_u64 v[90:91], v[84:85], 2, v[4:5]
	s_clause 0x1
	global_load_b32 v85, v[90:91], off
	global_load_b32 v89, v[4:5], off offset:140
	s_wait_loadcnt 0x1
	global_store_b32 v[4:5], v85, off offset:140
	s_wait_loadcnt 0x0
	global_store_b32 v[90:91], v89, off
.LBB74_749:
	s_wait_xcnt 0x0
	s_or_b32 exec_lo, exec_lo, s12
	v_dual_mov_b32 v90, v84 :: v_dual_mov_b32 v89, v84
.LBB74_750:
	s_or_b32 exec_lo, exec_lo, s1
.LBB74_751:
	s_and_not1_saveexec_b32 s0, s0
; %bb.752:
	v_dual_mov_b32 v84, v26 :: v_dual_mov_b32 v85, v27
	v_mov_b32_e32 v90, 35
	ds_store_2addr_b64 v86, v[84:85], v[80:81] offset0:36 offset1:37
; %bb.753:
	s_or_b32 exec_lo, exec_lo, s0
	s_delay_alu instid0(SALU_CYCLE_1)
	s_mov_b32 s0, exec_lo
	s_wait_storecnt_dscnt 0x0
	s_barrier_signal -1
	s_barrier_wait -1
	v_cmpx_lt_i32_e32 35, v90
	s_cbranch_execz .LBB74_755
; %bb.754:
	ds_load_2addr_b64 v[92:95], v86 offset0:36 offset1:37
	v_pk_mul_f32 v[84:85], v[82:83], v[46:47] op_sel:[1,1] op_sel_hi:[0,1]
	s_delay_alu instid0(VALU_DEP_1) | instskip(SKIP_3) | instid1(VALU_DEP_3)
	v_pk_fma_f32 v[96:97], v[82:83], v[46:47], v[84:85] op_sel_hi:[1,0,1]
	v_pk_fma_f32 v[46:47], v[82:83], v[46:47], v[84:85] op_sel_hi:[1,0,1] neg_lo:[0,0,1] neg_hi:[0,0,1]
	s_wait_dscnt 0x0
	v_dual_mov_b32 v98, v95 :: v_dual_mov_b32 v99, v94
	v_pk_mul_f32 v[82:83], v[92:93], v[96:97] op_sel:[0,1]
	s_delay_alu instid0(VALU_DEP_2) | instskip(NEXT) | instid1(VALU_DEP_2)
	v_pk_mul_f32 v[84:85], v[98:99], v[96:97] op_sel:[0,1]
	v_pk_fma_f32 v[98:99], v[92:93], v[46:47], v[82:83] op_sel:[0,0,1] op_sel_hi:[1,0,0]
	v_pk_fma_f32 v[82:83], v[92:93], v[46:47], v[82:83] op_sel:[0,0,1] op_sel_hi:[1,1,0] neg_lo:[0,0,1] neg_hi:[0,0,1]
	s_delay_alu instid0(VALU_DEP_3) | instskip(SKIP_1) | instid1(VALU_DEP_4)
	v_pk_fma_f32 v[100:101], v[94:95], v[46:47], v[84:85] op_sel_hi:[1,0,1]
	v_pk_fma_f32 v[84:85], v[94:95], v[46:47], v[84:85] neg_lo:[0,0,1] neg_hi:[0,0,1]
	v_dual_mov_b32 v83, v99 :: v_dual_mov_b32 v47, v97
	s_delay_alu instid0(VALU_DEP_3) | instskip(NEXT) | instid1(VALU_DEP_2)
	v_mov_b32_e32 v85, v101
	v_pk_add_f32 v[26:27], v[26:27], v[82:83] neg_lo:[0,1] neg_hi:[0,1]
	s_delay_alu instid0(VALU_DEP_2)
	v_pk_add_f32 v[80:81], v[80:81], v[84:85] neg_lo:[0,1] neg_hi:[0,1]
.LBB74_755:
	s_or_b32 exec_lo, exec_lo, s0
	v_lshl_add_u32 v82, v90, 3, v86
	s_barrier_signal -1
	s_barrier_wait -1
	ds_store_b64 v82, v[26:27]
	s_wait_dscnt 0x0
	s_barrier_signal -1
	s_barrier_wait -1
	ds_load_b64 v[82:83], v86 offset:288
	v_mov_b32_e32 v84, 36
	s_cmp_lt_i32 s18, 38
	s_cbranch_scc1 .LBB74_758
; %bb.756:
	v_add3_u32 v85, v87, 0, 0x128
	v_mov_b32_e32 v84, 36
	s_mov_b32 s0, 37
.LBB74_757:                             ; =>This Inner Loop Header: Depth=1
	ds_load_b64 v[92:93], v85
	s_wait_dscnt 0x1
	v_cmp_gt_f32_e32 vcc_lo, 0, v82
	v_cndmask_b32_e64 v94, v82, -v82, vcc_lo
	v_cmp_gt_f32_e32 vcc_lo, 0, v83
	v_cndmask_b32_e64 v96, v83, -v83, vcc_lo
	s_wait_dscnt 0x0
	v_cmp_gt_f32_e32 vcc_lo, 0, v92
	v_cndmask_b32_e64 v95, v92, -v92, vcc_lo
	v_cmp_gt_f32_e32 vcc_lo, 0, v93
	v_cndmask_b32_e64 v97, v93, -v93, vcc_lo
	s_delay_alu instid0(VALU_DEP_1) | instskip(NEXT) | instid1(VALU_DEP_1)
	v_pk_add_f32 v[94:95], v[94:95], v[96:97]
	v_cmp_lt_f32_e32 vcc_lo, v94, v95
	v_dual_cndmask_b32 v82, v82, v92 :: v_dual_add_nc_u32 v85, 8, v85
	v_cndmask_b32_e32 v83, v83, v93, vcc_lo
	v_cndmask_b32_e64 v84, v84, s0, vcc_lo
	s_add_co_i32 s0, s0, 1
	s_delay_alu instid0(SALU_CYCLE_1)
	s_cmp_lg_u32 s18, s0
	s_cbranch_scc1 .LBB74_757
.LBB74_758:
	s_wait_dscnt 0x0
	v_cmp_eq_f32_e32 vcc_lo, 0, v82
	v_cmp_eq_f32_e64 s0, 0, v83
	s_and_b32 s0, vcc_lo, s0
	s_delay_alu instid0(SALU_CYCLE_1) | instskip(NEXT) | instid1(SALU_CYCLE_1)
	s_and_saveexec_b32 s1, s0
	s_xor_b32 s0, exec_lo, s1
; %bb.759:
	v_cmp_ne_u32_e32 vcc_lo, 0, v88
	v_cndmask_b32_e32 v88, 37, v88, vcc_lo
; %bb.760:
	s_and_not1_saveexec_b32 s0, s0
	s_cbranch_execz .LBB74_766
; %bb.761:
	v_cmp_ngt_f32_e64 s1, |v82|, |v83|
	s_and_saveexec_b32 s12, s1
	s_delay_alu instid0(SALU_CYCLE_1)
	s_xor_b32 s1, exec_lo, s12
	s_cbranch_execz .LBB74_763
; %bb.762:
	v_div_scale_f32 v85, null, v83, v83, v82
	v_div_scale_f32 v93, vcc_lo, v82, v83, v82
	s_delay_alu instid0(VALU_DEP_2) | instskip(SKIP_1) | instid1(TRANS32_DEP_1)
	v_rcp_f32_e32 v91, v85
	v_nop
	v_fma_f32 v92, -v85, v91, 1.0
	s_delay_alu instid0(VALU_DEP_1) | instskip(NEXT) | instid1(VALU_DEP_1)
	v_fmac_f32_e32 v91, v92, v91
	v_mul_f32_e32 v92, v93, v91
	s_delay_alu instid0(VALU_DEP_1) | instskip(NEXT) | instid1(VALU_DEP_1)
	v_fma_f32 v94, -v85, v92, v93
	v_fmac_f32_e32 v92, v94, v91
	s_delay_alu instid0(VALU_DEP_1) | instskip(NEXT) | instid1(VALU_DEP_1)
	v_fma_f32 v85, -v85, v92, v93
	v_div_fmas_f32 v85, v85, v91, v92
	s_delay_alu instid0(VALU_DEP_1) | instskip(NEXT) | instid1(VALU_DEP_1)
	v_div_fixup_f32 v85, v85, v83, v82
	v_fmac_f32_e32 v83, v82, v85
	s_delay_alu instid0(VALU_DEP_1) | instskip(SKIP_1) | instid1(VALU_DEP_2)
	v_div_scale_f32 v82, null, v83, v83, 1.0
	v_div_scale_f32 v93, vcc_lo, 1.0, v83, 1.0
	v_rcp_f32_e32 v91, v82
	v_nop
	s_delay_alu instid0(TRANS32_DEP_1) | instskip(NEXT) | instid1(VALU_DEP_1)
	v_fma_f32 v92, -v82, v91, 1.0
	v_fmac_f32_e32 v91, v92, v91
	s_delay_alu instid0(VALU_DEP_1) | instskip(NEXT) | instid1(VALU_DEP_1)
	v_mul_f32_e32 v92, v93, v91
	v_fma_f32 v94, -v82, v92, v93
	s_delay_alu instid0(VALU_DEP_1) | instskip(NEXT) | instid1(VALU_DEP_1)
	v_fmac_f32_e32 v92, v94, v91
	v_fma_f32 v82, -v82, v92, v93
	s_delay_alu instid0(VALU_DEP_1) | instskip(NEXT) | instid1(VALU_DEP_1)
	v_div_fmas_f32 v82, v82, v91, v92
	v_div_fixup_f32 v83, v82, v83, 1.0
	s_delay_alu instid0(VALU_DEP_1)
	v_mul_f32_e32 v82, v85, v83
	v_xor_b32_e32 v83, 0x80000000, v83
.LBB74_763:
	s_and_not1_saveexec_b32 s1, s1
	s_cbranch_execz .LBB74_765
; %bb.764:
	s_delay_alu instid0(VALU_DEP_1) | instskip(SKIP_1) | instid1(VALU_DEP_2)
	v_div_scale_f32 v85, null, v82, v82, v83
	v_div_scale_f32 v93, vcc_lo, v83, v82, v83
	v_rcp_f32_e32 v91, v85
	v_nop
	s_delay_alu instid0(TRANS32_DEP_1) | instskip(NEXT) | instid1(VALU_DEP_1)
	v_fma_f32 v92, -v85, v91, 1.0
	v_fmac_f32_e32 v91, v92, v91
	s_delay_alu instid0(VALU_DEP_1) | instskip(NEXT) | instid1(VALU_DEP_1)
	v_mul_f32_e32 v92, v93, v91
	v_fma_f32 v94, -v85, v92, v93
	s_delay_alu instid0(VALU_DEP_1) | instskip(NEXT) | instid1(VALU_DEP_1)
	v_fmac_f32_e32 v92, v94, v91
	v_fma_f32 v85, -v85, v92, v93
	s_delay_alu instid0(VALU_DEP_1) | instskip(NEXT) | instid1(VALU_DEP_1)
	v_div_fmas_f32 v85, v85, v91, v92
	v_div_fixup_f32 v85, v85, v82, v83
	s_delay_alu instid0(VALU_DEP_1) | instskip(NEXT) | instid1(VALU_DEP_1)
	v_fmac_f32_e32 v82, v83, v85
	v_div_scale_f32 v83, null, v82, v82, 1.0
	s_delay_alu instid0(VALU_DEP_1) | instskip(SKIP_1) | instid1(TRANS32_DEP_1)
	v_rcp_f32_e32 v91, v83
	v_nop
	v_fma_f32 v92, -v83, v91, 1.0
	s_delay_alu instid0(VALU_DEP_1) | instskip(SKIP_1) | instid1(VALU_DEP_1)
	v_fmac_f32_e32 v91, v92, v91
	v_div_scale_f32 v92, vcc_lo, 1.0, v82, 1.0
	v_mul_f32_e32 v93, v92, v91
	s_delay_alu instid0(VALU_DEP_1) | instskip(NEXT) | instid1(VALU_DEP_1)
	v_fma_f32 v94, -v83, v93, v92
	v_fmac_f32_e32 v93, v94, v91
	s_delay_alu instid0(VALU_DEP_1) | instskip(NEXT) | instid1(VALU_DEP_1)
	v_fma_f32 v83, -v83, v93, v92
	v_div_fmas_f32 v83, v83, v91, v93
	s_delay_alu instid0(VALU_DEP_1) | instskip(NEXT) | instid1(VALU_DEP_1)
	v_div_fixup_f32 v82, v83, v82, 1.0
	v_mul_f32_e64 v83, v85, -v82
.LBB74_765:
	s_or_b32 exec_lo, exec_lo, s1
.LBB74_766:
	s_delay_alu instid0(SALU_CYCLE_1) | instskip(NEXT) | instid1(SALU_CYCLE_1)
	s_or_b32 exec_lo, exec_lo, s0
	s_mov_b32 s0, exec_lo
	v_cmpx_ne_u32_e64 v90, v84
	s_xor_b32 s0, exec_lo, s0
	s_cbranch_execz .LBB74_772
; %bb.767:
	s_mov_b32 s1, exec_lo
	v_cmpx_eq_u32_e32 36, v90
	s_cbranch_execz .LBB74_771
; %bb.768:
	v_cmp_ne_u32_e32 vcc_lo, 36, v84
	s_xor_b32 s12, s16, -1
	s_delay_alu instid0(SALU_CYCLE_1) | instskip(NEXT) | instid1(SALU_CYCLE_1)
	s_and_b32 s13, s12, vcc_lo
	s_and_saveexec_b32 s12, s13
	s_cbranch_execz .LBB74_770
; %bb.769:
	v_ashrrev_i32_e32 v85, 31, v84
	s_delay_alu instid0(VALU_DEP_1)
	v_lshl_add_u64 v[90:91], v[84:85], 2, v[4:5]
	s_clause 0x1
	global_load_b32 v85, v[90:91], off
	global_load_b32 v89, v[4:5], off offset:144
	s_wait_loadcnt 0x1
	global_store_b32 v[4:5], v85, off offset:144
	s_wait_loadcnt 0x0
	global_store_b32 v[90:91], v89, off
.LBB74_770:
	s_wait_xcnt 0x0
	s_or_b32 exec_lo, exec_lo, s12
	v_dual_mov_b32 v90, v84 :: v_dual_mov_b32 v89, v84
.LBB74_771:
	s_or_b32 exec_lo, exec_lo, s1
.LBB74_772:
	s_and_not1_saveexec_b32 s0, s0
; %bb.773:
	v_mov_b32_e32 v90, 36
	ds_store_b64 v86, v[80:81] offset:296
; %bb.774:
	s_or_b32 exec_lo, exec_lo, s0
	s_delay_alu instid0(SALU_CYCLE_1)
	s_mov_b32 s0, exec_lo
	s_wait_storecnt_dscnt 0x0
	s_barrier_signal -1
	s_barrier_wait -1
	v_cmpx_lt_i32_e32 36, v90
	s_cbranch_execz .LBB74_776
; %bb.775:
	ds_load_b64 v[84:85], v86 offset:296
	v_pk_mul_f32 v[92:93], v[82:83], v[26:27] op_sel:[1,1] op_sel_hi:[0,1]
	s_delay_alu instid0(VALU_DEP_1) | instskip(SKIP_2) | instid1(VALU_DEP_2)
	v_pk_fma_f32 v[94:95], v[82:83], v[26:27], v[92:93] op_sel_hi:[1,0,1]
	v_pk_fma_f32 v[26:27], v[82:83], v[26:27], v[92:93] op_sel_hi:[1,0,1] neg_lo:[0,0,1] neg_hi:[0,0,1]
	s_wait_dscnt 0x0
	v_pk_mul_f32 v[82:83], v[84:85], v[94:95] op_sel:[1,1] op_sel_hi:[0,1]
	s_delay_alu instid0(VALU_DEP_1) | instskip(SKIP_1) | instid1(VALU_DEP_2)
	v_pk_fma_f32 v[92:93], v[84:85], v[26:27], v[82:83] op_sel_hi:[1,0,1]
	v_pk_fma_f32 v[82:83], v[84:85], v[26:27], v[82:83] neg_lo:[0,0,1] neg_hi:[0,0,1]
	v_dual_mov_b32 v27, v95 :: v_dual_mov_b32 v83, v93
	s_delay_alu instid0(VALU_DEP_1)
	v_pk_add_f32 v[80:81], v[80:81], v[82:83] neg_lo:[0,1] neg_hi:[0,1]
.LBB74_776:
	s_or_b32 exec_lo, exec_lo, s0
	v_lshl_add_u32 v82, v90, 3, v86
	s_barrier_signal -1
	s_barrier_wait -1
	ds_store_b64 v82, v[80:81]
	s_wait_dscnt 0x0
	s_barrier_signal -1
	s_barrier_wait -1
	ds_load_b64 v[82:83], v86 offset:296
	v_mov_b32_e32 v84, 37
	s_cmp_lt_i32 s18, 39
	s_cbranch_scc1 .LBB74_779
; %bb.777:
	v_add3_u32 v85, v87, 0, 0x130
	v_mov_b32_e32 v84, 37
	s_mov_b32 s0, 38
.LBB74_778:                             ; =>This Inner Loop Header: Depth=1
	ds_load_b64 v[86:87], v85
	s_wait_dscnt 0x1
	v_cmp_gt_f32_e32 vcc_lo, 0, v82
	v_cndmask_b32_e64 v92, v82, -v82, vcc_lo
	v_cmp_gt_f32_e32 vcc_lo, 0, v83
	v_cndmask_b32_e64 v94, v83, -v83, vcc_lo
	s_wait_dscnt 0x0
	v_cmp_gt_f32_e32 vcc_lo, 0, v86
	v_cndmask_b32_e64 v93, v86, -v86, vcc_lo
	v_cmp_gt_f32_e32 vcc_lo, 0, v87
	v_cndmask_b32_e64 v95, v87, -v87, vcc_lo
	s_delay_alu instid0(VALU_DEP_1) | instskip(NEXT) | instid1(VALU_DEP_1)
	v_pk_add_f32 v[92:93], v[92:93], v[94:95]
	v_cmp_lt_f32_e32 vcc_lo, v92, v93
	v_dual_add_nc_u32 v85, 8, v85 :: v_dual_cndmask_b32 v83, v83, v87, vcc_lo
	v_cndmask_b32_e32 v82, v82, v86, vcc_lo
	v_cndmask_b32_e64 v84, v84, s0, vcc_lo
	s_add_co_i32 s0, s0, 1
	s_delay_alu instid0(SALU_CYCLE_1)
	s_cmp_lg_u32 s18, s0
	s_cbranch_scc1 .LBB74_778
.LBB74_779:
	s_wait_dscnt 0x0
	v_cmp_eq_f32_e32 vcc_lo, 0, v82
	v_cmp_eq_f32_e64 s0, 0, v83
	s_and_b32 s0, vcc_lo, s0
	s_delay_alu instid0(SALU_CYCLE_1) | instskip(NEXT) | instid1(SALU_CYCLE_1)
	s_and_saveexec_b32 s1, s0
	s_xor_b32 s0, exec_lo, s1
; %bb.780:
	v_cmp_ne_u32_e32 vcc_lo, 0, v88
	v_cndmask_b32_e32 v88, 38, v88, vcc_lo
; %bb.781:
	s_and_not1_saveexec_b32 s0, s0
	s_cbranch_execz .LBB74_787
; %bb.782:
	v_cmp_ngt_f32_e64 s1, |v82|, |v83|
	s_and_saveexec_b32 s12, s1
	s_delay_alu instid0(SALU_CYCLE_1)
	s_xor_b32 s1, exec_lo, s12
	s_cbranch_execz .LBB74_784
; %bb.783:
	v_div_scale_f32 v85, null, v83, v83, v82
	v_div_scale_f32 v91, vcc_lo, v82, v83, v82
	s_delay_alu instid0(VALU_DEP_2) | instskip(SKIP_1) | instid1(TRANS32_DEP_1)
	v_rcp_f32_e32 v86, v85
	v_nop
	v_fma_f32 v87, -v85, v86, 1.0
	s_delay_alu instid0(VALU_DEP_1) | instskip(NEXT) | instid1(VALU_DEP_1)
	v_fmac_f32_e32 v86, v87, v86
	v_mul_f32_e32 v87, v91, v86
	s_delay_alu instid0(VALU_DEP_1) | instskip(NEXT) | instid1(VALU_DEP_1)
	v_fma_f32 v92, -v85, v87, v91
	v_fmac_f32_e32 v87, v92, v86
	s_delay_alu instid0(VALU_DEP_1) | instskip(NEXT) | instid1(VALU_DEP_1)
	v_fma_f32 v85, -v85, v87, v91
	v_div_fmas_f32 v85, v85, v86, v87
	s_delay_alu instid0(VALU_DEP_1) | instskip(NEXT) | instid1(VALU_DEP_1)
	v_div_fixup_f32 v85, v85, v83, v82
	v_fmac_f32_e32 v83, v82, v85
	s_delay_alu instid0(VALU_DEP_1) | instskip(SKIP_1) | instid1(VALU_DEP_2)
	v_div_scale_f32 v82, null, v83, v83, 1.0
	v_div_scale_f32 v91, vcc_lo, 1.0, v83, 1.0
	v_rcp_f32_e32 v86, v82
	v_nop
	s_delay_alu instid0(TRANS32_DEP_1) | instskip(NEXT) | instid1(VALU_DEP_1)
	v_fma_f32 v87, -v82, v86, 1.0
	v_fmac_f32_e32 v86, v87, v86
	s_delay_alu instid0(VALU_DEP_1) | instskip(NEXT) | instid1(VALU_DEP_1)
	v_mul_f32_e32 v87, v91, v86
	v_fma_f32 v92, -v82, v87, v91
	s_delay_alu instid0(VALU_DEP_1) | instskip(NEXT) | instid1(VALU_DEP_1)
	v_fmac_f32_e32 v87, v92, v86
	v_fma_f32 v82, -v82, v87, v91
	s_delay_alu instid0(VALU_DEP_1) | instskip(NEXT) | instid1(VALU_DEP_1)
	v_div_fmas_f32 v82, v82, v86, v87
	v_div_fixup_f32 v83, v82, v83, 1.0
	s_delay_alu instid0(VALU_DEP_1)
	v_mul_f32_e32 v82, v85, v83
	v_xor_b32_e32 v83, 0x80000000, v83
.LBB74_784:
	s_and_not1_saveexec_b32 s1, s1
	s_cbranch_execz .LBB74_786
; %bb.785:
	s_delay_alu instid0(VALU_DEP_1) | instskip(SKIP_1) | instid1(VALU_DEP_2)
	v_div_scale_f32 v85, null, v82, v82, v83
	v_div_scale_f32 v91, vcc_lo, v83, v82, v83
	v_rcp_f32_e32 v86, v85
	v_nop
	s_delay_alu instid0(TRANS32_DEP_1) | instskip(NEXT) | instid1(VALU_DEP_1)
	v_fma_f32 v87, -v85, v86, 1.0
	v_fmac_f32_e32 v86, v87, v86
	s_delay_alu instid0(VALU_DEP_1) | instskip(NEXT) | instid1(VALU_DEP_1)
	v_mul_f32_e32 v87, v91, v86
	v_fma_f32 v92, -v85, v87, v91
	s_delay_alu instid0(VALU_DEP_1) | instskip(NEXT) | instid1(VALU_DEP_1)
	v_fmac_f32_e32 v87, v92, v86
	v_fma_f32 v85, -v85, v87, v91
	s_delay_alu instid0(VALU_DEP_1) | instskip(NEXT) | instid1(VALU_DEP_1)
	v_div_fmas_f32 v85, v85, v86, v87
	v_div_fixup_f32 v85, v85, v82, v83
	s_delay_alu instid0(VALU_DEP_1) | instskip(NEXT) | instid1(VALU_DEP_1)
	v_fmac_f32_e32 v82, v83, v85
	v_div_scale_f32 v83, null, v82, v82, 1.0
	s_delay_alu instid0(VALU_DEP_1) | instskip(SKIP_1) | instid1(TRANS32_DEP_1)
	v_rcp_f32_e32 v86, v83
	v_nop
	v_fma_f32 v87, -v83, v86, 1.0
	s_delay_alu instid0(VALU_DEP_1) | instskip(SKIP_1) | instid1(VALU_DEP_1)
	v_fmac_f32_e32 v86, v87, v86
	v_div_scale_f32 v87, vcc_lo, 1.0, v82, 1.0
	v_mul_f32_e32 v91, v87, v86
	s_delay_alu instid0(VALU_DEP_1) | instskip(NEXT) | instid1(VALU_DEP_1)
	v_fma_f32 v92, -v83, v91, v87
	v_fmac_f32_e32 v91, v92, v86
	s_delay_alu instid0(VALU_DEP_1) | instskip(NEXT) | instid1(VALU_DEP_1)
	v_fma_f32 v83, -v83, v91, v87
	v_div_fmas_f32 v83, v83, v86, v91
	s_delay_alu instid0(VALU_DEP_1) | instskip(NEXT) | instid1(VALU_DEP_1)
	v_div_fixup_f32 v82, v83, v82, 1.0
	v_mul_f32_e64 v83, v85, -v82
.LBB74_786:
	s_or_b32 exec_lo, exec_lo, s1
.LBB74_787:
	s_delay_alu instid0(SALU_CYCLE_1)
	s_or_b32 exec_lo, exec_lo, s0
	v_mov_b32_e32 v86, 37
	s_mov_b32 s0, exec_lo
	v_cmpx_ne_u32_e64 v90, v84
	s_cbranch_execz .LBB74_793
; %bb.788:
	s_mov_b32 s1, exec_lo
	v_cmpx_eq_u32_e32 37, v90
	s_cbranch_execz .LBB74_792
; %bb.789:
	v_cmp_ne_u32_e32 vcc_lo, 37, v84
	s_xor_b32 s12, s16, -1
	s_delay_alu instid0(SALU_CYCLE_1) | instskip(NEXT) | instid1(SALU_CYCLE_1)
	s_and_b32 s13, s12, vcc_lo
	s_and_saveexec_b32 s12, s13
	s_cbranch_execz .LBB74_791
; %bb.790:
	v_ashrrev_i32_e32 v85, 31, v84
	s_delay_alu instid0(VALU_DEP_1)
	v_lshl_add_u64 v[86:87], v[84:85], 2, v[4:5]
	s_clause 0x1
	global_load_b32 v85, v[86:87], off
	global_load_b32 v89, v[4:5], off offset:148
	s_wait_loadcnt 0x1
	global_store_b32 v[4:5], v85, off offset:148
	s_wait_loadcnt 0x0
	global_store_b32 v[86:87], v89, off
.LBB74_791:
	s_wait_xcnt 0x0
	s_or_b32 exec_lo, exec_lo, s12
	v_dual_mov_b32 v90, v84 :: v_dual_mov_b32 v89, v84
.LBB74_792:
	s_or_b32 exec_lo, exec_lo, s1
	s_delay_alu instid0(VALU_DEP_1)
	v_mov_b32_e32 v86, v90
.LBB74_793:
	s_or_b32 exec_lo, exec_lo, s0
	s_delay_alu instid0(VALU_DEP_1)
	v_ashrrev_i32_e32 v87, 31, v86
	s_mov_b32 s0, exec_lo
	s_wait_storecnt 0x0
	s_barrier_signal -1
	s_barrier_wait -1
	s_barrier_signal -1
	s_barrier_wait -1
	v_cmpx_gt_i32_e32 38, v86
	s_cbranch_execz .LBB74_795
; %bb.794:
	v_mul_u64_e32 v[4:5], s[10:11], v[2:3]
	v_add3_u32 v84, v89, s17, 1
	s_delay_alu instid0(VALU_DEP_2) | instskip(NEXT) | instid1(VALU_DEP_1)
	v_lshl_add_u64 v[4:5], v[4:5], 2, s[6:7]
	v_lshl_add_u64 v[4:5], s[8:9], 2, v[4:5]
	s_delay_alu instid0(VALU_DEP_1)
	v_lshl_add_u64 v[4:5], v[86:87], 2, v[4:5]
	global_store_b32 v[4:5], v84, off
.LBB74_795:
	s_wait_xcnt 0x0
	s_or_b32 exec_lo, exec_lo, s0
	s_delay_alu instid0(SALU_CYCLE_1)
	s_mov_b32 s1, exec_lo
	v_cmpx_eq_u32_e32 0, v86
	s_cbranch_execz .LBB74_798
; %bb.796:
	s_wait_kmcnt 0x0
	v_lshl_add_u64 v[2:3], v[2:3], 2, s[4:5]
	v_cmp_ne_u32_e64 s0, 0, v88
	global_load_b32 v4, v[2:3], off
	s_wait_loadcnt 0x0
	v_cmp_eq_u32_e32 vcc_lo, 0, v4
	s_and_b32 s0, vcc_lo, s0
	s_wait_xcnt 0x0
	s_and_b32 exec_lo, exec_lo, s0
	s_cbranch_execz .LBB74_798
; %bb.797:
	v_add_nc_u32_e32 v4, s17, v88
	global_store_b32 v[2:3], v4, off
.LBB74_798:
	s_wait_xcnt 0x0
	s_or_b32 exec_lo, exec_lo, s1
	v_add3_u32 v4, s2, s2, v86
	v_pk_mul_f32 v[2:3], v[82:83], v[80:81] op_sel:[1,1] op_sel_hi:[0,1]
	v_cmp_lt_i32_e32 vcc_lo, 37, v86
	v_lshl_add_u64 v[86:87], v[86:87], 3, v[0:1]
	s_delay_alu instid0(VALU_DEP_4) | instskip(NEXT) | instid1(VALU_DEP_4)
	v_add_nc_u32_e32 v84, s2, v4
	v_pk_fma_f32 v[104:105], v[82:83], v[80:81], v[2:3] op_sel_hi:[1,0,1]
	v_pk_fma_f32 v[2:3], v[82:83], v[80:81], v[2:3] neg_lo:[0,0,1] neg_hi:[0,0,1]
	global_store_b64 v[86:87], v[78:79], off
	s_wait_xcnt 0x0
	v_lshl_add_u64 v[86:87], s[2:3], 3, v[86:87]
	v_dual_cndmask_b32 v3, v81, v105 :: v_dual_add_nc_u32 v88, s2, v84
	v_dual_cndmask_b32 v2, v80, v2 :: v_dual_ashrrev_i32 v5, 31, v4
	s_delay_alu instid0(VALU_DEP_2) | instskip(NEXT) | instid1(VALU_DEP_2)
	v_add_nc_u32_e32 v90, s2, v88
	v_lshl_add_u64 v[4:5], v[4:5], 3, v[0:1]
	s_delay_alu instid0(VALU_DEP_2) | instskip(NEXT) | instid1(VALU_DEP_1)
	v_add_nc_u32_e32 v92, s2, v90
	v_add_nc_u32_e32 v94, s2, v92
	s_delay_alu instid0(VALU_DEP_1) | instskip(NEXT) | instid1(VALU_DEP_1)
	v_add_nc_u32_e32 v96, s2, v94
	v_add_nc_u32_e32 v98, s2, v96
	s_delay_alu instid0(VALU_DEP_1) | instskip(SKIP_1) | instid1(VALU_DEP_1)
	v_dual_ashrrev_i32 v93, 31, v92 :: v_dual_ashrrev_i32 v99, 31, v98
	v_dual_add_nc_u32 v100, s2, v98 :: v_dual_ashrrev_i32 v89, 31, v88
	v_dual_ashrrev_i32 v91, 31, v90 :: v_dual_add_nc_u32 v102, s2, v100
	s_delay_alu instid0(VALU_DEP_2) | instskip(NEXT) | instid1(VALU_DEP_2)
	v_lshl_add_u64 v[88:89], v[88:89], 3, v[0:1]
	v_dual_ashrrev_i32 v97, 31, v96 :: v_dual_ashrrev_i32 v103, 31, v102
	v_add_nc_u32_e32 v82, s2, v102
	v_ashrrev_i32_e32 v95, 31, v94
	s_delay_alu instid0(VALU_DEP_2) | instskip(NEXT) | instid1(VALU_DEP_1)
	v_dual_add_nc_u32 v80, s2, v82 :: v_dual_ashrrev_i32 v83, 31, v82
	v_add_nc_u32_e32 v78, s2, v80
	v_ashrrev_i32_e32 v85, 31, v84
	s_delay_alu instid0(VALU_DEP_2) | instskip(SKIP_1) | instid1(VALU_DEP_3)
	v_dual_ashrrev_i32 v101, 31, v100 :: v_dual_ashrrev_i32 v79, 31, v78
	v_add_nc_u32_e32 v104, s2, v78
	v_lshl_add_u64 v[84:85], v[84:85], 3, v[0:1]
	s_clause 0x3
	global_store_b64 v[86:87], v[76:77], off
	global_store_b64 v[4:5], v[74:75], off
	global_store_b64 v[84:85], v[72:73], off
	global_store_b64 v[88:89], v[60:61], off
	s_wait_xcnt 0x2
	v_add_nc_u32_e32 v4, s2, v104
	s_wait_xcnt 0x1
	v_lshl_add_u64 v[72:73], v[90:91], 3, v[0:1]
	v_lshl_add_u64 v[74:75], v[92:93], 3, v[0:1]
	;; [unrolled: 1-line block ×4, first 2 shown]
	s_wait_xcnt 0x0
	v_add_nc_u32_e32 v60, s2, v4
	s_clause 0x3
	global_store_b64 v[72:73], v[16:17], off
	global_store_b64 v[74:75], v[18:19], off
	;; [unrolled: 1-line block ×4, first 2 shown]
	s_wait_xcnt 0x2
	v_lshl_add_u64 v[18:19], v[98:99], 3, v[0:1]
	s_wait_xcnt 0x0
	v_lshl_add_u64 v[62:63], v[100:101], 3, v[0:1]
	v_lshl_add_u64 v[72:73], v[102:103], 3, v[0:1]
	v_add_nc_u32_e32 v86, s2, v60
	v_lshl_add_u64 v[74:75], v[82:83], 3, v[0:1]
	s_clause 0x3
	global_store_b64 v[18:19], v[22:23], off
	global_store_b64 v[62:63], v[24:25], off
	;; [unrolled: 1-line block ×4, first 2 shown]
	v_dual_ashrrev_i32 v105, 31, v104 :: v_dual_add_nc_u32 v14, s2, v86
	v_ashrrev_i32_e32 v81, 31, v80
	v_ashrrev_i32_e32 v5, 31, v4
	s_wait_xcnt 0x2
	v_lshl_add_u64 v[24:25], v[78:79], 3, v[0:1]
	v_lshl_add_u64 v[62:63], v[104:105], 3, v[0:1]
	v_dual_add_nc_u32 v16, s2, v14 :: v_dual_ashrrev_i32 v15, 31, v14
	v_lshl_add_u64 v[22:23], v[80:81], 3, v[0:1]
	v_lshl_add_u64 v[4:5], v[4:5], 3, v[0:1]
	s_clause 0x3
	global_store_b64 v[22:23], v[30:31], off
	global_store_b64 v[24:25], v[32:33], off
	;; [unrolled: 1-line block ×4, first 2 shown]
	v_dual_add_nc_u32 v76, s2, v16 :: v_dual_ashrrev_i32 v87, 31, v86
	v_ashrrev_i32_e32 v61, 31, v60
	v_ashrrev_i32_e32 v17, 31, v16
	v_lshl_add_u64 v[14:15], v[14:15], 3, v[0:1]
	s_delay_alu instid0(VALU_DEP_4)
	v_add_nc_u32_e32 v18, s2, v76
	s_wait_xcnt 0x1
	v_lshl_add_u64 v[28:29], v[86:87], 3, v[0:1]
	v_lshl_add_u64 v[24:25], v[60:61], 3, v[0:1]
	;; [unrolled: 1-line block ×3, first 2 shown]
	s_clause 0x3
	global_store_b64 v[24:25], v[50:51], off
	global_store_b64 v[28:29], v[52:53], off
	global_store_b64 v[14:15], v[48:49], off
	global_store_b64 v[16:17], v[68:69], off
	v_dual_add_nc_u32 v20, s2, v18 :: v_dual_ashrrev_i32 v19, 31, v18
	s_delay_alu instid0(VALU_DEP_1) | instskip(NEXT) | instid1(VALU_DEP_2)
	v_add_nc_u32_e32 v64, s2, v20
	v_lshl_add_u64 v[18:19], v[18:19], 3, v[0:1]
	s_wait_xcnt 0x4
	s_delay_alu instid0(VALU_DEP_2) | instskip(NEXT) | instid1(VALU_DEP_1)
	v_add_nc_u32_e32 v4, s2, v64
	v_add_nc_u32_e32 v22, s2, v4
	s_delay_alu instid0(VALU_DEP_1) | instskip(SKIP_2) | instid1(VALU_DEP_2)
	v_dual_ashrrev_i32 v77, 31, v76 :: v_dual_ashrrev_i32 v23, 31, v22
	v_dual_add_nc_u32 v30, s2, v22 :: v_dual_ashrrev_i32 v21, 31, v20
	s_wait_xcnt 0x3
	v_lshl_add_u64 v[24:25], v[76:77], 3, v[0:1]
	s_delay_alu instid0(VALU_DEP_3)
	v_lshl_add_u64 v[22:23], v[22:23], 3, v[0:1]
	s_wait_xcnt 0x1
	v_dual_add_nc_u32 v14, s2, v30 :: v_dual_ashrrev_i32 v65, 31, v64
	v_ashrrev_i32_e32 v31, 31, v30
	v_lshl_add_u64 v[20:21], v[20:21], 3, v[0:1]
	s_wait_xcnt 0x0
	s_delay_alu instid0(VALU_DEP_3)
	v_dual_add_nc_u32 v16, s2, v14 :: v_dual_ashrrev_i32 v15, 31, v14
	v_lshl_add_u64 v[28:29], v[64:65], 3, v[0:1]
	s_clause 0x3
	global_store_b64 v[24:25], v[42:43], off
	global_store_b64 v[18:19], v[44:45], off
	;; [unrolled: 1-line block ×4, first 2 shown]
	v_add_nc_u32_e32 v32, s2, v16
	s_wait_xcnt 0x3
	v_lshl_add_u64 v[24:25], v[30:31], 3, v[0:1]
	v_lshl_add_u64 v[14:15], v[14:15], 3, v[0:1]
	s_wait_xcnt 0x2
	v_dual_add_nc_u32 v18, s2, v32 :: v_dual_ashrrev_i32 v33, 31, v32
	s_wait_xcnt 0x1
	s_delay_alu instid0(VALU_DEP_1) | instskip(SKIP_1) | instid1(VALU_DEP_2)
	v_dual_ashrrev_i32 v5, 31, v4 :: v_dual_add_nc_u32 v20, s2, v18
	v_ashrrev_i32_e32 v19, 31, v18
	v_lshl_add_u64 v[4:5], v[4:5], 3, v[0:1]
	s_clause 0x3
	global_store_b64 v[4:5], v[36:37], off
	global_store_b64 v[22:23], v[38:39], off
	global_store_b64 v[24:25], v[34:35], off
	global_store_b64 v[14:15], v[58:59], off
	s_wait_xcnt 0x4
	v_dual_add_nc_u32 v28, s2, v20 :: v_dual_ashrrev_i32 v21, 31, v20
	s_wait_xcnt 0x2
	v_lshl_add_u64 v[22:23], v[32:33], 3, v[0:1]
	v_lshl_add_u64 v[18:19], v[18:19], 3, v[0:1]
	s_delay_alu instid0(VALU_DEP_3) | instskip(SKIP_3) | instid1(VALU_DEP_3)
	v_add_nc_u32_e32 v4, s2, v28
	v_lshl_add_u64 v[20:21], v[20:21], 3, v[0:1]
	v_ashrrev_i32_e32 v29, 31, v28
	s_wait_xcnt 0x0
	v_add_nc_u32_e32 v14, s2, v4
	s_delay_alu instid0(VALU_DEP_1) | instskip(SKIP_1) | instid1(VALU_DEP_2)
	v_dual_add_nc_u32 v24, s2, v14 :: v_dual_ashrrev_i32 v5, 31, v4
	v_dual_ashrrev_i32 v17, 31, v16 :: v_dual_ashrrev_i32 v15, 31, v14
	v_ashrrev_i32_e32 v25, 31, v24
	s_delay_alu instid0(VALU_DEP_3) | instskip(NEXT) | instid1(VALU_DEP_3)
	v_lshl_add_u64 v[4:5], v[4:5], 3, v[0:1]
	v_lshl_add_u64 v[16:17], v[16:17], 3, v[0:1]
	s_clause 0x3
	global_store_b64 v[16:17], v[10:11], off
	global_store_b64 v[22:23], v[12:13], off
	;; [unrolled: 1-line block ×4, first 2 shown]
	s_wait_xcnt 0x1
	v_add_nc_u32_e32 v8, s2, v24
	v_lshl_add_u64 v[10:11], v[28:29], 3, v[0:1]
	v_lshl_add_u64 v[12:13], v[14:15], 3, v[0:1]
	;; [unrolled: 1-line block ×3, first 2 shown]
	s_delay_alu instid0(VALU_DEP_4) | instskip(NEXT) | instid1(VALU_DEP_1)
	v_ashrrev_i32_e32 v9, 31, v8
	v_lshl_add_u64 v[0:1], v[8:9], 3, v[0:1]
	s_clause 0x4
	global_store_b64 v[10:11], v[6:7], off
	global_store_b64 v[4:5], v[54:55], off
	;; [unrolled: 1-line block ×5, first 2 shown]
.LBB74_799:
	s_sendmsg sendmsg(MSG_DEALLOC_VGPRS)
	s_endpgm
	.section	.rodata,"a",@progbits
	.p2align	6, 0x0
	.amdhsa_kernel _ZN9rocsolver6v33100L18getf2_small_kernelILi38E19rocblas_complex_numIfEiiPS3_EEvT1_T3_lS5_lPS5_llPT2_S5_S5_S7_l
		.amdhsa_group_segment_fixed_size 0
		.amdhsa_private_segment_fixed_size 0
		.amdhsa_kernarg_size 352
		.amdhsa_user_sgpr_count 2
		.amdhsa_user_sgpr_dispatch_ptr 0
		.amdhsa_user_sgpr_queue_ptr 0
		.amdhsa_user_sgpr_kernarg_segment_ptr 1
		.amdhsa_user_sgpr_dispatch_id 0
		.amdhsa_user_sgpr_kernarg_preload_length 0
		.amdhsa_user_sgpr_kernarg_preload_offset 0
		.amdhsa_user_sgpr_private_segment_size 0
		.amdhsa_wavefront_size32 1
		.amdhsa_uses_dynamic_stack 0
		.amdhsa_enable_private_segment 0
		.amdhsa_system_sgpr_workgroup_id_x 1
		.amdhsa_system_sgpr_workgroup_id_y 1
		.amdhsa_system_sgpr_workgroup_id_z 0
		.amdhsa_system_sgpr_workgroup_info 0
		.amdhsa_system_vgpr_workitem_id 1
		.amdhsa_next_free_vgpr 112
		.amdhsa_next_free_sgpr 19
		.amdhsa_named_barrier_count 0
		.amdhsa_reserve_vcc 1
		.amdhsa_float_round_mode_32 0
		.amdhsa_float_round_mode_16_64 0
		.amdhsa_float_denorm_mode_32 3
		.amdhsa_float_denorm_mode_16_64 3
		.amdhsa_fp16_overflow 0
		.amdhsa_memory_ordered 1
		.amdhsa_forward_progress 1
		.amdhsa_inst_pref_size 255
		.amdhsa_round_robin_scheduling 0
		.amdhsa_exception_fp_ieee_invalid_op 0
		.amdhsa_exception_fp_denorm_src 0
		.amdhsa_exception_fp_ieee_div_zero 0
		.amdhsa_exception_fp_ieee_overflow 0
		.amdhsa_exception_fp_ieee_underflow 0
		.amdhsa_exception_fp_ieee_inexact 0
		.amdhsa_exception_int_div_zero 0
	.end_amdhsa_kernel
	.section	.text._ZN9rocsolver6v33100L18getf2_small_kernelILi38E19rocblas_complex_numIfEiiPS3_EEvT1_T3_lS5_lPS5_llPT2_S5_S5_S7_l,"axG",@progbits,_ZN9rocsolver6v33100L18getf2_small_kernelILi38E19rocblas_complex_numIfEiiPS3_EEvT1_T3_lS5_lPS5_llPT2_S5_S5_S7_l,comdat
.Lfunc_end74:
	.size	_ZN9rocsolver6v33100L18getf2_small_kernelILi38E19rocblas_complex_numIfEiiPS3_EEvT1_T3_lS5_lPS5_llPT2_S5_S5_S7_l, .Lfunc_end74-_ZN9rocsolver6v33100L18getf2_small_kernelILi38E19rocblas_complex_numIfEiiPS3_EEvT1_T3_lS5_lPS5_llPT2_S5_S5_S7_l
                                        ; -- End function
	.set _ZN9rocsolver6v33100L18getf2_small_kernelILi38E19rocblas_complex_numIfEiiPS3_EEvT1_T3_lS5_lPS5_llPT2_S5_S5_S7_l.num_vgpr, 112
	.set _ZN9rocsolver6v33100L18getf2_small_kernelILi38E19rocblas_complex_numIfEiiPS3_EEvT1_T3_lS5_lPS5_llPT2_S5_S5_S7_l.num_agpr, 0
	.set _ZN9rocsolver6v33100L18getf2_small_kernelILi38E19rocblas_complex_numIfEiiPS3_EEvT1_T3_lS5_lPS5_llPT2_S5_S5_S7_l.numbered_sgpr, 19
	.set _ZN9rocsolver6v33100L18getf2_small_kernelILi38E19rocblas_complex_numIfEiiPS3_EEvT1_T3_lS5_lPS5_llPT2_S5_S5_S7_l.num_named_barrier, 0
	.set _ZN9rocsolver6v33100L18getf2_small_kernelILi38E19rocblas_complex_numIfEiiPS3_EEvT1_T3_lS5_lPS5_llPT2_S5_S5_S7_l.private_seg_size, 0
	.set _ZN9rocsolver6v33100L18getf2_small_kernelILi38E19rocblas_complex_numIfEiiPS3_EEvT1_T3_lS5_lPS5_llPT2_S5_S5_S7_l.uses_vcc, 1
	.set _ZN9rocsolver6v33100L18getf2_small_kernelILi38E19rocblas_complex_numIfEiiPS3_EEvT1_T3_lS5_lPS5_llPT2_S5_S5_S7_l.uses_flat_scratch, 0
	.set _ZN9rocsolver6v33100L18getf2_small_kernelILi38E19rocblas_complex_numIfEiiPS3_EEvT1_T3_lS5_lPS5_llPT2_S5_S5_S7_l.has_dyn_sized_stack, 0
	.set _ZN9rocsolver6v33100L18getf2_small_kernelILi38E19rocblas_complex_numIfEiiPS3_EEvT1_T3_lS5_lPS5_llPT2_S5_S5_S7_l.has_recursion, 0
	.set _ZN9rocsolver6v33100L18getf2_small_kernelILi38E19rocblas_complex_numIfEiiPS3_EEvT1_T3_lS5_lPS5_llPT2_S5_S5_S7_l.has_indirect_call, 0
	.section	.AMDGPU.csdata,"",@progbits
; Kernel info:
; codeLenInByte = 79144
; TotalNumSgprs: 21
; NumVgprs: 112
; ScratchSize: 0
; MemoryBound: 0
; FloatMode: 240
; IeeeMode: 1
; LDSByteSize: 0 bytes/workgroup (compile time only)
; SGPRBlocks: 0
; VGPRBlocks: 6
; NumSGPRsForWavesPerEU: 21
; NumVGPRsForWavesPerEU: 112
; NamedBarCnt: 0
; Occupancy: 9
; WaveLimiterHint : 0
; COMPUTE_PGM_RSRC2:SCRATCH_EN: 0
; COMPUTE_PGM_RSRC2:USER_SGPR: 2
; COMPUTE_PGM_RSRC2:TRAP_HANDLER: 0
; COMPUTE_PGM_RSRC2:TGID_X_EN: 1
; COMPUTE_PGM_RSRC2:TGID_Y_EN: 1
; COMPUTE_PGM_RSRC2:TGID_Z_EN: 0
; COMPUTE_PGM_RSRC2:TIDIG_COMP_CNT: 1
	.section	.text._ZN9rocsolver6v33100L23getf2_npvt_small_kernelILi38E19rocblas_complex_numIfEiiPS3_EEvT1_T3_lS5_lPT2_S5_S5_,"axG",@progbits,_ZN9rocsolver6v33100L23getf2_npvt_small_kernelILi38E19rocblas_complex_numIfEiiPS3_EEvT1_T3_lS5_lPT2_S5_S5_,comdat
	.globl	_ZN9rocsolver6v33100L23getf2_npvt_small_kernelILi38E19rocblas_complex_numIfEiiPS3_EEvT1_T3_lS5_lPT2_S5_S5_ ; -- Begin function _ZN9rocsolver6v33100L23getf2_npvt_small_kernelILi38E19rocblas_complex_numIfEiiPS3_EEvT1_T3_lS5_lPT2_S5_S5_
	.p2align	8
	.type	_ZN9rocsolver6v33100L23getf2_npvt_small_kernelILi38E19rocblas_complex_numIfEiiPS3_EEvT1_T3_lS5_lPT2_S5_S5_,@function
_ZN9rocsolver6v33100L23getf2_npvt_small_kernelILi38E19rocblas_complex_numIfEiiPS3_EEvT1_T3_lS5_lPT2_S5_S5_: ; @_ZN9rocsolver6v33100L23getf2_npvt_small_kernelILi38E19rocblas_complex_numIfEiiPS3_EEvT1_T3_lS5_lPT2_S5_S5_
; %bb.0:
	s_clause 0x1
	s_load_u16 s14, s[0:1], 0x46
	s_load_b64 s[2:3], s[0:1], 0x30
	s_bfe_u32 s4, ttmp6, 0x40010
	s_bfe_u32 s5, ttmp6, 0x40004
	s_add_co_i32 s4, s4, 1
	s_getreg_b32 s6, hwreg(HW_REG_IB_STS2, 6, 4)
	s_mul_i32 s4, ttmp7, s4
	v_bfe_u32 v154, v0, 10, 10
	s_add_co_i32 s5, s5, s4
	s_cmp_eq_u32 s6, 0
	s_cselect_b32 s4, ttmp7, s5
	s_wait_kmcnt 0x0
	v_mad_u32 v2, s4, s14, v154
	s_delay_alu instid0(VALU_DEP_1)
	v_cmp_gt_i32_e32 vcc_lo, s2, v2
	s_and_saveexec_b32 s2, vcc_lo
	s_cbranch_execz .LBB75_345
; %bb.1:
	s_clause 0x1
	s_load_b32 s12, s[0:1], 0x18
	s_load_b128 s[8:11], s[0:1], 0x8
	v_and_b32_e32 v230, 0x3ff, v0
	s_load_b128 s[4:7], s[0:1], 0x20
	s_mulk_i32 s14, 0x130
	v_mad_u32_u24 v232, 0x130, v154, 0
	v_ashrrev_i32_e32 v3, 31, v2
	s_wait_xcnt 0x0
	v_cmp_ne_u32_e64 s1, 0, v230
	v_cmp_eq_u32_e64 s0, 0, v230
	v_dual_mov_b32 v15, 0 :: v_dual_lshlrev_b32 v14, 3, v230
	s_wait_kmcnt 0x0
	v_add3_u32 v6, s12, s12, v230
	s_ashr_i32 s13, s12, 31
	v_mul_u64_e32 v[12:13], s[4:5], v[2:3]
	s_delay_alu instid0(VALU_DEP_2) | instskip(NEXT) | instid1(VALU_DEP_1)
	v_add_nc_u32_e32 v0, s12, v6
	v_add_nc_u32_e32 v4, s12, v0
	s_delay_alu instid0(VALU_DEP_1) | instskip(NEXT) | instid1(VALU_DEP_1)
	v_add_nc_u32_e32 v10, s12, v4
	v_dual_ashrrev_i32 v1, 31, v0 :: v_dual_add_nc_u32 v16, s12, v10
	v_dual_ashrrev_i32 v7, 31, v6 :: v_dual_ashrrev_i32 v5, 31, v4
	s_delay_alu instid0(VALU_DEP_2) | instskip(NEXT) | instid1(VALU_DEP_1)
	v_dual_ashrrev_i32 v11, 31, v10 :: v_dual_add_nc_u32 v8, s12, v16
	v_add_nc_u32_e32 v22, s12, v8
	s_delay_alu instid0(VALU_DEP_1) | instskip(SKIP_1) | instid1(VALU_DEP_2)
	v_add_nc_u32_e32 v24, s12, v22
	v_lshl_add_u64 v[12:13], v[12:13], 3, s[8:9]
	v_add_nc_u32_e32 v20, s12, v24
	s_delay_alu instid0(VALU_DEP_2) | instskip(NEXT) | instid1(VALU_DEP_2)
	v_lshl_add_u64 v[110:111], s[10:11], 3, v[12:13]
	v_dual_add_nc_u32 v30, s12, v20 :: v_dual_ashrrev_i32 v21, 31, v20
	s_delay_alu instid0(VALU_DEP_2) | instskip(SKIP_2) | instid1(VALU_DEP_4)
	v_add_nc_u64_e32 v[18:19], v[110:111], v[14:15]
	v_lshl_add_u64 v[12:13], v[0:1], 3, v[110:111]
	v_lshl_add_u64 v[0:1], v[10:11], 3, v[110:111]
	v_dual_add_nc_u32 v32, s12, v30 :: v_dual_ashrrev_i32 v9, 31, v8
	v_ashrrev_i32_e32 v23, 31, v22
	v_lshl_add_u64 v[14:15], v[4:5], 3, v[110:111]
	s_delay_alu instid0(VALU_DEP_3) | instskip(NEXT) | instid1(VALU_DEP_4)
	v_dual_ashrrev_i32 v31, 31, v30 :: v_dual_add_nc_u32 v42, s12, v32
	v_lshl_add_u64 v[8:9], v[8:9], 3, v[110:111]
	s_delay_alu instid0(VALU_DEP_4)
	v_lshl_add_u64 v[10:11], v[22:23], 3, v[110:111]
	v_lshl_add_u64 v[6:7], v[6:7], 3, v[110:111]
	;; [unrolled: 1-line block ×3, first 2 shown]
	v_add_nc_u32_e32 v48, s12, v42
	v_lshl_add_u64 v[30:31], v[30:31], 3, v[110:111]
	scratch_store_b64 off, v[0:1], off      ; 8-byte Folded Spill
	global_load_b64 v[28:29], v[14:15], off
	v_lshl_add_u64 v[34:35], s[12:13], 3, v[18:19]
	v_add_nc_u32_e32 v50, s12, v48
	v_dual_ashrrev_i32 v17, 31, v16 :: v_dual_ashrrev_i32 v43, 31, v42
	s_delay_alu instid0(VALU_DEP_2) | instskip(NEXT) | instid1(VALU_DEP_2)
	v_add_nc_u32_e32 v52, s12, v50
	v_lshl_add_u64 v[4:5], v[16:17], 3, v[110:111]
	s_delay_alu instid0(VALU_DEP_3) | instskip(NEXT) | instid1(VALU_DEP_3)
	v_lshl_add_u64 v[42:43], v[42:43], 3, v[110:111]
	v_dual_ashrrev_i32 v51, 31, v50 :: v_dual_add_nc_u32 v58, s12, v52
	v_ashrrev_i32_e32 v25, 31, v24
	s_delay_alu instid0(VALU_DEP_2) | instskip(NEXT) | instid1(VALU_DEP_3)
	v_lshl_add_u64 v[50:51], v[50:51], 3, v[110:111]
	v_add_nc_u32_e32 v60, s12, v58
	s_delay_alu instid0(VALU_DEP_3)
	v_lshl_add_u64 v[16:17], v[24:25], 3, v[110:111]
	s_clause 0xa
	global_load_b64 v[24:25], v[0:1], off
	global_load_b64 v[26:27], v[4:5], off
	;; [unrolled: 1-line block ×11, first 2 shown]
	s_wait_xcnt 0xa
	v_dual_add_nc_u32 v62, s12, v60 :: v_dual_lshlrev_b32 v0, 3, v154
	s_delay_alu instid0(VALU_DEP_1) | instskip(SKIP_2) | instid1(VALU_DEP_4)
	v_add_nc_u32_e32 v64, s12, v62
	v_ashrrev_i32_e32 v59, 31, v58
	v_ashrrev_i32_e32 v63, 31, v62
	v_add3_u32 v231, 0, s14, v0
	s_delay_alu instid0(VALU_DEP_4)
	v_add_nc_u32_e32 v66, s12, v64
	v_ashrrev_i32_e32 v33, 31, v32
	v_ashrrev_i32_e32 v61, 31, v60
	v_lshl_add_u64 v[58:59], v[58:59], 3, v[110:111]
	v_lshl_add_u64 v[62:63], v[62:63], 3, v[110:111]
	v_dual_add_nc_u32 v68, s12, v66 :: v_dual_ashrrev_i32 v67, 31, v66
	v_lshl_add_u64 v[32:33], v[32:33], 3, v[110:111]
	v_lshl_add_u64 v[60:61], v[60:61], 3, v[110:111]
	s_delay_alu instid0(VALU_DEP_3) | instskip(SKIP_2) | instid1(VALU_DEP_3)
	v_add_nc_u32_e32 v70, s12, v68
	v_ashrrev_i32_e32 v49, 31, v48
	v_lshl_add_u64 v[66:67], v[66:67], 3, v[110:111]
	v_dual_add_nc_u32 v72, s12, v70 :: v_dual_ashrrev_i32 v71, 31, v70
	s_delay_alu instid0(VALU_DEP_3)
	v_lshl_add_u64 v[48:49], v[48:49], 3, v[110:111]
	s_clause 0x3
	global_load_b64 v[92:93], v[32:33], off
	global_load_b64 v[90:91], v[42:43], off
	;; [unrolled: 1-line block ×4, first 2 shown]
	v_add_nc_u32_e32 v78, s12, v72
	v_ashrrev_i32_e32 v53, 31, v52
	v_lshl_add_u64 v[70:71], v[70:71], 3, v[110:111]
	s_delay_alu instid0(VALU_DEP_3) | instskip(NEXT) | instid1(VALU_DEP_3)
	v_dual_add_nc_u32 v80, s12, v78 :: v_dual_ashrrev_i32 v79, 31, v78
	v_lshl_add_u64 v[52:53], v[52:53], 3, v[110:111]
	s_clause 0x3
	global_load_b64 v[108:109], v[52:53], off
	global_load_b64 v[106:107], v[58:59], off
	global_load_b64 v[86:87], v[60:61], off
	global_load_b64 v[104:105], v[62:63], off
	v_add_nc_u32_e32 v82, s12, v80
	v_ashrrev_i32_e32 v65, 31, v64
	v_lshl_add_u64 v[78:79], v[78:79], 3, v[110:111]
	s_delay_alu instid0(VALU_DEP_3) | instskip(NEXT) | instid1(VALU_DEP_3)
	v_dual_add_nc_u32 v84, s12, v82 :: v_dual_ashrrev_i32 v83, 31, v82
	v_lshl_add_u64 v[64:65], v[64:65], 3, v[110:111]
	s_delay_alu instid0(VALU_DEP_2) | instskip(SKIP_3) | instid1(VALU_DEP_4)
	v_add_nc_u32_e32 v94, s12, v84
	v_ashrrev_i32_e32 v69, 31, v68
	v_ashrrev_i32_e32 v81, 31, v80
	v_lshl_add_u64 v[82:83], v[82:83], 3, v[110:111]
	v_dual_add_nc_u32 v96, s12, v94 :: v_dual_ashrrev_i32 v95, 31, v94
	s_delay_alu instid0(VALU_DEP_4) | instskip(NEXT) | instid1(VALU_DEP_4)
	v_lshl_add_u64 v[68:69], v[68:69], 3, v[110:111]
	v_lshl_add_u64 v[80:81], v[80:81], 3, v[110:111]
	s_clause 0x3
	global_load_b64 v[130:131], v[64:65], off
	global_load_b64 v[128:129], v[66:67], off
	;; [unrolled: 1-line block ×4, first 2 shown]
	v_add_nc_u32_e32 v98, s12, v96
	v_ashrrev_i32_e32 v73, 31, v72
	v_lshl_add_u64 v[94:95], v[94:95], 3, v[110:111]
	s_delay_alu instid0(VALU_DEP_3) | instskip(NEXT) | instid1(VALU_DEP_3)
	v_dual_add_nc_u32 v100, s12, v98 :: v_dual_ashrrev_i32 v99, 31, v98
	v_lshl_add_u64 v[72:73], v[72:73], 3, v[110:111]
	s_clause 0x3
	global_load_b64 v[144:145], v[72:73], off
	global_load_b64 v[142:143], v[78:79], off
	;; [unrolled: 1-line block ×4, first 2 shown]
	v_add_nc_u32_e32 v118, s12, v100
	v_ashrrev_i32_e32 v85, 31, v84
	v_lshl_add_u64 v[98:99], v[98:99], 3, v[110:111]
	s_delay_alu instid0(VALU_DEP_3) | instskip(NEXT) | instid1(VALU_DEP_3)
	v_dual_add_nc_u32 v120, s12, v118 :: v_dual_ashrrev_i32 v119, 31, v118
	v_lshl_add_u64 v[84:85], v[84:85], 3, v[110:111]
	s_delay_alu instid0(VALU_DEP_2)
	v_add_nc_u32_e32 v122, s12, v120
	v_ashrrev_i32_e32 v97, 31, v96
	v_ashrrev_i32_e32 v101, 31, v100
	;; [unrolled: 1-line block ×3, first 2 shown]
	v_lshl_add_u64 v[118:119], v[118:119], 3, v[110:111]
	v_dual_add_nc_u32 v124, s12, v122 :: v_dual_ashrrev_i32 v123, 31, v122
	s_delay_alu instid0(VALU_DEP_4) | instskip(SKIP_2) | instid1(VALU_DEP_4)
	v_lshl_add_u64 v[100:101], v[100:101], 3, v[110:111]
	v_lshl_add_u64 v[96:97], v[96:97], 3, v[110:111]
	;; [unrolled: 1-line block ×3, first 2 shown]
	v_dual_add_nc_u32 v132, s12, v124 :: v_dual_ashrrev_i32 v125, 31, v124
	v_lshl_add_u64 v[122:123], v[122:123], 3, v[110:111]
	s_clause 0x3
	global_load_b64 v[148:149], v[84:85], off
	global_load_b64 v[114:115], v[94:95], off
	;; [unrolled: 1-line block ×4, first 2 shown]
	v_ashrrev_i32_e32 v133, 31, v132
	v_lshl_add_u64 v[124:125], v[124:125], 3, v[110:111]
	s_delay_alu instid0(VALU_DEP_2)
	v_lshl_add_u64 v[110:111], v[132:133], 3, v[110:111]
	s_clause 0x5
	global_load_b64 v[134:135], v[100:101], off
	global_load_b64 v[132:133], v[118:119], off
	;; [unrolled: 1-line block ×6, first 2 shown]
	s_wait_xcnt 0x0
	s_and_saveexec_b32 s4, s0
	s_cbranch_execz .LBB75_8
; %bb.2:
	s_wait_loadcnt 0x21
	ds_store_b64 v231, v[54:55]
	s_wait_loadcnt 0x1f
	ds_store_2addr_b64 v232, v[56:57], v[46:47] offset0:1 offset1:2
	s_wait_loadcnt 0x1e
	ds_store_2addr_b64 v232, v[44:45], v[28:29] offset0:3 offset1:4
	ds_store_2addr_b64 v232, v[24:25], v[26:27] offset0:5 offset1:6
	s_wait_loadcnt 0x1d
	ds_store_2addr_b64 v232, v[22:23], v[40:41] offset0:7 offset1:8
	s_wait_loadcnt 0x1b
	;; [unrolled: 2-line block ×16, first 2 shown]
	ds_store_b64 v232, v[152:153] offset:296
	ds_load_b64 v[154:155], v231
	s_wait_dscnt 0x0
	v_cmp_neq_f32_e32 vcc_lo, 0, v154
	v_cmp_neq_f32_e64 s2, 0, v155
	s_or_b32 s2, vcc_lo, s2
	s_delay_alu instid0(SALU_CYCLE_1)
	s_and_b32 exec_lo, exec_lo, s2
	s_cbranch_execz .LBB75_8
; %bb.3:
	v_cmp_ngt_f32_e64 s2, |v154|, |v155|
                                        ; implicit-def: $vgpr156_vgpr157
	s_and_saveexec_b32 s5, s2
	s_delay_alu instid0(SALU_CYCLE_1)
	s_xor_b32 s2, exec_lo, s5
	s_cbranch_execz .LBB75_5
; %bb.4:
	v_div_scale_f32 v0, null, v155, v155, v154
	v_div_scale_f32 v157, vcc_lo, v154, v155, v154
	s_delay_alu instid0(VALU_DEP_2) | instskip(SKIP_1) | instid1(TRANS32_DEP_1)
	v_rcp_f32_e32 v1, v0
	v_nop
	v_fma_f32 v156, -v0, v1, 1.0
	s_delay_alu instid0(VALU_DEP_1) | instskip(NEXT) | instid1(VALU_DEP_1)
	v_fmac_f32_e32 v1, v156, v1
	v_mul_f32_e32 v156, v157, v1
	s_delay_alu instid0(VALU_DEP_1) | instskip(NEXT) | instid1(VALU_DEP_1)
	v_fma_f32 v158, -v0, v156, v157
	v_fmac_f32_e32 v156, v158, v1
	s_delay_alu instid0(VALU_DEP_1) | instskip(NEXT) | instid1(VALU_DEP_1)
	v_fma_f32 v0, -v0, v156, v157
	v_div_fmas_f32 v0, v0, v1, v156
	s_delay_alu instid0(VALU_DEP_1) | instskip(NEXT) | instid1(VALU_DEP_1)
	v_div_fixup_f32 v0, v0, v155, v154
	v_fmac_f32_e32 v155, v154, v0
	s_delay_alu instid0(VALU_DEP_1) | instskip(SKIP_1) | instid1(VALU_DEP_2)
	v_div_scale_f32 v1, null, v155, v155, 1.0
	v_div_scale_f32 v157, vcc_lo, 1.0, v155, 1.0
	v_rcp_f32_e32 v154, v1
	v_nop
	s_delay_alu instid0(TRANS32_DEP_1) | instskip(NEXT) | instid1(VALU_DEP_1)
	v_fma_f32 v156, -v1, v154, 1.0
	v_fmac_f32_e32 v154, v156, v154
	s_delay_alu instid0(VALU_DEP_1) | instskip(NEXT) | instid1(VALU_DEP_1)
	v_mul_f32_e32 v156, v157, v154
	v_fma_f32 v158, -v1, v156, v157
	s_delay_alu instid0(VALU_DEP_1) | instskip(NEXT) | instid1(VALU_DEP_1)
	v_fmac_f32_e32 v156, v158, v154
	v_fma_f32 v1, -v1, v156, v157
	s_delay_alu instid0(VALU_DEP_1) | instskip(NEXT) | instid1(VALU_DEP_1)
	v_div_fmas_f32 v1, v1, v154, v156
	v_div_fixup_f32 v1, v1, v155, 1.0
                                        ; implicit-def: $vgpr154_vgpr155
	s_delay_alu instid0(VALU_DEP_1)
	v_mul_f32_e32 v156, v0, v1
	v_xor_b32_e32 v157, 0x80000000, v1
.LBB75_5:
	s_and_not1_saveexec_b32 s2, s2
	s_cbranch_execz .LBB75_7
; %bb.6:
	v_div_scale_f32 v0, null, v154, v154, v155
	v_div_scale_f32 v157, vcc_lo, v155, v154, v155
	s_delay_alu instid0(VALU_DEP_2) | instskip(SKIP_1) | instid1(TRANS32_DEP_1)
	v_rcp_f32_e32 v1, v0
	v_nop
	v_fma_f32 v156, -v0, v1, 1.0
	s_delay_alu instid0(VALU_DEP_1) | instskip(NEXT) | instid1(VALU_DEP_1)
	v_fmac_f32_e32 v1, v156, v1
	v_mul_f32_e32 v156, v157, v1
	s_delay_alu instid0(VALU_DEP_1) | instskip(NEXT) | instid1(VALU_DEP_1)
	v_fma_f32 v158, -v0, v156, v157
	v_fmac_f32_e32 v156, v158, v1
	s_delay_alu instid0(VALU_DEP_1) | instskip(NEXT) | instid1(VALU_DEP_1)
	v_fma_f32 v0, -v0, v156, v157
	v_div_fmas_f32 v0, v0, v1, v156
	s_delay_alu instid0(VALU_DEP_1) | instskip(NEXT) | instid1(VALU_DEP_1)
	v_div_fixup_f32 v0, v0, v154, v155
	v_fmac_f32_e32 v154, v155, v0
	s_delay_alu instid0(VALU_DEP_1) | instskip(NEXT) | instid1(VALU_DEP_1)
	v_div_scale_f32 v1, null, v154, v154, 1.0
	v_rcp_f32_e32 v155, v1
	v_nop
	s_delay_alu instid0(TRANS32_DEP_1) | instskip(NEXT) | instid1(VALU_DEP_1)
	v_fma_f32 v156, -v1, v155, 1.0
	v_fmac_f32_e32 v155, v156, v155
	v_div_scale_f32 v156, vcc_lo, 1.0, v154, 1.0
	s_delay_alu instid0(VALU_DEP_1) | instskip(NEXT) | instid1(VALU_DEP_1)
	v_mul_f32_e32 v157, v156, v155
	v_fma_f32 v158, -v1, v157, v156
	s_delay_alu instid0(VALU_DEP_1) | instskip(NEXT) | instid1(VALU_DEP_1)
	v_fmac_f32_e32 v157, v158, v155
	v_fma_f32 v1, -v1, v157, v156
	s_delay_alu instid0(VALU_DEP_1) | instskip(NEXT) | instid1(VALU_DEP_1)
	v_div_fmas_f32 v1, v1, v155, v157
	v_div_fixup_f32 v156, v1, v154, 1.0
	s_delay_alu instid0(VALU_DEP_1)
	v_mul_f32_e64 v157, v0, -v156
.LBB75_7:
	s_or_b32 exec_lo, exec_lo, s2
	ds_store_b64 v231, v[156:157]
.LBB75_8:
	s_or_b32 exec_lo, exec_lo, s4
	s_wait_storecnt 0x0
	s_wait_loadcnt_dscnt 0x0
	s_barrier_signal -1
	s_barrier_wait -1
	ds_load_b64 v[154:155], v231
	s_and_saveexec_b32 s2, s1
	s_cbranch_execz .LBB75_10
; %bb.9:
	ds_load_2addr_b64 v[160:163], v232 offset0:1 offset1:2
	s_wait_dscnt 0x1
	v_pk_mul_f32 v[158:159], v[154:155], v[54:55] op_sel:[1,1] op_sel_hi:[0,1]
	s_delay_alu instid0(VALU_DEP_1) | instskip(SKIP_1) | instid1(VALU_DEP_1)
	v_pk_fma_f32 v[156:157], v[154:155], v[54:55], v[158:159] op_sel_hi:[1,0,1] neg_lo:[0,0,1] neg_hi:[0,0,1]
	v_pk_fma_f32 v[158:159], v[154:155], v[54:55], v[158:159] op_sel_hi:[1,0,1]
	v_dual_mov_b32 v54, v156 :: v_dual_mov_b32 v55, v159
	s_wait_dscnt 0x0
	s_delay_alu instid0(VALU_DEP_2) | instskip(NEXT) | instid1(VALU_DEP_1)
	v_pk_mul_f32 v[164:165], v[160:161], v[158:159] op_sel:[0,1]
	v_pk_fma_f32 v[166:167], v[160:161], v[156:157], v[164:165] op_sel:[0,0,1] op_sel_hi:[1,1,0] neg_lo:[0,0,1] neg_hi:[0,0,1]
	v_pk_fma_f32 v[160:161], v[160:161], v[156:157], v[164:165] op_sel:[0,0,1] op_sel_hi:[1,0,0]
	s_delay_alu instid0(VALU_DEP_1) | instskip(SKIP_1) | instid1(VALU_DEP_1)
	v_mov_b32_e32 v167, v161
	v_pk_mul_f32 v[160:161], v[162:163], v[158:159] op_sel:[0,1]
	v_pk_fma_f32 v[164:165], v[162:163], v[156:157], v[160:161] op_sel:[0,0,1] op_sel_hi:[1,1,0] neg_lo:[0,0,1] neg_hi:[0,0,1]
	v_pk_fma_f32 v[160:161], v[162:163], v[156:157], v[160:161] op_sel:[0,0,1] op_sel_hi:[1,0,0]
	s_delay_alu instid0(VALU_DEP_1)
	v_mov_b32_e32 v165, v161
	ds_load_2addr_b64 v[160:163], v232 offset0:3 offset1:4
	v_pk_add_f32 v[56:57], v[56:57], v[166:167] neg_lo:[0,1] neg_hi:[0,1]
	v_pk_add_f32 v[46:47], v[46:47], v[164:165] neg_lo:[0,1] neg_hi:[0,1]
	s_wait_dscnt 0x0
	v_pk_mul_f32 v[164:165], v[160:161], v[158:159] op_sel:[0,1]
	s_delay_alu instid0(VALU_DEP_1) | instskip(SKIP_2) | instid1(VALU_DEP_2)
	v_pk_fma_f32 v[166:167], v[160:161], v[156:157], v[164:165] op_sel:[0,0,1] op_sel_hi:[1,1,0] neg_lo:[0,0,1] neg_hi:[0,0,1]
	v_pk_fma_f32 v[160:161], v[160:161], v[156:157], v[164:165] op_sel:[0,0,1] op_sel_hi:[1,0,0]
	v_dual_mul_f32 v164, v163, v159 :: v_dual_mov_b32 v160, v163
	v_dual_mov_b32 v167, v161 :: v_dual_mov_b32 v161, v162
	s_delay_alu instid0(VALU_DEP_2) | instskip(SKIP_1) | instid1(VALU_DEP_3)
	v_pk_fma_f32 v[164:165], v[162:163], v[54:55], v[164:165] op_sel_hi:[1,1,0] neg_lo:[0,0,1] neg_hi:[0,0,1]
	v_mul_f32_e32 v162, v163, v156
	v_pk_add_f32 v[44:45], v[44:45], v[166:167] neg_lo:[0,1] neg_hi:[0,1]
	s_delay_alu instid0(VALU_DEP_2) | instskip(NEXT) | instid1(VALU_DEP_1)
	v_pk_fma_f32 v[160:161], v[160:161], v[54:55], v[162:163] op_sel_hi:[1,1,0]
	v_mov_b32_e32 v165, v161
	ds_load_2addr_b64 v[160:163], v232 offset0:5 offset1:6
	v_pk_add_f32 v[28:29], v[28:29], v[164:165] neg_lo:[0,1] neg_hi:[0,1]
	s_wait_dscnt 0x0
	v_pk_mul_f32 v[164:165], v[160:161], v[158:159] op_sel:[0,1]
	s_delay_alu instid0(VALU_DEP_1) | instskip(SKIP_1) | instid1(VALU_DEP_1)
	v_pk_fma_f32 v[166:167], v[160:161], v[156:157], v[164:165] op_sel:[0,0,1] op_sel_hi:[1,1,0] neg_lo:[0,0,1] neg_hi:[0,0,1]
	v_pk_fma_f32 v[160:161], v[160:161], v[156:157], v[164:165] op_sel:[0,0,1] op_sel_hi:[1,0,0]
	v_mov_b32_e32 v167, v161
	v_pk_mul_f32 v[160:161], v[162:163], v[158:159] op_sel:[0,1]
	s_delay_alu instid0(VALU_DEP_1) | instskip(SKIP_1) | instid1(VALU_DEP_1)
	v_pk_fma_f32 v[164:165], v[162:163], v[156:157], v[160:161] op_sel:[0,0,1] op_sel_hi:[1,1,0] neg_lo:[0,0,1] neg_hi:[0,0,1]
	v_pk_fma_f32 v[160:161], v[162:163], v[156:157], v[160:161] op_sel:[0,0,1] op_sel_hi:[1,0,0]
	v_mov_b32_e32 v165, v161
	ds_load_2addr_b64 v[160:163], v232 offset0:7 offset1:8
	v_pk_add_f32 v[24:25], v[24:25], v[166:167] neg_lo:[0,1] neg_hi:[0,1]
	v_pk_add_f32 v[26:27], v[26:27], v[164:165] neg_lo:[0,1] neg_hi:[0,1]
	s_wait_dscnt 0x0
	v_pk_mul_f32 v[164:165], v[160:161], v[158:159] op_sel:[0,1]
	s_delay_alu instid0(VALU_DEP_1) | instskip(SKIP_1) | instid1(VALU_DEP_1)
	v_pk_fma_f32 v[166:167], v[160:161], v[156:157], v[164:165] op_sel:[0,0,1] op_sel_hi:[1,1,0] neg_lo:[0,0,1] neg_hi:[0,0,1]
	v_pk_fma_f32 v[160:161], v[160:161], v[156:157], v[164:165] op_sel:[0,0,1] op_sel_hi:[1,0,0]
	v_mov_b32_e32 v167, v161
	v_pk_mul_f32 v[160:161], v[162:163], v[158:159] op_sel:[0,1]
	s_delay_alu instid0(VALU_DEP_1) | instskip(SKIP_1) | instid1(VALU_DEP_1)
	v_pk_fma_f32 v[164:165], v[162:163], v[156:157], v[160:161] op_sel:[0,0,1] op_sel_hi:[1,1,0] neg_lo:[0,0,1] neg_hi:[0,0,1]
	v_pk_fma_f32 v[160:161], v[162:163], v[156:157], v[160:161] op_sel:[0,0,1] op_sel_hi:[1,0,0]
	v_mov_b32_e32 v165, v161
	ds_load_2addr_b64 v[160:163], v232 offset0:9 offset1:10
	v_pk_add_f32 v[22:23], v[22:23], v[166:167] neg_lo:[0,1] neg_hi:[0,1]
	v_pk_add_f32 v[40:41], v[40:41], v[164:165] neg_lo:[0,1] neg_hi:[0,1]
	s_wait_dscnt 0x0
	v_dual_mul_f32 v164, v161, v159 :: v_dual_mul_f32 v166, v161, v156
	s_delay_alu instid0(VALU_DEP_1) | instskip(NEXT) | instid1(VALU_DEP_2)
	v_pk_fma_f32 v[164:165], v[160:161], v[54:55], v[164:165] op_sel_hi:[1,1,0] neg_lo:[0,0,1] neg_hi:[0,0,1]
	v_pk_fma_f32 v[160:161], v[160:161], v[54:55], v[166:167] op_sel:[1,0,0] op_sel_hi:[0,1,0]
	s_delay_alu instid0(VALU_DEP_1) | instskip(SKIP_1) | instid1(VALU_DEP_2)
	v_mov_b32_e32 v165, v161
	v_pk_mul_f32 v[160:161], v[162:163], v[158:159] op_sel:[0,1]
	v_pk_add_f32 v[36:37], v[36:37], v[164:165] neg_lo:[0,1] neg_hi:[0,1]
	s_delay_alu instid0(VALU_DEP_2) | instskip(SKIP_1) | instid1(VALU_DEP_1)
	v_pk_fma_f32 v[164:165], v[162:163], v[156:157], v[160:161] op_sel:[0,0,1] op_sel_hi:[1,1,0] neg_lo:[0,0,1] neg_hi:[0,0,1]
	v_pk_fma_f32 v[160:161], v[162:163], v[156:157], v[160:161] op_sel:[0,0,1] op_sel_hi:[1,0,0]
	v_mov_b32_e32 v165, v161
	ds_load_2addr_b64 v[160:163], v232 offset0:11 offset1:12
	v_pk_add_f32 v[38:39], v[38:39], v[164:165] neg_lo:[0,1] neg_hi:[0,1]
	s_wait_dscnt 0x0
	v_pk_mul_f32 v[164:165], v[160:161], v[158:159] op_sel:[0,1]
	s_delay_alu instid0(VALU_DEP_1) | instskip(SKIP_1) | instid1(VALU_DEP_1)
	v_pk_fma_f32 v[166:167], v[160:161], v[156:157], v[164:165] op_sel:[0,0,1] op_sel_hi:[1,1,0] neg_lo:[0,0,1] neg_hi:[0,0,1]
	v_pk_fma_f32 v[160:161], v[160:161], v[156:157], v[164:165] op_sel:[0,0,1] op_sel_hi:[1,0,0]
	v_mov_b32_e32 v167, v161
	v_pk_mul_f32 v[160:161], v[162:163], v[158:159] op_sel:[0,1]
	s_delay_alu instid0(VALU_DEP_2) | instskip(NEXT) | instid1(VALU_DEP_2)
	v_pk_add_f32 v[76:77], v[76:77], v[166:167] neg_lo:[0,1] neg_hi:[0,1]
	v_pk_fma_f32 v[164:165], v[162:163], v[156:157], v[160:161] op_sel:[0,0,1] op_sel_hi:[1,1,0] neg_lo:[0,0,1] neg_hi:[0,0,1]
	v_pk_fma_f32 v[160:161], v[162:163], v[156:157], v[160:161] op_sel:[0,0,1] op_sel_hi:[1,0,0]
	s_delay_alu instid0(VALU_DEP_1) | instskip(SKIP_4) | instid1(VALU_DEP_1)
	v_mov_b32_e32 v165, v161
	ds_load_2addr_b64 v[160:163], v232 offset0:13 offset1:14
	v_pk_add_f32 v[92:93], v[92:93], v[164:165] neg_lo:[0,1] neg_hi:[0,1]
	s_wait_dscnt 0x0
	v_pk_mul_f32 v[164:165], v[160:161], v[158:159] op_sel:[0,1]
	v_pk_fma_f32 v[166:167], v[160:161], v[156:157], v[164:165] op_sel:[0,0,1] op_sel_hi:[1,1,0] neg_lo:[0,0,1] neg_hi:[0,0,1]
	v_pk_fma_f32 v[160:161], v[160:161], v[156:157], v[164:165] op_sel:[0,0,1] op_sel_hi:[1,0,0]
	v_dual_mul_f32 v164, v163, v159 :: v_dual_mov_b32 v160, v163
	s_delay_alu instid0(VALU_DEP_2) | instskip(NEXT) | instid1(VALU_DEP_2)
	v_dual_mov_b32 v167, v161 :: v_dual_mov_b32 v161, v162
	v_pk_fma_f32 v[164:165], v[162:163], v[54:55], v[164:165] op_sel_hi:[1,1,0] neg_lo:[0,0,1] neg_hi:[0,0,1]
	v_mul_f32_e32 v162, v163, v156
	s_delay_alu instid0(VALU_DEP_3) | instskip(NEXT) | instid1(VALU_DEP_2)
	v_pk_add_f32 v[90:91], v[90:91], v[166:167] neg_lo:[0,1] neg_hi:[0,1]
	v_pk_fma_f32 v[160:161], v[160:161], v[54:55], v[162:163] op_sel_hi:[1,1,0]
	s_delay_alu instid0(VALU_DEP_1) | instskip(SKIP_4) | instid1(VALU_DEP_1)
	v_mov_b32_e32 v165, v161
	ds_load_2addr_b64 v[160:163], v232 offset0:15 offset1:16
	v_pk_add_f32 v[74:75], v[74:75], v[164:165] neg_lo:[0,1] neg_hi:[0,1]
	s_wait_dscnt 0x0
	v_pk_mul_f32 v[164:165], v[160:161], v[158:159] op_sel:[0,1]
	v_pk_fma_f32 v[166:167], v[160:161], v[156:157], v[164:165] op_sel:[0,0,1] op_sel_hi:[1,1,0] neg_lo:[0,0,1] neg_hi:[0,0,1]
	v_pk_fma_f32 v[160:161], v[160:161], v[156:157], v[164:165] op_sel:[0,0,1] op_sel_hi:[1,0,0]
	s_delay_alu instid0(VALU_DEP_1) | instskip(SKIP_1) | instid1(VALU_DEP_1)
	v_mov_b32_e32 v167, v161
	v_pk_mul_f32 v[160:161], v[162:163], v[158:159] op_sel:[0,1]
	v_pk_fma_f32 v[164:165], v[162:163], v[156:157], v[160:161] op_sel:[0,0,1] op_sel_hi:[1,1,0] neg_lo:[0,0,1] neg_hi:[0,0,1]
	v_pk_fma_f32 v[160:161], v[162:163], v[156:157], v[160:161] op_sel:[0,0,1] op_sel_hi:[1,0,0]
	s_delay_alu instid0(VALU_DEP_1)
	v_mov_b32_e32 v165, v161
	ds_load_2addr_b64 v[160:163], v232 offset0:17 offset1:18
	v_pk_add_f32 v[88:89], v[88:89], v[166:167] neg_lo:[0,1] neg_hi:[0,1]
	v_pk_add_f32 v[108:109], v[108:109], v[164:165] neg_lo:[0,1] neg_hi:[0,1]
	s_wait_dscnt 0x0
	v_pk_mul_f32 v[164:165], v[160:161], v[158:159] op_sel:[0,1]
	s_delay_alu instid0(VALU_DEP_1) | instskip(SKIP_1) | instid1(VALU_DEP_1)
	v_pk_fma_f32 v[166:167], v[160:161], v[156:157], v[164:165] op_sel:[0,0,1] op_sel_hi:[1,1,0] neg_lo:[0,0,1] neg_hi:[0,0,1]
	v_pk_fma_f32 v[160:161], v[160:161], v[156:157], v[164:165] op_sel:[0,0,1] op_sel_hi:[1,0,0]
	v_mov_b32_e32 v167, v161
	v_pk_mul_f32 v[160:161], v[162:163], v[158:159] op_sel:[0,1]
	s_delay_alu instid0(VALU_DEP_1) | instskip(SKIP_1) | instid1(VALU_DEP_1)
	v_pk_fma_f32 v[164:165], v[162:163], v[156:157], v[160:161] op_sel:[0,0,1] op_sel_hi:[1,1,0] neg_lo:[0,0,1] neg_hi:[0,0,1]
	v_pk_fma_f32 v[160:161], v[162:163], v[156:157], v[160:161] op_sel:[0,0,1] op_sel_hi:[1,0,0]
	v_mov_b32_e32 v165, v161
	ds_load_2addr_b64 v[160:163], v232 offset0:19 offset1:20
	v_pk_add_f32 v[106:107], v[106:107], v[166:167] neg_lo:[0,1] neg_hi:[0,1]
	v_pk_add_f32 v[86:87], v[86:87], v[164:165] neg_lo:[0,1] neg_hi:[0,1]
	s_wait_dscnt 0x0
	v_dual_mul_f32 v164, v161, v159 :: v_dual_mul_f32 v166, v161, v156
	s_delay_alu instid0(VALU_DEP_1) | instskip(NEXT) | instid1(VALU_DEP_2)
	v_pk_fma_f32 v[164:165], v[160:161], v[54:55], v[164:165] op_sel_hi:[1,1,0] neg_lo:[0,0,1] neg_hi:[0,0,1]
	v_pk_fma_f32 v[160:161], v[160:161], v[54:55], v[166:167] op_sel:[1,0,0] op_sel_hi:[0,1,0]
	s_delay_alu instid0(VALU_DEP_1) | instskip(SKIP_1) | instid1(VALU_DEP_2)
	v_mov_b32_e32 v165, v161
	v_pk_mul_f32 v[160:161], v[162:163], v[158:159] op_sel:[0,1]
	v_pk_add_f32 v[104:105], v[104:105], v[164:165] neg_lo:[0,1] neg_hi:[0,1]
	s_delay_alu instid0(VALU_DEP_2) | instskip(SKIP_1) | instid1(VALU_DEP_1)
	v_pk_fma_f32 v[164:165], v[162:163], v[156:157], v[160:161] op_sel:[0,0,1] op_sel_hi:[1,1,0] neg_lo:[0,0,1] neg_hi:[0,0,1]
	v_pk_fma_f32 v[160:161], v[162:163], v[156:157], v[160:161] op_sel:[0,0,1] op_sel_hi:[1,0,0]
	v_mov_b32_e32 v165, v161
	ds_load_2addr_b64 v[160:163], v232 offset0:21 offset1:22
	v_pk_add_f32 v[130:131], v[130:131], v[164:165] neg_lo:[0,1] neg_hi:[0,1]
	s_wait_dscnt 0x0
	v_pk_mul_f32 v[164:165], v[160:161], v[158:159] op_sel:[0,1]
	s_delay_alu instid0(VALU_DEP_1) | instskip(SKIP_1) | instid1(VALU_DEP_1)
	v_pk_fma_f32 v[166:167], v[160:161], v[156:157], v[164:165] op_sel:[0,0,1] op_sel_hi:[1,1,0] neg_lo:[0,0,1] neg_hi:[0,0,1]
	v_pk_fma_f32 v[160:161], v[160:161], v[156:157], v[164:165] op_sel:[0,0,1] op_sel_hi:[1,0,0]
	v_mov_b32_e32 v167, v161
	v_pk_mul_f32 v[160:161], v[162:163], v[158:159] op_sel:[0,1]
	s_delay_alu instid0(VALU_DEP_2) | instskip(NEXT) | instid1(VALU_DEP_2)
	v_pk_add_f32 v[128:129], v[128:129], v[166:167] neg_lo:[0,1] neg_hi:[0,1]
	v_pk_fma_f32 v[164:165], v[162:163], v[156:157], v[160:161] op_sel:[0,0,1] op_sel_hi:[1,1,0] neg_lo:[0,0,1] neg_hi:[0,0,1]
	v_pk_fma_f32 v[160:161], v[162:163], v[156:157], v[160:161] op_sel:[0,0,1] op_sel_hi:[1,0,0]
	s_delay_alu instid0(VALU_DEP_1) | instskip(SKIP_4) | instid1(VALU_DEP_1)
	v_mov_b32_e32 v165, v161
	ds_load_2addr_b64 v[160:163], v232 offset0:23 offset1:24
	v_pk_add_f32 v[102:103], v[102:103], v[164:165] neg_lo:[0,1] neg_hi:[0,1]
	s_wait_dscnt 0x0
	v_pk_mul_f32 v[164:165], v[160:161], v[158:159] op_sel:[0,1]
	v_pk_fma_f32 v[166:167], v[160:161], v[156:157], v[164:165] op_sel:[0,0,1] op_sel_hi:[1,1,0] neg_lo:[0,0,1] neg_hi:[0,0,1]
	v_pk_fma_f32 v[160:161], v[160:161], v[156:157], v[164:165] op_sel:[0,0,1] op_sel_hi:[1,0,0]
	v_dual_mul_f32 v164, v163, v159 :: v_dual_mov_b32 v160, v163
	s_delay_alu instid0(VALU_DEP_2) | instskip(NEXT) | instid1(VALU_DEP_2)
	v_dual_mov_b32 v167, v161 :: v_dual_mov_b32 v161, v162
	v_pk_fma_f32 v[164:165], v[162:163], v[54:55], v[164:165] op_sel_hi:[1,1,0] neg_lo:[0,0,1] neg_hi:[0,0,1]
	v_mul_f32_e32 v162, v163, v156
	s_delay_alu instid0(VALU_DEP_3) | instskip(NEXT) | instid1(VALU_DEP_2)
	v_pk_add_f32 v[126:127], v[126:127], v[166:167] neg_lo:[0,1] neg_hi:[0,1]
	v_pk_fma_f32 v[160:161], v[160:161], v[54:55], v[162:163] op_sel_hi:[1,1,0]
	s_delay_alu instid0(VALU_DEP_1) | instskip(SKIP_4) | instid1(VALU_DEP_1)
	v_mov_b32_e32 v165, v161
	ds_load_2addr_b64 v[160:163], v232 offset0:25 offset1:26
	v_pk_add_f32 v[144:145], v[144:145], v[164:165] neg_lo:[0,1] neg_hi:[0,1]
	s_wait_dscnt 0x0
	v_pk_mul_f32 v[164:165], v[160:161], v[158:159] op_sel:[0,1]
	v_pk_fma_f32 v[166:167], v[160:161], v[156:157], v[164:165] op_sel:[0,0,1] op_sel_hi:[1,1,0] neg_lo:[0,0,1] neg_hi:[0,0,1]
	v_pk_fma_f32 v[160:161], v[160:161], v[156:157], v[164:165] op_sel:[0,0,1] op_sel_hi:[1,0,0]
	s_delay_alu instid0(VALU_DEP_1) | instskip(SKIP_1) | instid1(VALU_DEP_1)
	v_mov_b32_e32 v167, v161
	v_pk_mul_f32 v[160:161], v[162:163], v[158:159] op_sel:[0,1]
	v_pk_fma_f32 v[164:165], v[162:163], v[156:157], v[160:161] op_sel:[0,0,1] op_sel_hi:[1,1,0] neg_lo:[0,0,1] neg_hi:[0,0,1]
	v_pk_fma_f32 v[160:161], v[162:163], v[156:157], v[160:161] op_sel:[0,0,1] op_sel_hi:[1,0,0]
	s_delay_alu instid0(VALU_DEP_1)
	v_mov_b32_e32 v165, v161
	ds_load_2addr_b64 v[160:163], v232 offset0:27 offset1:28
	v_pk_add_f32 v[142:143], v[142:143], v[166:167] neg_lo:[0,1] neg_hi:[0,1]
	v_pk_add_f32 v[150:151], v[150:151], v[164:165] neg_lo:[0,1] neg_hi:[0,1]
	s_wait_dscnt 0x0
	v_pk_mul_f32 v[164:165], v[160:161], v[158:159] op_sel:[0,1]
	s_delay_alu instid0(VALU_DEP_1) | instskip(SKIP_1) | instid1(VALU_DEP_1)
	v_pk_fma_f32 v[166:167], v[160:161], v[156:157], v[164:165] op_sel:[0,0,1] op_sel_hi:[1,1,0] neg_lo:[0,0,1] neg_hi:[0,0,1]
	v_pk_fma_f32 v[160:161], v[160:161], v[156:157], v[164:165] op_sel:[0,0,1] op_sel_hi:[1,0,0]
	v_mov_b32_e32 v167, v161
	v_pk_mul_f32 v[160:161], v[162:163], v[158:159] op_sel:[0,1]
	s_delay_alu instid0(VALU_DEP_1) | instskip(SKIP_1) | instid1(VALU_DEP_1)
	v_pk_fma_f32 v[164:165], v[162:163], v[156:157], v[160:161] op_sel:[0,0,1] op_sel_hi:[1,1,0] neg_lo:[0,0,1] neg_hi:[0,0,1]
	v_pk_fma_f32 v[160:161], v[162:163], v[156:157], v[160:161] op_sel:[0,0,1] op_sel_hi:[1,0,0]
	v_mov_b32_e32 v165, v161
	ds_load_2addr_b64 v[160:163], v232 offset0:29 offset1:30
	v_pk_add_f32 v[140:141], v[140:141], v[166:167] neg_lo:[0,1] neg_hi:[0,1]
	v_pk_add_f32 v[148:149], v[148:149], v[164:165] neg_lo:[0,1] neg_hi:[0,1]
	s_wait_dscnt 0x0
	v_dual_mul_f32 v164, v161, v159 :: v_dual_mul_f32 v166, v161, v156
	s_delay_alu instid0(VALU_DEP_1) | instskip(NEXT) | instid1(VALU_DEP_2)
	v_pk_fma_f32 v[164:165], v[160:161], v[54:55], v[164:165] op_sel_hi:[1,1,0] neg_lo:[0,0,1] neg_hi:[0,0,1]
	v_pk_fma_f32 v[160:161], v[160:161], v[54:55], v[166:167] op_sel:[1,0,0] op_sel_hi:[0,1,0]
	s_delay_alu instid0(VALU_DEP_1) | instskip(SKIP_1) | instid1(VALU_DEP_2)
	v_mov_b32_e32 v165, v161
	v_pk_mul_f32 v[160:161], v[162:163], v[158:159] op_sel:[0,1]
	v_pk_add_f32 v[114:115], v[114:115], v[164:165] neg_lo:[0,1] neg_hi:[0,1]
	s_delay_alu instid0(VALU_DEP_2) | instskip(SKIP_1) | instid1(VALU_DEP_1)
	v_pk_fma_f32 v[164:165], v[162:163], v[156:157], v[160:161] op_sel:[0,0,1] op_sel_hi:[1,1,0] neg_lo:[0,0,1] neg_hi:[0,0,1]
	v_pk_fma_f32 v[160:161], v[162:163], v[156:157], v[160:161] op_sel:[0,0,1] op_sel_hi:[1,0,0]
	v_mov_b32_e32 v165, v161
	ds_load_2addr_b64 v[160:163], v232 offset0:31 offset1:32
	v_pk_add_f32 v[116:117], v[116:117], v[164:165] neg_lo:[0,1] neg_hi:[0,1]
	s_wait_dscnt 0x0
	v_pk_mul_f32 v[164:165], v[160:161], v[158:159] op_sel:[0,1]
	s_delay_alu instid0(VALU_DEP_1) | instskip(SKIP_1) | instid1(VALU_DEP_1)
	v_pk_fma_f32 v[166:167], v[160:161], v[156:157], v[164:165] op_sel:[0,0,1] op_sel_hi:[1,1,0] neg_lo:[0,0,1] neg_hi:[0,0,1]
	v_pk_fma_f32 v[160:161], v[160:161], v[156:157], v[164:165] op_sel:[0,0,1] op_sel_hi:[1,0,0]
	v_mov_b32_e32 v167, v161
	v_pk_mul_f32 v[160:161], v[162:163], v[158:159] op_sel:[0,1]
	s_delay_alu instid0(VALU_DEP_2) | instskip(NEXT) | instid1(VALU_DEP_2)
	v_pk_add_f32 v[112:113], v[112:113], v[166:167] neg_lo:[0,1] neg_hi:[0,1]
	v_pk_fma_f32 v[164:165], v[162:163], v[156:157], v[160:161] op_sel:[0,0,1] op_sel_hi:[1,1,0] neg_lo:[0,0,1] neg_hi:[0,0,1]
	v_pk_fma_f32 v[160:161], v[162:163], v[156:157], v[160:161] op_sel:[0,0,1] op_sel_hi:[1,0,0]
	s_delay_alu instid0(VALU_DEP_1) | instskip(SKIP_4) | instid1(VALU_DEP_1)
	v_mov_b32_e32 v165, v161
	ds_load_2addr_b64 v[160:163], v232 offset0:33 offset1:34
	v_pk_add_f32 v[134:135], v[134:135], v[164:165] neg_lo:[0,1] neg_hi:[0,1]
	s_wait_dscnt 0x0
	v_pk_mul_f32 v[164:165], v[160:161], v[158:159] op_sel:[0,1]
	v_pk_fma_f32 v[166:167], v[160:161], v[156:157], v[164:165] op_sel:[0,0,1] op_sel_hi:[1,1,0] neg_lo:[0,0,1] neg_hi:[0,0,1]
	v_pk_fma_f32 v[160:161], v[160:161], v[156:157], v[164:165] op_sel:[0,0,1] op_sel_hi:[1,0,0]
	v_dual_mul_f32 v164, v163, v159 :: v_dual_mov_b32 v160, v163
	s_delay_alu instid0(VALU_DEP_2) | instskip(NEXT) | instid1(VALU_DEP_2)
	v_dual_mov_b32 v167, v161 :: v_dual_mov_b32 v161, v162
	v_pk_fma_f32 v[164:165], v[162:163], v[54:55], v[164:165] op_sel_hi:[1,1,0] neg_lo:[0,0,1] neg_hi:[0,0,1]
	v_mul_f32_e32 v162, v163, v156
	s_delay_alu instid0(VALU_DEP_3) | instskip(NEXT) | instid1(VALU_DEP_2)
	v_pk_add_f32 v[132:133], v[132:133], v[166:167] neg_lo:[0,1] neg_hi:[0,1]
	v_pk_fma_f32 v[160:161], v[160:161], v[54:55], v[162:163] op_sel_hi:[1,1,0]
	s_delay_alu instid0(VALU_DEP_1) | instskip(SKIP_4) | instid1(VALU_DEP_1)
	v_mov_b32_e32 v165, v161
	ds_load_2addr_b64 v[160:163], v232 offset0:35 offset1:36
	v_pk_add_f32 v[146:147], v[146:147], v[164:165] neg_lo:[0,1] neg_hi:[0,1]
	s_wait_dscnt 0x0
	v_pk_mul_f32 v[164:165], v[160:161], v[158:159] op_sel:[0,1]
	v_pk_fma_f32 v[166:167], v[160:161], v[156:157], v[164:165] op_sel:[0,0,1] op_sel_hi:[1,1,0] neg_lo:[0,0,1] neg_hi:[0,0,1]
	v_pk_fma_f32 v[160:161], v[160:161], v[156:157], v[164:165] op_sel:[0,0,1] op_sel_hi:[1,0,0]
	s_delay_alu instid0(VALU_DEP_1) | instskip(SKIP_1) | instid1(VALU_DEP_1)
	v_mov_b32_e32 v167, v161
	v_pk_mul_f32 v[160:161], v[162:163], v[158:159] op_sel:[0,1]
	v_pk_fma_f32 v[164:165], v[162:163], v[156:157], v[160:161] op_sel:[0,0,1] op_sel_hi:[1,1,0] neg_lo:[0,0,1] neg_hi:[0,0,1]
	v_pk_fma_f32 v[160:161], v[162:163], v[156:157], v[160:161] op_sel:[0,0,1] op_sel_hi:[1,0,0]
	s_delay_alu instid0(VALU_DEP_1)
	v_mov_b32_e32 v165, v161
	ds_load_b64 v[160:161], v232 offset:296
	v_pk_add_f32 v[138:139], v[138:139], v[166:167] neg_lo:[0,1] neg_hi:[0,1]
	v_pk_add_f32 v[136:137], v[136:137], v[164:165] neg_lo:[0,1] neg_hi:[0,1]
	s_wait_dscnt 0x0
	v_pk_mul_f32 v[158:159], v[160:161], v[158:159] op_sel:[0,1]
	s_delay_alu instid0(VALU_DEP_1) | instskip(SKIP_1) | instid1(VALU_DEP_1)
	v_pk_fma_f32 v[162:163], v[160:161], v[156:157], v[158:159] op_sel:[0,0,1] op_sel_hi:[1,1,0] neg_lo:[0,0,1] neg_hi:[0,0,1]
	v_pk_fma_f32 v[156:157], v[160:161], v[156:157], v[158:159] op_sel:[0,0,1] op_sel_hi:[1,0,0]
	v_mov_b32_e32 v163, v157
	s_delay_alu instid0(VALU_DEP_1)
	v_pk_add_f32 v[152:153], v[152:153], v[162:163] neg_lo:[0,1] neg_hi:[0,1]
.LBB75_10:
	s_or_b32 exec_lo, exec_lo, s2
	s_delay_alu instid0(SALU_CYCLE_1)
	s_mov_b32 s2, exec_lo
	s_wait_dscnt 0x0
	s_barrier_signal -1
	s_barrier_wait -1
	v_cmpx_eq_u32_e32 1, v230
	s_cbranch_execz .LBB75_17
; %bb.11:
	v_dual_mov_b32 v156, v46 :: v_dual_mov_b32 v157, v47
	v_dual_mov_b32 v158, v44 :: v_dual_mov_b32 v159, v45
	;; [unrolled: 1-line block ×10, first 2 shown]
	ds_store_b64 v231, v[56:57]
	v_dual_mov_b32 v176, v92 :: v_dual_mov_b32 v177, v93
	v_dual_mov_b32 v178, v90 :: v_dual_mov_b32 v179, v91
	ds_store_2addr_b64 v232, v[156:157], v[158:159] offset0:2 offset1:3
	ds_store_2addr_b64 v232, v[160:161], v[162:163] offset0:4 offset1:5
	;; [unrolled: 1-line block ×6, first 2 shown]
	v_dual_mov_b32 v156, v74 :: v_dual_mov_b32 v157, v75
	v_dual_mov_b32 v158, v88 :: v_dual_mov_b32 v159, v89
	;; [unrolled: 1-line block ×12, first 2 shown]
	ds_store_2addr_b64 v232, v[156:157], v[158:159] offset0:14 offset1:15
	ds_store_2addr_b64 v232, v[160:161], v[162:163] offset0:16 offset1:17
	;; [unrolled: 1-line block ×6, first 2 shown]
	v_dual_mov_b32 v156, v150 :: v_dual_mov_b32 v157, v151
	v_dual_mov_b32 v158, v140 :: v_dual_mov_b32 v159, v141
	;; [unrolled: 1-line block ×11, first 2 shown]
	ds_store_2addr_b64 v232, v[156:157], v[158:159] offset0:26 offset1:27
	ds_store_2addr_b64 v232, v[160:161], v[162:163] offset0:28 offset1:29
	;; [unrolled: 1-line block ×6, first 2 shown]
	ds_load_b64 v[156:157], v231
	s_wait_dscnt 0x0
	v_cmp_neq_f32_e32 vcc_lo, 0, v156
	v_cmp_neq_f32_e64 s1, 0, v157
	s_or_b32 s1, vcc_lo, s1
	s_delay_alu instid0(SALU_CYCLE_1)
	s_and_b32 exec_lo, exec_lo, s1
	s_cbranch_execz .LBB75_17
; %bb.12:
	v_cmp_ngt_f32_e64 s1, |v156|, |v157|
                                        ; implicit-def: $vgpr158_vgpr159
	s_and_saveexec_b32 s4, s1
	s_delay_alu instid0(SALU_CYCLE_1)
	s_xor_b32 s1, exec_lo, s4
	s_cbranch_execz .LBB75_14
; %bb.13:
	v_div_scale_f32 v0, null, v157, v157, v156
	v_div_scale_f32 v159, vcc_lo, v156, v157, v156
	s_delay_alu instid0(VALU_DEP_2) | instskip(SKIP_1) | instid1(TRANS32_DEP_1)
	v_rcp_f32_e32 v1, v0
	v_nop
	v_fma_f32 v158, -v0, v1, 1.0
	s_delay_alu instid0(VALU_DEP_1) | instskip(NEXT) | instid1(VALU_DEP_1)
	v_fmac_f32_e32 v1, v158, v1
	v_mul_f32_e32 v158, v159, v1
	s_delay_alu instid0(VALU_DEP_1) | instskip(NEXT) | instid1(VALU_DEP_1)
	v_fma_f32 v160, -v0, v158, v159
	v_fmac_f32_e32 v158, v160, v1
	s_delay_alu instid0(VALU_DEP_1) | instskip(NEXT) | instid1(VALU_DEP_1)
	v_fma_f32 v0, -v0, v158, v159
	v_div_fmas_f32 v0, v0, v1, v158
	s_delay_alu instid0(VALU_DEP_1) | instskip(NEXT) | instid1(VALU_DEP_1)
	v_div_fixup_f32 v0, v0, v157, v156
	v_fmac_f32_e32 v157, v156, v0
	s_delay_alu instid0(VALU_DEP_1) | instskip(SKIP_1) | instid1(VALU_DEP_2)
	v_div_scale_f32 v1, null, v157, v157, 1.0
	v_div_scale_f32 v159, vcc_lo, 1.0, v157, 1.0
	v_rcp_f32_e32 v156, v1
	v_nop
	s_delay_alu instid0(TRANS32_DEP_1) | instskip(NEXT) | instid1(VALU_DEP_1)
	v_fma_f32 v158, -v1, v156, 1.0
	v_fmac_f32_e32 v156, v158, v156
	s_delay_alu instid0(VALU_DEP_1) | instskip(NEXT) | instid1(VALU_DEP_1)
	v_mul_f32_e32 v158, v159, v156
	v_fma_f32 v160, -v1, v158, v159
	s_delay_alu instid0(VALU_DEP_1) | instskip(NEXT) | instid1(VALU_DEP_1)
	v_fmac_f32_e32 v158, v160, v156
	v_fma_f32 v1, -v1, v158, v159
	s_delay_alu instid0(VALU_DEP_1) | instskip(NEXT) | instid1(VALU_DEP_1)
	v_div_fmas_f32 v1, v1, v156, v158
	v_div_fixup_f32 v1, v1, v157, 1.0
                                        ; implicit-def: $vgpr156_vgpr157
	s_delay_alu instid0(VALU_DEP_1)
	v_mul_f32_e32 v158, v0, v1
	v_xor_b32_e32 v159, 0x80000000, v1
.LBB75_14:
	s_and_not1_saveexec_b32 s1, s1
	s_cbranch_execz .LBB75_16
; %bb.15:
	v_div_scale_f32 v0, null, v156, v156, v157
	v_div_scale_f32 v159, vcc_lo, v157, v156, v157
	s_delay_alu instid0(VALU_DEP_2) | instskip(SKIP_1) | instid1(TRANS32_DEP_1)
	v_rcp_f32_e32 v1, v0
	v_nop
	v_fma_f32 v158, -v0, v1, 1.0
	s_delay_alu instid0(VALU_DEP_1) | instskip(NEXT) | instid1(VALU_DEP_1)
	v_fmac_f32_e32 v1, v158, v1
	v_mul_f32_e32 v158, v159, v1
	s_delay_alu instid0(VALU_DEP_1) | instskip(NEXT) | instid1(VALU_DEP_1)
	v_fma_f32 v160, -v0, v158, v159
	v_fmac_f32_e32 v158, v160, v1
	s_delay_alu instid0(VALU_DEP_1) | instskip(NEXT) | instid1(VALU_DEP_1)
	v_fma_f32 v0, -v0, v158, v159
	v_div_fmas_f32 v0, v0, v1, v158
	s_delay_alu instid0(VALU_DEP_1) | instskip(NEXT) | instid1(VALU_DEP_1)
	v_div_fixup_f32 v0, v0, v156, v157
	v_fmac_f32_e32 v156, v157, v0
	s_delay_alu instid0(VALU_DEP_1) | instskip(NEXT) | instid1(VALU_DEP_1)
	v_div_scale_f32 v1, null, v156, v156, 1.0
	v_rcp_f32_e32 v157, v1
	v_nop
	s_delay_alu instid0(TRANS32_DEP_1) | instskip(NEXT) | instid1(VALU_DEP_1)
	v_fma_f32 v158, -v1, v157, 1.0
	v_fmac_f32_e32 v157, v158, v157
	v_div_scale_f32 v158, vcc_lo, 1.0, v156, 1.0
	s_delay_alu instid0(VALU_DEP_1) | instskip(NEXT) | instid1(VALU_DEP_1)
	v_mul_f32_e32 v159, v158, v157
	v_fma_f32 v160, -v1, v159, v158
	s_delay_alu instid0(VALU_DEP_1) | instskip(NEXT) | instid1(VALU_DEP_1)
	v_fmac_f32_e32 v159, v160, v157
	v_fma_f32 v1, -v1, v159, v158
	s_delay_alu instid0(VALU_DEP_1) | instskip(NEXT) | instid1(VALU_DEP_1)
	v_div_fmas_f32 v1, v1, v157, v159
	v_div_fixup_f32 v158, v1, v156, 1.0
	s_delay_alu instid0(VALU_DEP_1)
	v_mul_f32_e64 v159, v0, -v158
.LBB75_16:
	s_or_b32 exec_lo, exec_lo, s1
	ds_store_b64 v231, v[158:159]
.LBB75_17:
	s_or_b32 exec_lo, exec_lo, s2
	s_wait_dscnt 0x0
	s_barrier_signal -1
	s_barrier_wait -1
	ds_load_b64 v[156:157], v231
	s_mov_b32 s1, exec_lo
	v_cmpx_lt_u32_e32 1, v230
	s_cbranch_execz .LBB75_19
; %bb.18:
	ds_load_2addr_b64 v[162:165], v232 offset0:2 offset1:3
	s_wait_dscnt 0x1
	v_pk_mul_f32 v[160:161], v[156:157], v[56:57] op_sel:[1,1] op_sel_hi:[0,1]
	s_delay_alu instid0(VALU_DEP_1) | instskip(SKIP_1) | instid1(VALU_DEP_1)
	v_pk_fma_f32 v[158:159], v[156:157], v[56:57], v[160:161] op_sel_hi:[1,0,1] neg_lo:[0,0,1] neg_hi:[0,0,1]
	v_pk_fma_f32 v[160:161], v[156:157], v[56:57], v[160:161] op_sel_hi:[1,0,1]
	v_dual_mov_b32 v56, v158 :: v_dual_mov_b32 v57, v161
	s_wait_dscnt 0x0
	s_delay_alu instid0(VALU_DEP_2) | instskip(NEXT) | instid1(VALU_DEP_1)
	v_pk_mul_f32 v[166:167], v[162:163], v[160:161] op_sel:[0,1]
	v_pk_fma_f32 v[168:169], v[162:163], v[158:159], v[166:167] op_sel:[0,0,1] op_sel_hi:[1,1,0] neg_lo:[0,0,1] neg_hi:[0,0,1]
	v_pk_fma_f32 v[162:163], v[162:163], v[158:159], v[166:167] op_sel:[0,0,1] op_sel_hi:[1,0,0]
	s_delay_alu instid0(VALU_DEP_1) | instskip(SKIP_1) | instid1(VALU_DEP_1)
	v_mov_b32_e32 v169, v163
	v_pk_mul_f32 v[162:163], v[164:165], v[160:161] op_sel:[0,1]
	v_pk_fma_f32 v[166:167], v[164:165], v[158:159], v[162:163] op_sel:[0,0,1] op_sel_hi:[1,1,0] neg_lo:[0,0,1] neg_hi:[0,0,1]
	v_pk_fma_f32 v[162:163], v[164:165], v[158:159], v[162:163] op_sel:[0,0,1] op_sel_hi:[1,0,0]
	s_delay_alu instid0(VALU_DEP_1)
	v_mov_b32_e32 v167, v163
	ds_load_2addr_b64 v[162:165], v232 offset0:4 offset1:5
	v_pk_add_f32 v[46:47], v[46:47], v[168:169] neg_lo:[0,1] neg_hi:[0,1]
	v_pk_add_f32 v[44:45], v[44:45], v[166:167] neg_lo:[0,1] neg_hi:[0,1]
	s_wait_dscnt 0x0
	v_pk_mul_f32 v[166:167], v[162:163], v[160:161] op_sel:[0,1]
	s_delay_alu instid0(VALU_DEP_1) | instskip(SKIP_2) | instid1(VALU_DEP_2)
	v_pk_fma_f32 v[168:169], v[162:163], v[158:159], v[166:167] op_sel:[0,0,1] op_sel_hi:[1,1,0] neg_lo:[0,0,1] neg_hi:[0,0,1]
	v_pk_fma_f32 v[162:163], v[162:163], v[158:159], v[166:167] op_sel:[0,0,1] op_sel_hi:[1,0,0]
	v_dual_mul_f32 v166, v165, v161 :: v_dual_mov_b32 v162, v165
	v_dual_mov_b32 v169, v163 :: v_dual_mov_b32 v163, v164
	s_delay_alu instid0(VALU_DEP_2) | instskip(SKIP_1) | instid1(VALU_DEP_3)
	v_pk_fma_f32 v[166:167], v[164:165], v[56:57], v[166:167] op_sel_hi:[1,1,0] neg_lo:[0,0,1] neg_hi:[0,0,1]
	v_mul_f32_e32 v164, v165, v158
	v_pk_add_f32 v[28:29], v[28:29], v[168:169] neg_lo:[0,1] neg_hi:[0,1]
	s_delay_alu instid0(VALU_DEP_2) | instskip(NEXT) | instid1(VALU_DEP_1)
	v_pk_fma_f32 v[162:163], v[162:163], v[56:57], v[164:165] op_sel_hi:[1,1,0]
	v_mov_b32_e32 v167, v163
	ds_load_2addr_b64 v[162:165], v232 offset0:6 offset1:7
	v_pk_add_f32 v[24:25], v[24:25], v[166:167] neg_lo:[0,1] neg_hi:[0,1]
	s_wait_dscnt 0x0
	v_pk_mul_f32 v[166:167], v[162:163], v[160:161] op_sel:[0,1]
	s_delay_alu instid0(VALU_DEP_1) | instskip(SKIP_1) | instid1(VALU_DEP_1)
	v_pk_fma_f32 v[168:169], v[162:163], v[158:159], v[166:167] op_sel:[0,0,1] op_sel_hi:[1,1,0] neg_lo:[0,0,1] neg_hi:[0,0,1]
	v_pk_fma_f32 v[162:163], v[162:163], v[158:159], v[166:167] op_sel:[0,0,1] op_sel_hi:[1,0,0]
	v_mov_b32_e32 v169, v163
	v_pk_mul_f32 v[162:163], v[164:165], v[160:161] op_sel:[0,1]
	s_delay_alu instid0(VALU_DEP_1) | instskip(SKIP_1) | instid1(VALU_DEP_1)
	v_pk_fma_f32 v[166:167], v[164:165], v[158:159], v[162:163] op_sel:[0,0,1] op_sel_hi:[1,1,0] neg_lo:[0,0,1] neg_hi:[0,0,1]
	v_pk_fma_f32 v[162:163], v[164:165], v[158:159], v[162:163] op_sel:[0,0,1] op_sel_hi:[1,0,0]
	v_mov_b32_e32 v167, v163
	ds_load_2addr_b64 v[162:165], v232 offset0:8 offset1:9
	v_pk_add_f32 v[26:27], v[26:27], v[168:169] neg_lo:[0,1] neg_hi:[0,1]
	v_pk_add_f32 v[22:23], v[22:23], v[166:167] neg_lo:[0,1] neg_hi:[0,1]
	s_wait_dscnt 0x0
	v_pk_mul_f32 v[166:167], v[162:163], v[160:161] op_sel:[0,1]
	s_delay_alu instid0(VALU_DEP_1) | instskip(SKIP_1) | instid1(VALU_DEP_1)
	v_pk_fma_f32 v[168:169], v[162:163], v[158:159], v[166:167] op_sel:[0,0,1] op_sel_hi:[1,1,0] neg_lo:[0,0,1] neg_hi:[0,0,1]
	v_pk_fma_f32 v[162:163], v[162:163], v[158:159], v[166:167] op_sel:[0,0,1] op_sel_hi:[1,0,0]
	v_mov_b32_e32 v169, v163
	v_pk_mul_f32 v[162:163], v[164:165], v[160:161] op_sel:[0,1]
	s_delay_alu instid0(VALU_DEP_1) | instskip(SKIP_1) | instid1(VALU_DEP_1)
	v_pk_fma_f32 v[166:167], v[164:165], v[158:159], v[162:163] op_sel:[0,0,1] op_sel_hi:[1,1,0] neg_lo:[0,0,1] neg_hi:[0,0,1]
	v_pk_fma_f32 v[162:163], v[164:165], v[158:159], v[162:163] op_sel:[0,0,1] op_sel_hi:[1,0,0]
	v_mov_b32_e32 v167, v163
	ds_load_2addr_b64 v[162:165], v232 offset0:10 offset1:11
	v_pk_add_f32 v[40:41], v[40:41], v[168:169] neg_lo:[0,1] neg_hi:[0,1]
	v_pk_add_f32 v[36:37], v[36:37], v[166:167] neg_lo:[0,1] neg_hi:[0,1]
	s_wait_dscnt 0x0
	v_dual_mul_f32 v166, v163, v161 :: v_dual_mul_f32 v168, v163, v158
	s_delay_alu instid0(VALU_DEP_1) | instskip(NEXT) | instid1(VALU_DEP_2)
	v_pk_fma_f32 v[166:167], v[162:163], v[56:57], v[166:167] op_sel_hi:[1,1,0] neg_lo:[0,0,1] neg_hi:[0,0,1]
	v_pk_fma_f32 v[162:163], v[162:163], v[56:57], v[168:169] op_sel:[1,0,0] op_sel_hi:[0,1,0]
	s_delay_alu instid0(VALU_DEP_1) | instskip(SKIP_1) | instid1(VALU_DEP_2)
	v_mov_b32_e32 v167, v163
	v_pk_mul_f32 v[162:163], v[164:165], v[160:161] op_sel:[0,1]
	v_pk_add_f32 v[38:39], v[38:39], v[166:167] neg_lo:[0,1] neg_hi:[0,1]
	s_delay_alu instid0(VALU_DEP_2) | instskip(SKIP_1) | instid1(VALU_DEP_1)
	v_pk_fma_f32 v[166:167], v[164:165], v[158:159], v[162:163] op_sel:[0,0,1] op_sel_hi:[1,1,0] neg_lo:[0,0,1] neg_hi:[0,0,1]
	v_pk_fma_f32 v[162:163], v[164:165], v[158:159], v[162:163] op_sel:[0,0,1] op_sel_hi:[1,0,0]
	v_mov_b32_e32 v167, v163
	ds_load_2addr_b64 v[162:165], v232 offset0:12 offset1:13
	v_pk_add_f32 v[76:77], v[76:77], v[166:167] neg_lo:[0,1] neg_hi:[0,1]
	s_wait_dscnt 0x0
	v_pk_mul_f32 v[166:167], v[162:163], v[160:161] op_sel:[0,1]
	s_delay_alu instid0(VALU_DEP_1) | instskip(SKIP_1) | instid1(VALU_DEP_1)
	v_pk_fma_f32 v[168:169], v[162:163], v[158:159], v[166:167] op_sel:[0,0,1] op_sel_hi:[1,1,0] neg_lo:[0,0,1] neg_hi:[0,0,1]
	v_pk_fma_f32 v[162:163], v[162:163], v[158:159], v[166:167] op_sel:[0,0,1] op_sel_hi:[1,0,0]
	v_mov_b32_e32 v169, v163
	v_pk_mul_f32 v[162:163], v[164:165], v[160:161] op_sel:[0,1]
	s_delay_alu instid0(VALU_DEP_2) | instskip(NEXT) | instid1(VALU_DEP_2)
	v_pk_add_f32 v[92:93], v[92:93], v[168:169] neg_lo:[0,1] neg_hi:[0,1]
	v_pk_fma_f32 v[166:167], v[164:165], v[158:159], v[162:163] op_sel:[0,0,1] op_sel_hi:[1,1,0] neg_lo:[0,0,1] neg_hi:[0,0,1]
	v_pk_fma_f32 v[162:163], v[164:165], v[158:159], v[162:163] op_sel:[0,0,1] op_sel_hi:[1,0,0]
	s_delay_alu instid0(VALU_DEP_1) | instskip(SKIP_4) | instid1(VALU_DEP_1)
	v_mov_b32_e32 v167, v163
	ds_load_2addr_b64 v[162:165], v232 offset0:14 offset1:15
	v_pk_add_f32 v[90:91], v[90:91], v[166:167] neg_lo:[0,1] neg_hi:[0,1]
	s_wait_dscnt 0x0
	v_pk_mul_f32 v[166:167], v[162:163], v[160:161] op_sel:[0,1]
	v_pk_fma_f32 v[168:169], v[162:163], v[158:159], v[166:167] op_sel:[0,0,1] op_sel_hi:[1,1,0] neg_lo:[0,0,1] neg_hi:[0,0,1]
	v_pk_fma_f32 v[162:163], v[162:163], v[158:159], v[166:167] op_sel:[0,0,1] op_sel_hi:[1,0,0]
	v_dual_mul_f32 v166, v165, v161 :: v_dual_mov_b32 v162, v165
	s_delay_alu instid0(VALU_DEP_2) | instskip(NEXT) | instid1(VALU_DEP_2)
	v_dual_mov_b32 v169, v163 :: v_dual_mov_b32 v163, v164
	v_pk_fma_f32 v[166:167], v[164:165], v[56:57], v[166:167] op_sel_hi:[1,1,0] neg_lo:[0,0,1] neg_hi:[0,0,1]
	v_mul_f32_e32 v164, v165, v158
	s_delay_alu instid0(VALU_DEP_3) | instskip(NEXT) | instid1(VALU_DEP_2)
	v_pk_add_f32 v[74:75], v[74:75], v[168:169] neg_lo:[0,1] neg_hi:[0,1]
	v_pk_fma_f32 v[162:163], v[162:163], v[56:57], v[164:165] op_sel_hi:[1,1,0]
	s_delay_alu instid0(VALU_DEP_1) | instskip(SKIP_4) | instid1(VALU_DEP_1)
	v_mov_b32_e32 v167, v163
	ds_load_2addr_b64 v[162:165], v232 offset0:16 offset1:17
	v_pk_add_f32 v[88:89], v[88:89], v[166:167] neg_lo:[0,1] neg_hi:[0,1]
	s_wait_dscnt 0x0
	v_pk_mul_f32 v[166:167], v[162:163], v[160:161] op_sel:[0,1]
	v_pk_fma_f32 v[168:169], v[162:163], v[158:159], v[166:167] op_sel:[0,0,1] op_sel_hi:[1,1,0] neg_lo:[0,0,1] neg_hi:[0,0,1]
	v_pk_fma_f32 v[162:163], v[162:163], v[158:159], v[166:167] op_sel:[0,0,1] op_sel_hi:[1,0,0]
	s_delay_alu instid0(VALU_DEP_1) | instskip(SKIP_1) | instid1(VALU_DEP_1)
	v_mov_b32_e32 v169, v163
	v_pk_mul_f32 v[162:163], v[164:165], v[160:161] op_sel:[0,1]
	v_pk_fma_f32 v[166:167], v[164:165], v[158:159], v[162:163] op_sel:[0,0,1] op_sel_hi:[1,1,0] neg_lo:[0,0,1] neg_hi:[0,0,1]
	v_pk_fma_f32 v[162:163], v[164:165], v[158:159], v[162:163] op_sel:[0,0,1] op_sel_hi:[1,0,0]
	s_delay_alu instid0(VALU_DEP_1)
	v_mov_b32_e32 v167, v163
	ds_load_2addr_b64 v[162:165], v232 offset0:18 offset1:19
	v_pk_add_f32 v[108:109], v[108:109], v[168:169] neg_lo:[0,1] neg_hi:[0,1]
	v_pk_add_f32 v[106:107], v[106:107], v[166:167] neg_lo:[0,1] neg_hi:[0,1]
	s_wait_dscnt 0x0
	v_pk_mul_f32 v[166:167], v[162:163], v[160:161] op_sel:[0,1]
	s_delay_alu instid0(VALU_DEP_1) | instskip(SKIP_1) | instid1(VALU_DEP_1)
	v_pk_fma_f32 v[168:169], v[162:163], v[158:159], v[166:167] op_sel:[0,0,1] op_sel_hi:[1,1,0] neg_lo:[0,0,1] neg_hi:[0,0,1]
	v_pk_fma_f32 v[162:163], v[162:163], v[158:159], v[166:167] op_sel:[0,0,1] op_sel_hi:[1,0,0]
	v_mov_b32_e32 v169, v163
	v_pk_mul_f32 v[162:163], v[164:165], v[160:161] op_sel:[0,1]
	s_delay_alu instid0(VALU_DEP_1) | instskip(SKIP_1) | instid1(VALU_DEP_1)
	v_pk_fma_f32 v[166:167], v[164:165], v[158:159], v[162:163] op_sel:[0,0,1] op_sel_hi:[1,1,0] neg_lo:[0,0,1] neg_hi:[0,0,1]
	v_pk_fma_f32 v[162:163], v[164:165], v[158:159], v[162:163] op_sel:[0,0,1] op_sel_hi:[1,0,0]
	v_mov_b32_e32 v167, v163
	ds_load_2addr_b64 v[162:165], v232 offset0:20 offset1:21
	v_pk_add_f32 v[86:87], v[86:87], v[168:169] neg_lo:[0,1] neg_hi:[0,1]
	v_pk_add_f32 v[104:105], v[104:105], v[166:167] neg_lo:[0,1] neg_hi:[0,1]
	s_wait_dscnt 0x0
	v_dual_mul_f32 v166, v163, v161 :: v_dual_mul_f32 v168, v163, v158
	s_delay_alu instid0(VALU_DEP_1) | instskip(NEXT) | instid1(VALU_DEP_2)
	v_pk_fma_f32 v[166:167], v[162:163], v[56:57], v[166:167] op_sel_hi:[1,1,0] neg_lo:[0,0,1] neg_hi:[0,0,1]
	v_pk_fma_f32 v[162:163], v[162:163], v[56:57], v[168:169] op_sel:[1,0,0] op_sel_hi:[0,1,0]
	s_delay_alu instid0(VALU_DEP_1) | instskip(SKIP_1) | instid1(VALU_DEP_2)
	v_mov_b32_e32 v167, v163
	v_pk_mul_f32 v[162:163], v[164:165], v[160:161] op_sel:[0,1]
	v_pk_add_f32 v[130:131], v[130:131], v[166:167] neg_lo:[0,1] neg_hi:[0,1]
	s_delay_alu instid0(VALU_DEP_2) | instskip(SKIP_1) | instid1(VALU_DEP_1)
	v_pk_fma_f32 v[166:167], v[164:165], v[158:159], v[162:163] op_sel:[0,0,1] op_sel_hi:[1,1,0] neg_lo:[0,0,1] neg_hi:[0,0,1]
	v_pk_fma_f32 v[162:163], v[164:165], v[158:159], v[162:163] op_sel:[0,0,1] op_sel_hi:[1,0,0]
	v_mov_b32_e32 v167, v163
	ds_load_2addr_b64 v[162:165], v232 offset0:22 offset1:23
	v_pk_add_f32 v[128:129], v[128:129], v[166:167] neg_lo:[0,1] neg_hi:[0,1]
	s_wait_dscnt 0x0
	v_pk_mul_f32 v[166:167], v[162:163], v[160:161] op_sel:[0,1]
	s_delay_alu instid0(VALU_DEP_1) | instskip(SKIP_1) | instid1(VALU_DEP_1)
	v_pk_fma_f32 v[168:169], v[162:163], v[158:159], v[166:167] op_sel:[0,0,1] op_sel_hi:[1,1,0] neg_lo:[0,0,1] neg_hi:[0,0,1]
	v_pk_fma_f32 v[162:163], v[162:163], v[158:159], v[166:167] op_sel:[0,0,1] op_sel_hi:[1,0,0]
	v_mov_b32_e32 v169, v163
	v_pk_mul_f32 v[162:163], v[164:165], v[160:161] op_sel:[0,1]
	s_delay_alu instid0(VALU_DEP_2) | instskip(NEXT) | instid1(VALU_DEP_2)
	v_pk_add_f32 v[102:103], v[102:103], v[168:169] neg_lo:[0,1] neg_hi:[0,1]
	v_pk_fma_f32 v[166:167], v[164:165], v[158:159], v[162:163] op_sel:[0,0,1] op_sel_hi:[1,1,0] neg_lo:[0,0,1] neg_hi:[0,0,1]
	v_pk_fma_f32 v[162:163], v[164:165], v[158:159], v[162:163] op_sel:[0,0,1] op_sel_hi:[1,0,0]
	s_delay_alu instid0(VALU_DEP_1) | instskip(SKIP_4) | instid1(VALU_DEP_1)
	v_mov_b32_e32 v167, v163
	ds_load_2addr_b64 v[162:165], v232 offset0:24 offset1:25
	v_pk_add_f32 v[126:127], v[126:127], v[166:167] neg_lo:[0,1] neg_hi:[0,1]
	s_wait_dscnt 0x0
	v_pk_mul_f32 v[166:167], v[162:163], v[160:161] op_sel:[0,1]
	v_pk_fma_f32 v[168:169], v[162:163], v[158:159], v[166:167] op_sel:[0,0,1] op_sel_hi:[1,1,0] neg_lo:[0,0,1] neg_hi:[0,0,1]
	v_pk_fma_f32 v[162:163], v[162:163], v[158:159], v[166:167] op_sel:[0,0,1] op_sel_hi:[1,0,0]
	v_dual_mul_f32 v166, v165, v161 :: v_dual_mov_b32 v162, v165
	s_delay_alu instid0(VALU_DEP_2) | instskip(NEXT) | instid1(VALU_DEP_2)
	v_dual_mov_b32 v169, v163 :: v_dual_mov_b32 v163, v164
	v_pk_fma_f32 v[166:167], v[164:165], v[56:57], v[166:167] op_sel_hi:[1,1,0] neg_lo:[0,0,1] neg_hi:[0,0,1]
	v_mul_f32_e32 v164, v165, v158
	s_delay_alu instid0(VALU_DEP_3) | instskip(NEXT) | instid1(VALU_DEP_2)
	v_pk_add_f32 v[144:145], v[144:145], v[168:169] neg_lo:[0,1] neg_hi:[0,1]
	v_pk_fma_f32 v[162:163], v[162:163], v[56:57], v[164:165] op_sel_hi:[1,1,0]
	s_delay_alu instid0(VALU_DEP_1) | instskip(SKIP_4) | instid1(VALU_DEP_1)
	v_mov_b32_e32 v167, v163
	ds_load_2addr_b64 v[162:165], v232 offset0:26 offset1:27
	v_pk_add_f32 v[142:143], v[142:143], v[166:167] neg_lo:[0,1] neg_hi:[0,1]
	s_wait_dscnt 0x0
	v_pk_mul_f32 v[166:167], v[162:163], v[160:161] op_sel:[0,1]
	v_pk_fma_f32 v[168:169], v[162:163], v[158:159], v[166:167] op_sel:[0,0,1] op_sel_hi:[1,1,0] neg_lo:[0,0,1] neg_hi:[0,0,1]
	v_pk_fma_f32 v[162:163], v[162:163], v[158:159], v[166:167] op_sel:[0,0,1] op_sel_hi:[1,0,0]
	s_delay_alu instid0(VALU_DEP_1) | instskip(SKIP_1) | instid1(VALU_DEP_1)
	v_mov_b32_e32 v169, v163
	v_pk_mul_f32 v[162:163], v[164:165], v[160:161] op_sel:[0,1]
	v_pk_fma_f32 v[166:167], v[164:165], v[158:159], v[162:163] op_sel:[0,0,1] op_sel_hi:[1,1,0] neg_lo:[0,0,1] neg_hi:[0,0,1]
	v_pk_fma_f32 v[162:163], v[164:165], v[158:159], v[162:163] op_sel:[0,0,1] op_sel_hi:[1,0,0]
	s_delay_alu instid0(VALU_DEP_1)
	v_mov_b32_e32 v167, v163
	ds_load_2addr_b64 v[162:165], v232 offset0:28 offset1:29
	v_pk_add_f32 v[150:151], v[150:151], v[168:169] neg_lo:[0,1] neg_hi:[0,1]
	v_pk_add_f32 v[140:141], v[140:141], v[166:167] neg_lo:[0,1] neg_hi:[0,1]
	s_wait_dscnt 0x0
	v_pk_mul_f32 v[166:167], v[162:163], v[160:161] op_sel:[0,1]
	s_delay_alu instid0(VALU_DEP_1) | instskip(SKIP_1) | instid1(VALU_DEP_1)
	v_pk_fma_f32 v[168:169], v[162:163], v[158:159], v[166:167] op_sel:[0,0,1] op_sel_hi:[1,1,0] neg_lo:[0,0,1] neg_hi:[0,0,1]
	v_pk_fma_f32 v[162:163], v[162:163], v[158:159], v[166:167] op_sel:[0,0,1] op_sel_hi:[1,0,0]
	v_mov_b32_e32 v169, v163
	v_pk_mul_f32 v[162:163], v[164:165], v[160:161] op_sel:[0,1]
	s_delay_alu instid0(VALU_DEP_1) | instskip(SKIP_1) | instid1(VALU_DEP_1)
	v_pk_fma_f32 v[166:167], v[164:165], v[158:159], v[162:163] op_sel:[0,0,1] op_sel_hi:[1,1,0] neg_lo:[0,0,1] neg_hi:[0,0,1]
	v_pk_fma_f32 v[162:163], v[164:165], v[158:159], v[162:163] op_sel:[0,0,1] op_sel_hi:[1,0,0]
	v_mov_b32_e32 v167, v163
	ds_load_2addr_b64 v[162:165], v232 offset0:30 offset1:31
	v_pk_add_f32 v[148:149], v[148:149], v[168:169] neg_lo:[0,1] neg_hi:[0,1]
	v_pk_add_f32 v[114:115], v[114:115], v[166:167] neg_lo:[0,1] neg_hi:[0,1]
	s_wait_dscnt 0x0
	v_dual_mul_f32 v166, v163, v161 :: v_dual_mul_f32 v168, v163, v158
	s_delay_alu instid0(VALU_DEP_1) | instskip(NEXT) | instid1(VALU_DEP_2)
	v_pk_fma_f32 v[166:167], v[162:163], v[56:57], v[166:167] op_sel_hi:[1,1,0] neg_lo:[0,0,1] neg_hi:[0,0,1]
	v_pk_fma_f32 v[162:163], v[162:163], v[56:57], v[168:169] op_sel:[1,0,0] op_sel_hi:[0,1,0]
	s_delay_alu instid0(VALU_DEP_1) | instskip(SKIP_1) | instid1(VALU_DEP_2)
	v_mov_b32_e32 v167, v163
	v_pk_mul_f32 v[162:163], v[164:165], v[160:161] op_sel:[0,1]
	v_pk_add_f32 v[116:117], v[116:117], v[166:167] neg_lo:[0,1] neg_hi:[0,1]
	s_delay_alu instid0(VALU_DEP_2) | instskip(SKIP_1) | instid1(VALU_DEP_1)
	v_pk_fma_f32 v[166:167], v[164:165], v[158:159], v[162:163] op_sel:[0,0,1] op_sel_hi:[1,1,0] neg_lo:[0,0,1] neg_hi:[0,0,1]
	v_pk_fma_f32 v[162:163], v[164:165], v[158:159], v[162:163] op_sel:[0,0,1] op_sel_hi:[1,0,0]
	v_mov_b32_e32 v167, v163
	ds_load_2addr_b64 v[162:165], v232 offset0:32 offset1:33
	v_pk_add_f32 v[112:113], v[112:113], v[166:167] neg_lo:[0,1] neg_hi:[0,1]
	s_wait_dscnt 0x0
	v_pk_mul_f32 v[166:167], v[162:163], v[160:161] op_sel:[0,1]
	s_delay_alu instid0(VALU_DEP_1) | instskip(SKIP_1) | instid1(VALU_DEP_1)
	v_pk_fma_f32 v[168:169], v[162:163], v[158:159], v[166:167] op_sel:[0,0,1] op_sel_hi:[1,1,0] neg_lo:[0,0,1] neg_hi:[0,0,1]
	v_pk_fma_f32 v[162:163], v[162:163], v[158:159], v[166:167] op_sel:[0,0,1] op_sel_hi:[1,0,0]
	v_mov_b32_e32 v169, v163
	v_pk_mul_f32 v[162:163], v[164:165], v[160:161] op_sel:[0,1]
	s_delay_alu instid0(VALU_DEP_2) | instskip(NEXT) | instid1(VALU_DEP_2)
	v_pk_add_f32 v[134:135], v[134:135], v[168:169] neg_lo:[0,1] neg_hi:[0,1]
	v_pk_fma_f32 v[166:167], v[164:165], v[158:159], v[162:163] op_sel:[0,0,1] op_sel_hi:[1,1,0] neg_lo:[0,0,1] neg_hi:[0,0,1]
	v_pk_fma_f32 v[162:163], v[164:165], v[158:159], v[162:163] op_sel:[0,0,1] op_sel_hi:[1,0,0]
	s_delay_alu instid0(VALU_DEP_1) | instskip(SKIP_4) | instid1(VALU_DEP_1)
	v_mov_b32_e32 v167, v163
	ds_load_2addr_b64 v[162:165], v232 offset0:34 offset1:35
	v_pk_add_f32 v[132:133], v[132:133], v[166:167] neg_lo:[0,1] neg_hi:[0,1]
	s_wait_dscnt 0x0
	v_pk_mul_f32 v[166:167], v[162:163], v[160:161] op_sel:[0,1]
	v_pk_fma_f32 v[168:169], v[162:163], v[158:159], v[166:167] op_sel:[0,0,1] op_sel_hi:[1,1,0] neg_lo:[0,0,1] neg_hi:[0,0,1]
	v_pk_fma_f32 v[162:163], v[162:163], v[158:159], v[166:167] op_sel:[0,0,1] op_sel_hi:[1,0,0]
	v_dual_mul_f32 v166, v165, v161 :: v_dual_mov_b32 v162, v165
	s_delay_alu instid0(VALU_DEP_2) | instskip(NEXT) | instid1(VALU_DEP_2)
	v_dual_mov_b32 v169, v163 :: v_dual_mov_b32 v163, v164
	v_pk_fma_f32 v[166:167], v[164:165], v[56:57], v[166:167] op_sel_hi:[1,1,0] neg_lo:[0,0,1] neg_hi:[0,0,1]
	v_mul_f32_e32 v164, v165, v158
	s_delay_alu instid0(VALU_DEP_3) | instskip(NEXT) | instid1(VALU_DEP_2)
	v_pk_add_f32 v[146:147], v[146:147], v[168:169] neg_lo:[0,1] neg_hi:[0,1]
	v_pk_fma_f32 v[162:163], v[162:163], v[56:57], v[164:165] op_sel_hi:[1,1,0]
	s_delay_alu instid0(VALU_DEP_1)
	v_mov_b32_e32 v167, v163
	ds_load_2addr_b64 v[162:165], v232 offset0:36 offset1:37
	v_pk_add_f32 v[138:139], v[138:139], v[166:167] neg_lo:[0,1] neg_hi:[0,1]
	s_wait_dscnt 0x0
	v_pk_mul_f32 v[166:167], v[162:163], v[160:161] op_sel:[0,1]
	v_mul_f32_e32 v160, v165, v161
	s_delay_alu instid0(VALU_DEP_2) | instskip(SKIP_2) | instid1(VALU_DEP_4)
	v_pk_fma_f32 v[168:169], v[162:163], v[158:159], v[166:167] op_sel:[0,0,1] op_sel_hi:[1,1,0] neg_lo:[0,0,1] neg_hi:[0,0,1]
	v_pk_fma_f32 v[162:163], v[162:163], v[158:159], v[166:167] op_sel:[0,0,1] op_sel_hi:[1,0,0]
	v_dual_mov_b32 v162, v165 :: v_dual_mul_f32 v158, v165, v158
	v_pk_fma_f32 v[160:161], v[164:165], v[56:57], v[160:161] op_sel_hi:[1,1,0] neg_lo:[0,0,1] neg_hi:[0,0,1]
	s_delay_alu instid0(VALU_DEP_3) | instskip(NEXT) | instid1(VALU_DEP_1)
	v_dual_mov_b32 v169, v163 :: v_dual_mov_b32 v163, v164
	v_pk_add_f32 v[136:137], v[136:137], v[168:169] neg_lo:[0,1] neg_hi:[0,1]
	s_delay_alu instid0(VALU_DEP_2) | instskip(NEXT) | instid1(VALU_DEP_1)
	v_pk_fma_f32 v[158:159], v[162:163], v[56:57], v[158:159] op_sel_hi:[1,1,0]
	v_mov_b32_e32 v161, v159
	s_delay_alu instid0(VALU_DEP_1)
	v_pk_add_f32 v[152:153], v[152:153], v[160:161] neg_lo:[0,1] neg_hi:[0,1]
.LBB75_19:
	s_or_b32 exec_lo, exec_lo, s1
	s_delay_alu instid0(SALU_CYCLE_1)
	s_mov_b32 s2, exec_lo
	s_wait_dscnt 0x0
	s_barrier_signal -1
	s_barrier_wait -1
	v_cmpx_eq_u32_e32 2, v230
	s_cbranch_execz .LBB75_26
; %bb.20:
	ds_store_b64 v231, v[46:47]
	ds_store_2addr_b64 v232, v[44:45], v[28:29] offset0:3 offset1:4
	ds_store_2addr_b64 v232, v[24:25], v[26:27] offset0:5 offset1:6
	;; [unrolled: 1-line block ×17, first 2 shown]
	ds_store_b64 v232, v[152:153] offset:296
	ds_load_b64 v[158:159], v231
	s_wait_dscnt 0x0
	v_cmp_neq_f32_e32 vcc_lo, 0, v158
	v_cmp_neq_f32_e64 s1, 0, v159
	s_or_b32 s1, vcc_lo, s1
	s_delay_alu instid0(SALU_CYCLE_1)
	s_and_b32 exec_lo, exec_lo, s1
	s_cbranch_execz .LBB75_26
; %bb.21:
	v_cmp_ngt_f32_e64 s1, |v158|, |v159|
                                        ; implicit-def: $vgpr160_vgpr161
	s_and_saveexec_b32 s4, s1
	s_delay_alu instid0(SALU_CYCLE_1)
	s_xor_b32 s1, exec_lo, s4
	s_cbranch_execz .LBB75_23
; %bb.22:
	v_div_scale_f32 v0, null, v159, v159, v158
	v_div_scale_f32 v161, vcc_lo, v158, v159, v158
	s_delay_alu instid0(VALU_DEP_2) | instskip(SKIP_1) | instid1(TRANS32_DEP_1)
	v_rcp_f32_e32 v1, v0
	v_nop
	v_fma_f32 v160, -v0, v1, 1.0
	s_delay_alu instid0(VALU_DEP_1) | instskip(NEXT) | instid1(VALU_DEP_1)
	v_fmac_f32_e32 v1, v160, v1
	v_mul_f32_e32 v160, v161, v1
	s_delay_alu instid0(VALU_DEP_1) | instskip(NEXT) | instid1(VALU_DEP_1)
	v_fma_f32 v162, -v0, v160, v161
	v_fmac_f32_e32 v160, v162, v1
	s_delay_alu instid0(VALU_DEP_1) | instskip(NEXT) | instid1(VALU_DEP_1)
	v_fma_f32 v0, -v0, v160, v161
	v_div_fmas_f32 v0, v0, v1, v160
	s_delay_alu instid0(VALU_DEP_1) | instskip(NEXT) | instid1(VALU_DEP_1)
	v_div_fixup_f32 v0, v0, v159, v158
	v_fmac_f32_e32 v159, v158, v0
	s_delay_alu instid0(VALU_DEP_1) | instskip(SKIP_1) | instid1(VALU_DEP_2)
	v_div_scale_f32 v1, null, v159, v159, 1.0
	v_div_scale_f32 v161, vcc_lo, 1.0, v159, 1.0
	v_rcp_f32_e32 v158, v1
	v_nop
	s_delay_alu instid0(TRANS32_DEP_1) | instskip(NEXT) | instid1(VALU_DEP_1)
	v_fma_f32 v160, -v1, v158, 1.0
	v_fmac_f32_e32 v158, v160, v158
	s_delay_alu instid0(VALU_DEP_1) | instskip(NEXT) | instid1(VALU_DEP_1)
	v_mul_f32_e32 v160, v161, v158
	v_fma_f32 v162, -v1, v160, v161
	s_delay_alu instid0(VALU_DEP_1) | instskip(NEXT) | instid1(VALU_DEP_1)
	v_fmac_f32_e32 v160, v162, v158
	v_fma_f32 v1, -v1, v160, v161
	s_delay_alu instid0(VALU_DEP_1) | instskip(NEXT) | instid1(VALU_DEP_1)
	v_div_fmas_f32 v1, v1, v158, v160
	v_div_fixup_f32 v1, v1, v159, 1.0
                                        ; implicit-def: $vgpr158_vgpr159
	s_delay_alu instid0(VALU_DEP_1)
	v_mul_f32_e32 v160, v0, v1
	v_xor_b32_e32 v161, 0x80000000, v1
.LBB75_23:
	s_and_not1_saveexec_b32 s1, s1
	s_cbranch_execz .LBB75_25
; %bb.24:
	v_div_scale_f32 v0, null, v158, v158, v159
	v_div_scale_f32 v161, vcc_lo, v159, v158, v159
	s_delay_alu instid0(VALU_DEP_2) | instskip(SKIP_1) | instid1(TRANS32_DEP_1)
	v_rcp_f32_e32 v1, v0
	v_nop
	v_fma_f32 v160, -v0, v1, 1.0
	s_delay_alu instid0(VALU_DEP_1) | instskip(NEXT) | instid1(VALU_DEP_1)
	v_fmac_f32_e32 v1, v160, v1
	v_mul_f32_e32 v160, v161, v1
	s_delay_alu instid0(VALU_DEP_1) | instskip(NEXT) | instid1(VALU_DEP_1)
	v_fma_f32 v162, -v0, v160, v161
	v_fmac_f32_e32 v160, v162, v1
	s_delay_alu instid0(VALU_DEP_1) | instskip(NEXT) | instid1(VALU_DEP_1)
	v_fma_f32 v0, -v0, v160, v161
	v_div_fmas_f32 v0, v0, v1, v160
	s_delay_alu instid0(VALU_DEP_1) | instskip(NEXT) | instid1(VALU_DEP_1)
	v_div_fixup_f32 v0, v0, v158, v159
	v_fmac_f32_e32 v158, v159, v0
	s_delay_alu instid0(VALU_DEP_1) | instskip(NEXT) | instid1(VALU_DEP_1)
	v_div_scale_f32 v1, null, v158, v158, 1.0
	v_rcp_f32_e32 v159, v1
	v_nop
	s_delay_alu instid0(TRANS32_DEP_1) | instskip(NEXT) | instid1(VALU_DEP_1)
	v_fma_f32 v160, -v1, v159, 1.0
	v_fmac_f32_e32 v159, v160, v159
	v_div_scale_f32 v160, vcc_lo, 1.0, v158, 1.0
	s_delay_alu instid0(VALU_DEP_1) | instskip(NEXT) | instid1(VALU_DEP_1)
	v_mul_f32_e32 v161, v160, v159
	v_fma_f32 v162, -v1, v161, v160
	s_delay_alu instid0(VALU_DEP_1) | instskip(NEXT) | instid1(VALU_DEP_1)
	v_fmac_f32_e32 v161, v162, v159
	v_fma_f32 v1, -v1, v161, v160
	s_delay_alu instid0(VALU_DEP_1) | instskip(NEXT) | instid1(VALU_DEP_1)
	v_div_fmas_f32 v1, v1, v159, v161
	v_div_fixup_f32 v160, v1, v158, 1.0
	s_delay_alu instid0(VALU_DEP_1)
	v_mul_f32_e64 v161, v0, -v160
.LBB75_25:
	s_or_b32 exec_lo, exec_lo, s1
	ds_store_b64 v231, v[160:161]
.LBB75_26:
	s_or_b32 exec_lo, exec_lo, s2
	s_wait_dscnt 0x0
	s_barrier_signal -1
	s_barrier_wait -1
	ds_load_b64 v[158:159], v231
	s_mov_b32 s1, exec_lo
	v_cmpx_lt_u32_e32 2, v230
	s_cbranch_execz .LBB75_28
; %bb.27:
	ds_load_2addr_b64 v[164:167], v232 offset0:3 offset1:4
	s_wait_dscnt 0x1
	v_pk_mul_f32 v[162:163], v[158:159], v[46:47] op_sel:[1,1] op_sel_hi:[0,1]
	s_delay_alu instid0(VALU_DEP_1) | instskip(SKIP_1) | instid1(VALU_DEP_1)
	v_pk_fma_f32 v[160:161], v[158:159], v[46:47], v[162:163] op_sel_hi:[1,0,1] neg_lo:[0,0,1] neg_hi:[0,0,1]
	v_pk_fma_f32 v[162:163], v[158:159], v[46:47], v[162:163] op_sel_hi:[1,0,1]
	v_dual_mov_b32 v46, v160 :: v_dual_mov_b32 v47, v163
	s_wait_dscnt 0x0
	s_delay_alu instid0(VALU_DEP_2) | instskip(NEXT) | instid1(VALU_DEP_1)
	v_pk_mul_f32 v[168:169], v[164:165], v[162:163] op_sel:[0,1]
	v_pk_fma_f32 v[170:171], v[164:165], v[160:161], v[168:169] op_sel:[0,0,1] op_sel_hi:[1,1,0] neg_lo:[0,0,1] neg_hi:[0,0,1]
	v_pk_fma_f32 v[164:165], v[164:165], v[160:161], v[168:169] op_sel:[0,0,1] op_sel_hi:[1,0,0]
	s_delay_alu instid0(VALU_DEP_1) | instskip(SKIP_1) | instid1(VALU_DEP_1)
	v_mov_b32_e32 v171, v165
	v_pk_mul_f32 v[164:165], v[166:167], v[162:163] op_sel:[0,1]
	v_pk_fma_f32 v[168:169], v[166:167], v[160:161], v[164:165] op_sel:[0,0,1] op_sel_hi:[1,1,0] neg_lo:[0,0,1] neg_hi:[0,0,1]
	v_pk_fma_f32 v[164:165], v[166:167], v[160:161], v[164:165] op_sel:[0,0,1] op_sel_hi:[1,0,0]
	s_delay_alu instid0(VALU_DEP_1)
	v_mov_b32_e32 v169, v165
	ds_load_2addr_b64 v[164:167], v232 offset0:5 offset1:6
	v_pk_add_f32 v[44:45], v[44:45], v[170:171] neg_lo:[0,1] neg_hi:[0,1]
	v_pk_add_f32 v[28:29], v[28:29], v[168:169] neg_lo:[0,1] neg_hi:[0,1]
	s_wait_dscnt 0x0
	v_pk_mul_f32 v[168:169], v[164:165], v[162:163] op_sel:[0,1]
	s_delay_alu instid0(VALU_DEP_1) | instskip(SKIP_2) | instid1(VALU_DEP_2)
	v_pk_fma_f32 v[170:171], v[164:165], v[160:161], v[168:169] op_sel:[0,0,1] op_sel_hi:[1,1,0] neg_lo:[0,0,1] neg_hi:[0,0,1]
	v_pk_fma_f32 v[164:165], v[164:165], v[160:161], v[168:169] op_sel:[0,0,1] op_sel_hi:[1,0,0]
	v_dual_mul_f32 v168, v167, v163 :: v_dual_mov_b32 v164, v167
	v_dual_mov_b32 v171, v165 :: v_dual_mov_b32 v165, v166
	s_delay_alu instid0(VALU_DEP_2) | instskip(SKIP_1) | instid1(VALU_DEP_3)
	v_pk_fma_f32 v[168:169], v[166:167], v[46:47], v[168:169] op_sel_hi:[1,1,0] neg_lo:[0,0,1] neg_hi:[0,0,1]
	v_mul_f32_e32 v166, v167, v160
	v_pk_add_f32 v[24:25], v[24:25], v[170:171] neg_lo:[0,1] neg_hi:[0,1]
	s_delay_alu instid0(VALU_DEP_2) | instskip(NEXT) | instid1(VALU_DEP_1)
	v_pk_fma_f32 v[164:165], v[164:165], v[46:47], v[166:167] op_sel_hi:[1,1,0]
	v_mov_b32_e32 v169, v165
	ds_load_2addr_b64 v[164:167], v232 offset0:7 offset1:8
	v_pk_add_f32 v[26:27], v[26:27], v[168:169] neg_lo:[0,1] neg_hi:[0,1]
	s_wait_dscnt 0x0
	v_pk_mul_f32 v[168:169], v[164:165], v[162:163] op_sel:[0,1]
	s_delay_alu instid0(VALU_DEP_1) | instskip(SKIP_1) | instid1(VALU_DEP_1)
	v_pk_fma_f32 v[170:171], v[164:165], v[160:161], v[168:169] op_sel:[0,0,1] op_sel_hi:[1,1,0] neg_lo:[0,0,1] neg_hi:[0,0,1]
	v_pk_fma_f32 v[164:165], v[164:165], v[160:161], v[168:169] op_sel:[0,0,1] op_sel_hi:[1,0,0]
	v_mov_b32_e32 v171, v165
	v_pk_mul_f32 v[164:165], v[166:167], v[162:163] op_sel:[0,1]
	s_delay_alu instid0(VALU_DEP_1) | instskip(SKIP_1) | instid1(VALU_DEP_1)
	v_pk_fma_f32 v[168:169], v[166:167], v[160:161], v[164:165] op_sel:[0,0,1] op_sel_hi:[1,1,0] neg_lo:[0,0,1] neg_hi:[0,0,1]
	v_pk_fma_f32 v[164:165], v[166:167], v[160:161], v[164:165] op_sel:[0,0,1] op_sel_hi:[1,0,0]
	v_mov_b32_e32 v169, v165
	ds_load_2addr_b64 v[164:167], v232 offset0:9 offset1:10
	v_pk_add_f32 v[22:23], v[22:23], v[170:171] neg_lo:[0,1] neg_hi:[0,1]
	v_pk_add_f32 v[40:41], v[40:41], v[168:169] neg_lo:[0,1] neg_hi:[0,1]
	s_wait_dscnt 0x0
	v_pk_mul_f32 v[168:169], v[164:165], v[162:163] op_sel:[0,1]
	s_delay_alu instid0(VALU_DEP_1) | instskip(SKIP_1) | instid1(VALU_DEP_1)
	v_pk_fma_f32 v[170:171], v[164:165], v[160:161], v[168:169] op_sel:[0,0,1] op_sel_hi:[1,1,0] neg_lo:[0,0,1] neg_hi:[0,0,1]
	v_pk_fma_f32 v[164:165], v[164:165], v[160:161], v[168:169] op_sel:[0,0,1] op_sel_hi:[1,0,0]
	v_mov_b32_e32 v171, v165
	v_pk_mul_f32 v[164:165], v[166:167], v[162:163] op_sel:[0,1]
	s_delay_alu instid0(VALU_DEP_1) | instskip(SKIP_1) | instid1(VALU_DEP_1)
	v_pk_fma_f32 v[168:169], v[166:167], v[160:161], v[164:165] op_sel:[0,0,1] op_sel_hi:[1,1,0] neg_lo:[0,0,1] neg_hi:[0,0,1]
	v_pk_fma_f32 v[164:165], v[166:167], v[160:161], v[164:165] op_sel:[0,0,1] op_sel_hi:[1,0,0]
	v_mov_b32_e32 v169, v165
	ds_load_2addr_b64 v[164:167], v232 offset0:11 offset1:12
	v_pk_add_f32 v[36:37], v[36:37], v[170:171] neg_lo:[0,1] neg_hi:[0,1]
	v_pk_add_f32 v[38:39], v[38:39], v[168:169] neg_lo:[0,1] neg_hi:[0,1]
	s_wait_dscnt 0x0
	v_dual_mul_f32 v168, v165, v163 :: v_dual_mul_f32 v170, v165, v160
	s_delay_alu instid0(VALU_DEP_1) | instskip(NEXT) | instid1(VALU_DEP_2)
	v_pk_fma_f32 v[168:169], v[164:165], v[46:47], v[168:169] op_sel_hi:[1,1,0] neg_lo:[0,0,1] neg_hi:[0,0,1]
	v_pk_fma_f32 v[164:165], v[164:165], v[46:47], v[170:171] op_sel:[1,0,0] op_sel_hi:[0,1,0]
	s_delay_alu instid0(VALU_DEP_1) | instskip(SKIP_1) | instid1(VALU_DEP_2)
	v_mov_b32_e32 v169, v165
	v_pk_mul_f32 v[164:165], v[166:167], v[162:163] op_sel:[0,1]
	v_pk_add_f32 v[76:77], v[76:77], v[168:169] neg_lo:[0,1] neg_hi:[0,1]
	s_delay_alu instid0(VALU_DEP_2) | instskip(SKIP_1) | instid1(VALU_DEP_1)
	v_pk_fma_f32 v[168:169], v[166:167], v[160:161], v[164:165] op_sel:[0,0,1] op_sel_hi:[1,1,0] neg_lo:[0,0,1] neg_hi:[0,0,1]
	v_pk_fma_f32 v[164:165], v[166:167], v[160:161], v[164:165] op_sel:[0,0,1] op_sel_hi:[1,0,0]
	v_mov_b32_e32 v169, v165
	ds_load_2addr_b64 v[164:167], v232 offset0:13 offset1:14
	v_pk_add_f32 v[92:93], v[92:93], v[168:169] neg_lo:[0,1] neg_hi:[0,1]
	s_wait_dscnt 0x0
	v_pk_mul_f32 v[168:169], v[164:165], v[162:163] op_sel:[0,1]
	s_delay_alu instid0(VALU_DEP_1) | instskip(SKIP_1) | instid1(VALU_DEP_1)
	v_pk_fma_f32 v[170:171], v[164:165], v[160:161], v[168:169] op_sel:[0,0,1] op_sel_hi:[1,1,0] neg_lo:[0,0,1] neg_hi:[0,0,1]
	v_pk_fma_f32 v[164:165], v[164:165], v[160:161], v[168:169] op_sel:[0,0,1] op_sel_hi:[1,0,0]
	v_mov_b32_e32 v171, v165
	v_pk_mul_f32 v[164:165], v[166:167], v[162:163] op_sel:[0,1]
	s_delay_alu instid0(VALU_DEP_2) | instskip(NEXT) | instid1(VALU_DEP_2)
	v_pk_add_f32 v[90:91], v[90:91], v[170:171] neg_lo:[0,1] neg_hi:[0,1]
	v_pk_fma_f32 v[168:169], v[166:167], v[160:161], v[164:165] op_sel:[0,0,1] op_sel_hi:[1,1,0] neg_lo:[0,0,1] neg_hi:[0,0,1]
	v_pk_fma_f32 v[164:165], v[166:167], v[160:161], v[164:165] op_sel:[0,0,1] op_sel_hi:[1,0,0]
	s_delay_alu instid0(VALU_DEP_1) | instskip(SKIP_4) | instid1(VALU_DEP_1)
	v_mov_b32_e32 v169, v165
	ds_load_2addr_b64 v[164:167], v232 offset0:15 offset1:16
	v_pk_add_f32 v[74:75], v[74:75], v[168:169] neg_lo:[0,1] neg_hi:[0,1]
	s_wait_dscnt 0x0
	v_pk_mul_f32 v[168:169], v[164:165], v[162:163] op_sel:[0,1]
	v_pk_fma_f32 v[170:171], v[164:165], v[160:161], v[168:169] op_sel:[0,0,1] op_sel_hi:[1,1,0] neg_lo:[0,0,1] neg_hi:[0,0,1]
	v_pk_fma_f32 v[164:165], v[164:165], v[160:161], v[168:169] op_sel:[0,0,1] op_sel_hi:[1,0,0]
	v_dual_mul_f32 v168, v167, v163 :: v_dual_mov_b32 v164, v167
	s_delay_alu instid0(VALU_DEP_2) | instskip(NEXT) | instid1(VALU_DEP_2)
	v_dual_mov_b32 v171, v165 :: v_dual_mov_b32 v165, v166
	v_pk_fma_f32 v[168:169], v[166:167], v[46:47], v[168:169] op_sel_hi:[1,1,0] neg_lo:[0,0,1] neg_hi:[0,0,1]
	v_mul_f32_e32 v166, v167, v160
	s_delay_alu instid0(VALU_DEP_3) | instskip(NEXT) | instid1(VALU_DEP_2)
	v_pk_add_f32 v[88:89], v[88:89], v[170:171] neg_lo:[0,1] neg_hi:[0,1]
	v_pk_fma_f32 v[164:165], v[164:165], v[46:47], v[166:167] op_sel_hi:[1,1,0]
	s_delay_alu instid0(VALU_DEP_1) | instskip(SKIP_4) | instid1(VALU_DEP_1)
	v_mov_b32_e32 v169, v165
	ds_load_2addr_b64 v[164:167], v232 offset0:17 offset1:18
	v_pk_add_f32 v[108:109], v[108:109], v[168:169] neg_lo:[0,1] neg_hi:[0,1]
	s_wait_dscnt 0x0
	v_pk_mul_f32 v[168:169], v[164:165], v[162:163] op_sel:[0,1]
	v_pk_fma_f32 v[170:171], v[164:165], v[160:161], v[168:169] op_sel:[0,0,1] op_sel_hi:[1,1,0] neg_lo:[0,0,1] neg_hi:[0,0,1]
	v_pk_fma_f32 v[164:165], v[164:165], v[160:161], v[168:169] op_sel:[0,0,1] op_sel_hi:[1,0,0]
	s_delay_alu instid0(VALU_DEP_1) | instskip(SKIP_1) | instid1(VALU_DEP_1)
	v_mov_b32_e32 v171, v165
	v_pk_mul_f32 v[164:165], v[166:167], v[162:163] op_sel:[0,1]
	v_pk_fma_f32 v[168:169], v[166:167], v[160:161], v[164:165] op_sel:[0,0,1] op_sel_hi:[1,1,0] neg_lo:[0,0,1] neg_hi:[0,0,1]
	v_pk_fma_f32 v[164:165], v[166:167], v[160:161], v[164:165] op_sel:[0,0,1] op_sel_hi:[1,0,0]
	s_delay_alu instid0(VALU_DEP_1)
	v_mov_b32_e32 v169, v165
	ds_load_2addr_b64 v[164:167], v232 offset0:19 offset1:20
	v_pk_add_f32 v[106:107], v[106:107], v[170:171] neg_lo:[0,1] neg_hi:[0,1]
	v_pk_add_f32 v[86:87], v[86:87], v[168:169] neg_lo:[0,1] neg_hi:[0,1]
	s_wait_dscnt 0x0
	v_pk_mul_f32 v[168:169], v[164:165], v[162:163] op_sel:[0,1]
	s_delay_alu instid0(VALU_DEP_1) | instskip(SKIP_1) | instid1(VALU_DEP_1)
	v_pk_fma_f32 v[170:171], v[164:165], v[160:161], v[168:169] op_sel:[0,0,1] op_sel_hi:[1,1,0] neg_lo:[0,0,1] neg_hi:[0,0,1]
	v_pk_fma_f32 v[164:165], v[164:165], v[160:161], v[168:169] op_sel:[0,0,1] op_sel_hi:[1,0,0]
	v_mov_b32_e32 v171, v165
	v_pk_mul_f32 v[164:165], v[166:167], v[162:163] op_sel:[0,1]
	s_delay_alu instid0(VALU_DEP_1) | instskip(SKIP_1) | instid1(VALU_DEP_1)
	v_pk_fma_f32 v[168:169], v[166:167], v[160:161], v[164:165] op_sel:[0,0,1] op_sel_hi:[1,1,0] neg_lo:[0,0,1] neg_hi:[0,0,1]
	v_pk_fma_f32 v[164:165], v[166:167], v[160:161], v[164:165] op_sel:[0,0,1] op_sel_hi:[1,0,0]
	v_mov_b32_e32 v169, v165
	ds_load_2addr_b64 v[164:167], v232 offset0:21 offset1:22
	v_pk_add_f32 v[104:105], v[104:105], v[170:171] neg_lo:[0,1] neg_hi:[0,1]
	v_pk_add_f32 v[130:131], v[130:131], v[168:169] neg_lo:[0,1] neg_hi:[0,1]
	s_wait_dscnt 0x0
	v_dual_mul_f32 v168, v165, v163 :: v_dual_mul_f32 v170, v165, v160
	s_delay_alu instid0(VALU_DEP_1) | instskip(NEXT) | instid1(VALU_DEP_2)
	v_pk_fma_f32 v[168:169], v[164:165], v[46:47], v[168:169] op_sel_hi:[1,1,0] neg_lo:[0,0,1] neg_hi:[0,0,1]
	v_pk_fma_f32 v[164:165], v[164:165], v[46:47], v[170:171] op_sel:[1,0,0] op_sel_hi:[0,1,0]
	s_delay_alu instid0(VALU_DEP_1) | instskip(SKIP_1) | instid1(VALU_DEP_2)
	v_mov_b32_e32 v169, v165
	v_pk_mul_f32 v[164:165], v[166:167], v[162:163] op_sel:[0,1]
	v_pk_add_f32 v[128:129], v[128:129], v[168:169] neg_lo:[0,1] neg_hi:[0,1]
	s_delay_alu instid0(VALU_DEP_2) | instskip(SKIP_1) | instid1(VALU_DEP_1)
	v_pk_fma_f32 v[168:169], v[166:167], v[160:161], v[164:165] op_sel:[0,0,1] op_sel_hi:[1,1,0] neg_lo:[0,0,1] neg_hi:[0,0,1]
	v_pk_fma_f32 v[164:165], v[166:167], v[160:161], v[164:165] op_sel:[0,0,1] op_sel_hi:[1,0,0]
	v_mov_b32_e32 v169, v165
	ds_load_2addr_b64 v[164:167], v232 offset0:23 offset1:24
	v_pk_add_f32 v[102:103], v[102:103], v[168:169] neg_lo:[0,1] neg_hi:[0,1]
	s_wait_dscnt 0x0
	v_pk_mul_f32 v[168:169], v[164:165], v[162:163] op_sel:[0,1]
	s_delay_alu instid0(VALU_DEP_1) | instskip(SKIP_1) | instid1(VALU_DEP_1)
	v_pk_fma_f32 v[170:171], v[164:165], v[160:161], v[168:169] op_sel:[0,0,1] op_sel_hi:[1,1,0] neg_lo:[0,0,1] neg_hi:[0,0,1]
	v_pk_fma_f32 v[164:165], v[164:165], v[160:161], v[168:169] op_sel:[0,0,1] op_sel_hi:[1,0,0]
	v_mov_b32_e32 v171, v165
	v_pk_mul_f32 v[164:165], v[166:167], v[162:163] op_sel:[0,1]
	s_delay_alu instid0(VALU_DEP_2) | instskip(NEXT) | instid1(VALU_DEP_2)
	v_pk_add_f32 v[126:127], v[126:127], v[170:171] neg_lo:[0,1] neg_hi:[0,1]
	v_pk_fma_f32 v[168:169], v[166:167], v[160:161], v[164:165] op_sel:[0,0,1] op_sel_hi:[1,1,0] neg_lo:[0,0,1] neg_hi:[0,0,1]
	v_pk_fma_f32 v[164:165], v[166:167], v[160:161], v[164:165] op_sel:[0,0,1] op_sel_hi:[1,0,0]
	s_delay_alu instid0(VALU_DEP_1) | instskip(SKIP_4) | instid1(VALU_DEP_1)
	v_mov_b32_e32 v169, v165
	ds_load_2addr_b64 v[164:167], v232 offset0:25 offset1:26
	v_pk_add_f32 v[144:145], v[144:145], v[168:169] neg_lo:[0,1] neg_hi:[0,1]
	s_wait_dscnt 0x0
	v_pk_mul_f32 v[168:169], v[164:165], v[162:163] op_sel:[0,1]
	v_pk_fma_f32 v[170:171], v[164:165], v[160:161], v[168:169] op_sel:[0,0,1] op_sel_hi:[1,1,0] neg_lo:[0,0,1] neg_hi:[0,0,1]
	v_pk_fma_f32 v[164:165], v[164:165], v[160:161], v[168:169] op_sel:[0,0,1] op_sel_hi:[1,0,0]
	v_dual_mul_f32 v168, v167, v163 :: v_dual_mov_b32 v164, v167
	s_delay_alu instid0(VALU_DEP_2) | instskip(NEXT) | instid1(VALU_DEP_2)
	v_dual_mov_b32 v171, v165 :: v_dual_mov_b32 v165, v166
	v_pk_fma_f32 v[168:169], v[166:167], v[46:47], v[168:169] op_sel_hi:[1,1,0] neg_lo:[0,0,1] neg_hi:[0,0,1]
	v_mul_f32_e32 v166, v167, v160
	s_delay_alu instid0(VALU_DEP_3) | instskip(NEXT) | instid1(VALU_DEP_2)
	v_pk_add_f32 v[142:143], v[142:143], v[170:171] neg_lo:[0,1] neg_hi:[0,1]
	v_pk_fma_f32 v[164:165], v[164:165], v[46:47], v[166:167] op_sel_hi:[1,1,0]
	s_delay_alu instid0(VALU_DEP_1) | instskip(SKIP_4) | instid1(VALU_DEP_1)
	v_mov_b32_e32 v169, v165
	ds_load_2addr_b64 v[164:167], v232 offset0:27 offset1:28
	v_pk_add_f32 v[150:151], v[150:151], v[168:169] neg_lo:[0,1] neg_hi:[0,1]
	s_wait_dscnt 0x0
	v_pk_mul_f32 v[168:169], v[164:165], v[162:163] op_sel:[0,1]
	v_pk_fma_f32 v[170:171], v[164:165], v[160:161], v[168:169] op_sel:[0,0,1] op_sel_hi:[1,1,0] neg_lo:[0,0,1] neg_hi:[0,0,1]
	v_pk_fma_f32 v[164:165], v[164:165], v[160:161], v[168:169] op_sel:[0,0,1] op_sel_hi:[1,0,0]
	s_delay_alu instid0(VALU_DEP_1) | instskip(SKIP_1) | instid1(VALU_DEP_1)
	v_mov_b32_e32 v171, v165
	v_pk_mul_f32 v[164:165], v[166:167], v[162:163] op_sel:[0,1]
	v_pk_fma_f32 v[168:169], v[166:167], v[160:161], v[164:165] op_sel:[0,0,1] op_sel_hi:[1,1,0] neg_lo:[0,0,1] neg_hi:[0,0,1]
	v_pk_fma_f32 v[164:165], v[166:167], v[160:161], v[164:165] op_sel:[0,0,1] op_sel_hi:[1,0,0]
	s_delay_alu instid0(VALU_DEP_1)
	v_mov_b32_e32 v169, v165
	ds_load_2addr_b64 v[164:167], v232 offset0:29 offset1:30
	v_pk_add_f32 v[140:141], v[140:141], v[170:171] neg_lo:[0,1] neg_hi:[0,1]
	v_pk_add_f32 v[148:149], v[148:149], v[168:169] neg_lo:[0,1] neg_hi:[0,1]
	s_wait_dscnt 0x0
	v_pk_mul_f32 v[168:169], v[164:165], v[162:163] op_sel:[0,1]
	s_delay_alu instid0(VALU_DEP_1) | instskip(SKIP_1) | instid1(VALU_DEP_1)
	v_pk_fma_f32 v[170:171], v[164:165], v[160:161], v[168:169] op_sel:[0,0,1] op_sel_hi:[1,1,0] neg_lo:[0,0,1] neg_hi:[0,0,1]
	v_pk_fma_f32 v[164:165], v[164:165], v[160:161], v[168:169] op_sel:[0,0,1] op_sel_hi:[1,0,0]
	v_mov_b32_e32 v171, v165
	v_pk_mul_f32 v[164:165], v[166:167], v[162:163] op_sel:[0,1]
	s_delay_alu instid0(VALU_DEP_1) | instskip(SKIP_1) | instid1(VALU_DEP_1)
	v_pk_fma_f32 v[168:169], v[166:167], v[160:161], v[164:165] op_sel:[0,0,1] op_sel_hi:[1,1,0] neg_lo:[0,0,1] neg_hi:[0,0,1]
	v_pk_fma_f32 v[164:165], v[166:167], v[160:161], v[164:165] op_sel:[0,0,1] op_sel_hi:[1,0,0]
	v_mov_b32_e32 v169, v165
	ds_load_2addr_b64 v[164:167], v232 offset0:31 offset1:32
	v_pk_add_f32 v[114:115], v[114:115], v[170:171] neg_lo:[0,1] neg_hi:[0,1]
	v_pk_add_f32 v[116:117], v[116:117], v[168:169] neg_lo:[0,1] neg_hi:[0,1]
	s_wait_dscnt 0x0
	v_dual_mul_f32 v168, v165, v163 :: v_dual_mul_f32 v170, v165, v160
	s_delay_alu instid0(VALU_DEP_1) | instskip(NEXT) | instid1(VALU_DEP_2)
	v_pk_fma_f32 v[168:169], v[164:165], v[46:47], v[168:169] op_sel_hi:[1,1,0] neg_lo:[0,0,1] neg_hi:[0,0,1]
	v_pk_fma_f32 v[164:165], v[164:165], v[46:47], v[170:171] op_sel:[1,0,0] op_sel_hi:[0,1,0]
	s_delay_alu instid0(VALU_DEP_1) | instskip(SKIP_1) | instid1(VALU_DEP_2)
	v_mov_b32_e32 v169, v165
	v_pk_mul_f32 v[164:165], v[166:167], v[162:163] op_sel:[0,1]
	v_pk_add_f32 v[112:113], v[112:113], v[168:169] neg_lo:[0,1] neg_hi:[0,1]
	s_delay_alu instid0(VALU_DEP_2) | instskip(SKIP_1) | instid1(VALU_DEP_1)
	v_pk_fma_f32 v[168:169], v[166:167], v[160:161], v[164:165] op_sel:[0,0,1] op_sel_hi:[1,1,0] neg_lo:[0,0,1] neg_hi:[0,0,1]
	v_pk_fma_f32 v[164:165], v[166:167], v[160:161], v[164:165] op_sel:[0,0,1] op_sel_hi:[1,0,0]
	v_mov_b32_e32 v169, v165
	ds_load_2addr_b64 v[164:167], v232 offset0:33 offset1:34
	v_pk_add_f32 v[134:135], v[134:135], v[168:169] neg_lo:[0,1] neg_hi:[0,1]
	s_wait_dscnt 0x0
	v_pk_mul_f32 v[168:169], v[164:165], v[162:163] op_sel:[0,1]
	s_delay_alu instid0(VALU_DEP_1) | instskip(SKIP_1) | instid1(VALU_DEP_1)
	v_pk_fma_f32 v[170:171], v[164:165], v[160:161], v[168:169] op_sel:[0,0,1] op_sel_hi:[1,1,0] neg_lo:[0,0,1] neg_hi:[0,0,1]
	v_pk_fma_f32 v[164:165], v[164:165], v[160:161], v[168:169] op_sel:[0,0,1] op_sel_hi:[1,0,0]
	v_mov_b32_e32 v171, v165
	v_pk_mul_f32 v[164:165], v[166:167], v[162:163] op_sel:[0,1]
	s_delay_alu instid0(VALU_DEP_2) | instskip(NEXT) | instid1(VALU_DEP_2)
	v_pk_add_f32 v[132:133], v[132:133], v[170:171] neg_lo:[0,1] neg_hi:[0,1]
	v_pk_fma_f32 v[168:169], v[166:167], v[160:161], v[164:165] op_sel:[0,0,1] op_sel_hi:[1,1,0] neg_lo:[0,0,1] neg_hi:[0,0,1]
	v_pk_fma_f32 v[164:165], v[166:167], v[160:161], v[164:165] op_sel:[0,0,1] op_sel_hi:[1,0,0]
	s_delay_alu instid0(VALU_DEP_1) | instskip(SKIP_4) | instid1(VALU_DEP_1)
	v_mov_b32_e32 v169, v165
	ds_load_2addr_b64 v[164:167], v232 offset0:35 offset1:36
	v_pk_add_f32 v[146:147], v[146:147], v[168:169] neg_lo:[0,1] neg_hi:[0,1]
	s_wait_dscnt 0x0
	v_pk_mul_f32 v[168:169], v[164:165], v[162:163] op_sel:[0,1]
	v_pk_fma_f32 v[170:171], v[164:165], v[160:161], v[168:169] op_sel:[0,0,1] op_sel_hi:[1,1,0] neg_lo:[0,0,1] neg_hi:[0,0,1]
	v_pk_fma_f32 v[164:165], v[164:165], v[160:161], v[168:169] op_sel:[0,0,1] op_sel_hi:[1,0,0]
	v_dual_mul_f32 v168, v167, v163 :: v_dual_mov_b32 v164, v167
	s_delay_alu instid0(VALU_DEP_2) | instskip(NEXT) | instid1(VALU_DEP_2)
	v_dual_mov_b32 v171, v165 :: v_dual_mov_b32 v165, v166
	v_pk_fma_f32 v[168:169], v[166:167], v[46:47], v[168:169] op_sel_hi:[1,1,0] neg_lo:[0,0,1] neg_hi:[0,0,1]
	v_mul_f32_e32 v166, v167, v160
	s_delay_alu instid0(VALU_DEP_3) | instskip(NEXT) | instid1(VALU_DEP_2)
	v_pk_add_f32 v[138:139], v[138:139], v[170:171] neg_lo:[0,1] neg_hi:[0,1]
	v_pk_fma_f32 v[164:165], v[164:165], v[46:47], v[166:167] op_sel_hi:[1,1,0]
	s_delay_alu instid0(VALU_DEP_1) | instskip(SKIP_4) | instid1(VALU_DEP_1)
	v_mov_b32_e32 v169, v165
	ds_load_b64 v[164:165], v232 offset:296
	v_pk_add_f32 v[136:137], v[136:137], v[168:169] neg_lo:[0,1] neg_hi:[0,1]
	s_wait_dscnt 0x0
	v_pk_mul_f32 v[162:163], v[164:165], v[162:163] op_sel:[0,1]
	v_pk_fma_f32 v[166:167], v[164:165], v[160:161], v[162:163] op_sel:[0,0,1] op_sel_hi:[1,1,0] neg_lo:[0,0,1] neg_hi:[0,0,1]
	v_pk_fma_f32 v[160:161], v[164:165], v[160:161], v[162:163] op_sel:[0,0,1] op_sel_hi:[1,0,0]
	s_delay_alu instid0(VALU_DEP_1) | instskip(NEXT) | instid1(VALU_DEP_1)
	v_mov_b32_e32 v167, v161
	v_pk_add_f32 v[152:153], v[152:153], v[166:167] neg_lo:[0,1] neg_hi:[0,1]
.LBB75_28:
	s_or_b32 exec_lo, exec_lo, s1
	s_delay_alu instid0(SALU_CYCLE_1)
	s_mov_b32 s2, exec_lo
	s_wait_dscnt 0x0
	s_barrier_signal -1
	s_barrier_wait -1
	v_cmpx_eq_u32_e32 3, v230
	s_cbranch_execz .LBB75_35
; %bb.29:
	v_dual_mov_b32 v160, v28 :: v_dual_mov_b32 v161, v29
	v_dual_mov_b32 v162, v24 :: v_dual_mov_b32 v163, v25
	;; [unrolled: 1-line block ×10, first 2 shown]
	ds_store_b64 v231, v[44:45]
	v_dual_mov_b32 v180, v74 :: v_dual_mov_b32 v181, v75
	v_dual_mov_b32 v182, v88 :: v_dual_mov_b32 v183, v89
	ds_store_2addr_b64 v232, v[160:161], v[162:163] offset0:4 offset1:5
	ds_store_2addr_b64 v232, v[164:165], v[166:167] offset0:6 offset1:7
	;; [unrolled: 1-line block ×6, first 2 shown]
	v_dual_mov_b32 v160, v108 :: v_dual_mov_b32 v161, v109
	v_dual_mov_b32 v162, v106 :: v_dual_mov_b32 v163, v107
	;; [unrolled: 1-line block ×12, first 2 shown]
	ds_store_2addr_b64 v232, v[160:161], v[162:163] offset0:16 offset1:17
	ds_store_2addr_b64 v232, v[164:165], v[166:167] offset0:18 offset1:19
	;; [unrolled: 1-line block ×6, first 2 shown]
	v_dual_mov_b32 v160, v148 :: v_dual_mov_b32 v161, v149
	v_dual_mov_b32 v162, v114 :: v_dual_mov_b32 v163, v115
	;; [unrolled: 1-line block ×9, first 2 shown]
	ds_store_2addr_b64 v232, v[160:161], v[162:163] offset0:28 offset1:29
	ds_store_2addr_b64 v232, v[164:165], v[166:167] offset0:30 offset1:31
	ds_store_2addr_b64 v232, v[168:169], v[170:171] offset0:32 offset1:33
	ds_store_2addr_b64 v232, v[172:173], v[174:175] offset0:34 offset1:35
	ds_store_2addr_b64 v232, v[176:177], v[152:153] offset0:36 offset1:37
	ds_load_b64 v[160:161], v231
	s_wait_dscnt 0x0
	v_cmp_neq_f32_e32 vcc_lo, 0, v160
	v_cmp_neq_f32_e64 s1, 0, v161
	s_or_b32 s1, vcc_lo, s1
	s_delay_alu instid0(SALU_CYCLE_1)
	s_and_b32 exec_lo, exec_lo, s1
	s_cbranch_execz .LBB75_35
; %bb.30:
	v_cmp_ngt_f32_e64 s1, |v160|, |v161|
                                        ; implicit-def: $vgpr162_vgpr163
	s_and_saveexec_b32 s4, s1
	s_delay_alu instid0(SALU_CYCLE_1)
	s_xor_b32 s1, exec_lo, s4
	s_cbranch_execz .LBB75_32
; %bb.31:
	v_div_scale_f32 v0, null, v161, v161, v160
	v_div_scale_f32 v163, vcc_lo, v160, v161, v160
	s_delay_alu instid0(VALU_DEP_2) | instskip(SKIP_1) | instid1(TRANS32_DEP_1)
	v_rcp_f32_e32 v1, v0
	v_nop
	v_fma_f32 v162, -v0, v1, 1.0
	s_delay_alu instid0(VALU_DEP_1) | instskip(NEXT) | instid1(VALU_DEP_1)
	v_fmac_f32_e32 v1, v162, v1
	v_mul_f32_e32 v162, v163, v1
	s_delay_alu instid0(VALU_DEP_1) | instskip(NEXT) | instid1(VALU_DEP_1)
	v_fma_f32 v164, -v0, v162, v163
	v_fmac_f32_e32 v162, v164, v1
	s_delay_alu instid0(VALU_DEP_1) | instskip(NEXT) | instid1(VALU_DEP_1)
	v_fma_f32 v0, -v0, v162, v163
	v_div_fmas_f32 v0, v0, v1, v162
	s_delay_alu instid0(VALU_DEP_1) | instskip(NEXT) | instid1(VALU_DEP_1)
	v_div_fixup_f32 v0, v0, v161, v160
	v_fmac_f32_e32 v161, v160, v0
	s_delay_alu instid0(VALU_DEP_1) | instskip(SKIP_1) | instid1(VALU_DEP_2)
	v_div_scale_f32 v1, null, v161, v161, 1.0
	v_div_scale_f32 v163, vcc_lo, 1.0, v161, 1.0
	v_rcp_f32_e32 v160, v1
	v_nop
	s_delay_alu instid0(TRANS32_DEP_1) | instskip(NEXT) | instid1(VALU_DEP_1)
	v_fma_f32 v162, -v1, v160, 1.0
	v_fmac_f32_e32 v160, v162, v160
	s_delay_alu instid0(VALU_DEP_1) | instskip(NEXT) | instid1(VALU_DEP_1)
	v_mul_f32_e32 v162, v163, v160
	v_fma_f32 v164, -v1, v162, v163
	s_delay_alu instid0(VALU_DEP_1) | instskip(NEXT) | instid1(VALU_DEP_1)
	v_fmac_f32_e32 v162, v164, v160
	v_fma_f32 v1, -v1, v162, v163
	s_delay_alu instid0(VALU_DEP_1) | instskip(NEXT) | instid1(VALU_DEP_1)
	v_div_fmas_f32 v1, v1, v160, v162
	v_div_fixup_f32 v1, v1, v161, 1.0
                                        ; implicit-def: $vgpr160_vgpr161
	s_delay_alu instid0(VALU_DEP_1)
	v_mul_f32_e32 v162, v0, v1
	v_xor_b32_e32 v163, 0x80000000, v1
.LBB75_32:
	s_and_not1_saveexec_b32 s1, s1
	s_cbranch_execz .LBB75_34
; %bb.33:
	v_div_scale_f32 v0, null, v160, v160, v161
	v_div_scale_f32 v163, vcc_lo, v161, v160, v161
	s_delay_alu instid0(VALU_DEP_2) | instskip(SKIP_1) | instid1(TRANS32_DEP_1)
	v_rcp_f32_e32 v1, v0
	v_nop
	v_fma_f32 v162, -v0, v1, 1.0
	s_delay_alu instid0(VALU_DEP_1) | instskip(NEXT) | instid1(VALU_DEP_1)
	v_fmac_f32_e32 v1, v162, v1
	v_mul_f32_e32 v162, v163, v1
	s_delay_alu instid0(VALU_DEP_1) | instskip(NEXT) | instid1(VALU_DEP_1)
	v_fma_f32 v164, -v0, v162, v163
	v_fmac_f32_e32 v162, v164, v1
	s_delay_alu instid0(VALU_DEP_1) | instskip(NEXT) | instid1(VALU_DEP_1)
	v_fma_f32 v0, -v0, v162, v163
	v_div_fmas_f32 v0, v0, v1, v162
	s_delay_alu instid0(VALU_DEP_1) | instskip(NEXT) | instid1(VALU_DEP_1)
	v_div_fixup_f32 v0, v0, v160, v161
	v_fmac_f32_e32 v160, v161, v0
	s_delay_alu instid0(VALU_DEP_1) | instskip(NEXT) | instid1(VALU_DEP_1)
	v_div_scale_f32 v1, null, v160, v160, 1.0
	v_rcp_f32_e32 v161, v1
	v_nop
	s_delay_alu instid0(TRANS32_DEP_1) | instskip(NEXT) | instid1(VALU_DEP_1)
	v_fma_f32 v162, -v1, v161, 1.0
	v_fmac_f32_e32 v161, v162, v161
	v_div_scale_f32 v162, vcc_lo, 1.0, v160, 1.0
	s_delay_alu instid0(VALU_DEP_1) | instskip(NEXT) | instid1(VALU_DEP_1)
	v_mul_f32_e32 v163, v162, v161
	v_fma_f32 v164, -v1, v163, v162
	s_delay_alu instid0(VALU_DEP_1) | instskip(NEXT) | instid1(VALU_DEP_1)
	v_fmac_f32_e32 v163, v164, v161
	v_fma_f32 v1, -v1, v163, v162
	s_delay_alu instid0(VALU_DEP_1) | instskip(NEXT) | instid1(VALU_DEP_1)
	v_div_fmas_f32 v1, v1, v161, v163
	v_div_fixup_f32 v162, v1, v160, 1.0
	s_delay_alu instid0(VALU_DEP_1)
	v_mul_f32_e64 v163, v0, -v162
.LBB75_34:
	s_or_b32 exec_lo, exec_lo, s1
	ds_store_b64 v231, v[162:163]
.LBB75_35:
	s_or_b32 exec_lo, exec_lo, s2
	s_wait_dscnt 0x0
	s_barrier_signal -1
	s_barrier_wait -1
	ds_load_b64 v[160:161], v231
	s_mov_b32 s1, exec_lo
	v_cmpx_lt_u32_e32 3, v230
	s_cbranch_execz .LBB75_37
; %bb.36:
	ds_load_2addr_b64 v[166:169], v232 offset0:4 offset1:5
	s_wait_dscnt 0x1
	v_pk_mul_f32 v[164:165], v[160:161], v[44:45] op_sel:[1,1] op_sel_hi:[0,1]
	s_delay_alu instid0(VALU_DEP_1) | instskip(SKIP_1) | instid1(VALU_DEP_1)
	v_pk_fma_f32 v[162:163], v[160:161], v[44:45], v[164:165] op_sel_hi:[1,0,1] neg_lo:[0,0,1] neg_hi:[0,0,1]
	v_pk_fma_f32 v[164:165], v[160:161], v[44:45], v[164:165] op_sel_hi:[1,0,1]
	v_dual_mov_b32 v44, v162 :: v_dual_mov_b32 v45, v165
	s_wait_dscnt 0x0
	s_delay_alu instid0(VALU_DEP_2) | instskip(NEXT) | instid1(VALU_DEP_1)
	v_pk_mul_f32 v[170:171], v[166:167], v[164:165] op_sel:[0,1]
	v_pk_fma_f32 v[172:173], v[166:167], v[162:163], v[170:171] op_sel:[0,0,1] op_sel_hi:[1,1,0] neg_lo:[0,0,1] neg_hi:[0,0,1]
	v_pk_fma_f32 v[166:167], v[166:167], v[162:163], v[170:171] op_sel:[0,0,1] op_sel_hi:[1,0,0]
	s_delay_alu instid0(VALU_DEP_1) | instskip(SKIP_1) | instid1(VALU_DEP_1)
	v_mov_b32_e32 v173, v167
	v_pk_mul_f32 v[166:167], v[168:169], v[164:165] op_sel:[0,1]
	v_pk_fma_f32 v[170:171], v[168:169], v[162:163], v[166:167] op_sel:[0,0,1] op_sel_hi:[1,1,0] neg_lo:[0,0,1] neg_hi:[0,0,1]
	v_pk_fma_f32 v[166:167], v[168:169], v[162:163], v[166:167] op_sel:[0,0,1] op_sel_hi:[1,0,0]
	s_delay_alu instid0(VALU_DEP_1)
	v_mov_b32_e32 v171, v167
	ds_load_2addr_b64 v[166:169], v232 offset0:6 offset1:7
	v_pk_add_f32 v[28:29], v[28:29], v[172:173] neg_lo:[0,1] neg_hi:[0,1]
	v_pk_add_f32 v[24:25], v[24:25], v[170:171] neg_lo:[0,1] neg_hi:[0,1]
	s_wait_dscnt 0x0
	v_pk_mul_f32 v[170:171], v[166:167], v[164:165] op_sel:[0,1]
	s_delay_alu instid0(VALU_DEP_1) | instskip(SKIP_2) | instid1(VALU_DEP_2)
	v_pk_fma_f32 v[172:173], v[166:167], v[162:163], v[170:171] op_sel:[0,0,1] op_sel_hi:[1,1,0] neg_lo:[0,0,1] neg_hi:[0,0,1]
	v_pk_fma_f32 v[166:167], v[166:167], v[162:163], v[170:171] op_sel:[0,0,1] op_sel_hi:[1,0,0]
	v_dual_mul_f32 v170, v169, v165 :: v_dual_mov_b32 v166, v169
	v_dual_mov_b32 v173, v167 :: v_dual_mov_b32 v167, v168
	s_delay_alu instid0(VALU_DEP_2) | instskip(SKIP_1) | instid1(VALU_DEP_3)
	v_pk_fma_f32 v[170:171], v[168:169], v[44:45], v[170:171] op_sel_hi:[1,1,0] neg_lo:[0,0,1] neg_hi:[0,0,1]
	v_mul_f32_e32 v168, v169, v162
	v_pk_add_f32 v[26:27], v[26:27], v[172:173] neg_lo:[0,1] neg_hi:[0,1]
	s_delay_alu instid0(VALU_DEP_2) | instskip(NEXT) | instid1(VALU_DEP_1)
	v_pk_fma_f32 v[166:167], v[166:167], v[44:45], v[168:169] op_sel_hi:[1,1,0]
	v_mov_b32_e32 v171, v167
	ds_load_2addr_b64 v[166:169], v232 offset0:8 offset1:9
	v_pk_add_f32 v[22:23], v[22:23], v[170:171] neg_lo:[0,1] neg_hi:[0,1]
	s_wait_dscnt 0x0
	v_pk_mul_f32 v[170:171], v[166:167], v[164:165] op_sel:[0,1]
	s_delay_alu instid0(VALU_DEP_1) | instskip(SKIP_1) | instid1(VALU_DEP_1)
	v_pk_fma_f32 v[172:173], v[166:167], v[162:163], v[170:171] op_sel:[0,0,1] op_sel_hi:[1,1,0] neg_lo:[0,0,1] neg_hi:[0,0,1]
	v_pk_fma_f32 v[166:167], v[166:167], v[162:163], v[170:171] op_sel:[0,0,1] op_sel_hi:[1,0,0]
	v_mov_b32_e32 v173, v167
	v_pk_mul_f32 v[166:167], v[168:169], v[164:165] op_sel:[0,1]
	s_delay_alu instid0(VALU_DEP_1) | instskip(SKIP_1) | instid1(VALU_DEP_1)
	v_pk_fma_f32 v[170:171], v[168:169], v[162:163], v[166:167] op_sel:[0,0,1] op_sel_hi:[1,1,0] neg_lo:[0,0,1] neg_hi:[0,0,1]
	v_pk_fma_f32 v[166:167], v[168:169], v[162:163], v[166:167] op_sel:[0,0,1] op_sel_hi:[1,0,0]
	v_mov_b32_e32 v171, v167
	ds_load_2addr_b64 v[166:169], v232 offset0:10 offset1:11
	v_pk_add_f32 v[40:41], v[40:41], v[172:173] neg_lo:[0,1] neg_hi:[0,1]
	v_pk_add_f32 v[36:37], v[36:37], v[170:171] neg_lo:[0,1] neg_hi:[0,1]
	s_wait_dscnt 0x0
	v_pk_mul_f32 v[170:171], v[166:167], v[164:165] op_sel:[0,1]
	s_delay_alu instid0(VALU_DEP_1) | instskip(SKIP_1) | instid1(VALU_DEP_1)
	v_pk_fma_f32 v[172:173], v[166:167], v[162:163], v[170:171] op_sel:[0,0,1] op_sel_hi:[1,1,0] neg_lo:[0,0,1] neg_hi:[0,0,1]
	v_pk_fma_f32 v[166:167], v[166:167], v[162:163], v[170:171] op_sel:[0,0,1] op_sel_hi:[1,0,0]
	v_mov_b32_e32 v173, v167
	v_pk_mul_f32 v[166:167], v[168:169], v[164:165] op_sel:[0,1]
	s_delay_alu instid0(VALU_DEP_1) | instskip(SKIP_1) | instid1(VALU_DEP_1)
	v_pk_fma_f32 v[170:171], v[168:169], v[162:163], v[166:167] op_sel:[0,0,1] op_sel_hi:[1,1,0] neg_lo:[0,0,1] neg_hi:[0,0,1]
	v_pk_fma_f32 v[166:167], v[168:169], v[162:163], v[166:167] op_sel:[0,0,1] op_sel_hi:[1,0,0]
	v_mov_b32_e32 v171, v167
	ds_load_2addr_b64 v[166:169], v232 offset0:12 offset1:13
	v_pk_add_f32 v[38:39], v[38:39], v[172:173] neg_lo:[0,1] neg_hi:[0,1]
	v_pk_add_f32 v[76:77], v[76:77], v[170:171] neg_lo:[0,1] neg_hi:[0,1]
	s_wait_dscnt 0x0
	v_dual_mul_f32 v170, v167, v165 :: v_dual_mul_f32 v172, v167, v162
	s_delay_alu instid0(VALU_DEP_1) | instskip(NEXT) | instid1(VALU_DEP_2)
	v_pk_fma_f32 v[170:171], v[166:167], v[44:45], v[170:171] op_sel_hi:[1,1,0] neg_lo:[0,0,1] neg_hi:[0,0,1]
	v_pk_fma_f32 v[166:167], v[166:167], v[44:45], v[172:173] op_sel:[1,0,0] op_sel_hi:[0,1,0]
	s_delay_alu instid0(VALU_DEP_1) | instskip(SKIP_1) | instid1(VALU_DEP_2)
	v_mov_b32_e32 v171, v167
	v_pk_mul_f32 v[166:167], v[168:169], v[164:165] op_sel:[0,1]
	v_pk_add_f32 v[92:93], v[92:93], v[170:171] neg_lo:[0,1] neg_hi:[0,1]
	s_delay_alu instid0(VALU_DEP_2) | instskip(SKIP_1) | instid1(VALU_DEP_1)
	v_pk_fma_f32 v[170:171], v[168:169], v[162:163], v[166:167] op_sel:[0,0,1] op_sel_hi:[1,1,0] neg_lo:[0,0,1] neg_hi:[0,0,1]
	v_pk_fma_f32 v[166:167], v[168:169], v[162:163], v[166:167] op_sel:[0,0,1] op_sel_hi:[1,0,0]
	v_mov_b32_e32 v171, v167
	ds_load_2addr_b64 v[166:169], v232 offset0:14 offset1:15
	v_pk_add_f32 v[90:91], v[90:91], v[170:171] neg_lo:[0,1] neg_hi:[0,1]
	s_wait_dscnt 0x0
	v_pk_mul_f32 v[170:171], v[166:167], v[164:165] op_sel:[0,1]
	s_delay_alu instid0(VALU_DEP_1) | instskip(SKIP_1) | instid1(VALU_DEP_1)
	v_pk_fma_f32 v[172:173], v[166:167], v[162:163], v[170:171] op_sel:[0,0,1] op_sel_hi:[1,1,0] neg_lo:[0,0,1] neg_hi:[0,0,1]
	v_pk_fma_f32 v[166:167], v[166:167], v[162:163], v[170:171] op_sel:[0,0,1] op_sel_hi:[1,0,0]
	v_mov_b32_e32 v173, v167
	v_pk_mul_f32 v[166:167], v[168:169], v[164:165] op_sel:[0,1]
	s_delay_alu instid0(VALU_DEP_2) | instskip(NEXT) | instid1(VALU_DEP_2)
	v_pk_add_f32 v[74:75], v[74:75], v[172:173] neg_lo:[0,1] neg_hi:[0,1]
	v_pk_fma_f32 v[170:171], v[168:169], v[162:163], v[166:167] op_sel:[0,0,1] op_sel_hi:[1,1,0] neg_lo:[0,0,1] neg_hi:[0,0,1]
	v_pk_fma_f32 v[166:167], v[168:169], v[162:163], v[166:167] op_sel:[0,0,1] op_sel_hi:[1,0,0]
	s_delay_alu instid0(VALU_DEP_1) | instskip(SKIP_4) | instid1(VALU_DEP_1)
	v_mov_b32_e32 v171, v167
	ds_load_2addr_b64 v[166:169], v232 offset0:16 offset1:17
	v_pk_add_f32 v[88:89], v[88:89], v[170:171] neg_lo:[0,1] neg_hi:[0,1]
	s_wait_dscnt 0x0
	v_pk_mul_f32 v[170:171], v[166:167], v[164:165] op_sel:[0,1]
	v_pk_fma_f32 v[172:173], v[166:167], v[162:163], v[170:171] op_sel:[0,0,1] op_sel_hi:[1,1,0] neg_lo:[0,0,1] neg_hi:[0,0,1]
	v_pk_fma_f32 v[166:167], v[166:167], v[162:163], v[170:171] op_sel:[0,0,1] op_sel_hi:[1,0,0]
	v_dual_mul_f32 v170, v169, v165 :: v_dual_mov_b32 v166, v169
	s_delay_alu instid0(VALU_DEP_2) | instskip(NEXT) | instid1(VALU_DEP_2)
	v_dual_mov_b32 v173, v167 :: v_dual_mov_b32 v167, v168
	v_pk_fma_f32 v[170:171], v[168:169], v[44:45], v[170:171] op_sel_hi:[1,1,0] neg_lo:[0,0,1] neg_hi:[0,0,1]
	v_mul_f32_e32 v168, v169, v162
	s_delay_alu instid0(VALU_DEP_3) | instskip(NEXT) | instid1(VALU_DEP_2)
	v_pk_add_f32 v[108:109], v[108:109], v[172:173] neg_lo:[0,1] neg_hi:[0,1]
	v_pk_fma_f32 v[166:167], v[166:167], v[44:45], v[168:169] op_sel_hi:[1,1,0]
	s_delay_alu instid0(VALU_DEP_1) | instskip(SKIP_4) | instid1(VALU_DEP_1)
	v_mov_b32_e32 v171, v167
	ds_load_2addr_b64 v[166:169], v232 offset0:18 offset1:19
	v_pk_add_f32 v[106:107], v[106:107], v[170:171] neg_lo:[0,1] neg_hi:[0,1]
	s_wait_dscnt 0x0
	v_pk_mul_f32 v[170:171], v[166:167], v[164:165] op_sel:[0,1]
	v_pk_fma_f32 v[172:173], v[166:167], v[162:163], v[170:171] op_sel:[0,0,1] op_sel_hi:[1,1,0] neg_lo:[0,0,1] neg_hi:[0,0,1]
	v_pk_fma_f32 v[166:167], v[166:167], v[162:163], v[170:171] op_sel:[0,0,1] op_sel_hi:[1,0,0]
	s_delay_alu instid0(VALU_DEP_1) | instskip(SKIP_1) | instid1(VALU_DEP_1)
	v_mov_b32_e32 v173, v167
	v_pk_mul_f32 v[166:167], v[168:169], v[164:165] op_sel:[0,1]
	v_pk_fma_f32 v[170:171], v[168:169], v[162:163], v[166:167] op_sel:[0,0,1] op_sel_hi:[1,1,0] neg_lo:[0,0,1] neg_hi:[0,0,1]
	v_pk_fma_f32 v[166:167], v[168:169], v[162:163], v[166:167] op_sel:[0,0,1] op_sel_hi:[1,0,0]
	s_delay_alu instid0(VALU_DEP_1)
	v_mov_b32_e32 v171, v167
	ds_load_2addr_b64 v[166:169], v232 offset0:20 offset1:21
	v_pk_add_f32 v[86:87], v[86:87], v[172:173] neg_lo:[0,1] neg_hi:[0,1]
	v_pk_add_f32 v[104:105], v[104:105], v[170:171] neg_lo:[0,1] neg_hi:[0,1]
	s_wait_dscnt 0x0
	v_pk_mul_f32 v[170:171], v[166:167], v[164:165] op_sel:[0,1]
	s_delay_alu instid0(VALU_DEP_1) | instskip(SKIP_1) | instid1(VALU_DEP_1)
	v_pk_fma_f32 v[172:173], v[166:167], v[162:163], v[170:171] op_sel:[0,0,1] op_sel_hi:[1,1,0] neg_lo:[0,0,1] neg_hi:[0,0,1]
	v_pk_fma_f32 v[166:167], v[166:167], v[162:163], v[170:171] op_sel:[0,0,1] op_sel_hi:[1,0,0]
	v_mov_b32_e32 v173, v167
	v_pk_mul_f32 v[166:167], v[168:169], v[164:165] op_sel:[0,1]
	s_delay_alu instid0(VALU_DEP_1) | instskip(SKIP_1) | instid1(VALU_DEP_1)
	v_pk_fma_f32 v[170:171], v[168:169], v[162:163], v[166:167] op_sel:[0,0,1] op_sel_hi:[1,1,0] neg_lo:[0,0,1] neg_hi:[0,0,1]
	v_pk_fma_f32 v[166:167], v[168:169], v[162:163], v[166:167] op_sel:[0,0,1] op_sel_hi:[1,0,0]
	v_mov_b32_e32 v171, v167
	ds_load_2addr_b64 v[166:169], v232 offset0:22 offset1:23
	v_pk_add_f32 v[130:131], v[130:131], v[172:173] neg_lo:[0,1] neg_hi:[0,1]
	v_pk_add_f32 v[128:129], v[128:129], v[170:171] neg_lo:[0,1] neg_hi:[0,1]
	s_wait_dscnt 0x0
	v_dual_mul_f32 v170, v167, v165 :: v_dual_mul_f32 v172, v167, v162
	s_delay_alu instid0(VALU_DEP_1) | instskip(NEXT) | instid1(VALU_DEP_2)
	v_pk_fma_f32 v[170:171], v[166:167], v[44:45], v[170:171] op_sel_hi:[1,1,0] neg_lo:[0,0,1] neg_hi:[0,0,1]
	v_pk_fma_f32 v[166:167], v[166:167], v[44:45], v[172:173] op_sel:[1,0,0] op_sel_hi:[0,1,0]
	s_delay_alu instid0(VALU_DEP_1) | instskip(SKIP_1) | instid1(VALU_DEP_2)
	v_mov_b32_e32 v171, v167
	v_pk_mul_f32 v[166:167], v[168:169], v[164:165] op_sel:[0,1]
	v_pk_add_f32 v[102:103], v[102:103], v[170:171] neg_lo:[0,1] neg_hi:[0,1]
	s_delay_alu instid0(VALU_DEP_2) | instskip(SKIP_1) | instid1(VALU_DEP_1)
	v_pk_fma_f32 v[170:171], v[168:169], v[162:163], v[166:167] op_sel:[0,0,1] op_sel_hi:[1,1,0] neg_lo:[0,0,1] neg_hi:[0,0,1]
	v_pk_fma_f32 v[166:167], v[168:169], v[162:163], v[166:167] op_sel:[0,0,1] op_sel_hi:[1,0,0]
	v_mov_b32_e32 v171, v167
	ds_load_2addr_b64 v[166:169], v232 offset0:24 offset1:25
	v_pk_add_f32 v[126:127], v[126:127], v[170:171] neg_lo:[0,1] neg_hi:[0,1]
	s_wait_dscnt 0x0
	v_pk_mul_f32 v[170:171], v[166:167], v[164:165] op_sel:[0,1]
	s_delay_alu instid0(VALU_DEP_1) | instskip(SKIP_1) | instid1(VALU_DEP_1)
	v_pk_fma_f32 v[172:173], v[166:167], v[162:163], v[170:171] op_sel:[0,0,1] op_sel_hi:[1,1,0] neg_lo:[0,0,1] neg_hi:[0,0,1]
	v_pk_fma_f32 v[166:167], v[166:167], v[162:163], v[170:171] op_sel:[0,0,1] op_sel_hi:[1,0,0]
	v_mov_b32_e32 v173, v167
	v_pk_mul_f32 v[166:167], v[168:169], v[164:165] op_sel:[0,1]
	s_delay_alu instid0(VALU_DEP_2) | instskip(NEXT) | instid1(VALU_DEP_2)
	v_pk_add_f32 v[144:145], v[144:145], v[172:173] neg_lo:[0,1] neg_hi:[0,1]
	v_pk_fma_f32 v[170:171], v[168:169], v[162:163], v[166:167] op_sel:[0,0,1] op_sel_hi:[1,1,0] neg_lo:[0,0,1] neg_hi:[0,0,1]
	v_pk_fma_f32 v[166:167], v[168:169], v[162:163], v[166:167] op_sel:[0,0,1] op_sel_hi:[1,0,0]
	s_delay_alu instid0(VALU_DEP_1) | instskip(SKIP_4) | instid1(VALU_DEP_1)
	v_mov_b32_e32 v171, v167
	ds_load_2addr_b64 v[166:169], v232 offset0:26 offset1:27
	v_pk_add_f32 v[142:143], v[142:143], v[170:171] neg_lo:[0,1] neg_hi:[0,1]
	s_wait_dscnt 0x0
	v_pk_mul_f32 v[170:171], v[166:167], v[164:165] op_sel:[0,1]
	v_pk_fma_f32 v[172:173], v[166:167], v[162:163], v[170:171] op_sel:[0,0,1] op_sel_hi:[1,1,0] neg_lo:[0,0,1] neg_hi:[0,0,1]
	v_pk_fma_f32 v[166:167], v[166:167], v[162:163], v[170:171] op_sel:[0,0,1] op_sel_hi:[1,0,0]
	v_dual_mul_f32 v170, v169, v165 :: v_dual_mov_b32 v166, v169
	s_delay_alu instid0(VALU_DEP_2) | instskip(NEXT) | instid1(VALU_DEP_2)
	v_dual_mov_b32 v173, v167 :: v_dual_mov_b32 v167, v168
	v_pk_fma_f32 v[170:171], v[168:169], v[44:45], v[170:171] op_sel_hi:[1,1,0] neg_lo:[0,0,1] neg_hi:[0,0,1]
	v_mul_f32_e32 v168, v169, v162
	s_delay_alu instid0(VALU_DEP_3) | instskip(NEXT) | instid1(VALU_DEP_2)
	v_pk_add_f32 v[150:151], v[150:151], v[172:173] neg_lo:[0,1] neg_hi:[0,1]
	v_pk_fma_f32 v[166:167], v[166:167], v[44:45], v[168:169] op_sel_hi:[1,1,0]
	s_delay_alu instid0(VALU_DEP_1) | instskip(SKIP_4) | instid1(VALU_DEP_1)
	v_mov_b32_e32 v171, v167
	ds_load_2addr_b64 v[166:169], v232 offset0:28 offset1:29
	v_pk_add_f32 v[140:141], v[140:141], v[170:171] neg_lo:[0,1] neg_hi:[0,1]
	s_wait_dscnt 0x0
	v_pk_mul_f32 v[170:171], v[166:167], v[164:165] op_sel:[0,1]
	v_pk_fma_f32 v[172:173], v[166:167], v[162:163], v[170:171] op_sel:[0,0,1] op_sel_hi:[1,1,0] neg_lo:[0,0,1] neg_hi:[0,0,1]
	v_pk_fma_f32 v[166:167], v[166:167], v[162:163], v[170:171] op_sel:[0,0,1] op_sel_hi:[1,0,0]
	s_delay_alu instid0(VALU_DEP_1) | instskip(SKIP_1) | instid1(VALU_DEP_1)
	v_mov_b32_e32 v173, v167
	v_pk_mul_f32 v[166:167], v[168:169], v[164:165] op_sel:[0,1]
	v_pk_fma_f32 v[170:171], v[168:169], v[162:163], v[166:167] op_sel:[0,0,1] op_sel_hi:[1,1,0] neg_lo:[0,0,1] neg_hi:[0,0,1]
	v_pk_fma_f32 v[166:167], v[168:169], v[162:163], v[166:167] op_sel:[0,0,1] op_sel_hi:[1,0,0]
	s_delay_alu instid0(VALU_DEP_1)
	v_mov_b32_e32 v171, v167
	ds_load_2addr_b64 v[166:169], v232 offset0:30 offset1:31
	v_pk_add_f32 v[148:149], v[148:149], v[172:173] neg_lo:[0,1] neg_hi:[0,1]
	v_pk_add_f32 v[114:115], v[114:115], v[170:171] neg_lo:[0,1] neg_hi:[0,1]
	s_wait_dscnt 0x0
	v_pk_mul_f32 v[170:171], v[166:167], v[164:165] op_sel:[0,1]
	s_delay_alu instid0(VALU_DEP_1) | instskip(SKIP_1) | instid1(VALU_DEP_1)
	v_pk_fma_f32 v[172:173], v[166:167], v[162:163], v[170:171] op_sel:[0,0,1] op_sel_hi:[1,1,0] neg_lo:[0,0,1] neg_hi:[0,0,1]
	v_pk_fma_f32 v[166:167], v[166:167], v[162:163], v[170:171] op_sel:[0,0,1] op_sel_hi:[1,0,0]
	v_mov_b32_e32 v173, v167
	v_pk_mul_f32 v[166:167], v[168:169], v[164:165] op_sel:[0,1]
	s_delay_alu instid0(VALU_DEP_1) | instskip(SKIP_1) | instid1(VALU_DEP_1)
	v_pk_fma_f32 v[170:171], v[168:169], v[162:163], v[166:167] op_sel:[0,0,1] op_sel_hi:[1,1,0] neg_lo:[0,0,1] neg_hi:[0,0,1]
	v_pk_fma_f32 v[166:167], v[168:169], v[162:163], v[166:167] op_sel:[0,0,1] op_sel_hi:[1,0,0]
	v_mov_b32_e32 v171, v167
	ds_load_2addr_b64 v[166:169], v232 offset0:32 offset1:33
	v_pk_add_f32 v[116:117], v[116:117], v[172:173] neg_lo:[0,1] neg_hi:[0,1]
	v_pk_add_f32 v[112:113], v[112:113], v[170:171] neg_lo:[0,1] neg_hi:[0,1]
	s_wait_dscnt 0x0
	v_dual_mul_f32 v170, v167, v165 :: v_dual_mul_f32 v172, v167, v162
	s_delay_alu instid0(VALU_DEP_1) | instskip(NEXT) | instid1(VALU_DEP_2)
	v_pk_fma_f32 v[170:171], v[166:167], v[44:45], v[170:171] op_sel_hi:[1,1,0] neg_lo:[0,0,1] neg_hi:[0,0,1]
	v_pk_fma_f32 v[166:167], v[166:167], v[44:45], v[172:173] op_sel:[1,0,0] op_sel_hi:[0,1,0]
	s_delay_alu instid0(VALU_DEP_1) | instskip(SKIP_1) | instid1(VALU_DEP_2)
	v_mov_b32_e32 v171, v167
	v_pk_mul_f32 v[166:167], v[168:169], v[164:165] op_sel:[0,1]
	v_pk_add_f32 v[134:135], v[134:135], v[170:171] neg_lo:[0,1] neg_hi:[0,1]
	s_delay_alu instid0(VALU_DEP_2) | instskip(SKIP_1) | instid1(VALU_DEP_1)
	v_pk_fma_f32 v[170:171], v[168:169], v[162:163], v[166:167] op_sel:[0,0,1] op_sel_hi:[1,1,0] neg_lo:[0,0,1] neg_hi:[0,0,1]
	v_pk_fma_f32 v[166:167], v[168:169], v[162:163], v[166:167] op_sel:[0,0,1] op_sel_hi:[1,0,0]
	v_mov_b32_e32 v171, v167
	ds_load_2addr_b64 v[166:169], v232 offset0:34 offset1:35
	v_pk_add_f32 v[132:133], v[132:133], v[170:171] neg_lo:[0,1] neg_hi:[0,1]
	s_wait_dscnt 0x0
	v_pk_mul_f32 v[170:171], v[166:167], v[164:165] op_sel:[0,1]
	s_delay_alu instid0(VALU_DEP_1) | instskip(SKIP_1) | instid1(VALU_DEP_1)
	v_pk_fma_f32 v[172:173], v[166:167], v[162:163], v[170:171] op_sel:[0,0,1] op_sel_hi:[1,1,0] neg_lo:[0,0,1] neg_hi:[0,0,1]
	v_pk_fma_f32 v[166:167], v[166:167], v[162:163], v[170:171] op_sel:[0,0,1] op_sel_hi:[1,0,0]
	v_mov_b32_e32 v173, v167
	v_pk_mul_f32 v[166:167], v[168:169], v[164:165] op_sel:[0,1]
	s_delay_alu instid0(VALU_DEP_2) | instskip(NEXT) | instid1(VALU_DEP_2)
	v_pk_add_f32 v[146:147], v[146:147], v[172:173] neg_lo:[0,1] neg_hi:[0,1]
	v_pk_fma_f32 v[170:171], v[168:169], v[162:163], v[166:167] op_sel:[0,0,1] op_sel_hi:[1,1,0] neg_lo:[0,0,1] neg_hi:[0,0,1]
	v_pk_fma_f32 v[166:167], v[168:169], v[162:163], v[166:167] op_sel:[0,0,1] op_sel_hi:[1,0,0]
	s_delay_alu instid0(VALU_DEP_1)
	v_mov_b32_e32 v171, v167
	ds_load_2addr_b64 v[166:169], v232 offset0:36 offset1:37
	v_pk_add_f32 v[138:139], v[138:139], v[170:171] neg_lo:[0,1] neg_hi:[0,1]
	s_wait_dscnt 0x0
	v_pk_mul_f32 v[170:171], v[166:167], v[164:165] op_sel:[0,1]
	v_pk_mul_f32 v[164:165], v[168:169], v[164:165] op_sel:[0,1]
	s_delay_alu instid0(VALU_DEP_2) | instskip(SKIP_1) | instid1(VALU_DEP_1)
	v_pk_fma_f32 v[172:173], v[166:167], v[162:163], v[170:171] op_sel:[0,0,1] op_sel_hi:[1,1,0] neg_lo:[0,0,1] neg_hi:[0,0,1]
	v_pk_fma_f32 v[166:167], v[166:167], v[162:163], v[170:171] op_sel:[0,0,1] op_sel_hi:[1,0,0]
	v_mov_b32_e32 v173, v167
	s_delay_alu instid0(VALU_DEP_4) | instskip(SKIP_1) | instid1(VALU_DEP_3)
	v_pk_fma_f32 v[166:167], v[168:169], v[162:163], v[164:165] op_sel:[0,0,1] op_sel_hi:[1,1,0] neg_lo:[0,0,1] neg_hi:[0,0,1]
	v_pk_fma_f32 v[162:163], v[168:169], v[162:163], v[164:165] op_sel:[0,0,1] op_sel_hi:[1,0,0]
	v_pk_add_f32 v[136:137], v[136:137], v[172:173] neg_lo:[0,1] neg_hi:[0,1]
	s_delay_alu instid0(VALU_DEP_2) | instskip(NEXT) | instid1(VALU_DEP_1)
	v_mov_b32_e32 v167, v163
	v_pk_add_f32 v[152:153], v[152:153], v[166:167] neg_lo:[0,1] neg_hi:[0,1]
.LBB75_37:
	s_or_b32 exec_lo, exec_lo, s1
	s_delay_alu instid0(SALU_CYCLE_1)
	s_mov_b32 s2, exec_lo
	s_wait_dscnt 0x0
	s_barrier_signal -1
	s_barrier_wait -1
	v_cmpx_eq_u32_e32 4, v230
	s_cbranch_execz .LBB75_44
; %bb.38:
	ds_store_b64 v231, v[28:29]
	ds_store_2addr_b64 v232, v[24:25], v[26:27] offset0:5 offset1:6
	ds_store_2addr_b64 v232, v[22:23], v[40:41] offset0:7 offset1:8
	;; [unrolled: 1-line block ×16, first 2 shown]
	ds_store_b64 v232, v[152:153] offset:296
	ds_load_b64 v[162:163], v231
	s_wait_dscnt 0x0
	v_cmp_neq_f32_e32 vcc_lo, 0, v162
	v_cmp_neq_f32_e64 s1, 0, v163
	s_or_b32 s1, vcc_lo, s1
	s_delay_alu instid0(SALU_CYCLE_1)
	s_and_b32 exec_lo, exec_lo, s1
	s_cbranch_execz .LBB75_44
; %bb.39:
	v_cmp_ngt_f32_e64 s1, |v162|, |v163|
                                        ; implicit-def: $vgpr164_vgpr165
	s_and_saveexec_b32 s4, s1
	s_delay_alu instid0(SALU_CYCLE_1)
	s_xor_b32 s1, exec_lo, s4
	s_cbranch_execz .LBB75_41
; %bb.40:
	v_div_scale_f32 v0, null, v163, v163, v162
	v_div_scale_f32 v165, vcc_lo, v162, v163, v162
	s_delay_alu instid0(VALU_DEP_2) | instskip(SKIP_1) | instid1(TRANS32_DEP_1)
	v_rcp_f32_e32 v1, v0
	v_nop
	v_fma_f32 v164, -v0, v1, 1.0
	s_delay_alu instid0(VALU_DEP_1) | instskip(NEXT) | instid1(VALU_DEP_1)
	v_fmac_f32_e32 v1, v164, v1
	v_mul_f32_e32 v164, v165, v1
	s_delay_alu instid0(VALU_DEP_1) | instskip(NEXT) | instid1(VALU_DEP_1)
	v_fma_f32 v166, -v0, v164, v165
	v_fmac_f32_e32 v164, v166, v1
	s_delay_alu instid0(VALU_DEP_1) | instskip(NEXT) | instid1(VALU_DEP_1)
	v_fma_f32 v0, -v0, v164, v165
	v_div_fmas_f32 v0, v0, v1, v164
	s_delay_alu instid0(VALU_DEP_1) | instskip(NEXT) | instid1(VALU_DEP_1)
	v_div_fixup_f32 v0, v0, v163, v162
	v_fmac_f32_e32 v163, v162, v0
	s_delay_alu instid0(VALU_DEP_1) | instskip(SKIP_1) | instid1(VALU_DEP_2)
	v_div_scale_f32 v1, null, v163, v163, 1.0
	v_div_scale_f32 v165, vcc_lo, 1.0, v163, 1.0
	v_rcp_f32_e32 v162, v1
	v_nop
	s_delay_alu instid0(TRANS32_DEP_1) | instskip(NEXT) | instid1(VALU_DEP_1)
	v_fma_f32 v164, -v1, v162, 1.0
	v_fmac_f32_e32 v162, v164, v162
	s_delay_alu instid0(VALU_DEP_1) | instskip(NEXT) | instid1(VALU_DEP_1)
	v_mul_f32_e32 v164, v165, v162
	v_fma_f32 v166, -v1, v164, v165
	s_delay_alu instid0(VALU_DEP_1) | instskip(NEXT) | instid1(VALU_DEP_1)
	v_fmac_f32_e32 v164, v166, v162
	v_fma_f32 v1, -v1, v164, v165
	s_delay_alu instid0(VALU_DEP_1) | instskip(NEXT) | instid1(VALU_DEP_1)
	v_div_fmas_f32 v1, v1, v162, v164
	v_div_fixup_f32 v1, v1, v163, 1.0
                                        ; implicit-def: $vgpr162_vgpr163
	s_delay_alu instid0(VALU_DEP_1)
	v_mul_f32_e32 v164, v0, v1
	v_xor_b32_e32 v165, 0x80000000, v1
.LBB75_41:
	s_and_not1_saveexec_b32 s1, s1
	s_cbranch_execz .LBB75_43
; %bb.42:
	v_div_scale_f32 v0, null, v162, v162, v163
	v_div_scale_f32 v165, vcc_lo, v163, v162, v163
	s_delay_alu instid0(VALU_DEP_2) | instskip(SKIP_1) | instid1(TRANS32_DEP_1)
	v_rcp_f32_e32 v1, v0
	v_nop
	v_fma_f32 v164, -v0, v1, 1.0
	s_delay_alu instid0(VALU_DEP_1) | instskip(NEXT) | instid1(VALU_DEP_1)
	v_fmac_f32_e32 v1, v164, v1
	v_mul_f32_e32 v164, v165, v1
	s_delay_alu instid0(VALU_DEP_1) | instskip(NEXT) | instid1(VALU_DEP_1)
	v_fma_f32 v166, -v0, v164, v165
	v_fmac_f32_e32 v164, v166, v1
	s_delay_alu instid0(VALU_DEP_1) | instskip(NEXT) | instid1(VALU_DEP_1)
	v_fma_f32 v0, -v0, v164, v165
	v_div_fmas_f32 v0, v0, v1, v164
	s_delay_alu instid0(VALU_DEP_1) | instskip(NEXT) | instid1(VALU_DEP_1)
	v_div_fixup_f32 v0, v0, v162, v163
	v_fmac_f32_e32 v162, v163, v0
	s_delay_alu instid0(VALU_DEP_1) | instskip(NEXT) | instid1(VALU_DEP_1)
	v_div_scale_f32 v1, null, v162, v162, 1.0
	v_rcp_f32_e32 v163, v1
	v_nop
	s_delay_alu instid0(TRANS32_DEP_1) | instskip(NEXT) | instid1(VALU_DEP_1)
	v_fma_f32 v164, -v1, v163, 1.0
	v_fmac_f32_e32 v163, v164, v163
	v_div_scale_f32 v164, vcc_lo, 1.0, v162, 1.0
	s_delay_alu instid0(VALU_DEP_1) | instskip(NEXT) | instid1(VALU_DEP_1)
	v_mul_f32_e32 v165, v164, v163
	v_fma_f32 v166, -v1, v165, v164
	s_delay_alu instid0(VALU_DEP_1) | instskip(NEXT) | instid1(VALU_DEP_1)
	v_fmac_f32_e32 v165, v166, v163
	v_fma_f32 v1, -v1, v165, v164
	s_delay_alu instid0(VALU_DEP_1) | instskip(NEXT) | instid1(VALU_DEP_1)
	v_div_fmas_f32 v1, v1, v163, v165
	v_div_fixup_f32 v164, v1, v162, 1.0
	s_delay_alu instid0(VALU_DEP_1)
	v_mul_f32_e64 v165, v0, -v164
.LBB75_43:
	s_or_b32 exec_lo, exec_lo, s1
	ds_store_b64 v231, v[164:165]
.LBB75_44:
	s_or_b32 exec_lo, exec_lo, s2
	s_wait_dscnt 0x0
	s_barrier_signal -1
	s_barrier_wait -1
	ds_load_b64 v[162:163], v231
	s_mov_b32 s1, exec_lo
	v_cmpx_lt_u32_e32 4, v230
	s_cbranch_execz .LBB75_46
; %bb.45:
	ds_load_2addr_b64 v[168:171], v232 offset0:5 offset1:6
	s_wait_dscnt 0x1
	v_pk_mul_f32 v[166:167], v[162:163], v[28:29] op_sel:[1,1] op_sel_hi:[0,1]
	s_delay_alu instid0(VALU_DEP_1) | instskip(SKIP_1) | instid1(VALU_DEP_1)
	v_pk_fma_f32 v[164:165], v[162:163], v[28:29], v[166:167] op_sel_hi:[1,0,1] neg_lo:[0,0,1] neg_hi:[0,0,1]
	v_pk_fma_f32 v[166:167], v[162:163], v[28:29], v[166:167] op_sel_hi:[1,0,1]
	v_dual_mov_b32 v28, v164 :: v_dual_mov_b32 v29, v167
	s_wait_dscnt 0x0
	s_delay_alu instid0(VALU_DEP_2) | instskip(NEXT) | instid1(VALU_DEP_1)
	v_pk_mul_f32 v[172:173], v[168:169], v[166:167] op_sel:[0,1]
	v_pk_fma_f32 v[174:175], v[168:169], v[164:165], v[172:173] op_sel:[0,0,1] op_sel_hi:[1,1,0] neg_lo:[0,0,1] neg_hi:[0,0,1]
	v_pk_fma_f32 v[168:169], v[168:169], v[164:165], v[172:173] op_sel:[0,0,1] op_sel_hi:[1,0,0]
	s_delay_alu instid0(VALU_DEP_1) | instskip(SKIP_1) | instid1(VALU_DEP_1)
	v_mov_b32_e32 v175, v169
	v_pk_mul_f32 v[168:169], v[170:171], v[166:167] op_sel:[0,1]
	v_pk_fma_f32 v[172:173], v[170:171], v[164:165], v[168:169] op_sel:[0,0,1] op_sel_hi:[1,1,0] neg_lo:[0,0,1] neg_hi:[0,0,1]
	v_pk_fma_f32 v[168:169], v[170:171], v[164:165], v[168:169] op_sel:[0,0,1] op_sel_hi:[1,0,0]
	s_delay_alu instid0(VALU_DEP_1)
	v_mov_b32_e32 v173, v169
	ds_load_2addr_b64 v[168:171], v232 offset0:7 offset1:8
	v_pk_add_f32 v[24:25], v[24:25], v[174:175] neg_lo:[0,1] neg_hi:[0,1]
	v_pk_add_f32 v[26:27], v[26:27], v[172:173] neg_lo:[0,1] neg_hi:[0,1]
	s_wait_dscnt 0x0
	v_pk_mul_f32 v[172:173], v[168:169], v[166:167] op_sel:[0,1]
	s_delay_alu instid0(VALU_DEP_1) | instskip(SKIP_2) | instid1(VALU_DEP_2)
	v_pk_fma_f32 v[174:175], v[168:169], v[164:165], v[172:173] op_sel:[0,0,1] op_sel_hi:[1,1,0] neg_lo:[0,0,1] neg_hi:[0,0,1]
	v_pk_fma_f32 v[168:169], v[168:169], v[164:165], v[172:173] op_sel:[0,0,1] op_sel_hi:[1,0,0]
	v_dual_mul_f32 v172, v171, v167 :: v_dual_mov_b32 v168, v171
	v_dual_mov_b32 v175, v169 :: v_dual_mov_b32 v169, v170
	s_delay_alu instid0(VALU_DEP_2) | instskip(SKIP_1) | instid1(VALU_DEP_3)
	v_pk_fma_f32 v[172:173], v[170:171], v[28:29], v[172:173] op_sel_hi:[1,1,0] neg_lo:[0,0,1] neg_hi:[0,0,1]
	v_mul_f32_e32 v170, v171, v164
	v_pk_add_f32 v[22:23], v[22:23], v[174:175] neg_lo:[0,1] neg_hi:[0,1]
	s_delay_alu instid0(VALU_DEP_2) | instskip(NEXT) | instid1(VALU_DEP_1)
	v_pk_fma_f32 v[168:169], v[168:169], v[28:29], v[170:171] op_sel_hi:[1,1,0]
	v_mov_b32_e32 v173, v169
	ds_load_2addr_b64 v[168:171], v232 offset0:9 offset1:10
	v_pk_add_f32 v[40:41], v[40:41], v[172:173] neg_lo:[0,1] neg_hi:[0,1]
	s_wait_dscnt 0x0
	v_pk_mul_f32 v[172:173], v[168:169], v[166:167] op_sel:[0,1]
	s_delay_alu instid0(VALU_DEP_1) | instskip(SKIP_1) | instid1(VALU_DEP_1)
	v_pk_fma_f32 v[174:175], v[168:169], v[164:165], v[172:173] op_sel:[0,0,1] op_sel_hi:[1,1,0] neg_lo:[0,0,1] neg_hi:[0,0,1]
	v_pk_fma_f32 v[168:169], v[168:169], v[164:165], v[172:173] op_sel:[0,0,1] op_sel_hi:[1,0,0]
	v_mov_b32_e32 v175, v169
	v_pk_mul_f32 v[168:169], v[170:171], v[166:167] op_sel:[0,1]
	s_delay_alu instid0(VALU_DEP_1) | instskip(SKIP_1) | instid1(VALU_DEP_1)
	v_pk_fma_f32 v[172:173], v[170:171], v[164:165], v[168:169] op_sel:[0,0,1] op_sel_hi:[1,1,0] neg_lo:[0,0,1] neg_hi:[0,0,1]
	v_pk_fma_f32 v[168:169], v[170:171], v[164:165], v[168:169] op_sel:[0,0,1] op_sel_hi:[1,0,0]
	v_mov_b32_e32 v173, v169
	ds_load_2addr_b64 v[168:171], v232 offset0:11 offset1:12
	v_pk_add_f32 v[36:37], v[36:37], v[174:175] neg_lo:[0,1] neg_hi:[0,1]
	v_pk_add_f32 v[38:39], v[38:39], v[172:173] neg_lo:[0,1] neg_hi:[0,1]
	s_wait_dscnt 0x0
	v_pk_mul_f32 v[172:173], v[168:169], v[166:167] op_sel:[0,1]
	s_delay_alu instid0(VALU_DEP_1) | instskip(SKIP_1) | instid1(VALU_DEP_1)
	v_pk_fma_f32 v[174:175], v[168:169], v[164:165], v[172:173] op_sel:[0,0,1] op_sel_hi:[1,1,0] neg_lo:[0,0,1] neg_hi:[0,0,1]
	v_pk_fma_f32 v[168:169], v[168:169], v[164:165], v[172:173] op_sel:[0,0,1] op_sel_hi:[1,0,0]
	v_mov_b32_e32 v175, v169
	v_pk_mul_f32 v[168:169], v[170:171], v[166:167] op_sel:[0,1]
	s_delay_alu instid0(VALU_DEP_1) | instskip(SKIP_1) | instid1(VALU_DEP_1)
	v_pk_fma_f32 v[172:173], v[170:171], v[164:165], v[168:169] op_sel:[0,0,1] op_sel_hi:[1,1,0] neg_lo:[0,0,1] neg_hi:[0,0,1]
	v_pk_fma_f32 v[168:169], v[170:171], v[164:165], v[168:169] op_sel:[0,0,1] op_sel_hi:[1,0,0]
	v_mov_b32_e32 v173, v169
	ds_load_2addr_b64 v[168:171], v232 offset0:13 offset1:14
	v_pk_add_f32 v[76:77], v[76:77], v[174:175] neg_lo:[0,1] neg_hi:[0,1]
	v_pk_add_f32 v[92:93], v[92:93], v[172:173] neg_lo:[0,1] neg_hi:[0,1]
	s_wait_dscnt 0x0
	v_dual_mul_f32 v172, v169, v167 :: v_dual_mul_f32 v174, v169, v164
	s_delay_alu instid0(VALU_DEP_1) | instskip(NEXT) | instid1(VALU_DEP_2)
	v_pk_fma_f32 v[172:173], v[168:169], v[28:29], v[172:173] op_sel_hi:[1,1,0] neg_lo:[0,0,1] neg_hi:[0,0,1]
	v_pk_fma_f32 v[168:169], v[168:169], v[28:29], v[174:175] op_sel:[1,0,0] op_sel_hi:[0,1,0]
	s_delay_alu instid0(VALU_DEP_1) | instskip(SKIP_1) | instid1(VALU_DEP_2)
	v_mov_b32_e32 v173, v169
	v_pk_mul_f32 v[168:169], v[170:171], v[166:167] op_sel:[0,1]
	v_pk_add_f32 v[90:91], v[90:91], v[172:173] neg_lo:[0,1] neg_hi:[0,1]
	s_delay_alu instid0(VALU_DEP_2) | instskip(SKIP_1) | instid1(VALU_DEP_1)
	v_pk_fma_f32 v[172:173], v[170:171], v[164:165], v[168:169] op_sel:[0,0,1] op_sel_hi:[1,1,0] neg_lo:[0,0,1] neg_hi:[0,0,1]
	v_pk_fma_f32 v[168:169], v[170:171], v[164:165], v[168:169] op_sel:[0,0,1] op_sel_hi:[1,0,0]
	v_mov_b32_e32 v173, v169
	ds_load_2addr_b64 v[168:171], v232 offset0:15 offset1:16
	v_pk_add_f32 v[74:75], v[74:75], v[172:173] neg_lo:[0,1] neg_hi:[0,1]
	s_wait_dscnt 0x0
	v_pk_mul_f32 v[172:173], v[168:169], v[166:167] op_sel:[0,1]
	s_delay_alu instid0(VALU_DEP_1) | instskip(SKIP_1) | instid1(VALU_DEP_1)
	v_pk_fma_f32 v[174:175], v[168:169], v[164:165], v[172:173] op_sel:[0,0,1] op_sel_hi:[1,1,0] neg_lo:[0,0,1] neg_hi:[0,0,1]
	v_pk_fma_f32 v[168:169], v[168:169], v[164:165], v[172:173] op_sel:[0,0,1] op_sel_hi:[1,0,0]
	v_mov_b32_e32 v175, v169
	v_pk_mul_f32 v[168:169], v[170:171], v[166:167] op_sel:[0,1]
	s_delay_alu instid0(VALU_DEP_2) | instskip(NEXT) | instid1(VALU_DEP_2)
	v_pk_add_f32 v[88:89], v[88:89], v[174:175] neg_lo:[0,1] neg_hi:[0,1]
	v_pk_fma_f32 v[172:173], v[170:171], v[164:165], v[168:169] op_sel:[0,0,1] op_sel_hi:[1,1,0] neg_lo:[0,0,1] neg_hi:[0,0,1]
	v_pk_fma_f32 v[168:169], v[170:171], v[164:165], v[168:169] op_sel:[0,0,1] op_sel_hi:[1,0,0]
	s_delay_alu instid0(VALU_DEP_1) | instskip(SKIP_4) | instid1(VALU_DEP_1)
	v_mov_b32_e32 v173, v169
	ds_load_2addr_b64 v[168:171], v232 offset0:17 offset1:18
	v_pk_add_f32 v[108:109], v[108:109], v[172:173] neg_lo:[0,1] neg_hi:[0,1]
	s_wait_dscnt 0x0
	v_pk_mul_f32 v[172:173], v[168:169], v[166:167] op_sel:[0,1]
	v_pk_fma_f32 v[174:175], v[168:169], v[164:165], v[172:173] op_sel:[0,0,1] op_sel_hi:[1,1,0] neg_lo:[0,0,1] neg_hi:[0,0,1]
	v_pk_fma_f32 v[168:169], v[168:169], v[164:165], v[172:173] op_sel:[0,0,1] op_sel_hi:[1,0,0]
	v_dual_mul_f32 v172, v171, v167 :: v_dual_mov_b32 v168, v171
	s_delay_alu instid0(VALU_DEP_2) | instskip(NEXT) | instid1(VALU_DEP_2)
	v_dual_mov_b32 v175, v169 :: v_dual_mov_b32 v169, v170
	v_pk_fma_f32 v[172:173], v[170:171], v[28:29], v[172:173] op_sel_hi:[1,1,0] neg_lo:[0,0,1] neg_hi:[0,0,1]
	v_mul_f32_e32 v170, v171, v164
	s_delay_alu instid0(VALU_DEP_3) | instskip(NEXT) | instid1(VALU_DEP_2)
	v_pk_add_f32 v[106:107], v[106:107], v[174:175] neg_lo:[0,1] neg_hi:[0,1]
	v_pk_fma_f32 v[168:169], v[168:169], v[28:29], v[170:171] op_sel_hi:[1,1,0]
	s_delay_alu instid0(VALU_DEP_1) | instskip(SKIP_4) | instid1(VALU_DEP_1)
	v_mov_b32_e32 v173, v169
	ds_load_2addr_b64 v[168:171], v232 offset0:19 offset1:20
	v_pk_add_f32 v[86:87], v[86:87], v[172:173] neg_lo:[0,1] neg_hi:[0,1]
	s_wait_dscnt 0x0
	v_pk_mul_f32 v[172:173], v[168:169], v[166:167] op_sel:[0,1]
	v_pk_fma_f32 v[174:175], v[168:169], v[164:165], v[172:173] op_sel:[0,0,1] op_sel_hi:[1,1,0] neg_lo:[0,0,1] neg_hi:[0,0,1]
	v_pk_fma_f32 v[168:169], v[168:169], v[164:165], v[172:173] op_sel:[0,0,1] op_sel_hi:[1,0,0]
	s_delay_alu instid0(VALU_DEP_1) | instskip(SKIP_1) | instid1(VALU_DEP_1)
	v_mov_b32_e32 v175, v169
	v_pk_mul_f32 v[168:169], v[170:171], v[166:167] op_sel:[0,1]
	v_pk_fma_f32 v[172:173], v[170:171], v[164:165], v[168:169] op_sel:[0,0,1] op_sel_hi:[1,1,0] neg_lo:[0,0,1] neg_hi:[0,0,1]
	v_pk_fma_f32 v[168:169], v[170:171], v[164:165], v[168:169] op_sel:[0,0,1] op_sel_hi:[1,0,0]
	s_delay_alu instid0(VALU_DEP_1)
	v_mov_b32_e32 v173, v169
	ds_load_2addr_b64 v[168:171], v232 offset0:21 offset1:22
	v_pk_add_f32 v[104:105], v[104:105], v[174:175] neg_lo:[0,1] neg_hi:[0,1]
	v_pk_add_f32 v[130:131], v[130:131], v[172:173] neg_lo:[0,1] neg_hi:[0,1]
	s_wait_dscnt 0x0
	v_pk_mul_f32 v[172:173], v[168:169], v[166:167] op_sel:[0,1]
	s_delay_alu instid0(VALU_DEP_1) | instskip(SKIP_1) | instid1(VALU_DEP_1)
	v_pk_fma_f32 v[174:175], v[168:169], v[164:165], v[172:173] op_sel:[0,0,1] op_sel_hi:[1,1,0] neg_lo:[0,0,1] neg_hi:[0,0,1]
	v_pk_fma_f32 v[168:169], v[168:169], v[164:165], v[172:173] op_sel:[0,0,1] op_sel_hi:[1,0,0]
	v_mov_b32_e32 v175, v169
	v_pk_mul_f32 v[168:169], v[170:171], v[166:167] op_sel:[0,1]
	s_delay_alu instid0(VALU_DEP_1) | instskip(SKIP_1) | instid1(VALU_DEP_1)
	v_pk_fma_f32 v[172:173], v[170:171], v[164:165], v[168:169] op_sel:[0,0,1] op_sel_hi:[1,1,0] neg_lo:[0,0,1] neg_hi:[0,0,1]
	v_pk_fma_f32 v[168:169], v[170:171], v[164:165], v[168:169] op_sel:[0,0,1] op_sel_hi:[1,0,0]
	v_mov_b32_e32 v173, v169
	ds_load_2addr_b64 v[168:171], v232 offset0:23 offset1:24
	v_pk_add_f32 v[128:129], v[128:129], v[174:175] neg_lo:[0,1] neg_hi:[0,1]
	v_pk_add_f32 v[102:103], v[102:103], v[172:173] neg_lo:[0,1] neg_hi:[0,1]
	s_wait_dscnt 0x0
	v_dual_mul_f32 v172, v169, v167 :: v_dual_mul_f32 v174, v169, v164
	s_delay_alu instid0(VALU_DEP_1) | instskip(NEXT) | instid1(VALU_DEP_2)
	v_pk_fma_f32 v[172:173], v[168:169], v[28:29], v[172:173] op_sel_hi:[1,1,0] neg_lo:[0,0,1] neg_hi:[0,0,1]
	v_pk_fma_f32 v[168:169], v[168:169], v[28:29], v[174:175] op_sel:[1,0,0] op_sel_hi:[0,1,0]
	s_delay_alu instid0(VALU_DEP_1) | instskip(SKIP_1) | instid1(VALU_DEP_2)
	v_mov_b32_e32 v173, v169
	v_pk_mul_f32 v[168:169], v[170:171], v[166:167] op_sel:[0,1]
	v_pk_add_f32 v[126:127], v[126:127], v[172:173] neg_lo:[0,1] neg_hi:[0,1]
	s_delay_alu instid0(VALU_DEP_2) | instskip(SKIP_1) | instid1(VALU_DEP_1)
	v_pk_fma_f32 v[172:173], v[170:171], v[164:165], v[168:169] op_sel:[0,0,1] op_sel_hi:[1,1,0] neg_lo:[0,0,1] neg_hi:[0,0,1]
	v_pk_fma_f32 v[168:169], v[170:171], v[164:165], v[168:169] op_sel:[0,0,1] op_sel_hi:[1,0,0]
	v_mov_b32_e32 v173, v169
	ds_load_2addr_b64 v[168:171], v232 offset0:25 offset1:26
	v_pk_add_f32 v[144:145], v[144:145], v[172:173] neg_lo:[0,1] neg_hi:[0,1]
	s_wait_dscnt 0x0
	v_pk_mul_f32 v[172:173], v[168:169], v[166:167] op_sel:[0,1]
	s_delay_alu instid0(VALU_DEP_1) | instskip(SKIP_1) | instid1(VALU_DEP_1)
	v_pk_fma_f32 v[174:175], v[168:169], v[164:165], v[172:173] op_sel:[0,0,1] op_sel_hi:[1,1,0] neg_lo:[0,0,1] neg_hi:[0,0,1]
	v_pk_fma_f32 v[168:169], v[168:169], v[164:165], v[172:173] op_sel:[0,0,1] op_sel_hi:[1,0,0]
	v_mov_b32_e32 v175, v169
	v_pk_mul_f32 v[168:169], v[170:171], v[166:167] op_sel:[0,1]
	s_delay_alu instid0(VALU_DEP_2) | instskip(NEXT) | instid1(VALU_DEP_2)
	v_pk_add_f32 v[142:143], v[142:143], v[174:175] neg_lo:[0,1] neg_hi:[0,1]
	v_pk_fma_f32 v[172:173], v[170:171], v[164:165], v[168:169] op_sel:[0,0,1] op_sel_hi:[1,1,0] neg_lo:[0,0,1] neg_hi:[0,0,1]
	v_pk_fma_f32 v[168:169], v[170:171], v[164:165], v[168:169] op_sel:[0,0,1] op_sel_hi:[1,0,0]
	s_delay_alu instid0(VALU_DEP_1) | instskip(SKIP_4) | instid1(VALU_DEP_1)
	v_mov_b32_e32 v173, v169
	ds_load_2addr_b64 v[168:171], v232 offset0:27 offset1:28
	v_pk_add_f32 v[150:151], v[150:151], v[172:173] neg_lo:[0,1] neg_hi:[0,1]
	s_wait_dscnt 0x0
	v_pk_mul_f32 v[172:173], v[168:169], v[166:167] op_sel:[0,1]
	v_pk_fma_f32 v[174:175], v[168:169], v[164:165], v[172:173] op_sel:[0,0,1] op_sel_hi:[1,1,0] neg_lo:[0,0,1] neg_hi:[0,0,1]
	v_pk_fma_f32 v[168:169], v[168:169], v[164:165], v[172:173] op_sel:[0,0,1] op_sel_hi:[1,0,0]
	v_dual_mul_f32 v172, v171, v167 :: v_dual_mov_b32 v168, v171
	s_delay_alu instid0(VALU_DEP_2) | instskip(NEXT) | instid1(VALU_DEP_2)
	v_dual_mov_b32 v175, v169 :: v_dual_mov_b32 v169, v170
	v_pk_fma_f32 v[172:173], v[170:171], v[28:29], v[172:173] op_sel_hi:[1,1,0] neg_lo:[0,0,1] neg_hi:[0,0,1]
	v_mul_f32_e32 v170, v171, v164
	s_delay_alu instid0(VALU_DEP_3) | instskip(NEXT) | instid1(VALU_DEP_2)
	v_pk_add_f32 v[140:141], v[140:141], v[174:175] neg_lo:[0,1] neg_hi:[0,1]
	v_pk_fma_f32 v[168:169], v[168:169], v[28:29], v[170:171] op_sel_hi:[1,1,0]
	s_delay_alu instid0(VALU_DEP_1) | instskip(SKIP_4) | instid1(VALU_DEP_1)
	v_mov_b32_e32 v173, v169
	ds_load_2addr_b64 v[168:171], v232 offset0:29 offset1:30
	v_pk_add_f32 v[148:149], v[148:149], v[172:173] neg_lo:[0,1] neg_hi:[0,1]
	s_wait_dscnt 0x0
	v_pk_mul_f32 v[172:173], v[168:169], v[166:167] op_sel:[0,1]
	v_pk_fma_f32 v[174:175], v[168:169], v[164:165], v[172:173] op_sel:[0,0,1] op_sel_hi:[1,1,0] neg_lo:[0,0,1] neg_hi:[0,0,1]
	v_pk_fma_f32 v[168:169], v[168:169], v[164:165], v[172:173] op_sel:[0,0,1] op_sel_hi:[1,0,0]
	s_delay_alu instid0(VALU_DEP_1) | instskip(SKIP_1) | instid1(VALU_DEP_1)
	v_mov_b32_e32 v175, v169
	v_pk_mul_f32 v[168:169], v[170:171], v[166:167] op_sel:[0,1]
	v_pk_fma_f32 v[172:173], v[170:171], v[164:165], v[168:169] op_sel:[0,0,1] op_sel_hi:[1,1,0] neg_lo:[0,0,1] neg_hi:[0,0,1]
	v_pk_fma_f32 v[168:169], v[170:171], v[164:165], v[168:169] op_sel:[0,0,1] op_sel_hi:[1,0,0]
	s_delay_alu instid0(VALU_DEP_1)
	v_mov_b32_e32 v173, v169
	ds_load_2addr_b64 v[168:171], v232 offset0:31 offset1:32
	v_pk_add_f32 v[114:115], v[114:115], v[174:175] neg_lo:[0,1] neg_hi:[0,1]
	v_pk_add_f32 v[116:117], v[116:117], v[172:173] neg_lo:[0,1] neg_hi:[0,1]
	s_wait_dscnt 0x0
	v_pk_mul_f32 v[172:173], v[168:169], v[166:167] op_sel:[0,1]
	s_delay_alu instid0(VALU_DEP_1) | instskip(SKIP_1) | instid1(VALU_DEP_1)
	v_pk_fma_f32 v[174:175], v[168:169], v[164:165], v[172:173] op_sel:[0,0,1] op_sel_hi:[1,1,0] neg_lo:[0,0,1] neg_hi:[0,0,1]
	v_pk_fma_f32 v[168:169], v[168:169], v[164:165], v[172:173] op_sel:[0,0,1] op_sel_hi:[1,0,0]
	v_mov_b32_e32 v175, v169
	v_pk_mul_f32 v[168:169], v[170:171], v[166:167] op_sel:[0,1]
	s_delay_alu instid0(VALU_DEP_1) | instskip(SKIP_1) | instid1(VALU_DEP_1)
	v_pk_fma_f32 v[172:173], v[170:171], v[164:165], v[168:169] op_sel:[0,0,1] op_sel_hi:[1,1,0] neg_lo:[0,0,1] neg_hi:[0,0,1]
	v_pk_fma_f32 v[168:169], v[170:171], v[164:165], v[168:169] op_sel:[0,0,1] op_sel_hi:[1,0,0]
	v_mov_b32_e32 v173, v169
	ds_load_2addr_b64 v[168:171], v232 offset0:33 offset1:34
	v_pk_add_f32 v[112:113], v[112:113], v[174:175] neg_lo:[0,1] neg_hi:[0,1]
	v_pk_add_f32 v[134:135], v[134:135], v[172:173] neg_lo:[0,1] neg_hi:[0,1]
	s_wait_dscnt 0x0
	v_dual_mul_f32 v172, v169, v167 :: v_dual_mul_f32 v174, v169, v164
	s_delay_alu instid0(VALU_DEP_1) | instskip(NEXT) | instid1(VALU_DEP_2)
	v_pk_fma_f32 v[172:173], v[168:169], v[28:29], v[172:173] op_sel_hi:[1,1,0] neg_lo:[0,0,1] neg_hi:[0,0,1]
	v_pk_fma_f32 v[168:169], v[168:169], v[28:29], v[174:175] op_sel:[1,0,0] op_sel_hi:[0,1,0]
	s_delay_alu instid0(VALU_DEP_1) | instskip(SKIP_1) | instid1(VALU_DEP_2)
	v_mov_b32_e32 v173, v169
	v_pk_mul_f32 v[168:169], v[170:171], v[166:167] op_sel:[0,1]
	v_pk_add_f32 v[132:133], v[132:133], v[172:173] neg_lo:[0,1] neg_hi:[0,1]
	s_delay_alu instid0(VALU_DEP_2) | instskip(SKIP_1) | instid1(VALU_DEP_1)
	v_pk_fma_f32 v[172:173], v[170:171], v[164:165], v[168:169] op_sel:[0,0,1] op_sel_hi:[1,1,0] neg_lo:[0,0,1] neg_hi:[0,0,1]
	v_pk_fma_f32 v[168:169], v[170:171], v[164:165], v[168:169] op_sel:[0,0,1] op_sel_hi:[1,0,0]
	v_mov_b32_e32 v173, v169
	ds_load_2addr_b64 v[168:171], v232 offset0:35 offset1:36
	v_pk_add_f32 v[146:147], v[146:147], v[172:173] neg_lo:[0,1] neg_hi:[0,1]
	s_wait_dscnt 0x0
	v_pk_mul_f32 v[172:173], v[168:169], v[166:167] op_sel:[0,1]
	s_delay_alu instid0(VALU_DEP_1) | instskip(SKIP_1) | instid1(VALU_DEP_1)
	v_pk_fma_f32 v[174:175], v[168:169], v[164:165], v[172:173] op_sel:[0,0,1] op_sel_hi:[1,1,0] neg_lo:[0,0,1] neg_hi:[0,0,1]
	v_pk_fma_f32 v[168:169], v[168:169], v[164:165], v[172:173] op_sel:[0,0,1] op_sel_hi:[1,0,0]
	v_mov_b32_e32 v175, v169
	v_pk_mul_f32 v[168:169], v[170:171], v[166:167] op_sel:[0,1]
	s_delay_alu instid0(VALU_DEP_2) | instskip(NEXT) | instid1(VALU_DEP_2)
	v_pk_add_f32 v[138:139], v[138:139], v[174:175] neg_lo:[0,1] neg_hi:[0,1]
	v_pk_fma_f32 v[172:173], v[170:171], v[164:165], v[168:169] op_sel:[0,0,1] op_sel_hi:[1,1,0] neg_lo:[0,0,1] neg_hi:[0,0,1]
	v_pk_fma_f32 v[168:169], v[170:171], v[164:165], v[168:169] op_sel:[0,0,1] op_sel_hi:[1,0,0]
	s_delay_alu instid0(VALU_DEP_1) | instskip(SKIP_4) | instid1(VALU_DEP_1)
	v_mov_b32_e32 v173, v169
	ds_load_b64 v[168:169], v232 offset:296
	v_pk_add_f32 v[136:137], v[136:137], v[172:173] neg_lo:[0,1] neg_hi:[0,1]
	s_wait_dscnt 0x0
	v_pk_mul_f32 v[166:167], v[168:169], v[166:167] op_sel:[0,1]
	v_pk_fma_f32 v[170:171], v[168:169], v[164:165], v[166:167] op_sel:[0,0,1] op_sel_hi:[1,1,0] neg_lo:[0,0,1] neg_hi:[0,0,1]
	v_pk_fma_f32 v[164:165], v[168:169], v[164:165], v[166:167] op_sel:[0,0,1] op_sel_hi:[1,0,0]
	s_delay_alu instid0(VALU_DEP_1) | instskip(NEXT) | instid1(VALU_DEP_1)
	v_mov_b32_e32 v171, v165
	v_pk_add_f32 v[152:153], v[152:153], v[170:171] neg_lo:[0,1] neg_hi:[0,1]
.LBB75_46:
	s_or_b32 exec_lo, exec_lo, s1
	s_delay_alu instid0(SALU_CYCLE_1)
	s_mov_b32 s2, exec_lo
	s_wait_dscnt 0x0
	s_barrier_signal -1
	s_barrier_wait -1
	v_cmpx_eq_u32_e32 5, v230
	s_cbranch_execz .LBB75_53
; %bb.47:
	v_dual_mov_b32 v164, v26 :: v_dual_mov_b32 v165, v27
	v_dual_mov_b32 v166, v22 :: v_dual_mov_b32 v167, v23
	;; [unrolled: 1-line block ×8, first 2 shown]
	ds_store_b64 v231, v[24:25]
	ds_store_2addr_b64 v232, v[164:165], v[166:167] offset0:6 offset1:7
	ds_store_2addr_b64 v232, v[168:169], v[170:171] offset0:8 offset1:9
	;; [unrolled: 1-line block ×4, first 2 shown]
	v_dual_mov_b32 v164, v74 :: v_dual_mov_b32 v165, v75
	v_dual_mov_b32 v166, v88 :: v_dual_mov_b32 v167, v89
	;; [unrolled: 1-line block ×12, first 2 shown]
	ds_store_2addr_b64 v232, v[164:165], v[166:167] offset0:14 offset1:15
	ds_store_2addr_b64 v232, v[168:169], v[170:171] offset0:16 offset1:17
	;; [unrolled: 1-line block ×6, first 2 shown]
	v_dual_mov_b32 v164, v150 :: v_dual_mov_b32 v165, v151
	v_dual_mov_b32 v166, v140 :: v_dual_mov_b32 v167, v141
	;; [unrolled: 1-line block ×11, first 2 shown]
	ds_store_2addr_b64 v232, v[164:165], v[166:167] offset0:26 offset1:27
	ds_store_2addr_b64 v232, v[168:169], v[170:171] offset0:28 offset1:29
	;; [unrolled: 1-line block ×6, first 2 shown]
	ds_load_b64 v[164:165], v231
	s_wait_dscnt 0x0
	v_cmp_neq_f32_e32 vcc_lo, 0, v164
	v_cmp_neq_f32_e64 s1, 0, v165
	s_or_b32 s1, vcc_lo, s1
	s_delay_alu instid0(SALU_CYCLE_1)
	s_and_b32 exec_lo, exec_lo, s1
	s_cbranch_execz .LBB75_53
; %bb.48:
	v_cmp_ngt_f32_e64 s1, |v164|, |v165|
                                        ; implicit-def: $vgpr166_vgpr167
	s_and_saveexec_b32 s4, s1
	s_delay_alu instid0(SALU_CYCLE_1)
	s_xor_b32 s1, exec_lo, s4
	s_cbranch_execz .LBB75_50
; %bb.49:
	v_div_scale_f32 v0, null, v165, v165, v164
	v_div_scale_f32 v167, vcc_lo, v164, v165, v164
	s_delay_alu instid0(VALU_DEP_2) | instskip(SKIP_1) | instid1(TRANS32_DEP_1)
	v_rcp_f32_e32 v1, v0
	v_nop
	v_fma_f32 v166, -v0, v1, 1.0
	s_delay_alu instid0(VALU_DEP_1) | instskip(NEXT) | instid1(VALU_DEP_1)
	v_fmac_f32_e32 v1, v166, v1
	v_mul_f32_e32 v166, v167, v1
	s_delay_alu instid0(VALU_DEP_1) | instskip(NEXT) | instid1(VALU_DEP_1)
	v_fma_f32 v168, -v0, v166, v167
	v_fmac_f32_e32 v166, v168, v1
	s_delay_alu instid0(VALU_DEP_1) | instskip(NEXT) | instid1(VALU_DEP_1)
	v_fma_f32 v0, -v0, v166, v167
	v_div_fmas_f32 v0, v0, v1, v166
	s_delay_alu instid0(VALU_DEP_1) | instskip(NEXT) | instid1(VALU_DEP_1)
	v_div_fixup_f32 v0, v0, v165, v164
	v_fmac_f32_e32 v165, v164, v0
	s_delay_alu instid0(VALU_DEP_1) | instskip(SKIP_1) | instid1(VALU_DEP_2)
	v_div_scale_f32 v1, null, v165, v165, 1.0
	v_div_scale_f32 v167, vcc_lo, 1.0, v165, 1.0
	v_rcp_f32_e32 v164, v1
	v_nop
	s_delay_alu instid0(TRANS32_DEP_1) | instskip(NEXT) | instid1(VALU_DEP_1)
	v_fma_f32 v166, -v1, v164, 1.0
	v_fmac_f32_e32 v164, v166, v164
	s_delay_alu instid0(VALU_DEP_1) | instskip(NEXT) | instid1(VALU_DEP_1)
	v_mul_f32_e32 v166, v167, v164
	v_fma_f32 v168, -v1, v166, v167
	s_delay_alu instid0(VALU_DEP_1) | instskip(NEXT) | instid1(VALU_DEP_1)
	v_fmac_f32_e32 v166, v168, v164
	v_fma_f32 v1, -v1, v166, v167
	s_delay_alu instid0(VALU_DEP_1) | instskip(NEXT) | instid1(VALU_DEP_1)
	v_div_fmas_f32 v1, v1, v164, v166
	v_div_fixup_f32 v1, v1, v165, 1.0
                                        ; implicit-def: $vgpr164_vgpr165
	s_delay_alu instid0(VALU_DEP_1)
	v_mul_f32_e32 v166, v0, v1
	v_xor_b32_e32 v167, 0x80000000, v1
.LBB75_50:
	s_and_not1_saveexec_b32 s1, s1
	s_cbranch_execz .LBB75_52
; %bb.51:
	v_div_scale_f32 v0, null, v164, v164, v165
	v_div_scale_f32 v167, vcc_lo, v165, v164, v165
	s_delay_alu instid0(VALU_DEP_2) | instskip(SKIP_1) | instid1(TRANS32_DEP_1)
	v_rcp_f32_e32 v1, v0
	v_nop
	v_fma_f32 v166, -v0, v1, 1.0
	s_delay_alu instid0(VALU_DEP_1) | instskip(NEXT) | instid1(VALU_DEP_1)
	v_fmac_f32_e32 v1, v166, v1
	v_mul_f32_e32 v166, v167, v1
	s_delay_alu instid0(VALU_DEP_1) | instskip(NEXT) | instid1(VALU_DEP_1)
	v_fma_f32 v168, -v0, v166, v167
	v_fmac_f32_e32 v166, v168, v1
	s_delay_alu instid0(VALU_DEP_1) | instskip(NEXT) | instid1(VALU_DEP_1)
	v_fma_f32 v0, -v0, v166, v167
	v_div_fmas_f32 v0, v0, v1, v166
	s_delay_alu instid0(VALU_DEP_1) | instskip(NEXT) | instid1(VALU_DEP_1)
	v_div_fixup_f32 v0, v0, v164, v165
	v_fmac_f32_e32 v164, v165, v0
	s_delay_alu instid0(VALU_DEP_1) | instskip(NEXT) | instid1(VALU_DEP_1)
	v_div_scale_f32 v1, null, v164, v164, 1.0
	v_rcp_f32_e32 v165, v1
	v_nop
	s_delay_alu instid0(TRANS32_DEP_1) | instskip(NEXT) | instid1(VALU_DEP_1)
	v_fma_f32 v166, -v1, v165, 1.0
	v_fmac_f32_e32 v165, v166, v165
	v_div_scale_f32 v166, vcc_lo, 1.0, v164, 1.0
	s_delay_alu instid0(VALU_DEP_1) | instskip(NEXT) | instid1(VALU_DEP_1)
	v_mul_f32_e32 v167, v166, v165
	v_fma_f32 v168, -v1, v167, v166
	s_delay_alu instid0(VALU_DEP_1) | instskip(NEXT) | instid1(VALU_DEP_1)
	v_fmac_f32_e32 v167, v168, v165
	v_fma_f32 v1, -v1, v167, v166
	s_delay_alu instid0(VALU_DEP_1) | instskip(NEXT) | instid1(VALU_DEP_1)
	v_div_fmas_f32 v1, v1, v165, v167
	v_div_fixup_f32 v166, v1, v164, 1.0
	s_delay_alu instid0(VALU_DEP_1)
	v_mul_f32_e64 v167, v0, -v166
.LBB75_52:
	s_or_b32 exec_lo, exec_lo, s1
	ds_store_b64 v231, v[166:167]
.LBB75_53:
	s_or_b32 exec_lo, exec_lo, s2
	s_wait_dscnt 0x0
	s_barrier_signal -1
	s_barrier_wait -1
	ds_load_b64 v[164:165], v231
	s_mov_b32 s1, exec_lo
	v_cmpx_lt_u32_e32 5, v230
	s_cbranch_execz .LBB75_55
; %bb.54:
	ds_load_2addr_b64 v[170:173], v232 offset0:6 offset1:7
	s_wait_dscnt 0x1
	v_pk_mul_f32 v[168:169], v[164:165], v[24:25] op_sel:[1,1] op_sel_hi:[0,1]
	s_delay_alu instid0(VALU_DEP_1) | instskip(SKIP_1) | instid1(VALU_DEP_1)
	v_pk_fma_f32 v[166:167], v[164:165], v[24:25], v[168:169] op_sel_hi:[1,0,1] neg_lo:[0,0,1] neg_hi:[0,0,1]
	v_pk_fma_f32 v[168:169], v[164:165], v[24:25], v[168:169] op_sel_hi:[1,0,1]
	v_dual_mov_b32 v24, v166 :: v_dual_mov_b32 v25, v169
	s_wait_dscnt 0x0
	s_delay_alu instid0(VALU_DEP_2) | instskip(NEXT) | instid1(VALU_DEP_1)
	v_pk_mul_f32 v[174:175], v[170:171], v[168:169] op_sel:[0,1]
	v_pk_fma_f32 v[176:177], v[170:171], v[166:167], v[174:175] op_sel:[0,0,1] op_sel_hi:[1,1,0] neg_lo:[0,0,1] neg_hi:[0,0,1]
	v_pk_fma_f32 v[170:171], v[170:171], v[166:167], v[174:175] op_sel:[0,0,1] op_sel_hi:[1,0,0]
	s_delay_alu instid0(VALU_DEP_1) | instskip(SKIP_1) | instid1(VALU_DEP_1)
	v_mov_b32_e32 v177, v171
	v_pk_mul_f32 v[170:171], v[172:173], v[168:169] op_sel:[0,1]
	v_pk_fma_f32 v[174:175], v[172:173], v[166:167], v[170:171] op_sel:[0,0,1] op_sel_hi:[1,1,0] neg_lo:[0,0,1] neg_hi:[0,0,1]
	v_pk_fma_f32 v[170:171], v[172:173], v[166:167], v[170:171] op_sel:[0,0,1] op_sel_hi:[1,0,0]
	s_delay_alu instid0(VALU_DEP_1)
	v_mov_b32_e32 v175, v171
	ds_load_2addr_b64 v[170:173], v232 offset0:8 offset1:9
	v_pk_add_f32 v[26:27], v[26:27], v[176:177] neg_lo:[0,1] neg_hi:[0,1]
	v_pk_add_f32 v[22:23], v[22:23], v[174:175] neg_lo:[0,1] neg_hi:[0,1]
	s_wait_dscnt 0x0
	v_pk_mul_f32 v[174:175], v[170:171], v[168:169] op_sel:[0,1]
	s_delay_alu instid0(VALU_DEP_1) | instskip(SKIP_2) | instid1(VALU_DEP_2)
	v_pk_fma_f32 v[176:177], v[170:171], v[166:167], v[174:175] op_sel:[0,0,1] op_sel_hi:[1,1,0] neg_lo:[0,0,1] neg_hi:[0,0,1]
	v_pk_fma_f32 v[170:171], v[170:171], v[166:167], v[174:175] op_sel:[0,0,1] op_sel_hi:[1,0,0]
	v_dual_mul_f32 v174, v173, v169 :: v_dual_mov_b32 v170, v173
	v_dual_mov_b32 v177, v171 :: v_dual_mov_b32 v171, v172
	s_delay_alu instid0(VALU_DEP_2) | instskip(SKIP_1) | instid1(VALU_DEP_3)
	v_pk_fma_f32 v[174:175], v[172:173], v[24:25], v[174:175] op_sel_hi:[1,1,0] neg_lo:[0,0,1] neg_hi:[0,0,1]
	v_mul_f32_e32 v172, v173, v166
	v_pk_add_f32 v[40:41], v[40:41], v[176:177] neg_lo:[0,1] neg_hi:[0,1]
	s_delay_alu instid0(VALU_DEP_2) | instskip(NEXT) | instid1(VALU_DEP_1)
	v_pk_fma_f32 v[170:171], v[170:171], v[24:25], v[172:173] op_sel_hi:[1,1,0]
	v_mov_b32_e32 v175, v171
	ds_load_2addr_b64 v[170:173], v232 offset0:10 offset1:11
	v_pk_add_f32 v[36:37], v[36:37], v[174:175] neg_lo:[0,1] neg_hi:[0,1]
	s_wait_dscnt 0x0
	v_pk_mul_f32 v[174:175], v[170:171], v[168:169] op_sel:[0,1]
	s_delay_alu instid0(VALU_DEP_1) | instskip(SKIP_1) | instid1(VALU_DEP_1)
	v_pk_fma_f32 v[176:177], v[170:171], v[166:167], v[174:175] op_sel:[0,0,1] op_sel_hi:[1,1,0] neg_lo:[0,0,1] neg_hi:[0,0,1]
	v_pk_fma_f32 v[170:171], v[170:171], v[166:167], v[174:175] op_sel:[0,0,1] op_sel_hi:[1,0,0]
	v_mov_b32_e32 v177, v171
	v_pk_mul_f32 v[170:171], v[172:173], v[168:169] op_sel:[0,1]
	s_delay_alu instid0(VALU_DEP_1) | instskip(SKIP_1) | instid1(VALU_DEP_1)
	v_pk_fma_f32 v[174:175], v[172:173], v[166:167], v[170:171] op_sel:[0,0,1] op_sel_hi:[1,1,0] neg_lo:[0,0,1] neg_hi:[0,0,1]
	v_pk_fma_f32 v[170:171], v[172:173], v[166:167], v[170:171] op_sel:[0,0,1] op_sel_hi:[1,0,0]
	v_mov_b32_e32 v175, v171
	ds_load_2addr_b64 v[170:173], v232 offset0:12 offset1:13
	v_pk_add_f32 v[38:39], v[38:39], v[176:177] neg_lo:[0,1] neg_hi:[0,1]
	v_pk_add_f32 v[76:77], v[76:77], v[174:175] neg_lo:[0,1] neg_hi:[0,1]
	s_wait_dscnt 0x0
	v_pk_mul_f32 v[174:175], v[170:171], v[168:169] op_sel:[0,1]
	s_delay_alu instid0(VALU_DEP_1) | instskip(SKIP_1) | instid1(VALU_DEP_1)
	v_pk_fma_f32 v[176:177], v[170:171], v[166:167], v[174:175] op_sel:[0,0,1] op_sel_hi:[1,1,0] neg_lo:[0,0,1] neg_hi:[0,0,1]
	v_pk_fma_f32 v[170:171], v[170:171], v[166:167], v[174:175] op_sel:[0,0,1] op_sel_hi:[1,0,0]
	v_mov_b32_e32 v177, v171
	v_pk_mul_f32 v[170:171], v[172:173], v[168:169] op_sel:[0,1]
	s_delay_alu instid0(VALU_DEP_1) | instskip(SKIP_1) | instid1(VALU_DEP_1)
	v_pk_fma_f32 v[174:175], v[172:173], v[166:167], v[170:171] op_sel:[0,0,1] op_sel_hi:[1,1,0] neg_lo:[0,0,1] neg_hi:[0,0,1]
	v_pk_fma_f32 v[170:171], v[172:173], v[166:167], v[170:171] op_sel:[0,0,1] op_sel_hi:[1,0,0]
	v_mov_b32_e32 v175, v171
	ds_load_2addr_b64 v[170:173], v232 offset0:14 offset1:15
	v_pk_add_f32 v[92:93], v[92:93], v[176:177] neg_lo:[0,1] neg_hi:[0,1]
	v_pk_add_f32 v[90:91], v[90:91], v[174:175] neg_lo:[0,1] neg_hi:[0,1]
	s_wait_dscnt 0x0
	v_dual_mul_f32 v174, v171, v169 :: v_dual_mul_f32 v176, v171, v166
	s_delay_alu instid0(VALU_DEP_1) | instskip(NEXT) | instid1(VALU_DEP_2)
	v_pk_fma_f32 v[174:175], v[170:171], v[24:25], v[174:175] op_sel_hi:[1,1,0] neg_lo:[0,0,1] neg_hi:[0,0,1]
	v_pk_fma_f32 v[170:171], v[170:171], v[24:25], v[176:177] op_sel:[1,0,0] op_sel_hi:[0,1,0]
	s_delay_alu instid0(VALU_DEP_1) | instskip(SKIP_1) | instid1(VALU_DEP_2)
	v_mov_b32_e32 v175, v171
	v_pk_mul_f32 v[170:171], v[172:173], v[168:169] op_sel:[0,1]
	v_pk_add_f32 v[74:75], v[74:75], v[174:175] neg_lo:[0,1] neg_hi:[0,1]
	s_delay_alu instid0(VALU_DEP_2) | instskip(SKIP_1) | instid1(VALU_DEP_1)
	v_pk_fma_f32 v[174:175], v[172:173], v[166:167], v[170:171] op_sel:[0,0,1] op_sel_hi:[1,1,0] neg_lo:[0,0,1] neg_hi:[0,0,1]
	v_pk_fma_f32 v[170:171], v[172:173], v[166:167], v[170:171] op_sel:[0,0,1] op_sel_hi:[1,0,0]
	v_mov_b32_e32 v175, v171
	ds_load_2addr_b64 v[170:173], v232 offset0:16 offset1:17
	v_pk_add_f32 v[88:89], v[88:89], v[174:175] neg_lo:[0,1] neg_hi:[0,1]
	s_wait_dscnt 0x0
	v_pk_mul_f32 v[174:175], v[170:171], v[168:169] op_sel:[0,1]
	s_delay_alu instid0(VALU_DEP_1) | instskip(SKIP_1) | instid1(VALU_DEP_1)
	v_pk_fma_f32 v[176:177], v[170:171], v[166:167], v[174:175] op_sel:[0,0,1] op_sel_hi:[1,1,0] neg_lo:[0,0,1] neg_hi:[0,0,1]
	v_pk_fma_f32 v[170:171], v[170:171], v[166:167], v[174:175] op_sel:[0,0,1] op_sel_hi:[1,0,0]
	v_mov_b32_e32 v177, v171
	v_pk_mul_f32 v[170:171], v[172:173], v[168:169] op_sel:[0,1]
	s_delay_alu instid0(VALU_DEP_2) | instskip(NEXT) | instid1(VALU_DEP_2)
	v_pk_add_f32 v[108:109], v[108:109], v[176:177] neg_lo:[0,1] neg_hi:[0,1]
	v_pk_fma_f32 v[174:175], v[172:173], v[166:167], v[170:171] op_sel:[0,0,1] op_sel_hi:[1,1,0] neg_lo:[0,0,1] neg_hi:[0,0,1]
	v_pk_fma_f32 v[170:171], v[172:173], v[166:167], v[170:171] op_sel:[0,0,1] op_sel_hi:[1,0,0]
	s_delay_alu instid0(VALU_DEP_1) | instskip(SKIP_4) | instid1(VALU_DEP_1)
	v_mov_b32_e32 v175, v171
	ds_load_2addr_b64 v[170:173], v232 offset0:18 offset1:19
	v_pk_add_f32 v[106:107], v[106:107], v[174:175] neg_lo:[0,1] neg_hi:[0,1]
	s_wait_dscnt 0x0
	v_pk_mul_f32 v[174:175], v[170:171], v[168:169] op_sel:[0,1]
	v_pk_fma_f32 v[176:177], v[170:171], v[166:167], v[174:175] op_sel:[0,0,1] op_sel_hi:[1,1,0] neg_lo:[0,0,1] neg_hi:[0,0,1]
	v_pk_fma_f32 v[170:171], v[170:171], v[166:167], v[174:175] op_sel:[0,0,1] op_sel_hi:[1,0,0]
	v_dual_mul_f32 v174, v173, v169 :: v_dual_mov_b32 v170, v173
	s_delay_alu instid0(VALU_DEP_2) | instskip(NEXT) | instid1(VALU_DEP_2)
	v_dual_mov_b32 v177, v171 :: v_dual_mov_b32 v171, v172
	v_pk_fma_f32 v[174:175], v[172:173], v[24:25], v[174:175] op_sel_hi:[1,1,0] neg_lo:[0,0,1] neg_hi:[0,0,1]
	v_mul_f32_e32 v172, v173, v166
	s_delay_alu instid0(VALU_DEP_3) | instskip(NEXT) | instid1(VALU_DEP_2)
	v_pk_add_f32 v[86:87], v[86:87], v[176:177] neg_lo:[0,1] neg_hi:[0,1]
	v_pk_fma_f32 v[170:171], v[170:171], v[24:25], v[172:173] op_sel_hi:[1,1,0]
	s_delay_alu instid0(VALU_DEP_1) | instskip(SKIP_4) | instid1(VALU_DEP_1)
	v_mov_b32_e32 v175, v171
	ds_load_2addr_b64 v[170:173], v232 offset0:20 offset1:21
	v_pk_add_f32 v[104:105], v[104:105], v[174:175] neg_lo:[0,1] neg_hi:[0,1]
	s_wait_dscnt 0x0
	v_pk_mul_f32 v[174:175], v[170:171], v[168:169] op_sel:[0,1]
	v_pk_fma_f32 v[176:177], v[170:171], v[166:167], v[174:175] op_sel:[0,0,1] op_sel_hi:[1,1,0] neg_lo:[0,0,1] neg_hi:[0,0,1]
	v_pk_fma_f32 v[170:171], v[170:171], v[166:167], v[174:175] op_sel:[0,0,1] op_sel_hi:[1,0,0]
	s_delay_alu instid0(VALU_DEP_1) | instskip(SKIP_1) | instid1(VALU_DEP_1)
	v_mov_b32_e32 v177, v171
	v_pk_mul_f32 v[170:171], v[172:173], v[168:169] op_sel:[0,1]
	v_pk_fma_f32 v[174:175], v[172:173], v[166:167], v[170:171] op_sel:[0,0,1] op_sel_hi:[1,1,0] neg_lo:[0,0,1] neg_hi:[0,0,1]
	v_pk_fma_f32 v[170:171], v[172:173], v[166:167], v[170:171] op_sel:[0,0,1] op_sel_hi:[1,0,0]
	s_delay_alu instid0(VALU_DEP_1)
	v_mov_b32_e32 v175, v171
	ds_load_2addr_b64 v[170:173], v232 offset0:22 offset1:23
	v_pk_add_f32 v[130:131], v[130:131], v[176:177] neg_lo:[0,1] neg_hi:[0,1]
	v_pk_add_f32 v[128:129], v[128:129], v[174:175] neg_lo:[0,1] neg_hi:[0,1]
	s_wait_dscnt 0x0
	v_pk_mul_f32 v[174:175], v[170:171], v[168:169] op_sel:[0,1]
	s_delay_alu instid0(VALU_DEP_1) | instskip(SKIP_1) | instid1(VALU_DEP_1)
	v_pk_fma_f32 v[176:177], v[170:171], v[166:167], v[174:175] op_sel:[0,0,1] op_sel_hi:[1,1,0] neg_lo:[0,0,1] neg_hi:[0,0,1]
	v_pk_fma_f32 v[170:171], v[170:171], v[166:167], v[174:175] op_sel:[0,0,1] op_sel_hi:[1,0,0]
	v_mov_b32_e32 v177, v171
	v_pk_mul_f32 v[170:171], v[172:173], v[168:169] op_sel:[0,1]
	s_delay_alu instid0(VALU_DEP_1) | instskip(SKIP_1) | instid1(VALU_DEP_1)
	v_pk_fma_f32 v[174:175], v[172:173], v[166:167], v[170:171] op_sel:[0,0,1] op_sel_hi:[1,1,0] neg_lo:[0,0,1] neg_hi:[0,0,1]
	v_pk_fma_f32 v[170:171], v[172:173], v[166:167], v[170:171] op_sel:[0,0,1] op_sel_hi:[1,0,0]
	v_mov_b32_e32 v175, v171
	ds_load_2addr_b64 v[170:173], v232 offset0:24 offset1:25
	v_pk_add_f32 v[102:103], v[102:103], v[176:177] neg_lo:[0,1] neg_hi:[0,1]
	v_pk_add_f32 v[126:127], v[126:127], v[174:175] neg_lo:[0,1] neg_hi:[0,1]
	s_wait_dscnt 0x0
	v_dual_mul_f32 v174, v171, v169 :: v_dual_mul_f32 v176, v171, v166
	s_delay_alu instid0(VALU_DEP_1) | instskip(NEXT) | instid1(VALU_DEP_2)
	v_pk_fma_f32 v[174:175], v[170:171], v[24:25], v[174:175] op_sel_hi:[1,1,0] neg_lo:[0,0,1] neg_hi:[0,0,1]
	v_pk_fma_f32 v[170:171], v[170:171], v[24:25], v[176:177] op_sel:[1,0,0] op_sel_hi:[0,1,0]
	s_delay_alu instid0(VALU_DEP_1) | instskip(SKIP_1) | instid1(VALU_DEP_2)
	v_mov_b32_e32 v175, v171
	v_pk_mul_f32 v[170:171], v[172:173], v[168:169] op_sel:[0,1]
	v_pk_add_f32 v[144:145], v[144:145], v[174:175] neg_lo:[0,1] neg_hi:[0,1]
	s_delay_alu instid0(VALU_DEP_2) | instskip(SKIP_1) | instid1(VALU_DEP_1)
	v_pk_fma_f32 v[174:175], v[172:173], v[166:167], v[170:171] op_sel:[0,0,1] op_sel_hi:[1,1,0] neg_lo:[0,0,1] neg_hi:[0,0,1]
	v_pk_fma_f32 v[170:171], v[172:173], v[166:167], v[170:171] op_sel:[0,0,1] op_sel_hi:[1,0,0]
	v_mov_b32_e32 v175, v171
	ds_load_2addr_b64 v[170:173], v232 offset0:26 offset1:27
	v_pk_add_f32 v[142:143], v[142:143], v[174:175] neg_lo:[0,1] neg_hi:[0,1]
	s_wait_dscnt 0x0
	v_pk_mul_f32 v[174:175], v[170:171], v[168:169] op_sel:[0,1]
	s_delay_alu instid0(VALU_DEP_1) | instskip(SKIP_1) | instid1(VALU_DEP_1)
	v_pk_fma_f32 v[176:177], v[170:171], v[166:167], v[174:175] op_sel:[0,0,1] op_sel_hi:[1,1,0] neg_lo:[0,0,1] neg_hi:[0,0,1]
	v_pk_fma_f32 v[170:171], v[170:171], v[166:167], v[174:175] op_sel:[0,0,1] op_sel_hi:[1,0,0]
	v_mov_b32_e32 v177, v171
	v_pk_mul_f32 v[170:171], v[172:173], v[168:169] op_sel:[0,1]
	s_delay_alu instid0(VALU_DEP_2) | instskip(NEXT) | instid1(VALU_DEP_2)
	v_pk_add_f32 v[150:151], v[150:151], v[176:177] neg_lo:[0,1] neg_hi:[0,1]
	v_pk_fma_f32 v[174:175], v[172:173], v[166:167], v[170:171] op_sel:[0,0,1] op_sel_hi:[1,1,0] neg_lo:[0,0,1] neg_hi:[0,0,1]
	v_pk_fma_f32 v[170:171], v[172:173], v[166:167], v[170:171] op_sel:[0,0,1] op_sel_hi:[1,0,0]
	s_delay_alu instid0(VALU_DEP_1) | instskip(SKIP_4) | instid1(VALU_DEP_1)
	v_mov_b32_e32 v175, v171
	ds_load_2addr_b64 v[170:173], v232 offset0:28 offset1:29
	v_pk_add_f32 v[140:141], v[140:141], v[174:175] neg_lo:[0,1] neg_hi:[0,1]
	s_wait_dscnt 0x0
	v_pk_mul_f32 v[174:175], v[170:171], v[168:169] op_sel:[0,1]
	v_pk_fma_f32 v[176:177], v[170:171], v[166:167], v[174:175] op_sel:[0,0,1] op_sel_hi:[1,1,0] neg_lo:[0,0,1] neg_hi:[0,0,1]
	v_pk_fma_f32 v[170:171], v[170:171], v[166:167], v[174:175] op_sel:[0,0,1] op_sel_hi:[1,0,0]
	v_dual_mul_f32 v174, v173, v169 :: v_dual_mov_b32 v170, v173
	s_delay_alu instid0(VALU_DEP_2) | instskip(NEXT) | instid1(VALU_DEP_2)
	v_dual_mov_b32 v177, v171 :: v_dual_mov_b32 v171, v172
	v_pk_fma_f32 v[174:175], v[172:173], v[24:25], v[174:175] op_sel_hi:[1,1,0] neg_lo:[0,0,1] neg_hi:[0,0,1]
	v_mul_f32_e32 v172, v173, v166
	s_delay_alu instid0(VALU_DEP_3) | instskip(NEXT) | instid1(VALU_DEP_2)
	v_pk_add_f32 v[148:149], v[148:149], v[176:177] neg_lo:[0,1] neg_hi:[0,1]
	v_pk_fma_f32 v[170:171], v[170:171], v[24:25], v[172:173] op_sel_hi:[1,1,0]
	s_delay_alu instid0(VALU_DEP_1) | instskip(SKIP_4) | instid1(VALU_DEP_1)
	v_mov_b32_e32 v175, v171
	ds_load_2addr_b64 v[170:173], v232 offset0:30 offset1:31
	v_pk_add_f32 v[114:115], v[114:115], v[174:175] neg_lo:[0,1] neg_hi:[0,1]
	s_wait_dscnt 0x0
	v_pk_mul_f32 v[174:175], v[170:171], v[168:169] op_sel:[0,1]
	v_pk_fma_f32 v[176:177], v[170:171], v[166:167], v[174:175] op_sel:[0,0,1] op_sel_hi:[1,1,0] neg_lo:[0,0,1] neg_hi:[0,0,1]
	v_pk_fma_f32 v[170:171], v[170:171], v[166:167], v[174:175] op_sel:[0,0,1] op_sel_hi:[1,0,0]
	s_delay_alu instid0(VALU_DEP_1) | instskip(SKIP_1) | instid1(VALU_DEP_1)
	v_mov_b32_e32 v177, v171
	v_pk_mul_f32 v[170:171], v[172:173], v[168:169] op_sel:[0,1]
	v_pk_fma_f32 v[174:175], v[172:173], v[166:167], v[170:171] op_sel:[0,0,1] op_sel_hi:[1,1,0] neg_lo:[0,0,1] neg_hi:[0,0,1]
	v_pk_fma_f32 v[170:171], v[172:173], v[166:167], v[170:171] op_sel:[0,0,1] op_sel_hi:[1,0,0]
	s_delay_alu instid0(VALU_DEP_1)
	v_mov_b32_e32 v175, v171
	ds_load_2addr_b64 v[170:173], v232 offset0:32 offset1:33
	v_pk_add_f32 v[116:117], v[116:117], v[176:177] neg_lo:[0,1] neg_hi:[0,1]
	v_pk_add_f32 v[112:113], v[112:113], v[174:175] neg_lo:[0,1] neg_hi:[0,1]
	s_wait_dscnt 0x0
	v_pk_mul_f32 v[174:175], v[170:171], v[168:169] op_sel:[0,1]
	s_delay_alu instid0(VALU_DEP_1) | instskip(SKIP_1) | instid1(VALU_DEP_1)
	v_pk_fma_f32 v[176:177], v[170:171], v[166:167], v[174:175] op_sel:[0,0,1] op_sel_hi:[1,1,0] neg_lo:[0,0,1] neg_hi:[0,0,1]
	v_pk_fma_f32 v[170:171], v[170:171], v[166:167], v[174:175] op_sel:[0,0,1] op_sel_hi:[1,0,0]
	v_mov_b32_e32 v177, v171
	v_pk_mul_f32 v[170:171], v[172:173], v[168:169] op_sel:[0,1]
	s_delay_alu instid0(VALU_DEP_1) | instskip(SKIP_1) | instid1(VALU_DEP_1)
	v_pk_fma_f32 v[174:175], v[172:173], v[166:167], v[170:171] op_sel:[0,0,1] op_sel_hi:[1,1,0] neg_lo:[0,0,1] neg_hi:[0,0,1]
	v_pk_fma_f32 v[170:171], v[172:173], v[166:167], v[170:171] op_sel:[0,0,1] op_sel_hi:[1,0,0]
	v_mov_b32_e32 v175, v171
	ds_load_2addr_b64 v[170:173], v232 offset0:34 offset1:35
	v_pk_add_f32 v[134:135], v[134:135], v[176:177] neg_lo:[0,1] neg_hi:[0,1]
	v_pk_add_f32 v[132:133], v[132:133], v[174:175] neg_lo:[0,1] neg_hi:[0,1]
	s_wait_dscnt 0x0
	v_dual_mul_f32 v174, v171, v169 :: v_dual_mul_f32 v176, v171, v166
	s_delay_alu instid0(VALU_DEP_1) | instskip(NEXT) | instid1(VALU_DEP_2)
	v_pk_fma_f32 v[174:175], v[170:171], v[24:25], v[174:175] op_sel_hi:[1,1,0] neg_lo:[0,0,1] neg_hi:[0,0,1]
	v_pk_fma_f32 v[170:171], v[170:171], v[24:25], v[176:177] op_sel:[1,0,0] op_sel_hi:[0,1,0]
	s_delay_alu instid0(VALU_DEP_1) | instskip(SKIP_1) | instid1(VALU_DEP_2)
	v_mov_b32_e32 v175, v171
	v_pk_mul_f32 v[170:171], v[172:173], v[168:169] op_sel:[0,1]
	v_pk_add_f32 v[146:147], v[146:147], v[174:175] neg_lo:[0,1] neg_hi:[0,1]
	s_delay_alu instid0(VALU_DEP_2) | instskip(SKIP_1) | instid1(VALU_DEP_1)
	v_pk_fma_f32 v[174:175], v[172:173], v[166:167], v[170:171] op_sel:[0,0,1] op_sel_hi:[1,1,0] neg_lo:[0,0,1] neg_hi:[0,0,1]
	v_pk_fma_f32 v[170:171], v[172:173], v[166:167], v[170:171] op_sel:[0,0,1] op_sel_hi:[1,0,0]
	v_mov_b32_e32 v175, v171
	ds_load_2addr_b64 v[170:173], v232 offset0:36 offset1:37
	v_pk_add_f32 v[138:139], v[138:139], v[174:175] neg_lo:[0,1] neg_hi:[0,1]
	s_wait_dscnt 0x0
	v_pk_mul_f32 v[174:175], v[170:171], v[168:169] op_sel:[0,1]
	v_pk_mul_f32 v[168:169], v[172:173], v[168:169] op_sel:[0,1]
	s_delay_alu instid0(VALU_DEP_2) | instskip(SKIP_1) | instid1(VALU_DEP_1)
	v_pk_fma_f32 v[176:177], v[170:171], v[166:167], v[174:175] op_sel:[0,0,1] op_sel_hi:[1,1,0] neg_lo:[0,0,1] neg_hi:[0,0,1]
	v_pk_fma_f32 v[170:171], v[170:171], v[166:167], v[174:175] op_sel:[0,0,1] op_sel_hi:[1,0,0]
	v_mov_b32_e32 v177, v171
	s_delay_alu instid0(VALU_DEP_4) | instskip(SKIP_1) | instid1(VALU_DEP_3)
	v_pk_fma_f32 v[170:171], v[172:173], v[166:167], v[168:169] op_sel:[0,0,1] op_sel_hi:[1,1,0] neg_lo:[0,0,1] neg_hi:[0,0,1]
	v_pk_fma_f32 v[166:167], v[172:173], v[166:167], v[168:169] op_sel:[0,0,1] op_sel_hi:[1,0,0]
	v_pk_add_f32 v[136:137], v[136:137], v[176:177] neg_lo:[0,1] neg_hi:[0,1]
	s_delay_alu instid0(VALU_DEP_2) | instskip(NEXT) | instid1(VALU_DEP_1)
	v_mov_b32_e32 v171, v167
	v_pk_add_f32 v[152:153], v[152:153], v[170:171] neg_lo:[0,1] neg_hi:[0,1]
.LBB75_55:
	s_or_b32 exec_lo, exec_lo, s1
	s_delay_alu instid0(SALU_CYCLE_1)
	s_mov_b32 s2, exec_lo
	s_wait_dscnt 0x0
	s_barrier_signal -1
	s_barrier_wait -1
	v_cmpx_eq_u32_e32 6, v230
	s_cbranch_execz .LBB75_62
; %bb.56:
	ds_store_b64 v231, v[26:27]
	ds_store_2addr_b64 v232, v[22:23], v[40:41] offset0:7 offset1:8
	ds_store_2addr_b64 v232, v[36:37], v[38:39] offset0:9 offset1:10
	;; [unrolled: 1-line block ×15, first 2 shown]
	ds_store_b64 v232, v[152:153] offset:296
	ds_load_b64 v[166:167], v231
	s_wait_dscnt 0x0
	v_cmp_neq_f32_e32 vcc_lo, 0, v166
	v_cmp_neq_f32_e64 s1, 0, v167
	s_or_b32 s1, vcc_lo, s1
	s_delay_alu instid0(SALU_CYCLE_1)
	s_and_b32 exec_lo, exec_lo, s1
	s_cbranch_execz .LBB75_62
; %bb.57:
	v_cmp_ngt_f32_e64 s1, |v166|, |v167|
                                        ; implicit-def: $vgpr168_vgpr169
	s_and_saveexec_b32 s4, s1
	s_delay_alu instid0(SALU_CYCLE_1)
	s_xor_b32 s1, exec_lo, s4
	s_cbranch_execz .LBB75_59
; %bb.58:
	v_div_scale_f32 v0, null, v167, v167, v166
	v_div_scale_f32 v169, vcc_lo, v166, v167, v166
	s_delay_alu instid0(VALU_DEP_2) | instskip(SKIP_1) | instid1(TRANS32_DEP_1)
	v_rcp_f32_e32 v1, v0
	v_nop
	v_fma_f32 v168, -v0, v1, 1.0
	s_delay_alu instid0(VALU_DEP_1) | instskip(NEXT) | instid1(VALU_DEP_1)
	v_fmac_f32_e32 v1, v168, v1
	v_mul_f32_e32 v168, v169, v1
	s_delay_alu instid0(VALU_DEP_1) | instskip(NEXT) | instid1(VALU_DEP_1)
	v_fma_f32 v170, -v0, v168, v169
	v_fmac_f32_e32 v168, v170, v1
	s_delay_alu instid0(VALU_DEP_1) | instskip(NEXT) | instid1(VALU_DEP_1)
	v_fma_f32 v0, -v0, v168, v169
	v_div_fmas_f32 v0, v0, v1, v168
	s_delay_alu instid0(VALU_DEP_1) | instskip(NEXT) | instid1(VALU_DEP_1)
	v_div_fixup_f32 v0, v0, v167, v166
	v_fmac_f32_e32 v167, v166, v0
	s_delay_alu instid0(VALU_DEP_1) | instskip(SKIP_1) | instid1(VALU_DEP_2)
	v_div_scale_f32 v1, null, v167, v167, 1.0
	v_div_scale_f32 v169, vcc_lo, 1.0, v167, 1.0
	v_rcp_f32_e32 v166, v1
	v_nop
	s_delay_alu instid0(TRANS32_DEP_1) | instskip(NEXT) | instid1(VALU_DEP_1)
	v_fma_f32 v168, -v1, v166, 1.0
	v_fmac_f32_e32 v166, v168, v166
	s_delay_alu instid0(VALU_DEP_1) | instskip(NEXT) | instid1(VALU_DEP_1)
	v_mul_f32_e32 v168, v169, v166
	v_fma_f32 v170, -v1, v168, v169
	s_delay_alu instid0(VALU_DEP_1) | instskip(NEXT) | instid1(VALU_DEP_1)
	v_fmac_f32_e32 v168, v170, v166
	v_fma_f32 v1, -v1, v168, v169
	s_delay_alu instid0(VALU_DEP_1) | instskip(NEXT) | instid1(VALU_DEP_1)
	v_div_fmas_f32 v1, v1, v166, v168
	v_div_fixup_f32 v1, v1, v167, 1.0
                                        ; implicit-def: $vgpr166_vgpr167
	s_delay_alu instid0(VALU_DEP_1)
	v_mul_f32_e32 v168, v0, v1
	v_xor_b32_e32 v169, 0x80000000, v1
.LBB75_59:
	s_and_not1_saveexec_b32 s1, s1
	s_cbranch_execz .LBB75_61
; %bb.60:
	v_div_scale_f32 v0, null, v166, v166, v167
	v_div_scale_f32 v169, vcc_lo, v167, v166, v167
	s_delay_alu instid0(VALU_DEP_2) | instskip(SKIP_1) | instid1(TRANS32_DEP_1)
	v_rcp_f32_e32 v1, v0
	v_nop
	v_fma_f32 v168, -v0, v1, 1.0
	s_delay_alu instid0(VALU_DEP_1) | instskip(NEXT) | instid1(VALU_DEP_1)
	v_fmac_f32_e32 v1, v168, v1
	v_mul_f32_e32 v168, v169, v1
	s_delay_alu instid0(VALU_DEP_1) | instskip(NEXT) | instid1(VALU_DEP_1)
	v_fma_f32 v170, -v0, v168, v169
	v_fmac_f32_e32 v168, v170, v1
	s_delay_alu instid0(VALU_DEP_1) | instskip(NEXT) | instid1(VALU_DEP_1)
	v_fma_f32 v0, -v0, v168, v169
	v_div_fmas_f32 v0, v0, v1, v168
	s_delay_alu instid0(VALU_DEP_1) | instskip(NEXT) | instid1(VALU_DEP_1)
	v_div_fixup_f32 v0, v0, v166, v167
	v_fmac_f32_e32 v166, v167, v0
	s_delay_alu instid0(VALU_DEP_1) | instskip(NEXT) | instid1(VALU_DEP_1)
	v_div_scale_f32 v1, null, v166, v166, 1.0
	v_rcp_f32_e32 v167, v1
	v_nop
	s_delay_alu instid0(TRANS32_DEP_1) | instskip(NEXT) | instid1(VALU_DEP_1)
	v_fma_f32 v168, -v1, v167, 1.0
	v_fmac_f32_e32 v167, v168, v167
	v_div_scale_f32 v168, vcc_lo, 1.0, v166, 1.0
	s_delay_alu instid0(VALU_DEP_1) | instskip(NEXT) | instid1(VALU_DEP_1)
	v_mul_f32_e32 v169, v168, v167
	v_fma_f32 v170, -v1, v169, v168
	s_delay_alu instid0(VALU_DEP_1) | instskip(NEXT) | instid1(VALU_DEP_1)
	v_fmac_f32_e32 v169, v170, v167
	v_fma_f32 v1, -v1, v169, v168
	s_delay_alu instid0(VALU_DEP_1) | instskip(NEXT) | instid1(VALU_DEP_1)
	v_div_fmas_f32 v1, v1, v167, v169
	v_div_fixup_f32 v168, v1, v166, 1.0
	s_delay_alu instid0(VALU_DEP_1)
	v_mul_f32_e64 v169, v0, -v168
.LBB75_61:
	s_or_b32 exec_lo, exec_lo, s1
	ds_store_b64 v231, v[168:169]
.LBB75_62:
	s_or_b32 exec_lo, exec_lo, s2
	s_wait_dscnt 0x0
	s_barrier_signal -1
	s_barrier_wait -1
	ds_load_b64 v[166:167], v231
	s_mov_b32 s1, exec_lo
	v_cmpx_lt_u32_e32 6, v230
	s_cbranch_execz .LBB75_64
; %bb.63:
	ds_load_2addr_b64 v[172:175], v232 offset0:7 offset1:8
	s_wait_dscnt 0x1
	v_pk_mul_f32 v[170:171], v[166:167], v[26:27] op_sel:[1,1] op_sel_hi:[0,1]
	s_delay_alu instid0(VALU_DEP_1) | instskip(SKIP_1) | instid1(VALU_DEP_1)
	v_pk_fma_f32 v[168:169], v[166:167], v[26:27], v[170:171] op_sel_hi:[1,0,1] neg_lo:[0,0,1] neg_hi:[0,0,1]
	v_pk_fma_f32 v[170:171], v[166:167], v[26:27], v[170:171] op_sel_hi:[1,0,1]
	v_dual_mov_b32 v26, v168 :: v_dual_mov_b32 v27, v171
	s_wait_dscnt 0x0
	s_delay_alu instid0(VALU_DEP_2) | instskip(NEXT) | instid1(VALU_DEP_1)
	v_pk_mul_f32 v[176:177], v[172:173], v[170:171] op_sel:[0,1]
	v_pk_fma_f32 v[178:179], v[172:173], v[168:169], v[176:177] op_sel:[0,0,1] op_sel_hi:[1,1,0] neg_lo:[0,0,1] neg_hi:[0,0,1]
	v_pk_fma_f32 v[172:173], v[172:173], v[168:169], v[176:177] op_sel:[0,0,1] op_sel_hi:[1,0,0]
	s_delay_alu instid0(VALU_DEP_1) | instskip(SKIP_1) | instid1(VALU_DEP_1)
	v_mov_b32_e32 v179, v173
	v_pk_mul_f32 v[172:173], v[174:175], v[170:171] op_sel:[0,1]
	v_pk_fma_f32 v[176:177], v[174:175], v[168:169], v[172:173] op_sel:[0,0,1] op_sel_hi:[1,1,0] neg_lo:[0,0,1] neg_hi:[0,0,1]
	v_pk_fma_f32 v[172:173], v[174:175], v[168:169], v[172:173] op_sel:[0,0,1] op_sel_hi:[1,0,0]
	s_delay_alu instid0(VALU_DEP_1)
	v_mov_b32_e32 v177, v173
	ds_load_2addr_b64 v[172:175], v232 offset0:9 offset1:10
	v_pk_add_f32 v[22:23], v[22:23], v[178:179] neg_lo:[0,1] neg_hi:[0,1]
	v_pk_add_f32 v[40:41], v[40:41], v[176:177] neg_lo:[0,1] neg_hi:[0,1]
	s_wait_dscnt 0x0
	v_pk_mul_f32 v[176:177], v[172:173], v[170:171] op_sel:[0,1]
	s_delay_alu instid0(VALU_DEP_1) | instskip(SKIP_2) | instid1(VALU_DEP_2)
	v_pk_fma_f32 v[178:179], v[172:173], v[168:169], v[176:177] op_sel:[0,0,1] op_sel_hi:[1,1,0] neg_lo:[0,0,1] neg_hi:[0,0,1]
	v_pk_fma_f32 v[172:173], v[172:173], v[168:169], v[176:177] op_sel:[0,0,1] op_sel_hi:[1,0,0]
	v_dual_mul_f32 v176, v175, v171 :: v_dual_mov_b32 v172, v175
	v_dual_mov_b32 v179, v173 :: v_dual_mov_b32 v173, v174
	s_delay_alu instid0(VALU_DEP_2) | instskip(SKIP_1) | instid1(VALU_DEP_3)
	v_pk_fma_f32 v[176:177], v[174:175], v[26:27], v[176:177] op_sel_hi:[1,1,0] neg_lo:[0,0,1] neg_hi:[0,0,1]
	v_mul_f32_e32 v174, v175, v168
	v_pk_add_f32 v[36:37], v[36:37], v[178:179] neg_lo:[0,1] neg_hi:[0,1]
	s_delay_alu instid0(VALU_DEP_2) | instskip(NEXT) | instid1(VALU_DEP_1)
	v_pk_fma_f32 v[172:173], v[172:173], v[26:27], v[174:175] op_sel_hi:[1,1,0]
	v_mov_b32_e32 v177, v173
	ds_load_2addr_b64 v[172:175], v232 offset0:11 offset1:12
	v_pk_add_f32 v[38:39], v[38:39], v[176:177] neg_lo:[0,1] neg_hi:[0,1]
	s_wait_dscnt 0x0
	v_pk_mul_f32 v[176:177], v[172:173], v[170:171] op_sel:[0,1]
	s_delay_alu instid0(VALU_DEP_1) | instskip(SKIP_1) | instid1(VALU_DEP_1)
	v_pk_fma_f32 v[178:179], v[172:173], v[168:169], v[176:177] op_sel:[0,0,1] op_sel_hi:[1,1,0] neg_lo:[0,0,1] neg_hi:[0,0,1]
	v_pk_fma_f32 v[172:173], v[172:173], v[168:169], v[176:177] op_sel:[0,0,1] op_sel_hi:[1,0,0]
	v_mov_b32_e32 v179, v173
	v_pk_mul_f32 v[172:173], v[174:175], v[170:171] op_sel:[0,1]
	s_delay_alu instid0(VALU_DEP_1) | instskip(SKIP_1) | instid1(VALU_DEP_1)
	v_pk_fma_f32 v[176:177], v[174:175], v[168:169], v[172:173] op_sel:[0,0,1] op_sel_hi:[1,1,0] neg_lo:[0,0,1] neg_hi:[0,0,1]
	v_pk_fma_f32 v[172:173], v[174:175], v[168:169], v[172:173] op_sel:[0,0,1] op_sel_hi:[1,0,0]
	v_mov_b32_e32 v177, v173
	ds_load_2addr_b64 v[172:175], v232 offset0:13 offset1:14
	v_pk_add_f32 v[76:77], v[76:77], v[178:179] neg_lo:[0,1] neg_hi:[0,1]
	v_pk_add_f32 v[92:93], v[92:93], v[176:177] neg_lo:[0,1] neg_hi:[0,1]
	s_wait_dscnt 0x0
	v_pk_mul_f32 v[176:177], v[172:173], v[170:171] op_sel:[0,1]
	s_delay_alu instid0(VALU_DEP_1) | instskip(SKIP_1) | instid1(VALU_DEP_1)
	v_pk_fma_f32 v[178:179], v[172:173], v[168:169], v[176:177] op_sel:[0,0,1] op_sel_hi:[1,1,0] neg_lo:[0,0,1] neg_hi:[0,0,1]
	v_pk_fma_f32 v[172:173], v[172:173], v[168:169], v[176:177] op_sel:[0,0,1] op_sel_hi:[1,0,0]
	v_mov_b32_e32 v179, v173
	v_pk_mul_f32 v[172:173], v[174:175], v[170:171] op_sel:[0,1]
	s_delay_alu instid0(VALU_DEP_1) | instskip(SKIP_1) | instid1(VALU_DEP_1)
	v_pk_fma_f32 v[176:177], v[174:175], v[168:169], v[172:173] op_sel:[0,0,1] op_sel_hi:[1,1,0] neg_lo:[0,0,1] neg_hi:[0,0,1]
	v_pk_fma_f32 v[172:173], v[174:175], v[168:169], v[172:173] op_sel:[0,0,1] op_sel_hi:[1,0,0]
	v_mov_b32_e32 v177, v173
	ds_load_2addr_b64 v[172:175], v232 offset0:15 offset1:16
	v_pk_add_f32 v[90:91], v[90:91], v[178:179] neg_lo:[0,1] neg_hi:[0,1]
	v_pk_add_f32 v[74:75], v[74:75], v[176:177] neg_lo:[0,1] neg_hi:[0,1]
	s_wait_dscnt 0x0
	v_dual_mul_f32 v176, v173, v171 :: v_dual_mul_f32 v178, v173, v168
	s_delay_alu instid0(VALU_DEP_1) | instskip(NEXT) | instid1(VALU_DEP_2)
	v_pk_fma_f32 v[176:177], v[172:173], v[26:27], v[176:177] op_sel_hi:[1,1,0] neg_lo:[0,0,1] neg_hi:[0,0,1]
	v_pk_fma_f32 v[172:173], v[172:173], v[26:27], v[178:179] op_sel:[1,0,0] op_sel_hi:[0,1,0]
	s_delay_alu instid0(VALU_DEP_1) | instskip(SKIP_1) | instid1(VALU_DEP_2)
	v_mov_b32_e32 v177, v173
	v_pk_mul_f32 v[172:173], v[174:175], v[170:171] op_sel:[0,1]
	v_pk_add_f32 v[88:89], v[88:89], v[176:177] neg_lo:[0,1] neg_hi:[0,1]
	s_delay_alu instid0(VALU_DEP_2) | instskip(SKIP_1) | instid1(VALU_DEP_1)
	v_pk_fma_f32 v[176:177], v[174:175], v[168:169], v[172:173] op_sel:[0,0,1] op_sel_hi:[1,1,0] neg_lo:[0,0,1] neg_hi:[0,0,1]
	v_pk_fma_f32 v[172:173], v[174:175], v[168:169], v[172:173] op_sel:[0,0,1] op_sel_hi:[1,0,0]
	v_mov_b32_e32 v177, v173
	ds_load_2addr_b64 v[172:175], v232 offset0:17 offset1:18
	v_pk_add_f32 v[108:109], v[108:109], v[176:177] neg_lo:[0,1] neg_hi:[0,1]
	s_wait_dscnt 0x0
	v_pk_mul_f32 v[176:177], v[172:173], v[170:171] op_sel:[0,1]
	s_delay_alu instid0(VALU_DEP_1) | instskip(SKIP_1) | instid1(VALU_DEP_1)
	v_pk_fma_f32 v[178:179], v[172:173], v[168:169], v[176:177] op_sel:[0,0,1] op_sel_hi:[1,1,0] neg_lo:[0,0,1] neg_hi:[0,0,1]
	v_pk_fma_f32 v[172:173], v[172:173], v[168:169], v[176:177] op_sel:[0,0,1] op_sel_hi:[1,0,0]
	v_mov_b32_e32 v179, v173
	v_pk_mul_f32 v[172:173], v[174:175], v[170:171] op_sel:[0,1]
	s_delay_alu instid0(VALU_DEP_2) | instskip(NEXT) | instid1(VALU_DEP_2)
	v_pk_add_f32 v[106:107], v[106:107], v[178:179] neg_lo:[0,1] neg_hi:[0,1]
	v_pk_fma_f32 v[176:177], v[174:175], v[168:169], v[172:173] op_sel:[0,0,1] op_sel_hi:[1,1,0] neg_lo:[0,0,1] neg_hi:[0,0,1]
	v_pk_fma_f32 v[172:173], v[174:175], v[168:169], v[172:173] op_sel:[0,0,1] op_sel_hi:[1,0,0]
	s_delay_alu instid0(VALU_DEP_1) | instskip(SKIP_4) | instid1(VALU_DEP_1)
	v_mov_b32_e32 v177, v173
	ds_load_2addr_b64 v[172:175], v232 offset0:19 offset1:20
	v_pk_add_f32 v[86:87], v[86:87], v[176:177] neg_lo:[0,1] neg_hi:[0,1]
	s_wait_dscnt 0x0
	v_pk_mul_f32 v[176:177], v[172:173], v[170:171] op_sel:[0,1]
	v_pk_fma_f32 v[178:179], v[172:173], v[168:169], v[176:177] op_sel:[0,0,1] op_sel_hi:[1,1,0] neg_lo:[0,0,1] neg_hi:[0,0,1]
	v_pk_fma_f32 v[172:173], v[172:173], v[168:169], v[176:177] op_sel:[0,0,1] op_sel_hi:[1,0,0]
	v_dual_mul_f32 v176, v175, v171 :: v_dual_mov_b32 v172, v175
	s_delay_alu instid0(VALU_DEP_2) | instskip(NEXT) | instid1(VALU_DEP_2)
	v_dual_mov_b32 v179, v173 :: v_dual_mov_b32 v173, v174
	v_pk_fma_f32 v[176:177], v[174:175], v[26:27], v[176:177] op_sel_hi:[1,1,0] neg_lo:[0,0,1] neg_hi:[0,0,1]
	v_mul_f32_e32 v174, v175, v168
	s_delay_alu instid0(VALU_DEP_3) | instskip(NEXT) | instid1(VALU_DEP_2)
	v_pk_add_f32 v[104:105], v[104:105], v[178:179] neg_lo:[0,1] neg_hi:[0,1]
	v_pk_fma_f32 v[172:173], v[172:173], v[26:27], v[174:175] op_sel_hi:[1,1,0]
	s_delay_alu instid0(VALU_DEP_1) | instskip(SKIP_4) | instid1(VALU_DEP_1)
	v_mov_b32_e32 v177, v173
	ds_load_2addr_b64 v[172:175], v232 offset0:21 offset1:22
	v_pk_add_f32 v[130:131], v[130:131], v[176:177] neg_lo:[0,1] neg_hi:[0,1]
	s_wait_dscnt 0x0
	v_pk_mul_f32 v[176:177], v[172:173], v[170:171] op_sel:[0,1]
	v_pk_fma_f32 v[178:179], v[172:173], v[168:169], v[176:177] op_sel:[0,0,1] op_sel_hi:[1,1,0] neg_lo:[0,0,1] neg_hi:[0,0,1]
	v_pk_fma_f32 v[172:173], v[172:173], v[168:169], v[176:177] op_sel:[0,0,1] op_sel_hi:[1,0,0]
	s_delay_alu instid0(VALU_DEP_1) | instskip(SKIP_1) | instid1(VALU_DEP_1)
	v_mov_b32_e32 v179, v173
	v_pk_mul_f32 v[172:173], v[174:175], v[170:171] op_sel:[0,1]
	v_pk_fma_f32 v[176:177], v[174:175], v[168:169], v[172:173] op_sel:[0,0,1] op_sel_hi:[1,1,0] neg_lo:[0,0,1] neg_hi:[0,0,1]
	v_pk_fma_f32 v[172:173], v[174:175], v[168:169], v[172:173] op_sel:[0,0,1] op_sel_hi:[1,0,0]
	s_delay_alu instid0(VALU_DEP_1)
	v_mov_b32_e32 v177, v173
	ds_load_2addr_b64 v[172:175], v232 offset0:23 offset1:24
	v_pk_add_f32 v[128:129], v[128:129], v[178:179] neg_lo:[0,1] neg_hi:[0,1]
	v_pk_add_f32 v[102:103], v[102:103], v[176:177] neg_lo:[0,1] neg_hi:[0,1]
	s_wait_dscnt 0x0
	v_pk_mul_f32 v[176:177], v[172:173], v[170:171] op_sel:[0,1]
	s_delay_alu instid0(VALU_DEP_1) | instskip(SKIP_1) | instid1(VALU_DEP_1)
	v_pk_fma_f32 v[178:179], v[172:173], v[168:169], v[176:177] op_sel:[0,0,1] op_sel_hi:[1,1,0] neg_lo:[0,0,1] neg_hi:[0,0,1]
	v_pk_fma_f32 v[172:173], v[172:173], v[168:169], v[176:177] op_sel:[0,0,1] op_sel_hi:[1,0,0]
	v_mov_b32_e32 v179, v173
	v_pk_mul_f32 v[172:173], v[174:175], v[170:171] op_sel:[0,1]
	s_delay_alu instid0(VALU_DEP_1) | instskip(SKIP_1) | instid1(VALU_DEP_1)
	v_pk_fma_f32 v[176:177], v[174:175], v[168:169], v[172:173] op_sel:[0,0,1] op_sel_hi:[1,1,0] neg_lo:[0,0,1] neg_hi:[0,0,1]
	v_pk_fma_f32 v[172:173], v[174:175], v[168:169], v[172:173] op_sel:[0,0,1] op_sel_hi:[1,0,0]
	v_mov_b32_e32 v177, v173
	ds_load_2addr_b64 v[172:175], v232 offset0:25 offset1:26
	v_pk_add_f32 v[126:127], v[126:127], v[178:179] neg_lo:[0,1] neg_hi:[0,1]
	v_pk_add_f32 v[144:145], v[144:145], v[176:177] neg_lo:[0,1] neg_hi:[0,1]
	s_wait_dscnt 0x0
	v_dual_mul_f32 v176, v173, v171 :: v_dual_mul_f32 v178, v173, v168
	s_delay_alu instid0(VALU_DEP_1) | instskip(NEXT) | instid1(VALU_DEP_2)
	v_pk_fma_f32 v[176:177], v[172:173], v[26:27], v[176:177] op_sel_hi:[1,1,0] neg_lo:[0,0,1] neg_hi:[0,0,1]
	v_pk_fma_f32 v[172:173], v[172:173], v[26:27], v[178:179] op_sel:[1,0,0] op_sel_hi:[0,1,0]
	s_delay_alu instid0(VALU_DEP_1) | instskip(SKIP_1) | instid1(VALU_DEP_2)
	v_mov_b32_e32 v177, v173
	v_pk_mul_f32 v[172:173], v[174:175], v[170:171] op_sel:[0,1]
	v_pk_add_f32 v[142:143], v[142:143], v[176:177] neg_lo:[0,1] neg_hi:[0,1]
	s_delay_alu instid0(VALU_DEP_2) | instskip(SKIP_1) | instid1(VALU_DEP_1)
	v_pk_fma_f32 v[176:177], v[174:175], v[168:169], v[172:173] op_sel:[0,0,1] op_sel_hi:[1,1,0] neg_lo:[0,0,1] neg_hi:[0,0,1]
	v_pk_fma_f32 v[172:173], v[174:175], v[168:169], v[172:173] op_sel:[0,0,1] op_sel_hi:[1,0,0]
	v_mov_b32_e32 v177, v173
	ds_load_2addr_b64 v[172:175], v232 offset0:27 offset1:28
	v_pk_add_f32 v[150:151], v[150:151], v[176:177] neg_lo:[0,1] neg_hi:[0,1]
	s_wait_dscnt 0x0
	v_pk_mul_f32 v[176:177], v[172:173], v[170:171] op_sel:[0,1]
	s_delay_alu instid0(VALU_DEP_1) | instskip(SKIP_1) | instid1(VALU_DEP_1)
	v_pk_fma_f32 v[178:179], v[172:173], v[168:169], v[176:177] op_sel:[0,0,1] op_sel_hi:[1,1,0] neg_lo:[0,0,1] neg_hi:[0,0,1]
	v_pk_fma_f32 v[172:173], v[172:173], v[168:169], v[176:177] op_sel:[0,0,1] op_sel_hi:[1,0,0]
	v_mov_b32_e32 v179, v173
	v_pk_mul_f32 v[172:173], v[174:175], v[170:171] op_sel:[0,1]
	s_delay_alu instid0(VALU_DEP_2) | instskip(NEXT) | instid1(VALU_DEP_2)
	v_pk_add_f32 v[140:141], v[140:141], v[178:179] neg_lo:[0,1] neg_hi:[0,1]
	v_pk_fma_f32 v[176:177], v[174:175], v[168:169], v[172:173] op_sel:[0,0,1] op_sel_hi:[1,1,0] neg_lo:[0,0,1] neg_hi:[0,0,1]
	v_pk_fma_f32 v[172:173], v[174:175], v[168:169], v[172:173] op_sel:[0,0,1] op_sel_hi:[1,0,0]
	s_delay_alu instid0(VALU_DEP_1) | instskip(SKIP_4) | instid1(VALU_DEP_1)
	v_mov_b32_e32 v177, v173
	ds_load_2addr_b64 v[172:175], v232 offset0:29 offset1:30
	v_pk_add_f32 v[148:149], v[148:149], v[176:177] neg_lo:[0,1] neg_hi:[0,1]
	s_wait_dscnt 0x0
	v_pk_mul_f32 v[176:177], v[172:173], v[170:171] op_sel:[0,1]
	v_pk_fma_f32 v[178:179], v[172:173], v[168:169], v[176:177] op_sel:[0,0,1] op_sel_hi:[1,1,0] neg_lo:[0,0,1] neg_hi:[0,0,1]
	v_pk_fma_f32 v[172:173], v[172:173], v[168:169], v[176:177] op_sel:[0,0,1] op_sel_hi:[1,0,0]
	v_dual_mul_f32 v176, v175, v171 :: v_dual_mov_b32 v172, v175
	s_delay_alu instid0(VALU_DEP_2) | instskip(NEXT) | instid1(VALU_DEP_2)
	v_dual_mov_b32 v179, v173 :: v_dual_mov_b32 v173, v174
	v_pk_fma_f32 v[176:177], v[174:175], v[26:27], v[176:177] op_sel_hi:[1,1,0] neg_lo:[0,0,1] neg_hi:[0,0,1]
	v_mul_f32_e32 v174, v175, v168
	s_delay_alu instid0(VALU_DEP_3) | instskip(NEXT) | instid1(VALU_DEP_2)
	v_pk_add_f32 v[114:115], v[114:115], v[178:179] neg_lo:[0,1] neg_hi:[0,1]
	v_pk_fma_f32 v[172:173], v[172:173], v[26:27], v[174:175] op_sel_hi:[1,1,0]
	s_delay_alu instid0(VALU_DEP_1) | instskip(SKIP_4) | instid1(VALU_DEP_1)
	v_mov_b32_e32 v177, v173
	ds_load_2addr_b64 v[172:175], v232 offset0:31 offset1:32
	v_pk_add_f32 v[116:117], v[116:117], v[176:177] neg_lo:[0,1] neg_hi:[0,1]
	s_wait_dscnt 0x0
	v_pk_mul_f32 v[176:177], v[172:173], v[170:171] op_sel:[0,1]
	v_pk_fma_f32 v[178:179], v[172:173], v[168:169], v[176:177] op_sel:[0,0,1] op_sel_hi:[1,1,0] neg_lo:[0,0,1] neg_hi:[0,0,1]
	v_pk_fma_f32 v[172:173], v[172:173], v[168:169], v[176:177] op_sel:[0,0,1] op_sel_hi:[1,0,0]
	s_delay_alu instid0(VALU_DEP_1) | instskip(SKIP_1) | instid1(VALU_DEP_1)
	v_mov_b32_e32 v179, v173
	v_pk_mul_f32 v[172:173], v[174:175], v[170:171] op_sel:[0,1]
	v_pk_fma_f32 v[176:177], v[174:175], v[168:169], v[172:173] op_sel:[0,0,1] op_sel_hi:[1,1,0] neg_lo:[0,0,1] neg_hi:[0,0,1]
	v_pk_fma_f32 v[172:173], v[174:175], v[168:169], v[172:173] op_sel:[0,0,1] op_sel_hi:[1,0,0]
	s_delay_alu instid0(VALU_DEP_1)
	v_mov_b32_e32 v177, v173
	ds_load_2addr_b64 v[172:175], v232 offset0:33 offset1:34
	v_pk_add_f32 v[112:113], v[112:113], v[178:179] neg_lo:[0,1] neg_hi:[0,1]
	v_pk_add_f32 v[134:135], v[134:135], v[176:177] neg_lo:[0,1] neg_hi:[0,1]
	s_wait_dscnt 0x0
	v_pk_mul_f32 v[176:177], v[172:173], v[170:171] op_sel:[0,1]
	s_delay_alu instid0(VALU_DEP_1) | instskip(SKIP_1) | instid1(VALU_DEP_1)
	v_pk_fma_f32 v[178:179], v[172:173], v[168:169], v[176:177] op_sel:[0,0,1] op_sel_hi:[1,1,0] neg_lo:[0,0,1] neg_hi:[0,0,1]
	v_pk_fma_f32 v[172:173], v[172:173], v[168:169], v[176:177] op_sel:[0,0,1] op_sel_hi:[1,0,0]
	v_mov_b32_e32 v179, v173
	v_pk_mul_f32 v[172:173], v[174:175], v[170:171] op_sel:[0,1]
	s_delay_alu instid0(VALU_DEP_1) | instskip(SKIP_1) | instid1(VALU_DEP_1)
	v_pk_fma_f32 v[176:177], v[174:175], v[168:169], v[172:173] op_sel:[0,0,1] op_sel_hi:[1,1,0] neg_lo:[0,0,1] neg_hi:[0,0,1]
	v_pk_fma_f32 v[172:173], v[174:175], v[168:169], v[172:173] op_sel:[0,0,1] op_sel_hi:[1,0,0]
	v_mov_b32_e32 v177, v173
	ds_load_2addr_b64 v[172:175], v232 offset0:35 offset1:36
	v_pk_add_f32 v[132:133], v[132:133], v[178:179] neg_lo:[0,1] neg_hi:[0,1]
	v_pk_add_f32 v[146:147], v[146:147], v[176:177] neg_lo:[0,1] neg_hi:[0,1]
	s_wait_dscnt 0x0
	v_dual_mul_f32 v176, v173, v171 :: v_dual_mul_f32 v178, v173, v168
	s_delay_alu instid0(VALU_DEP_1) | instskip(NEXT) | instid1(VALU_DEP_2)
	v_pk_fma_f32 v[176:177], v[172:173], v[26:27], v[176:177] op_sel_hi:[1,1,0] neg_lo:[0,0,1] neg_hi:[0,0,1]
	v_pk_fma_f32 v[172:173], v[172:173], v[26:27], v[178:179] op_sel:[1,0,0] op_sel_hi:[0,1,0]
	s_delay_alu instid0(VALU_DEP_1) | instskip(SKIP_1) | instid1(VALU_DEP_2)
	v_mov_b32_e32 v177, v173
	v_pk_mul_f32 v[172:173], v[174:175], v[170:171] op_sel:[0,1]
	v_pk_add_f32 v[138:139], v[138:139], v[176:177] neg_lo:[0,1] neg_hi:[0,1]
	s_delay_alu instid0(VALU_DEP_2) | instskip(SKIP_1) | instid1(VALU_DEP_1)
	v_pk_fma_f32 v[176:177], v[174:175], v[168:169], v[172:173] op_sel:[0,0,1] op_sel_hi:[1,1,0] neg_lo:[0,0,1] neg_hi:[0,0,1]
	v_pk_fma_f32 v[172:173], v[174:175], v[168:169], v[172:173] op_sel:[0,0,1] op_sel_hi:[1,0,0]
	v_mov_b32_e32 v177, v173
	ds_load_b64 v[172:173], v232 offset:296
	v_pk_add_f32 v[136:137], v[136:137], v[176:177] neg_lo:[0,1] neg_hi:[0,1]
	s_wait_dscnt 0x0
	v_pk_mul_f32 v[170:171], v[172:173], v[170:171] op_sel:[0,1]
	s_delay_alu instid0(VALU_DEP_1) | instskip(SKIP_1) | instid1(VALU_DEP_1)
	v_pk_fma_f32 v[174:175], v[172:173], v[168:169], v[170:171] op_sel:[0,0,1] op_sel_hi:[1,1,0] neg_lo:[0,0,1] neg_hi:[0,0,1]
	v_pk_fma_f32 v[168:169], v[172:173], v[168:169], v[170:171] op_sel:[0,0,1] op_sel_hi:[1,0,0]
	v_mov_b32_e32 v175, v169
	s_delay_alu instid0(VALU_DEP_1)
	v_pk_add_f32 v[152:153], v[152:153], v[174:175] neg_lo:[0,1] neg_hi:[0,1]
.LBB75_64:
	s_or_b32 exec_lo, exec_lo, s1
	s_delay_alu instid0(SALU_CYCLE_1)
	s_mov_b32 s2, exec_lo
	s_wait_dscnt 0x0
	s_barrier_signal -1
	s_barrier_wait -1
	v_cmpx_eq_u32_e32 7, v230
	s_cbranch_execz .LBB75_71
; %bb.65:
	v_dual_mov_b32 v168, v40 :: v_dual_mov_b32 v169, v41
	v_dual_mov_b32 v170, v36 :: v_dual_mov_b32 v171, v37
	ds_store_b64 v231, v[22:23]
	ds_store_2addr_b64 v232, v[168:169], v[170:171] offset0:8 offset1:9
	v_dual_mov_b32 v168, v38 :: v_dual_mov_b32 v169, v39
	v_dual_mov_b32 v170, v76 :: v_dual_mov_b32 v171, v77
	ds_store_2addr_b64 v232, v[168:169], v[170:171] offset0:10 offset1:11
	v_dual_mov_b32 v168, v92 :: v_dual_mov_b32 v169, v93
	v_dual_mov_b32 v170, v90 :: v_dual_mov_b32 v171, v91
	;; [unrolled: 3-line block ×13, first 2 shown]
	ds_store_2addr_b64 v232, v[168:169], v[170:171] offset0:34 offset1:35
	v_dual_mov_b32 v168, v136 :: v_dual_mov_b32 v169, v137
	ds_store_2addr_b64 v232, v[168:169], v[152:153] offset0:36 offset1:37
	ds_load_b64 v[168:169], v231
	s_wait_dscnt 0x0
	v_cmp_neq_f32_e32 vcc_lo, 0, v168
	v_cmp_neq_f32_e64 s1, 0, v169
	s_or_b32 s1, vcc_lo, s1
	s_delay_alu instid0(SALU_CYCLE_1)
	s_and_b32 exec_lo, exec_lo, s1
	s_cbranch_execz .LBB75_71
; %bb.66:
	v_cmp_ngt_f32_e64 s1, |v168|, |v169|
                                        ; implicit-def: $vgpr170_vgpr171
	s_and_saveexec_b32 s4, s1
	s_delay_alu instid0(SALU_CYCLE_1)
	s_xor_b32 s1, exec_lo, s4
	s_cbranch_execz .LBB75_68
; %bb.67:
	v_div_scale_f32 v0, null, v169, v169, v168
	v_div_scale_f32 v171, vcc_lo, v168, v169, v168
	s_delay_alu instid0(VALU_DEP_2) | instskip(SKIP_1) | instid1(TRANS32_DEP_1)
	v_rcp_f32_e32 v1, v0
	v_nop
	v_fma_f32 v170, -v0, v1, 1.0
	s_delay_alu instid0(VALU_DEP_1) | instskip(NEXT) | instid1(VALU_DEP_1)
	v_fmac_f32_e32 v1, v170, v1
	v_mul_f32_e32 v170, v171, v1
	s_delay_alu instid0(VALU_DEP_1) | instskip(NEXT) | instid1(VALU_DEP_1)
	v_fma_f32 v172, -v0, v170, v171
	v_fmac_f32_e32 v170, v172, v1
	s_delay_alu instid0(VALU_DEP_1) | instskip(NEXT) | instid1(VALU_DEP_1)
	v_fma_f32 v0, -v0, v170, v171
	v_div_fmas_f32 v0, v0, v1, v170
	s_delay_alu instid0(VALU_DEP_1) | instskip(NEXT) | instid1(VALU_DEP_1)
	v_div_fixup_f32 v0, v0, v169, v168
	v_fmac_f32_e32 v169, v168, v0
	s_delay_alu instid0(VALU_DEP_1) | instskip(SKIP_1) | instid1(VALU_DEP_2)
	v_div_scale_f32 v1, null, v169, v169, 1.0
	v_div_scale_f32 v171, vcc_lo, 1.0, v169, 1.0
	v_rcp_f32_e32 v168, v1
	v_nop
	s_delay_alu instid0(TRANS32_DEP_1) | instskip(NEXT) | instid1(VALU_DEP_1)
	v_fma_f32 v170, -v1, v168, 1.0
	v_fmac_f32_e32 v168, v170, v168
	s_delay_alu instid0(VALU_DEP_1) | instskip(NEXT) | instid1(VALU_DEP_1)
	v_mul_f32_e32 v170, v171, v168
	v_fma_f32 v172, -v1, v170, v171
	s_delay_alu instid0(VALU_DEP_1) | instskip(NEXT) | instid1(VALU_DEP_1)
	v_fmac_f32_e32 v170, v172, v168
	v_fma_f32 v1, -v1, v170, v171
	s_delay_alu instid0(VALU_DEP_1) | instskip(NEXT) | instid1(VALU_DEP_1)
	v_div_fmas_f32 v1, v1, v168, v170
	v_div_fixup_f32 v1, v1, v169, 1.0
                                        ; implicit-def: $vgpr168_vgpr169
	s_delay_alu instid0(VALU_DEP_1)
	v_mul_f32_e32 v170, v0, v1
	v_xor_b32_e32 v171, 0x80000000, v1
.LBB75_68:
	s_and_not1_saveexec_b32 s1, s1
	s_cbranch_execz .LBB75_70
; %bb.69:
	v_div_scale_f32 v0, null, v168, v168, v169
	v_div_scale_f32 v171, vcc_lo, v169, v168, v169
	s_delay_alu instid0(VALU_DEP_2) | instskip(SKIP_1) | instid1(TRANS32_DEP_1)
	v_rcp_f32_e32 v1, v0
	v_nop
	v_fma_f32 v170, -v0, v1, 1.0
	s_delay_alu instid0(VALU_DEP_1) | instskip(NEXT) | instid1(VALU_DEP_1)
	v_fmac_f32_e32 v1, v170, v1
	v_mul_f32_e32 v170, v171, v1
	s_delay_alu instid0(VALU_DEP_1) | instskip(NEXT) | instid1(VALU_DEP_1)
	v_fma_f32 v172, -v0, v170, v171
	v_fmac_f32_e32 v170, v172, v1
	s_delay_alu instid0(VALU_DEP_1) | instskip(NEXT) | instid1(VALU_DEP_1)
	v_fma_f32 v0, -v0, v170, v171
	v_div_fmas_f32 v0, v0, v1, v170
	s_delay_alu instid0(VALU_DEP_1) | instskip(NEXT) | instid1(VALU_DEP_1)
	v_div_fixup_f32 v0, v0, v168, v169
	v_fmac_f32_e32 v168, v169, v0
	s_delay_alu instid0(VALU_DEP_1) | instskip(NEXT) | instid1(VALU_DEP_1)
	v_div_scale_f32 v1, null, v168, v168, 1.0
	v_rcp_f32_e32 v169, v1
	v_nop
	s_delay_alu instid0(TRANS32_DEP_1) | instskip(NEXT) | instid1(VALU_DEP_1)
	v_fma_f32 v170, -v1, v169, 1.0
	v_fmac_f32_e32 v169, v170, v169
	v_div_scale_f32 v170, vcc_lo, 1.0, v168, 1.0
	s_delay_alu instid0(VALU_DEP_1) | instskip(NEXT) | instid1(VALU_DEP_1)
	v_mul_f32_e32 v171, v170, v169
	v_fma_f32 v172, -v1, v171, v170
	s_delay_alu instid0(VALU_DEP_1) | instskip(NEXT) | instid1(VALU_DEP_1)
	v_fmac_f32_e32 v171, v172, v169
	v_fma_f32 v1, -v1, v171, v170
	s_delay_alu instid0(VALU_DEP_1) | instskip(NEXT) | instid1(VALU_DEP_1)
	v_div_fmas_f32 v1, v1, v169, v171
	v_div_fixup_f32 v170, v1, v168, 1.0
	s_delay_alu instid0(VALU_DEP_1)
	v_mul_f32_e64 v171, v0, -v170
.LBB75_70:
	s_or_b32 exec_lo, exec_lo, s1
	ds_store_b64 v231, v[170:171]
.LBB75_71:
	s_or_b32 exec_lo, exec_lo, s2
	s_wait_dscnt 0x0
	s_barrier_signal -1
	s_barrier_wait -1
	ds_load_b64 v[168:169], v231
	s_mov_b32 s1, exec_lo
	v_cmpx_lt_u32_e32 7, v230
	s_cbranch_execz .LBB75_73
; %bb.72:
	ds_load_2addr_b64 v[174:177], v232 offset0:8 offset1:9
	s_wait_dscnt 0x1
	v_pk_mul_f32 v[172:173], v[168:169], v[22:23] op_sel:[1,1] op_sel_hi:[0,1]
	s_delay_alu instid0(VALU_DEP_1) | instskip(SKIP_1) | instid1(VALU_DEP_1)
	v_pk_fma_f32 v[170:171], v[168:169], v[22:23], v[172:173] op_sel_hi:[1,0,1] neg_lo:[0,0,1] neg_hi:[0,0,1]
	v_pk_fma_f32 v[172:173], v[168:169], v[22:23], v[172:173] op_sel_hi:[1,0,1]
	v_dual_mov_b32 v22, v170 :: v_dual_mov_b32 v23, v173
	s_wait_dscnt 0x0
	s_delay_alu instid0(VALU_DEP_2) | instskip(NEXT) | instid1(VALU_DEP_1)
	v_pk_mul_f32 v[178:179], v[174:175], v[172:173] op_sel:[0,1]
	v_pk_fma_f32 v[180:181], v[174:175], v[170:171], v[178:179] op_sel:[0,0,1] op_sel_hi:[1,1,0] neg_lo:[0,0,1] neg_hi:[0,0,1]
	v_pk_fma_f32 v[174:175], v[174:175], v[170:171], v[178:179] op_sel:[0,0,1] op_sel_hi:[1,0,0]
	s_delay_alu instid0(VALU_DEP_1) | instskip(SKIP_1) | instid1(VALU_DEP_1)
	v_mov_b32_e32 v181, v175
	v_pk_mul_f32 v[174:175], v[176:177], v[172:173] op_sel:[0,1]
	v_pk_fma_f32 v[178:179], v[176:177], v[170:171], v[174:175] op_sel:[0,0,1] op_sel_hi:[1,1,0] neg_lo:[0,0,1] neg_hi:[0,0,1]
	v_pk_fma_f32 v[174:175], v[176:177], v[170:171], v[174:175] op_sel:[0,0,1] op_sel_hi:[1,0,0]
	s_delay_alu instid0(VALU_DEP_1)
	v_mov_b32_e32 v179, v175
	ds_load_2addr_b64 v[174:177], v232 offset0:10 offset1:11
	v_pk_add_f32 v[40:41], v[40:41], v[180:181] neg_lo:[0,1] neg_hi:[0,1]
	v_pk_add_f32 v[36:37], v[36:37], v[178:179] neg_lo:[0,1] neg_hi:[0,1]
	s_wait_dscnt 0x0
	v_pk_mul_f32 v[178:179], v[174:175], v[172:173] op_sel:[0,1]
	s_delay_alu instid0(VALU_DEP_1) | instskip(SKIP_2) | instid1(VALU_DEP_2)
	v_pk_fma_f32 v[180:181], v[174:175], v[170:171], v[178:179] op_sel:[0,0,1] op_sel_hi:[1,1,0] neg_lo:[0,0,1] neg_hi:[0,0,1]
	v_pk_fma_f32 v[174:175], v[174:175], v[170:171], v[178:179] op_sel:[0,0,1] op_sel_hi:[1,0,0]
	v_dual_mul_f32 v178, v177, v173 :: v_dual_mov_b32 v174, v177
	v_dual_mov_b32 v181, v175 :: v_dual_mov_b32 v175, v176
	s_delay_alu instid0(VALU_DEP_2) | instskip(SKIP_1) | instid1(VALU_DEP_3)
	v_pk_fma_f32 v[178:179], v[176:177], v[22:23], v[178:179] op_sel_hi:[1,1,0] neg_lo:[0,0,1] neg_hi:[0,0,1]
	v_mul_f32_e32 v176, v177, v170
	v_pk_add_f32 v[38:39], v[38:39], v[180:181] neg_lo:[0,1] neg_hi:[0,1]
	s_delay_alu instid0(VALU_DEP_2) | instskip(NEXT) | instid1(VALU_DEP_1)
	v_pk_fma_f32 v[174:175], v[174:175], v[22:23], v[176:177] op_sel_hi:[1,1,0]
	v_mov_b32_e32 v179, v175
	ds_load_2addr_b64 v[174:177], v232 offset0:12 offset1:13
	v_pk_add_f32 v[76:77], v[76:77], v[178:179] neg_lo:[0,1] neg_hi:[0,1]
	s_wait_dscnt 0x0
	v_pk_mul_f32 v[178:179], v[174:175], v[172:173] op_sel:[0,1]
	s_delay_alu instid0(VALU_DEP_1) | instskip(SKIP_1) | instid1(VALU_DEP_1)
	v_pk_fma_f32 v[180:181], v[174:175], v[170:171], v[178:179] op_sel:[0,0,1] op_sel_hi:[1,1,0] neg_lo:[0,0,1] neg_hi:[0,0,1]
	v_pk_fma_f32 v[174:175], v[174:175], v[170:171], v[178:179] op_sel:[0,0,1] op_sel_hi:[1,0,0]
	v_mov_b32_e32 v181, v175
	v_pk_mul_f32 v[174:175], v[176:177], v[172:173] op_sel:[0,1]
	s_delay_alu instid0(VALU_DEP_1) | instskip(SKIP_1) | instid1(VALU_DEP_1)
	v_pk_fma_f32 v[178:179], v[176:177], v[170:171], v[174:175] op_sel:[0,0,1] op_sel_hi:[1,1,0] neg_lo:[0,0,1] neg_hi:[0,0,1]
	v_pk_fma_f32 v[174:175], v[176:177], v[170:171], v[174:175] op_sel:[0,0,1] op_sel_hi:[1,0,0]
	v_mov_b32_e32 v179, v175
	ds_load_2addr_b64 v[174:177], v232 offset0:14 offset1:15
	v_pk_add_f32 v[92:93], v[92:93], v[180:181] neg_lo:[0,1] neg_hi:[0,1]
	v_pk_add_f32 v[90:91], v[90:91], v[178:179] neg_lo:[0,1] neg_hi:[0,1]
	s_wait_dscnt 0x0
	v_pk_mul_f32 v[178:179], v[174:175], v[172:173] op_sel:[0,1]
	s_delay_alu instid0(VALU_DEP_1) | instskip(SKIP_1) | instid1(VALU_DEP_1)
	v_pk_fma_f32 v[180:181], v[174:175], v[170:171], v[178:179] op_sel:[0,0,1] op_sel_hi:[1,1,0] neg_lo:[0,0,1] neg_hi:[0,0,1]
	v_pk_fma_f32 v[174:175], v[174:175], v[170:171], v[178:179] op_sel:[0,0,1] op_sel_hi:[1,0,0]
	v_mov_b32_e32 v181, v175
	v_pk_mul_f32 v[174:175], v[176:177], v[172:173] op_sel:[0,1]
	s_delay_alu instid0(VALU_DEP_1) | instskip(SKIP_1) | instid1(VALU_DEP_1)
	v_pk_fma_f32 v[178:179], v[176:177], v[170:171], v[174:175] op_sel:[0,0,1] op_sel_hi:[1,1,0] neg_lo:[0,0,1] neg_hi:[0,0,1]
	v_pk_fma_f32 v[174:175], v[176:177], v[170:171], v[174:175] op_sel:[0,0,1] op_sel_hi:[1,0,0]
	v_mov_b32_e32 v179, v175
	ds_load_2addr_b64 v[174:177], v232 offset0:16 offset1:17
	v_pk_add_f32 v[74:75], v[74:75], v[180:181] neg_lo:[0,1] neg_hi:[0,1]
	v_pk_add_f32 v[88:89], v[88:89], v[178:179] neg_lo:[0,1] neg_hi:[0,1]
	s_wait_dscnt 0x0
	v_dual_mul_f32 v178, v175, v173 :: v_dual_mul_f32 v180, v175, v170
	s_delay_alu instid0(VALU_DEP_1) | instskip(NEXT) | instid1(VALU_DEP_2)
	v_pk_fma_f32 v[178:179], v[174:175], v[22:23], v[178:179] op_sel_hi:[1,1,0] neg_lo:[0,0,1] neg_hi:[0,0,1]
	v_pk_fma_f32 v[174:175], v[174:175], v[22:23], v[180:181] op_sel:[1,0,0] op_sel_hi:[0,1,0]
	s_delay_alu instid0(VALU_DEP_1) | instskip(SKIP_1) | instid1(VALU_DEP_2)
	v_mov_b32_e32 v179, v175
	v_pk_mul_f32 v[174:175], v[176:177], v[172:173] op_sel:[0,1]
	v_pk_add_f32 v[108:109], v[108:109], v[178:179] neg_lo:[0,1] neg_hi:[0,1]
	s_delay_alu instid0(VALU_DEP_2) | instskip(SKIP_1) | instid1(VALU_DEP_1)
	v_pk_fma_f32 v[178:179], v[176:177], v[170:171], v[174:175] op_sel:[0,0,1] op_sel_hi:[1,1,0] neg_lo:[0,0,1] neg_hi:[0,0,1]
	v_pk_fma_f32 v[174:175], v[176:177], v[170:171], v[174:175] op_sel:[0,0,1] op_sel_hi:[1,0,0]
	v_mov_b32_e32 v179, v175
	ds_load_2addr_b64 v[174:177], v232 offset0:18 offset1:19
	v_pk_add_f32 v[106:107], v[106:107], v[178:179] neg_lo:[0,1] neg_hi:[0,1]
	s_wait_dscnt 0x0
	v_pk_mul_f32 v[178:179], v[174:175], v[172:173] op_sel:[0,1]
	s_delay_alu instid0(VALU_DEP_1) | instskip(SKIP_1) | instid1(VALU_DEP_1)
	v_pk_fma_f32 v[180:181], v[174:175], v[170:171], v[178:179] op_sel:[0,0,1] op_sel_hi:[1,1,0] neg_lo:[0,0,1] neg_hi:[0,0,1]
	v_pk_fma_f32 v[174:175], v[174:175], v[170:171], v[178:179] op_sel:[0,0,1] op_sel_hi:[1,0,0]
	v_mov_b32_e32 v181, v175
	v_pk_mul_f32 v[174:175], v[176:177], v[172:173] op_sel:[0,1]
	s_delay_alu instid0(VALU_DEP_2) | instskip(NEXT) | instid1(VALU_DEP_2)
	v_pk_add_f32 v[86:87], v[86:87], v[180:181] neg_lo:[0,1] neg_hi:[0,1]
	v_pk_fma_f32 v[178:179], v[176:177], v[170:171], v[174:175] op_sel:[0,0,1] op_sel_hi:[1,1,0] neg_lo:[0,0,1] neg_hi:[0,0,1]
	v_pk_fma_f32 v[174:175], v[176:177], v[170:171], v[174:175] op_sel:[0,0,1] op_sel_hi:[1,0,0]
	s_delay_alu instid0(VALU_DEP_1) | instskip(SKIP_4) | instid1(VALU_DEP_1)
	v_mov_b32_e32 v179, v175
	ds_load_2addr_b64 v[174:177], v232 offset0:20 offset1:21
	v_pk_add_f32 v[104:105], v[104:105], v[178:179] neg_lo:[0,1] neg_hi:[0,1]
	s_wait_dscnt 0x0
	v_pk_mul_f32 v[178:179], v[174:175], v[172:173] op_sel:[0,1]
	v_pk_fma_f32 v[180:181], v[174:175], v[170:171], v[178:179] op_sel:[0,0,1] op_sel_hi:[1,1,0] neg_lo:[0,0,1] neg_hi:[0,0,1]
	v_pk_fma_f32 v[174:175], v[174:175], v[170:171], v[178:179] op_sel:[0,0,1] op_sel_hi:[1,0,0]
	v_dual_mul_f32 v178, v177, v173 :: v_dual_mov_b32 v174, v177
	s_delay_alu instid0(VALU_DEP_2) | instskip(NEXT) | instid1(VALU_DEP_2)
	v_dual_mov_b32 v181, v175 :: v_dual_mov_b32 v175, v176
	v_pk_fma_f32 v[178:179], v[176:177], v[22:23], v[178:179] op_sel_hi:[1,1,0] neg_lo:[0,0,1] neg_hi:[0,0,1]
	v_mul_f32_e32 v176, v177, v170
	s_delay_alu instid0(VALU_DEP_3) | instskip(NEXT) | instid1(VALU_DEP_2)
	v_pk_add_f32 v[130:131], v[130:131], v[180:181] neg_lo:[0,1] neg_hi:[0,1]
	v_pk_fma_f32 v[174:175], v[174:175], v[22:23], v[176:177] op_sel_hi:[1,1,0]
	s_delay_alu instid0(VALU_DEP_1) | instskip(SKIP_4) | instid1(VALU_DEP_1)
	v_mov_b32_e32 v179, v175
	ds_load_2addr_b64 v[174:177], v232 offset0:22 offset1:23
	v_pk_add_f32 v[128:129], v[128:129], v[178:179] neg_lo:[0,1] neg_hi:[0,1]
	s_wait_dscnt 0x0
	v_pk_mul_f32 v[178:179], v[174:175], v[172:173] op_sel:[0,1]
	v_pk_fma_f32 v[180:181], v[174:175], v[170:171], v[178:179] op_sel:[0,0,1] op_sel_hi:[1,1,0] neg_lo:[0,0,1] neg_hi:[0,0,1]
	v_pk_fma_f32 v[174:175], v[174:175], v[170:171], v[178:179] op_sel:[0,0,1] op_sel_hi:[1,0,0]
	s_delay_alu instid0(VALU_DEP_1) | instskip(SKIP_1) | instid1(VALU_DEP_1)
	v_mov_b32_e32 v181, v175
	v_pk_mul_f32 v[174:175], v[176:177], v[172:173] op_sel:[0,1]
	v_pk_fma_f32 v[178:179], v[176:177], v[170:171], v[174:175] op_sel:[0,0,1] op_sel_hi:[1,1,0] neg_lo:[0,0,1] neg_hi:[0,0,1]
	v_pk_fma_f32 v[174:175], v[176:177], v[170:171], v[174:175] op_sel:[0,0,1] op_sel_hi:[1,0,0]
	s_delay_alu instid0(VALU_DEP_1)
	v_mov_b32_e32 v179, v175
	ds_load_2addr_b64 v[174:177], v232 offset0:24 offset1:25
	v_pk_add_f32 v[102:103], v[102:103], v[180:181] neg_lo:[0,1] neg_hi:[0,1]
	v_pk_add_f32 v[126:127], v[126:127], v[178:179] neg_lo:[0,1] neg_hi:[0,1]
	s_wait_dscnt 0x0
	v_pk_mul_f32 v[178:179], v[174:175], v[172:173] op_sel:[0,1]
	s_delay_alu instid0(VALU_DEP_1) | instskip(SKIP_1) | instid1(VALU_DEP_1)
	v_pk_fma_f32 v[180:181], v[174:175], v[170:171], v[178:179] op_sel:[0,0,1] op_sel_hi:[1,1,0] neg_lo:[0,0,1] neg_hi:[0,0,1]
	v_pk_fma_f32 v[174:175], v[174:175], v[170:171], v[178:179] op_sel:[0,0,1] op_sel_hi:[1,0,0]
	v_mov_b32_e32 v181, v175
	v_pk_mul_f32 v[174:175], v[176:177], v[172:173] op_sel:[0,1]
	s_delay_alu instid0(VALU_DEP_1) | instskip(SKIP_1) | instid1(VALU_DEP_1)
	v_pk_fma_f32 v[178:179], v[176:177], v[170:171], v[174:175] op_sel:[0,0,1] op_sel_hi:[1,1,0] neg_lo:[0,0,1] neg_hi:[0,0,1]
	v_pk_fma_f32 v[174:175], v[176:177], v[170:171], v[174:175] op_sel:[0,0,1] op_sel_hi:[1,0,0]
	v_mov_b32_e32 v179, v175
	ds_load_2addr_b64 v[174:177], v232 offset0:26 offset1:27
	v_pk_add_f32 v[144:145], v[144:145], v[180:181] neg_lo:[0,1] neg_hi:[0,1]
	v_pk_add_f32 v[142:143], v[142:143], v[178:179] neg_lo:[0,1] neg_hi:[0,1]
	s_wait_dscnt 0x0
	v_dual_mul_f32 v178, v175, v173 :: v_dual_mul_f32 v180, v175, v170
	s_delay_alu instid0(VALU_DEP_1) | instskip(NEXT) | instid1(VALU_DEP_2)
	v_pk_fma_f32 v[178:179], v[174:175], v[22:23], v[178:179] op_sel_hi:[1,1,0] neg_lo:[0,0,1] neg_hi:[0,0,1]
	v_pk_fma_f32 v[174:175], v[174:175], v[22:23], v[180:181] op_sel:[1,0,0] op_sel_hi:[0,1,0]
	s_delay_alu instid0(VALU_DEP_1) | instskip(SKIP_1) | instid1(VALU_DEP_2)
	v_mov_b32_e32 v179, v175
	v_pk_mul_f32 v[174:175], v[176:177], v[172:173] op_sel:[0,1]
	v_pk_add_f32 v[150:151], v[150:151], v[178:179] neg_lo:[0,1] neg_hi:[0,1]
	s_delay_alu instid0(VALU_DEP_2) | instskip(SKIP_1) | instid1(VALU_DEP_1)
	v_pk_fma_f32 v[178:179], v[176:177], v[170:171], v[174:175] op_sel:[0,0,1] op_sel_hi:[1,1,0] neg_lo:[0,0,1] neg_hi:[0,0,1]
	v_pk_fma_f32 v[174:175], v[176:177], v[170:171], v[174:175] op_sel:[0,0,1] op_sel_hi:[1,0,0]
	v_mov_b32_e32 v179, v175
	ds_load_2addr_b64 v[174:177], v232 offset0:28 offset1:29
	v_pk_add_f32 v[140:141], v[140:141], v[178:179] neg_lo:[0,1] neg_hi:[0,1]
	s_wait_dscnt 0x0
	v_pk_mul_f32 v[178:179], v[174:175], v[172:173] op_sel:[0,1]
	s_delay_alu instid0(VALU_DEP_1) | instskip(SKIP_1) | instid1(VALU_DEP_1)
	v_pk_fma_f32 v[180:181], v[174:175], v[170:171], v[178:179] op_sel:[0,0,1] op_sel_hi:[1,1,0] neg_lo:[0,0,1] neg_hi:[0,0,1]
	v_pk_fma_f32 v[174:175], v[174:175], v[170:171], v[178:179] op_sel:[0,0,1] op_sel_hi:[1,0,0]
	v_mov_b32_e32 v181, v175
	v_pk_mul_f32 v[174:175], v[176:177], v[172:173] op_sel:[0,1]
	s_delay_alu instid0(VALU_DEP_2) | instskip(NEXT) | instid1(VALU_DEP_2)
	v_pk_add_f32 v[148:149], v[148:149], v[180:181] neg_lo:[0,1] neg_hi:[0,1]
	v_pk_fma_f32 v[178:179], v[176:177], v[170:171], v[174:175] op_sel:[0,0,1] op_sel_hi:[1,1,0] neg_lo:[0,0,1] neg_hi:[0,0,1]
	v_pk_fma_f32 v[174:175], v[176:177], v[170:171], v[174:175] op_sel:[0,0,1] op_sel_hi:[1,0,0]
	s_delay_alu instid0(VALU_DEP_1) | instskip(SKIP_4) | instid1(VALU_DEP_1)
	v_mov_b32_e32 v179, v175
	ds_load_2addr_b64 v[174:177], v232 offset0:30 offset1:31
	v_pk_add_f32 v[114:115], v[114:115], v[178:179] neg_lo:[0,1] neg_hi:[0,1]
	s_wait_dscnt 0x0
	v_pk_mul_f32 v[178:179], v[174:175], v[172:173] op_sel:[0,1]
	v_pk_fma_f32 v[180:181], v[174:175], v[170:171], v[178:179] op_sel:[0,0,1] op_sel_hi:[1,1,0] neg_lo:[0,0,1] neg_hi:[0,0,1]
	v_pk_fma_f32 v[174:175], v[174:175], v[170:171], v[178:179] op_sel:[0,0,1] op_sel_hi:[1,0,0]
	v_dual_mul_f32 v178, v177, v173 :: v_dual_mov_b32 v174, v177
	s_delay_alu instid0(VALU_DEP_2) | instskip(NEXT) | instid1(VALU_DEP_2)
	v_dual_mov_b32 v181, v175 :: v_dual_mov_b32 v175, v176
	v_pk_fma_f32 v[178:179], v[176:177], v[22:23], v[178:179] op_sel_hi:[1,1,0] neg_lo:[0,0,1] neg_hi:[0,0,1]
	v_mul_f32_e32 v176, v177, v170
	s_delay_alu instid0(VALU_DEP_3) | instskip(NEXT) | instid1(VALU_DEP_2)
	v_pk_add_f32 v[116:117], v[116:117], v[180:181] neg_lo:[0,1] neg_hi:[0,1]
	v_pk_fma_f32 v[174:175], v[174:175], v[22:23], v[176:177] op_sel_hi:[1,1,0]
	s_delay_alu instid0(VALU_DEP_1) | instskip(SKIP_4) | instid1(VALU_DEP_1)
	v_mov_b32_e32 v179, v175
	ds_load_2addr_b64 v[174:177], v232 offset0:32 offset1:33
	v_pk_add_f32 v[112:113], v[112:113], v[178:179] neg_lo:[0,1] neg_hi:[0,1]
	s_wait_dscnt 0x0
	v_pk_mul_f32 v[178:179], v[174:175], v[172:173] op_sel:[0,1]
	v_pk_fma_f32 v[180:181], v[174:175], v[170:171], v[178:179] op_sel:[0,0,1] op_sel_hi:[1,1,0] neg_lo:[0,0,1] neg_hi:[0,0,1]
	v_pk_fma_f32 v[174:175], v[174:175], v[170:171], v[178:179] op_sel:[0,0,1] op_sel_hi:[1,0,0]
	s_delay_alu instid0(VALU_DEP_1) | instskip(SKIP_1) | instid1(VALU_DEP_1)
	v_mov_b32_e32 v181, v175
	v_pk_mul_f32 v[174:175], v[176:177], v[172:173] op_sel:[0,1]
	v_pk_fma_f32 v[178:179], v[176:177], v[170:171], v[174:175] op_sel:[0,0,1] op_sel_hi:[1,1,0] neg_lo:[0,0,1] neg_hi:[0,0,1]
	v_pk_fma_f32 v[174:175], v[176:177], v[170:171], v[174:175] op_sel:[0,0,1] op_sel_hi:[1,0,0]
	s_delay_alu instid0(VALU_DEP_1)
	v_mov_b32_e32 v179, v175
	ds_load_2addr_b64 v[174:177], v232 offset0:34 offset1:35
	v_pk_add_f32 v[134:135], v[134:135], v[180:181] neg_lo:[0,1] neg_hi:[0,1]
	v_pk_add_f32 v[132:133], v[132:133], v[178:179] neg_lo:[0,1] neg_hi:[0,1]
	s_wait_dscnt 0x0
	v_pk_mul_f32 v[178:179], v[174:175], v[172:173] op_sel:[0,1]
	s_delay_alu instid0(VALU_DEP_1) | instskip(SKIP_1) | instid1(VALU_DEP_1)
	v_pk_fma_f32 v[180:181], v[174:175], v[170:171], v[178:179] op_sel:[0,0,1] op_sel_hi:[1,1,0] neg_lo:[0,0,1] neg_hi:[0,0,1]
	v_pk_fma_f32 v[174:175], v[174:175], v[170:171], v[178:179] op_sel:[0,0,1] op_sel_hi:[1,0,0]
	v_mov_b32_e32 v181, v175
	v_pk_mul_f32 v[174:175], v[176:177], v[172:173] op_sel:[0,1]
	s_delay_alu instid0(VALU_DEP_1) | instskip(SKIP_1) | instid1(VALU_DEP_1)
	v_pk_fma_f32 v[178:179], v[176:177], v[170:171], v[174:175] op_sel:[0,0,1] op_sel_hi:[1,1,0] neg_lo:[0,0,1] neg_hi:[0,0,1]
	v_pk_fma_f32 v[174:175], v[176:177], v[170:171], v[174:175] op_sel:[0,0,1] op_sel_hi:[1,0,0]
	v_mov_b32_e32 v179, v175
	ds_load_2addr_b64 v[174:177], v232 offset0:36 offset1:37
	v_pk_add_f32 v[146:147], v[146:147], v[180:181] neg_lo:[0,1] neg_hi:[0,1]
	v_pk_add_f32 v[138:139], v[138:139], v[178:179] neg_lo:[0,1] neg_hi:[0,1]
	s_wait_dscnt 0x0
	v_mul_f32_e32 v172, v175, v173
	s_delay_alu instid0(VALU_DEP_1) | instskip(SKIP_1) | instid1(VALU_DEP_1)
	v_pk_fma_f32 v[178:179], v[174:175], v[22:23], v[172:173] op_sel_hi:[1,1,0] neg_lo:[0,0,1] neg_hi:[0,0,1]
	v_dual_mul_f32 v172, v175, v170 :: v_dual_mul_f32 v170, v177, v170
	v_pk_fma_f32 v[174:175], v[174:175], v[22:23], v[172:173] op_sel:[1,0,0] op_sel_hi:[0,1,0]
	v_dual_mov_b32 v174, v177 :: v_dual_mul_f32 v172, v177, v173
	s_delay_alu instid0(VALU_DEP_2) | instskip(NEXT) | instid1(VALU_DEP_2)
	v_dual_mov_b32 v179, v175 :: v_dual_mov_b32 v175, v176
	v_pk_fma_f32 v[172:173], v[176:177], v[22:23], v[172:173] op_sel_hi:[1,1,0] neg_lo:[0,0,1] neg_hi:[0,0,1]
	s_delay_alu instid0(VALU_DEP_2) | instskip(NEXT) | instid1(VALU_DEP_3)
	v_pk_add_f32 v[136:137], v[136:137], v[178:179] neg_lo:[0,1] neg_hi:[0,1]
	v_pk_fma_f32 v[170:171], v[174:175], v[22:23], v[170:171] op_sel_hi:[1,1,0]
	s_delay_alu instid0(VALU_DEP_1) | instskip(NEXT) | instid1(VALU_DEP_1)
	v_mov_b32_e32 v173, v171
	v_pk_add_f32 v[152:153], v[152:153], v[172:173] neg_lo:[0,1] neg_hi:[0,1]
.LBB75_73:
	s_or_b32 exec_lo, exec_lo, s1
	s_delay_alu instid0(SALU_CYCLE_1)
	s_mov_b32 s2, exec_lo
	s_wait_dscnt 0x0
	s_barrier_signal -1
	s_barrier_wait -1
	v_cmpx_eq_u32_e32 8, v230
	s_cbranch_execz .LBB75_80
; %bb.74:
	ds_store_b64 v231, v[40:41]
	ds_store_2addr_b64 v232, v[36:37], v[38:39] offset0:9 offset1:10
	ds_store_2addr_b64 v232, v[76:77], v[92:93] offset0:11 offset1:12
	;; [unrolled: 1-line block ×14, first 2 shown]
	ds_store_b64 v232, v[152:153] offset:296
	ds_load_b64 v[170:171], v231
	s_wait_dscnt 0x0
	v_cmp_neq_f32_e32 vcc_lo, 0, v170
	v_cmp_neq_f32_e64 s1, 0, v171
	s_or_b32 s1, vcc_lo, s1
	s_delay_alu instid0(SALU_CYCLE_1)
	s_and_b32 exec_lo, exec_lo, s1
	s_cbranch_execz .LBB75_80
; %bb.75:
	v_cmp_ngt_f32_e64 s1, |v170|, |v171|
                                        ; implicit-def: $vgpr172_vgpr173
	s_and_saveexec_b32 s4, s1
	s_delay_alu instid0(SALU_CYCLE_1)
	s_xor_b32 s1, exec_lo, s4
	s_cbranch_execz .LBB75_77
; %bb.76:
	v_div_scale_f32 v0, null, v171, v171, v170
	v_div_scale_f32 v173, vcc_lo, v170, v171, v170
	s_delay_alu instid0(VALU_DEP_2) | instskip(SKIP_1) | instid1(TRANS32_DEP_1)
	v_rcp_f32_e32 v1, v0
	v_nop
	v_fma_f32 v172, -v0, v1, 1.0
	s_delay_alu instid0(VALU_DEP_1) | instskip(NEXT) | instid1(VALU_DEP_1)
	v_fmac_f32_e32 v1, v172, v1
	v_mul_f32_e32 v172, v173, v1
	s_delay_alu instid0(VALU_DEP_1) | instskip(NEXT) | instid1(VALU_DEP_1)
	v_fma_f32 v174, -v0, v172, v173
	v_fmac_f32_e32 v172, v174, v1
	s_delay_alu instid0(VALU_DEP_1) | instskip(NEXT) | instid1(VALU_DEP_1)
	v_fma_f32 v0, -v0, v172, v173
	v_div_fmas_f32 v0, v0, v1, v172
	s_delay_alu instid0(VALU_DEP_1) | instskip(NEXT) | instid1(VALU_DEP_1)
	v_div_fixup_f32 v0, v0, v171, v170
	v_fmac_f32_e32 v171, v170, v0
	s_delay_alu instid0(VALU_DEP_1) | instskip(SKIP_1) | instid1(VALU_DEP_2)
	v_div_scale_f32 v1, null, v171, v171, 1.0
	v_div_scale_f32 v173, vcc_lo, 1.0, v171, 1.0
	v_rcp_f32_e32 v170, v1
	v_nop
	s_delay_alu instid0(TRANS32_DEP_1) | instskip(NEXT) | instid1(VALU_DEP_1)
	v_fma_f32 v172, -v1, v170, 1.0
	v_fmac_f32_e32 v170, v172, v170
	s_delay_alu instid0(VALU_DEP_1) | instskip(NEXT) | instid1(VALU_DEP_1)
	v_mul_f32_e32 v172, v173, v170
	v_fma_f32 v174, -v1, v172, v173
	s_delay_alu instid0(VALU_DEP_1) | instskip(NEXT) | instid1(VALU_DEP_1)
	v_fmac_f32_e32 v172, v174, v170
	v_fma_f32 v1, -v1, v172, v173
	s_delay_alu instid0(VALU_DEP_1) | instskip(NEXT) | instid1(VALU_DEP_1)
	v_div_fmas_f32 v1, v1, v170, v172
	v_div_fixup_f32 v1, v1, v171, 1.0
                                        ; implicit-def: $vgpr170_vgpr171
	s_delay_alu instid0(VALU_DEP_1)
	v_mul_f32_e32 v172, v0, v1
	v_xor_b32_e32 v173, 0x80000000, v1
.LBB75_77:
	s_and_not1_saveexec_b32 s1, s1
	s_cbranch_execz .LBB75_79
; %bb.78:
	v_div_scale_f32 v0, null, v170, v170, v171
	v_div_scale_f32 v173, vcc_lo, v171, v170, v171
	s_delay_alu instid0(VALU_DEP_2) | instskip(SKIP_1) | instid1(TRANS32_DEP_1)
	v_rcp_f32_e32 v1, v0
	v_nop
	v_fma_f32 v172, -v0, v1, 1.0
	s_delay_alu instid0(VALU_DEP_1) | instskip(NEXT) | instid1(VALU_DEP_1)
	v_fmac_f32_e32 v1, v172, v1
	v_mul_f32_e32 v172, v173, v1
	s_delay_alu instid0(VALU_DEP_1) | instskip(NEXT) | instid1(VALU_DEP_1)
	v_fma_f32 v174, -v0, v172, v173
	v_fmac_f32_e32 v172, v174, v1
	s_delay_alu instid0(VALU_DEP_1) | instskip(NEXT) | instid1(VALU_DEP_1)
	v_fma_f32 v0, -v0, v172, v173
	v_div_fmas_f32 v0, v0, v1, v172
	s_delay_alu instid0(VALU_DEP_1) | instskip(NEXT) | instid1(VALU_DEP_1)
	v_div_fixup_f32 v0, v0, v170, v171
	v_fmac_f32_e32 v170, v171, v0
	s_delay_alu instid0(VALU_DEP_1) | instskip(NEXT) | instid1(VALU_DEP_1)
	v_div_scale_f32 v1, null, v170, v170, 1.0
	v_rcp_f32_e32 v171, v1
	v_nop
	s_delay_alu instid0(TRANS32_DEP_1) | instskip(NEXT) | instid1(VALU_DEP_1)
	v_fma_f32 v172, -v1, v171, 1.0
	v_fmac_f32_e32 v171, v172, v171
	v_div_scale_f32 v172, vcc_lo, 1.0, v170, 1.0
	s_delay_alu instid0(VALU_DEP_1) | instskip(NEXT) | instid1(VALU_DEP_1)
	v_mul_f32_e32 v173, v172, v171
	v_fma_f32 v174, -v1, v173, v172
	s_delay_alu instid0(VALU_DEP_1) | instskip(NEXT) | instid1(VALU_DEP_1)
	v_fmac_f32_e32 v173, v174, v171
	v_fma_f32 v1, -v1, v173, v172
	s_delay_alu instid0(VALU_DEP_1) | instskip(NEXT) | instid1(VALU_DEP_1)
	v_div_fmas_f32 v1, v1, v171, v173
	v_div_fixup_f32 v172, v1, v170, 1.0
	s_delay_alu instid0(VALU_DEP_1)
	v_mul_f32_e64 v173, v0, -v172
.LBB75_79:
	s_or_b32 exec_lo, exec_lo, s1
	ds_store_b64 v231, v[172:173]
.LBB75_80:
	s_or_b32 exec_lo, exec_lo, s2
	s_wait_dscnt 0x0
	s_barrier_signal -1
	s_barrier_wait -1
	ds_load_b64 v[170:171], v231
	s_mov_b32 s1, exec_lo
	v_cmpx_lt_u32_e32 8, v230
	s_cbranch_execz .LBB75_82
; %bb.81:
	ds_load_2addr_b64 v[176:179], v232 offset0:9 offset1:10
	s_wait_dscnt 0x1
	v_pk_mul_f32 v[174:175], v[170:171], v[40:41] op_sel:[1,1] op_sel_hi:[0,1]
	s_delay_alu instid0(VALU_DEP_1) | instskip(SKIP_1) | instid1(VALU_DEP_1)
	v_pk_fma_f32 v[172:173], v[170:171], v[40:41], v[174:175] op_sel_hi:[1,0,1] neg_lo:[0,0,1] neg_hi:[0,0,1]
	v_pk_fma_f32 v[174:175], v[170:171], v[40:41], v[174:175] op_sel_hi:[1,0,1]
	v_dual_mov_b32 v40, v172 :: v_dual_mov_b32 v41, v175
	s_wait_dscnt 0x0
	s_delay_alu instid0(VALU_DEP_2) | instskip(NEXT) | instid1(VALU_DEP_1)
	v_pk_mul_f32 v[180:181], v[176:177], v[174:175] op_sel:[0,1]
	v_pk_fma_f32 v[182:183], v[176:177], v[172:173], v[180:181] op_sel:[0,0,1] op_sel_hi:[1,1,0] neg_lo:[0,0,1] neg_hi:[0,0,1]
	v_pk_fma_f32 v[176:177], v[176:177], v[172:173], v[180:181] op_sel:[0,0,1] op_sel_hi:[1,0,0]
	s_delay_alu instid0(VALU_DEP_1) | instskip(SKIP_1) | instid1(VALU_DEP_1)
	v_mov_b32_e32 v183, v177
	v_pk_mul_f32 v[176:177], v[178:179], v[174:175] op_sel:[0,1]
	v_pk_fma_f32 v[180:181], v[178:179], v[172:173], v[176:177] op_sel:[0,0,1] op_sel_hi:[1,1,0] neg_lo:[0,0,1] neg_hi:[0,0,1]
	v_pk_fma_f32 v[176:177], v[178:179], v[172:173], v[176:177] op_sel:[0,0,1] op_sel_hi:[1,0,0]
	s_delay_alu instid0(VALU_DEP_1)
	v_mov_b32_e32 v181, v177
	ds_load_2addr_b64 v[176:179], v232 offset0:11 offset1:12
	v_pk_add_f32 v[36:37], v[36:37], v[182:183] neg_lo:[0,1] neg_hi:[0,1]
	v_pk_add_f32 v[38:39], v[38:39], v[180:181] neg_lo:[0,1] neg_hi:[0,1]
	s_wait_dscnt 0x0
	v_pk_mul_f32 v[180:181], v[176:177], v[174:175] op_sel:[0,1]
	s_delay_alu instid0(VALU_DEP_1) | instskip(SKIP_2) | instid1(VALU_DEP_2)
	v_pk_fma_f32 v[182:183], v[176:177], v[172:173], v[180:181] op_sel:[0,0,1] op_sel_hi:[1,1,0] neg_lo:[0,0,1] neg_hi:[0,0,1]
	v_pk_fma_f32 v[176:177], v[176:177], v[172:173], v[180:181] op_sel:[0,0,1] op_sel_hi:[1,0,0]
	v_dual_mul_f32 v180, v179, v175 :: v_dual_mov_b32 v176, v179
	v_dual_mov_b32 v183, v177 :: v_dual_mov_b32 v177, v178
	s_delay_alu instid0(VALU_DEP_2) | instskip(SKIP_1) | instid1(VALU_DEP_3)
	v_pk_fma_f32 v[180:181], v[178:179], v[40:41], v[180:181] op_sel_hi:[1,1,0] neg_lo:[0,0,1] neg_hi:[0,0,1]
	v_mul_f32_e32 v178, v179, v172
	v_pk_add_f32 v[76:77], v[76:77], v[182:183] neg_lo:[0,1] neg_hi:[0,1]
	s_delay_alu instid0(VALU_DEP_2) | instskip(NEXT) | instid1(VALU_DEP_1)
	v_pk_fma_f32 v[176:177], v[176:177], v[40:41], v[178:179] op_sel_hi:[1,1,0]
	v_mov_b32_e32 v181, v177
	ds_load_2addr_b64 v[176:179], v232 offset0:13 offset1:14
	v_pk_add_f32 v[92:93], v[92:93], v[180:181] neg_lo:[0,1] neg_hi:[0,1]
	s_wait_dscnt 0x0
	v_pk_mul_f32 v[180:181], v[176:177], v[174:175] op_sel:[0,1]
	s_delay_alu instid0(VALU_DEP_1) | instskip(SKIP_1) | instid1(VALU_DEP_1)
	v_pk_fma_f32 v[182:183], v[176:177], v[172:173], v[180:181] op_sel:[0,0,1] op_sel_hi:[1,1,0] neg_lo:[0,0,1] neg_hi:[0,0,1]
	v_pk_fma_f32 v[176:177], v[176:177], v[172:173], v[180:181] op_sel:[0,0,1] op_sel_hi:[1,0,0]
	v_mov_b32_e32 v183, v177
	v_pk_mul_f32 v[176:177], v[178:179], v[174:175] op_sel:[0,1]
	s_delay_alu instid0(VALU_DEP_1) | instskip(SKIP_1) | instid1(VALU_DEP_1)
	v_pk_fma_f32 v[180:181], v[178:179], v[172:173], v[176:177] op_sel:[0,0,1] op_sel_hi:[1,1,0] neg_lo:[0,0,1] neg_hi:[0,0,1]
	v_pk_fma_f32 v[176:177], v[178:179], v[172:173], v[176:177] op_sel:[0,0,1] op_sel_hi:[1,0,0]
	v_mov_b32_e32 v181, v177
	ds_load_2addr_b64 v[176:179], v232 offset0:15 offset1:16
	v_pk_add_f32 v[90:91], v[90:91], v[182:183] neg_lo:[0,1] neg_hi:[0,1]
	v_pk_add_f32 v[74:75], v[74:75], v[180:181] neg_lo:[0,1] neg_hi:[0,1]
	s_wait_dscnt 0x0
	v_pk_mul_f32 v[180:181], v[176:177], v[174:175] op_sel:[0,1]
	s_delay_alu instid0(VALU_DEP_1) | instskip(SKIP_1) | instid1(VALU_DEP_1)
	v_pk_fma_f32 v[182:183], v[176:177], v[172:173], v[180:181] op_sel:[0,0,1] op_sel_hi:[1,1,0] neg_lo:[0,0,1] neg_hi:[0,0,1]
	v_pk_fma_f32 v[176:177], v[176:177], v[172:173], v[180:181] op_sel:[0,0,1] op_sel_hi:[1,0,0]
	v_mov_b32_e32 v183, v177
	v_pk_mul_f32 v[176:177], v[178:179], v[174:175] op_sel:[0,1]
	s_delay_alu instid0(VALU_DEP_1) | instskip(SKIP_1) | instid1(VALU_DEP_1)
	v_pk_fma_f32 v[180:181], v[178:179], v[172:173], v[176:177] op_sel:[0,0,1] op_sel_hi:[1,1,0] neg_lo:[0,0,1] neg_hi:[0,0,1]
	v_pk_fma_f32 v[176:177], v[178:179], v[172:173], v[176:177] op_sel:[0,0,1] op_sel_hi:[1,0,0]
	v_mov_b32_e32 v181, v177
	ds_load_2addr_b64 v[176:179], v232 offset0:17 offset1:18
	v_pk_add_f32 v[88:89], v[88:89], v[182:183] neg_lo:[0,1] neg_hi:[0,1]
	v_pk_add_f32 v[108:109], v[108:109], v[180:181] neg_lo:[0,1] neg_hi:[0,1]
	s_wait_dscnt 0x0
	v_dual_mul_f32 v180, v177, v175 :: v_dual_mul_f32 v182, v177, v172
	s_delay_alu instid0(VALU_DEP_1) | instskip(NEXT) | instid1(VALU_DEP_2)
	v_pk_fma_f32 v[180:181], v[176:177], v[40:41], v[180:181] op_sel_hi:[1,1,0] neg_lo:[0,0,1] neg_hi:[0,0,1]
	v_pk_fma_f32 v[176:177], v[176:177], v[40:41], v[182:183] op_sel:[1,0,0] op_sel_hi:[0,1,0]
	s_delay_alu instid0(VALU_DEP_1) | instskip(SKIP_1) | instid1(VALU_DEP_2)
	v_mov_b32_e32 v181, v177
	v_pk_mul_f32 v[176:177], v[178:179], v[174:175] op_sel:[0,1]
	v_pk_add_f32 v[106:107], v[106:107], v[180:181] neg_lo:[0,1] neg_hi:[0,1]
	s_delay_alu instid0(VALU_DEP_2) | instskip(SKIP_1) | instid1(VALU_DEP_1)
	v_pk_fma_f32 v[180:181], v[178:179], v[172:173], v[176:177] op_sel:[0,0,1] op_sel_hi:[1,1,0] neg_lo:[0,0,1] neg_hi:[0,0,1]
	v_pk_fma_f32 v[176:177], v[178:179], v[172:173], v[176:177] op_sel:[0,0,1] op_sel_hi:[1,0,0]
	v_mov_b32_e32 v181, v177
	ds_load_2addr_b64 v[176:179], v232 offset0:19 offset1:20
	v_pk_add_f32 v[86:87], v[86:87], v[180:181] neg_lo:[0,1] neg_hi:[0,1]
	s_wait_dscnt 0x0
	v_pk_mul_f32 v[180:181], v[176:177], v[174:175] op_sel:[0,1]
	s_delay_alu instid0(VALU_DEP_1) | instskip(SKIP_1) | instid1(VALU_DEP_1)
	v_pk_fma_f32 v[182:183], v[176:177], v[172:173], v[180:181] op_sel:[0,0,1] op_sel_hi:[1,1,0] neg_lo:[0,0,1] neg_hi:[0,0,1]
	v_pk_fma_f32 v[176:177], v[176:177], v[172:173], v[180:181] op_sel:[0,0,1] op_sel_hi:[1,0,0]
	v_mov_b32_e32 v183, v177
	v_pk_mul_f32 v[176:177], v[178:179], v[174:175] op_sel:[0,1]
	s_delay_alu instid0(VALU_DEP_2) | instskip(NEXT) | instid1(VALU_DEP_2)
	v_pk_add_f32 v[104:105], v[104:105], v[182:183] neg_lo:[0,1] neg_hi:[0,1]
	v_pk_fma_f32 v[180:181], v[178:179], v[172:173], v[176:177] op_sel:[0,0,1] op_sel_hi:[1,1,0] neg_lo:[0,0,1] neg_hi:[0,0,1]
	v_pk_fma_f32 v[176:177], v[178:179], v[172:173], v[176:177] op_sel:[0,0,1] op_sel_hi:[1,0,0]
	s_delay_alu instid0(VALU_DEP_1) | instskip(SKIP_4) | instid1(VALU_DEP_1)
	v_mov_b32_e32 v181, v177
	ds_load_2addr_b64 v[176:179], v232 offset0:21 offset1:22
	v_pk_add_f32 v[130:131], v[130:131], v[180:181] neg_lo:[0,1] neg_hi:[0,1]
	s_wait_dscnt 0x0
	v_pk_mul_f32 v[180:181], v[176:177], v[174:175] op_sel:[0,1]
	v_pk_fma_f32 v[182:183], v[176:177], v[172:173], v[180:181] op_sel:[0,0,1] op_sel_hi:[1,1,0] neg_lo:[0,0,1] neg_hi:[0,0,1]
	v_pk_fma_f32 v[176:177], v[176:177], v[172:173], v[180:181] op_sel:[0,0,1] op_sel_hi:[1,0,0]
	v_dual_mul_f32 v180, v179, v175 :: v_dual_mov_b32 v176, v179
	s_delay_alu instid0(VALU_DEP_2) | instskip(NEXT) | instid1(VALU_DEP_2)
	v_dual_mov_b32 v183, v177 :: v_dual_mov_b32 v177, v178
	v_pk_fma_f32 v[180:181], v[178:179], v[40:41], v[180:181] op_sel_hi:[1,1,0] neg_lo:[0,0,1] neg_hi:[0,0,1]
	v_mul_f32_e32 v178, v179, v172
	s_delay_alu instid0(VALU_DEP_3) | instskip(NEXT) | instid1(VALU_DEP_2)
	v_pk_add_f32 v[128:129], v[128:129], v[182:183] neg_lo:[0,1] neg_hi:[0,1]
	v_pk_fma_f32 v[176:177], v[176:177], v[40:41], v[178:179] op_sel_hi:[1,1,0]
	s_delay_alu instid0(VALU_DEP_1) | instskip(SKIP_4) | instid1(VALU_DEP_1)
	v_mov_b32_e32 v181, v177
	ds_load_2addr_b64 v[176:179], v232 offset0:23 offset1:24
	v_pk_add_f32 v[102:103], v[102:103], v[180:181] neg_lo:[0,1] neg_hi:[0,1]
	s_wait_dscnt 0x0
	v_pk_mul_f32 v[180:181], v[176:177], v[174:175] op_sel:[0,1]
	v_pk_fma_f32 v[182:183], v[176:177], v[172:173], v[180:181] op_sel:[0,0,1] op_sel_hi:[1,1,0] neg_lo:[0,0,1] neg_hi:[0,0,1]
	v_pk_fma_f32 v[176:177], v[176:177], v[172:173], v[180:181] op_sel:[0,0,1] op_sel_hi:[1,0,0]
	s_delay_alu instid0(VALU_DEP_1) | instskip(SKIP_1) | instid1(VALU_DEP_1)
	v_mov_b32_e32 v183, v177
	v_pk_mul_f32 v[176:177], v[178:179], v[174:175] op_sel:[0,1]
	v_pk_fma_f32 v[180:181], v[178:179], v[172:173], v[176:177] op_sel:[0,0,1] op_sel_hi:[1,1,0] neg_lo:[0,0,1] neg_hi:[0,0,1]
	v_pk_fma_f32 v[176:177], v[178:179], v[172:173], v[176:177] op_sel:[0,0,1] op_sel_hi:[1,0,0]
	s_delay_alu instid0(VALU_DEP_1)
	v_mov_b32_e32 v181, v177
	ds_load_2addr_b64 v[176:179], v232 offset0:25 offset1:26
	v_pk_add_f32 v[126:127], v[126:127], v[182:183] neg_lo:[0,1] neg_hi:[0,1]
	v_pk_add_f32 v[144:145], v[144:145], v[180:181] neg_lo:[0,1] neg_hi:[0,1]
	s_wait_dscnt 0x0
	v_pk_mul_f32 v[180:181], v[176:177], v[174:175] op_sel:[0,1]
	s_delay_alu instid0(VALU_DEP_1) | instskip(SKIP_1) | instid1(VALU_DEP_1)
	v_pk_fma_f32 v[182:183], v[176:177], v[172:173], v[180:181] op_sel:[0,0,1] op_sel_hi:[1,1,0] neg_lo:[0,0,1] neg_hi:[0,0,1]
	v_pk_fma_f32 v[176:177], v[176:177], v[172:173], v[180:181] op_sel:[0,0,1] op_sel_hi:[1,0,0]
	v_mov_b32_e32 v183, v177
	v_pk_mul_f32 v[176:177], v[178:179], v[174:175] op_sel:[0,1]
	s_delay_alu instid0(VALU_DEP_1) | instskip(SKIP_1) | instid1(VALU_DEP_1)
	v_pk_fma_f32 v[180:181], v[178:179], v[172:173], v[176:177] op_sel:[0,0,1] op_sel_hi:[1,1,0] neg_lo:[0,0,1] neg_hi:[0,0,1]
	v_pk_fma_f32 v[176:177], v[178:179], v[172:173], v[176:177] op_sel:[0,0,1] op_sel_hi:[1,0,0]
	v_mov_b32_e32 v181, v177
	ds_load_2addr_b64 v[176:179], v232 offset0:27 offset1:28
	v_pk_add_f32 v[142:143], v[142:143], v[182:183] neg_lo:[0,1] neg_hi:[0,1]
	v_pk_add_f32 v[150:151], v[150:151], v[180:181] neg_lo:[0,1] neg_hi:[0,1]
	s_wait_dscnt 0x0
	v_dual_mul_f32 v180, v177, v175 :: v_dual_mul_f32 v182, v177, v172
	s_delay_alu instid0(VALU_DEP_1) | instskip(NEXT) | instid1(VALU_DEP_2)
	v_pk_fma_f32 v[180:181], v[176:177], v[40:41], v[180:181] op_sel_hi:[1,1,0] neg_lo:[0,0,1] neg_hi:[0,0,1]
	v_pk_fma_f32 v[176:177], v[176:177], v[40:41], v[182:183] op_sel:[1,0,0] op_sel_hi:[0,1,0]
	s_delay_alu instid0(VALU_DEP_1) | instskip(SKIP_1) | instid1(VALU_DEP_2)
	v_mov_b32_e32 v181, v177
	v_pk_mul_f32 v[176:177], v[178:179], v[174:175] op_sel:[0,1]
	v_pk_add_f32 v[140:141], v[140:141], v[180:181] neg_lo:[0,1] neg_hi:[0,1]
	s_delay_alu instid0(VALU_DEP_2) | instskip(SKIP_1) | instid1(VALU_DEP_1)
	v_pk_fma_f32 v[180:181], v[178:179], v[172:173], v[176:177] op_sel:[0,0,1] op_sel_hi:[1,1,0] neg_lo:[0,0,1] neg_hi:[0,0,1]
	v_pk_fma_f32 v[176:177], v[178:179], v[172:173], v[176:177] op_sel:[0,0,1] op_sel_hi:[1,0,0]
	v_mov_b32_e32 v181, v177
	ds_load_2addr_b64 v[176:179], v232 offset0:29 offset1:30
	v_pk_add_f32 v[148:149], v[148:149], v[180:181] neg_lo:[0,1] neg_hi:[0,1]
	s_wait_dscnt 0x0
	v_pk_mul_f32 v[180:181], v[176:177], v[174:175] op_sel:[0,1]
	s_delay_alu instid0(VALU_DEP_1) | instskip(SKIP_1) | instid1(VALU_DEP_1)
	v_pk_fma_f32 v[182:183], v[176:177], v[172:173], v[180:181] op_sel:[0,0,1] op_sel_hi:[1,1,0] neg_lo:[0,0,1] neg_hi:[0,0,1]
	v_pk_fma_f32 v[176:177], v[176:177], v[172:173], v[180:181] op_sel:[0,0,1] op_sel_hi:[1,0,0]
	v_mov_b32_e32 v183, v177
	v_pk_mul_f32 v[176:177], v[178:179], v[174:175] op_sel:[0,1]
	s_delay_alu instid0(VALU_DEP_2) | instskip(NEXT) | instid1(VALU_DEP_2)
	v_pk_add_f32 v[114:115], v[114:115], v[182:183] neg_lo:[0,1] neg_hi:[0,1]
	v_pk_fma_f32 v[180:181], v[178:179], v[172:173], v[176:177] op_sel:[0,0,1] op_sel_hi:[1,1,0] neg_lo:[0,0,1] neg_hi:[0,0,1]
	v_pk_fma_f32 v[176:177], v[178:179], v[172:173], v[176:177] op_sel:[0,0,1] op_sel_hi:[1,0,0]
	s_delay_alu instid0(VALU_DEP_1) | instskip(SKIP_4) | instid1(VALU_DEP_1)
	v_mov_b32_e32 v181, v177
	ds_load_2addr_b64 v[176:179], v232 offset0:31 offset1:32
	v_pk_add_f32 v[116:117], v[116:117], v[180:181] neg_lo:[0,1] neg_hi:[0,1]
	s_wait_dscnt 0x0
	v_pk_mul_f32 v[180:181], v[176:177], v[174:175] op_sel:[0,1]
	v_pk_fma_f32 v[182:183], v[176:177], v[172:173], v[180:181] op_sel:[0,0,1] op_sel_hi:[1,1,0] neg_lo:[0,0,1] neg_hi:[0,0,1]
	v_pk_fma_f32 v[176:177], v[176:177], v[172:173], v[180:181] op_sel:[0,0,1] op_sel_hi:[1,0,0]
	v_dual_mul_f32 v180, v179, v175 :: v_dual_mov_b32 v176, v179
	s_delay_alu instid0(VALU_DEP_2) | instskip(NEXT) | instid1(VALU_DEP_2)
	v_dual_mov_b32 v183, v177 :: v_dual_mov_b32 v177, v178
	v_pk_fma_f32 v[180:181], v[178:179], v[40:41], v[180:181] op_sel_hi:[1,1,0] neg_lo:[0,0,1] neg_hi:[0,0,1]
	v_mul_f32_e32 v178, v179, v172
	s_delay_alu instid0(VALU_DEP_3) | instskip(NEXT) | instid1(VALU_DEP_2)
	v_pk_add_f32 v[112:113], v[112:113], v[182:183] neg_lo:[0,1] neg_hi:[0,1]
	v_pk_fma_f32 v[176:177], v[176:177], v[40:41], v[178:179] op_sel_hi:[1,1,0]
	s_delay_alu instid0(VALU_DEP_1) | instskip(SKIP_4) | instid1(VALU_DEP_1)
	v_mov_b32_e32 v181, v177
	ds_load_2addr_b64 v[176:179], v232 offset0:33 offset1:34
	v_pk_add_f32 v[134:135], v[134:135], v[180:181] neg_lo:[0,1] neg_hi:[0,1]
	s_wait_dscnt 0x0
	v_pk_mul_f32 v[180:181], v[176:177], v[174:175] op_sel:[0,1]
	v_pk_fma_f32 v[182:183], v[176:177], v[172:173], v[180:181] op_sel:[0,0,1] op_sel_hi:[1,1,0] neg_lo:[0,0,1] neg_hi:[0,0,1]
	v_pk_fma_f32 v[176:177], v[176:177], v[172:173], v[180:181] op_sel:[0,0,1] op_sel_hi:[1,0,0]
	s_delay_alu instid0(VALU_DEP_1) | instskip(SKIP_1) | instid1(VALU_DEP_1)
	v_mov_b32_e32 v183, v177
	v_pk_mul_f32 v[176:177], v[178:179], v[174:175] op_sel:[0,1]
	v_pk_fma_f32 v[180:181], v[178:179], v[172:173], v[176:177] op_sel:[0,0,1] op_sel_hi:[1,1,0] neg_lo:[0,0,1] neg_hi:[0,0,1]
	v_pk_fma_f32 v[176:177], v[178:179], v[172:173], v[176:177] op_sel:[0,0,1] op_sel_hi:[1,0,0]
	s_delay_alu instid0(VALU_DEP_1)
	v_mov_b32_e32 v181, v177
	ds_load_2addr_b64 v[176:179], v232 offset0:35 offset1:36
	v_pk_add_f32 v[132:133], v[132:133], v[182:183] neg_lo:[0,1] neg_hi:[0,1]
	v_pk_add_f32 v[146:147], v[146:147], v[180:181] neg_lo:[0,1] neg_hi:[0,1]
	s_wait_dscnt 0x0
	v_pk_mul_f32 v[180:181], v[176:177], v[174:175] op_sel:[0,1]
	s_delay_alu instid0(VALU_DEP_1) | instskip(SKIP_1) | instid1(VALU_DEP_1)
	v_pk_fma_f32 v[182:183], v[176:177], v[172:173], v[180:181] op_sel:[0,0,1] op_sel_hi:[1,1,0] neg_lo:[0,0,1] neg_hi:[0,0,1]
	v_pk_fma_f32 v[176:177], v[176:177], v[172:173], v[180:181] op_sel:[0,0,1] op_sel_hi:[1,0,0]
	v_mov_b32_e32 v183, v177
	v_pk_mul_f32 v[176:177], v[178:179], v[174:175] op_sel:[0,1]
	s_delay_alu instid0(VALU_DEP_1) | instskip(SKIP_1) | instid1(VALU_DEP_1)
	v_pk_fma_f32 v[180:181], v[178:179], v[172:173], v[176:177] op_sel:[0,0,1] op_sel_hi:[1,1,0] neg_lo:[0,0,1] neg_hi:[0,0,1]
	v_pk_fma_f32 v[176:177], v[178:179], v[172:173], v[176:177] op_sel:[0,0,1] op_sel_hi:[1,0,0]
	v_mov_b32_e32 v181, v177
	ds_load_b64 v[176:177], v232 offset:296
	v_pk_add_f32 v[138:139], v[138:139], v[182:183] neg_lo:[0,1] neg_hi:[0,1]
	v_pk_add_f32 v[136:137], v[136:137], v[180:181] neg_lo:[0,1] neg_hi:[0,1]
	s_wait_dscnt 0x0
	v_pk_mul_f32 v[174:175], v[176:177], v[174:175] op_sel:[0,1]
	s_delay_alu instid0(VALU_DEP_1) | instskip(SKIP_1) | instid1(VALU_DEP_1)
	v_pk_fma_f32 v[178:179], v[176:177], v[172:173], v[174:175] op_sel:[0,0,1] op_sel_hi:[1,1,0] neg_lo:[0,0,1] neg_hi:[0,0,1]
	v_pk_fma_f32 v[172:173], v[176:177], v[172:173], v[174:175] op_sel:[0,0,1] op_sel_hi:[1,0,0]
	v_mov_b32_e32 v179, v173
	s_delay_alu instid0(VALU_DEP_1)
	v_pk_add_f32 v[152:153], v[152:153], v[178:179] neg_lo:[0,1] neg_hi:[0,1]
.LBB75_82:
	s_or_b32 exec_lo, exec_lo, s1
	s_delay_alu instid0(SALU_CYCLE_1)
	s_mov_b32 s2, exec_lo
	s_wait_dscnt 0x0
	s_barrier_signal -1
	s_barrier_wait -1
	v_cmpx_eq_u32_e32 9, v230
	s_cbranch_execz .LBB75_89
; %bb.83:
	v_dual_mov_b32 v172, v38 :: v_dual_mov_b32 v173, v39
	v_dual_mov_b32 v174, v76 :: v_dual_mov_b32 v175, v77
	ds_store_b64 v231, v[36:37]
	ds_store_2addr_b64 v232, v[172:173], v[174:175] offset0:10 offset1:11
	v_dual_mov_b32 v172, v92 :: v_dual_mov_b32 v173, v93
	v_dual_mov_b32 v174, v90 :: v_dual_mov_b32 v175, v91
	ds_store_2addr_b64 v232, v[172:173], v[174:175] offset0:12 offset1:13
	v_dual_mov_b32 v172, v74 :: v_dual_mov_b32 v173, v75
	v_dual_mov_b32 v174, v88 :: v_dual_mov_b32 v175, v89
	;; [unrolled: 3-line block ×12, first 2 shown]
	ds_store_2addr_b64 v232, v[172:173], v[174:175] offset0:34 offset1:35
	v_dual_mov_b32 v172, v136 :: v_dual_mov_b32 v173, v137
	ds_store_2addr_b64 v232, v[172:173], v[152:153] offset0:36 offset1:37
	ds_load_b64 v[172:173], v231
	s_wait_dscnt 0x0
	v_cmp_neq_f32_e32 vcc_lo, 0, v172
	v_cmp_neq_f32_e64 s1, 0, v173
	s_or_b32 s1, vcc_lo, s1
	s_delay_alu instid0(SALU_CYCLE_1)
	s_and_b32 exec_lo, exec_lo, s1
	s_cbranch_execz .LBB75_89
; %bb.84:
	v_cmp_ngt_f32_e64 s1, |v172|, |v173|
                                        ; implicit-def: $vgpr174_vgpr175
	s_and_saveexec_b32 s4, s1
	s_delay_alu instid0(SALU_CYCLE_1)
	s_xor_b32 s1, exec_lo, s4
	s_cbranch_execz .LBB75_86
; %bb.85:
	v_div_scale_f32 v0, null, v173, v173, v172
	v_div_scale_f32 v175, vcc_lo, v172, v173, v172
	s_delay_alu instid0(VALU_DEP_2) | instskip(SKIP_1) | instid1(TRANS32_DEP_1)
	v_rcp_f32_e32 v1, v0
	v_nop
	v_fma_f32 v174, -v0, v1, 1.0
	s_delay_alu instid0(VALU_DEP_1) | instskip(NEXT) | instid1(VALU_DEP_1)
	v_fmac_f32_e32 v1, v174, v1
	v_mul_f32_e32 v174, v175, v1
	s_delay_alu instid0(VALU_DEP_1) | instskip(NEXT) | instid1(VALU_DEP_1)
	v_fma_f32 v176, -v0, v174, v175
	v_fmac_f32_e32 v174, v176, v1
	s_delay_alu instid0(VALU_DEP_1) | instskip(NEXT) | instid1(VALU_DEP_1)
	v_fma_f32 v0, -v0, v174, v175
	v_div_fmas_f32 v0, v0, v1, v174
	s_delay_alu instid0(VALU_DEP_1) | instskip(NEXT) | instid1(VALU_DEP_1)
	v_div_fixup_f32 v0, v0, v173, v172
	v_fmac_f32_e32 v173, v172, v0
	s_delay_alu instid0(VALU_DEP_1) | instskip(SKIP_1) | instid1(VALU_DEP_2)
	v_div_scale_f32 v1, null, v173, v173, 1.0
	v_div_scale_f32 v175, vcc_lo, 1.0, v173, 1.0
	v_rcp_f32_e32 v172, v1
	v_nop
	s_delay_alu instid0(TRANS32_DEP_1) | instskip(NEXT) | instid1(VALU_DEP_1)
	v_fma_f32 v174, -v1, v172, 1.0
	v_fmac_f32_e32 v172, v174, v172
	s_delay_alu instid0(VALU_DEP_1) | instskip(NEXT) | instid1(VALU_DEP_1)
	v_mul_f32_e32 v174, v175, v172
	v_fma_f32 v176, -v1, v174, v175
	s_delay_alu instid0(VALU_DEP_1) | instskip(NEXT) | instid1(VALU_DEP_1)
	v_fmac_f32_e32 v174, v176, v172
	v_fma_f32 v1, -v1, v174, v175
	s_delay_alu instid0(VALU_DEP_1) | instskip(NEXT) | instid1(VALU_DEP_1)
	v_div_fmas_f32 v1, v1, v172, v174
	v_div_fixup_f32 v1, v1, v173, 1.0
                                        ; implicit-def: $vgpr172_vgpr173
	s_delay_alu instid0(VALU_DEP_1)
	v_mul_f32_e32 v174, v0, v1
	v_xor_b32_e32 v175, 0x80000000, v1
.LBB75_86:
	s_and_not1_saveexec_b32 s1, s1
	s_cbranch_execz .LBB75_88
; %bb.87:
	v_div_scale_f32 v0, null, v172, v172, v173
	v_div_scale_f32 v175, vcc_lo, v173, v172, v173
	s_delay_alu instid0(VALU_DEP_2) | instskip(SKIP_1) | instid1(TRANS32_DEP_1)
	v_rcp_f32_e32 v1, v0
	v_nop
	v_fma_f32 v174, -v0, v1, 1.0
	s_delay_alu instid0(VALU_DEP_1) | instskip(NEXT) | instid1(VALU_DEP_1)
	v_fmac_f32_e32 v1, v174, v1
	v_mul_f32_e32 v174, v175, v1
	s_delay_alu instid0(VALU_DEP_1) | instskip(NEXT) | instid1(VALU_DEP_1)
	v_fma_f32 v176, -v0, v174, v175
	v_fmac_f32_e32 v174, v176, v1
	s_delay_alu instid0(VALU_DEP_1) | instskip(NEXT) | instid1(VALU_DEP_1)
	v_fma_f32 v0, -v0, v174, v175
	v_div_fmas_f32 v0, v0, v1, v174
	s_delay_alu instid0(VALU_DEP_1) | instskip(NEXT) | instid1(VALU_DEP_1)
	v_div_fixup_f32 v0, v0, v172, v173
	v_fmac_f32_e32 v172, v173, v0
	s_delay_alu instid0(VALU_DEP_1) | instskip(NEXT) | instid1(VALU_DEP_1)
	v_div_scale_f32 v1, null, v172, v172, 1.0
	v_rcp_f32_e32 v173, v1
	v_nop
	s_delay_alu instid0(TRANS32_DEP_1) | instskip(NEXT) | instid1(VALU_DEP_1)
	v_fma_f32 v174, -v1, v173, 1.0
	v_fmac_f32_e32 v173, v174, v173
	v_div_scale_f32 v174, vcc_lo, 1.0, v172, 1.0
	s_delay_alu instid0(VALU_DEP_1) | instskip(NEXT) | instid1(VALU_DEP_1)
	v_mul_f32_e32 v175, v174, v173
	v_fma_f32 v176, -v1, v175, v174
	s_delay_alu instid0(VALU_DEP_1) | instskip(NEXT) | instid1(VALU_DEP_1)
	v_fmac_f32_e32 v175, v176, v173
	v_fma_f32 v1, -v1, v175, v174
	s_delay_alu instid0(VALU_DEP_1) | instskip(NEXT) | instid1(VALU_DEP_1)
	v_div_fmas_f32 v1, v1, v173, v175
	v_div_fixup_f32 v174, v1, v172, 1.0
	s_delay_alu instid0(VALU_DEP_1)
	v_mul_f32_e64 v175, v0, -v174
.LBB75_88:
	s_or_b32 exec_lo, exec_lo, s1
	ds_store_b64 v231, v[174:175]
.LBB75_89:
	s_or_b32 exec_lo, exec_lo, s2
	s_wait_dscnt 0x0
	s_barrier_signal -1
	s_barrier_wait -1
	ds_load_b64 v[172:173], v231
	s_mov_b32 s1, exec_lo
	v_cmpx_lt_u32_e32 9, v230
	s_cbranch_execz .LBB75_91
; %bb.90:
	ds_load_2addr_b64 v[178:181], v232 offset0:10 offset1:11
	s_wait_dscnt 0x1
	v_pk_mul_f32 v[176:177], v[172:173], v[36:37] op_sel:[1,1] op_sel_hi:[0,1]
	s_delay_alu instid0(VALU_DEP_1) | instskip(SKIP_1) | instid1(VALU_DEP_1)
	v_pk_fma_f32 v[174:175], v[172:173], v[36:37], v[176:177] op_sel_hi:[1,0,1] neg_lo:[0,0,1] neg_hi:[0,0,1]
	v_pk_fma_f32 v[176:177], v[172:173], v[36:37], v[176:177] op_sel_hi:[1,0,1]
	v_dual_mov_b32 v36, v174 :: v_dual_mov_b32 v37, v177
	s_wait_dscnt 0x0
	s_delay_alu instid0(VALU_DEP_2) | instskip(NEXT) | instid1(VALU_DEP_1)
	v_pk_mul_f32 v[182:183], v[178:179], v[176:177] op_sel:[0,1]
	v_pk_fma_f32 v[184:185], v[178:179], v[174:175], v[182:183] op_sel:[0,0,1] op_sel_hi:[1,1,0] neg_lo:[0,0,1] neg_hi:[0,0,1]
	v_pk_fma_f32 v[178:179], v[178:179], v[174:175], v[182:183] op_sel:[0,0,1] op_sel_hi:[1,0,0]
	s_delay_alu instid0(VALU_DEP_1) | instskip(SKIP_1) | instid1(VALU_DEP_1)
	v_mov_b32_e32 v185, v179
	v_pk_mul_f32 v[178:179], v[180:181], v[176:177] op_sel:[0,1]
	v_pk_fma_f32 v[182:183], v[180:181], v[174:175], v[178:179] op_sel:[0,0,1] op_sel_hi:[1,1,0] neg_lo:[0,0,1] neg_hi:[0,0,1]
	v_pk_fma_f32 v[178:179], v[180:181], v[174:175], v[178:179] op_sel:[0,0,1] op_sel_hi:[1,0,0]
	s_delay_alu instid0(VALU_DEP_1)
	v_mov_b32_e32 v183, v179
	ds_load_2addr_b64 v[178:181], v232 offset0:12 offset1:13
	v_pk_add_f32 v[38:39], v[38:39], v[184:185] neg_lo:[0,1] neg_hi:[0,1]
	v_pk_add_f32 v[76:77], v[76:77], v[182:183] neg_lo:[0,1] neg_hi:[0,1]
	s_wait_dscnt 0x0
	v_pk_mul_f32 v[182:183], v[178:179], v[176:177] op_sel:[0,1]
	s_delay_alu instid0(VALU_DEP_1) | instskip(SKIP_2) | instid1(VALU_DEP_2)
	v_pk_fma_f32 v[184:185], v[178:179], v[174:175], v[182:183] op_sel:[0,0,1] op_sel_hi:[1,1,0] neg_lo:[0,0,1] neg_hi:[0,0,1]
	v_pk_fma_f32 v[178:179], v[178:179], v[174:175], v[182:183] op_sel:[0,0,1] op_sel_hi:[1,0,0]
	v_dual_mul_f32 v182, v181, v177 :: v_dual_mov_b32 v178, v181
	v_dual_mov_b32 v185, v179 :: v_dual_mov_b32 v179, v180
	s_delay_alu instid0(VALU_DEP_2) | instskip(SKIP_1) | instid1(VALU_DEP_3)
	v_pk_fma_f32 v[182:183], v[180:181], v[36:37], v[182:183] op_sel_hi:[1,1,0] neg_lo:[0,0,1] neg_hi:[0,0,1]
	v_mul_f32_e32 v180, v181, v174
	v_pk_add_f32 v[92:93], v[92:93], v[184:185] neg_lo:[0,1] neg_hi:[0,1]
	s_delay_alu instid0(VALU_DEP_2) | instskip(NEXT) | instid1(VALU_DEP_1)
	v_pk_fma_f32 v[178:179], v[178:179], v[36:37], v[180:181] op_sel_hi:[1,1,0]
	v_mov_b32_e32 v183, v179
	ds_load_2addr_b64 v[178:181], v232 offset0:14 offset1:15
	v_pk_add_f32 v[90:91], v[90:91], v[182:183] neg_lo:[0,1] neg_hi:[0,1]
	s_wait_dscnt 0x0
	v_pk_mul_f32 v[182:183], v[178:179], v[176:177] op_sel:[0,1]
	s_delay_alu instid0(VALU_DEP_1) | instskip(SKIP_1) | instid1(VALU_DEP_1)
	v_pk_fma_f32 v[184:185], v[178:179], v[174:175], v[182:183] op_sel:[0,0,1] op_sel_hi:[1,1,0] neg_lo:[0,0,1] neg_hi:[0,0,1]
	v_pk_fma_f32 v[178:179], v[178:179], v[174:175], v[182:183] op_sel:[0,0,1] op_sel_hi:[1,0,0]
	v_mov_b32_e32 v185, v179
	v_pk_mul_f32 v[178:179], v[180:181], v[176:177] op_sel:[0,1]
	s_delay_alu instid0(VALU_DEP_1) | instskip(SKIP_1) | instid1(VALU_DEP_1)
	v_pk_fma_f32 v[182:183], v[180:181], v[174:175], v[178:179] op_sel:[0,0,1] op_sel_hi:[1,1,0] neg_lo:[0,0,1] neg_hi:[0,0,1]
	v_pk_fma_f32 v[178:179], v[180:181], v[174:175], v[178:179] op_sel:[0,0,1] op_sel_hi:[1,0,0]
	v_mov_b32_e32 v183, v179
	ds_load_2addr_b64 v[178:181], v232 offset0:16 offset1:17
	v_pk_add_f32 v[74:75], v[74:75], v[184:185] neg_lo:[0,1] neg_hi:[0,1]
	v_pk_add_f32 v[88:89], v[88:89], v[182:183] neg_lo:[0,1] neg_hi:[0,1]
	s_wait_dscnt 0x0
	v_pk_mul_f32 v[182:183], v[178:179], v[176:177] op_sel:[0,1]
	s_delay_alu instid0(VALU_DEP_1) | instskip(SKIP_1) | instid1(VALU_DEP_1)
	v_pk_fma_f32 v[184:185], v[178:179], v[174:175], v[182:183] op_sel:[0,0,1] op_sel_hi:[1,1,0] neg_lo:[0,0,1] neg_hi:[0,0,1]
	v_pk_fma_f32 v[178:179], v[178:179], v[174:175], v[182:183] op_sel:[0,0,1] op_sel_hi:[1,0,0]
	v_mov_b32_e32 v185, v179
	v_pk_mul_f32 v[178:179], v[180:181], v[176:177] op_sel:[0,1]
	s_delay_alu instid0(VALU_DEP_1) | instskip(SKIP_1) | instid1(VALU_DEP_1)
	v_pk_fma_f32 v[182:183], v[180:181], v[174:175], v[178:179] op_sel:[0,0,1] op_sel_hi:[1,1,0] neg_lo:[0,0,1] neg_hi:[0,0,1]
	v_pk_fma_f32 v[178:179], v[180:181], v[174:175], v[178:179] op_sel:[0,0,1] op_sel_hi:[1,0,0]
	v_mov_b32_e32 v183, v179
	ds_load_2addr_b64 v[178:181], v232 offset0:18 offset1:19
	v_pk_add_f32 v[108:109], v[108:109], v[184:185] neg_lo:[0,1] neg_hi:[0,1]
	v_pk_add_f32 v[106:107], v[106:107], v[182:183] neg_lo:[0,1] neg_hi:[0,1]
	s_wait_dscnt 0x0
	v_dual_mul_f32 v182, v179, v177 :: v_dual_mul_f32 v184, v179, v174
	s_delay_alu instid0(VALU_DEP_1) | instskip(NEXT) | instid1(VALU_DEP_2)
	v_pk_fma_f32 v[182:183], v[178:179], v[36:37], v[182:183] op_sel_hi:[1,1,0] neg_lo:[0,0,1] neg_hi:[0,0,1]
	v_pk_fma_f32 v[178:179], v[178:179], v[36:37], v[184:185] op_sel:[1,0,0] op_sel_hi:[0,1,0]
	s_delay_alu instid0(VALU_DEP_1) | instskip(SKIP_1) | instid1(VALU_DEP_2)
	v_mov_b32_e32 v183, v179
	v_pk_mul_f32 v[178:179], v[180:181], v[176:177] op_sel:[0,1]
	v_pk_add_f32 v[86:87], v[86:87], v[182:183] neg_lo:[0,1] neg_hi:[0,1]
	s_delay_alu instid0(VALU_DEP_2) | instskip(SKIP_1) | instid1(VALU_DEP_1)
	v_pk_fma_f32 v[182:183], v[180:181], v[174:175], v[178:179] op_sel:[0,0,1] op_sel_hi:[1,1,0] neg_lo:[0,0,1] neg_hi:[0,0,1]
	v_pk_fma_f32 v[178:179], v[180:181], v[174:175], v[178:179] op_sel:[0,0,1] op_sel_hi:[1,0,0]
	v_mov_b32_e32 v183, v179
	ds_load_2addr_b64 v[178:181], v232 offset0:20 offset1:21
	v_pk_add_f32 v[104:105], v[104:105], v[182:183] neg_lo:[0,1] neg_hi:[0,1]
	s_wait_dscnt 0x0
	v_pk_mul_f32 v[182:183], v[178:179], v[176:177] op_sel:[0,1]
	s_delay_alu instid0(VALU_DEP_1) | instskip(SKIP_1) | instid1(VALU_DEP_1)
	v_pk_fma_f32 v[184:185], v[178:179], v[174:175], v[182:183] op_sel:[0,0,1] op_sel_hi:[1,1,0] neg_lo:[0,0,1] neg_hi:[0,0,1]
	v_pk_fma_f32 v[178:179], v[178:179], v[174:175], v[182:183] op_sel:[0,0,1] op_sel_hi:[1,0,0]
	v_mov_b32_e32 v185, v179
	v_pk_mul_f32 v[178:179], v[180:181], v[176:177] op_sel:[0,1]
	s_delay_alu instid0(VALU_DEP_2) | instskip(NEXT) | instid1(VALU_DEP_2)
	v_pk_add_f32 v[130:131], v[130:131], v[184:185] neg_lo:[0,1] neg_hi:[0,1]
	v_pk_fma_f32 v[182:183], v[180:181], v[174:175], v[178:179] op_sel:[0,0,1] op_sel_hi:[1,1,0] neg_lo:[0,0,1] neg_hi:[0,0,1]
	v_pk_fma_f32 v[178:179], v[180:181], v[174:175], v[178:179] op_sel:[0,0,1] op_sel_hi:[1,0,0]
	s_delay_alu instid0(VALU_DEP_1) | instskip(SKIP_4) | instid1(VALU_DEP_1)
	v_mov_b32_e32 v183, v179
	ds_load_2addr_b64 v[178:181], v232 offset0:22 offset1:23
	v_pk_add_f32 v[128:129], v[128:129], v[182:183] neg_lo:[0,1] neg_hi:[0,1]
	s_wait_dscnt 0x0
	v_pk_mul_f32 v[182:183], v[178:179], v[176:177] op_sel:[0,1]
	v_pk_fma_f32 v[184:185], v[178:179], v[174:175], v[182:183] op_sel:[0,0,1] op_sel_hi:[1,1,0] neg_lo:[0,0,1] neg_hi:[0,0,1]
	v_pk_fma_f32 v[178:179], v[178:179], v[174:175], v[182:183] op_sel:[0,0,1] op_sel_hi:[1,0,0]
	v_dual_mul_f32 v182, v181, v177 :: v_dual_mov_b32 v178, v181
	s_delay_alu instid0(VALU_DEP_2) | instskip(NEXT) | instid1(VALU_DEP_2)
	v_dual_mov_b32 v185, v179 :: v_dual_mov_b32 v179, v180
	v_pk_fma_f32 v[182:183], v[180:181], v[36:37], v[182:183] op_sel_hi:[1,1,0] neg_lo:[0,0,1] neg_hi:[0,0,1]
	v_mul_f32_e32 v180, v181, v174
	s_delay_alu instid0(VALU_DEP_3) | instskip(NEXT) | instid1(VALU_DEP_2)
	v_pk_add_f32 v[102:103], v[102:103], v[184:185] neg_lo:[0,1] neg_hi:[0,1]
	v_pk_fma_f32 v[178:179], v[178:179], v[36:37], v[180:181] op_sel_hi:[1,1,0]
	s_delay_alu instid0(VALU_DEP_1) | instskip(SKIP_4) | instid1(VALU_DEP_1)
	v_mov_b32_e32 v183, v179
	ds_load_2addr_b64 v[178:181], v232 offset0:24 offset1:25
	v_pk_add_f32 v[126:127], v[126:127], v[182:183] neg_lo:[0,1] neg_hi:[0,1]
	s_wait_dscnt 0x0
	v_pk_mul_f32 v[182:183], v[178:179], v[176:177] op_sel:[0,1]
	v_pk_fma_f32 v[184:185], v[178:179], v[174:175], v[182:183] op_sel:[0,0,1] op_sel_hi:[1,1,0] neg_lo:[0,0,1] neg_hi:[0,0,1]
	v_pk_fma_f32 v[178:179], v[178:179], v[174:175], v[182:183] op_sel:[0,0,1] op_sel_hi:[1,0,0]
	s_delay_alu instid0(VALU_DEP_1) | instskip(SKIP_1) | instid1(VALU_DEP_1)
	v_mov_b32_e32 v185, v179
	v_pk_mul_f32 v[178:179], v[180:181], v[176:177] op_sel:[0,1]
	v_pk_fma_f32 v[182:183], v[180:181], v[174:175], v[178:179] op_sel:[0,0,1] op_sel_hi:[1,1,0] neg_lo:[0,0,1] neg_hi:[0,0,1]
	v_pk_fma_f32 v[178:179], v[180:181], v[174:175], v[178:179] op_sel:[0,0,1] op_sel_hi:[1,0,0]
	s_delay_alu instid0(VALU_DEP_1)
	v_mov_b32_e32 v183, v179
	ds_load_2addr_b64 v[178:181], v232 offset0:26 offset1:27
	v_pk_add_f32 v[144:145], v[144:145], v[184:185] neg_lo:[0,1] neg_hi:[0,1]
	v_pk_add_f32 v[142:143], v[142:143], v[182:183] neg_lo:[0,1] neg_hi:[0,1]
	s_wait_dscnt 0x0
	v_pk_mul_f32 v[182:183], v[178:179], v[176:177] op_sel:[0,1]
	s_delay_alu instid0(VALU_DEP_1) | instskip(SKIP_1) | instid1(VALU_DEP_1)
	v_pk_fma_f32 v[184:185], v[178:179], v[174:175], v[182:183] op_sel:[0,0,1] op_sel_hi:[1,1,0] neg_lo:[0,0,1] neg_hi:[0,0,1]
	v_pk_fma_f32 v[178:179], v[178:179], v[174:175], v[182:183] op_sel:[0,0,1] op_sel_hi:[1,0,0]
	v_mov_b32_e32 v185, v179
	v_pk_mul_f32 v[178:179], v[180:181], v[176:177] op_sel:[0,1]
	s_delay_alu instid0(VALU_DEP_1) | instskip(SKIP_1) | instid1(VALU_DEP_1)
	v_pk_fma_f32 v[182:183], v[180:181], v[174:175], v[178:179] op_sel:[0,0,1] op_sel_hi:[1,1,0] neg_lo:[0,0,1] neg_hi:[0,0,1]
	v_pk_fma_f32 v[178:179], v[180:181], v[174:175], v[178:179] op_sel:[0,0,1] op_sel_hi:[1,0,0]
	v_mov_b32_e32 v183, v179
	ds_load_2addr_b64 v[178:181], v232 offset0:28 offset1:29
	v_pk_add_f32 v[150:151], v[150:151], v[184:185] neg_lo:[0,1] neg_hi:[0,1]
	v_pk_add_f32 v[140:141], v[140:141], v[182:183] neg_lo:[0,1] neg_hi:[0,1]
	s_wait_dscnt 0x0
	v_dual_mul_f32 v182, v179, v177 :: v_dual_mul_f32 v184, v179, v174
	s_delay_alu instid0(VALU_DEP_1) | instskip(NEXT) | instid1(VALU_DEP_2)
	v_pk_fma_f32 v[182:183], v[178:179], v[36:37], v[182:183] op_sel_hi:[1,1,0] neg_lo:[0,0,1] neg_hi:[0,0,1]
	v_pk_fma_f32 v[178:179], v[178:179], v[36:37], v[184:185] op_sel:[1,0,0] op_sel_hi:[0,1,0]
	s_delay_alu instid0(VALU_DEP_1) | instskip(SKIP_1) | instid1(VALU_DEP_2)
	v_mov_b32_e32 v183, v179
	v_pk_mul_f32 v[178:179], v[180:181], v[176:177] op_sel:[0,1]
	v_pk_add_f32 v[148:149], v[148:149], v[182:183] neg_lo:[0,1] neg_hi:[0,1]
	s_delay_alu instid0(VALU_DEP_2) | instskip(SKIP_1) | instid1(VALU_DEP_1)
	v_pk_fma_f32 v[182:183], v[180:181], v[174:175], v[178:179] op_sel:[0,0,1] op_sel_hi:[1,1,0] neg_lo:[0,0,1] neg_hi:[0,0,1]
	v_pk_fma_f32 v[178:179], v[180:181], v[174:175], v[178:179] op_sel:[0,0,1] op_sel_hi:[1,0,0]
	v_mov_b32_e32 v183, v179
	ds_load_2addr_b64 v[178:181], v232 offset0:30 offset1:31
	v_pk_add_f32 v[114:115], v[114:115], v[182:183] neg_lo:[0,1] neg_hi:[0,1]
	s_wait_dscnt 0x0
	v_pk_mul_f32 v[182:183], v[178:179], v[176:177] op_sel:[0,1]
	s_delay_alu instid0(VALU_DEP_1) | instskip(SKIP_1) | instid1(VALU_DEP_1)
	v_pk_fma_f32 v[184:185], v[178:179], v[174:175], v[182:183] op_sel:[0,0,1] op_sel_hi:[1,1,0] neg_lo:[0,0,1] neg_hi:[0,0,1]
	v_pk_fma_f32 v[178:179], v[178:179], v[174:175], v[182:183] op_sel:[0,0,1] op_sel_hi:[1,0,0]
	v_mov_b32_e32 v185, v179
	v_pk_mul_f32 v[178:179], v[180:181], v[176:177] op_sel:[0,1]
	s_delay_alu instid0(VALU_DEP_2) | instskip(NEXT) | instid1(VALU_DEP_2)
	v_pk_add_f32 v[116:117], v[116:117], v[184:185] neg_lo:[0,1] neg_hi:[0,1]
	v_pk_fma_f32 v[182:183], v[180:181], v[174:175], v[178:179] op_sel:[0,0,1] op_sel_hi:[1,1,0] neg_lo:[0,0,1] neg_hi:[0,0,1]
	v_pk_fma_f32 v[178:179], v[180:181], v[174:175], v[178:179] op_sel:[0,0,1] op_sel_hi:[1,0,0]
	s_delay_alu instid0(VALU_DEP_1) | instskip(SKIP_4) | instid1(VALU_DEP_1)
	v_mov_b32_e32 v183, v179
	ds_load_2addr_b64 v[178:181], v232 offset0:32 offset1:33
	v_pk_add_f32 v[112:113], v[112:113], v[182:183] neg_lo:[0,1] neg_hi:[0,1]
	s_wait_dscnt 0x0
	v_pk_mul_f32 v[182:183], v[178:179], v[176:177] op_sel:[0,1]
	v_pk_fma_f32 v[184:185], v[178:179], v[174:175], v[182:183] op_sel:[0,0,1] op_sel_hi:[1,1,0] neg_lo:[0,0,1] neg_hi:[0,0,1]
	v_pk_fma_f32 v[178:179], v[178:179], v[174:175], v[182:183] op_sel:[0,0,1] op_sel_hi:[1,0,0]
	v_dual_mul_f32 v182, v181, v177 :: v_dual_mov_b32 v178, v181
	s_delay_alu instid0(VALU_DEP_2) | instskip(NEXT) | instid1(VALU_DEP_2)
	v_dual_mov_b32 v185, v179 :: v_dual_mov_b32 v179, v180
	v_pk_fma_f32 v[182:183], v[180:181], v[36:37], v[182:183] op_sel_hi:[1,1,0] neg_lo:[0,0,1] neg_hi:[0,0,1]
	v_mul_f32_e32 v180, v181, v174
	s_delay_alu instid0(VALU_DEP_3) | instskip(NEXT) | instid1(VALU_DEP_2)
	v_pk_add_f32 v[134:135], v[134:135], v[184:185] neg_lo:[0,1] neg_hi:[0,1]
	v_pk_fma_f32 v[178:179], v[178:179], v[36:37], v[180:181] op_sel_hi:[1,1,0]
	s_delay_alu instid0(VALU_DEP_1) | instskip(SKIP_4) | instid1(VALU_DEP_1)
	v_mov_b32_e32 v183, v179
	ds_load_2addr_b64 v[178:181], v232 offset0:34 offset1:35
	v_pk_add_f32 v[132:133], v[132:133], v[182:183] neg_lo:[0,1] neg_hi:[0,1]
	s_wait_dscnt 0x0
	v_pk_mul_f32 v[182:183], v[178:179], v[176:177] op_sel:[0,1]
	v_pk_fma_f32 v[184:185], v[178:179], v[174:175], v[182:183] op_sel:[0,0,1] op_sel_hi:[1,1,0] neg_lo:[0,0,1] neg_hi:[0,0,1]
	v_pk_fma_f32 v[178:179], v[178:179], v[174:175], v[182:183] op_sel:[0,0,1] op_sel_hi:[1,0,0]
	s_delay_alu instid0(VALU_DEP_1) | instskip(SKIP_1) | instid1(VALU_DEP_1)
	v_mov_b32_e32 v185, v179
	v_pk_mul_f32 v[178:179], v[180:181], v[176:177] op_sel:[0,1]
	v_pk_fma_f32 v[182:183], v[180:181], v[174:175], v[178:179] op_sel:[0,0,1] op_sel_hi:[1,1,0] neg_lo:[0,0,1] neg_hi:[0,0,1]
	v_pk_fma_f32 v[178:179], v[180:181], v[174:175], v[178:179] op_sel:[0,0,1] op_sel_hi:[1,0,0]
	s_delay_alu instid0(VALU_DEP_1)
	v_mov_b32_e32 v183, v179
	ds_load_2addr_b64 v[178:181], v232 offset0:36 offset1:37
	v_pk_add_f32 v[146:147], v[146:147], v[184:185] neg_lo:[0,1] neg_hi:[0,1]
	v_pk_add_f32 v[138:139], v[138:139], v[182:183] neg_lo:[0,1] neg_hi:[0,1]
	s_wait_dscnt 0x0
	v_pk_mul_f32 v[182:183], v[178:179], v[176:177] op_sel:[0,1]
	v_pk_mul_f32 v[176:177], v[180:181], v[176:177] op_sel:[0,1]
	s_delay_alu instid0(VALU_DEP_2) | instskip(SKIP_1) | instid1(VALU_DEP_1)
	v_pk_fma_f32 v[184:185], v[178:179], v[174:175], v[182:183] op_sel:[0,0,1] op_sel_hi:[1,1,0] neg_lo:[0,0,1] neg_hi:[0,0,1]
	v_pk_fma_f32 v[178:179], v[178:179], v[174:175], v[182:183] op_sel:[0,0,1] op_sel_hi:[1,0,0]
	v_mov_b32_e32 v185, v179
	s_delay_alu instid0(VALU_DEP_4) | instskip(SKIP_1) | instid1(VALU_DEP_1)
	v_pk_fma_f32 v[178:179], v[180:181], v[174:175], v[176:177] op_sel:[0,0,1] op_sel_hi:[1,1,0] neg_lo:[0,0,1] neg_hi:[0,0,1]
	v_pk_fma_f32 v[174:175], v[180:181], v[174:175], v[176:177] op_sel:[0,0,1] op_sel_hi:[1,0,0]
	v_mov_b32_e32 v179, v175
	s_delay_alu instid0(VALU_DEP_4) | instskip(NEXT) | instid1(VALU_DEP_2)
	v_pk_add_f32 v[136:137], v[136:137], v[184:185] neg_lo:[0,1] neg_hi:[0,1]
	v_pk_add_f32 v[152:153], v[152:153], v[178:179] neg_lo:[0,1] neg_hi:[0,1]
.LBB75_91:
	s_or_b32 exec_lo, exec_lo, s1
	s_delay_alu instid0(SALU_CYCLE_1)
	s_mov_b32 s2, exec_lo
	s_wait_dscnt 0x0
	s_barrier_signal -1
	s_barrier_wait -1
	v_cmpx_eq_u32_e32 10, v230
	s_cbranch_execz .LBB75_98
; %bb.92:
	ds_store_b64 v231, v[38:39]
	ds_store_2addr_b64 v232, v[76:77], v[92:93] offset0:11 offset1:12
	ds_store_2addr_b64 v232, v[90:91], v[74:75] offset0:13 offset1:14
	;; [unrolled: 1-line block ×13, first 2 shown]
	ds_store_b64 v232, v[152:153] offset:296
	ds_load_b64 v[174:175], v231
	s_wait_dscnt 0x0
	v_cmp_neq_f32_e32 vcc_lo, 0, v174
	v_cmp_neq_f32_e64 s1, 0, v175
	s_or_b32 s1, vcc_lo, s1
	s_delay_alu instid0(SALU_CYCLE_1)
	s_and_b32 exec_lo, exec_lo, s1
	s_cbranch_execz .LBB75_98
; %bb.93:
	v_cmp_ngt_f32_e64 s1, |v174|, |v175|
                                        ; implicit-def: $vgpr176_vgpr177
	s_and_saveexec_b32 s4, s1
	s_delay_alu instid0(SALU_CYCLE_1)
	s_xor_b32 s1, exec_lo, s4
	s_cbranch_execz .LBB75_95
; %bb.94:
	v_div_scale_f32 v0, null, v175, v175, v174
	v_div_scale_f32 v177, vcc_lo, v174, v175, v174
	s_delay_alu instid0(VALU_DEP_2) | instskip(SKIP_1) | instid1(TRANS32_DEP_1)
	v_rcp_f32_e32 v1, v0
	v_nop
	v_fma_f32 v176, -v0, v1, 1.0
	s_delay_alu instid0(VALU_DEP_1) | instskip(NEXT) | instid1(VALU_DEP_1)
	v_fmac_f32_e32 v1, v176, v1
	v_mul_f32_e32 v176, v177, v1
	s_delay_alu instid0(VALU_DEP_1) | instskip(NEXT) | instid1(VALU_DEP_1)
	v_fma_f32 v178, -v0, v176, v177
	v_fmac_f32_e32 v176, v178, v1
	s_delay_alu instid0(VALU_DEP_1) | instskip(NEXT) | instid1(VALU_DEP_1)
	v_fma_f32 v0, -v0, v176, v177
	v_div_fmas_f32 v0, v0, v1, v176
	s_delay_alu instid0(VALU_DEP_1) | instskip(NEXT) | instid1(VALU_DEP_1)
	v_div_fixup_f32 v0, v0, v175, v174
	v_fmac_f32_e32 v175, v174, v0
	s_delay_alu instid0(VALU_DEP_1) | instskip(SKIP_1) | instid1(VALU_DEP_2)
	v_div_scale_f32 v1, null, v175, v175, 1.0
	v_div_scale_f32 v177, vcc_lo, 1.0, v175, 1.0
	v_rcp_f32_e32 v174, v1
	v_nop
	s_delay_alu instid0(TRANS32_DEP_1) | instskip(NEXT) | instid1(VALU_DEP_1)
	v_fma_f32 v176, -v1, v174, 1.0
	v_fmac_f32_e32 v174, v176, v174
	s_delay_alu instid0(VALU_DEP_1) | instskip(NEXT) | instid1(VALU_DEP_1)
	v_mul_f32_e32 v176, v177, v174
	v_fma_f32 v178, -v1, v176, v177
	s_delay_alu instid0(VALU_DEP_1) | instskip(NEXT) | instid1(VALU_DEP_1)
	v_fmac_f32_e32 v176, v178, v174
	v_fma_f32 v1, -v1, v176, v177
	s_delay_alu instid0(VALU_DEP_1) | instskip(NEXT) | instid1(VALU_DEP_1)
	v_div_fmas_f32 v1, v1, v174, v176
	v_div_fixup_f32 v1, v1, v175, 1.0
                                        ; implicit-def: $vgpr174_vgpr175
	s_delay_alu instid0(VALU_DEP_1)
	v_mul_f32_e32 v176, v0, v1
	v_xor_b32_e32 v177, 0x80000000, v1
.LBB75_95:
	s_and_not1_saveexec_b32 s1, s1
	s_cbranch_execz .LBB75_97
; %bb.96:
	v_div_scale_f32 v0, null, v174, v174, v175
	v_div_scale_f32 v177, vcc_lo, v175, v174, v175
	s_delay_alu instid0(VALU_DEP_2) | instskip(SKIP_1) | instid1(TRANS32_DEP_1)
	v_rcp_f32_e32 v1, v0
	v_nop
	v_fma_f32 v176, -v0, v1, 1.0
	s_delay_alu instid0(VALU_DEP_1) | instskip(NEXT) | instid1(VALU_DEP_1)
	v_fmac_f32_e32 v1, v176, v1
	v_mul_f32_e32 v176, v177, v1
	s_delay_alu instid0(VALU_DEP_1) | instskip(NEXT) | instid1(VALU_DEP_1)
	v_fma_f32 v178, -v0, v176, v177
	v_fmac_f32_e32 v176, v178, v1
	s_delay_alu instid0(VALU_DEP_1) | instskip(NEXT) | instid1(VALU_DEP_1)
	v_fma_f32 v0, -v0, v176, v177
	v_div_fmas_f32 v0, v0, v1, v176
	s_delay_alu instid0(VALU_DEP_1) | instskip(NEXT) | instid1(VALU_DEP_1)
	v_div_fixup_f32 v0, v0, v174, v175
	v_fmac_f32_e32 v174, v175, v0
	s_delay_alu instid0(VALU_DEP_1) | instskip(NEXT) | instid1(VALU_DEP_1)
	v_div_scale_f32 v1, null, v174, v174, 1.0
	v_rcp_f32_e32 v175, v1
	v_nop
	s_delay_alu instid0(TRANS32_DEP_1) | instskip(NEXT) | instid1(VALU_DEP_1)
	v_fma_f32 v176, -v1, v175, 1.0
	v_fmac_f32_e32 v175, v176, v175
	v_div_scale_f32 v176, vcc_lo, 1.0, v174, 1.0
	s_delay_alu instid0(VALU_DEP_1) | instskip(NEXT) | instid1(VALU_DEP_1)
	v_mul_f32_e32 v177, v176, v175
	v_fma_f32 v178, -v1, v177, v176
	s_delay_alu instid0(VALU_DEP_1) | instskip(NEXT) | instid1(VALU_DEP_1)
	v_fmac_f32_e32 v177, v178, v175
	v_fma_f32 v1, -v1, v177, v176
	s_delay_alu instid0(VALU_DEP_1) | instskip(NEXT) | instid1(VALU_DEP_1)
	v_div_fmas_f32 v1, v1, v175, v177
	v_div_fixup_f32 v176, v1, v174, 1.0
	s_delay_alu instid0(VALU_DEP_1)
	v_mul_f32_e64 v177, v0, -v176
.LBB75_97:
	s_or_b32 exec_lo, exec_lo, s1
	ds_store_b64 v231, v[176:177]
.LBB75_98:
	s_or_b32 exec_lo, exec_lo, s2
	s_wait_dscnt 0x0
	s_barrier_signal -1
	s_barrier_wait -1
	ds_load_b64 v[174:175], v231
	s_mov_b32 s1, exec_lo
	v_cmpx_lt_u32_e32 10, v230
	s_cbranch_execz .LBB75_100
; %bb.99:
	ds_load_2addr_b64 v[180:183], v232 offset0:11 offset1:12
	s_wait_dscnt 0x1
	v_pk_mul_f32 v[178:179], v[174:175], v[38:39] op_sel:[1,1] op_sel_hi:[0,1]
	s_delay_alu instid0(VALU_DEP_1) | instskip(SKIP_1) | instid1(VALU_DEP_1)
	v_pk_fma_f32 v[176:177], v[174:175], v[38:39], v[178:179] op_sel_hi:[1,0,1] neg_lo:[0,0,1] neg_hi:[0,0,1]
	v_pk_fma_f32 v[178:179], v[174:175], v[38:39], v[178:179] op_sel_hi:[1,0,1]
	v_dual_mov_b32 v38, v176 :: v_dual_mov_b32 v39, v179
	s_wait_dscnt 0x0
	s_delay_alu instid0(VALU_DEP_2) | instskip(NEXT) | instid1(VALU_DEP_1)
	v_pk_mul_f32 v[184:185], v[180:181], v[178:179] op_sel:[0,1]
	v_pk_fma_f32 v[186:187], v[180:181], v[176:177], v[184:185] op_sel:[0,0,1] op_sel_hi:[1,1,0] neg_lo:[0,0,1] neg_hi:[0,0,1]
	v_pk_fma_f32 v[180:181], v[180:181], v[176:177], v[184:185] op_sel:[0,0,1] op_sel_hi:[1,0,0]
	s_delay_alu instid0(VALU_DEP_1) | instskip(SKIP_1) | instid1(VALU_DEP_1)
	v_mov_b32_e32 v187, v181
	v_pk_mul_f32 v[180:181], v[182:183], v[178:179] op_sel:[0,1]
	v_pk_fma_f32 v[184:185], v[182:183], v[176:177], v[180:181] op_sel:[0,0,1] op_sel_hi:[1,1,0] neg_lo:[0,0,1] neg_hi:[0,0,1]
	v_pk_fma_f32 v[180:181], v[182:183], v[176:177], v[180:181] op_sel:[0,0,1] op_sel_hi:[1,0,0]
	s_delay_alu instid0(VALU_DEP_1)
	v_mov_b32_e32 v185, v181
	ds_load_2addr_b64 v[180:183], v232 offset0:13 offset1:14
	v_pk_add_f32 v[76:77], v[76:77], v[186:187] neg_lo:[0,1] neg_hi:[0,1]
	v_pk_add_f32 v[92:93], v[92:93], v[184:185] neg_lo:[0,1] neg_hi:[0,1]
	s_wait_dscnt 0x0
	v_pk_mul_f32 v[184:185], v[180:181], v[178:179] op_sel:[0,1]
	s_delay_alu instid0(VALU_DEP_1) | instskip(SKIP_2) | instid1(VALU_DEP_2)
	v_pk_fma_f32 v[186:187], v[180:181], v[176:177], v[184:185] op_sel:[0,0,1] op_sel_hi:[1,1,0] neg_lo:[0,0,1] neg_hi:[0,0,1]
	v_pk_fma_f32 v[180:181], v[180:181], v[176:177], v[184:185] op_sel:[0,0,1] op_sel_hi:[1,0,0]
	v_dual_mul_f32 v184, v183, v179 :: v_dual_mov_b32 v180, v183
	v_dual_mov_b32 v187, v181 :: v_dual_mov_b32 v181, v182
	s_delay_alu instid0(VALU_DEP_2) | instskip(SKIP_1) | instid1(VALU_DEP_3)
	v_pk_fma_f32 v[184:185], v[182:183], v[38:39], v[184:185] op_sel_hi:[1,1,0] neg_lo:[0,0,1] neg_hi:[0,0,1]
	v_mul_f32_e32 v182, v183, v176
	v_pk_add_f32 v[90:91], v[90:91], v[186:187] neg_lo:[0,1] neg_hi:[0,1]
	s_delay_alu instid0(VALU_DEP_2) | instskip(NEXT) | instid1(VALU_DEP_1)
	v_pk_fma_f32 v[180:181], v[180:181], v[38:39], v[182:183] op_sel_hi:[1,1,0]
	v_mov_b32_e32 v185, v181
	ds_load_2addr_b64 v[180:183], v232 offset0:15 offset1:16
	v_pk_add_f32 v[74:75], v[74:75], v[184:185] neg_lo:[0,1] neg_hi:[0,1]
	s_wait_dscnt 0x0
	v_pk_mul_f32 v[184:185], v[180:181], v[178:179] op_sel:[0,1]
	s_delay_alu instid0(VALU_DEP_1) | instskip(SKIP_1) | instid1(VALU_DEP_1)
	v_pk_fma_f32 v[186:187], v[180:181], v[176:177], v[184:185] op_sel:[0,0,1] op_sel_hi:[1,1,0] neg_lo:[0,0,1] neg_hi:[0,0,1]
	v_pk_fma_f32 v[180:181], v[180:181], v[176:177], v[184:185] op_sel:[0,0,1] op_sel_hi:[1,0,0]
	v_mov_b32_e32 v187, v181
	v_pk_mul_f32 v[180:181], v[182:183], v[178:179] op_sel:[0,1]
	s_delay_alu instid0(VALU_DEP_1) | instskip(SKIP_1) | instid1(VALU_DEP_1)
	v_pk_fma_f32 v[184:185], v[182:183], v[176:177], v[180:181] op_sel:[0,0,1] op_sel_hi:[1,1,0] neg_lo:[0,0,1] neg_hi:[0,0,1]
	v_pk_fma_f32 v[180:181], v[182:183], v[176:177], v[180:181] op_sel:[0,0,1] op_sel_hi:[1,0,0]
	v_mov_b32_e32 v185, v181
	ds_load_2addr_b64 v[180:183], v232 offset0:17 offset1:18
	v_pk_add_f32 v[88:89], v[88:89], v[186:187] neg_lo:[0,1] neg_hi:[0,1]
	v_pk_add_f32 v[108:109], v[108:109], v[184:185] neg_lo:[0,1] neg_hi:[0,1]
	s_wait_dscnt 0x0
	v_pk_mul_f32 v[184:185], v[180:181], v[178:179] op_sel:[0,1]
	s_delay_alu instid0(VALU_DEP_1) | instskip(SKIP_1) | instid1(VALU_DEP_1)
	v_pk_fma_f32 v[186:187], v[180:181], v[176:177], v[184:185] op_sel:[0,0,1] op_sel_hi:[1,1,0] neg_lo:[0,0,1] neg_hi:[0,0,1]
	v_pk_fma_f32 v[180:181], v[180:181], v[176:177], v[184:185] op_sel:[0,0,1] op_sel_hi:[1,0,0]
	v_mov_b32_e32 v187, v181
	v_pk_mul_f32 v[180:181], v[182:183], v[178:179] op_sel:[0,1]
	s_delay_alu instid0(VALU_DEP_1) | instskip(SKIP_1) | instid1(VALU_DEP_1)
	v_pk_fma_f32 v[184:185], v[182:183], v[176:177], v[180:181] op_sel:[0,0,1] op_sel_hi:[1,1,0] neg_lo:[0,0,1] neg_hi:[0,0,1]
	v_pk_fma_f32 v[180:181], v[182:183], v[176:177], v[180:181] op_sel:[0,0,1] op_sel_hi:[1,0,0]
	v_mov_b32_e32 v185, v181
	ds_load_2addr_b64 v[180:183], v232 offset0:19 offset1:20
	v_pk_add_f32 v[106:107], v[106:107], v[186:187] neg_lo:[0,1] neg_hi:[0,1]
	v_pk_add_f32 v[86:87], v[86:87], v[184:185] neg_lo:[0,1] neg_hi:[0,1]
	s_wait_dscnt 0x0
	v_dual_mul_f32 v184, v181, v179 :: v_dual_mul_f32 v186, v181, v176
	s_delay_alu instid0(VALU_DEP_1) | instskip(NEXT) | instid1(VALU_DEP_2)
	v_pk_fma_f32 v[184:185], v[180:181], v[38:39], v[184:185] op_sel_hi:[1,1,0] neg_lo:[0,0,1] neg_hi:[0,0,1]
	v_pk_fma_f32 v[180:181], v[180:181], v[38:39], v[186:187] op_sel:[1,0,0] op_sel_hi:[0,1,0]
	s_delay_alu instid0(VALU_DEP_1) | instskip(SKIP_1) | instid1(VALU_DEP_2)
	v_mov_b32_e32 v185, v181
	v_pk_mul_f32 v[180:181], v[182:183], v[178:179] op_sel:[0,1]
	v_pk_add_f32 v[104:105], v[104:105], v[184:185] neg_lo:[0,1] neg_hi:[0,1]
	s_delay_alu instid0(VALU_DEP_2) | instskip(SKIP_1) | instid1(VALU_DEP_1)
	v_pk_fma_f32 v[184:185], v[182:183], v[176:177], v[180:181] op_sel:[0,0,1] op_sel_hi:[1,1,0] neg_lo:[0,0,1] neg_hi:[0,0,1]
	v_pk_fma_f32 v[180:181], v[182:183], v[176:177], v[180:181] op_sel:[0,0,1] op_sel_hi:[1,0,0]
	v_mov_b32_e32 v185, v181
	ds_load_2addr_b64 v[180:183], v232 offset0:21 offset1:22
	v_pk_add_f32 v[130:131], v[130:131], v[184:185] neg_lo:[0,1] neg_hi:[0,1]
	s_wait_dscnt 0x0
	v_pk_mul_f32 v[184:185], v[180:181], v[178:179] op_sel:[0,1]
	s_delay_alu instid0(VALU_DEP_1) | instskip(SKIP_1) | instid1(VALU_DEP_1)
	v_pk_fma_f32 v[186:187], v[180:181], v[176:177], v[184:185] op_sel:[0,0,1] op_sel_hi:[1,1,0] neg_lo:[0,0,1] neg_hi:[0,0,1]
	v_pk_fma_f32 v[180:181], v[180:181], v[176:177], v[184:185] op_sel:[0,0,1] op_sel_hi:[1,0,0]
	v_mov_b32_e32 v187, v181
	v_pk_mul_f32 v[180:181], v[182:183], v[178:179] op_sel:[0,1]
	s_delay_alu instid0(VALU_DEP_2) | instskip(NEXT) | instid1(VALU_DEP_2)
	v_pk_add_f32 v[128:129], v[128:129], v[186:187] neg_lo:[0,1] neg_hi:[0,1]
	v_pk_fma_f32 v[184:185], v[182:183], v[176:177], v[180:181] op_sel:[0,0,1] op_sel_hi:[1,1,0] neg_lo:[0,0,1] neg_hi:[0,0,1]
	v_pk_fma_f32 v[180:181], v[182:183], v[176:177], v[180:181] op_sel:[0,0,1] op_sel_hi:[1,0,0]
	s_delay_alu instid0(VALU_DEP_1) | instskip(SKIP_4) | instid1(VALU_DEP_1)
	v_mov_b32_e32 v185, v181
	ds_load_2addr_b64 v[180:183], v232 offset0:23 offset1:24
	v_pk_add_f32 v[102:103], v[102:103], v[184:185] neg_lo:[0,1] neg_hi:[0,1]
	s_wait_dscnt 0x0
	v_pk_mul_f32 v[184:185], v[180:181], v[178:179] op_sel:[0,1]
	v_pk_fma_f32 v[186:187], v[180:181], v[176:177], v[184:185] op_sel:[0,0,1] op_sel_hi:[1,1,0] neg_lo:[0,0,1] neg_hi:[0,0,1]
	v_pk_fma_f32 v[180:181], v[180:181], v[176:177], v[184:185] op_sel:[0,0,1] op_sel_hi:[1,0,0]
	v_dual_mul_f32 v184, v183, v179 :: v_dual_mov_b32 v180, v183
	s_delay_alu instid0(VALU_DEP_2) | instskip(NEXT) | instid1(VALU_DEP_2)
	v_dual_mov_b32 v187, v181 :: v_dual_mov_b32 v181, v182
	v_pk_fma_f32 v[184:185], v[182:183], v[38:39], v[184:185] op_sel_hi:[1,1,0] neg_lo:[0,0,1] neg_hi:[0,0,1]
	v_mul_f32_e32 v182, v183, v176
	s_delay_alu instid0(VALU_DEP_3) | instskip(NEXT) | instid1(VALU_DEP_2)
	v_pk_add_f32 v[126:127], v[126:127], v[186:187] neg_lo:[0,1] neg_hi:[0,1]
	v_pk_fma_f32 v[180:181], v[180:181], v[38:39], v[182:183] op_sel_hi:[1,1,0]
	s_delay_alu instid0(VALU_DEP_1) | instskip(SKIP_4) | instid1(VALU_DEP_1)
	v_mov_b32_e32 v185, v181
	ds_load_2addr_b64 v[180:183], v232 offset0:25 offset1:26
	v_pk_add_f32 v[144:145], v[144:145], v[184:185] neg_lo:[0,1] neg_hi:[0,1]
	s_wait_dscnt 0x0
	v_pk_mul_f32 v[184:185], v[180:181], v[178:179] op_sel:[0,1]
	v_pk_fma_f32 v[186:187], v[180:181], v[176:177], v[184:185] op_sel:[0,0,1] op_sel_hi:[1,1,0] neg_lo:[0,0,1] neg_hi:[0,0,1]
	v_pk_fma_f32 v[180:181], v[180:181], v[176:177], v[184:185] op_sel:[0,0,1] op_sel_hi:[1,0,0]
	s_delay_alu instid0(VALU_DEP_1) | instskip(SKIP_1) | instid1(VALU_DEP_1)
	v_mov_b32_e32 v187, v181
	v_pk_mul_f32 v[180:181], v[182:183], v[178:179] op_sel:[0,1]
	v_pk_fma_f32 v[184:185], v[182:183], v[176:177], v[180:181] op_sel:[0,0,1] op_sel_hi:[1,1,0] neg_lo:[0,0,1] neg_hi:[0,0,1]
	v_pk_fma_f32 v[180:181], v[182:183], v[176:177], v[180:181] op_sel:[0,0,1] op_sel_hi:[1,0,0]
	s_delay_alu instid0(VALU_DEP_1)
	v_mov_b32_e32 v185, v181
	ds_load_2addr_b64 v[180:183], v232 offset0:27 offset1:28
	v_pk_add_f32 v[142:143], v[142:143], v[186:187] neg_lo:[0,1] neg_hi:[0,1]
	v_pk_add_f32 v[150:151], v[150:151], v[184:185] neg_lo:[0,1] neg_hi:[0,1]
	s_wait_dscnt 0x0
	v_pk_mul_f32 v[184:185], v[180:181], v[178:179] op_sel:[0,1]
	s_delay_alu instid0(VALU_DEP_1) | instskip(SKIP_1) | instid1(VALU_DEP_1)
	v_pk_fma_f32 v[186:187], v[180:181], v[176:177], v[184:185] op_sel:[0,0,1] op_sel_hi:[1,1,0] neg_lo:[0,0,1] neg_hi:[0,0,1]
	v_pk_fma_f32 v[180:181], v[180:181], v[176:177], v[184:185] op_sel:[0,0,1] op_sel_hi:[1,0,0]
	v_mov_b32_e32 v187, v181
	v_pk_mul_f32 v[180:181], v[182:183], v[178:179] op_sel:[0,1]
	s_delay_alu instid0(VALU_DEP_1) | instskip(SKIP_1) | instid1(VALU_DEP_1)
	v_pk_fma_f32 v[184:185], v[182:183], v[176:177], v[180:181] op_sel:[0,0,1] op_sel_hi:[1,1,0] neg_lo:[0,0,1] neg_hi:[0,0,1]
	v_pk_fma_f32 v[180:181], v[182:183], v[176:177], v[180:181] op_sel:[0,0,1] op_sel_hi:[1,0,0]
	v_mov_b32_e32 v185, v181
	ds_load_2addr_b64 v[180:183], v232 offset0:29 offset1:30
	v_pk_add_f32 v[140:141], v[140:141], v[186:187] neg_lo:[0,1] neg_hi:[0,1]
	v_pk_add_f32 v[148:149], v[148:149], v[184:185] neg_lo:[0,1] neg_hi:[0,1]
	s_wait_dscnt 0x0
	v_dual_mul_f32 v184, v181, v179 :: v_dual_mul_f32 v186, v181, v176
	s_delay_alu instid0(VALU_DEP_1) | instskip(NEXT) | instid1(VALU_DEP_2)
	v_pk_fma_f32 v[184:185], v[180:181], v[38:39], v[184:185] op_sel_hi:[1,1,0] neg_lo:[0,0,1] neg_hi:[0,0,1]
	v_pk_fma_f32 v[180:181], v[180:181], v[38:39], v[186:187] op_sel:[1,0,0] op_sel_hi:[0,1,0]
	s_delay_alu instid0(VALU_DEP_1) | instskip(SKIP_1) | instid1(VALU_DEP_2)
	v_mov_b32_e32 v185, v181
	v_pk_mul_f32 v[180:181], v[182:183], v[178:179] op_sel:[0,1]
	v_pk_add_f32 v[114:115], v[114:115], v[184:185] neg_lo:[0,1] neg_hi:[0,1]
	s_delay_alu instid0(VALU_DEP_2) | instskip(SKIP_1) | instid1(VALU_DEP_1)
	v_pk_fma_f32 v[184:185], v[182:183], v[176:177], v[180:181] op_sel:[0,0,1] op_sel_hi:[1,1,0] neg_lo:[0,0,1] neg_hi:[0,0,1]
	v_pk_fma_f32 v[180:181], v[182:183], v[176:177], v[180:181] op_sel:[0,0,1] op_sel_hi:[1,0,0]
	v_mov_b32_e32 v185, v181
	ds_load_2addr_b64 v[180:183], v232 offset0:31 offset1:32
	v_pk_add_f32 v[116:117], v[116:117], v[184:185] neg_lo:[0,1] neg_hi:[0,1]
	s_wait_dscnt 0x0
	v_pk_mul_f32 v[184:185], v[180:181], v[178:179] op_sel:[0,1]
	s_delay_alu instid0(VALU_DEP_1) | instskip(SKIP_1) | instid1(VALU_DEP_1)
	v_pk_fma_f32 v[186:187], v[180:181], v[176:177], v[184:185] op_sel:[0,0,1] op_sel_hi:[1,1,0] neg_lo:[0,0,1] neg_hi:[0,0,1]
	v_pk_fma_f32 v[180:181], v[180:181], v[176:177], v[184:185] op_sel:[0,0,1] op_sel_hi:[1,0,0]
	v_mov_b32_e32 v187, v181
	v_pk_mul_f32 v[180:181], v[182:183], v[178:179] op_sel:[0,1]
	s_delay_alu instid0(VALU_DEP_2) | instskip(NEXT) | instid1(VALU_DEP_2)
	v_pk_add_f32 v[112:113], v[112:113], v[186:187] neg_lo:[0,1] neg_hi:[0,1]
	v_pk_fma_f32 v[184:185], v[182:183], v[176:177], v[180:181] op_sel:[0,0,1] op_sel_hi:[1,1,0] neg_lo:[0,0,1] neg_hi:[0,0,1]
	v_pk_fma_f32 v[180:181], v[182:183], v[176:177], v[180:181] op_sel:[0,0,1] op_sel_hi:[1,0,0]
	s_delay_alu instid0(VALU_DEP_1) | instskip(SKIP_4) | instid1(VALU_DEP_1)
	v_mov_b32_e32 v185, v181
	ds_load_2addr_b64 v[180:183], v232 offset0:33 offset1:34
	v_pk_add_f32 v[134:135], v[134:135], v[184:185] neg_lo:[0,1] neg_hi:[0,1]
	s_wait_dscnt 0x0
	v_pk_mul_f32 v[184:185], v[180:181], v[178:179] op_sel:[0,1]
	v_pk_fma_f32 v[186:187], v[180:181], v[176:177], v[184:185] op_sel:[0,0,1] op_sel_hi:[1,1,0] neg_lo:[0,0,1] neg_hi:[0,0,1]
	v_pk_fma_f32 v[180:181], v[180:181], v[176:177], v[184:185] op_sel:[0,0,1] op_sel_hi:[1,0,0]
	v_dual_mul_f32 v184, v183, v179 :: v_dual_mov_b32 v180, v183
	s_delay_alu instid0(VALU_DEP_2) | instskip(NEXT) | instid1(VALU_DEP_2)
	v_dual_mov_b32 v187, v181 :: v_dual_mov_b32 v181, v182
	v_pk_fma_f32 v[184:185], v[182:183], v[38:39], v[184:185] op_sel_hi:[1,1,0] neg_lo:[0,0,1] neg_hi:[0,0,1]
	v_mul_f32_e32 v182, v183, v176
	s_delay_alu instid0(VALU_DEP_3) | instskip(NEXT) | instid1(VALU_DEP_2)
	v_pk_add_f32 v[132:133], v[132:133], v[186:187] neg_lo:[0,1] neg_hi:[0,1]
	v_pk_fma_f32 v[180:181], v[180:181], v[38:39], v[182:183] op_sel_hi:[1,1,0]
	s_delay_alu instid0(VALU_DEP_1) | instskip(SKIP_4) | instid1(VALU_DEP_1)
	v_mov_b32_e32 v185, v181
	ds_load_2addr_b64 v[180:183], v232 offset0:35 offset1:36
	v_pk_add_f32 v[146:147], v[146:147], v[184:185] neg_lo:[0,1] neg_hi:[0,1]
	s_wait_dscnt 0x0
	v_pk_mul_f32 v[184:185], v[180:181], v[178:179] op_sel:[0,1]
	v_pk_fma_f32 v[186:187], v[180:181], v[176:177], v[184:185] op_sel:[0,0,1] op_sel_hi:[1,1,0] neg_lo:[0,0,1] neg_hi:[0,0,1]
	v_pk_fma_f32 v[180:181], v[180:181], v[176:177], v[184:185] op_sel:[0,0,1] op_sel_hi:[1,0,0]
	s_delay_alu instid0(VALU_DEP_1) | instskip(SKIP_1) | instid1(VALU_DEP_1)
	v_mov_b32_e32 v187, v181
	v_pk_mul_f32 v[180:181], v[182:183], v[178:179] op_sel:[0,1]
	v_pk_fma_f32 v[184:185], v[182:183], v[176:177], v[180:181] op_sel:[0,0,1] op_sel_hi:[1,1,0] neg_lo:[0,0,1] neg_hi:[0,0,1]
	v_pk_fma_f32 v[180:181], v[182:183], v[176:177], v[180:181] op_sel:[0,0,1] op_sel_hi:[1,0,0]
	s_delay_alu instid0(VALU_DEP_1)
	v_mov_b32_e32 v185, v181
	ds_load_b64 v[180:181], v232 offset:296
	v_pk_add_f32 v[138:139], v[138:139], v[186:187] neg_lo:[0,1] neg_hi:[0,1]
	v_pk_add_f32 v[136:137], v[136:137], v[184:185] neg_lo:[0,1] neg_hi:[0,1]
	s_wait_dscnt 0x0
	v_pk_mul_f32 v[178:179], v[180:181], v[178:179] op_sel:[0,1]
	s_delay_alu instid0(VALU_DEP_1) | instskip(SKIP_1) | instid1(VALU_DEP_1)
	v_pk_fma_f32 v[182:183], v[180:181], v[176:177], v[178:179] op_sel:[0,0,1] op_sel_hi:[1,1,0] neg_lo:[0,0,1] neg_hi:[0,0,1]
	v_pk_fma_f32 v[176:177], v[180:181], v[176:177], v[178:179] op_sel:[0,0,1] op_sel_hi:[1,0,0]
	v_mov_b32_e32 v183, v177
	s_delay_alu instid0(VALU_DEP_1)
	v_pk_add_f32 v[152:153], v[152:153], v[182:183] neg_lo:[0,1] neg_hi:[0,1]
.LBB75_100:
	s_or_b32 exec_lo, exec_lo, s1
	s_delay_alu instid0(SALU_CYCLE_1)
	s_mov_b32 s2, exec_lo
	s_wait_dscnt 0x0
	s_barrier_signal -1
	s_barrier_wait -1
	v_cmpx_eq_u32_e32 11, v230
	s_cbranch_execz .LBB75_107
; %bb.101:
	v_dual_mov_b32 v176, v92 :: v_dual_mov_b32 v177, v93
	v_dual_mov_b32 v178, v90 :: v_dual_mov_b32 v179, v91
	ds_store_b64 v231, v[76:77]
	ds_store_2addr_b64 v232, v[176:177], v[178:179] offset0:12 offset1:13
	v_dual_mov_b32 v176, v74 :: v_dual_mov_b32 v177, v75
	v_dual_mov_b32 v178, v88 :: v_dual_mov_b32 v179, v89
	ds_store_2addr_b64 v232, v[176:177], v[178:179] offset0:14 offset1:15
	v_dual_mov_b32 v176, v108 :: v_dual_mov_b32 v177, v109
	v_dual_mov_b32 v178, v106 :: v_dual_mov_b32 v179, v107
	;; [unrolled: 3-line block ×11, first 2 shown]
	ds_store_2addr_b64 v232, v[176:177], v[178:179] offset0:34 offset1:35
	v_dual_mov_b32 v176, v136 :: v_dual_mov_b32 v177, v137
	ds_store_2addr_b64 v232, v[176:177], v[152:153] offset0:36 offset1:37
	ds_load_b64 v[176:177], v231
	s_wait_dscnt 0x0
	v_cmp_neq_f32_e32 vcc_lo, 0, v176
	v_cmp_neq_f32_e64 s1, 0, v177
	s_or_b32 s1, vcc_lo, s1
	s_delay_alu instid0(SALU_CYCLE_1)
	s_and_b32 exec_lo, exec_lo, s1
	s_cbranch_execz .LBB75_107
; %bb.102:
	v_cmp_ngt_f32_e64 s1, |v176|, |v177|
                                        ; implicit-def: $vgpr178_vgpr179
	s_and_saveexec_b32 s4, s1
	s_delay_alu instid0(SALU_CYCLE_1)
	s_xor_b32 s1, exec_lo, s4
	s_cbranch_execz .LBB75_104
; %bb.103:
	v_div_scale_f32 v0, null, v177, v177, v176
	v_div_scale_f32 v179, vcc_lo, v176, v177, v176
	s_delay_alu instid0(VALU_DEP_2) | instskip(SKIP_1) | instid1(TRANS32_DEP_1)
	v_rcp_f32_e32 v1, v0
	v_nop
	v_fma_f32 v178, -v0, v1, 1.0
	s_delay_alu instid0(VALU_DEP_1) | instskip(NEXT) | instid1(VALU_DEP_1)
	v_fmac_f32_e32 v1, v178, v1
	v_mul_f32_e32 v178, v179, v1
	s_delay_alu instid0(VALU_DEP_1) | instskip(NEXT) | instid1(VALU_DEP_1)
	v_fma_f32 v180, -v0, v178, v179
	v_fmac_f32_e32 v178, v180, v1
	s_delay_alu instid0(VALU_DEP_1) | instskip(NEXT) | instid1(VALU_DEP_1)
	v_fma_f32 v0, -v0, v178, v179
	v_div_fmas_f32 v0, v0, v1, v178
	s_delay_alu instid0(VALU_DEP_1) | instskip(NEXT) | instid1(VALU_DEP_1)
	v_div_fixup_f32 v0, v0, v177, v176
	v_fmac_f32_e32 v177, v176, v0
	s_delay_alu instid0(VALU_DEP_1) | instskip(SKIP_1) | instid1(VALU_DEP_2)
	v_div_scale_f32 v1, null, v177, v177, 1.0
	v_div_scale_f32 v179, vcc_lo, 1.0, v177, 1.0
	v_rcp_f32_e32 v176, v1
	v_nop
	s_delay_alu instid0(TRANS32_DEP_1) | instskip(NEXT) | instid1(VALU_DEP_1)
	v_fma_f32 v178, -v1, v176, 1.0
	v_fmac_f32_e32 v176, v178, v176
	s_delay_alu instid0(VALU_DEP_1) | instskip(NEXT) | instid1(VALU_DEP_1)
	v_mul_f32_e32 v178, v179, v176
	v_fma_f32 v180, -v1, v178, v179
	s_delay_alu instid0(VALU_DEP_1) | instskip(NEXT) | instid1(VALU_DEP_1)
	v_fmac_f32_e32 v178, v180, v176
	v_fma_f32 v1, -v1, v178, v179
	s_delay_alu instid0(VALU_DEP_1) | instskip(NEXT) | instid1(VALU_DEP_1)
	v_div_fmas_f32 v1, v1, v176, v178
	v_div_fixup_f32 v1, v1, v177, 1.0
                                        ; implicit-def: $vgpr176_vgpr177
	s_delay_alu instid0(VALU_DEP_1)
	v_mul_f32_e32 v178, v0, v1
	v_xor_b32_e32 v179, 0x80000000, v1
.LBB75_104:
	s_and_not1_saveexec_b32 s1, s1
	s_cbranch_execz .LBB75_106
; %bb.105:
	v_div_scale_f32 v0, null, v176, v176, v177
	v_div_scale_f32 v179, vcc_lo, v177, v176, v177
	s_delay_alu instid0(VALU_DEP_2) | instskip(SKIP_1) | instid1(TRANS32_DEP_1)
	v_rcp_f32_e32 v1, v0
	v_nop
	v_fma_f32 v178, -v0, v1, 1.0
	s_delay_alu instid0(VALU_DEP_1) | instskip(NEXT) | instid1(VALU_DEP_1)
	v_fmac_f32_e32 v1, v178, v1
	v_mul_f32_e32 v178, v179, v1
	s_delay_alu instid0(VALU_DEP_1) | instskip(NEXT) | instid1(VALU_DEP_1)
	v_fma_f32 v180, -v0, v178, v179
	v_fmac_f32_e32 v178, v180, v1
	s_delay_alu instid0(VALU_DEP_1) | instskip(NEXT) | instid1(VALU_DEP_1)
	v_fma_f32 v0, -v0, v178, v179
	v_div_fmas_f32 v0, v0, v1, v178
	s_delay_alu instid0(VALU_DEP_1) | instskip(NEXT) | instid1(VALU_DEP_1)
	v_div_fixup_f32 v0, v0, v176, v177
	v_fmac_f32_e32 v176, v177, v0
	s_delay_alu instid0(VALU_DEP_1) | instskip(NEXT) | instid1(VALU_DEP_1)
	v_div_scale_f32 v1, null, v176, v176, 1.0
	v_rcp_f32_e32 v177, v1
	v_nop
	s_delay_alu instid0(TRANS32_DEP_1) | instskip(NEXT) | instid1(VALU_DEP_1)
	v_fma_f32 v178, -v1, v177, 1.0
	v_fmac_f32_e32 v177, v178, v177
	v_div_scale_f32 v178, vcc_lo, 1.0, v176, 1.0
	s_delay_alu instid0(VALU_DEP_1) | instskip(NEXT) | instid1(VALU_DEP_1)
	v_mul_f32_e32 v179, v178, v177
	v_fma_f32 v180, -v1, v179, v178
	s_delay_alu instid0(VALU_DEP_1) | instskip(NEXT) | instid1(VALU_DEP_1)
	v_fmac_f32_e32 v179, v180, v177
	v_fma_f32 v1, -v1, v179, v178
	s_delay_alu instid0(VALU_DEP_1) | instskip(NEXT) | instid1(VALU_DEP_1)
	v_div_fmas_f32 v1, v1, v177, v179
	v_div_fixup_f32 v178, v1, v176, 1.0
	s_delay_alu instid0(VALU_DEP_1)
	v_mul_f32_e64 v179, v0, -v178
.LBB75_106:
	s_or_b32 exec_lo, exec_lo, s1
	ds_store_b64 v231, v[178:179]
.LBB75_107:
	s_or_b32 exec_lo, exec_lo, s2
	s_wait_dscnt 0x0
	s_barrier_signal -1
	s_barrier_wait -1
	ds_load_b64 v[176:177], v231
	s_mov_b32 s1, exec_lo
	v_cmpx_lt_u32_e32 11, v230
	s_cbranch_execz .LBB75_109
; %bb.108:
	ds_load_2addr_b64 v[182:185], v232 offset0:12 offset1:13
	ds_load_2addr_b64 v[186:189], v232 offset0:14 offset1:15
	;; [unrolled: 1-line block ×3, first 2 shown]
	s_wait_dscnt 0x3
	v_pk_mul_f32 v[180:181], v[176:177], v[76:77] op_sel:[1,1] op_sel_hi:[0,1]
	ds_load_2addr_b64 v[194:197], v232 offset0:18 offset1:19
	ds_load_2addr_b64 v[198:201], v232 offset0:20 offset1:21
	v_pk_fma_f32 v[178:179], v[176:177], v[76:77], v[180:181] op_sel_hi:[1,0,1] neg_lo:[0,0,1] neg_hi:[0,0,1]
	v_pk_fma_f32 v[180:181], v[176:177], v[76:77], v[180:181] op_sel_hi:[1,0,1]
	s_delay_alu instid0(VALU_DEP_1) | instskip(SKIP_1) | instid1(VALU_DEP_2)
	v_dual_mov_b32 v76, v178 :: v_dual_mov_b32 v77, v181
	s_wait_dscnt 0x4
	v_pk_mul_f32 v[202:203], v[182:183], v[180:181] op_sel:[0,1]
	v_pk_mul_f32 v[204:205], v[184:185], v[180:181] op_sel:[0,1]
	s_wait_dscnt 0x3
	v_pk_mul_f32 v[206:207], v[186:187], v[180:181] op_sel:[0,1]
	s_wait_dscnt 0x2
	v_pk_mul_f32 v[214:215], v[190:191], v[180:181] op_sel:[0,1]
	v_dual_mov_b32 v208, v189 :: v_dual_mov_b32 v209, v188
	v_pk_fma_f32 v[218:219], v[182:183], v[178:179], v[202:203] op_sel:[0,0,1] op_sel_hi:[1,1,0] neg_lo:[0,0,1] neg_hi:[0,0,1]
	v_pk_fma_f32 v[182:183], v[182:183], v[178:179], v[202:203] op_sel:[0,0,1] op_sel_hi:[1,0,0]
	v_dual_mul_f32 v210, v189, v181 :: v_dual_mul_f32 v212, v189, v178
	v_pk_mul_f32 v[216:217], v[192:193], v[180:181] op_sel:[0,1]
	v_pk_fma_f32 v[202:203], v[184:185], v[178:179], v[204:205] op_sel:[0,0,1] op_sel_hi:[1,1,0] neg_lo:[0,0,1] neg_hi:[0,0,1]
	v_pk_fma_f32 v[184:185], v[184:185], v[178:179], v[204:205] op_sel:[0,0,1] op_sel_hi:[1,0,0]
	v_pk_fma_f32 v[204:205], v[186:187], v[178:179], v[206:207] op_sel:[0,0,1] op_sel_hi:[1,1,0] neg_lo:[0,0,1] neg_hi:[0,0,1]
	v_pk_fma_f32 v[186:187], v[186:187], v[178:179], v[206:207] op_sel:[0,0,1] op_sel_hi:[1,0,0]
	v_mov_b32_e32 v219, v183
	v_pk_fma_f32 v[182:183], v[190:191], v[178:179], v[214:215] op_sel:[0,0,1] op_sel_hi:[1,0,0]
	v_pk_fma_f32 v[206:207], v[208:209], v[76:77], v[212:213] op_sel_hi:[1,1,0]
	v_pk_fma_f32 v[208:209], v[190:191], v[178:179], v[214:215] op_sel:[0,0,1] op_sel_hi:[1,1,0] neg_lo:[0,0,1] neg_hi:[0,0,1]
	v_dual_mov_b32 v203, v185 :: v_dual_mov_b32 v205, v187
	v_pk_fma_f32 v[186:187], v[192:193], v[178:179], v[216:217] op_sel:[0,0,1] op_sel_hi:[1,0,0]
	v_mov_b32_e32 v209, v183
	s_wait_dscnt 0x1
	v_pk_mul_f32 v[190:191], v[194:195], v[180:181] op_sel:[0,1]
	ds_load_2addr_b64 v[182:185], v232 offset0:22 offset1:23
	v_pk_fma_f32 v[188:189], v[188:189], v[76:77], v[210:211] op_sel_hi:[1,1,0] neg_lo:[0,0,1] neg_hi:[0,0,1]
	v_pk_fma_f32 v[192:193], v[192:193], v[178:179], v[216:217] op_sel:[0,0,1] op_sel_hi:[1,1,0] neg_lo:[0,0,1] neg_hi:[0,0,1]
	v_mov_b32_e32 v189, v207
	v_pk_add_f32 v[90:91], v[90:91], v[202:203] neg_lo:[0,1] neg_hi:[0,1]
	v_mov_b32_e32 v193, v187
	v_pk_mul_f32 v[202:203], v[196:197], v[180:181] op_sel:[0,1]
	v_pk_fma_f32 v[186:187], v[194:195], v[178:179], v[190:191] op_sel:[0,0,1] op_sel_hi:[1,0,0]
	v_pk_fma_f32 v[190:191], v[194:195], v[178:179], v[190:191] op_sel:[0,0,1] op_sel_hi:[1,1,0] neg_lo:[0,0,1] neg_hi:[0,0,1]
	v_pk_add_f32 v[88:89], v[88:89], v[188:189] neg_lo:[0,1] neg_hi:[0,1]
	v_pk_add_f32 v[106:107], v[106:107], v[192:193] neg_lo:[0,1] neg_hi:[0,1]
	v_pk_fma_f32 v[192:193], v[196:197], v[178:179], v[202:203] op_sel:[0,0,1] op_sel_hi:[1,0,0]
	v_mov_b32_e32 v191, v187
	ds_load_2addr_b64 v[186:189], v232 offset0:24 offset1:25
	v_pk_fma_f32 v[194:195], v[196:197], v[178:179], v[202:203] op_sel:[0,0,1] op_sel_hi:[1,1,0] neg_lo:[0,0,1] neg_hi:[0,0,1]
	s_wait_dscnt 0x2
	v_dual_mul_f32 v192, v199, v178 :: v_dual_mov_b32 v195, v193
	v_pk_mul_f32 v[196:197], v[200:201], v[180:181] op_sel:[0,1]
	v_pk_add_f32 v[86:87], v[86:87], v[190:191] neg_lo:[0,1] neg_hi:[0,1]
	v_mul_f32_e32 v190, v199, v181
	s_delay_alu instid0(VALU_DEP_4)
	v_pk_fma_f32 v[192:193], v[198:199], v[76:77], v[192:193] op_sel:[1,0,0] op_sel_hi:[0,1,0]
	v_pk_add_f32 v[104:105], v[104:105], v[194:195] neg_lo:[0,1] neg_hi:[0,1]
	s_wait_dscnt 0x1
	v_pk_mul_f32 v[194:195], v[182:183], v[180:181] op_sel:[0,1]
	v_pk_fma_f32 v[202:203], v[200:201], v[178:179], v[196:197] op_sel:[0,0,1] op_sel_hi:[1,0,0]
	v_pk_fma_f32 v[198:199], v[198:199], v[76:77], v[190:191] op_sel_hi:[1,1,0] neg_lo:[0,0,1] neg_hi:[0,0,1]
	v_pk_fma_f32 v[196:197], v[200:201], v[178:179], v[196:197] op_sel:[0,0,1] op_sel_hi:[1,1,0] neg_lo:[0,0,1] neg_hi:[0,0,1]
	v_mov_b32_e32 v199, v193
	v_pk_fma_f32 v[200:201], v[182:183], v[178:179], v[194:195] op_sel:[0,0,1] op_sel_hi:[1,0,0]
	v_mov_b32_e32 v197, v203
	v_pk_fma_f32 v[182:183], v[182:183], v[178:179], v[194:195] op_sel:[0,0,1] op_sel_hi:[1,1,0] neg_lo:[0,0,1] neg_hi:[0,0,1]
	v_pk_mul_f32 v[194:195], v[184:185], v[180:181] op_sel:[0,1]
	ds_load_2addr_b64 v[190:193], v232 offset0:26 offset1:27
	v_pk_add_f32 v[130:131], v[130:131], v[198:199] neg_lo:[0,1] neg_hi:[0,1]
	v_pk_add_f32 v[128:129], v[128:129], v[196:197] neg_lo:[0,1] neg_hi:[0,1]
	;; [unrolled: 1-line block ×3, first 2 shown]
	v_pk_fma_f32 v[196:197], v[184:185], v[178:179], v[194:195] op_sel:[0,0,1] op_sel_hi:[1,0,0]
	v_mov_b32_e32 v183, v201
	s_wait_dscnt 0x1
	v_pk_mul_f32 v[200:201], v[186:187], v[180:181] op_sel:[0,1]
	v_pk_fma_f32 v[194:195], v[184:185], v[178:179], v[194:195] op_sel:[0,0,1] op_sel_hi:[1,1,0] neg_lo:[0,0,1] neg_hi:[0,0,1]
	v_dual_mov_b32 v196, v189 :: v_dual_mov_b32 v195, v197
	v_pk_add_f32 v[102:103], v[102:103], v[182:183] neg_lo:[0,1] neg_hi:[0,1]
	s_delay_alu instid0(VALU_DEP_4)
	v_pk_fma_f32 v[198:199], v[186:187], v[178:179], v[200:201] op_sel:[0,0,1] op_sel_hi:[1,0,0]
	ds_load_2addr_b64 v[182:185], v232 offset0:28 offset1:29
	v_pk_fma_f32 v[186:187], v[186:187], v[178:179], v[200:201] op_sel:[0,0,1] op_sel_hi:[1,1,0] neg_lo:[0,0,1] neg_hi:[0,0,1]
	v_dual_mov_b32 v197, v188 :: v_dual_mul_f32 v198, v189, v178
	v_mov_b32_e32 v187, v199
	v_pk_add_f32 v[126:127], v[126:127], v[194:195] neg_lo:[0,1] neg_hi:[0,1]
	v_pk_add_f32 v[92:93], v[92:93], v[218:219] neg_lo:[0,1] neg_hi:[0,1]
	;; [unrolled: 1-line block ×3, first 2 shown]
	v_pk_fma_f32 v[194:195], v[196:197], v[76:77], v[198:199] op_sel_hi:[1,1,0]
	v_mul_f32_e32 v200, v189, v181
	s_wait_dscnt 0x1
	v_pk_mul_f32 v[202:203], v[190:191], v[180:181] op_sel:[0,1]
	v_pk_add_f32 v[144:145], v[144:145], v[186:187] neg_lo:[0,1] neg_hi:[0,1]
	s_delay_alu instid0(VALU_DEP_3)
	v_pk_fma_f32 v[198:199], v[188:189], v[76:77], v[200:201] op_sel_hi:[1,1,0] neg_lo:[0,0,1] neg_hi:[0,0,1]
	v_pk_mul_f32 v[200:201], v[192:193], v[180:181] op_sel:[0,1]
	ds_load_2addr_b64 v[186:189], v232 offset0:30 offset1:31
	v_pk_fma_f32 v[196:197], v[190:191], v[178:179], v[202:203] op_sel:[0,0,1] op_sel_hi:[1,0,0]
	v_pk_fma_f32 v[190:191], v[190:191], v[178:179], v[202:203] op_sel:[0,0,1] op_sel_hi:[1,1,0] neg_lo:[0,0,1] neg_hi:[0,0,1]
	v_mov_b32_e32 v199, v195
	v_pk_fma_f32 v[202:203], v[192:193], v[178:179], v[200:201] op_sel:[0,0,1] op_sel_hi:[1,0,0]
	s_wait_dscnt 0x1
	v_pk_mul_f32 v[204:205], v[182:183], v[180:181] op_sel:[0,1]
	v_pk_fma_f32 v[192:193], v[192:193], v[178:179], v[200:201] op_sel:[0,0,1] op_sel_hi:[1,1,0] neg_lo:[0,0,1] neg_hi:[0,0,1]
	v_mov_b32_e32 v191, v197
	ds_load_2addr_b64 v[194:197], v232 offset0:32 offset1:33
	v_mov_b32_e32 v193, v203
	v_pk_mul_f32 v[200:201], v[184:185], v[180:181] op_sel:[0,1]
	v_pk_add_f32 v[142:143], v[142:143], v[198:199] neg_lo:[0,1] neg_hi:[0,1]
	v_pk_fma_f32 v[198:199], v[182:183], v[178:179], v[204:205] op_sel:[0,0,1] op_sel_hi:[1,0,0]
	v_pk_add_f32 v[150:151], v[150:151], v[190:191] neg_lo:[0,1] neg_hi:[0,1]
	v_pk_add_f32 v[140:141], v[140:141], v[192:193] neg_lo:[0,1] neg_hi:[0,1]
	v_pk_fma_f32 v[192:193], v[182:183], v[178:179], v[204:205] op_sel:[0,0,1] op_sel_hi:[1,1,0] neg_lo:[0,0,1] neg_hi:[0,0,1]
	v_pk_fma_f32 v[190:191], v[184:185], v[178:179], v[200:201] op_sel:[0,0,1] op_sel_hi:[1,0,0]
	v_mov_b32_e32 v193, v199
	v_pk_fma_f32 v[198:199], v[184:185], v[178:179], v[200:201] op_sel:[0,0,1] op_sel_hi:[1,1,0] neg_lo:[0,0,1] neg_hi:[0,0,1]
	ds_load_2addr_b64 v[182:185], v232 offset0:34 offset1:35
	s_wait_dscnt 0x2
	v_mul_f32_e32 v190, v187, v178
	v_mov_b32_e32 v199, v191
	v_pk_add_f32 v[148:149], v[148:149], v[192:193] neg_lo:[0,1] neg_hi:[0,1]
	v_mul_f32_e32 v192, v187, v181
	v_pk_mul_f32 v[200:201], v[188:189], v[180:181] op_sel:[0,1]
	s_delay_alu instid0(VALU_DEP_4) | instskip(SKIP_1) | instid1(VALU_DEP_4)
	v_pk_add_f32 v[114:115], v[114:115], v[198:199] neg_lo:[0,1] neg_hi:[0,1]
	v_pk_fma_f32 v[198:199], v[186:187], v[76:77], v[190:191] op_sel:[1,0,0] op_sel_hi:[0,1,0]
	v_pk_fma_f32 v[186:187], v[186:187], v[76:77], v[192:193] op_sel_hi:[1,1,0] neg_lo:[0,0,1] neg_hi:[0,0,1]
	ds_load_2addr_b64 v[190:193], v232 offset0:36 offset1:37
	s_wait_dscnt 0x2
	v_pk_mul_f32 v[202:203], v[194:195], v[180:181] op_sel:[0,1]
	v_pk_fma_f32 v[204:205], v[188:189], v[178:179], v[200:201] op_sel:[0,0,1] op_sel_hi:[1,0,0]
	v_mov_b32_e32 v187, v199
	v_pk_fma_f32 v[188:189], v[188:189], v[178:179], v[200:201] op_sel:[0,0,1] op_sel_hi:[1,1,0] neg_lo:[0,0,1] neg_hi:[0,0,1]
	v_pk_mul_f32 v[200:201], v[196:197], v[180:181] op_sel:[0,1]
	v_pk_fma_f32 v[198:199], v[194:195], v[178:179], v[202:203] op_sel:[0,0,1] op_sel_hi:[1,0,0]
	v_mov_b32_e32 v189, v205
	v_pk_fma_f32 v[194:195], v[194:195], v[178:179], v[202:203] op_sel:[0,0,1] op_sel_hi:[1,1,0] neg_lo:[0,0,1] neg_hi:[0,0,1]
	v_pk_add_f32 v[116:117], v[116:117], v[186:187] neg_lo:[0,1] neg_hi:[0,1]
	v_pk_fma_f32 v[186:187], v[196:197], v[178:179], v[200:201] op_sel:[0,0,1] op_sel_hi:[1,0,0]
	v_mov_b32_e32 v195, v199
	s_wait_dscnt 0x1
	v_pk_mul_f32 v[198:199], v[182:183], v[180:181] op_sel:[0,1]
	v_pk_add_f32 v[112:113], v[112:113], v[188:189] neg_lo:[0,1] neg_hi:[0,1]
	v_pk_fma_f32 v[188:189], v[196:197], v[178:179], v[200:201] op_sel:[0,0,1] op_sel_hi:[1,1,0] neg_lo:[0,0,1] neg_hi:[0,0,1]
	v_mov_b32_e32 v189, v187
	v_pk_add_f32 v[134:135], v[134:135], v[194:195] neg_lo:[0,1] neg_hi:[0,1]
	v_pk_fma_f32 v[186:187], v[182:183], v[178:179], v[198:199] op_sel:[0,0,1] op_sel_hi:[1,1,0] neg_lo:[0,0,1] neg_hi:[0,0,1]
	v_pk_fma_f32 v[182:183], v[182:183], v[178:179], v[198:199] op_sel:[0,0,1] op_sel_hi:[1,0,0]
	v_dual_mov_b32 v194, v185 :: v_dual_mov_b32 v195, v184
	v_dual_mul_f32 v196, v185, v178 :: v_dual_mul_f32 v182, v185, v181
	s_wait_dscnt 0x0
	v_pk_mul_f32 v[198:199], v[190:191], v[180:181] op_sel:[0,1]
	v_pk_mul_f32 v[180:181], v[192:193], v[180:181] op_sel:[0,1]
	v_pk_add_f32 v[132:133], v[132:133], v[188:189] neg_lo:[0,1] neg_hi:[0,1]
	v_pk_fma_f32 v[194:195], v[194:195], v[76:77], v[196:197] op_sel_hi:[1,1,0]
	v_mov_b32_e32 v187, v183
	v_pk_fma_f32 v[196:197], v[190:191], v[178:179], v[198:199] op_sel:[0,0,1] op_sel_hi:[1,0,0]
	v_pk_fma_f32 v[182:183], v[184:185], v[76:77], v[182:183] op_sel_hi:[1,1,0] neg_lo:[0,0,1] neg_hi:[0,0,1]
	v_pk_fma_f32 v[184:185], v[192:193], v[178:179], v[180:181] op_sel:[0,0,1] op_sel_hi:[1,0,0]
	v_pk_fma_f32 v[190:191], v[190:191], v[178:179], v[198:199] op_sel:[0,0,1] op_sel_hi:[1,1,0] neg_lo:[0,0,1] neg_hi:[0,0,1]
	v_pk_fma_f32 v[178:179], v[192:193], v[178:179], v[180:181] op_sel:[0,0,1] op_sel_hi:[1,1,0] neg_lo:[0,0,1] neg_hi:[0,0,1]
	v_dual_mov_b32 v183, v195 :: v_dual_mov_b32 v191, v197
	s_delay_alu instid0(VALU_DEP_4) | instskip(SKIP_1) | instid1(VALU_DEP_3)
	v_mov_b32_e32 v179, v185
	v_pk_add_f32 v[146:147], v[146:147], v[186:187] neg_lo:[0,1] neg_hi:[0,1]
	v_pk_add_f32 v[138:139], v[138:139], v[182:183] neg_lo:[0,1] neg_hi:[0,1]
	s_delay_alu instid0(VALU_DEP_4) | instskip(NEXT) | instid1(VALU_DEP_4)
	v_pk_add_f32 v[136:137], v[136:137], v[190:191] neg_lo:[0,1] neg_hi:[0,1]
	v_pk_add_f32 v[152:153], v[152:153], v[178:179] neg_lo:[0,1] neg_hi:[0,1]
.LBB75_109:
	s_or_b32 exec_lo, exec_lo, s1
	s_delay_alu instid0(SALU_CYCLE_1)
	s_mov_b32 s2, exec_lo
	s_wait_dscnt 0x0
	s_barrier_signal -1
	s_barrier_wait -1
	v_cmpx_eq_u32_e32 12, v230
	s_cbranch_execz .LBB75_116
; %bb.110:
	ds_store_b64 v231, v[92:93]
	ds_store_2addr_b64 v232, v[90:91], v[74:75] offset0:13 offset1:14
	ds_store_2addr_b64 v232, v[88:89], v[108:109] offset0:15 offset1:16
	;; [unrolled: 1-line block ×12, first 2 shown]
	ds_store_b64 v232, v[152:153] offset:296
	ds_load_b64 v[178:179], v231
	s_wait_dscnt 0x0
	v_cmp_neq_f32_e32 vcc_lo, 0, v178
	v_cmp_neq_f32_e64 s1, 0, v179
	s_or_b32 s1, vcc_lo, s1
	s_delay_alu instid0(SALU_CYCLE_1)
	s_and_b32 exec_lo, exec_lo, s1
	s_cbranch_execz .LBB75_116
; %bb.111:
	v_cmp_ngt_f32_e64 s1, |v178|, |v179|
                                        ; implicit-def: $vgpr180_vgpr181
	s_and_saveexec_b32 s4, s1
	s_delay_alu instid0(SALU_CYCLE_1)
	s_xor_b32 s1, exec_lo, s4
	s_cbranch_execz .LBB75_113
; %bb.112:
	v_div_scale_f32 v0, null, v179, v179, v178
	v_div_scale_f32 v181, vcc_lo, v178, v179, v178
	s_delay_alu instid0(VALU_DEP_2) | instskip(SKIP_1) | instid1(TRANS32_DEP_1)
	v_rcp_f32_e32 v1, v0
	v_nop
	v_fma_f32 v180, -v0, v1, 1.0
	s_delay_alu instid0(VALU_DEP_1) | instskip(NEXT) | instid1(VALU_DEP_1)
	v_fmac_f32_e32 v1, v180, v1
	v_mul_f32_e32 v180, v181, v1
	s_delay_alu instid0(VALU_DEP_1) | instskip(NEXT) | instid1(VALU_DEP_1)
	v_fma_f32 v182, -v0, v180, v181
	v_fmac_f32_e32 v180, v182, v1
	s_delay_alu instid0(VALU_DEP_1) | instskip(NEXT) | instid1(VALU_DEP_1)
	v_fma_f32 v0, -v0, v180, v181
	v_div_fmas_f32 v0, v0, v1, v180
	s_delay_alu instid0(VALU_DEP_1) | instskip(NEXT) | instid1(VALU_DEP_1)
	v_div_fixup_f32 v0, v0, v179, v178
	v_fmac_f32_e32 v179, v178, v0
	s_delay_alu instid0(VALU_DEP_1) | instskip(SKIP_1) | instid1(VALU_DEP_2)
	v_div_scale_f32 v1, null, v179, v179, 1.0
	v_div_scale_f32 v181, vcc_lo, 1.0, v179, 1.0
	v_rcp_f32_e32 v178, v1
	v_nop
	s_delay_alu instid0(TRANS32_DEP_1) | instskip(NEXT) | instid1(VALU_DEP_1)
	v_fma_f32 v180, -v1, v178, 1.0
	v_fmac_f32_e32 v178, v180, v178
	s_delay_alu instid0(VALU_DEP_1) | instskip(NEXT) | instid1(VALU_DEP_1)
	v_mul_f32_e32 v180, v181, v178
	v_fma_f32 v182, -v1, v180, v181
	s_delay_alu instid0(VALU_DEP_1) | instskip(NEXT) | instid1(VALU_DEP_1)
	v_fmac_f32_e32 v180, v182, v178
	v_fma_f32 v1, -v1, v180, v181
	s_delay_alu instid0(VALU_DEP_1) | instskip(NEXT) | instid1(VALU_DEP_1)
	v_div_fmas_f32 v1, v1, v178, v180
	v_div_fixup_f32 v1, v1, v179, 1.0
                                        ; implicit-def: $vgpr178_vgpr179
	s_delay_alu instid0(VALU_DEP_1)
	v_mul_f32_e32 v180, v0, v1
	v_xor_b32_e32 v181, 0x80000000, v1
.LBB75_113:
	s_and_not1_saveexec_b32 s1, s1
	s_cbranch_execz .LBB75_115
; %bb.114:
	v_div_scale_f32 v0, null, v178, v178, v179
	v_div_scale_f32 v181, vcc_lo, v179, v178, v179
	s_delay_alu instid0(VALU_DEP_2) | instskip(SKIP_1) | instid1(TRANS32_DEP_1)
	v_rcp_f32_e32 v1, v0
	v_nop
	v_fma_f32 v180, -v0, v1, 1.0
	s_delay_alu instid0(VALU_DEP_1) | instskip(NEXT) | instid1(VALU_DEP_1)
	v_fmac_f32_e32 v1, v180, v1
	v_mul_f32_e32 v180, v181, v1
	s_delay_alu instid0(VALU_DEP_1) | instskip(NEXT) | instid1(VALU_DEP_1)
	v_fma_f32 v182, -v0, v180, v181
	v_fmac_f32_e32 v180, v182, v1
	s_delay_alu instid0(VALU_DEP_1) | instskip(NEXT) | instid1(VALU_DEP_1)
	v_fma_f32 v0, -v0, v180, v181
	v_div_fmas_f32 v0, v0, v1, v180
	s_delay_alu instid0(VALU_DEP_1) | instskip(NEXT) | instid1(VALU_DEP_1)
	v_div_fixup_f32 v0, v0, v178, v179
	v_fmac_f32_e32 v178, v179, v0
	s_delay_alu instid0(VALU_DEP_1) | instskip(NEXT) | instid1(VALU_DEP_1)
	v_div_scale_f32 v1, null, v178, v178, 1.0
	v_rcp_f32_e32 v179, v1
	v_nop
	s_delay_alu instid0(TRANS32_DEP_1) | instskip(NEXT) | instid1(VALU_DEP_1)
	v_fma_f32 v180, -v1, v179, 1.0
	v_fmac_f32_e32 v179, v180, v179
	v_div_scale_f32 v180, vcc_lo, 1.0, v178, 1.0
	s_delay_alu instid0(VALU_DEP_1) | instskip(NEXT) | instid1(VALU_DEP_1)
	v_mul_f32_e32 v181, v180, v179
	v_fma_f32 v182, -v1, v181, v180
	s_delay_alu instid0(VALU_DEP_1) | instskip(NEXT) | instid1(VALU_DEP_1)
	v_fmac_f32_e32 v181, v182, v179
	v_fma_f32 v1, -v1, v181, v180
	s_delay_alu instid0(VALU_DEP_1) | instskip(NEXT) | instid1(VALU_DEP_1)
	v_div_fmas_f32 v1, v1, v179, v181
	v_div_fixup_f32 v180, v1, v178, 1.0
	s_delay_alu instid0(VALU_DEP_1)
	v_mul_f32_e64 v181, v0, -v180
.LBB75_115:
	s_or_b32 exec_lo, exec_lo, s1
	ds_store_b64 v231, v[180:181]
.LBB75_116:
	s_or_b32 exec_lo, exec_lo, s2
	s_wait_dscnt 0x0
	s_barrier_signal -1
	s_barrier_wait -1
	ds_load_b64 v[178:179], v231
	s_mov_b32 s1, exec_lo
	v_cmpx_lt_u32_e32 12, v230
	s_cbranch_execz .LBB75_118
; %bb.117:
	ds_load_2addr_b64 v[184:187], v232 offset0:13 offset1:14
	ds_load_2addr_b64 v[188:191], v232 offset0:15 offset1:16
	;; [unrolled: 1-line block ×3, first 2 shown]
	s_wait_dscnt 0x3
	v_pk_mul_f32 v[182:183], v[178:179], v[92:93] op_sel:[1,1] op_sel_hi:[0,1]
	ds_load_2addr_b64 v[196:199], v232 offset0:19 offset1:20
	ds_load_2addr_b64 v[200:203], v232 offset0:21 offset1:22
	v_pk_fma_f32 v[180:181], v[178:179], v[92:93], v[182:183] op_sel_hi:[1,0,1] neg_lo:[0,0,1] neg_hi:[0,0,1]
	v_pk_fma_f32 v[182:183], v[178:179], v[92:93], v[182:183] op_sel_hi:[1,0,1]
	s_delay_alu instid0(VALU_DEP_1) | instskip(SKIP_1) | instid1(VALU_DEP_2)
	v_dual_mov_b32 v92, v180 :: v_dual_mov_b32 v93, v183
	s_wait_dscnt 0x4
	v_pk_mul_f32 v[204:205], v[184:185], v[182:183] op_sel:[0,1]
	v_pk_mul_f32 v[206:207], v[186:187], v[182:183] op_sel:[0,1]
	s_wait_dscnt 0x3
	v_pk_mul_f32 v[208:209], v[188:189], v[182:183] op_sel:[0,1]
	v_dual_mov_b32 v210, v191 :: v_dual_mov_b32 v211, v190
	v_dual_mul_f32 v212, v191, v183 :: v_dual_mul_f32 v214, v191, v180
	s_wait_dscnt 0x2
	v_pk_mul_f32 v[216:217], v[192:193], v[182:183] op_sel:[0,1]
	v_pk_mul_f32 v[218:219], v[194:195], v[182:183] op_sel:[0,1]
	v_pk_fma_f32 v[220:221], v[184:185], v[180:181], v[204:205] op_sel:[0,0,1] op_sel_hi:[1,1,0] neg_lo:[0,0,1] neg_hi:[0,0,1]
	v_pk_fma_f32 v[184:185], v[184:185], v[180:181], v[204:205] op_sel:[0,0,1] op_sel_hi:[1,0,0]
	v_pk_fma_f32 v[204:205], v[186:187], v[180:181], v[206:207] op_sel:[0,0,1] op_sel_hi:[1,1,0] neg_lo:[0,0,1] neg_hi:[0,0,1]
	v_pk_fma_f32 v[186:187], v[186:187], v[180:181], v[206:207] op_sel:[0,0,1] op_sel_hi:[1,0,0]
	;; [unrolled: 2-line block ×3, first 2 shown]
	v_pk_fma_f32 v[208:209], v[210:211], v[92:93], v[214:215] op_sel_hi:[1,1,0]
	v_pk_fma_f32 v[210:211], v[192:193], v[180:181], v[216:217] op_sel:[0,0,1] op_sel_hi:[1,0,0]
	v_dual_mov_b32 v221, v185 :: v_dual_mov_b32 v205, v187
	v_pk_fma_f32 v[184:185], v[194:195], v[180:181], v[218:219] op_sel:[0,0,1] op_sel_hi:[1,0,0]
	v_pk_fma_f32 v[190:191], v[190:191], v[92:93], v[212:213] op_sel_hi:[1,1,0] neg_lo:[0,0,1] neg_hi:[0,0,1]
	v_dual_mov_b32 v207, v189 :: v_dual_mov_b32 v191, v209
	v_pk_fma_f32 v[188:189], v[192:193], v[180:181], v[216:217] op_sel:[0,0,1] op_sel_hi:[1,1,0] neg_lo:[0,0,1] neg_hi:[0,0,1]
	v_pk_fma_f32 v[192:193], v[194:195], v[180:181], v[218:219] op_sel:[0,0,1] op_sel_hi:[1,1,0] neg_lo:[0,0,1] neg_hi:[0,0,1]
	v_dual_mov_b32 v189, v211 :: v_dual_mov_b32 v193, v185
	ds_load_2addr_b64 v[184:187], v232 offset0:23 offset1:24
	v_pk_add_f32 v[74:75], v[74:75], v[204:205] neg_lo:[0,1] neg_hi:[0,1]
	s_wait_dscnt 0x2
	v_pk_mul_f32 v[194:195], v[196:197], v[182:183] op_sel:[0,1]
	v_pk_add_f32 v[108:109], v[108:109], v[190:191] neg_lo:[0,1] neg_hi:[0,1]
	v_pk_add_f32 v[106:107], v[106:107], v[188:189] neg_lo:[0,1] neg_hi:[0,1]
	v_pk_mul_f32 v[204:205], v[198:199], v[182:183] op_sel:[0,1]
	ds_load_2addr_b64 v[188:191], v232 offset0:25 offset1:26
	v_pk_add_f32 v[88:89], v[88:89], v[206:207] neg_lo:[0,1] neg_hi:[0,1]
	v_pk_add_f32 v[86:87], v[86:87], v[192:193] neg_lo:[0,1] neg_hi:[0,1]
	v_pk_fma_f32 v[192:193], v[196:197], v[180:181], v[194:195] op_sel:[0,0,1] op_sel_hi:[1,1,0] neg_lo:[0,0,1] neg_hi:[0,0,1]
	s_wait_dscnt 0x2
	v_mul_f32_e32 v206, v201, v180
	v_pk_fma_f32 v[194:195], v[196:197], v[180:181], v[194:195] op_sel:[0,0,1] op_sel_hi:[1,0,0]
	v_pk_fma_f32 v[196:197], v[198:199], v[180:181], v[204:205] op_sel:[0,0,1] op_sel_hi:[1,0,0]
	v_mul_f32_e32 v194, v201, v183
	v_pk_fma_f32 v[198:199], v[198:199], v[180:181], v[204:205] op_sel:[0,0,1] op_sel_hi:[1,1,0] neg_lo:[0,0,1] neg_hi:[0,0,1]
	v_pk_fma_f32 v[206:207], v[200:201], v[92:93], v[206:207] op_sel:[1,0,0] op_sel_hi:[0,1,0]
	s_delay_alu instid0(VALU_DEP_4)
	v_dual_mov_b32 v193, v195 :: v_dual_mov_b32 v199, v197
	v_pk_mul_f32 v[196:197], v[202:203], v[182:183] op_sel:[0,1]
	v_pk_fma_f32 v[194:195], v[200:201], v[92:93], v[194:195] op_sel_hi:[1,1,0] neg_lo:[0,0,1] neg_hi:[0,0,1]
	s_wait_dscnt 0x1
	v_pk_mul_f32 v[200:201], v[184:185], v[182:183] op_sel:[0,1]
	v_pk_add_f32 v[104:105], v[104:105], v[192:193] neg_lo:[0,1] neg_hi:[0,1]
	v_pk_add_f32 v[130:131], v[130:131], v[198:199] neg_lo:[0,1] neg_hi:[0,1]
	v_pk_fma_f32 v[198:199], v[202:203], v[180:181], v[196:197] op_sel:[0,0,1] op_sel_hi:[1,0,0]
	v_mov_b32_e32 v195, v207
	v_pk_fma_f32 v[202:203], v[202:203], v[180:181], v[196:197] op_sel:[0,0,1] op_sel_hi:[1,1,0] neg_lo:[0,0,1] neg_hi:[0,0,1]
	v_pk_fma_f32 v[196:197], v[184:185], v[180:181], v[200:201] op_sel:[0,0,1] op_sel_hi:[1,0,0]
	v_pk_fma_f32 v[184:185], v[184:185], v[180:181], v[200:201] op_sel:[0,0,1] op_sel_hi:[1,1,0] neg_lo:[0,0,1] neg_hi:[0,0,1]
	v_mov_b32_e32 v203, v199
	v_pk_add_f32 v[128:129], v[128:129], v[194:195] neg_lo:[0,1] neg_hi:[0,1]
	ds_load_2addr_b64 v[192:195], v232 offset0:27 offset1:28
	s_wait_dscnt 0x1
	v_pk_mul_f32 v[200:201], v[188:189], v[182:183] op_sel:[0,1]
	v_pk_mul_f32 v[204:205], v[186:187], v[182:183] op_sel:[0,1]
	v_pk_add_f32 v[102:103], v[102:103], v[202:203] neg_lo:[0,1] neg_hi:[0,1]
	v_pk_add_f32 v[90:91], v[90:91], v[220:221] neg_lo:[0,1] neg_hi:[0,1]
	s_delay_alu instid0(VALU_DEP_4)
	v_pk_fma_f32 v[202:203], v[188:189], v[180:181], v[200:201] op_sel:[0,0,1] op_sel_hi:[1,0,0]
	v_mov_b32_e32 v185, v197
	ds_load_2addr_b64 v[196:199], v232 offset0:29 offset1:30
	v_pk_fma_f32 v[206:207], v[186:187], v[180:181], v[204:205] op_sel:[0,0,1] op_sel_hi:[1,0,0]
	v_mul_f32_e32 v202, v191, v180
	v_pk_add_f32 v[126:127], v[126:127], v[184:185] neg_lo:[0,1] neg_hi:[0,1]
	v_pk_fma_f32 v[184:185], v[186:187], v[180:181], v[204:205] op_sel:[0,0,1] op_sel_hi:[1,1,0] neg_lo:[0,0,1] neg_hi:[0,0,1]
	v_pk_fma_f32 v[186:187], v[188:189], v[180:181], v[200:201] op_sel:[0,0,1] op_sel_hi:[1,1,0] neg_lo:[0,0,1] neg_hi:[0,0,1]
	v_dual_mov_b32 v185, v207 :: v_dual_mov_b32 v188, v191
	v_dual_mov_b32 v187, v203 :: v_dual_mov_b32 v189, v190
	v_mul_f32_e32 v200, v191, v183
	s_wait_dscnt 0x1
	v_pk_mul_f32 v[204:205], v[192:193], v[182:183] op_sel:[0,1]
	v_pk_add_f32 v[144:145], v[144:145], v[184:185] neg_lo:[0,1] neg_hi:[0,1]
	v_pk_add_f32 v[142:143], v[142:143], v[186:187] neg_lo:[0,1] neg_hi:[0,1]
	ds_load_2addr_b64 v[184:187], v232 offset0:31 offset1:32
	v_pk_fma_f32 v[200:201], v[190:191], v[92:93], v[200:201] op_sel_hi:[1,1,0] neg_lo:[0,0,1] neg_hi:[0,0,1]
	v_pk_fma_f32 v[188:189], v[188:189], v[92:93], v[202:203] op_sel_hi:[1,1,0]
	v_pk_mul_f32 v[190:191], v[194:195], v[182:183] op_sel:[0,1]
	v_pk_fma_f32 v[202:203], v[192:193], v[180:181], v[204:205] op_sel:[0,0,1] op_sel_hi:[1,0,0]
	s_wait_dscnt 0x1
	v_pk_mul_f32 v[206:207], v[196:197], v[182:183] op_sel:[0,1]
	v_pk_fma_f32 v[192:193], v[192:193], v[180:181], v[204:205] op_sel:[0,0,1] op_sel_hi:[1,1,0] neg_lo:[0,0,1] neg_hi:[0,0,1]
	v_mov_b32_e32 v201, v189
	v_pk_fma_f32 v[204:205], v[194:195], v[180:181], v[190:191] op_sel:[0,0,1] op_sel_hi:[1,0,0]
	v_pk_fma_f32 v[194:195], v[194:195], v[180:181], v[190:191] op_sel:[0,0,1] op_sel_hi:[1,1,0] neg_lo:[0,0,1] neg_hi:[0,0,1]
	ds_load_2addr_b64 v[188:191], v232 offset0:33 offset1:34
	v_mov_b32_e32 v193, v203
	v_pk_fma_f32 v[202:203], v[196:197], v[180:181], v[206:207] op_sel:[0,0,1] op_sel_hi:[1,0,0]
	v_mov_b32_e32 v195, v205
	v_pk_fma_f32 v[196:197], v[196:197], v[180:181], v[206:207] op_sel:[0,0,1] op_sel_hi:[1,1,0] neg_lo:[0,0,1] neg_hi:[0,0,1]
	ds_load_b64 v[206:207], v232 offset:296
	v_pk_add_f32 v[140:141], v[140:141], v[192:193] neg_lo:[0,1] neg_hi:[0,1]
	v_mov_b32_e32 v197, v203
	v_pk_mul_f32 v[202:203], v[198:199], v[182:183] op_sel:[0,1]
	v_pk_add_f32 v[148:149], v[148:149], v[194:195] neg_lo:[0,1] neg_hi:[0,1]
	ds_load_2addr_b64 v[192:195], v232 offset0:35 offset1:36
	v_pk_add_f32 v[150:151], v[150:151], v[200:201] neg_lo:[0,1] neg_hi:[0,1]
	v_pk_add_f32 v[114:115], v[114:115], v[196:197] neg_lo:[0,1] neg_hi:[0,1]
	v_pk_fma_f32 v[196:197], v[198:199], v[180:181], v[202:203] op_sel:[0,0,1] op_sel_hi:[1,1,0] neg_lo:[0,0,1] neg_hi:[0,0,1]
	v_pk_fma_f32 v[198:199], v[198:199], v[180:181], v[202:203] op_sel:[0,0,1] op_sel_hi:[1,0,0]
	s_wait_dscnt 0x3
	v_mul_f32_e32 v198, v185, v180
	v_pk_mul_f32 v[200:201], v[186:187], v[182:183] op_sel:[0,1]
	s_delay_alu instid0(VALU_DEP_3) | instskip(NEXT) | instid1(VALU_DEP_3)
	v_dual_mul_f32 v202, v185, v183 :: v_dual_mov_b32 v197, v199
	v_pk_fma_f32 v[198:199], v[184:185], v[92:93], v[198:199] op_sel:[1,0,0] op_sel_hi:[0,1,0]
	s_delay_alu instid0(VALU_DEP_3) | instskip(NEXT) | instid1(VALU_DEP_3)
	v_pk_fma_f32 v[204:205], v[186:187], v[180:181], v[200:201] op_sel:[0,0,1] op_sel_hi:[1,0,0]
	v_pk_fma_f32 v[184:185], v[184:185], v[92:93], v[202:203] op_sel_hi:[1,1,0] neg_lo:[0,0,1] neg_hi:[0,0,1]
	s_wait_dscnt 0x2
	v_pk_mul_f32 v[202:203], v[188:189], v[182:183] op_sel:[0,1]
	v_pk_fma_f32 v[186:187], v[186:187], v[180:181], v[200:201] op_sel:[0,0,1] op_sel_hi:[1,1,0] neg_lo:[0,0,1] neg_hi:[0,0,1]
	v_dual_mov_b32 v185, v199 :: v_dual_mov_b32 v187, v205
	v_pk_mul_f32 v[198:199], v[190:191], v[182:183] op_sel:[0,1]
	v_pk_add_f32 v[116:117], v[116:117], v[196:197] neg_lo:[0,1] neg_hi:[0,1]
	v_pk_fma_f32 v[196:197], v[188:189], v[180:181], v[202:203] op_sel:[0,0,1] op_sel_hi:[1,0,0]
	s_delay_alu instid0(VALU_DEP_4)
	v_pk_add_f32 v[112:113], v[112:113], v[184:185] neg_lo:[0,1] neg_hi:[0,1]
	v_pk_fma_f32 v[184:185], v[188:189], v[180:181], v[202:203] op_sel:[0,0,1] op_sel_hi:[1,1,0] neg_lo:[0,0,1] neg_hi:[0,0,1]
	v_pk_fma_f32 v[188:189], v[190:191], v[180:181], v[198:199] op_sel:[0,0,1] op_sel_hi:[1,0,0]
	v_pk_add_f32 v[134:135], v[134:135], v[186:187] neg_lo:[0,1] neg_hi:[0,1]
	s_wait_dscnt 0x0
	v_dual_mov_b32 v185, v197 :: v_dual_mov_b32 v196, v195
	v_pk_fma_f32 v[186:187], v[190:191], v[180:181], v[198:199] op_sel:[0,0,1] op_sel_hi:[1,1,0] neg_lo:[0,0,1] neg_hi:[0,0,1]
	v_pk_mul_f32 v[190:191], v[192:193], v[182:183] op_sel:[0,1]
	v_dual_mov_b32 v197, v194 :: v_dual_mul_f32 v188, v195, v180
	v_pk_mul_f32 v[198:199], v[206:207], v[182:183] op_sel:[0,1]
	v_dual_mov_b32 v187, v189 :: v_dual_mul_f32 v182, v195, v183
	s_delay_alu instid0(VALU_DEP_4) | instskip(NEXT) | instid1(VALU_DEP_4)
	v_pk_fma_f32 v[200:201], v[192:193], v[180:181], v[190:191] op_sel:[0,0,1] op_sel_hi:[1,0,0]
	v_pk_fma_f32 v[188:189], v[196:197], v[92:93], v[188:189] op_sel_hi:[1,1,0]
	v_pk_fma_f32 v[190:191], v[192:193], v[180:181], v[190:191] op_sel:[0,0,1] op_sel_hi:[1,1,0] neg_lo:[0,0,1] neg_hi:[0,0,1]
	v_pk_fma_f32 v[192:193], v[206:207], v[180:181], v[198:199] op_sel:[0,0,1] op_sel_hi:[1,0,0]
	v_pk_fma_f32 v[182:183], v[194:195], v[92:93], v[182:183] op_sel_hi:[1,1,0] neg_lo:[0,0,1] neg_hi:[0,0,1]
	v_pk_fma_f32 v[180:181], v[206:207], v[180:181], v[198:199] op_sel:[0,0,1] op_sel_hi:[1,1,0] neg_lo:[0,0,1] neg_hi:[0,0,1]
	v_dual_mov_b32 v191, v201 :: v_dual_mov_b32 v183, v189
	s_delay_alu instid0(VALU_DEP_4) | instskip(SKIP_2) | instid1(VALU_DEP_4)
	v_mov_b32_e32 v181, v193
	v_pk_add_f32 v[132:133], v[132:133], v[184:185] neg_lo:[0,1] neg_hi:[0,1]
	v_pk_add_f32 v[146:147], v[146:147], v[186:187] neg_lo:[0,1] neg_hi:[0,1]
	;; [unrolled: 1-line block ×5, first 2 shown]
.LBB75_118:
	s_or_b32 exec_lo, exec_lo, s1
	s_delay_alu instid0(SALU_CYCLE_1)
	s_mov_b32 s2, exec_lo
	s_wait_dscnt 0x0
	s_barrier_signal -1
	s_barrier_wait -1
	v_cmpx_eq_u32_e32 13, v230
	s_cbranch_execz .LBB75_125
; %bb.119:
	v_dual_mov_b32 v180, v74 :: v_dual_mov_b32 v181, v75
	v_dual_mov_b32 v182, v88 :: v_dual_mov_b32 v183, v89
	v_dual_mov_b32 v184, v108 :: v_dual_mov_b32 v185, v109
	v_dual_mov_b32 v186, v106 :: v_dual_mov_b32 v187, v107
	v_dual_mov_b32 v188, v86 :: v_dual_mov_b32 v189, v87
	v_dual_mov_b32 v190, v104 :: v_dual_mov_b32 v191, v105
	v_dual_mov_b32 v192, v130 :: v_dual_mov_b32 v193, v131
	v_dual_mov_b32 v194, v128 :: v_dual_mov_b32 v195, v129
	v_dual_mov_b32 v196, v102 :: v_dual_mov_b32 v197, v103
	v_dual_mov_b32 v198, v126 :: v_dual_mov_b32 v199, v127
	ds_store_b64 v231, v[90:91]
	v_dual_mov_b32 v200, v144 :: v_dual_mov_b32 v201, v145
	v_dual_mov_b32 v202, v142 :: v_dual_mov_b32 v203, v143
	ds_store_2addr_b64 v232, v[180:181], v[182:183] offset0:14 offset1:15
	ds_store_2addr_b64 v232, v[184:185], v[186:187] offset0:16 offset1:17
	;; [unrolled: 1-line block ×6, first 2 shown]
	v_dual_mov_b32 v180, v150 :: v_dual_mov_b32 v181, v151
	v_dual_mov_b32 v182, v140 :: v_dual_mov_b32 v183, v141
	;; [unrolled: 1-line block ×11, first 2 shown]
	ds_store_2addr_b64 v232, v[180:181], v[182:183] offset0:26 offset1:27
	ds_store_2addr_b64 v232, v[184:185], v[186:187] offset0:28 offset1:29
	;; [unrolled: 1-line block ×6, first 2 shown]
	ds_load_b64 v[180:181], v231
	s_wait_dscnt 0x0
	v_cmp_neq_f32_e32 vcc_lo, 0, v180
	v_cmp_neq_f32_e64 s1, 0, v181
	s_or_b32 s1, vcc_lo, s1
	s_delay_alu instid0(SALU_CYCLE_1)
	s_and_b32 exec_lo, exec_lo, s1
	s_cbranch_execz .LBB75_125
; %bb.120:
	v_cmp_ngt_f32_e64 s1, |v180|, |v181|
                                        ; implicit-def: $vgpr182_vgpr183
	s_and_saveexec_b32 s4, s1
	s_delay_alu instid0(SALU_CYCLE_1)
	s_xor_b32 s1, exec_lo, s4
	s_cbranch_execz .LBB75_122
; %bb.121:
	v_div_scale_f32 v0, null, v181, v181, v180
	v_div_scale_f32 v183, vcc_lo, v180, v181, v180
	s_delay_alu instid0(VALU_DEP_2) | instskip(SKIP_1) | instid1(TRANS32_DEP_1)
	v_rcp_f32_e32 v1, v0
	v_nop
	v_fma_f32 v182, -v0, v1, 1.0
	s_delay_alu instid0(VALU_DEP_1) | instskip(NEXT) | instid1(VALU_DEP_1)
	v_fmac_f32_e32 v1, v182, v1
	v_mul_f32_e32 v182, v183, v1
	s_delay_alu instid0(VALU_DEP_1) | instskip(NEXT) | instid1(VALU_DEP_1)
	v_fma_f32 v184, -v0, v182, v183
	v_fmac_f32_e32 v182, v184, v1
	s_delay_alu instid0(VALU_DEP_1) | instskip(NEXT) | instid1(VALU_DEP_1)
	v_fma_f32 v0, -v0, v182, v183
	v_div_fmas_f32 v0, v0, v1, v182
	s_delay_alu instid0(VALU_DEP_1) | instskip(NEXT) | instid1(VALU_DEP_1)
	v_div_fixup_f32 v0, v0, v181, v180
	v_fmac_f32_e32 v181, v180, v0
	s_delay_alu instid0(VALU_DEP_1) | instskip(SKIP_1) | instid1(VALU_DEP_2)
	v_div_scale_f32 v1, null, v181, v181, 1.0
	v_div_scale_f32 v183, vcc_lo, 1.0, v181, 1.0
	v_rcp_f32_e32 v180, v1
	v_nop
	s_delay_alu instid0(TRANS32_DEP_1) | instskip(NEXT) | instid1(VALU_DEP_1)
	v_fma_f32 v182, -v1, v180, 1.0
	v_fmac_f32_e32 v180, v182, v180
	s_delay_alu instid0(VALU_DEP_1) | instskip(NEXT) | instid1(VALU_DEP_1)
	v_mul_f32_e32 v182, v183, v180
	v_fma_f32 v184, -v1, v182, v183
	s_delay_alu instid0(VALU_DEP_1) | instskip(NEXT) | instid1(VALU_DEP_1)
	v_fmac_f32_e32 v182, v184, v180
	v_fma_f32 v1, -v1, v182, v183
	s_delay_alu instid0(VALU_DEP_1) | instskip(NEXT) | instid1(VALU_DEP_1)
	v_div_fmas_f32 v1, v1, v180, v182
	v_div_fixup_f32 v1, v1, v181, 1.0
                                        ; implicit-def: $vgpr180_vgpr181
	s_delay_alu instid0(VALU_DEP_1)
	v_mul_f32_e32 v182, v0, v1
	v_xor_b32_e32 v183, 0x80000000, v1
.LBB75_122:
	s_and_not1_saveexec_b32 s1, s1
	s_cbranch_execz .LBB75_124
; %bb.123:
	v_div_scale_f32 v0, null, v180, v180, v181
	v_div_scale_f32 v183, vcc_lo, v181, v180, v181
	s_delay_alu instid0(VALU_DEP_2) | instskip(SKIP_1) | instid1(TRANS32_DEP_1)
	v_rcp_f32_e32 v1, v0
	v_nop
	v_fma_f32 v182, -v0, v1, 1.0
	s_delay_alu instid0(VALU_DEP_1) | instskip(NEXT) | instid1(VALU_DEP_1)
	v_fmac_f32_e32 v1, v182, v1
	v_mul_f32_e32 v182, v183, v1
	s_delay_alu instid0(VALU_DEP_1) | instskip(NEXT) | instid1(VALU_DEP_1)
	v_fma_f32 v184, -v0, v182, v183
	v_fmac_f32_e32 v182, v184, v1
	s_delay_alu instid0(VALU_DEP_1) | instskip(NEXT) | instid1(VALU_DEP_1)
	v_fma_f32 v0, -v0, v182, v183
	v_div_fmas_f32 v0, v0, v1, v182
	s_delay_alu instid0(VALU_DEP_1) | instskip(NEXT) | instid1(VALU_DEP_1)
	v_div_fixup_f32 v0, v0, v180, v181
	v_fmac_f32_e32 v180, v181, v0
	s_delay_alu instid0(VALU_DEP_1) | instskip(NEXT) | instid1(VALU_DEP_1)
	v_div_scale_f32 v1, null, v180, v180, 1.0
	v_rcp_f32_e32 v181, v1
	v_nop
	s_delay_alu instid0(TRANS32_DEP_1) | instskip(NEXT) | instid1(VALU_DEP_1)
	v_fma_f32 v182, -v1, v181, 1.0
	v_fmac_f32_e32 v181, v182, v181
	v_div_scale_f32 v182, vcc_lo, 1.0, v180, 1.0
	s_delay_alu instid0(VALU_DEP_1) | instskip(NEXT) | instid1(VALU_DEP_1)
	v_mul_f32_e32 v183, v182, v181
	v_fma_f32 v184, -v1, v183, v182
	s_delay_alu instid0(VALU_DEP_1) | instskip(NEXT) | instid1(VALU_DEP_1)
	v_fmac_f32_e32 v183, v184, v181
	v_fma_f32 v1, -v1, v183, v182
	s_delay_alu instid0(VALU_DEP_1) | instskip(NEXT) | instid1(VALU_DEP_1)
	v_div_fmas_f32 v1, v1, v181, v183
	v_div_fixup_f32 v182, v1, v180, 1.0
	s_delay_alu instid0(VALU_DEP_1)
	v_mul_f32_e64 v183, v0, -v182
.LBB75_124:
	s_or_b32 exec_lo, exec_lo, s1
	ds_store_b64 v231, v[182:183]
.LBB75_125:
	s_or_b32 exec_lo, exec_lo, s2
	s_wait_dscnt 0x0
	s_barrier_signal -1
	s_barrier_wait -1
	ds_load_b64 v[180:181], v231
	s_mov_b32 s1, exec_lo
	v_cmpx_lt_u32_e32 13, v230
	s_cbranch_execz .LBB75_127
; %bb.126:
	ds_load_2addr_b64 v[186:189], v232 offset0:14 offset1:15
	ds_load_2addr_b64 v[190:193], v232 offset0:16 offset1:17
	;; [unrolled: 1-line block ×3, first 2 shown]
	s_wait_dscnt 0x3
	v_pk_mul_f32 v[184:185], v[180:181], v[90:91] op_sel:[1,1] op_sel_hi:[0,1]
	ds_load_2addr_b64 v[198:201], v232 offset0:20 offset1:21
	ds_load_2addr_b64 v[202:205], v232 offset0:22 offset1:23
	v_pk_fma_f32 v[182:183], v[180:181], v[90:91], v[184:185] op_sel_hi:[1,0,1] neg_lo:[0,0,1] neg_hi:[0,0,1]
	v_pk_fma_f32 v[184:185], v[180:181], v[90:91], v[184:185] op_sel_hi:[1,0,1]
	s_delay_alu instid0(VALU_DEP_1) | instskip(SKIP_1) | instid1(VALU_DEP_2)
	v_dual_mov_b32 v90, v182 :: v_dual_mov_b32 v91, v185
	s_wait_dscnt 0x4
	v_pk_mul_f32 v[206:207], v[186:187], v[184:185] op_sel:[0,1]
	v_pk_mul_f32 v[208:209], v[188:189], v[184:185] op_sel:[0,1]
	s_wait_dscnt 0x3
	v_pk_mul_f32 v[210:211], v[190:191], v[184:185] op_sel:[0,1]
	v_dual_mov_b32 v212, v193 :: v_dual_mov_b32 v213, v192
	v_dual_mul_f32 v214, v193, v185 :: v_dual_mul_f32 v216, v193, v182
	s_wait_dscnt 0x2
	v_pk_mul_f32 v[218:219], v[194:195], v[184:185] op_sel:[0,1]
	v_pk_mul_f32 v[220:221], v[196:197], v[184:185] op_sel:[0,1]
	v_pk_fma_f32 v[222:223], v[186:187], v[182:183], v[206:207] op_sel:[0,0,1] op_sel_hi:[1,1,0] neg_lo:[0,0,1] neg_hi:[0,0,1]
	v_pk_fma_f32 v[186:187], v[186:187], v[182:183], v[206:207] op_sel:[0,0,1] op_sel_hi:[1,0,0]
	v_pk_fma_f32 v[206:207], v[188:189], v[182:183], v[208:209] op_sel:[0,0,1] op_sel_hi:[1,1,0] neg_lo:[0,0,1] neg_hi:[0,0,1]
	v_pk_fma_f32 v[188:189], v[188:189], v[182:183], v[208:209] op_sel:[0,0,1] op_sel_hi:[1,0,0]
	;; [unrolled: 2-line block ×3, first 2 shown]
	v_pk_fma_f32 v[210:211], v[212:213], v[90:91], v[216:217] op_sel_hi:[1,1,0]
	v_pk_fma_f32 v[192:193], v[192:193], v[90:91], v[214:215] op_sel_hi:[1,1,0] neg_lo:[0,0,1] neg_hi:[0,0,1]
	v_pk_fma_f32 v[212:213], v[194:195], v[182:183], v[218:219] op_sel:[0,0,1] op_sel_hi:[1,1,0] neg_lo:[0,0,1] neg_hi:[0,0,1]
	v_dual_mov_b32 v223, v187 :: v_dual_mov_b32 v207, v189
	s_delay_alu instid0(VALU_DEP_4)
	v_dual_mov_b32 v209, v191 :: v_dual_mov_b32 v193, v211
	v_pk_fma_f32 v[186:187], v[194:195], v[182:183], v[218:219] op_sel:[0,0,1] op_sel_hi:[1,0,0]
	v_pk_fma_f32 v[190:191], v[196:197], v[182:183], v[220:221] op_sel:[0,0,1] op_sel_hi:[1,0,0]
	v_pk_fma_f32 v[194:195], v[196:197], v[182:183], v[220:221] op_sel:[0,0,1] op_sel_hi:[1,1,0] neg_lo:[0,0,1] neg_hi:[0,0,1]
	s_wait_dscnt 0x1
	v_pk_mul_f32 v[196:197], v[198:199], v[184:185] op_sel:[0,1]
	v_pk_add_f32 v[106:107], v[106:107], v[192:193] neg_lo:[0,1] neg_hi:[0,1]
	v_dual_mov_b32 v213, v187 :: v_dual_mov_b32 v195, v191
	ds_load_2addr_b64 v[186:189], v232 offset0:24 offset1:25
	v_pk_fma_f32 v[192:193], v[198:199], v[182:183], v[196:197] op_sel:[0,0,1] op_sel_hi:[1,0,0]
	v_pk_mul_f32 v[190:191], v[200:201], v[184:185] op_sel:[0,1]
	v_pk_fma_f32 v[196:197], v[198:199], v[182:183], v[196:197] op_sel:[0,0,1] op_sel_hi:[1,1,0] neg_lo:[0,0,1] neg_hi:[0,0,1]
	v_pk_add_f32 v[104:105], v[104:105], v[194:195] neg_lo:[0,1] neg_hi:[0,1]
	v_pk_add_f32 v[88:89], v[88:89], v[206:207] neg_lo:[0,1] neg_hi:[0,1]
	v_mov_b32_e32 v197, v193
	v_pk_fma_f32 v[194:195], v[200:201], v[182:183], v[190:191] op_sel:[0,0,1] op_sel_hi:[1,0,0]
	s_wait_dscnt 0x1
	v_mul_f32_e32 v194, v203, v182
	v_pk_fma_f32 v[198:199], v[200:201], v[182:183], v[190:191] op_sel:[0,0,1] op_sel_hi:[1,1,0] neg_lo:[0,0,1] neg_hi:[0,0,1]
	ds_load_2addr_b64 v[190:193], v232 offset0:26 offset1:27
	v_pk_add_f32 v[130:131], v[130:131], v[196:197] neg_lo:[0,1] neg_hi:[0,1]
	v_pk_mul_f32 v[196:197], v[204:205], v[184:185] op_sel:[0,1]
	v_mul_f32_e32 v200, v203, v185
	v_pk_add_f32 v[108:109], v[108:109], v[208:209] neg_lo:[0,1] neg_hi:[0,1]
	v_pk_add_f32 v[74:75], v[74:75], v[222:223] neg_lo:[0,1] neg_hi:[0,1]
	;; [unrolled: 1-line block ×3, first 2 shown]
	v_pk_fma_f32 v[206:207], v[204:205], v[182:183], v[196:197] op_sel:[0,0,1] op_sel_hi:[1,0,0]
	v_mov_b32_e32 v199, v195
	v_pk_fma_f32 v[204:205], v[204:205], v[182:183], v[196:197] op_sel:[0,0,1] op_sel_hi:[1,1,0] neg_lo:[0,0,1] neg_hi:[0,0,1]
	v_pk_fma_f32 v[194:195], v[202:203], v[90:91], v[194:195] op_sel:[1,0,0] op_sel_hi:[0,1,0]
	s_delay_alu instid0(VALU_DEP_4) | instskip(NEXT) | instid1(VALU_DEP_4)
	v_mov_b32_e32 v205, v207
	v_pk_add_f32 v[128:129], v[128:129], v[198:199] neg_lo:[0,1] neg_hi:[0,1]
	v_pk_fma_f32 v[198:199], v[202:203], v[90:91], v[200:201] op_sel_hi:[1,1,0] neg_lo:[0,0,1] neg_hi:[0,0,1]
	s_wait_dscnt 0x1
	v_pk_mul_f32 v[202:203], v[188:189], v[184:185] op_sel:[0,1]
	v_pk_mul_f32 v[200:201], v[186:187], v[184:185] op_sel:[0,1]
	v_pk_add_f32 v[126:127], v[126:127], v[204:205] neg_lo:[0,1] neg_hi:[0,1]
	s_delay_alu instid0(VALU_DEP_3)
	v_pk_fma_f32 v[210:211], v[188:189], v[182:183], v[202:203] op_sel:[0,0,1] op_sel_hi:[1,0,0]
	v_mov_b32_e32 v199, v195
	ds_load_2addr_b64 v[194:197], v232 offset0:28 offset1:29
	v_pk_fma_f32 v[208:209], v[186:187], v[182:183], v[200:201] op_sel:[0,0,1] op_sel_hi:[1,0,0]
	v_pk_fma_f32 v[186:187], v[186:187], v[182:183], v[200:201] op_sel:[0,0,1] op_sel_hi:[1,1,0] neg_lo:[0,0,1] neg_hi:[0,0,1]
	s_wait_dscnt 0x1
	v_pk_mul_f32 v[200:201], v[190:191], v[184:185] op_sel:[0,1]
	v_pk_fma_f32 v[188:189], v[188:189], v[182:183], v[202:203] op_sel:[0,0,1] op_sel_hi:[1,1,0] neg_lo:[0,0,1] neg_hi:[0,0,1]
	v_dual_mov_b32 v189, v211 :: v_dual_mov_b32 v187, v209
	v_pk_add_f32 v[102:103], v[102:103], v[198:199] neg_lo:[0,1] neg_hi:[0,1]
	s_delay_alu instid0(VALU_DEP_4) | instskip(SKIP_1) | instid1(VALU_DEP_4)
	v_pk_fma_f32 v[198:199], v[190:191], v[182:183], v[200:201] op_sel:[0,0,1] op_sel_hi:[1,0,0]
	v_dual_mov_b32 v202, v193 :: v_dual_mov_b32 v203, v192
	v_pk_add_f32 v[144:145], v[144:145], v[186:187] neg_lo:[0,1] neg_hi:[0,1]
	v_pk_add_f32 v[142:143], v[142:143], v[188:189] neg_lo:[0,1] neg_hi:[0,1]
	ds_load_2addr_b64 v[186:189], v232 offset0:30 offset1:31
	v_mul_f32_e32 v198, v193, v182
	v_pk_fma_f32 v[190:191], v[190:191], v[182:183], v[200:201] op_sel:[0,0,1] op_sel_hi:[1,1,0] neg_lo:[0,0,1] neg_hi:[0,0,1]
	v_mov_b32_e32 v191, v199
	s_delay_alu instid0(VALU_DEP_3)
	v_pk_fma_f32 v[202:203], v[202:203], v[90:91], v[198:199] op_sel_hi:[1,1,0]
	s_wait_dscnt 0x1
	v_pk_mul_f32 v[206:207], v[194:195], v[184:185] op_sel:[0,1]
	v_mul_f32_e32 v204, v193, v185
	ds_load_2addr_b64 v[198:201], v232 offset0:32 offset1:33
	v_pk_mul_f32 v[208:209], v[196:197], v[184:185] op_sel:[0,1]
	v_pk_add_f32 v[150:151], v[150:151], v[190:191] neg_lo:[0,1] neg_hi:[0,1]
	v_pk_fma_f32 v[190:191], v[194:195], v[182:183], v[206:207] op_sel:[0,0,1] op_sel_hi:[1,0,0]
	v_pk_fma_f32 v[204:205], v[192:193], v[90:91], v[204:205] op_sel_hi:[1,1,0] neg_lo:[0,0,1] neg_hi:[0,0,1]
	v_pk_fma_f32 v[194:195], v[194:195], v[182:183], v[206:207] op_sel:[0,0,1] op_sel_hi:[1,1,0] neg_lo:[0,0,1] neg_hi:[0,0,1]
	v_mov_b32_e32 v205, v203
	v_pk_fma_f32 v[202:203], v[196:197], v[182:183], v[208:209] op_sel:[0,0,1] op_sel_hi:[1,0,0]
	v_mov_b32_e32 v195, v191
	ds_load_2addr_b64 v[190:193], v232 offset0:34 offset1:35
	v_pk_fma_f32 v[196:197], v[196:197], v[182:183], v[208:209] op_sel:[0,0,1] op_sel_hi:[1,1,0] neg_lo:[0,0,1] neg_hi:[0,0,1]
	v_pk_add_f32 v[140:141], v[140:141], v[204:205] neg_lo:[0,1] neg_hi:[0,1]
	v_mov_b32_e32 v197, v203
	s_wait_dscnt 0x2
	v_pk_mul_f32 v[202:203], v[186:187], v[184:185] op_sel:[0,1]
	v_pk_mul_f32 v[204:205], v[188:189], v[184:185] op_sel:[0,1]
	v_pk_add_f32 v[148:149], v[148:149], v[194:195] neg_lo:[0,1] neg_hi:[0,1]
	v_pk_add_f32 v[114:115], v[114:115], v[196:197] neg_lo:[0,1] neg_hi:[0,1]
	ds_load_2addr_b64 v[194:197], v232 offset0:36 offset1:37
	v_pk_fma_f32 v[206:207], v[186:187], v[182:183], v[202:203] op_sel:[0,0,1] op_sel_hi:[1,0,0]
	v_pk_fma_f32 v[186:187], v[186:187], v[182:183], v[202:203] op_sel:[0,0,1] op_sel_hi:[1,1,0] neg_lo:[0,0,1] neg_hi:[0,0,1]
	v_pk_fma_f32 v[202:203], v[188:189], v[182:183], v[204:205] op_sel:[0,0,1] op_sel_hi:[1,0,0]
	s_wait_dscnt 0x2
	v_dual_mul_f32 v202, v199, v182 :: v_dual_mul_f32 v206, v199, v185
	v_pk_fma_f32 v[188:189], v[188:189], v[182:183], v[204:205] op_sel:[0,0,1] op_sel_hi:[1,1,0] neg_lo:[0,0,1] neg_hi:[0,0,1]
	s_delay_alu instid0(VALU_DEP_3) | instskip(NEXT) | instid1(VALU_DEP_3)
	v_dual_mov_b32 v187, v207 :: v_dual_mov_b32 v189, v203
	v_pk_fma_f32 v[204:205], v[198:199], v[90:91], v[202:203] op_sel:[1,0,0] op_sel_hi:[0,1,0]
	s_delay_alu instid0(VALU_DEP_4)
	v_pk_fma_f32 v[198:199], v[198:199], v[90:91], v[206:207] op_sel_hi:[1,1,0] neg_lo:[0,0,1] neg_hi:[0,0,1]
	s_wait_dscnt 0x1
	v_pk_mul_f32 v[206:207], v[190:191], v[184:185] op_sel:[0,1]
	v_pk_mul_f32 v[202:203], v[200:201], v[184:185] op_sel:[0,1]
	v_pk_add_f32 v[112:113], v[112:113], v[188:189] neg_lo:[0,1] neg_hi:[0,1]
	v_pk_add_f32 v[116:117], v[116:117], v[186:187] neg_lo:[0,1] neg_hi:[0,1]
	s_delay_alu instid0(VALU_DEP_4) | instskip(SKIP_2) | instid1(VALU_DEP_2)
	v_pk_fma_f32 v[188:189], v[190:191], v[182:183], v[206:207] op_sel:[0,0,1] op_sel_hi:[1,0,0]
	v_mov_b32_e32 v199, v205
	v_pk_fma_f32 v[186:187], v[200:201], v[182:183], v[202:203] op_sel:[0,0,1] op_sel_hi:[1,0,0]
	v_pk_add_f32 v[134:135], v[134:135], v[198:199] neg_lo:[0,1] neg_hi:[0,1]
	v_pk_fma_f32 v[198:199], v[200:201], v[182:183], v[202:203] op_sel:[0,0,1] op_sel_hi:[1,1,0] neg_lo:[0,0,1] neg_hi:[0,0,1]
	s_wait_dscnt 0x0
	s_delay_alu instid0(VALU_DEP_3)
	v_dual_mov_b32 v199, v187 :: v_dual_mov_b32 v200, v197
	v_pk_fma_f32 v[186:187], v[190:191], v[182:183], v[206:207] op_sel:[0,0,1] op_sel_hi:[1,1,0] neg_lo:[0,0,1] neg_hi:[0,0,1]
	v_mov_b32_e32 v187, v189
	v_pk_mul_f32 v[188:189], v[192:193], v[184:185] op_sel:[0,1]
	v_pk_mul_f32 v[190:191], v[194:195], v[184:185] op_sel:[0,1]
	v_dual_mov_b32 v201, v196 :: v_dual_mul_f32 v184, v197, v182
	v_pk_add_f32 v[132:133], v[132:133], v[198:199] neg_lo:[0,1] neg_hi:[0,1]
	s_delay_alu instid0(VALU_DEP_4)
	v_pk_fma_f32 v[202:203], v[192:193], v[182:183], v[188:189] op_sel:[0,0,1] op_sel_hi:[1,0,0]
	v_pk_fma_f32 v[188:189], v[192:193], v[182:183], v[188:189] op_sel:[0,0,1] op_sel_hi:[1,1,0] neg_lo:[0,0,1] neg_hi:[0,0,1]
	v_pk_fma_f32 v[192:193], v[194:195], v[182:183], v[190:191] op_sel:[0,0,1] op_sel_hi:[1,0,0]
	v_mul_f32_e32 v192, v197, v185
	v_pk_fma_f32 v[184:185], v[200:201], v[90:91], v[184:185] op_sel_hi:[1,1,0]
	v_mov_b32_e32 v189, v203
	v_pk_fma_f32 v[182:183], v[194:195], v[182:183], v[190:191] op_sel:[0,0,1] op_sel_hi:[1,1,0] neg_lo:[0,0,1] neg_hi:[0,0,1]
	v_mov_b32_e32 v183, v193
	v_pk_fma_f32 v[190:191], v[196:197], v[90:91], v[192:193] op_sel_hi:[1,1,0] neg_lo:[0,0,1] neg_hi:[0,0,1]
	v_mov_b32_e32 v191, v185
	v_pk_add_f32 v[146:147], v[146:147], v[186:187] neg_lo:[0,1] neg_hi:[0,1]
	v_pk_add_f32 v[138:139], v[138:139], v[188:189] neg_lo:[0,1] neg_hi:[0,1]
	;; [unrolled: 1-line block ×3, first 2 shown]
	s_delay_alu instid0(VALU_DEP_4)
	v_pk_add_f32 v[152:153], v[152:153], v[190:191] neg_lo:[0,1] neg_hi:[0,1]
.LBB75_127:
	s_or_b32 exec_lo, exec_lo, s1
	s_delay_alu instid0(SALU_CYCLE_1)
	s_mov_b32 s2, exec_lo
	s_wait_dscnt 0x0
	s_barrier_signal -1
	s_barrier_wait -1
	v_cmpx_eq_u32_e32 14, v230
	s_cbranch_execz .LBB75_134
; %bb.128:
	ds_store_b64 v231, v[74:75]
	ds_store_2addr_b64 v232, v[88:89], v[108:109] offset0:15 offset1:16
	ds_store_2addr_b64 v232, v[106:107], v[86:87] offset0:17 offset1:18
	;; [unrolled: 1-line block ×11, first 2 shown]
	ds_store_b64 v232, v[152:153] offset:296
	ds_load_b64 v[182:183], v231
	s_wait_dscnt 0x0
	v_cmp_neq_f32_e32 vcc_lo, 0, v182
	v_cmp_neq_f32_e64 s1, 0, v183
	s_or_b32 s1, vcc_lo, s1
	s_delay_alu instid0(SALU_CYCLE_1)
	s_and_b32 exec_lo, exec_lo, s1
	s_cbranch_execz .LBB75_134
; %bb.129:
	v_cmp_ngt_f32_e64 s1, |v182|, |v183|
                                        ; implicit-def: $vgpr184_vgpr185
	s_and_saveexec_b32 s4, s1
	s_delay_alu instid0(SALU_CYCLE_1)
	s_xor_b32 s1, exec_lo, s4
	s_cbranch_execz .LBB75_131
; %bb.130:
	v_div_scale_f32 v0, null, v183, v183, v182
	v_div_scale_f32 v185, vcc_lo, v182, v183, v182
	s_delay_alu instid0(VALU_DEP_2) | instskip(SKIP_1) | instid1(TRANS32_DEP_1)
	v_rcp_f32_e32 v1, v0
	v_nop
	v_fma_f32 v184, -v0, v1, 1.0
	s_delay_alu instid0(VALU_DEP_1) | instskip(NEXT) | instid1(VALU_DEP_1)
	v_fmac_f32_e32 v1, v184, v1
	v_mul_f32_e32 v184, v185, v1
	s_delay_alu instid0(VALU_DEP_1) | instskip(NEXT) | instid1(VALU_DEP_1)
	v_fma_f32 v186, -v0, v184, v185
	v_fmac_f32_e32 v184, v186, v1
	s_delay_alu instid0(VALU_DEP_1) | instskip(NEXT) | instid1(VALU_DEP_1)
	v_fma_f32 v0, -v0, v184, v185
	v_div_fmas_f32 v0, v0, v1, v184
	s_delay_alu instid0(VALU_DEP_1) | instskip(NEXT) | instid1(VALU_DEP_1)
	v_div_fixup_f32 v0, v0, v183, v182
	v_fmac_f32_e32 v183, v182, v0
	s_delay_alu instid0(VALU_DEP_1) | instskip(SKIP_1) | instid1(VALU_DEP_2)
	v_div_scale_f32 v1, null, v183, v183, 1.0
	v_div_scale_f32 v185, vcc_lo, 1.0, v183, 1.0
	v_rcp_f32_e32 v182, v1
	v_nop
	s_delay_alu instid0(TRANS32_DEP_1) | instskip(NEXT) | instid1(VALU_DEP_1)
	v_fma_f32 v184, -v1, v182, 1.0
	v_fmac_f32_e32 v182, v184, v182
	s_delay_alu instid0(VALU_DEP_1) | instskip(NEXT) | instid1(VALU_DEP_1)
	v_mul_f32_e32 v184, v185, v182
	v_fma_f32 v186, -v1, v184, v185
	s_delay_alu instid0(VALU_DEP_1) | instskip(NEXT) | instid1(VALU_DEP_1)
	v_fmac_f32_e32 v184, v186, v182
	v_fma_f32 v1, -v1, v184, v185
	s_delay_alu instid0(VALU_DEP_1) | instskip(NEXT) | instid1(VALU_DEP_1)
	v_div_fmas_f32 v1, v1, v182, v184
	v_div_fixup_f32 v1, v1, v183, 1.0
                                        ; implicit-def: $vgpr182_vgpr183
	s_delay_alu instid0(VALU_DEP_1)
	v_mul_f32_e32 v184, v0, v1
	v_xor_b32_e32 v185, 0x80000000, v1
.LBB75_131:
	s_and_not1_saveexec_b32 s1, s1
	s_cbranch_execz .LBB75_133
; %bb.132:
	v_div_scale_f32 v0, null, v182, v182, v183
	v_div_scale_f32 v185, vcc_lo, v183, v182, v183
	s_delay_alu instid0(VALU_DEP_2) | instskip(SKIP_1) | instid1(TRANS32_DEP_1)
	v_rcp_f32_e32 v1, v0
	v_nop
	v_fma_f32 v184, -v0, v1, 1.0
	s_delay_alu instid0(VALU_DEP_1) | instskip(NEXT) | instid1(VALU_DEP_1)
	v_fmac_f32_e32 v1, v184, v1
	v_mul_f32_e32 v184, v185, v1
	s_delay_alu instid0(VALU_DEP_1) | instskip(NEXT) | instid1(VALU_DEP_1)
	v_fma_f32 v186, -v0, v184, v185
	v_fmac_f32_e32 v184, v186, v1
	s_delay_alu instid0(VALU_DEP_1) | instskip(NEXT) | instid1(VALU_DEP_1)
	v_fma_f32 v0, -v0, v184, v185
	v_div_fmas_f32 v0, v0, v1, v184
	s_delay_alu instid0(VALU_DEP_1) | instskip(NEXT) | instid1(VALU_DEP_1)
	v_div_fixup_f32 v0, v0, v182, v183
	v_fmac_f32_e32 v182, v183, v0
	s_delay_alu instid0(VALU_DEP_1) | instskip(NEXT) | instid1(VALU_DEP_1)
	v_div_scale_f32 v1, null, v182, v182, 1.0
	v_rcp_f32_e32 v183, v1
	v_nop
	s_delay_alu instid0(TRANS32_DEP_1) | instskip(NEXT) | instid1(VALU_DEP_1)
	v_fma_f32 v184, -v1, v183, 1.0
	v_fmac_f32_e32 v183, v184, v183
	v_div_scale_f32 v184, vcc_lo, 1.0, v182, 1.0
	s_delay_alu instid0(VALU_DEP_1) | instskip(NEXT) | instid1(VALU_DEP_1)
	v_mul_f32_e32 v185, v184, v183
	v_fma_f32 v186, -v1, v185, v184
	s_delay_alu instid0(VALU_DEP_1) | instskip(NEXT) | instid1(VALU_DEP_1)
	v_fmac_f32_e32 v185, v186, v183
	v_fma_f32 v1, -v1, v185, v184
	s_delay_alu instid0(VALU_DEP_1) | instskip(NEXT) | instid1(VALU_DEP_1)
	v_div_fmas_f32 v1, v1, v183, v185
	v_div_fixup_f32 v184, v1, v182, 1.0
	s_delay_alu instid0(VALU_DEP_1)
	v_mul_f32_e64 v185, v0, -v184
.LBB75_133:
	s_or_b32 exec_lo, exec_lo, s1
	ds_store_b64 v231, v[184:185]
.LBB75_134:
	s_or_b32 exec_lo, exec_lo, s2
	s_wait_dscnt 0x0
	s_barrier_signal -1
	s_barrier_wait -1
	ds_load_b64 v[182:183], v231
	s_mov_b32 s1, exec_lo
	v_cmpx_lt_u32_e32 14, v230
	s_cbranch_execz .LBB75_136
; %bb.135:
	ds_load_2addr_b64 v[184:187], v232 offset0:15 offset1:16
	ds_load_2addr_b64 v[188:191], v232 offset0:17 offset1:18
	;; [unrolled: 1-line block ×3, first 2 shown]
	s_wait_dscnt 0x3
	v_pk_mul_f32 v[200:201], v[182:183], v[74:75] op_sel:[1,1] op_sel_hi:[0,1]
	ds_load_2addr_b64 v[196:199], v232 offset0:21 offset1:22
	v_pk_fma_f32 v[206:207], v[182:183], v[74:75], v[200:201] op_sel_hi:[1,0,1]
	v_pk_fma_f32 v[204:205], v[182:183], v[74:75], v[200:201] op_sel_hi:[1,0,1] neg_lo:[0,0,1] neg_hi:[0,0,1]
	ds_load_2addr_b64 v[200:203], v232 offset0:23 offset1:24
	v_dual_mov_b32 v75, v207 :: v_dual_mov_b32 v74, v204
	s_wait_dscnt 0x4
	v_pk_mul_f32 v[208:209], v[184:185], v[206:207] op_sel:[0,1]
	v_pk_mul_f32 v[210:211], v[186:187], v[206:207] op_sel:[0,1]
	s_wait_dscnt 0x3
	v_pk_mul_f32 v[212:213], v[188:189], v[206:207] op_sel:[0,1]
	v_dual_mov_b32 v214, v191 :: v_dual_mov_b32 v215, v190
	v_pk_fma_f32 v[226:227], v[184:185], v[204:205], v[208:209] op_sel:[0,0,1] op_sel_hi:[1,1,0] neg_lo:[0,0,1] neg_hi:[0,0,1]
	v_pk_fma_f32 v[184:185], v[184:185], v[204:205], v[208:209] op_sel:[0,0,1] op_sel_hi:[1,0,0]
	v_pk_fma_f32 v[208:209], v[186:187], v[204:205], v[210:211] op_sel:[0,0,1] op_sel_hi:[1,1,0] neg_lo:[0,0,1] neg_hi:[0,0,1]
	v_pk_fma_f32 v[186:187], v[186:187], v[204:205], v[210:211] op_sel:[0,0,1] op_sel_hi:[1,0,0]
	v_dual_mul_f32 v216, v191, v207 :: v_dual_mul_f32 v218, v191, v204
	s_wait_dscnt 0x2
	v_pk_mul_f32 v[220:221], v[192:193], v[206:207] op_sel:[0,1]
	v_pk_fma_f32 v[210:211], v[188:189], v[204:205], v[212:213] op_sel:[0,0,1] op_sel_hi:[1,1,0] neg_lo:[0,0,1] neg_hi:[0,0,1]
	v_pk_fma_f32 v[188:189], v[188:189], v[204:205], v[212:213] op_sel:[0,0,1] op_sel_hi:[1,0,0]
	v_dual_mov_b32 v227, v185 :: v_dual_mov_b32 v209, v187
	ds_load_2addr_b64 v[184:187], v232 offset0:25 offset1:26
	v_pk_mul_f32 v[222:223], v[194:195], v[206:207] op_sel:[0,1]
	s_wait_dscnt 0x2
	v_pk_mul_f32 v[224:225], v[196:197], v[206:207] op_sel:[0,1]
	v_pk_fma_f32 v[212:213], v[214:215], v[74:75], v[218:219] op_sel_hi:[1,1,0]
	v_mov_b32_e32 v211, v189
	v_pk_fma_f32 v[188:189], v[192:193], v[204:205], v[220:221] op_sel:[0,0,1] op_sel_hi:[1,0,0]
	v_pk_fma_f32 v[190:191], v[190:191], v[74:75], v[216:217] op_sel_hi:[1,1,0] neg_lo:[0,0,1] neg_hi:[0,0,1]
	v_pk_fma_f32 v[192:193], v[192:193], v[204:205], v[220:221] op_sel:[0,0,1] op_sel_hi:[1,1,0] neg_lo:[0,0,1] neg_hi:[0,0,1]
	v_mov_b32_e32 v191, v213
	v_pk_add_f32 v[108:109], v[108:109], v[208:209] neg_lo:[0,1] neg_hi:[0,1]
	v_pk_add_f32 v[106:107], v[106:107], v[210:211] neg_lo:[0,1] neg_hi:[0,1]
	v_pk_fma_f32 v[208:209], v[194:195], v[204:205], v[222:223] op_sel:[0,0,1] op_sel_hi:[1,0,0]
	v_pk_fma_f32 v[210:211], v[196:197], v[204:205], v[224:225] op_sel:[0,0,1] op_sel_hi:[1,0,0]
	v_mov_b32_e32 v193, v189
	v_pk_fma_f32 v[188:189], v[194:195], v[204:205], v[222:223] op_sel:[0,0,1] op_sel_hi:[1,1,0] neg_lo:[0,0,1] neg_hi:[0,0,1]
	v_pk_fma_f32 v[194:195], v[196:197], v[204:205], v[224:225] op_sel:[0,0,1] op_sel_hi:[1,1,0] neg_lo:[0,0,1] neg_hi:[0,0,1]
	v_pk_mul_f32 v[196:197], v[198:199], v[206:207] op_sel:[0,1]
	v_mov_b32_e32 v189, v209
	v_pk_add_f32 v[104:105], v[104:105], v[192:193] neg_lo:[0,1] neg_hi:[0,1]
	v_mov_b32_e32 v195, v211
	v_pk_add_f32 v[86:87], v[86:87], v[190:191] neg_lo:[0,1] neg_hi:[0,1]
	v_pk_fma_f32 v[192:193], v[198:199], v[204:205], v[196:197] op_sel:[0,0,1] op_sel_hi:[1,0,0]
	s_wait_dscnt 0x1
	v_mul_f32_e32 v192, v201, v204
	v_pk_add_f32 v[130:131], v[130:131], v[188:189] neg_lo:[0,1] neg_hi:[0,1]
	ds_load_2addr_b64 v[188:191], v232 offset0:27 offset1:28
	v_pk_add_f32 v[128:129], v[128:129], v[194:195] neg_lo:[0,1] neg_hi:[0,1]
	v_pk_fma_f32 v[208:209], v[198:199], v[204:205], v[196:197] op_sel:[0,0,1] op_sel_hi:[1,1,0] neg_lo:[0,0,1] neg_hi:[0,0,1]
	v_pk_mul_f32 v[196:197], v[202:203], v[206:207] op_sel:[0,1]
	s_wait_dscnt 0x1
	v_pk_mul_f32 v[198:199], v[184:185], v[206:207] op_sel:[0,1]
	v_pk_fma_f32 v[210:211], v[200:201], v[74:75], v[192:193] op_sel:[1,0,0] op_sel_hi:[0,1,0]
	v_mul_f32_e32 v194, v201, v207
	v_mov_b32_e32 v209, v193
	v_pk_fma_f32 v[192:193], v[202:203], v[204:205], v[196:197] op_sel:[0,0,1] op_sel_hi:[1,0,0]
	v_pk_fma_f32 v[196:197], v[202:203], v[204:205], v[196:197] op_sel:[0,0,1] op_sel_hi:[1,1,0] neg_lo:[0,0,1] neg_hi:[0,0,1]
	v_pk_add_f32 v[88:89], v[88:89], v[226:227] neg_lo:[0,1] neg_hi:[0,1]
	v_pk_fma_f32 v[200:201], v[200:201], v[74:75], v[194:195] op_sel_hi:[1,1,0] neg_lo:[0,0,1] neg_hi:[0,0,1]
	v_pk_fma_f32 v[194:195], v[184:185], v[204:205], v[198:199] op_sel:[0,0,1] op_sel_hi:[1,0,0]
	v_pk_fma_f32 v[184:185], v[184:185], v[204:205], v[198:199] op_sel:[0,0,1] op_sel_hi:[1,1,0] neg_lo:[0,0,1] neg_hi:[0,0,1]
	v_dual_mov_b32 v197, v193 :: v_dual_mov_b32 v201, v211
	v_pk_mul_f32 v[198:199], v[186:187], v[206:207] op_sel:[0,1]
	s_delay_alu instid0(VALU_DEP_4)
	v_mov_b32_e32 v185, v195
	ds_load_2addr_b64 v[192:195], v232 offset0:29 offset1:30
	v_pk_add_f32 v[102:103], v[102:103], v[208:209] neg_lo:[0,1] neg_hi:[0,1]
	v_pk_add_f32 v[126:127], v[126:127], v[200:201] neg_lo:[0,1] neg_hi:[0,1]
	s_wait_dscnt 0x1
	v_pk_mul_f32 v[200:201], v[188:189], v[206:207] op_sel:[0,1]
	v_pk_add_f32 v[144:145], v[144:145], v[196:197] neg_lo:[0,1] neg_hi:[0,1]
	v_pk_fma_f32 v[196:197], v[186:187], v[204:205], v[198:199] op_sel:[0,0,1] op_sel_hi:[1,1,0] neg_lo:[0,0,1] neg_hi:[0,0,1]
	v_pk_fma_f32 v[198:199], v[186:187], v[204:205], v[198:199] op_sel:[0,0,1] op_sel_hi:[1,0,0]
	v_mov_b32_e32 v202, v191
	v_pk_fma_f32 v[208:209], v[188:189], v[204:205], v[200:201] op_sel:[0,0,1] op_sel_hi:[1,0,0]
	v_pk_add_f32 v[142:143], v[142:143], v[184:185] neg_lo:[0,1] neg_hi:[0,1]
	v_dual_mov_b32 v203, v190 :: v_dual_mul_f32 v198, v191, v204
	ds_load_2addr_b64 v[184:187], v232 offset0:31 offset1:32
	v_mul_f32_e32 v208, v191, v207
	v_pk_fma_f32 v[200:201], v[188:189], v[204:205], v[200:201] op_sel:[0,0,1] op_sel_hi:[1,1,0] neg_lo:[0,0,1] neg_hi:[0,0,1]
	v_mov_b32_e32 v197, v199
	v_pk_fma_f32 v[198:199], v[202:203], v[74:75], v[198:199] op_sel_hi:[1,1,0]
	v_mov_b32_e32 v201, v209
	v_pk_fma_f32 v[202:203], v[190:191], v[74:75], v[208:209] op_sel_hi:[1,1,0] neg_lo:[0,0,1] neg_hi:[0,0,1]
	ds_load_2addr_b64 v[188:191], v232 offset0:33 offset1:34
	s_wait_dscnt 0x2
	v_pk_mul_f32 v[208:209], v[192:193], v[206:207] op_sel:[0,1]
	v_mov_b32_e32 v203, v199
	v_pk_add_f32 v[150:151], v[150:151], v[196:197] neg_lo:[0,1] neg_hi:[0,1]
	v_pk_mul_f32 v[196:197], v[194:195], v[206:207] op_sel:[0,1]
	v_pk_add_f32 v[140:141], v[140:141], v[200:201] neg_lo:[0,1] neg_hi:[0,1]
	v_pk_fma_f32 v[198:199], v[192:193], v[204:205], v[208:209] op_sel:[0,0,1] op_sel_hi:[1,0,0]
	v_pk_fma_f32 v[200:201], v[192:193], v[204:205], v[208:209] op_sel:[0,0,1] op_sel_hi:[1,1,0] neg_lo:[0,0,1] neg_hi:[0,0,1]
	v_pk_add_f32 v[148:149], v[148:149], v[202:203] neg_lo:[0,1] neg_hi:[0,1]
	v_pk_fma_f32 v[202:203], v[194:195], v[204:205], v[196:197] op_sel:[0,0,1] op_sel_hi:[1,0,0]
	v_pk_fma_f32 v[196:197], v[194:195], v[204:205], v[196:197] op_sel:[0,0,1] op_sel_hi:[1,1,0] neg_lo:[0,0,1] neg_hi:[0,0,1]
	v_mov_b32_e32 v201, v199
	ds_load_2addr_b64 v[192:195], v232 offset0:35 offset1:36
	s_wait_dscnt 0x2
	v_pk_mul_f32 v[198:199], v[184:185], v[206:207] op_sel:[0,1]
	v_mov_b32_e32 v197, v203
	v_pk_mul_f32 v[202:203], v[186:187], v[206:207] op_sel:[0,1]
	v_pk_add_f32 v[114:115], v[114:115], v[200:201] neg_lo:[0,1] neg_hi:[0,1]
	ds_load_b64 v[200:201], v232 offset:296
	v_pk_fma_f32 v[208:209], v[184:185], v[204:205], v[198:199] op_sel:[0,0,1] op_sel_hi:[1,0,0]
	v_pk_add_f32 v[116:117], v[116:117], v[196:197] neg_lo:[0,1] neg_hi:[0,1]
	v_pk_fma_f32 v[196:197], v[186:187], v[204:205], v[202:203] op_sel:[0,0,1] op_sel_hi:[1,0,0]
	v_pk_fma_f32 v[184:185], v[184:185], v[204:205], v[198:199] op_sel:[0,0,1] op_sel_hi:[1,1,0] neg_lo:[0,0,1] neg_hi:[0,0,1]
	s_wait_dscnt 0x2
	v_dual_mul_f32 v196, v189, v204 :: v_dual_mul_f32 v198, v189, v207
	v_mov_b32_e32 v185, v209
	v_pk_fma_f32 v[186:187], v[186:187], v[204:205], v[202:203] op_sel:[0,0,1] op_sel_hi:[1,1,0] neg_lo:[0,0,1] neg_hi:[0,0,1]
	v_mov_b32_e32 v187, v197
	s_delay_alu instid0(VALU_DEP_4) | instskip(NEXT) | instid1(VALU_DEP_4)
	v_pk_fma_f32 v[196:197], v[188:189], v[74:75], v[196:197] op_sel:[1,0,0] op_sel_hi:[0,1,0]
	v_pk_add_f32 v[112:113], v[112:113], v[184:185] neg_lo:[0,1] neg_hi:[0,1]
	v_pk_mul_f32 v[184:185], v[190:191], v[206:207] op_sel:[0,1]
	s_delay_alu instid0(VALU_DEP_4)
	v_pk_add_f32 v[134:135], v[134:135], v[186:187] neg_lo:[0,1] neg_hi:[0,1]
	v_pk_fma_f32 v[186:187], v[188:189], v[74:75], v[198:199] op_sel_hi:[1,1,0] neg_lo:[0,0,1] neg_hi:[0,0,1]
	v_mov_b32_e32 v187, v197
	s_wait_dscnt 0x1
	v_pk_mul_f32 v[188:189], v[192:193], v[206:207] op_sel:[0,1]
	v_pk_fma_f32 v[196:197], v[190:191], v[204:205], v[184:185] op_sel:[0,0,1] op_sel_hi:[1,0,0]
	v_pk_mul_f32 v[198:199], v[194:195], v[206:207] op_sel:[0,1]
	v_pk_fma_f32 v[184:185], v[190:191], v[204:205], v[184:185] op_sel:[0,0,1] op_sel_hi:[1,1,0] neg_lo:[0,0,1] neg_hi:[0,0,1]
	s_wait_dscnt 0x0
	v_pk_mul_f32 v[190:191], v[200:201], v[206:207] op_sel:[0,1]
	v_pk_fma_f32 v[202:203], v[192:193], v[204:205], v[188:189] op_sel:[0,0,1] op_sel_hi:[1,0,0]
	v_mov_b32_e32 v185, v197
	v_pk_fma_f32 v[196:197], v[194:195], v[204:205], v[198:199] op_sel:[0,0,1] op_sel_hi:[1,0,0]
	v_pk_fma_f32 v[188:189], v[192:193], v[204:205], v[188:189] op_sel:[0,0,1] op_sel_hi:[1,1,0] neg_lo:[0,0,1] neg_hi:[0,0,1]
	v_pk_fma_f32 v[192:193], v[200:201], v[204:205], v[190:191] op_sel:[0,0,1] op_sel_hi:[1,0,0]
	v_pk_fma_f32 v[194:195], v[194:195], v[204:205], v[198:199] op_sel:[0,0,1] op_sel_hi:[1,1,0] neg_lo:[0,0,1] neg_hi:[0,0,1]
	v_pk_fma_f32 v[190:191], v[200:201], v[204:205], v[190:191] op_sel:[0,0,1] op_sel_hi:[1,1,0] neg_lo:[0,0,1] neg_hi:[0,0,1]
	v_dual_mov_b32 v189, v203 :: v_dual_mov_b32 v195, v197
	s_delay_alu instid0(VALU_DEP_4) | instskip(SKIP_2) | instid1(VALU_DEP_4)
	v_mov_b32_e32 v191, v193
	v_pk_add_f32 v[132:133], v[132:133], v[186:187] neg_lo:[0,1] neg_hi:[0,1]
	v_pk_add_f32 v[146:147], v[146:147], v[184:185] neg_lo:[0,1] neg_hi:[0,1]
	;; [unrolled: 1-line block ×5, first 2 shown]
.LBB75_136:
	s_or_b32 exec_lo, exec_lo, s1
	s_delay_alu instid0(SALU_CYCLE_1)
	s_mov_b32 s2, exec_lo
	s_wait_dscnt 0x0
	s_barrier_signal -1
	s_barrier_wait -1
	v_cmpx_eq_u32_e32 15, v230
	s_cbranch_execz .LBB75_143
; %bb.137:
	v_dual_mov_b32 v184, v108 :: v_dual_mov_b32 v185, v109
	v_dual_mov_b32 v186, v106 :: v_dual_mov_b32 v187, v107
	;; [unrolled: 1-line block ×10, first 2 shown]
	ds_store_b64 v231, v[88:89]
	v_dual_mov_b32 v204, v150 :: v_dual_mov_b32 v205, v151
	v_dual_mov_b32 v206, v140 :: v_dual_mov_b32 v207, v141
	ds_store_2addr_b64 v232, v[184:185], v[186:187] offset0:16 offset1:17
	ds_store_2addr_b64 v232, v[188:189], v[190:191] offset0:18 offset1:19
	;; [unrolled: 1-line block ×6, first 2 shown]
	v_dual_mov_b32 v184, v148 :: v_dual_mov_b32 v185, v149
	v_dual_mov_b32 v186, v114 :: v_dual_mov_b32 v187, v115
	;; [unrolled: 1-line block ×9, first 2 shown]
	ds_store_2addr_b64 v232, v[184:185], v[186:187] offset0:28 offset1:29
	ds_store_2addr_b64 v232, v[188:189], v[190:191] offset0:30 offset1:31
	;; [unrolled: 1-line block ×5, first 2 shown]
	ds_load_b64 v[184:185], v231
	s_wait_dscnt 0x0
	v_cmp_neq_f32_e32 vcc_lo, 0, v184
	v_cmp_neq_f32_e64 s1, 0, v185
	s_or_b32 s1, vcc_lo, s1
	s_delay_alu instid0(SALU_CYCLE_1)
	s_and_b32 exec_lo, exec_lo, s1
	s_cbranch_execz .LBB75_143
; %bb.138:
	v_cmp_ngt_f32_e64 s1, |v184|, |v185|
                                        ; implicit-def: $vgpr186_vgpr187
	s_and_saveexec_b32 s4, s1
	s_delay_alu instid0(SALU_CYCLE_1)
	s_xor_b32 s1, exec_lo, s4
	s_cbranch_execz .LBB75_140
; %bb.139:
	v_div_scale_f32 v0, null, v185, v185, v184
	v_div_scale_f32 v187, vcc_lo, v184, v185, v184
	s_delay_alu instid0(VALU_DEP_2) | instskip(SKIP_1) | instid1(TRANS32_DEP_1)
	v_rcp_f32_e32 v1, v0
	v_nop
	v_fma_f32 v186, -v0, v1, 1.0
	s_delay_alu instid0(VALU_DEP_1) | instskip(NEXT) | instid1(VALU_DEP_1)
	v_fmac_f32_e32 v1, v186, v1
	v_mul_f32_e32 v186, v187, v1
	s_delay_alu instid0(VALU_DEP_1) | instskip(NEXT) | instid1(VALU_DEP_1)
	v_fma_f32 v188, -v0, v186, v187
	v_fmac_f32_e32 v186, v188, v1
	s_delay_alu instid0(VALU_DEP_1) | instskip(NEXT) | instid1(VALU_DEP_1)
	v_fma_f32 v0, -v0, v186, v187
	v_div_fmas_f32 v0, v0, v1, v186
	s_delay_alu instid0(VALU_DEP_1) | instskip(NEXT) | instid1(VALU_DEP_1)
	v_div_fixup_f32 v0, v0, v185, v184
	v_fmac_f32_e32 v185, v184, v0
	s_delay_alu instid0(VALU_DEP_1) | instskip(SKIP_1) | instid1(VALU_DEP_2)
	v_div_scale_f32 v1, null, v185, v185, 1.0
	v_div_scale_f32 v187, vcc_lo, 1.0, v185, 1.0
	v_rcp_f32_e32 v184, v1
	v_nop
	s_delay_alu instid0(TRANS32_DEP_1) | instskip(NEXT) | instid1(VALU_DEP_1)
	v_fma_f32 v186, -v1, v184, 1.0
	v_fmac_f32_e32 v184, v186, v184
	s_delay_alu instid0(VALU_DEP_1) | instskip(NEXT) | instid1(VALU_DEP_1)
	v_mul_f32_e32 v186, v187, v184
	v_fma_f32 v188, -v1, v186, v187
	s_delay_alu instid0(VALU_DEP_1) | instskip(NEXT) | instid1(VALU_DEP_1)
	v_fmac_f32_e32 v186, v188, v184
	v_fma_f32 v1, -v1, v186, v187
	s_delay_alu instid0(VALU_DEP_1) | instskip(NEXT) | instid1(VALU_DEP_1)
	v_div_fmas_f32 v1, v1, v184, v186
	v_div_fixup_f32 v1, v1, v185, 1.0
                                        ; implicit-def: $vgpr184_vgpr185
	s_delay_alu instid0(VALU_DEP_1)
	v_mul_f32_e32 v186, v0, v1
	v_xor_b32_e32 v187, 0x80000000, v1
.LBB75_140:
	s_and_not1_saveexec_b32 s1, s1
	s_cbranch_execz .LBB75_142
; %bb.141:
	v_div_scale_f32 v0, null, v184, v184, v185
	v_div_scale_f32 v187, vcc_lo, v185, v184, v185
	s_delay_alu instid0(VALU_DEP_2) | instskip(SKIP_1) | instid1(TRANS32_DEP_1)
	v_rcp_f32_e32 v1, v0
	v_nop
	v_fma_f32 v186, -v0, v1, 1.0
	s_delay_alu instid0(VALU_DEP_1) | instskip(NEXT) | instid1(VALU_DEP_1)
	v_fmac_f32_e32 v1, v186, v1
	v_mul_f32_e32 v186, v187, v1
	s_delay_alu instid0(VALU_DEP_1) | instskip(NEXT) | instid1(VALU_DEP_1)
	v_fma_f32 v188, -v0, v186, v187
	v_fmac_f32_e32 v186, v188, v1
	s_delay_alu instid0(VALU_DEP_1) | instskip(NEXT) | instid1(VALU_DEP_1)
	v_fma_f32 v0, -v0, v186, v187
	v_div_fmas_f32 v0, v0, v1, v186
	s_delay_alu instid0(VALU_DEP_1) | instskip(NEXT) | instid1(VALU_DEP_1)
	v_div_fixup_f32 v0, v0, v184, v185
	v_fmac_f32_e32 v184, v185, v0
	s_delay_alu instid0(VALU_DEP_1) | instskip(NEXT) | instid1(VALU_DEP_1)
	v_div_scale_f32 v1, null, v184, v184, 1.0
	v_rcp_f32_e32 v185, v1
	v_nop
	s_delay_alu instid0(TRANS32_DEP_1) | instskip(NEXT) | instid1(VALU_DEP_1)
	v_fma_f32 v186, -v1, v185, 1.0
	v_fmac_f32_e32 v185, v186, v185
	v_div_scale_f32 v186, vcc_lo, 1.0, v184, 1.0
	s_delay_alu instid0(VALU_DEP_1) | instskip(NEXT) | instid1(VALU_DEP_1)
	v_mul_f32_e32 v187, v186, v185
	v_fma_f32 v188, -v1, v187, v186
	s_delay_alu instid0(VALU_DEP_1) | instskip(NEXT) | instid1(VALU_DEP_1)
	v_fmac_f32_e32 v187, v188, v185
	v_fma_f32 v1, -v1, v187, v186
	s_delay_alu instid0(VALU_DEP_1) | instskip(NEXT) | instid1(VALU_DEP_1)
	v_div_fmas_f32 v1, v1, v185, v187
	v_div_fixup_f32 v186, v1, v184, 1.0
	s_delay_alu instid0(VALU_DEP_1)
	v_mul_f32_e64 v187, v0, -v186
.LBB75_142:
	s_or_b32 exec_lo, exec_lo, s1
	ds_store_b64 v231, v[186:187]
.LBB75_143:
	s_or_b32 exec_lo, exec_lo, s2
	s_wait_dscnt 0x0
	s_barrier_signal -1
	s_barrier_wait -1
	ds_load_b64 v[184:185], v231
	s_mov_b32 s1, exec_lo
	v_cmpx_lt_u32_e32 15, v230
	s_cbranch_execz .LBB75_145
; %bb.144:
	ds_load_2addr_b64 v[186:189], v232 offset0:16 offset1:17
	ds_load_2addr_b64 v[190:193], v232 offset0:18 offset1:19
	;; [unrolled: 1-line block ×3, first 2 shown]
	s_wait_dscnt 0x3
	v_pk_mul_f32 v[198:199], v[184:185], v[88:89] op_sel:[1,1] op_sel_hi:[0,1]
	s_delay_alu instid0(VALU_DEP_1)
	v_pk_fma_f32 v[206:207], v[184:185], v[88:89], v[198:199] op_sel_hi:[1,0,1] neg_lo:[0,0,1] neg_hi:[0,0,1]
	v_pk_fma_f32 v[208:209], v[184:185], v[88:89], v[198:199] op_sel_hi:[1,0,1]
	ds_load_2addr_b64 v[198:201], v232 offset0:22 offset1:23
	ds_load_2addr_b64 v[202:205], v232 offset0:24 offset1:25
	v_dual_mov_b32 v88, v206 :: v_dual_mov_b32 v89, v209
	s_wait_dscnt 0x4
	v_pk_mul_f32 v[210:211], v[186:187], v[208:209] op_sel:[0,1]
	v_pk_mul_f32 v[212:213], v[188:189], v[208:209] op_sel:[0,1]
	s_wait_dscnt 0x3
	v_pk_mul_f32 v[214:215], v[190:191], v[208:209] op_sel:[0,1]
	v_dual_mov_b32 v216, v193 :: v_dual_mov_b32 v217, v192
	v_dual_mul_f32 v218, v193, v209 :: v_dual_mul_f32 v220, v193, v206
	s_wait_dscnt 0x2
	v_pk_mul_f32 v[222:223], v[194:195], v[208:209] op_sel:[0,1]
	v_pk_mul_f32 v[224:225], v[196:197], v[208:209] op_sel:[0,1]
	v_pk_fma_f32 v[226:227], v[186:187], v[206:207], v[210:211] op_sel:[0,0,1] op_sel_hi:[1,1,0] neg_lo:[0,0,1] neg_hi:[0,0,1]
	v_pk_fma_f32 v[186:187], v[186:187], v[206:207], v[210:211] op_sel:[0,0,1] op_sel_hi:[1,0,0]
	v_pk_fma_f32 v[210:211], v[188:189], v[206:207], v[212:213] op_sel:[0,0,1] op_sel_hi:[1,1,0] neg_lo:[0,0,1] neg_hi:[0,0,1]
	v_pk_fma_f32 v[188:189], v[188:189], v[206:207], v[212:213] op_sel:[0,0,1] op_sel_hi:[1,0,0]
	v_pk_fma_f32 v[212:213], v[190:191], v[206:207], v[214:215] op_sel:[0,0,1] op_sel_hi:[1,1,0] neg_lo:[0,0,1] neg_hi:[0,0,1]
	v_pk_fma_f32 v[190:191], v[190:191], v[206:207], v[214:215] op_sel:[0,0,1] op_sel_hi:[1,0,0]
	v_pk_fma_f32 v[214:215], v[216:217], v[88:89], v[220:221] op_sel_hi:[1,1,0]
	v_pk_fma_f32 v[216:217], v[194:195], v[206:207], v[222:223] op_sel:[0,0,1] op_sel_hi:[1,1,0] neg_lo:[0,0,1] neg_hi:[0,0,1]
	v_pk_fma_f32 v[194:195], v[194:195], v[206:207], v[222:223] op_sel:[0,0,1] op_sel_hi:[1,0,0]
	v_dual_mov_b32 v227, v187 :: v_dual_mov_b32 v211, v189
	v_pk_fma_f32 v[186:187], v[196:197], v[206:207], v[224:225] op_sel:[0,0,1] op_sel_hi:[1,0,0]
	v_pk_fma_f32 v[192:193], v[192:193], v[88:89], v[218:219] op_sel_hi:[1,1,0] neg_lo:[0,0,1] neg_hi:[0,0,1]
	v_dual_mov_b32 v213, v191 :: v_dual_mov_b32 v193, v215
	v_mov_b32_e32 v217, v195
	s_wait_dscnt 0x1
	v_pk_mul_f32 v[190:191], v[198:199], v[208:209] op_sel:[0,1]
	v_pk_fma_f32 v[194:195], v[196:197], v[206:207], v[224:225] op_sel:[0,0,1] op_sel_hi:[1,1,0] neg_lo:[0,0,1] neg_hi:[0,0,1]
	v_mov_b32_e32 v195, v187
	ds_load_2addr_b64 v[186:189], v232 offset0:26 offset1:27
	v_pk_add_f32 v[104:105], v[104:105], v[192:193] neg_lo:[0,1] neg_hi:[0,1]
	v_pk_fma_f32 v[196:197], v[198:199], v[206:207], v[190:191] op_sel:[0,0,1] op_sel_hi:[1,0,0]
	v_pk_fma_f32 v[198:199], v[198:199], v[206:207], v[190:191] op_sel:[0,0,1] op_sel_hi:[1,1,0] neg_lo:[0,0,1] neg_hi:[0,0,1]
	ds_load_2addr_b64 v[190:193], v232 offset0:28 offset1:29
	v_pk_add_f32 v[106:107], v[106:107], v[210:211] neg_lo:[0,1] neg_hi:[0,1]
	v_pk_mul_f32 v[210:211], v[200:201], v[208:209] op_sel:[0,1]
	v_pk_add_f32 v[86:87], v[86:87], v[212:213] neg_lo:[0,1] neg_hi:[0,1]
	s_wait_dscnt 0x2
	v_dual_mul_f32 v196, v203, v206 :: v_dual_mov_b32 v199, v197
	v_pk_add_f32 v[128:129], v[128:129], v[194:195] neg_lo:[0,1] neg_hi:[0,1]
	v_pk_fma_f32 v[212:213], v[200:201], v[206:207], v[210:211] op_sel:[0,0,1] op_sel_hi:[1,0,0]
	v_pk_fma_f32 v[200:201], v[200:201], v[206:207], v[210:211] op_sel:[0,0,1] op_sel_hi:[1,1,0] neg_lo:[0,0,1] neg_hi:[0,0,1]
	v_pk_mul_f32 v[210:211], v[204:205], v[208:209] op_sel:[0,1]
	v_mul_f32_e32 v212, v203, v209
	v_pk_fma_f32 v[196:197], v[202:203], v[88:89], v[196:197] op_sel:[1,0,0] op_sel_hi:[0,1,0]
	v_mov_b32_e32 v201, v213
	v_pk_add_f32 v[102:103], v[102:103], v[198:199] neg_lo:[0,1] neg_hi:[0,1]
	v_pk_fma_f32 v[194:195], v[204:205], v[206:207], v[210:211] op_sel:[0,0,1] op_sel_hi:[1,0,0]
	v_pk_fma_f32 v[202:203], v[202:203], v[88:89], v[212:213] op_sel_hi:[1,1,0] neg_lo:[0,0,1] neg_hi:[0,0,1]
	v_pk_fma_f32 v[198:199], v[204:205], v[206:207], v[210:211] op_sel:[0,0,1] op_sel_hi:[1,1,0] neg_lo:[0,0,1] neg_hi:[0,0,1]
	v_mov_b32_e32 v203, v197
	v_pk_add_f32 v[126:127], v[126:127], v[200:201] neg_lo:[0,1] neg_hi:[0,1]
	v_mov_b32_e32 v199, v195
	s_wait_dscnt 0x1
	v_pk_mul_f32 v[200:201], v[186:187], v[208:209] op_sel:[0,1]
	ds_load_2addr_b64 v[194:197], v232 offset0:30 offset1:31
	s_wait_dscnt 0x1
	v_pk_mul_f32 v[204:205], v[190:191], v[208:209] op_sel:[0,1]
	v_pk_add_f32 v[144:145], v[144:145], v[202:203] neg_lo:[0,1] neg_hi:[0,1]
	v_pk_mul_f32 v[202:203], v[188:189], v[208:209] op_sel:[0,1]
	v_pk_add_f32 v[142:143], v[142:143], v[198:199] neg_lo:[0,1] neg_hi:[0,1]
	v_pk_fma_f32 v[210:211], v[186:187], v[206:207], v[200:201] op_sel:[0,0,1] op_sel_hi:[1,0,0]
	v_pk_fma_f32 v[186:187], v[186:187], v[206:207], v[200:201] op_sel:[0,0,1] op_sel_hi:[1,1,0] neg_lo:[0,0,1] neg_hi:[0,0,1]
	ds_load_2addr_b64 v[198:201], v232 offset0:32 offset1:33
	v_pk_fma_f32 v[214:215], v[190:191], v[206:207], v[204:205] op_sel:[0,0,1] op_sel_hi:[1,0,0]
	v_pk_fma_f32 v[212:213], v[188:189], v[206:207], v[202:203] op_sel:[0,0,1] op_sel_hi:[1,0,0]
	v_pk_fma_f32 v[190:191], v[190:191], v[206:207], v[204:205] op_sel:[0,0,1] op_sel_hi:[1,1,0] neg_lo:[0,0,1] neg_hi:[0,0,1]
	v_pk_fma_f32 v[188:189], v[188:189], v[206:207], v[202:203] op_sel:[0,0,1] op_sel_hi:[1,1,0] neg_lo:[0,0,1] neg_hi:[0,0,1]
	s_delay_alu instid0(VALU_DEP_4) | instskip(SKIP_2) | instid1(VALU_DEP_3)
	v_dual_mov_b32 v202, v193 :: v_dual_mov_b32 v191, v215
	v_dual_mov_b32 v203, v192 :: v_dual_mul_f32 v204, v193, v206
	v_dual_mov_b32 v187, v211 :: v_dual_mov_b32 v189, v213
	v_pk_add_f32 v[148:149], v[148:149], v[190:191] neg_lo:[0,1] neg_hi:[0,1]
	v_pk_add_f32 v[130:131], v[130:131], v[216:217] neg_lo:[0,1] neg_hi:[0,1]
	s_delay_alu instid0(VALU_DEP_4)
	v_pk_fma_f32 v[202:203], v[202:203], v[88:89], v[204:205] op_sel_hi:[1,1,0]
	v_mul_f32_e32 v190, v193, v209
	v_pk_add_f32 v[150:151], v[150:151], v[186:187] neg_lo:[0,1] neg_hi:[0,1]
	v_pk_add_f32 v[140:141], v[140:141], v[188:189] neg_lo:[0,1] neg_hi:[0,1]
	s_wait_dscnt 0x1
	v_pk_mul_f32 v[204:205], v[194:195], v[208:209] op_sel:[0,1]
	ds_load_2addr_b64 v[186:189], v232 offset0:34 offset1:35
	v_pk_mul_f32 v[210:211], v[196:197], v[208:209] op_sel:[0,1]
	v_pk_fma_f32 v[212:213], v[192:193], v[88:89], v[190:191] op_sel_hi:[1,1,0] neg_lo:[0,0,1] neg_hi:[0,0,1]
	v_mov_b32_e32 v213, v203
	v_pk_fma_f32 v[202:203], v[194:195], v[206:207], v[204:205] op_sel:[0,0,1] op_sel_hi:[1,0,0]
	s_wait_dscnt 0x1
	v_pk_mul_f32 v[214:215], v[198:199], v[208:209] op_sel:[0,1]
	ds_load_2addr_b64 v[190:193], v232 offset0:36 offset1:37
	v_pk_fma_f32 v[216:217], v[196:197], v[206:207], v[210:211] op_sel:[0,0,1] op_sel_hi:[1,0,0]
	v_pk_fma_f32 v[194:195], v[194:195], v[206:207], v[204:205] op_sel:[0,0,1] op_sel_hi:[1,1,0] neg_lo:[0,0,1] neg_hi:[0,0,1]
	v_mov_b32_e32 v195, v203
	v_pk_fma_f32 v[202:203], v[198:199], v[206:207], v[214:215] op_sel:[0,0,1] op_sel_hi:[1,0,0]
	v_pk_mul_f32 v[204:205], v[200:201], v[208:209] op_sel:[0,1]
	v_pk_fma_f32 v[196:197], v[196:197], v[206:207], v[210:211] op_sel:[0,0,1] op_sel_hi:[1,1,0] neg_lo:[0,0,1] neg_hi:[0,0,1]
	v_mov_b32_e32 v197, v217
	v_pk_fma_f32 v[198:199], v[198:199], v[206:207], v[214:215] op_sel:[0,0,1] op_sel_hi:[1,1,0] neg_lo:[0,0,1] neg_hi:[0,0,1]
	v_pk_add_f32 v[116:117], v[116:117], v[194:195] neg_lo:[0,1] neg_hi:[0,1]
	v_pk_fma_f32 v[194:195], v[200:201], v[206:207], v[204:205] op_sel:[0,0,1] op_sel_hi:[1,0,0]
	v_mov_b32_e32 v199, v203
	v_pk_add_f32 v[112:113], v[112:113], v[196:197] neg_lo:[0,1] neg_hi:[0,1]
	v_pk_fma_f32 v[196:197], v[200:201], v[206:207], v[204:205] op_sel:[0,0,1] op_sel_hi:[1,1,0] neg_lo:[0,0,1] neg_hi:[0,0,1]
	s_wait_dscnt 0x1
	v_mul_f32_e32 v194, v187, v206
	v_mov_b32_e32 v197, v195
	v_pk_add_f32 v[134:135], v[134:135], v[198:199] neg_lo:[0,1] neg_hi:[0,1]
	v_mul_f32_e32 v198, v187, v209
	v_pk_mul_f32 v[200:201], v[188:189], v[208:209] op_sel:[0,1]
	v_pk_fma_f32 v[194:195], v[186:187], v[88:89], v[194:195] op_sel:[1,0,0] op_sel_hi:[0,1,0]
	s_wait_dscnt 0x0
	v_pk_mul_f32 v[202:203], v[190:191], v[208:209] op_sel:[0,1]
	v_pk_add_f32 v[108:109], v[108:109], v[226:227] neg_lo:[0,1] neg_hi:[0,1]
	v_pk_fma_f32 v[186:187], v[186:187], v[88:89], v[198:199] op_sel_hi:[1,1,0] neg_lo:[0,0,1] neg_hi:[0,0,1]
	v_pk_mul_f32 v[198:199], v[192:193], v[208:209] op_sel:[0,1]
	v_pk_fma_f32 v[204:205], v[188:189], v[206:207], v[200:201] op_sel:[0,0,1] op_sel_hi:[1,0,0]
	v_mov_b32_e32 v187, v195
	v_pk_fma_f32 v[194:195], v[190:191], v[206:207], v[202:203] op_sel:[0,0,1] op_sel_hi:[1,0,0]
	v_pk_fma_f32 v[188:189], v[188:189], v[206:207], v[200:201] op_sel:[0,0,1] op_sel_hi:[1,1,0] neg_lo:[0,0,1] neg_hi:[0,0,1]
	v_pk_fma_f32 v[200:201], v[192:193], v[206:207], v[198:199] op_sel:[0,0,1] op_sel_hi:[1,0,0]
	v_pk_fma_f32 v[190:191], v[190:191], v[206:207], v[202:203] op_sel:[0,0,1] op_sel_hi:[1,1,0] neg_lo:[0,0,1] neg_hi:[0,0,1]
	v_pk_fma_f32 v[192:193], v[192:193], v[206:207], v[198:199] op_sel:[0,0,1] op_sel_hi:[1,1,0] neg_lo:[0,0,1] neg_hi:[0,0,1]
	v_dual_mov_b32 v189, v205 :: v_dual_mov_b32 v191, v195
	s_delay_alu instid0(VALU_DEP_4)
	v_mov_b32_e32 v193, v201
	v_pk_add_f32 v[114:115], v[114:115], v[212:213] neg_lo:[0,1] neg_hi:[0,1]
	v_pk_add_f32 v[132:133], v[132:133], v[196:197] neg_lo:[0,1] neg_hi:[0,1]
	;; [unrolled: 1-line block ×6, first 2 shown]
.LBB75_145:
	s_or_b32 exec_lo, exec_lo, s1
	s_delay_alu instid0(SALU_CYCLE_1)
	s_mov_b32 s2, exec_lo
	s_wait_dscnt 0x0
	s_barrier_signal -1
	s_barrier_wait -1
	v_cmpx_eq_u32_e32 16, v230
	s_cbranch_execz .LBB75_152
; %bb.146:
	ds_store_b64 v231, v[108:109]
	ds_store_2addr_b64 v232, v[106:107], v[86:87] offset0:17 offset1:18
	ds_store_2addr_b64 v232, v[104:105], v[130:131] offset0:19 offset1:20
	;; [unrolled: 1-line block ×10, first 2 shown]
	ds_store_b64 v232, v[152:153] offset:296
	ds_load_b64 v[186:187], v231
	s_wait_dscnt 0x0
	v_cmp_neq_f32_e32 vcc_lo, 0, v186
	v_cmp_neq_f32_e64 s1, 0, v187
	s_or_b32 s1, vcc_lo, s1
	s_delay_alu instid0(SALU_CYCLE_1)
	s_and_b32 exec_lo, exec_lo, s1
	s_cbranch_execz .LBB75_152
; %bb.147:
	v_cmp_ngt_f32_e64 s1, |v186|, |v187|
                                        ; implicit-def: $vgpr188_vgpr189
	s_and_saveexec_b32 s4, s1
	s_delay_alu instid0(SALU_CYCLE_1)
	s_xor_b32 s1, exec_lo, s4
	s_cbranch_execz .LBB75_149
; %bb.148:
	v_div_scale_f32 v0, null, v187, v187, v186
	v_div_scale_f32 v189, vcc_lo, v186, v187, v186
	s_delay_alu instid0(VALU_DEP_2) | instskip(SKIP_1) | instid1(TRANS32_DEP_1)
	v_rcp_f32_e32 v1, v0
	v_nop
	v_fma_f32 v188, -v0, v1, 1.0
	s_delay_alu instid0(VALU_DEP_1) | instskip(NEXT) | instid1(VALU_DEP_1)
	v_fmac_f32_e32 v1, v188, v1
	v_mul_f32_e32 v188, v189, v1
	s_delay_alu instid0(VALU_DEP_1) | instskip(NEXT) | instid1(VALU_DEP_1)
	v_fma_f32 v190, -v0, v188, v189
	v_fmac_f32_e32 v188, v190, v1
	s_delay_alu instid0(VALU_DEP_1) | instskip(NEXT) | instid1(VALU_DEP_1)
	v_fma_f32 v0, -v0, v188, v189
	v_div_fmas_f32 v0, v0, v1, v188
	s_delay_alu instid0(VALU_DEP_1) | instskip(NEXT) | instid1(VALU_DEP_1)
	v_div_fixup_f32 v0, v0, v187, v186
	v_fmac_f32_e32 v187, v186, v0
	s_delay_alu instid0(VALU_DEP_1) | instskip(SKIP_1) | instid1(VALU_DEP_2)
	v_div_scale_f32 v1, null, v187, v187, 1.0
	v_div_scale_f32 v189, vcc_lo, 1.0, v187, 1.0
	v_rcp_f32_e32 v186, v1
	v_nop
	s_delay_alu instid0(TRANS32_DEP_1) | instskip(NEXT) | instid1(VALU_DEP_1)
	v_fma_f32 v188, -v1, v186, 1.0
	v_fmac_f32_e32 v186, v188, v186
	s_delay_alu instid0(VALU_DEP_1) | instskip(NEXT) | instid1(VALU_DEP_1)
	v_mul_f32_e32 v188, v189, v186
	v_fma_f32 v190, -v1, v188, v189
	s_delay_alu instid0(VALU_DEP_1) | instskip(NEXT) | instid1(VALU_DEP_1)
	v_fmac_f32_e32 v188, v190, v186
	v_fma_f32 v1, -v1, v188, v189
	s_delay_alu instid0(VALU_DEP_1) | instskip(NEXT) | instid1(VALU_DEP_1)
	v_div_fmas_f32 v1, v1, v186, v188
	v_div_fixup_f32 v1, v1, v187, 1.0
                                        ; implicit-def: $vgpr186_vgpr187
	s_delay_alu instid0(VALU_DEP_1)
	v_mul_f32_e32 v188, v0, v1
	v_xor_b32_e32 v189, 0x80000000, v1
.LBB75_149:
	s_and_not1_saveexec_b32 s1, s1
	s_cbranch_execz .LBB75_151
; %bb.150:
	v_div_scale_f32 v0, null, v186, v186, v187
	v_div_scale_f32 v189, vcc_lo, v187, v186, v187
	s_delay_alu instid0(VALU_DEP_2) | instskip(SKIP_1) | instid1(TRANS32_DEP_1)
	v_rcp_f32_e32 v1, v0
	v_nop
	v_fma_f32 v188, -v0, v1, 1.0
	s_delay_alu instid0(VALU_DEP_1) | instskip(NEXT) | instid1(VALU_DEP_1)
	v_fmac_f32_e32 v1, v188, v1
	v_mul_f32_e32 v188, v189, v1
	s_delay_alu instid0(VALU_DEP_1) | instskip(NEXT) | instid1(VALU_DEP_1)
	v_fma_f32 v190, -v0, v188, v189
	v_fmac_f32_e32 v188, v190, v1
	s_delay_alu instid0(VALU_DEP_1) | instskip(NEXT) | instid1(VALU_DEP_1)
	v_fma_f32 v0, -v0, v188, v189
	v_div_fmas_f32 v0, v0, v1, v188
	s_delay_alu instid0(VALU_DEP_1) | instskip(NEXT) | instid1(VALU_DEP_1)
	v_div_fixup_f32 v0, v0, v186, v187
	v_fmac_f32_e32 v186, v187, v0
	s_delay_alu instid0(VALU_DEP_1) | instskip(NEXT) | instid1(VALU_DEP_1)
	v_div_scale_f32 v1, null, v186, v186, 1.0
	v_rcp_f32_e32 v187, v1
	v_nop
	s_delay_alu instid0(TRANS32_DEP_1) | instskip(NEXT) | instid1(VALU_DEP_1)
	v_fma_f32 v188, -v1, v187, 1.0
	v_fmac_f32_e32 v187, v188, v187
	v_div_scale_f32 v188, vcc_lo, 1.0, v186, 1.0
	s_delay_alu instid0(VALU_DEP_1) | instskip(NEXT) | instid1(VALU_DEP_1)
	v_mul_f32_e32 v189, v188, v187
	v_fma_f32 v190, -v1, v189, v188
	s_delay_alu instid0(VALU_DEP_1) | instskip(NEXT) | instid1(VALU_DEP_1)
	v_fmac_f32_e32 v189, v190, v187
	v_fma_f32 v1, -v1, v189, v188
	s_delay_alu instid0(VALU_DEP_1) | instskip(NEXT) | instid1(VALU_DEP_1)
	v_div_fmas_f32 v1, v1, v187, v189
	v_div_fixup_f32 v188, v1, v186, 1.0
	s_delay_alu instid0(VALU_DEP_1)
	v_mul_f32_e64 v189, v0, -v188
.LBB75_151:
	s_or_b32 exec_lo, exec_lo, s1
	ds_store_b64 v231, v[188:189]
.LBB75_152:
	s_or_b32 exec_lo, exec_lo, s2
	s_wait_dscnt 0x0
	s_barrier_signal -1
	s_barrier_wait -1
	ds_load_b64 v[186:187], v231
	s_mov_b32 s1, exec_lo
	v_cmpx_lt_u32_e32 16, v230
	s_cbranch_execz .LBB75_154
; %bb.153:
	ds_load_2addr_b64 v[188:191], v232 offset0:17 offset1:18
	ds_load_2addr_b64 v[192:195], v232 offset0:19 offset1:20
	;; [unrolled: 1-line block ×3, first 2 shown]
	s_wait_dscnt 0x3
	v_pk_mul_f32 v[200:201], v[186:187], v[108:109] op_sel:[1,1] op_sel_hi:[0,1]
	s_delay_alu instid0(VALU_DEP_1)
	v_pk_fma_f32 v[210:211], v[186:187], v[108:109], v[200:201] op_sel_hi:[1,0,1]
	v_pk_fma_f32 v[208:209], v[186:187], v[108:109], v[200:201] op_sel_hi:[1,0,1] neg_lo:[0,0,1] neg_hi:[0,0,1]
	ds_load_2addr_b64 v[200:203], v232 offset0:23 offset1:24
	ds_load_2addr_b64 v[204:207], v232 offset0:25 offset1:26
	v_dual_mov_b32 v109, v211 :: v_dual_mov_b32 v108, v208
	s_wait_dscnt 0x4
	v_pk_mul_f32 v[212:213], v[188:189], v[210:211] op_sel:[0,1]
	v_pk_mul_f32 v[214:215], v[190:191], v[210:211] op_sel:[0,1]
	s_wait_dscnt 0x3
	v_pk_mul_f32 v[216:217], v[192:193], v[210:211] op_sel:[0,1]
	s_wait_dscnt 0x2
	v_pk_mul_f32 v[224:225], v[196:197], v[210:211] op_sel:[0,1]
	v_dual_mov_b32 v218, v195 :: v_dual_mov_b32 v219, v194
	v_pk_fma_f32 v[228:229], v[188:189], v[208:209], v[212:213] op_sel:[0,0,1] op_sel_hi:[1,1,0] neg_lo:[0,0,1] neg_hi:[0,0,1]
	v_pk_fma_f32 v[188:189], v[188:189], v[208:209], v[212:213] op_sel:[0,0,1] op_sel_hi:[1,0,0]
	v_dual_mul_f32 v220, v195, v211 :: v_dual_mul_f32 v222, v195, v208
	v_pk_mul_f32 v[226:227], v[198:199], v[210:211] op_sel:[0,1]
	v_pk_fma_f32 v[212:213], v[190:191], v[208:209], v[214:215] op_sel:[0,0,1] op_sel_hi:[1,1,0] neg_lo:[0,0,1] neg_hi:[0,0,1]
	v_pk_fma_f32 v[190:191], v[190:191], v[208:209], v[214:215] op_sel:[0,0,1] op_sel_hi:[1,0,0]
	v_pk_fma_f32 v[214:215], v[192:193], v[208:209], v[216:217] op_sel:[0,0,1] op_sel_hi:[1,1,0] neg_lo:[0,0,1] neg_hi:[0,0,1]
	v_pk_fma_f32 v[192:193], v[192:193], v[208:209], v[216:217] op_sel:[0,0,1] op_sel_hi:[1,0,0]
	v_mov_b32_e32 v229, v189
	v_pk_fma_f32 v[188:189], v[196:197], v[208:209], v[224:225] op_sel:[0,0,1] op_sel_hi:[1,0,0]
	v_pk_fma_f32 v[216:217], v[218:219], v[108:109], v[222:223] op_sel_hi:[1,1,0]
	v_pk_fma_f32 v[218:219], v[196:197], v[208:209], v[224:225] op_sel:[0,0,1] op_sel_hi:[1,1,0] neg_lo:[0,0,1] neg_hi:[0,0,1]
	v_dual_mov_b32 v213, v191 :: v_dual_mov_b32 v215, v193
	v_pk_fma_f32 v[192:193], v[198:199], v[208:209], v[226:227] op_sel:[0,0,1] op_sel_hi:[1,0,0]
	v_mov_b32_e32 v219, v189
	s_wait_dscnt 0x1
	v_pk_mul_f32 v[196:197], v[200:201], v[210:211] op_sel:[0,1]
	ds_load_2addr_b64 v[188:191], v232 offset0:27 offset1:28
	v_pk_fma_f32 v[194:195], v[194:195], v[108:109], v[220:221] op_sel_hi:[1,1,0] neg_lo:[0,0,1] neg_hi:[0,0,1]
	v_pk_fma_f32 v[198:199], v[198:199], v[208:209], v[226:227] op_sel:[0,0,1] op_sel_hi:[1,1,0] neg_lo:[0,0,1] neg_hi:[0,0,1]
	v_mov_b32_e32 v195, v217
	v_pk_add_f32 v[86:87], v[86:87], v[212:213] neg_lo:[0,1] neg_hi:[0,1]
	v_mov_b32_e32 v199, v193
	v_pk_mul_f32 v[212:213], v[202:203], v[210:211] op_sel:[0,1]
	v_pk_fma_f32 v[192:193], v[200:201], v[208:209], v[196:197] op_sel:[0,0,1] op_sel_hi:[1,0,0]
	v_pk_fma_f32 v[196:197], v[200:201], v[208:209], v[196:197] op_sel:[0,0,1] op_sel_hi:[1,1,0] neg_lo:[0,0,1] neg_hi:[0,0,1]
	v_pk_add_f32 v[130:131], v[130:131], v[194:195] neg_lo:[0,1] neg_hi:[0,1]
	v_pk_add_f32 v[102:103], v[102:103], v[198:199] neg_lo:[0,1] neg_hi:[0,1]
	v_pk_fma_f32 v[198:199], v[202:203], v[208:209], v[212:213] op_sel:[0,0,1] op_sel_hi:[1,0,0]
	v_mov_b32_e32 v197, v193
	ds_load_2addr_b64 v[192:195], v232 offset0:29 offset1:30
	v_pk_fma_f32 v[200:201], v[202:203], v[208:209], v[212:213] op_sel:[0,0,1] op_sel_hi:[1,1,0] neg_lo:[0,0,1] neg_hi:[0,0,1]
	s_wait_dscnt 0x2
	v_dual_mul_f32 v198, v205, v208 :: v_dual_mul_f32 v202, v205, v211
	v_mov_b32_e32 v201, v199
	v_pk_add_f32 v[126:127], v[126:127], v[196:197] neg_lo:[0,1] neg_hi:[0,1]
	v_pk_mul_f32 v[196:197], v[206:207], v[210:211] op_sel:[0,1]
	s_delay_alu instid0(VALU_DEP_4)
	v_pk_fma_f32 v[198:199], v[204:205], v[108:109], v[198:199] op_sel:[1,0,0] op_sel_hi:[0,1,0]
	v_pk_fma_f32 v[202:203], v[204:205], v[108:109], v[202:203] op_sel_hi:[1,1,0] neg_lo:[0,0,1] neg_hi:[0,0,1]
	v_pk_add_f32 v[144:145], v[144:145], v[200:201] neg_lo:[0,1] neg_hi:[0,1]
	s_wait_dscnt 0x1
	v_pk_mul_f32 v[200:201], v[188:189], v[210:211] op_sel:[0,1]
	v_pk_fma_f32 v[212:213], v[206:207], v[208:209], v[196:197] op_sel:[0,0,1] op_sel_hi:[1,0,0]
	v_mov_b32_e32 v203, v199
	v_pk_fma_f32 v[204:205], v[206:207], v[208:209], v[196:197] op_sel:[0,0,1] op_sel_hi:[1,1,0] neg_lo:[0,0,1] neg_hi:[0,0,1]
	ds_load_2addr_b64 v[196:199], v232 offset0:31 offset1:32
	v_pk_fma_f32 v[206:207], v[188:189], v[208:209], v[200:201] op_sel:[0,0,1] op_sel_hi:[1,0,0]
	v_pk_fma_f32 v[188:189], v[188:189], v[208:209], v[200:201] op_sel:[0,0,1] op_sel_hi:[1,1,0] neg_lo:[0,0,1] neg_hi:[0,0,1]
	v_pk_mul_f32 v[200:201], v[190:191], v[210:211] op_sel:[0,1]
	v_mov_b32_e32 v205, v213
	v_pk_add_f32 v[142:143], v[142:143], v[202:203] neg_lo:[0,1] neg_hi:[0,1]
	v_pk_add_f32 v[104:105], v[104:105], v[214:215] neg_lo:[0,1] neg_hi:[0,1]
	;; [unrolled: 1-line block ×3, first 2 shown]
	v_pk_fma_f32 v[202:203], v[190:191], v[208:209], v[200:201] op_sel:[0,0,1] op_sel_hi:[1,0,0]
	v_mov_b32_e32 v189, v207
	s_wait_dscnt 0x1
	v_pk_mul_f32 v[206:207], v[192:193], v[210:211] op_sel:[0,1]
	v_pk_fma_f32 v[200:201], v[190:191], v[208:209], v[200:201] op_sel:[0,0,1] op_sel_hi:[1,1,0] neg_lo:[0,0,1] neg_hi:[0,0,1]
	v_pk_add_f32 v[150:151], v[150:151], v[204:205] neg_lo:[0,1] neg_hi:[0,1]
	v_mov_b32_e32 v201, v203
	v_pk_add_f32 v[140:141], v[140:141], v[188:189] neg_lo:[0,1] neg_hi:[0,1]
	v_pk_fma_f32 v[204:205], v[192:193], v[208:209], v[206:207] op_sel:[0,0,1] op_sel_hi:[1,0,0]
	ds_load_2addr_b64 v[188:191], v232 offset0:33 offset1:34
	v_pk_fma_f32 v[192:193], v[192:193], v[208:209], v[206:207] op_sel:[0,0,1] op_sel_hi:[1,1,0] neg_lo:[0,0,1] neg_hi:[0,0,1]
	v_dual_mov_b32 v202, v195 :: v_dual_mov_b32 v203, v194
	v_dual_mul_f32 v204, v195, v208 :: v_dual_mov_b32 v193, v205
	v_pk_add_f32 v[148:149], v[148:149], v[200:201] neg_lo:[0,1] neg_hi:[0,1]
	ds_load_b64 v[214:215], v232 offset:296
	s_wait_dscnt 0x2
	v_pk_mul_f32 v[206:207], v[196:197], v[210:211] op_sel:[0,1]
	v_pk_fma_f32 v[204:205], v[202:203], v[108:109], v[204:205] op_sel_hi:[1,1,0]
	ds_load_2addr_b64 v[200:203], v232 offset0:35 offset1:36
	v_pk_add_f32 v[114:115], v[114:115], v[192:193] neg_lo:[0,1] neg_hi:[0,1]
	v_mul_f32_e32 v192, v195, v211
	v_pk_mul_f32 v[212:213], v[198:199], v[210:211] op_sel:[0,1]
	v_pk_add_f32 v[128:129], v[128:129], v[218:219] neg_lo:[0,1] neg_hi:[0,1]
	s_delay_alu instid0(VALU_DEP_3)
	v_pk_fma_f32 v[192:193], v[194:195], v[108:109], v[192:193] op_sel_hi:[1,1,0] neg_lo:[0,0,1] neg_hi:[0,0,1]
	v_pk_fma_f32 v[194:195], v[196:197], v[208:209], v[206:207] op_sel:[0,0,1] op_sel_hi:[1,0,0]
	v_mov_b32_e32 v193, v205
	v_pk_fma_f32 v[204:205], v[198:199], v[208:209], v[212:213] op_sel:[0,0,1] op_sel_hi:[1,0,0]
	v_pk_fma_f32 v[196:197], v[196:197], v[208:209], v[206:207] op_sel:[0,0,1] op_sel_hi:[1,1,0] neg_lo:[0,0,1] neg_hi:[0,0,1]
	s_wait_dscnt 0x2
	v_pk_mul_f32 v[206:207], v[188:189], v[210:211] op_sel:[0,1]
	v_mov_b32_e32 v197, v195
	v_pk_fma_f32 v[194:195], v[198:199], v[208:209], v[212:213] op_sel:[0,0,1] op_sel_hi:[1,1,0] neg_lo:[0,0,1] neg_hi:[0,0,1]
	v_mov_b32_e32 v195, v205
	v_pk_add_f32 v[116:117], v[116:117], v[192:193] neg_lo:[0,1] neg_hi:[0,1]
	v_pk_fma_f32 v[192:193], v[188:189], v[208:209], v[206:207] op_sel:[0,0,1] op_sel_hi:[1,0,0]
	v_pk_mul_f32 v[198:199], v[190:191], v[210:211] op_sel:[0,1]
	v_pk_fma_f32 v[188:189], v[188:189], v[208:209], v[206:207] op_sel:[0,0,1] op_sel_hi:[1,1,0] neg_lo:[0,0,1] neg_hi:[0,0,1]
	v_pk_add_f32 v[134:135], v[134:135], v[194:195] neg_lo:[0,1] neg_hi:[0,1]
	s_wait_dscnt 0x0
	v_mul_f32_e32 v194, v201, v208
	v_mov_b32_e32 v189, v193
	v_pk_fma_f32 v[192:193], v[190:191], v[208:209], v[198:199] op_sel:[0,0,1] op_sel_hi:[1,1,0] neg_lo:[0,0,1] neg_hi:[0,0,1]
	v_pk_fma_f32 v[190:191], v[190:191], v[208:209], v[198:199] op_sel:[0,0,1] op_sel_hi:[1,0,0]
	v_pk_add_f32 v[112:113], v[112:113], v[196:197] neg_lo:[0,1] neg_hi:[0,1]
	v_pk_mul_f32 v[196:197], v[202:203], v[210:211] op_sel:[0,1]
	v_mul_f32_e32 v190, v201, v211
	v_pk_mul_f32 v[198:199], v[214:215], v[210:211] op_sel:[0,1]
	v_pk_fma_f32 v[194:195], v[200:201], v[108:109], v[194:195] op_sel:[1,0,0] op_sel_hi:[0,1,0]
	v_mov_b32_e32 v193, v191
	v_pk_fma_f32 v[204:205], v[202:203], v[208:209], v[196:197] op_sel:[0,0,1] op_sel_hi:[1,0,0]
	v_pk_fma_f32 v[190:191], v[200:201], v[108:109], v[190:191] op_sel_hi:[1,1,0] neg_lo:[0,0,1] neg_hi:[0,0,1]
	v_pk_fma_f32 v[200:201], v[214:215], v[208:209], v[198:199] op_sel:[0,0,1] op_sel_hi:[1,0,0]
	v_mov_b32_e32 v191, v195
	v_pk_fma_f32 v[194:195], v[202:203], v[208:209], v[196:197] op_sel:[0,0,1] op_sel_hi:[1,1,0] neg_lo:[0,0,1] neg_hi:[0,0,1]
	v_pk_fma_f32 v[196:197], v[214:215], v[208:209], v[198:199] op_sel:[0,0,1] op_sel_hi:[1,1,0] neg_lo:[0,0,1] neg_hi:[0,0,1]
	s_delay_alu instid0(VALU_DEP_4) | instskip(SKIP_3) | instid1(VALU_DEP_4)
	v_dual_mov_b32 v195, v205 :: v_dual_mov_b32 v197, v201
	v_pk_add_f32 v[132:133], v[132:133], v[188:189] neg_lo:[0,1] neg_hi:[0,1]
	v_pk_add_f32 v[146:147], v[146:147], v[192:193] neg_lo:[0,1] neg_hi:[0,1]
	;; [unrolled: 1-line block ×5, first 2 shown]
.LBB75_154:
	s_or_b32 exec_lo, exec_lo, s1
	s_delay_alu instid0(SALU_CYCLE_1)
	s_mov_b32 s2, exec_lo
	s_wait_dscnt 0x0
	s_barrier_signal -1
	s_barrier_wait -1
	v_cmpx_eq_u32_e32 17, v230
	s_cbranch_execz .LBB75_161
; %bb.155:
	v_dual_mov_b32 v188, v86 :: v_dual_mov_b32 v189, v87
	v_dual_mov_b32 v190, v104 :: v_dual_mov_b32 v191, v105
	;; [unrolled: 1-line block ×8, first 2 shown]
	ds_store_b64 v231, v[106:107]
	ds_store_2addr_b64 v232, v[188:189], v[190:191] offset0:18 offset1:19
	ds_store_2addr_b64 v232, v[192:193], v[194:195] offset0:20 offset1:21
	;; [unrolled: 1-line block ×4, first 2 shown]
	v_dual_mov_b32 v188, v150 :: v_dual_mov_b32 v189, v151
	v_dual_mov_b32 v190, v140 :: v_dual_mov_b32 v191, v141
	;; [unrolled: 1-line block ×11, first 2 shown]
	ds_store_2addr_b64 v232, v[188:189], v[190:191] offset0:26 offset1:27
	ds_store_2addr_b64 v232, v[192:193], v[194:195] offset0:28 offset1:29
	;; [unrolled: 1-line block ×6, first 2 shown]
	ds_load_b64 v[188:189], v231
	s_wait_dscnt 0x0
	v_cmp_neq_f32_e32 vcc_lo, 0, v188
	v_cmp_neq_f32_e64 s1, 0, v189
	s_or_b32 s1, vcc_lo, s1
	s_delay_alu instid0(SALU_CYCLE_1)
	s_and_b32 exec_lo, exec_lo, s1
	s_cbranch_execz .LBB75_161
; %bb.156:
	v_cmp_ngt_f32_e64 s1, |v188|, |v189|
                                        ; implicit-def: $vgpr190_vgpr191
	s_and_saveexec_b32 s4, s1
	s_delay_alu instid0(SALU_CYCLE_1)
	s_xor_b32 s1, exec_lo, s4
	s_cbranch_execz .LBB75_158
; %bb.157:
	v_div_scale_f32 v0, null, v189, v189, v188
	v_div_scale_f32 v191, vcc_lo, v188, v189, v188
	s_delay_alu instid0(VALU_DEP_2) | instskip(SKIP_1) | instid1(TRANS32_DEP_1)
	v_rcp_f32_e32 v1, v0
	v_nop
	v_fma_f32 v190, -v0, v1, 1.0
	s_delay_alu instid0(VALU_DEP_1) | instskip(NEXT) | instid1(VALU_DEP_1)
	v_fmac_f32_e32 v1, v190, v1
	v_mul_f32_e32 v190, v191, v1
	s_delay_alu instid0(VALU_DEP_1) | instskip(NEXT) | instid1(VALU_DEP_1)
	v_fma_f32 v192, -v0, v190, v191
	v_fmac_f32_e32 v190, v192, v1
	s_delay_alu instid0(VALU_DEP_1) | instskip(NEXT) | instid1(VALU_DEP_1)
	v_fma_f32 v0, -v0, v190, v191
	v_div_fmas_f32 v0, v0, v1, v190
	s_delay_alu instid0(VALU_DEP_1) | instskip(NEXT) | instid1(VALU_DEP_1)
	v_div_fixup_f32 v0, v0, v189, v188
	v_fmac_f32_e32 v189, v188, v0
	s_delay_alu instid0(VALU_DEP_1) | instskip(SKIP_1) | instid1(VALU_DEP_2)
	v_div_scale_f32 v1, null, v189, v189, 1.0
	v_div_scale_f32 v191, vcc_lo, 1.0, v189, 1.0
	v_rcp_f32_e32 v188, v1
	v_nop
	s_delay_alu instid0(TRANS32_DEP_1) | instskip(NEXT) | instid1(VALU_DEP_1)
	v_fma_f32 v190, -v1, v188, 1.0
	v_fmac_f32_e32 v188, v190, v188
	s_delay_alu instid0(VALU_DEP_1) | instskip(NEXT) | instid1(VALU_DEP_1)
	v_mul_f32_e32 v190, v191, v188
	v_fma_f32 v192, -v1, v190, v191
	s_delay_alu instid0(VALU_DEP_1) | instskip(NEXT) | instid1(VALU_DEP_1)
	v_fmac_f32_e32 v190, v192, v188
	v_fma_f32 v1, -v1, v190, v191
	s_delay_alu instid0(VALU_DEP_1) | instskip(NEXT) | instid1(VALU_DEP_1)
	v_div_fmas_f32 v1, v1, v188, v190
	v_div_fixup_f32 v1, v1, v189, 1.0
                                        ; implicit-def: $vgpr188_vgpr189
	s_delay_alu instid0(VALU_DEP_1)
	v_mul_f32_e32 v190, v0, v1
	v_xor_b32_e32 v191, 0x80000000, v1
.LBB75_158:
	s_and_not1_saveexec_b32 s1, s1
	s_cbranch_execz .LBB75_160
; %bb.159:
	v_div_scale_f32 v0, null, v188, v188, v189
	v_div_scale_f32 v191, vcc_lo, v189, v188, v189
	s_delay_alu instid0(VALU_DEP_2) | instskip(SKIP_1) | instid1(TRANS32_DEP_1)
	v_rcp_f32_e32 v1, v0
	v_nop
	v_fma_f32 v190, -v0, v1, 1.0
	s_delay_alu instid0(VALU_DEP_1) | instskip(NEXT) | instid1(VALU_DEP_1)
	v_fmac_f32_e32 v1, v190, v1
	v_mul_f32_e32 v190, v191, v1
	s_delay_alu instid0(VALU_DEP_1) | instskip(NEXT) | instid1(VALU_DEP_1)
	v_fma_f32 v192, -v0, v190, v191
	v_fmac_f32_e32 v190, v192, v1
	s_delay_alu instid0(VALU_DEP_1) | instskip(NEXT) | instid1(VALU_DEP_1)
	v_fma_f32 v0, -v0, v190, v191
	v_div_fmas_f32 v0, v0, v1, v190
	s_delay_alu instid0(VALU_DEP_1) | instskip(NEXT) | instid1(VALU_DEP_1)
	v_div_fixup_f32 v0, v0, v188, v189
	v_fmac_f32_e32 v188, v189, v0
	s_delay_alu instid0(VALU_DEP_1) | instskip(NEXT) | instid1(VALU_DEP_1)
	v_div_scale_f32 v1, null, v188, v188, 1.0
	v_rcp_f32_e32 v189, v1
	v_nop
	s_delay_alu instid0(TRANS32_DEP_1) | instskip(NEXT) | instid1(VALU_DEP_1)
	v_fma_f32 v190, -v1, v189, 1.0
	v_fmac_f32_e32 v189, v190, v189
	v_div_scale_f32 v190, vcc_lo, 1.0, v188, 1.0
	s_delay_alu instid0(VALU_DEP_1) | instskip(NEXT) | instid1(VALU_DEP_1)
	v_mul_f32_e32 v191, v190, v189
	v_fma_f32 v192, -v1, v191, v190
	s_delay_alu instid0(VALU_DEP_1) | instskip(NEXT) | instid1(VALU_DEP_1)
	v_fmac_f32_e32 v191, v192, v189
	v_fma_f32 v1, -v1, v191, v190
	s_delay_alu instid0(VALU_DEP_1) | instskip(NEXT) | instid1(VALU_DEP_1)
	v_div_fmas_f32 v1, v1, v189, v191
	v_div_fixup_f32 v190, v1, v188, 1.0
	s_delay_alu instid0(VALU_DEP_1)
	v_mul_f32_e64 v191, v0, -v190
.LBB75_160:
	s_or_b32 exec_lo, exec_lo, s1
	ds_store_b64 v231, v[190:191]
.LBB75_161:
	s_or_b32 exec_lo, exec_lo, s2
	s_wait_dscnt 0x0
	s_barrier_signal -1
	s_barrier_wait -1
	ds_load_b64 v[188:189], v231
	s_mov_b32 s1, exec_lo
	v_cmpx_lt_u32_e32 17, v230
	s_cbranch_execz .LBB75_163
; %bb.162:
	ds_load_2addr_b64 v[190:193], v232 offset0:18 offset1:19
	ds_load_2addr_b64 v[194:197], v232 offset0:20 offset1:21
	;; [unrolled: 1-line block ×3, first 2 shown]
	s_wait_dscnt 0x3
	v_pk_mul_f32 v[202:203], v[188:189], v[106:107] op_sel:[1,1] op_sel_hi:[0,1]
	s_delay_alu instid0(VALU_DEP_1)
	v_pk_fma_f32 v[210:211], v[188:189], v[106:107], v[202:203] op_sel_hi:[1,0,1] neg_lo:[0,0,1] neg_hi:[0,0,1]
	v_pk_fma_f32 v[212:213], v[188:189], v[106:107], v[202:203] op_sel_hi:[1,0,1]
	ds_load_2addr_b64 v[202:205], v232 offset0:24 offset1:25
	ds_load_2addr_b64 v[206:209], v232 offset0:26 offset1:27
	v_dual_mov_b32 v106, v210 :: v_dual_mov_b32 v107, v213
	s_wait_dscnt 0x4
	v_pk_mul_f32 v[214:215], v[190:191], v[212:213] op_sel:[0,1]
	v_pk_mul_f32 v[216:217], v[192:193], v[212:213] op_sel:[0,1]
	s_wait_dscnt 0x3
	v_pk_mul_f32 v[218:219], v[194:195], v[212:213] op_sel:[0,1]
	v_dual_mov_b32 v220, v197 :: v_dual_mov_b32 v221, v196
	v_dual_mul_f32 v222, v197, v213 :: v_dual_mul_f32 v224, v197, v210
	v_pk_fma_f32 v[234:235], v[190:191], v[210:211], v[214:215] op_sel:[0,0,1] op_sel_hi:[1,1,0] neg_lo:[0,0,1] neg_hi:[0,0,1]
	v_pk_fma_f32 v[190:191], v[190:191], v[210:211], v[214:215] op_sel:[0,0,1] op_sel_hi:[1,0,0]
	v_pk_fma_f32 v[214:215], v[192:193], v[210:211], v[216:217] op_sel:[0,0,1] op_sel_hi:[1,1,0] neg_lo:[0,0,1] neg_hi:[0,0,1]
	v_pk_fma_f32 v[192:193], v[192:193], v[210:211], v[216:217] op_sel:[0,0,1] op_sel_hi:[1,0,0]
	;; [unrolled: 2-line block ×3, first 2 shown]
	v_pk_fma_f32 v[218:219], v[220:221], v[106:107], v[224:225] op_sel_hi:[1,1,0]
	s_wait_dscnt 0x2
	v_pk_mul_f32 v[226:227], v[198:199], v[212:213] op_sel:[0,1]
	v_pk_fma_f32 v[196:197], v[196:197], v[106:107], v[222:223] op_sel_hi:[1,1,0] neg_lo:[0,0,1] neg_hi:[0,0,1]
	v_pk_mul_f32 v[228:229], v[200:201], v[212:213] op_sel:[0,1]
	v_dual_mov_b32 v217, v195 :: v_dual_mov_b32 v197, v219
	v_dual_mov_b32 v235, v191 :: v_dual_mov_b32 v215, v193
	v_pk_fma_f32 v[190:191], v[198:199], v[210:211], v[226:227] op_sel:[0,0,1] op_sel_hi:[1,0,0]
	s_wait_dscnt 0x1
	v_pk_mul_f32 v[194:195], v[202:203], v[212:213] op_sel:[0,1]
	v_pk_add_f32 v[128:129], v[128:129], v[196:197] neg_lo:[0,1] neg_hi:[0,1]
	v_pk_fma_f32 v[196:197], v[198:199], v[210:211], v[226:227] op_sel:[0,0,1] op_sel_hi:[1,1,0] neg_lo:[0,0,1] neg_hi:[0,0,1]
	v_pk_fma_f32 v[198:199], v[200:201], v[210:211], v[228:229] op_sel:[0,0,1] op_sel_hi:[1,0,0]
	v_mov_b32_e32 v197, v191
	ds_load_2addr_b64 v[190:193], v232 offset0:28 offset1:29
	v_pk_add_f32 v[130:131], v[130:131], v[216:217] neg_lo:[0,1] neg_hi:[0,1]
	v_pk_mul_f32 v[216:217], v[204:205], v[212:213] op_sel:[0,1]
	v_pk_add_f32 v[104:105], v[104:105], v[214:215] neg_lo:[0,1] neg_hi:[0,1]
	v_pk_fma_f32 v[214:215], v[202:203], v[210:211], v[194:195] op_sel:[0,0,1] op_sel_hi:[1,0,0]
	v_pk_fma_f32 v[200:201], v[200:201], v[210:211], v[228:229] op_sel:[0,0,1] op_sel_hi:[1,1,0] neg_lo:[0,0,1] neg_hi:[0,0,1]
	v_mov_b32_e32 v201, v199
	v_pk_fma_f32 v[194:195], v[202:203], v[210:211], v[194:195] op_sel:[0,0,1] op_sel_hi:[1,1,0] neg_lo:[0,0,1] neg_hi:[0,0,1]
	v_pk_add_f32 v[102:103], v[102:103], v[196:197] neg_lo:[0,1] neg_hi:[0,1]
	v_pk_fma_f32 v[196:197], v[204:205], v[210:211], v[216:217] op_sel:[0,0,1] op_sel_hi:[1,0,0]
	v_mov_b32_e32 v195, v215
	s_wait_dscnt 0x1
	v_mul_f32_e32 v196, v207, v210
	v_pk_fma_f32 v[198:199], v[204:205], v[210:211], v[216:217] op_sel:[0,0,1] op_sel_hi:[1,1,0] neg_lo:[0,0,1] neg_hi:[0,0,1]
	v_pk_add_f32 v[126:127], v[126:127], v[200:201] neg_lo:[0,1] neg_hi:[0,1]
	v_mov_b32_e32 v199, v197
	v_pk_add_f32 v[144:145], v[144:145], v[194:195] neg_lo:[0,1] neg_hi:[0,1]
	v_mul_f32_e32 v200, v207, v213
	v_pk_fma_f32 v[202:203], v[206:207], v[106:107], v[196:197] op_sel:[1,0,0] op_sel_hi:[0,1,0]
	ds_load_2addr_b64 v[194:197], v232 offset0:30 offset1:31
	v_pk_mul_f32 v[204:205], v[208:209], v[212:213] op_sel:[0,1]
	s_wait_dscnt 0x1
	v_pk_mul_f32 v[214:215], v[190:191], v[212:213] op_sel:[0,1]
	v_pk_fma_f32 v[206:207], v[206:207], v[106:107], v[200:201] op_sel_hi:[1,1,0] neg_lo:[0,0,1] neg_hi:[0,0,1]
	v_pk_add_f32 v[142:143], v[142:143], v[198:199] neg_lo:[0,1] neg_hi:[0,1]
	v_mov_b32_e32 v207, v203
	v_pk_fma_f32 v[202:203], v[208:209], v[210:211], v[204:205] op_sel:[0,0,1] op_sel_hi:[1,0,0]
	v_pk_mul_f32 v[216:217], v[192:193], v[212:213] op_sel:[0,1]
	ds_load_2addr_b64 v[198:201], v232 offset0:32 offset1:33
	v_pk_fma_f32 v[218:219], v[190:191], v[210:211], v[214:215] op_sel:[0,0,1] op_sel_hi:[1,0,0]
	v_pk_fma_f32 v[204:205], v[208:209], v[210:211], v[204:205] op_sel:[0,0,1] op_sel_hi:[1,1,0] neg_lo:[0,0,1] neg_hi:[0,0,1]
	v_pk_fma_f32 v[190:191], v[190:191], v[210:211], v[214:215] op_sel:[0,0,1] op_sel_hi:[1,1,0] neg_lo:[0,0,1] neg_hi:[0,0,1]
	v_mov_b32_e32 v205, v203
	v_pk_fma_f32 v[202:203], v[192:193], v[210:211], v[216:217] op_sel:[0,0,1] op_sel_hi:[1,0,0]
	v_mov_b32_e32 v191, v219
	v_pk_add_f32 v[150:151], v[150:151], v[206:207] neg_lo:[0,1] neg_hi:[0,1]
	v_pk_fma_f32 v[206:207], v[192:193], v[210:211], v[216:217] op_sel:[0,0,1] op_sel_hi:[1,1,0] neg_lo:[0,0,1] neg_hi:[0,0,1]
	v_pk_add_f32 v[140:141], v[140:141], v[204:205] neg_lo:[0,1] neg_hi:[0,1]
	v_mov_b32_e32 v207, v203
	v_pk_add_f32 v[148:149], v[148:149], v[190:191] neg_lo:[0,1] neg_hi:[0,1]
	ds_load_2addr_b64 v[190:193], v232 offset0:34 offset1:35
	s_wait_dscnt 0x2
	v_pk_mul_f32 v[208:209], v[194:195], v[212:213] op_sel:[0,1]
	v_mul_f32_e32 v214, v197, v210
	v_pk_add_f32 v[114:115], v[114:115], v[206:207] neg_lo:[0,1] neg_hi:[0,1]
	v_dual_mov_b32 v206, v197 :: v_dual_mov_b32 v207, v196
	s_delay_alu instid0(VALU_DEP_4)
	v_pk_fma_f32 v[216:217], v[194:195], v[210:211], v[208:209] op_sel:[0,0,1] op_sel_hi:[1,0,0]
	v_mul_f32_e32 v216, v197, v213
	ds_load_2addr_b64 v[202:205], v232 offset0:36 offset1:37
	s_wait_dscnt 0x2
	v_pk_mul_f32 v[218:219], v[198:199], v[212:213] op_sel:[0,1]
	v_pk_fma_f32 v[206:207], v[206:207], v[106:107], v[214:215] op_sel_hi:[1,1,0]
	v_pk_fma_f32 v[194:195], v[194:195], v[210:211], v[208:209] op_sel:[0,0,1] op_sel_hi:[1,1,0] neg_lo:[0,0,1] neg_hi:[0,0,1]
	v_pk_fma_f32 v[196:197], v[196:197], v[106:107], v[216:217] op_sel_hi:[1,1,0] neg_lo:[0,0,1] neg_hi:[0,0,1]
	v_mov_b32_e32 v195, v217
	v_pk_fma_f32 v[208:209], v[198:199], v[210:211], v[218:219] op_sel:[0,0,1] op_sel_hi:[1,0,0]
	v_mov_b32_e32 v197, v207
	v_pk_mul_f32 v[206:207], v[200:201], v[212:213] op_sel:[0,1]
	v_pk_fma_f32 v[198:199], v[198:199], v[210:211], v[218:219] op_sel:[0,0,1] op_sel_hi:[1,1,0] neg_lo:[0,0,1] neg_hi:[0,0,1]
	v_pk_add_f32 v[116:117], v[116:117], v[194:195] neg_lo:[0,1] neg_hi:[0,1]
	v_mov_b32_e32 v199, v209
	s_wait_dscnt 0x1
	v_pk_mul_f32 v[194:195], v[190:191], v[212:213] op_sel:[0,1]
	v_pk_fma_f32 v[208:209], v[200:201], v[210:211], v[206:207] op_sel:[0,0,1] op_sel_hi:[1,0,0]
	v_pk_add_f32 v[112:113], v[112:113], v[196:197] neg_lo:[0,1] neg_hi:[0,1]
	v_pk_fma_f32 v[196:197], v[200:201], v[210:211], v[206:207] op_sel:[0,0,1] op_sel_hi:[1,1,0] neg_lo:[0,0,1] neg_hi:[0,0,1]
	v_pk_mul_f32 v[200:201], v[192:193], v[212:213] op_sel:[0,1]
	v_pk_add_f32 v[86:87], v[86:87], v[234:235] neg_lo:[0,1] neg_hi:[0,1]
	v_mov_b32_e32 v197, v209
	v_pk_add_f32 v[134:135], v[134:135], v[198:199] neg_lo:[0,1] neg_hi:[0,1]
	v_pk_fma_f32 v[198:199], v[190:191], v[210:211], v[194:195] op_sel:[0,0,1] op_sel_hi:[1,0,0]
	v_pk_fma_f32 v[190:191], v[190:191], v[210:211], v[194:195] op_sel:[0,0,1] op_sel_hi:[1,1,0] neg_lo:[0,0,1] neg_hi:[0,0,1]
	s_wait_dscnt 0x0
	v_mul_f32_e32 v194, v203, v210
	v_pk_fma_f32 v[206:207], v[192:193], v[210:211], v[200:201] op_sel:[0,0,1] op_sel_hi:[1,0,0]
	v_mul_f32_e32 v206, v203, v213
	v_mov_b32_e32 v191, v199
	v_pk_mul_f32 v[198:199], v[204:205], v[212:213] op_sel:[0,1]
	v_pk_fma_f32 v[194:195], v[202:203], v[106:107], v[194:195] op_sel:[1,0,0] op_sel_hi:[0,1,0]
	v_pk_fma_f32 v[192:193], v[192:193], v[210:211], v[200:201] op_sel:[0,0,1] op_sel_hi:[1,1,0] neg_lo:[0,0,1] neg_hi:[0,0,1]
	v_pk_fma_f32 v[202:203], v[202:203], v[106:107], v[206:207] op_sel_hi:[1,1,0] neg_lo:[0,0,1] neg_hi:[0,0,1]
	v_mov_b32_e32 v193, v207
	v_pk_fma_f32 v[200:201], v[204:205], v[210:211], v[198:199] op_sel:[0,0,1] op_sel_hi:[1,0,0]
	v_mov_b32_e32 v203, v195
	v_pk_fma_f32 v[194:195], v[204:205], v[210:211], v[198:199] op_sel:[0,0,1] op_sel_hi:[1,1,0] neg_lo:[0,0,1] neg_hi:[0,0,1]
	v_pk_add_f32 v[132:133], v[132:133], v[196:197] neg_lo:[0,1] neg_hi:[0,1]
	v_pk_add_f32 v[146:147], v[146:147], v[190:191] neg_lo:[0,1] neg_hi:[0,1]
	v_mov_b32_e32 v195, v201
	v_pk_add_f32 v[138:139], v[138:139], v[192:193] neg_lo:[0,1] neg_hi:[0,1]
	v_pk_add_f32 v[136:137], v[136:137], v[202:203] neg_lo:[0,1] neg_hi:[0,1]
	s_delay_alu instid0(VALU_DEP_3)
	v_pk_add_f32 v[152:153], v[152:153], v[194:195] neg_lo:[0,1] neg_hi:[0,1]
.LBB75_163:
	s_or_b32 exec_lo, exec_lo, s1
	s_delay_alu instid0(SALU_CYCLE_1)
	s_mov_b32 s2, exec_lo
	s_wait_dscnt 0x0
	s_barrier_signal -1
	s_barrier_wait -1
	v_cmpx_eq_u32_e32 18, v230
	s_cbranch_execz .LBB75_170
; %bb.164:
	ds_store_b64 v231, v[86:87]
	ds_store_2addr_b64 v232, v[104:105], v[130:131] offset0:19 offset1:20
	ds_store_2addr_b64 v232, v[128:129], v[102:103] offset0:21 offset1:22
	;; [unrolled: 1-line block ×9, first 2 shown]
	ds_store_b64 v232, v[152:153] offset:296
	ds_load_b64 v[190:191], v231
	s_wait_dscnt 0x0
	v_cmp_neq_f32_e32 vcc_lo, 0, v190
	v_cmp_neq_f32_e64 s1, 0, v191
	s_or_b32 s1, vcc_lo, s1
	s_delay_alu instid0(SALU_CYCLE_1)
	s_and_b32 exec_lo, exec_lo, s1
	s_cbranch_execz .LBB75_170
; %bb.165:
	v_cmp_ngt_f32_e64 s1, |v190|, |v191|
                                        ; implicit-def: $vgpr192_vgpr193
	s_and_saveexec_b32 s4, s1
	s_delay_alu instid0(SALU_CYCLE_1)
	s_xor_b32 s1, exec_lo, s4
	s_cbranch_execz .LBB75_167
; %bb.166:
	v_div_scale_f32 v0, null, v191, v191, v190
	v_div_scale_f32 v193, vcc_lo, v190, v191, v190
	s_delay_alu instid0(VALU_DEP_2) | instskip(SKIP_1) | instid1(TRANS32_DEP_1)
	v_rcp_f32_e32 v1, v0
	v_nop
	v_fma_f32 v192, -v0, v1, 1.0
	s_delay_alu instid0(VALU_DEP_1) | instskip(NEXT) | instid1(VALU_DEP_1)
	v_fmac_f32_e32 v1, v192, v1
	v_mul_f32_e32 v192, v193, v1
	s_delay_alu instid0(VALU_DEP_1) | instskip(NEXT) | instid1(VALU_DEP_1)
	v_fma_f32 v194, -v0, v192, v193
	v_fmac_f32_e32 v192, v194, v1
	s_delay_alu instid0(VALU_DEP_1) | instskip(NEXT) | instid1(VALU_DEP_1)
	v_fma_f32 v0, -v0, v192, v193
	v_div_fmas_f32 v0, v0, v1, v192
	s_delay_alu instid0(VALU_DEP_1) | instskip(NEXT) | instid1(VALU_DEP_1)
	v_div_fixup_f32 v0, v0, v191, v190
	v_fmac_f32_e32 v191, v190, v0
	s_delay_alu instid0(VALU_DEP_1) | instskip(SKIP_1) | instid1(VALU_DEP_2)
	v_div_scale_f32 v1, null, v191, v191, 1.0
	v_div_scale_f32 v193, vcc_lo, 1.0, v191, 1.0
	v_rcp_f32_e32 v190, v1
	v_nop
	s_delay_alu instid0(TRANS32_DEP_1) | instskip(NEXT) | instid1(VALU_DEP_1)
	v_fma_f32 v192, -v1, v190, 1.0
	v_fmac_f32_e32 v190, v192, v190
	s_delay_alu instid0(VALU_DEP_1) | instskip(NEXT) | instid1(VALU_DEP_1)
	v_mul_f32_e32 v192, v193, v190
	v_fma_f32 v194, -v1, v192, v193
	s_delay_alu instid0(VALU_DEP_1) | instskip(NEXT) | instid1(VALU_DEP_1)
	v_fmac_f32_e32 v192, v194, v190
	v_fma_f32 v1, -v1, v192, v193
	s_delay_alu instid0(VALU_DEP_1) | instskip(NEXT) | instid1(VALU_DEP_1)
	v_div_fmas_f32 v1, v1, v190, v192
	v_div_fixup_f32 v1, v1, v191, 1.0
                                        ; implicit-def: $vgpr190_vgpr191
	s_delay_alu instid0(VALU_DEP_1)
	v_mul_f32_e32 v192, v0, v1
	v_xor_b32_e32 v193, 0x80000000, v1
.LBB75_167:
	s_and_not1_saveexec_b32 s1, s1
	s_cbranch_execz .LBB75_169
; %bb.168:
	v_div_scale_f32 v0, null, v190, v190, v191
	v_div_scale_f32 v193, vcc_lo, v191, v190, v191
	s_delay_alu instid0(VALU_DEP_2) | instskip(SKIP_1) | instid1(TRANS32_DEP_1)
	v_rcp_f32_e32 v1, v0
	v_nop
	v_fma_f32 v192, -v0, v1, 1.0
	s_delay_alu instid0(VALU_DEP_1) | instskip(NEXT) | instid1(VALU_DEP_1)
	v_fmac_f32_e32 v1, v192, v1
	v_mul_f32_e32 v192, v193, v1
	s_delay_alu instid0(VALU_DEP_1) | instskip(NEXT) | instid1(VALU_DEP_1)
	v_fma_f32 v194, -v0, v192, v193
	v_fmac_f32_e32 v192, v194, v1
	s_delay_alu instid0(VALU_DEP_1) | instskip(NEXT) | instid1(VALU_DEP_1)
	v_fma_f32 v0, -v0, v192, v193
	v_div_fmas_f32 v0, v0, v1, v192
	s_delay_alu instid0(VALU_DEP_1) | instskip(NEXT) | instid1(VALU_DEP_1)
	v_div_fixup_f32 v0, v0, v190, v191
	v_fmac_f32_e32 v190, v191, v0
	s_delay_alu instid0(VALU_DEP_1) | instskip(NEXT) | instid1(VALU_DEP_1)
	v_div_scale_f32 v1, null, v190, v190, 1.0
	v_rcp_f32_e32 v191, v1
	v_nop
	s_delay_alu instid0(TRANS32_DEP_1) | instskip(NEXT) | instid1(VALU_DEP_1)
	v_fma_f32 v192, -v1, v191, 1.0
	v_fmac_f32_e32 v191, v192, v191
	v_div_scale_f32 v192, vcc_lo, 1.0, v190, 1.0
	s_delay_alu instid0(VALU_DEP_1) | instskip(NEXT) | instid1(VALU_DEP_1)
	v_mul_f32_e32 v193, v192, v191
	v_fma_f32 v194, -v1, v193, v192
	s_delay_alu instid0(VALU_DEP_1) | instskip(NEXT) | instid1(VALU_DEP_1)
	v_fmac_f32_e32 v193, v194, v191
	v_fma_f32 v1, -v1, v193, v192
	s_delay_alu instid0(VALU_DEP_1) | instskip(NEXT) | instid1(VALU_DEP_1)
	v_div_fmas_f32 v1, v1, v191, v193
	v_div_fixup_f32 v192, v1, v190, 1.0
	s_delay_alu instid0(VALU_DEP_1)
	v_mul_f32_e64 v193, v0, -v192
.LBB75_169:
	s_or_b32 exec_lo, exec_lo, s1
	ds_store_b64 v231, v[192:193]
.LBB75_170:
	s_or_b32 exec_lo, exec_lo, s2
	s_wait_dscnt 0x0
	s_barrier_signal -1
	s_barrier_wait -1
	ds_load_b64 v[190:191], v231
	s_mov_b32 s1, exec_lo
	v_cmpx_lt_u32_e32 18, v230
	s_cbranch_execz .LBB75_172
; %bb.171:
	ds_load_2addr_b64 v[192:195], v232 offset0:19 offset1:20
	ds_load_2addr_b64 v[196:199], v232 offset0:21 offset1:22
	;; [unrolled: 1-line block ×3, first 2 shown]
	s_wait_dscnt 0x3
	v_pk_mul_f32 v[208:209], v[190:191], v[86:87] op_sel:[1,1] op_sel_hi:[0,1]
	ds_load_2addr_b64 v[204:207], v232 offset0:25 offset1:26
	v_pk_fma_f32 v[214:215], v[190:191], v[86:87], v[208:209] op_sel_hi:[1,0,1]
	v_pk_fma_f32 v[212:213], v[190:191], v[86:87], v[208:209] op_sel_hi:[1,0,1] neg_lo:[0,0,1] neg_hi:[0,0,1]
	ds_load_2addr_b64 v[208:211], v232 offset0:27 offset1:28
	v_dual_mov_b32 v87, v215 :: v_dual_mov_b32 v86, v212
	s_wait_dscnt 0x4
	v_pk_mul_f32 v[216:217], v[192:193], v[214:215] op_sel:[0,1]
	v_pk_mul_f32 v[218:219], v[194:195], v[214:215] op_sel:[0,1]
	s_wait_dscnt 0x3
	v_pk_mul_f32 v[220:221], v[196:197], v[214:215] op_sel:[0,1]
	v_dual_mov_b32 v222, v199 :: v_dual_mov_b32 v223, v198
	v_dual_mul_f32 v224, v199, v215 :: v_dual_mul_f32 v226, v199, v212
	v_pk_fma_f32 v[238:239], v[192:193], v[212:213], v[216:217] op_sel:[0,0,1] op_sel_hi:[1,1,0] neg_lo:[0,0,1] neg_hi:[0,0,1]
	v_pk_fma_f32 v[192:193], v[192:193], v[212:213], v[216:217] op_sel:[0,0,1] op_sel_hi:[1,0,0]
	v_pk_fma_f32 v[216:217], v[194:195], v[212:213], v[218:219] op_sel:[0,0,1] op_sel_hi:[1,1,0] neg_lo:[0,0,1] neg_hi:[0,0,1]
	v_pk_fma_f32 v[194:195], v[194:195], v[212:213], v[218:219] op_sel:[0,0,1] op_sel_hi:[1,0,0]
	;; [unrolled: 2-line block ×3, first 2 shown]
	s_wait_dscnt 0x2
	v_pk_mul_f32 v[228:229], v[200:201], v[214:215] op_sel:[0,1]
	s_wait_dscnt 0x1
	v_pk_mul_f32 v[236:237], v[204:205], v[214:215] op_sel:[0,1]
	v_pk_fma_f32 v[220:221], v[222:223], v[86:87], v[226:227] op_sel_hi:[1,1,0]
	v_pk_mul_f32 v[234:235], v[202:203], v[214:215] op_sel:[0,1]
	v_dual_mov_b32 v219, v197 :: v_dual_mov_b32 v239, v193
	v_mov_b32_e32 v217, v195
	v_pk_fma_f32 v[196:197], v[200:201], v[212:213], v[228:229] op_sel:[0,0,1] op_sel_hi:[1,0,0]
	v_pk_fma_f32 v[198:199], v[198:199], v[86:87], v[224:225] op_sel_hi:[1,1,0] neg_lo:[0,0,1] neg_hi:[0,0,1]
	ds_load_2addr_b64 v[192:195], v232 offset0:29 offset1:30
	v_mov_b32_e32 v199, v221
	v_pk_add_f32 v[128:129], v[128:129], v[218:219] neg_lo:[0,1] neg_hi:[0,1]
	v_pk_fma_f32 v[218:219], v[204:205], v[212:213], v[236:237] op_sel:[0,0,1] op_sel_hi:[1,0,0]
	v_pk_fma_f32 v[200:201], v[200:201], v[212:213], v[228:229] op_sel:[0,0,1] op_sel_hi:[1,1,0] neg_lo:[0,0,1] neg_hi:[0,0,1]
	v_pk_add_f32 v[130:131], v[130:131], v[216:217] neg_lo:[0,1] neg_hi:[0,1]
	v_pk_fma_f32 v[216:217], v[202:203], v[212:213], v[234:235] op_sel:[0,0,1] op_sel_hi:[1,0,0]
	v_mov_b32_e32 v201, v197
	v_pk_fma_f32 v[196:197], v[202:203], v[212:213], v[234:235] op_sel:[0,0,1] op_sel_hi:[1,1,0] neg_lo:[0,0,1] neg_hi:[0,0,1]
	v_pk_fma_f32 v[202:203], v[204:205], v[212:213], v[236:237] op_sel:[0,0,1] op_sel_hi:[1,1,0] neg_lo:[0,0,1] neg_hi:[0,0,1]
	v_mov_b32_e32 v203, v219
	v_pk_mul_f32 v[204:205], v[206:207], v[214:215] op_sel:[0,1]
	v_mov_b32_e32 v197, v217
	v_pk_add_f32 v[126:127], v[126:127], v[200:201] neg_lo:[0,1] neg_hi:[0,1]
	s_wait_dscnt 0x1
	v_mul_f32_e32 v200, v209, v212
	v_pk_add_f32 v[142:143], v[142:143], v[202:203] neg_lo:[0,1] neg_hi:[0,1]
	v_pk_fma_f32 v[202:203], v[206:207], v[212:213], v[204:205] op_sel:[0,0,1] op_sel_hi:[1,0,0]
	v_mul_f32_e32 v202, v209, v215
	v_pk_add_f32 v[102:103], v[102:103], v[198:199] neg_lo:[0,1] neg_hi:[0,1]
	v_pk_add_f32 v[144:145], v[144:145], v[196:197] neg_lo:[0,1] neg_hi:[0,1]
	v_pk_fma_f32 v[216:217], v[206:207], v[212:213], v[204:205] op_sel:[0,0,1] op_sel_hi:[1,1,0] neg_lo:[0,0,1] neg_hi:[0,0,1]
	v_pk_mul_f32 v[204:205], v[210:211], v[214:215] op_sel:[0,1]
	ds_load_2addr_b64 v[196:199], v232 offset0:31 offset1:32
	v_pk_fma_f32 v[200:201], v[208:209], v[86:87], v[200:201] op_sel:[1,0,0] op_sel_hi:[0,1,0]
	v_mov_b32_e32 v217, v203
	v_pk_fma_f32 v[208:209], v[208:209], v[86:87], v[202:203] op_sel_hi:[1,1,0] neg_lo:[0,0,1] neg_hi:[0,0,1]
	v_pk_fma_f32 v[218:219], v[210:211], v[212:213], v[204:205] op_sel:[0,0,1] op_sel_hi:[1,0,0]
	s_wait_dscnt 0x1
	v_pk_mul_f32 v[206:207], v[192:193], v[214:215] op_sel:[0,1]
	v_mov_b32_e32 v209, v201
	ds_load_2addr_b64 v[200:203], v232 offset0:33 offset1:34
	v_pk_fma_f32 v[204:205], v[210:211], v[212:213], v[204:205] op_sel:[0,0,1] op_sel_hi:[1,1,0] neg_lo:[0,0,1] neg_hi:[0,0,1]
	v_mov_b32_e32 v205, v219
	v_pk_fma_f32 v[220:221], v[192:193], v[212:213], v[206:207] op_sel:[0,0,1] op_sel_hi:[1,0,0]
	v_pk_fma_f32 v[192:193], v[192:193], v[212:213], v[206:207] op_sel:[0,0,1] op_sel_hi:[1,1,0] neg_lo:[0,0,1] neg_hi:[0,0,1]
	v_pk_mul_f32 v[206:207], v[194:195], v[214:215] op_sel:[0,1]
	v_pk_add_f32 v[140:141], v[140:141], v[208:209] neg_lo:[0,1] neg_hi:[0,1]
	v_pk_add_f32 v[148:149], v[148:149], v[204:205] neg_lo:[0,1] neg_hi:[0,1]
	v_mov_b32_e32 v193, v221
	v_pk_add_f32 v[150:151], v[150:151], v[216:217] neg_lo:[0,1] neg_hi:[0,1]
	v_pk_fma_f32 v[204:205], v[194:195], v[212:213], v[206:207] op_sel:[0,0,1] op_sel_hi:[1,1,0] neg_lo:[0,0,1] neg_hi:[0,0,1]
	v_pk_fma_f32 v[206:207], v[194:195], v[212:213], v[206:207] op_sel:[0,0,1] op_sel_hi:[1,0,0]
	ds_load_b64 v[216:217], v232 offset:296
	s_wait_dscnt 0x2
	v_pk_mul_f32 v[208:209], v[196:197], v[214:215] op_sel:[0,1]
	v_mov_b32_e32 v210, v199
	v_pk_add_f32 v[114:115], v[114:115], v[192:193] neg_lo:[0,1] neg_hi:[0,1]
	ds_load_2addr_b64 v[192:195], v232 offset0:35 offset1:36
	v_dual_mov_b32 v211, v198 :: v_dual_mul_f32 v206, v199, v212
	v_pk_fma_f32 v[218:219], v[196:197], v[212:213], v[208:209] op_sel:[0,0,1] op_sel_hi:[1,0,0]
	v_mov_b32_e32 v205, v207
	v_pk_fma_f32 v[196:197], v[196:197], v[212:213], v[208:209] op_sel:[0,0,1] op_sel_hi:[1,1,0] neg_lo:[0,0,1] neg_hi:[0,0,1]
	s_wait_dscnt 0x2
	v_pk_mul_f32 v[208:209], v[200:201], v[214:215] op_sel:[0,1]
	v_pk_fma_f32 v[206:207], v[210:211], v[86:87], v[206:207] op_sel_hi:[1,1,0]
	v_mov_b32_e32 v197, v219
	v_pk_add_f32 v[116:117], v[116:117], v[204:205] neg_lo:[0,1] neg_hi:[0,1]
	v_pk_add_f32 v[104:105], v[104:105], v[238:239] neg_lo:[0,1] neg_hi:[0,1]
	v_pk_fma_f32 v[204:205], v[200:201], v[212:213], v[208:209] op_sel:[0,0,1] op_sel_hi:[1,0,0]
	v_mul_f32_e32 v218, v199, v215
	v_pk_add_f32 v[112:113], v[112:113], v[196:197] neg_lo:[0,1] neg_hi:[0,1]
	v_pk_mul_f32 v[196:197], v[202:203], v[214:215] op_sel:[0,1]
	s_delay_alu instid0(VALU_DEP_3) | instskip(SKIP_3) | instid1(VALU_DEP_2)
	v_pk_fma_f32 v[198:199], v[198:199], v[86:87], v[218:219] op_sel_hi:[1,1,0] neg_lo:[0,0,1] neg_hi:[0,0,1]
	v_mov_b32_e32 v199, v207
	s_wait_dscnt 0x0
	v_pk_mul_f32 v[206:207], v[194:195], v[214:215] op_sel:[0,1]
	v_pk_add_f32 v[134:135], v[134:135], v[198:199] neg_lo:[0,1] neg_hi:[0,1]
	v_pk_fma_f32 v[198:199], v[200:201], v[212:213], v[208:209] op_sel:[0,0,1] op_sel_hi:[1,1,0] neg_lo:[0,0,1] neg_hi:[0,0,1]
	v_mov_b32_e32 v199, v205
	v_pk_mul_f32 v[200:201], v[192:193], v[214:215] op_sel:[0,1]
	v_pk_fma_f32 v[204:205], v[202:203], v[212:213], v[196:197] op_sel:[0,0,1] op_sel_hi:[1,0,0]
	v_pk_fma_f32 v[196:197], v[202:203], v[212:213], v[196:197] op_sel:[0,0,1] op_sel_hi:[1,1,0] neg_lo:[0,0,1] neg_hi:[0,0,1]
	v_pk_mul_f32 v[202:203], v[216:217], v[214:215] op_sel:[0,1]
	v_pk_add_f32 v[132:133], v[132:133], v[198:199] neg_lo:[0,1] neg_hi:[0,1]
	v_pk_fma_f32 v[208:209], v[192:193], v[212:213], v[200:201] op_sel:[0,0,1] op_sel_hi:[1,0,0]
	v_mov_b32_e32 v197, v205
	v_pk_fma_f32 v[204:205], v[194:195], v[212:213], v[206:207] op_sel:[0,0,1] op_sel_hi:[1,0,0]
	v_pk_fma_f32 v[192:193], v[192:193], v[212:213], v[200:201] op_sel:[0,0,1] op_sel_hi:[1,1,0] neg_lo:[0,0,1] neg_hi:[0,0,1]
	v_pk_fma_f32 v[200:201], v[216:217], v[212:213], v[202:203] op_sel:[0,0,1] op_sel_hi:[1,0,0]
	v_pk_fma_f32 v[194:195], v[194:195], v[212:213], v[206:207] op_sel:[0,0,1] op_sel_hi:[1,1,0] neg_lo:[0,0,1] neg_hi:[0,0,1]
	v_pk_fma_f32 v[202:203], v[216:217], v[212:213], v[202:203] op_sel:[0,0,1] op_sel_hi:[1,1,0] neg_lo:[0,0,1] neg_hi:[0,0,1]
	v_dual_mov_b32 v193, v209 :: v_dual_mov_b32 v195, v205
	s_delay_alu instid0(VALU_DEP_4) | instskip(SKIP_1) | instid1(VALU_DEP_3)
	v_mov_b32_e32 v203, v201
	v_pk_add_f32 v[146:147], v[146:147], v[196:197] neg_lo:[0,1] neg_hi:[0,1]
	v_pk_add_f32 v[138:139], v[138:139], v[192:193] neg_lo:[0,1] neg_hi:[0,1]
	s_delay_alu instid0(VALU_DEP_4) | instskip(NEXT) | instid1(VALU_DEP_4)
	v_pk_add_f32 v[136:137], v[136:137], v[194:195] neg_lo:[0,1] neg_hi:[0,1]
	v_pk_add_f32 v[152:153], v[152:153], v[202:203] neg_lo:[0,1] neg_hi:[0,1]
.LBB75_172:
	s_or_b32 exec_lo, exec_lo, s1
	s_delay_alu instid0(SALU_CYCLE_1)
	s_mov_b32 s2, exec_lo
	s_wait_dscnt 0x0
	s_barrier_signal -1
	s_barrier_wait -1
	v_cmpx_eq_u32_e32 19, v230
	s_cbranch_execz .LBB75_179
; %bb.173:
	v_dual_mov_b32 v192, v130 :: v_dual_mov_b32 v193, v131
	v_dual_mov_b32 v194, v128 :: v_dual_mov_b32 v195, v129
	;; [unrolled: 1-line block ×8, first 2 shown]
	ds_store_b64 v231, v[104:105]
	ds_store_2addr_b64 v232, v[192:193], v[194:195] offset0:20 offset1:21
	ds_store_2addr_b64 v232, v[196:197], v[198:199] offset0:22 offset1:23
	;; [unrolled: 1-line block ×4, first 2 shown]
	v_dual_mov_b32 v192, v148 :: v_dual_mov_b32 v193, v149
	v_dual_mov_b32 v194, v114 :: v_dual_mov_b32 v195, v115
	v_dual_mov_b32 v196, v116 :: v_dual_mov_b32 v197, v117
	v_dual_mov_b32 v198, v112 :: v_dual_mov_b32 v199, v113
	v_dual_mov_b32 v200, v134 :: v_dual_mov_b32 v201, v135
	v_dual_mov_b32 v202, v132 :: v_dual_mov_b32 v203, v133
	v_dual_mov_b32 v204, v146 :: v_dual_mov_b32 v205, v147
	v_dual_mov_b32 v206, v138 :: v_dual_mov_b32 v207, v139
	v_dual_mov_b32 v208, v136 :: v_dual_mov_b32 v209, v137
	ds_store_2addr_b64 v232, v[192:193], v[194:195] offset0:28 offset1:29
	ds_store_2addr_b64 v232, v[196:197], v[198:199] offset0:30 offset1:31
	;; [unrolled: 1-line block ×5, first 2 shown]
	ds_load_b64 v[192:193], v231
	s_wait_dscnt 0x0
	v_cmp_neq_f32_e32 vcc_lo, 0, v192
	v_cmp_neq_f32_e64 s1, 0, v193
	s_or_b32 s1, vcc_lo, s1
	s_delay_alu instid0(SALU_CYCLE_1)
	s_and_b32 exec_lo, exec_lo, s1
	s_cbranch_execz .LBB75_179
; %bb.174:
	v_cmp_ngt_f32_e64 s1, |v192|, |v193|
                                        ; implicit-def: $vgpr194_vgpr195
	s_and_saveexec_b32 s4, s1
	s_delay_alu instid0(SALU_CYCLE_1)
	s_xor_b32 s1, exec_lo, s4
	s_cbranch_execz .LBB75_176
; %bb.175:
	v_div_scale_f32 v0, null, v193, v193, v192
	v_div_scale_f32 v195, vcc_lo, v192, v193, v192
	s_delay_alu instid0(VALU_DEP_2) | instskip(SKIP_1) | instid1(TRANS32_DEP_1)
	v_rcp_f32_e32 v1, v0
	v_nop
	v_fma_f32 v194, -v0, v1, 1.0
	s_delay_alu instid0(VALU_DEP_1) | instskip(NEXT) | instid1(VALU_DEP_1)
	v_fmac_f32_e32 v1, v194, v1
	v_mul_f32_e32 v194, v195, v1
	s_delay_alu instid0(VALU_DEP_1) | instskip(NEXT) | instid1(VALU_DEP_1)
	v_fma_f32 v196, -v0, v194, v195
	v_fmac_f32_e32 v194, v196, v1
	s_delay_alu instid0(VALU_DEP_1) | instskip(NEXT) | instid1(VALU_DEP_1)
	v_fma_f32 v0, -v0, v194, v195
	v_div_fmas_f32 v0, v0, v1, v194
	s_delay_alu instid0(VALU_DEP_1) | instskip(NEXT) | instid1(VALU_DEP_1)
	v_div_fixup_f32 v0, v0, v193, v192
	v_fmac_f32_e32 v193, v192, v0
	s_delay_alu instid0(VALU_DEP_1) | instskip(SKIP_1) | instid1(VALU_DEP_2)
	v_div_scale_f32 v1, null, v193, v193, 1.0
	v_div_scale_f32 v195, vcc_lo, 1.0, v193, 1.0
	v_rcp_f32_e32 v192, v1
	v_nop
	s_delay_alu instid0(TRANS32_DEP_1) | instskip(NEXT) | instid1(VALU_DEP_1)
	v_fma_f32 v194, -v1, v192, 1.0
	v_fmac_f32_e32 v192, v194, v192
	s_delay_alu instid0(VALU_DEP_1) | instskip(NEXT) | instid1(VALU_DEP_1)
	v_mul_f32_e32 v194, v195, v192
	v_fma_f32 v196, -v1, v194, v195
	s_delay_alu instid0(VALU_DEP_1) | instskip(NEXT) | instid1(VALU_DEP_1)
	v_fmac_f32_e32 v194, v196, v192
	v_fma_f32 v1, -v1, v194, v195
	s_delay_alu instid0(VALU_DEP_1) | instskip(NEXT) | instid1(VALU_DEP_1)
	v_div_fmas_f32 v1, v1, v192, v194
	v_div_fixup_f32 v1, v1, v193, 1.0
                                        ; implicit-def: $vgpr192_vgpr193
	s_delay_alu instid0(VALU_DEP_1)
	v_mul_f32_e32 v194, v0, v1
	v_xor_b32_e32 v195, 0x80000000, v1
.LBB75_176:
	s_and_not1_saveexec_b32 s1, s1
	s_cbranch_execz .LBB75_178
; %bb.177:
	v_div_scale_f32 v0, null, v192, v192, v193
	v_div_scale_f32 v195, vcc_lo, v193, v192, v193
	s_delay_alu instid0(VALU_DEP_2) | instskip(SKIP_1) | instid1(TRANS32_DEP_1)
	v_rcp_f32_e32 v1, v0
	v_nop
	v_fma_f32 v194, -v0, v1, 1.0
	s_delay_alu instid0(VALU_DEP_1) | instskip(NEXT) | instid1(VALU_DEP_1)
	v_fmac_f32_e32 v1, v194, v1
	v_mul_f32_e32 v194, v195, v1
	s_delay_alu instid0(VALU_DEP_1) | instskip(NEXT) | instid1(VALU_DEP_1)
	v_fma_f32 v196, -v0, v194, v195
	v_fmac_f32_e32 v194, v196, v1
	s_delay_alu instid0(VALU_DEP_1) | instskip(NEXT) | instid1(VALU_DEP_1)
	v_fma_f32 v0, -v0, v194, v195
	v_div_fmas_f32 v0, v0, v1, v194
	s_delay_alu instid0(VALU_DEP_1) | instskip(NEXT) | instid1(VALU_DEP_1)
	v_div_fixup_f32 v0, v0, v192, v193
	v_fmac_f32_e32 v192, v193, v0
	s_delay_alu instid0(VALU_DEP_1) | instskip(NEXT) | instid1(VALU_DEP_1)
	v_div_scale_f32 v1, null, v192, v192, 1.0
	v_rcp_f32_e32 v193, v1
	v_nop
	s_delay_alu instid0(TRANS32_DEP_1) | instskip(NEXT) | instid1(VALU_DEP_1)
	v_fma_f32 v194, -v1, v193, 1.0
	v_fmac_f32_e32 v193, v194, v193
	v_div_scale_f32 v194, vcc_lo, 1.0, v192, 1.0
	s_delay_alu instid0(VALU_DEP_1) | instskip(NEXT) | instid1(VALU_DEP_1)
	v_mul_f32_e32 v195, v194, v193
	v_fma_f32 v196, -v1, v195, v194
	s_delay_alu instid0(VALU_DEP_1) | instskip(NEXT) | instid1(VALU_DEP_1)
	v_fmac_f32_e32 v195, v196, v193
	v_fma_f32 v1, -v1, v195, v194
	s_delay_alu instid0(VALU_DEP_1) | instskip(NEXT) | instid1(VALU_DEP_1)
	v_div_fmas_f32 v1, v1, v193, v195
	v_div_fixup_f32 v194, v1, v192, 1.0
	s_delay_alu instid0(VALU_DEP_1)
	v_mul_f32_e64 v195, v0, -v194
.LBB75_178:
	s_or_b32 exec_lo, exec_lo, s1
	ds_store_b64 v231, v[194:195]
.LBB75_179:
	s_or_b32 exec_lo, exec_lo, s2
	s_wait_dscnt 0x0
	s_barrier_signal -1
	s_barrier_wait -1
	ds_load_b64 v[192:193], v231
	s_mov_b32 s1, exec_lo
	v_cmpx_lt_u32_e32 19, v230
	s_cbranch_execz .LBB75_181
; %bb.180:
	ds_load_2addr_b64 v[194:197], v232 offset0:20 offset1:21
	ds_load_2addr_b64 v[198:201], v232 offset0:22 offset1:23
	;; [unrolled: 1-line block ×3, first 2 shown]
	s_wait_dscnt 0x3
	v_pk_mul_f32 v[206:207], v[192:193], v[104:105] op_sel:[1,1] op_sel_hi:[0,1]
	s_delay_alu instid0(VALU_DEP_1)
	v_pk_fma_f32 v[214:215], v[192:193], v[104:105], v[206:207] op_sel_hi:[1,0,1] neg_lo:[0,0,1] neg_hi:[0,0,1]
	v_pk_fma_f32 v[216:217], v[192:193], v[104:105], v[206:207] op_sel_hi:[1,0,1]
	ds_load_2addr_b64 v[206:209], v232 offset0:26 offset1:27
	ds_load_2addr_b64 v[210:213], v232 offset0:28 offset1:29
	v_dual_mov_b32 v104, v214 :: v_dual_mov_b32 v105, v217
	s_wait_dscnt 0x4
	v_pk_mul_f32 v[218:219], v[194:195], v[216:217] op_sel:[0,1]
	v_pk_mul_f32 v[220:221], v[196:197], v[216:217] op_sel:[0,1]
	s_wait_dscnt 0x3
	v_pk_mul_f32 v[222:223], v[198:199], v[216:217] op_sel:[0,1]
	s_wait_dscnt 0x2
	v_pk_mul_f32 v[234:235], v[202:203], v[216:217] op_sel:[0,1]
	v_dual_mov_b32 v224, v201 :: v_dual_mov_b32 v225, v200
	v_pk_fma_f32 v[238:239], v[194:195], v[214:215], v[218:219] op_sel:[0,0,1] op_sel_hi:[1,1,0] neg_lo:[0,0,1] neg_hi:[0,0,1]
	v_pk_fma_f32 v[194:195], v[194:195], v[214:215], v[218:219] op_sel:[0,0,1] op_sel_hi:[1,0,0]
	v_dual_mul_f32 v226, v201, v217 :: v_dual_mul_f32 v228, v201, v214
	v_pk_mul_f32 v[236:237], v[204:205], v[216:217] op_sel:[0,1]
	v_pk_fma_f32 v[218:219], v[196:197], v[214:215], v[220:221] op_sel:[0,0,1] op_sel_hi:[1,1,0] neg_lo:[0,0,1] neg_hi:[0,0,1]
	v_pk_fma_f32 v[196:197], v[196:197], v[214:215], v[220:221] op_sel:[0,0,1] op_sel_hi:[1,0,0]
	v_pk_fma_f32 v[220:221], v[198:199], v[214:215], v[222:223] op_sel:[0,0,1] op_sel_hi:[1,1,0] neg_lo:[0,0,1] neg_hi:[0,0,1]
	v_pk_fma_f32 v[198:199], v[198:199], v[214:215], v[222:223] op_sel:[0,0,1] op_sel_hi:[1,0,0]
	v_mov_b32_e32 v239, v195
	v_pk_fma_f32 v[194:195], v[202:203], v[214:215], v[234:235] op_sel:[0,0,1] op_sel_hi:[1,0,0]
	v_pk_fma_f32 v[222:223], v[224:225], v[104:105], v[228:229] op_sel_hi:[1,1,0]
	v_pk_fma_f32 v[224:225], v[202:203], v[214:215], v[234:235] op_sel:[0,0,1] op_sel_hi:[1,1,0] neg_lo:[0,0,1] neg_hi:[0,0,1]
	v_dual_mov_b32 v219, v197 :: v_dual_mov_b32 v221, v199
	v_pk_fma_f32 v[198:199], v[204:205], v[214:215], v[236:237] op_sel:[0,0,1] op_sel_hi:[1,0,0]
	s_wait_dscnt 0x1
	v_pk_mul_f32 v[202:203], v[206:207], v[216:217] op_sel:[0,1]
	v_mov_b32_e32 v225, v195
	ds_load_2addr_b64 v[194:197], v232 offset0:30 offset1:31
	v_pk_fma_f32 v[200:201], v[200:201], v[104:105], v[226:227] op_sel_hi:[1,1,0] neg_lo:[0,0,1] neg_hi:[0,0,1]
	v_pk_fma_f32 v[204:205], v[204:205], v[214:215], v[236:237] op_sel:[0,0,1] op_sel_hi:[1,1,0] neg_lo:[0,0,1] neg_hi:[0,0,1]
	v_mov_b32_e32 v201, v223
	v_pk_add_f32 v[128:129], v[128:129], v[218:219] neg_lo:[0,1] neg_hi:[0,1]
	v_pk_mul_f32 v[218:219], v[208:209], v[216:217] op_sel:[0,1]
	v_mov_b32_e32 v205, v199
	v_pk_fma_f32 v[198:199], v[206:207], v[214:215], v[202:203] op_sel:[0,0,1] op_sel_hi:[1,0,0]
	v_pk_fma_f32 v[202:203], v[206:207], v[214:215], v[202:203] op_sel:[0,0,1] op_sel_hi:[1,1,0] neg_lo:[0,0,1] neg_hi:[0,0,1]
	v_pk_add_f32 v[126:127], v[126:127], v[200:201] neg_lo:[0,1] neg_hi:[0,1]
	v_pk_fma_f32 v[200:201], v[208:209], v[214:215], v[218:219] op_sel:[0,0,1] op_sel_hi:[1,0,0]
	v_pk_add_f32 v[142:143], v[142:143], v[204:205] neg_lo:[0,1] neg_hi:[0,1]
	v_mov_b32_e32 v203, v199
	v_pk_fma_f32 v[204:205], v[208:209], v[214:215], v[218:219] op_sel:[0,0,1] op_sel_hi:[1,1,0] neg_lo:[0,0,1] neg_hi:[0,0,1]
	s_wait_dscnt 0x1
	v_dual_mul_f32 v206, v211, v214 :: v_dual_mov_b32 v205, v201
	ds_load_2addr_b64 v[198:201], v232 offset0:32 offset1:33
	v_pk_add_f32 v[150:151], v[150:151], v[202:203] neg_lo:[0,1] neg_hi:[0,1]
	v_mul_f32_e32 v202, v211, v217
	v_pk_mul_f32 v[208:209], v[212:213], v[216:217] op_sel:[0,1]
	v_pk_fma_f32 v[206:207], v[210:211], v[104:105], v[206:207] op_sel:[1,0,0] op_sel_hi:[0,1,0]
	v_pk_add_f32 v[140:141], v[140:141], v[204:205] neg_lo:[0,1] neg_hi:[0,1]
	v_pk_add_f32 v[102:103], v[102:103], v[220:221] neg_lo:[0,1] neg_hi:[0,1]
	v_pk_fma_f32 v[210:211], v[210:211], v[104:105], v[202:203] op_sel_hi:[1,1,0] neg_lo:[0,0,1] neg_hi:[0,0,1]
	ds_load_2addr_b64 v[202:205], v232 offset0:34 offset1:35
	s_wait_dscnt 0x2
	v_pk_mul_f32 v[218:219], v[194:195], v[216:217] op_sel:[0,1]
	v_pk_fma_f32 v[220:221], v[212:213], v[214:215], v[208:209] op_sel:[0,0,1] op_sel_hi:[1,0,0]
	v_pk_fma_f32 v[208:209], v[212:213], v[214:215], v[208:209] op_sel:[0,0,1] op_sel_hi:[1,1,0] neg_lo:[0,0,1] neg_hi:[0,0,1]
	v_mov_b32_e32 v211, v207
	v_pk_mul_f32 v[212:213], v[196:197], v[216:217] op_sel:[0,1]
	v_pk_fma_f32 v[206:207], v[194:195], v[214:215], v[218:219] op_sel:[0,0,1] op_sel_hi:[1,0,0]
	v_mov_b32_e32 v209, v221
	v_pk_fma_f32 v[194:195], v[194:195], v[214:215], v[218:219] op_sel:[0,0,1] op_sel_hi:[1,1,0] neg_lo:[0,0,1] neg_hi:[0,0,1]
	v_pk_add_f32 v[148:149], v[148:149], v[210:211] neg_lo:[0,1] neg_hi:[0,1]
	v_pk_fma_f32 v[210:211], v[196:197], v[214:215], v[212:213] op_sel:[0,0,1] op_sel_hi:[1,0,0]
	s_wait_dscnt 0x1
	v_dual_mov_b32 v195, v207 :: v_dual_mov_b32 v210, v201
	v_pk_add_f32 v[114:115], v[114:115], v[208:209] neg_lo:[0,1] neg_hi:[0,1]
	ds_load_2addr_b64 v[206:209], v232 offset0:36 offset1:37
	v_pk_mul_f32 v[218:219], v[198:199], v[216:217] op_sel:[0,1]
	v_pk_add_f32 v[116:117], v[116:117], v[194:195] neg_lo:[0,1] neg_hi:[0,1]
	v_pk_fma_f32 v[194:195], v[196:197], v[214:215], v[212:213] op_sel:[0,0,1] op_sel_hi:[1,1,0] neg_lo:[0,0,1] neg_hi:[0,0,1]
	v_dual_mov_b32 v195, v211 :: v_dual_mov_b32 v211, v200
	s_delay_alu instid0(VALU_DEP_4)
	v_pk_fma_f32 v[196:197], v[198:199], v[214:215], v[218:219] op_sel:[0,0,1] op_sel_hi:[1,0,0]
	s_wait_dscnt 0x1
	v_pk_mul_f32 v[212:213], v[202:203], v[216:217] op_sel:[0,1]
	v_mul_f32_e32 v196, v201, v214
	v_pk_fma_f32 v[198:199], v[198:199], v[214:215], v[218:219] op_sel:[0,0,1] op_sel_hi:[1,1,0] neg_lo:[0,0,1] neg_hi:[0,0,1]
	v_mul_f32_e32 v218, v201, v217
	v_pk_add_f32 v[112:113], v[112:113], v[194:195] neg_lo:[0,1] neg_hi:[0,1]
	v_pk_fma_f32 v[194:195], v[202:203], v[214:215], v[212:213] op_sel:[0,0,1] op_sel_hi:[1,0,0]
	v_mov_b32_e32 v199, v197
	v_pk_fma_f32 v[196:197], v[210:211], v[104:105], v[196:197] op_sel_hi:[1,1,0]
	v_pk_add_f32 v[130:131], v[130:131], v[238:239] neg_lo:[0,1] neg_hi:[0,1]
	v_pk_add_f32 v[144:145], v[144:145], v[224:225] neg_lo:[0,1] neg_hi:[0,1]
	s_delay_alu instid0(VALU_DEP_4)
	v_pk_add_f32 v[134:135], v[134:135], v[198:199] neg_lo:[0,1] neg_hi:[0,1]
	v_pk_fma_f32 v[198:199], v[200:201], v[104:105], v[218:219] op_sel_hi:[1,1,0] neg_lo:[0,0,1] neg_hi:[0,0,1]
	v_mov_b32_e32 v199, v197
	v_pk_fma_f32 v[196:197], v[202:203], v[214:215], v[212:213] op_sel:[0,0,1] op_sel_hi:[1,1,0] neg_lo:[0,0,1] neg_hi:[0,0,1]
	v_mov_b32_e32 v197, v195
	v_pk_mul_f32 v[194:195], v[204:205], v[216:217] op_sel:[0,1]
	s_wait_dscnt 0x0
	v_pk_mul_f32 v[200:201], v[206:207], v[216:217] op_sel:[0,1]
	v_dual_mov_b32 v202, v209 :: v_dual_mov_b32 v203, v208
	v_mul_f32_e32 v210, v209, v214
	v_pk_fma_f32 v[212:213], v[204:205], v[214:215], v[194:195] op_sel:[0,0,1] op_sel_hi:[1,0,0]
	v_pk_fma_f32 v[194:195], v[204:205], v[214:215], v[194:195] op_sel:[0,0,1] op_sel_hi:[1,1,0] neg_lo:[0,0,1] neg_hi:[0,0,1]
	v_pk_fma_f32 v[204:205], v[206:207], v[214:215], v[200:201] op_sel:[0,0,1] op_sel_hi:[1,0,0]
	v_pk_fma_f32 v[200:201], v[206:207], v[214:215], v[200:201] op_sel:[0,0,1] op_sel_hi:[1,1,0] neg_lo:[0,0,1] neg_hi:[0,0,1]
	v_pk_fma_f32 v[202:203], v[202:203], v[104:105], v[210:211] op_sel_hi:[1,1,0]
	v_mul_f32_e32 v204, v209, v217
	s_delay_alu instid0(VALU_DEP_4) | instskip(SKIP_2) | instid1(VALU_DEP_4)
	v_dual_mov_b32 v195, v213 :: v_dual_mov_b32 v201, v205
	v_pk_add_f32 v[132:133], v[132:133], v[198:199] neg_lo:[0,1] neg_hi:[0,1]
	v_pk_add_f32 v[146:147], v[146:147], v[196:197] neg_lo:[0,1] neg_hi:[0,1]
	v_pk_fma_f32 v[204:205], v[208:209], v[104:105], v[204:205] op_sel_hi:[1,1,0] neg_lo:[0,0,1] neg_hi:[0,0,1]
	v_mov_b32_e32 v205, v203
	v_pk_add_f32 v[138:139], v[138:139], v[194:195] neg_lo:[0,1] neg_hi:[0,1]
	v_pk_add_f32 v[136:137], v[136:137], v[200:201] neg_lo:[0,1] neg_hi:[0,1]
	s_delay_alu instid0(VALU_DEP_3)
	v_pk_add_f32 v[152:153], v[152:153], v[204:205] neg_lo:[0,1] neg_hi:[0,1]
.LBB75_181:
	s_or_b32 exec_lo, exec_lo, s1
	s_delay_alu instid0(SALU_CYCLE_1)
	s_mov_b32 s2, exec_lo
	s_wait_dscnt 0x0
	s_barrier_signal -1
	s_barrier_wait -1
	v_cmpx_eq_u32_e32 20, v230
	s_cbranch_execz .LBB75_188
; %bb.182:
	ds_store_b64 v231, v[130:131]
	ds_store_2addr_b64 v232, v[128:129], v[102:103] offset0:21 offset1:22
	ds_store_2addr_b64 v232, v[126:127], v[144:145] offset0:23 offset1:24
	;; [unrolled: 1-line block ×8, first 2 shown]
	ds_store_b64 v232, v[152:153] offset:296
	ds_load_b64 v[194:195], v231
	s_wait_dscnt 0x0
	v_cmp_neq_f32_e32 vcc_lo, 0, v194
	v_cmp_neq_f32_e64 s1, 0, v195
	s_or_b32 s1, vcc_lo, s1
	s_delay_alu instid0(SALU_CYCLE_1)
	s_and_b32 exec_lo, exec_lo, s1
	s_cbranch_execz .LBB75_188
; %bb.183:
	v_cmp_ngt_f32_e64 s1, |v194|, |v195|
                                        ; implicit-def: $vgpr196_vgpr197
	s_and_saveexec_b32 s4, s1
	s_delay_alu instid0(SALU_CYCLE_1)
	s_xor_b32 s1, exec_lo, s4
	s_cbranch_execz .LBB75_185
; %bb.184:
	v_div_scale_f32 v0, null, v195, v195, v194
	v_div_scale_f32 v197, vcc_lo, v194, v195, v194
	s_delay_alu instid0(VALU_DEP_2) | instskip(SKIP_1) | instid1(TRANS32_DEP_1)
	v_rcp_f32_e32 v1, v0
	v_nop
	v_fma_f32 v196, -v0, v1, 1.0
	s_delay_alu instid0(VALU_DEP_1) | instskip(NEXT) | instid1(VALU_DEP_1)
	v_fmac_f32_e32 v1, v196, v1
	v_mul_f32_e32 v196, v197, v1
	s_delay_alu instid0(VALU_DEP_1) | instskip(NEXT) | instid1(VALU_DEP_1)
	v_fma_f32 v198, -v0, v196, v197
	v_fmac_f32_e32 v196, v198, v1
	s_delay_alu instid0(VALU_DEP_1) | instskip(NEXT) | instid1(VALU_DEP_1)
	v_fma_f32 v0, -v0, v196, v197
	v_div_fmas_f32 v0, v0, v1, v196
	s_delay_alu instid0(VALU_DEP_1) | instskip(NEXT) | instid1(VALU_DEP_1)
	v_div_fixup_f32 v0, v0, v195, v194
	v_fmac_f32_e32 v195, v194, v0
	s_delay_alu instid0(VALU_DEP_1) | instskip(SKIP_1) | instid1(VALU_DEP_2)
	v_div_scale_f32 v1, null, v195, v195, 1.0
	v_div_scale_f32 v197, vcc_lo, 1.0, v195, 1.0
	v_rcp_f32_e32 v194, v1
	v_nop
	s_delay_alu instid0(TRANS32_DEP_1) | instskip(NEXT) | instid1(VALU_DEP_1)
	v_fma_f32 v196, -v1, v194, 1.0
	v_fmac_f32_e32 v194, v196, v194
	s_delay_alu instid0(VALU_DEP_1) | instskip(NEXT) | instid1(VALU_DEP_1)
	v_mul_f32_e32 v196, v197, v194
	v_fma_f32 v198, -v1, v196, v197
	s_delay_alu instid0(VALU_DEP_1) | instskip(NEXT) | instid1(VALU_DEP_1)
	v_fmac_f32_e32 v196, v198, v194
	v_fma_f32 v1, -v1, v196, v197
	s_delay_alu instid0(VALU_DEP_1) | instskip(NEXT) | instid1(VALU_DEP_1)
	v_div_fmas_f32 v1, v1, v194, v196
	v_div_fixup_f32 v1, v1, v195, 1.0
                                        ; implicit-def: $vgpr194_vgpr195
	s_delay_alu instid0(VALU_DEP_1)
	v_mul_f32_e32 v196, v0, v1
	v_xor_b32_e32 v197, 0x80000000, v1
.LBB75_185:
	s_and_not1_saveexec_b32 s1, s1
	s_cbranch_execz .LBB75_187
; %bb.186:
	v_div_scale_f32 v0, null, v194, v194, v195
	v_div_scale_f32 v197, vcc_lo, v195, v194, v195
	s_delay_alu instid0(VALU_DEP_2) | instskip(SKIP_1) | instid1(TRANS32_DEP_1)
	v_rcp_f32_e32 v1, v0
	v_nop
	v_fma_f32 v196, -v0, v1, 1.0
	s_delay_alu instid0(VALU_DEP_1) | instskip(NEXT) | instid1(VALU_DEP_1)
	v_fmac_f32_e32 v1, v196, v1
	v_mul_f32_e32 v196, v197, v1
	s_delay_alu instid0(VALU_DEP_1) | instskip(NEXT) | instid1(VALU_DEP_1)
	v_fma_f32 v198, -v0, v196, v197
	v_fmac_f32_e32 v196, v198, v1
	s_delay_alu instid0(VALU_DEP_1) | instskip(NEXT) | instid1(VALU_DEP_1)
	v_fma_f32 v0, -v0, v196, v197
	v_div_fmas_f32 v0, v0, v1, v196
	s_delay_alu instid0(VALU_DEP_1) | instskip(NEXT) | instid1(VALU_DEP_1)
	v_div_fixup_f32 v0, v0, v194, v195
	v_fmac_f32_e32 v194, v195, v0
	s_delay_alu instid0(VALU_DEP_1) | instskip(NEXT) | instid1(VALU_DEP_1)
	v_div_scale_f32 v1, null, v194, v194, 1.0
	v_rcp_f32_e32 v195, v1
	v_nop
	s_delay_alu instid0(TRANS32_DEP_1) | instskip(NEXT) | instid1(VALU_DEP_1)
	v_fma_f32 v196, -v1, v195, 1.0
	v_fmac_f32_e32 v195, v196, v195
	v_div_scale_f32 v196, vcc_lo, 1.0, v194, 1.0
	s_delay_alu instid0(VALU_DEP_1) | instskip(NEXT) | instid1(VALU_DEP_1)
	v_mul_f32_e32 v197, v196, v195
	v_fma_f32 v198, -v1, v197, v196
	s_delay_alu instid0(VALU_DEP_1) | instskip(NEXT) | instid1(VALU_DEP_1)
	v_fmac_f32_e32 v197, v198, v195
	v_fma_f32 v1, -v1, v197, v196
	s_delay_alu instid0(VALU_DEP_1) | instskip(NEXT) | instid1(VALU_DEP_1)
	v_div_fmas_f32 v1, v1, v195, v197
	v_div_fixup_f32 v196, v1, v194, 1.0
	s_delay_alu instid0(VALU_DEP_1)
	v_mul_f32_e64 v197, v0, -v196
.LBB75_187:
	s_or_b32 exec_lo, exec_lo, s1
	ds_store_b64 v231, v[196:197]
.LBB75_188:
	s_or_b32 exec_lo, exec_lo, s2
	s_wait_dscnt 0x0
	s_barrier_signal -1
	s_barrier_wait -1
	ds_load_b64 v[194:195], v231
	s_mov_b32 s1, exec_lo
	v_cmpx_lt_u32_e32 20, v230
	s_cbranch_execz .LBB75_190
; %bb.189:
	ds_load_2addr_b64 v[196:199], v232 offset0:21 offset1:22
	ds_load_2addr_b64 v[200:203], v232 offset0:23 offset1:24
	;; [unrolled: 1-line block ×3, first 2 shown]
	s_wait_dscnt 0x3
	v_pk_mul_f32 v[208:209], v[194:195], v[130:131] op_sel:[1,1] op_sel_hi:[0,1]
	s_delay_alu instid0(VALU_DEP_1)
	v_pk_fma_f32 v[218:219], v[194:195], v[130:131], v[208:209] op_sel_hi:[1,0,1]
	v_pk_fma_f32 v[216:217], v[194:195], v[130:131], v[208:209] op_sel_hi:[1,0,1] neg_lo:[0,0,1] neg_hi:[0,0,1]
	ds_load_2addr_b64 v[208:211], v232 offset0:27 offset1:28
	ds_load_2addr_b64 v[212:215], v232 offset0:29 offset1:30
	v_dual_mov_b32 v131, v219 :: v_dual_mov_b32 v130, v216
	s_wait_dscnt 0x4
	v_pk_mul_f32 v[220:221], v[196:197], v[218:219] op_sel:[0,1]
	v_pk_mul_f32 v[222:223], v[198:199], v[218:219] op_sel:[0,1]
	s_wait_dscnt 0x3
	v_pk_mul_f32 v[224:225], v[200:201], v[218:219] op_sel:[0,1]
	v_dual_mov_b32 v226, v203 :: v_dual_mov_b32 v227, v202
	v_dual_mul_f32 v228, v203, v219 :: v_dual_mul_f32 v234, v203, v216
	s_wait_dscnt 0x2
	v_pk_mul_f32 v[236:237], v[204:205], v[218:219] op_sel:[0,1]
	v_pk_fma_f32 v[240:241], v[196:197], v[216:217], v[220:221] op_sel:[0,0,1] op_sel_hi:[1,1,0] neg_lo:[0,0,1] neg_hi:[0,0,1]
	v_pk_fma_f32 v[196:197], v[196:197], v[216:217], v[220:221] op_sel:[0,0,1] op_sel_hi:[1,0,0]
	v_pk_mul_f32 v[238:239], v[206:207], v[218:219] op_sel:[0,1]
	v_pk_fma_f32 v[220:221], v[198:199], v[216:217], v[222:223] op_sel:[0,0,1] op_sel_hi:[1,1,0] neg_lo:[0,0,1] neg_hi:[0,0,1]
	v_pk_fma_f32 v[198:199], v[198:199], v[216:217], v[222:223] op_sel:[0,0,1] op_sel_hi:[1,0,0]
	v_pk_fma_f32 v[222:223], v[200:201], v[216:217], v[224:225] op_sel:[0,0,1] op_sel_hi:[1,1,0] neg_lo:[0,0,1] neg_hi:[0,0,1]
	v_pk_fma_f32 v[200:201], v[200:201], v[216:217], v[224:225] op_sel:[0,0,1] op_sel_hi:[1,0,0]
	v_pk_fma_f32 v[224:225], v[226:227], v[130:131], v[234:235] op_sel_hi:[1,1,0]
	s_delay_alu instid0(VALU_DEP_4)
	v_dual_mov_b32 v241, v197 :: v_dual_mov_b32 v221, v199
	v_pk_fma_f32 v[196:197], v[204:205], v[216:217], v[236:237] op_sel:[0,0,1] op_sel_hi:[1,0,0]
	v_pk_fma_f32 v[202:203], v[202:203], v[130:131], v[228:229] op_sel_hi:[1,1,0] neg_lo:[0,0,1] neg_hi:[0,0,1]
	v_pk_fma_f32 v[226:227], v[204:205], v[216:217], v[236:237] op_sel:[0,0,1] op_sel_hi:[1,1,0] neg_lo:[0,0,1] neg_hi:[0,0,1]
	v_dual_mov_b32 v223, v201 :: v_dual_mov_b32 v203, v225
	v_pk_fma_f32 v[200:201], v[206:207], v[216:217], v[238:239] op_sel:[0,0,1] op_sel_hi:[1,0,0]
	v_mov_b32_e32 v227, v197
	v_pk_fma_f32 v[204:205], v[206:207], v[216:217], v[238:239] op_sel:[0,0,1] op_sel_hi:[1,1,0] neg_lo:[0,0,1] neg_hi:[0,0,1]
	s_wait_dscnt 0x1
	v_pk_mul_f32 v[206:207], v[208:209], v[218:219] op_sel:[0,1]
	ds_load_2addr_b64 v[196:199], v232 offset0:31 offset1:32
	v_mov_b32_e32 v205, v201
	v_pk_mul_f32 v[200:201], v[210:211], v[218:219] op_sel:[0,1]
	v_pk_add_f32 v[144:145], v[144:145], v[202:203] neg_lo:[0,1] neg_hi:[0,1]
	v_pk_fma_f32 v[202:203], v[208:209], v[216:217], v[206:207] op_sel:[0,0,1] op_sel_hi:[1,0,0]
	v_pk_fma_f32 v[206:207], v[208:209], v[216:217], v[206:207] op_sel:[0,0,1] op_sel_hi:[1,1,0] neg_lo:[0,0,1] neg_hi:[0,0,1]
	v_pk_add_f32 v[150:151], v[150:151], v[204:205] neg_lo:[0,1] neg_hi:[0,1]
	v_pk_fma_f32 v[204:205], v[210:211], v[216:217], v[200:201] op_sel:[0,0,1] op_sel_hi:[1,0,0]
	v_pk_fma_f32 v[208:209], v[210:211], v[216:217], v[200:201] op_sel:[0,0,1] op_sel_hi:[1,1,0] neg_lo:[0,0,1] neg_hi:[0,0,1]
	s_wait_dscnt 0x1
	v_dual_mov_b32 v207, v203 :: v_dual_mul_f32 v204, v213, v216
	ds_load_2addr_b64 v[200:203], v232 offset0:33 offset1:34
	v_mov_b32_e32 v209, v205
	v_mul_f32_e32 v210, v213, v219
	v_pk_add_f32 v[140:141], v[140:141], v[206:207] neg_lo:[0,1] neg_hi:[0,1]
	v_pk_mul_f32 v[206:207], v[214:215], v[218:219] op_sel:[0,1]
	v_pk_add_f32 v[102:103], v[102:103], v[220:221] neg_lo:[0,1] neg_hi:[0,1]
	v_pk_fma_f32 v[204:205], v[212:213], v[130:131], v[204:205] op_sel:[1,0,0] op_sel_hi:[0,1,0]
	v_pk_add_f32 v[148:149], v[148:149], v[208:209] neg_lo:[0,1] neg_hi:[0,1]
	v_pk_fma_f32 v[208:209], v[212:213], v[130:131], v[210:211] op_sel_hi:[1,1,0] neg_lo:[0,0,1] neg_hi:[0,0,1]
	v_pk_fma_f32 v[212:213], v[214:215], v[216:217], v[206:207] op_sel:[0,0,1] op_sel_hi:[1,0,0]
	s_wait_dscnt 0x1
	v_pk_mul_f32 v[220:221], v[198:199], v[218:219] op_sel:[0,1]
	v_pk_mul_f32 v[210:211], v[196:197], v[218:219] op_sel:[0,1]
	v_pk_fma_f32 v[214:215], v[214:215], v[216:217], v[206:207] op_sel:[0,0,1] op_sel_hi:[1,1,0] neg_lo:[0,0,1] neg_hi:[0,0,1]
	v_pk_add_f32 v[126:127], v[126:127], v[222:223] neg_lo:[0,1] neg_hi:[0,1]
	v_mov_b32_e32 v215, v213
	v_pk_fma_f32 v[212:213], v[198:199], v[216:217], v[220:221] op_sel:[0,0,1] op_sel_hi:[1,0,0]
	v_mov_b32_e32 v209, v205
	ds_load_2addr_b64 v[204:207], v232 offset0:35 offset1:36
	v_pk_fma_f32 v[222:223], v[196:197], v[216:217], v[210:211] op_sel:[0,0,1] op_sel_hi:[1,0,0]
	v_pk_fma_f32 v[196:197], v[196:197], v[216:217], v[210:211] op_sel:[0,0,1] op_sel_hi:[1,1,0] neg_lo:[0,0,1] neg_hi:[0,0,1]
	ds_load_b64 v[210:211], v232 offset:296
	v_pk_fma_f32 v[198:199], v[198:199], v[216:217], v[220:221] op_sel:[0,0,1] op_sel_hi:[1,1,0] neg_lo:[0,0,1] neg_hi:[0,0,1]
	v_dual_mov_b32 v199, v213 :: v_dual_mov_b32 v197, v223
	s_wait_dscnt 0x2
	v_pk_mul_f32 v[212:213], v[200:201], v[218:219] op_sel:[0,1]
	v_pk_add_f32 v[114:115], v[114:115], v[208:209] neg_lo:[0,1] neg_hi:[0,1]
	v_mul_f32_e32 v208, v203, v219
	v_pk_add_f32 v[134:135], v[134:135], v[198:199] neg_lo:[0,1] neg_hi:[0,1]
	v_pk_add_f32 v[112:113], v[112:113], v[196:197] neg_lo:[0,1] neg_hi:[0,1]
	v_pk_fma_f32 v[196:197], v[200:201], v[216:217], v[212:213] op_sel:[0,0,1] op_sel_hi:[1,0,0]
	v_dual_mov_b32 v198, v203 :: v_dual_mov_b32 v199, v202
	v_mul_f32_e32 v196, v203, v216
	v_pk_fma_f32 v[200:201], v[200:201], v[216:217], v[212:213] op_sel:[0,0,1] op_sel_hi:[1,1,0] neg_lo:[0,0,1] neg_hi:[0,0,1]
	s_delay_alu instid0(VALU_DEP_4)
	v_mov_b32_e32 v201, v197
	v_pk_fma_f32 v[202:203], v[202:203], v[130:131], v[208:209] op_sel_hi:[1,1,0] neg_lo:[0,0,1] neg_hi:[0,0,1]
	v_pk_add_f32 v[116:117], v[116:117], v[214:215] neg_lo:[0,1] neg_hi:[0,1]
	s_wait_dscnt 0x1
	v_pk_mul_f32 v[212:213], v[204:205], v[218:219] op_sel:[0,1]
	v_pk_fma_f32 v[196:197], v[198:199], v[130:131], v[196:197] op_sel_hi:[1,1,0]
	v_pk_mul_f32 v[198:199], v[206:207], v[218:219] op_sel:[0,1]
	s_wait_dscnt 0x0
	v_pk_mul_f32 v[208:209], v[210:211], v[218:219] op_sel:[0,1]
	v_pk_add_f32 v[128:129], v[128:129], v[240:241] neg_lo:[0,1] neg_hi:[0,1]
	v_pk_fma_f32 v[214:215], v[204:205], v[216:217], v[212:213] op_sel:[0,0,1] op_sel_hi:[1,0,0]
	v_mov_b32_e32 v203, v197
	v_pk_fma_f32 v[196:197], v[206:207], v[216:217], v[198:199] op_sel:[0,0,1] op_sel_hi:[1,0,0]
	v_pk_fma_f32 v[204:205], v[204:205], v[216:217], v[212:213] op_sel:[0,0,1] op_sel_hi:[1,1,0] neg_lo:[0,0,1] neg_hi:[0,0,1]
	v_pk_fma_f32 v[212:213], v[210:211], v[216:217], v[208:209] op_sel:[0,0,1] op_sel_hi:[1,0,0]
	v_pk_fma_f32 v[198:199], v[206:207], v[216:217], v[198:199] op_sel:[0,0,1] op_sel_hi:[1,1,0] neg_lo:[0,0,1] neg_hi:[0,0,1]
	s_delay_alu instid0(VALU_DEP_4) | instskip(SKIP_1) | instid1(VALU_DEP_4)
	v_dual_mov_b32 v205, v215 :: v_dual_mov_b32 v199, v197
	v_pk_fma_f32 v[196:197], v[210:211], v[216:217], v[208:209] op_sel:[0,0,1] op_sel_hi:[1,1,0] neg_lo:[0,0,1] neg_hi:[0,0,1]
	v_mov_b32_e32 v197, v213
	v_pk_add_f32 v[142:143], v[142:143], v[226:227] neg_lo:[0,1] neg_hi:[0,1]
	v_pk_add_f32 v[132:133], v[132:133], v[200:201] neg_lo:[0,1] neg_hi:[0,1]
	;; [unrolled: 1-line block ×6, first 2 shown]
.LBB75_190:
	s_or_b32 exec_lo, exec_lo, s1
	s_delay_alu instid0(SALU_CYCLE_1)
	s_mov_b32 s2, exec_lo
	s_wait_dscnt 0x0
	s_barrier_signal -1
	s_barrier_wait -1
	v_cmpx_eq_u32_e32 21, v230
	s_cbranch_execz .LBB75_197
; %bb.191:
	v_dual_mov_b32 v196, v102 :: v_dual_mov_b32 v197, v103
	v_dual_mov_b32 v198, v126 :: v_dual_mov_b32 v199, v127
	;; [unrolled: 1-line block ×4, first 2 shown]
	ds_store_b64 v231, v[128:129]
	ds_store_2addr_b64 v232, v[196:197], v[198:199] offset0:22 offset1:23
	ds_store_2addr_b64 v232, v[200:201], v[202:203] offset0:24 offset1:25
	v_dual_mov_b32 v196, v150 :: v_dual_mov_b32 v197, v151
	v_dual_mov_b32 v198, v140 :: v_dual_mov_b32 v199, v141
	;; [unrolled: 1-line block ×11, first 2 shown]
	ds_store_2addr_b64 v232, v[196:197], v[198:199] offset0:26 offset1:27
	ds_store_2addr_b64 v232, v[200:201], v[202:203] offset0:28 offset1:29
	;; [unrolled: 1-line block ×6, first 2 shown]
	ds_load_b64 v[196:197], v231
	s_wait_dscnt 0x0
	v_cmp_neq_f32_e32 vcc_lo, 0, v196
	v_cmp_neq_f32_e64 s1, 0, v197
	s_or_b32 s1, vcc_lo, s1
	s_delay_alu instid0(SALU_CYCLE_1)
	s_and_b32 exec_lo, exec_lo, s1
	s_cbranch_execz .LBB75_197
; %bb.192:
	v_cmp_ngt_f32_e64 s1, |v196|, |v197|
                                        ; implicit-def: $vgpr198_vgpr199
	s_and_saveexec_b32 s4, s1
	s_delay_alu instid0(SALU_CYCLE_1)
	s_xor_b32 s1, exec_lo, s4
	s_cbranch_execz .LBB75_194
; %bb.193:
	v_div_scale_f32 v0, null, v197, v197, v196
	v_div_scale_f32 v199, vcc_lo, v196, v197, v196
	s_delay_alu instid0(VALU_DEP_2) | instskip(SKIP_1) | instid1(TRANS32_DEP_1)
	v_rcp_f32_e32 v1, v0
	v_nop
	v_fma_f32 v198, -v0, v1, 1.0
	s_delay_alu instid0(VALU_DEP_1) | instskip(NEXT) | instid1(VALU_DEP_1)
	v_fmac_f32_e32 v1, v198, v1
	v_mul_f32_e32 v198, v199, v1
	s_delay_alu instid0(VALU_DEP_1) | instskip(NEXT) | instid1(VALU_DEP_1)
	v_fma_f32 v200, -v0, v198, v199
	v_fmac_f32_e32 v198, v200, v1
	s_delay_alu instid0(VALU_DEP_1) | instskip(NEXT) | instid1(VALU_DEP_1)
	v_fma_f32 v0, -v0, v198, v199
	v_div_fmas_f32 v0, v0, v1, v198
	s_delay_alu instid0(VALU_DEP_1) | instskip(NEXT) | instid1(VALU_DEP_1)
	v_div_fixup_f32 v0, v0, v197, v196
	v_fmac_f32_e32 v197, v196, v0
	s_delay_alu instid0(VALU_DEP_1) | instskip(SKIP_1) | instid1(VALU_DEP_2)
	v_div_scale_f32 v1, null, v197, v197, 1.0
	v_div_scale_f32 v199, vcc_lo, 1.0, v197, 1.0
	v_rcp_f32_e32 v196, v1
	v_nop
	s_delay_alu instid0(TRANS32_DEP_1) | instskip(NEXT) | instid1(VALU_DEP_1)
	v_fma_f32 v198, -v1, v196, 1.0
	v_fmac_f32_e32 v196, v198, v196
	s_delay_alu instid0(VALU_DEP_1) | instskip(NEXT) | instid1(VALU_DEP_1)
	v_mul_f32_e32 v198, v199, v196
	v_fma_f32 v200, -v1, v198, v199
	s_delay_alu instid0(VALU_DEP_1) | instskip(NEXT) | instid1(VALU_DEP_1)
	v_fmac_f32_e32 v198, v200, v196
	v_fma_f32 v1, -v1, v198, v199
	s_delay_alu instid0(VALU_DEP_1) | instskip(NEXT) | instid1(VALU_DEP_1)
	v_div_fmas_f32 v1, v1, v196, v198
	v_div_fixup_f32 v1, v1, v197, 1.0
                                        ; implicit-def: $vgpr196_vgpr197
	s_delay_alu instid0(VALU_DEP_1)
	v_mul_f32_e32 v198, v0, v1
	v_xor_b32_e32 v199, 0x80000000, v1
.LBB75_194:
	s_and_not1_saveexec_b32 s1, s1
	s_cbranch_execz .LBB75_196
; %bb.195:
	v_div_scale_f32 v0, null, v196, v196, v197
	v_div_scale_f32 v199, vcc_lo, v197, v196, v197
	s_delay_alu instid0(VALU_DEP_2) | instskip(SKIP_1) | instid1(TRANS32_DEP_1)
	v_rcp_f32_e32 v1, v0
	v_nop
	v_fma_f32 v198, -v0, v1, 1.0
	s_delay_alu instid0(VALU_DEP_1) | instskip(NEXT) | instid1(VALU_DEP_1)
	v_fmac_f32_e32 v1, v198, v1
	v_mul_f32_e32 v198, v199, v1
	s_delay_alu instid0(VALU_DEP_1) | instskip(NEXT) | instid1(VALU_DEP_1)
	v_fma_f32 v200, -v0, v198, v199
	v_fmac_f32_e32 v198, v200, v1
	s_delay_alu instid0(VALU_DEP_1) | instskip(NEXT) | instid1(VALU_DEP_1)
	v_fma_f32 v0, -v0, v198, v199
	v_div_fmas_f32 v0, v0, v1, v198
	s_delay_alu instid0(VALU_DEP_1) | instskip(NEXT) | instid1(VALU_DEP_1)
	v_div_fixup_f32 v0, v0, v196, v197
	v_fmac_f32_e32 v196, v197, v0
	s_delay_alu instid0(VALU_DEP_1) | instskip(NEXT) | instid1(VALU_DEP_1)
	v_div_scale_f32 v1, null, v196, v196, 1.0
	v_rcp_f32_e32 v197, v1
	v_nop
	s_delay_alu instid0(TRANS32_DEP_1) | instskip(NEXT) | instid1(VALU_DEP_1)
	v_fma_f32 v198, -v1, v197, 1.0
	v_fmac_f32_e32 v197, v198, v197
	v_div_scale_f32 v198, vcc_lo, 1.0, v196, 1.0
	s_delay_alu instid0(VALU_DEP_1) | instskip(NEXT) | instid1(VALU_DEP_1)
	v_mul_f32_e32 v199, v198, v197
	v_fma_f32 v200, -v1, v199, v198
	s_delay_alu instid0(VALU_DEP_1) | instskip(NEXT) | instid1(VALU_DEP_1)
	v_fmac_f32_e32 v199, v200, v197
	v_fma_f32 v1, -v1, v199, v198
	s_delay_alu instid0(VALU_DEP_1) | instskip(NEXT) | instid1(VALU_DEP_1)
	v_div_fmas_f32 v1, v1, v197, v199
	v_div_fixup_f32 v198, v1, v196, 1.0
	s_delay_alu instid0(VALU_DEP_1)
	v_mul_f32_e64 v199, v0, -v198
.LBB75_196:
	s_or_b32 exec_lo, exec_lo, s1
	ds_store_b64 v231, v[198:199]
.LBB75_197:
	s_or_b32 exec_lo, exec_lo, s2
	s_wait_dscnt 0x0
	s_barrier_signal -1
	s_barrier_wait -1
	ds_load_b64 v[196:197], v231
	s_mov_b32 s1, exec_lo
	v_cmpx_lt_u32_e32 21, v230
	s_cbranch_execz .LBB75_199
; %bb.198:
	ds_load_2addr_b64 v[198:201], v232 offset0:22 offset1:23
	ds_load_2addr_b64 v[202:205], v232 offset0:24 offset1:25
	;; [unrolled: 1-line block ×3, first 2 shown]
	s_wait_dscnt 0x3
	v_pk_mul_f32 v[210:211], v[196:197], v[128:129] op_sel:[1,1] op_sel_hi:[0,1]
	s_delay_alu instid0(VALU_DEP_1)
	v_pk_fma_f32 v[218:219], v[196:197], v[128:129], v[210:211] op_sel_hi:[1,0,1] neg_lo:[0,0,1] neg_hi:[0,0,1]
	v_pk_fma_f32 v[220:221], v[196:197], v[128:129], v[210:211] op_sel_hi:[1,0,1]
	ds_load_2addr_b64 v[210:213], v232 offset0:28 offset1:29
	ds_load_2addr_b64 v[214:217], v232 offset0:30 offset1:31
	v_dual_mov_b32 v128, v218 :: v_dual_mov_b32 v129, v221
	s_wait_dscnt 0x4
	v_pk_mul_f32 v[222:223], v[198:199], v[220:221] op_sel:[0,1]
	v_pk_mul_f32 v[224:225], v[200:201], v[220:221] op_sel:[0,1]
	s_wait_dscnt 0x3
	v_pk_mul_f32 v[226:227], v[202:203], v[220:221] op_sel:[0,1]
	v_dual_mov_b32 v228, v205 :: v_dual_mov_b32 v229, v204
	v_dual_mul_f32 v234, v205, v221 :: v_dual_mul_f32 v236, v205, v218
	s_wait_dscnt 0x2
	v_pk_mul_f32 v[238:239], v[206:207], v[220:221] op_sel:[0,1]
	v_pk_fma_f32 v[242:243], v[198:199], v[218:219], v[222:223] op_sel:[0,0,1] op_sel_hi:[1,1,0] neg_lo:[0,0,1] neg_hi:[0,0,1]
	v_pk_fma_f32 v[198:199], v[198:199], v[218:219], v[222:223] op_sel:[0,0,1] op_sel_hi:[1,0,0]
	v_pk_fma_f32 v[222:223], v[200:201], v[218:219], v[224:225] op_sel:[0,0,1] op_sel_hi:[1,1,0] neg_lo:[0,0,1] neg_hi:[0,0,1]
	v_pk_fma_f32 v[200:201], v[200:201], v[218:219], v[224:225] op_sel:[0,0,1] op_sel_hi:[1,0,0]
	v_pk_mul_f32 v[240:241], v[208:209], v[220:221] op_sel:[0,1]
	v_pk_fma_f32 v[224:225], v[202:203], v[218:219], v[226:227] op_sel:[0,0,1] op_sel_hi:[1,1,0] neg_lo:[0,0,1] neg_hi:[0,0,1]
	v_pk_fma_f32 v[202:203], v[202:203], v[218:219], v[226:227] op_sel:[0,0,1] op_sel_hi:[1,0,0]
	v_pk_fma_f32 v[226:227], v[228:229], v[128:129], v[236:237] op_sel_hi:[1,1,0]
	v_dual_mov_b32 v243, v199 :: v_dual_mov_b32 v223, v201
	v_pk_fma_f32 v[198:199], v[206:207], v[218:219], v[238:239] op_sel:[0,0,1] op_sel_hi:[1,0,0]
	v_pk_fma_f32 v[228:229], v[206:207], v[218:219], v[238:239] op_sel:[0,0,1] op_sel_hi:[1,1,0] neg_lo:[0,0,1] neg_hi:[0,0,1]
	v_mov_b32_e32 v225, v203
	v_pk_fma_f32 v[202:203], v[208:209], v[218:219], v[240:241] op_sel:[0,0,1] op_sel_hi:[1,0,0]
	s_wait_dscnt 0x1
	v_pk_mul_f32 v[206:207], v[210:211], v[220:221] op_sel:[0,1]
	v_pk_fma_f32 v[204:205], v[204:205], v[128:129], v[234:235] op_sel_hi:[1,1,0] neg_lo:[0,0,1] neg_hi:[0,0,1]
	v_mov_b32_e32 v205, v227
	v_pk_add_f32 v[126:127], v[126:127], v[222:223] neg_lo:[0,1] neg_hi:[0,1]
	v_mov_b32_e32 v229, v199
	ds_load_2addr_b64 v[198:201], v232 offset0:32 offset1:33
	v_pk_fma_f32 v[208:209], v[208:209], v[218:219], v[240:241] op_sel:[0,0,1] op_sel_hi:[1,1,0] neg_lo:[0,0,1] neg_hi:[0,0,1]
	v_pk_mul_f32 v[222:223], v[212:213], v[220:221] op_sel:[0,1]
	v_mov_b32_e32 v209, v203
	v_pk_fma_f32 v[202:203], v[210:211], v[218:219], v[206:207] op_sel:[0,0,1] op_sel_hi:[1,0,0]
	v_pk_add_f32 v[142:143], v[142:143], v[204:205] neg_lo:[0,1] neg_hi:[0,1]
	v_pk_fma_f32 v[206:207], v[210:211], v[218:219], v[206:207] op_sel:[0,0,1] op_sel_hi:[1,1,0] neg_lo:[0,0,1] neg_hi:[0,0,1]
	v_pk_fma_f32 v[204:205], v[212:213], v[218:219], v[222:223] op_sel:[0,0,1] op_sel_hi:[1,0,0]
	v_pk_add_f32 v[140:141], v[140:141], v[208:209] neg_lo:[0,1] neg_hi:[0,1]
	v_mov_b32_e32 v207, v203
	v_pk_fma_f32 v[208:209], v[212:213], v[218:219], v[222:223] op_sel:[0,0,1] op_sel_hi:[1,1,0] neg_lo:[0,0,1] neg_hi:[0,0,1]
	s_wait_dscnt 0x1
	v_dual_mul_f32 v210, v215, v218 :: v_dual_mov_b32 v209, v205
	ds_load_2addr_b64 v[202:205], v232 offset0:34 offset1:35
	v_pk_add_f32 v[148:149], v[148:149], v[206:207] neg_lo:[0,1] neg_hi:[0,1]
	v_mul_f32_e32 v206, v215, v221
	v_pk_fma_f32 v[210:211], v[214:215], v[128:129], v[210:211] op_sel:[1,0,0] op_sel_hi:[0,1,0]
	v_pk_add_f32 v[114:115], v[114:115], v[208:209] neg_lo:[0,1] neg_hi:[0,1]
	v_pk_mul_f32 v[212:213], v[216:217], v[220:221] op_sel:[0,1]
	v_pk_add_f32 v[144:145], v[144:145], v[224:225] neg_lo:[0,1] neg_hi:[0,1]
	v_pk_fma_f32 v[214:215], v[214:215], v[128:129], v[206:207] op_sel_hi:[1,1,0] neg_lo:[0,0,1] neg_hi:[0,0,1]
	ds_load_2addr_b64 v[206:209], v232 offset0:36 offset1:37
	s_wait_dscnt 0x2
	v_pk_mul_f32 v[222:223], v[198:199], v[220:221] op_sel:[0,1]
	v_pk_fma_f32 v[224:225], v[216:217], v[218:219], v[212:213] op_sel:[0,0,1] op_sel_hi:[1,0,0]
	v_mov_b32_e32 v215, v211
	v_pk_fma_f32 v[212:213], v[216:217], v[218:219], v[212:213] op_sel:[0,0,1] op_sel_hi:[1,1,0] neg_lo:[0,0,1] neg_hi:[0,0,1]
	v_pk_mul_f32 v[216:217], v[200:201], v[220:221] op_sel:[0,1]
	v_pk_fma_f32 v[210:211], v[198:199], v[218:219], v[222:223] op_sel:[0,0,1] op_sel_hi:[1,0,0]
	v_pk_fma_f32 v[198:199], v[198:199], v[218:219], v[222:223] op_sel:[0,0,1] op_sel_hi:[1,1,0] neg_lo:[0,0,1] neg_hi:[0,0,1]
	v_mov_b32_e32 v213, v225
	v_pk_add_f32 v[116:117], v[116:117], v[214:215] neg_lo:[0,1] neg_hi:[0,1]
	v_pk_add_f32 v[102:103], v[102:103], v[242:243] neg_lo:[0,1] neg_hi:[0,1]
	v_mov_b32_e32 v199, v211
	s_wait_dscnt 0x1
	v_pk_mul_f32 v[214:215], v[202:203], v[220:221] op_sel:[0,1]
	v_pk_fma_f32 v[210:211], v[200:201], v[218:219], v[216:217] op_sel:[0,0,1] op_sel_hi:[1,0,0]
	v_mov_b32_e32 v210, v205
	v_pk_add_f32 v[112:113], v[112:113], v[212:213] neg_lo:[0,1] neg_hi:[0,1]
	v_pk_add_f32 v[134:135], v[134:135], v[198:199] neg_lo:[0,1] neg_hi:[0,1]
	v_pk_fma_f32 v[198:199], v[200:201], v[218:219], v[216:217] op_sel:[0,0,1] op_sel_hi:[1,1,0] neg_lo:[0,0,1] neg_hi:[0,0,1]
	v_pk_fma_f32 v[200:201], v[202:203], v[218:219], v[214:215] op_sel:[0,0,1] op_sel_hi:[1,1,0] neg_lo:[0,0,1] neg_hi:[0,0,1]
	v_pk_fma_f32 v[202:203], v[202:203], v[218:219], v[214:215] op_sel:[0,0,1] op_sel_hi:[1,0,0]
	v_dual_mov_b32 v199, v211 :: v_dual_mov_b32 v211, v204
	v_dual_mul_f32 v212, v205, v218 :: v_dual_mul_f32 v202, v205, v221
	s_wait_dscnt 0x0
	v_pk_mul_f32 v[214:215], v[206:207], v[220:221] op_sel:[0,1]
	v_pk_mul_f32 v[216:217], v[208:209], v[220:221] op_sel:[0,1]
	v_pk_add_f32 v[150:151], v[150:151], v[228:229] neg_lo:[0,1] neg_hi:[0,1]
	v_pk_fma_f32 v[210:211], v[210:211], v[128:129], v[212:213] op_sel_hi:[1,1,0]
	v_mov_b32_e32 v201, v203
	v_pk_fma_f32 v[212:213], v[206:207], v[218:219], v[214:215] op_sel:[0,0,1] op_sel_hi:[1,0,0]
	v_pk_fma_f32 v[202:203], v[204:205], v[128:129], v[202:203] op_sel_hi:[1,1,0] neg_lo:[0,0,1] neg_hi:[0,0,1]
	v_pk_fma_f32 v[204:205], v[208:209], v[218:219], v[216:217] op_sel:[0,0,1] op_sel_hi:[1,0,0]
	v_pk_fma_f32 v[206:207], v[206:207], v[218:219], v[214:215] op_sel:[0,0,1] op_sel_hi:[1,1,0] neg_lo:[0,0,1] neg_hi:[0,0,1]
	v_pk_fma_f32 v[208:209], v[208:209], v[218:219], v[216:217] op_sel:[0,0,1] op_sel_hi:[1,1,0] neg_lo:[0,0,1] neg_hi:[0,0,1]
	v_dual_mov_b32 v203, v211 :: v_dual_mov_b32 v207, v213
	s_delay_alu instid0(VALU_DEP_4) | instskip(SKIP_2) | instid1(VALU_DEP_4)
	v_mov_b32_e32 v209, v205
	v_pk_add_f32 v[132:133], v[132:133], v[198:199] neg_lo:[0,1] neg_hi:[0,1]
	v_pk_add_f32 v[146:147], v[146:147], v[200:201] neg_lo:[0,1] neg_hi:[0,1]
	;; [unrolled: 1-line block ×5, first 2 shown]
.LBB75_199:
	s_or_b32 exec_lo, exec_lo, s1
	s_delay_alu instid0(SALU_CYCLE_1)
	s_mov_b32 s2, exec_lo
	s_wait_dscnt 0x0
	s_barrier_signal -1
	s_barrier_wait -1
	v_cmpx_eq_u32_e32 22, v230
	s_cbranch_execz .LBB75_206
; %bb.200:
	ds_store_b64 v231, v[102:103]
	ds_store_2addr_b64 v232, v[126:127], v[144:145] offset0:23 offset1:24
	ds_store_2addr_b64 v232, v[142:143], v[150:151] offset0:25 offset1:26
	;; [unrolled: 1-line block ×7, first 2 shown]
	ds_store_b64 v232, v[152:153] offset:296
	ds_load_b64 v[198:199], v231
	s_wait_dscnt 0x0
	v_cmp_neq_f32_e32 vcc_lo, 0, v198
	v_cmp_neq_f32_e64 s1, 0, v199
	s_or_b32 s1, vcc_lo, s1
	s_delay_alu instid0(SALU_CYCLE_1)
	s_and_b32 exec_lo, exec_lo, s1
	s_cbranch_execz .LBB75_206
; %bb.201:
	v_cmp_ngt_f32_e64 s1, |v198|, |v199|
                                        ; implicit-def: $vgpr200_vgpr201
	s_and_saveexec_b32 s4, s1
	s_delay_alu instid0(SALU_CYCLE_1)
	s_xor_b32 s1, exec_lo, s4
	s_cbranch_execz .LBB75_203
; %bb.202:
	v_div_scale_f32 v0, null, v199, v199, v198
	v_div_scale_f32 v201, vcc_lo, v198, v199, v198
	s_delay_alu instid0(VALU_DEP_2) | instskip(SKIP_1) | instid1(TRANS32_DEP_1)
	v_rcp_f32_e32 v1, v0
	v_nop
	v_fma_f32 v200, -v0, v1, 1.0
	s_delay_alu instid0(VALU_DEP_1) | instskip(NEXT) | instid1(VALU_DEP_1)
	v_fmac_f32_e32 v1, v200, v1
	v_mul_f32_e32 v200, v201, v1
	s_delay_alu instid0(VALU_DEP_1) | instskip(NEXT) | instid1(VALU_DEP_1)
	v_fma_f32 v202, -v0, v200, v201
	v_fmac_f32_e32 v200, v202, v1
	s_delay_alu instid0(VALU_DEP_1) | instskip(NEXT) | instid1(VALU_DEP_1)
	v_fma_f32 v0, -v0, v200, v201
	v_div_fmas_f32 v0, v0, v1, v200
	s_delay_alu instid0(VALU_DEP_1) | instskip(NEXT) | instid1(VALU_DEP_1)
	v_div_fixup_f32 v0, v0, v199, v198
	v_fmac_f32_e32 v199, v198, v0
	s_delay_alu instid0(VALU_DEP_1) | instskip(SKIP_1) | instid1(VALU_DEP_2)
	v_div_scale_f32 v1, null, v199, v199, 1.0
	v_div_scale_f32 v201, vcc_lo, 1.0, v199, 1.0
	v_rcp_f32_e32 v198, v1
	v_nop
	s_delay_alu instid0(TRANS32_DEP_1) | instskip(NEXT) | instid1(VALU_DEP_1)
	v_fma_f32 v200, -v1, v198, 1.0
	v_fmac_f32_e32 v198, v200, v198
	s_delay_alu instid0(VALU_DEP_1) | instskip(NEXT) | instid1(VALU_DEP_1)
	v_mul_f32_e32 v200, v201, v198
	v_fma_f32 v202, -v1, v200, v201
	s_delay_alu instid0(VALU_DEP_1) | instskip(NEXT) | instid1(VALU_DEP_1)
	v_fmac_f32_e32 v200, v202, v198
	v_fma_f32 v1, -v1, v200, v201
	s_delay_alu instid0(VALU_DEP_1) | instskip(NEXT) | instid1(VALU_DEP_1)
	v_div_fmas_f32 v1, v1, v198, v200
	v_div_fixup_f32 v1, v1, v199, 1.0
                                        ; implicit-def: $vgpr198_vgpr199
	s_delay_alu instid0(VALU_DEP_1)
	v_mul_f32_e32 v200, v0, v1
	v_xor_b32_e32 v201, 0x80000000, v1
.LBB75_203:
	s_and_not1_saveexec_b32 s1, s1
	s_cbranch_execz .LBB75_205
; %bb.204:
	v_div_scale_f32 v0, null, v198, v198, v199
	v_div_scale_f32 v201, vcc_lo, v199, v198, v199
	s_delay_alu instid0(VALU_DEP_2) | instskip(SKIP_1) | instid1(TRANS32_DEP_1)
	v_rcp_f32_e32 v1, v0
	v_nop
	v_fma_f32 v200, -v0, v1, 1.0
	s_delay_alu instid0(VALU_DEP_1) | instskip(NEXT) | instid1(VALU_DEP_1)
	v_fmac_f32_e32 v1, v200, v1
	v_mul_f32_e32 v200, v201, v1
	s_delay_alu instid0(VALU_DEP_1) | instskip(NEXT) | instid1(VALU_DEP_1)
	v_fma_f32 v202, -v0, v200, v201
	v_fmac_f32_e32 v200, v202, v1
	s_delay_alu instid0(VALU_DEP_1) | instskip(NEXT) | instid1(VALU_DEP_1)
	v_fma_f32 v0, -v0, v200, v201
	v_div_fmas_f32 v0, v0, v1, v200
	s_delay_alu instid0(VALU_DEP_1) | instskip(NEXT) | instid1(VALU_DEP_1)
	v_div_fixup_f32 v0, v0, v198, v199
	v_fmac_f32_e32 v198, v199, v0
	s_delay_alu instid0(VALU_DEP_1) | instskip(NEXT) | instid1(VALU_DEP_1)
	v_div_scale_f32 v1, null, v198, v198, 1.0
	v_rcp_f32_e32 v199, v1
	v_nop
	s_delay_alu instid0(TRANS32_DEP_1) | instskip(NEXT) | instid1(VALU_DEP_1)
	v_fma_f32 v200, -v1, v199, 1.0
	v_fmac_f32_e32 v199, v200, v199
	v_div_scale_f32 v200, vcc_lo, 1.0, v198, 1.0
	s_delay_alu instid0(VALU_DEP_1) | instskip(NEXT) | instid1(VALU_DEP_1)
	v_mul_f32_e32 v201, v200, v199
	v_fma_f32 v202, -v1, v201, v200
	s_delay_alu instid0(VALU_DEP_1) | instskip(NEXT) | instid1(VALU_DEP_1)
	v_fmac_f32_e32 v201, v202, v199
	v_fma_f32 v1, -v1, v201, v200
	s_delay_alu instid0(VALU_DEP_1) | instskip(NEXT) | instid1(VALU_DEP_1)
	v_div_fmas_f32 v1, v1, v199, v201
	v_div_fixup_f32 v200, v1, v198, 1.0
	s_delay_alu instid0(VALU_DEP_1)
	v_mul_f32_e64 v201, v0, -v200
.LBB75_205:
	s_or_b32 exec_lo, exec_lo, s1
	ds_store_b64 v231, v[200:201]
.LBB75_206:
	s_or_b32 exec_lo, exec_lo, s2
	s_wait_dscnt 0x0
	s_barrier_signal -1
	s_barrier_wait -1
	ds_load_b64 v[198:199], v231
	s_mov_b32 s1, exec_lo
	v_cmpx_lt_u32_e32 22, v230
	s_cbranch_execz .LBB75_208
; %bb.207:
	ds_load_2addr_b64 v[200:203], v232 offset0:23 offset1:24
	ds_load_2addr_b64 v[204:207], v232 offset0:25 offset1:26
	;; [unrolled: 1-line block ×3, first 2 shown]
	s_wait_dscnt 0x3
	v_pk_mul_f32 v[216:217], v[198:199], v[102:103] op_sel:[1,1] op_sel_hi:[0,1]
	ds_load_2addr_b64 v[212:215], v232 offset0:29 offset1:30
	v_pk_fma_f32 v[222:223], v[198:199], v[102:103], v[216:217] op_sel_hi:[1,0,1]
	v_pk_fma_f32 v[220:221], v[198:199], v[102:103], v[216:217] op_sel_hi:[1,0,1] neg_lo:[0,0,1] neg_hi:[0,0,1]
	ds_load_2addr_b64 v[216:219], v232 offset0:31 offset1:32
	v_dual_mov_b32 v103, v223 :: v_dual_mov_b32 v102, v220
	s_wait_dscnt 0x4
	v_pk_mul_f32 v[224:225], v[200:201], v[222:223] op_sel:[0,1]
	v_pk_mul_f32 v[226:227], v[202:203], v[222:223] op_sel:[0,1]
	s_wait_dscnt 0x3
	v_pk_mul_f32 v[228:229], v[204:205], v[222:223] op_sel:[0,1]
	s_wait_dscnt 0x2
	v_pk_mul_f32 v[240:241], v[208:209], v[222:223] op_sel:[0,1]
	v_dual_mov_b32 v234, v207 :: v_dual_mov_b32 v235, v206
	v_pk_fma_f32 v[246:247], v[200:201], v[220:221], v[224:225] op_sel:[0,0,1] op_sel_hi:[1,1,0] neg_lo:[0,0,1] neg_hi:[0,0,1]
	v_pk_fma_f32 v[200:201], v[200:201], v[220:221], v[224:225] op_sel:[0,0,1] op_sel_hi:[1,0,0]
	v_pk_fma_f32 v[224:225], v[202:203], v[220:221], v[226:227] op_sel:[0,0,1] op_sel_hi:[1,1,0] neg_lo:[0,0,1] neg_hi:[0,0,1]
	v_pk_fma_f32 v[202:203], v[202:203], v[220:221], v[226:227] op_sel:[0,0,1] op_sel_hi:[1,0,0]
	v_dual_mul_f32 v236, v207, v223 :: v_dual_mul_f32 v238, v207, v220
	v_pk_fma_f32 v[226:227], v[204:205], v[220:221], v[228:229] op_sel:[0,0,1] op_sel_hi:[1,1,0] neg_lo:[0,0,1] neg_hi:[0,0,1]
	v_pk_fma_f32 v[204:205], v[204:205], v[220:221], v[228:229] op_sel:[0,0,1] op_sel_hi:[1,0,0]
	v_pk_mul_f32 v[242:243], v[210:211], v[222:223] op_sel:[0,1]
	v_dual_mov_b32 v247, v201 :: v_dual_mov_b32 v225, v203
	v_pk_fma_f32 v[200:201], v[208:209], v[220:221], v[240:241] op_sel:[0,0,1] op_sel_hi:[1,0,0]
	s_wait_dscnt 0x1
	v_pk_mul_f32 v[244:245], v[212:213], v[222:223] op_sel:[0,1]
	v_pk_fma_f32 v[228:229], v[234:235], v[102:103], v[238:239] op_sel_hi:[1,1,0]
	v_mov_b32_e32 v227, v205
	v_pk_fma_f32 v[204:205], v[208:209], v[220:221], v[240:241] op_sel:[0,0,1] op_sel_hi:[1,1,0] neg_lo:[0,0,1] neg_hi:[0,0,1]
	v_pk_fma_f32 v[208:209], v[210:211], v[220:221], v[242:243] op_sel:[0,0,1] op_sel_hi:[1,0,0]
	v_mov_b32_e32 v205, v201
	ds_load_2addr_b64 v[200:203], v232 offset0:33 offset1:34
	v_pk_fma_f32 v[206:207], v[206:207], v[102:103], v[236:237] op_sel_hi:[1,1,0] neg_lo:[0,0,1] neg_hi:[0,0,1]
	v_pk_add_f32 v[144:145], v[144:145], v[224:225] neg_lo:[0,1] neg_hi:[0,1]
	v_pk_fma_f32 v[224:225], v[212:213], v[220:221], v[244:245] op_sel:[0,0,1] op_sel_hi:[1,0,0]
	v_mov_b32_e32 v207, v229
	v_pk_fma_f32 v[210:211], v[210:211], v[220:221], v[242:243] op_sel:[0,0,1] op_sel_hi:[1,1,0] neg_lo:[0,0,1] neg_hi:[0,0,1]
	v_mov_b32_e32 v211, v209
	v_pk_fma_f32 v[208:209], v[212:213], v[220:221], v[244:245] op_sel:[0,0,1] op_sel_hi:[1,1,0] neg_lo:[0,0,1] neg_hi:[0,0,1]
	v_pk_mul_f32 v[212:213], v[214:215], v[222:223] op_sel:[0,1]
	v_mov_b32_e32 v209, v225
	v_pk_add_f32 v[150:151], v[150:151], v[206:207] neg_lo:[0,1] neg_hi:[0,1]
	v_pk_add_f32 v[140:141], v[140:141], v[204:205] neg_lo:[0,1] neg_hi:[0,1]
	ds_load_2addr_b64 v[204:207], v232 offset0:35 offset1:36
	v_pk_add_f32 v[142:143], v[142:143], v[226:227] neg_lo:[0,1] neg_hi:[0,1]
	v_pk_add_f32 v[148:149], v[148:149], v[210:211] neg_lo:[0,1] neg_hi:[0,1]
	v_pk_fma_f32 v[210:211], v[214:215], v[220:221], v[212:213] op_sel:[0,0,1] op_sel_hi:[1,0,0]
	ds_load_b64 v[226:227], v232 offset:296
	v_pk_add_f32 v[114:115], v[114:115], v[208:209] neg_lo:[0,1] neg_hi:[0,1]
	v_pk_fma_f32 v[208:209], v[214:215], v[220:221], v[212:213] op_sel:[0,0,1] op_sel_hi:[1,1,0] neg_lo:[0,0,1] neg_hi:[0,0,1]
	s_wait_dscnt 0x3
	v_dual_mul_f32 v210, v217, v220 :: v_dual_mul_f32 v214, v217, v223
	v_pk_mul_f32 v[212:213], v[218:219], v[222:223] op_sel:[0,1]
	v_pk_add_f32 v[126:127], v[126:127], v[246:247] neg_lo:[0,1] neg_hi:[0,1]
	s_delay_alu instid0(VALU_DEP_3) | instskip(NEXT) | instid1(VALU_DEP_3)
	v_pk_fma_f32 v[214:215], v[216:217], v[102:103], v[214:215] op_sel_hi:[1,1,0] neg_lo:[0,0,1] neg_hi:[0,0,1]
	v_pk_fma_f32 v[224:225], v[218:219], v[220:221], v[212:213] op_sel:[0,0,1] op_sel_hi:[1,0,0]
	v_mov_b32_e32 v209, v211
	v_pk_fma_f32 v[210:211], v[216:217], v[102:103], v[210:211] op_sel:[1,0,0] op_sel_hi:[0,1,0]
	s_wait_dscnt 0x2
	v_pk_mul_f32 v[216:217], v[200:201], v[222:223] op_sel:[0,1]
	s_delay_alu instid0(VALU_DEP_2)
	v_mov_b32_e32 v215, v211
	v_pk_fma_f32 v[210:211], v[218:219], v[220:221], v[212:213] op_sel:[0,0,1] op_sel_hi:[1,1,0] neg_lo:[0,0,1] neg_hi:[0,0,1]
	v_mov_b32_e32 v211, v225
	v_pk_add_f32 v[116:117], v[116:117], v[208:209] neg_lo:[0,1] neg_hi:[0,1]
	v_pk_fma_f32 v[208:209], v[200:201], v[220:221], v[216:217] op_sel:[0,0,1] op_sel_hi:[1,0,0]
	v_pk_mul_f32 v[212:213], v[202:203], v[222:223] op_sel:[0,1]
	v_pk_fma_f32 v[200:201], v[200:201], v[220:221], v[216:217] op_sel:[0,0,1] op_sel_hi:[1,1,0] neg_lo:[0,0,1] neg_hi:[0,0,1]
	v_pk_add_f32 v[134:135], v[134:135], v[210:211] neg_lo:[0,1] neg_hi:[0,1]
	s_wait_dscnt 0x1
	v_pk_mul_f32 v[210:211], v[204:205], v[222:223] op_sel:[0,1]
	v_mov_b32_e32 v201, v209
	v_pk_fma_f32 v[208:209], v[202:203], v[220:221], v[212:213] op_sel:[0,0,1] op_sel_hi:[1,1,0] neg_lo:[0,0,1] neg_hi:[0,0,1]
	v_pk_fma_f32 v[202:203], v[202:203], v[220:221], v[212:213] op_sel:[0,0,1] op_sel_hi:[1,0,0]
	v_dual_mov_b32 v212, v207 :: v_dual_mov_b32 v213, v206
	v_mul_f32_e32 v202, v207, v220
	v_pk_add_f32 v[112:113], v[112:113], v[214:215] neg_lo:[0,1] neg_hi:[0,1]
	s_wait_dscnt 0x0
	v_pk_mul_f32 v[214:215], v[226:227], v[222:223] op_sel:[0,1]
	v_pk_fma_f32 v[216:217], v[204:205], v[220:221], v[210:211] op_sel:[0,0,1] op_sel_hi:[1,0,0]
	v_mul_f32_e32 v216, v207, v223
	v_mov_b32_e32 v209, v203
	v_pk_fma_f32 v[202:203], v[212:213], v[102:103], v[202:203] op_sel_hi:[1,1,0]
	v_pk_fma_f32 v[204:205], v[204:205], v[220:221], v[210:211] op_sel:[0,0,1] op_sel_hi:[1,1,0] neg_lo:[0,0,1] neg_hi:[0,0,1]
	v_pk_fma_f32 v[210:211], v[226:227], v[220:221], v[214:215] op_sel:[0,0,1] op_sel_hi:[1,0,0]
	v_pk_fma_f32 v[206:207], v[206:207], v[102:103], v[216:217] op_sel_hi:[1,1,0] neg_lo:[0,0,1] neg_hi:[0,0,1]
	s_delay_alu instid0(VALU_DEP_4) | instskip(SKIP_1) | instid1(VALU_DEP_4)
	v_dual_mov_b32 v205, v217 :: v_dual_mov_b32 v207, v203
	v_pk_fma_f32 v[202:203], v[226:227], v[220:221], v[214:215] op_sel:[0,0,1] op_sel_hi:[1,1,0] neg_lo:[0,0,1] neg_hi:[0,0,1]
	v_mov_b32_e32 v203, v211
	v_pk_add_f32 v[132:133], v[132:133], v[200:201] neg_lo:[0,1] neg_hi:[0,1]
	v_pk_add_f32 v[146:147], v[146:147], v[208:209] neg_lo:[0,1] neg_hi:[0,1]
	;; [unrolled: 1-line block ×5, first 2 shown]
.LBB75_208:
	s_or_b32 exec_lo, exec_lo, s1
	s_delay_alu instid0(SALU_CYCLE_1)
	s_mov_b32 s2, exec_lo
	s_wait_dscnt 0x0
	s_barrier_signal -1
	s_barrier_wait -1
	v_cmpx_eq_u32_e32 23, v230
	s_cbranch_execz .LBB75_215
; %bb.209:
	v_dual_mov_b32 v200, v144 :: v_dual_mov_b32 v201, v145
	v_dual_mov_b32 v202, v142 :: v_dual_mov_b32 v203, v143
	;; [unrolled: 1-line block ×4, first 2 shown]
	ds_store_b64 v231, v[126:127]
	ds_store_2addr_b64 v232, v[200:201], v[202:203] offset0:24 offset1:25
	ds_store_2addr_b64 v232, v[204:205], v[206:207] offset0:26 offset1:27
	v_dual_mov_b32 v200, v148 :: v_dual_mov_b32 v201, v149
	v_dual_mov_b32 v202, v114 :: v_dual_mov_b32 v203, v115
	;; [unrolled: 1-line block ×9, first 2 shown]
	ds_store_2addr_b64 v232, v[200:201], v[202:203] offset0:28 offset1:29
	ds_store_2addr_b64 v232, v[204:205], v[206:207] offset0:30 offset1:31
	;; [unrolled: 1-line block ×5, first 2 shown]
	ds_load_b64 v[200:201], v231
	s_wait_dscnt 0x0
	v_cmp_neq_f32_e32 vcc_lo, 0, v200
	v_cmp_neq_f32_e64 s1, 0, v201
	s_or_b32 s1, vcc_lo, s1
	s_delay_alu instid0(SALU_CYCLE_1)
	s_and_b32 exec_lo, exec_lo, s1
	s_cbranch_execz .LBB75_215
; %bb.210:
	v_cmp_ngt_f32_e64 s1, |v200|, |v201|
                                        ; implicit-def: $vgpr202_vgpr203
	s_and_saveexec_b32 s4, s1
	s_delay_alu instid0(SALU_CYCLE_1)
	s_xor_b32 s1, exec_lo, s4
	s_cbranch_execz .LBB75_212
; %bb.211:
	v_div_scale_f32 v0, null, v201, v201, v200
	v_div_scale_f32 v203, vcc_lo, v200, v201, v200
	s_delay_alu instid0(VALU_DEP_2) | instskip(SKIP_1) | instid1(TRANS32_DEP_1)
	v_rcp_f32_e32 v1, v0
	v_nop
	v_fma_f32 v202, -v0, v1, 1.0
	s_delay_alu instid0(VALU_DEP_1) | instskip(NEXT) | instid1(VALU_DEP_1)
	v_fmac_f32_e32 v1, v202, v1
	v_mul_f32_e32 v202, v203, v1
	s_delay_alu instid0(VALU_DEP_1) | instskip(NEXT) | instid1(VALU_DEP_1)
	v_fma_f32 v204, -v0, v202, v203
	v_fmac_f32_e32 v202, v204, v1
	s_delay_alu instid0(VALU_DEP_1) | instskip(NEXT) | instid1(VALU_DEP_1)
	v_fma_f32 v0, -v0, v202, v203
	v_div_fmas_f32 v0, v0, v1, v202
	s_delay_alu instid0(VALU_DEP_1) | instskip(NEXT) | instid1(VALU_DEP_1)
	v_div_fixup_f32 v0, v0, v201, v200
	v_fmac_f32_e32 v201, v200, v0
	s_delay_alu instid0(VALU_DEP_1) | instskip(SKIP_1) | instid1(VALU_DEP_2)
	v_div_scale_f32 v1, null, v201, v201, 1.0
	v_div_scale_f32 v203, vcc_lo, 1.0, v201, 1.0
	v_rcp_f32_e32 v200, v1
	v_nop
	s_delay_alu instid0(TRANS32_DEP_1) | instskip(NEXT) | instid1(VALU_DEP_1)
	v_fma_f32 v202, -v1, v200, 1.0
	v_fmac_f32_e32 v200, v202, v200
	s_delay_alu instid0(VALU_DEP_1) | instskip(NEXT) | instid1(VALU_DEP_1)
	v_mul_f32_e32 v202, v203, v200
	v_fma_f32 v204, -v1, v202, v203
	s_delay_alu instid0(VALU_DEP_1) | instskip(NEXT) | instid1(VALU_DEP_1)
	v_fmac_f32_e32 v202, v204, v200
	v_fma_f32 v1, -v1, v202, v203
	s_delay_alu instid0(VALU_DEP_1) | instskip(NEXT) | instid1(VALU_DEP_1)
	v_div_fmas_f32 v1, v1, v200, v202
	v_div_fixup_f32 v1, v1, v201, 1.0
                                        ; implicit-def: $vgpr200_vgpr201
	s_delay_alu instid0(VALU_DEP_1)
	v_mul_f32_e32 v202, v0, v1
	v_xor_b32_e32 v203, 0x80000000, v1
.LBB75_212:
	s_and_not1_saveexec_b32 s1, s1
	s_cbranch_execz .LBB75_214
; %bb.213:
	v_div_scale_f32 v0, null, v200, v200, v201
	v_div_scale_f32 v203, vcc_lo, v201, v200, v201
	s_delay_alu instid0(VALU_DEP_2) | instskip(SKIP_1) | instid1(TRANS32_DEP_1)
	v_rcp_f32_e32 v1, v0
	v_nop
	v_fma_f32 v202, -v0, v1, 1.0
	s_delay_alu instid0(VALU_DEP_1) | instskip(NEXT) | instid1(VALU_DEP_1)
	v_fmac_f32_e32 v1, v202, v1
	v_mul_f32_e32 v202, v203, v1
	s_delay_alu instid0(VALU_DEP_1) | instskip(NEXT) | instid1(VALU_DEP_1)
	v_fma_f32 v204, -v0, v202, v203
	v_fmac_f32_e32 v202, v204, v1
	s_delay_alu instid0(VALU_DEP_1) | instskip(NEXT) | instid1(VALU_DEP_1)
	v_fma_f32 v0, -v0, v202, v203
	v_div_fmas_f32 v0, v0, v1, v202
	s_delay_alu instid0(VALU_DEP_1) | instskip(NEXT) | instid1(VALU_DEP_1)
	v_div_fixup_f32 v0, v0, v200, v201
	v_fmac_f32_e32 v200, v201, v0
	s_delay_alu instid0(VALU_DEP_1) | instskip(NEXT) | instid1(VALU_DEP_1)
	v_div_scale_f32 v1, null, v200, v200, 1.0
	v_rcp_f32_e32 v201, v1
	v_nop
	s_delay_alu instid0(TRANS32_DEP_1) | instskip(NEXT) | instid1(VALU_DEP_1)
	v_fma_f32 v202, -v1, v201, 1.0
	v_fmac_f32_e32 v201, v202, v201
	v_div_scale_f32 v202, vcc_lo, 1.0, v200, 1.0
	s_delay_alu instid0(VALU_DEP_1) | instskip(NEXT) | instid1(VALU_DEP_1)
	v_mul_f32_e32 v203, v202, v201
	v_fma_f32 v204, -v1, v203, v202
	s_delay_alu instid0(VALU_DEP_1) | instskip(NEXT) | instid1(VALU_DEP_1)
	v_fmac_f32_e32 v203, v204, v201
	v_fma_f32 v1, -v1, v203, v202
	s_delay_alu instid0(VALU_DEP_1) | instskip(NEXT) | instid1(VALU_DEP_1)
	v_div_fmas_f32 v1, v1, v201, v203
	v_div_fixup_f32 v202, v1, v200, 1.0
	s_delay_alu instid0(VALU_DEP_1)
	v_mul_f32_e64 v203, v0, -v202
.LBB75_214:
	s_or_b32 exec_lo, exec_lo, s1
	ds_store_b64 v231, v[202:203]
.LBB75_215:
	s_or_b32 exec_lo, exec_lo, s2
	s_wait_dscnt 0x0
	s_barrier_signal -1
	s_barrier_wait -1
	ds_load_b64 v[200:201], v231
	s_mov_b32 s1, exec_lo
	v_cmpx_lt_u32_e32 23, v230
	s_cbranch_execz .LBB75_217
; %bb.216:
	ds_load_2addr_b64 v[202:205], v232 offset0:24 offset1:25
	ds_load_2addr_b64 v[206:209], v232 offset0:26 offset1:27
	;; [unrolled: 1-line block ×3, first 2 shown]
	s_wait_dscnt 0x3
	v_pk_mul_f32 v[214:215], v[200:201], v[126:127] op_sel:[1,1] op_sel_hi:[0,1]
	s_delay_alu instid0(VALU_DEP_1)
	v_pk_fma_f32 v[224:225], v[200:201], v[126:127], v[214:215] op_sel_hi:[1,0,1]
	v_pk_fma_f32 v[222:223], v[200:201], v[126:127], v[214:215] op_sel_hi:[1,0,1] neg_lo:[0,0,1] neg_hi:[0,0,1]
	ds_load_2addr_b64 v[214:217], v232 offset0:30 offset1:31
	ds_load_2addr_b64 v[218:221], v232 offset0:32 offset1:33
	v_dual_mov_b32 v127, v225 :: v_dual_mov_b32 v126, v222
	s_wait_dscnt 0x4
	v_pk_mul_f32 v[226:227], v[202:203], v[224:225] op_sel:[0,1]
	v_pk_mul_f32 v[228:229], v[204:205], v[224:225] op_sel:[0,1]
	s_wait_dscnt 0x3
	v_pk_mul_f32 v[234:235], v[206:207], v[224:225] op_sel:[0,1]
	v_dual_mov_b32 v236, v209 :: v_dual_mov_b32 v237, v208
	v_dual_mul_f32 v238, v209, v225 :: v_dual_mul_f32 v240, v209, v222
	s_wait_dscnt 0x2
	v_pk_mul_f32 v[242:243], v[210:211], v[224:225] op_sel:[0,1]
	v_pk_mul_f32 v[244:245], v[212:213], v[224:225] op_sel:[0,1]
	v_pk_fma_f32 v[246:247], v[202:203], v[222:223], v[226:227] op_sel:[0,0,1] op_sel_hi:[1,1,0] neg_lo:[0,0,1] neg_hi:[0,0,1]
	v_pk_fma_f32 v[202:203], v[202:203], v[222:223], v[226:227] op_sel:[0,0,1] op_sel_hi:[1,0,0]
	v_pk_fma_f32 v[226:227], v[204:205], v[222:223], v[228:229] op_sel:[0,0,1] op_sel_hi:[1,1,0] neg_lo:[0,0,1] neg_hi:[0,0,1]
	v_pk_fma_f32 v[204:205], v[204:205], v[222:223], v[228:229] op_sel:[0,0,1] op_sel_hi:[1,0,0]
	;; [unrolled: 2-line block ×3, first 2 shown]
	v_pk_fma_f32 v[234:235], v[236:237], v[126:127], v[240:241] op_sel_hi:[1,1,0]
	v_pk_fma_f32 v[236:237], v[210:211], v[222:223], v[242:243] op_sel:[0,0,1] op_sel_hi:[1,0,0]
	v_dual_mov_b32 v247, v203 :: v_dual_mov_b32 v227, v205
	v_pk_fma_f32 v[202:203], v[212:213], v[222:223], v[244:245] op_sel:[0,0,1] op_sel_hi:[1,0,0]
	v_mov_b32_e32 v229, v207
	v_pk_fma_f32 v[206:207], v[210:211], v[222:223], v[242:243] op_sel:[0,0,1] op_sel_hi:[1,1,0] neg_lo:[0,0,1] neg_hi:[0,0,1]
	v_pk_fma_f32 v[210:211], v[212:213], v[222:223], v[244:245] op_sel:[0,0,1] op_sel_hi:[1,1,0] neg_lo:[0,0,1] neg_hi:[0,0,1]
	s_delay_alu instid0(VALU_DEP_4)
	v_dual_mov_b32 v207, v237 :: v_dual_mov_b32 v211, v203
	ds_load_2addr_b64 v[202:205], v232 offset0:34 offset1:35
	v_pk_fma_f32 v[208:209], v[208:209], v[126:127], v[238:239] op_sel_hi:[1,1,0] neg_lo:[0,0,1] neg_hi:[0,0,1]
	s_wait_dscnt 0x2
	v_pk_mul_f32 v[212:213], v[214:215], v[224:225] op_sel:[0,1]
	v_mov_b32_e32 v209, v235
	v_pk_add_f32 v[142:143], v[142:143], v[226:227] neg_lo:[0,1] neg_hi:[0,1]
	v_pk_add_f32 v[114:115], v[114:115], v[210:211] neg_lo:[0,1] neg_hi:[0,1]
	v_pk_mul_f32 v[226:227], v[216:217], v[224:225] op_sel:[0,1]
	v_pk_fma_f32 v[210:211], v[214:215], v[222:223], v[212:213] op_sel:[0,0,1] op_sel_hi:[1,0,0]
	v_pk_add_f32 v[140:141], v[140:141], v[208:209] neg_lo:[0,1] neg_hi:[0,1]
	v_pk_add_f32 v[148:149], v[148:149], v[206:207] neg_lo:[0,1] neg_hi:[0,1]
	ds_load_2addr_b64 v[206:209], v232 offset0:36 offset1:37
	v_pk_fma_f32 v[212:213], v[214:215], v[222:223], v[212:213] op_sel:[0,0,1] op_sel_hi:[1,1,0] neg_lo:[0,0,1] neg_hi:[0,0,1]
	s_wait_dscnt 0x2
	v_mul_f32_e32 v210, v219, v222
	v_pk_fma_f32 v[214:215], v[216:217], v[222:223], v[226:227] op_sel:[0,0,1] op_sel_hi:[1,0,0]
	v_mov_b32_e32 v213, v211
	v_mul_f32_e32 v214, v219, v225
	v_pk_fma_f32 v[216:217], v[216:217], v[222:223], v[226:227] op_sel:[0,0,1] op_sel_hi:[1,1,0] neg_lo:[0,0,1] neg_hi:[0,0,1]
	v_pk_fma_f32 v[210:211], v[218:219], v[126:127], v[210:211] op_sel:[1,0,0] op_sel_hi:[0,1,0]
	v_mov_b32_e32 v217, v215
	v_pk_add_f32 v[116:117], v[116:117], v[212:213] neg_lo:[0,1] neg_hi:[0,1]
	s_wait_dscnt 0x1
	v_pk_mul_f32 v[212:213], v[202:203], v[224:225] op_sel:[0,1]
	v_pk_mul_f32 v[226:227], v[220:221], v[224:225] op_sel:[0,1]
	v_pk_fma_f32 v[214:215], v[218:219], v[126:127], v[214:215] op_sel_hi:[1,1,0] neg_lo:[0,0,1] neg_hi:[0,0,1]
	v_pk_add_f32 v[112:113], v[112:113], v[216:217] neg_lo:[0,1] neg_hi:[0,1]
	v_pk_add_f32 v[144:145], v[144:145], v[246:247] neg_lo:[0,1] neg_hi:[0,1]
	v_pk_fma_f32 v[216:217], v[202:203], v[222:223], v[212:213] op_sel:[0,0,1] op_sel_hi:[1,0,0]
	v_mov_b32_e32 v215, v211
	v_pk_fma_f32 v[210:211], v[220:221], v[222:223], v[226:227] op_sel:[0,0,1] op_sel_hi:[1,0,0]
	v_pk_fma_f32 v[202:203], v[202:203], v[222:223], v[212:213] op_sel:[0,0,1] op_sel_hi:[1,1,0] neg_lo:[0,0,1] neg_hi:[0,0,1]
	v_pk_add_f32 v[150:151], v[150:151], v[228:229] neg_lo:[0,1] neg_hi:[0,1]
	v_mov_b32_e32 v203, v217
	v_pk_add_f32 v[134:135], v[134:135], v[214:215] neg_lo:[0,1] neg_hi:[0,1]
	v_pk_fma_f32 v[214:215], v[220:221], v[222:223], v[226:227] op_sel:[0,0,1] op_sel_hi:[1,1,0] neg_lo:[0,0,1] neg_hi:[0,0,1]
	v_mov_b32_e32 v215, v211
	v_pk_mul_f32 v[210:211], v[204:205], v[224:225] op_sel:[0,1]
	s_wait_dscnt 0x0
	v_pk_mul_f32 v[218:219], v[206:207], v[224:225] op_sel:[0,1]
	v_pk_mul_f32 v[212:213], v[208:209], v[224:225] op_sel:[0,1]
	v_pk_add_f32 v[146:147], v[146:147], v[202:203] neg_lo:[0,1] neg_hi:[0,1]
	v_pk_fma_f32 v[220:221], v[204:205], v[222:223], v[210:211] op_sel:[0,0,1] op_sel_hi:[1,0,0]
	s_delay_alu instid0(VALU_DEP_4)
	v_pk_fma_f32 v[216:217], v[206:207], v[222:223], v[218:219] op_sel:[0,0,1] op_sel_hi:[1,0,0]
	v_pk_fma_f32 v[204:205], v[204:205], v[222:223], v[210:211] op_sel:[0,0,1] op_sel_hi:[1,1,0] neg_lo:[0,0,1] neg_hi:[0,0,1]
	v_pk_fma_f32 v[210:211], v[208:209], v[222:223], v[212:213] op_sel:[0,0,1] op_sel_hi:[1,0,0]
	v_pk_fma_f32 v[206:207], v[206:207], v[222:223], v[218:219] op_sel:[0,0,1] op_sel_hi:[1,1,0] neg_lo:[0,0,1] neg_hi:[0,0,1]
	v_pk_fma_f32 v[208:209], v[208:209], v[222:223], v[212:213] op_sel:[0,0,1] op_sel_hi:[1,1,0] neg_lo:[0,0,1] neg_hi:[0,0,1]
	v_dual_mov_b32 v205, v221 :: v_dual_mov_b32 v207, v217
	s_delay_alu instid0(VALU_DEP_4) | instskip(SKIP_1) | instid1(VALU_DEP_3)
	v_mov_b32_e32 v209, v211
	v_pk_add_f32 v[132:133], v[132:133], v[214:215] neg_lo:[0,1] neg_hi:[0,1]
	v_pk_add_f32 v[138:139], v[138:139], v[204:205] neg_lo:[0,1] neg_hi:[0,1]
	s_delay_alu instid0(VALU_DEP_4) | instskip(NEXT) | instid1(VALU_DEP_4)
	v_pk_add_f32 v[136:137], v[136:137], v[206:207] neg_lo:[0,1] neg_hi:[0,1]
	v_pk_add_f32 v[152:153], v[152:153], v[208:209] neg_lo:[0,1] neg_hi:[0,1]
.LBB75_217:
	s_or_b32 exec_lo, exec_lo, s1
	s_delay_alu instid0(SALU_CYCLE_1)
	s_mov_b32 s2, exec_lo
	s_wait_dscnt 0x0
	s_barrier_signal -1
	s_barrier_wait -1
	v_cmpx_eq_u32_e32 24, v230
	s_cbranch_execz .LBB75_224
; %bb.218:
	ds_store_b64 v231, v[144:145]
	ds_store_2addr_b64 v232, v[142:143], v[150:151] offset0:25 offset1:26
	ds_store_2addr_b64 v232, v[140:141], v[148:149] offset0:27 offset1:28
	;; [unrolled: 1-line block ×6, first 2 shown]
	ds_store_b64 v232, v[152:153] offset:296
	ds_load_b64 v[202:203], v231
	s_wait_dscnt 0x0
	v_cmp_neq_f32_e32 vcc_lo, 0, v202
	v_cmp_neq_f32_e64 s1, 0, v203
	s_or_b32 s1, vcc_lo, s1
	s_delay_alu instid0(SALU_CYCLE_1)
	s_and_b32 exec_lo, exec_lo, s1
	s_cbranch_execz .LBB75_224
; %bb.219:
	v_cmp_ngt_f32_e64 s1, |v202|, |v203|
                                        ; implicit-def: $vgpr204_vgpr205
	s_and_saveexec_b32 s4, s1
	s_delay_alu instid0(SALU_CYCLE_1)
	s_xor_b32 s1, exec_lo, s4
	s_cbranch_execz .LBB75_221
; %bb.220:
	v_div_scale_f32 v0, null, v203, v203, v202
	v_div_scale_f32 v205, vcc_lo, v202, v203, v202
	s_delay_alu instid0(VALU_DEP_2) | instskip(SKIP_1) | instid1(TRANS32_DEP_1)
	v_rcp_f32_e32 v1, v0
	v_nop
	v_fma_f32 v204, -v0, v1, 1.0
	s_delay_alu instid0(VALU_DEP_1) | instskip(NEXT) | instid1(VALU_DEP_1)
	v_fmac_f32_e32 v1, v204, v1
	v_mul_f32_e32 v204, v205, v1
	s_delay_alu instid0(VALU_DEP_1) | instskip(NEXT) | instid1(VALU_DEP_1)
	v_fma_f32 v206, -v0, v204, v205
	v_fmac_f32_e32 v204, v206, v1
	s_delay_alu instid0(VALU_DEP_1) | instskip(NEXT) | instid1(VALU_DEP_1)
	v_fma_f32 v0, -v0, v204, v205
	v_div_fmas_f32 v0, v0, v1, v204
	s_delay_alu instid0(VALU_DEP_1) | instskip(NEXT) | instid1(VALU_DEP_1)
	v_div_fixup_f32 v0, v0, v203, v202
	v_fmac_f32_e32 v203, v202, v0
	s_delay_alu instid0(VALU_DEP_1) | instskip(SKIP_1) | instid1(VALU_DEP_2)
	v_div_scale_f32 v1, null, v203, v203, 1.0
	v_div_scale_f32 v205, vcc_lo, 1.0, v203, 1.0
	v_rcp_f32_e32 v202, v1
	v_nop
	s_delay_alu instid0(TRANS32_DEP_1) | instskip(NEXT) | instid1(VALU_DEP_1)
	v_fma_f32 v204, -v1, v202, 1.0
	v_fmac_f32_e32 v202, v204, v202
	s_delay_alu instid0(VALU_DEP_1) | instskip(NEXT) | instid1(VALU_DEP_1)
	v_mul_f32_e32 v204, v205, v202
	v_fma_f32 v206, -v1, v204, v205
	s_delay_alu instid0(VALU_DEP_1) | instskip(NEXT) | instid1(VALU_DEP_1)
	v_fmac_f32_e32 v204, v206, v202
	v_fma_f32 v1, -v1, v204, v205
	s_delay_alu instid0(VALU_DEP_1) | instskip(NEXT) | instid1(VALU_DEP_1)
	v_div_fmas_f32 v1, v1, v202, v204
	v_div_fixup_f32 v1, v1, v203, 1.0
                                        ; implicit-def: $vgpr202_vgpr203
	s_delay_alu instid0(VALU_DEP_1)
	v_mul_f32_e32 v204, v0, v1
	v_xor_b32_e32 v205, 0x80000000, v1
.LBB75_221:
	s_and_not1_saveexec_b32 s1, s1
	s_cbranch_execz .LBB75_223
; %bb.222:
	v_div_scale_f32 v0, null, v202, v202, v203
	v_div_scale_f32 v205, vcc_lo, v203, v202, v203
	s_delay_alu instid0(VALU_DEP_2) | instskip(SKIP_1) | instid1(TRANS32_DEP_1)
	v_rcp_f32_e32 v1, v0
	v_nop
	v_fma_f32 v204, -v0, v1, 1.0
	s_delay_alu instid0(VALU_DEP_1) | instskip(NEXT) | instid1(VALU_DEP_1)
	v_fmac_f32_e32 v1, v204, v1
	v_mul_f32_e32 v204, v205, v1
	s_delay_alu instid0(VALU_DEP_1) | instskip(NEXT) | instid1(VALU_DEP_1)
	v_fma_f32 v206, -v0, v204, v205
	v_fmac_f32_e32 v204, v206, v1
	s_delay_alu instid0(VALU_DEP_1) | instskip(NEXT) | instid1(VALU_DEP_1)
	v_fma_f32 v0, -v0, v204, v205
	v_div_fmas_f32 v0, v0, v1, v204
	s_delay_alu instid0(VALU_DEP_1) | instskip(NEXT) | instid1(VALU_DEP_1)
	v_div_fixup_f32 v0, v0, v202, v203
	v_fmac_f32_e32 v202, v203, v0
	s_delay_alu instid0(VALU_DEP_1) | instskip(NEXT) | instid1(VALU_DEP_1)
	v_div_scale_f32 v1, null, v202, v202, 1.0
	v_rcp_f32_e32 v203, v1
	v_nop
	s_delay_alu instid0(TRANS32_DEP_1) | instskip(NEXT) | instid1(VALU_DEP_1)
	v_fma_f32 v204, -v1, v203, 1.0
	v_fmac_f32_e32 v203, v204, v203
	v_div_scale_f32 v204, vcc_lo, 1.0, v202, 1.0
	s_delay_alu instid0(VALU_DEP_1) | instskip(NEXT) | instid1(VALU_DEP_1)
	v_mul_f32_e32 v205, v204, v203
	v_fma_f32 v206, -v1, v205, v204
	s_delay_alu instid0(VALU_DEP_1) | instskip(NEXT) | instid1(VALU_DEP_1)
	v_fmac_f32_e32 v205, v206, v203
	v_fma_f32 v1, -v1, v205, v204
	s_delay_alu instid0(VALU_DEP_1) | instskip(NEXT) | instid1(VALU_DEP_1)
	v_div_fmas_f32 v1, v1, v203, v205
	v_div_fixup_f32 v204, v1, v202, 1.0
	s_delay_alu instid0(VALU_DEP_1)
	v_mul_f32_e64 v205, v0, -v204
.LBB75_223:
	s_or_b32 exec_lo, exec_lo, s1
	ds_store_b64 v231, v[204:205]
.LBB75_224:
	s_or_b32 exec_lo, exec_lo, s2
	s_wait_dscnt 0x0
	s_barrier_signal -1
	s_barrier_wait -1
	ds_load_b64 v[202:203], v231
	s_mov_b32 s1, exec_lo
	v_cmpx_lt_u32_e32 24, v230
	s_cbranch_execz .LBB75_226
; %bb.225:
	ds_load_2addr_b64 v[204:207], v232 offset0:25 offset1:26
	ds_load_2addr_b64 v[208:211], v232 offset0:27 offset1:28
	;; [unrolled: 1-line block ×3, first 2 shown]
	s_wait_dscnt 0x3
	v_pk_mul_f32 v[216:217], v[202:203], v[144:145] op_sel:[1,1] op_sel_hi:[0,1]
	s_delay_alu instid0(VALU_DEP_1)
	v_pk_fma_f32 v[224:225], v[202:203], v[144:145], v[216:217] op_sel_hi:[1,0,1] neg_lo:[0,0,1] neg_hi:[0,0,1]
	v_pk_fma_f32 v[226:227], v[202:203], v[144:145], v[216:217] op_sel_hi:[1,0,1]
	ds_load_2addr_b64 v[216:219], v232 offset0:31 offset1:32
	ds_load_2addr_b64 v[220:223], v232 offset0:33 offset1:34
	v_dual_mov_b32 v144, v224 :: v_dual_mov_b32 v145, v227
	s_wait_dscnt 0x4
	v_pk_mul_f32 v[228:229], v[204:205], v[226:227] op_sel:[0,1]
	v_pk_mul_f32 v[234:235], v[206:207], v[226:227] op_sel:[0,1]
	s_wait_dscnt 0x3
	v_pk_mul_f32 v[236:237], v[208:209], v[226:227] op_sel:[0,1]
	v_dual_mov_b32 v238, v211 :: v_dual_mov_b32 v239, v210
	v_dual_mul_f32 v240, v211, v227 :: v_dual_mul_f32 v242, v211, v224
	s_wait_dscnt 0x2
	v_pk_mul_f32 v[244:245], v[212:213], v[226:227] op_sel:[0,1]
	v_pk_fma_f32 v[248:249], v[204:205], v[224:225], v[228:229] op_sel:[0,0,1] op_sel_hi:[1,1,0] neg_lo:[0,0,1] neg_hi:[0,0,1]
	v_pk_fma_f32 v[204:205], v[204:205], v[224:225], v[228:229] op_sel:[0,0,1] op_sel_hi:[1,0,0]
	v_pk_fma_f32 v[228:229], v[206:207], v[224:225], v[234:235] op_sel:[0,0,1] op_sel_hi:[1,1,0] neg_lo:[0,0,1] neg_hi:[0,0,1]
	v_pk_fma_f32 v[206:207], v[206:207], v[224:225], v[234:235] op_sel:[0,0,1] op_sel_hi:[1,0,0]
	;; [unrolled: 2-line block ×3, first 2 shown]
	v_pk_fma_f32 v[236:237], v[238:239], v[144:145], v[242:243] op_sel_hi:[1,1,0]
	v_pk_fma_f32 v[210:211], v[210:211], v[144:145], v[240:241] op_sel_hi:[1,1,0] neg_lo:[0,0,1] neg_hi:[0,0,1]
	v_pk_mul_f32 v[246:247], v[214:215], v[226:227] op_sel:[0,1]
	v_dual_mov_b32 v249, v205 :: v_dual_mov_b32 v229, v207
	s_delay_alu instid0(VALU_DEP_4)
	v_dual_mov_b32 v235, v209 :: v_dual_mov_b32 v211, v237
	v_pk_fma_f32 v[204:205], v[212:213], v[224:225], v[244:245] op_sel:[0,0,1] op_sel_hi:[1,0,0]
	v_pk_fma_f32 v[208:209], v[212:213], v[224:225], v[244:245] op_sel:[0,0,1] op_sel_hi:[1,1,0] neg_lo:[0,0,1] neg_hi:[0,0,1]
	v_pk_fma_f32 v[212:213], v[214:215], v[224:225], v[246:247] op_sel:[0,0,1] op_sel_hi:[1,1,0] neg_lo:[0,0,1] neg_hi:[0,0,1]
	v_pk_add_f32 v[150:151], v[150:151], v[228:229] neg_lo:[0,1] neg_hi:[0,1]
	v_pk_add_f32 v[148:149], v[148:149], v[210:211] neg_lo:[0,1] neg_hi:[0,1]
	v_pk_fma_f32 v[210:211], v[214:215], v[224:225], v[246:247] op_sel:[0,0,1] op_sel_hi:[1,0,0]
	v_mov_b32_e32 v209, v205
	s_wait_dscnt 0x1
	v_pk_mul_f32 v[214:215], v[216:217], v[226:227] op_sel:[0,1]
	ds_load_2addr_b64 v[204:207], v232 offset0:35 offset1:36
	v_pk_add_f32 v[142:143], v[142:143], v[248:249] neg_lo:[0,1] neg_hi:[0,1]
	v_mov_b32_e32 v213, v211
	v_pk_add_f32 v[114:115], v[114:115], v[208:209] neg_lo:[0,1] neg_hi:[0,1]
	ds_load_b64 v[208:209], v232 offset:296
	v_pk_mul_f32 v[210:211], v[218:219], v[226:227] op_sel:[0,1]
	v_pk_fma_f32 v[228:229], v[216:217], v[224:225], v[214:215] op_sel:[0,0,1] op_sel_hi:[1,0,0]
	v_pk_add_f32 v[116:117], v[116:117], v[212:213] neg_lo:[0,1] neg_hi:[0,1]
	v_pk_fma_f32 v[214:215], v[216:217], v[224:225], v[214:215] op_sel:[0,0,1] op_sel_hi:[1,1,0] neg_lo:[0,0,1] neg_hi:[0,0,1]
	s_wait_dscnt 0x2
	v_mul_f32_e32 v216, v221, v227
	v_pk_fma_f32 v[212:213], v[218:219], v[224:225], v[210:211] op_sel:[0,0,1] op_sel_hi:[1,0,0]
	v_mul_f32_e32 v212, v221, v224
	v_mov_b32_e32 v215, v229
	v_pk_fma_f32 v[210:211], v[218:219], v[224:225], v[210:211] op_sel:[0,0,1] op_sel_hi:[1,1,0] neg_lo:[0,0,1] neg_hi:[0,0,1]
	v_pk_add_f32 v[140:141], v[140:141], v[234:235] neg_lo:[0,1] neg_hi:[0,1]
	v_mov_b32_e32 v211, v213
	v_pk_fma_f32 v[212:213], v[220:221], v[144:145], v[212:213] op_sel:[1,0,0] op_sel_hi:[0,1,0]
	v_pk_add_f32 v[112:113], v[112:113], v[214:215] neg_lo:[0,1] neg_hi:[0,1]
	v_pk_mul_f32 v[214:215], v[222:223], v[226:227] op_sel:[0,1]
	s_delay_alu instid0(VALU_DEP_4)
	v_pk_add_f32 v[134:135], v[134:135], v[210:211] neg_lo:[0,1] neg_hi:[0,1]
	v_pk_fma_f32 v[210:211], v[220:221], v[144:145], v[216:217] op_sel_hi:[1,1,0] neg_lo:[0,0,1] neg_hi:[0,0,1]
	s_wait_dscnt 0x1
	v_pk_mul_f32 v[218:219], v[206:207], v[226:227] op_sel:[0,1]
	v_pk_fma_f32 v[216:217], v[222:223], v[224:225], v[214:215] op_sel:[0,0,1] op_sel_hi:[1,0,0]
	v_mov_b32_e32 v211, v213
	v_pk_mul_f32 v[212:213], v[204:205], v[226:227] op_sel:[0,1]
	s_wait_dscnt 0x0
	v_pk_mul_f32 v[220:221], v[208:209], v[226:227] op_sel:[0,1]
	v_pk_fma_f32 v[214:215], v[222:223], v[224:225], v[214:215] op_sel:[0,0,1] op_sel_hi:[1,1,0] neg_lo:[0,0,1] neg_hi:[0,0,1]
	v_mov_b32_e32 v215, v217
	v_pk_fma_f32 v[216:217], v[206:207], v[224:225], v[218:219] op_sel:[0,0,1] op_sel_hi:[1,0,0]
	v_pk_fma_f32 v[222:223], v[204:205], v[224:225], v[212:213] op_sel:[0,0,1] op_sel_hi:[1,0,0]
	v_pk_fma_f32 v[204:205], v[204:205], v[224:225], v[212:213] op_sel:[0,0,1] op_sel_hi:[1,1,0] neg_lo:[0,0,1] neg_hi:[0,0,1]
	v_pk_fma_f32 v[212:213], v[208:209], v[224:225], v[220:221] op_sel:[0,0,1] op_sel_hi:[1,0,0]
	v_pk_fma_f32 v[206:207], v[206:207], v[224:225], v[218:219] op_sel:[0,0,1] op_sel_hi:[1,1,0] neg_lo:[0,0,1] neg_hi:[0,0,1]
	v_pk_fma_f32 v[208:209], v[208:209], v[224:225], v[220:221] op_sel:[0,0,1] op_sel_hi:[1,1,0] neg_lo:[0,0,1] neg_hi:[0,0,1]
	v_dual_mov_b32 v205, v223 :: v_dual_mov_b32 v207, v217
	s_delay_alu instid0(VALU_DEP_4) | instskip(SKIP_2) | instid1(VALU_DEP_4)
	v_mov_b32_e32 v209, v213
	v_pk_add_f32 v[132:133], v[132:133], v[210:211] neg_lo:[0,1] neg_hi:[0,1]
	v_pk_add_f32 v[146:147], v[146:147], v[214:215] neg_lo:[0,1] neg_hi:[0,1]
	;; [unrolled: 1-line block ×5, first 2 shown]
.LBB75_226:
	s_or_b32 exec_lo, exec_lo, s1
	s_delay_alu instid0(SALU_CYCLE_1)
	s_mov_b32 s2, exec_lo
	s_wait_dscnt 0x0
	s_barrier_signal -1
	s_barrier_wait -1
	v_cmpx_eq_u32_e32 25, v230
	s_cbranch_execz .LBB75_233
; %bb.227:
	v_dual_mov_b32 v204, v150 :: v_dual_mov_b32 v205, v151
	v_dual_mov_b32 v206, v140 :: v_dual_mov_b32 v207, v141
	;; [unrolled: 1-line block ×10, first 2 shown]
	ds_store_b64 v231, v[142:143]
	v_dual_mov_b32 v224, v136 :: v_dual_mov_b32 v225, v137
	ds_store_2addr_b64 v232, v[204:205], v[206:207] offset0:26 offset1:27
	ds_store_2addr_b64 v232, v[208:209], v[210:211] offset0:28 offset1:29
	;; [unrolled: 1-line block ×6, first 2 shown]
	ds_load_b64 v[204:205], v231
	s_wait_dscnt 0x0
	v_cmp_neq_f32_e32 vcc_lo, 0, v204
	v_cmp_neq_f32_e64 s1, 0, v205
	s_or_b32 s1, vcc_lo, s1
	s_delay_alu instid0(SALU_CYCLE_1)
	s_and_b32 exec_lo, exec_lo, s1
	s_cbranch_execz .LBB75_233
; %bb.228:
	v_cmp_ngt_f32_e64 s1, |v204|, |v205|
                                        ; implicit-def: $vgpr206_vgpr207
	s_and_saveexec_b32 s4, s1
	s_delay_alu instid0(SALU_CYCLE_1)
	s_xor_b32 s1, exec_lo, s4
	s_cbranch_execz .LBB75_230
; %bb.229:
	v_div_scale_f32 v0, null, v205, v205, v204
	v_div_scale_f32 v207, vcc_lo, v204, v205, v204
	s_delay_alu instid0(VALU_DEP_2) | instskip(SKIP_1) | instid1(TRANS32_DEP_1)
	v_rcp_f32_e32 v1, v0
	v_nop
	v_fma_f32 v206, -v0, v1, 1.0
	s_delay_alu instid0(VALU_DEP_1) | instskip(NEXT) | instid1(VALU_DEP_1)
	v_fmac_f32_e32 v1, v206, v1
	v_mul_f32_e32 v206, v207, v1
	s_delay_alu instid0(VALU_DEP_1) | instskip(NEXT) | instid1(VALU_DEP_1)
	v_fma_f32 v208, -v0, v206, v207
	v_fmac_f32_e32 v206, v208, v1
	s_delay_alu instid0(VALU_DEP_1) | instskip(NEXT) | instid1(VALU_DEP_1)
	v_fma_f32 v0, -v0, v206, v207
	v_div_fmas_f32 v0, v0, v1, v206
	s_delay_alu instid0(VALU_DEP_1) | instskip(NEXT) | instid1(VALU_DEP_1)
	v_div_fixup_f32 v0, v0, v205, v204
	v_fmac_f32_e32 v205, v204, v0
	s_delay_alu instid0(VALU_DEP_1) | instskip(SKIP_1) | instid1(VALU_DEP_2)
	v_div_scale_f32 v1, null, v205, v205, 1.0
	v_div_scale_f32 v207, vcc_lo, 1.0, v205, 1.0
	v_rcp_f32_e32 v204, v1
	v_nop
	s_delay_alu instid0(TRANS32_DEP_1) | instskip(NEXT) | instid1(VALU_DEP_1)
	v_fma_f32 v206, -v1, v204, 1.0
	v_fmac_f32_e32 v204, v206, v204
	s_delay_alu instid0(VALU_DEP_1) | instskip(NEXT) | instid1(VALU_DEP_1)
	v_mul_f32_e32 v206, v207, v204
	v_fma_f32 v208, -v1, v206, v207
	s_delay_alu instid0(VALU_DEP_1) | instskip(NEXT) | instid1(VALU_DEP_1)
	v_fmac_f32_e32 v206, v208, v204
	v_fma_f32 v1, -v1, v206, v207
	s_delay_alu instid0(VALU_DEP_1) | instskip(NEXT) | instid1(VALU_DEP_1)
	v_div_fmas_f32 v1, v1, v204, v206
	v_div_fixup_f32 v1, v1, v205, 1.0
                                        ; implicit-def: $vgpr204_vgpr205
	s_delay_alu instid0(VALU_DEP_1)
	v_mul_f32_e32 v206, v0, v1
	v_xor_b32_e32 v207, 0x80000000, v1
.LBB75_230:
	s_and_not1_saveexec_b32 s1, s1
	s_cbranch_execz .LBB75_232
; %bb.231:
	v_div_scale_f32 v0, null, v204, v204, v205
	v_div_scale_f32 v207, vcc_lo, v205, v204, v205
	s_delay_alu instid0(VALU_DEP_2) | instskip(SKIP_1) | instid1(TRANS32_DEP_1)
	v_rcp_f32_e32 v1, v0
	v_nop
	v_fma_f32 v206, -v0, v1, 1.0
	s_delay_alu instid0(VALU_DEP_1) | instskip(NEXT) | instid1(VALU_DEP_1)
	v_fmac_f32_e32 v1, v206, v1
	v_mul_f32_e32 v206, v207, v1
	s_delay_alu instid0(VALU_DEP_1) | instskip(NEXT) | instid1(VALU_DEP_1)
	v_fma_f32 v208, -v0, v206, v207
	v_fmac_f32_e32 v206, v208, v1
	s_delay_alu instid0(VALU_DEP_1) | instskip(NEXT) | instid1(VALU_DEP_1)
	v_fma_f32 v0, -v0, v206, v207
	v_div_fmas_f32 v0, v0, v1, v206
	s_delay_alu instid0(VALU_DEP_1) | instskip(NEXT) | instid1(VALU_DEP_1)
	v_div_fixup_f32 v0, v0, v204, v205
	v_fmac_f32_e32 v204, v205, v0
	s_delay_alu instid0(VALU_DEP_1) | instskip(NEXT) | instid1(VALU_DEP_1)
	v_div_scale_f32 v1, null, v204, v204, 1.0
	v_rcp_f32_e32 v205, v1
	v_nop
	s_delay_alu instid0(TRANS32_DEP_1) | instskip(NEXT) | instid1(VALU_DEP_1)
	v_fma_f32 v206, -v1, v205, 1.0
	v_fmac_f32_e32 v205, v206, v205
	v_div_scale_f32 v206, vcc_lo, 1.0, v204, 1.0
	s_delay_alu instid0(VALU_DEP_1) | instskip(NEXT) | instid1(VALU_DEP_1)
	v_mul_f32_e32 v207, v206, v205
	v_fma_f32 v208, -v1, v207, v206
	s_delay_alu instid0(VALU_DEP_1) | instskip(NEXT) | instid1(VALU_DEP_1)
	v_fmac_f32_e32 v207, v208, v205
	v_fma_f32 v1, -v1, v207, v206
	s_delay_alu instid0(VALU_DEP_1) | instskip(NEXT) | instid1(VALU_DEP_1)
	v_div_fmas_f32 v1, v1, v205, v207
	v_div_fixup_f32 v206, v1, v204, 1.0
	s_delay_alu instid0(VALU_DEP_1)
	v_mul_f32_e64 v207, v0, -v206
.LBB75_232:
	s_or_b32 exec_lo, exec_lo, s1
	ds_store_b64 v231, v[206:207]
.LBB75_233:
	s_or_b32 exec_lo, exec_lo, s2
	s_wait_dscnt 0x0
	s_barrier_signal -1
	s_barrier_wait -1
	ds_load_b64 v[204:205], v231
	s_mov_b32 s1, exec_lo
	v_cmpx_lt_u32_e32 25, v230
	s_cbranch_execz .LBB75_235
; %bb.234:
	ds_load_2addr_b64 v[206:209], v232 offset0:26 offset1:27
	ds_load_2addr_b64 v[210:213], v232 offset0:28 offset1:29
	;; [unrolled: 1-line block ×3, first 2 shown]
	s_wait_dscnt 0x3
	v_pk_mul_f32 v[218:219], v[204:205], v[142:143] op_sel:[1,1] op_sel_hi:[0,1]
	s_delay_alu instid0(VALU_DEP_1)
	v_pk_fma_f32 v[228:229], v[204:205], v[142:143], v[218:219] op_sel_hi:[1,0,1]
	v_pk_fma_f32 v[226:227], v[204:205], v[142:143], v[218:219] op_sel_hi:[1,0,1] neg_lo:[0,0,1] neg_hi:[0,0,1]
	ds_load_2addr_b64 v[218:221], v232 offset0:32 offset1:33
	ds_load_2addr_b64 v[222:225], v232 offset0:34 offset1:35
	v_dual_mov_b32 v143, v229 :: v_dual_mov_b32 v142, v226
	s_wait_dscnt 0x4
	v_pk_mul_f32 v[234:235], v[206:207], v[228:229] op_sel:[0,1]
	v_pk_mul_f32 v[236:237], v[208:209], v[228:229] op_sel:[0,1]
	s_wait_dscnt 0x3
	v_pk_mul_f32 v[238:239], v[210:211], v[228:229] op_sel:[0,1]
	s_wait_dscnt 0x2
	v_pk_mul_f32 v[246:247], v[214:215], v[228:229] op_sel:[0,1]
	v_dual_mov_b32 v240, v213 :: v_dual_mov_b32 v241, v212
	v_pk_fma_f32 v[250:251], v[206:207], v[226:227], v[234:235] op_sel:[0,0,1] op_sel_hi:[1,1,0] neg_lo:[0,0,1] neg_hi:[0,0,1]
	v_pk_fma_f32 v[206:207], v[206:207], v[226:227], v[234:235] op_sel:[0,0,1] op_sel_hi:[1,0,0]
	v_dual_mul_f32 v242, v213, v229 :: v_dual_mul_f32 v244, v213, v226
	v_pk_mul_f32 v[248:249], v[216:217], v[228:229] op_sel:[0,1]
	v_pk_fma_f32 v[234:235], v[208:209], v[226:227], v[236:237] op_sel:[0,0,1] op_sel_hi:[1,1,0] neg_lo:[0,0,1] neg_hi:[0,0,1]
	v_pk_fma_f32 v[208:209], v[208:209], v[226:227], v[236:237] op_sel:[0,0,1] op_sel_hi:[1,0,0]
	v_pk_fma_f32 v[236:237], v[210:211], v[226:227], v[238:239] op_sel:[0,0,1] op_sel_hi:[1,1,0] neg_lo:[0,0,1] neg_hi:[0,0,1]
	v_pk_fma_f32 v[210:211], v[210:211], v[226:227], v[238:239] op_sel:[0,0,1] op_sel_hi:[1,0,0]
	v_mov_b32_e32 v251, v207
	v_pk_fma_f32 v[206:207], v[214:215], v[226:227], v[246:247] op_sel:[0,0,1] op_sel_hi:[1,0,0]
	v_pk_fma_f32 v[238:239], v[240:241], v[142:143], v[244:245] op_sel_hi:[1,1,0]
	v_pk_fma_f32 v[240:241], v[214:215], v[226:227], v[246:247] op_sel:[0,0,1] op_sel_hi:[1,1,0] neg_lo:[0,0,1] neg_hi:[0,0,1]
	v_dual_mov_b32 v235, v209 :: v_dual_mov_b32 v237, v211
	v_pk_fma_f32 v[210:211], v[216:217], v[226:227], v[248:249] op_sel:[0,0,1] op_sel_hi:[1,0,0]
	v_mov_b32_e32 v241, v207
	ds_load_2addr_b64 v[206:209], v232 offset0:36 offset1:37
	v_pk_fma_f32 v[212:213], v[212:213], v[142:143], v[242:243] op_sel_hi:[1,1,0] neg_lo:[0,0,1] neg_hi:[0,0,1]
	v_mov_b32_e32 v213, v239
	s_wait_dscnt 0x2
	v_pk_mul_f32 v[214:215], v[218:219], v[228:229] op_sel:[0,1]
	v_pk_add_f32 v[150:151], v[150:151], v[250:251] neg_lo:[0,1] neg_hi:[0,1]
	v_pk_add_f32 v[140:141], v[140:141], v[234:235] neg_lo:[0,1] neg_hi:[0,1]
	;; [unrolled: 1-line block ×4, first 2 shown]
	v_pk_fma_f32 v[212:213], v[216:217], v[226:227], v[248:249] op_sel:[0,0,1] op_sel_hi:[1,1,0] neg_lo:[0,0,1] neg_hi:[0,0,1]
	v_pk_fma_f32 v[216:217], v[218:219], v[226:227], v[214:215] op_sel:[0,0,1] op_sel_hi:[1,0,0]
	v_mov_b32_e32 v213, v211
	v_pk_mul_f32 v[210:211], v[220:221], v[228:229] op_sel:[0,1]
	s_wait_dscnt 0x1
	v_mul_f32_e32 v216, v223, v226
	v_pk_fma_f32 v[214:215], v[218:219], v[226:227], v[214:215] op_sel:[0,0,1] op_sel_hi:[1,1,0] neg_lo:[0,0,1] neg_hi:[0,0,1]
	v_mov_b32_e32 v215, v217
	v_pk_add_f32 v[112:113], v[112:113], v[212:213] neg_lo:[0,1] neg_hi:[0,1]
	v_pk_fma_f32 v[212:213], v[220:221], v[226:227], v[210:211] op_sel:[0,0,1] op_sel_hi:[1,0,0]
	v_mul_f32_e32 v212, v223, v229
	v_pk_fma_f32 v[216:217], v[222:223], v[142:143], v[216:217] op_sel:[1,0,0] op_sel_hi:[0,1,0]
	v_pk_add_f32 v[134:135], v[134:135], v[214:215] neg_lo:[0,1] neg_hi:[0,1]
	v_pk_fma_f32 v[210:211], v[220:221], v[226:227], v[210:211] op_sel:[0,0,1] op_sel_hi:[1,1,0] neg_lo:[0,0,1] neg_hi:[0,0,1]
	v_pk_mul_f32 v[214:215], v[224:225], v[228:229] op_sel:[0,1]
	v_mov_b32_e32 v211, v213
	v_pk_fma_f32 v[212:213], v[222:223], v[142:143], v[212:213] op_sel_hi:[1,1,0] neg_lo:[0,0,1] neg_hi:[0,0,1]
	s_wait_dscnt 0x0
	v_dual_mov_b32 v213, v217 :: v_dual_mov_b32 v218, v209
	v_pk_mul_f32 v[216:217], v[206:207], v[228:229] op_sel:[0,1]
	v_dual_mov_b32 v219, v208 :: v_dual_mul_f32 v220, v209, v226
	v_pk_fma_f32 v[222:223], v[224:225], v[226:227], v[214:215] op_sel:[0,0,1] op_sel_hi:[1,0,0]
	v_mul_f32_e32 v222, v209, v229
	v_pk_fma_f32 v[214:215], v[224:225], v[226:227], v[214:215] op_sel:[0,0,1] op_sel_hi:[1,1,0] neg_lo:[0,0,1] neg_hi:[0,0,1]
	v_pk_fma_f32 v[224:225], v[206:207], v[226:227], v[216:217] op_sel:[0,0,1] op_sel_hi:[1,0,0]
	v_pk_fma_f32 v[218:219], v[218:219], v[142:143], v[220:221] op_sel_hi:[1,1,0]
	v_mov_b32_e32 v215, v223
	v_pk_fma_f32 v[206:207], v[206:207], v[226:227], v[216:217] op_sel:[0,0,1] op_sel_hi:[1,1,0] neg_lo:[0,0,1] neg_hi:[0,0,1]
	v_pk_fma_f32 v[208:209], v[208:209], v[142:143], v[222:223] op_sel_hi:[1,1,0] neg_lo:[0,0,1] neg_hi:[0,0,1]
	s_delay_alu instid0(VALU_DEP_4)
	v_dual_mov_b32 v207, v225 :: v_dual_mov_b32 v209, v219
	v_pk_add_f32 v[116:117], v[116:117], v[240:241] neg_lo:[0,1] neg_hi:[0,1]
	v_pk_add_f32 v[132:133], v[132:133], v[210:211] neg_lo:[0,1] neg_hi:[0,1]
	;; [unrolled: 1-line block ×6, first 2 shown]
.LBB75_235:
	s_or_b32 exec_lo, exec_lo, s1
	s_delay_alu instid0(SALU_CYCLE_1)
	s_mov_b32 s2, exec_lo
	s_wait_dscnt 0x0
	s_barrier_signal -1
	s_barrier_wait -1
	v_cmpx_eq_u32_e32 26, v230
	s_cbranch_execz .LBB75_242
; %bb.236:
	ds_store_b64 v231, v[150:151]
	ds_store_2addr_b64 v232, v[140:141], v[148:149] offset0:27 offset1:28
	ds_store_2addr_b64 v232, v[114:115], v[116:117] offset0:29 offset1:30
	;; [unrolled: 1-line block ×5, first 2 shown]
	ds_store_b64 v232, v[152:153] offset:296
	ds_load_b64 v[206:207], v231
	s_wait_dscnt 0x0
	v_cmp_neq_f32_e32 vcc_lo, 0, v206
	v_cmp_neq_f32_e64 s1, 0, v207
	s_or_b32 s1, vcc_lo, s1
	s_delay_alu instid0(SALU_CYCLE_1)
	s_and_b32 exec_lo, exec_lo, s1
	s_cbranch_execz .LBB75_242
; %bb.237:
	v_cmp_ngt_f32_e64 s1, |v206|, |v207|
                                        ; implicit-def: $vgpr208_vgpr209
	s_and_saveexec_b32 s4, s1
	s_delay_alu instid0(SALU_CYCLE_1)
	s_xor_b32 s1, exec_lo, s4
	s_cbranch_execz .LBB75_239
; %bb.238:
	v_div_scale_f32 v0, null, v207, v207, v206
	v_div_scale_f32 v209, vcc_lo, v206, v207, v206
	s_delay_alu instid0(VALU_DEP_2) | instskip(SKIP_1) | instid1(TRANS32_DEP_1)
	v_rcp_f32_e32 v1, v0
	v_nop
	v_fma_f32 v208, -v0, v1, 1.0
	s_delay_alu instid0(VALU_DEP_1) | instskip(NEXT) | instid1(VALU_DEP_1)
	v_fmac_f32_e32 v1, v208, v1
	v_mul_f32_e32 v208, v209, v1
	s_delay_alu instid0(VALU_DEP_1) | instskip(NEXT) | instid1(VALU_DEP_1)
	v_fma_f32 v210, -v0, v208, v209
	v_fmac_f32_e32 v208, v210, v1
	s_delay_alu instid0(VALU_DEP_1) | instskip(NEXT) | instid1(VALU_DEP_1)
	v_fma_f32 v0, -v0, v208, v209
	v_div_fmas_f32 v0, v0, v1, v208
	s_delay_alu instid0(VALU_DEP_1) | instskip(NEXT) | instid1(VALU_DEP_1)
	v_div_fixup_f32 v0, v0, v207, v206
	v_fmac_f32_e32 v207, v206, v0
	s_delay_alu instid0(VALU_DEP_1) | instskip(SKIP_1) | instid1(VALU_DEP_2)
	v_div_scale_f32 v1, null, v207, v207, 1.0
	v_div_scale_f32 v209, vcc_lo, 1.0, v207, 1.0
	v_rcp_f32_e32 v206, v1
	v_nop
	s_delay_alu instid0(TRANS32_DEP_1) | instskip(NEXT) | instid1(VALU_DEP_1)
	v_fma_f32 v208, -v1, v206, 1.0
	v_fmac_f32_e32 v206, v208, v206
	s_delay_alu instid0(VALU_DEP_1) | instskip(NEXT) | instid1(VALU_DEP_1)
	v_mul_f32_e32 v208, v209, v206
	v_fma_f32 v210, -v1, v208, v209
	s_delay_alu instid0(VALU_DEP_1) | instskip(NEXT) | instid1(VALU_DEP_1)
	v_fmac_f32_e32 v208, v210, v206
	v_fma_f32 v1, -v1, v208, v209
	s_delay_alu instid0(VALU_DEP_1) | instskip(NEXT) | instid1(VALU_DEP_1)
	v_div_fmas_f32 v1, v1, v206, v208
	v_div_fixup_f32 v1, v1, v207, 1.0
                                        ; implicit-def: $vgpr206_vgpr207
	s_delay_alu instid0(VALU_DEP_1)
	v_mul_f32_e32 v208, v0, v1
	v_xor_b32_e32 v209, 0x80000000, v1
.LBB75_239:
	s_and_not1_saveexec_b32 s1, s1
	s_cbranch_execz .LBB75_241
; %bb.240:
	v_div_scale_f32 v0, null, v206, v206, v207
	v_div_scale_f32 v209, vcc_lo, v207, v206, v207
	s_delay_alu instid0(VALU_DEP_2) | instskip(SKIP_1) | instid1(TRANS32_DEP_1)
	v_rcp_f32_e32 v1, v0
	v_nop
	v_fma_f32 v208, -v0, v1, 1.0
	s_delay_alu instid0(VALU_DEP_1) | instskip(NEXT) | instid1(VALU_DEP_1)
	v_fmac_f32_e32 v1, v208, v1
	v_mul_f32_e32 v208, v209, v1
	s_delay_alu instid0(VALU_DEP_1) | instskip(NEXT) | instid1(VALU_DEP_1)
	v_fma_f32 v210, -v0, v208, v209
	v_fmac_f32_e32 v208, v210, v1
	s_delay_alu instid0(VALU_DEP_1) | instskip(NEXT) | instid1(VALU_DEP_1)
	v_fma_f32 v0, -v0, v208, v209
	v_div_fmas_f32 v0, v0, v1, v208
	s_delay_alu instid0(VALU_DEP_1) | instskip(NEXT) | instid1(VALU_DEP_1)
	v_div_fixup_f32 v0, v0, v206, v207
	v_fmac_f32_e32 v206, v207, v0
	s_delay_alu instid0(VALU_DEP_1) | instskip(NEXT) | instid1(VALU_DEP_1)
	v_div_scale_f32 v1, null, v206, v206, 1.0
	v_rcp_f32_e32 v207, v1
	v_nop
	s_delay_alu instid0(TRANS32_DEP_1) | instskip(NEXT) | instid1(VALU_DEP_1)
	v_fma_f32 v208, -v1, v207, 1.0
	v_fmac_f32_e32 v207, v208, v207
	v_div_scale_f32 v208, vcc_lo, 1.0, v206, 1.0
	s_delay_alu instid0(VALU_DEP_1) | instskip(NEXT) | instid1(VALU_DEP_1)
	v_mul_f32_e32 v209, v208, v207
	v_fma_f32 v210, -v1, v209, v208
	s_delay_alu instid0(VALU_DEP_1) | instskip(NEXT) | instid1(VALU_DEP_1)
	v_fmac_f32_e32 v209, v210, v207
	v_fma_f32 v1, -v1, v209, v208
	s_delay_alu instid0(VALU_DEP_1) | instskip(NEXT) | instid1(VALU_DEP_1)
	v_div_fmas_f32 v1, v1, v207, v209
	v_div_fixup_f32 v208, v1, v206, 1.0
	s_delay_alu instid0(VALU_DEP_1)
	v_mul_f32_e64 v209, v0, -v208
.LBB75_241:
	s_or_b32 exec_lo, exec_lo, s1
	ds_store_b64 v231, v[208:209]
.LBB75_242:
	s_or_b32 exec_lo, exec_lo, s2
	s_wait_dscnt 0x0
	s_barrier_signal -1
	s_barrier_wait -1
	ds_load_b64 v[206:207], v231
	s_mov_b32 s1, exec_lo
	v_cmpx_lt_u32_e32 26, v230
	s_cbranch_execz .LBB75_244
; %bb.243:
	ds_load_2addr_b64 v[208:211], v232 offset0:27 offset1:28
	ds_load_2addr_b64 v[212:215], v232 offset0:29 offset1:30
	;; [unrolled: 1-line block ×3, first 2 shown]
	s_wait_dscnt 0x3
	v_pk_mul_f32 v[220:221], v[206:207], v[150:151] op_sel:[1,1] op_sel_hi:[0,1]
	s_delay_alu instid0(VALU_DEP_1)
	v_pk_fma_f32 v[228:229], v[206:207], v[150:151], v[220:221] op_sel_hi:[1,0,1] neg_lo:[0,0,1] neg_hi:[0,0,1]
	v_pk_fma_f32 v[234:235], v[206:207], v[150:151], v[220:221] op_sel_hi:[1,0,1]
	ds_load_2addr_b64 v[220:223], v232 offset0:33 offset1:34
	ds_load_2addr_b64 v[224:227], v232 offset0:35 offset1:36
	ds_load_b64 v[236:237], v232 offset:296
	v_dual_mov_b32 v150, v228 :: v_dual_mov_b32 v151, v235
	s_wait_dscnt 0x5
	v_pk_mul_f32 v[238:239], v[208:209], v[234:235] op_sel:[0,1]
	v_pk_mul_f32 v[240:241], v[210:211], v[234:235] op_sel:[0,1]
	s_wait_dscnt 0x4
	v_pk_mul_f32 v[242:243], v[212:213], v[234:235] op_sel:[0,1]
	v_dual_mov_b32 v244, v215 :: v_dual_mov_b32 v245, v214
	v_dual_mul_f32 v246, v215, v235 :: v_dual_mul_f32 v248, v215, v228
	s_wait_dscnt 0x3
	v_pk_mul_f32 v[250:251], v[216:217], v[234:235] op_sel:[0,1]
	v_pk_fma_f32 v[254:255], v[208:209], v[228:229], v[238:239] op_sel:[0,0,1] op_sel_hi:[1,1,0] neg_lo:[0,0,1] neg_hi:[0,0,1]
	v_pk_fma_f32 v[208:209], v[208:209], v[228:229], v[238:239] op_sel:[0,0,1] op_sel_hi:[1,0,0]
	v_pk_mul_f32 v[252:253], v[218:219], v[234:235] op_sel:[0,1]
	v_pk_fma_f32 v[238:239], v[210:211], v[228:229], v[240:241] op_sel:[0,0,1] op_sel_hi:[1,1,0] neg_lo:[0,0,1] neg_hi:[0,0,1]
	v_pk_fma_f32 v[210:211], v[210:211], v[228:229], v[240:241] op_sel:[0,0,1] op_sel_hi:[1,0,0]
	v_pk_fma_f32 v[240:241], v[212:213], v[228:229], v[242:243] op_sel:[0,0,1] op_sel_hi:[1,1,0] neg_lo:[0,0,1] neg_hi:[0,0,1]
	v_pk_fma_f32 v[212:213], v[212:213], v[228:229], v[242:243] op_sel:[0,0,1] op_sel_hi:[1,0,0]
	v_pk_fma_f32 v[242:243], v[244:245], v[150:151], v[248:249] op_sel_hi:[1,1,0]
	s_delay_alu instid0(VALU_DEP_4)
	v_dual_mov_b32 v255, v209 :: v_dual_mov_b32 v239, v211
	v_pk_fma_f32 v[208:209], v[216:217], v[228:229], v[250:251] op_sel:[0,0,1] op_sel_hi:[1,0,0]
	v_pk_fma_f32 v[210:211], v[218:219], v[228:229], v[252:253] op_sel:[0,0,1] op_sel_hi:[1,0,0]
	v_mov_b32_e32 v241, v213
	v_pk_fma_f32 v[212:213], v[216:217], v[228:229], v[250:251] op_sel:[0,0,1] op_sel_hi:[1,1,0] neg_lo:[0,0,1] neg_hi:[0,0,1]
	s_wait_dscnt 0x2
	v_pk_mul_f32 v[216:217], v[220:221], v[234:235] op_sel:[0,1]
	v_pk_fma_f32 v[214:215], v[214:215], v[150:151], v[246:247] op_sel_hi:[1,1,0] neg_lo:[0,0,1] neg_hi:[0,0,1]
	v_dual_mov_b32 v215, v243 :: v_dual_mov_b32 v213, v209
	v_pk_fma_f32 v[208:209], v[218:219], v[228:229], v[252:253] op_sel:[0,0,1] op_sel_hi:[1,1,0] neg_lo:[0,0,1] neg_hi:[0,0,1]
	v_mov_b32_e32 v209, v211
	v_pk_fma_f32 v[210:211], v[220:221], v[228:229], v[216:217] op_sel:[0,0,1] op_sel_hi:[1,0,0]
	s_delay_alu instid0(VALU_DEP_4)
	v_pk_add_f32 v[116:117], v[116:117], v[214:215] neg_lo:[0,1] neg_hi:[0,1]
	v_pk_mul_f32 v[214:215], v[222:223], v[234:235] op_sel:[0,1]
	v_pk_add_f32 v[112:113], v[112:113], v[212:213] neg_lo:[0,1] neg_hi:[0,1]
	v_pk_add_f32 v[134:135], v[134:135], v[208:209] neg_lo:[0,1] neg_hi:[0,1]
	v_pk_fma_f32 v[208:209], v[220:221], v[228:229], v[216:217] op_sel:[0,0,1] op_sel_hi:[1,1,0] neg_lo:[0,0,1] neg_hi:[0,0,1]
	s_wait_dscnt 0x1
	v_dual_mov_b32 v209, v211 :: v_dual_mul_f32 v212, v225, v228
	v_pk_mul_f32 v[216:217], v[226:227], v[234:235] op_sel:[0,1]
	s_wait_dscnt 0x0
	v_pk_mul_f32 v[218:219], v[236:237], v[234:235] op_sel:[0,1]
	v_pk_fma_f32 v[210:211], v[222:223], v[228:229], v[214:215] op_sel:[0,0,1] op_sel_hi:[1,1,0] neg_lo:[0,0,1] neg_hi:[0,0,1]
	v_pk_fma_f32 v[214:215], v[222:223], v[228:229], v[214:215] op_sel:[0,0,1] op_sel_hi:[1,0,0]
	v_mul_f32_e32 v214, v225, v235
	v_pk_fma_f32 v[212:213], v[224:225], v[150:151], v[212:213] op_sel:[1,0,0] op_sel_hi:[0,1,0]
	v_pk_fma_f32 v[220:221], v[226:227], v[228:229], v[216:217] op_sel:[0,0,1] op_sel_hi:[1,0,0]
	;; [unrolled: 1-line block ×3, first 2 shown]
	v_mov_b32_e32 v211, v215
	v_pk_fma_f32 v[214:215], v[224:225], v[150:151], v[214:215] op_sel_hi:[1,1,0] neg_lo:[0,0,1] neg_hi:[0,0,1]
	v_mov_b32_e32 v215, v213
	v_pk_fma_f32 v[212:213], v[226:227], v[228:229], v[216:217] op_sel:[0,0,1] op_sel_hi:[1,1,0] neg_lo:[0,0,1] neg_hi:[0,0,1]
	v_pk_fma_f32 v[216:217], v[236:237], v[228:229], v[218:219] op_sel:[0,0,1] op_sel_hi:[1,1,0] neg_lo:[0,0,1] neg_hi:[0,0,1]
	v_dual_mov_b32 v213, v221 :: v_dual_mov_b32 v217, v223
	v_pk_add_f32 v[140:141], v[140:141], v[254:255] neg_lo:[0,1] neg_hi:[0,1]
	v_pk_add_f32 v[148:149], v[148:149], v[238:239] neg_lo:[0,1] neg_hi:[0,1]
	;; [unrolled: 1-line block ×8, first 2 shown]
.LBB75_244:
	s_or_b32 exec_lo, exec_lo, s1
	s_delay_alu instid0(SALU_CYCLE_1)
	s_mov_b32 s2, exec_lo
	s_wait_dscnt 0x0
	s_barrier_signal -1
	s_barrier_wait -1
	v_cmpx_eq_u32_e32 27, v230
	s_cbranch_execz .LBB75_251
; %bb.245:
	v_dual_mov_b32 v208, v148 :: v_dual_mov_b32 v209, v149
	v_dual_mov_b32 v210, v114 :: v_dual_mov_b32 v211, v115
	;; [unrolled: 1-line block ×9, first 2 shown]
	ds_store_b64 v231, v[140:141]
	ds_store_2addr_b64 v232, v[208:209], v[210:211] offset0:28 offset1:29
	ds_store_2addr_b64 v232, v[212:213], v[214:215] offset0:30 offset1:31
	;; [unrolled: 1-line block ×5, first 2 shown]
	ds_load_b64 v[208:209], v231
	s_wait_dscnt 0x0
	v_cmp_neq_f32_e32 vcc_lo, 0, v208
	v_cmp_neq_f32_e64 s1, 0, v209
	s_or_b32 s1, vcc_lo, s1
	s_delay_alu instid0(SALU_CYCLE_1)
	s_and_b32 exec_lo, exec_lo, s1
	s_cbranch_execz .LBB75_251
; %bb.246:
	v_cmp_ngt_f32_e64 s1, |v208|, |v209|
                                        ; implicit-def: $vgpr210_vgpr211
	s_and_saveexec_b32 s4, s1
	s_delay_alu instid0(SALU_CYCLE_1)
	s_xor_b32 s1, exec_lo, s4
	s_cbranch_execz .LBB75_248
; %bb.247:
	v_div_scale_f32 v0, null, v209, v209, v208
	v_div_scale_f32 v211, vcc_lo, v208, v209, v208
	s_delay_alu instid0(VALU_DEP_2) | instskip(SKIP_1) | instid1(TRANS32_DEP_1)
	v_rcp_f32_e32 v1, v0
	v_nop
	v_fma_f32 v210, -v0, v1, 1.0
	s_delay_alu instid0(VALU_DEP_1) | instskip(NEXT) | instid1(VALU_DEP_1)
	v_fmac_f32_e32 v1, v210, v1
	v_mul_f32_e32 v210, v211, v1
	s_delay_alu instid0(VALU_DEP_1) | instskip(NEXT) | instid1(VALU_DEP_1)
	v_fma_f32 v212, -v0, v210, v211
	v_fmac_f32_e32 v210, v212, v1
	s_delay_alu instid0(VALU_DEP_1) | instskip(NEXT) | instid1(VALU_DEP_1)
	v_fma_f32 v0, -v0, v210, v211
	v_div_fmas_f32 v0, v0, v1, v210
	s_delay_alu instid0(VALU_DEP_1) | instskip(NEXT) | instid1(VALU_DEP_1)
	v_div_fixup_f32 v0, v0, v209, v208
	v_fmac_f32_e32 v209, v208, v0
	s_delay_alu instid0(VALU_DEP_1) | instskip(SKIP_1) | instid1(VALU_DEP_2)
	v_div_scale_f32 v1, null, v209, v209, 1.0
	v_div_scale_f32 v211, vcc_lo, 1.0, v209, 1.0
	v_rcp_f32_e32 v208, v1
	v_nop
	s_delay_alu instid0(TRANS32_DEP_1) | instskip(NEXT) | instid1(VALU_DEP_1)
	v_fma_f32 v210, -v1, v208, 1.0
	v_fmac_f32_e32 v208, v210, v208
	s_delay_alu instid0(VALU_DEP_1) | instskip(NEXT) | instid1(VALU_DEP_1)
	v_mul_f32_e32 v210, v211, v208
	v_fma_f32 v212, -v1, v210, v211
	s_delay_alu instid0(VALU_DEP_1) | instskip(NEXT) | instid1(VALU_DEP_1)
	v_fmac_f32_e32 v210, v212, v208
	v_fma_f32 v1, -v1, v210, v211
	s_delay_alu instid0(VALU_DEP_1) | instskip(NEXT) | instid1(VALU_DEP_1)
	v_div_fmas_f32 v1, v1, v208, v210
	v_div_fixup_f32 v1, v1, v209, 1.0
                                        ; implicit-def: $vgpr208_vgpr209
	s_delay_alu instid0(VALU_DEP_1)
	v_mul_f32_e32 v210, v0, v1
	v_xor_b32_e32 v211, 0x80000000, v1
.LBB75_248:
	s_and_not1_saveexec_b32 s1, s1
	s_cbranch_execz .LBB75_250
; %bb.249:
	v_div_scale_f32 v0, null, v208, v208, v209
	v_div_scale_f32 v211, vcc_lo, v209, v208, v209
	s_delay_alu instid0(VALU_DEP_2) | instskip(SKIP_1) | instid1(TRANS32_DEP_1)
	v_rcp_f32_e32 v1, v0
	v_nop
	v_fma_f32 v210, -v0, v1, 1.0
	s_delay_alu instid0(VALU_DEP_1) | instskip(NEXT) | instid1(VALU_DEP_1)
	v_fmac_f32_e32 v1, v210, v1
	v_mul_f32_e32 v210, v211, v1
	s_delay_alu instid0(VALU_DEP_1) | instskip(NEXT) | instid1(VALU_DEP_1)
	v_fma_f32 v212, -v0, v210, v211
	v_fmac_f32_e32 v210, v212, v1
	s_delay_alu instid0(VALU_DEP_1) | instskip(NEXT) | instid1(VALU_DEP_1)
	v_fma_f32 v0, -v0, v210, v211
	v_div_fmas_f32 v0, v0, v1, v210
	s_delay_alu instid0(VALU_DEP_1) | instskip(NEXT) | instid1(VALU_DEP_1)
	v_div_fixup_f32 v0, v0, v208, v209
	v_fmac_f32_e32 v208, v209, v0
	s_delay_alu instid0(VALU_DEP_1) | instskip(NEXT) | instid1(VALU_DEP_1)
	v_div_scale_f32 v1, null, v208, v208, 1.0
	v_rcp_f32_e32 v209, v1
	v_nop
	s_delay_alu instid0(TRANS32_DEP_1) | instskip(NEXT) | instid1(VALU_DEP_1)
	v_fma_f32 v210, -v1, v209, 1.0
	v_fmac_f32_e32 v209, v210, v209
	v_div_scale_f32 v210, vcc_lo, 1.0, v208, 1.0
	s_delay_alu instid0(VALU_DEP_1) | instskip(NEXT) | instid1(VALU_DEP_1)
	v_mul_f32_e32 v211, v210, v209
	v_fma_f32 v212, -v1, v211, v210
	s_delay_alu instid0(VALU_DEP_1) | instskip(NEXT) | instid1(VALU_DEP_1)
	v_fmac_f32_e32 v211, v212, v209
	v_fma_f32 v1, -v1, v211, v210
	s_delay_alu instid0(VALU_DEP_1) | instskip(NEXT) | instid1(VALU_DEP_1)
	v_div_fmas_f32 v1, v1, v209, v211
	v_div_fixup_f32 v210, v1, v208, 1.0
	s_delay_alu instid0(VALU_DEP_1)
	v_mul_f32_e64 v211, v0, -v210
.LBB75_250:
	s_or_b32 exec_lo, exec_lo, s1
	ds_store_b64 v231, v[210:211]
.LBB75_251:
	s_or_b32 exec_lo, exec_lo, s2
	s_wait_dscnt 0x0
	s_barrier_signal -1
	s_barrier_wait -1
	ds_load_b64 v[208:209], v231
	s_mov_b32 s1, exec_lo
	v_cmpx_lt_u32_e32 27, v230
	s_cbranch_execz .LBB75_253
; %bb.252:
	ds_load_2addr_b64 v[210:213], v232 offset0:28 offset1:29
	ds_load_2addr_b64 v[214:217], v232 offset0:30 offset1:31
	;; [unrolled: 1-line block ×3, first 2 shown]
	s_wait_dscnt 0x3
	v_pk_mul_f32 v[222:223], v[208:209], v[140:141] op_sel:[1,1] op_sel_hi:[0,1]
	s_delay_alu instid0(VALU_DEP_1)
	v_pk_fma_f32 v[234:235], v[208:209], v[140:141], v[222:223] op_sel_hi:[1,0,1] neg_lo:[0,0,1] neg_hi:[0,0,1]
	v_pk_fma_f32 v[236:237], v[208:209], v[140:141], v[222:223] op_sel_hi:[1,0,1]
	ds_load_2addr_b64 v[222:225], v232 offset0:34 offset1:35
	ds_load_2addr_b64 v[226:229], v232 offset0:36 offset1:37
	v_dual_mov_b32 v140, v234 :: v_dual_mov_b32 v141, v237
	s_wait_dscnt 0x4
	v_pk_mul_f32 v[238:239], v[210:211], v[236:237] op_sel:[0,1]
	v_pk_mul_f32 v[240:241], v[212:213], v[236:237] op_sel:[0,1]
	s_wait_dscnt 0x3
	v_pk_mul_f32 v[242:243], v[214:215], v[236:237] op_sel:[0,1]
	v_dual_mov_b32 v244, v217 :: v_dual_mov_b32 v245, v216
	v_dual_mul_f32 v246, v217, v237 :: v_dual_mul_f32 v248, v217, v234
	s_wait_dscnt 0x2
	v_pk_mul_f32 v[250:251], v[218:219], v[236:237] op_sel:[0,1]
	v_pk_mul_f32 v[252:253], v[220:221], v[236:237] op_sel:[0,1]
	v_pk_fma_f32 v[254:255], v[210:211], v[234:235], v[238:239] op_sel:[0,0,1] op_sel_hi:[1,1,0] neg_lo:[0,0,1] neg_hi:[0,0,1]
	v_pk_fma_f32 v[210:211], v[210:211], v[234:235], v[238:239] op_sel:[0,0,1] op_sel_hi:[1,0,0]
	v_pk_fma_f32 v[238:239], v[212:213], v[234:235], v[240:241] op_sel:[0,0,1] op_sel_hi:[1,1,0] neg_lo:[0,0,1] neg_hi:[0,0,1]
	v_pk_fma_f32 v[212:213], v[212:213], v[234:235], v[240:241] op_sel:[0,0,1] op_sel_hi:[1,0,0]
	;; [unrolled: 2-line block ×3, first 2 shown]
	v_pk_fma_f32 v[242:243], v[244:245], v[140:141], v[248:249] op_sel_hi:[1,1,0]
	v_pk_fma_f32 v[216:217], v[216:217], v[140:141], v[246:247] op_sel_hi:[1,1,0] neg_lo:[0,0,1] neg_hi:[0,0,1]
	v_pk_fma_f32 v[244:245], v[218:219], v[234:235], v[250:251] op_sel:[0,0,1] op_sel_hi:[1,1,0] neg_lo:[0,0,1] neg_hi:[0,0,1]
	v_pk_fma_f32 v[218:219], v[218:219], v[234:235], v[250:251] op_sel:[0,0,1] op_sel_hi:[1,0,0]
	v_dual_mov_b32 v255, v211 :: v_dual_mov_b32 v239, v213
	v_pk_fma_f32 v[212:213], v[220:221], v[234:235], v[252:253] op_sel:[0,0,1] op_sel_hi:[1,0,0]
	v_dual_mov_b32 v241, v215 :: v_dual_mov_b32 v217, v243
	s_wait_dscnt 0x1
	v_pk_mul_f32 v[210:211], v[222:223], v[236:237] op_sel:[0,1]
	v_pk_fma_f32 v[214:215], v[220:221], v[234:235], v[252:253] op_sel:[0,0,1] op_sel_hi:[1,1,0] neg_lo:[0,0,1] neg_hi:[0,0,1]
	v_dual_mov_b32 v245, v219 :: v_dual_mov_b32 v215, v213
	v_pk_mul_f32 v[212:213], v[224:225], v[236:237] op_sel:[0,1]
	v_pk_add_f32 v[112:113], v[112:113], v[216:217] neg_lo:[0,1] neg_hi:[0,1]
	v_pk_fma_f32 v[216:217], v[222:223], v[234:235], v[210:211] op_sel:[0,0,1] op_sel_hi:[1,0,0]
	s_wait_dscnt 0x0
	v_mul_f32_e32 v216, v227, v234
	v_pk_mul_f32 v[218:219], v[228:229], v[236:237] op_sel:[0,1]
	v_pk_fma_f32 v[220:221], v[224:225], v[234:235], v[212:213] op_sel:[0,0,1] op_sel_hi:[1,0,0]
	v_pk_fma_f32 v[210:211], v[222:223], v[234:235], v[210:211] op_sel:[0,0,1] op_sel_hi:[1,1,0] neg_lo:[0,0,1] neg_hi:[0,0,1]
	v_dual_mul_f32 v220, v227, v237 :: v_dual_mov_b32 v211, v217
	v_pk_fma_f32 v[216:217], v[226:227], v[140:141], v[216:217] op_sel:[1,0,0] op_sel_hi:[0,1,0]
	v_pk_fma_f32 v[222:223], v[228:229], v[234:235], v[218:219] op_sel:[0,0,1] op_sel_hi:[1,0,0]
	v_pk_fma_f32 v[212:213], v[224:225], v[234:235], v[212:213] op_sel:[0,0,1] op_sel_hi:[1,1,0] neg_lo:[0,0,1] neg_hi:[0,0,1]
	v_mov_b32_e32 v213, v221
	v_pk_fma_f32 v[220:221], v[226:227], v[140:141], v[220:221] op_sel_hi:[1,1,0] neg_lo:[0,0,1] neg_hi:[0,0,1]
	v_mov_b32_e32 v221, v217
	v_pk_fma_f32 v[216:217], v[228:229], v[234:235], v[218:219] op_sel:[0,0,1] op_sel_hi:[1,1,0] neg_lo:[0,0,1] neg_hi:[0,0,1]
	v_mov_b32_e32 v217, v223
	v_pk_add_f32 v[148:149], v[148:149], v[254:255] neg_lo:[0,1] neg_hi:[0,1]
	v_pk_add_f32 v[114:115], v[114:115], v[238:239] neg_lo:[0,1] neg_hi:[0,1]
	;; [unrolled: 1-line block ×9, first 2 shown]
.LBB75_253:
	s_or_b32 exec_lo, exec_lo, s1
	s_delay_alu instid0(SALU_CYCLE_1)
	s_mov_b32 s2, exec_lo
	s_wait_dscnt 0x0
	s_barrier_signal -1
	s_barrier_wait -1
	v_cmpx_eq_u32_e32 28, v230
	s_cbranch_execz .LBB75_260
; %bb.254:
	ds_store_b64 v231, v[148:149]
	ds_store_2addr_b64 v232, v[114:115], v[116:117] offset0:29 offset1:30
	ds_store_2addr_b64 v232, v[112:113], v[134:135] offset0:31 offset1:32
	;; [unrolled: 1-line block ×4, first 2 shown]
	ds_store_b64 v232, v[152:153] offset:296
	ds_load_b64 v[210:211], v231
	s_wait_dscnt 0x0
	v_cmp_neq_f32_e32 vcc_lo, 0, v210
	v_cmp_neq_f32_e64 s1, 0, v211
	s_or_b32 s1, vcc_lo, s1
	s_delay_alu instid0(SALU_CYCLE_1)
	s_and_b32 exec_lo, exec_lo, s1
	s_cbranch_execz .LBB75_260
; %bb.255:
	v_cmp_ngt_f32_e64 s1, |v210|, |v211|
                                        ; implicit-def: $vgpr212_vgpr213
	s_and_saveexec_b32 s4, s1
	s_delay_alu instid0(SALU_CYCLE_1)
	s_xor_b32 s1, exec_lo, s4
	s_cbranch_execz .LBB75_257
; %bb.256:
	v_div_scale_f32 v0, null, v211, v211, v210
	v_div_scale_f32 v213, vcc_lo, v210, v211, v210
	s_delay_alu instid0(VALU_DEP_2) | instskip(SKIP_1) | instid1(TRANS32_DEP_1)
	v_rcp_f32_e32 v1, v0
	v_nop
	v_fma_f32 v212, -v0, v1, 1.0
	s_delay_alu instid0(VALU_DEP_1) | instskip(NEXT) | instid1(VALU_DEP_1)
	v_fmac_f32_e32 v1, v212, v1
	v_mul_f32_e32 v212, v213, v1
	s_delay_alu instid0(VALU_DEP_1) | instskip(NEXT) | instid1(VALU_DEP_1)
	v_fma_f32 v214, -v0, v212, v213
	v_fmac_f32_e32 v212, v214, v1
	s_delay_alu instid0(VALU_DEP_1) | instskip(NEXT) | instid1(VALU_DEP_1)
	v_fma_f32 v0, -v0, v212, v213
	v_div_fmas_f32 v0, v0, v1, v212
	s_delay_alu instid0(VALU_DEP_1) | instskip(NEXT) | instid1(VALU_DEP_1)
	v_div_fixup_f32 v0, v0, v211, v210
	v_fmac_f32_e32 v211, v210, v0
	s_delay_alu instid0(VALU_DEP_1) | instskip(SKIP_1) | instid1(VALU_DEP_2)
	v_div_scale_f32 v1, null, v211, v211, 1.0
	v_div_scale_f32 v213, vcc_lo, 1.0, v211, 1.0
	v_rcp_f32_e32 v210, v1
	v_nop
	s_delay_alu instid0(TRANS32_DEP_1) | instskip(NEXT) | instid1(VALU_DEP_1)
	v_fma_f32 v212, -v1, v210, 1.0
	v_fmac_f32_e32 v210, v212, v210
	s_delay_alu instid0(VALU_DEP_1) | instskip(NEXT) | instid1(VALU_DEP_1)
	v_mul_f32_e32 v212, v213, v210
	v_fma_f32 v214, -v1, v212, v213
	s_delay_alu instid0(VALU_DEP_1) | instskip(NEXT) | instid1(VALU_DEP_1)
	v_fmac_f32_e32 v212, v214, v210
	v_fma_f32 v1, -v1, v212, v213
	s_delay_alu instid0(VALU_DEP_1) | instskip(NEXT) | instid1(VALU_DEP_1)
	v_div_fmas_f32 v1, v1, v210, v212
	v_div_fixup_f32 v1, v1, v211, 1.0
                                        ; implicit-def: $vgpr210_vgpr211
	s_delay_alu instid0(VALU_DEP_1)
	v_mul_f32_e32 v212, v0, v1
	v_xor_b32_e32 v213, 0x80000000, v1
.LBB75_257:
	s_and_not1_saveexec_b32 s1, s1
	s_cbranch_execz .LBB75_259
; %bb.258:
	v_div_scale_f32 v0, null, v210, v210, v211
	v_div_scale_f32 v213, vcc_lo, v211, v210, v211
	s_delay_alu instid0(VALU_DEP_2) | instskip(SKIP_1) | instid1(TRANS32_DEP_1)
	v_rcp_f32_e32 v1, v0
	v_nop
	v_fma_f32 v212, -v0, v1, 1.0
	s_delay_alu instid0(VALU_DEP_1) | instskip(NEXT) | instid1(VALU_DEP_1)
	v_fmac_f32_e32 v1, v212, v1
	v_mul_f32_e32 v212, v213, v1
	s_delay_alu instid0(VALU_DEP_1) | instskip(NEXT) | instid1(VALU_DEP_1)
	v_fma_f32 v214, -v0, v212, v213
	v_fmac_f32_e32 v212, v214, v1
	s_delay_alu instid0(VALU_DEP_1) | instskip(NEXT) | instid1(VALU_DEP_1)
	v_fma_f32 v0, -v0, v212, v213
	v_div_fmas_f32 v0, v0, v1, v212
	s_delay_alu instid0(VALU_DEP_1) | instskip(NEXT) | instid1(VALU_DEP_1)
	v_div_fixup_f32 v0, v0, v210, v211
	v_fmac_f32_e32 v210, v211, v0
	s_delay_alu instid0(VALU_DEP_1) | instskip(NEXT) | instid1(VALU_DEP_1)
	v_div_scale_f32 v1, null, v210, v210, 1.0
	v_rcp_f32_e32 v211, v1
	v_nop
	s_delay_alu instid0(TRANS32_DEP_1) | instskip(NEXT) | instid1(VALU_DEP_1)
	v_fma_f32 v212, -v1, v211, 1.0
	v_fmac_f32_e32 v211, v212, v211
	v_div_scale_f32 v212, vcc_lo, 1.0, v210, 1.0
	s_delay_alu instid0(VALU_DEP_1) | instskip(NEXT) | instid1(VALU_DEP_1)
	v_mul_f32_e32 v213, v212, v211
	v_fma_f32 v214, -v1, v213, v212
	s_delay_alu instid0(VALU_DEP_1) | instskip(NEXT) | instid1(VALU_DEP_1)
	v_fmac_f32_e32 v213, v214, v211
	v_fma_f32 v1, -v1, v213, v212
	s_delay_alu instid0(VALU_DEP_1) | instskip(NEXT) | instid1(VALU_DEP_1)
	v_div_fmas_f32 v1, v1, v211, v213
	v_div_fixup_f32 v212, v1, v210, 1.0
	s_delay_alu instid0(VALU_DEP_1)
	v_mul_f32_e64 v213, v0, -v212
.LBB75_259:
	s_or_b32 exec_lo, exec_lo, s1
	ds_store_b64 v231, v[212:213]
.LBB75_260:
	s_or_b32 exec_lo, exec_lo, s2
	s_wait_dscnt 0x0
	s_barrier_signal -1
	s_barrier_wait -1
	ds_load_b64 v[210:211], v231
	s_mov_b32 s1, exec_lo
	v_cmpx_lt_u32_e32 28, v230
	s_cbranch_execz .LBB75_262
; %bb.261:
	ds_load_2addr_b64 v[212:215], v232 offset0:29 offset1:30
	ds_load_2addr_b64 v[216:219], v232 offset0:31 offset1:32
	;; [unrolled: 1-line block ×3, first 2 shown]
	s_wait_dscnt 0x3
	v_pk_mul_f32 v[224:225], v[210:211], v[148:149] op_sel:[1,1] op_sel_hi:[0,1]
	s_delay_alu instid0(VALU_DEP_1)
	v_pk_fma_f32 v[228:229], v[210:211], v[148:149], v[224:225] op_sel_hi:[1,0,1] neg_lo:[0,0,1] neg_hi:[0,0,1]
	v_pk_fma_f32 v[234:235], v[210:211], v[148:149], v[224:225] op_sel_hi:[1,0,1]
	ds_load_2addr_b64 v[224:227], v232 offset0:35 offset1:36
	ds_load_b64 v[236:237], v232 offset:296
	v_dual_mov_b32 v148, v228 :: v_dual_mov_b32 v149, v235
	s_wait_dscnt 0x4
	v_pk_mul_f32 v[238:239], v[212:213], v[234:235] op_sel:[0,1]
	v_pk_mul_f32 v[240:241], v[214:215], v[234:235] op_sel:[0,1]
	s_wait_dscnt 0x3
	v_pk_mul_f32 v[242:243], v[216:217], v[234:235] op_sel:[0,1]
	v_dual_mov_b32 v244, v219 :: v_dual_mov_b32 v245, v218
	v_dual_mul_f32 v246, v219, v235 :: v_dual_mul_f32 v248, v219, v228
	s_wait_dscnt 0x2
	v_pk_mul_f32 v[250:251], v[220:221], v[234:235] op_sel:[0,1]
	v_pk_fma_f32 v[254:255], v[212:213], v[228:229], v[238:239] op_sel:[0,0,1] op_sel_hi:[1,1,0] neg_lo:[0,0,1] neg_hi:[0,0,1]
	v_pk_fma_f32 v[212:213], v[212:213], v[228:229], v[238:239] op_sel:[0,0,1] op_sel_hi:[1,0,0]
	v_pk_fma_f32 v[238:239], v[214:215], v[228:229], v[240:241] op_sel:[0,0,1] op_sel_hi:[1,1,0] neg_lo:[0,0,1] neg_hi:[0,0,1]
	v_pk_fma_f32 v[214:215], v[214:215], v[228:229], v[240:241] op_sel:[0,0,1] op_sel_hi:[1,0,0]
	;; [unrolled: 2-line block ×3, first 2 shown]
	v_pk_fma_f32 v[242:243], v[244:245], v[148:149], v[248:249] op_sel_hi:[1,1,0]
	v_pk_fma_f32 v[218:219], v[218:219], v[148:149], v[246:247] op_sel_hi:[1,1,0] neg_lo:[0,0,1] neg_hi:[0,0,1]
	v_pk_mul_f32 v[252:253], v[222:223], v[234:235] op_sel:[0,1]
	v_dual_mov_b32 v255, v213 :: v_dual_mov_b32 v239, v215
	s_delay_alu instid0(VALU_DEP_4)
	v_dual_mov_b32 v241, v217 :: v_dual_mov_b32 v219, v243
	v_pk_fma_f32 v[212:213], v[220:221], v[228:229], v[250:251] op_sel:[0,0,1] op_sel_hi:[1,0,0]
	v_pk_fma_f32 v[214:215], v[220:221], v[228:229], v[250:251] op_sel:[0,0,1] op_sel_hi:[1,1,0] neg_lo:[0,0,1] neg_hi:[0,0,1]
	v_pk_fma_f32 v[216:217], v[222:223], v[228:229], v[252:253] op_sel:[0,0,1] op_sel_hi:[1,0,0]
	v_pk_fma_f32 v[220:221], v[222:223], v[228:229], v[252:253] op_sel:[0,0,1] op_sel_hi:[1,1,0] neg_lo:[0,0,1] neg_hi:[0,0,1]
	v_pk_add_f32 v[134:135], v[134:135], v[218:219] neg_lo:[0,1] neg_hi:[0,1]
	v_mov_b32_e32 v215, v213
	s_wait_dscnt 0x1
	v_pk_mul_f32 v[212:213], v[224:225], v[234:235] op_sel:[0,1]
	v_pk_mul_f32 v[218:219], v[226:227], v[234:235] op_sel:[0,1]
	s_wait_dscnt 0x0
	v_pk_mul_f32 v[222:223], v[236:237], v[234:235] op_sel:[0,1]
	v_mov_b32_e32 v221, v217
	v_pk_add_f32 v[114:115], v[114:115], v[254:255] neg_lo:[0,1] neg_hi:[0,1]
	v_pk_fma_f32 v[234:235], v[224:225], v[228:229], v[212:213] op_sel:[0,0,1] op_sel_hi:[1,0,0]
	v_pk_fma_f32 v[216:217], v[226:227], v[228:229], v[218:219] op_sel:[0,0,1] op_sel_hi:[1,0,0]
	v_pk_fma_f32 v[212:213], v[224:225], v[228:229], v[212:213] op_sel:[0,0,1] op_sel_hi:[1,1,0] neg_lo:[0,0,1] neg_hi:[0,0,1]
	v_pk_fma_f32 v[224:225], v[236:237], v[228:229], v[222:223] op_sel:[0,0,1] op_sel_hi:[1,0,0]
	v_pk_fma_f32 v[218:219], v[226:227], v[228:229], v[218:219] op_sel:[0,0,1] op_sel_hi:[1,1,0] neg_lo:[0,0,1] neg_hi:[0,0,1]
	s_delay_alu instid0(VALU_DEP_4) | instskip(SKIP_1) | instid1(VALU_DEP_4)
	v_dual_mov_b32 v213, v235 :: v_dual_mov_b32 v219, v217
	v_pk_fma_f32 v[216:217], v[236:237], v[228:229], v[222:223] op_sel:[0,0,1] op_sel_hi:[1,1,0] neg_lo:[0,0,1] neg_hi:[0,0,1]
	v_mov_b32_e32 v217, v225
	v_pk_add_f32 v[116:117], v[116:117], v[238:239] neg_lo:[0,1] neg_hi:[0,1]
	v_pk_add_f32 v[112:113], v[112:113], v[240:241] neg_lo:[0,1] neg_hi:[0,1]
	;; [unrolled: 1-line block ×7, first 2 shown]
.LBB75_262:
	s_or_b32 exec_lo, exec_lo, s1
	s_delay_alu instid0(SALU_CYCLE_1)
	s_mov_b32 s2, exec_lo
	s_wait_dscnt 0x0
	s_barrier_signal -1
	s_barrier_wait -1
	v_cmpx_eq_u32_e32 29, v230
	s_cbranch_execz .LBB75_269
; %bb.263:
	v_dual_mov_b32 v212, v116 :: v_dual_mov_b32 v213, v117
	v_dual_mov_b32 v214, v112 :: v_dual_mov_b32 v215, v113
	;; [unrolled: 1-line block ×7, first 2 shown]
	ds_store_b64 v231, v[114:115]
	ds_store_2addr_b64 v232, v[212:213], v[214:215] offset0:30 offset1:31
	ds_store_2addr_b64 v232, v[216:217], v[218:219] offset0:32 offset1:33
	;; [unrolled: 1-line block ×4, first 2 shown]
	ds_load_b64 v[212:213], v231
	s_wait_dscnt 0x0
	v_cmp_neq_f32_e32 vcc_lo, 0, v212
	v_cmp_neq_f32_e64 s1, 0, v213
	s_or_b32 s1, vcc_lo, s1
	s_delay_alu instid0(SALU_CYCLE_1)
	s_and_b32 exec_lo, exec_lo, s1
	s_cbranch_execz .LBB75_269
; %bb.264:
	v_cmp_ngt_f32_e64 s1, |v212|, |v213|
                                        ; implicit-def: $vgpr214_vgpr215
	s_and_saveexec_b32 s4, s1
	s_delay_alu instid0(SALU_CYCLE_1)
	s_xor_b32 s1, exec_lo, s4
	s_cbranch_execz .LBB75_266
; %bb.265:
	v_div_scale_f32 v0, null, v213, v213, v212
	v_div_scale_f32 v215, vcc_lo, v212, v213, v212
	s_delay_alu instid0(VALU_DEP_2) | instskip(SKIP_1) | instid1(TRANS32_DEP_1)
	v_rcp_f32_e32 v1, v0
	v_nop
	v_fma_f32 v214, -v0, v1, 1.0
	s_delay_alu instid0(VALU_DEP_1) | instskip(NEXT) | instid1(VALU_DEP_1)
	v_fmac_f32_e32 v1, v214, v1
	v_mul_f32_e32 v214, v215, v1
	s_delay_alu instid0(VALU_DEP_1) | instskip(NEXT) | instid1(VALU_DEP_1)
	v_fma_f32 v216, -v0, v214, v215
	v_fmac_f32_e32 v214, v216, v1
	s_delay_alu instid0(VALU_DEP_1) | instskip(NEXT) | instid1(VALU_DEP_1)
	v_fma_f32 v0, -v0, v214, v215
	v_div_fmas_f32 v0, v0, v1, v214
	s_delay_alu instid0(VALU_DEP_1) | instskip(NEXT) | instid1(VALU_DEP_1)
	v_div_fixup_f32 v0, v0, v213, v212
	v_fmac_f32_e32 v213, v212, v0
	s_delay_alu instid0(VALU_DEP_1) | instskip(SKIP_1) | instid1(VALU_DEP_2)
	v_div_scale_f32 v1, null, v213, v213, 1.0
	v_div_scale_f32 v215, vcc_lo, 1.0, v213, 1.0
	v_rcp_f32_e32 v212, v1
	v_nop
	s_delay_alu instid0(TRANS32_DEP_1) | instskip(NEXT) | instid1(VALU_DEP_1)
	v_fma_f32 v214, -v1, v212, 1.0
	v_fmac_f32_e32 v212, v214, v212
	s_delay_alu instid0(VALU_DEP_1) | instskip(NEXT) | instid1(VALU_DEP_1)
	v_mul_f32_e32 v214, v215, v212
	v_fma_f32 v216, -v1, v214, v215
	s_delay_alu instid0(VALU_DEP_1) | instskip(NEXT) | instid1(VALU_DEP_1)
	v_fmac_f32_e32 v214, v216, v212
	v_fma_f32 v1, -v1, v214, v215
	s_delay_alu instid0(VALU_DEP_1) | instskip(NEXT) | instid1(VALU_DEP_1)
	v_div_fmas_f32 v1, v1, v212, v214
	v_div_fixup_f32 v1, v1, v213, 1.0
                                        ; implicit-def: $vgpr212_vgpr213
	s_delay_alu instid0(VALU_DEP_1)
	v_mul_f32_e32 v214, v0, v1
	v_xor_b32_e32 v215, 0x80000000, v1
.LBB75_266:
	s_and_not1_saveexec_b32 s1, s1
	s_cbranch_execz .LBB75_268
; %bb.267:
	v_div_scale_f32 v0, null, v212, v212, v213
	v_div_scale_f32 v215, vcc_lo, v213, v212, v213
	s_delay_alu instid0(VALU_DEP_2) | instskip(SKIP_1) | instid1(TRANS32_DEP_1)
	v_rcp_f32_e32 v1, v0
	v_nop
	v_fma_f32 v214, -v0, v1, 1.0
	s_delay_alu instid0(VALU_DEP_1) | instskip(NEXT) | instid1(VALU_DEP_1)
	v_fmac_f32_e32 v1, v214, v1
	v_mul_f32_e32 v214, v215, v1
	s_delay_alu instid0(VALU_DEP_1) | instskip(NEXT) | instid1(VALU_DEP_1)
	v_fma_f32 v216, -v0, v214, v215
	v_fmac_f32_e32 v214, v216, v1
	s_delay_alu instid0(VALU_DEP_1) | instskip(NEXT) | instid1(VALU_DEP_1)
	v_fma_f32 v0, -v0, v214, v215
	v_div_fmas_f32 v0, v0, v1, v214
	s_delay_alu instid0(VALU_DEP_1) | instskip(NEXT) | instid1(VALU_DEP_1)
	v_div_fixup_f32 v0, v0, v212, v213
	v_fmac_f32_e32 v212, v213, v0
	s_delay_alu instid0(VALU_DEP_1) | instskip(NEXT) | instid1(VALU_DEP_1)
	v_div_scale_f32 v1, null, v212, v212, 1.0
	v_rcp_f32_e32 v213, v1
	v_nop
	s_delay_alu instid0(TRANS32_DEP_1) | instskip(NEXT) | instid1(VALU_DEP_1)
	v_fma_f32 v214, -v1, v213, 1.0
	v_fmac_f32_e32 v213, v214, v213
	v_div_scale_f32 v214, vcc_lo, 1.0, v212, 1.0
	s_delay_alu instid0(VALU_DEP_1) | instskip(NEXT) | instid1(VALU_DEP_1)
	v_mul_f32_e32 v215, v214, v213
	v_fma_f32 v216, -v1, v215, v214
	s_delay_alu instid0(VALU_DEP_1) | instskip(NEXT) | instid1(VALU_DEP_1)
	v_fmac_f32_e32 v215, v216, v213
	v_fma_f32 v1, -v1, v215, v214
	s_delay_alu instid0(VALU_DEP_1) | instskip(NEXT) | instid1(VALU_DEP_1)
	v_div_fmas_f32 v1, v1, v213, v215
	v_div_fixup_f32 v214, v1, v212, 1.0
	s_delay_alu instid0(VALU_DEP_1)
	v_mul_f32_e64 v215, v0, -v214
.LBB75_268:
	s_or_b32 exec_lo, exec_lo, s1
	ds_store_b64 v231, v[214:215]
.LBB75_269:
	s_or_b32 exec_lo, exec_lo, s2
	s_wait_dscnt 0x0
	s_barrier_signal -1
	s_barrier_wait -1
	ds_load_b64 v[212:213], v231
	s_mov_b32 s1, exec_lo
	v_cmpx_lt_u32_e32 29, v230
	s_cbranch_execz .LBB75_271
; %bb.270:
	ds_load_2addr_b64 v[214:217], v232 offset0:30 offset1:31
	ds_load_2addr_b64 v[218:221], v232 offset0:32 offset1:33
	;; [unrolled: 1-line block ×3, first 2 shown]
	s_wait_dscnt 0x3
	v_pk_mul_f32 v[234:235], v[212:213], v[114:115] op_sel:[1,1] op_sel_hi:[0,1]
	ds_load_2addr_b64 v[226:229], v232 offset0:36 offset1:37
	v_pk_fma_f32 v[236:237], v[212:213], v[114:115], v[234:235] op_sel_hi:[1,0,1] neg_lo:[0,0,1] neg_hi:[0,0,1]
	v_pk_fma_f32 v[234:235], v[212:213], v[114:115], v[234:235] op_sel_hi:[1,0,1]
	s_delay_alu instid0(VALU_DEP_1) | instskip(SKIP_1) | instid1(VALU_DEP_2)
	v_dual_mov_b32 v114, v236 :: v_dual_mov_b32 v115, v235
	s_wait_dscnt 0x3
	v_pk_mul_f32 v[238:239], v[214:215], v[234:235] op_sel:[0,1]
	v_pk_mul_f32 v[240:241], v[216:217], v[234:235] op_sel:[0,1]
	s_wait_dscnt 0x1
	v_pk_mul_f32 v[250:251], v[222:223], v[234:235] op_sel:[0,1]
	v_pk_mul_f32 v[242:243], v[218:219], v[234:235] op_sel:[0,1]
	v_dual_mov_b32 v244, v221 :: v_dual_mov_b32 v245, v220
	v_pk_fma_f32 v[0:1], v[214:215], v[236:237], v[238:239] op_sel:[0,0,1] op_sel_hi:[1,1,0] neg_lo:[0,0,1] neg_hi:[0,0,1]
	v_pk_fma_f32 v[214:215], v[214:215], v[236:237], v[238:239] op_sel:[0,0,1] op_sel_hi:[1,0,0]
	v_pk_fma_f32 v[238:239], v[216:217], v[236:237], v[240:241] op_sel:[0,0,1] op_sel_hi:[1,1,0] neg_lo:[0,0,1] neg_hi:[0,0,1]
	v_pk_fma_f32 v[216:217], v[216:217], v[236:237], v[240:241] op_sel:[0,0,1] op_sel_hi:[1,0,0]
	v_dual_mul_f32 v246, v221, v235 :: v_dual_mul_f32 v248, v221, v236
	s_delay_alu instid0(VALU_DEP_4)
	v_mov_b32_e32 v1, v215
	v_pk_mul_f32 v[252:253], v[224:225], v[234:235] op_sel:[0,1]
	s_wait_dscnt 0x0
	v_pk_mul_f32 v[254:255], v[226:227], v[234:235] op_sel:[0,1]
	v_mov_b32_e32 v239, v217
	v_pk_fma_f32 v[214:215], v[222:223], v[236:237], v[250:251] op_sel:[0,0,1] op_sel_hi:[1,0,0]
	v_pk_add_f32 v[116:117], v[116:117], v[0:1] neg_lo:[0,1] neg_hi:[0,1]
	v_pk_mul_f32 v[0:1], v[228:229], v[234:235] op_sel:[0,1]
	v_pk_fma_f32 v[240:241], v[218:219], v[236:237], v[242:243] op_sel:[0,0,1] op_sel_hi:[1,1,0] neg_lo:[0,0,1] neg_hi:[0,0,1]
	v_pk_fma_f32 v[218:219], v[218:219], v[236:237], v[242:243] op_sel:[0,0,1] op_sel_hi:[1,0,0]
	v_pk_fma_f32 v[242:243], v[244:245], v[114:115], v[248:249] op_sel_hi:[1,1,0]
	v_pk_fma_f32 v[244:245], v[222:223], v[236:237], v[250:251] op_sel:[0,0,1] op_sel_hi:[1,1,0] neg_lo:[0,0,1] neg_hi:[0,0,1]
	v_pk_fma_f32 v[216:217], v[224:225], v[236:237], v[252:253] op_sel:[0,0,1] op_sel_hi:[1,0,0]
	v_mov_b32_e32 v245, v215
	v_pk_fma_f32 v[214:215], v[226:227], v[236:237], v[254:255] op_sel:[0,0,1] op_sel_hi:[1,0,0]
	v_pk_fma_f32 v[222:223], v[228:229], v[236:237], v[0:1] op_sel:[0,0,1] op_sel_hi:[1,0,0]
	v_mov_b32_e32 v241, v219
	v_pk_fma_f32 v[218:219], v[224:225], v[236:237], v[252:253] op_sel:[0,0,1] op_sel_hi:[1,1,0] neg_lo:[0,0,1] neg_hi:[0,0,1]
	v_pk_fma_f32 v[220:221], v[220:221], v[114:115], v[246:247] op_sel_hi:[1,1,0] neg_lo:[0,0,1] neg_hi:[0,0,1]
	v_mov_b32_e32 v219, v217
	v_pk_fma_f32 v[216:217], v[226:227], v[236:237], v[254:255] op_sel:[0,0,1] op_sel_hi:[1,1,0] neg_lo:[0,0,1] neg_hi:[0,0,1]
	v_pk_fma_f32 v[0:1], v[228:229], v[236:237], v[0:1] op_sel:[0,0,1] op_sel_hi:[1,1,0] neg_lo:[0,0,1] neg_hi:[0,0,1]
	v_dual_mov_b32 v221, v243 :: v_dual_mov_b32 v217, v215
	v_mov_b32_e32 v1, v223
	v_pk_add_f32 v[112:113], v[112:113], v[238:239] neg_lo:[0,1] neg_hi:[0,1]
	v_pk_add_f32 v[134:135], v[134:135], v[240:241] neg_lo:[0,1] neg_hi:[0,1]
	s_delay_alu instid0(VALU_DEP_4)
	v_pk_add_f32 v[132:133], v[132:133], v[220:221] neg_lo:[0,1] neg_hi:[0,1]
	v_pk_add_f32 v[146:147], v[146:147], v[244:245] neg_lo:[0,1] neg_hi:[0,1]
	;; [unrolled: 1-line block ×5, first 2 shown]
.LBB75_271:
	s_or_b32 exec_lo, exec_lo, s1
	s_delay_alu instid0(SALU_CYCLE_1)
	s_mov_b32 s2, exec_lo
	s_wait_dscnt 0x0
	s_barrier_signal -1
	s_barrier_wait -1
	v_cmpx_eq_u32_e32 30, v230
	s_cbranch_execz .LBB75_278
; %bb.272:
	ds_store_b64 v231, v[116:117]
	ds_store_2addr_b64 v232, v[112:113], v[134:135] offset0:31 offset1:32
	ds_store_2addr_b64 v232, v[132:133], v[146:147] offset0:33 offset1:34
	;; [unrolled: 1-line block ×3, first 2 shown]
	ds_store_b64 v232, v[152:153] offset:296
	ds_load_b64 v[214:215], v231
	s_wait_dscnt 0x0
	v_cmp_neq_f32_e32 vcc_lo, 0, v214
	v_cmp_neq_f32_e64 s1, 0, v215
	s_or_b32 s1, vcc_lo, s1
	s_delay_alu instid0(SALU_CYCLE_1)
	s_and_b32 exec_lo, exec_lo, s1
	s_cbranch_execz .LBB75_278
; %bb.273:
	v_cmp_ngt_f32_e64 s1, |v214|, |v215|
                                        ; implicit-def: $vgpr216_vgpr217
	s_and_saveexec_b32 s4, s1
	s_delay_alu instid0(SALU_CYCLE_1)
	s_xor_b32 s1, exec_lo, s4
	s_cbranch_execz .LBB75_275
; %bb.274:
	v_div_scale_f32 v0, null, v215, v215, v214
	v_div_scale_f32 v217, vcc_lo, v214, v215, v214
	s_delay_alu instid0(VALU_DEP_2) | instskip(SKIP_1) | instid1(TRANS32_DEP_1)
	v_rcp_f32_e32 v1, v0
	v_nop
	v_fma_f32 v216, -v0, v1, 1.0
	s_delay_alu instid0(VALU_DEP_1) | instskip(NEXT) | instid1(VALU_DEP_1)
	v_fmac_f32_e32 v1, v216, v1
	v_mul_f32_e32 v216, v217, v1
	s_delay_alu instid0(VALU_DEP_1) | instskip(NEXT) | instid1(VALU_DEP_1)
	v_fma_f32 v218, -v0, v216, v217
	v_fmac_f32_e32 v216, v218, v1
	s_delay_alu instid0(VALU_DEP_1) | instskip(NEXT) | instid1(VALU_DEP_1)
	v_fma_f32 v0, -v0, v216, v217
	v_div_fmas_f32 v0, v0, v1, v216
	s_delay_alu instid0(VALU_DEP_1) | instskip(NEXT) | instid1(VALU_DEP_1)
	v_div_fixup_f32 v0, v0, v215, v214
	v_fmac_f32_e32 v215, v214, v0
	s_delay_alu instid0(VALU_DEP_1) | instskip(SKIP_1) | instid1(VALU_DEP_2)
	v_div_scale_f32 v1, null, v215, v215, 1.0
	v_div_scale_f32 v217, vcc_lo, 1.0, v215, 1.0
	v_rcp_f32_e32 v214, v1
	v_nop
	s_delay_alu instid0(TRANS32_DEP_1) | instskip(NEXT) | instid1(VALU_DEP_1)
	v_fma_f32 v216, -v1, v214, 1.0
	v_fmac_f32_e32 v214, v216, v214
	s_delay_alu instid0(VALU_DEP_1) | instskip(NEXT) | instid1(VALU_DEP_1)
	v_mul_f32_e32 v216, v217, v214
	v_fma_f32 v218, -v1, v216, v217
	s_delay_alu instid0(VALU_DEP_1) | instskip(NEXT) | instid1(VALU_DEP_1)
	v_fmac_f32_e32 v216, v218, v214
	v_fma_f32 v1, -v1, v216, v217
	s_delay_alu instid0(VALU_DEP_1) | instskip(NEXT) | instid1(VALU_DEP_1)
	v_div_fmas_f32 v1, v1, v214, v216
	v_div_fixup_f32 v1, v1, v215, 1.0
                                        ; implicit-def: $vgpr214_vgpr215
	s_delay_alu instid0(VALU_DEP_1)
	v_mul_f32_e32 v216, v0, v1
	v_xor_b32_e32 v217, 0x80000000, v1
.LBB75_275:
	s_and_not1_saveexec_b32 s1, s1
	s_cbranch_execz .LBB75_277
; %bb.276:
	v_div_scale_f32 v0, null, v214, v214, v215
	v_div_scale_f32 v217, vcc_lo, v215, v214, v215
	s_delay_alu instid0(VALU_DEP_2) | instskip(SKIP_1) | instid1(TRANS32_DEP_1)
	v_rcp_f32_e32 v1, v0
	v_nop
	v_fma_f32 v216, -v0, v1, 1.0
	s_delay_alu instid0(VALU_DEP_1) | instskip(NEXT) | instid1(VALU_DEP_1)
	v_fmac_f32_e32 v1, v216, v1
	v_mul_f32_e32 v216, v217, v1
	s_delay_alu instid0(VALU_DEP_1) | instskip(NEXT) | instid1(VALU_DEP_1)
	v_fma_f32 v218, -v0, v216, v217
	v_fmac_f32_e32 v216, v218, v1
	s_delay_alu instid0(VALU_DEP_1) | instskip(NEXT) | instid1(VALU_DEP_1)
	v_fma_f32 v0, -v0, v216, v217
	v_div_fmas_f32 v0, v0, v1, v216
	s_delay_alu instid0(VALU_DEP_1) | instskip(NEXT) | instid1(VALU_DEP_1)
	v_div_fixup_f32 v0, v0, v214, v215
	v_fmac_f32_e32 v214, v215, v0
	s_delay_alu instid0(VALU_DEP_1) | instskip(NEXT) | instid1(VALU_DEP_1)
	v_div_scale_f32 v1, null, v214, v214, 1.0
	v_rcp_f32_e32 v215, v1
	v_nop
	s_delay_alu instid0(TRANS32_DEP_1) | instskip(NEXT) | instid1(VALU_DEP_1)
	v_fma_f32 v216, -v1, v215, 1.0
	v_fmac_f32_e32 v215, v216, v215
	v_div_scale_f32 v216, vcc_lo, 1.0, v214, 1.0
	s_delay_alu instid0(VALU_DEP_1) | instskip(NEXT) | instid1(VALU_DEP_1)
	v_mul_f32_e32 v217, v216, v215
	v_fma_f32 v218, -v1, v217, v216
	s_delay_alu instid0(VALU_DEP_1) | instskip(NEXT) | instid1(VALU_DEP_1)
	v_fmac_f32_e32 v217, v218, v215
	v_fma_f32 v1, -v1, v217, v216
	s_delay_alu instid0(VALU_DEP_1) | instskip(NEXT) | instid1(VALU_DEP_1)
	v_div_fmas_f32 v1, v1, v215, v217
	v_div_fixup_f32 v216, v1, v214, 1.0
	s_delay_alu instid0(VALU_DEP_1)
	v_mul_f32_e64 v217, v0, -v216
.LBB75_277:
	s_or_b32 exec_lo, exec_lo, s1
	ds_store_b64 v231, v[216:217]
.LBB75_278:
	s_or_b32 exec_lo, exec_lo, s2
	s_wait_dscnt 0x0
	s_barrier_signal -1
	s_barrier_wait -1
	ds_load_b64 v[214:215], v231
	s_mov_b32 s1, exec_lo
	v_cmpx_lt_u32_e32 30, v230
	s_cbranch_execz .LBB75_280
; %bb.279:
	ds_load_2addr_b64 v[216:219], v232 offset0:31 offset1:32
	ds_load_2addr_b64 v[220:223], v232 offset0:33 offset1:34
	;; [unrolled: 1-line block ×3, first 2 shown]
	ds_load_b64 v[228:229], v232 offset:296
	s_wait_dscnt 0x4
	v_pk_mul_f32 v[0:1], v[214:215], v[116:117] op_sel:[1,1] op_sel_hi:[0,1]
	s_delay_alu instid0(VALU_DEP_1) | instskip(SKIP_1) | instid1(VALU_DEP_1)
	v_pk_fma_f32 v[234:235], v[214:215], v[116:117], v[0:1] op_sel_hi:[1,0,1] neg_lo:[0,0,1] neg_hi:[0,0,1]
	v_pk_fma_f32 v[0:1], v[214:215], v[116:117], v[0:1] op_sel_hi:[1,0,1]
	v_dual_mov_b32 v116, v234 :: v_dual_mov_b32 v117, v1
	s_wait_dscnt 0x3
	s_delay_alu instid0(VALU_DEP_2)
	v_pk_mul_f32 v[236:237], v[216:217], v[0:1] op_sel:[0,1]
	v_pk_mul_f32 v[238:239], v[218:219], v[0:1] op_sel:[0,1]
	s_wait_dscnt 0x2
	v_pk_mul_f32 v[240:241], v[220:221], v[0:1] op_sel:[0,1]
	v_dual_mov_b32 v242, v223 :: v_dual_mov_b32 v243, v222
	v_dual_mul_f32 v244, v223, v1 :: v_dual_mul_f32 v246, v223, v234
	s_wait_dscnt 0x1
	v_pk_mul_f32 v[248:249], v[224:225], v[0:1] op_sel:[0,1]
	v_pk_mul_f32 v[250:251], v[226:227], v[0:1] op_sel:[0,1]
	s_wait_dscnt 0x0
	v_pk_mul_f32 v[0:1], v[228:229], v[0:1] op_sel:[0,1]
	v_pk_fma_f32 v[252:253], v[216:217], v[234:235], v[236:237] op_sel:[0,0,1] op_sel_hi:[1,1,0] neg_lo:[0,0,1] neg_hi:[0,0,1]
	v_pk_fma_f32 v[216:217], v[216:217], v[234:235], v[236:237] op_sel:[0,0,1] op_sel_hi:[1,0,0]
	v_pk_fma_f32 v[236:237], v[218:219], v[234:235], v[238:239] op_sel:[0,0,1] op_sel_hi:[1,1,0] neg_lo:[0,0,1] neg_hi:[0,0,1]
	v_pk_fma_f32 v[218:219], v[218:219], v[234:235], v[238:239] op_sel:[0,0,1] op_sel_hi:[1,0,0]
	;; [unrolled: 2-line block ×3, first 2 shown]
	v_pk_fma_f32 v[240:241], v[242:243], v[116:117], v[246:247] op_sel_hi:[1,1,0]
	v_pk_fma_f32 v[242:243], v[224:225], v[234:235], v[248:249] op_sel:[0,0,1] op_sel_hi:[1,1,0] neg_lo:[0,0,1] neg_hi:[0,0,1]
	v_pk_fma_f32 v[224:225], v[224:225], v[234:235], v[248:249] op_sel:[0,0,1] op_sel_hi:[1,0,0]
	v_dual_mov_b32 v253, v217 :: v_dual_mov_b32 v237, v219
	v_pk_fma_f32 v[216:217], v[226:227], v[234:235], v[250:251] op_sel:[0,0,1] op_sel_hi:[1,0,0]
	v_pk_fma_f32 v[218:219], v[228:229], v[234:235], v[0:1] op_sel:[0,0,1] op_sel_hi:[1,0,0]
	v_pk_fma_f32 v[222:223], v[222:223], v[116:117], v[244:245] op_sel_hi:[1,1,0] neg_lo:[0,0,1] neg_hi:[0,0,1]
	v_dual_mov_b32 v239, v221 :: v_dual_mov_b32 v223, v241
	v_pk_fma_f32 v[220:221], v[226:227], v[234:235], v[250:251] op_sel:[0,0,1] op_sel_hi:[1,1,0] neg_lo:[0,0,1] neg_hi:[0,0,1]
	v_pk_fma_f32 v[0:1], v[228:229], v[234:235], v[0:1] op_sel:[0,0,1] op_sel_hi:[1,1,0] neg_lo:[0,0,1] neg_hi:[0,0,1]
	v_dual_mov_b32 v243, v225 :: v_dual_mov_b32 v221, v217
	v_mov_b32_e32 v1, v219
	v_pk_add_f32 v[112:113], v[112:113], v[252:253] neg_lo:[0,1] neg_hi:[0,1]
	v_pk_add_f32 v[134:135], v[134:135], v[236:237] neg_lo:[0,1] neg_hi:[0,1]
	;; [unrolled: 1-line block ×7, first 2 shown]
.LBB75_280:
	s_or_b32 exec_lo, exec_lo, s1
	s_delay_alu instid0(SALU_CYCLE_1)
	s_mov_b32 s2, exec_lo
	s_wait_dscnt 0x0
	s_barrier_signal -1
	s_barrier_wait -1
	v_cmpx_eq_u32_e32 31, v230
	s_cbranch_execz .LBB75_287
; %bb.281:
	v_dual_mov_b32 v0, v134 :: v_dual_mov_b32 v1, v135
	v_dual_mov_b32 v216, v132 :: v_dual_mov_b32 v217, v133
	;; [unrolled: 1-line block ×5, first 2 shown]
	ds_store_b64 v231, v[112:113]
	ds_store_2addr_b64 v232, v[0:1], v[216:217] offset0:32 offset1:33
	ds_store_2addr_b64 v232, v[218:219], v[220:221] offset0:34 offset1:35
	;; [unrolled: 1-line block ×3, first 2 shown]
	ds_load_b64 v[216:217], v231
	s_wait_dscnt 0x0
	v_cmp_neq_f32_e32 vcc_lo, 0, v216
	v_cmp_neq_f32_e64 s1, 0, v217
	s_or_b32 s1, vcc_lo, s1
	s_delay_alu instid0(SALU_CYCLE_1)
	s_and_b32 exec_lo, exec_lo, s1
	s_cbranch_execz .LBB75_287
; %bb.282:
	v_cmp_ngt_f32_e64 s1, |v216|, |v217|
                                        ; implicit-def: $vgpr218_vgpr219
	s_and_saveexec_b32 s4, s1
	s_delay_alu instid0(SALU_CYCLE_1)
	s_xor_b32 s1, exec_lo, s4
	s_cbranch_execz .LBB75_284
; %bb.283:
	v_div_scale_f32 v0, null, v217, v217, v216
	v_div_scale_f32 v219, vcc_lo, v216, v217, v216
	s_delay_alu instid0(VALU_DEP_2) | instskip(SKIP_1) | instid1(TRANS32_DEP_1)
	v_rcp_f32_e32 v1, v0
	v_nop
	v_fma_f32 v218, -v0, v1, 1.0
	s_delay_alu instid0(VALU_DEP_1) | instskip(NEXT) | instid1(VALU_DEP_1)
	v_fmac_f32_e32 v1, v218, v1
	v_mul_f32_e32 v218, v219, v1
	s_delay_alu instid0(VALU_DEP_1) | instskip(NEXT) | instid1(VALU_DEP_1)
	v_fma_f32 v220, -v0, v218, v219
	v_fmac_f32_e32 v218, v220, v1
	s_delay_alu instid0(VALU_DEP_1) | instskip(NEXT) | instid1(VALU_DEP_1)
	v_fma_f32 v0, -v0, v218, v219
	v_div_fmas_f32 v0, v0, v1, v218
	s_delay_alu instid0(VALU_DEP_1) | instskip(NEXT) | instid1(VALU_DEP_1)
	v_div_fixup_f32 v0, v0, v217, v216
	v_fmac_f32_e32 v217, v216, v0
	s_delay_alu instid0(VALU_DEP_1) | instskip(SKIP_1) | instid1(VALU_DEP_2)
	v_div_scale_f32 v1, null, v217, v217, 1.0
	v_div_scale_f32 v219, vcc_lo, 1.0, v217, 1.0
	v_rcp_f32_e32 v216, v1
	v_nop
	s_delay_alu instid0(TRANS32_DEP_1) | instskip(NEXT) | instid1(VALU_DEP_1)
	v_fma_f32 v218, -v1, v216, 1.0
	v_fmac_f32_e32 v216, v218, v216
	s_delay_alu instid0(VALU_DEP_1) | instskip(NEXT) | instid1(VALU_DEP_1)
	v_mul_f32_e32 v218, v219, v216
	v_fma_f32 v220, -v1, v218, v219
	s_delay_alu instid0(VALU_DEP_1) | instskip(NEXT) | instid1(VALU_DEP_1)
	v_fmac_f32_e32 v218, v220, v216
	v_fma_f32 v1, -v1, v218, v219
	s_delay_alu instid0(VALU_DEP_1) | instskip(NEXT) | instid1(VALU_DEP_1)
	v_div_fmas_f32 v1, v1, v216, v218
	v_div_fixup_f32 v1, v1, v217, 1.0
                                        ; implicit-def: $vgpr216_vgpr217
	s_delay_alu instid0(VALU_DEP_1)
	v_mul_f32_e32 v218, v0, v1
	v_xor_b32_e32 v219, 0x80000000, v1
.LBB75_284:
	s_and_not1_saveexec_b32 s1, s1
	s_cbranch_execz .LBB75_286
; %bb.285:
	v_div_scale_f32 v0, null, v216, v216, v217
	v_div_scale_f32 v219, vcc_lo, v217, v216, v217
	s_delay_alu instid0(VALU_DEP_2) | instskip(SKIP_1) | instid1(TRANS32_DEP_1)
	v_rcp_f32_e32 v1, v0
	v_nop
	v_fma_f32 v218, -v0, v1, 1.0
	s_delay_alu instid0(VALU_DEP_1) | instskip(NEXT) | instid1(VALU_DEP_1)
	v_fmac_f32_e32 v1, v218, v1
	v_mul_f32_e32 v218, v219, v1
	s_delay_alu instid0(VALU_DEP_1) | instskip(NEXT) | instid1(VALU_DEP_1)
	v_fma_f32 v220, -v0, v218, v219
	v_fmac_f32_e32 v218, v220, v1
	s_delay_alu instid0(VALU_DEP_1) | instskip(NEXT) | instid1(VALU_DEP_1)
	v_fma_f32 v0, -v0, v218, v219
	v_div_fmas_f32 v0, v0, v1, v218
	s_delay_alu instid0(VALU_DEP_1) | instskip(NEXT) | instid1(VALU_DEP_1)
	v_div_fixup_f32 v0, v0, v216, v217
	v_fmac_f32_e32 v216, v217, v0
	s_delay_alu instid0(VALU_DEP_1) | instskip(NEXT) | instid1(VALU_DEP_1)
	v_div_scale_f32 v1, null, v216, v216, 1.0
	v_rcp_f32_e32 v217, v1
	v_nop
	s_delay_alu instid0(TRANS32_DEP_1) | instskip(NEXT) | instid1(VALU_DEP_1)
	v_fma_f32 v218, -v1, v217, 1.0
	v_fmac_f32_e32 v217, v218, v217
	v_div_scale_f32 v218, vcc_lo, 1.0, v216, 1.0
	s_delay_alu instid0(VALU_DEP_1) | instskip(NEXT) | instid1(VALU_DEP_1)
	v_mul_f32_e32 v219, v218, v217
	v_fma_f32 v220, -v1, v219, v218
	s_delay_alu instid0(VALU_DEP_1) | instskip(NEXT) | instid1(VALU_DEP_1)
	v_fmac_f32_e32 v219, v220, v217
	v_fma_f32 v1, -v1, v219, v218
	s_delay_alu instid0(VALU_DEP_1) | instskip(NEXT) | instid1(VALU_DEP_1)
	v_div_fmas_f32 v1, v1, v217, v219
	v_div_fixup_f32 v218, v1, v216, 1.0
	s_delay_alu instid0(VALU_DEP_1)
	v_mul_f32_e64 v219, v0, -v218
.LBB75_286:
	s_or_b32 exec_lo, exec_lo, s1
	ds_store_b64 v231, v[218:219]
.LBB75_287:
	s_or_b32 exec_lo, exec_lo, s2
	s_wait_dscnt 0x0
	s_barrier_signal -1
	s_barrier_wait -1
	ds_load_b64 v[216:217], v231
	s_mov_b32 s1, exec_lo
	v_cmpx_lt_u32_e32 31, v230
	s_cbranch_execz .LBB75_289
; %bb.288:
	ds_load_2addr_b64 v[218:221], v232 offset0:32 offset1:33
	ds_load_2addr_b64 v[222:225], v232 offset0:34 offset1:35
	;; [unrolled: 1-line block ×3, first 2 shown]
	s_wait_dscnt 0x3
	v_pk_mul_f32 v[0:1], v[216:217], v[112:113] op_sel:[1,1] op_sel_hi:[0,1]
	s_delay_alu instid0(VALU_DEP_1) | instskip(SKIP_1) | instid1(VALU_DEP_1)
	v_pk_fma_f32 v[234:235], v[216:217], v[112:113], v[0:1] op_sel_hi:[1,0,1] neg_lo:[0,0,1] neg_hi:[0,0,1]
	v_pk_fma_f32 v[0:1], v[216:217], v[112:113], v[0:1] op_sel_hi:[1,0,1]
	v_dual_mov_b32 v112, v234 :: v_dual_mov_b32 v113, v1
	s_wait_dscnt 0x2
	s_delay_alu instid0(VALU_DEP_2)
	v_pk_mul_f32 v[236:237], v[218:219], v[0:1] op_sel:[0,1]
	v_pk_mul_f32 v[238:239], v[220:221], v[0:1] op_sel:[0,1]
	s_wait_dscnt 0x1
	v_pk_mul_f32 v[240:241], v[222:223], v[0:1] op_sel:[0,1]
	v_dual_mov_b32 v242, v225 :: v_dual_mov_b32 v243, v224
	v_dual_mul_f32 v244, v225, v1 :: v_dual_mul_f32 v246, v225, v234
	s_wait_dscnt 0x0
	v_pk_mul_f32 v[248:249], v[226:227], v[0:1] op_sel:[0,1]
	v_dual_mov_b32 v250, v229 :: v_dual_mov_b32 v251, v228
	v_dual_mul_f32 v0, v229, v1 :: v_dual_mul_f32 v252, v229, v234
	v_pk_fma_f32 v[254:255], v[218:219], v[234:235], v[236:237] op_sel:[0,0,1] op_sel_hi:[1,1,0] neg_lo:[0,0,1] neg_hi:[0,0,1]
	v_pk_fma_f32 v[218:219], v[218:219], v[234:235], v[236:237] op_sel:[0,0,1] op_sel_hi:[1,0,0]
	v_pk_fma_f32 v[236:237], v[220:221], v[234:235], v[238:239] op_sel:[0,0,1] op_sel_hi:[1,1,0] neg_lo:[0,0,1] neg_hi:[0,0,1]
	v_pk_fma_f32 v[220:221], v[220:221], v[234:235], v[238:239] op_sel:[0,0,1] op_sel_hi:[1,0,0]
	;; [unrolled: 2-line block ×3, first 2 shown]
	v_pk_fma_f32 v[240:241], v[242:243], v[112:113], v[246:247] op_sel_hi:[1,1,0]
	v_pk_fma_f32 v[242:243], v[226:227], v[234:235], v[248:249] op_sel:[0,0,1] op_sel_hi:[1,1,0] neg_lo:[0,0,1] neg_hi:[0,0,1]
	v_pk_fma_f32 v[226:227], v[226:227], v[234:235], v[248:249] op_sel:[0,0,1] op_sel_hi:[1,0,0]
	v_dual_mov_b32 v255, v219 :: v_dual_mov_b32 v237, v221
	v_pk_fma_f32 v[218:219], v[250:251], v[112:113], v[252:253] op_sel_hi:[1,1,0]
	v_pk_fma_f32 v[224:225], v[224:225], v[112:113], v[244:245] op_sel_hi:[1,1,0] neg_lo:[0,0,1] neg_hi:[0,0,1]
	v_pk_fma_f32 v[0:1], v[228:229], v[112:113], v[0:1] op_sel_hi:[1,1,0] neg_lo:[0,0,1] neg_hi:[0,0,1]
	v_dual_mov_b32 v239, v223 :: v_dual_mov_b32 v225, v241
	s_delay_alu instid0(VALU_DEP_4) | instskip(SKIP_2) | instid1(VALU_DEP_4)
	v_dual_mov_b32 v243, v227 :: v_dual_mov_b32 v1, v219
	v_pk_add_f32 v[134:135], v[134:135], v[254:255] neg_lo:[0,1] neg_hi:[0,1]
	v_pk_add_f32 v[132:133], v[132:133], v[236:237] neg_lo:[0,1] neg_hi:[0,1]
	;; [unrolled: 1-line block ×6, first 2 shown]
.LBB75_289:
	s_or_b32 exec_lo, exec_lo, s1
	s_delay_alu instid0(SALU_CYCLE_1)
	s_mov_b32 s2, exec_lo
	s_wait_dscnt 0x0
	s_barrier_signal -1
	s_barrier_wait -1
	v_cmpx_eq_u32_e32 32, v230
	s_cbranch_execz .LBB75_296
; %bb.290:
	ds_store_b64 v231, v[134:135]
	ds_store_2addr_b64 v232, v[132:133], v[146:147] offset0:33 offset1:34
	ds_store_2addr_b64 v232, v[138:139], v[136:137] offset0:35 offset1:36
	ds_store_b64 v232, v[152:153] offset:296
	ds_load_b64 v[218:219], v231
	s_wait_dscnt 0x0
	v_cmp_neq_f32_e32 vcc_lo, 0, v218
	v_cmp_neq_f32_e64 s1, 0, v219
	s_or_b32 s1, vcc_lo, s1
	s_delay_alu instid0(SALU_CYCLE_1)
	s_and_b32 exec_lo, exec_lo, s1
	s_cbranch_execz .LBB75_296
; %bb.291:
	v_cmp_ngt_f32_e64 s1, |v218|, |v219|
                                        ; implicit-def: $vgpr220_vgpr221
	s_and_saveexec_b32 s4, s1
	s_delay_alu instid0(SALU_CYCLE_1)
	s_xor_b32 s1, exec_lo, s4
	s_cbranch_execz .LBB75_293
; %bb.292:
	v_div_scale_f32 v0, null, v219, v219, v218
	v_div_scale_f32 v221, vcc_lo, v218, v219, v218
	s_delay_alu instid0(VALU_DEP_2) | instskip(SKIP_1) | instid1(TRANS32_DEP_1)
	v_rcp_f32_e32 v1, v0
	v_nop
	v_fma_f32 v220, -v0, v1, 1.0
	s_delay_alu instid0(VALU_DEP_1) | instskip(NEXT) | instid1(VALU_DEP_1)
	v_fmac_f32_e32 v1, v220, v1
	v_mul_f32_e32 v220, v221, v1
	s_delay_alu instid0(VALU_DEP_1) | instskip(NEXT) | instid1(VALU_DEP_1)
	v_fma_f32 v222, -v0, v220, v221
	v_fmac_f32_e32 v220, v222, v1
	s_delay_alu instid0(VALU_DEP_1) | instskip(NEXT) | instid1(VALU_DEP_1)
	v_fma_f32 v0, -v0, v220, v221
	v_div_fmas_f32 v0, v0, v1, v220
	s_delay_alu instid0(VALU_DEP_1) | instskip(NEXT) | instid1(VALU_DEP_1)
	v_div_fixup_f32 v0, v0, v219, v218
	v_fmac_f32_e32 v219, v218, v0
	s_delay_alu instid0(VALU_DEP_1) | instskip(SKIP_1) | instid1(VALU_DEP_2)
	v_div_scale_f32 v1, null, v219, v219, 1.0
	v_div_scale_f32 v221, vcc_lo, 1.0, v219, 1.0
	v_rcp_f32_e32 v218, v1
	v_nop
	s_delay_alu instid0(TRANS32_DEP_1) | instskip(NEXT) | instid1(VALU_DEP_1)
	v_fma_f32 v220, -v1, v218, 1.0
	v_fmac_f32_e32 v218, v220, v218
	s_delay_alu instid0(VALU_DEP_1) | instskip(NEXT) | instid1(VALU_DEP_1)
	v_mul_f32_e32 v220, v221, v218
	v_fma_f32 v222, -v1, v220, v221
	s_delay_alu instid0(VALU_DEP_1) | instskip(NEXT) | instid1(VALU_DEP_1)
	v_fmac_f32_e32 v220, v222, v218
	v_fma_f32 v1, -v1, v220, v221
	s_delay_alu instid0(VALU_DEP_1) | instskip(NEXT) | instid1(VALU_DEP_1)
	v_div_fmas_f32 v1, v1, v218, v220
	v_div_fixup_f32 v1, v1, v219, 1.0
                                        ; implicit-def: $vgpr218_vgpr219
	s_delay_alu instid0(VALU_DEP_1)
	v_mul_f32_e32 v220, v0, v1
	v_xor_b32_e32 v221, 0x80000000, v1
.LBB75_293:
	s_and_not1_saveexec_b32 s1, s1
	s_cbranch_execz .LBB75_295
; %bb.294:
	v_div_scale_f32 v0, null, v218, v218, v219
	v_div_scale_f32 v221, vcc_lo, v219, v218, v219
	s_delay_alu instid0(VALU_DEP_2) | instskip(SKIP_1) | instid1(TRANS32_DEP_1)
	v_rcp_f32_e32 v1, v0
	v_nop
	v_fma_f32 v220, -v0, v1, 1.0
	s_delay_alu instid0(VALU_DEP_1) | instskip(NEXT) | instid1(VALU_DEP_1)
	v_fmac_f32_e32 v1, v220, v1
	v_mul_f32_e32 v220, v221, v1
	s_delay_alu instid0(VALU_DEP_1) | instskip(NEXT) | instid1(VALU_DEP_1)
	v_fma_f32 v222, -v0, v220, v221
	v_fmac_f32_e32 v220, v222, v1
	s_delay_alu instid0(VALU_DEP_1) | instskip(NEXT) | instid1(VALU_DEP_1)
	v_fma_f32 v0, -v0, v220, v221
	v_div_fmas_f32 v0, v0, v1, v220
	s_delay_alu instid0(VALU_DEP_1) | instskip(NEXT) | instid1(VALU_DEP_1)
	v_div_fixup_f32 v0, v0, v218, v219
	v_fmac_f32_e32 v218, v219, v0
	s_delay_alu instid0(VALU_DEP_1) | instskip(NEXT) | instid1(VALU_DEP_1)
	v_div_scale_f32 v1, null, v218, v218, 1.0
	v_rcp_f32_e32 v219, v1
	v_nop
	s_delay_alu instid0(TRANS32_DEP_1) | instskip(NEXT) | instid1(VALU_DEP_1)
	v_fma_f32 v220, -v1, v219, 1.0
	v_fmac_f32_e32 v219, v220, v219
	v_div_scale_f32 v220, vcc_lo, 1.0, v218, 1.0
	s_delay_alu instid0(VALU_DEP_1) | instskip(NEXT) | instid1(VALU_DEP_1)
	v_mul_f32_e32 v221, v220, v219
	v_fma_f32 v222, -v1, v221, v220
	s_delay_alu instid0(VALU_DEP_1) | instskip(NEXT) | instid1(VALU_DEP_1)
	v_fmac_f32_e32 v221, v222, v219
	v_fma_f32 v1, -v1, v221, v220
	s_delay_alu instid0(VALU_DEP_1) | instskip(NEXT) | instid1(VALU_DEP_1)
	v_div_fmas_f32 v1, v1, v219, v221
	v_div_fixup_f32 v220, v1, v218, 1.0
	s_delay_alu instid0(VALU_DEP_1)
	v_mul_f32_e64 v221, v0, -v220
.LBB75_295:
	s_or_b32 exec_lo, exec_lo, s1
	ds_store_b64 v231, v[220:221]
.LBB75_296:
	s_or_b32 exec_lo, exec_lo, s2
	s_wait_dscnt 0x0
	s_barrier_signal -1
	s_barrier_wait -1
	ds_load_b64 v[218:219], v231
	s_mov_b32 s1, exec_lo
	v_cmpx_lt_u32_e32 32, v230
	s_cbranch_execz .LBB75_298
; %bb.297:
	ds_load_2addr_b64 v[220:223], v232 offset0:33 offset1:34
	ds_load_2addr_b64 v[224:227], v232 offset0:35 offset1:36
	ds_load_b64 v[0:1], v232 offset:296
	s_wait_dscnt 0x3
	v_pk_mul_f32 v[228:229], v[218:219], v[134:135] op_sel:[1,1] op_sel_hi:[0,1]
	s_delay_alu instid0(VALU_DEP_1) | instskip(SKIP_1) | instid1(VALU_DEP_1)
	v_pk_fma_f32 v[234:235], v[218:219], v[134:135], v[228:229] op_sel_hi:[1,0,1] neg_lo:[0,0,1] neg_hi:[0,0,1]
	v_pk_fma_f32 v[228:229], v[218:219], v[134:135], v[228:229] op_sel_hi:[1,0,1]
	v_dual_mov_b32 v134, v234 :: v_dual_mov_b32 v135, v229
	s_wait_dscnt 0x2
	s_delay_alu instid0(VALU_DEP_2)
	v_pk_mul_f32 v[236:237], v[220:221], v[228:229] op_sel:[0,1]
	v_pk_mul_f32 v[238:239], v[222:223], v[228:229] op_sel:[0,1]
	s_wait_dscnt 0x1
	v_pk_mul_f32 v[240:241], v[224:225], v[228:229] op_sel:[0,1]
	v_dual_mov_b32 v242, v227 :: v_dual_mov_b32 v243, v226
	v_dual_mul_f32 v244, v227, v229 :: v_dual_mul_f32 v246, v227, v234
	s_wait_dscnt 0x0
	v_pk_mul_f32 v[228:229], v[0:1], v[228:229] op_sel:[0,1]
	v_pk_fma_f32 v[248:249], v[220:221], v[234:235], v[236:237] op_sel:[0,0,1] op_sel_hi:[1,1,0] neg_lo:[0,0,1] neg_hi:[0,0,1]
	v_pk_fma_f32 v[220:221], v[220:221], v[234:235], v[236:237] op_sel:[0,0,1] op_sel_hi:[1,0,0]
	v_pk_fma_f32 v[236:237], v[222:223], v[234:235], v[238:239] op_sel:[0,0,1] op_sel_hi:[1,1,0] neg_lo:[0,0,1] neg_hi:[0,0,1]
	v_pk_fma_f32 v[222:223], v[222:223], v[234:235], v[238:239] op_sel:[0,0,1] op_sel_hi:[1,0,0]
	;; [unrolled: 2-line block ×3, first 2 shown]
	v_pk_fma_f32 v[240:241], v[242:243], v[134:135], v[246:247] op_sel_hi:[1,1,0]
	v_pk_fma_f32 v[242:243], v[0:1], v[234:235], v[228:229] op_sel:[0,0,1] op_sel_hi:[1,1,0] neg_lo:[0,0,1] neg_hi:[0,0,1]
	v_pk_fma_f32 v[0:1], v[0:1], v[234:235], v[228:229] op_sel:[0,0,1] op_sel_hi:[1,0,0]
	v_pk_fma_f32 v[226:227], v[226:227], v[134:135], v[244:245] op_sel_hi:[1,1,0] neg_lo:[0,0,1] neg_hi:[0,0,1]
	v_dual_mov_b32 v249, v221 :: v_dual_mov_b32 v237, v223
	v_dual_mov_b32 v239, v225 :: v_dual_mov_b32 v227, v241
	s_delay_alu instid0(VALU_DEP_4) | instskip(NEXT) | instid1(VALU_DEP_3)
	v_mov_b32_e32 v243, v1
	v_pk_add_f32 v[132:133], v[132:133], v[248:249] neg_lo:[0,1] neg_hi:[0,1]
	s_delay_alu instid0(VALU_DEP_4) | instskip(NEXT) | instid1(VALU_DEP_4)
	v_pk_add_f32 v[146:147], v[146:147], v[236:237] neg_lo:[0,1] neg_hi:[0,1]
	v_pk_add_f32 v[138:139], v[138:139], v[238:239] neg_lo:[0,1] neg_hi:[0,1]
	;; [unrolled: 1-line block ×4, first 2 shown]
.LBB75_298:
	s_or_b32 exec_lo, exec_lo, s1
	s_delay_alu instid0(SALU_CYCLE_1)
	s_mov_b32 s2, exec_lo
	s_wait_dscnt 0x0
	s_barrier_signal -1
	s_barrier_wait -1
	v_cmpx_eq_u32_e32 33, v230
	s_cbranch_execz .LBB75_305
; %bb.299:
	v_dual_mov_b32 v0, v146 :: v_dual_mov_b32 v1, v147
	v_dual_mov_b32 v220, v138 :: v_dual_mov_b32 v221, v139
	;; [unrolled: 1-line block ×3, first 2 shown]
	ds_store_b64 v231, v[132:133]
	ds_store_2addr_b64 v232, v[0:1], v[220:221] offset0:34 offset1:35
	ds_store_2addr_b64 v232, v[222:223], v[152:153] offset0:36 offset1:37
	ds_load_b64 v[220:221], v231
	s_wait_dscnt 0x0
	v_cmp_neq_f32_e32 vcc_lo, 0, v220
	v_cmp_neq_f32_e64 s1, 0, v221
	s_or_b32 s1, vcc_lo, s1
	s_delay_alu instid0(SALU_CYCLE_1)
	s_and_b32 exec_lo, exec_lo, s1
	s_cbranch_execz .LBB75_305
; %bb.300:
	v_cmp_ngt_f32_e64 s1, |v220|, |v221|
                                        ; implicit-def: $vgpr222_vgpr223
	s_and_saveexec_b32 s4, s1
	s_delay_alu instid0(SALU_CYCLE_1)
	s_xor_b32 s1, exec_lo, s4
	s_cbranch_execz .LBB75_302
; %bb.301:
	v_div_scale_f32 v0, null, v221, v221, v220
	v_div_scale_f32 v223, vcc_lo, v220, v221, v220
	s_delay_alu instid0(VALU_DEP_2) | instskip(SKIP_1) | instid1(TRANS32_DEP_1)
	v_rcp_f32_e32 v1, v0
	v_nop
	v_fma_f32 v222, -v0, v1, 1.0
	s_delay_alu instid0(VALU_DEP_1) | instskip(NEXT) | instid1(VALU_DEP_1)
	v_fmac_f32_e32 v1, v222, v1
	v_mul_f32_e32 v222, v223, v1
	s_delay_alu instid0(VALU_DEP_1) | instskip(NEXT) | instid1(VALU_DEP_1)
	v_fma_f32 v224, -v0, v222, v223
	v_fmac_f32_e32 v222, v224, v1
	s_delay_alu instid0(VALU_DEP_1) | instskip(NEXT) | instid1(VALU_DEP_1)
	v_fma_f32 v0, -v0, v222, v223
	v_div_fmas_f32 v0, v0, v1, v222
	s_delay_alu instid0(VALU_DEP_1) | instskip(NEXT) | instid1(VALU_DEP_1)
	v_div_fixup_f32 v0, v0, v221, v220
	v_fmac_f32_e32 v221, v220, v0
	s_delay_alu instid0(VALU_DEP_1) | instskip(SKIP_1) | instid1(VALU_DEP_2)
	v_div_scale_f32 v1, null, v221, v221, 1.0
	v_div_scale_f32 v223, vcc_lo, 1.0, v221, 1.0
	v_rcp_f32_e32 v220, v1
	v_nop
	s_delay_alu instid0(TRANS32_DEP_1) | instskip(NEXT) | instid1(VALU_DEP_1)
	v_fma_f32 v222, -v1, v220, 1.0
	v_fmac_f32_e32 v220, v222, v220
	s_delay_alu instid0(VALU_DEP_1) | instskip(NEXT) | instid1(VALU_DEP_1)
	v_mul_f32_e32 v222, v223, v220
	v_fma_f32 v224, -v1, v222, v223
	s_delay_alu instid0(VALU_DEP_1) | instskip(NEXT) | instid1(VALU_DEP_1)
	v_fmac_f32_e32 v222, v224, v220
	v_fma_f32 v1, -v1, v222, v223
	s_delay_alu instid0(VALU_DEP_1) | instskip(NEXT) | instid1(VALU_DEP_1)
	v_div_fmas_f32 v1, v1, v220, v222
	v_div_fixup_f32 v1, v1, v221, 1.0
                                        ; implicit-def: $vgpr220_vgpr221
	s_delay_alu instid0(VALU_DEP_1)
	v_mul_f32_e32 v222, v0, v1
	v_xor_b32_e32 v223, 0x80000000, v1
.LBB75_302:
	s_and_not1_saveexec_b32 s1, s1
	s_cbranch_execz .LBB75_304
; %bb.303:
	v_div_scale_f32 v0, null, v220, v220, v221
	v_div_scale_f32 v223, vcc_lo, v221, v220, v221
	s_delay_alu instid0(VALU_DEP_2) | instskip(SKIP_1) | instid1(TRANS32_DEP_1)
	v_rcp_f32_e32 v1, v0
	v_nop
	v_fma_f32 v222, -v0, v1, 1.0
	s_delay_alu instid0(VALU_DEP_1) | instskip(NEXT) | instid1(VALU_DEP_1)
	v_fmac_f32_e32 v1, v222, v1
	v_mul_f32_e32 v222, v223, v1
	s_delay_alu instid0(VALU_DEP_1) | instskip(NEXT) | instid1(VALU_DEP_1)
	v_fma_f32 v224, -v0, v222, v223
	v_fmac_f32_e32 v222, v224, v1
	s_delay_alu instid0(VALU_DEP_1) | instskip(NEXT) | instid1(VALU_DEP_1)
	v_fma_f32 v0, -v0, v222, v223
	v_div_fmas_f32 v0, v0, v1, v222
	s_delay_alu instid0(VALU_DEP_1) | instskip(NEXT) | instid1(VALU_DEP_1)
	v_div_fixup_f32 v0, v0, v220, v221
	v_fmac_f32_e32 v220, v221, v0
	s_delay_alu instid0(VALU_DEP_1) | instskip(NEXT) | instid1(VALU_DEP_1)
	v_div_scale_f32 v1, null, v220, v220, 1.0
	v_rcp_f32_e32 v221, v1
	v_nop
	s_delay_alu instid0(TRANS32_DEP_1) | instskip(NEXT) | instid1(VALU_DEP_1)
	v_fma_f32 v222, -v1, v221, 1.0
	v_fmac_f32_e32 v221, v222, v221
	v_div_scale_f32 v222, vcc_lo, 1.0, v220, 1.0
	s_delay_alu instid0(VALU_DEP_1) | instskip(NEXT) | instid1(VALU_DEP_1)
	v_mul_f32_e32 v223, v222, v221
	v_fma_f32 v224, -v1, v223, v222
	s_delay_alu instid0(VALU_DEP_1) | instskip(NEXT) | instid1(VALU_DEP_1)
	v_fmac_f32_e32 v223, v224, v221
	v_fma_f32 v1, -v1, v223, v222
	s_delay_alu instid0(VALU_DEP_1) | instskip(NEXT) | instid1(VALU_DEP_1)
	v_div_fmas_f32 v1, v1, v221, v223
	v_div_fixup_f32 v222, v1, v220, 1.0
	s_delay_alu instid0(VALU_DEP_1)
	v_mul_f32_e64 v223, v0, -v222
.LBB75_304:
	s_or_b32 exec_lo, exec_lo, s1
	ds_store_b64 v231, v[222:223]
.LBB75_305:
	s_or_b32 exec_lo, exec_lo, s2
	s_wait_dscnt 0x0
	s_barrier_signal -1
	s_barrier_wait -1
	ds_load_b64 v[220:221], v231
	s_mov_b32 s1, exec_lo
	v_cmpx_lt_u32_e32 33, v230
	s_cbranch_execz .LBB75_307
; %bb.306:
	ds_load_2addr_b64 v[222:225], v232 offset0:34 offset1:35
	ds_load_2addr_b64 v[226:229], v232 offset0:36 offset1:37
	s_wait_dscnt 0x2
	v_pk_mul_f32 v[0:1], v[220:221], v[132:133] op_sel:[1,1] op_sel_hi:[0,1]
	s_delay_alu instid0(VALU_DEP_1) | instskip(SKIP_1) | instid1(VALU_DEP_1)
	v_pk_fma_f32 v[234:235], v[220:221], v[132:133], v[0:1] op_sel_hi:[1,0,1] neg_lo:[0,0,1] neg_hi:[0,0,1]
	v_pk_fma_f32 v[0:1], v[220:221], v[132:133], v[0:1] op_sel_hi:[1,0,1]
	v_dual_mov_b32 v132, v234 :: v_dual_mov_b32 v133, v1
	s_wait_dscnt 0x1
	s_delay_alu instid0(VALU_DEP_2)
	v_pk_mul_f32 v[236:237], v[222:223], v[0:1] op_sel:[0,1]
	s_wait_dscnt 0x0
	v_mov_b32_e32 v238, v229
	v_pk_mul_f32 v[240:241], v[224:225], v[0:1] op_sel:[0,1]
	v_pk_mul_f32 v[242:243], v[226:227], v[0:1] op_sel:[0,1]
	v_pk_fma_f32 v[244:245], v[222:223], v[234:235], v[236:237] op_sel:[0,0,1] op_sel_hi:[1,1,0] neg_lo:[0,0,1] neg_hi:[0,0,1]
	v_pk_fma_f32 v[222:223], v[222:223], v[234:235], v[236:237] op_sel:[0,0,1] op_sel_hi:[1,0,0]
	s_delay_alu instid0(VALU_DEP_1) | instskip(NEXT) | instid1(VALU_DEP_1)
	v_dual_mov_b32 v239, v228 :: v_dual_mov_b32 v245, v223
	v_pk_mul_f32 v[236:237], v[238:239], v[0:1] op_sel:[0,1]
	v_pk_fma_f32 v[238:239], v[224:225], v[234:235], v[240:241] op_sel:[0,0,1] op_sel_hi:[1,0,0]
	v_pk_fma_f32 v[224:225], v[224:225], v[234:235], v[240:241] op_sel:[0,0,1] op_sel_hi:[1,1,0] neg_lo:[0,0,1] neg_hi:[0,0,1]
	v_pk_fma_f32 v[240:241], v[226:227], v[234:235], v[242:243] op_sel:[0,0,1] op_sel_hi:[1,0,0]
	v_pk_fma_f32 v[226:227], v[226:227], v[234:235], v[242:243] op_sel:[0,0,1] op_sel_hi:[1,1,0] neg_lo:[0,0,1] neg_hi:[0,0,1]
	v_pk_fma_f32 v[222:223], v[228:229], v[234:235], v[236:237] op_sel_hi:[1,0,1]
	v_pk_fma_f32 v[228:229], v[228:229], v[234:235], v[236:237] neg_lo:[0,0,1] neg_hi:[0,0,1]
	s_delay_alu instid0(VALU_DEP_4) | instskip(SKIP_1) | instid1(VALU_DEP_4)
	v_dual_mov_b32 v225, v239 :: v_dual_mov_b32 v227, v241
	v_pk_add_f32 v[146:147], v[146:147], v[244:245] neg_lo:[0,1] neg_hi:[0,1]
	v_mov_b32_e32 v229, v223
	s_delay_alu instid0(VALU_DEP_3) | instskip(NEXT) | instid1(VALU_DEP_4)
	v_pk_add_f32 v[138:139], v[138:139], v[224:225] neg_lo:[0,1] neg_hi:[0,1]
	v_pk_add_f32 v[136:137], v[136:137], v[226:227] neg_lo:[0,1] neg_hi:[0,1]
	s_delay_alu instid0(VALU_DEP_3)
	v_pk_add_f32 v[152:153], v[152:153], v[228:229] neg_lo:[0,1] neg_hi:[0,1]
.LBB75_307:
	s_or_b32 exec_lo, exec_lo, s1
	s_delay_alu instid0(SALU_CYCLE_1)
	s_mov_b32 s2, exec_lo
	s_wait_dscnt 0x0
	s_barrier_signal -1
	s_barrier_wait -1
	v_cmpx_eq_u32_e32 34, v230
	s_cbranch_execz .LBB75_314
; %bb.308:
	ds_store_b64 v231, v[146:147]
	ds_store_2addr_b64 v232, v[138:139], v[136:137] offset0:35 offset1:36
	ds_store_b64 v232, v[152:153] offset:296
	ds_load_b64 v[222:223], v231
	s_wait_dscnt 0x0
	v_cmp_neq_f32_e32 vcc_lo, 0, v222
	v_cmp_neq_f32_e64 s1, 0, v223
	s_or_b32 s1, vcc_lo, s1
	s_delay_alu instid0(SALU_CYCLE_1)
	s_and_b32 exec_lo, exec_lo, s1
	s_cbranch_execz .LBB75_314
; %bb.309:
	v_cmp_ngt_f32_e64 s1, |v222|, |v223|
                                        ; implicit-def: $vgpr224_vgpr225
	s_and_saveexec_b32 s4, s1
	s_delay_alu instid0(SALU_CYCLE_1)
	s_xor_b32 s1, exec_lo, s4
	s_cbranch_execz .LBB75_311
; %bb.310:
	v_div_scale_f32 v0, null, v223, v223, v222
	v_div_scale_f32 v225, vcc_lo, v222, v223, v222
	s_delay_alu instid0(VALU_DEP_2) | instskip(SKIP_1) | instid1(TRANS32_DEP_1)
	v_rcp_f32_e32 v1, v0
	v_nop
	v_fma_f32 v224, -v0, v1, 1.0
	s_delay_alu instid0(VALU_DEP_1) | instskip(NEXT) | instid1(VALU_DEP_1)
	v_fmac_f32_e32 v1, v224, v1
	v_mul_f32_e32 v224, v225, v1
	s_delay_alu instid0(VALU_DEP_1) | instskip(NEXT) | instid1(VALU_DEP_1)
	v_fma_f32 v226, -v0, v224, v225
	v_fmac_f32_e32 v224, v226, v1
	s_delay_alu instid0(VALU_DEP_1) | instskip(NEXT) | instid1(VALU_DEP_1)
	v_fma_f32 v0, -v0, v224, v225
	v_div_fmas_f32 v0, v0, v1, v224
	s_delay_alu instid0(VALU_DEP_1) | instskip(NEXT) | instid1(VALU_DEP_1)
	v_div_fixup_f32 v0, v0, v223, v222
	v_fmac_f32_e32 v223, v222, v0
	s_delay_alu instid0(VALU_DEP_1) | instskip(SKIP_1) | instid1(VALU_DEP_2)
	v_div_scale_f32 v1, null, v223, v223, 1.0
	v_div_scale_f32 v225, vcc_lo, 1.0, v223, 1.0
	v_rcp_f32_e32 v222, v1
	v_nop
	s_delay_alu instid0(TRANS32_DEP_1) | instskip(NEXT) | instid1(VALU_DEP_1)
	v_fma_f32 v224, -v1, v222, 1.0
	v_fmac_f32_e32 v222, v224, v222
	s_delay_alu instid0(VALU_DEP_1) | instskip(NEXT) | instid1(VALU_DEP_1)
	v_mul_f32_e32 v224, v225, v222
	v_fma_f32 v226, -v1, v224, v225
	s_delay_alu instid0(VALU_DEP_1) | instskip(NEXT) | instid1(VALU_DEP_1)
	v_fmac_f32_e32 v224, v226, v222
	v_fma_f32 v1, -v1, v224, v225
	s_delay_alu instid0(VALU_DEP_1) | instskip(NEXT) | instid1(VALU_DEP_1)
	v_div_fmas_f32 v1, v1, v222, v224
	v_div_fixup_f32 v1, v1, v223, 1.0
                                        ; implicit-def: $vgpr222_vgpr223
	s_delay_alu instid0(VALU_DEP_1)
	v_mul_f32_e32 v224, v0, v1
	v_xor_b32_e32 v225, 0x80000000, v1
.LBB75_311:
	s_and_not1_saveexec_b32 s1, s1
	s_cbranch_execz .LBB75_313
; %bb.312:
	v_div_scale_f32 v0, null, v222, v222, v223
	v_div_scale_f32 v225, vcc_lo, v223, v222, v223
	s_delay_alu instid0(VALU_DEP_2) | instskip(SKIP_1) | instid1(TRANS32_DEP_1)
	v_rcp_f32_e32 v1, v0
	v_nop
	v_fma_f32 v224, -v0, v1, 1.0
	s_delay_alu instid0(VALU_DEP_1) | instskip(NEXT) | instid1(VALU_DEP_1)
	v_fmac_f32_e32 v1, v224, v1
	v_mul_f32_e32 v224, v225, v1
	s_delay_alu instid0(VALU_DEP_1) | instskip(NEXT) | instid1(VALU_DEP_1)
	v_fma_f32 v226, -v0, v224, v225
	v_fmac_f32_e32 v224, v226, v1
	s_delay_alu instid0(VALU_DEP_1) | instskip(NEXT) | instid1(VALU_DEP_1)
	v_fma_f32 v0, -v0, v224, v225
	v_div_fmas_f32 v0, v0, v1, v224
	s_delay_alu instid0(VALU_DEP_1) | instskip(NEXT) | instid1(VALU_DEP_1)
	v_div_fixup_f32 v0, v0, v222, v223
	v_fmac_f32_e32 v222, v223, v0
	s_delay_alu instid0(VALU_DEP_1) | instskip(NEXT) | instid1(VALU_DEP_1)
	v_div_scale_f32 v1, null, v222, v222, 1.0
	v_rcp_f32_e32 v223, v1
	v_nop
	s_delay_alu instid0(TRANS32_DEP_1) | instskip(NEXT) | instid1(VALU_DEP_1)
	v_fma_f32 v224, -v1, v223, 1.0
	v_fmac_f32_e32 v223, v224, v223
	v_div_scale_f32 v224, vcc_lo, 1.0, v222, 1.0
	s_delay_alu instid0(VALU_DEP_1) | instskip(NEXT) | instid1(VALU_DEP_1)
	v_mul_f32_e32 v225, v224, v223
	v_fma_f32 v226, -v1, v225, v224
	s_delay_alu instid0(VALU_DEP_1) | instskip(NEXT) | instid1(VALU_DEP_1)
	v_fmac_f32_e32 v225, v226, v223
	v_fma_f32 v1, -v1, v225, v224
	s_delay_alu instid0(VALU_DEP_1) | instskip(NEXT) | instid1(VALU_DEP_1)
	v_div_fmas_f32 v1, v1, v223, v225
	v_div_fixup_f32 v224, v1, v222, 1.0
	s_delay_alu instid0(VALU_DEP_1)
	v_mul_f32_e64 v225, v0, -v224
.LBB75_313:
	s_or_b32 exec_lo, exec_lo, s1
	ds_store_b64 v231, v[224:225]
.LBB75_314:
	s_or_b32 exec_lo, exec_lo, s2
	s_wait_dscnt 0x0
	s_barrier_signal -1
	s_barrier_wait -1
	ds_load_b64 v[222:223], v231
	s_mov_b32 s1, exec_lo
	v_cmpx_lt_u32_e32 34, v230
	s_cbranch_execz .LBB75_316
; %bb.315:
	ds_load_2addr_b64 v[224:227], v232 offset0:35 offset1:36
	ds_load_b64 v[0:1], v232 offset:296
	s_wait_dscnt 0x2
	v_pk_mul_f32 v[228:229], v[222:223], v[146:147] op_sel:[1,1] op_sel_hi:[0,1]
	s_delay_alu instid0(VALU_DEP_1) | instskip(SKIP_2) | instid1(VALU_DEP_2)
	v_pk_fma_f32 v[234:235], v[222:223], v[146:147], v[228:229] op_sel_hi:[1,0,1]
	v_pk_fma_f32 v[146:147], v[222:223], v[146:147], v[228:229] op_sel_hi:[1,0,1] neg_lo:[0,0,1] neg_hi:[0,0,1]
	s_wait_dscnt 0x1
	v_pk_mul_f32 v[228:229], v[224:225], v[234:235] op_sel:[0,1]
	v_pk_mul_f32 v[236:237], v[226:227], v[234:235] op_sel:[0,1]
	s_wait_dscnt 0x0
	v_pk_mul_f32 v[238:239], v[0:1], v[234:235] op_sel:[1,1] op_sel_hi:[0,1]
	s_delay_alu instid0(VALU_DEP_3) | instskip(SKIP_2) | instid1(VALU_DEP_4)
	v_pk_fma_f32 v[240:241], v[224:225], v[146:147], v[228:229] op_sel:[0,0,1] op_sel_hi:[1,1,0] neg_lo:[0,0,1] neg_hi:[0,0,1]
	v_pk_fma_f32 v[224:225], v[224:225], v[146:147], v[228:229] op_sel:[0,0,1] op_sel_hi:[1,0,0]
	v_pk_fma_f32 v[228:229], v[226:227], v[146:147], v[236:237] op_sel:[0,0,1] op_sel_hi:[1,0,0]
	v_pk_fma_f32 v[242:243], v[0:1], v[146:147], v[238:239] op_sel_hi:[1,0,1]
	v_pk_fma_f32 v[226:227], v[226:227], v[146:147], v[236:237] op_sel:[0,0,1] op_sel_hi:[1,1,0] neg_lo:[0,0,1] neg_hi:[0,0,1]
	v_pk_fma_f32 v[0:1], v[0:1], v[146:147], v[238:239] neg_lo:[0,0,1] neg_hi:[0,0,1]
	s_delay_alu instid0(VALU_DEP_4) | instskip(NEXT) | instid1(VALU_DEP_4)
	v_dual_mov_b32 v241, v225 :: v_dual_mov_b32 v227, v229
	v_dual_mov_b32 v1, v243 :: v_dual_mov_b32 v147, v235
	s_delay_alu instid0(VALU_DEP_2) | instskip(NEXT) | instid1(VALU_DEP_3)
	v_pk_add_f32 v[138:139], v[138:139], v[240:241] neg_lo:[0,1] neg_hi:[0,1]
	v_pk_add_f32 v[136:137], v[136:137], v[226:227] neg_lo:[0,1] neg_hi:[0,1]
	s_delay_alu instid0(VALU_DEP_3)
	v_pk_add_f32 v[152:153], v[152:153], v[0:1] neg_lo:[0,1] neg_hi:[0,1]
.LBB75_316:
	s_or_b32 exec_lo, exec_lo, s1
	s_delay_alu instid0(SALU_CYCLE_1)
	s_mov_b32 s2, exec_lo
	s_wait_dscnt 0x0
	s_barrier_signal -1
	s_barrier_wait -1
	v_cmpx_eq_u32_e32 35, v230
	s_cbranch_execz .LBB75_323
; %bb.317:
	v_dual_mov_b32 v0, v136 :: v_dual_mov_b32 v1, v137
	ds_store_b64 v231, v[138:139]
	ds_store_2addr_b64 v232, v[0:1], v[152:153] offset0:36 offset1:37
	ds_load_b64 v[224:225], v231
	s_wait_dscnt 0x0
	v_cmp_neq_f32_e32 vcc_lo, 0, v224
	v_cmp_neq_f32_e64 s1, 0, v225
	s_or_b32 s1, vcc_lo, s1
	s_delay_alu instid0(SALU_CYCLE_1)
	s_and_b32 exec_lo, exec_lo, s1
	s_cbranch_execz .LBB75_323
; %bb.318:
	v_cmp_ngt_f32_e64 s1, |v224|, |v225|
                                        ; implicit-def: $vgpr226_vgpr227
	s_and_saveexec_b32 s4, s1
	s_delay_alu instid0(SALU_CYCLE_1)
	s_xor_b32 s1, exec_lo, s4
	s_cbranch_execz .LBB75_320
; %bb.319:
	v_div_scale_f32 v0, null, v225, v225, v224
	v_div_scale_f32 v227, vcc_lo, v224, v225, v224
	s_delay_alu instid0(VALU_DEP_2) | instskip(SKIP_1) | instid1(TRANS32_DEP_1)
	v_rcp_f32_e32 v1, v0
	v_nop
	v_fma_f32 v226, -v0, v1, 1.0
	s_delay_alu instid0(VALU_DEP_1) | instskip(NEXT) | instid1(VALU_DEP_1)
	v_fmac_f32_e32 v1, v226, v1
	v_mul_f32_e32 v226, v227, v1
	s_delay_alu instid0(VALU_DEP_1) | instskip(NEXT) | instid1(VALU_DEP_1)
	v_fma_f32 v228, -v0, v226, v227
	v_fmac_f32_e32 v226, v228, v1
	s_delay_alu instid0(VALU_DEP_1) | instskip(NEXT) | instid1(VALU_DEP_1)
	v_fma_f32 v0, -v0, v226, v227
	v_div_fmas_f32 v0, v0, v1, v226
	s_delay_alu instid0(VALU_DEP_1) | instskip(NEXT) | instid1(VALU_DEP_1)
	v_div_fixup_f32 v0, v0, v225, v224
	v_fmac_f32_e32 v225, v224, v0
	s_delay_alu instid0(VALU_DEP_1) | instskip(SKIP_1) | instid1(VALU_DEP_2)
	v_div_scale_f32 v1, null, v225, v225, 1.0
	v_div_scale_f32 v227, vcc_lo, 1.0, v225, 1.0
	v_rcp_f32_e32 v224, v1
	v_nop
	s_delay_alu instid0(TRANS32_DEP_1) | instskip(NEXT) | instid1(VALU_DEP_1)
	v_fma_f32 v226, -v1, v224, 1.0
	v_fmac_f32_e32 v224, v226, v224
	s_delay_alu instid0(VALU_DEP_1) | instskip(NEXT) | instid1(VALU_DEP_1)
	v_mul_f32_e32 v226, v227, v224
	v_fma_f32 v228, -v1, v226, v227
	s_delay_alu instid0(VALU_DEP_1) | instskip(NEXT) | instid1(VALU_DEP_1)
	v_fmac_f32_e32 v226, v228, v224
	v_fma_f32 v1, -v1, v226, v227
	s_delay_alu instid0(VALU_DEP_1) | instskip(NEXT) | instid1(VALU_DEP_1)
	v_div_fmas_f32 v1, v1, v224, v226
	v_div_fixup_f32 v1, v1, v225, 1.0
                                        ; implicit-def: $vgpr224_vgpr225
	s_delay_alu instid0(VALU_DEP_1)
	v_mul_f32_e32 v226, v0, v1
	v_xor_b32_e32 v227, 0x80000000, v1
.LBB75_320:
	s_and_not1_saveexec_b32 s1, s1
	s_cbranch_execz .LBB75_322
; %bb.321:
	v_div_scale_f32 v0, null, v224, v224, v225
	v_div_scale_f32 v227, vcc_lo, v225, v224, v225
	s_delay_alu instid0(VALU_DEP_2) | instskip(SKIP_1) | instid1(TRANS32_DEP_1)
	v_rcp_f32_e32 v1, v0
	v_nop
	v_fma_f32 v226, -v0, v1, 1.0
	s_delay_alu instid0(VALU_DEP_1) | instskip(NEXT) | instid1(VALU_DEP_1)
	v_fmac_f32_e32 v1, v226, v1
	v_mul_f32_e32 v226, v227, v1
	s_delay_alu instid0(VALU_DEP_1) | instskip(NEXT) | instid1(VALU_DEP_1)
	v_fma_f32 v228, -v0, v226, v227
	v_fmac_f32_e32 v226, v228, v1
	s_delay_alu instid0(VALU_DEP_1) | instskip(NEXT) | instid1(VALU_DEP_1)
	v_fma_f32 v0, -v0, v226, v227
	v_div_fmas_f32 v0, v0, v1, v226
	s_delay_alu instid0(VALU_DEP_1) | instskip(NEXT) | instid1(VALU_DEP_1)
	v_div_fixup_f32 v0, v0, v224, v225
	v_fmac_f32_e32 v224, v225, v0
	s_delay_alu instid0(VALU_DEP_1) | instskip(NEXT) | instid1(VALU_DEP_1)
	v_div_scale_f32 v1, null, v224, v224, 1.0
	v_rcp_f32_e32 v225, v1
	v_nop
	s_delay_alu instid0(TRANS32_DEP_1) | instskip(NEXT) | instid1(VALU_DEP_1)
	v_fma_f32 v226, -v1, v225, 1.0
	v_fmac_f32_e32 v225, v226, v225
	v_div_scale_f32 v226, vcc_lo, 1.0, v224, 1.0
	s_delay_alu instid0(VALU_DEP_1) | instskip(NEXT) | instid1(VALU_DEP_1)
	v_mul_f32_e32 v227, v226, v225
	v_fma_f32 v228, -v1, v227, v226
	s_delay_alu instid0(VALU_DEP_1) | instskip(NEXT) | instid1(VALU_DEP_1)
	v_fmac_f32_e32 v227, v228, v225
	v_fma_f32 v1, -v1, v227, v226
	s_delay_alu instid0(VALU_DEP_1) | instskip(NEXT) | instid1(VALU_DEP_1)
	v_div_fmas_f32 v1, v1, v225, v227
	v_div_fixup_f32 v226, v1, v224, 1.0
	s_delay_alu instid0(VALU_DEP_1)
	v_mul_f32_e64 v227, v0, -v226
.LBB75_322:
	s_or_b32 exec_lo, exec_lo, s1
	ds_store_b64 v231, v[226:227]
.LBB75_323:
	s_or_b32 exec_lo, exec_lo, s2
	s_wait_dscnt 0x0
	s_barrier_signal -1
	s_barrier_wait -1
	ds_load_b64 v[224:225], v231
	s_mov_b32 s1, exec_lo
	v_cmpx_lt_u32_e32 35, v230
	s_cbranch_execz .LBB75_325
; %bb.324:
	ds_load_2addr_b64 v[226:229], v232 offset0:36 offset1:37
	s_wait_dscnt 0x1
	v_pk_mul_f32 v[0:1], v[224:225], v[138:139] op_sel:[1,1] op_sel_hi:[0,1]
	s_delay_alu instid0(VALU_DEP_1) | instskip(SKIP_3) | instid1(VALU_DEP_3)
	v_pk_fma_f32 v[234:235], v[224:225], v[138:139], v[0:1] op_sel_hi:[1,0,1]
	v_pk_fma_f32 v[138:139], v[224:225], v[138:139], v[0:1] op_sel_hi:[1,0,1] neg_lo:[0,0,1] neg_hi:[0,0,1]
	s_wait_dscnt 0x0
	v_dual_mov_b32 v236, v229 :: v_dual_mov_b32 v237, v228
	v_pk_mul_f32 v[0:1], v[226:227], v[234:235] op_sel:[0,1]
	s_delay_alu instid0(VALU_DEP_2) | instskip(NEXT) | instid1(VALU_DEP_2)
	v_pk_mul_f32 v[236:237], v[236:237], v[234:235] op_sel:[0,1]
	v_pk_fma_f32 v[238:239], v[226:227], v[138:139], v[0:1] op_sel:[0,0,1] op_sel_hi:[1,0,0]
	v_pk_fma_f32 v[0:1], v[226:227], v[138:139], v[0:1] op_sel:[0,0,1] op_sel_hi:[1,1,0] neg_lo:[0,0,1] neg_hi:[0,0,1]
	s_delay_alu instid0(VALU_DEP_3) | instskip(SKIP_1) | instid1(VALU_DEP_4)
	v_pk_fma_f32 v[240:241], v[228:229], v[138:139], v[236:237] op_sel_hi:[1,0,1]
	v_pk_fma_f32 v[226:227], v[228:229], v[138:139], v[236:237] neg_lo:[0,0,1] neg_hi:[0,0,1]
	v_dual_mov_b32 v1, v239 :: v_dual_mov_b32 v139, v235
	s_delay_alu instid0(VALU_DEP_3) | instskip(NEXT) | instid1(VALU_DEP_2)
	v_mov_b32_e32 v227, v241
	v_pk_add_f32 v[136:137], v[136:137], v[0:1] neg_lo:[0,1] neg_hi:[0,1]
	s_delay_alu instid0(VALU_DEP_2)
	v_pk_add_f32 v[152:153], v[152:153], v[226:227] neg_lo:[0,1] neg_hi:[0,1]
.LBB75_325:
	s_or_b32 exec_lo, exec_lo, s1
	s_delay_alu instid0(SALU_CYCLE_1)
	s_mov_b32 s2, exec_lo
	s_wait_dscnt 0x0
	s_barrier_signal -1
	s_barrier_wait -1
	v_cmpx_eq_u32_e32 36, v230
	s_cbranch_execz .LBB75_332
; %bb.326:
	ds_store_b64 v231, v[136:137]
	ds_store_b64 v232, v[152:153] offset:296
	ds_load_b64 v[226:227], v231
	s_wait_dscnt 0x0
	v_cmp_neq_f32_e32 vcc_lo, 0, v226
	v_cmp_neq_f32_e64 s1, 0, v227
	s_or_b32 s1, vcc_lo, s1
	s_delay_alu instid0(SALU_CYCLE_1)
	s_and_b32 exec_lo, exec_lo, s1
	s_cbranch_execz .LBB75_332
; %bb.327:
	v_cmp_ngt_f32_e64 s1, |v226|, |v227|
                                        ; implicit-def: $vgpr228_vgpr229
	s_and_saveexec_b32 s4, s1
	s_delay_alu instid0(SALU_CYCLE_1)
	s_xor_b32 s1, exec_lo, s4
	s_cbranch_execz .LBB75_329
; %bb.328:
	v_div_scale_f32 v0, null, v227, v227, v226
	v_div_scale_f32 v229, vcc_lo, v226, v227, v226
	s_delay_alu instid0(VALU_DEP_2) | instskip(SKIP_1) | instid1(TRANS32_DEP_1)
	v_rcp_f32_e32 v1, v0
	v_nop
	v_fma_f32 v228, -v0, v1, 1.0
	s_delay_alu instid0(VALU_DEP_1) | instskip(NEXT) | instid1(VALU_DEP_1)
	v_fmac_f32_e32 v1, v228, v1
	v_mul_f32_e32 v228, v229, v1
	s_delay_alu instid0(VALU_DEP_1) | instskip(NEXT) | instid1(VALU_DEP_1)
	v_fma_f32 v233, -v0, v228, v229
	v_fmac_f32_e32 v228, v233, v1
	s_delay_alu instid0(VALU_DEP_1) | instskip(NEXT) | instid1(VALU_DEP_1)
	v_fma_f32 v0, -v0, v228, v229
	v_div_fmas_f32 v0, v0, v1, v228
	s_delay_alu instid0(VALU_DEP_1) | instskip(NEXT) | instid1(VALU_DEP_1)
	v_div_fixup_f32 v0, v0, v227, v226
	v_fmac_f32_e32 v227, v226, v0
	s_delay_alu instid0(VALU_DEP_1) | instskip(SKIP_1) | instid1(VALU_DEP_2)
	v_div_scale_f32 v1, null, v227, v227, 1.0
	v_div_scale_f32 v229, vcc_lo, 1.0, v227, 1.0
	v_rcp_f32_e32 v226, v1
	v_nop
	s_delay_alu instid0(TRANS32_DEP_1) | instskip(NEXT) | instid1(VALU_DEP_1)
	v_fma_f32 v228, -v1, v226, 1.0
	v_fmac_f32_e32 v226, v228, v226
	s_delay_alu instid0(VALU_DEP_1) | instskip(NEXT) | instid1(VALU_DEP_1)
	v_mul_f32_e32 v228, v229, v226
	v_fma_f32 v233, -v1, v228, v229
	s_delay_alu instid0(VALU_DEP_1) | instskip(NEXT) | instid1(VALU_DEP_1)
	v_fmac_f32_e32 v228, v233, v226
	v_fma_f32 v1, -v1, v228, v229
	s_delay_alu instid0(VALU_DEP_1) | instskip(NEXT) | instid1(VALU_DEP_1)
	v_div_fmas_f32 v1, v1, v226, v228
	v_div_fixup_f32 v1, v1, v227, 1.0
                                        ; implicit-def: $vgpr226_vgpr227
	s_delay_alu instid0(VALU_DEP_1)
	v_mul_f32_e32 v228, v0, v1
	v_xor_b32_e32 v229, 0x80000000, v1
.LBB75_329:
	s_and_not1_saveexec_b32 s1, s1
	s_cbranch_execz .LBB75_331
; %bb.330:
	v_div_scale_f32 v0, null, v226, v226, v227
	v_div_scale_f32 v229, vcc_lo, v227, v226, v227
	s_delay_alu instid0(VALU_DEP_2) | instskip(SKIP_1) | instid1(TRANS32_DEP_1)
	v_rcp_f32_e32 v1, v0
	v_nop
	v_fma_f32 v228, -v0, v1, 1.0
	s_delay_alu instid0(VALU_DEP_1) | instskip(NEXT) | instid1(VALU_DEP_1)
	v_fmac_f32_e32 v1, v228, v1
	v_mul_f32_e32 v228, v229, v1
	s_delay_alu instid0(VALU_DEP_1) | instskip(NEXT) | instid1(VALU_DEP_1)
	v_fma_f32 v233, -v0, v228, v229
	v_fmac_f32_e32 v228, v233, v1
	s_delay_alu instid0(VALU_DEP_1) | instskip(NEXT) | instid1(VALU_DEP_1)
	v_fma_f32 v0, -v0, v228, v229
	v_div_fmas_f32 v0, v0, v1, v228
	s_delay_alu instid0(VALU_DEP_1) | instskip(NEXT) | instid1(VALU_DEP_1)
	v_div_fixup_f32 v0, v0, v226, v227
	v_fmac_f32_e32 v226, v227, v0
	s_delay_alu instid0(VALU_DEP_1) | instskip(NEXT) | instid1(VALU_DEP_1)
	v_div_scale_f32 v1, null, v226, v226, 1.0
	v_rcp_f32_e32 v227, v1
	v_nop
	s_delay_alu instid0(TRANS32_DEP_1) | instskip(NEXT) | instid1(VALU_DEP_1)
	v_fma_f32 v228, -v1, v227, 1.0
	v_fmac_f32_e32 v227, v228, v227
	v_div_scale_f32 v228, vcc_lo, 1.0, v226, 1.0
	s_delay_alu instid0(VALU_DEP_1) | instskip(NEXT) | instid1(VALU_DEP_1)
	v_mul_f32_e32 v229, v228, v227
	v_fma_f32 v233, -v1, v229, v228
	s_delay_alu instid0(VALU_DEP_1) | instskip(NEXT) | instid1(VALU_DEP_1)
	v_fmac_f32_e32 v229, v233, v227
	v_fma_f32 v1, -v1, v229, v228
	s_delay_alu instid0(VALU_DEP_1) | instskip(NEXT) | instid1(VALU_DEP_1)
	v_div_fmas_f32 v1, v1, v227, v229
	v_div_fixup_f32 v228, v1, v226, 1.0
	s_delay_alu instid0(VALU_DEP_1)
	v_mul_f32_e64 v229, v0, -v228
.LBB75_331:
	s_or_b32 exec_lo, exec_lo, s1
	ds_store_b64 v231, v[228:229]
.LBB75_332:
	s_or_b32 exec_lo, exec_lo, s2
	s_wait_dscnt 0x0
	s_barrier_signal -1
	s_barrier_wait -1
	ds_load_b64 v[226:227], v231
	s_mov_b32 s1, exec_lo
	v_cmpx_lt_u32_e32 36, v230
	s_cbranch_execz .LBB75_334
; %bb.333:
	ds_load_b64 v[0:1], v232 offset:296
	s_wait_dscnt 0x1
	v_pk_mul_f32 v[228:229], v[226:227], v[136:137] op_sel:[1,1] op_sel_hi:[0,1]
	s_delay_alu instid0(VALU_DEP_1) | instskip(SKIP_2) | instid1(VALU_DEP_2)
	v_pk_fma_f32 v[232:233], v[226:227], v[136:137], v[228:229] op_sel_hi:[1,0,1]
	v_pk_fma_f32 v[136:137], v[226:227], v[136:137], v[228:229] op_sel_hi:[1,0,1] neg_lo:[0,0,1] neg_hi:[0,0,1]
	s_wait_dscnt 0x0
	v_pk_mul_f32 v[228:229], v[0:1], v[232:233] op_sel:[1,1] op_sel_hi:[0,1]
	s_delay_alu instid0(VALU_DEP_1) | instskip(SKIP_1) | instid1(VALU_DEP_2)
	v_pk_fma_f32 v[234:235], v[0:1], v[136:137], v[228:229] op_sel_hi:[1,0,1]
	v_pk_fma_f32 v[0:1], v[0:1], v[136:137], v[228:229] neg_lo:[0,0,1] neg_hi:[0,0,1]
	v_dual_mov_b32 v137, v233 :: v_dual_mov_b32 v1, v235
	s_delay_alu instid0(VALU_DEP_1)
	v_pk_add_f32 v[152:153], v[152:153], v[0:1] neg_lo:[0,1] neg_hi:[0,1]
.LBB75_334:
	s_or_b32 exec_lo, exec_lo, s1
	s_delay_alu instid0(SALU_CYCLE_1)
	s_mov_b32 s2, exec_lo
	s_wait_dscnt 0x0
	s_barrier_signal -1
	s_barrier_wait -1
	v_cmpx_eq_u32_e32 37, v230
	s_cbranch_execz .LBB75_341
; %bb.335:
	v_cmp_neq_f32_e32 vcc_lo, 0, v152
	v_cmp_neq_f32_e64 s1, 0, v153
	ds_store_b64 v231, v[152:153]
	s_or_b32 s1, vcc_lo, s1
	s_delay_alu instid0(SALU_CYCLE_1)
	s_and_b32 exec_lo, exec_lo, s1
	s_cbranch_execz .LBB75_341
; %bb.336:
	v_cmp_ngt_f32_e64 s1, |v152|, |v153|
                                        ; implicit-def: $vgpr228_vgpr229
	s_and_saveexec_b32 s4, s1
	s_delay_alu instid0(SALU_CYCLE_1)
	s_xor_b32 s1, exec_lo, s4
	s_cbranch_execz .LBB75_338
; %bb.337:
	v_div_scale_f32 v0, null, v153, v153, v152
	v_div_scale_f32 v229, vcc_lo, v152, v153, v152
	s_delay_alu instid0(VALU_DEP_2) | instskip(SKIP_1) | instid1(TRANS32_DEP_1)
	v_rcp_f32_e32 v1, v0
	v_nop
	v_fma_f32 v228, -v0, v1, 1.0
	s_delay_alu instid0(VALU_DEP_1) | instskip(NEXT) | instid1(VALU_DEP_1)
	v_fmac_f32_e32 v1, v228, v1
	v_mul_f32_e32 v228, v229, v1
	s_delay_alu instid0(VALU_DEP_1) | instskip(NEXT) | instid1(VALU_DEP_1)
	v_fma_f32 v232, -v0, v228, v229
	v_fmac_f32_e32 v228, v232, v1
	s_delay_alu instid0(VALU_DEP_1) | instskip(NEXT) | instid1(VALU_DEP_1)
	v_fma_f32 v0, -v0, v228, v229
	v_div_fmas_f32 v0, v0, v1, v228
	s_delay_alu instid0(VALU_DEP_1) | instskip(NEXT) | instid1(VALU_DEP_1)
	v_div_fixup_f32 v0, v0, v153, v152
	v_fma_f32 v1, v152, v0, v153
	s_delay_alu instid0(VALU_DEP_1) | instskip(SKIP_1) | instid1(VALU_DEP_2)
	v_div_scale_f32 v228, null, v1, v1, 1.0
	v_div_scale_f32 v233, vcc_lo, 1.0, v1, 1.0
	v_rcp_f32_e32 v229, v228
	v_nop
	s_delay_alu instid0(TRANS32_DEP_1) | instskip(NEXT) | instid1(VALU_DEP_1)
	v_fma_f32 v232, -v228, v229, 1.0
	v_fmac_f32_e32 v229, v232, v229
	s_delay_alu instid0(VALU_DEP_1) | instskip(NEXT) | instid1(VALU_DEP_1)
	v_mul_f32_e32 v232, v233, v229
	v_fma_f32 v234, -v228, v232, v233
	s_delay_alu instid0(VALU_DEP_1) | instskip(NEXT) | instid1(VALU_DEP_1)
	v_fmac_f32_e32 v232, v234, v229
	v_fma_f32 v228, -v228, v232, v233
	s_delay_alu instid0(VALU_DEP_1) | instskip(NEXT) | instid1(VALU_DEP_1)
	v_div_fmas_f32 v228, v228, v229, v232
	v_div_fixup_f32 v1, v228, v1, 1.0
	s_delay_alu instid0(VALU_DEP_1)
	v_mul_f32_e32 v228, v0, v1
	v_xor_b32_e32 v229, 0x80000000, v1
.LBB75_338:
	s_and_not1_saveexec_b32 s1, s1
	s_cbranch_execz .LBB75_340
; %bb.339:
	v_div_scale_f32 v0, null, v152, v152, v153
	v_div_scale_f32 v229, vcc_lo, v153, v152, v153
	s_delay_alu instid0(VALU_DEP_2) | instskip(SKIP_1) | instid1(TRANS32_DEP_1)
	v_rcp_f32_e32 v1, v0
	v_nop
	v_fma_f32 v228, -v0, v1, 1.0
	s_delay_alu instid0(VALU_DEP_1) | instskip(NEXT) | instid1(VALU_DEP_1)
	v_fmac_f32_e32 v1, v228, v1
	v_mul_f32_e32 v228, v229, v1
	s_delay_alu instid0(VALU_DEP_1) | instskip(NEXT) | instid1(VALU_DEP_1)
	v_fma_f32 v232, -v0, v228, v229
	v_fmac_f32_e32 v228, v232, v1
	s_delay_alu instid0(VALU_DEP_1) | instskip(NEXT) | instid1(VALU_DEP_1)
	v_fma_f32 v0, -v0, v228, v229
	v_div_fmas_f32 v0, v0, v1, v228
	s_delay_alu instid0(VALU_DEP_1) | instskip(NEXT) | instid1(VALU_DEP_1)
	v_div_fixup_f32 v0, v0, v152, v153
	v_fma_f32 v1, v153, v0, v152
	s_delay_alu instid0(VALU_DEP_1) | instskip(NEXT) | instid1(VALU_DEP_1)
	v_div_scale_f32 v228, null, v1, v1, 1.0
	v_rcp_f32_e32 v229, v228
	v_nop
	s_delay_alu instid0(TRANS32_DEP_1) | instskip(NEXT) | instid1(VALU_DEP_1)
	v_fma_f32 v232, -v228, v229, 1.0
	v_fmac_f32_e32 v229, v232, v229
	v_div_scale_f32 v232, vcc_lo, 1.0, v1, 1.0
	s_delay_alu instid0(VALU_DEP_1) | instskip(NEXT) | instid1(VALU_DEP_1)
	v_mul_f32_e32 v233, v232, v229
	v_fma_f32 v234, -v228, v233, v232
	s_delay_alu instid0(VALU_DEP_1) | instskip(NEXT) | instid1(VALU_DEP_1)
	v_fmac_f32_e32 v233, v234, v229
	v_fma_f32 v228, -v228, v233, v232
	s_delay_alu instid0(VALU_DEP_1) | instskip(NEXT) | instid1(VALU_DEP_1)
	v_div_fmas_f32 v228, v228, v229, v233
	v_div_fixup_f32 v228, v228, v1, 1.0
	s_delay_alu instid0(VALU_DEP_1)
	v_mul_f32_e64 v229, v0, -v228
.LBB75_340:
	s_or_b32 exec_lo, exec_lo, s1
	ds_store_b64 v231, v[228:229]
.LBB75_341:
	s_or_b32 exec_lo, exec_lo, s2
	s_wait_dscnt 0x0
	s_barrier_signal -1
	s_barrier_wait -1
	ds_load_b64 v[228:229], v231
	s_wait_dscnt 0x0
	s_barrier_signal -1
	s_barrier_wait -1
	s_and_saveexec_b32 s4, s0
	s_cbranch_execz .LBB75_344
; %bb.342:
	v_cmp_eq_f32_e32 vcc_lo, 0, v154
	v_cmp_eq_f32_e64 s0, 0, v155
	v_cmp_neq_f32_e64 s1, 0, v156
	v_cmp_neq_f32_e64 s2, 0, v157
	v_lshl_add_u64 v[2:3], v[2:3], 2, s[6:7]
	s_and_b32 s0, vcc_lo, s0
	s_delay_alu instid0(SALU_CYCLE_1)
	v_cndmask_b32_e64 v0, 0, 1, s0
	s_or_b32 s1, s1, s2
	global_load_b32 v1, v[2:3], off
	s_or_b32 vcc_lo, s1, s0
	v_cmp_eq_f32_e64 s0, 0, v159
	v_cndmask_b32_e32 v0, 2, v0, vcc_lo
	v_cmp_eq_f32_e32 vcc_lo, 0, v158
	s_delay_alu instid0(VALU_DEP_2) | instskip(SKIP_3) | instid1(SALU_CYCLE_1)
	v_cmp_eq_u32_e64 s1, 0, v0
	s_and_b32 s0, vcc_lo, s0
	v_cmp_eq_f32_e32 vcc_lo, 0, v160
	s_and_b32 s0, s0, s1
	v_cndmask_b32_e64 v0, v0, 3, s0
	v_cmp_eq_f32_e64 s0, 0, v161
	s_delay_alu instid0(VALU_DEP_2) | instskip(SKIP_3) | instid1(SALU_CYCLE_1)
	v_cmp_eq_u32_e64 s1, 0, v0
	s_and_b32 s0, vcc_lo, s0
	v_cmp_eq_f32_e32 vcc_lo, 0, v162
	s_and_b32 s0, s0, s1
	v_cndmask_b32_e64 v0, v0, 4, s0
	v_cmp_eq_f32_e64 s0, 0, v163
	;; [unrolled: 7-line block ×35, first 2 shown]
	s_delay_alu instid0(VALU_DEP_2) | instskip(SKIP_4) | instid1(SALU_CYCLE_1)
	v_cmp_eq_u32_e64 s1, 0, v0
	s_and_b32 s0, vcc_lo, s0
	s_wait_loadcnt 0x0
	v_cmp_eq_u32_e32 vcc_lo, 0, v1
	s_and_b32 s0, s0, s1
	v_cndmask_b32_e64 v154, v0, 38, s0
	s_delay_alu instid0(VALU_DEP_1) | instskip(SKIP_1) | instid1(SALU_CYCLE_1)
	v_cmp_ne_u32_e64 s0, 0, v154
	s_and_b32 s0, vcc_lo, s0
	s_and_b32 exec_lo, exec_lo, s0
	s_cbranch_execz .LBB75_344
; %bb.343:
	v_add_nc_u32_e32 v0, s3, v154
	global_store_b32 v[2:3], v0, off
.LBB75_344:
	s_wait_xcnt 0x0
	s_or_b32 exec_lo, exec_lo, s4
	v_pk_mul_f32 v[0:1], v[228:229], v[152:153] op_sel:[1,1] op_sel_hi:[0,1]
	v_cmp_lt_u32_e32 vcc_lo, 37, v230
	s_clause 0x4
	global_store_b64 v[18:19], v[54:55], off
	global_store_b64 v[34:35], v[56:57], off
	global_store_b64 v[6:7], v[46:47], off
	global_store_b64 v[12:13], v[44:45], off
	global_store_b64 v[14:15], v[28:29], off
	v_pk_fma_f32 v[2:3], v[228:229], v[152:153], v[0:1] op_sel_hi:[1,0,1]
	v_pk_fma_f32 v[0:1], v[228:229], v[152:153], v[0:1] neg_lo:[0,0,1] neg_hi:[0,0,1]
	s_delay_alu instid0(VALU_DEP_1)
	v_dual_cndmask_b32 v1, v153, v3 :: v_dual_cndmask_b32 v0, v152, v0
	scratch_load_b64 v[2:3], off, off th:TH_LOAD_LU ; 8-byte Folded Reload
	s_wait_loadcnt 0x0
	s_clause 0x20
	global_store_b64 v[2:3], v[24:25], off
	global_store_b64 v[4:5], v[26:27], off
	;; [unrolled: 1-line block ×33, first 2 shown]
.LBB75_345:
	s_sendmsg sendmsg(MSG_DEALLOC_VGPRS)
	s_endpgm
	.section	.rodata,"a",@progbits
	.p2align	6, 0x0
	.amdhsa_kernel _ZN9rocsolver6v33100L23getf2_npvt_small_kernelILi38E19rocblas_complex_numIfEiiPS3_EEvT1_T3_lS5_lPT2_S5_S5_
		.amdhsa_group_segment_fixed_size 0
		.amdhsa_private_segment_fixed_size 12
		.amdhsa_kernarg_size 312
		.amdhsa_user_sgpr_count 2
		.amdhsa_user_sgpr_dispatch_ptr 0
		.amdhsa_user_sgpr_queue_ptr 0
		.amdhsa_user_sgpr_kernarg_segment_ptr 1
		.amdhsa_user_sgpr_dispatch_id 0
		.amdhsa_user_sgpr_kernarg_preload_length 0
		.amdhsa_user_sgpr_kernarg_preload_offset 0
		.amdhsa_user_sgpr_private_segment_size 0
		.amdhsa_wavefront_size32 1
		.amdhsa_uses_dynamic_stack 0
		.amdhsa_enable_private_segment 1
		.amdhsa_system_sgpr_workgroup_id_x 1
		.amdhsa_system_sgpr_workgroup_id_y 1
		.amdhsa_system_sgpr_workgroup_id_z 0
		.amdhsa_system_sgpr_workgroup_info 0
		.amdhsa_system_vgpr_workitem_id 1
		.amdhsa_next_free_vgpr 256
		.amdhsa_next_free_sgpr 15
		.amdhsa_named_barrier_count 0
		.amdhsa_reserve_vcc 1
		.amdhsa_float_round_mode_32 0
		.amdhsa_float_round_mode_16_64 0
		.amdhsa_float_denorm_mode_32 3
		.amdhsa_float_denorm_mode_16_64 3
		.amdhsa_fp16_overflow 0
		.amdhsa_memory_ordered 1
		.amdhsa_forward_progress 1
		.amdhsa_inst_pref_size 255
		.amdhsa_round_robin_scheduling 0
		.amdhsa_exception_fp_ieee_invalid_op 0
		.amdhsa_exception_fp_denorm_src 0
		.amdhsa_exception_fp_ieee_div_zero 0
		.amdhsa_exception_fp_ieee_overflow 0
		.amdhsa_exception_fp_ieee_underflow 0
		.amdhsa_exception_fp_ieee_inexact 0
		.amdhsa_exception_int_div_zero 0
	.end_amdhsa_kernel
	.section	.text._ZN9rocsolver6v33100L23getf2_npvt_small_kernelILi38E19rocblas_complex_numIfEiiPS3_EEvT1_T3_lS5_lPT2_S5_S5_,"axG",@progbits,_ZN9rocsolver6v33100L23getf2_npvt_small_kernelILi38E19rocblas_complex_numIfEiiPS3_EEvT1_T3_lS5_lPT2_S5_S5_,comdat
.Lfunc_end75:
	.size	_ZN9rocsolver6v33100L23getf2_npvt_small_kernelILi38E19rocblas_complex_numIfEiiPS3_EEvT1_T3_lS5_lPT2_S5_S5_, .Lfunc_end75-_ZN9rocsolver6v33100L23getf2_npvt_small_kernelILi38E19rocblas_complex_numIfEiiPS3_EEvT1_T3_lS5_lPT2_S5_S5_
                                        ; -- End function
	.set _ZN9rocsolver6v33100L23getf2_npvt_small_kernelILi38E19rocblas_complex_numIfEiiPS3_EEvT1_T3_lS5_lPT2_S5_S5_.num_vgpr, 256
	.set _ZN9rocsolver6v33100L23getf2_npvt_small_kernelILi38E19rocblas_complex_numIfEiiPS3_EEvT1_T3_lS5_lPT2_S5_S5_.num_agpr, 0
	.set _ZN9rocsolver6v33100L23getf2_npvt_small_kernelILi38E19rocblas_complex_numIfEiiPS3_EEvT1_T3_lS5_lPT2_S5_S5_.numbered_sgpr, 15
	.set _ZN9rocsolver6v33100L23getf2_npvt_small_kernelILi38E19rocblas_complex_numIfEiiPS3_EEvT1_T3_lS5_lPT2_S5_S5_.num_named_barrier, 0
	.set _ZN9rocsolver6v33100L23getf2_npvt_small_kernelILi38E19rocblas_complex_numIfEiiPS3_EEvT1_T3_lS5_lPT2_S5_S5_.private_seg_size, 12
	.set _ZN9rocsolver6v33100L23getf2_npvt_small_kernelILi38E19rocblas_complex_numIfEiiPS3_EEvT1_T3_lS5_lPT2_S5_S5_.uses_vcc, 1
	.set _ZN9rocsolver6v33100L23getf2_npvt_small_kernelILi38E19rocblas_complex_numIfEiiPS3_EEvT1_T3_lS5_lPT2_S5_S5_.uses_flat_scratch, 0
	.set _ZN9rocsolver6v33100L23getf2_npvt_small_kernelILi38E19rocblas_complex_numIfEiiPS3_EEvT1_T3_lS5_lPT2_S5_S5_.has_dyn_sized_stack, 0
	.set _ZN9rocsolver6v33100L23getf2_npvt_small_kernelILi38E19rocblas_complex_numIfEiiPS3_EEvT1_T3_lS5_lPT2_S5_S5_.has_recursion, 0
	.set _ZN9rocsolver6v33100L23getf2_npvt_small_kernelILi38E19rocblas_complex_numIfEiiPS3_EEvT1_T3_lS5_lPT2_S5_S5_.has_indirect_call, 0
	.section	.AMDGPU.csdata,"",@progbits
; Kernel info:
; codeLenInByte = 65912
; TotalNumSgprs: 17
; NumVgprs: 256
; ScratchSize: 12
; MemoryBound: 0
; FloatMode: 240
; IeeeMode: 1
; LDSByteSize: 0 bytes/workgroup (compile time only)
; SGPRBlocks: 0
; VGPRBlocks: 15
; NumSGPRsForWavesPerEU: 17
; NumVGPRsForWavesPerEU: 256
; NamedBarCnt: 0
; Occupancy: 4
; WaveLimiterHint : 0
; COMPUTE_PGM_RSRC2:SCRATCH_EN: 1
; COMPUTE_PGM_RSRC2:USER_SGPR: 2
; COMPUTE_PGM_RSRC2:TRAP_HANDLER: 0
; COMPUTE_PGM_RSRC2:TGID_X_EN: 1
; COMPUTE_PGM_RSRC2:TGID_Y_EN: 1
; COMPUTE_PGM_RSRC2:TGID_Z_EN: 0
; COMPUTE_PGM_RSRC2:TIDIG_COMP_CNT: 1
	.section	.text._ZN9rocsolver6v33100L18getf2_small_kernelILi39E19rocblas_complex_numIfEiiPS3_EEvT1_T3_lS5_lPS5_llPT2_S5_S5_S7_l,"axG",@progbits,_ZN9rocsolver6v33100L18getf2_small_kernelILi39E19rocblas_complex_numIfEiiPS3_EEvT1_T3_lS5_lPS5_llPT2_S5_S5_S7_l,comdat
	.globl	_ZN9rocsolver6v33100L18getf2_small_kernelILi39E19rocblas_complex_numIfEiiPS3_EEvT1_T3_lS5_lPS5_llPT2_S5_S5_S7_l ; -- Begin function _ZN9rocsolver6v33100L18getf2_small_kernelILi39E19rocblas_complex_numIfEiiPS3_EEvT1_T3_lS5_lPS5_llPT2_S5_S5_S7_l
	.p2align	8
	.type	_ZN9rocsolver6v33100L18getf2_small_kernelILi39E19rocblas_complex_numIfEiiPS3_EEvT1_T3_lS5_lPS5_llPT2_S5_S5_S7_l,@function
_ZN9rocsolver6v33100L18getf2_small_kernelILi39E19rocblas_complex_numIfEiiPS3_EEvT1_T3_lS5_lPS5_llPT2_S5_S5_S7_l: ; @_ZN9rocsolver6v33100L18getf2_small_kernelILi39E19rocblas_complex_numIfEiiPS3_EEvT1_T3_lS5_lPS5_llPT2_S5_S5_S7_l
; %bb.0:
	s_clause 0x1
	s_load_u16 s2, s[0:1], 0x6e
	s_load_b64 s[16:17], s[0:1], 0x48
	s_bfe_u32 s3, ttmp6, 0x40010
	s_bfe_u32 s4, ttmp6, 0x40004
	s_add_co_i32 s3, s3, 1
	s_getreg_b32 s5, hwreg(HW_REG_IB_STS2, 6, 4)
	s_mul_i32 s3, ttmp7, s3
	v_bfe_u32 v86, v0, 10, 10
	s_add_co_i32 s4, s4, s3
	s_cmp_eq_u32 s5, 0
	s_cselect_b32 s3, ttmp7, s4
	s_wait_kmcnt 0x0
	v_mad_u32 v2, s3, s2, v86
	s_mov_b32 s2, exec_lo
	s_delay_alu instid0(VALU_DEP_1)
	v_cmpx_gt_i32_e64 s16, v2
	s_cbranch_execz .LBB76_820
; %bb.1:
	s_load_b128 s[4:7], s[0:1], 0x50
	v_mov_b64_e32 v[4:5], 0
	v_ashrrev_i32_e32 v3, 31, v2
	s_wait_kmcnt 0x0
	s_cmp_eq_u64 s[4:5], 0
	s_cselect_b32 s16, -1, 0
	s_delay_alu instid0(SALU_CYCLE_1)
	s_and_b32 vcc_lo, exec_lo, s16
	s_cbranch_vccnz .LBB76_3
; %bb.2:
	v_mul_u64_e32 v[4:5], s[6:7], v[2:3]
	s_delay_alu instid0(VALU_DEP_1)
	v_lshl_add_u64 v[4:5], v[4:5], 2, s[4:5]
.LBB76_3:
	s_clause 0x2
	s_load_b32 s2, s[0:1], 0x18
	s_load_b128 s[12:15], s[0:1], 0x8
	s_load_b32 s18, s[0:1], 0x0
	v_and_b32_e32 v91, 0x3ff, v0
	s_load_b256 s[4:11], s[0:1], 0x20
	s_delay_alu instid0(VALU_DEP_1) | instskip(SKIP_4) | instid1(VALU_DEP_2)
	v_dual_mov_b32 v85, 0 :: v_dual_lshlrev_b32 v84, 3, v91
	s_wait_kmcnt 0x0
	v_add3_u32 v6, s2, s2, v91
	s_ashr_i32 s3, s2, 31
	v_mul_u64_e32 v[0:1], s[4:5], v[2:3]
	v_add_nc_u32_e32 v8, s2, v6
	s_max_i32 s4, s18, 39
	s_cmp_lt_i32 s18, 2
	s_delay_alu instid0(VALU_DEP_1) | instskip(NEXT) | instid1(VALU_DEP_1)
	v_add_nc_u32_e32 v10, s2, v8
	v_add_nc_u32_e32 v12, s2, v10
	s_delay_alu instid0(VALU_DEP_1) | instskip(NEXT) | instid1(VALU_DEP_1)
	v_add_nc_u32_e32 v14, s2, v12
	v_dual_ashrrev_i32 v9, 31, v8 :: v_dual_add_nc_u32 v16, s2, v14
	s_delay_alu instid0(VALU_DEP_1) | instskip(SKIP_1) | instid1(VALU_DEP_1)
	v_dual_ashrrev_i32 v15, 31, v14 :: v_dual_ashrrev_i32 v17, 31, v16
	v_dual_add_nc_u32 v18, s2, v16 :: v_dual_ashrrev_i32 v11, 31, v10
	v_dual_ashrrev_i32 v13, 31, v12 :: v_dual_add_nc_u32 v20, s2, v18
	v_lshl_add_u64 v[0:1], v[0:1], 3, s[12:13]
	s_delay_alu instid0(VALU_DEP_2) | instskip(NEXT) | instid1(VALU_DEP_2)
	v_add_nc_u32_e32 v22, s2, v20
	v_lshl_add_u64 v[0:1], s[14:15], 3, v[0:1]
	s_delay_alu instid0(VALU_DEP_2) | instskip(NEXT) | instid1(VALU_DEP_2)
	v_add_nc_u32_e32 v24, s2, v22
	v_lshl_add_u64 v[10:11], v[10:11], 3, v[0:1]
	v_add_nc_u64_e32 v[36:37], v[0:1], v[84:85]
	v_lshl_add_u64 v[38:39], v[12:13], 3, v[0:1]
	v_lshl_add_u64 v[44:45], v[14:15], 3, v[0:1]
	v_add_nc_u32_e32 v26, s2, v24
	v_lshl_add_u64 v[16:17], v[16:17], 3, v[0:1]
	s_clause 0x3
	global_load_b64 v[52:53], v[10:11], off
	global_load_b64 v[50:51], v[38:39], off
	;; [unrolled: 1-line block ×4, first 2 shown]
	s_wait_xcnt 0x3
	v_lshl_add_u64 v[10:11], s[2:3], 3, v[36:37]
	v_add_nc_u32_e32 v28, s2, v26
	v_lshl_add_u64 v[8:9], v[8:9], 3, v[0:1]
	v_ashrrev_i32_e32 v21, 31, v20
	s_delay_alu instid0(VALU_DEP_3) | instskip(SKIP_1) | instid1(VALU_DEP_3)
	v_add_nc_u32_e32 v30, s2, v28
	v_ashrrev_i32_e32 v25, 31, v24
	v_lshl_add_u64 v[20:21], v[20:21], 3, v[0:1]
	s_delay_alu instid0(VALU_DEP_3) | instskip(SKIP_1) | instid1(VALU_DEP_2)
	v_dual_ashrrev_i32 v29, 31, v28 :: v_dual_add_nc_u32 v32, s2, v30
	v_ashrrev_i32_e32 v7, 31, v6
	v_dual_ashrrev_i32 v27, 31, v26 :: v_dual_ashrrev_i32 v33, 31, v32
	v_add_nc_u32_e32 v34, s2, v32
	s_delay_alu instid0(VALU_DEP_3)
	v_lshl_add_u64 v[6:7], v[6:7], 3, v[0:1]
	s_clause 0x3
	global_load_b64 v[76:77], v[6:7], off
	global_load_b64 v[74:75], v[8:9], off
	;; [unrolled: 1-line block ×4, first 2 shown]
	v_add_nc_u32_e32 v40, s2, v34
	v_ashrrev_i32_e32 v19, 31, v18
	s_wait_xcnt 0x3
	v_lshl_add_u64 v[6:7], v[24:25], 3, v[0:1]
	s_wait_xcnt 0x0
	v_lshl_add_u64 v[10:11], v[26:27], 3, v[0:1]
	v_lshl_add_u64 v[26:27], v[32:33], 3, v[0:1]
	v_add_nc_u32_e32 v42, s2, v40
	v_lshl_add_u64 v[48:49], v[18:19], 3, v[0:1]
	v_dual_ashrrev_i32 v35, 31, v34 :: v_dual_ashrrev_i32 v41, 31, v40
	s_delay_alu instid0(VALU_DEP_3) | instskip(NEXT) | instid1(VALU_DEP_1)
	v_add_nc_u32_e32 v46, s2, v42
	v_add_nc_u32_e32 v58, s2, v46
	s_delay_alu instid0(VALU_DEP_1) | instskip(NEXT) | instid1(VALU_DEP_1)
	v_add_nc_u32_e32 v44, s2, v58
	v_dual_ashrrev_i32 v23, 31, v22 :: v_dual_add_nc_u32 v8, s2, v44
	s_delay_alu instid0(VALU_DEP_1)
	v_lshl_add_u64 v[22:23], v[22:23], 3, v[0:1]
	s_clause 0x3
	global_load_b64 v[56:57], v[48:49], off
	global_load_b64 v[54:55], v[20:21], off
	;; [unrolled: 1-line block ×4, first 2 shown]
	s_wait_xcnt 0x0
	v_add_nc_u32_e32 v6, s2, v8
	v_lshl_add_u64 v[22:23], v[28:29], 3, v[0:1]
	v_dual_ashrrev_i32 v59, 31, v58 :: v_dual_ashrrev_i32 v9, 31, v8
	s_delay_alu instid0(VALU_DEP_3) | instskip(SKIP_1) | instid1(VALU_DEP_3)
	v_dual_ashrrev_i32 v45, 31, v44 :: v_dual_add_nc_u32 v20, s2, v6
	v_ashrrev_i32_e32 v31, 31, v30
	v_lshl_add_u64 v[8:9], v[8:9], 3, v[0:1]
	s_delay_alu instid0(VALU_DEP_3) | instskip(NEXT) | instid1(VALU_DEP_4)
	v_lshl_add_u64 v[44:45], v[44:45], 3, v[0:1]
	v_add_nc_u32_e32 v48, s2, v20
	s_delay_alu instid0(VALU_DEP_4)
	v_lshl_add_u64 v[24:25], v[30:31], 3, v[0:1]
	s_clause 0x3
	global_load_b64 v[72:73], v[10:11], off
	global_load_b64 v[70:71], v[22:23], off
	;; [unrolled: 1-line block ×4, first 2 shown]
	s_wait_xcnt 0x3
	v_add_nc_u32_e32 v10, s2, v48
	s_wait_xcnt 0x0
	v_lshl_add_u64 v[26:27], v[40:41], 3, v[0:1]
	v_lshl_add_u64 v[22:23], v[34:35], 3, v[0:1]
	v_dual_ashrrev_i32 v7, 31, v6 :: v_dual_ashrrev_i32 v21, 31, v20
	v_add_nc_u32_e32 v24, s2, v10
	v_dual_ashrrev_i32 v43, 31, v42 :: v_dual_ashrrev_i32 v49, 31, v48
	s_delay_alu instid0(VALU_DEP_3) | instskip(NEXT) | instid1(VALU_DEP_3)
	v_lshl_add_u64 v[6:7], v[6:7], 3, v[0:1]
	v_dual_add_nc_u32 v40, s2, v24 :: v_dual_ashrrev_i32 v47, 31, v46
	s_delay_alu instid0(VALU_DEP_3) | instskip(SKIP_1) | instid1(VALU_DEP_3)
	v_lshl_add_u64 v[28:29], v[42:43], 3, v[0:1]
	v_ashrrev_i32_e32 v25, 31, v24
	v_ashrrev_i32_e32 v41, 31, v40
	s_delay_alu instid0(VALU_DEP_4)
	v_lshl_add_u64 v[34:35], v[46:47], 3, v[0:1]
	s_clause 0x3
	global_load_b64 v[68:69], v[22:23], off
	global_load_b64 v[66:67], v[26:27], off
	;; [unrolled: 1-line block ×4, first 2 shown]
	s_wait_xcnt 0x0
	v_add_nc_u32_e32 v34, s2, v40
	v_lshl_add_u64 v[22:23], v[58:59], 3, v[0:1]
	s_clause 0x3
	global_load_b64 v[64:65], v[22:23], off
	global_load_b64 v[62:63], v[44:45], off
	;; [unrolled: 1-line block ×4, first 2 shown]
	v_add_nc_u32_e32 v42, s2, v34
	s_wait_xcnt 0x0
	v_lshl_add_u64 v[6:7], v[20:21], 3, v[0:1]
	v_lshl_add_u64 v[44:45], v[48:49], 3, v[0:1]
	v_lshl_add_u64 v[48:49], v[24:25], 3, v[0:1]
	v_lshl_add_u64 v[40:41], v[40:41], 3, v[0:1]
	v_add_nc_u32_e32 v46, s2, v42
	v_ashrrev_i32_e32 v35, 31, v34
	s_delay_alu instid0(VALU_DEP_2) | instskip(SKIP_1) | instid1(VALU_DEP_3)
	v_add_nc_u32_e32 v8, s2, v46
	v_ashrrev_i32_e32 v11, 31, v10
	v_lshl_add_u64 v[34:35], v[34:35], 3, v[0:1]
	s_delay_alu instid0(VALU_DEP_3) | instskip(NEXT) | instid1(VALU_DEP_3)
	v_add_nc_u32_e32 v20, s2, v8
	v_lshl_add_u64 v[10:11], v[10:11], 3, v[0:1]
	s_clause 0x3
	global_load_b64 v[60:61], v[6:7], off
	global_load_b64 v[58:59], v[44:45], off
	;; [unrolled: 1-line block ×4, first 2 shown]
	v_add_nc_u32_e32 v82, s2, v20
	v_dual_ashrrev_i32 v9, 31, v8 :: v_dual_ashrrev_i32 v47, 31, v46
	s_wait_xcnt 0x2
	s_delay_alu instid0(VALU_DEP_2) | instskip(SKIP_1) | instid1(VALU_DEP_3)
	v_dual_ashrrev_i32 v21, 31, v20 :: v_dual_add_nc_u32 v44, s2, v82
	v_ashrrev_i32_e32 v43, 31, v42
	v_lshl_add_u64 v[92:93], v[46:47], 3, v[0:1]
	v_ashrrev_i32_e32 v83, 31, v82
	s_delay_alu instid0(VALU_DEP_4)
	v_lshl_add_u64 v[96:97], v[20:21], 3, v[0:1]
	v_add_nc_u32_e32 v88, s2, v44
	v_lshl_add_u64 v[42:43], v[42:43], 3, v[0:1]
	s_clause 0x3
	global_load_b64 v[48:49], v[40:41], off
	global_load_b64 v[46:47], v[34:35], off
	;; [unrolled: 1-line block ×4, first 2 shown]
	v_add_nc_u32_e32 v94, s2, v88
	s_wait_xcnt 0x0
	v_lshl_add_u64 v[92:93], v[8:9], 3, v[0:1]
	v_ashrrev_i32_e32 v45, 31, v44
	v_ashrrev_i32_e32 v89, 31, v88
	v_lshl_add_u64 v[98:99], v[82:83], 3, v[0:1]
	v_dual_add_nc_u32 v8, s2, v94 :: v_dual_ashrrev_i32 v95, 31, v94
	s_delay_alu instid0(VALU_DEP_4) | instskip(NEXT) | instid1(VALU_DEP_4)
	v_lshl_add_u64 v[100:101], v[44:45], 3, v[0:1]
	v_lshl_add_u64 v[88:89], v[88:89], 3, v[0:1]
	s_delay_alu instid0(VALU_DEP_3) | instskip(NEXT) | instid1(VALU_DEP_4)
	v_ashrrev_i32_e32 v9, 31, v8
	v_lshl_add_u64 v[94:95], v[94:95], 3, v[0:1]
	s_delay_alu instid0(VALU_DEP_2)
	v_lshl_add_u64 v[102:103], v[8:9], 3, v[0:1]
	s_clause 0x6
	global_load_b64 v[44:45], v[92:93], off
	global_load_b64 v[42:43], v[96:97], off
	;; [unrolled: 1-line block ×7, first 2 shown]
	s_wait_xcnt 0x2
	v_mul_lo_u32 v89, s4, v86
	s_load_b64 s[4:5], s[0:1], 0x40
	s_delay_alu instid0(VALU_DEP_1) | instskip(NEXT) | instid1(VALU_DEP_1)
	v_lshl_add_u32 v88, v89, 3, 0
	v_dual_lshlrev_b32 v89, 3, v89 :: v_dual_add_nc_u32 v84, v88, v84
	s_wait_loadcnt 0x20
	ds_store_b64 v84, v[78:79]
	s_wait_loadcnt_dscnt 0x0
	s_barrier_signal -1
	s_barrier_wait -1
	ds_load_b64 v[86:87], v88
	s_cbranch_scc1 .LBB76_6
; %bb.4:
	v_add3_u32 v84, v89, 0, 8
	v_mov_b32_e32 v85, 0
	s_wait_xcnt 0x0
	s_mov_b32 s1, 1
.LBB76_5:                               ; =>This Inner Loop Header: Depth=1
	ds_load_b64 v[92:93], v84
	s_wait_dscnt 0x1
	v_cmp_gt_f32_e32 vcc_lo, 0, v86
	v_cmp_gt_f32_e64 s0, 0, v87
	s_delay_alu instid0(VALU_DEP_1) | instskip(SKIP_3) | instid1(VALU_DEP_1)
	v_dual_cndmask_b32 v94, v86, -v86, vcc_lo :: v_dual_cndmask_b32 v96, v87, -v87, s0
	s_wait_dscnt 0x0
	v_cmp_gt_f32_e32 vcc_lo, 0, v92
	v_cmp_gt_f32_e64 s0, 0, v93
	v_dual_cndmask_b32 v95, v92, -v92, vcc_lo :: v_dual_cndmask_b32 v97, v93, -v93, s0
	s_delay_alu instid0(VALU_DEP_1) | instskip(NEXT) | instid1(VALU_DEP_1)
	v_pk_add_f32 v[94:95], v[94:95], v[96:97]
	v_cmp_lt_f32_e32 vcc_lo, v94, v95
	v_dual_cndmask_b32 v87, v87, v93 :: v_dual_add_nc_u32 v84, 8, v84
	v_cndmask_b32_e32 v86, v86, v92, vcc_lo
	v_cndmask_b32_e64 v85, v85, s1, vcc_lo
	s_add_co_i32 s1, s1, 1
	s_delay_alu instid0(SALU_CYCLE_1)
	s_cmp_eq_u32 s18, s1
	s_cbranch_scc0 .LBB76_5
.LBB76_6:
	s_wait_dscnt 0x0
	v_cmp_neq_f32_e32 vcc_lo, 0, v86
	s_wait_xcnt 0x0
	v_cmp_neq_f32_e64 s0, 0, v87
	v_dual_mov_b32 v90, 1 :: v_dual_mov_b32 v93, 1
	s_or_b32 s1, vcc_lo, s0
	s_delay_alu instid0(SALU_CYCLE_1)
	s_and_saveexec_b32 s0, s1
	s_cbranch_execz .LBB76_12
; %bb.7:
	v_cmp_ngt_f32_e64 s1, |v86|, |v87|
	s_and_saveexec_b32 s12, s1
	s_delay_alu instid0(SALU_CYCLE_1)
	s_xor_b32 s1, exec_lo, s12
	s_cbranch_execz .LBB76_9
; %bb.8:
	v_div_scale_f32 v84, null, v87, v87, v86
	v_div_scale_f32 v93, vcc_lo, v86, v87, v86
	s_delay_alu instid0(VALU_DEP_2) | instskip(SKIP_1) | instid1(TRANS32_DEP_1)
	v_rcp_f32_e32 v90, v84
	v_nop
	v_fma_f32 v92, -v84, v90, 1.0
	s_delay_alu instid0(VALU_DEP_1) | instskip(NEXT) | instid1(VALU_DEP_1)
	v_fmac_f32_e32 v90, v92, v90
	v_mul_f32_e32 v92, v93, v90
	s_delay_alu instid0(VALU_DEP_1) | instskip(NEXT) | instid1(VALU_DEP_1)
	v_fma_f32 v94, -v84, v92, v93
	v_fmac_f32_e32 v92, v94, v90
	s_delay_alu instid0(VALU_DEP_1) | instskip(NEXT) | instid1(VALU_DEP_1)
	v_fma_f32 v84, -v84, v92, v93
	v_div_fmas_f32 v84, v84, v90, v92
	s_delay_alu instid0(VALU_DEP_1) | instskip(NEXT) | instid1(VALU_DEP_1)
	v_div_fixup_f32 v84, v84, v87, v86
	v_fmac_f32_e32 v87, v86, v84
	s_delay_alu instid0(VALU_DEP_1) | instskip(SKIP_1) | instid1(VALU_DEP_2)
	v_div_scale_f32 v86, null, v87, v87, 1.0
	v_div_scale_f32 v93, vcc_lo, 1.0, v87, 1.0
	v_rcp_f32_e32 v90, v86
	v_nop
	s_delay_alu instid0(TRANS32_DEP_1) | instskip(NEXT) | instid1(VALU_DEP_1)
	v_fma_f32 v92, -v86, v90, 1.0
	v_fmac_f32_e32 v90, v92, v90
	s_delay_alu instid0(VALU_DEP_1) | instskip(NEXT) | instid1(VALU_DEP_1)
	v_mul_f32_e32 v92, v93, v90
	v_fma_f32 v94, -v86, v92, v93
	s_delay_alu instid0(VALU_DEP_1) | instskip(NEXT) | instid1(VALU_DEP_1)
	v_fmac_f32_e32 v92, v94, v90
	v_fma_f32 v86, -v86, v92, v93
	s_delay_alu instid0(VALU_DEP_1) | instskip(NEXT) | instid1(VALU_DEP_1)
	v_div_fmas_f32 v86, v86, v90, v92
	v_div_fixup_f32 v87, v86, v87, 1.0
	s_delay_alu instid0(VALU_DEP_1)
	v_mul_f32_e32 v86, v84, v87
	v_xor_b32_e32 v87, 0x80000000, v87
.LBB76_9:
	s_and_not1_saveexec_b32 s1, s1
	s_cbranch_execz .LBB76_11
; %bb.10:
	s_delay_alu instid0(VALU_DEP_1) | instskip(SKIP_1) | instid1(VALU_DEP_2)
	v_div_scale_f32 v84, null, v86, v86, v87
	v_div_scale_f32 v93, vcc_lo, v87, v86, v87
	v_rcp_f32_e32 v90, v84
	v_nop
	s_delay_alu instid0(TRANS32_DEP_1) | instskip(NEXT) | instid1(VALU_DEP_1)
	v_fma_f32 v92, -v84, v90, 1.0
	v_fmac_f32_e32 v90, v92, v90
	s_delay_alu instid0(VALU_DEP_1) | instskip(NEXT) | instid1(VALU_DEP_1)
	v_mul_f32_e32 v92, v93, v90
	v_fma_f32 v94, -v84, v92, v93
	s_delay_alu instid0(VALU_DEP_1) | instskip(NEXT) | instid1(VALU_DEP_1)
	v_fmac_f32_e32 v92, v94, v90
	v_fma_f32 v84, -v84, v92, v93
	s_delay_alu instid0(VALU_DEP_1) | instskip(NEXT) | instid1(VALU_DEP_1)
	v_div_fmas_f32 v84, v84, v90, v92
	v_div_fixup_f32 v84, v84, v86, v87
	s_delay_alu instid0(VALU_DEP_1) | instskip(NEXT) | instid1(VALU_DEP_1)
	v_fmac_f32_e32 v86, v87, v84
	v_div_scale_f32 v87, null, v86, v86, 1.0
	s_delay_alu instid0(VALU_DEP_1) | instskip(SKIP_1) | instid1(TRANS32_DEP_1)
	v_rcp_f32_e32 v90, v87
	v_nop
	v_fma_f32 v92, -v87, v90, 1.0
	s_delay_alu instid0(VALU_DEP_1) | instskip(SKIP_1) | instid1(VALU_DEP_1)
	v_fmac_f32_e32 v90, v92, v90
	v_div_scale_f32 v92, vcc_lo, 1.0, v86, 1.0
	v_mul_f32_e32 v93, v92, v90
	s_delay_alu instid0(VALU_DEP_1) | instskip(NEXT) | instid1(VALU_DEP_1)
	v_fma_f32 v94, -v87, v93, v92
	v_fmac_f32_e32 v93, v94, v90
	s_delay_alu instid0(VALU_DEP_1) | instskip(NEXT) | instid1(VALU_DEP_1)
	v_fma_f32 v87, -v87, v93, v92
	v_div_fmas_f32 v87, v87, v90, v93
	s_delay_alu instid0(VALU_DEP_1) | instskip(NEXT) | instid1(VALU_DEP_1)
	v_div_fixup_f32 v86, v87, v86, 1.0
	v_mul_f32_e64 v87, v84, -v86
.LBB76_11:
	s_or_b32 exec_lo, exec_lo, s1
	v_dual_mov_b32 v93, 0 :: v_dual_mov_b32 v90, 2
.LBB76_12:
	s_or_b32 exec_lo, exec_lo, s0
	s_delay_alu instid0(SALU_CYCLE_1)
	s_mov_b32 s0, exec_lo
	v_cmpx_ne_u32_e64 v91, v85
	s_xor_b32 s0, exec_lo, s0
	s_cbranch_execz .LBB76_18
; %bb.13:
	s_mov_b32 s1, exec_lo
	v_cmpx_eq_u32_e32 0, v91
	s_cbranch_execz .LBB76_17
; %bb.14:
	v_cmp_ne_u32_e32 vcc_lo, 0, v85
	s_xor_b32 s12, s16, -1
	s_delay_alu instid0(SALU_CYCLE_1) | instskip(NEXT) | instid1(SALU_CYCLE_1)
	s_and_b32 s13, s12, vcc_lo
	s_and_saveexec_b32 s12, s13
	s_cbranch_execz .LBB76_16
; %bb.15:
	v_dual_mov_b32 v94, v85 :: v_dual_ashrrev_i32 v95, 31, v85
	s_delay_alu instid0(VALU_DEP_1)
	v_lshl_add_u64 v[94:95], v[94:95], 2, v[4:5]
	s_clause 0x1
	global_load_b32 v84, v[94:95], off
	global_load_b32 v91, v[4:5], off
	s_wait_loadcnt 0x1
	global_store_b32 v[4:5], v84, off
	s_wait_loadcnt 0x0
	global_store_b32 v[94:95], v91, off
.LBB76_16:
	s_wait_xcnt 0x0
	s_or_b32 exec_lo, exec_lo, s12
	v_mov_b32_e32 v91, v85
.LBB76_17:
	s_or_b32 exec_lo, exec_lo, s1
.LBB76_18:
	s_or_saveexec_b32 s0, s0
	s_delay_alu instid0(VALU_DEP_1)
	v_mov_b32_e32 v92, v91
	s_xor_b32 exec_lo, exec_lo, s0
	s_cbranch_execz .LBB76_20
; %bb.19:
	v_mov_b32_e32 v92, 0
	ds_store_2addr_b64 v88, v[80:81], v[76:77] offset0:1 offset1:2
	ds_store_2addr_b64 v88, v[74:75], v[52:53] offset0:3 offset1:4
	;; [unrolled: 1-line block ×19, first 2 shown]
.LBB76_20:
	s_or_b32 exec_lo, exec_lo, s0
	s_delay_alu instid0(SALU_CYCLE_1)
	s_mov_b32 s0, exec_lo
	s_wait_storecnt_dscnt 0x0
	s_barrier_signal -1
	s_barrier_wait -1
	v_cmpx_lt_i32_e32 0, v92
	s_cbranch_execz .LBB76_22
; %bb.21:
	v_pk_mul_f32 v[94:95], v[86:87], v[78:79] op_sel:[1,1] op_sel_hi:[0,1]
	s_delay_alu instid0(VALU_DEP_1)
	v_pk_fma_f32 v[84:85], v[86:87], v[78:79], v[94:95] op_sel_hi:[1,0,1] neg_lo:[0,0,1] neg_hi:[0,0,1]
	v_pk_fma_f32 v[86:87], v[86:87], v[78:79], v[94:95] op_sel_hi:[1,0,1]
	ds_load_2addr_b64 v[94:97], v88 offset0:1 offset1:2
	v_dual_mov_b32 v78, v84 :: v_dual_mov_b32 v79, v87
	s_wait_dscnt 0x0
	v_pk_mul_f32 v[98:99], v[94:95], v[86:87] op_sel:[0,1]
	s_delay_alu instid0(VALU_DEP_1) | instskip(SKIP_1) | instid1(VALU_DEP_1)
	v_pk_fma_f32 v[100:101], v[94:95], v[84:85], v[98:99] op_sel:[0,0,1] op_sel_hi:[1,1,0] neg_lo:[0,0,1] neg_hi:[0,0,1]
	v_pk_fma_f32 v[94:95], v[94:95], v[84:85], v[98:99] op_sel:[0,0,1] op_sel_hi:[1,0,0]
	v_mov_b32_e32 v101, v95
	v_pk_mul_f32 v[94:95], v[96:97], v[86:87] op_sel:[0,1]
	s_delay_alu instid0(VALU_DEP_1) | instskip(SKIP_1) | instid1(VALU_DEP_1)
	v_pk_fma_f32 v[98:99], v[96:97], v[84:85], v[94:95] op_sel:[0,0,1] op_sel_hi:[1,1,0] neg_lo:[0,0,1] neg_hi:[0,0,1]
	v_pk_fma_f32 v[94:95], v[96:97], v[84:85], v[94:95] op_sel:[0,0,1] op_sel_hi:[1,0,0]
	v_mov_b32_e32 v99, v95
	ds_load_2addr_b64 v[94:97], v88 offset0:3 offset1:4
	v_pk_add_f32 v[80:81], v[80:81], v[100:101] neg_lo:[0,1] neg_hi:[0,1]
	v_pk_add_f32 v[76:77], v[76:77], v[98:99] neg_lo:[0,1] neg_hi:[0,1]
	s_wait_dscnt 0x0
	v_pk_mul_f32 v[98:99], v[94:95], v[86:87] op_sel:[0,1]
	s_delay_alu instid0(VALU_DEP_1) | instskip(SKIP_2) | instid1(VALU_DEP_2)
	v_pk_fma_f32 v[100:101], v[94:95], v[84:85], v[98:99] op_sel:[0,0,1] op_sel_hi:[1,1,0] neg_lo:[0,0,1] neg_hi:[0,0,1]
	v_pk_fma_f32 v[94:95], v[94:95], v[84:85], v[98:99] op_sel:[0,0,1] op_sel_hi:[1,0,0]
	v_dual_mul_f32 v98, v97, v87 :: v_dual_mov_b32 v94, v97
	v_dual_mov_b32 v101, v95 :: v_dual_mov_b32 v95, v96
	s_delay_alu instid0(VALU_DEP_2) | instskip(SKIP_1) | instid1(VALU_DEP_3)
	v_pk_fma_f32 v[98:99], v[96:97], v[78:79], v[98:99] op_sel_hi:[1,1,0] neg_lo:[0,0,1] neg_hi:[0,0,1]
	v_mul_f32_e32 v96, v97, v84
	v_pk_add_f32 v[74:75], v[74:75], v[100:101] neg_lo:[0,1] neg_hi:[0,1]
	s_delay_alu instid0(VALU_DEP_2) | instskip(NEXT) | instid1(VALU_DEP_1)
	v_pk_fma_f32 v[94:95], v[94:95], v[78:79], v[96:97] op_sel_hi:[1,1,0]
	v_mov_b32_e32 v99, v95
	ds_load_2addr_b64 v[94:97], v88 offset0:5 offset1:6
	v_pk_add_f32 v[52:53], v[52:53], v[98:99] neg_lo:[0,1] neg_hi:[0,1]
	s_wait_dscnt 0x0
	v_pk_mul_f32 v[98:99], v[94:95], v[86:87] op_sel:[0,1]
	s_delay_alu instid0(VALU_DEP_1) | instskip(SKIP_1) | instid1(VALU_DEP_1)
	v_pk_fma_f32 v[100:101], v[94:95], v[84:85], v[98:99] op_sel:[0,0,1] op_sel_hi:[1,1,0] neg_lo:[0,0,1] neg_hi:[0,0,1]
	v_pk_fma_f32 v[94:95], v[94:95], v[84:85], v[98:99] op_sel:[0,0,1] op_sel_hi:[1,0,0]
	v_mov_b32_e32 v101, v95
	v_pk_mul_f32 v[94:95], v[96:97], v[86:87] op_sel:[0,1]
	s_delay_alu instid0(VALU_DEP_1) | instskip(SKIP_1) | instid1(VALU_DEP_1)
	v_pk_fma_f32 v[98:99], v[96:97], v[84:85], v[94:95] op_sel:[0,0,1] op_sel_hi:[1,1,0] neg_lo:[0,0,1] neg_hi:[0,0,1]
	v_pk_fma_f32 v[94:95], v[96:97], v[84:85], v[94:95] op_sel:[0,0,1] op_sel_hi:[1,0,0]
	v_mov_b32_e32 v99, v95
	ds_load_2addr_b64 v[94:97], v88 offset0:7 offset1:8
	v_pk_add_f32 v[50:51], v[50:51], v[100:101] neg_lo:[0,1] neg_hi:[0,1]
	v_pk_add_f32 v[14:15], v[14:15], v[98:99] neg_lo:[0,1] neg_hi:[0,1]
	s_wait_dscnt 0x0
	v_pk_mul_f32 v[98:99], v[94:95], v[86:87] op_sel:[0,1]
	s_delay_alu instid0(VALU_DEP_1) | instskip(SKIP_1) | instid1(VALU_DEP_1)
	v_pk_fma_f32 v[100:101], v[94:95], v[84:85], v[98:99] op_sel:[0,0,1] op_sel_hi:[1,1,0] neg_lo:[0,0,1] neg_hi:[0,0,1]
	v_pk_fma_f32 v[94:95], v[94:95], v[84:85], v[98:99] op_sel:[0,0,1] op_sel_hi:[1,0,0]
	v_mov_b32_e32 v101, v95
	v_pk_mul_f32 v[94:95], v[96:97], v[86:87] op_sel:[0,1]
	s_delay_alu instid0(VALU_DEP_1) | instskip(SKIP_1) | instid1(VALU_DEP_1)
	v_pk_fma_f32 v[98:99], v[96:97], v[84:85], v[94:95] op_sel:[0,0,1] op_sel_hi:[1,1,0] neg_lo:[0,0,1] neg_hi:[0,0,1]
	v_pk_fma_f32 v[94:95], v[96:97], v[84:85], v[94:95] op_sel:[0,0,1] op_sel_hi:[1,0,0]
	v_mov_b32_e32 v99, v95
	ds_load_2addr_b64 v[94:97], v88 offset0:9 offset1:10
	v_pk_add_f32 v[12:13], v[12:13], v[100:101] neg_lo:[0,1] neg_hi:[0,1]
	v_pk_add_f32 v[56:57], v[56:57], v[98:99] neg_lo:[0,1] neg_hi:[0,1]
	s_wait_dscnt 0x0
	v_dual_mul_f32 v98, v95, v87 :: v_dual_mul_f32 v100, v95, v84
	s_delay_alu instid0(VALU_DEP_1) | instskip(NEXT) | instid1(VALU_DEP_2)
	v_pk_fma_f32 v[98:99], v[94:95], v[78:79], v[98:99] op_sel_hi:[1,1,0] neg_lo:[0,0,1] neg_hi:[0,0,1]
	v_pk_fma_f32 v[94:95], v[94:95], v[78:79], v[100:101] op_sel:[1,0,0] op_sel_hi:[0,1,0]
	s_delay_alu instid0(VALU_DEP_1) | instskip(SKIP_1) | instid1(VALU_DEP_2)
	v_mov_b32_e32 v99, v95
	v_pk_mul_f32 v[94:95], v[96:97], v[86:87] op_sel:[0,1]
	v_pk_add_f32 v[54:55], v[54:55], v[98:99] neg_lo:[0,1] neg_hi:[0,1]
	s_delay_alu instid0(VALU_DEP_2) | instskip(SKIP_1) | instid1(VALU_DEP_1)
	v_pk_fma_f32 v[98:99], v[96:97], v[84:85], v[94:95] op_sel:[0,0,1] op_sel_hi:[1,1,0] neg_lo:[0,0,1] neg_hi:[0,0,1]
	v_pk_fma_f32 v[94:95], v[96:97], v[84:85], v[94:95] op_sel:[0,0,1] op_sel_hi:[1,0,0]
	v_mov_b32_e32 v99, v95
	ds_load_2addr_b64 v[94:97], v88 offset0:11 offset1:12
	v_pk_add_f32 v[18:19], v[18:19], v[98:99] neg_lo:[0,1] neg_hi:[0,1]
	s_wait_dscnt 0x0
	v_pk_mul_f32 v[98:99], v[94:95], v[86:87] op_sel:[0,1]
	s_delay_alu instid0(VALU_DEP_1) | instskip(SKIP_1) | instid1(VALU_DEP_1)
	v_pk_fma_f32 v[100:101], v[94:95], v[84:85], v[98:99] op_sel:[0,0,1] op_sel_hi:[1,1,0] neg_lo:[0,0,1] neg_hi:[0,0,1]
	v_pk_fma_f32 v[94:95], v[94:95], v[84:85], v[98:99] op_sel:[0,0,1] op_sel_hi:[1,0,0]
	v_mov_b32_e32 v101, v95
	v_pk_mul_f32 v[94:95], v[96:97], v[86:87] op_sel:[0,1]
	s_delay_alu instid0(VALU_DEP_2) | instskip(NEXT) | instid1(VALU_DEP_2)
	v_pk_add_f32 v[16:17], v[16:17], v[100:101] neg_lo:[0,1] neg_hi:[0,1]
	v_pk_fma_f32 v[98:99], v[96:97], v[84:85], v[94:95] op_sel:[0,0,1] op_sel_hi:[1,1,0] neg_lo:[0,0,1] neg_hi:[0,0,1]
	v_pk_fma_f32 v[94:95], v[96:97], v[84:85], v[94:95] op_sel:[0,0,1] op_sel_hi:[1,0,0]
	s_delay_alu instid0(VALU_DEP_1) | instskip(SKIP_4) | instid1(VALU_DEP_1)
	v_mov_b32_e32 v99, v95
	ds_load_2addr_b64 v[94:97], v88 offset0:13 offset1:14
	v_pk_add_f32 v[72:73], v[72:73], v[98:99] neg_lo:[0,1] neg_hi:[0,1]
	s_wait_dscnt 0x0
	v_pk_mul_f32 v[98:99], v[94:95], v[86:87] op_sel:[0,1]
	v_pk_fma_f32 v[100:101], v[94:95], v[84:85], v[98:99] op_sel:[0,0,1] op_sel_hi:[1,1,0] neg_lo:[0,0,1] neg_hi:[0,0,1]
	v_pk_fma_f32 v[94:95], v[94:95], v[84:85], v[98:99] op_sel:[0,0,1] op_sel_hi:[1,0,0]
	v_dual_mul_f32 v98, v97, v87 :: v_dual_mov_b32 v94, v97
	s_delay_alu instid0(VALU_DEP_2) | instskip(NEXT) | instid1(VALU_DEP_2)
	v_dual_mov_b32 v101, v95 :: v_dual_mov_b32 v95, v96
	v_pk_fma_f32 v[98:99], v[96:97], v[78:79], v[98:99] op_sel_hi:[1,1,0] neg_lo:[0,0,1] neg_hi:[0,0,1]
	v_mul_f32_e32 v96, v97, v84
	s_delay_alu instid0(VALU_DEP_3) | instskip(NEXT) | instid1(VALU_DEP_2)
	v_pk_add_f32 v[70:71], v[70:71], v[100:101] neg_lo:[0,1] neg_hi:[0,1]
	v_pk_fma_f32 v[94:95], v[94:95], v[78:79], v[96:97] op_sel_hi:[1,1,0]
	s_delay_alu instid0(VALU_DEP_1) | instskip(SKIP_4) | instid1(VALU_DEP_1)
	v_mov_b32_e32 v99, v95
	ds_load_2addr_b64 v[94:97], v88 offset0:15 offset1:16
	v_pk_add_f32 v[38:39], v[38:39], v[98:99] neg_lo:[0,1] neg_hi:[0,1]
	s_wait_dscnt 0x0
	v_pk_mul_f32 v[98:99], v[94:95], v[86:87] op_sel:[0,1]
	v_pk_fma_f32 v[100:101], v[94:95], v[84:85], v[98:99] op_sel:[0,0,1] op_sel_hi:[1,1,0] neg_lo:[0,0,1] neg_hi:[0,0,1]
	v_pk_fma_f32 v[94:95], v[94:95], v[84:85], v[98:99] op_sel:[0,0,1] op_sel_hi:[1,0,0]
	s_delay_alu instid0(VALU_DEP_1) | instskip(SKIP_1) | instid1(VALU_DEP_1)
	v_mov_b32_e32 v101, v95
	v_pk_mul_f32 v[94:95], v[96:97], v[86:87] op_sel:[0,1]
	v_pk_fma_f32 v[98:99], v[96:97], v[84:85], v[94:95] op_sel:[0,0,1] op_sel_hi:[1,1,0] neg_lo:[0,0,1] neg_hi:[0,0,1]
	v_pk_fma_f32 v[94:95], v[96:97], v[84:85], v[94:95] op_sel:[0,0,1] op_sel_hi:[1,0,0]
	s_delay_alu instid0(VALU_DEP_1)
	v_mov_b32_e32 v99, v95
	ds_load_2addr_b64 v[94:97], v88 offset0:17 offset1:18
	v_pk_add_f32 v[36:37], v[36:37], v[100:101] neg_lo:[0,1] neg_hi:[0,1]
	v_pk_add_f32 v[68:69], v[68:69], v[98:99] neg_lo:[0,1] neg_hi:[0,1]
	s_wait_dscnt 0x0
	v_pk_mul_f32 v[98:99], v[94:95], v[86:87] op_sel:[0,1]
	s_delay_alu instid0(VALU_DEP_1) | instskip(SKIP_1) | instid1(VALU_DEP_1)
	v_pk_fma_f32 v[100:101], v[94:95], v[84:85], v[98:99] op_sel:[0,0,1] op_sel_hi:[1,1,0] neg_lo:[0,0,1] neg_hi:[0,0,1]
	v_pk_fma_f32 v[94:95], v[94:95], v[84:85], v[98:99] op_sel:[0,0,1] op_sel_hi:[1,0,0]
	v_mov_b32_e32 v101, v95
	v_pk_mul_f32 v[94:95], v[96:97], v[86:87] op_sel:[0,1]
	s_delay_alu instid0(VALU_DEP_1) | instskip(SKIP_1) | instid1(VALU_DEP_1)
	v_pk_fma_f32 v[98:99], v[96:97], v[84:85], v[94:95] op_sel:[0,0,1] op_sel_hi:[1,1,0] neg_lo:[0,0,1] neg_hi:[0,0,1]
	v_pk_fma_f32 v[94:95], v[96:97], v[84:85], v[94:95] op_sel:[0,0,1] op_sel_hi:[1,0,0]
	v_mov_b32_e32 v99, v95
	ds_load_2addr_b64 v[94:97], v88 offset0:19 offset1:20
	v_pk_add_f32 v[66:67], v[66:67], v[100:101] neg_lo:[0,1] neg_hi:[0,1]
	v_pk_add_f32 v[32:33], v[32:33], v[98:99] neg_lo:[0,1] neg_hi:[0,1]
	s_wait_dscnt 0x0
	v_dual_mul_f32 v98, v95, v87 :: v_dual_mul_f32 v100, v95, v84
	s_delay_alu instid0(VALU_DEP_1) | instskip(NEXT) | instid1(VALU_DEP_2)
	v_pk_fma_f32 v[98:99], v[94:95], v[78:79], v[98:99] op_sel_hi:[1,1,0] neg_lo:[0,0,1] neg_hi:[0,0,1]
	v_pk_fma_f32 v[94:95], v[94:95], v[78:79], v[100:101] op_sel:[1,0,0] op_sel_hi:[0,1,0]
	s_delay_alu instid0(VALU_DEP_1) | instskip(SKIP_1) | instid1(VALU_DEP_2)
	v_mov_b32_e32 v99, v95
	v_pk_mul_f32 v[94:95], v[96:97], v[86:87] op_sel:[0,1]
	v_pk_add_f32 v[30:31], v[30:31], v[98:99] neg_lo:[0,1] neg_hi:[0,1]
	s_delay_alu instid0(VALU_DEP_2) | instskip(SKIP_1) | instid1(VALU_DEP_1)
	v_pk_fma_f32 v[98:99], v[96:97], v[84:85], v[94:95] op_sel:[0,0,1] op_sel_hi:[1,1,0] neg_lo:[0,0,1] neg_hi:[0,0,1]
	v_pk_fma_f32 v[94:95], v[96:97], v[84:85], v[94:95] op_sel:[0,0,1] op_sel_hi:[1,0,0]
	v_mov_b32_e32 v99, v95
	ds_load_2addr_b64 v[94:97], v88 offset0:21 offset1:22
	v_pk_add_f32 v[64:65], v[64:65], v[98:99] neg_lo:[0,1] neg_hi:[0,1]
	s_wait_dscnt 0x0
	v_pk_mul_f32 v[98:99], v[94:95], v[86:87] op_sel:[0,1]
	s_delay_alu instid0(VALU_DEP_1) | instskip(SKIP_1) | instid1(VALU_DEP_1)
	v_pk_fma_f32 v[100:101], v[94:95], v[84:85], v[98:99] op_sel:[0,0,1] op_sel_hi:[1,1,0] neg_lo:[0,0,1] neg_hi:[0,0,1]
	v_pk_fma_f32 v[94:95], v[94:95], v[84:85], v[98:99] op_sel:[0,0,1] op_sel_hi:[1,0,0]
	v_mov_b32_e32 v101, v95
	v_pk_mul_f32 v[94:95], v[96:97], v[86:87] op_sel:[0,1]
	s_delay_alu instid0(VALU_DEP_2) | instskip(NEXT) | instid1(VALU_DEP_2)
	v_pk_add_f32 v[62:63], v[62:63], v[100:101] neg_lo:[0,1] neg_hi:[0,1]
	v_pk_fma_f32 v[98:99], v[96:97], v[84:85], v[94:95] op_sel:[0,0,1] op_sel_hi:[1,1,0] neg_lo:[0,0,1] neg_hi:[0,0,1]
	v_pk_fma_f32 v[94:95], v[96:97], v[84:85], v[94:95] op_sel:[0,0,1] op_sel_hi:[1,0,0]
	s_delay_alu instid0(VALU_DEP_1) | instskip(SKIP_4) | instid1(VALU_DEP_1)
	v_mov_b32_e32 v99, v95
	ds_load_2addr_b64 v[94:97], v88 offset0:23 offset1:24
	v_pk_add_f32 v[28:29], v[28:29], v[98:99] neg_lo:[0,1] neg_hi:[0,1]
	s_wait_dscnt 0x0
	v_pk_mul_f32 v[98:99], v[94:95], v[86:87] op_sel:[0,1]
	v_pk_fma_f32 v[100:101], v[94:95], v[84:85], v[98:99] op_sel:[0,0,1] op_sel_hi:[1,1,0] neg_lo:[0,0,1] neg_hi:[0,0,1]
	v_pk_fma_f32 v[94:95], v[94:95], v[84:85], v[98:99] op_sel:[0,0,1] op_sel_hi:[1,0,0]
	v_dual_mul_f32 v98, v97, v87 :: v_dual_mov_b32 v94, v97
	s_delay_alu instid0(VALU_DEP_2) | instskip(NEXT) | instid1(VALU_DEP_2)
	v_dual_mov_b32 v101, v95 :: v_dual_mov_b32 v95, v96
	v_pk_fma_f32 v[98:99], v[96:97], v[78:79], v[98:99] op_sel_hi:[1,1,0] neg_lo:[0,0,1] neg_hi:[0,0,1]
	v_mul_f32_e32 v96, v97, v84
	s_delay_alu instid0(VALU_DEP_3) | instskip(NEXT) | instid1(VALU_DEP_2)
	v_pk_add_f32 v[26:27], v[26:27], v[100:101] neg_lo:[0,1] neg_hi:[0,1]
	v_pk_fma_f32 v[94:95], v[94:95], v[78:79], v[96:97] op_sel_hi:[1,1,0]
	s_delay_alu instid0(VALU_DEP_1) | instskip(SKIP_4) | instid1(VALU_DEP_1)
	v_mov_b32_e32 v99, v95
	ds_load_2addr_b64 v[94:97], v88 offset0:25 offset1:26
	v_pk_add_f32 v[60:61], v[60:61], v[98:99] neg_lo:[0,1] neg_hi:[0,1]
	s_wait_dscnt 0x0
	v_pk_mul_f32 v[98:99], v[94:95], v[86:87] op_sel:[0,1]
	v_pk_fma_f32 v[100:101], v[94:95], v[84:85], v[98:99] op_sel:[0,0,1] op_sel_hi:[1,1,0] neg_lo:[0,0,1] neg_hi:[0,0,1]
	v_pk_fma_f32 v[94:95], v[94:95], v[84:85], v[98:99] op_sel:[0,0,1] op_sel_hi:[1,0,0]
	s_delay_alu instid0(VALU_DEP_1) | instskip(SKIP_1) | instid1(VALU_DEP_1)
	v_mov_b32_e32 v101, v95
	v_pk_mul_f32 v[94:95], v[96:97], v[86:87] op_sel:[0,1]
	v_pk_fma_f32 v[98:99], v[96:97], v[84:85], v[94:95] op_sel:[0,0,1] op_sel_hi:[1,1,0] neg_lo:[0,0,1] neg_hi:[0,0,1]
	v_pk_fma_f32 v[94:95], v[96:97], v[84:85], v[94:95] op_sel:[0,0,1] op_sel_hi:[1,0,0]
	s_delay_alu instid0(VALU_DEP_1)
	v_mov_b32_e32 v99, v95
	ds_load_2addr_b64 v[94:97], v88 offset0:27 offset1:28
	v_pk_add_f32 v[58:59], v[58:59], v[100:101] neg_lo:[0,1] neg_hi:[0,1]
	v_pk_add_f32 v[24:25], v[24:25], v[98:99] neg_lo:[0,1] neg_hi:[0,1]
	s_wait_dscnt 0x0
	v_pk_mul_f32 v[98:99], v[94:95], v[86:87] op_sel:[0,1]
	s_delay_alu instid0(VALU_DEP_1) | instskip(SKIP_1) | instid1(VALU_DEP_1)
	v_pk_fma_f32 v[100:101], v[94:95], v[84:85], v[98:99] op_sel:[0,0,1] op_sel_hi:[1,1,0] neg_lo:[0,0,1] neg_hi:[0,0,1]
	v_pk_fma_f32 v[94:95], v[94:95], v[84:85], v[98:99] op_sel:[0,0,1] op_sel_hi:[1,0,0]
	v_mov_b32_e32 v101, v95
	v_pk_mul_f32 v[94:95], v[96:97], v[86:87] op_sel:[0,1]
	s_delay_alu instid0(VALU_DEP_1) | instskip(SKIP_1) | instid1(VALU_DEP_1)
	v_pk_fma_f32 v[98:99], v[96:97], v[84:85], v[94:95] op_sel:[0,0,1] op_sel_hi:[1,1,0] neg_lo:[0,0,1] neg_hi:[0,0,1]
	v_pk_fma_f32 v[94:95], v[96:97], v[84:85], v[94:95] op_sel:[0,0,1] op_sel_hi:[1,0,0]
	v_mov_b32_e32 v99, v95
	ds_load_2addr_b64 v[94:97], v88 offset0:29 offset1:30
	v_pk_add_f32 v[22:23], v[22:23], v[100:101] neg_lo:[0,1] neg_hi:[0,1]
	v_pk_add_f32 v[48:49], v[48:49], v[98:99] neg_lo:[0,1] neg_hi:[0,1]
	s_wait_dscnt 0x0
	v_dual_mul_f32 v98, v95, v87 :: v_dual_mul_f32 v100, v95, v84
	s_delay_alu instid0(VALU_DEP_1) | instskip(NEXT) | instid1(VALU_DEP_2)
	v_pk_fma_f32 v[98:99], v[94:95], v[78:79], v[98:99] op_sel_hi:[1,1,0] neg_lo:[0,0,1] neg_hi:[0,0,1]
	v_pk_fma_f32 v[94:95], v[94:95], v[78:79], v[100:101] op_sel:[1,0,0] op_sel_hi:[0,1,0]
	s_delay_alu instid0(VALU_DEP_1) | instskip(SKIP_1) | instid1(VALU_DEP_2)
	v_mov_b32_e32 v99, v95
	v_pk_mul_f32 v[94:95], v[96:97], v[86:87] op_sel:[0,1]
	v_pk_add_f32 v[46:47], v[46:47], v[98:99] neg_lo:[0,1] neg_hi:[0,1]
	s_delay_alu instid0(VALU_DEP_2) | instskip(SKIP_1) | instid1(VALU_DEP_1)
	v_pk_fma_f32 v[98:99], v[96:97], v[84:85], v[94:95] op_sel:[0,0,1] op_sel_hi:[1,1,0] neg_lo:[0,0,1] neg_hi:[0,0,1]
	v_pk_fma_f32 v[94:95], v[96:97], v[84:85], v[94:95] op_sel:[0,0,1] op_sel_hi:[1,0,0]
	v_mov_b32_e32 v99, v95
	ds_load_2addr_b64 v[94:97], v88 offset0:31 offset1:32
	v_pk_add_f32 v[10:11], v[10:11], v[98:99] neg_lo:[0,1] neg_hi:[0,1]
	s_wait_dscnt 0x0
	v_pk_mul_f32 v[98:99], v[94:95], v[86:87] op_sel:[0,1]
	s_delay_alu instid0(VALU_DEP_1) | instskip(SKIP_1) | instid1(VALU_DEP_1)
	v_pk_fma_f32 v[100:101], v[94:95], v[84:85], v[98:99] op_sel:[0,0,1] op_sel_hi:[1,1,0] neg_lo:[0,0,1] neg_hi:[0,0,1]
	v_pk_fma_f32 v[94:95], v[94:95], v[84:85], v[98:99] op_sel:[0,0,1] op_sel_hi:[1,0,0]
	v_mov_b32_e32 v101, v95
	v_pk_mul_f32 v[94:95], v[96:97], v[86:87] op_sel:[0,1]
	s_delay_alu instid0(VALU_DEP_2) | instskip(NEXT) | instid1(VALU_DEP_2)
	v_pk_add_f32 v[6:7], v[6:7], v[100:101] neg_lo:[0,1] neg_hi:[0,1]
	v_pk_fma_f32 v[98:99], v[96:97], v[84:85], v[94:95] op_sel:[0,0,1] op_sel_hi:[1,1,0] neg_lo:[0,0,1] neg_hi:[0,0,1]
	v_pk_fma_f32 v[94:95], v[96:97], v[84:85], v[94:95] op_sel:[0,0,1] op_sel_hi:[1,0,0]
	s_delay_alu instid0(VALU_DEP_1) | instskip(SKIP_4) | instid1(VALU_DEP_1)
	v_mov_b32_e32 v99, v95
	ds_load_2addr_b64 v[94:97], v88 offset0:33 offset1:34
	v_pk_add_f32 v[44:45], v[44:45], v[98:99] neg_lo:[0,1] neg_hi:[0,1]
	s_wait_dscnt 0x0
	v_pk_mul_f32 v[98:99], v[94:95], v[86:87] op_sel:[0,1]
	v_pk_fma_f32 v[100:101], v[94:95], v[84:85], v[98:99] op_sel:[0,0,1] op_sel_hi:[1,1,0] neg_lo:[0,0,1] neg_hi:[0,0,1]
	v_pk_fma_f32 v[94:95], v[94:95], v[84:85], v[98:99] op_sel:[0,0,1] op_sel_hi:[1,0,0]
	v_dual_mul_f32 v98, v97, v87 :: v_dual_mov_b32 v94, v97
	s_delay_alu instid0(VALU_DEP_2) | instskip(NEXT) | instid1(VALU_DEP_2)
	v_dual_mov_b32 v101, v95 :: v_dual_mov_b32 v95, v96
	v_pk_fma_f32 v[98:99], v[96:97], v[78:79], v[98:99] op_sel_hi:[1,1,0] neg_lo:[0,0,1] neg_hi:[0,0,1]
	v_mul_f32_e32 v96, v97, v84
	s_delay_alu instid0(VALU_DEP_3) | instskip(NEXT) | instid1(VALU_DEP_2)
	v_pk_add_f32 v[42:43], v[42:43], v[100:101] neg_lo:[0,1] neg_hi:[0,1]
	v_pk_fma_f32 v[94:95], v[94:95], v[78:79], v[96:97] op_sel_hi:[1,1,0]
	s_delay_alu instid0(VALU_DEP_1) | instskip(SKIP_4) | instid1(VALU_DEP_1)
	v_mov_b32_e32 v99, v95
	ds_load_2addr_b64 v[94:97], v88 offset0:35 offset1:36
	v_pk_add_f32 v[8:9], v[8:9], v[98:99] neg_lo:[0,1] neg_hi:[0,1]
	s_wait_dscnt 0x0
	v_pk_mul_f32 v[98:99], v[94:95], v[86:87] op_sel:[0,1]
	v_pk_fma_f32 v[100:101], v[94:95], v[84:85], v[98:99] op_sel:[0,0,1] op_sel_hi:[1,1,0] neg_lo:[0,0,1] neg_hi:[0,0,1]
	v_pk_fma_f32 v[94:95], v[94:95], v[84:85], v[98:99] op_sel:[0,0,1] op_sel_hi:[1,0,0]
	s_delay_alu instid0(VALU_DEP_1) | instskip(SKIP_1) | instid1(VALU_DEP_1)
	v_mov_b32_e32 v101, v95
	v_pk_mul_f32 v[94:95], v[96:97], v[86:87] op_sel:[0,1]
	v_pk_fma_f32 v[98:99], v[96:97], v[84:85], v[94:95] op_sel:[0,0,1] op_sel_hi:[1,1,0] neg_lo:[0,0,1] neg_hi:[0,0,1]
	v_pk_fma_f32 v[94:95], v[96:97], v[84:85], v[94:95] op_sel:[0,0,1] op_sel_hi:[1,0,0]
	s_delay_alu instid0(VALU_DEP_1)
	v_mov_b32_e32 v99, v95
	ds_load_2addr_b64 v[94:97], v88 offset0:37 offset1:38
	v_pk_add_f32 v[40:41], v[40:41], v[100:101] neg_lo:[0,1] neg_hi:[0,1]
	v_pk_add_f32 v[34:35], v[34:35], v[98:99] neg_lo:[0,1] neg_hi:[0,1]
	s_wait_dscnt 0x0
	v_pk_mul_f32 v[98:99], v[94:95], v[86:87] op_sel:[0,1]
	v_pk_mul_f32 v[86:87], v[96:97], v[86:87] op_sel:[0,1]
	s_delay_alu instid0(VALU_DEP_2) | instskip(SKIP_1) | instid1(VALU_DEP_1)
	v_pk_fma_f32 v[100:101], v[94:95], v[84:85], v[98:99] op_sel:[0,0,1] op_sel_hi:[1,1,0] neg_lo:[0,0,1] neg_hi:[0,0,1]
	v_pk_fma_f32 v[94:95], v[94:95], v[84:85], v[98:99] op_sel:[0,0,1] op_sel_hi:[1,0,0]
	v_mov_b32_e32 v101, v95
	s_delay_alu instid0(VALU_DEP_4) | instskip(SKIP_1) | instid1(VALU_DEP_1)
	v_pk_fma_f32 v[94:95], v[96:97], v[84:85], v[86:87] op_sel:[0,0,1] op_sel_hi:[1,1,0] neg_lo:[0,0,1] neg_hi:[0,0,1]
	v_pk_fma_f32 v[84:85], v[96:97], v[84:85], v[86:87] op_sel:[0,0,1] op_sel_hi:[1,0,0]
	v_mov_b32_e32 v95, v85
	s_delay_alu instid0(VALU_DEP_4) | instskip(NEXT) | instid1(VALU_DEP_2)
	v_pk_add_f32 v[20:21], v[20:21], v[100:101] neg_lo:[0,1] neg_hi:[0,1]
	v_pk_add_f32 v[82:83], v[82:83], v[94:95] neg_lo:[0,1] neg_hi:[0,1]
.LBB76_22:
	s_or_b32 exec_lo, exec_lo, s0
	v_lshl_add_u32 v84, v92, 3, v88
	s_barrier_signal -1
	s_barrier_wait -1
	ds_store_b64 v84, v[80:81]
	s_wait_dscnt 0x0
	s_barrier_signal -1
	s_barrier_wait -1
	ds_load_b64 v[86:87], v88 offset:8
	v_mov_b32_e32 v84, 1
	s_cmp_lt_i32 s18, 3
	s_cbranch_scc1 .LBB76_25
; %bb.23:
	v_add3_u32 v85, v89, 0, 16
	v_mov_b32_e32 v84, 1
	s_mov_b32 s0, 2
.LBB76_24:                              ; =>This Inner Loop Header: Depth=1
	ds_load_b64 v[94:95], v85
	s_wait_dscnt 0x1
	v_cmp_gt_f32_e32 vcc_lo, 0, v86
	v_cndmask_b32_e64 v96, v86, -v86, vcc_lo
	v_cmp_gt_f32_e32 vcc_lo, 0, v87
	v_cndmask_b32_e64 v98, v87, -v87, vcc_lo
	s_wait_dscnt 0x0
	v_cmp_gt_f32_e32 vcc_lo, 0, v94
	v_cndmask_b32_e64 v97, v94, -v94, vcc_lo
	v_cmp_gt_f32_e32 vcc_lo, 0, v95
	v_cndmask_b32_e64 v99, v95, -v95, vcc_lo
	s_delay_alu instid0(VALU_DEP_1) | instskip(NEXT) | instid1(VALU_DEP_1)
	v_pk_add_f32 v[96:97], v[96:97], v[98:99]
	v_cmp_lt_f32_e32 vcc_lo, v96, v97
	v_dual_add_nc_u32 v85, 8, v85 :: v_dual_cndmask_b32 v87, v87, v95, vcc_lo
	v_cndmask_b32_e32 v86, v86, v94, vcc_lo
	v_cndmask_b32_e64 v84, v84, s0, vcc_lo
	s_add_co_i32 s0, s0, 1
	s_delay_alu instid0(SALU_CYCLE_1)
	s_cmp_lg_u32 s18, s0
	s_cbranch_scc1 .LBB76_24
.LBB76_25:
	s_wait_dscnt 0x0
	v_cmp_neq_f32_e32 vcc_lo, 0, v86
	v_cmp_neq_f32_e64 s0, 0, v87
	s_or_b32 s1, vcc_lo, s0
	s_delay_alu instid0(SALU_CYCLE_1)
	s_and_saveexec_b32 s0, s1
	s_cbranch_execz .LBB76_31
; %bb.26:
	v_cmp_ngt_f32_e64 s1, |v86|, |v87|
	s_and_saveexec_b32 s12, s1
	s_delay_alu instid0(SALU_CYCLE_1)
	s_xor_b32 s1, exec_lo, s12
	s_cbranch_execz .LBB76_28
; %bb.27:
	v_div_scale_f32 v85, null, v87, v87, v86
	v_div_scale_f32 v95, vcc_lo, v86, v87, v86
	s_delay_alu instid0(VALU_DEP_2) | instskip(SKIP_1) | instid1(TRANS32_DEP_1)
	v_rcp_f32_e32 v90, v85
	v_nop
	v_fma_f32 v94, -v85, v90, 1.0
	s_delay_alu instid0(VALU_DEP_1) | instskip(NEXT) | instid1(VALU_DEP_1)
	v_fmac_f32_e32 v90, v94, v90
	v_mul_f32_e32 v94, v95, v90
	s_delay_alu instid0(VALU_DEP_1) | instskip(NEXT) | instid1(VALU_DEP_1)
	v_fma_f32 v96, -v85, v94, v95
	v_fmac_f32_e32 v94, v96, v90
	s_delay_alu instid0(VALU_DEP_1) | instskip(NEXT) | instid1(VALU_DEP_1)
	v_fma_f32 v85, -v85, v94, v95
	v_div_fmas_f32 v85, v85, v90, v94
	s_delay_alu instid0(VALU_DEP_1) | instskip(NEXT) | instid1(VALU_DEP_1)
	v_div_fixup_f32 v85, v85, v87, v86
	v_fmac_f32_e32 v87, v86, v85
	s_delay_alu instid0(VALU_DEP_1) | instskip(SKIP_1) | instid1(VALU_DEP_2)
	v_div_scale_f32 v86, null, v87, v87, 1.0
	v_div_scale_f32 v95, vcc_lo, 1.0, v87, 1.0
	v_rcp_f32_e32 v90, v86
	v_nop
	s_delay_alu instid0(TRANS32_DEP_1) | instskip(NEXT) | instid1(VALU_DEP_1)
	v_fma_f32 v94, -v86, v90, 1.0
	v_fmac_f32_e32 v90, v94, v90
	s_delay_alu instid0(VALU_DEP_1) | instskip(NEXT) | instid1(VALU_DEP_1)
	v_mul_f32_e32 v94, v95, v90
	v_fma_f32 v96, -v86, v94, v95
	s_delay_alu instid0(VALU_DEP_1) | instskip(NEXT) | instid1(VALU_DEP_1)
	v_fmac_f32_e32 v94, v96, v90
	v_fma_f32 v86, -v86, v94, v95
	s_delay_alu instid0(VALU_DEP_1) | instskip(NEXT) | instid1(VALU_DEP_1)
	v_div_fmas_f32 v86, v86, v90, v94
	v_div_fixup_f32 v87, v86, v87, 1.0
	s_delay_alu instid0(VALU_DEP_1)
	v_mul_f32_e32 v86, v85, v87
	v_xor_b32_e32 v87, 0x80000000, v87
.LBB76_28:
	s_and_not1_saveexec_b32 s1, s1
	s_cbranch_execz .LBB76_30
; %bb.29:
	s_delay_alu instid0(VALU_DEP_1) | instskip(SKIP_1) | instid1(VALU_DEP_2)
	v_div_scale_f32 v85, null, v86, v86, v87
	v_div_scale_f32 v95, vcc_lo, v87, v86, v87
	v_rcp_f32_e32 v90, v85
	v_nop
	s_delay_alu instid0(TRANS32_DEP_1) | instskip(NEXT) | instid1(VALU_DEP_1)
	v_fma_f32 v94, -v85, v90, 1.0
	v_fmac_f32_e32 v90, v94, v90
	s_delay_alu instid0(VALU_DEP_1) | instskip(NEXT) | instid1(VALU_DEP_1)
	v_mul_f32_e32 v94, v95, v90
	v_fma_f32 v96, -v85, v94, v95
	s_delay_alu instid0(VALU_DEP_1) | instskip(NEXT) | instid1(VALU_DEP_1)
	v_fmac_f32_e32 v94, v96, v90
	v_fma_f32 v85, -v85, v94, v95
	s_delay_alu instid0(VALU_DEP_1) | instskip(NEXT) | instid1(VALU_DEP_1)
	v_div_fmas_f32 v85, v85, v90, v94
	v_div_fixup_f32 v85, v85, v86, v87
	s_delay_alu instid0(VALU_DEP_1) | instskip(NEXT) | instid1(VALU_DEP_1)
	v_fmac_f32_e32 v86, v87, v85
	v_div_scale_f32 v87, null, v86, v86, 1.0
	s_delay_alu instid0(VALU_DEP_1) | instskip(SKIP_1) | instid1(TRANS32_DEP_1)
	v_rcp_f32_e32 v90, v87
	v_nop
	v_fma_f32 v94, -v87, v90, 1.0
	s_delay_alu instid0(VALU_DEP_1) | instskip(SKIP_1) | instid1(VALU_DEP_1)
	v_fmac_f32_e32 v90, v94, v90
	v_div_scale_f32 v94, vcc_lo, 1.0, v86, 1.0
	v_mul_f32_e32 v95, v94, v90
	s_delay_alu instid0(VALU_DEP_1) | instskip(NEXT) | instid1(VALU_DEP_1)
	v_fma_f32 v96, -v87, v95, v94
	v_fmac_f32_e32 v95, v96, v90
	s_delay_alu instid0(VALU_DEP_1) | instskip(NEXT) | instid1(VALU_DEP_1)
	v_fma_f32 v87, -v87, v95, v94
	v_div_fmas_f32 v87, v87, v90, v95
	s_delay_alu instid0(VALU_DEP_1) | instskip(NEXT) | instid1(VALU_DEP_1)
	v_div_fixup_f32 v86, v87, v86, 1.0
	v_mul_f32_e64 v87, v85, -v86
.LBB76_30:
	s_or_b32 exec_lo, exec_lo, s1
	v_mov_b32_e32 v90, v93
.LBB76_31:
	s_or_b32 exec_lo, exec_lo, s0
	s_delay_alu instid0(SALU_CYCLE_1)
	s_mov_b32 s0, exec_lo
	v_cmpx_ne_u32_e64 v92, v84
	s_xor_b32 s0, exec_lo, s0
	s_cbranch_execz .LBB76_37
; %bb.32:
	s_mov_b32 s1, exec_lo
	v_cmpx_eq_u32_e32 1, v92
	s_cbranch_execz .LBB76_36
; %bb.33:
	v_cmp_ne_u32_e32 vcc_lo, 1, v84
	s_xor_b32 s12, s16, -1
	s_delay_alu instid0(SALU_CYCLE_1) | instskip(NEXT) | instid1(SALU_CYCLE_1)
	s_and_b32 s13, s12, vcc_lo
	s_and_saveexec_b32 s12, s13
	s_cbranch_execz .LBB76_35
; %bb.34:
	v_ashrrev_i32_e32 v85, 31, v84
	s_delay_alu instid0(VALU_DEP_1)
	v_lshl_add_u64 v[92:93], v[84:85], 2, v[4:5]
	s_clause 0x1
	global_load_b32 v85, v[92:93], off
	global_load_b32 v91, v[4:5], off offset:4
	s_wait_loadcnt 0x1
	global_store_b32 v[4:5], v85, off offset:4
	s_wait_loadcnt 0x0
	global_store_b32 v[92:93], v91, off
.LBB76_35:
	s_wait_xcnt 0x0
	s_or_b32 exec_lo, exec_lo, s12
	v_dual_mov_b32 v92, v84 :: v_dual_mov_b32 v91, v84
.LBB76_36:
	s_or_b32 exec_lo, exec_lo, s1
.LBB76_37:
	s_and_not1_saveexec_b32 s0, s0
	s_cbranch_execz .LBB76_39
; %bb.38:
	v_dual_mov_b32 v84, v76 :: v_dual_mov_b32 v85, v77
	v_dual_mov_b32 v92, v74 :: v_dual_mov_b32 v93, v75
	ds_store_2addr_b64 v88, v[84:85], v[92:93] offset0:2 offset1:3
	v_dual_mov_b32 v84, v52 :: v_dual_mov_b32 v85, v53
	v_dual_mov_b32 v92, v50 :: v_dual_mov_b32 v93, v51
	ds_store_2addr_b64 v88, v[84:85], v[92:93] offset0:4 offset1:5
	;; [unrolled: 3-line block ×18, first 2 shown]
	ds_store_b64 v88, v[82:83] offset:304
	v_mov_b32_e32 v92, 1
.LBB76_39:
	s_or_b32 exec_lo, exec_lo, s0
	s_delay_alu instid0(SALU_CYCLE_1)
	s_mov_b32 s0, exec_lo
	s_wait_storecnt_dscnt 0x0
	s_barrier_signal -1
	s_barrier_wait -1
	v_cmpx_lt_i32_e32 1, v92
	s_cbranch_execz .LBB76_41
; %bb.40:
	v_pk_mul_f32 v[94:95], v[86:87], v[80:81] op_sel:[1,1] op_sel_hi:[0,1]
	s_delay_alu instid0(VALU_DEP_1)
	v_pk_fma_f32 v[84:85], v[86:87], v[80:81], v[94:95] op_sel_hi:[1,0,1] neg_lo:[0,0,1] neg_hi:[0,0,1]
	v_pk_fma_f32 v[86:87], v[86:87], v[80:81], v[94:95] op_sel_hi:[1,0,1]
	ds_load_2addr_b64 v[94:97], v88 offset0:2 offset1:3
	v_dual_mov_b32 v80, v84 :: v_dual_mov_b32 v81, v87
	s_wait_dscnt 0x0
	v_pk_mul_f32 v[98:99], v[94:95], v[86:87] op_sel:[0,1]
	s_delay_alu instid0(VALU_DEP_1) | instskip(SKIP_1) | instid1(VALU_DEP_1)
	v_pk_fma_f32 v[100:101], v[94:95], v[84:85], v[98:99] op_sel:[0,0,1] op_sel_hi:[1,1,0] neg_lo:[0,0,1] neg_hi:[0,0,1]
	v_pk_fma_f32 v[94:95], v[94:95], v[84:85], v[98:99] op_sel:[0,0,1] op_sel_hi:[1,0,0]
	v_mov_b32_e32 v101, v95
	v_pk_mul_f32 v[94:95], v[96:97], v[86:87] op_sel:[0,1]
	s_delay_alu instid0(VALU_DEP_1) | instskip(SKIP_1) | instid1(VALU_DEP_1)
	v_pk_fma_f32 v[98:99], v[96:97], v[84:85], v[94:95] op_sel:[0,0,1] op_sel_hi:[1,1,0] neg_lo:[0,0,1] neg_hi:[0,0,1]
	v_pk_fma_f32 v[94:95], v[96:97], v[84:85], v[94:95] op_sel:[0,0,1] op_sel_hi:[1,0,0]
	v_mov_b32_e32 v99, v95
	ds_load_2addr_b64 v[94:97], v88 offset0:4 offset1:5
	v_pk_add_f32 v[76:77], v[76:77], v[100:101] neg_lo:[0,1] neg_hi:[0,1]
	v_pk_add_f32 v[74:75], v[74:75], v[98:99] neg_lo:[0,1] neg_hi:[0,1]
	s_wait_dscnt 0x0
	v_pk_mul_f32 v[98:99], v[94:95], v[86:87] op_sel:[0,1]
	s_delay_alu instid0(VALU_DEP_1) | instskip(SKIP_2) | instid1(VALU_DEP_2)
	v_pk_fma_f32 v[100:101], v[94:95], v[84:85], v[98:99] op_sel:[0,0,1] op_sel_hi:[1,1,0] neg_lo:[0,0,1] neg_hi:[0,0,1]
	v_pk_fma_f32 v[94:95], v[94:95], v[84:85], v[98:99] op_sel:[0,0,1] op_sel_hi:[1,0,0]
	v_dual_mul_f32 v98, v97, v87 :: v_dual_mov_b32 v94, v97
	v_dual_mov_b32 v101, v95 :: v_dual_mov_b32 v95, v96
	s_delay_alu instid0(VALU_DEP_2) | instskip(SKIP_1) | instid1(VALU_DEP_3)
	v_pk_fma_f32 v[98:99], v[96:97], v[80:81], v[98:99] op_sel_hi:[1,1,0] neg_lo:[0,0,1] neg_hi:[0,0,1]
	v_mul_f32_e32 v96, v97, v84
	v_pk_add_f32 v[52:53], v[52:53], v[100:101] neg_lo:[0,1] neg_hi:[0,1]
	s_delay_alu instid0(VALU_DEP_2) | instskip(NEXT) | instid1(VALU_DEP_1)
	v_pk_fma_f32 v[94:95], v[94:95], v[80:81], v[96:97] op_sel_hi:[1,1,0]
	v_mov_b32_e32 v99, v95
	ds_load_2addr_b64 v[94:97], v88 offset0:6 offset1:7
	v_pk_add_f32 v[50:51], v[50:51], v[98:99] neg_lo:[0,1] neg_hi:[0,1]
	s_wait_dscnt 0x0
	v_pk_mul_f32 v[98:99], v[94:95], v[86:87] op_sel:[0,1]
	s_delay_alu instid0(VALU_DEP_1) | instskip(SKIP_1) | instid1(VALU_DEP_1)
	v_pk_fma_f32 v[100:101], v[94:95], v[84:85], v[98:99] op_sel:[0,0,1] op_sel_hi:[1,1,0] neg_lo:[0,0,1] neg_hi:[0,0,1]
	v_pk_fma_f32 v[94:95], v[94:95], v[84:85], v[98:99] op_sel:[0,0,1] op_sel_hi:[1,0,0]
	v_mov_b32_e32 v101, v95
	v_pk_mul_f32 v[94:95], v[96:97], v[86:87] op_sel:[0,1]
	s_delay_alu instid0(VALU_DEP_1) | instskip(SKIP_1) | instid1(VALU_DEP_1)
	v_pk_fma_f32 v[98:99], v[96:97], v[84:85], v[94:95] op_sel:[0,0,1] op_sel_hi:[1,1,0] neg_lo:[0,0,1] neg_hi:[0,0,1]
	v_pk_fma_f32 v[94:95], v[96:97], v[84:85], v[94:95] op_sel:[0,0,1] op_sel_hi:[1,0,0]
	v_mov_b32_e32 v99, v95
	ds_load_2addr_b64 v[94:97], v88 offset0:8 offset1:9
	v_pk_add_f32 v[14:15], v[14:15], v[100:101] neg_lo:[0,1] neg_hi:[0,1]
	v_pk_add_f32 v[12:13], v[12:13], v[98:99] neg_lo:[0,1] neg_hi:[0,1]
	s_wait_dscnt 0x0
	v_pk_mul_f32 v[98:99], v[94:95], v[86:87] op_sel:[0,1]
	s_delay_alu instid0(VALU_DEP_1) | instskip(SKIP_1) | instid1(VALU_DEP_1)
	v_pk_fma_f32 v[100:101], v[94:95], v[84:85], v[98:99] op_sel:[0,0,1] op_sel_hi:[1,1,0] neg_lo:[0,0,1] neg_hi:[0,0,1]
	v_pk_fma_f32 v[94:95], v[94:95], v[84:85], v[98:99] op_sel:[0,0,1] op_sel_hi:[1,0,0]
	v_mov_b32_e32 v101, v95
	v_pk_mul_f32 v[94:95], v[96:97], v[86:87] op_sel:[0,1]
	s_delay_alu instid0(VALU_DEP_1) | instskip(SKIP_1) | instid1(VALU_DEP_1)
	v_pk_fma_f32 v[98:99], v[96:97], v[84:85], v[94:95] op_sel:[0,0,1] op_sel_hi:[1,1,0] neg_lo:[0,0,1] neg_hi:[0,0,1]
	v_pk_fma_f32 v[94:95], v[96:97], v[84:85], v[94:95] op_sel:[0,0,1] op_sel_hi:[1,0,0]
	v_mov_b32_e32 v99, v95
	ds_load_2addr_b64 v[94:97], v88 offset0:10 offset1:11
	v_pk_add_f32 v[56:57], v[56:57], v[100:101] neg_lo:[0,1] neg_hi:[0,1]
	v_pk_add_f32 v[54:55], v[54:55], v[98:99] neg_lo:[0,1] neg_hi:[0,1]
	s_wait_dscnt 0x0
	v_dual_mul_f32 v98, v95, v87 :: v_dual_mul_f32 v100, v95, v84
	s_delay_alu instid0(VALU_DEP_1) | instskip(NEXT) | instid1(VALU_DEP_2)
	v_pk_fma_f32 v[98:99], v[94:95], v[80:81], v[98:99] op_sel_hi:[1,1,0] neg_lo:[0,0,1] neg_hi:[0,0,1]
	v_pk_fma_f32 v[94:95], v[94:95], v[80:81], v[100:101] op_sel:[1,0,0] op_sel_hi:[0,1,0]
	s_delay_alu instid0(VALU_DEP_1) | instskip(SKIP_1) | instid1(VALU_DEP_2)
	v_mov_b32_e32 v99, v95
	v_pk_mul_f32 v[94:95], v[96:97], v[86:87] op_sel:[0,1]
	v_pk_add_f32 v[18:19], v[18:19], v[98:99] neg_lo:[0,1] neg_hi:[0,1]
	s_delay_alu instid0(VALU_DEP_2) | instskip(SKIP_1) | instid1(VALU_DEP_1)
	v_pk_fma_f32 v[98:99], v[96:97], v[84:85], v[94:95] op_sel:[0,0,1] op_sel_hi:[1,1,0] neg_lo:[0,0,1] neg_hi:[0,0,1]
	v_pk_fma_f32 v[94:95], v[96:97], v[84:85], v[94:95] op_sel:[0,0,1] op_sel_hi:[1,0,0]
	v_mov_b32_e32 v99, v95
	ds_load_2addr_b64 v[94:97], v88 offset0:12 offset1:13
	v_pk_add_f32 v[16:17], v[16:17], v[98:99] neg_lo:[0,1] neg_hi:[0,1]
	s_wait_dscnt 0x0
	v_pk_mul_f32 v[98:99], v[94:95], v[86:87] op_sel:[0,1]
	s_delay_alu instid0(VALU_DEP_1) | instskip(SKIP_1) | instid1(VALU_DEP_1)
	v_pk_fma_f32 v[100:101], v[94:95], v[84:85], v[98:99] op_sel:[0,0,1] op_sel_hi:[1,1,0] neg_lo:[0,0,1] neg_hi:[0,0,1]
	v_pk_fma_f32 v[94:95], v[94:95], v[84:85], v[98:99] op_sel:[0,0,1] op_sel_hi:[1,0,0]
	v_mov_b32_e32 v101, v95
	v_pk_mul_f32 v[94:95], v[96:97], v[86:87] op_sel:[0,1]
	s_delay_alu instid0(VALU_DEP_2) | instskip(NEXT) | instid1(VALU_DEP_2)
	v_pk_add_f32 v[72:73], v[72:73], v[100:101] neg_lo:[0,1] neg_hi:[0,1]
	v_pk_fma_f32 v[98:99], v[96:97], v[84:85], v[94:95] op_sel:[0,0,1] op_sel_hi:[1,1,0] neg_lo:[0,0,1] neg_hi:[0,0,1]
	v_pk_fma_f32 v[94:95], v[96:97], v[84:85], v[94:95] op_sel:[0,0,1] op_sel_hi:[1,0,0]
	s_delay_alu instid0(VALU_DEP_1) | instskip(SKIP_4) | instid1(VALU_DEP_1)
	v_mov_b32_e32 v99, v95
	ds_load_2addr_b64 v[94:97], v88 offset0:14 offset1:15
	v_pk_add_f32 v[70:71], v[70:71], v[98:99] neg_lo:[0,1] neg_hi:[0,1]
	s_wait_dscnt 0x0
	v_pk_mul_f32 v[98:99], v[94:95], v[86:87] op_sel:[0,1]
	v_pk_fma_f32 v[100:101], v[94:95], v[84:85], v[98:99] op_sel:[0,0,1] op_sel_hi:[1,1,0] neg_lo:[0,0,1] neg_hi:[0,0,1]
	v_pk_fma_f32 v[94:95], v[94:95], v[84:85], v[98:99] op_sel:[0,0,1] op_sel_hi:[1,0,0]
	v_dual_mul_f32 v98, v97, v87 :: v_dual_mov_b32 v94, v97
	s_delay_alu instid0(VALU_DEP_2) | instskip(NEXT) | instid1(VALU_DEP_2)
	v_dual_mov_b32 v101, v95 :: v_dual_mov_b32 v95, v96
	v_pk_fma_f32 v[98:99], v[96:97], v[80:81], v[98:99] op_sel_hi:[1,1,0] neg_lo:[0,0,1] neg_hi:[0,0,1]
	v_mul_f32_e32 v96, v97, v84
	s_delay_alu instid0(VALU_DEP_3) | instskip(NEXT) | instid1(VALU_DEP_2)
	v_pk_add_f32 v[38:39], v[38:39], v[100:101] neg_lo:[0,1] neg_hi:[0,1]
	v_pk_fma_f32 v[94:95], v[94:95], v[80:81], v[96:97] op_sel_hi:[1,1,0]
	s_delay_alu instid0(VALU_DEP_1) | instskip(SKIP_4) | instid1(VALU_DEP_1)
	v_mov_b32_e32 v99, v95
	ds_load_2addr_b64 v[94:97], v88 offset0:16 offset1:17
	v_pk_add_f32 v[36:37], v[36:37], v[98:99] neg_lo:[0,1] neg_hi:[0,1]
	s_wait_dscnt 0x0
	v_pk_mul_f32 v[98:99], v[94:95], v[86:87] op_sel:[0,1]
	v_pk_fma_f32 v[100:101], v[94:95], v[84:85], v[98:99] op_sel:[0,0,1] op_sel_hi:[1,1,0] neg_lo:[0,0,1] neg_hi:[0,0,1]
	v_pk_fma_f32 v[94:95], v[94:95], v[84:85], v[98:99] op_sel:[0,0,1] op_sel_hi:[1,0,0]
	s_delay_alu instid0(VALU_DEP_1) | instskip(SKIP_1) | instid1(VALU_DEP_1)
	v_mov_b32_e32 v101, v95
	v_pk_mul_f32 v[94:95], v[96:97], v[86:87] op_sel:[0,1]
	v_pk_fma_f32 v[98:99], v[96:97], v[84:85], v[94:95] op_sel:[0,0,1] op_sel_hi:[1,1,0] neg_lo:[0,0,1] neg_hi:[0,0,1]
	v_pk_fma_f32 v[94:95], v[96:97], v[84:85], v[94:95] op_sel:[0,0,1] op_sel_hi:[1,0,0]
	s_delay_alu instid0(VALU_DEP_1)
	v_mov_b32_e32 v99, v95
	ds_load_2addr_b64 v[94:97], v88 offset0:18 offset1:19
	v_pk_add_f32 v[68:69], v[68:69], v[100:101] neg_lo:[0,1] neg_hi:[0,1]
	v_pk_add_f32 v[66:67], v[66:67], v[98:99] neg_lo:[0,1] neg_hi:[0,1]
	s_wait_dscnt 0x0
	v_pk_mul_f32 v[98:99], v[94:95], v[86:87] op_sel:[0,1]
	s_delay_alu instid0(VALU_DEP_1) | instskip(SKIP_1) | instid1(VALU_DEP_1)
	v_pk_fma_f32 v[100:101], v[94:95], v[84:85], v[98:99] op_sel:[0,0,1] op_sel_hi:[1,1,0] neg_lo:[0,0,1] neg_hi:[0,0,1]
	v_pk_fma_f32 v[94:95], v[94:95], v[84:85], v[98:99] op_sel:[0,0,1] op_sel_hi:[1,0,0]
	v_mov_b32_e32 v101, v95
	v_pk_mul_f32 v[94:95], v[96:97], v[86:87] op_sel:[0,1]
	s_delay_alu instid0(VALU_DEP_1) | instskip(SKIP_1) | instid1(VALU_DEP_1)
	v_pk_fma_f32 v[98:99], v[96:97], v[84:85], v[94:95] op_sel:[0,0,1] op_sel_hi:[1,1,0] neg_lo:[0,0,1] neg_hi:[0,0,1]
	v_pk_fma_f32 v[94:95], v[96:97], v[84:85], v[94:95] op_sel:[0,0,1] op_sel_hi:[1,0,0]
	v_mov_b32_e32 v99, v95
	ds_load_2addr_b64 v[94:97], v88 offset0:20 offset1:21
	v_pk_add_f32 v[32:33], v[32:33], v[100:101] neg_lo:[0,1] neg_hi:[0,1]
	v_pk_add_f32 v[30:31], v[30:31], v[98:99] neg_lo:[0,1] neg_hi:[0,1]
	s_wait_dscnt 0x0
	v_dual_mul_f32 v98, v95, v87 :: v_dual_mul_f32 v100, v95, v84
	s_delay_alu instid0(VALU_DEP_1) | instskip(NEXT) | instid1(VALU_DEP_2)
	v_pk_fma_f32 v[98:99], v[94:95], v[80:81], v[98:99] op_sel_hi:[1,1,0] neg_lo:[0,0,1] neg_hi:[0,0,1]
	v_pk_fma_f32 v[94:95], v[94:95], v[80:81], v[100:101] op_sel:[1,0,0] op_sel_hi:[0,1,0]
	s_delay_alu instid0(VALU_DEP_1) | instskip(SKIP_1) | instid1(VALU_DEP_2)
	v_mov_b32_e32 v99, v95
	v_pk_mul_f32 v[94:95], v[96:97], v[86:87] op_sel:[0,1]
	v_pk_add_f32 v[64:65], v[64:65], v[98:99] neg_lo:[0,1] neg_hi:[0,1]
	s_delay_alu instid0(VALU_DEP_2) | instskip(SKIP_1) | instid1(VALU_DEP_1)
	v_pk_fma_f32 v[98:99], v[96:97], v[84:85], v[94:95] op_sel:[0,0,1] op_sel_hi:[1,1,0] neg_lo:[0,0,1] neg_hi:[0,0,1]
	v_pk_fma_f32 v[94:95], v[96:97], v[84:85], v[94:95] op_sel:[0,0,1] op_sel_hi:[1,0,0]
	v_mov_b32_e32 v99, v95
	ds_load_2addr_b64 v[94:97], v88 offset0:22 offset1:23
	v_pk_add_f32 v[62:63], v[62:63], v[98:99] neg_lo:[0,1] neg_hi:[0,1]
	s_wait_dscnt 0x0
	v_pk_mul_f32 v[98:99], v[94:95], v[86:87] op_sel:[0,1]
	s_delay_alu instid0(VALU_DEP_1) | instskip(SKIP_1) | instid1(VALU_DEP_1)
	v_pk_fma_f32 v[100:101], v[94:95], v[84:85], v[98:99] op_sel:[0,0,1] op_sel_hi:[1,1,0] neg_lo:[0,0,1] neg_hi:[0,0,1]
	v_pk_fma_f32 v[94:95], v[94:95], v[84:85], v[98:99] op_sel:[0,0,1] op_sel_hi:[1,0,0]
	v_mov_b32_e32 v101, v95
	v_pk_mul_f32 v[94:95], v[96:97], v[86:87] op_sel:[0,1]
	s_delay_alu instid0(VALU_DEP_2) | instskip(NEXT) | instid1(VALU_DEP_2)
	v_pk_add_f32 v[28:29], v[28:29], v[100:101] neg_lo:[0,1] neg_hi:[0,1]
	v_pk_fma_f32 v[98:99], v[96:97], v[84:85], v[94:95] op_sel:[0,0,1] op_sel_hi:[1,1,0] neg_lo:[0,0,1] neg_hi:[0,0,1]
	v_pk_fma_f32 v[94:95], v[96:97], v[84:85], v[94:95] op_sel:[0,0,1] op_sel_hi:[1,0,0]
	s_delay_alu instid0(VALU_DEP_1) | instskip(SKIP_4) | instid1(VALU_DEP_1)
	v_mov_b32_e32 v99, v95
	ds_load_2addr_b64 v[94:97], v88 offset0:24 offset1:25
	v_pk_add_f32 v[26:27], v[26:27], v[98:99] neg_lo:[0,1] neg_hi:[0,1]
	s_wait_dscnt 0x0
	v_pk_mul_f32 v[98:99], v[94:95], v[86:87] op_sel:[0,1]
	v_pk_fma_f32 v[100:101], v[94:95], v[84:85], v[98:99] op_sel:[0,0,1] op_sel_hi:[1,1,0] neg_lo:[0,0,1] neg_hi:[0,0,1]
	v_pk_fma_f32 v[94:95], v[94:95], v[84:85], v[98:99] op_sel:[0,0,1] op_sel_hi:[1,0,0]
	v_dual_mul_f32 v98, v97, v87 :: v_dual_mov_b32 v94, v97
	s_delay_alu instid0(VALU_DEP_2) | instskip(NEXT) | instid1(VALU_DEP_2)
	v_dual_mov_b32 v101, v95 :: v_dual_mov_b32 v95, v96
	v_pk_fma_f32 v[98:99], v[96:97], v[80:81], v[98:99] op_sel_hi:[1,1,0] neg_lo:[0,0,1] neg_hi:[0,0,1]
	v_mul_f32_e32 v96, v97, v84
	s_delay_alu instid0(VALU_DEP_3) | instskip(NEXT) | instid1(VALU_DEP_2)
	v_pk_add_f32 v[60:61], v[60:61], v[100:101] neg_lo:[0,1] neg_hi:[0,1]
	v_pk_fma_f32 v[94:95], v[94:95], v[80:81], v[96:97] op_sel_hi:[1,1,0]
	s_delay_alu instid0(VALU_DEP_1) | instskip(SKIP_4) | instid1(VALU_DEP_1)
	v_mov_b32_e32 v99, v95
	ds_load_2addr_b64 v[94:97], v88 offset0:26 offset1:27
	v_pk_add_f32 v[58:59], v[58:59], v[98:99] neg_lo:[0,1] neg_hi:[0,1]
	s_wait_dscnt 0x0
	v_pk_mul_f32 v[98:99], v[94:95], v[86:87] op_sel:[0,1]
	v_pk_fma_f32 v[100:101], v[94:95], v[84:85], v[98:99] op_sel:[0,0,1] op_sel_hi:[1,1,0] neg_lo:[0,0,1] neg_hi:[0,0,1]
	v_pk_fma_f32 v[94:95], v[94:95], v[84:85], v[98:99] op_sel:[0,0,1] op_sel_hi:[1,0,0]
	s_delay_alu instid0(VALU_DEP_1) | instskip(SKIP_1) | instid1(VALU_DEP_1)
	v_mov_b32_e32 v101, v95
	v_pk_mul_f32 v[94:95], v[96:97], v[86:87] op_sel:[0,1]
	v_pk_fma_f32 v[98:99], v[96:97], v[84:85], v[94:95] op_sel:[0,0,1] op_sel_hi:[1,1,0] neg_lo:[0,0,1] neg_hi:[0,0,1]
	v_pk_fma_f32 v[94:95], v[96:97], v[84:85], v[94:95] op_sel:[0,0,1] op_sel_hi:[1,0,0]
	s_delay_alu instid0(VALU_DEP_1)
	v_mov_b32_e32 v99, v95
	ds_load_2addr_b64 v[94:97], v88 offset0:28 offset1:29
	v_pk_add_f32 v[24:25], v[24:25], v[100:101] neg_lo:[0,1] neg_hi:[0,1]
	v_pk_add_f32 v[22:23], v[22:23], v[98:99] neg_lo:[0,1] neg_hi:[0,1]
	s_wait_dscnt 0x0
	v_pk_mul_f32 v[98:99], v[94:95], v[86:87] op_sel:[0,1]
	s_delay_alu instid0(VALU_DEP_1) | instskip(SKIP_1) | instid1(VALU_DEP_1)
	v_pk_fma_f32 v[100:101], v[94:95], v[84:85], v[98:99] op_sel:[0,0,1] op_sel_hi:[1,1,0] neg_lo:[0,0,1] neg_hi:[0,0,1]
	v_pk_fma_f32 v[94:95], v[94:95], v[84:85], v[98:99] op_sel:[0,0,1] op_sel_hi:[1,0,0]
	v_mov_b32_e32 v101, v95
	v_pk_mul_f32 v[94:95], v[96:97], v[86:87] op_sel:[0,1]
	s_delay_alu instid0(VALU_DEP_1) | instskip(SKIP_1) | instid1(VALU_DEP_1)
	v_pk_fma_f32 v[98:99], v[96:97], v[84:85], v[94:95] op_sel:[0,0,1] op_sel_hi:[1,1,0] neg_lo:[0,0,1] neg_hi:[0,0,1]
	v_pk_fma_f32 v[94:95], v[96:97], v[84:85], v[94:95] op_sel:[0,0,1] op_sel_hi:[1,0,0]
	v_mov_b32_e32 v99, v95
	ds_load_2addr_b64 v[94:97], v88 offset0:30 offset1:31
	v_pk_add_f32 v[48:49], v[48:49], v[100:101] neg_lo:[0,1] neg_hi:[0,1]
	v_pk_add_f32 v[46:47], v[46:47], v[98:99] neg_lo:[0,1] neg_hi:[0,1]
	s_wait_dscnt 0x0
	v_dual_mul_f32 v98, v95, v87 :: v_dual_mul_f32 v100, v95, v84
	s_delay_alu instid0(VALU_DEP_1) | instskip(NEXT) | instid1(VALU_DEP_2)
	v_pk_fma_f32 v[98:99], v[94:95], v[80:81], v[98:99] op_sel_hi:[1,1,0] neg_lo:[0,0,1] neg_hi:[0,0,1]
	v_pk_fma_f32 v[94:95], v[94:95], v[80:81], v[100:101] op_sel:[1,0,0] op_sel_hi:[0,1,0]
	s_delay_alu instid0(VALU_DEP_1) | instskip(SKIP_1) | instid1(VALU_DEP_2)
	v_mov_b32_e32 v99, v95
	v_pk_mul_f32 v[94:95], v[96:97], v[86:87] op_sel:[0,1]
	v_pk_add_f32 v[10:11], v[10:11], v[98:99] neg_lo:[0,1] neg_hi:[0,1]
	s_delay_alu instid0(VALU_DEP_2) | instskip(SKIP_1) | instid1(VALU_DEP_1)
	v_pk_fma_f32 v[98:99], v[96:97], v[84:85], v[94:95] op_sel:[0,0,1] op_sel_hi:[1,1,0] neg_lo:[0,0,1] neg_hi:[0,0,1]
	v_pk_fma_f32 v[94:95], v[96:97], v[84:85], v[94:95] op_sel:[0,0,1] op_sel_hi:[1,0,0]
	v_mov_b32_e32 v99, v95
	ds_load_2addr_b64 v[94:97], v88 offset0:32 offset1:33
	v_pk_add_f32 v[6:7], v[6:7], v[98:99] neg_lo:[0,1] neg_hi:[0,1]
	s_wait_dscnt 0x0
	v_pk_mul_f32 v[98:99], v[94:95], v[86:87] op_sel:[0,1]
	s_delay_alu instid0(VALU_DEP_1) | instskip(SKIP_1) | instid1(VALU_DEP_1)
	v_pk_fma_f32 v[100:101], v[94:95], v[84:85], v[98:99] op_sel:[0,0,1] op_sel_hi:[1,1,0] neg_lo:[0,0,1] neg_hi:[0,0,1]
	v_pk_fma_f32 v[94:95], v[94:95], v[84:85], v[98:99] op_sel:[0,0,1] op_sel_hi:[1,0,0]
	v_mov_b32_e32 v101, v95
	v_pk_mul_f32 v[94:95], v[96:97], v[86:87] op_sel:[0,1]
	s_delay_alu instid0(VALU_DEP_2) | instskip(NEXT) | instid1(VALU_DEP_2)
	v_pk_add_f32 v[44:45], v[44:45], v[100:101] neg_lo:[0,1] neg_hi:[0,1]
	v_pk_fma_f32 v[98:99], v[96:97], v[84:85], v[94:95] op_sel:[0,0,1] op_sel_hi:[1,1,0] neg_lo:[0,0,1] neg_hi:[0,0,1]
	v_pk_fma_f32 v[94:95], v[96:97], v[84:85], v[94:95] op_sel:[0,0,1] op_sel_hi:[1,0,0]
	s_delay_alu instid0(VALU_DEP_1) | instskip(SKIP_4) | instid1(VALU_DEP_1)
	v_mov_b32_e32 v99, v95
	ds_load_2addr_b64 v[94:97], v88 offset0:34 offset1:35
	v_pk_add_f32 v[42:43], v[42:43], v[98:99] neg_lo:[0,1] neg_hi:[0,1]
	s_wait_dscnt 0x0
	v_pk_mul_f32 v[98:99], v[94:95], v[86:87] op_sel:[0,1]
	v_pk_fma_f32 v[100:101], v[94:95], v[84:85], v[98:99] op_sel:[0,0,1] op_sel_hi:[1,1,0] neg_lo:[0,0,1] neg_hi:[0,0,1]
	v_pk_fma_f32 v[94:95], v[94:95], v[84:85], v[98:99] op_sel:[0,0,1] op_sel_hi:[1,0,0]
	v_dual_mul_f32 v98, v97, v87 :: v_dual_mov_b32 v94, v97
	s_delay_alu instid0(VALU_DEP_2) | instskip(NEXT) | instid1(VALU_DEP_2)
	v_dual_mov_b32 v101, v95 :: v_dual_mov_b32 v95, v96
	v_pk_fma_f32 v[98:99], v[96:97], v[80:81], v[98:99] op_sel_hi:[1,1,0] neg_lo:[0,0,1] neg_hi:[0,0,1]
	v_mul_f32_e32 v96, v97, v84
	s_delay_alu instid0(VALU_DEP_3) | instskip(NEXT) | instid1(VALU_DEP_2)
	v_pk_add_f32 v[8:9], v[8:9], v[100:101] neg_lo:[0,1] neg_hi:[0,1]
	v_pk_fma_f32 v[94:95], v[94:95], v[80:81], v[96:97] op_sel_hi:[1,1,0]
	s_delay_alu instid0(VALU_DEP_1) | instskip(SKIP_4) | instid1(VALU_DEP_1)
	v_mov_b32_e32 v99, v95
	ds_load_2addr_b64 v[94:97], v88 offset0:36 offset1:37
	v_pk_add_f32 v[40:41], v[40:41], v[98:99] neg_lo:[0,1] neg_hi:[0,1]
	s_wait_dscnt 0x0
	v_pk_mul_f32 v[98:99], v[94:95], v[86:87] op_sel:[0,1]
	v_pk_fma_f32 v[100:101], v[94:95], v[84:85], v[98:99] op_sel:[0,0,1] op_sel_hi:[1,1,0] neg_lo:[0,0,1] neg_hi:[0,0,1]
	v_pk_fma_f32 v[94:95], v[94:95], v[84:85], v[98:99] op_sel:[0,0,1] op_sel_hi:[1,0,0]
	s_delay_alu instid0(VALU_DEP_1) | instskip(SKIP_1) | instid1(VALU_DEP_1)
	v_mov_b32_e32 v101, v95
	v_pk_mul_f32 v[94:95], v[96:97], v[86:87] op_sel:[0,1]
	v_pk_fma_f32 v[98:99], v[96:97], v[84:85], v[94:95] op_sel:[0,0,1] op_sel_hi:[1,1,0] neg_lo:[0,0,1] neg_hi:[0,0,1]
	v_pk_fma_f32 v[94:95], v[96:97], v[84:85], v[94:95] op_sel:[0,0,1] op_sel_hi:[1,0,0]
	s_delay_alu instid0(VALU_DEP_1)
	v_mov_b32_e32 v99, v95
	ds_load_b64 v[94:95], v88 offset:304
	v_pk_add_f32 v[34:35], v[34:35], v[100:101] neg_lo:[0,1] neg_hi:[0,1]
	v_pk_add_f32 v[20:21], v[20:21], v[98:99] neg_lo:[0,1] neg_hi:[0,1]
	s_wait_dscnt 0x0
	v_pk_mul_f32 v[86:87], v[94:95], v[86:87] op_sel:[0,1]
	s_delay_alu instid0(VALU_DEP_1) | instskip(SKIP_1) | instid1(VALU_DEP_1)
	v_pk_fma_f32 v[96:97], v[94:95], v[84:85], v[86:87] op_sel:[0,0,1] op_sel_hi:[1,1,0] neg_lo:[0,0,1] neg_hi:[0,0,1]
	v_pk_fma_f32 v[84:85], v[94:95], v[84:85], v[86:87] op_sel:[0,0,1] op_sel_hi:[1,0,0]
	v_mov_b32_e32 v97, v85
	s_delay_alu instid0(VALU_DEP_1)
	v_pk_add_f32 v[82:83], v[82:83], v[96:97] neg_lo:[0,1] neg_hi:[0,1]
.LBB76_41:
	s_or_b32 exec_lo, exec_lo, s0
	v_lshl_add_u32 v84, v92, 3, v88
	s_barrier_signal -1
	s_barrier_wait -1
	ds_store_b64 v84, v[76:77]
	s_wait_dscnt 0x0
	s_barrier_signal -1
	s_barrier_wait -1
	ds_load_b64 v[86:87], v88 offset:16
	v_mov_b32_e32 v84, 2
	s_cmp_lt_i32 s18, 4
	s_mov_b32 s0, 3
	s_cbranch_scc1 .LBB76_44
; %bb.42:
	v_add3_u32 v85, v89, 0, 24
	v_mov_b32_e32 v84, 2
.LBB76_43:                              ; =>This Inner Loop Header: Depth=1
	ds_load_b64 v[94:95], v85
	s_wait_dscnt 0x1
	v_cmp_gt_f32_e32 vcc_lo, 0, v86
	v_cndmask_b32_e64 v96, v86, -v86, vcc_lo
	v_cmp_gt_f32_e32 vcc_lo, 0, v87
	v_cndmask_b32_e64 v98, v87, -v87, vcc_lo
	s_wait_dscnt 0x0
	v_cmp_gt_f32_e32 vcc_lo, 0, v94
	v_cndmask_b32_e64 v97, v94, -v94, vcc_lo
	v_cmp_gt_f32_e32 vcc_lo, 0, v95
	v_cndmask_b32_e64 v99, v95, -v95, vcc_lo
	s_delay_alu instid0(VALU_DEP_1) | instskip(NEXT) | instid1(VALU_DEP_1)
	v_pk_add_f32 v[96:97], v[96:97], v[98:99]
	v_cmp_lt_f32_e32 vcc_lo, v96, v97
	v_dual_add_nc_u32 v85, 8, v85 :: v_dual_cndmask_b32 v87, v87, v95, vcc_lo
	v_cndmask_b32_e32 v86, v86, v94, vcc_lo
	v_cndmask_b32_e64 v84, v84, s0, vcc_lo
	s_add_co_i32 s0, s0, 1
	s_delay_alu instid0(SALU_CYCLE_1)
	s_cmp_lg_u32 s18, s0
	s_cbranch_scc1 .LBB76_43
.LBB76_44:
	s_wait_dscnt 0x0
	v_cmp_eq_f32_e32 vcc_lo, 0, v86
	v_cmp_eq_f32_e64 s0, 0, v87
	s_and_b32 s0, vcc_lo, s0
	s_delay_alu instid0(SALU_CYCLE_1) | instskip(NEXT) | instid1(SALU_CYCLE_1)
	s_and_saveexec_b32 s1, s0
	s_xor_b32 s0, exec_lo, s1
; %bb.45:
	v_cmp_ne_u32_e32 vcc_lo, 0, v90
	v_cndmask_b32_e32 v90, 3, v90, vcc_lo
; %bb.46:
	s_and_not1_saveexec_b32 s0, s0
	s_cbranch_execz .LBB76_52
; %bb.47:
	v_cmp_ngt_f32_e64 s1, |v86|, |v87|
	s_and_saveexec_b32 s12, s1
	s_delay_alu instid0(SALU_CYCLE_1)
	s_xor_b32 s1, exec_lo, s12
	s_cbranch_execz .LBB76_49
; %bb.48:
	v_div_scale_f32 v85, null, v87, v87, v86
	v_div_scale_f32 v95, vcc_lo, v86, v87, v86
	s_delay_alu instid0(VALU_DEP_2) | instskip(SKIP_1) | instid1(TRANS32_DEP_1)
	v_rcp_f32_e32 v93, v85
	v_nop
	v_fma_f32 v94, -v85, v93, 1.0
	s_delay_alu instid0(VALU_DEP_1) | instskip(NEXT) | instid1(VALU_DEP_1)
	v_fmac_f32_e32 v93, v94, v93
	v_mul_f32_e32 v94, v95, v93
	s_delay_alu instid0(VALU_DEP_1) | instskip(NEXT) | instid1(VALU_DEP_1)
	v_fma_f32 v96, -v85, v94, v95
	v_fmac_f32_e32 v94, v96, v93
	s_delay_alu instid0(VALU_DEP_1) | instskip(NEXT) | instid1(VALU_DEP_1)
	v_fma_f32 v85, -v85, v94, v95
	v_div_fmas_f32 v85, v85, v93, v94
	s_delay_alu instid0(VALU_DEP_1) | instskip(NEXT) | instid1(VALU_DEP_1)
	v_div_fixup_f32 v85, v85, v87, v86
	v_fmac_f32_e32 v87, v86, v85
	s_delay_alu instid0(VALU_DEP_1) | instskip(SKIP_1) | instid1(VALU_DEP_2)
	v_div_scale_f32 v86, null, v87, v87, 1.0
	v_div_scale_f32 v95, vcc_lo, 1.0, v87, 1.0
	v_rcp_f32_e32 v93, v86
	v_nop
	s_delay_alu instid0(TRANS32_DEP_1) | instskip(NEXT) | instid1(VALU_DEP_1)
	v_fma_f32 v94, -v86, v93, 1.0
	v_fmac_f32_e32 v93, v94, v93
	s_delay_alu instid0(VALU_DEP_1) | instskip(NEXT) | instid1(VALU_DEP_1)
	v_mul_f32_e32 v94, v95, v93
	v_fma_f32 v96, -v86, v94, v95
	s_delay_alu instid0(VALU_DEP_1) | instskip(NEXT) | instid1(VALU_DEP_1)
	v_fmac_f32_e32 v94, v96, v93
	v_fma_f32 v86, -v86, v94, v95
	s_delay_alu instid0(VALU_DEP_1) | instskip(NEXT) | instid1(VALU_DEP_1)
	v_div_fmas_f32 v86, v86, v93, v94
	v_div_fixup_f32 v87, v86, v87, 1.0
	s_delay_alu instid0(VALU_DEP_1)
	v_mul_f32_e32 v86, v85, v87
	v_xor_b32_e32 v87, 0x80000000, v87
.LBB76_49:
	s_and_not1_saveexec_b32 s1, s1
	s_cbranch_execz .LBB76_51
; %bb.50:
	s_delay_alu instid0(VALU_DEP_1) | instskip(SKIP_1) | instid1(VALU_DEP_2)
	v_div_scale_f32 v85, null, v86, v86, v87
	v_div_scale_f32 v95, vcc_lo, v87, v86, v87
	v_rcp_f32_e32 v93, v85
	v_nop
	s_delay_alu instid0(TRANS32_DEP_1) | instskip(NEXT) | instid1(VALU_DEP_1)
	v_fma_f32 v94, -v85, v93, 1.0
	v_fmac_f32_e32 v93, v94, v93
	s_delay_alu instid0(VALU_DEP_1) | instskip(NEXT) | instid1(VALU_DEP_1)
	v_mul_f32_e32 v94, v95, v93
	v_fma_f32 v96, -v85, v94, v95
	s_delay_alu instid0(VALU_DEP_1) | instskip(NEXT) | instid1(VALU_DEP_1)
	v_fmac_f32_e32 v94, v96, v93
	v_fma_f32 v85, -v85, v94, v95
	s_delay_alu instid0(VALU_DEP_1) | instskip(NEXT) | instid1(VALU_DEP_1)
	v_div_fmas_f32 v85, v85, v93, v94
	v_div_fixup_f32 v85, v85, v86, v87
	s_delay_alu instid0(VALU_DEP_1) | instskip(NEXT) | instid1(VALU_DEP_1)
	v_fmac_f32_e32 v86, v87, v85
	v_div_scale_f32 v87, null, v86, v86, 1.0
	s_delay_alu instid0(VALU_DEP_1) | instskip(SKIP_1) | instid1(TRANS32_DEP_1)
	v_rcp_f32_e32 v93, v87
	v_nop
	v_fma_f32 v94, -v87, v93, 1.0
	s_delay_alu instid0(VALU_DEP_1) | instskip(SKIP_1) | instid1(VALU_DEP_1)
	v_fmac_f32_e32 v93, v94, v93
	v_div_scale_f32 v94, vcc_lo, 1.0, v86, 1.0
	v_mul_f32_e32 v95, v94, v93
	s_delay_alu instid0(VALU_DEP_1) | instskip(NEXT) | instid1(VALU_DEP_1)
	v_fma_f32 v96, -v87, v95, v94
	v_fmac_f32_e32 v95, v96, v93
	s_delay_alu instid0(VALU_DEP_1) | instskip(NEXT) | instid1(VALU_DEP_1)
	v_fma_f32 v87, -v87, v95, v94
	v_div_fmas_f32 v87, v87, v93, v95
	s_delay_alu instid0(VALU_DEP_1) | instskip(NEXT) | instid1(VALU_DEP_1)
	v_div_fixup_f32 v86, v87, v86, 1.0
	v_mul_f32_e64 v87, v85, -v86
.LBB76_51:
	s_or_b32 exec_lo, exec_lo, s1
.LBB76_52:
	s_delay_alu instid0(SALU_CYCLE_1) | instskip(NEXT) | instid1(SALU_CYCLE_1)
	s_or_b32 exec_lo, exec_lo, s0
	s_mov_b32 s0, exec_lo
	v_cmpx_ne_u32_e64 v92, v84
	s_xor_b32 s0, exec_lo, s0
	s_cbranch_execz .LBB76_58
; %bb.53:
	s_mov_b32 s1, exec_lo
	v_cmpx_eq_u32_e32 2, v92
	s_cbranch_execz .LBB76_57
; %bb.54:
	v_cmp_ne_u32_e32 vcc_lo, 2, v84
	s_xor_b32 s12, s16, -1
	s_delay_alu instid0(SALU_CYCLE_1) | instskip(NEXT) | instid1(SALU_CYCLE_1)
	s_and_b32 s13, s12, vcc_lo
	s_and_saveexec_b32 s12, s13
	s_cbranch_execz .LBB76_56
; %bb.55:
	v_ashrrev_i32_e32 v85, 31, v84
	s_delay_alu instid0(VALU_DEP_1)
	v_lshl_add_u64 v[92:93], v[84:85], 2, v[4:5]
	s_clause 0x1
	global_load_b32 v85, v[92:93], off
	global_load_b32 v91, v[4:5], off offset:8
	s_wait_loadcnt 0x1
	global_store_b32 v[4:5], v85, off offset:8
	s_wait_loadcnt 0x0
	global_store_b32 v[92:93], v91, off
.LBB76_56:
	s_wait_xcnt 0x0
	s_or_b32 exec_lo, exec_lo, s12
	v_dual_mov_b32 v92, v84 :: v_dual_mov_b32 v91, v84
.LBB76_57:
	s_or_b32 exec_lo, exec_lo, s1
.LBB76_58:
	s_and_not1_saveexec_b32 s0, s0
	s_cbranch_execz .LBB76_60
; %bb.59:
	v_mov_b32_e32 v92, 2
	ds_store_2addr_b64 v88, v[74:75], v[52:53] offset0:3 offset1:4
	ds_store_2addr_b64 v88, v[50:51], v[14:15] offset0:5 offset1:6
	;; [unrolled: 1-line block ×18, first 2 shown]
.LBB76_60:
	s_or_b32 exec_lo, exec_lo, s0
	s_delay_alu instid0(SALU_CYCLE_1)
	s_mov_b32 s0, exec_lo
	s_wait_storecnt_dscnt 0x0
	s_barrier_signal -1
	s_barrier_wait -1
	v_cmpx_lt_i32_e32 2, v92
	s_cbranch_execz .LBB76_62
; %bb.61:
	v_pk_mul_f32 v[94:95], v[86:87], v[76:77] op_sel:[1,1] op_sel_hi:[0,1]
	s_delay_alu instid0(VALU_DEP_1)
	v_pk_fma_f32 v[84:85], v[86:87], v[76:77], v[94:95] op_sel_hi:[1,0,1] neg_lo:[0,0,1] neg_hi:[0,0,1]
	v_pk_fma_f32 v[86:87], v[86:87], v[76:77], v[94:95] op_sel_hi:[1,0,1]
	ds_load_2addr_b64 v[94:97], v88 offset0:3 offset1:4
	v_dual_mov_b32 v76, v84 :: v_dual_mov_b32 v77, v87
	s_wait_dscnt 0x0
	v_pk_mul_f32 v[98:99], v[94:95], v[86:87] op_sel:[0,1]
	s_delay_alu instid0(VALU_DEP_1) | instskip(SKIP_1) | instid1(VALU_DEP_1)
	v_pk_fma_f32 v[100:101], v[94:95], v[84:85], v[98:99] op_sel:[0,0,1] op_sel_hi:[1,1,0] neg_lo:[0,0,1] neg_hi:[0,0,1]
	v_pk_fma_f32 v[94:95], v[94:95], v[84:85], v[98:99] op_sel:[0,0,1] op_sel_hi:[1,0,0]
	v_mov_b32_e32 v101, v95
	v_pk_mul_f32 v[94:95], v[96:97], v[86:87] op_sel:[0,1]
	s_delay_alu instid0(VALU_DEP_1) | instskip(SKIP_1) | instid1(VALU_DEP_1)
	v_pk_fma_f32 v[98:99], v[96:97], v[84:85], v[94:95] op_sel:[0,0,1] op_sel_hi:[1,1,0] neg_lo:[0,0,1] neg_hi:[0,0,1]
	v_pk_fma_f32 v[94:95], v[96:97], v[84:85], v[94:95] op_sel:[0,0,1] op_sel_hi:[1,0,0]
	v_mov_b32_e32 v99, v95
	ds_load_2addr_b64 v[94:97], v88 offset0:5 offset1:6
	v_pk_add_f32 v[74:75], v[74:75], v[100:101] neg_lo:[0,1] neg_hi:[0,1]
	v_pk_add_f32 v[52:53], v[52:53], v[98:99] neg_lo:[0,1] neg_hi:[0,1]
	s_wait_dscnt 0x0
	v_pk_mul_f32 v[98:99], v[94:95], v[86:87] op_sel:[0,1]
	s_delay_alu instid0(VALU_DEP_1) | instskip(SKIP_2) | instid1(VALU_DEP_2)
	v_pk_fma_f32 v[100:101], v[94:95], v[84:85], v[98:99] op_sel:[0,0,1] op_sel_hi:[1,1,0] neg_lo:[0,0,1] neg_hi:[0,0,1]
	v_pk_fma_f32 v[94:95], v[94:95], v[84:85], v[98:99] op_sel:[0,0,1] op_sel_hi:[1,0,0]
	v_dual_mul_f32 v98, v97, v87 :: v_dual_mov_b32 v94, v97
	v_dual_mov_b32 v101, v95 :: v_dual_mov_b32 v95, v96
	s_delay_alu instid0(VALU_DEP_2) | instskip(SKIP_1) | instid1(VALU_DEP_3)
	v_pk_fma_f32 v[98:99], v[96:97], v[76:77], v[98:99] op_sel_hi:[1,1,0] neg_lo:[0,0,1] neg_hi:[0,0,1]
	v_mul_f32_e32 v96, v97, v84
	v_pk_add_f32 v[50:51], v[50:51], v[100:101] neg_lo:[0,1] neg_hi:[0,1]
	s_delay_alu instid0(VALU_DEP_2) | instskip(NEXT) | instid1(VALU_DEP_1)
	v_pk_fma_f32 v[94:95], v[94:95], v[76:77], v[96:97] op_sel_hi:[1,1,0]
	v_mov_b32_e32 v99, v95
	ds_load_2addr_b64 v[94:97], v88 offset0:7 offset1:8
	v_pk_add_f32 v[14:15], v[14:15], v[98:99] neg_lo:[0,1] neg_hi:[0,1]
	s_wait_dscnt 0x0
	v_pk_mul_f32 v[98:99], v[94:95], v[86:87] op_sel:[0,1]
	s_delay_alu instid0(VALU_DEP_1) | instskip(SKIP_1) | instid1(VALU_DEP_1)
	v_pk_fma_f32 v[100:101], v[94:95], v[84:85], v[98:99] op_sel:[0,0,1] op_sel_hi:[1,1,0] neg_lo:[0,0,1] neg_hi:[0,0,1]
	v_pk_fma_f32 v[94:95], v[94:95], v[84:85], v[98:99] op_sel:[0,0,1] op_sel_hi:[1,0,0]
	v_mov_b32_e32 v101, v95
	v_pk_mul_f32 v[94:95], v[96:97], v[86:87] op_sel:[0,1]
	s_delay_alu instid0(VALU_DEP_1) | instskip(SKIP_1) | instid1(VALU_DEP_1)
	v_pk_fma_f32 v[98:99], v[96:97], v[84:85], v[94:95] op_sel:[0,0,1] op_sel_hi:[1,1,0] neg_lo:[0,0,1] neg_hi:[0,0,1]
	v_pk_fma_f32 v[94:95], v[96:97], v[84:85], v[94:95] op_sel:[0,0,1] op_sel_hi:[1,0,0]
	v_mov_b32_e32 v99, v95
	ds_load_2addr_b64 v[94:97], v88 offset0:9 offset1:10
	v_pk_add_f32 v[12:13], v[12:13], v[100:101] neg_lo:[0,1] neg_hi:[0,1]
	v_pk_add_f32 v[56:57], v[56:57], v[98:99] neg_lo:[0,1] neg_hi:[0,1]
	s_wait_dscnt 0x0
	v_pk_mul_f32 v[98:99], v[94:95], v[86:87] op_sel:[0,1]
	s_delay_alu instid0(VALU_DEP_1) | instskip(SKIP_1) | instid1(VALU_DEP_1)
	v_pk_fma_f32 v[100:101], v[94:95], v[84:85], v[98:99] op_sel:[0,0,1] op_sel_hi:[1,1,0] neg_lo:[0,0,1] neg_hi:[0,0,1]
	v_pk_fma_f32 v[94:95], v[94:95], v[84:85], v[98:99] op_sel:[0,0,1] op_sel_hi:[1,0,0]
	v_mov_b32_e32 v101, v95
	v_pk_mul_f32 v[94:95], v[96:97], v[86:87] op_sel:[0,1]
	s_delay_alu instid0(VALU_DEP_1) | instskip(SKIP_1) | instid1(VALU_DEP_1)
	v_pk_fma_f32 v[98:99], v[96:97], v[84:85], v[94:95] op_sel:[0,0,1] op_sel_hi:[1,1,0] neg_lo:[0,0,1] neg_hi:[0,0,1]
	v_pk_fma_f32 v[94:95], v[96:97], v[84:85], v[94:95] op_sel:[0,0,1] op_sel_hi:[1,0,0]
	v_mov_b32_e32 v99, v95
	ds_load_2addr_b64 v[94:97], v88 offset0:11 offset1:12
	v_pk_add_f32 v[54:55], v[54:55], v[100:101] neg_lo:[0,1] neg_hi:[0,1]
	v_pk_add_f32 v[18:19], v[18:19], v[98:99] neg_lo:[0,1] neg_hi:[0,1]
	s_wait_dscnt 0x0
	v_dual_mul_f32 v98, v95, v87 :: v_dual_mul_f32 v100, v95, v84
	s_delay_alu instid0(VALU_DEP_1) | instskip(NEXT) | instid1(VALU_DEP_2)
	v_pk_fma_f32 v[98:99], v[94:95], v[76:77], v[98:99] op_sel_hi:[1,1,0] neg_lo:[0,0,1] neg_hi:[0,0,1]
	v_pk_fma_f32 v[94:95], v[94:95], v[76:77], v[100:101] op_sel:[1,0,0] op_sel_hi:[0,1,0]
	s_delay_alu instid0(VALU_DEP_1) | instskip(SKIP_1) | instid1(VALU_DEP_2)
	v_mov_b32_e32 v99, v95
	v_pk_mul_f32 v[94:95], v[96:97], v[86:87] op_sel:[0,1]
	v_pk_add_f32 v[16:17], v[16:17], v[98:99] neg_lo:[0,1] neg_hi:[0,1]
	s_delay_alu instid0(VALU_DEP_2) | instskip(SKIP_1) | instid1(VALU_DEP_1)
	v_pk_fma_f32 v[98:99], v[96:97], v[84:85], v[94:95] op_sel:[0,0,1] op_sel_hi:[1,1,0] neg_lo:[0,0,1] neg_hi:[0,0,1]
	v_pk_fma_f32 v[94:95], v[96:97], v[84:85], v[94:95] op_sel:[0,0,1] op_sel_hi:[1,0,0]
	v_mov_b32_e32 v99, v95
	ds_load_2addr_b64 v[94:97], v88 offset0:13 offset1:14
	v_pk_add_f32 v[72:73], v[72:73], v[98:99] neg_lo:[0,1] neg_hi:[0,1]
	s_wait_dscnt 0x0
	v_pk_mul_f32 v[98:99], v[94:95], v[86:87] op_sel:[0,1]
	s_delay_alu instid0(VALU_DEP_1) | instskip(SKIP_1) | instid1(VALU_DEP_1)
	v_pk_fma_f32 v[100:101], v[94:95], v[84:85], v[98:99] op_sel:[0,0,1] op_sel_hi:[1,1,0] neg_lo:[0,0,1] neg_hi:[0,0,1]
	v_pk_fma_f32 v[94:95], v[94:95], v[84:85], v[98:99] op_sel:[0,0,1] op_sel_hi:[1,0,0]
	v_mov_b32_e32 v101, v95
	v_pk_mul_f32 v[94:95], v[96:97], v[86:87] op_sel:[0,1]
	s_delay_alu instid0(VALU_DEP_2) | instskip(NEXT) | instid1(VALU_DEP_2)
	v_pk_add_f32 v[70:71], v[70:71], v[100:101] neg_lo:[0,1] neg_hi:[0,1]
	v_pk_fma_f32 v[98:99], v[96:97], v[84:85], v[94:95] op_sel:[0,0,1] op_sel_hi:[1,1,0] neg_lo:[0,0,1] neg_hi:[0,0,1]
	v_pk_fma_f32 v[94:95], v[96:97], v[84:85], v[94:95] op_sel:[0,0,1] op_sel_hi:[1,0,0]
	s_delay_alu instid0(VALU_DEP_1) | instskip(SKIP_4) | instid1(VALU_DEP_1)
	v_mov_b32_e32 v99, v95
	ds_load_2addr_b64 v[94:97], v88 offset0:15 offset1:16
	v_pk_add_f32 v[38:39], v[38:39], v[98:99] neg_lo:[0,1] neg_hi:[0,1]
	s_wait_dscnt 0x0
	v_pk_mul_f32 v[98:99], v[94:95], v[86:87] op_sel:[0,1]
	v_pk_fma_f32 v[100:101], v[94:95], v[84:85], v[98:99] op_sel:[0,0,1] op_sel_hi:[1,1,0] neg_lo:[0,0,1] neg_hi:[0,0,1]
	v_pk_fma_f32 v[94:95], v[94:95], v[84:85], v[98:99] op_sel:[0,0,1] op_sel_hi:[1,0,0]
	v_dual_mul_f32 v98, v97, v87 :: v_dual_mov_b32 v94, v97
	s_delay_alu instid0(VALU_DEP_2) | instskip(NEXT) | instid1(VALU_DEP_2)
	v_dual_mov_b32 v101, v95 :: v_dual_mov_b32 v95, v96
	v_pk_fma_f32 v[98:99], v[96:97], v[76:77], v[98:99] op_sel_hi:[1,1,0] neg_lo:[0,0,1] neg_hi:[0,0,1]
	v_mul_f32_e32 v96, v97, v84
	s_delay_alu instid0(VALU_DEP_3) | instskip(NEXT) | instid1(VALU_DEP_2)
	v_pk_add_f32 v[36:37], v[36:37], v[100:101] neg_lo:[0,1] neg_hi:[0,1]
	v_pk_fma_f32 v[94:95], v[94:95], v[76:77], v[96:97] op_sel_hi:[1,1,0]
	s_delay_alu instid0(VALU_DEP_1) | instskip(SKIP_4) | instid1(VALU_DEP_1)
	v_mov_b32_e32 v99, v95
	ds_load_2addr_b64 v[94:97], v88 offset0:17 offset1:18
	v_pk_add_f32 v[68:69], v[68:69], v[98:99] neg_lo:[0,1] neg_hi:[0,1]
	s_wait_dscnt 0x0
	v_pk_mul_f32 v[98:99], v[94:95], v[86:87] op_sel:[0,1]
	v_pk_fma_f32 v[100:101], v[94:95], v[84:85], v[98:99] op_sel:[0,0,1] op_sel_hi:[1,1,0] neg_lo:[0,0,1] neg_hi:[0,0,1]
	v_pk_fma_f32 v[94:95], v[94:95], v[84:85], v[98:99] op_sel:[0,0,1] op_sel_hi:[1,0,0]
	s_delay_alu instid0(VALU_DEP_1) | instskip(SKIP_1) | instid1(VALU_DEP_1)
	v_mov_b32_e32 v101, v95
	v_pk_mul_f32 v[94:95], v[96:97], v[86:87] op_sel:[0,1]
	v_pk_fma_f32 v[98:99], v[96:97], v[84:85], v[94:95] op_sel:[0,0,1] op_sel_hi:[1,1,0] neg_lo:[0,0,1] neg_hi:[0,0,1]
	v_pk_fma_f32 v[94:95], v[96:97], v[84:85], v[94:95] op_sel:[0,0,1] op_sel_hi:[1,0,0]
	s_delay_alu instid0(VALU_DEP_1)
	v_mov_b32_e32 v99, v95
	ds_load_2addr_b64 v[94:97], v88 offset0:19 offset1:20
	v_pk_add_f32 v[66:67], v[66:67], v[100:101] neg_lo:[0,1] neg_hi:[0,1]
	v_pk_add_f32 v[32:33], v[32:33], v[98:99] neg_lo:[0,1] neg_hi:[0,1]
	s_wait_dscnt 0x0
	v_pk_mul_f32 v[98:99], v[94:95], v[86:87] op_sel:[0,1]
	s_delay_alu instid0(VALU_DEP_1) | instskip(SKIP_1) | instid1(VALU_DEP_1)
	v_pk_fma_f32 v[100:101], v[94:95], v[84:85], v[98:99] op_sel:[0,0,1] op_sel_hi:[1,1,0] neg_lo:[0,0,1] neg_hi:[0,0,1]
	v_pk_fma_f32 v[94:95], v[94:95], v[84:85], v[98:99] op_sel:[0,0,1] op_sel_hi:[1,0,0]
	v_mov_b32_e32 v101, v95
	v_pk_mul_f32 v[94:95], v[96:97], v[86:87] op_sel:[0,1]
	s_delay_alu instid0(VALU_DEP_1) | instskip(SKIP_1) | instid1(VALU_DEP_1)
	v_pk_fma_f32 v[98:99], v[96:97], v[84:85], v[94:95] op_sel:[0,0,1] op_sel_hi:[1,1,0] neg_lo:[0,0,1] neg_hi:[0,0,1]
	v_pk_fma_f32 v[94:95], v[96:97], v[84:85], v[94:95] op_sel:[0,0,1] op_sel_hi:[1,0,0]
	v_mov_b32_e32 v99, v95
	ds_load_2addr_b64 v[94:97], v88 offset0:21 offset1:22
	v_pk_add_f32 v[30:31], v[30:31], v[100:101] neg_lo:[0,1] neg_hi:[0,1]
	v_pk_add_f32 v[64:65], v[64:65], v[98:99] neg_lo:[0,1] neg_hi:[0,1]
	s_wait_dscnt 0x0
	v_dual_mul_f32 v98, v95, v87 :: v_dual_mul_f32 v100, v95, v84
	s_delay_alu instid0(VALU_DEP_1) | instskip(NEXT) | instid1(VALU_DEP_2)
	v_pk_fma_f32 v[98:99], v[94:95], v[76:77], v[98:99] op_sel_hi:[1,1,0] neg_lo:[0,0,1] neg_hi:[0,0,1]
	v_pk_fma_f32 v[94:95], v[94:95], v[76:77], v[100:101] op_sel:[1,0,0] op_sel_hi:[0,1,0]
	s_delay_alu instid0(VALU_DEP_1) | instskip(SKIP_1) | instid1(VALU_DEP_2)
	v_mov_b32_e32 v99, v95
	v_pk_mul_f32 v[94:95], v[96:97], v[86:87] op_sel:[0,1]
	v_pk_add_f32 v[62:63], v[62:63], v[98:99] neg_lo:[0,1] neg_hi:[0,1]
	s_delay_alu instid0(VALU_DEP_2) | instskip(SKIP_1) | instid1(VALU_DEP_1)
	v_pk_fma_f32 v[98:99], v[96:97], v[84:85], v[94:95] op_sel:[0,0,1] op_sel_hi:[1,1,0] neg_lo:[0,0,1] neg_hi:[0,0,1]
	v_pk_fma_f32 v[94:95], v[96:97], v[84:85], v[94:95] op_sel:[0,0,1] op_sel_hi:[1,0,0]
	v_mov_b32_e32 v99, v95
	ds_load_2addr_b64 v[94:97], v88 offset0:23 offset1:24
	v_pk_add_f32 v[28:29], v[28:29], v[98:99] neg_lo:[0,1] neg_hi:[0,1]
	s_wait_dscnt 0x0
	v_pk_mul_f32 v[98:99], v[94:95], v[86:87] op_sel:[0,1]
	s_delay_alu instid0(VALU_DEP_1) | instskip(SKIP_1) | instid1(VALU_DEP_1)
	v_pk_fma_f32 v[100:101], v[94:95], v[84:85], v[98:99] op_sel:[0,0,1] op_sel_hi:[1,1,0] neg_lo:[0,0,1] neg_hi:[0,0,1]
	v_pk_fma_f32 v[94:95], v[94:95], v[84:85], v[98:99] op_sel:[0,0,1] op_sel_hi:[1,0,0]
	v_mov_b32_e32 v101, v95
	v_pk_mul_f32 v[94:95], v[96:97], v[86:87] op_sel:[0,1]
	s_delay_alu instid0(VALU_DEP_2) | instskip(NEXT) | instid1(VALU_DEP_2)
	v_pk_add_f32 v[26:27], v[26:27], v[100:101] neg_lo:[0,1] neg_hi:[0,1]
	v_pk_fma_f32 v[98:99], v[96:97], v[84:85], v[94:95] op_sel:[0,0,1] op_sel_hi:[1,1,0] neg_lo:[0,0,1] neg_hi:[0,0,1]
	v_pk_fma_f32 v[94:95], v[96:97], v[84:85], v[94:95] op_sel:[0,0,1] op_sel_hi:[1,0,0]
	s_delay_alu instid0(VALU_DEP_1) | instskip(SKIP_4) | instid1(VALU_DEP_1)
	v_mov_b32_e32 v99, v95
	ds_load_2addr_b64 v[94:97], v88 offset0:25 offset1:26
	v_pk_add_f32 v[60:61], v[60:61], v[98:99] neg_lo:[0,1] neg_hi:[0,1]
	s_wait_dscnt 0x0
	v_pk_mul_f32 v[98:99], v[94:95], v[86:87] op_sel:[0,1]
	v_pk_fma_f32 v[100:101], v[94:95], v[84:85], v[98:99] op_sel:[0,0,1] op_sel_hi:[1,1,0] neg_lo:[0,0,1] neg_hi:[0,0,1]
	v_pk_fma_f32 v[94:95], v[94:95], v[84:85], v[98:99] op_sel:[0,0,1] op_sel_hi:[1,0,0]
	v_dual_mul_f32 v98, v97, v87 :: v_dual_mov_b32 v94, v97
	s_delay_alu instid0(VALU_DEP_2) | instskip(NEXT) | instid1(VALU_DEP_2)
	v_dual_mov_b32 v101, v95 :: v_dual_mov_b32 v95, v96
	v_pk_fma_f32 v[98:99], v[96:97], v[76:77], v[98:99] op_sel_hi:[1,1,0] neg_lo:[0,0,1] neg_hi:[0,0,1]
	v_mul_f32_e32 v96, v97, v84
	s_delay_alu instid0(VALU_DEP_3) | instskip(NEXT) | instid1(VALU_DEP_2)
	v_pk_add_f32 v[58:59], v[58:59], v[100:101] neg_lo:[0,1] neg_hi:[0,1]
	v_pk_fma_f32 v[94:95], v[94:95], v[76:77], v[96:97] op_sel_hi:[1,1,0]
	s_delay_alu instid0(VALU_DEP_1) | instskip(SKIP_4) | instid1(VALU_DEP_1)
	v_mov_b32_e32 v99, v95
	ds_load_2addr_b64 v[94:97], v88 offset0:27 offset1:28
	v_pk_add_f32 v[24:25], v[24:25], v[98:99] neg_lo:[0,1] neg_hi:[0,1]
	s_wait_dscnt 0x0
	v_pk_mul_f32 v[98:99], v[94:95], v[86:87] op_sel:[0,1]
	v_pk_fma_f32 v[100:101], v[94:95], v[84:85], v[98:99] op_sel:[0,0,1] op_sel_hi:[1,1,0] neg_lo:[0,0,1] neg_hi:[0,0,1]
	v_pk_fma_f32 v[94:95], v[94:95], v[84:85], v[98:99] op_sel:[0,0,1] op_sel_hi:[1,0,0]
	s_delay_alu instid0(VALU_DEP_1) | instskip(SKIP_1) | instid1(VALU_DEP_1)
	v_mov_b32_e32 v101, v95
	v_pk_mul_f32 v[94:95], v[96:97], v[86:87] op_sel:[0,1]
	v_pk_fma_f32 v[98:99], v[96:97], v[84:85], v[94:95] op_sel:[0,0,1] op_sel_hi:[1,1,0] neg_lo:[0,0,1] neg_hi:[0,0,1]
	v_pk_fma_f32 v[94:95], v[96:97], v[84:85], v[94:95] op_sel:[0,0,1] op_sel_hi:[1,0,0]
	s_delay_alu instid0(VALU_DEP_1)
	v_mov_b32_e32 v99, v95
	ds_load_2addr_b64 v[94:97], v88 offset0:29 offset1:30
	v_pk_add_f32 v[22:23], v[22:23], v[100:101] neg_lo:[0,1] neg_hi:[0,1]
	v_pk_add_f32 v[48:49], v[48:49], v[98:99] neg_lo:[0,1] neg_hi:[0,1]
	s_wait_dscnt 0x0
	v_pk_mul_f32 v[98:99], v[94:95], v[86:87] op_sel:[0,1]
	s_delay_alu instid0(VALU_DEP_1) | instskip(SKIP_1) | instid1(VALU_DEP_1)
	v_pk_fma_f32 v[100:101], v[94:95], v[84:85], v[98:99] op_sel:[0,0,1] op_sel_hi:[1,1,0] neg_lo:[0,0,1] neg_hi:[0,0,1]
	v_pk_fma_f32 v[94:95], v[94:95], v[84:85], v[98:99] op_sel:[0,0,1] op_sel_hi:[1,0,0]
	v_mov_b32_e32 v101, v95
	v_pk_mul_f32 v[94:95], v[96:97], v[86:87] op_sel:[0,1]
	s_delay_alu instid0(VALU_DEP_1) | instskip(SKIP_1) | instid1(VALU_DEP_1)
	v_pk_fma_f32 v[98:99], v[96:97], v[84:85], v[94:95] op_sel:[0,0,1] op_sel_hi:[1,1,0] neg_lo:[0,0,1] neg_hi:[0,0,1]
	v_pk_fma_f32 v[94:95], v[96:97], v[84:85], v[94:95] op_sel:[0,0,1] op_sel_hi:[1,0,0]
	v_mov_b32_e32 v99, v95
	ds_load_2addr_b64 v[94:97], v88 offset0:31 offset1:32
	v_pk_add_f32 v[46:47], v[46:47], v[100:101] neg_lo:[0,1] neg_hi:[0,1]
	v_pk_add_f32 v[10:11], v[10:11], v[98:99] neg_lo:[0,1] neg_hi:[0,1]
	s_wait_dscnt 0x0
	v_dual_mul_f32 v98, v95, v87 :: v_dual_mul_f32 v100, v95, v84
	s_delay_alu instid0(VALU_DEP_1) | instskip(NEXT) | instid1(VALU_DEP_2)
	v_pk_fma_f32 v[98:99], v[94:95], v[76:77], v[98:99] op_sel_hi:[1,1,0] neg_lo:[0,0,1] neg_hi:[0,0,1]
	v_pk_fma_f32 v[94:95], v[94:95], v[76:77], v[100:101] op_sel:[1,0,0] op_sel_hi:[0,1,0]
	s_delay_alu instid0(VALU_DEP_1) | instskip(SKIP_1) | instid1(VALU_DEP_2)
	v_mov_b32_e32 v99, v95
	v_pk_mul_f32 v[94:95], v[96:97], v[86:87] op_sel:[0,1]
	v_pk_add_f32 v[6:7], v[6:7], v[98:99] neg_lo:[0,1] neg_hi:[0,1]
	s_delay_alu instid0(VALU_DEP_2) | instskip(SKIP_1) | instid1(VALU_DEP_1)
	v_pk_fma_f32 v[98:99], v[96:97], v[84:85], v[94:95] op_sel:[0,0,1] op_sel_hi:[1,1,0] neg_lo:[0,0,1] neg_hi:[0,0,1]
	v_pk_fma_f32 v[94:95], v[96:97], v[84:85], v[94:95] op_sel:[0,0,1] op_sel_hi:[1,0,0]
	v_mov_b32_e32 v99, v95
	ds_load_2addr_b64 v[94:97], v88 offset0:33 offset1:34
	v_pk_add_f32 v[44:45], v[44:45], v[98:99] neg_lo:[0,1] neg_hi:[0,1]
	s_wait_dscnt 0x0
	v_pk_mul_f32 v[98:99], v[94:95], v[86:87] op_sel:[0,1]
	s_delay_alu instid0(VALU_DEP_1) | instskip(SKIP_1) | instid1(VALU_DEP_1)
	v_pk_fma_f32 v[100:101], v[94:95], v[84:85], v[98:99] op_sel:[0,0,1] op_sel_hi:[1,1,0] neg_lo:[0,0,1] neg_hi:[0,0,1]
	v_pk_fma_f32 v[94:95], v[94:95], v[84:85], v[98:99] op_sel:[0,0,1] op_sel_hi:[1,0,0]
	v_mov_b32_e32 v101, v95
	v_pk_mul_f32 v[94:95], v[96:97], v[86:87] op_sel:[0,1]
	s_delay_alu instid0(VALU_DEP_2) | instskip(NEXT) | instid1(VALU_DEP_2)
	v_pk_add_f32 v[42:43], v[42:43], v[100:101] neg_lo:[0,1] neg_hi:[0,1]
	v_pk_fma_f32 v[98:99], v[96:97], v[84:85], v[94:95] op_sel:[0,0,1] op_sel_hi:[1,1,0] neg_lo:[0,0,1] neg_hi:[0,0,1]
	v_pk_fma_f32 v[94:95], v[96:97], v[84:85], v[94:95] op_sel:[0,0,1] op_sel_hi:[1,0,0]
	s_delay_alu instid0(VALU_DEP_1) | instskip(SKIP_4) | instid1(VALU_DEP_1)
	v_mov_b32_e32 v99, v95
	ds_load_2addr_b64 v[94:97], v88 offset0:35 offset1:36
	v_pk_add_f32 v[8:9], v[8:9], v[98:99] neg_lo:[0,1] neg_hi:[0,1]
	s_wait_dscnt 0x0
	v_pk_mul_f32 v[98:99], v[94:95], v[86:87] op_sel:[0,1]
	v_pk_fma_f32 v[100:101], v[94:95], v[84:85], v[98:99] op_sel:[0,0,1] op_sel_hi:[1,1,0] neg_lo:[0,0,1] neg_hi:[0,0,1]
	v_pk_fma_f32 v[94:95], v[94:95], v[84:85], v[98:99] op_sel:[0,0,1] op_sel_hi:[1,0,0]
	v_dual_mul_f32 v98, v97, v87 :: v_dual_mov_b32 v94, v97
	s_delay_alu instid0(VALU_DEP_2) | instskip(NEXT) | instid1(VALU_DEP_2)
	v_dual_mov_b32 v101, v95 :: v_dual_mov_b32 v95, v96
	v_pk_fma_f32 v[98:99], v[96:97], v[76:77], v[98:99] op_sel_hi:[1,1,0] neg_lo:[0,0,1] neg_hi:[0,0,1]
	v_mul_f32_e32 v96, v97, v84
	s_delay_alu instid0(VALU_DEP_3) | instskip(NEXT) | instid1(VALU_DEP_2)
	v_pk_add_f32 v[40:41], v[40:41], v[100:101] neg_lo:[0,1] neg_hi:[0,1]
	v_pk_fma_f32 v[94:95], v[94:95], v[76:77], v[96:97] op_sel_hi:[1,1,0]
	s_delay_alu instid0(VALU_DEP_1)
	v_mov_b32_e32 v99, v95
	ds_load_2addr_b64 v[94:97], v88 offset0:37 offset1:38
	v_pk_add_f32 v[34:35], v[34:35], v[98:99] neg_lo:[0,1] neg_hi:[0,1]
	s_wait_dscnt 0x0
	v_pk_mul_f32 v[98:99], v[94:95], v[86:87] op_sel:[0,1]
	v_mul_f32_e32 v86, v97, v87
	s_delay_alu instid0(VALU_DEP_2) | instskip(SKIP_2) | instid1(VALU_DEP_4)
	v_pk_fma_f32 v[100:101], v[94:95], v[84:85], v[98:99] op_sel:[0,0,1] op_sel_hi:[1,1,0] neg_lo:[0,0,1] neg_hi:[0,0,1]
	v_pk_fma_f32 v[94:95], v[94:95], v[84:85], v[98:99] op_sel:[0,0,1] op_sel_hi:[1,0,0]
	v_dual_mov_b32 v94, v97 :: v_dual_mul_f32 v84, v97, v84
	v_pk_fma_f32 v[86:87], v[96:97], v[76:77], v[86:87] op_sel_hi:[1,1,0] neg_lo:[0,0,1] neg_hi:[0,0,1]
	s_delay_alu instid0(VALU_DEP_3) | instskip(NEXT) | instid1(VALU_DEP_1)
	v_dual_mov_b32 v101, v95 :: v_dual_mov_b32 v95, v96
	v_pk_add_f32 v[20:21], v[20:21], v[100:101] neg_lo:[0,1] neg_hi:[0,1]
	s_delay_alu instid0(VALU_DEP_2) | instskip(NEXT) | instid1(VALU_DEP_1)
	v_pk_fma_f32 v[84:85], v[94:95], v[76:77], v[84:85] op_sel_hi:[1,1,0]
	v_mov_b32_e32 v87, v85
	s_delay_alu instid0(VALU_DEP_1)
	v_pk_add_f32 v[82:83], v[82:83], v[86:87] neg_lo:[0,1] neg_hi:[0,1]
.LBB76_62:
	s_or_b32 exec_lo, exec_lo, s0
	v_lshl_add_u32 v84, v92, 3, v88
	s_barrier_signal -1
	s_barrier_wait -1
	ds_store_b64 v84, v[74:75]
	s_wait_dscnt 0x0
	s_barrier_signal -1
	s_barrier_wait -1
	ds_load_b64 v[86:87], v88 offset:24
	v_mov_b32_e32 v84, 3
	s_cmp_lt_i32 s18, 5
	s_cbranch_scc1 .LBB76_65
; %bb.63:
	v_mov_b32_e32 v84, 3
	v_add3_u32 v85, v89, 0, 32
	s_mov_b32 s0, 4
.LBB76_64:                              ; =>This Inner Loop Header: Depth=1
	ds_load_b64 v[94:95], v85
	s_wait_dscnt 0x1
	v_cmp_gt_f32_e32 vcc_lo, 0, v86
	v_cndmask_b32_e64 v96, v86, -v86, vcc_lo
	v_cmp_gt_f32_e32 vcc_lo, 0, v87
	v_cndmask_b32_e64 v98, v87, -v87, vcc_lo
	s_wait_dscnt 0x0
	v_cmp_gt_f32_e32 vcc_lo, 0, v94
	v_cndmask_b32_e64 v97, v94, -v94, vcc_lo
	v_cmp_gt_f32_e32 vcc_lo, 0, v95
	v_cndmask_b32_e64 v99, v95, -v95, vcc_lo
	s_delay_alu instid0(VALU_DEP_1) | instskip(NEXT) | instid1(VALU_DEP_1)
	v_pk_add_f32 v[96:97], v[96:97], v[98:99]
	v_cmp_lt_f32_e32 vcc_lo, v96, v97
	v_dual_add_nc_u32 v85, 8, v85 :: v_dual_cndmask_b32 v87, v87, v95, vcc_lo
	v_cndmask_b32_e32 v86, v86, v94, vcc_lo
	v_cndmask_b32_e64 v84, v84, s0, vcc_lo
	s_add_co_i32 s0, s0, 1
	s_delay_alu instid0(SALU_CYCLE_1)
	s_cmp_lg_u32 s18, s0
	s_cbranch_scc1 .LBB76_64
.LBB76_65:
	s_wait_dscnt 0x0
	v_cmp_eq_f32_e32 vcc_lo, 0, v86
	v_cmp_eq_f32_e64 s0, 0, v87
	s_and_b32 s0, vcc_lo, s0
	s_delay_alu instid0(SALU_CYCLE_1) | instskip(NEXT) | instid1(SALU_CYCLE_1)
	s_and_saveexec_b32 s1, s0
	s_xor_b32 s0, exec_lo, s1
; %bb.66:
	v_cmp_ne_u32_e32 vcc_lo, 0, v90
	v_cndmask_b32_e32 v90, 4, v90, vcc_lo
; %bb.67:
	s_and_not1_saveexec_b32 s0, s0
	s_cbranch_execz .LBB76_73
; %bb.68:
	v_cmp_ngt_f32_e64 s1, |v86|, |v87|
	s_and_saveexec_b32 s12, s1
	s_delay_alu instid0(SALU_CYCLE_1)
	s_xor_b32 s1, exec_lo, s12
	s_cbranch_execz .LBB76_70
; %bb.69:
	v_div_scale_f32 v85, null, v87, v87, v86
	v_div_scale_f32 v95, vcc_lo, v86, v87, v86
	s_delay_alu instid0(VALU_DEP_2) | instskip(SKIP_1) | instid1(TRANS32_DEP_1)
	v_rcp_f32_e32 v93, v85
	v_nop
	v_fma_f32 v94, -v85, v93, 1.0
	s_delay_alu instid0(VALU_DEP_1) | instskip(NEXT) | instid1(VALU_DEP_1)
	v_fmac_f32_e32 v93, v94, v93
	v_mul_f32_e32 v94, v95, v93
	s_delay_alu instid0(VALU_DEP_1) | instskip(NEXT) | instid1(VALU_DEP_1)
	v_fma_f32 v96, -v85, v94, v95
	v_fmac_f32_e32 v94, v96, v93
	s_delay_alu instid0(VALU_DEP_1) | instskip(NEXT) | instid1(VALU_DEP_1)
	v_fma_f32 v85, -v85, v94, v95
	v_div_fmas_f32 v85, v85, v93, v94
	s_delay_alu instid0(VALU_DEP_1) | instskip(NEXT) | instid1(VALU_DEP_1)
	v_div_fixup_f32 v85, v85, v87, v86
	v_fmac_f32_e32 v87, v86, v85
	s_delay_alu instid0(VALU_DEP_1) | instskip(SKIP_1) | instid1(VALU_DEP_2)
	v_div_scale_f32 v86, null, v87, v87, 1.0
	v_div_scale_f32 v95, vcc_lo, 1.0, v87, 1.0
	v_rcp_f32_e32 v93, v86
	v_nop
	s_delay_alu instid0(TRANS32_DEP_1) | instskip(NEXT) | instid1(VALU_DEP_1)
	v_fma_f32 v94, -v86, v93, 1.0
	v_fmac_f32_e32 v93, v94, v93
	s_delay_alu instid0(VALU_DEP_1) | instskip(NEXT) | instid1(VALU_DEP_1)
	v_mul_f32_e32 v94, v95, v93
	v_fma_f32 v96, -v86, v94, v95
	s_delay_alu instid0(VALU_DEP_1) | instskip(NEXT) | instid1(VALU_DEP_1)
	v_fmac_f32_e32 v94, v96, v93
	v_fma_f32 v86, -v86, v94, v95
	s_delay_alu instid0(VALU_DEP_1) | instskip(NEXT) | instid1(VALU_DEP_1)
	v_div_fmas_f32 v86, v86, v93, v94
	v_div_fixup_f32 v87, v86, v87, 1.0
	s_delay_alu instid0(VALU_DEP_1)
	v_mul_f32_e32 v86, v85, v87
	v_xor_b32_e32 v87, 0x80000000, v87
.LBB76_70:
	s_and_not1_saveexec_b32 s1, s1
	s_cbranch_execz .LBB76_72
; %bb.71:
	s_delay_alu instid0(VALU_DEP_1) | instskip(SKIP_1) | instid1(VALU_DEP_2)
	v_div_scale_f32 v85, null, v86, v86, v87
	v_div_scale_f32 v95, vcc_lo, v87, v86, v87
	v_rcp_f32_e32 v93, v85
	v_nop
	s_delay_alu instid0(TRANS32_DEP_1) | instskip(NEXT) | instid1(VALU_DEP_1)
	v_fma_f32 v94, -v85, v93, 1.0
	v_fmac_f32_e32 v93, v94, v93
	s_delay_alu instid0(VALU_DEP_1) | instskip(NEXT) | instid1(VALU_DEP_1)
	v_mul_f32_e32 v94, v95, v93
	v_fma_f32 v96, -v85, v94, v95
	s_delay_alu instid0(VALU_DEP_1) | instskip(NEXT) | instid1(VALU_DEP_1)
	v_fmac_f32_e32 v94, v96, v93
	v_fma_f32 v85, -v85, v94, v95
	s_delay_alu instid0(VALU_DEP_1) | instskip(NEXT) | instid1(VALU_DEP_1)
	v_div_fmas_f32 v85, v85, v93, v94
	v_div_fixup_f32 v85, v85, v86, v87
	s_delay_alu instid0(VALU_DEP_1) | instskip(NEXT) | instid1(VALU_DEP_1)
	v_fmac_f32_e32 v86, v87, v85
	v_div_scale_f32 v87, null, v86, v86, 1.0
	s_delay_alu instid0(VALU_DEP_1) | instskip(SKIP_1) | instid1(TRANS32_DEP_1)
	v_rcp_f32_e32 v93, v87
	v_nop
	v_fma_f32 v94, -v87, v93, 1.0
	s_delay_alu instid0(VALU_DEP_1) | instskip(SKIP_1) | instid1(VALU_DEP_1)
	v_fmac_f32_e32 v93, v94, v93
	v_div_scale_f32 v94, vcc_lo, 1.0, v86, 1.0
	v_mul_f32_e32 v95, v94, v93
	s_delay_alu instid0(VALU_DEP_1) | instskip(NEXT) | instid1(VALU_DEP_1)
	v_fma_f32 v96, -v87, v95, v94
	v_fmac_f32_e32 v95, v96, v93
	s_delay_alu instid0(VALU_DEP_1) | instskip(NEXT) | instid1(VALU_DEP_1)
	v_fma_f32 v87, -v87, v95, v94
	v_div_fmas_f32 v87, v87, v93, v95
	s_delay_alu instid0(VALU_DEP_1) | instskip(NEXT) | instid1(VALU_DEP_1)
	v_div_fixup_f32 v86, v87, v86, 1.0
	v_mul_f32_e64 v87, v85, -v86
.LBB76_72:
	s_or_b32 exec_lo, exec_lo, s1
.LBB76_73:
	s_delay_alu instid0(SALU_CYCLE_1) | instskip(NEXT) | instid1(SALU_CYCLE_1)
	s_or_b32 exec_lo, exec_lo, s0
	s_mov_b32 s0, exec_lo
	v_cmpx_ne_u32_e64 v92, v84
	s_xor_b32 s0, exec_lo, s0
	s_cbranch_execz .LBB76_79
; %bb.74:
	s_mov_b32 s1, exec_lo
	v_cmpx_eq_u32_e32 3, v92
	s_cbranch_execz .LBB76_78
; %bb.75:
	v_cmp_ne_u32_e32 vcc_lo, 3, v84
	s_xor_b32 s12, s16, -1
	s_delay_alu instid0(SALU_CYCLE_1) | instskip(NEXT) | instid1(SALU_CYCLE_1)
	s_and_b32 s13, s12, vcc_lo
	s_and_saveexec_b32 s12, s13
	s_cbranch_execz .LBB76_77
; %bb.76:
	v_ashrrev_i32_e32 v85, 31, v84
	s_delay_alu instid0(VALU_DEP_1)
	v_lshl_add_u64 v[92:93], v[84:85], 2, v[4:5]
	s_clause 0x1
	global_load_b32 v85, v[92:93], off
	global_load_b32 v91, v[4:5], off offset:12
	s_wait_loadcnt 0x1
	global_store_b32 v[4:5], v85, off offset:12
	s_wait_loadcnt 0x0
	global_store_b32 v[92:93], v91, off
.LBB76_77:
	s_wait_xcnt 0x0
	s_or_b32 exec_lo, exec_lo, s12
	v_dual_mov_b32 v92, v84 :: v_dual_mov_b32 v91, v84
.LBB76_78:
	s_or_b32 exec_lo, exec_lo, s1
.LBB76_79:
	s_and_not1_saveexec_b32 s0, s0
	s_cbranch_execz .LBB76_81
; %bb.80:
	v_dual_mov_b32 v84, v52 :: v_dual_mov_b32 v85, v53
	v_dual_mov_b32 v92, v50 :: v_dual_mov_b32 v93, v51
	ds_store_2addr_b64 v88, v[84:85], v[92:93] offset0:4 offset1:5
	v_dual_mov_b32 v84, v14 :: v_dual_mov_b32 v85, v15
	v_dual_mov_b32 v92, v12 :: v_dual_mov_b32 v93, v13
	ds_store_2addr_b64 v88, v[84:85], v[92:93] offset0:6 offset1:7
	;; [unrolled: 3-line block ×17, first 2 shown]
	ds_store_b64 v88, v[82:83] offset:304
	v_mov_b32_e32 v92, 3
.LBB76_81:
	s_or_b32 exec_lo, exec_lo, s0
	s_delay_alu instid0(SALU_CYCLE_1)
	s_mov_b32 s0, exec_lo
	s_wait_storecnt_dscnt 0x0
	s_barrier_signal -1
	s_barrier_wait -1
	v_cmpx_lt_i32_e32 3, v92
	s_cbranch_execz .LBB76_83
; %bb.82:
	v_pk_mul_f32 v[94:95], v[86:87], v[74:75] op_sel:[1,1] op_sel_hi:[0,1]
	s_delay_alu instid0(VALU_DEP_1)
	v_pk_fma_f32 v[84:85], v[86:87], v[74:75], v[94:95] op_sel_hi:[1,0,1] neg_lo:[0,0,1] neg_hi:[0,0,1]
	v_pk_fma_f32 v[86:87], v[86:87], v[74:75], v[94:95] op_sel_hi:[1,0,1]
	ds_load_2addr_b64 v[94:97], v88 offset0:4 offset1:5
	v_dual_mov_b32 v74, v84 :: v_dual_mov_b32 v75, v87
	s_wait_dscnt 0x0
	v_pk_mul_f32 v[98:99], v[94:95], v[86:87] op_sel:[0,1]
	s_delay_alu instid0(VALU_DEP_1) | instskip(SKIP_1) | instid1(VALU_DEP_1)
	v_pk_fma_f32 v[100:101], v[94:95], v[84:85], v[98:99] op_sel:[0,0,1] op_sel_hi:[1,1,0] neg_lo:[0,0,1] neg_hi:[0,0,1]
	v_pk_fma_f32 v[94:95], v[94:95], v[84:85], v[98:99] op_sel:[0,0,1] op_sel_hi:[1,0,0]
	v_mov_b32_e32 v101, v95
	v_pk_mul_f32 v[94:95], v[96:97], v[86:87] op_sel:[0,1]
	s_delay_alu instid0(VALU_DEP_1) | instskip(SKIP_1) | instid1(VALU_DEP_1)
	v_pk_fma_f32 v[98:99], v[96:97], v[84:85], v[94:95] op_sel:[0,0,1] op_sel_hi:[1,1,0] neg_lo:[0,0,1] neg_hi:[0,0,1]
	v_pk_fma_f32 v[94:95], v[96:97], v[84:85], v[94:95] op_sel:[0,0,1] op_sel_hi:[1,0,0]
	v_mov_b32_e32 v99, v95
	ds_load_2addr_b64 v[94:97], v88 offset0:6 offset1:7
	v_pk_add_f32 v[52:53], v[52:53], v[100:101] neg_lo:[0,1] neg_hi:[0,1]
	v_pk_add_f32 v[50:51], v[50:51], v[98:99] neg_lo:[0,1] neg_hi:[0,1]
	s_wait_dscnt 0x0
	v_pk_mul_f32 v[98:99], v[94:95], v[86:87] op_sel:[0,1]
	s_delay_alu instid0(VALU_DEP_1) | instskip(SKIP_2) | instid1(VALU_DEP_2)
	v_pk_fma_f32 v[100:101], v[94:95], v[84:85], v[98:99] op_sel:[0,0,1] op_sel_hi:[1,1,0] neg_lo:[0,0,1] neg_hi:[0,0,1]
	v_pk_fma_f32 v[94:95], v[94:95], v[84:85], v[98:99] op_sel:[0,0,1] op_sel_hi:[1,0,0]
	v_dual_mul_f32 v98, v97, v87 :: v_dual_mov_b32 v94, v97
	v_dual_mov_b32 v101, v95 :: v_dual_mov_b32 v95, v96
	s_delay_alu instid0(VALU_DEP_2) | instskip(SKIP_1) | instid1(VALU_DEP_3)
	v_pk_fma_f32 v[98:99], v[96:97], v[74:75], v[98:99] op_sel_hi:[1,1,0] neg_lo:[0,0,1] neg_hi:[0,0,1]
	v_mul_f32_e32 v96, v97, v84
	v_pk_add_f32 v[14:15], v[14:15], v[100:101] neg_lo:[0,1] neg_hi:[0,1]
	s_delay_alu instid0(VALU_DEP_2) | instskip(NEXT) | instid1(VALU_DEP_1)
	v_pk_fma_f32 v[94:95], v[94:95], v[74:75], v[96:97] op_sel_hi:[1,1,0]
	v_mov_b32_e32 v99, v95
	ds_load_2addr_b64 v[94:97], v88 offset0:8 offset1:9
	v_pk_add_f32 v[12:13], v[12:13], v[98:99] neg_lo:[0,1] neg_hi:[0,1]
	s_wait_dscnt 0x0
	v_pk_mul_f32 v[98:99], v[94:95], v[86:87] op_sel:[0,1]
	s_delay_alu instid0(VALU_DEP_1) | instskip(SKIP_1) | instid1(VALU_DEP_1)
	v_pk_fma_f32 v[100:101], v[94:95], v[84:85], v[98:99] op_sel:[0,0,1] op_sel_hi:[1,1,0] neg_lo:[0,0,1] neg_hi:[0,0,1]
	v_pk_fma_f32 v[94:95], v[94:95], v[84:85], v[98:99] op_sel:[0,0,1] op_sel_hi:[1,0,0]
	v_mov_b32_e32 v101, v95
	v_pk_mul_f32 v[94:95], v[96:97], v[86:87] op_sel:[0,1]
	s_delay_alu instid0(VALU_DEP_1) | instskip(SKIP_1) | instid1(VALU_DEP_1)
	v_pk_fma_f32 v[98:99], v[96:97], v[84:85], v[94:95] op_sel:[0,0,1] op_sel_hi:[1,1,0] neg_lo:[0,0,1] neg_hi:[0,0,1]
	v_pk_fma_f32 v[94:95], v[96:97], v[84:85], v[94:95] op_sel:[0,0,1] op_sel_hi:[1,0,0]
	v_mov_b32_e32 v99, v95
	ds_load_2addr_b64 v[94:97], v88 offset0:10 offset1:11
	v_pk_add_f32 v[56:57], v[56:57], v[100:101] neg_lo:[0,1] neg_hi:[0,1]
	v_pk_add_f32 v[54:55], v[54:55], v[98:99] neg_lo:[0,1] neg_hi:[0,1]
	s_wait_dscnt 0x0
	v_pk_mul_f32 v[98:99], v[94:95], v[86:87] op_sel:[0,1]
	s_delay_alu instid0(VALU_DEP_1) | instskip(SKIP_1) | instid1(VALU_DEP_1)
	v_pk_fma_f32 v[100:101], v[94:95], v[84:85], v[98:99] op_sel:[0,0,1] op_sel_hi:[1,1,0] neg_lo:[0,0,1] neg_hi:[0,0,1]
	v_pk_fma_f32 v[94:95], v[94:95], v[84:85], v[98:99] op_sel:[0,0,1] op_sel_hi:[1,0,0]
	v_mov_b32_e32 v101, v95
	v_pk_mul_f32 v[94:95], v[96:97], v[86:87] op_sel:[0,1]
	s_delay_alu instid0(VALU_DEP_1) | instskip(SKIP_1) | instid1(VALU_DEP_1)
	v_pk_fma_f32 v[98:99], v[96:97], v[84:85], v[94:95] op_sel:[0,0,1] op_sel_hi:[1,1,0] neg_lo:[0,0,1] neg_hi:[0,0,1]
	v_pk_fma_f32 v[94:95], v[96:97], v[84:85], v[94:95] op_sel:[0,0,1] op_sel_hi:[1,0,0]
	v_mov_b32_e32 v99, v95
	ds_load_2addr_b64 v[94:97], v88 offset0:12 offset1:13
	v_pk_add_f32 v[18:19], v[18:19], v[100:101] neg_lo:[0,1] neg_hi:[0,1]
	v_pk_add_f32 v[16:17], v[16:17], v[98:99] neg_lo:[0,1] neg_hi:[0,1]
	s_wait_dscnt 0x0
	v_dual_mul_f32 v98, v95, v87 :: v_dual_mul_f32 v100, v95, v84
	s_delay_alu instid0(VALU_DEP_1) | instskip(NEXT) | instid1(VALU_DEP_2)
	v_pk_fma_f32 v[98:99], v[94:95], v[74:75], v[98:99] op_sel_hi:[1,1,0] neg_lo:[0,0,1] neg_hi:[0,0,1]
	v_pk_fma_f32 v[94:95], v[94:95], v[74:75], v[100:101] op_sel:[1,0,0] op_sel_hi:[0,1,0]
	s_delay_alu instid0(VALU_DEP_1) | instskip(SKIP_1) | instid1(VALU_DEP_2)
	v_mov_b32_e32 v99, v95
	v_pk_mul_f32 v[94:95], v[96:97], v[86:87] op_sel:[0,1]
	v_pk_add_f32 v[72:73], v[72:73], v[98:99] neg_lo:[0,1] neg_hi:[0,1]
	s_delay_alu instid0(VALU_DEP_2) | instskip(SKIP_1) | instid1(VALU_DEP_1)
	v_pk_fma_f32 v[98:99], v[96:97], v[84:85], v[94:95] op_sel:[0,0,1] op_sel_hi:[1,1,0] neg_lo:[0,0,1] neg_hi:[0,0,1]
	v_pk_fma_f32 v[94:95], v[96:97], v[84:85], v[94:95] op_sel:[0,0,1] op_sel_hi:[1,0,0]
	v_mov_b32_e32 v99, v95
	ds_load_2addr_b64 v[94:97], v88 offset0:14 offset1:15
	v_pk_add_f32 v[70:71], v[70:71], v[98:99] neg_lo:[0,1] neg_hi:[0,1]
	s_wait_dscnt 0x0
	v_pk_mul_f32 v[98:99], v[94:95], v[86:87] op_sel:[0,1]
	s_delay_alu instid0(VALU_DEP_1) | instskip(SKIP_1) | instid1(VALU_DEP_1)
	v_pk_fma_f32 v[100:101], v[94:95], v[84:85], v[98:99] op_sel:[0,0,1] op_sel_hi:[1,1,0] neg_lo:[0,0,1] neg_hi:[0,0,1]
	v_pk_fma_f32 v[94:95], v[94:95], v[84:85], v[98:99] op_sel:[0,0,1] op_sel_hi:[1,0,0]
	v_mov_b32_e32 v101, v95
	v_pk_mul_f32 v[94:95], v[96:97], v[86:87] op_sel:[0,1]
	s_delay_alu instid0(VALU_DEP_2) | instskip(NEXT) | instid1(VALU_DEP_2)
	v_pk_add_f32 v[38:39], v[38:39], v[100:101] neg_lo:[0,1] neg_hi:[0,1]
	v_pk_fma_f32 v[98:99], v[96:97], v[84:85], v[94:95] op_sel:[0,0,1] op_sel_hi:[1,1,0] neg_lo:[0,0,1] neg_hi:[0,0,1]
	v_pk_fma_f32 v[94:95], v[96:97], v[84:85], v[94:95] op_sel:[0,0,1] op_sel_hi:[1,0,0]
	s_delay_alu instid0(VALU_DEP_1) | instskip(SKIP_4) | instid1(VALU_DEP_1)
	v_mov_b32_e32 v99, v95
	ds_load_2addr_b64 v[94:97], v88 offset0:16 offset1:17
	v_pk_add_f32 v[36:37], v[36:37], v[98:99] neg_lo:[0,1] neg_hi:[0,1]
	s_wait_dscnt 0x0
	v_pk_mul_f32 v[98:99], v[94:95], v[86:87] op_sel:[0,1]
	v_pk_fma_f32 v[100:101], v[94:95], v[84:85], v[98:99] op_sel:[0,0,1] op_sel_hi:[1,1,0] neg_lo:[0,0,1] neg_hi:[0,0,1]
	v_pk_fma_f32 v[94:95], v[94:95], v[84:85], v[98:99] op_sel:[0,0,1] op_sel_hi:[1,0,0]
	v_dual_mul_f32 v98, v97, v87 :: v_dual_mov_b32 v94, v97
	s_delay_alu instid0(VALU_DEP_2) | instskip(NEXT) | instid1(VALU_DEP_2)
	v_dual_mov_b32 v101, v95 :: v_dual_mov_b32 v95, v96
	v_pk_fma_f32 v[98:99], v[96:97], v[74:75], v[98:99] op_sel_hi:[1,1,0] neg_lo:[0,0,1] neg_hi:[0,0,1]
	v_mul_f32_e32 v96, v97, v84
	s_delay_alu instid0(VALU_DEP_3) | instskip(NEXT) | instid1(VALU_DEP_2)
	v_pk_add_f32 v[68:69], v[68:69], v[100:101] neg_lo:[0,1] neg_hi:[0,1]
	v_pk_fma_f32 v[94:95], v[94:95], v[74:75], v[96:97] op_sel_hi:[1,1,0]
	s_delay_alu instid0(VALU_DEP_1) | instskip(SKIP_4) | instid1(VALU_DEP_1)
	v_mov_b32_e32 v99, v95
	ds_load_2addr_b64 v[94:97], v88 offset0:18 offset1:19
	v_pk_add_f32 v[66:67], v[66:67], v[98:99] neg_lo:[0,1] neg_hi:[0,1]
	s_wait_dscnt 0x0
	v_pk_mul_f32 v[98:99], v[94:95], v[86:87] op_sel:[0,1]
	v_pk_fma_f32 v[100:101], v[94:95], v[84:85], v[98:99] op_sel:[0,0,1] op_sel_hi:[1,1,0] neg_lo:[0,0,1] neg_hi:[0,0,1]
	v_pk_fma_f32 v[94:95], v[94:95], v[84:85], v[98:99] op_sel:[0,0,1] op_sel_hi:[1,0,0]
	s_delay_alu instid0(VALU_DEP_1) | instskip(SKIP_1) | instid1(VALU_DEP_1)
	v_mov_b32_e32 v101, v95
	v_pk_mul_f32 v[94:95], v[96:97], v[86:87] op_sel:[0,1]
	v_pk_fma_f32 v[98:99], v[96:97], v[84:85], v[94:95] op_sel:[0,0,1] op_sel_hi:[1,1,0] neg_lo:[0,0,1] neg_hi:[0,0,1]
	v_pk_fma_f32 v[94:95], v[96:97], v[84:85], v[94:95] op_sel:[0,0,1] op_sel_hi:[1,0,0]
	s_delay_alu instid0(VALU_DEP_1)
	v_mov_b32_e32 v99, v95
	ds_load_2addr_b64 v[94:97], v88 offset0:20 offset1:21
	v_pk_add_f32 v[32:33], v[32:33], v[100:101] neg_lo:[0,1] neg_hi:[0,1]
	v_pk_add_f32 v[30:31], v[30:31], v[98:99] neg_lo:[0,1] neg_hi:[0,1]
	s_wait_dscnt 0x0
	v_pk_mul_f32 v[98:99], v[94:95], v[86:87] op_sel:[0,1]
	s_delay_alu instid0(VALU_DEP_1) | instskip(SKIP_1) | instid1(VALU_DEP_1)
	v_pk_fma_f32 v[100:101], v[94:95], v[84:85], v[98:99] op_sel:[0,0,1] op_sel_hi:[1,1,0] neg_lo:[0,0,1] neg_hi:[0,0,1]
	v_pk_fma_f32 v[94:95], v[94:95], v[84:85], v[98:99] op_sel:[0,0,1] op_sel_hi:[1,0,0]
	v_mov_b32_e32 v101, v95
	v_pk_mul_f32 v[94:95], v[96:97], v[86:87] op_sel:[0,1]
	s_delay_alu instid0(VALU_DEP_1) | instskip(SKIP_1) | instid1(VALU_DEP_1)
	v_pk_fma_f32 v[98:99], v[96:97], v[84:85], v[94:95] op_sel:[0,0,1] op_sel_hi:[1,1,0] neg_lo:[0,0,1] neg_hi:[0,0,1]
	v_pk_fma_f32 v[94:95], v[96:97], v[84:85], v[94:95] op_sel:[0,0,1] op_sel_hi:[1,0,0]
	v_mov_b32_e32 v99, v95
	ds_load_2addr_b64 v[94:97], v88 offset0:22 offset1:23
	v_pk_add_f32 v[64:65], v[64:65], v[100:101] neg_lo:[0,1] neg_hi:[0,1]
	v_pk_add_f32 v[62:63], v[62:63], v[98:99] neg_lo:[0,1] neg_hi:[0,1]
	s_wait_dscnt 0x0
	v_dual_mul_f32 v98, v95, v87 :: v_dual_mul_f32 v100, v95, v84
	s_delay_alu instid0(VALU_DEP_1) | instskip(NEXT) | instid1(VALU_DEP_2)
	v_pk_fma_f32 v[98:99], v[94:95], v[74:75], v[98:99] op_sel_hi:[1,1,0] neg_lo:[0,0,1] neg_hi:[0,0,1]
	v_pk_fma_f32 v[94:95], v[94:95], v[74:75], v[100:101] op_sel:[1,0,0] op_sel_hi:[0,1,0]
	s_delay_alu instid0(VALU_DEP_1) | instskip(SKIP_1) | instid1(VALU_DEP_2)
	v_mov_b32_e32 v99, v95
	v_pk_mul_f32 v[94:95], v[96:97], v[86:87] op_sel:[0,1]
	v_pk_add_f32 v[28:29], v[28:29], v[98:99] neg_lo:[0,1] neg_hi:[0,1]
	s_delay_alu instid0(VALU_DEP_2) | instskip(SKIP_1) | instid1(VALU_DEP_1)
	v_pk_fma_f32 v[98:99], v[96:97], v[84:85], v[94:95] op_sel:[0,0,1] op_sel_hi:[1,1,0] neg_lo:[0,0,1] neg_hi:[0,0,1]
	v_pk_fma_f32 v[94:95], v[96:97], v[84:85], v[94:95] op_sel:[0,0,1] op_sel_hi:[1,0,0]
	v_mov_b32_e32 v99, v95
	ds_load_2addr_b64 v[94:97], v88 offset0:24 offset1:25
	v_pk_add_f32 v[26:27], v[26:27], v[98:99] neg_lo:[0,1] neg_hi:[0,1]
	s_wait_dscnt 0x0
	v_pk_mul_f32 v[98:99], v[94:95], v[86:87] op_sel:[0,1]
	s_delay_alu instid0(VALU_DEP_1) | instskip(SKIP_1) | instid1(VALU_DEP_1)
	v_pk_fma_f32 v[100:101], v[94:95], v[84:85], v[98:99] op_sel:[0,0,1] op_sel_hi:[1,1,0] neg_lo:[0,0,1] neg_hi:[0,0,1]
	v_pk_fma_f32 v[94:95], v[94:95], v[84:85], v[98:99] op_sel:[0,0,1] op_sel_hi:[1,0,0]
	v_mov_b32_e32 v101, v95
	v_pk_mul_f32 v[94:95], v[96:97], v[86:87] op_sel:[0,1]
	s_delay_alu instid0(VALU_DEP_2) | instskip(NEXT) | instid1(VALU_DEP_2)
	v_pk_add_f32 v[60:61], v[60:61], v[100:101] neg_lo:[0,1] neg_hi:[0,1]
	v_pk_fma_f32 v[98:99], v[96:97], v[84:85], v[94:95] op_sel:[0,0,1] op_sel_hi:[1,1,0] neg_lo:[0,0,1] neg_hi:[0,0,1]
	v_pk_fma_f32 v[94:95], v[96:97], v[84:85], v[94:95] op_sel:[0,0,1] op_sel_hi:[1,0,0]
	s_delay_alu instid0(VALU_DEP_1) | instskip(SKIP_4) | instid1(VALU_DEP_1)
	v_mov_b32_e32 v99, v95
	ds_load_2addr_b64 v[94:97], v88 offset0:26 offset1:27
	v_pk_add_f32 v[58:59], v[58:59], v[98:99] neg_lo:[0,1] neg_hi:[0,1]
	s_wait_dscnt 0x0
	v_pk_mul_f32 v[98:99], v[94:95], v[86:87] op_sel:[0,1]
	v_pk_fma_f32 v[100:101], v[94:95], v[84:85], v[98:99] op_sel:[0,0,1] op_sel_hi:[1,1,0] neg_lo:[0,0,1] neg_hi:[0,0,1]
	v_pk_fma_f32 v[94:95], v[94:95], v[84:85], v[98:99] op_sel:[0,0,1] op_sel_hi:[1,0,0]
	v_dual_mul_f32 v98, v97, v87 :: v_dual_mov_b32 v94, v97
	s_delay_alu instid0(VALU_DEP_2) | instskip(NEXT) | instid1(VALU_DEP_2)
	v_dual_mov_b32 v101, v95 :: v_dual_mov_b32 v95, v96
	v_pk_fma_f32 v[98:99], v[96:97], v[74:75], v[98:99] op_sel_hi:[1,1,0] neg_lo:[0,0,1] neg_hi:[0,0,1]
	v_mul_f32_e32 v96, v97, v84
	s_delay_alu instid0(VALU_DEP_3) | instskip(NEXT) | instid1(VALU_DEP_2)
	v_pk_add_f32 v[24:25], v[24:25], v[100:101] neg_lo:[0,1] neg_hi:[0,1]
	v_pk_fma_f32 v[94:95], v[94:95], v[74:75], v[96:97] op_sel_hi:[1,1,0]
	s_delay_alu instid0(VALU_DEP_1) | instskip(SKIP_4) | instid1(VALU_DEP_1)
	v_mov_b32_e32 v99, v95
	ds_load_2addr_b64 v[94:97], v88 offset0:28 offset1:29
	v_pk_add_f32 v[22:23], v[22:23], v[98:99] neg_lo:[0,1] neg_hi:[0,1]
	s_wait_dscnt 0x0
	v_pk_mul_f32 v[98:99], v[94:95], v[86:87] op_sel:[0,1]
	v_pk_fma_f32 v[100:101], v[94:95], v[84:85], v[98:99] op_sel:[0,0,1] op_sel_hi:[1,1,0] neg_lo:[0,0,1] neg_hi:[0,0,1]
	v_pk_fma_f32 v[94:95], v[94:95], v[84:85], v[98:99] op_sel:[0,0,1] op_sel_hi:[1,0,0]
	s_delay_alu instid0(VALU_DEP_1) | instskip(SKIP_1) | instid1(VALU_DEP_1)
	v_mov_b32_e32 v101, v95
	v_pk_mul_f32 v[94:95], v[96:97], v[86:87] op_sel:[0,1]
	v_pk_fma_f32 v[98:99], v[96:97], v[84:85], v[94:95] op_sel:[0,0,1] op_sel_hi:[1,1,0] neg_lo:[0,0,1] neg_hi:[0,0,1]
	v_pk_fma_f32 v[94:95], v[96:97], v[84:85], v[94:95] op_sel:[0,0,1] op_sel_hi:[1,0,0]
	s_delay_alu instid0(VALU_DEP_1)
	v_mov_b32_e32 v99, v95
	ds_load_2addr_b64 v[94:97], v88 offset0:30 offset1:31
	v_pk_add_f32 v[48:49], v[48:49], v[100:101] neg_lo:[0,1] neg_hi:[0,1]
	v_pk_add_f32 v[46:47], v[46:47], v[98:99] neg_lo:[0,1] neg_hi:[0,1]
	s_wait_dscnt 0x0
	v_pk_mul_f32 v[98:99], v[94:95], v[86:87] op_sel:[0,1]
	s_delay_alu instid0(VALU_DEP_1) | instskip(SKIP_1) | instid1(VALU_DEP_1)
	v_pk_fma_f32 v[100:101], v[94:95], v[84:85], v[98:99] op_sel:[0,0,1] op_sel_hi:[1,1,0] neg_lo:[0,0,1] neg_hi:[0,0,1]
	v_pk_fma_f32 v[94:95], v[94:95], v[84:85], v[98:99] op_sel:[0,0,1] op_sel_hi:[1,0,0]
	v_mov_b32_e32 v101, v95
	v_pk_mul_f32 v[94:95], v[96:97], v[86:87] op_sel:[0,1]
	s_delay_alu instid0(VALU_DEP_1) | instskip(SKIP_1) | instid1(VALU_DEP_1)
	v_pk_fma_f32 v[98:99], v[96:97], v[84:85], v[94:95] op_sel:[0,0,1] op_sel_hi:[1,1,0] neg_lo:[0,0,1] neg_hi:[0,0,1]
	v_pk_fma_f32 v[94:95], v[96:97], v[84:85], v[94:95] op_sel:[0,0,1] op_sel_hi:[1,0,0]
	v_mov_b32_e32 v99, v95
	ds_load_2addr_b64 v[94:97], v88 offset0:32 offset1:33
	v_pk_add_f32 v[10:11], v[10:11], v[100:101] neg_lo:[0,1] neg_hi:[0,1]
	v_pk_add_f32 v[6:7], v[6:7], v[98:99] neg_lo:[0,1] neg_hi:[0,1]
	s_wait_dscnt 0x0
	v_dual_mul_f32 v98, v95, v87 :: v_dual_mul_f32 v100, v95, v84
	s_delay_alu instid0(VALU_DEP_1) | instskip(NEXT) | instid1(VALU_DEP_2)
	v_pk_fma_f32 v[98:99], v[94:95], v[74:75], v[98:99] op_sel_hi:[1,1,0] neg_lo:[0,0,1] neg_hi:[0,0,1]
	v_pk_fma_f32 v[94:95], v[94:95], v[74:75], v[100:101] op_sel:[1,0,0] op_sel_hi:[0,1,0]
	s_delay_alu instid0(VALU_DEP_1) | instskip(SKIP_1) | instid1(VALU_DEP_2)
	v_mov_b32_e32 v99, v95
	v_pk_mul_f32 v[94:95], v[96:97], v[86:87] op_sel:[0,1]
	v_pk_add_f32 v[44:45], v[44:45], v[98:99] neg_lo:[0,1] neg_hi:[0,1]
	s_delay_alu instid0(VALU_DEP_2) | instskip(SKIP_1) | instid1(VALU_DEP_1)
	v_pk_fma_f32 v[98:99], v[96:97], v[84:85], v[94:95] op_sel:[0,0,1] op_sel_hi:[1,1,0] neg_lo:[0,0,1] neg_hi:[0,0,1]
	v_pk_fma_f32 v[94:95], v[96:97], v[84:85], v[94:95] op_sel:[0,0,1] op_sel_hi:[1,0,0]
	v_mov_b32_e32 v99, v95
	ds_load_2addr_b64 v[94:97], v88 offset0:34 offset1:35
	v_pk_add_f32 v[42:43], v[42:43], v[98:99] neg_lo:[0,1] neg_hi:[0,1]
	s_wait_dscnt 0x0
	v_pk_mul_f32 v[98:99], v[94:95], v[86:87] op_sel:[0,1]
	s_delay_alu instid0(VALU_DEP_1) | instskip(SKIP_1) | instid1(VALU_DEP_1)
	v_pk_fma_f32 v[100:101], v[94:95], v[84:85], v[98:99] op_sel:[0,0,1] op_sel_hi:[1,1,0] neg_lo:[0,0,1] neg_hi:[0,0,1]
	v_pk_fma_f32 v[94:95], v[94:95], v[84:85], v[98:99] op_sel:[0,0,1] op_sel_hi:[1,0,0]
	v_mov_b32_e32 v101, v95
	v_pk_mul_f32 v[94:95], v[96:97], v[86:87] op_sel:[0,1]
	s_delay_alu instid0(VALU_DEP_2) | instskip(NEXT) | instid1(VALU_DEP_2)
	v_pk_add_f32 v[8:9], v[8:9], v[100:101] neg_lo:[0,1] neg_hi:[0,1]
	v_pk_fma_f32 v[98:99], v[96:97], v[84:85], v[94:95] op_sel:[0,0,1] op_sel_hi:[1,1,0] neg_lo:[0,0,1] neg_hi:[0,0,1]
	v_pk_fma_f32 v[94:95], v[96:97], v[84:85], v[94:95] op_sel:[0,0,1] op_sel_hi:[1,0,0]
	s_delay_alu instid0(VALU_DEP_1) | instskip(SKIP_4) | instid1(VALU_DEP_1)
	v_mov_b32_e32 v99, v95
	ds_load_2addr_b64 v[94:97], v88 offset0:36 offset1:37
	v_pk_add_f32 v[40:41], v[40:41], v[98:99] neg_lo:[0,1] neg_hi:[0,1]
	s_wait_dscnt 0x0
	v_pk_mul_f32 v[98:99], v[94:95], v[86:87] op_sel:[0,1]
	v_pk_fma_f32 v[100:101], v[94:95], v[84:85], v[98:99] op_sel:[0,0,1] op_sel_hi:[1,1,0] neg_lo:[0,0,1] neg_hi:[0,0,1]
	v_pk_fma_f32 v[94:95], v[94:95], v[84:85], v[98:99] op_sel:[0,0,1] op_sel_hi:[1,0,0]
	v_dual_mul_f32 v98, v97, v87 :: v_dual_mov_b32 v94, v97
	s_delay_alu instid0(VALU_DEP_2) | instskip(NEXT) | instid1(VALU_DEP_2)
	v_dual_mov_b32 v101, v95 :: v_dual_mov_b32 v95, v96
	v_pk_fma_f32 v[98:99], v[96:97], v[74:75], v[98:99] op_sel_hi:[1,1,0] neg_lo:[0,0,1] neg_hi:[0,0,1]
	v_mul_f32_e32 v96, v97, v84
	s_delay_alu instid0(VALU_DEP_3) | instskip(NEXT) | instid1(VALU_DEP_2)
	v_pk_add_f32 v[34:35], v[34:35], v[100:101] neg_lo:[0,1] neg_hi:[0,1]
	v_pk_fma_f32 v[94:95], v[94:95], v[74:75], v[96:97] op_sel_hi:[1,1,0]
	s_delay_alu instid0(VALU_DEP_1) | instskip(SKIP_4) | instid1(VALU_DEP_1)
	v_mov_b32_e32 v99, v95
	ds_load_b64 v[94:95], v88 offset:304
	v_pk_add_f32 v[20:21], v[20:21], v[98:99] neg_lo:[0,1] neg_hi:[0,1]
	s_wait_dscnt 0x0
	v_pk_mul_f32 v[86:87], v[94:95], v[86:87] op_sel:[0,1]
	v_pk_fma_f32 v[96:97], v[94:95], v[84:85], v[86:87] op_sel:[0,0,1] op_sel_hi:[1,1,0] neg_lo:[0,0,1] neg_hi:[0,0,1]
	v_pk_fma_f32 v[84:85], v[94:95], v[84:85], v[86:87] op_sel:[0,0,1] op_sel_hi:[1,0,0]
	s_delay_alu instid0(VALU_DEP_1) | instskip(NEXT) | instid1(VALU_DEP_1)
	v_mov_b32_e32 v97, v85
	v_pk_add_f32 v[82:83], v[82:83], v[96:97] neg_lo:[0,1] neg_hi:[0,1]
.LBB76_83:
	s_or_b32 exec_lo, exec_lo, s0
	v_lshl_add_u32 v84, v92, 3, v88
	s_barrier_signal -1
	s_barrier_wait -1
	ds_store_b64 v84, v[52:53]
	s_wait_dscnt 0x0
	s_barrier_signal -1
	s_barrier_wait -1
	ds_load_b64 v[86:87], v88 offset:32
	v_mov_b32_e32 v84, 4
	s_cmp_lt_i32 s18, 6
	s_cbranch_scc1 .LBB76_86
; %bb.84:
	v_add3_u32 v85, v89, 0, 40
	v_mov_b32_e32 v84, 4
	s_mov_b32 s0, 5
.LBB76_85:                              ; =>This Inner Loop Header: Depth=1
	ds_load_b64 v[94:95], v85
	s_wait_dscnt 0x1
	v_cmp_gt_f32_e32 vcc_lo, 0, v86
	v_cndmask_b32_e64 v96, v86, -v86, vcc_lo
	v_cmp_gt_f32_e32 vcc_lo, 0, v87
	v_cndmask_b32_e64 v98, v87, -v87, vcc_lo
	s_wait_dscnt 0x0
	v_cmp_gt_f32_e32 vcc_lo, 0, v94
	v_cndmask_b32_e64 v97, v94, -v94, vcc_lo
	v_cmp_gt_f32_e32 vcc_lo, 0, v95
	v_cndmask_b32_e64 v99, v95, -v95, vcc_lo
	s_delay_alu instid0(VALU_DEP_1) | instskip(NEXT) | instid1(VALU_DEP_1)
	v_pk_add_f32 v[96:97], v[96:97], v[98:99]
	v_cmp_lt_f32_e32 vcc_lo, v96, v97
	v_dual_add_nc_u32 v85, 8, v85 :: v_dual_cndmask_b32 v87, v87, v95, vcc_lo
	v_cndmask_b32_e32 v86, v86, v94, vcc_lo
	v_cndmask_b32_e64 v84, v84, s0, vcc_lo
	s_add_co_i32 s0, s0, 1
	s_delay_alu instid0(SALU_CYCLE_1)
	s_cmp_lg_u32 s18, s0
	s_cbranch_scc1 .LBB76_85
.LBB76_86:
	s_wait_dscnt 0x0
	v_cmp_eq_f32_e32 vcc_lo, 0, v86
	v_cmp_eq_f32_e64 s0, 0, v87
	s_and_b32 s0, vcc_lo, s0
	s_delay_alu instid0(SALU_CYCLE_1) | instskip(NEXT) | instid1(SALU_CYCLE_1)
	s_and_saveexec_b32 s1, s0
	s_xor_b32 s0, exec_lo, s1
; %bb.87:
	v_cmp_ne_u32_e32 vcc_lo, 0, v90
	v_cndmask_b32_e32 v90, 5, v90, vcc_lo
; %bb.88:
	s_and_not1_saveexec_b32 s0, s0
	s_cbranch_execz .LBB76_94
; %bb.89:
	v_cmp_ngt_f32_e64 s1, |v86|, |v87|
	s_and_saveexec_b32 s12, s1
	s_delay_alu instid0(SALU_CYCLE_1)
	s_xor_b32 s1, exec_lo, s12
	s_cbranch_execz .LBB76_91
; %bb.90:
	v_div_scale_f32 v85, null, v87, v87, v86
	v_div_scale_f32 v95, vcc_lo, v86, v87, v86
	s_delay_alu instid0(VALU_DEP_2) | instskip(SKIP_1) | instid1(TRANS32_DEP_1)
	v_rcp_f32_e32 v93, v85
	v_nop
	v_fma_f32 v94, -v85, v93, 1.0
	s_delay_alu instid0(VALU_DEP_1) | instskip(NEXT) | instid1(VALU_DEP_1)
	v_fmac_f32_e32 v93, v94, v93
	v_mul_f32_e32 v94, v95, v93
	s_delay_alu instid0(VALU_DEP_1) | instskip(NEXT) | instid1(VALU_DEP_1)
	v_fma_f32 v96, -v85, v94, v95
	v_fmac_f32_e32 v94, v96, v93
	s_delay_alu instid0(VALU_DEP_1) | instskip(NEXT) | instid1(VALU_DEP_1)
	v_fma_f32 v85, -v85, v94, v95
	v_div_fmas_f32 v85, v85, v93, v94
	s_delay_alu instid0(VALU_DEP_1) | instskip(NEXT) | instid1(VALU_DEP_1)
	v_div_fixup_f32 v85, v85, v87, v86
	v_fmac_f32_e32 v87, v86, v85
	s_delay_alu instid0(VALU_DEP_1) | instskip(SKIP_1) | instid1(VALU_DEP_2)
	v_div_scale_f32 v86, null, v87, v87, 1.0
	v_div_scale_f32 v95, vcc_lo, 1.0, v87, 1.0
	v_rcp_f32_e32 v93, v86
	v_nop
	s_delay_alu instid0(TRANS32_DEP_1) | instskip(NEXT) | instid1(VALU_DEP_1)
	v_fma_f32 v94, -v86, v93, 1.0
	v_fmac_f32_e32 v93, v94, v93
	s_delay_alu instid0(VALU_DEP_1) | instskip(NEXT) | instid1(VALU_DEP_1)
	v_mul_f32_e32 v94, v95, v93
	v_fma_f32 v96, -v86, v94, v95
	s_delay_alu instid0(VALU_DEP_1) | instskip(NEXT) | instid1(VALU_DEP_1)
	v_fmac_f32_e32 v94, v96, v93
	v_fma_f32 v86, -v86, v94, v95
	s_delay_alu instid0(VALU_DEP_1) | instskip(NEXT) | instid1(VALU_DEP_1)
	v_div_fmas_f32 v86, v86, v93, v94
	v_div_fixup_f32 v87, v86, v87, 1.0
	s_delay_alu instid0(VALU_DEP_1)
	v_mul_f32_e32 v86, v85, v87
	v_xor_b32_e32 v87, 0x80000000, v87
.LBB76_91:
	s_and_not1_saveexec_b32 s1, s1
	s_cbranch_execz .LBB76_93
; %bb.92:
	s_delay_alu instid0(VALU_DEP_1) | instskip(SKIP_1) | instid1(VALU_DEP_2)
	v_div_scale_f32 v85, null, v86, v86, v87
	v_div_scale_f32 v95, vcc_lo, v87, v86, v87
	v_rcp_f32_e32 v93, v85
	v_nop
	s_delay_alu instid0(TRANS32_DEP_1) | instskip(NEXT) | instid1(VALU_DEP_1)
	v_fma_f32 v94, -v85, v93, 1.0
	v_fmac_f32_e32 v93, v94, v93
	s_delay_alu instid0(VALU_DEP_1) | instskip(NEXT) | instid1(VALU_DEP_1)
	v_mul_f32_e32 v94, v95, v93
	v_fma_f32 v96, -v85, v94, v95
	s_delay_alu instid0(VALU_DEP_1) | instskip(NEXT) | instid1(VALU_DEP_1)
	v_fmac_f32_e32 v94, v96, v93
	v_fma_f32 v85, -v85, v94, v95
	s_delay_alu instid0(VALU_DEP_1) | instskip(NEXT) | instid1(VALU_DEP_1)
	v_div_fmas_f32 v85, v85, v93, v94
	v_div_fixup_f32 v85, v85, v86, v87
	s_delay_alu instid0(VALU_DEP_1) | instskip(NEXT) | instid1(VALU_DEP_1)
	v_fmac_f32_e32 v86, v87, v85
	v_div_scale_f32 v87, null, v86, v86, 1.0
	s_delay_alu instid0(VALU_DEP_1) | instskip(SKIP_1) | instid1(TRANS32_DEP_1)
	v_rcp_f32_e32 v93, v87
	v_nop
	v_fma_f32 v94, -v87, v93, 1.0
	s_delay_alu instid0(VALU_DEP_1) | instskip(SKIP_1) | instid1(VALU_DEP_1)
	v_fmac_f32_e32 v93, v94, v93
	v_div_scale_f32 v94, vcc_lo, 1.0, v86, 1.0
	v_mul_f32_e32 v95, v94, v93
	s_delay_alu instid0(VALU_DEP_1) | instskip(NEXT) | instid1(VALU_DEP_1)
	v_fma_f32 v96, -v87, v95, v94
	v_fmac_f32_e32 v95, v96, v93
	s_delay_alu instid0(VALU_DEP_1) | instskip(NEXT) | instid1(VALU_DEP_1)
	v_fma_f32 v87, -v87, v95, v94
	v_div_fmas_f32 v87, v87, v93, v95
	s_delay_alu instid0(VALU_DEP_1) | instskip(NEXT) | instid1(VALU_DEP_1)
	v_div_fixup_f32 v86, v87, v86, 1.0
	v_mul_f32_e64 v87, v85, -v86
.LBB76_93:
	s_or_b32 exec_lo, exec_lo, s1
.LBB76_94:
	s_delay_alu instid0(SALU_CYCLE_1) | instskip(NEXT) | instid1(SALU_CYCLE_1)
	s_or_b32 exec_lo, exec_lo, s0
	s_mov_b32 s0, exec_lo
	v_cmpx_ne_u32_e64 v92, v84
	s_xor_b32 s0, exec_lo, s0
	s_cbranch_execz .LBB76_100
; %bb.95:
	s_mov_b32 s1, exec_lo
	v_cmpx_eq_u32_e32 4, v92
	s_cbranch_execz .LBB76_99
; %bb.96:
	v_cmp_ne_u32_e32 vcc_lo, 4, v84
	s_xor_b32 s12, s16, -1
	s_delay_alu instid0(SALU_CYCLE_1) | instskip(NEXT) | instid1(SALU_CYCLE_1)
	s_and_b32 s13, s12, vcc_lo
	s_and_saveexec_b32 s12, s13
	s_cbranch_execz .LBB76_98
; %bb.97:
	v_ashrrev_i32_e32 v85, 31, v84
	s_delay_alu instid0(VALU_DEP_1)
	v_lshl_add_u64 v[92:93], v[84:85], 2, v[4:5]
	s_clause 0x1
	global_load_b32 v85, v[92:93], off
	global_load_b32 v91, v[4:5], off offset:16
	s_wait_loadcnt 0x1
	global_store_b32 v[4:5], v85, off offset:16
	s_wait_loadcnt 0x0
	global_store_b32 v[92:93], v91, off
.LBB76_98:
	s_wait_xcnt 0x0
	s_or_b32 exec_lo, exec_lo, s12
	v_dual_mov_b32 v92, v84 :: v_dual_mov_b32 v91, v84
.LBB76_99:
	s_or_b32 exec_lo, exec_lo, s1
.LBB76_100:
	s_and_not1_saveexec_b32 s0, s0
	s_cbranch_execz .LBB76_102
; %bb.101:
	v_mov_b32_e32 v92, 4
	ds_store_2addr_b64 v88, v[50:51], v[14:15] offset0:5 offset1:6
	ds_store_2addr_b64 v88, v[12:13], v[56:57] offset0:7 offset1:8
	;; [unrolled: 1-line block ×17, first 2 shown]
.LBB76_102:
	s_or_b32 exec_lo, exec_lo, s0
	s_delay_alu instid0(SALU_CYCLE_1)
	s_mov_b32 s0, exec_lo
	s_wait_storecnt_dscnt 0x0
	s_barrier_signal -1
	s_barrier_wait -1
	v_cmpx_lt_i32_e32 4, v92
	s_cbranch_execz .LBB76_104
; %bb.103:
	v_pk_mul_f32 v[94:95], v[86:87], v[52:53] op_sel:[1,1] op_sel_hi:[0,1]
	s_delay_alu instid0(VALU_DEP_1)
	v_pk_fma_f32 v[84:85], v[86:87], v[52:53], v[94:95] op_sel_hi:[1,0,1] neg_lo:[0,0,1] neg_hi:[0,0,1]
	v_pk_fma_f32 v[86:87], v[86:87], v[52:53], v[94:95] op_sel_hi:[1,0,1]
	ds_load_2addr_b64 v[94:97], v88 offset0:5 offset1:6
	v_dual_mov_b32 v52, v84 :: v_dual_mov_b32 v53, v87
	s_wait_dscnt 0x0
	v_pk_mul_f32 v[98:99], v[94:95], v[86:87] op_sel:[0,1]
	s_delay_alu instid0(VALU_DEP_1) | instskip(SKIP_1) | instid1(VALU_DEP_1)
	v_pk_fma_f32 v[100:101], v[94:95], v[84:85], v[98:99] op_sel:[0,0,1] op_sel_hi:[1,1,0] neg_lo:[0,0,1] neg_hi:[0,0,1]
	v_pk_fma_f32 v[94:95], v[94:95], v[84:85], v[98:99] op_sel:[0,0,1] op_sel_hi:[1,0,0]
	v_mov_b32_e32 v101, v95
	v_pk_mul_f32 v[94:95], v[96:97], v[86:87] op_sel:[0,1]
	s_delay_alu instid0(VALU_DEP_1) | instskip(SKIP_1) | instid1(VALU_DEP_1)
	v_pk_fma_f32 v[98:99], v[96:97], v[84:85], v[94:95] op_sel:[0,0,1] op_sel_hi:[1,1,0] neg_lo:[0,0,1] neg_hi:[0,0,1]
	v_pk_fma_f32 v[94:95], v[96:97], v[84:85], v[94:95] op_sel:[0,0,1] op_sel_hi:[1,0,0]
	v_mov_b32_e32 v99, v95
	ds_load_2addr_b64 v[94:97], v88 offset0:7 offset1:8
	v_pk_add_f32 v[50:51], v[50:51], v[100:101] neg_lo:[0,1] neg_hi:[0,1]
	v_pk_add_f32 v[14:15], v[14:15], v[98:99] neg_lo:[0,1] neg_hi:[0,1]
	s_wait_dscnt 0x0
	v_pk_mul_f32 v[98:99], v[94:95], v[86:87] op_sel:[0,1]
	s_delay_alu instid0(VALU_DEP_1) | instskip(SKIP_2) | instid1(VALU_DEP_2)
	v_pk_fma_f32 v[100:101], v[94:95], v[84:85], v[98:99] op_sel:[0,0,1] op_sel_hi:[1,1,0] neg_lo:[0,0,1] neg_hi:[0,0,1]
	v_pk_fma_f32 v[94:95], v[94:95], v[84:85], v[98:99] op_sel:[0,0,1] op_sel_hi:[1,0,0]
	v_dual_mul_f32 v98, v97, v87 :: v_dual_mov_b32 v94, v97
	v_dual_mov_b32 v101, v95 :: v_dual_mov_b32 v95, v96
	s_delay_alu instid0(VALU_DEP_2) | instskip(SKIP_1) | instid1(VALU_DEP_3)
	v_pk_fma_f32 v[98:99], v[96:97], v[52:53], v[98:99] op_sel_hi:[1,1,0] neg_lo:[0,0,1] neg_hi:[0,0,1]
	v_mul_f32_e32 v96, v97, v84
	v_pk_add_f32 v[12:13], v[12:13], v[100:101] neg_lo:[0,1] neg_hi:[0,1]
	s_delay_alu instid0(VALU_DEP_2) | instskip(NEXT) | instid1(VALU_DEP_1)
	v_pk_fma_f32 v[94:95], v[94:95], v[52:53], v[96:97] op_sel_hi:[1,1,0]
	v_mov_b32_e32 v99, v95
	ds_load_2addr_b64 v[94:97], v88 offset0:9 offset1:10
	v_pk_add_f32 v[56:57], v[56:57], v[98:99] neg_lo:[0,1] neg_hi:[0,1]
	s_wait_dscnt 0x0
	v_pk_mul_f32 v[98:99], v[94:95], v[86:87] op_sel:[0,1]
	s_delay_alu instid0(VALU_DEP_1) | instskip(SKIP_1) | instid1(VALU_DEP_1)
	v_pk_fma_f32 v[100:101], v[94:95], v[84:85], v[98:99] op_sel:[0,0,1] op_sel_hi:[1,1,0] neg_lo:[0,0,1] neg_hi:[0,0,1]
	v_pk_fma_f32 v[94:95], v[94:95], v[84:85], v[98:99] op_sel:[0,0,1] op_sel_hi:[1,0,0]
	v_mov_b32_e32 v101, v95
	v_pk_mul_f32 v[94:95], v[96:97], v[86:87] op_sel:[0,1]
	s_delay_alu instid0(VALU_DEP_1) | instskip(SKIP_1) | instid1(VALU_DEP_1)
	v_pk_fma_f32 v[98:99], v[96:97], v[84:85], v[94:95] op_sel:[0,0,1] op_sel_hi:[1,1,0] neg_lo:[0,0,1] neg_hi:[0,0,1]
	v_pk_fma_f32 v[94:95], v[96:97], v[84:85], v[94:95] op_sel:[0,0,1] op_sel_hi:[1,0,0]
	v_mov_b32_e32 v99, v95
	ds_load_2addr_b64 v[94:97], v88 offset0:11 offset1:12
	v_pk_add_f32 v[54:55], v[54:55], v[100:101] neg_lo:[0,1] neg_hi:[0,1]
	v_pk_add_f32 v[18:19], v[18:19], v[98:99] neg_lo:[0,1] neg_hi:[0,1]
	s_wait_dscnt 0x0
	v_pk_mul_f32 v[98:99], v[94:95], v[86:87] op_sel:[0,1]
	s_delay_alu instid0(VALU_DEP_1) | instskip(SKIP_1) | instid1(VALU_DEP_1)
	v_pk_fma_f32 v[100:101], v[94:95], v[84:85], v[98:99] op_sel:[0,0,1] op_sel_hi:[1,1,0] neg_lo:[0,0,1] neg_hi:[0,0,1]
	v_pk_fma_f32 v[94:95], v[94:95], v[84:85], v[98:99] op_sel:[0,0,1] op_sel_hi:[1,0,0]
	v_mov_b32_e32 v101, v95
	v_pk_mul_f32 v[94:95], v[96:97], v[86:87] op_sel:[0,1]
	s_delay_alu instid0(VALU_DEP_1) | instskip(SKIP_1) | instid1(VALU_DEP_1)
	v_pk_fma_f32 v[98:99], v[96:97], v[84:85], v[94:95] op_sel:[0,0,1] op_sel_hi:[1,1,0] neg_lo:[0,0,1] neg_hi:[0,0,1]
	v_pk_fma_f32 v[94:95], v[96:97], v[84:85], v[94:95] op_sel:[0,0,1] op_sel_hi:[1,0,0]
	v_mov_b32_e32 v99, v95
	ds_load_2addr_b64 v[94:97], v88 offset0:13 offset1:14
	v_pk_add_f32 v[16:17], v[16:17], v[100:101] neg_lo:[0,1] neg_hi:[0,1]
	v_pk_add_f32 v[72:73], v[72:73], v[98:99] neg_lo:[0,1] neg_hi:[0,1]
	s_wait_dscnt 0x0
	v_dual_mul_f32 v98, v95, v87 :: v_dual_mul_f32 v100, v95, v84
	s_delay_alu instid0(VALU_DEP_1) | instskip(NEXT) | instid1(VALU_DEP_2)
	v_pk_fma_f32 v[98:99], v[94:95], v[52:53], v[98:99] op_sel_hi:[1,1,0] neg_lo:[0,0,1] neg_hi:[0,0,1]
	v_pk_fma_f32 v[94:95], v[94:95], v[52:53], v[100:101] op_sel:[1,0,0] op_sel_hi:[0,1,0]
	s_delay_alu instid0(VALU_DEP_1) | instskip(SKIP_1) | instid1(VALU_DEP_2)
	v_mov_b32_e32 v99, v95
	v_pk_mul_f32 v[94:95], v[96:97], v[86:87] op_sel:[0,1]
	v_pk_add_f32 v[70:71], v[70:71], v[98:99] neg_lo:[0,1] neg_hi:[0,1]
	s_delay_alu instid0(VALU_DEP_2) | instskip(SKIP_1) | instid1(VALU_DEP_1)
	v_pk_fma_f32 v[98:99], v[96:97], v[84:85], v[94:95] op_sel:[0,0,1] op_sel_hi:[1,1,0] neg_lo:[0,0,1] neg_hi:[0,0,1]
	v_pk_fma_f32 v[94:95], v[96:97], v[84:85], v[94:95] op_sel:[0,0,1] op_sel_hi:[1,0,0]
	v_mov_b32_e32 v99, v95
	ds_load_2addr_b64 v[94:97], v88 offset0:15 offset1:16
	v_pk_add_f32 v[38:39], v[38:39], v[98:99] neg_lo:[0,1] neg_hi:[0,1]
	s_wait_dscnt 0x0
	v_pk_mul_f32 v[98:99], v[94:95], v[86:87] op_sel:[0,1]
	s_delay_alu instid0(VALU_DEP_1) | instskip(SKIP_1) | instid1(VALU_DEP_1)
	v_pk_fma_f32 v[100:101], v[94:95], v[84:85], v[98:99] op_sel:[0,0,1] op_sel_hi:[1,1,0] neg_lo:[0,0,1] neg_hi:[0,0,1]
	v_pk_fma_f32 v[94:95], v[94:95], v[84:85], v[98:99] op_sel:[0,0,1] op_sel_hi:[1,0,0]
	v_mov_b32_e32 v101, v95
	v_pk_mul_f32 v[94:95], v[96:97], v[86:87] op_sel:[0,1]
	s_delay_alu instid0(VALU_DEP_2) | instskip(NEXT) | instid1(VALU_DEP_2)
	v_pk_add_f32 v[36:37], v[36:37], v[100:101] neg_lo:[0,1] neg_hi:[0,1]
	v_pk_fma_f32 v[98:99], v[96:97], v[84:85], v[94:95] op_sel:[0,0,1] op_sel_hi:[1,1,0] neg_lo:[0,0,1] neg_hi:[0,0,1]
	v_pk_fma_f32 v[94:95], v[96:97], v[84:85], v[94:95] op_sel:[0,0,1] op_sel_hi:[1,0,0]
	s_delay_alu instid0(VALU_DEP_1) | instskip(SKIP_4) | instid1(VALU_DEP_1)
	v_mov_b32_e32 v99, v95
	ds_load_2addr_b64 v[94:97], v88 offset0:17 offset1:18
	v_pk_add_f32 v[68:69], v[68:69], v[98:99] neg_lo:[0,1] neg_hi:[0,1]
	s_wait_dscnt 0x0
	v_pk_mul_f32 v[98:99], v[94:95], v[86:87] op_sel:[0,1]
	v_pk_fma_f32 v[100:101], v[94:95], v[84:85], v[98:99] op_sel:[0,0,1] op_sel_hi:[1,1,0] neg_lo:[0,0,1] neg_hi:[0,0,1]
	v_pk_fma_f32 v[94:95], v[94:95], v[84:85], v[98:99] op_sel:[0,0,1] op_sel_hi:[1,0,0]
	v_dual_mul_f32 v98, v97, v87 :: v_dual_mov_b32 v94, v97
	s_delay_alu instid0(VALU_DEP_2) | instskip(NEXT) | instid1(VALU_DEP_2)
	v_dual_mov_b32 v101, v95 :: v_dual_mov_b32 v95, v96
	v_pk_fma_f32 v[98:99], v[96:97], v[52:53], v[98:99] op_sel_hi:[1,1,0] neg_lo:[0,0,1] neg_hi:[0,0,1]
	v_mul_f32_e32 v96, v97, v84
	s_delay_alu instid0(VALU_DEP_3) | instskip(NEXT) | instid1(VALU_DEP_2)
	v_pk_add_f32 v[66:67], v[66:67], v[100:101] neg_lo:[0,1] neg_hi:[0,1]
	v_pk_fma_f32 v[94:95], v[94:95], v[52:53], v[96:97] op_sel_hi:[1,1,0]
	s_delay_alu instid0(VALU_DEP_1) | instskip(SKIP_4) | instid1(VALU_DEP_1)
	v_mov_b32_e32 v99, v95
	ds_load_2addr_b64 v[94:97], v88 offset0:19 offset1:20
	v_pk_add_f32 v[32:33], v[32:33], v[98:99] neg_lo:[0,1] neg_hi:[0,1]
	s_wait_dscnt 0x0
	v_pk_mul_f32 v[98:99], v[94:95], v[86:87] op_sel:[0,1]
	v_pk_fma_f32 v[100:101], v[94:95], v[84:85], v[98:99] op_sel:[0,0,1] op_sel_hi:[1,1,0] neg_lo:[0,0,1] neg_hi:[0,0,1]
	v_pk_fma_f32 v[94:95], v[94:95], v[84:85], v[98:99] op_sel:[0,0,1] op_sel_hi:[1,0,0]
	s_delay_alu instid0(VALU_DEP_1) | instskip(SKIP_1) | instid1(VALU_DEP_1)
	v_mov_b32_e32 v101, v95
	v_pk_mul_f32 v[94:95], v[96:97], v[86:87] op_sel:[0,1]
	v_pk_fma_f32 v[98:99], v[96:97], v[84:85], v[94:95] op_sel:[0,0,1] op_sel_hi:[1,1,0] neg_lo:[0,0,1] neg_hi:[0,0,1]
	v_pk_fma_f32 v[94:95], v[96:97], v[84:85], v[94:95] op_sel:[0,0,1] op_sel_hi:[1,0,0]
	s_delay_alu instid0(VALU_DEP_1)
	v_mov_b32_e32 v99, v95
	ds_load_2addr_b64 v[94:97], v88 offset0:21 offset1:22
	v_pk_add_f32 v[30:31], v[30:31], v[100:101] neg_lo:[0,1] neg_hi:[0,1]
	v_pk_add_f32 v[64:65], v[64:65], v[98:99] neg_lo:[0,1] neg_hi:[0,1]
	s_wait_dscnt 0x0
	v_pk_mul_f32 v[98:99], v[94:95], v[86:87] op_sel:[0,1]
	s_delay_alu instid0(VALU_DEP_1) | instskip(SKIP_1) | instid1(VALU_DEP_1)
	v_pk_fma_f32 v[100:101], v[94:95], v[84:85], v[98:99] op_sel:[0,0,1] op_sel_hi:[1,1,0] neg_lo:[0,0,1] neg_hi:[0,0,1]
	v_pk_fma_f32 v[94:95], v[94:95], v[84:85], v[98:99] op_sel:[0,0,1] op_sel_hi:[1,0,0]
	v_mov_b32_e32 v101, v95
	v_pk_mul_f32 v[94:95], v[96:97], v[86:87] op_sel:[0,1]
	s_delay_alu instid0(VALU_DEP_1) | instskip(SKIP_1) | instid1(VALU_DEP_1)
	v_pk_fma_f32 v[98:99], v[96:97], v[84:85], v[94:95] op_sel:[0,0,1] op_sel_hi:[1,1,0] neg_lo:[0,0,1] neg_hi:[0,0,1]
	v_pk_fma_f32 v[94:95], v[96:97], v[84:85], v[94:95] op_sel:[0,0,1] op_sel_hi:[1,0,0]
	v_mov_b32_e32 v99, v95
	ds_load_2addr_b64 v[94:97], v88 offset0:23 offset1:24
	v_pk_add_f32 v[62:63], v[62:63], v[100:101] neg_lo:[0,1] neg_hi:[0,1]
	v_pk_add_f32 v[28:29], v[28:29], v[98:99] neg_lo:[0,1] neg_hi:[0,1]
	s_wait_dscnt 0x0
	v_dual_mul_f32 v98, v95, v87 :: v_dual_mul_f32 v100, v95, v84
	s_delay_alu instid0(VALU_DEP_1) | instskip(NEXT) | instid1(VALU_DEP_2)
	v_pk_fma_f32 v[98:99], v[94:95], v[52:53], v[98:99] op_sel_hi:[1,1,0] neg_lo:[0,0,1] neg_hi:[0,0,1]
	v_pk_fma_f32 v[94:95], v[94:95], v[52:53], v[100:101] op_sel:[1,0,0] op_sel_hi:[0,1,0]
	s_delay_alu instid0(VALU_DEP_1) | instskip(SKIP_1) | instid1(VALU_DEP_2)
	v_mov_b32_e32 v99, v95
	v_pk_mul_f32 v[94:95], v[96:97], v[86:87] op_sel:[0,1]
	v_pk_add_f32 v[26:27], v[26:27], v[98:99] neg_lo:[0,1] neg_hi:[0,1]
	s_delay_alu instid0(VALU_DEP_2) | instskip(SKIP_1) | instid1(VALU_DEP_1)
	v_pk_fma_f32 v[98:99], v[96:97], v[84:85], v[94:95] op_sel:[0,0,1] op_sel_hi:[1,1,0] neg_lo:[0,0,1] neg_hi:[0,0,1]
	v_pk_fma_f32 v[94:95], v[96:97], v[84:85], v[94:95] op_sel:[0,0,1] op_sel_hi:[1,0,0]
	v_mov_b32_e32 v99, v95
	ds_load_2addr_b64 v[94:97], v88 offset0:25 offset1:26
	v_pk_add_f32 v[60:61], v[60:61], v[98:99] neg_lo:[0,1] neg_hi:[0,1]
	s_wait_dscnt 0x0
	v_pk_mul_f32 v[98:99], v[94:95], v[86:87] op_sel:[0,1]
	s_delay_alu instid0(VALU_DEP_1) | instskip(SKIP_1) | instid1(VALU_DEP_1)
	v_pk_fma_f32 v[100:101], v[94:95], v[84:85], v[98:99] op_sel:[0,0,1] op_sel_hi:[1,1,0] neg_lo:[0,0,1] neg_hi:[0,0,1]
	v_pk_fma_f32 v[94:95], v[94:95], v[84:85], v[98:99] op_sel:[0,0,1] op_sel_hi:[1,0,0]
	v_mov_b32_e32 v101, v95
	v_pk_mul_f32 v[94:95], v[96:97], v[86:87] op_sel:[0,1]
	s_delay_alu instid0(VALU_DEP_2) | instskip(NEXT) | instid1(VALU_DEP_2)
	v_pk_add_f32 v[58:59], v[58:59], v[100:101] neg_lo:[0,1] neg_hi:[0,1]
	v_pk_fma_f32 v[98:99], v[96:97], v[84:85], v[94:95] op_sel:[0,0,1] op_sel_hi:[1,1,0] neg_lo:[0,0,1] neg_hi:[0,0,1]
	v_pk_fma_f32 v[94:95], v[96:97], v[84:85], v[94:95] op_sel:[0,0,1] op_sel_hi:[1,0,0]
	s_delay_alu instid0(VALU_DEP_1) | instskip(SKIP_4) | instid1(VALU_DEP_1)
	v_mov_b32_e32 v99, v95
	ds_load_2addr_b64 v[94:97], v88 offset0:27 offset1:28
	v_pk_add_f32 v[24:25], v[24:25], v[98:99] neg_lo:[0,1] neg_hi:[0,1]
	s_wait_dscnt 0x0
	v_pk_mul_f32 v[98:99], v[94:95], v[86:87] op_sel:[0,1]
	v_pk_fma_f32 v[100:101], v[94:95], v[84:85], v[98:99] op_sel:[0,0,1] op_sel_hi:[1,1,0] neg_lo:[0,0,1] neg_hi:[0,0,1]
	v_pk_fma_f32 v[94:95], v[94:95], v[84:85], v[98:99] op_sel:[0,0,1] op_sel_hi:[1,0,0]
	v_dual_mul_f32 v98, v97, v87 :: v_dual_mov_b32 v94, v97
	s_delay_alu instid0(VALU_DEP_2) | instskip(NEXT) | instid1(VALU_DEP_2)
	v_dual_mov_b32 v101, v95 :: v_dual_mov_b32 v95, v96
	v_pk_fma_f32 v[98:99], v[96:97], v[52:53], v[98:99] op_sel_hi:[1,1,0] neg_lo:[0,0,1] neg_hi:[0,0,1]
	v_mul_f32_e32 v96, v97, v84
	s_delay_alu instid0(VALU_DEP_3) | instskip(NEXT) | instid1(VALU_DEP_2)
	v_pk_add_f32 v[22:23], v[22:23], v[100:101] neg_lo:[0,1] neg_hi:[0,1]
	v_pk_fma_f32 v[94:95], v[94:95], v[52:53], v[96:97] op_sel_hi:[1,1,0]
	s_delay_alu instid0(VALU_DEP_1) | instskip(SKIP_4) | instid1(VALU_DEP_1)
	v_mov_b32_e32 v99, v95
	ds_load_2addr_b64 v[94:97], v88 offset0:29 offset1:30
	v_pk_add_f32 v[48:49], v[48:49], v[98:99] neg_lo:[0,1] neg_hi:[0,1]
	s_wait_dscnt 0x0
	v_pk_mul_f32 v[98:99], v[94:95], v[86:87] op_sel:[0,1]
	v_pk_fma_f32 v[100:101], v[94:95], v[84:85], v[98:99] op_sel:[0,0,1] op_sel_hi:[1,1,0] neg_lo:[0,0,1] neg_hi:[0,0,1]
	v_pk_fma_f32 v[94:95], v[94:95], v[84:85], v[98:99] op_sel:[0,0,1] op_sel_hi:[1,0,0]
	s_delay_alu instid0(VALU_DEP_1) | instskip(SKIP_1) | instid1(VALU_DEP_1)
	v_mov_b32_e32 v101, v95
	v_pk_mul_f32 v[94:95], v[96:97], v[86:87] op_sel:[0,1]
	v_pk_fma_f32 v[98:99], v[96:97], v[84:85], v[94:95] op_sel:[0,0,1] op_sel_hi:[1,1,0] neg_lo:[0,0,1] neg_hi:[0,0,1]
	v_pk_fma_f32 v[94:95], v[96:97], v[84:85], v[94:95] op_sel:[0,0,1] op_sel_hi:[1,0,0]
	s_delay_alu instid0(VALU_DEP_1)
	v_mov_b32_e32 v99, v95
	ds_load_2addr_b64 v[94:97], v88 offset0:31 offset1:32
	v_pk_add_f32 v[46:47], v[46:47], v[100:101] neg_lo:[0,1] neg_hi:[0,1]
	v_pk_add_f32 v[10:11], v[10:11], v[98:99] neg_lo:[0,1] neg_hi:[0,1]
	s_wait_dscnt 0x0
	v_pk_mul_f32 v[98:99], v[94:95], v[86:87] op_sel:[0,1]
	s_delay_alu instid0(VALU_DEP_1) | instskip(SKIP_1) | instid1(VALU_DEP_1)
	v_pk_fma_f32 v[100:101], v[94:95], v[84:85], v[98:99] op_sel:[0,0,1] op_sel_hi:[1,1,0] neg_lo:[0,0,1] neg_hi:[0,0,1]
	v_pk_fma_f32 v[94:95], v[94:95], v[84:85], v[98:99] op_sel:[0,0,1] op_sel_hi:[1,0,0]
	v_mov_b32_e32 v101, v95
	v_pk_mul_f32 v[94:95], v[96:97], v[86:87] op_sel:[0,1]
	s_delay_alu instid0(VALU_DEP_1) | instskip(SKIP_1) | instid1(VALU_DEP_1)
	v_pk_fma_f32 v[98:99], v[96:97], v[84:85], v[94:95] op_sel:[0,0,1] op_sel_hi:[1,1,0] neg_lo:[0,0,1] neg_hi:[0,0,1]
	v_pk_fma_f32 v[94:95], v[96:97], v[84:85], v[94:95] op_sel:[0,0,1] op_sel_hi:[1,0,0]
	v_mov_b32_e32 v99, v95
	ds_load_2addr_b64 v[94:97], v88 offset0:33 offset1:34
	v_pk_add_f32 v[6:7], v[6:7], v[100:101] neg_lo:[0,1] neg_hi:[0,1]
	v_pk_add_f32 v[44:45], v[44:45], v[98:99] neg_lo:[0,1] neg_hi:[0,1]
	s_wait_dscnt 0x0
	v_dual_mul_f32 v98, v95, v87 :: v_dual_mul_f32 v100, v95, v84
	s_delay_alu instid0(VALU_DEP_1) | instskip(NEXT) | instid1(VALU_DEP_2)
	v_pk_fma_f32 v[98:99], v[94:95], v[52:53], v[98:99] op_sel_hi:[1,1,0] neg_lo:[0,0,1] neg_hi:[0,0,1]
	v_pk_fma_f32 v[94:95], v[94:95], v[52:53], v[100:101] op_sel:[1,0,0] op_sel_hi:[0,1,0]
	s_delay_alu instid0(VALU_DEP_1) | instskip(SKIP_1) | instid1(VALU_DEP_2)
	v_mov_b32_e32 v99, v95
	v_pk_mul_f32 v[94:95], v[96:97], v[86:87] op_sel:[0,1]
	v_pk_add_f32 v[42:43], v[42:43], v[98:99] neg_lo:[0,1] neg_hi:[0,1]
	s_delay_alu instid0(VALU_DEP_2) | instskip(SKIP_1) | instid1(VALU_DEP_1)
	v_pk_fma_f32 v[98:99], v[96:97], v[84:85], v[94:95] op_sel:[0,0,1] op_sel_hi:[1,1,0] neg_lo:[0,0,1] neg_hi:[0,0,1]
	v_pk_fma_f32 v[94:95], v[96:97], v[84:85], v[94:95] op_sel:[0,0,1] op_sel_hi:[1,0,0]
	v_mov_b32_e32 v99, v95
	ds_load_2addr_b64 v[94:97], v88 offset0:35 offset1:36
	v_pk_add_f32 v[8:9], v[8:9], v[98:99] neg_lo:[0,1] neg_hi:[0,1]
	s_wait_dscnt 0x0
	v_pk_mul_f32 v[98:99], v[94:95], v[86:87] op_sel:[0,1]
	s_delay_alu instid0(VALU_DEP_1) | instskip(SKIP_1) | instid1(VALU_DEP_1)
	v_pk_fma_f32 v[100:101], v[94:95], v[84:85], v[98:99] op_sel:[0,0,1] op_sel_hi:[1,1,0] neg_lo:[0,0,1] neg_hi:[0,0,1]
	v_pk_fma_f32 v[94:95], v[94:95], v[84:85], v[98:99] op_sel:[0,0,1] op_sel_hi:[1,0,0]
	v_mov_b32_e32 v101, v95
	v_pk_mul_f32 v[94:95], v[96:97], v[86:87] op_sel:[0,1]
	s_delay_alu instid0(VALU_DEP_2) | instskip(NEXT) | instid1(VALU_DEP_2)
	v_pk_add_f32 v[40:41], v[40:41], v[100:101] neg_lo:[0,1] neg_hi:[0,1]
	v_pk_fma_f32 v[98:99], v[96:97], v[84:85], v[94:95] op_sel:[0,0,1] op_sel_hi:[1,1,0] neg_lo:[0,0,1] neg_hi:[0,0,1]
	v_pk_fma_f32 v[94:95], v[96:97], v[84:85], v[94:95] op_sel:[0,0,1] op_sel_hi:[1,0,0]
	s_delay_alu instid0(VALU_DEP_1)
	v_mov_b32_e32 v99, v95
	ds_load_2addr_b64 v[94:97], v88 offset0:37 offset1:38
	v_pk_add_f32 v[34:35], v[34:35], v[98:99] neg_lo:[0,1] neg_hi:[0,1]
	s_wait_dscnt 0x0
	v_pk_mul_f32 v[98:99], v[94:95], v[86:87] op_sel:[0,1]
	v_pk_mul_f32 v[86:87], v[96:97], v[86:87] op_sel:[0,1]
	s_delay_alu instid0(VALU_DEP_2) | instskip(SKIP_1) | instid1(VALU_DEP_1)
	v_pk_fma_f32 v[100:101], v[94:95], v[84:85], v[98:99] op_sel:[0,0,1] op_sel_hi:[1,1,0] neg_lo:[0,0,1] neg_hi:[0,0,1]
	v_pk_fma_f32 v[94:95], v[94:95], v[84:85], v[98:99] op_sel:[0,0,1] op_sel_hi:[1,0,0]
	v_mov_b32_e32 v101, v95
	s_delay_alu instid0(VALU_DEP_4) | instskip(SKIP_1) | instid1(VALU_DEP_3)
	v_pk_fma_f32 v[94:95], v[96:97], v[84:85], v[86:87] op_sel:[0,0,1] op_sel_hi:[1,1,0] neg_lo:[0,0,1] neg_hi:[0,0,1]
	v_pk_fma_f32 v[84:85], v[96:97], v[84:85], v[86:87] op_sel:[0,0,1] op_sel_hi:[1,0,0]
	v_pk_add_f32 v[20:21], v[20:21], v[100:101] neg_lo:[0,1] neg_hi:[0,1]
	s_delay_alu instid0(VALU_DEP_2) | instskip(NEXT) | instid1(VALU_DEP_1)
	v_mov_b32_e32 v95, v85
	v_pk_add_f32 v[82:83], v[82:83], v[94:95] neg_lo:[0,1] neg_hi:[0,1]
.LBB76_104:
	s_or_b32 exec_lo, exec_lo, s0
	v_lshl_add_u32 v84, v92, 3, v88
	s_barrier_signal -1
	s_barrier_wait -1
	ds_store_b64 v84, v[50:51]
	s_wait_dscnt 0x0
	s_barrier_signal -1
	s_barrier_wait -1
	ds_load_b64 v[86:87], v88 offset:40
	v_mov_b32_e32 v84, 5
	s_cmp_lt_i32 s18, 7
	s_cbranch_scc1 .LBB76_107
; %bb.105:
	v_add3_u32 v85, v89, 0, 48
	v_mov_b32_e32 v84, 5
	s_mov_b32 s0, 6
.LBB76_106:                             ; =>This Inner Loop Header: Depth=1
	ds_load_b64 v[94:95], v85
	s_wait_dscnt 0x1
	v_cmp_gt_f32_e32 vcc_lo, 0, v86
	v_cndmask_b32_e64 v96, v86, -v86, vcc_lo
	v_cmp_gt_f32_e32 vcc_lo, 0, v87
	v_cndmask_b32_e64 v98, v87, -v87, vcc_lo
	s_wait_dscnt 0x0
	v_cmp_gt_f32_e32 vcc_lo, 0, v94
	v_cndmask_b32_e64 v97, v94, -v94, vcc_lo
	v_cmp_gt_f32_e32 vcc_lo, 0, v95
	v_cndmask_b32_e64 v99, v95, -v95, vcc_lo
	s_delay_alu instid0(VALU_DEP_1) | instskip(NEXT) | instid1(VALU_DEP_1)
	v_pk_add_f32 v[96:97], v[96:97], v[98:99]
	v_cmp_lt_f32_e32 vcc_lo, v96, v97
	v_dual_add_nc_u32 v85, 8, v85 :: v_dual_cndmask_b32 v87, v87, v95, vcc_lo
	v_cndmask_b32_e32 v86, v86, v94, vcc_lo
	v_cndmask_b32_e64 v84, v84, s0, vcc_lo
	s_add_co_i32 s0, s0, 1
	s_delay_alu instid0(SALU_CYCLE_1)
	s_cmp_lg_u32 s18, s0
	s_cbranch_scc1 .LBB76_106
.LBB76_107:
	s_wait_dscnt 0x0
	v_cmp_eq_f32_e32 vcc_lo, 0, v86
	v_cmp_eq_f32_e64 s0, 0, v87
	s_and_b32 s0, vcc_lo, s0
	s_delay_alu instid0(SALU_CYCLE_1) | instskip(NEXT) | instid1(SALU_CYCLE_1)
	s_and_saveexec_b32 s1, s0
	s_xor_b32 s0, exec_lo, s1
; %bb.108:
	v_cmp_ne_u32_e32 vcc_lo, 0, v90
	v_cndmask_b32_e32 v90, 6, v90, vcc_lo
; %bb.109:
	s_and_not1_saveexec_b32 s0, s0
	s_cbranch_execz .LBB76_115
; %bb.110:
	v_cmp_ngt_f32_e64 s1, |v86|, |v87|
	s_and_saveexec_b32 s12, s1
	s_delay_alu instid0(SALU_CYCLE_1)
	s_xor_b32 s1, exec_lo, s12
	s_cbranch_execz .LBB76_112
; %bb.111:
	v_div_scale_f32 v85, null, v87, v87, v86
	v_div_scale_f32 v95, vcc_lo, v86, v87, v86
	s_delay_alu instid0(VALU_DEP_2) | instskip(SKIP_1) | instid1(TRANS32_DEP_1)
	v_rcp_f32_e32 v93, v85
	v_nop
	v_fma_f32 v94, -v85, v93, 1.0
	s_delay_alu instid0(VALU_DEP_1) | instskip(NEXT) | instid1(VALU_DEP_1)
	v_fmac_f32_e32 v93, v94, v93
	v_mul_f32_e32 v94, v95, v93
	s_delay_alu instid0(VALU_DEP_1) | instskip(NEXT) | instid1(VALU_DEP_1)
	v_fma_f32 v96, -v85, v94, v95
	v_fmac_f32_e32 v94, v96, v93
	s_delay_alu instid0(VALU_DEP_1) | instskip(NEXT) | instid1(VALU_DEP_1)
	v_fma_f32 v85, -v85, v94, v95
	v_div_fmas_f32 v85, v85, v93, v94
	s_delay_alu instid0(VALU_DEP_1) | instskip(NEXT) | instid1(VALU_DEP_1)
	v_div_fixup_f32 v85, v85, v87, v86
	v_fmac_f32_e32 v87, v86, v85
	s_delay_alu instid0(VALU_DEP_1) | instskip(SKIP_1) | instid1(VALU_DEP_2)
	v_div_scale_f32 v86, null, v87, v87, 1.0
	v_div_scale_f32 v95, vcc_lo, 1.0, v87, 1.0
	v_rcp_f32_e32 v93, v86
	v_nop
	s_delay_alu instid0(TRANS32_DEP_1) | instskip(NEXT) | instid1(VALU_DEP_1)
	v_fma_f32 v94, -v86, v93, 1.0
	v_fmac_f32_e32 v93, v94, v93
	s_delay_alu instid0(VALU_DEP_1) | instskip(NEXT) | instid1(VALU_DEP_1)
	v_mul_f32_e32 v94, v95, v93
	v_fma_f32 v96, -v86, v94, v95
	s_delay_alu instid0(VALU_DEP_1) | instskip(NEXT) | instid1(VALU_DEP_1)
	v_fmac_f32_e32 v94, v96, v93
	v_fma_f32 v86, -v86, v94, v95
	s_delay_alu instid0(VALU_DEP_1) | instskip(NEXT) | instid1(VALU_DEP_1)
	v_div_fmas_f32 v86, v86, v93, v94
	v_div_fixup_f32 v87, v86, v87, 1.0
	s_delay_alu instid0(VALU_DEP_1)
	v_mul_f32_e32 v86, v85, v87
	v_xor_b32_e32 v87, 0x80000000, v87
.LBB76_112:
	s_and_not1_saveexec_b32 s1, s1
	s_cbranch_execz .LBB76_114
; %bb.113:
	s_delay_alu instid0(VALU_DEP_1) | instskip(SKIP_1) | instid1(VALU_DEP_2)
	v_div_scale_f32 v85, null, v86, v86, v87
	v_div_scale_f32 v95, vcc_lo, v87, v86, v87
	v_rcp_f32_e32 v93, v85
	v_nop
	s_delay_alu instid0(TRANS32_DEP_1) | instskip(NEXT) | instid1(VALU_DEP_1)
	v_fma_f32 v94, -v85, v93, 1.0
	v_fmac_f32_e32 v93, v94, v93
	s_delay_alu instid0(VALU_DEP_1) | instskip(NEXT) | instid1(VALU_DEP_1)
	v_mul_f32_e32 v94, v95, v93
	v_fma_f32 v96, -v85, v94, v95
	s_delay_alu instid0(VALU_DEP_1) | instskip(NEXT) | instid1(VALU_DEP_1)
	v_fmac_f32_e32 v94, v96, v93
	v_fma_f32 v85, -v85, v94, v95
	s_delay_alu instid0(VALU_DEP_1) | instskip(NEXT) | instid1(VALU_DEP_1)
	v_div_fmas_f32 v85, v85, v93, v94
	v_div_fixup_f32 v85, v85, v86, v87
	s_delay_alu instid0(VALU_DEP_1) | instskip(NEXT) | instid1(VALU_DEP_1)
	v_fmac_f32_e32 v86, v87, v85
	v_div_scale_f32 v87, null, v86, v86, 1.0
	s_delay_alu instid0(VALU_DEP_1) | instskip(SKIP_1) | instid1(TRANS32_DEP_1)
	v_rcp_f32_e32 v93, v87
	v_nop
	v_fma_f32 v94, -v87, v93, 1.0
	s_delay_alu instid0(VALU_DEP_1) | instskip(SKIP_1) | instid1(VALU_DEP_1)
	v_fmac_f32_e32 v93, v94, v93
	v_div_scale_f32 v94, vcc_lo, 1.0, v86, 1.0
	v_mul_f32_e32 v95, v94, v93
	s_delay_alu instid0(VALU_DEP_1) | instskip(NEXT) | instid1(VALU_DEP_1)
	v_fma_f32 v96, -v87, v95, v94
	v_fmac_f32_e32 v95, v96, v93
	s_delay_alu instid0(VALU_DEP_1) | instskip(NEXT) | instid1(VALU_DEP_1)
	v_fma_f32 v87, -v87, v95, v94
	v_div_fmas_f32 v87, v87, v93, v95
	s_delay_alu instid0(VALU_DEP_1) | instskip(NEXT) | instid1(VALU_DEP_1)
	v_div_fixup_f32 v86, v87, v86, 1.0
	v_mul_f32_e64 v87, v85, -v86
.LBB76_114:
	s_or_b32 exec_lo, exec_lo, s1
.LBB76_115:
	s_delay_alu instid0(SALU_CYCLE_1) | instskip(NEXT) | instid1(SALU_CYCLE_1)
	s_or_b32 exec_lo, exec_lo, s0
	s_mov_b32 s0, exec_lo
	v_cmpx_ne_u32_e64 v92, v84
	s_xor_b32 s0, exec_lo, s0
	s_cbranch_execz .LBB76_121
; %bb.116:
	s_mov_b32 s1, exec_lo
	v_cmpx_eq_u32_e32 5, v92
	s_cbranch_execz .LBB76_120
; %bb.117:
	v_cmp_ne_u32_e32 vcc_lo, 5, v84
	s_xor_b32 s12, s16, -1
	s_delay_alu instid0(SALU_CYCLE_1) | instskip(NEXT) | instid1(SALU_CYCLE_1)
	s_and_b32 s13, s12, vcc_lo
	s_and_saveexec_b32 s12, s13
	s_cbranch_execz .LBB76_119
; %bb.118:
	v_ashrrev_i32_e32 v85, 31, v84
	s_delay_alu instid0(VALU_DEP_1)
	v_lshl_add_u64 v[92:93], v[84:85], 2, v[4:5]
	s_clause 0x1
	global_load_b32 v85, v[92:93], off
	global_load_b32 v91, v[4:5], off offset:20
	s_wait_loadcnt 0x1
	global_store_b32 v[4:5], v85, off offset:20
	s_wait_loadcnt 0x0
	global_store_b32 v[92:93], v91, off
.LBB76_119:
	s_wait_xcnt 0x0
	s_or_b32 exec_lo, exec_lo, s12
	v_dual_mov_b32 v92, v84 :: v_dual_mov_b32 v91, v84
.LBB76_120:
	s_or_b32 exec_lo, exec_lo, s1
.LBB76_121:
	s_and_not1_saveexec_b32 s0, s0
	s_cbranch_execz .LBB76_123
; %bb.122:
	v_dual_mov_b32 v84, v14 :: v_dual_mov_b32 v85, v15
	v_dual_mov_b32 v92, v12 :: v_dual_mov_b32 v93, v13
	ds_store_2addr_b64 v88, v[84:85], v[92:93] offset0:6 offset1:7
	v_dual_mov_b32 v84, v56 :: v_dual_mov_b32 v85, v57
	v_dual_mov_b32 v92, v54 :: v_dual_mov_b32 v93, v55
	ds_store_2addr_b64 v88, v[84:85], v[92:93] offset0:8 offset1:9
	;; [unrolled: 3-line block ×16, first 2 shown]
	ds_store_b64 v88, v[82:83] offset:304
	v_mov_b32_e32 v92, 5
.LBB76_123:
	s_or_b32 exec_lo, exec_lo, s0
	s_delay_alu instid0(SALU_CYCLE_1)
	s_mov_b32 s0, exec_lo
	s_wait_storecnt_dscnt 0x0
	s_barrier_signal -1
	s_barrier_wait -1
	v_cmpx_lt_i32_e32 5, v92
	s_cbranch_execz .LBB76_125
; %bb.124:
	v_pk_mul_f32 v[94:95], v[86:87], v[50:51] op_sel:[1,1] op_sel_hi:[0,1]
	s_delay_alu instid0(VALU_DEP_1)
	v_pk_fma_f32 v[84:85], v[86:87], v[50:51], v[94:95] op_sel_hi:[1,0,1] neg_lo:[0,0,1] neg_hi:[0,0,1]
	v_pk_fma_f32 v[86:87], v[86:87], v[50:51], v[94:95] op_sel_hi:[1,0,1]
	ds_load_2addr_b64 v[94:97], v88 offset0:6 offset1:7
	v_dual_mov_b32 v50, v84 :: v_dual_mov_b32 v51, v87
	s_wait_dscnt 0x0
	v_pk_mul_f32 v[98:99], v[94:95], v[86:87] op_sel:[0,1]
	s_delay_alu instid0(VALU_DEP_1) | instskip(SKIP_1) | instid1(VALU_DEP_1)
	v_pk_fma_f32 v[100:101], v[94:95], v[84:85], v[98:99] op_sel:[0,0,1] op_sel_hi:[1,1,0] neg_lo:[0,0,1] neg_hi:[0,0,1]
	v_pk_fma_f32 v[94:95], v[94:95], v[84:85], v[98:99] op_sel:[0,0,1] op_sel_hi:[1,0,0]
	v_mov_b32_e32 v101, v95
	v_pk_mul_f32 v[94:95], v[96:97], v[86:87] op_sel:[0,1]
	s_delay_alu instid0(VALU_DEP_1) | instskip(SKIP_1) | instid1(VALU_DEP_1)
	v_pk_fma_f32 v[98:99], v[96:97], v[84:85], v[94:95] op_sel:[0,0,1] op_sel_hi:[1,1,0] neg_lo:[0,0,1] neg_hi:[0,0,1]
	v_pk_fma_f32 v[94:95], v[96:97], v[84:85], v[94:95] op_sel:[0,0,1] op_sel_hi:[1,0,0]
	v_mov_b32_e32 v99, v95
	ds_load_2addr_b64 v[94:97], v88 offset0:8 offset1:9
	v_pk_add_f32 v[14:15], v[14:15], v[100:101] neg_lo:[0,1] neg_hi:[0,1]
	v_pk_add_f32 v[12:13], v[12:13], v[98:99] neg_lo:[0,1] neg_hi:[0,1]
	s_wait_dscnt 0x0
	v_pk_mul_f32 v[98:99], v[94:95], v[86:87] op_sel:[0,1]
	s_delay_alu instid0(VALU_DEP_1) | instskip(SKIP_2) | instid1(VALU_DEP_2)
	v_pk_fma_f32 v[100:101], v[94:95], v[84:85], v[98:99] op_sel:[0,0,1] op_sel_hi:[1,1,0] neg_lo:[0,0,1] neg_hi:[0,0,1]
	v_pk_fma_f32 v[94:95], v[94:95], v[84:85], v[98:99] op_sel:[0,0,1] op_sel_hi:[1,0,0]
	v_dual_mul_f32 v98, v97, v87 :: v_dual_mov_b32 v94, v97
	v_dual_mov_b32 v101, v95 :: v_dual_mov_b32 v95, v96
	s_delay_alu instid0(VALU_DEP_2) | instskip(SKIP_1) | instid1(VALU_DEP_3)
	v_pk_fma_f32 v[98:99], v[96:97], v[50:51], v[98:99] op_sel_hi:[1,1,0] neg_lo:[0,0,1] neg_hi:[0,0,1]
	v_mul_f32_e32 v96, v97, v84
	v_pk_add_f32 v[56:57], v[56:57], v[100:101] neg_lo:[0,1] neg_hi:[0,1]
	s_delay_alu instid0(VALU_DEP_2) | instskip(NEXT) | instid1(VALU_DEP_1)
	v_pk_fma_f32 v[94:95], v[94:95], v[50:51], v[96:97] op_sel_hi:[1,1,0]
	v_mov_b32_e32 v99, v95
	ds_load_2addr_b64 v[94:97], v88 offset0:10 offset1:11
	v_pk_add_f32 v[54:55], v[54:55], v[98:99] neg_lo:[0,1] neg_hi:[0,1]
	s_wait_dscnt 0x0
	v_pk_mul_f32 v[98:99], v[94:95], v[86:87] op_sel:[0,1]
	s_delay_alu instid0(VALU_DEP_1) | instskip(SKIP_1) | instid1(VALU_DEP_1)
	v_pk_fma_f32 v[100:101], v[94:95], v[84:85], v[98:99] op_sel:[0,0,1] op_sel_hi:[1,1,0] neg_lo:[0,0,1] neg_hi:[0,0,1]
	v_pk_fma_f32 v[94:95], v[94:95], v[84:85], v[98:99] op_sel:[0,0,1] op_sel_hi:[1,0,0]
	v_mov_b32_e32 v101, v95
	v_pk_mul_f32 v[94:95], v[96:97], v[86:87] op_sel:[0,1]
	s_delay_alu instid0(VALU_DEP_1) | instskip(SKIP_1) | instid1(VALU_DEP_1)
	v_pk_fma_f32 v[98:99], v[96:97], v[84:85], v[94:95] op_sel:[0,0,1] op_sel_hi:[1,1,0] neg_lo:[0,0,1] neg_hi:[0,0,1]
	v_pk_fma_f32 v[94:95], v[96:97], v[84:85], v[94:95] op_sel:[0,0,1] op_sel_hi:[1,0,0]
	v_mov_b32_e32 v99, v95
	ds_load_2addr_b64 v[94:97], v88 offset0:12 offset1:13
	v_pk_add_f32 v[18:19], v[18:19], v[100:101] neg_lo:[0,1] neg_hi:[0,1]
	v_pk_add_f32 v[16:17], v[16:17], v[98:99] neg_lo:[0,1] neg_hi:[0,1]
	s_wait_dscnt 0x0
	v_pk_mul_f32 v[98:99], v[94:95], v[86:87] op_sel:[0,1]
	s_delay_alu instid0(VALU_DEP_1) | instskip(SKIP_1) | instid1(VALU_DEP_1)
	v_pk_fma_f32 v[100:101], v[94:95], v[84:85], v[98:99] op_sel:[0,0,1] op_sel_hi:[1,1,0] neg_lo:[0,0,1] neg_hi:[0,0,1]
	v_pk_fma_f32 v[94:95], v[94:95], v[84:85], v[98:99] op_sel:[0,0,1] op_sel_hi:[1,0,0]
	v_mov_b32_e32 v101, v95
	v_pk_mul_f32 v[94:95], v[96:97], v[86:87] op_sel:[0,1]
	s_delay_alu instid0(VALU_DEP_1) | instskip(SKIP_1) | instid1(VALU_DEP_1)
	v_pk_fma_f32 v[98:99], v[96:97], v[84:85], v[94:95] op_sel:[0,0,1] op_sel_hi:[1,1,0] neg_lo:[0,0,1] neg_hi:[0,0,1]
	v_pk_fma_f32 v[94:95], v[96:97], v[84:85], v[94:95] op_sel:[0,0,1] op_sel_hi:[1,0,0]
	v_mov_b32_e32 v99, v95
	ds_load_2addr_b64 v[94:97], v88 offset0:14 offset1:15
	v_pk_add_f32 v[72:73], v[72:73], v[100:101] neg_lo:[0,1] neg_hi:[0,1]
	v_pk_add_f32 v[70:71], v[70:71], v[98:99] neg_lo:[0,1] neg_hi:[0,1]
	s_wait_dscnt 0x0
	v_dual_mul_f32 v98, v95, v87 :: v_dual_mul_f32 v100, v95, v84
	s_delay_alu instid0(VALU_DEP_1) | instskip(NEXT) | instid1(VALU_DEP_2)
	v_pk_fma_f32 v[98:99], v[94:95], v[50:51], v[98:99] op_sel_hi:[1,1,0] neg_lo:[0,0,1] neg_hi:[0,0,1]
	v_pk_fma_f32 v[94:95], v[94:95], v[50:51], v[100:101] op_sel:[1,0,0] op_sel_hi:[0,1,0]
	s_delay_alu instid0(VALU_DEP_1) | instskip(SKIP_1) | instid1(VALU_DEP_2)
	v_mov_b32_e32 v99, v95
	v_pk_mul_f32 v[94:95], v[96:97], v[86:87] op_sel:[0,1]
	v_pk_add_f32 v[38:39], v[38:39], v[98:99] neg_lo:[0,1] neg_hi:[0,1]
	s_delay_alu instid0(VALU_DEP_2) | instskip(SKIP_1) | instid1(VALU_DEP_1)
	v_pk_fma_f32 v[98:99], v[96:97], v[84:85], v[94:95] op_sel:[0,0,1] op_sel_hi:[1,1,0] neg_lo:[0,0,1] neg_hi:[0,0,1]
	v_pk_fma_f32 v[94:95], v[96:97], v[84:85], v[94:95] op_sel:[0,0,1] op_sel_hi:[1,0,0]
	v_mov_b32_e32 v99, v95
	ds_load_2addr_b64 v[94:97], v88 offset0:16 offset1:17
	v_pk_add_f32 v[36:37], v[36:37], v[98:99] neg_lo:[0,1] neg_hi:[0,1]
	s_wait_dscnt 0x0
	v_pk_mul_f32 v[98:99], v[94:95], v[86:87] op_sel:[0,1]
	s_delay_alu instid0(VALU_DEP_1) | instskip(SKIP_1) | instid1(VALU_DEP_1)
	v_pk_fma_f32 v[100:101], v[94:95], v[84:85], v[98:99] op_sel:[0,0,1] op_sel_hi:[1,1,0] neg_lo:[0,0,1] neg_hi:[0,0,1]
	v_pk_fma_f32 v[94:95], v[94:95], v[84:85], v[98:99] op_sel:[0,0,1] op_sel_hi:[1,0,0]
	v_mov_b32_e32 v101, v95
	v_pk_mul_f32 v[94:95], v[96:97], v[86:87] op_sel:[0,1]
	s_delay_alu instid0(VALU_DEP_2) | instskip(NEXT) | instid1(VALU_DEP_2)
	v_pk_add_f32 v[68:69], v[68:69], v[100:101] neg_lo:[0,1] neg_hi:[0,1]
	v_pk_fma_f32 v[98:99], v[96:97], v[84:85], v[94:95] op_sel:[0,0,1] op_sel_hi:[1,1,0] neg_lo:[0,0,1] neg_hi:[0,0,1]
	v_pk_fma_f32 v[94:95], v[96:97], v[84:85], v[94:95] op_sel:[0,0,1] op_sel_hi:[1,0,0]
	s_delay_alu instid0(VALU_DEP_1) | instskip(SKIP_4) | instid1(VALU_DEP_1)
	v_mov_b32_e32 v99, v95
	ds_load_2addr_b64 v[94:97], v88 offset0:18 offset1:19
	v_pk_add_f32 v[66:67], v[66:67], v[98:99] neg_lo:[0,1] neg_hi:[0,1]
	s_wait_dscnt 0x0
	v_pk_mul_f32 v[98:99], v[94:95], v[86:87] op_sel:[0,1]
	v_pk_fma_f32 v[100:101], v[94:95], v[84:85], v[98:99] op_sel:[0,0,1] op_sel_hi:[1,1,0] neg_lo:[0,0,1] neg_hi:[0,0,1]
	v_pk_fma_f32 v[94:95], v[94:95], v[84:85], v[98:99] op_sel:[0,0,1] op_sel_hi:[1,0,0]
	v_dual_mul_f32 v98, v97, v87 :: v_dual_mov_b32 v94, v97
	s_delay_alu instid0(VALU_DEP_2) | instskip(NEXT) | instid1(VALU_DEP_2)
	v_dual_mov_b32 v101, v95 :: v_dual_mov_b32 v95, v96
	v_pk_fma_f32 v[98:99], v[96:97], v[50:51], v[98:99] op_sel_hi:[1,1,0] neg_lo:[0,0,1] neg_hi:[0,0,1]
	v_mul_f32_e32 v96, v97, v84
	s_delay_alu instid0(VALU_DEP_3) | instskip(NEXT) | instid1(VALU_DEP_2)
	v_pk_add_f32 v[32:33], v[32:33], v[100:101] neg_lo:[0,1] neg_hi:[0,1]
	v_pk_fma_f32 v[94:95], v[94:95], v[50:51], v[96:97] op_sel_hi:[1,1,0]
	s_delay_alu instid0(VALU_DEP_1) | instskip(SKIP_4) | instid1(VALU_DEP_1)
	v_mov_b32_e32 v99, v95
	ds_load_2addr_b64 v[94:97], v88 offset0:20 offset1:21
	v_pk_add_f32 v[30:31], v[30:31], v[98:99] neg_lo:[0,1] neg_hi:[0,1]
	s_wait_dscnt 0x0
	v_pk_mul_f32 v[98:99], v[94:95], v[86:87] op_sel:[0,1]
	v_pk_fma_f32 v[100:101], v[94:95], v[84:85], v[98:99] op_sel:[0,0,1] op_sel_hi:[1,1,0] neg_lo:[0,0,1] neg_hi:[0,0,1]
	v_pk_fma_f32 v[94:95], v[94:95], v[84:85], v[98:99] op_sel:[0,0,1] op_sel_hi:[1,0,0]
	s_delay_alu instid0(VALU_DEP_1) | instskip(SKIP_1) | instid1(VALU_DEP_1)
	v_mov_b32_e32 v101, v95
	v_pk_mul_f32 v[94:95], v[96:97], v[86:87] op_sel:[0,1]
	v_pk_fma_f32 v[98:99], v[96:97], v[84:85], v[94:95] op_sel:[0,0,1] op_sel_hi:[1,1,0] neg_lo:[0,0,1] neg_hi:[0,0,1]
	v_pk_fma_f32 v[94:95], v[96:97], v[84:85], v[94:95] op_sel:[0,0,1] op_sel_hi:[1,0,0]
	s_delay_alu instid0(VALU_DEP_1)
	v_mov_b32_e32 v99, v95
	ds_load_2addr_b64 v[94:97], v88 offset0:22 offset1:23
	v_pk_add_f32 v[64:65], v[64:65], v[100:101] neg_lo:[0,1] neg_hi:[0,1]
	v_pk_add_f32 v[62:63], v[62:63], v[98:99] neg_lo:[0,1] neg_hi:[0,1]
	s_wait_dscnt 0x0
	v_pk_mul_f32 v[98:99], v[94:95], v[86:87] op_sel:[0,1]
	s_delay_alu instid0(VALU_DEP_1) | instskip(SKIP_1) | instid1(VALU_DEP_1)
	v_pk_fma_f32 v[100:101], v[94:95], v[84:85], v[98:99] op_sel:[0,0,1] op_sel_hi:[1,1,0] neg_lo:[0,0,1] neg_hi:[0,0,1]
	v_pk_fma_f32 v[94:95], v[94:95], v[84:85], v[98:99] op_sel:[0,0,1] op_sel_hi:[1,0,0]
	v_mov_b32_e32 v101, v95
	v_pk_mul_f32 v[94:95], v[96:97], v[86:87] op_sel:[0,1]
	s_delay_alu instid0(VALU_DEP_1) | instskip(SKIP_1) | instid1(VALU_DEP_1)
	v_pk_fma_f32 v[98:99], v[96:97], v[84:85], v[94:95] op_sel:[0,0,1] op_sel_hi:[1,1,0] neg_lo:[0,0,1] neg_hi:[0,0,1]
	v_pk_fma_f32 v[94:95], v[96:97], v[84:85], v[94:95] op_sel:[0,0,1] op_sel_hi:[1,0,0]
	v_mov_b32_e32 v99, v95
	ds_load_2addr_b64 v[94:97], v88 offset0:24 offset1:25
	v_pk_add_f32 v[28:29], v[28:29], v[100:101] neg_lo:[0,1] neg_hi:[0,1]
	v_pk_add_f32 v[26:27], v[26:27], v[98:99] neg_lo:[0,1] neg_hi:[0,1]
	s_wait_dscnt 0x0
	v_dual_mul_f32 v98, v95, v87 :: v_dual_mul_f32 v100, v95, v84
	s_delay_alu instid0(VALU_DEP_1) | instskip(NEXT) | instid1(VALU_DEP_2)
	v_pk_fma_f32 v[98:99], v[94:95], v[50:51], v[98:99] op_sel_hi:[1,1,0] neg_lo:[0,0,1] neg_hi:[0,0,1]
	v_pk_fma_f32 v[94:95], v[94:95], v[50:51], v[100:101] op_sel:[1,0,0] op_sel_hi:[0,1,0]
	s_delay_alu instid0(VALU_DEP_1) | instskip(SKIP_1) | instid1(VALU_DEP_2)
	v_mov_b32_e32 v99, v95
	v_pk_mul_f32 v[94:95], v[96:97], v[86:87] op_sel:[0,1]
	v_pk_add_f32 v[60:61], v[60:61], v[98:99] neg_lo:[0,1] neg_hi:[0,1]
	s_delay_alu instid0(VALU_DEP_2) | instskip(SKIP_1) | instid1(VALU_DEP_1)
	v_pk_fma_f32 v[98:99], v[96:97], v[84:85], v[94:95] op_sel:[0,0,1] op_sel_hi:[1,1,0] neg_lo:[0,0,1] neg_hi:[0,0,1]
	v_pk_fma_f32 v[94:95], v[96:97], v[84:85], v[94:95] op_sel:[0,0,1] op_sel_hi:[1,0,0]
	v_mov_b32_e32 v99, v95
	ds_load_2addr_b64 v[94:97], v88 offset0:26 offset1:27
	v_pk_add_f32 v[58:59], v[58:59], v[98:99] neg_lo:[0,1] neg_hi:[0,1]
	s_wait_dscnt 0x0
	v_pk_mul_f32 v[98:99], v[94:95], v[86:87] op_sel:[0,1]
	s_delay_alu instid0(VALU_DEP_1) | instskip(SKIP_1) | instid1(VALU_DEP_1)
	v_pk_fma_f32 v[100:101], v[94:95], v[84:85], v[98:99] op_sel:[0,0,1] op_sel_hi:[1,1,0] neg_lo:[0,0,1] neg_hi:[0,0,1]
	v_pk_fma_f32 v[94:95], v[94:95], v[84:85], v[98:99] op_sel:[0,0,1] op_sel_hi:[1,0,0]
	v_mov_b32_e32 v101, v95
	v_pk_mul_f32 v[94:95], v[96:97], v[86:87] op_sel:[0,1]
	s_delay_alu instid0(VALU_DEP_2) | instskip(NEXT) | instid1(VALU_DEP_2)
	v_pk_add_f32 v[24:25], v[24:25], v[100:101] neg_lo:[0,1] neg_hi:[0,1]
	v_pk_fma_f32 v[98:99], v[96:97], v[84:85], v[94:95] op_sel:[0,0,1] op_sel_hi:[1,1,0] neg_lo:[0,0,1] neg_hi:[0,0,1]
	v_pk_fma_f32 v[94:95], v[96:97], v[84:85], v[94:95] op_sel:[0,0,1] op_sel_hi:[1,0,0]
	s_delay_alu instid0(VALU_DEP_1) | instskip(SKIP_4) | instid1(VALU_DEP_1)
	v_mov_b32_e32 v99, v95
	ds_load_2addr_b64 v[94:97], v88 offset0:28 offset1:29
	v_pk_add_f32 v[22:23], v[22:23], v[98:99] neg_lo:[0,1] neg_hi:[0,1]
	s_wait_dscnt 0x0
	v_pk_mul_f32 v[98:99], v[94:95], v[86:87] op_sel:[0,1]
	v_pk_fma_f32 v[100:101], v[94:95], v[84:85], v[98:99] op_sel:[0,0,1] op_sel_hi:[1,1,0] neg_lo:[0,0,1] neg_hi:[0,0,1]
	v_pk_fma_f32 v[94:95], v[94:95], v[84:85], v[98:99] op_sel:[0,0,1] op_sel_hi:[1,0,0]
	v_dual_mul_f32 v98, v97, v87 :: v_dual_mov_b32 v94, v97
	s_delay_alu instid0(VALU_DEP_2) | instskip(NEXT) | instid1(VALU_DEP_2)
	v_dual_mov_b32 v101, v95 :: v_dual_mov_b32 v95, v96
	v_pk_fma_f32 v[98:99], v[96:97], v[50:51], v[98:99] op_sel_hi:[1,1,0] neg_lo:[0,0,1] neg_hi:[0,0,1]
	v_mul_f32_e32 v96, v97, v84
	s_delay_alu instid0(VALU_DEP_3) | instskip(NEXT) | instid1(VALU_DEP_2)
	v_pk_add_f32 v[48:49], v[48:49], v[100:101] neg_lo:[0,1] neg_hi:[0,1]
	v_pk_fma_f32 v[94:95], v[94:95], v[50:51], v[96:97] op_sel_hi:[1,1,0]
	s_delay_alu instid0(VALU_DEP_1) | instskip(SKIP_4) | instid1(VALU_DEP_1)
	v_mov_b32_e32 v99, v95
	ds_load_2addr_b64 v[94:97], v88 offset0:30 offset1:31
	v_pk_add_f32 v[46:47], v[46:47], v[98:99] neg_lo:[0,1] neg_hi:[0,1]
	s_wait_dscnt 0x0
	v_pk_mul_f32 v[98:99], v[94:95], v[86:87] op_sel:[0,1]
	v_pk_fma_f32 v[100:101], v[94:95], v[84:85], v[98:99] op_sel:[0,0,1] op_sel_hi:[1,1,0] neg_lo:[0,0,1] neg_hi:[0,0,1]
	v_pk_fma_f32 v[94:95], v[94:95], v[84:85], v[98:99] op_sel:[0,0,1] op_sel_hi:[1,0,0]
	s_delay_alu instid0(VALU_DEP_1) | instskip(SKIP_1) | instid1(VALU_DEP_1)
	v_mov_b32_e32 v101, v95
	v_pk_mul_f32 v[94:95], v[96:97], v[86:87] op_sel:[0,1]
	v_pk_fma_f32 v[98:99], v[96:97], v[84:85], v[94:95] op_sel:[0,0,1] op_sel_hi:[1,1,0] neg_lo:[0,0,1] neg_hi:[0,0,1]
	v_pk_fma_f32 v[94:95], v[96:97], v[84:85], v[94:95] op_sel:[0,0,1] op_sel_hi:[1,0,0]
	s_delay_alu instid0(VALU_DEP_1)
	v_mov_b32_e32 v99, v95
	ds_load_2addr_b64 v[94:97], v88 offset0:32 offset1:33
	v_pk_add_f32 v[10:11], v[10:11], v[100:101] neg_lo:[0,1] neg_hi:[0,1]
	v_pk_add_f32 v[6:7], v[6:7], v[98:99] neg_lo:[0,1] neg_hi:[0,1]
	s_wait_dscnt 0x0
	v_pk_mul_f32 v[98:99], v[94:95], v[86:87] op_sel:[0,1]
	s_delay_alu instid0(VALU_DEP_1) | instskip(SKIP_1) | instid1(VALU_DEP_1)
	v_pk_fma_f32 v[100:101], v[94:95], v[84:85], v[98:99] op_sel:[0,0,1] op_sel_hi:[1,1,0] neg_lo:[0,0,1] neg_hi:[0,0,1]
	v_pk_fma_f32 v[94:95], v[94:95], v[84:85], v[98:99] op_sel:[0,0,1] op_sel_hi:[1,0,0]
	v_mov_b32_e32 v101, v95
	v_pk_mul_f32 v[94:95], v[96:97], v[86:87] op_sel:[0,1]
	s_delay_alu instid0(VALU_DEP_1) | instskip(SKIP_1) | instid1(VALU_DEP_1)
	v_pk_fma_f32 v[98:99], v[96:97], v[84:85], v[94:95] op_sel:[0,0,1] op_sel_hi:[1,1,0] neg_lo:[0,0,1] neg_hi:[0,0,1]
	v_pk_fma_f32 v[94:95], v[96:97], v[84:85], v[94:95] op_sel:[0,0,1] op_sel_hi:[1,0,0]
	v_mov_b32_e32 v99, v95
	ds_load_2addr_b64 v[94:97], v88 offset0:34 offset1:35
	v_pk_add_f32 v[44:45], v[44:45], v[100:101] neg_lo:[0,1] neg_hi:[0,1]
	v_pk_add_f32 v[42:43], v[42:43], v[98:99] neg_lo:[0,1] neg_hi:[0,1]
	s_wait_dscnt 0x0
	v_dual_mul_f32 v98, v95, v87 :: v_dual_mul_f32 v100, v95, v84
	s_delay_alu instid0(VALU_DEP_1) | instskip(NEXT) | instid1(VALU_DEP_2)
	v_pk_fma_f32 v[98:99], v[94:95], v[50:51], v[98:99] op_sel_hi:[1,1,0] neg_lo:[0,0,1] neg_hi:[0,0,1]
	v_pk_fma_f32 v[94:95], v[94:95], v[50:51], v[100:101] op_sel:[1,0,0] op_sel_hi:[0,1,0]
	s_delay_alu instid0(VALU_DEP_1) | instskip(SKIP_1) | instid1(VALU_DEP_2)
	v_mov_b32_e32 v99, v95
	v_pk_mul_f32 v[94:95], v[96:97], v[86:87] op_sel:[0,1]
	v_pk_add_f32 v[8:9], v[8:9], v[98:99] neg_lo:[0,1] neg_hi:[0,1]
	s_delay_alu instid0(VALU_DEP_2) | instskip(SKIP_1) | instid1(VALU_DEP_1)
	v_pk_fma_f32 v[98:99], v[96:97], v[84:85], v[94:95] op_sel:[0,0,1] op_sel_hi:[1,1,0] neg_lo:[0,0,1] neg_hi:[0,0,1]
	v_pk_fma_f32 v[94:95], v[96:97], v[84:85], v[94:95] op_sel:[0,0,1] op_sel_hi:[1,0,0]
	v_mov_b32_e32 v99, v95
	ds_load_2addr_b64 v[94:97], v88 offset0:36 offset1:37
	v_pk_add_f32 v[40:41], v[40:41], v[98:99] neg_lo:[0,1] neg_hi:[0,1]
	s_wait_dscnt 0x0
	v_pk_mul_f32 v[98:99], v[94:95], v[86:87] op_sel:[0,1]
	s_delay_alu instid0(VALU_DEP_1) | instskip(SKIP_1) | instid1(VALU_DEP_1)
	v_pk_fma_f32 v[100:101], v[94:95], v[84:85], v[98:99] op_sel:[0,0,1] op_sel_hi:[1,1,0] neg_lo:[0,0,1] neg_hi:[0,0,1]
	v_pk_fma_f32 v[94:95], v[94:95], v[84:85], v[98:99] op_sel:[0,0,1] op_sel_hi:[1,0,0]
	v_mov_b32_e32 v101, v95
	v_pk_mul_f32 v[94:95], v[96:97], v[86:87] op_sel:[0,1]
	s_delay_alu instid0(VALU_DEP_2) | instskip(NEXT) | instid1(VALU_DEP_2)
	v_pk_add_f32 v[34:35], v[34:35], v[100:101] neg_lo:[0,1] neg_hi:[0,1]
	v_pk_fma_f32 v[98:99], v[96:97], v[84:85], v[94:95] op_sel:[0,0,1] op_sel_hi:[1,1,0] neg_lo:[0,0,1] neg_hi:[0,0,1]
	v_pk_fma_f32 v[94:95], v[96:97], v[84:85], v[94:95] op_sel:[0,0,1] op_sel_hi:[1,0,0]
	s_delay_alu instid0(VALU_DEP_1) | instskip(SKIP_4) | instid1(VALU_DEP_1)
	v_mov_b32_e32 v99, v95
	ds_load_b64 v[94:95], v88 offset:304
	v_pk_add_f32 v[20:21], v[20:21], v[98:99] neg_lo:[0,1] neg_hi:[0,1]
	s_wait_dscnt 0x0
	v_pk_mul_f32 v[86:87], v[94:95], v[86:87] op_sel:[0,1]
	v_pk_fma_f32 v[96:97], v[94:95], v[84:85], v[86:87] op_sel:[0,0,1] op_sel_hi:[1,1,0] neg_lo:[0,0,1] neg_hi:[0,0,1]
	v_pk_fma_f32 v[84:85], v[94:95], v[84:85], v[86:87] op_sel:[0,0,1] op_sel_hi:[1,0,0]
	s_delay_alu instid0(VALU_DEP_1) | instskip(NEXT) | instid1(VALU_DEP_1)
	v_mov_b32_e32 v97, v85
	v_pk_add_f32 v[82:83], v[82:83], v[96:97] neg_lo:[0,1] neg_hi:[0,1]
.LBB76_125:
	s_or_b32 exec_lo, exec_lo, s0
	v_lshl_add_u32 v84, v92, 3, v88
	s_barrier_signal -1
	s_barrier_wait -1
	ds_store_b64 v84, v[14:15]
	s_wait_dscnt 0x0
	s_barrier_signal -1
	s_barrier_wait -1
	ds_load_b64 v[86:87], v88 offset:48
	v_mov_b32_e32 v84, 6
	s_cmp_lt_i32 s18, 8
	s_cbranch_scc1 .LBB76_128
; %bb.126:
	v_add3_u32 v85, v89, 0, 56
	v_mov_b32_e32 v84, 6
	s_mov_b32 s0, 7
.LBB76_127:                             ; =>This Inner Loop Header: Depth=1
	ds_load_b64 v[94:95], v85
	s_wait_dscnt 0x1
	v_cmp_gt_f32_e32 vcc_lo, 0, v86
	v_cndmask_b32_e64 v96, v86, -v86, vcc_lo
	v_cmp_gt_f32_e32 vcc_lo, 0, v87
	v_cndmask_b32_e64 v98, v87, -v87, vcc_lo
	s_wait_dscnt 0x0
	v_cmp_gt_f32_e32 vcc_lo, 0, v94
	v_cndmask_b32_e64 v97, v94, -v94, vcc_lo
	v_cmp_gt_f32_e32 vcc_lo, 0, v95
	v_cndmask_b32_e64 v99, v95, -v95, vcc_lo
	s_delay_alu instid0(VALU_DEP_1) | instskip(NEXT) | instid1(VALU_DEP_1)
	v_pk_add_f32 v[96:97], v[96:97], v[98:99]
	v_cmp_lt_f32_e32 vcc_lo, v96, v97
	v_dual_add_nc_u32 v85, 8, v85 :: v_dual_cndmask_b32 v87, v87, v95, vcc_lo
	v_cndmask_b32_e32 v86, v86, v94, vcc_lo
	v_cndmask_b32_e64 v84, v84, s0, vcc_lo
	s_add_co_i32 s0, s0, 1
	s_delay_alu instid0(SALU_CYCLE_1)
	s_cmp_lg_u32 s18, s0
	s_cbranch_scc1 .LBB76_127
.LBB76_128:
	s_wait_dscnt 0x0
	v_cmp_eq_f32_e32 vcc_lo, 0, v86
	v_cmp_eq_f32_e64 s0, 0, v87
	s_and_b32 s0, vcc_lo, s0
	s_delay_alu instid0(SALU_CYCLE_1) | instskip(NEXT) | instid1(SALU_CYCLE_1)
	s_and_saveexec_b32 s1, s0
	s_xor_b32 s0, exec_lo, s1
; %bb.129:
	v_cmp_ne_u32_e32 vcc_lo, 0, v90
	v_cndmask_b32_e32 v90, 7, v90, vcc_lo
; %bb.130:
	s_and_not1_saveexec_b32 s0, s0
	s_cbranch_execz .LBB76_136
; %bb.131:
	v_cmp_ngt_f32_e64 s1, |v86|, |v87|
	s_and_saveexec_b32 s12, s1
	s_delay_alu instid0(SALU_CYCLE_1)
	s_xor_b32 s1, exec_lo, s12
	s_cbranch_execz .LBB76_133
; %bb.132:
	v_div_scale_f32 v85, null, v87, v87, v86
	v_div_scale_f32 v95, vcc_lo, v86, v87, v86
	s_delay_alu instid0(VALU_DEP_2) | instskip(SKIP_1) | instid1(TRANS32_DEP_1)
	v_rcp_f32_e32 v93, v85
	v_nop
	v_fma_f32 v94, -v85, v93, 1.0
	s_delay_alu instid0(VALU_DEP_1) | instskip(NEXT) | instid1(VALU_DEP_1)
	v_fmac_f32_e32 v93, v94, v93
	v_mul_f32_e32 v94, v95, v93
	s_delay_alu instid0(VALU_DEP_1) | instskip(NEXT) | instid1(VALU_DEP_1)
	v_fma_f32 v96, -v85, v94, v95
	v_fmac_f32_e32 v94, v96, v93
	s_delay_alu instid0(VALU_DEP_1) | instskip(NEXT) | instid1(VALU_DEP_1)
	v_fma_f32 v85, -v85, v94, v95
	v_div_fmas_f32 v85, v85, v93, v94
	s_delay_alu instid0(VALU_DEP_1) | instskip(NEXT) | instid1(VALU_DEP_1)
	v_div_fixup_f32 v85, v85, v87, v86
	v_fmac_f32_e32 v87, v86, v85
	s_delay_alu instid0(VALU_DEP_1) | instskip(SKIP_1) | instid1(VALU_DEP_2)
	v_div_scale_f32 v86, null, v87, v87, 1.0
	v_div_scale_f32 v95, vcc_lo, 1.0, v87, 1.0
	v_rcp_f32_e32 v93, v86
	v_nop
	s_delay_alu instid0(TRANS32_DEP_1) | instskip(NEXT) | instid1(VALU_DEP_1)
	v_fma_f32 v94, -v86, v93, 1.0
	v_fmac_f32_e32 v93, v94, v93
	s_delay_alu instid0(VALU_DEP_1) | instskip(NEXT) | instid1(VALU_DEP_1)
	v_mul_f32_e32 v94, v95, v93
	v_fma_f32 v96, -v86, v94, v95
	s_delay_alu instid0(VALU_DEP_1) | instskip(NEXT) | instid1(VALU_DEP_1)
	v_fmac_f32_e32 v94, v96, v93
	v_fma_f32 v86, -v86, v94, v95
	s_delay_alu instid0(VALU_DEP_1) | instskip(NEXT) | instid1(VALU_DEP_1)
	v_div_fmas_f32 v86, v86, v93, v94
	v_div_fixup_f32 v87, v86, v87, 1.0
	s_delay_alu instid0(VALU_DEP_1)
	v_mul_f32_e32 v86, v85, v87
	v_xor_b32_e32 v87, 0x80000000, v87
.LBB76_133:
	s_and_not1_saveexec_b32 s1, s1
	s_cbranch_execz .LBB76_135
; %bb.134:
	s_delay_alu instid0(VALU_DEP_1) | instskip(SKIP_1) | instid1(VALU_DEP_2)
	v_div_scale_f32 v85, null, v86, v86, v87
	v_div_scale_f32 v95, vcc_lo, v87, v86, v87
	v_rcp_f32_e32 v93, v85
	v_nop
	s_delay_alu instid0(TRANS32_DEP_1) | instskip(NEXT) | instid1(VALU_DEP_1)
	v_fma_f32 v94, -v85, v93, 1.0
	v_fmac_f32_e32 v93, v94, v93
	s_delay_alu instid0(VALU_DEP_1) | instskip(NEXT) | instid1(VALU_DEP_1)
	v_mul_f32_e32 v94, v95, v93
	v_fma_f32 v96, -v85, v94, v95
	s_delay_alu instid0(VALU_DEP_1) | instskip(NEXT) | instid1(VALU_DEP_1)
	v_fmac_f32_e32 v94, v96, v93
	v_fma_f32 v85, -v85, v94, v95
	s_delay_alu instid0(VALU_DEP_1) | instskip(NEXT) | instid1(VALU_DEP_1)
	v_div_fmas_f32 v85, v85, v93, v94
	v_div_fixup_f32 v85, v85, v86, v87
	s_delay_alu instid0(VALU_DEP_1) | instskip(NEXT) | instid1(VALU_DEP_1)
	v_fmac_f32_e32 v86, v87, v85
	v_div_scale_f32 v87, null, v86, v86, 1.0
	s_delay_alu instid0(VALU_DEP_1) | instskip(SKIP_1) | instid1(TRANS32_DEP_1)
	v_rcp_f32_e32 v93, v87
	v_nop
	v_fma_f32 v94, -v87, v93, 1.0
	s_delay_alu instid0(VALU_DEP_1) | instskip(SKIP_1) | instid1(VALU_DEP_1)
	v_fmac_f32_e32 v93, v94, v93
	v_div_scale_f32 v94, vcc_lo, 1.0, v86, 1.0
	v_mul_f32_e32 v95, v94, v93
	s_delay_alu instid0(VALU_DEP_1) | instskip(NEXT) | instid1(VALU_DEP_1)
	v_fma_f32 v96, -v87, v95, v94
	v_fmac_f32_e32 v95, v96, v93
	s_delay_alu instid0(VALU_DEP_1) | instskip(NEXT) | instid1(VALU_DEP_1)
	v_fma_f32 v87, -v87, v95, v94
	v_div_fmas_f32 v87, v87, v93, v95
	s_delay_alu instid0(VALU_DEP_1) | instskip(NEXT) | instid1(VALU_DEP_1)
	v_div_fixup_f32 v86, v87, v86, 1.0
	v_mul_f32_e64 v87, v85, -v86
.LBB76_135:
	s_or_b32 exec_lo, exec_lo, s1
.LBB76_136:
	s_delay_alu instid0(SALU_CYCLE_1) | instskip(NEXT) | instid1(SALU_CYCLE_1)
	s_or_b32 exec_lo, exec_lo, s0
	s_mov_b32 s0, exec_lo
	v_cmpx_ne_u32_e64 v92, v84
	s_xor_b32 s0, exec_lo, s0
	s_cbranch_execz .LBB76_142
; %bb.137:
	s_mov_b32 s1, exec_lo
	v_cmpx_eq_u32_e32 6, v92
	s_cbranch_execz .LBB76_141
; %bb.138:
	v_cmp_ne_u32_e32 vcc_lo, 6, v84
	s_xor_b32 s12, s16, -1
	s_delay_alu instid0(SALU_CYCLE_1) | instskip(NEXT) | instid1(SALU_CYCLE_1)
	s_and_b32 s13, s12, vcc_lo
	s_and_saveexec_b32 s12, s13
	s_cbranch_execz .LBB76_140
; %bb.139:
	v_ashrrev_i32_e32 v85, 31, v84
	s_delay_alu instid0(VALU_DEP_1)
	v_lshl_add_u64 v[92:93], v[84:85], 2, v[4:5]
	s_clause 0x1
	global_load_b32 v85, v[92:93], off
	global_load_b32 v91, v[4:5], off offset:24
	s_wait_loadcnt 0x1
	global_store_b32 v[4:5], v85, off offset:24
	s_wait_loadcnt 0x0
	global_store_b32 v[92:93], v91, off
.LBB76_140:
	s_wait_xcnt 0x0
	s_or_b32 exec_lo, exec_lo, s12
	v_dual_mov_b32 v92, v84 :: v_dual_mov_b32 v91, v84
.LBB76_141:
	s_or_b32 exec_lo, exec_lo, s1
.LBB76_142:
	s_and_not1_saveexec_b32 s0, s0
	s_cbranch_execz .LBB76_144
; %bb.143:
	v_mov_b32_e32 v92, 6
	ds_store_2addr_b64 v88, v[12:13], v[56:57] offset0:7 offset1:8
	ds_store_2addr_b64 v88, v[54:55], v[18:19] offset0:9 offset1:10
	;; [unrolled: 1-line block ×16, first 2 shown]
.LBB76_144:
	s_or_b32 exec_lo, exec_lo, s0
	s_delay_alu instid0(SALU_CYCLE_1)
	s_mov_b32 s0, exec_lo
	s_wait_storecnt_dscnt 0x0
	s_barrier_signal -1
	s_barrier_wait -1
	v_cmpx_lt_i32_e32 6, v92
	s_cbranch_execz .LBB76_146
; %bb.145:
	v_pk_mul_f32 v[94:95], v[86:87], v[14:15] op_sel:[1,1] op_sel_hi:[0,1]
	s_delay_alu instid0(VALU_DEP_1)
	v_pk_fma_f32 v[84:85], v[86:87], v[14:15], v[94:95] op_sel_hi:[1,0,1] neg_lo:[0,0,1] neg_hi:[0,0,1]
	v_pk_fma_f32 v[86:87], v[86:87], v[14:15], v[94:95] op_sel_hi:[1,0,1]
	ds_load_2addr_b64 v[94:97], v88 offset0:7 offset1:8
	v_dual_mov_b32 v14, v84 :: v_dual_mov_b32 v15, v87
	s_wait_dscnt 0x0
	v_pk_mul_f32 v[98:99], v[94:95], v[86:87] op_sel:[0,1]
	s_delay_alu instid0(VALU_DEP_1) | instskip(SKIP_1) | instid1(VALU_DEP_1)
	v_pk_fma_f32 v[100:101], v[94:95], v[84:85], v[98:99] op_sel:[0,0,1] op_sel_hi:[1,1,0] neg_lo:[0,0,1] neg_hi:[0,0,1]
	v_pk_fma_f32 v[94:95], v[94:95], v[84:85], v[98:99] op_sel:[0,0,1] op_sel_hi:[1,0,0]
	v_mov_b32_e32 v101, v95
	v_pk_mul_f32 v[94:95], v[96:97], v[86:87] op_sel:[0,1]
	s_delay_alu instid0(VALU_DEP_1) | instskip(SKIP_1) | instid1(VALU_DEP_1)
	v_pk_fma_f32 v[98:99], v[96:97], v[84:85], v[94:95] op_sel:[0,0,1] op_sel_hi:[1,1,0] neg_lo:[0,0,1] neg_hi:[0,0,1]
	v_pk_fma_f32 v[94:95], v[96:97], v[84:85], v[94:95] op_sel:[0,0,1] op_sel_hi:[1,0,0]
	v_mov_b32_e32 v99, v95
	ds_load_2addr_b64 v[94:97], v88 offset0:9 offset1:10
	v_pk_add_f32 v[12:13], v[12:13], v[100:101] neg_lo:[0,1] neg_hi:[0,1]
	v_pk_add_f32 v[56:57], v[56:57], v[98:99] neg_lo:[0,1] neg_hi:[0,1]
	s_wait_dscnt 0x0
	v_pk_mul_f32 v[98:99], v[94:95], v[86:87] op_sel:[0,1]
	s_delay_alu instid0(VALU_DEP_1) | instskip(SKIP_2) | instid1(VALU_DEP_2)
	v_pk_fma_f32 v[100:101], v[94:95], v[84:85], v[98:99] op_sel:[0,0,1] op_sel_hi:[1,1,0] neg_lo:[0,0,1] neg_hi:[0,0,1]
	v_pk_fma_f32 v[94:95], v[94:95], v[84:85], v[98:99] op_sel:[0,0,1] op_sel_hi:[1,0,0]
	v_dual_mul_f32 v98, v97, v87 :: v_dual_mov_b32 v94, v97
	v_dual_mov_b32 v101, v95 :: v_dual_mov_b32 v95, v96
	s_delay_alu instid0(VALU_DEP_2) | instskip(SKIP_1) | instid1(VALU_DEP_3)
	v_pk_fma_f32 v[98:99], v[96:97], v[14:15], v[98:99] op_sel_hi:[1,1,0] neg_lo:[0,0,1] neg_hi:[0,0,1]
	v_mul_f32_e32 v96, v97, v84
	v_pk_add_f32 v[54:55], v[54:55], v[100:101] neg_lo:[0,1] neg_hi:[0,1]
	s_delay_alu instid0(VALU_DEP_2) | instskip(NEXT) | instid1(VALU_DEP_1)
	v_pk_fma_f32 v[94:95], v[94:95], v[14:15], v[96:97] op_sel_hi:[1,1,0]
	v_mov_b32_e32 v99, v95
	ds_load_2addr_b64 v[94:97], v88 offset0:11 offset1:12
	v_pk_add_f32 v[18:19], v[18:19], v[98:99] neg_lo:[0,1] neg_hi:[0,1]
	s_wait_dscnt 0x0
	v_pk_mul_f32 v[98:99], v[94:95], v[86:87] op_sel:[0,1]
	s_delay_alu instid0(VALU_DEP_1) | instskip(SKIP_1) | instid1(VALU_DEP_1)
	v_pk_fma_f32 v[100:101], v[94:95], v[84:85], v[98:99] op_sel:[0,0,1] op_sel_hi:[1,1,0] neg_lo:[0,0,1] neg_hi:[0,0,1]
	v_pk_fma_f32 v[94:95], v[94:95], v[84:85], v[98:99] op_sel:[0,0,1] op_sel_hi:[1,0,0]
	v_mov_b32_e32 v101, v95
	v_pk_mul_f32 v[94:95], v[96:97], v[86:87] op_sel:[0,1]
	s_delay_alu instid0(VALU_DEP_1) | instskip(SKIP_1) | instid1(VALU_DEP_1)
	v_pk_fma_f32 v[98:99], v[96:97], v[84:85], v[94:95] op_sel:[0,0,1] op_sel_hi:[1,1,0] neg_lo:[0,0,1] neg_hi:[0,0,1]
	v_pk_fma_f32 v[94:95], v[96:97], v[84:85], v[94:95] op_sel:[0,0,1] op_sel_hi:[1,0,0]
	v_mov_b32_e32 v99, v95
	ds_load_2addr_b64 v[94:97], v88 offset0:13 offset1:14
	v_pk_add_f32 v[16:17], v[16:17], v[100:101] neg_lo:[0,1] neg_hi:[0,1]
	v_pk_add_f32 v[72:73], v[72:73], v[98:99] neg_lo:[0,1] neg_hi:[0,1]
	s_wait_dscnt 0x0
	v_pk_mul_f32 v[98:99], v[94:95], v[86:87] op_sel:[0,1]
	s_delay_alu instid0(VALU_DEP_1) | instskip(SKIP_1) | instid1(VALU_DEP_1)
	v_pk_fma_f32 v[100:101], v[94:95], v[84:85], v[98:99] op_sel:[0,0,1] op_sel_hi:[1,1,0] neg_lo:[0,0,1] neg_hi:[0,0,1]
	v_pk_fma_f32 v[94:95], v[94:95], v[84:85], v[98:99] op_sel:[0,0,1] op_sel_hi:[1,0,0]
	v_mov_b32_e32 v101, v95
	v_pk_mul_f32 v[94:95], v[96:97], v[86:87] op_sel:[0,1]
	s_delay_alu instid0(VALU_DEP_1) | instskip(SKIP_1) | instid1(VALU_DEP_1)
	v_pk_fma_f32 v[98:99], v[96:97], v[84:85], v[94:95] op_sel:[0,0,1] op_sel_hi:[1,1,0] neg_lo:[0,0,1] neg_hi:[0,0,1]
	v_pk_fma_f32 v[94:95], v[96:97], v[84:85], v[94:95] op_sel:[0,0,1] op_sel_hi:[1,0,0]
	v_mov_b32_e32 v99, v95
	ds_load_2addr_b64 v[94:97], v88 offset0:15 offset1:16
	v_pk_add_f32 v[70:71], v[70:71], v[100:101] neg_lo:[0,1] neg_hi:[0,1]
	v_pk_add_f32 v[38:39], v[38:39], v[98:99] neg_lo:[0,1] neg_hi:[0,1]
	s_wait_dscnt 0x0
	v_dual_mul_f32 v98, v95, v87 :: v_dual_mul_f32 v100, v95, v84
	s_delay_alu instid0(VALU_DEP_1) | instskip(NEXT) | instid1(VALU_DEP_2)
	v_pk_fma_f32 v[98:99], v[94:95], v[14:15], v[98:99] op_sel_hi:[1,1,0] neg_lo:[0,0,1] neg_hi:[0,0,1]
	v_pk_fma_f32 v[94:95], v[94:95], v[14:15], v[100:101] op_sel:[1,0,0] op_sel_hi:[0,1,0]
	s_delay_alu instid0(VALU_DEP_1) | instskip(SKIP_1) | instid1(VALU_DEP_2)
	v_mov_b32_e32 v99, v95
	v_pk_mul_f32 v[94:95], v[96:97], v[86:87] op_sel:[0,1]
	v_pk_add_f32 v[36:37], v[36:37], v[98:99] neg_lo:[0,1] neg_hi:[0,1]
	s_delay_alu instid0(VALU_DEP_2) | instskip(SKIP_1) | instid1(VALU_DEP_1)
	v_pk_fma_f32 v[98:99], v[96:97], v[84:85], v[94:95] op_sel:[0,0,1] op_sel_hi:[1,1,0] neg_lo:[0,0,1] neg_hi:[0,0,1]
	v_pk_fma_f32 v[94:95], v[96:97], v[84:85], v[94:95] op_sel:[0,0,1] op_sel_hi:[1,0,0]
	v_mov_b32_e32 v99, v95
	ds_load_2addr_b64 v[94:97], v88 offset0:17 offset1:18
	v_pk_add_f32 v[68:69], v[68:69], v[98:99] neg_lo:[0,1] neg_hi:[0,1]
	s_wait_dscnt 0x0
	v_pk_mul_f32 v[98:99], v[94:95], v[86:87] op_sel:[0,1]
	s_delay_alu instid0(VALU_DEP_1) | instskip(SKIP_1) | instid1(VALU_DEP_1)
	v_pk_fma_f32 v[100:101], v[94:95], v[84:85], v[98:99] op_sel:[0,0,1] op_sel_hi:[1,1,0] neg_lo:[0,0,1] neg_hi:[0,0,1]
	v_pk_fma_f32 v[94:95], v[94:95], v[84:85], v[98:99] op_sel:[0,0,1] op_sel_hi:[1,0,0]
	v_mov_b32_e32 v101, v95
	v_pk_mul_f32 v[94:95], v[96:97], v[86:87] op_sel:[0,1]
	s_delay_alu instid0(VALU_DEP_2) | instskip(NEXT) | instid1(VALU_DEP_2)
	v_pk_add_f32 v[66:67], v[66:67], v[100:101] neg_lo:[0,1] neg_hi:[0,1]
	v_pk_fma_f32 v[98:99], v[96:97], v[84:85], v[94:95] op_sel:[0,0,1] op_sel_hi:[1,1,0] neg_lo:[0,0,1] neg_hi:[0,0,1]
	v_pk_fma_f32 v[94:95], v[96:97], v[84:85], v[94:95] op_sel:[0,0,1] op_sel_hi:[1,0,0]
	s_delay_alu instid0(VALU_DEP_1) | instskip(SKIP_4) | instid1(VALU_DEP_1)
	v_mov_b32_e32 v99, v95
	ds_load_2addr_b64 v[94:97], v88 offset0:19 offset1:20
	v_pk_add_f32 v[32:33], v[32:33], v[98:99] neg_lo:[0,1] neg_hi:[0,1]
	s_wait_dscnt 0x0
	v_pk_mul_f32 v[98:99], v[94:95], v[86:87] op_sel:[0,1]
	v_pk_fma_f32 v[100:101], v[94:95], v[84:85], v[98:99] op_sel:[0,0,1] op_sel_hi:[1,1,0] neg_lo:[0,0,1] neg_hi:[0,0,1]
	v_pk_fma_f32 v[94:95], v[94:95], v[84:85], v[98:99] op_sel:[0,0,1] op_sel_hi:[1,0,0]
	v_dual_mul_f32 v98, v97, v87 :: v_dual_mov_b32 v94, v97
	s_delay_alu instid0(VALU_DEP_2) | instskip(NEXT) | instid1(VALU_DEP_2)
	v_dual_mov_b32 v101, v95 :: v_dual_mov_b32 v95, v96
	v_pk_fma_f32 v[98:99], v[96:97], v[14:15], v[98:99] op_sel_hi:[1,1,0] neg_lo:[0,0,1] neg_hi:[0,0,1]
	v_mul_f32_e32 v96, v97, v84
	s_delay_alu instid0(VALU_DEP_3) | instskip(NEXT) | instid1(VALU_DEP_2)
	v_pk_add_f32 v[30:31], v[30:31], v[100:101] neg_lo:[0,1] neg_hi:[0,1]
	v_pk_fma_f32 v[94:95], v[94:95], v[14:15], v[96:97] op_sel_hi:[1,1,0]
	s_delay_alu instid0(VALU_DEP_1) | instskip(SKIP_4) | instid1(VALU_DEP_1)
	v_mov_b32_e32 v99, v95
	ds_load_2addr_b64 v[94:97], v88 offset0:21 offset1:22
	v_pk_add_f32 v[64:65], v[64:65], v[98:99] neg_lo:[0,1] neg_hi:[0,1]
	s_wait_dscnt 0x0
	v_pk_mul_f32 v[98:99], v[94:95], v[86:87] op_sel:[0,1]
	v_pk_fma_f32 v[100:101], v[94:95], v[84:85], v[98:99] op_sel:[0,0,1] op_sel_hi:[1,1,0] neg_lo:[0,0,1] neg_hi:[0,0,1]
	v_pk_fma_f32 v[94:95], v[94:95], v[84:85], v[98:99] op_sel:[0,0,1] op_sel_hi:[1,0,0]
	s_delay_alu instid0(VALU_DEP_1) | instskip(SKIP_1) | instid1(VALU_DEP_1)
	v_mov_b32_e32 v101, v95
	v_pk_mul_f32 v[94:95], v[96:97], v[86:87] op_sel:[0,1]
	v_pk_fma_f32 v[98:99], v[96:97], v[84:85], v[94:95] op_sel:[0,0,1] op_sel_hi:[1,1,0] neg_lo:[0,0,1] neg_hi:[0,0,1]
	v_pk_fma_f32 v[94:95], v[96:97], v[84:85], v[94:95] op_sel:[0,0,1] op_sel_hi:[1,0,0]
	s_delay_alu instid0(VALU_DEP_1)
	v_mov_b32_e32 v99, v95
	ds_load_2addr_b64 v[94:97], v88 offset0:23 offset1:24
	v_pk_add_f32 v[62:63], v[62:63], v[100:101] neg_lo:[0,1] neg_hi:[0,1]
	v_pk_add_f32 v[28:29], v[28:29], v[98:99] neg_lo:[0,1] neg_hi:[0,1]
	s_wait_dscnt 0x0
	v_pk_mul_f32 v[98:99], v[94:95], v[86:87] op_sel:[0,1]
	s_delay_alu instid0(VALU_DEP_1) | instskip(SKIP_1) | instid1(VALU_DEP_1)
	v_pk_fma_f32 v[100:101], v[94:95], v[84:85], v[98:99] op_sel:[0,0,1] op_sel_hi:[1,1,0] neg_lo:[0,0,1] neg_hi:[0,0,1]
	v_pk_fma_f32 v[94:95], v[94:95], v[84:85], v[98:99] op_sel:[0,0,1] op_sel_hi:[1,0,0]
	v_mov_b32_e32 v101, v95
	v_pk_mul_f32 v[94:95], v[96:97], v[86:87] op_sel:[0,1]
	s_delay_alu instid0(VALU_DEP_1) | instskip(SKIP_1) | instid1(VALU_DEP_1)
	v_pk_fma_f32 v[98:99], v[96:97], v[84:85], v[94:95] op_sel:[0,0,1] op_sel_hi:[1,1,0] neg_lo:[0,0,1] neg_hi:[0,0,1]
	v_pk_fma_f32 v[94:95], v[96:97], v[84:85], v[94:95] op_sel:[0,0,1] op_sel_hi:[1,0,0]
	v_mov_b32_e32 v99, v95
	ds_load_2addr_b64 v[94:97], v88 offset0:25 offset1:26
	v_pk_add_f32 v[26:27], v[26:27], v[100:101] neg_lo:[0,1] neg_hi:[0,1]
	v_pk_add_f32 v[60:61], v[60:61], v[98:99] neg_lo:[0,1] neg_hi:[0,1]
	s_wait_dscnt 0x0
	v_dual_mul_f32 v98, v95, v87 :: v_dual_mul_f32 v100, v95, v84
	s_delay_alu instid0(VALU_DEP_1) | instskip(NEXT) | instid1(VALU_DEP_2)
	v_pk_fma_f32 v[98:99], v[94:95], v[14:15], v[98:99] op_sel_hi:[1,1,0] neg_lo:[0,0,1] neg_hi:[0,0,1]
	v_pk_fma_f32 v[94:95], v[94:95], v[14:15], v[100:101] op_sel:[1,0,0] op_sel_hi:[0,1,0]
	s_delay_alu instid0(VALU_DEP_1) | instskip(SKIP_1) | instid1(VALU_DEP_2)
	v_mov_b32_e32 v99, v95
	v_pk_mul_f32 v[94:95], v[96:97], v[86:87] op_sel:[0,1]
	v_pk_add_f32 v[58:59], v[58:59], v[98:99] neg_lo:[0,1] neg_hi:[0,1]
	s_delay_alu instid0(VALU_DEP_2) | instskip(SKIP_1) | instid1(VALU_DEP_1)
	v_pk_fma_f32 v[98:99], v[96:97], v[84:85], v[94:95] op_sel:[0,0,1] op_sel_hi:[1,1,0] neg_lo:[0,0,1] neg_hi:[0,0,1]
	v_pk_fma_f32 v[94:95], v[96:97], v[84:85], v[94:95] op_sel:[0,0,1] op_sel_hi:[1,0,0]
	v_mov_b32_e32 v99, v95
	ds_load_2addr_b64 v[94:97], v88 offset0:27 offset1:28
	v_pk_add_f32 v[24:25], v[24:25], v[98:99] neg_lo:[0,1] neg_hi:[0,1]
	s_wait_dscnt 0x0
	v_pk_mul_f32 v[98:99], v[94:95], v[86:87] op_sel:[0,1]
	s_delay_alu instid0(VALU_DEP_1) | instskip(SKIP_1) | instid1(VALU_DEP_1)
	v_pk_fma_f32 v[100:101], v[94:95], v[84:85], v[98:99] op_sel:[0,0,1] op_sel_hi:[1,1,0] neg_lo:[0,0,1] neg_hi:[0,0,1]
	v_pk_fma_f32 v[94:95], v[94:95], v[84:85], v[98:99] op_sel:[0,0,1] op_sel_hi:[1,0,0]
	v_mov_b32_e32 v101, v95
	v_pk_mul_f32 v[94:95], v[96:97], v[86:87] op_sel:[0,1]
	s_delay_alu instid0(VALU_DEP_2) | instskip(NEXT) | instid1(VALU_DEP_2)
	v_pk_add_f32 v[22:23], v[22:23], v[100:101] neg_lo:[0,1] neg_hi:[0,1]
	v_pk_fma_f32 v[98:99], v[96:97], v[84:85], v[94:95] op_sel:[0,0,1] op_sel_hi:[1,1,0] neg_lo:[0,0,1] neg_hi:[0,0,1]
	v_pk_fma_f32 v[94:95], v[96:97], v[84:85], v[94:95] op_sel:[0,0,1] op_sel_hi:[1,0,0]
	s_delay_alu instid0(VALU_DEP_1) | instskip(SKIP_4) | instid1(VALU_DEP_1)
	v_mov_b32_e32 v99, v95
	ds_load_2addr_b64 v[94:97], v88 offset0:29 offset1:30
	v_pk_add_f32 v[48:49], v[48:49], v[98:99] neg_lo:[0,1] neg_hi:[0,1]
	s_wait_dscnt 0x0
	v_pk_mul_f32 v[98:99], v[94:95], v[86:87] op_sel:[0,1]
	v_pk_fma_f32 v[100:101], v[94:95], v[84:85], v[98:99] op_sel:[0,0,1] op_sel_hi:[1,1,0] neg_lo:[0,0,1] neg_hi:[0,0,1]
	v_pk_fma_f32 v[94:95], v[94:95], v[84:85], v[98:99] op_sel:[0,0,1] op_sel_hi:[1,0,0]
	v_dual_mul_f32 v98, v97, v87 :: v_dual_mov_b32 v94, v97
	s_delay_alu instid0(VALU_DEP_2) | instskip(NEXT) | instid1(VALU_DEP_2)
	v_dual_mov_b32 v101, v95 :: v_dual_mov_b32 v95, v96
	v_pk_fma_f32 v[98:99], v[96:97], v[14:15], v[98:99] op_sel_hi:[1,1,0] neg_lo:[0,0,1] neg_hi:[0,0,1]
	v_mul_f32_e32 v96, v97, v84
	s_delay_alu instid0(VALU_DEP_3) | instskip(NEXT) | instid1(VALU_DEP_2)
	v_pk_add_f32 v[46:47], v[46:47], v[100:101] neg_lo:[0,1] neg_hi:[0,1]
	v_pk_fma_f32 v[94:95], v[94:95], v[14:15], v[96:97] op_sel_hi:[1,1,0]
	s_delay_alu instid0(VALU_DEP_1) | instskip(SKIP_4) | instid1(VALU_DEP_1)
	v_mov_b32_e32 v99, v95
	ds_load_2addr_b64 v[94:97], v88 offset0:31 offset1:32
	v_pk_add_f32 v[10:11], v[10:11], v[98:99] neg_lo:[0,1] neg_hi:[0,1]
	s_wait_dscnt 0x0
	v_pk_mul_f32 v[98:99], v[94:95], v[86:87] op_sel:[0,1]
	v_pk_fma_f32 v[100:101], v[94:95], v[84:85], v[98:99] op_sel:[0,0,1] op_sel_hi:[1,1,0] neg_lo:[0,0,1] neg_hi:[0,0,1]
	v_pk_fma_f32 v[94:95], v[94:95], v[84:85], v[98:99] op_sel:[0,0,1] op_sel_hi:[1,0,0]
	s_delay_alu instid0(VALU_DEP_1) | instskip(SKIP_1) | instid1(VALU_DEP_1)
	v_mov_b32_e32 v101, v95
	v_pk_mul_f32 v[94:95], v[96:97], v[86:87] op_sel:[0,1]
	v_pk_fma_f32 v[98:99], v[96:97], v[84:85], v[94:95] op_sel:[0,0,1] op_sel_hi:[1,1,0] neg_lo:[0,0,1] neg_hi:[0,0,1]
	v_pk_fma_f32 v[94:95], v[96:97], v[84:85], v[94:95] op_sel:[0,0,1] op_sel_hi:[1,0,0]
	s_delay_alu instid0(VALU_DEP_1)
	v_mov_b32_e32 v99, v95
	ds_load_2addr_b64 v[94:97], v88 offset0:33 offset1:34
	v_pk_add_f32 v[6:7], v[6:7], v[100:101] neg_lo:[0,1] neg_hi:[0,1]
	v_pk_add_f32 v[44:45], v[44:45], v[98:99] neg_lo:[0,1] neg_hi:[0,1]
	s_wait_dscnt 0x0
	v_pk_mul_f32 v[98:99], v[94:95], v[86:87] op_sel:[0,1]
	s_delay_alu instid0(VALU_DEP_1) | instskip(SKIP_1) | instid1(VALU_DEP_1)
	v_pk_fma_f32 v[100:101], v[94:95], v[84:85], v[98:99] op_sel:[0,0,1] op_sel_hi:[1,1,0] neg_lo:[0,0,1] neg_hi:[0,0,1]
	v_pk_fma_f32 v[94:95], v[94:95], v[84:85], v[98:99] op_sel:[0,0,1] op_sel_hi:[1,0,0]
	v_mov_b32_e32 v101, v95
	v_pk_mul_f32 v[94:95], v[96:97], v[86:87] op_sel:[0,1]
	s_delay_alu instid0(VALU_DEP_1) | instskip(SKIP_1) | instid1(VALU_DEP_1)
	v_pk_fma_f32 v[98:99], v[96:97], v[84:85], v[94:95] op_sel:[0,0,1] op_sel_hi:[1,1,0] neg_lo:[0,0,1] neg_hi:[0,0,1]
	v_pk_fma_f32 v[94:95], v[96:97], v[84:85], v[94:95] op_sel:[0,0,1] op_sel_hi:[1,0,0]
	v_mov_b32_e32 v99, v95
	ds_load_2addr_b64 v[94:97], v88 offset0:35 offset1:36
	v_pk_add_f32 v[42:43], v[42:43], v[100:101] neg_lo:[0,1] neg_hi:[0,1]
	v_pk_add_f32 v[8:9], v[8:9], v[98:99] neg_lo:[0,1] neg_hi:[0,1]
	s_wait_dscnt 0x0
	v_dual_mul_f32 v98, v95, v87 :: v_dual_mul_f32 v100, v95, v84
	s_delay_alu instid0(VALU_DEP_1) | instskip(NEXT) | instid1(VALU_DEP_2)
	v_pk_fma_f32 v[98:99], v[94:95], v[14:15], v[98:99] op_sel_hi:[1,1,0] neg_lo:[0,0,1] neg_hi:[0,0,1]
	v_pk_fma_f32 v[94:95], v[94:95], v[14:15], v[100:101] op_sel:[1,0,0] op_sel_hi:[0,1,0]
	s_delay_alu instid0(VALU_DEP_1) | instskip(SKIP_1) | instid1(VALU_DEP_2)
	v_mov_b32_e32 v99, v95
	v_pk_mul_f32 v[94:95], v[96:97], v[86:87] op_sel:[0,1]
	v_pk_add_f32 v[40:41], v[40:41], v[98:99] neg_lo:[0,1] neg_hi:[0,1]
	s_delay_alu instid0(VALU_DEP_2) | instskip(SKIP_1) | instid1(VALU_DEP_1)
	v_pk_fma_f32 v[98:99], v[96:97], v[84:85], v[94:95] op_sel:[0,0,1] op_sel_hi:[1,1,0] neg_lo:[0,0,1] neg_hi:[0,0,1]
	v_pk_fma_f32 v[94:95], v[96:97], v[84:85], v[94:95] op_sel:[0,0,1] op_sel_hi:[1,0,0]
	v_mov_b32_e32 v99, v95
	ds_load_2addr_b64 v[94:97], v88 offset0:37 offset1:38
	v_pk_add_f32 v[34:35], v[34:35], v[98:99] neg_lo:[0,1] neg_hi:[0,1]
	s_wait_dscnt 0x0
	v_pk_mul_f32 v[98:99], v[94:95], v[86:87] op_sel:[0,1]
	v_pk_mul_f32 v[86:87], v[96:97], v[86:87] op_sel:[0,1]
	s_delay_alu instid0(VALU_DEP_2) | instskip(SKIP_1) | instid1(VALU_DEP_1)
	v_pk_fma_f32 v[100:101], v[94:95], v[84:85], v[98:99] op_sel:[0,0,1] op_sel_hi:[1,1,0] neg_lo:[0,0,1] neg_hi:[0,0,1]
	v_pk_fma_f32 v[94:95], v[94:95], v[84:85], v[98:99] op_sel:[0,0,1] op_sel_hi:[1,0,0]
	v_mov_b32_e32 v101, v95
	s_delay_alu instid0(VALU_DEP_4) | instskip(SKIP_1) | instid1(VALU_DEP_3)
	v_pk_fma_f32 v[94:95], v[96:97], v[84:85], v[86:87] op_sel:[0,0,1] op_sel_hi:[1,1,0] neg_lo:[0,0,1] neg_hi:[0,0,1]
	v_pk_fma_f32 v[84:85], v[96:97], v[84:85], v[86:87] op_sel:[0,0,1] op_sel_hi:[1,0,0]
	v_pk_add_f32 v[20:21], v[20:21], v[100:101] neg_lo:[0,1] neg_hi:[0,1]
	s_delay_alu instid0(VALU_DEP_2) | instskip(NEXT) | instid1(VALU_DEP_1)
	v_mov_b32_e32 v95, v85
	v_pk_add_f32 v[82:83], v[82:83], v[94:95] neg_lo:[0,1] neg_hi:[0,1]
.LBB76_146:
	s_or_b32 exec_lo, exec_lo, s0
	v_lshl_add_u32 v84, v92, 3, v88
	s_barrier_signal -1
	s_barrier_wait -1
	ds_store_b64 v84, v[12:13]
	s_wait_dscnt 0x0
	s_barrier_signal -1
	s_barrier_wait -1
	ds_load_b64 v[86:87], v88 offset:56
	v_mov_b32_e32 v84, 7
	s_cmp_lt_i32 s18, 9
	s_cbranch_scc1 .LBB76_149
; %bb.147:
	v_add3_u32 v85, v89, 0, 64
	v_mov_b32_e32 v84, 7
	s_mov_b32 s0, 8
.LBB76_148:                             ; =>This Inner Loop Header: Depth=1
	ds_load_b64 v[94:95], v85
	s_wait_dscnt 0x1
	v_cmp_gt_f32_e32 vcc_lo, 0, v86
	v_cndmask_b32_e64 v96, v86, -v86, vcc_lo
	v_cmp_gt_f32_e32 vcc_lo, 0, v87
	v_cndmask_b32_e64 v98, v87, -v87, vcc_lo
	s_wait_dscnt 0x0
	v_cmp_gt_f32_e32 vcc_lo, 0, v94
	v_cndmask_b32_e64 v97, v94, -v94, vcc_lo
	v_cmp_gt_f32_e32 vcc_lo, 0, v95
	v_cndmask_b32_e64 v99, v95, -v95, vcc_lo
	s_delay_alu instid0(VALU_DEP_1) | instskip(NEXT) | instid1(VALU_DEP_1)
	v_pk_add_f32 v[96:97], v[96:97], v[98:99]
	v_cmp_lt_f32_e32 vcc_lo, v96, v97
	v_dual_add_nc_u32 v85, 8, v85 :: v_dual_cndmask_b32 v87, v87, v95, vcc_lo
	v_cndmask_b32_e32 v86, v86, v94, vcc_lo
	v_cndmask_b32_e64 v84, v84, s0, vcc_lo
	s_add_co_i32 s0, s0, 1
	s_delay_alu instid0(SALU_CYCLE_1)
	s_cmp_lg_u32 s18, s0
	s_cbranch_scc1 .LBB76_148
.LBB76_149:
	s_wait_dscnt 0x0
	v_cmp_eq_f32_e32 vcc_lo, 0, v86
	v_cmp_eq_f32_e64 s0, 0, v87
	s_and_b32 s0, vcc_lo, s0
	s_delay_alu instid0(SALU_CYCLE_1) | instskip(NEXT) | instid1(SALU_CYCLE_1)
	s_and_saveexec_b32 s1, s0
	s_xor_b32 s0, exec_lo, s1
; %bb.150:
	v_cmp_ne_u32_e32 vcc_lo, 0, v90
	v_cndmask_b32_e32 v90, 8, v90, vcc_lo
; %bb.151:
	s_and_not1_saveexec_b32 s0, s0
	s_cbranch_execz .LBB76_157
; %bb.152:
	v_cmp_ngt_f32_e64 s1, |v86|, |v87|
	s_and_saveexec_b32 s12, s1
	s_delay_alu instid0(SALU_CYCLE_1)
	s_xor_b32 s1, exec_lo, s12
	s_cbranch_execz .LBB76_154
; %bb.153:
	v_div_scale_f32 v85, null, v87, v87, v86
	v_div_scale_f32 v95, vcc_lo, v86, v87, v86
	s_delay_alu instid0(VALU_DEP_2) | instskip(SKIP_1) | instid1(TRANS32_DEP_1)
	v_rcp_f32_e32 v93, v85
	v_nop
	v_fma_f32 v94, -v85, v93, 1.0
	s_delay_alu instid0(VALU_DEP_1) | instskip(NEXT) | instid1(VALU_DEP_1)
	v_fmac_f32_e32 v93, v94, v93
	v_mul_f32_e32 v94, v95, v93
	s_delay_alu instid0(VALU_DEP_1) | instskip(NEXT) | instid1(VALU_DEP_1)
	v_fma_f32 v96, -v85, v94, v95
	v_fmac_f32_e32 v94, v96, v93
	s_delay_alu instid0(VALU_DEP_1) | instskip(NEXT) | instid1(VALU_DEP_1)
	v_fma_f32 v85, -v85, v94, v95
	v_div_fmas_f32 v85, v85, v93, v94
	s_delay_alu instid0(VALU_DEP_1) | instskip(NEXT) | instid1(VALU_DEP_1)
	v_div_fixup_f32 v85, v85, v87, v86
	v_fmac_f32_e32 v87, v86, v85
	s_delay_alu instid0(VALU_DEP_1) | instskip(SKIP_1) | instid1(VALU_DEP_2)
	v_div_scale_f32 v86, null, v87, v87, 1.0
	v_div_scale_f32 v95, vcc_lo, 1.0, v87, 1.0
	v_rcp_f32_e32 v93, v86
	v_nop
	s_delay_alu instid0(TRANS32_DEP_1) | instskip(NEXT) | instid1(VALU_DEP_1)
	v_fma_f32 v94, -v86, v93, 1.0
	v_fmac_f32_e32 v93, v94, v93
	s_delay_alu instid0(VALU_DEP_1) | instskip(NEXT) | instid1(VALU_DEP_1)
	v_mul_f32_e32 v94, v95, v93
	v_fma_f32 v96, -v86, v94, v95
	s_delay_alu instid0(VALU_DEP_1) | instskip(NEXT) | instid1(VALU_DEP_1)
	v_fmac_f32_e32 v94, v96, v93
	v_fma_f32 v86, -v86, v94, v95
	s_delay_alu instid0(VALU_DEP_1) | instskip(NEXT) | instid1(VALU_DEP_1)
	v_div_fmas_f32 v86, v86, v93, v94
	v_div_fixup_f32 v87, v86, v87, 1.0
	s_delay_alu instid0(VALU_DEP_1)
	v_mul_f32_e32 v86, v85, v87
	v_xor_b32_e32 v87, 0x80000000, v87
.LBB76_154:
	s_and_not1_saveexec_b32 s1, s1
	s_cbranch_execz .LBB76_156
; %bb.155:
	s_delay_alu instid0(VALU_DEP_1) | instskip(SKIP_1) | instid1(VALU_DEP_2)
	v_div_scale_f32 v85, null, v86, v86, v87
	v_div_scale_f32 v95, vcc_lo, v87, v86, v87
	v_rcp_f32_e32 v93, v85
	v_nop
	s_delay_alu instid0(TRANS32_DEP_1) | instskip(NEXT) | instid1(VALU_DEP_1)
	v_fma_f32 v94, -v85, v93, 1.0
	v_fmac_f32_e32 v93, v94, v93
	s_delay_alu instid0(VALU_DEP_1) | instskip(NEXT) | instid1(VALU_DEP_1)
	v_mul_f32_e32 v94, v95, v93
	v_fma_f32 v96, -v85, v94, v95
	s_delay_alu instid0(VALU_DEP_1) | instskip(NEXT) | instid1(VALU_DEP_1)
	v_fmac_f32_e32 v94, v96, v93
	v_fma_f32 v85, -v85, v94, v95
	s_delay_alu instid0(VALU_DEP_1) | instskip(NEXT) | instid1(VALU_DEP_1)
	v_div_fmas_f32 v85, v85, v93, v94
	v_div_fixup_f32 v85, v85, v86, v87
	s_delay_alu instid0(VALU_DEP_1) | instskip(NEXT) | instid1(VALU_DEP_1)
	v_fmac_f32_e32 v86, v87, v85
	v_div_scale_f32 v87, null, v86, v86, 1.0
	s_delay_alu instid0(VALU_DEP_1) | instskip(SKIP_1) | instid1(TRANS32_DEP_1)
	v_rcp_f32_e32 v93, v87
	v_nop
	v_fma_f32 v94, -v87, v93, 1.0
	s_delay_alu instid0(VALU_DEP_1) | instskip(SKIP_1) | instid1(VALU_DEP_1)
	v_fmac_f32_e32 v93, v94, v93
	v_div_scale_f32 v94, vcc_lo, 1.0, v86, 1.0
	v_mul_f32_e32 v95, v94, v93
	s_delay_alu instid0(VALU_DEP_1) | instskip(NEXT) | instid1(VALU_DEP_1)
	v_fma_f32 v96, -v87, v95, v94
	v_fmac_f32_e32 v95, v96, v93
	s_delay_alu instid0(VALU_DEP_1) | instskip(NEXT) | instid1(VALU_DEP_1)
	v_fma_f32 v87, -v87, v95, v94
	v_div_fmas_f32 v87, v87, v93, v95
	s_delay_alu instid0(VALU_DEP_1) | instskip(NEXT) | instid1(VALU_DEP_1)
	v_div_fixup_f32 v86, v87, v86, 1.0
	v_mul_f32_e64 v87, v85, -v86
.LBB76_156:
	s_or_b32 exec_lo, exec_lo, s1
.LBB76_157:
	s_delay_alu instid0(SALU_CYCLE_1) | instskip(NEXT) | instid1(SALU_CYCLE_1)
	s_or_b32 exec_lo, exec_lo, s0
	s_mov_b32 s0, exec_lo
	v_cmpx_ne_u32_e64 v92, v84
	s_xor_b32 s0, exec_lo, s0
	s_cbranch_execz .LBB76_163
; %bb.158:
	s_mov_b32 s1, exec_lo
	v_cmpx_eq_u32_e32 7, v92
	s_cbranch_execz .LBB76_162
; %bb.159:
	v_cmp_ne_u32_e32 vcc_lo, 7, v84
	s_xor_b32 s12, s16, -1
	s_delay_alu instid0(SALU_CYCLE_1) | instskip(NEXT) | instid1(SALU_CYCLE_1)
	s_and_b32 s13, s12, vcc_lo
	s_and_saveexec_b32 s12, s13
	s_cbranch_execz .LBB76_161
; %bb.160:
	v_ashrrev_i32_e32 v85, 31, v84
	s_delay_alu instid0(VALU_DEP_1)
	v_lshl_add_u64 v[92:93], v[84:85], 2, v[4:5]
	s_clause 0x1
	global_load_b32 v85, v[92:93], off
	global_load_b32 v91, v[4:5], off offset:28
	s_wait_loadcnt 0x1
	global_store_b32 v[4:5], v85, off offset:28
	s_wait_loadcnt 0x0
	global_store_b32 v[92:93], v91, off
.LBB76_161:
	s_wait_xcnt 0x0
	s_or_b32 exec_lo, exec_lo, s12
	v_dual_mov_b32 v92, v84 :: v_dual_mov_b32 v91, v84
.LBB76_162:
	s_or_b32 exec_lo, exec_lo, s1
.LBB76_163:
	s_and_not1_saveexec_b32 s0, s0
	s_cbranch_execz .LBB76_165
; %bb.164:
	v_dual_mov_b32 v84, v56 :: v_dual_mov_b32 v85, v57
	v_dual_mov_b32 v92, v54 :: v_dual_mov_b32 v93, v55
	ds_store_2addr_b64 v88, v[84:85], v[92:93] offset0:8 offset1:9
	v_dual_mov_b32 v84, v18 :: v_dual_mov_b32 v85, v19
	v_dual_mov_b32 v92, v16 :: v_dual_mov_b32 v93, v17
	ds_store_2addr_b64 v88, v[84:85], v[92:93] offset0:10 offset1:11
	;; [unrolled: 3-line block ×15, first 2 shown]
	ds_store_b64 v88, v[82:83] offset:304
	v_mov_b32_e32 v92, 7
.LBB76_165:
	s_or_b32 exec_lo, exec_lo, s0
	s_delay_alu instid0(SALU_CYCLE_1)
	s_mov_b32 s0, exec_lo
	s_wait_storecnt_dscnt 0x0
	s_barrier_signal -1
	s_barrier_wait -1
	v_cmpx_lt_i32_e32 7, v92
	s_cbranch_execz .LBB76_167
; %bb.166:
	v_pk_mul_f32 v[94:95], v[86:87], v[12:13] op_sel:[1,1] op_sel_hi:[0,1]
	s_delay_alu instid0(VALU_DEP_1)
	v_pk_fma_f32 v[84:85], v[86:87], v[12:13], v[94:95] op_sel_hi:[1,0,1] neg_lo:[0,0,1] neg_hi:[0,0,1]
	v_pk_fma_f32 v[86:87], v[86:87], v[12:13], v[94:95] op_sel_hi:[1,0,1]
	ds_load_2addr_b64 v[94:97], v88 offset0:8 offset1:9
	v_dual_mov_b32 v12, v84 :: v_dual_mov_b32 v13, v87
	s_wait_dscnt 0x0
	v_pk_mul_f32 v[98:99], v[94:95], v[86:87] op_sel:[0,1]
	s_delay_alu instid0(VALU_DEP_1) | instskip(SKIP_1) | instid1(VALU_DEP_1)
	v_pk_fma_f32 v[100:101], v[94:95], v[84:85], v[98:99] op_sel:[0,0,1] op_sel_hi:[1,1,0] neg_lo:[0,0,1] neg_hi:[0,0,1]
	v_pk_fma_f32 v[94:95], v[94:95], v[84:85], v[98:99] op_sel:[0,0,1] op_sel_hi:[1,0,0]
	v_mov_b32_e32 v101, v95
	v_pk_mul_f32 v[94:95], v[96:97], v[86:87] op_sel:[0,1]
	s_delay_alu instid0(VALU_DEP_1) | instskip(SKIP_1) | instid1(VALU_DEP_1)
	v_pk_fma_f32 v[98:99], v[96:97], v[84:85], v[94:95] op_sel:[0,0,1] op_sel_hi:[1,1,0] neg_lo:[0,0,1] neg_hi:[0,0,1]
	v_pk_fma_f32 v[94:95], v[96:97], v[84:85], v[94:95] op_sel:[0,0,1] op_sel_hi:[1,0,0]
	v_mov_b32_e32 v99, v95
	ds_load_2addr_b64 v[94:97], v88 offset0:10 offset1:11
	v_pk_add_f32 v[56:57], v[56:57], v[100:101] neg_lo:[0,1] neg_hi:[0,1]
	v_pk_add_f32 v[54:55], v[54:55], v[98:99] neg_lo:[0,1] neg_hi:[0,1]
	s_wait_dscnt 0x0
	v_pk_mul_f32 v[98:99], v[94:95], v[86:87] op_sel:[0,1]
	s_delay_alu instid0(VALU_DEP_1) | instskip(SKIP_2) | instid1(VALU_DEP_2)
	v_pk_fma_f32 v[100:101], v[94:95], v[84:85], v[98:99] op_sel:[0,0,1] op_sel_hi:[1,1,0] neg_lo:[0,0,1] neg_hi:[0,0,1]
	v_pk_fma_f32 v[94:95], v[94:95], v[84:85], v[98:99] op_sel:[0,0,1] op_sel_hi:[1,0,0]
	v_dual_mul_f32 v98, v97, v87 :: v_dual_mov_b32 v94, v97
	v_dual_mov_b32 v101, v95 :: v_dual_mov_b32 v95, v96
	s_delay_alu instid0(VALU_DEP_2) | instskip(SKIP_1) | instid1(VALU_DEP_3)
	v_pk_fma_f32 v[98:99], v[96:97], v[12:13], v[98:99] op_sel_hi:[1,1,0] neg_lo:[0,0,1] neg_hi:[0,0,1]
	v_mul_f32_e32 v96, v97, v84
	v_pk_add_f32 v[18:19], v[18:19], v[100:101] neg_lo:[0,1] neg_hi:[0,1]
	s_delay_alu instid0(VALU_DEP_2) | instskip(NEXT) | instid1(VALU_DEP_1)
	v_pk_fma_f32 v[94:95], v[94:95], v[12:13], v[96:97] op_sel_hi:[1,1,0]
	v_mov_b32_e32 v99, v95
	ds_load_2addr_b64 v[94:97], v88 offset0:12 offset1:13
	v_pk_add_f32 v[16:17], v[16:17], v[98:99] neg_lo:[0,1] neg_hi:[0,1]
	s_wait_dscnt 0x0
	v_pk_mul_f32 v[98:99], v[94:95], v[86:87] op_sel:[0,1]
	s_delay_alu instid0(VALU_DEP_1) | instskip(SKIP_1) | instid1(VALU_DEP_1)
	v_pk_fma_f32 v[100:101], v[94:95], v[84:85], v[98:99] op_sel:[0,0,1] op_sel_hi:[1,1,0] neg_lo:[0,0,1] neg_hi:[0,0,1]
	v_pk_fma_f32 v[94:95], v[94:95], v[84:85], v[98:99] op_sel:[0,0,1] op_sel_hi:[1,0,0]
	v_mov_b32_e32 v101, v95
	v_pk_mul_f32 v[94:95], v[96:97], v[86:87] op_sel:[0,1]
	s_delay_alu instid0(VALU_DEP_1) | instskip(SKIP_1) | instid1(VALU_DEP_1)
	v_pk_fma_f32 v[98:99], v[96:97], v[84:85], v[94:95] op_sel:[0,0,1] op_sel_hi:[1,1,0] neg_lo:[0,0,1] neg_hi:[0,0,1]
	v_pk_fma_f32 v[94:95], v[96:97], v[84:85], v[94:95] op_sel:[0,0,1] op_sel_hi:[1,0,0]
	v_mov_b32_e32 v99, v95
	ds_load_2addr_b64 v[94:97], v88 offset0:14 offset1:15
	v_pk_add_f32 v[72:73], v[72:73], v[100:101] neg_lo:[0,1] neg_hi:[0,1]
	v_pk_add_f32 v[70:71], v[70:71], v[98:99] neg_lo:[0,1] neg_hi:[0,1]
	s_wait_dscnt 0x0
	v_pk_mul_f32 v[98:99], v[94:95], v[86:87] op_sel:[0,1]
	s_delay_alu instid0(VALU_DEP_1) | instskip(SKIP_1) | instid1(VALU_DEP_1)
	v_pk_fma_f32 v[100:101], v[94:95], v[84:85], v[98:99] op_sel:[0,0,1] op_sel_hi:[1,1,0] neg_lo:[0,0,1] neg_hi:[0,0,1]
	v_pk_fma_f32 v[94:95], v[94:95], v[84:85], v[98:99] op_sel:[0,0,1] op_sel_hi:[1,0,0]
	v_mov_b32_e32 v101, v95
	v_pk_mul_f32 v[94:95], v[96:97], v[86:87] op_sel:[0,1]
	s_delay_alu instid0(VALU_DEP_1) | instskip(SKIP_1) | instid1(VALU_DEP_1)
	v_pk_fma_f32 v[98:99], v[96:97], v[84:85], v[94:95] op_sel:[0,0,1] op_sel_hi:[1,1,0] neg_lo:[0,0,1] neg_hi:[0,0,1]
	v_pk_fma_f32 v[94:95], v[96:97], v[84:85], v[94:95] op_sel:[0,0,1] op_sel_hi:[1,0,0]
	v_mov_b32_e32 v99, v95
	ds_load_2addr_b64 v[94:97], v88 offset0:16 offset1:17
	v_pk_add_f32 v[38:39], v[38:39], v[100:101] neg_lo:[0,1] neg_hi:[0,1]
	v_pk_add_f32 v[36:37], v[36:37], v[98:99] neg_lo:[0,1] neg_hi:[0,1]
	s_wait_dscnt 0x0
	v_dual_mul_f32 v98, v95, v87 :: v_dual_mul_f32 v100, v95, v84
	s_delay_alu instid0(VALU_DEP_1) | instskip(NEXT) | instid1(VALU_DEP_2)
	v_pk_fma_f32 v[98:99], v[94:95], v[12:13], v[98:99] op_sel_hi:[1,1,0] neg_lo:[0,0,1] neg_hi:[0,0,1]
	v_pk_fma_f32 v[94:95], v[94:95], v[12:13], v[100:101] op_sel:[1,0,0] op_sel_hi:[0,1,0]
	s_delay_alu instid0(VALU_DEP_1) | instskip(SKIP_1) | instid1(VALU_DEP_2)
	v_mov_b32_e32 v99, v95
	v_pk_mul_f32 v[94:95], v[96:97], v[86:87] op_sel:[0,1]
	v_pk_add_f32 v[68:69], v[68:69], v[98:99] neg_lo:[0,1] neg_hi:[0,1]
	s_delay_alu instid0(VALU_DEP_2) | instskip(SKIP_1) | instid1(VALU_DEP_1)
	v_pk_fma_f32 v[98:99], v[96:97], v[84:85], v[94:95] op_sel:[0,0,1] op_sel_hi:[1,1,0] neg_lo:[0,0,1] neg_hi:[0,0,1]
	v_pk_fma_f32 v[94:95], v[96:97], v[84:85], v[94:95] op_sel:[0,0,1] op_sel_hi:[1,0,0]
	v_mov_b32_e32 v99, v95
	ds_load_2addr_b64 v[94:97], v88 offset0:18 offset1:19
	v_pk_add_f32 v[66:67], v[66:67], v[98:99] neg_lo:[0,1] neg_hi:[0,1]
	s_wait_dscnt 0x0
	v_pk_mul_f32 v[98:99], v[94:95], v[86:87] op_sel:[0,1]
	s_delay_alu instid0(VALU_DEP_1) | instskip(SKIP_1) | instid1(VALU_DEP_1)
	v_pk_fma_f32 v[100:101], v[94:95], v[84:85], v[98:99] op_sel:[0,0,1] op_sel_hi:[1,1,0] neg_lo:[0,0,1] neg_hi:[0,0,1]
	v_pk_fma_f32 v[94:95], v[94:95], v[84:85], v[98:99] op_sel:[0,0,1] op_sel_hi:[1,0,0]
	v_mov_b32_e32 v101, v95
	v_pk_mul_f32 v[94:95], v[96:97], v[86:87] op_sel:[0,1]
	s_delay_alu instid0(VALU_DEP_2) | instskip(NEXT) | instid1(VALU_DEP_2)
	v_pk_add_f32 v[32:33], v[32:33], v[100:101] neg_lo:[0,1] neg_hi:[0,1]
	v_pk_fma_f32 v[98:99], v[96:97], v[84:85], v[94:95] op_sel:[0,0,1] op_sel_hi:[1,1,0] neg_lo:[0,0,1] neg_hi:[0,0,1]
	v_pk_fma_f32 v[94:95], v[96:97], v[84:85], v[94:95] op_sel:[0,0,1] op_sel_hi:[1,0,0]
	s_delay_alu instid0(VALU_DEP_1) | instskip(SKIP_4) | instid1(VALU_DEP_1)
	v_mov_b32_e32 v99, v95
	ds_load_2addr_b64 v[94:97], v88 offset0:20 offset1:21
	v_pk_add_f32 v[30:31], v[30:31], v[98:99] neg_lo:[0,1] neg_hi:[0,1]
	s_wait_dscnt 0x0
	v_pk_mul_f32 v[98:99], v[94:95], v[86:87] op_sel:[0,1]
	v_pk_fma_f32 v[100:101], v[94:95], v[84:85], v[98:99] op_sel:[0,0,1] op_sel_hi:[1,1,0] neg_lo:[0,0,1] neg_hi:[0,0,1]
	v_pk_fma_f32 v[94:95], v[94:95], v[84:85], v[98:99] op_sel:[0,0,1] op_sel_hi:[1,0,0]
	v_dual_mul_f32 v98, v97, v87 :: v_dual_mov_b32 v94, v97
	s_delay_alu instid0(VALU_DEP_2) | instskip(NEXT) | instid1(VALU_DEP_2)
	v_dual_mov_b32 v101, v95 :: v_dual_mov_b32 v95, v96
	v_pk_fma_f32 v[98:99], v[96:97], v[12:13], v[98:99] op_sel_hi:[1,1,0] neg_lo:[0,0,1] neg_hi:[0,0,1]
	v_mul_f32_e32 v96, v97, v84
	s_delay_alu instid0(VALU_DEP_3) | instskip(NEXT) | instid1(VALU_DEP_2)
	v_pk_add_f32 v[64:65], v[64:65], v[100:101] neg_lo:[0,1] neg_hi:[0,1]
	v_pk_fma_f32 v[94:95], v[94:95], v[12:13], v[96:97] op_sel_hi:[1,1,0]
	s_delay_alu instid0(VALU_DEP_1) | instskip(SKIP_4) | instid1(VALU_DEP_1)
	v_mov_b32_e32 v99, v95
	ds_load_2addr_b64 v[94:97], v88 offset0:22 offset1:23
	v_pk_add_f32 v[62:63], v[62:63], v[98:99] neg_lo:[0,1] neg_hi:[0,1]
	s_wait_dscnt 0x0
	v_pk_mul_f32 v[98:99], v[94:95], v[86:87] op_sel:[0,1]
	v_pk_fma_f32 v[100:101], v[94:95], v[84:85], v[98:99] op_sel:[0,0,1] op_sel_hi:[1,1,0] neg_lo:[0,0,1] neg_hi:[0,0,1]
	v_pk_fma_f32 v[94:95], v[94:95], v[84:85], v[98:99] op_sel:[0,0,1] op_sel_hi:[1,0,0]
	s_delay_alu instid0(VALU_DEP_1) | instskip(SKIP_1) | instid1(VALU_DEP_1)
	v_mov_b32_e32 v101, v95
	v_pk_mul_f32 v[94:95], v[96:97], v[86:87] op_sel:[0,1]
	v_pk_fma_f32 v[98:99], v[96:97], v[84:85], v[94:95] op_sel:[0,0,1] op_sel_hi:[1,1,0] neg_lo:[0,0,1] neg_hi:[0,0,1]
	v_pk_fma_f32 v[94:95], v[96:97], v[84:85], v[94:95] op_sel:[0,0,1] op_sel_hi:[1,0,0]
	s_delay_alu instid0(VALU_DEP_1)
	v_mov_b32_e32 v99, v95
	ds_load_2addr_b64 v[94:97], v88 offset0:24 offset1:25
	v_pk_add_f32 v[28:29], v[28:29], v[100:101] neg_lo:[0,1] neg_hi:[0,1]
	v_pk_add_f32 v[26:27], v[26:27], v[98:99] neg_lo:[0,1] neg_hi:[0,1]
	s_wait_dscnt 0x0
	v_pk_mul_f32 v[98:99], v[94:95], v[86:87] op_sel:[0,1]
	s_delay_alu instid0(VALU_DEP_1) | instskip(SKIP_1) | instid1(VALU_DEP_1)
	v_pk_fma_f32 v[100:101], v[94:95], v[84:85], v[98:99] op_sel:[0,0,1] op_sel_hi:[1,1,0] neg_lo:[0,0,1] neg_hi:[0,0,1]
	v_pk_fma_f32 v[94:95], v[94:95], v[84:85], v[98:99] op_sel:[0,0,1] op_sel_hi:[1,0,0]
	v_mov_b32_e32 v101, v95
	v_pk_mul_f32 v[94:95], v[96:97], v[86:87] op_sel:[0,1]
	s_delay_alu instid0(VALU_DEP_1) | instskip(SKIP_1) | instid1(VALU_DEP_1)
	v_pk_fma_f32 v[98:99], v[96:97], v[84:85], v[94:95] op_sel:[0,0,1] op_sel_hi:[1,1,0] neg_lo:[0,0,1] neg_hi:[0,0,1]
	v_pk_fma_f32 v[94:95], v[96:97], v[84:85], v[94:95] op_sel:[0,0,1] op_sel_hi:[1,0,0]
	v_mov_b32_e32 v99, v95
	ds_load_2addr_b64 v[94:97], v88 offset0:26 offset1:27
	v_pk_add_f32 v[60:61], v[60:61], v[100:101] neg_lo:[0,1] neg_hi:[0,1]
	v_pk_add_f32 v[58:59], v[58:59], v[98:99] neg_lo:[0,1] neg_hi:[0,1]
	s_wait_dscnt 0x0
	v_dual_mul_f32 v98, v95, v87 :: v_dual_mul_f32 v100, v95, v84
	s_delay_alu instid0(VALU_DEP_1) | instskip(NEXT) | instid1(VALU_DEP_2)
	v_pk_fma_f32 v[98:99], v[94:95], v[12:13], v[98:99] op_sel_hi:[1,1,0] neg_lo:[0,0,1] neg_hi:[0,0,1]
	v_pk_fma_f32 v[94:95], v[94:95], v[12:13], v[100:101] op_sel:[1,0,0] op_sel_hi:[0,1,0]
	s_delay_alu instid0(VALU_DEP_1) | instskip(SKIP_1) | instid1(VALU_DEP_2)
	v_mov_b32_e32 v99, v95
	v_pk_mul_f32 v[94:95], v[96:97], v[86:87] op_sel:[0,1]
	v_pk_add_f32 v[24:25], v[24:25], v[98:99] neg_lo:[0,1] neg_hi:[0,1]
	s_delay_alu instid0(VALU_DEP_2) | instskip(SKIP_1) | instid1(VALU_DEP_1)
	v_pk_fma_f32 v[98:99], v[96:97], v[84:85], v[94:95] op_sel:[0,0,1] op_sel_hi:[1,1,0] neg_lo:[0,0,1] neg_hi:[0,0,1]
	v_pk_fma_f32 v[94:95], v[96:97], v[84:85], v[94:95] op_sel:[0,0,1] op_sel_hi:[1,0,0]
	v_mov_b32_e32 v99, v95
	ds_load_2addr_b64 v[94:97], v88 offset0:28 offset1:29
	v_pk_add_f32 v[22:23], v[22:23], v[98:99] neg_lo:[0,1] neg_hi:[0,1]
	s_wait_dscnt 0x0
	v_pk_mul_f32 v[98:99], v[94:95], v[86:87] op_sel:[0,1]
	s_delay_alu instid0(VALU_DEP_1) | instskip(SKIP_1) | instid1(VALU_DEP_1)
	v_pk_fma_f32 v[100:101], v[94:95], v[84:85], v[98:99] op_sel:[0,0,1] op_sel_hi:[1,1,0] neg_lo:[0,0,1] neg_hi:[0,0,1]
	v_pk_fma_f32 v[94:95], v[94:95], v[84:85], v[98:99] op_sel:[0,0,1] op_sel_hi:[1,0,0]
	v_mov_b32_e32 v101, v95
	v_pk_mul_f32 v[94:95], v[96:97], v[86:87] op_sel:[0,1]
	s_delay_alu instid0(VALU_DEP_2) | instskip(NEXT) | instid1(VALU_DEP_2)
	v_pk_add_f32 v[48:49], v[48:49], v[100:101] neg_lo:[0,1] neg_hi:[0,1]
	v_pk_fma_f32 v[98:99], v[96:97], v[84:85], v[94:95] op_sel:[0,0,1] op_sel_hi:[1,1,0] neg_lo:[0,0,1] neg_hi:[0,0,1]
	v_pk_fma_f32 v[94:95], v[96:97], v[84:85], v[94:95] op_sel:[0,0,1] op_sel_hi:[1,0,0]
	s_delay_alu instid0(VALU_DEP_1) | instskip(SKIP_4) | instid1(VALU_DEP_1)
	v_mov_b32_e32 v99, v95
	ds_load_2addr_b64 v[94:97], v88 offset0:30 offset1:31
	v_pk_add_f32 v[46:47], v[46:47], v[98:99] neg_lo:[0,1] neg_hi:[0,1]
	s_wait_dscnt 0x0
	v_pk_mul_f32 v[98:99], v[94:95], v[86:87] op_sel:[0,1]
	v_pk_fma_f32 v[100:101], v[94:95], v[84:85], v[98:99] op_sel:[0,0,1] op_sel_hi:[1,1,0] neg_lo:[0,0,1] neg_hi:[0,0,1]
	v_pk_fma_f32 v[94:95], v[94:95], v[84:85], v[98:99] op_sel:[0,0,1] op_sel_hi:[1,0,0]
	v_dual_mul_f32 v98, v97, v87 :: v_dual_mov_b32 v94, v97
	s_delay_alu instid0(VALU_DEP_2) | instskip(NEXT) | instid1(VALU_DEP_2)
	v_dual_mov_b32 v101, v95 :: v_dual_mov_b32 v95, v96
	v_pk_fma_f32 v[98:99], v[96:97], v[12:13], v[98:99] op_sel_hi:[1,1,0] neg_lo:[0,0,1] neg_hi:[0,0,1]
	v_mul_f32_e32 v96, v97, v84
	s_delay_alu instid0(VALU_DEP_3) | instskip(NEXT) | instid1(VALU_DEP_2)
	v_pk_add_f32 v[10:11], v[10:11], v[100:101] neg_lo:[0,1] neg_hi:[0,1]
	v_pk_fma_f32 v[94:95], v[94:95], v[12:13], v[96:97] op_sel_hi:[1,1,0]
	s_delay_alu instid0(VALU_DEP_1) | instskip(SKIP_4) | instid1(VALU_DEP_1)
	v_mov_b32_e32 v99, v95
	ds_load_2addr_b64 v[94:97], v88 offset0:32 offset1:33
	v_pk_add_f32 v[6:7], v[6:7], v[98:99] neg_lo:[0,1] neg_hi:[0,1]
	s_wait_dscnt 0x0
	v_pk_mul_f32 v[98:99], v[94:95], v[86:87] op_sel:[0,1]
	v_pk_fma_f32 v[100:101], v[94:95], v[84:85], v[98:99] op_sel:[0,0,1] op_sel_hi:[1,1,0] neg_lo:[0,0,1] neg_hi:[0,0,1]
	v_pk_fma_f32 v[94:95], v[94:95], v[84:85], v[98:99] op_sel:[0,0,1] op_sel_hi:[1,0,0]
	s_delay_alu instid0(VALU_DEP_1) | instskip(SKIP_1) | instid1(VALU_DEP_1)
	v_mov_b32_e32 v101, v95
	v_pk_mul_f32 v[94:95], v[96:97], v[86:87] op_sel:[0,1]
	v_pk_fma_f32 v[98:99], v[96:97], v[84:85], v[94:95] op_sel:[0,0,1] op_sel_hi:[1,1,0] neg_lo:[0,0,1] neg_hi:[0,0,1]
	v_pk_fma_f32 v[94:95], v[96:97], v[84:85], v[94:95] op_sel:[0,0,1] op_sel_hi:[1,0,0]
	s_delay_alu instid0(VALU_DEP_1)
	v_mov_b32_e32 v99, v95
	ds_load_2addr_b64 v[94:97], v88 offset0:34 offset1:35
	v_pk_add_f32 v[44:45], v[44:45], v[100:101] neg_lo:[0,1] neg_hi:[0,1]
	v_pk_add_f32 v[42:43], v[42:43], v[98:99] neg_lo:[0,1] neg_hi:[0,1]
	s_wait_dscnt 0x0
	v_pk_mul_f32 v[98:99], v[94:95], v[86:87] op_sel:[0,1]
	s_delay_alu instid0(VALU_DEP_1) | instskip(SKIP_1) | instid1(VALU_DEP_1)
	v_pk_fma_f32 v[100:101], v[94:95], v[84:85], v[98:99] op_sel:[0,0,1] op_sel_hi:[1,1,0] neg_lo:[0,0,1] neg_hi:[0,0,1]
	v_pk_fma_f32 v[94:95], v[94:95], v[84:85], v[98:99] op_sel:[0,0,1] op_sel_hi:[1,0,0]
	v_mov_b32_e32 v101, v95
	v_pk_mul_f32 v[94:95], v[96:97], v[86:87] op_sel:[0,1]
	s_delay_alu instid0(VALU_DEP_1) | instskip(SKIP_1) | instid1(VALU_DEP_1)
	v_pk_fma_f32 v[98:99], v[96:97], v[84:85], v[94:95] op_sel:[0,0,1] op_sel_hi:[1,1,0] neg_lo:[0,0,1] neg_hi:[0,0,1]
	v_pk_fma_f32 v[94:95], v[96:97], v[84:85], v[94:95] op_sel:[0,0,1] op_sel_hi:[1,0,0]
	v_mov_b32_e32 v99, v95
	ds_load_2addr_b64 v[94:97], v88 offset0:36 offset1:37
	v_pk_add_f32 v[8:9], v[8:9], v[100:101] neg_lo:[0,1] neg_hi:[0,1]
	v_pk_add_f32 v[40:41], v[40:41], v[98:99] neg_lo:[0,1] neg_hi:[0,1]
	s_wait_dscnt 0x0
	v_dual_mul_f32 v98, v95, v87 :: v_dual_mul_f32 v100, v95, v84
	s_delay_alu instid0(VALU_DEP_1) | instskip(NEXT) | instid1(VALU_DEP_2)
	v_pk_fma_f32 v[98:99], v[94:95], v[12:13], v[98:99] op_sel_hi:[1,1,0] neg_lo:[0,0,1] neg_hi:[0,0,1]
	v_pk_fma_f32 v[94:95], v[94:95], v[12:13], v[100:101] op_sel:[1,0,0] op_sel_hi:[0,1,0]
	s_delay_alu instid0(VALU_DEP_1) | instskip(SKIP_1) | instid1(VALU_DEP_2)
	v_mov_b32_e32 v99, v95
	v_pk_mul_f32 v[94:95], v[96:97], v[86:87] op_sel:[0,1]
	v_pk_add_f32 v[34:35], v[34:35], v[98:99] neg_lo:[0,1] neg_hi:[0,1]
	s_delay_alu instid0(VALU_DEP_2) | instskip(SKIP_1) | instid1(VALU_DEP_1)
	v_pk_fma_f32 v[98:99], v[96:97], v[84:85], v[94:95] op_sel:[0,0,1] op_sel_hi:[1,1,0] neg_lo:[0,0,1] neg_hi:[0,0,1]
	v_pk_fma_f32 v[94:95], v[96:97], v[84:85], v[94:95] op_sel:[0,0,1] op_sel_hi:[1,0,0]
	v_mov_b32_e32 v99, v95
	ds_load_b64 v[94:95], v88 offset:304
	v_pk_add_f32 v[20:21], v[20:21], v[98:99] neg_lo:[0,1] neg_hi:[0,1]
	s_wait_dscnt 0x0
	v_pk_mul_f32 v[86:87], v[94:95], v[86:87] op_sel:[0,1]
	s_delay_alu instid0(VALU_DEP_1) | instskip(SKIP_1) | instid1(VALU_DEP_1)
	v_pk_fma_f32 v[96:97], v[94:95], v[84:85], v[86:87] op_sel:[0,0,1] op_sel_hi:[1,1,0] neg_lo:[0,0,1] neg_hi:[0,0,1]
	v_pk_fma_f32 v[84:85], v[94:95], v[84:85], v[86:87] op_sel:[0,0,1] op_sel_hi:[1,0,0]
	v_mov_b32_e32 v97, v85
	s_delay_alu instid0(VALU_DEP_1)
	v_pk_add_f32 v[82:83], v[82:83], v[96:97] neg_lo:[0,1] neg_hi:[0,1]
.LBB76_167:
	s_or_b32 exec_lo, exec_lo, s0
	v_lshl_add_u32 v84, v92, 3, v88
	s_barrier_signal -1
	s_barrier_wait -1
	ds_store_b64 v84, v[56:57]
	s_wait_dscnt 0x0
	s_barrier_signal -1
	s_barrier_wait -1
	ds_load_b64 v[86:87], v88 offset:64
	v_mov_b32_e32 v84, 8
	s_cmp_lt_i32 s18, 10
	s_cbranch_scc1 .LBB76_170
; %bb.168:
	v_add3_u32 v85, v89, 0, 0x48
	v_mov_b32_e32 v84, 8
	s_mov_b32 s0, 9
.LBB76_169:                             ; =>This Inner Loop Header: Depth=1
	ds_load_b64 v[94:95], v85
	s_wait_dscnt 0x1
	v_cmp_gt_f32_e32 vcc_lo, 0, v86
	v_cndmask_b32_e64 v96, v86, -v86, vcc_lo
	v_cmp_gt_f32_e32 vcc_lo, 0, v87
	v_cndmask_b32_e64 v98, v87, -v87, vcc_lo
	s_wait_dscnt 0x0
	v_cmp_gt_f32_e32 vcc_lo, 0, v94
	v_cndmask_b32_e64 v97, v94, -v94, vcc_lo
	v_cmp_gt_f32_e32 vcc_lo, 0, v95
	v_cndmask_b32_e64 v99, v95, -v95, vcc_lo
	s_delay_alu instid0(VALU_DEP_1) | instskip(NEXT) | instid1(VALU_DEP_1)
	v_pk_add_f32 v[96:97], v[96:97], v[98:99]
	v_cmp_lt_f32_e32 vcc_lo, v96, v97
	v_dual_add_nc_u32 v85, 8, v85 :: v_dual_cndmask_b32 v87, v87, v95, vcc_lo
	v_cndmask_b32_e32 v86, v86, v94, vcc_lo
	v_cndmask_b32_e64 v84, v84, s0, vcc_lo
	s_add_co_i32 s0, s0, 1
	s_delay_alu instid0(SALU_CYCLE_1)
	s_cmp_lg_u32 s18, s0
	s_cbranch_scc1 .LBB76_169
.LBB76_170:
	s_wait_dscnt 0x0
	v_cmp_eq_f32_e32 vcc_lo, 0, v86
	v_cmp_eq_f32_e64 s0, 0, v87
	s_and_b32 s0, vcc_lo, s0
	s_delay_alu instid0(SALU_CYCLE_1) | instskip(NEXT) | instid1(SALU_CYCLE_1)
	s_and_saveexec_b32 s1, s0
	s_xor_b32 s0, exec_lo, s1
; %bb.171:
	v_cmp_ne_u32_e32 vcc_lo, 0, v90
	v_cndmask_b32_e32 v90, 9, v90, vcc_lo
; %bb.172:
	s_and_not1_saveexec_b32 s0, s0
	s_cbranch_execz .LBB76_178
; %bb.173:
	v_cmp_ngt_f32_e64 s1, |v86|, |v87|
	s_and_saveexec_b32 s12, s1
	s_delay_alu instid0(SALU_CYCLE_1)
	s_xor_b32 s1, exec_lo, s12
	s_cbranch_execz .LBB76_175
; %bb.174:
	v_div_scale_f32 v85, null, v87, v87, v86
	v_div_scale_f32 v95, vcc_lo, v86, v87, v86
	s_delay_alu instid0(VALU_DEP_2) | instskip(SKIP_1) | instid1(TRANS32_DEP_1)
	v_rcp_f32_e32 v93, v85
	v_nop
	v_fma_f32 v94, -v85, v93, 1.0
	s_delay_alu instid0(VALU_DEP_1) | instskip(NEXT) | instid1(VALU_DEP_1)
	v_fmac_f32_e32 v93, v94, v93
	v_mul_f32_e32 v94, v95, v93
	s_delay_alu instid0(VALU_DEP_1) | instskip(NEXT) | instid1(VALU_DEP_1)
	v_fma_f32 v96, -v85, v94, v95
	v_fmac_f32_e32 v94, v96, v93
	s_delay_alu instid0(VALU_DEP_1) | instskip(NEXT) | instid1(VALU_DEP_1)
	v_fma_f32 v85, -v85, v94, v95
	v_div_fmas_f32 v85, v85, v93, v94
	s_delay_alu instid0(VALU_DEP_1) | instskip(NEXT) | instid1(VALU_DEP_1)
	v_div_fixup_f32 v85, v85, v87, v86
	v_fmac_f32_e32 v87, v86, v85
	s_delay_alu instid0(VALU_DEP_1) | instskip(SKIP_1) | instid1(VALU_DEP_2)
	v_div_scale_f32 v86, null, v87, v87, 1.0
	v_div_scale_f32 v95, vcc_lo, 1.0, v87, 1.0
	v_rcp_f32_e32 v93, v86
	v_nop
	s_delay_alu instid0(TRANS32_DEP_1) | instskip(NEXT) | instid1(VALU_DEP_1)
	v_fma_f32 v94, -v86, v93, 1.0
	v_fmac_f32_e32 v93, v94, v93
	s_delay_alu instid0(VALU_DEP_1) | instskip(NEXT) | instid1(VALU_DEP_1)
	v_mul_f32_e32 v94, v95, v93
	v_fma_f32 v96, -v86, v94, v95
	s_delay_alu instid0(VALU_DEP_1) | instskip(NEXT) | instid1(VALU_DEP_1)
	v_fmac_f32_e32 v94, v96, v93
	v_fma_f32 v86, -v86, v94, v95
	s_delay_alu instid0(VALU_DEP_1) | instskip(NEXT) | instid1(VALU_DEP_1)
	v_div_fmas_f32 v86, v86, v93, v94
	v_div_fixup_f32 v87, v86, v87, 1.0
	s_delay_alu instid0(VALU_DEP_1)
	v_mul_f32_e32 v86, v85, v87
	v_xor_b32_e32 v87, 0x80000000, v87
.LBB76_175:
	s_and_not1_saveexec_b32 s1, s1
	s_cbranch_execz .LBB76_177
; %bb.176:
	s_delay_alu instid0(VALU_DEP_1) | instskip(SKIP_1) | instid1(VALU_DEP_2)
	v_div_scale_f32 v85, null, v86, v86, v87
	v_div_scale_f32 v95, vcc_lo, v87, v86, v87
	v_rcp_f32_e32 v93, v85
	v_nop
	s_delay_alu instid0(TRANS32_DEP_1) | instskip(NEXT) | instid1(VALU_DEP_1)
	v_fma_f32 v94, -v85, v93, 1.0
	v_fmac_f32_e32 v93, v94, v93
	s_delay_alu instid0(VALU_DEP_1) | instskip(NEXT) | instid1(VALU_DEP_1)
	v_mul_f32_e32 v94, v95, v93
	v_fma_f32 v96, -v85, v94, v95
	s_delay_alu instid0(VALU_DEP_1) | instskip(NEXT) | instid1(VALU_DEP_1)
	v_fmac_f32_e32 v94, v96, v93
	v_fma_f32 v85, -v85, v94, v95
	s_delay_alu instid0(VALU_DEP_1) | instskip(NEXT) | instid1(VALU_DEP_1)
	v_div_fmas_f32 v85, v85, v93, v94
	v_div_fixup_f32 v85, v85, v86, v87
	s_delay_alu instid0(VALU_DEP_1) | instskip(NEXT) | instid1(VALU_DEP_1)
	v_fmac_f32_e32 v86, v87, v85
	v_div_scale_f32 v87, null, v86, v86, 1.0
	s_delay_alu instid0(VALU_DEP_1) | instskip(SKIP_1) | instid1(TRANS32_DEP_1)
	v_rcp_f32_e32 v93, v87
	v_nop
	v_fma_f32 v94, -v87, v93, 1.0
	s_delay_alu instid0(VALU_DEP_1) | instskip(SKIP_1) | instid1(VALU_DEP_1)
	v_fmac_f32_e32 v93, v94, v93
	v_div_scale_f32 v94, vcc_lo, 1.0, v86, 1.0
	v_mul_f32_e32 v95, v94, v93
	s_delay_alu instid0(VALU_DEP_1) | instskip(NEXT) | instid1(VALU_DEP_1)
	v_fma_f32 v96, -v87, v95, v94
	v_fmac_f32_e32 v95, v96, v93
	s_delay_alu instid0(VALU_DEP_1) | instskip(NEXT) | instid1(VALU_DEP_1)
	v_fma_f32 v87, -v87, v95, v94
	v_div_fmas_f32 v87, v87, v93, v95
	s_delay_alu instid0(VALU_DEP_1) | instskip(NEXT) | instid1(VALU_DEP_1)
	v_div_fixup_f32 v86, v87, v86, 1.0
	v_mul_f32_e64 v87, v85, -v86
.LBB76_177:
	s_or_b32 exec_lo, exec_lo, s1
.LBB76_178:
	s_delay_alu instid0(SALU_CYCLE_1) | instskip(NEXT) | instid1(SALU_CYCLE_1)
	s_or_b32 exec_lo, exec_lo, s0
	s_mov_b32 s0, exec_lo
	v_cmpx_ne_u32_e64 v92, v84
	s_xor_b32 s0, exec_lo, s0
	s_cbranch_execz .LBB76_184
; %bb.179:
	s_mov_b32 s1, exec_lo
	v_cmpx_eq_u32_e32 8, v92
	s_cbranch_execz .LBB76_183
; %bb.180:
	v_cmp_ne_u32_e32 vcc_lo, 8, v84
	s_xor_b32 s12, s16, -1
	s_delay_alu instid0(SALU_CYCLE_1) | instskip(NEXT) | instid1(SALU_CYCLE_1)
	s_and_b32 s13, s12, vcc_lo
	s_and_saveexec_b32 s12, s13
	s_cbranch_execz .LBB76_182
; %bb.181:
	v_ashrrev_i32_e32 v85, 31, v84
	s_delay_alu instid0(VALU_DEP_1)
	v_lshl_add_u64 v[92:93], v[84:85], 2, v[4:5]
	s_clause 0x1
	global_load_b32 v85, v[92:93], off
	global_load_b32 v91, v[4:5], off offset:32
	s_wait_loadcnt 0x1
	global_store_b32 v[4:5], v85, off offset:32
	s_wait_loadcnt 0x0
	global_store_b32 v[92:93], v91, off
.LBB76_182:
	s_wait_xcnt 0x0
	s_or_b32 exec_lo, exec_lo, s12
	v_dual_mov_b32 v92, v84 :: v_dual_mov_b32 v91, v84
.LBB76_183:
	s_or_b32 exec_lo, exec_lo, s1
.LBB76_184:
	s_and_not1_saveexec_b32 s0, s0
	s_cbranch_execz .LBB76_186
; %bb.185:
	v_mov_b32_e32 v92, 8
	ds_store_2addr_b64 v88, v[54:55], v[18:19] offset0:9 offset1:10
	ds_store_2addr_b64 v88, v[16:17], v[72:73] offset0:11 offset1:12
	;; [unrolled: 1-line block ×15, first 2 shown]
.LBB76_186:
	s_or_b32 exec_lo, exec_lo, s0
	s_delay_alu instid0(SALU_CYCLE_1)
	s_mov_b32 s0, exec_lo
	s_wait_storecnt_dscnt 0x0
	s_barrier_signal -1
	s_barrier_wait -1
	v_cmpx_lt_i32_e32 8, v92
	s_cbranch_execz .LBB76_188
; %bb.187:
	v_pk_mul_f32 v[94:95], v[86:87], v[56:57] op_sel:[1,1] op_sel_hi:[0,1]
	s_delay_alu instid0(VALU_DEP_1)
	v_pk_fma_f32 v[84:85], v[86:87], v[56:57], v[94:95] op_sel_hi:[1,0,1] neg_lo:[0,0,1] neg_hi:[0,0,1]
	v_pk_fma_f32 v[86:87], v[86:87], v[56:57], v[94:95] op_sel_hi:[1,0,1]
	ds_load_2addr_b64 v[94:97], v88 offset0:9 offset1:10
	v_dual_mov_b32 v56, v84 :: v_dual_mov_b32 v57, v87
	s_wait_dscnt 0x0
	v_pk_mul_f32 v[98:99], v[94:95], v[86:87] op_sel:[0,1]
	s_delay_alu instid0(VALU_DEP_1) | instskip(SKIP_1) | instid1(VALU_DEP_1)
	v_pk_fma_f32 v[100:101], v[94:95], v[84:85], v[98:99] op_sel:[0,0,1] op_sel_hi:[1,1,0] neg_lo:[0,0,1] neg_hi:[0,0,1]
	v_pk_fma_f32 v[94:95], v[94:95], v[84:85], v[98:99] op_sel:[0,0,1] op_sel_hi:[1,0,0]
	v_mov_b32_e32 v101, v95
	v_pk_mul_f32 v[94:95], v[96:97], v[86:87] op_sel:[0,1]
	s_delay_alu instid0(VALU_DEP_1) | instskip(SKIP_1) | instid1(VALU_DEP_1)
	v_pk_fma_f32 v[98:99], v[96:97], v[84:85], v[94:95] op_sel:[0,0,1] op_sel_hi:[1,1,0] neg_lo:[0,0,1] neg_hi:[0,0,1]
	v_pk_fma_f32 v[94:95], v[96:97], v[84:85], v[94:95] op_sel:[0,0,1] op_sel_hi:[1,0,0]
	v_mov_b32_e32 v99, v95
	ds_load_2addr_b64 v[94:97], v88 offset0:11 offset1:12
	v_pk_add_f32 v[54:55], v[54:55], v[100:101] neg_lo:[0,1] neg_hi:[0,1]
	v_pk_add_f32 v[18:19], v[18:19], v[98:99] neg_lo:[0,1] neg_hi:[0,1]
	s_wait_dscnt 0x0
	v_pk_mul_f32 v[98:99], v[94:95], v[86:87] op_sel:[0,1]
	s_delay_alu instid0(VALU_DEP_1) | instskip(SKIP_2) | instid1(VALU_DEP_2)
	v_pk_fma_f32 v[100:101], v[94:95], v[84:85], v[98:99] op_sel:[0,0,1] op_sel_hi:[1,1,0] neg_lo:[0,0,1] neg_hi:[0,0,1]
	v_pk_fma_f32 v[94:95], v[94:95], v[84:85], v[98:99] op_sel:[0,0,1] op_sel_hi:[1,0,0]
	v_dual_mul_f32 v98, v97, v87 :: v_dual_mov_b32 v94, v97
	v_dual_mov_b32 v101, v95 :: v_dual_mov_b32 v95, v96
	s_delay_alu instid0(VALU_DEP_2) | instskip(SKIP_1) | instid1(VALU_DEP_3)
	v_pk_fma_f32 v[98:99], v[96:97], v[56:57], v[98:99] op_sel_hi:[1,1,0] neg_lo:[0,0,1] neg_hi:[0,0,1]
	v_mul_f32_e32 v96, v97, v84
	v_pk_add_f32 v[16:17], v[16:17], v[100:101] neg_lo:[0,1] neg_hi:[0,1]
	s_delay_alu instid0(VALU_DEP_2) | instskip(NEXT) | instid1(VALU_DEP_1)
	v_pk_fma_f32 v[94:95], v[94:95], v[56:57], v[96:97] op_sel_hi:[1,1,0]
	v_mov_b32_e32 v99, v95
	ds_load_2addr_b64 v[94:97], v88 offset0:13 offset1:14
	v_pk_add_f32 v[72:73], v[72:73], v[98:99] neg_lo:[0,1] neg_hi:[0,1]
	s_wait_dscnt 0x0
	v_pk_mul_f32 v[98:99], v[94:95], v[86:87] op_sel:[0,1]
	s_delay_alu instid0(VALU_DEP_1) | instskip(SKIP_1) | instid1(VALU_DEP_1)
	v_pk_fma_f32 v[100:101], v[94:95], v[84:85], v[98:99] op_sel:[0,0,1] op_sel_hi:[1,1,0] neg_lo:[0,0,1] neg_hi:[0,0,1]
	v_pk_fma_f32 v[94:95], v[94:95], v[84:85], v[98:99] op_sel:[0,0,1] op_sel_hi:[1,0,0]
	v_mov_b32_e32 v101, v95
	v_pk_mul_f32 v[94:95], v[96:97], v[86:87] op_sel:[0,1]
	s_delay_alu instid0(VALU_DEP_1) | instskip(SKIP_1) | instid1(VALU_DEP_1)
	v_pk_fma_f32 v[98:99], v[96:97], v[84:85], v[94:95] op_sel:[0,0,1] op_sel_hi:[1,1,0] neg_lo:[0,0,1] neg_hi:[0,0,1]
	v_pk_fma_f32 v[94:95], v[96:97], v[84:85], v[94:95] op_sel:[0,0,1] op_sel_hi:[1,0,0]
	v_mov_b32_e32 v99, v95
	ds_load_2addr_b64 v[94:97], v88 offset0:15 offset1:16
	v_pk_add_f32 v[70:71], v[70:71], v[100:101] neg_lo:[0,1] neg_hi:[0,1]
	v_pk_add_f32 v[38:39], v[38:39], v[98:99] neg_lo:[0,1] neg_hi:[0,1]
	s_wait_dscnt 0x0
	v_pk_mul_f32 v[98:99], v[94:95], v[86:87] op_sel:[0,1]
	s_delay_alu instid0(VALU_DEP_1) | instskip(SKIP_1) | instid1(VALU_DEP_1)
	v_pk_fma_f32 v[100:101], v[94:95], v[84:85], v[98:99] op_sel:[0,0,1] op_sel_hi:[1,1,0] neg_lo:[0,0,1] neg_hi:[0,0,1]
	v_pk_fma_f32 v[94:95], v[94:95], v[84:85], v[98:99] op_sel:[0,0,1] op_sel_hi:[1,0,0]
	v_mov_b32_e32 v101, v95
	v_pk_mul_f32 v[94:95], v[96:97], v[86:87] op_sel:[0,1]
	s_delay_alu instid0(VALU_DEP_1) | instskip(SKIP_1) | instid1(VALU_DEP_1)
	v_pk_fma_f32 v[98:99], v[96:97], v[84:85], v[94:95] op_sel:[0,0,1] op_sel_hi:[1,1,0] neg_lo:[0,0,1] neg_hi:[0,0,1]
	v_pk_fma_f32 v[94:95], v[96:97], v[84:85], v[94:95] op_sel:[0,0,1] op_sel_hi:[1,0,0]
	v_mov_b32_e32 v99, v95
	ds_load_2addr_b64 v[94:97], v88 offset0:17 offset1:18
	v_pk_add_f32 v[36:37], v[36:37], v[100:101] neg_lo:[0,1] neg_hi:[0,1]
	v_pk_add_f32 v[68:69], v[68:69], v[98:99] neg_lo:[0,1] neg_hi:[0,1]
	s_wait_dscnt 0x0
	v_dual_mul_f32 v98, v95, v87 :: v_dual_mul_f32 v100, v95, v84
	s_delay_alu instid0(VALU_DEP_1) | instskip(NEXT) | instid1(VALU_DEP_2)
	v_pk_fma_f32 v[98:99], v[94:95], v[56:57], v[98:99] op_sel_hi:[1,1,0] neg_lo:[0,0,1] neg_hi:[0,0,1]
	v_pk_fma_f32 v[94:95], v[94:95], v[56:57], v[100:101] op_sel:[1,0,0] op_sel_hi:[0,1,0]
	s_delay_alu instid0(VALU_DEP_1) | instskip(SKIP_1) | instid1(VALU_DEP_2)
	v_mov_b32_e32 v99, v95
	v_pk_mul_f32 v[94:95], v[96:97], v[86:87] op_sel:[0,1]
	v_pk_add_f32 v[66:67], v[66:67], v[98:99] neg_lo:[0,1] neg_hi:[0,1]
	s_delay_alu instid0(VALU_DEP_2) | instskip(SKIP_1) | instid1(VALU_DEP_1)
	v_pk_fma_f32 v[98:99], v[96:97], v[84:85], v[94:95] op_sel:[0,0,1] op_sel_hi:[1,1,0] neg_lo:[0,0,1] neg_hi:[0,0,1]
	v_pk_fma_f32 v[94:95], v[96:97], v[84:85], v[94:95] op_sel:[0,0,1] op_sel_hi:[1,0,0]
	v_mov_b32_e32 v99, v95
	ds_load_2addr_b64 v[94:97], v88 offset0:19 offset1:20
	v_pk_add_f32 v[32:33], v[32:33], v[98:99] neg_lo:[0,1] neg_hi:[0,1]
	s_wait_dscnt 0x0
	v_pk_mul_f32 v[98:99], v[94:95], v[86:87] op_sel:[0,1]
	s_delay_alu instid0(VALU_DEP_1) | instskip(SKIP_1) | instid1(VALU_DEP_1)
	v_pk_fma_f32 v[100:101], v[94:95], v[84:85], v[98:99] op_sel:[0,0,1] op_sel_hi:[1,1,0] neg_lo:[0,0,1] neg_hi:[0,0,1]
	v_pk_fma_f32 v[94:95], v[94:95], v[84:85], v[98:99] op_sel:[0,0,1] op_sel_hi:[1,0,0]
	v_mov_b32_e32 v101, v95
	v_pk_mul_f32 v[94:95], v[96:97], v[86:87] op_sel:[0,1]
	s_delay_alu instid0(VALU_DEP_2) | instskip(NEXT) | instid1(VALU_DEP_2)
	v_pk_add_f32 v[30:31], v[30:31], v[100:101] neg_lo:[0,1] neg_hi:[0,1]
	v_pk_fma_f32 v[98:99], v[96:97], v[84:85], v[94:95] op_sel:[0,0,1] op_sel_hi:[1,1,0] neg_lo:[0,0,1] neg_hi:[0,0,1]
	v_pk_fma_f32 v[94:95], v[96:97], v[84:85], v[94:95] op_sel:[0,0,1] op_sel_hi:[1,0,0]
	s_delay_alu instid0(VALU_DEP_1) | instskip(SKIP_4) | instid1(VALU_DEP_1)
	v_mov_b32_e32 v99, v95
	ds_load_2addr_b64 v[94:97], v88 offset0:21 offset1:22
	v_pk_add_f32 v[64:65], v[64:65], v[98:99] neg_lo:[0,1] neg_hi:[0,1]
	s_wait_dscnt 0x0
	v_pk_mul_f32 v[98:99], v[94:95], v[86:87] op_sel:[0,1]
	v_pk_fma_f32 v[100:101], v[94:95], v[84:85], v[98:99] op_sel:[0,0,1] op_sel_hi:[1,1,0] neg_lo:[0,0,1] neg_hi:[0,0,1]
	v_pk_fma_f32 v[94:95], v[94:95], v[84:85], v[98:99] op_sel:[0,0,1] op_sel_hi:[1,0,0]
	v_dual_mul_f32 v98, v97, v87 :: v_dual_mov_b32 v94, v97
	s_delay_alu instid0(VALU_DEP_2) | instskip(NEXT) | instid1(VALU_DEP_2)
	v_dual_mov_b32 v101, v95 :: v_dual_mov_b32 v95, v96
	v_pk_fma_f32 v[98:99], v[96:97], v[56:57], v[98:99] op_sel_hi:[1,1,0] neg_lo:[0,0,1] neg_hi:[0,0,1]
	v_mul_f32_e32 v96, v97, v84
	s_delay_alu instid0(VALU_DEP_3) | instskip(NEXT) | instid1(VALU_DEP_2)
	v_pk_add_f32 v[62:63], v[62:63], v[100:101] neg_lo:[0,1] neg_hi:[0,1]
	v_pk_fma_f32 v[94:95], v[94:95], v[56:57], v[96:97] op_sel_hi:[1,1,0]
	s_delay_alu instid0(VALU_DEP_1) | instskip(SKIP_4) | instid1(VALU_DEP_1)
	v_mov_b32_e32 v99, v95
	ds_load_2addr_b64 v[94:97], v88 offset0:23 offset1:24
	v_pk_add_f32 v[28:29], v[28:29], v[98:99] neg_lo:[0,1] neg_hi:[0,1]
	s_wait_dscnt 0x0
	v_pk_mul_f32 v[98:99], v[94:95], v[86:87] op_sel:[0,1]
	v_pk_fma_f32 v[100:101], v[94:95], v[84:85], v[98:99] op_sel:[0,0,1] op_sel_hi:[1,1,0] neg_lo:[0,0,1] neg_hi:[0,0,1]
	v_pk_fma_f32 v[94:95], v[94:95], v[84:85], v[98:99] op_sel:[0,0,1] op_sel_hi:[1,0,0]
	s_delay_alu instid0(VALU_DEP_1) | instskip(SKIP_1) | instid1(VALU_DEP_1)
	v_mov_b32_e32 v101, v95
	v_pk_mul_f32 v[94:95], v[96:97], v[86:87] op_sel:[0,1]
	v_pk_fma_f32 v[98:99], v[96:97], v[84:85], v[94:95] op_sel:[0,0,1] op_sel_hi:[1,1,0] neg_lo:[0,0,1] neg_hi:[0,0,1]
	v_pk_fma_f32 v[94:95], v[96:97], v[84:85], v[94:95] op_sel:[0,0,1] op_sel_hi:[1,0,0]
	s_delay_alu instid0(VALU_DEP_1)
	v_mov_b32_e32 v99, v95
	ds_load_2addr_b64 v[94:97], v88 offset0:25 offset1:26
	v_pk_add_f32 v[26:27], v[26:27], v[100:101] neg_lo:[0,1] neg_hi:[0,1]
	v_pk_add_f32 v[60:61], v[60:61], v[98:99] neg_lo:[0,1] neg_hi:[0,1]
	s_wait_dscnt 0x0
	v_pk_mul_f32 v[98:99], v[94:95], v[86:87] op_sel:[0,1]
	s_delay_alu instid0(VALU_DEP_1) | instskip(SKIP_1) | instid1(VALU_DEP_1)
	v_pk_fma_f32 v[100:101], v[94:95], v[84:85], v[98:99] op_sel:[0,0,1] op_sel_hi:[1,1,0] neg_lo:[0,0,1] neg_hi:[0,0,1]
	v_pk_fma_f32 v[94:95], v[94:95], v[84:85], v[98:99] op_sel:[0,0,1] op_sel_hi:[1,0,0]
	v_mov_b32_e32 v101, v95
	v_pk_mul_f32 v[94:95], v[96:97], v[86:87] op_sel:[0,1]
	s_delay_alu instid0(VALU_DEP_1) | instskip(SKIP_1) | instid1(VALU_DEP_1)
	v_pk_fma_f32 v[98:99], v[96:97], v[84:85], v[94:95] op_sel:[0,0,1] op_sel_hi:[1,1,0] neg_lo:[0,0,1] neg_hi:[0,0,1]
	v_pk_fma_f32 v[94:95], v[96:97], v[84:85], v[94:95] op_sel:[0,0,1] op_sel_hi:[1,0,0]
	v_mov_b32_e32 v99, v95
	ds_load_2addr_b64 v[94:97], v88 offset0:27 offset1:28
	v_pk_add_f32 v[58:59], v[58:59], v[100:101] neg_lo:[0,1] neg_hi:[0,1]
	v_pk_add_f32 v[24:25], v[24:25], v[98:99] neg_lo:[0,1] neg_hi:[0,1]
	s_wait_dscnt 0x0
	v_dual_mul_f32 v98, v95, v87 :: v_dual_mul_f32 v100, v95, v84
	s_delay_alu instid0(VALU_DEP_1) | instskip(NEXT) | instid1(VALU_DEP_2)
	v_pk_fma_f32 v[98:99], v[94:95], v[56:57], v[98:99] op_sel_hi:[1,1,0] neg_lo:[0,0,1] neg_hi:[0,0,1]
	v_pk_fma_f32 v[94:95], v[94:95], v[56:57], v[100:101] op_sel:[1,0,0] op_sel_hi:[0,1,0]
	s_delay_alu instid0(VALU_DEP_1) | instskip(SKIP_1) | instid1(VALU_DEP_2)
	v_mov_b32_e32 v99, v95
	v_pk_mul_f32 v[94:95], v[96:97], v[86:87] op_sel:[0,1]
	v_pk_add_f32 v[22:23], v[22:23], v[98:99] neg_lo:[0,1] neg_hi:[0,1]
	s_delay_alu instid0(VALU_DEP_2) | instskip(SKIP_1) | instid1(VALU_DEP_1)
	v_pk_fma_f32 v[98:99], v[96:97], v[84:85], v[94:95] op_sel:[0,0,1] op_sel_hi:[1,1,0] neg_lo:[0,0,1] neg_hi:[0,0,1]
	v_pk_fma_f32 v[94:95], v[96:97], v[84:85], v[94:95] op_sel:[0,0,1] op_sel_hi:[1,0,0]
	v_mov_b32_e32 v99, v95
	ds_load_2addr_b64 v[94:97], v88 offset0:29 offset1:30
	v_pk_add_f32 v[48:49], v[48:49], v[98:99] neg_lo:[0,1] neg_hi:[0,1]
	s_wait_dscnt 0x0
	v_pk_mul_f32 v[98:99], v[94:95], v[86:87] op_sel:[0,1]
	s_delay_alu instid0(VALU_DEP_1) | instskip(SKIP_1) | instid1(VALU_DEP_1)
	v_pk_fma_f32 v[100:101], v[94:95], v[84:85], v[98:99] op_sel:[0,0,1] op_sel_hi:[1,1,0] neg_lo:[0,0,1] neg_hi:[0,0,1]
	v_pk_fma_f32 v[94:95], v[94:95], v[84:85], v[98:99] op_sel:[0,0,1] op_sel_hi:[1,0,0]
	v_mov_b32_e32 v101, v95
	v_pk_mul_f32 v[94:95], v[96:97], v[86:87] op_sel:[0,1]
	s_delay_alu instid0(VALU_DEP_2) | instskip(NEXT) | instid1(VALU_DEP_2)
	v_pk_add_f32 v[46:47], v[46:47], v[100:101] neg_lo:[0,1] neg_hi:[0,1]
	v_pk_fma_f32 v[98:99], v[96:97], v[84:85], v[94:95] op_sel:[0,0,1] op_sel_hi:[1,1,0] neg_lo:[0,0,1] neg_hi:[0,0,1]
	v_pk_fma_f32 v[94:95], v[96:97], v[84:85], v[94:95] op_sel:[0,0,1] op_sel_hi:[1,0,0]
	s_delay_alu instid0(VALU_DEP_1) | instskip(SKIP_4) | instid1(VALU_DEP_1)
	v_mov_b32_e32 v99, v95
	ds_load_2addr_b64 v[94:97], v88 offset0:31 offset1:32
	v_pk_add_f32 v[10:11], v[10:11], v[98:99] neg_lo:[0,1] neg_hi:[0,1]
	s_wait_dscnt 0x0
	v_pk_mul_f32 v[98:99], v[94:95], v[86:87] op_sel:[0,1]
	v_pk_fma_f32 v[100:101], v[94:95], v[84:85], v[98:99] op_sel:[0,0,1] op_sel_hi:[1,1,0] neg_lo:[0,0,1] neg_hi:[0,0,1]
	v_pk_fma_f32 v[94:95], v[94:95], v[84:85], v[98:99] op_sel:[0,0,1] op_sel_hi:[1,0,0]
	v_dual_mul_f32 v98, v97, v87 :: v_dual_mov_b32 v94, v97
	s_delay_alu instid0(VALU_DEP_2) | instskip(NEXT) | instid1(VALU_DEP_2)
	v_dual_mov_b32 v101, v95 :: v_dual_mov_b32 v95, v96
	v_pk_fma_f32 v[98:99], v[96:97], v[56:57], v[98:99] op_sel_hi:[1,1,0] neg_lo:[0,0,1] neg_hi:[0,0,1]
	v_mul_f32_e32 v96, v97, v84
	s_delay_alu instid0(VALU_DEP_3) | instskip(NEXT) | instid1(VALU_DEP_2)
	v_pk_add_f32 v[6:7], v[6:7], v[100:101] neg_lo:[0,1] neg_hi:[0,1]
	v_pk_fma_f32 v[94:95], v[94:95], v[56:57], v[96:97] op_sel_hi:[1,1,0]
	s_delay_alu instid0(VALU_DEP_1) | instskip(SKIP_4) | instid1(VALU_DEP_1)
	v_mov_b32_e32 v99, v95
	ds_load_2addr_b64 v[94:97], v88 offset0:33 offset1:34
	v_pk_add_f32 v[44:45], v[44:45], v[98:99] neg_lo:[0,1] neg_hi:[0,1]
	s_wait_dscnt 0x0
	v_pk_mul_f32 v[98:99], v[94:95], v[86:87] op_sel:[0,1]
	v_pk_fma_f32 v[100:101], v[94:95], v[84:85], v[98:99] op_sel:[0,0,1] op_sel_hi:[1,1,0] neg_lo:[0,0,1] neg_hi:[0,0,1]
	v_pk_fma_f32 v[94:95], v[94:95], v[84:85], v[98:99] op_sel:[0,0,1] op_sel_hi:[1,0,0]
	s_delay_alu instid0(VALU_DEP_1) | instskip(SKIP_1) | instid1(VALU_DEP_1)
	v_mov_b32_e32 v101, v95
	v_pk_mul_f32 v[94:95], v[96:97], v[86:87] op_sel:[0,1]
	v_pk_fma_f32 v[98:99], v[96:97], v[84:85], v[94:95] op_sel:[0,0,1] op_sel_hi:[1,1,0] neg_lo:[0,0,1] neg_hi:[0,0,1]
	v_pk_fma_f32 v[94:95], v[96:97], v[84:85], v[94:95] op_sel:[0,0,1] op_sel_hi:[1,0,0]
	s_delay_alu instid0(VALU_DEP_1)
	v_mov_b32_e32 v99, v95
	ds_load_2addr_b64 v[94:97], v88 offset0:35 offset1:36
	v_pk_add_f32 v[42:43], v[42:43], v[100:101] neg_lo:[0,1] neg_hi:[0,1]
	v_pk_add_f32 v[8:9], v[8:9], v[98:99] neg_lo:[0,1] neg_hi:[0,1]
	s_wait_dscnt 0x0
	v_pk_mul_f32 v[98:99], v[94:95], v[86:87] op_sel:[0,1]
	s_delay_alu instid0(VALU_DEP_1) | instskip(SKIP_1) | instid1(VALU_DEP_1)
	v_pk_fma_f32 v[100:101], v[94:95], v[84:85], v[98:99] op_sel:[0,0,1] op_sel_hi:[1,1,0] neg_lo:[0,0,1] neg_hi:[0,0,1]
	v_pk_fma_f32 v[94:95], v[94:95], v[84:85], v[98:99] op_sel:[0,0,1] op_sel_hi:[1,0,0]
	v_mov_b32_e32 v101, v95
	v_pk_mul_f32 v[94:95], v[96:97], v[86:87] op_sel:[0,1]
	s_delay_alu instid0(VALU_DEP_1) | instskip(SKIP_1) | instid1(VALU_DEP_1)
	v_pk_fma_f32 v[98:99], v[96:97], v[84:85], v[94:95] op_sel:[0,0,1] op_sel_hi:[1,1,0] neg_lo:[0,0,1] neg_hi:[0,0,1]
	v_pk_fma_f32 v[94:95], v[96:97], v[84:85], v[94:95] op_sel:[0,0,1] op_sel_hi:[1,0,0]
	v_mov_b32_e32 v99, v95
	ds_load_2addr_b64 v[94:97], v88 offset0:37 offset1:38
	v_pk_add_f32 v[40:41], v[40:41], v[100:101] neg_lo:[0,1] neg_hi:[0,1]
	v_pk_add_f32 v[34:35], v[34:35], v[98:99] neg_lo:[0,1] neg_hi:[0,1]
	s_wait_dscnt 0x0
	v_mul_f32_e32 v86, v95, v87
	s_delay_alu instid0(VALU_DEP_1) | instskip(SKIP_1) | instid1(VALU_DEP_1)
	v_pk_fma_f32 v[98:99], v[94:95], v[56:57], v[86:87] op_sel_hi:[1,1,0] neg_lo:[0,0,1] neg_hi:[0,0,1]
	v_dual_mul_f32 v86, v95, v84 :: v_dual_mul_f32 v84, v97, v84
	v_pk_fma_f32 v[94:95], v[94:95], v[56:57], v[86:87] op_sel:[1,0,0] op_sel_hi:[0,1,0]
	v_dual_mov_b32 v94, v97 :: v_dual_mul_f32 v86, v97, v87
	s_delay_alu instid0(VALU_DEP_2) | instskip(NEXT) | instid1(VALU_DEP_2)
	v_dual_mov_b32 v99, v95 :: v_dual_mov_b32 v95, v96
	v_pk_fma_f32 v[86:87], v[96:97], v[56:57], v[86:87] op_sel_hi:[1,1,0] neg_lo:[0,0,1] neg_hi:[0,0,1]
	s_delay_alu instid0(VALU_DEP_2) | instskip(NEXT) | instid1(VALU_DEP_3)
	v_pk_add_f32 v[20:21], v[20:21], v[98:99] neg_lo:[0,1] neg_hi:[0,1]
	v_pk_fma_f32 v[84:85], v[94:95], v[56:57], v[84:85] op_sel_hi:[1,1,0]
	s_delay_alu instid0(VALU_DEP_1) | instskip(NEXT) | instid1(VALU_DEP_1)
	v_mov_b32_e32 v87, v85
	v_pk_add_f32 v[82:83], v[82:83], v[86:87] neg_lo:[0,1] neg_hi:[0,1]
.LBB76_188:
	s_or_b32 exec_lo, exec_lo, s0
	v_lshl_add_u32 v84, v92, 3, v88
	s_barrier_signal -1
	s_barrier_wait -1
	ds_store_b64 v84, v[54:55]
	s_wait_dscnt 0x0
	s_barrier_signal -1
	s_barrier_wait -1
	ds_load_b64 v[86:87], v88 offset:72
	v_mov_b32_e32 v84, 9
	s_cmp_lt_i32 s18, 11
	s_cbranch_scc1 .LBB76_191
; %bb.189:
	v_add3_u32 v85, v89, 0, 0x50
	v_mov_b32_e32 v84, 9
	s_mov_b32 s0, 10
.LBB76_190:                             ; =>This Inner Loop Header: Depth=1
	ds_load_b64 v[94:95], v85
	s_wait_dscnt 0x1
	v_cmp_gt_f32_e32 vcc_lo, 0, v86
	v_cndmask_b32_e64 v96, v86, -v86, vcc_lo
	v_cmp_gt_f32_e32 vcc_lo, 0, v87
	v_cndmask_b32_e64 v98, v87, -v87, vcc_lo
	s_wait_dscnt 0x0
	v_cmp_gt_f32_e32 vcc_lo, 0, v94
	v_cndmask_b32_e64 v97, v94, -v94, vcc_lo
	v_cmp_gt_f32_e32 vcc_lo, 0, v95
	v_cndmask_b32_e64 v99, v95, -v95, vcc_lo
	s_delay_alu instid0(VALU_DEP_1) | instskip(NEXT) | instid1(VALU_DEP_1)
	v_pk_add_f32 v[96:97], v[96:97], v[98:99]
	v_cmp_lt_f32_e32 vcc_lo, v96, v97
	v_dual_add_nc_u32 v85, 8, v85 :: v_dual_cndmask_b32 v87, v87, v95, vcc_lo
	v_cndmask_b32_e32 v86, v86, v94, vcc_lo
	v_cndmask_b32_e64 v84, v84, s0, vcc_lo
	s_add_co_i32 s0, s0, 1
	s_delay_alu instid0(SALU_CYCLE_1)
	s_cmp_lg_u32 s18, s0
	s_cbranch_scc1 .LBB76_190
.LBB76_191:
	s_wait_dscnt 0x0
	v_cmp_eq_f32_e32 vcc_lo, 0, v86
	v_cmp_eq_f32_e64 s0, 0, v87
	s_and_b32 s0, vcc_lo, s0
	s_delay_alu instid0(SALU_CYCLE_1) | instskip(NEXT) | instid1(SALU_CYCLE_1)
	s_and_saveexec_b32 s1, s0
	s_xor_b32 s0, exec_lo, s1
; %bb.192:
	v_cmp_ne_u32_e32 vcc_lo, 0, v90
	v_cndmask_b32_e32 v90, 10, v90, vcc_lo
; %bb.193:
	s_and_not1_saveexec_b32 s0, s0
	s_cbranch_execz .LBB76_199
; %bb.194:
	v_cmp_ngt_f32_e64 s1, |v86|, |v87|
	s_and_saveexec_b32 s12, s1
	s_delay_alu instid0(SALU_CYCLE_1)
	s_xor_b32 s1, exec_lo, s12
	s_cbranch_execz .LBB76_196
; %bb.195:
	v_div_scale_f32 v85, null, v87, v87, v86
	v_div_scale_f32 v95, vcc_lo, v86, v87, v86
	s_delay_alu instid0(VALU_DEP_2) | instskip(SKIP_1) | instid1(TRANS32_DEP_1)
	v_rcp_f32_e32 v93, v85
	v_nop
	v_fma_f32 v94, -v85, v93, 1.0
	s_delay_alu instid0(VALU_DEP_1) | instskip(NEXT) | instid1(VALU_DEP_1)
	v_fmac_f32_e32 v93, v94, v93
	v_mul_f32_e32 v94, v95, v93
	s_delay_alu instid0(VALU_DEP_1) | instskip(NEXT) | instid1(VALU_DEP_1)
	v_fma_f32 v96, -v85, v94, v95
	v_fmac_f32_e32 v94, v96, v93
	s_delay_alu instid0(VALU_DEP_1) | instskip(NEXT) | instid1(VALU_DEP_1)
	v_fma_f32 v85, -v85, v94, v95
	v_div_fmas_f32 v85, v85, v93, v94
	s_delay_alu instid0(VALU_DEP_1) | instskip(NEXT) | instid1(VALU_DEP_1)
	v_div_fixup_f32 v85, v85, v87, v86
	v_fmac_f32_e32 v87, v86, v85
	s_delay_alu instid0(VALU_DEP_1) | instskip(SKIP_1) | instid1(VALU_DEP_2)
	v_div_scale_f32 v86, null, v87, v87, 1.0
	v_div_scale_f32 v95, vcc_lo, 1.0, v87, 1.0
	v_rcp_f32_e32 v93, v86
	v_nop
	s_delay_alu instid0(TRANS32_DEP_1) | instskip(NEXT) | instid1(VALU_DEP_1)
	v_fma_f32 v94, -v86, v93, 1.0
	v_fmac_f32_e32 v93, v94, v93
	s_delay_alu instid0(VALU_DEP_1) | instskip(NEXT) | instid1(VALU_DEP_1)
	v_mul_f32_e32 v94, v95, v93
	v_fma_f32 v96, -v86, v94, v95
	s_delay_alu instid0(VALU_DEP_1) | instskip(NEXT) | instid1(VALU_DEP_1)
	v_fmac_f32_e32 v94, v96, v93
	v_fma_f32 v86, -v86, v94, v95
	s_delay_alu instid0(VALU_DEP_1) | instskip(NEXT) | instid1(VALU_DEP_1)
	v_div_fmas_f32 v86, v86, v93, v94
	v_div_fixup_f32 v87, v86, v87, 1.0
	s_delay_alu instid0(VALU_DEP_1)
	v_mul_f32_e32 v86, v85, v87
	v_xor_b32_e32 v87, 0x80000000, v87
.LBB76_196:
	s_and_not1_saveexec_b32 s1, s1
	s_cbranch_execz .LBB76_198
; %bb.197:
	s_delay_alu instid0(VALU_DEP_1) | instskip(SKIP_1) | instid1(VALU_DEP_2)
	v_div_scale_f32 v85, null, v86, v86, v87
	v_div_scale_f32 v95, vcc_lo, v87, v86, v87
	v_rcp_f32_e32 v93, v85
	v_nop
	s_delay_alu instid0(TRANS32_DEP_1) | instskip(NEXT) | instid1(VALU_DEP_1)
	v_fma_f32 v94, -v85, v93, 1.0
	v_fmac_f32_e32 v93, v94, v93
	s_delay_alu instid0(VALU_DEP_1) | instskip(NEXT) | instid1(VALU_DEP_1)
	v_mul_f32_e32 v94, v95, v93
	v_fma_f32 v96, -v85, v94, v95
	s_delay_alu instid0(VALU_DEP_1) | instskip(NEXT) | instid1(VALU_DEP_1)
	v_fmac_f32_e32 v94, v96, v93
	v_fma_f32 v85, -v85, v94, v95
	s_delay_alu instid0(VALU_DEP_1) | instskip(NEXT) | instid1(VALU_DEP_1)
	v_div_fmas_f32 v85, v85, v93, v94
	v_div_fixup_f32 v85, v85, v86, v87
	s_delay_alu instid0(VALU_DEP_1) | instskip(NEXT) | instid1(VALU_DEP_1)
	v_fmac_f32_e32 v86, v87, v85
	v_div_scale_f32 v87, null, v86, v86, 1.0
	s_delay_alu instid0(VALU_DEP_1) | instskip(SKIP_1) | instid1(TRANS32_DEP_1)
	v_rcp_f32_e32 v93, v87
	v_nop
	v_fma_f32 v94, -v87, v93, 1.0
	s_delay_alu instid0(VALU_DEP_1) | instskip(SKIP_1) | instid1(VALU_DEP_1)
	v_fmac_f32_e32 v93, v94, v93
	v_div_scale_f32 v94, vcc_lo, 1.0, v86, 1.0
	v_mul_f32_e32 v95, v94, v93
	s_delay_alu instid0(VALU_DEP_1) | instskip(NEXT) | instid1(VALU_DEP_1)
	v_fma_f32 v96, -v87, v95, v94
	v_fmac_f32_e32 v95, v96, v93
	s_delay_alu instid0(VALU_DEP_1) | instskip(NEXT) | instid1(VALU_DEP_1)
	v_fma_f32 v87, -v87, v95, v94
	v_div_fmas_f32 v87, v87, v93, v95
	s_delay_alu instid0(VALU_DEP_1) | instskip(NEXT) | instid1(VALU_DEP_1)
	v_div_fixup_f32 v86, v87, v86, 1.0
	v_mul_f32_e64 v87, v85, -v86
.LBB76_198:
	s_or_b32 exec_lo, exec_lo, s1
.LBB76_199:
	s_delay_alu instid0(SALU_CYCLE_1) | instskip(NEXT) | instid1(SALU_CYCLE_1)
	s_or_b32 exec_lo, exec_lo, s0
	s_mov_b32 s0, exec_lo
	v_cmpx_ne_u32_e64 v92, v84
	s_xor_b32 s0, exec_lo, s0
	s_cbranch_execz .LBB76_205
; %bb.200:
	s_mov_b32 s1, exec_lo
	v_cmpx_eq_u32_e32 9, v92
	s_cbranch_execz .LBB76_204
; %bb.201:
	v_cmp_ne_u32_e32 vcc_lo, 9, v84
	s_xor_b32 s12, s16, -1
	s_delay_alu instid0(SALU_CYCLE_1) | instskip(NEXT) | instid1(SALU_CYCLE_1)
	s_and_b32 s13, s12, vcc_lo
	s_and_saveexec_b32 s12, s13
	s_cbranch_execz .LBB76_203
; %bb.202:
	v_ashrrev_i32_e32 v85, 31, v84
	s_delay_alu instid0(VALU_DEP_1)
	v_lshl_add_u64 v[92:93], v[84:85], 2, v[4:5]
	s_clause 0x1
	global_load_b32 v85, v[92:93], off
	global_load_b32 v91, v[4:5], off offset:36
	s_wait_loadcnt 0x1
	global_store_b32 v[4:5], v85, off offset:36
	s_wait_loadcnt 0x0
	global_store_b32 v[92:93], v91, off
.LBB76_203:
	s_wait_xcnt 0x0
	s_or_b32 exec_lo, exec_lo, s12
	v_dual_mov_b32 v92, v84 :: v_dual_mov_b32 v91, v84
.LBB76_204:
	s_or_b32 exec_lo, exec_lo, s1
.LBB76_205:
	s_and_not1_saveexec_b32 s0, s0
	s_cbranch_execz .LBB76_207
; %bb.206:
	v_dual_mov_b32 v84, v18 :: v_dual_mov_b32 v85, v19
	v_dual_mov_b32 v92, v16 :: v_dual_mov_b32 v93, v17
	ds_store_2addr_b64 v88, v[84:85], v[92:93] offset0:10 offset1:11
	v_dual_mov_b32 v84, v72 :: v_dual_mov_b32 v85, v73
	v_dual_mov_b32 v92, v70 :: v_dual_mov_b32 v93, v71
	ds_store_2addr_b64 v88, v[84:85], v[92:93] offset0:12 offset1:13
	;; [unrolled: 3-line block ×14, first 2 shown]
	ds_store_b64 v88, v[82:83] offset:304
	v_mov_b32_e32 v92, 9
.LBB76_207:
	s_or_b32 exec_lo, exec_lo, s0
	s_delay_alu instid0(SALU_CYCLE_1)
	s_mov_b32 s0, exec_lo
	s_wait_storecnt_dscnt 0x0
	s_barrier_signal -1
	s_barrier_wait -1
	v_cmpx_lt_i32_e32 9, v92
	s_cbranch_execz .LBB76_209
; %bb.208:
	v_pk_mul_f32 v[94:95], v[86:87], v[54:55] op_sel:[1,1] op_sel_hi:[0,1]
	s_delay_alu instid0(VALU_DEP_1)
	v_pk_fma_f32 v[84:85], v[86:87], v[54:55], v[94:95] op_sel_hi:[1,0,1] neg_lo:[0,0,1] neg_hi:[0,0,1]
	v_pk_fma_f32 v[86:87], v[86:87], v[54:55], v[94:95] op_sel_hi:[1,0,1]
	ds_load_2addr_b64 v[94:97], v88 offset0:10 offset1:11
	v_dual_mov_b32 v54, v84 :: v_dual_mov_b32 v55, v87
	s_wait_dscnt 0x0
	v_pk_mul_f32 v[98:99], v[94:95], v[86:87] op_sel:[0,1]
	s_delay_alu instid0(VALU_DEP_1) | instskip(SKIP_1) | instid1(VALU_DEP_1)
	v_pk_fma_f32 v[100:101], v[94:95], v[84:85], v[98:99] op_sel:[0,0,1] op_sel_hi:[1,1,0] neg_lo:[0,0,1] neg_hi:[0,0,1]
	v_pk_fma_f32 v[94:95], v[94:95], v[84:85], v[98:99] op_sel:[0,0,1] op_sel_hi:[1,0,0]
	v_mov_b32_e32 v101, v95
	v_pk_mul_f32 v[94:95], v[96:97], v[86:87] op_sel:[0,1]
	s_delay_alu instid0(VALU_DEP_1) | instskip(SKIP_1) | instid1(VALU_DEP_1)
	v_pk_fma_f32 v[98:99], v[96:97], v[84:85], v[94:95] op_sel:[0,0,1] op_sel_hi:[1,1,0] neg_lo:[0,0,1] neg_hi:[0,0,1]
	v_pk_fma_f32 v[94:95], v[96:97], v[84:85], v[94:95] op_sel:[0,0,1] op_sel_hi:[1,0,0]
	v_mov_b32_e32 v99, v95
	ds_load_2addr_b64 v[94:97], v88 offset0:12 offset1:13
	v_pk_add_f32 v[18:19], v[18:19], v[100:101] neg_lo:[0,1] neg_hi:[0,1]
	v_pk_add_f32 v[16:17], v[16:17], v[98:99] neg_lo:[0,1] neg_hi:[0,1]
	s_wait_dscnt 0x0
	v_pk_mul_f32 v[98:99], v[94:95], v[86:87] op_sel:[0,1]
	s_delay_alu instid0(VALU_DEP_1) | instskip(SKIP_2) | instid1(VALU_DEP_2)
	v_pk_fma_f32 v[100:101], v[94:95], v[84:85], v[98:99] op_sel:[0,0,1] op_sel_hi:[1,1,0] neg_lo:[0,0,1] neg_hi:[0,0,1]
	v_pk_fma_f32 v[94:95], v[94:95], v[84:85], v[98:99] op_sel:[0,0,1] op_sel_hi:[1,0,0]
	v_dual_mul_f32 v98, v97, v87 :: v_dual_mov_b32 v94, v97
	v_dual_mov_b32 v101, v95 :: v_dual_mov_b32 v95, v96
	s_delay_alu instid0(VALU_DEP_2) | instskip(SKIP_1) | instid1(VALU_DEP_3)
	v_pk_fma_f32 v[98:99], v[96:97], v[54:55], v[98:99] op_sel_hi:[1,1,0] neg_lo:[0,0,1] neg_hi:[0,0,1]
	v_mul_f32_e32 v96, v97, v84
	v_pk_add_f32 v[72:73], v[72:73], v[100:101] neg_lo:[0,1] neg_hi:[0,1]
	s_delay_alu instid0(VALU_DEP_2) | instskip(NEXT) | instid1(VALU_DEP_1)
	v_pk_fma_f32 v[94:95], v[94:95], v[54:55], v[96:97] op_sel_hi:[1,1,0]
	v_mov_b32_e32 v99, v95
	ds_load_2addr_b64 v[94:97], v88 offset0:14 offset1:15
	v_pk_add_f32 v[70:71], v[70:71], v[98:99] neg_lo:[0,1] neg_hi:[0,1]
	s_wait_dscnt 0x0
	v_pk_mul_f32 v[98:99], v[94:95], v[86:87] op_sel:[0,1]
	s_delay_alu instid0(VALU_DEP_1) | instskip(SKIP_1) | instid1(VALU_DEP_1)
	v_pk_fma_f32 v[100:101], v[94:95], v[84:85], v[98:99] op_sel:[0,0,1] op_sel_hi:[1,1,0] neg_lo:[0,0,1] neg_hi:[0,0,1]
	v_pk_fma_f32 v[94:95], v[94:95], v[84:85], v[98:99] op_sel:[0,0,1] op_sel_hi:[1,0,0]
	v_mov_b32_e32 v101, v95
	v_pk_mul_f32 v[94:95], v[96:97], v[86:87] op_sel:[0,1]
	s_delay_alu instid0(VALU_DEP_1) | instskip(SKIP_1) | instid1(VALU_DEP_1)
	v_pk_fma_f32 v[98:99], v[96:97], v[84:85], v[94:95] op_sel:[0,0,1] op_sel_hi:[1,1,0] neg_lo:[0,0,1] neg_hi:[0,0,1]
	v_pk_fma_f32 v[94:95], v[96:97], v[84:85], v[94:95] op_sel:[0,0,1] op_sel_hi:[1,0,0]
	v_mov_b32_e32 v99, v95
	ds_load_2addr_b64 v[94:97], v88 offset0:16 offset1:17
	v_pk_add_f32 v[38:39], v[38:39], v[100:101] neg_lo:[0,1] neg_hi:[0,1]
	v_pk_add_f32 v[36:37], v[36:37], v[98:99] neg_lo:[0,1] neg_hi:[0,1]
	s_wait_dscnt 0x0
	v_pk_mul_f32 v[98:99], v[94:95], v[86:87] op_sel:[0,1]
	s_delay_alu instid0(VALU_DEP_1) | instskip(SKIP_1) | instid1(VALU_DEP_1)
	v_pk_fma_f32 v[100:101], v[94:95], v[84:85], v[98:99] op_sel:[0,0,1] op_sel_hi:[1,1,0] neg_lo:[0,0,1] neg_hi:[0,0,1]
	v_pk_fma_f32 v[94:95], v[94:95], v[84:85], v[98:99] op_sel:[0,0,1] op_sel_hi:[1,0,0]
	v_mov_b32_e32 v101, v95
	v_pk_mul_f32 v[94:95], v[96:97], v[86:87] op_sel:[0,1]
	s_delay_alu instid0(VALU_DEP_1) | instskip(SKIP_1) | instid1(VALU_DEP_1)
	v_pk_fma_f32 v[98:99], v[96:97], v[84:85], v[94:95] op_sel:[0,0,1] op_sel_hi:[1,1,0] neg_lo:[0,0,1] neg_hi:[0,0,1]
	v_pk_fma_f32 v[94:95], v[96:97], v[84:85], v[94:95] op_sel:[0,0,1] op_sel_hi:[1,0,0]
	v_mov_b32_e32 v99, v95
	ds_load_2addr_b64 v[94:97], v88 offset0:18 offset1:19
	v_pk_add_f32 v[68:69], v[68:69], v[100:101] neg_lo:[0,1] neg_hi:[0,1]
	v_pk_add_f32 v[66:67], v[66:67], v[98:99] neg_lo:[0,1] neg_hi:[0,1]
	s_wait_dscnt 0x0
	v_dual_mul_f32 v98, v95, v87 :: v_dual_mul_f32 v100, v95, v84
	s_delay_alu instid0(VALU_DEP_1) | instskip(NEXT) | instid1(VALU_DEP_2)
	v_pk_fma_f32 v[98:99], v[94:95], v[54:55], v[98:99] op_sel_hi:[1,1,0] neg_lo:[0,0,1] neg_hi:[0,0,1]
	v_pk_fma_f32 v[94:95], v[94:95], v[54:55], v[100:101] op_sel:[1,0,0] op_sel_hi:[0,1,0]
	s_delay_alu instid0(VALU_DEP_1) | instskip(SKIP_1) | instid1(VALU_DEP_2)
	v_mov_b32_e32 v99, v95
	v_pk_mul_f32 v[94:95], v[96:97], v[86:87] op_sel:[0,1]
	v_pk_add_f32 v[32:33], v[32:33], v[98:99] neg_lo:[0,1] neg_hi:[0,1]
	s_delay_alu instid0(VALU_DEP_2) | instskip(SKIP_1) | instid1(VALU_DEP_1)
	v_pk_fma_f32 v[98:99], v[96:97], v[84:85], v[94:95] op_sel:[0,0,1] op_sel_hi:[1,1,0] neg_lo:[0,0,1] neg_hi:[0,0,1]
	v_pk_fma_f32 v[94:95], v[96:97], v[84:85], v[94:95] op_sel:[0,0,1] op_sel_hi:[1,0,0]
	v_mov_b32_e32 v99, v95
	ds_load_2addr_b64 v[94:97], v88 offset0:20 offset1:21
	v_pk_add_f32 v[30:31], v[30:31], v[98:99] neg_lo:[0,1] neg_hi:[0,1]
	s_wait_dscnt 0x0
	v_pk_mul_f32 v[98:99], v[94:95], v[86:87] op_sel:[0,1]
	s_delay_alu instid0(VALU_DEP_1) | instskip(SKIP_1) | instid1(VALU_DEP_1)
	v_pk_fma_f32 v[100:101], v[94:95], v[84:85], v[98:99] op_sel:[0,0,1] op_sel_hi:[1,1,0] neg_lo:[0,0,1] neg_hi:[0,0,1]
	v_pk_fma_f32 v[94:95], v[94:95], v[84:85], v[98:99] op_sel:[0,0,1] op_sel_hi:[1,0,0]
	v_mov_b32_e32 v101, v95
	v_pk_mul_f32 v[94:95], v[96:97], v[86:87] op_sel:[0,1]
	s_delay_alu instid0(VALU_DEP_2) | instskip(NEXT) | instid1(VALU_DEP_2)
	v_pk_add_f32 v[64:65], v[64:65], v[100:101] neg_lo:[0,1] neg_hi:[0,1]
	v_pk_fma_f32 v[98:99], v[96:97], v[84:85], v[94:95] op_sel:[0,0,1] op_sel_hi:[1,1,0] neg_lo:[0,0,1] neg_hi:[0,0,1]
	v_pk_fma_f32 v[94:95], v[96:97], v[84:85], v[94:95] op_sel:[0,0,1] op_sel_hi:[1,0,0]
	s_delay_alu instid0(VALU_DEP_1) | instskip(SKIP_4) | instid1(VALU_DEP_1)
	v_mov_b32_e32 v99, v95
	ds_load_2addr_b64 v[94:97], v88 offset0:22 offset1:23
	v_pk_add_f32 v[62:63], v[62:63], v[98:99] neg_lo:[0,1] neg_hi:[0,1]
	s_wait_dscnt 0x0
	v_pk_mul_f32 v[98:99], v[94:95], v[86:87] op_sel:[0,1]
	v_pk_fma_f32 v[100:101], v[94:95], v[84:85], v[98:99] op_sel:[0,0,1] op_sel_hi:[1,1,0] neg_lo:[0,0,1] neg_hi:[0,0,1]
	v_pk_fma_f32 v[94:95], v[94:95], v[84:85], v[98:99] op_sel:[0,0,1] op_sel_hi:[1,0,0]
	v_dual_mul_f32 v98, v97, v87 :: v_dual_mov_b32 v94, v97
	s_delay_alu instid0(VALU_DEP_2) | instskip(NEXT) | instid1(VALU_DEP_2)
	v_dual_mov_b32 v101, v95 :: v_dual_mov_b32 v95, v96
	v_pk_fma_f32 v[98:99], v[96:97], v[54:55], v[98:99] op_sel_hi:[1,1,0] neg_lo:[0,0,1] neg_hi:[0,0,1]
	v_mul_f32_e32 v96, v97, v84
	s_delay_alu instid0(VALU_DEP_3) | instskip(NEXT) | instid1(VALU_DEP_2)
	v_pk_add_f32 v[28:29], v[28:29], v[100:101] neg_lo:[0,1] neg_hi:[0,1]
	v_pk_fma_f32 v[94:95], v[94:95], v[54:55], v[96:97] op_sel_hi:[1,1,0]
	s_delay_alu instid0(VALU_DEP_1) | instskip(SKIP_4) | instid1(VALU_DEP_1)
	v_mov_b32_e32 v99, v95
	ds_load_2addr_b64 v[94:97], v88 offset0:24 offset1:25
	v_pk_add_f32 v[26:27], v[26:27], v[98:99] neg_lo:[0,1] neg_hi:[0,1]
	s_wait_dscnt 0x0
	v_pk_mul_f32 v[98:99], v[94:95], v[86:87] op_sel:[0,1]
	v_pk_fma_f32 v[100:101], v[94:95], v[84:85], v[98:99] op_sel:[0,0,1] op_sel_hi:[1,1,0] neg_lo:[0,0,1] neg_hi:[0,0,1]
	v_pk_fma_f32 v[94:95], v[94:95], v[84:85], v[98:99] op_sel:[0,0,1] op_sel_hi:[1,0,0]
	s_delay_alu instid0(VALU_DEP_1) | instskip(SKIP_1) | instid1(VALU_DEP_1)
	v_mov_b32_e32 v101, v95
	v_pk_mul_f32 v[94:95], v[96:97], v[86:87] op_sel:[0,1]
	v_pk_fma_f32 v[98:99], v[96:97], v[84:85], v[94:95] op_sel:[0,0,1] op_sel_hi:[1,1,0] neg_lo:[0,0,1] neg_hi:[0,0,1]
	v_pk_fma_f32 v[94:95], v[96:97], v[84:85], v[94:95] op_sel:[0,0,1] op_sel_hi:[1,0,0]
	s_delay_alu instid0(VALU_DEP_1)
	v_mov_b32_e32 v99, v95
	ds_load_2addr_b64 v[94:97], v88 offset0:26 offset1:27
	v_pk_add_f32 v[60:61], v[60:61], v[100:101] neg_lo:[0,1] neg_hi:[0,1]
	v_pk_add_f32 v[58:59], v[58:59], v[98:99] neg_lo:[0,1] neg_hi:[0,1]
	s_wait_dscnt 0x0
	v_pk_mul_f32 v[98:99], v[94:95], v[86:87] op_sel:[0,1]
	s_delay_alu instid0(VALU_DEP_1) | instskip(SKIP_1) | instid1(VALU_DEP_1)
	v_pk_fma_f32 v[100:101], v[94:95], v[84:85], v[98:99] op_sel:[0,0,1] op_sel_hi:[1,1,0] neg_lo:[0,0,1] neg_hi:[0,0,1]
	v_pk_fma_f32 v[94:95], v[94:95], v[84:85], v[98:99] op_sel:[0,0,1] op_sel_hi:[1,0,0]
	v_mov_b32_e32 v101, v95
	v_pk_mul_f32 v[94:95], v[96:97], v[86:87] op_sel:[0,1]
	s_delay_alu instid0(VALU_DEP_1) | instskip(SKIP_1) | instid1(VALU_DEP_1)
	v_pk_fma_f32 v[98:99], v[96:97], v[84:85], v[94:95] op_sel:[0,0,1] op_sel_hi:[1,1,0] neg_lo:[0,0,1] neg_hi:[0,0,1]
	v_pk_fma_f32 v[94:95], v[96:97], v[84:85], v[94:95] op_sel:[0,0,1] op_sel_hi:[1,0,0]
	v_mov_b32_e32 v99, v95
	ds_load_2addr_b64 v[94:97], v88 offset0:28 offset1:29
	v_pk_add_f32 v[24:25], v[24:25], v[100:101] neg_lo:[0,1] neg_hi:[0,1]
	v_pk_add_f32 v[22:23], v[22:23], v[98:99] neg_lo:[0,1] neg_hi:[0,1]
	s_wait_dscnt 0x0
	v_dual_mul_f32 v98, v95, v87 :: v_dual_mul_f32 v100, v95, v84
	s_delay_alu instid0(VALU_DEP_1) | instskip(NEXT) | instid1(VALU_DEP_2)
	v_pk_fma_f32 v[98:99], v[94:95], v[54:55], v[98:99] op_sel_hi:[1,1,0] neg_lo:[0,0,1] neg_hi:[0,0,1]
	v_pk_fma_f32 v[94:95], v[94:95], v[54:55], v[100:101] op_sel:[1,0,0] op_sel_hi:[0,1,0]
	s_delay_alu instid0(VALU_DEP_1) | instskip(SKIP_1) | instid1(VALU_DEP_2)
	v_mov_b32_e32 v99, v95
	v_pk_mul_f32 v[94:95], v[96:97], v[86:87] op_sel:[0,1]
	v_pk_add_f32 v[48:49], v[48:49], v[98:99] neg_lo:[0,1] neg_hi:[0,1]
	s_delay_alu instid0(VALU_DEP_2) | instskip(SKIP_1) | instid1(VALU_DEP_1)
	v_pk_fma_f32 v[98:99], v[96:97], v[84:85], v[94:95] op_sel:[0,0,1] op_sel_hi:[1,1,0] neg_lo:[0,0,1] neg_hi:[0,0,1]
	v_pk_fma_f32 v[94:95], v[96:97], v[84:85], v[94:95] op_sel:[0,0,1] op_sel_hi:[1,0,0]
	v_mov_b32_e32 v99, v95
	ds_load_2addr_b64 v[94:97], v88 offset0:30 offset1:31
	v_pk_add_f32 v[46:47], v[46:47], v[98:99] neg_lo:[0,1] neg_hi:[0,1]
	s_wait_dscnt 0x0
	v_pk_mul_f32 v[98:99], v[94:95], v[86:87] op_sel:[0,1]
	s_delay_alu instid0(VALU_DEP_1) | instskip(SKIP_1) | instid1(VALU_DEP_1)
	v_pk_fma_f32 v[100:101], v[94:95], v[84:85], v[98:99] op_sel:[0,0,1] op_sel_hi:[1,1,0] neg_lo:[0,0,1] neg_hi:[0,0,1]
	v_pk_fma_f32 v[94:95], v[94:95], v[84:85], v[98:99] op_sel:[0,0,1] op_sel_hi:[1,0,0]
	v_mov_b32_e32 v101, v95
	v_pk_mul_f32 v[94:95], v[96:97], v[86:87] op_sel:[0,1]
	s_delay_alu instid0(VALU_DEP_2) | instskip(NEXT) | instid1(VALU_DEP_2)
	v_pk_add_f32 v[10:11], v[10:11], v[100:101] neg_lo:[0,1] neg_hi:[0,1]
	v_pk_fma_f32 v[98:99], v[96:97], v[84:85], v[94:95] op_sel:[0,0,1] op_sel_hi:[1,1,0] neg_lo:[0,0,1] neg_hi:[0,0,1]
	v_pk_fma_f32 v[94:95], v[96:97], v[84:85], v[94:95] op_sel:[0,0,1] op_sel_hi:[1,0,0]
	s_delay_alu instid0(VALU_DEP_1) | instskip(SKIP_4) | instid1(VALU_DEP_1)
	v_mov_b32_e32 v99, v95
	ds_load_2addr_b64 v[94:97], v88 offset0:32 offset1:33
	v_pk_add_f32 v[6:7], v[6:7], v[98:99] neg_lo:[0,1] neg_hi:[0,1]
	s_wait_dscnt 0x0
	v_pk_mul_f32 v[98:99], v[94:95], v[86:87] op_sel:[0,1]
	v_pk_fma_f32 v[100:101], v[94:95], v[84:85], v[98:99] op_sel:[0,0,1] op_sel_hi:[1,1,0] neg_lo:[0,0,1] neg_hi:[0,0,1]
	v_pk_fma_f32 v[94:95], v[94:95], v[84:85], v[98:99] op_sel:[0,0,1] op_sel_hi:[1,0,0]
	v_dual_mul_f32 v98, v97, v87 :: v_dual_mov_b32 v94, v97
	s_delay_alu instid0(VALU_DEP_2) | instskip(NEXT) | instid1(VALU_DEP_2)
	v_dual_mov_b32 v101, v95 :: v_dual_mov_b32 v95, v96
	v_pk_fma_f32 v[98:99], v[96:97], v[54:55], v[98:99] op_sel_hi:[1,1,0] neg_lo:[0,0,1] neg_hi:[0,0,1]
	v_mul_f32_e32 v96, v97, v84
	s_delay_alu instid0(VALU_DEP_3) | instskip(NEXT) | instid1(VALU_DEP_2)
	v_pk_add_f32 v[44:45], v[44:45], v[100:101] neg_lo:[0,1] neg_hi:[0,1]
	v_pk_fma_f32 v[94:95], v[94:95], v[54:55], v[96:97] op_sel_hi:[1,1,0]
	s_delay_alu instid0(VALU_DEP_1) | instskip(SKIP_4) | instid1(VALU_DEP_1)
	v_mov_b32_e32 v99, v95
	ds_load_2addr_b64 v[94:97], v88 offset0:34 offset1:35
	v_pk_add_f32 v[42:43], v[42:43], v[98:99] neg_lo:[0,1] neg_hi:[0,1]
	s_wait_dscnt 0x0
	v_pk_mul_f32 v[98:99], v[94:95], v[86:87] op_sel:[0,1]
	v_pk_fma_f32 v[100:101], v[94:95], v[84:85], v[98:99] op_sel:[0,0,1] op_sel_hi:[1,1,0] neg_lo:[0,0,1] neg_hi:[0,0,1]
	v_pk_fma_f32 v[94:95], v[94:95], v[84:85], v[98:99] op_sel:[0,0,1] op_sel_hi:[1,0,0]
	s_delay_alu instid0(VALU_DEP_1) | instskip(SKIP_1) | instid1(VALU_DEP_1)
	v_mov_b32_e32 v101, v95
	v_pk_mul_f32 v[94:95], v[96:97], v[86:87] op_sel:[0,1]
	v_pk_fma_f32 v[98:99], v[96:97], v[84:85], v[94:95] op_sel:[0,0,1] op_sel_hi:[1,1,0] neg_lo:[0,0,1] neg_hi:[0,0,1]
	v_pk_fma_f32 v[94:95], v[96:97], v[84:85], v[94:95] op_sel:[0,0,1] op_sel_hi:[1,0,0]
	s_delay_alu instid0(VALU_DEP_1)
	v_mov_b32_e32 v99, v95
	ds_load_2addr_b64 v[94:97], v88 offset0:36 offset1:37
	v_pk_add_f32 v[8:9], v[8:9], v[100:101] neg_lo:[0,1] neg_hi:[0,1]
	v_pk_add_f32 v[40:41], v[40:41], v[98:99] neg_lo:[0,1] neg_hi:[0,1]
	s_wait_dscnt 0x0
	v_pk_mul_f32 v[98:99], v[94:95], v[86:87] op_sel:[0,1]
	s_delay_alu instid0(VALU_DEP_1) | instskip(SKIP_1) | instid1(VALU_DEP_1)
	v_pk_fma_f32 v[100:101], v[94:95], v[84:85], v[98:99] op_sel:[0,0,1] op_sel_hi:[1,1,0] neg_lo:[0,0,1] neg_hi:[0,0,1]
	v_pk_fma_f32 v[94:95], v[94:95], v[84:85], v[98:99] op_sel:[0,0,1] op_sel_hi:[1,0,0]
	v_mov_b32_e32 v101, v95
	v_pk_mul_f32 v[94:95], v[96:97], v[86:87] op_sel:[0,1]
	s_delay_alu instid0(VALU_DEP_1) | instskip(SKIP_1) | instid1(VALU_DEP_1)
	v_pk_fma_f32 v[98:99], v[96:97], v[84:85], v[94:95] op_sel:[0,0,1] op_sel_hi:[1,1,0] neg_lo:[0,0,1] neg_hi:[0,0,1]
	v_pk_fma_f32 v[94:95], v[96:97], v[84:85], v[94:95] op_sel:[0,0,1] op_sel_hi:[1,0,0]
	v_mov_b32_e32 v99, v95
	ds_load_b64 v[94:95], v88 offset:304
	v_pk_add_f32 v[34:35], v[34:35], v[100:101] neg_lo:[0,1] neg_hi:[0,1]
	v_pk_add_f32 v[20:21], v[20:21], v[98:99] neg_lo:[0,1] neg_hi:[0,1]
	s_wait_dscnt 0x0
	v_pk_mul_f32 v[86:87], v[94:95], v[86:87] op_sel:[0,1]
	s_delay_alu instid0(VALU_DEP_1) | instskip(SKIP_1) | instid1(VALU_DEP_1)
	v_pk_fma_f32 v[96:97], v[94:95], v[84:85], v[86:87] op_sel:[0,0,1] op_sel_hi:[1,1,0] neg_lo:[0,0,1] neg_hi:[0,0,1]
	v_pk_fma_f32 v[84:85], v[94:95], v[84:85], v[86:87] op_sel:[0,0,1] op_sel_hi:[1,0,0]
	v_mov_b32_e32 v97, v85
	s_delay_alu instid0(VALU_DEP_1)
	v_pk_add_f32 v[82:83], v[82:83], v[96:97] neg_lo:[0,1] neg_hi:[0,1]
.LBB76_209:
	s_or_b32 exec_lo, exec_lo, s0
	v_lshl_add_u32 v84, v92, 3, v88
	s_barrier_signal -1
	s_barrier_wait -1
	ds_store_b64 v84, v[18:19]
	s_wait_dscnt 0x0
	s_barrier_signal -1
	s_barrier_wait -1
	ds_load_b64 v[86:87], v88 offset:80
	v_mov_b32_e32 v84, 10
	s_cmp_lt_i32 s18, 12
	s_cbranch_scc1 .LBB76_212
; %bb.210:
	v_add3_u32 v85, v89, 0, 0x58
	v_mov_b32_e32 v84, 10
	s_mov_b32 s0, 11
.LBB76_211:                             ; =>This Inner Loop Header: Depth=1
	ds_load_b64 v[94:95], v85
	s_wait_dscnt 0x1
	v_cmp_gt_f32_e32 vcc_lo, 0, v86
	v_cndmask_b32_e64 v96, v86, -v86, vcc_lo
	v_cmp_gt_f32_e32 vcc_lo, 0, v87
	v_cndmask_b32_e64 v98, v87, -v87, vcc_lo
	s_wait_dscnt 0x0
	v_cmp_gt_f32_e32 vcc_lo, 0, v94
	v_cndmask_b32_e64 v97, v94, -v94, vcc_lo
	v_cmp_gt_f32_e32 vcc_lo, 0, v95
	v_cndmask_b32_e64 v99, v95, -v95, vcc_lo
	s_delay_alu instid0(VALU_DEP_1) | instskip(NEXT) | instid1(VALU_DEP_1)
	v_pk_add_f32 v[96:97], v[96:97], v[98:99]
	v_cmp_lt_f32_e32 vcc_lo, v96, v97
	v_dual_add_nc_u32 v85, 8, v85 :: v_dual_cndmask_b32 v87, v87, v95, vcc_lo
	v_cndmask_b32_e32 v86, v86, v94, vcc_lo
	v_cndmask_b32_e64 v84, v84, s0, vcc_lo
	s_add_co_i32 s0, s0, 1
	s_delay_alu instid0(SALU_CYCLE_1)
	s_cmp_lg_u32 s18, s0
	s_cbranch_scc1 .LBB76_211
.LBB76_212:
	s_wait_dscnt 0x0
	v_cmp_eq_f32_e32 vcc_lo, 0, v86
	v_cmp_eq_f32_e64 s0, 0, v87
	s_and_b32 s0, vcc_lo, s0
	s_delay_alu instid0(SALU_CYCLE_1) | instskip(NEXT) | instid1(SALU_CYCLE_1)
	s_and_saveexec_b32 s1, s0
	s_xor_b32 s0, exec_lo, s1
; %bb.213:
	v_cmp_ne_u32_e32 vcc_lo, 0, v90
	v_cndmask_b32_e32 v90, 11, v90, vcc_lo
; %bb.214:
	s_and_not1_saveexec_b32 s0, s0
	s_cbranch_execz .LBB76_220
; %bb.215:
	v_cmp_ngt_f32_e64 s1, |v86|, |v87|
	s_and_saveexec_b32 s12, s1
	s_delay_alu instid0(SALU_CYCLE_1)
	s_xor_b32 s1, exec_lo, s12
	s_cbranch_execz .LBB76_217
; %bb.216:
	v_div_scale_f32 v85, null, v87, v87, v86
	v_div_scale_f32 v95, vcc_lo, v86, v87, v86
	s_delay_alu instid0(VALU_DEP_2) | instskip(SKIP_1) | instid1(TRANS32_DEP_1)
	v_rcp_f32_e32 v93, v85
	v_nop
	v_fma_f32 v94, -v85, v93, 1.0
	s_delay_alu instid0(VALU_DEP_1) | instskip(NEXT) | instid1(VALU_DEP_1)
	v_fmac_f32_e32 v93, v94, v93
	v_mul_f32_e32 v94, v95, v93
	s_delay_alu instid0(VALU_DEP_1) | instskip(NEXT) | instid1(VALU_DEP_1)
	v_fma_f32 v96, -v85, v94, v95
	v_fmac_f32_e32 v94, v96, v93
	s_delay_alu instid0(VALU_DEP_1) | instskip(NEXT) | instid1(VALU_DEP_1)
	v_fma_f32 v85, -v85, v94, v95
	v_div_fmas_f32 v85, v85, v93, v94
	s_delay_alu instid0(VALU_DEP_1) | instskip(NEXT) | instid1(VALU_DEP_1)
	v_div_fixup_f32 v85, v85, v87, v86
	v_fmac_f32_e32 v87, v86, v85
	s_delay_alu instid0(VALU_DEP_1) | instskip(SKIP_1) | instid1(VALU_DEP_2)
	v_div_scale_f32 v86, null, v87, v87, 1.0
	v_div_scale_f32 v95, vcc_lo, 1.0, v87, 1.0
	v_rcp_f32_e32 v93, v86
	v_nop
	s_delay_alu instid0(TRANS32_DEP_1) | instskip(NEXT) | instid1(VALU_DEP_1)
	v_fma_f32 v94, -v86, v93, 1.0
	v_fmac_f32_e32 v93, v94, v93
	s_delay_alu instid0(VALU_DEP_1) | instskip(NEXT) | instid1(VALU_DEP_1)
	v_mul_f32_e32 v94, v95, v93
	v_fma_f32 v96, -v86, v94, v95
	s_delay_alu instid0(VALU_DEP_1) | instskip(NEXT) | instid1(VALU_DEP_1)
	v_fmac_f32_e32 v94, v96, v93
	v_fma_f32 v86, -v86, v94, v95
	s_delay_alu instid0(VALU_DEP_1) | instskip(NEXT) | instid1(VALU_DEP_1)
	v_div_fmas_f32 v86, v86, v93, v94
	v_div_fixup_f32 v87, v86, v87, 1.0
	s_delay_alu instid0(VALU_DEP_1)
	v_mul_f32_e32 v86, v85, v87
	v_xor_b32_e32 v87, 0x80000000, v87
.LBB76_217:
	s_and_not1_saveexec_b32 s1, s1
	s_cbranch_execz .LBB76_219
; %bb.218:
	s_delay_alu instid0(VALU_DEP_1) | instskip(SKIP_1) | instid1(VALU_DEP_2)
	v_div_scale_f32 v85, null, v86, v86, v87
	v_div_scale_f32 v95, vcc_lo, v87, v86, v87
	v_rcp_f32_e32 v93, v85
	v_nop
	s_delay_alu instid0(TRANS32_DEP_1) | instskip(NEXT) | instid1(VALU_DEP_1)
	v_fma_f32 v94, -v85, v93, 1.0
	v_fmac_f32_e32 v93, v94, v93
	s_delay_alu instid0(VALU_DEP_1) | instskip(NEXT) | instid1(VALU_DEP_1)
	v_mul_f32_e32 v94, v95, v93
	v_fma_f32 v96, -v85, v94, v95
	s_delay_alu instid0(VALU_DEP_1) | instskip(NEXT) | instid1(VALU_DEP_1)
	v_fmac_f32_e32 v94, v96, v93
	v_fma_f32 v85, -v85, v94, v95
	s_delay_alu instid0(VALU_DEP_1) | instskip(NEXT) | instid1(VALU_DEP_1)
	v_div_fmas_f32 v85, v85, v93, v94
	v_div_fixup_f32 v85, v85, v86, v87
	s_delay_alu instid0(VALU_DEP_1) | instskip(NEXT) | instid1(VALU_DEP_1)
	v_fmac_f32_e32 v86, v87, v85
	v_div_scale_f32 v87, null, v86, v86, 1.0
	s_delay_alu instid0(VALU_DEP_1) | instskip(SKIP_1) | instid1(TRANS32_DEP_1)
	v_rcp_f32_e32 v93, v87
	v_nop
	v_fma_f32 v94, -v87, v93, 1.0
	s_delay_alu instid0(VALU_DEP_1) | instskip(SKIP_1) | instid1(VALU_DEP_1)
	v_fmac_f32_e32 v93, v94, v93
	v_div_scale_f32 v94, vcc_lo, 1.0, v86, 1.0
	v_mul_f32_e32 v95, v94, v93
	s_delay_alu instid0(VALU_DEP_1) | instskip(NEXT) | instid1(VALU_DEP_1)
	v_fma_f32 v96, -v87, v95, v94
	v_fmac_f32_e32 v95, v96, v93
	s_delay_alu instid0(VALU_DEP_1) | instskip(NEXT) | instid1(VALU_DEP_1)
	v_fma_f32 v87, -v87, v95, v94
	v_div_fmas_f32 v87, v87, v93, v95
	s_delay_alu instid0(VALU_DEP_1) | instskip(NEXT) | instid1(VALU_DEP_1)
	v_div_fixup_f32 v86, v87, v86, 1.0
	v_mul_f32_e64 v87, v85, -v86
.LBB76_219:
	s_or_b32 exec_lo, exec_lo, s1
.LBB76_220:
	s_delay_alu instid0(SALU_CYCLE_1) | instskip(NEXT) | instid1(SALU_CYCLE_1)
	s_or_b32 exec_lo, exec_lo, s0
	s_mov_b32 s0, exec_lo
	v_cmpx_ne_u32_e64 v92, v84
	s_xor_b32 s0, exec_lo, s0
	s_cbranch_execz .LBB76_226
; %bb.221:
	s_mov_b32 s1, exec_lo
	v_cmpx_eq_u32_e32 10, v92
	s_cbranch_execz .LBB76_225
; %bb.222:
	v_cmp_ne_u32_e32 vcc_lo, 10, v84
	s_xor_b32 s12, s16, -1
	s_delay_alu instid0(SALU_CYCLE_1) | instskip(NEXT) | instid1(SALU_CYCLE_1)
	s_and_b32 s13, s12, vcc_lo
	s_and_saveexec_b32 s12, s13
	s_cbranch_execz .LBB76_224
; %bb.223:
	v_ashrrev_i32_e32 v85, 31, v84
	s_delay_alu instid0(VALU_DEP_1)
	v_lshl_add_u64 v[92:93], v[84:85], 2, v[4:5]
	s_clause 0x1
	global_load_b32 v85, v[92:93], off
	global_load_b32 v91, v[4:5], off offset:40
	s_wait_loadcnt 0x1
	global_store_b32 v[4:5], v85, off offset:40
	s_wait_loadcnt 0x0
	global_store_b32 v[92:93], v91, off
.LBB76_224:
	s_wait_xcnt 0x0
	s_or_b32 exec_lo, exec_lo, s12
	v_dual_mov_b32 v92, v84 :: v_dual_mov_b32 v91, v84
.LBB76_225:
	s_or_b32 exec_lo, exec_lo, s1
.LBB76_226:
	s_and_not1_saveexec_b32 s0, s0
	s_cbranch_execz .LBB76_228
; %bb.227:
	v_mov_b32_e32 v92, 10
	ds_store_2addr_b64 v88, v[16:17], v[72:73] offset0:11 offset1:12
	ds_store_2addr_b64 v88, v[70:71], v[38:39] offset0:13 offset1:14
	ds_store_2addr_b64 v88, v[36:37], v[68:69] offset0:15 offset1:16
	ds_store_2addr_b64 v88, v[66:67], v[32:33] offset0:17 offset1:18
	ds_store_2addr_b64 v88, v[30:31], v[64:65] offset0:19 offset1:20
	ds_store_2addr_b64 v88, v[62:63], v[28:29] offset0:21 offset1:22
	ds_store_2addr_b64 v88, v[26:27], v[60:61] offset0:23 offset1:24
	ds_store_2addr_b64 v88, v[58:59], v[24:25] offset0:25 offset1:26
	ds_store_2addr_b64 v88, v[22:23], v[48:49] offset0:27 offset1:28
	ds_store_2addr_b64 v88, v[46:47], v[10:11] offset0:29 offset1:30
	ds_store_2addr_b64 v88, v[6:7], v[44:45] offset0:31 offset1:32
	ds_store_2addr_b64 v88, v[42:43], v[8:9] offset0:33 offset1:34
	ds_store_2addr_b64 v88, v[40:41], v[34:35] offset0:35 offset1:36
	ds_store_2addr_b64 v88, v[20:21], v[82:83] offset0:37 offset1:38
.LBB76_228:
	s_or_b32 exec_lo, exec_lo, s0
	s_delay_alu instid0(SALU_CYCLE_1)
	s_mov_b32 s0, exec_lo
	s_wait_storecnt_dscnt 0x0
	s_barrier_signal -1
	s_barrier_wait -1
	v_cmpx_lt_i32_e32 10, v92
	s_cbranch_execz .LBB76_230
; %bb.229:
	v_pk_mul_f32 v[94:95], v[86:87], v[18:19] op_sel:[1,1] op_sel_hi:[0,1]
	s_delay_alu instid0(VALU_DEP_1)
	v_pk_fma_f32 v[84:85], v[86:87], v[18:19], v[94:95] op_sel_hi:[1,0,1] neg_lo:[0,0,1] neg_hi:[0,0,1]
	v_pk_fma_f32 v[86:87], v[86:87], v[18:19], v[94:95] op_sel_hi:[1,0,1]
	ds_load_2addr_b64 v[94:97], v88 offset0:11 offset1:12
	v_dual_mov_b32 v18, v84 :: v_dual_mov_b32 v19, v87
	s_wait_dscnt 0x0
	v_pk_mul_f32 v[98:99], v[94:95], v[86:87] op_sel:[0,1]
	s_delay_alu instid0(VALU_DEP_1) | instskip(SKIP_1) | instid1(VALU_DEP_1)
	v_pk_fma_f32 v[100:101], v[94:95], v[84:85], v[98:99] op_sel:[0,0,1] op_sel_hi:[1,1,0] neg_lo:[0,0,1] neg_hi:[0,0,1]
	v_pk_fma_f32 v[94:95], v[94:95], v[84:85], v[98:99] op_sel:[0,0,1] op_sel_hi:[1,0,0]
	v_mov_b32_e32 v101, v95
	v_pk_mul_f32 v[94:95], v[96:97], v[86:87] op_sel:[0,1]
	s_delay_alu instid0(VALU_DEP_1) | instskip(SKIP_1) | instid1(VALU_DEP_1)
	v_pk_fma_f32 v[98:99], v[96:97], v[84:85], v[94:95] op_sel:[0,0,1] op_sel_hi:[1,1,0] neg_lo:[0,0,1] neg_hi:[0,0,1]
	v_pk_fma_f32 v[94:95], v[96:97], v[84:85], v[94:95] op_sel:[0,0,1] op_sel_hi:[1,0,0]
	v_mov_b32_e32 v99, v95
	ds_load_2addr_b64 v[94:97], v88 offset0:13 offset1:14
	v_pk_add_f32 v[16:17], v[16:17], v[100:101] neg_lo:[0,1] neg_hi:[0,1]
	v_pk_add_f32 v[72:73], v[72:73], v[98:99] neg_lo:[0,1] neg_hi:[0,1]
	s_wait_dscnt 0x0
	v_pk_mul_f32 v[98:99], v[94:95], v[86:87] op_sel:[0,1]
	s_delay_alu instid0(VALU_DEP_1) | instskip(SKIP_2) | instid1(VALU_DEP_2)
	v_pk_fma_f32 v[100:101], v[94:95], v[84:85], v[98:99] op_sel:[0,0,1] op_sel_hi:[1,1,0] neg_lo:[0,0,1] neg_hi:[0,0,1]
	v_pk_fma_f32 v[94:95], v[94:95], v[84:85], v[98:99] op_sel:[0,0,1] op_sel_hi:[1,0,0]
	v_dual_mul_f32 v98, v97, v87 :: v_dual_mov_b32 v94, v97
	v_dual_mov_b32 v101, v95 :: v_dual_mov_b32 v95, v96
	s_delay_alu instid0(VALU_DEP_2) | instskip(SKIP_1) | instid1(VALU_DEP_3)
	v_pk_fma_f32 v[98:99], v[96:97], v[18:19], v[98:99] op_sel_hi:[1,1,0] neg_lo:[0,0,1] neg_hi:[0,0,1]
	v_mul_f32_e32 v96, v97, v84
	v_pk_add_f32 v[70:71], v[70:71], v[100:101] neg_lo:[0,1] neg_hi:[0,1]
	s_delay_alu instid0(VALU_DEP_2) | instskip(NEXT) | instid1(VALU_DEP_1)
	v_pk_fma_f32 v[94:95], v[94:95], v[18:19], v[96:97] op_sel_hi:[1,1,0]
	v_mov_b32_e32 v99, v95
	ds_load_2addr_b64 v[94:97], v88 offset0:15 offset1:16
	v_pk_add_f32 v[38:39], v[38:39], v[98:99] neg_lo:[0,1] neg_hi:[0,1]
	s_wait_dscnt 0x0
	v_pk_mul_f32 v[98:99], v[94:95], v[86:87] op_sel:[0,1]
	s_delay_alu instid0(VALU_DEP_1) | instskip(SKIP_1) | instid1(VALU_DEP_1)
	v_pk_fma_f32 v[100:101], v[94:95], v[84:85], v[98:99] op_sel:[0,0,1] op_sel_hi:[1,1,0] neg_lo:[0,0,1] neg_hi:[0,0,1]
	v_pk_fma_f32 v[94:95], v[94:95], v[84:85], v[98:99] op_sel:[0,0,1] op_sel_hi:[1,0,0]
	v_mov_b32_e32 v101, v95
	v_pk_mul_f32 v[94:95], v[96:97], v[86:87] op_sel:[0,1]
	s_delay_alu instid0(VALU_DEP_1) | instskip(SKIP_1) | instid1(VALU_DEP_1)
	v_pk_fma_f32 v[98:99], v[96:97], v[84:85], v[94:95] op_sel:[0,0,1] op_sel_hi:[1,1,0] neg_lo:[0,0,1] neg_hi:[0,0,1]
	v_pk_fma_f32 v[94:95], v[96:97], v[84:85], v[94:95] op_sel:[0,0,1] op_sel_hi:[1,0,0]
	v_mov_b32_e32 v99, v95
	ds_load_2addr_b64 v[94:97], v88 offset0:17 offset1:18
	v_pk_add_f32 v[36:37], v[36:37], v[100:101] neg_lo:[0,1] neg_hi:[0,1]
	v_pk_add_f32 v[68:69], v[68:69], v[98:99] neg_lo:[0,1] neg_hi:[0,1]
	s_wait_dscnt 0x0
	v_pk_mul_f32 v[98:99], v[94:95], v[86:87] op_sel:[0,1]
	s_delay_alu instid0(VALU_DEP_1) | instskip(SKIP_1) | instid1(VALU_DEP_1)
	v_pk_fma_f32 v[100:101], v[94:95], v[84:85], v[98:99] op_sel:[0,0,1] op_sel_hi:[1,1,0] neg_lo:[0,0,1] neg_hi:[0,0,1]
	v_pk_fma_f32 v[94:95], v[94:95], v[84:85], v[98:99] op_sel:[0,0,1] op_sel_hi:[1,0,0]
	v_mov_b32_e32 v101, v95
	v_pk_mul_f32 v[94:95], v[96:97], v[86:87] op_sel:[0,1]
	s_delay_alu instid0(VALU_DEP_1) | instskip(SKIP_1) | instid1(VALU_DEP_1)
	v_pk_fma_f32 v[98:99], v[96:97], v[84:85], v[94:95] op_sel:[0,0,1] op_sel_hi:[1,1,0] neg_lo:[0,0,1] neg_hi:[0,0,1]
	v_pk_fma_f32 v[94:95], v[96:97], v[84:85], v[94:95] op_sel:[0,0,1] op_sel_hi:[1,0,0]
	v_mov_b32_e32 v99, v95
	ds_load_2addr_b64 v[94:97], v88 offset0:19 offset1:20
	v_pk_add_f32 v[66:67], v[66:67], v[100:101] neg_lo:[0,1] neg_hi:[0,1]
	v_pk_add_f32 v[32:33], v[32:33], v[98:99] neg_lo:[0,1] neg_hi:[0,1]
	s_wait_dscnt 0x0
	v_dual_mul_f32 v98, v95, v87 :: v_dual_mul_f32 v100, v95, v84
	s_delay_alu instid0(VALU_DEP_1) | instskip(NEXT) | instid1(VALU_DEP_2)
	v_pk_fma_f32 v[98:99], v[94:95], v[18:19], v[98:99] op_sel_hi:[1,1,0] neg_lo:[0,0,1] neg_hi:[0,0,1]
	v_pk_fma_f32 v[94:95], v[94:95], v[18:19], v[100:101] op_sel:[1,0,0] op_sel_hi:[0,1,0]
	s_delay_alu instid0(VALU_DEP_1) | instskip(SKIP_1) | instid1(VALU_DEP_2)
	v_mov_b32_e32 v99, v95
	v_pk_mul_f32 v[94:95], v[96:97], v[86:87] op_sel:[0,1]
	v_pk_add_f32 v[30:31], v[30:31], v[98:99] neg_lo:[0,1] neg_hi:[0,1]
	s_delay_alu instid0(VALU_DEP_2) | instskip(SKIP_1) | instid1(VALU_DEP_1)
	v_pk_fma_f32 v[98:99], v[96:97], v[84:85], v[94:95] op_sel:[0,0,1] op_sel_hi:[1,1,0] neg_lo:[0,0,1] neg_hi:[0,0,1]
	v_pk_fma_f32 v[94:95], v[96:97], v[84:85], v[94:95] op_sel:[0,0,1] op_sel_hi:[1,0,0]
	v_mov_b32_e32 v99, v95
	ds_load_2addr_b64 v[94:97], v88 offset0:21 offset1:22
	v_pk_add_f32 v[64:65], v[64:65], v[98:99] neg_lo:[0,1] neg_hi:[0,1]
	s_wait_dscnt 0x0
	v_pk_mul_f32 v[98:99], v[94:95], v[86:87] op_sel:[0,1]
	s_delay_alu instid0(VALU_DEP_1) | instskip(SKIP_1) | instid1(VALU_DEP_1)
	v_pk_fma_f32 v[100:101], v[94:95], v[84:85], v[98:99] op_sel:[0,0,1] op_sel_hi:[1,1,0] neg_lo:[0,0,1] neg_hi:[0,0,1]
	v_pk_fma_f32 v[94:95], v[94:95], v[84:85], v[98:99] op_sel:[0,0,1] op_sel_hi:[1,0,0]
	v_mov_b32_e32 v101, v95
	v_pk_mul_f32 v[94:95], v[96:97], v[86:87] op_sel:[0,1]
	s_delay_alu instid0(VALU_DEP_2) | instskip(NEXT) | instid1(VALU_DEP_2)
	v_pk_add_f32 v[62:63], v[62:63], v[100:101] neg_lo:[0,1] neg_hi:[0,1]
	v_pk_fma_f32 v[98:99], v[96:97], v[84:85], v[94:95] op_sel:[0,0,1] op_sel_hi:[1,1,0] neg_lo:[0,0,1] neg_hi:[0,0,1]
	v_pk_fma_f32 v[94:95], v[96:97], v[84:85], v[94:95] op_sel:[0,0,1] op_sel_hi:[1,0,0]
	s_delay_alu instid0(VALU_DEP_1) | instskip(SKIP_4) | instid1(VALU_DEP_1)
	v_mov_b32_e32 v99, v95
	ds_load_2addr_b64 v[94:97], v88 offset0:23 offset1:24
	v_pk_add_f32 v[28:29], v[28:29], v[98:99] neg_lo:[0,1] neg_hi:[0,1]
	s_wait_dscnt 0x0
	v_pk_mul_f32 v[98:99], v[94:95], v[86:87] op_sel:[0,1]
	v_pk_fma_f32 v[100:101], v[94:95], v[84:85], v[98:99] op_sel:[0,0,1] op_sel_hi:[1,1,0] neg_lo:[0,0,1] neg_hi:[0,0,1]
	v_pk_fma_f32 v[94:95], v[94:95], v[84:85], v[98:99] op_sel:[0,0,1] op_sel_hi:[1,0,0]
	v_dual_mul_f32 v98, v97, v87 :: v_dual_mov_b32 v94, v97
	s_delay_alu instid0(VALU_DEP_2) | instskip(NEXT) | instid1(VALU_DEP_2)
	v_dual_mov_b32 v101, v95 :: v_dual_mov_b32 v95, v96
	v_pk_fma_f32 v[98:99], v[96:97], v[18:19], v[98:99] op_sel_hi:[1,1,0] neg_lo:[0,0,1] neg_hi:[0,0,1]
	v_mul_f32_e32 v96, v97, v84
	s_delay_alu instid0(VALU_DEP_3) | instskip(NEXT) | instid1(VALU_DEP_2)
	v_pk_add_f32 v[26:27], v[26:27], v[100:101] neg_lo:[0,1] neg_hi:[0,1]
	v_pk_fma_f32 v[94:95], v[94:95], v[18:19], v[96:97] op_sel_hi:[1,1,0]
	s_delay_alu instid0(VALU_DEP_1) | instskip(SKIP_4) | instid1(VALU_DEP_1)
	v_mov_b32_e32 v99, v95
	ds_load_2addr_b64 v[94:97], v88 offset0:25 offset1:26
	v_pk_add_f32 v[60:61], v[60:61], v[98:99] neg_lo:[0,1] neg_hi:[0,1]
	s_wait_dscnt 0x0
	v_pk_mul_f32 v[98:99], v[94:95], v[86:87] op_sel:[0,1]
	v_pk_fma_f32 v[100:101], v[94:95], v[84:85], v[98:99] op_sel:[0,0,1] op_sel_hi:[1,1,0] neg_lo:[0,0,1] neg_hi:[0,0,1]
	v_pk_fma_f32 v[94:95], v[94:95], v[84:85], v[98:99] op_sel:[0,0,1] op_sel_hi:[1,0,0]
	s_delay_alu instid0(VALU_DEP_1) | instskip(SKIP_1) | instid1(VALU_DEP_1)
	v_mov_b32_e32 v101, v95
	v_pk_mul_f32 v[94:95], v[96:97], v[86:87] op_sel:[0,1]
	v_pk_fma_f32 v[98:99], v[96:97], v[84:85], v[94:95] op_sel:[0,0,1] op_sel_hi:[1,1,0] neg_lo:[0,0,1] neg_hi:[0,0,1]
	v_pk_fma_f32 v[94:95], v[96:97], v[84:85], v[94:95] op_sel:[0,0,1] op_sel_hi:[1,0,0]
	s_delay_alu instid0(VALU_DEP_1)
	v_mov_b32_e32 v99, v95
	ds_load_2addr_b64 v[94:97], v88 offset0:27 offset1:28
	v_pk_add_f32 v[58:59], v[58:59], v[100:101] neg_lo:[0,1] neg_hi:[0,1]
	v_pk_add_f32 v[24:25], v[24:25], v[98:99] neg_lo:[0,1] neg_hi:[0,1]
	s_wait_dscnt 0x0
	v_pk_mul_f32 v[98:99], v[94:95], v[86:87] op_sel:[0,1]
	s_delay_alu instid0(VALU_DEP_1) | instskip(SKIP_1) | instid1(VALU_DEP_1)
	v_pk_fma_f32 v[100:101], v[94:95], v[84:85], v[98:99] op_sel:[0,0,1] op_sel_hi:[1,1,0] neg_lo:[0,0,1] neg_hi:[0,0,1]
	v_pk_fma_f32 v[94:95], v[94:95], v[84:85], v[98:99] op_sel:[0,0,1] op_sel_hi:[1,0,0]
	v_mov_b32_e32 v101, v95
	v_pk_mul_f32 v[94:95], v[96:97], v[86:87] op_sel:[0,1]
	s_delay_alu instid0(VALU_DEP_1) | instskip(SKIP_1) | instid1(VALU_DEP_1)
	v_pk_fma_f32 v[98:99], v[96:97], v[84:85], v[94:95] op_sel:[0,0,1] op_sel_hi:[1,1,0] neg_lo:[0,0,1] neg_hi:[0,0,1]
	v_pk_fma_f32 v[94:95], v[96:97], v[84:85], v[94:95] op_sel:[0,0,1] op_sel_hi:[1,0,0]
	v_mov_b32_e32 v99, v95
	ds_load_2addr_b64 v[94:97], v88 offset0:29 offset1:30
	v_pk_add_f32 v[22:23], v[22:23], v[100:101] neg_lo:[0,1] neg_hi:[0,1]
	v_pk_add_f32 v[48:49], v[48:49], v[98:99] neg_lo:[0,1] neg_hi:[0,1]
	s_wait_dscnt 0x0
	v_dual_mul_f32 v98, v95, v87 :: v_dual_mul_f32 v100, v95, v84
	s_delay_alu instid0(VALU_DEP_1) | instskip(NEXT) | instid1(VALU_DEP_2)
	v_pk_fma_f32 v[98:99], v[94:95], v[18:19], v[98:99] op_sel_hi:[1,1,0] neg_lo:[0,0,1] neg_hi:[0,0,1]
	v_pk_fma_f32 v[94:95], v[94:95], v[18:19], v[100:101] op_sel:[1,0,0] op_sel_hi:[0,1,0]
	s_delay_alu instid0(VALU_DEP_1) | instskip(SKIP_1) | instid1(VALU_DEP_2)
	v_mov_b32_e32 v99, v95
	v_pk_mul_f32 v[94:95], v[96:97], v[86:87] op_sel:[0,1]
	v_pk_add_f32 v[46:47], v[46:47], v[98:99] neg_lo:[0,1] neg_hi:[0,1]
	s_delay_alu instid0(VALU_DEP_2) | instskip(SKIP_1) | instid1(VALU_DEP_1)
	v_pk_fma_f32 v[98:99], v[96:97], v[84:85], v[94:95] op_sel:[0,0,1] op_sel_hi:[1,1,0] neg_lo:[0,0,1] neg_hi:[0,0,1]
	v_pk_fma_f32 v[94:95], v[96:97], v[84:85], v[94:95] op_sel:[0,0,1] op_sel_hi:[1,0,0]
	v_mov_b32_e32 v99, v95
	ds_load_2addr_b64 v[94:97], v88 offset0:31 offset1:32
	v_pk_add_f32 v[10:11], v[10:11], v[98:99] neg_lo:[0,1] neg_hi:[0,1]
	s_wait_dscnt 0x0
	v_pk_mul_f32 v[98:99], v[94:95], v[86:87] op_sel:[0,1]
	s_delay_alu instid0(VALU_DEP_1) | instskip(SKIP_1) | instid1(VALU_DEP_1)
	v_pk_fma_f32 v[100:101], v[94:95], v[84:85], v[98:99] op_sel:[0,0,1] op_sel_hi:[1,1,0] neg_lo:[0,0,1] neg_hi:[0,0,1]
	v_pk_fma_f32 v[94:95], v[94:95], v[84:85], v[98:99] op_sel:[0,0,1] op_sel_hi:[1,0,0]
	v_mov_b32_e32 v101, v95
	v_pk_mul_f32 v[94:95], v[96:97], v[86:87] op_sel:[0,1]
	s_delay_alu instid0(VALU_DEP_2) | instskip(NEXT) | instid1(VALU_DEP_2)
	v_pk_add_f32 v[6:7], v[6:7], v[100:101] neg_lo:[0,1] neg_hi:[0,1]
	v_pk_fma_f32 v[98:99], v[96:97], v[84:85], v[94:95] op_sel:[0,0,1] op_sel_hi:[1,1,0] neg_lo:[0,0,1] neg_hi:[0,0,1]
	v_pk_fma_f32 v[94:95], v[96:97], v[84:85], v[94:95] op_sel:[0,0,1] op_sel_hi:[1,0,0]
	s_delay_alu instid0(VALU_DEP_1) | instskip(SKIP_4) | instid1(VALU_DEP_1)
	v_mov_b32_e32 v99, v95
	ds_load_2addr_b64 v[94:97], v88 offset0:33 offset1:34
	v_pk_add_f32 v[44:45], v[44:45], v[98:99] neg_lo:[0,1] neg_hi:[0,1]
	s_wait_dscnt 0x0
	v_pk_mul_f32 v[98:99], v[94:95], v[86:87] op_sel:[0,1]
	v_pk_fma_f32 v[100:101], v[94:95], v[84:85], v[98:99] op_sel:[0,0,1] op_sel_hi:[1,1,0] neg_lo:[0,0,1] neg_hi:[0,0,1]
	v_pk_fma_f32 v[94:95], v[94:95], v[84:85], v[98:99] op_sel:[0,0,1] op_sel_hi:[1,0,0]
	v_dual_mul_f32 v98, v97, v87 :: v_dual_mov_b32 v94, v97
	s_delay_alu instid0(VALU_DEP_2) | instskip(NEXT) | instid1(VALU_DEP_2)
	v_dual_mov_b32 v101, v95 :: v_dual_mov_b32 v95, v96
	v_pk_fma_f32 v[98:99], v[96:97], v[18:19], v[98:99] op_sel_hi:[1,1,0] neg_lo:[0,0,1] neg_hi:[0,0,1]
	v_mul_f32_e32 v96, v97, v84
	s_delay_alu instid0(VALU_DEP_3) | instskip(NEXT) | instid1(VALU_DEP_2)
	v_pk_add_f32 v[42:43], v[42:43], v[100:101] neg_lo:[0,1] neg_hi:[0,1]
	v_pk_fma_f32 v[94:95], v[94:95], v[18:19], v[96:97] op_sel_hi:[1,1,0]
	s_delay_alu instid0(VALU_DEP_1) | instskip(SKIP_4) | instid1(VALU_DEP_1)
	v_mov_b32_e32 v99, v95
	ds_load_2addr_b64 v[94:97], v88 offset0:35 offset1:36
	v_pk_add_f32 v[8:9], v[8:9], v[98:99] neg_lo:[0,1] neg_hi:[0,1]
	s_wait_dscnt 0x0
	v_pk_mul_f32 v[98:99], v[94:95], v[86:87] op_sel:[0,1]
	v_pk_fma_f32 v[100:101], v[94:95], v[84:85], v[98:99] op_sel:[0,0,1] op_sel_hi:[1,1,0] neg_lo:[0,0,1] neg_hi:[0,0,1]
	v_pk_fma_f32 v[94:95], v[94:95], v[84:85], v[98:99] op_sel:[0,0,1] op_sel_hi:[1,0,0]
	s_delay_alu instid0(VALU_DEP_1) | instskip(SKIP_1) | instid1(VALU_DEP_1)
	v_mov_b32_e32 v101, v95
	v_pk_mul_f32 v[94:95], v[96:97], v[86:87] op_sel:[0,1]
	v_pk_fma_f32 v[98:99], v[96:97], v[84:85], v[94:95] op_sel:[0,0,1] op_sel_hi:[1,1,0] neg_lo:[0,0,1] neg_hi:[0,0,1]
	v_pk_fma_f32 v[94:95], v[96:97], v[84:85], v[94:95] op_sel:[0,0,1] op_sel_hi:[1,0,0]
	s_delay_alu instid0(VALU_DEP_1)
	v_mov_b32_e32 v99, v95
	ds_load_2addr_b64 v[94:97], v88 offset0:37 offset1:38
	v_pk_add_f32 v[40:41], v[40:41], v[100:101] neg_lo:[0,1] neg_hi:[0,1]
	v_pk_add_f32 v[34:35], v[34:35], v[98:99] neg_lo:[0,1] neg_hi:[0,1]
	s_wait_dscnt 0x0
	v_pk_mul_f32 v[98:99], v[94:95], v[86:87] op_sel:[0,1]
	v_pk_mul_f32 v[86:87], v[96:97], v[86:87] op_sel:[0,1]
	s_delay_alu instid0(VALU_DEP_2) | instskip(SKIP_1) | instid1(VALU_DEP_1)
	v_pk_fma_f32 v[100:101], v[94:95], v[84:85], v[98:99] op_sel:[0,0,1] op_sel_hi:[1,1,0] neg_lo:[0,0,1] neg_hi:[0,0,1]
	v_pk_fma_f32 v[94:95], v[94:95], v[84:85], v[98:99] op_sel:[0,0,1] op_sel_hi:[1,0,0]
	v_mov_b32_e32 v101, v95
	s_delay_alu instid0(VALU_DEP_4) | instskip(SKIP_1) | instid1(VALU_DEP_1)
	v_pk_fma_f32 v[94:95], v[96:97], v[84:85], v[86:87] op_sel:[0,0,1] op_sel_hi:[1,1,0] neg_lo:[0,0,1] neg_hi:[0,0,1]
	v_pk_fma_f32 v[84:85], v[96:97], v[84:85], v[86:87] op_sel:[0,0,1] op_sel_hi:[1,0,0]
	v_mov_b32_e32 v95, v85
	s_delay_alu instid0(VALU_DEP_4) | instskip(NEXT) | instid1(VALU_DEP_2)
	v_pk_add_f32 v[20:21], v[20:21], v[100:101] neg_lo:[0,1] neg_hi:[0,1]
	v_pk_add_f32 v[82:83], v[82:83], v[94:95] neg_lo:[0,1] neg_hi:[0,1]
.LBB76_230:
	s_or_b32 exec_lo, exec_lo, s0
	v_lshl_add_u32 v84, v92, 3, v88
	s_barrier_signal -1
	s_barrier_wait -1
	ds_store_b64 v84, v[16:17]
	s_wait_dscnt 0x0
	s_barrier_signal -1
	s_barrier_wait -1
	ds_load_b64 v[86:87], v88 offset:88
	v_mov_b32_e32 v84, 11
	s_cmp_lt_i32 s18, 13
	s_cbranch_scc1 .LBB76_233
; %bb.231:
	v_add3_u32 v85, v89, 0, 0x60
	v_mov_b32_e32 v84, 11
	s_mov_b32 s0, 12
.LBB76_232:                             ; =>This Inner Loop Header: Depth=1
	ds_load_b64 v[94:95], v85
	s_wait_dscnt 0x1
	v_cmp_gt_f32_e32 vcc_lo, 0, v86
	v_cndmask_b32_e64 v96, v86, -v86, vcc_lo
	v_cmp_gt_f32_e32 vcc_lo, 0, v87
	v_cndmask_b32_e64 v98, v87, -v87, vcc_lo
	s_wait_dscnt 0x0
	v_cmp_gt_f32_e32 vcc_lo, 0, v94
	v_cndmask_b32_e64 v97, v94, -v94, vcc_lo
	v_cmp_gt_f32_e32 vcc_lo, 0, v95
	v_cndmask_b32_e64 v99, v95, -v95, vcc_lo
	s_delay_alu instid0(VALU_DEP_1) | instskip(NEXT) | instid1(VALU_DEP_1)
	v_pk_add_f32 v[96:97], v[96:97], v[98:99]
	v_cmp_lt_f32_e32 vcc_lo, v96, v97
	v_dual_add_nc_u32 v85, 8, v85 :: v_dual_cndmask_b32 v87, v87, v95, vcc_lo
	v_cndmask_b32_e32 v86, v86, v94, vcc_lo
	v_cndmask_b32_e64 v84, v84, s0, vcc_lo
	s_add_co_i32 s0, s0, 1
	s_delay_alu instid0(SALU_CYCLE_1)
	s_cmp_lg_u32 s18, s0
	s_cbranch_scc1 .LBB76_232
.LBB76_233:
	s_wait_dscnt 0x0
	v_cmp_eq_f32_e32 vcc_lo, 0, v86
	v_cmp_eq_f32_e64 s0, 0, v87
	s_and_b32 s0, vcc_lo, s0
	s_delay_alu instid0(SALU_CYCLE_1) | instskip(NEXT) | instid1(SALU_CYCLE_1)
	s_and_saveexec_b32 s1, s0
	s_xor_b32 s0, exec_lo, s1
; %bb.234:
	v_cmp_ne_u32_e32 vcc_lo, 0, v90
	v_cndmask_b32_e32 v90, 12, v90, vcc_lo
; %bb.235:
	s_and_not1_saveexec_b32 s0, s0
	s_cbranch_execz .LBB76_241
; %bb.236:
	v_cmp_ngt_f32_e64 s1, |v86|, |v87|
	s_and_saveexec_b32 s12, s1
	s_delay_alu instid0(SALU_CYCLE_1)
	s_xor_b32 s1, exec_lo, s12
	s_cbranch_execz .LBB76_238
; %bb.237:
	v_div_scale_f32 v85, null, v87, v87, v86
	v_div_scale_f32 v95, vcc_lo, v86, v87, v86
	s_delay_alu instid0(VALU_DEP_2) | instskip(SKIP_1) | instid1(TRANS32_DEP_1)
	v_rcp_f32_e32 v93, v85
	v_nop
	v_fma_f32 v94, -v85, v93, 1.0
	s_delay_alu instid0(VALU_DEP_1) | instskip(NEXT) | instid1(VALU_DEP_1)
	v_fmac_f32_e32 v93, v94, v93
	v_mul_f32_e32 v94, v95, v93
	s_delay_alu instid0(VALU_DEP_1) | instskip(NEXT) | instid1(VALU_DEP_1)
	v_fma_f32 v96, -v85, v94, v95
	v_fmac_f32_e32 v94, v96, v93
	s_delay_alu instid0(VALU_DEP_1) | instskip(NEXT) | instid1(VALU_DEP_1)
	v_fma_f32 v85, -v85, v94, v95
	v_div_fmas_f32 v85, v85, v93, v94
	s_delay_alu instid0(VALU_DEP_1) | instskip(NEXT) | instid1(VALU_DEP_1)
	v_div_fixup_f32 v85, v85, v87, v86
	v_fmac_f32_e32 v87, v86, v85
	s_delay_alu instid0(VALU_DEP_1) | instskip(SKIP_1) | instid1(VALU_DEP_2)
	v_div_scale_f32 v86, null, v87, v87, 1.0
	v_div_scale_f32 v95, vcc_lo, 1.0, v87, 1.0
	v_rcp_f32_e32 v93, v86
	v_nop
	s_delay_alu instid0(TRANS32_DEP_1) | instskip(NEXT) | instid1(VALU_DEP_1)
	v_fma_f32 v94, -v86, v93, 1.0
	v_fmac_f32_e32 v93, v94, v93
	s_delay_alu instid0(VALU_DEP_1) | instskip(NEXT) | instid1(VALU_DEP_1)
	v_mul_f32_e32 v94, v95, v93
	v_fma_f32 v96, -v86, v94, v95
	s_delay_alu instid0(VALU_DEP_1) | instskip(NEXT) | instid1(VALU_DEP_1)
	v_fmac_f32_e32 v94, v96, v93
	v_fma_f32 v86, -v86, v94, v95
	s_delay_alu instid0(VALU_DEP_1) | instskip(NEXT) | instid1(VALU_DEP_1)
	v_div_fmas_f32 v86, v86, v93, v94
	v_div_fixup_f32 v87, v86, v87, 1.0
	s_delay_alu instid0(VALU_DEP_1)
	v_mul_f32_e32 v86, v85, v87
	v_xor_b32_e32 v87, 0x80000000, v87
.LBB76_238:
	s_and_not1_saveexec_b32 s1, s1
	s_cbranch_execz .LBB76_240
; %bb.239:
	s_delay_alu instid0(VALU_DEP_1) | instskip(SKIP_1) | instid1(VALU_DEP_2)
	v_div_scale_f32 v85, null, v86, v86, v87
	v_div_scale_f32 v95, vcc_lo, v87, v86, v87
	v_rcp_f32_e32 v93, v85
	v_nop
	s_delay_alu instid0(TRANS32_DEP_1) | instskip(NEXT) | instid1(VALU_DEP_1)
	v_fma_f32 v94, -v85, v93, 1.0
	v_fmac_f32_e32 v93, v94, v93
	s_delay_alu instid0(VALU_DEP_1) | instskip(NEXT) | instid1(VALU_DEP_1)
	v_mul_f32_e32 v94, v95, v93
	v_fma_f32 v96, -v85, v94, v95
	s_delay_alu instid0(VALU_DEP_1) | instskip(NEXT) | instid1(VALU_DEP_1)
	v_fmac_f32_e32 v94, v96, v93
	v_fma_f32 v85, -v85, v94, v95
	s_delay_alu instid0(VALU_DEP_1) | instskip(NEXT) | instid1(VALU_DEP_1)
	v_div_fmas_f32 v85, v85, v93, v94
	v_div_fixup_f32 v85, v85, v86, v87
	s_delay_alu instid0(VALU_DEP_1) | instskip(NEXT) | instid1(VALU_DEP_1)
	v_fmac_f32_e32 v86, v87, v85
	v_div_scale_f32 v87, null, v86, v86, 1.0
	s_delay_alu instid0(VALU_DEP_1) | instskip(SKIP_1) | instid1(TRANS32_DEP_1)
	v_rcp_f32_e32 v93, v87
	v_nop
	v_fma_f32 v94, -v87, v93, 1.0
	s_delay_alu instid0(VALU_DEP_1) | instskip(SKIP_1) | instid1(VALU_DEP_1)
	v_fmac_f32_e32 v93, v94, v93
	v_div_scale_f32 v94, vcc_lo, 1.0, v86, 1.0
	v_mul_f32_e32 v95, v94, v93
	s_delay_alu instid0(VALU_DEP_1) | instskip(NEXT) | instid1(VALU_DEP_1)
	v_fma_f32 v96, -v87, v95, v94
	v_fmac_f32_e32 v95, v96, v93
	s_delay_alu instid0(VALU_DEP_1) | instskip(NEXT) | instid1(VALU_DEP_1)
	v_fma_f32 v87, -v87, v95, v94
	v_div_fmas_f32 v87, v87, v93, v95
	s_delay_alu instid0(VALU_DEP_1) | instskip(NEXT) | instid1(VALU_DEP_1)
	v_div_fixup_f32 v86, v87, v86, 1.0
	v_mul_f32_e64 v87, v85, -v86
.LBB76_240:
	s_or_b32 exec_lo, exec_lo, s1
.LBB76_241:
	s_delay_alu instid0(SALU_CYCLE_1) | instskip(NEXT) | instid1(SALU_CYCLE_1)
	s_or_b32 exec_lo, exec_lo, s0
	s_mov_b32 s0, exec_lo
	v_cmpx_ne_u32_e64 v92, v84
	s_xor_b32 s0, exec_lo, s0
	s_cbranch_execz .LBB76_247
; %bb.242:
	s_mov_b32 s1, exec_lo
	v_cmpx_eq_u32_e32 11, v92
	s_cbranch_execz .LBB76_246
; %bb.243:
	v_cmp_ne_u32_e32 vcc_lo, 11, v84
	s_xor_b32 s12, s16, -1
	s_delay_alu instid0(SALU_CYCLE_1) | instskip(NEXT) | instid1(SALU_CYCLE_1)
	s_and_b32 s13, s12, vcc_lo
	s_and_saveexec_b32 s12, s13
	s_cbranch_execz .LBB76_245
; %bb.244:
	v_ashrrev_i32_e32 v85, 31, v84
	s_delay_alu instid0(VALU_DEP_1)
	v_lshl_add_u64 v[92:93], v[84:85], 2, v[4:5]
	s_clause 0x1
	global_load_b32 v85, v[92:93], off
	global_load_b32 v91, v[4:5], off offset:44
	s_wait_loadcnt 0x1
	global_store_b32 v[4:5], v85, off offset:44
	s_wait_loadcnt 0x0
	global_store_b32 v[92:93], v91, off
.LBB76_245:
	s_wait_xcnt 0x0
	s_or_b32 exec_lo, exec_lo, s12
	v_dual_mov_b32 v92, v84 :: v_dual_mov_b32 v91, v84
.LBB76_246:
	s_or_b32 exec_lo, exec_lo, s1
.LBB76_247:
	s_and_not1_saveexec_b32 s0, s0
	s_cbranch_execz .LBB76_249
; %bb.248:
	v_dual_mov_b32 v84, v72 :: v_dual_mov_b32 v85, v73
	v_dual_mov_b32 v92, v70 :: v_dual_mov_b32 v93, v71
	ds_store_2addr_b64 v88, v[84:85], v[92:93] offset0:12 offset1:13
	v_dual_mov_b32 v84, v38 :: v_dual_mov_b32 v85, v39
	v_dual_mov_b32 v92, v36 :: v_dual_mov_b32 v93, v37
	ds_store_2addr_b64 v88, v[84:85], v[92:93] offset0:14 offset1:15
	;; [unrolled: 3-line block ×13, first 2 shown]
	ds_store_b64 v88, v[82:83] offset:304
	v_mov_b32_e32 v92, 11
.LBB76_249:
	s_or_b32 exec_lo, exec_lo, s0
	s_delay_alu instid0(SALU_CYCLE_1)
	s_mov_b32 s0, exec_lo
	s_wait_storecnt_dscnt 0x0
	s_barrier_signal -1
	s_barrier_wait -1
	v_cmpx_lt_i32_e32 11, v92
	s_cbranch_execz .LBB76_251
; %bb.250:
	v_pk_mul_f32 v[94:95], v[86:87], v[16:17] op_sel:[1,1] op_sel_hi:[0,1]
	s_delay_alu instid0(VALU_DEP_1)
	v_pk_fma_f32 v[84:85], v[86:87], v[16:17], v[94:95] op_sel_hi:[1,0,1] neg_lo:[0,0,1] neg_hi:[0,0,1]
	v_pk_fma_f32 v[86:87], v[86:87], v[16:17], v[94:95] op_sel_hi:[1,0,1]
	ds_load_2addr_b64 v[94:97], v88 offset0:12 offset1:13
	v_dual_mov_b32 v16, v84 :: v_dual_mov_b32 v17, v87
	s_wait_dscnt 0x0
	v_pk_mul_f32 v[98:99], v[94:95], v[86:87] op_sel:[0,1]
	s_delay_alu instid0(VALU_DEP_1) | instskip(SKIP_1) | instid1(VALU_DEP_1)
	v_pk_fma_f32 v[100:101], v[94:95], v[84:85], v[98:99] op_sel:[0,0,1] op_sel_hi:[1,1,0] neg_lo:[0,0,1] neg_hi:[0,0,1]
	v_pk_fma_f32 v[94:95], v[94:95], v[84:85], v[98:99] op_sel:[0,0,1] op_sel_hi:[1,0,0]
	v_mov_b32_e32 v101, v95
	v_pk_mul_f32 v[94:95], v[96:97], v[86:87] op_sel:[0,1]
	s_delay_alu instid0(VALU_DEP_1) | instskip(SKIP_1) | instid1(VALU_DEP_1)
	v_pk_fma_f32 v[98:99], v[96:97], v[84:85], v[94:95] op_sel:[0,0,1] op_sel_hi:[1,1,0] neg_lo:[0,0,1] neg_hi:[0,0,1]
	v_pk_fma_f32 v[94:95], v[96:97], v[84:85], v[94:95] op_sel:[0,0,1] op_sel_hi:[1,0,0]
	v_mov_b32_e32 v99, v95
	ds_load_2addr_b64 v[94:97], v88 offset0:14 offset1:15
	v_pk_add_f32 v[72:73], v[72:73], v[100:101] neg_lo:[0,1] neg_hi:[0,1]
	v_pk_add_f32 v[70:71], v[70:71], v[98:99] neg_lo:[0,1] neg_hi:[0,1]
	s_wait_dscnt 0x0
	v_pk_mul_f32 v[98:99], v[94:95], v[86:87] op_sel:[0,1]
	s_delay_alu instid0(VALU_DEP_1) | instskip(SKIP_2) | instid1(VALU_DEP_2)
	v_pk_fma_f32 v[100:101], v[94:95], v[84:85], v[98:99] op_sel:[0,0,1] op_sel_hi:[1,1,0] neg_lo:[0,0,1] neg_hi:[0,0,1]
	v_pk_fma_f32 v[94:95], v[94:95], v[84:85], v[98:99] op_sel:[0,0,1] op_sel_hi:[1,0,0]
	v_dual_mul_f32 v98, v97, v87 :: v_dual_mov_b32 v94, v97
	v_dual_mov_b32 v101, v95 :: v_dual_mov_b32 v95, v96
	s_delay_alu instid0(VALU_DEP_2) | instskip(SKIP_1) | instid1(VALU_DEP_3)
	v_pk_fma_f32 v[98:99], v[96:97], v[16:17], v[98:99] op_sel_hi:[1,1,0] neg_lo:[0,0,1] neg_hi:[0,0,1]
	v_mul_f32_e32 v96, v97, v84
	v_pk_add_f32 v[38:39], v[38:39], v[100:101] neg_lo:[0,1] neg_hi:[0,1]
	s_delay_alu instid0(VALU_DEP_2) | instskip(NEXT) | instid1(VALU_DEP_1)
	v_pk_fma_f32 v[94:95], v[94:95], v[16:17], v[96:97] op_sel_hi:[1,1,0]
	v_mov_b32_e32 v99, v95
	ds_load_2addr_b64 v[94:97], v88 offset0:16 offset1:17
	v_pk_add_f32 v[36:37], v[36:37], v[98:99] neg_lo:[0,1] neg_hi:[0,1]
	s_wait_dscnt 0x0
	v_pk_mul_f32 v[98:99], v[94:95], v[86:87] op_sel:[0,1]
	s_delay_alu instid0(VALU_DEP_1) | instskip(SKIP_1) | instid1(VALU_DEP_1)
	v_pk_fma_f32 v[100:101], v[94:95], v[84:85], v[98:99] op_sel:[0,0,1] op_sel_hi:[1,1,0] neg_lo:[0,0,1] neg_hi:[0,0,1]
	v_pk_fma_f32 v[94:95], v[94:95], v[84:85], v[98:99] op_sel:[0,0,1] op_sel_hi:[1,0,0]
	v_mov_b32_e32 v101, v95
	v_pk_mul_f32 v[94:95], v[96:97], v[86:87] op_sel:[0,1]
	s_delay_alu instid0(VALU_DEP_1) | instskip(SKIP_1) | instid1(VALU_DEP_1)
	v_pk_fma_f32 v[98:99], v[96:97], v[84:85], v[94:95] op_sel:[0,0,1] op_sel_hi:[1,1,0] neg_lo:[0,0,1] neg_hi:[0,0,1]
	v_pk_fma_f32 v[94:95], v[96:97], v[84:85], v[94:95] op_sel:[0,0,1] op_sel_hi:[1,0,0]
	v_mov_b32_e32 v99, v95
	ds_load_2addr_b64 v[94:97], v88 offset0:18 offset1:19
	v_pk_add_f32 v[68:69], v[68:69], v[100:101] neg_lo:[0,1] neg_hi:[0,1]
	v_pk_add_f32 v[66:67], v[66:67], v[98:99] neg_lo:[0,1] neg_hi:[0,1]
	s_wait_dscnt 0x0
	v_pk_mul_f32 v[98:99], v[94:95], v[86:87] op_sel:[0,1]
	s_delay_alu instid0(VALU_DEP_1) | instskip(SKIP_1) | instid1(VALU_DEP_1)
	v_pk_fma_f32 v[100:101], v[94:95], v[84:85], v[98:99] op_sel:[0,0,1] op_sel_hi:[1,1,0] neg_lo:[0,0,1] neg_hi:[0,0,1]
	v_pk_fma_f32 v[94:95], v[94:95], v[84:85], v[98:99] op_sel:[0,0,1] op_sel_hi:[1,0,0]
	v_mov_b32_e32 v101, v95
	v_pk_mul_f32 v[94:95], v[96:97], v[86:87] op_sel:[0,1]
	s_delay_alu instid0(VALU_DEP_1) | instskip(SKIP_1) | instid1(VALU_DEP_1)
	v_pk_fma_f32 v[98:99], v[96:97], v[84:85], v[94:95] op_sel:[0,0,1] op_sel_hi:[1,1,0] neg_lo:[0,0,1] neg_hi:[0,0,1]
	v_pk_fma_f32 v[94:95], v[96:97], v[84:85], v[94:95] op_sel:[0,0,1] op_sel_hi:[1,0,0]
	v_mov_b32_e32 v99, v95
	ds_load_2addr_b64 v[94:97], v88 offset0:20 offset1:21
	v_pk_add_f32 v[32:33], v[32:33], v[100:101] neg_lo:[0,1] neg_hi:[0,1]
	v_pk_add_f32 v[30:31], v[30:31], v[98:99] neg_lo:[0,1] neg_hi:[0,1]
	s_wait_dscnt 0x0
	v_dual_mul_f32 v98, v95, v87 :: v_dual_mul_f32 v100, v95, v84
	s_delay_alu instid0(VALU_DEP_1) | instskip(NEXT) | instid1(VALU_DEP_2)
	v_pk_fma_f32 v[98:99], v[94:95], v[16:17], v[98:99] op_sel_hi:[1,1,0] neg_lo:[0,0,1] neg_hi:[0,0,1]
	v_pk_fma_f32 v[94:95], v[94:95], v[16:17], v[100:101] op_sel:[1,0,0] op_sel_hi:[0,1,0]
	s_delay_alu instid0(VALU_DEP_1) | instskip(SKIP_1) | instid1(VALU_DEP_2)
	v_mov_b32_e32 v99, v95
	v_pk_mul_f32 v[94:95], v[96:97], v[86:87] op_sel:[0,1]
	v_pk_add_f32 v[64:65], v[64:65], v[98:99] neg_lo:[0,1] neg_hi:[0,1]
	s_delay_alu instid0(VALU_DEP_2) | instskip(SKIP_1) | instid1(VALU_DEP_1)
	v_pk_fma_f32 v[98:99], v[96:97], v[84:85], v[94:95] op_sel:[0,0,1] op_sel_hi:[1,1,0] neg_lo:[0,0,1] neg_hi:[0,0,1]
	v_pk_fma_f32 v[94:95], v[96:97], v[84:85], v[94:95] op_sel:[0,0,1] op_sel_hi:[1,0,0]
	v_mov_b32_e32 v99, v95
	ds_load_2addr_b64 v[94:97], v88 offset0:22 offset1:23
	v_pk_add_f32 v[62:63], v[62:63], v[98:99] neg_lo:[0,1] neg_hi:[0,1]
	s_wait_dscnt 0x0
	v_pk_mul_f32 v[98:99], v[94:95], v[86:87] op_sel:[0,1]
	s_delay_alu instid0(VALU_DEP_1) | instskip(SKIP_1) | instid1(VALU_DEP_1)
	v_pk_fma_f32 v[100:101], v[94:95], v[84:85], v[98:99] op_sel:[0,0,1] op_sel_hi:[1,1,0] neg_lo:[0,0,1] neg_hi:[0,0,1]
	v_pk_fma_f32 v[94:95], v[94:95], v[84:85], v[98:99] op_sel:[0,0,1] op_sel_hi:[1,0,0]
	v_mov_b32_e32 v101, v95
	v_pk_mul_f32 v[94:95], v[96:97], v[86:87] op_sel:[0,1]
	s_delay_alu instid0(VALU_DEP_2) | instskip(NEXT) | instid1(VALU_DEP_2)
	v_pk_add_f32 v[28:29], v[28:29], v[100:101] neg_lo:[0,1] neg_hi:[0,1]
	v_pk_fma_f32 v[98:99], v[96:97], v[84:85], v[94:95] op_sel:[0,0,1] op_sel_hi:[1,1,0] neg_lo:[0,0,1] neg_hi:[0,0,1]
	v_pk_fma_f32 v[94:95], v[96:97], v[84:85], v[94:95] op_sel:[0,0,1] op_sel_hi:[1,0,0]
	s_delay_alu instid0(VALU_DEP_1) | instskip(SKIP_4) | instid1(VALU_DEP_1)
	v_mov_b32_e32 v99, v95
	ds_load_2addr_b64 v[94:97], v88 offset0:24 offset1:25
	v_pk_add_f32 v[26:27], v[26:27], v[98:99] neg_lo:[0,1] neg_hi:[0,1]
	s_wait_dscnt 0x0
	v_pk_mul_f32 v[98:99], v[94:95], v[86:87] op_sel:[0,1]
	v_pk_fma_f32 v[100:101], v[94:95], v[84:85], v[98:99] op_sel:[0,0,1] op_sel_hi:[1,1,0] neg_lo:[0,0,1] neg_hi:[0,0,1]
	v_pk_fma_f32 v[94:95], v[94:95], v[84:85], v[98:99] op_sel:[0,0,1] op_sel_hi:[1,0,0]
	v_dual_mul_f32 v98, v97, v87 :: v_dual_mov_b32 v94, v97
	s_delay_alu instid0(VALU_DEP_2) | instskip(NEXT) | instid1(VALU_DEP_2)
	v_dual_mov_b32 v101, v95 :: v_dual_mov_b32 v95, v96
	v_pk_fma_f32 v[98:99], v[96:97], v[16:17], v[98:99] op_sel_hi:[1,1,0] neg_lo:[0,0,1] neg_hi:[0,0,1]
	v_mul_f32_e32 v96, v97, v84
	s_delay_alu instid0(VALU_DEP_3) | instskip(NEXT) | instid1(VALU_DEP_2)
	v_pk_add_f32 v[60:61], v[60:61], v[100:101] neg_lo:[0,1] neg_hi:[0,1]
	v_pk_fma_f32 v[94:95], v[94:95], v[16:17], v[96:97] op_sel_hi:[1,1,0]
	s_delay_alu instid0(VALU_DEP_1) | instskip(SKIP_4) | instid1(VALU_DEP_1)
	v_mov_b32_e32 v99, v95
	ds_load_2addr_b64 v[94:97], v88 offset0:26 offset1:27
	v_pk_add_f32 v[58:59], v[58:59], v[98:99] neg_lo:[0,1] neg_hi:[0,1]
	s_wait_dscnt 0x0
	v_pk_mul_f32 v[98:99], v[94:95], v[86:87] op_sel:[0,1]
	v_pk_fma_f32 v[100:101], v[94:95], v[84:85], v[98:99] op_sel:[0,0,1] op_sel_hi:[1,1,0] neg_lo:[0,0,1] neg_hi:[0,0,1]
	v_pk_fma_f32 v[94:95], v[94:95], v[84:85], v[98:99] op_sel:[0,0,1] op_sel_hi:[1,0,0]
	s_delay_alu instid0(VALU_DEP_1) | instskip(SKIP_1) | instid1(VALU_DEP_1)
	v_mov_b32_e32 v101, v95
	v_pk_mul_f32 v[94:95], v[96:97], v[86:87] op_sel:[0,1]
	v_pk_fma_f32 v[98:99], v[96:97], v[84:85], v[94:95] op_sel:[0,0,1] op_sel_hi:[1,1,0] neg_lo:[0,0,1] neg_hi:[0,0,1]
	v_pk_fma_f32 v[94:95], v[96:97], v[84:85], v[94:95] op_sel:[0,0,1] op_sel_hi:[1,0,0]
	s_delay_alu instid0(VALU_DEP_1)
	v_mov_b32_e32 v99, v95
	ds_load_2addr_b64 v[94:97], v88 offset0:28 offset1:29
	v_pk_add_f32 v[24:25], v[24:25], v[100:101] neg_lo:[0,1] neg_hi:[0,1]
	v_pk_add_f32 v[22:23], v[22:23], v[98:99] neg_lo:[0,1] neg_hi:[0,1]
	s_wait_dscnt 0x0
	v_pk_mul_f32 v[98:99], v[94:95], v[86:87] op_sel:[0,1]
	s_delay_alu instid0(VALU_DEP_1) | instskip(SKIP_1) | instid1(VALU_DEP_1)
	v_pk_fma_f32 v[100:101], v[94:95], v[84:85], v[98:99] op_sel:[0,0,1] op_sel_hi:[1,1,0] neg_lo:[0,0,1] neg_hi:[0,0,1]
	v_pk_fma_f32 v[94:95], v[94:95], v[84:85], v[98:99] op_sel:[0,0,1] op_sel_hi:[1,0,0]
	v_mov_b32_e32 v101, v95
	v_pk_mul_f32 v[94:95], v[96:97], v[86:87] op_sel:[0,1]
	s_delay_alu instid0(VALU_DEP_1) | instskip(SKIP_1) | instid1(VALU_DEP_1)
	v_pk_fma_f32 v[98:99], v[96:97], v[84:85], v[94:95] op_sel:[0,0,1] op_sel_hi:[1,1,0] neg_lo:[0,0,1] neg_hi:[0,0,1]
	v_pk_fma_f32 v[94:95], v[96:97], v[84:85], v[94:95] op_sel:[0,0,1] op_sel_hi:[1,0,0]
	v_mov_b32_e32 v99, v95
	ds_load_2addr_b64 v[94:97], v88 offset0:30 offset1:31
	v_pk_add_f32 v[48:49], v[48:49], v[100:101] neg_lo:[0,1] neg_hi:[0,1]
	v_pk_add_f32 v[46:47], v[46:47], v[98:99] neg_lo:[0,1] neg_hi:[0,1]
	s_wait_dscnt 0x0
	v_dual_mul_f32 v98, v95, v87 :: v_dual_mul_f32 v100, v95, v84
	s_delay_alu instid0(VALU_DEP_1) | instskip(NEXT) | instid1(VALU_DEP_2)
	v_pk_fma_f32 v[98:99], v[94:95], v[16:17], v[98:99] op_sel_hi:[1,1,0] neg_lo:[0,0,1] neg_hi:[0,0,1]
	v_pk_fma_f32 v[94:95], v[94:95], v[16:17], v[100:101] op_sel:[1,0,0] op_sel_hi:[0,1,0]
	s_delay_alu instid0(VALU_DEP_1) | instskip(SKIP_1) | instid1(VALU_DEP_2)
	v_mov_b32_e32 v99, v95
	v_pk_mul_f32 v[94:95], v[96:97], v[86:87] op_sel:[0,1]
	v_pk_add_f32 v[10:11], v[10:11], v[98:99] neg_lo:[0,1] neg_hi:[0,1]
	s_delay_alu instid0(VALU_DEP_2) | instskip(SKIP_1) | instid1(VALU_DEP_1)
	v_pk_fma_f32 v[98:99], v[96:97], v[84:85], v[94:95] op_sel:[0,0,1] op_sel_hi:[1,1,0] neg_lo:[0,0,1] neg_hi:[0,0,1]
	v_pk_fma_f32 v[94:95], v[96:97], v[84:85], v[94:95] op_sel:[0,0,1] op_sel_hi:[1,0,0]
	v_mov_b32_e32 v99, v95
	ds_load_2addr_b64 v[94:97], v88 offset0:32 offset1:33
	v_pk_add_f32 v[6:7], v[6:7], v[98:99] neg_lo:[0,1] neg_hi:[0,1]
	s_wait_dscnt 0x0
	v_pk_mul_f32 v[98:99], v[94:95], v[86:87] op_sel:[0,1]
	s_delay_alu instid0(VALU_DEP_1) | instskip(SKIP_1) | instid1(VALU_DEP_1)
	v_pk_fma_f32 v[100:101], v[94:95], v[84:85], v[98:99] op_sel:[0,0,1] op_sel_hi:[1,1,0] neg_lo:[0,0,1] neg_hi:[0,0,1]
	v_pk_fma_f32 v[94:95], v[94:95], v[84:85], v[98:99] op_sel:[0,0,1] op_sel_hi:[1,0,0]
	v_mov_b32_e32 v101, v95
	v_pk_mul_f32 v[94:95], v[96:97], v[86:87] op_sel:[0,1]
	s_delay_alu instid0(VALU_DEP_2) | instskip(NEXT) | instid1(VALU_DEP_2)
	v_pk_add_f32 v[44:45], v[44:45], v[100:101] neg_lo:[0,1] neg_hi:[0,1]
	v_pk_fma_f32 v[98:99], v[96:97], v[84:85], v[94:95] op_sel:[0,0,1] op_sel_hi:[1,1,0] neg_lo:[0,0,1] neg_hi:[0,0,1]
	v_pk_fma_f32 v[94:95], v[96:97], v[84:85], v[94:95] op_sel:[0,0,1] op_sel_hi:[1,0,0]
	s_delay_alu instid0(VALU_DEP_1) | instskip(SKIP_4) | instid1(VALU_DEP_1)
	v_mov_b32_e32 v99, v95
	ds_load_2addr_b64 v[94:97], v88 offset0:34 offset1:35
	v_pk_add_f32 v[42:43], v[42:43], v[98:99] neg_lo:[0,1] neg_hi:[0,1]
	s_wait_dscnt 0x0
	v_pk_mul_f32 v[98:99], v[94:95], v[86:87] op_sel:[0,1]
	v_pk_fma_f32 v[100:101], v[94:95], v[84:85], v[98:99] op_sel:[0,0,1] op_sel_hi:[1,1,0] neg_lo:[0,0,1] neg_hi:[0,0,1]
	v_pk_fma_f32 v[94:95], v[94:95], v[84:85], v[98:99] op_sel:[0,0,1] op_sel_hi:[1,0,0]
	v_dual_mul_f32 v98, v97, v87 :: v_dual_mov_b32 v94, v97
	s_delay_alu instid0(VALU_DEP_2) | instskip(NEXT) | instid1(VALU_DEP_2)
	v_dual_mov_b32 v101, v95 :: v_dual_mov_b32 v95, v96
	v_pk_fma_f32 v[98:99], v[96:97], v[16:17], v[98:99] op_sel_hi:[1,1,0] neg_lo:[0,0,1] neg_hi:[0,0,1]
	v_mul_f32_e32 v96, v97, v84
	s_delay_alu instid0(VALU_DEP_3) | instskip(NEXT) | instid1(VALU_DEP_2)
	v_pk_add_f32 v[8:9], v[8:9], v[100:101] neg_lo:[0,1] neg_hi:[0,1]
	v_pk_fma_f32 v[94:95], v[94:95], v[16:17], v[96:97] op_sel_hi:[1,1,0]
	s_delay_alu instid0(VALU_DEP_1) | instskip(SKIP_4) | instid1(VALU_DEP_1)
	v_mov_b32_e32 v99, v95
	ds_load_2addr_b64 v[94:97], v88 offset0:36 offset1:37
	v_pk_add_f32 v[40:41], v[40:41], v[98:99] neg_lo:[0,1] neg_hi:[0,1]
	s_wait_dscnt 0x0
	v_pk_mul_f32 v[98:99], v[94:95], v[86:87] op_sel:[0,1]
	v_pk_fma_f32 v[100:101], v[94:95], v[84:85], v[98:99] op_sel:[0,0,1] op_sel_hi:[1,1,0] neg_lo:[0,0,1] neg_hi:[0,0,1]
	v_pk_fma_f32 v[94:95], v[94:95], v[84:85], v[98:99] op_sel:[0,0,1] op_sel_hi:[1,0,0]
	s_delay_alu instid0(VALU_DEP_1) | instskip(SKIP_1) | instid1(VALU_DEP_1)
	v_mov_b32_e32 v101, v95
	v_pk_mul_f32 v[94:95], v[96:97], v[86:87] op_sel:[0,1]
	v_pk_fma_f32 v[98:99], v[96:97], v[84:85], v[94:95] op_sel:[0,0,1] op_sel_hi:[1,1,0] neg_lo:[0,0,1] neg_hi:[0,0,1]
	v_pk_fma_f32 v[94:95], v[96:97], v[84:85], v[94:95] op_sel:[0,0,1] op_sel_hi:[1,0,0]
	s_delay_alu instid0(VALU_DEP_1)
	v_mov_b32_e32 v99, v95
	ds_load_b64 v[94:95], v88 offset:304
	v_pk_add_f32 v[34:35], v[34:35], v[100:101] neg_lo:[0,1] neg_hi:[0,1]
	v_pk_add_f32 v[20:21], v[20:21], v[98:99] neg_lo:[0,1] neg_hi:[0,1]
	s_wait_dscnt 0x0
	v_pk_mul_f32 v[86:87], v[94:95], v[86:87] op_sel:[0,1]
	s_delay_alu instid0(VALU_DEP_1) | instskip(SKIP_1) | instid1(VALU_DEP_1)
	v_pk_fma_f32 v[96:97], v[94:95], v[84:85], v[86:87] op_sel:[0,0,1] op_sel_hi:[1,1,0] neg_lo:[0,0,1] neg_hi:[0,0,1]
	v_pk_fma_f32 v[84:85], v[94:95], v[84:85], v[86:87] op_sel:[0,0,1] op_sel_hi:[1,0,0]
	v_mov_b32_e32 v97, v85
	s_delay_alu instid0(VALU_DEP_1)
	v_pk_add_f32 v[82:83], v[82:83], v[96:97] neg_lo:[0,1] neg_hi:[0,1]
.LBB76_251:
	s_or_b32 exec_lo, exec_lo, s0
	v_lshl_add_u32 v84, v92, 3, v88
	s_barrier_signal -1
	s_barrier_wait -1
	ds_store_b64 v84, v[72:73]
	s_wait_dscnt 0x0
	s_barrier_signal -1
	s_barrier_wait -1
	ds_load_b64 v[86:87], v88 offset:96
	v_mov_b32_e32 v84, 12
	s_cmp_lt_i32 s18, 14
	s_cbranch_scc1 .LBB76_254
; %bb.252:
	v_add3_u32 v85, v89, 0, 0x68
	v_mov_b32_e32 v84, 12
	s_mov_b32 s0, 13
.LBB76_253:                             ; =>This Inner Loop Header: Depth=1
	ds_load_b64 v[94:95], v85
	s_wait_dscnt 0x1
	v_cmp_gt_f32_e32 vcc_lo, 0, v86
	v_cndmask_b32_e64 v96, v86, -v86, vcc_lo
	v_cmp_gt_f32_e32 vcc_lo, 0, v87
	v_cndmask_b32_e64 v98, v87, -v87, vcc_lo
	s_wait_dscnt 0x0
	v_cmp_gt_f32_e32 vcc_lo, 0, v94
	v_cndmask_b32_e64 v97, v94, -v94, vcc_lo
	v_cmp_gt_f32_e32 vcc_lo, 0, v95
	v_cndmask_b32_e64 v99, v95, -v95, vcc_lo
	s_delay_alu instid0(VALU_DEP_1) | instskip(NEXT) | instid1(VALU_DEP_1)
	v_pk_add_f32 v[96:97], v[96:97], v[98:99]
	v_cmp_lt_f32_e32 vcc_lo, v96, v97
	v_dual_add_nc_u32 v85, 8, v85 :: v_dual_cndmask_b32 v87, v87, v95, vcc_lo
	v_cndmask_b32_e32 v86, v86, v94, vcc_lo
	v_cndmask_b32_e64 v84, v84, s0, vcc_lo
	s_add_co_i32 s0, s0, 1
	s_delay_alu instid0(SALU_CYCLE_1)
	s_cmp_lg_u32 s18, s0
	s_cbranch_scc1 .LBB76_253
.LBB76_254:
	s_wait_dscnt 0x0
	v_cmp_eq_f32_e32 vcc_lo, 0, v86
	v_cmp_eq_f32_e64 s0, 0, v87
	s_and_b32 s0, vcc_lo, s0
	s_delay_alu instid0(SALU_CYCLE_1) | instskip(NEXT) | instid1(SALU_CYCLE_1)
	s_and_saveexec_b32 s1, s0
	s_xor_b32 s0, exec_lo, s1
; %bb.255:
	v_cmp_ne_u32_e32 vcc_lo, 0, v90
	v_cndmask_b32_e32 v90, 13, v90, vcc_lo
; %bb.256:
	s_and_not1_saveexec_b32 s0, s0
	s_cbranch_execz .LBB76_262
; %bb.257:
	v_cmp_ngt_f32_e64 s1, |v86|, |v87|
	s_and_saveexec_b32 s12, s1
	s_delay_alu instid0(SALU_CYCLE_1)
	s_xor_b32 s1, exec_lo, s12
	s_cbranch_execz .LBB76_259
; %bb.258:
	v_div_scale_f32 v85, null, v87, v87, v86
	v_div_scale_f32 v95, vcc_lo, v86, v87, v86
	s_delay_alu instid0(VALU_DEP_2) | instskip(SKIP_1) | instid1(TRANS32_DEP_1)
	v_rcp_f32_e32 v93, v85
	v_nop
	v_fma_f32 v94, -v85, v93, 1.0
	s_delay_alu instid0(VALU_DEP_1) | instskip(NEXT) | instid1(VALU_DEP_1)
	v_fmac_f32_e32 v93, v94, v93
	v_mul_f32_e32 v94, v95, v93
	s_delay_alu instid0(VALU_DEP_1) | instskip(NEXT) | instid1(VALU_DEP_1)
	v_fma_f32 v96, -v85, v94, v95
	v_fmac_f32_e32 v94, v96, v93
	s_delay_alu instid0(VALU_DEP_1) | instskip(NEXT) | instid1(VALU_DEP_1)
	v_fma_f32 v85, -v85, v94, v95
	v_div_fmas_f32 v85, v85, v93, v94
	s_delay_alu instid0(VALU_DEP_1) | instskip(NEXT) | instid1(VALU_DEP_1)
	v_div_fixup_f32 v85, v85, v87, v86
	v_fmac_f32_e32 v87, v86, v85
	s_delay_alu instid0(VALU_DEP_1) | instskip(SKIP_1) | instid1(VALU_DEP_2)
	v_div_scale_f32 v86, null, v87, v87, 1.0
	v_div_scale_f32 v95, vcc_lo, 1.0, v87, 1.0
	v_rcp_f32_e32 v93, v86
	v_nop
	s_delay_alu instid0(TRANS32_DEP_1) | instskip(NEXT) | instid1(VALU_DEP_1)
	v_fma_f32 v94, -v86, v93, 1.0
	v_fmac_f32_e32 v93, v94, v93
	s_delay_alu instid0(VALU_DEP_1) | instskip(NEXT) | instid1(VALU_DEP_1)
	v_mul_f32_e32 v94, v95, v93
	v_fma_f32 v96, -v86, v94, v95
	s_delay_alu instid0(VALU_DEP_1) | instskip(NEXT) | instid1(VALU_DEP_1)
	v_fmac_f32_e32 v94, v96, v93
	v_fma_f32 v86, -v86, v94, v95
	s_delay_alu instid0(VALU_DEP_1) | instskip(NEXT) | instid1(VALU_DEP_1)
	v_div_fmas_f32 v86, v86, v93, v94
	v_div_fixup_f32 v87, v86, v87, 1.0
	s_delay_alu instid0(VALU_DEP_1)
	v_mul_f32_e32 v86, v85, v87
	v_xor_b32_e32 v87, 0x80000000, v87
.LBB76_259:
	s_and_not1_saveexec_b32 s1, s1
	s_cbranch_execz .LBB76_261
; %bb.260:
	s_delay_alu instid0(VALU_DEP_1) | instskip(SKIP_1) | instid1(VALU_DEP_2)
	v_div_scale_f32 v85, null, v86, v86, v87
	v_div_scale_f32 v95, vcc_lo, v87, v86, v87
	v_rcp_f32_e32 v93, v85
	v_nop
	s_delay_alu instid0(TRANS32_DEP_1) | instskip(NEXT) | instid1(VALU_DEP_1)
	v_fma_f32 v94, -v85, v93, 1.0
	v_fmac_f32_e32 v93, v94, v93
	s_delay_alu instid0(VALU_DEP_1) | instskip(NEXT) | instid1(VALU_DEP_1)
	v_mul_f32_e32 v94, v95, v93
	v_fma_f32 v96, -v85, v94, v95
	s_delay_alu instid0(VALU_DEP_1) | instskip(NEXT) | instid1(VALU_DEP_1)
	v_fmac_f32_e32 v94, v96, v93
	v_fma_f32 v85, -v85, v94, v95
	s_delay_alu instid0(VALU_DEP_1) | instskip(NEXT) | instid1(VALU_DEP_1)
	v_div_fmas_f32 v85, v85, v93, v94
	v_div_fixup_f32 v85, v85, v86, v87
	s_delay_alu instid0(VALU_DEP_1) | instskip(NEXT) | instid1(VALU_DEP_1)
	v_fmac_f32_e32 v86, v87, v85
	v_div_scale_f32 v87, null, v86, v86, 1.0
	s_delay_alu instid0(VALU_DEP_1) | instskip(SKIP_1) | instid1(TRANS32_DEP_1)
	v_rcp_f32_e32 v93, v87
	v_nop
	v_fma_f32 v94, -v87, v93, 1.0
	s_delay_alu instid0(VALU_DEP_1) | instskip(SKIP_1) | instid1(VALU_DEP_1)
	v_fmac_f32_e32 v93, v94, v93
	v_div_scale_f32 v94, vcc_lo, 1.0, v86, 1.0
	v_mul_f32_e32 v95, v94, v93
	s_delay_alu instid0(VALU_DEP_1) | instskip(NEXT) | instid1(VALU_DEP_1)
	v_fma_f32 v96, -v87, v95, v94
	v_fmac_f32_e32 v95, v96, v93
	s_delay_alu instid0(VALU_DEP_1) | instskip(NEXT) | instid1(VALU_DEP_1)
	v_fma_f32 v87, -v87, v95, v94
	v_div_fmas_f32 v87, v87, v93, v95
	s_delay_alu instid0(VALU_DEP_1) | instskip(NEXT) | instid1(VALU_DEP_1)
	v_div_fixup_f32 v86, v87, v86, 1.0
	v_mul_f32_e64 v87, v85, -v86
.LBB76_261:
	s_or_b32 exec_lo, exec_lo, s1
.LBB76_262:
	s_delay_alu instid0(SALU_CYCLE_1) | instskip(NEXT) | instid1(SALU_CYCLE_1)
	s_or_b32 exec_lo, exec_lo, s0
	s_mov_b32 s0, exec_lo
	v_cmpx_ne_u32_e64 v92, v84
	s_xor_b32 s0, exec_lo, s0
	s_cbranch_execz .LBB76_268
; %bb.263:
	s_mov_b32 s1, exec_lo
	v_cmpx_eq_u32_e32 12, v92
	s_cbranch_execz .LBB76_267
; %bb.264:
	v_cmp_ne_u32_e32 vcc_lo, 12, v84
	s_xor_b32 s12, s16, -1
	s_delay_alu instid0(SALU_CYCLE_1) | instskip(NEXT) | instid1(SALU_CYCLE_1)
	s_and_b32 s13, s12, vcc_lo
	s_and_saveexec_b32 s12, s13
	s_cbranch_execz .LBB76_266
; %bb.265:
	v_ashrrev_i32_e32 v85, 31, v84
	s_delay_alu instid0(VALU_DEP_1)
	v_lshl_add_u64 v[92:93], v[84:85], 2, v[4:5]
	s_clause 0x1
	global_load_b32 v85, v[92:93], off
	global_load_b32 v91, v[4:5], off offset:48
	s_wait_loadcnt 0x1
	global_store_b32 v[4:5], v85, off offset:48
	s_wait_loadcnt 0x0
	global_store_b32 v[92:93], v91, off
.LBB76_266:
	s_wait_xcnt 0x0
	s_or_b32 exec_lo, exec_lo, s12
	v_dual_mov_b32 v92, v84 :: v_dual_mov_b32 v91, v84
.LBB76_267:
	s_or_b32 exec_lo, exec_lo, s1
.LBB76_268:
	s_and_not1_saveexec_b32 s0, s0
	s_cbranch_execz .LBB76_270
; %bb.269:
	v_mov_b32_e32 v92, 12
	ds_store_2addr_b64 v88, v[70:71], v[38:39] offset0:13 offset1:14
	ds_store_2addr_b64 v88, v[36:37], v[68:69] offset0:15 offset1:16
	;; [unrolled: 1-line block ×13, first 2 shown]
.LBB76_270:
	s_or_b32 exec_lo, exec_lo, s0
	s_delay_alu instid0(SALU_CYCLE_1)
	s_mov_b32 s0, exec_lo
	s_wait_storecnt_dscnt 0x0
	s_barrier_signal -1
	s_barrier_wait -1
	v_cmpx_lt_i32_e32 12, v92
	s_cbranch_execz .LBB76_272
; %bb.271:
	v_pk_mul_f32 v[94:95], v[86:87], v[72:73] op_sel:[1,1] op_sel_hi:[0,1]
	s_delay_alu instid0(VALU_DEP_1)
	v_pk_fma_f32 v[84:85], v[86:87], v[72:73], v[94:95] op_sel_hi:[1,0,1] neg_lo:[0,0,1] neg_hi:[0,0,1]
	v_pk_fma_f32 v[86:87], v[86:87], v[72:73], v[94:95] op_sel_hi:[1,0,1]
	ds_load_2addr_b64 v[94:97], v88 offset0:13 offset1:14
	v_dual_mov_b32 v72, v84 :: v_dual_mov_b32 v73, v87
	s_wait_dscnt 0x0
	v_pk_mul_f32 v[98:99], v[94:95], v[86:87] op_sel:[0,1]
	s_delay_alu instid0(VALU_DEP_1) | instskip(SKIP_1) | instid1(VALU_DEP_1)
	v_pk_fma_f32 v[100:101], v[94:95], v[84:85], v[98:99] op_sel:[0,0,1] op_sel_hi:[1,1,0] neg_lo:[0,0,1] neg_hi:[0,0,1]
	v_pk_fma_f32 v[94:95], v[94:95], v[84:85], v[98:99] op_sel:[0,0,1] op_sel_hi:[1,0,0]
	v_mov_b32_e32 v101, v95
	v_pk_mul_f32 v[94:95], v[96:97], v[86:87] op_sel:[0,1]
	s_delay_alu instid0(VALU_DEP_1) | instskip(SKIP_1) | instid1(VALU_DEP_1)
	v_pk_fma_f32 v[98:99], v[96:97], v[84:85], v[94:95] op_sel:[0,0,1] op_sel_hi:[1,1,0] neg_lo:[0,0,1] neg_hi:[0,0,1]
	v_pk_fma_f32 v[94:95], v[96:97], v[84:85], v[94:95] op_sel:[0,0,1] op_sel_hi:[1,0,0]
	v_mov_b32_e32 v99, v95
	ds_load_2addr_b64 v[94:97], v88 offset0:15 offset1:16
	v_pk_add_f32 v[70:71], v[70:71], v[100:101] neg_lo:[0,1] neg_hi:[0,1]
	v_pk_add_f32 v[38:39], v[38:39], v[98:99] neg_lo:[0,1] neg_hi:[0,1]
	s_wait_dscnt 0x0
	v_pk_mul_f32 v[98:99], v[94:95], v[86:87] op_sel:[0,1]
	s_delay_alu instid0(VALU_DEP_1) | instskip(SKIP_2) | instid1(VALU_DEP_2)
	v_pk_fma_f32 v[100:101], v[94:95], v[84:85], v[98:99] op_sel:[0,0,1] op_sel_hi:[1,1,0] neg_lo:[0,0,1] neg_hi:[0,0,1]
	v_pk_fma_f32 v[94:95], v[94:95], v[84:85], v[98:99] op_sel:[0,0,1] op_sel_hi:[1,0,0]
	v_dual_mul_f32 v98, v97, v87 :: v_dual_mov_b32 v94, v97
	v_dual_mov_b32 v101, v95 :: v_dual_mov_b32 v95, v96
	s_delay_alu instid0(VALU_DEP_2) | instskip(SKIP_1) | instid1(VALU_DEP_3)
	v_pk_fma_f32 v[98:99], v[96:97], v[72:73], v[98:99] op_sel_hi:[1,1,0] neg_lo:[0,0,1] neg_hi:[0,0,1]
	v_mul_f32_e32 v96, v97, v84
	v_pk_add_f32 v[36:37], v[36:37], v[100:101] neg_lo:[0,1] neg_hi:[0,1]
	s_delay_alu instid0(VALU_DEP_2) | instskip(NEXT) | instid1(VALU_DEP_1)
	v_pk_fma_f32 v[94:95], v[94:95], v[72:73], v[96:97] op_sel_hi:[1,1,0]
	v_mov_b32_e32 v99, v95
	ds_load_2addr_b64 v[94:97], v88 offset0:17 offset1:18
	v_pk_add_f32 v[68:69], v[68:69], v[98:99] neg_lo:[0,1] neg_hi:[0,1]
	s_wait_dscnt 0x0
	v_pk_mul_f32 v[98:99], v[94:95], v[86:87] op_sel:[0,1]
	s_delay_alu instid0(VALU_DEP_1) | instskip(SKIP_1) | instid1(VALU_DEP_1)
	v_pk_fma_f32 v[100:101], v[94:95], v[84:85], v[98:99] op_sel:[0,0,1] op_sel_hi:[1,1,0] neg_lo:[0,0,1] neg_hi:[0,0,1]
	v_pk_fma_f32 v[94:95], v[94:95], v[84:85], v[98:99] op_sel:[0,0,1] op_sel_hi:[1,0,0]
	v_mov_b32_e32 v101, v95
	v_pk_mul_f32 v[94:95], v[96:97], v[86:87] op_sel:[0,1]
	s_delay_alu instid0(VALU_DEP_1) | instskip(SKIP_1) | instid1(VALU_DEP_1)
	v_pk_fma_f32 v[98:99], v[96:97], v[84:85], v[94:95] op_sel:[0,0,1] op_sel_hi:[1,1,0] neg_lo:[0,0,1] neg_hi:[0,0,1]
	v_pk_fma_f32 v[94:95], v[96:97], v[84:85], v[94:95] op_sel:[0,0,1] op_sel_hi:[1,0,0]
	v_mov_b32_e32 v99, v95
	ds_load_2addr_b64 v[94:97], v88 offset0:19 offset1:20
	v_pk_add_f32 v[66:67], v[66:67], v[100:101] neg_lo:[0,1] neg_hi:[0,1]
	v_pk_add_f32 v[32:33], v[32:33], v[98:99] neg_lo:[0,1] neg_hi:[0,1]
	s_wait_dscnt 0x0
	v_pk_mul_f32 v[98:99], v[94:95], v[86:87] op_sel:[0,1]
	s_delay_alu instid0(VALU_DEP_1) | instskip(SKIP_1) | instid1(VALU_DEP_1)
	v_pk_fma_f32 v[100:101], v[94:95], v[84:85], v[98:99] op_sel:[0,0,1] op_sel_hi:[1,1,0] neg_lo:[0,0,1] neg_hi:[0,0,1]
	v_pk_fma_f32 v[94:95], v[94:95], v[84:85], v[98:99] op_sel:[0,0,1] op_sel_hi:[1,0,0]
	v_mov_b32_e32 v101, v95
	v_pk_mul_f32 v[94:95], v[96:97], v[86:87] op_sel:[0,1]
	s_delay_alu instid0(VALU_DEP_1) | instskip(SKIP_1) | instid1(VALU_DEP_1)
	v_pk_fma_f32 v[98:99], v[96:97], v[84:85], v[94:95] op_sel:[0,0,1] op_sel_hi:[1,1,0] neg_lo:[0,0,1] neg_hi:[0,0,1]
	v_pk_fma_f32 v[94:95], v[96:97], v[84:85], v[94:95] op_sel:[0,0,1] op_sel_hi:[1,0,0]
	v_mov_b32_e32 v99, v95
	ds_load_2addr_b64 v[94:97], v88 offset0:21 offset1:22
	v_pk_add_f32 v[30:31], v[30:31], v[100:101] neg_lo:[0,1] neg_hi:[0,1]
	v_pk_add_f32 v[64:65], v[64:65], v[98:99] neg_lo:[0,1] neg_hi:[0,1]
	s_wait_dscnt 0x0
	v_dual_mul_f32 v98, v95, v87 :: v_dual_mul_f32 v100, v95, v84
	s_delay_alu instid0(VALU_DEP_1) | instskip(NEXT) | instid1(VALU_DEP_2)
	v_pk_fma_f32 v[98:99], v[94:95], v[72:73], v[98:99] op_sel_hi:[1,1,0] neg_lo:[0,0,1] neg_hi:[0,0,1]
	v_pk_fma_f32 v[94:95], v[94:95], v[72:73], v[100:101] op_sel:[1,0,0] op_sel_hi:[0,1,0]
	s_delay_alu instid0(VALU_DEP_1) | instskip(SKIP_1) | instid1(VALU_DEP_2)
	v_mov_b32_e32 v99, v95
	v_pk_mul_f32 v[94:95], v[96:97], v[86:87] op_sel:[0,1]
	v_pk_add_f32 v[62:63], v[62:63], v[98:99] neg_lo:[0,1] neg_hi:[0,1]
	s_delay_alu instid0(VALU_DEP_2) | instskip(SKIP_1) | instid1(VALU_DEP_1)
	v_pk_fma_f32 v[98:99], v[96:97], v[84:85], v[94:95] op_sel:[0,0,1] op_sel_hi:[1,1,0] neg_lo:[0,0,1] neg_hi:[0,0,1]
	v_pk_fma_f32 v[94:95], v[96:97], v[84:85], v[94:95] op_sel:[0,0,1] op_sel_hi:[1,0,0]
	v_mov_b32_e32 v99, v95
	ds_load_2addr_b64 v[94:97], v88 offset0:23 offset1:24
	v_pk_add_f32 v[28:29], v[28:29], v[98:99] neg_lo:[0,1] neg_hi:[0,1]
	s_wait_dscnt 0x0
	v_pk_mul_f32 v[98:99], v[94:95], v[86:87] op_sel:[0,1]
	s_delay_alu instid0(VALU_DEP_1) | instskip(SKIP_1) | instid1(VALU_DEP_1)
	v_pk_fma_f32 v[100:101], v[94:95], v[84:85], v[98:99] op_sel:[0,0,1] op_sel_hi:[1,1,0] neg_lo:[0,0,1] neg_hi:[0,0,1]
	v_pk_fma_f32 v[94:95], v[94:95], v[84:85], v[98:99] op_sel:[0,0,1] op_sel_hi:[1,0,0]
	v_mov_b32_e32 v101, v95
	v_pk_mul_f32 v[94:95], v[96:97], v[86:87] op_sel:[0,1]
	s_delay_alu instid0(VALU_DEP_2) | instskip(NEXT) | instid1(VALU_DEP_2)
	v_pk_add_f32 v[26:27], v[26:27], v[100:101] neg_lo:[0,1] neg_hi:[0,1]
	v_pk_fma_f32 v[98:99], v[96:97], v[84:85], v[94:95] op_sel:[0,0,1] op_sel_hi:[1,1,0] neg_lo:[0,0,1] neg_hi:[0,0,1]
	v_pk_fma_f32 v[94:95], v[96:97], v[84:85], v[94:95] op_sel:[0,0,1] op_sel_hi:[1,0,0]
	s_delay_alu instid0(VALU_DEP_1) | instskip(SKIP_4) | instid1(VALU_DEP_1)
	v_mov_b32_e32 v99, v95
	ds_load_2addr_b64 v[94:97], v88 offset0:25 offset1:26
	v_pk_add_f32 v[60:61], v[60:61], v[98:99] neg_lo:[0,1] neg_hi:[0,1]
	s_wait_dscnt 0x0
	v_pk_mul_f32 v[98:99], v[94:95], v[86:87] op_sel:[0,1]
	v_pk_fma_f32 v[100:101], v[94:95], v[84:85], v[98:99] op_sel:[0,0,1] op_sel_hi:[1,1,0] neg_lo:[0,0,1] neg_hi:[0,0,1]
	v_pk_fma_f32 v[94:95], v[94:95], v[84:85], v[98:99] op_sel:[0,0,1] op_sel_hi:[1,0,0]
	v_dual_mul_f32 v98, v97, v87 :: v_dual_mov_b32 v94, v97
	s_delay_alu instid0(VALU_DEP_2) | instskip(NEXT) | instid1(VALU_DEP_2)
	v_dual_mov_b32 v101, v95 :: v_dual_mov_b32 v95, v96
	v_pk_fma_f32 v[98:99], v[96:97], v[72:73], v[98:99] op_sel_hi:[1,1,0] neg_lo:[0,0,1] neg_hi:[0,0,1]
	v_mul_f32_e32 v96, v97, v84
	s_delay_alu instid0(VALU_DEP_3) | instskip(NEXT) | instid1(VALU_DEP_2)
	v_pk_add_f32 v[58:59], v[58:59], v[100:101] neg_lo:[0,1] neg_hi:[0,1]
	v_pk_fma_f32 v[94:95], v[94:95], v[72:73], v[96:97] op_sel_hi:[1,1,0]
	s_delay_alu instid0(VALU_DEP_1) | instskip(SKIP_4) | instid1(VALU_DEP_1)
	v_mov_b32_e32 v99, v95
	ds_load_2addr_b64 v[94:97], v88 offset0:27 offset1:28
	v_pk_add_f32 v[24:25], v[24:25], v[98:99] neg_lo:[0,1] neg_hi:[0,1]
	s_wait_dscnt 0x0
	v_pk_mul_f32 v[98:99], v[94:95], v[86:87] op_sel:[0,1]
	v_pk_fma_f32 v[100:101], v[94:95], v[84:85], v[98:99] op_sel:[0,0,1] op_sel_hi:[1,1,0] neg_lo:[0,0,1] neg_hi:[0,0,1]
	v_pk_fma_f32 v[94:95], v[94:95], v[84:85], v[98:99] op_sel:[0,0,1] op_sel_hi:[1,0,0]
	s_delay_alu instid0(VALU_DEP_1) | instskip(SKIP_1) | instid1(VALU_DEP_1)
	v_mov_b32_e32 v101, v95
	v_pk_mul_f32 v[94:95], v[96:97], v[86:87] op_sel:[0,1]
	v_pk_fma_f32 v[98:99], v[96:97], v[84:85], v[94:95] op_sel:[0,0,1] op_sel_hi:[1,1,0] neg_lo:[0,0,1] neg_hi:[0,0,1]
	v_pk_fma_f32 v[94:95], v[96:97], v[84:85], v[94:95] op_sel:[0,0,1] op_sel_hi:[1,0,0]
	s_delay_alu instid0(VALU_DEP_1)
	v_mov_b32_e32 v99, v95
	ds_load_2addr_b64 v[94:97], v88 offset0:29 offset1:30
	v_pk_add_f32 v[22:23], v[22:23], v[100:101] neg_lo:[0,1] neg_hi:[0,1]
	v_pk_add_f32 v[48:49], v[48:49], v[98:99] neg_lo:[0,1] neg_hi:[0,1]
	s_wait_dscnt 0x0
	v_pk_mul_f32 v[98:99], v[94:95], v[86:87] op_sel:[0,1]
	s_delay_alu instid0(VALU_DEP_1) | instskip(SKIP_1) | instid1(VALU_DEP_1)
	v_pk_fma_f32 v[100:101], v[94:95], v[84:85], v[98:99] op_sel:[0,0,1] op_sel_hi:[1,1,0] neg_lo:[0,0,1] neg_hi:[0,0,1]
	v_pk_fma_f32 v[94:95], v[94:95], v[84:85], v[98:99] op_sel:[0,0,1] op_sel_hi:[1,0,0]
	v_mov_b32_e32 v101, v95
	v_pk_mul_f32 v[94:95], v[96:97], v[86:87] op_sel:[0,1]
	s_delay_alu instid0(VALU_DEP_1) | instskip(SKIP_1) | instid1(VALU_DEP_1)
	v_pk_fma_f32 v[98:99], v[96:97], v[84:85], v[94:95] op_sel:[0,0,1] op_sel_hi:[1,1,0] neg_lo:[0,0,1] neg_hi:[0,0,1]
	v_pk_fma_f32 v[94:95], v[96:97], v[84:85], v[94:95] op_sel:[0,0,1] op_sel_hi:[1,0,0]
	v_mov_b32_e32 v99, v95
	ds_load_2addr_b64 v[94:97], v88 offset0:31 offset1:32
	v_pk_add_f32 v[46:47], v[46:47], v[100:101] neg_lo:[0,1] neg_hi:[0,1]
	v_pk_add_f32 v[10:11], v[10:11], v[98:99] neg_lo:[0,1] neg_hi:[0,1]
	s_wait_dscnt 0x0
	v_dual_mul_f32 v98, v95, v87 :: v_dual_mul_f32 v100, v95, v84
	s_delay_alu instid0(VALU_DEP_1) | instskip(NEXT) | instid1(VALU_DEP_2)
	v_pk_fma_f32 v[98:99], v[94:95], v[72:73], v[98:99] op_sel_hi:[1,1,0] neg_lo:[0,0,1] neg_hi:[0,0,1]
	v_pk_fma_f32 v[94:95], v[94:95], v[72:73], v[100:101] op_sel:[1,0,0] op_sel_hi:[0,1,0]
	s_delay_alu instid0(VALU_DEP_1) | instskip(SKIP_1) | instid1(VALU_DEP_2)
	v_mov_b32_e32 v99, v95
	v_pk_mul_f32 v[94:95], v[96:97], v[86:87] op_sel:[0,1]
	v_pk_add_f32 v[6:7], v[6:7], v[98:99] neg_lo:[0,1] neg_hi:[0,1]
	s_delay_alu instid0(VALU_DEP_2) | instskip(SKIP_1) | instid1(VALU_DEP_1)
	v_pk_fma_f32 v[98:99], v[96:97], v[84:85], v[94:95] op_sel:[0,0,1] op_sel_hi:[1,1,0] neg_lo:[0,0,1] neg_hi:[0,0,1]
	v_pk_fma_f32 v[94:95], v[96:97], v[84:85], v[94:95] op_sel:[0,0,1] op_sel_hi:[1,0,0]
	v_mov_b32_e32 v99, v95
	ds_load_2addr_b64 v[94:97], v88 offset0:33 offset1:34
	v_pk_add_f32 v[44:45], v[44:45], v[98:99] neg_lo:[0,1] neg_hi:[0,1]
	s_wait_dscnt 0x0
	v_pk_mul_f32 v[98:99], v[94:95], v[86:87] op_sel:[0,1]
	s_delay_alu instid0(VALU_DEP_1) | instskip(SKIP_1) | instid1(VALU_DEP_1)
	v_pk_fma_f32 v[100:101], v[94:95], v[84:85], v[98:99] op_sel:[0,0,1] op_sel_hi:[1,1,0] neg_lo:[0,0,1] neg_hi:[0,0,1]
	v_pk_fma_f32 v[94:95], v[94:95], v[84:85], v[98:99] op_sel:[0,0,1] op_sel_hi:[1,0,0]
	v_mov_b32_e32 v101, v95
	v_pk_mul_f32 v[94:95], v[96:97], v[86:87] op_sel:[0,1]
	s_delay_alu instid0(VALU_DEP_2) | instskip(NEXT) | instid1(VALU_DEP_2)
	v_pk_add_f32 v[42:43], v[42:43], v[100:101] neg_lo:[0,1] neg_hi:[0,1]
	v_pk_fma_f32 v[98:99], v[96:97], v[84:85], v[94:95] op_sel:[0,0,1] op_sel_hi:[1,1,0] neg_lo:[0,0,1] neg_hi:[0,0,1]
	v_pk_fma_f32 v[94:95], v[96:97], v[84:85], v[94:95] op_sel:[0,0,1] op_sel_hi:[1,0,0]
	s_delay_alu instid0(VALU_DEP_1) | instskip(SKIP_4) | instid1(VALU_DEP_1)
	v_mov_b32_e32 v99, v95
	ds_load_2addr_b64 v[94:97], v88 offset0:35 offset1:36
	v_pk_add_f32 v[8:9], v[8:9], v[98:99] neg_lo:[0,1] neg_hi:[0,1]
	s_wait_dscnt 0x0
	v_pk_mul_f32 v[98:99], v[94:95], v[86:87] op_sel:[0,1]
	v_pk_fma_f32 v[100:101], v[94:95], v[84:85], v[98:99] op_sel:[0,0,1] op_sel_hi:[1,1,0] neg_lo:[0,0,1] neg_hi:[0,0,1]
	v_pk_fma_f32 v[94:95], v[94:95], v[84:85], v[98:99] op_sel:[0,0,1] op_sel_hi:[1,0,0]
	v_dual_mul_f32 v98, v97, v87 :: v_dual_mov_b32 v94, v97
	s_delay_alu instid0(VALU_DEP_2) | instskip(NEXT) | instid1(VALU_DEP_2)
	v_dual_mov_b32 v101, v95 :: v_dual_mov_b32 v95, v96
	v_pk_fma_f32 v[98:99], v[96:97], v[72:73], v[98:99] op_sel_hi:[1,1,0] neg_lo:[0,0,1] neg_hi:[0,0,1]
	v_mul_f32_e32 v96, v97, v84
	s_delay_alu instid0(VALU_DEP_3) | instskip(NEXT) | instid1(VALU_DEP_2)
	v_pk_add_f32 v[40:41], v[40:41], v[100:101] neg_lo:[0,1] neg_hi:[0,1]
	v_pk_fma_f32 v[94:95], v[94:95], v[72:73], v[96:97] op_sel_hi:[1,1,0]
	s_delay_alu instid0(VALU_DEP_1)
	v_mov_b32_e32 v99, v95
	ds_load_2addr_b64 v[94:97], v88 offset0:37 offset1:38
	v_pk_add_f32 v[34:35], v[34:35], v[98:99] neg_lo:[0,1] neg_hi:[0,1]
	s_wait_dscnt 0x0
	v_pk_mul_f32 v[98:99], v[94:95], v[86:87] op_sel:[0,1]
	v_pk_mul_f32 v[86:87], v[96:97], v[86:87] op_sel:[0,1]
	s_delay_alu instid0(VALU_DEP_2) | instskip(SKIP_1) | instid1(VALU_DEP_1)
	v_pk_fma_f32 v[100:101], v[94:95], v[84:85], v[98:99] op_sel:[0,0,1] op_sel_hi:[1,1,0] neg_lo:[0,0,1] neg_hi:[0,0,1]
	v_pk_fma_f32 v[94:95], v[94:95], v[84:85], v[98:99] op_sel:[0,0,1] op_sel_hi:[1,0,0]
	v_mov_b32_e32 v101, v95
	s_delay_alu instid0(VALU_DEP_4) | instskip(SKIP_1) | instid1(VALU_DEP_1)
	v_pk_fma_f32 v[94:95], v[96:97], v[84:85], v[86:87] op_sel:[0,0,1] op_sel_hi:[1,1,0] neg_lo:[0,0,1] neg_hi:[0,0,1]
	v_pk_fma_f32 v[84:85], v[96:97], v[84:85], v[86:87] op_sel:[0,0,1] op_sel_hi:[1,0,0]
	v_mov_b32_e32 v95, v85
	s_delay_alu instid0(VALU_DEP_4) | instskip(NEXT) | instid1(VALU_DEP_2)
	v_pk_add_f32 v[20:21], v[20:21], v[100:101] neg_lo:[0,1] neg_hi:[0,1]
	v_pk_add_f32 v[82:83], v[82:83], v[94:95] neg_lo:[0,1] neg_hi:[0,1]
.LBB76_272:
	s_or_b32 exec_lo, exec_lo, s0
	v_lshl_add_u32 v84, v92, 3, v88
	s_barrier_signal -1
	s_barrier_wait -1
	ds_store_b64 v84, v[70:71]
	s_wait_dscnt 0x0
	s_barrier_signal -1
	s_barrier_wait -1
	ds_load_b64 v[86:87], v88 offset:104
	v_mov_b32_e32 v84, 13
	s_cmp_lt_i32 s18, 15
	s_cbranch_scc1 .LBB76_275
; %bb.273:
	v_add3_u32 v85, v89, 0, 0x70
	v_mov_b32_e32 v84, 13
	s_mov_b32 s0, 14
.LBB76_274:                             ; =>This Inner Loop Header: Depth=1
	ds_load_b64 v[94:95], v85
	s_wait_dscnt 0x1
	v_cmp_gt_f32_e32 vcc_lo, 0, v86
	v_cndmask_b32_e64 v96, v86, -v86, vcc_lo
	v_cmp_gt_f32_e32 vcc_lo, 0, v87
	v_cndmask_b32_e64 v98, v87, -v87, vcc_lo
	s_wait_dscnt 0x0
	v_cmp_gt_f32_e32 vcc_lo, 0, v94
	v_cndmask_b32_e64 v97, v94, -v94, vcc_lo
	v_cmp_gt_f32_e32 vcc_lo, 0, v95
	v_cndmask_b32_e64 v99, v95, -v95, vcc_lo
	s_delay_alu instid0(VALU_DEP_1) | instskip(NEXT) | instid1(VALU_DEP_1)
	v_pk_add_f32 v[96:97], v[96:97], v[98:99]
	v_cmp_lt_f32_e32 vcc_lo, v96, v97
	v_dual_add_nc_u32 v85, 8, v85 :: v_dual_cndmask_b32 v87, v87, v95, vcc_lo
	v_cndmask_b32_e32 v86, v86, v94, vcc_lo
	v_cndmask_b32_e64 v84, v84, s0, vcc_lo
	s_add_co_i32 s0, s0, 1
	s_delay_alu instid0(SALU_CYCLE_1)
	s_cmp_lg_u32 s18, s0
	s_cbranch_scc1 .LBB76_274
.LBB76_275:
	s_wait_dscnt 0x0
	v_cmp_eq_f32_e32 vcc_lo, 0, v86
	v_cmp_eq_f32_e64 s0, 0, v87
	s_and_b32 s0, vcc_lo, s0
	s_delay_alu instid0(SALU_CYCLE_1) | instskip(NEXT) | instid1(SALU_CYCLE_1)
	s_and_saveexec_b32 s1, s0
	s_xor_b32 s0, exec_lo, s1
; %bb.276:
	v_cmp_ne_u32_e32 vcc_lo, 0, v90
	v_cndmask_b32_e32 v90, 14, v90, vcc_lo
; %bb.277:
	s_and_not1_saveexec_b32 s0, s0
	s_cbranch_execz .LBB76_283
; %bb.278:
	v_cmp_ngt_f32_e64 s1, |v86|, |v87|
	s_and_saveexec_b32 s12, s1
	s_delay_alu instid0(SALU_CYCLE_1)
	s_xor_b32 s1, exec_lo, s12
	s_cbranch_execz .LBB76_280
; %bb.279:
	v_div_scale_f32 v85, null, v87, v87, v86
	v_div_scale_f32 v95, vcc_lo, v86, v87, v86
	s_delay_alu instid0(VALU_DEP_2) | instskip(SKIP_1) | instid1(TRANS32_DEP_1)
	v_rcp_f32_e32 v93, v85
	v_nop
	v_fma_f32 v94, -v85, v93, 1.0
	s_delay_alu instid0(VALU_DEP_1) | instskip(NEXT) | instid1(VALU_DEP_1)
	v_fmac_f32_e32 v93, v94, v93
	v_mul_f32_e32 v94, v95, v93
	s_delay_alu instid0(VALU_DEP_1) | instskip(NEXT) | instid1(VALU_DEP_1)
	v_fma_f32 v96, -v85, v94, v95
	v_fmac_f32_e32 v94, v96, v93
	s_delay_alu instid0(VALU_DEP_1) | instskip(NEXT) | instid1(VALU_DEP_1)
	v_fma_f32 v85, -v85, v94, v95
	v_div_fmas_f32 v85, v85, v93, v94
	s_delay_alu instid0(VALU_DEP_1) | instskip(NEXT) | instid1(VALU_DEP_1)
	v_div_fixup_f32 v85, v85, v87, v86
	v_fmac_f32_e32 v87, v86, v85
	s_delay_alu instid0(VALU_DEP_1) | instskip(SKIP_1) | instid1(VALU_DEP_2)
	v_div_scale_f32 v86, null, v87, v87, 1.0
	v_div_scale_f32 v95, vcc_lo, 1.0, v87, 1.0
	v_rcp_f32_e32 v93, v86
	v_nop
	s_delay_alu instid0(TRANS32_DEP_1) | instskip(NEXT) | instid1(VALU_DEP_1)
	v_fma_f32 v94, -v86, v93, 1.0
	v_fmac_f32_e32 v93, v94, v93
	s_delay_alu instid0(VALU_DEP_1) | instskip(NEXT) | instid1(VALU_DEP_1)
	v_mul_f32_e32 v94, v95, v93
	v_fma_f32 v96, -v86, v94, v95
	s_delay_alu instid0(VALU_DEP_1) | instskip(NEXT) | instid1(VALU_DEP_1)
	v_fmac_f32_e32 v94, v96, v93
	v_fma_f32 v86, -v86, v94, v95
	s_delay_alu instid0(VALU_DEP_1) | instskip(NEXT) | instid1(VALU_DEP_1)
	v_div_fmas_f32 v86, v86, v93, v94
	v_div_fixup_f32 v87, v86, v87, 1.0
	s_delay_alu instid0(VALU_DEP_1)
	v_mul_f32_e32 v86, v85, v87
	v_xor_b32_e32 v87, 0x80000000, v87
.LBB76_280:
	s_and_not1_saveexec_b32 s1, s1
	s_cbranch_execz .LBB76_282
; %bb.281:
	s_delay_alu instid0(VALU_DEP_1) | instskip(SKIP_1) | instid1(VALU_DEP_2)
	v_div_scale_f32 v85, null, v86, v86, v87
	v_div_scale_f32 v95, vcc_lo, v87, v86, v87
	v_rcp_f32_e32 v93, v85
	v_nop
	s_delay_alu instid0(TRANS32_DEP_1) | instskip(NEXT) | instid1(VALU_DEP_1)
	v_fma_f32 v94, -v85, v93, 1.0
	v_fmac_f32_e32 v93, v94, v93
	s_delay_alu instid0(VALU_DEP_1) | instskip(NEXT) | instid1(VALU_DEP_1)
	v_mul_f32_e32 v94, v95, v93
	v_fma_f32 v96, -v85, v94, v95
	s_delay_alu instid0(VALU_DEP_1) | instskip(NEXT) | instid1(VALU_DEP_1)
	v_fmac_f32_e32 v94, v96, v93
	v_fma_f32 v85, -v85, v94, v95
	s_delay_alu instid0(VALU_DEP_1) | instskip(NEXT) | instid1(VALU_DEP_1)
	v_div_fmas_f32 v85, v85, v93, v94
	v_div_fixup_f32 v85, v85, v86, v87
	s_delay_alu instid0(VALU_DEP_1) | instskip(NEXT) | instid1(VALU_DEP_1)
	v_fmac_f32_e32 v86, v87, v85
	v_div_scale_f32 v87, null, v86, v86, 1.0
	s_delay_alu instid0(VALU_DEP_1) | instskip(SKIP_1) | instid1(TRANS32_DEP_1)
	v_rcp_f32_e32 v93, v87
	v_nop
	v_fma_f32 v94, -v87, v93, 1.0
	s_delay_alu instid0(VALU_DEP_1) | instskip(SKIP_1) | instid1(VALU_DEP_1)
	v_fmac_f32_e32 v93, v94, v93
	v_div_scale_f32 v94, vcc_lo, 1.0, v86, 1.0
	v_mul_f32_e32 v95, v94, v93
	s_delay_alu instid0(VALU_DEP_1) | instskip(NEXT) | instid1(VALU_DEP_1)
	v_fma_f32 v96, -v87, v95, v94
	v_fmac_f32_e32 v95, v96, v93
	s_delay_alu instid0(VALU_DEP_1) | instskip(NEXT) | instid1(VALU_DEP_1)
	v_fma_f32 v87, -v87, v95, v94
	v_div_fmas_f32 v87, v87, v93, v95
	s_delay_alu instid0(VALU_DEP_1) | instskip(NEXT) | instid1(VALU_DEP_1)
	v_div_fixup_f32 v86, v87, v86, 1.0
	v_mul_f32_e64 v87, v85, -v86
.LBB76_282:
	s_or_b32 exec_lo, exec_lo, s1
.LBB76_283:
	s_delay_alu instid0(SALU_CYCLE_1) | instskip(NEXT) | instid1(SALU_CYCLE_1)
	s_or_b32 exec_lo, exec_lo, s0
	s_mov_b32 s0, exec_lo
	v_cmpx_ne_u32_e64 v92, v84
	s_xor_b32 s0, exec_lo, s0
	s_cbranch_execz .LBB76_289
; %bb.284:
	s_mov_b32 s1, exec_lo
	v_cmpx_eq_u32_e32 13, v92
	s_cbranch_execz .LBB76_288
; %bb.285:
	v_cmp_ne_u32_e32 vcc_lo, 13, v84
	s_xor_b32 s12, s16, -1
	s_delay_alu instid0(SALU_CYCLE_1) | instskip(NEXT) | instid1(SALU_CYCLE_1)
	s_and_b32 s13, s12, vcc_lo
	s_and_saveexec_b32 s12, s13
	s_cbranch_execz .LBB76_287
; %bb.286:
	v_ashrrev_i32_e32 v85, 31, v84
	s_delay_alu instid0(VALU_DEP_1)
	v_lshl_add_u64 v[92:93], v[84:85], 2, v[4:5]
	s_clause 0x1
	global_load_b32 v85, v[92:93], off
	global_load_b32 v91, v[4:5], off offset:52
	s_wait_loadcnt 0x1
	global_store_b32 v[4:5], v85, off offset:52
	s_wait_loadcnt 0x0
	global_store_b32 v[92:93], v91, off
.LBB76_287:
	s_wait_xcnt 0x0
	s_or_b32 exec_lo, exec_lo, s12
	v_dual_mov_b32 v92, v84 :: v_dual_mov_b32 v91, v84
.LBB76_288:
	s_or_b32 exec_lo, exec_lo, s1
.LBB76_289:
	s_and_not1_saveexec_b32 s0, s0
	s_cbranch_execz .LBB76_291
; %bb.290:
	v_dual_mov_b32 v84, v38 :: v_dual_mov_b32 v85, v39
	v_dual_mov_b32 v92, v36 :: v_dual_mov_b32 v93, v37
	ds_store_2addr_b64 v88, v[84:85], v[92:93] offset0:14 offset1:15
	v_dual_mov_b32 v84, v68 :: v_dual_mov_b32 v85, v69
	v_dual_mov_b32 v92, v66 :: v_dual_mov_b32 v93, v67
	ds_store_2addr_b64 v88, v[84:85], v[92:93] offset0:16 offset1:17
	;; [unrolled: 3-line block ×12, first 2 shown]
	ds_store_b64 v88, v[82:83] offset:304
	v_mov_b32_e32 v92, 13
.LBB76_291:
	s_or_b32 exec_lo, exec_lo, s0
	s_delay_alu instid0(SALU_CYCLE_1)
	s_mov_b32 s0, exec_lo
	s_wait_storecnt_dscnt 0x0
	s_barrier_signal -1
	s_barrier_wait -1
	v_cmpx_lt_i32_e32 13, v92
	s_cbranch_execz .LBB76_293
; %bb.292:
	v_pk_mul_f32 v[94:95], v[86:87], v[70:71] op_sel:[1,1] op_sel_hi:[0,1]
	s_delay_alu instid0(VALU_DEP_1)
	v_pk_fma_f32 v[84:85], v[86:87], v[70:71], v[94:95] op_sel_hi:[1,0,1] neg_lo:[0,0,1] neg_hi:[0,0,1]
	v_pk_fma_f32 v[86:87], v[86:87], v[70:71], v[94:95] op_sel_hi:[1,0,1]
	ds_load_2addr_b64 v[94:97], v88 offset0:14 offset1:15
	v_dual_mov_b32 v70, v84 :: v_dual_mov_b32 v71, v87
	s_wait_dscnt 0x0
	v_pk_mul_f32 v[98:99], v[94:95], v[86:87] op_sel:[0,1]
	s_delay_alu instid0(VALU_DEP_1) | instskip(SKIP_1) | instid1(VALU_DEP_1)
	v_pk_fma_f32 v[100:101], v[94:95], v[84:85], v[98:99] op_sel:[0,0,1] op_sel_hi:[1,1,0] neg_lo:[0,0,1] neg_hi:[0,0,1]
	v_pk_fma_f32 v[94:95], v[94:95], v[84:85], v[98:99] op_sel:[0,0,1] op_sel_hi:[1,0,0]
	v_mov_b32_e32 v101, v95
	v_pk_mul_f32 v[94:95], v[96:97], v[86:87] op_sel:[0,1]
	s_delay_alu instid0(VALU_DEP_1) | instskip(SKIP_1) | instid1(VALU_DEP_1)
	v_pk_fma_f32 v[98:99], v[96:97], v[84:85], v[94:95] op_sel:[0,0,1] op_sel_hi:[1,1,0] neg_lo:[0,0,1] neg_hi:[0,0,1]
	v_pk_fma_f32 v[94:95], v[96:97], v[84:85], v[94:95] op_sel:[0,0,1] op_sel_hi:[1,0,0]
	v_mov_b32_e32 v99, v95
	ds_load_2addr_b64 v[94:97], v88 offset0:16 offset1:17
	v_pk_add_f32 v[38:39], v[38:39], v[100:101] neg_lo:[0,1] neg_hi:[0,1]
	v_pk_add_f32 v[36:37], v[36:37], v[98:99] neg_lo:[0,1] neg_hi:[0,1]
	s_wait_dscnt 0x0
	v_pk_mul_f32 v[98:99], v[94:95], v[86:87] op_sel:[0,1]
	s_delay_alu instid0(VALU_DEP_1) | instskip(SKIP_2) | instid1(VALU_DEP_2)
	v_pk_fma_f32 v[100:101], v[94:95], v[84:85], v[98:99] op_sel:[0,0,1] op_sel_hi:[1,1,0] neg_lo:[0,0,1] neg_hi:[0,0,1]
	v_pk_fma_f32 v[94:95], v[94:95], v[84:85], v[98:99] op_sel:[0,0,1] op_sel_hi:[1,0,0]
	v_dual_mul_f32 v98, v97, v87 :: v_dual_mov_b32 v94, v97
	v_dual_mov_b32 v101, v95 :: v_dual_mov_b32 v95, v96
	s_delay_alu instid0(VALU_DEP_2) | instskip(SKIP_1) | instid1(VALU_DEP_3)
	v_pk_fma_f32 v[98:99], v[96:97], v[70:71], v[98:99] op_sel_hi:[1,1,0] neg_lo:[0,0,1] neg_hi:[0,0,1]
	v_mul_f32_e32 v96, v97, v84
	v_pk_add_f32 v[68:69], v[68:69], v[100:101] neg_lo:[0,1] neg_hi:[0,1]
	s_delay_alu instid0(VALU_DEP_2) | instskip(NEXT) | instid1(VALU_DEP_1)
	v_pk_fma_f32 v[94:95], v[94:95], v[70:71], v[96:97] op_sel_hi:[1,1,0]
	v_mov_b32_e32 v99, v95
	ds_load_2addr_b64 v[94:97], v88 offset0:18 offset1:19
	v_pk_add_f32 v[66:67], v[66:67], v[98:99] neg_lo:[0,1] neg_hi:[0,1]
	s_wait_dscnt 0x0
	v_pk_mul_f32 v[98:99], v[94:95], v[86:87] op_sel:[0,1]
	s_delay_alu instid0(VALU_DEP_1) | instskip(SKIP_1) | instid1(VALU_DEP_1)
	v_pk_fma_f32 v[100:101], v[94:95], v[84:85], v[98:99] op_sel:[0,0,1] op_sel_hi:[1,1,0] neg_lo:[0,0,1] neg_hi:[0,0,1]
	v_pk_fma_f32 v[94:95], v[94:95], v[84:85], v[98:99] op_sel:[0,0,1] op_sel_hi:[1,0,0]
	v_mov_b32_e32 v101, v95
	v_pk_mul_f32 v[94:95], v[96:97], v[86:87] op_sel:[0,1]
	s_delay_alu instid0(VALU_DEP_1) | instskip(SKIP_1) | instid1(VALU_DEP_1)
	v_pk_fma_f32 v[98:99], v[96:97], v[84:85], v[94:95] op_sel:[0,0,1] op_sel_hi:[1,1,0] neg_lo:[0,0,1] neg_hi:[0,0,1]
	v_pk_fma_f32 v[94:95], v[96:97], v[84:85], v[94:95] op_sel:[0,0,1] op_sel_hi:[1,0,0]
	v_mov_b32_e32 v99, v95
	ds_load_2addr_b64 v[94:97], v88 offset0:20 offset1:21
	v_pk_add_f32 v[32:33], v[32:33], v[100:101] neg_lo:[0,1] neg_hi:[0,1]
	v_pk_add_f32 v[30:31], v[30:31], v[98:99] neg_lo:[0,1] neg_hi:[0,1]
	s_wait_dscnt 0x0
	v_pk_mul_f32 v[98:99], v[94:95], v[86:87] op_sel:[0,1]
	s_delay_alu instid0(VALU_DEP_1) | instskip(SKIP_1) | instid1(VALU_DEP_1)
	v_pk_fma_f32 v[100:101], v[94:95], v[84:85], v[98:99] op_sel:[0,0,1] op_sel_hi:[1,1,0] neg_lo:[0,0,1] neg_hi:[0,0,1]
	v_pk_fma_f32 v[94:95], v[94:95], v[84:85], v[98:99] op_sel:[0,0,1] op_sel_hi:[1,0,0]
	v_mov_b32_e32 v101, v95
	v_pk_mul_f32 v[94:95], v[96:97], v[86:87] op_sel:[0,1]
	s_delay_alu instid0(VALU_DEP_1) | instskip(SKIP_1) | instid1(VALU_DEP_1)
	v_pk_fma_f32 v[98:99], v[96:97], v[84:85], v[94:95] op_sel:[0,0,1] op_sel_hi:[1,1,0] neg_lo:[0,0,1] neg_hi:[0,0,1]
	v_pk_fma_f32 v[94:95], v[96:97], v[84:85], v[94:95] op_sel:[0,0,1] op_sel_hi:[1,0,0]
	v_mov_b32_e32 v99, v95
	ds_load_2addr_b64 v[94:97], v88 offset0:22 offset1:23
	v_pk_add_f32 v[64:65], v[64:65], v[100:101] neg_lo:[0,1] neg_hi:[0,1]
	v_pk_add_f32 v[62:63], v[62:63], v[98:99] neg_lo:[0,1] neg_hi:[0,1]
	s_wait_dscnt 0x0
	v_dual_mul_f32 v98, v95, v87 :: v_dual_mul_f32 v100, v95, v84
	s_delay_alu instid0(VALU_DEP_1) | instskip(NEXT) | instid1(VALU_DEP_2)
	v_pk_fma_f32 v[98:99], v[94:95], v[70:71], v[98:99] op_sel_hi:[1,1,0] neg_lo:[0,0,1] neg_hi:[0,0,1]
	v_pk_fma_f32 v[94:95], v[94:95], v[70:71], v[100:101] op_sel:[1,0,0] op_sel_hi:[0,1,0]
	s_delay_alu instid0(VALU_DEP_1) | instskip(SKIP_1) | instid1(VALU_DEP_2)
	v_mov_b32_e32 v99, v95
	v_pk_mul_f32 v[94:95], v[96:97], v[86:87] op_sel:[0,1]
	v_pk_add_f32 v[28:29], v[28:29], v[98:99] neg_lo:[0,1] neg_hi:[0,1]
	s_delay_alu instid0(VALU_DEP_2) | instskip(SKIP_1) | instid1(VALU_DEP_1)
	v_pk_fma_f32 v[98:99], v[96:97], v[84:85], v[94:95] op_sel:[0,0,1] op_sel_hi:[1,1,0] neg_lo:[0,0,1] neg_hi:[0,0,1]
	v_pk_fma_f32 v[94:95], v[96:97], v[84:85], v[94:95] op_sel:[0,0,1] op_sel_hi:[1,0,0]
	v_mov_b32_e32 v99, v95
	ds_load_2addr_b64 v[94:97], v88 offset0:24 offset1:25
	v_pk_add_f32 v[26:27], v[26:27], v[98:99] neg_lo:[0,1] neg_hi:[0,1]
	s_wait_dscnt 0x0
	v_pk_mul_f32 v[98:99], v[94:95], v[86:87] op_sel:[0,1]
	s_delay_alu instid0(VALU_DEP_1) | instskip(SKIP_1) | instid1(VALU_DEP_1)
	v_pk_fma_f32 v[100:101], v[94:95], v[84:85], v[98:99] op_sel:[0,0,1] op_sel_hi:[1,1,0] neg_lo:[0,0,1] neg_hi:[0,0,1]
	v_pk_fma_f32 v[94:95], v[94:95], v[84:85], v[98:99] op_sel:[0,0,1] op_sel_hi:[1,0,0]
	v_mov_b32_e32 v101, v95
	v_pk_mul_f32 v[94:95], v[96:97], v[86:87] op_sel:[0,1]
	s_delay_alu instid0(VALU_DEP_2) | instskip(NEXT) | instid1(VALU_DEP_2)
	v_pk_add_f32 v[60:61], v[60:61], v[100:101] neg_lo:[0,1] neg_hi:[0,1]
	v_pk_fma_f32 v[98:99], v[96:97], v[84:85], v[94:95] op_sel:[0,0,1] op_sel_hi:[1,1,0] neg_lo:[0,0,1] neg_hi:[0,0,1]
	v_pk_fma_f32 v[94:95], v[96:97], v[84:85], v[94:95] op_sel:[0,0,1] op_sel_hi:[1,0,0]
	s_delay_alu instid0(VALU_DEP_1) | instskip(SKIP_4) | instid1(VALU_DEP_1)
	v_mov_b32_e32 v99, v95
	ds_load_2addr_b64 v[94:97], v88 offset0:26 offset1:27
	v_pk_add_f32 v[58:59], v[58:59], v[98:99] neg_lo:[0,1] neg_hi:[0,1]
	s_wait_dscnt 0x0
	v_pk_mul_f32 v[98:99], v[94:95], v[86:87] op_sel:[0,1]
	v_pk_fma_f32 v[100:101], v[94:95], v[84:85], v[98:99] op_sel:[0,0,1] op_sel_hi:[1,1,0] neg_lo:[0,0,1] neg_hi:[0,0,1]
	v_pk_fma_f32 v[94:95], v[94:95], v[84:85], v[98:99] op_sel:[0,0,1] op_sel_hi:[1,0,0]
	v_dual_mul_f32 v98, v97, v87 :: v_dual_mov_b32 v94, v97
	s_delay_alu instid0(VALU_DEP_2) | instskip(NEXT) | instid1(VALU_DEP_2)
	v_dual_mov_b32 v101, v95 :: v_dual_mov_b32 v95, v96
	v_pk_fma_f32 v[98:99], v[96:97], v[70:71], v[98:99] op_sel_hi:[1,1,0] neg_lo:[0,0,1] neg_hi:[0,0,1]
	v_mul_f32_e32 v96, v97, v84
	s_delay_alu instid0(VALU_DEP_3) | instskip(NEXT) | instid1(VALU_DEP_2)
	v_pk_add_f32 v[24:25], v[24:25], v[100:101] neg_lo:[0,1] neg_hi:[0,1]
	v_pk_fma_f32 v[94:95], v[94:95], v[70:71], v[96:97] op_sel_hi:[1,1,0]
	s_delay_alu instid0(VALU_DEP_1) | instskip(SKIP_4) | instid1(VALU_DEP_1)
	v_mov_b32_e32 v99, v95
	ds_load_2addr_b64 v[94:97], v88 offset0:28 offset1:29
	v_pk_add_f32 v[22:23], v[22:23], v[98:99] neg_lo:[0,1] neg_hi:[0,1]
	s_wait_dscnt 0x0
	v_pk_mul_f32 v[98:99], v[94:95], v[86:87] op_sel:[0,1]
	v_pk_fma_f32 v[100:101], v[94:95], v[84:85], v[98:99] op_sel:[0,0,1] op_sel_hi:[1,1,0] neg_lo:[0,0,1] neg_hi:[0,0,1]
	v_pk_fma_f32 v[94:95], v[94:95], v[84:85], v[98:99] op_sel:[0,0,1] op_sel_hi:[1,0,0]
	s_delay_alu instid0(VALU_DEP_1) | instskip(SKIP_1) | instid1(VALU_DEP_1)
	v_mov_b32_e32 v101, v95
	v_pk_mul_f32 v[94:95], v[96:97], v[86:87] op_sel:[0,1]
	v_pk_fma_f32 v[98:99], v[96:97], v[84:85], v[94:95] op_sel:[0,0,1] op_sel_hi:[1,1,0] neg_lo:[0,0,1] neg_hi:[0,0,1]
	v_pk_fma_f32 v[94:95], v[96:97], v[84:85], v[94:95] op_sel:[0,0,1] op_sel_hi:[1,0,0]
	s_delay_alu instid0(VALU_DEP_1)
	v_mov_b32_e32 v99, v95
	ds_load_2addr_b64 v[94:97], v88 offset0:30 offset1:31
	v_pk_add_f32 v[48:49], v[48:49], v[100:101] neg_lo:[0,1] neg_hi:[0,1]
	v_pk_add_f32 v[46:47], v[46:47], v[98:99] neg_lo:[0,1] neg_hi:[0,1]
	s_wait_dscnt 0x0
	v_pk_mul_f32 v[98:99], v[94:95], v[86:87] op_sel:[0,1]
	s_delay_alu instid0(VALU_DEP_1) | instskip(SKIP_1) | instid1(VALU_DEP_1)
	v_pk_fma_f32 v[100:101], v[94:95], v[84:85], v[98:99] op_sel:[0,0,1] op_sel_hi:[1,1,0] neg_lo:[0,0,1] neg_hi:[0,0,1]
	v_pk_fma_f32 v[94:95], v[94:95], v[84:85], v[98:99] op_sel:[0,0,1] op_sel_hi:[1,0,0]
	v_mov_b32_e32 v101, v95
	v_pk_mul_f32 v[94:95], v[96:97], v[86:87] op_sel:[0,1]
	s_delay_alu instid0(VALU_DEP_1) | instskip(SKIP_1) | instid1(VALU_DEP_1)
	v_pk_fma_f32 v[98:99], v[96:97], v[84:85], v[94:95] op_sel:[0,0,1] op_sel_hi:[1,1,0] neg_lo:[0,0,1] neg_hi:[0,0,1]
	v_pk_fma_f32 v[94:95], v[96:97], v[84:85], v[94:95] op_sel:[0,0,1] op_sel_hi:[1,0,0]
	v_mov_b32_e32 v99, v95
	ds_load_2addr_b64 v[94:97], v88 offset0:32 offset1:33
	v_pk_add_f32 v[10:11], v[10:11], v[100:101] neg_lo:[0,1] neg_hi:[0,1]
	v_pk_add_f32 v[6:7], v[6:7], v[98:99] neg_lo:[0,1] neg_hi:[0,1]
	s_wait_dscnt 0x0
	v_dual_mul_f32 v98, v95, v87 :: v_dual_mul_f32 v100, v95, v84
	s_delay_alu instid0(VALU_DEP_1) | instskip(NEXT) | instid1(VALU_DEP_2)
	v_pk_fma_f32 v[98:99], v[94:95], v[70:71], v[98:99] op_sel_hi:[1,1,0] neg_lo:[0,0,1] neg_hi:[0,0,1]
	v_pk_fma_f32 v[94:95], v[94:95], v[70:71], v[100:101] op_sel:[1,0,0] op_sel_hi:[0,1,0]
	s_delay_alu instid0(VALU_DEP_1) | instskip(SKIP_1) | instid1(VALU_DEP_2)
	v_mov_b32_e32 v99, v95
	v_pk_mul_f32 v[94:95], v[96:97], v[86:87] op_sel:[0,1]
	v_pk_add_f32 v[44:45], v[44:45], v[98:99] neg_lo:[0,1] neg_hi:[0,1]
	s_delay_alu instid0(VALU_DEP_2) | instskip(SKIP_1) | instid1(VALU_DEP_1)
	v_pk_fma_f32 v[98:99], v[96:97], v[84:85], v[94:95] op_sel:[0,0,1] op_sel_hi:[1,1,0] neg_lo:[0,0,1] neg_hi:[0,0,1]
	v_pk_fma_f32 v[94:95], v[96:97], v[84:85], v[94:95] op_sel:[0,0,1] op_sel_hi:[1,0,0]
	v_mov_b32_e32 v99, v95
	ds_load_2addr_b64 v[94:97], v88 offset0:34 offset1:35
	v_pk_add_f32 v[42:43], v[42:43], v[98:99] neg_lo:[0,1] neg_hi:[0,1]
	s_wait_dscnt 0x0
	v_pk_mul_f32 v[98:99], v[94:95], v[86:87] op_sel:[0,1]
	s_delay_alu instid0(VALU_DEP_1) | instskip(SKIP_1) | instid1(VALU_DEP_1)
	v_pk_fma_f32 v[100:101], v[94:95], v[84:85], v[98:99] op_sel:[0,0,1] op_sel_hi:[1,1,0] neg_lo:[0,0,1] neg_hi:[0,0,1]
	v_pk_fma_f32 v[94:95], v[94:95], v[84:85], v[98:99] op_sel:[0,0,1] op_sel_hi:[1,0,0]
	v_mov_b32_e32 v101, v95
	v_pk_mul_f32 v[94:95], v[96:97], v[86:87] op_sel:[0,1]
	s_delay_alu instid0(VALU_DEP_2) | instskip(NEXT) | instid1(VALU_DEP_2)
	v_pk_add_f32 v[8:9], v[8:9], v[100:101] neg_lo:[0,1] neg_hi:[0,1]
	v_pk_fma_f32 v[98:99], v[96:97], v[84:85], v[94:95] op_sel:[0,0,1] op_sel_hi:[1,1,0] neg_lo:[0,0,1] neg_hi:[0,0,1]
	v_pk_fma_f32 v[94:95], v[96:97], v[84:85], v[94:95] op_sel:[0,0,1] op_sel_hi:[1,0,0]
	s_delay_alu instid0(VALU_DEP_1) | instskip(SKIP_4) | instid1(VALU_DEP_1)
	v_mov_b32_e32 v99, v95
	ds_load_2addr_b64 v[94:97], v88 offset0:36 offset1:37
	v_pk_add_f32 v[40:41], v[40:41], v[98:99] neg_lo:[0,1] neg_hi:[0,1]
	s_wait_dscnt 0x0
	v_pk_mul_f32 v[98:99], v[94:95], v[86:87] op_sel:[0,1]
	v_pk_fma_f32 v[100:101], v[94:95], v[84:85], v[98:99] op_sel:[0,0,1] op_sel_hi:[1,1,0] neg_lo:[0,0,1] neg_hi:[0,0,1]
	v_pk_fma_f32 v[94:95], v[94:95], v[84:85], v[98:99] op_sel:[0,0,1] op_sel_hi:[1,0,0]
	v_dual_mul_f32 v98, v97, v87 :: v_dual_mov_b32 v94, v97
	s_delay_alu instid0(VALU_DEP_2) | instskip(NEXT) | instid1(VALU_DEP_2)
	v_dual_mov_b32 v101, v95 :: v_dual_mov_b32 v95, v96
	v_pk_fma_f32 v[98:99], v[96:97], v[70:71], v[98:99] op_sel_hi:[1,1,0] neg_lo:[0,0,1] neg_hi:[0,0,1]
	v_mul_f32_e32 v96, v97, v84
	s_delay_alu instid0(VALU_DEP_3) | instskip(NEXT) | instid1(VALU_DEP_2)
	v_pk_add_f32 v[34:35], v[34:35], v[100:101] neg_lo:[0,1] neg_hi:[0,1]
	v_pk_fma_f32 v[94:95], v[94:95], v[70:71], v[96:97] op_sel_hi:[1,1,0]
	s_delay_alu instid0(VALU_DEP_1) | instskip(SKIP_4) | instid1(VALU_DEP_1)
	v_mov_b32_e32 v99, v95
	ds_load_b64 v[94:95], v88 offset:304
	v_pk_add_f32 v[20:21], v[20:21], v[98:99] neg_lo:[0,1] neg_hi:[0,1]
	s_wait_dscnt 0x0
	v_pk_mul_f32 v[86:87], v[94:95], v[86:87] op_sel:[0,1]
	v_pk_fma_f32 v[96:97], v[94:95], v[84:85], v[86:87] op_sel:[0,0,1] op_sel_hi:[1,1,0] neg_lo:[0,0,1] neg_hi:[0,0,1]
	v_pk_fma_f32 v[84:85], v[94:95], v[84:85], v[86:87] op_sel:[0,0,1] op_sel_hi:[1,0,0]
	s_delay_alu instid0(VALU_DEP_1) | instskip(NEXT) | instid1(VALU_DEP_1)
	v_mov_b32_e32 v97, v85
	v_pk_add_f32 v[82:83], v[82:83], v[96:97] neg_lo:[0,1] neg_hi:[0,1]
.LBB76_293:
	s_or_b32 exec_lo, exec_lo, s0
	v_lshl_add_u32 v84, v92, 3, v88
	s_barrier_signal -1
	s_barrier_wait -1
	ds_store_b64 v84, v[38:39]
	s_wait_dscnt 0x0
	s_barrier_signal -1
	s_barrier_wait -1
	ds_load_b64 v[86:87], v88 offset:112
	v_mov_b32_e32 v84, 14
	s_cmp_lt_i32 s18, 16
	s_cbranch_scc1 .LBB76_296
; %bb.294:
	v_add3_u32 v85, v89, 0, 0x78
	v_mov_b32_e32 v84, 14
	s_mov_b32 s0, 15
.LBB76_295:                             ; =>This Inner Loop Header: Depth=1
	ds_load_b64 v[94:95], v85
	s_wait_dscnt 0x1
	v_cmp_gt_f32_e32 vcc_lo, 0, v86
	v_cndmask_b32_e64 v96, v86, -v86, vcc_lo
	v_cmp_gt_f32_e32 vcc_lo, 0, v87
	v_cndmask_b32_e64 v98, v87, -v87, vcc_lo
	s_wait_dscnt 0x0
	v_cmp_gt_f32_e32 vcc_lo, 0, v94
	v_cndmask_b32_e64 v97, v94, -v94, vcc_lo
	v_cmp_gt_f32_e32 vcc_lo, 0, v95
	v_cndmask_b32_e64 v99, v95, -v95, vcc_lo
	s_delay_alu instid0(VALU_DEP_1) | instskip(NEXT) | instid1(VALU_DEP_1)
	v_pk_add_f32 v[96:97], v[96:97], v[98:99]
	v_cmp_lt_f32_e32 vcc_lo, v96, v97
	v_dual_add_nc_u32 v85, 8, v85 :: v_dual_cndmask_b32 v87, v87, v95, vcc_lo
	v_cndmask_b32_e32 v86, v86, v94, vcc_lo
	v_cndmask_b32_e64 v84, v84, s0, vcc_lo
	s_add_co_i32 s0, s0, 1
	s_delay_alu instid0(SALU_CYCLE_1)
	s_cmp_lg_u32 s18, s0
	s_cbranch_scc1 .LBB76_295
.LBB76_296:
	s_wait_dscnt 0x0
	v_cmp_eq_f32_e32 vcc_lo, 0, v86
	v_cmp_eq_f32_e64 s0, 0, v87
	s_and_b32 s0, vcc_lo, s0
	s_delay_alu instid0(SALU_CYCLE_1) | instskip(NEXT) | instid1(SALU_CYCLE_1)
	s_and_saveexec_b32 s1, s0
	s_xor_b32 s0, exec_lo, s1
; %bb.297:
	v_cmp_ne_u32_e32 vcc_lo, 0, v90
	v_cndmask_b32_e32 v90, 15, v90, vcc_lo
; %bb.298:
	s_and_not1_saveexec_b32 s0, s0
	s_cbranch_execz .LBB76_304
; %bb.299:
	v_cmp_ngt_f32_e64 s1, |v86|, |v87|
	s_and_saveexec_b32 s12, s1
	s_delay_alu instid0(SALU_CYCLE_1)
	s_xor_b32 s1, exec_lo, s12
	s_cbranch_execz .LBB76_301
; %bb.300:
	v_div_scale_f32 v85, null, v87, v87, v86
	v_div_scale_f32 v95, vcc_lo, v86, v87, v86
	s_delay_alu instid0(VALU_DEP_2) | instskip(SKIP_1) | instid1(TRANS32_DEP_1)
	v_rcp_f32_e32 v93, v85
	v_nop
	v_fma_f32 v94, -v85, v93, 1.0
	s_delay_alu instid0(VALU_DEP_1) | instskip(NEXT) | instid1(VALU_DEP_1)
	v_fmac_f32_e32 v93, v94, v93
	v_mul_f32_e32 v94, v95, v93
	s_delay_alu instid0(VALU_DEP_1) | instskip(NEXT) | instid1(VALU_DEP_1)
	v_fma_f32 v96, -v85, v94, v95
	v_fmac_f32_e32 v94, v96, v93
	s_delay_alu instid0(VALU_DEP_1) | instskip(NEXT) | instid1(VALU_DEP_1)
	v_fma_f32 v85, -v85, v94, v95
	v_div_fmas_f32 v85, v85, v93, v94
	s_delay_alu instid0(VALU_DEP_1) | instskip(NEXT) | instid1(VALU_DEP_1)
	v_div_fixup_f32 v85, v85, v87, v86
	v_fmac_f32_e32 v87, v86, v85
	s_delay_alu instid0(VALU_DEP_1) | instskip(SKIP_1) | instid1(VALU_DEP_2)
	v_div_scale_f32 v86, null, v87, v87, 1.0
	v_div_scale_f32 v95, vcc_lo, 1.0, v87, 1.0
	v_rcp_f32_e32 v93, v86
	v_nop
	s_delay_alu instid0(TRANS32_DEP_1) | instskip(NEXT) | instid1(VALU_DEP_1)
	v_fma_f32 v94, -v86, v93, 1.0
	v_fmac_f32_e32 v93, v94, v93
	s_delay_alu instid0(VALU_DEP_1) | instskip(NEXT) | instid1(VALU_DEP_1)
	v_mul_f32_e32 v94, v95, v93
	v_fma_f32 v96, -v86, v94, v95
	s_delay_alu instid0(VALU_DEP_1) | instskip(NEXT) | instid1(VALU_DEP_1)
	v_fmac_f32_e32 v94, v96, v93
	v_fma_f32 v86, -v86, v94, v95
	s_delay_alu instid0(VALU_DEP_1) | instskip(NEXT) | instid1(VALU_DEP_1)
	v_div_fmas_f32 v86, v86, v93, v94
	v_div_fixup_f32 v87, v86, v87, 1.0
	s_delay_alu instid0(VALU_DEP_1)
	v_mul_f32_e32 v86, v85, v87
	v_xor_b32_e32 v87, 0x80000000, v87
.LBB76_301:
	s_and_not1_saveexec_b32 s1, s1
	s_cbranch_execz .LBB76_303
; %bb.302:
	s_delay_alu instid0(VALU_DEP_1) | instskip(SKIP_1) | instid1(VALU_DEP_2)
	v_div_scale_f32 v85, null, v86, v86, v87
	v_div_scale_f32 v95, vcc_lo, v87, v86, v87
	v_rcp_f32_e32 v93, v85
	v_nop
	s_delay_alu instid0(TRANS32_DEP_1) | instskip(NEXT) | instid1(VALU_DEP_1)
	v_fma_f32 v94, -v85, v93, 1.0
	v_fmac_f32_e32 v93, v94, v93
	s_delay_alu instid0(VALU_DEP_1) | instskip(NEXT) | instid1(VALU_DEP_1)
	v_mul_f32_e32 v94, v95, v93
	v_fma_f32 v96, -v85, v94, v95
	s_delay_alu instid0(VALU_DEP_1) | instskip(NEXT) | instid1(VALU_DEP_1)
	v_fmac_f32_e32 v94, v96, v93
	v_fma_f32 v85, -v85, v94, v95
	s_delay_alu instid0(VALU_DEP_1) | instskip(NEXT) | instid1(VALU_DEP_1)
	v_div_fmas_f32 v85, v85, v93, v94
	v_div_fixup_f32 v85, v85, v86, v87
	s_delay_alu instid0(VALU_DEP_1) | instskip(NEXT) | instid1(VALU_DEP_1)
	v_fmac_f32_e32 v86, v87, v85
	v_div_scale_f32 v87, null, v86, v86, 1.0
	s_delay_alu instid0(VALU_DEP_1) | instskip(SKIP_1) | instid1(TRANS32_DEP_1)
	v_rcp_f32_e32 v93, v87
	v_nop
	v_fma_f32 v94, -v87, v93, 1.0
	s_delay_alu instid0(VALU_DEP_1) | instskip(SKIP_1) | instid1(VALU_DEP_1)
	v_fmac_f32_e32 v93, v94, v93
	v_div_scale_f32 v94, vcc_lo, 1.0, v86, 1.0
	v_mul_f32_e32 v95, v94, v93
	s_delay_alu instid0(VALU_DEP_1) | instskip(NEXT) | instid1(VALU_DEP_1)
	v_fma_f32 v96, -v87, v95, v94
	v_fmac_f32_e32 v95, v96, v93
	s_delay_alu instid0(VALU_DEP_1) | instskip(NEXT) | instid1(VALU_DEP_1)
	v_fma_f32 v87, -v87, v95, v94
	v_div_fmas_f32 v87, v87, v93, v95
	s_delay_alu instid0(VALU_DEP_1) | instskip(NEXT) | instid1(VALU_DEP_1)
	v_div_fixup_f32 v86, v87, v86, 1.0
	v_mul_f32_e64 v87, v85, -v86
.LBB76_303:
	s_or_b32 exec_lo, exec_lo, s1
.LBB76_304:
	s_delay_alu instid0(SALU_CYCLE_1) | instskip(NEXT) | instid1(SALU_CYCLE_1)
	s_or_b32 exec_lo, exec_lo, s0
	s_mov_b32 s0, exec_lo
	v_cmpx_ne_u32_e64 v92, v84
	s_xor_b32 s0, exec_lo, s0
	s_cbranch_execz .LBB76_310
; %bb.305:
	s_mov_b32 s1, exec_lo
	v_cmpx_eq_u32_e32 14, v92
	s_cbranch_execz .LBB76_309
; %bb.306:
	v_cmp_ne_u32_e32 vcc_lo, 14, v84
	s_xor_b32 s12, s16, -1
	s_delay_alu instid0(SALU_CYCLE_1) | instskip(NEXT) | instid1(SALU_CYCLE_1)
	s_and_b32 s13, s12, vcc_lo
	s_and_saveexec_b32 s12, s13
	s_cbranch_execz .LBB76_308
; %bb.307:
	v_ashrrev_i32_e32 v85, 31, v84
	s_delay_alu instid0(VALU_DEP_1)
	v_lshl_add_u64 v[92:93], v[84:85], 2, v[4:5]
	s_clause 0x1
	global_load_b32 v85, v[92:93], off
	global_load_b32 v91, v[4:5], off offset:56
	s_wait_loadcnt 0x1
	global_store_b32 v[4:5], v85, off offset:56
	s_wait_loadcnt 0x0
	global_store_b32 v[92:93], v91, off
.LBB76_308:
	s_wait_xcnt 0x0
	s_or_b32 exec_lo, exec_lo, s12
	v_dual_mov_b32 v92, v84 :: v_dual_mov_b32 v91, v84
.LBB76_309:
	s_or_b32 exec_lo, exec_lo, s1
.LBB76_310:
	s_and_not1_saveexec_b32 s0, s0
	s_cbranch_execz .LBB76_312
; %bb.311:
	v_mov_b32_e32 v92, 14
	ds_store_2addr_b64 v88, v[36:37], v[68:69] offset0:15 offset1:16
	ds_store_2addr_b64 v88, v[66:67], v[32:33] offset0:17 offset1:18
	;; [unrolled: 1-line block ×12, first 2 shown]
.LBB76_312:
	s_or_b32 exec_lo, exec_lo, s0
	s_delay_alu instid0(SALU_CYCLE_1)
	s_mov_b32 s0, exec_lo
	s_wait_storecnt_dscnt 0x0
	s_barrier_signal -1
	s_barrier_wait -1
	v_cmpx_lt_i32_e32 14, v92
	s_cbranch_execz .LBB76_314
; %bb.313:
	v_pk_mul_f32 v[94:95], v[86:87], v[38:39] op_sel:[1,1] op_sel_hi:[0,1]
	s_delay_alu instid0(VALU_DEP_1)
	v_pk_fma_f32 v[84:85], v[86:87], v[38:39], v[94:95] op_sel_hi:[1,0,1] neg_lo:[0,0,1] neg_hi:[0,0,1]
	v_pk_fma_f32 v[86:87], v[86:87], v[38:39], v[94:95] op_sel_hi:[1,0,1]
	ds_load_2addr_b64 v[94:97], v88 offset0:15 offset1:16
	v_dual_mov_b32 v38, v84 :: v_dual_mov_b32 v39, v87
	s_wait_dscnt 0x0
	v_pk_mul_f32 v[98:99], v[94:95], v[86:87] op_sel:[0,1]
	s_delay_alu instid0(VALU_DEP_1) | instskip(SKIP_1) | instid1(VALU_DEP_1)
	v_pk_fma_f32 v[100:101], v[94:95], v[84:85], v[98:99] op_sel:[0,0,1] op_sel_hi:[1,1,0] neg_lo:[0,0,1] neg_hi:[0,0,1]
	v_pk_fma_f32 v[94:95], v[94:95], v[84:85], v[98:99] op_sel:[0,0,1] op_sel_hi:[1,0,0]
	v_mov_b32_e32 v101, v95
	v_pk_mul_f32 v[94:95], v[96:97], v[86:87] op_sel:[0,1]
	s_delay_alu instid0(VALU_DEP_1) | instskip(SKIP_1) | instid1(VALU_DEP_1)
	v_pk_fma_f32 v[98:99], v[96:97], v[84:85], v[94:95] op_sel:[0,0,1] op_sel_hi:[1,1,0] neg_lo:[0,0,1] neg_hi:[0,0,1]
	v_pk_fma_f32 v[94:95], v[96:97], v[84:85], v[94:95] op_sel:[0,0,1] op_sel_hi:[1,0,0]
	v_mov_b32_e32 v99, v95
	ds_load_2addr_b64 v[94:97], v88 offset0:17 offset1:18
	v_pk_add_f32 v[36:37], v[36:37], v[100:101] neg_lo:[0,1] neg_hi:[0,1]
	v_pk_add_f32 v[68:69], v[68:69], v[98:99] neg_lo:[0,1] neg_hi:[0,1]
	s_wait_dscnt 0x0
	v_pk_mul_f32 v[98:99], v[94:95], v[86:87] op_sel:[0,1]
	s_delay_alu instid0(VALU_DEP_1) | instskip(SKIP_2) | instid1(VALU_DEP_2)
	v_pk_fma_f32 v[100:101], v[94:95], v[84:85], v[98:99] op_sel:[0,0,1] op_sel_hi:[1,1,0] neg_lo:[0,0,1] neg_hi:[0,0,1]
	v_pk_fma_f32 v[94:95], v[94:95], v[84:85], v[98:99] op_sel:[0,0,1] op_sel_hi:[1,0,0]
	v_dual_mul_f32 v98, v97, v87 :: v_dual_mov_b32 v94, v97
	v_dual_mov_b32 v101, v95 :: v_dual_mov_b32 v95, v96
	s_delay_alu instid0(VALU_DEP_2) | instskip(SKIP_1) | instid1(VALU_DEP_3)
	v_pk_fma_f32 v[98:99], v[96:97], v[38:39], v[98:99] op_sel_hi:[1,1,0] neg_lo:[0,0,1] neg_hi:[0,0,1]
	v_mul_f32_e32 v96, v97, v84
	v_pk_add_f32 v[66:67], v[66:67], v[100:101] neg_lo:[0,1] neg_hi:[0,1]
	s_delay_alu instid0(VALU_DEP_2) | instskip(NEXT) | instid1(VALU_DEP_1)
	v_pk_fma_f32 v[94:95], v[94:95], v[38:39], v[96:97] op_sel_hi:[1,1,0]
	v_mov_b32_e32 v99, v95
	ds_load_2addr_b64 v[94:97], v88 offset0:19 offset1:20
	v_pk_add_f32 v[32:33], v[32:33], v[98:99] neg_lo:[0,1] neg_hi:[0,1]
	s_wait_dscnt 0x0
	v_pk_mul_f32 v[98:99], v[94:95], v[86:87] op_sel:[0,1]
	s_delay_alu instid0(VALU_DEP_1) | instskip(SKIP_1) | instid1(VALU_DEP_1)
	v_pk_fma_f32 v[100:101], v[94:95], v[84:85], v[98:99] op_sel:[0,0,1] op_sel_hi:[1,1,0] neg_lo:[0,0,1] neg_hi:[0,0,1]
	v_pk_fma_f32 v[94:95], v[94:95], v[84:85], v[98:99] op_sel:[0,0,1] op_sel_hi:[1,0,0]
	v_mov_b32_e32 v101, v95
	v_pk_mul_f32 v[94:95], v[96:97], v[86:87] op_sel:[0,1]
	s_delay_alu instid0(VALU_DEP_1) | instskip(SKIP_1) | instid1(VALU_DEP_1)
	v_pk_fma_f32 v[98:99], v[96:97], v[84:85], v[94:95] op_sel:[0,0,1] op_sel_hi:[1,1,0] neg_lo:[0,0,1] neg_hi:[0,0,1]
	v_pk_fma_f32 v[94:95], v[96:97], v[84:85], v[94:95] op_sel:[0,0,1] op_sel_hi:[1,0,0]
	v_mov_b32_e32 v99, v95
	ds_load_2addr_b64 v[94:97], v88 offset0:21 offset1:22
	v_pk_add_f32 v[30:31], v[30:31], v[100:101] neg_lo:[0,1] neg_hi:[0,1]
	v_pk_add_f32 v[64:65], v[64:65], v[98:99] neg_lo:[0,1] neg_hi:[0,1]
	s_wait_dscnt 0x0
	v_pk_mul_f32 v[98:99], v[94:95], v[86:87] op_sel:[0,1]
	s_delay_alu instid0(VALU_DEP_1) | instskip(SKIP_1) | instid1(VALU_DEP_1)
	v_pk_fma_f32 v[100:101], v[94:95], v[84:85], v[98:99] op_sel:[0,0,1] op_sel_hi:[1,1,0] neg_lo:[0,0,1] neg_hi:[0,0,1]
	v_pk_fma_f32 v[94:95], v[94:95], v[84:85], v[98:99] op_sel:[0,0,1] op_sel_hi:[1,0,0]
	v_mov_b32_e32 v101, v95
	v_pk_mul_f32 v[94:95], v[96:97], v[86:87] op_sel:[0,1]
	s_delay_alu instid0(VALU_DEP_1) | instskip(SKIP_1) | instid1(VALU_DEP_1)
	v_pk_fma_f32 v[98:99], v[96:97], v[84:85], v[94:95] op_sel:[0,0,1] op_sel_hi:[1,1,0] neg_lo:[0,0,1] neg_hi:[0,0,1]
	v_pk_fma_f32 v[94:95], v[96:97], v[84:85], v[94:95] op_sel:[0,0,1] op_sel_hi:[1,0,0]
	v_mov_b32_e32 v99, v95
	ds_load_2addr_b64 v[94:97], v88 offset0:23 offset1:24
	v_pk_add_f32 v[62:63], v[62:63], v[100:101] neg_lo:[0,1] neg_hi:[0,1]
	v_pk_add_f32 v[28:29], v[28:29], v[98:99] neg_lo:[0,1] neg_hi:[0,1]
	s_wait_dscnt 0x0
	v_dual_mul_f32 v98, v95, v87 :: v_dual_mul_f32 v100, v95, v84
	s_delay_alu instid0(VALU_DEP_1) | instskip(NEXT) | instid1(VALU_DEP_2)
	v_pk_fma_f32 v[98:99], v[94:95], v[38:39], v[98:99] op_sel_hi:[1,1,0] neg_lo:[0,0,1] neg_hi:[0,0,1]
	v_pk_fma_f32 v[94:95], v[94:95], v[38:39], v[100:101] op_sel:[1,0,0] op_sel_hi:[0,1,0]
	s_delay_alu instid0(VALU_DEP_1) | instskip(SKIP_1) | instid1(VALU_DEP_2)
	v_mov_b32_e32 v99, v95
	v_pk_mul_f32 v[94:95], v[96:97], v[86:87] op_sel:[0,1]
	v_pk_add_f32 v[26:27], v[26:27], v[98:99] neg_lo:[0,1] neg_hi:[0,1]
	s_delay_alu instid0(VALU_DEP_2) | instskip(SKIP_1) | instid1(VALU_DEP_1)
	v_pk_fma_f32 v[98:99], v[96:97], v[84:85], v[94:95] op_sel:[0,0,1] op_sel_hi:[1,1,0] neg_lo:[0,0,1] neg_hi:[0,0,1]
	v_pk_fma_f32 v[94:95], v[96:97], v[84:85], v[94:95] op_sel:[0,0,1] op_sel_hi:[1,0,0]
	v_mov_b32_e32 v99, v95
	ds_load_2addr_b64 v[94:97], v88 offset0:25 offset1:26
	v_pk_add_f32 v[60:61], v[60:61], v[98:99] neg_lo:[0,1] neg_hi:[0,1]
	s_wait_dscnt 0x0
	v_pk_mul_f32 v[98:99], v[94:95], v[86:87] op_sel:[0,1]
	s_delay_alu instid0(VALU_DEP_1) | instskip(SKIP_1) | instid1(VALU_DEP_1)
	v_pk_fma_f32 v[100:101], v[94:95], v[84:85], v[98:99] op_sel:[0,0,1] op_sel_hi:[1,1,0] neg_lo:[0,0,1] neg_hi:[0,0,1]
	v_pk_fma_f32 v[94:95], v[94:95], v[84:85], v[98:99] op_sel:[0,0,1] op_sel_hi:[1,0,0]
	v_mov_b32_e32 v101, v95
	v_pk_mul_f32 v[94:95], v[96:97], v[86:87] op_sel:[0,1]
	s_delay_alu instid0(VALU_DEP_2) | instskip(NEXT) | instid1(VALU_DEP_2)
	v_pk_add_f32 v[58:59], v[58:59], v[100:101] neg_lo:[0,1] neg_hi:[0,1]
	v_pk_fma_f32 v[98:99], v[96:97], v[84:85], v[94:95] op_sel:[0,0,1] op_sel_hi:[1,1,0] neg_lo:[0,0,1] neg_hi:[0,0,1]
	v_pk_fma_f32 v[94:95], v[96:97], v[84:85], v[94:95] op_sel:[0,0,1] op_sel_hi:[1,0,0]
	s_delay_alu instid0(VALU_DEP_1) | instskip(SKIP_4) | instid1(VALU_DEP_1)
	v_mov_b32_e32 v99, v95
	ds_load_2addr_b64 v[94:97], v88 offset0:27 offset1:28
	v_pk_add_f32 v[24:25], v[24:25], v[98:99] neg_lo:[0,1] neg_hi:[0,1]
	s_wait_dscnt 0x0
	v_pk_mul_f32 v[98:99], v[94:95], v[86:87] op_sel:[0,1]
	v_pk_fma_f32 v[100:101], v[94:95], v[84:85], v[98:99] op_sel:[0,0,1] op_sel_hi:[1,1,0] neg_lo:[0,0,1] neg_hi:[0,0,1]
	v_pk_fma_f32 v[94:95], v[94:95], v[84:85], v[98:99] op_sel:[0,0,1] op_sel_hi:[1,0,0]
	v_dual_mul_f32 v98, v97, v87 :: v_dual_mov_b32 v94, v97
	s_delay_alu instid0(VALU_DEP_2) | instskip(NEXT) | instid1(VALU_DEP_2)
	v_dual_mov_b32 v101, v95 :: v_dual_mov_b32 v95, v96
	v_pk_fma_f32 v[98:99], v[96:97], v[38:39], v[98:99] op_sel_hi:[1,1,0] neg_lo:[0,0,1] neg_hi:[0,0,1]
	v_mul_f32_e32 v96, v97, v84
	s_delay_alu instid0(VALU_DEP_3) | instskip(NEXT) | instid1(VALU_DEP_2)
	v_pk_add_f32 v[22:23], v[22:23], v[100:101] neg_lo:[0,1] neg_hi:[0,1]
	v_pk_fma_f32 v[94:95], v[94:95], v[38:39], v[96:97] op_sel_hi:[1,1,0]
	s_delay_alu instid0(VALU_DEP_1) | instskip(SKIP_4) | instid1(VALU_DEP_1)
	v_mov_b32_e32 v99, v95
	ds_load_2addr_b64 v[94:97], v88 offset0:29 offset1:30
	v_pk_add_f32 v[48:49], v[48:49], v[98:99] neg_lo:[0,1] neg_hi:[0,1]
	s_wait_dscnt 0x0
	v_pk_mul_f32 v[98:99], v[94:95], v[86:87] op_sel:[0,1]
	v_pk_fma_f32 v[100:101], v[94:95], v[84:85], v[98:99] op_sel:[0,0,1] op_sel_hi:[1,1,0] neg_lo:[0,0,1] neg_hi:[0,0,1]
	v_pk_fma_f32 v[94:95], v[94:95], v[84:85], v[98:99] op_sel:[0,0,1] op_sel_hi:[1,0,0]
	s_delay_alu instid0(VALU_DEP_1) | instskip(SKIP_1) | instid1(VALU_DEP_1)
	v_mov_b32_e32 v101, v95
	v_pk_mul_f32 v[94:95], v[96:97], v[86:87] op_sel:[0,1]
	v_pk_fma_f32 v[98:99], v[96:97], v[84:85], v[94:95] op_sel:[0,0,1] op_sel_hi:[1,1,0] neg_lo:[0,0,1] neg_hi:[0,0,1]
	v_pk_fma_f32 v[94:95], v[96:97], v[84:85], v[94:95] op_sel:[0,0,1] op_sel_hi:[1,0,0]
	s_delay_alu instid0(VALU_DEP_1)
	v_mov_b32_e32 v99, v95
	ds_load_2addr_b64 v[94:97], v88 offset0:31 offset1:32
	v_pk_add_f32 v[46:47], v[46:47], v[100:101] neg_lo:[0,1] neg_hi:[0,1]
	v_pk_add_f32 v[10:11], v[10:11], v[98:99] neg_lo:[0,1] neg_hi:[0,1]
	s_wait_dscnt 0x0
	v_pk_mul_f32 v[98:99], v[94:95], v[86:87] op_sel:[0,1]
	s_delay_alu instid0(VALU_DEP_1) | instskip(SKIP_1) | instid1(VALU_DEP_1)
	v_pk_fma_f32 v[100:101], v[94:95], v[84:85], v[98:99] op_sel:[0,0,1] op_sel_hi:[1,1,0] neg_lo:[0,0,1] neg_hi:[0,0,1]
	v_pk_fma_f32 v[94:95], v[94:95], v[84:85], v[98:99] op_sel:[0,0,1] op_sel_hi:[1,0,0]
	v_mov_b32_e32 v101, v95
	v_pk_mul_f32 v[94:95], v[96:97], v[86:87] op_sel:[0,1]
	s_delay_alu instid0(VALU_DEP_1) | instskip(SKIP_1) | instid1(VALU_DEP_1)
	v_pk_fma_f32 v[98:99], v[96:97], v[84:85], v[94:95] op_sel:[0,0,1] op_sel_hi:[1,1,0] neg_lo:[0,0,1] neg_hi:[0,0,1]
	v_pk_fma_f32 v[94:95], v[96:97], v[84:85], v[94:95] op_sel:[0,0,1] op_sel_hi:[1,0,0]
	v_mov_b32_e32 v99, v95
	ds_load_2addr_b64 v[94:97], v88 offset0:33 offset1:34
	v_pk_add_f32 v[6:7], v[6:7], v[100:101] neg_lo:[0,1] neg_hi:[0,1]
	v_pk_add_f32 v[44:45], v[44:45], v[98:99] neg_lo:[0,1] neg_hi:[0,1]
	s_wait_dscnt 0x0
	v_dual_mul_f32 v98, v95, v87 :: v_dual_mul_f32 v100, v95, v84
	s_delay_alu instid0(VALU_DEP_1) | instskip(NEXT) | instid1(VALU_DEP_2)
	v_pk_fma_f32 v[98:99], v[94:95], v[38:39], v[98:99] op_sel_hi:[1,1,0] neg_lo:[0,0,1] neg_hi:[0,0,1]
	v_pk_fma_f32 v[94:95], v[94:95], v[38:39], v[100:101] op_sel:[1,0,0] op_sel_hi:[0,1,0]
	s_delay_alu instid0(VALU_DEP_1) | instskip(SKIP_1) | instid1(VALU_DEP_2)
	v_mov_b32_e32 v99, v95
	v_pk_mul_f32 v[94:95], v[96:97], v[86:87] op_sel:[0,1]
	v_pk_add_f32 v[42:43], v[42:43], v[98:99] neg_lo:[0,1] neg_hi:[0,1]
	s_delay_alu instid0(VALU_DEP_2) | instskip(SKIP_1) | instid1(VALU_DEP_1)
	v_pk_fma_f32 v[98:99], v[96:97], v[84:85], v[94:95] op_sel:[0,0,1] op_sel_hi:[1,1,0] neg_lo:[0,0,1] neg_hi:[0,0,1]
	v_pk_fma_f32 v[94:95], v[96:97], v[84:85], v[94:95] op_sel:[0,0,1] op_sel_hi:[1,0,0]
	v_mov_b32_e32 v99, v95
	ds_load_2addr_b64 v[94:97], v88 offset0:35 offset1:36
	v_pk_add_f32 v[8:9], v[8:9], v[98:99] neg_lo:[0,1] neg_hi:[0,1]
	s_wait_dscnt 0x0
	v_pk_mul_f32 v[98:99], v[94:95], v[86:87] op_sel:[0,1]
	s_delay_alu instid0(VALU_DEP_1) | instskip(SKIP_1) | instid1(VALU_DEP_1)
	v_pk_fma_f32 v[100:101], v[94:95], v[84:85], v[98:99] op_sel:[0,0,1] op_sel_hi:[1,1,0] neg_lo:[0,0,1] neg_hi:[0,0,1]
	v_pk_fma_f32 v[94:95], v[94:95], v[84:85], v[98:99] op_sel:[0,0,1] op_sel_hi:[1,0,0]
	v_mov_b32_e32 v101, v95
	v_pk_mul_f32 v[94:95], v[96:97], v[86:87] op_sel:[0,1]
	s_delay_alu instid0(VALU_DEP_2) | instskip(NEXT) | instid1(VALU_DEP_2)
	v_pk_add_f32 v[40:41], v[40:41], v[100:101] neg_lo:[0,1] neg_hi:[0,1]
	v_pk_fma_f32 v[98:99], v[96:97], v[84:85], v[94:95] op_sel:[0,0,1] op_sel_hi:[1,1,0] neg_lo:[0,0,1] neg_hi:[0,0,1]
	v_pk_fma_f32 v[94:95], v[96:97], v[84:85], v[94:95] op_sel:[0,0,1] op_sel_hi:[1,0,0]
	s_delay_alu instid0(VALU_DEP_1)
	v_mov_b32_e32 v99, v95
	ds_load_2addr_b64 v[94:97], v88 offset0:37 offset1:38
	v_pk_add_f32 v[34:35], v[34:35], v[98:99] neg_lo:[0,1] neg_hi:[0,1]
	s_wait_dscnt 0x0
	v_pk_mul_f32 v[98:99], v[94:95], v[86:87] op_sel:[0,1]
	v_mul_f32_e32 v86, v97, v87
	s_delay_alu instid0(VALU_DEP_2) | instskip(SKIP_2) | instid1(VALU_DEP_4)
	v_pk_fma_f32 v[100:101], v[94:95], v[84:85], v[98:99] op_sel:[0,0,1] op_sel_hi:[1,1,0] neg_lo:[0,0,1] neg_hi:[0,0,1]
	v_pk_fma_f32 v[94:95], v[94:95], v[84:85], v[98:99] op_sel:[0,0,1] op_sel_hi:[1,0,0]
	v_dual_mov_b32 v94, v97 :: v_dual_mul_f32 v84, v97, v84
	v_pk_fma_f32 v[86:87], v[96:97], v[38:39], v[86:87] op_sel_hi:[1,1,0] neg_lo:[0,0,1] neg_hi:[0,0,1]
	s_delay_alu instid0(VALU_DEP_3) | instskip(NEXT) | instid1(VALU_DEP_1)
	v_dual_mov_b32 v101, v95 :: v_dual_mov_b32 v95, v96
	v_pk_add_f32 v[20:21], v[20:21], v[100:101] neg_lo:[0,1] neg_hi:[0,1]
	s_delay_alu instid0(VALU_DEP_2) | instskip(NEXT) | instid1(VALU_DEP_1)
	v_pk_fma_f32 v[84:85], v[94:95], v[38:39], v[84:85] op_sel_hi:[1,1,0]
	v_mov_b32_e32 v87, v85
	s_delay_alu instid0(VALU_DEP_1)
	v_pk_add_f32 v[82:83], v[82:83], v[86:87] neg_lo:[0,1] neg_hi:[0,1]
.LBB76_314:
	s_or_b32 exec_lo, exec_lo, s0
	v_lshl_add_u32 v84, v92, 3, v88
	s_barrier_signal -1
	s_barrier_wait -1
	ds_store_b64 v84, v[36:37]
	s_wait_dscnt 0x0
	s_barrier_signal -1
	s_barrier_wait -1
	ds_load_b64 v[86:87], v88 offset:120
	v_mov_b32_e32 v84, 15
	s_cmp_lt_i32 s18, 17
	s_cbranch_scc1 .LBB76_317
; %bb.315:
	v_add3_u32 v85, v89, 0, 0x80
	v_mov_b32_e32 v84, 15
	s_mov_b32 s0, 16
.LBB76_316:                             ; =>This Inner Loop Header: Depth=1
	ds_load_b64 v[94:95], v85
	s_wait_dscnt 0x1
	v_cmp_gt_f32_e32 vcc_lo, 0, v86
	v_cndmask_b32_e64 v96, v86, -v86, vcc_lo
	v_cmp_gt_f32_e32 vcc_lo, 0, v87
	v_cndmask_b32_e64 v98, v87, -v87, vcc_lo
	s_wait_dscnt 0x0
	v_cmp_gt_f32_e32 vcc_lo, 0, v94
	v_cndmask_b32_e64 v97, v94, -v94, vcc_lo
	v_cmp_gt_f32_e32 vcc_lo, 0, v95
	v_cndmask_b32_e64 v99, v95, -v95, vcc_lo
	s_delay_alu instid0(VALU_DEP_1) | instskip(NEXT) | instid1(VALU_DEP_1)
	v_pk_add_f32 v[96:97], v[96:97], v[98:99]
	v_cmp_lt_f32_e32 vcc_lo, v96, v97
	v_dual_add_nc_u32 v85, 8, v85 :: v_dual_cndmask_b32 v87, v87, v95, vcc_lo
	v_cndmask_b32_e32 v86, v86, v94, vcc_lo
	v_cndmask_b32_e64 v84, v84, s0, vcc_lo
	s_add_co_i32 s0, s0, 1
	s_delay_alu instid0(SALU_CYCLE_1)
	s_cmp_lg_u32 s18, s0
	s_cbranch_scc1 .LBB76_316
.LBB76_317:
	s_wait_dscnt 0x0
	v_cmp_eq_f32_e32 vcc_lo, 0, v86
	v_cmp_eq_f32_e64 s0, 0, v87
	s_and_b32 s0, vcc_lo, s0
	s_delay_alu instid0(SALU_CYCLE_1) | instskip(NEXT) | instid1(SALU_CYCLE_1)
	s_and_saveexec_b32 s1, s0
	s_xor_b32 s0, exec_lo, s1
; %bb.318:
	v_cmp_ne_u32_e32 vcc_lo, 0, v90
	v_cndmask_b32_e32 v90, 16, v90, vcc_lo
; %bb.319:
	s_and_not1_saveexec_b32 s0, s0
	s_cbranch_execz .LBB76_325
; %bb.320:
	v_cmp_ngt_f32_e64 s1, |v86|, |v87|
	s_and_saveexec_b32 s12, s1
	s_delay_alu instid0(SALU_CYCLE_1)
	s_xor_b32 s1, exec_lo, s12
	s_cbranch_execz .LBB76_322
; %bb.321:
	v_div_scale_f32 v85, null, v87, v87, v86
	v_div_scale_f32 v95, vcc_lo, v86, v87, v86
	s_delay_alu instid0(VALU_DEP_2) | instskip(SKIP_1) | instid1(TRANS32_DEP_1)
	v_rcp_f32_e32 v93, v85
	v_nop
	v_fma_f32 v94, -v85, v93, 1.0
	s_delay_alu instid0(VALU_DEP_1) | instskip(NEXT) | instid1(VALU_DEP_1)
	v_fmac_f32_e32 v93, v94, v93
	v_mul_f32_e32 v94, v95, v93
	s_delay_alu instid0(VALU_DEP_1) | instskip(NEXT) | instid1(VALU_DEP_1)
	v_fma_f32 v96, -v85, v94, v95
	v_fmac_f32_e32 v94, v96, v93
	s_delay_alu instid0(VALU_DEP_1) | instskip(NEXT) | instid1(VALU_DEP_1)
	v_fma_f32 v85, -v85, v94, v95
	v_div_fmas_f32 v85, v85, v93, v94
	s_delay_alu instid0(VALU_DEP_1) | instskip(NEXT) | instid1(VALU_DEP_1)
	v_div_fixup_f32 v85, v85, v87, v86
	v_fmac_f32_e32 v87, v86, v85
	s_delay_alu instid0(VALU_DEP_1) | instskip(SKIP_1) | instid1(VALU_DEP_2)
	v_div_scale_f32 v86, null, v87, v87, 1.0
	v_div_scale_f32 v95, vcc_lo, 1.0, v87, 1.0
	v_rcp_f32_e32 v93, v86
	v_nop
	s_delay_alu instid0(TRANS32_DEP_1) | instskip(NEXT) | instid1(VALU_DEP_1)
	v_fma_f32 v94, -v86, v93, 1.0
	v_fmac_f32_e32 v93, v94, v93
	s_delay_alu instid0(VALU_DEP_1) | instskip(NEXT) | instid1(VALU_DEP_1)
	v_mul_f32_e32 v94, v95, v93
	v_fma_f32 v96, -v86, v94, v95
	s_delay_alu instid0(VALU_DEP_1) | instskip(NEXT) | instid1(VALU_DEP_1)
	v_fmac_f32_e32 v94, v96, v93
	v_fma_f32 v86, -v86, v94, v95
	s_delay_alu instid0(VALU_DEP_1) | instskip(NEXT) | instid1(VALU_DEP_1)
	v_div_fmas_f32 v86, v86, v93, v94
	v_div_fixup_f32 v87, v86, v87, 1.0
	s_delay_alu instid0(VALU_DEP_1)
	v_mul_f32_e32 v86, v85, v87
	v_xor_b32_e32 v87, 0x80000000, v87
.LBB76_322:
	s_and_not1_saveexec_b32 s1, s1
	s_cbranch_execz .LBB76_324
; %bb.323:
	s_delay_alu instid0(VALU_DEP_1) | instskip(SKIP_1) | instid1(VALU_DEP_2)
	v_div_scale_f32 v85, null, v86, v86, v87
	v_div_scale_f32 v95, vcc_lo, v87, v86, v87
	v_rcp_f32_e32 v93, v85
	v_nop
	s_delay_alu instid0(TRANS32_DEP_1) | instskip(NEXT) | instid1(VALU_DEP_1)
	v_fma_f32 v94, -v85, v93, 1.0
	v_fmac_f32_e32 v93, v94, v93
	s_delay_alu instid0(VALU_DEP_1) | instskip(NEXT) | instid1(VALU_DEP_1)
	v_mul_f32_e32 v94, v95, v93
	v_fma_f32 v96, -v85, v94, v95
	s_delay_alu instid0(VALU_DEP_1) | instskip(NEXT) | instid1(VALU_DEP_1)
	v_fmac_f32_e32 v94, v96, v93
	v_fma_f32 v85, -v85, v94, v95
	s_delay_alu instid0(VALU_DEP_1) | instskip(NEXT) | instid1(VALU_DEP_1)
	v_div_fmas_f32 v85, v85, v93, v94
	v_div_fixup_f32 v85, v85, v86, v87
	s_delay_alu instid0(VALU_DEP_1) | instskip(NEXT) | instid1(VALU_DEP_1)
	v_fmac_f32_e32 v86, v87, v85
	v_div_scale_f32 v87, null, v86, v86, 1.0
	s_delay_alu instid0(VALU_DEP_1) | instskip(SKIP_1) | instid1(TRANS32_DEP_1)
	v_rcp_f32_e32 v93, v87
	v_nop
	v_fma_f32 v94, -v87, v93, 1.0
	s_delay_alu instid0(VALU_DEP_1) | instskip(SKIP_1) | instid1(VALU_DEP_1)
	v_fmac_f32_e32 v93, v94, v93
	v_div_scale_f32 v94, vcc_lo, 1.0, v86, 1.0
	v_mul_f32_e32 v95, v94, v93
	s_delay_alu instid0(VALU_DEP_1) | instskip(NEXT) | instid1(VALU_DEP_1)
	v_fma_f32 v96, -v87, v95, v94
	v_fmac_f32_e32 v95, v96, v93
	s_delay_alu instid0(VALU_DEP_1) | instskip(NEXT) | instid1(VALU_DEP_1)
	v_fma_f32 v87, -v87, v95, v94
	v_div_fmas_f32 v87, v87, v93, v95
	s_delay_alu instid0(VALU_DEP_1) | instskip(NEXT) | instid1(VALU_DEP_1)
	v_div_fixup_f32 v86, v87, v86, 1.0
	v_mul_f32_e64 v87, v85, -v86
.LBB76_324:
	s_or_b32 exec_lo, exec_lo, s1
.LBB76_325:
	s_delay_alu instid0(SALU_CYCLE_1) | instskip(NEXT) | instid1(SALU_CYCLE_1)
	s_or_b32 exec_lo, exec_lo, s0
	s_mov_b32 s0, exec_lo
	v_cmpx_ne_u32_e64 v92, v84
	s_xor_b32 s0, exec_lo, s0
	s_cbranch_execz .LBB76_331
; %bb.326:
	s_mov_b32 s1, exec_lo
	v_cmpx_eq_u32_e32 15, v92
	s_cbranch_execz .LBB76_330
; %bb.327:
	v_cmp_ne_u32_e32 vcc_lo, 15, v84
	s_xor_b32 s12, s16, -1
	s_delay_alu instid0(SALU_CYCLE_1) | instskip(NEXT) | instid1(SALU_CYCLE_1)
	s_and_b32 s13, s12, vcc_lo
	s_and_saveexec_b32 s12, s13
	s_cbranch_execz .LBB76_329
; %bb.328:
	v_ashrrev_i32_e32 v85, 31, v84
	s_delay_alu instid0(VALU_DEP_1)
	v_lshl_add_u64 v[92:93], v[84:85], 2, v[4:5]
	s_clause 0x1
	global_load_b32 v85, v[92:93], off
	global_load_b32 v91, v[4:5], off offset:60
	s_wait_loadcnt 0x1
	global_store_b32 v[4:5], v85, off offset:60
	s_wait_loadcnt 0x0
	global_store_b32 v[92:93], v91, off
.LBB76_329:
	s_wait_xcnt 0x0
	s_or_b32 exec_lo, exec_lo, s12
	v_dual_mov_b32 v92, v84 :: v_dual_mov_b32 v91, v84
.LBB76_330:
	s_or_b32 exec_lo, exec_lo, s1
.LBB76_331:
	s_and_not1_saveexec_b32 s0, s0
	s_cbranch_execz .LBB76_333
; %bb.332:
	v_dual_mov_b32 v84, v68 :: v_dual_mov_b32 v85, v69
	v_dual_mov_b32 v92, v66 :: v_dual_mov_b32 v93, v67
	ds_store_2addr_b64 v88, v[84:85], v[92:93] offset0:16 offset1:17
	v_dual_mov_b32 v84, v32 :: v_dual_mov_b32 v85, v33
	v_dual_mov_b32 v92, v30 :: v_dual_mov_b32 v93, v31
	ds_store_2addr_b64 v88, v[84:85], v[92:93] offset0:18 offset1:19
	;; [unrolled: 3-line block ×11, first 2 shown]
	ds_store_b64 v88, v[82:83] offset:304
	v_mov_b32_e32 v92, 15
.LBB76_333:
	s_or_b32 exec_lo, exec_lo, s0
	s_delay_alu instid0(SALU_CYCLE_1)
	s_mov_b32 s0, exec_lo
	s_wait_storecnt_dscnt 0x0
	s_barrier_signal -1
	s_barrier_wait -1
	v_cmpx_lt_i32_e32 15, v92
	s_cbranch_execz .LBB76_335
; %bb.334:
	v_pk_mul_f32 v[94:95], v[86:87], v[36:37] op_sel:[1,1] op_sel_hi:[0,1]
	s_delay_alu instid0(VALU_DEP_1)
	v_pk_fma_f32 v[84:85], v[86:87], v[36:37], v[94:95] op_sel_hi:[1,0,1] neg_lo:[0,0,1] neg_hi:[0,0,1]
	v_pk_fma_f32 v[86:87], v[86:87], v[36:37], v[94:95] op_sel_hi:[1,0,1]
	ds_load_2addr_b64 v[94:97], v88 offset0:16 offset1:17
	v_dual_mov_b32 v36, v84 :: v_dual_mov_b32 v37, v87
	s_wait_dscnt 0x0
	v_pk_mul_f32 v[98:99], v[94:95], v[86:87] op_sel:[0,1]
	s_delay_alu instid0(VALU_DEP_1) | instskip(SKIP_1) | instid1(VALU_DEP_1)
	v_pk_fma_f32 v[100:101], v[94:95], v[84:85], v[98:99] op_sel:[0,0,1] op_sel_hi:[1,1,0] neg_lo:[0,0,1] neg_hi:[0,0,1]
	v_pk_fma_f32 v[94:95], v[94:95], v[84:85], v[98:99] op_sel:[0,0,1] op_sel_hi:[1,0,0]
	v_mov_b32_e32 v101, v95
	v_pk_mul_f32 v[94:95], v[96:97], v[86:87] op_sel:[0,1]
	s_delay_alu instid0(VALU_DEP_1) | instskip(SKIP_1) | instid1(VALU_DEP_1)
	v_pk_fma_f32 v[98:99], v[96:97], v[84:85], v[94:95] op_sel:[0,0,1] op_sel_hi:[1,1,0] neg_lo:[0,0,1] neg_hi:[0,0,1]
	v_pk_fma_f32 v[94:95], v[96:97], v[84:85], v[94:95] op_sel:[0,0,1] op_sel_hi:[1,0,0]
	v_mov_b32_e32 v99, v95
	ds_load_2addr_b64 v[94:97], v88 offset0:18 offset1:19
	v_pk_add_f32 v[68:69], v[68:69], v[100:101] neg_lo:[0,1] neg_hi:[0,1]
	v_pk_add_f32 v[66:67], v[66:67], v[98:99] neg_lo:[0,1] neg_hi:[0,1]
	s_wait_dscnt 0x0
	v_pk_mul_f32 v[98:99], v[94:95], v[86:87] op_sel:[0,1]
	s_delay_alu instid0(VALU_DEP_1) | instskip(SKIP_2) | instid1(VALU_DEP_2)
	v_pk_fma_f32 v[100:101], v[94:95], v[84:85], v[98:99] op_sel:[0,0,1] op_sel_hi:[1,1,0] neg_lo:[0,0,1] neg_hi:[0,0,1]
	v_pk_fma_f32 v[94:95], v[94:95], v[84:85], v[98:99] op_sel:[0,0,1] op_sel_hi:[1,0,0]
	v_dual_mul_f32 v98, v97, v87 :: v_dual_mov_b32 v94, v97
	v_dual_mov_b32 v101, v95 :: v_dual_mov_b32 v95, v96
	s_delay_alu instid0(VALU_DEP_2) | instskip(SKIP_1) | instid1(VALU_DEP_3)
	v_pk_fma_f32 v[98:99], v[96:97], v[36:37], v[98:99] op_sel_hi:[1,1,0] neg_lo:[0,0,1] neg_hi:[0,0,1]
	v_mul_f32_e32 v96, v97, v84
	v_pk_add_f32 v[32:33], v[32:33], v[100:101] neg_lo:[0,1] neg_hi:[0,1]
	s_delay_alu instid0(VALU_DEP_2) | instskip(NEXT) | instid1(VALU_DEP_1)
	v_pk_fma_f32 v[94:95], v[94:95], v[36:37], v[96:97] op_sel_hi:[1,1,0]
	v_mov_b32_e32 v99, v95
	ds_load_2addr_b64 v[94:97], v88 offset0:20 offset1:21
	v_pk_add_f32 v[30:31], v[30:31], v[98:99] neg_lo:[0,1] neg_hi:[0,1]
	s_wait_dscnt 0x0
	v_pk_mul_f32 v[98:99], v[94:95], v[86:87] op_sel:[0,1]
	s_delay_alu instid0(VALU_DEP_1) | instskip(SKIP_1) | instid1(VALU_DEP_1)
	v_pk_fma_f32 v[100:101], v[94:95], v[84:85], v[98:99] op_sel:[0,0,1] op_sel_hi:[1,1,0] neg_lo:[0,0,1] neg_hi:[0,0,1]
	v_pk_fma_f32 v[94:95], v[94:95], v[84:85], v[98:99] op_sel:[0,0,1] op_sel_hi:[1,0,0]
	v_mov_b32_e32 v101, v95
	v_pk_mul_f32 v[94:95], v[96:97], v[86:87] op_sel:[0,1]
	s_delay_alu instid0(VALU_DEP_1) | instskip(SKIP_1) | instid1(VALU_DEP_1)
	v_pk_fma_f32 v[98:99], v[96:97], v[84:85], v[94:95] op_sel:[0,0,1] op_sel_hi:[1,1,0] neg_lo:[0,0,1] neg_hi:[0,0,1]
	v_pk_fma_f32 v[94:95], v[96:97], v[84:85], v[94:95] op_sel:[0,0,1] op_sel_hi:[1,0,0]
	v_mov_b32_e32 v99, v95
	ds_load_2addr_b64 v[94:97], v88 offset0:22 offset1:23
	v_pk_add_f32 v[64:65], v[64:65], v[100:101] neg_lo:[0,1] neg_hi:[0,1]
	v_pk_add_f32 v[62:63], v[62:63], v[98:99] neg_lo:[0,1] neg_hi:[0,1]
	s_wait_dscnt 0x0
	v_pk_mul_f32 v[98:99], v[94:95], v[86:87] op_sel:[0,1]
	s_delay_alu instid0(VALU_DEP_1) | instskip(SKIP_1) | instid1(VALU_DEP_1)
	v_pk_fma_f32 v[100:101], v[94:95], v[84:85], v[98:99] op_sel:[0,0,1] op_sel_hi:[1,1,0] neg_lo:[0,0,1] neg_hi:[0,0,1]
	v_pk_fma_f32 v[94:95], v[94:95], v[84:85], v[98:99] op_sel:[0,0,1] op_sel_hi:[1,0,0]
	v_mov_b32_e32 v101, v95
	v_pk_mul_f32 v[94:95], v[96:97], v[86:87] op_sel:[0,1]
	s_delay_alu instid0(VALU_DEP_1) | instskip(SKIP_1) | instid1(VALU_DEP_1)
	v_pk_fma_f32 v[98:99], v[96:97], v[84:85], v[94:95] op_sel:[0,0,1] op_sel_hi:[1,1,0] neg_lo:[0,0,1] neg_hi:[0,0,1]
	v_pk_fma_f32 v[94:95], v[96:97], v[84:85], v[94:95] op_sel:[0,0,1] op_sel_hi:[1,0,0]
	v_mov_b32_e32 v99, v95
	ds_load_2addr_b64 v[94:97], v88 offset0:24 offset1:25
	v_pk_add_f32 v[28:29], v[28:29], v[100:101] neg_lo:[0,1] neg_hi:[0,1]
	v_pk_add_f32 v[26:27], v[26:27], v[98:99] neg_lo:[0,1] neg_hi:[0,1]
	s_wait_dscnt 0x0
	v_dual_mul_f32 v98, v95, v87 :: v_dual_mul_f32 v100, v95, v84
	s_delay_alu instid0(VALU_DEP_1) | instskip(NEXT) | instid1(VALU_DEP_2)
	v_pk_fma_f32 v[98:99], v[94:95], v[36:37], v[98:99] op_sel_hi:[1,1,0] neg_lo:[0,0,1] neg_hi:[0,0,1]
	v_pk_fma_f32 v[94:95], v[94:95], v[36:37], v[100:101] op_sel:[1,0,0] op_sel_hi:[0,1,0]
	s_delay_alu instid0(VALU_DEP_1) | instskip(SKIP_1) | instid1(VALU_DEP_2)
	v_mov_b32_e32 v99, v95
	v_pk_mul_f32 v[94:95], v[96:97], v[86:87] op_sel:[0,1]
	v_pk_add_f32 v[60:61], v[60:61], v[98:99] neg_lo:[0,1] neg_hi:[0,1]
	s_delay_alu instid0(VALU_DEP_2) | instskip(SKIP_1) | instid1(VALU_DEP_1)
	v_pk_fma_f32 v[98:99], v[96:97], v[84:85], v[94:95] op_sel:[0,0,1] op_sel_hi:[1,1,0] neg_lo:[0,0,1] neg_hi:[0,0,1]
	v_pk_fma_f32 v[94:95], v[96:97], v[84:85], v[94:95] op_sel:[0,0,1] op_sel_hi:[1,0,0]
	v_mov_b32_e32 v99, v95
	ds_load_2addr_b64 v[94:97], v88 offset0:26 offset1:27
	v_pk_add_f32 v[58:59], v[58:59], v[98:99] neg_lo:[0,1] neg_hi:[0,1]
	s_wait_dscnt 0x0
	v_pk_mul_f32 v[98:99], v[94:95], v[86:87] op_sel:[0,1]
	s_delay_alu instid0(VALU_DEP_1) | instskip(SKIP_1) | instid1(VALU_DEP_1)
	v_pk_fma_f32 v[100:101], v[94:95], v[84:85], v[98:99] op_sel:[0,0,1] op_sel_hi:[1,1,0] neg_lo:[0,0,1] neg_hi:[0,0,1]
	v_pk_fma_f32 v[94:95], v[94:95], v[84:85], v[98:99] op_sel:[0,0,1] op_sel_hi:[1,0,0]
	v_mov_b32_e32 v101, v95
	v_pk_mul_f32 v[94:95], v[96:97], v[86:87] op_sel:[0,1]
	s_delay_alu instid0(VALU_DEP_2) | instskip(NEXT) | instid1(VALU_DEP_2)
	v_pk_add_f32 v[24:25], v[24:25], v[100:101] neg_lo:[0,1] neg_hi:[0,1]
	v_pk_fma_f32 v[98:99], v[96:97], v[84:85], v[94:95] op_sel:[0,0,1] op_sel_hi:[1,1,0] neg_lo:[0,0,1] neg_hi:[0,0,1]
	v_pk_fma_f32 v[94:95], v[96:97], v[84:85], v[94:95] op_sel:[0,0,1] op_sel_hi:[1,0,0]
	s_delay_alu instid0(VALU_DEP_1) | instskip(SKIP_4) | instid1(VALU_DEP_1)
	v_mov_b32_e32 v99, v95
	ds_load_2addr_b64 v[94:97], v88 offset0:28 offset1:29
	v_pk_add_f32 v[22:23], v[22:23], v[98:99] neg_lo:[0,1] neg_hi:[0,1]
	s_wait_dscnt 0x0
	v_pk_mul_f32 v[98:99], v[94:95], v[86:87] op_sel:[0,1]
	v_pk_fma_f32 v[100:101], v[94:95], v[84:85], v[98:99] op_sel:[0,0,1] op_sel_hi:[1,1,0] neg_lo:[0,0,1] neg_hi:[0,0,1]
	v_pk_fma_f32 v[94:95], v[94:95], v[84:85], v[98:99] op_sel:[0,0,1] op_sel_hi:[1,0,0]
	v_dual_mul_f32 v98, v97, v87 :: v_dual_mov_b32 v94, v97
	s_delay_alu instid0(VALU_DEP_2) | instskip(NEXT) | instid1(VALU_DEP_2)
	v_dual_mov_b32 v101, v95 :: v_dual_mov_b32 v95, v96
	v_pk_fma_f32 v[98:99], v[96:97], v[36:37], v[98:99] op_sel_hi:[1,1,0] neg_lo:[0,0,1] neg_hi:[0,0,1]
	v_mul_f32_e32 v96, v97, v84
	s_delay_alu instid0(VALU_DEP_3) | instskip(NEXT) | instid1(VALU_DEP_2)
	v_pk_add_f32 v[48:49], v[48:49], v[100:101] neg_lo:[0,1] neg_hi:[0,1]
	v_pk_fma_f32 v[94:95], v[94:95], v[36:37], v[96:97] op_sel_hi:[1,1,0]
	s_delay_alu instid0(VALU_DEP_1) | instskip(SKIP_4) | instid1(VALU_DEP_1)
	v_mov_b32_e32 v99, v95
	ds_load_2addr_b64 v[94:97], v88 offset0:30 offset1:31
	v_pk_add_f32 v[46:47], v[46:47], v[98:99] neg_lo:[0,1] neg_hi:[0,1]
	s_wait_dscnt 0x0
	v_pk_mul_f32 v[98:99], v[94:95], v[86:87] op_sel:[0,1]
	v_pk_fma_f32 v[100:101], v[94:95], v[84:85], v[98:99] op_sel:[0,0,1] op_sel_hi:[1,1,0] neg_lo:[0,0,1] neg_hi:[0,0,1]
	v_pk_fma_f32 v[94:95], v[94:95], v[84:85], v[98:99] op_sel:[0,0,1] op_sel_hi:[1,0,0]
	s_delay_alu instid0(VALU_DEP_1) | instskip(SKIP_1) | instid1(VALU_DEP_1)
	v_mov_b32_e32 v101, v95
	v_pk_mul_f32 v[94:95], v[96:97], v[86:87] op_sel:[0,1]
	v_pk_fma_f32 v[98:99], v[96:97], v[84:85], v[94:95] op_sel:[0,0,1] op_sel_hi:[1,1,0] neg_lo:[0,0,1] neg_hi:[0,0,1]
	v_pk_fma_f32 v[94:95], v[96:97], v[84:85], v[94:95] op_sel:[0,0,1] op_sel_hi:[1,0,0]
	s_delay_alu instid0(VALU_DEP_1)
	v_mov_b32_e32 v99, v95
	ds_load_2addr_b64 v[94:97], v88 offset0:32 offset1:33
	v_pk_add_f32 v[10:11], v[10:11], v[100:101] neg_lo:[0,1] neg_hi:[0,1]
	v_pk_add_f32 v[6:7], v[6:7], v[98:99] neg_lo:[0,1] neg_hi:[0,1]
	s_wait_dscnt 0x0
	v_pk_mul_f32 v[98:99], v[94:95], v[86:87] op_sel:[0,1]
	s_delay_alu instid0(VALU_DEP_1) | instskip(SKIP_1) | instid1(VALU_DEP_1)
	v_pk_fma_f32 v[100:101], v[94:95], v[84:85], v[98:99] op_sel:[0,0,1] op_sel_hi:[1,1,0] neg_lo:[0,0,1] neg_hi:[0,0,1]
	v_pk_fma_f32 v[94:95], v[94:95], v[84:85], v[98:99] op_sel:[0,0,1] op_sel_hi:[1,0,0]
	v_mov_b32_e32 v101, v95
	v_pk_mul_f32 v[94:95], v[96:97], v[86:87] op_sel:[0,1]
	s_delay_alu instid0(VALU_DEP_1) | instskip(SKIP_1) | instid1(VALU_DEP_1)
	v_pk_fma_f32 v[98:99], v[96:97], v[84:85], v[94:95] op_sel:[0,0,1] op_sel_hi:[1,1,0] neg_lo:[0,0,1] neg_hi:[0,0,1]
	v_pk_fma_f32 v[94:95], v[96:97], v[84:85], v[94:95] op_sel:[0,0,1] op_sel_hi:[1,0,0]
	v_mov_b32_e32 v99, v95
	ds_load_2addr_b64 v[94:97], v88 offset0:34 offset1:35
	v_pk_add_f32 v[44:45], v[44:45], v[100:101] neg_lo:[0,1] neg_hi:[0,1]
	v_pk_add_f32 v[42:43], v[42:43], v[98:99] neg_lo:[0,1] neg_hi:[0,1]
	s_wait_dscnt 0x0
	v_dual_mul_f32 v98, v95, v87 :: v_dual_mul_f32 v100, v95, v84
	s_delay_alu instid0(VALU_DEP_1) | instskip(NEXT) | instid1(VALU_DEP_2)
	v_pk_fma_f32 v[98:99], v[94:95], v[36:37], v[98:99] op_sel_hi:[1,1,0] neg_lo:[0,0,1] neg_hi:[0,0,1]
	v_pk_fma_f32 v[94:95], v[94:95], v[36:37], v[100:101] op_sel:[1,0,0] op_sel_hi:[0,1,0]
	s_delay_alu instid0(VALU_DEP_1) | instskip(SKIP_1) | instid1(VALU_DEP_2)
	v_mov_b32_e32 v99, v95
	v_pk_mul_f32 v[94:95], v[96:97], v[86:87] op_sel:[0,1]
	v_pk_add_f32 v[8:9], v[8:9], v[98:99] neg_lo:[0,1] neg_hi:[0,1]
	s_delay_alu instid0(VALU_DEP_2) | instskip(SKIP_1) | instid1(VALU_DEP_1)
	v_pk_fma_f32 v[98:99], v[96:97], v[84:85], v[94:95] op_sel:[0,0,1] op_sel_hi:[1,1,0] neg_lo:[0,0,1] neg_hi:[0,0,1]
	v_pk_fma_f32 v[94:95], v[96:97], v[84:85], v[94:95] op_sel:[0,0,1] op_sel_hi:[1,0,0]
	v_mov_b32_e32 v99, v95
	ds_load_2addr_b64 v[94:97], v88 offset0:36 offset1:37
	v_pk_add_f32 v[40:41], v[40:41], v[98:99] neg_lo:[0,1] neg_hi:[0,1]
	s_wait_dscnt 0x0
	v_pk_mul_f32 v[98:99], v[94:95], v[86:87] op_sel:[0,1]
	s_delay_alu instid0(VALU_DEP_1) | instskip(SKIP_1) | instid1(VALU_DEP_1)
	v_pk_fma_f32 v[100:101], v[94:95], v[84:85], v[98:99] op_sel:[0,0,1] op_sel_hi:[1,1,0] neg_lo:[0,0,1] neg_hi:[0,0,1]
	v_pk_fma_f32 v[94:95], v[94:95], v[84:85], v[98:99] op_sel:[0,0,1] op_sel_hi:[1,0,0]
	v_mov_b32_e32 v101, v95
	v_pk_mul_f32 v[94:95], v[96:97], v[86:87] op_sel:[0,1]
	s_delay_alu instid0(VALU_DEP_2) | instskip(NEXT) | instid1(VALU_DEP_2)
	v_pk_add_f32 v[34:35], v[34:35], v[100:101] neg_lo:[0,1] neg_hi:[0,1]
	v_pk_fma_f32 v[98:99], v[96:97], v[84:85], v[94:95] op_sel:[0,0,1] op_sel_hi:[1,1,0] neg_lo:[0,0,1] neg_hi:[0,0,1]
	v_pk_fma_f32 v[94:95], v[96:97], v[84:85], v[94:95] op_sel:[0,0,1] op_sel_hi:[1,0,0]
	s_delay_alu instid0(VALU_DEP_1) | instskip(SKIP_4) | instid1(VALU_DEP_1)
	v_mov_b32_e32 v99, v95
	ds_load_b64 v[94:95], v88 offset:304
	v_pk_add_f32 v[20:21], v[20:21], v[98:99] neg_lo:[0,1] neg_hi:[0,1]
	s_wait_dscnt 0x0
	v_pk_mul_f32 v[86:87], v[94:95], v[86:87] op_sel:[0,1]
	v_pk_fma_f32 v[96:97], v[94:95], v[84:85], v[86:87] op_sel:[0,0,1] op_sel_hi:[1,1,0] neg_lo:[0,0,1] neg_hi:[0,0,1]
	v_pk_fma_f32 v[84:85], v[94:95], v[84:85], v[86:87] op_sel:[0,0,1] op_sel_hi:[1,0,0]
	s_delay_alu instid0(VALU_DEP_1) | instskip(NEXT) | instid1(VALU_DEP_1)
	v_mov_b32_e32 v97, v85
	v_pk_add_f32 v[82:83], v[82:83], v[96:97] neg_lo:[0,1] neg_hi:[0,1]
.LBB76_335:
	s_or_b32 exec_lo, exec_lo, s0
	v_lshl_add_u32 v84, v92, 3, v88
	s_barrier_signal -1
	s_barrier_wait -1
	ds_store_b64 v84, v[68:69]
	s_wait_dscnt 0x0
	s_barrier_signal -1
	s_barrier_wait -1
	ds_load_b64 v[86:87], v88 offset:128
	v_mov_b32_e32 v84, 16
	s_cmp_lt_i32 s18, 18
	s_cbranch_scc1 .LBB76_338
; %bb.336:
	v_add3_u32 v85, v89, 0, 0x88
	v_mov_b32_e32 v84, 16
	s_mov_b32 s0, 17
.LBB76_337:                             ; =>This Inner Loop Header: Depth=1
	ds_load_b64 v[94:95], v85
	s_wait_dscnt 0x1
	v_cmp_gt_f32_e32 vcc_lo, 0, v86
	v_cndmask_b32_e64 v96, v86, -v86, vcc_lo
	v_cmp_gt_f32_e32 vcc_lo, 0, v87
	v_cndmask_b32_e64 v98, v87, -v87, vcc_lo
	s_wait_dscnt 0x0
	v_cmp_gt_f32_e32 vcc_lo, 0, v94
	v_cndmask_b32_e64 v97, v94, -v94, vcc_lo
	v_cmp_gt_f32_e32 vcc_lo, 0, v95
	v_cndmask_b32_e64 v99, v95, -v95, vcc_lo
	s_delay_alu instid0(VALU_DEP_1) | instskip(NEXT) | instid1(VALU_DEP_1)
	v_pk_add_f32 v[96:97], v[96:97], v[98:99]
	v_cmp_lt_f32_e32 vcc_lo, v96, v97
	v_dual_add_nc_u32 v85, 8, v85 :: v_dual_cndmask_b32 v87, v87, v95, vcc_lo
	v_cndmask_b32_e32 v86, v86, v94, vcc_lo
	v_cndmask_b32_e64 v84, v84, s0, vcc_lo
	s_add_co_i32 s0, s0, 1
	s_delay_alu instid0(SALU_CYCLE_1)
	s_cmp_lg_u32 s18, s0
	s_cbranch_scc1 .LBB76_337
.LBB76_338:
	s_wait_dscnt 0x0
	v_cmp_eq_f32_e32 vcc_lo, 0, v86
	v_cmp_eq_f32_e64 s0, 0, v87
	s_and_b32 s0, vcc_lo, s0
	s_delay_alu instid0(SALU_CYCLE_1) | instskip(NEXT) | instid1(SALU_CYCLE_1)
	s_and_saveexec_b32 s1, s0
	s_xor_b32 s0, exec_lo, s1
; %bb.339:
	v_cmp_ne_u32_e32 vcc_lo, 0, v90
	v_cndmask_b32_e32 v90, 17, v90, vcc_lo
; %bb.340:
	s_and_not1_saveexec_b32 s0, s0
	s_cbranch_execz .LBB76_346
; %bb.341:
	v_cmp_ngt_f32_e64 s1, |v86|, |v87|
	s_and_saveexec_b32 s12, s1
	s_delay_alu instid0(SALU_CYCLE_1)
	s_xor_b32 s1, exec_lo, s12
	s_cbranch_execz .LBB76_343
; %bb.342:
	v_div_scale_f32 v85, null, v87, v87, v86
	v_div_scale_f32 v95, vcc_lo, v86, v87, v86
	s_delay_alu instid0(VALU_DEP_2) | instskip(SKIP_1) | instid1(TRANS32_DEP_1)
	v_rcp_f32_e32 v93, v85
	v_nop
	v_fma_f32 v94, -v85, v93, 1.0
	s_delay_alu instid0(VALU_DEP_1) | instskip(NEXT) | instid1(VALU_DEP_1)
	v_fmac_f32_e32 v93, v94, v93
	v_mul_f32_e32 v94, v95, v93
	s_delay_alu instid0(VALU_DEP_1) | instskip(NEXT) | instid1(VALU_DEP_1)
	v_fma_f32 v96, -v85, v94, v95
	v_fmac_f32_e32 v94, v96, v93
	s_delay_alu instid0(VALU_DEP_1) | instskip(NEXT) | instid1(VALU_DEP_1)
	v_fma_f32 v85, -v85, v94, v95
	v_div_fmas_f32 v85, v85, v93, v94
	s_delay_alu instid0(VALU_DEP_1) | instskip(NEXT) | instid1(VALU_DEP_1)
	v_div_fixup_f32 v85, v85, v87, v86
	v_fmac_f32_e32 v87, v86, v85
	s_delay_alu instid0(VALU_DEP_1) | instskip(SKIP_1) | instid1(VALU_DEP_2)
	v_div_scale_f32 v86, null, v87, v87, 1.0
	v_div_scale_f32 v95, vcc_lo, 1.0, v87, 1.0
	v_rcp_f32_e32 v93, v86
	v_nop
	s_delay_alu instid0(TRANS32_DEP_1) | instskip(NEXT) | instid1(VALU_DEP_1)
	v_fma_f32 v94, -v86, v93, 1.0
	v_fmac_f32_e32 v93, v94, v93
	s_delay_alu instid0(VALU_DEP_1) | instskip(NEXT) | instid1(VALU_DEP_1)
	v_mul_f32_e32 v94, v95, v93
	v_fma_f32 v96, -v86, v94, v95
	s_delay_alu instid0(VALU_DEP_1) | instskip(NEXT) | instid1(VALU_DEP_1)
	v_fmac_f32_e32 v94, v96, v93
	v_fma_f32 v86, -v86, v94, v95
	s_delay_alu instid0(VALU_DEP_1) | instskip(NEXT) | instid1(VALU_DEP_1)
	v_div_fmas_f32 v86, v86, v93, v94
	v_div_fixup_f32 v87, v86, v87, 1.0
	s_delay_alu instid0(VALU_DEP_1)
	v_mul_f32_e32 v86, v85, v87
	v_xor_b32_e32 v87, 0x80000000, v87
.LBB76_343:
	s_and_not1_saveexec_b32 s1, s1
	s_cbranch_execz .LBB76_345
; %bb.344:
	s_delay_alu instid0(VALU_DEP_1) | instskip(SKIP_1) | instid1(VALU_DEP_2)
	v_div_scale_f32 v85, null, v86, v86, v87
	v_div_scale_f32 v95, vcc_lo, v87, v86, v87
	v_rcp_f32_e32 v93, v85
	v_nop
	s_delay_alu instid0(TRANS32_DEP_1) | instskip(NEXT) | instid1(VALU_DEP_1)
	v_fma_f32 v94, -v85, v93, 1.0
	v_fmac_f32_e32 v93, v94, v93
	s_delay_alu instid0(VALU_DEP_1) | instskip(NEXT) | instid1(VALU_DEP_1)
	v_mul_f32_e32 v94, v95, v93
	v_fma_f32 v96, -v85, v94, v95
	s_delay_alu instid0(VALU_DEP_1) | instskip(NEXT) | instid1(VALU_DEP_1)
	v_fmac_f32_e32 v94, v96, v93
	v_fma_f32 v85, -v85, v94, v95
	s_delay_alu instid0(VALU_DEP_1) | instskip(NEXT) | instid1(VALU_DEP_1)
	v_div_fmas_f32 v85, v85, v93, v94
	v_div_fixup_f32 v85, v85, v86, v87
	s_delay_alu instid0(VALU_DEP_1) | instskip(NEXT) | instid1(VALU_DEP_1)
	v_fmac_f32_e32 v86, v87, v85
	v_div_scale_f32 v87, null, v86, v86, 1.0
	s_delay_alu instid0(VALU_DEP_1) | instskip(SKIP_1) | instid1(TRANS32_DEP_1)
	v_rcp_f32_e32 v93, v87
	v_nop
	v_fma_f32 v94, -v87, v93, 1.0
	s_delay_alu instid0(VALU_DEP_1) | instskip(SKIP_1) | instid1(VALU_DEP_1)
	v_fmac_f32_e32 v93, v94, v93
	v_div_scale_f32 v94, vcc_lo, 1.0, v86, 1.0
	v_mul_f32_e32 v95, v94, v93
	s_delay_alu instid0(VALU_DEP_1) | instskip(NEXT) | instid1(VALU_DEP_1)
	v_fma_f32 v96, -v87, v95, v94
	v_fmac_f32_e32 v95, v96, v93
	s_delay_alu instid0(VALU_DEP_1) | instskip(NEXT) | instid1(VALU_DEP_1)
	v_fma_f32 v87, -v87, v95, v94
	v_div_fmas_f32 v87, v87, v93, v95
	s_delay_alu instid0(VALU_DEP_1) | instskip(NEXT) | instid1(VALU_DEP_1)
	v_div_fixup_f32 v86, v87, v86, 1.0
	v_mul_f32_e64 v87, v85, -v86
.LBB76_345:
	s_or_b32 exec_lo, exec_lo, s1
.LBB76_346:
	s_delay_alu instid0(SALU_CYCLE_1) | instskip(NEXT) | instid1(SALU_CYCLE_1)
	s_or_b32 exec_lo, exec_lo, s0
	s_mov_b32 s0, exec_lo
	v_cmpx_ne_u32_e64 v92, v84
	s_xor_b32 s0, exec_lo, s0
	s_cbranch_execz .LBB76_352
; %bb.347:
	s_mov_b32 s1, exec_lo
	v_cmpx_eq_u32_e32 16, v92
	s_cbranch_execz .LBB76_351
; %bb.348:
	v_cmp_ne_u32_e32 vcc_lo, 16, v84
	s_xor_b32 s12, s16, -1
	s_delay_alu instid0(SALU_CYCLE_1) | instskip(NEXT) | instid1(SALU_CYCLE_1)
	s_and_b32 s13, s12, vcc_lo
	s_and_saveexec_b32 s12, s13
	s_cbranch_execz .LBB76_350
; %bb.349:
	v_ashrrev_i32_e32 v85, 31, v84
	s_delay_alu instid0(VALU_DEP_1)
	v_lshl_add_u64 v[92:93], v[84:85], 2, v[4:5]
	s_clause 0x1
	global_load_b32 v85, v[92:93], off
	global_load_b32 v91, v[4:5], off offset:64
	s_wait_loadcnt 0x1
	global_store_b32 v[4:5], v85, off offset:64
	s_wait_loadcnt 0x0
	global_store_b32 v[92:93], v91, off
.LBB76_350:
	s_wait_xcnt 0x0
	s_or_b32 exec_lo, exec_lo, s12
	v_dual_mov_b32 v92, v84 :: v_dual_mov_b32 v91, v84
.LBB76_351:
	s_or_b32 exec_lo, exec_lo, s1
.LBB76_352:
	s_and_not1_saveexec_b32 s0, s0
	s_cbranch_execz .LBB76_354
; %bb.353:
	v_mov_b32_e32 v92, 16
	ds_store_2addr_b64 v88, v[66:67], v[32:33] offset0:17 offset1:18
	ds_store_2addr_b64 v88, v[30:31], v[64:65] offset0:19 offset1:20
	;; [unrolled: 1-line block ×11, first 2 shown]
.LBB76_354:
	s_or_b32 exec_lo, exec_lo, s0
	s_delay_alu instid0(SALU_CYCLE_1)
	s_mov_b32 s0, exec_lo
	s_wait_storecnt_dscnt 0x0
	s_barrier_signal -1
	s_barrier_wait -1
	v_cmpx_lt_i32_e32 16, v92
	s_cbranch_execz .LBB76_356
; %bb.355:
	v_pk_mul_f32 v[94:95], v[86:87], v[68:69] op_sel:[1,1] op_sel_hi:[0,1]
	s_delay_alu instid0(VALU_DEP_1)
	v_pk_fma_f32 v[84:85], v[86:87], v[68:69], v[94:95] op_sel_hi:[1,0,1] neg_lo:[0,0,1] neg_hi:[0,0,1]
	v_pk_fma_f32 v[86:87], v[86:87], v[68:69], v[94:95] op_sel_hi:[1,0,1]
	ds_load_2addr_b64 v[94:97], v88 offset0:17 offset1:18
	v_dual_mov_b32 v68, v84 :: v_dual_mov_b32 v69, v87
	s_wait_dscnt 0x0
	v_pk_mul_f32 v[98:99], v[94:95], v[86:87] op_sel:[0,1]
	s_delay_alu instid0(VALU_DEP_1) | instskip(SKIP_1) | instid1(VALU_DEP_1)
	v_pk_fma_f32 v[100:101], v[94:95], v[84:85], v[98:99] op_sel:[0,0,1] op_sel_hi:[1,1,0] neg_lo:[0,0,1] neg_hi:[0,0,1]
	v_pk_fma_f32 v[94:95], v[94:95], v[84:85], v[98:99] op_sel:[0,0,1] op_sel_hi:[1,0,0]
	v_mov_b32_e32 v101, v95
	v_pk_mul_f32 v[94:95], v[96:97], v[86:87] op_sel:[0,1]
	s_delay_alu instid0(VALU_DEP_1) | instskip(SKIP_1) | instid1(VALU_DEP_1)
	v_pk_fma_f32 v[98:99], v[96:97], v[84:85], v[94:95] op_sel:[0,0,1] op_sel_hi:[1,1,0] neg_lo:[0,0,1] neg_hi:[0,0,1]
	v_pk_fma_f32 v[94:95], v[96:97], v[84:85], v[94:95] op_sel:[0,0,1] op_sel_hi:[1,0,0]
	v_mov_b32_e32 v99, v95
	ds_load_2addr_b64 v[94:97], v88 offset0:19 offset1:20
	v_pk_add_f32 v[66:67], v[66:67], v[100:101] neg_lo:[0,1] neg_hi:[0,1]
	v_pk_add_f32 v[32:33], v[32:33], v[98:99] neg_lo:[0,1] neg_hi:[0,1]
	s_wait_dscnt 0x0
	v_pk_mul_f32 v[98:99], v[94:95], v[86:87] op_sel:[0,1]
	s_delay_alu instid0(VALU_DEP_1) | instskip(SKIP_2) | instid1(VALU_DEP_2)
	v_pk_fma_f32 v[100:101], v[94:95], v[84:85], v[98:99] op_sel:[0,0,1] op_sel_hi:[1,1,0] neg_lo:[0,0,1] neg_hi:[0,0,1]
	v_pk_fma_f32 v[94:95], v[94:95], v[84:85], v[98:99] op_sel:[0,0,1] op_sel_hi:[1,0,0]
	v_dual_mul_f32 v98, v97, v87 :: v_dual_mov_b32 v94, v97
	v_dual_mov_b32 v101, v95 :: v_dual_mov_b32 v95, v96
	s_delay_alu instid0(VALU_DEP_2) | instskip(SKIP_1) | instid1(VALU_DEP_3)
	v_pk_fma_f32 v[98:99], v[96:97], v[68:69], v[98:99] op_sel_hi:[1,1,0] neg_lo:[0,0,1] neg_hi:[0,0,1]
	v_mul_f32_e32 v96, v97, v84
	v_pk_add_f32 v[30:31], v[30:31], v[100:101] neg_lo:[0,1] neg_hi:[0,1]
	s_delay_alu instid0(VALU_DEP_2) | instskip(NEXT) | instid1(VALU_DEP_1)
	v_pk_fma_f32 v[94:95], v[94:95], v[68:69], v[96:97] op_sel_hi:[1,1,0]
	v_mov_b32_e32 v99, v95
	ds_load_2addr_b64 v[94:97], v88 offset0:21 offset1:22
	v_pk_add_f32 v[64:65], v[64:65], v[98:99] neg_lo:[0,1] neg_hi:[0,1]
	s_wait_dscnt 0x0
	v_pk_mul_f32 v[98:99], v[94:95], v[86:87] op_sel:[0,1]
	s_delay_alu instid0(VALU_DEP_1) | instskip(SKIP_1) | instid1(VALU_DEP_1)
	v_pk_fma_f32 v[100:101], v[94:95], v[84:85], v[98:99] op_sel:[0,0,1] op_sel_hi:[1,1,0] neg_lo:[0,0,1] neg_hi:[0,0,1]
	v_pk_fma_f32 v[94:95], v[94:95], v[84:85], v[98:99] op_sel:[0,0,1] op_sel_hi:[1,0,0]
	v_mov_b32_e32 v101, v95
	v_pk_mul_f32 v[94:95], v[96:97], v[86:87] op_sel:[0,1]
	s_delay_alu instid0(VALU_DEP_1) | instskip(SKIP_1) | instid1(VALU_DEP_1)
	v_pk_fma_f32 v[98:99], v[96:97], v[84:85], v[94:95] op_sel:[0,0,1] op_sel_hi:[1,1,0] neg_lo:[0,0,1] neg_hi:[0,0,1]
	v_pk_fma_f32 v[94:95], v[96:97], v[84:85], v[94:95] op_sel:[0,0,1] op_sel_hi:[1,0,0]
	v_mov_b32_e32 v99, v95
	ds_load_2addr_b64 v[94:97], v88 offset0:23 offset1:24
	v_pk_add_f32 v[62:63], v[62:63], v[100:101] neg_lo:[0,1] neg_hi:[0,1]
	v_pk_add_f32 v[28:29], v[28:29], v[98:99] neg_lo:[0,1] neg_hi:[0,1]
	s_wait_dscnt 0x0
	v_pk_mul_f32 v[98:99], v[94:95], v[86:87] op_sel:[0,1]
	s_delay_alu instid0(VALU_DEP_1) | instskip(SKIP_1) | instid1(VALU_DEP_1)
	v_pk_fma_f32 v[100:101], v[94:95], v[84:85], v[98:99] op_sel:[0,0,1] op_sel_hi:[1,1,0] neg_lo:[0,0,1] neg_hi:[0,0,1]
	v_pk_fma_f32 v[94:95], v[94:95], v[84:85], v[98:99] op_sel:[0,0,1] op_sel_hi:[1,0,0]
	v_mov_b32_e32 v101, v95
	v_pk_mul_f32 v[94:95], v[96:97], v[86:87] op_sel:[0,1]
	s_delay_alu instid0(VALU_DEP_1) | instskip(SKIP_1) | instid1(VALU_DEP_1)
	v_pk_fma_f32 v[98:99], v[96:97], v[84:85], v[94:95] op_sel:[0,0,1] op_sel_hi:[1,1,0] neg_lo:[0,0,1] neg_hi:[0,0,1]
	v_pk_fma_f32 v[94:95], v[96:97], v[84:85], v[94:95] op_sel:[0,0,1] op_sel_hi:[1,0,0]
	v_mov_b32_e32 v99, v95
	ds_load_2addr_b64 v[94:97], v88 offset0:25 offset1:26
	v_pk_add_f32 v[26:27], v[26:27], v[100:101] neg_lo:[0,1] neg_hi:[0,1]
	v_pk_add_f32 v[60:61], v[60:61], v[98:99] neg_lo:[0,1] neg_hi:[0,1]
	s_wait_dscnt 0x0
	v_dual_mul_f32 v98, v95, v87 :: v_dual_mul_f32 v100, v95, v84
	s_delay_alu instid0(VALU_DEP_1) | instskip(NEXT) | instid1(VALU_DEP_2)
	v_pk_fma_f32 v[98:99], v[94:95], v[68:69], v[98:99] op_sel_hi:[1,1,0] neg_lo:[0,0,1] neg_hi:[0,0,1]
	v_pk_fma_f32 v[94:95], v[94:95], v[68:69], v[100:101] op_sel:[1,0,0] op_sel_hi:[0,1,0]
	s_delay_alu instid0(VALU_DEP_1) | instskip(SKIP_1) | instid1(VALU_DEP_2)
	v_mov_b32_e32 v99, v95
	v_pk_mul_f32 v[94:95], v[96:97], v[86:87] op_sel:[0,1]
	v_pk_add_f32 v[58:59], v[58:59], v[98:99] neg_lo:[0,1] neg_hi:[0,1]
	s_delay_alu instid0(VALU_DEP_2) | instskip(SKIP_1) | instid1(VALU_DEP_1)
	v_pk_fma_f32 v[98:99], v[96:97], v[84:85], v[94:95] op_sel:[0,0,1] op_sel_hi:[1,1,0] neg_lo:[0,0,1] neg_hi:[0,0,1]
	v_pk_fma_f32 v[94:95], v[96:97], v[84:85], v[94:95] op_sel:[0,0,1] op_sel_hi:[1,0,0]
	v_mov_b32_e32 v99, v95
	ds_load_2addr_b64 v[94:97], v88 offset0:27 offset1:28
	v_pk_add_f32 v[24:25], v[24:25], v[98:99] neg_lo:[0,1] neg_hi:[0,1]
	s_wait_dscnt 0x0
	v_pk_mul_f32 v[98:99], v[94:95], v[86:87] op_sel:[0,1]
	s_delay_alu instid0(VALU_DEP_1) | instskip(SKIP_1) | instid1(VALU_DEP_1)
	v_pk_fma_f32 v[100:101], v[94:95], v[84:85], v[98:99] op_sel:[0,0,1] op_sel_hi:[1,1,0] neg_lo:[0,0,1] neg_hi:[0,0,1]
	v_pk_fma_f32 v[94:95], v[94:95], v[84:85], v[98:99] op_sel:[0,0,1] op_sel_hi:[1,0,0]
	v_mov_b32_e32 v101, v95
	v_pk_mul_f32 v[94:95], v[96:97], v[86:87] op_sel:[0,1]
	s_delay_alu instid0(VALU_DEP_2) | instskip(NEXT) | instid1(VALU_DEP_2)
	v_pk_add_f32 v[22:23], v[22:23], v[100:101] neg_lo:[0,1] neg_hi:[0,1]
	v_pk_fma_f32 v[98:99], v[96:97], v[84:85], v[94:95] op_sel:[0,0,1] op_sel_hi:[1,1,0] neg_lo:[0,0,1] neg_hi:[0,0,1]
	v_pk_fma_f32 v[94:95], v[96:97], v[84:85], v[94:95] op_sel:[0,0,1] op_sel_hi:[1,0,0]
	s_delay_alu instid0(VALU_DEP_1) | instskip(SKIP_4) | instid1(VALU_DEP_1)
	v_mov_b32_e32 v99, v95
	ds_load_2addr_b64 v[94:97], v88 offset0:29 offset1:30
	v_pk_add_f32 v[48:49], v[48:49], v[98:99] neg_lo:[0,1] neg_hi:[0,1]
	s_wait_dscnt 0x0
	v_pk_mul_f32 v[98:99], v[94:95], v[86:87] op_sel:[0,1]
	v_pk_fma_f32 v[100:101], v[94:95], v[84:85], v[98:99] op_sel:[0,0,1] op_sel_hi:[1,1,0] neg_lo:[0,0,1] neg_hi:[0,0,1]
	v_pk_fma_f32 v[94:95], v[94:95], v[84:85], v[98:99] op_sel:[0,0,1] op_sel_hi:[1,0,0]
	v_dual_mul_f32 v98, v97, v87 :: v_dual_mov_b32 v94, v97
	s_delay_alu instid0(VALU_DEP_2) | instskip(NEXT) | instid1(VALU_DEP_2)
	v_dual_mov_b32 v101, v95 :: v_dual_mov_b32 v95, v96
	v_pk_fma_f32 v[98:99], v[96:97], v[68:69], v[98:99] op_sel_hi:[1,1,0] neg_lo:[0,0,1] neg_hi:[0,0,1]
	v_mul_f32_e32 v96, v97, v84
	s_delay_alu instid0(VALU_DEP_3) | instskip(NEXT) | instid1(VALU_DEP_2)
	v_pk_add_f32 v[46:47], v[46:47], v[100:101] neg_lo:[0,1] neg_hi:[0,1]
	v_pk_fma_f32 v[94:95], v[94:95], v[68:69], v[96:97] op_sel_hi:[1,1,0]
	s_delay_alu instid0(VALU_DEP_1) | instskip(SKIP_4) | instid1(VALU_DEP_1)
	v_mov_b32_e32 v99, v95
	ds_load_2addr_b64 v[94:97], v88 offset0:31 offset1:32
	v_pk_add_f32 v[10:11], v[10:11], v[98:99] neg_lo:[0,1] neg_hi:[0,1]
	s_wait_dscnt 0x0
	v_pk_mul_f32 v[98:99], v[94:95], v[86:87] op_sel:[0,1]
	v_pk_fma_f32 v[100:101], v[94:95], v[84:85], v[98:99] op_sel:[0,0,1] op_sel_hi:[1,1,0] neg_lo:[0,0,1] neg_hi:[0,0,1]
	v_pk_fma_f32 v[94:95], v[94:95], v[84:85], v[98:99] op_sel:[0,0,1] op_sel_hi:[1,0,0]
	s_delay_alu instid0(VALU_DEP_1) | instskip(SKIP_1) | instid1(VALU_DEP_1)
	v_mov_b32_e32 v101, v95
	v_pk_mul_f32 v[94:95], v[96:97], v[86:87] op_sel:[0,1]
	v_pk_fma_f32 v[98:99], v[96:97], v[84:85], v[94:95] op_sel:[0,0,1] op_sel_hi:[1,1,0] neg_lo:[0,0,1] neg_hi:[0,0,1]
	v_pk_fma_f32 v[94:95], v[96:97], v[84:85], v[94:95] op_sel:[0,0,1] op_sel_hi:[1,0,0]
	s_delay_alu instid0(VALU_DEP_1)
	v_mov_b32_e32 v99, v95
	ds_load_2addr_b64 v[94:97], v88 offset0:33 offset1:34
	v_pk_add_f32 v[6:7], v[6:7], v[100:101] neg_lo:[0,1] neg_hi:[0,1]
	v_pk_add_f32 v[44:45], v[44:45], v[98:99] neg_lo:[0,1] neg_hi:[0,1]
	s_wait_dscnt 0x0
	v_pk_mul_f32 v[98:99], v[94:95], v[86:87] op_sel:[0,1]
	s_delay_alu instid0(VALU_DEP_1) | instskip(SKIP_1) | instid1(VALU_DEP_1)
	v_pk_fma_f32 v[100:101], v[94:95], v[84:85], v[98:99] op_sel:[0,0,1] op_sel_hi:[1,1,0] neg_lo:[0,0,1] neg_hi:[0,0,1]
	v_pk_fma_f32 v[94:95], v[94:95], v[84:85], v[98:99] op_sel:[0,0,1] op_sel_hi:[1,0,0]
	v_mov_b32_e32 v101, v95
	v_pk_mul_f32 v[94:95], v[96:97], v[86:87] op_sel:[0,1]
	s_delay_alu instid0(VALU_DEP_1) | instskip(SKIP_1) | instid1(VALU_DEP_1)
	v_pk_fma_f32 v[98:99], v[96:97], v[84:85], v[94:95] op_sel:[0,0,1] op_sel_hi:[1,1,0] neg_lo:[0,0,1] neg_hi:[0,0,1]
	v_pk_fma_f32 v[94:95], v[96:97], v[84:85], v[94:95] op_sel:[0,0,1] op_sel_hi:[1,0,0]
	v_mov_b32_e32 v99, v95
	ds_load_2addr_b64 v[94:97], v88 offset0:35 offset1:36
	v_pk_add_f32 v[42:43], v[42:43], v[100:101] neg_lo:[0,1] neg_hi:[0,1]
	v_pk_add_f32 v[8:9], v[8:9], v[98:99] neg_lo:[0,1] neg_hi:[0,1]
	s_wait_dscnt 0x0
	v_dual_mul_f32 v98, v95, v87 :: v_dual_mul_f32 v100, v95, v84
	s_delay_alu instid0(VALU_DEP_1) | instskip(NEXT) | instid1(VALU_DEP_2)
	v_pk_fma_f32 v[98:99], v[94:95], v[68:69], v[98:99] op_sel_hi:[1,1,0] neg_lo:[0,0,1] neg_hi:[0,0,1]
	v_pk_fma_f32 v[94:95], v[94:95], v[68:69], v[100:101] op_sel:[1,0,0] op_sel_hi:[0,1,0]
	s_delay_alu instid0(VALU_DEP_1) | instskip(SKIP_1) | instid1(VALU_DEP_2)
	v_mov_b32_e32 v99, v95
	v_pk_mul_f32 v[94:95], v[96:97], v[86:87] op_sel:[0,1]
	v_pk_add_f32 v[40:41], v[40:41], v[98:99] neg_lo:[0,1] neg_hi:[0,1]
	s_delay_alu instid0(VALU_DEP_2) | instskip(SKIP_1) | instid1(VALU_DEP_1)
	v_pk_fma_f32 v[98:99], v[96:97], v[84:85], v[94:95] op_sel:[0,0,1] op_sel_hi:[1,1,0] neg_lo:[0,0,1] neg_hi:[0,0,1]
	v_pk_fma_f32 v[94:95], v[96:97], v[84:85], v[94:95] op_sel:[0,0,1] op_sel_hi:[1,0,0]
	v_mov_b32_e32 v99, v95
	ds_load_2addr_b64 v[94:97], v88 offset0:37 offset1:38
	v_pk_add_f32 v[34:35], v[34:35], v[98:99] neg_lo:[0,1] neg_hi:[0,1]
	s_wait_dscnt 0x0
	v_pk_mul_f32 v[98:99], v[94:95], v[86:87] op_sel:[0,1]
	v_pk_mul_f32 v[86:87], v[96:97], v[86:87] op_sel:[0,1]
	s_delay_alu instid0(VALU_DEP_2) | instskip(SKIP_1) | instid1(VALU_DEP_1)
	v_pk_fma_f32 v[100:101], v[94:95], v[84:85], v[98:99] op_sel:[0,0,1] op_sel_hi:[1,1,0] neg_lo:[0,0,1] neg_hi:[0,0,1]
	v_pk_fma_f32 v[94:95], v[94:95], v[84:85], v[98:99] op_sel:[0,0,1] op_sel_hi:[1,0,0]
	v_mov_b32_e32 v101, v95
	s_delay_alu instid0(VALU_DEP_4) | instskip(SKIP_1) | instid1(VALU_DEP_3)
	v_pk_fma_f32 v[94:95], v[96:97], v[84:85], v[86:87] op_sel:[0,0,1] op_sel_hi:[1,1,0] neg_lo:[0,0,1] neg_hi:[0,0,1]
	v_pk_fma_f32 v[84:85], v[96:97], v[84:85], v[86:87] op_sel:[0,0,1] op_sel_hi:[1,0,0]
	v_pk_add_f32 v[20:21], v[20:21], v[100:101] neg_lo:[0,1] neg_hi:[0,1]
	s_delay_alu instid0(VALU_DEP_2) | instskip(NEXT) | instid1(VALU_DEP_1)
	v_mov_b32_e32 v95, v85
	v_pk_add_f32 v[82:83], v[82:83], v[94:95] neg_lo:[0,1] neg_hi:[0,1]
.LBB76_356:
	s_or_b32 exec_lo, exec_lo, s0
	v_lshl_add_u32 v84, v92, 3, v88
	s_barrier_signal -1
	s_barrier_wait -1
	ds_store_b64 v84, v[66:67]
	s_wait_dscnt 0x0
	s_barrier_signal -1
	s_barrier_wait -1
	ds_load_b64 v[86:87], v88 offset:136
	v_mov_b32_e32 v84, 17
	s_cmp_lt_i32 s18, 19
	s_cbranch_scc1 .LBB76_359
; %bb.357:
	v_add3_u32 v85, v89, 0, 0x90
	v_mov_b32_e32 v84, 17
	s_mov_b32 s0, 18
.LBB76_358:                             ; =>This Inner Loop Header: Depth=1
	ds_load_b64 v[94:95], v85
	s_wait_dscnt 0x1
	v_cmp_gt_f32_e32 vcc_lo, 0, v86
	v_cndmask_b32_e64 v96, v86, -v86, vcc_lo
	v_cmp_gt_f32_e32 vcc_lo, 0, v87
	v_cndmask_b32_e64 v98, v87, -v87, vcc_lo
	s_wait_dscnt 0x0
	v_cmp_gt_f32_e32 vcc_lo, 0, v94
	v_cndmask_b32_e64 v97, v94, -v94, vcc_lo
	v_cmp_gt_f32_e32 vcc_lo, 0, v95
	v_cndmask_b32_e64 v99, v95, -v95, vcc_lo
	s_delay_alu instid0(VALU_DEP_1) | instskip(NEXT) | instid1(VALU_DEP_1)
	v_pk_add_f32 v[96:97], v[96:97], v[98:99]
	v_cmp_lt_f32_e32 vcc_lo, v96, v97
	v_dual_add_nc_u32 v85, 8, v85 :: v_dual_cndmask_b32 v87, v87, v95, vcc_lo
	v_cndmask_b32_e32 v86, v86, v94, vcc_lo
	v_cndmask_b32_e64 v84, v84, s0, vcc_lo
	s_add_co_i32 s0, s0, 1
	s_delay_alu instid0(SALU_CYCLE_1)
	s_cmp_lg_u32 s18, s0
	s_cbranch_scc1 .LBB76_358
.LBB76_359:
	s_wait_dscnt 0x0
	v_cmp_eq_f32_e32 vcc_lo, 0, v86
	v_cmp_eq_f32_e64 s0, 0, v87
	s_and_b32 s0, vcc_lo, s0
	s_delay_alu instid0(SALU_CYCLE_1) | instskip(NEXT) | instid1(SALU_CYCLE_1)
	s_and_saveexec_b32 s1, s0
	s_xor_b32 s0, exec_lo, s1
; %bb.360:
	v_cmp_ne_u32_e32 vcc_lo, 0, v90
	v_cndmask_b32_e32 v90, 18, v90, vcc_lo
; %bb.361:
	s_and_not1_saveexec_b32 s0, s0
	s_cbranch_execz .LBB76_367
; %bb.362:
	v_cmp_ngt_f32_e64 s1, |v86|, |v87|
	s_and_saveexec_b32 s12, s1
	s_delay_alu instid0(SALU_CYCLE_1)
	s_xor_b32 s1, exec_lo, s12
	s_cbranch_execz .LBB76_364
; %bb.363:
	v_div_scale_f32 v85, null, v87, v87, v86
	v_div_scale_f32 v95, vcc_lo, v86, v87, v86
	s_delay_alu instid0(VALU_DEP_2) | instskip(SKIP_1) | instid1(TRANS32_DEP_1)
	v_rcp_f32_e32 v93, v85
	v_nop
	v_fma_f32 v94, -v85, v93, 1.0
	s_delay_alu instid0(VALU_DEP_1) | instskip(NEXT) | instid1(VALU_DEP_1)
	v_fmac_f32_e32 v93, v94, v93
	v_mul_f32_e32 v94, v95, v93
	s_delay_alu instid0(VALU_DEP_1) | instskip(NEXT) | instid1(VALU_DEP_1)
	v_fma_f32 v96, -v85, v94, v95
	v_fmac_f32_e32 v94, v96, v93
	s_delay_alu instid0(VALU_DEP_1) | instskip(NEXT) | instid1(VALU_DEP_1)
	v_fma_f32 v85, -v85, v94, v95
	v_div_fmas_f32 v85, v85, v93, v94
	s_delay_alu instid0(VALU_DEP_1) | instskip(NEXT) | instid1(VALU_DEP_1)
	v_div_fixup_f32 v85, v85, v87, v86
	v_fmac_f32_e32 v87, v86, v85
	s_delay_alu instid0(VALU_DEP_1) | instskip(SKIP_1) | instid1(VALU_DEP_2)
	v_div_scale_f32 v86, null, v87, v87, 1.0
	v_div_scale_f32 v95, vcc_lo, 1.0, v87, 1.0
	v_rcp_f32_e32 v93, v86
	v_nop
	s_delay_alu instid0(TRANS32_DEP_1) | instskip(NEXT) | instid1(VALU_DEP_1)
	v_fma_f32 v94, -v86, v93, 1.0
	v_fmac_f32_e32 v93, v94, v93
	s_delay_alu instid0(VALU_DEP_1) | instskip(NEXT) | instid1(VALU_DEP_1)
	v_mul_f32_e32 v94, v95, v93
	v_fma_f32 v96, -v86, v94, v95
	s_delay_alu instid0(VALU_DEP_1) | instskip(NEXT) | instid1(VALU_DEP_1)
	v_fmac_f32_e32 v94, v96, v93
	v_fma_f32 v86, -v86, v94, v95
	s_delay_alu instid0(VALU_DEP_1) | instskip(NEXT) | instid1(VALU_DEP_1)
	v_div_fmas_f32 v86, v86, v93, v94
	v_div_fixup_f32 v87, v86, v87, 1.0
	s_delay_alu instid0(VALU_DEP_1)
	v_mul_f32_e32 v86, v85, v87
	v_xor_b32_e32 v87, 0x80000000, v87
.LBB76_364:
	s_and_not1_saveexec_b32 s1, s1
	s_cbranch_execz .LBB76_366
; %bb.365:
	s_delay_alu instid0(VALU_DEP_1) | instskip(SKIP_1) | instid1(VALU_DEP_2)
	v_div_scale_f32 v85, null, v86, v86, v87
	v_div_scale_f32 v95, vcc_lo, v87, v86, v87
	v_rcp_f32_e32 v93, v85
	v_nop
	s_delay_alu instid0(TRANS32_DEP_1) | instskip(NEXT) | instid1(VALU_DEP_1)
	v_fma_f32 v94, -v85, v93, 1.0
	v_fmac_f32_e32 v93, v94, v93
	s_delay_alu instid0(VALU_DEP_1) | instskip(NEXT) | instid1(VALU_DEP_1)
	v_mul_f32_e32 v94, v95, v93
	v_fma_f32 v96, -v85, v94, v95
	s_delay_alu instid0(VALU_DEP_1) | instskip(NEXT) | instid1(VALU_DEP_1)
	v_fmac_f32_e32 v94, v96, v93
	v_fma_f32 v85, -v85, v94, v95
	s_delay_alu instid0(VALU_DEP_1) | instskip(NEXT) | instid1(VALU_DEP_1)
	v_div_fmas_f32 v85, v85, v93, v94
	v_div_fixup_f32 v85, v85, v86, v87
	s_delay_alu instid0(VALU_DEP_1) | instskip(NEXT) | instid1(VALU_DEP_1)
	v_fmac_f32_e32 v86, v87, v85
	v_div_scale_f32 v87, null, v86, v86, 1.0
	s_delay_alu instid0(VALU_DEP_1) | instskip(SKIP_1) | instid1(TRANS32_DEP_1)
	v_rcp_f32_e32 v93, v87
	v_nop
	v_fma_f32 v94, -v87, v93, 1.0
	s_delay_alu instid0(VALU_DEP_1) | instskip(SKIP_1) | instid1(VALU_DEP_1)
	v_fmac_f32_e32 v93, v94, v93
	v_div_scale_f32 v94, vcc_lo, 1.0, v86, 1.0
	v_mul_f32_e32 v95, v94, v93
	s_delay_alu instid0(VALU_DEP_1) | instskip(NEXT) | instid1(VALU_DEP_1)
	v_fma_f32 v96, -v87, v95, v94
	v_fmac_f32_e32 v95, v96, v93
	s_delay_alu instid0(VALU_DEP_1) | instskip(NEXT) | instid1(VALU_DEP_1)
	v_fma_f32 v87, -v87, v95, v94
	v_div_fmas_f32 v87, v87, v93, v95
	s_delay_alu instid0(VALU_DEP_1) | instskip(NEXT) | instid1(VALU_DEP_1)
	v_div_fixup_f32 v86, v87, v86, 1.0
	v_mul_f32_e64 v87, v85, -v86
.LBB76_366:
	s_or_b32 exec_lo, exec_lo, s1
.LBB76_367:
	s_delay_alu instid0(SALU_CYCLE_1) | instskip(NEXT) | instid1(SALU_CYCLE_1)
	s_or_b32 exec_lo, exec_lo, s0
	s_mov_b32 s0, exec_lo
	v_cmpx_ne_u32_e64 v92, v84
	s_xor_b32 s0, exec_lo, s0
	s_cbranch_execz .LBB76_373
; %bb.368:
	s_mov_b32 s1, exec_lo
	v_cmpx_eq_u32_e32 17, v92
	s_cbranch_execz .LBB76_372
; %bb.369:
	v_cmp_ne_u32_e32 vcc_lo, 17, v84
	s_xor_b32 s12, s16, -1
	s_delay_alu instid0(SALU_CYCLE_1) | instskip(NEXT) | instid1(SALU_CYCLE_1)
	s_and_b32 s13, s12, vcc_lo
	s_and_saveexec_b32 s12, s13
	s_cbranch_execz .LBB76_371
; %bb.370:
	v_ashrrev_i32_e32 v85, 31, v84
	s_delay_alu instid0(VALU_DEP_1)
	v_lshl_add_u64 v[92:93], v[84:85], 2, v[4:5]
	s_clause 0x1
	global_load_b32 v85, v[92:93], off
	global_load_b32 v91, v[4:5], off offset:68
	s_wait_loadcnt 0x1
	global_store_b32 v[4:5], v85, off offset:68
	s_wait_loadcnt 0x0
	global_store_b32 v[92:93], v91, off
.LBB76_371:
	s_wait_xcnt 0x0
	s_or_b32 exec_lo, exec_lo, s12
	v_dual_mov_b32 v92, v84 :: v_dual_mov_b32 v91, v84
.LBB76_372:
	s_or_b32 exec_lo, exec_lo, s1
.LBB76_373:
	s_and_not1_saveexec_b32 s0, s0
	s_cbranch_execz .LBB76_375
; %bb.374:
	v_dual_mov_b32 v84, v32 :: v_dual_mov_b32 v85, v33
	v_dual_mov_b32 v92, v30 :: v_dual_mov_b32 v93, v31
	ds_store_2addr_b64 v88, v[84:85], v[92:93] offset0:18 offset1:19
	v_dual_mov_b32 v84, v64 :: v_dual_mov_b32 v85, v65
	v_dual_mov_b32 v92, v62 :: v_dual_mov_b32 v93, v63
	ds_store_2addr_b64 v88, v[84:85], v[92:93] offset0:20 offset1:21
	;; [unrolled: 3-line block ×10, first 2 shown]
	ds_store_b64 v88, v[82:83] offset:304
	v_mov_b32_e32 v92, 17
.LBB76_375:
	s_or_b32 exec_lo, exec_lo, s0
	s_delay_alu instid0(SALU_CYCLE_1)
	s_mov_b32 s0, exec_lo
	s_wait_storecnt_dscnt 0x0
	s_barrier_signal -1
	s_barrier_wait -1
	v_cmpx_lt_i32_e32 17, v92
	s_cbranch_execz .LBB76_377
; %bb.376:
	v_pk_mul_f32 v[94:95], v[86:87], v[66:67] op_sel:[1,1] op_sel_hi:[0,1]
	s_delay_alu instid0(VALU_DEP_1)
	v_pk_fma_f32 v[84:85], v[86:87], v[66:67], v[94:95] op_sel_hi:[1,0,1] neg_lo:[0,0,1] neg_hi:[0,0,1]
	v_pk_fma_f32 v[86:87], v[86:87], v[66:67], v[94:95] op_sel_hi:[1,0,1]
	ds_load_2addr_b64 v[94:97], v88 offset0:18 offset1:19
	v_dual_mov_b32 v66, v84 :: v_dual_mov_b32 v67, v87
	s_wait_dscnt 0x0
	v_pk_mul_f32 v[98:99], v[94:95], v[86:87] op_sel:[0,1]
	s_delay_alu instid0(VALU_DEP_1) | instskip(SKIP_1) | instid1(VALU_DEP_1)
	v_pk_fma_f32 v[100:101], v[94:95], v[84:85], v[98:99] op_sel:[0,0,1] op_sel_hi:[1,1,0] neg_lo:[0,0,1] neg_hi:[0,0,1]
	v_pk_fma_f32 v[94:95], v[94:95], v[84:85], v[98:99] op_sel:[0,0,1] op_sel_hi:[1,0,0]
	v_mov_b32_e32 v101, v95
	v_pk_mul_f32 v[94:95], v[96:97], v[86:87] op_sel:[0,1]
	s_delay_alu instid0(VALU_DEP_1) | instskip(SKIP_1) | instid1(VALU_DEP_1)
	v_pk_fma_f32 v[98:99], v[96:97], v[84:85], v[94:95] op_sel:[0,0,1] op_sel_hi:[1,1,0] neg_lo:[0,0,1] neg_hi:[0,0,1]
	v_pk_fma_f32 v[94:95], v[96:97], v[84:85], v[94:95] op_sel:[0,0,1] op_sel_hi:[1,0,0]
	v_mov_b32_e32 v99, v95
	ds_load_2addr_b64 v[94:97], v88 offset0:20 offset1:21
	v_pk_add_f32 v[32:33], v[32:33], v[100:101] neg_lo:[0,1] neg_hi:[0,1]
	v_pk_add_f32 v[30:31], v[30:31], v[98:99] neg_lo:[0,1] neg_hi:[0,1]
	s_wait_dscnt 0x0
	v_pk_mul_f32 v[98:99], v[94:95], v[86:87] op_sel:[0,1]
	s_delay_alu instid0(VALU_DEP_1) | instskip(SKIP_2) | instid1(VALU_DEP_2)
	v_pk_fma_f32 v[100:101], v[94:95], v[84:85], v[98:99] op_sel:[0,0,1] op_sel_hi:[1,1,0] neg_lo:[0,0,1] neg_hi:[0,0,1]
	v_pk_fma_f32 v[94:95], v[94:95], v[84:85], v[98:99] op_sel:[0,0,1] op_sel_hi:[1,0,0]
	v_dual_mul_f32 v98, v97, v87 :: v_dual_mov_b32 v94, v97
	v_dual_mov_b32 v101, v95 :: v_dual_mov_b32 v95, v96
	s_delay_alu instid0(VALU_DEP_2) | instskip(SKIP_1) | instid1(VALU_DEP_3)
	v_pk_fma_f32 v[98:99], v[96:97], v[66:67], v[98:99] op_sel_hi:[1,1,0] neg_lo:[0,0,1] neg_hi:[0,0,1]
	v_mul_f32_e32 v96, v97, v84
	v_pk_add_f32 v[64:65], v[64:65], v[100:101] neg_lo:[0,1] neg_hi:[0,1]
	s_delay_alu instid0(VALU_DEP_2) | instskip(NEXT) | instid1(VALU_DEP_1)
	v_pk_fma_f32 v[94:95], v[94:95], v[66:67], v[96:97] op_sel_hi:[1,1,0]
	v_mov_b32_e32 v99, v95
	ds_load_2addr_b64 v[94:97], v88 offset0:22 offset1:23
	v_pk_add_f32 v[62:63], v[62:63], v[98:99] neg_lo:[0,1] neg_hi:[0,1]
	s_wait_dscnt 0x0
	v_pk_mul_f32 v[98:99], v[94:95], v[86:87] op_sel:[0,1]
	s_delay_alu instid0(VALU_DEP_1) | instskip(SKIP_1) | instid1(VALU_DEP_1)
	v_pk_fma_f32 v[100:101], v[94:95], v[84:85], v[98:99] op_sel:[0,0,1] op_sel_hi:[1,1,0] neg_lo:[0,0,1] neg_hi:[0,0,1]
	v_pk_fma_f32 v[94:95], v[94:95], v[84:85], v[98:99] op_sel:[0,0,1] op_sel_hi:[1,0,0]
	v_mov_b32_e32 v101, v95
	v_pk_mul_f32 v[94:95], v[96:97], v[86:87] op_sel:[0,1]
	s_delay_alu instid0(VALU_DEP_1) | instskip(SKIP_1) | instid1(VALU_DEP_1)
	v_pk_fma_f32 v[98:99], v[96:97], v[84:85], v[94:95] op_sel:[0,0,1] op_sel_hi:[1,1,0] neg_lo:[0,0,1] neg_hi:[0,0,1]
	v_pk_fma_f32 v[94:95], v[96:97], v[84:85], v[94:95] op_sel:[0,0,1] op_sel_hi:[1,0,0]
	v_mov_b32_e32 v99, v95
	ds_load_2addr_b64 v[94:97], v88 offset0:24 offset1:25
	v_pk_add_f32 v[28:29], v[28:29], v[100:101] neg_lo:[0,1] neg_hi:[0,1]
	v_pk_add_f32 v[26:27], v[26:27], v[98:99] neg_lo:[0,1] neg_hi:[0,1]
	s_wait_dscnt 0x0
	v_pk_mul_f32 v[98:99], v[94:95], v[86:87] op_sel:[0,1]
	s_delay_alu instid0(VALU_DEP_1) | instskip(SKIP_1) | instid1(VALU_DEP_1)
	v_pk_fma_f32 v[100:101], v[94:95], v[84:85], v[98:99] op_sel:[0,0,1] op_sel_hi:[1,1,0] neg_lo:[0,0,1] neg_hi:[0,0,1]
	v_pk_fma_f32 v[94:95], v[94:95], v[84:85], v[98:99] op_sel:[0,0,1] op_sel_hi:[1,0,0]
	v_mov_b32_e32 v101, v95
	v_pk_mul_f32 v[94:95], v[96:97], v[86:87] op_sel:[0,1]
	s_delay_alu instid0(VALU_DEP_1) | instskip(SKIP_1) | instid1(VALU_DEP_1)
	v_pk_fma_f32 v[98:99], v[96:97], v[84:85], v[94:95] op_sel:[0,0,1] op_sel_hi:[1,1,0] neg_lo:[0,0,1] neg_hi:[0,0,1]
	v_pk_fma_f32 v[94:95], v[96:97], v[84:85], v[94:95] op_sel:[0,0,1] op_sel_hi:[1,0,0]
	v_mov_b32_e32 v99, v95
	ds_load_2addr_b64 v[94:97], v88 offset0:26 offset1:27
	v_pk_add_f32 v[60:61], v[60:61], v[100:101] neg_lo:[0,1] neg_hi:[0,1]
	v_pk_add_f32 v[58:59], v[58:59], v[98:99] neg_lo:[0,1] neg_hi:[0,1]
	s_wait_dscnt 0x0
	v_dual_mul_f32 v98, v95, v87 :: v_dual_mul_f32 v100, v95, v84
	s_delay_alu instid0(VALU_DEP_1) | instskip(NEXT) | instid1(VALU_DEP_2)
	v_pk_fma_f32 v[98:99], v[94:95], v[66:67], v[98:99] op_sel_hi:[1,1,0] neg_lo:[0,0,1] neg_hi:[0,0,1]
	v_pk_fma_f32 v[94:95], v[94:95], v[66:67], v[100:101] op_sel:[1,0,0] op_sel_hi:[0,1,0]
	s_delay_alu instid0(VALU_DEP_1) | instskip(SKIP_1) | instid1(VALU_DEP_2)
	v_mov_b32_e32 v99, v95
	v_pk_mul_f32 v[94:95], v[96:97], v[86:87] op_sel:[0,1]
	v_pk_add_f32 v[24:25], v[24:25], v[98:99] neg_lo:[0,1] neg_hi:[0,1]
	s_delay_alu instid0(VALU_DEP_2) | instskip(SKIP_1) | instid1(VALU_DEP_1)
	v_pk_fma_f32 v[98:99], v[96:97], v[84:85], v[94:95] op_sel:[0,0,1] op_sel_hi:[1,1,0] neg_lo:[0,0,1] neg_hi:[0,0,1]
	v_pk_fma_f32 v[94:95], v[96:97], v[84:85], v[94:95] op_sel:[0,0,1] op_sel_hi:[1,0,0]
	v_mov_b32_e32 v99, v95
	ds_load_2addr_b64 v[94:97], v88 offset0:28 offset1:29
	v_pk_add_f32 v[22:23], v[22:23], v[98:99] neg_lo:[0,1] neg_hi:[0,1]
	s_wait_dscnt 0x0
	v_pk_mul_f32 v[98:99], v[94:95], v[86:87] op_sel:[0,1]
	s_delay_alu instid0(VALU_DEP_1) | instskip(SKIP_1) | instid1(VALU_DEP_1)
	v_pk_fma_f32 v[100:101], v[94:95], v[84:85], v[98:99] op_sel:[0,0,1] op_sel_hi:[1,1,0] neg_lo:[0,0,1] neg_hi:[0,0,1]
	v_pk_fma_f32 v[94:95], v[94:95], v[84:85], v[98:99] op_sel:[0,0,1] op_sel_hi:[1,0,0]
	v_mov_b32_e32 v101, v95
	v_pk_mul_f32 v[94:95], v[96:97], v[86:87] op_sel:[0,1]
	s_delay_alu instid0(VALU_DEP_2) | instskip(NEXT) | instid1(VALU_DEP_2)
	v_pk_add_f32 v[48:49], v[48:49], v[100:101] neg_lo:[0,1] neg_hi:[0,1]
	v_pk_fma_f32 v[98:99], v[96:97], v[84:85], v[94:95] op_sel:[0,0,1] op_sel_hi:[1,1,0] neg_lo:[0,0,1] neg_hi:[0,0,1]
	v_pk_fma_f32 v[94:95], v[96:97], v[84:85], v[94:95] op_sel:[0,0,1] op_sel_hi:[1,0,0]
	s_delay_alu instid0(VALU_DEP_1) | instskip(SKIP_4) | instid1(VALU_DEP_1)
	v_mov_b32_e32 v99, v95
	ds_load_2addr_b64 v[94:97], v88 offset0:30 offset1:31
	v_pk_add_f32 v[46:47], v[46:47], v[98:99] neg_lo:[0,1] neg_hi:[0,1]
	s_wait_dscnt 0x0
	v_pk_mul_f32 v[98:99], v[94:95], v[86:87] op_sel:[0,1]
	v_pk_fma_f32 v[100:101], v[94:95], v[84:85], v[98:99] op_sel:[0,0,1] op_sel_hi:[1,1,0] neg_lo:[0,0,1] neg_hi:[0,0,1]
	v_pk_fma_f32 v[94:95], v[94:95], v[84:85], v[98:99] op_sel:[0,0,1] op_sel_hi:[1,0,0]
	v_dual_mul_f32 v98, v97, v87 :: v_dual_mov_b32 v94, v97
	s_delay_alu instid0(VALU_DEP_2) | instskip(NEXT) | instid1(VALU_DEP_2)
	v_dual_mov_b32 v101, v95 :: v_dual_mov_b32 v95, v96
	v_pk_fma_f32 v[98:99], v[96:97], v[66:67], v[98:99] op_sel_hi:[1,1,0] neg_lo:[0,0,1] neg_hi:[0,0,1]
	v_mul_f32_e32 v96, v97, v84
	s_delay_alu instid0(VALU_DEP_3) | instskip(NEXT) | instid1(VALU_DEP_2)
	v_pk_add_f32 v[10:11], v[10:11], v[100:101] neg_lo:[0,1] neg_hi:[0,1]
	v_pk_fma_f32 v[94:95], v[94:95], v[66:67], v[96:97] op_sel_hi:[1,1,0]
	s_delay_alu instid0(VALU_DEP_1) | instskip(SKIP_4) | instid1(VALU_DEP_1)
	v_mov_b32_e32 v99, v95
	ds_load_2addr_b64 v[94:97], v88 offset0:32 offset1:33
	v_pk_add_f32 v[6:7], v[6:7], v[98:99] neg_lo:[0,1] neg_hi:[0,1]
	s_wait_dscnt 0x0
	v_pk_mul_f32 v[98:99], v[94:95], v[86:87] op_sel:[0,1]
	v_pk_fma_f32 v[100:101], v[94:95], v[84:85], v[98:99] op_sel:[0,0,1] op_sel_hi:[1,1,0] neg_lo:[0,0,1] neg_hi:[0,0,1]
	v_pk_fma_f32 v[94:95], v[94:95], v[84:85], v[98:99] op_sel:[0,0,1] op_sel_hi:[1,0,0]
	s_delay_alu instid0(VALU_DEP_1) | instskip(SKIP_1) | instid1(VALU_DEP_1)
	v_mov_b32_e32 v101, v95
	v_pk_mul_f32 v[94:95], v[96:97], v[86:87] op_sel:[0,1]
	v_pk_fma_f32 v[98:99], v[96:97], v[84:85], v[94:95] op_sel:[0,0,1] op_sel_hi:[1,1,0] neg_lo:[0,0,1] neg_hi:[0,0,1]
	v_pk_fma_f32 v[94:95], v[96:97], v[84:85], v[94:95] op_sel:[0,0,1] op_sel_hi:[1,0,0]
	s_delay_alu instid0(VALU_DEP_1)
	v_mov_b32_e32 v99, v95
	ds_load_2addr_b64 v[94:97], v88 offset0:34 offset1:35
	v_pk_add_f32 v[44:45], v[44:45], v[100:101] neg_lo:[0,1] neg_hi:[0,1]
	v_pk_add_f32 v[42:43], v[42:43], v[98:99] neg_lo:[0,1] neg_hi:[0,1]
	s_wait_dscnt 0x0
	v_pk_mul_f32 v[98:99], v[94:95], v[86:87] op_sel:[0,1]
	s_delay_alu instid0(VALU_DEP_1) | instskip(SKIP_1) | instid1(VALU_DEP_1)
	v_pk_fma_f32 v[100:101], v[94:95], v[84:85], v[98:99] op_sel:[0,0,1] op_sel_hi:[1,1,0] neg_lo:[0,0,1] neg_hi:[0,0,1]
	v_pk_fma_f32 v[94:95], v[94:95], v[84:85], v[98:99] op_sel:[0,0,1] op_sel_hi:[1,0,0]
	v_mov_b32_e32 v101, v95
	v_pk_mul_f32 v[94:95], v[96:97], v[86:87] op_sel:[0,1]
	s_delay_alu instid0(VALU_DEP_1) | instskip(SKIP_1) | instid1(VALU_DEP_1)
	v_pk_fma_f32 v[98:99], v[96:97], v[84:85], v[94:95] op_sel:[0,0,1] op_sel_hi:[1,1,0] neg_lo:[0,0,1] neg_hi:[0,0,1]
	v_pk_fma_f32 v[94:95], v[96:97], v[84:85], v[94:95] op_sel:[0,0,1] op_sel_hi:[1,0,0]
	v_mov_b32_e32 v99, v95
	ds_load_2addr_b64 v[94:97], v88 offset0:36 offset1:37
	v_pk_add_f32 v[8:9], v[8:9], v[100:101] neg_lo:[0,1] neg_hi:[0,1]
	v_pk_add_f32 v[40:41], v[40:41], v[98:99] neg_lo:[0,1] neg_hi:[0,1]
	s_wait_dscnt 0x0
	v_dual_mul_f32 v98, v95, v87 :: v_dual_mul_f32 v100, v95, v84
	s_delay_alu instid0(VALU_DEP_1) | instskip(NEXT) | instid1(VALU_DEP_2)
	v_pk_fma_f32 v[98:99], v[94:95], v[66:67], v[98:99] op_sel_hi:[1,1,0] neg_lo:[0,0,1] neg_hi:[0,0,1]
	v_pk_fma_f32 v[94:95], v[94:95], v[66:67], v[100:101] op_sel:[1,0,0] op_sel_hi:[0,1,0]
	s_delay_alu instid0(VALU_DEP_1) | instskip(SKIP_1) | instid1(VALU_DEP_2)
	v_mov_b32_e32 v99, v95
	v_pk_mul_f32 v[94:95], v[96:97], v[86:87] op_sel:[0,1]
	v_pk_add_f32 v[34:35], v[34:35], v[98:99] neg_lo:[0,1] neg_hi:[0,1]
	s_delay_alu instid0(VALU_DEP_2) | instskip(SKIP_1) | instid1(VALU_DEP_1)
	v_pk_fma_f32 v[98:99], v[96:97], v[84:85], v[94:95] op_sel:[0,0,1] op_sel_hi:[1,1,0] neg_lo:[0,0,1] neg_hi:[0,0,1]
	v_pk_fma_f32 v[94:95], v[96:97], v[84:85], v[94:95] op_sel:[0,0,1] op_sel_hi:[1,0,0]
	v_mov_b32_e32 v99, v95
	ds_load_b64 v[94:95], v88 offset:304
	v_pk_add_f32 v[20:21], v[20:21], v[98:99] neg_lo:[0,1] neg_hi:[0,1]
	s_wait_dscnt 0x0
	v_pk_mul_f32 v[86:87], v[94:95], v[86:87] op_sel:[0,1]
	s_delay_alu instid0(VALU_DEP_1) | instskip(SKIP_1) | instid1(VALU_DEP_1)
	v_pk_fma_f32 v[96:97], v[94:95], v[84:85], v[86:87] op_sel:[0,0,1] op_sel_hi:[1,1,0] neg_lo:[0,0,1] neg_hi:[0,0,1]
	v_pk_fma_f32 v[84:85], v[94:95], v[84:85], v[86:87] op_sel:[0,0,1] op_sel_hi:[1,0,0]
	v_mov_b32_e32 v97, v85
	s_delay_alu instid0(VALU_DEP_1)
	v_pk_add_f32 v[82:83], v[82:83], v[96:97] neg_lo:[0,1] neg_hi:[0,1]
.LBB76_377:
	s_or_b32 exec_lo, exec_lo, s0
	v_lshl_add_u32 v84, v92, 3, v88
	s_barrier_signal -1
	s_barrier_wait -1
	ds_store_b64 v84, v[32:33]
	s_wait_dscnt 0x0
	s_barrier_signal -1
	s_barrier_wait -1
	ds_load_b64 v[86:87], v88 offset:144
	v_mov_b32_e32 v84, 18
	s_cmp_lt_i32 s18, 20
	s_cbranch_scc1 .LBB76_380
; %bb.378:
	v_add3_u32 v85, v89, 0, 0x98
	v_mov_b32_e32 v84, 18
	s_mov_b32 s0, 19
.LBB76_379:                             ; =>This Inner Loop Header: Depth=1
	ds_load_b64 v[94:95], v85
	s_wait_dscnt 0x1
	v_cmp_gt_f32_e32 vcc_lo, 0, v86
	v_cndmask_b32_e64 v96, v86, -v86, vcc_lo
	v_cmp_gt_f32_e32 vcc_lo, 0, v87
	v_cndmask_b32_e64 v98, v87, -v87, vcc_lo
	s_wait_dscnt 0x0
	v_cmp_gt_f32_e32 vcc_lo, 0, v94
	v_cndmask_b32_e64 v97, v94, -v94, vcc_lo
	v_cmp_gt_f32_e32 vcc_lo, 0, v95
	v_cndmask_b32_e64 v99, v95, -v95, vcc_lo
	s_delay_alu instid0(VALU_DEP_1) | instskip(NEXT) | instid1(VALU_DEP_1)
	v_pk_add_f32 v[96:97], v[96:97], v[98:99]
	v_cmp_lt_f32_e32 vcc_lo, v96, v97
	v_dual_add_nc_u32 v85, 8, v85 :: v_dual_cndmask_b32 v87, v87, v95, vcc_lo
	v_cndmask_b32_e32 v86, v86, v94, vcc_lo
	v_cndmask_b32_e64 v84, v84, s0, vcc_lo
	s_add_co_i32 s0, s0, 1
	s_delay_alu instid0(SALU_CYCLE_1)
	s_cmp_lg_u32 s18, s0
	s_cbranch_scc1 .LBB76_379
.LBB76_380:
	s_wait_dscnt 0x0
	v_cmp_eq_f32_e32 vcc_lo, 0, v86
	v_cmp_eq_f32_e64 s0, 0, v87
	s_and_b32 s0, vcc_lo, s0
	s_delay_alu instid0(SALU_CYCLE_1) | instskip(NEXT) | instid1(SALU_CYCLE_1)
	s_and_saveexec_b32 s1, s0
	s_xor_b32 s0, exec_lo, s1
; %bb.381:
	v_cmp_ne_u32_e32 vcc_lo, 0, v90
	v_cndmask_b32_e32 v90, 19, v90, vcc_lo
; %bb.382:
	s_and_not1_saveexec_b32 s0, s0
	s_cbranch_execz .LBB76_388
; %bb.383:
	v_cmp_ngt_f32_e64 s1, |v86|, |v87|
	s_and_saveexec_b32 s12, s1
	s_delay_alu instid0(SALU_CYCLE_1)
	s_xor_b32 s1, exec_lo, s12
	s_cbranch_execz .LBB76_385
; %bb.384:
	v_div_scale_f32 v85, null, v87, v87, v86
	v_div_scale_f32 v95, vcc_lo, v86, v87, v86
	s_delay_alu instid0(VALU_DEP_2) | instskip(SKIP_1) | instid1(TRANS32_DEP_1)
	v_rcp_f32_e32 v93, v85
	v_nop
	v_fma_f32 v94, -v85, v93, 1.0
	s_delay_alu instid0(VALU_DEP_1) | instskip(NEXT) | instid1(VALU_DEP_1)
	v_fmac_f32_e32 v93, v94, v93
	v_mul_f32_e32 v94, v95, v93
	s_delay_alu instid0(VALU_DEP_1) | instskip(NEXT) | instid1(VALU_DEP_1)
	v_fma_f32 v96, -v85, v94, v95
	v_fmac_f32_e32 v94, v96, v93
	s_delay_alu instid0(VALU_DEP_1) | instskip(NEXT) | instid1(VALU_DEP_1)
	v_fma_f32 v85, -v85, v94, v95
	v_div_fmas_f32 v85, v85, v93, v94
	s_delay_alu instid0(VALU_DEP_1) | instskip(NEXT) | instid1(VALU_DEP_1)
	v_div_fixup_f32 v85, v85, v87, v86
	v_fmac_f32_e32 v87, v86, v85
	s_delay_alu instid0(VALU_DEP_1) | instskip(SKIP_1) | instid1(VALU_DEP_2)
	v_div_scale_f32 v86, null, v87, v87, 1.0
	v_div_scale_f32 v95, vcc_lo, 1.0, v87, 1.0
	v_rcp_f32_e32 v93, v86
	v_nop
	s_delay_alu instid0(TRANS32_DEP_1) | instskip(NEXT) | instid1(VALU_DEP_1)
	v_fma_f32 v94, -v86, v93, 1.0
	v_fmac_f32_e32 v93, v94, v93
	s_delay_alu instid0(VALU_DEP_1) | instskip(NEXT) | instid1(VALU_DEP_1)
	v_mul_f32_e32 v94, v95, v93
	v_fma_f32 v96, -v86, v94, v95
	s_delay_alu instid0(VALU_DEP_1) | instskip(NEXT) | instid1(VALU_DEP_1)
	v_fmac_f32_e32 v94, v96, v93
	v_fma_f32 v86, -v86, v94, v95
	s_delay_alu instid0(VALU_DEP_1) | instskip(NEXT) | instid1(VALU_DEP_1)
	v_div_fmas_f32 v86, v86, v93, v94
	v_div_fixup_f32 v87, v86, v87, 1.0
	s_delay_alu instid0(VALU_DEP_1)
	v_mul_f32_e32 v86, v85, v87
	v_xor_b32_e32 v87, 0x80000000, v87
.LBB76_385:
	s_and_not1_saveexec_b32 s1, s1
	s_cbranch_execz .LBB76_387
; %bb.386:
	s_delay_alu instid0(VALU_DEP_1) | instskip(SKIP_1) | instid1(VALU_DEP_2)
	v_div_scale_f32 v85, null, v86, v86, v87
	v_div_scale_f32 v95, vcc_lo, v87, v86, v87
	v_rcp_f32_e32 v93, v85
	v_nop
	s_delay_alu instid0(TRANS32_DEP_1) | instskip(NEXT) | instid1(VALU_DEP_1)
	v_fma_f32 v94, -v85, v93, 1.0
	v_fmac_f32_e32 v93, v94, v93
	s_delay_alu instid0(VALU_DEP_1) | instskip(NEXT) | instid1(VALU_DEP_1)
	v_mul_f32_e32 v94, v95, v93
	v_fma_f32 v96, -v85, v94, v95
	s_delay_alu instid0(VALU_DEP_1) | instskip(NEXT) | instid1(VALU_DEP_1)
	v_fmac_f32_e32 v94, v96, v93
	v_fma_f32 v85, -v85, v94, v95
	s_delay_alu instid0(VALU_DEP_1) | instskip(NEXT) | instid1(VALU_DEP_1)
	v_div_fmas_f32 v85, v85, v93, v94
	v_div_fixup_f32 v85, v85, v86, v87
	s_delay_alu instid0(VALU_DEP_1) | instskip(NEXT) | instid1(VALU_DEP_1)
	v_fmac_f32_e32 v86, v87, v85
	v_div_scale_f32 v87, null, v86, v86, 1.0
	s_delay_alu instid0(VALU_DEP_1) | instskip(SKIP_1) | instid1(TRANS32_DEP_1)
	v_rcp_f32_e32 v93, v87
	v_nop
	v_fma_f32 v94, -v87, v93, 1.0
	s_delay_alu instid0(VALU_DEP_1) | instskip(SKIP_1) | instid1(VALU_DEP_1)
	v_fmac_f32_e32 v93, v94, v93
	v_div_scale_f32 v94, vcc_lo, 1.0, v86, 1.0
	v_mul_f32_e32 v95, v94, v93
	s_delay_alu instid0(VALU_DEP_1) | instskip(NEXT) | instid1(VALU_DEP_1)
	v_fma_f32 v96, -v87, v95, v94
	v_fmac_f32_e32 v95, v96, v93
	s_delay_alu instid0(VALU_DEP_1) | instskip(NEXT) | instid1(VALU_DEP_1)
	v_fma_f32 v87, -v87, v95, v94
	v_div_fmas_f32 v87, v87, v93, v95
	s_delay_alu instid0(VALU_DEP_1) | instskip(NEXT) | instid1(VALU_DEP_1)
	v_div_fixup_f32 v86, v87, v86, 1.0
	v_mul_f32_e64 v87, v85, -v86
.LBB76_387:
	s_or_b32 exec_lo, exec_lo, s1
.LBB76_388:
	s_delay_alu instid0(SALU_CYCLE_1) | instskip(NEXT) | instid1(SALU_CYCLE_1)
	s_or_b32 exec_lo, exec_lo, s0
	s_mov_b32 s0, exec_lo
	v_cmpx_ne_u32_e64 v92, v84
	s_xor_b32 s0, exec_lo, s0
	s_cbranch_execz .LBB76_394
; %bb.389:
	s_mov_b32 s1, exec_lo
	v_cmpx_eq_u32_e32 18, v92
	s_cbranch_execz .LBB76_393
; %bb.390:
	v_cmp_ne_u32_e32 vcc_lo, 18, v84
	s_xor_b32 s12, s16, -1
	s_delay_alu instid0(SALU_CYCLE_1) | instskip(NEXT) | instid1(SALU_CYCLE_1)
	s_and_b32 s13, s12, vcc_lo
	s_and_saveexec_b32 s12, s13
	s_cbranch_execz .LBB76_392
; %bb.391:
	v_ashrrev_i32_e32 v85, 31, v84
	s_delay_alu instid0(VALU_DEP_1)
	v_lshl_add_u64 v[92:93], v[84:85], 2, v[4:5]
	s_clause 0x1
	global_load_b32 v85, v[92:93], off
	global_load_b32 v91, v[4:5], off offset:72
	s_wait_loadcnt 0x1
	global_store_b32 v[4:5], v85, off offset:72
	s_wait_loadcnt 0x0
	global_store_b32 v[92:93], v91, off
.LBB76_392:
	s_wait_xcnt 0x0
	s_or_b32 exec_lo, exec_lo, s12
	v_dual_mov_b32 v92, v84 :: v_dual_mov_b32 v91, v84
.LBB76_393:
	s_or_b32 exec_lo, exec_lo, s1
.LBB76_394:
	s_and_not1_saveexec_b32 s0, s0
	s_cbranch_execz .LBB76_396
; %bb.395:
	v_mov_b32_e32 v92, 18
	ds_store_2addr_b64 v88, v[30:31], v[64:65] offset0:19 offset1:20
	ds_store_2addr_b64 v88, v[62:63], v[28:29] offset0:21 offset1:22
	;; [unrolled: 1-line block ×10, first 2 shown]
.LBB76_396:
	s_or_b32 exec_lo, exec_lo, s0
	s_delay_alu instid0(SALU_CYCLE_1)
	s_mov_b32 s0, exec_lo
	s_wait_storecnt_dscnt 0x0
	s_barrier_signal -1
	s_barrier_wait -1
	v_cmpx_lt_i32_e32 18, v92
	s_cbranch_execz .LBB76_398
; %bb.397:
	v_pk_mul_f32 v[94:95], v[86:87], v[32:33] op_sel:[1,1] op_sel_hi:[0,1]
	s_delay_alu instid0(VALU_DEP_1)
	v_pk_fma_f32 v[84:85], v[86:87], v[32:33], v[94:95] op_sel_hi:[1,0,1] neg_lo:[0,0,1] neg_hi:[0,0,1]
	v_pk_fma_f32 v[86:87], v[86:87], v[32:33], v[94:95] op_sel_hi:[1,0,1]
	ds_load_2addr_b64 v[94:97], v88 offset0:19 offset1:20
	v_dual_mov_b32 v32, v84 :: v_dual_mov_b32 v33, v87
	s_wait_dscnt 0x0
	v_pk_mul_f32 v[98:99], v[94:95], v[86:87] op_sel:[0,1]
	s_delay_alu instid0(VALU_DEP_1) | instskip(SKIP_1) | instid1(VALU_DEP_1)
	v_pk_fma_f32 v[100:101], v[94:95], v[84:85], v[98:99] op_sel:[0,0,1] op_sel_hi:[1,1,0] neg_lo:[0,0,1] neg_hi:[0,0,1]
	v_pk_fma_f32 v[94:95], v[94:95], v[84:85], v[98:99] op_sel:[0,0,1] op_sel_hi:[1,0,0]
	v_mov_b32_e32 v101, v95
	v_pk_mul_f32 v[94:95], v[96:97], v[86:87] op_sel:[0,1]
	s_delay_alu instid0(VALU_DEP_1) | instskip(SKIP_1) | instid1(VALU_DEP_1)
	v_pk_fma_f32 v[98:99], v[96:97], v[84:85], v[94:95] op_sel:[0,0,1] op_sel_hi:[1,1,0] neg_lo:[0,0,1] neg_hi:[0,0,1]
	v_pk_fma_f32 v[94:95], v[96:97], v[84:85], v[94:95] op_sel:[0,0,1] op_sel_hi:[1,0,0]
	v_mov_b32_e32 v99, v95
	ds_load_2addr_b64 v[94:97], v88 offset0:21 offset1:22
	v_pk_add_f32 v[30:31], v[30:31], v[100:101] neg_lo:[0,1] neg_hi:[0,1]
	v_pk_add_f32 v[64:65], v[64:65], v[98:99] neg_lo:[0,1] neg_hi:[0,1]
	s_wait_dscnt 0x0
	v_pk_mul_f32 v[98:99], v[94:95], v[86:87] op_sel:[0,1]
	s_delay_alu instid0(VALU_DEP_1) | instskip(SKIP_2) | instid1(VALU_DEP_2)
	v_pk_fma_f32 v[100:101], v[94:95], v[84:85], v[98:99] op_sel:[0,0,1] op_sel_hi:[1,1,0] neg_lo:[0,0,1] neg_hi:[0,0,1]
	v_pk_fma_f32 v[94:95], v[94:95], v[84:85], v[98:99] op_sel:[0,0,1] op_sel_hi:[1,0,0]
	v_dual_mul_f32 v98, v97, v87 :: v_dual_mov_b32 v94, v97
	v_dual_mov_b32 v101, v95 :: v_dual_mov_b32 v95, v96
	s_delay_alu instid0(VALU_DEP_2) | instskip(SKIP_1) | instid1(VALU_DEP_3)
	v_pk_fma_f32 v[98:99], v[96:97], v[32:33], v[98:99] op_sel_hi:[1,1,0] neg_lo:[0,0,1] neg_hi:[0,0,1]
	v_mul_f32_e32 v96, v97, v84
	v_pk_add_f32 v[62:63], v[62:63], v[100:101] neg_lo:[0,1] neg_hi:[0,1]
	s_delay_alu instid0(VALU_DEP_2) | instskip(NEXT) | instid1(VALU_DEP_1)
	v_pk_fma_f32 v[94:95], v[94:95], v[32:33], v[96:97] op_sel_hi:[1,1,0]
	v_mov_b32_e32 v99, v95
	ds_load_2addr_b64 v[94:97], v88 offset0:23 offset1:24
	v_pk_add_f32 v[28:29], v[28:29], v[98:99] neg_lo:[0,1] neg_hi:[0,1]
	s_wait_dscnt 0x0
	v_pk_mul_f32 v[98:99], v[94:95], v[86:87] op_sel:[0,1]
	s_delay_alu instid0(VALU_DEP_1) | instskip(SKIP_1) | instid1(VALU_DEP_1)
	v_pk_fma_f32 v[100:101], v[94:95], v[84:85], v[98:99] op_sel:[0,0,1] op_sel_hi:[1,1,0] neg_lo:[0,0,1] neg_hi:[0,0,1]
	v_pk_fma_f32 v[94:95], v[94:95], v[84:85], v[98:99] op_sel:[0,0,1] op_sel_hi:[1,0,0]
	v_mov_b32_e32 v101, v95
	v_pk_mul_f32 v[94:95], v[96:97], v[86:87] op_sel:[0,1]
	s_delay_alu instid0(VALU_DEP_1) | instskip(SKIP_1) | instid1(VALU_DEP_1)
	v_pk_fma_f32 v[98:99], v[96:97], v[84:85], v[94:95] op_sel:[0,0,1] op_sel_hi:[1,1,0] neg_lo:[0,0,1] neg_hi:[0,0,1]
	v_pk_fma_f32 v[94:95], v[96:97], v[84:85], v[94:95] op_sel:[0,0,1] op_sel_hi:[1,0,0]
	v_mov_b32_e32 v99, v95
	ds_load_2addr_b64 v[94:97], v88 offset0:25 offset1:26
	v_pk_add_f32 v[26:27], v[26:27], v[100:101] neg_lo:[0,1] neg_hi:[0,1]
	v_pk_add_f32 v[60:61], v[60:61], v[98:99] neg_lo:[0,1] neg_hi:[0,1]
	s_wait_dscnt 0x0
	v_pk_mul_f32 v[98:99], v[94:95], v[86:87] op_sel:[0,1]
	s_delay_alu instid0(VALU_DEP_1) | instskip(SKIP_1) | instid1(VALU_DEP_1)
	v_pk_fma_f32 v[100:101], v[94:95], v[84:85], v[98:99] op_sel:[0,0,1] op_sel_hi:[1,1,0] neg_lo:[0,0,1] neg_hi:[0,0,1]
	v_pk_fma_f32 v[94:95], v[94:95], v[84:85], v[98:99] op_sel:[0,0,1] op_sel_hi:[1,0,0]
	v_mov_b32_e32 v101, v95
	v_pk_mul_f32 v[94:95], v[96:97], v[86:87] op_sel:[0,1]
	s_delay_alu instid0(VALU_DEP_1) | instskip(SKIP_1) | instid1(VALU_DEP_1)
	v_pk_fma_f32 v[98:99], v[96:97], v[84:85], v[94:95] op_sel:[0,0,1] op_sel_hi:[1,1,0] neg_lo:[0,0,1] neg_hi:[0,0,1]
	v_pk_fma_f32 v[94:95], v[96:97], v[84:85], v[94:95] op_sel:[0,0,1] op_sel_hi:[1,0,0]
	v_mov_b32_e32 v99, v95
	ds_load_2addr_b64 v[94:97], v88 offset0:27 offset1:28
	v_pk_add_f32 v[58:59], v[58:59], v[100:101] neg_lo:[0,1] neg_hi:[0,1]
	v_pk_add_f32 v[24:25], v[24:25], v[98:99] neg_lo:[0,1] neg_hi:[0,1]
	s_wait_dscnt 0x0
	v_dual_mul_f32 v98, v95, v87 :: v_dual_mul_f32 v100, v95, v84
	s_delay_alu instid0(VALU_DEP_1) | instskip(NEXT) | instid1(VALU_DEP_2)
	v_pk_fma_f32 v[98:99], v[94:95], v[32:33], v[98:99] op_sel_hi:[1,1,0] neg_lo:[0,0,1] neg_hi:[0,0,1]
	v_pk_fma_f32 v[94:95], v[94:95], v[32:33], v[100:101] op_sel:[1,0,0] op_sel_hi:[0,1,0]
	s_delay_alu instid0(VALU_DEP_1) | instskip(SKIP_1) | instid1(VALU_DEP_2)
	v_mov_b32_e32 v99, v95
	v_pk_mul_f32 v[94:95], v[96:97], v[86:87] op_sel:[0,1]
	v_pk_add_f32 v[22:23], v[22:23], v[98:99] neg_lo:[0,1] neg_hi:[0,1]
	s_delay_alu instid0(VALU_DEP_2) | instskip(SKIP_1) | instid1(VALU_DEP_1)
	v_pk_fma_f32 v[98:99], v[96:97], v[84:85], v[94:95] op_sel:[0,0,1] op_sel_hi:[1,1,0] neg_lo:[0,0,1] neg_hi:[0,0,1]
	v_pk_fma_f32 v[94:95], v[96:97], v[84:85], v[94:95] op_sel:[0,0,1] op_sel_hi:[1,0,0]
	v_mov_b32_e32 v99, v95
	ds_load_2addr_b64 v[94:97], v88 offset0:29 offset1:30
	v_pk_add_f32 v[48:49], v[48:49], v[98:99] neg_lo:[0,1] neg_hi:[0,1]
	s_wait_dscnt 0x0
	v_pk_mul_f32 v[98:99], v[94:95], v[86:87] op_sel:[0,1]
	s_delay_alu instid0(VALU_DEP_1) | instskip(SKIP_1) | instid1(VALU_DEP_1)
	v_pk_fma_f32 v[100:101], v[94:95], v[84:85], v[98:99] op_sel:[0,0,1] op_sel_hi:[1,1,0] neg_lo:[0,0,1] neg_hi:[0,0,1]
	v_pk_fma_f32 v[94:95], v[94:95], v[84:85], v[98:99] op_sel:[0,0,1] op_sel_hi:[1,0,0]
	v_mov_b32_e32 v101, v95
	v_pk_mul_f32 v[94:95], v[96:97], v[86:87] op_sel:[0,1]
	s_delay_alu instid0(VALU_DEP_2) | instskip(NEXT) | instid1(VALU_DEP_2)
	v_pk_add_f32 v[46:47], v[46:47], v[100:101] neg_lo:[0,1] neg_hi:[0,1]
	v_pk_fma_f32 v[98:99], v[96:97], v[84:85], v[94:95] op_sel:[0,0,1] op_sel_hi:[1,1,0] neg_lo:[0,0,1] neg_hi:[0,0,1]
	v_pk_fma_f32 v[94:95], v[96:97], v[84:85], v[94:95] op_sel:[0,0,1] op_sel_hi:[1,0,0]
	s_delay_alu instid0(VALU_DEP_1) | instskip(SKIP_4) | instid1(VALU_DEP_1)
	v_mov_b32_e32 v99, v95
	ds_load_2addr_b64 v[94:97], v88 offset0:31 offset1:32
	v_pk_add_f32 v[10:11], v[10:11], v[98:99] neg_lo:[0,1] neg_hi:[0,1]
	s_wait_dscnt 0x0
	v_pk_mul_f32 v[98:99], v[94:95], v[86:87] op_sel:[0,1]
	v_pk_fma_f32 v[100:101], v[94:95], v[84:85], v[98:99] op_sel:[0,0,1] op_sel_hi:[1,1,0] neg_lo:[0,0,1] neg_hi:[0,0,1]
	v_pk_fma_f32 v[94:95], v[94:95], v[84:85], v[98:99] op_sel:[0,0,1] op_sel_hi:[1,0,0]
	v_dual_mul_f32 v98, v97, v87 :: v_dual_mov_b32 v94, v97
	s_delay_alu instid0(VALU_DEP_2) | instskip(NEXT) | instid1(VALU_DEP_2)
	v_dual_mov_b32 v101, v95 :: v_dual_mov_b32 v95, v96
	v_pk_fma_f32 v[98:99], v[96:97], v[32:33], v[98:99] op_sel_hi:[1,1,0] neg_lo:[0,0,1] neg_hi:[0,0,1]
	v_mul_f32_e32 v96, v97, v84
	s_delay_alu instid0(VALU_DEP_3) | instskip(NEXT) | instid1(VALU_DEP_2)
	v_pk_add_f32 v[6:7], v[6:7], v[100:101] neg_lo:[0,1] neg_hi:[0,1]
	v_pk_fma_f32 v[94:95], v[94:95], v[32:33], v[96:97] op_sel_hi:[1,1,0]
	s_delay_alu instid0(VALU_DEP_1) | instskip(SKIP_4) | instid1(VALU_DEP_1)
	v_mov_b32_e32 v99, v95
	ds_load_2addr_b64 v[94:97], v88 offset0:33 offset1:34
	v_pk_add_f32 v[44:45], v[44:45], v[98:99] neg_lo:[0,1] neg_hi:[0,1]
	s_wait_dscnt 0x0
	v_pk_mul_f32 v[98:99], v[94:95], v[86:87] op_sel:[0,1]
	v_pk_fma_f32 v[100:101], v[94:95], v[84:85], v[98:99] op_sel:[0,0,1] op_sel_hi:[1,1,0] neg_lo:[0,0,1] neg_hi:[0,0,1]
	v_pk_fma_f32 v[94:95], v[94:95], v[84:85], v[98:99] op_sel:[0,0,1] op_sel_hi:[1,0,0]
	s_delay_alu instid0(VALU_DEP_1) | instskip(SKIP_1) | instid1(VALU_DEP_1)
	v_mov_b32_e32 v101, v95
	v_pk_mul_f32 v[94:95], v[96:97], v[86:87] op_sel:[0,1]
	v_pk_fma_f32 v[98:99], v[96:97], v[84:85], v[94:95] op_sel:[0,0,1] op_sel_hi:[1,1,0] neg_lo:[0,0,1] neg_hi:[0,0,1]
	v_pk_fma_f32 v[94:95], v[96:97], v[84:85], v[94:95] op_sel:[0,0,1] op_sel_hi:[1,0,0]
	s_delay_alu instid0(VALU_DEP_1)
	v_mov_b32_e32 v99, v95
	ds_load_2addr_b64 v[94:97], v88 offset0:35 offset1:36
	v_pk_add_f32 v[42:43], v[42:43], v[100:101] neg_lo:[0,1] neg_hi:[0,1]
	v_pk_add_f32 v[8:9], v[8:9], v[98:99] neg_lo:[0,1] neg_hi:[0,1]
	s_wait_dscnt 0x0
	v_pk_mul_f32 v[98:99], v[94:95], v[86:87] op_sel:[0,1]
	s_delay_alu instid0(VALU_DEP_1) | instskip(SKIP_1) | instid1(VALU_DEP_1)
	v_pk_fma_f32 v[100:101], v[94:95], v[84:85], v[98:99] op_sel:[0,0,1] op_sel_hi:[1,1,0] neg_lo:[0,0,1] neg_hi:[0,0,1]
	v_pk_fma_f32 v[94:95], v[94:95], v[84:85], v[98:99] op_sel:[0,0,1] op_sel_hi:[1,0,0]
	v_mov_b32_e32 v101, v95
	v_pk_mul_f32 v[94:95], v[96:97], v[86:87] op_sel:[0,1]
	s_delay_alu instid0(VALU_DEP_1) | instskip(SKIP_1) | instid1(VALU_DEP_1)
	v_pk_fma_f32 v[98:99], v[96:97], v[84:85], v[94:95] op_sel:[0,0,1] op_sel_hi:[1,1,0] neg_lo:[0,0,1] neg_hi:[0,0,1]
	v_pk_fma_f32 v[94:95], v[96:97], v[84:85], v[94:95] op_sel:[0,0,1] op_sel_hi:[1,0,0]
	v_mov_b32_e32 v99, v95
	ds_load_2addr_b64 v[94:97], v88 offset0:37 offset1:38
	v_pk_add_f32 v[40:41], v[40:41], v[100:101] neg_lo:[0,1] neg_hi:[0,1]
	v_pk_add_f32 v[34:35], v[34:35], v[98:99] neg_lo:[0,1] neg_hi:[0,1]
	s_wait_dscnt 0x0
	v_dual_mul_f32 v98, v95, v87 :: v_dual_mul_f32 v100, v95, v84
	v_pk_mul_f32 v[86:87], v[96:97], v[86:87] op_sel:[0,1]
	s_delay_alu instid0(VALU_DEP_2) | instskip(NEXT) | instid1(VALU_DEP_3)
	v_pk_fma_f32 v[98:99], v[94:95], v[32:33], v[98:99] op_sel_hi:[1,1,0] neg_lo:[0,0,1] neg_hi:[0,0,1]
	v_pk_fma_f32 v[94:95], v[94:95], v[32:33], v[100:101] op_sel:[1,0,0] op_sel_hi:[0,1,0]
	s_delay_alu instid0(VALU_DEP_1) | instskip(NEXT) | instid1(VALU_DEP_4)
	v_mov_b32_e32 v99, v95
	v_pk_fma_f32 v[94:95], v[96:97], v[84:85], v[86:87] op_sel:[0,0,1] op_sel_hi:[1,1,0] neg_lo:[0,0,1] neg_hi:[0,0,1]
	v_pk_fma_f32 v[84:85], v[96:97], v[84:85], v[86:87] op_sel:[0,0,1] op_sel_hi:[1,0,0]
	s_delay_alu instid0(VALU_DEP_1) | instskip(NEXT) | instid1(VALU_DEP_4)
	v_mov_b32_e32 v95, v85
	v_pk_add_f32 v[20:21], v[20:21], v[98:99] neg_lo:[0,1] neg_hi:[0,1]
	s_delay_alu instid0(VALU_DEP_2)
	v_pk_add_f32 v[82:83], v[82:83], v[94:95] neg_lo:[0,1] neg_hi:[0,1]
.LBB76_398:
	s_or_b32 exec_lo, exec_lo, s0
	v_lshl_add_u32 v84, v92, 3, v88
	s_barrier_signal -1
	s_barrier_wait -1
	ds_store_b64 v84, v[30:31]
	s_wait_dscnt 0x0
	s_barrier_signal -1
	s_barrier_wait -1
	ds_load_b64 v[84:85], v88 offset:152
	v_mov_b32_e32 v86, 19
	s_cmp_lt_i32 s18, 21
	s_cbranch_scc1 .LBB76_401
; %bb.399:
	v_add3_u32 v87, v89, 0, 0xa0
	v_mov_b32_e32 v86, 19
	s_mov_b32 s0, 20
.LBB76_400:                             ; =>This Inner Loop Header: Depth=1
	ds_load_b64 v[94:95], v87
	s_wait_dscnt 0x1
	v_cmp_gt_f32_e32 vcc_lo, 0, v84
	v_cndmask_b32_e64 v96, v84, -v84, vcc_lo
	v_cmp_gt_f32_e32 vcc_lo, 0, v85
	v_cndmask_b32_e64 v98, v85, -v85, vcc_lo
	s_wait_dscnt 0x0
	v_cmp_gt_f32_e32 vcc_lo, 0, v94
	v_cndmask_b32_e64 v97, v94, -v94, vcc_lo
	v_cmp_gt_f32_e32 vcc_lo, 0, v95
	v_cndmask_b32_e64 v99, v95, -v95, vcc_lo
	s_delay_alu instid0(VALU_DEP_1) | instskip(NEXT) | instid1(VALU_DEP_1)
	v_pk_add_f32 v[96:97], v[96:97], v[98:99]
	v_cmp_lt_f32_e32 vcc_lo, v96, v97
	v_dual_cndmask_b32 v84, v84, v94 :: v_dual_add_nc_u32 v87, 8, v87
	v_cndmask_b32_e32 v85, v85, v95, vcc_lo
	v_cndmask_b32_e64 v86, v86, s0, vcc_lo
	s_add_co_i32 s0, s0, 1
	s_delay_alu instid0(SALU_CYCLE_1)
	s_cmp_lg_u32 s18, s0
	s_cbranch_scc1 .LBB76_400
.LBB76_401:
	s_wait_dscnt 0x0
	v_cmp_eq_f32_e32 vcc_lo, 0, v84
	v_cmp_eq_f32_e64 s0, 0, v85
	s_and_b32 s0, vcc_lo, s0
	s_delay_alu instid0(SALU_CYCLE_1) | instskip(NEXT) | instid1(SALU_CYCLE_1)
	s_and_saveexec_b32 s1, s0
	s_xor_b32 s0, exec_lo, s1
; %bb.402:
	v_cmp_ne_u32_e32 vcc_lo, 0, v90
	v_cndmask_b32_e32 v90, 20, v90, vcc_lo
; %bb.403:
	s_and_not1_saveexec_b32 s0, s0
	s_cbranch_execz .LBB76_409
; %bb.404:
	v_cmp_ngt_f32_e64 s1, |v84|, |v85|
	s_and_saveexec_b32 s12, s1
	s_delay_alu instid0(SALU_CYCLE_1)
	s_xor_b32 s1, exec_lo, s12
	s_cbranch_execz .LBB76_406
; %bb.405:
	v_div_scale_f32 v87, null, v85, v85, v84
	v_div_scale_f32 v95, vcc_lo, v84, v85, v84
	s_delay_alu instid0(VALU_DEP_2) | instskip(SKIP_1) | instid1(TRANS32_DEP_1)
	v_rcp_f32_e32 v93, v87
	v_nop
	v_fma_f32 v94, -v87, v93, 1.0
	s_delay_alu instid0(VALU_DEP_1) | instskip(NEXT) | instid1(VALU_DEP_1)
	v_fmac_f32_e32 v93, v94, v93
	v_mul_f32_e32 v94, v95, v93
	s_delay_alu instid0(VALU_DEP_1) | instskip(NEXT) | instid1(VALU_DEP_1)
	v_fma_f32 v96, -v87, v94, v95
	v_fmac_f32_e32 v94, v96, v93
	s_delay_alu instid0(VALU_DEP_1) | instskip(NEXT) | instid1(VALU_DEP_1)
	v_fma_f32 v87, -v87, v94, v95
	v_div_fmas_f32 v87, v87, v93, v94
	s_delay_alu instid0(VALU_DEP_1) | instskip(NEXT) | instid1(VALU_DEP_1)
	v_div_fixup_f32 v87, v87, v85, v84
	v_fmac_f32_e32 v85, v84, v87
	s_delay_alu instid0(VALU_DEP_1) | instskip(SKIP_1) | instid1(VALU_DEP_2)
	v_div_scale_f32 v84, null, v85, v85, 1.0
	v_div_scale_f32 v95, vcc_lo, 1.0, v85, 1.0
	v_rcp_f32_e32 v93, v84
	v_nop
	s_delay_alu instid0(TRANS32_DEP_1) | instskip(NEXT) | instid1(VALU_DEP_1)
	v_fma_f32 v94, -v84, v93, 1.0
	v_fmac_f32_e32 v93, v94, v93
	s_delay_alu instid0(VALU_DEP_1) | instskip(NEXT) | instid1(VALU_DEP_1)
	v_mul_f32_e32 v94, v95, v93
	v_fma_f32 v96, -v84, v94, v95
	s_delay_alu instid0(VALU_DEP_1) | instskip(NEXT) | instid1(VALU_DEP_1)
	v_fmac_f32_e32 v94, v96, v93
	v_fma_f32 v84, -v84, v94, v95
	s_delay_alu instid0(VALU_DEP_1) | instskip(NEXT) | instid1(VALU_DEP_1)
	v_div_fmas_f32 v84, v84, v93, v94
	v_div_fixup_f32 v85, v84, v85, 1.0
	s_delay_alu instid0(VALU_DEP_1)
	v_mul_f32_e32 v84, v87, v85
	v_xor_b32_e32 v85, 0x80000000, v85
.LBB76_406:
	s_and_not1_saveexec_b32 s1, s1
	s_cbranch_execz .LBB76_408
; %bb.407:
	s_delay_alu instid0(VALU_DEP_1) | instskip(SKIP_1) | instid1(VALU_DEP_2)
	v_div_scale_f32 v87, null, v84, v84, v85
	v_div_scale_f32 v95, vcc_lo, v85, v84, v85
	v_rcp_f32_e32 v93, v87
	v_nop
	s_delay_alu instid0(TRANS32_DEP_1) | instskip(NEXT) | instid1(VALU_DEP_1)
	v_fma_f32 v94, -v87, v93, 1.0
	v_fmac_f32_e32 v93, v94, v93
	s_delay_alu instid0(VALU_DEP_1) | instskip(NEXT) | instid1(VALU_DEP_1)
	v_mul_f32_e32 v94, v95, v93
	v_fma_f32 v96, -v87, v94, v95
	s_delay_alu instid0(VALU_DEP_1) | instskip(NEXT) | instid1(VALU_DEP_1)
	v_fmac_f32_e32 v94, v96, v93
	v_fma_f32 v87, -v87, v94, v95
	s_delay_alu instid0(VALU_DEP_1) | instskip(NEXT) | instid1(VALU_DEP_1)
	v_div_fmas_f32 v87, v87, v93, v94
	v_div_fixup_f32 v87, v87, v84, v85
	s_delay_alu instid0(VALU_DEP_1) | instskip(NEXT) | instid1(VALU_DEP_1)
	v_fmac_f32_e32 v84, v85, v87
	v_div_scale_f32 v85, null, v84, v84, 1.0
	s_delay_alu instid0(VALU_DEP_1) | instskip(SKIP_1) | instid1(TRANS32_DEP_1)
	v_rcp_f32_e32 v93, v85
	v_nop
	v_fma_f32 v94, -v85, v93, 1.0
	s_delay_alu instid0(VALU_DEP_1) | instskip(SKIP_1) | instid1(VALU_DEP_1)
	v_fmac_f32_e32 v93, v94, v93
	v_div_scale_f32 v94, vcc_lo, 1.0, v84, 1.0
	v_mul_f32_e32 v95, v94, v93
	s_delay_alu instid0(VALU_DEP_1) | instskip(NEXT) | instid1(VALU_DEP_1)
	v_fma_f32 v96, -v85, v95, v94
	v_fmac_f32_e32 v95, v96, v93
	s_delay_alu instid0(VALU_DEP_1) | instskip(NEXT) | instid1(VALU_DEP_1)
	v_fma_f32 v85, -v85, v95, v94
	v_div_fmas_f32 v85, v85, v93, v95
	s_delay_alu instid0(VALU_DEP_1) | instskip(NEXT) | instid1(VALU_DEP_1)
	v_div_fixup_f32 v84, v85, v84, 1.0
	v_mul_f32_e64 v85, v87, -v84
.LBB76_408:
	s_or_b32 exec_lo, exec_lo, s1
.LBB76_409:
	s_delay_alu instid0(SALU_CYCLE_1) | instskip(NEXT) | instid1(SALU_CYCLE_1)
	s_or_b32 exec_lo, exec_lo, s0
	s_mov_b32 s0, exec_lo
	v_cmpx_ne_u32_e64 v92, v86
	s_xor_b32 s0, exec_lo, s0
	s_cbranch_execz .LBB76_415
; %bb.410:
	s_mov_b32 s1, exec_lo
	v_cmpx_eq_u32_e32 19, v92
	s_cbranch_execz .LBB76_414
; %bb.411:
	v_cmp_ne_u32_e32 vcc_lo, 19, v86
	s_xor_b32 s12, s16, -1
	s_delay_alu instid0(SALU_CYCLE_1) | instskip(NEXT) | instid1(SALU_CYCLE_1)
	s_and_b32 s13, s12, vcc_lo
	s_and_saveexec_b32 s12, s13
	s_cbranch_execz .LBB76_413
; %bb.412:
	v_ashrrev_i32_e32 v87, 31, v86
	s_delay_alu instid0(VALU_DEP_1)
	v_lshl_add_u64 v[92:93], v[86:87], 2, v[4:5]
	s_clause 0x1
	global_load_b32 v87, v[92:93], off
	global_load_b32 v91, v[4:5], off offset:76
	s_wait_loadcnt 0x1
	global_store_b32 v[4:5], v87, off offset:76
	s_wait_loadcnt 0x0
	global_store_b32 v[92:93], v91, off
.LBB76_413:
	s_wait_xcnt 0x0
	s_or_b32 exec_lo, exec_lo, s12
	v_dual_mov_b32 v92, v86 :: v_dual_mov_b32 v91, v86
.LBB76_414:
	s_or_b32 exec_lo, exec_lo, s1
.LBB76_415:
	s_and_not1_saveexec_b32 s0, s0
	s_cbranch_execz .LBB76_417
; %bb.416:
	v_dual_mov_b32 v86, v64 :: v_dual_mov_b32 v87, v65
	v_dual_mov_b32 v92, v62 :: v_dual_mov_b32 v93, v63
	;; [unrolled: 1-line block ×8, first 2 shown]
	ds_store_2addr_b64 v88, v[86:87], v[92:93] offset0:20 offset1:21
	ds_store_2addr_b64 v88, v[94:95], v[96:97] offset0:22 offset1:23
	;; [unrolled: 1-line block ×4, first 2 shown]
	v_dual_mov_b32 v86, v48 :: v_dual_mov_b32 v87, v49
	v_dual_mov_b32 v92, v46 :: v_dual_mov_b32 v93, v47
	;; [unrolled: 1-line block ×6, first 2 shown]
	ds_store_2addr_b64 v88, v[86:87], v[92:93] offset0:28 offset1:29
	ds_store_2addr_b64 v88, v[94:95], v[96:97] offset0:30 offset1:31
	v_dual_mov_b32 v92, 19 :: v_dual_mov_b32 v102, v8
	v_dual_mov_b32 v103, v9 :: v_dual_mov_b32 v104, v40
	;; [unrolled: 1-line block ×4, first 2 shown]
	v_mov_b32_e32 v109, v21
	ds_store_2addr_b64 v88, v[98:99], v[100:101] offset0:32 offset1:33
	ds_store_2addr_b64 v88, v[102:103], v[104:105] offset0:34 offset1:35
	;; [unrolled: 1-line block ×3, first 2 shown]
	ds_store_b64 v88, v[82:83] offset:304
.LBB76_417:
	s_or_b32 exec_lo, exec_lo, s0
	s_delay_alu instid0(SALU_CYCLE_1)
	s_mov_b32 s0, exec_lo
	s_wait_storecnt_dscnt 0x0
	s_barrier_signal -1
	s_barrier_wait -1
	v_cmpx_lt_i32_e32 19, v92
	s_cbranch_execz .LBB76_419
; %bb.418:
	v_pk_mul_f32 v[94:95], v[84:85], v[30:31] op_sel:[1,1] op_sel_hi:[0,1]
	s_delay_alu instid0(VALU_DEP_1)
	v_pk_fma_f32 v[86:87], v[84:85], v[30:31], v[94:95] op_sel_hi:[1,0,1] neg_lo:[0,0,1] neg_hi:[0,0,1]
	v_pk_fma_f32 v[84:85], v[84:85], v[30:31], v[94:95] op_sel_hi:[1,0,1]
	ds_load_2addr_b64 v[94:97], v88 offset0:20 offset1:21
	v_dual_mov_b32 v30, v86 :: v_dual_mov_b32 v31, v85
	s_wait_dscnt 0x0
	v_pk_mul_f32 v[98:99], v[94:95], v[84:85] op_sel:[0,1]
	s_delay_alu instid0(VALU_DEP_1) | instskip(SKIP_1) | instid1(VALU_DEP_1)
	v_pk_fma_f32 v[100:101], v[94:95], v[86:87], v[98:99] op_sel:[0,0,1] op_sel_hi:[1,1,0] neg_lo:[0,0,1] neg_hi:[0,0,1]
	v_pk_fma_f32 v[94:95], v[94:95], v[86:87], v[98:99] op_sel:[0,0,1] op_sel_hi:[1,0,0]
	v_mov_b32_e32 v101, v95
	v_pk_mul_f32 v[94:95], v[96:97], v[84:85] op_sel:[0,1]
	s_delay_alu instid0(VALU_DEP_1) | instskip(SKIP_1) | instid1(VALU_DEP_1)
	v_pk_fma_f32 v[98:99], v[96:97], v[86:87], v[94:95] op_sel:[0,0,1] op_sel_hi:[1,1,0] neg_lo:[0,0,1] neg_hi:[0,0,1]
	v_pk_fma_f32 v[94:95], v[96:97], v[86:87], v[94:95] op_sel:[0,0,1] op_sel_hi:[1,0,0]
	v_mov_b32_e32 v99, v95
	ds_load_2addr_b64 v[94:97], v88 offset0:22 offset1:23
	v_pk_add_f32 v[64:65], v[64:65], v[100:101] neg_lo:[0,1] neg_hi:[0,1]
	v_pk_add_f32 v[62:63], v[62:63], v[98:99] neg_lo:[0,1] neg_hi:[0,1]
	s_wait_dscnt 0x0
	v_pk_mul_f32 v[98:99], v[94:95], v[84:85] op_sel:[0,1]
	s_delay_alu instid0(VALU_DEP_1) | instskip(SKIP_2) | instid1(VALU_DEP_2)
	v_pk_fma_f32 v[100:101], v[94:95], v[86:87], v[98:99] op_sel:[0,0,1] op_sel_hi:[1,1,0] neg_lo:[0,0,1] neg_hi:[0,0,1]
	v_pk_fma_f32 v[94:95], v[94:95], v[86:87], v[98:99] op_sel:[0,0,1] op_sel_hi:[1,0,0]
	v_dual_mul_f32 v98, v97, v85 :: v_dual_mov_b32 v94, v97
	v_dual_mov_b32 v101, v95 :: v_dual_mov_b32 v95, v96
	s_delay_alu instid0(VALU_DEP_2) | instskip(SKIP_1) | instid1(VALU_DEP_3)
	v_pk_fma_f32 v[98:99], v[96:97], v[30:31], v[98:99] op_sel_hi:[1,1,0] neg_lo:[0,0,1] neg_hi:[0,0,1]
	v_mul_f32_e32 v96, v97, v86
	v_pk_add_f32 v[28:29], v[28:29], v[100:101] neg_lo:[0,1] neg_hi:[0,1]
	s_delay_alu instid0(VALU_DEP_2) | instskip(NEXT) | instid1(VALU_DEP_1)
	v_pk_fma_f32 v[94:95], v[94:95], v[30:31], v[96:97] op_sel_hi:[1,1,0]
	v_mov_b32_e32 v99, v95
	ds_load_2addr_b64 v[94:97], v88 offset0:24 offset1:25
	v_pk_add_f32 v[26:27], v[26:27], v[98:99] neg_lo:[0,1] neg_hi:[0,1]
	s_wait_dscnt 0x0
	v_pk_mul_f32 v[98:99], v[94:95], v[84:85] op_sel:[0,1]
	s_delay_alu instid0(VALU_DEP_1) | instskip(SKIP_1) | instid1(VALU_DEP_1)
	v_pk_fma_f32 v[100:101], v[94:95], v[86:87], v[98:99] op_sel:[0,0,1] op_sel_hi:[1,1,0] neg_lo:[0,0,1] neg_hi:[0,0,1]
	v_pk_fma_f32 v[94:95], v[94:95], v[86:87], v[98:99] op_sel:[0,0,1] op_sel_hi:[1,0,0]
	v_mov_b32_e32 v101, v95
	v_pk_mul_f32 v[94:95], v[96:97], v[84:85] op_sel:[0,1]
	s_delay_alu instid0(VALU_DEP_1) | instskip(SKIP_1) | instid1(VALU_DEP_1)
	v_pk_fma_f32 v[98:99], v[96:97], v[86:87], v[94:95] op_sel:[0,0,1] op_sel_hi:[1,1,0] neg_lo:[0,0,1] neg_hi:[0,0,1]
	v_pk_fma_f32 v[94:95], v[96:97], v[86:87], v[94:95] op_sel:[0,0,1] op_sel_hi:[1,0,0]
	v_mov_b32_e32 v99, v95
	ds_load_2addr_b64 v[94:97], v88 offset0:26 offset1:27
	v_pk_add_f32 v[60:61], v[60:61], v[100:101] neg_lo:[0,1] neg_hi:[0,1]
	v_pk_add_f32 v[58:59], v[58:59], v[98:99] neg_lo:[0,1] neg_hi:[0,1]
	s_wait_dscnt 0x0
	v_pk_mul_f32 v[98:99], v[94:95], v[84:85] op_sel:[0,1]
	s_delay_alu instid0(VALU_DEP_1) | instskip(SKIP_1) | instid1(VALU_DEP_1)
	v_pk_fma_f32 v[100:101], v[94:95], v[86:87], v[98:99] op_sel:[0,0,1] op_sel_hi:[1,1,0] neg_lo:[0,0,1] neg_hi:[0,0,1]
	v_pk_fma_f32 v[94:95], v[94:95], v[86:87], v[98:99] op_sel:[0,0,1] op_sel_hi:[1,0,0]
	v_mov_b32_e32 v101, v95
	v_pk_mul_f32 v[94:95], v[96:97], v[84:85] op_sel:[0,1]
	s_delay_alu instid0(VALU_DEP_1) | instskip(SKIP_1) | instid1(VALU_DEP_1)
	v_pk_fma_f32 v[98:99], v[96:97], v[86:87], v[94:95] op_sel:[0,0,1] op_sel_hi:[1,1,0] neg_lo:[0,0,1] neg_hi:[0,0,1]
	v_pk_fma_f32 v[94:95], v[96:97], v[86:87], v[94:95] op_sel:[0,0,1] op_sel_hi:[1,0,0]
	v_mov_b32_e32 v99, v95
	ds_load_2addr_b64 v[94:97], v88 offset0:28 offset1:29
	v_pk_add_f32 v[24:25], v[24:25], v[100:101] neg_lo:[0,1] neg_hi:[0,1]
	v_pk_add_f32 v[22:23], v[22:23], v[98:99] neg_lo:[0,1] neg_hi:[0,1]
	s_wait_dscnt 0x0
	v_dual_mul_f32 v98, v95, v85 :: v_dual_mul_f32 v100, v95, v86
	s_delay_alu instid0(VALU_DEP_1) | instskip(NEXT) | instid1(VALU_DEP_2)
	v_pk_fma_f32 v[98:99], v[94:95], v[30:31], v[98:99] op_sel_hi:[1,1,0] neg_lo:[0,0,1] neg_hi:[0,0,1]
	v_pk_fma_f32 v[94:95], v[94:95], v[30:31], v[100:101] op_sel:[1,0,0] op_sel_hi:[0,1,0]
	s_delay_alu instid0(VALU_DEP_1) | instskip(SKIP_1) | instid1(VALU_DEP_2)
	v_mov_b32_e32 v99, v95
	v_pk_mul_f32 v[94:95], v[96:97], v[84:85] op_sel:[0,1]
	v_pk_add_f32 v[48:49], v[48:49], v[98:99] neg_lo:[0,1] neg_hi:[0,1]
	s_delay_alu instid0(VALU_DEP_2) | instskip(SKIP_1) | instid1(VALU_DEP_1)
	v_pk_fma_f32 v[98:99], v[96:97], v[86:87], v[94:95] op_sel:[0,0,1] op_sel_hi:[1,1,0] neg_lo:[0,0,1] neg_hi:[0,0,1]
	v_pk_fma_f32 v[94:95], v[96:97], v[86:87], v[94:95] op_sel:[0,0,1] op_sel_hi:[1,0,0]
	v_mov_b32_e32 v99, v95
	ds_load_2addr_b64 v[94:97], v88 offset0:30 offset1:31
	v_pk_add_f32 v[46:47], v[46:47], v[98:99] neg_lo:[0,1] neg_hi:[0,1]
	s_wait_dscnt 0x0
	v_pk_mul_f32 v[98:99], v[94:95], v[84:85] op_sel:[0,1]
	s_delay_alu instid0(VALU_DEP_1) | instskip(SKIP_1) | instid1(VALU_DEP_1)
	v_pk_fma_f32 v[100:101], v[94:95], v[86:87], v[98:99] op_sel:[0,0,1] op_sel_hi:[1,1,0] neg_lo:[0,0,1] neg_hi:[0,0,1]
	v_pk_fma_f32 v[94:95], v[94:95], v[86:87], v[98:99] op_sel:[0,0,1] op_sel_hi:[1,0,0]
	v_mov_b32_e32 v101, v95
	v_pk_mul_f32 v[94:95], v[96:97], v[84:85] op_sel:[0,1]
	s_delay_alu instid0(VALU_DEP_2) | instskip(NEXT) | instid1(VALU_DEP_2)
	v_pk_add_f32 v[10:11], v[10:11], v[100:101] neg_lo:[0,1] neg_hi:[0,1]
	v_pk_fma_f32 v[98:99], v[96:97], v[86:87], v[94:95] op_sel:[0,0,1] op_sel_hi:[1,1,0] neg_lo:[0,0,1] neg_hi:[0,0,1]
	v_pk_fma_f32 v[94:95], v[96:97], v[86:87], v[94:95] op_sel:[0,0,1] op_sel_hi:[1,0,0]
	s_delay_alu instid0(VALU_DEP_1) | instskip(SKIP_4) | instid1(VALU_DEP_1)
	v_mov_b32_e32 v99, v95
	ds_load_2addr_b64 v[94:97], v88 offset0:32 offset1:33
	v_pk_add_f32 v[6:7], v[6:7], v[98:99] neg_lo:[0,1] neg_hi:[0,1]
	s_wait_dscnt 0x0
	v_pk_mul_f32 v[98:99], v[94:95], v[84:85] op_sel:[0,1]
	v_pk_fma_f32 v[100:101], v[94:95], v[86:87], v[98:99] op_sel:[0,0,1] op_sel_hi:[1,1,0] neg_lo:[0,0,1] neg_hi:[0,0,1]
	v_pk_fma_f32 v[94:95], v[94:95], v[86:87], v[98:99] op_sel:[0,0,1] op_sel_hi:[1,0,0]
	v_dual_mul_f32 v98, v97, v85 :: v_dual_mov_b32 v94, v97
	s_delay_alu instid0(VALU_DEP_2) | instskip(NEXT) | instid1(VALU_DEP_2)
	v_dual_mov_b32 v101, v95 :: v_dual_mov_b32 v95, v96
	v_pk_fma_f32 v[98:99], v[96:97], v[30:31], v[98:99] op_sel_hi:[1,1,0] neg_lo:[0,0,1] neg_hi:[0,0,1]
	v_mul_f32_e32 v96, v97, v86
	s_delay_alu instid0(VALU_DEP_3) | instskip(NEXT) | instid1(VALU_DEP_2)
	v_pk_add_f32 v[44:45], v[44:45], v[100:101] neg_lo:[0,1] neg_hi:[0,1]
	v_pk_fma_f32 v[94:95], v[94:95], v[30:31], v[96:97] op_sel_hi:[1,1,0]
	s_delay_alu instid0(VALU_DEP_1) | instskip(SKIP_4) | instid1(VALU_DEP_1)
	v_mov_b32_e32 v99, v95
	ds_load_2addr_b64 v[94:97], v88 offset0:34 offset1:35
	v_pk_add_f32 v[42:43], v[42:43], v[98:99] neg_lo:[0,1] neg_hi:[0,1]
	s_wait_dscnt 0x0
	v_pk_mul_f32 v[98:99], v[94:95], v[84:85] op_sel:[0,1]
	v_pk_fma_f32 v[100:101], v[94:95], v[86:87], v[98:99] op_sel:[0,0,1] op_sel_hi:[1,1,0] neg_lo:[0,0,1] neg_hi:[0,0,1]
	v_pk_fma_f32 v[94:95], v[94:95], v[86:87], v[98:99] op_sel:[0,0,1] op_sel_hi:[1,0,0]
	s_delay_alu instid0(VALU_DEP_1) | instskip(SKIP_1) | instid1(VALU_DEP_1)
	v_mov_b32_e32 v101, v95
	v_pk_mul_f32 v[94:95], v[96:97], v[84:85] op_sel:[0,1]
	v_pk_fma_f32 v[98:99], v[96:97], v[86:87], v[94:95] op_sel:[0,0,1] op_sel_hi:[1,1,0] neg_lo:[0,0,1] neg_hi:[0,0,1]
	v_pk_fma_f32 v[94:95], v[96:97], v[86:87], v[94:95] op_sel:[0,0,1] op_sel_hi:[1,0,0]
	s_delay_alu instid0(VALU_DEP_1)
	v_mov_b32_e32 v99, v95
	ds_load_2addr_b64 v[94:97], v88 offset0:36 offset1:37
	v_pk_add_f32 v[8:9], v[8:9], v[100:101] neg_lo:[0,1] neg_hi:[0,1]
	v_pk_add_f32 v[40:41], v[40:41], v[98:99] neg_lo:[0,1] neg_hi:[0,1]
	s_wait_dscnt 0x0
	v_pk_mul_f32 v[98:99], v[94:95], v[84:85] op_sel:[0,1]
	s_delay_alu instid0(VALU_DEP_1) | instskip(SKIP_1) | instid1(VALU_DEP_1)
	v_pk_fma_f32 v[100:101], v[94:95], v[86:87], v[98:99] op_sel:[0,0,1] op_sel_hi:[1,1,0] neg_lo:[0,0,1] neg_hi:[0,0,1]
	v_pk_fma_f32 v[94:95], v[94:95], v[86:87], v[98:99] op_sel:[0,0,1] op_sel_hi:[1,0,0]
	v_mov_b32_e32 v101, v95
	v_pk_mul_f32 v[94:95], v[96:97], v[84:85] op_sel:[0,1]
	s_delay_alu instid0(VALU_DEP_1) | instskip(SKIP_1) | instid1(VALU_DEP_1)
	v_pk_fma_f32 v[98:99], v[96:97], v[86:87], v[94:95] op_sel:[0,0,1] op_sel_hi:[1,1,0] neg_lo:[0,0,1] neg_hi:[0,0,1]
	v_pk_fma_f32 v[94:95], v[96:97], v[86:87], v[94:95] op_sel:[0,0,1] op_sel_hi:[1,0,0]
	v_mov_b32_e32 v99, v95
	ds_load_b64 v[94:95], v88 offset:304
	v_pk_add_f32 v[34:35], v[34:35], v[100:101] neg_lo:[0,1] neg_hi:[0,1]
	v_pk_add_f32 v[20:21], v[20:21], v[98:99] neg_lo:[0,1] neg_hi:[0,1]
	s_wait_dscnt 0x0
	v_pk_mul_f32 v[84:85], v[94:95], v[84:85] op_sel:[0,1]
	s_delay_alu instid0(VALU_DEP_1) | instskip(SKIP_1) | instid1(VALU_DEP_1)
	v_pk_fma_f32 v[96:97], v[94:95], v[86:87], v[84:85] op_sel:[0,0,1] op_sel_hi:[1,1,0] neg_lo:[0,0,1] neg_hi:[0,0,1]
	v_pk_fma_f32 v[84:85], v[94:95], v[86:87], v[84:85] op_sel:[0,0,1] op_sel_hi:[1,0,0]
	v_mov_b32_e32 v97, v85
	s_delay_alu instid0(VALU_DEP_1)
	v_pk_add_f32 v[82:83], v[82:83], v[96:97] neg_lo:[0,1] neg_hi:[0,1]
.LBB76_419:
	s_or_b32 exec_lo, exec_lo, s0
	v_lshl_add_u32 v84, v92, 3, v88
	s_barrier_signal -1
	s_barrier_wait -1
	ds_store_b64 v84, v[64:65]
	s_wait_dscnt 0x0
	s_barrier_signal -1
	s_barrier_wait -1
	ds_load_b64 v[84:85], v88 offset:160
	v_mov_b32_e32 v86, 20
	s_cmp_lt_i32 s18, 22
	s_cbranch_scc1 .LBB76_422
; %bb.420:
	v_add3_u32 v87, v89, 0, 0xa8
	v_mov_b32_e32 v86, 20
	s_mov_b32 s0, 21
.LBB76_421:                             ; =>This Inner Loop Header: Depth=1
	ds_load_b64 v[94:95], v87
	s_wait_dscnt 0x1
	v_cmp_gt_f32_e32 vcc_lo, 0, v84
	v_cndmask_b32_e64 v96, v84, -v84, vcc_lo
	v_cmp_gt_f32_e32 vcc_lo, 0, v85
	v_cndmask_b32_e64 v98, v85, -v85, vcc_lo
	s_wait_dscnt 0x0
	v_cmp_gt_f32_e32 vcc_lo, 0, v94
	v_cndmask_b32_e64 v97, v94, -v94, vcc_lo
	v_cmp_gt_f32_e32 vcc_lo, 0, v95
	v_cndmask_b32_e64 v99, v95, -v95, vcc_lo
	s_delay_alu instid0(VALU_DEP_1) | instskip(NEXT) | instid1(VALU_DEP_1)
	v_pk_add_f32 v[96:97], v[96:97], v[98:99]
	v_cmp_lt_f32_e32 vcc_lo, v96, v97
	v_dual_cndmask_b32 v84, v84, v94 :: v_dual_add_nc_u32 v87, 8, v87
	v_cndmask_b32_e32 v85, v85, v95, vcc_lo
	v_cndmask_b32_e64 v86, v86, s0, vcc_lo
	s_add_co_i32 s0, s0, 1
	s_delay_alu instid0(SALU_CYCLE_1)
	s_cmp_lg_u32 s18, s0
	s_cbranch_scc1 .LBB76_421
.LBB76_422:
	s_wait_dscnt 0x0
	v_cmp_eq_f32_e32 vcc_lo, 0, v84
	v_cmp_eq_f32_e64 s0, 0, v85
	s_and_b32 s0, vcc_lo, s0
	s_delay_alu instid0(SALU_CYCLE_1) | instskip(NEXT) | instid1(SALU_CYCLE_1)
	s_and_saveexec_b32 s1, s0
	s_xor_b32 s0, exec_lo, s1
; %bb.423:
	v_cmp_ne_u32_e32 vcc_lo, 0, v90
	v_cndmask_b32_e32 v90, 21, v90, vcc_lo
; %bb.424:
	s_and_not1_saveexec_b32 s0, s0
	s_cbranch_execz .LBB76_430
; %bb.425:
	v_cmp_ngt_f32_e64 s1, |v84|, |v85|
	s_and_saveexec_b32 s12, s1
	s_delay_alu instid0(SALU_CYCLE_1)
	s_xor_b32 s1, exec_lo, s12
	s_cbranch_execz .LBB76_427
; %bb.426:
	v_div_scale_f32 v87, null, v85, v85, v84
	v_div_scale_f32 v95, vcc_lo, v84, v85, v84
	s_delay_alu instid0(VALU_DEP_2) | instskip(SKIP_1) | instid1(TRANS32_DEP_1)
	v_rcp_f32_e32 v93, v87
	v_nop
	v_fma_f32 v94, -v87, v93, 1.0
	s_delay_alu instid0(VALU_DEP_1) | instskip(NEXT) | instid1(VALU_DEP_1)
	v_fmac_f32_e32 v93, v94, v93
	v_mul_f32_e32 v94, v95, v93
	s_delay_alu instid0(VALU_DEP_1) | instskip(NEXT) | instid1(VALU_DEP_1)
	v_fma_f32 v96, -v87, v94, v95
	v_fmac_f32_e32 v94, v96, v93
	s_delay_alu instid0(VALU_DEP_1) | instskip(NEXT) | instid1(VALU_DEP_1)
	v_fma_f32 v87, -v87, v94, v95
	v_div_fmas_f32 v87, v87, v93, v94
	s_delay_alu instid0(VALU_DEP_1) | instskip(NEXT) | instid1(VALU_DEP_1)
	v_div_fixup_f32 v87, v87, v85, v84
	v_fmac_f32_e32 v85, v84, v87
	s_delay_alu instid0(VALU_DEP_1) | instskip(SKIP_1) | instid1(VALU_DEP_2)
	v_div_scale_f32 v84, null, v85, v85, 1.0
	v_div_scale_f32 v95, vcc_lo, 1.0, v85, 1.0
	v_rcp_f32_e32 v93, v84
	v_nop
	s_delay_alu instid0(TRANS32_DEP_1) | instskip(NEXT) | instid1(VALU_DEP_1)
	v_fma_f32 v94, -v84, v93, 1.0
	v_fmac_f32_e32 v93, v94, v93
	s_delay_alu instid0(VALU_DEP_1) | instskip(NEXT) | instid1(VALU_DEP_1)
	v_mul_f32_e32 v94, v95, v93
	v_fma_f32 v96, -v84, v94, v95
	s_delay_alu instid0(VALU_DEP_1) | instskip(NEXT) | instid1(VALU_DEP_1)
	v_fmac_f32_e32 v94, v96, v93
	v_fma_f32 v84, -v84, v94, v95
	s_delay_alu instid0(VALU_DEP_1) | instskip(NEXT) | instid1(VALU_DEP_1)
	v_div_fmas_f32 v84, v84, v93, v94
	v_div_fixup_f32 v85, v84, v85, 1.0
	s_delay_alu instid0(VALU_DEP_1)
	v_mul_f32_e32 v84, v87, v85
	v_xor_b32_e32 v85, 0x80000000, v85
.LBB76_427:
	s_and_not1_saveexec_b32 s1, s1
	s_cbranch_execz .LBB76_429
; %bb.428:
	s_delay_alu instid0(VALU_DEP_1) | instskip(SKIP_1) | instid1(VALU_DEP_2)
	v_div_scale_f32 v87, null, v84, v84, v85
	v_div_scale_f32 v95, vcc_lo, v85, v84, v85
	v_rcp_f32_e32 v93, v87
	v_nop
	s_delay_alu instid0(TRANS32_DEP_1) | instskip(NEXT) | instid1(VALU_DEP_1)
	v_fma_f32 v94, -v87, v93, 1.0
	v_fmac_f32_e32 v93, v94, v93
	s_delay_alu instid0(VALU_DEP_1) | instskip(NEXT) | instid1(VALU_DEP_1)
	v_mul_f32_e32 v94, v95, v93
	v_fma_f32 v96, -v87, v94, v95
	s_delay_alu instid0(VALU_DEP_1) | instskip(NEXT) | instid1(VALU_DEP_1)
	v_fmac_f32_e32 v94, v96, v93
	v_fma_f32 v87, -v87, v94, v95
	s_delay_alu instid0(VALU_DEP_1) | instskip(NEXT) | instid1(VALU_DEP_1)
	v_div_fmas_f32 v87, v87, v93, v94
	v_div_fixup_f32 v87, v87, v84, v85
	s_delay_alu instid0(VALU_DEP_1) | instskip(NEXT) | instid1(VALU_DEP_1)
	v_fmac_f32_e32 v84, v85, v87
	v_div_scale_f32 v85, null, v84, v84, 1.0
	s_delay_alu instid0(VALU_DEP_1) | instskip(SKIP_1) | instid1(TRANS32_DEP_1)
	v_rcp_f32_e32 v93, v85
	v_nop
	v_fma_f32 v94, -v85, v93, 1.0
	s_delay_alu instid0(VALU_DEP_1) | instskip(SKIP_1) | instid1(VALU_DEP_1)
	v_fmac_f32_e32 v93, v94, v93
	v_div_scale_f32 v94, vcc_lo, 1.0, v84, 1.0
	v_mul_f32_e32 v95, v94, v93
	s_delay_alu instid0(VALU_DEP_1) | instskip(NEXT) | instid1(VALU_DEP_1)
	v_fma_f32 v96, -v85, v95, v94
	v_fmac_f32_e32 v95, v96, v93
	s_delay_alu instid0(VALU_DEP_1) | instskip(NEXT) | instid1(VALU_DEP_1)
	v_fma_f32 v85, -v85, v95, v94
	v_div_fmas_f32 v85, v85, v93, v95
	s_delay_alu instid0(VALU_DEP_1) | instskip(NEXT) | instid1(VALU_DEP_1)
	v_div_fixup_f32 v84, v85, v84, 1.0
	v_mul_f32_e64 v85, v87, -v84
.LBB76_429:
	s_or_b32 exec_lo, exec_lo, s1
.LBB76_430:
	s_delay_alu instid0(SALU_CYCLE_1) | instskip(NEXT) | instid1(SALU_CYCLE_1)
	s_or_b32 exec_lo, exec_lo, s0
	s_mov_b32 s0, exec_lo
	v_cmpx_ne_u32_e64 v92, v86
	s_xor_b32 s0, exec_lo, s0
	s_cbranch_execz .LBB76_436
; %bb.431:
	s_mov_b32 s1, exec_lo
	v_cmpx_eq_u32_e32 20, v92
	s_cbranch_execz .LBB76_435
; %bb.432:
	v_cmp_ne_u32_e32 vcc_lo, 20, v86
	s_xor_b32 s12, s16, -1
	s_delay_alu instid0(SALU_CYCLE_1) | instskip(NEXT) | instid1(SALU_CYCLE_1)
	s_and_b32 s13, s12, vcc_lo
	s_and_saveexec_b32 s12, s13
	s_cbranch_execz .LBB76_434
; %bb.433:
	v_ashrrev_i32_e32 v87, 31, v86
	s_delay_alu instid0(VALU_DEP_1)
	v_lshl_add_u64 v[92:93], v[86:87], 2, v[4:5]
	s_clause 0x1
	global_load_b32 v87, v[92:93], off
	global_load_b32 v91, v[4:5], off offset:80
	s_wait_loadcnt 0x1
	global_store_b32 v[4:5], v87, off offset:80
	s_wait_loadcnt 0x0
	global_store_b32 v[92:93], v91, off
.LBB76_434:
	s_wait_xcnt 0x0
	s_or_b32 exec_lo, exec_lo, s12
	v_dual_mov_b32 v92, v86 :: v_dual_mov_b32 v91, v86
.LBB76_435:
	s_or_b32 exec_lo, exec_lo, s1
.LBB76_436:
	s_and_not1_saveexec_b32 s0, s0
	s_cbranch_execz .LBB76_438
; %bb.437:
	v_mov_b32_e32 v92, 20
	ds_store_2addr_b64 v88, v[62:63], v[28:29] offset0:21 offset1:22
	ds_store_2addr_b64 v88, v[26:27], v[60:61] offset0:23 offset1:24
	;; [unrolled: 1-line block ×9, first 2 shown]
.LBB76_438:
	s_or_b32 exec_lo, exec_lo, s0
	s_delay_alu instid0(SALU_CYCLE_1)
	s_mov_b32 s0, exec_lo
	s_wait_storecnt_dscnt 0x0
	s_barrier_signal -1
	s_barrier_wait -1
	v_cmpx_lt_i32_e32 20, v92
	s_cbranch_execz .LBB76_440
; %bb.439:
	v_pk_mul_f32 v[94:95], v[84:85], v[64:65] op_sel:[1,1] op_sel_hi:[0,1]
	s_delay_alu instid0(VALU_DEP_1)
	v_pk_fma_f32 v[86:87], v[84:85], v[64:65], v[94:95] op_sel_hi:[1,0,1] neg_lo:[0,0,1] neg_hi:[0,0,1]
	v_pk_fma_f32 v[84:85], v[84:85], v[64:65], v[94:95] op_sel_hi:[1,0,1]
	ds_load_2addr_b64 v[94:97], v88 offset0:21 offset1:22
	v_dual_mov_b32 v64, v86 :: v_dual_mov_b32 v65, v85
	s_wait_dscnt 0x0
	v_pk_mul_f32 v[98:99], v[94:95], v[84:85] op_sel:[0,1]
	s_delay_alu instid0(VALU_DEP_1) | instskip(SKIP_1) | instid1(VALU_DEP_1)
	v_pk_fma_f32 v[100:101], v[94:95], v[86:87], v[98:99] op_sel:[0,0,1] op_sel_hi:[1,1,0] neg_lo:[0,0,1] neg_hi:[0,0,1]
	v_pk_fma_f32 v[94:95], v[94:95], v[86:87], v[98:99] op_sel:[0,0,1] op_sel_hi:[1,0,0]
	v_mov_b32_e32 v101, v95
	v_pk_mul_f32 v[94:95], v[96:97], v[84:85] op_sel:[0,1]
	s_delay_alu instid0(VALU_DEP_1) | instskip(SKIP_1) | instid1(VALU_DEP_1)
	v_pk_fma_f32 v[98:99], v[96:97], v[86:87], v[94:95] op_sel:[0,0,1] op_sel_hi:[1,1,0] neg_lo:[0,0,1] neg_hi:[0,0,1]
	v_pk_fma_f32 v[94:95], v[96:97], v[86:87], v[94:95] op_sel:[0,0,1] op_sel_hi:[1,0,0]
	v_mov_b32_e32 v99, v95
	ds_load_2addr_b64 v[94:97], v88 offset0:23 offset1:24
	v_pk_add_f32 v[62:63], v[62:63], v[100:101] neg_lo:[0,1] neg_hi:[0,1]
	v_pk_add_f32 v[28:29], v[28:29], v[98:99] neg_lo:[0,1] neg_hi:[0,1]
	s_wait_dscnt 0x0
	v_pk_mul_f32 v[98:99], v[94:95], v[84:85] op_sel:[0,1]
	s_delay_alu instid0(VALU_DEP_1) | instskip(SKIP_2) | instid1(VALU_DEP_2)
	v_pk_fma_f32 v[100:101], v[94:95], v[86:87], v[98:99] op_sel:[0,0,1] op_sel_hi:[1,1,0] neg_lo:[0,0,1] neg_hi:[0,0,1]
	v_pk_fma_f32 v[94:95], v[94:95], v[86:87], v[98:99] op_sel:[0,0,1] op_sel_hi:[1,0,0]
	v_dual_mul_f32 v98, v97, v85 :: v_dual_mov_b32 v94, v97
	v_dual_mov_b32 v101, v95 :: v_dual_mov_b32 v95, v96
	s_delay_alu instid0(VALU_DEP_2) | instskip(SKIP_1) | instid1(VALU_DEP_3)
	v_pk_fma_f32 v[98:99], v[96:97], v[64:65], v[98:99] op_sel_hi:[1,1,0] neg_lo:[0,0,1] neg_hi:[0,0,1]
	v_mul_f32_e32 v96, v97, v86
	v_pk_add_f32 v[26:27], v[26:27], v[100:101] neg_lo:[0,1] neg_hi:[0,1]
	s_delay_alu instid0(VALU_DEP_2) | instskip(NEXT) | instid1(VALU_DEP_1)
	v_pk_fma_f32 v[94:95], v[94:95], v[64:65], v[96:97] op_sel_hi:[1,1,0]
	v_mov_b32_e32 v99, v95
	ds_load_2addr_b64 v[94:97], v88 offset0:25 offset1:26
	v_pk_add_f32 v[60:61], v[60:61], v[98:99] neg_lo:[0,1] neg_hi:[0,1]
	s_wait_dscnt 0x0
	v_pk_mul_f32 v[98:99], v[94:95], v[84:85] op_sel:[0,1]
	s_delay_alu instid0(VALU_DEP_1) | instskip(SKIP_1) | instid1(VALU_DEP_1)
	v_pk_fma_f32 v[100:101], v[94:95], v[86:87], v[98:99] op_sel:[0,0,1] op_sel_hi:[1,1,0] neg_lo:[0,0,1] neg_hi:[0,0,1]
	v_pk_fma_f32 v[94:95], v[94:95], v[86:87], v[98:99] op_sel:[0,0,1] op_sel_hi:[1,0,0]
	v_mov_b32_e32 v101, v95
	v_pk_mul_f32 v[94:95], v[96:97], v[84:85] op_sel:[0,1]
	s_delay_alu instid0(VALU_DEP_1) | instskip(SKIP_1) | instid1(VALU_DEP_1)
	v_pk_fma_f32 v[98:99], v[96:97], v[86:87], v[94:95] op_sel:[0,0,1] op_sel_hi:[1,1,0] neg_lo:[0,0,1] neg_hi:[0,0,1]
	v_pk_fma_f32 v[94:95], v[96:97], v[86:87], v[94:95] op_sel:[0,0,1] op_sel_hi:[1,0,0]
	v_mov_b32_e32 v99, v95
	ds_load_2addr_b64 v[94:97], v88 offset0:27 offset1:28
	v_pk_add_f32 v[58:59], v[58:59], v[100:101] neg_lo:[0,1] neg_hi:[0,1]
	v_pk_add_f32 v[24:25], v[24:25], v[98:99] neg_lo:[0,1] neg_hi:[0,1]
	s_wait_dscnt 0x0
	v_pk_mul_f32 v[98:99], v[94:95], v[84:85] op_sel:[0,1]
	s_delay_alu instid0(VALU_DEP_1) | instskip(SKIP_1) | instid1(VALU_DEP_1)
	v_pk_fma_f32 v[100:101], v[94:95], v[86:87], v[98:99] op_sel:[0,0,1] op_sel_hi:[1,1,0] neg_lo:[0,0,1] neg_hi:[0,0,1]
	v_pk_fma_f32 v[94:95], v[94:95], v[86:87], v[98:99] op_sel:[0,0,1] op_sel_hi:[1,0,0]
	v_mov_b32_e32 v101, v95
	v_pk_mul_f32 v[94:95], v[96:97], v[84:85] op_sel:[0,1]
	s_delay_alu instid0(VALU_DEP_1) | instskip(SKIP_1) | instid1(VALU_DEP_1)
	v_pk_fma_f32 v[98:99], v[96:97], v[86:87], v[94:95] op_sel:[0,0,1] op_sel_hi:[1,1,0] neg_lo:[0,0,1] neg_hi:[0,0,1]
	v_pk_fma_f32 v[94:95], v[96:97], v[86:87], v[94:95] op_sel:[0,0,1] op_sel_hi:[1,0,0]
	v_mov_b32_e32 v99, v95
	ds_load_2addr_b64 v[94:97], v88 offset0:29 offset1:30
	v_pk_add_f32 v[22:23], v[22:23], v[100:101] neg_lo:[0,1] neg_hi:[0,1]
	v_pk_add_f32 v[48:49], v[48:49], v[98:99] neg_lo:[0,1] neg_hi:[0,1]
	s_wait_dscnt 0x0
	v_dual_mul_f32 v98, v95, v85 :: v_dual_mul_f32 v100, v95, v86
	s_delay_alu instid0(VALU_DEP_1) | instskip(NEXT) | instid1(VALU_DEP_2)
	v_pk_fma_f32 v[98:99], v[94:95], v[64:65], v[98:99] op_sel_hi:[1,1,0] neg_lo:[0,0,1] neg_hi:[0,0,1]
	v_pk_fma_f32 v[94:95], v[94:95], v[64:65], v[100:101] op_sel:[1,0,0] op_sel_hi:[0,1,0]
	s_delay_alu instid0(VALU_DEP_1) | instskip(SKIP_1) | instid1(VALU_DEP_2)
	v_mov_b32_e32 v99, v95
	v_pk_mul_f32 v[94:95], v[96:97], v[84:85] op_sel:[0,1]
	v_pk_add_f32 v[46:47], v[46:47], v[98:99] neg_lo:[0,1] neg_hi:[0,1]
	s_delay_alu instid0(VALU_DEP_2) | instskip(SKIP_1) | instid1(VALU_DEP_1)
	v_pk_fma_f32 v[98:99], v[96:97], v[86:87], v[94:95] op_sel:[0,0,1] op_sel_hi:[1,1,0] neg_lo:[0,0,1] neg_hi:[0,0,1]
	v_pk_fma_f32 v[94:95], v[96:97], v[86:87], v[94:95] op_sel:[0,0,1] op_sel_hi:[1,0,0]
	v_mov_b32_e32 v99, v95
	ds_load_2addr_b64 v[94:97], v88 offset0:31 offset1:32
	v_pk_add_f32 v[10:11], v[10:11], v[98:99] neg_lo:[0,1] neg_hi:[0,1]
	s_wait_dscnt 0x0
	v_pk_mul_f32 v[98:99], v[94:95], v[84:85] op_sel:[0,1]
	s_delay_alu instid0(VALU_DEP_1) | instskip(SKIP_1) | instid1(VALU_DEP_1)
	v_pk_fma_f32 v[100:101], v[94:95], v[86:87], v[98:99] op_sel:[0,0,1] op_sel_hi:[1,1,0] neg_lo:[0,0,1] neg_hi:[0,0,1]
	v_pk_fma_f32 v[94:95], v[94:95], v[86:87], v[98:99] op_sel:[0,0,1] op_sel_hi:[1,0,0]
	v_mov_b32_e32 v101, v95
	v_pk_mul_f32 v[94:95], v[96:97], v[84:85] op_sel:[0,1]
	s_delay_alu instid0(VALU_DEP_2) | instskip(NEXT) | instid1(VALU_DEP_2)
	v_pk_add_f32 v[6:7], v[6:7], v[100:101] neg_lo:[0,1] neg_hi:[0,1]
	v_pk_fma_f32 v[98:99], v[96:97], v[86:87], v[94:95] op_sel:[0,0,1] op_sel_hi:[1,1,0] neg_lo:[0,0,1] neg_hi:[0,0,1]
	v_pk_fma_f32 v[94:95], v[96:97], v[86:87], v[94:95] op_sel:[0,0,1] op_sel_hi:[1,0,0]
	s_delay_alu instid0(VALU_DEP_1) | instskip(SKIP_4) | instid1(VALU_DEP_1)
	v_mov_b32_e32 v99, v95
	ds_load_2addr_b64 v[94:97], v88 offset0:33 offset1:34
	v_pk_add_f32 v[44:45], v[44:45], v[98:99] neg_lo:[0,1] neg_hi:[0,1]
	s_wait_dscnt 0x0
	v_pk_mul_f32 v[98:99], v[94:95], v[84:85] op_sel:[0,1]
	v_pk_fma_f32 v[100:101], v[94:95], v[86:87], v[98:99] op_sel:[0,0,1] op_sel_hi:[1,1,0] neg_lo:[0,0,1] neg_hi:[0,0,1]
	v_pk_fma_f32 v[94:95], v[94:95], v[86:87], v[98:99] op_sel:[0,0,1] op_sel_hi:[1,0,0]
	v_dual_mul_f32 v98, v97, v85 :: v_dual_mov_b32 v94, v97
	s_delay_alu instid0(VALU_DEP_2) | instskip(NEXT) | instid1(VALU_DEP_2)
	v_dual_mov_b32 v101, v95 :: v_dual_mov_b32 v95, v96
	v_pk_fma_f32 v[98:99], v[96:97], v[64:65], v[98:99] op_sel_hi:[1,1,0] neg_lo:[0,0,1] neg_hi:[0,0,1]
	v_mul_f32_e32 v96, v97, v86
	s_delay_alu instid0(VALU_DEP_3) | instskip(NEXT) | instid1(VALU_DEP_2)
	v_pk_add_f32 v[42:43], v[42:43], v[100:101] neg_lo:[0,1] neg_hi:[0,1]
	v_pk_fma_f32 v[94:95], v[94:95], v[64:65], v[96:97] op_sel_hi:[1,1,0]
	s_delay_alu instid0(VALU_DEP_1) | instskip(SKIP_4) | instid1(VALU_DEP_1)
	v_mov_b32_e32 v99, v95
	ds_load_2addr_b64 v[94:97], v88 offset0:35 offset1:36
	v_pk_add_f32 v[8:9], v[8:9], v[98:99] neg_lo:[0,1] neg_hi:[0,1]
	s_wait_dscnt 0x0
	v_pk_mul_f32 v[98:99], v[94:95], v[84:85] op_sel:[0,1]
	v_pk_fma_f32 v[100:101], v[94:95], v[86:87], v[98:99] op_sel:[0,0,1] op_sel_hi:[1,1,0] neg_lo:[0,0,1] neg_hi:[0,0,1]
	v_pk_fma_f32 v[94:95], v[94:95], v[86:87], v[98:99] op_sel:[0,0,1] op_sel_hi:[1,0,0]
	s_delay_alu instid0(VALU_DEP_1) | instskip(SKIP_1) | instid1(VALU_DEP_1)
	v_mov_b32_e32 v101, v95
	v_pk_mul_f32 v[94:95], v[96:97], v[84:85] op_sel:[0,1]
	v_pk_fma_f32 v[98:99], v[96:97], v[86:87], v[94:95] op_sel:[0,0,1] op_sel_hi:[1,1,0] neg_lo:[0,0,1] neg_hi:[0,0,1]
	v_pk_fma_f32 v[94:95], v[96:97], v[86:87], v[94:95] op_sel:[0,0,1] op_sel_hi:[1,0,0]
	s_delay_alu instid0(VALU_DEP_1)
	v_mov_b32_e32 v99, v95
	ds_load_2addr_b64 v[94:97], v88 offset0:37 offset1:38
	v_pk_add_f32 v[40:41], v[40:41], v[100:101] neg_lo:[0,1] neg_hi:[0,1]
	v_pk_add_f32 v[34:35], v[34:35], v[98:99] neg_lo:[0,1] neg_hi:[0,1]
	s_wait_dscnt 0x0
	v_pk_mul_f32 v[98:99], v[94:95], v[84:85] op_sel:[0,1]
	v_mul_f32_e32 v84, v97, v85
	s_delay_alu instid0(VALU_DEP_2) | instskip(SKIP_2) | instid1(VALU_DEP_4)
	v_pk_fma_f32 v[100:101], v[94:95], v[86:87], v[98:99] op_sel:[0,0,1] op_sel_hi:[1,1,0] neg_lo:[0,0,1] neg_hi:[0,0,1]
	v_pk_fma_f32 v[94:95], v[94:95], v[86:87], v[98:99] op_sel:[0,0,1] op_sel_hi:[1,0,0]
	v_dual_mov_b32 v94, v97 :: v_dual_mul_f32 v86, v97, v86
	v_pk_fma_f32 v[84:85], v[96:97], v[64:65], v[84:85] op_sel_hi:[1,1,0] neg_lo:[0,0,1] neg_hi:[0,0,1]
	s_delay_alu instid0(VALU_DEP_3) | instskip(NEXT) | instid1(VALU_DEP_1)
	v_dual_mov_b32 v101, v95 :: v_dual_mov_b32 v95, v96
	v_pk_add_f32 v[20:21], v[20:21], v[100:101] neg_lo:[0,1] neg_hi:[0,1]
	s_delay_alu instid0(VALU_DEP_2) | instskip(NEXT) | instid1(VALU_DEP_1)
	v_pk_fma_f32 v[86:87], v[94:95], v[64:65], v[86:87] op_sel_hi:[1,1,0]
	v_mov_b32_e32 v85, v87
	s_delay_alu instid0(VALU_DEP_1)
	v_pk_add_f32 v[82:83], v[82:83], v[84:85] neg_lo:[0,1] neg_hi:[0,1]
.LBB76_440:
	s_or_b32 exec_lo, exec_lo, s0
	v_lshl_add_u32 v84, v92, 3, v88
	s_barrier_signal -1
	s_barrier_wait -1
	ds_store_b64 v84, v[62:63]
	s_wait_dscnt 0x0
	s_barrier_signal -1
	s_barrier_wait -1
	ds_load_b64 v[84:85], v88 offset:168
	v_mov_b32_e32 v86, 21
	s_cmp_lt_i32 s18, 23
	s_cbranch_scc1 .LBB76_443
; %bb.441:
	v_add3_u32 v87, v89, 0, 0xb0
	v_mov_b32_e32 v86, 21
	s_mov_b32 s0, 22
.LBB76_442:                             ; =>This Inner Loop Header: Depth=1
	ds_load_b64 v[94:95], v87
	s_wait_dscnt 0x1
	v_cmp_gt_f32_e32 vcc_lo, 0, v84
	v_cndmask_b32_e64 v96, v84, -v84, vcc_lo
	v_cmp_gt_f32_e32 vcc_lo, 0, v85
	v_cndmask_b32_e64 v98, v85, -v85, vcc_lo
	s_wait_dscnt 0x0
	v_cmp_gt_f32_e32 vcc_lo, 0, v94
	v_cndmask_b32_e64 v97, v94, -v94, vcc_lo
	v_cmp_gt_f32_e32 vcc_lo, 0, v95
	v_cndmask_b32_e64 v99, v95, -v95, vcc_lo
	s_delay_alu instid0(VALU_DEP_1) | instskip(NEXT) | instid1(VALU_DEP_1)
	v_pk_add_f32 v[96:97], v[96:97], v[98:99]
	v_cmp_lt_f32_e32 vcc_lo, v96, v97
	v_dual_cndmask_b32 v84, v84, v94 :: v_dual_add_nc_u32 v87, 8, v87
	v_cndmask_b32_e32 v85, v85, v95, vcc_lo
	v_cndmask_b32_e64 v86, v86, s0, vcc_lo
	s_add_co_i32 s0, s0, 1
	s_delay_alu instid0(SALU_CYCLE_1)
	s_cmp_lg_u32 s18, s0
	s_cbranch_scc1 .LBB76_442
.LBB76_443:
	s_wait_dscnt 0x0
	v_cmp_eq_f32_e32 vcc_lo, 0, v84
	v_cmp_eq_f32_e64 s0, 0, v85
	s_and_b32 s0, vcc_lo, s0
	s_delay_alu instid0(SALU_CYCLE_1) | instskip(NEXT) | instid1(SALU_CYCLE_1)
	s_and_saveexec_b32 s1, s0
	s_xor_b32 s0, exec_lo, s1
; %bb.444:
	v_cmp_ne_u32_e32 vcc_lo, 0, v90
	v_cndmask_b32_e32 v90, 22, v90, vcc_lo
; %bb.445:
	s_and_not1_saveexec_b32 s0, s0
	s_cbranch_execz .LBB76_451
; %bb.446:
	v_cmp_ngt_f32_e64 s1, |v84|, |v85|
	s_and_saveexec_b32 s12, s1
	s_delay_alu instid0(SALU_CYCLE_1)
	s_xor_b32 s1, exec_lo, s12
	s_cbranch_execz .LBB76_448
; %bb.447:
	v_div_scale_f32 v87, null, v85, v85, v84
	v_div_scale_f32 v95, vcc_lo, v84, v85, v84
	s_delay_alu instid0(VALU_DEP_2) | instskip(SKIP_1) | instid1(TRANS32_DEP_1)
	v_rcp_f32_e32 v93, v87
	v_nop
	v_fma_f32 v94, -v87, v93, 1.0
	s_delay_alu instid0(VALU_DEP_1) | instskip(NEXT) | instid1(VALU_DEP_1)
	v_fmac_f32_e32 v93, v94, v93
	v_mul_f32_e32 v94, v95, v93
	s_delay_alu instid0(VALU_DEP_1) | instskip(NEXT) | instid1(VALU_DEP_1)
	v_fma_f32 v96, -v87, v94, v95
	v_fmac_f32_e32 v94, v96, v93
	s_delay_alu instid0(VALU_DEP_1) | instskip(NEXT) | instid1(VALU_DEP_1)
	v_fma_f32 v87, -v87, v94, v95
	v_div_fmas_f32 v87, v87, v93, v94
	s_delay_alu instid0(VALU_DEP_1) | instskip(NEXT) | instid1(VALU_DEP_1)
	v_div_fixup_f32 v87, v87, v85, v84
	v_fmac_f32_e32 v85, v84, v87
	s_delay_alu instid0(VALU_DEP_1) | instskip(SKIP_1) | instid1(VALU_DEP_2)
	v_div_scale_f32 v84, null, v85, v85, 1.0
	v_div_scale_f32 v95, vcc_lo, 1.0, v85, 1.0
	v_rcp_f32_e32 v93, v84
	v_nop
	s_delay_alu instid0(TRANS32_DEP_1) | instskip(NEXT) | instid1(VALU_DEP_1)
	v_fma_f32 v94, -v84, v93, 1.0
	v_fmac_f32_e32 v93, v94, v93
	s_delay_alu instid0(VALU_DEP_1) | instskip(NEXT) | instid1(VALU_DEP_1)
	v_mul_f32_e32 v94, v95, v93
	v_fma_f32 v96, -v84, v94, v95
	s_delay_alu instid0(VALU_DEP_1) | instskip(NEXT) | instid1(VALU_DEP_1)
	v_fmac_f32_e32 v94, v96, v93
	v_fma_f32 v84, -v84, v94, v95
	s_delay_alu instid0(VALU_DEP_1) | instskip(NEXT) | instid1(VALU_DEP_1)
	v_div_fmas_f32 v84, v84, v93, v94
	v_div_fixup_f32 v85, v84, v85, 1.0
	s_delay_alu instid0(VALU_DEP_1)
	v_mul_f32_e32 v84, v87, v85
	v_xor_b32_e32 v85, 0x80000000, v85
.LBB76_448:
	s_and_not1_saveexec_b32 s1, s1
	s_cbranch_execz .LBB76_450
; %bb.449:
	s_delay_alu instid0(VALU_DEP_1) | instskip(SKIP_1) | instid1(VALU_DEP_2)
	v_div_scale_f32 v87, null, v84, v84, v85
	v_div_scale_f32 v95, vcc_lo, v85, v84, v85
	v_rcp_f32_e32 v93, v87
	v_nop
	s_delay_alu instid0(TRANS32_DEP_1) | instskip(NEXT) | instid1(VALU_DEP_1)
	v_fma_f32 v94, -v87, v93, 1.0
	v_fmac_f32_e32 v93, v94, v93
	s_delay_alu instid0(VALU_DEP_1) | instskip(NEXT) | instid1(VALU_DEP_1)
	v_mul_f32_e32 v94, v95, v93
	v_fma_f32 v96, -v87, v94, v95
	s_delay_alu instid0(VALU_DEP_1) | instskip(NEXT) | instid1(VALU_DEP_1)
	v_fmac_f32_e32 v94, v96, v93
	v_fma_f32 v87, -v87, v94, v95
	s_delay_alu instid0(VALU_DEP_1) | instskip(NEXT) | instid1(VALU_DEP_1)
	v_div_fmas_f32 v87, v87, v93, v94
	v_div_fixup_f32 v87, v87, v84, v85
	s_delay_alu instid0(VALU_DEP_1) | instskip(NEXT) | instid1(VALU_DEP_1)
	v_fmac_f32_e32 v84, v85, v87
	v_div_scale_f32 v85, null, v84, v84, 1.0
	s_delay_alu instid0(VALU_DEP_1) | instskip(SKIP_1) | instid1(TRANS32_DEP_1)
	v_rcp_f32_e32 v93, v85
	v_nop
	v_fma_f32 v94, -v85, v93, 1.0
	s_delay_alu instid0(VALU_DEP_1) | instskip(SKIP_1) | instid1(VALU_DEP_1)
	v_fmac_f32_e32 v93, v94, v93
	v_div_scale_f32 v94, vcc_lo, 1.0, v84, 1.0
	v_mul_f32_e32 v95, v94, v93
	s_delay_alu instid0(VALU_DEP_1) | instskip(NEXT) | instid1(VALU_DEP_1)
	v_fma_f32 v96, -v85, v95, v94
	v_fmac_f32_e32 v95, v96, v93
	s_delay_alu instid0(VALU_DEP_1) | instskip(NEXT) | instid1(VALU_DEP_1)
	v_fma_f32 v85, -v85, v95, v94
	v_div_fmas_f32 v85, v85, v93, v95
	s_delay_alu instid0(VALU_DEP_1) | instskip(NEXT) | instid1(VALU_DEP_1)
	v_div_fixup_f32 v84, v85, v84, 1.0
	v_mul_f32_e64 v85, v87, -v84
.LBB76_450:
	s_or_b32 exec_lo, exec_lo, s1
.LBB76_451:
	s_delay_alu instid0(SALU_CYCLE_1) | instskip(NEXT) | instid1(SALU_CYCLE_1)
	s_or_b32 exec_lo, exec_lo, s0
	s_mov_b32 s0, exec_lo
	v_cmpx_ne_u32_e64 v92, v86
	s_xor_b32 s0, exec_lo, s0
	s_cbranch_execz .LBB76_457
; %bb.452:
	s_mov_b32 s1, exec_lo
	v_cmpx_eq_u32_e32 21, v92
	s_cbranch_execz .LBB76_456
; %bb.453:
	v_cmp_ne_u32_e32 vcc_lo, 21, v86
	s_xor_b32 s12, s16, -1
	s_delay_alu instid0(SALU_CYCLE_1) | instskip(NEXT) | instid1(SALU_CYCLE_1)
	s_and_b32 s13, s12, vcc_lo
	s_and_saveexec_b32 s12, s13
	s_cbranch_execz .LBB76_455
; %bb.454:
	v_ashrrev_i32_e32 v87, 31, v86
	s_delay_alu instid0(VALU_DEP_1)
	v_lshl_add_u64 v[92:93], v[86:87], 2, v[4:5]
	s_clause 0x1
	global_load_b32 v87, v[92:93], off
	global_load_b32 v91, v[4:5], off offset:84
	s_wait_loadcnt 0x1
	global_store_b32 v[4:5], v87, off offset:84
	s_wait_loadcnt 0x0
	global_store_b32 v[92:93], v91, off
.LBB76_455:
	s_wait_xcnt 0x0
	s_or_b32 exec_lo, exec_lo, s12
	v_dual_mov_b32 v92, v86 :: v_dual_mov_b32 v91, v86
.LBB76_456:
	s_or_b32 exec_lo, exec_lo, s1
.LBB76_457:
	s_and_not1_saveexec_b32 s0, s0
	s_cbranch_execz .LBB76_459
; %bb.458:
	v_dual_mov_b32 v86, v28 :: v_dual_mov_b32 v87, v29
	v_dual_mov_b32 v92, v26 :: v_dual_mov_b32 v93, v27
	;; [unrolled: 1-line block ×8, first 2 shown]
	ds_store_2addr_b64 v88, v[86:87], v[92:93] offset0:22 offset1:23
	ds_store_2addr_b64 v88, v[94:95], v[96:97] offset0:24 offset1:25
	;; [unrolled: 1-line block ×4, first 2 shown]
	v_dual_mov_b32 v86, v10 :: v_dual_mov_b32 v87, v11
	v_dual_mov_b32 v94, v6 :: v_dual_mov_b32 v95, v7
	;; [unrolled: 1-line block ×8, first 2 shown]
	v_mov_b32_e32 v107, v21
	ds_store_2addr_b64 v88, v[86:87], v[94:95] offset0:30 offset1:31
	ds_store_2addr_b64 v88, v[96:97], v[98:99] offset0:32 offset1:33
	;; [unrolled: 1-line block ×4, first 2 shown]
	ds_store_b64 v88, v[82:83] offset:304
.LBB76_459:
	s_or_b32 exec_lo, exec_lo, s0
	s_delay_alu instid0(SALU_CYCLE_1)
	s_mov_b32 s0, exec_lo
	s_wait_storecnt_dscnt 0x0
	s_barrier_signal -1
	s_barrier_wait -1
	v_cmpx_lt_i32_e32 21, v92
	s_cbranch_execz .LBB76_461
; %bb.460:
	v_pk_mul_f32 v[94:95], v[84:85], v[62:63] op_sel:[1,1] op_sel_hi:[0,1]
	s_delay_alu instid0(VALU_DEP_1)
	v_pk_fma_f32 v[86:87], v[84:85], v[62:63], v[94:95] op_sel_hi:[1,0,1] neg_lo:[0,0,1] neg_hi:[0,0,1]
	v_pk_fma_f32 v[84:85], v[84:85], v[62:63], v[94:95] op_sel_hi:[1,0,1]
	ds_load_2addr_b64 v[94:97], v88 offset0:22 offset1:23
	v_dual_mov_b32 v62, v86 :: v_dual_mov_b32 v63, v85
	s_wait_dscnt 0x0
	v_pk_mul_f32 v[98:99], v[94:95], v[84:85] op_sel:[0,1]
	s_delay_alu instid0(VALU_DEP_1) | instskip(SKIP_1) | instid1(VALU_DEP_1)
	v_pk_fma_f32 v[100:101], v[94:95], v[86:87], v[98:99] op_sel:[0,0,1] op_sel_hi:[1,1,0] neg_lo:[0,0,1] neg_hi:[0,0,1]
	v_pk_fma_f32 v[94:95], v[94:95], v[86:87], v[98:99] op_sel:[0,0,1] op_sel_hi:[1,0,0]
	v_mov_b32_e32 v101, v95
	v_pk_mul_f32 v[94:95], v[96:97], v[84:85] op_sel:[0,1]
	s_delay_alu instid0(VALU_DEP_1) | instskip(SKIP_1) | instid1(VALU_DEP_1)
	v_pk_fma_f32 v[98:99], v[96:97], v[86:87], v[94:95] op_sel:[0,0,1] op_sel_hi:[1,1,0] neg_lo:[0,0,1] neg_hi:[0,0,1]
	v_pk_fma_f32 v[94:95], v[96:97], v[86:87], v[94:95] op_sel:[0,0,1] op_sel_hi:[1,0,0]
	v_mov_b32_e32 v99, v95
	ds_load_2addr_b64 v[94:97], v88 offset0:24 offset1:25
	v_pk_add_f32 v[28:29], v[28:29], v[100:101] neg_lo:[0,1] neg_hi:[0,1]
	v_pk_add_f32 v[26:27], v[26:27], v[98:99] neg_lo:[0,1] neg_hi:[0,1]
	s_wait_dscnt 0x0
	v_pk_mul_f32 v[98:99], v[94:95], v[84:85] op_sel:[0,1]
	s_delay_alu instid0(VALU_DEP_1) | instskip(SKIP_2) | instid1(VALU_DEP_2)
	v_pk_fma_f32 v[100:101], v[94:95], v[86:87], v[98:99] op_sel:[0,0,1] op_sel_hi:[1,1,0] neg_lo:[0,0,1] neg_hi:[0,0,1]
	v_pk_fma_f32 v[94:95], v[94:95], v[86:87], v[98:99] op_sel:[0,0,1] op_sel_hi:[1,0,0]
	v_dual_mul_f32 v98, v97, v85 :: v_dual_mov_b32 v94, v97
	v_dual_mov_b32 v101, v95 :: v_dual_mov_b32 v95, v96
	s_delay_alu instid0(VALU_DEP_2) | instskip(SKIP_1) | instid1(VALU_DEP_3)
	v_pk_fma_f32 v[98:99], v[96:97], v[62:63], v[98:99] op_sel_hi:[1,1,0] neg_lo:[0,0,1] neg_hi:[0,0,1]
	v_mul_f32_e32 v96, v97, v86
	v_pk_add_f32 v[60:61], v[60:61], v[100:101] neg_lo:[0,1] neg_hi:[0,1]
	s_delay_alu instid0(VALU_DEP_2) | instskip(NEXT) | instid1(VALU_DEP_1)
	v_pk_fma_f32 v[94:95], v[94:95], v[62:63], v[96:97] op_sel_hi:[1,1,0]
	v_mov_b32_e32 v99, v95
	ds_load_2addr_b64 v[94:97], v88 offset0:26 offset1:27
	v_pk_add_f32 v[58:59], v[58:59], v[98:99] neg_lo:[0,1] neg_hi:[0,1]
	s_wait_dscnt 0x0
	v_pk_mul_f32 v[98:99], v[94:95], v[84:85] op_sel:[0,1]
	s_delay_alu instid0(VALU_DEP_1) | instskip(SKIP_1) | instid1(VALU_DEP_1)
	v_pk_fma_f32 v[100:101], v[94:95], v[86:87], v[98:99] op_sel:[0,0,1] op_sel_hi:[1,1,0] neg_lo:[0,0,1] neg_hi:[0,0,1]
	v_pk_fma_f32 v[94:95], v[94:95], v[86:87], v[98:99] op_sel:[0,0,1] op_sel_hi:[1,0,0]
	v_mov_b32_e32 v101, v95
	v_pk_mul_f32 v[94:95], v[96:97], v[84:85] op_sel:[0,1]
	s_delay_alu instid0(VALU_DEP_1) | instskip(SKIP_1) | instid1(VALU_DEP_1)
	v_pk_fma_f32 v[98:99], v[96:97], v[86:87], v[94:95] op_sel:[0,0,1] op_sel_hi:[1,1,0] neg_lo:[0,0,1] neg_hi:[0,0,1]
	v_pk_fma_f32 v[94:95], v[96:97], v[86:87], v[94:95] op_sel:[0,0,1] op_sel_hi:[1,0,0]
	v_mov_b32_e32 v99, v95
	ds_load_2addr_b64 v[94:97], v88 offset0:28 offset1:29
	v_pk_add_f32 v[24:25], v[24:25], v[100:101] neg_lo:[0,1] neg_hi:[0,1]
	v_pk_add_f32 v[22:23], v[22:23], v[98:99] neg_lo:[0,1] neg_hi:[0,1]
	s_wait_dscnt 0x0
	v_pk_mul_f32 v[98:99], v[94:95], v[84:85] op_sel:[0,1]
	s_delay_alu instid0(VALU_DEP_1) | instskip(SKIP_1) | instid1(VALU_DEP_1)
	v_pk_fma_f32 v[100:101], v[94:95], v[86:87], v[98:99] op_sel:[0,0,1] op_sel_hi:[1,1,0] neg_lo:[0,0,1] neg_hi:[0,0,1]
	v_pk_fma_f32 v[94:95], v[94:95], v[86:87], v[98:99] op_sel:[0,0,1] op_sel_hi:[1,0,0]
	v_mov_b32_e32 v101, v95
	v_pk_mul_f32 v[94:95], v[96:97], v[84:85] op_sel:[0,1]
	s_delay_alu instid0(VALU_DEP_1) | instskip(SKIP_1) | instid1(VALU_DEP_1)
	v_pk_fma_f32 v[98:99], v[96:97], v[86:87], v[94:95] op_sel:[0,0,1] op_sel_hi:[1,1,0] neg_lo:[0,0,1] neg_hi:[0,0,1]
	v_pk_fma_f32 v[94:95], v[96:97], v[86:87], v[94:95] op_sel:[0,0,1] op_sel_hi:[1,0,0]
	v_mov_b32_e32 v99, v95
	ds_load_2addr_b64 v[94:97], v88 offset0:30 offset1:31
	v_pk_add_f32 v[48:49], v[48:49], v[100:101] neg_lo:[0,1] neg_hi:[0,1]
	v_pk_add_f32 v[46:47], v[46:47], v[98:99] neg_lo:[0,1] neg_hi:[0,1]
	s_wait_dscnt 0x0
	v_dual_mul_f32 v98, v95, v85 :: v_dual_mul_f32 v100, v95, v86
	s_delay_alu instid0(VALU_DEP_1) | instskip(NEXT) | instid1(VALU_DEP_2)
	v_pk_fma_f32 v[98:99], v[94:95], v[62:63], v[98:99] op_sel_hi:[1,1,0] neg_lo:[0,0,1] neg_hi:[0,0,1]
	v_pk_fma_f32 v[94:95], v[94:95], v[62:63], v[100:101] op_sel:[1,0,0] op_sel_hi:[0,1,0]
	s_delay_alu instid0(VALU_DEP_1) | instskip(SKIP_1) | instid1(VALU_DEP_2)
	v_mov_b32_e32 v99, v95
	v_pk_mul_f32 v[94:95], v[96:97], v[84:85] op_sel:[0,1]
	v_pk_add_f32 v[10:11], v[10:11], v[98:99] neg_lo:[0,1] neg_hi:[0,1]
	s_delay_alu instid0(VALU_DEP_2) | instskip(SKIP_1) | instid1(VALU_DEP_1)
	v_pk_fma_f32 v[98:99], v[96:97], v[86:87], v[94:95] op_sel:[0,0,1] op_sel_hi:[1,1,0] neg_lo:[0,0,1] neg_hi:[0,0,1]
	v_pk_fma_f32 v[94:95], v[96:97], v[86:87], v[94:95] op_sel:[0,0,1] op_sel_hi:[1,0,0]
	v_mov_b32_e32 v99, v95
	ds_load_2addr_b64 v[94:97], v88 offset0:32 offset1:33
	v_pk_add_f32 v[6:7], v[6:7], v[98:99] neg_lo:[0,1] neg_hi:[0,1]
	s_wait_dscnt 0x0
	v_pk_mul_f32 v[98:99], v[94:95], v[84:85] op_sel:[0,1]
	s_delay_alu instid0(VALU_DEP_1) | instskip(SKIP_1) | instid1(VALU_DEP_1)
	v_pk_fma_f32 v[100:101], v[94:95], v[86:87], v[98:99] op_sel:[0,0,1] op_sel_hi:[1,1,0] neg_lo:[0,0,1] neg_hi:[0,0,1]
	v_pk_fma_f32 v[94:95], v[94:95], v[86:87], v[98:99] op_sel:[0,0,1] op_sel_hi:[1,0,0]
	v_mov_b32_e32 v101, v95
	v_pk_mul_f32 v[94:95], v[96:97], v[84:85] op_sel:[0,1]
	s_delay_alu instid0(VALU_DEP_2) | instskip(NEXT) | instid1(VALU_DEP_2)
	v_pk_add_f32 v[44:45], v[44:45], v[100:101] neg_lo:[0,1] neg_hi:[0,1]
	v_pk_fma_f32 v[98:99], v[96:97], v[86:87], v[94:95] op_sel:[0,0,1] op_sel_hi:[1,1,0] neg_lo:[0,0,1] neg_hi:[0,0,1]
	v_pk_fma_f32 v[94:95], v[96:97], v[86:87], v[94:95] op_sel:[0,0,1] op_sel_hi:[1,0,0]
	s_delay_alu instid0(VALU_DEP_1) | instskip(SKIP_4) | instid1(VALU_DEP_1)
	v_mov_b32_e32 v99, v95
	ds_load_2addr_b64 v[94:97], v88 offset0:34 offset1:35
	v_pk_add_f32 v[42:43], v[42:43], v[98:99] neg_lo:[0,1] neg_hi:[0,1]
	s_wait_dscnt 0x0
	v_pk_mul_f32 v[98:99], v[94:95], v[84:85] op_sel:[0,1]
	v_pk_fma_f32 v[100:101], v[94:95], v[86:87], v[98:99] op_sel:[0,0,1] op_sel_hi:[1,1,0] neg_lo:[0,0,1] neg_hi:[0,0,1]
	v_pk_fma_f32 v[94:95], v[94:95], v[86:87], v[98:99] op_sel:[0,0,1] op_sel_hi:[1,0,0]
	v_dual_mul_f32 v98, v97, v85 :: v_dual_mov_b32 v94, v97
	s_delay_alu instid0(VALU_DEP_2) | instskip(NEXT) | instid1(VALU_DEP_2)
	v_dual_mov_b32 v101, v95 :: v_dual_mov_b32 v95, v96
	v_pk_fma_f32 v[98:99], v[96:97], v[62:63], v[98:99] op_sel_hi:[1,1,0] neg_lo:[0,0,1] neg_hi:[0,0,1]
	v_mul_f32_e32 v96, v97, v86
	s_delay_alu instid0(VALU_DEP_3) | instskip(NEXT) | instid1(VALU_DEP_2)
	v_pk_add_f32 v[8:9], v[8:9], v[100:101] neg_lo:[0,1] neg_hi:[0,1]
	v_pk_fma_f32 v[94:95], v[94:95], v[62:63], v[96:97] op_sel_hi:[1,1,0]
	s_delay_alu instid0(VALU_DEP_1) | instskip(SKIP_4) | instid1(VALU_DEP_1)
	v_mov_b32_e32 v99, v95
	ds_load_2addr_b64 v[94:97], v88 offset0:36 offset1:37
	v_pk_add_f32 v[40:41], v[40:41], v[98:99] neg_lo:[0,1] neg_hi:[0,1]
	s_wait_dscnt 0x0
	v_pk_mul_f32 v[98:99], v[94:95], v[84:85] op_sel:[0,1]
	v_pk_fma_f32 v[100:101], v[94:95], v[86:87], v[98:99] op_sel:[0,0,1] op_sel_hi:[1,1,0] neg_lo:[0,0,1] neg_hi:[0,0,1]
	v_pk_fma_f32 v[94:95], v[94:95], v[86:87], v[98:99] op_sel:[0,0,1] op_sel_hi:[1,0,0]
	s_delay_alu instid0(VALU_DEP_1) | instskip(SKIP_1) | instid1(VALU_DEP_1)
	v_mov_b32_e32 v101, v95
	v_pk_mul_f32 v[94:95], v[96:97], v[84:85] op_sel:[0,1]
	v_pk_fma_f32 v[98:99], v[96:97], v[86:87], v[94:95] op_sel:[0,0,1] op_sel_hi:[1,1,0] neg_lo:[0,0,1] neg_hi:[0,0,1]
	v_pk_fma_f32 v[94:95], v[96:97], v[86:87], v[94:95] op_sel:[0,0,1] op_sel_hi:[1,0,0]
	s_delay_alu instid0(VALU_DEP_1)
	v_mov_b32_e32 v99, v95
	ds_load_b64 v[94:95], v88 offset:304
	v_pk_add_f32 v[34:35], v[34:35], v[100:101] neg_lo:[0,1] neg_hi:[0,1]
	v_pk_add_f32 v[20:21], v[20:21], v[98:99] neg_lo:[0,1] neg_hi:[0,1]
	s_wait_dscnt 0x0
	v_pk_mul_f32 v[84:85], v[94:95], v[84:85] op_sel:[0,1]
	s_delay_alu instid0(VALU_DEP_1) | instskip(SKIP_1) | instid1(VALU_DEP_1)
	v_pk_fma_f32 v[96:97], v[94:95], v[86:87], v[84:85] op_sel:[0,0,1] op_sel_hi:[1,1,0] neg_lo:[0,0,1] neg_hi:[0,0,1]
	v_pk_fma_f32 v[84:85], v[94:95], v[86:87], v[84:85] op_sel:[0,0,1] op_sel_hi:[1,0,0]
	v_mov_b32_e32 v97, v85
	s_delay_alu instid0(VALU_DEP_1)
	v_pk_add_f32 v[82:83], v[82:83], v[96:97] neg_lo:[0,1] neg_hi:[0,1]
.LBB76_461:
	s_or_b32 exec_lo, exec_lo, s0
	v_lshl_add_u32 v84, v92, 3, v88
	s_barrier_signal -1
	s_barrier_wait -1
	ds_store_b64 v84, v[28:29]
	s_wait_dscnt 0x0
	s_barrier_signal -1
	s_barrier_wait -1
	ds_load_b64 v[84:85], v88 offset:176
	v_mov_b32_e32 v86, 22
	s_cmp_lt_i32 s18, 24
	s_cbranch_scc1 .LBB76_464
; %bb.462:
	v_add3_u32 v87, v89, 0, 0xb8
	v_mov_b32_e32 v86, 22
	s_mov_b32 s0, 23
.LBB76_463:                             ; =>This Inner Loop Header: Depth=1
	ds_load_b64 v[94:95], v87
	s_wait_dscnt 0x1
	v_cmp_gt_f32_e32 vcc_lo, 0, v84
	v_cndmask_b32_e64 v96, v84, -v84, vcc_lo
	v_cmp_gt_f32_e32 vcc_lo, 0, v85
	v_cndmask_b32_e64 v98, v85, -v85, vcc_lo
	s_wait_dscnt 0x0
	v_cmp_gt_f32_e32 vcc_lo, 0, v94
	v_cndmask_b32_e64 v97, v94, -v94, vcc_lo
	v_cmp_gt_f32_e32 vcc_lo, 0, v95
	v_cndmask_b32_e64 v99, v95, -v95, vcc_lo
	s_delay_alu instid0(VALU_DEP_1) | instskip(NEXT) | instid1(VALU_DEP_1)
	v_pk_add_f32 v[96:97], v[96:97], v[98:99]
	v_cmp_lt_f32_e32 vcc_lo, v96, v97
	v_dual_cndmask_b32 v84, v84, v94 :: v_dual_add_nc_u32 v87, 8, v87
	v_cndmask_b32_e32 v85, v85, v95, vcc_lo
	v_cndmask_b32_e64 v86, v86, s0, vcc_lo
	s_add_co_i32 s0, s0, 1
	s_delay_alu instid0(SALU_CYCLE_1)
	s_cmp_lg_u32 s18, s0
	s_cbranch_scc1 .LBB76_463
.LBB76_464:
	s_wait_dscnt 0x0
	v_cmp_eq_f32_e32 vcc_lo, 0, v84
	v_cmp_eq_f32_e64 s0, 0, v85
	s_and_b32 s0, vcc_lo, s0
	s_delay_alu instid0(SALU_CYCLE_1) | instskip(NEXT) | instid1(SALU_CYCLE_1)
	s_and_saveexec_b32 s1, s0
	s_xor_b32 s0, exec_lo, s1
; %bb.465:
	v_cmp_ne_u32_e32 vcc_lo, 0, v90
	v_cndmask_b32_e32 v90, 23, v90, vcc_lo
; %bb.466:
	s_and_not1_saveexec_b32 s0, s0
	s_cbranch_execz .LBB76_472
; %bb.467:
	v_cmp_ngt_f32_e64 s1, |v84|, |v85|
	s_and_saveexec_b32 s12, s1
	s_delay_alu instid0(SALU_CYCLE_1)
	s_xor_b32 s1, exec_lo, s12
	s_cbranch_execz .LBB76_469
; %bb.468:
	v_div_scale_f32 v87, null, v85, v85, v84
	v_div_scale_f32 v95, vcc_lo, v84, v85, v84
	s_delay_alu instid0(VALU_DEP_2) | instskip(SKIP_1) | instid1(TRANS32_DEP_1)
	v_rcp_f32_e32 v93, v87
	v_nop
	v_fma_f32 v94, -v87, v93, 1.0
	s_delay_alu instid0(VALU_DEP_1) | instskip(NEXT) | instid1(VALU_DEP_1)
	v_fmac_f32_e32 v93, v94, v93
	v_mul_f32_e32 v94, v95, v93
	s_delay_alu instid0(VALU_DEP_1) | instskip(NEXT) | instid1(VALU_DEP_1)
	v_fma_f32 v96, -v87, v94, v95
	v_fmac_f32_e32 v94, v96, v93
	s_delay_alu instid0(VALU_DEP_1) | instskip(NEXT) | instid1(VALU_DEP_1)
	v_fma_f32 v87, -v87, v94, v95
	v_div_fmas_f32 v87, v87, v93, v94
	s_delay_alu instid0(VALU_DEP_1) | instskip(NEXT) | instid1(VALU_DEP_1)
	v_div_fixup_f32 v87, v87, v85, v84
	v_fmac_f32_e32 v85, v84, v87
	s_delay_alu instid0(VALU_DEP_1) | instskip(SKIP_1) | instid1(VALU_DEP_2)
	v_div_scale_f32 v84, null, v85, v85, 1.0
	v_div_scale_f32 v95, vcc_lo, 1.0, v85, 1.0
	v_rcp_f32_e32 v93, v84
	v_nop
	s_delay_alu instid0(TRANS32_DEP_1) | instskip(NEXT) | instid1(VALU_DEP_1)
	v_fma_f32 v94, -v84, v93, 1.0
	v_fmac_f32_e32 v93, v94, v93
	s_delay_alu instid0(VALU_DEP_1) | instskip(NEXT) | instid1(VALU_DEP_1)
	v_mul_f32_e32 v94, v95, v93
	v_fma_f32 v96, -v84, v94, v95
	s_delay_alu instid0(VALU_DEP_1) | instskip(NEXT) | instid1(VALU_DEP_1)
	v_fmac_f32_e32 v94, v96, v93
	v_fma_f32 v84, -v84, v94, v95
	s_delay_alu instid0(VALU_DEP_1) | instskip(NEXT) | instid1(VALU_DEP_1)
	v_div_fmas_f32 v84, v84, v93, v94
	v_div_fixup_f32 v85, v84, v85, 1.0
	s_delay_alu instid0(VALU_DEP_1)
	v_mul_f32_e32 v84, v87, v85
	v_xor_b32_e32 v85, 0x80000000, v85
.LBB76_469:
	s_and_not1_saveexec_b32 s1, s1
	s_cbranch_execz .LBB76_471
; %bb.470:
	s_delay_alu instid0(VALU_DEP_1) | instskip(SKIP_1) | instid1(VALU_DEP_2)
	v_div_scale_f32 v87, null, v84, v84, v85
	v_div_scale_f32 v95, vcc_lo, v85, v84, v85
	v_rcp_f32_e32 v93, v87
	v_nop
	s_delay_alu instid0(TRANS32_DEP_1) | instskip(NEXT) | instid1(VALU_DEP_1)
	v_fma_f32 v94, -v87, v93, 1.0
	v_fmac_f32_e32 v93, v94, v93
	s_delay_alu instid0(VALU_DEP_1) | instskip(NEXT) | instid1(VALU_DEP_1)
	v_mul_f32_e32 v94, v95, v93
	v_fma_f32 v96, -v87, v94, v95
	s_delay_alu instid0(VALU_DEP_1) | instskip(NEXT) | instid1(VALU_DEP_1)
	v_fmac_f32_e32 v94, v96, v93
	v_fma_f32 v87, -v87, v94, v95
	s_delay_alu instid0(VALU_DEP_1) | instskip(NEXT) | instid1(VALU_DEP_1)
	v_div_fmas_f32 v87, v87, v93, v94
	v_div_fixup_f32 v87, v87, v84, v85
	s_delay_alu instid0(VALU_DEP_1) | instskip(NEXT) | instid1(VALU_DEP_1)
	v_fmac_f32_e32 v84, v85, v87
	v_div_scale_f32 v85, null, v84, v84, 1.0
	s_delay_alu instid0(VALU_DEP_1) | instskip(SKIP_1) | instid1(TRANS32_DEP_1)
	v_rcp_f32_e32 v93, v85
	v_nop
	v_fma_f32 v94, -v85, v93, 1.0
	s_delay_alu instid0(VALU_DEP_1) | instskip(SKIP_1) | instid1(VALU_DEP_1)
	v_fmac_f32_e32 v93, v94, v93
	v_div_scale_f32 v94, vcc_lo, 1.0, v84, 1.0
	v_mul_f32_e32 v95, v94, v93
	s_delay_alu instid0(VALU_DEP_1) | instskip(NEXT) | instid1(VALU_DEP_1)
	v_fma_f32 v96, -v85, v95, v94
	v_fmac_f32_e32 v95, v96, v93
	s_delay_alu instid0(VALU_DEP_1) | instskip(NEXT) | instid1(VALU_DEP_1)
	v_fma_f32 v85, -v85, v95, v94
	v_div_fmas_f32 v85, v85, v93, v95
	s_delay_alu instid0(VALU_DEP_1) | instskip(NEXT) | instid1(VALU_DEP_1)
	v_div_fixup_f32 v84, v85, v84, 1.0
	v_mul_f32_e64 v85, v87, -v84
.LBB76_471:
	s_or_b32 exec_lo, exec_lo, s1
.LBB76_472:
	s_delay_alu instid0(SALU_CYCLE_1) | instskip(NEXT) | instid1(SALU_CYCLE_1)
	s_or_b32 exec_lo, exec_lo, s0
	s_mov_b32 s0, exec_lo
	v_cmpx_ne_u32_e64 v92, v86
	s_xor_b32 s0, exec_lo, s0
	s_cbranch_execz .LBB76_478
; %bb.473:
	s_mov_b32 s1, exec_lo
	v_cmpx_eq_u32_e32 22, v92
	s_cbranch_execz .LBB76_477
; %bb.474:
	v_cmp_ne_u32_e32 vcc_lo, 22, v86
	s_xor_b32 s12, s16, -1
	s_delay_alu instid0(SALU_CYCLE_1) | instskip(NEXT) | instid1(SALU_CYCLE_1)
	s_and_b32 s13, s12, vcc_lo
	s_and_saveexec_b32 s12, s13
	s_cbranch_execz .LBB76_476
; %bb.475:
	v_ashrrev_i32_e32 v87, 31, v86
	s_delay_alu instid0(VALU_DEP_1)
	v_lshl_add_u64 v[92:93], v[86:87], 2, v[4:5]
	s_clause 0x1
	global_load_b32 v87, v[92:93], off
	global_load_b32 v91, v[4:5], off offset:88
	s_wait_loadcnt 0x1
	global_store_b32 v[4:5], v87, off offset:88
	s_wait_loadcnt 0x0
	global_store_b32 v[92:93], v91, off
.LBB76_476:
	s_wait_xcnt 0x0
	s_or_b32 exec_lo, exec_lo, s12
	v_dual_mov_b32 v92, v86 :: v_dual_mov_b32 v91, v86
.LBB76_477:
	s_or_b32 exec_lo, exec_lo, s1
.LBB76_478:
	s_and_not1_saveexec_b32 s0, s0
	s_cbranch_execz .LBB76_480
; %bb.479:
	v_mov_b32_e32 v92, 22
	ds_store_2addr_b64 v88, v[26:27], v[60:61] offset0:23 offset1:24
	ds_store_2addr_b64 v88, v[58:59], v[24:25] offset0:25 offset1:26
	;; [unrolled: 1-line block ×8, first 2 shown]
.LBB76_480:
	s_or_b32 exec_lo, exec_lo, s0
	s_delay_alu instid0(SALU_CYCLE_1)
	s_mov_b32 s0, exec_lo
	s_wait_storecnt_dscnt 0x0
	s_barrier_signal -1
	s_barrier_wait -1
	v_cmpx_lt_i32_e32 22, v92
	s_cbranch_execz .LBB76_482
; %bb.481:
	v_pk_mul_f32 v[94:95], v[84:85], v[28:29] op_sel:[1,1] op_sel_hi:[0,1]
	s_delay_alu instid0(VALU_DEP_1)
	v_pk_fma_f32 v[86:87], v[84:85], v[28:29], v[94:95] op_sel_hi:[1,0,1] neg_lo:[0,0,1] neg_hi:[0,0,1]
	v_pk_fma_f32 v[84:85], v[84:85], v[28:29], v[94:95] op_sel_hi:[1,0,1]
	ds_load_2addr_b64 v[94:97], v88 offset0:23 offset1:24
	v_dual_mov_b32 v28, v86 :: v_dual_mov_b32 v29, v85
	s_wait_dscnt 0x0
	v_pk_mul_f32 v[98:99], v[94:95], v[84:85] op_sel:[0,1]
	s_delay_alu instid0(VALU_DEP_1) | instskip(SKIP_1) | instid1(VALU_DEP_1)
	v_pk_fma_f32 v[100:101], v[94:95], v[86:87], v[98:99] op_sel:[0,0,1] op_sel_hi:[1,1,0] neg_lo:[0,0,1] neg_hi:[0,0,1]
	v_pk_fma_f32 v[94:95], v[94:95], v[86:87], v[98:99] op_sel:[0,0,1] op_sel_hi:[1,0,0]
	v_mov_b32_e32 v101, v95
	v_pk_mul_f32 v[94:95], v[96:97], v[84:85] op_sel:[0,1]
	s_delay_alu instid0(VALU_DEP_1) | instskip(SKIP_1) | instid1(VALU_DEP_1)
	v_pk_fma_f32 v[98:99], v[96:97], v[86:87], v[94:95] op_sel:[0,0,1] op_sel_hi:[1,1,0] neg_lo:[0,0,1] neg_hi:[0,0,1]
	v_pk_fma_f32 v[94:95], v[96:97], v[86:87], v[94:95] op_sel:[0,0,1] op_sel_hi:[1,0,0]
	v_mov_b32_e32 v99, v95
	ds_load_2addr_b64 v[94:97], v88 offset0:25 offset1:26
	v_pk_add_f32 v[26:27], v[26:27], v[100:101] neg_lo:[0,1] neg_hi:[0,1]
	v_pk_add_f32 v[60:61], v[60:61], v[98:99] neg_lo:[0,1] neg_hi:[0,1]
	s_wait_dscnt 0x0
	v_pk_mul_f32 v[98:99], v[94:95], v[84:85] op_sel:[0,1]
	s_delay_alu instid0(VALU_DEP_1) | instskip(SKIP_2) | instid1(VALU_DEP_2)
	v_pk_fma_f32 v[100:101], v[94:95], v[86:87], v[98:99] op_sel:[0,0,1] op_sel_hi:[1,1,0] neg_lo:[0,0,1] neg_hi:[0,0,1]
	v_pk_fma_f32 v[94:95], v[94:95], v[86:87], v[98:99] op_sel:[0,0,1] op_sel_hi:[1,0,0]
	v_dual_mul_f32 v98, v97, v85 :: v_dual_mov_b32 v94, v97
	v_dual_mov_b32 v101, v95 :: v_dual_mov_b32 v95, v96
	s_delay_alu instid0(VALU_DEP_2) | instskip(SKIP_1) | instid1(VALU_DEP_3)
	v_pk_fma_f32 v[98:99], v[96:97], v[28:29], v[98:99] op_sel_hi:[1,1,0] neg_lo:[0,0,1] neg_hi:[0,0,1]
	v_mul_f32_e32 v96, v97, v86
	v_pk_add_f32 v[58:59], v[58:59], v[100:101] neg_lo:[0,1] neg_hi:[0,1]
	s_delay_alu instid0(VALU_DEP_2) | instskip(NEXT) | instid1(VALU_DEP_1)
	v_pk_fma_f32 v[94:95], v[94:95], v[28:29], v[96:97] op_sel_hi:[1,1,0]
	v_mov_b32_e32 v99, v95
	ds_load_2addr_b64 v[94:97], v88 offset0:27 offset1:28
	v_pk_add_f32 v[24:25], v[24:25], v[98:99] neg_lo:[0,1] neg_hi:[0,1]
	s_wait_dscnt 0x0
	v_pk_mul_f32 v[98:99], v[94:95], v[84:85] op_sel:[0,1]
	s_delay_alu instid0(VALU_DEP_1) | instskip(SKIP_1) | instid1(VALU_DEP_1)
	v_pk_fma_f32 v[100:101], v[94:95], v[86:87], v[98:99] op_sel:[0,0,1] op_sel_hi:[1,1,0] neg_lo:[0,0,1] neg_hi:[0,0,1]
	v_pk_fma_f32 v[94:95], v[94:95], v[86:87], v[98:99] op_sel:[0,0,1] op_sel_hi:[1,0,0]
	v_mov_b32_e32 v101, v95
	v_pk_mul_f32 v[94:95], v[96:97], v[84:85] op_sel:[0,1]
	s_delay_alu instid0(VALU_DEP_1) | instskip(SKIP_1) | instid1(VALU_DEP_1)
	v_pk_fma_f32 v[98:99], v[96:97], v[86:87], v[94:95] op_sel:[0,0,1] op_sel_hi:[1,1,0] neg_lo:[0,0,1] neg_hi:[0,0,1]
	v_pk_fma_f32 v[94:95], v[96:97], v[86:87], v[94:95] op_sel:[0,0,1] op_sel_hi:[1,0,0]
	v_mov_b32_e32 v99, v95
	ds_load_2addr_b64 v[94:97], v88 offset0:29 offset1:30
	v_pk_add_f32 v[22:23], v[22:23], v[100:101] neg_lo:[0,1] neg_hi:[0,1]
	v_pk_add_f32 v[48:49], v[48:49], v[98:99] neg_lo:[0,1] neg_hi:[0,1]
	s_wait_dscnt 0x0
	v_pk_mul_f32 v[98:99], v[94:95], v[84:85] op_sel:[0,1]
	s_delay_alu instid0(VALU_DEP_1) | instskip(SKIP_1) | instid1(VALU_DEP_1)
	v_pk_fma_f32 v[100:101], v[94:95], v[86:87], v[98:99] op_sel:[0,0,1] op_sel_hi:[1,1,0] neg_lo:[0,0,1] neg_hi:[0,0,1]
	v_pk_fma_f32 v[94:95], v[94:95], v[86:87], v[98:99] op_sel:[0,0,1] op_sel_hi:[1,0,0]
	v_mov_b32_e32 v101, v95
	v_pk_mul_f32 v[94:95], v[96:97], v[84:85] op_sel:[0,1]
	s_delay_alu instid0(VALU_DEP_1) | instskip(SKIP_1) | instid1(VALU_DEP_1)
	v_pk_fma_f32 v[98:99], v[96:97], v[86:87], v[94:95] op_sel:[0,0,1] op_sel_hi:[1,1,0] neg_lo:[0,0,1] neg_hi:[0,0,1]
	v_pk_fma_f32 v[94:95], v[96:97], v[86:87], v[94:95] op_sel:[0,0,1] op_sel_hi:[1,0,0]
	v_mov_b32_e32 v99, v95
	ds_load_2addr_b64 v[94:97], v88 offset0:31 offset1:32
	v_pk_add_f32 v[46:47], v[46:47], v[100:101] neg_lo:[0,1] neg_hi:[0,1]
	v_pk_add_f32 v[10:11], v[10:11], v[98:99] neg_lo:[0,1] neg_hi:[0,1]
	s_wait_dscnt 0x0
	v_dual_mul_f32 v98, v95, v85 :: v_dual_mul_f32 v100, v95, v86
	s_delay_alu instid0(VALU_DEP_1) | instskip(NEXT) | instid1(VALU_DEP_2)
	v_pk_fma_f32 v[98:99], v[94:95], v[28:29], v[98:99] op_sel_hi:[1,1,0] neg_lo:[0,0,1] neg_hi:[0,0,1]
	v_pk_fma_f32 v[94:95], v[94:95], v[28:29], v[100:101] op_sel:[1,0,0] op_sel_hi:[0,1,0]
	s_delay_alu instid0(VALU_DEP_1) | instskip(SKIP_1) | instid1(VALU_DEP_2)
	v_mov_b32_e32 v99, v95
	v_pk_mul_f32 v[94:95], v[96:97], v[84:85] op_sel:[0,1]
	v_pk_add_f32 v[6:7], v[6:7], v[98:99] neg_lo:[0,1] neg_hi:[0,1]
	s_delay_alu instid0(VALU_DEP_2) | instskip(SKIP_1) | instid1(VALU_DEP_1)
	v_pk_fma_f32 v[98:99], v[96:97], v[86:87], v[94:95] op_sel:[0,0,1] op_sel_hi:[1,1,0] neg_lo:[0,0,1] neg_hi:[0,0,1]
	v_pk_fma_f32 v[94:95], v[96:97], v[86:87], v[94:95] op_sel:[0,0,1] op_sel_hi:[1,0,0]
	v_mov_b32_e32 v99, v95
	ds_load_2addr_b64 v[94:97], v88 offset0:33 offset1:34
	v_pk_add_f32 v[44:45], v[44:45], v[98:99] neg_lo:[0,1] neg_hi:[0,1]
	s_wait_dscnt 0x0
	v_pk_mul_f32 v[98:99], v[94:95], v[84:85] op_sel:[0,1]
	s_delay_alu instid0(VALU_DEP_1) | instskip(SKIP_1) | instid1(VALU_DEP_1)
	v_pk_fma_f32 v[100:101], v[94:95], v[86:87], v[98:99] op_sel:[0,0,1] op_sel_hi:[1,1,0] neg_lo:[0,0,1] neg_hi:[0,0,1]
	v_pk_fma_f32 v[94:95], v[94:95], v[86:87], v[98:99] op_sel:[0,0,1] op_sel_hi:[1,0,0]
	v_mov_b32_e32 v101, v95
	v_pk_mul_f32 v[94:95], v[96:97], v[84:85] op_sel:[0,1]
	s_delay_alu instid0(VALU_DEP_2) | instskip(NEXT) | instid1(VALU_DEP_2)
	v_pk_add_f32 v[42:43], v[42:43], v[100:101] neg_lo:[0,1] neg_hi:[0,1]
	v_pk_fma_f32 v[98:99], v[96:97], v[86:87], v[94:95] op_sel:[0,0,1] op_sel_hi:[1,1,0] neg_lo:[0,0,1] neg_hi:[0,0,1]
	v_pk_fma_f32 v[94:95], v[96:97], v[86:87], v[94:95] op_sel:[0,0,1] op_sel_hi:[1,0,0]
	s_delay_alu instid0(VALU_DEP_1) | instskip(SKIP_4) | instid1(VALU_DEP_1)
	v_mov_b32_e32 v99, v95
	ds_load_2addr_b64 v[94:97], v88 offset0:35 offset1:36
	v_pk_add_f32 v[8:9], v[8:9], v[98:99] neg_lo:[0,1] neg_hi:[0,1]
	s_wait_dscnt 0x0
	v_pk_mul_f32 v[98:99], v[94:95], v[84:85] op_sel:[0,1]
	v_pk_fma_f32 v[100:101], v[94:95], v[86:87], v[98:99] op_sel:[0,0,1] op_sel_hi:[1,1,0] neg_lo:[0,0,1] neg_hi:[0,0,1]
	v_pk_fma_f32 v[94:95], v[94:95], v[86:87], v[98:99] op_sel:[0,0,1] op_sel_hi:[1,0,0]
	v_dual_mul_f32 v98, v97, v85 :: v_dual_mov_b32 v94, v97
	s_delay_alu instid0(VALU_DEP_2) | instskip(NEXT) | instid1(VALU_DEP_2)
	v_dual_mov_b32 v101, v95 :: v_dual_mov_b32 v95, v96
	v_pk_fma_f32 v[98:99], v[96:97], v[28:29], v[98:99] op_sel_hi:[1,1,0] neg_lo:[0,0,1] neg_hi:[0,0,1]
	v_mul_f32_e32 v96, v97, v86
	s_delay_alu instid0(VALU_DEP_3) | instskip(NEXT) | instid1(VALU_DEP_2)
	v_pk_add_f32 v[40:41], v[40:41], v[100:101] neg_lo:[0,1] neg_hi:[0,1]
	v_pk_fma_f32 v[94:95], v[94:95], v[28:29], v[96:97] op_sel_hi:[1,1,0]
	s_delay_alu instid0(VALU_DEP_1)
	v_mov_b32_e32 v99, v95
	ds_load_2addr_b64 v[94:97], v88 offset0:37 offset1:38
	v_pk_add_f32 v[34:35], v[34:35], v[98:99] neg_lo:[0,1] neg_hi:[0,1]
	s_wait_dscnt 0x0
	v_pk_mul_f32 v[98:99], v[94:95], v[84:85] op_sel:[0,1]
	v_pk_mul_f32 v[84:85], v[96:97], v[84:85] op_sel:[0,1]
	s_delay_alu instid0(VALU_DEP_2) | instskip(SKIP_1) | instid1(VALU_DEP_1)
	v_pk_fma_f32 v[100:101], v[94:95], v[86:87], v[98:99] op_sel:[0,0,1] op_sel_hi:[1,1,0] neg_lo:[0,0,1] neg_hi:[0,0,1]
	v_pk_fma_f32 v[94:95], v[94:95], v[86:87], v[98:99] op_sel:[0,0,1] op_sel_hi:[1,0,0]
	v_mov_b32_e32 v101, v95
	s_delay_alu instid0(VALU_DEP_4) | instskip(SKIP_1) | instid1(VALU_DEP_1)
	v_pk_fma_f32 v[94:95], v[96:97], v[86:87], v[84:85] op_sel:[0,0,1] op_sel_hi:[1,1,0] neg_lo:[0,0,1] neg_hi:[0,0,1]
	v_pk_fma_f32 v[84:85], v[96:97], v[86:87], v[84:85] op_sel:[0,0,1] op_sel_hi:[1,0,0]
	v_mov_b32_e32 v95, v85
	s_delay_alu instid0(VALU_DEP_4) | instskip(NEXT) | instid1(VALU_DEP_2)
	v_pk_add_f32 v[20:21], v[20:21], v[100:101] neg_lo:[0,1] neg_hi:[0,1]
	v_pk_add_f32 v[82:83], v[82:83], v[94:95] neg_lo:[0,1] neg_hi:[0,1]
.LBB76_482:
	s_or_b32 exec_lo, exec_lo, s0
	v_lshl_add_u32 v84, v92, 3, v88
	s_barrier_signal -1
	s_barrier_wait -1
	ds_store_b64 v84, v[26:27]
	s_wait_dscnt 0x0
	s_barrier_signal -1
	s_barrier_wait -1
	ds_load_b64 v[84:85], v88 offset:184
	v_mov_b32_e32 v86, 23
	s_cmp_lt_i32 s18, 25
	s_cbranch_scc1 .LBB76_485
; %bb.483:
	v_add3_u32 v87, v89, 0, 0xc0
	v_mov_b32_e32 v86, 23
	s_mov_b32 s0, 24
.LBB76_484:                             ; =>This Inner Loop Header: Depth=1
	ds_load_b64 v[94:95], v87
	s_wait_dscnt 0x1
	v_cmp_gt_f32_e32 vcc_lo, 0, v84
	v_cndmask_b32_e64 v96, v84, -v84, vcc_lo
	v_cmp_gt_f32_e32 vcc_lo, 0, v85
	v_cndmask_b32_e64 v98, v85, -v85, vcc_lo
	s_wait_dscnt 0x0
	v_cmp_gt_f32_e32 vcc_lo, 0, v94
	v_cndmask_b32_e64 v97, v94, -v94, vcc_lo
	v_cmp_gt_f32_e32 vcc_lo, 0, v95
	v_cndmask_b32_e64 v99, v95, -v95, vcc_lo
	s_delay_alu instid0(VALU_DEP_1) | instskip(NEXT) | instid1(VALU_DEP_1)
	v_pk_add_f32 v[96:97], v[96:97], v[98:99]
	v_cmp_lt_f32_e32 vcc_lo, v96, v97
	v_dual_cndmask_b32 v84, v84, v94 :: v_dual_add_nc_u32 v87, 8, v87
	v_cndmask_b32_e32 v85, v85, v95, vcc_lo
	v_cndmask_b32_e64 v86, v86, s0, vcc_lo
	s_add_co_i32 s0, s0, 1
	s_delay_alu instid0(SALU_CYCLE_1)
	s_cmp_lg_u32 s18, s0
	s_cbranch_scc1 .LBB76_484
.LBB76_485:
	s_wait_dscnt 0x0
	v_cmp_eq_f32_e32 vcc_lo, 0, v84
	v_cmp_eq_f32_e64 s0, 0, v85
	s_and_b32 s0, vcc_lo, s0
	s_delay_alu instid0(SALU_CYCLE_1) | instskip(NEXT) | instid1(SALU_CYCLE_1)
	s_and_saveexec_b32 s1, s0
	s_xor_b32 s0, exec_lo, s1
; %bb.486:
	v_cmp_ne_u32_e32 vcc_lo, 0, v90
	v_cndmask_b32_e32 v90, 24, v90, vcc_lo
; %bb.487:
	s_and_not1_saveexec_b32 s0, s0
	s_cbranch_execz .LBB76_493
; %bb.488:
	v_cmp_ngt_f32_e64 s1, |v84|, |v85|
	s_and_saveexec_b32 s12, s1
	s_delay_alu instid0(SALU_CYCLE_1)
	s_xor_b32 s1, exec_lo, s12
	s_cbranch_execz .LBB76_490
; %bb.489:
	v_div_scale_f32 v87, null, v85, v85, v84
	v_div_scale_f32 v95, vcc_lo, v84, v85, v84
	s_delay_alu instid0(VALU_DEP_2) | instskip(SKIP_1) | instid1(TRANS32_DEP_1)
	v_rcp_f32_e32 v93, v87
	v_nop
	v_fma_f32 v94, -v87, v93, 1.0
	s_delay_alu instid0(VALU_DEP_1) | instskip(NEXT) | instid1(VALU_DEP_1)
	v_fmac_f32_e32 v93, v94, v93
	v_mul_f32_e32 v94, v95, v93
	s_delay_alu instid0(VALU_DEP_1) | instskip(NEXT) | instid1(VALU_DEP_1)
	v_fma_f32 v96, -v87, v94, v95
	v_fmac_f32_e32 v94, v96, v93
	s_delay_alu instid0(VALU_DEP_1) | instskip(NEXT) | instid1(VALU_DEP_1)
	v_fma_f32 v87, -v87, v94, v95
	v_div_fmas_f32 v87, v87, v93, v94
	s_delay_alu instid0(VALU_DEP_1) | instskip(NEXT) | instid1(VALU_DEP_1)
	v_div_fixup_f32 v87, v87, v85, v84
	v_fmac_f32_e32 v85, v84, v87
	s_delay_alu instid0(VALU_DEP_1) | instskip(SKIP_1) | instid1(VALU_DEP_2)
	v_div_scale_f32 v84, null, v85, v85, 1.0
	v_div_scale_f32 v95, vcc_lo, 1.0, v85, 1.0
	v_rcp_f32_e32 v93, v84
	v_nop
	s_delay_alu instid0(TRANS32_DEP_1) | instskip(NEXT) | instid1(VALU_DEP_1)
	v_fma_f32 v94, -v84, v93, 1.0
	v_fmac_f32_e32 v93, v94, v93
	s_delay_alu instid0(VALU_DEP_1) | instskip(NEXT) | instid1(VALU_DEP_1)
	v_mul_f32_e32 v94, v95, v93
	v_fma_f32 v96, -v84, v94, v95
	s_delay_alu instid0(VALU_DEP_1) | instskip(NEXT) | instid1(VALU_DEP_1)
	v_fmac_f32_e32 v94, v96, v93
	v_fma_f32 v84, -v84, v94, v95
	s_delay_alu instid0(VALU_DEP_1) | instskip(NEXT) | instid1(VALU_DEP_1)
	v_div_fmas_f32 v84, v84, v93, v94
	v_div_fixup_f32 v85, v84, v85, 1.0
	s_delay_alu instid0(VALU_DEP_1)
	v_mul_f32_e32 v84, v87, v85
	v_xor_b32_e32 v85, 0x80000000, v85
.LBB76_490:
	s_and_not1_saveexec_b32 s1, s1
	s_cbranch_execz .LBB76_492
; %bb.491:
	s_delay_alu instid0(VALU_DEP_1) | instskip(SKIP_1) | instid1(VALU_DEP_2)
	v_div_scale_f32 v87, null, v84, v84, v85
	v_div_scale_f32 v95, vcc_lo, v85, v84, v85
	v_rcp_f32_e32 v93, v87
	v_nop
	s_delay_alu instid0(TRANS32_DEP_1) | instskip(NEXT) | instid1(VALU_DEP_1)
	v_fma_f32 v94, -v87, v93, 1.0
	v_fmac_f32_e32 v93, v94, v93
	s_delay_alu instid0(VALU_DEP_1) | instskip(NEXT) | instid1(VALU_DEP_1)
	v_mul_f32_e32 v94, v95, v93
	v_fma_f32 v96, -v87, v94, v95
	s_delay_alu instid0(VALU_DEP_1) | instskip(NEXT) | instid1(VALU_DEP_1)
	v_fmac_f32_e32 v94, v96, v93
	v_fma_f32 v87, -v87, v94, v95
	s_delay_alu instid0(VALU_DEP_1) | instskip(NEXT) | instid1(VALU_DEP_1)
	v_div_fmas_f32 v87, v87, v93, v94
	v_div_fixup_f32 v87, v87, v84, v85
	s_delay_alu instid0(VALU_DEP_1) | instskip(NEXT) | instid1(VALU_DEP_1)
	v_fmac_f32_e32 v84, v85, v87
	v_div_scale_f32 v85, null, v84, v84, 1.0
	s_delay_alu instid0(VALU_DEP_1) | instskip(SKIP_1) | instid1(TRANS32_DEP_1)
	v_rcp_f32_e32 v93, v85
	v_nop
	v_fma_f32 v94, -v85, v93, 1.0
	s_delay_alu instid0(VALU_DEP_1) | instskip(SKIP_1) | instid1(VALU_DEP_1)
	v_fmac_f32_e32 v93, v94, v93
	v_div_scale_f32 v94, vcc_lo, 1.0, v84, 1.0
	v_mul_f32_e32 v95, v94, v93
	s_delay_alu instid0(VALU_DEP_1) | instskip(NEXT) | instid1(VALU_DEP_1)
	v_fma_f32 v96, -v85, v95, v94
	v_fmac_f32_e32 v95, v96, v93
	s_delay_alu instid0(VALU_DEP_1) | instskip(NEXT) | instid1(VALU_DEP_1)
	v_fma_f32 v85, -v85, v95, v94
	v_div_fmas_f32 v85, v85, v93, v95
	s_delay_alu instid0(VALU_DEP_1) | instskip(NEXT) | instid1(VALU_DEP_1)
	v_div_fixup_f32 v84, v85, v84, 1.0
	v_mul_f32_e64 v85, v87, -v84
.LBB76_492:
	s_or_b32 exec_lo, exec_lo, s1
.LBB76_493:
	s_delay_alu instid0(SALU_CYCLE_1) | instskip(NEXT) | instid1(SALU_CYCLE_1)
	s_or_b32 exec_lo, exec_lo, s0
	s_mov_b32 s0, exec_lo
	v_cmpx_ne_u32_e64 v92, v86
	s_xor_b32 s0, exec_lo, s0
	s_cbranch_execz .LBB76_499
; %bb.494:
	s_mov_b32 s1, exec_lo
	v_cmpx_eq_u32_e32 23, v92
	s_cbranch_execz .LBB76_498
; %bb.495:
	v_cmp_ne_u32_e32 vcc_lo, 23, v86
	s_xor_b32 s12, s16, -1
	s_delay_alu instid0(SALU_CYCLE_1) | instskip(NEXT) | instid1(SALU_CYCLE_1)
	s_and_b32 s13, s12, vcc_lo
	s_and_saveexec_b32 s12, s13
	s_cbranch_execz .LBB76_497
; %bb.496:
	v_ashrrev_i32_e32 v87, 31, v86
	s_delay_alu instid0(VALU_DEP_1)
	v_lshl_add_u64 v[92:93], v[86:87], 2, v[4:5]
	s_clause 0x1
	global_load_b32 v87, v[92:93], off
	global_load_b32 v91, v[4:5], off offset:92
	s_wait_loadcnt 0x1
	global_store_b32 v[4:5], v87, off offset:92
	s_wait_loadcnt 0x0
	global_store_b32 v[92:93], v91, off
.LBB76_497:
	s_wait_xcnt 0x0
	s_or_b32 exec_lo, exec_lo, s12
	v_dual_mov_b32 v92, v86 :: v_dual_mov_b32 v91, v86
.LBB76_498:
	s_or_b32 exec_lo, exec_lo, s1
.LBB76_499:
	s_and_not1_saveexec_b32 s0, s0
	s_cbranch_execz .LBB76_501
; %bb.500:
	v_dual_mov_b32 v86, v60 :: v_dual_mov_b32 v87, v61
	v_dual_mov_b32 v92, v58 :: v_dual_mov_b32 v93, v59
	;; [unrolled: 1-line block ×4, first 2 shown]
	ds_store_2addr_b64 v88, v[86:87], v[92:93] offset0:24 offset1:25
	ds_store_2addr_b64 v88, v[94:95], v[96:97] offset0:26 offset1:27
	v_dual_mov_b32 v86, v48 :: v_dual_mov_b32 v87, v49
	v_dual_mov_b32 v92, v46 :: v_dual_mov_b32 v93, v47
	;; [unrolled: 1-line block ×6, first 2 shown]
	ds_store_2addr_b64 v88, v[86:87], v[92:93] offset0:28 offset1:29
	ds_store_2addr_b64 v88, v[94:95], v[96:97] offset0:30 offset1:31
	v_dual_mov_b32 v92, 23 :: v_dual_mov_b32 v102, v8
	v_dual_mov_b32 v103, v9 :: v_dual_mov_b32 v104, v40
	;; [unrolled: 1-line block ×4, first 2 shown]
	v_mov_b32_e32 v109, v21
	ds_store_2addr_b64 v88, v[98:99], v[100:101] offset0:32 offset1:33
	ds_store_2addr_b64 v88, v[102:103], v[104:105] offset0:34 offset1:35
	;; [unrolled: 1-line block ×3, first 2 shown]
	ds_store_b64 v88, v[82:83] offset:304
.LBB76_501:
	s_or_b32 exec_lo, exec_lo, s0
	s_delay_alu instid0(SALU_CYCLE_1)
	s_mov_b32 s0, exec_lo
	s_wait_storecnt_dscnt 0x0
	s_barrier_signal -1
	s_barrier_wait -1
	v_cmpx_lt_i32_e32 23, v92
	s_cbranch_execz .LBB76_503
; %bb.502:
	v_pk_mul_f32 v[94:95], v[84:85], v[26:27] op_sel:[1,1] op_sel_hi:[0,1]
	s_delay_alu instid0(VALU_DEP_1)
	v_pk_fma_f32 v[86:87], v[84:85], v[26:27], v[94:95] op_sel_hi:[1,0,1] neg_lo:[0,0,1] neg_hi:[0,0,1]
	v_pk_fma_f32 v[84:85], v[84:85], v[26:27], v[94:95] op_sel_hi:[1,0,1]
	ds_load_2addr_b64 v[94:97], v88 offset0:24 offset1:25
	v_dual_mov_b32 v26, v86 :: v_dual_mov_b32 v27, v85
	s_wait_dscnt 0x0
	v_pk_mul_f32 v[98:99], v[94:95], v[84:85] op_sel:[0,1]
	s_delay_alu instid0(VALU_DEP_1) | instskip(SKIP_1) | instid1(VALU_DEP_1)
	v_pk_fma_f32 v[100:101], v[94:95], v[86:87], v[98:99] op_sel:[0,0,1] op_sel_hi:[1,1,0] neg_lo:[0,0,1] neg_hi:[0,0,1]
	v_pk_fma_f32 v[94:95], v[94:95], v[86:87], v[98:99] op_sel:[0,0,1] op_sel_hi:[1,0,0]
	v_mov_b32_e32 v101, v95
	v_pk_mul_f32 v[94:95], v[96:97], v[84:85] op_sel:[0,1]
	s_delay_alu instid0(VALU_DEP_1) | instskip(SKIP_1) | instid1(VALU_DEP_1)
	v_pk_fma_f32 v[98:99], v[96:97], v[86:87], v[94:95] op_sel:[0,0,1] op_sel_hi:[1,1,0] neg_lo:[0,0,1] neg_hi:[0,0,1]
	v_pk_fma_f32 v[94:95], v[96:97], v[86:87], v[94:95] op_sel:[0,0,1] op_sel_hi:[1,0,0]
	v_mov_b32_e32 v99, v95
	ds_load_2addr_b64 v[94:97], v88 offset0:26 offset1:27
	v_pk_add_f32 v[60:61], v[60:61], v[100:101] neg_lo:[0,1] neg_hi:[0,1]
	v_pk_add_f32 v[58:59], v[58:59], v[98:99] neg_lo:[0,1] neg_hi:[0,1]
	s_wait_dscnt 0x0
	v_pk_mul_f32 v[98:99], v[94:95], v[84:85] op_sel:[0,1]
	s_delay_alu instid0(VALU_DEP_1) | instskip(SKIP_2) | instid1(VALU_DEP_2)
	v_pk_fma_f32 v[100:101], v[94:95], v[86:87], v[98:99] op_sel:[0,0,1] op_sel_hi:[1,1,0] neg_lo:[0,0,1] neg_hi:[0,0,1]
	v_pk_fma_f32 v[94:95], v[94:95], v[86:87], v[98:99] op_sel:[0,0,1] op_sel_hi:[1,0,0]
	v_dual_mul_f32 v98, v97, v85 :: v_dual_mov_b32 v94, v97
	v_dual_mov_b32 v101, v95 :: v_dual_mov_b32 v95, v96
	s_delay_alu instid0(VALU_DEP_2) | instskip(SKIP_1) | instid1(VALU_DEP_3)
	v_pk_fma_f32 v[98:99], v[96:97], v[26:27], v[98:99] op_sel_hi:[1,1,0] neg_lo:[0,0,1] neg_hi:[0,0,1]
	v_mul_f32_e32 v96, v97, v86
	v_pk_add_f32 v[24:25], v[24:25], v[100:101] neg_lo:[0,1] neg_hi:[0,1]
	s_delay_alu instid0(VALU_DEP_2) | instskip(NEXT) | instid1(VALU_DEP_1)
	v_pk_fma_f32 v[94:95], v[94:95], v[26:27], v[96:97] op_sel_hi:[1,1,0]
	v_mov_b32_e32 v99, v95
	ds_load_2addr_b64 v[94:97], v88 offset0:28 offset1:29
	v_pk_add_f32 v[22:23], v[22:23], v[98:99] neg_lo:[0,1] neg_hi:[0,1]
	s_wait_dscnt 0x0
	v_pk_mul_f32 v[98:99], v[94:95], v[84:85] op_sel:[0,1]
	s_delay_alu instid0(VALU_DEP_1) | instskip(SKIP_1) | instid1(VALU_DEP_1)
	v_pk_fma_f32 v[100:101], v[94:95], v[86:87], v[98:99] op_sel:[0,0,1] op_sel_hi:[1,1,0] neg_lo:[0,0,1] neg_hi:[0,0,1]
	v_pk_fma_f32 v[94:95], v[94:95], v[86:87], v[98:99] op_sel:[0,0,1] op_sel_hi:[1,0,0]
	v_mov_b32_e32 v101, v95
	v_pk_mul_f32 v[94:95], v[96:97], v[84:85] op_sel:[0,1]
	s_delay_alu instid0(VALU_DEP_1) | instskip(SKIP_1) | instid1(VALU_DEP_1)
	v_pk_fma_f32 v[98:99], v[96:97], v[86:87], v[94:95] op_sel:[0,0,1] op_sel_hi:[1,1,0] neg_lo:[0,0,1] neg_hi:[0,0,1]
	v_pk_fma_f32 v[94:95], v[96:97], v[86:87], v[94:95] op_sel:[0,0,1] op_sel_hi:[1,0,0]
	v_mov_b32_e32 v99, v95
	ds_load_2addr_b64 v[94:97], v88 offset0:30 offset1:31
	v_pk_add_f32 v[48:49], v[48:49], v[100:101] neg_lo:[0,1] neg_hi:[0,1]
	v_pk_add_f32 v[46:47], v[46:47], v[98:99] neg_lo:[0,1] neg_hi:[0,1]
	s_wait_dscnt 0x0
	v_pk_mul_f32 v[98:99], v[94:95], v[84:85] op_sel:[0,1]
	s_delay_alu instid0(VALU_DEP_1) | instskip(SKIP_1) | instid1(VALU_DEP_1)
	v_pk_fma_f32 v[100:101], v[94:95], v[86:87], v[98:99] op_sel:[0,0,1] op_sel_hi:[1,1,0] neg_lo:[0,0,1] neg_hi:[0,0,1]
	v_pk_fma_f32 v[94:95], v[94:95], v[86:87], v[98:99] op_sel:[0,0,1] op_sel_hi:[1,0,0]
	v_mov_b32_e32 v101, v95
	v_pk_mul_f32 v[94:95], v[96:97], v[84:85] op_sel:[0,1]
	s_delay_alu instid0(VALU_DEP_1) | instskip(SKIP_1) | instid1(VALU_DEP_1)
	v_pk_fma_f32 v[98:99], v[96:97], v[86:87], v[94:95] op_sel:[0,0,1] op_sel_hi:[1,1,0] neg_lo:[0,0,1] neg_hi:[0,0,1]
	v_pk_fma_f32 v[94:95], v[96:97], v[86:87], v[94:95] op_sel:[0,0,1] op_sel_hi:[1,0,0]
	v_mov_b32_e32 v99, v95
	ds_load_2addr_b64 v[94:97], v88 offset0:32 offset1:33
	v_pk_add_f32 v[10:11], v[10:11], v[100:101] neg_lo:[0,1] neg_hi:[0,1]
	v_pk_add_f32 v[6:7], v[6:7], v[98:99] neg_lo:[0,1] neg_hi:[0,1]
	s_wait_dscnt 0x0
	v_dual_mul_f32 v98, v95, v85 :: v_dual_mul_f32 v100, v95, v86
	s_delay_alu instid0(VALU_DEP_1) | instskip(NEXT) | instid1(VALU_DEP_2)
	v_pk_fma_f32 v[98:99], v[94:95], v[26:27], v[98:99] op_sel_hi:[1,1,0] neg_lo:[0,0,1] neg_hi:[0,0,1]
	v_pk_fma_f32 v[94:95], v[94:95], v[26:27], v[100:101] op_sel:[1,0,0] op_sel_hi:[0,1,0]
	s_delay_alu instid0(VALU_DEP_1) | instskip(SKIP_1) | instid1(VALU_DEP_2)
	v_mov_b32_e32 v99, v95
	v_pk_mul_f32 v[94:95], v[96:97], v[84:85] op_sel:[0,1]
	v_pk_add_f32 v[44:45], v[44:45], v[98:99] neg_lo:[0,1] neg_hi:[0,1]
	s_delay_alu instid0(VALU_DEP_2) | instskip(SKIP_1) | instid1(VALU_DEP_1)
	v_pk_fma_f32 v[98:99], v[96:97], v[86:87], v[94:95] op_sel:[0,0,1] op_sel_hi:[1,1,0] neg_lo:[0,0,1] neg_hi:[0,0,1]
	v_pk_fma_f32 v[94:95], v[96:97], v[86:87], v[94:95] op_sel:[0,0,1] op_sel_hi:[1,0,0]
	v_mov_b32_e32 v99, v95
	ds_load_2addr_b64 v[94:97], v88 offset0:34 offset1:35
	v_pk_add_f32 v[42:43], v[42:43], v[98:99] neg_lo:[0,1] neg_hi:[0,1]
	s_wait_dscnt 0x0
	v_pk_mul_f32 v[98:99], v[94:95], v[84:85] op_sel:[0,1]
	s_delay_alu instid0(VALU_DEP_1) | instskip(SKIP_1) | instid1(VALU_DEP_1)
	v_pk_fma_f32 v[100:101], v[94:95], v[86:87], v[98:99] op_sel:[0,0,1] op_sel_hi:[1,1,0] neg_lo:[0,0,1] neg_hi:[0,0,1]
	v_pk_fma_f32 v[94:95], v[94:95], v[86:87], v[98:99] op_sel:[0,0,1] op_sel_hi:[1,0,0]
	v_mov_b32_e32 v101, v95
	v_pk_mul_f32 v[94:95], v[96:97], v[84:85] op_sel:[0,1]
	s_delay_alu instid0(VALU_DEP_2) | instskip(NEXT) | instid1(VALU_DEP_2)
	v_pk_add_f32 v[8:9], v[8:9], v[100:101] neg_lo:[0,1] neg_hi:[0,1]
	v_pk_fma_f32 v[98:99], v[96:97], v[86:87], v[94:95] op_sel:[0,0,1] op_sel_hi:[1,1,0] neg_lo:[0,0,1] neg_hi:[0,0,1]
	v_pk_fma_f32 v[94:95], v[96:97], v[86:87], v[94:95] op_sel:[0,0,1] op_sel_hi:[1,0,0]
	s_delay_alu instid0(VALU_DEP_1) | instskip(SKIP_4) | instid1(VALU_DEP_1)
	v_mov_b32_e32 v99, v95
	ds_load_2addr_b64 v[94:97], v88 offset0:36 offset1:37
	v_pk_add_f32 v[40:41], v[40:41], v[98:99] neg_lo:[0,1] neg_hi:[0,1]
	s_wait_dscnt 0x0
	v_pk_mul_f32 v[98:99], v[94:95], v[84:85] op_sel:[0,1]
	v_pk_fma_f32 v[100:101], v[94:95], v[86:87], v[98:99] op_sel:[0,0,1] op_sel_hi:[1,1,0] neg_lo:[0,0,1] neg_hi:[0,0,1]
	v_pk_fma_f32 v[94:95], v[94:95], v[86:87], v[98:99] op_sel:[0,0,1] op_sel_hi:[1,0,0]
	v_dual_mul_f32 v98, v97, v85 :: v_dual_mov_b32 v94, v97
	s_delay_alu instid0(VALU_DEP_2) | instskip(NEXT) | instid1(VALU_DEP_2)
	v_dual_mov_b32 v101, v95 :: v_dual_mov_b32 v95, v96
	v_pk_fma_f32 v[98:99], v[96:97], v[26:27], v[98:99] op_sel_hi:[1,1,0] neg_lo:[0,0,1] neg_hi:[0,0,1]
	v_mul_f32_e32 v96, v97, v86
	s_delay_alu instid0(VALU_DEP_3) | instskip(NEXT) | instid1(VALU_DEP_2)
	v_pk_add_f32 v[34:35], v[34:35], v[100:101] neg_lo:[0,1] neg_hi:[0,1]
	v_pk_fma_f32 v[94:95], v[94:95], v[26:27], v[96:97] op_sel_hi:[1,1,0]
	s_delay_alu instid0(VALU_DEP_1) | instskip(SKIP_4) | instid1(VALU_DEP_1)
	v_mov_b32_e32 v99, v95
	ds_load_b64 v[94:95], v88 offset:304
	v_pk_add_f32 v[20:21], v[20:21], v[98:99] neg_lo:[0,1] neg_hi:[0,1]
	s_wait_dscnt 0x0
	v_pk_mul_f32 v[84:85], v[94:95], v[84:85] op_sel:[0,1]
	v_pk_fma_f32 v[96:97], v[94:95], v[86:87], v[84:85] op_sel:[0,0,1] op_sel_hi:[1,1,0] neg_lo:[0,0,1] neg_hi:[0,0,1]
	v_pk_fma_f32 v[84:85], v[94:95], v[86:87], v[84:85] op_sel:[0,0,1] op_sel_hi:[1,0,0]
	s_delay_alu instid0(VALU_DEP_1) | instskip(NEXT) | instid1(VALU_DEP_1)
	v_mov_b32_e32 v97, v85
	v_pk_add_f32 v[82:83], v[82:83], v[96:97] neg_lo:[0,1] neg_hi:[0,1]
.LBB76_503:
	s_or_b32 exec_lo, exec_lo, s0
	v_lshl_add_u32 v84, v92, 3, v88
	s_barrier_signal -1
	s_barrier_wait -1
	ds_store_b64 v84, v[60:61]
	s_wait_dscnt 0x0
	s_barrier_signal -1
	s_barrier_wait -1
	ds_load_b64 v[84:85], v88 offset:192
	v_mov_b32_e32 v86, 24
	s_cmp_lt_i32 s18, 26
	s_cbranch_scc1 .LBB76_506
; %bb.504:
	v_add3_u32 v87, v89, 0, 0xc8
	v_mov_b32_e32 v86, 24
	s_mov_b32 s0, 25
.LBB76_505:                             ; =>This Inner Loop Header: Depth=1
	ds_load_b64 v[94:95], v87
	s_wait_dscnt 0x1
	v_cmp_gt_f32_e32 vcc_lo, 0, v84
	v_cndmask_b32_e64 v96, v84, -v84, vcc_lo
	v_cmp_gt_f32_e32 vcc_lo, 0, v85
	v_cndmask_b32_e64 v98, v85, -v85, vcc_lo
	s_wait_dscnt 0x0
	v_cmp_gt_f32_e32 vcc_lo, 0, v94
	v_cndmask_b32_e64 v97, v94, -v94, vcc_lo
	v_cmp_gt_f32_e32 vcc_lo, 0, v95
	v_cndmask_b32_e64 v99, v95, -v95, vcc_lo
	s_delay_alu instid0(VALU_DEP_1) | instskip(NEXT) | instid1(VALU_DEP_1)
	v_pk_add_f32 v[96:97], v[96:97], v[98:99]
	v_cmp_lt_f32_e32 vcc_lo, v96, v97
	v_dual_cndmask_b32 v84, v84, v94 :: v_dual_add_nc_u32 v87, 8, v87
	v_cndmask_b32_e32 v85, v85, v95, vcc_lo
	v_cndmask_b32_e64 v86, v86, s0, vcc_lo
	s_add_co_i32 s0, s0, 1
	s_delay_alu instid0(SALU_CYCLE_1)
	s_cmp_lg_u32 s18, s0
	s_cbranch_scc1 .LBB76_505
.LBB76_506:
	s_wait_dscnt 0x0
	v_cmp_eq_f32_e32 vcc_lo, 0, v84
	v_cmp_eq_f32_e64 s0, 0, v85
	s_and_b32 s0, vcc_lo, s0
	s_delay_alu instid0(SALU_CYCLE_1) | instskip(NEXT) | instid1(SALU_CYCLE_1)
	s_and_saveexec_b32 s1, s0
	s_xor_b32 s0, exec_lo, s1
; %bb.507:
	v_cmp_ne_u32_e32 vcc_lo, 0, v90
	v_cndmask_b32_e32 v90, 25, v90, vcc_lo
; %bb.508:
	s_and_not1_saveexec_b32 s0, s0
	s_cbranch_execz .LBB76_514
; %bb.509:
	v_cmp_ngt_f32_e64 s1, |v84|, |v85|
	s_and_saveexec_b32 s12, s1
	s_delay_alu instid0(SALU_CYCLE_1)
	s_xor_b32 s1, exec_lo, s12
	s_cbranch_execz .LBB76_511
; %bb.510:
	v_div_scale_f32 v87, null, v85, v85, v84
	v_div_scale_f32 v95, vcc_lo, v84, v85, v84
	s_delay_alu instid0(VALU_DEP_2) | instskip(SKIP_1) | instid1(TRANS32_DEP_1)
	v_rcp_f32_e32 v93, v87
	v_nop
	v_fma_f32 v94, -v87, v93, 1.0
	s_delay_alu instid0(VALU_DEP_1) | instskip(NEXT) | instid1(VALU_DEP_1)
	v_fmac_f32_e32 v93, v94, v93
	v_mul_f32_e32 v94, v95, v93
	s_delay_alu instid0(VALU_DEP_1) | instskip(NEXT) | instid1(VALU_DEP_1)
	v_fma_f32 v96, -v87, v94, v95
	v_fmac_f32_e32 v94, v96, v93
	s_delay_alu instid0(VALU_DEP_1) | instskip(NEXT) | instid1(VALU_DEP_1)
	v_fma_f32 v87, -v87, v94, v95
	v_div_fmas_f32 v87, v87, v93, v94
	s_delay_alu instid0(VALU_DEP_1) | instskip(NEXT) | instid1(VALU_DEP_1)
	v_div_fixup_f32 v87, v87, v85, v84
	v_fmac_f32_e32 v85, v84, v87
	s_delay_alu instid0(VALU_DEP_1) | instskip(SKIP_1) | instid1(VALU_DEP_2)
	v_div_scale_f32 v84, null, v85, v85, 1.0
	v_div_scale_f32 v95, vcc_lo, 1.0, v85, 1.0
	v_rcp_f32_e32 v93, v84
	v_nop
	s_delay_alu instid0(TRANS32_DEP_1) | instskip(NEXT) | instid1(VALU_DEP_1)
	v_fma_f32 v94, -v84, v93, 1.0
	v_fmac_f32_e32 v93, v94, v93
	s_delay_alu instid0(VALU_DEP_1) | instskip(NEXT) | instid1(VALU_DEP_1)
	v_mul_f32_e32 v94, v95, v93
	v_fma_f32 v96, -v84, v94, v95
	s_delay_alu instid0(VALU_DEP_1) | instskip(NEXT) | instid1(VALU_DEP_1)
	v_fmac_f32_e32 v94, v96, v93
	v_fma_f32 v84, -v84, v94, v95
	s_delay_alu instid0(VALU_DEP_1) | instskip(NEXT) | instid1(VALU_DEP_1)
	v_div_fmas_f32 v84, v84, v93, v94
	v_div_fixup_f32 v85, v84, v85, 1.0
	s_delay_alu instid0(VALU_DEP_1)
	v_mul_f32_e32 v84, v87, v85
	v_xor_b32_e32 v85, 0x80000000, v85
.LBB76_511:
	s_and_not1_saveexec_b32 s1, s1
	s_cbranch_execz .LBB76_513
; %bb.512:
	s_delay_alu instid0(VALU_DEP_1) | instskip(SKIP_1) | instid1(VALU_DEP_2)
	v_div_scale_f32 v87, null, v84, v84, v85
	v_div_scale_f32 v95, vcc_lo, v85, v84, v85
	v_rcp_f32_e32 v93, v87
	v_nop
	s_delay_alu instid0(TRANS32_DEP_1) | instskip(NEXT) | instid1(VALU_DEP_1)
	v_fma_f32 v94, -v87, v93, 1.0
	v_fmac_f32_e32 v93, v94, v93
	s_delay_alu instid0(VALU_DEP_1) | instskip(NEXT) | instid1(VALU_DEP_1)
	v_mul_f32_e32 v94, v95, v93
	v_fma_f32 v96, -v87, v94, v95
	s_delay_alu instid0(VALU_DEP_1) | instskip(NEXT) | instid1(VALU_DEP_1)
	v_fmac_f32_e32 v94, v96, v93
	v_fma_f32 v87, -v87, v94, v95
	s_delay_alu instid0(VALU_DEP_1) | instskip(NEXT) | instid1(VALU_DEP_1)
	v_div_fmas_f32 v87, v87, v93, v94
	v_div_fixup_f32 v87, v87, v84, v85
	s_delay_alu instid0(VALU_DEP_1) | instskip(NEXT) | instid1(VALU_DEP_1)
	v_fmac_f32_e32 v84, v85, v87
	v_div_scale_f32 v85, null, v84, v84, 1.0
	s_delay_alu instid0(VALU_DEP_1) | instskip(SKIP_1) | instid1(TRANS32_DEP_1)
	v_rcp_f32_e32 v93, v85
	v_nop
	v_fma_f32 v94, -v85, v93, 1.0
	s_delay_alu instid0(VALU_DEP_1) | instskip(SKIP_1) | instid1(VALU_DEP_1)
	v_fmac_f32_e32 v93, v94, v93
	v_div_scale_f32 v94, vcc_lo, 1.0, v84, 1.0
	v_mul_f32_e32 v95, v94, v93
	s_delay_alu instid0(VALU_DEP_1) | instskip(NEXT) | instid1(VALU_DEP_1)
	v_fma_f32 v96, -v85, v95, v94
	v_fmac_f32_e32 v95, v96, v93
	s_delay_alu instid0(VALU_DEP_1) | instskip(NEXT) | instid1(VALU_DEP_1)
	v_fma_f32 v85, -v85, v95, v94
	v_div_fmas_f32 v85, v85, v93, v95
	s_delay_alu instid0(VALU_DEP_1) | instskip(NEXT) | instid1(VALU_DEP_1)
	v_div_fixup_f32 v84, v85, v84, 1.0
	v_mul_f32_e64 v85, v87, -v84
.LBB76_513:
	s_or_b32 exec_lo, exec_lo, s1
.LBB76_514:
	s_delay_alu instid0(SALU_CYCLE_1) | instskip(NEXT) | instid1(SALU_CYCLE_1)
	s_or_b32 exec_lo, exec_lo, s0
	s_mov_b32 s0, exec_lo
	v_cmpx_ne_u32_e64 v92, v86
	s_xor_b32 s0, exec_lo, s0
	s_cbranch_execz .LBB76_520
; %bb.515:
	s_mov_b32 s1, exec_lo
	v_cmpx_eq_u32_e32 24, v92
	s_cbranch_execz .LBB76_519
; %bb.516:
	v_cmp_ne_u32_e32 vcc_lo, 24, v86
	s_xor_b32 s12, s16, -1
	s_delay_alu instid0(SALU_CYCLE_1) | instskip(NEXT) | instid1(SALU_CYCLE_1)
	s_and_b32 s13, s12, vcc_lo
	s_and_saveexec_b32 s12, s13
	s_cbranch_execz .LBB76_518
; %bb.517:
	v_ashrrev_i32_e32 v87, 31, v86
	s_delay_alu instid0(VALU_DEP_1)
	v_lshl_add_u64 v[92:93], v[86:87], 2, v[4:5]
	s_clause 0x1
	global_load_b32 v87, v[92:93], off
	global_load_b32 v91, v[4:5], off offset:96
	s_wait_loadcnt 0x1
	global_store_b32 v[4:5], v87, off offset:96
	s_wait_loadcnt 0x0
	global_store_b32 v[92:93], v91, off
.LBB76_518:
	s_wait_xcnt 0x0
	s_or_b32 exec_lo, exec_lo, s12
	v_dual_mov_b32 v92, v86 :: v_dual_mov_b32 v91, v86
.LBB76_519:
	s_or_b32 exec_lo, exec_lo, s1
.LBB76_520:
	s_and_not1_saveexec_b32 s0, s0
	s_cbranch_execz .LBB76_522
; %bb.521:
	v_mov_b32_e32 v92, 24
	ds_store_2addr_b64 v88, v[58:59], v[24:25] offset0:25 offset1:26
	ds_store_2addr_b64 v88, v[22:23], v[48:49] offset0:27 offset1:28
	;; [unrolled: 1-line block ×7, first 2 shown]
.LBB76_522:
	s_or_b32 exec_lo, exec_lo, s0
	s_delay_alu instid0(SALU_CYCLE_1)
	s_mov_b32 s0, exec_lo
	s_wait_storecnt_dscnt 0x0
	s_barrier_signal -1
	s_barrier_wait -1
	v_cmpx_lt_i32_e32 24, v92
	s_cbranch_execz .LBB76_524
; %bb.523:
	v_pk_mul_f32 v[86:87], v[84:85], v[60:61] op_sel:[1,1] op_sel_hi:[0,1]
	s_delay_alu instid0(VALU_DEP_1)
	v_pk_fma_f32 v[94:95], v[84:85], v[60:61], v[86:87] op_sel_hi:[1,0,1] neg_lo:[0,0,1] neg_hi:[0,0,1]
	v_pk_fma_f32 v[96:97], v[84:85], v[60:61], v[86:87] op_sel_hi:[1,0,1]
	ds_load_2addr_b64 v[84:87], v88 offset0:25 offset1:26
	v_dual_mov_b32 v60, v94 :: v_dual_mov_b32 v61, v97
	s_wait_dscnt 0x0
	v_pk_mul_f32 v[98:99], v[84:85], v[96:97] op_sel:[0,1]
	s_delay_alu instid0(VALU_DEP_1) | instskip(SKIP_1) | instid1(VALU_DEP_1)
	v_pk_fma_f32 v[100:101], v[84:85], v[94:95], v[98:99] op_sel:[0,0,1] op_sel_hi:[1,1,0] neg_lo:[0,0,1] neg_hi:[0,0,1]
	v_pk_fma_f32 v[84:85], v[84:85], v[94:95], v[98:99] op_sel:[0,0,1] op_sel_hi:[1,0,0]
	v_mov_b32_e32 v101, v85
	v_pk_mul_f32 v[84:85], v[86:87], v[96:97] op_sel:[0,1]
	s_delay_alu instid0(VALU_DEP_1) | instskip(SKIP_1) | instid1(VALU_DEP_1)
	v_pk_fma_f32 v[98:99], v[86:87], v[94:95], v[84:85] op_sel:[0,0,1] op_sel_hi:[1,1,0] neg_lo:[0,0,1] neg_hi:[0,0,1]
	v_pk_fma_f32 v[84:85], v[86:87], v[94:95], v[84:85] op_sel:[0,0,1] op_sel_hi:[1,0,0]
	v_mov_b32_e32 v99, v85
	ds_load_2addr_b64 v[84:87], v88 offset0:27 offset1:28
	v_pk_add_f32 v[58:59], v[58:59], v[100:101] neg_lo:[0,1] neg_hi:[0,1]
	v_pk_add_f32 v[24:25], v[24:25], v[98:99] neg_lo:[0,1] neg_hi:[0,1]
	s_wait_dscnt 0x0
	v_pk_mul_f32 v[98:99], v[84:85], v[96:97] op_sel:[0,1]
	s_delay_alu instid0(VALU_DEP_1) | instskip(SKIP_2) | instid1(VALU_DEP_2)
	v_pk_fma_f32 v[100:101], v[84:85], v[94:95], v[98:99] op_sel:[0,0,1] op_sel_hi:[1,1,0] neg_lo:[0,0,1] neg_hi:[0,0,1]
	v_pk_fma_f32 v[84:85], v[84:85], v[94:95], v[98:99] op_sel:[0,0,1] op_sel_hi:[1,0,0]
	v_dual_mul_f32 v98, v87, v97 :: v_dual_mov_b32 v84, v87
	v_dual_mov_b32 v101, v85 :: v_dual_mov_b32 v85, v86
	s_delay_alu instid0(VALU_DEP_2) | instskip(SKIP_1) | instid1(VALU_DEP_3)
	v_pk_fma_f32 v[98:99], v[86:87], v[60:61], v[98:99] op_sel_hi:[1,1,0] neg_lo:[0,0,1] neg_hi:[0,0,1]
	v_mul_f32_e32 v86, v87, v94
	v_pk_add_f32 v[22:23], v[22:23], v[100:101] neg_lo:[0,1] neg_hi:[0,1]
	s_delay_alu instid0(VALU_DEP_2) | instskip(NEXT) | instid1(VALU_DEP_1)
	v_pk_fma_f32 v[84:85], v[84:85], v[60:61], v[86:87] op_sel_hi:[1,1,0]
	v_mov_b32_e32 v99, v85
	ds_load_2addr_b64 v[84:87], v88 offset0:29 offset1:30
	v_pk_add_f32 v[48:49], v[48:49], v[98:99] neg_lo:[0,1] neg_hi:[0,1]
	s_wait_dscnt 0x0
	v_pk_mul_f32 v[98:99], v[84:85], v[96:97] op_sel:[0,1]
	s_delay_alu instid0(VALU_DEP_1) | instskip(SKIP_1) | instid1(VALU_DEP_1)
	v_pk_fma_f32 v[100:101], v[84:85], v[94:95], v[98:99] op_sel:[0,0,1] op_sel_hi:[1,1,0] neg_lo:[0,0,1] neg_hi:[0,0,1]
	v_pk_fma_f32 v[84:85], v[84:85], v[94:95], v[98:99] op_sel:[0,0,1] op_sel_hi:[1,0,0]
	v_mov_b32_e32 v101, v85
	v_pk_mul_f32 v[84:85], v[86:87], v[96:97] op_sel:[0,1]
	s_delay_alu instid0(VALU_DEP_1) | instskip(SKIP_1) | instid1(VALU_DEP_1)
	v_pk_fma_f32 v[98:99], v[86:87], v[94:95], v[84:85] op_sel:[0,0,1] op_sel_hi:[1,1,0] neg_lo:[0,0,1] neg_hi:[0,0,1]
	v_pk_fma_f32 v[84:85], v[86:87], v[94:95], v[84:85] op_sel:[0,0,1] op_sel_hi:[1,0,0]
	v_mov_b32_e32 v99, v85
	ds_load_2addr_b64 v[84:87], v88 offset0:31 offset1:32
	v_pk_add_f32 v[46:47], v[46:47], v[100:101] neg_lo:[0,1] neg_hi:[0,1]
	v_pk_add_f32 v[10:11], v[10:11], v[98:99] neg_lo:[0,1] neg_hi:[0,1]
	s_wait_dscnt 0x0
	v_pk_mul_f32 v[98:99], v[84:85], v[96:97] op_sel:[0,1]
	s_delay_alu instid0(VALU_DEP_1) | instskip(SKIP_1) | instid1(VALU_DEP_1)
	v_pk_fma_f32 v[100:101], v[84:85], v[94:95], v[98:99] op_sel:[0,0,1] op_sel_hi:[1,1,0] neg_lo:[0,0,1] neg_hi:[0,0,1]
	v_pk_fma_f32 v[84:85], v[84:85], v[94:95], v[98:99] op_sel:[0,0,1] op_sel_hi:[1,0,0]
	v_mov_b32_e32 v101, v85
	v_pk_mul_f32 v[84:85], v[86:87], v[96:97] op_sel:[0,1]
	s_delay_alu instid0(VALU_DEP_1) | instskip(SKIP_1) | instid1(VALU_DEP_1)
	v_pk_fma_f32 v[98:99], v[86:87], v[94:95], v[84:85] op_sel:[0,0,1] op_sel_hi:[1,1,0] neg_lo:[0,0,1] neg_hi:[0,0,1]
	v_pk_fma_f32 v[84:85], v[86:87], v[94:95], v[84:85] op_sel:[0,0,1] op_sel_hi:[1,0,0]
	v_mov_b32_e32 v99, v85
	ds_load_2addr_b64 v[84:87], v88 offset0:33 offset1:34
	v_pk_add_f32 v[6:7], v[6:7], v[100:101] neg_lo:[0,1] neg_hi:[0,1]
	v_pk_add_f32 v[44:45], v[44:45], v[98:99] neg_lo:[0,1] neg_hi:[0,1]
	s_wait_dscnt 0x0
	v_dual_mul_f32 v98, v85, v97 :: v_dual_mul_f32 v100, v85, v94
	s_delay_alu instid0(VALU_DEP_1) | instskip(NEXT) | instid1(VALU_DEP_2)
	v_pk_fma_f32 v[98:99], v[84:85], v[60:61], v[98:99] op_sel_hi:[1,1,0] neg_lo:[0,0,1] neg_hi:[0,0,1]
	v_pk_fma_f32 v[84:85], v[84:85], v[60:61], v[100:101] op_sel:[1,0,0] op_sel_hi:[0,1,0]
	s_delay_alu instid0(VALU_DEP_1) | instskip(SKIP_1) | instid1(VALU_DEP_2)
	v_mov_b32_e32 v99, v85
	v_pk_mul_f32 v[84:85], v[86:87], v[96:97] op_sel:[0,1]
	v_pk_add_f32 v[42:43], v[42:43], v[98:99] neg_lo:[0,1] neg_hi:[0,1]
	s_delay_alu instid0(VALU_DEP_2) | instskip(SKIP_1) | instid1(VALU_DEP_1)
	v_pk_fma_f32 v[98:99], v[86:87], v[94:95], v[84:85] op_sel:[0,0,1] op_sel_hi:[1,1,0] neg_lo:[0,0,1] neg_hi:[0,0,1]
	v_pk_fma_f32 v[84:85], v[86:87], v[94:95], v[84:85] op_sel:[0,0,1] op_sel_hi:[1,0,0]
	v_mov_b32_e32 v99, v85
	ds_load_2addr_b64 v[84:87], v88 offset0:35 offset1:36
	v_pk_add_f32 v[8:9], v[8:9], v[98:99] neg_lo:[0,1] neg_hi:[0,1]
	s_wait_dscnt 0x0
	v_pk_mul_f32 v[98:99], v[84:85], v[96:97] op_sel:[0,1]
	s_delay_alu instid0(VALU_DEP_1) | instskip(SKIP_1) | instid1(VALU_DEP_1)
	v_pk_fma_f32 v[100:101], v[84:85], v[94:95], v[98:99] op_sel:[0,0,1] op_sel_hi:[1,1,0] neg_lo:[0,0,1] neg_hi:[0,0,1]
	v_pk_fma_f32 v[84:85], v[84:85], v[94:95], v[98:99] op_sel:[0,0,1] op_sel_hi:[1,0,0]
	v_mov_b32_e32 v101, v85
	v_pk_mul_f32 v[84:85], v[86:87], v[96:97] op_sel:[0,1]
	s_delay_alu instid0(VALU_DEP_2) | instskip(NEXT) | instid1(VALU_DEP_2)
	v_pk_add_f32 v[40:41], v[40:41], v[100:101] neg_lo:[0,1] neg_hi:[0,1]
	v_pk_fma_f32 v[98:99], v[86:87], v[94:95], v[84:85] op_sel:[0,0,1] op_sel_hi:[1,1,0] neg_lo:[0,0,1] neg_hi:[0,0,1]
	v_pk_fma_f32 v[84:85], v[86:87], v[94:95], v[84:85] op_sel:[0,0,1] op_sel_hi:[1,0,0]
	s_delay_alu instid0(VALU_DEP_1) | instskip(SKIP_4) | instid1(VALU_DEP_1)
	v_mov_b32_e32 v99, v85
	ds_load_2addr_b64 v[84:87], v88 offset0:37 offset1:38
	v_pk_add_f32 v[34:35], v[34:35], v[98:99] neg_lo:[0,1] neg_hi:[0,1]
	s_wait_dscnt 0x0
	v_pk_mul_f32 v[98:99], v[84:85], v[96:97] op_sel:[0,1]
	v_pk_fma_f32 v[100:101], v[84:85], v[94:95], v[98:99] op_sel:[0,0,1] op_sel_hi:[1,1,0] neg_lo:[0,0,1] neg_hi:[0,0,1]
	v_pk_fma_f32 v[84:85], v[84:85], v[94:95], v[98:99] op_sel:[0,0,1] op_sel_hi:[1,0,0]
	s_delay_alu instid0(VALU_DEP_1) | instskip(SKIP_1) | instid1(VALU_DEP_2)
	v_mov_b32_e32 v101, v85
	v_pk_mul_f32 v[84:85], v[86:87], v[96:97] op_sel:[0,1]
	v_pk_add_f32 v[20:21], v[20:21], v[100:101] neg_lo:[0,1] neg_hi:[0,1]
	s_delay_alu instid0(VALU_DEP_2) | instskip(SKIP_1) | instid1(VALU_DEP_1)
	v_pk_fma_f32 v[96:97], v[86:87], v[94:95], v[84:85] op_sel:[0,0,1] op_sel_hi:[1,1,0] neg_lo:[0,0,1] neg_hi:[0,0,1]
	v_pk_fma_f32 v[84:85], v[86:87], v[94:95], v[84:85] op_sel:[0,0,1] op_sel_hi:[1,0,0]
	v_mov_b32_e32 v97, v85
	s_delay_alu instid0(VALU_DEP_1)
	v_pk_add_f32 v[82:83], v[82:83], v[96:97] neg_lo:[0,1] neg_hi:[0,1]
.LBB76_524:
	s_or_b32 exec_lo, exec_lo, s0
	v_lshl_add_u32 v84, v92, 3, v88
	s_barrier_signal -1
	s_barrier_wait -1
	ds_store_b64 v84, v[58:59]
	s_wait_dscnt 0x0
	s_barrier_signal -1
	s_barrier_wait -1
	ds_load_b64 v[84:85], v88 offset:200
	v_mov_b32_e32 v86, 25
	s_cmp_lt_i32 s18, 27
	s_cbranch_scc1 .LBB76_527
; %bb.525:
	v_add3_u32 v87, v89, 0, 0xd0
	v_mov_b32_e32 v86, 25
	s_mov_b32 s0, 26
.LBB76_526:                             ; =>This Inner Loop Header: Depth=1
	ds_load_b64 v[94:95], v87
	s_wait_dscnt 0x1
	v_cmp_gt_f32_e32 vcc_lo, 0, v84
	v_cndmask_b32_e64 v96, v84, -v84, vcc_lo
	v_cmp_gt_f32_e32 vcc_lo, 0, v85
	v_cndmask_b32_e64 v98, v85, -v85, vcc_lo
	s_wait_dscnt 0x0
	v_cmp_gt_f32_e32 vcc_lo, 0, v94
	v_cndmask_b32_e64 v97, v94, -v94, vcc_lo
	v_cmp_gt_f32_e32 vcc_lo, 0, v95
	v_cndmask_b32_e64 v99, v95, -v95, vcc_lo
	s_delay_alu instid0(VALU_DEP_1) | instskip(NEXT) | instid1(VALU_DEP_1)
	v_pk_add_f32 v[96:97], v[96:97], v[98:99]
	v_cmp_lt_f32_e32 vcc_lo, v96, v97
	v_dual_cndmask_b32 v84, v84, v94 :: v_dual_add_nc_u32 v87, 8, v87
	v_cndmask_b32_e32 v85, v85, v95, vcc_lo
	v_cndmask_b32_e64 v86, v86, s0, vcc_lo
	s_add_co_i32 s0, s0, 1
	s_delay_alu instid0(SALU_CYCLE_1)
	s_cmp_lg_u32 s18, s0
	s_cbranch_scc1 .LBB76_526
.LBB76_527:
	s_wait_dscnt 0x0
	v_cmp_eq_f32_e32 vcc_lo, 0, v84
	v_cmp_eq_f32_e64 s0, 0, v85
	s_and_b32 s0, vcc_lo, s0
	s_delay_alu instid0(SALU_CYCLE_1) | instskip(NEXT) | instid1(SALU_CYCLE_1)
	s_and_saveexec_b32 s1, s0
	s_xor_b32 s0, exec_lo, s1
; %bb.528:
	v_cmp_ne_u32_e32 vcc_lo, 0, v90
	v_cndmask_b32_e32 v90, 26, v90, vcc_lo
; %bb.529:
	s_and_not1_saveexec_b32 s0, s0
	s_cbranch_execz .LBB76_535
; %bb.530:
	v_cmp_ngt_f32_e64 s1, |v84|, |v85|
	s_and_saveexec_b32 s12, s1
	s_delay_alu instid0(SALU_CYCLE_1)
	s_xor_b32 s1, exec_lo, s12
	s_cbranch_execz .LBB76_532
; %bb.531:
	v_div_scale_f32 v87, null, v85, v85, v84
	v_div_scale_f32 v95, vcc_lo, v84, v85, v84
	s_delay_alu instid0(VALU_DEP_2) | instskip(SKIP_1) | instid1(TRANS32_DEP_1)
	v_rcp_f32_e32 v93, v87
	v_nop
	v_fma_f32 v94, -v87, v93, 1.0
	s_delay_alu instid0(VALU_DEP_1) | instskip(NEXT) | instid1(VALU_DEP_1)
	v_fmac_f32_e32 v93, v94, v93
	v_mul_f32_e32 v94, v95, v93
	s_delay_alu instid0(VALU_DEP_1) | instskip(NEXT) | instid1(VALU_DEP_1)
	v_fma_f32 v96, -v87, v94, v95
	v_fmac_f32_e32 v94, v96, v93
	s_delay_alu instid0(VALU_DEP_1) | instskip(NEXT) | instid1(VALU_DEP_1)
	v_fma_f32 v87, -v87, v94, v95
	v_div_fmas_f32 v87, v87, v93, v94
	s_delay_alu instid0(VALU_DEP_1) | instskip(NEXT) | instid1(VALU_DEP_1)
	v_div_fixup_f32 v87, v87, v85, v84
	v_fmac_f32_e32 v85, v84, v87
	s_delay_alu instid0(VALU_DEP_1) | instskip(SKIP_1) | instid1(VALU_DEP_2)
	v_div_scale_f32 v84, null, v85, v85, 1.0
	v_div_scale_f32 v95, vcc_lo, 1.0, v85, 1.0
	v_rcp_f32_e32 v93, v84
	v_nop
	s_delay_alu instid0(TRANS32_DEP_1) | instskip(NEXT) | instid1(VALU_DEP_1)
	v_fma_f32 v94, -v84, v93, 1.0
	v_fmac_f32_e32 v93, v94, v93
	s_delay_alu instid0(VALU_DEP_1) | instskip(NEXT) | instid1(VALU_DEP_1)
	v_mul_f32_e32 v94, v95, v93
	v_fma_f32 v96, -v84, v94, v95
	s_delay_alu instid0(VALU_DEP_1) | instskip(NEXT) | instid1(VALU_DEP_1)
	v_fmac_f32_e32 v94, v96, v93
	v_fma_f32 v84, -v84, v94, v95
	s_delay_alu instid0(VALU_DEP_1) | instskip(NEXT) | instid1(VALU_DEP_1)
	v_div_fmas_f32 v84, v84, v93, v94
	v_div_fixup_f32 v85, v84, v85, 1.0
	s_delay_alu instid0(VALU_DEP_1)
	v_mul_f32_e32 v84, v87, v85
	v_xor_b32_e32 v85, 0x80000000, v85
.LBB76_532:
	s_and_not1_saveexec_b32 s1, s1
	s_cbranch_execz .LBB76_534
; %bb.533:
	s_delay_alu instid0(VALU_DEP_1) | instskip(SKIP_1) | instid1(VALU_DEP_2)
	v_div_scale_f32 v87, null, v84, v84, v85
	v_div_scale_f32 v95, vcc_lo, v85, v84, v85
	v_rcp_f32_e32 v93, v87
	v_nop
	s_delay_alu instid0(TRANS32_DEP_1) | instskip(NEXT) | instid1(VALU_DEP_1)
	v_fma_f32 v94, -v87, v93, 1.0
	v_fmac_f32_e32 v93, v94, v93
	s_delay_alu instid0(VALU_DEP_1) | instskip(NEXT) | instid1(VALU_DEP_1)
	v_mul_f32_e32 v94, v95, v93
	v_fma_f32 v96, -v87, v94, v95
	s_delay_alu instid0(VALU_DEP_1) | instskip(NEXT) | instid1(VALU_DEP_1)
	v_fmac_f32_e32 v94, v96, v93
	v_fma_f32 v87, -v87, v94, v95
	s_delay_alu instid0(VALU_DEP_1) | instskip(NEXT) | instid1(VALU_DEP_1)
	v_div_fmas_f32 v87, v87, v93, v94
	v_div_fixup_f32 v87, v87, v84, v85
	s_delay_alu instid0(VALU_DEP_1) | instskip(NEXT) | instid1(VALU_DEP_1)
	v_fmac_f32_e32 v84, v85, v87
	v_div_scale_f32 v85, null, v84, v84, 1.0
	s_delay_alu instid0(VALU_DEP_1) | instskip(SKIP_1) | instid1(TRANS32_DEP_1)
	v_rcp_f32_e32 v93, v85
	v_nop
	v_fma_f32 v94, -v85, v93, 1.0
	s_delay_alu instid0(VALU_DEP_1) | instskip(SKIP_1) | instid1(VALU_DEP_1)
	v_fmac_f32_e32 v93, v94, v93
	v_div_scale_f32 v94, vcc_lo, 1.0, v84, 1.0
	v_mul_f32_e32 v95, v94, v93
	s_delay_alu instid0(VALU_DEP_1) | instskip(NEXT) | instid1(VALU_DEP_1)
	v_fma_f32 v96, -v85, v95, v94
	v_fmac_f32_e32 v95, v96, v93
	s_delay_alu instid0(VALU_DEP_1) | instskip(NEXT) | instid1(VALU_DEP_1)
	v_fma_f32 v85, -v85, v95, v94
	v_div_fmas_f32 v85, v85, v93, v95
	s_delay_alu instid0(VALU_DEP_1) | instskip(NEXT) | instid1(VALU_DEP_1)
	v_div_fixup_f32 v84, v85, v84, 1.0
	v_mul_f32_e64 v85, v87, -v84
.LBB76_534:
	s_or_b32 exec_lo, exec_lo, s1
.LBB76_535:
	s_delay_alu instid0(SALU_CYCLE_1) | instskip(NEXT) | instid1(SALU_CYCLE_1)
	s_or_b32 exec_lo, exec_lo, s0
	s_mov_b32 s0, exec_lo
	v_cmpx_ne_u32_e64 v92, v86
	s_xor_b32 s0, exec_lo, s0
	s_cbranch_execz .LBB76_541
; %bb.536:
	s_mov_b32 s1, exec_lo
	v_cmpx_eq_u32_e32 25, v92
	s_cbranch_execz .LBB76_540
; %bb.537:
	v_cmp_ne_u32_e32 vcc_lo, 25, v86
	s_xor_b32 s12, s16, -1
	s_delay_alu instid0(SALU_CYCLE_1) | instskip(NEXT) | instid1(SALU_CYCLE_1)
	s_and_b32 s13, s12, vcc_lo
	s_and_saveexec_b32 s12, s13
	s_cbranch_execz .LBB76_539
; %bb.538:
	v_ashrrev_i32_e32 v87, 31, v86
	s_delay_alu instid0(VALU_DEP_1)
	v_lshl_add_u64 v[92:93], v[86:87], 2, v[4:5]
	s_clause 0x1
	global_load_b32 v87, v[92:93], off
	global_load_b32 v91, v[4:5], off offset:100
	s_wait_loadcnt 0x1
	global_store_b32 v[4:5], v87, off offset:100
	s_wait_loadcnt 0x0
	global_store_b32 v[92:93], v91, off
.LBB76_539:
	s_wait_xcnt 0x0
	s_or_b32 exec_lo, exec_lo, s12
	v_dual_mov_b32 v92, v86 :: v_dual_mov_b32 v91, v86
.LBB76_540:
	s_or_b32 exec_lo, exec_lo, s1
.LBB76_541:
	s_and_not1_saveexec_b32 s0, s0
	s_cbranch_execz .LBB76_543
; %bb.542:
	v_dual_mov_b32 v86, v24 :: v_dual_mov_b32 v87, v25
	v_dual_mov_b32 v92, v22 :: v_dual_mov_b32 v93, v23
	;; [unrolled: 1-line block ×4, first 2 shown]
	ds_store_2addr_b64 v88, v[86:87], v[92:93] offset0:26 offset1:27
	ds_store_2addr_b64 v88, v[94:95], v[96:97] offset0:28 offset1:29
	v_dual_mov_b32 v86, v10 :: v_dual_mov_b32 v87, v11
	v_dual_mov_b32 v94, v6 :: v_dual_mov_b32 v95, v7
	;; [unrolled: 1-line block ×8, first 2 shown]
	v_mov_b32_e32 v107, v21
	ds_store_2addr_b64 v88, v[86:87], v[94:95] offset0:30 offset1:31
	ds_store_2addr_b64 v88, v[96:97], v[98:99] offset0:32 offset1:33
	;; [unrolled: 1-line block ×4, first 2 shown]
	ds_store_b64 v88, v[82:83] offset:304
.LBB76_543:
	s_or_b32 exec_lo, exec_lo, s0
	s_delay_alu instid0(SALU_CYCLE_1)
	s_mov_b32 s0, exec_lo
	s_wait_storecnt_dscnt 0x0
	s_barrier_signal -1
	s_barrier_wait -1
	v_cmpx_lt_i32_e32 25, v92
	s_cbranch_execz .LBB76_545
; %bb.544:
	v_pk_mul_f32 v[86:87], v[84:85], v[58:59] op_sel:[1,1] op_sel_hi:[0,1]
	s_delay_alu instid0(VALU_DEP_1)
	v_pk_fma_f32 v[94:95], v[84:85], v[58:59], v[86:87] op_sel_hi:[1,0,1] neg_lo:[0,0,1] neg_hi:[0,0,1]
	v_pk_fma_f32 v[96:97], v[84:85], v[58:59], v[86:87] op_sel_hi:[1,0,1]
	ds_load_2addr_b64 v[84:87], v88 offset0:26 offset1:27
	v_dual_mov_b32 v58, v94 :: v_dual_mov_b32 v59, v97
	s_wait_dscnt 0x0
	v_pk_mul_f32 v[98:99], v[84:85], v[96:97] op_sel:[0,1]
	s_delay_alu instid0(VALU_DEP_1) | instskip(SKIP_1) | instid1(VALU_DEP_1)
	v_pk_fma_f32 v[100:101], v[84:85], v[94:95], v[98:99] op_sel:[0,0,1] op_sel_hi:[1,1,0] neg_lo:[0,0,1] neg_hi:[0,0,1]
	v_pk_fma_f32 v[84:85], v[84:85], v[94:95], v[98:99] op_sel:[0,0,1] op_sel_hi:[1,0,0]
	v_mov_b32_e32 v101, v85
	v_pk_mul_f32 v[84:85], v[86:87], v[96:97] op_sel:[0,1]
	s_delay_alu instid0(VALU_DEP_1) | instskip(SKIP_1) | instid1(VALU_DEP_1)
	v_pk_fma_f32 v[98:99], v[86:87], v[94:95], v[84:85] op_sel:[0,0,1] op_sel_hi:[1,1,0] neg_lo:[0,0,1] neg_hi:[0,0,1]
	v_pk_fma_f32 v[84:85], v[86:87], v[94:95], v[84:85] op_sel:[0,0,1] op_sel_hi:[1,0,0]
	v_mov_b32_e32 v99, v85
	ds_load_2addr_b64 v[84:87], v88 offset0:28 offset1:29
	v_pk_add_f32 v[24:25], v[24:25], v[100:101] neg_lo:[0,1] neg_hi:[0,1]
	v_pk_add_f32 v[22:23], v[22:23], v[98:99] neg_lo:[0,1] neg_hi:[0,1]
	s_wait_dscnt 0x0
	v_pk_mul_f32 v[98:99], v[84:85], v[96:97] op_sel:[0,1]
	s_delay_alu instid0(VALU_DEP_1) | instskip(SKIP_2) | instid1(VALU_DEP_2)
	v_pk_fma_f32 v[100:101], v[84:85], v[94:95], v[98:99] op_sel:[0,0,1] op_sel_hi:[1,1,0] neg_lo:[0,0,1] neg_hi:[0,0,1]
	v_pk_fma_f32 v[84:85], v[84:85], v[94:95], v[98:99] op_sel:[0,0,1] op_sel_hi:[1,0,0]
	v_dual_mul_f32 v98, v87, v97 :: v_dual_mov_b32 v84, v87
	v_dual_mov_b32 v101, v85 :: v_dual_mov_b32 v85, v86
	s_delay_alu instid0(VALU_DEP_2) | instskip(SKIP_1) | instid1(VALU_DEP_3)
	v_pk_fma_f32 v[98:99], v[86:87], v[58:59], v[98:99] op_sel_hi:[1,1,0] neg_lo:[0,0,1] neg_hi:[0,0,1]
	v_mul_f32_e32 v86, v87, v94
	v_pk_add_f32 v[48:49], v[48:49], v[100:101] neg_lo:[0,1] neg_hi:[0,1]
	s_delay_alu instid0(VALU_DEP_2) | instskip(NEXT) | instid1(VALU_DEP_1)
	v_pk_fma_f32 v[84:85], v[84:85], v[58:59], v[86:87] op_sel_hi:[1,1,0]
	v_mov_b32_e32 v99, v85
	ds_load_2addr_b64 v[84:87], v88 offset0:30 offset1:31
	v_pk_add_f32 v[46:47], v[46:47], v[98:99] neg_lo:[0,1] neg_hi:[0,1]
	s_wait_dscnt 0x0
	v_pk_mul_f32 v[98:99], v[84:85], v[96:97] op_sel:[0,1]
	s_delay_alu instid0(VALU_DEP_1) | instskip(SKIP_1) | instid1(VALU_DEP_1)
	v_pk_fma_f32 v[100:101], v[84:85], v[94:95], v[98:99] op_sel:[0,0,1] op_sel_hi:[1,1,0] neg_lo:[0,0,1] neg_hi:[0,0,1]
	v_pk_fma_f32 v[84:85], v[84:85], v[94:95], v[98:99] op_sel:[0,0,1] op_sel_hi:[1,0,0]
	v_mov_b32_e32 v101, v85
	v_pk_mul_f32 v[84:85], v[86:87], v[96:97] op_sel:[0,1]
	s_delay_alu instid0(VALU_DEP_1) | instskip(SKIP_1) | instid1(VALU_DEP_1)
	v_pk_fma_f32 v[98:99], v[86:87], v[94:95], v[84:85] op_sel:[0,0,1] op_sel_hi:[1,1,0] neg_lo:[0,0,1] neg_hi:[0,0,1]
	v_pk_fma_f32 v[84:85], v[86:87], v[94:95], v[84:85] op_sel:[0,0,1] op_sel_hi:[1,0,0]
	v_mov_b32_e32 v99, v85
	ds_load_2addr_b64 v[84:87], v88 offset0:32 offset1:33
	v_pk_add_f32 v[10:11], v[10:11], v[100:101] neg_lo:[0,1] neg_hi:[0,1]
	v_pk_add_f32 v[6:7], v[6:7], v[98:99] neg_lo:[0,1] neg_hi:[0,1]
	s_wait_dscnt 0x0
	v_pk_mul_f32 v[98:99], v[84:85], v[96:97] op_sel:[0,1]
	s_delay_alu instid0(VALU_DEP_1) | instskip(SKIP_1) | instid1(VALU_DEP_1)
	v_pk_fma_f32 v[100:101], v[84:85], v[94:95], v[98:99] op_sel:[0,0,1] op_sel_hi:[1,1,0] neg_lo:[0,0,1] neg_hi:[0,0,1]
	v_pk_fma_f32 v[84:85], v[84:85], v[94:95], v[98:99] op_sel:[0,0,1] op_sel_hi:[1,0,0]
	v_mov_b32_e32 v101, v85
	v_pk_mul_f32 v[84:85], v[86:87], v[96:97] op_sel:[0,1]
	s_delay_alu instid0(VALU_DEP_1) | instskip(SKIP_1) | instid1(VALU_DEP_1)
	v_pk_fma_f32 v[98:99], v[86:87], v[94:95], v[84:85] op_sel:[0,0,1] op_sel_hi:[1,1,0] neg_lo:[0,0,1] neg_hi:[0,0,1]
	v_pk_fma_f32 v[84:85], v[86:87], v[94:95], v[84:85] op_sel:[0,0,1] op_sel_hi:[1,0,0]
	v_mov_b32_e32 v99, v85
	ds_load_2addr_b64 v[84:87], v88 offset0:34 offset1:35
	v_pk_add_f32 v[44:45], v[44:45], v[100:101] neg_lo:[0,1] neg_hi:[0,1]
	v_pk_add_f32 v[42:43], v[42:43], v[98:99] neg_lo:[0,1] neg_hi:[0,1]
	s_wait_dscnt 0x0
	v_dual_mul_f32 v98, v85, v97 :: v_dual_mul_f32 v100, v85, v94
	s_delay_alu instid0(VALU_DEP_1) | instskip(NEXT) | instid1(VALU_DEP_2)
	v_pk_fma_f32 v[98:99], v[84:85], v[58:59], v[98:99] op_sel_hi:[1,1,0] neg_lo:[0,0,1] neg_hi:[0,0,1]
	v_pk_fma_f32 v[84:85], v[84:85], v[58:59], v[100:101] op_sel:[1,0,0] op_sel_hi:[0,1,0]
	s_delay_alu instid0(VALU_DEP_1) | instskip(SKIP_1) | instid1(VALU_DEP_2)
	v_mov_b32_e32 v99, v85
	v_pk_mul_f32 v[84:85], v[86:87], v[96:97] op_sel:[0,1]
	v_pk_add_f32 v[8:9], v[8:9], v[98:99] neg_lo:[0,1] neg_hi:[0,1]
	s_delay_alu instid0(VALU_DEP_2) | instskip(SKIP_1) | instid1(VALU_DEP_1)
	v_pk_fma_f32 v[98:99], v[86:87], v[94:95], v[84:85] op_sel:[0,0,1] op_sel_hi:[1,1,0] neg_lo:[0,0,1] neg_hi:[0,0,1]
	v_pk_fma_f32 v[84:85], v[86:87], v[94:95], v[84:85] op_sel:[0,0,1] op_sel_hi:[1,0,0]
	v_mov_b32_e32 v99, v85
	ds_load_2addr_b64 v[84:87], v88 offset0:36 offset1:37
	v_pk_add_f32 v[40:41], v[40:41], v[98:99] neg_lo:[0,1] neg_hi:[0,1]
	s_wait_dscnt 0x0
	v_pk_mul_f32 v[98:99], v[84:85], v[96:97] op_sel:[0,1]
	s_delay_alu instid0(VALU_DEP_1) | instskip(SKIP_1) | instid1(VALU_DEP_1)
	v_pk_fma_f32 v[100:101], v[84:85], v[94:95], v[98:99] op_sel:[0,0,1] op_sel_hi:[1,1,0] neg_lo:[0,0,1] neg_hi:[0,0,1]
	v_pk_fma_f32 v[84:85], v[84:85], v[94:95], v[98:99] op_sel:[0,0,1] op_sel_hi:[1,0,0]
	v_mov_b32_e32 v101, v85
	v_pk_mul_f32 v[84:85], v[86:87], v[96:97] op_sel:[0,1]
	s_delay_alu instid0(VALU_DEP_2) | instskip(NEXT) | instid1(VALU_DEP_2)
	v_pk_add_f32 v[34:35], v[34:35], v[100:101] neg_lo:[0,1] neg_hi:[0,1]
	v_pk_fma_f32 v[98:99], v[86:87], v[94:95], v[84:85] op_sel:[0,0,1] op_sel_hi:[1,1,0] neg_lo:[0,0,1] neg_hi:[0,0,1]
	v_pk_fma_f32 v[84:85], v[86:87], v[94:95], v[84:85] op_sel:[0,0,1] op_sel_hi:[1,0,0]
	s_delay_alu instid0(VALU_DEP_1) | instskip(SKIP_4) | instid1(VALU_DEP_1)
	v_mov_b32_e32 v99, v85
	ds_load_b64 v[84:85], v88 offset:304
	v_pk_add_f32 v[20:21], v[20:21], v[98:99] neg_lo:[0,1] neg_hi:[0,1]
	s_wait_dscnt 0x0
	v_pk_mul_f32 v[86:87], v[84:85], v[96:97] op_sel:[0,1]
	v_pk_fma_f32 v[96:97], v[84:85], v[94:95], v[86:87] op_sel:[0,0,1] op_sel_hi:[1,1,0] neg_lo:[0,0,1] neg_hi:[0,0,1]
	v_pk_fma_f32 v[84:85], v[84:85], v[94:95], v[86:87] op_sel:[0,0,1] op_sel_hi:[1,0,0]
	s_delay_alu instid0(VALU_DEP_1) | instskip(NEXT) | instid1(VALU_DEP_1)
	v_mov_b32_e32 v97, v85
	v_pk_add_f32 v[82:83], v[82:83], v[96:97] neg_lo:[0,1] neg_hi:[0,1]
.LBB76_545:
	s_or_b32 exec_lo, exec_lo, s0
	v_lshl_add_u32 v84, v92, 3, v88
	s_barrier_signal -1
	s_barrier_wait -1
	ds_store_b64 v84, v[24:25]
	s_wait_dscnt 0x0
	s_barrier_signal -1
	s_barrier_wait -1
	ds_load_b64 v[84:85], v88 offset:208
	v_mov_b32_e32 v86, 26
	s_cmp_lt_i32 s18, 28
	s_cbranch_scc1 .LBB76_548
; %bb.546:
	v_add3_u32 v87, v89, 0, 0xd8
	v_mov_b32_e32 v86, 26
	s_mov_b32 s0, 27
.LBB76_547:                             ; =>This Inner Loop Header: Depth=1
	ds_load_b64 v[94:95], v87
	s_wait_dscnt 0x1
	v_cmp_gt_f32_e32 vcc_lo, 0, v84
	v_cndmask_b32_e64 v96, v84, -v84, vcc_lo
	v_cmp_gt_f32_e32 vcc_lo, 0, v85
	v_cndmask_b32_e64 v98, v85, -v85, vcc_lo
	s_wait_dscnt 0x0
	v_cmp_gt_f32_e32 vcc_lo, 0, v94
	v_cndmask_b32_e64 v97, v94, -v94, vcc_lo
	v_cmp_gt_f32_e32 vcc_lo, 0, v95
	v_cndmask_b32_e64 v99, v95, -v95, vcc_lo
	s_delay_alu instid0(VALU_DEP_1) | instskip(NEXT) | instid1(VALU_DEP_1)
	v_pk_add_f32 v[96:97], v[96:97], v[98:99]
	v_cmp_lt_f32_e32 vcc_lo, v96, v97
	v_dual_cndmask_b32 v84, v84, v94 :: v_dual_add_nc_u32 v87, 8, v87
	v_cndmask_b32_e32 v85, v85, v95, vcc_lo
	v_cndmask_b32_e64 v86, v86, s0, vcc_lo
	s_add_co_i32 s0, s0, 1
	s_delay_alu instid0(SALU_CYCLE_1)
	s_cmp_lg_u32 s18, s0
	s_cbranch_scc1 .LBB76_547
.LBB76_548:
	s_wait_dscnt 0x0
	v_cmp_eq_f32_e32 vcc_lo, 0, v84
	v_cmp_eq_f32_e64 s0, 0, v85
	s_and_b32 s0, vcc_lo, s0
	s_delay_alu instid0(SALU_CYCLE_1) | instskip(NEXT) | instid1(SALU_CYCLE_1)
	s_and_saveexec_b32 s1, s0
	s_xor_b32 s0, exec_lo, s1
; %bb.549:
	v_cmp_ne_u32_e32 vcc_lo, 0, v90
	v_cndmask_b32_e32 v90, 27, v90, vcc_lo
; %bb.550:
	s_and_not1_saveexec_b32 s0, s0
	s_cbranch_execz .LBB76_556
; %bb.551:
	v_cmp_ngt_f32_e64 s1, |v84|, |v85|
	s_and_saveexec_b32 s12, s1
	s_delay_alu instid0(SALU_CYCLE_1)
	s_xor_b32 s1, exec_lo, s12
	s_cbranch_execz .LBB76_553
; %bb.552:
	v_div_scale_f32 v87, null, v85, v85, v84
	v_div_scale_f32 v95, vcc_lo, v84, v85, v84
	s_delay_alu instid0(VALU_DEP_2) | instskip(SKIP_1) | instid1(TRANS32_DEP_1)
	v_rcp_f32_e32 v93, v87
	v_nop
	v_fma_f32 v94, -v87, v93, 1.0
	s_delay_alu instid0(VALU_DEP_1) | instskip(NEXT) | instid1(VALU_DEP_1)
	v_fmac_f32_e32 v93, v94, v93
	v_mul_f32_e32 v94, v95, v93
	s_delay_alu instid0(VALU_DEP_1) | instskip(NEXT) | instid1(VALU_DEP_1)
	v_fma_f32 v96, -v87, v94, v95
	v_fmac_f32_e32 v94, v96, v93
	s_delay_alu instid0(VALU_DEP_1) | instskip(NEXT) | instid1(VALU_DEP_1)
	v_fma_f32 v87, -v87, v94, v95
	v_div_fmas_f32 v87, v87, v93, v94
	s_delay_alu instid0(VALU_DEP_1) | instskip(NEXT) | instid1(VALU_DEP_1)
	v_div_fixup_f32 v87, v87, v85, v84
	v_fmac_f32_e32 v85, v84, v87
	s_delay_alu instid0(VALU_DEP_1) | instskip(SKIP_1) | instid1(VALU_DEP_2)
	v_div_scale_f32 v84, null, v85, v85, 1.0
	v_div_scale_f32 v95, vcc_lo, 1.0, v85, 1.0
	v_rcp_f32_e32 v93, v84
	v_nop
	s_delay_alu instid0(TRANS32_DEP_1) | instskip(NEXT) | instid1(VALU_DEP_1)
	v_fma_f32 v94, -v84, v93, 1.0
	v_fmac_f32_e32 v93, v94, v93
	s_delay_alu instid0(VALU_DEP_1) | instskip(NEXT) | instid1(VALU_DEP_1)
	v_mul_f32_e32 v94, v95, v93
	v_fma_f32 v96, -v84, v94, v95
	s_delay_alu instid0(VALU_DEP_1) | instskip(NEXT) | instid1(VALU_DEP_1)
	v_fmac_f32_e32 v94, v96, v93
	v_fma_f32 v84, -v84, v94, v95
	s_delay_alu instid0(VALU_DEP_1) | instskip(NEXT) | instid1(VALU_DEP_1)
	v_div_fmas_f32 v84, v84, v93, v94
	v_div_fixup_f32 v85, v84, v85, 1.0
	s_delay_alu instid0(VALU_DEP_1)
	v_mul_f32_e32 v84, v87, v85
	v_xor_b32_e32 v85, 0x80000000, v85
.LBB76_553:
	s_and_not1_saveexec_b32 s1, s1
	s_cbranch_execz .LBB76_555
; %bb.554:
	s_delay_alu instid0(VALU_DEP_1) | instskip(SKIP_1) | instid1(VALU_DEP_2)
	v_div_scale_f32 v87, null, v84, v84, v85
	v_div_scale_f32 v95, vcc_lo, v85, v84, v85
	v_rcp_f32_e32 v93, v87
	v_nop
	s_delay_alu instid0(TRANS32_DEP_1) | instskip(NEXT) | instid1(VALU_DEP_1)
	v_fma_f32 v94, -v87, v93, 1.0
	v_fmac_f32_e32 v93, v94, v93
	s_delay_alu instid0(VALU_DEP_1) | instskip(NEXT) | instid1(VALU_DEP_1)
	v_mul_f32_e32 v94, v95, v93
	v_fma_f32 v96, -v87, v94, v95
	s_delay_alu instid0(VALU_DEP_1) | instskip(NEXT) | instid1(VALU_DEP_1)
	v_fmac_f32_e32 v94, v96, v93
	v_fma_f32 v87, -v87, v94, v95
	s_delay_alu instid0(VALU_DEP_1) | instskip(NEXT) | instid1(VALU_DEP_1)
	v_div_fmas_f32 v87, v87, v93, v94
	v_div_fixup_f32 v87, v87, v84, v85
	s_delay_alu instid0(VALU_DEP_1) | instskip(NEXT) | instid1(VALU_DEP_1)
	v_fmac_f32_e32 v84, v85, v87
	v_div_scale_f32 v85, null, v84, v84, 1.0
	s_delay_alu instid0(VALU_DEP_1) | instskip(SKIP_1) | instid1(TRANS32_DEP_1)
	v_rcp_f32_e32 v93, v85
	v_nop
	v_fma_f32 v94, -v85, v93, 1.0
	s_delay_alu instid0(VALU_DEP_1) | instskip(SKIP_1) | instid1(VALU_DEP_1)
	v_fmac_f32_e32 v93, v94, v93
	v_div_scale_f32 v94, vcc_lo, 1.0, v84, 1.0
	v_mul_f32_e32 v95, v94, v93
	s_delay_alu instid0(VALU_DEP_1) | instskip(NEXT) | instid1(VALU_DEP_1)
	v_fma_f32 v96, -v85, v95, v94
	v_fmac_f32_e32 v95, v96, v93
	s_delay_alu instid0(VALU_DEP_1) | instskip(NEXT) | instid1(VALU_DEP_1)
	v_fma_f32 v85, -v85, v95, v94
	v_div_fmas_f32 v85, v85, v93, v95
	s_delay_alu instid0(VALU_DEP_1) | instskip(NEXT) | instid1(VALU_DEP_1)
	v_div_fixup_f32 v84, v85, v84, 1.0
	v_mul_f32_e64 v85, v87, -v84
.LBB76_555:
	s_or_b32 exec_lo, exec_lo, s1
.LBB76_556:
	s_delay_alu instid0(SALU_CYCLE_1) | instskip(NEXT) | instid1(SALU_CYCLE_1)
	s_or_b32 exec_lo, exec_lo, s0
	s_mov_b32 s0, exec_lo
	v_cmpx_ne_u32_e64 v92, v86
	s_xor_b32 s0, exec_lo, s0
	s_cbranch_execz .LBB76_562
; %bb.557:
	s_mov_b32 s1, exec_lo
	v_cmpx_eq_u32_e32 26, v92
	s_cbranch_execz .LBB76_561
; %bb.558:
	v_cmp_ne_u32_e32 vcc_lo, 26, v86
	s_xor_b32 s12, s16, -1
	s_delay_alu instid0(SALU_CYCLE_1) | instskip(NEXT) | instid1(SALU_CYCLE_1)
	s_and_b32 s13, s12, vcc_lo
	s_and_saveexec_b32 s12, s13
	s_cbranch_execz .LBB76_560
; %bb.559:
	v_ashrrev_i32_e32 v87, 31, v86
	s_delay_alu instid0(VALU_DEP_1)
	v_lshl_add_u64 v[92:93], v[86:87], 2, v[4:5]
	s_clause 0x1
	global_load_b32 v87, v[92:93], off
	global_load_b32 v91, v[4:5], off offset:104
	s_wait_loadcnt 0x1
	global_store_b32 v[4:5], v87, off offset:104
	s_wait_loadcnt 0x0
	global_store_b32 v[92:93], v91, off
.LBB76_560:
	s_wait_xcnt 0x0
	s_or_b32 exec_lo, exec_lo, s12
	v_dual_mov_b32 v92, v86 :: v_dual_mov_b32 v91, v86
.LBB76_561:
	s_or_b32 exec_lo, exec_lo, s1
.LBB76_562:
	s_and_not1_saveexec_b32 s0, s0
	s_cbranch_execz .LBB76_564
; %bb.563:
	v_mov_b32_e32 v92, 26
	ds_store_2addr_b64 v88, v[22:23], v[48:49] offset0:27 offset1:28
	ds_store_2addr_b64 v88, v[46:47], v[10:11] offset0:29 offset1:30
	;; [unrolled: 1-line block ×6, first 2 shown]
.LBB76_564:
	s_or_b32 exec_lo, exec_lo, s0
	s_delay_alu instid0(SALU_CYCLE_1)
	s_mov_b32 s0, exec_lo
	s_wait_storecnt_dscnt 0x0
	s_barrier_signal -1
	s_barrier_wait -1
	v_cmpx_lt_i32_e32 26, v92
	s_cbranch_execz .LBB76_566
; %bb.565:
	v_pk_mul_f32 v[86:87], v[84:85], v[24:25] op_sel:[1,1] op_sel_hi:[0,1]
	s_delay_alu instid0(VALU_DEP_1)
	v_pk_fma_f32 v[94:95], v[84:85], v[24:25], v[86:87] op_sel_hi:[1,0,1] neg_lo:[0,0,1] neg_hi:[0,0,1]
	v_pk_fma_f32 v[96:97], v[84:85], v[24:25], v[86:87] op_sel_hi:[1,0,1]
	ds_load_2addr_b64 v[84:87], v88 offset0:27 offset1:28
	v_dual_mov_b32 v24, v94 :: v_dual_mov_b32 v25, v97
	s_wait_dscnt 0x0
	v_pk_mul_f32 v[98:99], v[84:85], v[96:97] op_sel:[0,1]
	s_delay_alu instid0(VALU_DEP_1) | instskip(SKIP_1) | instid1(VALU_DEP_1)
	v_pk_fma_f32 v[100:101], v[84:85], v[94:95], v[98:99] op_sel:[0,0,1] op_sel_hi:[1,1,0] neg_lo:[0,0,1] neg_hi:[0,0,1]
	v_pk_fma_f32 v[84:85], v[84:85], v[94:95], v[98:99] op_sel:[0,0,1] op_sel_hi:[1,0,0]
	v_mov_b32_e32 v101, v85
	v_pk_mul_f32 v[84:85], v[86:87], v[96:97] op_sel:[0,1]
	s_delay_alu instid0(VALU_DEP_1) | instskip(SKIP_1) | instid1(VALU_DEP_1)
	v_pk_fma_f32 v[98:99], v[86:87], v[94:95], v[84:85] op_sel:[0,0,1] op_sel_hi:[1,1,0] neg_lo:[0,0,1] neg_hi:[0,0,1]
	v_pk_fma_f32 v[84:85], v[86:87], v[94:95], v[84:85] op_sel:[0,0,1] op_sel_hi:[1,0,0]
	v_mov_b32_e32 v99, v85
	ds_load_2addr_b64 v[84:87], v88 offset0:29 offset1:30
	v_pk_add_f32 v[22:23], v[22:23], v[100:101] neg_lo:[0,1] neg_hi:[0,1]
	v_pk_add_f32 v[48:49], v[48:49], v[98:99] neg_lo:[0,1] neg_hi:[0,1]
	s_wait_dscnt 0x0
	v_pk_mul_f32 v[98:99], v[84:85], v[96:97] op_sel:[0,1]
	s_delay_alu instid0(VALU_DEP_1) | instskip(SKIP_2) | instid1(VALU_DEP_2)
	v_pk_fma_f32 v[100:101], v[84:85], v[94:95], v[98:99] op_sel:[0,0,1] op_sel_hi:[1,1,0] neg_lo:[0,0,1] neg_hi:[0,0,1]
	v_pk_fma_f32 v[84:85], v[84:85], v[94:95], v[98:99] op_sel:[0,0,1] op_sel_hi:[1,0,0]
	v_dual_mul_f32 v98, v87, v97 :: v_dual_mov_b32 v84, v87
	v_dual_mov_b32 v101, v85 :: v_dual_mov_b32 v85, v86
	s_delay_alu instid0(VALU_DEP_2) | instskip(SKIP_1) | instid1(VALU_DEP_3)
	v_pk_fma_f32 v[98:99], v[86:87], v[24:25], v[98:99] op_sel_hi:[1,1,0] neg_lo:[0,0,1] neg_hi:[0,0,1]
	v_mul_f32_e32 v86, v87, v94
	v_pk_add_f32 v[46:47], v[46:47], v[100:101] neg_lo:[0,1] neg_hi:[0,1]
	s_delay_alu instid0(VALU_DEP_2) | instskip(NEXT) | instid1(VALU_DEP_1)
	v_pk_fma_f32 v[84:85], v[84:85], v[24:25], v[86:87] op_sel_hi:[1,1,0]
	v_mov_b32_e32 v99, v85
	ds_load_2addr_b64 v[84:87], v88 offset0:31 offset1:32
	v_pk_add_f32 v[10:11], v[10:11], v[98:99] neg_lo:[0,1] neg_hi:[0,1]
	s_wait_dscnt 0x0
	v_pk_mul_f32 v[98:99], v[84:85], v[96:97] op_sel:[0,1]
	s_delay_alu instid0(VALU_DEP_1) | instskip(SKIP_1) | instid1(VALU_DEP_1)
	v_pk_fma_f32 v[100:101], v[84:85], v[94:95], v[98:99] op_sel:[0,0,1] op_sel_hi:[1,1,0] neg_lo:[0,0,1] neg_hi:[0,0,1]
	v_pk_fma_f32 v[84:85], v[84:85], v[94:95], v[98:99] op_sel:[0,0,1] op_sel_hi:[1,0,0]
	v_mov_b32_e32 v101, v85
	v_pk_mul_f32 v[84:85], v[86:87], v[96:97] op_sel:[0,1]
	s_delay_alu instid0(VALU_DEP_1) | instskip(SKIP_1) | instid1(VALU_DEP_1)
	v_pk_fma_f32 v[98:99], v[86:87], v[94:95], v[84:85] op_sel:[0,0,1] op_sel_hi:[1,1,0] neg_lo:[0,0,1] neg_hi:[0,0,1]
	v_pk_fma_f32 v[84:85], v[86:87], v[94:95], v[84:85] op_sel:[0,0,1] op_sel_hi:[1,0,0]
	v_mov_b32_e32 v99, v85
	ds_load_2addr_b64 v[84:87], v88 offset0:33 offset1:34
	v_pk_add_f32 v[6:7], v[6:7], v[100:101] neg_lo:[0,1] neg_hi:[0,1]
	v_pk_add_f32 v[44:45], v[44:45], v[98:99] neg_lo:[0,1] neg_hi:[0,1]
	s_wait_dscnt 0x0
	v_pk_mul_f32 v[98:99], v[84:85], v[96:97] op_sel:[0,1]
	s_delay_alu instid0(VALU_DEP_1) | instskip(SKIP_1) | instid1(VALU_DEP_1)
	v_pk_fma_f32 v[100:101], v[84:85], v[94:95], v[98:99] op_sel:[0,0,1] op_sel_hi:[1,1,0] neg_lo:[0,0,1] neg_hi:[0,0,1]
	v_pk_fma_f32 v[84:85], v[84:85], v[94:95], v[98:99] op_sel:[0,0,1] op_sel_hi:[1,0,0]
	v_mov_b32_e32 v101, v85
	v_pk_mul_f32 v[84:85], v[86:87], v[96:97] op_sel:[0,1]
	s_delay_alu instid0(VALU_DEP_1) | instskip(SKIP_1) | instid1(VALU_DEP_1)
	v_pk_fma_f32 v[98:99], v[86:87], v[94:95], v[84:85] op_sel:[0,0,1] op_sel_hi:[1,1,0] neg_lo:[0,0,1] neg_hi:[0,0,1]
	v_pk_fma_f32 v[84:85], v[86:87], v[94:95], v[84:85] op_sel:[0,0,1] op_sel_hi:[1,0,0]
	v_mov_b32_e32 v99, v85
	ds_load_2addr_b64 v[84:87], v88 offset0:35 offset1:36
	v_pk_add_f32 v[42:43], v[42:43], v[100:101] neg_lo:[0,1] neg_hi:[0,1]
	v_pk_add_f32 v[8:9], v[8:9], v[98:99] neg_lo:[0,1] neg_hi:[0,1]
	s_wait_dscnt 0x0
	v_dual_mul_f32 v98, v85, v97 :: v_dual_mul_f32 v100, v85, v94
	s_delay_alu instid0(VALU_DEP_1) | instskip(NEXT) | instid1(VALU_DEP_2)
	v_pk_fma_f32 v[98:99], v[84:85], v[24:25], v[98:99] op_sel_hi:[1,1,0] neg_lo:[0,0,1] neg_hi:[0,0,1]
	v_pk_fma_f32 v[84:85], v[84:85], v[24:25], v[100:101] op_sel:[1,0,0] op_sel_hi:[0,1,0]
	s_delay_alu instid0(VALU_DEP_1) | instskip(SKIP_1) | instid1(VALU_DEP_2)
	v_mov_b32_e32 v99, v85
	v_pk_mul_f32 v[84:85], v[86:87], v[96:97] op_sel:[0,1]
	v_pk_add_f32 v[40:41], v[40:41], v[98:99] neg_lo:[0,1] neg_hi:[0,1]
	s_delay_alu instid0(VALU_DEP_2) | instskip(SKIP_1) | instid1(VALU_DEP_1)
	v_pk_fma_f32 v[98:99], v[86:87], v[94:95], v[84:85] op_sel:[0,0,1] op_sel_hi:[1,1,0] neg_lo:[0,0,1] neg_hi:[0,0,1]
	v_pk_fma_f32 v[84:85], v[86:87], v[94:95], v[84:85] op_sel:[0,0,1] op_sel_hi:[1,0,0]
	v_mov_b32_e32 v99, v85
	ds_load_2addr_b64 v[84:87], v88 offset0:37 offset1:38
	v_pk_add_f32 v[34:35], v[34:35], v[98:99] neg_lo:[0,1] neg_hi:[0,1]
	s_wait_dscnt 0x0
	v_pk_mul_f32 v[98:99], v[84:85], v[96:97] op_sel:[0,1]
	v_mul_f32_e32 v96, v87, v97
	s_delay_alu instid0(VALU_DEP_2) | instskip(SKIP_2) | instid1(VALU_DEP_4)
	v_pk_fma_f32 v[100:101], v[84:85], v[94:95], v[98:99] op_sel:[0,0,1] op_sel_hi:[1,1,0] neg_lo:[0,0,1] neg_hi:[0,0,1]
	v_pk_fma_f32 v[84:85], v[84:85], v[94:95], v[98:99] op_sel:[0,0,1] op_sel_hi:[1,0,0]
	v_mov_b32_e32 v84, v87
	v_pk_fma_f32 v[96:97], v[86:87], v[24:25], v[96:97] op_sel_hi:[1,1,0] neg_lo:[0,0,1] neg_hi:[0,0,1]
	s_delay_alu instid0(VALU_DEP_3) | instskip(SKIP_1) | instid1(VALU_DEP_2)
	v_dual_mov_b32 v101, v85 :: v_dual_mov_b32 v85, v86
	v_mul_f32_e32 v86, v87, v94
	v_pk_add_f32 v[20:21], v[20:21], v[100:101] neg_lo:[0,1] neg_hi:[0,1]
	s_delay_alu instid0(VALU_DEP_2) | instskip(NEXT) | instid1(VALU_DEP_1)
	v_pk_fma_f32 v[84:85], v[84:85], v[24:25], v[86:87] op_sel_hi:[1,1,0]
	v_mov_b32_e32 v97, v85
	s_delay_alu instid0(VALU_DEP_1)
	v_pk_add_f32 v[82:83], v[82:83], v[96:97] neg_lo:[0,1] neg_hi:[0,1]
.LBB76_566:
	s_or_b32 exec_lo, exec_lo, s0
	v_lshl_add_u32 v84, v92, 3, v88
	s_barrier_signal -1
	s_barrier_wait -1
	ds_store_b64 v84, v[22:23]
	s_wait_dscnt 0x0
	s_barrier_signal -1
	s_barrier_wait -1
	ds_load_b64 v[84:85], v88 offset:216
	v_mov_b32_e32 v86, 27
	s_cmp_lt_i32 s18, 29
	s_cbranch_scc1 .LBB76_569
; %bb.567:
	v_add3_u32 v87, v89, 0, 0xe0
	v_mov_b32_e32 v86, 27
	s_mov_b32 s0, 28
.LBB76_568:                             ; =>This Inner Loop Header: Depth=1
	ds_load_b64 v[94:95], v87
	s_wait_dscnt 0x1
	v_cmp_gt_f32_e32 vcc_lo, 0, v84
	v_cndmask_b32_e64 v96, v84, -v84, vcc_lo
	v_cmp_gt_f32_e32 vcc_lo, 0, v85
	v_cndmask_b32_e64 v98, v85, -v85, vcc_lo
	s_wait_dscnt 0x0
	v_cmp_gt_f32_e32 vcc_lo, 0, v94
	v_cndmask_b32_e64 v97, v94, -v94, vcc_lo
	v_cmp_gt_f32_e32 vcc_lo, 0, v95
	v_cndmask_b32_e64 v99, v95, -v95, vcc_lo
	s_delay_alu instid0(VALU_DEP_1) | instskip(NEXT) | instid1(VALU_DEP_1)
	v_pk_add_f32 v[96:97], v[96:97], v[98:99]
	v_cmp_lt_f32_e32 vcc_lo, v96, v97
	v_dual_cndmask_b32 v84, v84, v94 :: v_dual_add_nc_u32 v87, 8, v87
	v_cndmask_b32_e32 v85, v85, v95, vcc_lo
	v_cndmask_b32_e64 v86, v86, s0, vcc_lo
	s_add_co_i32 s0, s0, 1
	s_delay_alu instid0(SALU_CYCLE_1)
	s_cmp_lg_u32 s18, s0
	s_cbranch_scc1 .LBB76_568
.LBB76_569:
	s_wait_dscnt 0x0
	v_cmp_eq_f32_e32 vcc_lo, 0, v84
	v_cmp_eq_f32_e64 s0, 0, v85
	s_and_b32 s0, vcc_lo, s0
	s_delay_alu instid0(SALU_CYCLE_1) | instskip(NEXT) | instid1(SALU_CYCLE_1)
	s_and_saveexec_b32 s1, s0
	s_xor_b32 s0, exec_lo, s1
; %bb.570:
	v_cmp_ne_u32_e32 vcc_lo, 0, v90
	v_cndmask_b32_e32 v90, 28, v90, vcc_lo
; %bb.571:
	s_and_not1_saveexec_b32 s0, s0
	s_cbranch_execz .LBB76_577
; %bb.572:
	v_cmp_ngt_f32_e64 s1, |v84|, |v85|
	s_and_saveexec_b32 s12, s1
	s_delay_alu instid0(SALU_CYCLE_1)
	s_xor_b32 s1, exec_lo, s12
	s_cbranch_execz .LBB76_574
; %bb.573:
	v_div_scale_f32 v87, null, v85, v85, v84
	v_div_scale_f32 v95, vcc_lo, v84, v85, v84
	s_delay_alu instid0(VALU_DEP_2) | instskip(SKIP_1) | instid1(TRANS32_DEP_1)
	v_rcp_f32_e32 v93, v87
	v_nop
	v_fma_f32 v94, -v87, v93, 1.0
	s_delay_alu instid0(VALU_DEP_1) | instskip(NEXT) | instid1(VALU_DEP_1)
	v_fmac_f32_e32 v93, v94, v93
	v_mul_f32_e32 v94, v95, v93
	s_delay_alu instid0(VALU_DEP_1) | instskip(NEXT) | instid1(VALU_DEP_1)
	v_fma_f32 v96, -v87, v94, v95
	v_fmac_f32_e32 v94, v96, v93
	s_delay_alu instid0(VALU_DEP_1) | instskip(NEXT) | instid1(VALU_DEP_1)
	v_fma_f32 v87, -v87, v94, v95
	v_div_fmas_f32 v87, v87, v93, v94
	s_delay_alu instid0(VALU_DEP_1) | instskip(NEXT) | instid1(VALU_DEP_1)
	v_div_fixup_f32 v87, v87, v85, v84
	v_fmac_f32_e32 v85, v84, v87
	s_delay_alu instid0(VALU_DEP_1) | instskip(SKIP_1) | instid1(VALU_DEP_2)
	v_div_scale_f32 v84, null, v85, v85, 1.0
	v_div_scale_f32 v95, vcc_lo, 1.0, v85, 1.0
	v_rcp_f32_e32 v93, v84
	v_nop
	s_delay_alu instid0(TRANS32_DEP_1) | instskip(NEXT) | instid1(VALU_DEP_1)
	v_fma_f32 v94, -v84, v93, 1.0
	v_fmac_f32_e32 v93, v94, v93
	s_delay_alu instid0(VALU_DEP_1) | instskip(NEXT) | instid1(VALU_DEP_1)
	v_mul_f32_e32 v94, v95, v93
	v_fma_f32 v96, -v84, v94, v95
	s_delay_alu instid0(VALU_DEP_1) | instskip(NEXT) | instid1(VALU_DEP_1)
	v_fmac_f32_e32 v94, v96, v93
	v_fma_f32 v84, -v84, v94, v95
	s_delay_alu instid0(VALU_DEP_1) | instskip(NEXT) | instid1(VALU_DEP_1)
	v_div_fmas_f32 v84, v84, v93, v94
	v_div_fixup_f32 v85, v84, v85, 1.0
	s_delay_alu instid0(VALU_DEP_1)
	v_mul_f32_e32 v84, v87, v85
	v_xor_b32_e32 v85, 0x80000000, v85
.LBB76_574:
	s_and_not1_saveexec_b32 s1, s1
	s_cbranch_execz .LBB76_576
; %bb.575:
	s_delay_alu instid0(VALU_DEP_1) | instskip(SKIP_1) | instid1(VALU_DEP_2)
	v_div_scale_f32 v87, null, v84, v84, v85
	v_div_scale_f32 v95, vcc_lo, v85, v84, v85
	v_rcp_f32_e32 v93, v87
	v_nop
	s_delay_alu instid0(TRANS32_DEP_1) | instskip(NEXT) | instid1(VALU_DEP_1)
	v_fma_f32 v94, -v87, v93, 1.0
	v_fmac_f32_e32 v93, v94, v93
	s_delay_alu instid0(VALU_DEP_1) | instskip(NEXT) | instid1(VALU_DEP_1)
	v_mul_f32_e32 v94, v95, v93
	v_fma_f32 v96, -v87, v94, v95
	s_delay_alu instid0(VALU_DEP_1) | instskip(NEXT) | instid1(VALU_DEP_1)
	v_fmac_f32_e32 v94, v96, v93
	v_fma_f32 v87, -v87, v94, v95
	s_delay_alu instid0(VALU_DEP_1) | instskip(NEXT) | instid1(VALU_DEP_1)
	v_div_fmas_f32 v87, v87, v93, v94
	v_div_fixup_f32 v87, v87, v84, v85
	s_delay_alu instid0(VALU_DEP_1) | instskip(NEXT) | instid1(VALU_DEP_1)
	v_fmac_f32_e32 v84, v85, v87
	v_div_scale_f32 v85, null, v84, v84, 1.0
	s_delay_alu instid0(VALU_DEP_1) | instskip(SKIP_1) | instid1(TRANS32_DEP_1)
	v_rcp_f32_e32 v93, v85
	v_nop
	v_fma_f32 v94, -v85, v93, 1.0
	s_delay_alu instid0(VALU_DEP_1) | instskip(SKIP_1) | instid1(VALU_DEP_1)
	v_fmac_f32_e32 v93, v94, v93
	v_div_scale_f32 v94, vcc_lo, 1.0, v84, 1.0
	v_mul_f32_e32 v95, v94, v93
	s_delay_alu instid0(VALU_DEP_1) | instskip(NEXT) | instid1(VALU_DEP_1)
	v_fma_f32 v96, -v85, v95, v94
	v_fmac_f32_e32 v95, v96, v93
	s_delay_alu instid0(VALU_DEP_1) | instskip(NEXT) | instid1(VALU_DEP_1)
	v_fma_f32 v85, -v85, v95, v94
	v_div_fmas_f32 v85, v85, v93, v95
	s_delay_alu instid0(VALU_DEP_1) | instskip(NEXT) | instid1(VALU_DEP_1)
	v_div_fixup_f32 v84, v85, v84, 1.0
	v_mul_f32_e64 v85, v87, -v84
.LBB76_576:
	s_or_b32 exec_lo, exec_lo, s1
.LBB76_577:
	s_delay_alu instid0(SALU_CYCLE_1) | instskip(NEXT) | instid1(SALU_CYCLE_1)
	s_or_b32 exec_lo, exec_lo, s0
	s_mov_b32 s0, exec_lo
	v_cmpx_ne_u32_e64 v92, v86
	s_xor_b32 s0, exec_lo, s0
	s_cbranch_execz .LBB76_583
; %bb.578:
	s_mov_b32 s1, exec_lo
	v_cmpx_eq_u32_e32 27, v92
	s_cbranch_execz .LBB76_582
; %bb.579:
	v_cmp_ne_u32_e32 vcc_lo, 27, v86
	s_xor_b32 s12, s16, -1
	s_delay_alu instid0(SALU_CYCLE_1) | instskip(NEXT) | instid1(SALU_CYCLE_1)
	s_and_b32 s13, s12, vcc_lo
	s_and_saveexec_b32 s12, s13
	s_cbranch_execz .LBB76_581
; %bb.580:
	v_ashrrev_i32_e32 v87, 31, v86
	s_delay_alu instid0(VALU_DEP_1)
	v_lshl_add_u64 v[92:93], v[86:87], 2, v[4:5]
	s_clause 0x1
	global_load_b32 v87, v[92:93], off
	global_load_b32 v91, v[4:5], off offset:108
	s_wait_loadcnt 0x1
	global_store_b32 v[4:5], v87, off offset:108
	s_wait_loadcnt 0x0
	global_store_b32 v[92:93], v91, off
.LBB76_581:
	s_wait_xcnt 0x0
	s_or_b32 exec_lo, exec_lo, s12
	v_dual_mov_b32 v92, v86 :: v_dual_mov_b32 v91, v86
.LBB76_582:
	s_or_b32 exec_lo, exec_lo, s1
.LBB76_583:
	s_and_not1_saveexec_b32 s0, s0
	s_cbranch_execz .LBB76_585
; %bb.584:
	v_dual_mov_b32 v86, v48 :: v_dual_mov_b32 v87, v49
	v_dual_mov_b32 v92, v46 :: v_dual_mov_b32 v93, v47
	;; [unrolled: 1-line block ×6, first 2 shown]
	ds_store_2addr_b64 v88, v[86:87], v[92:93] offset0:28 offset1:29
	ds_store_2addr_b64 v88, v[94:95], v[96:97] offset0:30 offset1:31
	v_dual_mov_b32 v92, 27 :: v_dual_mov_b32 v102, v8
	v_dual_mov_b32 v103, v9 :: v_dual_mov_b32 v104, v40
	;; [unrolled: 1-line block ×4, first 2 shown]
	v_mov_b32_e32 v109, v21
	ds_store_2addr_b64 v88, v[98:99], v[100:101] offset0:32 offset1:33
	ds_store_2addr_b64 v88, v[102:103], v[104:105] offset0:34 offset1:35
	;; [unrolled: 1-line block ×3, first 2 shown]
	ds_store_b64 v88, v[82:83] offset:304
.LBB76_585:
	s_or_b32 exec_lo, exec_lo, s0
	s_delay_alu instid0(SALU_CYCLE_1)
	s_mov_b32 s0, exec_lo
	s_wait_storecnt_dscnt 0x0
	s_barrier_signal -1
	s_barrier_wait -1
	v_cmpx_lt_i32_e32 27, v92
	s_cbranch_execz .LBB76_587
; %bb.586:
	v_pk_mul_f32 v[86:87], v[84:85], v[22:23] op_sel:[1,1] op_sel_hi:[0,1]
	s_delay_alu instid0(VALU_DEP_1)
	v_pk_fma_f32 v[94:95], v[84:85], v[22:23], v[86:87] op_sel_hi:[1,0,1] neg_lo:[0,0,1] neg_hi:[0,0,1]
	v_pk_fma_f32 v[96:97], v[84:85], v[22:23], v[86:87] op_sel_hi:[1,0,1]
	ds_load_2addr_b64 v[84:87], v88 offset0:28 offset1:29
	v_dual_mov_b32 v22, v94 :: v_dual_mov_b32 v23, v97
	s_wait_dscnt 0x0
	v_pk_mul_f32 v[98:99], v[84:85], v[96:97] op_sel:[0,1]
	s_delay_alu instid0(VALU_DEP_1) | instskip(SKIP_1) | instid1(VALU_DEP_1)
	v_pk_fma_f32 v[100:101], v[84:85], v[94:95], v[98:99] op_sel:[0,0,1] op_sel_hi:[1,1,0] neg_lo:[0,0,1] neg_hi:[0,0,1]
	v_pk_fma_f32 v[84:85], v[84:85], v[94:95], v[98:99] op_sel:[0,0,1] op_sel_hi:[1,0,0]
	v_mov_b32_e32 v101, v85
	v_pk_mul_f32 v[84:85], v[86:87], v[96:97] op_sel:[0,1]
	s_delay_alu instid0(VALU_DEP_1) | instskip(SKIP_1) | instid1(VALU_DEP_1)
	v_pk_fma_f32 v[98:99], v[86:87], v[94:95], v[84:85] op_sel:[0,0,1] op_sel_hi:[1,1,0] neg_lo:[0,0,1] neg_hi:[0,0,1]
	v_pk_fma_f32 v[84:85], v[86:87], v[94:95], v[84:85] op_sel:[0,0,1] op_sel_hi:[1,0,0]
	v_mov_b32_e32 v99, v85
	ds_load_2addr_b64 v[84:87], v88 offset0:30 offset1:31
	v_pk_add_f32 v[48:49], v[48:49], v[100:101] neg_lo:[0,1] neg_hi:[0,1]
	v_pk_add_f32 v[46:47], v[46:47], v[98:99] neg_lo:[0,1] neg_hi:[0,1]
	s_wait_dscnt 0x0
	v_pk_mul_f32 v[98:99], v[84:85], v[96:97] op_sel:[0,1]
	s_delay_alu instid0(VALU_DEP_1) | instskip(SKIP_2) | instid1(VALU_DEP_2)
	v_pk_fma_f32 v[100:101], v[84:85], v[94:95], v[98:99] op_sel:[0,0,1] op_sel_hi:[1,1,0] neg_lo:[0,0,1] neg_hi:[0,0,1]
	v_pk_fma_f32 v[84:85], v[84:85], v[94:95], v[98:99] op_sel:[0,0,1] op_sel_hi:[1,0,0]
	v_dual_mul_f32 v98, v87, v97 :: v_dual_mov_b32 v84, v87
	v_dual_mov_b32 v101, v85 :: v_dual_mov_b32 v85, v86
	s_delay_alu instid0(VALU_DEP_2) | instskip(SKIP_1) | instid1(VALU_DEP_3)
	v_pk_fma_f32 v[98:99], v[86:87], v[22:23], v[98:99] op_sel_hi:[1,1,0] neg_lo:[0,0,1] neg_hi:[0,0,1]
	v_mul_f32_e32 v86, v87, v94
	v_pk_add_f32 v[10:11], v[10:11], v[100:101] neg_lo:[0,1] neg_hi:[0,1]
	s_delay_alu instid0(VALU_DEP_2) | instskip(NEXT) | instid1(VALU_DEP_1)
	v_pk_fma_f32 v[84:85], v[84:85], v[22:23], v[86:87] op_sel_hi:[1,1,0]
	v_mov_b32_e32 v99, v85
	ds_load_2addr_b64 v[84:87], v88 offset0:32 offset1:33
	v_pk_add_f32 v[6:7], v[6:7], v[98:99] neg_lo:[0,1] neg_hi:[0,1]
	s_wait_dscnt 0x0
	v_pk_mul_f32 v[98:99], v[84:85], v[96:97] op_sel:[0,1]
	s_delay_alu instid0(VALU_DEP_1) | instskip(SKIP_1) | instid1(VALU_DEP_1)
	v_pk_fma_f32 v[100:101], v[84:85], v[94:95], v[98:99] op_sel:[0,0,1] op_sel_hi:[1,1,0] neg_lo:[0,0,1] neg_hi:[0,0,1]
	v_pk_fma_f32 v[84:85], v[84:85], v[94:95], v[98:99] op_sel:[0,0,1] op_sel_hi:[1,0,0]
	v_mov_b32_e32 v101, v85
	v_pk_mul_f32 v[84:85], v[86:87], v[96:97] op_sel:[0,1]
	s_delay_alu instid0(VALU_DEP_1) | instskip(SKIP_1) | instid1(VALU_DEP_1)
	v_pk_fma_f32 v[98:99], v[86:87], v[94:95], v[84:85] op_sel:[0,0,1] op_sel_hi:[1,1,0] neg_lo:[0,0,1] neg_hi:[0,0,1]
	v_pk_fma_f32 v[84:85], v[86:87], v[94:95], v[84:85] op_sel:[0,0,1] op_sel_hi:[1,0,0]
	v_mov_b32_e32 v99, v85
	ds_load_2addr_b64 v[84:87], v88 offset0:34 offset1:35
	v_pk_add_f32 v[44:45], v[44:45], v[100:101] neg_lo:[0,1] neg_hi:[0,1]
	v_pk_add_f32 v[42:43], v[42:43], v[98:99] neg_lo:[0,1] neg_hi:[0,1]
	s_wait_dscnt 0x0
	v_pk_mul_f32 v[98:99], v[84:85], v[96:97] op_sel:[0,1]
	s_delay_alu instid0(VALU_DEP_1) | instskip(SKIP_1) | instid1(VALU_DEP_1)
	v_pk_fma_f32 v[100:101], v[84:85], v[94:95], v[98:99] op_sel:[0,0,1] op_sel_hi:[1,1,0] neg_lo:[0,0,1] neg_hi:[0,0,1]
	v_pk_fma_f32 v[84:85], v[84:85], v[94:95], v[98:99] op_sel:[0,0,1] op_sel_hi:[1,0,0]
	v_mov_b32_e32 v101, v85
	v_pk_mul_f32 v[84:85], v[86:87], v[96:97] op_sel:[0,1]
	s_delay_alu instid0(VALU_DEP_1) | instskip(SKIP_1) | instid1(VALU_DEP_1)
	v_pk_fma_f32 v[98:99], v[86:87], v[94:95], v[84:85] op_sel:[0,0,1] op_sel_hi:[1,1,0] neg_lo:[0,0,1] neg_hi:[0,0,1]
	v_pk_fma_f32 v[84:85], v[86:87], v[94:95], v[84:85] op_sel:[0,0,1] op_sel_hi:[1,0,0]
	v_mov_b32_e32 v99, v85
	ds_load_2addr_b64 v[84:87], v88 offset0:36 offset1:37
	v_pk_add_f32 v[8:9], v[8:9], v[100:101] neg_lo:[0,1] neg_hi:[0,1]
	v_pk_add_f32 v[40:41], v[40:41], v[98:99] neg_lo:[0,1] neg_hi:[0,1]
	s_wait_dscnt 0x0
	v_dual_mul_f32 v98, v85, v97 :: v_dual_mul_f32 v100, v85, v94
	s_delay_alu instid0(VALU_DEP_1) | instskip(NEXT) | instid1(VALU_DEP_2)
	v_pk_fma_f32 v[98:99], v[84:85], v[22:23], v[98:99] op_sel_hi:[1,1,0] neg_lo:[0,0,1] neg_hi:[0,0,1]
	v_pk_fma_f32 v[84:85], v[84:85], v[22:23], v[100:101] op_sel:[1,0,0] op_sel_hi:[0,1,0]
	s_delay_alu instid0(VALU_DEP_1) | instskip(SKIP_1) | instid1(VALU_DEP_2)
	v_mov_b32_e32 v99, v85
	v_pk_mul_f32 v[84:85], v[86:87], v[96:97] op_sel:[0,1]
	v_pk_add_f32 v[34:35], v[34:35], v[98:99] neg_lo:[0,1] neg_hi:[0,1]
	s_delay_alu instid0(VALU_DEP_2) | instskip(SKIP_1) | instid1(VALU_DEP_1)
	v_pk_fma_f32 v[98:99], v[86:87], v[94:95], v[84:85] op_sel:[0,0,1] op_sel_hi:[1,1,0] neg_lo:[0,0,1] neg_hi:[0,0,1]
	v_pk_fma_f32 v[84:85], v[86:87], v[94:95], v[84:85] op_sel:[0,0,1] op_sel_hi:[1,0,0]
	v_mov_b32_e32 v99, v85
	ds_load_b64 v[84:85], v88 offset:304
	v_pk_add_f32 v[20:21], v[20:21], v[98:99] neg_lo:[0,1] neg_hi:[0,1]
	s_wait_dscnt 0x0
	v_pk_mul_f32 v[86:87], v[84:85], v[96:97] op_sel:[0,1]
	s_delay_alu instid0(VALU_DEP_1) | instskip(SKIP_1) | instid1(VALU_DEP_1)
	v_pk_fma_f32 v[96:97], v[84:85], v[94:95], v[86:87] op_sel:[0,0,1] op_sel_hi:[1,1,0] neg_lo:[0,0,1] neg_hi:[0,0,1]
	v_pk_fma_f32 v[84:85], v[84:85], v[94:95], v[86:87] op_sel:[0,0,1] op_sel_hi:[1,0,0]
	v_mov_b32_e32 v97, v85
	s_delay_alu instid0(VALU_DEP_1)
	v_pk_add_f32 v[82:83], v[82:83], v[96:97] neg_lo:[0,1] neg_hi:[0,1]
.LBB76_587:
	s_or_b32 exec_lo, exec_lo, s0
	v_lshl_add_u32 v84, v92, 3, v88
	s_barrier_signal -1
	s_barrier_wait -1
	ds_store_b64 v84, v[48:49]
	s_wait_dscnt 0x0
	s_barrier_signal -1
	s_barrier_wait -1
	ds_load_b64 v[84:85], v88 offset:224
	v_mov_b32_e32 v86, 28
	s_cmp_lt_i32 s18, 30
	s_cbranch_scc1 .LBB76_590
; %bb.588:
	v_add3_u32 v87, v89, 0, 0xe8
	v_mov_b32_e32 v86, 28
	s_mov_b32 s0, 29
.LBB76_589:                             ; =>This Inner Loop Header: Depth=1
	ds_load_b64 v[94:95], v87
	s_wait_dscnt 0x1
	v_cmp_gt_f32_e32 vcc_lo, 0, v84
	v_cndmask_b32_e64 v96, v84, -v84, vcc_lo
	v_cmp_gt_f32_e32 vcc_lo, 0, v85
	v_cndmask_b32_e64 v98, v85, -v85, vcc_lo
	s_wait_dscnt 0x0
	v_cmp_gt_f32_e32 vcc_lo, 0, v94
	v_cndmask_b32_e64 v97, v94, -v94, vcc_lo
	v_cmp_gt_f32_e32 vcc_lo, 0, v95
	v_cndmask_b32_e64 v99, v95, -v95, vcc_lo
	s_delay_alu instid0(VALU_DEP_1) | instskip(NEXT) | instid1(VALU_DEP_1)
	v_pk_add_f32 v[96:97], v[96:97], v[98:99]
	v_cmp_lt_f32_e32 vcc_lo, v96, v97
	v_dual_cndmask_b32 v84, v84, v94 :: v_dual_add_nc_u32 v87, 8, v87
	v_cndmask_b32_e32 v85, v85, v95, vcc_lo
	v_cndmask_b32_e64 v86, v86, s0, vcc_lo
	s_add_co_i32 s0, s0, 1
	s_delay_alu instid0(SALU_CYCLE_1)
	s_cmp_lg_u32 s18, s0
	s_cbranch_scc1 .LBB76_589
.LBB76_590:
	s_wait_dscnt 0x0
	v_cmp_eq_f32_e32 vcc_lo, 0, v84
	v_cmp_eq_f32_e64 s0, 0, v85
	s_and_b32 s0, vcc_lo, s0
	s_delay_alu instid0(SALU_CYCLE_1) | instskip(NEXT) | instid1(SALU_CYCLE_1)
	s_and_saveexec_b32 s1, s0
	s_xor_b32 s0, exec_lo, s1
; %bb.591:
	v_cmp_ne_u32_e32 vcc_lo, 0, v90
	v_cndmask_b32_e32 v90, 29, v90, vcc_lo
; %bb.592:
	s_and_not1_saveexec_b32 s0, s0
	s_cbranch_execz .LBB76_598
; %bb.593:
	v_cmp_ngt_f32_e64 s1, |v84|, |v85|
	s_and_saveexec_b32 s12, s1
	s_delay_alu instid0(SALU_CYCLE_1)
	s_xor_b32 s1, exec_lo, s12
	s_cbranch_execz .LBB76_595
; %bb.594:
	v_div_scale_f32 v87, null, v85, v85, v84
	v_div_scale_f32 v95, vcc_lo, v84, v85, v84
	s_delay_alu instid0(VALU_DEP_2) | instskip(SKIP_1) | instid1(TRANS32_DEP_1)
	v_rcp_f32_e32 v93, v87
	v_nop
	v_fma_f32 v94, -v87, v93, 1.0
	s_delay_alu instid0(VALU_DEP_1) | instskip(NEXT) | instid1(VALU_DEP_1)
	v_fmac_f32_e32 v93, v94, v93
	v_mul_f32_e32 v94, v95, v93
	s_delay_alu instid0(VALU_DEP_1) | instskip(NEXT) | instid1(VALU_DEP_1)
	v_fma_f32 v96, -v87, v94, v95
	v_fmac_f32_e32 v94, v96, v93
	s_delay_alu instid0(VALU_DEP_1) | instskip(NEXT) | instid1(VALU_DEP_1)
	v_fma_f32 v87, -v87, v94, v95
	v_div_fmas_f32 v87, v87, v93, v94
	s_delay_alu instid0(VALU_DEP_1) | instskip(NEXT) | instid1(VALU_DEP_1)
	v_div_fixup_f32 v87, v87, v85, v84
	v_fmac_f32_e32 v85, v84, v87
	s_delay_alu instid0(VALU_DEP_1) | instskip(SKIP_1) | instid1(VALU_DEP_2)
	v_div_scale_f32 v84, null, v85, v85, 1.0
	v_div_scale_f32 v95, vcc_lo, 1.0, v85, 1.0
	v_rcp_f32_e32 v93, v84
	v_nop
	s_delay_alu instid0(TRANS32_DEP_1) | instskip(NEXT) | instid1(VALU_DEP_1)
	v_fma_f32 v94, -v84, v93, 1.0
	v_fmac_f32_e32 v93, v94, v93
	s_delay_alu instid0(VALU_DEP_1) | instskip(NEXT) | instid1(VALU_DEP_1)
	v_mul_f32_e32 v94, v95, v93
	v_fma_f32 v96, -v84, v94, v95
	s_delay_alu instid0(VALU_DEP_1) | instskip(NEXT) | instid1(VALU_DEP_1)
	v_fmac_f32_e32 v94, v96, v93
	v_fma_f32 v84, -v84, v94, v95
	s_delay_alu instid0(VALU_DEP_1) | instskip(NEXT) | instid1(VALU_DEP_1)
	v_div_fmas_f32 v84, v84, v93, v94
	v_div_fixup_f32 v85, v84, v85, 1.0
	s_delay_alu instid0(VALU_DEP_1)
	v_mul_f32_e32 v84, v87, v85
	v_xor_b32_e32 v85, 0x80000000, v85
.LBB76_595:
	s_and_not1_saveexec_b32 s1, s1
	s_cbranch_execz .LBB76_597
; %bb.596:
	s_delay_alu instid0(VALU_DEP_1) | instskip(SKIP_1) | instid1(VALU_DEP_2)
	v_div_scale_f32 v87, null, v84, v84, v85
	v_div_scale_f32 v95, vcc_lo, v85, v84, v85
	v_rcp_f32_e32 v93, v87
	v_nop
	s_delay_alu instid0(TRANS32_DEP_1) | instskip(NEXT) | instid1(VALU_DEP_1)
	v_fma_f32 v94, -v87, v93, 1.0
	v_fmac_f32_e32 v93, v94, v93
	s_delay_alu instid0(VALU_DEP_1) | instskip(NEXT) | instid1(VALU_DEP_1)
	v_mul_f32_e32 v94, v95, v93
	v_fma_f32 v96, -v87, v94, v95
	s_delay_alu instid0(VALU_DEP_1) | instskip(NEXT) | instid1(VALU_DEP_1)
	v_fmac_f32_e32 v94, v96, v93
	v_fma_f32 v87, -v87, v94, v95
	s_delay_alu instid0(VALU_DEP_1) | instskip(NEXT) | instid1(VALU_DEP_1)
	v_div_fmas_f32 v87, v87, v93, v94
	v_div_fixup_f32 v87, v87, v84, v85
	s_delay_alu instid0(VALU_DEP_1) | instskip(NEXT) | instid1(VALU_DEP_1)
	v_fmac_f32_e32 v84, v85, v87
	v_div_scale_f32 v85, null, v84, v84, 1.0
	s_delay_alu instid0(VALU_DEP_1) | instskip(SKIP_1) | instid1(TRANS32_DEP_1)
	v_rcp_f32_e32 v93, v85
	v_nop
	v_fma_f32 v94, -v85, v93, 1.0
	s_delay_alu instid0(VALU_DEP_1) | instskip(SKIP_1) | instid1(VALU_DEP_1)
	v_fmac_f32_e32 v93, v94, v93
	v_div_scale_f32 v94, vcc_lo, 1.0, v84, 1.0
	v_mul_f32_e32 v95, v94, v93
	s_delay_alu instid0(VALU_DEP_1) | instskip(NEXT) | instid1(VALU_DEP_1)
	v_fma_f32 v96, -v85, v95, v94
	v_fmac_f32_e32 v95, v96, v93
	s_delay_alu instid0(VALU_DEP_1) | instskip(NEXT) | instid1(VALU_DEP_1)
	v_fma_f32 v85, -v85, v95, v94
	v_div_fmas_f32 v85, v85, v93, v95
	s_delay_alu instid0(VALU_DEP_1) | instskip(NEXT) | instid1(VALU_DEP_1)
	v_div_fixup_f32 v84, v85, v84, 1.0
	v_mul_f32_e64 v85, v87, -v84
.LBB76_597:
	s_or_b32 exec_lo, exec_lo, s1
.LBB76_598:
	s_delay_alu instid0(SALU_CYCLE_1) | instskip(NEXT) | instid1(SALU_CYCLE_1)
	s_or_b32 exec_lo, exec_lo, s0
	s_mov_b32 s0, exec_lo
	v_cmpx_ne_u32_e64 v92, v86
	s_xor_b32 s0, exec_lo, s0
	s_cbranch_execz .LBB76_604
; %bb.599:
	s_mov_b32 s1, exec_lo
	v_cmpx_eq_u32_e32 28, v92
	s_cbranch_execz .LBB76_603
; %bb.600:
	v_cmp_ne_u32_e32 vcc_lo, 28, v86
	s_xor_b32 s12, s16, -1
	s_delay_alu instid0(SALU_CYCLE_1) | instskip(NEXT) | instid1(SALU_CYCLE_1)
	s_and_b32 s13, s12, vcc_lo
	s_and_saveexec_b32 s12, s13
	s_cbranch_execz .LBB76_602
; %bb.601:
	v_ashrrev_i32_e32 v87, 31, v86
	s_delay_alu instid0(VALU_DEP_1)
	v_lshl_add_u64 v[92:93], v[86:87], 2, v[4:5]
	s_clause 0x1
	global_load_b32 v87, v[92:93], off
	global_load_b32 v91, v[4:5], off offset:112
	s_wait_loadcnt 0x1
	global_store_b32 v[4:5], v87, off offset:112
	s_wait_loadcnt 0x0
	global_store_b32 v[92:93], v91, off
.LBB76_602:
	s_wait_xcnt 0x0
	s_or_b32 exec_lo, exec_lo, s12
	v_dual_mov_b32 v92, v86 :: v_dual_mov_b32 v91, v86
.LBB76_603:
	s_or_b32 exec_lo, exec_lo, s1
.LBB76_604:
	s_and_not1_saveexec_b32 s0, s0
	s_cbranch_execz .LBB76_606
; %bb.605:
	v_mov_b32_e32 v92, 28
	ds_store_2addr_b64 v88, v[46:47], v[10:11] offset0:29 offset1:30
	ds_store_2addr_b64 v88, v[6:7], v[44:45] offset0:31 offset1:32
	;; [unrolled: 1-line block ×5, first 2 shown]
.LBB76_606:
	s_or_b32 exec_lo, exec_lo, s0
	s_delay_alu instid0(SALU_CYCLE_1)
	s_mov_b32 s0, exec_lo
	s_wait_storecnt_dscnt 0x0
	s_barrier_signal -1
	s_barrier_wait -1
	v_cmpx_lt_i32_e32 28, v92
	s_cbranch_execz .LBB76_608
; %bb.607:
	v_pk_mul_f32 v[86:87], v[84:85], v[48:49] op_sel:[1,1] op_sel_hi:[0,1]
	s_delay_alu instid0(VALU_DEP_1)
	v_pk_fma_f32 v[94:95], v[84:85], v[48:49], v[86:87] op_sel_hi:[1,0,1] neg_lo:[0,0,1] neg_hi:[0,0,1]
	v_pk_fma_f32 v[96:97], v[84:85], v[48:49], v[86:87] op_sel_hi:[1,0,1]
	ds_load_2addr_b64 v[84:87], v88 offset0:29 offset1:30
	v_dual_mov_b32 v48, v94 :: v_dual_mov_b32 v49, v97
	s_wait_dscnt 0x0
	v_pk_mul_f32 v[98:99], v[84:85], v[96:97] op_sel:[0,1]
	s_delay_alu instid0(VALU_DEP_1) | instskip(SKIP_1) | instid1(VALU_DEP_1)
	v_pk_fma_f32 v[100:101], v[84:85], v[94:95], v[98:99] op_sel:[0,0,1] op_sel_hi:[1,1,0] neg_lo:[0,0,1] neg_hi:[0,0,1]
	v_pk_fma_f32 v[84:85], v[84:85], v[94:95], v[98:99] op_sel:[0,0,1] op_sel_hi:[1,0,0]
	v_mov_b32_e32 v101, v85
	v_pk_mul_f32 v[84:85], v[86:87], v[96:97] op_sel:[0,1]
	s_delay_alu instid0(VALU_DEP_1) | instskip(SKIP_1) | instid1(VALU_DEP_1)
	v_pk_fma_f32 v[98:99], v[86:87], v[94:95], v[84:85] op_sel:[0,0,1] op_sel_hi:[1,1,0] neg_lo:[0,0,1] neg_hi:[0,0,1]
	v_pk_fma_f32 v[84:85], v[86:87], v[94:95], v[84:85] op_sel:[0,0,1] op_sel_hi:[1,0,0]
	v_mov_b32_e32 v99, v85
	ds_load_2addr_b64 v[84:87], v88 offset0:31 offset1:32
	v_pk_add_f32 v[46:47], v[46:47], v[100:101] neg_lo:[0,1] neg_hi:[0,1]
	v_pk_add_f32 v[10:11], v[10:11], v[98:99] neg_lo:[0,1] neg_hi:[0,1]
	s_wait_dscnt 0x0
	v_pk_mul_f32 v[98:99], v[84:85], v[96:97] op_sel:[0,1]
	s_delay_alu instid0(VALU_DEP_1) | instskip(SKIP_2) | instid1(VALU_DEP_2)
	v_pk_fma_f32 v[100:101], v[84:85], v[94:95], v[98:99] op_sel:[0,0,1] op_sel_hi:[1,1,0] neg_lo:[0,0,1] neg_hi:[0,0,1]
	v_pk_fma_f32 v[84:85], v[84:85], v[94:95], v[98:99] op_sel:[0,0,1] op_sel_hi:[1,0,0]
	v_dual_mul_f32 v98, v87, v97 :: v_dual_mov_b32 v84, v87
	v_dual_mov_b32 v101, v85 :: v_dual_mov_b32 v85, v86
	s_delay_alu instid0(VALU_DEP_2) | instskip(SKIP_1) | instid1(VALU_DEP_3)
	v_pk_fma_f32 v[98:99], v[86:87], v[48:49], v[98:99] op_sel_hi:[1,1,0] neg_lo:[0,0,1] neg_hi:[0,0,1]
	v_mul_f32_e32 v86, v87, v94
	v_pk_add_f32 v[6:7], v[6:7], v[100:101] neg_lo:[0,1] neg_hi:[0,1]
	s_delay_alu instid0(VALU_DEP_2) | instskip(NEXT) | instid1(VALU_DEP_1)
	v_pk_fma_f32 v[84:85], v[84:85], v[48:49], v[86:87] op_sel_hi:[1,1,0]
	v_mov_b32_e32 v99, v85
	ds_load_2addr_b64 v[84:87], v88 offset0:33 offset1:34
	v_pk_add_f32 v[44:45], v[44:45], v[98:99] neg_lo:[0,1] neg_hi:[0,1]
	s_wait_dscnt 0x0
	v_pk_mul_f32 v[98:99], v[84:85], v[96:97] op_sel:[0,1]
	s_delay_alu instid0(VALU_DEP_1) | instskip(SKIP_1) | instid1(VALU_DEP_1)
	v_pk_fma_f32 v[100:101], v[84:85], v[94:95], v[98:99] op_sel:[0,0,1] op_sel_hi:[1,1,0] neg_lo:[0,0,1] neg_hi:[0,0,1]
	v_pk_fma_f32 v[84:85], v[84:85], v[94:95], v[98:99] op_sel:[0,0,1] op_sel_hi:[1,0,0]
	v_mov_b32_e32 v101, v85
	v_pk_mul_f32 v[84:85], v[86:87], v[96:97] op_sel:[0,1]
	s_delay_alu instid0(VALU_DEP_1) | instskip(SKIP_1) | instid1(VALU_DEP_1)
	v_pk_fma_f32 v[98:99], v[86:87], v[94:95], v[84:85] op_sel:[0,0,1] op_sel_hi:[1,1,0] neg_lo:[0,0,1] neg_hi:[0,0,1]
	v_pk_fma_f32 v[84:85], v[86:87], v[94:95], v[84:85] op_sel:[0,0,1] op_sel_hi:[1,0,0]
	v_mov_b32_e32 v99, v85
	ds_load_2addr_b64 v[84:87], v88 offset0:35 offset1:36
	v_pk_add_f32 v[42:43], v[42:43], v[100:101] neg_lo:[0,1] neg_hi:[0,1]
	v_pk_add_f32 v[8:9], v[8:9], v[98:99] neg_lo:[0,1] neg_hi:[0,1]
	s_wait_dscnt 0x0
	v_pk_mul_f32 v[98:99], v[84:85], v[96:97] op_sel:[0,1]
	s_delay_alu instid0(VALU_DEP_1) | instskip(SKIP_1) | instid1(VALU_DEP_1)
	v_pk_fma_f32 v[100:101], v[84:85], v[94:95], v[98:99] op_sel:[0,0,1] op_sel_hi:[1,1,0] neg_lo:[0,0,1] neg_hi:[0,0,1]
	v_pk_fma_f32 v[84:85], v[84:85], v[94:95], v[98:99] op_sel:[0,0,1] op_sel_hi:[1,0,0]
	v_mov_b32_e32 v101, v85
	v_pk_mul_f32 v[84:85], v[86:87], v[96:97] op_sel:[0,1]
	s_delay_alu instid0(VALU_DEP_1) | instskip(SKIP_1) | instid1(VALU_DEP_1)
	v_pk_fma_f32 v[98:99], v[86:87], v[94:95], v[84:85] op_sel:[0,0,1] op_sel_hi:[1,1,0] neg_lo:[0,0,1] neg_hi:[0,0,1]
	v_pk_fma_f32 v[84:85], v[86:87], v[94:95], v[84:85] op_sel:[0,0,1] op_sel_hi:[1,0,0]
	v_mov_b32_e32 v99, v85
	ds_load_2addr_b64 v[84:87], v88 offset0:37 offset1:38
	v_pk_add_f32 v[40:41], v[40:41], v[100:101] neg_lo:[0,1] neg_hi:[0,1]
	v_pk_add_f32 v[34:35], v[34:35], v[98:99] neg_lo:[0,1] neg_hi:[0,1]
	s_wait_dscnt 0x0
	v_dual_mul_f32 v98, v85, v97 :: v_dual_mul_f32 v100, v85, v94
	s_delay_alu instid0(VALU_DEP_1) | instskip(NEXT) | instid1(VALU_DEP_2)
	v_pk_fma_f32 v[98:99], v[84:85], v[48:49], v[98:99] op_sel_hi:[1,1,0] neg_lo:[0,0,1] neg_hi:[0,0,1]
	v_pk_fma_f32 v[84:85], v[84:85], v[48:49], v[100:101] op_sel:[1,0,0] op_sel_hi:[0,1,0]
	s_delay_alu instid0(VALU_DEP_1) | instskip(SKIP_1) | instid1(VALU_DEP_1)
	v_mov_b32_e32 v99, v85
	v_pk_mul_f32 v[84:85], v[86:87], v[96:97] op_sel:[0,1]
	v_pk_fma_f32 v[96:97], v[86:87], v[94:95], v[84:85] op_sel:[0,0,1] op_sel_hi:[1,1,0] neg_lo:[0,0,1] neg_hi:[0,0,1]
	v_pk_fma_f32 v[84:85], v[86:87], v[94:95], v[84:85] op_sel:[0,0,1] op_sel_hi:[1,0,0]
	s_delay_alu instid0(VALU_DEP_1) | instskip(SKIP_1) | instid1(VALU_DEP_2)
	v_mov_b32_e32 v97, v85
	v_pk_add_f32 v[20:21], v[20:21], v[98:99] neg_lo:[0,1] neg_hi:[0,1]
	v_pk_add_f32 v[82:83], v[82:83], v[96:97] neg_lo:[0,1] neg_hi:[0,1]
.LBB76_608:
	s_or_b32 exec_lo, exec_lo, s0
	v_lshl_add_u32 v84, v92, 3, v88
	s_barrier_signal -1
	s_barrier_wait -1
	ds_store_b64 v84, v[46:47]
	s_wait_dscnt 0x0
	s_barrier_signal -1
	s_barrier_wait -1
	ds_load_b64 v[84:85], v88 offset:232
	v_mov_b32_e32 v86, 29
	s_cmp_lt_i32 s18, 31
	s_cbranch_scc1 .LBB76_611
; %bb.609:
	v_add3_u32 v87, v89, 0, 0xf0
	v_mov_b32_e32 v86, 29
	s_mov_b32 s0, 30
.LBB76_610:                             ; =>This Inner Loop Header: Depth=1
	ds_load_b64 v[94:95], v87
	s_wait_dscnt 0x1
	v_cmp_gt_f32_e32 vcc_lo, 0, v84
	v_cndmask_b32_e64 v96, v84, -v84, vcc_lo
	v_cmp_gt_f32_e32 vcc_lo, 0, v85
	v_cndmask_b32_e64 v98, v85, -v85, vcc_lo
	s_wait_dscnt 0x0
	v_cmp_gt_f32_e32 vcc_lo, 0, v94
	v_cndmask_b32_e64 v97, v94, -v94, vcc_lo
	v_cmp_gt_f32_e32 vcc_lo, 0, v95
	v_cndmask_b32_e64 v99, v95, -v95, vcc_lo
	s_delay_alu instid0(VALU_DEP_1) | instskip(NEXT) | instid1(VALU_DEP_1)
	v_pk_add_f32 v[96:97], v[96:97], v[98:99]
	v_cmp_lt_f32_e32 vcc_lo, v96, v97
	v_dual_cndmask_b32 v84, v84, v94 :: v_dual_add_nc_u32 v87, 8, v87
	v_cndmask_b32_e32 v85, v85, v95, vcc_lo
	v_cndmask_b32_e64 v86, v86, s0, vcc_lo
	s_add_co_i32 s0, s0, 1
	s_delay_alu instid0(SALU_CYCLE_1)
	s_cmp_lg_u32 s18, s0
	s_cbranch_scc1 .LBB76_610
.LBB76_611:
	s_wait_dscnt 0x0
	v_cmp_eq_f32_e32 vcc_lo, 0, v84
	v_cmp_eq_f32_e64 s0, 0, v85
	s_and_b32 s0, vcc_lo, s0
	s_delay_alu instid0(SALU_CYCLE_1) | instskip(NEXT) | instid1(SALU_CYCLE_1)
	s_and_saveexec_b32 s1, s0
	s_xor_b32 s0, exec_lo, s1
; %bb.612:
	v_cmp_ne_u32_e32 vcc_lo, 0, v90
	v_cndmask_b32_e32 v90, 30, v90, vcc_lo
; %bb.613:
	s_and_not1_saveexec_b32 s0, s0
	s_cbranch_execz .LBB76_619
; %bb.614:
	v_cmp_ngt_f32_e64 s1, |v84|, |v85|
	s_and_saveexec_b32 s12, s1
	s_delay_alu instid0(SALU_CYCLE_1)
	s_xor_b32 s1, exec_lo, s12
	s_cbranch_execz .LBB76_616
; %bb.615:
	v_div_scale_f32 v87, null, v85, v85, v84
	v_div_scale_f32 v95, vcc_lo, v84, v85, v84
	s_delay_alu instid0(VALU_DEP_2) | instskip(SKIP_1) | instid1(TRANS32_DEP_1)
	v_rcp_f32_e32 v93, v87
	v_nop
	v_fma_f32 v94, -v87, v93, 1.0
	s_delay_alu instid0(VALU_DEP_1) | instskip(NEXT) | instid1(VALU_DEP_1)
	v_fmac_f32_e32 v93, v94, v93
	v_mul_f32_e32 v94, v95, v93
	s_delay_alu instid0(VALU_DEP_1) | instskip(NEXT) | instid1(VALU_DEP_1)
	v_fma_f32 v96, -v87, v94, v95
	v_fmac_f32_e32 v94, v96, v93
	s_delay_alu instid0(VALU_DEP_1) | instskip(NEXT) | instid1(VALU_DEP_1)
	v_fma_f32 v87, -v87, v94, v95
	v_div_fmas_f32 v87, v87, v93, v94
	s_delay_alu instid0(VALU_DEP_1) | instskip(NEXT) | instid1(VALU_DEP_1)
	v_div_fixup_f32 v87, v87, v85, v84
	v_fmac_f32_e32 v85, v84, v87
	s_delay_alu instid0(VALU_DEP_1) | instskip(SKIP_1) | instid1(VALU_DEP_2)
	v_div_scale_f32 v84, null, v85, v85, 1.0
	v_div_scale_f32 v95, vcc_lo, 1.0, v85, 1.0
	v_rcp_f32_e32 v93, v84
	v_nop
	s_delay_alu instid0(TRANS32_DEP_1) | instskip(NEXT) | instid1(VALU_DEP_1)
	v_fma_f32 v94, -v84, v93, 1.0
	v_fmac_f32_e32 v93, v94, v93
	s_delay_alu instid0(VALU_DEP_1) | instskip(NEXT) | instid1(VALU_DEP_1)
	v_mul_f32_e32 v94, v95, v93
	v_fma_f32 v96, -v84, v94, v95
	s_delay_alu instid0(VALU_DEP_1) | instskip(NEXT) | instid1(VALU_DEP_1)
	v_fmac_f32_e32 v94, v96, v93
	v_fma_f32 v84, -v84, v94, v95
	s_delay_alu instid0(VALU_DEP_1) | instskip(NEXT) | instid1(VALU_DEP_1)
	v_div_fmas_f32 v84, v84, v93, v94
	v_div_fixup_f32 v85, v84, v85, 1.0
	s_delay_alu instid0(VALU_DEP_1)
	v_mul_f32_e32 v84, v87, v85
	v_xor_b32_e32 v85, 0x80000000, v85
.LBB76_616:
	s_and_not1_saveexec_b32 s1, s1
	s_cbranch_execz .LBB76_618
; %bb.617:
	s_delay_alu instid0(VALU_DEP_1) | instskip(SKIP_1) | instid1(VALU_DEP_2)
	v_div_scale_f32 v87, null, v84, v84, v85
	v_div_scale_f32 v95, vcc_lo, v85, v84, v85
	v_rcp_f32_e32 v93, v87
	v_nop
	s_delay_alu instid0(TRANS32_DEP_1) | instskip(NEXT) | instid1(VALU_DEP_1)
	v_fma_f32 v94, -v87, v93, 1.0
	v_fmac_f32_e32 v93, v94, v93
	s_delay_alu instid0(VALU_DEP_1) | instskip(NEXT) | instid1(VALU_DEP_1)
	v_mul_f32_e32 v94, v95, v93
	v_fma_f32 v96, -v87, v94, v95
	s_delay_alu instid0(VALU_DEP_1) | instskip(NEXT) | instid1(VALU_DEP_1)
	v_fmac_f32_e32 v94, v96, v93
	v_fma_f32 v87, -v87, v94, v95
	s_delay_alu instid0(VALU_DEP_1) | instskip(NEXT) | instid1(VALU_DEP_1)
	v_div_fmas_f32 v87, v87, v93, v94
	v_div_fixup_f32 v87, v87, v84, v85
	s_delay_alu instid0(VALU_DEP_1) | instskip(NEXT) | instid1(VALU_DEP_1)
	v_fmac_f32_e32 v84, v85, v87
	v_div_scale_f32 v85, null, v84, v84, 1.0
	s_delay_alu instid0(VALU_DEP_1) | instskip(SKIP_1) | instid1(TRANS32_DEP_1)
	v_rcp_f32_e32 v93, v85
	v_nop
	v_fma_f32 v94, -v85, v93, 1.0
	s_delay_alu instid0(VALU_DEP_1) | instskip(SKIP_1) | instid1(VALU_DEP_1)
	v_fmac_f32_e32 v93, v94, v93
	v_div_scale_f32 v94, vcc_lo, 1.0, v84, 1.0
	v_mul_f32_e32 v95, v94, v93
	s_delay_alu instid0(VALU_DEP_1) | instskip(NEXT) | instid1(VALU_DEP_1)
	v_fma_f32 v96, -v85, v95, v94
	v_fmac_f32_e32 v95, v96, v93
	s_delay_alu instid0(VALU_DEP_1) | instskip(NEXT) | instid1(VALU_DEP_1)
	v_fma_f32 v85, -v85, v95, v94
	v_div_fmas_f32 v85, v85, v93, v95
	s_delay_alu instid0(VALU_DEP_1) | instskip(NEXT) | instid1(VALU_DEP_1)
	v_div_fixup_f32 v84, v85, v84, 1.0
	v_mul_f32_e64 v85, v87, -v84
.LBB76_618:
	s_or_b32 exec_lo, exec_lo, s1
.LBB76_619:
	s_delay_alu instid0(SALU_CYCLE_1) | instskip(NEXT) | instid1(SALU_CYCLE_1)
	s_or_b32 exec_lo, exec_lo, s0
	s_mov_b32 s0, exec_lo
	v_cmpx_ne_u32_e64 v92, v86
	s_xor_b32 s0, exec_lo, s0
	s_cbranch_execz .LBB76_625
; %bb.620:
	s_mov_b32 s1, exec_lo
	v_cmpx_eq_u32_e32 29, v92
	s_cbranch_execz .LBB76_624
; %bb.621:
	v_cmp_ne_u32_e32 vcc_lo, 29, v86
	s_xor_b32 s12, s16, -1
	s_delay_alu instid0(SALU_CYCLE_1) | instskip(NEXT) | instid1(SALU_CYCLE_1)
	s_and_b32 s13, s12, vcc_lo
	s_and_saveexec_b32 s12, s13
	s_cbranch_execz .LBB76_623
; %bb.622:
	v_ashrrev_i32_e32 v87, 31, v86
	s_delay_alu instid0(VALU_DEP_1)
	v_lshl_add_u64 v[92:93], v[86:87], 2, v[4:5]
	s_clause 0x1
	global_load_b32 v87, v[92:93], off
	global_load_b32 v91, v[4:5], off offset:116
	s_wait_loadcnt 0x1
	global_store_b32 v[4:5], v87, off offset:116
	s_wait_loadcnt 0x0
	global_store_b32 v[92:93], v91, off
.LBB76_623:
	s_wait_xcnt 0x0
	s_or_b32 exec_lo, exec_lo, s12
	v_dual_mov_b32 v92, v86 :: v_dual_mov_b32 v91, v86
.LBB76_624:
	s_or_b32 exec_lo, exec_lo, s1
.LBB76_625:
	s_and_not1_saveexec_b32 s0, s0
	s_cbranch_execz .LBB76_627
; %bb.626:
	v_dual_mov_b32 v86, v10 :: v_dual_mov_b32 v87, v11
	v_dual_mov_b32 v94, v6 :: v_dual_mov_b32 v95, v7
	;; [unrolled: 1-line block ×8, first 2 shown]
	v_mov_b32_e32 v107, v21
	ds_store_2addr_b64 v88, v[86:87], v[94:95] offset0:30 offset1:31
	ds_store_2addr_b64 v88, v[96:97], v[98:99] offset0:32 offset1:33
	;; [unrolled: 1-line block ×4, first 2 shown]
	ds_store_b64 v88, v[82:83] offset:304
.LBB76_627:
	s_or_b32 exec_lo, exec_lo, s0
	s_delay_alu instid0(SALU_CYCLE_1)
	s_mov_b32 s0, exec_lo
	s_wait_storecnt_dscnt 0x0
	s_barrier_signal -1
	s_barrier_wait -1
	v_cmpx_lt_i32_e32 29, v92
	s_cbranch_execz .LBB76_629
; %bb.628:
	v_pk_mul_f32 v[86:87], v[84:85], v[46:47] op_sel:[1,1] op_sel_hi:[0,1]
	s_delay_alu instid0(VALU_DEP_1)
	v_pk_fma_f32 v[94:95], v[84:85], v[46:47], v[86:87] op_sel_hi:[1,0,1] neg_lo:[0,0,1] neg_hi:[0,0,1]
	v_pk_fma_f32 v[96:97], v[84:85], v[46:47], v[86:87] op_sel_hi:[1,0,1]
	ds_load_2addr_b64 v[84:87], v88 offset0:30 offset1:31
	v_dual_mov_b32 v46, v94 :: v_dual_mov_b32 v47, v97
	s_wait_dscnt 0x0
	v_pk_mul_f32 v[98:99], v[84:85], v[96:97] op_sel:[0,1]
	s_delay_alu instid0(VALU_DEP_1) | instskip(SKIP_1) | instid1(VALU_DEP_1)
	v_pk_fma_f32 v[100:101], v[84:85], v[94:95], v[98:99] op_sel:[0,0,1] op_sel_hi:[1,1,0] neg_lo:[0,0,1] neg_hi:[0,0,1]
	v_pk_fma_f32 v[84:85], v[84:85], v[94:95], v[98:99] op_sel:[0,0,1] op_sel_hi:[1,0,0]
	v_mov_b32_e32 v101, v85
	v_pk_mul_f32 v[84:85], v[86:87], v[96:97] op_sel:[0,1]
	s_delay_alu instid0(VALU_DEP_1) | instskip(SKIP_1) | instid1(VALU_DEP_1)
	v_pk_fma_f32 v[98:99], v[86:87], v[94:95], v[84:85] op_sel:[0,0,1] op_sel_hi:[1,1,0] neg_lo:[0,0,1] neg_hi:[0,0,1]
	v_pk_fma_f32 v[84:85], v[86:87], v[94:95], v[84:85] op_sel:[0,0,1] op_sel_hi:[1,0,0]
	v_mov_b32_e32 v99, v85
	ds_load_2addr_b64 v[84:87], v88 offset0:32 offset1:33
	v_pk_add_f32 v[10:11], v[10:11], v[100:101] neg_lo:[0,1] neg_hi:[0,1]
	v_pk_add_f32 v[6:7], v[6:7], v[98:99] neg_lo:[0,1] neg_hi:[0,1]
	s_wait_dscnt 0x0
	v_pk_mul_f32 v[98:99], v[84:85], v[96:97] op_sel:[0,1]
	s_delay_alu instid0(VALU_DEP_1) | instskip(SKIP_2) | instid1(VALU_DEP_2)
	v_pk_fma_f32 v[100:101], v[84:85], v[94:95], v[98:99] op_sel:[0,0,1] op_sel_hi:[1,1,0] neg_lo:[0,0,1] neg_hi:[0,0,1]
	v_pk_fma_f32 v[84:85], v[84:85], v[94:95], v[98:99] op_sel:[0,0,1] op_sel_hi:[1,0,0]
	v_dual_mul_f32 v98, v87, v97 :: v_dual_mov_b32 v84, v87
	v_dual_mov_b32 v101, v85 :: v_dual_mov_b32 v85, v86
	s_delay_alu instid0(VALU_DEP_2) | instskip(SKIP_1) | instid1(VALU_DEP_3)
	v_pk_fma_f32 v[98:99], v[86:87], v[46:47], v[98:99] op_sel_hi:[1,1,0] neg_lo:[0,0,1] neg_hi:[0,0,1]
	v_mul_f32_e32 v86, v87, v94
	v_pk_add_f32 v[44:45], v[44:45], v[100:101] neg_lo:[0,1] neg_hi:[0,1]
	s_delay_alu instid0(VALU_DEP_2) | instskip(NEXT) | instid1(VALU_DEP_1)
	v_pk_fma_f32 v[84:85], v[84:85], v[46:47], v[86:87] op_sel_hi:[1,1,0]
	v_mov_b32_e32 v99, v85
	ds_load_2addr_b64 v[84:87], v88 offset0:34 offset1:35
	v_pk_add_f32 v[42:43], v[42:43], v[98:99] neg_lo:[0,1] neg_hi:[0,1]
	s_wait_dscnt 0x0
	v_pk_mul_f32 v[98:99], v[84:85], v[96:97] op_sel:[0,1]
	s_delay_alu instid0(VALU_DEP_1) | instskip(SKIP_1) | instid1(VALU_DEP_1)
	v_pk_fma_f32 v[100:101], v[84:85], v[94:95], v[98:99] op_sel:[0,0,1] op_sel_hi:[1,1,0] neg_lo:[0,0,1] neg_hi:[0,0,1]
	v_pk_fma_f32 v[84:85], v[84:85], v[94:95], v[98:99] op_sel:[0,0,1] op_sel_hi:[1,0,0]
	v_mov_b32_e32 v101, v85
	v_pk_mul_f32 v[84:85], v[86:87], v[96:97] op_sel:[0,1]
	s_delay_alu instid0(VALU_DEP_1) | instskip(SKIP_1) | instid1(VALU_DEP_1)
	v_pk_fma_f32 v[98:99], v[86:87], v[94:95], v[84:85] op_sel:[0,0,1] op_sel_hi:[1,1,0] neg_lo:[0,0,1] neg_hi:[0,0,1]
	v_pk_fma_f32 v[84:85], v[86:87], v[94:95], v[84:85] op_sel:[0,0,1] op_sel_hi:[1,0,0]
	v_mov_b32_e32 v99, v85
	ds_load_2addr_b64 v[84:87], v88 offset0:36 offset1:37
	v_pk_add_f32 v[8:9], v[8:9], v[100:101] neg_lo:[0,1] neg_hi:[0,1]
	v_pk_add_f32 v[40:41], v[40:41], v[98:99] neg_lo:[0,1] neg_hi:[0,1]
	s_wait_dscnt 0x0
	v_pk_mul_f32 v[98:99], v[84:85], v[96:97] op_sel:[0,1]
	s_delay_alu instid0(VALU_DEP_1) | instskip(SKIP_1) | instid1(VALU_DEP_1)
	v_pk_fma_f32 v[100:101], v[84:85], v[94:95], v[98:99] op_sel:[0,0,1] op_sel_hi:[1,1,0] neg_lo:[0,0,1] neg_hi:[0,0,1]
	v_pk_fma_f32 v[84:85], v[84:85], v[94:95], v[98:99] op_sel:[0,0,1] op_sel_hi:[1,0,0]
	v_mov_b32_e32 v101, v85
	v_pk_mul_f32 v[84:85], v[86:87], v[96:97] op_sel:[0,1]
	s_delay_alu instid0(VALU_DEP_1) | instskip(SKIP_1) | instid1(VALU_DEP_1)
	v_pk_fma_f32 v[98:99], v[86:87], v[94:95], v[84:85] op_sel:[0,0,1] op_sel_hi:[1,1,0] neg_lo:[0,0,1] neg_hi:[0,0,1]
	v_pk_fma_f32 v[84:85], v[86:87], v[94:95], v[84:85] op_sel:[0,0,1] op_sel_hi:[1,0,0]
	v_mov_b32_e32 v99, v85
	ds_load_b64 v[84:85], v88 offset:304
	v_pk_add_f32 v[34:35], v[34:35], v[100:101] neg_lo:[0,1] neg_hi:[0,1]
	v_pk_add_f32 v[20:21], v[20:21], v[98:99] neg_lo:[0,1] neg_hi:[0,1]
	s_wait_dscnt 0x0
	v_pk_mul_f32 v[86:87], v[84:85], v[96:97] op_sel:[0,1]
	s_delay_alu instid0(VALU_DEP_1) | instskip(SKIP_1) | instid1(VALU_DEP_1)
	v_pk_fma_f32 v[96:97], v[84:85], v[94:95], v[86:87] op_sel:[0,0,1] op_sel_hi:[1,1,0] neg_lo:[0,0,1] neg_hi:[0,0,1]
	v_pk_fma_f32 v[84:85], v[84:85], v[94:95], v[86:87] op_sel:[0,0,1] op_sel_hi:[1,0,0]
	v_mov_b32_e32 v97, v85
	s_delay_alu instid0(VALU_DEP_1)
	v_pk_add_f32 v[82:83], v[82:83], v[96:97] neg_lo:[0,1] neg_hi:[0,1]
.LBB76_629:
	s_or_b32 exec_lo, exec_lo, s0
	v_lshl_add_u32 v84, v92, 3, v88
	s_barrier_signal -1
	s_barrier_wait -1
	ds_store_b64 v84, v[10:11]
	s_wait_dscnt 0x0
	s_barrier_signal -1
	s_barrier_wait -1
	ds_load_b64 v[84:85], v88 offset:240
	v_mov_b32_e32 v86, 30
	s_cmp_lt_i32 s18, 32
	s_cbranch_scc1 .LBB76_632
; %bb.630:
	v_add3_u32 v87, v89, 0, 0xf8
	v_mov_b32_e32 v86, 30
	s_mov_b32 s0, 31
.LBB76_631:                             ; =>This Inner Loop Header: Depth=1
	ds_load_b64 v[94:95], v87
	s_wait_dscnt 0x1
	v_cmp_gt_f32_e32 vcc_lo, 0, v84
	v_cndmask_b32_e64 v96, v84, -v84, vcc_lo
	v_cmp_gt_f32_e32 vcc_lo, 0, v85
	v_cndmask_b32_e64 v98, v85, -v85, vcc_lo
	s_wait_dscnt 0x0
	v_cmp_gt_f32_e32 vcc_lo, 0, v94
	v_cndmask_b32_e64 v97, v94, -v94, vcc_lo
	v_cmp_gt_f32_e32 vcc_lo, 0, v95
	v_cndmask_b32_e64 v99, v95, -v95, vcc_lo
	s_delay_alu instid0(VALU_DEP_1) | instskip(NEXT) | instid1(VALU_DEP_1)
	v_pk_add_f32 v[96:97], v[96:97], v[98:99]
	v_cmp_lt_f32_e32 vcc_lo, v96, v97
	v_dual_cndmask_b32 v84, v84, v94 :: v_dual_add_nc_u32 v87, 8, v87
	v_cndmask_b32_e32 v85, v85, v95, vcc_lo
	v_cndmask_b32_e64 v86, v86, s0, vcc_lo
	s_add_co_i32 s0, s0, 1
	s_delay_alu instid0(SALU_CYCLE_1)
	s_cmp_lg_u32 s18, s0
	s_cbranch_scc1 .LBB76_631
.LBB76_632:
	s_wait_dscnt 0x0
	v_cmp_eq_f32_e32 vcc_lo, 0, v84
	v_cmp_eq_f32_e64 s0, 0, v85
	s_and_b32 s0, vcc_lo, s0
	s_delay_alu instid0(SALU_CYCLE_1) | instskip(NEXT) | instid1(SALU_CYCLE_1)
	s_and_saveexec_b32 s1, s0
	s_xor_b32 s0, exec_lo, s1
; %bb.633:
	v_cmp_ne_u32_e32 vcc_lo, 0, v90
	v_cndmask_b32_e32 v90, 31, v90, vcc_lo
; %bb.634:
	s_and_not1_saveexec_b32 s0, s0
	s_cbranch_execz .LBB76_640
; %bb.635:
	v_cmp_ngt_f32_e64 s1, |v84|, |v85|
	s_and_saveexec_b32 s12, s1
	s_delay_alu instid0(SALU_CYCLE_1)
	s_xor_b32 s1, exec_lo, s12
	s_cbranch_execz .LBB76_637
; %bb.636:
	v_div_scale_f32 v87, null, v85, v85, v84
	v_div_scale_f32 v95, vcc_lo, v84, v85, v84
	s_delay_alu instid0(VALU_DEP_2) | instskip(SKIP_1) | instid1(TRANS32_DEP_1)
	v_rcp_f32_e32 v93, v87
	v_nop
	v_fma_f32 v94, -v87, v93, 1.0
	s_delay_alu instid0(VALU_DEP_1) | instskip(NEXT) | instid1(VALU_DEP_1)
	v_fmac_f32_e32 v93, v94, v93
	v_mul_f32_e32 v94, v95, v93
	s_delay_alu instid0(VALU_DEP_1) | instskip(NEXT) | instid1(VALU_DEP_1)
	v_fma_f32 v96, -v87, v94, v95
	v_fmac_f32_e32 v94, v96, v93
	s_delay_alu instid0(VALU_DEP_1) | instskip(NEXT) | instid1(VALU_DEP_1)
	v_fma_f32 v87, -v87, v94, v95
	v_div_fmas_f32 v87, v87, v93, v94
	s_delay_alu instid0(VALU_DEP_1) | instskip(NEXT) | instid1(VALU_DEP_1)
	v_div_fixup_f32 v87, v87, v85, v84
	v_fmac_f32_e32 v85, v84, v87
	s_delay_alu instid0(VALU_DEP_1) | instskip(SKIP_1) | instid1(VALU_DEP_2)
	v_div_scale_f32 v84, null, v85, v85, 1.0
	v_div_scale_f32 v95, vcc_lo, 1.0, v85, 1.0
	v_rcp_f32_e32 v93, v84
	v_nop
	s_delay_alu instid0(TRANS32_DEP_1) | instskip(NEXT) | instid1(VALU_DEP_1)
	v_fma_f32 v94, -v84, v93, 1.0
	v_fmac_f32_e32 v93, v94, v93
	s_delay_alu instid0(VALU_DEP_1) | instskip(NEXT) | instid1(VALU_DEP_1)
	v_mul_f32_e32 v94, v95, v93
	v_fma_f32 v96, -v84, v94, v95
	s_delay_alu instid0(VALU_DEP_1) | instskip(NEXT) | instid1(VALU_DEP_1)
	v_fmac_f32_e32 v94, v96, v93
	v_fma_f32 v84, -v84, v94, v95
	s_delay_alu instid0(VALU_DEP_1) | instskip(NEXT) | instid1(VALU_DEP_1)
	v_div_fmas_f32 v84, v84, v93, v94
	v_div_fixup_f32 v85, v84, v85, 1.0
	s_delay_alu instid0(VALU_DEP_1)
	v_mul_f32_e32 v84, v87, v85
	v_xor_b32_e32 v85, 0x80000000, v85
.LBB76_637:
	s_and_not1_saveexec_b32 s1, s1
	s_cbranch_execz .LBB76_639
; %bb.638:
	s_delay_alu instid0(VALU_DEP_1) | instskip(SKIP_1) | instid1(VALU_DEP_2)
	v_div_scale_f32 v87, null, v84, v84, v85
	v_div_scale_f32 v95, vcc_lo, v85, v84, v85
	v_rcp_f32_e32 v93, v87
	v_nop
	s_delay_alu instid0(TRANS32_DEP_1) | instskip(NEXT) | instid1(VALU_DEP_1)
	v_fma_f32 v94, -v87, v93, 1.0
	v_fmac_f32_e32 v93, v94, v93
	s_delay_alu instid0(VALU_DEP_1) | instskip(NEXT) | instid1(VALU_DEP_1)
	v_mul_f32_e32 v94, v95, v93
	v_fma_f32 v96, -v87, v94, v95
	s_delay_alu instid0(VALU_DEP_1) | instskip(NEXT) | instid1(VALU_DEP_1)
	v_fmac_f32_e32 v94, v96, v93
	v_fma_f32 v87, -v87, v94, v95
	s_delay_alu instid0(VALU_DEP_1) | instskip(NEXT) | instid1(VALU_DEP_1)
	v_div_fmas_f32 v87, v87, v93, v94
	v_div_fixup_f32 v87, v87, v84, v85
	s_delay_alu instid0(VALU_DEP_1) | instskip(NEXT) | instid1(VALU_DEP_1)
	v_fmac_f32_e32 v84, v85, v87
	v_div_scale_f32 v85, null, v84, v84, 1.0
	s_delay_alu instid0(VALU_DEP_1) | instskip(SKIP_1) | instid1(TRANS32_DEP_1)
	v_rcp_f32_e32 v93, v85
	v_nop
	v_fma_f32 v94, -v85, v93, 1.0
	s_delay_alu instid0(VALU_DEP_1) | instskip(SKIP_1) | instid1(VALU_DEP_1)
	v_fmac_f32_e32 v93, v94, v93
	v_div_scale_f32 v94, vcc_lo, 1.0, v84, 1.0
	v_mul_f32_e32 v95, v94, v93
	s_delay_alu instid0(VALU_DEP_1) | instskip(NEXT) | instid1(VALU_DEP_1)
	v_fma_f32 v96, -v85, v95, v94
	v_fmac_f32_e32 v95, v96, v93
	s_delay_alu instid0(VALU_DEP_1) | instskip(NEXT) | instid1(VALU_DEP_1)
	v_fma_f32 v85, -v85, v95, v94
	v_div_fmas_f32 v85, v85, v93, v95
	s_delay_alu instid0(VALU_DEP_1) | instskip(NEXT) | instid1(VALU_DEP_1)
	v_div_fixup_f32 v84, v85, v84, 1.0
	v_mul_f32_e64 v85, v87, -v84
.LBB76_639:
	s_or_b32 exec_lo, exec_lo, s1
.LBB76_640:
	s_delay_alu instid0(SALU_CYCLE_1) | instskip(NEXT) | instid1(SALU_CYCLE_1)
	s_or_b32 exec_lo, exec_lo, s0
	s_mov_b32 s0, exec_lo
	v_cmpx_ne_u32_e64 v92, v86
	s_xor_b32 s0, exec_lo, s0
	s_cbranch_execz .LBB76_646
; %bb.641:
	s_mov_b32 s1, exec_lo
	v_cmpx_eq_u32_e32 30, v92
	s_cbranch_execz .LBB76_645
; %bb.642:
	v_cmp_ne_u32_e32 vcc_lo, 30, v86
	s_xor_b32 s12, s16, -1
	s_delay_alu instid0(SALU_CYCLE_1) | instskip(NEXT) | instid1(SALU_CYCLE_1)
	s_and_b32 s13, s12, vcc_lo
	s_and_saveexec_b32 s12, s13
	s_cbranch_execz .LBB76_644
; %bb.643:
	v_ashrrev_i32_e32 v87, 31, v86
	s_delay_alu instid0(VALU_DEP_1)
	v_lshl_add_u64 v[92:93], v[86:87], 2, v[4:5]
	s_clause 0x1
	global_load_b32 v87, v[92:93], off
	global_load_b32 v91, v[4:5], off offset:120
	s_wait_loadcnt 0x1
	global_store_b32 v[4:5], v87, off offset:120
	s_wait_loadcnt 0x0
	global_store_b32 v[92:93], v91, off
.LBB76_644:
	s_wait_xcnt 0x0
	s_or_b32 exec_lo, exec_lo, s12
	v_dual_mov_b32 v92, v86 :: v_dual_mov_b32 v91, v86
.LBB76_645:
	s_or_b32 exec_lo, exec_lo, s1
.LBB76_646:
	s_and_not1_saveexec_b32 s0, s0
	s_cbranch_execz .LBB76_648
; %bb.647:
	v_mov_b32_e32 v92, 30
	ds_store_2addr_b64 v88, v[6:7], v[44:45] offset0:31 offset1:32
	ds_store_2addr_b64 v88, v[42:43], v[8:9] offset0:33 offset1:34
	;; [unrolled: 1-line block ×4, first 2 shown]
.LBB76_648:
	s_or_b32 exec_lo, exec_lo, s0
	s_delay_alu instid0(SALU_CYCLE_1)
	s_mov_b32 s0, exec_lo
	s_wait_storecnt_dscnt 0x0
	s_barrier_signal -1
	s_barrier_wait -1
	v_cmpx_lt_i32_e32 30, v92
	s_cbranch_execz .LBB76_650
; %bb.649:
	v_pk_mul_f32 v[86:87], v[84:85], v[10:11] op_sel:[1,1] op_sel_hi:[0,1]
	s_delay_alu instid0(VALU_DEP_1)
	v_pk_fma_f32 v[94:95], v[84:85], v[10:11], v[86:87] op_sel_hi:[1,0,1] neg_lo:[0,0,1] neg_hi:[0,0,1]
	v_pk_fma_f32 v[96:97], v[84:85], v[10:11], v[86:87] op_sel_hi:[1,0,1]
	ds_load_2addr_b64 v[84:87], v88 offset0:31 offset1:32
	v_dual_mov_b32 v10, v94 :: v_dual_mov_b32 v11, v97
	s_wait_dscnt 0x0
	v_pk_mul_f32 v[98:99], v[84:85], v[96:97] op_sel:[0,1]
	s_delay_alu instid0(VALU_DEP_1) | instskip(SKIP_1) | instid1(VALU_DEP_1)
	v_pk_fma_f32 v[100:101], v[84:85], v[94:95], v[98:99] op_sel:[0,0,1] op_sel_hi:[1,1,0] neg_lo:[0,0,1] neg_hi:[0,0,1]
	v_pk_fma_f32 v[84:85], v[84:85], v[94:95], v[98:99] op_sel:[0,0,1] op_sel_hi:[1,0,0]
	v_mov_b32_e32 v101, v85
	v_pk_mul_f32 v[84:85], v[86:87], v[96:97] op_sel:[0,1]
	s_delay_alu instid0(VALU_DEP_1) | instskip(SKIP_1) | instid1(VALU_DEP_1)
	v_pk_fma_f32 v[98:99], v[86:87], v[94:95], v[84:85] op_sel:[0,0,1] op_sel_hi:[1,1,0] neg_lo:[0,0,1] neg_hi:[0,0,1]
	v_pk_fma_f32 v[84:85], v[86:87], v[94:95], v[84:85] op_sel:[0,0,1] op_sel_hi:[1,0,0]
	v_mov_b32_e32 v99, v85
	ds_load_2addr_b64 v[84:87], v88 offset0:33 offset1:34
	v_pk_add_f32 v[6:7], v[6:7], v[100:101] neg_lo:[0,1] neg_hi:[0,1]
	v_pk_add_f32 v[44:45], v[44:45], v[98:99] neg_lo:[0,1] neg_hi:[0,1]
	s_wait_dscnt 0x0
	v_pk_mul_f32 v[98:99], v[84:85], v[96:97] op_sel:[0,1]
	s_delay_alu instid0(VALU_DEP_1) | instskip(SKIP_2) | instid1(VALU_DEP_2)
	v_pk_fma_f32 v[100:101], v[84:85], v[94:95], v[98:99] op_sel:[0,0,1] op_sel_hi:[1,1,0] neg_lo:[0,0,1] neg_hi:[0,0,1]
	v_pk_fma_f32 v[84:85], v[84:85], v[94:95], v[98:99] op_sel:[0,0,1] op_sel_hi:[1,0,0]
	v_dual_mul_f32 v98, v87, v97 :: v_dual_mov_b32 v84, v87
	v_dual_mov_b32 v101, v85 :: v_dual_mov_b32 v85, v86
	s_delay_alu instid0(VALU_DEP_2) | instskip(SKIP_1) | instid1(VALU_DEP_3)
	v_pk_fma_f32 v[98:99], v[86:87], v[10:11], v[98:99] op_sel_hi:[1,1,0] neg_lo:[0,0,1] neg_hi:[0,0,1]
	v_mul_f32_e32 v86, v87, v94
	v_pk_add_f32 v[42:43], v[42:43], v[100:101] neg_lo:[0,1] neg_hi:[0,1]
	s_delay_alu instid0(VALU_DEP_2) | instskip(NEXT) | instid1(VALU_DEP_1)
	v_pk_fma_f32 v[84:85], v[84:85], v[10:11], v[86:87] op_sel_hi:[1,1,0]
	v_mov_b32_e32 v99, v85
	ds_load_2addr_b64 v[84:87], v88 offset0:35 offset1:36
	v_pk_add_f32 v[8:9], v[8:9], v[98:99] neg_lo:[0,1] neg_hi:[0,1]
	s_wait_dscnt 0x0
	v_pk_mul_f32 v[98:99], v[84:85], v[96:97] op_sel:[0,1]
	s_delay_alu instid0(VALU_DEP_1) | instskip(SKIP_1) | instid1(VALU_DEP_1)
	v_pk_fma_f32 v[100:101], v[84:85], v[94:95], v[98:99] op_sel:[0,0,1] op_sel_hi:[1,1,0] neg_lo:[0,0,1] neg_hi:[0,0,1]
	v_pk_fma_f32 v[84:85], v[84:85], v[94:95], v[98:99] op_sel:[0,0,1] op_sel_hi:[1,0,0]
	v_mov_b32_e32 v101, v85
	v_pk_mul_f32 v[84:85], v[86:87], v[96:97] op_sel:[0,1]
	s_delay_alu instid0(VALU_DEP_1) | instskip(SKIP_1) | instid1(VALU_DEP_1)
	v_pk_fma_f32 v[98:99], v[86:87], v[94:95], v[84:85] op_sel:[0,0,1] op_sel_hi:[1,1,0] neg_lo:[0,0,1] neg_hi:[0,0,1]
	v_pk_fma_f32 v[84:85], v[86:87], v[94:95], v[84:85] op_sel:[0,0,1] op_sel_hi:[1,0,0]
	v_mov_b32_e32 v99, v85
	ds_load_2addr_b64 v[84:87], v88 offset0:37 offset1:38
	v_pk_add_f32 v[40:41], v[40:41], v[100:101] neg_lo:[0,1] neg_hi:[0,1]
	v_pk_add_f32 v[34:35], v[34:35], v[98:99] neg_lo:[0,1] neg_hi:[0,1]
	s_wait_dscnt 0x0
	v_pk_mul_f32 v[98:99], v[84:85], v[96:97] op_sel:[0,1]
	s_delay_alu instid0(VALU_DEP_1) | instskip(SKIP_1) | instid1(VALU_DEP_1)
	v_pk_fma_f32 v[100:101], v[84:85], v[94:95], v[98:99] op_sel:[0,0,1] op_sel_hi:[1,1,0] neg_lo:[0,0,1] neg_hi:[0,0,1]
	v_pk_fma_f32 v[84:85], v[84:85], v[94:95], v[98:99] op_sel:[0,0,1] op_sel_hi:[1,0,0]
	v_mov_b32_e32 v101, v85
	v_pk_mul_f32 v[84:85], v[86:87], v[96:97] op_sel:[0,1]
	s_delay_alu instid0(VALU_DEP_1) | instskip(SKIP_1) | instid1(VALU_DEP_1)
	v_pk_fma_f32 v[96:97], v[86:87], v[94:95], v[84:85] op_sel:[0,0,1] op_sel_hi:[1,1,0] neg_lo:[0,0,1] neg_hi:[0,0,1]
	v_pk_fma_f32 v[84:85], v[86:87], v[94:95], v[84:85] op_sel:[0,0,1] op_sel_hi:[1,0,0]
	v_mov_b32_e32 v97, v85
	v_pk_add_f32 v[20:21], v[20:21], v[100:101] neg_lo:[0,1] neg_hi:[0,1]
	s_delay_alu instid0(VALU_DEP_2)
	v_pk_add_f32 v[82:83], v[82:83], v[96:97] neg_lo:[0,1] neg_hi:[0,1]
.LBB76_650:
	s_or_b32 exec_lo, exec_lo, s0
	v_lshl_add_u32 v84, v92, 3, v88
	s_barrier_signal -1
	s_barrier_wait -1
	ds_store_b64 v84, v[6:7]
	s_wait_dscnt 0x0
	s_barrier_signal -1
	s_barrier_wait -1
	ds_load_b64 v[84:85], v88 offset:248
	v_mov_b32_e32 v86, 31
	s_cmp_lt_i32 s18, 33
	s_cbranch_scc1 .LBB76_653
; %bb.651:
	v_add3_u32 v87, v89, 0, 0x100
	v_mov_b32_e32 v86, 31
	s_mov_b32 s0, 32
.LBB76_652:                             ; =>This Inner Loop Header: Depth=1
	ds_load_b64 v[94:95], v87
	s_wait_dscnt 0x1
	v_cmp_gt_f32_e32 vcc_lo, 0, v84
	v_cndmask_b32_e64 v96, v84, -v84, vcc_lo
	v_cmp_gt_f32_e32 vcc_lo, 0, v85
	v_cndmask_b32_e64 v98, v85, -v85, vcc_lo
	s_wait_dscnt 0x0
	v_cmp_gt_f32_e32 vcc_lo, 0, v94
	v_cndmask_b32_e64 v97, v94, -v94, vcc_lo
	v_cmp_gt_f32_e32 vcc_lo, 0, v95
	v_cndmask_b32_e64 v99, v95, -v95, vcc_lo
	s_delay_alu instid0(VALU_DEP_1) | instskip(NEXT) | instid1(VALU_DEP_1)
	v_pk_add_f32 v[96:97], v[96:97], v[98:99]
	v_cmp_lt_f32_e32 vcc_lo, v96, v97
	v_dual_cndmask_b32 v84, v84, v94 :: v_dual_add_nc_u32 v87, 8, v87
	v_cndmask_b32_e32 v85, v85, v95, vcc_lo
	v_cndmask_b32_e64 v86, v86, s0, vcc_lo
	s_add_co_i32 s0, s0, 1
	s_delay_alu instid0(SALU_CYCLE_1)
	s_cmp_lg_u32 s18, s0
	s_cbranch_scc1 .LBB76_652
.LBB76_653:
	s_wait_dscnt 0x0
	v_cmp_eq_f32_e32 vcc_lo, 0, v84
	v_cmp_eq_f32_e64 s0, 0, v85
	s_and_b32 s0, vcc_lo, s0
	s_delay_alu instid0(SALU_CYCLE_1) | instskip(NEXT) | instid1(SALU_CYCLE_1)
	s_and_saveexec_b32 s1, s0
	s_xor_b32 s0, exec_lo, s1
; %bb.654:
	v_cmp_ne_u32_e32 vcc_lo, 0, v90
	v_cndmask_b32_e32 v90, 32, v90, vcc_lo
; %bb.655:
	s_and_not1_saveexec_b32 s0, s0
	s_cbranch_execz .LBB76_661
; %bb.656:
	v_cmp_ngt_f32_e64 s1, |v84|, |v85|
	s_and_saveexec_b32 s12, s1
	s_delay_alu instid0(SALU_CYCLE_1)
	s_xor_b32 s1, exec_lo, s12
	s_cbranch_execz .LBB76_658
; %bb.657:
	v_div_scale_f32 v87, null, v85, v85, v84
	v_div_scale_f32 v95, vcc_lo, v84, v85, v84
	s_delay_alu instid0(VALU_DEP_2) | instskip(SKIP_1) | instid1(TRANS32_DEP_1)
	v_rcp_f32_e32 v93, v87
	v_nop
	v_fma_f32 v94, -v87, v93, 1.0
	s_delay_alu instid0(VALU_DEP_1) | instskip(NEXT) | instid1(VALU_DEP_1)
	v_fmac_f32_e32 v93, v94, v93
	v_mul_f32_e32 v94, v95, v93
	s_delay_alu instid0(VALU_DEP_1) | instskip(NEXT) | instid1(VALU_DEP_1)
	v_fma_f32 v96, -v87, v94, v95
	v_fmac_f32_e32 v94, v96, v93
	s_delay_alu instid0(VALU_DEP_1) | instskip(NEXT) | instid1(VALU_DEP_1)
	v_fma_f32 v87, -v87, v94, v95
	v_div_fmas_f32 v87, v87, v93, v94
	s_delay_alu instid0(VALU_DEP_1) | instskip(NEXT) | instid1(VALU_DEP_1)
	v_div_fixup_f32 v87, v87, v85, v84
	v_fmac_f32_e32 v85, v84, v87
	s_delay_alu instid0(VALU_DEP_1) | instskip(SKIP_1) | instid1(VALU_DEP_2)
	v_div_scale_f32 v84, null, v85, v85, 1.0
	v_div_scale_f32 v95, vcc_lo, 1.0, v85, 1.0
	v_rcp_f32_e32 v93, v84
	v_nop
	s_delay_alu instid0(TRANS32_DEP_1) | instskip(NEXT) | instid1(VALU_DEP_1)
	v_fma_f32 v94, -v84, v93, 1.0
	v_fmac_f32_e32 v93, v94, v93
	s_delay_alu instid0(VALU_DEP_1) | instskip(NEXT) | instid1(VALU_DEP_1)
	v_mul_f32_e32 v94, v95, v93
	v_fma_f32 v96, -v84, v94, v95
	s_delay_alu instid0(VALU_DEP_1) | instskip(NEXT) | instid1(VALU_DEP_1)
	v_fmac_f32_e32 v94, v96, v93
	v_fma_f32 v84, -v84, v94, v95
	s_delay_alu instid0(VALU_DEP_1) | instskip(NEXT) | instid1(VALU_DEP_1)
	v_div_fmas_f32 v84, v84, v93, v94
	v_div_fixup_f32 v85, v84, v85, 1.0
	s_delay_alu instid0(VALU_DEP_1)
	v_mul_f32_e32 v84, v87, v85
	v_xor_b32_e32 v85, 0x80000000, v85
.LBB76_658:
	s_and_not1_saveexec_b32 s1, s1
	s_cbranch_execz .LBB76_660
; %bb.659:
	s_delay_alu instid0(VALU_DEP_1) | instskip(SKIP_1) | instid1(VALU_DEP_2)
	v_div_scale_f32 v87, null, v84, v84, v85
	v_div_scale_f32 v95, vcc_lo, v85, v84, v85
	v_rcp_f32_e32 v93, v87
	v_nop
	s_delay_alu instid0(TRANS32_DEP_1) | instskip(NEXT) | instid1(VALU_DEP_1)
	v_fma_f32 v94, -v87, v93, 1.0
	v_fmac_f32_e32 v93, v94, v93
	s_delay_alu instid0(VALU_DEP_1) | instskip(NEXT) | instid1(VALU_DEP_1)
	v_mul_f32_e32 v94, v95, v93
	v_fma_f32 v96, -v87, v94, v95
	s_delay_alu instid0(VALU_DEP_1) | instskip(NEXT) | instid1(VALU_DEP_1)
	v_fmac_f32_e32 v94, v96, v93
	v_fma_f32 v87, -v87, v94, v95
	s_delay_alu instid0(VALU_DEP_1) | instskip(NEXT) | instid1(VALU_DEP_1)
	v_div_fmas_f32 v87, v87, v93, v94
	v_div_fixup_f32 v87, v87, v84, v85
	s_delay_alu instid0(VALU_DEP_1) | instskip(NEXT) | instid1(VALU_DEP_1)
	v_fmac_f32_e32 v84, v85, v87
	v_div_scale_f32 v85, null, v84, v84, 1.0
	s_delay_alu instid0(VALU_DEP_1) | instskip(SKIP_1) | instid1(TRANS32_DEP_1)
	v_rcp_f32_e32 v93, v85
	v_nop
	v_fma_f32 v94, -v85, v93, 1.0
	s_delay_alu instid0(VALU_DEP_1) | instskip(SKIP_1) | instid1(VALU_DEP_1)
	v_fmac_f32_e32 v93, v94, v93
	v_div_scale_f32 v94, vcc_lo, 1.0, v84, 1.0
	v_mul_f32_e32 v95, v94, v93
	s_delay_alu instid0(VALU_DEP_1) | instskip(NEXT) | instid1(VALU_DEP_1)
	v_fma_f32 v96, -v85, v95, v94
	v_fmac_f32_e32 v95, v96, v93
	s_delay_alu instid0(VALU_DEP_1) | instskip(NEXT) | instid1(VALU_DEP_1)
	v_fma_f32 v85, -v85, v95, v94
	v_div_fmas_f32 v85, v85, v93, v95
	s_delay_alu instid0(VALU_DEP_1) | instskip(NEXT) | instid1(VALU_DEP_1)
	v_div_fixup_f32 v84, v85, v84, 1.0
	v_mul_f32_e64 v85, v87, -v84
.LBB76_660:
	s_or_b32 exec_lo, exec_lo, s1
.LBB76_661:
	s_delay_alu instid0(SALU_CYCLE_1) | instskip(NEXT) | instid1(SALU_CYCLE_1)
	s_or_b32 exec_lo, exec_lo, s0
	s_mov_b32 s0, exec_lo
	v_cmpx_ne_u32_e64 v92, v86
	s_xor_b32 s0, exec_lo, s0
	s_cbranch_execz .LBB76_667
; %bb.662:
	s_mov_b32 s1, exec_lo
	v_cmpx_eq_u32_e32 31, v92
	s_cbranch_execz .LBB76_666
; %bb.663:
	v_cmp_ne_u32_e32 vcc_lo, 31, v86
	s_xor_b32 s12, s16, -1
	s_delay_alu instid0(SALU_CYCLE_1) | instskip(NEXT) | instid1(SALU_CYCLE_1)
	s_and_b32 s13, s12, vcc_lo
	s_and_saveexec_b32 s12, s13
	s_cbranch_execz .LBB76_665
; %bb.664:
	v_ashrrev_i32_e32 v87, 31, v86
	s_delay_alu instid0(VALU_DEP_1)
	v_lshl_add_u64 v[92:93], v[86:87], 2, v[4:5]
	s_clause 0x1
	global_load_b32 v87, v[92:93], off
	global_load_b32 v91, v[4:5], off offset:124
	s_wait_loadcnt 0x1
	global_store_b32 v[4:5], v87, off offset:124
	s_wait_loadcnt 0x0
	global_store_b32 v[92:93], v91, off
.LBB76_665:
	s_wait_xcnt 0x0
	s_or_b32 exec_lo, exec_lo, s12
	v_dual_mov_b32 v92, v86 :: v_dual_mov_b32 v91, v86
.LBB76_666:
	s_or_b32 exec_lo, exec_lo, s1
.LBB76_667:
	s_and_not1_saveexec_b32 s0, s0
	s_cbranch_execz .LBB76_669
; %bb.668:
	v_dual_mov_b32 v86, v44 :: v_dual_mov_b32 v87, v45
	v_dual_mov_b32 v94, v42 :: v_dual_mov_b32 v95, v43
	v_dual_mov_b32 v92, 31 :: v_dual_mov_b32 v96, v8
	v_dual_mov_b32 v97, v9 :: v_dual_mov_b32 v98, v40
	v_dual_mov_b32 v99, v41 :: v_dual_mov_b32 v100, v34
	v_dual_mov_b32 v101, v35 :: v_dual_mov_b32 v102, v20
	v_mov_b32_e32 v103, v21
	ds_store_2addr_b64 v88, v[86:87], v[94:95] offset0:32 offset1:33
	ds_store_2addr_b64 v88, v[96:97], v[98:99] offset0:34 offset1:35
	;; [unrolled: 1-line block ×3, first 2 shown]
	ds_store_b64 v88, v[82:83] offset:304
.LBB76_669:
	s_or_b32 exec_lo, exec_lo, s0
	s_delay_alu instid0(SALU_CYCLE_1)
	s_mov_b32 s0, exec_lo
	s_wait_storecnt_dscnt 0x0
	s_barrier_signal -1
	s_barrier_wait -1
	v_cmpx_lt_i32_e32 31, v92
	s_cbranch_execz .LBB76_671
; %bb.670:
	v_pk_mul_f32 v[86:87], v[84:85], v[6:7] op_sel:[1,1] op_sel_hi:[0,1]
	s_delay_alu instid0(VALU_DEP_1)
	v_pk_fma_f32 v[94:95], v[84:85], v[6:7], v[86:87] op_sel_hi:[1,0,1] neg_lo:[0,0,1] neg_hi:[0,0,1]
	v_pk_fma_f32 v[96:97], v[84:85], v[6:7], v[86:87] op_sel_hi:[1,0,1]
	ds_load_2addr_b64 v[84:87], v88 offset0:32 offset1:33
	v_dual_mov_b32 v6, v94 :: v_dual_mov_b32 v7, v97
	s_wait_dscnt 0x0
	v_pk_mul_f32 v[98:99], v[84:85], v[96:97] op_sel:[0,1]
	s_delay_alu instid0(VALU_DEP_1) | instskip(SKIP_1) | instid1(VALU_DEP_1)
	v_pk_fma_f32 v[100:101], v[84:85], v[94:95], v[98:99] op_sel:[0,0,1] op_sel_hi:[1,1,0] neg_lo:[0,0,1] neg_hi:[0,0,1]
	v_pk_fma_f32 v[84:85], v[84:85], v[94:95], v[98:99] op_sel:[0,0,1] op_sel_hi:[1,0,0]
	v_mov_b32_e32 v101, v85
	v_pk_mul_f32 v[84:85], v[86:87], v[96:97] op_sel:[0,1]
	s_delay_alu instid0(VALU_DEP_1) | instskip(SKIP_1) | instid1(VALU_DEP_1)
	v_pk_fma_f32 v[98:99], v[86:87], v[94:95], v[84:85] op_sel:[0,0,1] op_sel_hi:[1,1,0] neg_lo:[0,0,1] neg_hi:[0,0,1]
	v_pk_fma_f32 v[84:85], v[86:87], v[94:95], v[84:85] op_sel:[0,0,1] op_sel_hi:[1,0,0]
	v_mov_b32_e32 v99, v85
	ds_load_2addr_b64 v[84:87], v88 offset0:34 offset1:35
	v_pk_add_f32 v[44:45], v[44:45], v[100:101] neg_lo:[0,1] neg_hi:[0,1]
	v_pk_add_f32 v[42:43], v[42:43], v[98:99] neg_lo:[0,1] neg_hi:[0,1]
	s_wait_dscnt 0x0
	v_pk_mul_f32 v[98:99], v[84:85], v[96:97] op_sel:[0,1]
	s_delay_alu instid0(VALU_DEP_1) | instskip(SKIP_2) | instid1(VALU_DEP_2)
	v_pk_fma_f32 v[100:101], v[84:85], v[94:95], v[98:99] op_sel:[0,0,1] op_sel_hi:[1,1,0] neg_lo:[0,0,1] neg_hi:[0,0,1]
	v_pk_fma_f32 v[84:85], v[84:85], v[94:95], v[98:99] op_sel:[0,0,1] op_sel_hi:[1,0,0]
	v_dual_mul_f32 v98, v87, v97 :: v_dual_mov_b32 v84, v87
	v_dual_mov_b32 v101, v85 :: v_dual_mov_b32 v85, v86
	s_delay_alu instid0(VALU_DEP_2) | instskip(SKIP_1) | instid1(VALU_DEP_3)
	v_pk_fma_f32 v[98:99], v[86:87], v[6:7], v[98:99] op_sel_hi:[1,1,0] neg_lo:[0,0,1] neg_hi:[0,0,1]
	v_mul_f32_e32 v86, v87, v94
	v_pk_add_f32 v[8:9], v[8:9], v[100:101] neg_lo:[0,1] neg_hi:[0,1]
	s_delay_alu instid0(VALU_DEP_2) | instskip(NEXT) | instid1(VALU_DEP_1)
	v_pk_fma_f32 v[84:85], v[84:85], v[6:7], v[86:87] op_sel_hi:[1,1,0]
	v_mov_b32_e32 v99, v85
	ds_load_2addr_b64 v[84:87], v88 offset0:36 offset1:37
	v_pk_add_f32 v[40:41], v[40:41], v[98:99] neg_lo:[0,1] neg_hi:[0,1]
	s_wait_dscnt 0x0
	v_pk_mul_f32 v[98:99], v[84:85], v[96:97] op_sel:[0,1]
	s_delay_alu instid0(VALU_DEP_1) | instskip(SKIP_1) | instid1(VALU_DEP_1)
	v_pk_fma_f32 v[100:101], v[84:85], v[94:95], v[98:99] op_sel:[0,0,1] op_sel_hi:[1,1,0] neg_lo:[0,0,1] neg_hi:[0,0,1]
	v_pk_fma_f32 v[84:85], v[84:85], v[94:95], v[98:99] op_sel:[0,0,1] op_sel_hi:[1,0,0]
	v_mov_b32_e32 v101, v85
	v_pk_mul_f32 v[84:85], v[86:87], v[96:97] op_sel:[0,1]
	s_delay_alu instid0(VALU_DEP_1) | instskip(SKIP_1) | instid1(VALU_DEP_1)
	v_pk_fma_f32 v[98:99], v[86:87], v[94:95], v[84:85] op_sel:[0,0,1] op_sel_hi:[1,1,0] neg_lo:[0,0,1] neg_hi:[0,0,1]
	v_pk_fma_f32 v[84:85], v[86:87], v[94:95], v[84:85] op_sel:[0,0,1] op_sel_hi:[1,0,0]
	v_mov_b32_e32 v99, v85
	ds_load_b64 v[84:85], v88 offset:304
	v_pk_add_f32 v[34:35], v[34:35], v[100:101] neg_lo:[0,1] neg_hi:[0,1]
	v_pk_add_f32 v[20:21], v[20:21], v[98:99] neg_lo:[0,1] neg_hi:[0,1]
	s_wait_dscnt 0x0
	v_pk_mul_f32 v[86:87], v[84:85], v[96:97] op_sel:[0,1]
	s_delay_alu instid0(VALU_DEP_1) | instskip(SKIP_1) | instid1(VALU_DEP_1)
	v_pk_fma_f32 v[96:97], v[84:85], v[94:95], v[86:87] op_sel:[0,0,1] op_sel_hi:[1,1,0] neg_lo:[0,0,1] neg_hi:[0,0,1]
	v_pk_fma_f32 v[84:85], v[84:85], v[94:95], v[86:87] op_sel:[0,0,1] op_sel_hi:[1,0,0]
	v_mov_b32_e32 v97, v85
	s_delay_alu instid0(VALU_DEP_1)
	v_pk_add_f32 v[82:83], v[82:83], v[96:97] neg_lo:[0,1] neg_hi:[0,1]
.LBB76_671:
	s_or_b32 exec_lo, exec_lo, s0
	v_lshl_add_u32 v84, v92, 3, v88
	s_barrier_signal -1
	s_barrier_wait -1
	ds_store_b64 v84, v[44:45]
	s_wait_dscnt 0x0
	s_barrier_signal -1
	s_barrier_wait -1
	ds_load_b64 v[84:85], v88 offset:256
	v_mov_b32_e32 v86, 32
	s_cmp_lt_i32 s18, 34
	s_cbranch_scc1 .LBB76_674
; %bb.672:
	v_add3_u32 v87, v89, 0, 0x108
	v_mov_b32_e32 v86, 32
	s_mov_b32 s0, 33
.LBB76_673:                             ; =>This Inner Loop Header: Depth=1
	ds_load_b64 v[94:95], v87
	s_wait_dscnt 0x1
	v_cmp_gt_f32_e32 vcc_lo, 0, v84
	v_cndmask_b32_e64 v96, v84, -v84, vcc_lo
	v_cmp_gt_f32_e32 vcc_lo, 0, v85
	v_cndmask_b32_e64 v98, v85, -v85, vcc_lo
	s_wait_dscnt 0x0
	v_cmp_gt_f32_e32 vcc_lo, 0, v94
	v_cndmask_b32_e64 v97, v94, -v94, vcc_lo
	v_cmp_gt_f32_e32 vcc_lo, 0, v95
	v_cndmask_b32_e64 v99, v95, -v95, vcc_lo
	s_delay_alu instid0(VALU_DEP_1) | instskip(NEXT) | instid1(VALU_DEP_1)
	v_pk_add_f32 v[96:97], v[96:97], v[98:99]
	v_cmp_lt_f32_e32 vcc_lo, v96, v97
	v_dual_cndmask_b32 v84, v84, v94 :: v_dual_add_nc_u32 v87, 8, v87
	v_cndmask_b32_e32 v85, v85, v95, vcc_lo
	v_cndmask_b32_e64 v86, v86, s0, vcc_lo
	s_add_co_i32 s0, s0, 1
	s_delay_alu instid0(SALU_CYCLE_1)
	s_cmp_lg_u32 s18, s0
	s_cbranch_scc1 .LBB76_673
.LBB76_674:
	s_wait_dscnt 0x0
	v_cmp_eq_f32_e32 vcc_lo, 0, v84
	v_cmp_eq_f32_e64 s0, 0, v85
	s_and_b32 s0, vcc_lo, s0
	s_delay_alu instid0(SALU_CYCLE_1) | instskip(NEXT) | instid1(SALU_CYCLE_1)
	s_and_saveexec_b32 s1, s0
	s_xor_b32 s0, exec_lo, s1
; %bb.675:
	v_cmp_ne_u32_e32 vcc_lo, 0, v90
	v_cndmask_b32_e32 v90, 33, v90, vcc_lo
; %bb.676:
	s_and_not1_saveexec_b32 s0, s0
	s_cbranch_execz .LBB76_682
; %bb.677:
	v_cmp_ngt_f32_e64 s1, |v84|, |v85|
	s_and_saveexec_b32 s12, s1
	s_delay_alu instid0(SALU_CYCLE_1)
	s_xor_b32 s1, exec_lo, s12
	s_cbranch_execz .LBB76_679
; %bb.678:
	v_div_scale_f32 v87, null, v85, v85, v84
	v_div_scale_f32 v95, vcc_lo, v84, v85, v84
	s_delay_alu instid0(VALU_DEP_2) | instskip(SKIP_1) | instid1(TRANS32_DEP_1)
	v_rcp_f32_e32 v93, v87
	v_nop
	v_fma_f32 v94, -v87, v93, 1.0
	s_delay_alu instid0(VALU_DEP_1) | instskip(NEXT) | instid1(VALU_DEP_1)
	v_fmac_f32_e32 v93, v94, v93
	v_mul_f32_e32 v94, v95, v93
	s_delay_alu instid0(VALU_DEP_1) | instskip(NEXT) | instid1(VALU_DEP_1)
	v_fma_f32 v96, -v87, v94, v95
	v_fmac_f32_e32 v94, v96, v93
	s_delay_alu instid0(VALU_DEP_1) | instskip(NEXT) | instid1(VALU_DEP_1)
	v_fma_f32 v87, -v87, v94, v95
	v_div_fmas_f32 v87, v87, v93, v94
	s_delay_alu instid0(VALU_DEP_1) | instskip(NEXT) | instid1(VALU_DEP_1)
	v_div_fixup_f32 v87, v87, v85, v84
	v_fmac_f32_e32 v85, v84, v87
	s_delay_alu instid0(VALU_DEP_1) | instskip(SKIP_1) | instid1(VALU_DEP_2)
	v_div_scale_f32 v84, null, v85, v85, 1.0
	v_div_scale_f32 v95, vcc_lo, 1.0, v85, 1.0
	v_rcp_f32_e32 v93, v84
	v_nop
	s_delay_alu instid0(TRANS32_DEP_1) | instskip(NEXT) | instid1(VALU_DEP_1)
	v_fma_f32 v94, -v84, v93, 1.0
	v_fmac_f32_e32 v93, v94, v93
	s_delay_alu instid0(VALU_DEP_1) | instskip(NEXT) | instid1(VALU_DEP_1)
	v_mul_f32_e32 v94, v95, v93
	v_fma_f32 v96, -v84, v94, v95
	s_delay_alu instid0(VALU_DEP_1) | instskip(NEXT) | instid1(VALU_DEP_1)
	v_fmac_f32_e32 v94, v96, v93
	v_fma_f32 v84, -v84, v94, v95
	s_delay_alu instid0(VALU_DEP_1) | instskip(NEXT) | instid1(VALU_DEP_1)
	v_div_fmas_f32 v84, v84, v93, v94
	v_div_fixup_f32 v85, v84, v85, 1.0
	s_delay_alu instid0(VALU_DEP_1)
	v_mul_f32_e32 v84, v87, v85
	v_xor_b32_e32 v85, 0x80000000, v85
.LBB76_679:
	s_and_not1_saveexec_b32 s1, s1
	s_cbranch_execz .LBB76_681
; %bb.680:
	s_delay_alu instid0(VALU_DEP_1) | instskip(SKIP_1) | instid1(VALU_DEP_2)
	v_div_scale_f32 v87, null, v84, v84, v85
	v_div_scale_f32 v95, vcc_lo, v85, v84, v85
	v_rcp_f32_e32 v93, v87
	v_nop
	s_delay_alu instid0(TRANS32_DEP_1) | instskip(NEXT) | instid1(VALU_DEP_1)
	v_fma_f32 v94, -v87, v93, 1.0
	v_fmac_f32_e32 v93, v94, v93
	s_delay_alu instid0(VALU_DEP_1) | instskip(NEXT) | instid1(VALU_DEP_1)
	v_mul_f32_e32 v94, v95, v93
	v_fma_f32 v96, -v87, v94, v95
	s_delay_alu instid0(VALU_DEP_1) | instskip(NEXT) | instid1(VALU_DEP_1)
	v_fmac_f32_e32 v94, v96, v93
	v_fma_f32 v87, -v87, v94, v95
	s_delay_alu instid0(VALU_DEP_1) | instskip(NEXT) | instid1(VALU_DEP_1)
	v_div_fmas_f32 v87, v87, v93, v94
	v_div_fixup_f32 v87, v87, v84, v85
	s_delay_alu instid0(VALU_DEP_1) | instskip(NEXT) | instid1(VALU_DEP_1)
	v_fmac_f32_e32 v84, v85, v87
	v_div_scale_f32 v85, null, v84, v84, 1.0
	s_delay_alu instid0(VALU_DEP_1) | instskip(SKIP_1) | instid1(TRANS32_DEP_1)
	v_rcp_f32_e32 v93, v85
	v_nop
	v_fma_f32 v94, -v85, v93, 1.0
	s_delay_alu instid0(VALU_DEP_1) | instskip(SKIP_1) | instid1(VALU_DEP_1)
	v_fmac_f32_e32 v93, v94, v93
	v_div_scale_f32 v94, vcc_lo, 1.0, v84, 1.0
	v_mul_f32_e32 v95, v94, v93
	s_delay_alu instid0(VALU_DEP_1) | instskip(NEXT) | instid1(VALU_DEP_1)
	v_fma_f32 v96, -v85, v95, v94
	v_fmac_f32_e32 v95, v96, v93
	s_delay_alu instid0(VALU_DEP_1) | instskip(NEXT) | instid1(VALU_DEP_1)
	v_fma_f32 v85, -v85, v95, v94
	v_div_fmas_f32 v85, v85, v93, v95
	s_delay_alu instid0(VALU_DEP_1) | instskip(NEXT) | instid1(VALU_DEP_1)
	v_div_fixup_f32 v84, v85, v84, 1.0
	v_mul_f32_e64 v85, v87, -v84
.LBB76_681:
	s_or_b32 exec_lo, exec_lo, s1
.LBB76_682:
	s_delay_alu instid0(SALU_CYCLE_1) | instskip(NEXT) | instid1(SALU_CYCLE_1)
	s_or_b32 exec_lo, exec_lo, s0
	s_mov_b32 s0, exec_lo
	v_cmpx_ne_u32_e64 v92, v86
	s_xor_b32 s0, exec_lo, s0
	s_cbranch_execz .LBB76_688
; %bb.683:
	s_mov_b32 s1, exec_lo
	v_cmpx_eq_u32_e32 32, v92
	s_cbranch_execz .LBB76_687
; %bb.684:
	v_cmp_ne_u32_e32 vcc_lo, 32, v86
	s_xor_b32 s12, s16, -1
	s_delay_alu instid0(SALU_CYCLE_1) | instskip(NEXT) | instid1(SALU_CYCLE_1)
	s_and_b32 s13, s12, vcc_lo
	s_and_saveexec_b32 s12, s13
	s_cbranch_execz .LBB76_686
; %bb.685:
	v_ashrrev_i32_e32 v87, 31, v86
	s_delay_alu instid0(VALU_DEP_1)
	v_lshl_add_u64 v[92:93], v[86:87], 2, v[4:5]
	s_clause 0x1
	global_load_b32 v87, v[92:93], off
	global_load_b32 v91, v[4:5], off offset:128
	s_wait_loadcnt 0x1
	global_store_b32 v[4:5], v87, off offset:128
	s_wait_loadcnt 0x0
	global_store_b32 v[92:93], v91, off
.LBB76_686:
	s_wait_xcnt 0x0
	s_or_b32 exec_lo, exec_lo, s12
	v_dual_mov_b32 v92, v86 :: v_dual_mov_b32 v91, v86
.LBB76_687:
	s_or_b32 exec_lo, exec_lo, s1
.LBB76_688:
	s_and_not1_saveexec_b32 s0, s0
	s_cbranch_execz .LBB76_690
; %bb.689:
	v_mov_b32_e32 v92, 32
	ds_store_2addr_b64 v88, v[42:43], v[8:9] offset0:33 offset1:34
	ds_store_2addr_b64 v88, v[40:41], v[34:35] offset0:35 offset1:36
	;; [unrolled: 1-line block ×3, first 2 shown]
.LBB76_690:
	s_or_b32 exec_lo, exec_lo, s0
	s_delay_alu instid0(SALU_CYCLE_1)
	s_mov_b32 s0, exec_lo
	s_wait_storecnt_dscnt 0x0
	s_barrier_signal -1
	s_barrier_wait -1
	v_cmpx_lt_i32_e32 32, v92
	s_cbranch_execz .LBB76_692
; %bb.691:
	v_pk_mul_f32 v[86:87], v[84:85], v[44:45] op_sel:[1,1] op_sel_hi:[0,1]
	s_delay_alu instid0(VALU_DEP_1)
	v_pk_fma_f32 v[94:95], v[84:85], v[44:45], v[86:87] op_sel_hi:[1,0,1] neg_lo:[0,0,1] neg_hi:[0,0,1]
	v_pk_fma_f32 v[96:97], v[84:85], v[44:45], v[86:87] op_sel_hi:[1,0,1]
	ds_load_2addr_b64 v[84:87], v88 offset0:33 offset1:34
	v_dual_mov_b32 v44, v94 :: v_dual_mov_b32 v45, v97
	s_wait_dscnt 0x0
	v_pk_mul_f32 v[98:99], v[84:85], v[96:97] op_sel:[0,1]
	s_delay_alu instid0(VALU_DEP_1) | instskip(SKIP_1) | instid1(VALU_DEP_1)
	v_pk_fma_f32 v[100:101], v[84:85], v[94:95], v[98:99] op_sel:[0,0,1] op_sel_hi:[1,1,0] neg_lo:[0,0,1] neg_hi:[0,0,1]
	v_pk_fma_f32 v[84:85], v[84:85], v[94:95], v[98:99] op_sel:[0,0,1] op_sel_hi:[1,0,0]
	v_mov_b32_e32 v101, v85
	v_pk_mul_f32 v[84:85], v[86:87], v[96:97] op_sel:[0,1]
	s_delay_alu instid0(VALU_DEP_1) | instskip(SKIP_1) | instid1(VALU_DEP_1)
	v_pk_fma_f32 v[98:99], v[86:87], v[94:95], v[84:85] op_sel:[0,0,1] op_sel_hi:[1,1,0] neg_lo:[0,0,1] neg_hi:[0,0,1]
	v_pk_fma_f32 v[84:85], v[86:87], v[94:95], v[84:85] op_sel:[0,0,1] op_sel_hi:[1,0,0]
	v_mov_b32_e32 v99, v85
	ds_load_2addr_b64 v[84:87], v88 offset0:35 offset1:36
	v_pk_add_f32 v[42:43], v[42:43], v[100:101] neg_lo:[0,1] neg_hi:[0,1]
	v_pk_add_f32 v[8:9], v[8:9], v[98:99] neg_lo:[0,1] neg_hi:[0,1]
	s_wait_dscnt 0x0
	v_pk_mul_f32 v[98:99], v[84:85], v[96:97] op_sel:[0,1]
	s_delay_alu instid0(VALU_DEP_1) | instskip(SKIP_2) | instid1(VALU_DEP_2)
	v_pk_fma_f32 v[100:101], v[84:85], v[94:95], v[98:99] op_sel:[0,0,1] op_sel_hi:[1,1,0] neg_lo:[0,0,1] neg_hi:[0,0,1]
	v_pk_fma_f32 v[84:85], v[84:85], v[94:95], v[98:99] op_sel:[0,0,1] op_sel_hi:[1,0,0]
	v_dual_mul_f32 v98, v87, v97 :: v_dual_mov_b32 v84, v87
	v_dual_mov_b32 v101, v85 :: v_dual_mov_b32 v85, v86
	s_delay_alu instid0(VALU_DEP_2) | instskip(SKIP_1) | instid1(VALU_DEP_3)
	v_pk_fma_f32 v[98:99], v[86:87], v[44:45], v[98:99] op_sel_hi:[1,1,0] neg_lo:[0,0,1] neg_hi:[0,0,1]
	v_mul_f32_e32 v86, v87, v94
	v_pk_add_f32 v[40:41], v[40:41], v[100:101] neg_lo:[0,1] neg_hi:[0,1]
	s_delay_alu instid0(VALU_DEP_2) | instskip(NEXT) | instid1(VALU_DEP_1)
	v_pk_fma_f32 v[84:85], v[84:85], v[44:45], v[86:87] op_sel_hi:[1,1,0]
	v_mov_b32_e32 v99, v85
	ds_load_2addr_b64 v[84:87], v88 offset0:37 offset1:38
	v_pk_add_f32 v[34:35], v[34:35], v[98:99] neg_lo:[0,1] neg_hi:[0,1]
	s_wait_dscnt 0x0
	v_pk_mul_f32 v[98:99], v[84:85], v[96:97] op_sel:[0,1]
	v_mul_f32_e32 v96, v87, v97
	s_delay_alu instid0(VALU_DEP_2) | instskip(SKIP_2) | instid1(VALU_DEP_4)
	v_pk_fma_f32 v[100:101], v[84:85], v[94:95], v[98:99] op_sel:[0,0,1] op_sel_hi:[1,1,0] neg_lo:[0,0,1] neg_hi:[0,0,1]
	v_pk_fma_f32 v[84:85], v[84:85], v[94:95], v[98:99] op_sel:[0,0,1] op_sel_hi:[1,0,0]
	v_mov_b32_e32 v84, v87
	v_pk_fma_f32 v[96:97], v[86:87], v[44:45], v[96:97] op_sel_hi:[1,1,0] neg_lo:[0,0,1] neg_hi:[0,0,1]
	s_delay_alu instid0(VALU_DEP_3) | instskip(SKIP_1) | instid1(VALU_DEP_2)
	v_dual_mov_b32 v101, v85 :: v_dual_mov_b32 v85, v86
	v_mul_f32_e32 v86, v87, v94
	v_pk_add_f32 v[20:21], v[20:21], v[100:101] neg_lo:[0,1] neg_hi:[0,1]
	s_delay_alu instid0(VALU_DEP_2) | instskip(NEXT) | instid1(VALU_DEP_1)
	v_pk_fma_f32 v[84:85], v[84:85], v[44:45], v[86:87] op_sel_hi:[1,1,0]
	v_mov_b32_e32 v97, v85
	s_delay_alu instid0(VALU_DEP_1)
	v_pk_add_f32 v[82:83], v[82:83], v[96:97] neg_lo:[0,1] neg_hi:[0,1]
.LBB76_692:
	s_or_b32 exec_lo, exec_lo, s0
	v_lshl_add_u32 v84, v92, 3, v88
	s_barrier_signal -1
	s_barrier_wait -1
	ds_store_b64 v84, v[42:43]
	s_wait_dscnt 0x0
	s_barrier_signal -1
	s_barrier_wait -1
	ds_load_b64 v[84:85], v88 offset:264
	v_mov_b32_e32 v86, 33
	s_cmp_lt_i32 s18, 35
	s_cbranch_scc1 .LBB76_695
; %bb.693:
	v_add3_u32 v87, v89, 0, 0x110
	v_mov_b32_e32 v86, 33
	s_mov_b32 s0, 34
.LBB76_694:                             ; =>This Inner Loop Header: Depth=1
	ds_load_b64 v[94:95], v87
	s_wait_dscnt 0x1
	v_cmp_gt_f32_e32 vcc_lo, 0, v84
	v_cndmask_b32_e64 v96, v84, -v84, vcc_lo
	v_cmp_gt_f32_e32 vcc_lo, 0, v85
	v_cndmask_b32_e64 v98, v85, -v85, vcc_lo
	s_wait_dscnt 0x0
	v_cmp_gt_f32_e32 vcc_lo, 0, v94
	v_cndmask_b32_e64 v97, v94, -v94, vcc_lo
	v_cmp_gt_f32_e32 vcc_lo, 0, v95
	v_cndmask_b32_e64 v99, v95, -v95, vcc_lo
	s_delay_alu instid0(VALU_DEP_1) | instskip(NEXT) | instid1(VALU_DEP_1)
	v_pk_add_f32 v[96:97], v[96:97], v[98:99]
	v_cmp_lt_f32_e32 vcc_lo, v96, v97
	v_dual_cndmask_b32 v84, v84, v94 :: v_dual_add_nc_u32 v87, 8, v87
	v_cndmask_b32_e32 v85, v85, v95, vcc_lo
	v_cndmask_b32_e64 v86, v86, s0, vcc_lo
	s_add_co_i32 s0, s0, 1
	s_delay_alu instid0(SALU_CYCLE_1)
	s_cmp_lg_u32 s18, s0
	s_cbranch_scc1 .LBB76_694
.LBB76_695:
	s_wait_dscnt 0x0
	v_cmp_eq_f32_e32 vcc_lo, 0, v84
	v_cmp_eq_f32_e64 s0, 0, v85
	s_and_b32 s0, vcc_lo, s0
	s_delay_alu instid0(SALU_CYCLE_1) | instskip(NEXT) | instid1(SALU_CYCLE_1)
	s_and_saveexec_b32 s1, s0
	s_xor_b32 s0, exec_lo, s1
; %bb.696:
	v_cmp_ne_u32_e32 vcc_lo, 0, v90
	v_cndmask_b32_e32 v90, 34, v90, vcc_lo
; %bb.697:
	s_and_not1_saveexec_b32 s0, s0
	s_cbranch_execz .LBB76_703
; %bb.698:
	v_cmp_ngt_f32_e64 s1, |v84|, |v85|
	s_and_saveexec_b32 s12, s1
	s_delay_alu instid0(SALU_CYCLE_1)
	s_xor_b32 s1, exec_lo, s12
	s_cbranch_execz .LBB76_700
; %bb.699:
	v_div_scale_f32 v87, null, v85, v85, v84
	v_div_scale_f32 v95, vcc_lo, v84, v85, v84
	s_delay_alu instid0(VALU_DEP_2) | instskip(SKIP_1) | instid1(TRANS32_DEP_1)
	v_rcp_f32_e32 v93, v87
	v_nop
	v_fma_f32 v94, -v87, v93, 1.0
	s_delay_alu instid0(VALU_DEP_1) | instskip(NEXT) | instid1(VALU_DEP_1)
	v_fmac_f32_e32 v93, v94, v93
	v_mul_f32_e32 v94, v95, v93
	s_delay_alu instid0(VALU_DEP_1) | instskip(NEXT) | instid1(VALU_DEP_1)
	v_fma_f32 v96, -v87, v94, v95
	v_fmac_f32_e32 v94, v96, v93
	s_delay_alu instid0(VALU_DEP_1) | instskip(NEXT) | instid1(VALU_DEP_1)
	v_fma_f32 v87, -v87, v94, v95
	v_div_fmas_f32 v87, v87, v93, v94
	s_delay_alu instid0(VALU_DEP_1) | instskip(NEXT) | instid1(VALU_DEP_1)
	v_div_fixup_f32 v87, v87, v85, v84
	v_fmac_f32_e32 v85, v84, v87
	s_delay_alu instid0(VALU_DEP_1) | instskip(SKIP_1) | instid1(VALU_DEP_2)
	v_div_scale_f32 v84, null, v85, v85, 1.0
	v_div_scale_f32 v95, vcc_lo, 1.0, v85, 1.0
	v_rcp_f32_e32 v93, v84
	v_nop
	s_delay_alu instid0(TRANS32_DEP_1) | instskip(NEXT) | instid1(VALU_DEP_1)
	v_fma_f32 v94, -v84, v93, 1.0
	v_fmac_f32_e32 v93, v94, v93
	s_delay_alu instid0(VALU_DEP_1) | instskip(NEXT) | instid1(VALU_DEP_1)
	v_mul_f32_e32 v94, v95, v93
	v_fma_f32 v96, -v84, v94, v95
	s_delay_alu instid0(VALU_DEP_1) | instskip(NEXT) | instid1(VALU_DEP_1)
	v_fmac_f32_e32 v94, v96, v93
	v_fma_f32 v84, -v84, v94, v95
	s_delay_alu instid0(VALU_DEP_1) | instskip(NEXT) | instid1(VALU_DEP_1)
	v_div_fmas_f32 v84, v84, v93, v94
	v_div_fixup_f32 v85, v84, v85, 1.0
	s_delay_alu instid0(VALU_DEP_1)
	v_mul_f32_e32 v84, v87, v85
	v_xor_b32_e32 v85, 0x80000000, v85
.LBB76_700:
	s_and_not1_saveexec_b32 s1, s1
	s_cbranch_execz .LBB76_702
; %bb.701:
	s_delay_alu instid0(VALU_DEP_1) | instskip(SKIP_1) | instid1(VALU_DEP_2)
	v_div_scale_f32 v87, null, v84, v84, v85
	v_div_scale_f32 v95, vcc_lo, v85, v84, v85
	v_rcp_f32_e32 v93, v87
	v_nop
	s_delay_alu instid0(TRANS32_DEP_1) | instskip(NEXT) | instid1(VALU_DEP_1)
	v_fma_f32 v94, -v87, v93, 1.0
	v_fmac_f32_e32 v93, v94, v93
	s_delay_alu instid0(VALU_DEP_1) | instskip(NEXT) | instid1(VALU_DEP_1)
	v_mul_f32_e32 v94, v95, v93
	v_fma_f32 v96, -v87, v94, v95
	s_delay_alu instid0(VALU_DEP_1) | instskip(NEXT) | instid1(VALU_DEP_1)
	v_fmac_f32_e32 v94, v96, v93
	v_fma_f32 v87, -v87, v94, v95
	s_delay_alu instid0(VALU_DEP_1) | instskip(NEXT) | instid1(VALU_DEP_1)
	v_div_fmas_f32 v87, v87, v93, v94
	v_div_fixup_f32 v87, v87, v84, v85
	s_delay_alu instid0(VALU_DEP_1) | instskip(NEXT) | instid1(VALU_DEP_1)
	v_fmac_f32_e32 v84, v85, v87
	v_div_scale_f32 v85, null, v84, v84, 1.0
	s_delay_alu instid0(VALU_DEP_1) | instskip(SKIP_1) | instid1(TRANS32_DEP_1)
	v_rcp_f32_e32 v93, v85
	v_nop
	v_fma_f32 v94, -v85, v93, 1.0
	s_delay_alu instid0(VALU_DEP_1) | instskip(SKIP_1) | instid1(VALU_DEP_1)
	v_fmac_f32_e32 v93, v94, v93
	v_div_scale_f32 v94, vcc_lo, 1.0, v84, 1.0
	v_mul_f32_e32 v95, v94, v93
	s_delay_alu instid0(VALU_DEP_1) | instskip(NEXT) | instid1(VALU_DEP_1)
	v_fma_f32 v96, -v85, v95, v94
	v_fmac_f32_e32 v95, v96, v93
	s_delay_alu instid0(VALU_DEP_1) | instskip(NEXT) | instid1(VALU_DEP_1)
	v_fma_f32 v85, -v85, v95, v94
	v_div_fmas_f32 v85, v85, v93, v95
	s_delay_alu instid0(VALU_DEP_1) | instskip(NEXT) | instid1(VALU_DEP_1)
	v_div_fixup_f32 v84, v85, v84, 1.0
	v_mul_f32_e64 v85, v87, -v84
.LBB76_702:
	s_or_b32 exec_lo, exec_lo, s1
.LBB76_703:
	s_delay_alu instid0(SALU_CYCLE_1) | instskip(NEXT) | instid1(SALU_CYCLE_1)
	s_or_b32 exec_lo, exec_lo, s0
	s_mov_b32 s0, exec_lo
	v_cmpx_ne_u32_e64 v92, v86
	s_xor_b32 s0, exec_lo, s0
	s_cbranch_execz .LBB76_709
; %bb.704:
	s_mov_b32 s1, exec_lo
	v_cmpx_eq_u32_e32 33, v92
	s_cbranch_execz .LBB76_708
; %bb.705:
	v_cmp_ne_u32_e32 vcc_lo, 33, v86
	s_xor_b32 s12, s16, -1
	s_delay_alu instid0(SALU_CYCLE_1) | instskip(NEXT) | instid1(SALU_CYCLE_1)
	s_and_b32 s13, s12, vcc_lo
	s_and_saveexec_b32 s12, s13
	s_cbranch_execz .LBB76_707
; %bb.706:
	v_ashrrev_i32_e32 v87, 31, v86
	s_delay_alu instid0(VALU_DEP_1)
	v_lshl_add_u64 v[92:93], v[86:87], 2, v[4:5]
	s_clause 0x1
	global_load_b32 v87, v[92:93], off
	global_load_b32 v91, v[4:5], off offset:132
	s_wait_loadcnt 0x1
	global_store_b32 v[4:5], v87, off offset:132
	s_wait_loadcnt 0x0
	global_store_b32 v[92:93], v91, off
.LBB76_707:
	s_wait_xcnt 0x0
	s_or_b32 exec_lo, exec_lo, s12
	v_dual_mov_b32 v92, v86 :: v_dual_mov_b32 v91, v86
.LBB76_708:
	s_or_b32 exec_lo, exec_lo, s1
.LBB76_709:
	s_and_not1_saveexec_b32 s0, s0
	s_cbranch_execz .LBB76_711
; %bb.710:
	v_dual_mov_b32 v86, v8 :: v_dual_mov_b32 v87, v9
	v_dual_mov_b32 v94, v40 :: v_dual_mov_b32 v95, v41
	;; [unrolled: 1-line block ×4, first 2 shown]
	v_mov_b32_e32 v99, v21
	ds_store_2addr_b64 v88, v[86:87], v[94:95] offset0:34 offset1:35
	ds_store_2addr_b64 v88, v[96:97], v[98:99] offset0:36 offset1:37
	ds_store_b64 v88, v[82:83] offset:304
.LBB76_711:
	s_or_b32 exec_lo, exec_lo, s0
	s_delay_alu instid0(SALU_CYCLE_1)
	s_mov_b32 s0, exec_lo
	s_wait_storecnt_dscnt 0x0
	s_barrier_signal -1
	s_barrier_wait -1
	v_cmpx_lt_i32_e32 33, v92
	s_cbranch_execz .LBB76_713
; %bb.712:
	v_pk_mul_f32 v[86:87], v[84:85], v[42:43] op_sel:[1,1] op_sel_hi:[0,1]
	s_delay_alu instid0(VALU_DEP_1)
	v_pk_fma_f32 v[94:95], v[84:85], v[42:43], v[86:87] op_sel_hi:[1,0,1] neg_lo:[0,0,1] neg_hi:[0,0,1]
	v_pk_fma_f32 v[96:97], v[84:85], v[42:43], v[86:87] op_sel_hi:[1,0,1]
	ds_load_2addr_b64 v[84:87], v88 offset0:34 offset1:35
	v_dual_mov_b32 v42, v94 :: v_dual_mov_b32 v43, v97
	s_wait_dscnt 0x0
	v_pk_mul_f32 v[98:99], v[84:85], v[96:97] op_sel:[0,1]
	s_delay_alu instid0(VALU_DEP_1) | instskip(SKIP_1) | instid1(VALU_DEP_1)
	v_pk_fma_f32 v[100:101], v[84:85], v[94:95], v[98:99] op_sel:[0,0,1] op_sel_hi:[1,1,0] neg_lo:[0,0,1] neg_hi:[0,0,1]
	v_pk_fma_f32 v[84:85], v[84:85], v[94:95], v[98:99] op_sel:[0,0,1] op_sel_hi:[1,0,0]
	v_mov_b32_e32 v101, v85
	v_pk_mul_f32 v[84:85], v[86:87], v[96:97] op_sel:[0,1]
	s_delay_alu instid0(VALU_DEP_1) | instskip(SKIP_1) | instid1(VALU_DEP_1)
	v_pk_fma_f32 v[98:99], v[86:87], v[94:95], v[84:85] op_sel:[0,0,1] op_sel_hi:[1,1,0] neg_lo:[0,0,1] neg_hi:[0,0,1]
	v_pk_fma_f32 v[84:85], v[86:87], v[94:95], v[84:85] op_sel:[0,0,1] op_sel_hi:[1,0,0]
	v_mov_b32_e32 v99, v85
	ds_load_2addr_b64 v[84:87], v88 offset0:36 offset1:37
	v_pk_add_f32 v[8:9], v[8:9], v[100:101] neg_lo:[0,1] neg_hi:[0,1]
	v_pk_add_f32 v[40:41], v[40:41], v[98:99] neg_lo:[0,1] neg_hi:[0,1]
	s_wait_dscnt 0x0
	v_pk_mul_f32 v[98:99], v[84:85], v[96:97] op_sel:[0,1]
	s_delay_alu instid0(VALU_DEP_1) | instskip(SKIP_2) | instid1(VALU_DEP_2)
	v_pk_fma_f32 v[100:101], v[84:85], v[94:95], v[98:99] op_sel:[0,0,1] op_sel_hi:[1,1,0] neg_lo:[0,0,1] neg_hi:[0,0,1]
	v_pk_fma_f32 v[84:85], v[84:85], v[94:95], v[98:99] op_sel:[0,0,1] op_sel_hi:[1,0,0]
	v_dual_mul_f32 v98, v87, v97 :: v_dual_mov_b32 v84, v87
	v_dual_mov_b32 v101, v85 :: v_dual_mov_b32 v85, v86
	s_delay_alu instid0(VALU_DEP_2) | instskip(SKIP_1) | instid1(VALU_DEP_3)
	v_pk_fma_f32 v[98:99], v[86:87], v[42:43], v[98:99] op_sel_hi:[1,1,0] neg_lo:[0,0,1] neg_hi:[0,0,1]
	v_mul_f32_e32 v86, v87, v94
	v_pk_add_f32 v[34:35], v[34:35], v[100:101] neg_lo:[0,1] neg_hi:[0,1]
	s_delay_alu instid0(VALU_DEP_2) | instskip(NEXT) | instid1(VALU_DEP_1)
	v_pk_fma_f32 v[84:85], v[84:85], v[42:43], v[86:87] op_sel_hi:[1,1,0]
	v_mov_b32_e32 v99, v85
	ds_load_b64 v[84:85], v88 offset:304
	v_pk_add_f32 v[20:21], v[20:21], v[98:99] neg_lo:[0,1] neg_hi:[0,1]
	s_wait_dscnt 0x0
	v_pk_mul_f32 v[86:87], v[84:85], v[96:97] op_sel:[0,1]
	s_delay_alu instid0(VALU_DEP_1) | instskip(SKIP_1) | instid1(VALU_DEP_1)
	v_pk_fma_f32 v[96:97], v[84:85], v[94:95], v[86:87] op_sel:[0,0,1] op_sel_hi:[1,1,0] neg_lo:[0,0,1] neg_hi:[0,0,1]
	v_pk_fma_f32 v[84:85], v[84:85], v[94:95], v[86:87] op_sel:[0,0,1] op_sel_hi:[1,0,0]
	v_mov_b32_e32 v97, v85
	s_delay_alu instid0(VALU_DEP_1)
	v_pk_add_f32 v[82:83], v[82:83], v[96:97] neg_lo:[0,1] neg_hi:[0,1]
.LBB76_713:
	s_or_b32 exec_lo, exec_lo, s0
	v_lshl_add_u32 v84, v92, 3, v88
	s_barrier_signal -1
	s_barrier_wait -1
	ds_store_b64 v84, v[8:9]
	s_wait_dscnt 0x0
	s_barrier_signal -1
	s_barrier_wait -1
	ds_load_b64 v[84:85], v88 offset:272
	v_mov_b32_e32 v86, 34
	s_cmp_lt_i32 s18, 36
	s_cbranch_scc1 .LBB76_716
; %bb.714:
	v_add3_u32 v87, v89, 0, 0x118
	v_mov_b32_e32 v86, 34
	s_mov_b32 s0, 35
.LBB76_715:                             ; =>This Inner Loop Header: Depth=1
	ds_load_b64 v[94:95], v87
	s_wait_dscnt 0x1
	v_cmp_gt_f32_e32 vcc_lo, 0, v84
	v_cndmask_b32_e64 v96, v84, -v84, vcc_lo
	v_cmp_gt_f32_e32 vcc_lo, 0, v85
	v_cndmask_b32_e64 v98, v85, -v85, vcc_lo
	s_wait_dscnt 0x0
	v_cmp_gt_f32_e32 vcc_lo, 0, v94
	v_cndmask_b32_e64 v97, v94, -v94, vcc_lo
	v_cmp_gt_f32_e32 vcc_lo, 0, v95
	v_cndmask_b32_e64 v99, v95, -v95, vcc_lo
	s_delay_alu instid0(VALU_DEP_1) | instskip(NEXT) | instid1(VALU_DEP_1)
	v_pk_add_f32 v[96:97], v[96:97], v[98:99]
	v_cmp_lt_f32_e32 vcc_lo, v96, v97
	v_dual_cndmask_b32 v84, v84, v94 :: v_dual_add_nc_u32 v87, 8, v87
	v_cndmask_b32_e32 v85, v85, v95, vcc_lo
	v_cndmask_b32_e64 v86, v86, s0, vcc_lo
	s_add_co_i32 s0, s0, 1
	s_delay_alu instid0(SALU_CYCLE_1)
	s_cmp_lg_u32 s18, s0
	s_cbranch_scc1 .LBB76_715
.LBB76_716:
	s_wait_dscnt 0x0
	v_cmp_eq_f32_e32 vcc_lo, 0, v84
	v_cmp_eq_f32_e64 s0, 0, v85
	s_and_b32 s0, vcc_lo, s0
	s_delay_alu instid0(SALU_CYCLE_1) | instskip(NEXT) | instid1(SALU_CYCLE_1)
	s_and_saveexec_b32 s1, s0
	s_xor_b32 s0, exec_lo, s1
; %bb.717:
	v_cmp_ne_u32_e32 vcc_lo, 0, v90
	v_cndmask_b32_e32 v90, 35, v90, vcc_lo
; %bb.718:
	s_and_not1_saveexec_b32 s0, s0
	s_cbranch_execz .LBB76_724
; %bb.719:
	v_cmp_ngt_f32_e64 s1, |v84|, |v85|
	s_and_saveexec_b32 s12, s1
	s_delay_alu instid0(SALU_CYCLE_1)
	s_xor_b32 s1, exec_lo, s12
	s_cbranch_execz .LBB76_721
; %bb.720:
	v_div_scale_f32 v87, null, v85, v85, v84
	v_div_scale_f32 v95, vcc_lo, v84, v85, v84
	s_delay_alu instid0(VALU_DEP_2) | instskip(SKIP_1) | instid1(TRANS32_DEP_1)
	v_rcp_f32_e32 v93, v87
	v_nop
	v_fma_f32 v94, -v87, v93, 1.0
	s_delay_alu instid0(VALU_DEP_1) | instskip(NEXT) | instid1(VALU_DEP_1)
	v_fmac_f32_e32 v93, v94, v93
	v_mul_f32_e32 v94, v95, v93
	s_delay_alu instid0(VALU_DEP_1) | instskip(NEXT) | instid1(VALU_DEP_1)
	v_fma_f32 v96, -v87, v94, v95
	v_fmac_f32_e32 v94, v96, v93
	s_delay_alu instid0(VALU_DEP_1) | instskip(NEXT) | instid1(VALU_DEP_1)
	v_fma_f32 v87, -v87, v94, v95
	v_div_fmas_f32 v87, v87, v93, v94
	s_delay_alu instid0(VALU_DEP_1) | instskip(NEXT) | instid1(VALU_DEP_1)
	v_div_fixup_f32 v87, v87, v85, v84
	v_fmac_f32_e32 v85, v84, v87
	s_delay_alu instid0(VALU_DEP_1) | instskip(SKIP_1) | instid1(VALU_DEP_2)
	v_div_scale_f32 v84, null, v85, v85, 1.0
	v_div_scale_f32 v95, vcc_lo, 1.0, v85, 1.0
	v_rcp_f32_e32 v93, v84
	v_nop
	s_delay_alu instid0(TRANS32_DEP_1) | instskip(NEXT) | instid1(VALU_DEP_1)
	v_fma_f32 v94, -v84, v93, 1.0
	v_fmac_f32_e32 v93, v94, v93
	s_delay_alu instid0(VALU_DEP_1) | instskip(NEXT) | instid1(VALU_DEP_1)
	v_mul_f32_e32 v94, v95, v93
	v_fma_f32 v96, -v84, v94, v95
	s_delay_alu instid0(VALU_DEP_1) | instskip(NEXT) | instid1(VALU_DEP_1)
	v_fmac_f32_e32 v94, v96, v93
	v_fma_f32 v84, -v84, v94, v95
	s_delay_alu instid0(VALU_DEP_1) | instskip(NEXT) | instid1(VALU_DEP_1)
	v_div_fmas_f32 v84, v84, v93, v94
	v_div_fixup_f32 v85, v84, v85, 1.0
	s_delay_alu instid0(VALU_DEP_1)
	v_mul_f32_e32 v84, v87, v85
	v_xor_b32_e32 v85, 0x80000000, v85
.LBB76_721:
	s_and_not1_saveexec_b32 s1, s1
	s_cbranch_execz .LBB76_723
; %bb.722:
	s_delay_alu instid0(VALU_DEP_1) | instskip(SKIP_1) | instid1(VALU_DEP_2)
	v_div_scale_f32 v87, null, v84, v84, v85
	v_div_scale_f32 v95, vcc_lo, v85, v84, v85
	v_rcp_f32_e32 v93, v87
	v_nop
	s_delay_alu instid0(TRANS32_DEP_1) | instskip(NEXT) | instid1(VALU_DEP_1)
	v_fma_f32 v94, -v87, v93, 1.0
	v_fmac_f32_e32 v93, v94, v93
	s_delay_alu instid0(VALU_DEP_1) | instskip(NEXT) | instid1(VALU_DEP_1)
	v_mul_f32_e32 v94, v95, v93
	v_fma_f32 v96, -v87, v94, v95
	s_delay_alu instid0(VALU_DEP_1) | instskip(NEXT) | instid1(VALU_DEP_1)
	v_fmac_f32_e32 v94, v96, v93
	v_fma_f32 v87, -v87, v94, v95
	s_delay_alu instid0(VALU_DEP_1) | instskip(NEXT) | instid1(VALU_DEP_1)
	v_div_fmas_f32 v87, v87, v93, v94
	v_div_fixup_f32 v87, v87, v84, v85
	s_delay_alu instid0(VALU_DEP_1) | instskip(NEXT) | instid1(VALU_DEP_1)
	v_fmac_f32_e32 v84, v85, v87
	v_div_scale_f32 v85, null, v84, v84, 1.0
	s_delay_alu instid0(VALU_DEP_1) | instskip(SKIP_1) | instid1(TRANS32_DEP_1)
	v_rcp_f32_e32 v93, v85
	v_nop
	v_fma_f32 v94, -v85, v93, 1.0
	s_delay_alu instid0(VALU_DEP_1) | instskip(SKIP_1) | instid1(VALU_DEP_1)
	v_fmac_f32_e32 v93, v94, v93
	v_div_scale_f32 v94, vcc_lo, 1.0, v84, 1.0
	v_mul_f32_e32 v95, v94, v93
	s_delay_alu instid0(VALU_DEP_1) | instskip(NEXT) | instid1(VALU_DEP_1)
	v_fma_f32 v96, -v85, v95, v94
	v_fmac_f32_e32 v95, v96, v93
	s_delay_alu instid0(VALU_DEP_1) | instskip(NEXT) | instid1(VALU_DEP_1)
	v_fma_f32 v85, -v85, v95, v94
	v_div_fmas_f32 v85, v85, v93, v95
	s_delay_alu instid0(VALU_DEP_1) | instskip(NEXT) | instid1(VALU_DEP_1)
	v_div_fixup_f32 v84, v85, v84, 1.0
	v_mul_f32_e64 v85, v87, -v84
.LBB76_723:
	s_or_b32 exec_lo, exec_lo, s1
.LBB76_724:
	s_delay_alu instid0(SALU_CYCLE_1) | instskip(NEXT) | instid1(SALU_CYCLE_1)
	s_or_b32 exec_lo, exec_lo, s0
	s_mov_b32 s0, exec_lo
	v_cmpx_ne_u32_e64 v92, v86
	s_xor_b32 s0, exec_lo, s0
	s_cbranch_execz .LBB76_730
; %bb.725:
	s_mov_b32 s1, exec_lo
	v_cmpx_eq_u32_e32 34, v92
	s_cbranch_execz .LBB76_729
; %bb.726:
	v_cmp_ne_u32_e32 vcc_lo, 34, v86
	s_xor_b32 s12, s16, -1
	s_delay_alu instid0(SALU_CYCLE_1) | instskip(NEXT) | instid1(SALU_CYCLE_1)
	s_and_b32 s13, s12, vcc_lo
	s_and_saveexec_b32 s12, s13
	s_cbranch_execz .LBB76_728
; %bb.727:
	v_ashrrev_i32_e32 v87, 31, v86
	s_delay_alu instid0(VALU_DEP_1)
	v_lshl_add_u64 v[92:93], v[86:87], 2, v[4:5]
	s_clause 0x1
	global_load_b32 v87, v[92:93], off
	global_load_b32 v91, v[4:5], off offset:136
	s_wait_loadcnt 0x1
	global_store_b32 v[4:5], v87, off offset:136
	s_wait_loadcnt 0x0
	global_store_b32 v[92:93], v91, off
.LBB76_728:
	s_wait_xcnt 0x0
	s_or_b32 exec_lo, exec_lo, s12
	v_dual_mov_b32 v92, v86 :: v_dual_mov_b32 v91, v86
.LBB76_729:
	s_or_b32 exec_lo, exec_lo, s1
.LBB76_730:
	s_and_not1_saveexec_b32 s0, s0
	s_cbranch_execz .LBB76_732
; %bb.731:
	v_mov_b32_e32 v92, 34
	ds_store_2addr_b64 v88, v[40:41], v[34:35] offset0:35 offset1:36
	ds_store_2addr_b64 v88, v[20:21], v[82:83] offset0:37 offset1:38
.LBB76_732:
	s_or_b32 exec_lo, exec_lo, s0
	s_delay_alu instid0(SALU_CYCLE_1)
	s_mov_b32 s0, exec_lo
	s_wait_storecnt_dscnt 0x0
	s_barrier_signal -1
	s_barrier_wait -1
	v_cmpx_lt_i32_e32 34, v92
	s_cbranch_execz .LBB76_734
; %bb.733:
	ds_load_2addr_b64 v[94:97], v88 offset0:35 offset1:36
	ds_load_2addr_b64 v[98:101], v88 offset0:37 offset1:38
	v_pk_mul_f32 v[86:87], v[84:85], v[8:9] op_sel:[1,1] op_sel_hi:[0,1]
	s_delay_alu instid0(VALU_DEP_1) | instskip(SKIP_1) | instid1(VALU_DEP_1)
	v_pk_fma_f32 v[102:103], v[84:85], v[8:9], v[86:87] op_sel_hi:[1,0,1] neg_lo:[0,0,1] neg_hi:[0,0,1]
	v_pk_fma_f32 v[84:85], v[84:85], v[8:9], v[86:87] op_sel_hi:[1,0,1]
	v_dual_mov_b32 v8, v102 :: v_dual_mov_b32 v9, v85
	s_wait_dscnt 0x1
	s_delay_alu instid0(VALU_DEP_2)
	v_pk_mul_f32 v[86:87], v[94:95], v[84:85] op_sel:[0,1]
	s_wait_dscnt 0x0
	v_mov_b32_e32 v104, v101
	v_pk_mul_f32 v[106:107], v[96:97], v[84:85] op_sel:[0,1]
	v_pk_mul_f32 v[108:109], v[98:99], v[84:85] op_sel:[0,1]
	v_pk_fma_f32 v[110:111], v[94:95], v[102:103], v[86:87] op_sel:[0,0,1] op_sel_hi:[1,1,0] neg_lo:[0,0,1] neg_hi:[0,0,1]
	v_pk_fma_f32 v[86:87], v[94:95], v[102:103], v[86:87] op_sel:[0,0,1] op_sel_hi:[1,0,0]
	s_delay_alu instid0(VALU_DEP_1) | instskip(NEXT) | instid1(VALU_DEP_1)
	v_dual_mov_b32 v105, v100 :: v_dual_mov_b32 v111, v87
	v_pk_mul_f32 v[94:95], v[104:105], v[84:85] op_sel:[0,1]
	v_pk_fma_f32 v[104:105], v[96:97], v[102:103], v[106:107] op_sel:[0,0,1] op_sel_hi:[1,0,0]
	v_pk_fma_f32 v[96:97], v[96:97], v[102:103], v[106:107] op_sel:[0,0,1] op_sel_hi:[1,1,0] neg_lo:[0,0,1] neg_hi:[0,0,1]
	v_pk_fma_f32 v[106:107], v[98:99], v[102:103], v[108:109] op_sel:[0,0,1] op_sel_hi:[1,0,0]
	v_pk_fma_f32 v[98:99], v[98:99], v[102:103], v[108:109] op_sel:[0,0,1] op_sel_hi:[1,1,0] neg_lo:[0,0,1] neg_hi:[0,0,1]
	v_pk_fma_f32 v[86:87], v[100:101], v[102:103], v[94:95] op_sel_hi:[1,0,1]
	v_pk_fma_f32 v[94:95], v[100:101], v[102:103], v[94:95] neg_lo:[0,0,1] neg_hi:[0,0,1]
	s_delay_alu instid0(VALU_DEP_4) | instskip(SKIP_1) | instid1(VALU_DEP_4)
	v_dual_mov_b32 v97, v105 :: v_dual_mov_b32 v99, v107
	v_pk_add_f32 v[40:41], v[40:41], v[110:111] neg_lo:[0,1] neg_hi:[0,1]
	v_mov_b32_e32 v95, v87
	s_delay_alu instid0(VALU_DEP_3) | instskip(NEXT) | instid1(VALU_DEP_4)
	v_pk_add_f32 v[34:35], v[34:35], v[96:97] neg_lo:[0,1] neg_hi:[0,1]
	v_pk_add_f32 v[20:21], v[20:21], v[98:99] neg_lo:[0,1] neg_hi:[0,1]
	s_delay_alu instid0(VALU_DEP_3)
	v_pk_add_f32 v[82:83], v[82:83], v[94:95] neg_lo:[0,1] neg_hi:[0,1]
.LBB76_734:
	s_or_b32 exec_lo, exec_lo, s0
	v_lshl_add_u32 v84, v92, 3, v88
	s_barrier_signal -1
	s_barrier_wait -1
	ds_store_b64 v84, v[40:41]
	s_wait_dscnt 0x0
	s_barrier_signal -1
	s_barrier_wait -1
	ds_load_b64 v[84:85], v88 offset:280
	v_mov_b32_e32 v86, 35
	s_cmp_lt_i32 s18, 37
	s_cbranch_scc1 .LBB76_737
; %bb.735:
	v_add3_u32 v87, v89, 0, 0x120
	v_mov_b32_e32 v86, 35
	s_mov_b32 s0, 36
.LBB76_736:                             ; =>This Inner Loop Header: Depth=1
	ds_load_b64 v[94:95], v87
	s_wait_dscnt 0x1
	v_cmp_gt_f32_e32 vcc_lo, 0, v84
	v_cndmask_b32_e64 v96, v84, -v84, vcc_lo
	v_cmp_gt_f32_e32 vcc_lo, 0, v85
	v_cndmask_b32_e64 v98, v85, -v85, vcc_lo
	s_wait_dscnt 0x0
	v_cmp_gt_f32_e32 vcc_lo, 0, v94
	v_cndmask_b32_e64 v97, v94, -v94, vcc_lo
	v_cmp_gt_f32_e32 vcc_lo, 0, v95
	v_cndmask_b32_e64 v99, v95, -v95, vcc_lo
	s_delay_alu instid0(VALU_DEP_1) | instskip(NEXT) | instid1(VALU_DEP_1)
	v_pk_add_f32 v[96:97], v[96:97], v[98:99]
	v_cmp_lt_f32_e32 vcc_lo, v96, v97
	v_dual_cndmask_b32 v84, v84, v94 :: v_dual_add_nc_u32 v87, 8, v87
	v_cndmask_b32_e32 v85, v85, v95, vcc_lo
	v_cndmask_b32_e64 v86, v86, s0, vcc_lo
	s_add_co_i32 s0, s0, 1
	s_delay_alu instid0(SALU_CYCLE_1)
	s_cmp_lg_u32 s18, s0
	s_cbranch_scc1 .LBB76_736
.LBB76_737:
	s_wait_dscnt 0x0
	v_cmp_eq_f32_e32 vcc_lo, 0, v84
	v_cmp_eq_f32_e64 s0, 0, v85
	s_and_b32 s0, vcc_lo, s0
	s_delay_alu instid0(SALU_CYCLE_1) | instskip(NEXT) | instid1(SALU_CYCLE_1)
	s_and_saveexec_b32 s1, s0
	s_xor_b32 s0, exec_lo, s1
; %bb.738:
	v_cmp_ne_u32_e32 vcc_lo, 0, v90
	v_cndmask_b32_e32 v90, 36, v90, vcc_lo
; %bb.739:
	s_and_not1_saveexec_b32 s0, s0
	s_cbranch_execz .LBB76_745
; %bb.740:
	v_cmp_ngt_f32_e64 s1, |v84|, |v85|
	s_and_saveexec_b32 s12, s1
	s_delay_alu instid0(SALU_CYCLE_1)
	s_xor_b32 s1, exec_lo, s12
	s_cbranch_execz .LBB76_742
; %bb.741:
	v_div_scale_f32 v87, null, v85, v85, v84
	v_div_scale_f32 v95, vcc_lo, v84, v85, v84
	s_delay_alu instid0(VALU_DEP_2) | instskip(SKIP_1) | instid1(TRANS32_DEP_1)
	v_rcp_f32_e32 v93, v87
	v_nop
	v_fma_f32 v94, -v87, v93, 1.0
	s_delay_alu instid0(VALU_DEP_1) | instskip(NEXT) | instid1(VALU_DEP_1)
	v_fmac_f32_e32 v93, v94, v93
	v_mul_f32_e32 v94, v95, v93
	s_delay_alu instid0(VALU_DEP_1) | instskip(NEXT) | instid1(VALU_DEP_1)
	v_fma_f32 v96, -v87, v94, v95
	v_fmac_f32_e32 v94, v96, v93
	s_delay_alu instid0(VALU_DEP_1) | instskip(NEXT) | instid1(VALU_DEP_1)
	v_fma_f32 v87, -v87, v94, v95
	v_div_fmas_f32 v87, v87, v93, v94
	s_delay_alu instid0(VALU_DEP_1) | instskip(NEXT) | instid1(VALU_DEP_1)
	v_div_fixup_f32 v87, v87, v85, v84
	v_fmac_f32_e32 v85, v84, v87
	s_delay_alu instid0(VALU_DEP_1) | instskip(SKIP_1) | instid1(VALU_DEP_2)
	v_div_scale_f32 v84, null, v85, v85, 1.0
	v_div_scale_f32 v95, vcc_lo, 1.0, v85, 1.0
	v_rcp_f32_e32 v93, v84
	v_nop
	s_delay_alu instid0(TRANS32_DEP_1) | instskip(NEXT) | instid1(VALU_DEP_1)
	v_fma_f32 v94, -v84, v93, 1.0
	v_fmac_f32_e32 v93, v94, v93
	s_delay_alu instid0(VALU_DEP_1) | instskip(NEXT) | instid1(VALU_DEP_1)
	v_mul_f32_e32 v94, v95, v93
	v_fma_f32 v96, -v84, v94, v95
	s_delay_alu instid0(VALU_DEP_1) | instskip(NEXT) | instid1(VALU_DEP_1)
	v_fmac_f32_e32 v94, v96, v93
	v_fma_f32 v84, -v84, v94, v95
	s_delay_alu instid0(VALU_DEP_1) | instskip(NEXT) | instid1(VALU_DEP_1)
	v_div_fmas_f32 v84, v84, v93, v94
	v_div_fixup_f32 v85, v84, v85, 1.0
	s_delay_alu instid0(VALU_DEP_1)
	v_mul_f32_e32 v84, v87, v85
	v_xor_b32_e32 v85, 0x80000000, v85
.LBB76_742:
	s_and_not1_saveexec_b32 s1, s1
	s_cbranch_execz .LBB76_744
; %bb.743:
	s_delay_alu instid0(VALU_DEP_1) | instskip(SKIP_1) | instid1(VALU_DEP_2)
	v_div_scale_f32 v87, null, v84, v84, v85
	v_div_scale_f32 v95, vcc_lo, v85, v84, v85
	v_rcp_f32_e32 v93, v87
	v_nop
	s_delay_alu instid0(TRANS32_DEP_1) | instskip(NEXT) | instid1(VALU_DEP_1)
	v_fma_f32 v94, -v87, v93, 1.0
	v_fmac_f32_e32 v93, v94, v93
	s_delay_alu instid0(VALU_DEP_1) | instskip(NEXT) | instid1(VALU_DEP_1)
	v_mul_f32_e32 v94, v95, v93
	v_fma_f32 v96, -v87, v94, v95
	s_delay_alu instid0(VALU_DEP_1) | instskip(NEXT) | instid1(VALU_DEP_1)
	v_fmac_f32_e32 v94, v96, v93
	v_fma_f32 v87, -v87, v94, v95
	s_delay_alu instid0(VALU_DEP_1) | instskip(NEXT) | instid1(VALU_DEP_1)
	v_div_fmas_f32 v87, v87, v93, v94
	v_div_fixup_f32 v87, v87, v84, v85
	s_delay_alu instid0(VALU_DEP_1) | instskip(NEXT) | instid1(VALU_DEP_1)
	v_fmac_f32_e32 v84, v85, v87
	v_div_scale_f32 v85, null, v84, v84, 1.0
	s_delay_alu instid0(VALU_DEP_1) | instskip(SKIP_1) | instid1(TRANS32_DEP_1)
	v_rcp_f32_e32 v93, v85
	v_nop
	v_fma_f32 v94, -v85, v93, 1.0
	s_delay_alu instid0(VALU_DEP_1) | instskip(SKIP_1) | instid1(VALU_DEP_1)
	v_fmac_f32_e32 v93, v94, v93
	v_div_scale_f32 v94, vcc_lo, 1.0, v84, 1.0
	v_mul_f32_e32 v95, v94, v93
	s_delay_alu instid0(VALU_DEP_1) | instskip(NEXT) | instid1(VALU_DEP_1)
	v_fma_f32 v96, -v85, v95, v94
	v_fmac_f32_e32 v95, v96, v93
	s_delay_alu instid0(VALU_DEP_1) | instskip(NEXT) | instid1(VALU_DEP_1)
	v_fma_f32 v85, -v85, v95, v94
	v_div_fmas_f32 v85, v85, v93, v95
	s_delay_alu instid0(VALU_DEP_1) | instskip(NEXT) | instid1(VALU_DEP_1)
	v_div_fixup_f32 v84, v85, v84, 1.0
	v_mul_f32_e64 v85, v87, -v84
.LBB76_744:
	s_or_b32 exec_lo, exec_lo, s1
.LBB76_745:
	s_delay_alu instid0(SALU_CYCLE_1) | instskip(NEXT) | instid1(SALU_CYCLE_1)
	s_or_b32 exec_lo, exec_lo, s0
	s_mov_b32 s0, exec_lo
	v_cmpx_ne_u32_e64 v92, v86
	s_xor_b32 s0, exec_lo, s0
	s_cbranch_execz .LBB76_751
; %bb.746:
	s_mov_b32 s1, exec_lo
	v_cmpx_eq_u32_e32 35, v92
	s_cbranch_execz .LBB76_750
; %bb.747:
	v_cmp_ne_u32_e32 vcc_lo, 35, v86
	s_xor_b32 s12, s16, -1
	s_delay_alu instid0(SALU_CYCLE_1) | instskip(NEXT) | instid1(SALU_CYCLE_1)
	s_and_b32 s13, s12, vcc_lo
	s_and_saveexec_b32 s12, s13
	s_cbranch_execz .LBB76_749
; %bb.748:
	v_ashrrev_i32_e32 v87, 31, v86
	s_delay_alu instid0(VALU_DEP_1)
	v_lshl_add_u64 v[92:93], v[86:87], 2, v[4:5]
	s_clause 0x1
	global_load_b32 v87, v[92:93], off
	global_load_b32 v91, v[4:5], off offset:140
	s_wait_loadcnt 0x1
	global_store_b32 v[4:5], v87, off offset:140
	s_wait_loadcnt 0x0
	global_store_b32 v[92:93], v91, off
.LBB76_749:
	s_wait_xcnt 0x0
	s_or_b32 exec_lo, exec_lo, s12
	v_dual_mov_b32 v92, v86 :: v_dual_mov_b32 v91, v86
.LBB76_750:
	s_or_b32 exec_lo, exec_lo, s1
.LBB76_751:
	s_and_not1_saveexec_b32 s0, s0
	s_cbranch_execz .LBB76_753
; %bb.752:
	v_dual_mov_b32 v86, v34 :: v_dual_mov_b32 v87, v35
	v_dual_mov_b32 v94, v20 :: v_dual_mov_b32 v95, v21
	v_mov_b32_e32 v92, 35
	ds_store_2addr_b64 v88, v[86:87], v[94:95] offset0:36 offset1:37
	ds_store_b64 v88, v[82:83] offset:304
.LBB76_753:
	s_or_b32 exec_lo, exec_lo, s0
	s_delay_alu instid0(SALU_CYCLE_1)
	s_mov_b32 s0, exec_lo
	s_wait_storecnt_dscnt 0x0
	s_barrier_signal -1
	s_barrier_wait -1
	v_cmpx_lt_i32_e32 35, v92
	s_cbranch_execz .LBB76_755
; %bb.754:
	ds_load_2addr_b64 v[94:97], v88 offset0:36 offset1:37
	ds_load_b64 v[86:87], v88 offset:304
	v_pk_mul_f32 v[98:99], v[84:85], v[40:41] op_sel:[1,1] op_sel_hi:[0,1]
	s_delay_alu instid0(VALU_DEP_1) | instskip(SKIP_2) | instid1(VALU_DEP_2)
	v_pk_fma_f32 v[100:101], v[84:85], v[40:41], v[98:99] op_sel_hi:[1,0,1]
	v_pk_fma_f32 v[40:41], v[84:85], v[40:41], v[98:99] op_sel_hi:[1,0,1] neg_lo:[0,0,1] neg_hi:[0,0,1]
	s_wait_dscnt 0x1
	v_pk_mul_f32 v[84:85], v[94:95], v[100:101] op_sel:[0,1]
	v_pk_mul_f32 v[98:99], v[96:97], v[100:101] op_sel:[0,1]
	s_wait_dscnt 0x0
	v_pk_mul_f32 v[102:103], v[86:87], v[100:101] op_sel:[1,1] op_sel_hi:[0,1]
	s_delay_alu instid0(VALU_DEP_3) | instskip(SKIP_2) | instid1(VALU_DEP_4)
	v_pk_fma_f32 v[104:105], v[94:95], v[40:41], v[84:85] op_sel:[0,0,1] op_sel_hi:[1,1,0] neg_lo:[0,0,1] neg_hi:[0,0,1]
	v_pk_fma_f32 v[84:85], v[94:95], v[40:41], v[84:85] op_sel:[0,0,1] op_sel_hi:[1,0,0]
	v_pk_fma_f32 v[94:95], v[96:97], v[40:41], v[98:99] op_sel:[0,0,1] op_sel_hi:[1,0,0]
	v_pk_fma_f32 v[106:107], v[86:87], v[40:41], v[102:103] op_sel_hi:[1,0,1]
	v_pk_fma_f32 v[96:97], v[96:97], v[40:41], v[98:99] op_sel:[0,0,1] op_sel_hi:[1,1,0] neg_lo:[0,0,1] neg_hi:[0,0,1]
	v_pk_fma_f32 v[86:87], v[86:87], v[40:41], v[102:103] neg_lo:[0,0,1] neg_hi:[0,0,1]
	s_delay_alu instid0(VALU_DEP_4) | instskip(NEXT) | instid1(VALU_DEP_4)
	v_dual_mov_b32 v105, v85 :: v_dual_mov_b32 v97, v95
	v_dual_mov_b32 v87, v107 :: v_dual_mov_b32 v41, v101
	s_delay_alu instid0(VALU_DEP_2) | instskip(NEXT) | instid1(VALU_DEP_3)
	v_pk_add_f32 v[34:35], v[34:35], v[104:105] neg_lo:[0,1] neg_hi:[0,1]
	v_pk_add_f32 v[20:21], v[20:21], v[96:97] neg_lo:[0,1] neg_hi:[0,1]
	s_delay_alu instid0(VALU_DEP_3)
	v_pk_add_f32 v[82:83], v[82:83], v[86:87] neg_lo:[0,1] neg_hi:[0,1]
.LBB76_755:
	s_or_b32 exec_lo, exec_lo, s0
	v_lshl_add_u32 v84, v92, 3, v88
	s_barrier_signal -1
	s_barrier_wait -1
	ds_store_b64 v84, v[34:35]
	s_wait_dscnt 0x0
	s_barrier_signal -1
	s_barrier_wait -1
	ds_load_b64 v[84:85], v88 offset:288
	v_mov_b32_e32 v86, 36
	s_cmp_lt_i32 s18, 38
	s_cbranch_scc1 .LBB76_758
; %bb.756:
	v_add3_u32 v87, v89, 0, 0x128
	v_mov_b32_e32 v86, 36
	s_mov_b32 s0, 37
.LBB76_757:                             ; =>This Inner Loop Header: Depth=1
	ds_load_b64 v[94:95], v87
	s_wait_dscnt 0x1
	v_cmp_gt_f32_e32 vcc_lo, 0, v84
	v_cndmask_b32_e64 v96, v84, -v84, vcc_lo
	v_cmp_gt_f32_e32 vcc_lo, 0, v85
	v_cndmask_b32_e64 v98, v85, -v85, vcc_lo
	s_wait_dscnt 0x0
	v_cmp_gt_f32_e32 vcc_lo, 0, v94
	v_cndmask_b32_e64 v97, v94, -v94, vcc_lo
	v_cmp_gt_f32_e32 vcc_lo, 0, v95
	v_cndmask_b32_e64 v99, v95, -v95, vcc_lo
	s_delay_alu instid0(VALU_DEP_1) | instskip(NEXT) | instid1(VALU_DEP_1)
	v_pk_add_f32 v[96:97], v[96:97], v[98:99]
	v_cmp_lt_f32_e32 vcc_lo, v96, v97
	v_dual_cndmask_b32 v84, v84, v94 :: v_dual_add_nc_u32 v87, 8, v87
	v_cndmask_b32_e32 v85, v85, v95, vcc_lo
	v_cndmask_b32_e64 v86, v86, s0, vcc_lo
	s_add_co_i32 s0, s0, 1
	s_delay_alu instid0(SALU_CYCLE_1)
	s_cmp_lg_u32 s18, s0
	s_cbranch_scc1 .LBB76_757
.LBB76_758:
	s_wait_dscnt 0x0
	v_cmp_eq_f32_e32 vcc_lo, 0, v84
	v_cmp_eq_f32_e64 s0, 0, v85
	s_and_b32 s0, vcc_lo, s0
	s_delay_alu instid0(SALU_CYCLE_1) | instskip(NEXT) | instid1(SALU_CYCLE_1)
	s_and_saveexec_b32 s1, s0
	s_xor_b32 s0, exec_lo, s1
; %bb.759:
	v_cmp_ne_u32_e32 vcc_lo, 0, v90
	v_cndmask_b32_e32 v90, 37, v90, vcc_lo
; %bb.760:
	s_and_not1_saveexec_b32 s0, s0
	s_cbranch_execz .LBB76_766
; %bb.761:
	v_cmp_ngt_f32_e64 s1, |v84|, |v85|
	s_and_saveexec_b32 s12, s1
	s_delay_alu instid0(SALU_CYCLE_1)
	s_xor_b32 s1, exec_lo, s12
	s_cbranch_execz .LBB76_763
; %bb.762:
	v_div_scale_f32 v87, null, v85, v85, v84
	v_div_scale_f32 v95, vcc_lo, v84, v85, v84
	s_delay_alu instid0(VALU_DEP_2) | instskip(SKIP_1) | instid1(TRANS32_DEP_1)
	v_rcp_f32_e32 v93, v87
	v_nop
	v_fma_f32 v94, -v87, v93, 1.0
	s_delay_alu instid0(VALU_DEP_1) | instskip(NEXT) | instid1(VALU_DEP_1)
	v_fmac_f32_e32 v93, v94, v93
	v_mul_f32_e32 v94, v95, v93
	s_delay_alu instid0(VALU_DEP_1) | instskip(NEXT) | instid1(VALU_DEP_1)
	v_fma_f32 v96, -v87, v94, v95
	v_fmac_f32_e32 v94, v96, v93
	s_delay_alu instid0(VALU_DEP_1) | instskip(NEXT) | instid1(VALU_DEP_1)
	v_fma_f32 v87, -v87, v94, v95
	v_div_fmas_f32 v87, v87, v93, v94
	s_delay_alu instid0(VALU_DEP_1) | instskip(NEXT) | instid1(VALU_DEP_1)
	v_div_fixup_f32 v87, v87, v85, v84
	v_fmac_f32_e32 v85, v84, v87
	s_delay_alu instid0(VALU_DEP_1) | instskip(SKIP_1) | instid1(VALU_DEP_2)
	v_div_scale_f32 v84, null, v85, v85, 1.0
	v_div_scale_f32 v95, vcc_lo, 1.0, v85, 1.0
	v_rcp_f32_e32 v93, v84
	v_nop
	s_delay_alu instid0(TRANS32_DEP_1) | instskip(NEXT) | instid1(VALU_DEP_1)
	v_fma_f32 v94, -v84, v93, 1.0
	v_fmac_f32_e32 v93, v94, v93
	s_delay_alu instid0(VALU_DEP_1) | instskip(NEXT) | instid1(VALU_DEP_1)
	v_mul_f32_e32 v94, v95, v93
	v_fma_f32 v96, -v84, v94, v95
	s_delay_alu instid0(VALU_DEP_1) | instskip(NEXT) | instid1(VALU_DEP_1)
	v_fmac_f32_e32 v94, v96, v93
	v_fma_f32 v84, -v84, v94, v95
	s_delay_alu instid0(VALU_DEP_1) | instskip(NEXT) | instid1(VALU_DEP_1)
	v_div_fmas_f32 v84, v84, v93, v94
	v_div_fixup_f32 v85, v84, v85, 1.0
	s_delay_alu instid0(VALU_DEP_1)
	v_mul_f32_e32 v84, v87, v85
	v_xor_b32_e32 v85, 0x80000000, v85
.LBB76_763:
	s_and_not1_saveexec_b32 s1, s1
	s_cbranch_execz .LBB76_765
; %bb.764:
	s_delay_alu instid0(VALU_DEP_1) | instskip(SKIP_1) | instid1(VALU_DEP_2)
	v_div_scale_f32 v87, null, v84, v84, v85
	v_div_scale_f32 v95, vcc_lo, v85, v84, v85
	v_rcp_f32_e32 v93, v87
	v_nop
	s_delay_alu instid0(TRANS32_DEP_1) | instskip(NEXT) | instid1(VALU_DEP_1)
	v_fma_f32 v94, -v87, v93, 1.0
	v_fmac_f32_e32 v93, v94, v93
	s_delay_alu instid0(VALU_DEP_1) | instskip(NEXT) | instid1(VALU_DEP_1)
	v_mul_f32_e32 v94, v95, v93
	v_fma_f32 v96, -v87, v94, v95
	s_delay_alu instid0(VALU_DEP_1) | instskip(NEXT) | instid1(VALU_DEP_1)
	v_fmac_f32_e32 v94, v96, v93
	v_fma_f32 v87, -v87, v94, v95
	s_delay_alu instid0(VALU_DEP_1) | instskip(NEXT) | instid1(VALU_DEP_1)
	v_div_fmas_f32 v87, v87, v93, v94
	v_div_fixup_f32 v87, v87, v84, v85
	s_delay_alu instid0(VALU_DEP_1) | instskip(NEXT) | instid1(VALU_DEP_1)
	v_fmac_f32_e32 v84, v85, v87
	v_div_scale_f32 v85, null, v84, v84, 1.0
	s_delay_alu instid0(VALU_DEP_1) | instskip(SKIP_1) | instid1(TRANS32_DEP_1)
	v_rcp_f32_e32 v93, v85
	v_nop
	v_fma_f32 v94, -v85, v93, 1.0
	s_delay_alu instid0(VALU_DEP_1) | instskip(SKIP_1) | instid1(VALU_DEP_1)
	v_fmac_f32_e32 v93, v94, v93
	v_div_scale_f32 v94, vcc_lo, 1.0, v84, 1.0
	v_mul_f32_e32 v95, v94, v93
	s_delay_alu instid0(VALU_DEP_1) | instskip(NEXT) | instid1(VALU_DEP_1)
	v_fma_f32 v96, -v85, v95, v94
	v_fmac_f32_e32 v95, v96, v93
	s_delay_alu instid0(VALU_DEP_1) | instskip(NEXT) | instid1(VALU_DEP_1)
	v_fma_f32 v85, -v85, v95, v94
	v_div_fmas_f32 v85, v85, v93, v95
	s_delay_alu instid0(VALU_DEP_1) | instskip(NEXT) | instid1(VALU_DEP_1)
	v_div_fixup_f32 v84, v85, v84, 1.0
	v_mul_f32_e64 v85, v87, -v84
.LBB76_765:
	s_or_b32 exec_lo, exec_lo, s1
.LBB76_766:
	s_delay_alu instid0(SALU_CYCLE_1) | instskip(NEXT) | instid1(SALU_CYCLE_1)
	s_or_b32 exec_lo, exec_lo, s0
	s_mov_b32 s0, exec_lo
	v_cmpx_ne_u32_e64 v92, v86
	s_xor_b32 s0, exec_lo, s0
	s_cbranch_execz .LBB76_772
; %bb.767:
	s_mov_b32 s1, exec_lo
	v_cmpx_eq_u32_e32 36, v92
	s_cbranch_execz .LBB76_771
; %bb.768:
	v_cmp_ne_u32_e32 vcc_lo, 36, v86
	s_xor_b32 s12, s16, -1
	s_delay_alu instid0(SALU_CYCLE_1) | instskip(NEXT) | instid1(SALU_CYCLE_1)
	s_and_b32 s13, s12, vcc_lo
	s_and_saveexec_b32 s12, s13
	s_cbranch_execz .LBB76_770
; %bb.769:
	v_ashrrev_i32_e32 v87, 31, v86
	s_delay_alu instid0(VALU_DEP_1)
	v_lshl_add_u64 v[92:93], v[86:87], 2, v[4:5]
	s_clause 0x1
	global_load_b32 v87, v[92:93], off
	global_load_b32 v91, v[4:5], off offset:144
	s_wait_loadcnt 0x1
	global_store_b32 v[4:5], v87, off offset:144
	s_wait_loadcnt 0x0
	global_store_b32 v[92:93], v91, off
.LBB76_770:
	s_wait_xcnt 0x0
	s_or_b32 exec_lo, exec_lo, s12
	v_dual_mov_b32 v92, v86 :: v_dual_mov_b32 v91, v86
.LBB76_771:
	s_or_b32 exec_lo, exec_lo, s1
.LBB76_772:
	s_and_not1_saveexec_b32 s0, s0
; %bb.773:
	v_mov_b32_e32 v92, 36
	ds_store_2addr_b64 v88, v[20:21], v[82:83] offset0:37 offset1:38
; %bb.774:
	s_or_b32 exec_lo, exec_lo, s0
	s_delay_alu instid0(SALU_CYCLE_1)
	s_mov_b32 s0, exec_lo
	s_wait_storecnt_dscnt 0x0
	s_barrier_signal -1
	s_barrier_wait -1
	v_cmpx_lt_i32_e32 36, v92
	s_cbranch_execz .LBB76_776
; %bb.775:
	ds_load_2addr_b64 v[94:97], v88 offset0:37 offset1:38
	v_pk_mul_f32 v[86:87], v[84:85], v[34:35] op_sel:[1,1] op_sel_hi:[0,1]
	s_delay_alu instid0(VALU_DEP_1) | instskip(SKIP_3) | instid1(VALU_DEP_3)
	v_pk_fma_f32 v[98:99], v[84:85], v[34:35], v[86:87] op_sel_hi:[1,0,1]
	v_pk_fma_f32 v[34:35], v[84:85], v[34:35], v[86:87] op_sel_hi:[1,0,1] neg_lo:[0,0,1] neg_hi:[0,0,1]
	s_wait_dscnt 0x0
	v_dual_mov_b32 v100, v97 :: v_dual_mov_b32 v101, v96
	v_pk_mul_f32 v[84:85], v[94:95], v[98:99] op_sel:[0,1]
	s_delay_alu instid0(VALU_DEP_2) | instskip(NEXT) | instid1(VALU_DEP_2)
	v_pk_mul_f32 v[86:87], v[100:101], v[98:99] op_sel:[0,1]
	v_pk_fma_f32 v[100:101], v[94:95], v[34:35], v[84:85] op_sel:[0,0,1] op_sel_hi:[1,0,0]
	v_pk_fma_f32 v[84:85], v[94:95], v[34:35], v[84:85] op_sel:[0,0,1] op_sel_hi:[1,1,0] neg_lo:[0,0,1] neg_hi:[0,0,1]
	s_delay_alu instid0(VALU_DEP_3) | instskip(SKIP_1) | instid1(VALU_DEP_4)
	v_pk_fma_f32 v[102:103], v[96:97], v[34:35], v[86:87] op_sel_hi:[1,0,1]
	v_pk_fma_f32 v[86:87], v[96:97], v[34:35], v[86:87] neg_lo:[0,0,1] neg_hi:[0,0,1]
	v_dual_mov_b32 v85, v101 :: v_dual_mov_b32 v35, v99
	s_delay_alu instid0(VALU_DEP_3) | instskip(NEXT) | instid1(VALU_DEP_2)
	v_mov_b32_e32 v87, v103
	v_pk_add_f32 v[20:21], v[20:21], v[84:85] neg_lo:[0,1] neg_hi:[0,1]
	s_delay_alu instid0(VALU_DEP_2)
	v_pk_add_f32 v[82:83], v[82:83], v[86:87] neg_lo:[0,1] neg_hi:[0,1]
.LBB76_776:
	s_or_b32 exec_lo, exec_lo, s0
	v_lshl_add_u32 v84, v92, 3, v88
	s_barrier_signal -1
	s_barrier_wait -1
	ds_store_b64 v84, v[20:21]
	s_wait_dscnt 0x0
	s_barrier_signal -1
	s_barrier_wait -1
	ds_load_b64 v[84:85], v88 offset:296
	v_mov_b32_e32 v86, 37
	s_cmp_lt_i32 s18, 39
	s_cbranch_scc1 .LBB76_779
; %bb.777:
	v_add3_u32 v87, v89, 0, 0x130
	v_mov_b32_e32 v86, 37
	s_mov_b32 s0, 38
.LBB76_778:                             ; =>This Inner Loop Header: Depth=1
	ds_load_b64 v[94:95], v87
	s_wait_dscnt 0x1
	v_cmp_gt_f32_e32 vcc_lo, 0, v84
	v_cndmask_b32_e64 v96, v84, -v84, vcc_lo
	v_cmp_gt_f32_e32 vcc_lo, 0, v85
	v_cndmask_b32_e64 v98, v85, -v85, vcc_lo
	s_wait_dscnt 0x0
	v_cmp_gt_f32_e32 vcc_lo, 0, v94
	v_cndmask_b32_e64 v97, v94, -v94, vcc_lo
	v_cmp_gt_f32_e32 vcc_lo, 0, v95
	v_cndmask_b32_e64 v99, v95, -v95, vcc_lo
	s_delay_alu instid0(VALU_DEP_1) | instskip(NEXT) | instid1(VALU_DEP_1)
	v_pk_add_f32 v[96:97], v[96:97], v[98:99]
	v_cmp_lt_f32_e32 vcc_lo, v96, v97
	v_dual_cndmask_b32 v84, v84, v94 :: v_dual_add_nc_u32 v87, 8, v87
	v_cndmask_b32_e32 v85, v85, v95, vcc_lo
	v_cndmask_b32_e64 v86, v86, s0, vcc_lo
	s_add_co_i32 s0, s0, 1
	s_delay_alu instid0(SALU_CYCLE_1)
	s_cmp_lg_u32 s18, s0
	s_cbranch_scc1 .LBB76_778
.LBB76_779:
	s_wait_dscnt 0x0
	v_cmp_eq_f32_e32 vcc_lo, 0, v84
	v_cmp_eq_f32_e64 s0, 0, v85
	s_and_b32 s0, vcc_lo, s0
	s_delay_alu instid0(SALU_CYCLE_1) | instskip(NEXT) | instid1(SALU_CYCLE_1)
	s_and_saveexec_b32 s1, s0
	s_xor_b32 s0, exec_lo, s1
; %bb.780:
	v_cmp_ne_u32_e32 vcc_lo, 0, v90
	v_cndmask_b32_e32 v90, 38, v90, vcc_lo
; %bb.781:
	s_and_not1_saveexec_b32 s0, s0
	s_cbranch_execz .LBB76_787
; %bb.782:
	v_cmp_ngt_f32_e64 s1, |v84|, |v85|
	s_and_saveexec_b32 s12, s1
	s_delay_alu instid0(SALU_CYCLE_1)
	s_xor_b32 s1, exec_lo, s12
	s_cbranch_execz .LBB76_784
; %bb.783:
	v_div_scale_f32 v87, null, v85, v85, v84
	v_div_scale_f32 v95, vcc_lo, v84, v85, v84
	s_delay_alu instid0(VALU_DEP_2) | instskip(SKIP_1) | instid1(TRANS32_DEP_1)
	v_rcp_f32_e32 v93, v87
	v_nop
	v_fma_f32 v94, -v87, v93, 1.0
	s_delay_alu instid0(VALU_DEP_1) | instskip(NEXT) | instid1(VALU_DEP_1)
	v_fmac_f32_e32 v93, v94, v93
	v_mul_f32_e32 v94, v95, v93
	s_delay_alu instid0(VALU_DEP_1) | instskip(NEXT) | instid1(VALU_DEP_1)
	v_fma_f32 v96, -v87, v94, v95
	v_fmac_f32_e32 v94, v96, v93
	s_delay_alu instid0(VALU_DEP_1) | instskip(NEXT) | instid1(VALU_DEP_1)
	v_fma_f32 v87, -v87, v94, v95
	v_div_fmas_f32 v87, v87, v93, v94
	s_delay_alu instid0(VALU_DEP_1) | instskip(NEXT) | instid1(VALU_DEP_1)
	v_div_fixup_f32 v87, v87, v85, v84
	v_fmac_f32_e32 v85, v84, v87
	s_delay_alu instid0(VALU_DEP_1) | instskip(SKIP_1) | instid1(VALU_DEP_2)
	v_div_scale_f32 v84, null, v85, v85, 1.0
	v_div_scale_f32 v95, vcc_lo, 1.0, v85, 1.0
	v_rcp_f32_e32 v93, v84
	v_nop
	s_delay_alu instid0(TRANS32_DEP_1) | instskip(NEXT) | instid1(VALU_DEP_1)
	v_fma_f32 v94, -v84, v93, 1.0
	v_fmac_f32_e32 v93, v94, v93
	s_delay_alu instid0(VALU_DEP_1) | instskip(NEXT) | instid1(VALU_DEP_1)
	v_mul_f32_e32 v94, v95, v93
	v_fma_f32 v96, -v84, v94, v95
	s_delay_alu instid0(VALU_DEP_1) | instskip(NEXT) | instid1(VALU_DEP_1)
	v_fmac_f32_e32 v94, v96, v93
	v_fma_f32 v84, -v84, v94, v95
	s_delay_alu instid0(VALU_DEP_1) | instskip(NEXT) | instid1(VALU_DEP_1)
	v_div_fmas_f32 v84, v84, v93, v94
	v_div_fixup_f32 v85, v84, v85, 1.0
	s_delay_alu instid0(VALU_DEP_1)
	v_mul_f32_e32 v84, v87, v85
	v_xor_b32_e32 v85, 0x80000000, v85
.LBB76_784:
	s_and_not1_saveexec_b32 s1, s1
	s_cbranch_execz .LBB76_786
; %bb.785:
	s_delay_alu instid0(VALU_DEP_1) | instskip(SKIP_1) | instid1(VALU_DEP_2)
	v_div_scale_f32 v87, null, v84, v84, v85
	v_div_scale_f32 v95, vcc_lo, v85, v84, v85
	v_rcp_f32_e32 v93, v87
	v_nop
	s_delay_alu instid0(TRANS32_DEP_1) | instskip(NEXT) | instid1(VALU_DEP_1)
	v_fma_f32 v94, -v87, v93, 1.0
	v_fmac_f32_e32 v93, v94, v93
	s_delay_alu instid0(VALU_DEP_1) | instskip(NEXT) | instid1(VALU_DEP_1)
	v_mul_f32_e32 v94, v95, v93
	v_fma_f32 v96, -v87, v94, v95
	s_delay_alu instid0(VALU_DEP_1) | instskip(NEXT) | instid1(VALU_DEP_1)
	v_fmac_f32_e32 v94, v96, v93
	v_fma_f32 v87, -v87, v94, v95
	s_delay_alu instid0(VALU_DEP_1) | instskip(NEXT) | instid1(VALU_DEP_1)
	v_div_fmas_f32 v87, v87, v93, v94
	v_div_fixup_f32 v87, v87, v84, v85
	s_delay_alu instid0(VALU_DEP_1) | instskip(NEXT) | instid1(VALU_DEP_1)
	v_fmac_f32_e32 v84, v85, v87
	v_div_scale_f32 v85, null, v84, v84, 1.0
	s_delay_alu instid0(VALU_DEP_1) | instskip(SKIP_1) | instid1(TRANS32_DEP_1)
	v_rcp_f32_e32 v93, v85
	v_nop
	v_fma_f32 v94, -v85, v93, 1.0
	s_delay_alu instid0(VALU_DEP_1) | instskip(SKIP_1) | instid1(VALU_DEP_1)
	v_fmac_f32_e32 v93, v94, v93
	v_div_scale_f32 v94, vcc_lo, 1.0, v84, 1.0
	v_mul_f32_e32 v95, v94, v93
	s_delay_alu instid0(VALU_DEP_1) | instskip(NEXT) | instid1(VALU_DEP_1)
	v_fma_f32 v96, -v85, v95, v94
	v_fmac_f32_e32 v95, v96, v93
	s_delay_alu instid0(VALU_DEP_1) | instskip(NEXT) | instid1(VALU_DEP_1)
	v_fma_f32 v85, -v85, v95, v94
	v_div_fmas_f32 v85, v85, v93, v95
	s_delay_alu instid0(VALU_DEP_1) | instskip(NEXT) | instid1(VALU_DEP_1)
	v_div_fixup_f32 v84, v85, v84, 1.0
	v_mul_f32_e64 v85, v87, -v84
.LBB76_786:
	s_or_b32 exec_lo, exec_lo, s1
.LBB76_787:
	s_delay_alu instid0(SALU_CYCLE_1) | instskip(NEXT) | instid1(SALU_CYCLE_1)
	s_or_b32 exec_lo, exec_lo, s0
	s_mov_b32 s0, exec_lo
	v_cmpx_ne_u32_e64 v92, v86
	s_xor_b32 s0, exec_lo, s0
	s_cbranch_execz .LBB76_793
; %bb.788:
	s_mov_b32 s1, exec_lo
	v_cmpx_eq_u32_e32 37, v92
	s_cbranch_execz .LBB76_792
; %bb.789:
	v_cmp_ne_u32_e32 vcc_lo, 37, v86
	s_xor_b32 s12, s16, -1
	s_delay_alu instid0(SALU_CYCLE_1) | instskip(NEXT) | instid1(SALU_CYCLE_1)
	s_and_b32 s13, s12, vcc_lo
	s_and_saveexec_b32 s12, s13
	s_cbranch_execz .LBB76_791
; %bb.790:
	v_ashrrev_i32_e32 v87, 31, v86
	s_delay_alu instid0(VALU_DEP_1)
	v_lshl_add_u64 v[92:93], v[86:87], 2, v[4:5]
	s_clause 0x1
	global_load_b32 v87, v[92:93], off
	global_load_b32 v91, v[4:5], off offset:148
	s_wait_loadcnt 0x1
	global_store_b32 v[4:5], v87, off offset:148
	s_wait_loadcnt 0x0
	global_store_b32 v[92:93], v91, off
.LBB76_791:
	s_wait_xcnt 0x0
	s_or_b32 exec_lo, exec_lo, s12
	v_dual_mov_b32 v92, v86 :: v_dual_mov_b32 v91, v86
.LBB76_792:
	s_or_b32 exec_lo, exec_lo, s1
.LBB76_793:
	s_and_not1_saveexec_b32 s0, s0
; %bb.794:
	v_mov_b32_e32 v92, 37
	ds_store_b64 v88, v[82:83] offset:304
; %bb.795:
	s_or_b32 exec_lo, exec_lo, s0
	s_delay_alu instid0(SALU_CYCLE_1)
	s_mov_b32 s0, exec_lo
	s_wait_storecnt_dscnt 0x0
	s_barrier_signal -1
	s_barrier_wait -1
	v_cmpx_lt_i32_e32 37, v92
	s_cbranch_execz .LBB76_797
; %bb.796:
	ds_load_b64 v[86:87], v88 offset:304
	v_pk_mul_f32 v[94:95], v[84:85], v[20:21] op_sel:[1,1] op_sel_hi:[0,1]
	s_delay_alu instid0(VALU_DEP_1) | instskip(SKIP_2) | instid1(VALU_DEP_2)
	v_pk_fma_f32 v[96:97], v[84:85], v[20:21], v[94:95] op_sel_hi:[1,0,1]
	v_pk_fma_f32 v[20:21], v[84:85], v[20:21], v[94:95] op_sel_hi:[1,0,1] neg_lo:[0,0,1] neg_hi:[0,0,1]
	s_wait_dscnt 0x0
	v_pk_mul_f32 v[84:85], v[86:87], v[96:97] op_sel:[1,1] op_sel_hi:[0,1]
	s_delay_alu instid0(VALU_DEP_1) | instskip(SKIP_1) | instid1(VALU_DEP_2)
	v_pk_fma_f32 v[94:95], v[86:87], v[20:21], v[84:85] op_sel_hi:[1,0,1]
	v_pk_fma_f32 v[84:85], v[86:87], v[20:21], v[84:85] neg_lo:[0,0,1] neg_hi:[0,0,1]
	v_dual_mov_b32 v21, v97 :: v_dual_mov_b32 v85, v95
	s_delay_alu instid0(VALU_DEP_1)
	v_pk_add_f32 v[82:83], v[82:83], v[84:85] neg_lo:[0,1] neg_hi:[0,1]
.LBB76_797:
	s_or_b32 exec_lo, exec_lo, s0
	v_lshl_add_u32 v84, v92, 3, v88
	s_barrier_signal -1
	s_barrier_wait -1
	ds_store_b64 v84, v[82:83]
	s_wait_dscnt 0x0
	s_barrier_signal -1
	s_barrier_wait -1
	ds_load_b64 v[84:85], v88 offset:304
	v_mov_b32_e32 v86, 38
	s_cmp_lt_i32 s18, 40
	s_cbranch_scc1 .LBB76_800
; %bb.798:
	v_add3_u32 v87, v89, 0, 0x138
	v_mov_b32_e32 v86, 38
	s_mov_b32 s0, 39
.LBB76_799:                             ; =>This Inner Loop Header: Depth=1
	ds_load_b64 v[88:89], v87
	s_wait_dscnt 0x1
	v_cmp_gt_f32_e32 vcc_lo, 0, v84
	v_cndmask_b32_e64 v94, v84, -v84, vcc_lo
	v_cmp_gt_f32_e32 vcc_lo, 0, v85
	v_cndmask_b32_e64 v96, v85, -v85, vcc_lo
	s_wait_dscnt 0x0
	v_cmp_gt_f32_e32 vcc_lo, 0, v88
	v_cndmask_b32_e64 v95, v88, -v88, vcc_lo
	v_cmp_gt_f32_e32 vcc_lo, 0, v89
	v_cndmask_b32_e64 v97, v89, -v89, vcc_lo
	s_delay_alu instid0(VALU_DEP_1) | instskip(NEXT) | instid1(VALU_DEP_1)
	v_pk_add_f32 v[94:95], v[94:95], v[96:97]
	v_cmp_lt_f32_e32 vcc_lo, v94, v95
	v_dual_add_nc_u32 v87, 8, v87 :: v_dual_cndmask_b32 v85, v85, v89, vcc_lo
	v_cndmask_b32_e32 v84, v84, v88, vcc_lo
	v_cndmask_b32_e64 v86, v86, s0, vcc_lo
	s_add_co_i32 s0, s0, 1
	s_delay_alu instid0(SALU_CYCLE_1)
	s_cmp_lg_u32 s18, s0
	s_cbranch_scc1 .LBB76_799
.LBB76_800:
	s_wait_dscnt 0x0
	v_cmp_eq_f32_e32 vcc_lo, 0, v84
	v_cmp_eq_f32_e64 s0, 0, v85
	s_and_b32 s0, vcc_lo, s0
	s_delay_alu instid0(SALU_CYCLE_1) | instskip(NEXT) | instid1(SALU_CYCLE_1)
	s_and_saveexec_b32 s1, s0
	s_xor_b32 s0, exec_lo, s1
; %bb.801:
	v_cmp_ne_u32_e32 vcc_lo, 0, v90
	v_cndmask_b32_e32 v90, 39, v90, vcc_lo
; %bb.802:
	s_and_not1_saveexec_b32 s0, s0
	s_cbranch_execz .LBB76_808
; %bb.803:
	v_cmp_ngt_f32_e64 s1, |v84|, |v85|
	s_and_saveexec_b32 s12, s1
	s_delay_alu instid0(SALU_CYCLE_1)
	s_xor_b32 s1, exec_lo, s12
	s_cbranch_execz .LBB76_805
; %bb.804:
	v_div_scale_f32 v87, null, v85, v85, v84
	v_div_scale_f32 v93, vcc_lo, v84, v85, v84
	s_delay_alu instid0(VALU_DEP_2) | instskip(SKIP_1) | instid1(TRANS32_DEP_1)
	v_rcp_f32_e32 v88, v87
	v_nop
	v_fma_f32 v89, -v87, v88, 1.0
	s_delay_alu instid0(VALU_DEP_1) | instskip(NEXT) | instid1(VALU_DEP_1)
	v_fmac_f32_e32 v88, v89, v88
	v_mul_f32_e32 v89, v93, v88
	s_delay_alu instid0(VALU_DEP_1) | instskip(NEXT) | instid1(VALU_DEP_1)
	v_fma_f32 v94, -v87, v89, v93
	v_fmac_f32_e32 v89, v94, v88
	s_delay_alu instid0(VALU_DEP_1) | instskip(NEXT) | instid1(VALU_DEP_1)
	v_fma_f32 v87, -v87, v89, v93
	v_div_fmas_f32 v87, v87, v88, v89
	s_delay_alu instid0(VALU_DEP_1) | instskip(NEXT) | instid1(VALU_DEP_1)
	v_div_fixup_f32 v87, v87, v85, v84
	v_fmac_f32_e32 v85, v84, v87
	s_delay_alu instid0(VALU_DEP_1) | instskip(SKIP_1) | instid1(VALU_DEP_2)
	v_div_scale_f32 v84, null, v85, v85, 1.0
	v_div_scale_f32 v93, vcc_lo, 1.0, v85, 1.0
	v_rcp_f32_e32 v88, v84
	v_nop
	s_delay_alu instid0(TRANS32_DEP_1) | instskip(NEXT) | instid1(VALU_DEP_1)
	v_fma_f32 v89, -v84, v88, 1.0
	v_fmac_f32_e32 v88, v89, v88
	s_delay_alu instid0(VALU_DEP_1) | instskip(NEXT) | instid1(VALU_DEP_1)
	v_mul_f32_e32 v89, v93, v88
	v_fma_f32 v94, -v84, v89, v93
	s_delay_alu instid0(VALU_DEP_1) | instskip(NEXT) | instid1(VALU_DEP_1)
	v_fmac_f32_e32 v89, v94, v88
	v_fma_f32 v84, -v84, v89, v93
	s_delay_alu instid0(VALU_DEP_1) | instskip(NEXT) | instid1(VALU_DEP_1)
	v_div_fmas_f32 v84, v84, v88, v89
	v_div_fixup_f32 v85, v84, v85, 1.0
	s_delay_alu instid0(VALU_DEP_1)
	v_mul_f32_e32 v84, v87, v85
	v_xor_b32_e32 v85, 0x80000000, v85
.LBB76_805:
	s_and_not1_saveexec_b32 s1, s1
	s_cbranch_execz .LBB76_807
; %bb.806:
	s_delay_alu instid0(VALU_DEP_1) | instskip(SKIP_1) | instid1(VALU_DEP_2)
	v_div_scale_f32 v87, null, v84, v84, v85
	v_div_scale_f32 v93, vcc_lo, v85, v84, v85
	v_rcp_f32_e32 v88, v87
	v_nop
	s_delay_alu instid0(TRANS32_DEP_1) | instskip(NEXT) | instid1(VALU_DEP_1)
	v_fma_f32 v89, -v87, v88, 1.0
	v_fmac_f32_e32 v88, v89, v88
	s_delay_alu instid0(VALU_DEP_1) | instskip(NEXT) | instid1(VALU_DEP_1)
	v_mul_f32_e32 v89, v93, v88
	v_fma_f32 v94, -v87, v89, v93
	s_delay_alu instid0(VALU_DEP_1) | instskip(NEXT) | instid1(VALU_DEP_1)
	v_fmac_f32_e32 v89, v94, v88
	v_fma_f32 v87, -v87, v89, v93
	s_delay_alu instid0(VALU_DEP_1) | instskip(NEXT) | instid1(VALU_DEP_1)
	v_div_fmas_f32 v87, v87, v88, v89
	v_div_fixup_f32 v87, v87, v84, v85
	s_delay_alu instid0(VALU_DEP_1) | instskip(NEXT) | instid1(VALU_DEP_1)
	v_fmac_f32_e32 v84, v85, v87
	v_div_scale_f32 v85, null, v84, v84, 1.0
	s_delay_alu instid0(VALU_DEP_1) | instskip(SKIP_1) | instid1(TRANS32_DEP_1)
	v_rcp_f32_e32 v88, v85
	v_nop
	v_fma_f32 v89, -v85, v88, 1.0
	s_delay_alu instid0(VALU_DEP_1) | instskip(SKIP_1) | instid1(VALU_DEP_1)
	v_fmac_f32_e32 v88, v89, v88
	v_div_scale_f32 v89, vcc_lo, 1.0, v84, 1.0
	v_mul_f32_e32 v93, v89, v88
	s_delay_alu instid0(VALU_DEP_1) | instskip(NEXT) | instid1(VALU_DEP_1)
	v_fma_f32 v94, -v85, v93, v89
	v_fmac_f32_e32 v93, v94, v88
	s_delay_alu instid0(VALU_DEP_1) | instskip(NEXT) | instid1(VALU_DEP_1)
	v_fma_f32 v85, -v85, v93, v89
	v_div_fmas_f32 v85, v85, v88, v93
	s_delay_alu instid0(VALU_DEP_1) | instskip(NEXT) | instid1(VALU_DEP_1)
	v_div_fixup_f32 v84, v85, v84, 1.0
	v_mul_f32_e64 v85, v87, -v84
.LBB76_807:
	s_or_b32 exec_lo, exec_lo, s1
.LBB76_808:
	s_delay_alu instid0(SALU_CYCLE_1)
	s_or_b32 exec_lo, exec_lo, s0
	v_mov_b32_e32 v88, 38
	s_mov_b32 s0, exec_lo
	v_cmpx_ne_u32_e64 v92, v86
	s_cbranch_execz .LBB76_814
; %bb.809:
	s_mov_b32 s1, exec_lo
	v_cmpx_eq_u32_e32 38, v92
	s_cbranch_execz .LBB76_813
; %bb.810:
	v_cmp_ne_u32_e32 vcc_lo, 38, v86
	s_xor_b32 s12, s16, -1
	s_delay_alu instid0(SALU_CYCLE_1) | instskip(NEXT) | instid1(SALU_CYCLE_1)
	s_and_b32 s13, s12, vcc_lo
	s_and_saveexec_b32 s12, s13
	s_cbranch_execz .LBB76_812
; %bb.811:
	v_ashrrev_i32_e32 v87, 31, v86
	s_delay_alu instid0(VALU_DEP_1)
	v_lshl_add_u64 v[88:89], v[86:87], 2, v[4:5]
	s_clause 0x1
	global_load_b32 v87, v[88:89], off
	global_load_b32 v91, v[4:5], off offset:152
	s_wait_loadcnt 0x1
	global_store_b32 v[4:5], v87, off offset:152
	s_wait_loadcnt 0x0
	global_store_b32 v[88:89], v91, off
.LBB76_812:
	s_wait_xcnt 0x0
	s_or_b32 exec_lo, exec_lo, s12
	v_dual_mov_b32 v92, v86 :: v_dual_mov_b32 v91, v86
.LBB76_813:
	s_or_b32 exec_lo, exec_lo, s1
	s_delay_alu instid0(VALU_DEP_1)
	v_mov_b32_e32 v88, v92
.LBB76_814:
	s_or_b32 exec_lo, exec_lo, s0
	s_delay_alu instid0(VALU_DEP_1)
	v_ashrrev_i32_e32 v89, 31, v88
	s_mov_b32 s0, exec_lo
	s_wait_storecnt 0x0
	s_barrier_signal -1
	s_barrier_wait -1
	s_barrier_signal -1
	s_barrier_wait -1
	v_cmpx_gt_i32_e32 39, v88
	s_cbranch_execz .LBB76_816
; %bb.815:
	v_mul_u64_e32 v[4:5], s[10:11], v[2:3]
	v_add3_u32 v86, v91, s17, 1
	s_delay_alu instid0(VALU_DEP_2) | instskip(NEXT) | instid1(VALU_DEP_1)
	v_lshl_add_u64 v[4:5], v[4:5], 2, s[6:7]
	v_lshl_add_u64 v[4:5], s[8:9], 2, v[4:5]
	s_delay_alu instid0(VALU_DEP_1)
	v_lshl_add_u64 v[4:5], v[88:89], 2, v[4:5]
	global_store_b32 v[4:5], v86, off
.LBB76_816:
	s_wait_xcnt 0x0
	s_or_b32 exec_lo, exec_lo, s0
	s_delay_alu instid0(SALU_CYCLE_1)
	s_mov_b32 s1, exec_lo
	v_cmpx_eq_u32_e32 0, v88
	s_cbranch_execz .LBB76_819
; %bb.817:
	s_wait_kmcnt 0x0
	v_lshl_add_u64 v[2:3], v[2:3], 2, s[4:5]
	v_cmp_ne_u32_e64 s0, 0, v90
	global_load_b32 v4, v[2:3], off
	s_wait_loadcnt 0x0
	v_cmp_eq_u32_e32 vcc_lo, 0, v4
	s_and_b32 s0, vcc_lo, s0
	s_wait_xcnt 0x0
	s_and_b32 exec_lo, exec_lo, s0
	s_cbranch_execz .LBB76_819
; %bb.818:
	v_add_nc_u32_e32 v4, s17, v90
	global_store_b32 v[2:3], v4, off
.LBB76_819:
	s_wait_xcnt 0x0
	s_or_b32 exec_lo, exec_lo, s1
	v_add3_u32 v4, s2, s2, v88
	v_pk_mul_f32 v[2:3], v[84:85], v[82:83] op_sel:[1,1] op_sel_hi:[0,1]
	v_cmp_lt_i32_e32 vcc_lo, 38, v88
	s_delay_alu instid0(VALU_DEP_3) | instskip(NEXT) | instid1(VALU_DEP_3)
	v_add_nc_u32_e32 v86, s2, v4
	v_pk_fma_f32 v[106:107], v[84:85], v[82:83], v[2:3] op_sel_hi:[1,0,1]
	v_pk_fma_f32 v[2:3], v[84:85], v[82:83], v[2:3] neg_lo:[0,0,1] neg_hi:[0,0,1]
	v_lshl_add_u64 v[84:85], v[88:89], 3, v[0:1]
	s_delay_alu instid0(VALU_DEP_4) | instskip(NEXT) | instid1(VALU_DEP_3)
	v_dual_ashrrev_i32 v5, 31, v4 :: v_dual_add_nc_u32 v90, s2, v86
	v_dual_cndmask_b32 v3, v83, v107 :: v_dual_cndmask_b32 v2, v82, v2
	s_delay_alu instid0(VALU_DEP_3)
	v_lshl_add_u64 v[82:83], s[2:3], 3, v[84:85]
	s_clause 0x1
	global_store_b64 v[84:85], v[78:79], off
	global_store_b64 v[82:83], v[80:81], off
	v_add_nc_u32_e32 v92, s2, v90
	v_ashrrev_i32_e32 v87, 31, v86
	v_lshl_add_u64 v[4:5], v[4:5], 3, v[0:1]
	s_delay_alu instid0(VALU_DEP_3) | instskip(SKIP_3) | instid1(VALU_DEP_3)
	v_dual_add_nc_u32 v94, s2, v92 :: v_dual_ashrrev_i32 v91, 31, v90
	v_ashrrev_i32_e32 v93, 31, v92
	s_wait_xcnt 0x0
	v_lshl_add_u64 v[82:83], v[86:87], 3, v[0:1]
	v_add_nc_u32_e32 v96, s2, v94
	v_lshl_add_u64 v[84:85], v[90:91], 3, v[0:1]
	v_lshl_add_u64 v[86:87], v[92:93], 3, v[0:1]
	s_clause 0x3
	global_store_b64 v[4:5], v[76:77], off
	global_store_b64 v[82:83], v[74:75], off
	;; [unrolled: 1-line block ×4, first 2 shown]
	v_dual_add_nc_u32 v98, s2, v96 :: v_dual_ashrrev_i32 v95, 31, v94
	s_delay_alu instid0(VALU_DEP_1) | instskip(SKIP_1) | instid1(VALU_DEP_2)
	v_add_nc_u32_e32 v100, s2, v98
	s_wait_xcnt 0x1
	v_lshl_add_u64 v[52:53], v[94:95], 3, v[0:1]
	s_delay_alu instid0(VALU_DEP_2) | instskip(NEXT) | instid1(VALU_DEP_1)
	v_add_nc_u32_e32 v102, s2, v100
	v_dual_ashrrev_i32 v97, 31, v96 :: v_dual_add_nc_u32 v104, s2, v102
	s_delay_alu instid0(VALU_DEP_1) | instskip(NEXT) | instid1(VALU_DEP_2)
	v_lshl_add_u64 v[74:75], v[96:97], 3, v[0:1]
	v_dual_ashrrev_i32 v103, 31, v102 :: v_dual_add_nc_u32 v88, s2, v104
	v_ashrrev_i32_e32 v101, 31, v100
	v_ashrrev_i32_e32 v105, 31, v104
	s_delay_alu instid0(VALU_DEP_3) | instskip(NEXT) | instid1(VALU_DEP_3)
	v_add_nc_u32_e32 v106, s2, v88
	v_lshl_add_u64 v[82:83], v[100:101], 3, v[0:1]
	s_delay_alu instid0(VALU_DEP_2) | instskip(SKIP_1) | instid1(VALU_DEP_1)
	v_dual_ashrrev_i32 v89, 31, v88 :: v_dual_ashrrev_i32 v107, 31, v106
	v_add_nc_u32_e32 v78, s2, v106
	v_dual_add_nc_u32 v80, s2, v78 :: v_dual_ashrrev_i32 v79, 31, v78
	s_delay_alu instid0(VALU_DEP_1) | instskip(NEXT) | instid1(VALU_DEP_1)
	v_dual_add_nc_u32 v90, s2, v80 :: v_dual_ashrrev_i32 v81, 31, v80
	v_add_nc_u32_e32 v4, s2, v90
	v_ashrrev_i32_e32 v99, 31, v98
	s_wait_xcnt 0x0
	s_delay_alu instid0(VALU_DEP_2) | instskip(NEXT) | instid1(VALU_DEP_2)
	v_dual_ashrrev_i32 v91, 31, v90 :: v_dual_add_nc_u32 v50, s2, v4
	v_lshl_add_u64 v[76:77], v[98:99], 3, v[0:1]
	s_clause 0x3
	global_store_b64 v[52:53], v[14:15], off
	global_store_b64 v[74:75], v[12:13], off
	;; [unrolled: 1-line block ×4, first 2 shown]
	v_add_nc_u32_e32 v84, s2, v50
	s_wait_xcnt 0x3
	v_lshl_add_u64 v[52:53], v[102:103], 3, v[0:1]
	s_wait_xcnt 0x0
	v_lshl_add_u64 v[54:55], v[104:105], 3, v[0:1]
	v_lshl_add_u64 v[56:57], v[88:89], 3, v[0:1]
	;; [unrolled: 1-line block ×3, first 2 shown]
	v_add_nc_u32_e32 v12, s2, v84
	s_clause 0x3
	global_store_b64 v[52:53], v[18:19], off
	global_store_b64 v[54:55], v[16:17], off
	;; [unrolled: 1-line block ×4, first 2 shown]
	s_wait_xcnt 0x3
	v_lshl_add_u64 v[52:53], v[78:79], 3, v[0:1]
	s_wait_xcnt 0x2
	v_lshl_add_u64 v[54:55], v[80:81], 3, v[0:1]
	v_dual_ashrrev_i32 v51, 31, v50 :: v_dual_ashrrev_i32 v85, 31, v84
	v_dual_add_nc_u32 v14, s2, v12 :: v_dual_ashrrev_i32 v13, 31, v12
	s_wait_xcnt 0x1
	v_lshl_add_u64 v[56:57], v[90:91], 3, v[0:1]
	s_delay_alu instid0(VALU_DEP_2) | instskip(NEXT) | instid1(VALU_DEP_3)
	v_dual_add_nc_u32 v76, s2, v14 :: v_dual_ashrrev_i32 v15, 31, v14
	v_lshl_add_u64 v[12:13], v[12:13], 3, v[0:1]
	s_delay_alu instid0(VALU_DEP_2) | instskip(NEXT) | instid1(VALU_DEP_3)
	v_add_nc_u32_e32 v16, s2, v76
	v_lshl_add_u64 v[14:15], v[14:15], 3, v[0:1]
	s_delay_alu instid0(VALU_DEP_2) | instskip(SKIP_2) | instid1(VALU_DEP_2)
	v_add_nc_u32_e32 v18, s2, v16
	v_ashrrev_i32_e32 v5, 31, v4
	s_wait_xcnt 0x0
	v_dual_ashrrev_i32 v17, 31, v16 :: v_dual_add_nc_u32 v70, s2, v18
	s_delay_alu instid0(VALU_DEP_2)
	v_lshl_add_u64 v[4:5], v[4:5], 3, v[0:1]
	s_clause 0x3
	global_store_b64 v[52:53], v[38:39], off
	global_store_b64 v[54:55], v[36:37], off
	;; [unrolled: 1-line block ×4, first 2 shown]
	s_wait_xcnt 0x3
	v_lshl_add_u64 v[38:39], v[50:51], 3, v[0:1]
	s_wait_xcnt 0x0
	v_add_nc_u32_e32 v4, s2, v70
	v_ashrrev_i32_e32 v19, 31, v18
	v_lshl_add_u64 v[50:51], v[84:85], 3, v[0:1]
	s_clause 0x3
	global_store_b64 v[38:39], v[32:33], off
	global_store_b64 v[50:51], v[30:31], off
	;; [unrolled: 1-line block ×4, first 2 shown]
	v_dual_add_nc_u32 v36, s2, v4 :: v_dual_ashrrev_i32 v71, 31, v70
	v_lshl_add_u64 v[16:17], v[16:17], 3, v[0:1]
	v_lshl_add_u64 v[18:19], v[18:19], 3, v[0:1]
	s_delay_alu instid0(VALU_DEP_3) | instskip(SKIP_3) | instid1(VALU_DEP_2)
	v_add_nc_u32_e32 v52, s2, v36
	s_wait_xcnt 0x3
	v_lshl_add_u64 v[32:33], v[70:71], 3, v[0:1]
	s_wait_xcnt 0x1
	v_add_nc_u32_e32 v12, s2, v52
	s_wait_xcnt 0x0
	s_delay_alu instid0(VALU_DEP_1) | instskip(NEXT) | instid1(VALU_DEP_1)
	v_add_nc_u32_e32 v14, s2, v12
	v_dual_add_nc_u32 v38, s2, v14 :: v_dual_ashrrev_i32 v77, 31, v76
	v_ashrrev_i32_e32 v13, 31, v12
	v_dual_ashrrev_i32 v53, 31, v52 :: v_dual_ashrrev_i32 v15, 31, v14
	s_delay_alu instid0(VALU_DEP_3)
	v_lshl_add_u64 v[30:31], v[76:77], 3, v[0:1]
	s_clause 0x3
	global_store_b64 v[30:31], v[28:29], off
	global_store_b64 v[16:17], v[26:27], off
	;; [unrolled: 1-line block ×4, first 2 shown]
	s_wait_xcnt 0x2
	v_add_nc_u32_e32 v16, s2, v38
	v_lshl_add_u64 v[28:29], v[52:53], 3, v[0:1]
	v_lshl_add_u64 v[12:13], v[12:13], 3, v[0:1]
	v_ashrrev_i32_e32 v39, 31, v38
	v_lshl_add_u64 v[14:15], v[14:15], 3, v[0:1]
	s_wait_xcnt 0x1
	v_add_nc_u32_e32 v18, s2, v16
	v_ashrrev_i32_e32 v5, 31, v4
	s_delay_alu instid0(VALU_DEP_2) | instskip(SKIP_1) | instid1(VALU_DEP_3)
	v_dual_ashrrev_i32 v17, 31, v16 :: v_dual_add_nc_u32 v30, s2, v18
	v_ashrrev_i32_e32 v37, 31, v36
	v_lshl_add_u64 v[4:5], v[4:5], 3, v[0:1]
	s_delay_alu instid0(VALU_DEP_3) | instskip(NEXT) | instid1(VALU_DEP_4)
	v_lshl_add_u64 v[16:17], v[16:17], 3, v[0:1]
	v_ashrrev_i32_e32 v31, 31, v30
	s_delay_alu instid0(VALU_DEP_4)
	v_lshl_add_u64 v[26:27], v[36:37], 3, v[0:1]
	s_clause 0x3
	global_store_b64 v[4:5], v[24:25], off
	global_store_b64 v[26:27], v[22:23], off
	;; [unrolled: 1-line block ×4, first 2 shown]
	s_wait_xcnt 0x3
	v_add_nc_u32_e32 v4, s2, v30
	v_ashrrev_i32_e32 v19, 31, v18
	s_wait_xcnt 0x2
	v_lshl_add_u64 v[22:23], v[38:39], 3, v[0:1]
	s_wait_xcnt 0x0
	v_add_nc_u32_e32 v12, s2, v4
	v_lshl_add_u64 v[18:19], v[18:19], 3, v[0:1]
	s_clause 0x3
	global_store_b64 v[14:15], v[10:11], off
	global_store_b64 v[22:23], v[6:7], off
	;; [unrolled: 1-line block ×4, first 2 shown]
	s_wait_xcnt 0x3
	v_lshl_add_u64 v[10:11], v[30:31], 3, v[0:1]
	v_dual_add_nc_u32 v24, s2, v12 :: v_dual_ashrrev_i32 v13, 31, v12
	s_wait_xcnt 0x2
	s_delay_alu instid0(VALU_DEP_1) | instskip(SKIP_1) | instid1(VALU_DEP_3)
	v_dual_add_nc_u32 v6, s2, v24 :: v_dual_ashrrev_i32 v25, 31, v24
	v_ashrrev_i32_e32 v5, 31, v4
	v_lshl_add_u64 v[12:13], v[12:13], 3, v[0:1]
	s_delay_alu instid0(VALU_DEP_3) | instskip(NEXT) | instid1(VALU_DEP_4)
	v_ashrrev_i32_e32 v7, 31, v6
	v_lshl_add_u64 v[14:15], v[24:25], 3, v[0:1]
	s_delay_alu instid0(VALU_DEP_4) | instskip(NEXT) | instid1(VALU_DEP_3)
	v_lshl_add_u64 v[4:5], v[4:5], 3, v[0:1]
	v_lshl_add_u64 v[0:1], v[6:7], 3, v[0:1]
	s_clause 0x4
	global_store_b64 v[10:11], v[8:9], off
	global_store_b64 v[4:5], v[40:41], off
	;; [unrolled: 1-line block ×5, first 2 shown]
.LBB76_820:
	s_sendmsg sendmsg(MSG_DEALLOC_VGPRS)
	s_endpgm
	.section	.rodata,"a",@progbits
	.p2align	6, 0x0
	.amdhsa_kernel _ZN9rocsolver6v33100L18getf2_small_kernelILi39E19rocblas_complex_numIfEiiPS3_EEvT1_T3_lS5_lPS5_llPT2_S5_S5_S7_l
		.amdhsa_group_segment_fixed_size 0
		.amdhsa_private_segment_fixed_size 0
		.amdhsa_kernarg_size 352
		.amdhsa_user_sgpr_count 2
		.amdhsa_user_sgpr_dispatch_ptr 0
		.amdhsa_user_sgpr_queue_ptr 0
		.amdhsa_user_sgpr_kernarg_segment_ptr 1
		.amdhsa_user_sgpr_dispatch_id 0
		.amdhsa_user_sgpr_kernarg_preload_length 0
		.amdhsa_user_sgpr_kernarg_preload_offset 0
		.amdhsa_user_sgpr_private_segment_size 0
		.amdhsa_wavefront_size32 1
		.amdhsa_uses_dynamic_stack 0
		.amdhsa_enable_private_segment 0
		.amdhsa_system_sgpr_workgroup_id_x 1
		.amdhsa_system_sgpr_workgroup_id_y 1
		.amdhsa_system_sgpr_workgroup_id_z 0
		.amdhsa_system_sgpr_workgroup_info 0
		.amdhsa_system_vgpr_workitem_id 1
		.amdhsa_next_free_vgpr 112
		.amdhsa_next_free_sgpr 19
		.amdhsa_named_barrier_count 0
		.amdhsa_reserve_vcc 1
		.amdhsa_float_round_mode_32 0
		.amdhsa_float_round_mode_16_64 0
		.amdhsa_float_denorm_mode_32 3
		.amdhsa_float_denorm_mode_16_64 3
		.amdhsa_fp16_overflow 0
		.amdhsa_memory_ordered 1
		.amdhsa_forward_progress 1
		.amdhsa_inst_pref_size 255
		.amdhsa_round_robin_scheduling 0
		.amdhsa_exception_fp_ieee_invalid_op 0
		.amdhsa_exception_fp_denorm_src 0
		.amdhsa_exception_fp_ieee_div_zero 0
		.amdhsa_exception_fp_ieee_overflow 0
		.amdhsa_exception_fp_ieee_underflow 0
		.amdhsa_exception_fp_ieee_inexact 0
		.amdhsa_exception_int_div_zero 0
	.end_amdhsa_kernel
	.section	.text._ZN9rocsolver6v33100L18getf2_small_kernelILi39E19rocblas_complex_numIfEiiPS3_EEvT1_T3_lS5_lPS5_llPT2_S5_S5_S7_l,"axG",@progbits,_ZN9rocsolver6v33100L18getf2_small_kernelILi39E19rocblas_complex_numIfEiiPS3_EEvT1_T3_lS5_lPS5_llPT2_S5_S5_S7_l,comdat
.Lfunc_end76:
	.size	_ZN9rocsolver6v33100L18getf2_small_kernelILi39E19rocblas_complex_numIfEiiPS3_EEvT1_T3_lS5_lPS5_llPT2_S5_S5_S7_l, .Lfunc_end76-_ZN9rocsolver6v33100L18getf2_small_kernelILi39E19rocblas_complex_numIfEiiPS3_EEvT1_T3_lS5_lPS5_llPT2_S5_S5_S7_l
                                        ; -- End function
	.set _ZN9rocsolver6v33100L18getf2_small_kernelILi39E19rocblas_complex_numIfEiiPS3_EEvT1_T3_lS5_lPS5_llPT2_S5_S5_S7_l.num_vgpr, 112
	.set _ZN9rocsolver6v33100L18getf2_small_kernelILi39E19rocblas_complex_numIfEiiPS3_EEvT1_T3_lS5_lPS5_llPT2_S5_S5_S7_l.num_agpr, 0
	.set _ZN9rocsolver6v33100L18getf2_small_kernelILi39E19rocblas_complex_numIfEiiPS3_EEvT1_T3_lS5_lPS5_llPT2_S5_S5_S7_l.numbered_sgpr, 19
	.set _ZN9rocsolver6v33100L18getf2_small_kernelILi39E19rocblas_complex_numIfEiiPS3_EEvT1_T3_lS5_lPS5_llPT2_S5_S5_S7_l.num_named_barrier, 0
	.set _ZN9rocsolver6v33100L18getf2_small_kernelILi39E19rocblas_complex_numIfEiiPS3_EEvT1_T3_lS5_lPS5_llPT2_S5_S5_S7_l.private_seg_size, 0
	.set _ZN9rocsolver6v33100L18getf2_small_kernelILi39E19rocblas_complex_numIfEiiPS3_EEvT1_T3_lS5_lPS5_llPT2_S5_S5_S7_l.uses_vcc, 1
	.set _ZN9rocsolver6v33100L18getf2_small_kernelILi39E19rocblas_complex_numIfEiiPS3_EEvT1_T3_lS5_lPS5_llPT2_S5_S5_S7_l.uses_flat_scratch, 0
	.set _ZN9rocsolver6v33100L18getf2_small_kernelILi39E19rocblas_complex_numIfEiiPS3_EEvT1_T3_lS5_lPS5_llPT2_S5_S5_S7_l.has_dyn_sized_stack, 0
	.set _ZN9rocsolver6v33100L18getf2_small_kernelILi39E19rocblas_complex_numIfEiiPS3_EEvT1_T3_lS5_lPS5_llPT2_S5_S5_S7_l.has_recursion, 0
	.set _ZN9rocsolver6v33100L18getf2_small_kernelILi39E19rocblas_complex_numIfEiiPS3_EEvT1_T3_lS5_lPS5_llPT2_S5_S5_S7_l.has_indirect_call, 0
	.section	.AMDGPU.csdata,"",@progbits
; Kernel info:
; codeLenInByte = 82280
; TotalNumSgprs: 21
; NumVgprs: 112
; ScratchSize: 0
; MemoryBound: 0
; FloatMode: 240
; IeeeMode: 1
; LDSByteSize: 0 bytes/workgroup (compile time only)
; SGPRBlocks: 0
; VGPRBlocks: 6
; NumSGPRsForWavesPerEU: 21
; NumVGPRsForWavesPerEU: 112
; NamedBarCnt: 0
; Occupancy: 9
; WaveLimiterHint : 0
; COMPUTE_PGM_RSRC2:SCRATCH_EN: 0
; COMPUTE_PGM_RSRC2:USER_SGPR: 2
; COMPUTE_PGM_RSRC2:TRAP_HANDLER: 0
; COMPUTE_PGM_RSRC2:TGID_X_EN: 1
; COMPUTE_PGM_RSRC2:TGID_Y_EN: 1
; COMPUTE_PGM_RSRC2:TGID_Z_EN: 0
; COMPUTE_PGM_RSRC2:TIDIG_COMP_CNT: 1
	.section	.text._ZN9rocsolver6v33100L23getf2_npvt_small_kernelILi39E19rocblas_complex_numIfEiiPS3_EEvT1_T3_lS5_lPT2_S5_S5_,"axG",@progbits,_ZN9rocsolver6v33100L23getf2_npvt_small_kernelILi39E19rocblas_complex_numIfEiiPS3_EEvT1_T3_lS5_lPT2_S5_S5_,comdat
	.globl	_ZN9rocsolver6v33100L23getf2_npvt_small_kernelILi39E19rocblas_complex_numIfEiiPS3_EEvT1_T3_lS5_lPT2_S5_S5_ ; -- Begin function _ZN9rocsolver6v33100L23getf2_npvt_small_kernelILi39E19rocblas_complex_numIfEiiPS3_EEvT1_T3_lS5_lPT2_S5_S5_
	.p2align	8
	.type	_ZN9rocsolver6v33100L23getf2_npvt_small_kernelILi39E19rocblas_complex_numIfEiiPS3_EEvT1_T3_lS5_lPT2_S5_S5_,@function
_ZN9rocsolver6v33100L23getf2_npvt_small_kernelILi39E19rocblas_complex_numIfEiiPS3_EEvT1_T3_lS5_lPT2_S5_S5_: ; @_ZN9rocsolver6v33100L23getf2_npvt_small_kernelILi39E19rocblas_complex_numIfEiiPS3_EEvT1_T3_lS5_lPT2_S5_S5_
; %bb.0:
	s_clause 0x1
	s_load_u16 s14, s[0:1], 0x46
	s_load_b64 s[2:3], s[0:1], 0x30
	s_bfe_u32 s4, ttmp6, 0x40010
	s_bfe_u32 s5, ttmp6, 0x40004
	s_add_co_i32 s4, s4, 1
	s_getreg_b32 s6, hwreg(HW_REG_IB_STS2, 6, 4)
	s_mul_i32 s4, ttmp7, s4
	v_bfe_u32 v158, v0, 10, 10
	s_add_co_i32 s5, s5, s4
	s_cmp_eq_u32 s6, 0
	s_cselect_b32 s4, ttmp7, s5
	s_wait_kmcnt 0x0
	v_mad_u32 v2, s4, s14, v158
	s_delay_alu instid0(VALU_DEP_1)
	v_cmp_gt_i32_e32 vcc_lo, s2, v2
	s_and_saveexec_b32 s2, vcc_lo
	s_cbranch_execz .LBB77_354
; %bb.1:
	s_clause 0x1
	s_load_b32 s12, s[0:1], 0x18
	s_load_b128 s[8:11], s[0:1], 0x8
	v_and_b32_e32 v236, 0x3ff, v0
	s_load_b128 s[4:7], s[0:1], 0x20
	s_mulk_i32 s14, 0x138
	v_mad_u32_u24 v238, 0x138, v158, 0
	v_ashrrev_i32_e32 v3, 31, v2
	s_wait_xcnt 0x0
	v_cmp_ne_u32_e64 s1, 0, v236
	v_cmp_eq_u32_e64 s0, 0, v236
	v_mov_b32_e32 v15, 0
	s_wait_kmcnt 0x0
	v_add3_u32 v6, s12, s12, v236
	s_ashr_i32 s13, s12, 31
	v_mul_u64_e32 v[12:13], s[4:5], v[2:3]
	s_delay_alu instid0(VALU_DEP_2) | instskip(NEXT) | instid1(VALU_DEP_1)
	v_dual_add_nc_u32 v0, s12, v6 :: v_dual_ashrrev_i32 v7, 31, v6
	v_add_nc_u32_e32 v4, s12, v0
	s_delay_alu instid0(VALU_DEP_1) | instskip(NEXT) | instid1(VALU_DEP_1)
	v_add_nc_u32_e32 v10, s12, v4
	v_dual_ashrrev_i32 v1, 31, v0 :: v_dual_ashrrev_i32 v11, 31, v10
	v_add_nc_u32_e32 v16, s12, v10
	s_delay_alu instid0(VALU_DEP_1) | instskip(NEXT) | instid1(VALU_DEP_1)
	v_add_nc_u32_e32 v8, s12, v16
	v_add_nc_u32_e32 v22, s12, v8
	v_lshl_add_u64 v[12:13], v[12:13], 3, s[8:9]
	s_delay_alu instid0(VALU_DEP_2) | instskip(NEXT) | instid1(VALU_DEP_2)
	v_add_nc_u32_e32 v24, s12, v22
	v_lshl_add_u64 v[122:123], s[10:11], 3, v[12:13]
	s_delay_alu instid0(VALU_DEP_2) | instskip(NEXT) | instid1(VALU_DEP_2)
	v_add_nc_u32_e32 v20, s12, v24
	v_lshl_add_u64 v[12:13], v[0:1], 3, v[122:123]
	s_delay_alu instid0(VALU_DEP_2) | instskip(SKIP_3) | instid1(VALU_DEP_4)
	v_add_nc_u32_e32 v30, s12, v20
	v_ashrrev_i32_e32 v25, 31, v24
	v_lshl_add_u64 v[0:1], v[10:11], 3, v[122:123]
	v_lshl_add_u64 v[6:7], v[6:7], 3, v[122:123]
	v_add_nc_u32_e32 v32, s12, v30
	v_ashrrev_i32_e32 v23, 31, v22
	v_ashrrev_i32_e32 v31, 31, v30
	scratch_store_b64 off, v[0:1], off      ; 8-byte Folded Spill
	v_add_nc_u32_e32 v38, s12, v32
	v_lshlrev_b32_e32 v14, 3, v236
	v_lshl_add_u64 v[10:11], v[22:23], 3, v[122:123]
	v_lshl_add_u64 v[30:31], v[30:31], 3, v[122:123]
	s_delay_alu instid0(VALU_DEP_4) | instskip(NEXT) | instid1(VALU_DEP_4)
	v_dual_add_nc_u32 v44, s12, v38 :: v_dual_ashrrev_i32 v39, 31, v38
	v_add_nc_u64_e32 v[18:19], v[122:123], v[14:15]
	s_delay_alu instid0(VALU_DEP_2) | instskip(SKIP_1) | instid1(VALU_DEP_4)
	v_add_nc_u32_e32 v46, s12, v44
	v_ashrrev_i32_e32 v5, 31, v4
	v_lshl_add_u64 v[38:39], v[38:39], 3, v[122:123]
	s_delay_alu instid0(VALU_DEP_4) | instskip(NEXT) | instid1(VALU_DEP_4)
	v_lshl_add_u64 v[34:35], s[12:13], 3, v[18:19]
	v_add_nc_u32_e32 v48, s12, v46
	s_delay_alu instid0(VALU_DEP_4) | instskip(NEXT) | instid1(VALU_DEP_2)
	v_lshl_add_u64 v[14:15], v[4:5], 3, v[122:123]
	v_dual_ashrrev_i32 v47, 31, v46 :: v_dual_add_nc_u32 v54, s12, v48
	v_ashrrev_i32_e32 v17, 31, v16
	global_load_b64 v[28:29], v[14:15], off
	v_lshl_add_u64 v[46:47], v[46:47], 3, v[122:123]
	v_add_nc_u32_e32 v56, s12, v54
	v_lshl_add_u64 v[4:5], v[16:17], 3, v[122:123]
	v_lshl_add_u64 v[16:17], v[24:25], 3, v[122:123]
	s_delay_alu instid0(VALU_DEP_3) | instskip(SKIP_2) | instid1(VALU_DEP_3)
	v_dual_ashrrev_i32 v55, 31, v54 :: v_dual_add_nc_u32 v58, s12, v56
	v_ashrrev_i32_e32 v9, 31, v8
	v_ashrrev_i32_e32 v45, 31, v44
	v_lshl_add_u64 v[54:55], v[54:55], 3, v[122:123]
	s_delay_alu instid0(VALU_DEP_4) | instskip(NEXT) | instid1(VALU_DEP_4)
	v_dual_add_nc_u32 v60, s12, v58 :: v_dual_ashrrev_i32 v59, 31, v58
	v_lshl_add_u64 v[8:9], v[8:9], 3, v[122:123]
	s_delay_alu instid0(VALU_DEP_4)
	v_lshl_add_u64 v[44:45], v[44:45], 3, v[122:123]
	s_clause 0x2
	global_load_b64 v[24:25], v[0:1], off
	global_load_b64 v[26:27], v[4:5], off
	;; [unrolled: 1-line block ×3, first 2 shown]
	v_add_nc_u32_e32 v62, s12, v60
	v_ashrrev_i32_e32 v21, 31, v20
	v_ashrrev_i32_e32 v49, 31, v48
	v_lshl_add_u64 v[58:59], v[58:59], 3, v[122:123]
	s_clause 0x3
	global_load_b64 v[50:51], v[18:19], off
	global_load_b64 v[52:53], v[34:35], off
	;; [unrolled: 1-line block ×4, first 2 shown]
	v_dual_add_nc_u32 v64, s12, v62 :: v_dual_ashrrev_i32 v63, 31, v62
	v_lshl_add_u64 v[48:49], v[48:49], 3, v[122:123]
	v_lshl_add_u64 v[20:21], v[20:21], 3, v[122:123]
	s_clause 0x3
	global_load_b64 v[36:37], v[10:11], off
	global_load_b64 v[74:75], v[16:17], off
	;; [unrolled: 1-line block ×4, first 2 shown]
	v_add_nc_u32_e32 v66, s12, v64
	v_ashrrev_i32_e32 v33, 31, v32
	v_lshl_add_u64 v[62:63], v[62:63], 3, v[122:123]
	s_wait_xcnt 0xa
	v_lshlrev_b32_e32 v0, 3, v158
	v_add_nc_u32_e32 v68, s12, v66
	v_lshl_add_u64 v[32:33], v[32:33], 3, v[122:123]
	s_clause 0x3
	global_load_b64 v[92:93], v[32:33], off
	global_load_b64 v[88:89], v[38:39], off
	;; [unrolled: 1-line block ×4, first 2 shown]
	v_add_nc_u32_e32 v78, s12, v68
	v_add3_u32 v237, 0, s14, v0
	s_delay_alu instid0(VALU_DEP_2) | instskip(NEXT) | instid1(VALU_DEP_1)
	v_dual_add_nc_u32 v80, s12, v78 :: v_dual_ashrrev_i32 v57, 31, v56
	v_dual_ashrrev_i32 v67, 31, v66 :: v_dual_add_nc_u32 v82, s12, v80
	s_delay_alu instid0(VALU_DEP_2) | instskip(NEXT) | instid1(VALU_DEP_2)
	v_lshl_add_u64 v[56:57], v[56:57], 3, v[122:123]
	v_lshl_add_u64 v[66:67], v[66:67], 3, v[122:123]
	s_clause 0x3
	global_load_b64 v[110:111], v[48:49], off
	global_load_b64 v[106:107], v[54:55], off
	;; [unrolled: 1-line block ×4, first 2 shown]
	v_dual_add_nc_u32 v84, s12, v82 :: v_dual_ashrrev_i32 v61, 31, v60
	s_delay_alu instid0(VALU_DEP_1) | instskip(NEXT) | instid1(VALU_DEP_2)
	v_dual_ashrrev_i32 v79, 31, v78 :: v_dual_add_nc_u32 v96, s12, v84
	v_lshl_add_u64 v[60:61], v[60:61], 3, v[122:123]
	s_delay_alu instid0(VALU_DEP_2) | instskip(NEXT) | instid1(VALU_DEP_3)
	v_lshl_add_u64 v[78:79], v[78:79], 3, v[122:123]
	v_add_nc_u32_e32 v98, s12, v96
	s_delay_alu instid0(VALU_DEP_1) | instskip(SKIP_2) | instid1(VALU_DEP_3)
	v_add_nc_u32_e32 v100, s12, v98
	v_dual_ashrrev_i32 v83, 31, v82 :: v_dual_ashrrev_i32 v97, 31, v96
	v_dual_ashrrev_i32 v69, 31, v68 :: v_dual_ashrrev_i32 v99, 31, v98
	v_dual_add_nc_u32 v102, s12, v100 :: v_dual_ashrrev_i32 v101, 31, v100
	v_ashrrev_i32_e32 v65, 31, v64
	v_ashrrev_i32_e32 v81, 31, v80
	s_delay_alu instid0(VALU_DEP_4) | instskip(NEXT) | instid1(VALU_DEP_4)
	v_lshl_add_u64 v[68:69], v[68:69], 3, v[122:123]
	v_dual_add_nc_u32 v112, s12, v102 :: v_dual_ashrrev_i32 v103, 31, v102
	v_lshl_add_u64 v[96:97], v[96:97], 3, v[122:123]
	v_lshl_add_u64 v[64:65], v[64:65], 3, v[122:123]
	;; [unrolled: 1-line block ×3, first 2 shown]
	s_delay_alu instid0(VALU_DEP_4) | instskip(SKIP_3) | instid1(VALU_DEP_4)
	v_dual_add_nc_u32 v124, s12, v112 :: v_dual_ashrrev_i32 v113, 31, v112
	v_lshl_add_u64 v[102:103], v[102:103], 3, v[122:123]
	v_lshl_add_u64 v[98:99], v[98:99], 3, v[122:123]
	;; [unrolled: 1-line block ×3, first 2 shown]
	v_add_nc_u32_e32 v126, s12, v124
	v_ashrrev_i32_e32 v85, 31, v84
	v_lshl_add_u64 v[112:113], v[112:113], 3, v[122:123]
	v_lshl_add_u64 v[100:101], v[100:101], 3, v[122:123]
	s_clause 0x3
	global_load_b64 v[136:137], v[60:61], off
	global_load_b64 v[132:133], v[62:63], off
	global_load_b64 v[134:135], v[64:65], off
	global_load_b64 v[104:105], v[66:67], off
	v_add_nc_u32_e32 v128, s12, v126
	v_lshl_add_u64 v[84:85], v[84:85], 3, v[122:123]
	s_clause 0x7
	global_load_b64 v[150:151], v[68:69], off
	global_load_b64 v[146:147], v[78:79], off
	;; [unrolled: 1-line block ×8, first 2 shown]
	v_add_nc_u32_e32 v130, s12, v128
	s_delay_alu instid0(VALU_DEP_1) | instskip(SKIP_2) | instid1(VALU_DEP_3)
	v_add_nc_u32_e32 v138, s12, v130
	v_dual_ashrrev_i32 v127, 31, v126 :: v_dual_ashrrev_i32 v125, 31, v124
	v_dual_ashrrev_i32 v131, 31, v130 :: v_dual_ashrrev_i32 v129, 31, v128
	v_ashrrev_i32_e32 v139, 31, v138
	s_delay_alu instid0(VALU_DEP_3) | instskip(NEXT) | instid1(VALU_DEP_4)
	v_lshl_add_u64 v[126:127], v[126:127], 3, v[122:123]
	v_lshl_add_u64 v[124:125], v[124:125], 3, v[122:123]
	s_delay_alu instid0(VALU_DEP_4)
	v_lshl_add_u64 v[130:131], v[130:131], 3, v[122:123]
	v_lshl_add_u64 v[128:129], v[128:129], 3, v[122:123]
	;; [unrolled: 1-line block ×3, first 2 shown]
	s_clause 0x6
	global_load_b64 v[142:143], v[102:103], off
	global_load_b64 v[138:139], v[112:113], off
	;; [unrolled: 1-line block ×7, first 2 shown]
	s_wait_xcnt 0x0
	s_and_saveexec_b32 s4, s0
	s_cbranch_execz .LBB77_8
; %bb.2:
	s_wait_loadcnt 0x22
	ds_store_b64 v237, v[50:51]
	s_wait_loadcnt 0x20
	ds_store_2addr_b64 v238, v[52:53], v[42:43] offset0:1 offset1:2
	s_wait_loadcnt 0x1f
	ds_store_2addr_b64 v238, v[40:41], v[28:29] offset0:3 offset1:4
	ds_store_2addr_b64 v238, v[24:25], v[26:27] offset0:5 offset1:6
	s_wait_loadcnt 0x1e
	ds_store_2addr_b64 v238, v[22:23], v[36:37] offset0:7 offset1:8
	s_wait_loadcnt 0x1c
	;; [unrolled: 2-line block ×16, first 2 shown]
	ds_store_2addr_b64 v238, v[144:145], v[156:157] offset0:37 offset1:38
	ds_load_b64 v[158:159], v237
	s_wait_dscnt 0x0
	v_cmp_neq_f32_e32 vcc_lo, 0, v158
	v_cmp_neq_f32_e64 s2, 0, v159
	s_or_b32 s2, vcc_lo, s2
	s_delay_alu instid0(SALU_CYCLE_1)
	s_and_b32 exec_lo, exec_lo, s2
	s_cbranch_execz .LBB77_8
; %bb.3:
	v_cmp_ngt_f32_e64 s2, |v158|, |v159|
                                        ; implicit-def: $vgpr160_vgpr161
	s_and_saveexec_b32 s5, s2
	s_delay_alu instid0(SALU_CYCLE_1)
	s_xor_b32 s2, exec_lo, s5
	s_cbranch_execz .LBB77_5
; %bb.4:
	v_div_scale_f32 v0, null, v159, v159, v158
	v_div_scale_f32 v161, vcc_lo, v158, v159, v158
	s_delay_alu instid0(VALU_DEP_2) | instskip(SKIP_1) | instid1(TRANS32_DEP_1)
	v_rcp_f32_e32 v1, v0
	v_nop
	v_fma_f32 v160, -v0, v1, 1.0
	s_delay_alu instid0(VALU_DEP_1) | instskip(NEXT) | instid1(VALU_DEP_1)
	v_fmac_f32_e32 v1, v160, v1
	v_mul_f32_e32 v160, v161, v1
	s_delay_alu instid0(VALU_DEP_1) | instskip(NEXT) | instid1(VALU_DEP_1)
	v_fma_f32 v162, -v0, v160, v161
	v_fmac_f32_e32 v160, v162, v1
	s_delay_alu instid0(VALU_DEP_1) | instskip(NEXT) | instid1(VALU_DEP_1)
	v_fma_f32 v0, -v0, v160, v161
	v_div_fmas_f32 v0, v0, v1, v160
	s_delay_alu instid0(VALU_DEP_1) | instskip(NEXT) | instid1(VALU_DEP_1)
	v_div_fixup_f32 v0, v0, v159, v158
	v_fmac_f32_e32 v159, v158, v0
	s_delay_alu instid0(VALU_DEP_1) | instskip(SKIP_1) | instid1(VALU_DEP_2)
	v_div_scale_f32 v1, null, v159, v159, 1.0
	v_div_scale_f32 v161, vcc_lo, 1.0, v159, 1.0
	v_rcp_f32_e32 v158, v1
	v_nop
	s_delay_alu instid0(TRANS32_DEP_1) | instskip(NEXT) | instid1(VALU_DEP_1)
	v_fma_f32 v160, -v1, v158, 1.0
	v_fmac_f32_e32 v158, v160, v158
	s_delay_alu instid0(VALU_DEP_1) | instskip(NEXT) | instid1(VALU_DEP_1)
	v_mul_f32_e32 v160, v161, v158
	v_fma_f32 v162, -v1, v160, v161
	s_delay_alu instid0(VALU_DEP_1) | instskip(NEXT) | instid1(VALU_DEP_1)
	v_fmac_f32_e32 v160, v162, v158
	v_fma_f32 v1, -v1, v160, v161
	s_delay_alu instid0(VALU_DEP_1) | instskip(NEXT) | instid1(VALU_DEP_1)
	v_div_fmas_f32 v1, v1, v158, v160
	v_div_fixup_f32 v1, v1, v159, 1.0
                                        ; implicit-def: $vgpr158_vgpr159
	s_delay_alu instid0(VALU_DEP_1)
	v_mul_f32_e32 v160, v0, v1
	v_xor_b32_e32 v161, 0x80000000, v1
.LBB77_5:
	s_and_not1_saveexec_b32 s2, s2
	s_cbranch_execz .LBB77_7
; %bb.6:
	v_div_scale_f32 v0, null, v158, v158, v159
	v_div_scale_f32 v161, vcc_lo, v159, v158, v159
	s_delay_alu instid0(VALU_DEP_2) | instskip(SKIP_1) | instid1(TRANS32_DEP_1)
	v_rcp_f32_e32 v1, v0
	v_nop
	v_fma_f32 v160, -v0, v1, 1.0
	s_delay_alu instid0(VALU_DEP_1) | instskip(NEXT) | instid1(VALU_DEP_1)
	v_fmac_f32_e32 v1, v160, v1
	v_mul_f32_e32 v160, v161, v1
	s_delay_alu instid0(VALU_DEP_1) | instskip(NEXT) | instid1(VALU_DEP_1)
	v_fma_f32 v162, -v0, v160, v161
	v_fmac_f32_e32 v160, v162, v1
	s_delay_alu instid0(VALU_DEP_1) | instskip(NEXT) | instid1(VALU_DEP_1)
	v_fma_f32 v0, -v0, v160, v161
	v_div_fmas_f32 v0, v0, v1, v160
	s_delay_alu instid0(VALU_DEP_1) | instskip(NEXT) | instid1(VALU_DEP_1)
	v_div_fixup_f32 v0, v0, v158, v159
	v_fmac_f32_e32 v158, v159, v0
	s_delay_alu instid0(VALU_DEP_1) | instskip(NEXT) | instid1(VALU_DEP_1)
	v_div_scale_f32 v1, null, v158, v158, 1.0
	v_rcp_f32_e32 v159, v1
	v_nop
	s_delay_alu instid0(TRANS32_DEP_1) | instskip(NEXT) | instid1(VALU_DEP_1)
	v_fma_f32 v160, -v1, v159, 1.0
	v_fmac_f32_e32 v159, v160, v159
	v_div_scale_f32 v160, vcc_lo, 1.0, v158, 1.0
	s_delay_alu instid0(VALU_DEP_1) | instskip(NEXT) | instid1(VALU_DEP_1)
	v_mul_f32_e32 v161, v160, v159
	v_fma_f32 v162, -v1, v161, v160
	s_delay_alu instid0(VALU_DEP_1) | instskip(NEXT) | instid1(VALU_DEP_1)
	v_fmac_f32_e32 v161, v162, v159
	v_fma_f32 v1, -v1, v161, v160
	s_delay_alu instid0(VALU_DEP_1) | instskip(NEXT) | instid1(VALU_DEP_1)
	v_div_fmas_f32 v1, v1, v159, v161
	v_div_fixup_f32 v160, v1, v158, 1.0
	s_delay_alu instid0(VALU_DEP_1)
	v_mul_f32_e64 v161, v0, -v160
.LBB77_7:
	s_or_b32 exec_lo, exec_lo, s2
	ds_store_b64 v237, v[160:161]
.LBB77_8:
	s_or_b32 exec_lo, exec_lo, s4
	s_wait_storecnt 0x0
	s_wait_loadcnt_dscnt 0x0
	s_barrier_signal -1
	s_barrier_wait -1
	ds_load_b64 v[158:159], v237
	s_and_saveexec_b32 s2, s1
	s_cbranch_execz .LBB77_10
; %bb.9:
	ds_load_2addr_b64 v[164:167], v238 offset0:1 offset1:2
	s_wait_dscnt 0x1
	v_pk_mul_f32 v[162:163], v[158:159], v[50:51] op_sel:[1,1] op_sel_hi:[0,1]
	s_delay_alu instid0(VALU_DEP_1) | instskip(SKIP_1) | instid1(VALU_DEP_1)
	v_pk_fma_f32 v[160:161], v[158:159], v[50:51], v[162:163] op_sel_hi:[1,0,1] neg_lo:[0,0,1] neg_hi:[0,0,1]
	v_pk_fma_f32 v[162:163], v[158:159], v[50:51], v[162:163] op_sel_hi:[1,0,1]
	v_dual_mov_b32 v50, v160 :: v_dual_mov_b32 v51, v163
	s_wait_dscnt 0x0
	s_delay_alu instid0(VALU_DEP_2) | instskip(NEXT) | instid1(VALU_DEP_1)
	v_pk_mul_f32 v[168:169], v[164:165], v[162:163] op_sel:[0,1]
	v_pk_fma_f32 v[170:171], v[164:165], v[160:161], v[168:169] op_sel:[0,0,1] op_sel_hi:[1,1,0] neg_lo:[0,0,1] neg_hi:[0,0,1]
	v_pk_fma_f32 v[164:165], v[164:165], v[160:161], v[168:169] op_sel:[0,0,1] op_sel_hi:[1,0,0]
	s_delay_alu instid0(VALU_DEP_1) | instskip(SKIP_1) | instid1(VALU_DEP_1)
	v_mov_b32_e32 v171, v165
	v_pk_mul_f32 v[164:165], v[166:167], v[162:163] op_sel:[0,1]
	v_pk_fma_f32 v[168:169], v[166:167], v[160:161], v[164:165] op_sel:[0,0,1] op_sel_hi:[1,1,0] neg_lo:[0,0,1] neg_hi:[0,0,1]
	v_pk_fma_f32 v[164:165], v[166:167], v[160:161], v[164:165] op_sel:[0,0,1] op_sel_hi:[1,0,0]
	s_delay_alu instid0(VALU_DEP_1)
	v_mov_b32_e32 v169, v165
	ds_load_2addr_b64 v[164:167], v238 offset0:3 offset1:4
	v_pk_add_f32 v[52:53], v[52:53], v[170:171] neg_lo:[0,1] neg_hi:[0,1]
	v_pk_add_f32 v[42:43], v[42:43], v[168:169] neg_lo:[0,1] neg_hi:[0,1]
	s_wait_dscnt 0x0
	v_pk_mul_f32 v[168:169], v[164:165], v[162:163] op_sel:[0,1]
	s_delay_alu instid0(VALU_DEP_1) | instskip(SKIP_2) | instid1(VALU_DEP_2)
	v_pk_fma_f32 v[170:171], v[164:165], v[160:161], v[168:169] op_sel:[0,0,1] op_sel_hi:[1,1,0] neg_lo:[0,0,1] neg_hi:[0,0,1]
	v_pk_fma_f32 v[164:165], v[164:165], v[160:161], v[168:169] op_sel:[0,0,1] op_sel_hi:[1,0,0]
	v_dual_mul_f32 v168, v167, v163 :: v_dual_mov_b32 v164, v167
	v_dual_mov_b32 v171, v165 :: v_dual_mov_b32 v165, v166
	s_delay_alu instid0(VALU_DEP_2) | instskip(SKIP_1) | instid1(VALU_DEP_3)
	v_pk_fma_f32 v[168:169], v[166:167], v[50:51], v[168:169] op_sel_hi:[1,1,0] neg_lo:[0,0,1] neg_hi:[0,0,1]
	v_mul_f32_e32 v166, v167, v160
	v_pk_add_f32 v[40:41], v[40:41], v[170:171] neg_lo:[0,1] neg_hi:[0,1]
	s_delay_alu instid0(VALU_DEP_2) | instskip(NEXT) | instid1(VALU_DEP_1)
	v_pk_fma_f32 v[164:165], v[164:165], v[50:51], v[166:167] op_sel_hi:[1,1,0]
	v_mov_b32_e32 v169, v165
	ds_load_2addr_b64 v[164:167], v238 offset0:5 offset1:6
	v_pk_add_f32 v[28:29], v[28:29], v[168:169] neg_lo:[0,1] neg_hi:[0,1]
	s_wait_dscnt 0x0
	v_pk_mul_f32 v[168:169], v[164:165], v[162:163] op_sel:[0,1]
	s_delay_alu instid0(VALU_DEP_1) | instskip(SKIP_1) | instid1(VALU_DEP_1)
	v_pk_fma_f32 v[170:171], v[164:165], v[160:161], v[168:169] op_sel:[0,0,1] op_sel_hi:[1,1,0] neg_lo:[0,0,1] neg_hi:[0,0,1]
	v_pk_fma_f32 v[164:165], v[164:165], v[160:161], v[168:169] op_sel:[0,0,1] op_sel_hi:[1,0,0]
	v_mov_b32_e32 v171, v165
	v_pk_mul_f32 v[164:165], v[166:167], v[162:163] op_sel:[0,1]
	s_delay_alu instid0(VALU_DEP_1) | instskip(SKIP_1) | instid1(VALU_DEP_1)
	v_pk_fma_f32 v[168:169], v[166:167], v[160:161], v[164:165] op_sel:[0,0,1] op_sel_hi:[1,1,0] neg_lo:[0,0,1] neg_hi:[0,0,1]
	v_pk_fma_f32 v[164:165], v[166:167], v[160:161], v[164:165] op_sel:[0,0,1] op_sel_hi:[1,0,0]
	v_mov_b32_e32 v169, v165
	ds_load_2addr_b64 v[164:167], v238 offset0:7 offset1:8
	v_pk_add_f32 v[24:25], v[24:25], v[170:171] neg_lo:[0,1] neg_hi:[0,1]
	v_pk_add_f32 v[26:27], v[26:27], v[168:169] neg_lo:[0,1] neg_hi:[0,1]
	s_wait_dscnt 0x0
	v_pk_mul_f32 v[168:169], v[164:165], v[162:163] op_sel:[0,1]
	s_delay_alu instid0(VALU_DEP_1) | instskip(SKIP_1) | instid1(VALU_DEP_1)
	v_pk_fma_f32 v[170:171], v[164:165], v[160:161], v[168:169] op_sel:[0,0,1] op_sel_hi:[1,1,0] neg_lo:[0,0,1] neg_hi:[0,0,1]
	v_pk_fma_f32 v[164:165], v[164:165], v[160:161], v[168:169] op_sel:[0,0,1] op_sel_hi:[1,0,0]
	v_mov_b32_e32 v171, v165
	v_pk_mul_f32 v[164:165], v[166:167], v[162:163] op_sel:[0,1]
	s_delay_alu instid0(VALU_DEP_1) | instskip(SKIP_1) | instid1(VALU_DEP_1)
	v_pk_fma_f32 v[168:169], v[166:167], v[160:161], v[164:165] op_sel:[0,0,1] op_sel_hi:[1,1,0] neg_lo:[0,0,1] neg_hi:[0,0,1]
	v_pk_fma_f32 v[164:165], v[166:167], v[160:161], v[164:165] op_sel:[0,0,1] op_sel_hi:[1,0,0]
	v_mov_b32_e32 v169, v165
	ds_load_2addr_b64 v[164:167], v238 offset0:9 offset1:10
	v_pk_add_f32 v[22:23], v[22:23], v[170:171] neg_lo:[0,1] neg_hi:[0,1]
	v_pk_add_f32 v[36:37], v[36:37], v[168:169] neg_lo:[0,1] neg_hi:[0,1]
	s_wait_dscnt 0x0
	v_dual_mul_f32 v168, v165, v163 :: v_dual_mul_f32 v170, v165, v160
	s_delay_alu instid0(VALU_DEP_1) | instskip(NEXT) | instid1(VALU_DEP_2)
	v_pk_fma_f32 v[168:169], v[164:165], v[50:51], v[168:169] op_sel_hi:[1,1,0] neg_lo:[0,0,1] neg_hi:[0,0,1]
	v_pk_fma_f32 v[164:165], v[164:165], v[50:51], v[170:171] op_sel:[1,0,0] op_sel_hi:[0,1,0]
	s_delay_alu instid0(VALU_DEP_1) | instskip(SKIP_1) | instid1(VALU_DEP_2)
	v_mov_b32_e32 v169, v165
	v_pk_mul_f32 v[164:165], v[166:167], v[162:163] op_sel:[0,1]
	v_pk_add_f32 v[74:75], v[74:75], v[168:169] neg_lo:[0,1] neg_hi:[0,1]
	s_delay_alu instid0(VALU_DEP_2) | instskip(SKIP_1) | instid1(VALU_DEP_1)
	v_pk_fma_f32 v[168:169], v[166:167], v[160:161], v[164:165] op_sel:[0,0,1] op_sel_hi:[1,1,0] neg_lo:[0,0,1] neg_hi:[0,0,1]
	v_pk_fma_f32 v[164:165], v[166:167], v[160:161], v[164:165] op_sel:[0,0,1] op_sel_hi:[1,0,0]
	v_mov_b32_e32 v169, v165
	ds_load_2addr_b64 v[164:167], v238 offset0:11 offset1:12
	v_pk_add_f32 v[76:77], v[76:77], v[168:169] neg_lo:[0,1] neg_hi:[0,1]
	s_wait_dscnt 0x0
	v_pk_mul_f32 v[168:169], v[164:165], v[162:163] op_sel:[0,1]
	s_delay_alu instid0(VALU_DEP_1) | instskip(SKIP_1) | instid1(VALU_DEP_1)
	v_pk_fma_f32 v[170:171], v[164:165], v[160:161], v[168:169] op_sel:[0,0,1] op_sel_hi:[1,1,0] neg_lo:[0,0,1] neg_hi:[0,0,1]
	v_pk_fma_f32 v[164:165], v[164:165], v[160:161], v[168:169] op_sel:[0,0,1] op_sel_hi:[1,0,0]
	v_mov_b32_e32 v171, v165
	v_pk_mul_f32 v[164:165], v[166:167], v[162:163] op_sel:[0,1]
	s_delay_alu instid0(VALU_DEP_2) | instskip(NEXT) | instid1(VALU_DEP_2)
	v_pk_add_f32 v[72:73], v[72:73], v[170:171] neg_lo:[0,1] neg_hi:[0,1]
	v_pk_fma_f32 v[168:169], v[166:167], v[160:161], v[164:165] op_sel:[0,0,1] op_sel_hi:[1,1,0] neg_lo:[0,0,1] neg_hi:[0,0,1]
	v_pk_fma_f32 v[164:165], v[166:167], v[160:161], v[164:165] op_sel:[0,0,1] op_sel_hi:[1,0,0]
	s_delay_alu instid0(VALU_DEP_1) | instskip(SKIP_4) | instid1(VALU_DEP_1)
	v_mov_b32_e32 v169, v165
	ds_load_2addr_b64 v[164:167], v238 offset0:13 offset1:14
	v_pk_add_f32 v[92:93], v[92:93], v[168:169] neg_lo:[0,1] neg_hi:[0,1]
	s_wait_dscnt 0x0
	v_pk_mul_f32 v[168:169], v[164:165], v[162:163] op_sel:[0,1]
	v_pk_fma_f32 v[170:171], v[164:165], v[160:161], v[168:169] op_sel:[0,0,1] op_sel_hi:[1,1,0] neg_lo:[0,0,1] neg_hi:[0,0,1]
	v_pk_fma_f32 v[164:165], v[164:165], v[160:161], v[168:169] op_sel:[0,0,1] op_sel_hi:[1,0,0]
	v_dual_mul_f32 v168, v167, v163 :: v_dual_mov_b32 v164, v167
	s_delay_alu instid0(VALU_DEP_2) | instskip(NEXT) | instid1(VALU_DEP_2)
	v_dual_mov_b32 v171, v165 :: v_dual_mov_b32 v165, v166
	v_pk_fma_f32 v[168:169], v[166:167], v[50:51], v[168:169] op_sel_hi:[1,1,0] neg_lo:[0,0,1] neg_hi:[0,0,1]
	v_mul_f32_e32 v166, v167, v160
	s_delay_alu instid0(VALU_DEP_3) | instskip(NEXT) | instid1(VALU_DEP_2)
	v_pk_add_f32 v[88:89], v[88:89], v[170:171] neg_lo:[0,1] neg_hi:[0,1]
	v_pk_fma_f32 v[164:165], v[164:165], v[50:51], v[166:167] op_sel_hi:[1,1,0]
	s_delay_alu instid0(VALU_DEP_1) | instskip(SKIP_4) | instid1(VALU_DEP_1)
	v_mov_b32_e32 v169, v165
	ds_load_2addr_b64 v[164:167], v238 offset0:15 offset1:16
	v_pk_add_f32 v[90:91], v[90:91], v[168:169] neg_lo:[0,1] neg_hi:[0,1]
	s_wait_dscnt 0x0
	v_pk_mul_f32 v[168:169], v[164:165], v[162:163] op_sel:[0,1]
	v_pk_fma_f32 v[170:171], v[164:165], v[160:161], v[168:169] op_sel:[0,0,1] op_sel_hi:[1,1,0] neg_lo:[0,0,1] neg_hi:[0,0,1]
	v_pk_fma_f32 v[164:165], v[164:165], v[160:161], v[168:169] op_sel:[0,0,1] op_sel_hi:[1,0,0]
	s_delay_alu instid0(VALU_DEP_1) | instskip(SKIP_1) | instid1(VALU_DEP_1)
	v_mov_b32_e32 v171, v165
	v_pk_mul_f32 v[164:165], v[166:167], v[162:163] op_sel:[0,1]
	v_pk_fma_f32 v[168:169], v[166:167], v[160:161], v[164:165] op_sel:[0,0,1] op_sel_hi:[1,1,0] neg_lo:[0,0,1] neg_hi:[0,0,1]
	v_pk_fma_f32 v[164:165], v[166:167], v[160:161], v[164:165] op_sel:[0,0,1] op_sel_hi:[1,0,0]
	s_delay_alu instid0(VALU_DEP_1)
	v_mov_b32_e32 v169, v165
	ds_load_2addr_b64 v[164:167], v238 offset0:17 offset1:18
	v_pk_add_f32 v[70:71], v[70:71], v[170:171] neg_lo:[0,1] neg_hi:[0,1]
	v_pk_add_f32 v[110:111], v[110:111], v[168:169] neg_lo:[0,1] neg_hi:[0,1]
	s_wait_dscnt 0x0
	v_pk_mul_f32 v[168:169], v[164:165], v[162:163] op_sel:[0,1]
	s_delay_alu instid0(VALU_DEP_1) | instskip(SKIP_1) | instid1(VALU_DEP_1)
	v_pk_fma_f32 v[170:171], v[164:165], v[160:161], v[168:169] op_sel:[0,0,1] op_sel_hi:[1,1,0] neg_lo:[0,0,1] neg_hi:[0,0,1]
	v_pk_fma_f32 v[164:165], v[164:165], v[160:161], v[168:169] op_sel:[0,0,1] op_sel_hi:[1,0,0]
	v_mov_b32_e32 v171, v165
	v_pk_mul_f32 v[164:165], v[166:167], v[162:163] op_sel:[0,1]
	s_delay_alu instid0(VALU_DEP_1) | instskip(SKIP_1) | instid1(VALU_DEP_1)
	v_pk_fma_f32 v[168:169], v[166:167], v[160:161], v[164:165] op_sel:[0,0,1] op_sel_hi:[1,1,0] neg_lo:[0,0,1] neg_hi:[0,0,1]
	v_pk_fma_f32 v[164:165], v[166:167], v[160:161], v[164:165] op_sel:[0,0,1] op_sel_hi:[1,0,0]
	v_mov_b32_e32 v169, v165
	ds_load_2addr_b64 v[164:167], v238 offset0:19 offset1:20
	v_pk_add_f32 v[106:107], v[106:107], v[170:171] neg_lo:[0,1] neg_hi:[0,1]
	v_pk_add_f32 v[108:109], v[108:109], v[168:169] neg_lo:[0,1] neg_hi:[0,1]
	s_wait_dscnt 0x0
	v_dual_mul_f32 v168, v165, v163 :: v_dual_mul_f32 v170, v165, v160
	s_delay_alu instid0(VALU_DEP_1) | instskip(NEXT) | instid1(VALU_DEP_2)
	v_pk_fma_f32 v[168:169], v[164:165], v[50:51], v[168:169] op_sel_hi:[1,1,0] neg_lo:[0,0,1] neg_hi:[0,0,1]
	v_pk_fma_f32 v[164:165], v[164:165], v[50:51], v[170:171] op_sel:[1,0,0] op_sel_hi:[0,1,0]
	s_delay_alu instid0(VALU_DEP_1) | instskip(SKIP_1) | instid1(VALU_DEP_2)
	v_mov_b32_e32 v169, v165
	v_pk_mul_f32 v[164:165], v[166:167], v[162:163] op_sel:[0,1]
	v_pk_add_f32 v[86:87], v[86:87], v[168:169] neg_lo:[0,1] neg_hi:[0,1]
	s_delay_alu instid0(VALU_DEP_2) | instskip(SKIP_1) | instid1(VALU_DEP_1)
	v_pk_fma_f32 v[168:169], v[166:167], v[160:161], v[164:165] op_sel:[0,0,1] op_sel_hi:[1,1,0] neg_lo:[0,0,1] neg_hi:[0,0,1]
	v_pk_fma_f32 v[164:165], v[166:167], v[160:161], v[164:165] op_sel:[0,0,1] op_sel_hi:[1,0,0]
	v_mov_b32_e32 v169, v165
	ds_load_2addr_b64 v[164:167], v238 offset0:21 offset1:22
	v_pk_add_f32 v[136:137], v[136:137], v[168:169] neg_lo:[0,1] neg_hi:[0,1]
	s_wait_dscnt 0x0
	v_pk_mul_f32 v[168:169], v[164:165], v[162:163] op_sel:[0,1]
	s_delay_alu instid0(VALU_DEP_1) | instskip(SKIP_1) | instid1(VALU_DEP_1)
	v_pk_fma_f32 v[170:171], v[164:165], v[160:161], v[168:169] op_sel:[0,0,1] op_sel_hi:[1,1,0] neg_lo:[0,0,1] neg_hi:[0,0,1]
	v_pk_fma_f32 v[164:165], v[164:165], v[160:161], v[168:169] op_sel:[0,0,1] op_sel_hi:[1,0,0]
	v_mov_b32_e32 v171, v165
	v_pk_mul_f32 v[164:165], v[166:167], v[162:163] op_sel:[0,1]
	s_delay_alu instid0(VALU_DEP_2) | instskip(NEXT) | instid1(VALU_DEP_2)
	v_pk_add_f32 v[132:133], v[132:133], v[170:171] neg_lo:[0,1] neg_hi:[0,1]
	v_pk_fma_f32 v[168:169], v[166:167], v[160:161], v[164:165] op_sel:[0,0,1] op_sel_hi:[1,1,0] neg_lo:[0,0,1] neg_hi:[0,0,1]
	v_pk_fma_f32 v[164:165], v[166:167], v[160:161], v[164:165] op_sel:[0,0,1] op_sel_hi:[1,0,0]
	s_delay_alu instid0(VALU_DEP_1) | instskip(SKIP_4) | instid1(VALU_DEP_1)
	v_mov_b32_e32 v169, v165
	ds_load_2addr_b64 v[164:167], v238 offset0:23 offset1:24
	v_pk_add_f32 v[134:135], v[134:135], v[168:169] neg_lo:[0,1] neg_hi:[0,1]
	s_wait_dscnt 0x0
	v_pk_mul_f32 v[168:169], v[164:165], v[162:163] op_sel:[0,1]
	v_pk_fma_f32 v[170:171], v[164:165], v[160:161], v[168:169] op_sel:[0,0,1] op_sel_hi:[1,1,0] neg_lo:[0,0,1] neg_hi:[0,0,1]
	v_pk_fma_f32 v[164:165], v[164:165], v[160:161], v[168:169] op_sel:[0,0,1] op_sel_hi:[1,0,0]
	v_dual_mul_f32 v168, v167, v163 :: v_dual_mov_b32 v164, v167
	s_delay_alu instid0(VALU_DEP_2) | instskip(NEXT) | instid1(VALU_DEP_2)
	v_dual_mov_b32 v171, v165 :: v_dual_mov_b32 v165, v166
	v_pk_fma_f32 v[168:169], v[166:167], v[50:51], v[168:169] op_sel_hi:[1,1,0] neg_lo:[0,0,1] neg_hi:[0,0,1]
	v_mul_f32_e32 v166, v167, v160
	s_delay_alu instid0(VALU_DEP_3) | instskip(NEXT) | instid1(VALU_DEP_2)
	v_pk_add_f32 v[104:105], v[104:105], v[170:171] neg_lo:[0,1] neg_hi:[0,1]
	v_pk_fma_f32 v[164:165], v[164:165], v[50:51], v[166:167] op_sel_hi:[1,1,0]
	s_delay_alu instid0(VALU_DEP_1) | instskip(SKIP_4) | instid1(VALU_DEP_1)
	v_mov_b32_e32 v169, v165
	ds_load_2addr_b64 v[164:167], v238 offset0:25 offset1:26
	v_pk_add_f32 v[150:151], v[150:151], v[168:169] neg_lo:[0,1] neg_hi:[0,1]
	s_wait_dscnt 0x0
	v_pk_mul_f32 v[168:169], v[164:165], v[162:163] op_sel:[0,1]
	v_pk_fma_f32 v[170:171], v[164:165], v[160:161], v[168:169] op_sel:[0,0,1] op_sel_hi:[1,1,0] neg_lo:[0,0,1] neg_hi:[0,0,1]
	v_pk_fma_f32 v[164:165], v[164:165], v[160:161], v[168:169] op_sel:[0,0,1] op_sel_hi:[1,0,0]
	s_delay_alu instid0(VALU_DEP_1) | instskip(SKIP_1) | instid1(VALU_DEP_1)
	v_mov_b32_e32 v171, v165
	v_pk_mul_f32 v[164:165], v[166:167], v[162:163] op_sel:[0,1]
	v_pk_fma_f32 v[168:169], v[166:167], v[160:161], v[164:165] op_sel:[0,0,1] op_sel_hi:[1,1,0] neg_lo:[0,0,1] neg_hi:[0,0,1]
	v_pk_fma_f32 v[164:165], v[166:167], v[160:161], v[164:165] op_sel:[0,0,1] op_sel_hi:[1,0,0]
	s_delay_alu instid0(VALU_DEP_1)
	v_mov_b32_e32 v169, v165
	ds_load_2addr_b64 v[164:167], v238 offset0:27 offset1:28
	v_pk_add_f32 v[146:147], v[146:147], v[170:171] neg_lo:[0,1] neg_hi:[0,1]
	v_pk_add_f32 v[148:149], v[148:149], v[168:169] neg_lo:[0,1] neg_hi:[0,1]
	s_wait_dscnt 0x0
	v_pk_mul_f32 v[168:169], v[164:165], v[162:163] op_sel:[0,1]
	s_delay_alu instid0(VALU_DEP_1) | instskip(SKIP_1) | instid1(VALU_DEP_1)
	v_pk_fma_f32 v[170:171], v[164:165], v[160:161], v[168:169] op_sel:[0,0,1] op_sel_hi:[1,1,0] neg_lo:[0,0,1] neg_hi:[0,0,1]
	v_pk_fma_f32 v[164:165], v[164:165], v[160:161], v[168:169] op_sel:[0,0,1] op_sel_hi:[1,0,0]
	v_mov_b32_e32 v171, v165
	v_pk_mul_f32 v[164:165], v[166:167], v[162:163] op_sel:[0,1]
	s_delay_alu instid0(VALU_DEP_1) | instskip(SKIP_1) | instid1(VALU_DEP_1)
	v_pk_fma_f32 v[168:169], v[166:167], v[160:161], v[164:165] op_sel:[0,0,1] op_sel_hi:[1,1,0] neg_lo:[0,0,1] neg_hi:[0,0,1]
	v_pk_fma_f32 v[164:165], v[166:167], v[160:161], v[164:165] op_sel:[0,0,1] op_sel_hi:[1,0,0]
	v_mov_b32_e32 v169, v165
	ds_load_2addr_b64 v[164:167], v238 offset0:29 offset1:30
	v_pk_add_f32 v[94:95], v[94:95], v[170:171] neg_lo:[0,1] neg_hi:[0,1]
	v_pk_add_f32 v[120:121], v[120:121], v[168:169] neg_lo:[0,1] neg_hi:[0,1]
	s_wait_dscnt 0x0
	v_dual_mul_f32 v168, v165, v163 :: v_dual_mul_f32 v170, v165, v160
	s_delay_alu instid0(VALU_DEP_1) | instskip(NEXT) | instid1(VALU_DEP_2)
	v_pk_fma_f32 v[168:169], v[164:165], v[50:51], v[168:169] op_sel_hi:[1,1,0] neg_lo:[0,0,1] neg_hi:[0,0,1]
	v_pk_fma_f32 v[164:165], v[164:165], v[50:51], v[170:171] op_sel:[1,0,0] op_sel_hi:[0,1,0]
	s_delay_alu instid0(VALU_DEP_1) | instskip(SKIP_1) | instid1(VALU_DEP_2)
	v_mov_b32_e32 v169, v165
	v_pk_mul_f32 v[164:165], v[166:167], v[162:163] op_sel:[0,1]
	v_pk_add_f32 v[116:117], v[116:117], v[168:169] neg_lo:[0,1] neg_hi:[0,1]
	s_delay_alu instid0(VALU_DEP_2) | instskip(SKIP_1) | instid1(VALU_DEP_1)
	v_pk_fma_f32 v[168:169], v[166:167], v[160:161], v[164:165] op_sel:[0,0,1] op_sel_hi:[1,1,0] neg_lo:[0,0,1] neg_hi:[0,0,1]
	v_pk_fma_f32 v[164:165], v[166:167], v[160:161], v[164:165] op_sel:[0,0,1] op_sel_hi:[1,0,0]
	v_mov_b32_e32 v169, v165
	ds_load_2addr_b64 v[164:167], v238 offset0:31 offset1:32
	v_pk_add_f32 v[118:119], v[118:119], v[168:169] neg_lo:[0,1] neg_hi:[0,1]
	s_wait_dscnt 0x0
	v_pk_mul_f32 v[168:169], v[164:165], v[162:163] op_sel:[0,1]
	s_delay_alu instid0(VALU_DEP_1) | instskip(SKIP_1) | instid1(VALU_DEP_1)
	v_pk_fma_f32 v[170:171], v[164:165], v[160:161], v[168:169] op_sel:[0,0,1] op_sel_hi:[1,1,0] neg_lo:[0,0,1] neg_hi:[0,0,1]
	v_pk_fma_f32 v[164:165], v[164:165], v[160:161], v[168:169] op_sel:[0,0,1] op_sel_hi:[1,0,0]
	v_mov_b32_e32 v171, v165
	v_pk_mul_f32 v[164:165], v[166:167], v[162:163] op_sel:[0,1]
	s_delay_alu instid0(VALU_DEP_2) | instskip(NEXT) | instid1(VALU_DEP_2)
	v_pk_add_f32 v[114:115], v[114:115], v[170:171] neg_lo:[0,1] neg_hi:[0,1]
	v_pk_fma_f32 v[168:169], v[166:167], v[160:161], v[164:165] op_sel:[0,0,1] op_sel_hi:[1,1,0] neg_lo:[0,0,1] neg_hi:[0,0,1]
	v_pk_fma_f32 v[164:165], v[166:167], v[160:161], v[164:165] op_sel:[0,0,1] op_sel_hi:[1,0,0]
	s_delay_alu instid0(VALU_DEP_1) | instskip(SKIP_4) | instid1(VALU_DEP_1)
	v_mov_b32_e32 v169, v165
	ds_load_2addr_b64 v[164:167], v238 offset0:33 offset1:34
	v_pk_add_f32 v[142:143], v[142:143], v[168:169] neg_lo:[0,1] neg_hi:[0,1]
	s_wait_dscnt 0x0
	v_pk_mul_f32 v[168:169], v[164:165], v[162:163] op_sel:[0,1]
	v_pk_fma_f32 v[170:171], v[164:165], v[160:161], v[168:169] op_sel:[0,0,1] op_sel_hi:[1,1,0] neg_lo:[0,0,1] neg_hi:[0,0,1]
	v_pk_fma_f32 v[164:165], v[164:165], v[160:161], v[168:169] op_sel:[0,0,1] op_sel_hi:[1,0,0]
	v_dual_mul_f32 v168, v167, v163 :: v_dual_mov_b32 v164, v167
	s_delay_alu instid0(VALU_DEP_2) | instskip(NEXT) | instid1(VALU_DEP_2)
	v_dual_mov_b32 v171, v165 :: v_dual_mov_b32 v165, v166
	v_pk_fma_f32 v[168:169], v[166:167], v[50:51], v[168:169] op_sel_hi:[1,1,0] neg_lo:[0,0,1] neg_hi:[0,0,1]
	v_mul_f32_e32 v166, v167, v160
	s_delay_alu instid0(VALU_DEP_3) | instskip(NEXT) | instid1(VALU_DEP_2)
	v_pk_add_f32 v[138:139], v[138:139], v[170:171] neg_lo:[0,1] neg_hi:[0,1]
	v_pk_fma_f32 v[164:165], v[164:165], v[50:51], v[166:167] op_sel_hi:[1,1,0]
	s_delay_alu instid0(VALU_DEP_1) | instskip(SKIP_4) | instid1(VALU_DEP_1)
	v_mov_b32_e32 v169, v165
	ds_load_2addr_b64 v[164:167], v238 offset0:35 offset1:36
	v_pk_add_f32 v[140:141], v[140:141], v[168:169] neg_lo:[0,1] neg_hi:[0,1]
	s_wait_dscnt 0x0
	v_pk_mul_f32 v[168:169], v[164:165], v[162:163] op_sel:[0,1]
	v_pk_fma_f32 v[170:171], v[164:165], v[160:161], v[168:169] op_sel:[0,0,1] op_sel_hi:[1,1,0] neg_lo:[0,0,1] neg_hi:[0,0,1]
	v_pk_fma_f32 v[164:165], v[164:165], v[160:161], v[168:169] op_sel:[0,0,1] op_sel_hi:[1,0,0]
	s_delay_alu instid0(VALU_DEP_1) | instskip(SKIP_1) | instid1(VALU_DEP_1)
	v_mov_b32_e32 v171, v165
	v_pk_mul_f32 v[164:165], v[166:167], v[162:163] op_sel:[0,1]
	v_pk_fma_f32 v[168:169], v[166:167], v[160:161], v[164:165] op_sel:[0,0,1] op_sel_hi:[1,1,0] neg_lo:[0,0,1] neg_hi:[0,0,1]
	v_pk_fma_f32 v[164:165], v[166:167], v[160:161], v[164:165] op_sel:[0,0,1] op_sel_hi:[1,0,0]
	s_delay_alu instid0(VALU_DEP_1)
	v_mov_b32_e32 v169, v165
	ds_load_2addr_b64 v[164:167], v238 offset0:37 offset1:38
	v_pk_add_f32 v[154:155], v[154:155], v[170:171] neg_lo:[0,1] neg_hi:[0,1]
	v_pk_add_f32 v[152:153], v[152:153], v[168:169] neg_lo:[0,1] neg_hi:[0,1]
	s_wait_dscnt 0x0
	v_pk_mul_f32 v[168:169], v[164:165], v[162:163] op_sel:[0,1]
	v_pk_mul_f32 v[162:163], v[166:167], v[162:163] op_sel:[0,1]
	s_delay_alu instid0(VALU_DEP_2) | instskip(SKIP_1) | instid1(VALU_DEP_1)
	v_pk_fma_f32 v[170:171], v[164:165], v[160:161], v[168:169] op_sel:[0,0,1] op_sel_hi:[1,1,0] neg_lo:[0,0,1] neg_hi:[0,0,1]
	v_pk_fma_f32 v[164:165], v[164:165], v[160:161], v[168:169] op_sel:[0,0,1] op_sel_hi:[1,0,0]
	v_mov_b32_e32 v171, v165
	s_delay_alu instid0(VALU_DEP_4) | instskip(SKIP_1) | instid1(VALU_DEP_1)
	v_pk_fma_f32 v[164:165], v[166:167], v[160:161], v[162:163] op_sel:[0,0,1] op_sel_hi:[1,1,0] neg_lo:[0,0,1] neg_hi:[0,0,1]
	v_pk_fma_f32 v[160:161], v[166:167], v[160:161], v[162:163] op_sel:[0,0,1] op_sel_hi:[1,0,0]
	v_mov_b32_e32 v165, v161
	s_delay_alu instid0(VALU_DEP_4) | instskip(NEXT) | instid1(VALU_DEP_2)
	v_pk_add_f32 v[144:145], v[144:145], v[170:171] neg_lo:[0,1] neg_hi:[0,1]
	v_pk_add_f32 v[156:157], v[156:157], v[164:165] neg_lo:[0,1] neg_hi:[0,1]
.LBB77_10:
	s_or_b32 exec_lo, exec_lo, s2
	s_delay_alu instid0(SALU_CYCLE_1)
	s_mov_b32 s2, exec_lo
	s_wait_dscnt 0x0
	s_barrier_signal -1
	s_barrier_wait -1
	v_cmpx_eq_u32_e32 1, v236
	s_cbranch_execz .LBB77_17
; %bb.11:
	v_dual_mov_b32 v160, v42 :: v_dual_mov_b32 v161, v43
	v_dual_mov_b32 v162, v40 :: v_dual_mov_b32 v163, v41
	;; [unrolled: 1-line block ×10, first 2 shown]
	ds_store_b64 v237, v[52:53]
	v_dual_mov_b32 v180, v92 :: v_dual_mov_b32 v181, v93
	v_dual_mov_b32 v182, v88 :: v_dual_mov_b32 v183, v89
	ds_store_2addr_b64 v238, v[160:161], v[162:163] offset0:2 offset1:3
	ds_store_2addr_b64 v238, v[164:165], v[166:167] offset0:4 offset1:5
	ds_store_2addr_b64 v238, v[168:169], v[170:171] offset0:6 offset1:7
	ds_store_2addr_b64 v238, v[172:173], v[174:175] offset0:8 offset1:9
	ds_store_2addr_b64 v238, v[176:177], v[178:179] offset0:10 offset1:11
	ds_store_2addr_b64 v238, v[180:181], v[182:183] offset0:12 offset1:13
	v_dual_mov_b32 v160, v90 :: v_dual_mov_b32 v161, v91
	v_dual_mov_b32 v162, v70 :: v_dual_mov_b32 v163, v71
	;; [unrolled: 1-line block ×12, first 2 shown]
	ds_store_2addr_b64 v238, v[160:161], v[162:163] offset0:14 offset1:15
	ds_store_2addr_b64 v238, v[164:165], v[166:167] offset0:16 offset1:17
	;; [unrolled: 1-line block ×6, first 2 shown]
	v_dual_mov_b32 v160, v148 :: v_dual_mov_b32 v161, v149
	v_dual_mov_b32 v162, v94 :: v_dual_mov_b32 v163, v95
	;; [unrolled: 1-line block ×12, first 2 shown]
	ds_store_2addr_b64 v238, v[160:161], v[162:163] offset0:26 offset1:27
	ds_store_2addr_b64 v238, v[164:165], v[166:167] offset0:28 offset1:29
	;; [unrolled: 1-line block ×6, first 2 shown]
	ds_store_b64 v238, v[156:157] offset:304
	ds_load_b64 v[160:161], v237
	s_wait_dscnt 0x0
	v_cmp_neq_f32_e32 vcc_lo, 0, v160
	v_cmp_neq_f32_e64 s1, 0, v161
	s_or_b32 s1, vcc_lo, s1
	s_delay_alu instid0(SALU_CYCLE_1)
	s_and_b32 exec_lo, exec_lo, s1
	s_cbranch_execz .LBB77_17
; %bb.12:
	v_cmp_ngt_f32_e64 s1, |v160|, |v161|
                                        ; implicit-def: $vgpr162_vgpr163
	s_and_saveexec_b32 s4, s1
	s_delay_alu instid0(SALU_CYCLE_1)
	s_xor_b32 s1, exec_lo, s4
	s_cbranch_execz .LBB77_14
; %bb.13:
	v_div_scale_f32 v0, null, v161, v161, v160
	v_div_scale_f32 v163, vcc_lo, v160, v161, v160
	s_delay_alu instid0(VALU_DEP_2) | instskip(SKIP_1) | instid1(TRANS32_DEP_1)
	v_rcp_f32_e32 v1, v0
	v_nop
	v_fma_f32 v162, -v0, v1, 1.0
	s_delay_alu instid0(VALU_DEP_1) | instskip(NEXT) | instid1(VALU_DEP_1)
	v_fmac_f32_e32 v1, v162, v1
	v_mul_f32_e32 v162, v163, v1
	s_delay_alu instid0(VALU_DEP_1) | instskip(NEXT) | instid1(VALU_DEP_1)
	v_fma_f32 v164, -v0, v162, v163
	v_fmac_f32_e32 v162, v164, v1
	s_delay_alu instid0(VALU_DEP_1) | instskip(NEXT) | instid1(VALU_DEP_1)
	v_fma_f32 v0, -v0, v162, v163
	v_div_fmas_f32 v0, v0, v1, v162
	s_delay_alu instid0(VALU_DEP_1) | instskip(NEXT) | instid1(VALU_DEP_1)
	v_div_fixup_f32 v0, v0, v161, v160
	v_fmac_f32_e32 v161, v160, v0
	s_delay_alu instid0(VALU_DEP_1) | instskip(SKIP_1) | instid1(VALU_DEP_2)
	v_div_scale_f32 v1, null, v161, v161, 1.0
	v_div_scale_f32 v163, vcc_lo, 1.0, v161, 1.0
	v_rcp_f32_e32 v160, v1
	v_nop
	s_delay_alu instid0(TRANS32_DEP_1) | instskip(NEXT) | instid1(VALU_DEP_1)
	v_fma_f32 v162, -v1, v160, 1.0
	v_fmac_f32_e32 v160, v162, v160
	s_delay_alu instid0(VALU_DEP_1) | instskip(NEXT) | instid1(VALU_DEP_1)
	v_mul_f32_e32 v162, v163, v160
	v_fma_f32 v164, -v1, v162, v163
	s_delay_alu instid0(VALU_DEP_1) | instskip(NEXT) | instid1(VALU_DEP_1)
	v_fmac_f32_e32 v162, v164, v160
	v_fma_f32 v1, -v1, v162, v163
	s_delay_alu instid0(VALU_DEP_1) | instskip(NEXT) | instid1(VALU_DEP_1)
	v_div_fmas_f32 v1, v1, v160, v162
	v_div_fixup_f32 v1, v1, v161, 1.0
                                        ; implicit-def: $vgpr160_vgpr161
	s_delay_alu instid0(VALU_DEP_1)
	v_mul_f32_e32 v162, v0, v1
	v_xor_b32_e32 v163, 0x80000000, v1
.LBB77_14:
	s_and_not1_saveexec_b32 s1, s1
	s_cbranch_execz .LBB77_16
; %bb.15:
	v_div_scale_f32 v0, null, v160, v160, v161
	v_div_scale_f32 v163, vcc_lo, v161, v160, v161
	s_delay_alu instid0(VALU_DEP_2) | instskip(SKIP_1) | instid1(TRANS32_DEP_1)
	v_rcp_f32_e32 v1, v0
	v_nop
	v_fma_f32 v162, -v0, v1, 1.0
	s_delay_alu instid0(VALU_DEP_1) | instskip(NEXT) | instid1(VALU_DEP_1)
	v_fmac_f32_e32 v1, v162, v1
	v_mul_f32_e32 v162, v163, v1
	s_delay_alu instid0(VALU_DEP_1) | instskip(NEXT) | instid1(VALU_DEP_1)
	v_fma_f32 v164, -v0, v162, v163
	v_fmac_f32_e32 v162, v164, v1
	s_delay_alu instid0(VALU_DEP_1) | instskip(NEXT) | instid1(VALU_DEP_1)
	v_fma_f32 v0, -v0, v162, v163
	v_div_fmas_f32 v0, v0, v1, v162
	s_delay_alu instid0(VALU_DEP_1) | instskip(NEXT) | instid1(VALU_DEP_1)
	v_div_fixup_f32 v0, v0, v160, v161
	v_fmac_f32_e32 v160, v161, v0
	s_delay_alu instid0(VALU_DEP_1) | instskip(NEXT) | instid1(VALU_DEP_1)
	v_div_scale_f32 v1, null, v160, v160, 1.0
	v_rcp_f32_e32 v161, v1
	v_nop
	s_delay_alu instid0(TRANS32_DEP_1) | instskip(NEXT) | instid1(VALU_DEP_1)
	v_fma_f32 v162, -v1, v161, 1.0
	v_fmac_f32_e32 v161, v162, v161
	v_div_scale_f32 v162, vcc_lo, 1.0, v160, 1.0
	s_delay_alu instid0(VALU_DEP_1) | instskip(NEXT) | instid1(VALU_DEP_1)
	v_mul_f32_e32 v163, v162, v161
	v_fma_f32 v164, -v1, v163, v162
	s_delay_alu instid0(VALU_DEP_1) | instskip(NEXT) | instid1(VALU_DEP_1)
	v_fmac_f32_e32 v163, v164, v161
	v_fma_f32 v1, -v1, v163, v162
	s_delay_alu instid0(VALU_DEP_1) | instskip(NEXT) | instid1(VALU_DEP_1)
	v_div_fmas_f32 v1, v1, v161, v163
	v_div_fixup_f32 v162, v1, v160, 1.0
	s_delay_alu instid0(VALU_DEP_1)
	v_mul_f32_e64 v163, v0, -v162
.LBB77_16:
	s_or_b32 exec_lo, exec_lo, s1
	ds_store_b64 v237, v[162:163]
.LBB77_17:
	s_or_b32 exec_lo, exec_lo, s2
	s_wait_dscnt 0x0
	s_barrier_signal -1
	s_barrier_wait -1
	ds_load_b64 v[160:161], v237
	s_mov_b32 s1, exec_lo
	v_cmpx_lt_u32_e32 1, v236
	s_cbranch_execz .LBB77_19
; %bb.18:
	ds_load_2addr_b64 v[166:169], v238 offset0:2 offset1:3
	s_wait_dscnt 0x1
	v_pk_mul_f32 v[164:165], v[160:161], v[52:53] op_sel:[1,1] op_sel_hi:[0,1]
	s_delay_alu instid0(VALU_DEP_1) | instskip(SKIP_1) | instid1(VALU_DEP_1)
	v_pk_fma_f32 v[162:163], v[160:161], v[52:53], v[164:165] op_sel_hi:[1,0,1] neg_lo:[0,0,1] neg_hi:[0,0,1]
	v_pk_fma_f32 v[164:165], v[160:161], v[52:53], v[164:165] op_sel_hi:[1,0,1]
	v_dual_mov_b32 v52, v162 :: v_dual_mov_b32 v53, v165
	s_wait_dscnt 0x0
	s_delay_alu instid0(VALU_DEP_2) | instskip(NEXT) | instid1(VALU_DEP_1)
	v_pk_mul_f32 v[170:171], v[166:167], v[164:165] op_sel:[0,1]
	v_pk_fma_f32 v[172:173], v[166:167], v[162:163], v[170:171] op_sel:[0,0,1] op_sel_hi:[1,1,0] neg_lo:[0,0,1] neg_hi:[0,0,1]
	v_pk_fma_f32 v[166:167], v[166:167], v[162:163], v[170:171] op_sel:[0,0,1] op_sel_hi:[1,0,0]
	s_delay_alu instid0(VALU_DEP_1) | instskip(SKIP_1) | instid1(VALU_DEP_1)
	v_mov_b32_e32 v173, v167
	v_pk_mul_f32 v[166:167], v[168:169], v[164:165] op_sel:[0,1]
	v_pk_fma_f32 v[170:171], v[168:169], v[162:163], v[166:167] op_sel:[0,0,1] op_sel_hi:[1,1,0] neg_lo:[0,0,1] neg_hi:[0,0,1]
	v_pk_fma_f32 v[166:167], v[168:169], v[162:163], v[166:167] op_sel:[0,0,1] op_sel_hi:[1,0,0]
	s_delay_alu instid0(VALU_DEP_1)
	v_mov_b32_e32 v171, v167
	ds_load_2addr_b64 v[166:169], v238 offset0:4 offset1:5
	v_pk_add_f32 v[42:43], v[42:43], v[172:173] neg_lo:[0,1] neg_hi:[0,1]
	v_pk_add_f32 v[40:41], v[40:41], v[170:171] neg_lo:[0,1] neg_hi:[0,1]
	s_wait_dscnt 0x0
	v_pk_mul_f32 v[170:171], v[166:167], v[164:165] op_sel:[0,1]
	s_delay_alu instid0(VALU_DEP_1) | instskip(SKIP_2) | instid1(VALU_DEP_2)
	v_pk_fma_f32 v[172:173], v[166:167], v[162:163], v[170:171] op_sel:[0,0,1] op_sel_hi:[1,1,0] neg_lo:[0,0,1] neg_hi:[0,0,1]
	v_pk_fma_f32 v[166:167], v[166:167], v[162:163], v[170:171] op_sel:[0,0,1] op_sel_hi:[1,0,0]
	v_dual_mul_f32 v170, v169, v165 :: v_dual_mov_b32 v166, v169
	v_dual_mov_b32 v173, v167 :: v_dual_mov_b32 v167, v168
	s_delay_alu instid0(VALU_DEP_2) | instskip(SKIP_1) | instid1(VALU_DEP_3)
	v_pk_fma_f32 v[170:171], v[168:169], v[52:53], v[170:171] op_sel_hi:[1,1,0] neg_lo:[0,0,1] neg_hi:[0,0,1]
	v_mul_f32_e32 v168, v169, v162
	v_pk_add_f32 v[28:29], v[28:29], v[172:173] neg_lo:[0,1] neg_hi:[0,1]
	s_delay_alu instid0(VALU_DEP_2) | instskip(NEXT) | instid1(VALU_DEP_1)
	v_pk_fma_f32 v[166:167], v[166:167], v[52:53], v[168:169] op_sel_hi:[1,1,0]
	v_mov_b32_e32 v171, v167
	ds_load_2addr_b64 v[166:169], v238 offset0:6 offset1:7
	v_pk_add_f32 v[24:25], v[24:25], v[170:171] neg_lo:[0,1] neg_hi:[0,1]
	s_wait_dscnt 0x0
	v_pk_mul_f32 v[170:171], v[166:167], v[164:165] op_sel:[0,1]
	s_delay_alu instid0(VALU_DEP_1) | instskip(SKIP_1) | instid1(VALU_DEP_1)
	v_pk_fma_f32 v[172:173], v[166:167], v[162:163], v[170:171] op_sel:[0,0,1] op_sel_hi:[1,1,0] neg_lo:[0,0,1] neg_hi:[0,0,1]
	v_pk_fma_f32 v[166:167], v[166:167], v[162:163], v[170:171] op_sel:[0,0,1] op_sel_hi:[1,0,0]
	v_mov_b32_e32 v173, v167
	v_pk_mul_f32 v[166:167], v[168:169], v[164:165] op_sel:[0,1]
	s_delay_alu instid0(VALU_DEP_1) | instskip(SKIP_1) | instid1(VALU_DEP_1)
	v_pk_fma_f32 v[170:171], v[168:169], v[162:163], v[166:167] op_sel:[0,0,1] op_sel_hi:[1,1,0] neg_lo:[0,0,1] neg_hi:[0,0,1]
	v_pk_fma_f32 v[166:167], v[168:169], v[162:163], v[166:167] op_sel:[0,0,1] op_sel_hi:[1,0,0]
	v_mov_b32_e32 v171, v167
	ds_load_2addr_b64 v[166:169], v238 offset0:8 offset1:9
	v_pk_add_f32 v[26:27], v[26:27], v[172:173] neg_lo:[0,1] neg_hi:[0,1]
	v_pk_add_f32 v[22:23], v[22:23], v[170:171] neg_lo:[0,1] neg_hi:[0,1]
	s_wait_dscnt 0x0
	v_pk_mul_f32 v[170:171], v[166:167], v[164:165] op_sel:[0,1]
	s_delay_alu instid0(VALU_DEP_1) | instskip(SKIP_1) | instid1(VALU_DEP_1)
	v_pk_fma_f32 v[172:173], v[166:167], v[162:163], v[170:171] op_sel:[0,0,1] op_sel_hi:[1,1,0] neg_lo:[0,0,1] neg_hi:[0,0,1]
	v_pk_fma_f32 v[166:167], v[166:167], v[162:163], v[170:171] op_sel:[0,0,1] op_sel_hi:[1,0,0]
	v_mov_b32_e32 v173, v167
	v_pk_mul_f32 v[166:167], v[168:169], v[164:165] op_sel:[0,1]
	s_delay_alu instid0(VALU_DEP_1) | instskip(SKIP_1) | instid1(VALU_DEP_1)
	v_pk_fma_f32 v[170:171], v[168:169], v[162:163], v[166:167] op_sel:[0,0,1] op_sel_hi:[1,1,0] neg_lo:[0,0,1] neg_hi:[0,0,1]
	v_pk_fma_f32 v[166:167], v[168:169], v[162:163], v[166:167] op_sel:[0,0,1] op_sel_hi:[1,0,0]
	v_mov_b32_e32 v171, v167
	ds_load_2addr_b64 v[166:169], v238 offset0:10 offset1:11
	v_pk_add_f32 v[36:37], v[36:37], v[172:173] neg_lo:[0,1] neg_hi:[0,1]
	v_pk_add_f32 v[74:75], v[74:75], v[170:171] neg_lo:[0,1] neg_hi:[0,1]
	s_wait_dscnt 0x0
	v_dual_mul_f32 v170, v167, v165 :: v_dual_mul_f32 v172, v167, v162
	s_delay_alu instid0(VALU_DEP_1) | instskip(NEXT) | instid1(VALU_DEP_2)
	v_pk_fma_f32 v[170:171], v[166:167], v[52:53], v[170:171] op_sel_hi:[1,1,0] neg_lo:[0,0,1] neg_hi:[0,0,1]
	v_pk_fma_f32 v[166:167], v[166:167], v[52:53], v[172:173] op_sel:[1,0,0] op_sel_hi:[0,1,0]
	s_delay_alu instid0(VALU_DEP_1) | instskip(SKIP_1) | instid1(VALU_DEP_2)
	v_mov_b32_e32 v171, v167
	v_pk_mul_f32 v[166:167], v[168:169], v[164:165] op_sel:[0,1]
	v_pk_add_f32 v[76:77], v[76:77], v[170:171] neg_lo:[0,1] neg_hi:[0,1]
	s_delay_alu instid0(VALU_DEP_2) | instskip(SKIP_1) | instid1(VALU_DEP_1)
	v_pk_fma_f32 v[170:171], v[168:169], v[162:163], v[166:167] op_sel:[0,0,1] op_sel_hi:[1,1,0] neg_lo:[0,0,1] neg_hi:[0,0,1]
	v_pk_fma_f32 v[166:167], v[168:169], v[162:163], v[166:167] op_sel:[0,0,1] op_sel_hi:[1,0,0]
	v_mov_b32_e32 v171, v167
	ds_load_2addr_b64 v[166:169], v238 offset0:12 offset1:13
	v_pk_add_f32 v[72:73], v[72:73], v[170:171] neg_lo:[0,1] neg_hi:[0,1]
	s_wait_dscnt 0x0
	v_pk_mul_f32 v[170:171], v[166:167], v[164:165] op_sel:[0,1]
	s_delay_alu instid0(VALU_DEP_1) | instskip(SKIP_1) | instid1(VALU_DEP_1)
	v_pk_fma_f32 v[172:173], v[166:167], v[162:163], v[170:171] op_sel:[0,0,1] op_sel_hi:[1,1,0] neg_lo:[0,0,1] neg_hi:[0,0,1]
	v_pk_fma_f32 v[166:167], v[166:167], v[162:163], v[170:171] op_sel:[0,0,1] op_sel_hi:[1,0,0]
	v_mov_b32_e32 v173, v167
	v_pk_mul_f32 v[166:167], v[168:169], v[164:165] op_sel:[0,1]
	s_delay_alu instid0(VALU_DEP_2) | instskip(NEXT) | instid1(VALU_DEP_2)
	v_pk_add_f32 v[92:93], v[92:93], v[172:173] neg_lo:[0,1] neg_hi:[0,1]
	v_pk_fma_f32 v[170:171], v[168:169], v[162:163], v[166:167] op_sel:[0,0,1] op_sel_hi:[1,1,0] neg_lo:[0,0,1] neg_hi:[0,0,1]
	v_pk_fma_f32 v[166:167], v[168:169], v[162:163], v[166:167] op_sel:[0,0,1] op_sel_hi:[1,0,0]
	s_delay_alu instid0(VALU_DEP_1) | instskip(SKIP_4) | instid1(VALU_DEP_1)
	v_mov_b32_e32 v171, v167
	ds_load_2addr_b64 v[166:169], v238 offset0:14 offset1:15
	v_pk_add_f32 v[88:89], v[88:89], v[170:171] neg_lo:[0,1] neg_hi:[0,1]
	s_wait_dscnt 0x0
	v_pk_mul_f32 v[170:171], v[166:167], v[164:165] op_sel:[0,1]
	v_pk_fma_f32 v[172:173], v[166:167], v[162:163], v[170:171] op_sel:[0,0,1] op_sel_hi:[1,1,0] neg_lo:[0,0,1] neg_hi:[0,0,1]
	v_pk_fma_f32 v[166:167], v[166:167], v[162:163], v[170:171] op_sel:[0,0,1] op_sel_hi:[1,0,0]
	v_dual_mul_f32 v170, v169, v165 :: v_dual_mov_b32 v166, v169
	s_delay_alu instid0(VALU_DEP_2) | instskip(NEXT) | instid1(VALU_DEP_2)
	v_dual_mov_b32 v173, v167 :: v_dual_mov_b32 v167, v168
	v_pk_fma_f32 v[170:171], v[168:169], v[52:53], v[170:171] op_sel_hi:[1,1,0] neg_lo:[0,0,1] neg_hi:[0,0,1]
	v_mul_f32_e32 v168, v169, v162
	s_delay_alu instid0(VALU_DEP_3) | instskip(NEXT) | instid1(VALU_DEP_2)
	v_pk_add_f32 v[90:91], v[90:91], v[172:173] neg_lo:[0,1] neg_hi:[0,1]
	v_pk_fma_f32 v[166:167], v[166:167], v[52:53], v[168:169] op_sel_hi:[1,1,0]
	s_delay_alu instid0(VALU_DEP_1) | instskip(SKIP_4) | instid1(VALU_DEP_1)
	v_mov_b32_e32 v171, v167
	ds_load_2addr_b64 v[166:169], v238 offset0:16 offset1:17
	v_pk_add_f32 v[70:71], v[70:71], v[170:171] neg_lo:[0,1] neg_hi:[0,1]
	s_wait_dscnt 0x0
	v_pk_mul_f32 v[170:171], v[166:167], v[164:165] op_sel:[0,1]
	v_pk_fma_f32 v[172:173], v[166:167], v[162:163], v[170:171] op_sel:[0,0,1] op_sel_hi:[1,1,0] neg_lo:[0,0,1] neg_hi:[0,0,1]
	v_pk_fma_f32 v[166:167], v[166:167], v[162:163], v[170:171] op_sel:[0,0,1] op_sel_hi:[1,0,0]
	s_delay_alu instid0(VALU_DEP_1) | instskip(SKIP_1) | instid1(VALU_DEP_1)
	v_mov_b32_e32 v173, v167
	v_pk_mul_f32 v[166:167], v[168:169], v[164:165] op_sel:[0,1]
	v_pk_fma_f32 v[170:171], v[168:169], v[162:163], v[166:167] op_sel:[0,0,1] op_sel_hi:[1,1,0] neg_lo:[0,0,1] neg_hi:[0,0,1]
	v_pk_fma_f32 v[166:167], v[168:169], v[162:163], v[166:167] op_sel:[0,0,1] op_sel_hi:[1,0,0]
	s_delay_alu instid0(VALU_DEP_1)
	v_mov_b32_e32 v171, v167
	ds_load_2addr_b64 v[166:169], v238 offset0:18 offset1:19
	v_pk_add_f32 v[110:111], v[110:111], v[172:173] neg_lo:[0,1] neg_hi:[0,1]
	v_pk_add_f32 v[106:107], v[106:107], v[170:171] neg_lo:[0,1] neg_hi:[0,1]
	s_wait_dscnt 0x0
	v_pk_mul_f32 v[170:171], v[166:167], v[164:165] op_sel:[0,1]
	s_delay_alu instid0(VALU_DEP_1) | instskip(SKIP_1) | instid1(VALU_DEP_1)
	v_pk_fma_f32 v[172:173], v[166:167], v[162:163], v[170:171] op_sel:[0,0,1] op_sel_hi:[1,1,0] neg_lo:[0,0,1] neg_hi:[0,0,1]
	v_pk_fma_f32 v[166:167], v[166:167], v[162:163], v[170:171] op_sel:[0,0,1] op_sel_hi:[1,0,0]
	v_mov_b32_e32 v173, v167
	v_pk_mul_f32 v[166:167], v[168:169], v[164:165] op_sel:[0,1]
	s_delay_alu instid0(VALU_DEP_1) | instskip(SKIP_1) | instid1(VALU_DEP_1)
	v_pk_fma_f32 v[170:171], v[168:169], v[162:163], v[166:167] op_sel:[0,0,1] op_sel_hi:[1,1,0] neg_lo:[0,0,1] neg_hi:[0,0,1]
	v_pk_fma_f32 v[166:167], v[168:169], v[162:163], v[166:167] op_sel:[0,0,1] op_sel_hi:[1,0,0]
	v_mov_b32_e32 v171, v167
	ds_load_2addr_b64 v[166:169], v238 offset0:20 offset1:21
	v_pk_add_f32 v[108:109], v[108:109], v[172:173] neg_lo:[0,1] neg_hi:[0,1]
	v_pk_add_f32 v[86:87], v[86:87], v[170:171] neg_lo:[0,1] neg_hi:[0,1]
	s_wait_dscnt 0x0
	v_dual_mul_f32 v170, v167, v165 :: v_dual_mul_f32 v172, v167, v162
	s_delay_alu instid0(VALU_DEP_1) | instskip(NEXT) | instid1(VALU_DEP_2)
	v_pk_fma_f32 v[170:171], v[166:167], v[52:53], v[170:171] op_sel_hi:[1,1,0] neg_lo:[0,0,1] neg_hi:[0,0,1]
	v_pk_fma_f32 v[166:167], v[166:167], v[52:53], v[172:173] op_sel:[1,0,0] op_sel_hi:[0,1,0]
	s_delay_alu instid0(VALU_DEP_1) | instskip(SKIP_1) | instid1(VALU_DEP_2)
	v_mov_b32_e32 v171, v167
	v_pk_mul_f32 v[166:167], v[168:169], v[164:165] op_sel:[0,1]
	v_pk_add_f32 v[136:137], v[136:137], v[170:171] neg_lo:[0,1] neg_hi:[0,1]
	s_delay_alu instid0(VALU_DEP_2) | instskip(SKIP_1) | instid1(VALU_DEP_1)
	v_pk_fma_f32 v[170:171], v[168:169], v[162:163], v[166:167] op_sel:[0,0,1] op_sel_hi:[1,1,0] neg_lo:[0,0,1] neg_hi:[0,0,1]
	v_pk_fma_f32 v[166:167], v[168:169], v[162:163], v[166:167] op_sel:[0,0,1] op_sel_hi:[1,0,0]
	v_mov_b32_e32 v171, v167
	ds_load_2addr_b64 v[166:169], v238 offset0:22 offset1:23
	v_pk_add_f32 v[132:133], v[132:133], v[170:171] neg_lo:[0,1] neg_hi:[0,1]
	s_wait_dscnt 0x0
	v_pk_mul_f32 v[170:171], v[166:167], v[164:165] op_sel:[0,1]
	s_delay_alu instid0(VALU_DEP_1) | instskip(SKIP_1) | instid1(VALU_DEP_1)
	v_pk_fma_f32 v[172:173], v[166:167], v[162:163], v[170:171] op_sel:[0,0,1] op_sel_hi:[1,1,0] neg_lo:[0,0,1] neg_hi:[0,0,1]
	v_pk_fma_f32 v[166:167], v[166:167], v[162:163], v[170:171] op_sel:[0,0,1] op_sel_hi:[1,0,0]
	v_mov_b32_e32 v173, v167
	v_pk_mul_f32 v[166:167], v[168:169], v[164:165] op_sel:[0,1]
	s_delay_alu instid0(VALU_DEP_2) | instskip(NEXT) | instid1(VALU_DEP_2)
	v_pk_add_f32 v[134:135], v[134:135], v[172:173] neg_lo:[0,1] neg_hi:[0,1]
	v_pk_fma_f32 v[170:171], v[168:169], v[162:163], v[166:167] op_sel:[0,0,1] op_sel_hi:[1,1,0] neg_lo:[0,0,1] neg_hi:[0,0,1]
	v_pk_fma_f32 v[166:167], v[168:169], v[162:163], v[166:167] op_sel:[0,0,1] op_sel_hi:[1,0,0]
	s_delay_alu instid0(VALU_DEP_1) | instskip(SKIP_4) | instid1(VALU_DEP_1)
	v_mov_b32_e32 v171, v167
	ds_load_2addr_b64 v[166:169], v238 offset0:24 offset1:25
	v_pk_add_f32 v[104:105], v[104:105], v[170:171] neg_lo:[0,1] neg_hi:[0,1]
	s_wait_dscnt 0x0
	v_pk_mul_f32 v[170:171], v[166:167], v[164:165] op_sel:[0,1]
	v_pk_fma_f32 v[172:173], v[166:167], v[162:163], v[170:171] op_sel:[0,0,1] op_sel_hi:[1,1,0] neg_lo:[0,0,1] neg_hi:[0,0,1]
	v_pk_fma_f32 v[166:167], v[166:167], v[162:163], v[170:171] op_sel:[0,0,1] op_sel_hi:[1,0,0]
	v_dual_mul_f32 v170, v169, v165 :: v_dual_mov_b32 v166, v169
	s_delay_alu instid0(VALU_DEP_2) | instskip(NEXT) | instid1(VALU_DEP_2)
	v_dual_mov_b32 v173, v167 :: v_dual_mov_b32 v167, v168
	v_pk_fma_f32 v[170:171], v[168:169], v[52:53], v[170:171] op_sel_hi:[1,1,0] neg_lo:[0,0,1] neg_hi:[0,0,1]
	v_mul_f32_e32 v168, v169, v162
	s_delay_alu instid0(VALU_DEP_3) | instskip(NEXT) | instid1(VALU_DEP_2)
	v_pk_add_f32 v[150:151], v[150:151], v[172:173] neg_lo:[0,1] neg_hi:[0,1]
	v_pk_fma_f32 v[166:167], v[166:167], v[52:53], v[168:169] op_sel_hi:[1,1,0]
	s_delay_alu instid0(VALU_DEP_1) | instskip(SKIP_4) | instid1(VALU_DEP_1)
	v_mov_b32_e32 v171, v167
	ds_load_2addr_b64 v[166:169], v238 offset0:26 offset1:27
	v_pk_add_f32 v[146:147], v[146:147], v[170:171] neg_lo:[0,1] neg_hi:[0,1]
	s_wait_dscnt 0x0
	v_pk_mul_f32 v[170:171], v[166:167], v[164:165] op_sel:[0,1]
	v_pk_fma_f32 v[172:173], v[166:167], v[162:163], v[170:171] op_sel:[0,0,1] op_sel_hi:[1,1,0] neg_lo:[0,0,1] neg_hi:[0,0,1]
	v_pk_fma_f32 v[166:167], v[166:167], v[162:163], v[170:171] op_sel:[0,0,1] op_sel_hi:[1,0,0]
	s_delay_alu instid0(VALU_DEP_1) | instskip(SKIP_1) | instid1(VALU_DEP_1)
	v_mov_b32_e32 v173, v167
	v_pk_mul_f32 v[166:167], v[168:169], v[164:165] op_sel:[0,1]
	v_pk_fma_f32 v[170:171], v[168:169], v[162:163], v[166:167] op_sel:[0,0,1] op_sel_hi:[1,1,0] neg_lo:[0,0,1] neg_hi:[0,0,1]
	v_pk_fma_f32 v[166:167], v[168:169], v[162:163], v[166:167] op_sel:[0,0,1] op_sel_hi:[1,0,0]
	s_delay_alu instid0(VALU_DEP_1)
	v_mov_b32_e32 v171, v167
	ds_load_2addr_b64 v[166:169], v238 offset0:28 offset1:29
	v_pk_add_f32 v[148:149], v[148:149], v[172:173] neg_lo:[0,1] neg_hi:[0,1]
	v_pk_add_f32 v[94:95], v[94:95], v[170:171] neg_lo:[0,1] neg_hi:[0,1]
	s_wait_dscnt 0x0
	v_pk_mul_f32 v[170:171], v[166:167], v[164:165] op_sel:[0,1]
	s_delay_alu instid0(VALU_DEP_1) | instskip(SKIP_1) | instid1(VALU_DEP_1)
	v_pk_fma_f32 v[172:173], v[166:167], v[162:163], v[170:171] op_sel:[0,0,1] op_sel_hi:[1,1,0] neg_lo:[0,0,1] neg_hi:[0,0,1]
	v_pk_fma_f32 v[166:167], v[166:167], v[162:163], v[170:171] op_sel:[0,0,1] op_sel_hi:[1,0,0]
	v_mov_b32_e32 v173, v167
	v_pk_mul_f32 v[166:167], v[168:169], v[164:165] op_sel:[0,1]
	s_delay_alu instid0(VALU_DEP_1) | instskip(SKIP_1) | instid1(VALU_DEP_1)
	v_pk_fma_f32 v[170:171], v[168:169], v[162:163], v[166:167] op_sel:[0,0,1] op_sel_hi:[1,1,0] neg_lo:[0,0,1] neg_hi:[0,0,1]
	v_pk_fma_f32 v[166:167], v[168:169], v[162:163], v[166:167] op_sel:[0,0,1] op_sel_hi:[1,0,0]
	v_mov_b32_e32 v171, v167
	ds_load_2addr_b64 v[166:169], v238 offset0:30 offset1:31
	v_pk_add_f32 v[120:121], v[120:121], v[172:173] neg_lo:[0,1] neg_hi:[0,1]
	v_pk_add_f32 v[116:117], v[116:117], v[170:171] neg_lo:[0,1] neg_hi:[0,1]
	s_wait_dscnt 0x0
	v_dual_mul_f32 v170, v167, v165 :: v_dual_mul_f32 v172, v167, v162
	s_delay_alu instid0(VALU_DEP_1) | instskip(NEXT) | instid1(VALU_DEP_2)
	v_pk_fma_f32 v[170:171], v[166:167], v[52:53], v[170:171] op_sel_hi:[1,1,0] neg_lo:[0,0,1] neg_hi:[0,0,1]
	v_pk_fma_f32 v[166:167], v[166:167], v[52:53], v[172:173] op_sel:[1,0,0] op_sel_hi:[0,1,0]
	s_delay_alu instid0(VALU_DEP_1) | instskip(SKIP_1) | instid1(VALU_DEP_2)
	v_mov_b32_e32 v171, v167
	v_pk_mul_f32 v[166:167], v[168:169], v[164:165] op_sel:[0,1]
	v_pk_add_f32 v[118:119], v[118:119], v[170:171] neg_lo:[0,1] neg_hi:[0,1]
	s_delay_alu instid0(VALU_DEP_2) | instskip(SKIP_1) | instid1(VALU_DEP_1)
	v_pk_fma_f32 v[170:171], v[168:169], v[162:163], v[166:167] op_sel:[0,0,1] op_sel_hi:[1,1,0] neg_lo:[0,0,1] neg_hi:[0,0,1]
	v_pk_fma_f32 v[166:167], v[168:169], v[162:163], v[166:167] op_sel:[0,0,1] op_sel_hi:[1,0,0]
	v_mov_b32_e32 v171, v167
	ds_load_2addr_b64 v[166:169], v238 offset0:32 offset1:33
	v_pk_add_f32 v[114:115], v[114:115], v[170:171] neg_lo:[0,1] neg_hi:[0,1]
	s_wait_dscnt 0x0
	v_pk_mul_f32 v[170:171], v[166:167], v[164:165] op_sel:[0,1]
	s_delay_alu instid0(VALU_DEP_1) | instskip(SKIP_1) | instid1(VALU_DEP_1)
	v_pk_fma_f32 v[172:173], v[166:167], v[162:163], v[170:171] op_sel:[0,0,1] op_sel_hi:[1,1,0] neg_lo:[0,0,1] neg_hi:[0,0,1]
	v_pk_fma_f32 v[166:167], v[166:167], v[162:163], v[170:171] op_sel:[0,0,1] op_sel_hi:[1,0,0]
	v_mov_b32_e32 v173, v167
	v_pk_mul_f32 v[166:167], v[168:169], v[164:165] op_sel:[0,1]
	s_delay_alu instid0(VALU_DEP_2) | instskip(NEXT) | instid1(VALU_DEP_2)
	v_pk_add_f32 v[142:143], v[142:143], v[172:173] neg_lo:[0,1] neg_hi:[0,1]
	v_pk_fma_f32 v[170:171], v[168:169], v[162:163], v[166:167] op_sel:[0,0,1] op_sel_hi:[1,1,0] neg_lo:[0,0,1] neg_hi:[0,0,1]
	v_pk_fma_f32 v[166:167], v[168:169], v[162:163], v[166:167] op_sel:[0,0,1] op_sel_hi:[1,0,0]
	s_delay_alu instid0(VALU_DEP_1) | instskip(SKIP_4) | instid1(VALU_DEP_1)
	v_mov_b32_e32 v171, v167
	ds_load_2addr_b64 v[166:169], v238 offset0:34 offset1:35
	v_pk_add_f32 v[138:139], v[138:139], v[170:171] neg_lo:[0,1] neg_hi:[0,1]
	s_wait_dscnt 0x0
	v_pk_mul_f32 v[170:171], v[166:167], v[164:165] op_sel:[0,1]
	v_pk_fma_f32 v[172:173], v[166:167], v[162:163], v[170:171] op_sel:[0,0,1] op_sel_hi:[1,1,0] neg_lo:[0,0,1] neg_hi:[0,0,1]
	v_pk_fma_f32 v[166:167], v[166:167], v[162:163], v[170:171] op_sel:[0,0,1] op_sel_hi:[1,0,0]
	v_dual_mul_f32 v170, v169, v165 :: v_dual_mov_b32 v166, v169
	s_delay_alu instid0(VALU_DEP_2) | instskip(NEXT) | instid1(VALU_DEP_2)
	v_dual_mov_b32 v173, v167 :: v_dual_mov_b32 v167, v168
	v_pk_fma_f32 v[170:171], v[168:169], v[52:53], v[170:171] op_sel_hi:[1,1,0] neg_lo:[0,0,1] neg_hi:[0,0,1]
	v_mul_f32_e32 v168, v169, v162
	s_delay_alu instid0(VALU_DEP_3) | instskip(NEXT) | instid1(VALU_DEP_2)
	v_pk_add_f32 v[140:141], v[140:141], v[172:173] neg_lo:[0,1] neg_hi:[0,1]
	v_pk_fma_f32 v[166:167], v[166:167], v[52:53], v[168:169] op_sel_hi:[1,1,0]
	s_delay_alu instid0(VALU_DEP_1) | instskip(SKIP_4) | instid1(VALU_DEP_1)
	v_mov_b32_e32 v171, v167
	ds_load_2addr_b64 v[166:169], v238 offset0:36 offset1:37
	v_pk_add_f32 v[154:155], v[154:155], v[170:171] neg_lo:[0,1] neg_hi:[0,1]
	s_wait_dscnt 0x0
	v_pk_mul_f32 v[170:171], v[166:167], v[164:165] op_sel:[0,1]
	v_pk_fma_f32 v[172:173], v[166:167], v[162:163], v[170:171] op_sel:[0,0,1] op_sel_hi:[1,1,0] neg_lo:[0,0,1] neg_hi:[0,0,1]
	v_pk_fma_f32 v[166:167], v[166:167], v[162:163], v[170:171] op_sel:[0,0,1] op_sel_hi:[1,0,0]
	s_delay_alu instid0(VALU_DEP_1) | instskip(SKIP_1) | instid1(VALU_DEP_1)
	v_mov_b32_e32 v173, v167
	v_pk_mul_f32 v[166:167], v[168:169], v[164:165] op_sel:[0,1]
	v_pk_fma_f32 v[170:171], v[168:169], v[162:163], v[166:167] op_sel:[0,0,1] op_sel_hi:[1,1,0] neg_lo:[0,0,1] neg_hi:[0,0,1]
	v_pk_fma_f32 v[166:167], v[168:169], v[162:163], v[166:167] op_sel:[0,0,1] op_sel_hi:[1,0,0]
	s_delay_alu instid0(VALU_DEP_1)
	v_mov_b32_e32 v171, v167
	ds_load_b64 v[166:167], v238 offset:304
	v_pk_add_f32 v[152:153], v[152:153], v[172:173] neg_lo:[0,1] neg_hi:[0,1]
	v_pk_add_f32 v[144:145], v[144:145], v[170:171] neg_lo:[0,1] neg_hi:[0,1]
	s_wait_dscnt 0x0
	v_pk_mul_f32 v[164:165], v[166:167], v[164:165] op_sel:[0,1]
	s_delay_alu instid0(VALU_DEP_1) | instskip(SKIP_1) | instid1(VALU_DEP_1)
	v_pk_fma_f32 v[168:169], v[166:167], v[162:163], v[164:165] op_sel:[0,0,1] op_sel_hi:[1,1,0] neg_lo:[0,0,1] neg_hi:[0,0,1]
	v_pk_fma_f32 v[162:163], v[166:167], v[162:163], v[164:165] op_sel:[0,0,1] op_sel_hi:[1,0,0]
	v_mov_b32_e32 v169, v163
	s_delay_alu instid0(VALU_DEP_1)
	v_pk_add_f32 v[156:157], v[156:157], v[168:169] neg_lo:[0,1] neg_hi:[0,1]
.LBB77_19:
	s_or_b32 exec_lo, exec_lo, s1
	s_delay_alu instid0(SALU_CYCLE_1)
	s_mov_b32 s2, exec_lo
	s_wait_dscnt 0x0
	s_barrier_signal -1
	s_barrier_wait -1
	v_cmpx_eq_u32_e32 2, v236
	s_cbranch_execz .LBB77_26
; %bb.20:
	ds_store_b64 v237, v[42:43]
	ds_store_2addr_b64 v238, v[40:41], v[28:29] offset0:3 offset1:4
	ds_store_2addr_b64 v238, v[24:25], v[26:27] offset0:5 offset1:6
	;; [unrolled: 1-line block ×18, first 2 shown]
	ds_load_b64 v[162:163], v237
	s_wait_dscnt 0x0
	v_cmp_neq_f32_e32 vcc_lo, 0, v162
	v_cmp_neq_f32_e64 s1, 0, v163
	s_or_b32 s1, vcc_lo, s1
	s_delay_alu instid0(SALU_CYCLE_1)
	s_and_b32 exec_lo, exec_lo, s1
	s_cbranch_execz .LBB77_26
; %bb.21:
	v_cmp_ngt_f32_e64 s1, |v162|, |v163|
                                        ; implicit-def: $vgpr164_vgpr165
	s_and_saveexec_b32 s4, s1
	s_delay_alu instid0(SALU_CYCLE_1)
	s_xor_b32 s1, exec_lo, s4
	s_cbranch_execz .LBB77_23
; %bb.22:
	v_div_scale_f32 v0, null, v163, v163, v162
	v_div_scale_f32 v165, vcc_lo, v162, v163, v162
	s_delay_alu instid0(VALU_DEP_2) | instskip(SKIP_1) | instid1(TRANS32_DEP_1)
	v_rcp_f32_e32 v1, v0
	v_nop
	v_fma_f32 v164, -v0, v1, 1.0
	s_delay_alu instid0(VALU_DEP_1) | instskip(NEXT) | instid1(VALU_DEP_1)
	v_fmac_f32_e32 v1, v164, v1
	v_mul_f32_e32 v164, v165, v1
	s_delay_alu instid0(VALU_DEP_1) | instskip(NEXT) | instid1(VALU_DEP_1)
	v_fma_f32 v166, -v0, v164, v165
	v_fmac_f32_e32 v164, v166, v1
	s_delay_alu instid0(VALU_DEP_1) | instskip(NEXT) | instid1(VALU_DEP_1)
	v_fma_f32 v0, -v0, v164, v165
	v_div_fmas_f32 v0, v0, v1, v164
	s_delay_alu instid0(VALU_DEP_1) | instskip(NEXT) | instid1(VALU_DEP_1)
	v_div_fixup_f32 v0, v0, v163, v162
	v_fmac_f32_e32 v163, v162, v0
	s_delay_alu instid0(VALU_DEP_1) | instskip(SKIP_1) | instid1(VALU_DEP_2)
	v_div_scale_f32 v1, null, v163, v163, 1.0
	v_div_scale_f32 v165, vcc_lo, 1.0, v163, 1.0
	v_rcp_f32_e32 v162, v1
	v_nop
	s_delay_alu instid0(TRANS32_DEP_1) | instskip(NEXT) | instid1(VALU_DEP_1)
	v_fma_f32 v164, -v1, v162, 1.0
	v_fmac_f32_e32 v162, v164, v162
	s_delay_alu instid0(VALU_DEP_1) | instskip(NEXT) | instid1(VALU_DEP_1)
	v_mul_f32_e32 v164, v165, v162
	v_fma_f32 v166, -v1, v164, v165
	s_delay_alu instid0(VALU_DEP_1) | instskip(NEXT) | instid1(VALU_DEP_1)
	v_fmac_f32_e32 v164, v166, v162
	v_fma_f32 v1, -v1, v164, v165
	s_delay_alu instid0(VALU_DEP_1) | instskip(NEXT) | instid1(VALU_DEP_1)
	v_div_fmas_f32 v1, v1, v162, v164
	v_div_fixup_f32 v1, v1, v163, 1.0
                                        ; implicit-def: $vgpr162_vgpr163
	s_delay_alu instid0(VALU_DEP_1)
	v_mul_f32_e32 v164, v0, v1
	v_xor_b32_e32 v165, 0x80000000, v1
.LBB77_23:
	s_and_not1_saveexec_b32 s1, s1
	s_cbranch_execz .LBB77_25
; %bb.24:
	v_div_scale_f32 v0, null, v162, v162, v163
	v_div_scale_f32 v165, vcc_lo, v163, v162, v163
	s_delay_alu instid0(VALU_DEP_2) | instskip(SKIP_1) | instid1(TRANS32_DEP_1)
	v_rcp_f32_e32 v1, v0
	v_nop
	v_fma_f32 v164, -v0, v1, 1.0
	s_delay_alu instid0(VALU_DEP_1) | instskip(NEXT) | instid1(VALU_DEP_1)
	v_fmac_f32_e32 v1, v164, v1
	v_mul_f32_e32 v164, v165, v1
	s_delay_alu instid0(VALU_DEP_1) | instskip(NEXT) | instid1(VALU_DEP_1)
	v_fma_f32 v166, -v0, v164, v165
	v_fmac_f32_e32 v164, v166, v1
	s_delay_alu instid0(VALU_DEP_1) | instskip(NEXT) | instid1(VALU_DEP_1)
	v_fma_f32 v0, -v0, v164, v165
	v_div_fmas_f32 v0, v0, v1, v164
	s_delay_alu instid0(VALU_DEP_1) | instskip(NEXT) | instid1(VALU_DEP_1)
	v_div_fixup_f32 v0, v0, v162, v163
	v_fmac_f32_e32 v162, v163, v0
	s_delay_alu instid0(VALU_DEP_1) | instskip(NEXT) | instid1(VALU_DEP_1)
	v_div_scale_f32 v1, null, v162, v162, 1.0
	v_rcp_f32_e32 v163, v1
	v_nop
	s_delay_alu instid0(TRANS32_DEP_1) | instskip(NEXT) | instid1(VALU_DEP_1)
	v_fma_f32 v164, -v1, v163, 1.0
	v_fmac_f32_e32 v163, v164, v163
	v_div_scale_f32 v164, vcc_lo, 1.0, v162, 1.0
	s_delay_alu instid0(VALU_DEP_1) | instskip(NEXT) | instid1(VALU_DEP_1)
	v_mul_f32_e32 v165, v164, v163
	v_fma_f32 v166, -v1, v165, v164
	s_delay_alu instid0(VALU_DEP_1) | instskip(NEXT) | instid1(VALU_DEP_1)
	v_fmac_f32_e32 v165, v166, v163
	v_fma_f32 v1, -v1, v165, v164
	s_delay_alu instid0(VALU_DEP_1) | instskip(NEXT) | instid1(VALU_DEP_1)
	v_div_fmas_f32 v1, v1, v163, v165
	v_div_fixup_f32 v164, v1, v162, 1.0
	s_delay_alu instid0(VALU_DEP_1)
	v_mul_f32_e64 v165, v0, -v164
.LBB77_25:
	s_or_b32 exec_lo, exec_lo, s1
	ds_store_b64 v237, v[164:165]
.LBB77_26:
	s_or_b32 exec_lo, exec_lo, s2
	s_wait_dscnt 0x0
	s_barrier_signal -1
	s_barrier_wait -1
	ds_load_b64 v[162:163], v237
	s_mov_b32 s1, exec_lo
	v_cmpx_lt_u32_e32 2, v236
	s_cbranch_execz .LBB77_28
; %bb.27:
	ds_load_2addr_b64 v[168:171], v238 offset0:3 offset1:4
	s_wait_dscnt 0x1
	v_pk_mul_f32 v[166:167], v[162:163], v[42:43] op_sel:[1,1] op_sel_hi:[0,1]
	s_delay_alu instid0(VALU_DEP_1) | instskip(SKIP_1) | instid1(VALU_DEP_1)
	v_pk_fma_f32 v[164:165], v[162:163], v[42:43], v[166:167] op_sel_hi:[1,0,1] neg_lo:[0,0,1] neg_hi:[0,0,1]
	v_pk_fma_f32 v[166:167], v[162:163], v[42:43], v[166:167] op_sel_hi:[1,0,1]
	v_dual_mov_b32 v42, v164 :: v_dual_mov_b32 v43, v167
	s_wait_dscnt 0x0
	s_delay_alu instid0(VALU_DEP_2) | instskip(NEXT) | instid1(VALU_DEP_1)
	v_pk_mul_f32 v[172:173], v[168:169], v[166:167] op_sel:[0,1]
	v_pk_fma_f32 v[174:175], v[168:169], v[164:165], v[172:173] op_sel:[0,0,1] op_sel_hi:[1,1,0] neg_lo:[0,0,1] neg_hi:[0,0,1]
	v_pk_fma_f32 v[168:169], v[168:169], v[164:165], v[172:173] op_sel:[0,0,1] op_sel_hi:[1,0,0]
	s_delay_alu instid0(VALU_DEP_1) | instskip(SKIP_1) | instid1(VALU_DEP_1)
	v_mov_b32_e32 v175, v169
	v_pk_mul_f32 v[168:169], v[170:171], v[166:167] op_sel:[0,1]
	v_pk_fma_f32 v[172:173], v[170:171], v[164:165], v[168:169] op_sel:[0,0,1] op_sel_hi:[1,1,0] neg_lo:[0,0,1] neg_hi:[0,0,1]
	v_pk_fma_f32 v[168:169], v[170:171], v[164:165], v[168:169] op_sel:[0,0,1] op_sel_hi:[1,0,0]
	s_delay_alu instid0(VALU_DEP_1)
	v_mov_b32_e32 v173, v169
	ds_load_2addr_b64 v[168:171], v238 offset0:5 offset1:6
	v_pk_add_f32 v[40:41], v[40:41], v[174:175] neg_lo:[0,1] neg_hi:[0,1]
	v_pk_add_f32 v[28:29], v[28:29], v[172:173] neg_lo:[0,1] neg_hi:[0,1]
	s_wait_dscnt 0x0
	v_pk_mul_f32 v[172:173], v[168:169], v[166:167] op_sel:[0,1]
	s_delay_alu instid0(VALU_DEP_1) | instskip(SKIP_2) | instid1(VALU_DEP_2)
	v_pk_fma_f32 v[174:175], v[168:169], v[164:165], v[172:173] op_sel:[0,0,1] op_sel_hi:[1,1,0] neg_lo:[0,0,1] neg_hi:[0,0,1]
	v_pk_fma_f32 v[168:169], v[168:169], v[164:165], v[172:173] op_sel:[0,0,1] op_sel_hi:[1,0,0]
	v_dual_mul_f32 v172, v171, v167 :: v_dual_mov_b32 v168, v171
	v_dual_mov_b32 v175, v169 :: v_dual_mov_b32 v169, v170
	s_delay_alu instid0(VALU_DEP_2) | instskip(SKIP_1) | instid1(VALU_DEP_3)
	v_pk_fma_f32 v[172:173], v[170:171], v[42:43], v[172:173] op_sel_hi:[1,1,0] neg_lo:[0,0,1] neg_hi:[0,0,1]
	v_mul_f32_e32 v170, v171, v164
	v_pk_add_f32 v[24:25], v[24:25], v[174:175] neg_lo:[0,1] neg_hi:[0,1]
	s_delay_alu instid0(VALU_DEP_2) | instskip(NEXT) | instid1(VALU_DEP_1)
	v_pk_fma_f32 v[168:169], v[168:169], v[42:43], v[170:171] op_sel_hi:[1,1,0]
	v_mov_b32_e32 v173, v169
	ds_load_2addr_b64 v[168:171], v238 offset0:7 offset1:8
	v_pk_add_f32 v[26:27], v[26:27], v[172:173] neg_lo:[0,1] neg_hi:[0,1]
	s_wait_dscnt 0x0
	v_pk_mul_f32 v[172:173], v[168:169], v[166:167] op_sel:[0,1]
	s_delay_alu instid0(VALU_DEP_1) | instskip(SKIP_1) | instid1(VALU_DEP_1)
	v_pk_fma_f32 v[174:175], v[168:169], v[164:165], v[172:173] op_sel:[0,0,1] op_sel_hi:[1,1,0] neg_lo:[0,0,1] neg_hi:[0,0,1]
	v_pk_fma_f32 v[168:169], v[168:169], v[164:165], v[172:173] op_sel:[0,0,1] op_sel_hi:[1,0,0]
	v_mov_b32_e32 v175, v169
	v_pk_mul_f32 v[168:169], v[170:171], v[166:167] op_sel:[0,1]
	s_delay_alu instid0(VALU_DEP_1) | instskip(SKIP_1) | instid1(VALU_DEP_1)
	v_pk_fma_f32 v[172:173], v[170:171], v[164:165], v[168:169] op_sel:[0,0,1] op_sel_hi:[1,1,0] neg_lo:[0,0,1] neg_hi:[0,0,1]
	v_pk_fma_f32 v[168:169], v[170:171], v[164:165], v[168:169] op_sel:[0,0,1] op_sel_hi:[1,0,0]
	v_mov_b32_e32 v173, v169
	ds_load_2addr_b64 v[168:171], v238 offset0:9 offset1:10
	v_pk_add_f32 v[22:23], v[22:23], v[174:175] neg_lo:[0,1] neg_hi:[0,1]
	v_pk_add_f32 v[36:37], v[36:37], v[172:173] neg_lo:[0,1] neg_hi:[0,1]
	s_wait_dscnt 0x0
	v_pk_mul_f32 v[172:173], v[168:169], v[166:167] op_sel:[0,1]
	s_delay_alu instid0(VALU_DEP_1) | instskip(SKIP_1) | instid1(VALU_DEP_1)
	v_pk_fma_f32 v[174:175], v[168:169], v[164:165], v[172:173] op_sel:[0,0,1] op_sel_hi:[1,1,0] neg_lo:[0,0,1] neg_hi:[0,0,1]
	v_pk_fma_f32 v[168:169], v[168:169], v[164:165], v[172:173] op_sel:[0,0,1] op_sel_hi:[1,0,0]
	v_mov_b32_e32 v175, v169
	v_pk_mul_f32 v[168:169], v[170:171], v[166:167] op_sel:[0,1]
	s_delay_alu instid0(VALU_DEP_1) | instskip(SKIP_1) | instid1(VALU_DEP_1)
	v_pk_fma_f32 v[172:173], v[170:171], v[164:165], v[168:169] op_sel:[0,0,1] op_sel_hi:[1,1,0] neg_lo:[0,0,1] neg_hi:[0,0,1]
	v_pk_fma_f32 v[168:169], v[170:171], v[164:165], v[168:169] op_sel:[0,0,1] op_sel_hi:[1,0,0]
	v_mov_b32_e32 v173, v169
	ds_load_2addr_b64 v[168:171], v238 offset0:11 offset1:12
	v_pk_add_f32 v[74:75], v[74:75], v[174:175] neg_lo:[0,1] neg_hi:[0,1]
	v_pk_add_f32 v[76:77], v[76:77], v[172:173] neg_lo:[0,1] neg_hi:[0,1]
	s_wait_dscnt 0x0
	v_dual_mul_f32 v172, v169, v167 :: v_dual_mul_f32 v174, v169, v164
	s_delay_alu instid0(VALU_DEP_1) | instskip(NEXT) | instid1(VALU_DEP_2)
	v_pk_fma_f32 v[172:173], v[168:169], v[42:43], v[172:173] op_sel_hi:[1,1,0] neg_lo:[0,0,1] neg_hi:[0,0,1]
	v_pk_fma_f32 v[168:169], v[168:169], v[42:43], v[174:175] op_sel:[1,0,0] op_sel_hi:[0,1,0]
	s_delay_alu instid0(VALU_DEP_1) | instskip(SKIP_1) | instid1(VALU_DEP_2)
	v_mov_b32_e32 v173, v169
	v_pk_mul_f32 v[168:169], v[170:171], v[166:167] op_sel:[0,1]
	v_pk_add_f32 v[72:73], v[72:73], v[172:173] neg_lo:[0,1] neg_hi:[0,1]
	s_delay_alu instid0(VALU_DEP_2) | instskip(SKIP_1) | instid1(VALU_DEP_1)
	v_pk_fma_f32 v[172:173], v[170:171], v[164:165], v[168:169] op_sel:[0,0,1] op_sel_hi:[1,1,0] neg_lo:[0,0,1] neg_hi:[0,0,1]
	v_pk_fma_f32 v[168:169], v[170:171], v[164:165], v[168:169] op_sel:[0,0,1] op_sel_hi:[1,0,0]
	v_mov_b32_e32 v173, v169
	ds_load_2addr_b64 v[168:171], v238 offset0:13 offset1:14
	v_pk_add_f32 v[92:93], v[92:93], v[172:173] neg_lo:[0,1] neg_hi:[0,1]
	s_wait_dscnt 0x0
	v_pk_mul_f32 v[172:173], v[168:169], v[166:167] op_sel:[0,1]
	s_delay_alu instid0(VALU_DEP_1) | instskip(SKIP_1) | instid1(VALU_DEP_1)
	v_pk_fma_f32 v[174:175], v[168:169], v[164:165], v[172:173] op_sel:[0,0,1] op_sel_hi:[1,1,0] neg_lo:[0,0,1] neg_hi:[0,0,1]
	v_pk_fma_f32 v[168:169], v[168:169], v[164:165], v[172:173] op_sel:[0,0,1] op_sel_hi:[1,0,0]
	v_mov_b32_e32 v175, v169
	v_pk_mul_f32 v[168:169], v[170:171], v[166:167] op_sel:[0,1]
	s_delay_alu instid0(VALU_DEP_2) | instskip(NEXT) | instid1(VALU_DEP_2)
	v_pk_add_f32 v[88:89], v[88:89], v[174:175] neg_lo:[0,1] neg_hi:[0,1]
	v_pk_fma_f32 v[172:173], v[170:171], v[164:165], v[168:169] op_sel:[0,0,1] op_sel_hi:[1,1,0] neg_lo:[0,0,1] neg_hi:[0,0,1]
	v_pk_fma_f32 v[168:169], v[170:171], v[164:165], v[168:169] op_sel:[0,0,1] op_sel_hi:[1,0,0]
	s_delay_alu instid0(VALU_DEP_1) | instskip(SKIP_4) | instid1(VALU_DEP_1)
	v_mov_b32_e32 v173, v169
	ds_load_2addr_b64 v[168:171], v238 offset0:15 offset1:16
	v_pk_add_f32 v[90:91], v[90:91], v[172:173] neg_lo:[0,1] neg_hi:[0,1]
	s_wait_dscnt 0x0
	v_pk_mul_f32 v[172:173], v[168:169], v[166:167] op_sel:[0,1]
	v_pk_fma_f32 v[174:175], v[168:169], v[164:165], v[172:173] op_sel:[0,0,1] op_sel_hi:[1,1,0] neg_lo:[0,0,1] neg_hi:[0,0,1]
	v_pk_fma_f32 v[168:169], v[168:169], v[164:165], v[172:173] op_sel:[0,0,1] op_sel_hi:[1,0,0]
	v_dual_mul_f32 v172, v171, v167 :: v_dual_mov_b32 v168, v171
	s_delay_alu instid0(VALU_DEP_2) | instskip(NEXT) | instid1(VALU_DEP_2)
	v_dual_mov_b32 v175, v169 :: v_dual_mov_b32 v169, v170
	v_pk_fma_f32 v[172:173], v[170:171], v[42:43], v[172:173] op_sel_hi:[1,1,0] neg_lo:[0,0,1] neg_hi:[0,0,1]
	v_mul_f32_e32 v170, v171, v164
	s_delay_alu instid0(VALU_DEP_3) | instskip(NEXT) | instid1(VALU_DEP_2)
	v_pk_add_f32 v[70:71], v[70:71], v[174:175] neg_lo:[0,1] neg_hi:[0,1]
	v_pk_fma_f32 v[168:169], v[168:169], v[42:43], v[170:171] op_sel_hi:[1,1,0]
	s_delay_alu instid0(VALU_DEP_1) | instskip(SKIP_4) | instid1(VALU_DEP_1)
	v_mov_b32_e32 v173, v169
	ds_load_2addr_b64 v[168:171], v238 offset0:17 offset1:18
	v_pk_add_f32 v[110:111], v[110:111], v[172:173] neg_lo:[0,1] neg_hi:[0,1]
	s_wait_dscnt 0x0
	v_pk_mul_f32 v[172:173], v[168:169], v[166:167] op_sel:[0,1]
	v_pk_fma_f32 v[174:175], v[168:169], v[164:165], v[172:173] op_sel:[0,0,1] op_sel_hi:[1,1,0] neg_lo:[0,0,1] neg_hi:[0,0,1]
	v_pk_fma_f32 v[168:169], v[168:169], v[164:165], v[172:173] op_sel:[0,0,1] op_sel_hi:[1,0,0]
	s_delay_alu instid0(VALU_DEP_1) | instskip(SKIP_1) | instid1(VALU_DEP_1)
	v_mov_b32_e32 v175, v169
	v_pk_mul_f32 v[168:169], v[170:171], v[166:167] op_sel:[0,1]
	v_pk_fma_f32 v[172:173], v[170:171], v[164:165], v[168:169] op_sel:[0,0,1] op_sel_hi:[1,1,0] neg_lo:[0,0,1] neg_hi:[0,0,1]
	v_pk_fma_f32 v[168:169], v[170:171], v[164:165], v[168:169] op_sel:[0,0,1] op_sel_hi:[1,0,0]
	s_delay_alu instid0(VALU_DEP_1)
	v_mov_b32_e32 v173, v169
	ds_load_2addr_b64 v[168:171], v238 offset0:19 offset1:20
	v_pk_add_f32 v[106:107], v[106:107], v[174:175] neg_lo:[0,1] neg_hi:[0,1]
	v_pk_add_f32 v[108:109], v[108:109], v[172:173] neg_lo:[0,1] neg_hi:[0,1]
	s_wait_dscnt 0x0
	v_pk_mul_f32 v[172:173], v[168:169], v[166:167] op_sel:[0,1]
	s_delay_alu instid0(VALU_DEP_1) | instskip(SKIP_1) | instid1(VALU_DEP_1)
	v_pk_fma_f32 v[174:175], v[168:169], v[164:165], v[172:173] op_sel:[0,0,1] op_sel_hi:[1,1,0] neg_lo:[0,0,1] neg_hi:[0,0,1]
	v_pk_fma_f32 v[168:169], v[168:169], v[164:165], v[172:173] op_sel:[0,0,1] op_sel_hi:[1,0,0]
	v_mov_b32_e32 v175, v169
	v_pk_mul_f32 v[168:169], v[170:171], v[166:167] op_sel:[0,1]
	s_delay_alu instid0(VALU_DEP_1) | instskip(SKIP_1) | instid1(VALU_DEP_1)
	v_pk_fma_f32 v[172:173], v[170:171], v[164:165], v[168:169] op_sel:[0,0,1] op_sel_hi:[1,1,0] neg_lo:[0,0,1] neg_hi:[0,0,1]
	v_pk_fma_f32 v[168:169], v[170:171], v[164:165], v[168:169] op_sel:[0,0,1] op_sel_hi:[1,0,0]
	v_mov_b32_e32 v173, v169
	ds_load_2addr_b64 v[168:171], v238 offset0:21 offset1:22
	v_pk_add_f32 v[86:87], v[86:87], v[174:175] neg_lo:[0,1] neg_hi:[0,1]
	v_pk_add_f32 v[136:137], v[136:137], v[172:173] neg_lo:[0,1] neg_hi:[0,1]
	s_wait_dscnt 0x0
	v_dual_mul_f32 v172, v169, v167 :: v_dual_mul_f32 v174, v169, v164
	s_delay_alu instid0(VALU_DEP_1) | instskip(NEXT) | instid1(VALU_DEP_2)
	v_pk_fma_f32 v[172:173], v[168:169], v[42:43], v[172:173] op_sel_hi:[1,1,0] neg_lo:[0,0,1] neg_hi:[0,0,1]
	v_pk_fma_f32 v[168:169], v[168:169], v[42:43], v[174:175] op_sel:[1,0,0] op_sel_hi:[0,1,0]
	s_delay_alu instid0(VALU_DEP_1) | instskip(SKIP_1) | instid1(VALU_DEP_2)
	v_mov_b32_e32 v173, v169
	v_pk_mul_f32 v[168:169], v[170:171], v[166:167] op_sel:[0,1]
	v_pk_add_f32 v[132:133], v[132:133], v[172:173] neg_lo:[0,1] neg_hi:[0,1]
	s_delay_alu instid0(VALU_DEP_2) | instskip(SKIP_1) | instid1(VALU_DEP_1)
	v_pk_fma_f32 v[172:173], v[170:171], v[164:165], v[168:169] op_sel:[0,0,1] op_sel_hi:[1,1,0] neg_lo:[0,0,1] neg_hi:[0,0,1]
	v_pk_fma_f32 v[168:169], v[170:171], v[164:165], v[168:169] op_sel:[0,0,1] op_sel_hi:[1,0,0]
	v_mov_b32_e32 v173, v169
	ds_load_2addr_b64 v[168:171], v238 offset0:23 offset1:24
	v_pk_add_f32 v[134:135], v[134:135], v[172:173] neg_lo:[0,1] neg_hi:[0,1]
	s_wait_dscnt 0x0
	v_pk_mul_f32 v[172:173], v[168:169], v[166:167] op_sel:[0,1]
	s_delay_alu instid0(VALU_DEP_1) | instskip(SKIP_1) | instid1(VALU_DEP_1)
	v_pk_fma_f32 v[174:175], v[168:169], v[164:165], v[172:173] op_sel:[0,0,1] op_sel_hi:[1,1,0] neg_lo:[0,0,1] neg_hi:[0,0,1]
	v_pk_fma_f32 v[168:169], v[168:169], v[164:165], v[172:173] op_sel:[0,0,1] op_sel_hi:[1,0,0]
	v_mov_b32_e32 v175, v169
	v_pk_mul_f32 v[168:169], v[170:171], v[166:167] op_sel:[0,1]
	s_delay_alu instid0(VALU_DEP_2) | instskip(NEXT) | instid1(VALU_DEP_2)
	v_pk_add_f32 v[104:105], v[104:105], v[174:175] neg_lo:[0,1] neg_hi:[0,1]
	v_pk_fma_f32 v[172:173], v[170:171], v[164:165], v[168:169] op_sel:[0,0,1] op_sel_hi:[1,1,0] neg_lo:[0,0,1] neg_hi:[0,0,1]
	v_pk_fma_f32 v[168:169], v[170:171], v[164:165], v[168:169] op_sel:[0,0,1] op_sel_hi:[1,0,0]
	s_delay_alu instid0(VALU_DEP_1) | instskip(SKIP_4) | instid1(VALU_DEP_1)
	v_mov_b32_e32 v173, v169
	ds_load_2addr_b64 v[168:171], v238 offset0:25 offset1:26
	v_pk_add_f32 v[150:151], v[150:151], v[172:173] neg_lo:[0,1] neg_hi:[0,1]
	s_wait_dscnt 0x0
	v_pk_mul_f32 v[172:173], v[168:169], v[166:167] op_sel:[0,1]
	v_pk_fma_f32 v[174:175], v[168:169], v[164:165], v[172:173] op_sel:[0,0,1] op_sel_hi:[1,1,0] neg_lo:[0,0,1] neg_hi:[0,0,1]
	v_pk_fma_f32 v[168:169], v[168:169], v[164:165], v[172:173] op_sel:[0,0,1] op_sel_hi:[1,0,0]
	v_dual_mul_f32 v172, v171, v167 :: v_dual_mov_b32 v168, v171
	s_delay_alu instid0(VALU_DEP_2) | instskip(NEXT) | instid1(VALU_DEP_2)
	v_dual_mov_b32 v175, v169 :: v_dual_mov_b32 v169, v170
	v_pk_fma_f32 v[172:173], v[170:171], v[42:43], v[172:173] op_sel_hi:[1,1,0] neg_lo:[0,0,1] neg_hi:[0,0,1]
	v_mul_f32_e32 v170, v171, v164
	s_delay_alu instid0(VALU_DEP_3) | instskip(NEXT) | instid1(VALU_DEP_2)
	v_pk_add_f32 v[146:147], v[146:147], v[174:175] neg_lo:[0,1] neg_hi:[0,1]
	v_pk_fma_f32 v[168:169], v[168:169], v[42:43], v[170:171] op_sel_hi:[1,1,0]
	s_delay_alu instid0(VALU_DEP_1) | instskip(SKIP_4) | instid1(VALU_DEP_1)
	v_mov_b32_e32 v173, v169
	ds_load_2addr_b64 v[168:171], v238 offset0:27 offset1:28
	v_pk_add_f32 v[148:149], v[148:149], v[172:173] neg_lo:[0,1] neg_hi:[0,1]
	s_wait_dscnt 0x0
	v_pk_mul_f32 v[172:173], v[168:169], v[166:167] op_sel:[0,1]
	v_pk_fma_f32 v[174:175], v[168:169], v[164:165], v[172:173] op_sel:[0,0,1] op_sel_hi:[1,1,0] neg_lo:[0,0,1] neg_hi:[0,0,1]
	v_pk_fma_f32 v[168:169], v[168:169], v[164:165], v[172:173] op_sel:[0,0,1] op_sel_hi:[1,0,0]
	s_delay_alu instid0(VALU_DEP_1) | instskip(SKIP_1) | instid1(VALU_DEP_1)
	v_mov_b32_e32 v175, v169
	v_pk_mul_f32 v[168:169], v[170:171], v[166:167] op_sel:[0,1]
	v_pk_fma_f32 v[172:173], v[170:171], v[164:165], v[168:169] op_sel:[0,0,1] op_sel_hi:[1,1,0] neg_lo:[0,0,1] neg_hi:[0,0,1]
	v_pk_fma_f32 v[168:169], v[170:171], v[164:165], v[168:169] op_sel:[0,0,1] op_sel_hi:[1,0,0]
	s_delay_alu instid0(VALU_DEP_1)
	v_mov_b32_e32 v173, v169
	ds_load_2addr_b64 v[168:171], v238 offset0:29 offset1:30
	v_pk_add_f32 v[94:95], v[94:95], v[174:175] neg_lo:[0,1] neg_hi:[0,1]
	v_pk_add_f32 v[120:121], v[120:121], v[172:173] neg_lo:[0,1] neg_hi:[0,1]
	s_wait_dscnt 0x0
	v_pk_mul_f32 v[172:173], v[168:169], v[166:167] op_sel:[0,1]
	s_delay_alu instid0(VALU_DEP_1) | instskip(SKIP_1) | instid1(VALU_DEP_1)
	v_pk_fma_f32 v[174:175], v[168:169], v[164:165], v[172:173] op_sel:[0,0,1] op_sel_hi:[1,1,0] neg_lo:[0,0,1] neg_hi:[0,0,1]
	v_pk_fma_f32 v[168:169], v[168:169], v[164:165], v[172:173] op_sel:[0,0,1] op_sel_hi:[1,0,0]
	v_mov_b32_e32 v175, v169
	v_pk_mul_f32 v[168:169], v[170:171], v[166:167] op_sel:[0,1]
	s_delay_alu instid0(VALU_DEP_1) | instskip(SKIP_1) | instid1(VALU_DEP_1)
	v_pk_fma_f32 v[172:173], v[170:171], v[164:165], v[168:169] op_sel:[0,0,1] op_sel_hi:[1,1,0] neg_lo:[0,0,1] neg_hi:[0,0,1]
	v_pk_fma_f32 v[168:169], v[170:171], v[164:165], v[168:169] op_sel:[0,0,1] op_sel_hi:[1,0,0]
	v_mov_b32_e32 v173, v169
	ds_load_2addr_b64 v[168:171], v238 offset0:31 offset1:32
	v_pk_add_f32 v[116:117], v[116:117], v[174:175] neg_lo:[0,1] neg_hi:[0,1]
	v_pk_add_f32 v[118:119], v[118:119], v[172:173] neg_lo:[0,1] neg_hi:[0,1]
	s_wait_dscnt 0x0
	v_dual_mul_f32 v172, v169, v167 :: v_dual_mul_f32 v174, v169, v164
	s_delay_alu instid0(VALU_DEP_1) | instskip(NEXT) | instid1(VALU_DEP_2)
	v_pk_fma_f32 v[172:173], v[168:169], v[42:43], v[172:173] op_sel_hi:[1,1,0] neg_lo:[0,0,1] neg_hi:[0,0,1]
	v_pk_fma_f32 v[168:169], v[168:169], v[42:43], v[174:175] op_sel:[1,0,0] op_sel_hi:[0,1,0]
	s_delay_alu instid0(VALU_DEP_1) | instskip(SKIP_1) | instid1(VALU_DEP_2)
	v_mov_b32_e32 v173, v169
	v_pk_mul_f32 v[168:169], v[170:171], v[166:167] op_sel:[0,1]
	v_pk_add_f32 v[114:115], v[114:115], v[172:173] neg_lo:[0,1] neg_hi:[0,1]
	s_delay_alu instid0(VALU_DEP_2) | instskip(SKIP_1) | instid1(VALU_DEP_1)
	v_pk_fma_f32 v[172:173], v[170:171], v[164:165], v[168:169] op_sel:[0,0,1] op_sel_hi:[1,1,0] neg_lo:[0,0,1] neg_hi:[0,0,1]
	v_pk_fma_f32 v[168:169], v[170:171], v[164:165], v[168:169] op_sel:[0,0,1] op_sel_hi:[1,0,0]
	v_mov_b32_e32 v173, v169
	ds_load_2addr_b64 v[168:171], v238 offset0:33 offset1:34
	v_pk_add_f32 v[142:143], v[142:143], v[172:173] neg_lo:[0,1] neg_hi:[0,1]
	s_wait_dscnt 0x0
	v_pk_mul_f32 v[172:173], v[168:169], v[166:167] op_sel:[0,1]
	s_delay_alu instid0(VALU_DEP_1) | instskip(SKIP_1) | instid1(VALU_DEP_1)
	v_pk_fma_f32 v[174:175], v[168:169], v[164:165], v[172:173] op_sel:[0,0,1] op_sel_hi:[1,1,0] neg_lo:[0,0,1] neg_hi:[0,0,1]
	v_pk_fma_f32 v[168:169], v[168:169], v[164:165], v[172:173] op_sel:[0,0,1] op_sel_hi:[1,0,0]
	v_mov_b32_e32 v175, v169
	v_pk_mul_f32 v[168:169], v[170:171], v[166:167] op_sel:[0,1]
	s_delay_alu instid0(VALU_DEP_2) | instskip(NEXT) | instid1(VALU_DEP_2)
	v_pk_add_f32 v[138:139], v[138:139], v[174:175] neg_lo:[0,1] neg_hi:[0,1]
	v_pk_fma_f32 v[172:173], v[170:171], v[164:165], v[168:169] op_sel:[0,0,1] op_sel_hi:[1,1,0] neg_lo:[0,0,1] neg_hi:[0,0,1]
	v_pk_fma_f32 v[168:169], v[170:171], v[164:165], v[168:169] op_sel:[0,0,1] op_sel_hi:[1,0,0]
	s_delay_alu instid0(VALU_DEP_1) | instskip(SKIP_4) | instid1(VALU_DEP_1)
	v_mov_b32_e32 v173, v169
	ds_load_2addr_b64 v[168:171], v238 offset0:35 offset1:36
	v_pk_add_f32 v[140:141], v[140:141], v[172:173] neg_lo:[0,1] neg_hi:[0,1]
	s_wait_dscnt 0x0
	v_pk_mul_f32 v[172:173], v[168:169], v[166:167] op_sel:[0,1]
	v_pk_fma_f32 v[174:175], v[168:169], v[164:165], v[172:173] op_sel:[0,0,1] op_sel_hi:[1,1,0] neg_lo:[0,0,1] neg_hi:[0,0,1]
	v_pk_fma_f32 v[168:169], v[168:169], v[164:165], v[172:173] op_sel:[0,0,1] op_sel_hi:[1,0,0]
	v_dual_mul_f32 v172, v171, v167 :: v_dual_mov_b32 v168, v171
	s_delay_alu instid0(VALU_DEP_2) | instskip(NEXT) | instid1(VALU_DEP_2)
	v_dual_mov_b32 v175, v169 :: v_dual_mov_b32 v169, v170
	v_pk_fma_f32 v[172:173], v[170:171], v[42:43], v[172:173] op_sel_hi:[1,1,0] neg_lo:[0,0,1] neg_hi:[0,0,1]
	v_mul_f32_e32 v170, v171, v164
	s_delay_alu instid0(VALU_DEP_3) | instskip(NEXT) | instid1(VALU_DEP_2)
	v_pk_add_f32 v[154:155], v[154:155], v[174:175] neg_lo:[0,1] neg_hi:[0,1]
	v_pk_fma_f32 v[168:169], v[168:169], v[42:43], v[170:171] op_sel_hi:[1,1,0]
	s_delay_alu instid0(VALU_DEP_1)
	v_mov_b32_e32 v173, v169
	ds_load_2addr_b64 v[168:171], v238 offset0:37 offset1:38
	v_pk_add_f32 v[152:153], v[152:153], v[172:173] neg_lo:[0,1] neg_hi:[0,1]
	s_wait_dscnt 0x0
	v_pk_mul_f32 v[172:173], v[168:169], v[166:167] op_sel:[0,1]
	v_mul_f32_e32 v166, v171, v167
	s_delay_alu instid0(VALU_DEP_2) | instskip(SKIP_2) | instid1(VALU_DEP_4)
	v_pk_fma_f32 v[174:175], v[168:169], v[164:165], v[172:173] op_sel:[0,0,1] op_sel_hi:[1,1,0] neg_lo:[0,0,1] neg_hi:[0,0,1]
	v_pk_fma_f32 v[168:169], v[168:169], v[164:165], v[172:173] op_sel:[0,0,1] op_sel_hi:[1,0,0]
	v_dual_mov_b32 v168, v171 :: v_dual_mul_f32 v164, v171, v164
	v_pk_fma_f32 v[166:167], v[170:171], v[42:43], v[166:167] op_sel_hi:[1,1,0] neg_lo:[0,0,1] neg_hi:[0,0,1]
	s_delay_alu instid0(VALU_DEP_3) | instskip(NEXT) | instid1(VALU_DEP_1)
	v_dual_mov_b32 v175, v169 :: v_dual_mov_b32 v169, v170
	v_pk_add_f32 v[144:145], v[144:145], v[174:175] neg_lo:[0,1] neg_hi:[0,1]
	s_delay_alu instid0(VALU_DEP_2) | instskip(NEXT) | instid1(VALU_DEP_1)
	v_pk_fma_f32 v[164:165], v[168:169], v[42:43], v[164:165] op_sel_hi:[1,1,0]
	v_mov_b32_e32 v167, v165
	s_delay_alu instid0(VALU_DEP_1)
	v_pk_add_f32 v[156:157], v[156:157], v[166:167] neg_lo:[0,1] neg_hi:[0,1]
.LBB77_28:
	s_or_b32 exec_lo, exec_lo, s1
	s_delay_alu instid0(SALU_CYCLE_1)
	s_mov_b32 s2, exec_lo
	s_wait_dscnt 0x0
	s_barrier_signal -1
	s_barrier_wait -1
	v_cmpx_eq_u32_e32 3, v236
	s_cbranch_execz .LBB77_35
; %bb.29:
	v_dual_mov_b32 v164, v28 :: v_dual_mov_b32 v165, v29
	v_dual_mov_b32 v166, v24 :: v_dual_mov_b32 v167, v25
	;; [unrolled: 1-line block ×10, first 2 shown]
	ds_store_b64 v237, v[40:41]
	v_dual_mov_b32 v184, v90 :: v_dual_mov_b32 v185, v91
	v_dual_mov_b32 v186, v70 :: v_dual_mov_b32 v187, v71
	ds_store_2addr_b64 v238, v[164:165], v[166:167] offset0:4 offset1:5
	ds_store_2addr_b64 v238, v[168:169], v[170:171] offset0:6 offset1:7
	ds_store_2addr_b64 v238, v[172:173], v[174:175] offset0:8 offset1:9
	ds_store_2addr_b64 v238, v[176:177], v[178:179] offset0:10 offset1:11
	ds_store_2addr_b64 v238, v[180:181], v[182:183] offset0:12 offset1:13
	ds_store_2addr_b64 v238, v[184:185], v[186:187] offset0:14 offset1:15
	v_dual_mov_b32 v164, v110 :: v_dual_mov_b32 v165, v111
	v_dual_mov_b32 v166, v106 :: v_dual_mov_b32 v167, v107
	;; [unrolled: 1-line block ×12, first 2 shown]
	ds_store_2addr_b64 v238, v[164:165], v[166:167] offset0:16 offset1:17
	ds_store_2addr_b64 v238, v[168:169], v[170:171] offset0:18 offset1:19
	;; [unrolled: 1-line block ×6, first 2 shown]
	v_dual_mov_b32 v164, v120 :: v_dual_mov_b32 v165, v121
	v_dual_mov_b32 v166, v116 :: v_dual_mov_b32 v167, v117
	;; [unrolled: 1-line block ×10, first 2 shown]
	ds_store_2addr_b64 v238, v[164:165], v[166:167] offset0:28 offset1:29
	ds_store_2addr_b64 v238, v[168:169], v[170:171] offset0:30 offset1:31
	;; [unrolled: 1-line block ×5, first 2 shown]
	ds_store_b64 v238, v[156:157] offset:304
	ds_load_b64 v[164:165], v237
	s_wait_dscnt 0x0
	v_cmp_neq_f32_e32 vcc_lo, 0, v164
	v_cmp_neq_f32_e64 s1, 0, v165
	s_or_b32 s1, vcc_lo, s1
	s_delay_alu instid0(SALU_CYCLE_1)
	s_and_b32 exec_lo, exec_lo, s1
	s_cbranch_execz .LBB77_35
; %bb.30:
	v_cmp_ngt_f32_e64 s1, |v164|, |v165|
                                        ; implicit-def: $vgpr166_vgpr167
	s_and_saveexec_b32 s4, s1
	s_delay_alu instid0(SALU_CYCLE_1)
	s_xor_b32 s1, exec_lo, s4
	s_cbranch_execz .LBB77_32
; %bb.31:
	v_div_scale_f32 v0, null, v165, v165, v164
	v_div_scale_f32 v167, vcc_lo, v164, v165, v164
	s_delay_alu instid0(VALU_DEP_2) | instskip(SKIP_1) | instid1(TRANS32_DEP_1)
	v_rcp_f32_e32 v1, v0
	v_nop
	v_fma_f32 v166, -v0, v1, 1.0
	s_delay_alu instid0(VALU_DEP_1) | instskip(NEXT) | instid1(VALU_DEP_1)
	v_fmac_f32_e32 v1, v166, v1
	v_mul_f32_e32 v166, v167, v1
	s_delay_alu instid0(VALU_DEP_1) | instskip(NEXT) | instid1(VALU_DEP_1)
	v_fma_f32 v168, -v0, v166, v167
	v_fmac_f32_e32 v166, v168, v1
	s_delay_alu instid0(VALU_DEP_1) | instskip(NEXT) | instid1(VALU_DEP_1)
	v_fma_f32 v0, -v0, v166, v167
	v_div_fmas_f32 v0, v0, v1, v166
	s_delay_alu instid0(VALU_DEP_1) | instskip(NEXT) | instid1(VALU_DEP_1)
	v_div_fixup_f32 v0, v0, v165, v164
	v_fmac_f32_e32 v165, v164, v0
	s_delay_alu instid0(VALU_DEP_1) | instskip(SKIP_1) | instid1(VALU_DEP_2)
	v_div_scale_f32 v1, null, v165, v165, 1.0
	v_div_scale_f32 v167, vcc_lo, 1.0, v165, 1.0
	v_rcp_f32_e32 v164, v1
	v_nop
	s_delay_alu instid0(TRANS32_DEP_1) | instskip(NEXT) | instid1(VALU_DEP_1)
	v_fma_f32 v166, -v1, v164, 1.0
	v_fmac_f32_e32 v164, v166, v164
	s_delay_alu instid0(VALU_DEP_1) | instskip(NEXT) | instid1(VALU_DEP_1)
	v_mul_f32_e32 v166, v167, v164
	v_fma_f32 v168, -v1, v166, v167
	s_delay_alu instid0(VALU_DEP_1) | instskip(NEXT) | instid1(VALU_DEP_1)
	v_fmac_f32_e32 v166, v168, v164
	v_fma_f32 v1, -v1, v166, v167
	s_delay_alu instid0(VALU_DEP_1) | instskip(NEXT) | instid1(VALU_DEP_1)
	v_div_fmas_f32 v1, v1, v164, v166
	v_div_fixup_f32 v1, v1, v165, 1.0
                                        ; implicit-def: $vgpr164_vgpr165
	s_delay_alu instid0(VALU_DEP_1)
	v_mul_f32_e32 v166, v0, v1
	v_xor_b32_e32 v167, 0x80000000, v1
.LBB77_32:
	s_and_not1_saveexec_b32 s1, s1
	s_cbranch_execz .LBB77_34
; %bb.33:
	v_div_scale_f32 v0, null, v164, v164, v165
	v_div_scale_f32 v167, vcc_lo, v165, v164, v165
	s_delay_alu instid0(VALU_DEP_2) | instskip(SKIP_1) | instid1(TRANS32_DEP_1)
	v_rcp_f32_e32 v1, v0
	v_nop
	v_fma_f32 v166, -v0, v1, 1.0
	s_delay_alu instid0(VALU_DEP_1) | instskip(NEXT) | instid1(VALU_DEP_1)
	v_fmac_f32_e32 v1, v166, v1
	v_mul_f32_e32 v166, v167, v1
	s_delay_alu instid0(VALU_DEP_1) | instskip(NEXT) | instid1(VALU_DEP_1)
	v_fma_f32 v168, -v0, v166, v167
	v_fmac_f32_e32 v166, v168, v1
	s_delay_alu instid0(VALU_DEP_1) | instskip(NEXT) | instid1(VALU_DEP_1)
	v_fma_f32 v0, -v0, v166, v167
	v_div_fmas_f32 v0, v0, v1, v166
	s_delay_alu instid0(VALU_DEP_1) | instskip(NEXT) | instid1(VALU_DEP_1)
	v_div_fixup_f32 v0, v0, v164, v165
	v_fmac_f32_e32 v164, v165, v0
	s_delay_alu instid0(VALU_DEP_1) | instskip(NEXT) | instid1(VALU_DEP_1)
	v_div_scale_f32 v1, null, v164, v164, 1.0
	v_rcp_f32_e32 v165, v1
	v_nop
	s_delay_alu instid0(TRANS32_DEP_1) | instskip(NEXT) | instid1(VALU_DEP_1)
	v_fma_f32 v166, -v1, v165, 1.0
	v_fmac_f32_e32 v165, v166, v165
	v_div_scale_f32 v166, vcc_lo, 1.0, v164, 1.0
	s_delay_alu instid0(VALU_DEP_1) | instskip(NEXT) | instid1(VALU_DEP_1)
	v_mul_f32_e32 v167, v166, v165
	v_fma_f32 v168, -v1, v167, v166
	s_delay_alu instid0(VALU_DEP_1) | instskip(NEXT) | instid1(VALU_DEP_1)
	v_fmac_f32_e32 v167, v168, v165
	v_fma_f32 v1, -v1, v167, v166
	s_delay_alu instid0(VALU_DEP_1) | instskip(NEXT) | instid1(VALU_DEP_1)
	v_div_fmas_f32 v1, v1, v165, v167
	v_div_fixup_f32 v166, v1, v164, 1.0
	s_delay_alu instid0(VALU_DEP_1)
	v_mul_f32_e64 v167, v0, -v166
.LBB77_34:
	s_or_b32 exec_lo, exec_lo, s1
	ds_store_b64 v237, v[166:167]
.LBB77_35:
	s_or_b32 exec_lo, exec_lo, s2
	s_wait_dscnt 0x0
	s_barrier_signal -1
	s_barrier_wait -1
	ds_load_b64 v[164:165], v237
	s_mov_b32 s1, exec_lo
	v_cmpx_lt_u32_e32 3, v236
	s_cbranch_execz .LBB77_37
; %bb.36:
	ds_load_2addr_b64 v[170:173], v238 offset0:4 offset1:5
	s_wait_dscnt 0x1
	v_pk_mul_f32 v[168:169], v[164:165], v[40:41] op_sel:[1,1] op_sel_hi:[0,1]
	s_delay_alu instid0(VALU_DEP_1) | instskip(SKIP_1) | instid1(VALU_DEP_1)
	v_pk_fma_f32 v[166:167], v[164:165], v[40:41], v[168:169] op_sel_hi:[1,0,1] neg_lo:[0,0,1] neg_hi:[0,0,1]
	v_pk_fma_f32 v[168:169], v[164:165], v[40:41], v[168:169] op_sel_hi:[1,0,1]
	v_dual_mov_b32 v40, v166 :: v_dual_mov_b32 v41, v169
	s_wait_dscnt 0x0
	s_delay_alu instid0(VALU_DEP_2) | instskip(NEXT) | instid1(VALU_DEP_1)
	v_pk_mul_f32 v[174:175], v[170:171], v[168:169] op_sel:[0,1]
	v_pk_fma_f32 v[176:177], v[170:171], v[166:167], v[174:175] op_sel:[0,0,1] op_sel_hi:[1,1,0] neg_lo:[0,0,1] neg_hi:[0,0,1]
	v_pk_fma_f32 v[170:171], v[170:171], v[166:167], v[174:175] op_sel:[0,0,1] op_sel_hi:[1,0,0]
	s_delay_alu instid0(VALU_DEP_1) | instskip(SKIP_1) | instid1(VALU_DEP_1)
	v_mov_b32_e32 v177, v171
	v_pk_mul_f32 v[170:171], v[172:173], v[168:169] op_sel:[0,1]
	v_pk_fma_f32 v[174:175], v[172:173], v[166:167], v[170:171] op_sel:[0,0,1] op_sel_hi:[1,1,0] neg_lo:[0,0,1] neg_hi:[0,0,1]
	v_pk_fma_f32 v[170:171], v[172:173], v[166:167], v[170:171] op_sel:[0,0,1] op_sel_hi:[1,0,0]
	s_delay_alu instid0(VALU_DEP_1)
	v_mov_b32_e32 v175, v171
	ds_load_2addr_b64 v[170:173], v238 offset0:6 offset1:7
	v_pk_add_f32 v[28:29], v[28:29], v[176:177] neg_lo:[0,1] neg_hi:[0,1]
	v_pk_add_f32 v[24:25], v[24:25], v[174:175] neg_lo:[0,1] neg_hi:[0,1]
	s_wait_dscnt 0x0
	v_pk_mul_f32 v[174:175], v[170:171], v[168:169] op_sel:[0,1]
	s_delay_alu instid0(VALU_DEP_1) | instskip(SKIP_2) | instid1(VALU_DEP_2)
	v_pk_fma_f32 v[176:177], v[170:171], v[166:167], v[174:175] op_sel:[0,0,1] op_sel_hi:[1,1,0] neg_lo:[0,0,1] neg_hi:[0,0,1]
	v_pk_fma_f32 v[170:171], v[170:171], v[166:167], v[174:175] op_sel:[0,0,1] op_sel_hi:[1,0,0]
	v_dual_mul_f32 v174, v173, v169 :: v_dual_mov_b32 v170, v173
	v_dual_mov_b32 v177, v171 :: v_dual_mov_b32 v171, v172
	s_delay_alu instid0(VALU_DEP_2) | instskip(SKIP_1) | instid1(VALU_DEP_3)
	v_pk_fma_f32 v[174:175], v[172:173], v[40:41], v[174:175] op_sel_hi:[1,1,0] neg_lo:[0,0,1] neg_hi:[0,0,1]
	v_mul_f32_e32 v172, v173, v166
	v_pk_add_f32 v[26:27], v[26:27], v[176:177] neg_lo:[0,1] neg_hi:[0,1]
	s_delay_alu instid0(VALU_DEP_2) | instskip(NEXT) | instid1(VALU_DEP_1)
	v_pk_fma_f32 v[170:171], v[170:171], v[40:41], v[172:173] op_sel_hi:[1,1,0]
	v_mov_b32_e32 v175, v171
	ds_load_2addr_b64 v[170:173], v238 offset0:8 offset1:9
	v_pk_add_f32 v[22:23], v[22:23], v[174:175] neg_lo:[0,1] neg_hi:[0,1]
	s_wait_dscnt 0x0
	v_pk_mul_f32 v[174:175], v[170:171], v[168:169] op_sel:[0,1]
	s_delay_alu instid0(VALU_DEP_1) | instskip(SKIP_1) | instid1(VALU_DEP_1)
	v_pk_fma_f32 v[176:177], v[170:171], v[166:167], v[174:175] op_sel:[0,0,1] op_sel_hi:[1,1,0] neg_lo:[0,0,1] neg_hi:[0,0,1]
	v_pk_fma_f32 v[170:171], v[170:171], v[166:167], v[174:175] op_sel:[0,0,1] op_sel_hi:[1,0,0]
	v_mov_b32_e32 v177, v171
	v_pk_mul_f32 v[170:171], v[172:173], v[168:169] op_sel:[0,1]
	s_delay_alu instid0(VALU_DEP_1) | instskip(SKIP_1) | instid1(VALU_DEP_1)
	v_pk_fma_f32 v[174:175], v[172:173], v[166:167], v[170:171] op_sel:[0,0,1] op_sel_hi:[1,1,0] neg_lo:[0,0,1] neg_hi:[0,0,1]
	v_pk_fma_f32 v[170:171], v[172:173], v[166:167], v[170:171] op_sel:[0,0,1] op_sel_hi:[1,0,0]
	v_mov_b32_e32 v175, v171
	ds_load_2addr_b64 v[170:173], v238 offset0:10 offset1:11
	v_pk_add_f32 v[36:37], v[36:37], v[176:177] neg_lo:[0,1] neg_hi:[0,1]
	v_pk_add_f32 v[74:75], v[74:75], v[174:175] neg_lo:[0,1] neg_hi:[0,1]
	s_wait_dscnt 0x0
	v_pk_mul_f32 v[174:175], v[170:171], v[168:169] op_sel:[0,1]
	s_delay_alu instid0(VALU_DEP_1) | instskip(SKIP_1) | instid1(VALU_DEP_1)
	v_pk_fma_f32 v[176:177], v[170:171], v[166:167], v[174:175] op_sel:[0,0,1] op_sel_hi:[1,1,0] neg_lo:[0,0,1] neg_hi:[0,0,1]
	v_pk_fma_f32 v[170:171], v[170:171], v[166:167], v[174:175] op_sel:[0,0,1] op_sel_hi:[1,0,0]
	v_mov_b32_e32 v177, v171
	v_pk_mul_f32 v[170:171], v[172:173], v[168:169] op_sel:[0,1]
	s_delay_alu instid0(VALU_DEP_1) | instskip(SKIP_1) | instid1(VALU_DEP_1)
	v_pk_fma_f32 v[174:175], v[172:173], v[166:167], v[170:171] op_sel:[0,0,1] op_sel_hi:[1,1,0] neg_lo:[0,0,1] neg_hi:[0,0,1]
	v_pk_fma_f32 v[170:171], v[172:173], v[166:167], v[170:171] op_sel:[0,0,1] op_sel_hi:[1,0,0]
	v_mov_b32_e32 v175, v171
	ds_load_2addr_b64 v[170:173], v238 offset0:12 offset1:13
	v_pk_add_f32 v[76:77], v[76:77], v[176:177] neg_lo:[0,1] neg_hi:[0,1]
	v_pk_add_f32 v[72:73], v[72:73], v[174:175] neg_lo:[0,1] neg_hi:[0,1]
	s_wait_dscnt 0x0
	v_dual_mul_f32 v174, v171, v169 :: v_dual_mul_f32 v176, v171, v166
	s_delay_alu instid0(VALU_DEP_1) | instskip(NEXT) | instid1(VALU_DEP_2)
	v_pk_fma_f32 v[174:175], v[170:171], v[40:41], v[174:175] op_sel_hi:[1,1,0] neg_lo:[0,0,1] neg_hi:[0,0,1]
	v_pk_fma_f32 v[170:171], v[170:171], v[40:41], v[176:177] op_sel:[1,0,0] op_sel_hi:[0,1,0]
	s_delay_alu instid0(VALU_DEP_1) | instskip(SKIP_1) | instid1(VALU_DEP_2)
	v_mov_b32_e32 v175, v171
	v_pk_mul_f32 v[170:171], v[172:173], v[168:169] op_sel:[0,1]
	v_pk_add_f32 v[92:93], v[92:93], v[174:175] neg_lo:[0,1] neg_hi:[0,1]
	s_delay_alu instid0(VALU_DEP_2) | instskip(SKIP_1) | instid1(VALU_DEP_1)
	v_pk_fma_f32 v[174:175], v[172:173], v[166:167], v[170:171] op_sel:[0,0,1] op_sel_hi:[1,1,0] neg_lo:[0,0,1] neg_hi:[0,0,1]
	v_pk_fma_f32 v[170:171], v[172:173], v[166:167], v[170:171] op_sel:[0,0,1] op_sel_hi:[1,0,0]
	v_mov_b32_e32 v175, v171
	ds_load_2addr_b64 v[170:173], v238 offset0:14 offset1:15
	v_pk_add_f32 v[88:89], v[88:89], v[174:175] neg_lo:[0,1] neg_hi:[0,1]
	s_wait_dscnt 0x0
	v_pk_mul_f32 v[174:175], v[170:171], v[168:169] op_sel:[0,1]
	s_delay_alu instid0(VALU_DEP_1) | instskip(SKIP_1) | instid1(VALU_DEP_1)
	v_pk_fma_f32 v[176:177], v[170:171], v[166:167], v[174:175] op_sel:[0,0,1] op_sel_hi:[1,1,0] neg_lo:[0,0,1] neg_hi:[0,0,1]
	v_pk_fma_f32 v[170:171], v[170:171], v[166:167], v[174:175] op_sel:[0,0,1] op_sel_hi:[1,0,0]
	v_mov_b32_e32 v177, v171
	v_pk_mul_f32 v[170:171], v[172:173], v[168:169] op_sel:[0,1]
	s_delay_alu instid0(VALU_DEP_2) | instskip(NEXT) | instid1(VALU_DEP_2)
	v_pk_add_f32 v[90:91], v[90:91], v[176:177] neg_lo:[0,1] neg_hi:[0,1]
	v_pk_fma_f32 v[174:175], v[172:173], v[166:167], v[170:171] op_sel:[0,0,1] op_sel_hi:[1,1,0] neg_lo:[0,0,1] neg_hi:[0,0,1]
	v_pk_fma_f32 v[170:171], v[172:173], v[166:167], v[170:171] op_sel:[0,0,1] op_sel_hi:[1,0,0]
	s_delay_alu instid0(VALU_DEP_1) | instskip(SKIP_4) | instid1(VALU_DEP_1)
	v_mov_b32_e32 v175, v171
	ds_load_2addr_b64 v[170:173], v238 offset0:16 offset1:17
	v_pk_add_f32 v[70:71], v[70:71], v[174:175] neg_lo:[0,1] neg_hi:[0,1]
	s_wait_dscnt 0x0
	v_pk_mul_f32 v[174:175], v[170:171], v[168:169] op_sel:[0,1]
	v_pk_fma_f32 v[176:177], v[170:171], v[166:167], v[174:175] op_sel:[0,0,1] op_sel_hi:[1,1,0] neg_lo:[0,0,1] neg_hi:[0,0,1]
	v_pk_fma_f32 v[170:171], v[170:171], v[166:167], v[174:175] op_sel:[0,0,1] op_sel_hi:[1,0,0]
	v_dual_mul_f32 v174, v173, v169 :: v_dual_mov_b32 v170, v173
	s_delay_alu instid0(VALU_DEP_2) | instskip(NEXT) | instid1(VALU_DEP_2)
	v_dual_mov_b32 v177, v171 :: v_dual_mov_b32 v171, v172
	v_pk_fma_f32 v[174:175], v[172:173], v[40:41], v[174:175] op_sel_hi:[1,1,0] neg_lo:[0,0,1] neg_hi:[0,0,1]
	v_mul_f32_e32 v172, v173, v166
	s_delay_alu instid0(VALU_DEP_3) | instskip(NEXT) | instid1(VALU_DEP_2)
	v_pk_add_f32 v[110:111], v[110:111], v[176:177] neg_lo:[0,1] neg_hi:[0,1]
	v_pk_fma_f32 v[170:171], v[170:171], v[40:41], v[172:173] op_sel_hi:[1,1,0]
	s_delay_alu instid0(VALU_DEP_1) | instskip(SKIP_4) | instid1(VALU_DEP_1)
	v_mov_b32_e32 v175, v171
	ds_load_2addr_b64 v[170:173], v238 offset0:18 offset1:19
	v_pk_add_f32 v[106:107], v[106:107], v[174:175] neg_lo:[0,1] neg_hi:[0,1]
	s_wait_dscnt 0x0
	v_pk_mul_f32 v[174:175], v[170:171], v[168:169] op_sel:[0,1]
	v_pk_fma_f32 v[176:177], v[170:171], v[166:167], v[174:175] op_sel:[0,0,1] op_sel_hi:[1,1,0] neg_lo:[0,0,1] neg_hi:[0,0,1]
	v_pk_fma_f32 v[170:171], v[170:171], v[166:167], v[174:175] op_sel:[0,0,1] op_sel_hi:[1,0,0]
	s_delay_alu instid0(VALU_DEP_1) | instskip(SKIP_1) | instid1(VALU_DEP_1)
	v_mov_b32_e32 v177, v171
	v_pk_mul_f32 v[170:171], v[172:173], v[168:169] op_sel:[0,1]
	v_pk_fma_f32 v[174:175], v[172:173], v[166:167], v[170:171] op_sel:[0,0,1] op_sel_hi:[1,1,0] neg_lo:[0,0,1] neg_hi:[0,0,1]
	v_pk_fma_f32 v[170:171], v[172:173], v[166:167], v[170:171] op_sel:[0,0,1] op_sel_hi:[1,0,0]
	s_delay_alu instid0(VALU_DEP_1)
	v_mov_b32_e32 v175, v171
	ds_load_2addr_b64 v[170:173], v238 offset0:20 offset1:21
	v_pk_add_f32 v[108:109], v[108:109], v[176:177] neg_lo:[0,1] neg_hi:[0,1]
	v_pk_add_f32 v[86:87], v[86:87], v[174:175] neg_lo:[0,1] neg_hi:[0,1]
	s_wait_dscnt 0x0
	v_pk_mul_f32 v[174:175], v[170:171], v[168:169] op_sel:[0,1]
	s_delay_alu instid0(VALU_DEP_1) | instskip(SKIP_1) | instid1(VALU_DEP_1)
	v_pk_fma_f32 v[176:177], v[170:171], v[166:167], v[174:175] op_sel:[0,0,1] op_sel_hi:[1,1,0] neg_lo:[0,0,1] neg_hi:[0,0,1]
	v_pk_fma_f32 v[170:171], v[170:171], v[166:167], v[174:175] op_sel:[0,0,1] op_sel_hi:[1,0,0]
	v_mov_b32_e32 v177, v171
	v_pk_mul_f32 v[170:171], v[172:173], v[168:169] op_sel:[0,1]
	s_delay_alu instid0(VALU_DEP_1) | instskip(SKIP_1) | instid1(VALU_DEP_1)
	v_pk_fma_f32 v[174:175], v[172:173], v[166:167], v[170:171] op_sel:[0,0,1] op_sel_hi:[1,1,0] neg_lo:[0,0,1] neg_hi:[0,0,1]
	v_pk_fma_f32 v[170:171], v[172:173], v[166:167], v[170:171] op_sel:[0,0,1] op_sel_hi:[1,0,0]
	v_mov_b32_e32 v175, v171
	ds_load_2addr_b64 v[170:173], v238 offset0:22 offset1:23
	v_pk_add_f32 v[136:137], v[136:137], v[176:177] neg_lo:[0,1] neg_hi:[0,1]
	v_pk_add_f32 v[132:133], v[132:133], v[174:175] neg_lo:[0,1] neg_hi:[0,1]
	s_wait_dscnt 0x0
	v_dual_mul_f32 v174, v171, v169 :: v_dual_mul_f32 v176, v171, v166
	s_delay_alu instid0(VALU_DEP_1) | instskip(NEXT) | instid1(VALU_DEP_2)
	v_pk_fma_f32 v[174:175], v[170:171], v[40:41], v[174:175] op_sel_hi:[1,1,0] neg_lo:[0,0,1] neg_hi:[0,0,1]
	v_pk_fma_f32 v[170:171], v[170:171], v[40:41], v[176:177] op_sel:[1,0,0] op_sel_hi:[0,1,0]
	s_delay_alu instid0(VALU_DEP_1) | instskip(SKIP_1) | instid1(VALU_DEP_2)
	v_mov_b32_e32 v175, v171
	v_pk_mul_f32 v[170:171], v[172:173], v[168:169] op_sel:[0,1]
	v_pk_add_f32 v[134:135], v[134:135], v[174:175] neg_lo:[0,1] neg_hi:[0,1]
	s_delay_alu instid0(VALU_DEP_2) | instskip(SKIP_1) | instid1(VALU_DEP_1)
	v_pk_fma_f32 v[174:175], v[172:173], v[166:167], v[170:171] op_sel:[0,0,1] op_sel_hi:[1,1,0] neg_lo:[0,0,1] neg_hi:[0,0,1]
	v_pk_fma_f32 v[170:171], v[172:173], v[166:167], v[170:171] op_sel:[0,0,1] op_sel_hi:[1,0,0]
	v_mov_b32_e32 v175, v171
	ds_load_2addr_b64 v[170:173], v238 offset0:24 offset1:25
	v_pk_add_f32 v[104:105], v[104:105], v[174:175] neg_lo:[0,1] neg_hi:[0,1]
	s_wait_dscnt 0x0
	v_pk_mul_f32 v[174:175], v[170:171], v[168:169] op_sel:[0,1]
	s_delay_alu instid0(VALU_DEP_1) | instskip(SKIP_1) | instid1(VALU_DEP_1)
	v_pk_fma_f32 v[176:177], v[170:171], v[166:167], v[174:175] op_sel:[0,0,1] op_sel_hi:[1,1,0] neg_lo:[0,0,1] neg_hi:[0,0,1]
	v_pk_fma_f32 v[170:171], v[170:171], v[166:167], v[174:175] op_sel:[0,0,1] op_sel_hi:[1,0,0]
	v_mov_b32_e32 v177, v171
	v_pk_mul_f32 v[170:171], v[172:173], v[168:169] op_sel:[0,1]
	s_delay_alu instid0(VALU_DEP_2) | instskip(NEXT) | instid1(VALU_DEP_2)
	v_pk_add_f32 v[150:151], v[150:151], v[176:177] neg_lo:[0,1] neg_hi:[0,1]
	v_pk_fma_f32 v[174:175], v[172:173], v[166:167], v[170:171] op_sel:[0,0,1] op_sel_hi:[1,1,0] neg_lo:[0,0,1] neg_hi:[0,0,1]
	v_pk_fma_f32 v[170:171], v[172:173], v[166:167], v[170:171] op_sel:[0,0,1] op_sel_hi:[1,0,0]
	s_delay_alu instid0(VALU_DEP_1) | instskip(SKIP_4) | instid1(VALU_DEP_1)
	v_mov_b32_e32 v175, v171
	ds_load_2addr_b64 v[170:173], v238 offset0:26 offset1:27
	v_pk_add_f32 v[146:147], v[146:147], v[174:175] neg_lo:[0,1] neg_hi:[0,1]
	s_wait_dscnt 0x0
	v_pk_mul_f32 v[174:175], v[170:171], v[168:169] op_sel:[0,1]
	v_pk_fma_f32 v[176:177], v[170:171], v[166:167], v[174:175] op_sel:[0,0,1] op_sel_hi:[1,1,0] neg_lo:[0,0,1] neg_hi:[0,0,1]
	v_pk_fma_f32 v[170:171], v[170:171], v[166:167], v[174:175] op_sel:[0,0,1] op_sel_hi:[1,0,0]
	v_dual_mul_f32 v174, v173, v169 :: v_dual_mov_b32 v170, v173
	s_delay_alu instid0(VALU_DEP_2) | instskip(NEXT) | instid1(VALU_DEP_2)
	v_dual_mov_b32 v177, v171 :: v_dual_mov_b32 v171, v172
	v_pk_fma_f32 v[174:175], v[172:173], v[40:41], v[174:175] op_sel_hi:[1,1,0] neg_lo:[0,0,1] neg_hi:[0,0,1]
	v_mul_f32_e32 v172, v173, v166
	s_delay_alu instid0(VALU_DEP_3) | instskip(NEXT) | instid1(VALU_DEP_2)
	v_pk_add_f32 v[148:149], v[148:149], v[176:177] neg_lo:[0,1] neg_hi:[0,1]
	v_pk_fma_f32 v[170:171], v[170:171], v[40:41], v[172:173] op_sel_hi:[1,1,0]
	s_delay_alu instid0(VALU_DEP_1) | instskip(SKIP_4) | instid1(VALU_DEP_1)
	v_mov_b32_e32 v175, v171
	ds_load_2addr_b64 v[170:173], v238 offset0:28 offset1:29
	v_pk_add_f32 v[94:95], v[94:95], v[174:175] neg_lo:[0,1] neg_hi:[0,1]
	s_wait_dscnt 0x0
	v_pk_mul_f32 v[174:175], v[170:171], v[168:169] op_sel:[0,1]
	v_pk_fma_f32 v[176:177], v[170:171], v[166:167], v[174:175] op_sel:[0,0,1] op_sel_hi:[1,1,0] neg_lo:[0,0,1] neg_hi:[0,0,1]
	v_pk_fma_f32 v[170:171], v[170:171], v[166:167], v[174:175] op_sel:[0,0,1] op_sel_hi:[1,0,0]
	s_delay_alu instid0(VALU_DEP_1) | instskip(SKIP_1) | instid1(VALU_DEP_1)
	v_mov_b32_e32 v177, v171
	v_pk_mul_f32 v[170:171], v[172:173], v[168:169] op_sel:[0,1]
	v_pk_fma_f32 v[174:175], v[172:173], v[166:167], v[170:171] op_sel:[0,0,1] op_sel_hi:[1,1,0] neg_lo:[0,0,1] neg_hi:[0,0,1]
	v_pk_fma_f32 v[170:171], v[172:173], v[166:167], v[170:171] op_sel:[0,0,1] op_sel_hi:[1,0,0]
	s_delay_alu instid0(VALU_DEP_1)
	v_mov_b32_e32 v175, v171
	ds_load_2addr_b64 v[170:173], v238 offset0:30 offset1:31
	v_pk_add_f32 v[120:121], v[120:121], v[176:177] neg_lo:[0,1] neg_hi:[0,1]
	v_pk_add_f32 v[116:117], v[116:117], v[174:175] neg_lo:[0,1] neg_hi:[0,1]
	s_wait_dscnt 0x0
	v_pk_mul_f32 v[174:175], v[170:171], v[168:169] op_sel:[0,1]
	s_delay_alu instid0(VALU_DEP_1) | instskip(SKIP_1) | instid1(VALU_DEP_1)
	v_pk_fma_f32 v[176:177], v[170:171], v[166:167], v[174:175] op_sel:[0,0,1] op_sel_hi:[1,1,0] neg_lo:[0,0,1] neg_hi:[0,0,1]
	v_pk_fma_f32 v[170:171], v[170:171], v[166:167], v[174:175] op_sel:[0,0,1] op_sel_hi:[1,0,0]
	v_mov_b32_e32 v177, v171
	v_pk_mul_f32 v[170:171], v[172:173], v[168:169] op_sel:[0,1]
	s_delay_alu instid0(VALU_DEP_1) | instskip(SKIP_1) | instid1(VALU_DEP_1)
	v_pk_fma_f32 v[174:175], v[172:173], v[166:167], v[170:171] op_sel:[0,0,1] op_sel_hi:[1,1,0] neg_lo:[0,0,1] neg_hi:[0,0,1]
	v_pk_fma_f32 v[170:171], v[172:173], v[166:167], v[170:171] op_sel:[0,0,1] op_sel_hi:[1,0,0]
	v_mov_b32_e32 v175, v171
	ds_load_2addr_b64 v[170:173], v238 offset0:32 offset1:33
	v_pk_add_f32 v[118:119], v[118:119], v[176:177] neg_lo:[0,1] neg_hi:[0,1]
	v_pk_add_f32 v[114:115], v[114:115], v[174:175] neg_lo:[0,1] neg_hi:[0,1]
	s_wait_dscnt 0x0
	v_dual_mul_f32 v174, v171, v169 :: v_dual_mul_f32 v176, v171, v166
	s_delay_alu instid0(VALU_DEP_1) | instskip(NEXT) | instid1(VALU_DEP_2)
	v_pk_fma_f32 v[174:175], v[170:171], v[40:41], v[174:175] op_sel_hi:[1,1,0] neg_lo:[0,0,1] neg_hi:[0,0,1]
	v_pk_fma_f32 v[170:171], v[170:171], v[40:41], v[176:177] op_sel:[1,0,0] op_sel_hi:[0,1,0]
	s_delay_alu instid0(VALU_DEP_1) | instskip(SKIP_1) | instid1(VALU_DEP_2)
	v_mov_b32_e32 v175, v171
	v_pk_mul_f32 v[170:171], v[172:173], v[168:169] op_sel:[0,1]
	v_pk_add_f32 v[142:143], v[142:143], v[174:175] neg_lo:[0,1] neg_hi:[0,1]
	s_delay_alu instid0(VALU_DEP_2) | instskip(SKIP_1) | instid1(VALU_DEP_1)
	v_pk_fma_f32 v[174:175], v[172:173], v[166:167], v[170:171] op_sel:[0,0,1] op_sel_hi:[1,1,0] neg_lo:[0,0,1] neg_hi:[0,0,1]
	v_pk_fma_f32 v[170:171], v[172:173], v[166:167], v[170:171] op_sel:[0,0,1] op_sel_hi:[1,0,0]
	v_mov_b32_e32 v175, v171
	ds_load_2addr_b64 v[170:173], v238 offset0:34 offset1:35
	v_pk_add_f32 v[138:139], v[138:139], v[174:175] neg_lo:[0,1] neg_hi:[0,1]
	s_wait_dscnt 0x0
	v_pk_mul_f32 v[174:175], v[170:171], v[168:169] op_sel:[0,1]
	s_delay_alu instid0(VALU_DEP_1) | instskip(SKIP_1) | instid1(VALU_DEP_1)
	v_pk_fma_f32 v[176:177], v[170:171], v[166:167], v[174:175] op_sel:[0,0,1] op_sel_hi:[1,1,0] neg_lo:[0,0,1] neg_hi:[0,0,1]
	v_pk_fma_f32 v[170:171], v[170:171], v[166:167], v[174:175] op_sel:[0,0,1] op_sel_hi:[1,0,0]
	v_mov_b32_e32 v177, v171
	v_pk_mul_f32 v[170:171], v[172:173], v[168:169] op_sel:[0,1]
	s_delay_alu instid0(VALU_DEP_2) | instskip(NEXT) | instid1(VALU_DEP_2)
	v_pk_add_f32 v[140:141], v[140:141], v[176:177] neg_lo:[0,1] neg_hi:[0,1]
	v_pk_fma_f32 v[174:175], v[172:173], v[166:167], v[170:171] op_sel:[0,0,1] op_sel_hi:[1,1,0] neg_lo:[0,0,1] neg_hi:[0,0,1]
	v_pk_fma_f32 v[170:171], v[172:173], v[166:167], v[170:171] op_sel:[0,0,1] op_sel_hi:[1,0,0]
	s_delay_alu instid0(VALU_DEP_1) | instskip(SKIP_4) | instid1(VALU_DEP_1)
	v_mov_b32_e32 v175, v171
	ds_load_2addr_b64 v[170:173], v238 offset0:36 offset1:37
	v_pk_add_f32 v[154:155], v[154:155], v[174:175] neg_lo:[0,1] neg_hi:[0,1]
	s_wait_dscnt 0x0
	v_pk_mul_f32 v[174:175], v[170:171], v[168:169] op_sel:[0,1]
	v_pk_fma_f32 v[176:177], v[170:171], v[166:167], v[174:175] op_sel:[0,0,1] op_sel_hi:[1,1,0] neg_lo:[0,0,1] neg_hi:[0,0,1]
	v_pk_fma_f32 v[170:171], v[170:171], v[166:167], v[174:175] op_sel:[0,0,1] op_sel_hi:[1,0,0]
	v_dual_mul_f32 v174, v173, v169 :: v_dual_mov_b32 v170, v173
	s_delay_alu instid0(VALU_DEP_2) | instskip(NEXT) | instid1(VALU_DEP_2)
	v_dual_mov_b32 v177, v171 :: v_dual_mov_b32 v171, v172
	v_pk_fma_f32 v[174:175], v[172:173], v[40:41], v[174:175] op_sel_hi:[1,1,0] neg_lo:[0,0,1] neg_hi:[0,0,1]
	v_mul_f32_e32 v172, v173, v166
	s_delay_alu instid0(VALU_DEP_3) | instskip(NEXT) | instid1(VALU_DEP_2)
	v_pk_add_f32 v[152:153], v[152:153], v[176:177] neg_lo:[0,1] neg_hi:[0,1]
	v_pk_fma_f32 v[170:171], v[170:171], v[40:41], v[172:173] op_sel_hi:[1,1,0]
	s_delay_alu instid0(VALU_DEP_1) | instskip(SKIP_4) | instid1(VALU_DEP_1)
	v_mov_b32_e32 v175, v171
	ds_load_b64 v[170:171], v238 offset:304
	v_pk_add_f32 v[144:145], v[144:145], v[174:175] neg_lo:[0,1] neg_hi:[0,1]
	s_wait_dscnt 0x0
	v_pk_mul_f32 v[168:169], v[170:171], v[168:169] op_sel:[0,1]
	v_pk_fma_f32 v[172:173], v[170:171], v[166:167], v[168:169] op_sel:[0,0,1] op_sel_hi:[1,1,0] neg_lo:[0,0,1] neg_hi:[0,0,1]
	v_pk_fma_f32 v[166:167], v[170:171], v[166:167], v[168:169] op_sel:[0,0,1] op_sel_hi:[1,0,0]
	s_delay_alu instid0(VALU_DEP_1) | instskip(NEXT) | instid1(VALU_DEP_1)
	v_mov_b32_e32 v173, v167
	v_pk_add_f32 v[156:157], v[156:157], v[172:173] neg_lo:[0,1] neg_hi:[0,1]
.LBB77_37:
	s_or_b32 exec_lo, exec_lo, s1
	s_delay_alu instid0(SALU_CYCLE_1)
	s_mov_b32 s2, exec_lo
	s_wait_dscnt 0x0
	s_barrier_signal -1
	s_barrier_wait -1
	v_cmpx_eq_u32_e32 4, v236
	s_cbranch_execz .LBB77_44
; %bb.38:
	ds_store_b64 v237, v[28:29]
	ds_store_2addr_b64 v238, v[24:25], v[26:27] offset0:5 offset1:6
	ds_store_2addr_b64 v238, v[22:23], v[36:37] offset0:7 offset1:8
	;; [unrolled: 1-line block ×17, first 2 shown]
	ds_load_b64 v[166:167], v237
	s_wait_dscnt 0x0
	v_cmp_neq_f32_e32 vcc_lo, 0, v166
	v_cmp_neq_f32_e64 s1, 0, v167
	s_or_b32 s1, vcc_lo, s1
	s_delay_alu instid0(SALU_CYCLE_1)
	s_and_b32 exec_lo, exec_lo, s1
	s_cbranch_execz .LBB77_44
; %bb.39:
	v_cmp_ngt_f32_e64 s1, |v166|, |v167|
                                        ; implicit-def: $vgpr168_vgpr169
	s_and_saveexec_b32 s4, s1
	s_delay_alu instid0(SALU_CYCLE_1)
	s_xor_b32 s1, exec_lo, s4
	s_cbranch_execz .LBB77_41
; %bb.40:
	v_div_scale_f32 v0, null, v167, v167, v166
	v_div_scale_f32 v169, vcc_lo, v166, v167, v166
	s_delay_alu instid0(VALU_DEP_2) | instskip(SKIP_1) | instid1(TRANS32_DEP_1)
	v_rcp_f32_e32 v1, v0
	v_nop
	v_fma_f32 v168, -v0, v1, 1.0
	s_delay_alu instid0(VALU_DEP_1) | instskip(NEXT) | instid1(VALU_DEP_1)
	v_fmac_f32_e32 v1, v168, v1
	v_mul_f32_e32 v168, v169, v1
	s_delay_alu instid0(VALU_DEP_1) | instskip(NEXT) | instid1(VALU_DEP_1)
	v_fma_f32 v170, -v0, v168, v169
	v_fmac_f32_e32 v168, v170, v1
	s_delay_alu instid0(VALU_DEP_1) | instskip(NEXT) | instid1(VALU_DEP_1)
	v_fma_f32 v0, -v0, v168, v169
	v_div_fmas_f32 v0, v0, v1, v168
	s_delay_alu instid0(VALU_DEP_1) | instskip(NEXT) | instid1(VALU_DEP_1)
	v_div_fixup_f32 v0, v0, v167, v166
	v_fmac_f32_e32 v167, v166, v0
	s_delay_alu instid0(VALU_DEP_1) | instskip(SKIP_1) | instid1(VALU_DEP_2)
	v_div_scale_f32 v1, null, v167, v167, 1.0
	v_div_scale_f32 v169, vcc_lo, 1.0, v167, 1.0
	v_rcp_f32_e32 v166, v1
	v_nop
	s_delay_alu instid0(TRANS32_DEP_1) | instskip(NEXT) | instid1(VALU_DEP_1)
	v_fma_f32 v168, -v1, v166, 1.0
	v_fmac_f32_e32 v166, v168, v166
	s_delay_alu instid0(VALU_DEP_1) | instskip(NEXT) | instid1(VALU_DEP_1)
	v_mul_f32_e32 v168, v169, v166
	v_fma_f32 v170, -v1, v168, v169
	s_delay_alu instid0(VALU_DEP_1) | instskip(NEXT) | instid1(VALU_DEP_1)
	v_fmac_f32_e32 v168, v170, v166
	v_fma_f32 v1, -v1, v168, v169
	s_delay_alu instid0(VALU_DEP_1) | instskip(NEXT) | instid1(VALU_DEP_1)
	v_div_fmas_f32 v1, v1, v166, v168
	v_div_fixup_f32 v1, v1, v167, 1.0
                                        ; implicit-def: $vgpr166_vgpr167
	s_delay_alu instid0(VALU_DEP_1)
	v_mul_f32_e32 v168, v0, v1
	v_xor_b32_e32 v169, 0x80000000, v1
.LBB77_41:
	s_and_not1_saveexec_b32 s1, s1
	s_cbranch_execz .LBB77_43
; %bb.42:
	v_div_scale_f32 v0, null, v166, v166, v167
	v_div_scale_f32 v169, vcc_lo, v167, v166, v167
	s_delay_alu instid0(VALU_DEP_2) | instskip(SKIP_1) | instid1(TRANS32_DEP_1)
	v_rcp_f32_e32 v1, v0
	v_nop
	v_fma_f32 v168, -v0, v1, 1.0
	s_delay_alu instid0(VALU_DEP_1) | instskip(NEXT) | instid1(VALU_DEP_1)
	v_fmac_f32_e32 v1, v168, v1
	v_mul_f32_e32 v168, v169, v1
	s_delay_alu instid0(VALU_DEP_1) | instskip(NEXT) | instid1(VALU_DEP_1)
	v_fma_f32 v170, -v0, v168, v169
	v_fmac_f32_e32 v168, v170, v1
	s_delay_alu instid0(VALU_DEP_1) | instskip(NEXT) | instid1(VALU_DEP_1)
	v_fma_f32 v0, -v0, v168, v169
	v_div_fmas_f32 v0, v0, v1, v168
	s_delay_alu instid0(VALU_DEP_1) | instskip(NEXT) | instid1(VALU_DEP_1)
	v_div_fixup_f32 v0, v0, v166, v167
	v_fmac_f32_e32 v166, v167, v0
	s_delay_alu instid0(VALU_DEP_1) | instskip(NEXT) | instid1(VALU_DEP_1)
	v_div_scale_f32 v1, null, v166, v166, 1.0
	v_rcp_f32_e32 v167, v1
	v_nop
	s_delay_alu instid0(TRANS32_DEP_1) | instskip(NEXT) | instid1(VALU_DEP_1)
	v_fma_f32 v168, -v1, v167, 1.0
	v_fmac_f32_e32 v167, v168, v167
	v_div_scale_f32 v168, vcc_lo, 1.0, v166, 1.0
	s_delay_alu instid0(VALU_DEP_1) | instskip(NEXT) | instid1(VALU_DEP_1)
	v_mul_f32_e32 v169, v168, v167
	v_fma_f32 v170, -v1, v169, v168
	s_delay_alu instid0(VALU_DEP_1) | instskip(NEXT) | instid1(VALU_DEP_1)
	v_fmac_f32_e32 v169, v170, v167
	v_fma_f32 v1, -v1, v169, v168
	s_delay_alu instid0(VALU_DEP_1) | instskip(NEXT) | instid1(VALU_DEP_1)
	v_div_fmas_f32 v1, v1, v167, v169
	v_div_fixup_f32 v168, v1, v166, 1.0
	s_delay_alu instid0(VALU_DEP_1)
	v_mul_f32_e64 v169, v0, -v168
.LBB77_43:
	s_or_b32 exec_lo, exec_lo, s1
	ds_store_b64 v237, v[168:169]
.LBB77_44:
	s_or_b32 exec_lo, exec_lo, s2
	s_wait_dscnt 0x0
	s_barrier_signal -1
	s_barrier_wait -1
	ds_load_b64 v[166:167], v237
	s_mov_b32 s1, exec_lo
	v_cmpx_lt_u32_e32 4, v236
	s_cbranch_execz .LBB77_46
; %bb.45:
	ds_load_2addr_b64 v[172:175], v238 offset0:5 offset1:6
	s_wait_dscnt 0x1
	v_pk_mul_f32 v[170:171], v[166:167], v[28:29] op_sel:[1,1] op_sel_hi:[0,1]
	s_delay_alu instid0(VALU_DEP_1) | instskip(SKIP_1) | instid1(VALU_DEP_1)
	v_pk_fma_f32 v[168:169], v[166:167], v[28:29], v[170:171] op_sel_hi:[1,0,1] neg_lo:[0,0,1] neg_hi:[0,0,1]
	v_pk_fma_f32 v[170:171], v[166:167], v[28:29], v[170:171] op_sel_hi:[1,0,1]
	v_dual_mov_b32 v28, v168 :: v_dual_mov_b32 v29, v171
	s_wait_dscnt 0x0
	s_delay_alu instid0(VALU_DEP_2) | instskip(NEXT) | instid1(VALU_DEP_1)
	v_pk_mul_f32 v[176:177], v[172:173], v[170:171] op_sel:[0,1]
	v_pk_fma_f32 v[178:179], v[172:173], v[168:169], v[176:177] op_sel:[0,0,1] op_sel_hi:[1,1,0] neg_lo:[0,0,1] neg_hi:[0,0,1]
	v_pk_fma_f32 v[172:173], v[172:173], v[168:169], v[176:177] op_sel:[0,0,1] op_sel_hi:[1,0,0]
	s_delay_alu instid0(VALU_DEP_1) | instskip(SKIP_1) | instid1(VALU_DEP_1)
	v_mov_b32_e32 v179, v173
	v_pk_mul_f32 v[172:173], v[174:175], v[170:171] op_sel:[0,1]
	v_pk_fma_f32 v[176:177], v[174:175], v[168:169], v[172:173] op_sel:[0,0,1] op_sel_hi:[1,1,0] neg_lo:[0,0,1] neg_hi:[0,0,1]
	v_pk_fma_f32 v[172:173], v[174:175], v[168:169], v[172:173] op_sel:[0,0,1] op_sel_hi:[1,0,0]
	s_delay_alu instid0(VALU_DEP_1)
	v_mov_b32_e32 v177, v173
	ds_load_2addr_b64 v[172:175], v238 offset0:7 offset1:8
	v_pk_add_f32 v[24:25], v[24:25], v[178:179] neg_lo:[0,1] neg_hi:[0,1]
	v_pk_add_f32 v[26:27], v[26:27], v[176:177] neg_lo:[0,1] neg_hi:[0,1]
	s_wait_dscnt 0x0
	v_pk_mul_f32 v[176:177], v[172:173], v[170:171] op_sel:[0,1]
	s_delay_alu instid0(VALU_DEP_1) | instskip(SKIP_2) | instid1(VALU_DEP_2)
	v_pk_fma_f32 v[178:179], v[172:173], v[168:169], v[176:177] op_sel:[0,0,1] op_sel_hi:[1,1,0] neg_lo:[0,0,1] neg_hi:[0,0,1]
	v_pk_fma_f32 v[172:173], v[172:173], v[168:169], v[176:177] op_sel:[0,0,1] op_sel_hi:[1,0,0]
	v_dual_mul_f32 v176, v175, v171 :: v_dual_mov_b32 v172, v175
	v_dual_mov_b32 v179, v173 :: v_dual_mov_b32 v173, v174
	s_delay_alu instid0(VALU_DEP_2) | instskip(SKIP_1) | instid1(VALU_DEP_3)
	v_pk_fma_f32 v[176:177], v[174:175], v[28:29], v[176:177] op_sel_hi:[1,1,0] neg_lo:[0,0,1] neg_hi:[0,0,1]
	v_mul_f32_e32 v174, v175, v168
	v_pk_add_f32 v[22:23], v[22:23], v[178:179] neg_lo:[0,1] neg_hi:[0,1]
	s_delay_alu instid0(VALU_DEP_2) | instskip(NEXT) | instid1(VALU_DEP_1)
	v_pk_fma_f32 v[172:173], v[172:173], v[28:29], v[174:175] op_sel_hi:[1,1,0]
	v_mov_b32_e32 v177, v173
	ds_load_2addr_b64 v[172:175], v238 offset0:9 offset1:10
	v_pk_add_f32 v[36:37], v[36:37], v[176:177] neg_lo:[0,1] neg_hi:[0,1]
	s_wait_dscnt 0x0
	v_pk_mul_f32 v[176:177], v[172:173], v[170:171] op_sel:[0,1]
	s_delay_alu instid0(VALU_DEP_1) | instskip(SKIP_1) | instid1(VALU_DEP_1)
	v_pk_fma_f32 v[178:179], v[172:173], v[168:169], v[176:177] op_sel:[0,0,1] op_sel_hi:[1,1,0] neg_lo:[0,0,1] neg_hi:[0,0,1]
	v_pk_fma_f32 v[172:173], v[172:173], v[168:169], v[176:177] op_sel:[0,0,1] op_sel_hi:[1,0,0]
	v_mov_b32_e32 v179, v173
	v_pk_mul_f32 v[172:173], v[174:175], v[170:171] op_sel:[0,1]
	s_delay_alu instid0(VALU_DEP_1) | instskip(SKIP_1) | instid1(VALU_DEP_1)
	v_pk_fma_f32 v[176:177], v[174:175], v[168:169], v[172:173] op_sel:[0,0,1] op_sel_hi:[1,1,0] neg_lo:[0,0,1] neg_hi:[0,0,1]
	v_pk_fma_f32 v[172:173], v[174:175], v[168:169], v[172:173] op_sel:[0,0,1] op_sel_hi:[1,0,0]
	v_mov_b32_e32 v177, v173
	ds_load_2addr_b64 v[172:175], v238 offset0:11 offset1:12
	v_pk_add_f32 v[74:75], v[74:75], v[178:179] neg_lo:[0,1] neg_hi:[0,1]
	v_pk_add_f32 v[76:77], v[76:77], v[176:177] neg_lo:[0,1] neg_hi:[0,1]
	s_wait_dscnt 0x0
	v_pk_mul_f32 v[176:177], v[172:173], v[170:171] op_sel:[0,1]
	s_delay_alu instid0(VALU_DEP_1) | instskip(SKIP_1) | instid1(VALU_DEP_1)
	v_pk_fma_f32 v[178:179], v[172:173], v[168:169], v[176:177] op_sel:[0,0,1] op_sel_hi:[1,1,0] neg_lo:[0,0,1] neg_hi:[0,0,1]
	v_pk_fma_f32 v[172:173], v[172:173], v[168:169], v[176:177] op_sel:[0,0,1] op_sel_hi:[1,0,0]
	v_mov_b32_e32 v179, v173
	v_pk_mul_f32 v[172:173], v[174:175], v[170:171] op_sel:[0,1]
	s_delay_alu instid0(VALU_DEP_1) | instskip(SKIP_1) | instid1(VALU_DEP_1)
	v_pk_fma_f32 v[176:177], v[174:175], v[168:169], v[172:173] op_sel:[0,0,1] op_sel_hi:[1,1,0] neg_lo:[0,0,1] neg_hi:[0,0,1]
	v_pk_fma_f32 v[172:173], v[174:175], v[168:169], v[172:173] op_sel:[0,0,1] op_sel_hi:[1,0,0]
	v_mov_b32_e32 v177, v173
	ds_load_2addr_b64 v[172:175], v238 offset0:13 offset1:14
	v_pk_add_f32 v[72:73], v[72:73], v[178:179] neg_lo:[0,1] neg_hi:[0,1]
	v_pk_add_f32 v[92:93], v[92:93], v[176:177] neg_lo:[0,1] neg_hi:[0,1]
	s_wait_dscnt 0x0
	v_dual_mul_f32 v176, v173, v171 :: v_dual_mul_f32 v178, v173, v168
	s_delay_alu instid0(VALU_DEP_1) | instskip(NEXT) | instid1(VALU_DEP_2)
	v_pk_fma_f32 v[176:177], v[172:173], v[28:29], v[176:177] op_sel_hi:[1,1,0] neg_lo:[0,0,1] neg_hi:[0,0,1]
	v_pk_fma_f32 v[172:173], v[172:173], v[28:29], v[178:179] op_sel:[1,0,0] op_sel_hi:[0,1,0]
	s_delay_alu instid0(VALU_DEP_1) | instskip(SKIP_1) | instid1(VALU_DEP_2)
	v_mov_b32_e32 v177, v173
	v_pk_mul_f32 v[172:173], v[174:175], v[170:171] op_sel:[0,1]
	v_pk_add_f32 v[88:89], v[88:89], v[176:177] neg_lo:[0,1] neg_hi:[0,1]
	s_delay_alu instid0(VALU_DEP_2) | instskip(SKIP_1) | instid1(VALU_DEP_1)
	v_pk_fma_f32 v[176:177], v[174:175], v[168:169], v[172:173] op_sel:[0,0,1] op_sel_hi:[1,1,0] neg_lo:[0,0,1] neg_hi:[0,0,1]
	v_pk_fma_f32 v[172:173], v[174:175], v[168:169], v[172:173] op_sel:[0,0,1] op_sel_hi:[1,0,0]
	v_mov_b32_e32 v177, v173
	ds_load_2addr_b64 v[172:175], v238 offset0:15 offset1:16
	v_pk_add_f32 v[90:91], v[90:91], v[176:177] neg_lo:[0,1] neg_hi:[0,1]
	s_wait_dscnt 0x0
	v_pk_mul_f32 v[176:177], v[172:173], v[170:171] op_sel:[0,1]
	s_delay_alu instid0(VALU_DEP_1) | instskip(SKIP_1) | instid1(VALU_DEP_1)
	v_pk_fma_f32 v[178:179], v[172:173], v[168:169], v[176:177] op_sel:[0,0,1] op_sel_hi:[1,1,0] neg_lo:[0,0,1] neg_hi:[0,0,1]
	v_pk_fma_f32 v[172:173], v[172:173], v[168:169], v[176:177] op_sel:[0,0,1] op_sel_hi:[1,0,0]
	v_mov_b32_e32 v179, v173
	v_pk_mul_f32 v[172:173], v[174:175], v[170:171] op_sel:[0,1]
	s_delay_alu instid0(VALU_DEP_2) | instskip(NEXT) | instid1(VALU_DEP_2)
	v_pk_add_f32 v[70:71], v[70:71], v[178:179] neg_lo:[0,1] neg_hi:[0,1]
	v_pk_fma_f32 v[176:177], v[174:175], v[168:169], v[172:173] op_sel:[0,0,1] op_sel_hi:[1,1,0] neg_lo:[0,0,1] neg_hi:[0,0,1]
	v_pk_fma_f32 v[172:173], v[174:175], v[168:169], v[172:173] op_sel:[0,0,1] op_sel_hi:[1,0,0]
	s_delay_alu instid0(VALU_DEP_1) | instskip(SKIP_4) | instid1(VALU_DEP_1)
	v_mov_b32_e32 v177, v173
	ds_load_2addr_b64 v[172:175], v238 offset0:17 offset1:18
	v_pk_add_f32 v[110:111], v[110:111], v[176:177] neg_lo:[0,1] neg_hi:[0,1]
	s_wait_dscnt 0x0
	v_pk_mul_f32 v[176:177], v[172:173], v[170:171] op_sel:[0,1]
	v_pk_fma_f32 v[178:179], v[172:173], v[168:169], v[176:177] op_sel:[0,0,1] op_sel_hi:[1,1,0] neg_lo:[0,0,1] neg_hi:[0,0,1]
	v_pk_fma_f32 v[172:173], v[172:173], v[168:169], v[176:177] op_sel:[0,0,1] op_sel_hi:[1,0,0]
	v_dual_mul_f32 v176, v175, v171 :: v_dual_mov_b32 v172, v175
	s_delay_alu instid0(VALU_DEP_2) | instskip(NEXT) | instid1(VALU_DEP_2)
	v_dual_mov_b32 v179, v173 :: v_dual_mov_b32 v173, v174
	v_pk_fma_f32 v[176:177], v[174:175], v[28:29], v[176:177] op_sel_hi:[1,1,0] neg_lo:[0,0,1] neg_hi:[0,0,1]
	v_mul_f32_e32 v174, v175, v168
	s_delay_alu instid0(VALU_DEP_3) | instskip(NEXT) | instid1(VALU_DEP_2)
	v_pk_add_f32 v[106:107], v[106:107], v[178:179] neg_lo:[0,1] neg_hi:[0,1]
	v_pk_fma_f32 v[172:173], v[172:173], v[28:29], v[174:175] op_sel_hi:[1,1,0]
	s_delay_alu instid0(VALU_DEP_1) | instskip(SKIP_4) | instid1(VALU_DEP_1)
	v_mov_b32_e32 v177, v173
	ds_load_2addr_b64 v[172:175], v238 offset0:19 offset1:20
	v_pk_add_f32 v[108:109], v[108:109], v[176:177] neg_lo:[0,1] neg_hi:[0,1]
	s_wait_dscnt 0x0
	v_pk_mul_f32 v[176:177], v[172:173], v[170:171] op_sel:[0,1]
	v_pk_fma_f32 v[178:179], v[172:173], v[168:169], v[176:177] op_sel:[0,0,1] op_sel_hi:[1,1,0] neg_lo:[0,0,1] neg_hi:[0,0,1]
	v_pk_fma_f32 v[172:173], v[172:173], v[168:169], v[176:177] op_sel:[0,0,1] op_sel_hi:[1,0,0]
	s_delay_alu instid0(VALU_DEP_1) | instskip(SKIP_1) | instid1(VALU_DEP_1)
	v_mov_b32_e32 v179, v173
	v_pk_mul_f32 v[172:173], v[174:175], v[170:171] op_sel:[0,1]
	v_pk_fma_f32 v[176:177], v[174:175], v[168:169], v[172:173] op_sel:[0,0,1] op_sel_hi:[1,1,0] neg_lo:[0,0,1] neg_hi:[0,0,1]
	v_pk_fma_f32 v[172:173], v[174:175], v[168:169], v[172:173] op_sel:[0,0,1] op_sel_hi:[1,0,0]
	s_delay_alu instid0(VALU_DEP_1)
	v_mov_b32_e32 v177, v173
	ds_load_2addr_b64 v[172:175], v238 offset0:21 offset1:22
	v_pk_add_f32 v[86:87], v[86:87], v[178:179] neg_lo:[0,1] neg_hi:[0,1]
	v_pk_add_f32 v[136:137], v[136:137], v[176:177] neg_lo:[0,1] neg_hi:[0,1]
	s_wait_dscnt 0x0
	v_pk_mul_f32 v[176:177], v[172:173], v[170:171] op_sel:[0,1]
	s_delay_alu instid0(VALU_DEP_1) | instskip(SKIP_1) | instid1(VALU_DEP_1)
	v_pk_fma_f32 v[178:179], v[172:173], v[168:169], v[176:177] op_sel:[0,0,1] op_sel_hi:[1,1,0] neg_lo:[0,0,1] neg_hi:[0,0,1]
	v_pk_fma_f32 v[172:173], v[172:173], v[168:169], v[176:177] op_sel:[0,0,1] op_sel_hi:[1,0,0]
	v_mov_b32_e32 v179, v173
	v_pk_mul_f32 v[172:173], v[174:175], v[170:171] op_sel:[0,1]
	s_delay_alu instid0(VALU_DEP_1) | instskip(SKIP_1) | instid1(VALU_DEP_1)
	v_pk_fma_f32 v[176:177], v[174:175], v[168:169], v[172:173] op_sel:[0,0,1] op_sel_hi:[1,1,0] neg_lo:[0,0,1] neg_hi:[0,0,1]
	v_pk_fma_f32 v[172:173], v[174:175], v[168:169], v[172:173] op_sel:[0,0,1] op_sel_hi:[1,0,0]
	v_mov_b32_e32 v177, v173
	ds_load_2addr_b64 v[172:175], v238 offset0:23 offset1:24
	v_pk_add_f32 v[132:133], v[132:133], v[178:179] neg_lo:[0,1] neg_hi:[0,1]
	v_pk_add_f32 v[134:135], v[134:135], v[176:177] neg_lo:[0,1] neg_hi:[0,1]
	s_wait_dscnt 0x0
	v_dual_mul_f32 v176, v173, v171 :: v_dual_mul_f32 v178, v173, v168
	s_delay_alu instid0(VALU_DEP_1) | instskip(NEXT) | instid1(VALU_DEP_2)
	v_pk_fma_f32 v[176:177], v[172:173], v[28:29], v[176:177] op_sel_hi:[1,1,0] neg_lo:[0,0,1] neg_hi:[0,0,1]
	v_pk_fma_f32 v[172:173], v[172:173], v[28:29], v[178:179] op_sel:[1,0,0] op_sel_hi:[0,1,0]
	s_delay_alu instid0(VALU_DEP_1) | instskip(SKIP_1) | instid1(VALU_DEP_2)
	v_mov_b32_e32 v177, v173
	v_pk_mul_f32 v[172:173], v[174:175], v[170:171] op_sel:[0,1]
	v_pk_add_f32 v[104:105], v[104:105], v[176:177] neg_lo:[0,1] neg_hi:[0,1]
	s_delay_alu instid0(VALU_DEP_2) | instskip(SKIP_1) | instid1(VALU_DEP_1)
	v_pk_fma_f32 v[176:177], v[174:175], v[168:169], v[172:173] op_sel:[0,0,1] op_sel_hi:[1,1,0] neg_lo:[0,0,1] neg_hi:[0,0,1]
	v_pk_fma_f32 v[172:173], v[174:175], v[168:169], v[172:173] op_sel:[0,0,1] op_sel_hi:[1,0,0]
	v_mov_b32_e32 v177, v173
	ds_load_2addr_b64 v[172:175], v238 offset0:25 offset1:26
	v_pk_add_f32 v[150:151], v[150:151], v[176:177] neg_lo:[0,1] neg_hi:[0,1]
	s_wait_dscnt 0x0
	v_pk_mul_f32 v[176:177], v[172:173], v[170:171] op_sel:[0,1]
	s_delay_alu instid0(VALU_DEP_1) | instskip(SKIP_1) | instid1(VALU_DEP_1)
	v_pk_fma_f32 v[178:179], v[172:173], v[168:169], v[176:177] op_sel:[0,0,1] op_sel_hi:[1,1,0] neg_lo:[0,0,1] neg_hi:[0,0,1]
	v_pk_fma_f32 v[172:173], v[172:173], v[168:169], v[176:177] op_sel:[0,0,1] op_sel_hi:[1,0,0]
	v_mov_b32_e32 v179, v173
	v_pk_mul_f32 v[172:173], v[174:175], v[170:171] op_sel:[0,1]
	s_delay_alu instid0(VALU_DEP_2) | instskip(NEXT) | instid1(VALU_DEP_2)
	v_pk_add_f32 v[146:147], v[146:147], v[178:179] neg_lo:[0,1] neg_hi:[0,1]
	v_pk_fma_f32 v[176:177], v[174:175], v[168:169], v[172:173] op_sel:[0,0,1] op_sel_hi:[1,1,0] neg_lo:[0,0,1] neg_hi:[0,0,1]
	v_pk_fma_f32 v[172:173], v[174:175], v[168:169], v[172:173] op_sel:[0,0,1] op_sel_hi:[1,0,0]
	s_delay_alu instid0(VALU_DEP_1) | instskip(SKIP_4) | instid1(VALU_DEP_1)
	v_mov_b32_e32 v177, v173
	ds_load_2addr_b64 v[172:175], v238 offset0:27 offset1:28
	v_pk_add_f32 v[148:149], v[148:149], v[176:177] neg_lo:[0,1] neg_hi:[0,1]
	s_wait_dscnt 0x0
	v_pk_mul_f32 v[176:177], v[172:173], v[170:171] op_sel:[0,1]
	v_pk_fma_f32 v[178:179], v[172:173], v[168:169], v[176:177] op_sel:[0,0,1] op_sel_hi:[1,1,0] neg_lo:[0,0,1] neg_hi:[0,0,1]
	v_pk_fma_f32 v[172:173], v[172:173], v[168:169], v[176:177] op_sel:[0,0,1] op_sel_hi:[1,0,0]
	v_dual_mul_f32 v176, v175, v171 :: v_dual_mov_b32 v172, v175
	s_delay_alu instid0(VALU_DEP_2) | instskip(NEXT) | instid1(VALU_DEP_2)
	v_dual_mov_b32 v179, v173 :: v_dual_mov_b32 v173, v174
	v_pk_fma_f32 v[176:177], v[174:175], v[28:29], v[176:177] op_sel_hi:[1,1,0] neg_lo:[0,0,1] neg_hi:[0,0,1]
	v_mul_f32_e32 v174, v175, v168
	s_delay_alu instid0(VALU_DEP_3) | instskip(NEXT) | instid1(VALU_DEP_2)
	v_pk_add_f32 v[94:95], v[94:95], v[178:179] neg_lo:[0,1] neg_hi:[0,1]
	v_pk_fma_f32 v[172:173], v[172:173], v[28:29], v[174:175] op_sel_hi:[1,1,0]
	s_delay_alu instid0(VALU_DEP_1) | instskip(SKIP_4) | instid1(VALU_DEP_1)
	v_mov_b32_e32 v177, v173
	ds_load_2addr_b64 v[172:175], v238 offset0:29 offset1:30
	v_pk_add_f32 v[120:121], v[120:121], v[176:177] neg_lo:[0,1] neg_hi:[0,1]
	s_wait_dscnt 0x0
	v_pk_mul_f32 v[176:177], v[172:173], v[170:171] op_sel:[0,1]
	v_pk_fma_f32 v[178:179], v[172:173], v[168:169], v[176:177] op_sel:[0,0,1] op_sel_hi:[1,1,0] neg_lo:[0,0,1] neg_hi:[0,0,1]
	v_pk_fma_f32 v[172:173], v[172:173], v[168:169], v[176:177] op_sel:[0,0,1] op_sel_hi:[1,0,0]
	s_delay_alu instid0(VALU_DEP_1) | instskip(SKIP_1) | instid1(VALU_DEP_1)
	v_mov_b32_e32 v179, v173
	v_pk_mul_f32 v[172:173], v[174:175], v[170:171] op_sel:[0,1]
	v_pk_fma_f32 v[176:177], v[174:175], v[168:169], v[172:173] op_sel:[0,0,1] op_sel_hi:[1,1,0] neg_lo:[0,0,1] neg_hi:[0,0,1]
	v_pk_fma_f32 v[172:173], v[174:175], v[168:169], v[172:173] op_sel:[0,0,1] op_sel_hi:[1,0,0]
	s_delay_alu instid0(VALU_DEP_1)
	v_mov_b32_e32 v177, v173
	ds_load_2addr_b64 v[172:175], v238 offset0:31 offset1:32
	v_pk_add_f32 v[116:117], v[116:117], v[178:179] neg_lo:[0,1] neg_hi:[0,1]
	v_pk_add_f32 v[118:119], v[118:119], v[176:177] neg_lo:[0,1] neg_hi:[0,1]
	s_wait_dscnt 0x0
	v_pk_mul_f32 v[176:177], v[172:173], v[170:171] op_sel:[0,1]
	s_delay_alu instid0(VALU_DEP_1) | instskip(SKIP_1) | instid1(VALU_DEP_1)
	v_pk_fma_f32 v[178:179], v[172:173], v[168:169], v[176:177] op_sel:[0,0,1] op_sel_hi:[1,1,0] neg_lo:[0,0,1] neg_hi:[0,0,1]
	v_pk_fma_f32 v[172:173], v[172:173], v[168:169], v[176:177] op_sel:[0,0,1] op_sel_hi:[1,0,0]
	v_mov_b32_e32 v179, v173
	v_pk_mul_f32 v[172:173], v[174:175], v[170:171] op_sel:[0,1]
	s_delay_alu instid0(VALU_DEP_1) | instskip(SKIP_1) | instid1(VALU_DEP_1)
	v_pk_fma_f32 v[176:177], v[174:175], v[168:169], v[172:173] op_sel:[0,0,1] op_sel_hi:[1,1,0] neg_lo:[0,0,1] neg_hi:[0,0,1]
	v_pk_fma_f32 v[172:173], v[174:175], v[168:169], v[172:173] op_sel:[0,0,1] op_sel_hi:[1,0,0]
	v_mov_b32_e32 v177, v173
	ds_load_2addr_b64 v[172:175], v238 offset0:33 offset1:34
	v_pk_add_f32 v[114:115], v[114:115], v[178:179] neg_lo:[0,1] neg_hi:[0,1]
	v_pk_add_f32 v[142:143], v[142:143], v[176:177] neg_lo:[0,1] neg_hi:[0,1]
	s_wait_dscnt 0x0
	v_dual_mul_f32 v176, v173, v171 :: v_dual_mul_f32 v178, v173, v168
	s_delay_alu instid0(VALU_DEP_1) | instskip(NEXT) | instid1(VALU_DEP_2)
	v_pk_fma_f32 v[176:177], v[172:173], v[28:29], v[176:177] op_sel_hi:[1,1,0] neg_lo:[0,0,1] neg_hi:[0,0,1]
	v_pk_fma_f32 v[172:173], v[172:173], v[28:29], v[178:179] op_sel:[1,0,0] op_sel_hi:[0,1,0]
	s_delay_alu instid0(VALU_DEP_1) | instskip(SKIP_1) | instid1(VALU_DEP_2)
	v_mov_b32_e32 v177, v173
	v_pk_mul_f32 v[172:173], v[174:175], v[170:171] op_sel:[0,1]
	v_pk_add_f32 v[138:139], v[138:139], v[176:177] neg_lo:[0,1] neg_hi:[0,1]
	s_delay_alu instid0(VALU_DEP_2) | instskip(SKIP_1) | instid1(VALU_DEP_1)
	v_pk_fma_f32 v[176:177], v[174:175], v[168:169], v[172:173] op_sel:[0,0,1] op_sel_hi:[1,1,0] neg_lo:[0,0,1] neg_hi:[0,0,1]
	v_pk_fma_f32 v[172:173], v[174:175], v[168:169], v[172:173] op_sel:[0,0,1] op_sel_hi:[1,0,0]
	v_mov_b32_e32 v177, v173
	ds_load_2addr_b64 v[172:175], v238 offset0:35 offset1:36
	v_pk_add_f32 v[140:141], v[140:141], v[176:177] neg_lo:[0,1] neg_hi:[0,1]
	s_wait_dscnt 0x0
	v_pk_mul_f32 v[176:177], v[172:173], v[170:171] op_sel:[0,1]
	s_delay_alu instid0(VALU_DEP_1) | instskip(SKIP_1) | instid1(VALU_DEP_1)
	v_pk_fma_f32 v[178:179], v[172:173], v[168:169], v[176:177] op_sel:[0,0,1] op_sel_hi:[1,1,0] neg_lo:[0,0,1] neg_hi:[0,0,1]
	v_pk_fma_f32 v[172:173], v[172:173], v[168:169], v[176:177] op_sel:[0,0,1] op_sel_hi:[1,0,0]
	v_mov_b32_e32 v179, v173
	v_pk_mul_f32 v[172:173], v[174:175], v[170:171] op_sel:[0,1]
	s_delay_alu instid0(VALU_DEP_2) | instskip(NEXT) | instid1(VALU_DEP_2)
	v_pk_add_f32 v[154:155], v[154:155], v[178:179] neg_lo:[0,1] neg_hi:[0,1]
	v_pk_fma_f32 v[176:177], v[174:175], v[168:169], v[172:173] op_sel:[0,0,1] op_sel_hi:[1,1,0] neg_lo:[0,0,1] neg_hi:[0,0,1]
	v_pk_fma_f32 v[172:173], v[174:175], v[168:169], v[172:173] op_sel:[0,0,1] op_sel_hi:[1,0,0]
	s_delay_alu instid0(VALU_DEP_1)
	v_mov_b32_e32 v177, v173
	ds_load_2addr_b64 v[172:175], v238 offset0:37 offset1:38
	v_pk_add_f32 v[152:153], v[152:153], v[176:177] neg_lo:[0,1] neg_hi:[0,1]
	s_wait_dscnt 0x0
	v_pk_mul_f32 v[176:177], v[172:173], v[170:171] op_sel:[0,1]
	v_pk_mul_f32 v[170:171], v[174:175], v[170:171] op_sel:[0,1]
	s_delay_alu instid0(VALU_DEP_2) | instskip(SKIP_1) | instid1(VALU_DEP_1)
	v_pk_fma_f32 v[178:179], v[172:173], v[168:169], v[176:177] op_sel:[0,0,1] op_sel_hi:[1,1,0] neg_lo:[0,0,1] neg_hi:[0,0,1]
	v_pk_fma_f32 v[172:173], v[172:173], v[168:169], v[176:177] op_sel:[0,0,1] op_sel_hi:[1,0,0]
	v_mov_b32_e32 v179, v173
	s_delay_alu instid0(VALU_DEP_4) | instskip(SKIP_1) | instid1(VALU_DEP_3)
	v_pk_fma_f32 v[172:173], v[174:175], v[168:169], v[170:171] op_sel:[0,0,1] op_sel_hi:[1,1,0] neg_lo:[0,0,1] neg_hi:[0,0,1]
	v_pk_fma_f32 v[168:169], v[174:175], v[168:169], v[170:171] op_sel:[0,0,1] op_sel_hi:[1,0,0]
	v_pk_add_f32 v[144:145], v[144:145], v[178:179] neg_lo:[0,1] neg_hi:[0,1]
	s_delay_alu instid0(VALU_DEP_2) | instskip(NEXT) | instid1(VALU_DEP_1)
	v_mov_b32_e32 v173, v169
	v_pk_add_f32 v[156:157], v[156:157], v[172:173] neg_lo:[0,1] neg_hi:[0,1]
.LBB77_46:
	s_or_b32 exec_lo, exec_lo, s1
	s_delay_alu instid0(SALU_CYCLE_1)
	s_mov_b32 s2, exec_lo
	s_wait_dscnt 0x0
	s_barrier_signal -1
	s_barrier_wait -1
	v_cmpx_eq_u32_e32 5, v236
	s_cbranch_execz .LBB77_53
; %bb.47:
	v_dual_mov_b32 v168, v26 :: v_dual_mov_b32 v169, v27
	v_dual_mov_b32 v170, v22 :: v_dual_mov_b32 v171, v23
	ds_store_b64 v237, v[24:25]
	ds_store_2addr_b64 v238, v[168:169], v[170:171] offset0:6 offset1:7
	v_dual_mov_b32 v168, v36 :: v_dual_mov_b32 v169, v37
	v_dual_mov_b32 v170, v74 :: v_dual_mov_b32 v171, v75
	ds_store_2addr_b64 v238, v[168:169], v[170:171] offset0:8 offset1:9
	v_dual_mov_b32 v168, v76 :: v_dual_mov_b32 v169, v77
	v_dual_mov_b32 v170, v72 :: v_dual_mov_b32 v171, v73
	;; [unrolled: 3-line block ×15, first 2 shown]
	ds_store_2addr_b64 v238, v[168:169], v[170:171] offset0:36 offset1:37
	ds_store_b64 v238, v[156:157] offset:304
	ds_load_b64 v[168:169], v237
	s_wait_dscnt 0x0
	v_cmp_neq_f32_e32 vcc_lo, 0, v168
	v_cmp_neq_f32_e64 s1, 0, v169
	s_or_b32 s1, vcc_lo, s1
	s_delay_alu instid0(SALU_CYCLE_1)
	s_and_b32 exec_lo, exec_lo, s1
	s_cbranch_execz .LBB77_53
; %bb.48:
	v_cmp_ngt_f32_e64 s1, |v168|, |v169|
                                        ; implicit-def: $vgpr170_vgpr171
	s_and_saveexec_b32 s4, s1
	s_delay_alu instid0(SALU_CYCLE_1)
	s_xor_b32 s1, exec_lo, s4
	s_cbranch_execz .LBB77_50
; %bb.49:
	v_div_scale_f32 v0, null, v169, v169, v168
	v_div_scale_f32 v171, vcc_lo, v168, v169, v168
	s_delay_alu instid0(VALU_DEP_2) | instskip(SKIP_1) | instid1(TRANS32_DEP_1)
	v_rcp_f32_e32 v1, v0
	v_nop
	v_fma_f32 v170, -v0, v1, 1.0
	s_delay_alu instid0(VALU_DEP_1) | instskip(NEXT) | instid1(VALU_DEP_1)
	v_fmac_f32_e32 v1, v170, v1
	v_mul_f32_e32 v170, v171, v1
	s_delay_alu instid0(VALU_DEP_1) | instskip(NEXT) | instid1(VALU_DEP_1)
	v_fma_f32 v172, -v0, v170, v171
	v_fmac_f32_e32 v170, v172, v1
	s_delay_alu instid0(VALU_DEP_1) | instskip(NEXT) | instid1(VALU_DEP_1)
	v_fma_f32 v0, -v0, v170, v171
	v_div_fmas_f32 v0, v0, v1, v170
	s_delay_alu instid0(VALU_DEP_1) | instskip(NEXT) | instid1(VALU_DEP_1)
	v_div_fixup_f32 v0, v0, v169, v168
	v_fmac_f32_e32 v169, v168, v0
	s_delay_alu instid0(VALU_DEP_1) | instskip(SKIP_1) | instid1(VALU_DEP_2)
	v_div_scale_f32 v1, null, v169, v169, 1.0
	v_div_scale_f32 v171, vcc_lo, 1.0, v169, 1.0
	v_rcp_f32_e32 v168, v1
	v_nop
	s_delay_alu instid0(TRANS32_DEP_1) | instskip(NEXT) | instid1(VALU_DEP_1)
	v_fma_f32 v170, -v1, v168, 1.0
	v_fmac_f32_e32 v168, v170, v168
	s_delay_alu instid0(VALU_DEP_1) | instskip(NEXT) | instid1(VALU_DEP_1)
	v_mul_f32_e32 v170, v171, v168
	v_fma_f32 v172, -v1, v170, v171
	s_delay_alu instid0(VALU_DEP_1) | instskip(NEXT) | instid1(VALU_DEP_1)
	v_fmac_f32_e32 v170, v172, v168
	v_fma_f32 v1, -v1, v170, v171
	s_delay_alu instid0(VALU_DEP_1) | instskip(NEXT) | instid1(VALU_DEP_1)
	v_div_fmas_f32 v1, v1, v168, v170
	v_div_fixup_f32 v1, v1, v169, 1.0
                                        ; implicit-def: $vgpr168_vgpr169
	s_delay_alu instid0(VALU_DEP_1)
	v_mul_f32_e32 v170, v0, v1
	v_xor_b32_e32 v171, 0x80000000, v1
.LBB77_50:
	s_and_not1_saveexec_b32 s1, s1
	s_cbranch_execz .LBB77_52
; %bb.51:
	v_div_scale_f32 v0, null, v168, v168, v169
	v_div_scale_f32 v171, vcc_lo, v169, v168, v169
	s_delay_alu instid0(VALU_DEP_2) | instskip(SKIP_1) | instid1(TRANS32_DEP_1)
	v_rcp_f32_e32 v1, v0
	v_nop
	v_fma_f32 v170, -v0, v1, 1.0
	s_delay_alu instid0(VALU_DEP_1) | instskip(NEXT) | instid1(VALU_DEP_1)
	v_fmac_f32_e32 v1, v170, v1
	v_mul_f32_e32 v170, v171, v1
	s_delay_alu instid0(VALU_DEP_1) | instskip(NEXT) | instid1(VALU_DEP_1)
	v_fma_f32 v172, -v0, v170, v171
	v_fmac_f32_e32 v170, v172, v1
	s_delay_alu instid0(VALU_DEP_1) | instskip(NEXT) | instid1(VALU_DEP_1)
	v_fma_f32 v0, -v0, v170, v171
	v_div_fmas_f32 v0, v0, v1, v170
	s_delay_alu instid0(VALU_DEP_1) | instskip(NEXT) | instid1(VALU_DEP_1)
	v_div_fixup_f32 v0, v0, v168, v169
	v_fmac_f32_e32 v168, v169, v0
	s_delay_alu instid0(VALU_DEP_1) | instskip(NEXT) | instid1(VALU_DEP_1)
	v_div_scale_f32 v1, null, v168, v168, 1.0
	v_rcp_f32_e32 v169, v1
	v_nop
	s_delay_alu instid0(TRANS32_DEP_1) | instskip(NEXT) | instid1(VALU_DEP_1)
	v_fma_f32 v170, -v1, v169, 1.0
	v_fmac_f32_e32 v169, v170, v169
	v_div_scale_f32 v170, vcc_lo, 1.0, v168, 1.0
	s_delay_alu instid0(VALU_DEP_1) | instskip(NEXT) | instid1(VALU_DEP_1)
	v_mul_f32_e32 v171, v170, v169
	v_fma_f32 v172, -v1, v171, v170
	s_delay_alu instid0(VALU_DEP_1) | instskip(NEXT) | instid1(VALU_DEP_1)
	v_fmac_f32_e32 v171, v172, v169
	v_fma_f32 v1, -v1, v171, v170
	s_delay_alu instid0(VALU_DEP_1) | instskip(NEXT) | instid1(VALU_DEP_1)
	v_div_fmas_f32 v1, v1, v169, v171
	v_div_fixup_f32 v170, v1, v168, 1.0
	s_delay_alu instid0(VALU_DEP_1)
	v_mul_f32_e64 v171, v0, -v170
.LBB77_52:
	s_or_b32 exec_lo, exec_lo, s1
	ds_store_b64 v237, v[170:171]
.LBB77_53:
	s_or_b32 exec_lo, exec_lo, s2
	s_wait_dscnt 0x0
	s_barrier_signal -1
	s_barrier_wait -1
	ds_load_b64 v[168:169], v237
	s_mov_b32 s1, exec_lo
	v_cmpx_lt_u32_e32 5, v236
	s_cbranch_execz .LBB77_55
; %bb.54:
	ds_load_2addr_b64 v[174:177], v238 offset0:6 offset1:7
	s_wait_dscnt 0x1
	v_pk_mul_f32 v[172:173], v[168:169], v[24:25] op_sel:[1,1] op_sel_hi:[0,1]
	s_delay_alu instid0(VALU_DEP_1) | instskip(SKIP_1) | instid1(VALU_DEP_1)
	v_pk_fma_f32 v[170:171], v[168:169], v[24:25], v[172:173] op_sel_hi:[1,0,1] neg_lo:[0,0,1] neg_hi:[0,0,1]
	v_pk_fma_f32 v[172:173], v[168:169], v[24:25], v[172:173] op_sel_hi:[1,0,1]
	v_dual_mov_b32 v24, v170 :: v_dual_mov_b32 v25, v173
	s_wait_dscnt 0x0
	s_delay_alu instid0(VALU_DEP_2) | instskip(NEXT) | instid1(VALU_DEP_1)
	v_pk_mul_f32 v[178:179], v[174:175], v[172:173] op_sel:[0,1]
	v_pk_fma_f32 v[180:181], v[174:175], v[170:171], v[178:179] op_sel:[0,0,1] op_sel_hi:[1,1,0] neg_lo:[0,0,1] neg_hi:[0,0,1]
	v_pk_fma_f32 v[174:175], v[174:175], v[170:171], v[178:179] op_sel:[0,0,1] op_sel_hi:[1,0,0]
	s_delay_alu instid0(VALU_DEP_1) | instskip(SKIP_1) | instid1(VALU_DEP_1)
	v_mov_b32_e32 v181, v175
	v_pk_mul_f32 v[174:175], v[176:177], v[172:173] op_sel:[0,1]
	v_pk_fma_f32 v[178:179], v[176:177], v[170:171], v[174:175] op_sel:[0,0,1] op_sel_hi:[1,1,0] neg_lo:[0,0,1] neg_hi:[0,0,1]
	v_pk_fma_f32 v[174:175], v[176:177], v[170:171], v[174:175] op_sel:[0,0,1] op_sel_hi:[1,0,0]
	s_delay_alu instid0(VALU_DEP_1)
	v_mov_b32_e32 v179, v175
	ds_load_2addr_b64 v[174:177], v238 offset0:8 offset1:9
	v_pk_add_f32 v[26:27], v[26:27], v[180:181] neg_lo:[0,1] neg_hi:[0,1]
	v_pk_add_f32 v[22:23], v[22:23], v[178:179] neg_lo:[0,1] neg_hi:[0,1]
	s_wait_dscnt 0x0
	v_pk_mul_f32 v[178:179], v[174:175], v[172:173] op_sel:[0,1]
	s_delay_alu instid0(VALU_DEP_1) | instskip(SKIP_2) | instid1(VALU_DEP_2)
	v_pk_fma_f32 v[180:181], v[174:175], v[170:171], v[178:179] op_sel:[0,0,1] op_sel_hi:[1,1,0] neg_lo:[0,0,1] neg_hi:[0,0,1]
	v_pk_fma_f32 v[174:175], v[174:175], v[170:171], v[178:179] op_sel:[0,0,1] op_sel_hi:[1,0,0]
	v_dual_mul_f32 v178, v177, v173 :: v_dual_mov_b32 v174, v177
	v_dual_mov_b32 v181, v175 :: v_dual_mov_b32 v175, v176
	s_delay_alu instid0(VALU_DEP_2) | instskip(SKIP_1) | instid1(VALU_DEP_3)
	v_pk_fma_f32 v[178:179], v[176:177], v[24:25], v[178:179] op_sel_hi:[1,1,0] neg_lo:[0,0,1] neg_hi:[0,0,1]
	v_mul_f32_e32 v176, v177, v170
	v_pk_add_f32 v[36:37], v[36:37], v[180:181] neg_lo:[0,1] neg_hi:[0,1]
	s_delay_alu instid0(VALU_DEP_2) | instskip(NEXT) | instid1(VALU_DEP_1)
	v_pk_fma_f32 v[174:175], v[174:175], v[24:25], v[176:177] op_sel_hi:[1,1,0]
	v_mov_b32_e32 v179, v175
	ds_load_2addr_b64 v[174:177], v238 offset0:10 offset1:11
	v_pk_add_f32 v[74:75], v[74:75], v[178:179] neg_lo:[0,1] neg_hi:[0,1]
	s_wait_dscnt 0x0
	v_pk_mul_f32 v[178:179], v[174:175], v[172:173] op_sel:[0,1]
	s_delay_alu instid0(VALU_DEP_1) | instskip(SKIP_1) | instid1(VALU_DEP_1)
	v_pk_fma_f32 v[180:181], v[174:175], v[170:171], v[178:179] op_sel:[0,0,1] op_sel_hi:[1,1,0] neg_lo:[0,0,1] neg_hi:[0,0,1]
	v_pk_fma_f32 v[174:175], v[174:175], v[170:171], v[178:179] op_sel:[0,0,1] op_sel_hi:[1,0,0]
	v_mov_b32_e32 v181, v175
	v_pk_mul_f32 v[174:175], v[176:177], v[172:173] op_sel:[0,1]
	s_delay_alu instid0(VALU_DEP_1) | instskip(SKIP_1) | instid1(VALU_DEP_1)
	v_pk_fma_f32 v[178:179], v[176:177], v[170:171], v[174:175] op_sel:[0,0,1] op_sel_hi:[1,1,0] neg_lo:[0,0,1] neg_hi:[0,0,1]
	v_pk_fma_f32 v[174:175], v[176:177], v[170:171], v[174:175] op_sel:[0,0,1] op_sel_hi:[1,0,0]
	v_mov_b32_e32 v179, v175
	ds_load_2addr_b64 v[174:177], v238 offset0:12 offset1:13
	v_pk_add_f32 v[76:77], v[76:77], v[180:181] neg_lo:[0,1] neg_hi:[0,1]
	v_pk_add_f32 v[72:73], v[72:73], v[178:179] neg_lo:[0,1] neg_hi:[0,1]
	s_wait_dscnt 0x0
	v_pk_mul_f32 v[178:179], v[174:175], v[172:173] op_sel:[0,1]
	s_delay_alu instid0(VALU_DEP_1) | instskip(SKIP_1) | instid1(VALU_DEP_1)
	v_pk_fma_f32 v[180:181], v[174:175], v[170:171], v[178:179] op_sel:[0,0,1] op_sel_hi:[1,1,0] neg_lo:[0,0,1] neg_hi:[0,0,1]
	v_pk_fma_f32 v[174:175], v[174:175], v[170:171], v[178:179] op_sel:[0,0,1] op_sel_hi:[1,0,0]
	v_mov_b32_e32 v181, v175
	v_pk_mul_f32 v[174:175], v[176:177], v[172:173] op_sel:[0,1]
	s_delay_alu instid0(VALU_DEP_1) | instskip(SKIP_1) | instid1(VALU_DEP_1)
	v_pk_fma_f32 v[178:179], v[176:177], v[170:171], v[174:175] op_sel:[0,0,1] op_sel_hi:[1,1,0] neg_lo:[0,0,1] neg_hi:[0,0,1]
	v_pk_fma_f32 v[174:175], v[176:177], v[170:171], v[174:175] op_sel:[0,0,1] op_sel_hi:[1,0,0]
	v_mov_b32_e32 v179, v175
	ds_load_2addr_b64 v[174:177], v238 offset0:14 offset1:15
	v_pk_add_f32 v[92:93], v[92:93], v[180:181] neg_lo:[0,1] neg_hi:[0,1]
	v_pk_add_f32 v[88:89], v[88:89], v[178:179] neg_lo:[0,1] neg_hi:[0,1]
	s_wait_dscnt 0x0
	v_dual_mul_f32 v178, v175, v173 :: v_dual_mul_f32 v180, v175, v170
	s_delay_alu instid0(VALU_DEP_1) | instskip(NEXT) | instid1(VALU_DEP_2)
	v_pk_fma_f32 v[178:179], v[174:175], v[24:25], v[178:179] op_sel_hi:[1,1,0] neg_lo:[0,0,1] neg_hi:[0,0,1]
	v_pk_fma_f32 v[174:175], v[174:175], v[24:25], v[180:181] op_sel:[1,0,0] op_sel_hi:[0,1,0]
	s_delay_alu instid0(VALU_DEP_1) | instskip(SKIP_1) | instid1(VALU_DEP_2)
	v_mov_b32_e32 v179, v175
	v_pk_mul_f32 v[174:175], v[176:177], v[172:173] op_sel:[0,1]
	v_pk_add_f32 v[90:91], v[90:91], v[178:179] neg_lo:[0,1] neg_hi:[0,1]
	s_delay_alu instid0(VALU_DEP_2) | instskip(SKIP_1) | instid1(VALU_DEP_1)
	v_pk_fma_f32 v[178:179], v[176:177], v[170:171], v[174:175] op_sel:[0,0,1] op_sel_hi:[1,1,0] neg_lo:[0,0,1] neg_hi:[0,0,1]
	v_pk_fma_f32 v[174:175], v[176:177], v[170:171], v[174:175] op_sel:[0,0,1] op_sel_hi:[1,0,0]
	v_mov_b32_e32 v179, v175
	ds_load_2addr_b64 v[174:177], v238 offset0:16 offset1:17
	v_pk_add_f32 v[70:71], v[70:71], v[178:179] neg_lo:[0,1] neg_hi:[0,1]
	s_wait_dscnt 0x0
	v_pk_mul_f32 v[178:179], v[174:175], v[172:173] op_sel:[0,1]
	s_delay_alu instid0(VALU_DEP_1) | instskip(SKIP_1) | instid1(VALU_DEP_1)
	v_pk_fma_f32 v[180:181], v[174:175], v[170:171], v[178:179] op_sel:[0,0,1] op_sel_hi:[1,1,0] neg_lo:[0,0,1] neg_hi:[0,0,1]
	v_pk_fma_f32 v[174:175], v[174:175], v[170:171], v[178:179] op_sel:[0,0,1] op_sel_hi:[1,0,0]
	v_mov_b32_e32 v181, v175
	v_pk_mul_f32 v[174:175], v[176:177], v[172:173] op_sel:[0,1]
	s_delay_alu instid0(VALU_DEP_2) | instskip(NEXT) | instid1(VALU_DEP_2)
	v_pk_add_f32 v[110:111], v[110:111], v[180:181] neg_lo:[0,1] neg_hi:[0,1]
	v_pk_fma_f32 v[178:179], v[176:177], v[170:171], v[174:175] op_sel:[0,0,1] op_sel_hi:[1,1,0] neg_lo:[0,0,1] neg_hi:[0,0,1]
	v_pk_fma_f32 v[174:175], v[176:177], v[170:171], v[174:175] op_sel:[0,0,1] op_sel_hi:[1,0,0]
	s_delay_alu instid0(VALU_DEP_1) | instskip(SKIP_4) | instid1(VALU_DEP_1)
	v_mov_b32_e32 v179, v175
	ds_load_2addr_b64 v[174:177], v238 offset0:18 offset1:19
	v_pk_add_f32 v[106:107], v[106:107], v[178:179] neg_lo:[0,1] neg_hi:[0,1]
	s_wait_dscnt 0x0
	v_pk_mul_f32 v[178:179], v[174:175], v[172:173] op_sel:[0,1]
	v_pk_fma_f32 v[180:181], v[174:175], v[170:171], v[178:179] op_sel:[0,0,1] op_sel_hi:[1,1,0] neg_lo:[0,0,1] neg_hi:[0,0,1]
	v_pk_fma_f32 v[174:175], v[174:175], v[170:171], v[178:179] op_sel:[0,0,1] op_sel_hi:[1,0,0]
	v_dual_mul_f32 v178, v177, v173 :: v_dual_mov_b32 v174, v177
	s_delay_alu instid0(VALU_DEP_2) | instskip(NEXT) | instid1(VALU_DEP_2)
	v_dual_mov_b32 v181, v175 :: v_dual_mov_b32 v175, v176
	v_pk_fma_f32 v[178:179], v[176:177], v[24:25], v[178:179] op_sel_hi:[1,1,0] neg_lo:[0,0,1] neg_hi:[0,0,1]
	v_mul_f32_e32 v176, v177, v170
	s_delay_alu instid0(VALU_DEP_3) | instskip(NEXT) | instid1(VALU_DEP_2)
	v_pk_add_f32 v[108:109], v[108:109], v[180:181] neg_lo:[0,1] neg_hi:[0,1]
	v_pk_fma_f32 v[174:175], v[174:175], v[24:25], v[176:177] op_sel_hi:[1,1,0]
	s_delay_alu instid0(VALU_DEP_1) | instskip(SKIP_4) | instid1(VALU_DEP_1)
	v_mov_b32_e32 v179, v175
	ds_load_2addr_b64 v[174:177], v238 offset0:20 offset1:21
	v_pk_add_f32 v[86:87], v[86:87], v[178:179] neg_lo:[0,1] neg_hi:[0,1]
	s_wait_dscnt 0x0
	v_pk_mul_f32 v[178:179], v[174:175], v[172:173] op_sel:[0,1]
	v_pk_fma_f32 v[180:181], v[174:175], v[170:171], v[178:179] op_sel:[0,0,1] op_sel_hi:[1,1,0] neg_lo:[0,0,1] neg_hi:[0,0,1]
	v_pk_fma_f32 v[174:175], v[174:175], v[170:171], v[178:179] op_sel:[0,0,1] op_sel_hi:[1,0,0]
	s_delay_alu instid0(VALU_DEP_1) | instskip(SKIP_1) | instid1(VALU_DEP_1)
	v_mov_b32_e32 v181, v175
	v_pk_mul_f32 v[174:175], v[176:177], v[172:173] op_sel:[0,1]
	v_pk_fma_f32 v[178:179], v[176:177], v[170:171], v[174:175] op_sel:[0,0,1] op_sel_hi:[1,1,0] neg_lo:[0,0,1] neg_hi:[0,0,1]
	v_pk_fma_f32 v[174:175], v[176:177], v[170:171], v[174:175] op_sel:[0,0,1] op_sel_hi:[1,0,0]
	s_delay_alu instid0(VALU_DEP_1)
	v_mov_b32_e32 v179, v175
	ds_load_2addr_b64 v[174:177], v238 offset0:22 offset1:23
	v_pk_add_f32 v[136:137], v[136:137], v[180:181] neg_lo:[0,1] neg_hi:[0,1]
	v_pk_add_f32 v[132:133], v[132:133], v[178:179] neg_lo:[0,1] neg_hi:[0,1]
	s_wait_dscnt 0x0
	v_pk_mul_f32 v[178:179], v[174:175], v[172:173] op_sel:[0,1]
	s_delay_alu instid0(VALU_DEP_1) | instskip(SKIP_1) | instid1(VALU_DEP_1)
	v_pk_fma_f32 v[180:181], v[174:175], v[170:171], v[178:179] op_sel:[0,0,1] op_sel_hi:[1,1,0] neg_lo:[0,0,1] neg_hi:[0,0,1]
	v_pk_fma_f32 v[174:175], v[174:175], v[170:171], v[178:179] op_sel:[0,0,1] op_sel_hi:[1,0,0]
	v_mov_b32_e32 v181, v175
	v_pk_mul_f32 v[174:175], v[176:177], v[172:173] op_sel:[0,1]
	s_delay_alu instid0(VALU_DEP_1) | instskip(SKIP_1) | instid1(VALU_DEP_1)
	v_pk_fma_f32 v[178:179], v[176:177], v[170:171], v[174:175] op_sel:[0,0,1] op_sel_hi:[1,1,0] neg_lo:[0,0,1] neg_hi:[0,0,1]
	v_pk_fma_f32 v[174:175], v[176:177], v[170:171], v[174:175] op_sel:[0,0,1] op_sel_hi:[1,0,0]
	v_mov_b32_e32 v179, v175
	ds_load_2addr_b64 v[174:177], v238 offset0:24 offset1:25
	v_pk_add_f32 v[134:135], v[134:135], v[180:181] neg_lo:[0,1] neg_hi:[0,1]
	v_pk_add_f32 v[104:105], v[104:105], v[178:179] neg_lo:[0,1] neg_hi:[0,1]
	s_wait_dscnt 0x0
	v_dual_mul_f32 v178, v175, v173 :: v_dual_mul_f32 v180, v175, v170
	s_delay_alu instid0(VALU_DEP_1) | instskip(NEXT) | instid1(VALU_DEP_2)
	v_pk_fma_f32 v[178:179], v[174:175], v[24:25], v[178:179] op_sel_hi:[1,1,0] neg_lo:[0,0,1] neg_hi:[0,0,1]
	v_pk_fma_f32 v[174:175], v[174:175], v[24:25], v[180:181] op_sel:[1,0,0] op_sel_hi:[0,1,0]
	s_delay_alu instid0(VALU_DEP_1) | instskip(SKIP_1) | instid1(VALU_DEP_2)
	v_mov_b32_e32 v179, v175
	v_pk_mul_f32 v[174:175], v[176:177], v[172:173] op_sel:[0,1]
	v_pk_add_f32 v[150:151], v[150:151], v[178:179] neg_lo:[0,1] neg_hi:[0,1]
	s_delay_alu instid0(VALU_DEP_2) | instskip(SKIP_1) | instid1(VALU_DEP_1)
	v_pk_fma_f32 v[178:179], v[176:177], v[170:171], v[174:175] op_sel:[0,0,1] op_sel_hi:[1,1,0] neg_lo:[0,0,1] neg_hi:[0,0,1]
	v_pk_fma_f32 v[174:175], v[176:177], v[170:171], v[174:175] op_sel:[0,0,1] op_sel_hi:[1,0,0]
	v_mov_b32_e32 v179, v175
	ds_load_2addr_b64 v[174:177], v238 offset0:26 offset1:27
	v_pk_add_f32 v[146:147], v[146:147], v[178:179] neg_lo:[0,1] neg_hi:[0,1]
	s_wait_dscnt 0x0
	v_pk_mul_f32 v[178:179], v[174:175], v[172:173] op_sel:[0,1]
	s_delay_alu instid0(VALU_DEP_1) | instskip(SKIP_1) | instid1(VALU_DEP_1)
	v_pk_fma_f32 v[180:181], v[174:175], v[170:171], v[178:179] op_sel:[0,0,1] op_sel_hi:[1,1,0] neg_lo:[0,0,1] neg_hi:[0,0,1]
	v_pk_fma_f32 v[174:175], v[174:175], v[170:171], v[178:179] op_sel:[0,0,1] op_sel_hi:[1,0,0]
	v_mov_b32_e32 v181, v175
	v_pk_mul_f32 v[174:175], v[176:177], v[172:173] op_sel:[0,1]
	s_delay_alu instid0(VALU_DEP_2) | instskip(NEXT) | instid1(VALU_DEP_2)
	v_pk_add_f32 v[148:149], v[148:149], v[180:181] neg_lo:[0,1] neg_hi:[0,1]
	v_pk_fma_f32 v[178:179], v[176:177], v[170:171], v[174:175] op_sel:[0,0,1] op_sel_hi:[1,1,0] neg_lo:[0,0,1] neg_hi:[0,0,1]
	v_pk_fma_f32 v[174:175], v[176:177], v[170:171], v[174:175] op_sel:[0,0,1] op_sel_hi:[1,0,0]
	s_delay_alu instid0(VALU_DEP_1) | instskip(SKIP_4) | instid1(VALU_DEP_1)
	v_mov_b32_e32 v179, v175
	ds_load_2addr_b64 v[174:177], v238 offset0:28 offset1:29
	v_pk_add_f32 v[94:95], v[94:95], v[178:179] neg_lo:[0,1] neg_hi:[0,1]
	s_wait_dscnt 0x0
	v_pk_mul_f32 v[178:179], v[174:175], v[172:173] op_sel:[0,1]
	v_pk_fma_f32 v[180:181], v[174:175], v[170:171], v[178:179] op_sel:[0,0,1] op_sel_hi:[1,1,0] neg_lo:[0,0,1] neg_hi:[0,0,1]
	v_pk_fma_f32 v[174:175], v[174:175], v[170:171], v[178:179] op_sel:[0,0,1] op_sel_hi:[1,0,0]
	v_dual_mul_f32 v178, v177, v173 :: v_dual_mov_b32 v174, v177
	s_delay_alu instid0(VALU_DEP_2) | instskip(NEXT) | instid1(VALU_DEP_2)
	v_dual_mov_b32 v181, v175 :: v_dual_mov_b32 v175, v176
	v_pk_fma_f32 v[178:179], v[176:177], v[24:25], v[178:179] op_sel_hi:[1,1,0] neg_lo:[0,0,1] neg_hi:[0,0,1]
	v_mul_f32_e32 v176, v177, v170
	s_delay_alu instid0(VALU_DEP_3) | instskip(NEXT) | instid1(VALU_DEP_2)
	v_pk_add_f32 v[120:121], v[120:121], v[180:181] neg_lo:[0,1] neg_hi:[0,1]
	v_pk_fma_f32 v[174:175], v[174:175], v[24:25], v[176:177] op_sel_hi:[1,1,0]
	s_delay_alu instid0(VALU_DEP_1) | instskip(SKIP_4) | instid1(VALU_DEP_1)
	v_mov_b32_e32 v179, v175
	ds_load_2addr_b64 v[174:177], v238 offset0:30 offset1:31
	v_pk_add_f32 v[116:117], v[116:117], v[178:179] neg_lo:[0,1] neg_hi:[0,1]
	s_wait_dscnt 0x0
	v_pk_mul_f32 v[178:179], v[174:175], v[172:173] op_sel:[0,1]
	v_pk_fma_f32 v[180:181], v[174:175], v[170:171], v[178:179] op_sel:[0,0,1] op_sel_hi:[1,1,0] neg_lo:[0,0,1] neg_hi:[0,0,1]
	v_pk_fma_f32 v[174:175], v[174:175], v[170:171], v[178:179] op_sel:[0,0,1] op_sel_hi:[1,0,0]
	s_delay_alu instid0(VALU_DEP_1) | instskip(SKIP_1) | instid1(VALU_DEP_1)
	v_mov_b32_e32 v181, v175
	v_pk_mul_f32 v[174:175], v[176:177], v[172:173] op_sel:[0,1]
	v_pk_fma_f32 v[178:179], v[176:177], v[170:171], v[174:175] op_sel:[0,0,1] op_sel_hi:[1,1,0] neg_lo:[0,0,1] neg_hi:[0,0,1]
	v_pk_fma_f32 v[174:175], v[176:177], v[170:171], v[174:175] op_sel:[0,0,1] op_sel_hi:[1,0,0]
	s_delay_alu instid0(VALU_DEP_1)
	v_mov_b32_e32 v179, v175
	ds_load_2addr_b64 v[174:177], v238 offset0:32 offset1:33
	v_pk_add_f32 v[118:119], v[118:119], v[180:181] neg_lo:[0,1] neg_hi:[0,1]
	v_pk_add_f32 v[114:115], v[114:115], v[178:179] neg_lo:[0,1] neg_hi:[0,1]
	s_wait_dscnt 0x0
	v_pk_mul_f32 v[178:179], v[174:175], v[172:173] op_sel:[0,1]
	s_delay_alu instid0(VALU_DEP_1) | instskip(SKIP_1) | instid1(VALU_DEP_1)
	v_pk_fma_f32 v[180:181], v[174:175], v[170:171], v[178:179] op_sel:[0,0,1] op_sel_hi:[1,1,0] neg_lo:[0,0,1] neg_hi:[0,0,1]
	v_pk_fma_f32 v[174:175], v[174:175], v[170:171], v[178:179] op_sel:[0,0,1] op_sel_hi:[1,0,0]
	v_mov_b32_e32 v181, v175
	v_pk_mul_f32 v[174:175], v[176:177], v[172:173] op_sel:[0,1]
	s_delay_alu instid0(VALU_DEP_1) | instskip(SKIP_1) | instid1(VALU_DEP_1)
	v_pk_fma_f32 v[178:179], v[176:177], v[170:171], v[174:175] op_sel:[0,0,1] op_sel_hi:[1,1,0] neg_lo:[0,0,1] neg_hi:[0,0,1]
	v_pk_fma_f32 v[174:175], v[176:177], v[170:171], v[174:175] op_sel:[0,0,1] op_sel_hi:[1,0,0]
	v_mov_b32_e32 v179, v175
	ds_load_2addr_b64 v[174:177], v238 offset0:34 offset1:35
	v_pk_add_f32 v[142:143], v[142:143], v[180:181] neg_lo:[0,1] neg_hi:[0,1]
	v_pk_add_f32 v[138:139], v[138:139], v[178:179] neg_lo:[0,1] neg_hi:[0,1]
	s_wait_dscnt 0x0
	v_dual_mul_f32 v178, v175, v173 :: v_dual_mul_f32 v180, v175, v170
	s_delay_alu instid0(VALU_DEP_1) | instskip(NEXT) | instid1(VALU_DEP_2)
	v_pk_fma_f32 v[178:179], v[174:175], v[24:25], v[178:179] op_sel_hi:[1,1,0] neg_lo:[0,0,1] neg_hi:[0,0,1]
	v_pk_fma_f32 v[174:175], v[174:175], v[24:25], v[180:181] op_sel:[1,0,0] op_sel_hi:[0,1,0]
	s_delay_alu instid0(VALU_DEP_1) | instskip(SKIP_1) | instid1(VALU_DEP_2)
	v_mov_b32_e32 v179, v175
	v_pk_mul_f32 v[174:175], v[176:177], v[172:173] op_sel:[0,1]
	v_pk_add_f32 v[140:141], v[140:141], v[178:179] neg_lo:[0,1] neg_hi:[0,1]
	s_delay_alu instid0(VALU_DEP_2) | instskip(SKIP_1) | instid1(VALU_DEP_1)
	v_pk_fma_f32 v[178:179], v[176:177], v[170:171], v[174:175] op_sel:[0,0,1] op_sel_hi:[1,1,0] neg_lo:[0,0,1] neg_hi:[0,0,1]
	v_pk_fma_f32 v[174:175], v[176:177], v[170:171], v[174:175] op_sel:[0,0,1] op_sel_hi:[1,0,0]
	v_mov_b32_e32 v179, v175
	ds_load_2addr_b64 v[174:177], v238 offset0:36 offset1:37
	v_pk_add_f32 v[154:155], v[154:155], v[178:179] neg_lo:[0,1] neg_hi:[0,1]
	s_wait_dscnt 0x0
	v_pk_mul_f32 v[178:179], v[174:175], v[172:173] op_sel:[0,1]
	s_delay_alu instid0(VALU_DEP_1) | instskip(SKIP_1) | instid1(VALU_DEP_1)
	v_pk_fma_f32 v[180:181], v[174:175], v[170:171], v[178:179] op_sel:[0,0,1] op_sel_hi:[1,1,0] neg_lo:[0,0,1] neg_hi:[0,0,1]
	v_pk_fma_f32 v[174:175], v[174:175], v[170:171], v[178:179] op_sel:[0,0,1] op_sel_hi:[1,0,0]
	v_mov_b32_e32 v181, v175
	v_pk_mul_f32 v[174:175], v[176:177], v[172:173] op_sel:[0,1]
	s_delay_alu instid0(VALU_DEP_2) | instskip(NEXT) | instid1(VALU_DEP_2)
	v_pk_add_f32 v[152:153], v[152:153], v[180:181] neg_lo:[0,1] neg_hi:[0,1]
	v_pk_fma_f32 v[178:179], v[176:177], v[170:171], v[174:175] op_sel:[0,0,1] op_sel_hi:[1,1,0] neg_lo:[0,0,1] neg_hi:[0,0,1]
	v_pk_fma_f32 v[174:175], v[176:177], v[170:171], v[174:175] op_sel:[0,0,1] op_sel_hi:[1,0,0]
	s_delay_alu instid0(VALU_DEP_1) | instskip(SKIP_4) | instid1(VALU_DEP_1)
	v_mov_b32_e32 v179, v175
	ds_load_b64 v[174:175], v238 offset:304
	v_pk_add_f32 v[144:145], v[144:145], v[178:179] neg_lo:[0,1] neg_hi:[0,1]
	s_wait_dscnt 0x0
	v_pk_mul_f32 v[172:173], v[174:175], v[172:173] op_sel:[0,1]
	v_pk_fma_f32 v[176:177], v[174:175], v[170:171], v[172:173] op_sel:[0,0,1] op_sel_hi:[1,1,0] neg_lo:[0,0,1] neg_hi:[0,0,1]
	v_pk_fma_f32 v[170:171], v[174:175], v[170:171], v[172:173] op_sel:[0,0,1] op_sel_hi:[1,0,0]
	s_delay_alu instid0(VALU_DEP_1) | instskip(NEXT) | instid1(VALU_DEP_1)
	v_mov_b32_e32 v177, v171
	v_pk_add_f32 v[156:157], v[156:157], v[176:177] neg_lo:[0,1] neg_hi:[0,1]
.LBB77_55:
	s_or_b32 exec_lo, exec_lo, s1
	s_delay_alu instid0(SALU_CYCLE_1)
	s_mov_b32 s2, exec_lo
	s_wait_dscnt 0x0
	s_barrier_signal -1
	s_barrier_wait -1
	v_cmpx_eq_u32_e32 6, v236
	s_cbranch_execz .LBB77_62
; %bb.56:
	ds_store_b64 v237, v[26:27]
	ds_store_2addr_b64 v238, v[22:23], v[36:37] offset0:7 offset1:8
	ds_store_2addr_b64 v238, v[74:75], v[76:77] offset0:9 offset1:10
	ds_store_2addr_b64 v238, v[72:73], v[92:93] offset0:11 offset1:12
	ds_store_2addr_b64 v238, v[88:89], v[90:91] offset0:13 offset1:14
	ds_store_2addr_b64 v238, v[70:71], v[110:111] offset0:15 offset1:16
	ds_store_2addr_b64 v238, v[106:107], v[108:109] offset0:17 offset1:18
	ds_store_2addr_b64 v238, v[86:87], v[136:137] offset0:19 offset1:20
	ds_store_2addr_b64 v238, v[132:133], v[134:135] offset0:21 offset1:22
	ds_store_2addr_b64 v238, v[104:105], v[150:151] offset0:23 offset1:24
	ds_store_2addr_b64 v238, v[146:147], v[148:149] offset0:25 offset1:26
	ds_store_2addr_b64 v238, v[94:95], v[120:121] offset0:27 offset1:28
	ds_store_2addr_b64 v238, v[116:117], v[118:119] offset0:29 offset1:30
	ds_store_2addr_b64 v238, v[114:115], v[142:143] offset0:31 offset1:32
	ds_store_2addr_b64 v238, v[138:139], v[140:141] offset0:33 offset1:34
	ds_store_2addr_b64 v238, v[154:155], v[152:153] offset0:35 offset1:36
	ds_store_2addr_b64 v238, v[144:145], v[156:157] offset0:37 offset1:38
	ds_load_b64 v[170:171], v237
	s_wait_dscnt 0x0
	v_cmp_neq_f32_e32 vcc_lo, 0, v170
	v_cmp_neq_f32_e64 s1, 0, v171
	s_or_b32 s1, vcc_lo, s1
	s_delay_alu instid0(SALU_CYCLE_1)
	s_and_b32 exec_lo, exec_lo, s1
	s_cbranch_execz .LBB77_62
; %bb.57:
	v_cmp_ngt_f32_e64 s1, |v170|, |v171|
                                        ; implicit-def: $vgpr172_vgpr173
	s_and_saveexec_b32 s4, s1
	s_delay_alu instid0(SALU_CYCLE_1)
	s_xor_b32 s1, exec_lo, s4
	s_cbranch_execz .LBB77_59
; %bb.58:
	v_div_scale_f32 v0, null, v171, v171, v170
	v_div_scale_f32 v173, vcc_lo, v170, v171, v170
	s_delay_alu instid0(VALU_DEP_2) | instskip(SKIP_1) | instid1(TRANS32_DEP_1)
	v_rcp_f32_e32 v1, v0
	v_nop
	v_fma_f32 v172, -v0, v1, 1.0
	s_delay_alu instid0(VALU_DEP_1) | instskip(NEXT) | instid1(VALU_DEP_1)
	v_fmac_f32_e32 v1, v172, v1
	v_mul_f32_e32 v172, v173, v1
	s_delay_alu instid0(VALU_DEP_1) | instskip(NEXT) | instid1(VALU_DEP_1)
	v_fma_f32 v174, -v0, v172, v173
	v_fmac_f32_e32 v172, v174, v1
	s_delay_alu instid0(VALU_DEP_1) | instskip(NEXT) | instid1(VALU_DEP_1)
	v_fma_f32 v0, -v0, v172, v173
	v_div_fmas_f32 v0, v0, v1, v172
	s_delay_alu instid0(VALU_DEP_1) | instskip(NEXT) | instid1(VALU_DEP_1)
	v_div_fixup_f32 v0, v0, v171, v170
	v_fmac_f32_e32 v171, v170, v0
	s_delay_alu instid0(VALU_DEP_1) | instskip(SKIP_1) | instid1(VALU_DEP_2)
	v_div_scale_f32 v1, null, v171, v171, 1.0
	v_div_scale_f32 v173, vcc_lo, 1.0, v171, 1.0
	v_rcp_f32_e32 v170, v1
	v_nop
	s_delay_alu instid0(TRANS32_DEP_1) | instskip(NEXT) | instid1(VALU_DEP_1)
	v_fma_f32 v172, -v1, v170, 1.0
	v_fmac_f32_e32 v170, v172, v170
	s_delay_alu instid0(VALU_DEP_1) | instskip(NEXT) | instid1(VALU_DEP_1)
	v_mul_f32_e32 v172, v173, v170
	v_fma_f32 v174, -v1, v172, v173
	s_delay_alu instid0(VALU_DEP_1) | instskip(NEXT) | instid1(VALU_DEP_1)
	v_fmac_f32_e32 v172, v174, v170
	v_fma_f32 v1, -v1, v172, v173
	s_delay_alu instid0(VALU_DEP_1) | instskip(NEXT) | instid1(VALU_DEP_1)
	v_div_fmas_f32 v1, v1, v170, v172
	v_div_fixup_f32 v1, v1, v171, 1.0
                                        ; implicit-def: $vgpr170_vgpr171
	s_delay_alu instid0(VALU_DEP_1)
	v_mul_f32_e32 v172, v0, v1
	v_xor_b32_e32 v173, 0x80000000, v1
.LBB77_59:
	s_and_not1_saveexec_b32 s1, s1
	s_cbranch_execz .LBB77_61
; %bb.60:
	v_div_scale_f32 v0, null, v170, v170, v171
	v_div_scale_f32 v173, vcc_lo, v171, v170, v171
	s_delay_alu instid0(VALU_DEP_2) | instskip(SKIP_1) | instid1(TRANS32_DEP_1)
	v_rcp_f32_e32 v1, v0
	v_nop
	v_fma_f32 v172, -v0, v1, 1.0
	s_delay_alu instid0(VALU_DEP_1) | instskip(NEXT) | instid1(VALU_DEP_1)
	v_fmac_f32_e32 v1, v172, v1
	v_mul_f32_e32 v172, v173, v1
	s_delay_alu instid0(VALU_DEP_1) | instskip(NEXT) | instid1(VALU_DEP_1)
	v_fma_f32 v174, -v0, v172, v173
	v_fmac_f32_e32 v172, v174, v1
	s_delay_alu instid0(VALU_DEP_1) | instskip(NEXT) | instid1(VALU_DEP_1)
	v_fma_f32 v0, -v0, v172, v173
	v_div_fmas_f32 v0, v0, v1, v172
	s_delay_alu instid0(VALU_DEP_1) | instskip(NEXT) | instid1(VALU_DEP_1)
	v_div_fixup_f32 v0, v0, v170, v171
	v_fmac_f32_e32 v170, v171, v0
	s_delay_alu instid0(VALU_DEP_1) | instskip(NEXT) | instid1(VALU_DEP_1)
	v_div_scale_f32 v1, null, v170, v170, 1.0
	v_rcp_f32_e32 v171, v1
	v_nop
	s_delay_alu instid0(TRANS32_DEP_1) | instskip(NEXT) | instid1(VALU_DEP_1)
	v_fma_f32 v172, -v1, v171, 1.0
	v_fmac_f32_e32 v171, v172, v171
	v_div_scale_f32 v172, vcc_lo, 1.0, v170, 1.0
	s_delay_alu instid0(VALU_DEP_1) | instskip(NEXT) | instid1(VALU_DEP_1)
	v_mul_f32_e32 v173, v172, v171
	v_fma_f32 v174, -v1, v173, v172
	s_delay_alu instid0(VALU_DEP_1) | instskip(NEXT) | instid1(VALU_DEP_1)
	v_fmac_f32_e32 v173, v174, v171
	v_fma_f32 v1, -v1, v173, v172
	s_delay_alu instid0(VALU_DEP_1) | instskip(NEXT) | instid1(VALU_DEP_1)
	v_div_fmas_f32 v1, v1, v171, v173
	v_div_fixup_f32 v172, v1, v170, 1.0
	s_delay_alu instid0(VALU_DEP_1)
	v_mul_f32_e64 v173, v0, -v172
.LBB77_61:
	s_or_b32 exec_lo, exec_lo, s1
	ds_store_b64 v237, v[172:173]
.LBB77_62:
	s_or_b32 exec_lo, exec_lo, s2
	s_wait_dscnt 0x0
	s_barrier_signal -1
	s_barrier_wait -1
	ds_load_b64 v[170:171], v237
	s_mov_b32 s1, exec_lo
	v_cmpx_lt_u32_e32 6, v236
	s_cbranch_execz .LBB77_64
; %bb.63:
	ds_load_2addr_b64 v[176:179], v238 offset0:7 offset1:8
	s_wait_dscnt 0x1
	v_pk_mul_f32 v[174:175], v[170:171], v[26:27] op_sel:[1,1] op_sel_hi:[0,1]
	s_delay_alu instid0(VALU_DEP_1) | instskip(SKIP_1) | instid1(VALU_DEP_1)
	v_pk_fma_f32 v[172:173], v[170:171], v[26:27], v[174:175] op_sel_hi:[1,0,1] neg_lo:[0,0,1] neg_hi:[0,0,1]
	v_pk_fma_f32 v[174:175], v[170:171], v[26:27], v[174:175] op_sel_hi:[1,0,1]
	v_dual_mov_b32 v26, v172 :: v_dual_mov_b32 v27, v175
	s_wait_dscnt 0x0
	s_delay_alu instid0(VALU_DEP_2) | instskip(NEXT) | instid1(VALU_DEP_1)
	v_pk_mul_f32 v[180:181], v[176:177], v[174:175] op_sel:[0,1]
	v_pk_fma_f32 v[182:183], v[176:177], v[172:173], v[180:181] op_sel:[0,0,1] op_sel_hi:[1,1,0] neg_lo:[0,0,1] neg_hi:[0,0,1]
	v_pk_fma_f32 v[176:177], v[176:177], v[172:173], v[180:181] op_sel:[0,0,1] op_sel_hi:[1,0,0]
	s_delay_alu instid0(VALU_DEP_1) | instskip(SKIP_1) | instid1(VALU_DEP_1)
	v_mov_b32_e32 v183, v177
	v_pk_mul_f32 v[176:177], v[178:179], v[174:175] op_sel:[0,1]
	v_pk_fma_f32 v[180:181], v[178:179], v[172:173], v[176:177] op_sel:[0,0,1] op_sel_hi:[1,1,0] neg_lo:[0,0,1] neg_hi:[0,0,1]
	v_pk_fma_f32 v[176:177], v[178:179], v[172:173], v[176:177] op_sel:[0,0,1] op_sel_hi:[1,0,0]
	s_delay_alu instid0(VALU_DEP_1)
	v_mov_b32_e32 v181, v177
	ds_load_2addr_b64 v[176:179], v238 offset0:9 offset1:10
	v_pk_add_f32 v[22:23], v[22:23], v[182:183] neg_lo:[0,1] neg_hi:[0,1]
	v_pk_add_f32 v[36:37], v[36:37], v[180:181] neg_lo:[0,1] neg_hi:[0,1]
	s_wait_dscnt 0x0
	v_pk_mul_f32 v[180:181], v[176:177], v[174:175] op_sel:[0,1]
	s_delay_alu instid0(VALU_DEP_1) | instskip(SKIP_2) | instid1(VALU_DEP_2)
	v_pk_fma_f32 v[182:183], v[176:177], v[172:173], v[180:181] op_sel:[0,0,1] op_sel_hi:[1,1,0] neg_lo:[0,0,1] neg_hi:[0,0,1]
	v_pk_fma_f32 v[176:177], v[176:177], v[172:173], v[180:181] op_sel:[0,0,1] op_sel_hi:[1,0,0]
	v_dual_mul_f32 v180, v179, v175 :: v_dual_mov_b32 v176, v179
	v_dual_mov_b32 v183, v177 :: v_dual_mov_b32 v177, v178
	s_delay_alu instid0(VALU_DEP_2) | instskip(SKIP_1) | instid1(VALU_DEP_3)
	v_pk_fma_f32 v[180:181], v[178:179], v[26:27], v[180:181] op_sel_hi:[1,1,0] neg_lo:[0,0,1] neg_hi:[0,0,1]
	v_mul_f32_e32 v178, v179, v172
	v_pk_add_f32 v[74:75], v[74:75], v[182:183] neg_lo:[0,1] neg_hi:[0,1]
	s_delay_alu instid0(VALU_DEP_2) | instskip(NEXT) | instid1(VALU_DEP_1)
	v_pk_fma_f32 v[176:177], v[176:177], v[26:27], v[178:179] op_sel_hi:[1,1,0]
	v_mov_b32_e32 v181, v177
	ds_load_2addr_b64 v[176:179], v238 offset0:11 offset1:12
	v_pk_add_f32 v[76:77], v[76:77], v[180:181] neg_lo:[0,1] neg_hi:[0,1]
	s_wait_dscnt 0x0
	v_pk_mul_f32 v[180:181], v[176:177], v[174:175] op_sel:[0,1]
	s_delay_alu instid0(VALU_DEP_1) | instskip(SKIP_1) | instid1(VALU_DEP_1)
	v_pk_fma_f32 v[182:183], v[176:177], v[172:173], v[180:181] op_sel:[0,0,1] op_sel_hi:[1,1,0] neg_lo:[0,0,1] neg_hi:[0,0,1]
	v_pk_fma_f32 v[176:177], v[176:177], v[172:173], v[180:181] op_sel:[0,0,1] op_sel_hi:[1,0,0]
	v_mov_b32_e32 v183, v177
	v_pk_mul_f32 v[176:177], v[178:179], v[174:175] op_sel:[0,1]
	s_delay_alu instid0(VALU_DEP_1) | instskip(SKIP_1) | instid1(VALU_DEP_1)
	v_pk_fma_f32 v[180:181], v[178:179], v[172:173], v[176:177] op_sel:[0,0,1] op_sel_hi:[1,1,0] neg_lo:[0,0,1] neg_hi:[0,0,1]
	v_pk_fma_f32 v[176:177], v[178:179], v[172:173], v[176:177] op_sel:[0,0,1] op_sel_hi:[1,0,0]
	v_mov_b32_e32 v181, v177
	ds_load_2addr_b64 v[176:179], v238 offset0:13 offset1:14
	v_pk_add_f32 v[72:73], v[72:73], v[182:183] neg_lo:[0,1] neg_hi:[0,1]
	v_pk_add_f32 v[92:93], v[92:93], v[180:181] neg_lo:[0,1] neg_hi:[0,1]
	s_wait_dscnt 0x0
	v_pk_mul_f32 v[180:181], v[176:177], v[174:175] op_sel:[0,1]
	s_delay_alu instid0(VALU_DEP_1) | instskip(SKIP_1) | instid1(VALU_DEP_1)
	v_pk_fma_f32 v[182:183], v[176:177], v[172:173], v[180:181] op_sel:[0,0,1] op_sel_hi:[1,1,0] neg_lo:[0,0,1] neg_hi:[0,0,1]
	v_pk_fma_f32 v[176:177], v[176:177], v[172:173], v[180:181] op_sel:[0,0,1] op_sel_hi:[1,0,0]
	v_mov_b32_e32 v183, v177
	v_pk_mul_f32 v[176:177], v[178:179], v[174:175] op_sel:[0,1]
	s_delay_alu instid0(VALU_DEP_1) | instskip(SKIP_1) | instid1(VALU_DEP_1)
	v_pk_fma_f32 v[180:181], v[178:179], v[172:173], v[176:177] op_sel:[0,0,1] op_sel_hi:[1,1,0] neg_lo:[0,0,1] neg_hi:[0,0,1]
	v_pk_fma_f32 v[176:177], v[178:179], v[172:173], v[176:177] op_sel:[0,0,1] op_sel_hi:[1,0,0]
	v_mov_b32_e32 v181, v177
	ds_load_2addr_b64 v[176:179], v238 offset0:15 offset1:16
	v_pk_add_f32 v[88:89], v[88:89], v[182:183] neg_lo:[0,1] neg_hi:[0,1]
	v_pk_add_f32 v[90:91], v[90:91], v[180:181] neg_lo:[0,1] neg_hi:[0,1]
	s_wait_dscnt 0x0
	v_dual_mul_f32 v180, v177, v175 :: v_dual_mul_f32 v182, v177, v172
	s_delay_alu instid0(VALU_DEP_1) | instskip(NEXT) | instid1(VALU_DEP_2)
	v_pk_fma_f32 v[180:181], v[176:177], v[26:27], v[180:181] op_sel_hi:[1,1,0] neg_lo:[0,0,1] neg_hi:[0,0,1]
	v_pk_fma_f32 v[176:177], v[176:177], v[26:27], v[182:183] op_sel:[1,0,0] op_sel_hi:[0,1,0]
	s_delay_alu instid0(VALU_DEP_1) | instskip(SKIP_1) | instid1(VALU_DEP_2)
	v_mov_b32_e32 v181, v177
	v_pk_mul_f32 v[176:177], v[178:179], v[174:175] op_sel:[0,1]
	v_pk_add_f32 v[70:71], v[70:71], v[180:181] neg_lo:[0,1] neg_hi:[0,1]
	s_delay_alu instid0(VALU_DEP_2) | instskip(SKIP_1) | instid1(VALU_DEP_1)
	v_pk_fma_f32 v[180:181], v[178:179], v[172:173], v[176:177] op_sel:[0,0,1] op_sel_hi:[1,1,0] neg_lo:[0,0,1] neg_hi:[0,0,1]
	v_pk_fma_f32 v[176:177], v[178:179], v[172:173], v[176:177] op_sel:[0,0,1] op_sel_hi:[1,0,0]
	v_mov_b32_e32 v181, v177
	ds_load_2addr_b64 v[176:179], v238 offset0:17 offset1:18
	v_pk_add_f32 v[110:111], v[110:111], v[180:181] neg_lo:[0,1] neg_hi:[0,1]
	s_wait_dscnt 0x0
	v_pk_mul_f32 v[180:181], v[176:177], v[174:175] op_sel:[0,1]
	s_delay_alu instid0(VALU_DEP_1) | instskip(SKIP_1) | instid1(VALU_DEP_1)
	v_pk_fma_f32 v[182:183], v[176:177], v[172:173], v[180:181] op_sel:[0,0,1] op_sel_hi:[1,1,0] neg_lo:[0,0,1] neg_hi:[0,0,1]
	v_pk_fma_f32 v[176:177], v[176:177], v[172:173], v[180:181] op_sel:[0,0,1] op_sel_hi:[1,0,0]
	v_mov_b32_e32 v183, v177
	v_pk_mul_f32 v[176:177], v[178:179], v[174:175] op_sel:[0,1]
	s_delay_alu instid0(VALU_DEP_2) | instskip(NEXT) | instid1(VALU_DEP_2)
	v_pk_add_f32 v[106:107], v[106:107], v[182:183] neg_lo:[0,1] neg_hi:[0,1]
	v_pk_fma_f32 v[180:181], v[178:179], v[172:173], v[176:177] op_sel:[0,0,1] op_sel_hi:[1,1,0] neg_lo:[0,0,1] neg_hi:[0,0,1]
	v_pk_fma_f32 v[176:177], v[178:179], v[172:173], v[176:177] op_sel:[0,0,1] op_sel_hi:[1,0,0]
	s_delay_alu instid0(VALU_DEP_1) | instskip(SKIP_4) | instid1(VALU_DEP_1)
	v_mov_b32_e32 v181, v177
	ds_load_2addr_b64 v[176:179], v238 offset0:19 offset1:20
	v_pk_add_f32 v[108:109], v[108:109], v[180:181] neg_lo:[0,1] neg_hi:[0,1]
	s_wait_dscnt 0x0
	v_pk_mul_f32 v[180:181], v[176:177], v[174:175] op_sel:[0,1]
	v_pk_fma_f32 v[182:183], v[176:177], v[172:173], v[180:181] op_sel:[0,0,1] op_sel_hi:[1,1,0] neg_lo:[0,0,1] neg_hi:[0,0,1]
	v_pk_fma_f32 v[176:177], v[176:177], v[172:173], v[180:181] op_sel:[0,0,1] op_sel_hi:[1,0,0]
	v_dual_mul_f32 v180, v179, v175 :: v_dual_mov_b32 v176, v179
	s_delay_alu instid0(VALU_DEP_2) | instskip(NEXT) | instid1(VALU_DEP_2)
	v_dual_mov_b32 v183, v177 :: v_dual_mov_b32 v177, v178
	v_pk_fma_f32 v[180:181], v[178:179], v[26:27], v[180:181] op_sel_hi:[1,1,0] neg_lo:[0,0,1] neg_hi:[0,0,1]
	v_mul_f32_e32 v178, v179, v172
	s_delay_alu instid0(VALU_DEP_3) | instskip(NEXT) | instid1(VALU_DEP_2)
	v_pk_add_f32 v[86:87], v[86:87], v[182:183] neg_lo:[0,1] neg_hi:[0,1]
	v_pk_fma_f32 v[176:177], v[176:177], v[26:27], v[178:179] op_sel_hi:[1,1,0]
	s_delay_alu instid0(VALU_DEP_1) | instskip(SKIP_4) | instid1(VALU_DEP_1)
	v_mov_b32_e32 v181, v177
	ds_load_2addr_b64 v[176:179], v238 offset0:21 offset1:22
	v_pk_add_f32 v[136:137], v[136:137], v[180:181] neg_lo:[0,1] neg_hi:[0,1]
	s_wait_dscnt 0x0
	v_pk_mul_f32 v[180:181], v[176:177], v[174:175] op_sel:[0,1]
	v_pk_fma_f32 v[182:183], v[176:177], v[172:173], v[180:181] op_sel:[0,0,1] op_sel_hi:[1,1,0] neg_lo:[0,0,1] neg_hi:[0,0,1]
	v_pk_fma_f32 v[176:177], v[176:177], v[172:173], v[180:181] op_sel:[0,0,1] op_sel_hi:[1,0,0]
	s_delay_alu instid0(VALU_DEP_1) | instskip(SKIP_1) | instid1(VALU_DEP_1)
	v_mov_b32_e32 v183, v177
	v_pk_mul_f32 v[176:177], v[178:179], v[174:175] op_sel:[0,1]
	v_pk_fma_f32 v[180:181], v[178:179], v[172:173], v[176:177] op_sel:[0,0,1] op_sel_hi:[1,1,0] neg_lo:[0,0,1] neg_hi:[0,0,1]
	v_pk_fma_f32 v[176:177], v[178:179], v[172:173], v[176:177] op_sel:[0,0,1] op_sel_hi:[1,0,0]
	s_delay_alu instid0(VALU_DEP_1)
	v_mov_b32_e32 v181, v177
	ds_load_2addr_b64 v[176:179], v238 offset0:23 offset1:24
	v_pk_add_f32 v[132:133], v[132:133], v[182:183] neg_lo:[0,1] neg_hi:[0,1]
	v_pk_add_f32 v[134:135], v[134:135], v[180:181] neg_lo:[0,1] neg_hi:[0,1]
	s_wait_dscnt 0x0
	v_pk_mul_f32 v[180:181], v[176:177], v[174:175] op_sel:[0,1]
	s_delay_alu instid0(VALU_DEP_1) | instskip(SKIP_1) | instid1(VALU_DEP_1)
	v_pk_fma_f32 v[182:183], v[176:177], v[172:173], v[180:181] op_sel:[0,0,1] op_sel_hi:[1,1,0] neg_lo:[0,0,1] neg_hi:[0,0,1]
	v_pk_fma_f32 v[176:177], v[176:177], v[172:173], v[180:181] op_sel:[0,0,1] op_sel_hi:[1,0,0]
	v_mov_b32_e32 v183, v177
	v_pk_mul_f32 v[176:177], v[178:179], v[174:175] op_sel:[0,1]
	s_delay_alu instid0(VALU_DEP_1) | instskip(SKIP_1) | instid1(VALU_DEP_1)
	v_pk_fma_f32 v[180:181], v[178:179], v[172:173], v[176:177] op_sel:[0,0,1] op_sel_hi:[1,1,0] neg_lo:[0,0,1] neg_hi:[0,0,1]
	v_pk_fma_f32 v[176:177], v[178:179], v[172:173], v[176:177] op_sel:[0,0,1] op_sel_hi:[1,0,0]
	v_mov_b32_e32 v181, v177
	ds_load_2addr_b64 v[176:179], v238 offset0:25 offset1:26
	v_pk_add_f32 v[104:105], v[104:105], v[182:183] neg_lo:[0,1] neg_hi:[0,1]
	v_pk_add_f32 v[150:151], v[150:151], v[180:181] neg_lo:[0,1] neg_hi:[0,1]
	s_wait_dscnt 0x0
	v_dual_mul_f32 v180, v177, v175 :: v_dual_mul_f32 v182, v177, v172
	s_delay_alu instid0(VALU_DEP_1) | instskip(NEXT) | instid1(VALU_DEP_2)
	v_pk_fma_f32 v[180:181], v[176:177], v[26:27], v[180:181] op_sel_hi:[1,1,0] neg_lo:[0,0,1] neg_hi:[0,0,1]
	v_pk_fma_f32 v[176:177], v[176:177], v[26:27], v[182:183] op_sel:[1,0,0] op_sel_hi:[0,1,0]
	s_delay_alu instid0(VALU_DEP_1) | instskip(SKIP_1) | instid1(VALU_DEP_2)
	v_mov_b32_e32 v181, v177
	v_pk_mul_f32 v[176:177], v[178:179], v[174:175] op_sel:[0,1]
	v_pk_add_f32 v[146:147], v[146:147], v[180:181] neg_lo:[0,1] neg_hi:[0,1]
	s_delay_alu instid0(VALU_DEP_2) | instskip(SKIP_1) | instid1(VALU_DEP_1)
	v_pk_fma_f32 v[180:181], v[178:179], v[172:173], v[176:177] op_sel:[0,0,1] op_sel_hi:[1,1,0] neg_lo:[0,0,1] neg_hi:[0,0,1]
	v_pk_fma_f32 v[176:177], v[178:179], v[172:173], v[176:177] op_sel:[0,0,1] op_sel_hi:[1,0,0]
	v_mov_b32_e32 v181, v177
	ds_load_2addr_b64 v[176:179], v238 offset0:27 offset1:28
	v_pk_add_f32 v[148:149], v[148:149], v[180:181] neg_lo:[0,1] neg_hi:[0,1]
	s_wait_dscnt 0x0
	v_pk_mul_f32 v[180:181], v[176:177], v[174:175] op_sel:[0,1]
	s_delay_alu instid0(VALU_DEP_1) | instskip(SKIP_1) | instid1(VALU_DEP_1)
	v_pk_fma_f32 v[182:183], v[176:177], v[172:173], v[180:181] op_sel:[0,0,1] op_sel_hi:[1,1,0] neg_lo:[0,0,1] neg_hi:[0,0,1]
	v_pk_fma_f32 v[176:177], v[176:177], v[172:173], v[180:181] op_sel:[0,0,1] op_sel_hi:[1,0,0]
	v_mov_b32_e32 v183, v177
	v_pk_mul_f32 v[176:177], v[178:179], v[174:175] op_sel:[0,1]
	s_delay_alu instid0(VALU_DEP_2) | instskip(NEXT) | instid1(VALU_DEP_2)
	v_pk_add_f32 v[94:95], v[94:95], v[182:183] neg_lo:[0,1] neg_hi:[0,1]
	v_pk_fma_f32 v[180:181], v[178:179], v[172:173], v[176:177] op_sel:[0,0,1] op_sel_hi:[1,1,0] neg_lo:[0,0,1] neg_hi:[0,0,1]
	v_pk_fma_f32 v[176:177], v[178:179], v[172:173], v[176:177] op_sel:[0,0,1] op_sel_hi:[1,0,0]
	s_delay_alu instid0(VALU_DEP_1) | instskip(SKIP_4) | instid1(VALU_DEP_1)
	v_mov_b32_e32 v181, v177
	ds_load_2addr_b64 v[176:179], v238 offset0:29 offset1:30
	v_pk_add_f32 v[120:121], v[120:121], v[180:181] neg_lo:[0,1] neg_hi:[0,1]
	s_wait_dscnt 0x0
	v_pk_mul_f32 v[180:181], v[176:177], v[174:175] op_sel:[0,1]
	v_pk_fma_f32 v[182:183], v[176:177], v[172:173], v[180:181] op_sel:[0,0,1] op_sel_hi:[1,1,0] neg_lo:[0,0,1] neg_hi:[0,0,1]
	v_pk_fma_f32 v[176:177], v[176:177], v[172:173], v[180:181] op_sel:[0,0,1] op_sel_hi:[1,0,0]
	v_dual_mul_f32 v180, v179, v175 :: v_dual_mov_b32 v176, v179
	s_delay_alu instid0(VALU_DEP_2) | instskip(NEXT) | instid1(VALU_DEP_2)
	v_dual_mov_b32 v183, v177 :: v_dual_mov_b32 v177, v178
	v_pk_fma_f32 v[180:181], v[178:179], v[26:27], v[180:181] op_sel_hi:[1,1,0] neg_lo:[0,0,1] neg_hi:[0,0,1]
	v_mul_f32_e32 v178, v179, v172
	s_delay_alu instid0(VALU_DEP_3) | instskip(NEXT) | instid1(VALU_DEP_2)
	v_pk_add_f32 v[116:117], v[116:117], v[182:183] neg_lo:[0,1] neg_hi:[0,1]
	v_pk_fma_f32 v[176:177], v[176:177], v[26:27], v[178:179] op_sel_hi:[1,1,0]
	s_delay_alu instid0(VALU_DEP_1) | instskip(SKIP_4) | instid1(VALU_DEP_1)
	v_mov_b32_e32 v181, v177
	ds_load_2addr_b64 v[176:179], v238 offset0:31 offset1:32
	v_pk_add_f32 v[118:119], v[118:119], v[180:181] neg_lo:[0,1] neg_hi:[0,1]
	s_wait_dscnt 0x0
	v_pk_mul_f32 v[180:181], v[176:177], v[174:175] op_sel:[0,1]
	v_pk_fma_f32 v[182:183], v[176:177], v[172:173], v[180:181] op_sel:[0,0,1] op_sel_hi:[1,1,0] neg_lo:[0,0,1] neg_hi:[0,0,1]
	v_pk_fma_f32 v[176:177], v[176:177], v[172:173], v[180:181] op_sel:[0,0,1] op_sel_hi:[1,0,0]
	s_delay_alu instid0(VALU_DEP_1) | instskip(SKIP_1) | instid1(VALU_DEP_1)
	v_mov_b32_e32 v183, v177
	v_pk_mul_f32 v[176:177], v[178:179], v[174:175] op_sel:[0,1]
	v_pk_fma_f32 v[180:181], v[178:179], v[172:173], v[176:177] op_sel:[0,0,1] op_sel_hi:[1,1,0] neg_lo:[0,0,1] neg_hi:[0,0,1]
	v_pk_fma_f32 v[176:177], v[178:179], v[172:173], v[176:177] op_sel:[0,0,1] op_sel_hi:[1,0,0]
	s_delay_alu instid0(VALU_DEP_1)
	v_mov_b32_e32 v181, v177
	ds_load_2addr_b64 v[176:179], v238 offset0:33 offset1:34
	v_pk_add_f32 v[114:115], v[114:115], v[182:183] neg_lo:[0,1] neg_hi:[0,1]
	v_pk_add_f32 v[142:143], v[142:143], v[180:181] neg_lo:[0,1] neg_hi:[0,1]
	s_wait_dscnt 0x0
	v_pk_mul_f32 v[180:181], v[176:177], v[174:175] op_sel:[0,1]
	s_delay_alu instid0(VALU_DEP_1) | instskip(SKIP_1) | instid1(VALU_DEP_1)
	v_pk_fma_f32 v[182:183], v[176:177], v[172:173], v[180:181] op_sel:[0,0,1] op_sel_hi:[1,1,0] neg_lo:[0,0,1] neg_hi:[0,0,1]
	v_pk_fma_f32 v[176:177], v[176:177], v[172:173], v[180:181] op_sel:[0,0,1] op_sel_hi:[1,0,0]
	v_mov_b32_e32 v183, v177
	v_pk_mul_f32 v[176:177], v[178:179], v[174:175] op_sel:[0,1]
	s_delay_alu instid0(VALU_DEP_1) | instskip(SKIP_1) | instid1(VALU_DEP_1)
	v_pk_fma_f32 v[180:181], v[178:179], v[172:173], v[176:177] op_sel:[0,0,1] op_sel_hi:[1,1,0] neg_lo:[0,0,1] neg_hi:[0,0,1]
	v_pk_fma_f32 v[176:177], v[178:179], v[172:173], v[176:177] op_sel:[0,0,1] op_sel_hi:[1,0,0]
	v_mov_b32_e32 v181, v177
	ds_load_2addr_b64 v[176:179], v238 offset0:35 offset1:36
	v_pk_add_f32 v[138:139], v[138:139], v[182:183] neg_lo:[0,1] neg_hi:[0,1]
	v_pk_add_f32 v[140:141], v[140:141], v[180:181] neg_lo:[0,1] neg_hi:[0,1]
	s_wait_dscnt 0x0
	v_dual_mul_f32 v180, v177, v175 :: v_dual_mul_f32 v182, v177, v172
	s_delay_alu instid0(VALU_DEP_1) | instskip(NEXT) | instid1(VALU_DEP_2)
	v_pk_fma_f32 v[180:181], v[176:177], v[26:27], v[180:181] op_sel_hi:[1,1,0] neg_lo:[0,0,1] neg_hi:[0,0,1]
	v_pk_fma_f32 v[176:177], v[176:177], v[26:27], v[182:183] op_sel:[1,0,0] op_sel_hi:[0,1,0]
	s_delay_alu instid0(VALU_DEP_1) | instskip(SKIP_1) | instid1(VALU_DEP_2)
	v_mov_b32_e32 v181, v177
	v_pk_mul_f32 v[176:177], v[178:179], v[174:175] op_sel:[0,1]
	v_pk_add_f32 v[154:155], v[154:155], v[180:181] neg_lo:[0,1] neg_hi:[0,1]
	s_delay_alu instid0(VALU_DEP_2) | instskip(SKIP_1) | instid1(VALU_DEP_1)
	v_pk_fma_f32 v[180:181], v[178:179], v[172:173], v[176:177] op_sel:[0,0,1] op_sel_hi:[1,1,0] neg_lo:[0,0,1] neg_hi:[0,0,1]
	v_pk_fma_f32 v[176:177], v[178:179], v[172:173], v[176:177] op_sel:[0,0,1] op_sel_hi:[1,0,0]
	v_mov_b32_e32 v181, v177
	ds_load_2addr_b64 v[176:179], v238 offset0:37 offset1:38
	v_pk_add_f32 v[152:153], v[152:153], v[180:181] neg_lo:[0,1] neg_hi:[0,1]
	s_wait_dscnt 0x0
	v_pk_mul_f32 v[180:181], v[176:177], v[174:175] op_sel:[0,1]
	v_pk_mul_f32 v[174:175], v[178:179], v[174:175] op_sel:[0,1]
	s_delay_alu instid0(VALU_DEP_2) | instskip(SKIP_1) | instid1(VALU_DEP_1)
	v_pk_fma_f32 v[182:183], v[176:177], v[172:173], v[180:181] op_sel:[0,0,1] op_sel_hi:[1,1,0] neg_lo:[0,0,1] neg_hi:[0,0,1]
	v_pk_fma_f32 v[176:177], v[176:177], v[172:173], v[180:181] op_sel:[0,0,1] op_sel_hi:[1,0,0]
	v_mov_b32_e32 v183, v177
	s_delay_alu instid0(VALU_DEP_4) | instskip(SKIP_1) | instid1(VALU_DEP_3)
	v_pk_fma_f32 v[176:177], v[178:179], v[172:173], v[174:175] op_sel:[0,0,1] op_sel_hi:[1,1,0] neg_lo:[0,0,1] neg_hi:[0,0,1]
	v_pk_fma_f32 v[172:173], v[178:179], v[172:173], v[174:175] op_sel:[0,0,1] op_sel_hi:[1,0,0]
	v_pk_add_f32 v[144:145], v[144:145], v[182:183] neg_lo:[0,1] neg_hi:[0,1]
	s_delay_alu instid0(VALU_DEP_2) | instskip(NEXT) | instid1(VALU_DEP_1)
	v_mov_b32_e32 v177, v173
	v_pk_add_f32 v[156:157], v[156:157], v[176:177] neg_lo:[0,1] neg_hi:[0,1]
.LBB77_64:
	s_or_b32 exec_lo, exec_lo, s1
	s_delay_alu instid0(SALU_CYCLE_1)
	s_mov_b32 s2, exec_lo
	s_wait_dscnt 0x0
	s_barrier_signal -1
	s_barrier_wait -1
	v_cmpx_eq_u32_e32 7, v236
	s_cbranch_execz .LBB77_71
; %bb.65:
	v_dual_mov_b32 v172, v36 :: v_dual_mov_b32 v173, v37
	v_dual_mov_b32 v174, v74 :: v_dual_mov_b32 v175, v75
	ds_store_b64 v237, v[22:23]
	ds_store_2addr_b64 v238, v[172:173], v[174:175] offset0:8 offset1:9
	v_dual_mov_b32 v172, v76 :: v_dual_mov_b32 v173, v77
	v_dual_mov_b32 v174, v72 :: v_dual_mov_b32 v175, v73
	ds_store_2addr_b64 v238, v[172:173], v[174:175] offset0:10 offset1:11
	v_dual_mov_b32 v172, v92 :: v_dual_mov_b32 v173, v93
	v_dual_mov_b32 v174, v88 :: v_dual_mov_b32 v175, v89
	;; [unrolled: 3-line block ×14, first 2 shown]
	ds_store_2addr_b64 v238, v[172:173], v[174:175] offset0:36 offset1:37
	ds_store_b64 v238, v[156:157] offset:304
	ds_load_b64 v[172:173], v237
	s_wait_dscnt 0x0
	v_cmp_neq_f32_e32 vcc_lo, 0, v172
	v_cmp_neq_f32_e64 s1, 0, v173
	s_or_b32 s1, vcc_lo, s1
	s_delay_alu instid0(SALU_CYCLE_1)
	s_and_b32 exec_lo, exec_lo, s1
	s_cbranch_execz .LBB77_71
; %bb.66:
	v_cmp_ngt_f32_e64 s1, |v172|, |v173|
                                        ; implicit-def: $vgpr174_vgpr175
	s_and_saveexec_b32 s4, s1
	s_delay_alu instid0(SALU_CYCLE_1)
	s_xor_b32 s1, exec_lo, s4
	s_cbranch_execz .LBB77_68
; %bb.67:
	v_div_scale_f32 v0, null, v173, v173, v172
	v_div_scale_f32 v175, vcc_lo, v172, v173, v172
	s_delay_alu instid0(VALU_DEP_2) | instskip(SKIP_1) | instid1(TRANS32_DEP_1)
	v_rcp_f32_e32 v1, v0
	v_nop
	v_fma_f32 v174, -v0, v1, 1.0
	s_delay_alu instid0(VALU_DEP_1) | instskip(NEXT) | instid1(VALU_DEP_1)
	v_fmac_f32_e32 v1, v174, v1
	v_mul_f32_e32 v174, v175, v1
	s_delay_alu instid0(VALU_DEP_1) | instskip(NEXT) | instid1(VALU_DEP_1)
	v_fma_f32 v176, -v0, v174, v175
	v_fmac_f32_e32 v174, v176, v1
	s_delay_alu instid0(VALU_DEP_1) | instskip(NEXT) | instid1(VALU_DEP_1)
	v_fma_f32 v0, -v0, v174, v175
	v_div_fmas_f32 v0, v0, v1, v174
	s_delay_alu instid0(VALU_DEP_1) | instskip(NEXT) | instid1(VALU_DEP_1)
	v_div_fixup_f32 v0, v0, v173, v172
	v_fmac_f32_e32 v173, v172, v0
	s_delay_alu instid0(VALU_DEP_1) | instskip(SKIP_1) | instid1(VALU_DEP_2)
	v_div_scale_f32 v1, null, v173, v173, 1.0
	v_div_scale_f32 v175, vcc_lo, 1.0, v173, 1.0
	v_rcp_f32_e32 v172, v1
	v_nop
	s_delay_alu instid0(TRANS32_DEP_1) | instskip(NEXT) | instid1(VALU_DEP_1)
	v_fma_f32 v174, -v1, v172, 1.0
	v_fmac_f32_e32 v172, v174, v172
	s_delay_alu instid0(VALU_DEP_1) | instskip(NEXT) | instid1(VALU_DEP_1)
	v_mul_f32_e32 v174, v175, v172
	v_fma_f32 v176, -v1, v174, v175
	s_delay_alu instid0(VALU_DEP_1) | instskip(NEXT) | instid1(VALU_DEP_1)
	v_fmac_f32_e32 v174, v176, v172
	v_fma_f32 v1, -v1, v174, v175
	s_delay_alu instid0(VALU_DEP_1) | instskip(NEXT) | instid1(VALU_DEP_1)
	v_div_fmas_f32 v1, v1, v172, v174
	v_div_fixup_f32 v1, v1, v173, 1.0
                                        ; implicit-def: $vgpr172_vgpr173
	s_delay_alu instid0(VALU_DEP_1)
	v_mul_f32_e32 v174, v0, v1
	v_xor_b32_e32 v175, 0x80000000, v1
.LBB77_68:
	s_and_not1_saveexec_b32 s1, s1
	s_cbranch_execz .LBB77_70
; %bb.69:
	v_div_scale_f32 v0, null, v172, v172, v173
	v_div_scale_f32 v175, vcc_lo, v173, v172, v173
	s_delay_alu instid0(VALU_DEP_2) | instskip(SKIP_1) | instid1(TRANS32_DEP_1)
	v_rcp_f32_e32 v1, v0
	v_nop
	v_fma_f32 v174, -v0, v1, 1.0
	s_delay_alu instid0(VALU_DEP_1) | instskip(NEXT) | instid1(VALU_DEP_1)
	v_fmac_f32_e32 v1, v174, v1
	v_mul_f32_e32 v174, v175, v1
	s_delay_alu instid0(VALU_DEP_1) | instskip(NEXT) | instid1(VALU_DEP_1)
	v_fma_f32 v176, -v0, v174, v175
	v_fmac_f32_e32 v174, v176, v1
	s_delay_alu instid0(VALU_DEP_1) | instskip(NEXT) | instid1(VALU_DEP_1)
	v_fma_f32 v0, -v0, v174, v175
	v_div_fmas_f32 v0, v0, v1, v174
	s_delay_alu instid0(VALU_DEP_1) | instskip(NEXT) | instid1(VALU_DEP_1)
	v_div_fixup_f32 v0, v0, v172, v173
	v_fmac_f32_e32 v172, v173, v0
	s_delay_alu instid0(VALU_DEP_1) | instskip(NEXT) | instid1(VALU_DEP_1)
	v_div_scale_f32 v1, null, v172, v172, 1.0
	v_rcp_f32_e32 v173, v1
	v_nop
	s_delay_alu instid0(TRANS32_DEP_1) | instskip(NEXT) | instid1(VALU_DEP_1)
	v_fma_f32 v174, -v1, v173, 1.0
	v_fmac_f32_e32 v173, v174, v173
	v_div_scale_f32 v174, vcc_lo, 1.0, v172, 1.0
	s_delay_alu instid0(VALU_DEP_1) | instskip(NEXT) | instid1(VALU_DEP_1)
	v_mul_f32_e32 v175, v174, v173
	v_fma_f32 v176, -v1, v175, v174
	s_delay_alu instid0(VALU_DEP_1) | instskip(NEXT) | instid1(VALU_DEP_1)
	v_fmac_f32_e32 v175, v176, v173
	v_fma_f32 v1, -v1, v175, v174
	s_delay_alu instid0(VALU_DEP_1) | instskip(NEXT) | instid1(VALU_DEP_1)
	v_div_fmas_f32 v1, v1, v173, v175
	v_div_fixup_f32 v174, v1, v172, 1.0
	s_delay_alu instid0(VALU_DEP_1)
	v_mul_f32_e64 v175, v0, -v174
.LBB77_70:
	s_or_b32 exec_lo, exec_lo, s1
	ds_store_b64 v237, v[174:175]
.LBB77_71:
	s_or_b32 exec_lo, exec_lo, s2
	s_wait_dscnt 0x0
	s_barrier_signal -1
	s_barrier_wait -1
	ds_load_b64 v[172:173], v237
	s_mov_b32 s1, exec_lo
	v_cmpx_lt_u32_e32 7, v236
	s_cbranch_execz .LBB77_73
; %bb.72:
	ds_load_2addr_b64 v[178:181], v238 offset0:8 offset1:9
	s_wait_dscnt 0x1
	v_pk_mul_f32 v[176:177], v[172:173], v[22:23] op_sel:[1,1] op_sel_hi:[0,1]
	s_delay_alu instid0(VALU_DEP_1) | instskip(SKIP_1) | instid1(VALU_DEP_1)
	v_pk_fma_f32 v[174:175], v[172:173], v[22:23], v[176:177] op_sel_hi:[1,0,1] neg_lo:[0,0,1] neg_hi:[0,0,1]
	v_pk_fma_f32 v[176:177], v[172:173], v[22:23], v[176:177] op_sel_hi:[1,0,1]
	v_dual_mov_b32 v22, v174 :: v_dual_mov_b32 v23, v177
	s_wait_dscnt 0x0
	s_delay_alu instid0(VALU_DEP_2) | instskip(NEXT) | instid1(VALU_DEP_1)
	v_pk_mul_f32 v[182:183], v[178:179], v[176:177] op_sel:[0,1]
	v_pk_fma_f32 v[184:185], v[178:179], v[174:175], v[182:183] op_sel:[0,0,1] op_sel_hi:[1,1,0] neg_lo:[0,0,1] neg_hi:[0,0,1]
	v_pk_fma_f32 v[178:179], v[178:179], v[174:175], v[182:183] op_sel:[0,0,1] op_sel_hi:[1,0,0]
	s_delay_alu instid0(VALU_DEP_1) | instskip(SKIP_1) | instid1(VALU_DEP_1)
	v_mov_b32_e32 v185, v179
	v_pk_mul_f32 v[178:179], v[180:181], v[176:177] op_sel:[0,1]
	v_pk_fma_f32 v[182:183], v[180:181], v[174:175], v[178:179] op_sel:[0,0,1] op_sel_hi:[1,1,0] neg_lo:[0,0,1] neg_hi:[0,0,1]
	v_pk_fma_f32 v[178:179], v[180:181], v[174:175], v[178:179] op_sel:[0,0,1] op_sel_hi:[1,0,0]
	s_delay_alu instid0(VALU_DEP_1)
	v_mov_b32_e32 v183, v179
	ds_load_2addr_b64 v[178:181], v238 offset0:10 offset1:11
	v_pk_add_f32 v[36:37], v[36:37], v[184:185] neg_lo:[0,1] neg_hi:[0,1]
	v_pk_add_f32 v[74:75], v[74:75], v[182:183] neg_lo:[0,1] neg_hi:[0,1]
	s_wait_dscnt 0x0
	v_pk_mul_f32 v[182:183], v[178:179], v[176:177] op_sel:[0,1]
	s_delay_alu instid0(VALU_DEP_1) | instskip(SKIP_2) | instid1(VALU_DEP_2)
	v_pk_fma_f32 v[184:185], v[178:179], v[174:175], v[182:183] op_sel:[0,0,1] op_sel_hi:[1,1,0] neg_lo:[0,0,1] neg_hi:[0,0,1]
	v_pk_fma_f32 v[178:179], v[178:179], v[174:175], v[182:183] op_sel:[0,0,1] op_sel_hi:[1,0,0]
	v_dual_mul_f32 v182, v181, v177 :: v_dual_mov_b32 v178, v181
	v_dual_mov_b32 v185, v179 :: v_dual_mov_b32 v179, v180
	s_delay_alu instid0(VALU_DEP_2) | instskip(SKIP_1) | instid1(VALU_DEP_3)
	v_pk_fma_f32 v[182:183], v[180:181], v[22:23], v[182:183] op_sel_hi:[1,1,0] neg_lo:[0,0,1] neg_hi:[0,0,1]
	v_mul_f32_e32 v180, v181, v174
	v_pk_add_f32 v[76:77], v[76:77], v[184:185] neg_lo:[0,1] neg_hi:[0,1]
	s_delay_alu instid0(VALU_DEP_2) | instskip(NEXT) | instid1(VALU_DEP_1)
	v_pk_fma_f32 v[178:179], v[178:179], v[22:23], v[180:181] op_sel_hi:[1,1,0]
	v_mov_b32_e32 v183, v179
	ds_load_2addr_b64 v[178:181], v238 offset0:12 offset1:13
	v_pk_add_f32 v[72:73], v[72:73], v[182:183] neg_lo:[0,1] neg_hi:[0,1]
	s_wait_dscnt 0x0
	v_pk_mul_f32 v[182:183], v[178:179], v[176:177] op_sel:[0,1]
	s_delay_alu instid0(VALU_DEP_1) | instskip(SKIP_1) | instid1(VALU_DEP_1)
	v_pk_fma_f32 v[184:185], v[178:179], v[174:175], v[182:183] op_sel:[0,0,1] op_sel_hi:[1,1,0] neg_lo:[0,0,1] neg_hi:[0,0,1]
	v_pk_fma_f32 v[178:179], v[178:179], v[174:175], v[182:183] op_sel:[0,0,1] op_sel_hi:[1,0,0]
	v_mov_b32_e32 v185, v179
	v_pk_mul_f32 v[178:179], v[180:181], v[176:177] op_sel:[0,1]
	s_delay_alu instid0(VALU_DEP_1) | instskip(SKIP_1) | instid1(VALU_DEP_1)
	v_pk_fma_f32 v[182:183], v[180:181], v[174:175], v[178:179] op_sel:[0,0,1] op_sel_hi:[1,1,0] neg_lo:[0,0,1] neg_hi:[0,0,1]
	v_pk_fma_f32 v[178:179], v[180:181], v[174:175], v[178:179] op_sel:[0,0,1] op_sel_hi:[1,0,0]
	v_mov_b32_e32 v183, v179
	ds_load_2addr_b64 v[178:181], v238 offset0:14 offset1:15
	v_pk_add_f32 v[92:93], v[92:93], v[184:185] neg_lo:[0,1] neg_hi:[0,1]
	v_pk_add_f32 v[88:89], v[88:89], v[182:183] neg_lo:[0,1] neg_hi:[0,1]
	s_wait_dscnt 0x0
	v_pk_mul_f32 v[182:183], v[178:179], v[176:177] op_sel:[0,1]
	s_delay_alu instid0(VALU_DEP_1) | instskip(SKIP_1) | instid1(VALU_DEP_1)
	v_pk_fma_f32 v[184:185], v[178:179], v[174:175], v[182:183] op_sel:[0,0,1] op_sel_hi:[1,1,0] neg_lo:[0,0,1] neg_hi:[0,0,1]
	v_pk_fma_f32 v[178:179], v[178:179], v[174:175], v[182:183] op_sel:[0,0,1] op_sel_hi:[1,0,0]
	v_mov_b32_e32 v185, v179
	v_pk_mul_f32 v[178:179], v[180:181], v[176:177] op_sel:[0,1]
	s_delay_alu instid0(VALU_DEP_1) | instskip(SKIP_1) | instid1(VALU_DEP_1)
	v_pk_fma_f32 v[182:183], v[180:181], v[174:175], v[178:179] op_sel:[0,0,1] op_sel_hi:[1,1,0] neg_lo:[0,0,1] neg_hi:[0,0,1]
	v_pk_fma_f32 v[178:179], v[180:181], v[174:175], v[178:179] op_sel:[0,0,1] op_sel_hi:[1,0,0]
	v_mov_b32_e32 v183, v179
	ds_load_2addr_b64 v[178:181], v238 offset0:16 offset1:17
	v_pk_add_f32 v[90:91], v[90:91], v[184:185] neg_lo:[0,1] neg_hi:[0,1]
	v_pk_add_f32 v[70:71], v[70:71], v[182:183] neg_lo:[0,1] neg_hi:[0,1]
	s_wait_dscnt 0x0
	v_dual_mul_f32 v182, v179, v177 :: v_dual_mul_f32 v184, v179, v174
	s_delay_alu instid0(VALU_DEP_1) | instskip(NEXT) | instid1(VALU_DEP_2)
	v_pk_fma_f32 v[182:183], v[178:179], v[22:23], v[182:183] op_sel_hi:[1,1,0] neg_lo:[0,0,1] neg_hi:[0,0,1]
	v_pk_fma_f32 v[178:179], v[178:179], v[22:23], v[184:185] op_sel:[1,0,0] op_sel_hi:[0,1,0]
	s_delay_alu instid0(VALU_DEP_1) | instskip(SKIP_1) | instid1(VALU_DEP_2)
	v_mov_b32_e32 v183, v179
	v_pk_mul_f32 v[178:179], v[180:181], v[176:177] op_sel:[0,1]
	v_pk_add_f32 v[110:111], v[110:111], v[182:183] neg_lo:[0,1] neg_hi:[0,1]
	s_delay_alu instid0(VALU_DEP_2) | instskip(SKIP_1) | instid1(VALU_DEP_1)
	v_pk_fma_f32 v[182:183], v[180:181], v[174:175], v[178:179] op_sel:[0,0,1] op_sel_hi:[1,1,0] neg_lo:[0,0,1] neg_hi:[0,0,1]
	v_pk_fma_f32 v[178:179], v[180:181], v[174:175], v[178:179] op_sel:[0,0,1] op_sel_hi:[1,0,0]
	v_mov_b32_e32 v183, v179
	ds_load_2addr_b64 v[178:181], v238 offset0:18 offset1:19
	v_pk_add_f32 v[106:107], v[106:107], v[182:183] neg_lo:[0,1] neg_hi:[0,1]
	s_wait_dscnt 0x0
	v_pk_mul_f32 v[182:183], v[178:179], v[176:177] op_sel:[0,1]
	s_delay_alu instid0(VALU_DEP_1) | instskip(SKIP_1) | instid1(VALU_DEP_1)
	v_pk_fma_f32 v[184:185], v[178:179], v[174:175], v[182:183] op_sel:[0,0,1] op_sel_hi:[1,1,0] neg_lo:[0,0,1] neg_hi:[0,0,1]
	v_pk_fma_f32 v[178:179], v[178:179], v[174:175], v[182:183] op_sel:[0,0,1] op_sel_hi:[1,0,0]
	v_mov_b32_e32 v185, v179
	v_pk_mul_f32 v[178:179], v[180:181], v[176:177] op_sel:[0,1]
	s_delay_alu instid0(VALU_DEP_2) | instskip(NEXT) | instid1(VALU_DEP_2)
	v_pk_add_f32 v[108:109], v[108:109], v[184:185] neg_lo:[0,1] neg_hi:[0,1]
	v_pk_fma_f32 v[182:183], v[180:181], v[174:175], v[178:179] op_sel:[0,0,1] op_sel_hi:[1,1,0] neg_lo:[0,0,1] neg_hi:[0,0,1]
	v_pk_fma_f32 v[178:179], v[180:181], v[174:175], v[178:179] op_sel:[0,0,1] op_sel_hi:[1,0,0]
	s_delay_alu instid0(VALU_DEP_1) | instskip(SKIP_4) | instid1(VALU_DEP_1)
	v_mov_b32_e32 v183, v179
	ds_load_2addr_b64 v[178:181], v238 offset0:20 offset1:21
	v_pk_add_f32 v[86:87], v[86:87], v[182:183] neg_lo:[0,1] neg_hi:[0,1]
	s_wait_dscnt 0x0
	v_pk_mul_f32 v[182:183], v[178:179], v[176:177] op_sel:[0,1]
	v_pk_fma_f32 v[184:185], v[178:179], v[174:175], v[182:183] op_sel:[0,0,1] op_sel_hi:[1,1,0] neg_lo:[0,0,1] neg_hi:[0,0,1]
	v_pk_fma_f32 v[178:179], v[178:179], v[174:175], v[182:183] op_sel:[0,0,1] op_sel_hi:[1,0,0]
	v_dual_mul_f32 v182, v181, v177 :: v_dual_mov_b32 v178, v181
	s_delay_alu instid0(VALU_DEP_2) | instskip(NEXT) | instid1(VALU_DEP_2)
	v_dual_mov_b32 v185, v179 :: v_dual_mov_b32 v179, v180
	v_pk_fma_f32 v[182:183], v[180:181], v[22:23], v[182:183] op_sel_hi:[1,1,0] neg_lo:[0,0,1] neg_hi:[0,0,1]
	v_mul_f32_e32 v180, v181, v174
	s_delay_alu instid0(VALU_DEP_3) | instskip(NEXT) | instid1(VALU_DEP_2)
	v_pk_add_f32 v[136:137], v[136:137], v[184:185] neg_lo:[0,1] neg_hi:[0,1]
	v_pk_fma_f32 v[178:179], v[178:179], v[22:23], v[180:181] op_sel_hi:[1,1,0]
	s_delay_alu instid0(VALU_DEP_1) | instskip(SKIP_4) | instid1(VALU_DEP_1)
	v_mov_b32_e32 v183, v179
	ds_load_2addr_b64 v[178:181], v238 offset0:22 offset1:23
	v_pk_add_f32 v[132:133], v[132:133], v[182:183] neg_lo:[0,1] neg_hi:[0,1]
	s_wait_dscnt 0x0
	v_pk_mul_f32 v[182:183], v[178:179], v[176:177] op_sel:[0,1]
	v_pk_fma_f32 v[184:185], v[178:179], v[174:175], v[182:183] op_sel:[0,0,1] op_sel_hi:[1,1,0] neg_lo:[0,0,1] neg_hi:[0,0,1]
	v_pk_fma_f32 v[178:179], v[178:179], v[174:175], v[182:183] op_sel:[0,0,1] op_sel_hi:[1,0,0]
	s_delay_alu instid0(VALU_DEP_1) | instskip(SKIP_1) | instid1(VALU_DEP_1)
	v_mov_b32_e32 v185, v179
	v_pk_mul_f32 v[178:179], v[180:181], v[176:177] op_sel:[0,1]
	v_pk_fma_f32 v[182:183], v[180:181], v[174:175], v[178:179] op_sel:[0,0,1] op_sel_hi:[1,1,0] neg_lo:[0,0,1] neg_hi:[0,0,1]
	v_pk_fma_f32 v[178:179], v[180:181], v[174:175], v[178:179] op_sel:[0,0,1] op_sel_hi:[1,0,0]
	s_delay_alu instid0(VALU_DEP_1)
	v_mov_b32_e32 v183, v179
	ds_load_2addr_b64 v[178:181], v238 offset0:24 offset1:25
	v_pk_add_f32 v[134:135], v[134:135], v[184:185] neg_lo:[0,1] neg_hi:[0,1]
	v_pk_add_f32 v[104:105], v[104:105], v[182:183] neg_lo:[0,1] neg_hi:[0,1]
	s_wait_dscnt 0x0
	v_pk_mul_f32 v[182:183], v[178:179], v[176:177] op_sel:[0,1]
	s_delay_alu instid0(VALU_DEP_1) | instskip(SKIP_1) | instid1(VALU_DEP_1)
	v_pk_fma_f32 v[184:185], v[178:179], v[174:175], v[182:183] op_sel:[0,0,1] op_sel_hi:[1,1,0] neg_lo:[0,0,1] neg_hi:[0,0,1]
	v_pk_fma_f32 v[178:179], v[178:179], v[174:175], v[182:183] op_sel:[0,0,1] op_sel_hi:[1,0,0]
	v_mov_b32_e32 v185, v179
	v_pk_mul_f32 v[178:179], v[180:181], v[176:177] op_sel:[0,1]
	s_delay_alu instid0(VALU_DEP_1) | instskip(SKIP_1) | instid1(VALU_DEP_1)
	v_pk_fma_f32 v[182:183], v[180:181], v[174:175], v[178:179] op_sel:[0,0,1] op_sel_hi:[1,1,0] neg_lo:[0,0,1] neg_hi:[0,0,1]
	v_pk_fma_f32 v[178:179], v[180:181], v[174:175], v[178:179] op_sel:[0,0,1] op_sel_hi:[1,0,0]
	v_mov_b32_e32 v183, v179
	ds_load_2addr_b64 v[178:181], v238 offset0:26 offset1:27
	v_pk_add_f32 v[150:151], v[150:151], v[184:185] neg_lo:[0,1] neg_hi:[0,1]
	v_pk_add_f32 v[146:147], v[146:147], v[182:183] neg_lo:[0,1] neg_hi:[0,1]
	s_wait_dscnt 0x0
	v_dual_mul_f32 v182, v179, v177 :: v_dual_mul_f32 v184, v179, v174
	s_delay_alu instid0(VALU_DEP_1) | instskip(NEXT) | instid1(VALU_DEP_2)
	v_pk_fma_f32 v[182:183], v[178:179], v[22:23], v[182:183] op_sel_hi:[1,1,0] neg_lo:[0,0,1] neg_hi:[0,0,1]
	v_pk_fma_f32 v[178:179], v[178:179], v[22:23], v[184:185] op_sel:[1,0,0] op_sel_hi:[0,1,0]
	s_delay_alu instid0(VALU_DEP_1) | instskip(SKIP_1) | instid1(VALU_DEP_2)
	v_mov_b32_e32 v183, v179
	v_pk_mul_f32 v[178:179], v[180:181], v[176:177] op_sel:[0,1]
	v_pk_add_f32 v[148:149], v[148:149], v[182:183] neg_lo:[0,1] neg_hi:[0,1]
	s_delay_alu instid0(VALU_DEP_2) | instskip(SKIP_1) | instid1(VALU_DEP_1)
	v_pk_fma_f32 v[182:183], v[180:181], v[174:175], v[178:179] op_sel:[0,0,1] op_sel_hi:[1,1,0] neg_lo:[0,0,1] neg_hi:[0,0,1]
	v_pk_fma_f32 v[178:179], v[180:181], v[174:175], v[178:179] op_sel:[0,0,1] op_sel_hi:[1,0,0]
	v_mov_b32_e32 v183, v179
	ds_load_2addr_b64 v[178:181], v238 offset0:28 offset1:29
	v_pk_add_f32 v[94:95], v[94:95], v[182:183] neg_lo:[0,1] neg_hi:[0,1]
	s_wait_dscnt 0x0
	v_pk_mul_f32 v[182:183], v[178:179], v[176:177] op_sel:[0,1]
	s_delay_alu instid0(VALU_DEP_1) | instskip(SKIP_1) | instid1(VALU_DEP_1)
	v_pk_fma_f32 v[184:185], v[178:179], v[174:175], v[182:183] op_sel:[0,0,1] op_sel_hi:[1,1,0] neg_lo:[0,0,1] neg_hi:[0,0,1]
	v_pk_fma_f32 v[178:179], v[178:179], v[174:175], v[182:183] op_sel:[0,0,1] op_sel_hi:[1,0,0]
	v_mov_b32_e32 v185, v179
	v_pk_mul_f32 v[178:179], v[180:181], v[176:177] op_sel:[0,1]
	s_delay_alu instid0(VALU_DEP_2) | instskip(NEXT) | instid1(VALU_DEP_2)
	v_pk_add_f32 v[120:121], v[120:121], v[184:185] neg_lo:[0,1] neg_hi:[0,1]
	v_pk_fma_f32 v[182:183], v[180:181], v[174:175], v[178:179] op_sel:[0,0,1] op_sel_hi:[1,1,0] neg_lo:[0,0,1] neg_hi:[0,0,1]
	v_pk_fma_f32 v[178:179], v[180:181], v[174:175], v[178:179] op_sel:[0,0,1] op_sel_hi:[1,0,0]
	s_delay_alu instid0(VALU_DEP_1) | instskip(SKIP_4) | instid1(VALU_DEP_1)
	v_mov_b32_e32 v183, v179
	ds_load_2addr_b64 v[178:181], v238 offset0:30 offset1:31
	v_pk_add_f32 v[116:117], v[116:117], v[182:183] neg_lo:[0,1] neg_hi:[0,1]
	s_wait_dscnt 0x0
	v_pk_mul_f32 v[182:183], v[178:179], v[176:177] op_sel:[0,1]
	v_pk_fma_f32 v[184:185], v[178:179], v[174:175], v[182:183] op_sel:[0,0,1] op_sel_hi:[1,1,0] neg_lo:[0,0,1] neg_hi:[0,0,1]
	v_pk_fma_f32 v[178:179], v[178:179], v[174:175], v[182:183] op_sel:[0,0,1] op_sel_hi:[1,0,0]
	v_dual_mul_f32 v182, v181, v177 :: v_dual_mov_b32 v178, v181
	s_delay_alu instid0(VALU_DEP_2) | instskip(NEXT) | instid1(VALU_DEP_2)
	v_dual_mov_b32 v185, v179 :: v_dual_mov_b32 v179, v180
	v_pk_fma_f32 v[182:183], v[180:181], v[22:23], v[182:183] op_sel_hi:[1,1,0] neg_lo:[0,0,1] neg_hi:[0,0,1]
	v_mul_f32_e32 v180, v181, v174
	s_delay_alu instid0(VALU_DEP_3) | instskip(NEXT) | instid1(VALU_DEP_2)
	v_pk_add_f32 v[118:119], v[118:119], v[184:185] neg_lo:[0,1] neg_hi:[0,1]
	v_pk_fma_f32 v[178:179], v[178:179], v[22:23], v[180:181] op_sel_hi:[1,1,0]
	s_delay_alu instid0(VALU_DEP_1) | instskip(SKIP_4) | instid1(VALU_DEP_1)
	v_mov_b32_e32 v183, v179
	ds_load_2addr_b64 v[178:181], v238 offset0:32 offset1:33
	v_pk_add_f32 v[114:115], v[114:115], v[182:183] neg_lo:[0,1] neg_hi:[0,1]
	s_wait_dscnt 0x0
	v_pk_mul_f32 v[182:183], v[178:179], v[176:177] op_sel:[0,1]
	v_pk_fma_f32 v[184:185], v[178:179], v[174:175], v[182:183] op_sel:[0,0,1] op_sel_hi:[1,1,0] neg_lo:[0,0,1] neg_hi:[0,0,1]
	v_pk_fma_f32 v[178:179], v[178:179], v[174:175], v[182:183] op_sel:[0,0,1] op_sel_hi:[1,0,0]
	s_delay_alu instid0(VALU_DEP_1) | instskip(SKIP_1) | instid1(VALU_DEP_1)
	v_mov_b32_e32 v185, v179
	v_pk_mul_f32 v[178:179], v[180:181], v[176:177] op_sel:[0,1]
	v_pk_fma_f32 v[182:183], v[180:181], v[174:175], v[178:179] op_sel:[0,0,1] op_sel_hi:[1,1,0] neg_lo:[0,0,1] neg_hi:[0,0,1]
	v_pk_fma_f32 v[178:179], v[180:181], v[174:175], v[178:179] op_sel:[0,0,1] op_sel_hi:[1,0,0]
	s_delay_alu instid0(VALU_DEP_1)
	v_mov_b32_e32 v183, v179
	ds_load_2addr_b64 v[178:181], v238 offset0:34 offset1:35
	v_pk_add_f32 v[142:143], v[142:143], v[184:185] neg_lo:[0,1] neg_hi:[0,1]
	v_pk_add_f32 v[138:139], v[138:139], v[182:183] neg_lo:[0,1] neg_hi:[0,1]
	s_wait_dscnt 0x0
	v_pk_mul_f32 v[182:183], v[178:179], v[176:177] op_sel:[0,1]
	s_delay_alu instid0(VALU_DEP_1) | instskip(SKIP_1) | instid1(VALU_DEP_1)
	v_pk_fma_f32 v[184:185], v[178:179], v[174:175], v[182:183] op_sel:[0,0,1] op_sel_hi:[1,1,0] neg_lo:[0,0,1] neg_hi:[0,0,1]
	v_pk_fma_f32 v[178:179], v[178:179], v[174:175], v[182:183] op_sel:[0,0,1] op_sel_hi:[1,0,0]
	v_mov_b32_e32 v185, v179
	v_pk_mul_f32 v[178:179], v[180:181], v[176:177] op_sel:[0,1]
	s_delay_alu instid0(VALU_DEP_1) | instskip(SKIP_1) | instid1(VALU_DEP_1)
	v_pk_fma_f32 v[182:183], v[180:181], v[174:175], v[178:179] op_sel:[0,0,1] op_sel_hi:[1,1,0] neg_lo:[0,0,1] neg_hi:[0,0,1]
	v_pk_fma_f32 v[178:179], v[180:181], v[174:175], v[178:179] op_sel:[0,0,1] op_sel_hi:[1,0,0]
	v_mov_b32_e32 v183, v179
	ds_load_2addr_b64 v[178:181], v238 offset0:36 offset1:37
	v_pk_add_f32 v[140:141], v[140:141], v[184:185] neg_lo:[0,1] neg_hi:[0,1]
	v_pk_add_f32 v[154:155], v[154:155], v[182:183] neg_lo:[0,1] neg_hi:[0,1]
	s_wait_dscnt 0x0
	v_dual_mul_f32 v182, v179, v177 :: v_dual_mul_f32 v184, v179, v174
	s_delay_alu instid0(VALU_DEP_1) | instskip(NEXT) | instid1(VALU_DEP_2)
	v_pk_fma_f32 v[182:183], v[178:179], v[22:23], v[182:183] op_sel_hi:[1,1,0] neg_lo:[0,0,1] neg_hi:[0,0,1]
	v_pk_fma_f32 v[178:179], v[178:179], v[22:23], v[184:185] op_sel:[1,0,0] op_sel_hi:[0,1,0]
	s_delay_alu instid0(VALU_DEP_1) | instskip(SKIP_1) | instid1(VALU_DEP_2)
	v_mov_b32_e32 v183, v179
	v_pk_mul_f32 v[178:179], v[180:181], v[176:177] op_sel:[0,1]
	v_pk_add_f32 v[152:153], v[152:153], v[182:183] neg_lo:[0,1] neg_hi:[0,1]
	s_delay_alu instid0(VALU_DEP_2) | instskip(SKIP_1) | instid1(VALU_DEP_1)
	v_pk_fma_f32 v[182:183], v[180:181], v[174:175], v[178:179] op_sel:[0,0,1] op_sel_hi:[1,1,0] neg_lo:[0,0,1] neg_hi:[0,0,1]
	v_pk_fma_f32 v[178:179], v[180:181], v[174:175], v[178:179] op_sel:[0,0,1] op_sel_hi:[1,0,0]
	v_mov_b32_e32 v183, v179
	ds_load_b64 v[178:179], v238 offset:304
	v_pk_add_f32 v[144:145], v[144:145], v[182:183] neg_lo:[0,1] neg_hi:[0,1]
	s_wait_dscnt 0x0
	v_pk_mul_f32 v[176:177], v[178:179], v[176:177] op_sel:[0,1]
	s_delay_alu instid0(VALU_DEP_1) | instskip(SKIP_1) | instid1(VALU_DEP_1)
	v_pk_fma_f32 v[180:181], v[178:179], v[174:175], v[176:177] op_sel:[0,0,1] op_sel_hi:[1,1,0] neg_lo:[0,0,1] neg_hi:[0,0,1]
	v_pk_fma_f32 v[174:175], v[178:179], v[174:175], v[176:177] op_sel:[0,0,1] op_sel_hi:[1,0,0]
	v_mov_b32_e32 v181, v175
	s_delay_alu instid0(VALU_DEP_1)
	v_pk_add_f32 v[156:157], v[156:157], v[180:181] neg_lo:[0,1] neg_hi:[0,1]
.LBB77_73:
	s_or_b32 exec_lo, exec_lo, s1
	s_delay_alu instid0(SALU_CYCLE_1)
	s_mov_b32 s2, exec_lo
	s_wait_dscnt 0x0
	s_barrier_signal -1
	s_barrier_wait -1
	v_cmpx_eq_u32_e32 8, v236
	s_cbranch_execz .LBB77_80
; %bb.74:
	ds_store_b64 v237, v[36:37]
	ds_store_2addr_b64 v238, v[74:75], v[76:77] offset0:9 offset1:10
	ds_store_2addr_b64 v238, v[72:73], v[92:93] offset0:11 offset1:12
	;; [unrolled: 1-line block ×15, first 2 shown]
	ds_load_b64 v[174:175], v237
	s_wait_dscnt 0x0
	v_cmp_neq_f32_e32 vcc_lo, 0, v174
	v_cmp_neq_f32_e64 s1, 0, v175
	s_or_b32 s1, vcc_lo, s1
	s_delay_alu instid0(SALU_CYCLE_1)
	s_and_b32 exec_lo, exec_lo, s1
	s_cbranch_execz .LBB77_80
; %bb.75:
	v_cmp_ngt_f32_e64 s1, |v174|, |v175|
                                        ; implicit-def: $vgpr176_vgpr177
	s_and_saveexec_b32 s4, s1
	s_delay_alu instid0(SALU_CYCLE_1)
	s_xor_b32 s1, exec_lo, s4
	s_cbranch_execz .LBB77_77
; %bb.76:
	v_div_scale_f32 v0, null, v175, v175, v174
	v_div_scale_f32 v177, vcc_lo, v174, v175, v174
	s_delay_alu instid0(VALU_DEP_2) | instskip(SKIP_1) | instid1(TRANS32_DEP_1)
	v_rcp_f32_e32 v1, v0
	v_nop
	v_fma_f32 v176, -v0, v1, 1.0
	s_delay_alu instid0(VALU_DEP_1) | instskip(NEXT) | instid1(VALU_DEP_1)
	v_fmac_f32_e32 v1, v176, v1
	v_mul_f32_e32 v176, v177, v1
	s_delay_alu instid0(VALU_DEP_1) | instskip(NEXT) | instid1(VALU_DEP_1)
	v_fma_f32 v178, -v0, v176, v177
	v_fmac_f32_e32 v176, v178, v1
	s_delay_alu instid0(VALU_DEP_1) | instskip(NEXT) | instid1(VALU_DEP_1)
	v_fma_f32 v0, -v0, v176, v177
	v_div_fmas_f32 v0, v0, v1, v176
	s_delay_alu instid0(VALU_DEP_1) | instskip(NEXT) | instid1(VALU_DEP_1)
	v_div_fixup_f32 v0, v0, v175, v174
	v_fmac_f32_e32 v175, v174, v0
	s_delay_alu instid0(VALU_DEP_1) | instskip(SKIP_1) | instid1(VALU_DEP_2)
	v_div_scale_f32 v1, null, v175, v175, 1.0
	v_div_scale_f32 v177, vcc_lo, 1.0, v175, 1.0
	v_rcp_f32_e32 v174, v1
	v_nop
	s_delay_alu instid0(TRANS32_DEP_1) | instskip(NEXT) | instid1(VALU_DEP_1)
	v_fma_f32 v176, -v1, v174, 1.0
	v_fmac_f32_e32 v174, v176, v174
	s_delay_alu instid0(VALU_DEP_1) | instskip(NEXT) | instid1(VALU_DEP_1)
	v_mul_f32_e32 v176, v177, v174
	v_fma_f32 v178, -v1, v176, v177
	s_delay_alu instid0(VALU_DEP_1) | instskip(NEXT) | instid1(VALU_DEP_1)
	v_fmac_f32_e32 v176, v178, v174
	v_fma_f32 v1, -v1, v176, v177
	s_delay_alu instid0(VALU_DEP_1) | instskip(NEXT) | instid1(VALU_DEP_1)
	v_div_fmas_f32 v1, v1, v174, v176
	v_div_fixup_f32 v1, v1, v175, 1.0
                                        ; implicit-def: $vgpr174_vgpr175
	s_delay_alu instid0(VALU_DEP_1)
	v_mul_f32_e32 v176, v0, v1
	v_xor_b32_e32 v177, 0x80000000, v1
.LBB77_77:
	s_and_not1_saveexec_b32 s1, s1
	s_cbranch_execz .LBB77_79
; %bb.78:
	v_div_scale_f32 v0, null, v174, v174, v175
	v_div_scale_f32 v177, vcc_lo, v175, v174, v175
	s_delay_alu instid0(VALU_DEP_2) | instskip(SKIP_1) | instid1(TRANS32_DEP_1)
	v_rcp_f32_e32 v1, v0
	v_nop
	v_fma_f32 v176, -v0, v1, 1.0
	s_delay_alu instid0(VALU_DEP_1) | instskip(NEXT) | instid1(VALU_DEP_1)
	v_fmac_f32_e32 v1, v176, v1
	v_mul_f32_e32 v176, v177, v1
	s_delay_alu instid0(VALU_DEP_1) | instskip(NEXT) | instid1(VALU_DEP_1)
	v_fma_f32 v178, -v0, v176, v177
	v_fmac_f32_e32 v176, v178, v1
	s_delay_alu instid0(VALU_DEP_1) | instskip(NEXT) | instid1(VALU_DEP_1)
	v_fma_f32 v0, -v0, v176, v177
	v_div_fmas_f32 v0, v0, v1, v176
	s_delay_alu instid0(VALU_DEP_1) | instskip(NEXT) | instid1(VALU_DEP_1)
	v_div_fixup_f32 v0, v0, v174, v175
	v_fmac_f32_e32 v174, v175, v0
	s_delay_alu instid0(VALU_DEP_1) | instskip(NEXT) | instid1(VALU_DEP_1)
	v_div_scale_f32 v1, null, v174, v174, 1.0
	v_rcp_f32_e32 v175, v1
	v_nop
	s_delay_alu instid0(TRANS32_DEP_1) | instskip(NEXT) | instid1(VALU_DEP_1)
	v_fma_f32 v176, -v1, v175, 1.0
	v_fmac_f32_e32 v175, v176, v175
	v_div_scale_f32 v176, vcc_lo, 1.0, v174, 1.0
	s_delay_alu instid0(VALU_DEP_1) | instskip(NEXT) | instid1(VALU_DEP_1)
	v_mul_f32_e32 v177, v176, v175
	v_fma_f32 v178, -v1, v177, v176
	s_delay_alu instid0(VALU_DEP_1) | instskip(NEXT) | instid1(VALU_DEP_1)
	v_fmac_f32_e32 v177, v178, v175
	v_fma_f32 v1, -v1, v177, v176
	s_delay_alu instid0(VALU_DEP_1) | instskip(NEXT) | instid1(VALU_DEP_1)
	v_div_fmas_f32 v1, v1, v175, v177
	v_div_fixup_f32 v176, v1, v174, 1.0
	s_delay_alu instid0(VALU_DEP_1)
	v_mul_f32_e64 v177, v0, -v176
.LBB77_79:
	s_or_b32 exec_lo, exec_lo, s1
	ds_store_b64 v237, v[176:177]
.LBB77_80:
	s_or_b32 exec_lo, exec_lo, s2
	s_wait_dscnt 0x0
	s_barrier_signal -1
	s_barrier_wait -1
	ds_load_b64 v[174:175], v237
	s_mov_b32 s1, exec_lo
	v_cmpx_lt_u32_e32 8, v236
	s_cbranch_execz .LBB77_82
; %bb.81:
	ds_load_2addr_b64 v[180:183], v238 offset0:9 offset1:10
	s_wait_dscnt 0x1
	v_pk_mul_f32 v[178:179], v[174:175], v[36:37] op_sel:[1,1] op_sel_hi:[0,1]
	s_delay_alu instid0(VALU_DEP_1) | instskip(SKIP_1) | instid1(VALU_DEP_1)
	v_pk_fma_f32 v[176:177], v[174:175], v[36:37], v[178:179] op_sel_hi:[1,0,1] neg_lo:[0,0,1] neg_hi:[0,0,1]
	v_pk_fma_f32 v[178:179], v[174:175], v[36:37], v[178:179] op_sel_hi:[1,0,1]
	v_dual_mov_b32 v36, v176 :: v_dual_mov_b32 v37, v179
	s_wait_dscnt 0x0
	s_delay_alu instid0(VALU_DEP_2) | instskip(NEXT) | instid1(VALU_DEP_1)
	v_pk_mul_f32 v[184:185], v[180:181], v[178:179] op_sel:[0,1]
	v_pk_fma_f32 v[186:187], v[180:181], v[176:177], v[184:185] op_sel:[0,0,1] op_sel_hi:[1,1,0] neg_lo:[0,0,1] neg_hi:[0,0,1]
	v_pk_fma_f32 v[180:181], v[180:181], v[176:177], v[184:185] op_sel:[0,0,1] op_sel_hi:[1,0,0]
	s_delay_alu instid0(VALU_DEP_1) | instskip(SKIP_1) | instid1(VALU_DEP_1)
	v_mov_b32_e32 v187, v181
	v_pk_mul_f32 v[180:181], v[182:183], v[178:179] op_sel:[0,1]
	v_pk_fma_f32 v[184:185], v[182:183], v[176:177], v[180:181] op_sel:[0,0,1] op_sel_hi:[1,1,0] neg_lo:[0,0,1] neg_hi:[0,0,1]
	v_pk_fma_f32 v[180:181], v[182:183], v[176:177], v[180:181] op_sel:[0,0,1] op_sel_hi:[1,0,0]
	s_delay_alu instid0(VALU_DEP_1)
	v_mov_b32_e32 v185, v181
	ds_load_2addr_b64 v[180:183], v238 offset0:11 offset1:12
	v_pk_add_f32 v[74:75], v[74:75], v[186:187] neg_lo:[0,1] neg_hi:[0,1]
	v_pk_add_f32 v[76:77], v[76:77], v[184:185] neg_lo:[0,1] neg_hi:[0,1]
	s_wait_dscnt 0x0
	v_pk_mul_f32 v[184:185], v[180:181], v[178:179] op_sel:[0,1]
	s_delay_alu instid0(VALU_DEP_1) | instskip(SKIP_2) | instid1(VALU_DEP_2)
	v_pk_fma_f32 v[186:187], v[180:181], v[176:177], v[184:185] op_sel:[0,0,1] op_sel_hi:[1,1,0] neg_lo:[0,0,1] neg_hi:[0,0,1]
	v_pk_fma_f32 v[180:181], v[180:181], v[176:177], v[184:185] op_sel:[0,0,1] op_sel_hi:[1,0,0]
	v_dual_mul_f32 v184, v183, v179 :: v_dual_mov_b32 v180, v183
	v_dual_mov_b32 v187, v181 :: v_dual_mov_b32 v181, v182
	s_delay_alu instid0(VALU_DEP_2) | instskip(SKIP_1) | instid1(VALU_DEP_3)
	v_pk_fma_f32 v[184:185], v[182:183], v[36:37], v[184:185] op_sel_hi:[1,1,0] neg_lo:[0,0,1] neg_hi:[0,0,1]
	v_mul_f32_e32 v182, v183, v176
	v_pk_add_f32 v[72:73], v[72:73], v[186:187] neg_lo:[0,1] neg_hi:[0,1]
	s_delay_alu instid0(VALU_DEP_2) | instskip(NEXT) | instid1(VALU_DEP_1)
	v_pk_fma_f32 v[180:181], v[180:181], v[36:37], v[182:183] op_sel_hi:[1,1,0]
	v_mov_b32_e32 v185, v181
	ds_load_2addr_b64 v[180:183], v238 offset0:13 offset1:14
	v_pk_add_f32 v[92:93], v[92:93], v[184:185] neg_lo:[0,1] neg_hi:[0,1]
	s_wait_dscnt 0x0
	v_pk_mul_f32 v[184:185], v[180:181], v[178:179] op_sel:[0,1]
	s_delay_alu instid0(VALU_DEP_1) | instskip(SKIP_1) | instid1(VALU_DEP_1)
	v_pk_fma_f32 v[186:187], v[180:181], v[176:177], v[184:185] op_sel:[0,0,1] op_sel_hi:[1,1,0] neg_lo:[0,0,1] neg_hi:[0,0,1]
	v_pk_fma_f32 v[180:181], v[180:181], v[176:177], v[184:185] op_sel:[0,0,1] op_sel_hi:[1,0,0]
	v_mov_b32_e32 v187, v181
	v_pk_mul_f32 v[180:181], v[182:183], v[178:179] op_sel:[0,1]
	s_delay_alu instid0(VALU_DEP_1) | instskip(SKIP_1) | instid1(VALU_DEP_1)
	v_pk_fma_f32 v[184:185], v[182:183], v[176:177], v[180:181] op_sel:[0,0,1] op_sel_hi:[1,1,0] neg_lo:[0,0,1] neg_hi:[0,0,1]
	v_pk_fma_f32 v[180:181], v[182:183], v[176:177], v[180:181] op_sel:[0,0,1] op_sel_hi:[1,0,0]
	v_mov_b32_e32 v185, v181
	ds_load_2addr_b64 v[180:183], v238 offset0:15 offset1:16
	v_pk_add_f32 v[88:89], v[88:89], v[186:187] neg_lo:[0,1] neg_hi:[0,1]
	v_pk_add_f32 v[90:91], v[90:91], v[184:185] neg_lo:[0,1] neg_hi:[0,1]
	s_wait_dscnt 0x0
	v_pk_mul_f32 v[184:185], v[180:181], v[178:179] op_sel:[0,1]
	s_delay_alu instid0(VALU_DEP_1) | instskip(SKIP_1) | instid1(VALU_DEP_1)
	v_pk_fma_f32 v[186:187], v[180:181], v[176:177], v[184:185] op_sel:[0,0,1] op_sel_hi:[1,1,0] neg_lo:[0,0,1] neg_hi:[0,0,1]
	v_pk_fma_f32 v[180:181], v[180:181], v[176:177], v[184:185] op_sel:[0,0,1] op_sel_hi:[1,0,0]
	v_mov_b32_e32 v187, v181
	v_pk_mul_f32 v[180:181], v[182:183], v[178:179] op_sel:[0,1]
	s_delay_alu instid0(VALU_DEP_1) | instskip(SKIP_1) | instid1(VALU_DEP_1)
	v_pk_fma_f32 v[184:185], v[182:183], v[176:177], v[180:181] op_sel:[0,0,1] op_sel_hi:[1,1,0] neg_lo:[0,0,1] neg_hi:[0,0,1]
	v_pk_fma_f32 v[180:181], v[182:183], v[176:177], v[180:181] op_sel:[0,0,1] op_sel_hi:[1,0,0]
	v_mov_b32_e32 v185, v181
	ds_load_2addr_b64 v[180:183], v238 offset0:17 offset1:18
	v_pk_add_f32 v[70:71], v[70:71], v[186:187] neg_lo:[0,1] neg_hi:[0,1]
	v_pk_add_f32 v[110:111], v[110:111], v[184:185] neg_lo:[0,1] neg_hi:[0,1]
	s_wait_dscnt 0x0
	v_dual_mul_f32 v184, v181, v179 :: v_dual_mul_f32 v186, v181, v176
	s_delay_alu instid0(VALU_DEP_1) | instskip(NEXT) | instid1(VALU_DEP_2)
	v_pk_fma_f32 v[184:185], v[180:181], v[36:37], v[184:185] op_sel_hi:[1,1,0] neg_lo:[0,0,1] neg_hi:[0,0,1]
	v_pk_fma_f32 v[180:181], v[180:181], v[36:37], v[186:187] op_sel:[1,0,0] op_sel_hi:[0,1,0]
	s_delay_alu instid0(VALU_DEP_1) | instskip(SKIP_1) | instid1(VALU_DEP_2)
	v_mov_b32_e32 v185, v181
	v_pk_mul_f32 v[180:181], v[182:183], v[178:179] op_sel:[0,1]
	v_pk_add_f32 v[106:107], v[106:107], v[184:185] neg_lo:[0,1] neg_hi:[0,1]
	s_delay_alu instid0(VALU_DEP_2) | instskip(SKIP_1) | instid1(VALU_DEP_1)
	v_pk_fma_f32 v[184:185], v[182:183], v[176:177], v[180:181] op_sel:[0,0,1] op_sel_hi:[1,1,0] neg_lo:[0,0,1] neg_hi:[0,0,1]
	v_pk_fma_f32 v[180:181], v[182:183], v[176:177], v[180:181] op_sel:[0,0,1] op_sel_hi:[1,0,0]
	v_mov_b32_e32 v185, v181
	ds_load_2addr_b64 v[180:183], v238 offset0:19 offset1:20
	v_pk_add_f32 v[108:109], v[108:109], v[184:185] neg_lo:[0,1] neg_hi:[0,1]
	s_wait_dscnt 0x0
	v_pk_mul_f32 v[184:185], v[180:181], v[178:179] op_sel:[0,1]
	s_delay_alu instid0(VALU_DEP_1) | instskip(SKIP_1) | instid1(VALU_DEP_1)
	v_pk_fma_f32 v[186:187], v[180:181], v[176:177], v[184:185] op_sel:[0,0,1] op_sel_hi:[1,1,0] neg_lo:[0,0,1] neg_hi:[0,0,1]
	v_pk_fma_f32 v[180:181], v[180:181], v[176:177], v[184:185] op_sel:[0,0,1] op_sel_hi:[1,0,0]
	v_mov_b32_e32 v187, v181
	v_pk_mul_f32 v[180:181], v[182:183], v[178:179] op_sel:[0,1]
	s_delay_alu instid0(VALU_DEP_2) | instskip(NEXT) | instid1(VALU_DEP_2)
	v_pk_add_f32 v[86:87], v[86:87], v[186:187] neg_lo:[0,1] neg_hi:[0,1]
	v_pk_fma_f32 v[184:185], v[182:183], v[176:177], v[180:181] op_sel:[0,0,1] op_sel_hi:[1,1,0] neg_lo:[0,0,1] neg_hi:[0,0,1]
	v_pk_fma_f32 v[180:181], v[182:183], v[176:177], v[180:181] op_sel:[0,0,1] op_sel_hi:[1,0,0]
	s_delay_alu instid0(VALU_DEP_1) | instskip(SKIP_4) | instid1(VALU_DEP_1)
	v_mov_b32_e32 v185, v181
	ds_load_2addr_b64 v[180:183], v238 offset0:21 offset1:22
	v_pk_add_f32 v[136:137], v[136:137], v[184:185] neg_lo:[0,1] neg_hi:[0,1]
	s_wait_dscnt 0x0
	v_pk_mul_f32 v[184:185], v[180:181], v[178:179] op_sel:[0,1]
	v_pk_fma_f32 v[186:187], v[180:181], v[176:177], v[184:185] op_sel:[0,0,1] op_sel_hi:[1,1,0] neg_lo:[0,0,1] neg_hi:[0,0,1]
	v_pk_fma_f32 v[180:181], v[180:181], v[176:177], v[184:185] op_sel:[0,0,1] op_sel_hi:[1,0,0]
	v_dual_mul_f32 v184, v183, v179 :: v_dual_mov_b32 v180, v183
	s_delay_alu instid0(VALU_DEP_2) | instskip(NEXT) | instid1(VALU_DEP_2)
	v_dual_mov_b32 v187, v181 :: v_dual_mov_b32 v181, v182
	v_pk_fma_f32 v[184:185], v[182:183], v[36:37], v[184:185] op_sel_hi:[1,1,0] neg_lo:[0,0,1] neg_hi:[0,0,1]
	v_mul_f32_e32 v182, v183, v176
	s_delay_alu instid0(VALU_DEP_3) | instskip(NEXT) | instid1(VALU_DEP_2)
	v_pk_add_f32 v[132:133], v[132:133], v[186:187] neg_lo:[0,1] neg_hi:[0,1]
	v_pk_fma_f32 v[180:181], v[180:181], v[36:37], v[182:183] op_sel_hi:[1,1,0]
	s_delay_alu instid0(VALU_DEP_1) | instskip(SKIP_4) | instid1(VALU_DEP_1)
	v_mov_b32_e32 v185, v181
	ds_load_2addr_b64 v[180:183], v238 offset0:23 offset1:24
	v_pk_add_f32 v[134:135], v[134:135], v[184:185] neg_lo:[0,1] neg_hi:[0,1]
	s_wait_dscnt 0x0
	v_pk_mul_f32 v[184:185], v[180:181], v[178:179] op_sel:[0,1]
	v_pk_fma_f32 v[186:187], v[180:181], v[176:177], v[184:185] op_sel:[0,0,1] op_sel_hi:[1,1,0] neg_lo:[0,0,1] neg_hi:[0,0,1]
	v_pk_fma_f32 v[180:181], v[180:181], v[176:177], v[184:185] op_sel:[0,0,1] op_sel_hi:[1,0,0]
	s_delay_alu instid0(VALU_DEP_1) | instskip(SKIP_1) | instid1(VALU_DEP_1)
	v_mov_b32_e32 v187, v181
	v_pk_mul_f32 v[180:181], v[182:183], v[178:179] op_sel:[0,1]
	v_pk_fma_f32 v[184:185], v[182:183], v[176:177], v[180:181] op_sel:[0,0,1] op_sel_hi:[1,1,0] neg_lo:[0,0,1] neg_hi:[0,0,1]
	v_pk_fma_f32 v[180:181], v[182:183], v[176:177], v[180:181] op_sel:[0,0,1] op_sel_hi:[1,0,0]
	s_delay_alu instid0(VALU_DEP_1)
	v_mov_b32_e32 v185, v181
	ds_load_2addr_b64 v[180:183], v238 offset0:25 offset1:26
	v_pk_add_f32 v[104:105], v[104:105], v[186:187] neg_lo:[0,1] neg_hi:[0,1]
	v_pk_add_f32 v[150:151], v[150:151], v[184:185] neg_lo:[0,1] neg_hi:[0,1]
	s_wait_dscnt 0x0
	v_pk_mul_f32 v[184:185], v[180:181], v[178:179] op_sel:[0,1]
	s_delay_alu instid0(VALU_DEP_1) | instskip(SKIP_1) | instid1(VALU_DEP_1)
	v_pk_fma_f32 v[186:187], v[180:181], v[176:177], v[184:185] op_sel:[0,0,1] op_sel_hi:[1,1,0] neg_lo:[0,0,1] neg_hi:[0,0,1]
	v_pk_fma_f32 v[180:181], v[180:181], v[176:177], v[184:185] op_sel:[0,0,1] op_sel_hi:[1,0,0]
	v_mov_b32_e32 v187, v181
	v_pk_mul_f32 v[180:181], v[182:183], v[178:179] op_sel:[0,1]
	s_delay_alu instid0(VALU_DEP_1) | instskip(SKIP_1) | instid1(VALU_DEP_1)
	v_pk_fma_f32 v[184:185], v[182:183], v[176:177], v[180:181] op_sel:[0,0,1] op_sel_hi:[1,1,0] neg_lo:[0,0,1] neg_hi:[0,0,1]
	v_pk_fma_f32 v[180:181], v[182:183], v[176:177], v[180:181] op_sel:[0,0,1] op_sel_hi:[1,0,0]
	v_mov_b32_e32 v185, v181
	ds_load_2addr_b64 v[180:183], v238 offset0:27 offset1:28
	v_pk_add_f32 v[146:147], v[146:147], v[186:187] neg_lo:[0,1] neg_hi:[0,1]
	v_pk_add_f32 v[148:149], v[148:149], v[184:185] neg_lo:[0,1] neg_hi:[0,1]
	s_wait_dscnt 0x0
	v_dual_mul_f32 v184, v181, v179 :: v_dual_mul_f32 v186, v181, v176
	s_delay_alu instid0(VALU_DEP_1) | instskip(NEXT) | instid1(VALU_DEP_2)
	v_pk_fma_f32 v[184:185], v[180:181], v[36:37], v[184:185] op_sel_hi:[1,1,0] neg_lo:[0,0,1] neg_hi:[0,0,1]
	v_pk_fma_f32 v[180:181], v[180:181], v[36:37], v[186:187] op_sel:[1,0,0] op_sel_hi:[0,1,0]
	s_delay_alu instid0(VALU_DEP_1) | instskip(SKIP_1) | instid1(VALU_DEP_2)
	v_mov_b32_e32 v185, v181
	v_pk_mul_f32 v[180:181], v[182:183], v[178:179] op_sel:[0,1]
	v_pk_add_f32 v[94:95], v[94:95], v[184:185] neg_lo:[0,1] neg_hi:[0,1]
	s_delay_alu instid0(VALU_DEP_2) | instskip(SKIP_1) | instid1(VALU_DEP_1)
	v_pk_fma_f32 v[184:185], v[182:183], v[176:177], v[180:181] op_sel:[0,0,1] op_sel_hi:[1,1,0] neg_lo:[0,0,1] neg_hi:[0,0,1]
	v_pk_fma_f32 v[180:181], v[182:183], v[176:177], v[180:181] op_sel:[0,0,1] op_sel_hi:[1,0,0]
	v_mov_b32_e32 v185, v181
	ds_load_2addr_b64 v[180:183], v238 offset0:29 offset1:30
	v_pk_add_f32 v[120:121], v[120:121], v[184:185] neg_lo:[0,1] neg_hi:[0,1]
	s_wait_dscnt 0x0
	v_pk_mul_f32 v[184:185], v[180:181], v[178:179] op_sel:[0,1]
	s_delay_alu instid0(VALU_DEP_1) | instskip(SKIP_1) | instid1(VALU_DEP_1)
	v_pk_fma_f32 v[186:187], v[180:181], v[176:177], v[184:185] op_sel:[0,0,1] op_sel_hi:[1,1,0] neg_lo:[0,0,1] neg_hi:[0,0,1]
	v_pk_fma_f32 v[180:181], v[180:181], v[176:177], v[184:185] op_sel:[0,0,1] op_sel_hi:[1,0,0]
	v_mov_b32_e32 v187, v181
	v_pk_mul_f32 v[180:181], v[182:183], v[178:179] op_sel:[0,1]
	s_delay_alu instid0(VALU_DEP_2) | instskip(NEXT) | instid1(VALU_DEP_2)
	v_pk_add_f32 v[116:117], v[116:117], v[186:187] neg_lo:[0,1] neg_hi:[0,1]
	v_pk_fma_f32 v[184:185], v[182:183], v[176:177], v[180:181] op_sel:[0,0,1] op_sel_hi:[1,1,0] neg_lo:[0,0,1] neg_hi:[0,0,1]
	v_pk_fma_f32 v[180:181], v[182:183], v[176:177], v[180:181] op_sel:[0,0,1] op_sel_hi:[1,0,0]
	s_delay_alu instid0(VALU_DEP_1) | instskip(SKIP_4) | instid1(VALU_DEP_1)
	v_mov_b32_e32 v185, v181
	ds_load_2addr_b64 v[180:183], v238 offset0:31 offset1:32
	v_pk_add_f32 v[118:119], v[118:119], v[184:185] neg_lo:[0,1] neg_hi:[0,1]
	s_wait_dscnt 0x0
	v_pk_mul_f32 v[184:185], v[180:181], v[178:179] op_sel:[0,1]
	v_pk_fma_f32 v[186:187], v[180:181], v[176:177], v[184:185] op_sel:[0,0,1] op_sel_hi:[1,1,0] neg_lo:[0,0,1] neg_hi:[0,0,1]
	v_pk_fma_f32 v[180:181], v[180:181], v[176:177], v[184:185] op_sel:[0,0,1] op_sel_hi:[1,0,0]
	v_dual_mul_f32 v184, v183, v179 :: v_dual_mov_b32 v180, v183
	s_delay_alu instid0(VALU_DEP_2) | instskip(NEXT) | instid1(VALU_DEP_2)
	v_dual_mov_b32 v187, v181 :: v_dual_mov_b32 v181, v182
	v_pk_fma_f32 v[184:185], v[182:183], v[36:37], v[184:185] op_sel_hi:[1,1,0] neg_lo:[0,0,1] neg_hi:[0,0,1]
	v_mul_f32_e32 v182, v183, v176
	s_delay_alu instid0(VALU_DEP_3) | instskip(NEXT) | instid1(VALU_DEP_2)
	v_pk_add_f32 v[114:115], v[114:115], v[186:187] neg_lo:[0,1] neg_hi:[0,1]
	v_pk_fma_f32 v[180:181], v[180:181], v[36:37], v[182:183] op_sel_hi:[1,1,0]
	s_delay_alu instid0(VALU_DEP_1) | instskip(SKIP_4) | instid1(VALU_DEP_1)
	v_mov_b32_e32 v185, v181
	ds_load_2addr_b64 v[180:183], v238 offset0:33 offset1:34
	v_pk_add_f32 v[142:143], v[142:143], v[184:185] neg_lo:[0,1] neg_hi:[0,1]
	s_wait_dscnt 0x0
	v_pk_mul_f32 v[184:185], v[180:181], v[178:179] op_sel:[0,1]
	v_pk_fma_f32 v[186:187], v[180:181], v[176:177], v[184:185] op_sel:[0,0,1] op_sel_hi:[1,1,0] neg_lo:[0,0,1] neg_hi:[0,0,1]
	v_pk_fma_f32 v[180:181], v[180:181], v[176:177], v[184:185] op_sel:[0,0,1] op_sel_hi:[1,0,0]
	s_delay_alu instid0(VALU_DEP_1) | instskip(SKIP_1) | instid1(VALU_DEP_1)
	v_mov_b32_e32 v187, v181
	v_pk_mul_f32 v[180:181], v[182:183], v[178:179] op_sel:[0,1]
	v_pk_fma_f32 v[184:185], v[182:183], v[176:177], v[180:181] op_sel:[0,0,1] op_sel_hi:[1,1,0] neg_lo:[0,0,1] neg_hi:[0,0,1]
	v_pk_fma_f32 v[180:181], v[182:183], v[176:177], v[180:181] op_sel:[0,0,1] op_sel_hi:[1,0,0]
	s_delay_alu instid0(VALU_DEP_1)
	v_mov_b32_e32 v185, v181
	ds_load_2addr_b64 v[180:183], v238 offset0:35 offset1:36
	v_pk_add_f32 v[138:139], v[138:139], v[186:187] neg_lo:[0,1] neg_hi:[0,1]
	v_pk_add_f32 v[140:141], v[140:141], v[184:185] neg_lo:[0,1] neg_hi:[0,1]
	s_wait_dscnt 0x0
	v_pk_mul_f32 v[184:185], v[180:181], v[178:179] op_sel:[0,1]
	s_delay_alu instid0(VALU_DEP_1) | instskip(SKIP_1) | instid1(VALU_DEP_1)
	v_pk_fma_f32 v[186:187], v[180:181], v[176:177], v[184:185] op_sel:[0,0,1] op_sel_hi:[1,1,0] neg_lo:[0,0,1] neg_hi:[0,0,1]
	v_pk_fma_f32 v[180:181], v[180:181], v[176:177], v[184:185] op_sel:[0,0,1] op_sel_hi:[1,0,0]
	v_mov_b32_e32 v187, v181
	v_pk_mul_f32 v[180:181], v[182:183], v[178:179] op_sel:[0,1]
	s_delay_alu instid0(VALU_DEP_1) | instskip(SKIP_1) | instid1(VALU_DEP_1)
	v_pk_fma_f32 v[184:185], v[182:183], v[176:177], v[180:181] op_sel:[0,0,1] op_sel_hi:[1,1,0] neg_lo:[0,0,1] neg_hi:[0,0,1]
	v_pk_fma_f32 v[180:181], v[182:183], v[176:177], v[180:181] op_sel:[0,0,1] op_sel_hi:[1,0,0]
	v_mov_b32_e32 v185, v181
	ds_load_2addr_b64 v[180:183], v238 offset0:37 offset1:38
	v_pk_add_f32 v[154:155], v[154:155], v[186:187] neg_lo:[0,1] neg_hi:[0,1]
	v_pk_add_f32 v[152:153], v[152:153], v[184:185] neg_lo:[0,1] neg_hi:[0,1]
	s_wait_dscnt 0x0
	v_mul_f32_e32 v178, v181, v179
	s_delay_alu instid0(VALU_DEP_1) | instskip(SKIP_1) | instid1(VALU_DEP_1)
	v_pk_fma_f32 v[184:185], v[180:181], v[36:37], v[178:179] op_sel_hi:[1,1,0] neg_lo:[0,0,1] neg_hi:[0,0,1]
	v_dual_mul_f32 v178, v181, v176 :: v_dual_mul_f32 v176, v183, v176
	v_pk_fma_f32 v[180:181], v[180:181], v[36:37], v[178:179] op_sel:[1,0,0] op_sel_hi:[0,1,0]
	v_dual_mov_b32 v180, v183 :: v_dual_mul_f32 v178, v183, v179
	s_delay_alu instid0(VALU_DEP_2) | instskip(NEXT) | instid1(VALU_DEP_2)
	v_dual_mov_b32 v185, v181 :: v_dual_mov_b32 v181, v182
	v_pk_fma_f32 v[178:179], v[182:183], v[36:37], v[178:179] op_sel_hi:[1,1,0] neg_lo:[0,0,1] neg_hi:[0,0,1]
	s_delay_alu instid0(VALU_DEP_2) | instskip(NEXT) | instid1(VALU_DEP_3)
	v_pk_add_f32 v[144:145], v[144:145], v[184:185] neg_lo:[0,1] neg_hi:[0,1]
	v_pk_fma_f32 v[176:177], v[180:181], v[36:37], v[176:177] op_sel_hi:[1,1,0]
	s_delay_alu instid0(VALU_DEP_1) | instskip(NEXT) | instid1(VALU_DEP_1)
	v_mov_b32_e32 v179, v177
	v_pk_add_f32 v[156:157], v[156:157], v[178:179] neg_lo:[0,1] neg_hi:[0,1]
.LBB77_82:
	s_or_b32 exec_lo, exec_lo, s1
	s_delay_alu instid0(SALU_CYCLE_1)
	s_mov_b32 s2, exec_lo
	s_wait_dscnt 0x0
	s_barrier_signal -1
	s_barrier_wait -1
	v_cmpx_eq_u32_e32 9, v236
	s_cbranch_execz .LBB77_89
; %bb.83:
	v_dual_mov_b32 v176, v76 :: v_dual_mov_b32 v177, v77
	v_dual_mov_b32 v178, v72 :: v_dual_mov_b32 v179, v73
	ds_store_b64 v237, v[74:75]
	ds_store_2addr_b64 v238, v[176:177], v[178:179] offset0:10 offset1:11
	v_dual_mov_b32 v176, v92 :: v_dual_mov_b32 v177, v93
	v_dual_mov_b32 v178, v88 :: v_dual_mov_b32 v179, v89
	ds_store_2addr_b64 v238, v[176:177], v[178:179] offset0:12 offset1:13
	v_dual_mov_b32 v176, v90 :: v_dual_mov_b32 v177, v91
	v_dual_mov_b32 v178, v70 :: v_dual_mov_b32 v179, v71
	;; [unrolled: 3-line block ×13, first 2 shown]
	ds_store_2addr_b64 v238, v[176:177], v[178:179] offset0:36 offset1:37
	ds_store_b64 v238, v[156:157] offset:304
	ds_load_b64 v[176:177], v237
	s_wait_dscnt 0x0
	v_cmp_neq_f32_e32 vcc_lo, 0, v176
	v_cmp_neq_f32_e64 s1, 0, v177
	s_or_b32 s1, vcc_lo, s1
	s_delay_alu instid0(SALU_CYCLE_1)
	s_and_b32 exec_lo, exec_lo, s1
	s_cbranch_execz .LBB77_89
; %bb.84:
	v_cmp_ngt_f32_e64 s1, |v176|, |v177|
                                        ; implicit-def: $vgpr178_vgpr179
	s_and_saveexec_b32 s4, s1
	s_delay_alu instid0(SALU_CYCLE_1)
	s_xor_b32 s1, exec_lo, s4
	s_cbranch_execz .LBB77_86
; %bb.85:
	v_div_scale_f32 v0, null, v177, v177, v176
	v_div_scale_f32 v179, vcc_lo, v176, v177, v176
	s_delay_alu instid0(VALU_DEP_2) | instskip(SKIP_1) | instid1(TRANS32_DEP_1)
	v_rcp_f32_e32 v1, v0
	v_nop
	v_fma_f32 v178, -v0, v1, 1.0
	s_delay_alu instid0(VALU_DEP_1) | instskip(NEXT) | instid1(VALU_DEP_1)
	v_fmac_f32_e32 v1, v178, v1
	v_mul_f32_e32 v178, v179, v1
	s_delay_alu instid0(VALU_DEP_1) | instskip(NEXT) | instid1(VALU_DEP_1)
	v_fma_f32 v180, -v0, v178, v179
	v_fmac_f32_e32 v178, v180, v1
	s_delay_alu instid0(VALU_DEP_1) | instskip(NEXT) | instid1(VALU_DEP_1)
	v_fma_f32 v0, -v0, v178, v179
	v_div_fmas_f32 v0, v0, v1, v178
	s_delay_alu instid0(VALU_DEP_1) | instskip(NEXT) | instid1(VALU_DEP_1)
	v_div_fixup_f32 v0, v0, v177, v176
	v_fmac_f32_e32 v177, v176, v0
	s_delay_alu instid0(VALU_DEP_1) | instskip(SKIP_1) | instid1(VALU_DEP_2)
	v_div_scale_f32 v1, null, v177, v177, 1.0
	v_div_scale_f32 v179, vcc_lo, 1.0, v177, 1.0
	v_rcp_f32_e32 v176, v1
	v_nop
	s_delay_alu instid0(TRANS32_DEP_1) | instskip(NEXT) | instid1(VALU_DEP_1)
	v_fma_f32 v178, -v1, v176, 1.0
	v_fmac_f32_e32 v176, v178, v176
	s_delay_alu instid0(VALU_DEP_1) | instskip(NEXT) | instid1(VALU_DEP_1)
	v_mul_f32_e32 v178, v179, v176
	v_fma_f32 v180, -v1, v178, v179
	s_delay_alu instid0(VALU_DEP_1) | instskip(NEXT) | instid1(VALU_DEP_1)
	v_fmac_f32_e32 v178, v180, v176
	v_fma_f32 v1, -v1, v178, v179
	s_delay_alu instid0(VALU_DEP_1) | instskip(NEXT) | instid1(VALU_DEP_1)
	v_div_fmas_f32 v1, v1, v176, v178
	v_div_fixup_f32 v1, v1, v177, 1.0
                                        ; implicit-def: $vgpr176_vgpr177
	s_delay_alu instid0(VALU_DEP_1)
	v_mul_f32_e32 v178, v0, v1
	v_xor_b32_e32 v179, 0x80000000, v1
.LBB77_86:
	s_and_not1_saveexec_b32 s1, s1
	s_cbranch_execz .LBB77_88
; %bb.87:
	v_div_scale_f32 v0, null, v176, v176, v177
	v_div_scale_f32 v179, vcc_lo, v177, v176, v177
	s_delay_alu instid0(VALU_DEP_2) | instskip(SKIP_1) | instid1(TRANS32_DEP_1)
	v_rcp_f32_e32 v1, v0
	v_nop
	v_fma_f32 v178, -v0, v1, 1.0
	s_delay_alu instid0(VALU_DEP_1) | instskip(NEXT) | instid1(VALU_DEP_1)
	v_fmac_f32_e32 v1, v178, v1
	v_mul_f32_e32 v178, v179, v1
	s_delay_alu instid0(VALU_DEP_1) | instskip(NEXT) | instid1(VALU_DEP_1)
	v_fma_f32 v180, -v0, v178, v179
	v_fmac_f32_e32 v178, v180, v1
	s_delay_alu instid0(VALU_DEP_1) | instskip(NEXT) | instid1(VALU_DEP_1)
	v_fma_f32 v0, -v0, v178, v179
	v_div_fmas_f32 v0, v0, v1, v178
	s_delay_alu instid0(VALU_DEP_1) | instskip(NEXT) | instid1(VALU_DEP_1)
	v_div_fixup_f32 v0, v0, v176, v177
	v_fmac_f32_e32 v176, v177, v0
	s_delay_alu instid0(VALU_DEP_1) | instskip(NEXT) | instid1(VALU_DEP_1)
	v_div_scale_f32 v1, null, v176, v176, 1.0
	v_rcp_f32_e32 v177, v1
	v_nop
	s_delay_alu instid0(TRANS32_DEP_1) | instskip(NEXT) | instid1(VALU_DEP_1)
	v_fma_f32 v178, -v1, v177, 1.0
	v_fmac_f32_e32 v177, v178, v177
	v_div_scale_f32 v178, vcc_lo, 1.0, v176, 1.0
	s_delay_alu instid0(VALU_DEP_1) | instskip(NEXT) | instid1(VALU_DEP_1)
	v_mul_f32_e32 v179, v178, v177
	v_fma_f32 v180, -v1, v179, v178
	s_delay_alu instid0(VALU_DEP_1) | instskip(NEXT) | instid1(VALU_DEP_1)
	v_fmac_f32_e32 v179, v180, v177
	v_fma_f32 v1, -v1, v179, v178
	s_delay_alu instid0(VALU_DEP_1) | instskip(NEXT) | instid1(VALU_DEP_1)
	v_div_fmas_f32 v1, v1, v177, v179
	v_div_fixup_f32 v178, v1, v176, 1.0
	s_delay_alu instid0(VALU_DEP_1)
	v_mul_f32_e64 v179, v0, -v178
.LBB77_88:
	s_or_b32 exec_lo, exec_lo, s1
	ds_store_b64 v237, v[178:179]
.LBB77_89:
	s_or_b32 exec_lo, exec_lo, s2
	s_wait_dscnt 0x0
	s_barrier_signal -1
	s_barrier_wait -1
	ds_load_b64 v[176:177], v237
	s_mov_b32 s1, exec_lo
	v_cmpx_lt_u32_e32 9, v236
	s_cbranch_execz .LBB77_91
; %bb.90:
	ds_load_2addr_b64 v[182:185], v238 offset0:10 offset1:11
	ds_load_2addr_b64 v[186:189], v238 offset0:12 offset1:13
	ds_load_2addr_b64 v[190:193], v238 offset0:14 offset1:15
	s_wait_dscnt 0x3
	v_pk_mul_f32 v[180:181], v[176:177], v[74:75] op_sel:[1,1] op_sel_hi:[0,1]
	ds_load_2addr_b64 v[194:197], v238 offset0:16 offset1:17
	ds_load_2addr_b64 v[198:201], v238 offset0:18 offset1:19
	v_pk_fma_f32 v[178:179], v[176:177], v[74:75], v[180:181] op_sel_hi:[1,0,1] neg_lo:[0,0,1] neg_hi:[0,0,1]
	v_pk_fma_f32 v[180:181], v[176:177], v[74:75], v[180:181] op_sel_hi:[1,0,1]
	s_delay_alu instid0(VALU_DEP_1) | instskip(SKIP_1) | instid1(VALU_DEP_2)
	v_dual_mov_b32 v74, v178 :: v_dual_mov_b32 v75, v181
	s_wait_dscnt 0x4
	v_pk_mul_f32 v[202:203], v[182:183], v[180:181] op_sel:[0,1]
	v_pk_mul_f32 v[204:205], v[184:185], v[180:181] op_sel:[0,1]
	s_wait_dscnt 0x3
	v_pk_mul_f32 v[206:207], v[186:187], v[180:181] op_sel:[0,1]
	v_dual_mov_b32 v208, v189 :: v_dual_mov_b32 v209, v188
	v_dual_mul_f32 v210, v189, v181 :: v_dual_mul_f32 v212, v189, v178
	s_wait_dscnt 0x2
	v_pk_mul_f32 v[214:215], v[190:191], v[180:181] op_sel:[0,1]
	v_pk_mul_f32 v[216:217], v[192:193], v[180:181] op_sel:[0,1]
	v_pk_fma_f32 v[218:219], v[182:183], v[178:179], v[202:203] op_sel:[0,0,1] op_sel_hi:[1,1,0] neg_lo:[0,0,1] neg_hi:[0,0,1]
	v_pk_fma_f32 v[182:183], v[182:183], v[178:179], v[202:203] op_sel:[0,0,1] op_sel_hi:[1,0,0]
	v_pk_fma_f32 v[202:203], v[184:185], v[178:179], v[204:205] op_sel:[0,0,1] op_sel_hi:[1,1,0] neg_lo:[0,0,1] neg_hi:[0,0,1]
	v_pk_fma_f32 v[184:185], v[184:185], v[178:179], v[204:205] op_sel:[0,0,1] op_sel_hi:[1,0,0]
	v_pk_fma_f32 v[204:205], v[186:187], v[178:179], v[206:207] op_sel:[0,0,1] op_sel_hi:[1,1,0] neg_lo:[0,0,1] neg_hi:[0,0,1]
	v_pk_fma_f32 v[186:187], v[186:187], v[178:179], v[206:207] op_sel:[0,0,1] op_sel_hi:[1,0,0]
	v_pk_fma_f32 v[206:207], v[208:209], v[74:75], v[212:213] op_sel_hi:[1,1,0]
	v_pk_fma_f32 v[208:209], v[190:191], v[178:179], v[214:215] op_sel:[0,0,1] op_sel_hi:[1,1,0] neg_lo:[0,0,1] neg_hi:[0,0,1]
	v_pk_fma_f32 v[190:191], v[190:191], v[178:179], v[214:215] op_sel:[0,0,1] op_sel_hi:[1,0,0]
	v_dual_mov_b32 v219, v183 :: v_dual_mov_b32 v203, v185
	v_pk_fma_f32 v[182:183], v[192:193], v[178:179], v[216:217] op_sel:[0,0,1] op_sel_hi:[1,0,0]
	v_pk_fma_f32 v[184:185], v[192:193], v[178:179], v[216:217] op_sel:[0,0,1] op_sel_hi:[1,1,0] neg_lo:[0,0,1] neg_hi:[0,0,1]
	s_delay_alu instid0(VALU_DEP_4)
	v_mov_b32_e32 v209, v191
	v_pk_fma_f32 v[188:189], v[188:189], v[74:75], v[210:211] op_sel_hi:[1,1,0] neg_lo:[0,0,1] neg_hi:[0,0,1]
	v_dual_mov_b32 v205, v187 :: v_dual_mov_b32 v189, v207
	v_mov_b32_e32 v185, v183
	s_wait_dscnt 0x1
	v_pk_mul_f32 v[186:187], v[194:195], v[180:181] op_sel:[0,1]
	v_pk_add_f32 v[72:73], v[72:73], v[202:203] neg_lo:[0,1] neg_hi:[0,1]
	s_wait_dscnt 0x0
	v_pk_mul_f32 v[202:203], v[200:201], v[180:181] op_sel:[0,1]
	v_pk_add_f32 v[88:89], v[88:89], v[188:189] neg_lo:[0,1] neg_hi:[0,1]
	v_pk_add_f32 v[70:71], v[70:71], v[184:185] neg_lo:[0,1] neg_hi:[0,1]
	ds_load_2addr_b64 v[182:185], v238 offset0:20 offset1:21
	v_pk_fma_f32 v[190:191], v[194:195], v[178:179], v[186:187] op_sel:[0,0,1] op_sel_hi:[1,0,0]
	v_pk_fma_f32 v[192:193], v[194:195], v[178:179], v[186:187] op_sel:[0,0,1] op_sel_hi:[1,1,0] neg_lo:[0,0,1] neg_hi:[0,0,1]
	v_pk_mul_f32 v[194:195], v[196:197], v[180:181] op_sel:[0,1]
	ds_load_2addr_b64 v[186:189], v238 offset0:22 offset1:23
	v_mul_f32_e32 v190, v199, v178
	v_pk_add_f32 v[92:93], v[92:93], v[204:205] neg_lo:[0,1] neg_hi:[0,1]
	v_pk_add_f32 v[90:91], v[90:91], v[208:209] neg_lo:[0,1] neg_hi:[0,1]
	v_pk_fma_f32 v[204:205], v[196:197], v[178:179], v[194:195] op_sel:[0,0,1] op_sel_hi:[1,0,0]
	v_mul_f32_e32 v204, v199, v181
	v_mov_b32_e32 v193, v191
	v_pk_fma_f32 v[190:191], v[198:199], v[74:75], v[190:191] op_sel:[1,0,0] op_sel_hi:[0,1,0]
	v_pk_fma_f32 v[194:195], v[196:197], v[178:179], v[194:195] op_sel:[0,0,1] op_sel_hi:[1,1,0] neg_lo:[0,0,1] neg_hi:[0,0,1]
	v_pk_fma_f32 v[196:197], v[200:201], v[178:179], v[202:203] op_sel:[0,0,1] op_sel_hi:[1,0,0]
	v_mov_b32_e32 v195, v205
	v_pk_fma_f32 v[198:199], v[198:199], v[74:75], v[204:205] op_sel_hi:[1,1,0] neg_lo:[0,0,1] neg_hi:[0,0,1]
	v_mov_b32_e32 v199, v191
	v_pk_fma_f32 v[190:191], v[200:201], v[178:179], v[202:203] op_sel:[0,0,1] op_sel_hi:[1,1,0] neg_lo:[0,0,1] neg_hi:[0,0,1]
	v_mov_b32_e32 v191, v197
	v_pk_add_f32 v[106:107], v[106:107], v[194:195] neg_lo:[0,1] neg_hi:[0,1]
	s_wait_dscnt 0x1
	v_pk_mul_f32 v[194:195], v[182:183], v[180:181] op_sel:[0,1]
	v_pk_add_f32 v[110:111], v[110:111], v[192:193] neg_lo:[0,1] neg_hi:[0,1]
	v_pk_add_f32 v[108:109], v[108:109], v[198:199] neg_lo:[0,1] neg_hi:[0,1]
	;; [unrolled: 1-line block ×3, first 2 shown]
	ds_load_2addr_b64 v[190:193], v238 offset0:24 offset1:25
	s_wait_dscnt 0x1
	v_pk_mul_f32 v[200:201], v[186:187], v[180:181] op_sel:[0,1]
	v_pk_mul_f32 v[198:199], v[184:185], v[180:181] op_sel:[0,1]
	v_pk_fma_f32 v[202:203], v[182:183], v[178:179], v[194:195] op_sel:[0,0,1] op_sel_hi:[1,0,0]
	v_pk_fma_f32 v[182:183], v[182:183], v[178:179], v[194:195] op_sel:[0,0,1] op_sel_hi:[1,1,0] neg_lo:[0,0,1] neg_hi:[0,0,1]
	ds_load_2addr_b64 v[194:197], v238 offset0:26 offset1:27
	v_pk_fma_f32 v[206:207], v[186:187], v[178:179], v[200:201] op_sel:[0,0,1] op_sel_hi:[1,0,0]
	v_pk_fma_f32 v[204:205], v[184:185], v[178:179], v[198:199] op_sel:[0,0,1] op_sel_hi:[1,0,0]
	v_pk_fma_f32 v[186:187], v[186:187], v[178:179], v[200:201] op_sel:[0,0,1] op_sel_hi:[1,1,0] neg_lo:[0,0,1] neg_hi:[0,0,1]
	v_pk_fma_f32 v[184:185], v[184:185], v[178:179], v[198:199] op_sel:[0,0,1] op_sel_hi:[1,1,0] neg_lo:[0,0,1] neg_hi:[0,0,1]
	s_delay_alu instid0(VALU_DEP_4) | instskip(SKIP_2) | instid1(VALU_DEP_3)
	v_dual_mov_b32 v198, v189 :: v_dual_mov_b32 v187, v207
	v_dual_mov_b32 v199, v188 :: v_dual_mul_f32 v200, v189, v178
	v_dual_mov_b32 v183, v203 :: v_dual_mov_b32 v185, v205
	v_pk_add_f32 v[134:135], v[134:135], v[186:187] neg_lo:[0,1] neg_hi:[0,1]
	v_pk_add_f32 v[76:77], v[76:77], v[218:219] neg_lo:[0,1] neg_hi:[0,1]
	s_delay_alu instid0(VALU_DEP_4)
	v_pk_fma_f32 v[198:199], v[198:199], v[74:75], v[200:201] op_sel_hi:[1,1,0]
	v_mul_f32_e32 v186, v189, v181
	v_pk_add_f32 v[136:137], v[136:137], v[182:183] neg_lo:[0,1] neg_hi:[0,1]
	v_pk_add_f32 v[132:133], v[132:133], v[184:185] neg_lo:[0,1] neg_hi:[0,1]
	ds_load_2addr_b64 v[182:185], v238 offset0:28 offset1:29
	s_wait_dscnt 0x2
	v_pk_mul_f32 v[200:201], v[190:191], v[180:181] op_sel:[0,1]
	v_pk_mul_f32 v[202:203], v[192:193], v[180:181] op_sel:[0,1]
	v_pk_fma_f32 v[204:205], v[188:189], v[74:75], v[186:187] op_sel_hi:[1,1,0] neg_lo:[0,0,1] neg_hi:[0,0,1]
	v_mov_b32_e32 v205, v199
	s_wait_dscnt 0x1
	v_pk_mul_f32 v[198:199], v[194:195], v[180:181] op_sel:[0,1]
	ds_load_2addr_b64 v[186:189], v238 offset0:30 offset1:31
	v_pk_fma_f32 v[206:207], v[190:191], v[178:179], v[200:201] op_sel:[0,0,1] op_sel_hi:[1,0,0]
	v_pk_fma_f32 v[208:209], v[192:193], v[178:179], v[202:203] op_sel:[0,0,1] op_sel_hi:[1,0,0]
	v_pk_fma_f32 v[190:191], v[190:191], v[178:179], v[200:201] op_sel:[0,0,1] op_sel_hi:[1,1,0] neg_lo:[0,0,1] neg_hi:[0,0,1]
	v_pk_fma_f32 v[200:201], v[194:195], v[178:179], v[198:199] op_sel:[0,0,1] op_sel_hi:[1,0,0]
	v_pk_fma_f32 v[192:193], v[192:193], v[178:179], v[202:203] op_sel:[0,0,1] op_sel_hi:[1,1,0] neg_lo:[0,0,1] neg_hi:[0,0,1]
	s_delay_alu instid0(VALU_DEP_4) | instskip(SKIP_1) | instid1(VALU_DEP_4)
	v_dual_mov_b32 v191, v207 :: v_dual_mov_b32 v193, v209
	v_pk_fma_f32 v[194:195], v[194:195], v[178:179], v[198:199] op_sel:[0,0,1] op_sel_hi:[1,1,0] neg_lo:[0,0,1] neg_hi:[0,0,1]
	v_mov_b32_e32 v195, v201
	v_pk_mul_f32 v[198:199], v[196:197], v[180:181] op_sel:[0,1]
	s_delay_alu instid0(VALU_DEP_4)
	v_pk_add_f32 v[150:151], v[150:151], v[190:191] neg_lo:[0,1] neg_hi:[0,1]
	v_pk_add_f32 v[146:147], v[146:147], v[192:193] neg_lo:[0,1] neg_hi:[0,1]
	ds_load_2addr_b64 v[190:193], v238 offset0:32 offset1:33
	s_wait_dscnt 0x2
	v_mul_f32_e32 v200, v183, v178
	v_pk_add_f32 v[148:149], v[148:149], v[194:195] neg_lo:[0,1] neg_hi:[0,1]
	v_pk_fma_f32 v[194:195], v[196:197], v[178:179], v[198:199] op_sel:[0,0,1] op_sel_hi:[1,1,0] neg_lo:[0,0,1] neg_hi:[0,0,1]
	v_pk_fma_f32 v[196:197], v[196:197], v[178:179], v[198:199] op_sel:[0,0,1] op_sel_hi:[1,0,0]
	v_mul_f32_e32 v196, v183, v181
	v_pk_mul_f32 v[198:199], v[184:185], v[180:181] op_sel:[0,1]
	v_pk_add_f32 v[104:105], v[104:105], v[204:205] neg_lo:[0,1] neg_hi:[0,1]
	v_pk_fma_f32 v[200:201], v[182:183], v[74:75], v[200:201] op_sel:[1,0,0] op_sel_hi:[0,1,0]
	s_wait_dscnt 0x1
	v_pk_mul_f32 v[202:203], v[186:187], v[180:181] op_sel:[0,1]
	v_mov_b32_e32 v195, v197
	v_pk_fma_f32 v[204:205], v[184:185], v[178:179], v[198:199] op_sel:[0,0,1] op_sel_hi:[1,0,0]
	v_pk_fma_f32 v[196:197], v[182:183], v[74:75], v[196:197] op_sel_hi:[1,1,0] neg_lo:[0,0,1] neg_hi:[0,0,1]
	v_pk_fma_f32 v[198:199], v[184:185], v[178:179], v[198:199] op_sel:[0,0,1] op_sel_hi:[1,1,0] neg_lo:[0,0,1] neg_hi:[0,0,1]
	ds_load_2addr_b64 v[182:185], v238 offset0:34 offset1:35
	v_dual_mov_b32 v197, v201 :: v_dual_mov_b32 v199, v205
	v_pk_fma_f32 v[200:201], v[186:187], v[178:179], v[202:203] op_sel:[0,0,1] op_sel_hi:[1,0,0]
	v_pk_fma_f32 v[186:187], v[186:187], v[178:179], v[202:203] op_sel:[0,0,1] op_sel_hi:[1,1,0] neg_lo:[0,0,1] neg_hi:[0,0,1]
	v_pk_add_f32 v[94:95], v[94:95], v[194:195] neg_lo:[0,1] neg_hi:[0,1]
	s_delay_alu instid0(VALU_DEP_4)
	v_pk_add_f32 v[120:121], v[120:121], v[196:197] neg_lo:[0,1] neg_hi:[0,1]
	v_pk_add_f32 v[116:117], v[116:117], v[198:199] neg_lo:[0,1] neg_hi:[0,1]
	v_mov_b32_e32 v187, v201
	v_pk_mul_f32 v[200:201], v[188:189], v[180:181] op_sel:[0,1]
	s_wait_dscnt 0x1
	v_pk_mul_f32 v[198:199], v[190:191], v[180:181] op_sel:[0,1]
	ds_load_b64 v[202:203], v238 offset:304
	v_pk_fma_f32 v[196:197], v[188:189], v[178:179], v[200:201] op_sel:[0,0,1] op_sel_hi:[1,0,0]
	v_pk_fma_f32 v[194:195], v[188:189], v[178:179], v[200:201] op_sel:[0,0,1] op_sel_hi:[1,1,0] neg_lo:[0,0,1] neg_hi:[0,0,1]
	v_mov_b32_e32 v200, v193
	v_pk_add_f32 v[118:119], v[118:119], v[186:187] neg_lo:[0,1] neg_hi:[0,1]
	ds_load_2addr_b64 v[186:189], v238 offset0:36 offset1:37
	v_pk_fma_f32 v[204:205], v[190:191], v[178:179], v[198:199] op_sel:[0,0,1] op_sel_hi:[1,0,0]
	v_mov_b32_e32 v195, v197
	v_pk_fma_f32 v[190:191], v[190:191], v[178:179], v[198:199] op_sel:[0,0,1] op_sel_hi:[1,1,0] neg_lo:[0,0,1] neg_hi:[0,0,1]
	s_wait_dscnt 0x2
	v_pk_mul_f32 v[198:199], v[182:183], v[180:181] op_sel:[0,1]
	v_dual_mov_b32 v201, v192 :: v_dual_mul_f32 v196, v193, v178
	v_mov_b32_e32 v191, v205
	v_pk_add_f32 v[114:115], v[114:115], v[194:195] neg_lo:[0,1] neg_hi:[0,1]
	s_delay_alu instid0(VALU_DEP_4)
	v_pk_fma_f32 v[194:195], v[182:183], v[178:179], v[198:199] op_sel:[0,0,1] op_sel_hi:[1,0,0]
	v_mul_f32_e32 v204, v193, v181
	v_pk_fma_f32 v[196:197], v[200:201], v[74:75], v[196:197] op_sel_hi:[1,1,0]
	v_pk_add_f32 v[142:143], v[142:143], v[190:191] neg_lo:[0,1] neg_hi:[0,1]
	v_pk_mul_f32 v[190:191], v[184:185], v[180:181] op_sel:[0,1]
	v_pk_fma_f32 v[182:183], v[182:183], v[178:179], v[198:199] op_sel:[0,0,1] op_sel_hi:[1,1,0] neg_lo:[0,0,1] neg_hi:[0,0,1]
	v_mov_b32_e32 v183, v195
	v_pk_fma_f32 v[192:193], v[192:193], v[74:75], v[204:205] op_sel_hi:[1,1,0] neg_lo:[0,0,1] neg_hi:[0,0,1]
	s_delay_alu instid0(VALU_DEP_4)
	v_pk_fma_f32 v[194:195], v[184:185], v[178:179], v[190:191] op_sel:[0,0,1] op_sel_hi:[1,0,0]
	v_mov_b32_e32 v193, v197
	v_pk_fma_f32 v[184:185], v[184:185], v[178:179], v[190:191] op_sel:[0,0,1] op_sel_hi:[1,1,0] neg_lo:[0,0,1] neg_hi:[0,0,1]
	s_wait_dscnt 0x0
	v_pk_mul_f32 v[196:197], v[188:189], v[180:181] op_sel:[0,1]
	v_pk_add_f32 v[140:141], v[140:141], v[182:183] neg_lo:[0,1] neg_hi:[0,1]
	v_mov_b32_e32 v185, v195
	v_pk_add_f32 v[138:139], v[138:139], v[192:193] neg_lo:[0,1] neg_hi:[0,1]
	v_pk_mul_f32 v[192:193], v[186:187], v[180:181] op_sel:[0,1]
	v_pk_mul_f32 v[180:181], v[202:203], v[180:181] op_sel:[0,1]
	v_pk_fma_f32 v[194:195], v[188:189], v[178:179], v[196:197] op_sel:[0,0,1] op_sel_hi:[1,0,0]
	v_pk_fma_f32 v[188:189], v[188:189], v[178:179], v[196:197] op_sel:[0,0,1] op_sel_hi:[1,1,0] neg_lo:[0,0,1] neg_hi:[0,0,1]
	v_pk_add_f32 v[154:155], v[154:155], v[184:185] neg_lo:[0,1] neg_hi:[0,1]
	v_pk_fma_f32 v[190:191], v[186:187], v[178:179], v[192:193] op_sel:[0,0,1] op_sel_hi:[1,0,0]
	v_pk_fma_f32 v[186:187], v[186:187], v[178:179], v[192:193] op_sel:[0,0,1] op_sel_hi:[1,1,0] neg_lo:[0,0,1] neg_hi:[0,0,1]
	v_pk_fma_f32 v[192:193], v[202:203], v[178:179], v[180:181] op_sel:[0,0,1] op_sel_hi:[1,0,0]
	v_pk_fma_f32 v[178:179], v[202:203], v[178:179], v[180:181] op_sel:[0,0,1] op_sel_hi:[1,1,0] neg_lo:[0,0,1] neg_hi:[0,0,1]
	s_delay_alu instid0(VALU_DEP_4) | instskip(NEXT) | instid1(VALU_DEP_3)
	v_dual_mov_b32 v189, v195 :: v_dual_mov_b32 v187, v191
	v_mov_b32_e32 v179, v193
	s_delay_alu instid0(VALU_DEP_2) | instskip(NEXT) | instid1(VALU_DEP_3)
	v_pk_add_f32 v[144:145], v[144:145], v[188:189] neg_lo:[0,1] neg_hi:[0,1]
	v_pk_add_f32 v[152:153], v[152:153], v[186:187] neg_lo:[0,1] neg_hi:[0,1]
	s_delay_alu instid0(VALU_DEP_3)
	v_pk_add_f32 v[156:157], v[156:157], v[178:179] neg_lo:[0,1] neg_hi:[0,1]
.LBB77_91:
	s_or_b32 exec_lo, exec_lo, s1
	s_delay_alu instid0(SALU_CYCLE_1)
	s_mov_b32 s2, exec_lo
	s_wait_dscnt 0x0
	s_barrier_signal -1
	s_barrier_wait -1
	v_cmpx_eq_u32_e32 10, v236
	s_cbranch_execz .LBB77_98
; %bb.92:
	ds_store_b64 v237, v[76:77]
	ds_store_2addr_b64 v238, v[72:73], v[92:93] offset0:11 offset1:12
	ds_store_2addr_b64 v238, v[88:89], v[90:91] offset0:13 offset1:14
	;; [unrolled: 1-line block ×14, first 2 shown]
	ds_load_b64 v[178:179], v237
	s_wait_dscnt 0x0
	v_cmp_neq_f32_e32 vcc_lo, 0, v178
	v_cmp_neq_f32_e64 s1, 0, v179
	s_or_b32 s1, vcc_lo, s1
	s_delay_alu instid0(SALU_CYCLE_1)
	s_and_b32 exec_lo, exec_lo, s1
	s_cbranch_execz .LBB77_98
; %bb.93:
	v_cmp_ngt_f32_e64 s1, |v178|, |v179|
                                        ; implicit-def: $vgpr180_vgpr181
	s_and_saveexec_b32 s4, s1
	s_delay_alu instid0(SALU_CYCLE_1)
	s_xor_b32 s1, exec_lo, s4
	s_cbranch_execz .LBB77_95
; %bb.94:
	v_div_scale_f32 v0, null, v179, v179, v178
	v_div_scale_f32 v181, vcc_lo, v178, v179, v178
	s_delay_alu instid0(VALU_DEP_2) | instskip(SKIP_1) | instid1(TRANS32_DEP_1)
	v_rcp_f32_e32 v1, v0
	v_nop
	v_fma_f32 v180, -v0, v1, 1.0
	s_delay_alu instid0(VALU_DEP_1) | instskip(NEXT) | instid1(VALU_DEP_1)
	v_fmac_f32_e32 v1, v180, v1
	v_mul_f32_e32 v180, v181, v1
	s_delay_alu instid0(VALU_DEP_1) | instskip(NEXT) | instid1(VALU_DEP_1)
	v_fma_f32 v182, -v0, v180, v181
	v_fmac_f32_e32 v180, v182, v1
	s_delay_alu instid0(VALU_DEP_1) | instskip(NEXT) | instid1(VALU_DEP_1)
	v_fma_f32 v0, -v0, v180, v181
	v_div_fmas_f32 v0, v0, v1, v180
	s_delay_alu instid0(VALU_DEP_1) | instskip(NEXT) | instid1(VALU_DEP_1)
	v_div_fixup_f32 v0, v0, v179, v178
	v_fmac_f32_e32 v179, v178, v0
	s_delay_alu instid0(VALU_DEP_1) | instskip(SKIP_1) | instid1(VALU_DEP_2)
	v_div_scale_f32 v1, null, v179, v179, 1.0
	v_div_scale_f32 v181, vcc_lo, 1.0, v179, 1.0
	v_rcp_f32_e32 v178, v1
	v_nop
	s_delay_alu instid0(TRANS32_DEP_1) | instskip(NEXT) | instid1(VALU_DEP_1)
	v_fma_f32 v180, -v1, v178, 1.0
	v_fmac_f32_e32 v178, v180, v178
	s_delay_alu instid0(VALU_DEP_1) | instskip(NEXT) | instid1(VALU_DEP_1)
	v_mul_f32_e32 v180, v181, v178
	v_fma_f32 v182, -v1, v180, v181
	s_delay_alu instid0(VALU_DEP_1) | instskip(NEXT) | instid1(VALU_DEP_1)
	v_fmac_f32_e32 v180, v182, v178
	v_fma_f32 v1, -v1, v180, v181
	s_delay_alu instid0(VALU_DEP_1) | instskip(NEXT) | instid1(VALU_DEP_1)
	v_div_fmas_f32 v1, v1, v178, v180
	v_div_fixup_f32 v1, v1, v179, 1.0
                                        ; implicit-def: $vgpr178_vgpr179
	s_delay_alu instid0(VALU_DEP_1)
	v_mul_f32_e32 v180, v0, v1
	v_xor_b32_e32 v181, 0x80000000, v1
.LBB77_95:
	s_and_not1_saveexec_b32 s1, s1
	s_cbranch_execz .LBB77_97
; %bb.96:
	v_div_scale_f32 v0, null, v178, v178, v179
	v_div_scale_f32 v181, vcc_lo, v179, v178, v179
	s_delay_alu instid0(VALU_DEP_2) | instskip(SKIP_1) | instid1(TRANS32_DEP_1)
	v_rcp_f32_e32 v1, v0
	v_nop
	v_fma_f32 v180, -v0, v1, 1.0
	s_delay_alu instid0(VALU_DEP_1) | instskip(NEXT) | instid1(VALU_DEP_1)
	v_fmac_f32_e32 v1, v180, v1
	v_mul_f32_e32 v180, v181, v1
	s_delay_alu instid0(VALU_DEP_1) | instskip(NEXT) | instid1(VALU_DEP_1)
	v_fma_f32 v182, -v0, v180, v181
	v_fmac_f32_e32 v180, v182, v1
	s_delay_alu instid0(VALU_DEP_1) | instskip(NEXT) | instid1(VALU_DEP_1)
	v_fma_f32 v0, -v0, v180, v181
	v_div_fmas_f32 v0, v0, v1, v180
	s_delay_alu instid0(VALU_DEP_1) | instskip(NEXT) | instid1(VALU_DEP_1)
	v_div_fixup_f32 v0, v0, v178, v179
	v_fmac_f32_e32 v178, v179, v0
	s_delay_alu instid0(VALU_DEP_1) | instskip(NEXT) | instid1(VALU_DEP_1)
	v_div_scale_f32 v1, null, v178, v178, 1.0
	v_rcp_f32_e32 v179, v1
	v_nop
	s_delay_alu instid0(TRANS32_DEP_1) | instskip(NEXT) | instid1(VALU_DEP_1)
	v_fma_f32 v180, -v1, v179, 1.0
	v_fmac_f32_e32 v179, v180, v179
	v_div_scale_f32 v180, vcc_lo, 1.0, v178, 1.0
	s_delay_alu instid0(VALU_DEP_1) | instskip(NEXT) | instid1(VALU_DEP_1)
	v_mul_f32_e32 v181, v180, v179
	v_fma_f32 v182, -v1, v181, v180
	s_delay_alu instid0(VALU_DEP_1) | instskip(NEXT) | instid1(VALU_DEP_1)
	v_fmac_f32_e32 v181, v182, v179
	v_fma_f32 v1, -v1, v181, v180
	s_delay_alu instid0(VALU_DEP_1) | instskip(NEXT) | instid1(VALU_DEP_1)
	v_div_fmas_f32 v1, v1, v179, v181
	v_div_fixup_f32 v180, v1, v178, 1.0
	s_delay_alu instid0(VALU_DEP_1)
	v_mul_f32_e64 v181, v0, -v180
.LBB77_97:
	s_or_b32 exec_lo, exec_lo, s1
	ds_store_b64 v237, v[180:181]
.LBB77_98:
	s_or_b32 exec_lo, exec_lo, s2
	s_wait_dscnt 0x0
	s_barrier_signal -1
	s_barrier_wait -1
	ds_load_b64 v[178:179], v237
	s_mov_b32 s1, exec_lo
	v_cmpx_lt_u32_e32 10, v236
	s_cbranch_execz .LBB77_100
; %bb.99:
	ds_load_2addr_b64 v[184:187], v238 offset0:11 offset1:12
	ds_load_2addr_b64 v[188:191], v238 offset0:13 offset1:14
	;; [unrolled: 1-line block ×3, first 2 shown]
	s_wait_dscnt 0x3
	v_pk_mul_f32 v[182:183], v[178:179], v[76:77] op_sel:[1,1] op_sel_hi:[0,1]
	ds_load_2addr_b64 v[196:199], v238 offset0:17 offset1:18
	ds_load_2addr_b64 v[200:203], v238 offset0:19 offset1:20
	v_pk_fma_f32 v[180:181], v[178:179], v[76:77], v[182:183] op_sel_hi:[1,0,1] neg_lo:[0,0,1] neg_hi:[0,0,1]
	v_pk_fma_f32 v[182:183], v[178:179], v[76:77], v[182:183] op_sel_hi:[1,0,1]
	s_delay_alu instid0(VALU_DEP_1) | instskip(SKIP_1) | instid1(VALU_DEP_2)
	v_dual_mov_b32 v76, v180 :: v_dual_mov_b32 v77, v183
	s_wait_dscnt 0x4
	v_pk_mul_f32 v[204:205], v[184:185], v[182:183] op_sel:[0,1]
	v_pk_mul_f32 v[206:207], v[186:187], v[182:183] op_sel:[0,1]
	s_wait_dscnt 0x3
	v_pk_mul_f32 v[208:209], v[188:189], v[182:183] op_sel:[0,1]
	v_dual_mov_b32 v210, v191 :: v_dual_mov_b32 v211, v190
	v_dual_mul_f32 v212, v191, v183 :: v_dual_mul_f32 v214, v191, v180
	s_wait_dscnt 0x2
	v_pk_mul_f32 v[216:217], v[192:193], v[182:183] op_sel:[0,1]
	v_pk_mul_f32 v[218:219], v[194:195], v[182:183] op_sel:[0,1]
	v_pk_fma_f32 v[220:221], v[184:185], v[180:181], v[204:205] op_sel:[0,0,1] op_sel_hi:[1,1,0] neg_lo:[0,0,1] neg_hi:[0,0,1]
	v_pk_fma_f32 v[184:185], v[184:185], v[180:181], v[204:205] op_sel:[0,0,1] op_sel_hi:[1,0,0]
	v_pk_fma_f32 v[204:205], v[186:187], v[180:181], v[206:207] op_sel:[0,0,1] op_sel_hi:[1,1,0] neg_lo:[0,0,1] neg_hi:[0,0,1]
	v_pk_fma_f32 v[186:187], v[186:187], v[180:181], v[206:207] op_sel:[0,0,1] op_sel_hi:[1,0,0]
	;; [unrolled: 2-line block ×3, first 2 shown]
	v_pk_fma_f32 v[208:209], v[210:211], v[76:77], v[214:215] op_sel_hi:[1,1,0]
	v_pk_fma_f32 v[190:191], v[190:191], v[76:77], v[212:213] op_sel_hi:[1,1,0] neg_lo:[0,0,1] neg_hi:[0,0,1]
	v_dual_mov_b32 v221, v185 :: v_dual_mov_b32 v205, v187
	s_delay_alu instid0(VALU_DEP_3)
	v_dual_mov_b32 v207, v189 :: v_dual_mov_b32 v191, v209
	v_pk_fma_f32 v[184:185], v[192:193], v[180:181], v[216:217] op_sel:[0,0,1] op_sel_hi:[1,0,0]
	v_pk_fma_f32 v[188:189], v[194:195], v[180:181], v[218:219] op_sel:[0,0,1] op_sel_hi:[1,0,0]
	v_pk_fma_f32 v[210:211], v[192:193], v[180:181], v[216:217] op_sel:[0,0,1] op_sel_hi:[1,1,0] neg_lo:[0,0,1] neg_hi:[0,0,1]
	v_pk_fma_f32 v[192:193], v[194:195], v[180:181], v[218:219] op_sel:[0,0,1] op_sel_hi:[1,1,0] neg_lo:[0,0,1] neg_hi:[0,0,1]
	s_wait_dscnt 0x1
	v_pk_mul_f32 v[194:195], v[196:197], v[182:183] op_sel:[0,1]
	v_dual_mov_b32 v211, v185 :: v_dual_mov_b32 v193, v189
	ds_load_2addr_b64 v[184:187], v238 offset0:21 offset1:22
	v_pk_add_f32 v[90:91], v[90:91], v[190:191] neg_lo:[0,1] neg_hi:[0,1]
	v_pk_mul_f32 v[190:191], v[198:199], v[182:183] op_sel:[0,1]
	v_pk_fma_f32 v[188:189], v[196:197], v[180:181], v[194:195] op_sel:[0,0,1] op_sel_hi:[1,0,0]
	s_wait_dscnt 0x1
	v_mul_f32_e32 v188, v201, v180
	v_pk_add_f32 v[110:111], v[110:111], v[192:193] neg_lo:[0,1] neg_hi:[0,1]
	v_pk_fma_f32 v[192:193], v[196:197], v[180:181], v[194:195] op_sel:[0,0,1] op_sel_hi:[1,1,0] neg_lo:[0,0,1] neg_hi:[0,0,1]
	v_pk_fma_f32 v[194:195], v[198:199], v[180:181], v[190:191] op_sel:[0,0,1] op_sel_hi:[1,0,0]
	v_mul_f32_e32 v194, v201, v183
	v_pk_fma_f32 v[196:197], v[200:201], v[76:77], v[188:189] op_sel:[1,0,0] op_sel_hi:[0,1,0]
	v_pk_fma_f32 v[198:199], v[198:199], v[180:181], v[190:191] op_sel:[0,0,1] op_sel_hi:[1,1,0] neg_lo:[0,0,1] neg_hi:[0,0,1]
	s_delay_alu instid0(VALU_DEP_4) | instskip(NEXT) | instid1(VALU_DEP_4)
	v_dual_mov_b32 v193, v189 :: v_dual_mov_b32 v199, v195
	v_pk_fma_f32 v[194:195], v[200:201], v[76:77], v[194:195] op_sel_hi:[1,1,0] neg_lo:[0,0,1] neg_hi:[0,0,1]
	ds_load_2addr_b64 v[188:191], v238 offset0:23 offset1:24
	v_mov_b32_e32 v195, v197
	v_pk_mul_f32 v[196:197], v[202:203], v[182:183] op_sel:[0,1]
	v_pk_add_f32 v[92:93], v[92:93], v[204:205] neg_lo:[0,1] neg_hi:[0,1]
	v_pk_add_f32 v[106:107], v[106:107], v[192:193] neg_lo:[0,1] neg_hi:[0,1]
	;; [unrolled: 1-line block ×3, first 2 shown]
	s_wait_dscnt 0x1
	v_pk_mul_f32 v[200:201], v[184:185], v[182:183] op_sel:[0,1]
	v_pk_fma_f32 v[204:205], v[202:203], v[180:181], v[196:197] op_sel:[0,0,1] op_sel_hi:[1,0,0]
	v_pk_fma_f32 v[196:197], v[202:203], v[180:181], v[196:197] op_sel:[0,0,1] op_sel_hi:[1,1,0] neg_lo:[0,0,1] neg_hi:[0,0,1]
	v_pk_add_f32 v[108:109], v[108:109], v[198:199] neg_lo:[0,1] neg_hi:[0,1]
	v_pk_mul_f32 v[198:199], v[186:187], v[182:183] op_sel:[0,1]
	v_pk_fma_f32 v[206:207], v[184:185], v[180:181], v[200:201] op_sel:[0,0,1] op_sel_hi:[1,0,0]
	v_mov_b32_e32 v197, v205
	v_pk_add_f32 v[86:87], v[86:87], v[194:195] neg_lo:[0,1] neg_hi:[0,1]
	ds_load_2addr_b64 v[192:195], v238 offset0:25 offset1:26
	v_pk_fma_f32 v[184:185], v[184:185], v[180:181], v[200:201] op_sel:[0,0,1] op_sel_hi:[1,1,0] neg_lo:[0,0,1] neg_hi:[0,0,1]
	v_pk_fma_f32 v[202:203], v[186:187], v[180:181], v[198:199] op_sel:[0,0,1] op_sel_hi:[1,0,0]
	v_mov_b32_e32 v185, v207
	v_pk_fma_f32 v[198:199], v[186:187], v[180:181], v[198:199] op_sel:[0,0,1] op_sel_hi:[1,1,0] neg_lo:[0,0,1] neg_hi:[0,0,1]
	v_pk_add_f32 v[136:137], v[136:137], v[196:197] neg_lo:[0,1] neg_hi:[0,1]
	s_wait_dscnt 0x1
	v_pk_mul_f32 v[200:201], v[188:189], v[182:183] op_sel:[0,1]
	v_mov_b32_e32 v199, v203
	v_pk_add_f32 v[132:133], v[132:133], v[184:185] neg_lo:[0,1] neg_hi:[0,1]
	ds_load_2addr_b64 v[184:187], v238 offset0:27 offset1:28
	v_pk_add_f32 v[72:73], v[72:73], v[220:221] neg_lo:[0,1] neg_hi:[0,1]
	v_pk_fma_f32 v[196:197], v[188:189], v[180:181], v[200:201] op_sel:[0,0,1] op_sel_hi:[1,0,0]
	v_pk_fma_f32 v[188:189], v[188:189], v[180:181], v[200:201] op_sel:[0,0,1] op_sel_hi:[1,1,0] neg_lo:[0,0,1] neg_hi:[0,0,1]
	v_dual_mov_b32 v200, v191 :: v_dual_mov_b32 v201, v190
	s_delay_alu instid0(VALU_DEP_3)
	v_dual_mul_f32 v202, v191, v180 :: v_dual_mov_b32 v189, v197
	v_pk_add_f32 v[134:135], v[134:135], v[198:199] neg_lo:[0,1] neg_hi:[0,1]
	ds_load_2addr_b64 v[196:199], v238 offset0:29 offset1:30
	v_pk_add_f32 v[70:71], v[70:71], v[210:211] neg_lo:[0,1] neg_hi:[0,1]
	s_wait_dscnt 0x2
	v_pk_mul_f32 v[206:207], v[192:193], v[182:183] op_sel:[0,1]
	v_pk_fma_f32 v[200:201], v[200:201], v[76:77], v[202:203] op_sel_hi:[1,1,0]
	v_mul_f32_e32 v204, v191, v183
	v_pk_add_f32 v[104:105], v[104:105], v[188:189] neg_lo:[0,1] neg_hi:[0,1]
	v_pk_mul_f32 v[202:203], v[194:195], v[182:183] op_sel:[0,1]
	v_pk_fma_f32 v[188:189], v[192:193], v[180:181], v[206:207] op_sel:[0,0,1] op_sel_hi:[1,0,0]
	v_pk_fma_f32 v[192:193], v[192:193], v[180:181], v[206:207] op_sel:[0,0,1] op_sel_hi:[1,1,0] neg_lo:[0,0,1] neg_hi:[0,0,1]
	v_pk_fma_f32 v[204:205], v[190:191], v[76:77], v[204:205] op_sel_hi:[1,1,0] neg_lo:[0,0,1] neg_hi:[0,0,1]
	v_mov_b32_e32 v205, v201
	v_pk_fma_f32 v[200:201], v[194:195], v[180:181], v[202:203] op_sel:[0,0,1] op_sel_hi:[1,0,0]
	v_mov_b32_e32 v193, v189
	ds_load_2addr_b64 v[188:191], v238 offset0:31 offset1:32
	s_wait_dscnt 0x2
	v_pk_mul_f32 v[206:207], v[184:185], v[182:183] op_sel:[0,1]
	v_pk_fma_f32 v[194:195], v[194:195], v[180:181], v[202:203] op_sel:[0,0,1] op_sel_hi:[1,1,0] neg_lo:[0,0,1] neg_hi:[0,0,1]
	v_mov_b32_e32 v195, v201
	v_pk_add_f32 v[146:147], v[146:147], v[192:193] neg_lo:[0,1] neg_hi:[0,1]
	v_pk_mul_f32 v[200:201], v[186:187], v[182:183] op_sel:[0,1]
	v_pk_fma_f32 v[192:193], v[184:185], v[180:181], v[206:207] op_sel:[0,0,1] op_sel_hi:[1,0,0]
	s_wait_dscnt 0x1
	v_mul_f32_e32 v202, v197, v180
	v_pk_fma_f32 v[184:185], v[184:185], v[180:181], v[206:207] op_sel:[0,0,1] op_sel_hi:[1,1,0] neg_lo:[0,0,1] neg_hi:[0,0,1]
	v_pk_add_f32 v[150:151], v[150:151], v[204:205] neg_lo:[0,1] neg_hi:[0,1]
	v_pk_add_f32 v[148:149], v[148:149], v[194:195] neg_lo:[0,1] neg_hi:[0,1]
	v_pk_fma_f32 v[204:205], v[186:187], v[180:181], v[200:201] op_sel:[0,0,1] op_sel_hi:[1,0,0]
	v_mov_b32_e32 v185, v193
	ds_load_2addr_b64 v[192:195], v238 offset0:33 offset1:34
	v_mul_f32_e32 v204, v197, v183
	v_pk_fma_f32 v[202:203], v[196:197], v[76:77], v[202:203] op_sel:[1,0,0] op_sel_hi:[0,1,0]
	v_pk_fma_f32 v[186:187], v[186:187], v[180:181], v[200:201] op_sel:[0,0,1] op_sel_hi:[1,1,0] neg_lo:[0,0,1] neg_hi:[0,0,1]
	v_pk_mul_f32 v[200:201], v[198:199], v[182:183] op_sel:[0,1]
	v_mov_b32_e32 v187, v205
	v_pk_fma_f32 v[196:197], v[196:197], v[76:77], v[204:205] op_sel_hi:[1,1,0] neg_lo:[0,0,1] neg_hi:[0,0,1]
	v_pk_add_f32 v[94:95], v[94:95], v[184:185] neg_lo:[0,1] neg_hi:[0,1]
	s_delay_alu instid0(VALU_DEP_4)
	v_pk_fma_f32 v[184:185], v[198:199], v[180:181], v[200:201] op_sel:[0,0,1] op_sel_hi:[1,0,0]
	v_mov_b32_e32 v197, v203
	s_wait_dscnt 0x1
	v_pk_mul_f32 v[202:203], v[188:189], v[182:183] op_sel:[0,1]
	v_pk_fma_f32 v[198:199], v[198:199], v[180:181], v[200:201] op_sel:[0,0,1] op_sel_hi:[1,1,0] neg_lo:[0,0,1] neg_hi:[0,0,1]
	v_pk_add_f32 v[120:121], v[120:121], v[186:187] neg_lo:[0,1] neg_hi:[0,1]
	v_mov_b32_e32 v199, v185
	v_pk_add_f32 v[116:117], v[116:117], v[196:197] neg_lo:[0,1] neg_hi:[0,1]
	v_pk_fma_f32 v[196:197], v[188:189], v[180:181], v[202:203] op_sel:[0,0,1] op_sel_hi:[1,0,0]
	ds_load_2addr_b64 v[184:187], v238 offset0:35 offset1:36
	v_pk_fma_f32 v[188:189], v[188:189], v[180:181], v[202:203] op_sel:[0,0,1] op_sel_hi:[1,1,0] neg_lo:[0,0,1] neg_hi:[0,0,1]
	v_pk_mul_f32 v[200:201], v[190:191], v[182:183] op_sel:[0,1]
	v_pk_add_f32 v[118:119], v[118:119], v[198:199] neg_lo:[0,1] neg_hi:[0,1]
	s_wait_dscnt 0x1
	v_dual_mov_b32 v189, v197 :: v_dual_mov_b32 v204, v195
	ds_load_2addr_b64 v[196:199], v238 offset0:37 offset1:38
	v_pk_mul_f32 v[202:203], v[192:193], v[182:183] op_sel:[0,1]
	v_mov_b32_e32 v205, v194
	v_pk_add_f32 v[114:115], v[114:115], v[188:189] neg_lo:[0,1] neg_hi:[0,1]
	v_pk_fma_f32 v[188:189], v[190:191], v[180:181], v[200:201] op_sel:[0,0,1] op_sel_hi:[1,1,0] neg_lo:[0,0,1] neg_hi:[0,0,1]
	v_pk_fma_f32 v[190:191], v[190:191], v[180:181], v[200:201] op_sel:[0,0,1] op_sel_hi:[1,0,0]
	v_pk_fma_f32 v[200:201], v[192:193], v[180:181], v[202:203] op_sel:[0,0,1] op_sel_hi:[1,0,0]
	v_mul_f32_e32 v190, v195, v180
	v_pk_fma_f32 v[192:193], v[192:193], v[180:181], v[202:203] op_sel:[0,0,1] op_sel_hi:[1,1,0] neg_lo:[0,0,1] neg_hi:[0,0,1]
	v_mul_f32_e32 v200, v195, v183
	s_delay_alu instid0(VALU_DEP_4) | instskip(NEXT) | instid1(VALU_DEP_4)
	v_dual_mov_b32 v189, v191 :: v_dual_mov_b32 v193, v201
	v_pk_fma_f32 v[190:191], v[204:205], v[76:77], v[190:191] op_sel_hi:[1,1,0]
	s_delay_alu instid0(VALU_DEP_2)
	v_pk_add_f32 v[142:143], v[142:143], v[188:189] neg_lo:[0,1] neg_hi:[0,1]
	s_wait_dscnt 0x1
	v_pk_mul_f32 v[188:189], v[184:185], v[182:183] op_sel:[0,1]
	v_pk_add_f32 v[138:139], v[138:139], v[192:193] neg_lo:[0,1] neg_hi:[0,1]
	v_pk_fma_f32 v[192:193], v[194:195], v[76:77], v[200:201] op_sel_hi:[1,1,0] neg_lo:[0,0,1] neg_hi:[0,0,1]
	v_mov_b32_e32 v193, v191
	v_pk_mul_f32 v[190:191], v[186:187], v[182:183] op_sel:[0,1]
	v_pk_fma_f32 v[194:195], v[184:185], v[180:181], v[188:189] op_sel:[0,0,1] op_sel_hi:[1,0,0]
	s_wait_dscnt 0x0
	v_pk_mul_f32 v[200:201], v[196:197], v[182:183] op_sel:[0,1]
	v_pk_mul_f32 v[182:183], v[198:199], v[182:183] op_sel:[0,1]
	v_pk_fma_f32 v[184:185], v[184:185], v[180:181], v[188:189] op_sel:[0,0,1] op_sel_hi:[1,1,0] neg_lo:[0,0,1] neg_hi:[0,0,1]
	v_pk_fma_f32 v[188:189], v[186:187], v[180:181], v[190:191] op_sel:[0,0,1] op_sel_hi:[1,0,0]
	v_mov_b32_e32 v185, v195
	v_pk_fma_f32 v[194:195], v[196:197], v[180:181], v[200:201] op_sel:[0,0,1] op_sel_hi:[1,0,0]
	v_pk_fma_f32 v[186:187], v[186:187], v[180:181], v[190:191] op_sel:[0,0,1] op_sel_hi:[1,1,0] neg_lo:[0,0,1] neg_hi:[0,0,1]
	v_pk_fma_f32 v[190:191], v[198:199], v[180:181], v[182:183] op_sel:[0,0,1] op_sel_hi:[1,0,0]
	v_mov_b32_e32 v187, v189
	v_pk_fma_f32 v[188:189], v[196:197], v[180:181], v[200:201] op_sel:[0,0,1] op_sel_hi:[1,1,0] neg_lo:[0,0,1] neg_hi:[0,0,1]
	v_pk_fma_f32 v[180:181], v[198:199], v[180:181], v[182:183] op_sel:[0,0,1] op_sel_hi:[1,1,0] neg_lo:[0,0,1] neg_hi:[0,0,1]
	s_delay_alu instid0(VALU_DEP_4) | instskip(SKIP_3) | instid1(VALU_DEP_4)
	v_dual_mov_b32 v189, v195 :: v_dual_mov_b32 v181, v191
	v_pk_add_f32 v[140:141], v[140:141], v[192:193] neg_lo:[0,1] neg_hi:[0,1]
	v_pk_add_f32 v[154:155], v[154:155], v[184:185] neg_lo:[0,1] neg_hi:[0,1]
	;; [unrolled: 1-line block ×5, first 2 shown]
.LBB77_100:
	s_or_b32 exec_lo, exec_lo, s1
	s_delay_alu instid0(SALU_CYCLE_1)
	s_mov_b32 s2, exec_lo
	s_wait_dscnt 0x0
	s_barrier_signal -1
	s_barrier_wait -1
	v_cmpx_eq_u32_e32 11, v236
	s_cbranch_execz .LBB77_107
; %bb.101:
	v_dual_mov_b32 v180, v92 :: v_dual_mov_b32 v181, v93
	v_dual_mov_b32 v182, v88 :: v_dual_mov_b32 v183, v89
	;; [unrolled: 1-line block ×4, first 2 shown]
	ds_store_b64 v237, v[72:73]
	ds_store_2addr_b64 v238, v[180:181], v[182:183] offset0:12 offset1:13
	ds_store_2addr_b64 v238, v[184:185], v[186:187] offset0:14 offset1:15
	v_dual_mov_b32 v180, v110 :: v_dual_mov_b32 v181, v111
	v_dual_mov_b32 v182, v106 :: v_dual_mov_b32 v183, v107
	;; [unrolled: 1-line block ×12, first 2 shown]
	ds_store_2addr_b64 v238, v[180:181], v[182:183] offset0:16 offset1:17
	ds_store_2addr_b64 v238, v[184:185], v[186:187] offset0:18 offset1:19
	;; [unrolled: 1-line block ×6, first 2 shown]
	v_dual_mov_b32 v180, v120 :: v_dual_mov_b32 v181, v121
	v_dual_mov_b32 v182, v116 :: v_dual_mov_b32 v183, v117
	;; [unrolled: 1-line block ×10, first 2 shown]
	ds_store_2addr_b64 v238, v[180:181], v[182:183] offset0:28 offset1:29
	ds_store_2addr_b64 v238, v[184:185], v[186:187] offset0:30 offset1:31
	;; [unrolled: 1-line block ×5, first 2 shown]
	ds_store_b64 v238, v[156:157] offset:304
	ds_load_b64 v[180:181], v237
	s_wait_dscnt 0x0
	v_cmp_neq_f32_e32 vcc_lo, 0, v180
	v_cmp_neq_f32_e64 s1, 0, v181
	s_or_b32 s1, vcc_lo, s1
	s_delay_alu instid0(SALU_CYCLE_1)
	s_and_b32 exec_lo, exec_lo, s1
	s_cbranch_execz .LBB77_107
; %bb.102:
	v_cmp_ngt_f32_e64 s1, |v180|, |v181|
                                        ; implicit-def: $vgpr182_vgpr183
	s_and_saveexec_b32 s4, s1
	s_delay_alu instid0(SALU_CYCLE_1)
	s_xor_b32 s1, exec_lo, s4
	s_cbranch_execz .LBB77_104
; %bb.103:
	v_div_scale_f32 v0, null, v181, v181, v180
	v_div_scale_f32 v183, vcc_lo, v180, v181, v180
	s_delay_alu instid0(VALU_DEP_2) | instskip(SKIP_1) | instid1(TRANS32_DEP_1)
	v_rcp_f32_e32 v1, v0
	v_nop
	v_fma_f32 v182, -v0, v1, 1.0
	s_delay_alu instid0(VALU_DEP_1) | instskip(NEXT) | instid1(VALU_DEP_1)
	v_fmac_f32_e32 v1, v182, v1
	v_mul_f32_e32 v182, v183, v1
	s_delay_alu instid0(VALU_DEP_1) | instskip(NEXT) | instid1(VALU_DEP_1)
	v_fma_f32 v184, -v0, v182, v183
	v_fmac_f32_e32 v182, v184, v1
	s_delay_alu instid0(VALU_DEP_1) | instskip(NEXT) | instid1(VALU_DEP_1)
	v_fma_f32 v0, -v0, v182, v183
	v_div_fmas_f32 v0, v0, v1, v182
	s_delay_alu instid0(VALU_DEP_1) | instskip(NEXT) | instid1(VALU_DEP_1)
	v_div_fixup_f32 v0, v0, v181, v180
	v_fmac_f32_e32 v181, v180, v0
	s_delay_alu instid0(VALU_DEP_1) | instskip(SKIP_1) | instid1(VALU_DEP_2)
	v_div_scale_f32 v1, null, v181, v181, 1.0
	v_div_scale_f32 v183, vcc_lo, 1.0, v181, 1.0
	v_rcp_f32_e32 v180, v1
	v_nop
	s_delay_alu instid0(TRANS32_DEP_1) | instskip(NEXT) | instid1(VALU_DEP_1)
	v_fma_f32 v182, -v1, v180, 1.0
	v_fmac_f32_e32 v180, v182, v180
	s_delay_alu instid0(VALU_DEP_1) | instskip(NEXT) | instid1(VALU_DEP_1)
	v_mul_f32_e32 v182, v183, v180
	v_fma_f32 v184, -v1, v182, v183
	s_delay_alu instid0(VALU_DEP_1) | instskip(NEXT) | instid1(VALU_DEP_1)
	v_fmac_f32_e32 v182, v184, v180
	v_fma_f32 v1, -v1, v182, v183
	s_delay_alu instid0(VALU_DEP_1) | instskip(NEXT) | instid1(VALU_DEP_1)
	v_div_fmas_f32 v1, v1, v180, v182
	v_div_fixup_f32 v1, v1, v181, 1.0
                                        ; implicit-def: $vgpr180_vgpr181
	s_delay_alu instid0(VALU_DEP_1)
	v_mul_f32_e32 v182, v0, v1
	v_xor_b32_e32 v183, 0x80000000, v1
.LBB77_104:
	s_and_not1_saveexec_b32 s1, s1
	s_cbranch_execz .LBB77_106
; %bb.105:
	v_div_scale_f32 v0, null, v180, v180, v181
	v_div_scale_f32 v183, vcc_lo, v181, v180, v181
	s_delay_alu instid0(VALU_DEP_2) | instskip(SKIP_1) | instid1(TRANS32_DEP_1)
	v_rcp_f32_e32 v1, v0
	v_nop
	v_fma_f32 v182, -v0, v1, 1.0
	s_delay_alu instid0(VALU_DEP_1) | instskip(NEXT) | instid1(VALU_DEP_1)
	v_fmac_f32_e32 v1, v182, v1
	v_mul_f32_e32 v182, v183, v1
	s_delay_alu instid0(VALU_DEP_1) | instskip(NEXT) | instid1(VALU_DEP_1)
	v_fma_f32 v184, -v0, v182, v183
	v_fmac_f32_e32 v182, v184, v1
	s_delay_alu instid0(VALU_DEP_1) | instskip(NEXT) | instid1(VALU_DEP_1)
	v_fma_f32 v0, -v0, v182, v183
	v_div_fmas_f32 v0, v0, v1, v182
	s_delay_alu instid0(VALU_DEP_1) | instskip(NEXT) | instid1(VALU_DEP_1)
	v_div_fixup_f32 v0, v0, v180, v181
	v_fmac_f32_e32 v180, v181, v0
	s_delay_alu instid0(VALU_DEP_1) | instskip(NEXT) | instid1(VALU_DEP_1)
	v_div_scale_f32 v1, null, v180, v180, 1.0
	v_rcp_f32_e32 v181, v1
	v_nop
	s_delay_alu instid0(TRANS32_DEP_1) | instskip(NEXT) | instid1(VALU_DEP_1)
	v_fma_f32 v182, -v1, v181, 1.0
	v_fmac_f32_e32 v181, v182, v181
	v_div_scale_f32 v182, vcc_lo, 1.0, v180, 1.0
	s_delay_alu instid0(VALU_DEP_1) | instskip(NEXT) | instid1(VALU_DEP_1)
	v_mul_f32_e32 v183, v182, v181
	v_fma_f32 v184, -v1, v183, v182
	s_delay_alu instid0(VALU_DEP_1) | instskip(NEXT) | instid1(VALU_DEP_1)
	v_fmac_f32_e32 v183, v184, v181
	v_fma_f32 v1, -v1, v183, v182
	s_delay_alu instid0(VALU_DEP_1) | instskip(NEXT) | instid1(VALU_DEP_1)
	v_div_fmas_f32 v1, v1, v181, v183
	v_div_fixup_f32 v182, v1, v180, 1.0
	s_delay_alu instid0(VALU_DEP_1)
	v_mul_f32_e64 v183, v0, -v182
.LBB77_106:
	s_or_b32 exec_lo, exec_lo, s1
	ds_store_b64 v237, v[182:183]
.LBB77_107:
	s_or_b32 exec_lo, exec_lo, s2
	s_wait_dscnt 0x0
	s_barrier_signal -1
	s_barrier_wait -1
	ds_load_b64 v[180:181], v237
	s_mov_b32 s1, exec_lo
	v_cmpx_lt_u32_e32 11, v236
	s_cbranch_execz .LBB77_109
; %bb.108:
	ds_load_2addr_b64 v[186:189], v238 offset0:12 offset1:13
	ds_load_2addr_b64 v[190:193], v238 offset0:14 offset1:15
	;; [unrolled: 1-line block ×3, first 2 shown]
	s_wait_dscnt 0x3
	v_pk_mul_f32 v[184:185], v[180:181], v[72:73] op_sel:[1,1] op_sel_hi:[0,1]
	ds_load_2addr_b64 v[198:201], v238 offset0:18 offset1:19
	ds_load_2addr_b64 v[202:205], v238 offset0:20 offset1:21
	v_pk_fma_f32 v[182:183], v[180:181], v[72:73], v[184:185] op_sel_hi:[1,0,1] neg_lo:[0,0,1] neg_hi:[0,0,1]
	v_pk_fma_f32 v[184:185], v[180:181], v[72:73], v[184:185] op_sel_hi:[1,0,1]
	s_delay_alu instid0(VALU_DEP_1) | instskip(SKIP_1) | instid1(VALU_DEP_2)
	v_dual_mov_b32 v72, v182 :: v_dual_mov_b32 v73, v185
	s_wait_dscnt 0x4
	v_pk_mul_f32 v[206:207], v[186:187], v[184:185] op_sel:[0,1]
	v_pk_mul_f32 v[208:209], v[188:189], v[184:185] op_sel:[0,1]
	s_wait_dscnt 0x3
	v_pk_mul_f32 v[210:211], v[190:191], v[184:185] op_sel:[0,1]
	s_wait_dscnt 0x2
	v_pk_mul_f32 v[218:219], v[194:195], v[184:185] op_sel:[0,1]
	v_dual_mov_b32 v212, v193 :: v_dual_mov_b32 v213, v192
	v_pk_fma_f32 v[222:223], v[186:187], v[182:183], v[206:207] op_sel:[0,0,1] op_sel_hi:[1,1,0] neg_lo:[0,0,1] neg_hi:[0,0,1]
	v_pk_fma_f32 v[186:187], v[186:187], v[182:183], v[206:207] op_sel:[0,0,1] op_sel_hi:[1,0,0]
	v_dual_mul_f32 v214, v193, v185 :: v_dual_mul_f32 v216, v193, v182
	v_pk_mul_f32 v[220:221], v[196:197], v[184:185] op_sel:[0,1]
	v_pk_fma_f32 v[206:207], v[188:189], v[182:183], v[208:209] op_sel:[0,0,1] op_sel_hi:[1,1,0] neg_lo:[0,0,1] neg_hi:[0,0,1]
	v_pk_fma_f32 v[188:189], v[188:189], v[182:183], v[208:209] op_sel:[0,0,1] op_sel_hi:[1,0,0]
	v_pk_fma_f32 v[208:209], v[190:191], v[182:183], v[210:211] op_sel:[0,0,1] op_sel_hi:[1,1,0] neg_lo:[0,0,1] neg_hi:[0,0,1]
	v_pk_fma_f32 v[190:191], v[190:191], v[182:183], v[210:211] op_sel:[0,0,1] op_sel_hi:[1,0,0]
	v_mov_b32_e32 v223, v187
	v_pk_fma_f32 v[186:187], v[194:195], v[182:183], v[218:219] op_sel:[0,0,1] op_sel_hi:[1,0,0]
	v_pk_fma_f32 v[210:211], v[212:213], v[72:73], v[216:217] op_sel_hi:[1,1,0]
	v_pk_fma_f32 v[212:213], v[194:195], v[182:183], v[218:219] op_sel:[0,0,1] op_sel_hi:[1,1,0] neg_lo:[0,0,1] neg_hi:[0,0,1]
	v_dual_mov_b32 v207, v189 :: v_dual_mov_b32 v209, v191
	v_pk_fma_f32 v[190:191], v[196:197], v[182:183], v[220:221] op_sel:[0,0,1] op_sel_hi:[1,0,0]
	s_wait_dscnt 0x1
	v_pk_mul_f32 v[194:195], v[198:199], v[184:185] op_sel:[0,1]
	v_pk_fma_f32 v[192:193], v[192:193], v[72:73], v[214:215] op_sel_hi:[1,1,0] neg_lo:[0,0,1] neg_hi:[0,0,1]
	v_mov_b32_e32 v213, v187
	ds_load_2addr_b64 v[186:189], v238 offset0:22 offset1:23
	v_pk_fma_f32 v[196:197], v[196:197], v[182:183], v[220:221] op_sel:[0,0,1] op_sel_hi:[1,1,0] neg_lo:[0,0,1] neg_hi:[0,0,1]
	v_mov_b32_e32 v193, v211
	v_pk_add_f32 v[88:89], v[88:89], v[206:207] neg_lo:[0,1] neg_hi:[0,1]
	v_mov_b32_e32 v197, v191
	v_pk_mul_f32 v[206:207], v[200:201], v[184:185] op_sel:[0,1]
	v_pk_fma_f32 v[190:191], v[198:199], v[182:183], v[194:195] op_sel:[0,0,1] op_sel_hi:[1,0,0]
	v_pk_fma_f32 v[194:195], v[198:199], v[182:183], v[194:195] op_sel:[0,0,1] op_sel_hi:[1,1,0] neg_lo:[0,0,1] neg_hi:[0,0,1]
	v_pk_add_f32 v[70:71], v[70:71], v[192:193] neg_lo:[0,1] neg_hi:[0,1]
	v_pk_add_f32 v[106:107], v[106:107], v[196:197] neg_lo:[0,1] neg_hi:[0,1]
	v_pk_fma_f32 v[196:197], v[200:201], v[182:183], v[206:207] op_sel:[0,0,1] op_sel_hi:[1,0,0]
	v_mov_b32_e32 v195, v191
	ds_load_2addr_b64 v[190:193], v238 offset0:24 offset1:25
	v_pk_fma_f32 v[198:199], v[200:201], v[182:183], v[206:207] op_sel:[0,0,1] op_sel_hi:[1,1,0] neg_lo:[0,0,1] neg_hi:[0,0,1]
	s_wait_dscnt 0x2
	v_dual_mul_f32 v196, v203, v182 :: v_dual_mul_f32 v200, v203, v185
	v_mov_b32_e32 v199, v197
	v_pk_add_f32 v[108:109], v[108:109], v[194:195] neg_lo:[0,1] neg_hi:[0,1]
	v_pk_mul_f32 v[194:195], v[204:205], v[184:185] op_sel:[0,1]
	s_delay_alu instid0(VALU_DEP_4)
	v_pk_fma_f32 v[196:197], v[202:203], v[72:73], v[196:197] op_sel:[1,0,0] op_sel_hi:[0,1,0]
	v_pk_fma_f32 v[200:201], v[202:203], v[72:73], v[200:201] op_sel_hi:[1,1,0] neg_lo:[0,0,1] neg_hi:[0,0,1]
	v_pk_add_f32 v[86:87], v[86:87], v[198:199] neg_lo:[0,1] neg_hi:[0,1]
	s_wait_dscnt 0x1
	v_pk_mul_f32 v[198:199], v[186:187], v[184:185] op_sel:[0,1]
	v_pk_fma_f32 v[206:207], v[204:205], v[182:183], v[194:195] op_sel:[0,0,1] op_sel_hi:[1,0,0]
	v_pk_fma_f32 v[202:203], v[204:205], v[182:183], v[194:195] op_sel:[0,0,1] op_sel_hi:[1,1,0] neg_lo:[0,0,1] neg_hi:[0,0,1]
	v_mov_b32_e32 v201, v197
	ds_load_2addr_b64 v[194:197], v238 offset0:26 offset1:27
	v_pk_fma_f32 v[204:205], v[186:187], v[182:183], v[198:199] op_sel:[0,0,1] op_sel_hi:[1,0,0]
	v_mov_b32_e32 v203, v207
	v_pk_mul_f32 v[206:207], v[188:189], v[184:185] op_sel:[0,1]
	v_pk_fma_f32 v[186:187], v[186:187], v[182:183], v[198:199] op_sel:[0,0,1] op_sel_hi:[1,1,0] neg_lo:[0,0,1] neg_hi:[0,0,1]
	v_pk_add_f32 v[136:137], v[136:137], v[200:201] neg_lo:[0,1] neg_hi:[0,1]
	s_wait_dscnt 0x1
	v_pk_mul_f32 v[198:199], v[190:191], v[184:185] op_sel:[0,1]
	v_pk_add_f32 v[132:133], v[132:133], v[202:203] neg_lo:[0,1] neg_hi:[0,1]
	v_pk_fma_f32 v[200:201], v[188:189], v[182:183], v[206:207] op_sel:[0,0,1] op_sel_hi:[1,0,0]
	v_mov_b32_e32 v187, v205
	v_pk_fma_f32 v[204:205], v[188:189], v[182:183], v[206:207] op_sel:[0,0,1] op_sel_hi:[1,1,0] neg_lo:[0,0,1] neg_hi:[0,0,1]
	v_pk_fma_f32 v[202:203], v[190:191], v[182:183], v[198:199] op_sel:[0,0,1] op_sel_hi:[1,0,0]
	v_pk_fma_f32 v[190:191], v[190:191], v[182:183], v[198:199] op_sel:[0,0,1] op_sel_hi:[1,1,0] neg_lo:[0,0,1] neg_hi:[0,0,1]
	v_mov_b32_e32 v205, v201
	v_pk_add_f32 v[134:135], v[134:135], v[186:187] neg_lo:[0,1] neg_hi:[0,1]
	ds_load_2addr_b64 v[186:189], v238 offset0:28 offset1:29
	v_dual_mov_b32 v191, v203 :: v_dual_mov_b32 v198, v193
	v_dual_mov_b32 v199, v192 :: v_dual_mul_f32 v200, v193, v182
	v_pk_add_f32 v[104:105], v[104:105], v[204:205] neg_lo:[0,1] neg_hi:[0,1]
	v_mul_f32_e32 v202, v193, v185
	s_delay_alu instid0(VALU_DEP_4)
	v_pk_add_f32 v[150:151], v[150:151], v[190:191] neg_lo:[0,1] neg_hi:[0,1]
	s_wait_dscnt 0x1
	v_pk_mul_f32 v[190:191], v[194:195], v[184:185] op_sel:[0,1]
	v_pk_fma_f32 v[204:205], v[198:199], v[72:73], v[200:201] op_sel_hi:[1,1,0]
	ds_load_2addr_b64 v[198:201], v238 offset0:30 offset1:31
	v_pk_mul_f32 v[206:207], v[196:197], v[184:185] op_sel:[0,1]
	v_pk_fma_f32 v[202:203], v[192:193], v[72:73], v[202:203] op_sel_hi:[1,1,0] neg_lo:[0,0,1] neg_hi:[0,0,1]
	v_pk_add_f32 v[90:91], v[90:91], v[208:209] neg_lo:[0,1] neg_hi:[0,1]
	v_pk_fma_f32 v[208:209], v[194:195], v[182:183], v[190:191] op_sel:[0,0,1] op_sel_hi:[1,0,0]
	v_mov_b32_e32 v203, v205
	v_pk_fma_f32 v[204:205], v[196:197], v[182:183], v[206:207] op_sel:[0,0,1] op_sel_hi:[1,0,0]
	v_pk_fma_f32 v[194:195], v[194:195], v[182:183], v[190:191] op_sel:[0,0,1] op_sel_hi:[1,1,0] neg_lo:[0,0,1] neg_hi:[0,0,1]
	ds_load_2addr_b64 v[190:193], v238 offset0:32 offset1:33
	v_pk_fma_f32 v[196:197], v[196:197], v[182:183], v[206:207] op_sel:[0,0,1] op_sel_hi:[1,1,0] neg_lo:[0,0,1] neg_hi:[0,0,1]
	v_mov_b32_e32 v195, v209
	s_wait_dscnt 0x2
	v_pk_mul_f32 v[206:207], v[186:187], v[184:185] op_sel:[0,1]
	v_mov_b32_e32 v197, v205
	v_pk_mul_f32 v[204:205], v[188:189], v[184:185] op_sel:[0,1]
	v_pk_add_f32 v[146:147], v[146:147], v[202:203] neg_lo:[0,1] neg_hi:[0,1]
	v_pk_add_f32 v[148:149], v[148:149], v[194:195] neg_lo:[0,1] neg_hi:[0,1]
	v_pk_fma_f32 v[202:203], v[186:187], v[182:183], v[206:207] op_sel:[0,0,1] op_sel_hi:[1,0,0]
	v_pk_add_f32 v[92:93], v[92:93], v[222:223] neg_lo:[0,1] neg_hi:[0,1]
	v_pk_fma_f32 v[194:195], v[188:189], v[182:183], v[204:205] op_sel:[0,0,1] op_sel_hi:[1,0,0]
	v_pk_add_f32 v[110:111], v[110:111], v[212:213] neg_lo:[0,1] neg_hi:[0,1]
	s_wait_dscnt 0x1
	v_mul_f32_e32 v194, v199, v182
	v_pk_add_f32 v[94:95], v[94:95], v[196:197] neg_lo:[0,1] neg_hi:[0,1]
	v_pk_fma_f32 v[196:197], v[186:187], v[182:183], v[206:207] op_sel:[0,0,1] op_sel_hi:[1,1,0] neg_lo:[0,0,1] neg_hi:[0,0,1]
	v_mov_b32_e32 v197, v203
	v_pk_fma_f32 v[202:203], v[188:189], v[182:183], v[204:205] op_sel:[0,0,1] op_sel_hi:[1,1,0] neg_lo:[0,0,1] neg_hi:[0,0,1]
	v_mul_f32_e32 v204, v199, v185
	ds_load_2addr_b64 v[186:189], v238 offset0:34 offset1:35
	v_mov_b32_e32 v203, v195
	v_pk_fma_f32 v[194:195], v[198:199], v[72:73], v[194:195] op_sel:[1,0,0] op_sel_hi:[0,1,0]
	v_pk_add_f32 v[120:121], v[120:121], v[196:197] neg_lo:[0,1] neg_hi:[0,1]
	v_pk_mul_f32 v[196:197], v[200:201], v[184:185] op_sel:[0,1]
	v_pk_fma_f32 v[198:199], v[198:199], v[72:73], v[204:205] op_sel_hi:[1,1,0] neg_lo:[0,0,1] neg_hi:[0,0,1]
	s_wait_dscnt 0x1
	v_pk_mul_f32 v[206:207], v[192:193], v[184:185] op_sel:[0,1]
	v_mov_b32_e32 v199, v195
	v_pk_add_f32 v[116:117], v[116:117], v[202:203] neg_lo:[0,1] neg_hi:[0,1]
	v_pk_mul_f32 v[202:203], v[190:191], v[184:185] op_sel:[0,1]
	v_pk_fma_f32 v[204:205], v[200:201], v[182:183], v[196:197] op_sel:[0,0,1] op_sel_hi:[1,0,0]
	v_pk_fma_f32 v[200:201], v[200:201], v[182:183], v[196:197] op_sel:[0,0,1] op_sel_hi:[1,1,0] neg_lo:[0,0,1] neg_hi:[0,0,1]
	ds_load_2addr_b64 v[194:197], v238 offset0:36 offset1:37
	v_pk_add_f32 v[118:119], v[118:119], v[198:199] neg_lo:[0,1] neg_hi:[0,1]
	v_pk_fma_f32 v[208:209], v[190:191], v[182:183], v[202:203] op_sel:[0,0,1] op_sel_hi:[1,0,0]
	v_pk_fma_f32 v[190:191], v[190:191], v[182:183], v[202:203] op_sel:[0,0,1] op_sel_hi:[1,1,0] neg_lo:[0,0,1] neg_hi:[0,0,1]
	ds_load_b64 v[202:203], v238 offset:304
	v_mov_b32_e32 v201, v205
	v_pk_fma_f32 v[204:205], v[192:193], v[182:183], v[206:207] op_sel:[0,0,1] op_sel_hi:[1,0,0]
	v_pk_fma_f32 v[192:193], v[192:193], v[182:183], v[206:207] op_sel:[0,0,1] op_sel_hi:[1,1,0] neg_lo:[0,0,1] neg_hi:[0,0,1]
	v_mov_b32_e32 v191, v209
	s_wait_dscnt 0x2
	v_mul_f32_e32 v198, v189, v185
	v_pk_add_f32 v[114:115], v[114:115], v[200:201] neg_lo:[0,1] neg_hi:[0,1]
	v_mov_b32_e32 v193, v205
	v_pk_mul_f32 v[204:205], v[186:187], v[184:185] op_sel:[0,1]
	v_pk_add_f32 v[142:143], v[142:143], v[190:191] neg_lo:[0,1] neg_hi:[0,1]
	s_delay_alu instid0(VALU_DEP_3) | instskip(NEXT) | instid1(VALU_DEP_3)
	v_pk_add_f32 v[138:139], v[138:139], v[192:193] neg_lo:[0,1] neg_hi:[0,1]
	v_pk_fma_f32 v[190:191], v[186:187], v[182:183], v[204:205] op_sel:[0,0,1] op_sel_hi:[1,0,0]
	v_dual_mov_b32 v192, v189 :: v_dual_mov_b32 v193, v188
	v_mul_f32_e32 v190, v189, v182
	v_pk_fma_f32 v[186:187], v[186:187], v[182:183], v[204:205] op_sel:[0,0,1] op_sel_hi:[1,1,0] neg_lo:[0,0,1] neg_hi:[0,0,1]
	s_delay_alu instid0(VALU_DEP_4)
	v_mov_b32_e32 v187, v191
	s_wait_dscnt 0x1
	v_pk_mul_f32 v[200:201], v[194:195], v[184:185] op_sel:[0,1]
	v_pk_fma_f32 v[188:189], v[188:189], v[72:73], v[198:199] op_sel_hi:[1,1,0] neg_lo:[0,0,1] neg_hi:[0,0,1]
	v_pk_fma_f32 v[190:191], v[192:193], v[72:73], v[190:191] op_sel_hi:[1,1,0]
	v_pk_mul_f32 v[192:193], v[196:197], v[184:185] op_sel:[0,1]
	s_wait_dscnt 0x0
	v_pk_mul_f32 v[184:185], v[202:203], v[184:185] op_sel:[0,1]
	v_pk_fma_f32 v[198:199], v[194:195], v[182:183], v[200:201] op_sel:[0,0,1] op_sel_hi:[1,0,0]
	v_pk_fma_f32 v[194:195], v[194:195], v[182:183], v[200:201] op_sel:[0,0,1] op_sel_hi:[1,1,0] neg_lo:[0,0,1] neg_hi:[0,0,1]
	v_mov_b32_e32 v189, v191
	v_pk_fma_f32 v[190:191], v[196:197], v[182:183], v[192:193] op_sel:[0,0,1] op_sel_hi:[1,0,0]
	v_pk_fma_f32 v[200:201], v[202:203], v[182:183], v[184:185] op_sel:[0,0,1] op_sel_hi:[1,0,0]
	v_pk_fma_f32 v[192:193], v[196:197], v[182:183], v[192:193] op_sel:[0,0,1] op_sel_hi:[1,1,0] neg_lo:[0,0,1] neg_hi:[0,0,1]
	v_pk_fma_f32 v[182:183], v[202:203], v[182:183], v[184:185] op_sel:[0,0,1] op_sel_hi:[1,1,0] neg_lo:[0,0,1] neg_hi:[0,0,1]
	s_delay_alu instid0(VALU_DEP_4) | instskip(NEXT) | instid1(VALU_DEP_4)
	v_dual_mov_b32 v195, v199 :: v_dual_mov_b32 v193, v191
	v_mov_b32_e32 v183, v201
	v_pk_add_f32 v[140:141], v[140:141], v[186:187] neg_lo:[0,1] neg_hi:[0,1]
	v_pk_add_f32 v[154:155], v[154:155], v[188:189] neg_lo:[0,1] neg_hi:[0,1]
	s_delay_alu instid0(VALU_DEP_4)
	v_pk_add_f32 v[152:153], v[152:153], v[194:195] neg_lo:[0,1] neg_hi:[0,1]
	v_pk_add_f32 v[144:145], v[144:145], v[192:193] neg_lo:[0,1] neg_hi:[0,1]
	;; [unrolled: 1-line block ×3, first 2 shown]
.LBB77_109:
	s_or_b32 exec_lo, exec_lo, s1
	s_delay_alu instid0(SALU_CYCLE_1)
	s_mov_b32 s2, exec_lo
	s_wait_dscnt 0x0
	s_barrier_signal -1
	s_barrier_wait -1
	v_cmpx_eq_u32_e32 12, v236
	s_cbranch_execz .LBB77_116
; %bb.110:
	ds_store_b64 v237, v[92:93]
	ds_store_2addr_b64 v238, v[88:89], v[90:91] offset0:13 offset1:14
	ds_store_2addr_b64 v238, v[70:71], v[110:111] offset0:15 offset1:16
	;; [unrolled: 1-line block ×13, first 2 shown]
	ds_load_b64 v[182:183], v237
	s_wait_dscnt 0x0
	v_cmp_neq_f32_e32 vcc_lo, 0, v182
	v_cmp_neq_f32_e64 s1, 0, v183
	s_or_b32 s1, vcc_lo, s1
	s_delay_alu instid0(SALU_CYCLE_1)
	s_and_b32 exec_lo, exec_lo, s1
	s_cbranch_execz .LBB77_116
; %bb.111:
	v_cmp_ngt_f32_e64 s1, |v182|, |v183|
                                        ; implicit-def: $vgpr184_vgpr185
	s_and_saveexec_b32 s4, s1
	s_delay_alu instid0(SALU_CYCLE_1)
	s_xor_b32 s1, exec_lo, s4
	s_cbranch_execz .LBB77_113
; %bb.112:
	v_div_scale_f32 v0, null, v183, v183, v182
	v_div_scale_f32 v185, vcc_lo, v182, v183, v182
	s_delay_alu instid0(VALU_DEP_2) | instskip(SKIP_1) | instid1(TRANS32_DEP_1)
	v_rcp_f32_e32 v1, v0
	v_nop
	v_fma_f32 v184, -v0, v1, 1.0
	s_delay_alu instid0(VALU_DEP_1) | instskip(NEXT) | instid1(VALU_DEP_1)
	v_fmac_f32_e32 v1, v184, v1
	v_mul_f32_e32 v184, v185, v1
	s_delay_alu instid0(VALU_DEP_1) | instskip(NEXT) | instid1(VALU_DEP_1)
	v_fma_f32 v186, -v0, v184, v185
	v_fmac_f32_e32 v184, v186, v1
	s_delay_alu instid0(VALU_DEP_1) | instskip(NEXT) | instid1(VALU_DEP_1)
	v_fma_f32 v0, -v0, v184, v185
	v_div_fmas_f32 v0, v0, v1, v184
	s_delay_alu instid0(VALU_DEP_1) | instskip(NEXT) | instid1(VALU_DEP_1)
	v_div_fixup_f32 v0, v0, v183, v182
	v_fmac_f32_e32 v183, v182, v0
	s_delay_alu instid0(VALU_DEP_1) | instskip(SKIP_1) | instid1(VALU_DEP_2)
	v_div_scale_f32 v1, null, v183, v183, 1.0
	v_div_scale_f32 v185, vcc_lo, 1.0, v183, 1.0
	v_rcp_f32_e32 v182, v1
	v_nop
	s_delay_alu instid0(TRANS32_DEP_1) | instskip(NEXT) | instid1(VALU_DEP_1)
	v_fma_f32 v184, -v1, v182, 1.0
	v_fmac_f32_e32 v182, v184, v182
	s_delay_alu instid0(VALU_DEP_1) | instskip(NEXT) | instid1(VALU_DEP_1)
	v_mul_f32_e32 v184, v185, v182
	v_fma_f32 v186, -v1, v184, v185
	s_delay_alu instid0(VALU_DEP_1) | instskip(NEXT) | instid1(VALU_DEP_1)
	v_fmac_f32_e32 v184, v186, v182
	v_fma_f32 v1, -v1, v184, v185
	s_delay_alu instid0(VALU_DEP_1) | instskip(NEXT) | instid1(VALU_DEP_1)
	v_div_fmas_f32 v1, v1, v182, v184
	v_div_fixup_f32 v1, v1, v183, 1.0
                                        ; implicit-def: $vgpr182_vgpr183
	s_delay_alu instid0(VALU_DEP_1)
	v_mul_f32_e32 v184, v0, v1
	v_xor_b32_e32 v185, 0x80000000, v1
.LBB77_113:
	s_and_not1_saveexec_b32 s1, s1
	s_cbranch_execz .LBB77_115
; %bb.114:
	v_div_scale_f32 v0, null, v182, v182, v183
	v_div_scale_f32 v185, vcc_lo, v183, v182, v183
	s_delay_alu instid0(VALU_DEP_2) | instskip(SKIP_1) | instid1(TRANS32_DEP_1)
	v_rcp_f32_e32 v1, v0
	v_nop
	v_fma_f32 v184, -v0, v1, 1.0
	s_delay_alu instid0(VALU_DEP_1) | instskip(NEXT) | instid1(VALU_DEP_1)
	v_fmac_f32_e32 v1, v184, v1
	v_mul_f32_e32 v184, v185, v1
	s_delay_alu instid0(VALU_DEP_1) | instskip(NEXT) | instid1(VALU_DEP_1)
	v_fma_f32 v186, -v0, v184, v185
	v_fmac_f32_e32 v184, v186, v1
	s_delay_alu instid0(VALU_DEP_1) | instskip(NEXT) | instid1(VALU_DEP_1)
	v_fma_f32 v0, -v0, v184, v185
	v_div_fmas_f32 v0, v0, v1, v184
	s_delay_alu instid0(VALU_DEP_1) | instskip(NEXT) | instid1(VALU_DEP_1)
	v_div_fixup_f32 v0, v0, v182, v183
	v_fmac_f32_e32 v182, v183, v0
	s_delay_alu instid0(VALU_DEP_1) | instskip(NEXT) | instid1(VALU_DEP_1)
	v_div_scale_f32 v1, null, v182, v182, 1.0
	v_rcp_f32_e32 v183, v1
	v_nop
	s_delay_alu instid0(TRANS32_DEP_1) | instskip(NEXT) | instid1(VALU_DEP_1)
	v_fma_f32 v184, -v1, v183, 1.0
	v_fmac_f32_e32 v183, v184, v183
	v_div_scale_f32 v184, vcc_lo, 1.0, v182, 1.0
	s_delay_alu instid0(VALU_DEP_1) | instskip(NEXT) | instid1(VALU_DEP_1)
	v_mul_f32_e32 v185, v184, v183
	v_fma_f32 v186, -v1, v185, v184
	s_delay_alu instid0(VALU_DEP_1) | instskip(NEXT) | instid1(VALU_DEP_1)
	v_fmac_f32_e32 v185, v186, v183
	v_fma_f32 v1, -v1, v185, v184
	s_delay_alu instid0(VALU_DEP_1) | instskip(NEXT) | instid1(VALU_DEP_1)
	v_div_fmas_f32 v1, v1, v183, v185
	v_div_fixup_f32 v184, v1, v182, 1.0
	s_delay_alu instid0(VALU_DEP_1)
	v_mul_f32_e64 v185, v0, -v184
.LBB77_115:
	s_or_b32 exec_lo, exec_lo, s1
	ds_store_b64 v237, v[184:185]
.LBB77_116:
	s_or_b32 exec_lo, exec_lo, s2
	s_wait_dscnt 0x0
	s_barrier_signal -1
	s_barrier_wait -1
	ds_load_b64 v[182:183], v237
	s_mov_b32 s1, exec_lo
	v_cmpx_lt_u32_e32 12, v236
	s_cbranch_execz .LBB77_118
; %bb.117:
	ds_load_2addr_b64 v[188:191], v238 offset0:13 offset1:14
	ds_load_2addr_b64 v[192:195], v238 offset0:15 offset1:16
	ds_load_2addr_b64 v[196:199], v238 offset0:17 offset1:18
	s_wait_dscnt 0x3
	v_pk_mul_f32 v[186:187], v[182:183], v[92:93] op_sel:[1,1] op_sel_hi:[0,1]
	ds_load_2addr_b64 v[200:203], v238 offset0:19 offset1:20
	ds_load_2addr_b64 v[204:207], v238 offset0:21 offset1:22
	v_pk_fma_f32 v[184:185], v[182:183], v[92:93], v[186:187] op_sel_hi:[1,0,1] neg_lo:[0,0,1] neg_hi:[0,0,1]
	v_pk_fma_f32 v[186:187], v[182:183], v[92:93], v[186:187] op_sel_hi:[1,0,1]
	s_delay_alu instid0(VALU_DEP_1) | instskip(SKIP_1) | instid1(VALU_DEP_2)
	v_dual_mov_b32 v92, v184 :: v_dual_mov_b32 v93, v187
	s_wait_dscnt 0x4
	v_pk_mul_f32 v[208:209], v[188:189], v[186:187] op_sel:[0,1]
	v_pk_mul_f32 v[210:211], v[190:191], v[186:187] op_sel:[0,1]
	s_wait_dscnt 0x3
	v_pk_mul_f32 v[212:213], v[192:193], v[186:187] op_sel:[0,1]
	s_wait_dscnt 0x2
	v_pk_mul_f32 v[220:221], v[196:197], v[186:187] op_sel:[0,1]
	v_dual_mov_b32 v214, v195 :: v_dual_mov_b32 v215, v194
	v_pk_fma_f32 v[224:225], v[188:189], v[184:185], v[208:209] op_sel:[0,0,1] op_sel_hi:[1,1,0] neg_lo:[0,0,1] neg_hi:[0,0,1]
	v_pk_fma_f32 v[188:189], v[188:189], v[184:185], v[208:209] op_sel:[0,0,1] op_sel_hi:[1,0,0]
	v_dual_mul_f32 v216, v195, v187 :: v_dual_mul_f32 v218, v195, v184
	v_pk_mul_f32 v[222:223], v[198:199], v[186:187] op_sel:[0,1]
	v_pk_fma_f32 v[208:209], v[190:191], v[184:185], v[210:211] op_sel:[0,0,1] op_sel_hi:[1,1,0] neg_lo:[0,0,1] neg_hi:[0,0,1]
	v_pk_fma_f32 v[190:191], v[190:191], v[184:185], v[210:211] op_sel:[0,0,1] op_sel_hi:[1,0,0]
	v_pk_fma_f32 v[210:211], v[192:193], v[184:185], v[212:213] op_sel:[0,0,1] op_sel_hi:[1,1,0] neg_lo:[0,0,1] neg_hi:[0,0,1]
	v_pk_fma_f32 v[192:193], v[192:193], v[184:185], v[212:213] op_sel:[0,0,1] op_sel_hi:[1,0,0]
	v_mov_b32_e32 v225, v189
	v_pk_fma_f32 v[188:189], v[196:197], v[184:185], v[220:221] op_sel:[0,0,1] op_sel_hi:[1,0,0]
	v_pk_fma_f32 v[212:213], v[214:215], v[92:93], v[218:219] op_sel_hi:[1,1,0]
	v_pk_fma_f32 v[214:215], v[196:197], v[184:185], v[220:221] op_sel:[0,0,1] op_sel_hi:[1,1,0] neg_lo:[0,0,1] neg_hi:[0,0,1]
	v_dual_mov_b32 v209, v191 :: v_dual_mov_b32 v211, v193
	v_pk_fma_f32 v[192:193], v[198:199], v[184:185], v[222:223] op_sel:[0,0,1] op_sel_hi:[1,0,0]
	v_mov_b32_e32 v215, v189
	s_wait_dscnt 0x1
	v_pk_mul_f32 v[196:197], v[200:201], v[186:187] op_sel:[0,1]
	ds_load_2addr_b64 v[188:191], v238 offset0:23 offset1:24
	v_pk_fma_f32 v[194:195], v[194:195], v[92:93], v[216:217] op_sel_hi:[1,1,0] neg_lo:[0,0,1] neg_hi:[0,0,1]
	v_pk_fma_f32 v[198:199], v[198:199], v[184:185], v[222:223] op_sel:[0,0,1] op_sel_hi:[1,1,0] neg_lo:[0,0,1] neg_hi:[0,0,1]
	v_mov_b32_e32 v195, v213
	v_pk_add_f32 v[90:91], v[90:91], v[208:209] neg_lo:[0,1] neg_hi:[0,1]
	v_mov_b32_e32 v199, v193
	v_pk_mul_f32 v[208:209], v[202:203], v[186:187] op_sel:[0,1]
	v_pk_fma_f32 v[192:193], v[200:201], v[184:185], v[196:197] op_sel:[0,0,1] op_sel_hi:[1,0,0]
	v_pk_fma_f32 v[196:197], v[200:201], v[184:185], v[196:197] op_sel:[0,0,1] op_sel_hi:[1,1,0] neg_lo:[0,0,1] neg_hi:[0,0,1]
	v_pk_add_f32 v[110:111], v[110:111], v[194:195] neg_lo:[0,1] neg_hi:[0,1]
	v_pk_add_f32 v[108:109], v[108:109], v[198:199] neg_lo:[0,1] neg_hi:[0,1]
	v_pk_fma_f32 v[198:199], v[202:203], v[184:185], v[208:209] op_sel:[0,0,1] op_sel_hi:[1,0,0]
	v_mov_b32_e32 v197, v193
	ds_load_2addr_b64 v[192:195], v238 offset0:25 offset1:26
	v_pk_fma_f32 v[200:201], v[202:203], v[184:185], v[208:209] op_sel:[0,0,1] op_sel_hi:[1,1,0] neg_lo:[0,0,1] neg_hi:[0,0,1]
	s_wait_dscnt 0x2
	v_dual_mul_f32 v198, v205, v184 :: v_dual_mov_b32 v201, v199
	v_pk_mul_f32 v[202:203], v[206:207], v[186:187] op_sel:[0,1]
	v_pk_add_f32 v[86:87], v[86:87], v[196:197] neg_lo:[0,1] neg_hi:[0,1]
	v_mul_f32_e32 v196, v205, v187
	s_delay_alu instid0(VALU_DEP_4)
	v_pk_fma_f32 v[198:199], v[204:205], v[92:93], v[198:199] op_sel:[1,0,0] op_sel_hi:[0,1,0]
	v_pk_add_f32 v[136:137], v[136:137], v[200:201] neg_lo:[0,1] neg_hi:[0,1]
	s_wait_dscnt 0x1
	v_pk_mul_f32 v[200:201], v[188:189], v[186:187] op_sel:[0,1]
	v_pk_fma_f32 v[208:209], v[206:207], v[184:185], v[202:203] op_sel:[0,0,1] op_sel_hi:[1,0,0]
	v_pk_fma_f32 v[204:205], v[204:205], v[92:93], v[196:197] op_sel_hi:[1,1,0] neg_lo:[0,0,1] neg_hi:[0,0,1]
	v_pk_fma_f32 v[202:203], v[206:207], v[184:185], v[202:203] op_sel:[0,0,1] op_sel_hi:[1,1,0] neg_lo:[0,0,1] neg_hi:[0,0,1]
	v_mov_b32_e32 v205, v199
	v_pk_fma_f32 v[206:207], v[188:189], v[184:185], v[200:201] op_sel:[0,0,1] op_sel_hi:[1,0,0]
	v_mov_b32_e32 v203, v209
	v_pk_fma_f32 v[188:189], v[188:189], v[184:185], v[200:201] op_sel:[0,0,1] op_sel_hi:[1,1,0] neg_lo:[0,0,1] neg_hi:[0,0,1]
	v_pk_mul_f32 v[200:201], v[190:191], v[186:187] op_sel:[0,1]
	ds_load_2addr_b64 v[196:199], v238 offset0:27 offset1:28
	v_pk_add_f32 v[132:133], v[132:133], v[204:205] neg_lo:[0,1] neg_hi:[0,1]
	v_pk_add_f32 v[134:135], v[134:135], v[202:203] neg_lo:[0,1] neg_hi:[0,1]
	;; [unrolled: 1-line block ×3, first 2 shown]
	v_pk_fma_f32 v[202:203], v[190:191], v[184:185], v[200:201] op_sel:[0,0,1] op_sel_hi:[1,0,0]
	v_mov_b32_e32 v189, v207
	s_wait_dscnt 0x1
	v_pk_mul_f32 v[206:207], v[192:193], v[186:187] op_sel:[0,1]
	v_pk_fma_f32 v[200:201], v[190:191], v[184:185], v[200:201] op_sel:[0,0,1] op_sel_hi:[1,1,0] neg_lo:[0,0,1] neg_hi:[0,0,1]
	v_dual_mov_b32 v202, v195 :: v_dual_mov_b32 v201, v203
	v_pk_add_f32 v[104:105], v[104:105], v[188:189] neg_lo:[0,1] neg_hi:[0,1]
	s_delay_alu instid0(VALU_DEP_4)
	v_pk_fma_f32 v[204:205], v[192:193], v[184:185], v[206:207] op_sel:[0,0,1] op_sel_hi:[1,0,0]
	ds_load_2addr_b64 v[188:191], v238 offset0:29 offset1:30
	v_pk_fma_f32 v[192:193], v[192:193], v[184:185], v[206:207] op_sel:[0,0,1] op_sel_hi:[1,1,0] neg_lo:[0,0,1] neg_hi:[0,0,1]
	v_dual_mov_b32 v203, v194 :: v_dual_mul_f32 v204, v195, v184
	v_mov_b32_e32 v193, v205
	v_pk_add_f32 v[150:151], v[150:151], v[200:201] neg_lo:[0,1] neg_hi:[0,1]
	v_pk_add_f32 v[88:89], v[88:89], v[224:225] neg_lo:[0,1] neg_hi:[0,1]
	;; [unrolled: 1-line block ×3, first 2 shown]
	v_pk_fma_f32 v[200:201], v[202:203], v[92:93], v[204:205] op_sel_hi:[1,1,0]
	v_mul_f32_e32 v206, v195, v187
	s_wait_dscnt 0x1
	v_pk_mul_f32 v[208:209], v[196:197], v[186:187] op_sel:[0,1]
	v_pk_add_f32 v[146:147], v[146:147], v[192:193] neg_lo:[0,1] neg_hi:[0,1]
	s_delay_alu instid0(VALU_DEP_3)
	v_pk_fma_f32 v[204:205], v[194:195], v[92:93], v[206:207] op_sel_hi:[1,1,0] neg_lo:[0,0,1] neg_hi:[0,0,1]
	v_pk_mul_f32 v[206:207], v[198:199], v[186:187] op_sel:[0,1]
	ds_load_2addr_b64 v[192:195], v238 offset0:31 offset1:32
	v_pk_fma_f32 v[202:203], v[196:197], v[184:185], v[208:209] op_sel:[0,0,1] op_sel_hi:[1,0,0]
	v_pk_fma_f32 v[196:197], v[196:197], v[184:185], v[208:209] op_sel:[0,0,1] op_sel_hi:[1,1,0] neg_lo:[0,0,1] neg_hi:[0,0,1]
	v_mov_b32_e32 v205, v201
	v_pk_fma_f32 v[208:209], v[198:199], v[184:185], v[206:207] op_sel:[0,0,1] op_sel_hi:[1,0,0]
	s_wait_dscnt 0x1
	v_pk_mul_f32 v[210:211], v[188:189], v[186:187] op_sel:[0,1]
	v_pk_fma_f32 v[198:199], v[198:199], v[184:185], v[206:207] op_sel:[0,0,1] op_sel_hi:[1,1,0] neg_lo:[0,0,1] neg_hi:[0,0,1]
	v_mov_b32_e32 v197, v203
	ds_load_2addr_b64 v[200:203], v238 offset0:33 offset1:34
	v_mov_b32_e32 v199, v209
	v_pk_mul_f32 v[206:207], v[190:191], v[186:187] op_sel:[0,1]
	v_pk_add_f32 v[148:149], v[148:149], v[204:205] neg_lo:[0,1] neg_hi:[0,1]
	v_pk_fma_f32 v[204:205], v[188:189], v[184:185], v[210:211] op_sel:[0,0,1] op_sel_hi:[1,0,0]
	v_pk_add_f32 v[94:95], v[94:95], v[196:197] neg_lo:[0,1] neg_hi:[0,1]
	v_pk_add_f32 v[120:121], v[120:121], v[198:199] neg_lo:[0,1] neg_hi:[0,1]
	v_pk_fma_f32 v[198:199], v[188:189], v[184:185], v[210:211] op_sel:[0,0,1] op_sel_hi:[1,1,0] neg_lo:[0,0,1] neg_hi:[0,0,1]
	v_pk_fma_f32 v[196:197], v[190:191], v[184:185], v[206:207] op_sel:[0,0,1] op_sel_hi:[1,0,0]
	v_mov_b32_e32 v199, v205
	v_pk_fma_f32 v[204:205], v[190:191], v[184:185], v[206:207] op_sel:[0,0,1] op_sel_hi:[1,1,0] neg_lo:[0,0,1] neg_hi:[0,0,1]
	ds_load_2addr_b64 v[188:191], v238 offset0:35 offset1:36
	s_wait_dscnt 0x2
	v_mul_f32_e32 v196, v193, v184
	v_mov_b32_e32 v205, v197
	v_pk_add_f32 v[116:117], v[116:117], v[198:199] neg_lo:[0,1] neg_hi:[0,1]
	v_mul_f32_e32 v198, v193, v187
	v_pk_mul_f32 v[206:207], v[194:195], v[186:187] op_sel:[0,1]
	s_delay_alu instid0(VALU_DEP_4) | instskip(SKIP_1) | instid1(VALU_DEP_4)
	v_pk_add_f32 v[118:119], v[118:119], v[204:205] neg_lo:[0,1] neg_hi:[0,1]
	v_pk_fma_f32 v[204:205], v[192:193], v[92:93], v[196:197] op_sel:[1,0,0] op_sel_hi:[0,1,0]
	v_pk_fma_f32 v[192:193], v[192:193], v[92:93], v[198:199] op_sel_hi:[1,1,0] neg_lo:[0,0,1] neg_hi:[0,0,1]
	ds_load_2addr_b64 v[196:199], v238 offset0:37 offset1:38
	s_wait_dscnt 0x2
	v_pk_mul_f32 v[208:209], v[200:201], v[186:187] op_sel:[0,1]
	v_pk_fma_f32 v[210:211], v[194:195], v[184:185], v[206:207] op_sel:[0,0,1] op_sel_hi:[1,0,0]
	v_mov_b32_e32 v193, v205
	v_pk_fma_f32 v[194:195], v[194:195], v[184:185], v[206:207] op_sel:[0,0,1] op_sel_hi:[1,1,0] neg_lo:[0,0,1] neg_hi:[0,0,1]
	v_pk_mul_f32 v[206:207], v[202:203], v[186:187] op_sel:[0,1]
	v_pk_fma_f32 v[204:205], v[200:201], v[184:185], v[208:209] op_sel:[0,0,1] op_sel_hi:[1,0,0]
	v_mov_b32_e32 v195, v211
	v_pk_fma_f32 v[200:201], v[200:201], v[184:185], v[208:209] op_sel:[0,0,1] op_sel_hi:[1,1,0] neg_lo:[0,0,1] neg_hi:[0,0,1]
	v_pk_add_f32 v[114:115], v[114:115], v[192:193] neg_lo:[0,1] neg_hi:[0,1]
	v_pk_fma_f32 v[192:193], v[202:203], v[184:185], v[206:207] op_sel:[0,0,1] op_sel_hi:[1,0,0]
	v_mov_b32_e32 v201, v205
	s_wait_dscnt 0x1
	v_pk_mul_f32 v[204:205], v[188:189], v[186:187] op_sel:[0,1]
	v_pk_add_f32 v[142:143], v[142:143], v[194:195] neg_lo:[0,1] neg_hi:[0,1]
	v_pk_fma_f32 v[194:195], v[202:203], v[184:185], v[206:207] op_sel:[0,0,1] op_sel_hi:[1,1,0] neg_lo:[0,0,1] neg_hi:[0,0,1]
	v_mov_b32_e32 v195, v193
	v_pk_add_f32 v[138:139], v[138:139], v[200:201] neg_lo:[0,1] neg_hi:[0,1]
	v_pk_fma_f32 v[192:193], v[188:189], v[184:185], v[204:205] op_sel:[0,0,1] op_sel_hi:[1,1,0] neg_lo:[0,0,1] neg_hi:[0,0,1]
	v_pk_fma_f32 v[188:189], v[188:189], v[184:185], v[204:205] op_sel:[0,0,1] op_sel_hi:[1,0,0]
	v_dual_mov_b32 v200, v191 :: v_dual_mov_b32 v201, v190
	v_dual_mul_f32 v202, v191, v184 :: v_dual_mul_f32 v188, v191, v187
	s_wait_dscnt 0x0
	v_pk_mul_f32 v[204:205], v[196:197], v[186:187] op_sel:[0,1]
	v_pk_mul_f32 v[186:187], v[198:199], v[186:187] op_sel:[0,1]
	v_pk_add_f32 v[140:141], v[140:141], v[194:195] neg_lo:[0,1] neg_hi:[0,1]
	v_pk_fma_f32 v[200:201], v[200:201], v[92:93], v[202:203] op_sel_hi:[1,1,0]
	v_mov_b32_e32 v193, v189
	v_pk_fma_f32 v[202:203], v[196:197], v[184:185], v[204:205] op_sel:[0,0,1] op_sel_hi:[1,0,0]
	v_pk_fma_f32 v[188:189], v[190:191], v[92:93], v[188:189] op_sel_hi:[1,1,0] neg_lo:[0,0,1] neg_hi:[0,0,1]
	v_pk_fma_f32 v[190:191], v[198:199], v[184:185], v[186:187] op_sel:[0,0,1] op_sel_hi:[1,0,0]
	v_pk_fma_f32 v[196:197], v[196:197], v[184:185], v[204:205] op_sel:[0,0,1] op_sel_hi:[1,1,0] neg_lo:[0,0,1] neg_hi:[0,0,1]
	v_pk_fma_f32 v[184:185], v[198:199], v[184:185], v[186:187] op_sel:[0,0,1] op_sel_hi:[1,1,0] neg_lo:[0,0,1] neg_hi:[0,0,1]
	v_dual_mov_b32 v189, v201 :: v_dual_mov_b32 v197, v203
	s_delay_alu instid0(VALU_DEP_4) | instskip(SKIP_1) | instid1(VALU_DEP_3)
	v_mov_b32_e32 v185, v191
	v_pk_add_f32 v[154:155], v[154:155], v[192:193] neg_lo:[0,1] neg_hi:[0,1]
	v_pk_add_f32 v[152:153], v[152:153], v[188:189] neg_lo:[0,1] neg_hi:[0,1]
	s_delay_alu instid0(VALU_DEP_4) | instskip(NEXT) | instid1(VALU_DEP_4)
	v_pk_add_f32 v[144:145], v[144:145], v[196:197] neg_lo:[0,1] neg_hi:[0,1]
	v_pk_add_f32 v[156:157], v[156:157], v[184:185] neg_lo:[0,1] neg_hi:[0,1]
.LBB77_118:
	s_or_b32 exec_lo, exec_lo, s1
	s_delay_alu instid0(SALU_CYCLE_1)
	s_mov_b32 s2, exec_lo
	s_wait_dscnt 0x0
	s_barrier_signal -1
	s_barrier_wait -1
	v_cmpx_eq_u32_e32 13, v236
	s_cbranch_execz .LBB77_125
; %bb.119:
	v_dual_mov_b32 v184, v90 :: v_dual_mov_b32 v185, v91
	v_dual_mov_b32 v186, v70 :: v_dual_mov_b32 v187, v71
	;; [unrolled: 1-line block ×10, first 2 shown]
	ds_store_b64 v237, v[88:89]
	v_dual_mov_b32 v204, v150 :: v_dual_mov_b32 v205, v151
	v_dual_mov_b32 v206, v146 :: v_dual_mov_b32 v207, v147
	ds_store_2addr_b64 v238, v[184:185], v[186:187] offset0:14 offset1:15
	ds_store_2addr_b64 v238, v[188:189], v[190:191] offset0:16 offset1:17
	;; [unrolled: 1-line block ×6, first 2 shown]
	v_dual_mov_b32 v184, v148 :: v_dual_mov_b32 v185, v149
	v_dual_mov_b32 v186, v94 :: v_dual_mov_b32 v187, v95
	;; [unrolled: 1-line block ×12, first 2 shown]
	ds_store_2addr_b64 v238, v[184:185], v[186:187] offset0:26 offset1:27
	ds_store_2addr_b64 v238, v[188:189], v[190:191] offset0:28 offset1:29
	;; [unrolled: 1-line block ×6, first 2 shown]
	ds_store_b64 v238, v[156:157] offset:304
	ds_load_b64 v[184:185], v237
	s_wait_dscnt 0x0
	v_cmp_neq_f32_e32 vcc_lo, 0, v184
	v_cmp_neq_f32_e64 s1, 0, v185
	s_or_b32 s1, vcc_lo, s1
	s_delay_alu instid0(SALU_CYCLE_1)
	s_and_b32 exec_lo, exec_lo, s1
	s_cbranch_execz .LBB77_125
; %bb.120:
	v_cmp_ngt_f32_e64 s1, |v184|, |v185|
                                        ; implicit-def: $vgpr186_vgpr187
	s_and_saveexec_b32 s4, s1
	s_delay_alu instid0(SALU_CYCLE_1)
	s_xor_b32 s1, exec_lo, s4
	s_cbranch_execz .LBB77_122
; %bb.121:
	v_div_scale_f32 v0, null, v185, v185, v184
	v_div_scale_f32 v187, vcc_lo, v184, v185, v184
	s_delay_alu instid0(VALU_DEP_2) | instskip(SKIP_1) | instid1(TRANS32_DEP_1)
	v_rcp_f32_e32 v1, v0
	v_nop
	v_fma_f32 v186, -v0, v1, 1.0
	s_delay_alu instid0(VALU_DEP_1) | instskip(NEXT) | instid1(VALU_DEP_1)
	v_fmac_f32_e32 v1, v186, v1
	v_mul_f32_e32 v186, v187, v1
	s_delay_alu instid0(VALU_DEP_1) | instskip(NEXT) | instid1(VALU_DEP_1)
	v_fma_f32 v188, -v0, v186, v187
	v_fmac_f32_e32 v186, v188, v1
	s_delay_alu instid0(VALU_DEP_1) | instskip(NEXT) | instid1(VALU_DEP_1)
	v_fma_f32 v0, -v0, v186, v187
	v_div_fmas_f32 v0, v0, v1, v186
	s_delay_alu instid0(VALU_DEP_1) | instskip(NEXT) | instid1(VALU_DEP_1)
	v_div_fixup_f32 v0, v0, v185, v184
	v_fmac_f32_e32 v185, v184, v0
	s_delay_alu instid0(VALU_DEP_1) | instskip(SKIP_1) | instid1(VALU_DEP_2)
	v_div_scale_f32 v1, null, v185, v185, 1.0
	v_div_scale_f32 v187, vcc_lo, 1.0, v185, 1.0
	v_rcp_f32_e32 v184, v1
	v_nop
	s_delay_alu instid0(TRANS32_DEP_1) | instskip(NEXT) | instid1(VALU_DEP_1)
	v_fma_f32 v186, -v1, v184, 1.0
	v_fmac_f32_e32 v184, v186, v184
	s_delay_alu instid0(VALU_DEP_1) | instskip(NEXT) | instid1(VALU_DEP_1)
	v_mul_f32_e32 v186, v187, v184
	v_fma_f32 v188, -v1, v186, v187
	s_delay_alu instid0(VALU_DEP_1) | instskip(NEXT) | instid1(VALU_DEP_1)
	v_fmac_f32_e32 v186, v188, v184
	v_fma_f32 v1, -v1, v186, v187
	s_delay_alu instid0(VALU_DEP_1) | instskip(NEXT) | instid1(VALU_DEP_1)
	v_div_fmas_f32 v1, v1, v184, v186
	v_div_fixup_f32 v1, v1, v185, 1.0
                                        ; implicit-def: $vgpr184_vgpr185
	s_delay_alu instid0(VALU_DEP_1)
	v_mul_f32_e32 v186, v0, v1
	v_xor_b32_e32 v187, 0x80000000, v1
.LBB77_122:
	s_and_not1_saveexec_b32 s1, s1
	s_cbranch_execz .LBB77_124
; %bb.123:
	v_div_scale_f32 v0, null, v184, v184, v185
	v_div_scale_f32 v187, vcc_lo, v185, v184, v185
	s_delay_alu instid0(VALU_DEP_2) | instskip(SKIP_1) | instid1(TRANS32_DEP_1)
	v_rcp_f32_e32 v1, v0
	v_nop
	v_fma_f32 v186, -v0, v1, 1.0
	s_delay_alu instid0(VALU_DEP_1) | instskip(NEXT) | instid1(VALU_DEP_1)
	v_fmac_f32_e32 v1, v186, v1
	v_mul_f32_e32 v186, v187, v1
	s_delay_alu instid0(VALU_DEP_1) | instskip(NEXT) | instid1(VALU_DEP_1)
	v_fma_f32 v188, -v0, v186, v187
	v_fmac_f32_e32 v186, v188, v1
	s_delay_alu instid0(VALU_DEP_1) | instskip(NEXT) | instid1(VALU_DEP_1)
	v_fma_f32 v0, -v0, v186, v187
	v_div_fmas_f32 v0, v0, v1, v186
	s_delay_alu instid0(VALU_DEP_1) | instskip(NEXT) | instid1(VALU_DEP_1)
	v_div_fixup_f32 v0, v0, v184, v185
	v_fmac_f32_e32 v184, v185, v0
	s_delay_alu instid0(VALU_DEP_1) | instskip(NEXT) | instid1(VALU_DEP_1)
	v_div_scale_f32 v1, null, v184, v184, 1.0
	v_rcp_f32_e32 v185, v1
	v_nop
	s_delay_alu instid0(TRANS32_DEP_1) | instskip(NEXT) | instid1(VALU_DEP_1)
	v_fma_f32 v186, -v1, v185, 1.0
	v_fmac_f32_e32 v185, v186, v185
	v_div_scale_f32 v186, vcc_lo, 1.0, v184, 1.0
	s_delay_alu instid0(VALU_DEP_1) | instskip(NEXT) | instid1(VALU_DEP_1)
	v_mul_f32_e32 v187, v186, v185
	v_fma_f32 v188, -v1, v187, v186
	s_delay_alu instid0(VALU_DEP_1) | instskip(NEXT) | instid1(VALU_DEP_1)
	v_fmac_f32_e32 v187, v188, v185
	v_fma_f32 v1, -v1, v187, v186
	s_delay_alu instid0(VALU_DEP_1) | instskip(NEXT) | instid1(VALU_DEP_1)
	v_div_fmas_f32 v1, v1, v185, v187
	v_div_fixup_f32 v186, v1, v184, 1.0
	s_delay_alu instid0(VALU_DEP_1)
	v_mul_f32_e64 v187, v0, -v186
.LBB77_124:
	s_or_b32 exec_lo, exec_lo, s1
	ds_store_b64 v237, v[186:187]
.LBB77_125:
	s_or_b32 exec_lo, exec_lo, s2
	s_wait_dscnt 0x0
	s_barrier_signal -1
	s_barrier_wait -1
	ds_load_b64 v[184:185], v237
	s_mov_b32 s1, exec_lo
	v_cmpx_lt_u32_e32 13, v236
	s_cbranch_execz .LBB77_127
; %bb.126:
	ds_load_2addr_b64 v[190:193], v238 offset0:14 offset1:15
	ds_load_2addr_b64 v[194:197], v238 offset0:16 offset1:17
	;; [unrolled: 1-line block ×3, first 2 shown]
	s_wait_dscnt 0x3
	v_pk_mul_f32 v[188:189], v[184:185], v[88:89] op_sel:[1,1] op_sel_hi:[0,1]
	ds_load_2addr_b64 v[202:205], v238 offset0:20 offset1:21
	ds_load_2addr_b64 v[206:209], v238 offset0:22 offset1:23
	v_pk_fma_f32 v[186:187], v[184:185], v[88:89], v[188:189] op_sel_hi:[1,0,1] neg_lo:[0,0,1] neg_hi:[0,0,1]
	v_pk_fma_f32 v[188:189], v[184:185], v[88:89], v[188:189] op_sel_hi:[1,0,1]
	s_delay_alu instid0(VALU_DEP_1) | instskip(SKIP_1) | instid1(VALU_DEP_2)
	v_dual_mov_b32 v88, v186 :: v_dual_mov_b32 v89, v189
	s_wait_dscnt 0x4
	v_pk_mul_f32 v[210:211], v[190:191], v[188:189] op_sel:[0,1]
	v_pk_mul_f32 v[212:213], v[192:193], v[188:189] op_sel:[0,1]
	s_wait_dscnt 0x3
	v_pk_mul_f32 v[214:215], v[194:195], v[188:189] op_sel:[0,1]
	v_dual_mov_b32 v216, v197 :: v_dual_mov_b32 v217, v196
	v_dual_mul_f32 v218, v197, v189 :: v_dual_mul_f32 v220, v197, v186
	s_wait_dscnt 0x2
	v_pk_mul_f32 v[222:223], v[198:199], v[188:189] op_sel:[0,1]
	v_pk_mul_f32 v[224:225], v[200:201], v[188:189] op_sel:[0,1]
	v_pk_fma_f32 v[226:227], v[190:191], v[186:187], v[210:211] op_sel:[0,0,1] op_sel_hi:[1,1,0] neg_lo:[0,0,1] neg_hi:[0,0,1]
	v_pk_fma_f32 v[190:191], v[190:191], v[186:187], v[210:211] op_sel:[0,0,1] op_sel_hi:[1,0,0]
	v_pk_fma_f32 v[210:211], v[192:193], v[186:187], v[212:213] op_sel:[0,0,1] op_sel_hi:[1,1,0] neg_lo:[0,0,1] neg_hi:[0,0,1]
	v_pk_fma_f32 v[192:193], v[192:193], v[186:187], v[212:213] op_sel:[0,0,1] op_sel_hi:[1,0,0]
	;; [unrolled: 2-line block ×3, first 2 shown]
	v_pk_fma_f32 v[214:215], v[216:217], v[88:89], v[220:221] op_sel_hi:[1,1,0]
	v_pk_fma_f32 v[216:217], v[198:199], v[186:187], v[222:223] op_sel:[0,0,1] op_sel_hi:[1,0,0]
	v_dual_mov_b32 v227, v191 :: v_dual_mov_b32 v211, v193
	v_pk_fma_f32 v[190:191], v[200:201], v[186:187], v[224:225] op_sel:[0,0,1] op_sel_hi:[1,0,0]
	v_pk_fma_f32 v[196:197], v[196:197], v[88:89], v[218:219] op_sel_hi:[1,1,0] neg_lo:[0,0,1] neg_hi:[0,0,1]
	v_dual_mov_b32 v213, v195 :: v_dual_mov_b32 v197, v215
	v_pk_fma_f32 v[194:195], v[198:199], v[186:187], v[222:223] op_sel:[0,0,1] op_sel_hi:[1,1,0] neg_lo:[0,0,1] neg_hi:[0,0,1]
	v_pk_fma_f32 v[198:199], v[200:201], v[186:187], v[224:225] op_sel:[0,0,1] op_sel_hi:[1,1,0] neg_lo:[0,0,1] neg_hi:[0,0,1]
	v_dual_mov_b32 v195, v217 :: v_dual_mov_b32 v199, v191
	ds_load_2addr_b64 v[190:193], v238 offset0:24 offset1:25
	v_pk_add_f32 v[70:71], v[70:71], v[210:211] neg_lo:[0,1] neg_hi:[0,1]
	s_wait_dscnt 0x2
	v_pk_mul_f32 v[200:201], v[202:203], v[188:189] op_sel:[0,1]
	v_pk_add_f32 v[106:107], v[106:107], v[196:197] neg_lo:[0,1] neg_hi:[0,1]
	v_pk_add_f32 v[108:109], v[108:109], v[194:195] neg_lo:[0,1] neg_hi:[0,1]
	v_pk_mul_f32 v[210:211], v[204:205], v[188:189] op_sel:[0,1]
	ds_load_2addr_b64 v[194:197], v238 offset0:26 offset1:27
	v_pk_add_f32 v[110:111], v[110:111], v[212:213] neg_lo:[0,1] neg_hi:[0,1]
	v_pk_add_f32 v[86:87], v[86:87], v[198:199] neg_lo:[0,1] neg_hi:[0,1]
	v_pk_fma_f32 v[198:199], v[202:203], v[186:187], v[200:201] op_sel:[0,0,1] op_sel_hi:[1,1,0] neg_lo:[0,0,1] neg_hi:[0,0,1]
	s_wait_dscnt 0x2
	v_mul_f32_e32 v212, v207, v186
	v_pk_fma_f32 v[200:201], v[202:203], v[186:187], v[200:201] op_sel:[0,0,1] op_sel_hi:[1,0,0]
	v_pk_fma_f32 v[202:203], v[204:205], v[186:187], v[210:211] op_sel:[0,0,1] op_sel_hi:[1,0,0]
	v_mul_f32_e32 v200, v207, v189
	v_pk_fma_f32 v[204:205], v[204:205], v[186:187], v[210:211] op_sel:[0,0,1] op_sel_hi:[1,1,0] neg_lo:[0,0,1] neg_hi:[0,0,1]
	v_pk_fma_f32 v[212:213], v[206:207], v[88:89], v[212:213] op_sel:[1,0,0] op_sel_hi:[0,1,0]
	s_delay_alu instid0(VALU_DEP_4)
	v_dual_mov_b32 v199, v201 :: v_dual_mov_b32 v205, v203
	v_pk_mul_f32 v[202:203], v[208:209], v[188:189] op_sel:[0,1]
	v_pk_fma_f32 v[200:201], v[206:207], v[88:89], v[200:201] op_sel_hi:[1,1,0] neg_lo:[0,0,1] neg_hi:[0,0,1]
	s_wait_dscnt 0x1
	v_pk_mul_f32 v[206:207], v[190:191], v[188:189] op_sel:[0,1]
	v_pk_add_f32 v[136:137], v[136:137], v[198:199] neg_lo:[0,1] neg_hi:[0,1]
	v_pk_add_f32 v[132:133], v[132:133], v[204:205] neg_lo:[0,1] neg_hi:[0,1]
	v_pk_fma_f32 v[204:205], v[208:209], v[186:187], v[202:203] op_sel:[0,0,1] op_sel_hi:[1,0,0]
	v_mov_b32_e32 v201, v213
	v_pk_fma_f32 v[208:209], v[208:209], v[186:187], v[202:203] op_sel:[0,0,1] op_sel_hi:[1,1,0] neg_lo:[0,0,1] neg_hi:[0,0,1]
	v_pk_fma_f32 v[202:203], v[190:191], v[186:187], v[206:207] op_sel:[0,0,1] op_sel_hi:[1,0,0]
	v_pk_fma_f32 v[190:191], v[190:191], v[186:187], v[206:207] op_sel:[0,0,1] op_sel_hi:[1,1,0] neg_lo:[0,0,1] neg_hi:[0,0,1]
	v_mov_b32_e32 v209, v205
	v_pk_add_f32 v[134:135], v[134:135], v[200:201] neg_lo:[0,1] neg_hi:[0,1]
	ds_load_2addr_b64 v[198:201], v238 offset0:28 offset1:29
	s_wait_dscnt 0x1
	v_pk_mul_f32 v[206:207], v[194:195], v[188:189] op_sel:[0,1]
	v_pk_mul_f32 v[210:211], v[192:193], v[188:189] op_sel:[0,1]
	v_pk_add_f32 v[104:105], v[104:105], v[208:209] neg_lo:[0,1] neg_hi:[0,1]
	v_pk_add_f32 v[90:91], v[90:91], v[226:227] neg_lo:[0,1] neg_hi:[0,1]
	s_delay_alu instid0(VALU_DEP_4)
	v_pk_fma_f32 v[208:209], v[194:195], v[186:187], v[206:207] op_sel:[0,0,1] op_sel_hi:[1,0,0]
	v_mov_b32_e32 v191, v203
	ds_load_2addr_b64 v[202:205], v238 offset0:30 offset1:31
	v_pk_fma_f32 v[212:213], v[192:193], v[186:187], v[210:211] op_sel:[0,0,1] op_sel_hi:[1,0,0]
	v_mul_f32_e32 v208, v197, v186
	v_pk_add_f32 v[150:151], v[150:151], v[190:191] neg_lo:[0,1] neg_hi:[0,1]
	v_pk_fma_f32 v[190:191], v[192:193], v[186:187], v[210:211] op_sel:[0,0,1] op_sel_hi:[1,1,0] neg_lo:[0,0,1] neg_hi:[0,0,1]
	v_pk_fma_f32 v[192:193], v[194:195], v[186:187], v[206:207] op_sel:[0,0,1] op_sel_hi:[1,1,0] neg_lo:[0,0,1] neg_hi:[0,0,1]
	v_dual_mov_b32 v191, v213 :: v_dual_mov_b32 v194, v197
	v_dual_mov_b32 v193, v209 :: v_dual_mov_b32 v195, v196
	v_mul_f32_e32 v206, v197, v189
	s_wait_dscnt 0x1
	v_pk_mul_f32 v[210:211], v[198:199], v[188:189] op_sel:[0,1]
	v_pk_add_f32 v[146:147], v[146:147], v[190:191] neg_lo:[0,1] neg_hi:[0,1]
	v_pk_add_f32 v[148:149], v[148:149], v[192:193] neg_lo:[0,1] neg_hi:[0,1]
	ds_load_2addr_b64 v[190:193], v238 offset0:32 offset1:33
	v_pk_fma_f32 v[206:207], v[196:197], v[88:89], v[206:207] op_sel_hi:[1,1,0] neg_lo:[0,0,1] neg_hi:[0,0,1]
	v_pk_fma_f32 v[194:195], v[194:195], v[88:89], v[208:209] op_sel_hi:[1,1,0]
	v_pk_mul_f32 v[196:197], v[200:201], v[188:189] op_sel:[0,1]
	v_pk_fma_f32 v[208:209], v[198:199], v[186:187], v[210:211] op_sel:[0,0,1] op_sel_hi:[1,0,0]
	s_wait_dscnt 0x1
	v_pk_mul_f32 v[212:213], v[202:203], v[188:189] op_sel:[0,1]
	v_pk_fma_f32 v[198:199], v[198:199], v[186:187], v[210:211] op_sel:[0,0,1] op_sel_hi:[1,1,0] neg_lo:[0,0,1] neg_hi:[0,0,1]
	v_mov_b32_e32 v207, v195
	v_pk_fma_f32 v[210:211], v[200:201], v[186:187], v[196:197] op_sel:[0,0,1] op_sel_hi:[1,0,0]
	v_pk_fma_f32 v[200:201], v[200:201], v[186:187], v[196:197] op_sel:[0,0,1] op_sel_hi:[1,1,0] neg_lo:[0,0,1] neg_hi:[0,0,1]
	ds_load_2addr_b64 v[194:197], v238 offset0:34 offset1:35
	v_mov_b32_e32 v199, v209
	v_pk_fma_f32 v[208:209], v[202:203], v[186:187], v[212:213] op_sel:[0,0,1] op_sel_hi:[1,0,0]
	v_mov_b32_e32 v201, v211
	v_pk_fma_f32 v[202:203], v[202:203], v[186:187], v[212:213] op_sel:[0,0,1] op_sel_hi:[1,1,0] neg_lo:[0,0,1] neg_hi:[0,0,1]
	ds_load_b64 v[212:213], v238 offset:304
	v_pk_add_f32 v[120:121], v[120:121], v[198:199] neg_lo:[0,1] neg_hi:[0,1]
	v_mov_b32_e32 v203, v209
	v_pk_mul_f32 v[208:209], v[204:205], v[188:189] op_sel:[0,1]
	v_pk_add_f32 v[116:117], v[116:117], v[200:201] neg_lo:[0,1] neg_hi:[0,1]
	ds_load_2addr_b64 v[198:201], v238 offset0:36 offset1:37
	v_pk_add_f32 v[94:95], v[94:95], v[206:207] neg_lo:[0,1] neg_hi:[0,1]
	v_pk_add_f32 v[118:119], v[118:119], v[202:203] neg_lo:[0,1] neg_hi:[0,1]
	v_pk_fma_f32 v[202:203], v[204:205], v[186:187], v[208:209] op_sel:[0,0,1] op_sel_hi:[1,1,0] neg_lo:[0,0,1] neg_hi:[0,0,1]
	v_pk_fma_f32 v[204:205], v[204:205], v[186:187], v[208:209] op_sel:[0,0,1] op_sel_hi:[1,0,0]
	s_wait_dscnt 0x3
	v_mul_f32_e32 v204, v191, v186
	v_pk_mul_f32 v[206:207], v[192:193], v[188:189] op_sel:[0,1]
	s_delay_alu instid0(VALU_DEP_3) | instskip(NEXT) | instid1(VALU_DEP_3)
	v_dual_mul_f32 v208, v191, v189 :: v_dual_mov_b32 v203, v205
	v_pk_fma_f32 v[204:205], v[190:191], v[88:89], v[204:205] op_sel:[1,0,0] op_sel_hi:[0,1,0]
	s_delay_alu instid0(VALU_DEP_3) | instskip(NEXT) | instid1(VALU_DEP_3)
	v_pk_fma_f32 v[210:211], v[192:193], v[186:187], v[206:207] op_sel:[0,0,1] op_sel_hi:[1,0,0]
	v_pk_fma_f32 v[190:191], v[190:191], v[88:89], v[208:209] op_sel_hi:[1,1,0] neg_lo:[0,0,1] neg_hi:[0,0,1]
	s_wait_dscnt 0x2
	v_pk_mul_f32 v[208:209], v[194:195], v[188:189] op_sel:[0,1]
	v_pk_fma_f32 v[192:193], v[192:193], v[186:187], v[206:207] op_sel:[0,0,1] op_sel_hi:[1,1,0] neg_lo:[0,0,1] neg_hi:[0,0,1]
	v_dual_mov_b32 v191, v205 :: v_dual_mov_b32 v193, v211
	v_pk_mul_f32 v[204:205], v[196:197], v[188:189] op_sel:[0,1]
	v_pk_add_f32 v[114:115], v[114:115], v[202:203] neg_lo:[0,1] neg_hi:[0,1]
	v_pk_fma_f32 v[202:203], v[194:195], v[186:187], v[208:209] op_sel:[0,0,1] op_sel_hi:[1,0,0]
	s_delay_alu instid0(VALU_DEP_4)
	v_pk_add_f32 v[142:143], v[142:143], v[190:191] neg_lo:[0,1] neg_hi:[0,1]
	v_pk_fma_f32 v[190:191], v[194:195], v[186:187], v[208:209] op_sel:[0,0,1] op_sel_hi:[1,1,0] neg_lo:[0,0,1] neg_hi:[0,0,1]
	v_pk_fma_f32 v[194:195], v[196:197], v[186:187], v[204:205] op_sel:[0,0,1] op_sel_hi:[1,0,0]
	v_pk_add_f32 v[138:139], v[138:139], v[192:193] neg_lo:[0,1] neg_hi:[0,1]
	s_wait_dscnt 0x0
	v_dual_mov_b32 v191, v203 :: v_dual_mov_b32 v202, v201
	v_pk_fma_f32 v[192:193], v[196:197], v[186:187], v[204:205] op_sel:[0,0,1] op_sel_hi:[1,1,0] neg_lo:[0,0,1] neg_hi:[0,0,1]
	v_pk_mul_f32 v[196:197], v[198:199], v[188:189] op_sel:[0,1]
	v_dual_mov_b32 v203, v200 :: v_dual_mul_f32 v194, v201, v186
	v_pk_mul_f32 v[204:205], v[212:213], v[188:189] op_sel:[0,1]
	v_dual_mov_b32 v193, v195 :: v_dual_mul_f32 v188, v201, v189
	s_delay_alu instid0(VALU_DEP_4) | instskip(NEXT) | instid1(VALU_DEP_4)
	v_pk_fma_f32 v[206:207], v[198:199], v[186:187], v[196:197] op_sel:[0,0,1] op_sel_hi:[1,0,0]
	v_pk_fma_f32 v[194:195], v[202:203], v[88:89], v[194:195] op_sel_hi:[1,1,0]
	v_pk_fma_f32 v[196:197], v[198:199], v[186:187], v[196:197] op_sel:[0,0,1] op_sel_hi:[1,1,0] neg_lo:[0,0,1] neg_hi:[0,0,1]
	v_pk_fma_f32 v[198:199], v[212:213], v[186:187], v[204:205] op_sel:[0,0,1] op_sel_hi:[1,0,0]
	v_pk_fma_f32 v[188:189], v[200:201], v[88:89], v[188:189] op_sel_hi:[1,1,0] neg_lo:[0,0,1] neg_hi:[0,0,1]
	v_pk_fma_f32 v[186:187], v[212:213], v[186:187], v[204:205] op_sel:[0,0,1] op_sel_hi:[1,1,0] neg_lo:[0,0,1] neg_hi:[0,0,1]
	v_dual_mov_b32 v197, v207 :: v_dual_mov_b32 v189, v195
	s_delay_alu instid0(VALU_DEP_4) | instskip(SKIP_2) | instid1(VALU_DEP_4)
	v_mov_b32_e32 v187, v199
	v_pk_add_f32 v[140:141], v[140:141], v[190:191] neg_lo:[0,1] neg_hi:[0,1]
	v_pk_add_f32 v[154:155], v[154:155], v[192:193] neg_lo:[0,1] neg_hi:[0,1]
	;; [unrolled: 1-line block ×5, first 2 shown]
.LBB77_127:
	s_or_b32 exec_lo, exec_lo, s1
	s_delay_alu instid0(SALU_CYCLE_1)
	s_mov_b32 s2, exec_lo
	s_wait_dscnt 0x0
	s_barrier_signal -1
	s_barrier_wait -1
	v_cmpx_eq_u32_e32 14, v236
	s_cbranch_execz .LBB77_134
; %bb.128:
	ds_store_b64 v237, v[90:91]
	ds_store_2addr_b64 v238, v[70:71], v[110:111] offset0:15 offset1:16
	ds_store_2addr_b64 v238, v[106:107], v[108:109] offset0:17 offset1:18
	;; [unrolled: 1-line block ×12, first 2 shown]
	ds_load_b64 v[186:187], v237
	s_wait_dscnt 0x0
	v_cmp_neq_f32_e32 vcc_lo, 0, v186
	v_cmp_neq_f32_e64 s1, 0, v187
	s_or_b32 s1, vcc_lo, s1
	s_delay_alu instid0(SALU_CYCLE_1)
	s_and_b32 exec_lo, exec_lo, s1
	s_cbranch_execz .LBB77_134
; %bb.129:
	v_cmp_ngt_f32_e64 s1, |v186|, |v187|
                                        ; implicit-def: $vgpr188_vgpr189
	s_and_saveexec_b32 s4, s1
	s_delay_alu instid0(SALU_CYCLE_1)
	s_xor_b32 s1, exec_lo, s4
	s_cbranch_execz .LBB77_131
; %bb.130:
	v_div_scale_f32 v0, null, v187, v187, v186
	v_div_scale_f32 v189, vcc_lo, v186, v187, v186
	s_delay_alu instid0(VALU_DEP_2) | instskip(SKIP_1) | instid1(TRANS32_DEP_1)
	v_rcp_f32_e32 v1, v0
	v_nop
	v_fma_f32 v188, -v0, v1, 1.0
	s_delay_alu instid0(VALU_DEP_1) | instskip(NEXT) | instid1(VALU_DEP_1)
	v_fmac_f32_e32 v1, v188, v1
	v_mul_f32_e32 v188, v189, v1
	s_delay_alu instid0(VALU_DEP_1) | instskip(NEXT) | instid1(VALU_DEP_1)
	v_fma_f32 v190, -v0, v188, v189
	v_fmac_f32_e32 v188, v190, v1
	s_delay_alu instid0(VALU_DEP_1) | instskip(NEXT) | instid1(VALU_DEP_1)
	v_fma_f32 v0, -v0, v188, v189
	v_div_fmas_f32 v0, v0, v1, v188
	s_delay_alu instid0(VALU_DEP_1) | instskip(NEXT) | instid1(VALU_DEP_1)
	v_div_fixup_f32 v0, v0, v187, v186
	v_fmac_f32_e32 v187, v186, v0
	s_delay_alu instid0(VALU_DEP_1) | instskip(SKIP_1) | instid1(VALU_DEP_2)
	v_div_scale_f32 v1, null, v187, v187, 1.0
	v_div_scale_f32 v189, vcc_lo, 1.0, v187, 1.0
	v_rcp_f32_e32 v186, v1
	v_nop
	s_delay_alu instid0(TRANS32_DEP_1) | instskip(NEXT) | instid1(VALU_DEP_1)
	v_fma_f32 v188, -v1, v186, 1.0
	v_fmac_f32_e32 v186, v188, v186
	s_delay_alu instid0(VALU_DEP_1) | instskip(NEXT) | instid1(VALU_DEP_1)
	v_mul_f32_e32 v188, v189, v186
	v_fma_f32 v190, -v1, v188, v189
	s_delay_alu instid0(VALU_DEP_1) | instskip(NEXT) | instid1(VALU_DEP_1)
	v_fmac_f32_e32 v188, v190, v186
	v_fma_f32 v1, -v1, v188, v189
	s_delay_alu instid0(VALU_DEP_1) | instskip(NEXT) | instid1(VALU_DEP_1)
	v_div_fmas_f32 v1, v1, v186, v188
	v_div_fixup_f32 v1, v1, v187, 1.0
                                        ; implicit-def: $vgpr186_vgpr187
	s_delay_alu instid0(VALU_DEP_1)
	v_mul_f32_e32 v188, v0, v1
	v_xor_b32_e32 v189, 0x80000000, v1
.LBB77_131:
	s_and_not1_saveexec_b32 s1, s1
	s_cbranch_execz .LBB77_133
; %bb.132:
	v_div_scale_f32 v0, null, v186, v186, v187
	v_div_scale_f32 v189, vcc_lo, v187, v186, v187
	s_delay_alu instid0(VALU_DEP_2) | instskip(SKIP_1) | instid1(TRANS32_DEP_1)
	v_rcp_f32_e32 v1, v0
	v_nop
	v_fma_f32 v188, -v0, v1, 1.0
	s_delay_alu instid0(VALU_DEP_1) | instskip(NEXT) | instid1(VALU_DEP_1)
	v_fmac_f32_e32 v1, v188, v1
	v_mul_f32_e32 v188, v189, v1
	s_delay_alu instid0(VALU_DEP_1) | instskip(NEXT) | instid1(VALU_DEP_1)
	v_fma_f32 v190, -v0, v188, v189
	v_fmac_f32_e32 v188, v190, v1
	s_delay_alu instid0(VALU_DEP_1) | instskip(NEXT) | instid1(VALU_DEP_1)
	v_fma_f32 v0, -v0, v188, v189
	v_div_fmas_f32 v0, v0, v1, v188
	s_delay_alu instid0(VALU_DEP_1) | instskip(NEXT) | instid1(VALU_DEP_1)
	v_div_fixup_f32 v0, v0, v186, v187
	v_fmac_f32_e32 v186, v187, v0
	s_delay_alu instid0(VALU_DEP_1) | instskip(NEXT) | instid1(VALU_DEP_1)
	v_div_scale_f32 v1, null, v186, v186, 1.0
	v_rcp_f32_e32 v187, v1
	v_nop
	s_delay_alu instid0(TRANS32_DEP_1) | instskip(NEXT) | instid1(VALU_DEP_1)
	v_fma_f32 v188, -v1, v187, 1.0
	v_fmac_f32_e32 v187, v188, v187
	v_div_scale_f32 v188, vcc_lo, 1.0, v186, 1.0
	s_delay_alu instid0(VALU_DEP_1) | instskip(NEXT) | instid1(VALU_DEP_1)
	v_mul_f32_e32 v189, v188, v187
	v_fma_f32 v190, -v1, v189, v188
	s_delay_alu instid0(VALU_DEP_1) | instskip(NEXT) | instid1(VALU_DEP_1)
	v_fmac_f32_e32 v189, v190, v187
	v_fma_f32 v1, -v1, v189, v188
	s_delay_alu instid0(VALU_DEP_1) | instskip(NEXT) | instid1(VALU_DEP_1)
	v_div_fmas_f32 v1, v1, v187, v189
	v_div_fixup_f32 v188, v1, v186, 1.0
	s_delay_alu instid0(VALU_DEP_1)
	v_mul_f32_e64 v189, v0, -v188
.LBB77_133:
	s_or_b32 exec_lo, exec_lo, s1
	ds_store_b64 v237, v[188:189]
.LBB77_134:
	s_or_b32 exec_lo, exec_lo, s2
	s_wait_dscnt 0x0
	s_barrier_signal -1
	s_barrier_wait -1
	ds_load_b64 v[186:187], v237
	s_mov_b32 s1, exec_lo
	v_cmpx_lt_u32_e32 14, v236
	s_cbranch_execz .LBB77_136
; %bb.135:
	ds_load_2addr_b64 v[192:195], v238 offset0:15 offset1:16
	ds_load_2addr_b64 v[196:199], v238 offset0:17 offset1:18
	;; [unrolled: 1-line block ×3, first 2 shown]
	s_wait_dscnt 0x3
	v_pk_mul_f32 v[190:191], v[186:187], v[90:91] op_sel:[1,1] op_sel_hi:[0,1]
	ds_load_2addr_b64 v[204:207], v238 offset0:21 offset1:22
	ds_load_2addr_b64 v[208:211], v238 offset0:23 offset1:24
	v_pk_fma_f32 v[188:189], v[186:187], v[90:91], v[190:191] op_sel_hi:[1,0,1] neg_lo:[0,0,1] neg_hi:[0,0,1]
	v_pk_fma_f32 v[190:191], v[186:187], v[90:91], v[190:191] op_sel_hi:[1,0,1]
	s_delay_alu instid0(VALU_DEP_1) | instskip(SKIP_1) | instid1(VALU_DEP_2)
	v_dual_mov_b32 v90, v188 :: v_dual_mov_b32 v91, v191
	s_wait_dscnt 0x4
	v_pk_mul_f32 v[212:213], v[192:193], v[190:191] op_sel:[0,1]
	v_pk_mul_f32 v[214:215], v[194:195], v[190:191] op_sel:[0,1]
	s_wait_dscnt 0x3
	v_pk_mul_f32 v[216:217], v[196:197], v[190:191] op_sel:[0,1]
	v_dual_mov_b32 v218, v199 :: v_dual_mov_b32 v219, v198
	v_dual_mul_f32 v220, v199, v191 :: v_dual_mul_f32 v222, v199, v188
	s_wait_dscnt 0x2
	v_pk_mul_f32 v[224:225], v[200:201], v[190:191] op_sel:[0,1]
	v_pk_mul_f32 v[226:227], v[202:203], v[190:191] op_sel:[0,1]
	v_pk_fma_f32 v[228:229], v[192:193], v[188:189], v[212:213] op_sel:[0,0,1] op_sel_hi:[1,1,0] neg_lo:[0,0,1] neg_hi:[0,0,1]
	v_pk_fma_f32 v[192:193], v[192:193], v[188:189], v[212:213] op_sel:[0,0,1] op_sel_hi:[1,0,0]
	v_pk_fma_f32 v[212:213], v[194:195], v[188:189], v[214:215] op_sel:[0,0,1] op_sel_hi:[1,1,0] neg_lo:[0,0,1] neg_hi:[0,0,1]
	v_pk_fma_f32 v[194:195], v[194:195], v[188:189], v[214:215] op_sel:[0,0,1] op_sel_hi:[1,0,0]
	;; [unrolled: 2-line block ×3, first 2 shown]
	v_pk_fma_f32 v[216:217], v[218:219], v[90:91], v[222:223] op_sel_hi:[1,1,0]
	v_pk_fma_f32 v[198:199], v[198:199], v[90:91], v[220:221] op_sel_hi:[1,1,0] neg_lo:[0,0,1] neg_hi:[0,0,1]
	v_pk_fma_f32 v[218:219], v[200:201], v[188:189], v[224:225] op_sel:[0,0,1] op_sel_hi:[1,1,0] neg_lo:[0,0,1] neg_hi:[0,0,1]
	v_dual_mov_b32 v229, v193 :: v_dual_mov_b32 v213, v195
	s_delay_alu instid0(VALU_DEP_4)
	v_dual_mov_b32 v215, v197 :: v_dual_mov_b32 v199, v217
	v_pk_fma_f32 v[192:193], v[200:201], v[188:189], v[224:225] op_sel:[0,0,1] op_sel_hi:[1,0,0]
	v_pk_fma_f32 v[196:197], v[202:203], v[188:189], v[226:227] op_sel:[0,0,1] op_sel_hi:[1,0,0]
	v_pk_fma_f32 v[200:201], v[202:203], v[188:189], v[226:227] op_sel:[0,0,1] op_sel_hi:[1,1,0] neg_lo:[0,0,1] neg_hi:[0,0,1]
	s_wait_dscnt 0x1
	v_pk_mul_f32 v[202:203], v[204:205], v[190:191] op_sel:[0,1]
	v_pk_add_f32 v[108:109], v[108:109], v[198:199] neg_lo:[0,1] neg_hi:[0,1]
	v_dual_mov_b32 v219, v193 :: v_dual_mov_b32 v201, v197
	ds_load_2addr_b64 v[192:195], v238 offset0:25 offset1:26
	v_pk_fma_f32 v[198:199], v[204:205], v[188:189], v[202:203] op_sel:[0,0,1] op_sel_hi:[1,0,0]
	v_pk_mul_f32 v[196:197], v[206:207], v[190:191] op_sel:[0,1]
	v_pk_fma_f32 v[202:203], v[204:205], v[188:189], v[202:203] op_sel:[0,0,1] op_sel_hi:[1,1,0] neg_lo:[0,0,1] neg_hi:[0,0,1]
	v_pk_add_f32 v[136:137], v[136:137], v[200:201] neg_lo:[0,1] neg_hi:[0,1]
	v_pk_add_f32 v[110:111], v[110:111], v[212:213] neg_lo:[0,1] neg_hi:[0,1]
	v_mov_b32_e32 v203, v199
	v_pk_fma_f32 v[200:201], v[206:207], v[188:189], v[196:197] op_sel:[0,0,1] op_sel_hi:[1,0,0]
	s_wait_dscnt 0x1
	v_mul_f32_e32 v200, v209, v188
	v_pk_fma_f32 v[204:205], v[206:207], v[188:189], v[196:197] op_sel:[0,0,1] op_sel_hi:[1,1,0] neg_lo:[0,0,1] neg_hi:[0,0,1]
	ds_load_2addr_b64 v[196:199], v238 offset0:27 offset1:28
	v_pk_add_f32 v[132:133], v[132:133], v[202:203] neg_lo:[0,1] neg_hi:[0,1]
	v_pk_mul_f32 v[202:203], v[210:211], v[190:191] op_sel:[0,1]
	v_mul_f32_e32 v206, v209, v191
	v_pk_add_f32 v[106:107], v[106:107], v[214:215] neg_lo:[0,1] neg_hi:[0,1]
	v_pk_add_f32 v[70:71], v[70:71], v[228:229] neg_lo:[0,1] neg_hi:[0,1]
	;; [unrolled: 1-line block ×3, first 2 shown]
	v_pk_fma_f32 v[212:213], v[210:211], v[188:189], v[202:203] op_sel:[0,0,1] op_sel_hi:[1,0,0]
	v_mov_b32_e32 v205, v201
	v_pk_fma_f32 v[210:211], v[210:211], v[188:189], v[202:203] op_sel:[0,0,1] op_sel_hi:[1,1,0] neg_lo:[0,0,1] neg_hi:[0,0,1]
	v_pk_fma_f32 v[200:201], v[208:209], v[90:91], v[200:201] op_sel:[1,0,0] op_sel_hi:[0,1,0]
	s_delay_alu instid0(VALU_DEP_4) | instskip(NEXT) | instid1(VALU_DEP_4)
	v_mov_b32_e32 v211, v213
	v_pk_add_f32 v[134:135], v[134:135], v[204:205] neg_lo:[0,1] neg_hi:[0,1]
	v_pk_fma_f32 v[204:205], v[208:209], v[90:91], v[206:207] op_sel_hi:[1,1,0] neg_lo:[0,0,1] neg_hi:[0,0,1]
	s_wait_dscnt 0x1
	v_pk_mul_f32 v[208:209], v[194:195], v[190:191] op_sel:[0,1]
	v_pk_mul_f32 v[206:207], v[192:193], v[190:191] op_sel:[0,1]
	v_pk_add_f32 v[150:151], v[150:151], v[210:211] neg_lo:[0,1] neg_hi:[0,1]
	s_delay_alu instid0(VALU_DEP_3)
	v_pk_fma_f32 v[216:217], v[194:195], v[188:189], v[208:209] op_sel:[0,0,1] op_sel_hi:[1,0,0]
	v_mov_b32_e32 v205, v201
	ds_load_2addr_b64 v[200:203], v238 offset0:29 offset1:30
	v_pk_fma_f32 v[214:215], v[192:193], v[188:189], v[206:207] op_sel:[0,0,1] op_sel_hi:[1,0,0]
	v_pk_fma_f32 v[192:193], v[192:193], v[188:189], v[206:207] op_sel:[0,0,1] op_sel_hi:[1,1,0] neg_lo:[0,0,1] neg_hi:[0,0,1]
	s_wait_dscnt 0x1
	v_pk_mul_f32 v[206:207], v[196:197], v[190:191] op_sel:[0,1]
	v_pk_fma_f32 v[194:195], v[194:195], v[188:189], v[208:209] op_sel:[0,0,1] op_sel_hi:[1,1,0] neg_lo:[0,0,1] neg_hi:[0,0,1]
	v_dual_mov_b32 v195, v217 :: v_dual_mov_b32 v193, v215
	v_pk_add_f32 v[104:105], v[104:105], v[204:205] neg_lo:[0,1] neg_hi:[0,1]
	s_delay_alu instid0(VALU_DEP_4) | instskip(SKIP_1) | instid1(VALU_DEP_4)
	v_pk_fma_f32 v[204:205], v[196:197], v[188:189], v[206:207] op_sel:[0,0,1] op_sel_hi:[1,0,0]
	v_dual_mov_b32 v208, v199 :: v_dual_mov_b32 v209, v198
	v_pk_add_f32 v[146:147], v[146:147], v[192:193] neg_lo:[0,1] neg_hi:[0,1]
	v_pk_add_f32 v[148:149], v[148:149], v[194:195] neg_lo:[0,1] neg_hi:[0,1]
	ds_load_2addr_b64 v[192:195], v238 offset0:31 offset1:32
	v_mul_f32_e32 v204, v199, v188
	v_pk_fma_f32 v[196:197], v[196:197], v[188:189], v[206:207] op_sel:[0,0,1] op_sel_hi:[1,1,0] neg_lo:[0,0,1] neg_hi:[0,0,1]
	v_mov_b32_e32 v197, v205
	s_delay_alu instid0(VALU_DEP_3)
	v_pk_fma_f32 v[208:209], v[208:209], v[90:91], v[204:205] op_sel_hi:[1,1,0]
	s_wait_dscnt 0x1
	v_pk_mul_f32 v[212:213], v[200:201], v[190:191] op_sel:[0,1]
	v_mul_f32_e32 v210, v199, v191
	ds_load_2addr_b64 v[204:207], v238 offset0:33 offset1:34
	v_pk_mul_f32 v[214:215], v[202:203], v[190:191] op_sel:[0,1]
	v_pk_add_f32 v[94:95], v[94:95], v[196:197] neg_lo:[0,1] neg_hi:[0,1]
	v_pk_fma_f32 v[196:197], v[200:201], v[188:189], v[212:213] op_sel:[0,0,1] op_sel_hi:[1,0,0]
	v_pk_fma_f32 v[210:211], v[198:199], v[90:91], v[210:211] op_sel_hi:[1,1,0] neg_lo:[0,0,1] neg_hi:[0,0,1]
	v_pk_fma_f32 v[200:201], v[200:201], v[188:189], v[212:213] op_sel:[0,0,1] op_sel_hi:[1,1,0] neg_lo:[0,0,1] neg_hi:[0,0,1]
	v_mov_b32_e32 v211, v209
	v_pk_fma_f32 v[208:209], v[202:203], v[188:189], v[214:215] op_sel:[0,0,1] op_sel_hi:[1,0,0]
	v_mov_b32_e32 v201, v197
	ds_load_2addr_b64 v[196:199], v238 offset0:35 offset1:36
	v_pk_fma_f32 v[202:203], v[202:203], v[188:189], v[214:215] op_sel:[0,0,1] op_sel_hi:[1,1,0] neg_lo:[0,0,1] neg_hi:[0,0,1]
	v_pk_add_f32 v[120:121], v[120:121], v[210:211] neg_lo:[0,1] neg_hi:[0,1]
	v_mov_b32_e32 v203, v209
	s_wait_dscnt 0x2
	v_pk_mul_f32 v[208:209], v[192:193], v[190:191] op_sel:[0,1]
	v_pk_mul_f32 v[210:211], v[194:195], v[190:191] op_sel:[0,1]
	v_pk_add_f32 v[116:117], v[116:117], v[200:201] neg_lo:[0,1] neg_hi:[0,1]
	v_pk_add_f32 v[118:119], v[118:119], v[202:203] neg_lo:[0,1] neg_hi:[0,1]
	ds_load_2addr_b64 v[200:203], v238 offset0:37 offset1:38
	v_pk_fma_f32 v[212:213], v[192:193], v[188:189], v[208:209] op_sel:[0,0,1] op_sel_hi:[1,0,0]
	v_pk_fma_f32 v[192:193], v[192:193], v[188:189], v[208:209] op_sel:[0,0,1] op_sel_hi:[1,1,0] neg_lo:[0,0,1] neg_hi:[0,0,1]
	v_pk_fma_f32 v[208:209], v[194:195], v[188:189], v[210:211] op_sel:[0,0,1] op_sel_hi:[1,0,0]
	s_wait_dscnt 0x2
	v_dual_mul_f32 v208, v205, v188 :: v_dual_mul_f32 v212, v205, v191
	v_pk_fma_f32 v[194:195], v[194:195], v[188:189], v[210:211] op_sel:[0,0,1] op_sel_hi:[1,1,0] neg_lo:[0,0,1] neg_hi:[0,0,1]
	s_delay_alu instid0(VALU_DEP_3) | instskip(NEXT) | instid1(VALU_DEP_3)
	v_dual_mov_b32 v193, v213 :: v_dual_mov_b32 v195, v209
	v_pk_fma_f32 v[210:211], v[204:205], v[90:91], v[208:209] op_sel:[1,0,0] op_sel_hi:[0,1,0]
	s_delay_alu instid0(VALU_DEP_4)
	v_pk_fma_f32 v[204:205], v[204:205], v[90:91], v[212:213] op_sel_hi:[1,1,0] neg_lo:[0,0,1] neg_hi:[0,0,1]
	s_wait_dscnt 0x1
	v_pk_mul_f32 v[212:213], v[196:197], v[190:191] op_sel:[0,1]
	v_pk_mul_f32 v[208:209], v[206:207], v[190:191] op_sel:[0,1]
	v_pk_add_f32 v[142:143], v[142:143], v[194:195] neg_lo:[0,1] neg_hi:[0,1]
	v_pk_add_f32 v[114:115], v[114:115], v[192:193] neg_lo:[0,1] neg_hi:[0,1]
	s_delay_alu instid0(VALU_DEP_4) | instskip(SKIP_2) | instid1(VALU_DEP_2)
	v_pk_fma_f32 v[194:195], v[196:197], v[188:189], v[212:213] op_sel:[0,0,1] op_sel_hi:[1,0,0]
	v_mov_b32_e32 v205, v211
	v_pk_fma_f32 v[192:193], v[206:207], v[188:189], v[208:209] op_sel:[0,0,1] op_sel_hi:[1,0,0]
	v_pk_add_f32 v[138:139], v[138:139], v[204:205] neg_lo:[0,1] neg_hi:[0,1]
	v_pk_fma_f32 v[204:205], v[206:207], v[188:189], v[208:209] op_sel:[0,0,1] op_sel_hi:[1,1,0] neg_lo:[0,0,1] neg_hi:[0,0,1]
	s_wait_dscnt 0x0
	s_delay_alu instid0(VALU_DEP_3)
	v_dual_mov_b32 v205, v193 :: v_dual_mov_b32 v206, v203
	v_pk_fma_f32 v[192:193], v[196:197], v[188:189], v[212:213] op_sel:[0,0,1] op_sel_hi:[1,1,0] neg_lo:[0,0,1] neg_hi:[0,0,1]
	v_mov_b32_e32 v193, v195
	v_pk_mul_f32 v[194:195], v[198:199], v[190:191] op_sel:[0,1]
	v_pk_mul_f32 v[196:197], v[200:201], v[190:191] op_sel:[0,1]
	v_dual_mov_b32 v207, v202 :: v_dual_mul_f32 v190, v203, v188
	v_pk_add_f32 v[140:141], v[140:141], v[204:205] neg_lo:[0,1] neg_hi:[0,1]
	s_delay_alu instid0(VALU_DEP_4)
	v_pk_fma_f32 v[208:209], v[198:199], v[188:189], v[194:195] op_sel:[0,0,1] op_sel_hi:[1,0,0]
	v_pk_fma_f32 v[194:195], v[198:199], v[188:189], v[194:195] op_sel:[0,0,1] op_sel_hi:[1,1,0] neg_lo:[0,0,1] neg_hi:[0,0,1]
	v_pk_fma_f32 v[198:199], v[200:201], v[188:189], v[196:197] op_sel:[0,0,1] op_sel_hi:[1,0,0]
	v_mul_f32_e32 v198, v203, v191
	v_pk_fma_f32 v[190:191], v[206:207], v[90:91], v[190:191] op_sel_hi:[1,1,0]
	v_mov_b32_e32 v195, v209
	v_pk_fma_f32 v[188:189], v[200:201], v[188:189], v[196:197] op_sel:[0,0,1] op_sel_hi:[1,1,0] neg_lo:[0,0,1] neg_hi:[0,0,1]
	v_mov_b32_e32 v189, v199
	v_pk_fma_f32 v[196:197], v[202:203], v[90:91], v[198:199] op_sel_hi:[1,1,0] neg_lo:[0,0,1] neg_hi:[0,0,1]
	v_mov_b32_e32 v197, v191
	v_pk_add_f32 v[154:155], v[154:155], v[192:193] neg_lo:[0,1] neg_hi:[0,1]
	v_pk_add_f32 v[152:153], v[152:153], v[194:195] neg_lo:[0,1] neg_hi:[0,1]
	v_pk_add_f32 v[144:145], v[144:145], v[188:189] neg_lo:[0,1] neg_hi:[0,1]
	s_delay_alu instid0(VALU_DEP_4)
	v_pk_add_f32 v[156:157], v[156:157], v[196:197] neg_lo:[0,1] neg_hi:[0,1]
.LBB77_136:
	s_or_b32 exec_lo, exec_lo, s1
	s_delay_alu instid0(SALU_CYCLE_1)
	s_mov_b32 s2, exec_lo
	s_wait_dscnt 0x0
	s_barrier_signal -1
	s_barrier_wait -1
	v_cmpx_eq_u32_e32 15, v236
	s_cbranch_execz .LBB77_143
; %bb.137:
	v_dual_mov_b32 v188, v110 :: v_dual_mov_b32 v189, v111
	v_dual_mov_b32 v190, v106 :: v_dual_mov_b32 v191, v107
	;; [unrolled: 1-line block ×10, first 2 shown]
	ds_store_b64 v237, v[70:71]
	v_dual_mov_b32 v208, v148 :: v_dual_mov_b32 v209, v149
	v_dual_mov_b32 v210, v94 :: v_dual_mov_b32 v211, v95
	ds_store_2addr_b64 v238, v[188:189], v[190:191] offset0:16 offset1:17
	ds_store_2addr_b64 v238, v[192:193], v[194:195] offset0:18 offset1:19
	;; [unrolled: 1-line block ×6, first 2 shown]
	v_dual_mov_b32 v188, v120 :: v_dual_mov_b32 v189, v121
	v_dual_mov_b32 v190, v116 :: v_dual_mov_b32 v191, v117
	;; [unrolled: 1-line block ×10, first 2 shown]
	ds_store_2addr_b64 v238, v[188:189], v[190:191] offset0:28 offset1:29
	ds_store_2addr_b64 v238, v[192:193], v[194:195] offset0:30 offset1:31
	;; [unrolled: 1-line block ×5, first 2 shown]
	ds_store_b64 v238, v[156:157] offset:304
	ds_load_b64 v[188:189], v237
	s_wait_dscnt 0x0
	v_cmp_neq_f32_e32 vcc_lo, 0, v188
	v_cmp_neq_f32_e64 s1, 0, v189
	s_or_b32 s1, vcc_lo, s1
	s_delay_alu instid0(SALU_CYCLE_1)
	s_and_b32 exec_lo, exec_lo, s1
	s_cbranch_execz .LBB77_143
; %bb.138:
	v_cmp_ngt_f32_e64 s1, |v188|, |v189|
                                        ; implicit-def: $vgpr190_vgpr191
	s_and_saveexec_b32 s4, s1
	s_delay_alu instid0(SALU_CYCLE_1)
	s_xor_b32 s1, exec_lo, s4
	s_cbranch_execz .LBB77_140
; %bb.139:
	v_div_scale_f32 v0, null, v189, v189, v188
	v_div_scale_f32 v191, vcc_lo, v188, v189, v188
	s_delay_alu instid0(VALU_DEP_2) | instskip(SKIP_1) | instid1(TRANS32_DEP_1)
	v_rcp_f32_e32 v1, v0
	v_nop
	v_fma_f32 v190, -v0, v1, 1.0
	s_delay_alu instid0(VALU_DEP_1) | instskip(NEXT) | instid1(VALU_DEP_1)
	v_fmac_f32_e32 v1, v190, v1
	v_mul_f32_e32 v190, v191, v1
	s_delay_alu instid0(VALU_DEP_1) | instskip(NEXT) | instid1(VALU_DEP_1)
	v_fma_f32 v192, -v0, v190, v191
	v_fmac_f32_e32 v190, v192, v1
	s_delay_alu instid0(VALU_DEP_1) | instskip(NEXT) | instid1(VALU_DEP_1)
	v_fma_f32 v0, -v0, v190, v191
	v_div_fmas_f32 v0, v0, v1, v190
	s_delay_alu instid0(VALU_DEP_1) | instskip(NEXT) | instid1(VALU_DEP_1)
	v_div_fixup_f32 v0, v0, v189, v188
	v_fmac_f32_e32 v189, v188, v0
	s_delay_alu instid0(VALU_DEP_1) | instskip(SKIP_1) | instid1(VALU_DEP_2)
	v_div_scale_f32 v1, null, v189, v189, 1.0
	v_div_scale_f32 v191, vcc_lo, 1.0, v189, 1.0
	v_rcp_f32_e32 v188, v1
	v_nop
	s_delay_alu instid0(TRANS32_DEP_1) | instskip(NEXT) | instid1(VALU_DEP_1)
	v_fma_f32 v190, -v1, v188, 1.0
	v_fmac_f32_e32 v188, v190, v188
	s_delay_alu instid0(VALU_DEP_1) | instskip(NEXT) | instid1(VALU_DEP_1)
	v_mul_f32_e32 v190, v191, v188
	v_fma_f32 v192, -v1, v190, v191
	s_delay_alu instid0(VALU_DEP_1) | instskip(NEXT) | instid1(VALU_DEP_1)
	v_fmac_f32_e32 v190, v192, v188
	v_fma_f32 v1, -v1, v190, v191
	s_delay_alu instid0(VALU_DEP_1) | instskip(NEXT) | instid1(VALU_DEP_1)
	v_div_fmas_f32 v1, v1, v188, v190
	v_div_fixup_f32 v1, v1, v189, 1.0
                                        ; implicit-def: $vgpr188_vgpr189
	s_delay_alu instid0(VALU_DEP_1)
	v_mul_f32_e32 v190, v0, v1
	v_xor_b32_e32 v191, 0x80000000, v1
.LBB77_140:
	s_and_not1_saveexec_b32 s1, s1
	s_cbranch_execz .LBB77_142
; %bb.141:
	v_div_scale_f32 v0, null, v188, v188, v189
	v_div_scale_f32 v191, vcc_lo, v189, v188, v189
	s_delay_alu instid0(VALU_DEP_2) | instskip(SKIP_1) | instid1(TRANS32_DEP_1)
	v_rcp_f32_e32 v1, v0
	v_nop
	v_fma_f32 v190, -v0, v1, 1.0
	s_delay_alu instid0(VALU_DEP_1) | instskip(NEXT) | instid1(VALU_DEP_1)
	v_fmac_f32_e32 v1, v190, v1
	v_mul_f32_e32 v190, v191, v1
	s_delay_alu instid0(VALU_DEP_1) | instskip(NEXT) | instid1(VALU_DEP_1)
	v_fma_f32 v192, -v0, v190, v191
	v_fmac_f32_e32 v190, v192, v1
	s_delay_alu instid0(VALU_DEP_1) | instskip(NEXT) | instid1(VALU_DEP_1)
	v_fma_f32 v0, -v0, v190, v191
	v_div_fmas_f32 v0, v0, v1, v190
	s_delay_alu instid0(VALU_DEP_1) | instskip(NEXT) | instid1(VALU_DEP_1)
	v_div_fixup_f32 v0, v0, v188, v189
	v_fmac_f32_e32 v188, v189, v0
	s_delay_alu instid0(VALU_DEP_1) | instskip(NEXT) | instid1(VALU_DEP_1)
	v_div_scale_f32 v1, null, v188, v188, 1.0
	v_rcp_f32_e32 v189, v1
	v_nop
	s_delay_alu instid0(TRANS32_DEP_1) | instskip(NEXT) | instid1(VALU_DEP_1)
	v_fma_f32 v190, -v1, v189, 1.0
	v_fmac_f32_e32 v189, v190, v189
	v_div_scale_f32 v190, vcc_lo, 1.0, v188, 1.0
	s_delay_alu instid0(VALU_DEP_1) | instskip(NEXT) | instid1(VALU_DEP_1)
	v_mul_f32_e32 v191, v190, v189
	v_fma_f32 v192, -v1, v191, v190
	s_delay_alu instid0(VALU_DEP_1) | instskip(NEXT) | instid1(VALU_DEP_1)
	v_fmac_f32_e32 v191, v192, v189
	v_fma_f32 v1, -v1, v191, v190
	s_delay_alu instid0(VALU_DEP_1) | instskip(NEXT) | instid1(VALU_DEP_1)
	v_div_fmas_f32 v1, v1, v189, v191
	v_div_fixup_f32 v190, v1, v188, 1.0
	s_delay_alu instid0(VALU_DEP_1)
	v_mul_f32_e64 v191, v0, -v190
.LBB77_142:
	s_or_b32 exec_lo, exec_lo, s1
	ds_store_b64 v237, v[190:191]
.LBB77_143:
	s_or_b32 exec_lo, exec_lo, s2
	s_wait_dscnt 0x0
	s_barrier_signal -1
	s_barrier_wait -1
	ds_load_b64 v[188:189], v237
	s_mov_b32 s1, exec_lo
	v_cmpx_lt_u32_e32 15, v236
	s_cbranch_execz .LBB77_145
; %bb.144:
	ds_load_2addr_b64 v[190:193], v238 offset0:16 offset1:17
	ds_load_2addr_b64 v[194:197], v238 offset0:18 offset1:19
	;; [unrolled: 1-line block ×3, first 2 shown]
	s_wait_dscnt 0x3
	v_pk_mul_f32 v[206:207], v[188:189], v[70:71] op_sel:[1,1] op_sel_hi:[0,1]
	ds_load_2addr_b64 v[202:205], v238 offset0:22 offset1:23
	v_pk_fma_f32 v[212:213], v[188:189], v[70:71], v[206:207] op_sel_hi:[1,0,1]
	v_pk_fma_f32 v[210:211], v[188:189], v[70:71], v[206:207] op_sel_hi:[1,0,1] neg_lo:[0,0,1] neg_hi:[0,0,1]
	ds_load_2addr_b64 v[206:209], v238 offset0:24 offset1:25
	v_dual_mov_b32 v71, v213 :: v_dual_mov_b32 v70, v210
	s_wait_dscnt 0x4
	v_pk_mul_f32 v[214:215], v[190:191], v[212:213] op_sel:[0,1]
	v_pk_mul_f32 v[216:217], v[192:193], v[212:213] op_sel:[0,1]
	s_wait_dscnt 0x3
	v_pk_mul_f32 v[218:219], v[194:195], v[212:213] op_sel:[0,1]
	v_dual_mov_b32 v220, v197 :: v_dual_mov_b32 v221, v196
	v_pk_fma_f32 v[232:233], v[190:191], v[210:211], v[214:215] op_sel:[0,0,1] op_sel_hi:[1,1,0] neg_lo:[0,0,1] neg_hi:[0,0,1]
	v_pk_fma_f32 v[190:191], v[190:191], v[210:211], v[214:215] op_sel:[0,0,1] op_sel_hi:[1,0,0]
	v_pk_fma_f32 v[214:215], v[192:193], v[210:211], v[216:217] op_sel:[0,0,1] op_sel_hi:[1,1,0] neg_lo:[0,0,1] neg_hi:[0,0,1]
	v_pk_fma_f32 v[192:193], v[192:193], v[210:211], v[216:217] op_sel:[0,0,1] op_sel_hi:[1,0,0]
	v_dual_mul_f32 v222, v197, v213 :: v_dual_mul_f32 v224, v197, v210
	s_wait_dscnt 0x2
	v_pk_mul_f32 v[226:227], v[198:199], v[212:213] op_sel:[0,1]
	v_pk_fma_f32 v[216:217], v[194:195], v[210:211], v[218:219] op_sel:[0,0,1] op_sel_hi:[1,1,0] neg_lo:[0,0,1] neg_hi:[0,0,1]
	v_pk_fma_f32 v[194:195], v[194:195], v[210:211], v[218:219] op_sel:[0,0,1] op_sel_hi:[1,0,0]
	v_dual_mov_b32 v233, v191 :: v_dual_mov_b32 v215, v193
	ds_load_2addr_b64 v[190:193], v238 offset0:26 offset1:27
	v_pk_mul_f32 v[228:229], v[200:201], v[212:213] op_sel:[0,1]
	s_wait_dscnt 0x2
	v_pk_mul_f32 v[230:231], v[202:203], v[212:213] op_sel:[0,1]
	v_pk_fma_f32 v[218:219], v[220:221], v[70:71], v[224:225] op_sel_hi:[1,1,0]
	v_mov_b32_e32 v217, v195
	v_pk_fma_f32 v[194:195], v[198:199], v[210:211], v[226:227] op_sel:[0,0,1] op_sel_hi:[1,0,0]
	v_pk_fma_f32 v[196:197], v[196:197], v[70:71], v[222:223] op_sel_hi:[1,1,0] neg_lo:[0,0,1] neg_hi:[0,0,1]
	v_pk_fma_f32 v[198:199], v[198:199], v[210:211], v[226:227] op_sel:[0,0,1] op_sel_hi:[1,1,0] neg_lo:[0,0,1] neg_hi:[0,0,1]
	v_mov_b32_e32 v197, v219
	v_pk_add_f32 v[106:107], v[106:107], v[214:215] neg_lo:[0,1] neg_hi:[0,1]
	v_pk_add_f32 v[108:109], v[108:109], v[216:217] neg_lo:[0,1] neg_hi:[0,1]
	v_pk_fma_f32 v[214:215], v[200:201], v[210:211], v[228:229] op_sel:[0,0,1] op_sel_hi:[1,0,0]
	v_pk_fma_f32 v[216:217], v[202:203], v[210:211], v[230:231] op_sel:[0,0,1] op_sel_hi:[1,0,0]
	v_mov_b32_e32 v199, v195
	v_pk_fma_f32 v[194:195], v[200:201], v[210:211], v[228:229] op_sel:[0,0,1] op_sel_hi:[1,1,0] neg_lo:[0,0,1] neg_hi:[0,0,1]
	v_pk_fma_f32 v[200:201], v[202:203], v[210:211], v[230:231] op_sel:[0,0,1] op_sel_hi:[1,1,0] neg_lo:[0,0,1] neg_hi:[0,0,1]
	v_pk_mul_f32 v[202:203], v[204:205], v[212:213] op_sel:[0,1]
	v_mov_b32_e32 v195, v215
	v_pk_add_f32 v[136:137], v[136:137], v[198:199] neg_lo:[0,1] neg_hi:[0,1]
	v_mov_b32_e32 v201, v217
	v_pk_add_f32 v[86:87], v[86:87], v[196:197] neg_lo:[0,1] neg_hi:[0,1]
	v_pk_fma_f32 v[198:199], v[204:205], v[210:211], v[202:203] op_sel:[0,0,1] op_sel_hi:[1,0,0]
	s_wait_dscnt 0x1
	v_mul_f32_e32 v198, v207, v210
	v_pk_add_f32 v[132:133], v[132:133], v[194:195] neg_lo:[0,1] neg_hi:[0,1]
	ds_load_2addr_b64 v[194:197], v238 offset0:28 offset1:29
	v_pk_add_f32 v[134:135], v[134:135], v[200:201] neg_lo:[0,1] neg_hi:[0,1]
	v_pk_fma_f32 v[214:215], v[204:205], v[210:211], v[202:203] op_sel:[0,0,1] op_sel_hi:[1,1,0] neg_lo:[0,0,1] neg_hi:[0,0,1]
	v_pk_mul_f32 v[202:203], v[208:209], v[212:213] op_sel:[0,1]
	s_wait_dscnt 0x1
	v_pk_mul_f32 v[204:205], v[190:191], v[212:213] op_sel:[0,1]
	v_pk_fma_f32 v[216:217], v[206:207], v[70:71], v[198:199] op_sel:[1,0,0] op_sel_hi:[0,1,0]
	v_mul_f32_e32 v200, v207, v213
	v_mov_b32_e32 v215, v199
	v_pk_fma_f32 v[198:199], v[208:209], v[210:211], v[202:203] op_sel:[0,0,1] op_sel_hi:[1,0,0]
	v_pk_fma_f32 v[202:203], v[208:209], v[210:211], v[202:203] op_sel:[0,0,1] op_sel_hi:[1,1,0] neg_lo:[0,0,1] neg_hi:[0,0,1]
	v_pk_add_f32 v[110:111], v[110:111], v[232:233] neg_lo:[0,1] neg_hi:[0,1]
	v_pk_fma_f32 v[206:207], v[206:207], v[70:71], v[200:201] op_sel_hi:[1,1,0] neg_lo:[0,0,1] neg_hi:[0,0,1]
	v_pk_fma_f32 v[200:201], v[190:191], v[210:211], v[204:205] op_sel:[0,0,1] op_sel_hi:[1,0,0]
	v_pk_fma_f32 v[190:191], v[190:191], v[210:211], v[204:205] op_sel:[0,0,1] op_sel_hi:[1,1,0] neg_lo:[0,0,1] neg_hi:[0,0,1]
	v_dual_mov_b32 v203, v199 :: v_dual_mov_b32 v207, v217
	v_pk_mul_f32 v[204:205], v[192:193], v[212:213] op_sel:[0,1]
	s_delay_alu instid0(VALU_DEP_4)
	v_mov_b32_e32 v191, v201
	ds_load_2addr_b64 v[198:201], v238 offset0:30 offset1:31
	v_pk_add_f32 v[104:105], v[104:105], v[214:215] neg_lo:[0,1] neg_hi:[0,1]
	v_pk_add_f32 v[150:151], v[150:151], v[206:207] neg_lo:[0,1] neg_hi:[0,1]
	s_wait_dscnt 0x1
	v_pk_mul_f32 v[206:207], v[194:195], v[212:213] op_sel:[0,1]
	v_pk_add_f32 v[146:147], v[146:147], v[202:203] neg_lo:[0,1] neg_hi:[0,1]
	v_pk_fma_f32 v[202:203], v[192:193], v[210:211], v[204:205] op_sel:[0,0,1] op_sel_hi:[1,1,0] neg_lo:[0,0,1] neg_hi:[0,0,1]
	v_pk_fma_f32 v[204:205], v[192:193], v[210:211], v[204:205] op_sel:[0,0,1] op_sel_hi:[1,0,0]
	v_mov_b32_e32 v208, v197
	v_pk_fma_f32 v[214:215], v[194:195], v[210:211], v[206:207] op_sel:[0,0,1] op_sel_hi:[1,0,0]
	v_pk_add_f32 v[148:149], v[148:149], v[190:191] neg_lo:[0,1] neg_hi:[0,1]
	v_dual_mov_b32 v209, v196 :: v_dual_mul_f32 v204, v197, v210
	ds_load_2addr_b64 v[190:193], v238 offset0:32 offset1:33
	v_mul_f32_e32 v214, v197, v213
	v_pk_fma_f32 v[206:207], v[194:195], v[210:211], v[206:207] op_sel:[0,0,1] op_sel_hi:[1,1,0] neg_lo:[0,0,1] neg_hi:[0,0,1]
	v_mov_b32_e32 v203, v205
	v_pk_fma_f32 v[204:205], v[208:209], v[70:71], v[204:205] op_sel_hi:[1,1,0]
	v_mov_b32_e32 v207, v215
	v_pk_fma_f32 v[208:209], v[196:197], v[70:71], v[214:215] op_sel_hi:[1,1,0] neg_lo:[0,0,1] neg_hi:[0,0,1]
	ds_load_2addr_b64 v[194:197], v238 offset0:34 offset1:35
	s_wait_dscnt 0x2
	v_pk_mul_f32 v[214:215], v[198:199], v[212:213] op_sel:[0,1]
	v_mov_b32_e32 v209, v205
	v_pk_add_f32 v[94:95], v[94:95], v[202:203] neg_lo:[0,1] neg_hi:[0,1]
	v_pk_mul_f32 v[202:203], v[200:201], v[212:213] op_sel:[0,1]
	v_pk_add_f32 v[120:121], v[120:121], v[206:207] neg_lo:[0,1] neg_hi:[0,1]
	v_pk_fma_f32 v[204:205], v[198:199], v[210:211], v[214:215] op_sel:[0,0,1] op_sel_hi:[1,0,0]
	v_pk_fma_f32 v[206:207], v[198:199], v[210:211], v[214:215] op_sel:[0,0,1] op_sel_hi:[1,1,0] neg_lo:[0,0,1] neg_hi:[0,0,1]
	v_pk_add_f32 v[116:117], v[116:117], v[208:209] neg_lo:[0,1] neg_hi:[0,1]
	v_pk_fma_f32 v[208:209], v[200:201], v[210:211], v[202:203] op_sel:[0,0,1] op_sel_hi:[1,0,0]
	v_pk_fma_f32 v[202:203], v[200:201], v[210:211], v[202:203] op_sel:[0,0,1] op_sel_hi:[1,1,0] neg_lo:[0,0,1] neg_hi:[0,0,1]
	v_mov_b32_e32 v207, v205
	ds_load_2addr_b64 v[198:201], v238 offset0:36 offset1:37
	s_wait_dscnt 0x2
	v_pk_mul_f32 v[204:205], v[190:191], v[212:213] op_sel:[0,1]
	v_mov_b32_e32 v203, v209
	v_pk_mul_f32 v[208:209], v[192:193], v[212:213] op_sel:[0,1]
	v_pk_add_f32 v[118:119], v[118:119], v[206:207] neg_lo:[0,1] neg_hi:[0,1]
	ds_load_b64 v[206:207], v238 offset:304
	v_pk_fma_f32 v[214:215], v[190:191], v[210:211], v[204:205] op_sel:[0,0,1] op_sel_hi:[1,0,0]
	v_pk_add_f32 v[114:115], v[114:115], v[202:203] neg_lo:[0,1] neg_hi:[0,1]
	v_pk_fma_f32 v[202:203], v[192:193], v[210:211], v[208:209] op_sel:[0,0,1] op_sel_hi:[1,0,0]
	v_pk_fma_f32 v[190:191], v[190:191], v[210:211], v[204:205] op_sel:[0,0,1] op_sel_hi:[1,1,0] neg_lo:[0,0,1] neg_hi:[0,0,1]
	s_wait_dscnt 0x2
	v_dual_mul_f32 v202, v195, v210 :: v_dual_mul_f32 v204, v195, v213
	v_mov_b32_e32 v191, v215
	v_pk_fma_f32 v[192:193], v[192:193], v[210:211], v[208:209] op_sel:[0,0,1] op_sel_hi:[1,1,0] neg_lo:[0,0,1] neg_hi:[0,0,1]
	v_mov_b32_e32 v193, v203
	s_delay_alu instid0(VALU_DEP_4) | instskip(NEXT) | instid1(VALU_DEP_4)
	v_pk_fma_f32 v[202:203], v[194:195], v[70:71], v[202:203] op_sel:[1,0,0] op_sel_hi:[0,1,0]
	v_pk_add_f32 v[142:143], v[142:143], v[190:191] neg_lo:[0,1] neg_hi:[0,1]
	v_pk_mul_f32 v[190:191], v[196:197], v[212:213] op_sel:[0,1]
	s_delay_alu instid0(VALU_DEP_4)
	v_pk_add_f32 v[138:139], v[138:139], v[192:193] neg_lo:[0,1] neg_hi:[0,1]
	v_pk_fma_f32 v[192:193], v[194:195], v[70:71], v[204:205] op_sel_hi:[1,1,0] neg_lo:[0,0,1] neg_hi:[0,0,1]
	v_mov_b32_e32 v193, v203
	s_wait_dscnt 0x1
	v_pk_mul_f32 v[194:195], v[198:199], v[212:213] op_sel:[0,1]
	v_pk_fma_f32 v[202:203], v[196:197], v[210:211], v[190:191] op_sel:[0,0,1] op_sel_hi:[1,0,0]
	v_pk_mul_f32 v[204:205], v[200:201], v[212:213] op_sel:[0,1]
	v_pk_fma_f32 v[190:191], v[196:197], v[210:211], v[190:191] op_sel:[0,0,1] op_sel_hi:[1,1,0] neg_lo:[0,0,1] neg_hi:[0,0,1]
	s_wait_dscnt 0x0
	v_pk_mul_f32 v[196:197], v[206:207], v[212:213] op_sel:[0,1]
	v_pk_fma_f32 v[208:209], v[198:199], v[210:211], v[194:195] op_sel:[0,0,1] op_sel_hi:[1,0,0]
	v_mov_b32_e32 v191, v203
	v_pk_fma_f32 v[202:203], v[200:201], v[210:211], v[204:205] op_sel:[0,0,1] op_sel_hi:[1,0,0]
	v_pk_fma_f32 v[194:195], v[198:199], v[210:211], v[194:195] op_sel:[0,0,1] op_sel_hi:[1,1,0] neg_lo:[0,0,1] neg_hi:[0,0,1]
	v_pk_fma_f32 v[198:199], v[206:207], v[210:211], v[196:197] op_sel:[0,0,1] op_sel_hi:[1,0,0]
	v_pk_fma_f32 v[200:201], v[200:201], v[210:211], v[204:205] op_sel:[0,0,1] op_sel_hi:[1,1,0] neg_lo:[0,0,1] neg_hi:[0,0,1]
	v_pk_fma_f32 v[196:197], v[206:207], v[210:211], v[196:197] op_sel:[0,0,1] op_sel_hi:[1,1,0] neg_lo:[0,0,1] neg_hi:[0,0,1]
	v_dual_mov_b32 v195, v209 :: v_dual_mov_b32 v201, v203
	s_delay_alu instid0(VALU_DEP_4) | instskip(SKIP_2) | instid1(VALU_DEP_4)
	v_mov_b32_e32 v197, v199
	v_pk_add_f32 v[140:141], v[140:141], v[192:193] neg_lo:[0,1] neg_hi:[0,1]
	v_pk_add_f32 v[154:155], v[154:155], v[190:191] neg_lo:[0,1] neg_hi:[0,1]
	;; [unrolled: 1-line block ×5, first 2 shown]
.LBB77_145:
	s_or_b32 exec_lo, exec_lo, s1
	s_delay_alu instid0(SALU_CYCLE_1)
	s_mov_b32 s2, exec_lo
	s_wait_dscnt 0x0
	s_barrier_signal -1
	s_barrier_wait -1
	v_cmpx_eq_u32_e32 16, v236
	s_cbranch_execz .LBB77_152
; %bb.146:
	ds_store_b64 v237, v[110:111]
	ds_store_2addr_b64 v238, v[106:107], v[108:109] offset0:17 offset1:18
	ds_store_2addr_b64 v238, v[86:87], v[136:137] offset0:19 offset1:20
	;; [unrolled: 1-line block ×11, first 2 shown]
	ds_load_b64 v[190:191], v237
	s_wait_dscnt 0x0
	v_cmp_neq_f32_e32 vcc_lo, 0, v190
	v_cmp_neq_f32_e64 s1, 0, v191
	s_or_b32 s1, vcc_lo, s1
	s_delay_alu instid0(SALU_CYCLE_1)
	s_and_b32 exec_lo, exec_lo, s1
	s_cbranch_execz .LBB77_152
; %bb.147:
	v_cmp_ngt_f32_e64 s1, |v190|, |v191|
                                        ; implicit-def: $vgpr192_vgpr193
	s_and_saveexec_b32 s4, s1
	s_delay_alu instid0(SALU_CYCLE_1)
	s_xor_b32 s1, exec_lo, s4
	s_cbranch_execz .LBB77_149
; %bb.148:
	v_div_scale_f32 v0, null, v191, v191, v190
	v_div_scale_f32 v193, vcc_lo, v190, v191, v190
	s_delay_alu instid0(VALU_DEP_2) | instskip(SKIP_1) | instid1(TRANS32_DEP_1)
	v_rcp_f32_e32 v1, v0
	v_nop
	v_fma_f32 v192, -v0, v1, 1.0
	s_delay_alu instid0(VALU_DEP_1) | instskip(NEXT) | instid1(VALU_DEP_1)
	v_fmac_f32_e32 v1, v192, v1
	v_mul_f32_e32 v192, v193, v1
	s_delay_alu instid0(VALU_DEP_1) | instskip(NEXT) | instid1(VALU_DEP_1)
	v_fma_f32 v194, -v0, v192, v193
	v_fmac_f32_e32 v192, v194, v1
	s_delay_alu instid0(VALU_DEP_1) | instskip(NEXT) | instid1(VALU_DEP_1)
	v_fma_f32 v0, -v0, v192, v193
	v_div_fmas_f32 v0, v0, v1, v192
	s_delay_alu instid0(VALU_DEP_1) | instskip(NEXT) | instid1(VALU_DEP_1)
	v_div_fixup_f32 v0, v0, v191, v190
	v_fmac_f32_e32 v191, v190, v0
	s_delay_alu instid0(VALU_DEP_1) | instskip(SKIP_1) | instid1(VALU_DEP_2)
	v_div_scale_f32 v1, null, v191, v191, 1.0
	v_div_scale_f32 v193, vcc_lo, 1.0, v191, 1.0
	v_rcp_f32_e32 v190, v1
	v_nop
	s_delay_alu instid0(TRANS32_DEP_1) | instskip(NEXT) | instid1(VALU_DEP_1)
	v_fma_f32 v192, -v1, v190, 1.0
	v_fmac_f32_e32 v190, v192, v190
	s_delay_alu instid0(VALU_DEP_1) | instskip(NEXT) | instid1(VALU_DEP_1)
	v_mul_f32_e32 v192, v193, v190
	v_fma_f32 v194, -v1, v192, v193
	s_delay_alu instid0(VALU_DEP_1) | instskip(NEXT) | instid1(VALU_DEP_1)
	v_fmac_f32_e32 v192, v194, v190
	v_fma_f32 v1, -v1, v192, v193
	s_delay_alu instid0(VALU_DEP_1) | instskip(NEXT) | instid1(VALU_DEP_1)
	v_div_fmas_f32 v1, v1, v190, v192
	v_div_fixup_f32 v1, v1, v191, 1.0
                                        ; implicit-def: $vgpr190_vgpr191
	s_delay_alu instid0(VALU_DEP_1)
	v_mul_f32_e32 v192, v0, v1
	v_xor_b32_e32 v193, 0x80000000, v1
.LBB77_149:
	s_and_not1_saveexec_b32 s1, s1
	s_cbranch_execz .LBB77_151
; %bb.150:
	v_div_scale_f32 v0, null, v190, v190, v191
	v_div_scale_f32 v193, vcc_lo, v191, v190, v191
	s_delay_alu instid0(VALU_DEP_2) | instskip(SKIP_1) | instid1(TRANS32_DEP_1)
	v_rcp_f32_e32 v1, v0
	v_nop
	v_fma_f32 v192, -v0, v1, 1.0
	s_delay_alu instid0(VALU_DEP_1) | instskip(NEXT) | instid1(VALU_DEP_1)
	v_fmac_f32_e32 v1, v192, v1
	v_mul_f32_e32 v192, v193, v1
	s_delay_alu instid0(VALU_DEP_1) | instskip(NEXT) | instid1(VALU_DEP_1)
	v_fma_f32 v194, -v0, v192, v193
	v_fmac_f32_e32 v192, v194, v1
	s_delay_alu instid0(VALU_DEP_1) | instskip(NEXT) | instid1(VALU_DEP_1)
	v_fma_f32 v0, -v0, v192, v193
	v_div_fmas_f32 v0, v0, v1, v192
	s_delay_alu instid0(VALU_DEP_1) | instskip(NEXT) | instid1(VALU_DEP_1)
	v_div_fixup_f32 v0, v0, v190, v191
	v_fmac_f32_e32 v190, v191, v0
	s_delay_alu instid0(VALU_DEP_1) | instskip(NEXT) | instid1(VALU_DEP_1)
	v_div_scale_f32 v1, null, v190, v190, 1.0
	v_rcp_f32_e32 v191, v1
	v_nop
	s_delay_alu instid0(TRANS32_DEP_1) | instskip(NEXT) | instid1(VALU_DEP_1)
	v_fma_f32 v192, -v1, v191, 1.0
	v_fmac_f32_e32 v191, v192, v191
	v_div_scale_f32 v192, vcc_lo, 1.0, v190, 1.0
	s_delay_alu instid0(VALU_DEP_1) | instskip(NEXT) | instid1(VALU_DEP_1)
	v_mul_f32_e32 v193, v192, v191
	v_fma_f32 v194, -v1, v193, v192
	s_delay_alu instid0(VALU_DEP_1) | instskip(NEXT) | instid1(VALU_DEP_1)
	v_fmac_f32_e32 v193, v194, v191
	v_fma_f32 v1, -v1, v193, v192
	s_delay_alu instid0(VALU_DEP_1) | instskip(NEXT) | instid1(VALU_DEP_1)
	v_div_fmas_f32 v1, v1, v191, v193
	v_div_fixup_f32 v192, v1, v190, 1.0
	s_delay_alu instid0(VALU_DEP_1)
	v_mul_f32_e64 v193, v0, -v192
.LBB77_151:
	s_or_b32 exec_lo, exec_lo, s1
	ds_store_b64 v237, v[192:193]
.LBB77_152:
	s_or_b32 exec_lo, exec_lo, s2
	s_wait_dscnt 0x0
	s_barrier_signal -1
	s_barrier_wait -1
	ds_load_b64 v[190:191], v237
	s_mov_b32 s1, exec_lo
	v_cmpx_lt_u32_e32 16, v236
	s_cbranch_execz .LBB77_154
; %bb.153:
	ds_load_2addr_b64 v[192:195], v238 offset0:17 offset1:18
	ds_load_2addr_b64 v[196:199], v238 offset0:19 offset1:20
	;; [unrolled: 1-line block ×3, first 2 shown]
	s_wait_dscnt 0x3
	v_pk_mul_f32 v[204:205], v[190:191], v[110:111] op_sel:[1,1] op_sel_hi:[0,1]
	s_delay_alu instid0(VALU_DEP_1)
	v_pk_fma_f32 v[212:213], v[190:191], v[110:111], v[204:205] op_sel_hi:[1,0,1] neg_lo:[0,0,1] neg_hi:[0,0,1]
	v_pk_fma_f32 v[214:215], v[190:191], v[110:111], v[204:205] op_sel_hi:[1,0,1]
	ds_load_2addr_b64 v[204:207], v238 offset0:23 offset1:24
	ds_load_2addr_b64 v[208:211], v238 offset0:25 offset1:26
	v_dual_mov_b32 v110, v212 :: v_dual_mov_b32 v111, v215
	s_wait_dscnt 0x4
	v_pk_mul_f32 v[216:217], v[192:193], v[214:215] op_sel:[0,1]
	v_pk_mul_f32 v[218:219], v[194:195], v[214:215] op_sel:[0,1]
	s_wait_dscnt 0x3
	v_pk_mul_f32 v[220:221], v[196:197], v[214:215] op_sel:[0,1]
	v_dual_mov_b32 v222, v199 :: v_dual_mov_b32 v223, v198
	v_dual_mul_f32 v224, v199, v215 :: v_dual_mul_f32 v226, v199, v212
	s_wait_dscnt 0x2
	v_pk_mul_f32 v[228:229], v[200:201], v[214:215] op_sel:[0,1]
	v_pk_mul_f32 v[230:231], v[202:203], v[214:215] op_sel:[0,1]
	v_pk_fma_f32 v[232:233], v[192:193], v[212:213], v[216:217] op_sel:[0,0,1] op_sel_hi:[1,1,0] neg_lo:[0,0,1] neg_hi:[0,0,1]
	v_pk_fma_f32 v[192:193], v[192:193], v[212:213], v[216:217] op_sel:[0,0,1] op_sel_hi:[1,0,0]
	v_pk_fma_f32 v[216:217], v[194:195], v[212:213], v[218:219] op_sel:[0,0,1] op_sel_hi:[1,1,0] neg_lo:[0,0,1] neg_hi:[0,0,1]
	v_pk_fma_f32 v[194:195], v[194:195], v[212:213], v[218:219] op_sel:[0,0,1] op_sel_hi:[1,0,0]
	;; [unrolled: 2-line block ×3, first 2 shown]
	v_pk_fma_f32 v[220:221], v[222:223], v[110:111], v[226:227] op_sel_hi:[1,1,0]
	v_pk_fma_f32 v[222:223], v[200:201], v[212:213], v[228:229] op_sel:[0,0,1] op_sel_hi:[1,1,0] neg_lo:[0,0,1] neg_hi:[0,0,1]
	v_pk_fma_f32 v[200:201], v[200:201], v[212:213], v[228:229] op_sel:[0,0,1] op_sel_hi:[1,0,0]
	v_dual_mov_b32 v233, v193 :: v_dual_mov_b32 v217, v195
	v_pk_fma_f32 v[192:193], v[202:203], v[212:213], v[230:231] op_sel:[0,0,1] op_sel_hi:[1,0,0]
	v_pk_fma_f32 v[198:199], v[198:199], v[110:111], v[224:225] op_sel_hi:[1,1,0] neg_lo:[0,0,1] neg_hi:[0,0,1]
	v_dual_mov_b32 v219, v197 :: v_dual_mov_b32 v199, v221
	v_mov_b32_e32 v223, v201
	s_wait_dscnt 0x1
	v_pk_mul_f32 v[196:197], v[204:205], v[214:215] op_sel:[0,1]
	v_pk_fma_f32 v[200:201], v[202:203], v[212:213], v[230:231] op_sel:[0,0,1] op_sel_hi:[1,1,0] neg_lo:[0,0,1] neg_hi:[0,0,1]
	v_mov_b32_e32 v201, v193
	ds_load_2addr_b64 v[192:195], v238 offset0:27 offset1:28
	v_pk_add_f32 v[136:137], v[136:137], v[198:199] neg_lo:[0,1] neg_hi:[0,1]
	v_pk_fma_f32 v[202:203], v[204:205], v[212:213], v[196:197] op_sel:[0,0,1] op_sel_hi:[1,0,0]
	v_pk_fma_f32 v[204:205], v[204:205], v[212:213], v[196:197] op_sel:[0,0,1] op_sel_hi:[1,1,0] neg_lo:[0,0,1] neg_hi:[0,0,1]
	ds_load_2addr_b64 v[196:199], v238 offset0:29 offset1:30
	v_pk_add_f32 v[108:109], v[108:109], v[216:217] neg_lo:[0,1] neg_hi:[0,1]
	v_pk_mul_f32 v[216:217], v[206:207], v[214:215] op_sel:[0,1]
	v_pk_add_f32 v[86:87], v[86:87], v[218:219] neg_lo:[0,1] neg_hi:[0,1]
	s_wait_dscnt 0x2
	v_dual_mul_f32 v202, v209, v212 :: v_dual_mov_b32 v205, v203
	v_pk_add_f32 v[134:135], v[134:135], v[200:201] neg_lo:[0,1] neg_hi:[0,1]
	v_pk_fma_f32 v[218:219], v[206:207], v[212:213], v[216:217] op_sel:[0,0,1] op_sel_hi:[1,0,0]
	v_pk_fma_f32 v[206:207], v[206:207], v[212:213], v[216:217] op_sel:[0,0,1] op_sel_hi:[1,1,0] neg_lo:[0,0,1] neg_hi:[0,0,1]
	v_pk_mul_f32 v[216:217], v[210:211], v[214:215] op_sel:[0,1]
	v_mul_f32_e32 v218, v209, v215
	v_pk_fma_f32 v[202:203], v[208:209], v[110:111], v[202:203] op_sel:[1,0,0] op_sel_hi:[0,1,0]
	v_mov_b32_e32 v207, v219
	v_pk_add_f32 v[104:105], v[104:105], v[204:205] neg_lo:[0,1] neg_hi:[0,1]
	v_pk_fma_f32 v[200:201], v[210:211], v[212:213], v[216:217] op_sel:[0,0,1] op_sel_hi:[1,0,0]
	v_pk_fma_f32 v[208:209], v[208:209], v[110:111], v[218:219] op_sel_hi:[1,1,0] neg_lo:[0,0,1] neg_hi:[0,0,1]
	v_pk_fma_f32 v[204:205], v[210:211], v[212:213], v[216:217] op_sel:[0,0,1] op_sel_hi:[1,1,0] neg_lo:[0,0,1] neg_hi:[0,0,1]
	v_mov_b32_e32 v209, v203
	v_pk_add_f32 v[150:151], v[150:151], v[206:207] neg_lo:[0,1] neg_hi:[0,1]
	v_mov_b32_e32 v205, v201
	s_wait_dscnt 0x1
	v_pk_mul_f32 v[206:207], v[192:193], v[214:215] op_sel:[0,1]
	ds_load_2addr_b64 v[200:203], v238 offset0:31 offset1:32
	s_wait_dscnt 0x1
	v_pk_mul_f32 v[210:211], v[196:197], v[214:215] op_sel:[0,1]
	v_pk_add_f32 v[146:147], v[146:147], v[208:209] neg_lo:[0,1] neg_hi:[0,1]
	v_pk_mul_f32 v[208:209], v[194:195], v[214:215] op_sel:[0,1]
	v_pk_add_f32 v[148:149], v[148:149], v[204:205] neg_lo:[0,1] neg_hi:[0,1]
	v_pk_fma_f32 v[216:217], v[192:193], v[212:213], v[206:207] op_sel:[0,0,1] op_sel_hi:[1,0,0]
	v_pk_fma_f32 v[192:193], v[192:193], v[212:213], v[206:207] op_sel:[0,0,1] op_sel_hi:[1,1,0] neg_lo:[0,0,1] neg_hi:[0,0,1]
	ds_load_2addr_b64 v[204:207], v238 offset0:33 offset1:34
	v_pk_fma_f32 v[220:221], v[196:197], v[212:213], v[210:211] op_sel:[0,0,1] op_sel_hi:[1,0,0]
	v_pk_fma_f32 v[218:219], v[194:195], v[212:213], v[208:209] op_sel:[0,0,1] op_sel_hi:[1,0,0]
	v_pk_fma_f32 v[196:197], v[196:197], v[212:213], v[210:211] op_sel:[0,0,1] op_sel_hi:[1,1,0] neg_lo:[0,0,1] neg_hi:[0,0,1]
	v_pk_fma_f32 v[194:195], v[194:195], v[212:213], v[208:209] op_sel:[0,0,1] op_sel_hi:[1,1,0] neg_lo:[0,0,1] neg_hi:[0,0,1]
	s_delay_alu instid0(VALU_DEP_4) | instskip(SKIP_2) | instid1(VALU_DEP_3)
	v_dual_mov_b32 v208, v199 :: v_dual_mov_b32 v197, v221
	v_dual_mov_b32 v209, v198 :: v_dual_mul_f32 v210, v199, v212
	v_dual_mov_b32 v193, v217 :: v_dual_mov_b32 v195, v219
	v_pk_add_f32 v[116:117], v[116:117], v[196:197] neg_lo:[0,1] neg_hi:[0,1]
	v_pk_add_f32 v[132:133], v[132:133], v[222:223] neg_lo:[0,1] neg_hi:[0,1]
	s_delay_alu instid0(VALU_DEP_4)
	v_pk_fma_f32 v[208:209], v[208:209], v[110:111], v[210:211] op_sel_hi:[1,1,0]
	v_mul_f32_e32 v196, v199, v215
	v_pk_add_f32 v[94:95], v[94:95], v[192:193] neg_lo:[0,1] neg_hi:[0,1]
	v_pk_add_f32 v[120:121], v[120:121], v[194:195] neg_lo:[0,1] neg_hi:[0,1]
	s_wait_dscnt 0x1
	v_pk_mul_f32 v[210:211], v[200:201], v[214:215] op_sel:[0,1]
	ds_load_2addr_b64 v[192:195], v238 offset0:35 offset1:36
	v_pk_mul_f32 v[216:217], v[202:203], v[214:215] op_sel:[0,1]
	v_pk_fma_f32 v[218:219], v[198:199], v[110:111], v[196:197] op_sel_hi:[1,1,0] neg_lo:[0,0,1] neg_hi:[0,0,1]
	v_mov_b32_e32 v219, v209
	v_pk_fma_f32 v[208:209], v[200:201], v[212:213], v[210:211] op_sel:[0,0,1] op_sel_hi:[1,0,0]
	s_wait_dscnt 0x1
	v_pk_mul_f32 v[220:221], v[204:205], v[214:215] op_sel:[0,1]
	ds_load_2addr_b64 v[196:199], v238 offset0:37 offset1:38
	v_pk_fma_f32 v[222:223], v[202:203], v[212:213], v[216:217] op_sel:[0,0,1] op_sel_hi:[1,0,0]
	v_pk_fma_f32 v[200:201], v[200:201], v[212:213], v[210:211] op_sel:[0,0,1] op_sel_hi:[1,1,0] neg_lo:[0,0,1] neg_hi:[0,0,1]
	v_mov_b32_e32 v201, v209
	v_pk_fma_f32 v[208:209], v[204:205], v[212:213], v[220:221] op_sel:[0,0,1] op_sel_hi:[1,0,0]
	v_pk_mul_f32 v[210:211], v[206:207], v[214:215] op_sel:[0,1]
	v_pk_fma_f32 v[202:203], v[202:203], v[212:213], v[216:217] op_sel:[0,0,1] op_sel_hi:[1,1,0] neg_lo:[0,0,1] neg_hi:[0,0,1]
	v_mov_b32_e32 v203, v223
	v_pk_fma_f32 v[204:205], v[204:205], v[212:213], v[220:221] op_sel:[0,0,1] op_sel_hi:[1,1,0] neg_lo:[0,0,1] neg_hi:[0,0,1]
	v_pk_add_f32 v[114:115], v[114:115], v[200:201] neg_lo:[0,1] neg_hi:[0,1]
	v_pk_fma_f32 v[200:201], v[206:207], v[212:213], v[210:211] op_sel:[0,0,1] op_sel_hi:[1,0,0]
	v_mov_b32_e32 v205, v209
	v_pk_add_f32 v[142:143], v[142:143], v[202:203] neg_lo:[0,1] neg_hi:[0,1]
	v_pk_fma_f32 v[202:203], v[206:207], v[212:213], v[210:211] op_sel:[0,0,1] op_sel_hi:[1,1,0] neg_lo:[0,0,1] neg_hi:[0,0,1]
	s_wait_dscnt 0x1
	v_mul_f32_e32 v200, v193, v212
	v_mov_b32_e32 v203, v201
	v_pk_add_f32 v[138:139], v[138:139], v[204:205] neg_lo:[0,1] neg_hi:[0,1]
	v_mul_f32_e32 v204, v193, v215
	v_pk_mul_f32 v[206:207], v[194:195], v[214:215] op_sel:[0,1]
	v_pk_fma_f32 v[200:201], v[192:193], v[110:111], v[200:201] op_sel:[1,0,0] op_sel_hi:[0,1,0]
	s_wait_dscnt 0x0
	v_pk_mul_f32 v[208:209], v[196:197], v[214:215] op_sel:[0,1]
	v_pk_add_f32 v[106:107], v[106:107], v[232:233] neg_lo:[0,1] neg_hi:[0,1]
	v_pk_fma_f32 v[192:193], v[192:193], v[110:111], v[204:205] op_sel_hi:[1,1,0] neg_lo:[0,0,1] neg_hi:[0,0,1]
	v_pk_mul_f32 v[204:205], v[198:199], v[214:215] op_sel:[0,1]
	v_pk_fma_f32 v[210:211], v[194:195], v[212:213], v[206:207] op_sel:[0,0,1] op_sel_hi:[1,0,0]
	v_mov_b32_e32 v193, v201
	v_pk_fma_f32 v[200:201], v[196:197], v[212:213], v[208:209] op_sel:[0,0,1] op_sel_hi:[1,0,0]
	v_pk_fma_f32 v[194:195], v[194:195], v[212:213], v[206:207] op_sel:[0,0,1] op_sel_hi:[1,1,0] neg_lo:[0,0,1] neg_hi:[0,0,1]
	v_pk_fma_f32 v[206:207], v[198:199], v[212:213], v[204:205] op_sel:[0,0,1] op_sel_hi:[1,0,0]
	v_pk_fma_f32 v[196:197], v[196:197], v[212:213], v[208:209] op_sel:[0,0,1] op_sel_hi:[1,1,0] neg_lo:[0,0,1] neg_hi:[0,0,1]
	v_pk_fma_f32 v[198:199], v[198:199], v[212:213], v[204:205] op_sel:[0,0,1] op_sel_hi:[1,1,0] neg_lo:[0,0,1] neg_hi:[0,0,1]
	v_dual_mov_b32 v195, v211 :: v_dual_mov_b32 v197, v201
	s_delay_alu instid0(VALU_DEP_4)
	v_mov_b32_e32 v199, v207
	v_pk_add_f32 v[118:119], v[118:119], v[218:219] neg_lo:[0,1] neg_hi:[0,1]
	v_pk_add_f32 v[140:141], v[140:141], v[202:203] neg_lo:[0,1] neg_hi:[0,1]
	;; [unrolled: 1-line block ×6, first 2 shown]
.LBB77_154:
	s_or_b32 exec_lo, exec_lo, s1
	s_delay_alu instid0(SALU_CYCLE_1)
	s_mov_b32 s2, exec_lo
	s_wait_dscnt 0x0
	s_barrier_signal -1
	s_barrier_wait -1
	v_cmpx_eq_u32_e32 17, v236
	s_cbranch_execz .LBB77_161
; %bb.155:
	v_dual_mov_b32 v192, v108 :: v_dual_mov_b32 v193, v109
	v_dual_mov_b32 v194, v86 :: v_dual_mov_b32 v195, v87
	;; [unrolled: 1-line block ×8, first 2 shown]
	ds_store_b64 v237, v[106:107]
	ds_store_2addr_b64 v238, v[192:193], v[194:195] offset0:18 offset1:19
	ds_store_2addr_b64 v238, v[196:197], v[198:199] offset0:20 offset1:21
	;; [unrolled: 1-line block ×4, first 2 shown]
	v_dual_mov_b32 v192, v148 :: v_dual_mov_b32 v193, v149
	v_dual_mov_b32 v194, v94 :: v_dual_mov_b32 v195, v95
	;; [unrolled: 1-line block ×12, first 2 shown]
	ds_store_2addr_b64 v238, v[192:193], v[194:195] offset0:26 offset1:27
	ds_store_2addr_b64 v238, v[196:197], v[198:199] offset0:28 offset1:29
	;; [unrolled: 1-line block ×6, first 2 shown]
	ds_store_b64 v238, v[156:157] offset:304
	ds_load_b64 v[192:193], v237
	s_wait_dscnt 0x0
	v_cmp_neq_f32_e32 vcc_lo, 0, v192
	v_cmp_neq_f32_e64 s1, 0, v193
	s_or_b32 s1, vcc_lo, s1
	s_delay_alu instid0(SALU_CYCLE_1)
	s_and_b32 exec_lo, exec_lo, s1
	s_cbranch_execz .LBB77_161
; %bb.156:
	v_cmp_ngt_f32_e64 s1, |v192|, |v193|
                                        ; implicit-def: $vgpr194_vgpr195
	s_and_saveexec_b32 s4, s1
	s_delay_alu instid0(SALU_CYCLE_1)
	s_xor_b32 s1, exec_lo, s4
	s_cbranch_execz .LBB77_158
; %bb.157:
	v_div_scale_f32 v0, null, v193, v193, v192
	v_div_scale_f32 v195, vcc_lo, v192, v193, v192
	s_delay_alu instid0(VALU_DEP_2) | instskip(SKIP_1) | instid1(TRANS32_DEP_1)
	v_rcp_f32_e32 v1, v0
	v_nop
	v_fma_f32 v194, -v0, v1, 1.0
	s_delay_alu instid0(VALU_DEP_1) | instskip(NEXT) | instid1(VALU_DEP_1)
	v_fmac_f32_e32 v1, v194, v1
	v_mul_f32_e32 v194, v195, v1
	s_delay_alu instid0(VALU_DEP_1) | instskip(NEXT) | instid1(VALU_DEP_1)
	v_fma_f32 v196, -v0, v194, v195
	v_fmac_f32_e32 v194, v196, v1
	s_delay_alu instid0(VALU_DEP_1) | instskip(NEXT) | instid1(VALU_DEP_1)
	v_fma_f32 v0, -v0, v194, v195
	v_div_fmas_f32 v0, v0, v1, v194
	s_delay_alu instid0(VALU_DEP_1) | instskip(NEXT) | instid1(VALU_DEP_1)
	v_div_fixup_f32 v0, v0, v193, v192
	v_fmac_f32_e32 v193, v192, v0
	s_delay_alu instid0(VALU_DEP_1) | instskip(SKIP_1) | instid1(VALU_DEP_2)
	v_div_scale_f32 v1, null, v193, v193, 1.0
	v_div_scale_f32 v195, vcc_lo, 1.0, v193, 1.0
	v_rcp_f32_e32 v192, v1
	v_nop
	s_delay_alu instid0(TRANS32_DEP_1) | instskip(NEXT) | instid1(VALU_DEP_1)
	v_fma_f32 v194, -v1, v192, 1.0
	v_fmac_f32_e32 v192, v194, v192
	s_delay_alu instid0(VALU_DEP_1) | instskip(NEXT) | instid1(VALU_DEP_1)
	v_mul_f32_e32 v194, v195, v192
	v_fma_f32 v196, -v1, v194, v195
	s_delay_alu instid0(VALU_DEP_1) | instskip(NEXT) | instid1(VALU_DEP_1)
	v_fmac_f32_e32 v194, v196, v192
	v_fma_f32 v1, -v1, v194, v195
	s_delay_alu instid0(VALU_DEP_1) | instskip(NEXT) | instid1(VALU_DEP_1)
	v_div_fmas_f32 v1, v1, v192, v194
	v_div_fixup_f32 v1, v1, v193, 1.0
                                        ; implicit-def: $vgpr192_vgpr193
	s_delay_alu instid0(VALU_DEP_1)
	v_mul_f32_e32 v194, v0, v1
	v_xor_b32_e32 v195, 0x80000000, v1
.LBB77_158:
	s_and_not1_saveexec_b32 s1, s1
	s_cbranch_execz .LBB77_160
; %bb.159:
	v_div_scale_f32 v0, null, v192, v192, v193
	v_div_scale_f32 v195, vcc_lo, v193, v192, v193
	s_delay_alu instid0(VALU_DEP_2) | instskip(SKIP_1) | instid1(TRANS32_DEP_1)
	v_rcp_f32_e32 v1, v0
	v_nop
	v_fma_f32 v194, -v0, v1, 1.0
	s_delay_alu instid0(VALU_DEP_1) | instskip(NEXT) | instid1(VALU_DEP_1)
	v_fmac_f32_e32 v1, v194, v1
	v_mul_f32_e32 v194, v195, v1
	s_delay_alu instid0(VALU_DEP_1) | instskip(NEXT) | instid1(VALU_DEP_1)
	v_fma_f32 v196, -v0, v194, v195
	v_fmac_f32_e32 v194, v196, v1
	s_delay_alu instid0(VALU_DEP_1) | instskip(NEXT) | instid1(VALU_DEP_1)
	v_fma_f32 v0, -v0, v194, v195
	v_div_fmas_f32 v0, v0, v1, v194
	s_delay_alu instid0(VALU_DEP_1) | instskip(NEXT) | instid1(VALU_DEP_1)
	v_div_fixup_f32 v0, v0, v192, v193
	v_fmac_f32_e32 v192, v193, v0
	s_delay_alu instid0(VALU_DEP_1) | instskip(NEXT) | instid1(VALU_DEP_1)
	v_div_scale_f32 v1, null, v192, v192, 1.0
	v_rcp_f32_e32 v193, v1
	v_nop
	s_delay_alu instid0(TRANS32_DEP_1) | instskip(NEXT) | instid1(VALU_DEP_1)
	v_fma_f32 v194, -v1, v193, 1.0
	v_fmac_f32_e32 v193, v194, v193
	v_div_scale_f32 v194, vcc_lo, 1.0, v192, 1.0
	s_delay_alu instid0(VALU_DEP_1) | instskip(NEXT) | instid1(VALU_DEP_1)
	v_mul_f32_e32 v195, v194, v193
	v_fma_f32 v196, -v1, v195, v194
	s_delay_alu instid0(VALU_DEP_1) | instskip(NEXT) | instid1(VALU_DEP_1)
	v_fmac_f32_e32 v195, v196, v193
	v_fma_f32 v1, -v1, v195, v194
	s_delay_alu instid0(VALU_DEP_1) | instskip(NEXT) | instid1(VALU_DEP_1)
	v_div_fmas_f32 v1, v1, v193, v195
	v_div_fixup_f32 v194, v1, v192, 1.0
	s_delay_alu instid0(VALU_DEP_1)
	v_mul_f32_e64 v195, v0, -v194
.LBB77_160:
	s_or_b32 exec_lo, exec_lo, s1
	ds_store_b64 v237, v[194:195]
.LBB77_161:
	s_or_b32 exec_lo, exec_lo, s2
	s_wait_dscnt 0x0
	s_barrier_signal -1
	s_barrier_wait -1
	ds_load_b64 v[192:193], v237
	s_mov_b32 s1, exec_lo
	v_cmpx_lt_u32_e32 17, v236
	s_cbranch_execz .LBB77_163
; %bb.162:
	ds_load_2addr_b64 v[194:197], v238 offset0:18 offset1:19
	ds_load_2addr_b64 v[198:201], v238 offset0:20 offset1:21
	;; [unrolled: 1-line block ×3, first 2 shown]
	s_wait_dscnt 0x3
	v_pk_mul_f32 v[206:207], v[192:193], v[106:107] op_sel:[1,1] op_sel_hi:[0,1]
	s_delay_alu instid0(VALU_DEP_1)
	v_pk_fma_f32 v[216:217], v[192:193], v[106:107], v[206:207] op_sel_hi:[1,0,1]
	v_pk_fma_f32 v[214:215], v[192:193], v[106:107], v[206:207] op_sel_hi:[1,0,1] neg_lo:[0,0,1] neg_hi:[0,0,1]
	ds_load_2addr_b64 v[206:209], v238 offset0:24 offset1:25
	ds_load_2addr_b64 v[210:213], v238 offset0:26 offset1:27
	v_dual_mov_b32 v107, v217 :: v_dual_mov_b32 v106, v214
	s_wait_dscnt 0x4
	v_pk_mul_f32 v[218:219], v[194:195], v[216:217] op_sel:[0,1]
	v_pk_mul_f32 v[220:221], v[196:197], v[216:217] op_sel:[0,1]
	s_wait_dscnt 0x3
	v_pk_mul_f32 v[222:223], v[198:199], v[216:217] op_sel:[0,1]
	s_wait_dscnt 0x2
	v_pk_mul_f32 v[230:231], v[202:203], v[216:217] op_sel:[0,1]
	v_dual_mov_b32 v224, v201 :: v_dual_mov_b32 v225, v200
	v_pk_fma_f32 v[234:235], v[194:195], v[214:215], v[218:219] op_sel:[0,0,1] op_sel_hi:[1,1,0] neg_lo:[0,0,1] neg_hi:[0,0,1]
	v_pk_fma_f32 v[194:195], v[194:195], v[214:215], v[218:219] op_sel:[0,0,1] op_sel_hi:[1,0,0]
	v_dual_mul_f32 v226, v201, v217 :: v_dual_mul_f32 v228, v201, v214
	v_pk_mul_f32 v[232:233], v[204:205], v[216:217] op_sel:[0,1]
	v_pk_fma_f32 v[218:219], v[196:197], v[214:215], v[220:221] op_sel:[0,0,1] op_sel_hi:[1,1,0] neg_lo:[0,0,1] neg_hi:[0,0,1]
	v_pk_fma_f32 v[196:197], v[196:197], v[214:215], v[220:221] op_sel:[0,0,1] op_sel_hi:[1,0,0]
	v_pk_fma_f32 v[220:221], v[198:199], v[214:215], v[222:223] op_sel:[0,0,1] op_sel_hi:[1,1,0] neg_lo:[0,0,1] neg_hi:[0,0,1]
	v_pk_fma_f32 v[198:199], v[198:199], v[214:215], v[222:223] op_sel:[0,0,1] op_sel_hi:[1,0,0]
	v_mov_b32_e32 v235, v195
	v_pk_fma_f32 v[194:195], v[202:203], v[214:215], v[230:231] op_sel:[0,0,1] op_sel_hi:[1,0,0]
	v_pk_fma_f32 v[222:223], v[224:225], v[106:107], v[228:229] op_sel_hi:[1,1,0]
	v_pk_fma_f32 v[224:225], v[202:203], v[214:215], v[230:231] op_sel:[0,0,1] op_sel_hi:[1,1,0] neg_lo:[0,0,1] neg_hi:[0,0,1]
	v_dual_mov_b32 v219, v197 :: v_dual_mov_b32 v221, v199
	v_pk_fma_f32 v[198:199], v[204:205], v[214:215], v[232:233] op_sel:[0,0,1] op_sel_hi:[1,0,0]
	v_mov_b32_e32 v225, v195
	s_wait_dscnt 0x1
	v_pk_mul_f32 v[202:203], v[206:207], v[216:217] op_sel:[0,1]
	ds_load_2addr_b64 v[194:197], v238 offset0:28 offset1:29
	v_pk_fma_f32 v[200:201], v[200:201], v[106:107], v[226:227] op_sel_hi:[1,1,0] neg_lo:[0,0,1] neg_hi:[0,0,1]
	v_pk_fma_f32 v[204:205], v[204:205], v[214:215], v[232:233] op_sel:[0,0,1] op_sel_hi:[1,1,0] neg_lo:[0,0,1] neg_hi:[0,0,1]
	v_mov_b32_e32 v201, v223
	v_pk_add_f32 v[86:87], v[86:87], v[218:219] neg_lo:[0,1] neg_hi:[0,1]
	v_mov_b32_e32 v205, v199
	v_pk_mul_f32 v[218:219], v[208:209], v[216:217] op_sel:[0,1]
	v_pk_fma_f32 v[198:199], v[206:207], v[214:215], v[202:203] op_sel:[0,0,1] op_sel_hi:[1,0,0]
	v_pk_fma_f32 v[202:203], v[206:207], v[214:215], v[202:203] op_sel:[0,0,1] op_sel_hi:[1,1,0] neg_lo:[0,0,1] neg_hi:[0,0,1]
	v_pk_add_f32 v[132:133], v[132:133], v[200:201] neg_lo:[0,1] neg_hi:[0,1]
	v_pk_add_f32 v[104:105], v[104:105], v[204:205] neg_lo:[0,1] neg_hi:[0,1]
	v_pk_fma_f32 v[204:205], v[208:209], v[214:215], v[218:219] op_sel:[0,0,1] op_sel_hi:[1,0,0]
	v_mov_b32_e32 v203, v199
	ds_load_2addr_b64 v[198:201], v238 offset0:30 offset1:31
	v_pk_fma_f32 v[206:207], v[208:209], v[214:215], v[218:219] op_sel:[0,0,1] op_sel_hi:[1,1,0] neg_lo:[0,0,1] neg_hi:[0,0,1]
	s_wait_dscnt 0x2
	v_dual_mul_f32 v204, v211, v214 :: v_dual_mul_f32 v208, v211, v217
	v_mov_b32_e32 v207, v205
	v_pk_add_f32 v[150:151], v[150:151], v[202:203] neg_lo:[0,1] neg_hi:[0,1]
	v_pk_mul_f32 v[202:203], v[212:213], v[216:217] op_sel:[0,1]
	s_delay_alu instid0(VALU_DEP_4)
	v_pk_fma_f32 v[204:205], v[210:211], v[106:107], v[204:205] op_sel:[1,0,0] op_sel_hi:[0,1,0]
	v_pk_fma_f32 v[208:209], v[210:211], v[106:107], v[208:209] op_sel_hi:[1,1,0] neg_lo:[0,0,1] neg_hi:[0,0,1]
	v_pk_add_f32 v[146:147], v[146:147], v[206:207] neg_lo:[0,1] neg_hi:[0,1]
	s_wait_dscnt 0x1
	v_pk_mul_f32 v[206:207], v[194:195], v[216:217] op_sel:[0,1]
	v_pk_fma_f32 v[218:219], v[212:213], v[214:215], v[202:203] op_sel:[0,0,1] op_sel_hi:[1,0,0]
	v_mov_b32_e32 v209, v205
	v_pk_fma_f32 v[210:211], v[212:213], v[214:215], v[202:203] op_sel:[0,0,1] op_sel_hi:[1,1,0] neg_lo:[0,0,1] neg_hi:[0,0,1]
	ds_load_2addr_b64 v[202:205], v238 offset0:32 offset1:33
	v_pk_fma_f32 v[212:213], v[194:195], v[214:215], v[206:207] op_sel:[0,0,1] op_sel_hi:[1,0,0]
	v_pk_fma_f32 v[194:195], v[194:195], v[214:215], v[206:207] op_sel:[0,0,1] op_sel_hi:[1,1,0] neg_lo:[0,0,1] neg_hi:[0,0,1]
	v_pk_mul_f32 v[206:207], v[196:197], v[216:217] op_sel:[0,1]
	v_mov_b32_e32 v211, v219
	v_pk_add_f32 v[148:149], v[148:149], v[208:209] neg_lo:[0,1] neg_hi:[0,1]
	v_pk_add_f32 v[136:137], v[136:137], v[220:221] neg_lo:[0,1] neg_hi:[0,1]
	;; [unrolled: 1-line block ×3, first 2 shown]
	v_pk_fma_f32 v[208:209], v[196:197], v[214:215], v[206:207] op_sel:[0,0,1] op_sel_hi:[1,0,0]
	v_mov_b32_e32 v195, v213
	s_wait_dscnt 0x1
	v_pk_mul_f32 v[212:213], v[198:199], v[216:217] op_sel:[0,1]
	v_pk_fma_f32 v[206:207], v[196:197], v[214:215], v[206:207] op_sel:[0,0,1] op_sel_hi:[1,1,0] neg_lo:[0,0,1] neg_hi:[0,0,1]
	v_pk_add_f32 v[94:95], v[94:95], v[210:211] neg_lo:[0,1] neg_hi:[0,1]
	v_mov_b32_e32 v207, v209
	v_pk_add_f32 v[120:121], v[120:121], v[194:195] neg_lo:[0,1] neg_hi:[0,1]
	v_pk_fma_f32 v[210:211], v[198:199], v[214:215], v[212:213] op_sel:[0,0,1] op_sel_hi:[1,0,0]
	ds_load_2addr_b64 v[194:197], v238 offset0:34 offset1:35
	v_pk_fma_f32 v[198:199], v[198:199], v[214:215], v[212:213] op_sel:[0,0,1] op_sel_hi:[1,1,0] neg_lo:[0,0,1] neg_hi:[0,0,1]
	v_dual_mov_b32 v208, v201 :: v_dual_mov_b32 v209, v200
	v_dual_mul_f32 v210, v201, v214 :: v_dual_mov_b32 v199, v211
	v_pk_add_f32 v[116:117], v[116:117], v[206:207] neg_lo:[0,1] neg_hi:[0,1]
	ds_load_b64 v[220:221], v238 offset:304
	s_wait_dscnt 0x2
	v_pk_mul_f32 v[212:213], v[202:203], v[216:217] op_sel:[0,1]
	v_pk_fma_f32 v[210:211], v[208:209], v[106:107], v[210:211] op_sel_hi:[1,1,0]
	ds_load_2addr_b64 v[206:209], v238 offset0:36 offset1:37
	v_pk_add_f32 v[118:119], v[118:119], v[198:199] neg_lo:[0,1] neg_hi:[0,1]
	v_mul_f32_e32 v198, v201, v217
	v_pk_mul_f32 v[218:219], v[204:205], v[216:217] op_sel:[0,1]
	v_pk_add_f32 v[134:135], v[134:135], v[224:225] neg_lo:[0,1] neg_hi:[0,1]
	s_delay_alu instid0(VALU_DEP_3)
	v_pk_fma_f32 v[198:199], v[200:201], v[106:107], v[198:199] op_sel_hi:[1,1,0] neg_lo:[0,0,1] neg_hi:[0,0,1]
	v_pk_fma_f32 v[200:201], v[202:203], v[214:215], v[212:213] op_sel:[0,0,1] op_sel_hi:[1,0,0]
	v_mov_b32_e32 v199, v211
	v_pk_fma_f32 v[210:211], v[204:205], v[214:215], v[218:219] op_sel:[0,0,1] op_sel_hi:[1,0,0]
	v_pk_fma_f32 v[202:203], v[202:203], v[214:215], v[212:213] op_sel:[0,0,1] op_sel_hi:[1,1,0] neg_lo:[0,0,1] neg_hi:[0,0,1]
	s_wait_dscnt 0x2
	v_pk_mul_f32 v[212:213], v[194:195], v[216:217] op_sel:[0,1]
	v_mov_b32_e32 v203, v201
	v_pk_fma_f32 v[200:201], v[204:205], v[214:215], v[218:219] op_sel:[0,0,1] op_sel_hi:[1,1,0] neg_lo:[0,0,1] neg_hi:[0,0,1]
	v_mov_b32_e32 v201, v211
	v_pk_add_f32 v[114:115], v[114:115], v[198:199] neg_lo:[0,1] neg_hi:[0,1]
	v_pk_fma_f32 v[198:199], v[194:195], v[214:215], v[212:213] op_sel:[0,0,1] op_sel_hi:[1,0,0]
	v_pk_mul_f32 v[204:205], v[196:197], v[216:217] op_sel:[0,1]
	v_pk_fma_f32 v[194:195], v[194:195], v[214:215], v[212:213] op_sel:[0,0,1] op_sel_hi:[1,1,0] neg_lo:[0,0,1] neg_hi:[0,0,1]
	v_pk_add_f32 v[138:139], v[138:139], v[200:201] neg_lo:[0,1] neg_hi:[0,1]
	s_wait_dscnt 0x0
	v_mul_f32_e32 v200, v207, v214
	v_mov_b32_e32 v195, v199
	v_pk_fma_f32 v[198:199], v[196:197], v[214:215], v[204:205] op_sel:[0,0,1] op_sel_hi:[1,1,0] neg_lo:[0,0,1] neg_hi:[0,0,1]
	v_pk_fma_f32 v[196:197], v[196:197], v[214:215], v[204:205] op_sel:[0,0,1] op_sel_hi:[1,0,0]
	v_pk_add_f32 v[142:143], v[142:143], v[202:203] neg_lo:[0,1] neg_hi:[0,1]
	v_pk_mul_f32 v[202:203], v[208:209], v[216:217] op_sel:[0,1]
	v_mul_f32_e32 v196, v207, v217
	v_pk_mul_f32 v[204:205], v[220:221], v[216:217] op_sel:[0,1]
	v_pk_fma_f32 v[200:201], v[206:207], v[106:107], v[200:201] op_sel:[1,0,0] op_sel_hi:[0,1,0]
	v_mov_b32_e32 v199, v197
	v_pk_fma_f32 v[210:211], v[208:209], v[214:215], v[202:203] op_sel:[0,0,1] op_sel_hi:[1,0,0]
	v_pk_fma_f32 v[196:197], v[206:207], v[106:107], v[196:197] op_sel_hi:[1,1,0] neg_lo:[0,0,1] neg_hi:[0,0,1]
	v_pk_fma_f32 v[206:207], v[220:221], v[214:215], v[204:205] op_sel:[0,0,1] op_sel_hi:[1,0,0]
	v_mov_b32_e32 v197, v201
	v_pk_fma_f32 v[200:201], v[208:209], v[214:215], v[202:203] op_sel:[0,0,1] op_sel_hi:[1,1,0] neg_lo:[0,0,1] neg_hi:[0,0,1]
	v_pk_fma_f32 v[202:203], v[220:221], v[214:215], v[204:205] op_sel:[0,0,1] op_sel_hi:[1,1,0] neg_lo:[0,0,1] neg_hi:[0,0,1]
	s_delay_alu instid0(VALU_DEP_4) | instskip(SKIP_3) | instid1(VALU_DEP_4)
	v_dual_mov_b32 v201, v211 :: v_dual_mov_b32 v203, v207
	v_pk_add_f32 v[140:141], v[140:141], v[194:195] neg_lo:[0,1] neg_hi:[0,1]
	v_pk_add_f32 v[154:155], v[154:155], v[198:199] neg_lo:[0,1] neg_hi:[0,1]
	;; [unrolled: 1-line block ×5, first 2 shown]
.LBB77_163:
	s_or_b32 exec_lo, exec_lo, s1
	s_delay_alu instid0(SALU_CYCLE_1)
	s_mov_b32 s2, exec_lo
	s_wait_dscnt 0x0
	s_barrier_signal -1
	s_barrier_wait -1
	v_cmpx_eq_u32_e32 18, v236
	s_cbranch_execz .LBB77_170
; %bb.164:
	ds_store_b64 v237, v[108:109]
	ds_store_2addr_b64 v238, v[86:87], v[136:137] offset0:19 offset1:20
	ds_store_2addr_b64 v238, v[132:133], v[134:135] offset0:21 offset1:22
	;; [unrolled: 1-line block ×10, first 2 shown]
	ds_load_b64 v[194:195], v237
	s_wait_dscnt 0x0
	v_cmp_neq_f32_e32 vcc_lo, 0, v194
	v_cmp_neq_f32_e64 s1, 0, v195
	s_or_b32 s1, vcc_lo, s1
	s_delay_alu instid0(SALU_CYCLE_1)
	s_and_b32 exec_lo, exec_lo, s1
	s_cbranch_execz .LBB77_170
; %bb.165:
	v_cmp_ngt_f32_e64 s1, |v194|, |v195|
                                        ; implicit-def: $vgpr196_vgpr197
	s_and_saveexec_b32 s4, s1
	s_delay_alu instid0(SALU_CYCLE_1)
	s_xor_b32 s1, exec_lo, s4
	s_cbranch_execz .LBB77_167
; %bb.166:
	v_div_scale_f32 v0, null, v195, v195, v194
	v_div_scale_f32 v197, vcc_lo, v194, v195, v194
	s_delay_alu instid0(VALU_DEP_2) | instskip(SKIP_1) | instid1(TRANS32_DEP_1)
	v_rcp_f32_e32 v1, v0
	v_nop
	v_fma_f32 v196, -v0, v1, 1.0
	s_delay_alu instid0(VALU_DEP_1) | instskip(NEXT) | instid1(VALU_DEP_1)
	v_fmac_f32_e32 v1, v196, v1
	v_mul_f32_e32 v196, v197, v1
	s_delay_alu instid0(VALU_DEP_1) | instskip(NEXT) | instid1(VALU_DEP_1)
	v_fma_f32 v198, -v0, v196, v197
	v_fmac_f32_e32 v196, v198, v1
	s_delay_alu instid0(VALU_DEP_1) | instskip(NEXT) | instid1(VALU_DEP_1)
	v_fma_f32 v0, -v0, v196, v197
	v_div_fmas_f32 v0, v0, v1, v196
	s_delay_alu instid0(VALU_DEP_1) | instskip(NEXT) | instid1(VALU_DEP_1)
	v_div_fixup_f32 v0, v0, v195, v194
	v_fmac_f32_e32 v195, v194, v0
	s_delay_alu instid0(VALU_DEP_1) | instskip(SKIP_1) | instid1(VALU_DEP_2)
	v_div_scale_f32 v1, null, v195, v195, 1.0
	v_div_scale_f32 v197, vcc_lo, 1.0, v195, 1.0
	v_rcp_f32_e32 v194, v1
	v_nop
	s_delay_alu instid0(TRANS32_DEP_1) | instskip(NEXT) | instid1(VALU_DEP_1)
	v_fma_f32 v196, -v1, v194, 1.0
	v_fmac_f32_e32 v194, v196, v194
	s_delay_alu instid0(VALU_DEP_1) | instskip(NEXT) | instid1(VALU_DEP_1)
	v_mul_f32_e32 v196, v197, v194
	v_fma_f32 v198, -v1, v196, v197
	s_delay_alu instid0(VALU_DEP_1) | instskip(NEXT) | instid1(VALU_DEP_1)
	v_fmac_f32_e32 v196, v198, v194
	v_fma_f32 v1, -v1, v196, v197
	s_delay_alu instid0(VALU_DEP_1) | instskip(NEXT) | instid1(VALU_DEP_1)
	v_div_fmas_f32 v1, v1, v194, v196
	v_div_fixup_f32 v1, v1, v195, 1.0
                                        ; implicit-def: $vgpr194_vgpr195
	s_delay_alu instid0(VALU_DEP_1)
	v_mul_f32_e32 v196, v0, v1
	v_xor_b32_e32 v197, 0x80000000, v1
.LBB77_167:
	s_and_not1_saveexec_b32 s1, s1
	s_cbranch_execz .LBB77_169
; %bb.168:
	v_div_scale_f32 v0, null, v194, v194, v195
	v_div_scale_f32 v197, vcc_lo, v195, v194, v195
	s_delay_alu instid0(VALU_DEP_2) | instskip(SKIP_1) | instid1(TRANS32_DEP_1)
	v_rcp_f32_e32 v1, v0
	v_nop
	v_fma_f32 v196, -v0, v1, 1.0
	s_delay_alu instid0(VALU_DEP_1) | instskip(NEXT) | instid1(VALU_DEP_1)
	v_fmac_f32_e32 v1, v196, v1
	v_mul_f32_e32 v196, v197, v1
	s_delay_alu instid0(VALU_DEP_1) | instskip(NEXT) | instid1(VALU_DEP_1)
	v_fma_f32 v198, -v0, v196, v197
	v_fmac_f32_e32 v196, v198, v1
	s_delay_alu instid0(VALU_DEP_1) | instskip(NEXT) | instid1(VALU_DEP_1)
	v_fma_f32 v0, -v0, v196, v197
	v_div_fmas_f32 v0, v0, v1, v196
	s_delay_alu instid0(VALU_DEP_1) | instskip(NEXT) | instid1(VALU_DEP_1)
	v_div_fixup_f32 v0, v0, v194, v195
	v_fmac_f32_e32 v194, v195, v0
	s_delay_alu instid0(VALU_DEP_1) | instskip(NEXT) | instid1(VALU_DEP_1)
	v_div_scale_f32 v1, null, v194, v194, 1.0
	v_rcp_f32_e32 v195, v1
	v_nop
	s_delay_alu instid0(TRANS32_DEP_1) | instskip(NEXT) | instid1(VALU_DEP_1)
	v_fma_f32 v196, -v1, v195, 1.0
	v_fmac_f32_e32 v195, v196, v195
	v_div_scale_f32 v196, vcc_lo, 1.0, v194, 1.0
	s_delay_alu instid0(VALU_DEP_1) | instskip(NEXT) | instid1(VALU_DEP_1)
	v_mul_f32_e32 v197, v196, v195
	v_fma_f32 v198, -v1, v197, v196
	s_delay_alu instid0(VALU_DEP_1) | instskip(NEXT) | instid1(VALU_DEP_1)
	v_fmac_f32_e32 v197, v198, v195
	v_fma_f32 v1, -v1, v197, v196
	s_delay_alu instid0(VALU_DEP_1) | instskip(NEXT) | instid1(VALU_DEP_1)
	v_div_fmas_f32 v1, v1, v195, v197
	v_div_fixup_f32 v196, v1, v194, 1.0
	s_delay_alu instid0(VALU_DEP_1)
	v_mul_f32_e64 v197, v0, -v196
.LBB77_169:
	s_or_b32 exec_lo, exec_lo, s1
	ds_store_b64 v237, v[196:197]
.LBB77_170:
	s_or_b32 exec_lo, exec_lo, s2
	s_wait_dscnt 0x0
	s_barrier_signal -1
	s_barrier_wait -1
	ds_load_b64 v[194:195], v237
	s_mov_b32 s1, exec_lo
	v_cmpx_lt_u32_e32 18, v236
	s_cbranch_execz .LBB77_172
; %bb.171:
	ds_load_2addr_b64 v[196:199], v238 offset0:19 offset1:20
	ds_load_2addr_b64 v[200:203], v238 offset0:21 offset1:22
	ds_load_2addr_b64 v[204:207], v238 offset0:23 offset1:24
	s_wait_dscnt 0x3
	v_pk_mul_f32 v[208:209], v[194:195], v[108:109] op_sel:[1,1] op_sel_hi:[0,1]
	s_delay_alu instid0(VALU_DEP_1)
	v_pk_fma_f32 v[216:217], v[194:195], v[108:109], v[208:209] op_sel_hi:[1,0,1] neg_lo:[0,0,1] neg_hi:[0,0,1]
	v_pk_fma_f32 v[218:219], v[194:195], v[108:109], v[208:209] op_sel_hi:[1,0,1]
	ds_load_2addr_b64 v[208:211], v238 offset0:25 offset1:26
	ds_load_2addr_b64 v[212:215], v238 offset0:27 offset1:28
	v_dual_mov_b32 v108, v216 :: v_dual_mov_b32 v109, v219
	s_wait_dscnt 0x4
	v_pk_mul_f32 v[220:221], v[196:197], v[218:219] op_sel:[0,1]
	v_pk_mul_f32 v[222:223], v[198:199], v[218:219] op_sel:[0,1]
	s_wait_dscnt 0x3
	v_pk_mul_f32 v[224:225], v[200:201], v[218:219] op_sel:[0,1]
	v_dual_mov_b32 v226, v203 :: v_dual_mov_b32 v227, v202
	v_dual_mul_f32 v228, v203, v219 :: v_dual_mul_f32 v230, v203, v216
	v_pk_fma_f32 v[240:241], v[196:197], v[216:217], v[220:221] op_sel:[0,0,1] op_sel_hi:[1,1,0] neg_lo:[0,0,1] neg_hi:[0,0,1]
	v_pk_fma_f32 v[196:197], v[196:197], v[216:217], v[220:221] op_sel:[0,0,1] op_sel_hi:[1,0,0]
	v_pk_fma_f32 v[220:221], v[198:199], v[216:217], v[222:223] op_sel:[0,0,1] op_sel_hi:[1,1,0] neg_lo:[0,0,1] neg_hi:[0,0,1]
	v_pk_fma_f32 v[198:199], v[198:199], v[216:217], v[222:223] op_sel:[0,0,1] op_sel_hi:[1,0,0]
	;; [unrolled: 2-line block ×3, first 2 shown]
	v_pk_fma_f32 v[224:225], v[226:227], v[108:109], v[230:231] op_sel_hi:[1,1,0]
	s_wait_dscnt 0x2
	v_pk_mul_f32 v[232:233], v[204:205], v[218:219] op_sel:[0,1]
	v_pk_fma_f32 v[202:203], v[202:203], v[108:109], v[228:229] op_sel_hi:[1,1,0] neg_lo:[0,0,1] neg_hi:[0,0,1]
	v_pk_mul_f32 v[234:235], v[206:207], v[218:219] op_sel:[0,1]
	v_dual_mov_b32 v223, v201 :: v_dual_mov_b32 v203, v225
	v_dual_mov_b32 v241, v197 :: v_dual_mov_b32 v221, v199
	v_pk_fma_f32 v[196:197], v[204:205], v[216:217], v[232:233] op_sel:[0,0,1] op_sel_hi:[1,0,0]
	s_wait_dscnt 0x1
	v_pk_mul_f32 v[200:201], v[208:209], v[218:219] op_sel:[0,1]
	v_pk_add_f32 v[134:135], v[134:135], v[202:203] neg_lo:[0,1] neg_hi:[0,1]
	v_pk_fma_f32 v[202:203], v[204:205], v[216:217], v[232:233] op_sel:[0,0,1] op_sel_hi:[1,1,0] neg_lo:[0,0,1] neg_hi:[0,0,1]
	v_pk_fma_f32 v[204:205], v[206:207], v[216:217], v[234:235] op_sel:[0,0,1] op_sel_hi:[1,0,0]
	v_mov_b32_e32 v203, v197
	ds_load_2addr_b64 v[196:199], v238 offset0:29 offset1:30
	v_pk_add_f32 v[132:133], v[132:133], v[222:223] neg_lo:[0,1] neg_hi:[0,1]
	v_pk_mul_f32 v[222:223], v[210:211], v[218:219] op_sel:[0,1]
	v_pk_add_f32 v[136:137], v[136:137], v[220:221] neg_lo:[0,1] neg_hi:[0,1]
	v_pk_fma_f32 v[220:221], v[208:209], v[216:217], v[200:201] op_sel:[0,0,1] op_sel_hi:[1,0,0]
	v_pk_fma_f32 v[206:207], v[206:207], v[216:217], v[234:235] op_sel:[0,0,1] op_sel_hi:[1,1,0] neg_lo:[0,0,1] neg_hi:[0,0,1]
	v_mov_b32_e32 v207, v205
	v_pk_fma_f32 v[200:201], v[208:209], v[216:217], v[200:201] op_sel:[0,0,1] op_sel_hi:[1,1,0] neg_lo:[0,0,1] neg_hi:[0,0,1]
	v_pk_add_f32 v[104:105], v[104:105], v[202:203] neg_lo:[0,1] neg_hi:[0,1]
	v_pk_fma_f32 v[202:203], v[210:211], v[216:217], v[222:223] op_sel:[0,0,1] op_sel_hi:[1,0,0]
	v_mov_b32_e32 v201, v221
	s_wait_dscnt 0x1
	v_mul_f32_e32 v202, v213, v216
	v_pk_fma_f32 v[204:205], v[210:211], v[216:217], v[222:223] op_sel:[0,0,1] op_sel_hi:[1,1,0] neg_lo:[0,0,1] neg_hi:[0,0,1]
	v_pk_add_f32 v[150:151], v[150:151], v[206:207] neg_lo:[0,1] neg_hi:[0,1]
	v_mov_b32_e32 v205, v203
	v_pk_add_f32 v[146:147], v[146:147], v[200:201] neg_lo:[0,1] neg_hi:[0,1]
	v_mul_f32_e32 v206, v213, v219
	v_pk_fma_f32 v[208:209], v[212:213], v[108:109], v[202:203] op_sel:[1,0,0] op_sel_hi:[0,1,0]
	ds_load_2addr_b64 v[200:203], v238 offset0:31 offset1:32
	v_pk_mul_f32 v[210:211], v[214:215], v[218:219] op_sel:[0,1]
	s_wait_dscnt 0x1
	v_pk_mul_f32 v[220:221], v[196:197], v[218:219] op_sel:[0,1]
	v_pk_fma_f32 v[212:213], v[212:213], v[108:109], v[206:207] op_sel_hi:[1,1,0] neg_lo:[0,0,1] neg_hi:[0,0,1]
	v_pk_add_f32 v[148:149], v[148:149], v[204:205] neg_lo:[0,1] neg_hi:[0,1]
	v_mov_b32_e32 v213, v209
	v_pk_fma_f32 v[208:209], v[214:215], v[216:217], v[210:211] op_sel:[0,0,1] op_sel_hi:[1,0,0]
	v_pk_mul_f32 v[222:223], v[198:199], v[218:219] op_sel:[0,1]
	ds_load_2addr_b64 v[204:207], v238 offset0:33 offset1:34
	v_pk_fma_f32 v[224:225], v[196:197], v[216:217], v[220:221] op_sel:[0,0,1] op_sel_hi:[1,0,0]
	v_pk_fma_f32 v[210:211], v[214:215], v[216:217], v[210:211] op_sel:[0,0,1] op_sel_hi:[1,1,0] neg_lo:[0,0,1] neg_hi:[0,0,1]
	v_pk_fma_f32 v[196:197], v[196:197], v[216:217], v[220:221] op_sel:[0,0,1] op_sel_hi:[1,1,0] neg_lo:[0,0,1] neg_hi:[0,0,1]
	v_mov_b32_e32 v211, v209
	v_pk_fma_f32 v[208:209], v[198:199], v[216:217], v[222:223] op_sel:[0,0,1] op_sel_hi:[1,0,0]
	v_mov_b32_e32 v197, v225
	v_pk_add_f32 v[94:95], v[94:95], v[212:213] neg_lo:[0,1] neg_hi:[0,1]
	v_pk_fma_f32 v[212:213], v[198:199], v[216:217], v[222:223] op_sel:[0,0,1] op_sel_hi:[1,1,0] neg_lo:[0,0,1] neg_hi:[0,0,1]
	v_pk_add_f32 v[120:121], v[120:121], v[210:211] neg_lo:[0,1] neg_hi:[0,1]
	v_mov_b32_e32 v213, v209
	v_pk_add_f32 v[116:117], v[116:117], v[196:197] neg_lo:[0,1] neg_hi:[0,1]
	ds_load_2addr_b64 v[196:199], v238 offset0:35 offset1:36
	s_wait_dscnt 0x2
	v_pk_mul_f32 v[214:215], v[200:201], v[218:219] op_sel:[0,1]
	v_mul_f32_e32 v220, v203, v216
	v_pk_add_f32 v[118:119], v[118:119], v[212:213] neg_lo:[0,1] neg_hi:[0,1]
	v_dual_mov_b32 v212, v203 :: v_dual_mov_b32 v213, v202
	s_delay_alu instid0(VALU_DEP_4)
	v_pk_fma_f32 v[222:223], v[200:201], v[216:217], v[214:215] op_sel:[0,0,1] op_sel_hi:[1,0,0]
	v_mul_f32_e32 v222, v203, v219
	ds_load_2addr_b64 v[208:211], v238 offset0:37 offset1:38
	s_wait_dscnt 0x2
	v_pk_mul_f32 v[224:225], v[204:205], v[218:219] op_sel:[0,1]
	v_pk_fma_f32 v[212:213], v[212:213], v[108:109], v[220:221] op_sel_hi:[1,1,0]
	v_pk_fma_f32 v[200:201], v[200:201], v[216:217], v[214:215] op_sel:[0,0,1] op_sel_hi:[1,1,0] neg_lo:[0,0,1] neg_hi:[0,0,1]
	v_pk_fma_f32 v[202:203], v[202:203], v[108:109], v[222:223] op_sel_hi:[1,1,0] neg_lo:[0,0,1] neg_hi:[0,0,1]
	v_mov_b32_e32 v201, v223
	v_pk_fma_f32 v[214:215], v[204:205], v[216:217], v[224:225] op_sel:[0,0,1] op_sel_hi:[1,0,0]
	v_mov_b32_e32 v203, v213
	v_pk_mul_f32 v[212:213], v[206:207], v[218:219] op_sel:[0,1]
	v_pk_fma_f32 v[204:205], v[204:205], v[216:217], v[224:225] op_sel:[0,0,1] op_sel_hi:[1,1,0] neg_lo:[0,0,1] neg_hi:[0,0,1]
	v_pk_add_f32 v[114:115], v[114:115], v[200:201] neg_lo:[0,1] neg_hi:[0,1]
	v_mov_b32_e32 v205, v215
	s_wait_dscnt 0x1
	v_pk_mul_f32 v[200:201], v[196:197], v[218:219] op_sel:[0,1]
	v_pk_fma_f32 v[214:215], v[206:207], v[216:217], v[212:213] op_sel:[0,0,1] op_sel_hi:[1,0,0]
	v_pk_add_f32 v[142:143], v[142:143], v[202:203] neg_lo:[0,1] neg_hi:[0,1]
	v_pk_fma_f32 v[202:203], v[206:207], v[216:217], v[212:213] op_sel:[0,0,1] op_sel_hi:[1,1,0] neg_lo:[0,0,1] neg_hi:[0,0,1]
	v_pk_mul_f32 v[206:207], v[198:199], v[218:219] op_sel:[0,1]
	v_pk_add_f32 v[86:87], v[86:87], v[240:241] neg_lo:[0,1] neg_hi:[0,1]
	v_mov_b32_e32 v203, v215
	v_pk_add_f32 v[138:139], v[138:139], v[204:205] neg_lo:[0,1] neg_hi:[0,1]
	v_pk_fma_f32 v[204:205], v[196:197], v[216:217], v[200:201] op_sel:[0,0,1] op_sel_hi:[1,0,0]
	v_pk_fma_f32 v[196:197], v[196:197], v[216:217], v[200:201] op_sel:[0,0,1] op_sel_hi:[1,1,0] neg_lo:[0,0,1] neg_hi:[0,0,1]
	s_wait_dscnt 0x0
	v_mul_f32_e32 v200, v209, v216
	v_pk_fma_f32 v[212:213], v[198:199], v[216:217], v[206:207] op_sel:[0,0,1] op_sel_hi:[1,0,0]
	v_mul_f32_e32 v212, v209, v219
	v_mov_b32_e32 v197, v205
	v_pk_mul_f32 v[204:205], v[210:211], v[218:219] op_sel:[0,1]
	v_pk_fma_f32 v[200:201], v[208:209], v[108:109], v[200:201] op_sel:[1,0,0] op_sel_hi:[0,1,0]
	v_pk_fma_f32 v[198:199], v[198:199], v[216:217], v[206:207] op_sel:[0,0,1] op_sel_hi:[1,1,0] neg_lo:[0,0,1] neg_hi:[0,0,1]
	v_pk_fma_f32 v[208:209], v[208:209], v[108:109], v[212:213] op_sel_hi:[1,1,0] neg_lo:[0,0,1] neg_hi:[0,0,1]
	v_mov_b32_e32 v199, v213
	v_pk_fma_f32 v[206:207], v[210:211], v[216:217], v[204:205] op_sel:[0,0,1] op_sel_hi:[1,0,0]
	v_mov_b32_e32 v209, v201
	v_pk_fma_f32 v[200:201], v[210:211], v[216:217], v[204:205] op_sel:[0,0,1] op_sel_hi:[1,1,0] neg_lo:[0,0,1] neg_hi:[0,0,1]
	v_pk_add_f32 v[140:141], v[140:141], v[202:203] neg_lo:[0,1] neg_hi:[0,1]
	v_pk_add_f32 v[154:155], v[154:155], v[196:197] neg_lo:[0,1] neg_hi:[0,1]
	v_mov_b32_e32 v201, v207
	v_pk_add_f32 v[152:153], v[152:153], v[198:199] neg_lo:[0,1] neg_hi:[0,1]
	v_pk_add_f32 v[144:145], v[144:145], v[208:209] neg_lo:[0,1] neg_hi:[0,1]
	s_delay_alu instid0(VALU_DEP_3)
	v_pk_add_f32 v[156:157], v[156:157], v[200:201] neg_lo:[0,1] neg_hi:[0,1]
.LBB77_172:
	s_or_b32 exec_lo, exec_lo, s1
	s_delay_alu instid0(SALU_CYCLE_1)
	s_mov_b32 s2, exec_lo
	s_wait_dscnt 0x0
	s_barrier_signal -1
	s_barrier_wait -1
	v_cmpx_eq_u32_e32 19, v236
	s_cbranch_execz .LBB77_179
; %bb.173:
	v_dual_mov_b32 v196, v136 :: v_dual_mov_b32 v197, v137
	v_dual_mov_b32 v198, v132 :: v_dual_mov_b32 v199, v133
	v_dual_mov_b32 v200, v134 :: v_dual_mov_b32 v201, v135
	v_dual_mov_b32 v202, v104 :: v_dual_mov_b32 v203, v105
	v_dual_mov_b32 v204, v150 :: v_dual_mov_b32 v205, v151
	v_dual_mov_b32 v206, v146 :: v_dual_mov_b32 v207, v147
	v_dual_mov_b32 v208, v148 :: v_dual_mov_b32 v209, v149
	v_dual_mov_b32 v210, v94 :: v_dual_mov_b32 v211, v95
	ds_store_b64 v237, v[86:87]
	ds_store_2addr_b64 v238, v[196:197], v[198:199] offset0:20 offset1:21
	ds_store_2addr_b64 v238, v[200:201], v[202:203] offset0:22 offset1:23
	;; [unrolled: 1-line block ×4, first 2 shown]
	v_dual_mov_b32 v196, v120 :: v_dual_mov_b32 v197, v121
	v_dual_mov_b32 v198, v116 :: v_dual_mov_b32 v199, v117
	;; [unrolled: 1-line block ×10, first 2 shown]
	ds_store_2addr_b64 v238, v[196:197], v[198:199] offset0:28 offset1:29
	ds_store_2addr_b64 v238, v[200:201], v[202:203] offset0:30 offset1:31
	;; [unrolled: 1-line block ×5, first 2 shown]
	ds_store_b64 v238, v[156:157] offset:304
	ds_load_b64 v[196:197], v237
	s_wait_dscnt 0x0
	v_cmp_neq_f32_e32 vcc_lo, 0, v196
	v_cmp_neq_f32_e64 s1, 0, v197
	s_or_b32 s1, vcc_lo, s1
	s_delay_alu instid0(SALU_CYCLE_1)
	s_and_b32 exec_lo, exec_lo, s1
	s_cbranch_execz .LBB77_179
; %bb.174:
	v_cmp_ngt_f32_e64 s1, |v196|, |v197|
                                        ; implicit-def: $vgpr198_vgpr199
	s_and_saveexec_b32 s4, s1
	s_delay_alu instid0(SALU_CYCLE_1)
	s_xor_b32 s1, exec_lo, s4
	s_cbranch_execz .LBB77_176
; %bb.175:
	v_div_scale_f32 v0, null, v197, v197, v196
	v_div_scale_f32 v199, vcc_lo, v196, v197, v196
	s_delay_alu instid0(VALU_DEP_2) | instskip(SKIP_1) | instid1(TRANS32_DEP_1)
	v_rcp_f32_e32 v1, v0
	v_nop
	v_fma_f32 v198, -v0, v1, 1.0
	s_delay_alu instid0(VALU_DEP_1) | instskip(NEXT) | instid1(VALU_DEP_1)
	v_fmac_f32_e32 v1, v198, v1
	v_mul_f32_e32 v198, v199, v1
	s_delay_alu instid0(VALU_DEP_1) | instskip(NEXT) | instid1(VALU_DEP_1)
	v_fma_f32 v200, -v0, v198, v199
	v_fmac_f32_e32 v198, v200, v1
	s_delay_alu instid0(VALU_DEP_1) | instskip(NEXT) | instid1(VALU_DEP_1)
	v_fma_f32 v0, -v0, v198, v199
	v_div_fmas_f32 v0, v0, v1, v198
	s_delay_alu instid0(VALU_DEP_1) | instskip(NEXT) | instid1(VALU_DEP_1)
	v_div_fixup_f32 v0, v0, v197, v196
	v_fmac_f32_e32 v197, v196, v0
	s_delay_alu instid0(VALU_DEP_1) | instskip(SKIP_1) | instid1(VALU_DEP_2)
	v_div_scale_f32 v1, null, v197, v197, 1.0
	v_div_scale_f32 v199, vcc_lo, 1.0, v197, 1.0
	v_rcp_f32_e32 v196, v1
	v_nop
	s_delay_alu instid0(TRANS32_DEP_1) | instskip(NEXT) | instid1(VALU_DEP_1)
	v_fma_f32 v198, -v1, v196, 1.0
	v_fmac_f32_e32 v196, v198, v196
	s_delay_alu instid0(VALU_DEP_1) | instskip(NEXT) | instid1(VALU_DEP_1)
	v_mul_f32_e32 v198, v199, v196
	v_fma_f32 v200, -v1, v198, v199
	s_delay_alu instid0(VALU_DEP_1) | instskip(NEXT) | instid1(VALU_DEP_1)
	v_fmac_f32_e32 v198, v200, v196
	v_fma_f32 v1, -v1, v198, v199
	s_delay_alu instid0(VALU_DEP_1) | instskip(NEXT) | instid1(VALU_DEP_1)
	v_div_fmas_f32 v1, v1, v196, v198
	v_div_fixup_f32 v1, v1, v197, 1.0
                                        ; implicit-def: $vgpr196_vgpr197
	s_delay_alu instid0(VALU_DEP_1)
	v_mul_f32_e32 v198, v0, v1
	v_xor_b32_e32 v199, 0x80000000, v1
.LBB77_176:
	s_and_not1_saveexec_b32 s1, s1
	s_cbranch_execz .LBB77_178
; %bb.177:
	v_div_scale_f32 v0, null, v196, v196, v197
	v_div_scale_f32 v199, vcc_lo, v197, v196, v197
	s_delay_alu instid0(VALU_DEP_2) | instskip(SKIP_1) | instid1(TRANS32_DEP_1)
	v_rcp_f32_e32 v1, v0
	v_nop
	v_fma_f32 v198, -v0, v1, 1.0
	s_delay_alu instid0(VALU_DEP_1) | instskip(NEXT) | instid1(VALU_DEP_1)
	v_fmac_f32_e32 v1, v198, v1
	v_mul_f32_e32 v198, v199, v1
	s_delay_alu instid0(VALU_DEP_1) | instskip(NEXT) | instid1(VALU_DEP_1)
	v_fma_f32 v200, -v0, v198, v199
	v_fmac_f32_e32 v198, v200, v1
	s_delay_alu instid0(VALU_DEP_1) | instskip(NEXT) | instid1(VALU_DEP_1)
	v_fma_f32 v0, -v0, v198, v199
	v_div_fmas_f32 v0, v0, v1, v198
	s_delay_alu instid0(VALU_DEP_1) | instskip(NEXT) | instid1(VALU_DEP_1)
	v_div_fixup_f32 v0, v0, v196, v197
	v_fmac_f32_e32 v196, v197, v0
	s_delay_alu instid0(VALU_DEP_1) | instskip(NEXT) | instid1(VALU_DEP_1)
	v_div_scale_f32 v1, null, v196, v196, 1.0
	v_rcp_f32_e32 v197, v1
	v_nop
	s_delay_alu instid0(TRANS32_DEP_1) | instskip(NEXT) | instid1(VALU_DEP_1)
	v_fma_f32 v198, -v1, v197, 1.0
	v_fmac_f32_e32 v197, v198, v197
	v_div_scale_f32 v198, vcc_lo, 1.0, v196, 1.0
	s_delay_alu instid0(VALU_DEP_1) | instskip(NEXT) | instid1(VALU_DEP_1)
	v_mul_f32_e32 v199, v198, v197
	v_fma_f32 v200, -v1, v199, v198
	s_delay_alu instid0(VALU_DEP_1) | instskip(NEXT) | instid1(VALU_DEP_1)
	v_fmac_f32_e32 v199, v200, v197
	v_fma_f32 v1, -v1, v199, v198
	s_delay_alu instid0(VALU_DEP_1) | instskip(NEXT) | instid1(VALU_DEP_1)
	v_div_fmas_f32 v1, v1, v197, v199
	v_div_fixup_f32 v198, v1, v196, 1.0
	s_delay_alu instid0(VALU_DEP_1)
	v_mul_f32_e64 v199, v0, -v198
.LBB77_178:
	s_or_b32 exec_lo, exec_lo, s1
	ds_store_b64 v237, v[198:199]
.LBB77_179:
	s_or_b32 exec_lo, exec_lo, s2
	s_wait_dscnt 0x0
	s_barrier_signal -1
	s_barrier_wait -1
	ds_load_b64 v[196:197], v237
	s_mov_b32 s1, exec_lo
	v_cmpx_lt_u32_e32 19, v236
	s_cbranch_execz .LBB77_181
; %bb.180:
	ds_load_2addr_b64 v[198:201], v238 offset0:20 offset1:21
	ds_load_2addr_b64 v[202:205], v238 offset0:22 offset1:23
	;; [unrolled: 1-line block ×3, first 2 shown]
	s_wait_dscnt 0x3
	v_pk_mul_f32 v[214:215], v[196:197], v[86:87] op_sel:[1,1] op_sel_hi:[0,1]
	ds_load_2addr_b64 v[210:213], v238 offset0:26 offset1:27
	v_pk_fma_f32 v[220:221], v[196:197], v[86:87], v[214:215] op_sel_hi:[1,0,1]
	v_pk_fma_f32 v[218:219], v[196:197], v[86:87], v[214:215] op_sel_hi:[1,0,1] neg_lo:[0,0,1] neg_hi:[0,0,1]
	ds_load_2addr_b64 v[214:217], v238 offset0:28 offset1:29
	v_dual_mov_b32 v87, v221 :: v_dual_mov_b32 v86, v218
	s_wait_dscnt 0x4
	v_pk_mul_f32 v[222:223], v[198:199], v[220:221] op_sel:[0,1]
	v_pk_mul_f32 v[224:225], v[200:201], v[220:221] op_sel:[0,1]
	s_wait_dscnt 0x3
	v_pk_mul_f32 v[226:227], v[202:203], v[220:221] op_sel:[0,1]
	v_dual_mov_b32 v228, v205 :: v_dual_mov_b32 v229, v204
	v_dual_mul_f32 v230, v205, v221 :: v_dual_mul_f32 v232, v205, v218
	v_pk_fma_f32 v[244:245], v[198:199], v[218:219], v[222:223] op_sel:[0,0,1] op_sel_hi:[1,1,0] neg_lo:[0,0,1] neg_hi:[0,0,1]
	v_pk_fma_f32 v[198:199], v[198:199], v[218:219], v[222:223] op_sel:[0,0,1] op_sel_hi:[1,0,0]
	v_pk_fma_f32 v[222:223], v[200:201], v[218:219], v[224:225] op_sel:[0,0,1] op_sel_hi:[1,1,0] neg_lo:[0,0,1] neg_hi:[0,0,1]
	v_pk_fma_f32 v[200:201], v[200:201], v[218:219], v[224:225] op_sel:[0,0,1] op_sel_hi:[1,0,0]
	;; [unrolled: 2-line block ×3, first 2 shown]
	s_wait_dscnt 0x2
	v_pk_mul_f32 v[234:235], v[206:207], v[220:221] op_sel:[0,1]
	s_wait_dscnt 0x1
	v_pk_mul_f32 v[242:243], v[210:211], v[220:221] op_sel:[0,1]
	v_pk_fma_f32 v[226:227], v[228:229], v[86:87], v[232:233] op_sel_hi:[1,1,0]
	v_pk_mul_f32 v[240:241], v[208:209], v[220:221] op_sel:[0,1]
	v_dual_mov_b32 v225, v203 :: v_dual_mov_b32 v245, v199
	v_mov_b32_e32 v223, v201
	v_pk_fma_f32 v[202:203], v[206:207], v[218:219], v[234:235] op_sel:[0,0,1] op_sel_hi:[1,0,0]
	v_pk_fma_f32 v[204:205], v[204:205], v[86:87], v[230:231] op_sel_hi:[1,1,0] neg_lo:[0,0,1] neg_hi:[0,0,1]
	ds_load_2addr_b64 v[198:201], v238 offset0:30 offset1:31
	v_mov_b32_e32 v205, v227
	v_pk_add_f32 v[134:135], v[134:135], v[224:225] neg_lo:[0,1] neg_hi:[0,1]
	v_pk_fma_f32 v[224:225], v[210:211], v[218:219], v[242:243] op_sel:[0,0,1] op_sel_hi:[1,0,0]
	v_pk_fma_f32 v[206:207], v[206:207], v[218:219], v[234:235] op_sel:[0,0,1] op_sel_hi:[1,1,0] neg_lo:[0,0,1] neg_hi:[0,0,1]
	v_pk_add_f32 v[132:133], v[132:133], v[222:223] neg_lo:[0,1] neg_hi:[0,1]
	v_pk_fma_f32 v[222:223], v[208:209], v[218:219], v[240:241] op_sel:[0,0,1] op_sel_hi:[1,0,0]
	v_mov_b32_e32 v207, v203
	v_pk_fma_f32 v[202:203], v[208:209], v[218:219], v[240:241] op_sel:[0,0,1] op_sel_hi:[1,1,0] neg_lo:[0,0,1] neg_hi:[0,0,1]
	v_pk_fma_f32 v[208:209], v[210:211], v[218:219], v[242:243] op_sel:[0,0,1] op_sel_hi:[1,1,0] neg_lo:[0,0,1] neg_hi:[0,0,1]
	v_mov_b32_e32 v209, v225
	v_pk_mul_f32 v[210:211], v[212:213], v[220:221] op_sel:[0,1]
	v_mov_b32_e32 v203, v223
	v_pk_add_f32 v[150:151], v[150:151], v[206:207] neg_lo:[0,1] neg_hi:[0,1]
	s_wait_dscnt 0x1
	v_mul_f32_e32 v206, v215, v218
	v_pk_add_f32 v[148:149], v[148:149], v[208:209] neg_lo:[0,1] neg_hi:[0,1]
	v_pk_fma_f32 v[208:209], v[212:213], v[218:219], v[210:211] op_sel:[0,0,1] op_sel_hi:[1,0,0]
	v_mul_f32_e32 v208, v215, v221
	v_pk_add_f32 v[104:105], v[104:105], v[204:205] neg_lo:[0,1] neg_hi:[0,1]
	v_pk_add_f32 v[146:147], v[146:147], v[202:203] neg_lo:[0,1] neg_hi:[0,1]
	v_pk_fma_f32 v[222:223], v[212:213], v[218:219], v[210:211] op_sel:[0,0,1] op_sel_hi:[1,1,0] neg_lo:[0,0,1] neg_hi:[0,0,1]
	v_pk_mul_f32 v[210:211], v[216:217], v[220:221] op_sel:[0,1]
	ds_load_2addr_b64 v[202:205], v238 offset0:32 offset1:33
	v_pk_fma_f32 v[206:207], v[214:215], v[86:87], v[206:207] op_sel:[1,0,0] op_sel_hi:[0,1,0]
	v_mov_b32_e32 v223, v209
	v_pk_fma_f32 v[214:215], v[214:215], v[86:87], v[208:209] op_sel_hi:[1,1,0] neg_lo:[0,0,1] neg_hi:[0,0,1]
	v_pk_fma_f32 v[224:225], v[216:217], v[218:219], v[210:211] op_sel:[0,0,1] op_sel_hi:[1,0,0]
	s_wait_dscnt 0x1
	v_pk_mul_f32 v[212:213], v[198:199], v[220:221] op_sel:[0,1]
	v_mov_b32_e32 v215, v207
	ds_load_2addr_b64 v[206:209], v238 offset0:34 offset1:35
	v_pk_fma_f32 v[210:211], v[216:217], v[218:219], v[210:211] op_sel:[0,0,1] op_sel_hi:[1,1,0] neg_lo:[0,0,1] neg_hi:[0,0,1]
	v_mov_b32_e32 v211, v225
	v_pk_fma_f32 v[226:227], v[198:199], v[218:219], v[212:213] op_sel:[0,0,1] op_sel_hi:[1,0,0]
	v_pk_fma_f32 v[198:199], v[198:199], v[218:219], v[212:213] op_sel:[0,0,1] op_sel_hi:[1,1,0] neg_lo:[0,0,1] neg_hi:[0,0,1]
	v_pk_mul_f32 v[212:213], v[200:201], v[220:221] op_sel:[0,1]
	v_pk_add_f32 v[120:121], v[120:121], v[214:215] neg_lo:[0,1] neg_hi:[0,1]
	v_pk_add_f32 v[116:117], v[116:117], v[210:211] neg_lo:[0,1] neg_hi:[0,1]
	v_mov_b32_e32 v199, v227
	v_pk_add_f32 v[94:95], v[94:95], v[222:223] neg_lo:[0,1] neg_hi:[0,1]
	v_pk_fma_f32 v[210:211], v[200:201], v[218:219], v[212:213] op_sel:[0,0,1] op_sel_hi:[1,1,0] neg_lo:[0,0,1] neg_hi:[0,0,1]
	v_pk_fma_f32 v[212:213], v[200:201], v[218:219], v[212:213] op_sel:[0,0,1] op_sel_hi:[1,0,0]
	ds_load_b64 v[222:223], v238 offset:304
	s_wait_dscnt 0x2
	v_pk_mul_f32 v[214:215], v[202:203], v[220:221] op_sel:[0,1]
	v_mov_b32_e32 v216, v205
	v_pk_add_f32 v[118:119], v[118:119], v[198:199] neg_lo:[0,1] neg_hi:[0,1]
	ds_load_2addr_b64 v[198:201], v238 offset0:36 offset1:37
	v_dual_mov_b32 v217, v204 :: v_dual_mul_f32 v212, v205, v218
	v_pk_fma_f32 v[224:225], v[202:203], v[218:219], v[214:215] op_sel:[0,0,1] op_sel_hi:[1,0,0]
	v_mov_b32_e32 v211, v213
	v_pk_fma_f32 v[202:203], v[202:203], v[218:219], v[214:215] op_sel:[0,0,1] op_sel_hi:[1,1,0] neg_lo:[0,0,1] neg_hi:[0,0,1]
	s_wait_dscnt 0x2
	v_pk_mul_f32 v[214:215], v[206:207], v[220:221] op_sel:[0,1]
	v_pk_fma_f32 v[212:213], v[216:217], v[86:87], v[212:213] op_sel_hi:[1,1,0]
	v_mov_b32_e32 v203, v225
	v_pk_add_f32 v[114:115], v[114:115], v[210:211] neg_lo:[0,1] neg_hi:[0,1]
	v_pk_add_f32 v[136:137], v[136:137], v[244:245] neg_lo:[0,1] neg_hi:[0,1]
	v_pk_fma_f32 v[210:211], v[206:207], v[218:219], v[214:215] op_sel:[0,0,1] op_sel_hi:[1,0,0]
	v_mul_f32_e32 v224, v205, v221
	v_pk_add_f32 v[142:143], v[142:143], v[202:203] neg_lo:[0,1] neg_hi:[0,1]
	v_pk_mul_f32 v[202:203], v[208:209], v[220:221] op_sel:[0,1]
	s_delay_alu instid0(VALU_DEP_3) | instskip(SKIP_3) | instid1(VALU_DEP_2)
	v_pk_fma_f32 v[204:205], v[204:205], v[86:87], v[224:225] op_sel_hi:[1,1,0] neg_lo:[0,0,1] neg_hi:[0,0,1]
	v_mov_b32_e32 v205, v213
	s_wait_dscnt 0x0
	v_pk_mul_f32 v[212:213], v[200:201], v[220:221] op_sel:[0,1]
	v_pk_add_f32 v[138:139], v[138:139], v[204:205] neg_lo:[0,1] neg_hi:[0,1]
	v_pk_fma_f32 v[204:205], v[206:207], v[218:219], v[214:215] op_sel:[0,0,1] op_sel_hi:[1,1,0] neg_lo:[0,0,1] neg_hi:[0,0,1]
	v_mov_b32_e32 v205, v211
	v_pk_mul_f32 v[206:207], v[198:199], v[220:221] op_sel:[0,1]
	v_pk_fma_f32 v[210:211], v[208:209], v[218:219], v[202:203] op_sel:[0,0,1] op_sel_hi:[1,0,0]
	v_pk_fma_f32 v[202:203], v[208:209], v[218:219], v[202:203] op_sel:[0,0,1] op_sel_hi:[1,1,0] neg_lo:[0,0,1] neg_hi:[0,0,1]
	v_pk_mul_f32 v[208:209], v[222:223], v[220:221] op_sel:[0,1]
	v_pk_add_f32 v[140:141], v[140:141], v[204:205] neg_lo:[0,1] neg_hi:[0,1]
	v_pk_fma_f32 v[214:215], v[198:199], v[218:219], v[206:207] op_sel:[0,0,1] op_sel_hi:[1,0,0]
	v_mov_b32_e32 v203, v211
	v_pk_fma_f32 v[210:211], v[200:201], v[218:219], v[212:213] op_sel:[0,0,1] op_sel_hi:[1,0,0]
	v_pk_fma_f32 v[198:199], v[198:199], v[218:219], v[206:207] op_sel:[0,0,1] op_sel_hi:[1,1,0] neg_lo:[0,0,1] neg_hi:[0,0,1]
	v_pk_fma_f32 v[206:207], v[222:223], v[218:219], v[208:209] op_sel:[0,0,1] op_sel_hi:[1,0,0]
	v_pk_fma_f32 v[200:201], v[200:201], v[218:219], v[212:213] op_sel:[0,0,1] op_sel_hi:[1,1,0] neg_lo:[0,0,1] neg_hi:[0,0,1]
	v_pk_fma_f32 v[208:209], v[222:223], v[218:219], v[208:209] op_sel:[0,0,1] op_sel_hi:[1,1,0] neg_lo:[0,0,1] neg_hi:[0,0,1]
	v_dual_mov_b32 v199, v215 :: v_dual_mov_b32 v201, v211
	s_delay_alu instid0(VALU_DEP_4) | instskip(SKIP_1) | instid1(VALU_DEP_3)
	v_mov_b32_e32 v209, v207
	v_pk_add_f32 v[154:155], v[154:155], v[202:203] neg_lo:[0,1] neg_hi:[0,1]
	v_pk_add_f32 v[152:153], v[152:153], v[198:199] neg_lo:[0,1] neg_hi:[0,1]
	s_delay_alu instid0(VALU_DEP_4) | instskip(NEXT) | instid1(VALU_DEP_4)
	v_pk_add_f32 v[144:145], v[144:145], v[200:201] neg_lo:[0,1] neg_hi:[0,1]
	v_pk_add_f32 v[156:157], v[156:157], v[208:209] neg_lo:[0,1] neg_hi:[0,1]
.LBB77_181:
	s_or_b32 exec_lo, exec_lo, s1
	s_delay_alu instid0(SALU_CYCLE_1)
	s_mov_b32 s2, exec_lo
	s_wait_dscnt 0x0
	s_barrier_signal -1
	s_barrier_wait -1
	v_cmpx_eq_u32_e32 20, v236
	s_cbranch_execz .LBB77_188
; %bb.182:
	ds_store_b64 v237, v[136:137]
	ds_store_2addr_b64 v238, v[132:133], v[134:135] offset0:21 offset1:22
	ds_store_2addr_b64 v238, v[104:105], v[150:151] offset0:23 offset1:24
	;; [unrolled: 1-line block ×9, first 2 shown]
	ds_load_b64 v[198:199], v237
	s_wait_dscnt 0x0
	v_cmp_neq_f32_e32 vcc_lo, 0, v198
	v_cmp_neq_f32_e64 s1, 0, v199
	s_or_b32 s1, vcc_lo, s1
	s_delay_alu instid0(SALU_CYCLE_1)
	s_and_b32 exec_lo, exec_lo, s1
	s_cbranch_execz .LBB77_188
; %bb.183:
	v_cmp_ngt_f32_e64 s1, |v198|, |v199|
                                        ; implicit-def: $vgpr200_vgpr201
	s_and_saveexec_b32 s4, s1
	s_delay_alu instid0(SALU_CYCLE_1)
	s_xor_b32 s1, exec_lo, s4
	s_cbranch_execz .LBB77_185
; %bb.184:
	v_div_scale_f32 v0, null, v199, v199, v198
	v_div_scale_f32 v201, vcc_lo, v198, v199, v198
	s_delay_alu instid0(VALU_DEP_2) | instskip(SKIP_1) | instid1(TRANS32_DEP_1)
	v_rcp_f32_e32 v1, v0
	v_nop
	v_fma_f32 v200, -v0, v1, 1.0
	s_delay_alu instid0(VALU_DEP_1) | instskip(NEXT) | instid1(VALU_DEP_1)
	v_fmac_f32_e32 v1, v200, v1
	v_mul_f32_e32 v200, v201, v1
	s_delay_alu instid0(VALU_DEP_1) | instskip(NEXT) | instid1(VALU_DEP_1)
	v_fma_f32 v202, -v0, v200, v201
	v_fmac_f32_e32 v200, v202, v1
	s_delay_alu instid0(VALU_DEP_1) | instskip(NEXT) | instid1(VALU_DEP_1)
	v_fma_f32 v0, -v0, v200, v201
	v_div_fmas_f32 v0, v0, v1, v200
	s_delay_alu instid0(VALU_DEP_1) | instskip(NEXT) | instid1(VALU_DEP_1)
	v_div_fixup_f32 v0, v0, v199, v198
	v_fmac_f32_e32 v199, v198, v0
	s_delay_alu instid0(VALU_DEP_1) | instskip(SKIP_1) | instid1(VALU_DEP_2)
	v_div_scale_f32 v1, null, v199, v199, 1.0
	v_div_scale_f32 v201, vcc_lo, 1.0, v199, 1.0
	v_rcp_f32_e32 v198, v1
	v_nop
	s_delay_alu instid0(TRANS32_DEP_1) | instskip(NEXT) | instid1(VALU_DEP_1)
	v_fma_f32 v200, -v1, v198, 1.0
	v_fmac_f32_e32 v198, v200, v198
	s_delay_alu instid0(VALU_DEP_1) | instskip(NEXT) | instid1(VALU_DEP_1)
	v_mul_f32_e32 v200, v201, v198
	v_fma_f32 v202, -v1, v200, v201
	s_delay_alu instid0(VALU_DEP_1) | instskip(NEXT) | instid1(VALU_DEP_1)
	v_fmac_f32_e32 v200, v202, v198
	v_fma_f32 v1, -v1, v200, v201
	s_delay_alu instid0(VALU_DEP_1) | instskip(NEXT) | instid1(VALU_DEP_1)
	v_div_fmas_f32 v1, v1, v198, v200
	v_div_fixup_f32 v1, v1, v199, 1.0
                                        ; implicit-def: $vgpr198_vgpr199
	s_delay_alu instid0(VALU_DEP_1)
	v_mul_f32_e32 v200, v0, v1
	v_xor_b32_e32 v201, 0x80000000, v1
.LBB77_185:
	s_and_not1_saveexec_b32 s1, s1
	s_cbranch_execz .LBB77_187
; %bb.186:
	v_div_scale_f32 v0, null, v198, v198, v199
	v_div_scale_f32 v201, vcc_lo, v199, v198, v199
	s_delay_alu instid0(VALU_DEP_2) | instskip(SKIP_1) | instid1(TRANS32_DEP_1)
	v_rcp_f32_e32 v1, v0
	v_nop
	v_fma_f32 v200, -v0, v1, 1.0
	s_delay_alu instid0(VALU_DEP_1) | instskip(NEXT) | instid1(VALU_DEP_1)
	v_fmac_f32_e32 v1, v200, v1
	v_mul_f32_e32 v200, v201, v1
	s_delay_alu instid0(VALU_DEP_1) | instskip(NEXT) | instid1(VALU_DEP_1)
	v_fma_f32 v202, -v0, v200, v201
	v_fmac_f32_e32 v200, v202, v1
	s_delay_alu instid0(VALU_DEP_1) | instskip(NEXT) | instid1(VALU_DEP_1)
	v_fma_f32 v0, -v0, v200, v201
	v_div_fmas_f32 v0, v0, v1, v200
	s_delay_alu instid0(VALU_DEP_1) | instskip(NEXT) | instid1(VALU_DEP_1)
	v_div_fixup_f32 v0, v0, v198, v199
	v_fmac_f32_e32 v198, v199, v0
	s_delay_alu instid0(VALU_DEP_1) | instskip(NEXT) | instid1(VALU_DEP_1)
	v_div_scale_f32 v1, null, v198, v198, 1.0
	v_rcp_f32_e32 v199, v1
	v_nop
	s_delay_alu instid0(TRANS32_DEP_1) | instskip(NEXT) | instid1(VALU_DEP_1)
	v_fma_f32 v200, -v1, v199, 1.0
	v_fmac_f32_e32 v199, v200, v199
	v_div_scale_f32 v200, vcc_lo, 1.0, v198, 1.0
	s_delay_alu instid0(VALU_DEP_1) | instskip(NEXT) | instid1(VALU_DEP_1)
	v_mul_f32_e32 v201, v200, v199
	v_fma_f32 v202, -v1, v201, v200
	s_delay_alu instid0(VALU_DEP_1) | instskip(NEXT) | instid1(VALU_DEP_1)
	v_fmac_f32_e32 v201, v202, v199
	v_fma_f32 v1, -v1, v201, v200
	s_delay_alu instid0(VALU_DEP_1) | instskip(NEXT) | instid1(VALU_DEP_1)
	v_div_fmas_f32 v1, v1, v199, v201
	v_div_fixup_f32 v200, v1, v198, 1.0
	s_delay_alu instid0(VALU_DEP_1)
	v_mul_f32_e64 v201, v0, -v200
.LBB77_187:
	s_or_b32 exec_lo, exec_lo, s1
	ds_store_b64 v237, v[200:201]
.LBB77_188:
	s_or_b32 exec_lo, exec_lo, s2
	s_wait_dscnt 0x0
	s_barrier_signal -1
	s_barrier_wait -1
	ds_load_b64 v[198:199], v237
	s_mov_b32 s1, exec_lo
	v_cmpx_lt_u32_e32 20, v236
	s_cbranch_execz .LBB77_190
; %bb.189:
	ds_load_2addr_b64 v[200:203], v238 offset0:21 offset1:22
	ds_load_2addr_b64 v[204:207], v238 offset0:23 offset1:24
	;; [unrolled: 1-line block ×3, first 2 shown]
	s_wait_dscnt 0x3
	v_pk_mul_f32 v[212:213], v[198:199], v[136:137] op_sel:[1,1] op_sel_hi:[0,1]
	s_delay_alu instid0(VALU_DEP_1)
	v_pk_fma_f32 v[220:221], v[198:199], v[136:137], v[212:213] op_sel_hi:[1,0,1] neg_lo:[0,0,1] neg_hi:[0,0,1]
	v_pk_fma_f32 v[222:223], v[198:199], v[136:137], v[212:213] op_sel_hi:[1,0,1]
	ds_load_2addr_b64 v[212:215], v238 offset0:27 offset1:28
	ds_load_2addr_b64 v[216:219], v238 offset0:29 offset1:30
	v_dual_mov_b32 v136, v220 :: v_dual_mov_b32 v137, v223
	s_wait_dscnt 0x4
	v_pk_mul_f32 v[224:225], v[200:201], v[222:223] op_sel:[0,1]
	v_pk_mul_f32 v[226:227], v[202:203], v[222:223] op_sel:[0,1]
	s_wait_dscnt 0x3
	v_pk_mul_f32 v[228:229], v[204:205], v[222:223] op_sel:[0,1]
	s_wait_dscnt 0x2
	v_pk_mul_f32 v[240:241], v[208:209], v[222:223] op_sel:[0,1]
	v_dual_mov_b32 v230, v207 :: v_dual_mov_b32 v231, v206
	v_pk_fma_f32 v[244:245], v[200:201], v[220:221], v[224:225] op_sel:[0,0,1] op_sel_hi:[1,1,0] neg_lo:[0,0,1] neg_hi:[0,0,1]
	v_pk_fma_f32 v[200:201], v[200:201], v[220:221], v[224:225] op_sel:[0,0,1] op_sel_hi:[1,0,0]
	v_dual_mul_f32 v232, v207, v223 :: v_dual_mul_f32 v234, v207, v220
	v_pk_mul_f32 v[242:243], v[210:211], v[222:223] op_sel:[0,1]
	v_pk_fma_f32 v[224:225], v[202:203], v[220:221], v[226:227] op_sel:[0,0,1] op_sel_hi:[1,1,0] neg_lo:[0,0,1] neg_hi:[0,0,1]
	v_pk_fma_f32 v[202:203], v[202:203], v[220:221], v[226:227] op_sel:[0,0,1] op_sel_hi:[1,0,0]
	v_pk_fma_f32 v[226:227], v[204:205], v[220:221], v[228:229] op_sel:[0,0,1] op_sel_hi:[1,1,0] neg_lo:[0,0,1] neg_hi:[0,0,1]
	v_pk_fma_f32 v[204:205], v[204:205], v[220:221], v[228:229] op_sel:[0,0,1] op_sel_hi:[1,0,0]
	v_mov_b32_e32 v245, v201
	v_pk_fma_f32 v[200:201], v[208:209], v[220:221], v[240:241] op_sel:[0,0,1] op_sel_hi:[1,0,0]
	v_pk_fma_f32 v[228:229], v[230:231], v[136:137], v[234:235] op_sel_hi:[1,1,0]
	v_pk_fma_f32 v[230:231], v[208:209], v[220:221], v[240:241] op_sel:[0,0,1] op_sel_hi:[1,1,0] neg_lo:[0,0,1] neg_hi:[0,0,1]
	v_dual_mov_b32 v225, v203 :: v_dual_mov_b32 v227, v205
	v_pk_fma_f32 v[204:205], v[210:211], v[220:221], v[242:243] op_sel:[0,0,1] op_sel_hi:[1,0,0]
	s_wait_dscnt 0x1
	v_pk_mul_f32 v[208:209], v[212:213], v[222:223] op_sel:[0,1]
	v_mov_b32_e32 v231, v201
	ds_load_2addr_b64 v[200:203], v238 offset0:31 offset1:32
	v_pk_fma_f32 v[206:207], v[206:207], v[136:137], v[232:233] op_sel_hi:[1,1,0] neg_lo:[0,0,1] neg_hi:[0,0,1]
	v_pk_fma_f32 v[210:211], v[210:211], v[220:221], v[242:243] op_sel:[0,0,1] op_sel_hi:[1,1,0] neg_lo:[0,0,1] neg_hi:[0,0,1]
	v_mov_b32_e32 v207, v229
	v_pk_add_f32 v[134:135], v[134:135], v[224:225] neg_lo:[0,1] neg_hi:[0,1]
	v_pk_mul_f32 v[224:225], v[214:215], v[222:223] op_sel:[0,1]
	v_mov_b32_e32 v211, v205
	v_pk_fma_f32 v[204:205], v[212:213], v[220:221], v[208:209] op_sel:[0,0,1] op_sel_hi:[1,0,0]
	v_pk_fma_f32 v[208:209], v[212:213], v[220:221], v[208:209] op_sel:[0,0,1] op_sel_hi:[1,1,0] neg_lo:[0,0,1] neg_hi:[0,0,1]
	v_pk_add_f32 v[150:151], v[150:151], v[206:207] neg_lo:[0,1] neg_hi:[0,1]
	v_pk_fma_f32 v[206:207], v[214:215], v[220:221], v[224:225] op_sel:[0,0,1] op_sel_hi:[1,0,0]
	v_pk_add_f32 v[148:149], v[148:149], v[210:211] neg_lo:[0,1] neg_hi:[0,1]
	v_mov_b32_e32 v209, v205
	v_pk_fma_f32 v[210:211], v[214:215], v[220:221], v[224:225] op_sel:[0,0,1] op_sel_hi:[1,1,0] neg_lo:[0,0,1] neg_hi:[0,0,1]
	s_wait_dscnt 0x1
	v_dual_mul_f32 v212, v217, v220 :: v_dual_mov_b32 v211, v207
	ds_load_2addr_b64 v[204:207], v238 offset0:33 offset1:34
	v_pk_add_f32 v[94:95], v[94:95], v[208:209] neg_lo:[0,1] neg_hi:[0,1]
	v_mul_f32_e32 v208, v217, v223
	v_pk_mul_f32 v[214:215], v[218:219], v[222:223] op_sel:[0,1]
	v_pk_fma_f32 v[212:213], v[216:217], v[136:137], v[212:213] op_sel:[1,0,0] op_sel_hi:[0,1,0]
	v_pk_add_f32 v[120:121], v[120:121], v[210:211] neg_lo:[0,1] neg_hi:[0,1]
	v_pk_add_f32 v[104:105], v[104:105], v[226:227] neg_lo:[0,1] neg_hi:[0,1]
	v_pk_fma_f32 v[216:217], v[216:217], v[136:137], v[208:209] op_sel_hi:[1,1,0] neg_lo:[0,0,1] neg_hi:[0,0,1]
	ds_load_2addr_b64 v[208:211], v238 offset0:35 offset1:36
	s_wait_dscnt 0x2
	v_pk_mul_f32 v[224:225], v[200:201], v[222:223] op_sel:[0,1]
	v_pk_fma_f32 v[226:227], v[218:219], v[220:221], v[214:215] op_sel:[0,0,1] op_sel_hi:[1,0,0]
	v_pk_fma_f32 v[214:215], v[218:219], v[220:221], v[214:215] op_sel:[0,0,1] op_sel_hi:[1,1,0] neg_lo:[0,0,1] neg_hi:[0,0,1]
	v_mov_b32_e32 v217, v213
	v_pk_mul_f32 v[218:219], v[202:203], v[222:223] op_sel:[0,1]
	v_pk_fma_f32 v[212:213], v[200:201], v[220:221], v[224:225] op_sel:[0,0,1] op_sel_hi:[1,0,0]
	v_mov_b32_e32 v215, v227
	v_pk_fma_f32 v[200:201], v[200:201], v[220:221], v[224:225] op_sel:[0,0,1] op_sel_hi:[1,1,0] neg_lo:[0,0,1] neg_hi:[0,0,1]
	v_pk_add_f32 v[116:117], v[116:117], v[216:217] neg_lo:[0,1] neg_hi:[0,1]
	v_pk_fma_f32 v[216:217], v[202:203], v[220:221], v[218:219] op_sel:[0,0,1] op_sel_hi:[1,0,0]
	s_wait_dscnt 0x1
	v_dual_mov_b32 v201, v213 :: v_dual_mov_b32 v216, v207
	v_pk_add_f32 v[118:119], v[118:119], v[214:215] neg_lo:[0,1] neg_hi:[0,1]
	ds_load_2addr_b64 v[212:215], v238 offset0:37 offset1:38
	v_pk_mul_f32 v[224:225], v[204:205], v[222:223] op_sel:[0,1]
	v_pk_add_f32 v[114:115], v[114:115], v[200:201] neg_lo:[0,1] neg_hi:[0,1]
	v_pk_fma_f32 v[200:201], v[202:203], v[220:221], v[218:219] op_sel:[0,0,1] op_sel_hi:[1,1,0] neg_lo:[0,0,1] neg_hi:[0,0,1]
	v_dual_mov_b32 v201, v217 :: v_dual_mov_b32 v217, v206
	s_delay_alu instid0(VALU_DEP_4)
	v_pk_fma_f32 v[202:203], v[204:205], v[220:221], v[224:225] op_sel:[0,0,1] op_sel_hi:[1,0,0]
	s_wait_dscnt 0x1
	v_pk_mul_f32 v[218:219], v[208:209], v[222:223] op_sel:[0,1]
	v_mul_f32_e32 v202, v207, v220
	v_pk_fma_f32 v[204:205], v[204:205], v[220:221], v[224:225] op_sel:[0,0,1] op_sel_hi:[1,1,0] neg_lo:[0,0,1] neg_hi:[0,0,1]
	v_mul_f32_e32 v224, v207, v223
	v_pk_add_f32 v[142:143], v[142:143], v[200:201] neg_lo:[0,1] neg_hi:[0,1]
	v_pk_fma_f32 v[200:201], v[208:209], v[220:221], v[218:219] op_sel:[0,0,1] op_sel_hi:[1,0,0]
	v_mov_b32_e32 v205, v203
	v_pk_fma_f32 v[202:203], v[216:217], v[136:137], v[202:203] op_sel_hi:[1,1,0]
	v_pk_add_f32 v[132:133], v[132:133], v[244:245] neg_lo:[0,1] neg_hi:[0,1]
	v_pk_add_f32 v[146:147], v[146:147], v[230:231] neg_lo:[0,1] neg_hi:[0,1]
	s_delay_alu instid0(VALU_DEP_4)
	v_pk_add_f32 v[138:139], v[138:139], v[204:205] neg_lo:[0,1] neg_hi:[0,1]
	v_pk_fma_f32 v[204:205], v[206:207], v[136:137], v[224:225] op_sel_hi:[1,1,0] neg_lo:[0,0,1] neg_hi:[0,0,1]
	v_mov_b32_e32 v205, v203
	v_pk_fma_f32 v[202:203], v[208:209], v[220:221], v[218:219] op_sel:[0,0,1] op_sel_hi:[1,1,0] neg_lo:[0,0,1] neg_hi:[0,0,1]
	v_mov_b32_e32 v203, v201
	v_pk_mul_f32 v[200:201], v[210:211], v[222:223] op_sel:[0,1]
	s_wait_dscnt 0x0
	v_pk_mul_f32 v[206:207], v[212:213], v[222:223] op_sel:[0,1]
	v_dual_mov_b32 v208, v215 :: v_dual_mov_b32 v209, v214
	v_mul_f32_e32 v216, v215, v220
	v_pk_fma_f32 v[218:219], v[210:211], v[220:221], v[200:201] op_sel:[0,0,1] op_sel_hi:[1,0,0]
	v_pk_fma_f32 v[200:201], v[210:211], v[220:221], v[200:201] op_sel:[0,0,1] op_sel_hi:[1,1,0] neg_lo:[0,0,1] neg_hi:[0,0,1]
	v_pk_fma_f32 v[210:211], v[212:213], v[220:221], v[206:207] op_sel:[0,0,1] op_sel_hi:[1,0,0]
	v_pk_fma_f32 v[206:207], v[212:213], v[220:221], v[206:207] op_sel:[0,0,1] op_sel_hi:[1,1,0] neg_lo:[0,0,1] neg_hi:[0,0,1]
	v_pk_fma_f32 v[208:209], v[208:209], v[136:137], v[216:217] op_sel_hi:[1,1,0]
	v_mul_f32_e32 v210, v215, v223
	s_delay_alu instid0(VALU_DEP_4) | instskip(SKIP_2) | instid1(VALU_DEP_4)
	v_dual_mov_b32 v201, v219 :: v_dual_mov_b32 v207, v211
	v_pk_add_f32 v[140:141], v[140:141], v[204:205] neg_lo:[0,1] neg_hi:[0,1]
	v_pk_add_f32 v[154:155], v[154:155], v[202:203] neg_lo:[0,1] neg_hi:[0,1]
	v_pk_fma_f32 v[210:211], v[214:215], v[136:137], v[210:211] op_sel_hi:[1,1,0] neg_lo:[0,0,1] neg_hi:[0,0,1]
	v_mov_b32_e32 v211, v209
	v_pk_add_f32 v[152:153], v[152:153], v[200:201] neg_lo:[0,1] neg_hi:[0,1]
	v_pk_add_f32 v[144:145], v[144:145], v[206:207] neg_lo:[0,1] neg_hi:[0,1]
	s_delay_alu instid0(VALU_DEP_3)
	v_pk_add_f32 v[156:157], v[156:157], v[210:211] neg_lo:[0,1] neg_hi:[0,1]
.LBB77_190:
	s_or_b32 exec_lo, exec_lo, s1
	s_delay_alu instid0(SALU_CYCLE_1)
	s_mov_b32 s2, exec_lo
	s_wait_dscnt 0x0
	s_barrier_signal -1
	s_barrier_wait -1
	v_cmpx_eq_u32_e32 21, v236
	s_cbranch_execz .LBB77_197
; %bb.191:
	v_dual_mov_b32 v200, v134 :: v_dual_mov_b32 v201, v135
	v_dual_mov_b32 v202, v104 :: v_dual_mov_b32 v203, v105
	;; [unrolled: 1-line block ×4, first 2 shown]
	ds_store_b64 v237, v[132:133]
	ds_store_2addr_b64 v238, v[200:201], v[202:203] offset0:22 offset1:23
	ds_store_2addr_b64 v238, v[204:205], v[206:207] offset0:24 offset1:25
	v_dual_mov_b32 v200, v148 :: v_dual_mov_b32 v201, v149
	v_dual_mov_b32 v202, v94 :: v_dual_mov_b32 v203, v95
	;; [unrolled: 1-line block ×12, first 2 shown]
	ds_store_2addr_b64 v238, v[200:201], v[202:203] offset0:26 offset1:27
	ds_store_2addr_b64 v238, v[204:205], v[206:207] offset0:28 offset1:29
	;; [unrolled: 1-line block ×6, first 2 shown]
	ds_store_b64 v238, v[156:157] offset:304
	ds_load_b64 v[200:201], v237
	s_wait_dscnt 0x0
	v_cmp_neq_f32_e32 vcc_lo, 0, v200
	v_cmp_neq_f32_e64 s1, 0, v201
	s_or_b32 s1, vcc_lo, s1
	s_delay_alu instid0(SALU_CYCLE_1)
	s_and_b32 exec_lo, exec_lo, s1
	s_cbranch_execz .LBB77_197
; %bb.192:
	v_cmp_ngt_f32_e64 s1, |v200|, |v201|
                                        ; implicit-def: $vgpr202_vgpr203
	s_and_saveexec_b32 s4, s1
	s_delay_alu instid0(SALU_CYCLE_1)
	s_xor_b32 s1, exec_lo, s4
	s_cbranch_execz .LBB77_194
; %bb.193:
	v_div_scale_f32 v0, null, v201, v201, v200
	v_div_scale_f32 v203, vcc_lo, v200, v201, v200
	s_delay_alu instid0(VALU_DEP_2) | instskip(SKIP_1) | instid1(TRANS32_DEP_1)
	v_rcp_f32_e32 v1, v0
	v_nop
	v_fma_f32 v202, -v0, v1, 1.0
	s_delay_alu instid0(VALU_DEP_1) | instskip(NEXT) | instid1(VALU_DEP_1)
	v_fmac_f32_e32 v1, v202, v1
	v_mul_f32_e32 v202, v203, v1
	s_delay_alu instid0(VALU_DEP_1) | instskip(NEXT) | instid1(VALU_DEP_1)
	v_fma_f32 v204, -v0, v202, v203
	v_fmac_f32_e32 v202, v204, v1
	s_delay_alu instid0(VALU_DEP_1) | instskip(NEXT) | instid1(VALU_DEP_1)
	v_fma_f32 v0, -v0, v202, v203
	v_div_fmas_f32 v0, v0, v1, v202
	s_delay_alu instid0(VALU_DEP_1) | instskip(NEXT) | instid1(VALU_DEP_1)
	v_div_fixup_f32 v0, v0, v201, v200
	v_fmac_f32_e32 v201, v200, v0
	s_delay_alu instid0(VALU_DEP_1) | instskip(SKIP_1) | instid1(VALU_DEP_2)
	v_div_scale_f32 v1, null, v201, v201, 1.0
	v_div_scale_f32 v203, vcc_lo, 1.0, v201, 1.0
	v_rcp_f32_e32 v200, v1
	v_nop
	s_delay_alu instid0(TRANS32_DEP_1) | instskip(NEXT) | instid1(VALU_DEP_1)
	v_fma_f32 v202, -v1, v200, 1.0
	v_fmac_f32_e32 v200, v202, v200
	s_delay_alu instid0(VALU_DEP_1) | instskip(NEXT) | instid1(VALU_DEP_1)
	v_mul_f32_e32 v202, v203, v200
	v_fma_f32 v204, -v1, v202, v203
	s_delay_alu instid0(VALU_DEP_1) | instskip(NEXT) | instid1(VALU_DEP_1)
	v_fmac_f32_e32 v202, v204, v200
	v_fma_f32 v1, -v1, v202, v203
	s_delay_alu instid0(VALU_DEP_1) | instskip(NEXT) | instid1(VALU_DEP_1)
	v_div_fmas_f32 v1, v1, v200, v202
	v_div_fixup_f32 v1, v1, v201, 1.0
                                        ; implicit-def: $vgpr200_vgpr201
	s_delay_alu instid0(VALU_DEP_1)
	v_mul_f32_e32 v202, v0, v1
	v_xor_b32_e32 v203, 0x80000000, v1
.LBB77_194:
	s_and_not1_saveexec_b32 s1, s1
	s_cbranch_execz .LBB77_196
; %bb.195:
	v_div_scale_f32 v0, null, v200, v200, v201
	v_div_scale_f32 v203, vcc_lo, v201, v200, v201
	s_delay_alu instid0(VALU_DEP_2) | instskip(SKIP_1) | instid1(TRANS32_DEP_1)
	v_rcp_f32_e32 v1, v0
	v_nop
	v_fma_f32 v202, -v0, v1, 1.0
	s_delay_alu instid0(VALU_DEP_1) | instskip(NEXT) | instid1(VALU_DEP_1)
	v_fmac_f32_e32 v1, v202, v1
	v_mul_f32_e32 v202, v203, v1
	s_delay_alu instid0(VALU_DEP_1) | instskip(NEXT) | instid1(VALU_DEP_1)
	v_fma_f32 v204, -v0, v202, v203
	v_fmac_f32_e32 v202, v204, v1
	s_delay_alu instid0(VALU_DEP_1) | instskip(NEXT) | instid1(VALU_DEP_1)
	v_fma_f32 v0, -v0, v202, v203
	v_div_fmas_f32 v0, v0, v1, v202
	s_delay_alu instid0(VALU_DEP_1) | instskip(NEXT) | instid1(VALU_DEP_1)
	v_div_fixup_f32 v0, v0, v200, v201
	v_fmac_f32_e32 v200, v201, v0
	s_delay_alu instid0(VALU_DEP_1) | instskip(NEXT) | instid1(VALU_DEP_1)
	v_div_scale_f32 v1, null, v200, v200, 1.0
	v_rcp_f32_e32 v201, v1
	v_nop
	s_delay_alu instid0(TRANS32_DEP_1) | instskip(NEXT) | instid1(VALU_DEP_1)
	v_fma_f32 v202, -v1, v201, 1.0
	v_fmac_f32_e32 v201, v202, v201
	v_div_scale_f32 v202, vcc_lo, 1.0, v200, 1.0
	s_delay_alu instid0(VALU_DEP_1) | instskip(NEXT) | instid1(VALU_DEP_1)
	v_mul_f32_e32 v203, v202, v201
	v_fma_f32 v204, -v1, v203, v202
	s_delay_alu instid0(VALU_DEP_1) | instskip(NEXT) | instid1(VALU_DEP_1)
	v_fmac_f32_e32 v203, v204, v201
	v_fma_f32 v1, -v1, v203, v202
	s_delay_alu instid0(VALU_DEP_1) | instskip(NEXT) | instid1(VALU_DEP_1)
	v_div_fmas_f32 v1, v1, v201, v203
	v_div_fixup_f32 v202, v1, v200, 1.0
	s_delay_alu instid0(VALU_DEP_1)
	v_mul_f32_e64 v203, v0, -v202
.LBB77_196:
	s_or_b32 exec_lo, exec_lo, s1
	ds_store_b64 v237, v[202:203]
.LBB77_197:
	s_or_b32 exec_lo, exec_lo, s2
	s_wait_dscnt 0x0
	s_barrier_signal -1
	s_barrier_wait -1
	ds_load_b64 v[200:201], v237
	s_mov_b32 s1, exec_lo
	v_cmpx_lt_u32_e32 21, v236
	s_cbranch_execz .LBB77_199
; %bb.198:
	ds_load_2addr_b64 v[202:205], v238 offset0:22 offset1:23
	ds_load_2addr_b64 v[206:209], v238 offset0:24 offset1:25
	ds_load_2addr_b64 v[210:213], v238 offset0:26 offset1:27
	s_wait_dscnt 0x3
	v_pk_mul_f32 v[214:215], v[200:201], v[132:133] op_sel:[1,1] op_sel_hi:[0,1]
	s_delay_alu instid0(VALU_DEP_1)
	v_pk_fma_f32 v[224:225], v[200:201], v[132:133], v[214:215] op_sel_hi:[1,0,1]
	v_pk_fma_f32 v[222:223], v[200:201], v[132:133], v[214:215] op_sel_hi:[1,0,1] neg_lo:[0,0,1] neg_hi:[0,0,1]
	ds_load_2addr_b64 v[214:217], v238 offset0:28 offset1:29
	ds_load_2addr_b64 v[218:221], v238 offset0:30 offset1:31
	v_dual_mov_b32 v133, v225 :: v_dual_mov_b32 v132, v222
	s_wait_dscnt 0x4
	v_pk_mul_f32 v[226:227], v[202:203], v[224:225] op_sel:[0,1]
	v_pk_mul_f32 v[228:229], v[204:205], v[224:225] op_sel:[0,1]
	s_wait_dscnt 0x3
	v_pk_mul_f32 v[230:231], v[206:207], v[224:225] op_sel:[0,1]
	v_dual_mov_b32 v232, v209 :: v_dual_mov_b32 v233, v208
	v_dual_mul_f32 v234, v209, v225 :: v_dual_mul_f32 v240, v209, v222
	s_wait_dscnt 0x2
	v_pk_mul_f32 v[242:243], v[210:211], v[224:225] op_sel:[0,1]
	v_pk_fma_f32 v[246:247], v[202:203], v[222:223], v[226:227] op_sel:[0,0,1] op_sel_hi:[1,1,0] neg_lo:[0,0,1] neg_hi:[0,0,1]
	v_pk_fma_f32 v[202:203], v[202:203], v[222:223], v[226:227] op_sel:[0,0,1] op_sel_hi:[1,0,0]
	v_pk_mul_f32 v[244:245], v[212:213], v[224:225] op_sel:[0,1]
	v_pk_fma_f32 v[226:227], v[204:205], v[222:223], v[228:229] op_sel:[0,0,1] op_sel_hi:[1,1,0] neg_lo:[0,0,1] neg_hi:[0,0,1]
	v_pk_fma_f32 v[204:205], v[204:205], v[222:223], v[228:229] op_sel:[0,0,1] op_sel_hi:[1,0,0]
	v_pk_fma_f32 v[228:229], v[206:207], v[222:223], v[230:231] op_sel:[0,0,1] op_sel_hi:[1,1,0] neg_lo:[0,0,1] neg_hi:[0,0,1]
	v_pk_fma_f32 v[206:207], v[206:207], v[222:223], v[230:231] op_sel:[0,0,1] op_sel_hi:[1,0,0]
	v_pk_fma_f32 v[230:231], v[232:233], v[132:133], v[240:241] op_sel_hi:[1,1,0]
	s_delay_alu instid0(VALU_DEP_4)
	v_dual_mov_b32 v247, v203 :: v_dual_mov_b32 v227, v205
	v_pk_fma_f32 v[202:203], v[210:211], v[222:223], v[242:243] op_sel:[0,0,1] op_sel_hi:[1,0,0]
	v_pk_fma_f32 v[208:209], v[208:209], v[132:133], v[234:235] op_sel_hi:[1,1,0] neg_lo:[0,0,1] neg_hi:[0,0,1]
	v_pk_fma_f32 v[232:233], v[210:211], v[222:223], v[242:243] op_sel:[0,0,1] op_sel_hi:[1,1,0] neg_lo:[0,0,1] neg_hi:[0,0,1]
	v_dual_mov_b32 v229, v207 :: v_dual_mov_b32 v209, v231
	v_pk_fma_f32 v[206:207], v[212:213], v[222:223], v[244:245] op_sel:[0,0,1] op_sel_hi:[1,0,0]
	v_mov_b32_e32 v233, v203
	v_pk_fma_f32 v[210:211], v[212:213], v[222:223], v[244:245] op_sel:[0,0,1] op_sel_hi:[1,1,0] neg_lo:[0,0,1] neg_hi:[0,0,1]
	s_wait_dscnt 0x1
	v_pk_mul_f32 v[212:213], v[214:215], v[224:225] op_sel:[0,1]
	ds_load_2addr_b64 v[202:205], v238 offset0:32 offset1:33
	v_mov_b32_e32 v211, v207
	v_pk_mul_f32 v[206:207], v[216:217], v[224:225] op_sel:[0,1]
	v_pk_add_f32 v[146:147], v[146:147], v[208:209] neg_lo:[0,1] neg_hi:[0,1]
	v_pk_fma_f32 v[208:209], v[214:215], v[222:223], v[212:213] op_sel:[0,0,1] op_sel_hi:[1,0,0]
	v_pk_fma_f32 v[212:213], v[214:215], v[222:223], v[212:213] op_sel:[0,0,1] op_sel_hi:[1,1,0] neg_lo:[0,0,1] neg_hi:[0,0,1]
	v_pk_add_f32 v[94:95], v[94:95], v[210:211] neg_lo:[0,1] neg_hi:[0,1]
	v_pk_fma_f32 v[210:211], v[216:217], v[222:223], v[206:207] op_sel:[0,0,1] op_sel_hi:[1,0,0]
	v_pk_fma_f32 v[214:215], v[216:217], v[222:223], v[206:207] op_sel:[0,0,1] op_sel_hi:[1,1,0] neg_lo:[0,0,1] neg_hi:[0,0,1]
	s_wait_dscnt 0x1
	v_dual_mov_b32 v213, v209 :: v_dual_mul_f32 v210, v219, v222
	ds_load_2addr_b64 v[206:209], v238 offset0:34 offset1:35
	v_mov_b32_e32 v215, v211
	v_mul_f32_e32 v216, v219, v225
	v_pk_add_f32 v[120:121], v[120:121], v[212:213] neg_lo:[0,1] neg_hi:[0,1]
	v_pk_mul_f32 v[212:213], v[220:221], v[224:225] op_sel:[0,1]
	v_pk_add_f32 v[104:105], v[104:105], v[226:227] neg_lo:[0,1] neg_hi:[0,1]
	v_pk_fma_f32 v[210:211], v[218:219], v[132:133], v[210:211] op_sel:[1,0,0] op_sel_hi:[0,1,0]
	v_pk_add_f32 v[116:117], v[116:117], v[214:215] neg_lo:[0,1] neg_hi:[0,1]
	v_pk_fma_f32 v[214:215], v[218:219], v[132:133], v[216:217] op_sel_hi:[1,1,0] neg_lo:[0,0,1] neg_hi:[0,0,1]
	v_pk_fma_f32 v[218:219], v[220:221], v[222:223], v[212:213] op_sel:[0,0,1] op_sel_hi:[1,0,0]
	s_wait_dscnt 0x1
	v_pk_mul_f32 v[226:227], v[204:205], v[224:225] op_sel:[0,1]
	v_pk_mul_f32 v[216:217], v[202:203], v[224:225] op_sel:[0,1]
	v_pk_fma_f32 v[220:221], v[220:221], v[222:223], v[212:213] op_sel:[0,0,1] op_sel_hi:[1,1,0] neg_lo:[0,0,1] neg_hi:[0,0,1]
	v_pk_add_f32 v[150:151], v[150:151], v[228:229] neg_lo:[0,1] neg_hi:[0,1]
	v_mov_b32_e32 v221, v219
	v_pk_fma_f32 v[218:219], v[204:205], v[222:223], v[226:227] op_sel:[0,0,1] op_sel_hi:[1,0,0]
	v_mov_b32_e32 v215, v211
	ds_load_2addr_b64 v[210:213], v238 offset0:36 offset1:37
	v_pk_fma_f32 v[228:229], v[202:203], v[222:223], v[216:217] op_sel:[0,0,1] op_sel_hi:[1,0,0]
	v_pk_fma_f32 v[202:203], v[202:203], v[222:223], v[216:217] op_sel:[0,0,1] op_sel_hi:[1,1,0] neg_lo:[0,0,1] neg_hi:[0,0,1]
	ds_load_b64 v[216:217], v238 offset:304
	v_pk_fma_f32 v[204:205], v[204:205], v[222:223], v[226:227] op_sel:[0,0,1] op_sel_hi:[1,1,0] neg_lo:[0,0,1] neg_hi:[0,0,1]
	v_dual_mov_b32 v205, v219 :: v_dual_mov_b32 v203, v229
	s_wait_dscnt 0x2
	v_pk_mul_f32 v[218:219], v[206:207], v[224:225] op_sel:[0,1]
	v_pk_add_f32 v[118:119], v[118:119], v[214:215] neg_lo:[0,1] neg_hi:[0,1]
	v_mul_f32_e32 v214, v209, v225
	v_pk_add_f32 v[138:139], v[138:139], v[204:205] neg_lo:[0,1] neg_hi:[0,1]
	v_pk_add_f32 v[142:143], v[142:143], v[202:203] neg_lo:[0,1] neg_hi:[0,1]
	v_pk_fma_f32 v[202:203], v[206:207], v[222:223], v[218:219] op_sel:[0,0,1] op_sel_hi:[1,0,0]
	v_dual_mov_b32 v204, v209 :: v_dual_mov_b32 v205, v208
	v_mul_f32_e32 v202, v209, v222
	v_pk_fma_f32 v[206:207], v[206:207], v[222:223], v[218:219] op_sel:[0,0,1] op_sel_hi:[1,1,0] neg_lo:[0,0,1] neg_hi:[0,0,1]
	s_delay_alu instid0(VALU_DEP_4)
	v_mov_b32_e32 v207, v203
	v_pk_fma_f32 v[208:209], v[208:209], v[132:133], v[214:215] op_sel_hi:[1,1,0] neg_lo:[0,0,1] neg_hi:[0,0,1]
	v_pk_add_f32 v[114:115], v[114:115], v[220:221] neg_lo:[0,1] neg_hi:[0,1]
	s_wait_dscnt 0x1
	v_pk_mul_f32 v[218:219], v[210:211], v[224:225] op_sel:[0,1]
	v_pk_fma_f32 v[202:203], v[204:205], v[132:133], v[202:203] op_sel_hi:[1,1,0]
	v_pk_mul_f32 v[204:205], v[212:213], v[224:225] op_sel:[0,1]
	s_wait_dscnt 0x0
	v_pk_mul_f32 v[214:215], v[216:217], v[224:225] op_sel:[0,1]
	v_pk_add_f32 v[134:135], v[134:135], v[246:247] neg_lo:[0,1] neg_hi:[0,1]
	v_pk_fma_f32 v[220:221], v[210:211], v[222:223], v[218:219] op_sel:[0,0,1] op_sel_hi:[1,0,0]
	v_mov_b32_e32 v209, v203
	v_pk_fma_f32 v[202:203], v[212:213], v[222:223], v[204:205] op_sel:[0,0,1] op_sel_hi:[1,0,0]
	v_pk_fma_f32 v[210:211], v[210:211], v[222:223], v[218:219] op_sel:[0,0,1] op_sel_hi:[1,1,0] neg_lo:[0,0,1] neg_hi:[0,0,1]
	v_pk_fma_f32 v[218:219], v[216:217], v[222:223], v[214:215] op_sel:[0,0,1] op_sel_hi:[1,0,0]
	v_pk_fma_f32 v[204:205], v[212:213], v[222:223], v[204:205] op_sel:[0,0,1] op_sel_hi:[1,1,0] neg_lo:[0,0,1] neg_hi:[0,0,1]
	s_delay_alu instid0(VALU_DEP_4) | instskip(SKIP_1) | instid1(VALU_DEP_4)
	v_dual_mov_b32 v211, v221 :: v_dual_mov_b32 v205, v203
	v_pk_fma_f32 v[202:203], v[216:217], v[222:223], v[214:215] op_sel:[0,0,1] op_sel_hi:[1,1,0] neg_lo:[0,0,1] neg_hi:[0,0,1]
	v_mov_b32_e32 v203, v219
	v_pk_add_f32 v[148:149], v[148:149], v[232:233] neg_lo:[0,1] neg_hi:[0,1]
	v_pk_add_f32 v[140:141], v[140:141], v[206:207] neg_lo:[0,1] neg_hi:[0,1]
	;; [unrolled: 1-line block ×6, first 2 shown]
.LBB77_199:
	s_or_b32 exec_lo, exec_lo, s1
	s_delay_alu instid0(SALU_CYCLE_1)
	s_mov_b32 s2, exec_lo
	s_wait_dscnt 0x0
	s_barrier_signal -1
	s_barrier_wait -1
	v_cmpx_eq_u32_e32 22, v236
	s_cbranch_execz .LBB77_206
; %bb.200:
	ds_store_b64 v237, v[134:135]
	ds_store_2addr_b64 v238, v[104:105], v[150:151] offset0:23 offset1:24
	ds_store_2addr_b64 v238, v[146:147], v[148:149] offset0:25 offset1:26
	;; [unrolled: 1-line block ×8, first 2 shown]
	ds_load_b64 v[202:203], v237
	s_wait_dscnt 0x0
	v_cmp_neq_f32_e32 vcc_lo, 0, v202
	v_cmp_neq_f32_e64 s1, 0, v203
	s_or_b32 s1, vcc_lo, s1
	s_delay_alu instid0(SALU_CYCLE_1)
	s_and_b32 exec_lo, exec_lo, s1
	s_cbranch_execz .LBB77_206
; %bb.201:
	v_cmp_ngt_f32_e64 s1, |v202|, |v203|
                                        ; implicit-def: $vgpr204_vgpr205
	s_and_saveexec_b32 s4, s1
	s_delay_alu instid0(SALU_CYCLE_1)
	s_xor_b32 s1, exec_lo, s4
	s_cbranch_execz .LBB77_203
; %bb.202:
	v_div_scale_f32 v0, null, v203, v203, v202
	v_div_scale_f32 v205, vcc_lo, v202, v203, v202
	s_delay_alu instid0(VALU_DEP_2) | instskip(SKIP_1) | instid1(TRANS32_DEP_1)
	v_rcp_f32_e32 v1, v0
	v_nop
	v_fma_f32 v204, -v0, v1, 1.0
	s_delay_alu instid0(VALU_DEP_1) | instskip(NEXT) | instid1(VALU_DEP_1)
	v_fmac_f32_e32 v1, v204, v1
	v_mul_f32_e32 v204, v205, v1
	s_delay_alu instid0(VALU_DEP_1) | instskip(NEXT) | instid1(VALU_DEP_1)
	v_fma_f32 v206, -v0, v204, v205
	v_fmac_f32_e32 v204, v206, v1
	s_delay_alu instid0(VALU_DEP_1) | instskip(NEXT) | instid1(VALU_DEP_1)
	v_fma_f32 v0, -v0, v204, v205
	v_div_fmas_f32 v0, v0, v1, v204
	s_delay_alu instid0(VALU_DEP_1) | instskip(NEXT) | instid1(VALU_DEP_1)
	v_div_fixup_f32 v0, v0, v203, v202
	v_fmac_f32_e32 v203, v202, v0
	s_delay_alu instid0(VALU_DEP_1) | instskip(SKIP_1) | instid1(VALU_DEP_2)
	v_div_scale_f32 v1, null, v203, v203, 1.0
	v_div_scale_f32 v205, vcc_lo, 1.0, v203, 1.0
	v_rcp_f32_e32 v202, v1
	v_nop
	s_delay_alu instid0(TRANS32_DEP_1) | instskip(NEXT) | instid1(VALU_DEP_1)
	v_fma_f32 v204, -v1, v202, 1.0
	v_fmac_f32_e32 v202, v204, v202
	s_delay_alu instid0(VALU_DEP_1) | instskip(NEXT) | instid1(VALU_DEP_1)
	v_mul_f32_e32 v204, v205, v202
	v_fma_f32 v206, -v1, v204, v205
	s_delay_alu instid0(VALU_DEP_1) | instskip(NEXT) | instid1(VALU_DEP_1)
	v_fmac_f32_e32 v204, v206, v202
	v_fma_f32 v1, -v1, v204, v205
	s_delay_alu instid0(VALU_DEP_1) | instskip(NEXT) | instid1(VALU_DEP_1)
	v_div_fmas_f32 v1, v1, v202, v204
	v_div_fixup_f32 v1, v1, v203, 1.0
                                        ; implicit-def: $vgpr202_vgpr203
	s_delay_alu instid0(VALU_DEP_1)
	v_mul_f32_e32 v204, v0, v1
	v_xor_b32_e32 v205, 0x80000000, v1
.LBB77_203:
	s_and_not1_saveexec_b32 s1, s1
	s_cbranch_execz .LBB77_205
; %bb.204:
	v_div_scale_f32 v0, null, v202, v202, v203
	v_div_scale_f32 v205, vcc_lo, v203, v202, v203
	s_delay_alu instid0(VALU_DEP_2) | instskip(SKIP_1) | instid1(TRANS32_DEP_1)
	v_rcp_f32_e32 v1, v0
	v_nop
	v_fma_f32 v204, -v0, v1, 1.0
	s_delay_alu instid0(VALU_DEP_1) | instskip(NEXT) | instid1(VALU_DEP_1)
	v_fmac_f32_e32 v1, v204, v1
	v_mul_f32_e32 v204, v205, v1
	s_delay_alu instid0(VALU_DEP_1) | instskip(NEXT) | instid1(VALU_DEP_1)
	v_fma_f32 v206, -v0, v204, v205
	v_fmac_f32_e32 v204, v206, v1
	s_delay_alu instid0(VALU_DEP_1) | instskip(NEXT) | instid1(VALU_DEP_1)
	v_fma_f32 v0, -v0, v204, v205
	v_div_fmas_f32 v0, v0, v1, v204
	s_delay_alu instid0(VALU_DEP_1) | instskip(NEXT) | instid1(VALU_DEP_1)
	v_div_fixup_f32 v0, v0, v202, v203
	v_fmac_f32_e32 v202, v203, v0
	s_delay_alu instid0(VALU_DEP_1) | instskip(NEXT) | instid1(VALU_DEP_1)
	v_div_scale_f32 v1, null, v202, v202, 1.0
	v_rcp_f32_e32 v203, v1
	v_nop
	s_delay_alu instid0(TRANS32_DEP_1) | instskip(NEXT) | instid1(VALU_DEP_1)
	v_fma_f32 v204, -v1, v203, 1.0
	v_fmac_f32_e32 v203, v204, v203
	v_div_scale_f32 v204, vcc_lo, 1.0, v202, 1.0
	s_delay_alu instid0(VALU_DEP_1) | instskip(NEXT) | instid1(VALU_DEP_1)
	v_mul_f32_e32 v205, v204, v203
	v_fma_f32 v206, -v1, v205, v204
	s_delay_alu instid0(VALU_DEP_1) | instskip(NEXT) | instid1(VALU_DEP_1)
	v_fmac_f32_e32 v205, v206, v203
	v_fma_f32 v1, -v1, v205, v204
	s_delay_alu instid0(VALU_DEP_1) | instskip(NEXT) | instid1(VALU_DEP_1)
	v_div_fmas_f32 v1, v1, v203, v205
	v_div_fixup_f32 v204, v1, v202, 1.0
	s_delay_alu instid0(VALU_DEP_1)
	v_mul_f32_e64 v205, v0, -v204
.LBB77_205:
	s_or_b32 exec_lo, exec_lo, s1
	ds_store_b64 v237, v[204:205]
.LBB77_206:
	s_or_b32 exec_lo, exec_lo, s2
	s_wait_dscnt 0x0
	s_barrier_signal -1
	s_barrier_wait -1
	ds_load_b64 v[202:203], v237
	s_mov_b32 s1, exec_lo
	v_cmpx_lt_u32_e32 22, v236
	s_cbranch_execz .LBB77_208
; %bb.207:
	ds_load_2addr_b64 v[204:207], v238 offset0:23 offset1:24
	ds_load_2addr_b64 v[208:211], v238 offset0:25 offset1:26
	;; [unrolled: 1-line block ×3, first 2 shown]
	s_wait_dscnt 0x3
	v_pk_mul_f32 v[216:217], v[202:203], v[134:135] op_sel:[1,1] op_sel_hi:[0,1]
	s_delay_alu instid0(VALU_DEP_1)
	v_pk_fma_f32 v[224:225], v[202:203], v[134:135], v[216:217] op_sel_hi:[1,0,1] neg_lo:[0,0,1] neg_hi:[0,0,1]
	v_pk_fma_f32 v[226:227], v[202:203], v[134:135], v[216:217] op_sel_hi:[1,0,1]
	ds_load_2addr_b64 v[216:219], v238 offset0:29 offset1:30
	ds_load_2addr_b64 v[220:223], v238 offset0:31 offset1:32
	v_dual_mov_b32 v134, v224 :: v_dual_mov_b32 v135, v227
	s_wait_dscnt 0x4
	v_pk_mul_f32 v[228:229], v[204:205], v[226:227] op_sel:[0,1]
	v_pk_mul_f32 v[230:231], v[206:207], v[226:227] op_sel:[0,1]
	s_wait_dscnt 0x3
	v_pk_mul_f32 v[232:233], v[208:209], v[226:227] op_sel:[0,1]
	v_dual_mov_b32 v234, v211 :: v_dual_mov_b32 v235, v210
	v_dual_mul_f32 v240, v211, v227 :: v_dual_mul_f32 v242, v211, v224
	s_wait_dscnt 0x2
	v_pk_mul_f32 v[244:245], v[212:213], v[226:227] op_sel:[0,1]
	v_pk_fma_f32 v[248:249], v[204:205], v[224:225], v[228:229] op_sel:[0,0,1] op_sel_hi:[1,1,0] neg_lo:[0,0,1] neg_hi:[0,0,1]
	v_pk_fma_f32 v[204:205], v[204:205], v[224:225], v[228:229] op_sel:[0,0,1] op_sel_hi:[1,0,0]
	v_pk_fma_f32 v[228:229], v[206:207], v[224:225], v[230:231] op_sel:[0,0,1] op_sel_hi:[1,1,0] neg_lo:[0,0,1] neg_hi:[0,0,1]
	v_pk_fma_f32 v[206:207], v[206:207], v[224:225], v[230:231] op_sel:[0,0,1] op_sel_hi:[1,0,0]
	v_pk_mul_f32 v[246:247], v[214:215], v[226:227] op_sel:[0,1]
	v_pk_fma_f32 v[230:231], v[208:209], v[224:225], v[232:233] op_sel:[0,0,1] op_sel_hi:[1,1,0] neg_lo:[0,0,1] neg_hi:[0,0,1]
	v_pk_fma_f32 v[208:209], v[208:209], v[224:225], v[232:233] op_sel:[0,0,1] op_sel_hi:[1,0,0]
	v_pk_fma_f32 v[232:233], v[234:235], v[134:135], v[242:243] op_sel_hi:[1,1,0]
	v_dual_mov_b32 v249, v205 :: v_dual_mov_b32 v229, v207
	v_pk_fma_f32 v[204:205], v[212:213], v[224:225], v[244:245] op_sel:[0,0,1] op_sel_hi:[1,0,0]
	v_pk_fma_f32 v[234:235], v[212:213], v[224:225], v[244:245] op_sel:[0,0,1] op_sel_hi:[1,1,0] neg_lo:[0,0,1] neg_hi:[0,0,1]
	v_mov_b32_e32 v231, v209
	v_pk_fma_f32 v[208:209], v[214:215], v[224:225], v[246:247] op_sel:[0,0,1] op_sel_hi:[1,0,0]
	s_wait_dscnt 0x1
	v_pk_mul_f32 v[212:213], v[216:217], v[226:227] op_sel:[0,1]
	v_pk_fma_f32 v[210:211], v[210:211], v[134:135], v[240:241] op_sel_hi:[1,1,0] neg_lo:[0,0,1] neg_hi:[0,0,1]
	v_mov_b32_e32 v211, v233
	v_pk_add_f32 v[150:151], v[150:151], v[228:229] neg_lo:[0,1] neg_hi:[0,1]
	v_mov_b32_e32 v235, v205
	ds_load_2addr_b64 v[204:207], v238 offset0:33 offset1:34
	v_pk_fma_f32 v[214:215], v[214:215], v[224:225], v[246:247] op_sel:[0,0,1] op_sel_hi:[1,1,0] neg_lo:[0,0,1] neg_hi:[0,0,1]
	v_pk_mul_f32 v[228:229], v[218:219], v[226:227] op_sel:[0,1]
	v_mov_b32_e32 v215, v209
	v_pk_fma_f32 v[208:209], v[216:217], v[224:225], v[212:213] op_sel:[0,0,1] op_sel_hi:[1,0,0]
	v_pk_add_f32 v[148:149], v[148:149], v[210:211] neg_lo:[0,1] neg_hi:[0,1]
	v_pk_fma_f32 v[212:213], v[216:217], v[224:225], v[212:213] op_sel:[0,0,1] op_sel_hi:[1,1,0] neg_lo:[0,0,1] neg_hi:[0,0,1]
	v_pk_fma_f32 v[210:211], v[218:219], v[224:225], v[228:229] op_sel:[0,0,1] op_sel_hi:[1,0,0]
	v_pk_add_f32 v[120:121], v[120:121], v[214:215] neg_lo:[0,1] neg_hi:[0,1]
	v_mov_b32_e32 v213, v209
	v_pk_fma_f32 v[214:215], v[218:219], v[224:225], v[228:229] op_sel:[0,0,1] op_sel_hi:[1,1,0] neg_lo:[0,0,1] neg_hi:[0,0,1]
	s_wait_dscnt 0x1
	v_dual_mul_f32 v216, v221, v224 :: v_dual_mov_b32 v215, v211
	ds_load_2addr_b64 v[208:211], v238 offset0:35 offset1:36
	v_pk_add_f32 v[116:117], v[116:117], v[212:213] neg_lo:[0,1] neg_hi:[0,1]
	v_mul_f32_e32 v212, v221, v227
	v_pk_fma_f32 v[216:217], v[220:221], v[134:135], v[216:217] op_sel:[1,0,0] op_sel_hi:[0,1,0]
	v_pk_add_f32 v[118:119], v[118:119], v[214:215] neg_lo:[0,1] neg_hi:[0,1]
	v_pk_mul_f32 v[218:219], v[222:223], v[226:227] op_sel:[0,1]
	v_pk_add_f32 v[146:147], v[146:147], v[230:231] neg_lo:[0,1] neg_hi:[0,1]
	v_pk_fma_f32 v[220:221], v[220:221], v[134:135], v[212:213] op_sel_hi:[1,1,0] neg_lo:[0,0,1] neg_hi:[0,0,1]
	ds_load_2addr_b64 v[212:215], v238 offset0:37 offset1:38
	s_wait_dscnt 0x2
	v_pk_mul_f32 v[228:229], v[204:205], v[226:227] op_sel:[0,1]
	v_pk_fma_f32 v[230:231], v[222:223], v[224:225], v[218:219] op_sel:[0,0,1] op_sel_hi:[1,0,0]
	v_mov_b32_e32 v221, v217
	v_pk_fma_f32 v[218:219], v[222:223], v[224:225], v[218:219] op_sel:[0,0,1] op_sel_hi:[1,1,0] neg_lo:[0,0,1] neg_hi:[0,0,1]
	v_pk_mul_f32 v[222:223], v[206:207], v[226:227] op_sel:[0,1]
	v_pk_fma_f32 v[216:217], v[204:205], v[224:225], v[228:229] op_sel:[0,0,1] op_sel_hi:[1,0,0]
	v_pk_fma_f32 v[204:205], v[204:205], v[224:225], v[228:229] op_sel:[0,0,1] op_sel_hi:[1,1,0] neg_lo:[0,0,1] neg_hi:[0,0,1]
	v_mov_b32_e32 v219, v231
	v_pk_add_f32 v[114:115], v[114:115], v[220:221] neg_lo:[0,1] neg_hi:[0,1]
	v_pk_add_f32 v[104:105], v[104:105], v[248:249] neg_lo:[0,1] neg_hi:[0,1]
	v_mov_b32_e32 v205, v217
	s_wait_dscnt 0x1
	v_pk_mul_f32 v[220:221], v[208:209], v[226:227] op_sel:[0,1]
	v_pk_fma_f32 v[216:217], v[206:207], v[224:225], v[222:223] op_sel:[0,0,1] op_sel_hi:[1,0,0]
	v_mov_b32_e32 v216, v211
	v_pk_add_f32 v[142:143], v[142:143], v[218:219] neg_lo:[0,1] neg_hi:[0,1]
	v_pk_add_f32 v[138:139], v[138:139], v[204:205] neg_lo:[0,1] neg_hi:[0,1]
	v_pk_fma_f32 v[204:205], v[206:207], v[224:225], v[222:223] op_sel:[0,0,1] op_sel_hi:[1,1,0] neg_lo:[0,0,1] neg_hi:[0,0,1]
	v_pk_fma_f32 v[206:207], v[208:209], v[224:225], v[220:221] op_sel:[0,0,1] op_sel_hi:[1,1,0] neg_lo:[0,0,1] neg_hi:[0,0,1]
	v_pk_fma_f32 v[208:209], v[208:209], v[224:225], v[220:221] op_sel:[0,0,1] op_sel_hi:[1,0,0]
	v_dual_mov_b32 v205, v217 :: v_dual_mov_b32 v217, v210
	v_dual_mul_f32 v218, v211, v224 :: v_dual_mul_f32 v208, v211, v227
	s_wait_dscnt 0x0
	v_pk_mul_f32 v[220:221], v[212:213], v[226:227] op_sel:[0,1]
	v_pk_mul_f32 v[222:223], v[214:215], v[226:227] op_sel:[0,1]
	v_pk_add_f32 v[94:95], v[94:95], v[234:235] neg_lo:[0,1] neg_hi:[0,1]
	v_pk_fma_f32 v[216:217], v[216:217], v[134:135], v[218:219] op_sel_hi:[1,1,0]
	v_mov_b32_e32 v207, v209
	v_pk_fma_f32 v[218:219], v[212:213], v[224:225], v[220:221] op_sel:[0,0,1] op_sel_hi:[1,0,0]
	v_pk_fma_f32 v[208:209], v[210:211], v[134:135], v[208:209] op_sel_hi:[1,1,0] neg_lo:[0,0,1] neg_hi:[0,0,1]
	v_pk_fma_f32 v[210:211], v[214:215], v[224:225], v[222:223] op_sel:[0,0,1] op_sel_hi:[1,0,0]
	v_pk_fma_f32 v[212:213], v[212:213], v[224:225], v[220:221] op_sel:[0,0,1] op_sel_hi:[1,1,0] neg_lo:[0,0,1] neg_hi:[0,0,1]
	v_pk_fma_f32 v[214:215], v[214:215], v[224:225], v[222:223] op_sel:[0,0,1] op_sel_hi:[1,1,0] neg_lo:[0,0,1] neg_hi:[0,0,1]
	v_dual_mov_b32 v209, v217 :: v_dual_mov_b32 v213, v219
	s_delay_alu instid0(VALU_DEP_4) | instskip(SKIP_2) | instid1(VALU_DEP_4)
	v_mov_b32_e32 v215, v211
	v_pk_add_f32 v[140:141], v[140:141], v[204:205] neg_lo:[0,1] neg_hi:[0,1]
	v_pk_add_f32 v[154:155], v[154:155], v[206:207] neg_lo:[0,1] neg_hi:[0,1]
	;; [unrolled: 1-line block ×5, first 2 shown]
.LBB77_208:
	s_or_b32 exec_lo, exec_lo, s1
	s_delay_alu instid0(SALU_CYCLE_1)
	s_mov_b32 s2, exec_lo
	s_wait_dscnt 0x0
	s_barrier_signal -1
	s_barrier_wait -1
	v_cmpx_eq_u32_e32 23, v236
	s_cbranch_execz .LBB77_215
; %bb.209:
	v_dual_mov_b32 v204, v150 :: v_dual_mov_b32 v205, v151
	v_dual_mov_b32 v206, v146 :: v_dual_mov_b32 v207, v147
	;; [unrolled: 1-line block ×4, first 2 shown]
	ds_store_b64 v237, v[104:105]
	ds_store_2addr_b64 v238, v[204:205], v[206:207] offset0:24 offset1:25
	ds_store_2addr_b64 v238, v[208:209], v[210:211] offset0:26 offset1:27
	v_dual_mov_b32 v204, v120 :: v_dual_mov_b32 v205, v121
	v_dual_mov_b32 v206, v116 :: v_dual_mov_b32 v207, v117
	;; [unrolled: 1-line block ×10, first 2 shown]
	ds_store_2addr_b64 v238, v[204:205], v[206:207] offset0:28 offset1:29
	ds_store_2addr_b64 v238, v[208:209], v[210:211] offset0:30 offset1:31
	;; [unrolled: 1-line block ×5, first 2 shown]
	ds_store_b64 v238, v[156:157] offset:304
	ds_load_b64 v[204:205], v237
	s_wait_dscnt 0x0
	v_cmp_neq_f32_e32 vcc_lo, 0, v204
	v_cmp_neq_f32_e64 s1, 0, v205
	s_or_b32 s1, vcc_lo, s1
	s_delay_alu instid0(SALU_CYCLE_1)
	s_and_b32 exec_lo, exec_lo, s1
	s_cbranch_execz .LBB77_215
; %bb.210:
	v_cmp_ngt_f32_e64 s1, |v204|, |v205|
                                        ; implicit-def: $vgpr206_vgpr207
	s_and_saveexec_b32 s4, s1
	s_delay_alu instid0(SALU_CYCLE_1)
	s_xor_b32 s1, exec_lo, s4
	s_cbranch_execz .LBB77_212
; %bb.211:
	v_div_scale_f32 v0, null, v205, v205, v204
	v_div_scale_f32 v207, vcc_lo, v204, v205, v204
	s_delay_alu instid0(VALU_DEP_2) | instskip(SKIP_1) | instid1(TRANS32_DEP_1)
	v_rcp_f32_e32 v1, v0
	v_nop
	v_fma_f32 v206, -v0, v1, 1.0
	s_delay_alu instid0(VALU_DEP_1) | instskip(NEXT) | instid1(VALU_DEP_1)
	v_fmac_f32_e32 v1, v206, v1
	v_mul_f32_e32 v206, v207, v1
	s_delay_alu instid0(VALU_DEP_1) | instskip(NEXT) | instid1(VALU_DEP_1)
	v_fma_f32 v208, -v0, v206, v207
	v_fmac_f32_e32 v206, v208, v1
	s_delay_alu instid0(VALU_DEP_1) | instskip(NEXT) | instid1(VALU_DEP_1)
	v_fma_f32 v0, -v0, v206, v207
	v_div_fmas_f32 v0, v0, v1, v206
	s_delay_alu instid0(VALU_DEP_1) | instskip(NEXT) | instid1(VALU_DEP_1)
	v_div_fixup_f32 v0, v0, v205, v204
	v_fmac_f32_e32 v205, v204, v0
	s_delay_alu instid0(VALU_DEP_1) | instskip(SKIP_1) | instid1(VALU_DEP_2)
	v_div_scale_f32 v1, null, v205, v205, 1.0
	v_div_scale_f32 v207, vcc_lo, 1.0, v205, 1.0
	v_rcp_f32_e32 v204, v1
	v_nop
	s_delay_alu instid0(TRANS32_DEP_1) | instskip(NEXT) | instid1(VALU_DEP_1)
	v_fma_f32 v206, -v1, v204, 1.0
	v_fmac_f32_e32 v204, v206, v204
	s_delay_alu instid0(VALU_DEP_1) | instskip(NEXT) | instid1(VALU_DEP_1)
	v_mul_f32_e32 v206, v207, v204
	v_fma_f32 v208, -v1, v206, v207
	s_delay_alu instid0(VALU_DEP_1) | instskip(NEXT) | instid1(VALU_DEP_1)
	v_fmac_f32_e32 v206, v208, v204
	v_fma_f32 v1, -v1, v206, v207
	s_delay_alu instid0(VALU_DEP_1) | instskip(NEXT) | instid1(VALU_DEP_1)
	v_div_fmas_f32 v1, v1, v204, v206
	v_div_fixup_f32 v1, v1, v205, 1.0
                                        ; implicit-def: $vgpr204_vgpr205
	s_delay_alu instid0(VALU_DEP_1)
	v_mul_f32_e32 v206, v0, v1
	v_xor_b32_e32 v207, 0x80000000, v1
.LBB77_212:
	s_and_not1_saveexec_b32 s1, s1
	s_cbranch_execz .LBB77_214
; %bb.213:
	v_div_scale_f32 v0, null, v204, v204, v205
	v_div_scale_f32 v207, vcc_lo, v205, v204, v205
	s_delay_alu instid0(VALU_DEP_2) | instskip(SKIP_1) | instid1(TRANS32_DEP_1)
	v_rcp_f32_e32 v1, v0
	v_nop
	v_fma_f32 v206, -v0, v1, 1.0
	s_delay_alu instid0(VALU_DEP_1) | instskip(NEXT) | instid1(VALU_DEP_1)
	v_fmac_f32_e32 v1, v206, v1
	v_mul_f32_e32 v206, v207, v1
	s_delay_alu instid0(VALU_DEP_1) | instskip(NEXT) | instid1(VALU_DEP_1)
	v_fma_f32 v208, -v0, v206, v207
	v_fmac_f32_e32 v206, v208, v1
	s_delay_alu instid0(VALU_DEP_1) | instskip(NEXT) | instid1(VALU_DEP_1)
	v_fma_f32 v0, -v0, v206, v207
	v_div_fmas_f32 v0, v0, v1, v206
	s_delay_alu instid0(VALU_DEP_1) | instskip(NEXT) | instid1(VALU_DEP_1)
	v_div_fixup_f32 v0, v0, v204, v205
	v_fmac_f32_e32 v204, v205, v0
	s_delay_alu instid0(VALU_DEP_1) | instskip(NEXT) | instid1(VALU_DEP_1)
	v_div_scale_f32 v1, null, v204, v204, 1.0
	v_rcp_f32_e32 v205, v1
	v_nop
	s_delay_alu instid0(TRANS32_DEP_1) | instskip(NEXT) | instid1(VALU_DEP_1)
	v_fma_f32 v206, -v1, v205, 1.0
	v_fmac_f32_e32 v205, v206, v205
	v_div_scale_f32 v206, vcc_lo, 1.0, v204, 1.0
	s_delay_alu instid0(VALU_DEP_1) | instskip(NEXT) | instid1(VALU_DEP_1)
	v_mul_f32_e32 v207, v206, v205
	v_fma_f32 v208, -v1, v207, v206
	s_delay_alu instid0(VALU_DEP_1) | instskip(NEXT) | instid1(VALU_DEP_1)
	v_fmac_f32_e32 v207, v208, v205
	v_fma_f32 v1, -v1, v207, v206
	s_delay_alu instid0(VALU_DEP_1) | instskip(NEXT) | instid1(VALU_DEP_1)
	v_div_fmas_f32 v1, v1, v205, v207
	v_div_fixup_f32 v206, v1, v204, 1.0
	s_delay_alu instid0(VALU_DEP_1)
	v_mul_f32_e64 v207, v0, -v206
.LBB77_214:
	s_or_b32 exec_lo, exec_lo, s1
	ds_store_b64 v237, v[206:207]
.LBB77_215:
	s_or_b32 exec_lo, exec_lo, s2
	s_wait_dscnt 0x0
	s_barrier_signal -1
	s_barrier_wait -1
	ds_load_b64 v[204:205], v237
	s_mov_b32 s1, exec_lo
	v_cmpx_lt_u32_e32 23, v236
	s_cbranch_execz .LBB77_217
; %bb.216:
	ds_load_2addr_b64 v[206:209], v238 offset0:24 offset1:25
	ds_load_2addr_b64 v[210:213], v238 offset0:26 offset1:27
	;; [unrolled: 1-line block ×3, first 2 shown]
	s_wait_dscnt 0x3
	v_pk_mul_f32 v[222:223], v[204:205], v[104:105] op_sel:[1,1] op_sel_hi:[0,1]
	ds_load_2addr_b64 v[218:221], v238 offset0:30 offset1:31
	v_pk_fma_f32 v[228:229], v[204:205], v[104:105], v[222:223] op_sel_hi:[1,0,1]
	v_pk_fma_f32 v[226:227], v[204:205], v[104:105], v[222:223] op_sel_hi:[1,0,1] neg_lo:[0,0,1] neg_hi:[0,0,1]
	ds_load_2addr_b64 v[222:225], v238 offset0:32 offset1:33
	v_dual_mov_b32 v105, v229 :: v_dual_mov_b32 v104, v226
	s_wait_dscnt 0x4
	v_pk_mul_f32 v[230:231], v[206:207], v[228:229] op_sel:[0,1]
	v_pk_mul_f32 v[232:233], v[208:209], v[228:229] op_sel:[0,1]
	s_wait_dscnt 0x3
	v_pk_mul_f32 v[234:235], v[210:211], v[228:229] op_sel:[0,1]
	s_wait_dscnt 0x2
	v_pk_mul_f32 v[246:247], v[214:215], v[228:229] op_sel:[0,1]
	v_dual_mov_b32 v240, v213 :: v_dual_mov_b32 v241, v212
	v_pk_fma_f32 v[252:253], v[206:207], v[226:227], v[230:231] op_sel:[0,0,1] op_sel_hi:[1,1,0] neg_lo:[0,0,1] neg_hi:[0,0,1]
	v_pk_fma_f32 v[206:207], v[206:207], v[226:227], v[230:231] op_sel:[0,0,1] op_sel_hi:[1,0,0]
	v_pk_fma_f32 v[230:231], v[208:209], v[226:227], v[232:233] op_sel:[0,0,1] op_sel_hi:[1,1,0] neg_lo:[0,0,1] neg_hi:[0,0,1]
	v_pk_fma_f32 v[208:209], v[208:209], v[226:227], v[232:233] op_sel:[0,0,1] op_sel_hi:[1,0,0]
	v_dual_mul_f32 v242, v213, v229 :: v_dual_mul_f32 v244, v213, v226
	v_pk_fma_f32 v[232:233], v[210:211], v[226:227], v[234:235] op_sel:[0,0,1] op_sel_hi:[1,1,0] neg_lo:[0,0,1] neg_hi:[0,0,1]
	v_pk_fma_f32 v[210:211], v[210:211], v[226:227], v[234:235] op_sel:[0,0,1] op_sel_hi:[1,0,0]
	v_pk_mul_f32 v[248:249], v[216:217], v[228:229] op_sel:[0,1]
	v_dual_mov_b32 v253, v207 :: v_dual_mov_b32 v231, v209
	v_pk_fma_f32 v[206:207], v[214:215], v[226:227], v[246:247] op_sel:[0,0,1] op_sel_hi:[1,0,0]
	s_wait_dscnt 0x1
	v_pk_mul_f32 v[250:251], v[218:219], v[228:229] op_sel:[0,1]
	v_pk_fma_f32 v[234:235], v[240:241], v[104:105], v[244:245] op_sel_hi:[1,1,0]
	v_mov_b32_e32 v233, v211
	v_pk_fma_f32 v[210:211], v[214:215], v[226:227], v[246:247] op_sel:[0,0,1] op_sel_hi:[1,1,0] neg_lo:[0,0,1] neg_hi:[0,0,1]
	v_pk_fma_f32 v[214:215], v[216:217], v[226:227], v[248:249] op_sel:[0,0,1] op_sel_hi:[1,0,0]
	v_mov_b32_e32 v211, v207
	ds_load_2addr_b64 v[206:209], v238 offset0:34 offset1:35
	v_pk_fma_f32 v[212:213], v[212:213], v[104:105], v[242:243] op_sel_hi:[1,1,0] neg_lo:[0,0,1] neg_hi:[0,0,1]
	v_pk_add_f32 v[146:147], v[146:147], v[230:231] neg_lo:[0,1] neg_hi:[0,1]
	v_pk_fma_f32 v[230:231], v[218:219], v[226:227], v[250:251] op_sel:[0,0,1] op_sel_hi:[1,0,0]
	v_mov_b32_e32 v213, v235
	v_pk_fma_f32 v[216:217], v[216:217], v[226:227], v[248:249] op_sel:[0,0,1] op_sel_hi:[1,1,0] neg_lo:[0,0,1] neg_hi:[0,0,1]
	v_mov_b32_e32 v217, v215
	v_pk_fma_f32 v[214:215], v[218:219], v[226:227], v[250:251] op_sel:[0,0,1] op_sel_hi:[1,1,0] neg_lo:[0,0,1] neg_hi:[0,0,1]
	v_pk_mul_f32 v[218:219], v[220:221], v[228:229] op_sel:[0,1]
	v_mov_b32_e32 v215, v231
	v_pk_add_f32 v[94:95], v[94:95], v[212:213] neg_lo:[0,1] neg_hi:[0,1]
	v_pk_add_f32 v[120:121], v[120:121], v[210:211] neg_lo:[0,1] neg_hi:[0,1]
	ds_load_2addr_b64 v[210:213], v238 offset0:36 offset1:37
	v_pk_add_f32 v[148:149], v[148:149], v[232:233] neg_lo:[0,1] neg_hi:[0,1]
	v_pk_add_f32 v[116:117], v[116:117], v[216:217] neg_lo:[0,1] neg_hi:[0,1]
	v_pk_fma_f32 v[216:217], v[220:221], v[226:227], v[218:219] op_sel:[0,0,1] op_sel_hi:[1,0,0]
	ds_load_b64 v[232:233], v238 offset:304
	v_pk_add_f32 v[118:119], v[118:119], v[214:215] neg_lo:[0,1] neg_hi:[0,1]
	v_pk_fma_f32 v[214:215], v[220:221], v[226:227], v[218:219] op_sel:[0,0,1] op_sel_hi:[1,1,0] neg_lo:[0,0,1] neg_hi:[0,0,1]
	s_wait_dscnt 0x3
	v_dual_mul_f32 v216, v223, v226 :: v_dual_mul_f32 v220, v223, v229
	v_pk_mul_f32 v[218:219], v[224:225], v[228:229] op_sel:[0,1]
	v_pk_add_f32 v[150:151], v[150:151], v[252:253] neg_lo:[0,1] neg_hi:[0,1]
	s_delay_alu instid0(VALU_DEP_3) | instskip(NEXT) | instid1(VALU_DEP_3)
	v_pk_fma_f32 v[220:221], v[222:223], v[104:105], v[220:221] op_sel_hi:[1,1,0] neg_lo:[0,0,1] neg_hi:[0,0,1]
	v_pk_fma_f32 v[230:231], v[224:225], v[226:227], v[218:219] op_sel:[0,0,1] op_sel_hi:[1,0,0]
	v_mov_b32_e32 v215, v217
	v_pk_fma_f32 v[216:217], v[222:223], v[104:105], v[216:217] op_sel:[1,0,0] op_sel_hi:[0,1,0]
	s_wait_dscnt 0x2
	v_pk_mul_f32 v[222:223], v[206:207], v[228:229] op_sel:[0,1]
	s_delay_alu instid0(VALU_DEP_2)
	v_mov_b32_e32 v221, v217
	v_pk_fma_f32 v[216:217], v[224:225], v[226:227], v[218:219] op_sel:[0,0,1] op_sel_hi:[1,1,0] neg_lo:[0,0,1] neg_hi:[0,0,1]
	v_mov_b32_e32 v217, v231
	v_pk_add_f32 v[114:115], v[114:115], v[214:215] neg_lo:[0,1] neg_hi:[0,1]
	v_pk_fma_f32 v[214:215], v[206:207], v[226:227], v[222:223] op_sel:[0,0,1] op_sel_hi:[1,0,0]
	v_pk_mul_f32 v[218:219], v[208:209], v[228:229] op_sel:[0,1]
	v_pk_fma_f32 v[206:207], v[206:207], v[226:227], v[222:223] op_sel:[0,0,1] op_sel_hi:[1,1,0] neg_lo:[0,0,1] neg_hi:[0,0,1]
	v_pk_add_f32 v[138:139], v[138:139], v[216:217] neg_lo:[0,1] neg_hi:[0,1]
	s_wait_dscnt 0x1
	v_pk_mul_f32 v[216:217], v[210:211], v[228:229] op_sel:[0,1]
	v_mov_b32_e32 v207, v215
	v_pk_fma_f32 v[214:215], v[208:209], v[226:227], v[218:219] op_sel:[0,0,1] op_sel_hi:[1,1,0] neg_lo:[0,0,1] neg_hi:[0,0,1]
	v_pk_fma_f32 v[208:209], v[208:209], v[226:227], v[218:219] op_sel:[0,0,1] op_sel_hi:[1,0,0]
	v_dual_mov_b32 v218, v213 :: v_dual_mov_b32 v219, v212
	v_mul_f32_e32 v208, v213, v226
	v_pk_add_f32 v[142:143], v[142:143], v[220:221] neg_lo:[0,1] neg_hi:[0,1]
	s_wait_dscnt 0x0
	v_pk_mul_f32 v[220:221], v[232:233], v[228:229] op_sel:[0,1]
	v_pk_fma_f32 v[222:223], v[210:211], v[226:227], v[216:217] op_sel:[0,0,1] op_sel_hi:[1,0,0]
	v_mul_f32_e32 v222, v213, v229
	v_mov_b32_e32 v215, v209
	v_pk_fma_f32 v[208:209], v[218:219], v[104:105], v[208:209] op_sel_hi:[1,1,0]
	v_pk_fma_f32 v[210:211], v[210:211], v[226:227], v[216:217] op_sel:[0,0,1] op_sel_hi:[1,1,0] neg_lo:[0,0,1] neg_hi:[0,0,1]
	v_pk_fma_f32 v[216:217], v[232:233], v[226:227], v[220:221] op_sel:[0,0,1] op_sel_hi:[1,0,0]
	v_pk_fma_f32 v[212:213], v[212:213], v[104:105], v[222:223] op_sel_hi:[1,1,0] neg_lo:[0,0,1] neg_hi:[0,0,1]
	s_delay_alu instid0(VALU_DEP_4) | instskip(SKIP_1) | instid1(VALU_DEP_4)
	v_dual_mov_b32 v211, v223 :: v_dual_mov_b32 v213, v209
	v_pk_fma_f32 v[208:209], v[232:233], v[226:227], v[220:221] op_sel:[0,0,1] op_sel_hi:[1,1,0] neg_lo:[0,0,1] neg_hi:[0,0,1]
	v_mov_b32_e32 v209, v217
	v_pk_add_f32 v[140:141], v[140:141], v[206:207] neg_lo:[0,1] neg_hi:[0,1]
	v_pk_add_f32 v[154:155], v[154:155], v[214:215] neg_lo:[0,1] neg_hi:[0,1]
	;; [unrolled: 1-line block ×5, first 2 shown]
.LBB77_217:
	s_or_b32 exec_lo, exec_lo, s1
	s_delay_alu instid0(SALU_CYCLE_1)
	s_mov_b32 s2, exec_lo
	s_wait_dscnt 0x0
	s_barrier_signal -1
	s_barrier_wait -1
	v_cmpx_eq_u32_e32 24, v236
	s_cbranch_execz .LBB77_224
; %bb.218:
	ds_store_b64 v237, v[150:151]
	ds_store_2addr_b64 v238, v[146:147], v[148:149] offset0:25 offset1:26
	ds_store_2addr_b64 v238, v[94:95], v[120:121] offset0:27 offset1:28
	;; [unrolled: 1-line block ×7, first 2 shown]
	ds_load_b64 v[206:207], v237
	s_wait_dscnt 0x0
	v_cmp_neq_f32_e32 vcc_lo, 0, v206
	v_cmp_neq_f32_e64 s1, 0, v207
	s_or_b32 s1, vcc_lo, s1
	s_delay_alu instid0(SALU_CYCLE_1)
	s_and_b32 exec_lo, exec_lo, s1
	s_cbranch_execz .LBB77_224
; %bb.219:
	v_cmp_ngt_f32_e64 s1, |v206|, |v207|
                                        ; implicit-def: $vgpr208_vgpr209
	s_and_saveexec_b32 s4, s1
	s_delay_alu instid0(SALU_CYCLE_1)
	s_xor_b32 s1, exec_lo, s4
	s_cbranch_execz .LBB77_221
; %bb.220:
	v_div_scale_f32 v0, null, v207, v207, v206
	v_div_scale_f32 v209, vcc_lo, v206, v207, v206
	s_delay_alu instid0(VALU_DEP_2) | instskip(SKIP_1) | instid1(TRANS32_DEP_1)
	v_rcp_f32_e32 v1, v0
	v_nop
	v_fma_f32 v208, -v0, v1, 1.0
	s_delay_alu instid0(VALU_DEP_1) | instskip(NEXT) | instid1(VALU_DEP_1)
	v_fmac_f32_e32 v1, v208, v1
	v_mul_f32_e32 v208, v209, v1
	s_delay_alu instid0(VALU_DEP_1) | instskip(NEXT) | instid1(VALU_DEP_1)
	v_fma_f32 v210, -v0, v208, v209
	v_fmac_f32_e32 v208, v210, v1
	s_delay_alu instid0(VALU_DEP_1) | instskip(NEXT) | instid1(VALU_DEP_1)
	v_fma_f32 v0, -v0, v208, v209
	v_div_fmas_f32 v0, v0, v1, v208
	s_delay_alu instid0(VALU_DEP_1) | instskip(NEXT) | instid1(VALU_DEP_1)
	v_div_fixup_f32 v0, v0, v207, v206
	v_fmac_f32_e32 v207, v206, v0
	s_delay_alu instid0(VALU_DEP_1) | instskip(SKIP_1) | instid1(VALU_DEP_2)
	v_div_scale_f32 v1, null, v207, v207, 1.0
	v_div_scale_f32 v209, vcc_lo, 1.0, v207, 1.0
	v_rcp_f32_e32 v206, v1
	v_nop
	s_delay_alu instid0(TRANS32_DEP_1) | instskip(NEXT) | instid1(VALU_DEP_1)
	v_fma_f32 v208, -v1, v206, 1.0
	v_fmac_f32_e32 v206, v208, v206
	s_delay_alu instid0(VALU_DEP_1) | instskip(NEXT) | instid1(VALU_DEP_1)
	v_mul_f32_e32 v208, v209, v206
	v_fma_f32 v210, -v1, v208, v209
	s_delay_alu instid0(VALU_DEP_1) | instskip(NEXT) | instid1(VALU_DEP_1)
	v_fmac_f32_e32 v208, v210, v206
	v_fma_f32 v1, -v1, v208, v209
	s_delay_alu instid0(VALU_DEP_1) | instskip(NEXT) | instid1(VALU_DEP_1)
	v_div_fmas_f32 v1, v1, v206, v208
	v_div_fixup_f32 v1, v1, v207, 1.0
                                        ; implicit-def: $vgpr206_vgpr207
	s_delay_alu instid0(VALU_DEP_1)
	v_mul_f32_e32 v208, v0, v1
	v_xor_b32_e32 v209, 0x80000000, v1
.LBB77_221:
	s_and_not1_saveexec_b32 s1, s1
	s_cbranch_execz .LBB77_223
; %bb.222:
	v_div_scale_f32 v0, null, v206, v206, v207
	v_div_scale_f32 v209, vcc_lo, v207, v206, v207
	s_delay_alu instid0(VALU_DEP_2) | instskip(SKIP_1) | instid1(TRANS32_DEP_1)
	v_rcp_f32_e32 v1, v0
	v_nop
	v_fma_f32 v208, -v0, v1, 1.0
	s_delay_alu instid0(VALU_DEP_1) | instskip(NEXT) | instid1(VALU_DEP_1)
	v_fmac_f32_e32 v1, v208, v1
	v_mul_f32_e32 v208, v209, v1
	s_delay_alu instid0(VALU_DEP_1) | instskip(NEXT) | instid1(VALU_DEP_1)
	v_fma_f32 v210, -v0, v208, v209
	v_fmac_f32_e32 v208, v210, v1
	s_delay_alu instid0(VALU_DEP_1) | instskip(NEXT) | instid1(VALU_DEP_1)
	v_fma_f32 v0, -v0, v208, v209
	v_div_fmas_f32 v0, v0, v1, v208
	s_delay_alu instid0(VALU_DEP_1) | instskip(NEXT) | instid1(VALU_DEP_1)
	v_div_fixup_f32 v0, v0, v206, v207
	v_fmac_f32_e32 v206, v207, v0
	s_delay_alu instid0(VALU_DEP_1) | instskip(NEXT) | instid1(VALU_DEP_1)
	v_div_scale_f32 v1, null, v206, v206, 1.0
	v_rcp_f32_e32 v207, v1
	v_nop
	s_delay_alu instid0(TRANS32_DEP_1) | instskip(NEXT) | instid1(VALU_DEP_1)
	v_fma_f32 v208, -v1, v207, 1.0
	v_fmac_f32_e32 v207, v208, v207
	v_div_scale_f32 v208, vcc_lo, 1.0, v206, 1.0
	s_delay_alu instid0(VALU_DEP_1) | instskip(NEXT) | instid1(VALU_DEP_1)
	v_mul_f32_e32 v209, v208, v207
	v_fma_f32 v210, -v1, v209, v208
	s_delay_alu instid0(VALU_DEP_1) | instskip(NEXT) | instid1(VALU_DEP_1)
	v_fmac_f32_e32 v209, v210, v207
	v_fma_f32 v1, -v1, v209, v208
	s_delay_alu instid0(VALU_DEP_1) | instskip(NEXT) | instid1(VALU_DEP_1)
	v_div_fmas_f32 v1, v1, v207, v209
	v_div_fixup_f32 v208, v1, v206, 1.0
	s_delay_alu instid0(VALU_DEP_1)
	v_mul_f32_e64 v209, v0, -v208
.LBB77_223:
	s_or_b32 exec_lo, exec_lo, s1
	ds_store_b64 v237, v[208:209]
.LBB77_224:
	s_or_b32 exec_lo, exec_lo, s2
	s_wait_dscnt 0x0
	s_barrier_signal -1
	s_barrier_wait -1
	ds_load_b64 v[206:207], v237
	s_mov_b32 s1, exec_lo
	v_cmpx_lt_u32_e32 24, v236
	s_cbranch_execz .LBB77_226
; %bb.225:
	ds_load_2addr_b64 v[208:211], v238 offset0:25 offset1:26
	ds_load_2addr_b64 v[212:215], v238 offset0:27 offset1:28
	;; [unrolled: 1-line block ×3, first 2 shown]
	s_wait_dscnt 0x3
	v_pk_mul_f32 v[220:221], v[206:207], v[150:151] op_sel:[1,1] op_sel_hi:[0,1]
	s_delay_alu instid0(VALU_DEP_1)
	v_pk_fma_f32 v[230:231], v[206:207], v[150:151], v[220:221] op_sel_hi:[1,0,1]
	v_pk_fma_f32 v[228:229], v[206:207], v[150:151], v[220:221] op_sel_hi:[1,0,1] neg_lo:[0,0,1] neg_hi:[0,0,1]
	ds_load_2addr_b64 v[220:223], v238 offset0:31 offset1:32
	ds_load_2addr_b64 v[224:227], v238 offset0:33 offset1:34
	v_dual_mov_b32 v151, v231 :: v_dual_mov_b32 v150, v228
	s_wait_dscnt 0x4
	v_pk_mul_f32 v[232:233], v[208:209], v[230:231] op_sel:[0,1]
	v_pk_mul_f32 v[234:235], v[210:211], v[230:231] op_sel:[0,1]
	s_wait_dscnt 0x3
	v_pk_mul_f32 v[240:241], v[212:213], v[230:231] op_sel:[0,1]
	v_dual_mov_b32 v242, v215 :: v_dual_mov_b32 v243, v214
	v_dual_mul_f32 v244, v215, v231 :: v_dual_mul_f32 v246, v215, v228
	s_wait_dscnt 0x2
	v_pk_mul_f32 v[248:249], v[216:217], v[230:231] op_sel:[0,1]
	v_pk_mul_f32 v[250:251], v[218:219], v[230:231] op_sel:[0,1]
	v_pk_fma_f32 v[252:253], v[208:209], v[228:229], v[232:233] op_sel:[0,0,1] op_sel_hi:[1,1,0] neg_lo:[0,0,1] neg_hi:[0,0,1]
	v_pk_fma_f32 v[208:209], v[208:209], v[228:229], v[232:233] op_sel:[0,0,1] op_sel_hi:[1,0,0]
	v_pk_fma_f32 v[232:233], v[210:211], v[228:229], v[234:235] op_sel:[0,0,1] op_sel_hi:[1,1,0] neg_lo:[0,0,1] neg_hi:[0,0,1]
	v_pk_fma_f32 v[210:211], v[210:211], v[228:229], v[234:235] op_sel:[0,0,1] op_sel_hi:[1,0,0]
	;; [unrolled: 2-line block ×3, first 2 shown]
	v_pk_fma_f32 v[240:241], v[242:243], v[150:151], v[246:247] op_sel_hi:[1,1,0]
	v_pk_fma_f32 v[242:243], v[216:217], v[228:229], v[248:249] op_sel:[0,0,1] op_sel_hi:[1,0,0]
	v_dual_mov_b32 v253, v209 :: v_dual_mov_b32 v233, v211
	v_pk_fma_f32 v[208:209], v[218:219], v[228:229], v[250:251] op_sel:[0,0,1] op_sel_hi:[1,0,0]
	v_mov_b32_e32 v235, v213
	v_pk_fma_f32 v[212:213], v[216:217], v[228:229], v[248:249] op_sel:[0,0,1] op_sel_hi:[1,1,0] neg_lo:[0,0,1] neg_hi:[0,0,1]
	v_pk_fma_f32 v[216:217], v[218:219], v[228:229], v[250:251] op_sel:[0,0,1] op_sel_hi:[1,1,0] neg_lo:[0,0,1] neg_hi:[0,0,1]
	s_delay_alu instid0(VALU_DEP_4)
	v_dual_mov_b32 v213, v243 :: v_dual_mov_b32 v217, v209
	ds_load_2addr_b64 v[208:211], v238 offset0:35 offset1:36
	v_pk_fma_f32 v[214:215], v[214:215], v[150:151], v[244:245] op_sel_hi:[1,1,0] neg_lo:[0,0,1] neg_hi:[0,0,1]
	s_wait_dscnt 0x2
	v_pk_mul_f32 v[218:219], v[220:221], v[230:231] op_sel:[0,1]
	v_mov_b32_e32 v215, v241
	v_pk_add_f32 v[148:149], v[148:149], v[232:233] neg_lo:[0,1] neg_hi:[0,1]
	v_pk_add_f32 v[118:119], v[118:119], v[216:217] neg_lo:[0,1] neg_hi:[0,1]
	v_pk_mul_f32 v[232:233], v[222:223], v[230:231] op_sel:[0,1]
	v_pk_fma_f32 v[216:217], v[220:221], v[228:229], v[218:219] op_sel:[0,0,1] op_sel_hi:[1,0,0]
	v_pk_add_f32 v[120:121], v[120:121], v[214:215] neg_lo:[0,1] neg_hi:[0,1]
	v_pk_add_f32 v[116:117], v[116:117], v[212:213] neg_lo:[0,1] neg_hi:[0,1]
	ds_load_2addr_b64 v[212:215], v238 offset0:37 offset1:38
	v_pk_fma_f32 v[218:219], v[220:221], v[228:229], v[218:219] op_sel:[0,0,1] op_sel_hi:[1,1,0] neg_lo:[0,0,1] neg_hi:[0,0,1]
	s_wait_dscnt 0x2
	v_mul_f32_e32 v216, v225, v228
	v_pk_fma_f32 v[220:221], v[222:223], v[228:229], v[232:233] op_sel:[0,0,1] op_sel_hi:[1,0,0]
	v_mov_b32_e32 v219, v217
	v_mul_f32_e32 v220, v225, v231
	v_pk_fma_f32 v[222:223], v[222:223], v[228:229], v[232:233] op_sel:[0,0,1] op_sel_hi:[1,1,0] neg_lo:[0,0,1] neg_hi:[0,0,1]
	v_pk_fma_f32 v[216:217], v[224:225], v[150:151], v[216:217] op_sel:[1,0,0] op_sel_hi:[0,1,0]
	v_mov_b32_e32 v223, v221
	v_pk_add_f32 v[114:115], v[114:115], v[218:219] neg_lo:[0,1] neg_hi:[0,1]
	s_wait_dscnt 0x1
	v_pk_mul_f32 v[218:219], v[208:209], v[230:231] op_sel:[0,1]
	v_pk_mul_f32 v[232:233], v[226:227], v[230:231] op_sel:[0,1]
	v_pk_fma_f32 v[220:221], v[224:225], v[150:151], v[220:221] op_sel_hi:[1,1,0] neg_lo:[0,0,1] neg_hi:[0,0,1]
	v_pk_add_f32 v[142:143], v[142:143], v[222:223] neg_lo:[0,1] neg_hi:[0,1]
	v_pk_add_f32 v[146:147], v[146:147], v[252:253] neg_lo:[0,1] neg_hi:[0,1]
	v_pk_fma_f32 v[222:223], v[208:209], v[228:229], v[218:219] op_sel:[0,0,1] op_sel_hi:[1,0,0]
	v_mov_b32_e32 v221, v217
	v_pk_fma_f32 v[216:217], v[226:227], v[228:229], v[232:233] op_sel:[0,0,1] op_sel_hi:[1,0,0]
	v_pk_fma_f32 v[208:209], v[208:209], v[228:229], v[218:219] op_sel:[0,0,1] op_sel_hi:[1,1,0] neg_lo:[0,0,1] neg_hi:[0,0,1]
	v_pk_add_f32 v[94:95], v[94:95], v[234:235] neg_lo:[0,1] neg_hi:[0,1]
	v_mov_b32_e32 v209, v223
	v_pk_add_f32 v[138:139], v[138:139], v[220:221] neg_lo:[0,1] neg_hi:[0,1]
	v_pk_fma_f32 v[220:221], v[226:227], v[228:229], v[232:233] op_sel:[0,0,1] op_sel_hi:[1,1,0] neg_lo:[0,0,1] neg_hi:[0,0,1]
	v_mov_b32_e32 v221, v217
	v_pk_mul_f32 v[216:217], v[210:211], v[230:231] op_sel:[0,1]
	s_wait_dscnt 0x0
	v_pk_mul_f32 v[224:225], v[212:213], v[230:231] op_sel:[0,1]
	v_pk_mul_f32 v[218:219], v[214:215], v[230:231] op_sel:[0,1]
	v_pk_add_f32 v[154:155], v[154:155], v[208:209] neg_lo:[0,1] neg_hi:[0,1]
	v_pk_fma_f32 v[226:227], v[210:211], v[228:229], v[216:217] op_sel:[0,0,1] op_sel_hi:[1,0,0]
	s_delay_alu instid0(VALU_DEP_4)
	v_pk_fma_f32 v[222:223], v[212:213], v[228:229], v[224:225] op_sel:[0,0,1] op_sel_hi:[1,0,0]
	v_pk_fma_f32 v[210:211], v[210:211], v[228:229], v[216:217] op_sel:[0,0,1] op_sel_hi:[1,1,0] neg_lo:[0,0,1] neg_hi:[0,0,1]
	v_pk_fma_f32 v[216:217], v[214:215], v[228:229], v[218:219] op_sel:[0,0,1] op_sel_hi:[1,0,0]
	v_pk_fma_f32 v[212:213], v[212:213], v[228:229], v[224:225] op_sel:[0,0,1] op_sel_hi:[1,1,0] neg_lo:[0,0,1] neg_hi:[0,0,1]
	v_pk_fma_f32 v[214:215], v[214:215], v[228:229], v[218:219] op_sel:[0,0,1] op_sel_hi:[1,1,0] neg_lo:[0,0,1] neg_hi:[0,0,1]
	v_dual_mov_b32 v211, v227 :: v_dual_mov_b32 v213, v223
	s_delay_alu instid0(VALU_DEP_4) | instskip(SKIP_1) | instid1(VALU_DEP_3)
	v_mov_b32_e32 v215, v217
	v_pk_add_f32 v[140:141], v[140:141], v[220:221] neg_lo:[0,1] neg_hi:[0,1]
	v_pk_add_f32 v[152:153], v[152:153], v[210:211] neg_lo:[0,1] neg_hi:[0,1]
	s_delay_alu instid0(VALU_DEP_4) | instskip(NEXT) | instid1(VALU_DEP_4)
	v_pk_add_f32 v[144:145], v[144:145], v[212:213] neg_lo:[0,1] neg_hi:[0,1]
	v_pk_add_f32 v[156:157], v[156:157], v[214:215] neg_lo:[0,1] neg_hi:[0,1]
.LBB77_226:
	s_or_b32 exec_lo, exec_lo, s1
	s_delay_alu instid0(SALU_CYCLE_1)
	s_mov_b32 s2, exec_lo
	s_wait_dscnt 0x0
	s_barrier_signal -1
	s_barrier_wait -1
	v_cmpx_eq_u32_e32 25, v236
	s_cbranch_execz .LBB77_233
; %bb.227:
	v_dual_mov_b32 v208, v148 :: v_dual_mov_b32 v209, v149
	v_dual_mov_b32 v210, v94 :: v_dual_mov_b32 v211, v95
	;; [unrolled: 1-line block ×10, first 2 shown]
	ds_store_b64 v237, v[146:147]
	v_dual_mov_b32 v228, v152 :: v_dual_mov_b32 v229, v153
	v_dual_mov_b32 v230, v144 :: v_dual_mov_b32 v231, v145
	ds_store_2addr_b64 v238, v[208:209], v[210:211] offset0:26 offset1:27
	ds_store_2addr_b64 v238, v[212:213], v[214:215] offset0:28 offset1:29
	;; [unrolled: 1-line block ×6, first 2 shown]
	ds_store_b64 v238, v[156:157] offset:304
	ds_load_b64 v[208:209], v237
	s_wait_dscnt 0x0
	v_cmp_neq_f32_e32 vcc_lo, 0, v208
	v_cmp_neq_f32_e64 s1, 0, v209
	s_or_b32 s1, vcc_lo, s1
	s_delay_alu instid0(SALU_CYCLE_1)
	s_and_b32 exec_lo, exec_lo, s1
	s_cbranch_execz .LBB77_233
; %bb.228:
	v_cmp_ngt_f32_e64 s1, |v208|, |v209|
                                        ; implicit-def: $vgpr210_vgpr211
	s_and_saveexec_b32 s4, s1
	s_delay_alu instid0(SALU_CYCLE_1)
	s_xor_b32 s1, exec_lo, s4
	s_cbranch_execz .LBB77_230
; %bb.229:
	v_div_scale_f32 v0, null, v209, v209, v208
	v_div_scale_f32 v211, vcc_lo, v208, v209, v208
	s_delay_alu instid0(VALU_DEP_2) | instskip(SKIP_1) | instid1(TRANS32_DEP_1)
	v_rcp_f32_e32 v1, v0
	v_nop
	v_fma_f32 v210, -v0, v1, 1.0
	s_delay_alu instid0(VALU_DEP_1) | instskip(NEXT) | instid1(VALU_DEP_1)
	v_fmac_f32_e32 v1, v210, v1
	v_mul_f32_e32 v210, v211, v1
	s_delay_alu instid0(VALU_DEP_1) | instskip(NEXT) | instid1(VALU_DEP_1)
	v_fma_f32 v212, -v0, v210, v211
	v_fmac_f32_e32 v210, v212, v1
	s_delay_alu instid0(VALU_DEP_1) | instskip(NEXT) | instid1(VALU_DEP_1)
	v_fma_f32 v0, -v0, v210, v211
	v_div_fmas_f32 v0, v0, v1, v210
	s_delay_alu instid0(VALU_DEP_1) | instskip(NEXT) | instid1(VALU_DEP_1)
	v_div_fixup_f32 v0, v0, v209, v208
	v_fmac_f32_e32 v209, v208, v0
	s_delay_alu instid0(VALU_DEP_1) | instskip(SKIP_1) | instid1(VALU_DEP_2)
	v_div_scale_f32 v1, null, v209, v209, 1.0
	v_div_scale_f32 v211, vcc_lo, 1.0, v209, 1.0
	v_rcp_f32_e32 v208, v1
	v_nop
	s_delay_alu instid0(TRANS32_DEP_1) | instskip(NEXT) | instid1(VALU_DEP_1)
	v_fma_f32 v210, -v1, v208, 1.0
	v_fmac_f32_e32 v208, v210, v208
	s_delay_alu instid0(VALU_DEP_1) | instskip(NEXT) | instid1(VALU_DEP_1)
	v_mul_f32_e32 v210, v211, v208
	v_fma_f32 v212, -v1, v210, v211
	s_delay_alu instid0(VALU_DEP_1) | instskip(NEXT) | instid1(VALU_DEP_1)
	v_fmac_f32_e32 v210, v212, v208
	v_fma_f32 v1, -v1, v210, v211
	s_delay_alu instid0(VALU_DEP_1) | instskip(NEXT) | instid1(VALU_DEP_1)
	v_div_fmas_f32 v1, v1, v208, v210
	v_div_fixup_f32 v1, v1, v209, 1.0
                                        ; implicit-def: $vgpr208_vgpr209
	s_delay_alu instid0(VALU_DEP_1)
	v_mul_f32_e32 v210, v0, v1
	v_xor_b32_e32 v211, 0x80000000, v1
.LBB77_230:
	s_and_not1_saveexec_b32 s1, s1
	s_cbranch_execz .LBB77_232
; %bb.231:
	v_div_scale_f32 v0, null, v208, v208, v209
	v_div_scale_f32 v211, vcc_lo, v209, v208, v209
	s_delay_alu instid0(VALU_DEP_2) | instskip(SKIP_1) | instid1(TRANS32_DEP_1)
	v_rcp_f32_e32 v1, v0
	v_nop
	v_fma_f32 v210, -v0, v1, 1.0
	s_delay_alu instid0(VALU_DEP_1) | instskip(NEXT) | instid1(VALU_DEP_1)
	v_fmac_f32_e32 v1, v210, v1
	v_mul_f32_e32 v210, v211, v1
	s_delay_alu instid0(VALU_DEP_1) | instskip(NEXT) | instid1(VALU_DEP_1)
	v_fma_f32 v212, -v0, v210, v211
	v_fmac_f32_e32 v210, v212, v1
	s_delay_alu instid0(VALU_DEP_1) | instskip(NEXT) | instid1(VALU_DEP_1)
	v_fma_f32 v0, -v0, v210, v211
	v_div_fmas_f32 v0, v0, v1, v210
	s_delay_alu instid0(VALU_DEP_1) | instskip(NEXT) | instid1(VALU_DEP_1)
	v_div_fixup_f32 v0, v0, v208, v209
	v_fmac_f32_e32 v208, v209, v0
	s_delay_alu instid0(VALU_DEP_1) | instskip(NEXT) | instid1(VALU_DEP_1)
	v_div_scale_f32 v1, null, v208, v208, 1.0
	v_rcp_f32_e32 v209, v1
	v_nop
	s_delay_alu instid0(TRANS32_DEP_1) | instskip(NEXT) | instid1(VALU_DEP_1)
	v_fma_f32 v210, -v1, v209, 1.0
	v_fmac_f32_e32 v209, v210, v209
	v_div_scale_f32 v210, vcc_lo, 1.0, v208, 1.0
	s_delay_alu instid0(VALU_DEP_1) | instskip(NEXT) | instid1(VALU_DEP_1)
	v_mul_f32_e32 v211, v210, v209
	v_fma_f32 v212, -v1, v211, v210
	s_delay_alu instid0(VALU_DEP_1) | instskip(NEXT) | instid1(VALU_DEP_1)
	v_fmac_f32_e32 v211, v212, v209
	v_fma_f32 v1, -v1, v211, v210
	s_delay_alu instid0(VALU_DEP_1) | instskip(NEXT) | instid1(VALU_DEP_1)
	v_div_fmas_f32 v1, v1, v209, v211
	v_div_fixup_f32 v210, v1, v208, 1.0
	s_delay_alu instid0(VALU_DEP_1)
	v_mul_f32_e64 v211, v0, -v210
.LBB77_232:
	s_or_b32 exec_lo, exec_lo, s1
	ds_store_b64 v237, v[210:211]
.LBB77_233:
	s_or_b32 exec_lo, exec_lo, s2
	s_wait_dscnt 0x0
	s_barrier_signal -1
	s_barrier_wait -1
	ds_load_b64 v[208:209], v237
	s_mov_b32 s1, exec_lo
	v_cmpx_lt_u32_e32 25, v236
	s_cbranch_execz .LBB77_235
; %bb.234:
	ds_load_2addr_b64 v[210:213], v238 offset0:26 offset1:27
	ds_load_2addr_b64 v[214:217], v238 offset0:28 offset1:29
	;; [unrolled: 1-line block ×3, first 2 shown]
	s_wait_dscnt 0x3
	v_pk_mul_f32 v[222:223], v[208:209], v[146:147] op_sel:[1,1] op_sel_hi:[0,1]
	s_delay_alu instid0(VALU_DEP_1)
	v_pk_fma_f32 v[230:231], v[208:209], v[146:147], v[222:223] op_sel_hi:[1,0,1] neg_lo:[0,0,1] neg_hi:[0,0,1]
	v_pk_fma_f32 v[232:233], v[208:209], v[146:147], v[222:223] op_sel_hi:[1,0,1]
	ds_load_2addr_b64 v[222:225], v238 offset0:32 offset1:33
	ds_load_2addr_b64 v[226:229], v238 offset0:34 offset1:35
	v_dual_mov_b32 v146, v230 :: v_dual_mov_b32 v147, v233
	s_wait_dscnt 0x4
	v_pk_mul_f32 v[234:235], v[210:211], v[232:233] op_sel:[0,1]
	v_pk_mul_f32 v[240:241], v[212:213], v[232:233] op_sel:[0,1]
	s_wait_dscnt 0x3
	v_pk_mul_f32 v[242:243], v[214:215], v[232:233] op_sel:[0,1]
	v_dual_mov_b32 v244, v217 :: v_dual_mov_b32 v245, v216
	v_dual_mul_f32 v246, v217, v233 :: v_dual_mul_f32 v248, v217, v230
	s_wait_dscnt 0x2
	v_pk_mul_f32 v[250:251], v[218:219], v[232:233] op_sel:[0,1]
	v_pk_fma_f32 v[254:255], v[210:211], v[230:231], v[234:235] op_sel:[0,0,1] op_sel_hi:[1,1,0] neg_lo:[0,0,1] neg_hi:[0,0,1]
	v_pk_fma_f32 v[210:211], v[210:211], v[230:231], v[234:235] op_sel:[0,0,1] op_sel_hi:[1,0,0]
	v_pk_fma_f32 v[234:235], v[212:213], v[230:231], v[240:241] op_sel:[0,0,1] op_sel_hi:[1,1,0] neg_lo:[0,0,1] neg_hi:[0,0,1]
	v_pk_fma_f32 v[212:213], v[212:213], v[230:231], v[240:241] op_sel:[0,0,1] op_sel_hi:[1,0,0]
	;; [unrolled: 2-line block ×3, first 2 shown]
	v_pk_fma_f32 v[242:243], v[244:245], v[146:147], v[248:249] op_sel_hi:[1,1,0]
	v_pk_fma_f32 v[216:217], v[216:217], v[146:147], v[246:247] op_sel_hi:[1,1,0] neg_lo:[0,0,1] neg_hi:[0,0,1]
	v_pk_mul_f32 v[252:253], v[220:221], v[232:233] op_sel:[0,1]
	v_dual_mov_b32 v255, v211 :: v_dual_mov_b32 v235, v213
	s_delay_alu instid0(VALU_DEP_4)
	v_dual_mov_b32 v241, v215 :: v_dual_mov_b32 v217, v243
	v_pk_fma_f32 v[210:211], v[218:219], v[230:231], v[250:251] op_sel:[0,0,1] op_sel_hi:[1,0,0]
	v_pk_fma_f32 v[214:215], v[218:219], v[230:231], v[250:251] op_sel:[0,0,1] op_sel_hi:[1,1,0] neg_lo:[0,0,1] neg_hi:[0,0,1]
	v_pk_fma_f32 v[218:219], v[220:221], v[230:231], v[252:253] op_sel:[0,0,1] op_sel_hi:[1,1,0] neg_lo:[0,0,1] neg_hi:[0,0,1]
	v_pk_add_f32 v[94:95], v[94:95], v[234:235] neg_lo:[0,1] neg_hi:[0,1]
	v_pk_add_f32 v[116:117], v[116:117], v[216:217] neg_lo:[0,1] neg_hi:[0,1]
	v_pk_fma_f32 v[216:217], v[220:221], v[230:231], v[252:253] op_sel:[0,0,1] op_sel_hi:[1,0,0]
	v_mov_b32_e32 v215, v211
	s_wait_dscnt 0x1
	v_pk_mul_f32 v[220:221], v[222:223], v[232:233] op_sel:[0,1]
	ds_load_2addr_b64 v[210:213], v238 offset0:36 offset1:37
	v_pk_add_f32 v[148:149], v[148:149], v[254:255] neg_lo:[0,1] neg_hi:[0,1]
	v_mov_b32_e32 v219, v217
	v_pk_add_f32 v[118:119], v[118:119], v[214:215] neg_lo:[0,1] neg_hi:[0,1]
	ds_load_b64 v[214:215], v238 offset:304
	v_pk_mul_f32 v[216:217], v[224:225], v[232:233] op_sel:[0,1]
	v_pk_fma_f32 v[234:235], v[222:223], v[230:231], v[220:221] op_sel:[0,0,1] op_sel_hi:[1,0,0]
	v_pk_add_f32 v[114:115], v[114:115], v[218:219] neg_lo:[0,1] neg_hi:[0,1]
	v_pk_fma_f32 v[220:221], v[222:223], v[230:231], v[220:221] op_sel:[0,0,1] op_sel_hi:[1,1,0] neg_lo:[0,0,1] neg_hi:[0,0,1]
	s_wait_dscnt 0x2
	v_mul_f32_e32 v222, v227, v233
	v_pk_fma_f32 v[218:219], v[224:225], v[230:231], v[216:217] op_sel:[0,0,1] op_sel_hi:[1,0,0]
	v_mul_f32_e32 v218, v227, v230
	v_mov_b32_e32 v221, v235
	v_pk_fma_f32 v[216:217], v[224:225], v[230:231], v[216:217] op_sel:[0,0,1] op_sel_hi:[1,1,0] neg_lo:[0,0,1] neg_hi:[0,0,1]
	v_pk_add_f32 v[120:121], v[120:121], v[240:241] neg_lo:[0,1] neg_hi:[0,1]
	v_mov_b32_e32 v217, v219
	v_pk_fma_f32 v[218:219], v[226:227], v[146:147], v[218:219] op_sel:[1,0,0] op_sel_hi:[0,1,0]
	v_pk_add_f32 v[142:143], v[142:143], v[220:221] neg_lo:[0,1] neg_hi:[0,1]
	v_pk_mul_f32 v[220:221], v[228:229], v[232:233] op_sel:[0,1]
	s_delay_alu instid0(VALU_DEP_4)
	v_pk_add_f32 v[138:139], v[138:139], v[216:217] neg_lo:[0,1] neg_hi:[0,1]
	v_pk_fma_f32 v[216:217], v[226:227], v[146:147], v[222:223] op_sel_hi:[1,1,0] neg_lo:[0,0,1] neg_hi:[0,0,1]
	s_wait_dscnt 0x1
	v_pk_mul_f32 v[224:225], v[212:213], v[232:233] op_sel:[0,1]
	v_pk_fma_f32 v[222:223], v[228:229], v[230:231], v[220:221] op_sel:[0,0,1] op_sel_hi:[1,0,0]
	v_mov_b32_e32 v217, v219
	v_pk_mul_f32 v[218:219], v[210:211], v[232:233] op_sel:[0,1]
	s_wait_dscnt 0x0
	v_pk_mul_f32 v[226:227], v[214:215], v[232:233] op_sel:[0,1]
	v_pk_fma_f32 v[220:221], v[228:229], v[230:231], v[220:221] op_sel:[0,0,1] op_sel_hi:[1,1,0] neg_lo:[0,0,1] neg_hi:[0,0,1]
	v_mov_b32_e32 v221, v223
	v_pk_fma_f32 v[222:223], v[212:213], v[230:231], v[224:225] op_sel:[0,0,1] op_sel_hi:[1,0,0]
	v_pk_fma_f32 v[228:229], v[210:211], v[230:231], v[218:219] op_sel:[0,0,1] op_sel_hi:[1,0,0]
	v_pk_fma_f32 v[210:211], v[210:211], v[230:231], v[218:219] op_sel:[0,0,1] op_sel_hi:[1,1,0] neg_lo:[0,0,1] neg_hi:[0,0,1]
	v_pk_fma_f32 v[218:219], v[214:215], v[230:231], v[226:227] op_sel:[0,0,1] op_sel_hi:[1,0,0]
	v_pk_fma_f32 v[212:213], v[212:213], v[230:231], v[224:225] op_sel:[0,0,1] op_sel_hi:[1,1,0] neg_lo:[0,0,1] neg_hi:[0,0,1]
	v_pk_fma_f32 v[214:215], v[214:215], v[230:231], v[226:227] op_sel:[0,0,1] op_sel_hi:[1,1,0] neg_lo:[0,0,1] neg_hi:[0,0,1]
	v_dual_mov_b32 v211, v229 :: v_dual_mov_b32 v213, v223
	s_delay_alu instid0(VALU_DEP_4) | instskip(SKIP_2) | instid1(VALU_DEP_4)
	v_mov_b32_e32 v215, v219
	v_pk_add_f32 v[140:141], v[140:141], v[216:217] neg_lo:[0,1] neg_hi:[0,1]
	v_pk_add_f32 v[154:155], v[154:155], v[220:221] neg_lo:[0,1] neg_hi:[0,1]
	;; [unrolled: 1-line block ×5, first 2 shown]
.LBB77_235:
	s_or_b32 exec_lo, exec_lo, s1
	s_delay_alu instid0(SALU_CYCLE_1)
	s_mov_b32 s2, exec_lo
	s_wait_dscnt 0x0
	s_barrier_signal -1
	s_barrier_wait -1
	v_cmpx_eq_u32_e32 26, v236
	s_cbranch_execz .LBB77_242
; %bb.236:
	ds_store_b64 v237, v[148:149]
	ds_store_2addr_b64 v238, v[94:95], v[120:121] offset0:27 offset1:28
	ds_store_2addr_b64 v238, v[116:117], v[118:119] offset0:29 offset1:30
	;; [unrolled: 1-line block ×6, first 2 shown]
	ds_load_b64 v[210:211], v237
	s_wait_dscnt 0x0
	v_cmp_neq_f32_e32 vcc_lo, 0, v210
	v_cmp_neq_f32_e64 s1, 0, v211
	s_or_b32 s1, vcc_lo, s1
	s_delay_alu instid0(SALU_CYCLE_1)
	s_and_b32 exec_lo, exec_lo, s1
	s_cbranch_execz .LBB77_242
; %bb.237:
	v_cmp_ngt_f32_e64 s1, |v210|, |v211|
                                        ; implicit-def: $vgpr212_vgpr213
	s_and_saveexec_b32 s4, s1
	s_delay_alu instid0(SALU_CYCLE_1)
	s_xor_b32 s1, exec_lo, s4
	s_cbranch_execz .LBB77_239
; %bb.238:
	v_div_scale_f32 v0, null, v211, v211, v210
	v_div_scale_f32 v213, vcc_lo, v210, v211, v210
	s_delay_alu instid0(VALU_DEP_2) | instskip(SKIP_1) | instid1(TRANS32_DEP_1)
	v_rcp_f32_e32 v1, v0
	v_nop
	v_fma_f32 v212, -v0, v1, 1.0
	s_delay_alu instid0(VALU_DEP_1) | instskip(NEXT) | instid1(VALU_DEP_1)
	v_fmac_f32_e32 v1, v212, v1
	v_mul_f32_e32 v212, v213, v1
	s_delay_alu instid0(VALU_DEP_1) | instskip(NEXT) | instid1(VALU_DEP_1)
	v_fma_f32 v214, -v0, v212, v213
	v_fmac_f32_e32 v212, v214, v1
	s_delay_alu instid0(VALU_DEP_1) | instskip(NEXT) | instid1(VALU_DEP_1)
	v_fma_f32 v0, -v0, v212, v213
	v_div_fmas_f32 v0, v0, v1, v212
	s_delay_alu instid0(VALU_DEP_1) | instskip(NEXT) | instid1(VALU_DEP_1)
	v_div_fixup_f32 v0, v0, v211, v210
	v_fmac_f32_e32 v211, v210, v0
	s_delay_alu instid0(VALU_DEP_1) | instskip(SKIP_1) | instid1(VALU_DEP_2)
	v_div_scale_f32 v1, null, v211, v211, 1.0
	v_div_scale_f32 v213, vcc_lo, 1.0, v211, 1.0
	v_rcp_f32_e32 v210, v1
	v_nop
	s_delay_alu instid0(TRANS32_DEP_1) | instskip(NEXT) | instid1(VALU_DEP_1)
	v_fma_f32 v212, -v1, v210, 1.0
	v_fmac_f32_e32 v210, v212, v210
	s_delay_alu instid0(VALU_DEP_1) | instskip(NEXT) | instid1(VALU_DEP_1)
	v_mul_f32_e32 v212, v213, v210
	v_fma_f32 v214, -v1, v212, v213
	s_delay_alu instid0(VALU_DEP_1) | instskip(NEXT) | instid1(VALU_DEP_1)
	v_fmac_f32_e32 v212, v214, v210
	v_fma_f32 v1, -v1, v212, v213
	s_delay_alu instid0(VALU_DEP_1) | instskip(NEXT) | instid1(VALU_DEP_1)
	v_div_fmas_f32 v1, v1, v210, v212
	v_div_fixup_f32 v1, v1, v211, 1.0
                                        ; implicit-def: $vgpr210_vgpr211
	s_delay_alu instid0(VALU_DEP_1)
	v_mul_f32_e32 v212, v0, v1
	v_xor_b32_e32 v213, 0x80000000, v1
.LBB77_239:
	s_and_not1_saveexec_b32 s1, s1
	s_cbranch_execz .LBB77_241
; %bb.240:
	v_div_scale_f32 v0, null, v210, v210, v211
	v_div_scale_f32 v213, vcc_lo, v211, v210, v211
	s_delay_alu instid0(VALU_DEP_2) | instskip(SKIP_1) | instid1(TRANS32_DEP_1)
	v_rcp_f32_e32 v1, v0
	v_nop
	v_fma_f32 v212, -v0, v1, 1.0
	s_delay_alu instid0(VALU_DEP_1) | instskip(NEXT) | instid1(VALU_DEP_1)
	v_fmac_f32_e32 v1, v212, v1
	v_mul_f32_e32 v212, v213, v1
	s_delay_alu instid0(VALU_DEP_1) | instskip(NEXT) | instid1(VALU_DEP_1)
	v_fma_f32 v214, -v0, v212, v213
	v_fmac_f32_e32 v212, v214, v1
	s_delay_alu instid0(VALU_DEP_1) | instskip(NEXT) | instid1(VALU_DEP_1)
	v_fma_f32 v0, -v0, v212, v213
	v_div_fmas_f32 v0, v0, v1, v212
	s_delay_alu instid0(VALU_DEP_1) | instskip(NEXT) | instid1(VALU_DEP_1)
	v_div_fixup_f32 v0, v0, v210, v211
	v_fmac_f32_e32 v210, v211, v0
	s_delay_alu instid0(VALU_DEP_1) | instskip(NEXT) | instid1(VALU_DEP_1)
	v_div_scale_f32 v1, null, v210, v210, 1.0
	v_rcp_f32_e32 v211, v1
	v_nop
	s_delay_alu instid0(TRANS32_DEP_1) | instskip(NEXT) | instid1(VALU_DEP_1)
	v_fma_f32 v212, -v1, v211, 1.0
	v_fmac_f32_e32 v211, v212, v211
	v_div_scale_f32 v212, vcc_lo, 1.0, v210, 1.0
	s_delay_alu instid0(VALU_DEP_1) | instskip(NEXT) | instid1(VALU_DEP_1)
	v_mul_f32_e32 v213, v212, v211
	v_fma_f32 v214, -v1, v213, v212
	s_delay_alu instid0(VALU_DEP_1) | instskip(NEXT) | instid1(VALU_DEP_1)
	v_fmac_f32_e32 v213, v214, v211
	v_fma_f32 v1, -v1, v213, v212
	s_delay_alu instid0(VALU_DEP_1) | instskip(NEXT) | instid1(VALU_DEP_1)
	v_div_fmas_f32 v1, v1, v211, v213
	v_div_fixup_f32 v212, v1, v210, 1.0
	s_delay_alu instid0(VALU_DEP_1)
	v_mul_f32_e64 v213, v0, -v212
.LBB77_241:
	s_or_b32 exec_lo, exec_lo, s1
	ds_store_b64 v237, v[212:213]
.LBB77_242:
	s_or_b32 exec_lo, exec_lo, s2
	s_wait_dscnt 0x0
	s_barrier_signal -1
	s_barrier_wait -1
	ds_load_b64 v[210:211], v237
	s_mov_b32 s1, exec_lo
	v_cmpx_lt_u32_e32 26, v236
	s_cbranch_execz .LBB77_244
; %bb.243:
	ds_load_2addr_b64 v[212:215], v238 offset0:27 offset1:28
	ds_load_2addr_b64 v[216:219], v238 offset0:29 offset1:30
	;; [unrolled: 1-line block ×3, first 2 shown]
	s_wait_dscnt 0x3
	v_pk_mul_f32 v[224:225], v[210:211], v[148:149] op_sel:[1,1] op_sel_hi:[0,1]
	s_delay_alu instid0(VALU_DEP_1)
	v_pk_fma_f32 v[234:235], v[210:211], v[148:149], v[224:225] op_sel_hi:[1,0,1]
	v_pk_fma_f32 v[232:233], v[210:211], v[148:149], v[224:225] op_sel_hi:[1,0,1] neg_lo:[0,0,1] neg_hi:[0,0,1]
	ds_load_2addr_b64 v[224:227], v238 offset0:33 offset1:34
	ds_load_2addr_b64 v[228:231], v238 offset0:35 offset1:36
	v_dual_mov_b32 v149, v235 :: v_dual_mov_b32 v148, v232
	s_wait_dscnt 0x4
	v_pk_mul_f32 v[240:241], v[212:213], v[234:235] op_sel:[0,1]
	v_pk_mul_f32 v[242:243], v[214:215], v[234:235] op_sel:[0,1]
	s_wait_dscnt 0x2
	v_pk_mul_f32 v[252:253], v[220:221], v[234:235] op_sel:[0,1]
	v_pk_mul_f32 v[244:245], v[216:217], v[234:235] op_sel:[0,1]
	v_dual_mov_b32 v246, v219 :: v_dual_mov_b32 v247, v218
	v_pk_fma_f32 v[0:1], v[212:213], v[232:233], v[240:241] op_sel:[0,0,1] op_sel_hi:[1,1,0] neg_lo:[0,0,1] neg_hi:[0,0,1]
	v_pk_fma_f32 v[212:213], v[212:213], v[232:233], v[240:241] op_sel:[0,0,1] op_sel_hi:[1,0,0]
	v_dual_mul_f32 v248, v219, v235 :: v_dual_mul_f32 v250, v219, v232
	v_pk_mul_f32 v[254:255], v[222:223], v[234:235] op_sel:[0,1]
	v_pk_fma_f32 v[240:241], v[214:215], v[232:233], v[242:243] op_sel:[0,0,1] op_sel_hi:[1,1,0] neg_lo:[0,0,1] neg_hi:[0,0,1]
	v_pk_fma_f32 v[214:215], v[214:215], v[232:233], v[242:243] op_sel:[0,0,1] op_sel_hi:[1,0,0]
	v_mov_b32_e32 v1, v213
	v_pk_fma_f32 v[212:213], v[220:221], v[232:233], v[252:253] op_sel:[0,0,1] op_sel_hi:[1,0,0]
	v_pk_fma_f32 v[242:243], v[216:217], v[232:233], v[244:245] op_sel:[0,0,1] op_sel_hi:[1,1,0] neg_lo:[0,0,1] neg_hi:[0,0,1]
	v_pk_fma_f32 v[216:217], v[216:217], v[232:233], v[244:245] op_sel:[0,0,1] op_sel_hi:[1,0,0]
	v_pk_fma_f32 v[244:245], v[246:247], v[148:149], v[250:251] op_sel_hi:[1,1,0]
	v_pk_fma_f32 v[246:247], v[220:221], v[232:233], v[252:253] op_sel:[0,0,1] op_sel_hi:[1,1,0] neg_lo:[0,0,1] neg_hi:[0,0,1]
	v_mov_b32_e32 v241, v215
	v_pk_add_f32 v[94:95], v[94:95], v[0:1] neg_lo:[0,1] neg_hi:[0,1]
	v_pk_fma_f32 v[0:1], v[222:223], v[232:233], v[254:255] op_sel:[0,0,1] op_sel_hi:[1,0,0]
	v_mov_b32_e32 v247, v213
	ds_load_2addr_b64 v[212:215], v238 offset0:37 offset1:38
	v_pk_fma_f32 v[218:219], v[218:219], v[148:149], v[248:249] op_sel_hi:[1,1,0] neg_lo:[0,0,1] neg_hi:[0,0,1]
	v_dual_mov_b32 v243, v217 :: v_dual_mov_b32 v219, v245
	s_wait_dscnt 0x2
	v_pk_mul_f32 v[216:217], v[224:225], v[234:235] op_sel:[0,1]
	v_pk_add_f32 v[120:121], v[120:121], v[240:241] neg_lo:[0,1] neg_hi:[0,1]
	s_delay_alu instid0(VALU_DEP_3)
	v_pk_add_f32 v[116:117], v[116:117], v[242:243] neg_lo:[0,1] neg_hi:[0,1]
	v_pk_add_f32 v[118:119], v[118:119], v[218:219] neg_lo:[0,1] neg_hi:[0,1]
	v_pk_fma_f32 v[218:219], v[222:223], v[232:233], v[254:255] op_sel:[0,0,1] op_sel_hi:[1,1,0] neg_lo:[0,0,1] neg_hi:[0,0,1]
	v_mov_b32_e32 v219, v1
	v_pk_mul_f32 v[0:1], v[226:227], v[234:235] op_sel:[0,1]
	v_pk_fma_f32 v[220:221], v[224:225], v[232:233], v[216:217] op_sel:[0,0,1] op_sel_hi:[1,0,0]
	s_wait_dscnt 0x1
	v_mul_f32_e32 v220, v229, v232
	v_pk_fma_f32 v[216:217], v[224:225], v[232:233], v[216:217] op_sel:[0,0,1] op_sel_hi:[1,1,0] neg_lo:[0,0,1] neg_hi:[0,0,1]
	v_pk_add_f32 v[142:143], v[142:143], v[218:219] neg_lo:[0,1] neg_hi:[0,1]
	v_pk_fma_f32 v[218:219], v[226:227], v[232:233], v[0:1] op_sel:[0,0,1] op_sel_hi:[1,0,0]
	v_mov_b32_e32 v217, v221
	v_mul_f32_e32 v218, v229, v235
	v_pk_fma_f32 v[220:221], v[228:229], v[148:149], v[220:221] op_sel:[1,0,0] op_sel_hi:[0,1,0]
	v_pk_fma_f32 v[0:1], v[226:227], v[232:233], v[0:1] op_sel:[0,0,1] op_sel_hi:[1,1,0] neg_lo:[0,0,1] neg_hi:[0,0,1]
	v_mov_b32_e32 v1, v219
	v_pk_add_f32 v[138:139], v[138:139], v[216:217] neg_lo:[0,1] neg_hi:[0,1]
	v_pk_fma_f32 v[216:217], v[228:229], v[148:149], v[218:219] op_sel_hi:[1,1,0] neg_lo:[0,0,1] neg_hi:[0,0,1]
	v_pk_mul_f32 v[218:219], v[230:231], v[234:235] op_sel:[0,1]
	s_wait_dscnt 0x0
	v_dual_mov_b32 v217, v221 :: v_dual_mov_b32 v222, v215
	v_pk_mul_f32 v[220:221], v[212:213], v[234:235] op_sel:[0,1]
	v_dual_mov_b32 v223, v214 :: v_dual_mul_f32 v224, v215, v232
	v_pk_fma_f32 v[226:227], v[230:231], v[232:233], v[218:219] op_sel:[0,0,1] op_sel_hi:[1,0,0]
	v_pk_fma_f32 v[218:219], v[230:231], v[232:233], v[218:219] op_sel:[0,0,1] op_sel_hi:[1,1,0] neg_lo:[0,0,1] neg_hi:[0,0,1]
	s_delay_alu instid0(VALU_DEP_4) | instskip(SKIP_3) | instid1(VALU_DEP_4)
	v_pk_fma_f32 v[228:229], v[212:213], v[232:233], v[220:221] op_sel:[0,0,1] op_sel_hi:[1,0,0]
	v_mul_f32_e32 v226, v215, v235
	v_pk_fma_f32 v[222:223], v[222:223], v[148:149], v[224:225] op_sel_hi:[1,1,0]
	v_pk_fma_f32 v[212:213], v[212:213], v[232:233], v[220:221] op_sel:[0,0,1] op_sel_hi:[1,1,0] neg_lo:[0,0,1] neg_hi:[0,0,1]
	v_dual_mov_b32 v219, v227 :: v_dual_mov_b32 v213, v229
	s_delay_alu instid0(VALU_DEP_4) | instskip(NEXT) | instid1(VALU_DEP_4)
	v_pk_fma_f32 v[214:215], v[214:215], v[148:149], v[226:227] op_sel_hi:[1,1,0] neg_lo:[0,0,1] neg_hi:[0,0,1]
	v_mov_b32_e32 v215, v223
	v_pk_add_f32 v[114:115], v[114:115], v[246:247] neg_lo:[0,1] neg_hi:[0,1]
	v_pk_add_f32 v[140:141], v[140:141], v[0:1] neg_lo:[0,1] neg_hi:[0,1]
	;; [unrolled: 1-line block ×6, first 2 shown]
.LBB77_244:
	s_or_b32 exec_lo, exec_lo, s1
	s_delay_alu instid0(SALU_CYCLE_1)
	s_mov_b32 s2, exec_lo
	s_wait_dscnt 0x0
	s_barrier_signal -1
	s_barrier_wait -1
	v_cmpx_eq_u32_e32 27, v236
	s_cbranch_execz .LBB77_251
; %bb.245:
	v_dual_mov_b32 v0, v120 :: v_dual_mov_b32 v1, v121
	v_dual_mov_b32 v212, v116 :: v_dual_mov_b32 v213, v117
	;; [unrolled: 1-line block ×10, first 2 shown]
	ds_store_b64 v237, v[94:95]
	ds_store_2addr_b64 v238, v[0:1], v[212:213] offset0:28 offset1:29
	ds_store_2addr_b64 v238, v[214:215], v[216:217] offset0:30 offset1:31
	;; [unrolled: 1-line block ×5, first 2 shown]
	ds_store_b64 v238, v[156:157] offset:304
	ds_load_b64 v[212:213], v237
	s_wait_dscnt 0x0
	v_cmp_neq_f32_e32 vcc_lo, 0, v212
	v_cmp_neq_f32_e64 s1, 0, v213
	s_or_b32 s1, vcc_lo, s1
	s_delay_alu instid0(SALU_CYCLE_1)
	s_and_b32 exec_lo, exec_lo, s1
	s_cbranch_execz .LBB77_251
; %bb.246:
	v_cmp_ngt_f32_e64 s1, |v212|, |v213|
                                        ; implicit-def: $vgpr214_vgpr215
	s_and_saveexec_b32 s4, s1
	s_delay_alu instid0(SALU_CYCLE_1)
	s_xor_b32 s1, exec_lo, s4
	s_cbranch_execz .LBB77_248
; %bb.247:
	v_div_scale_f32 v0, null, v213, v213, v212
	v_div_scale_f32 v215, vcc_lo, v212, v213, v212
	s_delay_alu instid0(VALU_DEP_2) | instskip(SKIP_1) | instid1(TRANS32_DEP_1)
	v_rcp_f32_e32 v1, v0
	v_nop
	v_fma_f32 v214, -v0, v1, 1.0
	s_delay_alu instid0(VALU_DEP_1) | instskip(NEXT) | instid1(VALU_DEP_1)
	v_fmac_f32_e32 v1, v214, v1
	v_mul_f32_e32 v214, v215, v1
	s_delay_alu instid0(VALU_DEP_1) | instskip(NEXT) | instid1(VALU_DEP_1)
	v_fma_f32 v216, -v0, v214, v215
	v_fmac_f32_e32 v214, v216, v1
	s_delay_alu instid0(VALU_DEP_1) | instskip(NEXT) | instid1(VALU_DEP_1)
	v_fma_f32 v0, -v0, v214, v215
	v_div_fmas_f32 v0, v0, v1, v214
	s_delay_alu instid0(VALU_DEP_1) | instskip(NEXT) | instid1(VALU_DEP_1)
	v_div_fixup_f32 v0, v0, v213, v212
	v_fmac_f32_e32 v213, v212, v0
	s_delay_alu instid0(VALU_DEP_1) | instskip(SKIP_1) | instid1(VALU_DEP_2)
	v_div_scale_f32 v1, null, v213, v213, 1.0
	v_div_scale_f32 v215, vcc_lo, 1.0, v213, 1.0
	v_rcp_f32_e32 v212, v1
	v_nop
	s_delay_alu instid0(TRANS32_DEP_1) | instskip(NEXT) | instid1(VALU_DEP_1)
	v_fma_f32 v214, -v1, v212, 1.0
	v_fmac_f32_e32 v212, v214, v212
	s_delay_alu instid0(VALU_DEP_1) | instskip(NEXT) | instid1(VALU_DEP_1)
	v_mul_f32_e32 v214, v215, v212
	v_fma_f32 v216, -v1, v214, v215
	s_delay_alu instid0(VALU_DEP_1) | instskip(NEXT) | instid1(VALU_DEP_1)
	v_fmac_f32_e32 v214, v216, v212
	v_fma_f32 v1, -v1, v214, v215
	s_delay_alu instid0(VALU_DEP_1) | instskip(NEXT) | instid1(VALU_DEP_1)
	v_div_fmas_f32 v1, v1, v212, v214
	v_div_fixup_f32 v1, v1, v213, 1.0
                                        ; implicit-def: $vgpr212_vgpr213
	s_delay_alu instid0(VALU_DEP_1)
	v_mul_f32_e32 v214, v0, v1
	v_xor_b32_e32 v215, 0x80000000, v1
.LBB77_248:
	s_and_not1_saveexec_b32 s1, s1
	s_cbranch_execz .LBB77_250
; %bb.249:
	v_div_scale_f32 v0, null, v212, v212, v213
	v_div_scale_f32 v215, vcc_lo, v213, v212, v213
	s_delay_alu instid0(VALU_DEP_2) | instskip(SKIP_1) | instid1(TRANS32_DEP_1)
	v_rcp_f32_e32 v1, v0
	v_nop
	v_fma_f32 v214, -v0, v1, 1.0
	s_delay_alu instid0(VALU_DEP_1) | instskip(NEXT) | instid1(VALU_DEP_1)
	v_fmac_f32_e32 v1, v214, v1
	v_mul_f32_e32 v214, v215, v1
	s_delay_alu instid0(VALU_DEP_1) | instskip(NEXT) | instid1(VALU_DEP_1)
	v_fma_f32 v216, -v0, v214, v215
	v_fmac_f32_e32 v214, v216, v1
	s_delay_alu instid0(VALU_DEP_1) | instskip(NEXT) | instid1(VALU_DEP_1)
	v_fma_f32 v0, -v0, v214, v215
	v_div_fmas_f32 v0, v0, v1, v214
	s_delay_alu instid0(VALU_DEP_1) | instskip(NEXT) | instid1(VALU_DEP_1)
	v_div_fixup_f32 v0, v0, v212, v213
	v_fmac_f32_e32 v212, v213, v0
	s_delay_alu instid0(VALU_DEP_1) | instskip(NEXT) | instid1(VALU_DEP_1)
	v_div_scale_f32 v1, null, v212, v212, 1.0
	v_rcp_f32_e32 v213, v1
	v_nop
	s_delay_alu instid0(TRANS32_DEP_1) | instskip(NEXT) | instid1(VALU_DEP_1)
	v_fma_f32 v214, -v1, v213, 1.0
	v_fmac_f32_e32 v213, v214, v213
	v_div_scale_f32 v214, vcc_lo, 1.0, v212, 1.0
	s_delay_alu instid0(VALU_DEP_1) | instskip(NEXT) | instid1(VALU_DEP_1)
	v_mul_f32_e32 v215, v214, v213
	v_fma_f32 v216, -v1, v215, v214
	s_delay_alu instid0(VALU_DEP_1) | instskip(NEXT) | instid1(VALU_DEP_1)
	v_fmac_f32_e32 v215, v216, v213
	v_fma_f32 v1, -v1, v215, v214
	s_delay_alu instid0(VALU_DEP_1) | instskip(NEXT) | instid1(VALU_DEP_1)
	v_div_fmas_f32 v1, v1, v213, v215
	v_div_fixup_f32 v214, v1, v212, 1.0
	s_delay_alu instid0(VALU_DEP_1)
	v_mul_f32_e64 v215, v0, -v214
.LBB77_250:
	s_or_b32 exec_lo, exec_lo, s1
	ds_store_b64 v237, v[214:215]
.LBB77_251:
	s_or_b32 exec_lo, exec_lo, s2
	s_wait_dscnt 0x0
	s_barrier_signal -1
	s_barrier_wait -1
	ds_load_b64 v[212:213], v237
	s_mov_b32 s1, exec_lo
	v_cmpx_lt_u32_e32 27, v236
	s_cbranch_execz .LBB77_253
; %bb.252:
	ds_load_2addr_b64 v[218:221], v238 offset0:28 offset1:29
	s_wait_dscnt 0x1
	v_pk_mul_f32 v[0:1], v[212:213], v[94:95] op_sel:[1,1] op_sel_hi:[0,1]
	s_delay_alu instid0(VALU_DEP_1) | instskip(SKIP_1) | instid1(VALU_DEP_1)
	v_pk_fma_f32 v[216:217], v[212:213], v[94:95], v[0:1] op_sel_hi:[1,0,1]
	v_pk_fma_f32 v[214:215], v[212:213], v[94:95], v[0:1] op_sel_hi:[1,0,1] neg_lo:[0,0,1] neg_hi:[0,0,1]
	v_dual_mov_b32 v95, v217 :: v_dual_mov_b32 v94, v214
	s_wait_dscnt 0x0
	s_delay_alu instid0(VALU_DEP_3) | instskip(NEXT) | instid1(VALU_DEP_1)
	v_pk_mul_f32 v[0:1], v[218:219], v[216:217] op_sel:[0,1]
	v_pk_fma_f32 v[222:223], v[218:219], v[214:215], v[0:1] op_sel:[0,0,1] op_sel_hi:[1,1,0] neg_lo:[0,0,1] neg_hi:[0,0,1]
	v_pk_fma_f32 v[0:1], v[218:219], v[214:215], v[0:1] op_sel:[0,0,1] op_sel_hi:[1,0,0]
	s_delay_alu instid0(VALU_DEP_1) | instskip(SKIP_1) | instid1(VALU_DEP_1)
	v_mov_b32_e32 v223, v1
	v_pk_mul_f32 v[0:1], v[220:221], v[216:217] op_sel:[0,1]
	v_pk_fma_f32 v[218:219], v[220:221], v[214:215], v[0:1] op_sel:[0,0,1] op_sel_hi:[1,1,0] neg_lo:[0,0,1] neg_hi:[0,0,1]
	v_pk_fma_f32 v[0:1], v[220:221], v[214:215], v[0:1] op_sel:[0,0,1] op_sel_hi:[1,0,0]
	s_delay_alu instid0(VALU_DEP_1) | instskip(SKIP_1) | instid1(VALU_DEP_2)
	v_mov_b32_e32 v219, v1
	v_pk_add_f32 v[120:121], v[120:121], v[222:223] neg_lo:[0,1] neg_hi:[0,1]
	v_pk_add_f32 v[116:117], v[116:117], v[218:219] neg_lo:[0,1] neg_hi:[0,1]
	ds_load_2addr_b64 v[218:221], v238 offset0:30 offset1:31
	s_wait_dscnt 0x0
	v_pk_mul_f32 v[0:1], v[218:219], v[216:217] op_sel:[0,1]
	s_delay_alu instid0(VALU_DEP_1) | instskip(SKIP_2) | instid1(VALU_DEP_2)
	v_pk_fma_f32 v[222:223], v[218:219], v[214:215], v[0:1] op_sel:[0,0,1] op_sel_hi:[1,1,0] neg_lo:[0,0,1] neg_hi:[0,0,1]
	v_pk_fma_f32 v[0:1], v[218:219], v[214:215], v[0:1] op_sel:[0,0,1] op_sel_hi:[1,0,0]
	v_dual_mul_f32 v218, v221, v217 :: v_dual_mov_b32 v0, v221
	v_dual_mov_b32 v223, v1 :: v_dual_mov_b32 v1, v220
	s_delay_alu instid0(VALU_DEP_2) | instskip(SKIP_1) | instid1(VALU_DEP_3)
	v_pk_fma_f32 v[218:219], v[220:221], v[94:95], v[218:219] op_sel_hi:[1,1,0] neg_lo:[0,0,1] neg_hi:[0,0,1]
	v_mul_f32_e32 v220, v221, v214
	v_pk_add_f32 v[118:119], v[118:119], v[222:223] neg_lo:[0,1] neg_hi:[0,1]
	s_delay_alu instid0(VALU_DEP_2) | instskip(NEXT) | instid1(VALU_DEP_1)
	v_pk_fma_f32 v[0:1], v[0:1], v[94:95], v[220:221] op_sel_hi:[1,1,0]
	v_mov_b32_e32 v219, v1
	s_delay_alu instid0(VALU_DEP_1) | instskip(SKIP_3) | instid1(VALU_DEP_1)
	v_pk_add_f32 v[114:115], v[114:115], v[218:219] neg_lo:[0,1] neg_hi:[0,1]
	ds_load_2addr_b64 v[218:221], v238 offset0:32 offset1:33
	s_wait_dscnt 0x0
	v_pk_mul_f32 v[0:1], v[218:219], v[216:217] op_sel:[0,1]
	v_pk_fma_f32 v[222:223], v[218:219], v[214:215], v[0:1] op_sel:[0,0,1] op_sel_hi:[1,1,0] neg_lo:[0,0,1] neg_hi:[0,0,1]
	v_pk_fma_f32 v[0:1], v[218:219], v[214:215], v[0:1] op_sel:[0,0,1] op_sel_hi:[1,0,0]
	s_delay_alu instid0(VALU_DEP_1) | instskip(SKIP_1) | instid1(VALU_DEP_2)
	v_mov_b32_e32 v223, v1
	v_pk_mul_f32 v[0:1], v[220:221], v[216:217] op_sel:[0,1]
	v_pk_add_f32 v[142:143], v[142:143], v[222:223] neg_lo:[0,1] neg_hi:[0,1]
	s_delay_alu instid0(VALU_DEP_2) | instskip(SKIP_1) | instid1(VALU_DEP_1)
	v_pk_fma_f32 v[218:219], v[220:221], v[214:215], v[0:1] op_sel:[0,0,1] op_sel_hi:[1,1,0] neg_lo:[0,0,1] neg_hi:[0,0,1]
	v_pk_fma_f32 v[0:1], v[220:221], v[214:215], v[0:1] op_sel:[0,0,1] op_sel_hi:[1,0,0]
	v_mov_b32_e32 v219, v1
	s_delay_alu instid0(VALU_DEP_1) | instskip(SKIP_3) | instid1(VALU_DEP_1)
	v_pk_add_f32 v[138:139], v[138:139], v[218:219] neg_lo:[0,1] neg_hi:[0,1]
	ds_load_2addr_b64 v[218:221], v238 offset0:34 offset1:35
	s_wait_dscnt 0x0
	v_pk_mul_f32 v[0:1], v[218:219], v[216:217] op_sel:[0,1]
	v_pk_fma_f32 v[222:223], v[218:219], v[214:215], v[0:1] op_sel:[0,0,1] op_sel_hi:[1,1,0] neg_lo:[0,0,1] neg_hi:[0,0,1]
	v_pk_fma_f32 v[0:1], v[218:219], v[214:215], v[0:1] op_sel:[0,0,1] op_sel_hi:[1,0,0]
	s_delay_alu instid0(VALU_DEP_1) | instskip(SKIP_1) | instid1(VALU_DEP_2)
	v_mov_b32_e32 v223, v1
	v_pk_mul_f32 v[0:1], v[220:221], v[216:217] op_sel:[0,1]
	v_pk_add_f32 v[140:141], v[140:141], v[222:223] neg_lo:[0,1] neg_hi:[0,1]
	s_delay_alu instid0(VALU_DEP_2) | instskip(SKIP_1) | instid1(VALU_DEP_1)
	v_pk_fma_f32 v[218:219], v[220:221], v[214:215], v[0:1] op_sel:[0,0,1] op_sel_hi:[1,1,0] neg_lo:[0,0,1] neg_hi:[0,0,1]
	v_pk_fma_f32 v[0:1], v[220:221], v[214:215], v[0:1] op_sel:[0,0,1] op_sel_hi:[1,0,0]
	v_mov_b32_e32 v219, v1
	s_delay_alu instid0(VALU_DEP_1) | instskip(SKIP_3) | instid1(VALU_DEP_1)
	v_pk_add_f32 v[154:155], v[154:155], v[218:219] neg_lo:[0,1] neg_hi:[0,1]
	ds_load_2addr_b64 v[218:221], v238 offset0:36 offset1:37
	s_wait_dscnt 0x0
	v_dual_mul_f32 v0, v219, v217 :: v_dual_mul_f32 v222, v219, v214
	v_pk_fma_f32 v[0:1], v[218:219], v[94:95], v[0:1] op_sel_hi:[1,1,0] neg_lo:[0,0,1] neg_hi:[0,0,1]
	s_delay_alu instid0(VALU_DEP_2) | instskip(NEXT) | instid1(VALU_DEP_1)
	v_pk_fma_f32 v[218:219], v[218:219], v[94:95], v[222:223] op_sel:[1,0,0] op_sel_hi:[0,1,0]
	v_mov_b32_e32 v1, v219
	s_delay_alu instid0(VALU_DEP_1) | instskip(SKIP_1) | instid1(VALU_DEP_1)
	v_pk_add_f32 v[152:153], v[152:153], v[0:1] neg_lo:[0,1] neg_hi:[0,1]
	v_pk_mul_f32 v[0:1], v[220:221], v[216:217] op_sel:[0,1]
	v_pk_fma_f32 v[218:219], v[220:221], v[214:215], v[0:1] op_sel:[0,0,1] op_sel_hi:[1,1,0] neg_lo:[0,0,1] neg_hi:[0,0,1]
	v_pk_fma_f32 v[0:1], v[220:221], v[214:215], v[0:1] op_sel:[0,0,1] op_sel_hi:[1,0,0]
	s_delay_alu instid0(VALU_DEP_1) | instskip(SKIP_4) | instid1(VALU_DEP_1)
	v_mov_b32_e32 v219, v1
	ds_load_b64 v[0:1], v238 offset:304
	v_pk_add_f32 v[144:145], v[144:145], v[218:219] neg_lo:[0,1] neg_hi:[0,1]
	s_wait_dscnt 0x0
	v_pk_mul_f32 v[216:217], v[0:1], v[216:217] op_sel:[0,1]
	v_pk_fma_f32 v[218:219], v[0:1], v[214:215], v[216:217] op_sel:[0,0,1] op_sel_hi:[1,1,0] neg_lo:[0,0,1] neg_hi:[0,0,1]
	v_pk_fma_f32 v[0:1], v[0:1], v[214:215], v[216:217] op_sel:[0,0,1] op_sel_hi:[1,0,0]
	s_delay_alu instid0(VALU_DEP_1) | instskip(NEXT) | instid1(VALU_DEP_1)
	v_mov_b32_e32 v219, v1
	v_pk_add_f32 v[156:157], v[156:157], v[218:219] neg_lo:[0,1] neg_hi:[0,1]
.LBB77_253:
	s_or_b32 exec_lo, exec_lo, s1
	s_delay_alu instid0(SALU_CYCLE_1)
	s_mov_b32 s2, exec_lo
	s_wait_dscnt 0x0
	s_barrier_signal -1
	s_barrier_wait -1
	v_cmpx_eq_u32_e32 28, v236
	s_cbranch_execz .LBB77_260
; %bb.254:
	ds_store_b64 v237, v[120:121]
	ds_store_2addr_b64 v238, v[116:117], v[118:119] offset0:29 offset1:30
	ds_store_2addr_b64 v238, v[114:115], v[142:143] offset0:31 offset1:32
	;; [unrolled: 1-line block ×5, first 2 shown]
	ds_load_b64 v[214:215], v237
	s_wait_dscnt 0x0
	v_cmp_neq_f32_e32 vcc_lo, 0, v214
	v_cmp_neq_f32_e64 s1, 0, v215
	s_or_b32 s1, vcc_lo, s1
	s_delay_alu instid0(SALU_CYCLE_1)
	s_and_b32 exec_lo, exec_lo, s1
	s_cbranch_execz .LBB77_260
; %bb.255:
	v_cmp_ngt_f32_e64 s1, |v214|, |v215|
                                        ; implicit-def: $vgpr216_vgpr217
	s_and_saveexec_b32 s4, s1
	s_delay_alu instid0(SALU_CYCLE_1)
	s_xor_b32 s1, exec_lo, s4
	s_cbranch_execz .LBB77_257
; %bb.256:
	v_div_scale_f32 v0, null, v215, v215, v214
	v_div_scale_f32 v217, vcc_lo, v214, v215, v214
	s_delay_alu instid0(VALU_DEP_2) | instskip(SKIP_1) | instid1(TRANS32_DEP_1)
	v_rcp_f32_e32 v1, v0
	v_nop
	v_fma_f32 v216, -v0, v1, 1.0
	s_delay_alu instid0(VALU_DEP_1) | instskip(NEXT) | instid1(VALU_DEP_1)
	v_fmac_f32_e32 v1, v216, v1
	v_mul_f32_e32 v216, v217, v1
	s_delay_alu instid0(VALU_DEP_1) | instskip(NEXT) | instid1(VALU_DEP_1)
	v_fma_f32 v218, -v0, v216, v217
	v_fmac_f32_e32 v216, v218, v1
	s_delay_alu instid0(VALU_DEP_1) | instskip(NEXT) | instid1(VALU_DEP_1)
	v_fma_f32 v0, -v0, v216, v217
	v_div_fmas_f32 v0, v0, v1, v216
	s_delay_alu instid0(VALU_DEP_1) | instskip(NEXT) | instid1(VALU_DEP_1)
	v_div_fixup_f32 v0, v0, v215, v214
	v_fmac_f32_e32 v215, v214, v0
	s_delay_alu instid0(VALU_DEP_1) | instskip(SKIP_1) | instid1(VALU_DEP_2)
	v_div_scale_f32 v1, null, v215, v215, 1.0
	v_div_scale_f32 v217, vcc_lo, 1.0, v215, 1.0
	v_rcp_f32_e32 v214, v1
	v_nop
	s_delay_alu instid0(TRANS32_DEP_1) | instskip(NEXT) | instid1(VALU_DEP_1)
	v_fma_f32 v216, -v1, v214, 1.0
	v_fmac_f32_e32 v214, v216, v214
	s_delay_alu instid0(VALU_DEP_1) | instskip(NEXT) | instid1(VALU_DEP_1)
	v_mul_f32_e32 v216, v217, v214
	v_fma_f32 v218, -v1, v216, v217
	s_delay_alu instid0(VALU_DEP_1) | instskip(NEXT) | instid1(VALU_DEP_1)
	v_fmac_f32_e32 v216, v218, v214
	v_fma_f32 v1, -v1, v216, v217
	s_delay_alu instid0(VALU_DEP_1) | instskip(NEXT) | instid1(VALU_DEP_1)
	v_div_fmas_f32 v1, v1, v214, v216
	v_div_fixup_f32 v1, v1, v215, 1.0
                                        ; implicit-def: $vgpr214_vgpr215
	s_delay_alu instid0(VALU_DEP_1)
	v_mul_f32_e32 v216, v0, v1
	v_xor_b32_e32 v217, 0x80000000, v1
.LBB77_257:
	s_and_not1_saveexec_b32 s1, s1
	s_cbranch_execz .LBB77_259
; %bb.258:
	v_div_scale_f32 v0, null, v214, v214, v215
	v_div_scale_f32 v217, vcc_lo, v215, v214, v215
	s_delay_alu instid0(VALU_DEP_2) | instskip(SKIP_1) | instid1(TRANS32_DEP_1)
	v_rcp_f32_e32 v1, v0
	v_nop
	v_fma_f32 v216, -v0, v1, 1.0
	s_delay_alu instid0(VALU_DEP_1) | instskip(NEXT) | instid1(VALU_DEP_1)
	v_fmac_f32_e32 v1, v216, v1
	v_mul_f32_e32 v216, v217, v1
	s_delay_alu instid0(VALU_DEP_1) | instskip(NEXT) | instid1(VALU_DEP_1)
	v_fma_f32 v218, -v0, v216, v217
	v_fmac_f32_e32 v216, v218, v1
	s_delay_alu instid0(VALU_DEP_1) | instskip(NEXT) | instid1(VALU_DEP_1)
	v_fma_f32 v0, -v0, v216, v217
	v_div_fmas_f32 v0, v0, v1, v216
	s_delay_alu instid0(VALU_DEP_1) | instskip(NEXT) | instid1(VALU_DEP_1)
	v_div_fixup_f32 v0, v0, v214, v215
	v_fmac_f32_e32 v214, v215, v0
	s_delay_alu instid0(VALU_DEP_1) | instskip(NEXT) | instid1(VALU_DEP_1)
	v_div_scale_f32 v1, null, v214, v214, 1.0
	v_rcp_f32_e32 v215, v1
	v_nop
	s_delay_alu instid0(TRANS32_DEP_1) | instskip(NEXT) | instid1(VALU_DEP_1)
	v_fma_f32 v216, -v1, v215, 1.0
	v_fmac_f32_e32 v215, v216, v215
	v_div_scale_f32 v216, vcc_lo, 1.0, v214, 1.0
	s_delay_alu instid0(VALU_DEP_1) | instskip(NEXT) | instid1(VALU_DEP_1)
	v_mul_f32_e32 v217, v216, v215
	v_fma_f32 v218, -v1, v217, v216
	s_delay_alu instid0(VALU_DEP_1) | instskip(NEXT) | instid1(VALU_DEP_1)
	v_fmac_f32_e32 v217, v218, v215
	v_fma_f32 v1, -v1, v217, v216
	s_delay_alu instid0(VALU_DEP_1) | instskip(NEXT) | instid1(VALU_DEP_1)
	v_div_fmas_f32 v1, v1, v215, v217
	v_div_fixup_f32 v216, v1, v214, 1.0
	s_delay_alu instid0(VALU_DEP_1)
	v_mul_f32_e64 v217, v0, -v216
.LBB77_259:
	s_or_b32 exec_lo, exec_lo, s1
	ds_store_b64 v237, v[216:217]
.LBB77_260:
	s_or_b32 exec_lo, exec_lo, s2
	s_wait_dscnt 0x0
	s_barrier_signal -1
	s_barrier_wait -1
	ds_load_b64 v[214:215], v237
	s_mov_b32 s1, exec_lo
	v_cmpx_lt_u32_e32 28, v236
	s_cbranch_execz .LBB77_262
; %bb.261:
	ds_load_2addr_b64 v[220:223], v238 offset0:29 offset1:30
	s_wait_dscnt 0x1
	v_pk_mul_f32 v[0:1], v[214:215], v[120:121] op_sel:[1,1] op_sel_hi:[0,1]
	s_delay_alu instid0(VALU_DEP_1) | instskip(SKIP_1) | instid1(VALU_DEP_1)
	v_pk_fma_f32 v[218:219], v[214:215], v[120:121], v[0:1] op_sel_hi:[1,0,1]
	v_pk_fma_f32 v[216:217], v[214:215], v[120:121], v[0:1] op_sel_hi:[1,0,1] neg_lo:[0,0,1] neg_hi:[0,0,1]
	v_dual_mov_b32 v121, v219 :: v_dual_mov_b32 v120, v216
	s_wait_dscnt 0x0
	s_delay_alu instid0(VALU_DEP_3) | instskip(NEXT) | instid1(VALU_DEP_1)
	v_pk_mul_f32 v[0:1], v[220:221], v[218:219] op_sel:[0,1]
	v_pk_fma_f32 v[224:225], v[220:221], v[216:217], v[0:1] op_sel:[0,0,1] op_sel_hi:[1,1,0] neg_lo:[0,0,1] neg_hi:[0,0,1]
	v_pk_fma_f32 v[0:1], v[220:221], v[216:217], v[0:1] op_sel:[0,0,1] op_sel_hi:[1,0,0]
	s_delay_alu instid0(VALU_DEP_1) | instskip(SKIP_1) | instid1(VALU_DEP_1)
	v_mov_b32_e32 v225, v1
	v_pk_mul_f32 v[0:1], v[222:223], v[218:219] op_sel:[0,1]
	v_pk_fma_f32 v[220:221], v[222:223], v[216:217], v[0:1] op_sel:[0,0,1] op_sel_hi:[1,1,0] neg_lo:[0,0,1] neg_hi:[0,0,1]
	v_pk_fma_f32 v[0:1], v[222:223], v[216:217], v[0:1] op_sel:[0,0,1] op_sel_hi:[1,0,0]
	s_delay_alu instid0(VALU_DEP_1) | instskip(SKIP_1) | instid1(VALU_DEP_2)
	v_mov_b32_e32 v221, v1
	v_pk_add_f32 v[116:117], v[116:117], v[224:225] neg_lo:[0,1] neg_hi:[0,1]
	v_pk_add_f32 v[118:119], v[118:119], v[220:221] neg_lo:[0,1] neg_hi:[0,1]
	ds_load_2addr_b64 v[220:223], v238 offset0:31 offset1:32
	s_wait_dscnt 0x0
	v_pk_mul_f32 v[0:1], v[220:221], v[218:219] op_sel:[0,1]
	s_delay_alu instid0(VALU_DEP_1) | instskip(SKIP_2) | instid1(VALU_DEP_2)
	v_pk_fma_f32 v[224:225], v[220:221], v[216:217], v[0:1] op_sel:[0,0,1] op_sel_hi:[1,1,0] neg_lo:[0,0,1] neg_hi:[0,0,1]
	v_pk_fma_f32 v[0:1], v[220:221], v[216:217], v[0:1] op_sel:[0,0,1] op_sel_hi:[1,0,0]
	v_dual_mul_f32 v220, v223, v219 :: v_dual_mov_b32 v0, v223
	v_dual_mov_b32 v225, v1 :: v_dual_mov_b32 v1, v222
	s_delay_alu instid0(VALU_DEP_2) | instskip(SKIP_1) | instid1(VALU_DEP_3)
	v_pk_fma_f32 v[220:221], v[222:223], v[120:121], v[220:221] op_sel_hi:[1,1,0] neg_lo:[0,0,1] neg_hi:[0,0,1]
	v_mul_f32_e32 v222, v223, v216
	v_pk_add_f32 v[114:115], v[114:115], v[224:225] neg_lo:[0,1] neg_hi:[0,1]
	s_delay_alu instid0(VALU_DEP_2) | instskip(NEXT) | instid1(VALU_DEP_1)
	v_pk_fma_f32 v[0:1], v[0:1], v[120:121], v[222:223] op_sel_hi:[1,1,0]
	v_mov_b32_e32 v221, v1
	s_delay_alu instid0(VALU_DEP_1) | instskip(SKIP_3) | instid1(VALU_DEP_1)
	v_pk_add_f32 v[142:143], v[142:143], v[220:221] neg_lo:[0,1] neg_hi:[0,1]
	ds_load_2addr_b64 v[220:223], v238 offset0:33 offset1:34
	s_wait_dscnt 0x0
	v_pk_mul_f32 v[0:1], v[220:221], v[218:219] op_sel:[0,1]
	v_pk_fma_f32 v[224:225], v[220:221], v[216:217], v[0:1] op_sel:[0,0,1] op_sel_hi:[1,1,0] neg_lo:[0,0,1] neg_hi:[0,0,1]
	v_pk_fma_f32 v[0:1], v[220:221], v[216:217], v[0:1] op_sel:[0,0,1] op_sel_hi:[1,0,0]
	s_delay_alu instid0(VALU_DEP_1) | instskip(SKIP_1) | instid1(VALU_DEP_1)
	v_mov_b32_e32 v225, v1
	v_pk_mul_f32 v[0:1], v[222:223], v[218:219] op_sel:[0,1]
	v_pk_fma_f32 v[220:221], v[222:223], v[216:217], v[0:1] op_sel:[0,0,1] op_sel_hi:[1,1,0] neg_lo:[0,0,1] neg_hi:[0,0,1]
	v_pk_fma_f32 v[0:1], v[222:223], v[216:217], v[0:1] op_sel:[0,0,1] op_sel_hi:[1,0,0]
	s_delay_alu instid0(VALU_DEP_1) | instskip(SKIP_1) | instid1(VALU_DEP_2)
	v_mov_b32_e32 v221, v1
	v_pk_add_f32 v[138:139], v[138:139], v[224:225] neg_lo:[0,1] neg_hi:[0,1]
	v_pk_add_f32 v[140:141], v[140:141], v[220:221] neg_lo:[0,1] neg_hi:[0,1]
	ds_load_2addr_b64 v[220:223], v238 offset0:35 offset1:36
	s_wait_dscnt 0x0
	v_pk_mul_f32 v[0:1], v[220:221], v[218:219] op_sel:[0,1]
	s_delay_alu instid0(VALU_DEP_1) | instskip(SKIP_1) | instid1(VALU_DEP_1)
	v_pk_fma_f32 v[224:225], v[220:221], v[216:217], v[0:1] op_sel:[0,0,1] op_sel_hi:[1,1,0] neg_lo:[0,0,1] neg_hi:[0,0,1]
	v_pk_fma_f32 v[0:1], v[220:221], v[216:217], v[0:1] op_sel:[0,0,1] op_sel_hi:[1,0,0]
	v_mov_b32_e32 v225, v1
	v_pk_mul_f32 v[0:1], v[222:223], v[218:219] op_sel:[0,1]
	s_delay_alu instid0(VALU_DEP_1) | instskip(SKIP_1) | instid1(VALU_DEP_1)
	v_pk_fma_f32 v[220:221], v[222:223], v[216:217], v[0:1] op_sel:[0,0,1] op_sel_hi:[1,1,0] neg_lo:[0,0,1] neg_hi:[0,0,1]
	v_pk_fma_f32 v[0:1], v[222:223], v[216:217], v[0:1] op_sel:[0,0,1] op_sel_hi:[1,0,0]
	v_mov_b32_e32 v221, v1
	v_pk_add_f32 v[154:155], v[154:155], v[224:225] neg_lo:[0,1] neg_hi:[0,1]
	s_delay_alu instid0(VALU_DEP_2) | instskip(SKIP_3) | instid1(VALU_DEP_1)
	v_pk_add_f32 v[152:153], v[152:153], v[220:221] neg_lo:[0,1] neg_hi:[0,1]
	ds_load_2addr_b64 v[220:223], v238 offset0:37 offset1:38
	s_wait_dscnt 0x0
	v_dual_mul_f32 v0, v221, v219 :: v_dual_mul_f32 v224, v221, v216
	v_pk_fma_f32 v[0:1], v[220:221], v[120:121], v[0:1] op_sel_hi:[1,1,0] neg_lo:[0,0,1] neg_hi:[0,0,1]
	s_delay_alu instid0(VALU_DEP_2) | instskip(NEXT) | instid1(VALU_DEP_1)
	v_pk_fma_f32 v[220:221], v[220:221], v[120:121], v[224:225] op_sel:[1,0,0] op_sel_hi:[0,1,0]
	v_mov_b32_e32 v1, v221
	s_delay_alu instid0(VALU_DEP_1) | instskip(SKIP_1) | instid1(VALU_DEP_1)
	v_pk_add_f32 v[144:145], v[144:145], v[0:1] neg_lo:[0,1] neg_hi:[0,1]
	v_pk_mul_f32 v[0:1], v[222:223], v[218:219] op_sel:[0,1]
	v_pk_fma_f32 v[218:219], v[222:223], v[216:217], v[0:1] op_sel:[0,0,1] op_sel_hi:[1,1,0] neg_lo:[0,0,1] neg_hi:[0,0,1]
	v_pk_fma_f32 v[0:1], v[222:223], v[216:217], v[0:1] op_sel:[0,0,1] op_sel_hi:[1,0,0]
	s_delay_alu instid0(VALU_DEP_1) | instskip(NEXT) | instid1(VALU_DEP_1)
	v_mov_b32_e32 v219, v1
	v_pk_add_f32 v[156:157], v[156:157], v[218:219] neg_lo:[0,1] neg_hi:[0,1]
.LBB77_262:
	s_or_b32 exec_lo, exec_lo, s1
	s_delay_alu instid0(SALU_CYCLE_1)
	s_mov_b32 s2, exec_lo
	s_wait_dscnt 0x0
	s_barrier_signal -1
	s_barrier_wait -1
	v_cmpx_eq_u32_e32 29, v236
	s_cbranch_execz .LBB77_269
; %bb.263:
	v_dual_mov_b32 v0, v118 :: v_dual_mov_b32 v1, v119
	v_dual_mov_b32 v216, v114 :: v_dual_mov_b32 v217, v115
	;; [unrolled: 1-line block ×8, first 2 shown]
	ds_store_b64 v237, v[116:117]
	ds_store_2addr_b64 v238, v[0:1], v[216:217] offset0:30 offset1:31
	ds_store_2addr_b64 v238, v[218:219], v[220:221] offset0:32 offset1:33
	;; [unrolled: 1-line block ×4, first 2 shown]
	ds_store_b64 v238, v[156:157] offset:304
	ds_load_b64 v[216:217], v237
	s_wait_dscnt 0x0
	v_cmp_neq_f32_e32 vcc_lo, 0, v216
	v_cmp_neq_f32_e64 s1, 0, v217
	s_or_b32 s1, vcc_lo, s1
	s_delay_alu instid0(SALU_CYCLE_1)
	s_and_b32 exec_lo, exec_lo, s1
	s_cbranch_execz .LBB77_269
; %bb.264:
	v_cmp_ngt_f32_e64 s1, |v216|, |v217|
                                        ; implicit-def: $vgpr218_vgpr219
	s_and_saveexec_b32 s4, s1
	s_delay_alu instid0(SALU_CYCLE_1)
	s_xor_b32 s1, exec_lo, s4
	s_cbranch_execz .LBB77_266
; %bb.265:
	v_div_scale_f32 v0, null, v217, v217, v216
	v_div_scale_f32 v219, vcc_lo, v216, v217, v216
	s_delay_alu instid0(VALU_DEP_2) | instskip(SKIP_1) | instid1(TRANS32_DEP_1)
	v_rcp_f32_e32 v1, v0
	v_nop
	v_fma_f32 v218, -v0, v1, 1.0
	s_delay_alu instid0(VALU_DEP_1) | instskip(NEXT) | instid1(VALU_DEP_1)
	v_fmac_f32_e32 v1, v218, v1
	v_mul_f32_e32 v218, v219, v1
	s_delay_alu instid0(VALU_DEP_1) | instskip(NEXT) | instid1(VALU_DEP_1)
	v_fma_f32 v220, -v0, v218, v219
	v_fmac_f32_e32 v218, v220, v1
	s_delay_alu instid0(VALU_DEP_1) | instskip(NEXT) | instid1(VALU_DEP_1)
	v_fma_f32 v0, -v0, v218, v219
	v_div_fmas_f32 v0, v0, v1, v218
	s_delay_alu instid0(VALU_DEP_1) | instskip(NEXT) | instid1(VALU_DEP_1)
	v_div_fixup_f32 v0, v0, v217, v216
	v_fmac_f32_e32 v217, v216, v0
	s_delay_alu instid0(VALU_DEP_1) | instskip(SKIP_1) | instid1(VALU_DEP_2)
	v_div_scale_f32 v1, null, v217, v217, 1.0
	v_div_scale_f32 v219, vcc_lo, 1.0, v217, 1.0
	v_rcp_f32_e32 v216, v1
	v_nop
	s_delay_alu instid0(TRANS32_DEP_1) | instskip(NEXT) | instid1(VALU_DEP_1)
	v_fma_f32 v218, -v1, v216, 1.0
	v_fmac_f32_e32 v216, v218, v216
	s_delay_alu instid0(VALU_DEP_1) | instskip(NEXT) | instid1(VALU_DEP_1)
	v_mul_f32_e32 v218, v219, v216
	v_fma_f32 v220, -v1, v218, v219
	s_delay_alu instid0(VALU_DEP_1) | instskip(NEXT) | instid1(VALU_DEP_1)
	v_fmac_f32_e32 v218, v220, v216
	v_fma_f32 v1, -v1, v218, v219
	s_delay_alu instid0(VALU_DEP_1) | instskip(NEXT) | instid1(VALU_DEP_1)
	v_div_fmas_f32 v1, v1, v216, v218
	v_div_fixup_f32 v1, v1, v217, 1.0
                                        ; implicit-def: $vgpr216_vgpr217
	s_delay_alu instid0(VALU_DEP_1)
	v_mul_f32_e32 v218, v0, v1
	v_xor_b32_e32 v219, 0x80000000, v1
.LBB77_266:
	s_and_not1_saveexec_b32 s1, s1
	s_cbranch_execz .LBB77_268
; %bb.267:
	v_div_scale_f32 v0, null, v216, v216, v217
	v_div_scale_f32 v219, vcc_lo, v217, v216, v217
	s_delay_alu instid0(VALU_DEP_2) | instskip(SKIP_1) | instid1(TRANS32_DEP_1)
	v_rcp_f32_e32 v1, v0
	v_nop
	v_fma_f32 v218, -v0, v1, 1.0
	s_delay_alu instid0(VALU_DEP_1) | instskip(NEXT) | instid1(VALU_DEP_1)
	v_fmac_f32_e32 v1, v218, v1
	v_mul_f32_e32 v218, v219, v1
	s_delay_alu instid0(VALU_DEP_1) | instskip(NEXT) | instid1(VALU_DEP_1)
	v_fma_f32 v220, -v0, v218, v219
	v_fmac_f32_e32 v218, v220, v1
	s_delay_alu instid0(VALU_DEP_1) | instskip(NEXT) | instid1(VALU_DEP_1)
	v_fma_f32 v0, -v0, v218, v219
	v_div_fmas_f32 v0, v0, v1, v218
	s_delay_alu instid0(VALU_DEP_1) | instskip(NEXT) | instid1(VALU_DEP_1)
	v_div_fixup_f32 v0, v0, v216, v217
	v_fmac_f32_e32 v216, v217, v0
	s_delay_alu instid0(VALU_DEP_1) | instskip(NEXT) | instid1(VALU_DEP_1)
	v_div_scale_f32 v1, null, v216, v216, 1.0
	v_rcp_f32_e32 v217, v1
	v_nop
	s_delay_alu instid0(TRANS32_DEP_1) | instskip(NEXT) | instid1(VALU_DEP_1)
	v_fma_f32 v218, -v1, v217, 1.0
	v_fmac_f32_e32 v217, v218, v217
	v_div_scale_f32 v218, vcc_lo, 1.0, v216, 1.0
	s_delay_alu instid0(VALU_DEP_1) | instskip(NEXT) | instid1(VALU_DEP_1)
	v_mul_f32_e32 v219, v218, v217
	v_fma_f32 v220, -v1, v219, v218
	s_delay_alu instid0(VALU_DEP_1) | instskip(NEXT) | instid1(VALU_DEP_1)
	v_fmac_f32_e32 v219, v220, v217
	v_fma_f32 v1, -v1, v219, v218
	s_delay_alu instid0(VALU_DEP_1) | instskip(NEXT) | instid1(VALU_DEP_1)
	v_div_fmas_f32 v1, v1, v217, v219
	v_div_fixup_f32 v218, v1, v216, 1.0
	s_delay_alu instid0(VALU_DEP_1)
	v_mul_f32_e64 v219, v0, -v218
.LBB77_268:
	s_or_b32 exec_lo, exec_lo, s1
	ds_store_b64 v237, v[218:219]
.LBB77_269:
	s_or_b32 exec_lo, exec_lo, s2
	s_wait_dscnt 0x0
	s_barrier_signal -1
	s_barrier_wait -1
	ds_load_b64 v[216:217], v237
	s_mov_b32 s1, exec_lo
	v_cmpx_lt_u32_e32 29, v236
	s_cbranch_execz .LBB77_271
; %bb.270:
	ds_load_2addr_b64 v[222:225], v238 offset0:30 offset1:31
	s_wait_dscnt 0x1
	v_pk_mul_f32 v[0:1], v[216:217], v[116:117] op_sel:[1,1] op_sel_hi:[0,1]
	s_delay_alu instid0(VALU_DEP_1) | instskip(SKIP_1) | instid1(VALU_DEP_1)
	v_pk_fma_f32 v[220:221], v[216:217], v[116:117], v[0:1] op_sel_hi:[1,0,1]
	v_pk_fma_f32 v[218:219], v[216:217], v[116:117], v[0:1] op_sel_hi:[1,0,1] neg_lo:[0,0,1] neg_hi:[0,0,1]
	v_dual_mov_b32 v117, v221 :: v_dual_mov_b32 v116, v218
	s_wait_dscnt 0x0
	s_delay_alu instid0(VALU_DEP_3) | instskip(NEXT) | instid1(VALU_DEP_1)
	v_pk_mul_f32 v[0:1], v[222:223], v[220:221] op_sel:[0,1]
	v_pk_fma_f32 v[226:227], v[222:223], v[218:219], v[0:1] op_sel:[0,0,1] op_sel_hi:[1,1,0] neg_lo:[0,0,1] neg_hi:[0,0,1]
	v_pk_fma_f32 v[0:1], v[222:223], v[218:219], v[0:1] op_sel:[0,0,1] op_sel_hi:[1,0,0]
	s_delay_alu instid0(VALU_DEP_1) | instskip(SKIP_1) | instid1(VALU_DEP_1)
	v_mov_b32_e32 v227, v1
	v_pk_mul_f32 v[0:1], v[224:225], v[220:221] op_sel:[0,1]
	v_pk_fma_f32 v[222:223], v[224:225], v[218:219], v[0:1] op_sel:[0,0,1] op_sel_hi:[1,1,0] neg_lo:[0,0,1] neg_hi:[0,0,1]
	v_pk_fma_f32 v[0:1], v[224:225], v[218:219], v[0:1] op_sel:[0,0,1] op_sel_hi:[1,0,0]
	s_delay_alu instid0(VALU_DEP_1) | instskip(SKIP_1) | instid1(VALU_DEP_2)
	v_mov_b32_e32 v223, v1
	v_pk_add_f32 v[118:119], v[118:119], v[226:227] neg_lo:[0,1] neg_hi:[0,1]
	v_pk_add_f32 v[114:115], v[114:115], v[222:223] neg_lo:[0,1] neg_hi:[0,1]
	ds_load_2addr_b64 v[222:225], v238 offset0:32 offset1:33
	s_wait_dscnt 0x0
	v_pk_mul_f32 v[0:1], v[222:223], v[220:221] op_sel:[0,1]
	s_delay_alu instid0(VALU_DEP_1) | instskip(SKIP_2) | instid1(VALU_DEP_2)
	v_pk_fma_f32 v[226:227], v[222:223], v[218:219], v[0:1] op_sel:[0,0,1] op_sel_hi:[1,1,0] neg_lo:[0,0,1] neg_hi:[0,0,1]
	v_pk_fma_f32 v[0:1], v[222:223], v[218:219], v[0:1] op_sel:[0,0,1] op_sel_hi:[1,0,0]
	v_dual_mul_f32 v222, v225, v221 :: v_dual_mov_b32 v0, v225
	v_dual_mov_b32 v227, v1 :: v_dual_mov_b32 v1, v224
	s_delay_alu instid0(VALU_DEP_2) | instskip(SKIP_1) | instid1(VALU_DEP_3)
	v_pk_fma_f32 v[222:223], v[224:225], v[116:117], v[222:223] op_sel_hi:[1,1,0] neg_lo:[0,0,1] neg_hi:[0,0,1]
	v_mul_f32_e32 v224, v225, v218
	v_pk_add_f32 v[142:143], v[142:143], v[226:227] neg_lo:[0,1] neg_hi:[0,1]
	s_delay_alu instid0(VALU_DEP_2) | instskip(NEXT) | instid1(VALU_DEP_1)
	v_pk_fma_f32 v[0:1], v[0:1], v[116:117], v[224:225] op_sel_hi:[1,1,0]
	v_mov_b32_e32 v223, v1
	s_delay_alu instid0(VALU_DEP_1) | instskip(SKIP_3) | instid1(VALU_DEP_1)
	v_pk_add_f32 v[138:139], v[138:139], v[222:223] neg_lo:[0,1] neg_hi:[0,1]
	ds_load_2addr_b64 v[222:225], v238 offset0:34 offset1:35
	s_wait_dscnt 0x0
	v_pk_mul_f32 v[0:1], v[222:223], v[220:221] op_sel:[0,1]
	v_pk_fma_f32 v[226:227], v[222:223], v[218:219], v[0:1] op_sel:[0,0,1] op_sel_hi:[1,1,0] neg_lo:[0,0,1] neg_hi:[0,0,1]
	v_pk_fma_f32 v[0:1], v[222:223], v[218:219], v[0:1] op_sel:[0,0,1] op_sel_hi:[1,0,0]
	s_delay_alu instid0(VALU_DEP_1) | instskip(SKIP_1) | instid1(VALU_DEP_2)
	v_mov_b32_e32 v227, v1
	v_pk_mul_f32 v[0:1], v[224:225], v[220:221] op_sel:[0,1]
	v_pk_add_f32 v[140:141], v[140:141], v[226:227] neg_lo:[0,1] neg_hi:[0,1]
	s_delay_alu instid0(VALU_DEP_2) | instskip(SKIP_1) | instid1(VALU_DEP_1)
	v_pk_fma_f32 v[222:223], v[224:225], v[218:219], v[0:1] op_sel:[0,0,1] op_sel_hi:[1,1,0] neg_lo:[0,0,1] neg_hi:[0,0,1]
	v_pk_fma_f32 v[0:1], v[224:225], v[218:219], v[0:1] op_sel:[0,0,1] op_sel_hi:[1,0,0]
	v_mov_b32_e32 v223, v1
	s_delay_alu instid0(VALU_DEP_1) | instskip(SKIP_3) | instid1(VALU_DEP_1)
	v_pk_add_f32 v[154:155], v[154:155], v[222:223] neg_lo:[0,1] neg_hi:[0,1]
	ds_load_2addr_b64 v[222:225], v238 offset0:36 offset1:37
	s_wait_dscnt 0x0
	v_pk_mul_f32 v[0:1], v[222:223], v[220:221] op_sel:[0,1]
	v_pk_fma_f32 v[226:227], v[222:223], v[218:219], v[0:1] op_sel:[0,0,1] op_sel_hi:[1,1,0] neg_lo:[0,0,1] neg_hi:[0,0,1]
	v_pk_fma_f32 v[0:1], v[222:223], v[218:219], v[0:1] op_sel:[0,0,1] op_sel_hi:[1,0,0]
	s_delay_alu instid0(VALU_DEP_1) | instskip(SKIP_1) | instid1(VALU_DEP_2)
	v_mov_b32_e32 v227, v1
	v_pk_mul_f32 v[0:1], v[224:225], v[220:221] op_sel:[0,1]
	v_pk_add_f32 v[152:153], v[152:153], v[226:227] neg_lo:[0,1] neg_hi:[0,1]
	s_delay_alu instid0(VALU_DEP_2) | instskip(SKIP_1) | instid1(VALU_DEP_1)
	v_pk_fma_f32 v[222:223], v[224:225], v[218:219], v[0:1] op_sel:[0,0,1] op_sel_hi:[1,1,0] neg_lo:[0,0,1] neg_hi:[0,0,1]
	v_pk_fma_f32 v[0:1], v[224:225], v[218:219], v[0:1] op_sel:[0,0,1] op_sel_hi:[1,0,0]
	v_mov_b32_e32 v223, v1
	ds_load_b64 v[0:1], v238 offset:304
	v_pk_add_f32 v[144:145], v[144:145], v[222:223] neg_lo:[0,1] neg_hi:[0,1]
	s_wait_dscnt 0x0
	v_pk_mul_f32 v[220:221], v[0:1], v[220:221] op_sel:[0,1]
	s_delay_alu instid0(VALU_DEP_1) | instskip(SKIP_1) | instid1(VALU_DEP_1)
	v_pk_fma_f32 v[222:223], v[0:1], v[218:219], v[220:221] op_sel:[0,0,1] op_sel_hi:[1,1,0] neg_lo:[0,0,1] neg_hi:[0,0,1]
	v_pk_fma_f32 v[0:1], v[0:1], v[218:219], v[220:221] op_sel:[0,0,1] op_sel_hi:[1,0,0]
	v_mov_b32_e32 v223, v1
	s_delay_alu instid0(VALU_DEP_1)
	v_pk_add_f32 v[156:157], v[156:157], v[222:223] neg_lo:[0,1] neg_hi:[0,1]
.LBB77_271:
	s_or_b32 exec_lo, exec_lo, s1
	s_delay_alu instid0(SALU_CYCLE_1)
	s_mov_b32 s2, exec_lo
	s_wait_dscnt 0x0
	s_barrier_signal -1
	s_barrier_wait -1
	v_cmpx_eq_u32_e32 30, v236
	s_cbranch_execz .LBB77_278
; %bb.272:
	ds_store_b64 v237, v[118:119]
	ds_store_2addr_b64 v238, v[114:115], v[142:143] offset0:31 offset1:32
	ds_store_2addr_b64 v238, v[138:139], v[140:141] offset0:33 offset1:34
	;; [unrolled: 1-line block ×4, first 2 shown]
	ds_load_b64 v[218:219], v237
	s_wait_dscnt 0x0
	v_cmp_neq_f32_e32 vcc_lo, 0, v218
	v_cmp_neq_f32_e64 s1, 0, v219
	s_or_b32 s1, vcc_lo, s1
	s_delay_alu instid0(SALU_CYCLE_1)
	s_and_b32 exec_lo, exec_lo, s1
	s_cbranch_execz .LBB77_278
; %bb.273:
	v_cmp_ngt_f32_e64 s1, |v218|, |v219|
                                        ; implicit-def: $vgpr220_vgpr221
	s_and_saveexec_b32 s4, s1
	s_delay_alu instid0(SALU_CYCLE_1)
	s_xor_b32 s1, exec_lo, s4
	s_cbranch_execz .LBB77_275
; %bb.274:
	v_div_scale_f32 v0, null, v219, v219, v218
	v_div_scale_f32 v221, vcc_lo, v218, v219, v218
	s_delay_alu instid0(VALU_DEP_2) | instskip(SKIP_1) | instid1(TRANS32_DEP_1)
	v_rcp_f32_e32 v1, v0
	v_nop
	v_fma_f32 v220, -v0, v1, 1.0
	s_delay_alu instid0(VALU_DEP_1) | instskip(NEXT) | instid1(VALU_DEP_1)
	v_fmac_f32_e32 v1, v220, v1
	v_mul_f32_e32 v220, v221, v1
	s_delay_alu instid0(VALU_DEP_1) | instskip(NEXT) | instid1(VALU_DEP_1)
	v_fma_f32 v222, -v0, v220, v221
	v_fmac_f32_e32 v220, v222, v1
	s_delay_alu instid0(VALU_DEP_1) | instskip(NEXT) | instid1(VALU_DEP_1)
	v_fma_f32 v0, -v0, v220, v221
	v_div_fmas_f32 v0, v0, v1, v220
	s_delay_alu instid0(VALU_DEP_1) | instskip(NEXT) | instid1(VALU_DEP_1)
	v_div_fixup_f32 v0, v0, v219, v218
	v_fmac_f32_e32 v219, v218, v0
	s_delay_alu instid0(VALU_DEP_1) | instskip(SKIP_1) | instid1(VALU_DEP_2)
	v_div_scale_f32 v1, null, v219, v219, 1.0
	v_div_scale_f32 v221, vcc_lo, 1.0, v219, 1.0
	v_rcp_f32_e32 v218, v1
	v_nop
	s_delay_alu instid0(TRANS32_DEP_1) | instskip(NEXT) | instid1(VALU_DEP_1)
	v_fma_f32 v220, -v1, v218, 1.0
	v_fmac_f32_e32 v218, v220, v218
	s_delay_alu instid0(VALU_DEP_1) | instskip(NEXT) | instid1(VALU_DEP_1)
	v_mul_f32_e32 v220, v221, v218
	v_fma_f32 v222, -v1, v220, v221
	s_delay_alu instid0(VALU_DEP_1) | instskip(NEXT) | instid1(VALU_DEP_1)
	v_fmac_f32_e32 v220, v222, v218
	v_fma_f32 v1, -v1, v220, v221
	s_delay_alu instid0(VALU_DEP_1) | instskip(NEXT) | instid1(VALU_DEP_1)
	v_div_fmas_f32 v1, v1, v218, v220
	v_div_fixup_f32 v1, v1, v219, 1.0
                                        ; implicit-def: $vgpr218_vgpr219
	s_delay_alu instid0(VALU_DEP_1)
	v_mul_f32_e32 v220, v0, v1
	v_xor_b32_e32 v221, 0x80000000, v1
.LBB77_275:
	s_and_not1_saveexec_b32 s1, s1
	s_cbranch_execz .LBB77_277
; %bb.276:
	v_div_scale_f32 v0, null, v218, v218, v219
	v_div_scale_f32 v221, vcc_lo, v219, v218, v219
	s_delay_alu instid0(VALU_DEP_2) | instskip(SKIP_1) | instid1(TRANS32_DEP_1)
	v_rcp_f32_e32 v1, v0
	v_nop
	v_fma_f32 v220, -v0, v1, 1.0
	s_delay_alu instid0(VALU_DEP_1) | instskip(NEXT) | instid1(VALU_DEP_1)
	v_fmac_f32_e32 v1, v220, v1
	v_mul_f32_e32 v220, v221, v1
	s_delay_alu instid0(VALU_DEP_1) | instskip(NEXT) | instid1(VALU_DEP_1)
	v_fma_f32 v222, -v0, v220, v221
	v_fmac_f32_e32 v220, v222, v1
	s_delay_alu instid0(VALU_DEP_1) | instskip(NEXT) | instid1(VALU_DEP_1)
	v_fma_f32 v0, -v0, v220, v221
	v_div_fmas_f32 v0, v0, v1, v220
	s_delay_alu instid0(VALU_DEP_1) | instskip(NEXT) | instid1(VALU_DEP_1)
	v_div_fixup_f32 v0, v0, v218, v219
	v_fmac_f32_e32 v218, v219, v0
	s_delay_alu instid0(VALU_DEP_1) | instskip(NEXT) | instid1(VALU_DEP_1)
	v_div_scale_f32 v1, null, v218, v218, 1.0
	v_rcp_f32_e32 v219, v1
	v_nop
	s_delay_alu instid0(TRANS32_DEP_1) | instskip(NEXT) | instid1(VALU_DEP_1)
	v_fma_f32 v220, -v1, v219, 1.0
	v_fmac_f32_e32 v219, v220, v219
	v_div_scale_f32 v220, vcc_lo, 1.0, v218, 1.0
	s_delay_alu instid0(VALU_DEP_1) | instskip(NEXT) | instid1(VALU_DEP_1)
	v_mul_f32_e32 v221, v220, v219
	v_fma_f32 v222, -v1, v221, v220
	s_delay_alu instid0(VALU_DEP_1) | instskip(NEXT) | instid1(VALU_DEP_1)
	v_fmac_f32_e32 v221, v222, v219
	v_fma_f32 v1, -v1, v221, v220
	s_delay_alu instid0(VALU_DEP_1) | instskip(NEXT) | instid1(VALU_DEP_1)
	v_div_fmas_f32 v1, v1, v219, v221
	v_div_fixup_f32 v220, v1, v218, 1.0
	s_delay_alu instid0(VALU_DEP_1)
	v_mul_f32_e64 v221, v0, -v220
.LBB77_277:
	s_or_b32 exec_lo, exec_lo, s1
	ds_store_b64 v237, v[220:221]
.LBB77_278:
	s_or_b32 exec_lo, exec_lo, s2
	s_wait_dscnt 0x0
	s_barrier_signal -1
	s_barrier_wait -1
	ds_load_b64 v[218:219], v237
	s_mov_b32 s1, exec_lo
	v_cmpx_lt_u32_e32 30, v236
	s_cbranch_execz .LBB77_280
; %bb.279:
	ds_load_2addr_b64 v[224:227], v238 offset0:31 offset1:32
	s_wait_dscnt 0x1
	v_pk_mul_f32 v[0:1], v[218:219], v[118:119] op_sel:[1,1] op_sel_hi:[0,1]
	s_delay_alu instid0(VALU_DEP_1) | instskip(SKIP_1) | instid1(VALU_DEP_1)
	v_pk_fma_f32 v[222:223], v[218:219], v[118:119], v[0:1] op_sel_hi:[1,0,1]
	v_pk_fma_f32 v[220:221], v[218:219], v[118:119], v[0:1] op_sel_hi:[1,0,1] neg_lo:[0,0,1] neg_hi:[0,0,1]
	v_dual_mov_b32 v119, v223 :: v_dual_mov_b32 v118, v220
	s_wait_dscnt 0x0
	s_delay_alu instid0(VALU_DEP_3) | instskip(NEXT) | instid1(VALU_DEP_1)
	v_pk_mul_f32 v[0:1], v[224:225], v[222:223] op_sel:[0,1]
	v_pk_fma_f32 v[228:229], v[224:225], v[220:221], v[0:1] op_sel:[0,0,1] op_sel_hi:[1,1,0] neg_lo:[0,0,1] neg_hi:[0,0,1]
	v_pk_fma_f32 v[0:1], v[224:225], v[220:221], v[0:1] op_sel:[0,0,1] op_sel_hi:[1,0,0]
	s_delay_alu instid0(VALU_DEP_1) | instskip(SKIP_1) | instid1(VALU_DEP_1)
	v_mov_b32_e32 v229, v1
	v_pk_mul_f32 v[0:1], v[226:227], v[222:223] op_sel:[0,1]
	v_pk_fma_f32 v[224:225], v[226:227], v[220:221], v[0:1] op_sel:[0,0,1] op_sel_hi:[1,1,0] neg_lo:[0,0,1] neg_hi:[0,0,1]
	v_pk_fma_f32 v[0:1], v[226:227], v[220:221], v[0:1] op_sel:[0,0,1] op_sel_hi:[1,0,0]
	s_delay_alu instid0(VALU_DEP_1) | instskip(SKIP_1) | instid1(VALU_DEP_2)
	v_mov_b32_e32 v225, v1
	v_pk_add_f32 v[114:115], v[114:115], v[228:229] neg_lo:[0,1] neg_hi:[0,1]
	v_pk_add_f32 v[142:143], v[142:143], v[224:225] neg_lo:[0,1] neg_hi:[0,1]
	ds_load_2addr_b64 v[224:227], v238 offset0:33 offset1:34
	s_wait_dscnt 0x0
	v_pk_mul_f32 v[0:1], v[224:225], v[222:223] op_sel:[0,1]
	s_delay_alu instid0(VALU_DEP_1) | instskip(SKIP_2) | instid1(VALU_DEP_2)
	v_pk_fma_f32 v[228:229], v[224:225], v[220:221], v[0:1] op_sel:[0,0,1] op_sel_hi:[1,1,0] neg_lo:[0,0,1] neg_hi:[0,0,1]
	v_pk_fma_f32 v[0:1], v[224:225], v[220:221], v[0:1] op_sel:[0,0,1] op_sel_hi:[1,0,0]
	v_dual_mul_f32 v224, v227, v223 :: v_dual_mov_b32 v0, v227
	v_dual_mov_b32 v229, v1 :: v_dual_mov_b32 v1, v226
	s_delay_alu instid0(VALU_DEP_2) | instskip(SKIP_1) | instid1(VALU_DEP_3)
	v_pk_fma_f32 v[224:225], v[226:227], v[118:119], v[224:225] op_sel_hi:[1,1,0] neg_lo:[0,0,1] neg_hi:[0,0,1]
	v_mul_f32_e32 v226, v227, v220
	v_pk_add_f32 v[138:139], v[138:139], v[228:229] neg_lo:[0,1] neg_hi:[0,1]
	s_delay_alu instid0(VALU_DEP_2) | instskip(NEXT) | instid1(VALU_DEP_1)
	v_pk_fma_f32 v[0:1], v[0:1], v[118:119], v[226:227] op_sel_hi:[1,1,0]
	v_mov_b32_e32 v225, v1
	s_delay_alu instid0(VALU_DEP_1) | instskip(SKIP_3) | instid1(VALU_DEP_1)
	v_pk_add_f32 v[140:141], v[140:141], v[224:225] neg_lo:[0,1] neg_hi:[0,1]
	ds_load_2addr_b64 v[224:227], v238 offset0:35 offset1:36
	s_wait_dscnt 0x0
	v_pk_mul_f32 v[0:1], v[224:225], v[222:223] op_sel:[0,1]
	v_pk_fma_f32 v[228:229], v[224:225], v[220:221], v[0:1] op_sel:[0,0,1] op_sel_hi:[1,1,0] neg_lo:[0,0,1] neg_hi:[0,0,1]
	v_pk_fma_f32 v[0:1], v[224:225], v[220:221], v[0:1] op_sel:[0,0,1] op_sel_hi:[1,0,0]
	s_delay_alu instid0(VALU_DEP_1) | instskip(SKIP_1) | instid1(VALU_DEP_1)
	v_mov_b32_e32 v229, v1
	v_pk_mul_f32 v[0:1], v[226:227], v[222:223] op_sel:[0,1]
	v_pk_fma_f32 v[224:225], v[226:227], v[220:221], v[0:1] op_sel:[0,0,1] op_sel_hi:[1,1,0] neg_lo:[0,0,1] neg_hi:[0,0,1]
	v_pk_fma_f32 v[0:1], v[226:227], v[220:221], v[0:1] op_sel:[0,0,1] op_sel_hi:[1,0,0]
	s_delay_alu instid0(VALU_DEP_1) | instskip(SKIP_1) | instid1(VALU_DEP_2)
	v_mov_b32_e32 v225, v1
	v_pk_add_f32 v[154:155], v[154:155], v[228:229] neg_lo:[0,1] neg_hi:[0,1]
	v_pk_add_f32 v[152:153], v[152:153], v[224:225] neg_lo:[0,1] neg_hi:[0,1]
	ds_load_2addr_b64 v[224:227], v238 offset0:37 offset1:38
	s_wait_dscnt 0x0
	v_pk_mul_f32 v[0:1], v[224:225], v[222:223] op_sel:[0,1]
	s_delay_alu instid0(VALU_DEP_1) | instskip(SKIP_1) | instid1(VALU_DEP_1)
	v_pk_fma_f32 v[228:229], v[224:225], v[220:221], v[0:1] op_sel:[0,0,1] op_sel_hi:[1,1,0] neg_lo:[0,0,1] neg_hi:[0,0,1]
	v_pk_fma_f32 v[0:1], v[224:225], v[220:221], v[0:1] op_sel:[0,0,1] op_sel_hi:[1,0,0]
	v_mov_b32_e32 v229, v1
	v_pk_mul_f32 v[0:1], v[226:227], v[222:223] op_sel:[0,1]
	s_delay_alu instid0(VALU_DEP_1) | instskip(SKIP_1) | instid1(VALU_DEP_1)
	v_pk_fma_f32 v[222:223], v[226:227], v[220:221], v[0:1] op_sel:[0,0,1] op_sel_hi:[1,1,0] neg_lo:[0,0,1] neg_hi:[0,0,1]
	v_pk_fma_f32 v[0:1], v[226:227], v[220:221], v[0:1] op_sel:[0,0,1] op_sel_hi:[1,0,0]
	v_mov_b32_e32 v223, v1
	v_pk_add_f32 v[144:145], v[144:145], v[228:229] neg_lo:[0,1] neg_hi:[0,1]
	s_delay_alu instid0(VALU_DEP_2)
	v_pk_add_f32 v[156:157], v[156:157], v[222:223] neg_lo:[0,1] neg_hi:[0,1]
.LBB77_280:
	s_or_b32 exec_lo, exec_lo, s1
	s_delay_alu instid0(SALU_CYCLE_1)
	s_mov_b32 s2, exec_lo
	s_wait_dscnt 0x0
	s_barrier_signal -1
	s_barrier_wait -1
	v_cmpx_eq_u32_e32 31, v236
	s_cbranch_execz .LBB77_287
; %bb.281:
	v_dual_mov_b32 v0, v142 :: v_dual_mov_b32 v1, v143
	v_dual_mov_b32 v220, v138 :: v_dual_mov_b32 v221, v139
	;; [unrolled: 1-line block ×6, first 2 shown]
	ds_store_b64 v237, v[114:115]
	ds_store_2addr_b64 v238, v[0:1], v[220:221] offset0:32 offset1:33
	ds_store_2addr_b64 v238, v[222:223], v[224:225] offset0:34 offset1:35
	;; [unrolled: 1-line block ×3, first 2 shown]
	ds_store_b64 v238, v[156:157] offset:304
	ds_load_b64 v[220:221], v237
	s_wait_dscnt 0x0
	v_cmp_neq_f32_e32 vcc_lo, 0, v220
	v_cmp_neq_f32_e64 s1, 0, v221
	s_or_b32 s1, vcc_lo, s1
	s_delay_alu instid0(SALU_CYCLE_1)
	s_and_b32 exec_lo, exec_lo, s1
	s_cbranch_execz .LBB77_287
; %bb.282:
	v_cmp_ngt_f32_e64 s1, |v220|, |v221|
                                        ; implicit-def: $vgpr222_vgpr223
	s_and_saveexec_b32 s4, s1
	s_delay_alu instid0(SALU_CYCLE_1)
	s_xor_b32 s1, exec_lo, s4
	s_cbranch_execz .LBB77_284
; %bb.283:
	v_div_scale_f32 v0, null, v221, v221, v220
	v_div_scale_f32 v223, vcc_lo, v220, v221, v220
	s_delay_alu instid0(VALU_DEP_2) | instskip(SKIP_1) | instid1(TRANS32_DEP_1)
	v_rcp_f32_e32 v1, v0
	v_nop
	v_fma_f32 v222, -v0, v1, 1.0
	s_delay_alu instid0(VALU_DEP_1) | instskip(NEXT) | instid1(VALU_DEP_1)
	v_fmac_f32_e32 v1, v222, v1
	v_mul_f32_e32 v222, v223, v1
	s_delay_alu instid0(VALU_DEP_1) | instskip(NEXT) | instid1(VALU_DEP_1)
	v_fma_f32 v224, -v0, v222, v223
	v_fmac_f32_e32 v222, v224, v1
	s_delay_alu instid0(VALU_DEP_1) | instskip(NEXT) | instid1(VALU_DEP_1)
	v_fma_f32 v0, -v0, v222, v223
	v_div_fmas_f32 v0, v0, v1, v222
	s_delay_alu instid0(VALU_DEP_1) | instskip(NEXT) | instid1(VALU_DEP_1)
	v_div_fixup_f32 v0, v0, v221, v220
	v_fmac_f32_e32 v221, v220, v0
	s_delay_alu instid0(VALU_DEP_1) | instskip(SKIP_1) | instid1(VALU_DEP_2)
	v_div_scale_f32 v1, null, v221, v221, 1.0
	v_div_scale_f32 v223, vcc_lo, 1.0, v221, 1.0
	v_rcp_f32_e32 v220, v1
	v_nop
	s_delay_alu instid0(TRANS32_DEP_1) | instskip(NEXT) | instid1(VALU_DEP_1)
	v_fma_f32 v222, -v1, v220, 1.0
	v_fmac_f32_e32 v220, v222, v220
	s_delay_alu instid0(VALU_DEP_1) | instskip(NEXT) | instid1(VALU_DEP_1)
	v_mul_f32_e32 v222, v223, v220
	v_fma_f32 v224, -v1, v222, v223
	s_delay_alu instid0(VALU_DEP_1) | instskip(NEXT) | instid1(VALU_DEP_1)
	v_fmac_f32_e32 v222, v224, v220
	v_fma_f32 v1, -v1, v222, v223
	s_delay_alu instid0(VALU_DEP_1) | instskip(NEXT) | instid1(VALU_DEP_1)
	v_div_fmas_f32 v1, v1, v220, v222
	v_div_fixup_f32 v1, v1, v221, 1.0
                                        ; implicit-def: $vgpr220_vgpr221
	s_delay_alu instid0(VALU_DEP_1)
	v_mul_f32_e32 v222, v0, v1
	v_xor_b32_e32 v223, 0x80000000, v1
.LBB77_284:
	s_and_not1_saveexec_b32 s1, s1
	s_cbranch_execz .LBB77_286
; %bb.285:
	v_div_scale_f32 v0, null, v220, v220, v221
	v_div_scale_f32 v223, vcc_lo, v221, v220, v221
	s_delay_alu instid0(VALU_DEP_2) | instskip(SKIP_1) | instid1(TRANS32_DEP_1)
	v_rcp_f32_e32 v1, v0
	v_nop
	v_fma_f32 v222, -v0, v1, 1.0
	s_delay_alu instid0(VALU_DEP_1) | instskip(NEXT) | instid1(VALU_DEP_1)
	v_fmac_f32_e32 v1, v222, v1
	v_mul_f32_e32 v222, v223, v1
	s_delay_alu instid0(VALU_DEP_1) | instskip(NEXT) | instid1(VALU_DEP_1)
	v_fma_f32 v224, -v0, v222, v223
	v_fmac_f32_e32 v222, v224, v1
	s_delay_alu instid0(VALU_DEP_1) | instskip(NEXT) | instid1(VALU_DEP_1)
	v_fma_f32 v0, -v0, v222, v223
	v_div_fmas_f32 v0, v0, v1, v222
	s_delay_alu instid0(VALU_DEP_1) | instskip(NEXT) | instid1(VALU_DEP_1)
	v_div_fixup_f32 v0, v0, v220, v221
	v_fmac_f32_e32 v220, v221, v0
	s_delay_alu instid0(VALU_DEP_1) | instskip(NEXT) | instid1(VALU_DEP_1)
	v_div_scale_f32 v1, null, v220, v220, 1.0
	v_rcp_f32_e32 v221, v1
	v_nop
	s_delay_alu instid0(TRANS32_DEP_1) | instskip(NEXT) | instid1(VALU_DEP_1)
	v_fma_f32 v222, -v1, v221, 1.0
	v_fmac_f32_e32 v221, v222, v221
	v_div_scale_f32 v222, vcc_lo, 1.0, v220, 1.0
	s_delay_alu instid0(VALU_DEP_1) | instskip(NEXT) | instid1(VALU_DEP_1)
	v_mul_f32_e32 v223, v222, v221
	v_fma_f32 v224, -v1, v223, v222
	s_delay_alu instid0(VALU_DEP_1) | instskip(NEXT) | instid1(VALU_DEP_1)
	v_fmac_f32_e32 v223, v224, v221
	v_fma_f32 v1, -v1, v223, v222
	s_delay_alu instid0(VALU_DEP_1) | instskip(NEXT) | instid1(VALU_DEP_1)
	v_div_fmas_f32 v1, v1, v221, v223
	v_div_fixup_f32 v222, v1, v220, 1.0
	s_delay_alu instid0(VALU_DEP_1)
	v_mul_f32_e64 v223, v0, -v222
.LBB77_286:
	s_or_b32 exec_lo, exec_lo, s1
	ds_store_b64 v237, v[222:223]
.LBB77_287:
	s_or_b32 exec_lo, exec_lo, s2
	s_wait_dscnt 0x0
	s_barrier_signal -1
	s_barrier_wait -1
	ds_load_b64 v[220:221], v237
	s_mov_b32 s1, exec_lo
	v_cmpx_lt_u32_e32 31, v236
	s_cbranch_execz .LBB77_289
; %bb.288:
	ds_load_2addr_b64 v[224:227], v238 offset0:32 offset1:33
	s_wait_dscnt 0x1
	v_pk_mul_f32 v[0:1], v[220:221], v[114:115] op_sel:[1,1] op_sel_hi:[0,1]
	s_delay_alu instid0(VALU_DEP_1) | instskip(SKIP_1) | instid1(VALU_DEP_1)
	v_pk_fma_f32 v[222:223], v[220:221], v[114:115], v[0:1] op_sel_hi:[1,0,1] neg_lo:[0,0,1] neg_hi:[0,0,1]
	v_pk_fma_f32 v[0:1], v[220:221], v[114:115], v[0:1] op_sel_hi:[1,0,1]
	v_dual_mov_b32 v114, v222 :: v_dual_mov_b32 v115, v1
	s_wait_dscnt 0x0
	s_delay_alu instid0(VALU_DEP_2) | instskip(NEXT) | instid1(VALU_DEP_1)
	v_pk_mul_f32 v[228:229], v[224:225], v[0:1] op_sel:[0,1]
	v_pk_fma_f32 v[230:231], v[224:225], v[222:223], v[228:229] op_sel:[0,0,1] op_sel_hi:[1,1,0] neg_lo:[0,0,1] neg_hi:[0,0,1]
	v_pk_fma_f32 v[224:225], v[224:225], v[222:223], v[228:229] op_sel:[0,0,1] op_sel_hi:[1,0,0]
	s_delay_alu instid0(VALU_DEP_1) | instskip(SKIP_1) | instid1(VALU_DEP_1)
	v_mov_b32_e32 v231, v225
	v_pk_mul_f32 v[224:225], v[226:227], v[0:1] op_sel:[0,1]
	v_pk_fma_f32 v[228:229], v[226:227], v[222:223], v[224:225] op_sel:[0,0,1] op_sel_hi:[1,1,0] neg_lo:[0,0,1] neg_hi:[0,0,1]
	v_pk_fma_f32 v[224:225], v[226:227], v[222:223], v[224:225] op_sel:[0,0,1] op_sel_hi:[1,0,0]
	s_delay_alu instid0(VALU_DEP_1)
	v_mov_b32_e32 v229, v225
	ds_load_2addr_b64 v[224:227], v238 offset0:34 offset1:35
	v_pk_add_f32 v[142:143], v[142:143], v[230:231] neg_lo:[0,1] neg_hi:[0,1]
	v_pk_add_f32 v[138:139], v[138:139], v[228:229] neg_lo:[0,1] neg_hi:[0,1]
	s_wait_dscnt 0x0
	v_pk_mul_f32 v[228:229], v[224:225], v[0:1] op_sel:[0,1]
	s_delay_alu instid0(VALU_DEP_1) | instskip(SKIP_2) | instid1(VALU_DEP_2)
	v_pk_fma_f32 v[230:231], v[224:225], v[222:223], v[228:229] op_sel:[0,0,1] op_sel_hi:[1,1,0] neg_lo:[0,0,1] neg_hi:[0,0,1]
	v_pk_fma_f32 v[224:225], v[224:225], v[222:223], v[228:229] op_sel:[0,0,1] op_sel_hi:[1,0,0]
	v_dual_mul_f32 v228, v227, v1 :: v_dual_mov_b32 v224, v227
	v_dual_mov_b32 v231, v225 :: v_dual_mov_b32 v225, v226
	s_delay_alu instid0(VALU_DEP_2) | instskip(SKIP_1) | instid1(VALU_DEP_3)
	v_pk_fma_f32 v[228:229], v[226:227], v[114:115], v[228:229] op_sel_hi:[1,1,0] neg_lo:[0,0,1] neg_hi:[0,0,1]
	v_mul_f32_e32 v226, v227, v222
	v_pk_add_f32 v[140:141], v[140:141], v[230:231] neg_lo:[0,1] neg_hi:[0,1]
	s_delay_alu instid0(VALU_DEP_2) | instskip(NEXT) | instid1(VALU_DEP_1)
	v_pk_fma_f32 v[224:225], v[224:225], v[114:115], v[226:227] op_sel_hi:[1,1,0]
	v_mov_b32_e32 v229, v225
	ds_load_2addr_b64 v[224:227], v238 offset0:36 offset1:37
	v_pk_add_f32 v[154:155], v[154:155], v[228:229] neg_lo:[0,1] neg_hi:[0,1]
	s_wait_dscnt 0x0
	v_pk_mul_f32 v[228:229], v[224:225], v[0:1] op_sel:[0,1]
	s_delay_alu instid0(VALU_DEP_1) | instskip(SKIP_1) | instid1(VALU_DEP_1)
	v_pk_fma_f32 v[230:231], v[224:225], v[222:223], v[228:229] op_sel:[0,0,1] op_sel_hi:[1,1,0] neg_lo:[0,0,1] neg_hi:[0,0,1]
	v_pk_fma_f32 v[224:225], v[224:225], v[222:223], v[228:229] op_sel:[0,0,1] op_sel_hi:[1,0,0]
	v_mov_b32_e32 v231, v225
	v_pk_mul_f32 v[224:225], v[226:227], v[0:1] op_sel:[0,1]
	s_delay_alu instid0(VALU_DEP_1) | instskip(SKIP_1) | instid1(VALU_DEP_1)
	v_pk_fma_f32 v[228:229], v[226:227], v[222:223], v[224:225] op_sel:[0,0,1] op_sel_hi:[1,1,0] neg_lo:[0,0,1] neg_hi:[0,0,1]
	v_pk_fma_f32 v[224:225], v[226:227], v[222:223], v[224:225] op_sel:[0,0,1] op_sel_hi:[1,0,0]
	v_mov_b32_e32 v229, v225
	ds_load_b64 v[224:225], v238 offset:304
	v_pk_add_f32 v[152:153], v[152:153], v[230:231] neg_lo:[0,1] neg_hi:[0,1]
	v_pk_add_f32 v[144:145], v[144:145], v[228:229] neg_lo:[0,1] neg_hi:[0,1]
	s_wait_dscnt 0x0
	v_pk_mul_f32 v[0:1], v[224:225], v[0:1] op_sel:[0,1]
	s_delay_alu instid0(VALU_DEP_1) | instskip(SKIP_1) | instid1(VALU_DEP_1)
	v_pk_fma_f32 v[226:227], v[224:225], v[222:223], v[0:1] op_sel:[0,0,1] op_sel_hi:[1,1,0] neg_lo:[0,0,1] neg_hi:[0,0,1]
	v_pk_fma_f32 v[0:1], v[224:225], v[222:223], v[0:1] op_sel:[0,0,1] op_sel_hi:[1,0,0]
	v_mov_b32_e32 v227, v1
	s_delay_alu instid0(VALU_DEP_1)
	v_pk_add_f32 v[156:157], v[156:157], v[226:227] neg_lo:[0,1] neg_hi:[0,1]
.LBB77_289:
	s_or_b32 exec_lo, exec_lo, s1
	s_delay_alu instid0(SALU_CYCLE_1)
	s_mov_b32 s2, exec_lo
	s_wait_dscnt 0x0
	s_barrier_signal -1
	s_barrier_wait -1
	v_cmpx_eq_u32_e32 32, v236
	s_cbranch_execz .LBB77_296
; %bb.290:
	ds_store_b64 v237, v[142:143]
	ds_store_2addr_b64 v238, v[138:139], v[140:141] offset0:33 offset1:34
	ds_store_2addr_b64 v238, v[154:155], v[152:153] offset0:35 offset1:36
	;; [unrolled: 1-line block ×3, first 2 shown]
	ds_load_b64 v[222:223], v237
	s_wait_dscnt 0x0
	v_cmp_neq_f32_e32 vcc_lo, 0, v222
	v_cmp_neq_f32_e64 s1, 0, v223
	s_or_b32 s1, vcc_lo, s1
	s_delay_alu instid0(SALU_CYCLE_1)
	s_and_b32 exec_lo, exec_lo, s1
	s_cbranch_execz .LBB77_296
; %bb.291:
	v_cmp_ngt_f32_e64 s1, |v222|, |v223|
                                        ; implicit-def: $vgpr224_vgpr225
	s_and_saveexec_b32 s4, s1
	s_delay_alu instid0(SALU_CYCLE_1)
	s_xor_b32 s1, exec_lo, s4
	s_cbranch_execz .LBB77_293
; %bb.292:
	v_div_scale_f32 v0, null, v223, v223, v222
	v_div_scale_f32 v225, vcc_lo, v222, v223, v222
	s_delay_alu instid0(VALU_DEP_2) | instskip(SKIP_1) | instid1(TRANS32_DEP_1)
	v_rcp_f32_e32 v1, v0
	v_nop
	v_fma_f32 v224, -v0, v1, 1.0
	s_delay_alu instid0(VALU_DEP_1) | instskip(NEXT) | instid1(VALU_DEP_1)
	v_fmac_f32_e32 v1, v224, v1
	v_mul_f32_e32 v224, v225, v1
	s_delay_alu instid0(VALU_DEP_1) | instskip(NEXT) | instid1(VALU_DEP_1)
	v_fma_f32 v226, -v0, v224, v225
	v_fmac_f32_e32 v224, v226, v1
	s_delay_alu instid0(VALU_DEP_1) | instskip(NEXT) | instid1(VALU_DEP_1)
	v_fma_f32 v0, -v0, v224, v225
	v_div_fmas_f32 v0, v0, v1, v224
	s_delay_alu instid0(VALU_DEP_1) | instskip(NEXT) | instid1(VALU_DEP_1)
	v_div_fixup_f32 v0, v0, v223, v222
	v_fmac_f32_e32 v223, v222, v0
	s_delay_alu instid0(VALU_DEP_1) | instskip(SKIP_1) | instid1(VALU_DEP_2)
	v_div_scale_f32 v1, null, v223, v223, 1.0
	v_div_scale_f32 v225, vcc_lo, 1.0, v223, 1.0
	v_rcp_f32_e32 v222, v1
	v_nop
	s_delay_alu instid0(TRANS32_DEP_1) | instskip(NEXT) | instid1(VALU_DEP_1)
	v_fma_f32 v224, -v1, v222, 1.0
	v_fmac_f32_e32 v222, v224, v222
	s_delay_alu instid0(VALU_DEP_1) | instskip(NEXT) | instid1(VALU_DEP_1)
	v_mul_f32_e32 v224, v225, v222
	v_fma_f32 v226, -v1, v224, v225
	s_delay_alu instid0(VALU_DEP_1) | instskip(NEXT) | instid1(VALU_DEP_1)
	v_fmac_f32_e32 v224, v226, v222
	v_fma_f32 v1, -v1, v224, v225
	s_delay_alu instid0(VALU_DEP_1) | instskip(NEXT) | instid1(VALU_DEP_1)
	v_div_fmas_f32 v1, v1, v222, v224
	v_div_fixup_f32 v1, v1, v223, 1.0
                                        ; implicit-def: $vgpr222_vgpr223
	s_delay_alu instid0(VALU_DEP_1)
	v_mul_f32_e32 v224, v0, v1
	v_xor_b32_e32 v225, 0x80000000, v1
.LBB77_293:
	s_and_not1_saveexec_b32 s1, s1
	s_cbranch_execz .LBB77_295
; %bb.294:
	v_div_scale_f32 v0, null, v222, v222, v223
	v_div_scale_f32 v225, vcc_lo, v223, v222, v223
	s_delay_alu instid0(VALU_DEP_2) | instskip(SKIP_1) | instid1(TRANS32_DEP_1)
	v_rcp_f32_e32 v1, v0
	v_nop
	v_fma_f32 v224, -v0, v1, 1.0
	s_delay_alu instid0(VALU_DEP_1) | instskip(NEXT) | instid1(VALU_DEP_1)
	v_fmac_f32_e32 v1, v224, v1
	v_mul_f32_e32 v224, v225, v1
	s_delay_alu instid0(VALU_DEP_1) | instskip(NEXT) | instid1(VALU_DEP_1)
	v_fma_f32 v226, -v0, v224, v225
	v_fmac_f32_e32 v224, v226, v1
	s_delay_alu instid0(VALU_DEP_1) | instskip(NEXT) | instid1(VALU_DEP_1)
	v_fma_f32 v0, -v0, v224, v225
	v_div_fmas_f32 v0, v0, v1, v224
	s_delay_alu instid0(VALU_DEP_1) | instskip(NEXT) | instid1(VALU_DEP_1)
	v_div_fixup_f32 v0, v0, v222, v223
	v_fmac_f32_e32 v222, v223, v0
	s_delay_alu instid0(VALU_DEP_1) | instskip(NEXT) | instid1(VALU_DEP_1)
	v_div_scale_f32 v1, null, v222, v222, 1.0
	v_rcp_f32_e32 v223, v1
	v_nop
	s_delay_alu instid0(TRANS32_DEP_1) | instskip(NEXT) | instid1(VALU_DEP_1)
	v_fma_f32 v224, -v1, v223, 1.0
	v_fmac_f32_e32 v223, v224, v223
	v_div_scale_f32 v224, vcc_lo, 1.0, v222, 1.0
	s_delay_alu instid0(VALU_DEP_1) | instskip(NEXT) | instid1(VALU_DEP_1)
	v_mul_f32_e32 v225, v224, v223
	v_fma_f32 v226, -v1, v225, v224
	s_delay_alu instid0(VALU_DEP_1) | instskip(NEXT) | instid1(VALU_DEP_1)
	v_fmac_f32_e32 v225, v226, v223
	v_fma_f32 v1, -v1, v225, v224
	s_delay_alu instid0(VALU_DEP_1) | instskip(NEXT) | instid1(VALU_DEP_1)
	v_div_fmas_f32 v1, v1, v223, v225
	v_div_fixup_f32 v224, v1, v222, 1.0
	s_delay_alu instid0(VALU_DEP_1)
	v_mul_f32_e64 v225, v0, -v224
.LBB77_295:
	s_or_b32 exec_lo, exec_lo, s1
	ds_store_b64 v237, v[224:225]
.LBB77_296:
	s_or_b32 exec_lo, exec_lo, s2
	s_wait_dscnt 0x0
	s_barrier_signal -1
	s_barrier_wait -1
	ds_load_b64 v[222:223], v237
	s_mov_b32 s1, exec_lo
	v_cmpx_lt_u32_e32 32, v236
	s_cbranch_execz .LBB77_298
; %bb.297:
	ds_load_2addr_b64 v[224:227], v238 offset0:33 offset1:34
	s_wait_dscnt 0x1
	v_pk_mul_f32 v[0:1], v[222:223], v[142:143] op_sel:[1,1] op_sel_hi:[0,1]
	s_delay_alu instid0(VALU_DEP_1) | instskip(SKIP_1) | instid1(VALU_DEP_1)
	v_pk_fma_f32 v[228:229], v[222:223], v[142:143], v[0:1] op_sel_hi:[1,0,1] neg_lo:[0,0,1] neg_hi:[0,0,1]
	v_pk_fma_f32 v[0:1], v[222:223], v[142:143], v[0:1] op_sel_hi:[1,0,1]
	v_dual_mov_b32 v142, v228 :: v_dual_mov_b32 v143, v1
	s_wait_dscnt 0x0
	s_delay_alu instid0(VALU_DEP_2) | instskip(NEXT) | instid1(VALU_DEP_1)
	v_pk_mul_f32 v[230:231], v[224:225], v[0:1] op_sel:[0,1]
	v_pk_fma_f32 v[232:233], v[224:225], v[228:229], v[230:231] op_sel:[0,0,1] op_sel_hi:[1,1,0] neg_lo:[0,0,1] neg_hi:[0,0,1]
	v_pk_fma_f32 v[224:225], v[224:225], v[228:229], v[230:231] op_sel:[0,0,1] op_sel_hi:[1,0,0]
	s_delay_alu instid0(VALU_DEP_1) | instskip(SKIP_1) | instid1(VALU_DEP_1)
	v_mov_b32_e32 v233, v225
	v_pk_mul_f32 v[224:225], v[226:227], v[0:1] op_sel:[0,1]
	v_pk_fma_f32 v[230:231], v[226:227], v[228:229], v[224:225] op_sel:[0,0,1] op_sel_hi:[1,1,0] neg_lo:[0,0,1] neg_hi:[0,0,1]
	v_pk_fma_f32 v[224:225], v[226:227], v[228:229], v[224:225] op_sel:[0,0,1] op_sel_hi:[1,0,0]
	s_delay_alu instid0(VALU_DEP_1)
	v_mov_b32_e32 v231, v225
	ds_load_2addr_b64 v[224:227], v238 offset0:35 offset1:36
	v_pk_add_f32 v[138:139], v[138:139], v[232:233] neg_lo:[0,1] neg_hi:[0,1]
	v_pk_add_f32 v[140:141], v[140:141], v[230:231] neg_lo:[0,1] neg_hi:[0,1]
	s_wait_dscnt 0x0
	v_pk_mul_f32 v[230:231], v[224:225], v[0:1] op_sel:[0,1]
	s_delay_alu instid0(VALU_DEP_1) | instskip(SKIP_2) | instid1(VALU_DEP_2)
	v_pk_fma_f32 v[232:233], v[224:225], v[228:229], v[230:231] op_sel:[0,0,1] op_sel_hi:[1,1,0] neg_lo:[0,0,1] neg_hi:[0,0,1]
	v_pk_fma_f32 v[224:225], v[224:225], v[228:229], v[230:231] op_sel:[0,0,1] op_sel_hi:[1,0,0]
	v_dual_mul_f32 v230, v227, v1 :: v_dual_mov_b32 v224, v227
	v_dual_mov_b32 v233, v225 :: v_dual_mov_b32 v225, v226
	s_delay_alu instid0(VALU_DEP_2) | instskip(SKIP_1) | instid1(VALU_DEP_3)
	v_pk_fma_f32 v[230:231], v[226:227], v[142:143], v[230:231] op_sel_hi:[1,1,0] neg_lo:[0,0,1] neg_hi:[0,0,1]
	v_mul_f32_e32 v226, v227, v228
	v_pk_add_f32 v[154:155], v[154:155], v[232:233] neg_lo:[0,1] neg_hi:[0,1]
	s_delay_alu instid0(VALU_DEP_2) | instskip(NEXT) | instid1(VALU_DEP_1)
	v_pk_fma_f32 v[224:225], v[224:225], v[142:143], v[226:227] op_sel_hi:[1,1,0]
	v_mov_b32_e32 v231, v225
	ds_load_2addr_b64 v[224:227], v238 offset0:37 offset1:38
	v_pk_add_f32 v[152:153], v[152:153], v[230:231] neg_lo:[0,1] neg_hi:[0,1]
	s_wait_dscnt 0x0
	v_pk_mul_f32 v[230:231], v[224:225], v[0:1] op_sel:[0,1]
	v_mul_f32_e32 v0, v227, v1
	s_delay_alu instid0(VALU_DEP_2) | instskip(SKIP_2) | instid1(VALU_DEP_4)
	v_pk_fma_f32 v[232:233], v[224:225], v[228:229], v[230:231] op_sel:[0,0,1] op_sel_hi:[1,1,0] neg_lo:[0,0,1] neg_hi:[0,0,1]
	v_pk_fma_f32 v[224:225], v[224:225], v[228:229], v[230:231] op_sel:[0,0,1] op_sel_hi:[1,0,0]
	v_mov_b32_e32 v224, v227
	v_pk_fma_f32 v[0:1], v[226:227], v[142:143], v[0:1] op_sel_hi:[1,1,0] neg_lo:[0,0,1] neg_hi:[0,0,1]
	s_delay_alu instid0(VALU_DEP_3) | instskip(SKIP_1) | instid1(VALU_DEP_2)
	v_dual_mov_b32 v233, v225 :: v_dual_mov_b32 v225, v226
	v_mul_f32_e32 v226, v227, v228
	v_pk_add_f32 v[144:145], v[144:145], v[232:233] neg_lo:[0,1] neg_hi:[0,1]
	s_delay_alu instid0(VALU_DEP_2) | instskip(NEXT) | instid1(VALU_DEP_1)
	v_pk_fma_f32 v[224:225], v[224:225], v[142:143], v[226:227] op_sel_hi:[1,1,0]
	v_mov_b32_e32 v1, v225
	s_delay_alu instid0(VALU_DEP_1)
	v_pk_add_f32 v[156:157], v[156:157], v[0:1] neg_lo:[0,1] neg_hi:[0,1]
.LBB77_298:
	s_or_b32 exec_lo, exec_lo, s1
	s_delay_alu instid0(SALU_CYCLE_1)
	s_mov_b32 s2, exec_lo
	s_wait_dscnt 0x0
	s_barrier_signal -1
	s_barrier_wait -1
	v_cmpx_eq_u32_e32 33, v236
	s_cbranch_execz .LBB77_305
; %bb.299:
	v_dual_mov_b32 v0, v140 :: v_dual_mov_b32 v1, v141
	v_dual_mov_b32 v224, v154 :: v_dual_mov_b32 v225, v155
	;; [unrolled: 1-line block ×4, first 2 shown]
	ds_store_b64 v237, v[138:139]
	ds_store_2addr_b64 v238, v[0:1], v[224:225] offset0:34 offset1:35
	ds_store_2addr_b64 v238, v[226:227], v[228:229] offset0:36 offset1:37
	ds_store_b64 v238, v[156:157] offset:304
	ds_load_b64 v[224:225], v237
	s_wait_dscnt 0x0
	v_cmp_neq_f32_e32 vcc_lo, 0, v224
	v_cmp_neq_f32_e64 s1, 0, v225
	s_or_b32 s1, vcc_lo, s1
	s_delay_alu instid0(SALU_CYCLE_1)
	s_and_b32 exec_lo, exec_lo, s1
	s_cbranch_execz .LBB77_305
; %bb.300:
	v_cmp_ngt_f32_e64 s1, |v224|, |v225|
                                        ; implicit-def: $vgpr226_vgpr227
	s_and_saveexec_b32 s4, s1
	s_delay_alu instid0(SALU_CYCLE_1)
	s_xor_b32 s1, exec_lo, s4
	s_cbranch_execz .LBB77_302
; %bb.301:
	v_div_scale_f32 v0, null, v225, v225, v224
	v_div_scale_f32 v227, vcc_lo, v224, v225, v224
	s_delay_alu instid0(VALU_DEP_2) | instskip(SKIP_1) | instid1(TRANS32_DEP_1)
	v_rcp_f32_e32 v1, v0
	v_nop
	v_fma_f32 v226, -v0, v1, 1.0
	s_delay_alu instid0(VALU_DEP_1) | instskip(NEXT) | instid1(VALU_DEP_1)
	v_fmac_f32_e32 v1, v226, v1
	v_mul_f32_e32 v226, v227, v1
	s_delay_alu instid0(VALU_DEP_1) | instskip(NEXT) | instid1(VALU_DEP_1)
	v_fma_f32 v228, -v0, v226, v227
	v_fmac_f32_e32 v226, v228, v1
	s_delay_alu instid0(VALU_DEP_1) | instskip(NEXT) | instid1(VALU_DEP_1)
	v_fma_f32 v0, -v0, v226, v227
	v_div_fmas_f32 v0, v0, v1, v226
	s_delay_alu instid0(VALU_DEP_1) | instskip(NEXT) | instid1(VALU_DEP_1)
	v_div_fixup_f32 v0, v0, v225, v224
	v_fmac_f32_e32 v225, v224, v0
	s_delay_alu instid0(VALU_DEP_1) | instskip(SKIP_1) | instid1(VALU_DEP_2)
	v_div_scale_f32 v1, null, v225, v225, 1.0
	v_div_scale_f32 v227, vcc_lo, 1.0, v225, 1.0
	v_rcp_f32_e32 v224, v1
	v_nop
	s_delay_alu instid0(TRANS32_DEP_1) | instskip(NEXT) | instid1(VALU_DEP_1)
	v_fma_f32 v226, -v1, v224, 1.0
	v_fmac_f32_e32 v224, v226, v224
	s_delay_alu instid0(VALU_DEP_1) | instskip(NEXT) | instid1(VALU_DEP_1)
	v_mul_f32_e32 v226, v227, v224
	v_fma_f32 v228, -v1, v226, v227
	s_delay_alu instid0(VALU_DEP_1) | instskip(NEXT) | instid1(VALU_DEP_1)
	v_fmac_f32_e32 v226, v228, v224
	v_fma_f32 v1, -v1, v226, v227
	s_delay_alu instid0(VALU_DEP_1) | instskip(NEXT) | instid1(VALU_DEP_1)
	v_div_fmas_f32 v1, v1, v224, v226
	v_div_fixup_f32 v1, v1, v225, 1.0
                                        ; implicit-def: $vgpr224_vgpr225
	s_delay_alu instid0(VALU_DEP_1)
	v_mul_f32_e32 v226, v0, v1
	v_xor_b32_e32 v227, 0x80000000, v1
.LBB77_302:
	s_and_not1_saveexec_b32 s1, s1
	s_cbranch_execz .LBB77_304
; %bb.303:
	v_div_scale_f32 v0, null, v224, v224, v225
	v_div_scale_f32 v227, vcc_lo, v225, v224, v225
	s_delay_alu instid0(VALU_DEP_2) | instskip(SKIP_1) | instid1(TRANS32_DEP_1)
	v_rcp_f32_e32 v1, v0
	v_nop
	v_fma_f32 v226, -v0, v1, 1.0
	s_delay_alu instid0(VALU_DEP_1) | instskip(NEXT) | instid1(VALU_DEP_1)
	v_fmac_f32_e32 v1, v226, v1
	v_mul_f32_e32 v226, v227, v1
	s_delay_alu instid0(VALU_DEP_1) | instskip(NEXT) | instid1(VALU_DEP_1)
	v_fma_f32 v228, -v0, v226, v227
	v_fmac_f32_e32 v226, v228, v1
	s_delay_alu instid0(VALU_DEP_1) | instskip(NEXT) | instid1(VALU_DEP_1)
	v_fma_f32 v0, -v0, v226, v227
	v_div_fmas_f32 v0, v0, v1, v226
	s_delay_alu instid0(VALU_DEP_1) | instskip(NEXT) | instid1(VALU_DEP_1)
	v_div_fixup_f32 v0, v0, v224, v225
	v_fmac_f32_e32 v224, v225, v0
	s_delay_alu instid0(VALU_DEP_1) | instskip(NEXT) | instid1(VALU_DEP_1)
	v_div_scale_f32 v1, null, v224, v224, 1.0
	v_rcp_f32_e32 v225, v1
	v_nop
	s_delay_alu instid0(TRANS32_DEP_1) | instskip(NEXT) | instid1(VALU_DEP_1)
	v_fma_f32 v226, -v1, v225, 1.0
	v_fmac_f32_e32 v225, v226, v225
	v_div_scale_f32 v226, vcc_lo, 1.0, v224, 1.0
	s_delay_alu instid0(VALU_DEP_1) | instskip(NEXT) | instid1(VALU_DEP_1)
	v_mul_f32_e32 v227, v226, v225
	v_fma_f32 v228, -v1, v227, v226
	s_delay_alu instid0(VALU_DEP_1) | instskip(NEXT) | instid1(VALU_DEP_1)
	v_fmac_f32_e32 v227, v228, v225
	v_fma_f32 v1, -v1, v227, v226
	s_delay_alu instid0(VALU_DEP_1) | instskip(NEXT) | instid1(VALU_DEP_1)
	v_div_fmas_f32 v1, v1, v225, v227
	v_div_fixup_f32 v226, v1, v224, 1.0
	s_delay_alu instid0(VALU_DEP_1)
	v_mul_f32_e64 v227, v0, -v226
.LBB77_304:
	s_or_b32 exec_lo, exec_lo, s1
	ds_store_b64 v237, v[226:227]
.LBB77_305:
	s_or_b32 exec_lo, exec_lo, s2
	s_wait_dscnt 0x0
	s_barrier_signal -1
	s_barrier_wait -1
	ds_load_b64 v[224:225], v237
	s_mov_b32 s1, exec_lo
	v_cmpx_lt_u32_e32 33, v236
	s_cbranch_execz .LBB77_307
; %bb.306:
	ds_load_2addr_b64 v[226:229], v238 offset0:34 offset1:35
	ds_load_2addr_b64 v[230:233], v238 offset0:36 offset1:37
	ds_load_b64 v[0:1], v238 offset:304
	s_wait_dscnt 0x3
	v_pk_mul_f32 v[234:235], v[224:225], v[138:139] op_sel:[1,1] op_sel_hi:[0,1]
	s_delay_alu instid0(VALU_DEP_1) | instskip(SKIP_1) | instid1(VALU_DEP_1)
	v_pk_fma_f32 v[240:241], v[224:225], v[138:139], v[234:235] op_sel_hi:[1,0,1] neg_lo:[0,0,1] neg_hi:[0,0,1]
	v_pk_fma_f32 v[234:235], v[224:225], v[138:139], v[234:235] op_sel_hi:[1,0,1]
	v_dual_mov_b32 v138, v240 :: v_dual_mov_b32 v139, v235
	s_wait_dscnt 0x2
	s_delay_alu instid0(VALU_DEP_2)
	v_pk_mul_f32 v[242:243], v[226:227], v[234:235] op_sel:[0,1]
	v_pk_mul_f32 v[244:245], v[228:229], v[234:235] op_sel:[0,1]
	s_wait_dscnt 0x1
	v_pk_mul_f32 v[246:247], v[230:231], v[234:235] op_sel:[0,1]
	v_dual_mov_b32 v248, v233 :: v_dual_mov_b32 v249, v232
	v_dual_mul_f32 v250, v233, v235 :: v_dual_mul_f32 v252, v233, v240
	s_wait_dscnt 0x0
	v_pk_mul_f32 v[234:235], v[0:1], v[234:235] op_sel:[0,1]
	v_pk_fma_f32 v[254:255], v[226:227], v[240:241], v[242:243] op_sel:[0,0,1] op_sel_hi:[1,1,0] neg_lo:[0,0,1] neg_hi:[0,0,1]
	v_pk_fma_f32 v[226:227], v[226:227], v[240:241], v[242:243] op_sel:[0,0,1] op_sel_hi:[1,0,0]
	v_pk_fma_f32 v[242:243], v[228:229], v[240:241], v[244:245] op_sel:[0,0,1] op_sel_hi:[1,1,0] neg_lo:[0,0,1] neg_hi:[0,0,1]
	v_pk_fma_f32 v[228:229], v[228:229], v[240:241], v[244:245] op_sel:[0,0,1] op_sel_hi:[1,0,0]
	;; [unrolled: 2-line block ×3, first 2 shown]
	v_pk_fma_f32 v[246:247], v[248:249], v[138:139], v[252:253] op_sel_hi:[1,1,0]
	v_pk_fma_f32 v[248:249], v[0:1], v[240:241], v[234:235] op_sel:[0,0,1] op_sel_hi:[1,1,0] neg_lo:[0,0,1] neg_hi:[0,0,1]
	v_pk_fma_f32 v[0:1], v[0:1], v[240:241], v[234:235] op_sel:[0,0,1] op_sel_hi:[1,0,0]
	v_pk_fma_f32 v[232:233], v[232:233], v[138:139], v[250:251] op_sel_hi:[1,1,0] neg_lo:[0,0,1] neg_hi:[0,0,1]
	v_dual_mov_b32 v255, v227 :: v_dual_mov_b32 v243, v229
	v_dual_mov_b32 v245, v231 :: v_dual_mov_b32 v233, v247
	s_delay_alu instid0(VALU_DEP_4) | instskip(NEXT) | instid1(VALU_DEP_3)
	v_mov_b32_e32 v249, v1
	v_pk_add_f32 v[140:141], v[140:141], v[254:255] neg_lo:[0,1] neg_hi:[0,1]
	s_delay_alu instid0(VALU_DEP_4) | instskip(NEXT) | instid1(VALU_DEP_4)
	v_pk_add_f32 v[154:155], v[154:155], v[242:243] neg_lo:[0,1] neg_hi:[0,1]
	v_pk_add_f32 v[152:153], v[152:153], v[244:245] neg_lo:[0,1] neg_hi:[0,1]
	;; [unrolled: 1-line block ×4, first 2 shown]
.LBB77_307:
	s_or_b32 exec_lo, exec_lo, s1
	s_delay_alu instid0(SALU_CYCLE_1)
	s_mov_b32 s2, exec_lo
	s_wait_dscnt 0x0
	s_barrier_signal -1
	s_barrier_wait -1
	v_cmpx_eq_u32_e32 34, v236
	s_cbranch_execz .LBB77_314
; %bb.308:
	ds_store_b64 v237, v[140:141]
	ds_store_2addr_b64 v238, v[154:155], v[152:153] offset0:35 offset1:36
	ds_store_2addr_b64 v238, v[144:145], v[156:157] offset0:37 offset1:38
	ds_load_b64 v[226:227], v237
	s_wait_dscnt 0x0
	v_cmp_neq_f32_e32 vcc_lo, 0, v226
	v_cmp_neq_f32_e64 s1, 0, v227
	s_or_b32 s1, vcc_lo, s1
	s_delay_alu instid0(SALU_CYCLE_1)
	s_and_b32 exec_lo, exec_lo, s1
	s_cbranch_execz .LBB77_314
; %bb.309:
	v_cmp_ngt_f32_e64 s1, |v226|, |v227|
                                        ; implicit-def: $vgpr228_vgpr229
	s_and_saveexec_b32 s4, s1
	s_delay_alu instid0(SALU_CYCLE_1)
	s_xor_b32 s1, exec_lo, s4
	s_cbranch_execz .LBB77_311
; %bb.310:
	v_div_scale_f32 v0, null, v227, v227, v226
	v_div_scale_f32 v229, vcc_lo, v226, v227, v226
	s_delay_alu instid0(VALU_DEP_2) | instskip(SKIP_1) | instid1(TRANS32_DEP_1)
	v_rcp_f32_e32 v1, v0
	v_nop
	v_fma_f32 v228, -v0, v1, 1.0
	s_delay_alu instid0(VALU_DEP_1) | instskip(NEXT) | instid1(VALU_DEP_1)
	v_fmac_f32_e32 v1, v228, v1
	v_mul_f32_e32 v228, v229, v1
	s_delay_alu instid0(VALU_DEP_1) | instskip(NEXT) | instid1(VALU_DEP_1)
	v_fma_f32 v230, -v0, v228, v229
	v_fmac_f32_e32 v228, v230, v1
	s_delay_alu instid0(VALU_DEP_1) | instskip(NEXT) | instid1(VALU_DEP_1)
	v_fma_f32 v0, -v0, v228, v229
	v_div_fmas_f32 v0, v0, v1, v228
	s_delay_alu instid0(VALU_DEP_1) | instskip(NEXT) | instid1(VALU_DEP_1)
	v_div_fixup_f32 v0, v0, v227, v226
	v_fmac_f32_e32 v227, v226, v0
	s_delay_alu instid0(VALU_DEP_1) | instskip(SKIP_1) | instid1(VALU_DEP_2)
	v_div_scale_f32 v1, null, v227, v227, 1.0
	v_div_scale_f32 v229, vcc_lo, 1.0, v227, 1.0
	v_rcp_f32_e32 v226, v1
	v_nop
	s_delay_alu instid0(TRANS32_DEP_1) | instskip(NEXT) | instid1(VALU_DEP_1)
	v_fma_f32 v228, -v1, v226, 1.0
	v_fmac_f32_e32 v226, v228, v226
	s_delay_alu instid0(VALU_DEP_1) | instskip(NEXT) | instid1(VALU_DEP_1)
	v_mul_f32_e32 v228, v229, v226
	v_fma_f32 v230, -v1, v228, v229
	s_delay_alu instid0(VALU_DEP_1) | instskip(NEXT) | instid1(VALU_DEP_1)
	v_fmac_f32_e32 v228, v230, v226
	v_fma_f32 v1, -v1, v228, v229
	s_delay_alu instid0(VALU_DEP_1) | instskip(NEXT) | instid1(VALU_DEP_1)
	v_div_fmas_f32 v1, v1, v226, v228
	v_div_fixup_f32 v1, v1, v227, 1.0
                                        ; implicit-def: $vgpr226_vgpr227
	s_delay_alu instid0(VALU_DEP_1)
	v_mul_f32_e32 v228, v0, v1
	v_xor_b32_e32 v229, 0x80000000, v1
.LBB77_311:
	s_and_not1_saveexec_b32 s1, s1
	s_cbranch_execz .LBB77_313
; %bb.312:
	v_div_scale_f32 v0, null, v226, v226, v227
	v_div_scale_f32 v229, vcc_lo, v227, v226, v227
	s_delay_alu instid0(VALU_DEP_2) | instskip(SKIP_1) | instid1(TRANS32_DEP_1)
	v_rcp_f32_e32 v1, v0
	v_nop
	v_fma_f32 v228, -v0, v1, 1.0
	s_delay_alu instid0(VALU_DEP_1) | instskip(NEXT) | instid1(VALU_DEP_1)
	v_fmac_f32_e32 v1, v228, v1
	v_mul_f32_e32 v228, v229, v1
	s_delay_alu instid0(VALU_DEP_1) | instskip(NEXT) | instid1(VALU_DEP_1)
	v_fma_f32 v230, -v0, v228, v229
	v_fmac_f32_e32 v228, v230, v1
	s_delay_alu instid0(VALU_DEP_1) | instskip(NEXT) | instid1(VALU_DEP_1)
	v_fma_f32 v0, -v0, v228, v229
	v_div_fmas_f32 v0, v0, v1, v228
	s_delay_alu instid0(VALU_DEP_1) | instskip(NEXT) | instid1(VALU_DEP_1)
	v_div_fixup_f32 v0, v0, v226, v227
	v_fmac_f32_e32 v226, v227, v0
	s_delay_alu instid0(VALU_DEP_1) | instskip(NEXT) | instid1(VALU_DEP_1)
	v_div_scale_f32 v1, null, v226, v226, 1.0
	v_rcp_f32_e32 v227, v1
	v_nop
	s_delay_alu instid0(TRANS32_DEP_1) | instskip(NEXT) | instid1(VALU_DEP_1)
	v_fma_f32 v228, -v1, v227, 1.0
	v_fmac_f32_e32 v227, v228, v227
	v_div_scale_f32 v228, vcc_lo, 1.0, v226, 1.0
	s_delay_alu instid0(VALU_DEP_1) | instskip(NEXT) | instid1(VALU_DEP_1)
	v_mul_f32_e32 v229, v228, v227
	v_fma_f32 v230, -v1, v229, v228
	s_delay_alu instid0(VALU_DEP_1) | instskip(NEXT) | instid1(VALU_DEP_1)
	v_fmac_f32_e32 v229, v230, v227
	v_fma_f32 v1, -v1, v229, v228
	s_delay_alu instid0(VALU_DEP_1) | instskip(NEXT) | instid1(VALU_DEP_1)
	v_div_fmas_f32 v1, v1, v227, v229
	v_div_fixup_f32 v228, v1, v226, 1.0
	s_delay_alu instid0(VALU_DEP_1)
	v_mul_f32_e64 v229, v0, -v228
.LBB77_313:
	s_or_b32 exec_lo, exec_lo, s1
	ds_store_b64 v237, v[228:229]
.LBB77_314:
	s_or_b32 exec_lo, exec_lo, s2
	s_wait_dscnt 0x0
	s_barrier_signal -1
	s_barrier_wait -1
	ds_load_b64 v[226:227], v237
	s_mov_b32 s1, exec_lo
	v_cmpx_lt_u32_e32 34, v236
	s_cbranch_execz .LBB77_316
; %bb.315:
	ds_load_2addr_b64 v[228:231], v238 offset0:35 offset1:36
	ds_load_2addr_b64 v[232:235], v238 offset0:37 offset1:38
	s_wait_dscnt 0x2
	v_pk_mul_f32 v[0:1], v[226:227], v[140:141] op_sel:[1,1] op_sel_hi:[0,1]
	s_delay_alu instid0(VALU_DEP_1) | instskip(SKIP_1) | instid1(VALU_DEP_1)
	v_pk_fma_f32 v[240:241], v[226:227], v[140:141], v[0:1] op_sel_hi:[1,0,1] neg_lo:[0,0,1] neg_hi:[0,0,1]
	v_pk_fma_f32 v[0:1], v[226:227], v[140:141], v[0:1] op_sel_hi:[1,0,1]
	v_dual_mov_b32 v140, v240 :: v_dual_mov_b32 v141, v1
	s_wait_dscnt 0x1
	s_delay_alu instid0(VALU_DEP_2)
	v_pk_mul_f32 v[242:243], v[228:229], v[0:1] op_sel:[0,1]
	s_wait_dscnt 0x0
	v_mov_b32_e32 v244, v235
	v_pk_mul_f32 v[246:247], v[230:231], v[0:1] op_sel:[0,1]
	v_pk_mul_f32 v[248:249], v[232:233], v[0:1] op_sel:[0,1]
	v_pk_fma_f32 v[250:251], v[228:229], v[240:241], v[242:243] op_sel:[0,0,1] op_sel_hi:[1,1,0] neg_lo:[0,0,1] neg_hi:[0,0,1]
	v_pk_fma_f32 v[228:229], v[228:229], v[240:241], v[242:243] op_sel:[0,0,1] op_sel_hi:[1,0,0]
	s_delay_alu instid0(VALU_DEP_1) | instskip(NEXT) | instid1(VALU_DEP_1)
	v_dual_mov_b32 v245, v234 :: v_dual_mov_b32 v251, v229
	v_pk_mul_f32 v[242:243], v[244:245], v[0:1] op_sel:[0,1]
	v_pk_fma_f32 v[244:245], v[230:231], v[240:241], v[246:247] op_sel:[0,0,1] op_sel_hi:[1,0,0]
	v_pk_fma_f32 v[230:231], v[230:231], v[240:241], v[246:247] op_sel:[0,0,1] op_sel_hi:[1,1,0] neg_lo:[0,0,1] neg_hi:[0,0,1]
	v_pk_fma_f32 v[246:247], v[232:233], v[240:241], v[248:249] op_sel:[0,0,1] op_sel_hi:[1,0,0]
	v_pk_fma_f32 v[232:233], v[232:233], v[240:241], v[248:249] op_sel:[0,0,1] op_sel_hi:[1,1,0] neg_lo:[0,0,1] neg_hi:[0,0,1]
	v_pk_fma_f32 v[228:229], v[234:235], v[240:241], v[242:243] op_sel_hi:[1,0,1]
	v_pk_fma_f32 v[234:235], v[234:235], v[240:241], v[242:243] neg_lo:[0,0,1] neg_hi:[0,0,1]
	s_delay_alu instid0(VALU_DEP_4) | instskip(SKIP_1) | instid1(VALU_DEP_4)
	v_dual_mov_b32 v231, v245 :: v_dual_mov_b32 v233, v247
	v_pk_add_f32 v[154:155], v[154:155], v[250:251] neg_lo:[0,1] neg_hi:[0,1]
	v_mov_b32_e32 v235, v229
	s_delay_alu instid0(VALU_DEP_3) | instskip(NEXT) | instid1(VALU_DEP_4)
	v_pk_add_f32 v[152:153], v[152:153], v[230:231] neg_lo:[0,1] neg_hi:[0,1]
	v_pk_add_f32 v[144:145], v[144:145], v[232:233] neg_lo:[0,1] neg_hi:[0,1]
	s_delay_alu instid0(VALU_DEP_3)
	v_pk_add_f32 v[156:157], v[156:157], v[234:235] neg_lo:[0,1] neg_hi:[0,1]
.LBB77_316:
	s_or_b32 exec_lo, exec_lo, s1
	s_delay_alu instid0(SALU_CYCLE_1)
	s_mov_b32 s2, exec_lo
	s_wait_dscnt 0x0
	s_barrier_signal -1
	s_barrier_wait -1
	v_cmpx_eq_u32_e32 35, v236
	s_cbranch_execz .LBB77_323
; %bb.317:
	v_dual_mov_b32 v0, v152 :: v_dual_mov_b32 v1, v153
	v_dual_mov_b32 v228, v144 :: v_dual_mov_b32 v229, v145
	ds_store_b64 v237, v[154:155]
	ds_store_2addr_b64 v238, v[0:1], v[228:229] offset0:36 offset1:37
	ds_store_b64 v238, v[156:157] offset:304
	ds_load_b64 v[228:229], v237
	s_wait_dscnt 0x0
	v_cmp_neq_f32_e32 vcc_lo, 0, v228
	v_cmp_neq_f32_e64 s1, 0, v229
	s_or_b32 s1, vcc_lo, s1
	s_delay_alu instid0(SALU_CYCLE_1)
	s_and_b32 exec_lo, exec_lo, s1
	s_cbranch_execz .LBB77_323
; %bb.318:
	v_cmp_ngt_f32_e64 s1, |v228|, |v229|
                                        ; implicit-def: $vgpr230_vgpr231
	s_and_saveexec_b32 s4, s1
	s_delay_alu instid0(SALU_CYCLE_1)
	s_xor_b32 s1, exec_lo, s4
	s_cbranch_execz .LBB77_320
; %bb.319:
	v_div_scale_f32 v0, null, v229, v229, v228
	v_div_scale_f32 v231, vcc_lo, v228, v229, v228
	s_delay_alu instid0(VALU_DEP_2) | instskip(SKIP_1) | instid1(TRANS32_DEP_1)
	v_rcp_f32_e32 v1, v0
	v_nop
	v_fma_f32 v230, -v0, v1, 1.0
	s_delay_alu instid0(VALU_DEP_1) | instskip(NEXT) | instid1(VALU_DEP_1)
	v_fmac_f32_e32 v1, v230, v1
	v_mul_f32_e32 v230, v231, v1
	s_delay_alu instid0(VALU_DEP_1) | instskip(NEXT) | instid1(VALU_DEP_1)
	v_fma_f32 v232, -v0, v230, v231
	v_fmac_f32_e32 v230, v232, v1
	s_delay_alu instid0(VALU_DEP_1) | instskip(NEXT) | instid1(VALU_DEP_1)
	v_fma_f32 v0, -v0, v230, v231
	v_div_fmas_f32 v0, v0, v1, v230
	s_delay_alu instid0(VALU_DEP_1) | instskip(NEXT) | instid1(VALU_DEP_1)
	v_div_fixup_f32 v0, v0, v229, v228
	v_fmac_f32_e32 v229, v228, v0
	s_delay_alu instid0(VALU_DEP_1) | instskip(SKIP_1) | instid1(VALU_DEP_2)
	v_div_scale_f32 v1, null, v229, v229, 1.0
	v_div_scale_f32 v231, vcc_lo, 1.0, v229, 1.0
	v_rcp_f32_e32 v228, v1
	v_nop
	s_delay_alu instid0(TRANS32_DEP_1) | instskip(NEXT) | instid1(VALU_DEP_1)
	v_fma_f32 v230, -v1, v228, 1.0
	v_fmac_f32_e32 v228, v230, v228
	s_delay_alu instid0(VALU_DEP_1) | instskip(NEXT) | instid1(VALU_DEP_1)
	v_mul_f32_e32 v230, v231, v228
	v_fma_f32 v232, -v1, v230, v231
	s_delay_alu instid0(VALU_DEP_1) | instskip(NEXT) | instid1(VALU_DEP_1)
	v_fmac_f32_e32 v230, v232, v228
	v_fma_f32 v1, -v1, v230, v231
	s_delay_alu instid0(VALU_DEP_1) | instskip(NEXT) | instid1(VALU_DEP_1)
	v_div_fmas_f32 v1, v1, v228, v230
	v_div_fixup_f32 v1, v1, v229, 1.0
                                        ; implicit-def: $vgpr228_vgpr229
	s_delay_alu instid0(VALU_DEP_1)
	v_mul_f32_e32 v230, v0, v1
	v_xor_b32_e32 v231, 0x80000000, v1
.LBB77_320:
	s_and_not1_saveexec_b32 s1, s1
	s_cbranch_execz .LBB77_322
; %bb.321:
	v_div_scale_f32 v0, null, v228, v228, v229
	v_div_scale_f32 v231, vcc_lo, v229, v228, v229
	s_delay_alu instid0(VALU_DEP_2) | instskip(SKIP_1) | instid1(TRANS32_DEP_1)
	v_rcp_f32_e32 v1, v0
	v_nop
	v_fma_f32 v230, -v0, v1, 1.0
	s_delay_alu instid0(VALU_DEP_1) | instskip(NEXT) | instid1(VALU_DEP_1)
	v_fmac_f32_e32 v1, v230, v1
	v_mul_f32_e32 v230, v231, v1
	s_delay_alu instid0(VALU_DEP_1) | instskip(NEXT) | instid1(VALU_DEP_1)
	v_fma_f32 v232, -v0, v230, v231
	v_fmac_f32_e32 v230, v232, v1
	s_delay_alu instid0(VALU_DEP_1) | instskip(NEXT) | instid1(VALU_DEP_1)
	v_fma_f32 v0, -v0, v230, v231
	v_div_fmas_f32 v0, v0, v1, v230
	s_delay_alu instid0(VALU_DEP_1) | instskip(NEXT) | instid1(VALU_DEP_1)
	v_div_fixup_f32 v0, v0, v228, v229
	v_fmac_f32_e32 v228, v229, v0
	s_delay_alu instid0(VALU_DEP_1) | instskip(NEXT) | instid1(VALU_DEP_1)
	v_div_scale_f32 v1, null, v228, v228, 1.0
	v_rcp_f32_e32 v229, v1
	v_nop
	s_delay_alu instid0(TRANS32_DEP_1) | instskip(NEXT) | instid1(VALU_DEP_1)
	v_fma_f32 v230, -v1, v229, 1.0
	v_fmac_f32_e32 v229, v230, v229
	v_div_scale_f32 v230, vcc_lo, 1.0, v228, 1.0
	s_delay_alu instid0(VALU_DEP_1) | instskip(NEXT) | instid1(VALU_DEP_1)
	v_mul_f32_e32 v231, v230, v229
	v_fma_f32 v232, -v1, v231, v230
	s_delay_alu instid0(VALU_DEP_1) | instskip(NEXT) | instid1(VALU_DEP_1)
	v_fmac_f32_e32 v231, v232, v229
	v_fma_f32 v1, -v1, v231, v230
	s_delay_alu instid0(VALU_DEP_1) | instskip(NEXT) | instid1(VALU_DEP_1)
	v_div_fmas_f32 v1, v1, v229, v231
	v_div_fixup_f32 v230, v1, v228, 1.0
	s_delay_alu instid0(VALU_DEP_1)
	v_mul_f32_e64 v231, v0, -v230
.LBB77_322:
	s_or_b32 exec_lo, exec_lo, s1
	ds_store_b64 v237, v[230:231]
.LBB77_323:
	s_or_b32 exec_lo, exec_lo, s2
	s_wait_dscnt 0x0
	s_barrier_signal -1
	s_barrier_wait -1
	ds_load_b64 v[228:229], v237
	s_mov_b32 s1, exec_lo
	v_cmpx_lt_u32_e32 35, v236
	s_cbranch_execz .LBB77_325
; %bb.324:
	ds_load_2addr_b64 v[230:233], v238 offset0:36 offset1:37
	ds_load_b64 v[0:1], v238 offset:304
	s_wait_dscnt 0x2
	v_pk_mul_f32 v[234:235], v[228:229], v[154:155] op_sel:[1,1] op_sel_hi:[0,1]
	s_delay_alu instid0(VALU_DEP_1) | instskip(SKIP_2) | instid1(VALU_DEP_2)
	v_pk_fma_f32 v[240:241], v[228:229], v[154:155], v[234:235] op_sel_hi:[1,0,1]
	v_pk_fma_f32 v[154:155], v[228:229], v[154:155], v[234:235] op_sel_hi:[1,0,1] neg_lo:[0,0,1] neg_hi:[0,0,1]
	s_wait_dscnt 0x1
	v_pk_mul_f32 v[234:235], v[230:231], v[240:241] op_sel:[0,1]
	v_pk_mul_f32 v[242:243], v[232:233], v[240:241] op_sel:[0,1]
	s_wait_dscnt 0x0
	v_pk_mul_f32 v[244:245], v[0:1], v[240:241] op_sel:[1,1] op_sel_hi:[0,1]
	s_delay_alu instid0(VALU_DEP_3) | instskip(SKIP_2) | instid1(VALU_DEP_4)
	v_pk_fma_f32 v[246:247], v[230:231], v[154:155], v[234:235] op_sel:[0,0,1] op_sel_hi:[1,1,0] neg_lo:[0,0,1] neg_hi:[0,0,1]
	v_pk_fma_f32 v[230:231], v[230:231], v[154:155], v[234:235] op_sel:[0,0,1] op_sel_hi:[1,0,0]
	v_pk_fma_f32 v[234:235], v[232:233], v[154:155], v[242:243] op_sel:[0,0,1] op_sel_hi:[1,0,0]
	v_pk_fma_f32 v[248:249], v[0:1], v[154:155], v[244:245] op_sel_hi:[1,0,1]
	v_pk_fma_f32 v[232:233], v[232:233], v[154:155], v[242:243] op_sel:[0,0,1] op_sel_hi:[1,1,0] neg_lo:[0,0,1] neg_hi:[0,0,1]
	v_pk_fma_f32 v[0:1], v[0:1], v[154:155], v[244:245] neg_lo:[0,0,1] neg_hi:[0,0,1]
	s_delay_alu instid0(VALU_DEP_4) | instskip(NEXT) | instid1(VALU_DEP_4)
	v_dual_mov_b32 v247, v231 :: v_dual_mov_b32 v233, v235
	v_dual_mov_b32 v1, v249 :: v_dual_mov_b32 v155, v241
	s_delay_alu instid0(VALU_DEP_2) | instskip(NEXT) | instid1(VALU_DEP_3)
	v_pk_add_f32 v[152:153], v[152:153], v[246:247] neg_lo:[0,1] neg_hi:[0,1]
	v_pk_add_f32 v[144:145], v[144:145], v[232:233] neg_lo:[0,1] neg_hi:[0,1]
	s_delay_alu instid0(VALU_DEP_3)
	v_pk_add_f32 v[156:157], v[156:157], v[0:1] neg_lo:[0,1] neg_hi:[0,1]
.LBB77_325:
	s_or_b32 exec_lo, exec_lo, s1
	s_delay_alu instid0(SALU_CYCLE_1)
	s_mov_b32 s2, exec_lo
	s_wait_dscnt 0x0
	s_barrier_signal -1
	s_barrier_wait -1
	v_cmpx_eq_u32_e32 36, v236
	s_cbranch_execz .LBB77_332
; %bb.326:
	ds_store_b64 v237, v[152:153]
	ds_store_2addr_b64 v238, v[144:145], v[156:157] offset0:37 offset1:38
	ds_load_b64 v[230:231], v237
	s_wait_dscnt 0x0
	v_cmp_neq_f32_e32 vcc_lo, 0, v230
	v_cmp_neq_f32_e64 s1, 0, v231
	s_or_b32 s1, vcc_lo, s1
	s_delay_alu instid0(SALU_CYCLE_1)
	s_and_b32 exec_lo, exec_lo, s1
	s_cbranch_execz .LBB77_332
; %bb.327:
	v_cmp_ngt_f32_e64 s1, |v230|, |v231|
                                        ; implicit-def: $vgpr232_vgpr233
	s_and_saveexec_b32 s4, s1
	s_delay_alu instid0(SALU_CYCLE_1)
	s_xor_b32 s1, exec_lo, s4
	s_cbranch_execz .LBB77_329
; %bb.328:
	v_div_scale_f32 v0, null, v231, v231, v230
	v_div_scale_f32 v233, vcc_lo, v230, v231, v230
	s_delay_alu instid0(VALU_DEP_2) | instskip(SKIP_1) | instid1(TRANS32_DEP_1)
	v_rcp_f32_e32 v1, v0
	v_nop
	v_fma_f32 v232, -v0, v1, 1.0
	s_delay_alu instid0(VALU_DEP_1) | instskip(NEXT) | instid1(VALU_DEP_1)
	v_fmac_f32_e32 v1, v232, v1
	v_mul_f32_e32 v232, v233, v1
	s_delay_alu instid0(VALU_DEP_1) | instskip(NEXT) | instid1(VALU_DEP_1)
	v_fma_f32 v234, -v0, v232, v233
	v_fmac_f32_e32 v232, v234, v1
	s_delay_alu instid0(VALU_DEP_1) | instskip(NEXT) | instid1(VALU_DEP_1)
	v_fma_f32 v0, -v0, v232, v233
	v_div_fmas_f32 v0, v0, v1, v232
	s_delay_alu instid0(VALU_DEP_1) | instskip(NEXT) | instid1(VALU_DEP_1)
	v_div_fixup_f32 v0, v0, v231, v230
	v_fmac_f32_e32 v231, v230, v0
	s_delay_alu instid0(VALU_DEP_1) | instskip(SKIP_1) | instid1(VALU_DEP_2)
	v_div_scale_f32 v1, null, v231, v231, 1.0
	v_div_scale_f32 v233, vcc_lo, 1.0, v231, 1.0
	v_rcp_f32_e32 v230, v1
	v_nop
	s_delay_alu instid0(TRANS32_DEP_1) | instskip(NEXT) | instid1(VALU_DEP_1)
	v_fma_f32 v232, -v1, v230, 1.0
	v_fmac_f32_e32 v230, v232, v230
	s_delay_alu instid0(VALU_DEP_1) | instskip(NEXT) | instid1(VALU_DEP_1)
	v_mul_f32_e32 v232, v233, v230
	v_fma_f32 v234, -v1, v232, v233
	s_delay_alu instid0(VALU_DEP_1) | instskip(NEXT) | instid1(VALU_DEP_1)
	v_fmac_f32_e32 v232, v234, v230
	v_fma_f32 v1, -v1, v232, v233
	s_delay_alu instid0(VALU_DEP_1) | instskip(NEXT) | instid1(VALU_DEP_1)
	v_div_fmas_f32 v1, v1, v230, v232
	v_div_fixup_f32 v1, v1, v231, 1.0
                                        ; implicit-def: $vgpr230_vgpr231
	s_delay_alu instid0(VALU_DEP_1)
	v_mul_f32_e32 v232, v0, v1
	v_xor_b32_e32 v233, 0x80000000, v1
.LBB77_329:
	s_and_not1_saveexec_b32 s1, s1
	s_cbranch_execz .LBB77_331
; %bb.330:
	v_div_scale_f32 v0, null, v230, v230, v231
	v_div_scale_f32 v233, vcc_lo, v231, v230, v231
	s_delay_alu instid0(VALU_DEP_2) | instskip(SKIP_1) | instid1(TRANS32_DEP_1)
	v_rcp_f32_e32 v1, v0
	v_nop
	v_fma_f32 v232, -v0, v1, 1.0
	s_delay_alu instid0(VALU_DEP_1) | instskip(NEXT) | instid1(VALU_DEP_1)
	v_fmac_f32_e32 v1, v232, v1
	v_mul_f32_e32 v232, v233, v1
	s_delay_alu instid0(VALU_DEP_1) | instskip(NEXT) | instid1(VALU_DEP_1)
	v_fma_f32 v234, -v0, v232, v233
	v_fmac_f32_e32 v232, v234, v1
	s_delay_alu instid0(VALU_DEP_1) | instskip(NEXT) | instid1(VALU_DEP_1)
	v_fma_f32 v0, -v0, v232, v233
	v_div_fmas_f32 v0, v0, v1, v232
	s_delay_alu instid0(VALU_DEP_1) | instskip(NEXT) | instid1(VALU_DEP_1)
	v_div_fixup_f32 v0, v0, v230, v231
	v_fmac_f32_e32 v230, v231, v0
	s_delay_alu instid0(VALU_DEP_1) | instskip(NEXT) | instid1(VALU_DEP_1)
	v_div_scale_f32 v1, null, v230, v230, 1.0
	v_rcp_f32_e32 v231, v1
	v_nop
	s_delay_alu instid0(TRANS32_DEP_1) | instskip(NEXT) | instid1(VALU_DEP_1)
	v_fma_f32 v232, -v1, v231, 1.0
	v_fmac_f32_e32 v231, v232, v231
	v_div_scale_f32 v232, vcc_lo, 1.0, v230, 1.0
	s_delay_alu instid0(VALU_DEP_1) | instskip(NEXT) | instid1(VALU_DEP_1)
	v_mul_f32_e32 v233, v232, v231
	v_fma_f32 v234, -v1, v233, v232
	s_delay_alu instid0(VALU_DEP_1) | instskip(NEXT) | instid1(VALU_DEP_1)
	v_fmac_f32_e32 v233, v234, v231
	v_fma_f32 v1, -v1, v233, v232
	s_delay_alu instid0(VALU_DEP_1) | instskip(NEXT) | instid1(VALU_DEP_1)
	v_div_fmas_f32 v1, v1, v231, v233
	v_div_fixup_f32 v232, v1, v230, 1.0
	s_delay_alu instid0(VALU_DEP_1)
	v_mul_f32_e64 v233, v0, -v232
.LBB77_331:
	s_or_b32 exec_lo, exec_lo, s1
	ds_store_b64 v237, v[232:233]
.LBB77_332:
	s_or_b32 exec_lo, exec_lo, s2
	s_wait_dscnt 0x0
	s_barrier_signal -1
	s_barrier_wait -1
	ds_load_b64 v[230:231], v237
	s_mov_b32 s1, exec_lo
	v_cmpx_lt_u32_e32 36, v236
	s_cbranch_execz .LBB77_334
; %bb.333:
	ds_load_2addr_b64 v[232:235], v238 offset0:37 offset1:38
	s_wait_dscnt 0x1
	v_pk_mul_f32 v[0:1], v[230:231], v[152:153] op_sel:[1,1] op_sel_hi:[0,1]
	s_delay_alu instid0(VALU_DEP_1) | instskip(SKIP_3) | instid1(VALU_DEP_3)
	v_pk_fma_f32 v[240:241], v[230:231], v[152:153], v[0:1] op_sel_hi:[1,0,1]
	v_pk_fma_f32 v[152:153], v[230:231], v[152:153], v[0:1] op_sel_hi:[1,0,1] neg_lo:[0,0,1] neg_hi:[0,0,1]
	s_wait_dscnt 0x0
	v_dual_mov_b32 v242, v235 :: v_dual_mov_b32 v243, v234
	v_pk_mul_f32 v[0:1], v[232:233], v[240:241] op_sel:[0,1]
	s_delay_alu instid0(VALU_DEP_2) | instskip(NEXT) | instid1(VALU_DEP_2)
	v_pk_mul_f32 v[242:243], v[242:243], v[240:241] op_sel:[0,1]
	v_pk_fma_f32 v[244:245], v[232:233], v[152:153], v[0:1] op_sel:[0,0,1] op_sel_hi:[1,0,0]
	v_pk_fma_f32 v[0:1], v[232:233], v[152:153], v[0:1] op_sel:[0,0,1] op_sel_hi:[1,1,0] neg_lo:[0,0,1] neg_hi:[0,0,1]
	s_delay_alu instid0(VALU_DEP_3) | instskip(SKIP_1) | instid1(VALU_DEP_4)
	v_pk_fma_f32 v[246:247], v[234:235], v[152:153], v[242:243] op_sel_hi:[1,0,1]
	v_pk_fma_f32 v[232:233], v[234:235], v[152:153], v[242:243] neg_lo:[0,0,1] neg_hi:[0,0,1]
	v_dual_mov_b32 v1, v245 :: v_dual_mov_b32 v153, v241
	s_delay_alu instid0(VALU_DEP_3) | instskip(NEXT) | instid1(VALU_DEP_2)
	v_mov_b32_e32 v233, v247
	v_pk_add_f32 v[144:145], v[144:145], v[0:1] neg_lo:[0,1] neg_hi:[0,1]
	s_delay_alu instid0(VALU_DEP_2)
	v_pk_add_f32 v[156:157], v[156:157], v[232:233] neg_lo:[0,1] neg_hi:[0,1]
.LBB77_334:
	s_or_b32 exec_lo, exec_lo, s1
	s_delay_alu instid0(SALU_CYCLE_1)
	s_mov_b32 s2, exec_lo
	s_wait_dscnt 0x0
	s_barrier_signal -1
	s_barrier_wait -1
	v_cmpx_eq_u32_e32 37, v236
	s_cbranch_execz .LBB77_341
; %bb.335:
	ds_store_b64 v237, v[144:145]
	ds_store_b64 v238, v[156:157] offset:304
	ds_load_b64 v[232:233], v237
	s_wait_dscnt 0x0
	v_cmp_neq_f32_e32 vcc_lo, 0, v232
	v_cmp_neq_f32_e64 s1, 0, v233
	s_or_b32 s1, vcc_lo, s1
	s_delay_alu instid0(SALU_CYCLE_1)
	s_and_b32 exec_lo, exec_lo, s1
	s_cbranch_execz .LBB77_341
; %bb.336:
	v_cmp_ngt_f32_e64 s1, |v232|, |v233|
                                        ; implicit-def: $vgpr234_vgpr235
	s_and_saveexec_b32 s4, s1
	s_delay_alu instid0(SALU_CYCLE_1)
	s_xor_b32 s1, exec_lo, s4
	s_cbranch_execz .LBB77_338
; %bb.337:
	v_div_scale_f32 v0, null, v233, v233, v232
	v_div_scale_f32 v235, vcc_lo, v232, v233, v232
	s_delay_alu instid0(VALU_DEP_2) | instskip(SKIP_1) | instid1(TRANS32_DEP_1)
	v_rcp_f32_e32 v1, v0
	v_nop
	v_fma_f32 v234, -v0, v1, 1.0
	s_delay_alu instid0(VALU_DEP_1) | instskip(NEXT) | instid1(VALU_DEP_1)
	v_fmac_f32_e32 v1, v234, v1
	v_mul_f32_e32 v234, v235, v1
	s_delay_alu instid0(VALU_DEP_1) | instskip(NEXT) | instid1(VALU_DEP_1)
	v_fma_f32 v239, -v0, v234, v235
	v_fmac_f32_e32 v234, v239, v1
	s_delay_alu instid0(VALU_DEP_1) | instskip(NEXT) | instid1(VALU_DEP_1)
	v_fma_f32 v0, -v0, v234, v235
	v_div_fmas_f32 v0, v0, v1, v234
	s_delay_alu instid0(VALU_DEP_1) | instskip(NEXT) | instid1(VALU_DEP_1)
	v_div_fixup_f32 v0, v0, v233, v232
	v_fmac_f32_e32 v233, v232, v0
	s_delay_alu instid0(VALU_DEP_1) | instskip(SKIP_1) | instid1(VALU_DEP_2)
	v_div_scale_f32 v1, null, v233, v233, 1.0
	v_div_scale_f32 v235, vcc_lo, 1.0, v233, 1.0
	v_rcp_f32_e32 v232, v1
	v_nop
	s_delay_alu instid0(TRANS32_DEP_1) | instskip(NEXT) | instid1(VALU_DEP_1)
	v_fma_f32 v234, -v1, v232, 1.0
	v_fmac_f32_e32 v232, v234, v232
	s_delay_alu instid0(VALU_DEP_1) | instskip(NEXT) | instid1(VALU_DEP_1)
	v_mul_f32_e32 v234, v235, v232
	v_fma_f32 v239, -v1, v234, v235
	s_delay_alu instid0(VALU_DEP_1) | instskip(NEXT) | instid1(VALU_DEP_1)
	v_fmac_f32_e32 v234, v239, v232
	v_fma_f32 v1, -v1, v234, v235
	s_delay_alu instid0(VALU_DEP_1) | instskip(NEXT) | instid1(VALU_DEP_1)
	v_div_fmas_f32 v1, v1, v232, v234
	v_div_fixup_f32 v1, v1, v233, 1.0
                                        ; implicit-def: $vgpr232_vgpr233
	s_delay_alu instid0(VALU_DEP_1)
	v_mul_f32_e32 v234, v0, v1
	v_xor_b32_e32 v235, 0x80000000, v1
.LBB77_338:
	s_and_not1_saveexec_b32 s1, s1
	s_cbranch_execz .LBB77_340
; %bb.339:
	v_div_scale_f32 v0, null, v232, v232, v233
	v_div_scale_f32 v235, vcc_lo, v233, v232, v233
	s_delay_alu instid0(VALU_DEP_2) | instskip(SKIP_1) | instid1(TRANS32_DEP_1)
	v_rcp_f32_e32 v1, v0
	v_nop
	v_fma_f32 v234, -v0, v1, 1.0
	s_delay_alu instid0(VALU_DEP_1) | instskip(NEXT) | instid1(VALU_DEP_1)
	v_fmac_f32_e32 v1, v234, v1
	v_mul_f32_e32 v234, v235, v1
	s_delay_alu instid0(VALU_DEP_1) | instskip(NEXT) | instid1(VALU_DEP_1)
	v_fma_f32 v239, -v0, v234, v235
	v_fmac_f32_e32 v234, v239, v1
	s_delay_alu instid0(VALU_DEP_1) | instskip(NEXT) | instid1(VALU_DEP_1)
	v_fma_f32 v0, -v0, v234, v235
	v_div_fmas_f32 v0, v0, v1, v234
	s_delay_alu instid0(VALU_DEP_1) | instskip(NEXT) | instid1(VALU_DEP_1)
	v_div_fixup_f32 v0, v0, v232, v233
	v_fmac_f32_e32 v232, v233, v0
	s_delay_alu instid0(VALU_DEP_1) | instskip(NEXT) | instid1(VALU_DEP_1)
	v_div_scale_f32 v1, null, v232, v232, 1.0
	v_rcp_f32_e32 v233, v1
	v_nop
	s_delay_alu instid0(TRANS32_DEP_1) | instskip(NEXT) | instid1(VALU_DEP_1)
	v_fma_f32 v234, -v1, v233, 1.0
	v_fmac_f32_e32 v233, v234, v233
	v_div_scale_f32 v234, vcc_lo, 1.0, v232, 1.0
	s_delay_alu instid0(VALU_DEP_1) | instskip(NEXT) | instid1(VALU_DEP_1)
	v_mul_f32_e32 v235, v234, v233
	v_fma_f32 v239, -v1, v235, v234
	s_delay_alu instid0(VALU_DEP_1) | instskip(NEXT) | instid1(VALU_DEP_1)
	v_fmac_f32_e32 v235, v239, v233
	v_fma_f32 v1, -v1, v235, v234
	s_delay_alu instid0(VALU_DEP_1) | instskip(NEXT) | instid1(VALU_DEP_1)
	v_div_fmas_f32 v1, v1, v233, v235
	v_div_fixup_f32 v234, v1, v232, 1.0
	s_delay_alu instid0(VALU_DEP_1)
	v_mul_f32_e64 v235, v0, -v234
.LBB77_340:
	s_or_b32 exec_lo, exec_lo, s1
	ds_store_b64 v237, v[234:235]
.LBB77_341:
	s_or_b32 exec_lo, exec_lo, s2
	s_wait_dscnt 0x0
	s_barrier_signal -1
	s_barrier_wait -1
	ds_load_b64 v[232:233], v237
	s_mov_b32 s1, exec_lo
	v_cmpx_lt_u32_e32 37, v236
	s_cbranch_execz .LBB77_343
; %bb.342:
	ds_load_b64 v[0:1], v238 offset:304
	s_wait_dscnt 0x1
	v_pk_mul_f32 v[234:235], v[232:233], v[144:145] op_sel:[1,1] op_sel_hi:[0,1]
	s_delay_alu instid0(VALU_DEP_1) | instskip(SKIP_2) | instid1(VALU_DEP_2)
	v_pk_fma_f32 v[238:239], v[232:233], v[144:145], v[234:235] op_sel_hi:[1,0,1]
	v_pk_fma_f32 v[144:145], v[232:233], v[144:145], v[234:235] op_sel_hi:[1,0,1] neg_lo:[0,0,1] neg_hi:[0,0,1]
	s_wait_dscnt 0x0
	v_pk_mul_f32 v[234:235], v[0:1], v[238:239] op_sel:[1,1] op_sel_hi:[0,1]
	s_delay_alu instid0(VALU_DEP_1) | instskip(SKIP_1) | instid1(VALU_DEP_2)
	v_pk_fma_f32 v[240:241], v[0:1], v[144:145], v[234:235] op_sel_hi:[1,0,1]
	v_pk_fma_f32 v[0:1], v[0:1], v[144:145], v[234:235] neg_lo:[0,0,1] neg_hi:[0,0,1]
	v_dual_mov_b32 v145, v239 :: v_dual_mov_b32 v1, v241
	s_delay_alu instid0(VALU_DEP_1)
	v_pk_add_f32 v[156:157], v[156:157], v[0:1] neg_lo:[0,1] neg_hi:[0,1]
.LBB77_343:
	s_or_b32 exec_lo, exec_lo, s1
	s_delay_alu instid0(SALU_CYCLE_1)
	s_mov_b32 s2, exec_lo
	s_wait_dscnt 0x0
	s_barrier_signal -1
	s_barrier_wait -1
	v_cmpx_eq_u32_e32 38, v236
	s_cbranch_execz .LBB77_350
; %bb.344:
	v_cmp_neq_f32_e32 vcc_lo, 0, v156
	v_cmp_neq_f32_e64 s1, 0, v157
	ds_store_b64 v237, v[156:157]
	s_or_b32 s1, vcc_lo, s1
	s_delay_alu instid0(SALU_CYCLE_1)
	s_and_b32 exec_lo, exec_lo, s1
	s_cbranch_execz .LBB77_350
; %bb.345:
	v_cmp_ngt_f32_e64 s1, |v156|, |v157|
                                        ; implicit-def: $vgpr234_vgpr235
	s_and_saveexec_b32 s4, s1
	s_delay_alu instid0(SALU_CYCLE_1)
	s_xor_b32 s1, exec_lo, s4
	s_cbranch_execz .LBB77_347
; %bb.346:
	v_div_scale_f32 v0, null, v157, v157, v156
	v_div_scale_f32 v235, vcc_lo, v156, v157, v156
	s_delay_alu instid0(VALU_DEP_2) | instskip(SKIP_1) | instid1(TRANS32_DEP_1)
	v_rcp_f32_e32 v1, v0
	v_nop
	v_fma_f32 v234, -v0, v1, 1.0
	s_delay_alu instid0(VALU_DEP_1) | instskip(NEXT) | instid1(VALU_DEP_1)
	v_fmac_f32_e32 v1, v234, v1
	v_mul_f32_e32 v234, v235, v1
	s_delay_alu instid0(VALU_DEP_1) | instskip(NEXT) | instid1(VALU_DEP_1)
	v_fma_f32 v238, -v0, v234, v235
	v_fmac_f32_e32 v234, v238, v1
	s_delay_alu instid0(VALU_DEP_1) | instskip(NEXT) | instid1(VALU_DEP_1)
	v_fma_f32 v0, -v0, v234, v235
	v_div_fmas_f32 v0, v0, v1, v234
	s_delay_alu instid0(VALU_DEP_1) | instskip(NEXT) | instid1(VALU_DEP_1)
	v_div_fixup_f32 v0, v0, v157, v156
	v_fma_f32 v1, v156, v0, v157
	s_delay_alu instid0(VALU_DEP_1) | instskip(SKIP_1) | instid1(VALU_DEP_2)
	v_div_scale_f32 v234, null, v1, v1, 1.0
	v_div_scale_f32 v239, vcc_lo, 1.0, v1, 1.0
	v_rcp_f32_e32 v235, v234
	v_nop
	s_delay_alu instid0(TRANS32_DEP_1) | instskip(NEXT) | instid1(VALU_DEP_1)
	v_fma_f32 v238, -v234, v235, 1.0
	v_fmac_f32_e32 v235, v238, v235
	s_delay_alu instid0(VALU_DEP_1) | instskip(NEXT) | instid1(VALU_DEP_1)
	v_mul_f32_e32 v238, v239, v235
	v_fma_f32 v240, -v234, v238, v239
	s_delay_alu instid0(VALU_DEP_1) | instskip(NEXT) | instid1(VALU_DEP_1)
	v_fmac_f32_e32 v238, v240, v235
	v_fma_f32 v234, -v234, v238, v239
	s_delay_alu instid0(VALU_DEP_1) | instskip(NEXT) | instid1(VALU_DEP_1)
	v_div_fmas_f32 v234, v234, v235, v238
	v_div_fixup_f32 v1, v234, v1, 1.0
	s_delay_alu instid0(VALU_DEP_1)
	v_mul_f32_e32 v234, v0, v1
	v_xor_b32_e32 v235, 0x80000000, v1
.LBB77_347:
	s_and_not1_saveexec_b32 s1, s1
	s_cbranch_execz .LBB77_349
; %bb.348:
	v_div_scale_f32 v0, null, v156, v156, v157
	v_div_scale_f32 v235, vcc_lo, v157, v156, v157
	s_delay_alu instid0(VALU_DEP_2) | instskip(SKIP_1) | instid1(TRANS32_DEP_1)
	v_rcp_f32_e32 v1, v0
	v_nop
	v_fma_f32 v234, -v0, v1, 1.0
	s_delay_alu instid0(VALU_DEP_1) | instskip(NEXT) | instid1(VALU_DEP_1)
	v_fmac_f32_e32 v1, v234, v1
	v_mul_f32_e32 v234, v235, v1
	s_delay_alu instid0(VALU_DEP_1) | instskip(NEXT) | instid1(VALU_DEP_1)
	v_fma_f32 v238, -v0, v234, v235
	v_fmac_f32_e32 v234, v238, v1
	s_delay_alu instid0(VALU_DEP_1) | instskip(NEXT) | instid1(VALU_DEP_1)
	v_fma_f32 v0, -v0, v234, v235
	v_div_fmas_f32 v0, v0, v1, v234
	s_delay_alu instid0(VALU_DEP_1) | instskip(NEXT) | instid1(VALU_DEP_1)
	v_div_fixup_f32 v0, v0, v156, v157
	v_fma_f32 v1, v157, v0, v156
	s_delay_alu instid0(VALU_DEP_1) | instskip(NEXT) | instid1(VALU_DEP_1)
	v_div_scale_f32 v234, null, v1, v1, 1.0
	v_rcp_f32_e32 v235, v234
	v_nop
	s_delay_alu instid0(TRANS32_DEP_1) | instskip(NEXT) | instid1(VALU_DEP_1)
	v_fma_f32 v238, -v234, v235, 1.0
	v_fmac_f32_e32 v235, v238, v235
	v_div_scale_f32 v238, vcc_lo, 1.0, v1, 1.0
	s_delay_alu instid0(VALU_DEP_1) | instskip(NEXT) | instid1(VALU_DEP_1)
	v_mul_f32_e32 v239, v238, v235
	v_fma_f32 v240, -v234, v239, v238
	s_delay_alu instid0(VALU_DEP_1) | instskip(NEXT) | instid1(VALU_DEP_1)
	v_fmac_f32_e32 v239, v240, v235
	v_fma_f32 v234, -v234, v239, v238
	s_delay_alu instid0(VALU_DEP_1) | instskip(NEXT) | instid1(VALU_DEP_1)
	v_div_fmas_f32 v234, v234, v235, v239
	v_div_fixup_f32 v234, v234, v1, 1.0
	s_delay_alu instid0(VALU_DEP_1)
	v_mul_f32_e64 v235, v0, -v234
.LBB77_349:
	s_or_b32 exec_lo, exec_lo, s1
	ds_store_b64 v237, v[234:235]
.LBB77_350:
	s_or_b32 exec_lo, exec_lo, s2
	s_wait_dscnt 0x0
	s_barrier_signal -1
	s_barrier_wait -1
	ds_load_b64 v[234:235], v237
	s_wait_dscnt 0x0
	s_barrier_signal -1
	s_barrier_wait -1
	s_and_saveexec_b32 s4, s0
	s_cbranch_execz .LBB77_353
; %bb.351:
	v_cmp_eq_f32_e32 vcc_lo, 0, v158
	v_cmp_eq_f32_e64 s0, 0, v159
	v_cmp_neq_f32_e64 s1, 0, v160
	v_cmp_neq_f32_e64 s2, 0, v161
	v_lshl_add_u64 v[2:3], v[2:3], 2, s[6:7]
	s_and_b32 s0, vcc_lo, s0
	s_delay_alu instid0(SALU_CYCLE_1)
	v_cndmask_b32_e64 v0, 0, 1, s0
	s_or_b32 s1, s1, s2
	global_load_b32 v1, v[2:3], off
	s_or_b32 vcc_lo, s1, s0
	v_cmp_eq_f32_e64 s0, 0, v163
	v_cndmask_b32_e32 v0, 2, v0, vcc_lo
	v_cmp_eq_f32_e32 vcc_lo, 0, v162
	s_delay_alu instid0(VALU_DEP_2) | instskip(SKIP_3) | instid1(SALU_CYCLE_1)
	v_cmp_eq_u32_e64 s1, 0, v0
	s_and_b32 s0, vcc_lo, s0
	v_cmp_eq_f32_e32 vcc_lo, 0, v164
	s_and_b32 s0, s0, s1
	v_cndmask_b32_e64 v0, v0, 3, s0
	v_cmp_eq_f32_e64 s0, 0, v165
	s_delay_alu instid0(VALU_DEP_2) | instskip(SKIP_3) | instid1(SALU_CYCLE_1)
	v_cmp_eq_u32_e64 s1, 0, v0
	s_and_b32 s0, vcc_lo, s0
	v_cmp_eq_f32_e32 vcc_lo, 0, v166
	s_and_b32 s0, s0, s1
	v_cndmask_b32_e64 v0, v0, 4, s0
	v_cmp_eq_f32_e64 s0, 0, v167
	;; [unrolled: 7-line block ×36, first 2 shown]
	s_delay_alu instid0(VALU_DEP_2) | instskip(SKIP_4) | instid1(SALU_CYCLE_1)
	v_cmp_eq_u32_e64 s1, 0, v0
	s_and_b32 s0, vcc_lo, s0
	s_wait_loadcnt 0x0
	v_cmp_eq_u32_e32 vcc_lo, 0, v1
	s_and_b32 s0, s0, s1
	v_cndmask_b32_e64 v158, v0, 39, s0
	s_delay_alu instid0(VALU_DEP_1) | instskip(SKIP_1) | instid1(SALU_CYCLE_1)
	v_cmp_ne_u32_e64 s0, 0, v158
	s_and_b32 s0, vcc_lo, s0
	s_and_b32 exec_lo, exec_lo, s0
	s_cbranch_execz .LBB77_353
; %bb.352:
	v_add_nc_u32_e32 v0, s3, v158
	global_store_b32 v[2:3], v0, off
.LBB77_353:
	s_wait_xcnt 0x0
	s_or_b32 exec_lo, exec_lo, s4
	v_pk_mul_f32 v[0:1], v[234:235], v[156:157] op_sel:[1,1] op_sel_hi:[0,1]
	v_cmp_lt_u32_e32 vcc_lo, 38, v236
	s_clause 0x4
	global_store_b64 v[18:19], v[50:51], off
	global_store_b64 v[34:35], v[52:53], off
	;; [unrolled: 1-line block ×5, first 2 shown]
	v_pk_fma_f32 v[2:3], v[234:235], v[156:157], v[0:1] op_sel_hi:[1,0,1]
	v_pk_fma_f32 v[0:1], v[234:235], v[156:157], v[0:1] neg_lo:[0,0,1] neg_hi:[0,0,1]
	s_delay_alu instid0(VALU_DEP_1)
	v_dual_cndmask_b32 v1, v157, v3 :: v_dual_cndmask_b32 v0, v156, v0
	scratch_load_b64 v[2:3], off, off th:TH_LOAD_LU ; 8-byte Folded Reload
	s_wait_loadcnt 0x0
	s_clause 0x21
	global_store_b64 v[2:3], v[24:25], off
	global_store_b64 v[4:5], v[26:27], off
	;; [unrolled: 1-line block ×34, first 2 shown]
.LBB77_354:
	s_sendmsg sendmsg(MSG_DEALLOC_VGPRS)
	s_endpgm
	.section	.rodata,"a",@progbits
	.p2align	6, 0x0
	.amdhsa_kernel _ZN9rocsolver6v33100L23getf2_npvt_small_kernelILi39E19rocblas_complex_numIfEiiPS3_EEvT1_T3_lS5_lPT2_S5_S5_
		.amdhsa_group_segment_fixed_size 0
		.amdhsa_private_segment_fixed_size 12
		.amdhsa_kernarg_size 312
		.amdhsa_user_sgpr_count 2
		.amdhsa_user_sgpr_dispatch_ptr 0
		.amdhsa_user_sgpr_queue_ptr 0
		.amdhsa_user_sgpr_kernarg_segment_ptr 1
		.amdhsa_user_sgpr_dispatch_id 0
		.amdhsa_user_sgpr_kernarg_preload_length 0
		.amdhsa_user_sgpr_kernarg_preload_offset 0
		.amdhsa_user_sgpr_private_segment_size 0
		.amdhsa_wavefront_size32 1
		.amdhsa_uses_dynamic_stack 0
		.amdhsa_enable_private_segment 1
		.amdhsa_system_sgpr_workgroup_id_x 1
		.amdhsa_system_sgpr_workgroup_id_y 1
		.amdhsa_system_sgpr_workgroup_id_z 0
		.amdhsa_system_sgpr_workgroup_info 0
		.amdhsa_system_vgpr_workitem_id 1
		.amdhsa_next_free_vgpr 256
		.amdhsa_next_free_sgpr 15
		.amdhsa_named_barrier_count 0
		.amdhsa_reserve_vcc 1
		.amdhsa_float_round_mode_32 0
		.amdhsa_float_round_mode_16_64 0
		.amdhsa_float_denorm_mode_32 3
		.amdhsa_float_denorm_mode_16_64 3
		.amdhsa_fp16_overflow 0
		.amdhsa_memory_ordered 1
		.amdhsa_forward_progress 1
		.amdhsa_inst_pref_size 255
		.amdhsa_round_robin_scheduling 0
		.amdhsa_exception_fp_ieee_invalid_op 0
		.amdhsa_exception_fp_denorm_src 0
		.amdhsa_exception_fp_ieee_div_zero 0
		.amdhsa_exception_fp_ieee_overflow 0
		.amdhsa_exception_fp_ieee_underflow 0
		.amdhsa_exception_fp_ieee_inexact 0
		.amdhsa_exception_int_div_zero 0
	.end_amdhsa_kernel
	.section	.text._ZN9rocsolver6v33100L23getf2_npvt_small_kernelILi39E19rocblas_complex_numIfEiiPS3_EEvT1_T3_lS5_lPT2_S5_S5_,"axG",@progbits,_ZN9rocsolver6v33100L23getf2_npvt_small_kernelILi39E19rocblas_complex_numIfEiiPS3_EEvT1_T3_lS5_lPT2_S5_S5_,comdat
.Lfunc_end77:
	.size	_ZN9rocsolver6v33100L23getf2_npvt_small_kernelILi39E19rocblas_complex_numIfEiiPS3_EEvT1_T3_lS5_lPT2_S5_S5_, .Lfunc_end77-_ZN9rocsolver6v33100L23getf2_npvt_small_kernelILi39E19rocblas_complex_numIfEiiPS3_EEvT1_T3_lS5_lPT2_S5_S5_
                                        ; -- End function
	.set _ZN9rocsolver6v33100L23getf2_npvt_small_kernelILi39E19rocblas_complex_numIfEiiPS3_EEvT1_T3_lS5_lPT2_S5_S5_.num_vgpr, 256
	.set _ZN9rocsolver6v33100L23getf2_npvt_small_kernelILi39E19rocblas_complex_numIfEiiPS3_EEvT1_T3_lS5_lPT2_S5_S5_.num_agpr, 0
	.set _ZN9rocsolver6v33100L23getf2_npvt_small_kernelILi39E19rocblas_complex_numIfEiiPS3_EEvT1_T3_lS5_lPT2_S5_S5_.numbered_sgpr, 15
	.set _ZN9rocsolver6v33100L23getf2_npvt_small_kernelILi39E19rocblas_complex_numIfEiiPS3_EEvT1_T3_lS5_lPT2_S5_S5_.num_named_barrier, 0
	.set _ZN9rocsolver6v33100L23getf2_npvt_small_kernelILi39E19rocblas_complex_numIfEiiPS3_EEvT1_T3_lS5_lPT2_S5_S5_.private_seg_size, 12
	.set _ZN9rocsolver6v33100L23getf2_npvt_small_kernelILi39E19rocblas_complex_numIfEiiPS3_EEvT1_T3_lS5_lPT2_S5_S5_.uses_vcc, 1
	.set _ZN9rocsolver6v33100L23getf2_npvt_small_kernelILi39E19rocblas_complex_numIfEiiPS3_EEvT1_T3_lS5_lPT2_S5_S5_.uses_flat_scratch, 0
	.set _ZN9rocsolver6v33100L23getf2_npvt_small_kernelILi39E19rocblas_complex_numIfEiiPS3_EEvT1_T3_lS5_lPT2_S5_S5_.has_dyn_sized_stack, 0
	.set _ZN9rocsolver6v33100L23getf2_npvt_small_kernelILi39E19rocblas_complex_numIfEiiPS3_EEvT1_T3_lS5_lPT2_S5_S5_.has_recursion, 0
	.set _ZN9rocsolver6v33100L23getf2_npvt_small_kernelILi39E19rocblas_complex_numIfEiiPS3_EEvT1_T3_lS5_lPT2_S5_S5_.has_indirect_call, 0
	.section	.AMDGPU.csdata,"",@progbits
; Kernel info:
; codeLenInByte = 68652
; TotalNumSgprs: 17
; NumVgprs: 256
; ScratchSize: 12
; MemoryBound: 0
; FloatMode: 240
; IeeeMode: 1
; LDSByteSize: 0 bytes/workgroup (compile time only)
; SGPRBlocks: 0
; VGPRBlocks: 15
; NumSGPRsForWavesPerEU: 17
; NumVGPRsForWavesPerEU: 256
; NamedBarCnt: 0
; Occupancy: 4
; WaveLimiterHint : 0
; COMPUTE_PGM_RSRC2:SCRATCH_EN: 1
; COMPUTE_PGM_RSRC2:USER_SGPR: 2
; COMPUTE_PGM_RSRC2:TRAP_HANDLER: 0
; COMPUTE_PGM_RSRC2:TGID_X_EN: 1
; COMPUTE_PGM_RSRC2:TGID_Y_EN: 1
; COMPUTE_PGM_RSRC2:TGID_Z_EN: 0
; COMPUTE_PGM_RSRC2:TIDIG_COMP_CNT: 1
	.section	.text._ZN9rocsolver6v33100L18getf2_small_kernelILi40E19rocblas_complex_numIfEiiPS3_EEvT1_T3_lS5_lPS5_llPT2_S5_S5_S7_l,"axG",@progbits,_ZN9rocsolver6v33100L18getf2_small_kernelILi40E19rocblas_complex_numIfEiiPS3_EEvT1_T3_lS5_lPS5_llPT2_S5_S5_S7_l,comdat
	.globl	_ZN9rocsolver6v33100L18getf2_small_kernelILi40E19rocblas_complex_numIfEiiPS3_EEvT1_T3_lS5_lPS5_llPT2_S5_S5_S7_l ; -- Begin function _ZN9rocsolver6v33100L18getf2_small_kernelILi40E19rocblas_complex_numIfEiiPS3_EEvT1_T3_lS5_lPS5_llPT2_S5_S5_S7_l
	.p2align	8
	.type	_ZN9rocsolver6v33100L18getf2_small_kernelILi40E19rocblas_complex_numIfEiiPS3_EEvT1_T3_lS5_lPS5_llPT2_S5_S5_S7_l,@function
_ZN9rocsolver6v33100L18getf2_small_kernelILi40E19rocblas_complex_numIfEiiPS3_EEvT1_T3_lS5_lPS5_llPT2_S5_S5_S7_l: ; @_ZN9rocsolver6v33100L18getf2_small_kernelILi40E19rocblas_complex_numIfEiiPS3_EEvT1_T3_lS5_lPS5_llPT2_S5_S5_S7_l
; %bb.0:
	s_clause 0x1
	s_load_u16 s2, s[0:1], 0x6e
	s_load_b64 s[16:17], s[0:1], 0x48
	s_bfe_u32 s3, ttmp6, 0x40010
	s_bfe_u32 s4, ttmp6, 0x40004
	s_add_co_i32 s3, s3, 1
	s_getreg_b32 s5, hwreg(HW_REG_IB_STS2, 6, 4)
	s_mul_i32 s3, ttmp7, s3
	v_bfe_u32 v88, v0, 10, 10
	s_add_co_i32 s4, s4, s3
	s_cmp_eq_u32 s5, 0
	s_cselect_b32 s3, ttmp7, s4
	s_wait_kmcnt 0x0
	v_mad_u32 v2, s3, s2, v88
	s_mov_b32 s2, exec_lo
	s_delay_alu instid0(VALU_DEP_1)
	v_cmpx_gt_i32_e64 s16, v2
	s_cbranch_execz .LBB78_841
; %bb.1:
	s_load_b128 s[4:7], s[0:1], 0x50
	v_mov_b64_e32 v[4:5], 0
	v_ashrrev_i32_e32 v3, 31, v2
	s_wait_kmcnt 0x0
	s_cmp_eq_u64 s[4:5], 0
	s_cselect_b32 s16, -1, 0
	s_delay_alu instid0(SALU_CYCLE_1)
	s_and_b32 vcc_lo, exec_lo, s16
	s_cbranch_vccnz .LBB78_3
; %bb.2:
	v_mul_u64_e32 v[4:5], s[6:7], v[2:3]
	s_delay_alu instid0(VALU_DEP_1)
	v_lshl_add_u64 v[4:5], v[4:5], 2, s[4:5]
.LBB78_3:
	s_clause 0x2
	s_load_b32 s2, s[0:1], 0x18
	s_load_b128 s[12:15], s[0:1], 0x8
	s_load_b32 s18, s[0:1], 0x0
	v_and_b32_e32 v93, 0x3ff, v0
	s_load_b256 s[4:11], s[0:1], 0x20
	v_mov_b32_e32 v87, 0
	s_wait_kmcnt 0x0
	s_delay_alu instid0(VALU_DEP_2) | instskip(SKIP_2) | instid1(VALU_DEP_2)
	v_add3_u32 v6, s2, s2, v93
	s_ashr_i32 s3, s2, 31
	v_mul_u64_e32 v[0:1], s[4:5], v[2:3]
	v_add_nc_u32_e32 v8, s2, v6
	s_max_i32 s4, s18, 40
	s_cmp_lt_i32 s18, 2
	s_delay_alu instid0(VALU_DEP_1) | instskip(NEXT) | instid1(VALU_DEP_1)
	v_add_nc_u32_e32 v10, s2, v8
	v_add_nc_u32_e32 v12, s2, v10
	s_delay_alu instid0(VALU_DEP_1) | instskip(NEXT) | instid1(VALU_DEP_1)
	v_dual_add_nc_u32 v14, s2, v12 :: v_dual_ashrrev_i32 v7, 31, v6
	v_dual_ashrrev_i32 v9, 31, v8 :: v_dual_add_nc_u32 v16, s2, v14
	s_delay_alu instid0(VALU_DEP_1) | instskip(SKIP_1) | instid1(VALU_DEP_2)
	v_dual_add_nc_u32 v18, s2, v16 :: v_dual_ashrrev_i32 v11, 31, v10
	v_ashrrev_i32_e32 v13, 31, v12
	v_dual_ashrrev_i32 v17, 31, v16 :: v_dual_add_nc_u32 v20, s2, v18
	v_lshl_add_u64 v[0:1], v[0:1], 3, s[12:13]
	s_delay_alu instid0(VALU_DEP_2) | instskip(NEXT) | instid1(VALU_DEP_2)
	v_add_nc_u32_e32 v22, s2, v20
	v_lshl_add_u64 v[0:1], s[14:15], 3, v[0:1]
	s_delay_alu instid0(VALU_DEP_2) | instskip(NEXT) | instid1(VALU_DEP_2)
	v_add_nc_u32_e32 v24, s2, v22
	v_lshl_add_u64 v[48:49], v[10:11], 3, v[0:1]
	v_lshl_add_u64 v[12:13], v[12:13], 3, v[0:1]
	;; [unrolled: 1-line block ×4, first 2 shown]
	v_dual_add_nc_u32 v26, s2, v24 :: v_dual_ashrrev_i32 v19, 31, v18
	v_ashrrev_i32_e32 v21, 31, v20
	v_lshl_add_u64 v[16:17], v[16:17], 3, v[0:1]
	s_delay_alu instid0(VALU_DEP_3) | instskip(NEXT) | instid1(VALU_DEP_4)
	v_add_nc_u32_e32 v28, s2, v26
	v_lshl_add_u64 v[18:19], v[18:19], 3, v[0:1]
	s_delay_alu instid0(VALU_DEP_4) | instskip(SKIP_1) | instid1(VALU_DEP_4)
	v_lshl_add_u64 v[20:21], v[20:21], 3, v[0:1]
	v_ashrrev_i32_e32 v23, 31, v22
	v_dual_ashrrev_i32 v27, 31, v26 :: v_dual_add_nc_u32 v30, s2, v28
	s_delay_alu instid0(VALU_DEP_1) | instskip(SKIP_1) | instid1(VALU_DEP_2)
	v_dual_ashrrev_i32 v25, 31, v24 :: v_dual_add_nc_u32 v32, s2, v30
	v_dual_lshlrev_b32 v86, 3, v93 :: v_dual_ashrrev_i32 v31, 31, v30
	v_add_nc_u32_e32 v34, s2, v32
	s_delay_alu instid0(VALU_DEP_2) | instskip(NEXT) | instid1(VALU_DEP_2)
	v_add_nc_u64_e32 v[46:47], v[0:1], v[86:87]
	v_dual_ashrrev_i32 v33, 31, v32 :: v_dual_ashrrev_i32 v35, 31, v34
	v_add_nc_u32_e32 v36, s2, v34
	s_delay_alu instid0(VALU_DEP_1) | instskip(NEXT) | instid1(VALU_DEP_1)
	v_dual_ashrrev_i32 v15, 31, v14 :: v_dual_add_nc_u32 v38, s2, v36
	v_lshl_add_u64 v[14:15], v[14:15], 3, v[0:1]
	s_clause 0x3
	global_load_b64 v[44:45], v[48:49], off
	global_load_b64 v[40:41], v[12:13], off
	;; [unrolled: 1-line block ×4, first 2 shown]
	v_add_nc_u32_e32 v52, s2, v38
	s_wait_xcnt 0x2
	v_lshl_add_u64 v[12:13], s[2:3], 3, v[46:47]
	s_clause 0x3
	global_load_b64 v[78:79], v[6:7], off
	global_load_b64 v[76:77], v[8:9], off
	;; [unrolled: 1-line block ×4, first 2 shown]
	s_wait_xcnt 0x5
	v_lshl_add_u64 v[14:15], v[22:23], 3, v[0:1]
	v_add_nc_u32_e32 v54, s2, v52
	s_wait_xcnt 0x3
	v_lshl_add_u64 v[6:7], v[24:25], 3, v[0:1]
	s_clause 0x3
	global_load_b64 v[50:51], v[18:19], off
	global_load_b64 v[46:47], v[20:21], off
	;; [unrolled: 1-line block ×4, first 2 shown]
	s_wait_xcnt 0x1
	v_lshl_add_u64 v[14:15], v[26:27], 3, v[0:1]
	v_add_nc_u32_e32 v56, s2, v54
	v_lshl_add_u64 v[26:27], v[32:33], 3, v[0:1]
	v_lshl_add_u64 v[22:23], v[30:31], 3, v[0:1]
	v_dual_ashrrev_i32 v37, 31, v36 :: v_dual_ashrrev_i32 v39, 31, v38
	s_delay_alu instid0(VALU_DEP_4) | instskip(NEXT) | instid1(VALU_DEP_2)
	v_add_nc_u32_e32 v16, s2, v56
	v_lshl_add_u64 v[30:31], v[36:37], 3, v[0:1]
	s_delay_alu instid0(VALU_DEP_3) | instskip(NEXT) | instid1(VALU_DEP_3)
	v_lshl_add_u64 v[32:33], v[38:39], 3, v[0:1]
	v_add_nc_u32_e32 v8, s2, v16
	v_ashrrev_i32_e32 v57, 31, v56
	s_wait_xcnt 0x0
	s_delay_alu instid0(VALU_DEP_2) | instskip(SKIP_1) | instid1(VALU_DEP_2)
	v_add_nc_u32_e32 v6, s2, v8
	v_ashrrev_i32_e32 v29, 31, v28
	v_dual_ashrrev_i32 v17, 31, v16 :: v_dual_ashrrev_i32 v7, 31, v6
	v_add_nc_u32_e32 v18, s2, v6
	s_delay_alu instid0(VALU_DEP_3)
	v_lshl_add_u64 v[20:21], v[28:29], 3, v[0:1]
	s_clause 0x3
	global_load_b64 v[74:75], v[14:15], off
	global_load_b64 v[70:71], v[20:21], off
	global_load_b64 v[72:73], v[22:23], off
	global_load_b64 v[24:25], v[26:27], off
	v_add_nc_u32_e32 v28, s2, v18
	s_wait_xcnt 0x2
	v_lshl_add_u64 v[20:21], v[34:35], 3, v[0:1]
	v_dual_ashrrev_i32 v9, 31, v8 :: v_dual_ashrrev_i32 v19, 31, v18
	v_lshl_add_u64 v[38:39], v[16:17], 3, v[0:1]
	v_add_nc_u32_e32 v14, s2, v28
	v_ashrrev_i32_e32 v53, 31, v52
	s_delay_alu instid0(VALU_DEP_4)
	v_lshl_add_u64 v[8:9], v[8:9], 3, v[0:1]
	v_lshl_add_u64 v[6:7], v[6:7], 3, v[0:1]
	;; [unrolled: 1-line block ×3, first 2 shown]
	s_wait_xcnt 0x0
	v_add_nc_u32_e32 v26, s2, v14
	v_lshl_add_u64 v[34:35], v[52:53], 3, v[0:1]
	s_clause 0x3
	global_load_b64 v[68:69], v[20:21], off
	global_load_b64 v[64:65], v[30:31], off
	;; [unrolled: 1-line block ×4, first 2 shown]
	s_wait_xcnt 0x0
	v_lshl_add_u64 v[34:35], v[56:57], 3, v[0:1]
	v_add_nc_u32_e32 v36, s2, v26
	v_ashrrev_i32_e32 v55, 31, v54
	v_ashrrev_i32_e32 v15, 31, v14
	s_delay_alu instid0(VALU_DEP_3) | instskip(NEXT) | instid1(VALU_DEP_3)
	v_dual_ashrrev_i32 v27, 31, v26 :: v_dual_add_nc_u32 v20, s2, v36
	v_lshl_add_u64 v[30:31], v[54:55], 3, v[0:1]
	s_clause 0x3
	global_load_b64 v[62:63], v[30:31], off
	global_load_b64 v[58:59], v[34:35], off
	;; [unrolled: 1-line block ×4, first 2 shown]
	v_add_nc_u32_e32 v32, s2, v20
	s_wait_xcnt 0x2
	v_lshl_add_u64 v[34:35], v[14:15], 3, v[0:1]
	v_lshl_add_u64 v[26:27], v[26:27], 3, v[0:1]
	s_delay_alu instid0(VALU_DEP_3) | instskip(SKIP_1) | instid1(VALU_DEP_1)
	v_add_nc_u32_e32 v84, s2, v32
	s_wait_xcnt 0x0
	v_add_nc_u32_e32 v8, s2, v84
	s_delay_alu instid0(VALU_DEP_1) | instskip(NEXT) | instid1(VALU_DEP_1)
	v_add_nc_u32_e32 v30, s2, v8
	v_dual_add_nc_u32 v90, s2, v30 :: v_dual_ashrrev_i32 v29, 31, v28
	s_delay_alu instid0(VALU_DEP_1) | instskip(NEXT) | instid1(VALU_DEP_2)
	v_dual_ashrrev_i32 v33, 31, v32 :: v_dual_ashrrev_i32 v91, 31, v90
	v_lshl_add_u64 v[28:29], v[28:29], 3, v[0:1]
	s_clause 0x3
	global_load_b64 v[56:57], v[6:7], off
	global_load_b64 v[52:53], v[18:19], off
	;; [unrolled: 1-line block ×4, first 2 shown]
	s_wait_xcnt 0x2
	v_dual_add_nc_u32 v18, s2, v90 :: v_dual_ashrrev_i32 v85, 31, v84
	v_lshl_add_u64 v[32:33], v[32:33], 3, v[0:1]
	v_lshl_add_u64 v[90:91], v[90:91], 3, v[0:1]
	s_delay_alu instid0(VALU_DEP_3) | instskip(SKIP_2) | instid1(VALU_DEP_3)
	v_dual_add_nc_u32 v94, s2, v18 :: v_dual_ashrrev_i32 v21, 31, v20
	v_ashrrev_i32_e32 v9, 31, v8
	v_dual_ashrrev_i32 v37, 31, v36 :: v_dual_ashrrev_i32 v31, 31, v30
	v_dual_add_nc_u32 v96, s2, v94 :: v_dual_ashrrev_i32 v95, 31, v94
	s_delay_alu instid0(VALU_DEP_3) | instskip(SKIP_2) | instid1(VALU_DEP_4)
	v_lshl_add_u64 v[100:101], v[8:9], 3, v[0:1]
	v_ashrrev_i32_e32 v19, 31, v18
	v_lshl_add_u64 v[98:99], v[84:85], 3, v[0:1]
	v_dual_add_nc_u32 v8, s2, v96 :: v_dual_ashrrev_i32 v97, 31, v96
	s_wait_xcnt 0x1
	v_lshl_add_u64 v[28:29], v[36:37], 3, v[0:1]
	v_lshl_add_u64 v[20:21], v[20:21], 3, v[0:1]
	;; [unrolled: 1-line block ×3, first 2 shown]
	v_ashrrev_i32_e32 v9, 31, v8
	v_lshl_add_u64 v[104:105], v[18:19], 3, v[0:1]
	s_clause 0x3
	global_load_b64 v[38:39], v[26:27], off
	global_load_b64 v[34:35], v[28:29], off
	;; [unrolled: 1-line block ×4, first 2 shown]
	v_lshl_add_u64 v[94:95], v[94:95], 3, v[0:1]
	v_lshl_add_u64 v[96:97], v[96:97], 3, v[0:1]
	;; [unrolled: 1-line block ×3, first 2 shown]
	s_clause 0x7
	global_load_b64 v[32:33], v[98:99], off
	global_load_b64 v[28:29], v[100:101], off
	;; [unrolled: 1-line block ×8, first 2 shown]
	s_wait_xcnt 0x4
	v_mul_lo_u32 v91, s4, v88
	s_load_b64 s[4:5], s[0:1], 0x40
	s_delay_alu instid0(VALU_DEP_1) | instskip(NEXT) | instid1(VALU_DEP_1)
	v_lshl_add_u32 v90, v91, 3, 0
	v_dual_lshlrev_b32 v91, 3, v91 :: v_dual_add_nc_u32 v86, v90, v86
	s_wait_loadcnt 0x21
	ds_store_b64 v86, v[82:83]
	s_wait_loadcnt_dscnt 0x0
	s_barrier_signal -1
	s_barrier_wait -1
	ds_load_b64 v[88:89], v90
	s_cbranch_scc1 .LBB78_6
; %bb.4:
	v_add3_u32 v86, v91, 0, 8
	v_mov_b32_e32 v87, 0
	s_wait_xcnt 0x0
	s_mov_b32 s1, 1
.LBB78_5:                               ; =>This Inner Loop Header: Depth=1
	ds_load_b64 v[94:95], v86
	s_wait_dscnt 0x1
	v_cmp_gt_f32_e32 vcc_lo, 0, v88
	v_cmp_gt_f32_e64 s0, 0, v89
	s_delay_alu instid0(VALU_DEP_1) | instskip(SKIP_3) | instid1(VALU_DEP_1)
	v_dual_cndmask_b32 v96, v88, -v88, vcc_lo :: v_dual_cndmask_b32 v98, v89, -v89, s0
	s_wait_dscnt 0x0
	v_cmp_gt_f32_e32 vcc_lo, 0, v94
	v_cmp_gt_f32_e64 s0, 0, v95
	v_dual_cndmask_b32 v97, v94, -v94, vcc_lo :: v_dual_cndmask_b32 v99, v95, -v95, s0
	s_delay_alu instid0(VALU_DEP_1) | instskip(NEXT) | instid1(VALU_DEP_1)
	v_pk_add_f32 v[96:97], v[96:97], v[98:99]
	v_cmp_lt_f32_e32 vcc_lo, v96, v97
	v_dual_cndmask_b32 v89, v89, v95 :: v_dual_add_nc_u32 v86, 8, v86
	v_cndmask_b32_e32 v88, v88, v94, vcc_lo
	v_cndmask_b32_e64 v87, v87, s1, vcc_lo
	s_add_co_i32 s1, s1, 1
	s_delay_alu instid0(SALU_CYCLE_1)
	s_cmp_eq_u32 s18, s1
	s_cbranch_scc0 .LBB78_5
.LBB78_6:
	s_wait_dscnt 0x0
	v_cmp_neq_f32_e32 vcc_lo, 0, v88
	s_wait_xcnt 0x0
	v_cmp_neq_f32_e64 s0, 0, v89
	v_dual_mov_b32 v92, 1 :: v_dual_mov_b32 v95, 1
	s_or_b32 s1, vcc_lo, s0
	s_delay_alu instid0(SALU_CYCLE_1)
	s_and_saveexec_b32 s0, s1
	s_cbranch_execz .LBB78_12
; %bb.7:
	v_cmp_ngt_f32_e64 s1, |v88|, |v89|
	s_and_saveexec_b32 s12, s1
	s_delay_alu instid0(SALU_CYCLE_1)
	s_xor_b32 s1, exec_lo, s12
	s_cbranch_execz .LBB78_9
; %bb.8:
	v_div_scale_f32 v86, null, v89, v89, v88
	v_div_scale_f32 v95, vcc_lo, v88, v89, v88
	s_delay_alu instid0(VALU_DEP_2) | instskip(SKIP_1) | instid1(TRANS32_DEP_1)
	v_rcp_f32_e32 v92, v86
	v_nop
	v_fma_f32 v94, -v86, v92, 1.0
	s_delay_alu instid0(VALU_DEP_1) | instskip(NEXT) | instid1(VALU_DEP_1)
	v_fmac_f32_e32 v92, v94, v92
	v_mul_f32_e32 v94, v95, v92
	s_delay_alu instid0(VALU_DEP_1) | instskip(NEXT) | instid1(VALU_DEP_1)
	v_fma_f32 v96, -v86, v94, v95
	v_fmac_f32_e32 v94, v96, v92
	s_delay_alu instid0(VALU_DEP_1) | instskip(NEXT) | instid1(VALU_DEP_1)
	v_fma_f32 v86, -v86, v94, v95
	v_div_fmas_f32 v86, v86, v92, v94
	s_delay_alu instid0(VALU_DEP_1) | instskip(NEXT) | instid1(VALU_DEP_1)
	v_div_fixup_f32 v86, v86, v89, v88
	v_fmac_f32_e32 v89, v88, v86
	s_delay_alu instid0(VALU_DEP_1) | instskip(SKIP_1) | instid1(VALU_DEP_2)
	v_div_scale_f32 v88, null, v89, v89, 1.0
	v_div_scale_f32 v95, vcc_lo, 1.0, v89, 1.0
	v_rcp_f32_e32 v92, v88
	v_nop
	s_delay_alu instid0(TRANS32_DEP_1) | instskip(NEXT) | instid1(VALU_DEP_1)
	v_fma_f32 v94, -v88, v92, 1.0
	v_fmac_f32_e32 v92, v94, v92
	s_delay_alu instid0(VALU_DEP_1) | instskip(NEXT) | instid1(VALU_DEP_1)
	v_mul_f32_e32 v94, v95, v92
	v_fma_f32 v96, -v88, v94, v95
	s_delay_alu instid0(VALU_DEP_1) | instskip(NEXT) | instid1(VALU_DEP_1)
	v_fmac_f32_e32 v94, v96, v92
	v_fma_f32 v88, -v88, v94, v95
	s_delay_alu instid0(VALU_DEP_1) | instskip(NEXT) | instid1(VALU_DEP_1)
	v_div_fmas_f32 v88, v88, v92, v94
	v_div_fixup_f32 v89, v88, v89, 1.0
	s_delay_alu instid0(VALU_DEP_1)
	v_mul_f32_e32 v88, v86, v89
	v_xor_b32_e32 v89, 0x80000000, v89
.LBB78_9:
	s_and_not1_saveexec_b32 s1, s1
	s_cbranch_execz .LBB78_11
; %bb.10:
	s_delay_alu instid0(VALU_DEP_1) | instskip(SKIP_1) | instid1(VALU_DEP_2)
	v_div_scale_f32 v86, null, v88, v88, v89
	v_div_scale_f32 v95, vcc_lo, v89, v88, v89
	v_rcp_f32_e32 v92, v86
	v_nop
	s_delay_alu instid0(TRANS32_DEP_1) | instskip(NEXT) | instid1(VALU_DEP_1)
	v_fma_f32 v94, -v86, v92, 1.0
	v_fmac_f32_e32 v92, v94, v92
	s_delay_alu instid0(VALU_DEP_1) | instskip(NEXT) | instid1(VALU_DEP_1)
	v_mul_f32_e32 v94, v95, v92
	v_fma_f32 v96, -v86, v94, v95
	s_delay_alu instid0(VALU_DEP_1) | instskip(NEXT) | instid1(VALU_DEP_1)
	v_fmac_f32_e32 v94, v96, v92
	v_fma_f32 v86, -v86, v94, v95
	s_delay_alu instid0(VALU_DEP_1) | instskip(NEXT) | instid1(VALU_DEP_1)
	v_div_fmas_f32 v86, v86, v92, v94
	v_div_fixup_f32 v86, v86, v88, v89
	s_delay_alu instid0(VALU_DEP_1) | instskip(NEXT) | instid1(VALU_DEP_1)
	v_fmac_f32_e32 v88, v89, v86
	v_div_scale_f32 v89, null, v88, v88, 1.0
	s_delay_alu instid0(VALU_DEP_1) | instskip(SKIP_1) | instid1(TRANS32_DEP_1)
	v_rcp_f32_e32 v92, v89
	v_nop
	v_fma_f32 v94, -v89, v92, 1.0
	s_delay_alu instid0(VALU_DEP_1) | instskip(SKIP_1) | instid1(VALU_DEP_1)
	v_fmac_f32_e32 v92, v94, v92
	v_div_scale_f32 v94, vcc_lo, 1.0, v88, 1.0
	v_mul_f32_e32 v95, v94, v92
	s_delay_alu instid0(VALU_DEP_1) | instskip(NEXT) | instid1(VALU_DEP_1)
	v_fma_f32 v96, -v89, v95, v94
	v_fmac_f32_e32 v95, v96, v92
	s_delay_alu instid0(VALU_DEP_1) | instskip(NEXT) | instid1(VALU_DEP_1)
	v_fma_f32 v89, -v89, v95, v94
	v_div_fmas_f32 v89, v89, v92, v95
	s_delay_alu instid0(VALU_DEP_1) | instskip(NEXT) | instid1(VALU_DEP_1)
	v_div_fixup_f32 v88, v89, v88, 1.0
	v_mul_f32_e64 v89, v86, -v88
.LBB78_11:
	s_or_b32 exec_lo, exec_lo, s1
	v_dual_mov_b32 v95, 0 :: v_dual_mov_b32 v92, 2
.LBB78_12:
	s_or_b32 exec_lo, exec_lo, s0
	s_delay_alu instid0(SALU_CYCLE_1)
	s_mov_b32 s0, exec_lo
	v_cmpx_ne_u32_e64 v93, v87
	s_xor_b32 s0, exec_lo, s0
	s_cbranch_execz .LBB78_18
; %bb.13:
	s_mov_b32 s1, exec_lo
	v_cmpx_eq_u32_e32 0, v93
	s_cbranch_execz .LBB78_17
; %bb.14:
	v_cmp_ne_u32_e32 vcc_lo, 0, v87
	s_xor_b32 s12, s16, -1
	s_delay_alu instid0(SALU_CYCLE_1) | instskip(NEXT) | instid1(SALU_CYCLE_1)
	s_and_b32 s13, s12, vcc_lo
	s_and_saveexec_b32 s12, s13
	s_cbranch_execz .LBB78_16
; %bb.15:
	v_dual_mov_b32 v96, v87 :: v_dual_ashrrev_i32 v97, 31, v87
	s_delay_alu instid0(VALU_DEP_1)
	v_lshl_add_u64 v[96:97], v[96:97], 2, v[4:5]
	s_clause 0x1
	global_load_b32 v86, v[96:97], off
	global_load_b32 v93, v[4:5], off
	s_wait_loadcnt 0x1
	global_store_b32 v[4:5], v86, off
	s_wait_loadcnt 0x0
	global_store_b32 v[96:97], v93, off
.LBB78_16:
	s_wait_xcnt 0x0
	s_or_b32 exec_lo, exec_lo, s12
	v_mov_b32_e32 v93, v87
.LBB78_17:
	s_or_b32 exec_lo, exec_lo, s1
.LBB78_18:
	s_or_saveexec_b32 s0, s0
	s_delay_alu instid0(VALU_DEP_1)
	v_mov_b32_e32 v94, v93
	s_xor_b32 exec_lo, exec_lo, s0
	s_cbranch_execz .LBB78_20
; %bb.19:
	v_mov_b32_e32 v94, 0
	ds_store_2addr_b64 v90, v[80:81], v[78:79] offset0:1 offset1:2
	ds_store_2addr_b64 v90, v[76:77], v[44:45] offset0:3 offset1:4
	;; [unrolled: 1-line block ×19, first 2 shown]
	ds_store_b64 v90, v[84:85] offset:312
.LBB78_20:
	s_or_b32 exec_lo, exec_lo, s0
	s_delay_alu instid0(SALU_CYCLE_1)
	s_mov_b32 s0, exec_lo
	s_wait_storecnt_dscnt 0x0
	s_barrier_signal -1
	s_barrier_wait -1
	v_cmpx_lt_i32_e32 0, v94
	s_cbranch_execz .LBB78_22
; %bb.21:
	v_pk_mul_f32 v[96:97], v[88:89], v[82:83] op_sel:[1,1] op_sel_hi:[0,1]
	s_delay_alu instid0(VALU_DEP_1)
	v_pk_fma_f32 v[86:87], v[88:89], v[82:83], v[96:97] op_sel_hi:[1,0,1] neg_lo:[0,0,1] neg_hi:[0,0,1]
	v_pk_fma_f32 v[88:89], v[88:89], v[82:83], v[96:97] op_sel_hi:[1,0,1]
	ds_load_2addr_b64 v[96:99], v90 offset0:1 offset1:2
	v_dual_mov_b32 v82, v86 :: v_dual_mov_b32 v83, v89
	s_wait_dscnt 0x0
	v_pk_mul_f32 v[100:101], v[96:97], v[88:89] op_sel:[0,1]
	s_delay_alu instid0(VALU_DEP_1) | instskip(SKIP_1) | instid1(VALU_DEP_1)
	v_pk_fma_f32 v[102:103], v[96:97], v[86:87], v[100:101] op_sel:[0,0,1] op_sel_hi:[1,1,0] neg_lo:[0,0,1] neg_hi:[0,0,1]
	v_pk_fma_f32 v[96:97], v[96:97], v[86:87], v[100:101] op_sel:[0,0,1] op_sel_hi:[1,0,0]
	v_mov_b32_e32 v103, v97
	v_pk_mul_f32 v[96:97], v[98:99], v[88:89] op_sel:[0,1]
	s_delay_alu instid0(VALU_DEP_1) | instskip(SKIP_1) | instid1(VALU_DEP_1)
	v_pk_fma_f32 v[100:101], v[98:99], v[86:87], v[96:97] op_sel:[0,0,1] op_sel_hi:[1,1,0] neg_lo:[0,0,1] neg_hi:[0,0,1]
	v_pk_fma_f32 v[96:97], v[98:99], v[86:87], v[96:97] op_sel:[0,0,1] op_sel_hi:[1,0,0]
	v_mov_b32_e32 v101, v97
	ds_load_2addr_b64 v[96:99], v90 offset0:3 offset1:4
	v_pk_add_f32 v[80:81], v[80:81], v[102:103] neg_lo:[0,1] neg_hi:[0,1]
	v_pk_add_f32 v[78:79], v[78:79], v[100:101] neg_lo:[0,1] neg_hi:[0,1]
	s_wait_dscnt 0x0
	v_pk_mul_f32 v[100:101], v[96:97], v[88:89] op_sel:[0,1]
	s_delay_alu instid0(VALU_DEP_1) | instskip(SKIP_2) | instid1(VALU_DEP_2)
	v_pk_fma_f32 v[102:103], v[96:97], v[86:87], v[100:101] op_sel:[0,0,1] op_sel_hi:[1,1,0] neg_lo:[0,0,1] neg_hi:[0,0,1]
	v_pk_fma_f32 v[96:97], v[96:97], v[86:87], v[100:101] op_sel:[0,0,1] op_sel_hi:[1,0,0]
	v_dual_mul_f32 v100, v99, v89 :: v_dual_mov_b32 v96, v99
	v_dual_mov_b32 v103, v97 :: v_dual_mov_b32 v97, v98
	s_delay_alu instid0(VALU_DEP_2) | instskip(SKIP_1) | instid1(VALU_DEP_3)
	v_pk_fma_f32 v[100:101], v[98:99], v[82:83], v[100:101] op_sel_hi:[1,1,0] neg_lo:[0,0,1] neg_hi:[0,0,1]
	v_mul_f32_e32 v98, v99, v86
	v_pk_add_f32 v[76:77], v[76:77], v[102:103] neg_lo:[0,1] neg_hi:[0,1]
	s_delay_alu instid0(VALU_DEP_2) | instskip(NEXT) | instid1(VALU_DEP_1)
	v_pk_fma_f32 v[96:97], v[96:97], v[82:83], v[98:99] op_sel_hi:[1,1,0]
	v_mov_b32_e32 v101, v97
	ds_load_2addr_b64 v[96:99], v90 offset0:5 offset1:6
	v_pk_add_f32 v[44:45], v[44:45], v[100:101] neg_lo:[0,1] neg_hi:[0,1]
	s_wait_dscnt 0x0
	v_pk_mul_f32 v[100:101], v[96:97], v[88:89] op_sel:[0,1]
	s_delay_alu instid0(VALU_DEP_1) | instskip(SKIP_1) | instid1(VALU_DEP_1)
	v_pk_fma_f32 v[102:103], v[96:97], v[86:87], v[100:101] op_sel:[0,0,1] op_sel_hi:[1,1,0] neg_lo:[0,0,1] neg_hi:[0,0,1]
	v_pk_fma_f32 v[96:97], v[96:97], v[86:87], v[100:101] op_sel:[0,0,1] op_sel_hi:[1,0,0]
	v_mov_b32_e32 v103, v97
	v_pk_mul_f32 v[96:97], v[98:99], v[88:89] op_sel:[0,1]
	s_delay_alu instid0(VALU_DEP_1) | instskip(SKIP_1) | instid1(VALU_DEP_1)
	v_pk_fma_f32 v[100:101], v[98:99], v[86:87], v[96:97] op_sel:[0,0,1] op_sel_hi:[1,1,0] neg_lo:[0,0,1] neg_hi:[0,0,1]
	v_pk_fma_f32 v[96:97], v[98:99], v[86:87], v[96:97] op_sel:[0,0,1] op_sel_hi:[1,0,0]
	v_mov_b32_e32 v101, v97
	ds_load_2addr_b64 v[96:99], v90 offset0:7 offset1:8
	v_pk_add_f32 v[40:41], v[40:41], v[102:103] neg_lo:[0,1] neg_hi:[0,1]
	v_pk_add_f32 v[42:43], v[42:43], v[100:101] neg_lo:[0,1] neg_hi:[0,1]
	s_wait_dscnt 0x0
	v_pk_mul_f32 v[100:101], v[96:97], v[88:89] op_sel:[0,1]
	s_delay_alu instid0(VALU_DEP_1) | instskip(SKIP_1) | instid1(VALU_DEP_1)
	v_pk_fma_f32 v[102:103], v[96:97], v[86:87], v[100:101] op_sel:[0,0,1] op_sel_hi:[1,1,0] neg_lo:[0,0,1] neg_hi:[0,0,1]
	v_pk_fma_f32 v[96:97], v[96:97], v[86:87], v[100:101] op_sel:[0,0,1] op_sel_hi:[1,0,0]
	v_mov_b32_e32 v103, v97
	v_pk_mul_f32 v[96:97], v[98:99], v[88:89] op_sel:[0,1]
	s_delay_alu instid0(VALU_DEP_1) | instskip(SKIP_1) | instid1(VALU_DEP_1)
	v_pk_fma_f32 v[100:101], v[98:99], v[86:87], v[96:97] op_sel:[0,0,1] op_sel_hi:[1,1,0] neg_lo:[0,0,1] neg_hi:[0,0,1]
	v_pk_fma_f32 v[96:97], v[98:99], v[86:87], v[96:97] op_sel:[0,0,1] op_sel_hi:[1,0,0]
	v_mov_b32_e32 v101, v97
	ds_load_2addr_b64 v[96:99], v90 offset0:9 offset1:10
	v_pk_add_f32 v[10:11], v[10:11], v[102:103] neg_lo:[0,1] neg_hi:[0,1]
	v_pk_add_f32 v[50:51], v[50:51], v[100:101] neg_lo:[0,1] neg_hi:[0,1]
	s_wait_dscnt 0x0
	v_dual_mul_f32 v100, v97, v89 :: v_dual_mul_f32 v102, v97, v86
	s_delay_alu instid0(VALU_DEP_1) | instskip(NEXT) | instid1(VALU_DEP_2)
	v_pk_fma_f32 v[100:101], v[96:97], v[82:83], v[100:101] op_sel_hi:[1,1,0] neg_lo:[0,0,1] neg_hi:[0,0,1]
	v_pk_fma_f32 v[96:97], v[96:97], v[82:83], v[102:103] op_sel:[1,0,0] op_sel_hi:[0,1,0]
	s_delay_alu instid0(VALU_DEP_1) | instskip(SKIP_1) | instid1(VALU_DEP_2)
	v_mov_b32_e32 v101, v97
	v_pk_mul_f32 v[96:97], v[98:99], v[88:89] op_sel:[0,1]
	v_pk_add_f32 v[46:47], v[46:47], v[100:101] neg_lo:[0,1] neg_hi:[0,1]
	s_delay_alu instid0(VALU_DEP_2) | instskip(SKIP_1) | instid1(VALU_DEP_1)
	v_pk_fma_f32 v[100:101], v[98:99], v[86:87], v[96:97] op_sel:[0,0,1] op_sel_hi:[1,1,0] neg_lo:[0,0,1] neg_hi:[0,0,1]
	v_pk_fma_f32 v[96:97], v[98:99], v[86:87], v[96:97] op_sel:[0,0,1] op_sel_hi:[1,0,0]
	v_mov_b32_e32 v101, v97
	ds_load_2addr_b64 v[96:99], v90 offset0:11 offset1:12
	v_pk_add_f32 v[48:49], v[48:49], v[100:101] neg_lo:[0,1] neg_hi:[0,1]
	s_wait_dscnt 0x0
	v_pk_mul_f32 v[100:101], v[96:97], v[88:89] op_sel:[0,1]
	s_delay_alu instid0(VALU_DEP_1) | instskip(SKIP_1) | instid1(VALU_DEP_1)
	v_pk_fma_f32 v[102:103], v[96:97], v[86:87], v[100:101] op_sel:[0,0,1] op_sel_hi:[1,1,0] neg_lo:[0,0,1] neg_hi:[0,0,1]
	v_pk_fma_f32 v[96:97], v[96:97], v[86:87], v[100:101] op_sel:[0,0,1] op_sel_hi:[1,0,0]
	v_mov_b32_e32 v103, v97
	v_pk_mul_f32 v[96:97], v[98:99], v[88:89] op_sel:[0,1]
	s_delay_alu instid0(VALU_DEP_2) | instskip(NEXT) | instid1(VALU_DEP_2)
	v_pk_add_f32 v[12:13], v[12:13], v[102:103] neg_lo:[0,1] neg_hi:[0,1]
	v_pk_fma_f32 v[100:101], v[98:99], v[86:87], v[96:97] op_sel:[0,0,1] op_sel_hi:[1,1,0] neg_lo:[0,0,1] neg_hi:[0,0,1]
	v_pk_fma_f32 v[96:97], v[98:99], v[86:87], v[96:97] op_sel:[0,0,1] op_sel_hi:[1,0,0]
	s_delay_alu instid0(VALU_DEP_1) | instskip(SKIP_4) | instid1(VALU_DEP_1)
	v_mov_b32_e32 v101, v97
	ds_load_2addr_b64 v[96:99], v90 offset0:13 offset1:14
	v_pk_add_f32 v[74:75], v[74:75], v[100:101] neg_lo:[0,1] neg_hi:[0,1]
	s_wait_dscnt 0x0
	v_pk_mul_f32 v[100:101], v[96:97], v[88:89] op_sel:[0,1]
	v_pk_fma_f32 v[102:103], v[96:97], v[86:87], v[100:101] op_sel:[0,0,1] op_sel_hi:[1,1,0] neg_lo:[0,0,1] neg_hi:[0,0,1]
	v_pk_fma_f32 v[96:97], v[96:97], v[86:87], v[100:101] op_sel:[0,0,1] op_sel_hi:[1,0,0]
	v_dual_mul_f32 v100, v99, v89 :: v_dual_mov_b32 v96, v99
	s_delay_alu instid0(VALU_DEP_2) | instskip(NEXT) | instid1(VALU_DEP_2)
	v_dual_mov_b32 v103, v97 :: v_dual_mov_b32 v97, v98
	v_pk_fma_f32 v[100:101], v[98:99], v[82:83], v[100:101] op_sel_hi:[1,1,0] neg_lo:[0,0,1] neg_hi:[0,0,1]
	v_mul_f32_e32 v98, v99, v86
	s_delay_alu instid0(VALU_DEP_3) | instskip(NEXT) | instid1(VALU_DEP_2)
	v_pk_add_f32 v[70:71], v[70:71], v[102:103] neg_lo:[0,1] neg_hi:[0,1]
	v_pk_fma_f32 v[96:97], v[96:97], v[82:83], v[98:99] op_sel_hi:[1,1,0]
	s_delay_alu instid0(VALU_DEP_1) | instskip(SKIP_4) | instid1(VALU_DEP_1)
	v_mov_b32_e32 v101, v97
	ds_load_2addr_b64 v[96:99], v90 offset0:15 offset1:16
	v_pk_add_f32 v[72:73], v[72:73], v[100:101] neg_lo:[0,1] neg_hi:[0,1]
	s_wait_dscnt 0x0
	v_pk_mul_f32 v[100:101], v[96:97], v[88:89] op_sel:[0,1]
	v_pk_fma_f32 v[102:103], v[96:97], v[86:87], v[100:101] op_sel:[0,0,1] op_sel_hi:[1,1,0] neg_lo:[0,0,1] neg_hi:[0,0,1]
	v_pk_fma_f32 v[96:97], v[96:97], v[86:87], v[100:101] op_sel:[0,0,1] op_sel_hi:[1,0,0]
	s_delay_alu instid0(VALU_DEP_1) | instskip(SKIP_1) | instid1(VALU_DEP_1)
	v_mov_b32_e32 v103, v97
	v_pk_mul_f32 v[96:97], v[98:99], v[88:89] op_sel:[0,1]
	v_pk_fma_f32 v[100:101], v[98:99], v[86:87], v[96:97] op_sel:[0,0,1] op_sel_hi:[1,1,0] neg_lo:[0,0,1] neg_hi:[0,0,1]
	v_pk_fma_f32 v[96:97], v[98:99], v[86:87], v[96:97] op_sel:[0,0,1] op_sel_hi:[1,0,0]
	s_delay_alu instid0(VALU_DEP_1)
	v_mov_b32_e32 v101, v97
	ds_load_2addr_b64 v[96:99], v90 offset0:17 offset1:18
	v_pk_add_f32 v[24:25], v[24:25], v[102:103] neg_lo:[0,1] neg_hi:[0,1]
	v_pk_add_f32 v[68:69], v[68:69], v[100:101] neg_lo:[0,1] neg_hi:[0,1]
	s_wait_dscnt 0x0
	v_pk_mul_f32 v[100:101], v[96:97], v[88:89] op_sel:[0,1]
	s_delay_alu instid0(VALU_DEP_1) | instskip(SKIP_1) | instid1(VALU_DEP_1)
	v_pk_fma_f32 v[102:103], v[96:97], v[86:87], v[100:101] op_sel:[0,0,1] op_sel_hi:[1,1,0] neg_lo:[0,0,1] neg_hi:[0,0,1]
	v_pk_fma_f32 v[96:97], v[96:97], v[86:87], v[100:101] op_sel:[0,0,1] op_sel_hi:[1,0,0]
	v_mov_b32_e32 v103, v97
	v_pk_mul_f32 v[96:97], v[98:99], v[88:89] op_sel:[0,1]
	s_delay_alu instid0(VALU_DEP_1) | instskip(SKIP_1) | instid1(VALU_DEP_1)
	v_pk_fma_f32 v[100:101], v[98:99], v[86:87], v[96:97] op_sel:[0,0,1] op_sel_hi:[1,1,0] neg_lo:[0,0,1] neg_hi:[0,0,1]
	v_pk_fma_f32 v[96:97], v[98:99], v[86:87], v[96:97] op_sel:[0,0,1] op_sel_hi:[1,0,0]
	v_mov_b32_e32 v101, v97
	ds_load_2addr_b64 v[96:99], v90 offset0:19 offset1:20
	v_pk_add_f32 v[64:65], v[64:65], v[102:103] neg_lo:[0,1] neg_hi:[0,1]
	v_pk_add_f32 v[66:67], v[66:67], v[100:101] neg_lo:[0,1] neg_hi:[0,1]
	s_wait_dscnt 0x0
	v_dual_mul_f32 v100, v97, v89 :: v_dual_mul_f32 v102, v97, v86
	s_delay_alu instid0(VALU_DEP_1) | instskip(NEXT) | instid1(VALU_DEP_2)
	v_pk_fma_f32 v[100:101], v[96:97], v[82:83], v[100:101] op_sel_hi:[1,1,0] neg_lo:[0,0,1] neg_hi:[0,0,1]
	v_pk_fma_f32 v[96:97], v[96:97], v[82:83], v[102:103] op_sel:[1,0,0] op_sel_hi:[0,1,0]
	s_delay_alu instid0(VALU_DEP_1) | instskip(SKIP_1) | instid1(VALU_DEP_2)
	v_mov_b32_e32 v101, v97
	v_pk_mul_f32 v[96:97], v[98:99], v[88:89] op_sel:[0,1]
	v_pk_add_f32 v[22:23], v[22:23], v[100:101] neg_lo:[0,1] neg_hi:[0,1]
	s_delay_alu instid0(VALU_DEP_2) | instskip(SKIP_1) | instid1(VALU_DEP_1)
	v_pk_fma_f32 v[100:101], v[98:99], v[86:87], v[96:97] op_sel:[0,0,1] op_sel_hi:[1,1,0] neg_lo:[0,0,1] neg_hi:[0,0,1]
	v_pk_fma_f32 v[96:97], v[98:99], v[86:87], v[96:97] op_sel:[0,0,1] op_sel_hi:[1,0,0]
	v_mov_b32_e32 v101, v97
	ds_load_2addr_b64 v[96:99], v90 offset0:21 offset1:22
	v_pk_add_f32 v[62:63], v[62:63], v[100:101] neg_lo:[0,1] neg_hi:[0,1]
	s_wait_dscnt 0x0
	v_pk_mul_f32 v[100:101], v[96:97], v[88:89] op_sel:[0,1]
	s_delay_alu instid0(VALU_DEP_1) | instskip(SKIP_1) | instid1(VALU_DEP_1)
	v_pk_fma_f32 v[102:103], v[96:97], v[86:87], v[100:101] op_sel:[0,0,1] op_sel_hi:[1,1,0] neg_lo:[0,0,1] neg_hi:[0,0,1]
	v_pk_fma_f32 v[96:97], v[96:97], v[86:87], v[100:101] op_sel:[0,0,1] op_sel_hi:[1,0,0]
	v_mov_b32_e32 v103, v97
	v_pk_mul_f32 v[96:97], v[98:99], v[88:89] op_sel:[0,1]
	s_delay_alu instid0(VALU_DEP_2) | instskip(NEXT) | instid1(VALU_DEP_2)
	v_pk_add_f32 v[58:59], v[58:59], v[102:103] neg_lo:[0,1] neg_hi:[0,1]
	v_pk_fma_f32 v[100:101], v[98:99], v[86:87], v[96:97] op_sel:[0,0,1] op_sel_hi:[1,1,0] neg_lo:[0,0,1] neg_hi:[0,0,1]
	v_pk_fma_f32 v[96:97], v[98:99], v[86:87], v[96:97] op_sel:[0,0,1] op_sel_hi:[1,0,0]
	s_delay_alu instid0(VALU_DEP_1) | instskip(SKIP_4) | instid1(VALU_DEP_1)
	v_mov_b32_e32 v101, v97
	ds_load_2addr_b64 v[96:99], v90 offset0:23 offset1:24
	v_pk_add_f32 v[60:61], v[60:61], v[100:101] neg_lo:[0,1] neg_hi:[0,1]
	s_wait_dscnt 0x0
	v_pk_mul_f32 v[100:101], v[96:97], v[88:89] op_sel:[0,1]
	v_pk_fma_f32 v[102:103], v[96:97], v[86:87], v[100:101] op_sel:[0,0,1] op_sel_hi:[1,1,0] neg_lo:[0,0,1] neg_hi:[0,0,1]
	v_pk_fma_f32 v[96:97], v[96:97], v[86:87], v[100:101] op_sel:[0,0,1] op_sel_hi:[1,0,0]
	v_dual_mul_f32 v100, v99, v89 :: v_dual_mov_b32 v96, v99
	s_delay_alu instid0(VALU_DEP_2) | instskip(NEXT) | instid1(VALU_DEP_2)
	v_dual_mov_b32 v103, v97 :: v_dual_mov_b32 v97, v98
	v_pk_fma_f32 v[100:101], v[98:99], v[82:83], v[100:101] op_sel_hi:[1,1,0] neg_lo:[0,0,1] neg_hi:[0,0,1]
	v_mul_f32_e32 v98, v99, v86
	s_delay_alu instid0(VALU_DEP_3) | instskip(NEXT) | instid1(VALU_DEP_2)
	v_pk_add_f32 v[16:17], v[16:17], v[102:103] neg_lo:[0,1] neg_hi:[0,1]
	v_pk_fma_f32 v[96:97], v[96:97], v[82:83], v[98:99] op_sel_hi:[1,1,0]
	s_delay_alu instid0(VALU_DEP_1) | instskip(SKIP_4) | instid1(VALU_DEP_1)
	v_mov_b32_e32 v101, v97
	ds_load_2addr_b64 v[96:99], v90 offset0:25 offset1:26
	v_pk_add_f32 v[56:57], v[56:57], v[100:101] neg_lo:[0,1] neg_hi:[0,1]
	s_wait_dscnt 0x0
	v_pk_mul_f32 v[100:101], v[96:97], v[88:89] op_sel:[0,1]
	v_pk_fma_f32 v[102:103], v[96:97], v[86:87], v[100:101] op_sel:[0,0,1] op_sel_hi:[1,1,0] neg_lo:[0,0,1] neg_hi:[0,0,1]
	v_pk_fma_f32 v[96:97], v[96:97], v[86:87], v[100:101] op_sel:[0,0,1] op_sel_hi:[1,0,0]
	s_delay_alu instid0(VALU_DEP_1) | instskip(SKIP_1) | instid1(VALU_DEP_1)
	v_mov_b32_e32 v103, v97
	v_pk_mul_f32 v[96:97], v[98:99], v[88:89] op_sel:[0,1]
	v_pk_fma_f32 v[100:101], v[98:99], v[86:87], v[96:97] op_sel:[0,0,1] op_sel_hi:[1,1,0] neg_lo:[0,0,1] neg_hi:[0,0,1]
	v_pk_fma_f32 v[96:97], v[98:99], v[86:87], v[96:97] op_sel:[0,0,1] op_sel_hi:[1,0,0]
	s_delay_alu instid0(VALU_DEP_1)
	v_mov_b32_e32 v101, v97
	ds_load_2addr_b64 v[96:99], v90 offset0:27 offset1:28
	v_pk_add_f32 v[52:53], v[52:53], v[102:103] neg_lo:[0,1] neg_hi:[0,1]
	v_pk_add_f32 v[54:55], v[54:55], v[100:101] neg_lo:[0,1] neg_hi:[0,1]
	s_wait_dscnt 0x0
	v_pk_mul_f32 v[100:101], v[96:97], v[88:89] op_sel:[0,1]
	s_delay_alu instid0(VALU_DEP_1) | instskip(SKIP_1) | instid1(VALU_DEP_1)
	v_pk_fma_f32 v[102:103], v[96:97], v[86:87], v[100:101] op_sel:[0,0,1] op_sel_hi:[1,1,0] neg_lo:[0,0,1] neg_hi:[0,0,1]
	v_pk_fma_f32 v[96:97], v[96:97], v[86:87], v[100:101] op_sel:[0,0,1] op_sel_hi:[1,0,0]
	v_mov_b32_e32 v103, v97
	v_pk_mul_f32 v[96:97], v[98:99], v[88:89] op_sel:[0,1]
	s_delay_alu instid0(VALU_DEP_1) | instskip(SKIP_1) | instid1(VALU_DEP_1)
	v_pk_fma_f32 v[100:101], v[98:99], v[86:87], v[96:97] op_sel:[0,0,1] op_sel_hi:[1,1,0] neg_lo:[0,0,1] neg_hi:[0,0,1]
	v_pk_fma_f32 v[96:97], v[98:99], v[86:87], v[96:97] op_sel:[0,0,1] op_sel_hi:[1,0,0]
	v_mov_b32_e32 v101, v97
	ds_load_2addr_b64 v[96:99], v90 offset0:29 offset1:30
	v_pk_add_f32 v[14:15], v[14:15], v[102:103] neg_lo:[0,1] neg_hi:[0,1]
	v_pk_add_f32 v[38:39], v[38:39], v[100:101] neg_lo:[0,1] neg_hi:[0,1]
	s_wait_dscnt 0x0
	v_dual_mul_f32 v100, v97, v89 :: v_dual_mul_f32 v102, v97, v86
	s_delay_alu instid0(VALU_DEP_1) | instskip(NEXT) | instid1(VALU_DEP_2)
	v_pk_fma_f32 v[100:101], v[96:97], v[82:83], v[100:101] op_sel_hi:[1,1,0] neg_lo:[0,0,1] neg_hi:[0,0,1]
	v_pk_fma_f32 v[96:97], v[96:97], v[82:83], v[102:103] op_sel:[1,0,0] op_sel_hi:[0,1,0]
	s_delay_alu instid0(VALU_DEP_1) | instskip(SKIP_1) | instid1(VALU_DEP_2)
	v_mov_b32_e32 v101, v97
	v_pk_mul_f32 v[96:97], v[98:99], v[88:89] op_sel:[0,1]
	v_pk_add_f32 v[34:35], v[34:35], v[100:101] neg_lo:[0,1] neg_hi:[0,1]
	s_delay_alu instid0(VALU_DEP_2) | instskip(SKIP_1) | instid1(VALU_DEP_1)
	v_pk_fma_f32 v[100:101], v[98:99], v[86:87], v[96:97] op_sel:[0,0,1] op_sel_hi:[1,1,0] neg_lo:[0,0,1] neg_hi:[0,0,1]
	v_pk_fma_f32 v[96:97], v[98:99], v[86:87], v[96:97] op_sel:[0,0,1] op_sel_hi:[1,0,0]
	v_mov_b32_e32 v101, v97
	ds_load_2addr_b64 v[96:99], v90 offset0:31 offset1:32
	v_pk_add_f32 v[36:37], v[36:37], v[100:101] neg_lo:[0,1] neg_hi:[0,1]
	s_wait_dscnt 0x0
	v_pk_mul_f32 v[100:101], v[96:97], v[88:89] op_sel:[0,1]
	s_delay_alu instid0(VALU_DEP_1) | instskip(SKIP_1) | instid1(VALU_DEP_1)
	v_pk_fma_f32 v[102:103], v[96:97], v[86:87], v[100:101] op_sel:[0,0,1] op_sel_hi:[1,1,0] neg_lo:[0,0,1] neg_hi:[0,0,1]
	v_pk_fma_f32 v[96:97], v[96:97], v[86:87], v[100:101] op_sel:[0,0,1] op_sel_hi:[1,0,0]
	v_mov_b32_e32 v103, v97
	v_pk_mul_f32 v[96:97], v[98:99], v[88:89] op_sel:[0,1]
	s_delay_alu instid0(VALU_DEP_2) | instskip(NEXT) | instid1(VALU_DEP_2)
	v_pk_add_f32 v[6:7], v[6:7], v[102:103] neg_lo:[0,1] neg_hi:[0,1]
	v_pk_fma_f32 v[100:101], v[98:99], v[86:87], v[96:97] op_sel:[0,0,1] op_sel_hi:[1,1,0] neg_lo:[0,0,1] neg_hi:[0,0,1]
	v_pk_fma_f32 v[96:97], v[98:99], v[86:87], v[96:97] op_sel:[0,0,1] op_sel_hi:[1,0,0]
	s_delay_alu instid0(VALU_DEP_1) | instskip(SKIP_4) | instid1(VALU_DEP_1)
	v_mov_b32_e32 v101, v97
	ds_load_2addr_b64 v[96:99], v90 offset0:33 offset1:34
	v_pk_add_f32 v[32:33], v[32:33], v[100:101] neg_lo:[0,1] neg_hi:[0,1]
	s_wait_dscnt 0x0
	v_pk_mul_f32 v[100:101], v[96:97], v[88:89] op_sel:[0,1]
	v_pk_fma_f32 v[102:103], v[96:97], v[86:87], v[100:101] op_sel:[0,0,1] op_sel_hi:[1,1,0] neg_lo:[0,0,1] neg_hi:[0,0,1]
	v_pk_fma_f32 v[96:97], v[96:97], v[86:87], v[100:101] op_sel:[0,0,1] op_sel_hi:[1,0,0]
	v_dual_mul_f32 v100, v99, v89 :: v_dual_mov_b32 v96, v99
	s_delay_alu instid0(VALU_DEP_2) | instskip(NEXT) | instid1(VALU_DEP_2)
	v_dual_mov_b32 v103, v97 :: v_dual_mov_b32 v97, v98
	v_pk_fma_f32 v[100:101], v[98:99], v[82:83], v[100:101] op_sel_hi:[1,1,0] neg_lo:[0,0,1] neg_hi:[0,0,1]
	v_mul_f32_e32 v98, v99, v86
	s_delay_alu instid0(VALU_DEP_3) | instskip(NEXT) | instid1(VALU_DEP_2)
	v_pk_add_f32 v[28:29], v[28:29], v[102:103] neg_lo:[0,1] neg_hi:[0,1]
	v_pk_fma_f32 v[96:97], v[96:97], v[82:83], v[98:99] op_sel_hi:[1,1,0]
	s_delay_alu instid0(VALU_DEP_1) | instskip(SKIP_4) | instid1(VALU_DEP_1)
	v_mov_b32_e32 v101, v97
	ds_load_2addr_b64 v[96:99], v90 offset0:35 offset1:36
	v_pk_add_f32 v[30:31], v[30:31], v[100:101] neg_lo:[0,1] neg_hi:[0,1]
	s_wait_dscnt 0x0
	v_pk_mul_f32 v[100:101], v[96:97], v[88:89] op_sel:[0,1]
	v_pk_fma_f32 v[102:103], v[96:97], v[86:87], v[100:101] op_sel:[0,0,1] op_sel_hi:[1,1,0] neg_lo:[0,0,1] neg_hi:[0,0,1]
	v_pk_fma_f32 v[96:97], v[96:97], v[86:87], v[100:101] op_sel:[0,0,1] op_sel_hi:[1,0,0]
	s_delay_alu instid0(VALU_DEP_1) | instskip(SKIP_1) | instid1(VALU_DEP_1)
	v_mov_b32_e32 v103, v97
	v_pk_mul_f32 v[96:97], v[98:99], v[88:89] op_sel:[0,1]
	v_pk_fma_f32 v[100:101], v[98:99], v[86:87], v[96:97] op_sel:[0,0,1] op_sel_hi:[1,1,0] neg_lo:[0,0,1] neg_hi:[0,0,1]
	v_pk_fma_f32 v[96:97], v[98:99], v[86:87], v[96:97] op_sel:[0,0,1] op_sel_hi:[1,0,0]
	s_delay_alu instid0(VALU_DEP_1)
	v_mov_b32_e32 v101, v97
	ds_load_2addr_b64 v[96:99], v90 offset0:37 offset1:38
	v_pk_add_f32 v[8:9], v[8:9], v[102:103] neg_lo:[0,1] neg_hi:[0,1]
	v_pk_add_f32 v[26:27], v[26:27], v[100:101] neg_lo:[0,1] neg_hi:[0,1]
	s_wait_dscnt 0x0
	v_pk_mul_f32 v[100:101], v[96:97], v[88:89] op_sel:[0,1]
	s_delay_alu instid0(VALU_DEP_1) | instskip(SKIP_1) | instid1(VALU_DEP_1)
	v_pk_fma_f32 v[102:103], v[96:97], v[86:87], v[100:101] op_sel:[0,0,1] op_sel_hi:[1,1,0] neg_lo:[0,0,1] neg_hi:[0,0,1]
	v_pk_fma_f32 v[96:97], v[96:97], v[86:87], v[100:101] op_sel:[0,0,1] op_sel_hi:[1,0,0]
	v_mov_b32_e32 v103, v97
	v_pk_mul_f32 v[96:97], v[98:99], v[88:89] op_sel:[0,1]
	s_delay_alu instid0(VALU_DEP_1) | instskip(SKIP_1) | instid1(VALU_DEP_1)
	v_pk_fma_f32 v[100:101], v[98:99], v[86:87], v[96:97] op_sel:[0,0,1] op_sel_hi:[1,1,0] neg_lo:[0,0,1] neg_hi:[0,0,1]
	v_pk_fma_f32 v[96:97], v[98:99], v[86:87], v[96:97] op_sel:[0,0,1] op_sel_hi:[1,0,0]
	v_mov_b32_e32 v101, v97
	ds_load_b64 v[96:97], v90 offset:312
	v_pk_add_f32 v[20:21], v[20:21], v[102:103] neg_lo:[0,1] neg_hi:[0,1]
	v_pk_add_f32 v[18:19], v[18:19], v[100:101] neg_lo:[0,1] neg_hi:[0,1]
	s_wait_dscnt 0x0
	v_pk_mul_f32 v[88:89], v[96:97], v[88:89] op_sel:[0,1]
	s_delay_alu instid0(VALU_DEP_1) | instskip(SKIP_1) | instid1(VALU_DEP_1)
	v_pk_fma_f32 v[98:99], v[96:97], v[86:87], v[88:89] op_sel:[0,0,1] op_sel_hi:[1,1,0] neg_lo:[0,0,1] neg_hi:[0,0,1]
	v_pk_fma_f32 v[86:87], v[96:97], v[86:87], v[88:89] op_sel:[0,0,1] op_sel_hi:[1,0,0]
	v_mov_b32_e32 v99, v87
	s_delay_alu instid0(VALU_DEP_1)
	v_pk_add_f32 v[84:85], v[84:85], v[98:99] neg_lo:[0,1] neg_hi:[0,1]
.LBB78_22:
	s_or_b32 exec_lo, exec_lo, s0
	v_lshl_add_u32 v86, v94, 3, v90
	s_barrier_signal -1
	s_barrier_wait -1
	ds_store_b64 v86, v[80:81]
	s_wait_dscnt 0x0
	s_barrier_signal -1
	s_barrier_wait -1
	ds_load_b64 v[88:89], v90 offset:8
	v_mov_b32_e32 v86, 1
	s_cmp_lt_i32 s18, 3
	s_cbranch_scc1 .LBB78_25
; %bb.23:
	v_add3_u32 v87, v91, 0, 16
	v_mov_b32_e32 v86, 1
	s_mov_b32 s0, 2
.LBB78_24:                              ; =>This Inner Loop Header: Depth=1
	ds_load_b64 v[96:97], v87
	s_wait_dscnt 0x1
	v_cmp_gt_f32_e32 vcc_lo, 0, v88
	v_cndmask_b32_e64 v98, v88, -v88, vcc_lo
	v_cmp_gt_f32_e32 vcc_lo, 0, v89
	v_cndmask_b32_e64 v100, v89, -v89, vcc_lo
	s_wait_dscnt 0x0
	v_cmp_gt_f32_e32 vcc_lo, 0, v96
	v_cndmask_b32_e64 v99, v96, -v96, vcc_lo
	v_cmp_gt_f32_e32 vcc_lo, 0, v97
	v_cndmask_b32_e64 v101, v97, -v97, vcc_lo
	s_delay_alu instid0(VALU_DEP_1) | instskip(NEXT) | instid1(VALU_DEP_1)
	v_pk_add_f32 v[98:99], v[98:99], v[100:101]
	v_cmp_lt_f32_e32 vcc_lo, v98, v99
	v_dual_add_nc_u32 v87, 8, v87 :: v_dual_cndmask_b32 v89, v89, v97, vcc_lo
	v_cndmask_b32_e32 v88, v88, v96, vcc_lo
	v_cndmask_b32_e64 v86, v86, s0, vcc_lo
	s_add_co_i32 s0, s0, 1
	s_delay_alu instid0(SALU_CYCLE_1)
	s_cmp_lg_u32 s18, s0
	s_cbranch_scc1 .LBB78_24
.LBB78_25:
	s_wait_dscnt 0x0
	v_cmp_neq_f32_e32 vcc_lo, 0, v88
	v_cmp_neq_f32_e64 s0, 0, v89
	s_or_b32 s1, vcc_lo, s0
	s_delay_alu instid0(SALU_CYCLE_1)
	s_and_saveexec_b32 s0, s1
	s_cbranch_execz .LBB78_31
; %bb.26:
	v_cmp_ngt_f32_e64 s1, |v88|, |v89|
	s_and_saveexec_b32 s12, s1
	s_delay_alu instid0(SALU_CYCLE_1)
	s_xor_b32 s1, exec_lo, s12
	s_cbranch_execz .LBB78_28
; %bb.27:
	v_div_scale_f32 v87, null, v89, v89, v88
	v_div_scale_f32 v97, vcc_lo, v88, v89, v88
	s_delay_alu instid0(VALU_DEP_2) | instskip(SKIP_1) | instid1(TRANS32_DEP_1)
	v_rcp_f32_e32 v92, v87
	v_nop
	v_fma_f32 v96, -v87, v92, 1.0
	s_delay_alu instid0(VALU_DEP_1) | instskip(NEXT) | instid1(VALU_DEP_1)
	v_fmac_f32_e32 v92, v96, v92
	v_mul_f32_e32 v96, v97, v92
	s_delay_alu instid0(VALU_DEP_1) | instskip(NEXT) | instid1(VALU_DEP_1)
	v_fma_f32 v98, -v87, v96, v97
	v_fmac_f32_e32 v96, v98, v92
	s_delay_alu instid0(VALU_DEP_1) | instskip(NEXT) | instid1(VALU_DEP_1)
	v_fma_f32 v87, -v87, v96, v97
	v_div_fmas_f32 v87, v87, v92, v96
	s_delay_alu instid0(VALU_DEP_1) | instskip(NEXT) | instid1(VALU_DEP_1)
	v_div_fixup_f32 v87, v87, v89, v88
	v_fmac_f32_e32 v89, v88, v87
	s_delay_alu instid0(VALU_DEP_1) | instskip(SKIP_1) | instid1(VALU_DEP_2)
	v_div_scale_f32 v88, null, v89, v89, 1.0
	v_div_scale_f32 v97, vcc_lo, 1.0, v89, 1.0
	v_rcp_f32_e32 v92, v88
	v_nop
	s_delay_alu instid0(TRANS32_DEP_1) | instskip(NEXT) | instid1(VALU_DEP_1)
	v_fma_f32 v96, -v88, v92, 1.0
	v_fmac_f32_e32 v92, v96, v92
	s_delay_alu instid0(VALU_DEP_1) | instskip(NEXT) | instid1(VALU_DEP_1)
	v_mul_f32_e32 v96, v97, v92
	v_fma_f32 v98, -v88, v96, v97
	s_delay_alu instid0(VALU_DEP_1) | instskip(NEXT) | instid1(VALU_DEP_1)
	v_fmac_f32_e32 v96, v98, v92
	v_fma_f32 v88, -v88, v96, v97
	s_delay_alu instid0(VALU_DEP_1) | instskip(NEXT) | instid1(VALU_DEP_1)
	v_div_fmas_f32 v88, v88, v92, v96
	v_div_fixup_f32 v89, v88, v89, 1.0
	s_delay_alu instid0(VALU_DEP_1)
	v_mul_f32_e32 v88, v87, v89
	v_xor_b32_e32 v89, 0x80000000, v89
.LBB78_28:
	s_and_not1_saveexec_b32 s1, s1
	s_cbranch_execz .LBB78_30
; %bb.29:
	s_delay_alu instid0(VALU_DEP_1) | instskip(SKIP_1) | instid1(VALU_DEP_2)
	v_div_scale_f32 v87, null, v88, v88, v89
	v_div_scale_f32 v97, vcc_lo, v89, v88, v89
	v_rcp_f32_e32 v92, v87
	v_nop
	s_delay_alu instid0(TRANS32_DEP_1) | instskip(NEXT) | instid1(VALU_DEP_1)
	v_fma_f32 v96, -v87, v92, 1.0
	v_fmac_f32_e32 v92, v96, v92
	s_delay_alu instid0(VALU_DEP_1) | instskip(NEXT) | instid1(VALU_DEP_1)
	v_mul_f32_e32 v96, v97, v92
	v_fma_f32 v98, -v87, v96, v97
	s_delay_alu instid0(VALU_DEP_1) | instskip(NEXT) | instid1(VALU_DEP_1)
	v_fmac_f32_e32 v96, v98, v92
	v_fma_f32 v87, -v87, v96, v97
	s_delay_alu instid0(VALU_DEP_1) | instskip(NEXT) | instid1(VALU_DEP_1)
	v_div_fmas_f32 v87, v87, v92, v96
	v_div_fixup_f32 v87, v87, v88, v89
	s_delay_alu instid0(VALU_DEP_1) | instskip(NEXT) | instid1(VALU_DEP_1)
	v_fmac_f32_e32 v88, v89, v87
	v_div_scale_f32 v89, null, v88, v88, 1.0
	s_delay_alu instid0(VALU_DEP_1) | instskip(SKIP_1) | instid1(TRANS32_DEP_1)
	v_rcp_f32_e32 v92, v89
	v_nop
	v_fma_f32 v96, -v89, v92, 1.0
	s_delay_alu instid0(VALU_DEP_1) | instskip(SKIP_1) | instid1(VALU_DEP_1)
	v_fmac_f32_e32 v92, v96, v92
	v_div_scale_f32 v96, vcc_lo, 1.0, v88, 1.0
	v_mul_f32_e32 v97, v96, v92
	s_delay_alu instid0(VALU_DEP_1) | instskip(NEXT) | instid1(VALU_DEP_1)
	v_fma_f32 v98, -v89, v97, v96
	v_fmac_f32_e32 v97, v98, v92
	s_delay_alu instid0(VALU_DEP_1) | instskip(NEXT) | instid1(VALU_DEP_1)
	v_fma_f32 v89, -v89, v97, v96
	v_div_fmas_f32 v89, v89, v92, v97
	s_delay_alu instid0(VALU_DEP_1) | instskip(NEXT) | instid1(VALU_DEP_1)
	v_div_fixup_f32 v88, v89, v88, 1.0
	v_mul_f32_e64 v89, v87, -v88
.LBB78_30:
	s_or_b32 exec_lo, exec_lo, s1
	v_mov_b32_e32 v92, v95
.LBB78_31:
	s_or_b32 exec_lo, exec_lo, s0
	s_delay_alu instid0(SALU_CYCLE_1)
	s_mov_b32 s0, exec_lo
	v_cmpx_ne_u32_e64 v94, v86
	s_xor_b32 s0, exec_lo, s0
	s_cbranch_execz .LBB78_37
; %bb.32:
	s_mov_b32 s1, exec_lo
	v_cmpx_eq_u32_e32 1, v94
	s_cbranch_execz .LBB78_36
; %bb.33:
	v_cmp_ne_u32_e32 vcc_lo, 1, v86
	s_xor_b32 s12, s16, -1
	s_delay_alu instid0(SALU_CYCLE_1) | instskip(NEXT) | instid1(SALU_CYCLE_1)
	s_and_b32 s13, s12, vcc_lo
	s_and_saveexec_b32 s12, s13
	s_cbranch_execz .LBB78_35
; %bb.34:
	v_ashrrev_i32_e32 v87, 31, v86
	s_delay_alu instid0(VALU_DEP_1)
	v_lshl_add_u64 v[94:95], v[86:87], 2, v[4:5]
	s_clause 0x1
	global_load_b32 v87, v[94:95], off
	global_load_b32 v93, v[4:5], off offset:4
	s_wait_loadcnt 0x1
	global_store_b32 v[4:5], v87, off offset:4
	s_wait_loadcnt 0x0
	global_store_b32 v[94:95], v93, off
.LBB78_35:
	s_wait_xcnt 0x0
	s_or_b32 exec_lo, exec_lo, s12
	v_dual_mov_b32 v94, v86 :: v_dual_mov_b32 v93, v86
.LBB78_36:
	s_or_b32 exec_lo, exec_lo, s1
.LBB78_37:
	s_and_not1_saveexec_b32 s0, s0
	s_cbranch_execz .LBB78_39
; %bb.38:
	v_dual_mov_b32 v86, v78 :: v_dual_mov_b32 v87, v79
	v_dual_mov_b32 v94, v76 :: v_dual_mov_b32 v95, v77
	ds_store_2addr_b64 v90, v[86:87], v[94:95] offset0:2 offset1:3
	v_dual_mov_b32 v86, v44 :: v_dual_mov_b32 v87, v45
	v_dual_mov_b32 v94, v40 :: v_dual_mov_b32 v95, v41
	ds_store_2addr_b64 v90, v[86:87], v[94:95] offset0:4 offset1:5
	;; [unrolled: 3-line block ×18, first 2 shown]
	v_dual_mov_b32 v86, v18 :: v_dual_mov_b32 v87, v19
	v_mov_b32_e32 v94, 1
	ds_store_2addr_b64 v90, v[86:87], v[84:85] offset0:38 offset1:39
.LBB78_39:
	s_or_b32 exec_lo, exec_lo, s0
	s_delay_alu instid0(SALU_CYCLE_1)
	s_mov_b32 s0, exec_lo
	s_wait_storecnt_dscnt 0x0
	s_barrier_signal -1
	s_barrier_wait -1
	v_cmpx_lt_i32_e32 1, v94
	s_cbranch_execz .LBB78_41
; %bb.40:
	v_pk_mul_f32 v[96:97], v[88:89], v[80:81] op_sel:[1,1] op_sel_hi:[0,1]
	s_delay_alu instid0(VALU_DEP_1)
	v_pk_fma_f32 v[86:87], v[88:89], v[80:81], v[96:97] op_sel_hi:[1,0,1] neg_lo:[0,0,1] neg_hi:[0,0,1]
	v_pk_fma_f32 v[88:89], v[88:89], v[80:81], v[96:97] op_sel_hi:[1,0,1]
	ds_load_2addr_b64 v[96:99], v90 offset0:2 offset1:3
	v_dual_mov_b32 v80, v86 :: v_dual_mov_b32 v81, v89
	s_wait_dscnt 0x0
	v_pk_mul_f32 v[100:101], v[96:97], v[88:89] op_sel:[0,1]
	s_delay_alu instid0(VALU_DEP_1) | instskip(SKIP_1) | instid1(VALU_DEP_1)
	v_pk_fma_f32 v[102:103], v[96:97], v[86:87], v[100:101] op_sel:[0,0,1] op_sel_hi:[1,1,0] neg_lo:[0,0,1] neg_hi:[0,0,1]
	v_pk_fma_f32 v[96:97], v[96:97], v[86:87], v[100:101] op_sel:[0,0,1] op_sel_hi:[1,0,0]
	v_mov_b32_e32 v103, v97
	v_pk_mul_f32 v[96:97], v[98:99], v[88:89] op_sel:[0,1]
	s_delay_alu instid0(VALU_DEP_1) | instskip(SKIP_1) | instid1(VALU_DEP_1)
	v_pk_fma_f32 v[100:101], v[98:99], v[86:87], v[96:97] op_sel:[0,0,1] op_sel_hi:[1,1,0] neg_lo:[0,0,1] neg_hi:[0,0,1]
	v_pk_fma_f32 v[96:97], v[98:99], v[86:87], v[96:97] op_sel:[0,0,1] op_sel_hi:[1,0,0]
	v_mov_b32_e32 v101, v97
	ds_load_2addr_b64 v[96:99], v90 offset0:4 offset1:5
	v_pk_add_f32 v[78:79], v[78:79], v[102:103] neg_lo:[0,1] neg_hi:[0,1]
	v_pk_add_f32 v[76:77], v[76:77], v[100:101] neg_lo:[0,1] neg_hi:[0,1]
	s_wait_dscnt 0x0
	v_pk_mul_f32 v[100:101], v[96:97], v[88:89] op_sel:[0,1]
	s_delay_alu instid0(VALU_DEP_1) | instskip(SKIP_2) | instid1(VALU_DEP_2)
	v_pk_fma_f32 v[102:103], v[96:97], v[86:87], v[100:101] op_sel:[0,0,1] op_sel_hi:[1,1,0] neg_lo:[0,0,1] neg_hi:[0,0,1]
	v_pk_fma_f32 v[96:97], v[96:97], v[86:87], v[100:101] op_sel:[0,0,1] op_sel_hi:[1,0,0]
	v_dual_mul_f32 v100, v99, v89 :: v_dual_mov_b32 v96, v99
	v_dual_mov_b32 v103, v97 :: v_dual_mov_b32 v97, v98
	s_delay_alu instid0(VALU_DEP_2) | instskip(SKIP_1) | instid1(VALU_DEP_3)
	v_pk_fma_f32 v[100:101], v[98:99], v[80:81], v[100:101] op_sel_hi:[1,1,0] neg_lo:[0,0,1] neg_hi:[0,0,1]
	v_mul_f32_e32 v98, v99, v86
	v_pk_add_f32 v[44:45], v[44:45], v[102:103] neg_lo:[0,1] neg_hi:[0,1]
	s_delay_alu instid0(VALU_DEP_2) | instskip(NEXT) | instid1(VALU_DEP_1)
	v_pk_fma_f32 v[96:97], v[96:97], v[80:81], v[98:99] op_sel_hi:[1,1,0]
	v_mov_b32_e32 v101, v97
	ds_load_2addr_b64 v[96:99], v90 offset0:6 offset1:7
	v_pk_add_f32 v[40:41], v[40:41], v[100:101] neg_lo:[0,1] neg_hi:[0,1]
	s_wait_dscnt 0x0
	v_pk_mul_f32 v[100:101], v[96:97], v[88:89] op_sel:[0,1]
	s_delay_alu instid0(VALU_DEP_1) | instskip(SKIP_1) | instid1(VALU_DEP_1)
	v_pk_fma_f32 v[102:103], v[96:97], v[86:87], v[100:101] op_sel:[0,0,1] op_sel_hi:[1,1,0] neg_lo:[0,0,1] neg_hi:[0,0,1]
	v_pk_fma_f32 v[96:97], v[96:97], v[86:87], v[100:101] op_sel:[0,0,1] op_sel_hi:[1,0,0]
	v_mov_b32_e32 v103, v97
	v_pk_mul_f32 v[96:97], v[98:99], v[88:89] op_sel:[0,1]
	s_delay_alu instid0(VALU_DEP_1) | instskip(SKIP_1) | instid1(VALU_DEP_1)
	v_pk_fma_f32 v[100:101], v[98:99], v[86:87], v[96:97] op_sel:[0,0,1] op_sel_hi:[1,1,0] neg_lo:[0,0,1] neg_hi:[0,0,1]
	v_pk_fma_f32 v[96:97], v[98:99], v[86:87], v[96:97] op_sel:[0,0,1] op_sel_hi:[1,0,0]
	v_mov_b32_e32 v101, v97
	ds_load_2addr_b64 v[96:99], v90 offset0:8 offset1:9
	v_pk_add_f32 v[42:43], v[42:43], v[102:103] neg_lo:[0,1] neg_hi:[0,1]
	v_pk_add_f32 v[10:11], v[10:11], v[100:101] neg_lo:[0,1] neg_hi:[0,1]
	s_wait_dscnt 0x0
	v_pk_mul_f32 v[100:101], v[96:97], v[88:89] op_sel:[0,1]
	s_delay_alu instid0(VALU_DEP_1) | instskip(SKIP_1) | instid1(VALU_DEP_1)
	v_pk_fma_f32 v[102:103], v[96:97], v[86:87], v[100:101] op_sel:[0,0,1] op_sel_hi:[1,1,0] neg_lo:[0,0,1] neg_hi:[0,0,1]
	v_pk_fma_f32 v[96:97], v[96:97], v[86:87], v[100:101] op_sel:[0,0,1] op_sel_hi:[1,0,0]
	v_mov_b32_e32 v103, v97
	v_pk_mul_f32 v[96:97], v[98:99], v[88:89] op_sel:[0,1]
	s_delay_alu instid0(VALU_DEP_1) | instskip(SKIP_1) | instid1(VALU_DEP_1)
	v_pk_fma_f32 v[100:101], v[98:99], v[86:87], v[96:97] op_sel:[0,0,1] op_sel_hi:[1,1,0] neg_lo:[0,0,1] neg_hi:[0,0,1]
	v_pk_fma_f32 v[96:97], v[98:99], v[86:87], v[96:97] op_sel:[0,0,1] op_sel_hi:[1,0,0]
	v_mov_b32_e32 v101, v97
	ds_load_2addr_b64 v[96:99], v90 offset0:10 offset1:11
	v_pk_add_f32 v[50:51], v[50:51], v[102:103] neg_lo:[0,1] neg_hi:[0,1]
	v_pk_add_f32 v[46:47], v[46:47], v[100:101] neg_lo:[0,1] neg_hi:[0,1]
	s_wait_dscnt 0x0
	v_dual_mul_f32 v100, v97, v89 :: v_dual_mul_f32 v102, v97, v86
	s_delay_alu instid0(VALU_DEP_1) | instskip(NEXT) | instid1(VALU_DEP_2)
	v_pk_fma_f32 v[100:101], v[96:97], v[80:81], v[100:101] op_sel_hi:[1,1,0] neg_lo:[0,0,1] neg_hi:[0,0,1]
	v_pk_fma_f32 v[96:97], v[96:97], v[80:81], v[102:103] op_sel:[1,0,0] op_sel_hi:[0,1,0]
	s_delay_alu instid0(VALU_DEP_1) | instskip(SKIP_1) | instid1(VALU_DEP_2)
	v_mov_b32_e32 v101, v97
	v_pk_mul_f32 v[96:97], v[98:99], v[88:89] op_sel:[0,1]
	v_pk_add_f32 v[48:49], v[48:49], v[100:101] neg_lo:[0,1] neg_hi:[0,1]
	s_delay_alu instid0(VALU_DEP_2) | instskip(SKIP_1) | instid1(VALU_DEP_1)
	v_pk_fma_f32 v[100:101], v[98:99], v[86:87], v[96:97] op_sel:[0,0,1] op_sel_hi:[1,1,0] neg_lo:[0,0,1] neg_hi:[0,0,1]
	v_pk_fma_f32 v[96:97], v[98:99], v[86:87], v[96:97] op_sel:[0,0,1] op_sel_hi:[1,0,0]
	v_mov_b32_e32 v101, v97
	ds_load_2addr_b64 v[96:99], v90 offset0:12 offset1:13
	v_pk_add_f32 v[12:13], v[12:13], v[100:101] neg_lo:[0,1] neg_hi:[0,1]
	s_wait_dscnt 0x0
	v_pk_mul_f32 v[100:101], v[96:97], v[88:89] op_sel:[0,1]
	s_delay_alu instid0(VALU_DEP_1) | instskip(SKIP_1) | instid1(VALU_DEP_1)
	v_pk_fma_f32 v[102:103], v[96:97], v[86:87], v[100:101] op_sel:[0,0,1] op_sel_hi:[1,1,0] neg_lo:[0,0,1] neg_hi:[0,0,1]
	v_pk_fma_f32 v[96:97], v[96:97], v[86:87], v[100:101] op_sel:[0,0,1] op_sel_hi:[1,0,0]
	v_mov_b32_e32 v103, v97
	v_pk_mul_f32 v[96:97], v[98:99], v[88:89] op_sel:[0,1]
	s_delay_alu instid0(VALU_DEP_2) | instskip(NEXT) | instid1(VALU_DEP_2)
	v_pk_add_f32 v[74:75], v[74:75], v[102:103] neg_lo:[0,1] neg_hi:[0,1]
	v_pk_fma_f32 v[100:101], v[98:99], v[86:87], v[96:97] op_sel:[0,0,1] op_sel_hi:[1,1,0] neg_lo:[0,0,1] neg_hi:[0,0,1]
	v_pk_fma_f32 v[96:97], v[98:99], v[86:87], v[96:97] op_sel:[0,0,1] op_sel_hi:[1,0,0]
	s_delay_alu instid0(VALU_DEP_1) | instskip(SKIP_4) | instid1(VALU_DEP_1)
	v_mov_b32_e32 v101, v97
	ds_load_2addr_b64 v[96:99], v90 offset0:14 offset1:15
	v_pk_add_f32 v[70:71], v[70:71], v[100:101] neg_lo:[0,1] neg_hi:[0,1]
	s_wait_dscnt 0x0
	v_pk_mul_f32 v[100:101], v[96:97], v[88:89] op_sel:[0,1]
	v_pk_fma_f32 v[102:103], v[96:97], v[86:87], v[100:101] op_sel:[0,0,1] op_sel_hi:[1,1,0] neg_lo:[0,0,1] neg_hi:[0,0,1]
	v_pk_fma_f32 v[96:97], v[96:97], v[86:87], v[100:101] op_sel:[0,0,1] op_sel_hi:[1,0,0]
	v_dual_mul_f32 v100, v99, v89 :: v_dual_mov_b32 v96, v99
	s_delay_alu instid0(VALU_DEP_2) | instskip(NEXT) | instid1(VALU_DEP_2)
	v_dual_mov_b32 v103, v97 :: v_dual_mov_b32 v97, v98
	v_pk_fma_f32 v[100:101], v[98:99], v[80:81], v[100:101] op_sel_hi:[1,1,0] neg_lo:[0,0,1] neg_hi:[0,0,1]
	v_mul_f32_e32 v98, v99, v86
	s_delay_alu instid0(VALU_DEP_3) | instskip(NEXT) | instid1(VALU_DEP_2)
	v_pk_add_f32 v[72:73], v[72:73], v[102:103] neg_lo:[0,1] neg_hi:[0,1]
	v_pk_fma_f32 v[96:97], v[96:97], v[80:81], v[98:99] op_sel_hi:[1,1,0]
	s_delay_alu instid0(VALU_DEP_1) | instskip(SKIP_4) | instid1(VALU_DEP_1)
	v_mov_b32_e32 v101, v97
	ds_load_2addr_b64 v[96:99], v90 offset0:16 offset1:17
	v_pk_add_f32 v[24:25], v[24:25], v[100:101] neg_lo:[0,1] neg_hi:[0,1]
	s_wait_dscnt 0x0
	v_pk_mul_f32 v[100:101], v[96:97], v[88:89] op_sel:[0,1]
	v_pk_fma_f32 v[102:103], v[96:97], v[86:87], v[100:101] op_sel:[0,0,1] op_sel_hi:[1,1,0] neg_lo:[0,0,1] neg_hi:[0,0,1]
	v_pk_fma_f32 v[96:97], v[96:97], v[86:87], v[100:101] op_sel:[0,0,1] op_sel_hi:[1,0,0]
	s_delay_alu instid0(VALU_DEP_1) | instskip(SKIP_1) | instid1(VALU_DEP_1)
	v_mov_b32_e32 v103, v97
	v_pk_mul_f32 v[96:97], v[98:99], v[88:89] op_sel:[0,1]
	v_pk_fma_f32 v[100:101], v[98:99], v[86:87], v[96:97] op_sel:[0,0,1] op_sel_hi:[1,1,0] neg_lo:[0,0,1] neg_hi:[0,0,1]
	v_pk_fma_f32 v[96:97], v[98:99], v[86:87], v[96:97] op_sel:[0,0,1] op_sel_hi:[1,0,0]
	s_delay_alu instid0(VALU_DEP_1)
	v_mov_b32_e32 v101, v97
	ds_load_2addr_b64 v[96:99], v90 offset0:18 offset1:19
	v_pk_add_f32 v[68:69], v[68:69], v[102:103] neg_lo:[0,1] neg_hi:[0,1]
	v_pk_add_f32 v[64:65], v[64:65], v[100:101] neg_lo:[0,1] neg_hi:[0,1]
	s_wait_dscnt 0x0
	v_pk_mul_f32 v[100:101], v[96:97], v[88:89] op_sel:[0,1]
	s_delay_alu instid0(VALU_DEP_1) | instskip(SKIP_1) | instid1(VALU_DEP_1)
	v_pk_fma_f32 v[102:103], v[96:97], v[86:87], v[100:101] op_sel:[0,0,1] op_sel_hi:[1,1,0] neg_lo:[0,0,1] neg_hi:[0,0,1]
	v_pk_fma_f32 v[96:97], v[96:97], v[86:87], v[100:101] op_sel:[0,0,1] op_sel_hi:[1,0,0]
	v_mov_b32_e32 v103, v97
	v_pk_mul_f32 v[96:97], v[98:99], v[88:89] op_sel:[0,1]
	s_delay_alu instid0(VALU_DEP_1) | instskip(SKIP_1) | instid1(VALU_DEP_1)
	v_pk_fma_f32 v[100:101], v[98:99], v[86:87], v[96:97] op_sel:[0,0,1] op_sel_hi:[1,1,0] neg_lo:[0,0,1] neg_hi:[0,0,1]
	v_pk_fma_f32 v[96:97], v[98:99], v[86:87], v[96:97] op_sel:[0,0,1] op_sel_hi:[1,0,0]
	v_mov_b32_e32 v101, v97
	ds_load_2addr_b64 v[96:99], v90 offset0:20 offset1:21
	v_pk_add_f32 v[66:67], v[66:67], v[102:103] neg_lo:[0,1] neg_hi:[0,1]
	v_pk_add_f32 v[22:23], v[22:23], v[100:101] neg_lo:[0,1] neg_hi:[0,1]
	s_wait_dscnt 0x0
	v_dual_mul_f32 v100, v97, v89 :: v_dual_mul_f32 v102, v97, v86
	s_delay_alu instid0(VALU_DEP_1) | instskip(NEXT) | instid1(VALU_DEP_2)
	v_pk_fma_f32 v[100:101], v[96:97], v[80:81], v[100:101] op_sel_hi:[1,1,0] neg_lo:[0,0,1] neg_hi:[0,0,1]
	v_pk_fma_f32 v[96:97], v[96:97], v[80:81], v[102:103] op_sel:[1,0,0] op_sel_hi:[0,1,0]
	s_delay_alu instid0(VALU_DEP_1) | instskip(SKIP_1) | instid1(VALU_DEP_2)
	v_mov_b32_e32 v101, v97
	v_pk_mul_f32 v[96:97], v[98:99], v[88:89] op_sel:[0,1]
	v_pk_add_f32 v[62:63], v[62:63], v[100:101] neg_lo:[0,1] neg_hi:[0,1]
	s_delay_alu instid0(VALU_DEP_2) | instskip(SKIP_1) | instid1(VALU_DEP_1)
	v_pk_fma_f32 v[100:101], v[98:99], v[86:87], v[96:97] op_sel:[0,0,1] op_sel_hi:[1,1,0] neg_lo:[0,0,1] neg_hi:[0,0,1]
	v_pk_fma_f32 v[96:97], v[98:99], v[86:87], v[96:97] op_sel:[0,0,1] op_sel_hi:[1,0,0]
	v_mov_b32_e32 v101, v97
	ds_load_2addr_b64 v[96:99], v90 offset0:22 offset1:23
	v_pk_add_f32 v[58:59], v[58:59], v[100:101] neg_lo:[0,1] neg_hi:[0,1]
	s_wait_dscnt 0x0
	v_pk_mul_f32 v[100:101], v[96:97], v[88:89] op_sel:[0,1]
	s_delay_alu instid0(VALU_DEP_1) | instskip(SKIP_1) | instid1(VALU_DEP_1)
	v_pk_fma_f32 v[102:103], v[96:97], v[86:87], v[100:101] op_sel:[0,0,1] op_sel_hi:[1,1,0] neg_lo:[0,0,1] neg_hi:[0,0,1]
	v_pk_fma_f32 v[96:97], v[96:97], v[86:87], v[100:101] op_sel:[0,0,1] op_sel_hi:[1,0,0]
	v_mov_b32_e32 v103, v97
	v_pk_mul_f32 v[96:97], v[98:99], v[88:89] op_sel:[0,1]
	s_delay_alu instid0(VALU_DEP_2) | instskip(NEXT) | instid1(VALU_DEP_2)
	v_pk_add_f32 v[60:61], v[60:61], v[102:103] neg_lo:[0,1] neg_hi:[0,1]
	v_pk_fma_f32 v[100:101], v[98:99], v[86:87], v[96:97] op_sel:[0,0,1] op_sel_hi:[1,1,0] neg_lo:[0,0,1] neg_hi:[0,0,1]
	v_pk_fma_f32 v[96:97], v[98:99], v[86:87], v[96:97] op_sel:[0,0,1] op_sel_hi:[1,0,0]
	s_delay_alu instid0(VALU_DEP_1) | instskip(SKIP_4) | instid1(VALU_DEP_1)
	v_mov_b32_e32 v101, v97
	ds_load_2addr_b64 v[96:99], v90 offset0:24 offset1:25
	v_pk_add_f32 v[16:17], v[16:17], v[100:101] neg_lo:[0,1] neg_hi:[0,1]
	s_wait_dscnt 0x0
	v_pk_mul_f32 v[100:101], v[96:97], v[88:89] op_sel:[0,1]
	v_pk_fma_f32 v[102:103], v[96:97], v[86:87], v[100:101] op_sel:[0,0,1] op_sel_hi:[1,1,0] neg_lo:[0,0,1] neg_hi:[0,0,1]
	v_pk_fma_f32 v[96:97], v[96:97], v[86:87], v[100:101] op_sel:[0,0,1] op_sel_hi:[1,0,0]
	v_dual_mul_f32 v100, v99, v89 :: v_dual_mov_b32 v96, v99
	s_delay_alu instid0(VALU_DEP_2) | instskip(NEXT) | instid1(VALU_DEP_2)
	v_dual_mov_b32 v103, v97 :: v_dual_mov_b32 v97, v98
	v_pk_fma_f32 v[100:101], v[98:99], v[80:81], v[100:101] op_sel_hi:[1,1,0] neg_lo:[0,0,1] neg_hi:[0,0,1]
	v_mul_f32_e32 v98, v99, v86
	s_delay_alu instid0(VALU_DEP_3) | instskip(NEXT) | instid1(VALU_DEP_2)
	v_pk_add_f32 v[56:57], v[56:57], v[102:103] neg_lo:[0,1] neg_hi:[0,1]
	v_pk_fma_f32 v[96:97], v[96:97], v[80:81], v[98:99] op_sel_hi:[1,1,0]
	s_delay_alu instid0(VALU_DEP_1) | instskip(SKIP_4) | instid1(VALU_DEP_1)
	v_mov_b32_e32 v101, v97
	ds_load_2addr_b64 v[96:99], v90 offset0:26 offset1:27
	v_pk_add_f32 v[52:53], v[52:53], v[100:101] neg_lo:[0,1] neg_hi:[0,1]
	s_wait_dscnt 0x0
	v_pk_mul_f32 v[100:101], v[96:97], v[88:89] op_sel:[0,1]
	v_pk_fma_f32 v[102:103], v[96:97], v[86:87], v[100:101] op_sel:[0,0,1] op_sel_hi:[1,1,0] neg_lo:[0,0,1] neg_hi:[0,0,1]
	v_pk_fma_f32 v[96:97], v[96:97], v[86:87], v[100:101] op_sel:[0,0,1] op_sel_hi:[1,0,0]
	s_delay_alu instid0(VALU_DEP_1) | instskip(SKIP_1) | instid1(VALU_DEP_1)
	v_mov_b32_e32 v103, v97
	v_pk_mul_f32 v[96:97], v[98:99], v[88:89] op_sel:[0,1]
	v_pk_fma_f32 v[100:101], v[98:99], v[86:87], v[96:97] op_sel:[0,0,1] op_sel_hi:[1,1,0] neg_lo:[0,0,1] neg_hi:[0,0,1]
	v_pk_fma_f32 v[96:97], v[98:99], v[86:87], v[96:97] op_sel:[0,0,1] op_sel_hi:[1,0,0]
	s_delay_alu instid0(VALU_DEP_1)
	v_mov_b32_e32 v101, v97
	ds_load_2addr_b64 v[96:99], v90 offset0:28 offset1:29
	v_pk_add_f32 v[54:55], v[54:55], v[102:103] neg_lo:[0,1] neg_hi:[0,1]
	v_pk_add_f32 v[14:15], v[14:15], v[100:101] neg_lo:[0,1] neg_hi:[0,1]
	s_wait_dscnt 0x0
	v_pk_mul_f32 v[100:101], v[96:97], v[88:89] op_sel:[0,1]
	s_delay_alu instid0(VALU_DEP_1) | instskip(SKIP_1) | instid1(VALU_DEP_1)
	v_pk_fma_f32 v[102:103], v[96:97], v[86:87], v[100:101] op_sel:[0,0,1] op_sel_hi:[1,1,0] neg_lo:[0,0,1] neg_hi:[0,0,1]
	v_pk_fma_f32 v[96:97], v[96:97], v[86:87], v[100:101] op_sel:[0,0,1] op_sel_hi:[1,0,0]
	v_mov_b32_e32 v103, v97
	v_pk_mul_f32 v[96:97], v[98:99], v[88:89] op_sel:[0,1]
	s_delay_alu instid0(VALU_DEP_1) | instskip(SKIP_1) | instid1(VALU_DEP_1)
	v_pk_fma_f32 v[100:101], v[98:99], v[86:87], v[96:97] op_sel:[0,0,1] op_sel_hi:[1,1,0] neg_lo:[0,0,1] neg_hi:[0,0,1]
	v_pk_fma_f32 v[96:97], v[98:99], v[86:87], v[96:97] op_sel:[0,0,1] op_sel_hi:[1,0,0]
	v_mov_b32_e32 v101, v97
	ds_load_2addr_b64 v[96:99], v90 offset0:30 offset1:31
	v_pk_add_f32 v[38:39], v[38:39], v[102:103] neg_lo:[0,1] neg_hi:[0,1]
	v_pk_add_f32 v[34:35], v[34:35], v[100:101] neg_lo:[0,1] neg_hi:[0,1]
	s_wait_dscnt 0x0
	v_dual_mul_f32 v100, v97, v89 :: v_dual_mul_f32 v102, v97, v86
	s_delay_alu instid0(VALU_DEP_1) | instskip(NEXT) | instid1(VALU_DEP_2)
	v_pk_fma_f32 v[100:101], v[96:97], v[80:81], v[100:101] op_sel_hi:[1,1,0] neg_lo:[0,0,1] neg_hi:[0,0,1]
	v_pk_fma_f32 v[96:97], v[96:97], v[80:81], v[102:103] op_sel:[1,0,0] op_sel_hi:[0,1,0]
	s_delay_alu instid0(VALU_DEP_1) | instskip(SKIP_1) | instid1(VALU_DEP_2)
	v_mov_b32_e32 v101, v97
	v_pk_mul_f32 v[96:97], v[98:99], v[88:89] op_sel:[0,1]
	v_pk_add_f32 v[36:37], v[36:37], v[100:101] neg_lo:[0,1] neg_hi:[0,1]
	s_delay_alu instid0(VALU_DEP_2) | instskip(SKIP_1) | instid1(VALU_DEP_1)
	v_pk_fma_f32 v[100:101], v[98:99], v[86:87], v[96:97] op_sel:[0,0,1] op_sel_hi:[1,1,0] neg_lo:[0,0,1] neg_hi:[0,0,1]
	v_pk_fma_f32 v[96:97], v[98:99], v[86:87], v[96:97] op_sel:[0,0,1] op_sel_hi:[1,0,0]
	v_mov_b32_e32 v101, v97
	ds_load_2addr_b64 v[96:99], v90 offset0:32 offset1:33
	v_pk_add_f32 v[6:7], v[6:7], v[100:101] neg_lo:[0,1] neg_hi:[0,1]
	s_wait_dscnt 0x0
	v_pk_mul_f32 v[100:101], v[96:97], v[88:89] op_sel:[0,1]
	s_delay_alu instid0(VALU_DEP_1) | instskip(SKIP_1) | instid1(VALU_DEP_1)
	v_pk_fma_f32 v[102:103], v[96:97], v[86:87], v[100:101] op_sel:[0,0,1] op_sel_hi:[1,1,0] neg_lo:[0,0,1] neg_hi:[0,0,1]
	v_pk_fma_f32 v[96:97], v[96:97], v[86:87], v[100:101] op_sel:[0,0,1] op_sel_hi:[1,0,0]
	v_mov_b32_e32 v103, v97
	v_pk_mul_f32 v[96:97], v[98:99], v[88:89] op_sel:[0,1]
	s_delay_alu instid0(VALU_DEP_2) | instskip(NEXT) | instid1(VALU_DEP_2)
	v_pk_add_f32 v[32:33], v[32:33], v[102:103] neg_lo:[0,1] neg_hi:[0,1]
	v_pk_fma_f32 v[100:101], v[98:99], v[86:87], v[96:97] op_sel:[0,0,1] op_sel_hi:[1,1,0] neg_lo:[0,0,1] neg_hi:[0,0,1]
	v_pk_fma_f32 v[96:97], v[98:99], v[86:87], v[96:97] op_sel:[0,0,1] op_sel_hi:[1,0,0]
	s_delay_alu instid0(VALU_DEP_1) | instskip(SKIP_4) | instid1(VALU_DEP_1)
	v_mov_b32_e32 v101, v97
	ds_load_2addr_b64 v[96:99], v90 offset0:34 offset1:35
	v_pk_add_f32 v[28:29], v[28:29], v[100:101] neg_lo:[0,1] neg_hi:[0,1]
	s_wait_dscnt 0x0
	v_pk_mul_f32 v[100:101], v[96:97], v[88:89] op_sel:[0,1]
	v_pk_fma_f32 v[102:103], v[96:97], v[86:87], v[100:101] op_sel:[0,0,1] op_sel_hi:[1,1,0] neg_lo:[0,0,1] neg_hi:[0,0,1]
	v_pk_fma_f32 v[96:97], v[96:97], v[86:87], v[100:101] op_sel:[0,0,1] op_sel_hi:[1,0,0]
	v_dual_mul_f32 v100, v99, v89 :: v_dual_mov_b32 v96, v99
	s_delay_alu instid0(VALU_DEP_2) | instskip(NEXT) | instid1(VALU_DEP_2)
	v_dual_mov_b32 v103, v97 :: v_dual_mov_b32 v97, v98
	v_pk_fma_f32 v[100:101], v[98:99], v[80:81], v[100:101] op_sel_hi:[1,1,0] neg_lo:[0,0,1] neg_hi:[0,0,1]
	v_mul_f32_e32 v98, v99, v86
	s_delay_alu instid0(VALU_DEP_3) | instskip(NEXT) | instid1(VALU_DEP_2)
	v_pk_add_f32 v[30:31], v[30:31], v[102:103] neg_lo:[0,1] neg_hi:[0,1]
	v_pk_fma_f32 v[96:97], v[96:97], v[80:81], v[98:99] op_sel_hi:[1,1,0]
	s_delay_alu instid0(VALU_DEP_1) | instskip(SKIP_4) | instid1(VALU_DEP_1)
	v_mov_b32_e32 v101, v97
	ds_load_2addr_b64 v[96:99], v90 offset0:36 offset1:37
	v_pk_add_f32 v[8:9], v[8:9], v[100:101] neg_lo:[0,1] neg_hi:[0,1]
	s_wait_dscnt 0x0
	v_pk_mul_f32 v[100:101], v[96:97], v[88:89] op_sel:[0,1]
	v_pk_fma_f32 v[102:103], v[96:97], v[86:87], v[100:101] op_sel:[0,0,1] op_sel_hi:[1,1,0] neg_lo:[0,0,1] neg_hi:[0,0,1]
	v_pk_fma_f32 v[96:97], v[96:97], v[86:87], v[100:101] op_sel:[0,0,1] op_sel_hi:[1,0,0]
	s_delay_alu instid0(VALU_DEP_1) | instskip(SKIP_1) | instid1(VALU_DEP_1)
	v_mov_b32_e32 v103, v97
	v_pk_mul_f32 v[96:97], v[98:99], v[88:89] op_sel:[0,1]
	v_pk_fma_f32 v[100:101], v[98:99], v[86:87], v[96:97] op_sel:[0,0,1] op_sel_hi:[1,1,0] neg_lo:[0,0,1] neg_hi:[0,0,1]
	v_pk_fma_f32 v[96:97], v[98:99], v[86:87], v[96:97] op_sel:[0,0,1] op_sel_hi:[1,0,0]
	s_delay_alu instid0(VALU_DEP_1)
	v_mov_b32_e32 v101, v97
	ds_load_2addr_b64 v[96:99], v90 offset0:38 offset1:39
	v_pk_add_f32 v[26:27], v[26:27], v[102:103] neg_lo:[0,1] neg_hi:[0,1]
	v_pk_add_f32 v[20:21], v[20:21], v[100:101] neg_lo:[0,1] neg_hi:[0,1]
	s_wait_dscnt 0x0
	v_pk_mul_f32 v[100:101], v[96:97], v[88:89] op_sel:[0,1]
	v_pk_mul_f32 v[88:89], v[98:99], v[88:89] op_sel:[0,1]
	s_delay_alu instid0(VALU_DEP_2) | instskip(SKIP_1) | instid1(VALU_DEP_1)
	v_pk_fma_f32 v[102:103], v[96:97], v[86:87], v[100:101] op_sel:[0,0,1] op_sel_hi:[1,1,0] neg_lo:[0,0,1] neg_hi:[0,0,1]
	v_pk_fma_f32 v[96:97], v[96:97], v[86:87], v[100:101] op_sel:[0,0,1] op_sel_hi:[1,0,0]
	v_mov_b32_e32 v103, v97
	s_delay_alu instid0(VALU_DEP_4) | instskip(SKIP_1) | instid1(VALU_DEP_1)
	v_pk_fma_f32 v[96:97], v[98:99], v[86:87], v[88:89] op_sel:[0,0,1] op_sel_hi:[1,1,0] neg_lo:[0,0,1] neg_hi:[0,0,1]
	v_pk_fma_f32 v[86:87], v[98:99], v[86:87], v[88:89] op_sel:[0,0,1] op_sel_hi:[1,0,0]
	v_mov_b32_e32 v97, v87
	s_delay_alu instid0(VALU_DEP_4) | instskip(NEXT) | instid1(VALU_DEP_2)
	v_pk_add_f32 v[18:19], v[18:19], v[102:103] neg_lo:[0,1] neg_hi:[0,1]
	v_pk_add_f32 v[84:85], v[84:85], v[96:97] neg_lo:[0,1] neg_hi:[0,1]
.LBB78_41:
	s_or_b32 exec_lo, exec_lo, s0
	v_lshl_add_u32 v86, v94, 3, v90
	s_barrier_signal -1
	s_barrier_wait -1
	ds_store_b64 v86, v[78:79]
	s_wait_dscnt 0x0
	s_barrier_signal -1
	s_barrier_wait -1
	ds_load_b64 v[88:89], v90 offset:16
	v_mov_b32_e32 v86, 2
	s_cmp_lt_i32 s18, 4
	s_mov_b32 s0, 3
	s_cbranch_scc1 .LBB78_44
; %bb.42:
	v_add3_u32 v87, v91, 0, 24
	v_mov_b32_e32 v86, 2
.LBB78_43:                              ; =>This Inner Loop Header: Depth=1
	ds_load_b64 v[96:97], v87
	s_wait_dscnt 0x1
	v_cmp_gt_f32_e32 vcc_lo, 0, v88
	v_cndmask_b32_e64 v98, v88, -v88, vcc_lo
	v_cmp_gt_f32_e32 vcc_lo, 0, v89
	v_cndmask_b32_e64 v100, v89, -v89, vcc_lo
	s_wait_dscnt 0x0
	v_cmp_gt_f32_e32 vcc_lo, 0, v96
	v_cndmask_b32_e64 v99, v96, -v96, vcc_lo
	v_cmp_gt_f32_e32 vcc_lo, 0, v97
	v_cndmask_b32_e64 v101, v97, -v97, vcc_lo
	s_delay_alu instid0(VALU_DEP_1) | instskip(NEXT) | instid1(VALU_DEP_1)
	v_pk_add_f32 v[98:99], v[98:99], v[100:101]
	v_cmp_lt_f32_e32 vcc_lo, v98, v99
	v_dual_add_nc_u32 v87, 8, v87 :: v_dual_cndmask_b32 v89, v89, v97, vcc_lo
	v_cndmask_b32_e32 v88, v88, v96, vcc_lo
	v_cndmask_b32_e64 v86, v86, s0, vcc_lo
	s_add_co_i32 s0, s0, 1
	s_delay_alu instid0(SALU_CYCLE_1)
	s_cmp_lg_u32 s18, s0
	s_cbranch_scc1 .LBB78_43
.LBB78_44:
	s_wait_dscnt 0x0
	v_cmp_eq_f32_e32 vcc_lo, 0, v88
	v_cmp_eq_f32_e64 s0, 0, v89
	s_and_b32 s0, vcc_lo, s0
	s_delay_alu instid0(SALU_CYCLE_1) | instskip(NEXT) | instid1(SALU_CYCLE_1)
	s_and_saveexec_b32 s1, s0
	s_xor_b32 s0, exec_lo, s1
; %bb.45:
	v_cmp_ne_u32_e32 vcc_lo, 0, v92
	v_cndmask_b32_e32 v92, 3, v92, vcc_lo
; %bb.46:
	s_and_not1_saveexec_b32 s0, s0
	s_cbranch_execz .LBB78_52
; %bb.47:
	v_cmp_ngt_f32_e64 s1, |v88|, |v89|
	s_and_saveexec_b32 s12, s1
	s_delay_alu instid0(SALU_CYCLE_1)
	s_xor_b32 s1, exec_lo, s12
	s_cbranch_execz .LBB78_49
; %bb.48:
	v_div_scale_f32 v87, null, v89, v89, v88
	v_div_scale_f32 v97, vcc_lo, v88, v89, v88
	s_delay_alu instid0(VALU_DEP_2) | instskip(SKIP_1) | instid1(TRANS32_DEP_1)
	v_rcp_f32_e32 v95, v87
	v_nop
	v_fma_f32 v96, -v87, v95, 1.0
	s_delay_alu instid0(VALU_DEP_1) | instskip(NEXT) | instid1(VALU_DEP_1)
	v_fmac_f32_e32 v95, v96, v95
	v_mul_f32_e32 v96, v97, v95
	s_delay_alu instid0(VALU_DEP_1) | instskip(NEXT) | instid1(VALU_DEP_1)
	v_fma_f32 v98, -v87, v96, v97
	v_fmac_f32_e32 v96, v98, v95
	s_delay_alu instid0(VALU_DEP_1) | instskip(NEXT) | instid1(VALU_DEP_1)
	v_fma_f32 v87, -v87, v96, v97
	v_div_fmas_f32 v87, v87, v95, v96
	s_delay_alu instid0(VALU_DEP_1) | instskip(NEXT) | instid1(VALU_DEP_1)
	v_div_fixup_f32 v87, v87, v89, v88
	v_fmac_f32_e32 v89, v88, v87
	s_delay_alu instid0(VALU_DEP_1) | instskip(SKIP_1) | instid1(VALU_DEP_2)
	v_div_scale_f32 v88, null, v89, v89, 1.0
	v_div_scale_f32 v97, vcc_lo, 1.0, v89, 1.0
	v_rcp_f32_e32 v95, v88
	v_nop
	s_delay_alu instid0(TRANS32_DEP_1) | instskip(NEXT) | instid1(VALU_DEP_1)
	v_fma_f32 v96, -v88, v95, 1.0
	v_fmac_f32_e32 v95, v96, v95
	s_delay_alu instid0(VALU_DEP_1) | instskip(NEXT) | instid1(VALU_DEP_1)
	v_mul_f32_e32 v96, v97, v95
	v_fma_f32 v98, -v88, v96, v97
	s_delay_alu instid0(VALU_DEP_1) | instskip(NEXT) | instid1(VALU_DEP_1)
	v_fmac_f32_e32 v96, v98, v95
	v_fma_f32 v88, -v88, v96, v97
	s_delay_alu instid0(VALU_DEP_1) | instskip(NEXT) | instid1(VALU_DEP_1)
	v_div_fmas_f32 v88, v88, v95, v96
	v_div_fixup_f32 v89, v88, v89, 1.0
	s_delay_alu instid0(VALU_DEP_1)
	v_mul_f32_e32 v88, v87, v89
	v_xor_b32_e32 v89, 0x80000000, v89
.LBB78_49:
	s_and_not1_saveexec_b32 s1, s1
	s_cbranch_execz .LBB78_51
; %bb.50:
	s_delay_alu instid0(VALU_DEP_1) | instskip(SKIP_1) | instid1(VALU_DEP_2)
	v_div_scale_f32 v87, null, v88, v88, v89
	v_div_scale_f32 v97, vcc_lo, v89, v88, v89
	v_rcp_f32_e32 v95, v87
	v_nop
	s_delay_alu instid0(TRANS32_DEP_1) | instskip(NEXT) | instid1(VALU_DEP_1)
	v_fma_f32 v96, -v87, v95, 1.0
	v_fmac_f32_e32 v95, v96, v95
	s_delay_alu instid0(VALU_DEP_1) | instskip(NEXT) | instid1(VALU_DEP_1)
	v_mul_f32_e32 v96, v97, v95
	v_fma_f32 v98, -v87, v96, v97
	s_delay_alu instid0(VALU_DEP_1) | instskip(NEXT) | instid1(VALU_DEP_1)
	v_fmac_f32_e32 v96, v98, v95
	v_fma_f32 v87, -v87, v96, v97
	s_delay_alu instid0(VALU_DEP_1) | instskip(NEXT) | instid1(VALU_DEP_1)
	v_div_fmas_f32 v87, v87, v95, v96
	v_div_fixup_f32 v87, v87, v88, v89
	s_delay_alu instid0(VALU_DEP_1) | instskip(NEXT) | instid1(VALU_DEP_1)
	v_fmac_f32_e32 v88, v89, v87
	v_div_scale_f32 v89, null, v88, v88, 1.0
	s_delay_alu instid0(VALU_DEP_1) | instskip(SKIP_1) | instid1(TRANS32_DEP_1)
	v_rcp_f32_e32 v95, v89
	v_nop
	v_fma_f32 v96, -v89, v95, 1.0
	s_delay_alu instid0(VALU_DEP_1) | instskip(SKIP_1) | instid1(VALU_DEP_1)
	v_fmac_f32_e32 v95, v96, v95
	v_div_scale_f32 v96, vcc_lo, 1.0, v88, 1.0
	v_mul_f32_e32 v97, v96, v95
	s_delay_alu instid0(VALU_DEP_1) | instskip(NEXT) | instid1(VALU_DEP_1)
	v_fma_f32 v98, -v89, v97, v96
	v_fmac_f32_e32 v97, v98, v95
	s_delay_alu instid0(VALU_DEP_1) | instskip(NEXT) | instid1(VALU_DEP_1)
	v_fma_f32 v89, -v89, v97, v96
	v_div_fmas_f32 v89, v89, v95, v97
	s_delay_alu instid0(VALU_DEP_1) | instskip(NEXT) | instid1(VALU_DEP_1)
	v_div_fixup_f32 v88, v89, v88, 1.0
	v_mul_f32_e64 v89, v87, -v88
.LBB78_51:
	s_or_b32 exec_lo, exec_lo, s1
.LBB78_52:
	s_delay_alu instid0(SALU_CYCLE_1) | instskip(NEXT) | instid1(SALU_CYCLE_1)
	s_or_b32 exec_lo, exec_lo, s0
	s_mov_b32 s0, exec_lo
	v_cmpx_ne_u32_e64 v94, v86
	s_xor_b32 s0, exec_lo, s0
	s_cbranch_execz .LBB78_58
; %bb.53:
	s_mov_b32 s1, exec_lo
	v_cmpx_eq_u32_e32 2, v94
	s_cbranch_execz .LBB78_57
; %bb.54:
	v_cmp_ne_u32_e32 vcc_lo, 2, v86
	s_xor_b32 s12, s16, -1
	s_delay_alu instid0(SALU_CYCLE_1) | instskip(NEXT) | instid1(SALU_CYCLE_1)
	s_and_b32 s13, s12, vcc_lo
	s_and_saveexec_b32 s12, s13
	s_cbranch_execz .LBB78_56
; %bb.55:
	v_ashrrev_i32_e32 v87, 31, v86
	s_delay_alu instid0(VALU_DEP_1)
	v_lshl_add_u64 v[94:95], v[86:87], 2, v[4:5]
	s_clause 0x1
	global_load_b32 v87, v[94:95], off
	global_load_b32 v93, v[4:5], off offset:8
	s_wait_loadcnt 0x1
	global_store_b32 v[4:5], v87, off offset:8
	s_wait_loadcnt 0x0
	global_store_b32 v[94:95], v93, off
.LBB78_56:
	s_wait_xcnt 0x0
	s_or_b32 exec_lo, exec_lo, s12
	v_dual_mov_b32 v94, v86 :: v_dual_mov_b32 v93, v86
.LBB78_57:
	s_or_b32 exec_lo, exec_lo, s1
.LBB78_58:
	s_and_not1_saveexec_b32 s0, s0
	s_cbranch_execz .LBB78_60
; %bb.59:
	v_mov_b32_e32 v94, 2
	ds_store_2addr_b64 v90, v[76:77], v[44:45] offset0:3 offset1:4
	ds_store_2addr_b64 v90, v[40:41], v[42:43] offset0:5 offset1:6
	;; [unrolled: 1-line block ×18, first 2 shown]
	ds_store_b64 v90, v[84:85] offset:312
.LBB78_60:
	s_or_b32 exec_lo, exec_lo, s0
	s_delay_alu instid0(SALU_CYCLE_1)
	s_mov_b32 s0, exec_lo
	s_wait_storecnt_dscnt 0x0
	s_barrier_signal -1
	s_barrier_wait -1
	v_cmpx_lt_i32_e32 2, v94
	s_cbranch_execz .LBB78_62
; %bb.61:
	v_pk_mul_f32 v[96:97], v[88:89], v[78:79] op_sel:[1,1] op_sel_hi:[0,1]
	s_delay_alu instid0(VALU_DEP_1)
	v_pk_fma_f32 v[86:87], v[88:89], v[78:79], v[96:97] op_sel_hi:[1,0,1] neg_lo:[0,0,1] neg_hi:[0,0,1]
	v_pk_fma_f32 v[88:89], v[88:89], v[78:79], v[96:97] op_sel_hi:[1,0,1]
	ds_load_2addr_b64 v[96:99], v90 offset0:3 offset1:4
	v_dual_mov_b32 v78, v86 :: v_dual_mov_b32 v79, v89
	s_wait_dscnt 0x0
	v_pk_mul_f32 v[100:101], v[96:97], v[88:89] op_sel:[0,1]
	s_delay_alu instid0(VALU_DEP_1) | instskip(SKIP_1) | instid1(VALU_DEP_1)
	v_pk_fma_f32 v[102:103], v[96:97], v[86:87], v[100:101] op_sel:[0,0,1] op_sel_hi:[1,1,0] neg_lo:[0,0,1] neg_hi:[0,0,1]
	v_pk_fma_f32 v[96:97], v[96:97], v[86:87], v[100:101] op_sel:[0,0,1] op_sel_hi:[1,0,0]
	v_mov_b32_e32 v103, v97
	v_pk_mul_f32 v[96:97], v[98:99], v[88:89] op_sel:[0,1]
	s_delay_alu instid0(VALU_DEP_1) | instskip(SKIP_1) | instid1(VALU_DEP_1)
	v_pk_fma_f32 v[100:101], v[98:99], v[86:87], v[96:97] op_sel:[0,0,1] op_sel_hi:[1,1,0] neg_lo:[0,0,1] neg_hi:[0,0,1]
	v_pk_fma_f32 v[96:97], v[98:99], v[86:87], v[96:97] op_sel:[0,0,1] op_sel_hi:[1,0,0]
	v_mov_b32_e32 v101, v97
	ds_load_2addr_b64 v[96:99], v90 offset0:5 offset1:6
	v_pk_add_f32 v[76:77], v[76:77], v[102:103] neg_lo:[0,1] neg_hi:[0,1]
	v_pk_add_f32 v[44:45], v[44:45], v[100:101] neg_lo:[0,1] neg_hi:[0,1]
	s_wait_dscnt 0x0
	v_pk_mul_f32 v[100:101], v[96:97], v[88:89] op_sel:[0,1]
	s_delay_alu instid0(VALU_DEP_1) | instskip(SKIP_2) | instid1(VALU_DEP_2)
	v_pk_fma_f32 v[102:103], v[96:97], v[86:87], v[100:101] op_sel:[0,0,1] op_sel_hi:[1,1,0] neg_lo:[0,0,1] neg_hi:[0,0,1]
	v_pk_fma_f32 v[96:97], v[96:97], v[86:87], v[100:101] op_sel:[0,0,1] op_sel_hi:[1,0,0]
	v_dual_mul_f32 v100, v99, v89 :: v_dual_mov_b32 v96, v99
	v_dual_mov_b32 v103, v97 :: v_dual_mov_b32 v97, v98
	s_delay_alu instid0(VALU_DEP_2) | instskip(SKIP_1) | instid1(VALU_DEP_3)
	v_pk_fma_f32 v[100:101], v[98:99], v[78:79], v[100:101] op_sel_hi:[1,1,0] neg_lo:[0,0,1] neg_hi:[0,0,1]
	v_mul_f32_e32 v98, v99, v86
	v_pk_add_f32 v[40:41], v[40:41], v[102:103] neg_lo:[0,1] neg_hi:[0,1]
	s_delay_alu instid0(VALU_DEP_2) | instskip(NEXT) | instid1(VALU_DEP_1)
	v_pk_fma_f32 v[96:97], v[96:97], v[78:79], v[98:99] op_sel_hi:[1,1,0]
	v_mov_b32_e32 v101, v97
	ds_load_2addr_b64 v[96:99], v90 offset0:7 offset1:8
	v_pk_add_f32 v[42:43], v[42:43], v[100:101] neg_lo:[0,1] neg_hi:[0,1]
	s_wait_dscnt 0x0
	v_pk_mul_f32 v[100:101], v[96:97], v[88:89] op_sel:[0,1]
	s_delay_alu instid0(VALU_DEP_1) | instskip(SKIP_1) | instid1(VALU_DEP_1)
	v_pk_fma_f32 v[102:103], v[96:97], v[86:87], v[100:101] op_sel:[0,0,1] op_sel_hi:[1,1,0] neg_lo:[0,0,1] neg_hi:[0,0,1]
	v_pk_fma_f32 v[96:97], v[96:97], v[86:87], v[100:101] op_sel:[0,0,1] op_sel_hi:[1,0,0]
	v_mov_b32_e32 v103, v97
	v_pk_mul_f32 v[96:97], v[98:99], v[88:89] op_sel:[0,1]
	s_delay_alu instid0(VALU_DEP_1) | instskip(SKIP_1) | instid1(VALU_DEP_1)
	v_pk_fma_f32 v[100:101], v[98:99], v[86:87], v[96:97] op_sel:[0,0,1] op_sel_hi:[1,1,0] neg_lo:[0,0,1] neg_hi:[0,0,1]
	v_pk_fma_f32 v[96:97], v[98:99], v[86:87], v[96:97] op_sel:[0,0,1] op_sel_hi:[1,0,0]
	v_mov_b32_e32 v101, v97
	ds_load_2addr_b64 v[96:99], v90 offset0:9 offset1:10
	v_pk_add_f32 v[10:11], v[10:11], v[102:103] neg_lo:[0,1] neg_hi:[0,1]
	v_pk_add_f32 v[50:51], v[50:51], v[100:101] neg_lo:[0,1] neg_hi:[0,1]
	s_wait_dscnt 0x0
	v_pk_mul_f32 v[100:101], v[96:97], v[88:89] op_sel:[0,1]
	s_delay_alu instid0(VALU_DEP_1) | instskip(SKIP_1) | instid1(VALU_DEP_1)
	v_pk_fma_f32 v[102:103], v[96:97], v[86:87], v[100:101] op_sel:[0,0,1] op_sel_hi:[1,1,0] neg_lo:[0,0,1] neg_hi:[0,0,1]
	v_pk_fma_f32 v[96:97], v[96:97], v[86:87], v[100:101] op_sel:[0,0,1] op_sel_hi:[1,0,0]
	v_mov_b32_e32 v103, v97
	v_pk_mul_f32 v[96:97], v[98:99], v[88:89] op_sel:[0,1]
	s_delay_alu instid0(VALU_DEP_1) | instskip(SKIP_1) | instid1(VALU_DEP_1)
	v_pk_fma_f32 v[100:101], v[98:99], v[86:87], v[96:97] op_sel:[0,0,1] op_sel_hi:[1,1,0] neg_lo:[0,0,1] neg_hi:[0,0,1]
	v_pk_fma_f32 v[96:97], v[98:99], v[86:87], v[96:97] op_sel:[0,0,1] op_sel_hi:[1,0,0]
	v_mov_b32_e32 v101, v97
	ds_load_2addr_b64 v[96:99], v90 offset0:11 offset1:12
	v_pk_add_f32 v[46:47], v[46:47], v[102:103] neg_lo:[0,1] neg_hi:[0,1]
	v_pk_add_f32 v[48:49], v[48:49], v[100:101] neg_lo:[0,1] neg_hi:[0,1]
	s_wait_dscnt 0x0
	v_dual_mul_f32 v100, v97, v89 :: v_dual_mul_f32 v102, v97, v86
	s_delay_alu instid0(VALU_DEP_1) | instskip(NEXT) | instid1(VALU_DEP_2)
	v_pk_fma_f32 v[100:101], v[96:97], v[78:79], v[100:101] op_sel_hi:[1,1,0] neg_lo:[0,0,1] neg_hi:[0,0,1]
	v_pk_fma_f32 v[96:97], v[96:97], v[78:79], v[102:103] op_sel:[1,0,0] op_sel_hi:[0,1,0]
	s_delay_alu instid0(VALU_DEP_1) | instskip(SKIP_1) | instid1(VALU_DEP_2)
	v_mov_b32_e32 v101, v97
	v_pk_mul_f32 v[96:97], v[98:99], v[88:89] op_sel:[0,1]
	v_pk_add_f32 v[12:13], v[12:13], v[100:101] neg_lo:[0,1] neg_hi:[0,1]
	s_delay_alu instid0(VALU_DEP_2) | instskip(SKIP_1) | instid1(VALU_DEP_1)
	v_pk_fma_f32 v[100:101], v[98:99], v[86:87], v[96:97] op_sel:[0,0,1] op_sel_hi:[1,1,0] neg_lo:[0,0,1] neg_hi:[0,0,1]
	v_pk_fma_f32 v[96:97], v[98:99], v[86:87], v[96:97] op_sel:[0,0,1] op_sel_hi:[1,0,0]
	v_mov_b32_e32 v101, v97
	ds_load_2addr_b64 v[96:99], v90 offset0:13 offset1:14
	v_pk_add_f32 v[74:75], v[74:75], v[100:101] neg_lo:[0,1] neg_hi:[0,1]
	s_wait_dscnt 0x0
	v_pk_mul_f32 v[100:101], v[96:97], v[88:89] op_sel:[0,1]
	s_delay_alu instid0(VALU_DEP_1) | instskip(SKIP_1) | instid1(VALU_DEP_1)
	v_pk_fma_f32 v[102:103], v[96:97], v[86:87], v[100:101] op_sel:[0,0,1] op_sel_hi:[1,1,0] neg_lo:[0,0,1] neg_hi:[0,0,1]
	v_pk_fma_f32 v[96:97], v[96:97], v[86:87], v[100:101] op_sel:[0,0,1] op_sel_hi:[1,0,0]
	v_mov_b32_e32 v103, v97
	v_pk_mul_f32 v[96:97], v[98:99], v[88:89] op_sel:[0,1]
	s_delay_alu instid0(VALU_DEP_2) | instskip(NEXT) | instid1(VALU_DEP_2)
	v_pk_add_f32 v[70:71], v[70:71], v[102:103] neg_lo:[0,1] neg_hi:[0,1]
	v_pk_fma_f32 v[100:101], v[98:99], v[86:87], v[96:97] op_sel:[0,0,1] op_sel_hi:[1,1,0] neg_lo:[0,0,1] neg_hi:[0,0,1]
	v_pk_fma_f32 v[96:97], v[98:99], v[86:87], v[96:97] op_sel:[0,0,1] op_sel_hi:[1,0,0]
	s_delay_alu instid0(VALU_DEP_1) | instskip(SKIP_4) | instid1(VALU_DEP_1)
	v_mov_b32_e32 v101, v97
	ds_load_2addr_b64 v[96:99], v90 offset0:15 offset1:16
	v_pk_add_f32 v[72:73], v[72:73], v[100:101] neg_lo:[0,1] neg_hi:[0,1]
	s_wait_dscnt 0x0
	v_pk_mul_f32 v[100:101], v[96:97], v[88:89] op_sel:[0,1]
	v_pk_fma_f32 v[102:103], v[96:97], v[86:87], v[100:101] op_sel:[0,0,1] op_sel_hi:[1,1,0] neg_lo:[0,0,1] neg_hi:[0,0,1]
	v_pk_fma_f32 v[96:97], v[96:97], v[86:87], v[100:101] op_sel:[0,0,1] op_sel_hi:[1,0,0]
	v_dual_mul_f32 v100, v99, v89 :: v_dual_mov_b32 v96, v99
	s_delay_alu instid0(VALU_DEP_2) | instskip(NEXT) | instid1(VALU_DEP_2)
	v_dual_mov_b32 v103, v97 :: v_dual_mov_b32 v97, v98
	v_pk_fma_f32 v[100:101], v[98:99], v[78:79], v[100:101] op_sel_hi:[1,1,0] neg_lo:[0,0,1] neg_hi:[0,0,1]
	v_mul_f32_e32 v98, v99, v86
	s_delay_alu instid0(VALU_DEP_3) | instskip(NEXT) | instid1(VALU_DEP_2)
	v_pk_add_f32 v[24:25], v[24:25], v[102:103] neg_lo:[0,1] neg_hi:[0,1]
	v_pk_fma_f32 v[96:97], v[96:97], v[78:79], v[98:99] op_sel_hi:[1,1,0]
	s_delay_alu instid0(VALU_DEP_1) | instskip(SKIP_4) | instid1(VALU_DEP_1)
	v_mov_b32_e32 v101, v97
	ds_load_2addr_b64 v[96:99], v90 offset0:17 offset1:18
	v_pk_add_f32 v[68:69], v[68:69], v[100:101] neg_lo:[0,1] neg_hi:[0,1]
	s_wait_dscnt 0x0
	v_pk_mul_f32 v[100:101], v[96:97], v[88:89] op_sel:[0,1]
	v_pk_fma_f32 v[102:103], v[96:97], v[86:87], v[100:101] op_sel:[0,0,1] op_sel_hi:[1,1,0] neg_lo:[0,0,1] neg_hi:[0,0,1]
	v_pk_fma_f32 v[96:97], v[96:97], v[86:87], v[100:101] op_sel:[0,0,1] op_sel_hi:[1,0,0]
	s_delay_alu instid0(VALU_DEP_1) | instskip(SKIP_1) | instid1(VALU_DEP_1)
	v_mov_b32_e32 v103, v97
	v_pk_mul_f32 v[96:97], v[98:99], v[88:89] op_sel:[0,1]
	v_pk_fma_f32 v[100:101], v[98:99], v[86:87], v[96:97] op_sel:[0,0,1] op_sel_hi:[1,1,0] neg_lo:[0,0,1] neg_hi:[0,0,1]
	v_pk_fma_f32 v[96:97], v[98:99], v[86:87], v[96:97] op_sel:[0,0,1] op_sel_hi:[1,0,0]
	s_delay_alu instid0(VALU_DEP_1)
	v_mov_b32_e32 v101, v97
	ds_load_2addr_b64 v[96:99], v90 offset0:19 offset1:20
	v_pk_add_f32 v[64:65], v[64:65], v[102:103] neg_lo:[0,1] neg_hi:[0,1]
	v_pk_add_f32 v[66:67], v[66:67], v[100:101] neg_lo:[0,1] neg_hi:[0,1]
	s_wait_dscnt 0x0
	v_pk_mul_f32 v[100:101], v[96:97], v[88:89] op_sel:[0,1]
	s_delay_alu instid0(VALU_DEP_1) | instskip(SKIP_1) | instid1(VALU_DEP_1)
	v_pk_fma_f32 v[102:103], v[96:97], v[86:87], v[100:101] op_sel:[0,0,1] op_sel_hi:[1,1,0] neg_lo:[0,0,1] neg_hi:[0,0,1]
	v_pk_fma_f32 v[96:97], v[96:97], v[86:87], v[100:101] op_sel:[0,0,1] op_sel_hi:[1,0,0]
	v_mov_b32_e32 v103, v97
	v_pk_mul_f32 v[96:97], v[98:99], v[88:89] op_sel:[0,1]
	s_delay_alu instid0(VALU_DEP_1) | instskip(SKIP_1) | instid1(VALU_DEP_1)
	v_pk_fma_f32 v[100:101], v[98:99], v[86:87], v[96:97] op_sel:[0,0,1] op_sel_hi:[1,1,0] neg_lo:[0,0,1] neg_hi:[0,0,1]
	v_pk_fma_f32 v[96:97], v[98:99], v[86:87], v[96:97] op_sel:[0,0,1] op_sel_hi:[1,0,0]
	v_mov_b32_e32 v101, v97
	ds_load_2addr_b64 v[96:99], v90 offset0:21 offset1:22
	v_pk_add_f32 v[22:23], v[22:23], v[102:103] neg_lo:[0,1] neg_hi:[0,1]
	v_pk_add_f32 v[62:63], v[62:63], v[100:101] neg_lo:[0,1] neg_hi:[0,1]
	s_wait_dscnt 0x0
	v_dual_mul_f32 v100, v97, v89 :: v_dual_mul_f32 v102, v97, v86
	s_delay_alu instid0(VALU_DEP_1) | instskip(NEXT) | instid1(VALU_DEP_2)
	v_pk_fma_f32 v[100:101], v[96:97], v[78:79], v[100:101] op_sel_hi:[1,1,0] neg_lo:[0,0,1] neg_hi:[0,0,1]
	v_pk_fma_f32 v[96:97], v[96:97], v[78:79], v[102:103] op_sel:[1,0,0] op_sel_hi:[0,1,0]
	s_delay_alu instid0(VALU_DEP_1) | instskip(SKIP_1) | instid1(VALU_DEP_2)
	v_mov_b32_e32 v101, v97
	v_pk_mul_f32 v[96:97], v[98:99], v[88:89] op_sel:[0,1]
	v_pk_add_f32 v[58:59], v[58:59], v[100:101] neg_lo:[0,1] neg_hi:[0,1]
	s_delay_alu instid0(VALU_DEP_2) | instskip(SKIP_1) | instid1(VALU_DEP_1)
	v_pk_fma_f32 v[100:101], v[98:99], v[86:87], v[96:97] op_sel:[0,0,1] op_sel_hi:[1,1,0] neg_lo:[0,0,1] neg_hi:[0,0,1]
	v_pk_fma_f32 v[96:97], v[98:99], v[86:87], v[96:97] op_sel:[0,0,1] op_sel_hi:[1,0,0]
	v_mov_b32_e32 v101, v97
	ds_load_2addr_b64 v[96:99], v90 offset0:23 offset1:24
	v_pk_add_f32 v[60:61], v[60:61], v[100:101] neg_lo:[0,1] neg_hi:[0,1]
	s_wait_dscnt 0x0
	v_pk_mul_f32 v[100:101], v[96:97], v[88:89] op_sel:[0,1]
	s_delay_alu instid0(VALU_DEP_1) | instskip(SKIP_1) | instid1(VALU_DEP_1)
	v_pk_fma_f32 v[102:103], v[96:97], v[86:87], v[100:101] op_sel:[0,0,1] op_sel_hi:[1,1,0] neg_lo:[0,0,1] neg_hi:[0,0,1]
	v_pk_fma_f32 v[96:97], v[96:97], v[86:87], v[100:101] op_sel:[0,0,1] op_sel_hi:[1,0,0]
	v_mov_b32_e32 v103, v97
	v_pk_mul_f32 v[96:97], v[98:99], v[88:89] op_sel:[0,1]
	s_delay_alu instid0(VALU_DEP_2) | instskip(NEXT) | instid1(VALU_DEP_2)
	v_pk_add_f32 v[16:17], v[16:17], v[102:103] neg_lo:[0,1] neg_hi:[0,1]
	v_pk_fma_f32 v[100:101], v[98:99], v[86:87], v[96:97] op_sel:[0,0,1] op_sel_hi:[1,1,0] neg_lo:[0,0,1] neg_hi:[0,0,1]
	v_pk_fma_f32 v[96:97], v[98:99], v[86:87], v[96:97] op_sel:[0,0,1] op_sel_hi:[1,0,0]
	s_delay_alu instid0(VALU_DEP_1) | instskip(SKIP_4) | instid1(VALU_DEP_1)
	v_mov_b32_e32 v101, v97
	ds_load_2addr_b64 v[96:99], v90 offset0:25 offset1:26
	v_pk_add_f32 v[56:57], v[56:57], v[100:101] neg_lo:[0,1] neg_hi:[0,1]
	s_wait_dscnt 0x0
	v_pk_mul_f32 v[100:101], v[96:97], v[88:89] op_sel:[0,1]
	v_pk_fma_f32 v[102:103], v[96:97], v[86:87], v[100:101] op_sel:[0,0,1] op_sel_hi:[1,1,0] neg_lo:[0,0,1] neg_hi:[0,0,1]
	v_pk_fma_f32 v[96:97], v[96:97], v[86:87], v[100:101] op_sel:[0,0,1] op_sel_hi:[1,0,0]
	v_dual_mul_f32 v100, v99, v89 :: v_dual_mov_b32 v96, v99
	s_delay_alu instid0(VALU_DEP_2) | instskip(NEXT) | instid1(VALU_DEP_2)
	v_dual_mov_b32 v103, v97 :: v_dual_mov_b32 v97, v98
	v_pk_fma_f32 v[100:101], v[98:99], v[78:79], v[100:101] op_sel_hi:[1,1,0] neg_lo:[0,0,1] neg_hi:[0,0,1]
	v_mul_f32_e32 v98, v99, v86
	s_delay_alu instid0(VALU_DEP_3) | instskip(NEXT) | instid1(VALU_DEP_2)
	v_pk_add_f32 v[52:53], v[52:53], v[102:103] neg_lo:[0,1] neg_hi:[0,1]
	v_pk_fma_f32 v[96:97], v[96:97], v[78:79], v[98:99] op_sel_hi:[1,1,0]
	s_delay_alu instid0(VALU_DEP_1) | instskip(SKIP_4) | instid1(VALU_DEP_1)
	v_mov_b32_e32 v101, v97
	ds_load_2addr_b64 v[96:99], v90 offset0:27 offset1:28
	v_pk_add_f32 v[54:55], v[54:55], v[100:101] neg_lo:[0,1] neg_hi:[0,1]
	s_wait_dscnt 0x0
	v_pk_mul_f32 v[100:101], v[96:97], v[88:89] op_sel:[0,1]
	v_pk_fma_f32 v[102:103], v[96:97], v[86:87], v[100:101] op_sel:[0,0,1] op_sel_hi:[1,1,0] neg_lo:[0,0,1] neg_hi:[0,0,1]
	v_pk_fma_f32 v[96:97], v[96:97], v[86:87], v[100:101] op_sel:[0,0,1] op_sel_hi:[1,0,0]
	s_delay_alu instid0(VALU_DEP_1) | instskip(SKIP_1) | instid1(VALU_DEP_1)
	v_mov_b32_e32 v103, v97
	v_pk_mul_f32 v[96:97], v[98:99], v[88:89] op_sel:[0,1]
	v_pk_fma_f32 v[100:101], v[98:99], v[86:87], v[96:97] op_sel:[0,0,1] op_sel_hi:[1,1,0] neg_lo:[0,0,1] neg_hi:[0,0,1]
	v_pk_fma_f32 v[96:97], v[98:99], v[86:87], v[96:97] op_sel:[0,0,1] op_sel_hi:[1,0,0]
	s_delay_alu instid0(VALU_DEP_1)
	v_mov_b32_e32 v101, v97
	ds_load_2addr_b64 v[96:99], v90 offset0:29 offset1:30
	v_pk_add_f32 v[14:15], v[14:15], v[102:103] neg_lo:[0,1] neg_hi:[0,1]
	v_pk_add_f32 v[38:39], v[38:39], v[100:101] neg_lo:[0,1] neg_hi:[0,1]
	s_wait_dscnt 0x0
	v_pk_mul_f32 v[100:101], v[96:97], v[88:89] op_sel:[0,1]
	s_delay_alu instid0(VALU_DEP_1) | instskip(SKIP_1) | instid1(VALU_DEP_1)
	v_pk_fma_f32 v[102:103], v[96:97], v[86:87], v[100:101] op_sel:[0,0,1] op_sel_hi:[1,1,0] neg_lo:[0,0,1] neg_hi:[0,0,1]
	v_pk_fma_f32 v[96:97], v[96:97], v[86:87], v[100:101] op_sel:[0,0,1] op_sel_hi:[1,0,0]
	v_mov_b32_e32 v103, v97
	v_pk_mul_f32 v[96:97], v[98:99], v[88:89] op_sel:[0,1]
	s_delay_alu instid0(VALU_DEP_1) | instskip(SKIP_1) | instid1(VALU_DEP_1)
	v_pk_fma_f32 v[100:101], v[98:99], v[86:87], v[96:97] op_sel:[0,0,1] op_sel_hi:[1,1,0] neg_lo:[0,0,1] neg_hi:[0,0,1]
	v_pk_fma_f32 v[96:97], v[98:99], v[86:87], v[96:97] op_sel:[0,0,1] op_sel_hi:[1,0,0]
	v_mov_b32_e32 v101, v97
	ds_load_2addr_b64 v[96:99], v90 offset0:31 offset1:32
	v_pk_add_f32 v[34:35], v[34:35], v[102:103] neg_lo:[0,1] neg_hi:[0,1]
	v_pk_add_f32 v[36:37], v[36:37], v[100:101] neg_lo:[0,1] neg_hi:[0,1]
	s_wait_dscnt 0x0
	v_dual_mul_f32 v100, v97, v89 :: v_dual_mul_f32 v102, v97, v86
	s_delay_alu instid0(VALU_DEP_1) | instskip(NEXT) | instid1(VALU_DEP_2)
	v_pk_fma_f32 v[100:101], v[96:97], v[78:79], v[100:101] op_sel_hi:[1,1,0] neg_lo:[0,0,1] neg_hi:[0,0,1]
	v_pk_fma_f32 v[96:97], v[96:97], v[78:79], v[102:103] op_sel:[1,0,0] op_sel_hi:[0,1,0]
	s_delay_alu instid0(VALU_DEP_1) | instskip(SKIP_1) | instid1(VALU_DEP_2)
	v_mov_b32_e32 v101, v97
	v_pk_mul_f32 v[96:97], v[98:99], v[88:89] op_sel:[0,1]
	v_pk_add_f32 v[6:7], v[6:7], v[100:101] neg_lo:[0,1] neg_hi:[0,1]
	s_delay_alu instid0(VALU_DEP_2) | instskip(SKIP_1) | instid1(VALU_DEP_1)
	v_pk_fma_f32 v[100:101], v[98:99], v[86:87], v[96:97] op_sel:[0,0,1] op_sel_hi:[1,1,0] neg_lo:[0,0,1] neg_hi:[0,0,1]
	v_pk_fma_f32 v[96:97], v[98:99], v[86:87], v[96:97] op_sel:[0,0,1] op_sel_hi:[1,0,0]
	v_mov_b32_e32 v101, v97
	ds_load_2addr_b64 v[96:99], v90 offset0:33 offset1:34
	v_pk_add_f32 v[32:33], v[32:33], v[100:101] neg_lo:[0,1] neg_hi:[0,1]
	s_wait_dscnt 0x0
	v_pk_mul_f32 v[100:101], v[96:97], v[88:89] op_sel:[0,1]
	s_delay_alu instid0(VALU_DEP_1) | instskip(SKIP_1) | instid1(VALU_DEP_1)
	v_pk_fma_f32 v[102:103], v[96:97], v[86:87], v[100:101] op_sel:[0,0,1] op_sel_hi:[1,1,0] neg_lo:[0,0,1] neg_hi:[0,0,1]
	v_pk_fma_f32 v[96:97], v[96:97], v[86:87], v[100:101] op_sel:[0,0,1] op_sel_hi:[1,0,0]
	v_mov_b32_e32 v103, v97
	v_pk_mul_f32 v[96:97], v[98:99], v[88:89] op_sel:[0,1]
	s_delay_alu instid0(VALU_DEP_2) | instskip(NEXT) | instid1(VALU_DEP_2)
	v_pk_add_f32 v[28:29], v[28:29], v[102:103] neg_lo:[0,1] neg_hi:[0,1]
	v_pk_fma_f32 v[100:101], v[98:99], v[86:87], v[96:97] op_sel:[0,0,1] op_sel_hi:[1,1,0] neg_lo:[0,0,1] neg_hi:[0,0,1]
	v_pk_fma_f32 v[96:97], v[98:99], v[86:87], v[96:97] op_sel:[0,0,1] op_sel_hi:[1,0,0]
	s_delay_alu instid0(VALU_DEP_1) | instskip(SKIP_4) | instid1(VALU_DEP_1)
	v_mov_b32_e32 v101, v97
	ds_load_2addr_b64 v[96:99], v90 offset0:35 offset1:36
	v_pk_add_f32 v[30:31], v[30:31], v[100:101] neg_lo:[0,1] neg_hi:[0,1]
	s_wait_dscnt 0x0
	v_pk_mul_f32 v[100:101], v[96:97], v[88:89] op_sel:[0,1]
	v_pk_fma_f32 v[102:103], v[96:97], v[86:87], v[100:101] op_sel:[0,0,1] op_sel_hi:[1,1,0] neg_lo:[0,0,1] neg_hi:[0,0,1]
	v_pk_fma_f32 v[96:97], v[96:97], v[86:87], v[100:101] op_sel:[0,0,1] op_sel_hi:[1,0,0]
	v_dual_mul_f32 v100, v99, v89 :: v_dual_mov_b32 v96, v99
	s_delay_alu instid0(VALU_DEP_2) | instskip(NEXT) | instid1(VALU_DEP_2)
	v_dual_mov_b32 v103, v97 :: v_dual_mov_b32 v97, v98
	v_pk_fma_f32 v[100:101], v[98:99], v[78:79], v[100:101] op_sel_hi:[1,1,0] neg_lo:[0,0,1] neg_hi:[0,0,1]
	v_mul_f32_e32 v98, v99, v86
	s_delay_alu instid0(VALU_DEP_3) | instskip(NEXT) | instid1(VALU_DEP_2)
	v_pk_add_f32 v[8:9], v[8:9], v[102:103] neg_lo:[0,1] neg_hi:[0,1]
	v_pk_fma_f32 v[96:97], v[96:97], v[78:79], v[98:99] op_sel_hi:[1,1,0]
	s_delay_alu instid0(VALU_DEP_1) | instskip(SKIP_4) | instid1(VALU_DEP_1)
	v_mov_b32_e32 v101, v97
	ds_load_2addr_b64 v[96:99], v90 offset0:37 offset1:38
	v_pk_add_f32 v[26:27], v[26:27], v[100:101] neg_lo:[0,1] neg_hi:[0,1]
	s_wait_dscnt 0x0
	v_pk_mul_f32 v[100:101], v[96:97], v[88:89] op_sel:[0,1]
	v_pk_fma_f32 v[102:103], v[96:97], v[86:87], v[100:101] op_sel:[0,0,1] op_sel_hi:[1,1,0] neg_lo:[0,0,1] neg_hi:[0,0,1]
	v_pk_fma_f32 v[96:97], v[96:97], v[86:87], v[100:101] op_sel:[0,0,1] op_sel_hi:[1,0,0]
	s_delay_alu instid0(VALU_DEP_1) | instskip(SKIP_1) | instid1(VALU_DEP_1)
	v_mov_b32_e32 v103, v97
	v_pk_mul_f32 v[96:97], v[98:99], v[88:89] op_sel:[0,1]
	v_pk_fma_f32 v[100:101], v[98:99], v[86:87], v[96:97] op_sel:[0,0,1] op_sel_hi:[1,1,0] neg_lo:[0,0,1] neg_hi:[0,0,1]
	v_pk_fma_f32 v[96:97], v[98:99], v[86:87], v[96:97] op_sel:[0,0,1] op_sel_hi:[1,0,0]
	s_delay_alu instid0(VALU_DEP_1)
	v_mov_b32_e32 v101, v97
	ds_load_b64 v[96:97], v90 offset:312
	v_pk_add_f32 v[20:21], v[20:21], v[102:103] neg_lo:[0,1] neg_hi:[0,1]
	v_pk_add_f32 v[18:19], v[18:19], v[100:101] neg_lo:[0,1] neg_hi:[0,1]
	s_wait_dscnt 0x0
	v_pk_mul_f32 v[88:89], v[96:97], v[88:89] op_sel:[0,1]
	s_delay_alu instid0(VALU_DEP_1) | instskip(SKIP_1) | instid1(VALU_DEP_1)
	v_pk_fma_f32 v[98:99], v[96:97], v[86:87], v[88:89] op_sel:[0,0,1] op_sel_hi:[1,1,0] neg_lo:[0,0,1] neg_hi:[0,0,1]
	v_pk_fma_f32 v[86:87], v[96:97], v[86:87], v[88:89] op_sel:[0,0,1] op_sel_hi:[1,0,0]
	v_mov_b32_e32 v99, v87
	s_delay_alu instid0(VALU_DEP_1)
	v_pk_add_f32 v[84:85], v[84:85], v[98:99] neg_lo:[0,1] neg_hi:[0,1]
.LBB78_62:
	s_or_b32 exec_lo, exec_lo, s0
	v_lshl_add_u32 v86, v94, 3, v90
	s_barrier_signal -1
	s_barrier_wait -1
	ds_store_b64 v86, v[76:77]
	s_wait_dscnt 0x0
	s_barrier_signal -1
	s_barrier_wait -1
	ds_load_b64 v[88:89], v90 offset:24
	v_mov_b32_e32 v86, 3
	s_cmp_lt_i32 s18, 5
	s_cbranch_scc1 .LBB78_65
; %bb.63:
	v_mov_b32_e32 v86, 3
	v_add3_u32 v87, v91, 0, 32
	s_mov_b32 s0, 4
.LBB78_64:                              ; =>This Inner Loop Header: Depth=1
	ds_load_b64 v[96:97], v87
	s_wait_dscnt 0x1
	v_cmp_gt_f32_e32 vcc_lo, 0, v88
	v_cndmask_b32_e64 v98, v88, -v88, vcc_lo
	v_cmp_gt_f32_e32 vcc_lo, 0, v89
	v_cndmask_b32_e64 v100, v89, -v89, vcc_lo
	s_wait_dscnt 0x0
	v_cmp_gt_f32_e32 vcc_lo, 0, v96
	v_cndmask_b32_e64 v99, v96, -v96, vcc_lo
	v_cmp_gt_f32_e32 vcc_lo, 0, v97
	v_cndmask_b32_e64 v101, v97, -v97, vcc_lo
	s_delay_alu instid0(VALU_DEP_1) | instskip(NEXT) | instid1(VALU_DEP_1)
	v_pk_add_f32 v[98:99], v[98:99], v[100:101]
	v_cmp_lt_f32_e32 vcc_lo, v98, v99
	v_dual_add_nc_u32 v87, 8, v87 :: v_dual_cndmask_b32 v89, v89, v97, vcc_lo
	v_cndmask_b32_e32 v88, v88, v96, vcc_lo
	v_cndmask_b32_e64 v86, v86, s0, vcc_lo
	s_add_co_i32 s0, s0, 1
	s_delay_alu instid0(SALU_CYCLE_1)
	s_cmp_lg_u32 s18, s0
	s_cbranch_scc1 .LBB78_64
.LBB78_65:
	s_wait_dscnt 0x0
	v_cmp_eq_f32_e32 vcc_lo, 0, v88
	v_cmp_eq_f32_e64 s0, 0, v89
	s_and_b32 s0, vcc_lo, s0
	s_delay_alu instid0(SALU_CYCLE_1) | instskip(NEXT) | instid1(SALU_CYCLE_1)
	s_and_saveexec_b32 s1, s0
	s_xor_b32 s0, exec_lo, s1
; %bb.66:
	v_cmp_ne_u32_e32 vcc_lo, 0, v92
	v_cndmask_b32_e32 v92, 4, v92, vcc_lo
; %bb.67:
	s_and_not1_saveexec_b32 s0, s0
	s_cbranch_execz .LBB78_73
; %bb.68:
	v_cmp_ngt_f32_e64 s1, |v88|, |v89|
	s_and_saveexec_b32 s12, s1
	s_delay_alu instid0(SALU_CYCLE_1)
	s_xor_b32 s1, exec_lo, s12
	s_cbranch_execz .LBB78_70
; %bb.69:
	v_div_scale_f32 v87, null, v89, v89, v88
	v_div_scale_f32 v97, vcc_lo, v88, v89, v88
	s_delay_alu instid0(VALU_DEP_2) | instskip(SKIP_1) | instid1(TRANS32_DEP_1)
	v_rcp_f32_e32 v95, v87
	v_nop
	v_fma_f32 v96, -v87, v95, 1.0
	s_delay_alu instid0(VALU_DEP_1) | instskip(NEXT) | instid1(VALU_DEP_1)
	v_fmac_f32_e32 v95, v96, v95
	v_mul_f32_e32 v96, v97, v95
	s_delay_alu instid0(VALU_DEP_1) | instskip(NEXT) | instid1(VALU_DEP_1)
	v_fma_f32 v98, -v87, v96, v97
	v_fmac_f32_e32 v96, v98, v95
	s_delay_alu instid0(VALU_DEP_1) | instskip(NEXT) | instid1(VALU_DEP_1)
	v_fma_f32 v87, -v87, v96, v97
	v_div_fmas_f32 v87, v87, v95, v96
	s_delay_alu instid0(VALU_DEP_1) | instskip(NEXT) | instid1(VALU_DEP_1)
	v_div_fixup_f32 v87, v87, v89, v88
	v_fmac_f32_e32 v89, v88, v87
	s_delay_alu instid0(VALU_DEP_1) | instskip(SKIP_1) | instid1(VALU_DEP_2)
	v_div_scale_f32 v88, null, v89, v89, 1.0
	v_div_scale_f32 v97, vcc_lo, 1.0, v89, 1.0
	v_rcp_f32_e32 v95, v88
	v_nop
	s_delay_alu instid0(TRANS32_DEP_1) | instskip(NEXT) | instid1(VALU_DEP_1)
	v_fma_f32 v96, -v88, v95, 1.0
	v_fmac_f32_e32 v95, v96, v95
	s_delay_alu instid0(VALU_DEP_1) | instskip(NEXT) | instid1(VALU_DEP_1)
	v_mul_f32_e32 v96, v97, v95
	v_fma_f32 v98, -v88, v96, v97
	s_delay_alu instid0(VALU_DEP_1) | instskip(NEXT) | instid1(VALU_DEP_1)
	v_fmac_f32_e32 v96, v98, v95
	v_fma_f32 v88, -v88, v96, v97
	s_delay_alu instid0(VALU_DEP_1) | instskip(NEXT) | instid1(VALU_DEP_1)
	v_div_fmas_f32 v88, v88, v95, v96
	v_div_fixup_f32 v89, v88, v89, 1.0
	s_delay_alu instid0(VALU_DEP_1)
	v_mul_f32_e32 v88, v87, v89
	v_xor_b32_e32 v89, 0x80000000, v89
.LBB78_70:
	s_and_not1_saveexec_b32 s1, s1
	s_cbranch_execz .LBB78_72
; %bb.71:
	s_delay_alu instid0(VALU_DEP_1) | instskip(SKIP_1) | instid1(VALU_DEP_2)
	v_div_scale_f32 v87, null, v88, v88, v89
	v_div_scale_f32 v97, vcc_lo, v89, v88, v89
	v_rcp_f32_e32 v95, v87
	v_nop
	s_delay_alu instid0(TRANS32_DEP_1) | instskip(NEXT) | instid1(VALU_DEP_1)
	v_fma_f32 v96, -v87, v95, 1.0
	v_fmac_f32_e32 v95, v96, v95
	s_delay_alu instid0(VALU_DEP_1) | instskip(NEXT) | instid1(VALU_DEP_1)
	v_mul_f32_e32 v96, v97, v95
	v_fma_f32 v98, -v87, v96, v97
	s_delay_alu instid0(VALU_DEP_1) | instskip(NEXT) | instid1(VALU_DEP_1)
	v_fmac_f32_e32 v96, v98, v95
	v_fma_f32 v87, -v87, v96, v97
	s_delay_alu instid0(VALU_DEP_1) | instskip(NEXT) | instid1(VALU_DEP_1)
	v_div_fmas_f32 v87, v87, v95, v96
	v_div_fixup_f32 v87, v87, v88, v89
	s_delay_alu instid0(VALU_DEP_1) | instskip(NEXT) | instid1(VALU_DEP_1)
	v_fmac_f32_e32 v88, v89, v87
	v_div_scale_f32 v89, null, v88, v88, 1.0
	s_delay_alu instid0(VALU_DEP_1) | instskip(SKIP_1) | instid1(TRANS32_DEP_1)
	v_rcp_f32_e32 v95, v89
	v_nop
	v_fma_f32 v96, -v89, v95, 1.0
	s_delay_alu instid0(VALU_DEP_1) | instskip(SKIP_1) | instid1(VALU_DEP_1)
	v_fmac_f32_e32 v95, v96, v95
	v_div_scale_f32 v96, vcc_lo, 1.0, v88, 1.0
	v_mul_f32_e32 v97, v96, v95
	s_delay_alu instid0(VALU_DEP_1) | instskip(NEXT) | instid1(VALU_DEP_1)
	v_fma_f32 v98, -v89, v97, v96
	v_fmac_f32_e32 v97, v98, v95
	s_delay_alu instid0(VALU_DEP_1) | instskip(NEXT) | instid1(VALU_DEP_1)
	v_fma_f32 v89, -v89, v97, v96
	v_div_fmas_f32 v89, v89, v95, v97
	s_delay_alu instid0(VALU_DEP_1) | instskip(NEXT) | instid1(VALU_DEP_1)
	v_div_fixup_f32 v88, v89, v88, 1.0
	v_mul_f32_e64 v89, v87, -v88
.LBB78_72:
	s_or_b32 exec_lo, exec_lo, s1
.LBB78_73:
	s_delay_alu instid0(SALU_CYCLE_1) | instskip(NEXT) | instid1(SALU_CYCLE_1)
	s_or_b32 exec_lo, exec_lo, s0
	s_mov_b32 s0, exec_lo
	v_cmpx_ne_u32_e64 v94, v86
	s_xor_b32 s0, exec_lo, s0
	s_cbranch_execz .LBB78_79
; %bb.74:
	s_mov_b32 s1, exec_lo
	v_cmpx_eq_u32_e32 3, v94
	s_cbranch_execz .LBB78_78
; %bb.75:
	v_cmp_ne_u32_e32 vcc_lo, 3, v86
	s_xor_b32 s12, s16, -1
	s_delay_alu instid0(SALU_CYCLE_1) | instskip(NEXT) | instid1(SALU_CYCLE_1)
	s_and_b32 s13, s12, vcc_lo
	s_and_saveexec_b32 s12, s13
	s_cbranch_execz .LBB78_77
; %bb.76:
	v_ashrrev_i32_e32 v87, 31, v86
	s_delay_alu instid0(VALU_DEP_1)
	v_lshl_add_u64 v[94:95], v[86:87], 2, v[4:5]
	s_clause 0x1
	global_load_b32 v87, v[94:95], off
	global_load_b32 v93, v[4:5], off offset:12
	s_wait_loadcnt 0x1
	global_store_b32 v[4:5], v87, off offset:12
	s_wait_loadcnt 0x0
	global_store_b32 v[94:95], v93, off
.LBB78_77:
	s_wait_xcnt 0x0
	s_or_b32 exec_lo, exec_lo, s12
	v_dual_mov_b32 v94, v86 :: v_dual_mov_b32 v93, v86
.LBB78_78:
	s_or_b32 exec_lo, exec_lo, s1
.LBB78_79:
	s_and_not1_saveexec_b32 s0, s0
	s_cbranch_execz .LBB78_81
; %bb.80:
	v_dual_mov_b32 v86, v44 :: v_dual_mov_b32 v87, v45
	v_dual_mov_b32 v94, v40 :: v_dual_mov_b32 v95, v41
	ds_store_2addr_b64 v90, v[86:87], v[94:95] offset0:4 offset1:5
	v_dual_mov_b32 v86, v42 :: v_dual_mov_b32 v87, v43
	v_dual_mov_b32 v94, v10 :: v_dual_mov_b32 v95, v11
	ds_store_2addr_b64 v90, v[86:87], v[94:95] offset0:6 offset1:7
	;; [unrolled: 3-line block ×17, first 2 shown]
	v_dual_mov_b32 v86, v18 :: v_dual_mov_b32 v87, v19
	v_mov_b32_e32 v94, 3
	ds_store_2addr_b64 v90, v[86:87], v[84:85] offset0:38 offset1:39
.LBB78_81:
	s_or_b32 exec_lo, exec_lo, s0
	s_delay_alu instid0(SALU_CYCLE_1)
	s_mov_b32 s0, exec_lo
	s_wait_storecnt_dscnt 0x0
	s_barrier_signal -1
	s_barrier_wait -1
	v_cmpx_lt_i32_e32 3, v94
	s_cbranch_execz .LBB78_83
; %bb.82:
	v_pk_mul_f32 v[96:97], v[88:89], v[76:77] op_sel:[1,1] op_sel_hi:[0,1]
	s_delay_alu instid0(VALU_DEP_1)
	v_pk_fma_f32 v[86:87], v[88:89], v[76:77], v[96:97] op_sel_hi:[1,0,1] neg_lo:[0,0,1] neg_hi:[0,0,1]
	v_pk_fma_f32 v[88:89], v[88:89], v[76:77], v[96:97] op_sel_hi:[1,0,1]
	ds_load_2addr_b64 v[96:99], v90 offset0:4 offset1:5
	v_dual_mov_b32 v76, v86 :: v_dual_mov_b32 v77, v89
	s_wait_dscnt 0x0
	v_pk_mul_f32 v[100:101], v[96:97], v[88:89] op_sel:[0,1]
	s_delay_alu instid0(VALU_DEP_1) | instskip(SKIP_1) | instid1(VALU_DEP_1)
	v_pk_fma_f32 v[102:103], v[96:97], v[86:87], v[100:101] op_sel:[0,0,1] op_sel_hi:[1,1,0] neg_lo:[0,0,1] neg_hi:[0,0,1]
	v_pk_fma_f32 v[96:97], v[96:97], v[86:87], v[100:101] op_sel:[0,0,1] op_sel_hi:[1,0,0]
	v_mov_b32_e32 v103, v97
	v_pk_mul_f32 v[96:97], v[98:99], v[88:89] op_sel:[0,1]
	s_delay_alu instid0(VALU_DEP_1) | instskip(SKIP_1) | instid1(VALU_DEP_1)
	v_pk_fma_f32 v[100:101], v[98:99], v[86:87], v[96:97] op_sel:[0,0,1] op_sel_hi:[1,1,0] neg_lo:[0,0,1] neg_hi:[0,0,1]
	v_pk_fma_f32 v[96:97], v[98:99], v[86:87], v[96:97] op_sel:[0,0,1] op_sel_hi:[1,0,0]
	v_mov_b32_e32 v101, v97
	ds_load_2addr_b64 v[96:99], v90 offset0:6 offset1:7
	v_pk_add_f32 v[44:45], v[44:45], v[102:103] neg_lo:[0,1] neg_hi:[0,1]
	v_pk_add_f32 v[40:41], v[40:41], v[100:101] neg_lo:[0,1] neg_hi:[0,1]
	s_wait_dscnt 0x0
	v_pk_mul_f32 v[100:101], v[96:97], v[88:89] op_sel:[0,1]
	s_delay_alu instid0(VALU_DEP_1) | instskip(SKIP_2) | instid1(VALU_DEP_2)
	v_pk_fma_f32 v[102:103], v[96:97], v[86:87], v[100:101] op_sel:[0,0,1] op_sel_hi:[1,1,0] neg_lo:[0,0,1] neg_hi:[0,0,1]
	v_pk_fma_f32 v[96:97], v[96:97], v[86:87], v[100:101] op_sel:[0,0,1] op_sel_hi:[1,0,0]
	v_dual_mul_f32 v100, v99, v89 :: v_dual_mov_b32 v96, v99
	v_dual_mov_b32 v103, v97 :: v_dual_mov_b32 v97, v98
	s_delay_alu instid0(VALU_DEP_2) | instskip(SKIP_1) | instid1(VALU_DEP_3)
	v_pk_fma_f32 v[100:101], v[98:99], v[76:77], v[100:101] op_sel_hi:[1,1,0] neg_lo:[0,0,1] neg_hi:[0,0,1]
	v_mul_f32_e32 v98, v99, v86
	v_pk_add_f32 v[42:43], v[42:43], v[102:103] neg_lo:[0,1] neg_hi:[0,1]
	s_delay_alu instid0(VALU_DEP_2) | instskip(NEXT) | instid1(VALU_DEP_1)
	v_pk_fma_f32 v[96:97], v[96:97], v[76:77], v[98:99] op_sel_hi:[1,1,0]
	v_mov_b32_e32 v101, v97
	ds_load_2addr_b64 v[96:99], v90 offset0:8 offset1:9
	v_pk_add_f32 v[10:11], v[10:11], v[100:101] neg_lo:[0,1] neg_hi:[0,1]
	s_wait_dscnt 0x0
	v_pk_mul_f32 v[100:101], v[96:97], v[88:89] op_sel:[0,1]
	s_delay_alu instid0(VALU_DEP_1) | instskip(SKIP_1) | instid1(VALU_DEP_1)
	v_pk_fma_f32 v[102:103], v[96:97], v[86:87], v[100:101] op_sel:[0,0,1] op_sel_hi:[1,1,0] neg_lo:[0,0,1] neg_hi:[0,0,1]
	v_pk_fma_f32 v[96:97], v[96:97], v[86:87], v[100:101] op_sel:[0,0,1] op_sel_hi:[1,0,0]
	v_mov_b32_e32 v103, v97
	v_pk_mul_f32 v[96:97], v[98:99], v[88:89] op_sel:[0,1]
	s_delay_alu instid0(VALU_DEP_1) | instskip(SKIP_1) | instid1(VALU_DEP_1)
	v_pk_fma_f32 v[100:101], v[98:99], v[86:87], v[96:97] op_sel:[0,0,1] op_sel_hi:[1,1,0] neg_lo:[0,0,1] neg_hi:[0,0,1]
	v_pk_fma_f32 v[96:97], v[98:99], v[86:87], v[96:97] op_sel:[0,0,1] op_sel_hi:[1,0,0]
	v_mov_b32_e32 v101, v97
	ds_load_2addr_b64 v[96:99], v90 offset0:10 offset1:11
	v_pk_add_f32 v[50:51], v[50:51], v[102:103] neg_lo:[0,1] neg_hi:[0,1]
	v_pk_add_f32 v[46:47], v[46:47], v[100:101] neg_lo:[0,1] neg_hi:[0,1]
	s_wait_dscnt 0x0
	v_pk_mul_f32 v[100:101], v[96:97], v[88:89] op_sel:[0,1]
	s_delay_alu instid0(VALU_DEP_1) | instskip(SKIP_1) | instid1(VALU_DEP_1)
	v_pk_fma_f32 v[102:103], v[96:97], v[86:87], v[100:101] op_sel:[0,0,1] op_sel_hi:[1,1,0] neg_lo:[0,0,1] neg_hi:[0,0,1]
	v_pk_fma_f32 v[96:97], v[96:97], v[86:87], v[100:101] op_sel:[0,0,1] op_sel_hi:[1,0,0]
	v_mov_b32_e32 v103, v97
	v_pk_mul_f32 v[96:97], v[98:99], v[88:89] op_sel:[0,1]
	s_delay_alu instid0(VALU_DEP_1) | instskip(SKIP_1) | instid1(VALU_DEP_1)
	v_pk_fma_f32 v[100:101], v[98:99], v[86:87], v[96:97] op_sel:[0,0,1] op_sel_hi:[1,1,0] neg_lo:[0,0,1] neg_hi:[0,0,1]
	v_pk_fma_f32 v[96:97], v[98:99], v[86:87], v[96:97] op_sel:[0,0,1] op_sel_hi:[1,0,0]
	v_mov_b32_e32 v101, v97
	ds_load_2addr_b64 v[96:99], v90 offset0:12 offset1:13
	v_pk_add_f32 v[48:49], v[48:49], v[102:103] neg_lo:[0,1] neg_hi:[0,1]
	v_pk_add_f32 v[12:13], v[12:13], v[100:101] neg_lo:[0,1] neg_hi:[0,1]
	s_wait_dscnt 0x0
	v_dual_mul_f32 v100, v97, v89 :: v_dual_mul_f32 v102, v97, v86
	s_delay_alu instid0(VALU_DEP_1) | instskip(NEXT) | instid1(VALU_DEP_2)
	v_pk_fma_f32 v[100:101], v[96:97], v[76:77], v[100:101] op_sel_hi:[1,1,0] neg_lo:[0,0,1] neg_hi:[0,0,1]
	v_pk_fma_f32 v[96:97], v[96:97], v[76:77], v[102:103] op_sel:[1,0,0] op_sel_hi:[0,1,0]
	s_delay_alu instid0(VALU_DEP_1) | instskip(SKIP_1) | instid1(VALU_DEP_2)
	v_mov_b32_e32 v101, v97
	v_pk_mul_f32 v[96:97], v[98:99], v[88:89] op_sel:[0,1]
	v_pk_add_f32 v[74:75], v[74:75], v[100:101] neg_lo:[0,1] neg_hi:[0,1]
	s_delay_alu instid0(VALU_DEP_2) | instskip(SKIP_1) | instid1(VALU_DEP_1)
	v_pk_fma_f32 v[100:101], v[98:99], v[86:87], v[96:97] op_sel:[0,0,1] op_sel_hi:[1,1,0] neg_lo:[0,0,1] neg_hi:[0,0,1]
	v_pk_fma_f32 v[96:97], v[98:99], v[86:87], v[96:97] op_sel:[0,0,1] op_sel_hi:[1,0,0]
	v_mov_b32_e32 v101, v97
	ds_load_2addr_b64 v[96:99], v90 offset0:14 offset1:15
	v_pk_add_f32 v[70:71], v[70:71], v[100:101] neg_lo:[0,1] neg_hi:[0,1]
	s_wait_dscnt 0x0
	v_pk_mul_f32 v[100:101], v[96:97], v[88:89] op_sel:[0,1]
	s_delay_alu instid0(VALU_DEP_1) | instskip(SKIP_1) | instid1(VALU_DEP_1)
	v_pk_fma_f32 v[102:103], v[96:97], v[86:87], v[100:101] op_sel:[0,0,1] op_sel_hi:[1,1,0] neg_lo:[0,0,1] neg_hi:[0,0,1]
	v_pk_fma_f32 v[96:97], v[96:97], v[86:87], v[100:101] op_sel:[0,0,1] op_sel_hi:[1,0,0]
	v_mov_b32_e32 v103, v97
	v_pk_mul_f32 v[96:97], v[98:99], v[88:89] op_sel:[0,1]
	s_delay_alu instid0(VALU_DEP_2) | instskip(NEXT) | instid1(VALU_DEP_2)
	v_pk_add_f32 v[72:73], v[72:73], v[102:103] neg_lo:[0,1] neg_hi:[0,1]
	v_pk_fma_f32 v[100:101], v[98:99], v[86:87], v[96:97] op_sel:[0,0,1] op_sel_hi:[1,1,0] neg_lo:[0,0,1] neg_hi:[0,0,1]
	v_pk_fma_f32 v[96:97], v[98:99], v[86:87], v[96:97] op_sel:[0,0,1] op_sel_hi:[1,0,0]
	s_delay_alu instid0(VALU_DEP_1) | instskip(SKIP_4) | instid1(VALU_DEP_1)
	v_mov_b32_e32 v101, v97
	ds_load_2addr_b64 v[96:99], v90 offset0:16 offset1:17
	v_pk_add_f32 v[24:25], v[24:25], v[100:101] neg_lo:[0,1] neg_hi:[0,1]
	s_wait_dscnt 0x0
	v_pk_mul_f32 v[100:101], v[96:97], v[88:89] op_sel:[0,1]
	v_pk_fma_f32 v[102:103], v[96:97], v[86:87], v[100:101] op_sel:[0,0,1] op_sel_hi:[1,1,0] neg_lo:[0,0,1] neg_hi:[0,0,1]
	v_pk_fma_f32 v[96:97], v[96:97], v[86:87], v[100:101] op_sel:[0,0,1] op_sel_hi:[1,0,0]
	v_dual_mul_f32 v100, v99, v89 :: v_dual_mov_b32 v96, v99
	s_delay_alu instid0(VALU_DEP_2) | instskip(NEXT) | instid1(VALU_DEP_2)
	v_dual_mov_b32 v103, v97 :: v_dual_mov_b32 v97, v98
	v_pk_fma_f32 v[100:101], v[98:99], v[76:77], v[100:101] op_sel_hi:[1,1,0] neg_lo:[0,0,1] neg_hi:[0,0,1]
	v_mul_f32_e32 v98, v99, v86
	s_delay_alu instid0(VALU_DEP_3) | instskip(NEXT) | instid1(VALU_DEP_2)
	v_pk_add_f32 v[68:69], v[68:69], v[102:103] neg_lo:[0,1] neg_hi:[0,1]
	v_pk_fma_f32 v[96:97], v[96:97], v[76:77], v[98:99] op_sel_hi:[1,1,0]
	s_delay_alu instid0(VALU_DEP_1) | instskip(SKIP_4) | instid1(VALU_DEP_1)
	v_mov_b32_e32 v101, v97
	ds_load_2addr_b64 v[96:99], v90 offset0:18 offset1:19
	v_pk_add_f32 v[64:65], v[64:65], v[100:101] neg_lo:[0,1] neg_hi:[0,1]
	s_wait_dscnt 0x0
	v_pk_mul_f32 v[100:101], v[96:97], v[88:89] op_sel:[0,1]
	v_pk_fma_f32 v[102:103], v[96:97], v[86:87], v[100:101] op_sel:[0,0,1] op_sel_hi:[1,1,0] neg_lo:[0,0,1] neg_hi:[0,0,1]
	v_pk_fma_f32 v[96:97], v[96:97], v[86:87], v[100:101] op_sel:[0,0,1] op_sel_hi:[1,0,0]
	s_delay_alu instid0(VALU_DEP_1) | instskip(SKIP_1) | instid1(VALU_DEP_1)
	v_mov_b32_e32 v103, v97
	v_pk_mul_f32 v[96:97], v[98:99], v[88:89] op_sel:[0,1]
	v_pk_fma_f32 v[100:101], v[98:99], v[86:87], v[96:97] op_sel:[0,0,1] op_sel_hi:[1,1,0] neg_lo:[0,0,1] neg_hi:[0,0,1]
	v_pk_fma_f32 v[96:97], v[98:99], v[86:87], v[96:97] op_sel:[0,0,1] op_sel_hi:[1,0,0]
	s_delay_alu instid0(VALU_DEP_1)
	v_mov_b32_e32 v101, v97
	ds_load_2addr_b64 v[96:99], v90 offset0:20 offset1:21
	v_pk_add_f32 v[66:67], v[66:67], v[102:103] neg_lo:[0,1] neg_hi:[0,1]
	v_pk_add_f32 v[22:23], v[22:23], v[100:101] neg_lo:[0,1] neg_hi:[0,1]
	s_wait_dscnt 0x0
	v_pk_mul_f32 v[100:101], v[96:97], v[88:89] op_sel:[0,1]
	s_delay_alu instid0(VALU_DEP_1) | instskip(SKIP_1) | instid1(VALU_DEP_1)
	v_pk_fma_f32 v[102:103], v[96:97], v[86:87], v[100:101] op_sel:[0,0,1] op_sel_hi:[1,1,0] neg_lo:[0,0,1] neg_hi:[0,0,1]
	v_pk_fma_f32 v[96:97], v[96:97], v[86:87], v[100:101] op_sel:[0,0,1] op_sel_hi:[1,0,0]
	v_mov_b32_e32 v103, v97
	v_pk_mul_f32 v[96:97], v[98:99], v[88:89] op_sel:[0,1]
	s_delay_alu instid0(VALU_DEP_1) | instskip(SKIP_1) | instid1(VALU_DEP_1)
	v_pk_fma_f32 v[100:101], v[98:99], v[86:87], v[96:97] op_sel:[0,0,1] op_sel_hi:[1,1,0] neg_lo:[0,0,1] neg_hi:[0,0,1]
	v_pk_fma_f32 v[96:97], v[98:99], v[86:87], v[96:97] op_sel:[0,0,1] op_sel_hi:[1,0,0]
	v_mov_b32_e32 v101, v97
	ds_load_2addr_b64 v[96:99], v90 offset0:22 offset1:23
	v_pk_add_f32 v[62:63], v[62:63], v[102:103] neg_lo:[0,1] neg_hi:[0,1]
	v_pk_add_f32 v[58:59], v[58:59], v[100:101] neg_lo:[0,1] neg_hi:[0,1]
	s_wait_dscnt 0x0
	v_dual_mul_f32 v100, v97, v89 :: v_dual_mul_f32 v102, v97, v86
	s_delay_alu instid0(VALU_DEP_1) | instskip(NEXT) | instid1(VALU_DEP_2)
	v_pk_fma_f32 v[100:101], v[96:97], v[76:77], v[100:101] op_sel_hi:[1,1,0] neg_lo:[0,0,1] neg_hi:[0,0,1]
	v_pk_fma_f32 v[96:97], v[96:97], v[76:77], v[102:103] op_sel:[1,0,0] op_sel_hi:[0,1,0]
	s_delay_alu instid0(VALU_DEP_1) | instskip(SKIP_1) | instid1(VALU_DEP_2)
	v_mov_b32_e32 v101, v97
	v_pk_mul_f32 v[96:97], v[98:99], v[88:89] op_sel:[0,1]
	v_pk_add_f32 v[60:61], v[60:61], v[100:101] neg_lo:[0,1] neg_hi:[0,1]
	s_delay_alu instid0(VALU_DEP_2) | instskip(SKIP_1) | instid1(VALU_DEP_1)
	v_pk_fma_f32 v[100:101], v[98:99], v[86:87], v[96:97] op_sel:[0,0,1] op_sel_hi:[1,1,0] neg_lo:[0,0,1] neg_hi:[0,0,1]
	v_pk_fma_f32 v[96:97], v[98:99], v[86:87], v[96:97] op_sel:[0,0,1] op_sel_hi:[1,0,0]
	v_mov_b32_e32 v101, v97
	ds_load_2addr_b64 v[96:99], v90 offset0:24 offset1:25
	v_pk_add_f32 v[16:17], v[16:17], v[100:101] neg_lo:[0,1] neg_hi:[0,1]
	s_wait_dscnt 0x0
	v_pk_mul_f32 v[100:101], v[96:97], v[88:89] op_sel:[0,1]
	s_delay_alu instid0(VALU_DEP_1) | instskip(SKIP_1) | instid1(VALU_DEP_1)
	v_pk_fma_f32 v[102:103], v[96:97], v[86:87], v[100:101] op_sel:[0,0,1] op_sel_hi:[1,1,0] neg_lo:[0,0,1] neg_hi:[0,0,1]
	v_pk_fma_f32 v[96:97], v[96:97], v[86:87], v[100:101] op_sel:[0,0,1] op_sel_hi:[1,0,0]
	v_mov_b32_e32 v103, v97
	v_pk_mul_f32 v[96:97], v[98:99], v[88:89] op_sel:[0,1]
	s_delay_alu instid0(VALU_DEP_2) | instskip(NEXT) | instid1(VALU_DEP_2)
	v_pk_add_f32 v[56:57], v[56:57], v[102:103] neg_lo:[0,1] neg_hi:[0,1]
	v_pk_fma_f32 v[100:101], v[98:99], v[86:87], v[96:97] op_sel:[0,0,1] op_sel_hi:[1,1,0] neg_lo:[0,0,1] neg_hi:[0,0,1]
	v_pk_fma_f32 v[96:97], v[98:99], v[86:87], v[96:97] op_sel:[0,0,1] op_sel_hi:[1,0,0]
	s_delay_alu instid0(VALU_DEP_1) | instskip(SKIP_4) | instid1(VALU_DEP_1)
	v_mov_b32_e32 v101, v97
	ds_load_2addr_b64 v[96:99], v90 offset0:26 offset1:27
	v_pk_add_f32 v[52:53], v[52:53], v[100:101] neg_lo:[0,1] neg_hi:[0,1]
	s_wait_dscnt 0x0
	v_pk_mul_f32 v[100:101], v[96:97], v[88:89] op_sel:[0,1]
	v_pk_fma_f32 v[102:103], v[96:97], v[86:87], v[100:101] op_sel:[0,0,1] op_sel_hi:[1,1,0] neg_lo:[0,0,1] neg_hi:[0,0,1]
	v_pk_fma_f32 v[96:97], v[96:97], v[86:87], v[100:101] op_sel:[0,0,1] op_sel_hi:[1,0,0]
	v_dual_mul_f32 v100, v99, v89 :: v_dual_mov_b32 v96, v99
	s_delay_alu instid0(VALU_DEP_2) | instskip(NEXT) | instid1(VALU_DEP_2)
	v_dual_mov_b32 v103, v97 :: v_dual_mov_b32 v97, v98
	v_pk_fma_f32 v[100:101], v[98:99], v[76:77], v[100:101] op_sel_hi:[1,1,0] neg_lo:[0,0,1] neg_hi:[0,0,1]
	v_mul_f32_e32 v98, v99, v86
	s_delay_alu instid0(VALU_DEP_3) | instskip(NEXT) | instid1(VALU_DEP_2)
	v_pk_add_f32 v[54:55], v[54:55], v[102:103] neg_lo:[0,1] neg_hi:[0,1]
	v_pk_fma_f32 v[96:97], v[96:97], v[76:77], v[98:99] op_sel_hi:[1,1,0]
	s_delay_alu instid0(VALU_DEP_1) | instskip(SKIP_4) | instid1(VALU_DEP_1)
	v_mov_b32_e32 v101, v97
	ds_load_2addr_b64 v[96:99], v90 offset0:28 offset1:29
	v_pk_add_f32 v[14:15], v[14:15], v[100:101] neg_lo:[0,1] neg_hi:[0,1]
	s_wait_dscnt 0x0
	v_pk_mul_f32 v[100:101], v[96:97], v[88:89] op_sel:[0,1]
	v_pk_fma_f32 v[102:103], v[96:97], v[86:87], v[100:101] op_sel:[0,0,1] op_sel_hi:[1,1,0] neg_lo:[0,0,1] neg_hi:[0,0,1]
	v_pk_fma_f32 v[96:97], v[96:97], v[86:87], v[100:101] op_sel:[0,0,1] op_sel_hi:[1,0,0]
	s_delay_alu instid0(VALU_DEP_1) | instskip(SKIP_1) | instid1(VALU_DEP_1)
	v_mov_b32_e32 v103, v97
	v_pk_mul_f32 v[96:97], v[98:99], v[88:89] op_sel:[0,1]
	v_pk_fma_f32 v[100:101], v[98:99], v[86:87], v[96:97] op_sel:[0,0,1] op_sel_hi:[1,1,0] neg_lo:[0,0,1] neg_hi:[0,0,1]
	v_pk_fma_f32 v[96:97], v[98:99], v[86:87], v[96:97] op_sel:[0,0,1] op_sel_hi:[1,0,0]
	s_delay_alu instid0(VALU_DEP_1)
	v_mov_b32_e32 v101, v97
	ds_load_2addr_b64 v[96:99], v90 offset0:30 offset1:31
	v_pk_add_f32 v[38:39], v[38:39], v[102:103] neg_lo:[0,1] neg_hi:[0,1]
	v_pk_add_f32 v[34:35], v[34:35], v[100:101] neg_lo:[0,1] neg_hi:[0,1]
	s_wait_dscnt 0x0
	v_pk_mul_f32 v[100:101], v[96:97], v[88:89] op_sel:[0,1]
	s_delay_alu instid0(VALU_DEP_1) | instskip(SKIP_1) | instid1(VALU_DEP_1)
	v_pk_fma_f32 v[102:103], v[96:97], v[86:87], v[100:101] op_sel:[0,0,1] op_sel_hi:[1,1,0] neg_lo:[0,0,1] neg_hi:[0,0,1]
	v_pk_fma_f32 v[96:97], v[96:97], v[86:87], v[100:101] op_sel:[0,0,1] op_sel_hi:[1,0,0]
	v_mov_b32_e32 v103, v97
	v_pk_mul_f32 v[96:97], v[98:99], v[88:89] op_sel:[0,1]
	s_delay_alu instid0(VALU_DEP_1) | instskip(SKIP_1) | instid1(VALU_DEP_1)
	v_pk_fma_f32 v[100:101], v[98:99], v[86:87], v[96:97] op_sel:[0,0,1] op_sel_hi:[1,1,0] neg_lo:[0,0,1] neg_hi:[0,0,1]
	v_pk_fma_f32 v[96:97], v[98:99], v[86:87], v[96:97] op_sel:[0,0,1] op_sel_hi:[1,0,0]
	v_mov_b32_e32 v101, v97
	ds_load_2addr_b64 v[96:99], v90 offset0:32 offset1:33
	v_pk_add_f32 v[36:37], v[36:37], v[102:103] neg_lo:[0,1] neg_hi:[0,1]
	v_pk_add_f32 v[6:7], v[6:7], v[100:101] neg_lo:[0,1] neg_hi:[0,1]
	s_wait_dscnt 0x0
	v_dual_mul_f32 v100, v97, v89 :: v_dual_mul_f32 v102, v97, v86
	s_delay_alu instid0(VALU_DEP_1) | instskip(NEXT) | instid1(VALU_DEP_2)
	v_pk_fma_f32 v[100:101], v[96:97], v[76:77], v[100:101] op_sel_hi:[1,1,0] neg_lo:[0,0,1] neg_hi:[0,0,1]
	v_pk_fma_f32 v[96:97], v[96:97], v[76:77], v[102:103] op_sel:[1,0,0] op_sel_hi:[0,1,0]
	s_delay_alu instid0(VALU_DEP_1) | instskip(SKIP_1) | instid1(VALU_DEP_2)
	v_mov_b32_e32 v101, v97
	v_pk_mul_f32 v[96:97], v[98:99], v[88:89] op_sel:[0,1]
	v_pk_add_f32 v[32:33], v[32:33], v[100:101] neg_lo:[0,1] neg_hi:[0,1]
	s_delay_alu instid0(VALU_DEP_2) | instskip(SKIP_1) | instid1(VALU_DEP_1)
	v_pk_fma_f32 v[100:101], v[98:99], v[86:87], v[96:97] op_sel:[0,0,1] op_sel_hi:[1,1,0] neg_lo:[0,0,1] neg_hi:[0,0,1]
	v_pk_fma_f32 v[96:97], v[98:99], v[86:87], v[96:97] op_sel:[0,0,1] op_sel_hi:[1,0,0]
	v_mov_b32_e32 v101, v97
	ds_load_2addr_b64 v[96:99], v90 offset0:34 offset1:35
	v_pk_add_f32 v[28:29], v[28:29], v[100:101] neg_lo:[0,1] neg_hi:[0,1]
	s_wait_dscnt 0x0
	v_pk_mul_f32 v[100:101], v[96:97], v[88:89] op_sel:[0,1]
	s_delay_alu instid0(VALU_DEP_1) | instskip(SKIP_1) | instid1(VALU_DEP_1)
	v_pk_fma_f32 v[102:103], v[96:97], v[86:87], v[100:101] op_sel:[0,0,1] op_sel_hi:[1,1,0] neg_lo:[0,0,1] neg_hi:[0,0,1]
	v_pk_fma_f32 v[96:97], v[96:97], v[86:87], v[100:101] op_sel:[0,0,1] op_sel_hi:[1,0,0]
	v_mov_b32_e32 v103, v97
	v_pk_mul_f32 v[96:97], v[98:99], v[88:89] op_sel:[0,1]
	s_delay_alu instid0(VALU_DEP_2) | instskip(NEXT) | instid1(VALU_DEP_2)
	v_pk_add_f32 v[30:31], v[30:31], v[102:103] neg_lo:[0,1] neg_hi:[0,1]
	v_pk_fma_f32 v[100:101], v[98:99], v[86:87], v[96:97] op_sel:[0,0,1] op_sel_hi:[1,1,0] neg_lo:[0,0,1] neg_hi:[0,0,1]
	v_pk_fma_f32 v[96:97], v[98:99], v[86:87], v[96:97] op_sel:[0,0,1] op_sel_hi:[1,0,0]
	s_delay_alu instid0(VALU_DEP_1) | instskip(SKIP_4) | instid1(VALU_DEP_1)
	v_mov_b32_e32 v101, v97
	ds_load_2addr_b64 v[96:99], v90 offset0:36 offset1:37
	v_pk_add_f32 v[8:9], v[8:9], v[100:101] neg_lo:[0,1] neg_hi:[0,1]
	s_wait_dscnt 0x0
	v_pk_mul_f32 v[100:101], v[96:97], v[88:89] op_sel:[0,1]
	v_pk_fma_f32 v[102:103], v[96:97], v[86:87], v[100:101] op_sel:[0,0,1] op_sel_hi:[1,1,0] neg_lo:[0,0,1] neg_hi:[0,0,1]
	v_pk_fma_f32 v[96:97], v[96:97], v[86:87], v[100:101] op_sel:[0,0,1] op_sel_hi:[1,0,0]
	v_dual_mul_f32 v100, v99, v89 :: v_dual_mov_b32 v96, v99
	s_delay_alu instid0(VALU_DEP_2) | instskip(NEXT) | instid1(VALU_DEP_2)
	v_dual_mov_b32 v103, v97 :: v_dual_mov_b32 v97, v98
	v_pk_fma_f32 v[100:101], v[98:99], v[76:77], v[100:101] op_sel_hi:[1,1,0] neg_lo:[0,0,1] neg_hi:[0,0,1]
	v_mul_f32_e32 v98, v99, v86
	s_delay_alu instid0(VALU_DEP_3) | instskip(NEXT) | instid1(VALU_DEP_2)
	v_pk_add_f32 v[26:27], v[26:27], v[102:103] neg_lo:[0,1] neg_hi:[0,1]
	v_pk_fma_f32 v[96:97], v[96:97], v[76:77], v[98:99] op_sel_hi:[1,1,0]
	s_delay_alu instid0(VALU_DEP_1)
	v_mov_b32_e32 v101, v97
	ds_load_2addr_b64 v[96:99], v90 offset0:38 offset1:39
	v_pk_add_f32 v[20:21], v[20:21], v[100:101] neg_lo:[0,1] neg_hi:[0,1]
	s_wait_dscnt 0x0
	v_pk_mul_f32 v[100:101], v[96:97], v[88:89] op_sel:[0,1]
	v_mul_f32_e32 v88, v99, v89
	s_delay_alu instid0(VALU_DEP_2) | instskip(SKIP_2) | instid1(VALU_DEP_4)
	v_pk_fma_f32 v[102:103], v[96:97], v[86:87], v[100:101] op_sel:[0,0,1] op_sel_hi:[1,1,0] neg_lo:[0,0,1] neg_hi:[0,0,1]
	v_pk_fma_f32 v[96:97], v[96:97], v[86:87], v[100:101] op_sel:[0,0,1] op_sel_hi:[1,0,0]
	v_dual_mov_b32 v96, v99 :: v_dual_mul_f32 v86, v99, v86
	v_pk_fma_f32 v[88:89], v[98:99], v[76:77], v[88:89] op_sel_hi:[1,1,0] neg_lo:[0,0,1] neg_hi:[0,0,1]
	s_delay_alu instid0(VALU_DEP_3) | instskip(NEXT) | instid1(VALU_DEP_1)
	v_dual_mov_b32 v103, v97 :: v_dual_mov_b32 v97, v98
	v_pk_add_f32 v[18:19], v[18:19], v[102:103] neg_lo:[0,1] neg_hi:[0,1]
	s_delay_alu instid0(VALU_DEP_2) | instskip(NEXT) | instid1(VALU_DEP_1)
	v_pk_fma_f32 v[86:87], v[96:97], v[76:77], v[86:87] op_sel_hi:[1,1,0]
	v_mov_b32_e32 v89, v87
	s_delay_alu instid0(VALU_DEP_1)
	v_pk_add_f32 v[84:85], v[84:85], v[88:89] neg_lo:[0,1] neg_hi:[0,1]
.LBB78_83:
	s_or_b32 exec_lo, exec_lo, s0
	v_lshl_add_u32 v86, v94, 3, v90
	s_barrier_signal -1
	s_barrier_wait -1
	ds_store_b64 v86, v[44:45]
	s_wait_dscnt 0x0
	s_barrier_signal -1
	s_barrier_wait -1
	ds_load_b64 v[88:89], v90 offset:32
	v_mov_b32_e32 v86, 4
	s_cmp_lt_i32 s18, 6
	s_cbranch_scc1 .LBB78_86
; %bb.84:
	v_add3_u32 v87, v91, 0, 40
	v_mov_b32_e32 v86, 4
	s_mov_b32 s0, 5
.LBB78_85:                              ; =>This Inner Loop Header: Depth=1
	ds_load_b64 v[96:97], v87
	s_wait_dscnt 0x1
	v_cmp_gt_f32_e32 vcc_lo, 0, v88
	v_cndmask_b32_e64 v98, v88, -v88, vcc_lo
	v_cmp_gt_f32_e32 vcc_lo, 0, v89
	v_cndmask_b32_e64 v100, v89, -v89, vcc_lo
	s_wait_dscnt 0x0
	v_cmp_gt_f32_e32 vcc_lo, 0, v96
	v_cndmask_b32_e64 v99, v96, -v96, vcc_lo
	v_cmp_gt_f32_e32 vcc_lo, 0, v97
	v_cndmask_b32_e64 v101, v97, -v97, vcc_lo
	s_delay_alu instid0(VALU_DEP_1) | instskip(NEXT) | instid1(VALU_DEP_1)
	v_pk_add_f32 v[98:99], v[98:99], v[100:101]
	v_cmp_lt_f32_e32 vcc_lo, v98, v99
	v_dual_add_nc_u32 v87, 8, v87 :: v_dual_cndmask_b32 v89, v89, v97, vcc_lo
	v_cndmask_b32_e32 v88, v88, v96, vcc_lo
	v_cndmask_b32_e64 v86, v86, s0, vcc_lo
	s_add_co_i32 s0, s0, 1
	s_delay_alu instid0(SALU_CYCLE_1)
	s_cmp_lg_u32 s18, s0
	s_cbranch_scc1 .LBB78_85
.LBB78_86:
	s_wait_dscnt 0x0
	v_cmp_eq_f32_e32 vcc_lo, 0, v88
	v_cmp_eq_f32_e64 s0, 0, v89
	s_and_b32 s0, vcc_lo, s0
	s_delay_alu instid0(SALU_CYCLE_1) | instskip(NEXT) | instid1(SALU_CYCLE_1)
	s_and_saveexec_b32 s1, s0
	s_xor_b32 s0, exec_lo, s1
; %bb.87:
	v_cmp_ne_u32_e32 vcc_lo, 0, v92
	v_cndmask_b32_e32 v92, 5, v92, vcc_lo
; %bb.88:
	s_and_not1_saveexec_b32 s0, s0
	s_cbranch_execz .LBB78_94
; %bb.89:
	v_cmp_ngt_f32_e64 s1, |v88|, |v89|
	s_and_saveexec_b32 s12, s1
	s_delay_alu instid0(SALU_CYCLE_1)
	s_xor_b32 s1, exec_lo, s12
	s_cbranch_execz .LBB78_91
; %bb.90:
	v_div_scale_f32 v87, null, v89, v89, v88
	v_div_scale_f32 v97, vcc_lo, v88, v89, v88
	s_delay_alu instid0(VALU_DEP_2) | instskip(SKIP_1) | instid1(TRANS32_DEP_1)
	v_rcp_f32_e32 v95, v87
	v_nop
	v_fma_f32 v96, -v87, v95, 1.0
	s_delay_alu instid0(VALU_DEP_1) | instskip(NEXT) | instid1(VALU_DEP_1)
	v_fmac_f32_e32 v95, v96, v95
	v_mul_f32_e32 v96, v97, v95
	s_delay_alu instid0(VALU_DEP_1) | instskip(NEXT) | instid1(VALU_DEP_1)
	v_fma_f32 v98, -v87, v96, v97
	v_fmac_f32_e32 v96, v98, v95
	s_delay_alu instid0(VALU_DEP_1) | instskip(NEXT) | instid1(VALU_DEP_1)
	v_fma_f32 v87, -v87, v96, v97
	v_div_fmas_f32 v87, v87, v95, v96
	s_delay_alu instid0(VALU_DEP_1) | instskip(NEXT) | instid1(VALU_DEP_1)
	v_div_fixup_f32 v87, v87, v89, v88
	v_fmac_f32_e32 v89, v88, v87
	s_delay_alu instid0(VALU_DEP_1) | instskip(SKIP_1) | instid1(VALU_DEP_2)
	v_div_scale_f32 v88, null, v89, v89, 1.0
	v_div_scale_f32 v97, vcc_lo, 1.0, v89, 1.0
	v_rcp_f32_e32 v95, v88
	v_nop
	s_delay_alu instid0(TRANS32_DEP_1) | instskip(NEXT) | instid1(VALU_DEP_1)
	v_fma_f32 v96, -v88, v95, 1.0
	v_fmac_f32_e32 v95, v96, v95
	s_delay_alu instid0(VALU_DEP_1) | instskip(NEXT) | instid1(VALU_DEP_1)
	v_mul_f32_e32 v96, v97, v95
	v_fma_f32 v98, -v88, v96, v97
	s_delay_alu instid0(VALU_DEP_1) | instskip(NEXT) | instid1(VALU_DEP_1)
	v_fmac_f32_e32 v96, v98, v95
	v_fma_f32 v88, -v88, v96, v97
	s_delay_alu instid0(VALU_DEP_1) | instskip(NEXT) | instid1(VALU_DEP_1)
	v_div_fmas_f32 v88, v88, v95, v96
	v_div_fixup_f32 v89, v88, v89, 1.0
	s_delay_alu instid0(VALU_DEP_1)
	v_mul_f32_e32 v88, v87, v89
	v_xor_b32_e32 v89, 0x80000000, v89
.LBB78_91:
	s_and_not1_saveexec_b32 s1, s1
	s_cbranch_execz .LBB78_93
; %bb.92:
	s_delay_alu instid0(VALU_DEP_1) | instskip(SKIP_1) | instid1(VALU_DEP_2)
	v_div_scale_f32 v87, null, v88, v88, v89
	v_div_scale_f32 v97, vcc_lo, v89, v88, v89
	v_rcp_f32_e32 v95, v87
	v_nop
	s_delay_alu instid0(TRANS32_DEP_1) | instskip(NEXT) | instid1(VALU_DEP_1)
	v_fma_f32 v96, -v87, v95, 1.0
	v_fmac_f32_e32 v95, v96, v95
	s_delay_alu instid0(VALU_DEP_1) | instskip(NEXT) | instid1(VALU_DEP_1)
	v_mul_f32_e32 v96, v97, v95
	v_fma_f32 v98, -v87, v96, v97
	s_delay_alu instid0(VALU_DEP_1) | instskip(NEXT) | instid1(VALU_DEP_1)
	v_fmac_f32_e32 v96, v98, v95
	v_fma_f32 v87, -v87, v96, v97
	s_delay_alu instid0(VALU_DEP_1) | instskip(NEXT) | instid1(VALU_DEP_1)
	v_div_fmas_f32 v87, v87, v95, v96
	v_div_fixup_f32 v87, v87, v88, v89
	s_delay_alu instid0(VALU_DEP_1) | instskip(NEXT) | instid1(VALU_DEP_1)
	v_fmac_f32_e32 v88, v89, v87
	v_div_scale_f32 v89, null, v88, v88, 1.0
	s_delay_alu instid0(VALU_DEP_1) | instskip(SKIP_1) | instid1(TRANS32_DEP_1)
	v_rcp_f32_e32 v95, v89
	v_nop
	v_fma_f32 v96, -v89, v95, 1.0
	s_delay_alu instid0(VALU_DEP_1) | instskip(SKIP_1) | instid1(VALU_DEP_1)
	v_fmac_f32_e32 v95, v96, v95
	v_div_scale_f32 v96, vcc_lo, 1.0, v88, 1.0
	v_mul_f32_e32 v97, v96, v95
	s_delay_alu instid0(VALU_DEP_1) | instskip(NEXT) | instid1(VALU_DEP_1)
	v_fma_f32 v98, -v89, v97, v96
	v_fmac_f32_e32 v97, v98, v95
	s_delay_alu instid0(VALU_DEP_1) | instskip(NEXT) | instid1(VALU_DEP_1)
	v_fma_f32 v89, -v89, v97, v96
	v_div_fmas_f32 v89, v89, v95, v97
	s_delay_alu instid0(VALU_DEP_1) | instskip(NEXT) | instid1(VALU_DEP_1)
	v_div_fixup_f32 v88, v89, v88, 1.0
	v_mul_f32_e64 v89, v87, -v88
.LBB78_93:
	s_or_b32 exec_lo, exec_lo, s1
.LBB78_94:
	s_delay_alu instid0(SALU_CYCLE_1) | instskip(NEXT) | instid1(SALU_CYCLE_1)
	s_or_b32 exec_lo, exec_lo, s0
	s_mov_b32 s0, exec_lo
	v_cmpx_ne_u32_e64 v94, v86
	s_xor_b32 s0, exec_lo, s0
	s_cbranch_execz .LBB78_100
; %bb.95:
	s_mov_b32 s1, exec_lo
	v_cmpx_eq_u32_e32 4, v94
	s_cbranch_execz .LBB78_99
; %bb.96:
	v_cmp_ne_u32_e32 vcc_lo, 4, v86
	s_xor_b32 s12, s16, -1
	s_delay_alu instid0(SALU_CYCLE_1) | instskip(NEXT) | instid1(SALU_CYCLE_1)
	s_and_b32 s13, s12, vcc_lo
	s_and_saveexec_b32 s12, s13
	s_cbranch_execz .LBB78_98
; %bb.97:
	v_ashrrev_i32_e32 v87, 31, v86
	s_delay_alu instid0(VALU_DEP_1)
	v_lshl_add_u64 v[94:95], v[86:87], 2, v[4:5]
	s_clause 0x1
	global_load_b32 v87, v[94:95], off
	global_load_b32 v93, v[4:5], off offset:16
	s_wait_loadcnt 0x1
	global_store_b32 v[4:5], v87, off offset:16
	s_wait_loadcnt 0x0
	global_store_b32 v[94:95], v93, off
.LBB78_98:
	s_wait_xcnt 0x0
	s_or_b32 exec_lo, exec_lo, s12
	v_dual_mov_b32 v94, v86 :: v_dual_mov_b32 v93, v86
.LBB78_99:
	s_or_b32 exec_lo, exec_lo, s1
.LBB78_100:
	s_and_not1_saveexec_b32 s0, s0
	s_cbranch_execz .LBB78_102
; %bb.101:
	v_mov_b32_e32 v94, 4
	ds_store_2addr_b64 v90, v[40:41], v[42:43] offset0:5 offset1:6
	ds_store_2addr_b64 v90, v[10:11], v[50:51] offset0:7 offset1:8
	;; [unrolled: 1-line block ×17, first 2 shown]
	ds_store_b64 v90, v[84:85] offset:312
.LBB78_102:
	s_or_b32 exec_lo, exec_lo, s0
	s_delay_alu instid0(SALU_CYCLE_1)
	s_mov_b32 s0, exec_lo
	s_wait_storecnt_dscnt 0x0
	s_barrier_signal -1
	s_barrier_wait -1
	v_cmpx_lt_i32_e32 4, v94
	s_cbranch_execz .LBB78_104
; %bb.103:
	v_pk_mul_f32 v[96:97], v[88:89], v[44:45] op_sel:[1,1] op_sel_hi:[0,1]
	s_delay_alu instid0(VALU_DEP_1)
	v_pk_fma_f32 v[86:87], v[88:89], v[44:45], v[96:97] op_sel_hi:[1,0,1] neg_lo:[0,0,1] neg_hi:[0,0,1]
	v_pk_fma_f32 v[88:89], v[88:89], v[44:45], v[96:97] op_sel_hi:[1,0,1]
	ds_load_2addr_b64 v[96:99], v90 offset0:5 offset1:6
	v_dual_mov_b32 v44, v86 :: v_dual_mov_b32 v45, v89
	s_wait_dscnt 0x0
	v_pk_mul_f32 v[100:101], v[96:97], v[88:89] op_sel:[0,1]
	s_delay_alu instid0(VALU_DEP_1) | instskip(SKIP_1) | instid1(VALU_DEP_1)
	v_pk_fma_f32 v[102:103], v[96:97], v[86:87], v[100:101] op_sel:[0,0,1] op_sel_hi:[1,1,0] neg_lo:[0,0,1] neg_hi:[0,0,1]
	v_pk_fma_f32 v[96:97], v[96:97], v[86:87], v[100:101] op_sel:[0,0,1] op_sel_hi:[1,0,0]
	v_mov_b32_e32 v103, v97
	v_pk_mul_f32 v[96:97], v[98:99], v[88:89] op_sel:[0,1]
	s_delay_alu instid0(VALU_DEP_1) | instskip(SKIP_1) | instid1(VALU_DEP_1)
	v_pk_fma_f32 v[100:101], v[98:99], v[86:87], v[96:97] op_sel:[0,0,1] op_sel_hi:[1,1,0] neg_lo:[0,0,1] neg_hi:[0,0,1]
	v_pk_fma_f32 v[96:97], v[98:99], v[86:87], v[96:97] op_sel:[0,0,1] op_sel_hi:[1,0,0]
	v_mov_b32_e32 v101, v97
	ds_load_2addr_b64 v[96:99], v90 offset0:7 offset1:8
	v_pk_add_f32 v[40:41], v[40:41], v[102:103] neg_lo:[0,1] neg_hi:[0,1]
	v_pk_add_f32 v[42:43], v[42:43], v[100:101] neg_lo:[0,1] neg_hi:[0,1]
	s_wait_dscnt 0x0
	v_pk_mul_f32 v[100:101], v[96:97], v[88:89] op_sel:[0,1]
	s_delay_alu instid0(VALU_DEP_1) | instskip(SKIP_2) | instid1(VALU_DEP_2)
	v_pk_fma_f32 v[102:103], v[96:97], v[86:87], v[100:101] op_sel:[0,0,1] op_sel_hi:[1,1,0] neg_lo:[0,0,1] neg_hi:[0,0,1]
	v_pk_fma_f32 v[96:97], v[96:97], v[86:87], v[100:101] op_sel:[0,0,1] op_sel_hi:[1,0,0]
	v_dual_mul_f32 v100, v99, v89 :: v_dual_mov_b32 v96, v99
	v_dual_mov_b32 v103, v97 :: v_dual_mov_b32 v97, v98
	s_delay_alu instid0(VALU_DEP_2) | instskip(SKIP_1) | instid1(VALU_DEP_3)
	v_pk_fma_f32 v[100:101], v[98:99], v[44:45], v[100:101] op_sel_hi:[1,1,0] neg_lo:[0,0,1] neg_hi:[0,0,1]
	v_mul_f32_e32 v98, v99, v86
	v_pk_add_f32 v[10:11], v[10:11], v[102:103] neg_lo:[0,1] neg_hi:[0,1]
	s_delay_alu instid0(VALU_DEP_2) | instskip(NEXT) | instid1(VALU_DEP_1)
	v_pk_fma_f32 v[96:97], v[96:97], v[44:45], v[98:99] op_sel_hi:[1,1,0]
	v_mov_b32_e32 v101, v97
	ds_load_2addr_b64 v[96:99], v90 offset0:9 offset1:10
	v_pk_add_f32 v[50:51], v[50:51], v[100:101] neg_lo:[0,1] neg_hi:[0,1]
	s_wait_dscnt 0x0
	v_pk_mul_f32 v[100:101], v[96:97], v[88:89] op_sel:[0,1]
	s_delay_alu instid0(VALU_DEP_1) | instskip(SKIP_1) | instid1(VALU_DEP_1)
	v_pk_fma_f32 v[102:103], v[96:97], v[86:87], v[100:101] op_sel:[0,0,1] op_sel_hi:[1,1,0] neg_lo:[0,0,1] neg_hi:[0,0,1]
	v_pk_fma_f32 v[96:97], v[96:97], v[86:87], v[100:101] op_sel:[0,0,1] op_sel_hi:[1,0,0]
	v_mov_b32_e32 v103, v97
	v_pk_mul_f32 v[96:97], v[98:99], v[88:89] op_sel:[0,1]
	s_delay_alu instid0(VALU_DEP_1) | instskip(SKIP_1) | instid1(VALU_DEP_1)
	v_pk_fma_f32 v[100:101], v[98:99], v[86:87], v[96:97] op_sel:[0,0,1] op_sel_hi:[1,1,0] neg_lo:[0,0,1] neg_hi:[0,0,1]
	v_pk_fma_f32 v[96:97], v[98:99], v[86:87], v[96:97] op_sel:[0,0,1] op_sel_hi:[1,0,0]
	v_mov_b32_e32 v101, v97
	ds_load_2addr_b64 v[96:99], v90 offset0:11 offset1:12
	v_pk_add_f32 v[46:47], v[46:47], v[102:103] neg_lo:[0,1] neg_hi:[0,1]
	v_pk_add_f32 v[48:49], v[48:49], v[100:101] neg_lo:[0,1] neg_hi:[0,1]
	s_wait_dscnt 0x0
	v_pk_mul_f32 v[100:101], v[96:97], v[88:89] op_sel:[0,1]
	s_delay_alu instid0(VALU_DEP_1) | instskip(SKIP_1) | instid1(VALU_DEP_1)
	v_pk_fma_f32 v[102:103], v[96:97], v[86:87], v[100:101] op_sel:[0,0,1] op_sel_hi:[1,1,0] neg_lo:[0,0,1] neg_hi:[0,0,1]
	v_pk_fma_f32 v[96:97], v[96:97], v[86:87], v[100:101] op_sel:[0,0,1] op_sel_hi:[1,0,0]
	v_mov_b32_e32 v103, v97
	v_pk_mul_f32 v[96:97], v[98:99], v[88:89] op_sel:[0,1]
	s_delay_alu instid0(VALU_DEP_1) | instskip(SKIP_1) | instid1(VALU_DEP_1)
	v_pk_fma_f32 v[100:101], v[98:99], v[86:87], v[96:97] op_sel:[0,0,1] op_sel_hi:[1,1,0] neg_lo:[0,0,1] neg_hi:[0,0,1]
	v_pk_fma_f32 v[96:97], v[98:99], v[86:87], v[96:97] op_sel:[0,0,1] op_sel_hi:[1,0,0]
	v_mov_b32_e32 v101, v97
	ds_load_2addr_b64 v[96:99], v90 offset0:13 offset1:14
	v_pk_add_f32 v[12:13], v[12:13], v[102:103] neg_lo:[0,1] neg_hi:[0,1]
	v_pk_add_f32 v[74:75], v[74:75], v[100:101] neg_lo:[0,1] neg_hi:[0,1]
	s_wait_dscnt 0x0
	v_dual_mul_f32 v100, v97, v89 :: v_dual_mul_f32 v102, v97, v86
	s_delay_alu instid0(VALU_DEP_1) | instskip(NEXT) | instid1(VALU_DEP_2)
	v_pk_fma_f32 v[100:101], v[96:97], v[44:45], v[100:101] op_sel_hi:[1,1,0] neg_lo:[0,0,1] neg_hi:[0,0,1]
	v_pk_fma_f32 v[96:97], v[96:97], v[44:45], v[102:103] op_sel:[1,0,0] op_sel_hi:[0,1,0]
	s_delay_alu instid0(VALU_DEP_1) | instskip(SKIP_1) | instid1(VALU_DEP_2)
	v_mov_b32_e32 v101, v97
	v_pk_mul_f32 v[96:97], v[98:99], v[88:89] op_sel:[0,1]
	v_pk_add_f32 v[70:71], v[70:71], v[100:101] neg_lo:[0,1] neg_hi:[0,1]
	s_delay_alu instid0(VALU_DEP_2) | instskip(SKIP_1) | instid1(VALU_DEP_1)
	v_pk_fma_f32 v[100:101], v[98:99], v[86:87], v[96:97] op_sel:[0,0,1] op_sel_hi:[1,1,0] neg_lo:[0,0,1] neg_hi:[0,0,1]
	v_pk_fma_f32 v[96:97], v[98:99], v[86:87], v[96:97] op_sel:[0,0,1] op_sel_hi:[1,0,0]
	v_mov_b32_e32 v101, v97
	ds_load_2addr_b64 v[96:99], v90 offset0:15 offset1:16
	v_pk_add_f32 v[72:73], v[72:73], v[100:101] neg_lo:[0,1] neg_hi:[0,1]
	s_wait_dscnt 0x0
	v_pk_mul_f32 v[100:101], v[96:97], v[88:89] op_sel:[0,1]
	s_delay_alu instid0(VALU_DEP_1) | instskip(SKIP_1) | instid1(VALU_DEP_1)
	v_pk_fma_f32 v[102:103], v[96:97], v[86:87], v[100:101] op_sel:[0,0,1] op_sel_hi:[1,1,0] neg_lo:[0,0,1] neg_hi:[0,0,1]
	v_pk_fma_f32 v[96:97], v[96:97], v[86:87], v[100:101] op_sel:[0,0,1] op_sel_hi:[1,0,0]
	v_mov_b32_e32 v103, v97
	v_pk_mul_f32 v[96:97], v[98:99], v[88:89] op_sel:[0,1]
	s_delay_alu instid0(VALU_DEP_2) | instskip(NEXT) | instid1(VALU_DEP_2)
	v_pk_add_f32 v[24:25], v[24:25], v[102:103] neg_lo:[0,1] neg_hi:[0,1]
	v_pk_fma_f32 v[100:101], v[98:99], v[86:87], v[96:97] op_sel:[0,0,1] op_sel_hi:[1,1,0] neg_lo:[0,0,1] neg_hi:[0,0,1]
	v_pk_fma_f32 v[96:97], v[98:99], v[86:87], v[96:97] op_sel:[0,0,1] op_sel_hi:[1,0,0]
	s_delay_alu instid0(VALU_DEP_1) | instskip(SKIP_4) | instid1(VALU_DEP_1)
	v_mov_b32_e32 v101, v97
	ds_load_2addr_b64 v[96:99], v90 offset0:17 offset1:18
	v_pk_add_f32 v[68:69], v[68:69], v[100:101] neg_lo:[0,1] neg_hi:[0,1]
	s_wait_dscnt 0x0
	v_pk_mul_f32 v[100:101], v[96:97], v[88:89] op_sel:[0,1]
	v_pk_fma_f32 v[102:103], v[96:97], v[86:87], v[100:101] op_sel:[0,0,1] op_sel_hi:[1,1,0] neg_lo:[0,0,1] neg_hi:[0,0,1]
	v_pk_fma_f32 v[96:97], v[96:97], v[86:87], v[100:101] op_sel:[0,0,1] op_sel_hi:[1,0,0]
	v_dual_mul_f32 v100, v99, v89 :: v_dual_mov_b32 v96, v99
	s_delay_alu instid0(VALU_DEP_2) | instskip(NEXT) | instid1(VALU_DEP_2)
	v_dual_mov_b32 v103, v97 :: v_dual_mov_b32 v97, v98
	v_pk_fma_f32 v[100:101], v[98:99], v[44:45], v[100:101] op_sel_hi:[1,1,0] neg_lo:[0,0,1] neg_hi:[0,0,1]
	v_mul_f32_e32 v98, v99, v86
	s_delay_alu instid0(VALU_DEP_3) | instskip(NEXT) | instid1(VALU_DEP_2)
	v_pk_add_f32 v[64:65], v[64:65], v[102:103] neg_lo:[0,1] neg_hi:[0,1]
	v_pk_fma_f32 v[96:97], v[96:97], v[44:45], v[98:99] op_sel_hi:[1,1,0]
	s_delay_alu instid0(VALU_DEP_1) | instskip(SKIP_4) | instid1(VALU_DEP_1)
	v_mov_b32_e32 v101, v97
	ds_load_2addr_b64 v[96:99], v90 offset0:19 offset1:20
	v_pk_add_f32 v[66:67], v[66:67], v[100:101] neg_lo:[0,1] neg_hi:[0,1]
	s_wait_dscnt 0x0
	v_pk_mul_f32 v[100:101], v[96:97], v[88:89] op_sel:[0,1]
	v_pk_fma_f32 v[102:103], v[96:97], v[86:87], v[100:101] op_sel:[0,0,1] op_sel_hi:[1,1,0] neg_lo:[0,0,1] neg_hi:[0,0,1]
	v_pk_fma_f32 v[96:97], v[96:97], v[86:87], v[100:101] op_sel:[0,0,1] op_sel_hi:[1,0,0]
	s_delay_alu instid0(VALU_DEP_1) | instskip(SKIP_1) | instid1(VALU_DEP_1)
	v_mov_b32_e32 v103, v97
	v_pk_mul_f32 v[96:97], v[98:99], v[88:89] op_sel:[0,1]
	v_pk_fma_f32 v[100:101], v[98:99], v[86:87], v[96:97] op_sel:[0,0,1] op_sel_hi:[1,1,0] neg_lo:[0,0,1] neg_hi:[0,0,1]
	v_pk_fma_f32 v[96:97], v[98:99], v[86:87], v[96:97] op_sel:[0,0,1] op_sel_hi:[1,0,0]
	s_delay_alu instid0(VALU_DEP_1)
	v_mov_b32_e32 v101, v97
	ds_load_2addr_b64 v[96:99], v90 offset0:21 offset1:22
	v_pk_add_f32 v[22:23], v[22:23], v[102:103] neg_lo:[0,1] neg_hi:[0,1]
	v_pk_add_f32 v[62:63], v[62:63], v[100:101] neg_lo:[0,1] neg_hi:[0,1]
	s_wait_dscnt 0x0
	v_pk_mul_f32 v[100:101], v[96:97], v[88:89] op_sel:[0,1]
	s_delay_alu instid0(VALU_DEP_1) | instskip(SKIP_1) | instid1(VALU_DEP_1)
	v_pk_fma_f32 v[102:103], v[96:97], v[86:87], v[100:101] op_sel:[0,0,1] op_sel_hi:[1,1,0] neg_lo:[0,0,1] neg_hi:[0,0,1]
	v_pk_fma_f32 v[96:97], v[96:97], v[86:87], v[100:101] op_sel:[0,0,1] op_sel_hi:[1,0,0]
	v_mov_b32_e32 v103, v97
	v_pk_mul_f32 v[96:97], v[98:99], v[88:89] op_sel:[0,1]
	s_delay_alu instid0(VALU_DEP_1) | instskip(SKIP_1) | instid1(VALU_DEP_1)
	v_pk_fma_f32 v[100:101], v[98:99], v[86:87], v[96:97] op_sel:[0,0,1] op_sel_hi:[1,1,0] neg_lo:[0,0,1] neg_hi:[0,0,1]
	v_pk_fma_f32 v[96:97], v[98:99], v[86:87], v[96:97] op_sel:[0,0,1] op_sel_hi:[1,0,0]
	v_mov_b32_e32 v101, v97
	ds_load_2addr_b64 v[96:99], v90 offset0:23 offset1:24
	v_pk_add_f32 v[58:59], v[58:59], v[102:103] neg_lo:[0,1] neg_hi:[0,1]
	v_pk_add_f32 v[60:61], v[60:61], v[100:101] neg_lo:[0,1] neg_hi:[0,1]
	s_wait_dscnt 0x0
	v_dual_mul_f32 v100, v97, v89 :: v_dual_mul_f32 v102, v97, v86
	s_delay_alu instid0(VALU_DEP_1) | instskip(NEXT) | instid1(VALU_DEP_2)
	v_pk_fma_f32 v[100:101], v[96:97], v[44:45], v[100:101] op_sel_hi:[1,1,0] neg_lo:[0,0,1] neg_hi:[0,0,1]
	v_pk_fma_f32 v[96:97], v[96:97], v[44:45], v[102:103] op_sel:[1,0,0] op_sel_hi:[0,1,0]
	s_delay_alu instid0(VALU_DEP_1) | instskip(SKIP_1) | instid1(VALU_DEP_2)
	v_mov_b32_e32 v101, v97
	v_pk_mul_f32 v[96:97], v[98:99], v[88:89] op_sel:[0,1]
	v_pk_add_f32 v[16:17], v[16:17], v[100:101] neg_lo:[0,1] neg_hi:[0,1]
	s_delay_alu instid0(VALU_DEP_2) | instskip(SKIP_1) | instid1(VALU_DEP_1)
	v_pk_fma_f32 v[100:101], v[98:99], v[86:87], v[96:97] op_sel:[0,0,1] op_sel_hi:[1,1,0] neg_lo:[0,0,1] neg_hi:[0,0,1]
	v_pk_fma_f32 v[96:97], v[98:99], v[86:87], v[96:97] op_sel:[0,0,1] op_sel_hi:[1,0,0]
	v_mov_b32_e32 v101, v97
	ds_load_2addr_b64 v[96:99], v90 offset0:25 offset1:26
	v_pk_add_f32 v[56:57], v[56:57], v[100:101] neg_lo:[0,1] neg_hi:[0,1]
	s_wait_dscnt 0x0
	v_pk_mul_f32 v[100:101], v[96:97], v[88:89] op_sel:[0,1]
	s_delay_alu instid0(VALU_DEP_1) | instskip(SKIP_1) | instid1(VALU_DEP_1)
	v_pk_fma_f32 v[102:103], v[96:97], v[86:87], v[100:101] op_sel:[0,0,1] op_sel_hi:[1,1,0] neg_lo:[0,0,1] neg_hi:[0,0,1]
	v_pk_fma_f32 v[96:97], v[96:97], v[86:87], v[100:101] op_sel:[0,0,1] op_sel_hi:[1,0,0]
	v_mov_b32_e32 v103, v97
	v_pk_mul_f32 v[96:97], v[98:99], v[88:89] op_sel:[0,1]
	s_delay_alu instid0(VALU_DEP_2) | instskip(NEXT) | instid1(VALU_DEP_2)
	v_pk_add_f32 v[52:53], v[52:53], v[102:103] neg_lo:[0,1] neg_hi:[0,1]
	v_pk_fma_f32 v[100:101], v[98:99], v[86:87], v[96:97] op_sel:[0,0,1] op_sel_hi:[1,1,0] neg_lo:[0,0,1] neg_hi:[0,0,1]
	v_pk_fma_f32 v[96:97], v[98:99], v[86:87], v[96:97] op_sel:[0,0,1] op_sel_hi:[1,0,0]
	s_delay_alu instid0(VALU_DEP_1) | instskip(SKIP_4) | instid1(VALU_DEP_1)
	v_mov_b32_e32 v101, v97
	ds_load_2addr_b64 v[96:99], v90 offset0:27 offset1:28
	v_pk_add_f32 v[54:55], v[54:55], v[100:101] neg_lo:[0,1] neg_hi:[0,1]
	s_wait_dscnt 0x0
	v_pk_mul_f32 v[100:101], v[96:97], v[88:89] op_sel:[0,1]
	v_pk_fma_f32 v[102:103], v[96:97], v[86:87], v[100:101] op_sel:[0,0,1] op_sel_hi:[1,1,0] neg_lo:[0,0,1] neg_hi:[0,0,1]
	v_pk_fma_f32 v[96:97], v[96:97], v[86:87], v[100:101] op_sel:[0,0,1] op_sel_hi:[1,0,0]
	v_dual_mul_f32 v100, v99, v89 :: v_dual_mov_b32 v96, v99
	s_delay_alu instid0(VALU_DEP_2) | instskip(NEXT) | instid1(VALU_DEP_2)
	v_dual_mov_b32 v103, v97 :: v_dual_mov_b32 v97, v98
	v_pk_fma_f32 v[100:101], v[98:99], v[44:45], v[100:101] op_sel_hi:[1,1,0] neg_lo:[0,0,1] neg_hi:[0,0,1]
	v_mul_f32_e32 v98, v99, v86
	s_delay_alu instid0(VALU_DEP_3) | instskip(NEXT) | instid1(VALU_DEP_2)
	v_pk_add_f32 v[14:15], v[14:15], v[102:103] neg_lo:[0,1] neg_hi:[0,1]
	v_pk_fma_f32 v[96:97], v[96:97], v[44:45], v[98:99] op_sel_hi:[1,1,0]
	s_delay_alu instid0(VALU_DEP_1) | instskip(SKIP_4) | instid1(VALU_DEP_1)
	v_mov_b32_e32 v101, v97
	ds_load_2addr_b64 v[96:99], v90 offset0:29 offset1:30
	v_pk_add_f32 v[38:39], v[38:39], v[100:101] neg_lo:[0,1] neg_hi:[0,1]
	s_wait_dscnt 0x0
	v_pk_mul_f32 v[100:101], v[96:97], v[88:89] op_sel:[0,1]
	v_pk_fma_f32 v[102:103], v[96:97], v[86:87], v[100:101] op_sel:[0,0,1] op_sel_hi:[1,1,0] neg_lo:[0,0,1] neg_hi:[0,0,1]
	v_pk_fma_f32 v[96:97], v[96:97], v[86:87], v[100:101] op_sel:[0,0,1] op_sel_hi:[1,0,0]
	s_delay_alu instid0(VALU_DEP_1) | instskip(SKIP_1) | instid1(VALU_DEP_1)
	v_mov_b32_e32 v103, v97
	v_pk_mul_f32 v[96:97], v[98:99], v[88:89] op_sel:[0,1]
	v_pk_fma_f32 v[100:101], v[98:99], v[86:87], v[96:97] op_sel:[0,0,1] op_sel_hi:[1,1,0] neg_lo:[0,0,1] neg_hi:[0,0,1]
	v_pk_fma_f32 v[96:97], v[98:99], v[86:87], v[96:97] op_sel:[0,0,1] op_sel_hi:[1,0,0]
	s_delay_alu instid0(VALU_DEP_1)
	v_mov_b32_e32 v101, v97
	ds_load_2addr_b64 v[96:99], v90 offset0:31 offset1:32
	v_pk_add_f32 v[34:35], v[34:35], v[102:103] neg_lo:[0,1] neg_hi:[0,1]
	v_pk_add_f32 v[36:37], v[36:37], v[100:101] neg_lo:[0,1] neg_hi:[0,1]
	s_wait_dscnt 0x0
	v_pk_mul_f32 v[100:101], v[96:97], v[88:89] op_sel:[0,1]
	s_delay_alu instid0(VALU_DEP_1) | instskip(SKIP_1) | instid1(VALU_DEP_1)
	v_pk_fma_f32 v[102:103], v[96:97], v[86:87], v[100:101] op_sel:[0,0,1] op_sel_hi:[1,1,0] neg_lo:[0,0,1] neg_hi:[0,0,1]
	v_pk_fma_f32 v[96:97], v[96:97], v[86:87], v[100:101] op_sel:[0,0,1] op_sel_hi:[1,0,0]
	v_mov_b32_e32 v103, v97
	v_pk_mul_f32 v[96:97], v[98:99], v[88:89] op_sel:[0,1]
	s_delay_alu instid0(VALU_DEP_1) | instskip(SKIP_1) | instid1(VALU_DEP_1)
	v_pk_fma_f32 v[100:101], v[98:99], v[86:87], v[96:97] op_sel:[0,0,1] op_sel_hi:[1,1,0] neg_lo:[0,0,1] neg_hi:[0,0,1]
	v_pk_fma_f32 v[96:97], v[98:99], v[86:87], v[96:97] op_sel:[0,0,1] op_sel_hi:[1,0,0]
	v_mov_b32_e32 v101, v97
	ds_load_2addr_b64 v[96:99], v90 offset0:33 offset1:34
	v_pk_add_f32 v[6:7], v[6:7], v[102:103] neg_lo:[0,1] neg_hi:[0,1]
	v_pk_add_f32 v[32:33], v[32:33], v[100:101] neg_lo:[0,1] neg_hi:[0,1]
	s_wait_dscnt 0x0
	v_dual_mul_f32 v100, v97, v89 :: v_dual_mul_f32 v102, v97, v86
	s_delay_alu instid0(VALU_DEP_1) | instskip(NEXT) | instid1(VALU_DEP_2)
	v_pk_fma_f32 v[100:101], v[96:97], v[44:45], v[100:101] op_sel_hi:[1,1,0] neg_lo:[0,0,1] neg_hi:[0,0,1]
	v_pk_fma_f32 v[96:97], v[96:97], v[44:45], v[102:103] op_sel:[1,0,0] op_sel_hi:[0,1,0]
	s_delay_alu instid0(VALU_DEP_1) | instskip(SKIP_1) | instid1(VALU_DEP_2)
	v_mov_b32_e32 v101, v97
	v_pk_mul_f32 v[96:97], v[98:99], v[88:89] op_sel:[0,1]
	v_pk_add_f32 v[28:29], v[28:29], v[100:101] neg_lo:[0,1] neg_hi:[0,1]
	s_delay_alu instid0(VALU_DEP_2) | instskip(SKIP_1) | instid1(VALU_DEP_1)
	v_pk_fma_f32 v[100:101], v[98:99], v[86:87], v[96:97] op_sel:[0,0,1] op_sel_hi:[1,1,0] neg_lo:[0,0,1] neg_hi:[0,0,1]
	v_pk_fma_f32 v[96:97], v[98:99], v[86:87], v[96:97] op_sel:[0,0,1] op_sel_hi:[1,0,0]
	v_mov_b32_e32 v101, v97
	ds_load_2addr_b64 v[96:99], v90 offset0:35 offset1:36
	v_pk_add_f32 v[30:31], v[30:31], v[100:101] neg_lo:[0,1] neg_hi:[0,1]
	s_wait_dscnt 0x0
	v_pk_mul_f32 v[100:101], v[96:97], v[88:89] op_sel:[0,1]
	s_delay_alu instid0(VALU_DEP_1) | instskip(SKIP_1) | instid1(VALU_DEP_1)
	v_pk_fma_f32 v[102:103], v[96:97], v[86:87], v[100:101] op_sel:[0,0,1] op_sel_hi:[1,1,0] neg_lo:[0,0,1] neg_hi:[0,0,1]
	v_pk_fma_f32 v[96:97], v[96:97], v[86:87], v[100:101] op_sel:[0,0,1] op_sel_hi:[1,0,0]
	v_mov_b32_e32 v103, v97
	v_pk_mul_f32 v[96:97], v[98:99], v[88:89] op_sel:[0,1]
	s_delay_alu instid0(VALU_DEP_2) | instskip(NEXT) | instid1(VALU_DEP_2)
	v_pk_add_f32 v[8:9], v[8:9], v[102:103] neg_lo:[0,1] neg_hi:[0,1]
	v_pk_fma_f32 v[100:101], v[98:99], v[86:87], v[96:97] op_sel:[0,0,1] op_sel_hi:[1,1,0] neg_lo:[0,0,1] neg_hi:[0,0,1]
	v_pk_fma_f32 v[96:97], v[98:99], v[86:87], v[96:97] op_sel:[0,0,1] op_sel_hi:[1,0,0]
	s_delay_alu instid0(VALU_DEP_1) | instskip(SKIP_4) | instid1(VALU_DEP_1)
	v_mov_b32_e32 v101, v97
	ds_load_2addr_b64 v[96:99], v90 offset0:37 offset1:38
	v_pk_add_f32 v[26:27], v[26:27], v[100:101] neg_lo:[0,1] neg_hi:[0,1]
	s_wait_dscnt 0x0
	v_pk_mul_f32 v[100:101], v[96:97], v[88:89] op_sel:[0,1]
	v_pk_fma_f32 v[102:103], v[96:97], v[86:87], v[100:101] op_sel:[0,0,1] op_sel_hi:[1,1,0] neg_lo:[0,0,1] neg_hi:[0,0,1]
	v_pk_fma_f32 v[96:97], v[96:97], v[86:87], v[100:101] op_sel:[0,0,1] op_sel_hi:[1,0,0]
	v_dual_mul_f32 v100, v99, v89 :: v_dual_mov_b32 v96, v99
	s_delay_alu instid0(VALU_DEP_2) | instskip(NEXT) | instid1(VALU_DEP_2)
	v_dual_mov_b32 v103, v97 :: v_dual_mov_b32 v97, v98
	v_pk_fma_f32 v[100:101], v[98:99], v[44:45], v[100:101] op_sel_hi:[1,1,0] neg_lo:[0,0,1] neg_hi:[0,0,1]
	v_mul_f32_e32 v98, v99, v86
	s_delay_alu instid0(VALU_DEP_3) | instskip(NEXT) | instid1(VALU_DEP_2)
	v_pk_add_f32 v[20:21], v[20:21], v[102:103] neg_lo:[0,1] neg_hi:[0,1]
	v_pk_fma_f32 v[96:97], v[96:97], v[44:45], v[98:99] op_sel_hi:[1,1,0]
	s_delay_alu instid0(VALU_DEP_1) | instskip(SKIP_4) | instid1(VALU_DEP_1)
	v_mov_b32_e32 v101, v97
	ds_load_b64 v[96:97], v90 offset:312
	v_pk_add_f32 v[18:19], v[18:19], v[100:101] neg_lo:[0,1] neg_hi:[0,1]
	s_wait_dscnt 0x0
	v_pk_mul_f32 v[88:89], v[96:97], v[88:89] op_sel:[0,1]
	v_pk_fma_f32 v[98:99], v[96:97], v[86:87], v[88:89] op_sel:[0,0,1] op_sel_hi:[1,1,0] neg_lo:[0,0,1] neg_hi:[0,0,1]
	v_pk_fma_f32 v[86:87], v[96:97], v[86:87], v[88:89] op_sel:[0,0,1] op_sel_hi:[1,0,0]
	s_delay_alu instid0(VALU_DEP_1) | instskip(NEXT) | instid1(VALU_DEP_1)
	v_mov_b32_e32 v99, v87
	v_pk_add_f32 v[84:85], v[84:85], v[98:99] neg_lo:[0,1] neg_hi:[0,1]
.LBB78_104:
	s_or_b32 exec_lo, exec_lo, s0
	v_lshl_add_u32 v86, v94, 3, v90
	s_barrier_signal -1
	s_barrier_wait -1
	ds_store_b64 v86, v[40:41]
	s_wait_dscnt 0x0
	s_barrier_signal -1
	s_barrier_wait -1
	ds_load_b64 v[88:89], v90 offset:40
	v_mov_b32_e32 v86, 5
	s_cmp_lt_i32 s18, 7
	s_cbranch_scc1 .LBB78_107
; %bb.105:
	v_add3_u32 v87, v91, 0, 48
	v_mov_b32_e32 v86, 5
	s_mov_b32 s0, 6
.LBB78_106:                             ; =>This Inner Loop Header: Depth=1
	ds_load_b64 v[96:97], v87
	s_wait_dscnt 0x1
	v_cmp_gt_f32_e32 vcc_lo, 0, v88
	v_cndmask_b32_e64 v98, v88, -v88, vcc_lo
	v_cmp_gt_f32_e32 vcc_lo, 0, v89
	v_cndmask_b32_e64 v100, v89, -v89, vcc_lo
	s_wait_dscnt 0x0
	v_cmp_gt_f32_e32 vcc_lo, 0, v96
	v_cndmask_b32_e64 v99, v96, -v96, vcc_lo
	v_cmp_gt_f32_e32 vcc_lo, 0, v97
	v_cndmask_b32_e64 v101, v97, -v97, vcc_lo
	s_delay_alu instid0(VALU_DEP_1) | instskip(NEXT) | instid1(VALU_DEP_1)
	v_pk_add_f32 v[98:99], v[98:99], v[100:101]
	v_cmp_lt_f32_e32 vcc_lo, v98, v99
	v_dual_add_nc_u32 v87, 8, v87 :: v_dual_cndmask_b32 v89, v89, v97, vcc_lo
	v_cndmask_b32_e32 v88, v88, v96, vcc_lo
	v_cndmask_b32_e64 v86, v86, s0, vcc_lo
	s_add_co_i32 s0, s0, 1
	s_delay_alu instid0(SALU_CYCLE_1)
	s_cmp_lg_u32 s18, s0
	s_cbranch_scc1 .LBB78_106
.LBB78_107:
	s_wait_dscnt 0x0
	v_cmp_eq_f32_e32 vcc_lo, 0, v88
	v_cmp_eq_f32_e64 s0, 0, v89
	s_and_b32 s0, vcc_lo, s0
	s_delay_alu instid0(SALU_CYCLE_1) | instskip(NEXT) | instid1(SALU_CYCLE_1)
	s_and_saveexec_b32 s1, s0
	s_xor_b32 s0, exec_lo, s1
; %bb.108:
	v_cmp_ne_u32_e32 vcc_lo, 0, v92
	v_cndmask_b32_e32 v92, 6, v92, vcc_lo
; %bb.109:
	s_and_not1_saveexec_b32 s0, s0
	s_cbranch_execz .LBB78_115
; %bb.110:
	v_cmp_ngt_f32_e64 s1, |v88|, |v89|
	s_and_saveexec_b32 s12, s1
	s_delay_alu instid0(SALU_CYCLE_1)
	s_xor_b32 s1, exec_lo, s12
	s_cbranch_execz .LBB78_112
; %bb.111:
	v_div_scale_f32 v87, null, v89, v89, v88
	v_div_scale_f32 v97, vcc_lo, v88, v89, v88
	s_delay_alu instid0(VALU_DEP_2) | instskip(SKIP_1) | instid1(TRANS32_DEP_1)
	v_rcp_f32_e32 v95, v87
	v_nop
	v_fma_f32 v96, -v87, v95, 1.0
	s_delay_alu instid0(VALU_DEP_1) | instskip(NEXT) | instid1(VALU_DEP_1)
	v_fmac_f32_e32 v95, v96, v95
	v_mul_f32_e32 v96, v97, v95
	s_delay_alu instid0(VALU_DEP_1) | instskip(NEXT) | instid1(VALU_DEP_1)
	v_fma_f32 v98, -v87, v96, v97
	v_fmac_f32_e32 v96, v98, v95
	s_delay_alu instid0(VALU_DEP_1) | instskip(NEXT) | instid1(VALU_DEP_1)
	v_fma_f32 v87, -v87, v96, v97
	v_div_fmas_f32 v87, v87, v95, v96
	s_delay_alu instid0(VALU_DEP_1) | instskip(NEXT) | instid1(VALU_DEP_1)
	v_div_fixup_f32 v87, v87, v89, v88
	v_fmac_f32_e32 v89, v88, v87
	s_delay_alu instid0(VALU_DEP_1) | instskip(SKIP_1) | instid1(VALU_DEP_2)
	v_div_scale_f32 v88, null, v89, v89, 1.0
	v_div_scale_f32 v97, vcc_lo, 1.0, v89, 1.0
	v_rcp_f32_e32 v95, v88
	v_nop
	s_delay_alu instid0(TRANS32_DEP_1) | instskip(NEXT) | instid1(VALU_DEP_1)
	v_fma_f32 v96, -v88, v95, 1.0
	v_fmac_f32_e32 v95, v96, v95
	s_delay_alu instid0(VALU_DEP_1) | instskip(NEXT) | instid1(VALU_DEP_1)
	v_mul_f32_e32 v96, v97, v95
	v_fma_f32 v98, -v88, v96, v97
	s_delay_alu instid0(VALU_DEP_1) | instskip(NEXT) | instid1(VALU_DEP_1)
	v_fmac_f32_e32 v96, v98, v95
	v_fma_f32 v88, -v88, v96, v97
	s_delay_alu instid0(VALU_DEP_1) | instskip(NEXT) | instid1(VALU_DEP_1)
	v_div_fmas_f32 v88, v88, v95, v96
	v_div_fixup_f32 v89, v88, v89, 1.0
	s_delay_alu instid0(VALU_DEP_1)
	v_mul_f32_e32 v88, v87, v89
	v_xor_b32_e32 v89, 0x80000000, v89
.LBB78_112:
	s_and_not1_saveexec_b32 s1, s1
	s_cbranch_execz .LBB78_114
; %bb.113:
	s_delay_alu instid0(VALU_DEP_1) | instskip(SKIP_1) | instid1(VALU_DEP_2)
	v_div_scale_f32 v87, null, v88, v88, v89
	v_div_scale_f32 v97, vcc_lo, v89, v88, v89
	v_rcp_f32_e32 v95, v87
	v_nop
	s_delay_alu instid0(TRANS32_DEP_1) | instskip(NEXT) | instid1(VALU_DEP_1)
	v_fma_f32 v96, -v87, v95, 1.0
	v_fmac_f32_e32 v95, v96, v95
	s_delay_alu instid0(VALU_DEP_1) | instskip(NEXT) | instid1(VALU_DEP_1)
	v_mul_f32_e32 v96, v97, v95
	v_fma_f32 v98, -v87, v96, v97
	s_delay_alu instid0(VALU_DEP_1) | instskip(NEXT) | instid1(VALU_DEP_1)
	v_fmac_f32_e32 v96, v98, v95
	v_fma_f32 v87, -v87, v96, v97
	s_delay_alu instid0(VALU_DEP_1) | instskip(NEXT) | instid1(VALU_DEP_1)
	v_div_fmas_f32 v87, v87, v95, v96
	v_div_fixup_f32 v87, v87, v88, v89
	s_delay_alu instid0(VALU_DEP_1) | instskip(NEXT) | instid1(VALU_DEP_1)
	v_fmac_f32_e32 v88, v89, v87
	v_div_scale_f32 v89, null, v88, v88, 1.0
	s_delay_alu instid0(VALU_DEP_1) | instskip(SKIP_1) | instid1(TRANS32_DEP_1)
	v_rcp_f32_e32 v95, v89
	v_nop
	v_fma_f32 v96, -v89, v95, 1.0
	s_delay_alu instid0(VALU_DEP_1) | instskip(SKIP_1) | instid1(VALU_DEP_1)
	v_fmac_f32_e32 v95, v96, v95
	v_div_scale_f32 v96, vcc_lo, 1.0, v88, 1.0
	v_mul_f32_e32 v97, v96, v95
	s_delay_alu instid0(VALU_DEP_1) | instskip(NEXT) | instid1(VALU_DEP_1)
	v_fma_f32 v98, -v89, v97, v96
	v_fmac_f32_e32 v97, v98, v95
	s_delay_alu instid0(VALU_DEP_1) | instskip(NEXT) | instid1(VALU_DEP_1)
	v_fma_f32 v89, -v89, v97, v96
	v_div_fmas_f32 v89, v89, v95, v97
	s_delay_alu instid0(VALU_DEP_1) | instskip(NEXT) | instid1(VALU_DEP_1)
	v_div_fixup_f32 v88, v89, v88, 1.0
	v_mul_f32_e64 v89, v87, -v88
.LBB78_114:
	s_or_b32 exec_lo, exec_lo, s1
.LBB78_115:
	s_delay_alu instid0(SALU_CYCLE_1) | instskip(NEXT) | instid1(SALU_CYCLE_1)
	s_or_b32 exec_lo, exec_lo, s0
	s_mov_b32 s0, exec_lo
	v_cmpx_ne_u32_e64 v94, v86
	s_xor_b32 s0, exec_lo, s0
	s_cbranch_execz .LBB78_121
; %bb.116:
	s_mov_b32 s1, exec_lo
	v_cmpx_eq_u32_e32 5, v94
	s_cbranch_execz .LBB78_120
; %bb.117:
	v_cmp_ne_u32_e32 vcc_lo, 5, v86
	s_xor_b32 s12, s16, -1
	s_delay_alu instid0(SALU_CYCLE_1) | instskip(NEXT) | instid1(SALU_CYCLE_1)
	s_and_b32 s13, s12, vcc_lo
	s_and_saveexec_b32 s12, s13
	s_cbranch_execz .LBB78_119
; %bb.118:
	v_ashrrev_i32_e32 v87, 31, v86
	s_delay_alu instid0(VALU_DEP_1)
	v_lshl_add_u64 v[94:95], v[86:87], 2, v[4:5]
	s_clause 0x1
	global_load_b32 v87, v[94:95], off
	global_load_b32 v93, v[4:5], off offset:20
	s_wait_loadcnt 0x1
	global_store_b32 v[4:5], v87, off offset:20
	s_wait_loadcnt 0x0
	global_store_b32 v[94:95], v93, off
.LBB78_119:
	s_wait_xcnt 0x0
	s_or_b32 exec_lo, exec_lo, s12
	v_dual_mov_b32 v94, v86 :: v_dual_mov_b32 v93, v86
.LBB78_120:
	s_or_b32 exec_lo, exec_lo, s1
.LBB78_121:
	s_and_not1_saveexec_b32 s0, s0
	s_cbranch_execz .LBB78_123
; %bb.122:
	v_dual_mov_b32 v86, v42 :: v_dual_mov_b32 v87, v43
	v_dual_mov_b32 v94, v10 :: v_dual_mov_b32 v95, v11
	ds_store_2addr_b64 v90, v[86:87], v[94:95] offset0:6 offset1:7
	v_dual_mov_b32 v86, v50 :: v_dual_mov_b32 v87, v51
	v_dual_mov_b32 v94, v46 :: v_dual_mov_b32 v95, v47
	ds_store_2addr_b64 v90, v[86:87], v[94:95] offset0:8 offset1:9
	;; [unrolled: 3-line block ×16, first 2 shown]
	v_dual_mov_b32 v86, v18 :: v_dual_mov_b32 v87, v19
	v_mov_b32_e32 v94, 5
	ds_store_2addr_b64 v90, v[86:87], v[84:85] offset0:38 offset1:39
.LBB78_123:
	s_or_b32 exec_lo, exec_lo, s0
	s_delay_alu instid0(SALU_CYCLE_1)
	s_mov_b32 s0, exec_lo
	s_wait_storecnt_dscnt 0x0
	s_barrier_signal -1
	s_barrier_wait -1
	v_cmpx_lt_i32_e32 5, v94
	s_cbranch_execz .LBB78_125
; %bb.124:
	v_pk_mul_f32 v[96:97], v[88:89], v[40:41] op_sel:[1,1] op_sel_hi:[0,1]
	s_delay_alu instid0(VALU_DEP_1)
	v_pk_fma_f32 v[86:87], v[88:89], v[40:41], v[96:97] op_sel_hi:[1,0,1] neg_lo:[0,0,1] neg_hi:[0,0,1]
	v_pk_fma_f32 v[88:89], v[88:89], v[40:41], v[96:97] op_sel_hi:[1,0,1]
	ds_load_2addr_b64 v[96:99], v90 offset0:6 offset1:7
	v_dual_mov_b32 v40, v86 :: v_dual_mov_b32 v41, v89
	s_wait_dscnt 0x0
	v_pk_mul_f32 v[100:101], v[96:97], v[88:89] op_sel:[0,1]
	s_delay_alu instid0(VALU_DEP_1) | instskip(SKIP_1) | instid1(VALU_DEP_1)
	v_pk_fma_f32 v[102:103], v[96:97], v[86:87], v[100:101] op_sel:[0,0,1] op_sel_hi:[1,1,0] neg_lo:[0,0,1] neg_hi:[0,0,1]
	v_pk_fma_f32 v[96:97], v[96:97], v[86:87], v[100:101] op_sel:[0,0,1] op_sel_hi:[1,0,0]
	v_mov_b32_e32 v103, v97
	v_pk_mul_f32 v[96:97], v[98:99], v[88:89] op_sel:[0,1]
	s_delay_alu instid0(VALU_DEP_1) | instskip(SKIP_1) | instid1(VALU_DEP_1)
	v_pk_fma_f32 v[100:101], v[98:99], v[86:87], v[96:97] op_sel:[0,0,1] op_sel_hi:[1,1,0] neg_lo:[0,0,1] neg_hi:[0,0,1]
	v_pk_fma_f32 v[96:97], v[98:99], v[86:87], v[96:97] op_sel:[0,0,1] op_sel_hi:[1,0,0]
	v_mov_b32_e32 v101, v97
	ds_load_2addr_b64 v[96:99], v90 offset0:8 offset1:9
	v_pk_add_f32 v[42:43], v[42:43], v[102:103] neg_lo:[0,1] neg_hi:[0,1]
	v_pk_add_f32 v[10:11], v[10:11], v[100:101] neg_lo:[0,1] neg_hi:[0,1]
	s_wait_dscnt 0x0
	v_pk_mul_f32 v[100:101], v[96:97], v[88:89] op_sel:[0,1]
	s_delay_alu instid0(VALU_DEP_1) | instskip(SKIP_2) | instid1(VALU_DEP_2)
	v_pk_fma_f32 v[102:103], v[96:97], v[86:87], v[100:101] op_sel:[0,0,1] op_sel_hi:[1,1,0] neg_lo:[0,0,1] neg_hi:[0,0,1]
	v_pk_fma_f32 v[96:97], v[96:97], v[86:87], v[100:101] op_sel:[0,0,1] op_sel_hi:[1,0,0]
	v_dual_mul_f32 v100, v99, v89 :: v_dual_mov_b32 v96, v99
	v_dual_mov_b32 v103, v97 :: v_dual_mov_b32 v97, v98
	s_delay_alu instid0(VALU_DEP_2) | instskip(SKIP_1) | instid1(VALU_DEP_3)
	v_pk_fma_f32 v[100:101], v[98:99], v[40:41], v[100:101] op_sel_hi:[1,1,0] neg_lo:[0,0,1] neg_hi:[0,0,1]
	v_mul_f32_e32 v98, v99, v86
	v_pk_add_f32 v[50:51], v[50:51], v[102:103] neg_lo:[0,1] neg_hi:[0,1]
	s_delay_alu instid0(VALU_DEP_2) | instskip(NEXT) | instid1(VALU_DEP_1)
	v_pk_fma_f32 v[96:97], v[96:97], v[40:41], v[98:99] op_sel_hi:[1,1,0]
	v_mov_b32_e32 v101, v97
	ds_load_2addr_b64 v[96:99], v90 offset0:10 offset1:11
	v_pk_add_f32 v[46:47], v[46:47], v[100:101] neg_lo:[0,1] neg_hi:[0,1]
	s_wait_dscnt 0x0
	v_pk_mul_f32 v[100:101], v[96:97], v[88:89] op_sel:[0,1]
	s_delay_alu instid0(VALU_DEP_1) | instskip(SKIP_1) | instid1(VALU_DEP_1)
	v_pk_fma_f32 v[102:103], v[96:97], v[86:87], v[100:101] op_sel:[0,0,1] op_sel_hi:[1,1,0] neg_lo:[0,0,1] neg_hi:[0,0,1]
	v_pk_fma_f32 v[96:97], v[96:97], v[86:87], v[100:101] op_sel:[0,0,1] op_sel_hi:[1,0,0]
	v_mov_b32_e32 v103, v97
	v_pk_mul_f32 v[96:97], v[98:99], v[88:89] op_sel:[0,1]
	s_delay_alu instid0(VALU_DEP_1) | instskip(SKIP_1) | instid1(VALU_DEP_1)
	v_pk_fma_f32 v[100:101], v[98:99], v[86:87], v[96:97] op_sel:[0,0,1] op_sel_hi:[1,1,0] neg_lo:[0,0,1] neg_hi:[0,0,1]
	v_pk_fma_f32 v[96:97], v[98:99], v[86:87], v[96:97] op_sel:[0,0,1] op_sel_hi:[1,0,0]
	v_mov_b32_e32 v101, v97
	ds_load_2addr_b64 v[96:99], v90 offset0:12 offset1:13
	v_pk_add_f32 v[48:49], v[48:49], v[102:103] neg_lo:[0,1] neg_hi:[0,1]
	v_pk_add_f32 v[12:13], v[12:13], v[100:101] neg_lo:[0,1] neg_hi:[0,1]
	s_wait_dscnt 0x0
	v_pk_mul_f32 v[100:101], v[96:97], v[88:89] op_sel:[0,1]
	s_delay_alu instid0(VALU_DEP_1) | instskip(SKIP_1) | instid1(VALU_DEP_1)
	v_pk_fma_f32 v[102:103], v[96:97], v[86:87], v[100:101] op_sel:[0,0,1] op_sel_hi:[1,1,0] neg_lo:[0,0,1] neg_hi:[0,0,1]
	v_pk_fma_f32 v[96:97], v[96:97], v[86:87], v[100:101] op_sel:[0,0,1] op_sel_hi:[1,0,0]
	v_mov_b32_e32 v103, v97
	v_pk_mul_f32 v[96:97], v[98:99], v[88:89] op_sel:[0,1]
	s_delay_alu instid0(VALU_DEP_1) | instskip(SKIP_1) | instid1(VALU_DEP_1)
	v_pk_fma_f32 v[100:101], v[98:99], v[86:87], v[96:97] op_sel:[0,0,1] op_sel_hi:[1,1,0] neg_lo:[0,0,1] neg_hi:[0,0,1]
	v_pk_fma_f32 v[96:97], v[98:99], v[86:87], v[96:97] op_sel:[0,0,1] op_sel_hi:[1,0,0]
	v_mov_b32_e32 v101, v97
	ds_load_2addr_b64 v[96:99], v90 offset0:14 offset1:15
	v_pk_add_f32 v[74:75], v[74:75], v[102:103] neg_lo:[0,1] neg_hi:[0,1]
	v_pk_add_f32 v[70:71], v[70:71], v[100:101] neg_lo:[0,1] neg_hi:[0,1]
	s_wait_dscnt 0x0
	v_dual_mul_f32 v100, v97, v89 :: v_dual_mul_f32 v102, v97, v86
	s_delay_alu instid0(VALU_DEP_1) | instskip(NEXT) | instid1(VALU_DEP_2)
	v_pk_fma_f32 v[100:101], v[96:97], v[40:41], v[100:101] op_sel_hi:[1,1,0] neg_lo:[0,0,1] neg_hi:[0,0,1]
	v_pk_fma_f32 v[96:97], v[96:97], v[40:41], v[102:103] op_sel:[1,0,0] op_sel_hi:[0,1,0]
	s_delay_alu instid0(VALU_DEP_1) | instskip(SKIP_1) | instid1(VALU_DEP_2)
	v_mov_b32_e32 v101, v97
	v_pk_mul_f32 v[96:97], v[98:99], v[88:89] op_sel:[0,1]
	v_pk_add_f32 v[72:73], v[72:73], v[100:101] neg_lo:[0,1] neg_hi:[0,1]
	s_delay_alu instid0(VALU_DEP_2) | instskip(SKIP_1) | instid1(VALU_DEP_1)
	v_pk_fma_f32 v[100:101], v[98:99], v[86:87], v[96:97] op_sel:[0,0,1] op_sel_hi:[1,1,0] neg_lo:[0,0,1] neg_hi:[0,0,1]
	v_pk_fma_f32 v[96:97], v[98:99], v[86:87], v[96:97] op_sel:[0,0,1] op_sel_hi:[1,0,0]
	v_mov_b32_e32 v101, v97
	ds_load_2addr_b64 v[96:99], v90 offset0:16 offset1:17
	v_pk_add_f32 v[24:25], v[24:25], v[100:101] neg_lo:[0,1] neg_hi:[0,1]
	s_wait_dscnt 0x0
	v_pk_mul_f32 v[100:101], v[96:97], v[88:89] op_sel:[0,1]
	s_delay_alu instid0(VALU_DEP_1) | instskip(SKIP_1) | instid1(VALU_DEP_1)
	v_pk_fma_f32 v[102:103], v[96:97], v[86:87], v[100:101] op_sel:[0,0,1] op_sel_hi:[1,1,0] neg_lo:[0,0,1] neg_hi:[0,0,1]
	v_pk_fma_f32 v[96:97], v[96:97], v[86:87], v[100:101] op_sel:[0,0,1] op_sel_hi:[1,0,0]
	v_mov_b32_e32 v103, v97
	v_pk_mul_f32 v[96:97], v[98:99], v[88:89] op_sel:[0,1]
	s_delay_alu instid0(VALU_DEP_2) | instskip(NEXT) | instid1(VALU_DEP_2)
	v_pk_add_f32 v[68:69], v[68:69], v[102:103] neg_lo:[0,1] neg_hi:[0,1]
	v_pk_fma_f32 v[100:101], v[98:99], v[86:87], v[96:97] op_sel:[0,0,1] op_sel_hi:[1,1,0] neg_lo:[0,0,1] neg_hi:[0,0,1]
	v_pk_fma_f32 v[96:97], v[98:99], v[86:87], v[96:97] op_sel:[0,0,1] op_sel_hi:[1,0,0]
	s_delay_alu instid0(VALU_DEP_1) | instskip(SKIP_4) | instid1(VALU_DEP_1)
	v_mov_b32_e32 v101, v97
	ds_load_2addr_b64 v[96:99], v90 offset0:18 offset1:19
	v_pk_add_f32 v[64:65], v[64:65], v[100:101] neg_lo:[0,1] neg_hi:[0,1]
	s_wait_dscnt 0x0
	v_pk_mul_f32 v[100:101], v[96:97], v[88:89] op_sel:[0,1]
	v_pk_fma_f32 v[102:103], v[96:97], v[86:87], v[100:101] op_sel:[0,0,1] op_sel_hi:[1,1,0] neg_lo:[0,0,1] neg_hi:[0,0,1]
	v_pk_fma_f32 v[96:97], v[96:97], v[86:87], v[100:101] op_sel:[0,0,1] op_sel_hi:[1,0,0]
	v_dual_mul_f32 v100, v99, v89 :: v_dual_mov_b32 v96, v99
	s_delay_alu instid0(VALU_DEP_2) | instskip(NEXT) | instid1(VALU_DEP_2)
	v_dual_mov_b32 v103, v97 :: v_dual_mov_b32 v97, v98
	v_pk_fma_f32 v[100:101], v[98:99], v[40:41], v[100:101] op_sel_hi:[1,1,0] neg_lo:[0,0,1] neg_hi:[0,0,1]
	v_mul_f32_e32 v98, v99, v86
	s_delay_alu instid0(VALU_DEP_3) | instskip(NEXT) | instid1(VALU_DEP_2)
	v_pk_add_f32 v[66:67], v[66:67], v[102:103] neg_lo:[0,1] neg_hi:[0,1]
	v_pk_fma_f32 v[96:97], v[96:97], v[40:41], v[98:99] op_sel_hi:[1,1,0]
	s_delay_alu instid0(VALU_DEP_1) | instskip(SKIP_4) | instid1(VALU_DEP_1)
	v_mov_b32_e32 v101, v97
	ds_load_2addr_b64 v[96:99], v90 offset0:20 offset1:21
	v_pk_add_f32 v[22:23], v[22:23], v[100:101] neg_lo:[0,1] neg_hi:[0,1]
	s_wait_dscnt 0x0
	v_pk_mul_f32 v[100:101], v[96:97], v[88:89] op_sel:[0,1]
	v_pk_fma_f32 v[102:103], v[96:97], v[86:87], v[100:101] op_sel:[0,0,1] op_sel_hi:[1,1,0] neg_lo:[0,0,1] neg_hi:[0,0,1]
	v_pk_fma_f32 v[96:97], v[96:97], v[86:87], v[100:101] op_sel:[0,0,1] op_sel_hi:[1,0,0]
	s_delay_alu instid0(VALU_DEP_1) | instskip(SKIP_1) | instid1(VALU_DEP_1)
	v_mov_b32_e32 v103, v97
	v_pk_mul_f32 v[96:97], v[98:99], v[88:89] op_sel:[0,1]
	v_pk_fma_f32 v[100:101], v[98:99], v[86:87], v[96:97] op_sel:[0,0,1] op_sel_hi:[1,1,0] neg_lo:[0,0,1] neg_hi:[0,0,1]
	v_pk_fma_f32 v[96:97], v[98:99], v[86:87], v[96:97] op_sel:[0,0,1] op_sel_hi:[1,0,0]
	s_delay_alu instid0(VALU_DEP_1)
	v_mov_b32_e32 v101, v97
	ds_load_2addr_b64 v[96:99], v90 offset0:22 offset1:23
	v_pk_add_f32 v[62:63], v[62:63], v[102:103] neg_lo:[0,1] neg_hi:[0,1]
	v_pk_add_f32 v[58:59], v[58:59], v[100:101] neg_lo:[0,1] neg_hi:[0,1]
	s_wait_dscnt 0x0
	v_pk_mul_f32 v[100:101], v[96:97], v[88:89] op_sel:[0,1]
	s_delay_alu instid0(VALU_DEP_1) | instskip(SKIP_1) | instid1(VALU_DEP_1)
	v_pk_fma_f32 v[102:103], v[96:97], v[86:87], v[100:101] op_sel:[0,0,1] op_sel_hi:[1,1,0] neg_lo:[0,0,1] neg_hi:[0,0,1]
	v_pk_fma_f32 v[96:97], v[96:97], v[86:87], v[100:101] op_sel:[0,0,1] op_sel_hi:[1,0,0]
	v_mov_b32_e32 v103, v97
	v_pk_mul_f32 v[96:97], v[98:99], v[88:89] op_sel:[0,1]
	s_delay_alu instid0(VALU_DEP_1) | instskip(SKIP_1) | instid1(VALU_DEP_1)
	v_pk_fma_f32 v[100:101], v[98:99], v[86:87], v[96:97] op_sel:[0,0,1] op_sel_hi:[1,1,0] neg_lo:[0,0,1] neg_hi:[0,0,1]
	v_pk_fma_f32 v[96:97], v[98:99], v[86:87], v[96:97] op_sel:[0,0,1] op_sel_hi:[1,0,0]
	v_mov_b32_e32 v101, v97
	ds_load_2addr_b64 v[96:99], v90 offset0:24 offset1:25
	v_pk_add_f32 v[60:61], v[60:61], v[102:103] neg_lo:[0,1] neg_hi:[0,1]
	v_pk_add_f32 v[16:17], v[16:17], v[100:101] neg_lo:[0,1] neg_hi:[0,1]
	s_wait_dscnt 0x0
	v_dual_mul_f32 v100, v97, v89 :: v_dual_mul_f32 v102, v97, v86
	s_delay_alu instid0(VALU_DEP_1) | instskip(NEXT) | instid1(VALU_DEP_2)
	v_pk_fma_f32 v[100:101], v[96:97], v[40:41], v[100:101] op_sel_hi:[1,1,0] neg_lo:[0,0,1] neg_hi:[0,0,1]
	v_pk_fma_f32 v[96:97], v[96:97], v[40:41], v[102:103] op_sel:[1,0,0] op_sel_hi:[0,1,0]
	s_delay_alu instid0(VALU_DEP_1) | instskip(SKIP_1) | instid1(VALU_DEP_2)
	v_mov_b32_e32 v101, v97
	v_pk_mul_f32 v[96:97], v[98:99], v[88:89] op_sel:[0,1]
	v_pk_add_f32 v[56:57], v[56:57], v[100:101] neg_lo:[0,1] neg_hi:[0,1]
	s_delay_alu instid0(VALU_DEP_2) | instskip(SKIP_1) | instid1(VALU_DEP_1)
	v_pk_fma_f32 v[100:101], v[98:99], v[86:87], v[96:97] op_sel:[0,0,1] op_sel_hi:[1,1,0] neg_lo:[0,0,1] neg_hi:[0,0,1]
	v_pk_fma_f32 v[96:97], v[98:99], v[86:87], v[96:97] op_sel:[0,0,1] op_sel_hi:[1,0,0]
	v_mov_b32_e32 v101, v97
	ds_load_2addr_b64 v[96:99], v90 offset0:26 offset1:27
	v_pk_add_f32 v[52:53], v[52:53], v[100:101] neg_lo:[0,1] neg_hi:[0,1]
	s_wait_dscnt 0x0
	v_pk_mul_f32 v[100:101], v[96:97], v[88:89] op_sel:[0,1]
	s_delay_alu instid0(VALU_DEP_1) | instskip(SKIP_1) | instid1(VALU_DEP_1)
	v_pk_fma_f32 v[102:103], v[96:97], v[86:87], v[100:101] op_sel:[0,0,1] op_sel_hi:[1,1,0] neg_lo:[0,0,1] neg_hi:[0,0,1]
	v_pk_fma_f32 v[96:97], v[96:97], v[86:87], v[100:101] op_sel:[0,0,1] op_sel_hi:[1,0,0]
	v_mov_b32_e32 v103, v97
	v_pk_mul_f32 v[96:97], v[98:99], v[88:89] op_sel:[0,1]
	s_delay_alu instid0(VALU_DEP_2) | instskip(NEXT) | instid1(VALU_DEP_2)
	v_pk_add_f32 v[54:55], v[54:55], v[102:103] neg_lo:[0,1] neg_hi:[0,1]
	v_pk_fma_f32 v[100:101], v[98:99], v[86:87], v[96:97] op_sel:[0,0,1] op_sel_hi:[1,1,0] neg_lo:[0,0,1] neg_hi:[0,0,1]
	v_pk_fma_f32 v[96:97], v[98:99], v[86:87], v[96:97] op_sel:[0,0,1] op_sel_hi:[1,0,0]
	s_delay_alu instid0(VALU_DEP_1) | instskip(SKIP_4) | instid1(VALU_DEP_1)
	v_mov_b32_e32 v101, v97
	ds_load_2addr_b64 v[96:99], v90 offset0:28 offset1:29
	v_pk_add_f32 v[14:15], v[14:15], v[100:101] neg_lo:[0,1] neg_hi:[0,1]
	s_wait_dscnt 0x0
	v_pk_mul_f32 v[100:101], v[96:97], v[88:89] op_sel:[0,1]
	v_pk_fma_f32 v[102:103], v[96:97], v[86:87], v[100:101] op_sel:[0,0,1] op_sel_hi:[1,1,0] neg_lo:[0,0,1] neg_hi:[0,0,1]
	v_pk_fma_f32 v[96:97], v[96:97], v[86:87], v[100:101] op_sel:[0,0,1] op_sel_hi:[1,0,0]
	v_dual_mul_f32 v100, v99, v89 :: v_dual_mov_b32 v96, v99
	s_delay_alu instid0(VALU_DEP_2) | instskip(NEXT) | instid1(VALU_DEP_2)
	v_dual_mov_b32 v103, v97 :: v_dual_mov_b32 v97, v98
	v_pk_fma_f32 v[100:101], v[98:99], v[40:41], v[100:101] op_sel_hi:[1,1,0] neg_lo:[0,0,1] neg_hi:[0,0,1]
	v_mul_f32_e32 v98, v99, v86
	s_delay_alu instid0(VALU_DEP_3) | instskip(NEXT) | instid1(VALU_DEP_2)
	v_pk_add_f32 v[38:39], v[38:39], v[102:103] neg_lo:[0,1] neg_hi:[0,1]
	v_pk_fma_f32 v[96:97], v[96:97], v[40:41], v[98:99] op_sel_hi:[1,1,0]
	s_delay_alu instid0(VALU_DEP_1) | instskip(SKIP_4) | instid1(VALU_DEP_1)
	v_mov_b32_e32 v101, v97
	ds_load_2addr_b64 v[96:99], v90 offset0:30 offset1:31
	v_pk_add_f32 v[34:35], v[34:35], v[100:101] neg_lo:[0,1] neg_hi:[0,1]
	s_wait_dscnt 0x0
	v_pk_mul_f32 v[100:101], v[96:97], v[88:89] op_sel:[0,1]
	v_pk_fma_f32 v[102:103], v[96:97], v[86:87], v[100:101] op_sel:[0,0,1] op_sel_hi:[1,1,0] neg_lo:[0,0,1] neg_hi:[0,0,1]
	v_pk_fma_f32 v[96:97], v[96:97], v[86:87], v[100:101] op_sel:[0,0,1] op_sel_hi:[1,0,0]
	s_delay_alu instid0(VALU_DEP_1) | instskip(SKIP_1) | instid1(VALU_DEP_1)
	v_mov_b32_e32 v103, v97
	v_pk_mul_f32 v[96:97], v[98:99], v[88:89] op_sel:[0,1]
	v_pk_fma_f32 v[100:101], v[98:99], v[86:87], v[96:97] op_sel:[0,0,1] op_sel_hi:[1,1,0] neg_lo:[0,0,1] neg_hi:[0,0,1]
	v_pk_fma_f32 v[96:97], v[98:99], v[86:87], v[96:97] op_sel:[0,0,1] op_sel_hi:[1,0,0]
	s_delay_alu instid0(VALU_DEP_1)
	v_mov_b32_e32 v101, v97
	ds_load_2addr_b64 v[96:99], v90 offset0:32 offset1:33
	v_pk_add_f32 v[36:37], v[36:37], v[102:103] neg_lo:[0,1] neg_hi:[0,1]
	v_pk_add_f32 v[6:7], v[6:7], v[100:101] neg_lo:[0,1] neg_hi:[0,1]
	s_wait_dscnt 0x0
	v_pk_mul_f32 v[100:101], v[96:97], v[88:89] op_sel:[0,1]
	s_delay_alu instid0(VALU_DEP_1) | instskip(SKIP_1) | instid1(VALU_DEP_1)
	v_pk_fma_f32 v[102:103], v[96:97], v[86:87], v[100:101] op_sel:[0,0,1] op_sel_hi:[1,1,0] neg_lo:[0,0,1] neg_hi:[0,0,1]
	v_pk_fma_f32 v[96:97], v[96:97], v[86:87], v[100:101] op_sel:[0,0,1] op_sel_hi:[1,0,0]
	v_mov_b32_e32 v103, v97
	v_pk_mul_f32 v[96:97], v[98:99], v[88:89] op_sel:[0,1]
	s_delay_alu instid0(VALU_DEP_1) | instskip(SKIP_1) | instid1(VALU_DEP_1)
	v_pk_fma_f32 v[100:101], v[98:99], v[86:87], v[96:97] op_sel:[0,0,1] op_sel_hi:[1,1,0] neg_lo:[0,0,1] neg_hi:[0,0,1]
	v_pk_fma_f32 v[96:97], v[98:99], v[86:87], v[96:97] op_sel:[0,0,1] op_sel_hi:[1,0,0]
	v_mov_b32_e32 v101, v97
	ds_load_2addr_b64 v[96:99], v90 offset0:34 offset1:35
	v_pk_add_f32 v[32:33], v[32:33], v[102:103] neg_lo:[0,1] neg_hi:[0,1]
	v_pk_add_f32 v[28:29], v[28:29], v[100:101] neg_lo:[0,1] neg_hi:[0,1]
	s_wait_dscnt 0x0
	v_dual_mul_f32 v100, v97, v89 :: v_dual_mul_f32 v102, v97, v86
	s_delay_alu instid0(VALU_DEP_1) | instskip(NEXT) | instid1(VALU_DEP_2)
	v_pk_fma_f32 v[100:101], v[96:97], v[40:41], v[100:101] op_sel_hi:[1,1,0] neg_lo:[0,0,1] neg_hi:[0,0,1]
	v_pk_fma_f32 v[96:97], v[96:97], v[40:41], v[102:103] op_sel:[1,0,0] op_sel_hi:[0,1,0]
	s_delay_alu instid0(VALU_DEP_1) | instskip(SKIP_1) | instid1(VALU_DEP_2)
	v_mov_b32_e32 v101, v97
	v_pk_mul_f32 v[96:97], v[98:99], v[88:89] op_sel:[0,1]
	v_pk_add_f32 v[30:31], v[30:31], v[100:101] neg_lo:[0,1] neg_hi:[0,1]
	s_delay_alu instid0(VALU_DEP_2) | instskip(SKIP_1) | instid1(VALU_DEP_1)
	v_pk_fma_f32 v[100:101], v[98:99], v[86:87], v[96:97] op_sel:[0,0,1] op_sel_hi:[1,1,0] neg_lo:[0,0,1] neg_hi:[0,0,1]
	v_pk_fma_f32 v[96:97], v[98:99], v[86:87], v[96:97] op_sel:[0,0,1] op_sel_hi:[1,0,0]
	v_mov_b32_e32 v101, v97
	ds_load_2addr_b64 v[96:99], v90 offset0:36 offset1:37
	v_pk_add_f32 v[8:9], v[8:9], v[100:101] neg_lo:[0,1] neg_hi:[0,1]
	s_wait_dscnt 0x0
	v_pk_mul_f32 v[100:101], v[96:97], v[88:89] op_sel:[0,1]
	s_delay_alu instid0(VALU_DEP_1) | instskip(SKIP_1) | instid1(VALU_DEP_1)
	v_pk_fma_f32 v[102:103], v[96:97], v[86:87], v[100:101] op_sel:[0,0,1] op_sel_hi:[1,1,0] neg_lo:[0,0,1] neg_hi:[0,0,1]
	v_pk_fma_f32 v[96:97], v[96:97], v[86:87], v[100:101] op_sel:[0,0,1] op_sel_hi:[1,0,0]
	v_mov_b32_e32 v103, v97
	v_pk_mul_f32 v[96:97], v[98:99], v[88:89] op_sel:[0,1]
	s_delay_alu instid0(VALU_DEP_2) | instskip(NEXT) | instid1(VALU_DEP_2)
	v_pk_add_f32 v[26:27], v[26:27], v[102:103] neg_lo:[0,1] neg_hi:[0,1]
	v_pk_fma_f32 v[100:101], v[98:99], v[86:87], v[96:97] op_sel:[0,0,1] op_sel_hi:[1,1,0] neg_lo:[0,0,1] neg_hi:[0,0,1]
	v_pk_fma_f32 v[96:97], v[98:99], v[86:87], v[96:97] op_sel:[0,0,1] op_sel_hi:[1,0,0]
	s_delay_alu instid0(VALU_DEP_1)
	v_mov_b32_e32 v101, v97
	ds_load_2addr_b64 v[96:99], v90 offset0:38 offset1:39
	v_pk_add_f32 v[20:21], v[20:21], v[100:101] neg_lo:[0,1] neg_hi:[0,1]
	s_wait_dscnt 0x0
	v_pk_mul_f32 v[100:101], v[96:97], v[88:89] op_sel:[0,1]
	v_pk_mul_f32 v[88:89], v[98:99], v[88:89] op_sel:[0,1]
	s_delay_alu instid0(VALU_DEP_2) | instskip(SKIP_1) | instid1(VALU_DEP_1)
	v_pk_fma_f32 v[102:103], v[96:97], v[86:87], v[100:101] op_sel:[0,0,1] op_sel_hi:[1,1,0] neg_lo:[0,0,1] neg_hi:[0,0,1]
	v_pk_fma_f32 v[96:97], v[96:97], v[86:87], v[100:101] op_sel:[0,0,1] op_sel_hi:[1,0,0]
	v_mov_b32_e32 v103, v97
	s_delay_alu instid0(VALU_DEP_4) | instskip(SKIP_1) | instid1(VALU_DEP_3)
	v_pk_fma_f32 v[96:97], v[98:99], v[86:87], v[88:89] op_sel:[0,0,1] op_sel_hi:[1,1,0] neg_lo:[0,0,1] neg_hi:[0,0,1]
	v_pk_fma_f32 v[86:87], v[98:99], v[86:87], v[88:89] op_sel:[0,0,1] op_sel_hi:[1,0,0]
	v_pk_add_f32 v[18:19], v[18:19], v[102:103] neg_lo:[0,1] neg_hi:[0,1]
	s_delay_alu instid0(VALU_DEP_2) | instskip(NEXT) | instid1(VALU_DEP_1)
	v_mov_b32_e32 v97, v87
	v_pk_add_f32 v[84:85], v[84:85], v[96:97] neg_lo:[0,1] neg_hi:[0,1]
.LBB78_125:
	s_or_b32 exec_lo, exec_lo, s0
	v_lshl_add_u32 v86, v94, 3, v90
	s_barrier_signal -1
	s_barrier_wait -1
	ds_store_b64 v86, v[42:43]
	s_wait_dscnt 0x0
	s_barrier_signal -1
	s_barrier_wait -1
	ds_load_b64 v[88:89], v90 offset:48
	v_mov_b32_e32 v86, 6
	s_cmp_lt_i32 s18, 8
	s_cbranch_scc1 .LBB78_128
; %bb.126:
	v_add3_u32 v87, v91, 0, 56
	v_mov_b32_e32 v86, 6
	s_mov_b32 s0, 7
.LBB78_127:                             ; =>This Inner Loop Header: Depth=1
	ds_load_b64 v[96:97], v87
	s_wait_dscnt 0x1
	v_cmp_gt_f32_e32 vcc_lo, 0, v88
	v_cndmask_b32_e64 v98, v88, -v88, vcc_lo
	v_cmp_gt_f32_e32 vcc_lo, 0, v89
	v_cndmask_b32_e64 v100, v89, -v89, vcc_lo
	s_wait_dscnt 0x0
	v_cmp_gt_f32_e32 vcc_lo, 0, v96
	v_cndmask_b32_e64 v99, v96, -v96, vcc_lo
	v_cmp_gt_f32_e32 vcc_lo, 0, v97
	v_cndmask_b32_e64 v101, v97, -v97, vcc_lo
	s_delay_alu instid0(VALU_DEP_1) | instskip(NEXT) | instid1(VALU_DEP_1)
	v_pk_add_f32 v[98:99], v[98:99], v[100:101]
	v_cmp_lt_f32_e32 vcc_lo, v98, v99
	v_dual_add_nc_u32 v87, 8, v87 :: v_dual_cndmask_b32 v89, v89, v97, vcc_lo
	v_cndmask_b32_e32 v88, v88, v96, vcc_lo
	v_cndmask_b32_e64 v86, v86, s0, vcc_lo
	s_add_co_i32 s0, s0, 1
	s_delay_alu instid0(SALU_CYCLE_1)
	s_cmp_lg_u32 s18, s0
	s_cbranch_scc1 .LBB78_127
.LBB78_128:
	s_wait_dscnt 0x0
	v_cmp_eq_f32_e32 vcc_lo, 0, v88
	v_cmp_eq_f32_e64 s0, 0, v89
	s_and_b32 s0, vcc_lo, s0
	s_delay_alu instid0(SALU_CYCLE_1) | instskip(NEXT) | instid1(SALU_CYCLE_1)
	s_and_saveexec_b32 s1, s0
	s_xor_b32 s0, exec_lo, s1
; %bb.129:
	v_cmp_ne_u32_e32 vcc_lo, 0, v92
	v_cndmask_b32_e32 v92, 7, v92, vcc_lo
; %bb.130:
	s_and_not1_saveexec_b32 s0, s0
	s_cbranch_execz .LBB78_136
; %bb.131:
	v_cmp_ngt_f32_e64 s1, |v88|, |v89|
	s_and_saveexec_b32 s12, s1
	s_delay_alu instid0(SALU_CYCLE_1)
	s_xor_b32 s1, exec_lo, s12
	s_cbranch_execz .LBB78_133
; %bb.132:
	v_div_scale_f32 v87, null, v89, v89, v88
	v_div_scale_f32 v97, vcc_lo, v88, v89, v88
	s_delay_alu instid0(VALU_DEP_2) | instskip(SKIP_1) | instid1(TRANS32_DEP_1)
	v_rcp_f32_e32 v95, v87
	v_nop
	v_fma_f32 v96, -v87, v95, 1.0
	s_delay_alu instid0(VALU_DEP_1) | instskip(NEXT) | instid1(VALU_DEP_1)
	v_fmac_f32_e32 v95, v96, v95
	v_mul_f32_e32 v96, v97, v95
	s_delay_alu instid0(VALU_DEP_1) | instskip(NEXT) | instid1(VALU_DEP_1)
	v_fma_f32 v98, -v87, v96, v97
	v_fmac_f32_e32 v96, v98, v95
	s_delay_alu instid0(VALU_DEP_1) | instskip(NEXT) | instid1(VALU_DEP_1)
	v_fma_f32 v87, -v87, v96, v97
	v_div_fmas_f32 v87, v87, v95, v96
	s_delay_alu instid0(VALU_DEP_1) | instskip(NEXT) | instid1(VALU_DEP_1)
	v_div_fixup_f32 v87, v87, v89, v88
	v_fmac_f32_e32 v89, v88, v87
	s_delay_alu instid0(VALU_DEP_1) | instskip(SKIP_1) | instid1(VALU_DEP_2)
	v_div_scale_f32 v88, null, v89, v89, 1.0
	v_div_scale_f32 v97, vcc_lo, 1.0, v89, 1.0
	v_rcp_f32_e32 v95, v88
	v_nop
	s_delay_alu instid0(TRANS32_DEP_1) | instskip(NEXT) | instid1(VALU_DEP_1)
	v_fma_f32 v96, -v88, v95, 1.0
	v_fmac_f32_e32 v95, v96, v95
	s_delay_alu instid0(VALU_DEP_1) | instskip(NEXT) | instid1(VALU_DEP_1)
	v_mul_f32_e32 v96, v97, v95
	v_fma_f32 v98, -v88, v96, v97
	s_delay_alu instid0(VALU_DEP_1) | instskip(NEXT) | instid1(VALU_DEP_1)
	v_fmac_f32_e32 v96, v98, v95
	v_fma_f32 v88, -v88, v96, v97
	s_delay_alu instid0(VALU_DEP_1) | instskip(NEXT) | instid1(VALU_DEP_1)
	v_div_fmas_f32 v88, v88, v95, v96
	v_div_fixup_f32 v89, v88, v89, 1.0
	s_delay_alu instid0(VALU_DEP_1)
	v_mul_f32_e32 v88, v87, v89
	v_xor_b32_e32 v89, 0x80000000, v89
.LBB78_133:
	s_and_not1_saveexec_b32 s1, s1
	s_cbranch_execz .LBB78_135
; %bb.134:
	s_delay_alu instid0(VALU_DEP_1) | instskip(SKIP_1) | instid1(VALU_DEP_2)
	v_div_scale_f32 v87, null, v88, v88, v89
	v_div_scale_f32 v97, vcc_lo, v89, v88, v89
	v_rcp_f32_e32 v95, v87
	v_nop
	s_delay_alu instid0(TRANS32_DEP_1) | instskip(NEXT) | instid1(VALU_DEP_1)
	v_fma_f32 v96, -v87, v95, 1.0
	v_fmac_f32_e32 v95, v96, v95
	s_delay_alu instid0(VALU_DEP_1) | instskip(NEXT) | instid1(VALU_DEP_1)
	v_mul_f32_e32 v96, v97, v95
	v_fma_f32 v98, -v87, v96, v97
	s_delay_alu instid0(VALU_DEP_1) | instskip(NEXT) | instid1(VALU_DEP_1)
	v_fmac_f32_e32 v96, v98, v95
	v_fma_f32 v87, -v87, v96, v97
	s_delay_alu instid0(VALU_DEP_1) | instskip(NEXT) | instid1(VALU_DEP_1)
	v_div_fmas_f32 v87, v87, v95, v96
	v_div_fixup_f32 v87, v87, v88, v89
	s_delay_alu instid0(VALU_DEP_1) | instskip(NEXT) | instid1(VALU_DEP_1)
	v_fmac_f32_e32 v88, v89, v87
	v_div_scale_f32 v89, null, v88, v88, 1.0
	s_delay_alu instid0(VALU_DEP_1) | instskip(SKIP_1) | instid1(TRANS32_DEP_1)
	v_rcp_f32_e32 v95, v89
	v_nop
	v_fma_f32 v96, -v89, v95, 1.0
	s_delay_alu instid0(VALU_DEP_1) | instskip(SKIP_1) | instid1(VALU_DEP_1)
	v_fmac_f32_e32 v95, v96, v95
	v_div_scale_f32 v96, vcc_lo, 1.0, v88, 1.0
	v_mul_f32_e32 v97, v96, v95
	s_delay_alu instid0(VALU_DEP_1) | instskip(NEXT) | instid1(VALU_DEP_1)
	v_fma_f32 v98, -v89, v97, v96
	v_fmac_f32_e32 v97, v98, v95
	s_delay_alu instid0(VALU_DEP_1) | instskip(NEXT) | instid1(VALU_DEP_1)
	v_fma_f32 v89, -v89, v97, v96
	v_div_fmas_f32 v89, v89, v95, v97
	s_delay_alu instid0(VALU_DEP_1) | instskip(NEXT) | instid1(VALU_DEP_1)
	v_div_fixup_f32 v88, v89, v88, 1.0
	v_mul_f32_e64 v89, v87, -v88
.LBB78_135:
	s_or_b32 exec_lo, exec_lo, s1
.LBB78_136:
	s_delay_alu instid0(SALU_CYCLE_1) | instskip(NEXT) | instid1(SALU_CYCLE_1)
	s_or_b32 exec_lo, exec_lo, s0
	s_mov_b32 s0, exec_lo
	v_cmpx_ne_u32_e64 v94, v86
	s_xor_b32 s0, exec_lo, s0
	s_cbranch_execz .LBB78_142
; %bb.137:
	s_mov_b32 s1, exec_lo
	v_cmpx_eq_u32_e32 6, v94
	s_cbranch_execz .LBB78_141
; %bb.138:
	v_cmp_ne_u32_e32 vcc_lo, 6, v86
	s_xor_b32 s12, s16, -1
	s_delay_alu instid0(SALU_CYCLE_1) | instskip(NEXT) | instid1(SALU_CYCLE_1)
	s_and_b32 s13, s12, vcc_lo
	s_and_saveexec_b32 s12, s13
	s_cbranch_execz .LBB78_140
; %bb.139:
	v_ashrrev_i32_e32 v87, 31, v86
	s_delay_alu instid0(VALU_DEP_1)
	v_lshl_add_u64 v[94:95], v[86:87], 2, v[4:5]
	s_clause 0x1
	global_load_b32 v87, v[94:95], off
	global_load_b32 v93, v[4:5], off offset:24
	s_wait_loadcnt 0x1
	global_store_b32 v[4:5], v87, off offset:24
	s_wait_loadcnt 0x0
	global_store_b32 v[94:95], v93, off
.LBB78_140:
	s_wait_xcnt 0x0
	s_or_b32 exec_lo, exec_lo, s12
	v_dual_mov_b32 v94, v86 :: v_dual_mov_b32 v93, v86
.LBB78_141:
	s_or_b32 exec_lo, exec_lo, s1
.LBB78_142:
	s_and_not1_saveexec_b32 s0, s0
	s_cbranch_execz .LBB78_144
; %bb.143:
	v_mov_b32_e32 v94, 6
	ds_store_2addr_b64 v90, v[10:11], v[50:51] offset0:7 offset1:8
	ds_store_2addr_b64 v90, v[46:47], v[48:49] offset0:9 offset1:10
	ds_store_2addr_b64 v90, v[12:13], v[74:75] offset0:11 offset1:12
	ds_store_2addr_b64 v90, v[70:71], v[72:73] offset0:13 offset1:14
	ds_store_2addr_b64 v90, v[24:25], v[68:69] offset0:15 offset1:16
	ds_store_2addr_b64 v90, v[64:65], v[66:67] offset0:17 offset1:18
	ds_store_2addr_b64 v90, v[22:23], v[62:63] offset0:19 offset1:20
	ds_store_2addr_b64 v90, v[58:59], v[60:61] offset0:21 offset1:22
	ds_store_2addr_b64 v90, v[16:17], v[56:57] offset0:23 offset1:24
	ds_store_2addr_b64 v90, v[52:53], v[54:55] offset0:25 offset1:26
	ds_store_2addr_b64 v90, v[14:15], v[38:39] offset0:27 offset1:28
	ds_store_2addr_b64 v90, v[34:35], v[36:37] offset0:29 offset1:30
	ds_store_2addr_b64 v90, v[6:7], v[32:33] offset0:31 offset1:32
	ds_store_2addr_b64 v90, v[28:29], v[30:31] offset0:33 offset1:34
	ds_store_2addr_b64 v90, v[8:9], v[26:27] offset0:35 offset1:36
	ds_store_2addr_b64 v90, v[20:21], v[18:19] offset0:37 offset1:38
	ds_store_b64 v90, v[84:85] offset:312
.LBB78_144:
	s_or_b32 exec_lo, exec_lo, s0
	s_delay_alu instid0(SALU_CYCLE_1)
	s_mov_b32 s0, exec_lo
	s_wait_storecnt_dscnt 0x0
	s_barrier_signal -1
	s_barrier_wait -1
	v_cmpx_lt_i32_e32 6, v94
	s_cbranch_execz .LBB78_146
; %bb.145:
	v_pk_mul_f32 v[96:97], v[88:89], v[42:43] op_sel:[1,1] op_sel_hi:[0,1]
	s_delay_alu instid0(VALU_DEP_1)
	v_pk_fma_f32 v[86:87], v[88:89], v[42:43], v[96:97] op_sel_hi:[1,0,1] neg_lo:[0,0,1] neg_hi:[0,0,1]
	v_pk_fma_f32 v[88:89], v[88:89], v[42:43], v[96:97] op_sel_hi:[1,0,1]
	ds_load_2addr_b64 v[96:99], v90 offset0:7 offset1:8
	v_dual_mov_b32 v42, v86 :: v_dual_mov_b32 v43, v89
	s_wait_dscnt 0x0
	v_pk_mul_f32 v[100:101], v[96:97], v[88:89] op_sel:[0,1]
	s_delay_alu instid0(VALU_DEP_1) | instskip(SKIP_1) | instid1(VALU_DEP_1)
	v_pk_fma_f32 v[102:103], v[96:97], v[86:87], v[100:101] op_sel:[0,0,1] op_sel_hi:[1,1,0] neg_lo:[0,0,1] neg_hi:[0,0,1]
	v_pk_fma_f32 v[96:97], v[96:97], v[86:87], v[100:101] op_sel:[0,0,1] op_sel_hi:[1,0,0]
	v_mov_b32_e32 v103, v97
	v_pk_mul_f32 v[96:97], v[98:99], v[88:89] op_sel:[0,1]
	s_delay_alu instid0(VALU_DEP_1) | instskip(SKIP_1) | instid1(VALU_DEP_1)
	v_pk_fma_f32 v[100:101], v[98:99], v[86:87], v[96:97] op_sel:[0,0,1] op_sel_hi:[1,1,0] neg_lo:[0,0,1] neg_hi:[0,0,1]
	v_pk_fma_f32 v[96:97], v[98:99], v[86:87], v[96:97] op_sel:[0,0,1] op_sel_hi:[1,0,0]
	v_mov_b32_e32 v101, v97
	ds_load_2addr_b64 v[96:99], v90 offset0:9 offset1:10
	v_pk_add_f32 v[10:11], v[10:11], v[102:103] neg_lo:[0,1] neg_hi:[0,1]
	v_pk_add_f32 v[50:51], v[50:51], v[100:101] neg_lo:[0,1] neg_hi:[0,1]
	s_wait_dscnt 0x0
	v_pk_mul_f32 v[100:101], v[96:97], v[88:89] op_sel:[0,1]
	s_delay_alu instid0(VALU_DEP_1) | instskip(SKIP_2) | instid1(VALU_DEP_2)
	v_pk_fma_f32 v[102:103], v[96:97], v[86:87], v[100:101] op_sel:[0,0,1] op_sel_hi:[1,1,0] neg_lo:[0,0,1] neg_hi:[0,0,1]
	v_pk_fma_f32 v[96:97], v[96:97], v[86:87], v[100:101] op_sel:[0,0,1] op_sel_hi:[1,0,0]
	v_dual_mul_f32 v100, v99, v89 :: v_dual_mov_b32 v96, v99
	v_dual_mov_b32 v103, v97 :: v_dual_mov_b32 v97, v98
	s_delay_alu instid0(VALU_DEP_2) | instskip(SKIP_1) | instid1(VALU_DEP_3)
	v_pk_fma_f32 v[100:101], v[98:99], v[42:43], v[100:101] op_sel_hi:[1,1,0] neg_lo:[0,0,1] neg_hi:[0,0,1]
	v_mul_f32_e32 v98, v99, v86
	v_pk_add_f32 v[46:47], v[46:47], v[102:103] neg_lo:[0,1] neg_hi:[0,1]
	s_delay_alu instid0(VALU_DEP_2) | instskip(NEXT) | instid1(VALU_DEP_1)
	v_pk_fma_f32 v[96:97], v[96:97], v[42:43], v[98:99] op_sel_hi:[1,1,0]
	v_mov_b32_e32 v101, v97
	ds_load_2addr_b64 v[96:99], v90 offset0:11 offset1:12
	v_pk_add_f32 v[48:49], v[48:49], v[100:101] neg_lo:[0,1] neg_hi:[0,1]
	s_wait_dscnt 0x0
	v_pk_mul_f32 v[100:101], v[96:97], v[88:89] op_sel:[0,1]
	s_delay_alu instid0(VALU_DEP_1) | instskip(SKIP_1) | instid1(VALU_DEP_1)
	v_pk_fma_f32 v[102:103], v[96:97], v[86:87], v[100:101] op_sel:[0,0,1] op_sel_hi:[1,1,0] neg_lo:[0,0,1] neg_hi:[0,0,1]
	v_pk_fma_f32 v[96:97], v[96:97], v[86:87], v[100:101] op_sel:[0,0,1] op_sel_hi:[1,0,0]
	v_mov_b32_e32 v103, v97
	v_pk_mul_f32 v[96:97], v[98:99], v[88:89] op_sel:[0,1]
	s_delay_alu instid0(VALU_DEP_1) | instskip(SKIP_1) | instid1(VALU_DEP_1)
	v_pk_fma_f32 v[100:101], v[98:99], v[86:87], v[96:97] op_sel:[0,0,1] op_sel_hi:[1,1,0] neg_lo:[0,0,1] neg_hi:[0,0,1]
	v_pk_fma_f32 v[96:97], v[98:99], v[86:87], v[96:97] op_sel:[0,0,1] op_sel_hi:[1,0,0]
	v_mov_b32_e32 v101, v97
	ds_load_2addr_b64 v[96:99], v90 offset0:13 offset1:14
	v_pk_add_f32 v[12:13], v[12:13], v[102:103] neg_lo:[0,1] neg_hi:[0,1]
	v_pk_add_f32 v[74:75], v[74:75], v[100:101] neg_lo:[0,1] neg_hi:[0,1]
	s_wait_dscnt 0x0
	v_pk_mul_f32 v[100:101], v[96:97], v[88:89] op_sel:[0,1]
	s_delay_alu instid0(VALU_DEP_1) | instskip(SKIP_1) | instid1(VALU_DEP_1)
	v_pk_fma_f32 v[102:103], v[96:97], v[86:87], v[100:101] op_sel:[0,0,1] op_sel_hi:[1,1,0] neg_lo:[0,0,1] neg_hi:[0,0,1]
	v_pk_fma_f32 v[96:97], v[96:97], v[86:87], v[100:101] op_sel:[0,0,1] op_sel_hi:[1,0,0]
	v_mov_b32_e32 v103, v97
	v_pk_mul_f32 v[96:97], v[98:99], v[88:89] op_sel:[0,1]
	s_delay_alu instid0(VALU_DEP_1) | instskip(SKIP_1) | instid1(VALU_DEP_1)
	v_pk_fma_f32 v[100:101], v[98:99], v[86:87], v[96:97] op_sel:[0,0,1] op_sel_hi:[1,1,0] neg_lo:[0,0,1] neg_hi:[0,0,1]
	v_pk_fma_f32 v[96:97], v[98:99], v[86:87], v[96:97] op_sel:[0,0,1] op_sel_hi:[1,0,0]
	v_mov_b32_e32 v101, v97
	ds_load_2addr_b64 v[96:99], v90 offset0:15 offset1:16
	v_pk_add_f32 v[70:71], v[70:71], v[102:103] neg_lo:[0,1] neg_hi:[0,1]
	v_pk_add_f32 v[72:73], v[72:73], v[100:101] neg_lo:[0,1] neg_hi:[0,1]
	s_wait_dscnt 0x0
	v_dual_mul_f32 v100, v97, v89 :: v_dual_mul_f32 v102, v97, v86
	s_delay_alu instid0(VALU_DEP_1) | instskip(NEXT) | instid1(VALU_DEP_2)
	v_pk_fma_f32 v[100:101], v[96:97], v[42:43], v[100:101] op_sel_hi:[1,1,0] neg_lo:[0,0,1] neg_hi:[0,0,1]
	v_pk_fma_f32 v[96:97], v[96:97], v[42:43], v[102:103] op_sel:[1,0,0] op_sel_hi:[0,1,0]
	s_delay_alu instid0(VALU_DEP_1) | instskip(SKIP_1) | instid1(VALU_DEP_2)
	v_mov_b32_e32 v101, v97
	v_pk_mul_f32 v[96:97], v[98:99], v[88:89] op_sel:[0,1]
	v_pk_add_f32 v[24:25], v[24:25], v[100:101] neg_lo:[0,1] neg_hi:[0,1]
	s_delay_alu instid0(VALU_DEP_2) | instskip(SKIP_1) | instid1(VALU_DEP_1)
	v_pk_fma_f32 v[100:101], v[98:99], v[86:87], v[96:97] op_sel:[0,0,1] op_sel_hi:[1,1,0] neg_lo:[0,0,1] neg_hi:[0,0,1]
	v_pk_fma_f32 v[96:97], v[98:99], v[86:87], v[96:97] op_sel:[0,0,1] op_sel_hi:[1,0,0]
	v_mov_b32_e32 v101, v97
	ds_load_2addr_b64 v[96:99], v90 offset0:17 offset1:18
	v_pk_add_f32 v[68:69], v[68:69], v[100:101] neg_lo:[0,1] neg_hi:[0,1]
	s_wait_dscnt 0x0
	v_pk_mul_f32 v[100:101], v[96:97], v[88:89] op_sel:[0,1]
	s_delay_alu instid0(VALU_DEP_1) | instskip(SKIP_1) | instid1(VALU_DEP_1)
	v_pk_fma_f32 v[102:103], v[96:97], v[86:87], v[100:101] op_sel:[0,0,1] op_sel_hi:[1,1,0] neg_lo:[0,0,1] neg_hi:[0,0,1]
	v_pk_fma_f32 v[96:97], v[96:97], v[86:87], v[100:101] op_sel:[0,0,1] op_sel_hi:[1,0,0]
	v_mov_b32_e32 v103, v97
	v_pk_mul_f32 v[96:97], v[98:99], v[88:89] op_sel:[0,1]
	s_delay_alu instid0(VALU_DEP_2) | instskip(NEXT) | instid1(VALU_DEP_2)
	v_pk_add_f32 v[64:65], v[64:65], v[102:103] neg_lo:[0,1] neg_hi:[0,1]
	v_pk_fma_f32 v[100:101], v[98:99], v[86:87], v[96:97] op_sel:[0,0,1] op_sel_hi:[1,1,0] neg_lo:[0,0,1] neg_hi:[0,0,1]
	v_pk_fma_f32 v[96:97], v[98:99], v[86:87], v[96:97] op_sel:[0,0,1] op_sel_hi:[1,0,0]
	s_delay_alu instid0(VALU_DEP_1) | instskip(SKIP_4) | instid1(VALU_DEP_1)
	v_mov_b32_e32 v101, v97
	ds_load_2addr_b64 v[96:99], v90 offset0:19 offset1:20
	v_pk_add_f32 v[66:67], v[66:67], v[100:101] neg_lo:[0,1] neg_hi:[0,1]
	s_wait_dscnt 0x0
	v_pk_mul_f32 v[100:101], v[96:97], v[88:89] op_sel:[0,1]
	v_pk_fma_f32 v[102:103], v[96:97], v[86:87], v[100:101] op_sel:[0,0,1] op_sel_hi:[1,1,0] neg_lo:[0,0,1] neg_hi:[0,0,1]
	v_pk_fma_f32 v[96:97], v[96:97], v[86:87], v[100:101] op_sel:[0,0,1] op_sel_hi:[1,0,0]
	v_dual_mul_f32 v100, v99, v89 :: v_dual_mov_b32 v96, v99
	s_delay_alu instid0(VALU_DEP_2) | instskip(NEXT) | instid1(VALU_DEP_2)
	v_dual_mov_b32 v103, v97 :: v_dual_mov_b32 v97, v98
	v_pk_fma_f32 v[100:101], v[98:99], v[42:43], v[100:101] op_sel_hi:[1,1,0] neg_lo:[0,0,1] neg_hi:[0,0,1]
	v_mul_f32_e32 v98, v99, v86
	s_delay_alu instid0(VALU_DEP_3) | instskip(NEXT) | instid1(VALU_DEP_2)
	v_pk_add_f32 v[22:23], v[22:23], v[102:103] neg_lo:[0,1] neg_hi:[0,1]
	v_pk_fma_f32 v[96:97], v[96:97], v[42:43], v[98:99] op_sel_hi:[1,1,0]
	s_delay_alu instid0(VALU_DEP_1) | instskip(SKIP_4) | instid1(VALU_DEP_1)
	v_mov_b32_e32 v101, v97
	ds_load_2addr_b64 v[96:99], v90 offset0:21 offset1:22
	v_pk_add_f32 v[62:63], v[62:63], v[100:101] neg_lo:[0,1] neg_hi:[0,1]
	s_wait_dscnt 0x0
	v_pk_mul_f32 v[100:101], v[96:97], v[88:89] op_sel:[0,1]
	v_pk_fma_f32 v[102:103], v[96:97], v[86:87], v[100:101] op_sel:[0,0,1] op_sel_hi:[1,1,0] neg_lo:[0,0,1] neg_hi:[0,0,1]
	v_pk_fma_f32 v[96:97], v[96:97], v[86:87], v[100:101] op_sel:[0,0,1] op_sel_hi:[1,0,0]
	s_delay_alu instid0(VALU_DEP_1) | instskip(SKIP_1) | instid1(VALU_DEP_1)
	v_mov_b32_e32 v103, v97
	v_pk_mul_f32 v[96:97], v[98:99], v[88:89] op_sel:[0,1]
	v_pk_fma_f32 v[100:101], v[98:99], v[86:87], v[96:97] op_sel:[0,0,1] op_sel_hi:[1,1,0] neg_lo:[0,0,1] neg_hi:[0,0,1]
	v_pk_fma_f32 v[96:97], v[98:99], v[86:87], v[96:97] op_sel:[0,0,1] op_sel_hi:[1,0,0]
	s_delay_alu instid0(VALU_DEP_1)
	v_mov_b32_e32 v101, v97
	ds_load_2addr_b64 v[96:99], v90 offset0:23 offset1:24
	v_pk_add_f32 v[58:59], v[58:59], v[102:103] neg_lo:[0,1] neg_hi:[0,1]
	v_pk_add_f32 v[60:61], v[60:61], v[100:101] neg_lo:[0,1] neg_hi:[0,1]
	s_wait_dscnt 0x0
	v_pk_mul_f32 v[100:101], v[96:97], v[88:89] op_sel:[0,1]
	s_delay_alu instid0(VALU_DEP_1) | instskip(SKIP_1) | instid1(VALU_DEP_1)
	v_pk_fma_f32 v[102:103], v[96:97], v[86:87], v[100:101] op_sel:[0,0,1] op_sel_hi:[1,1,0] neg_lo:[0,0,1] neg_hi:[0,0,1]
	v_pk_fma_f32 v[96:97], v[96:97], v[86:87], v[100:101] op_sel:[0,0,1] op_sel_hi:[1,0,0]
	v_mov_b32_e32 v103, v97
	v_pk_mul_f32 v[96:97], v[98:99], v[88:89] op_sel:[0,1]
	s_delay_alu instid0(VALU_DEP_1) | instskip(SKIP_1) | instid1(VALU_DEP_1)
	v_pk_fma_f32 v[100:101], v[98:99], v[86:87], v[96:97] op_sel:[0,0,1] op_sel_hi:[1,1,0] neg_lo:[0,0,1] neg_hi:[0,0,1]
	v_pk_fma_f32 v[96:97], v[98:99], v[86:87], v[96:97] op_sel:[0,0,1] op_sel_hi:[1,0,0]
	v_mov_b32_e32 v101, v97
	ds_load_2addr_b64 v[96:99], v90 offset0:25 offset1:26
	v_pk_add_f32 v[16:17], v[16:17], v[102:103] neg_lo:[0,1] neg_hi:[0,1]
	v_pk_add_f32 v[56:57], v[56:57], v[100:101] neg_lo:[0,1] neg_hi:[0,1]
	s_wait_dscnt 0x0
	v_dual_mul_f32 v100, v97, v89 :: v_dual_mul_f32 v102, v97, v86
	s_delay_alu instid0(VALU_DEP_1) | instskip(NEXT) | instid1(VALU_DEP_2)
	v_pk_fma_f32 v[100:101], v[96:97], v[42:43], v[100:101] op_sel_hi:[1,1,0] neg_lo:[0,0,1] neg_hi:[0,0,1]
	v_pk_fma_f32 v[96:97], v[96:97], v[42:43], v[102:103] op_sel:[1,0,0] op_sel_hi:[0,1,0]
	s_delay_alu instid0(VALU_DEP_1) | instskip(SKIP_1) | instid1(VALU_DEP_2)
	v_mov_b32_e32 v101, v97
	v_pk_mul_f32 v[96:97], v[98:99], v[88:89] op_sel:[0,1]
	v_pk_add_f32 v[52:53], v[52:53], v[100:101] neg_lo:[0,1] neg_hi:[0,1]
	s_delay_alu instid0(VALU_DEP_2) | instskip(SKIP_1) | instid1(VALU_DEP_1)
	v_pk_fma_f32 v[100:101], v[98:99], v[86:87], v[96:97] op_sel:[0,0,1] op_sel_hi:[1,1,0] neg_lo:[0,0,1] neg_hi:[0,0,1]
	v_pk_fma_f32 v[96:97], v[98:99], v[86:87], v[96:97] op_sel:[0,0,1] op_sel_hi:[1,0,0]
	v_mov_b32_e32 v101, v97
	ds_load_2addr_b64 v[96:99], v90 offset0:27 offset1:28
	v_pk_add_f32 v[54:55], v[54:55], v[100:101] neg_lo:[0,1] neg_hi:[0,1]
	s_wait_dscnt 0x0
	v_pk_mul_f32 v[100:101], v[96:97], v[88:89] op_sel:[0,1]
	s_delay_alu instid0(VALU_DEP_1) | instskip(SKIP_1) | instid1(VALU_DEP_1)
	v_pk_fma_f32 v[102:103], v[96:97], v[86:87], v[100:101] op_sel:[0,0,1] op_sel_hi:[1,1,0] neg_lo:[0,0,1] neg_hi:[0,0,1]
	v_pk_fma_f32 v[96:97], v[96:97], v[86:87], v[100:101] op_sel:[0,0,1] op_sel_hi:[1,0,0]
	v_mov_b32_e32 v103, v97
	v_pk_mul_f32 v[96:97], v[98:99], v[88:89] op_sel:[0,1]
	s_delay_alu instid0(VALU_DEP_2) | instskip(NEXT) | instid1(VALU_DEP_2)
	v_pk_add_f32 v[14:15], v[14:15], v[102:103] neg_lo:[0,1] neg_hi:[0,1]
	v_pk_fma_f32 v[100:101], v[98:99], v[86:87], v[96:97] op_sel:[0,0,1] op_sel_hi:[1,1,0] neg_lo:[0,0,1] neg_hi:[0,0,1]
	v_pk_fma_f32 v[96:97], v[98:99], v[86:87], v[96:97] op_sel:[0,0,1] op_sel_hi:[1,0,0]
	s_delay_alu instid0(VALU_DEP_1) | instskip(SKIP_4) | instid1(VALU_DEP_1)
	v_mov_b32_e32 v101, v97
	ds_load_2addr_b64 v[96:99], v90 offset0:29 offset1:30
	v_pk_add_f32 v[38:39], v[38:39], v[100:101] neg_lo:[0,1] neg_hi:[0,1]
	s_wait_dscnt 0x0
	v_pk_mul_f32 v[100:101], v[96:97], v[88:89] op_sel:[0,1]
	v_pk_fma_f32 v[102:103], v[96:97], v[86:87], v[100:101] op_sel:[0,0,1] op_sel_hi:[1,1,0] neg_lo:[0,0,1] neg_hi:[0,0,1]
	v_pk_fma_f32 v[96:97], v[96:97], v[86:87], v[100:101] op_sel:[0,0,1] op_sel_hi:[1,0,0]
	v_dual_mul_f32 v100, v99, v89 :: v_dual_mov_b32 v96, v99
	s_delay_alu instid0(VALU_DEP_2) | instskip(NEXT) | instid1(VALU_DEP_2)
	v_dual_mov_b32 v103, v97 :: v_dual_mov_b32 v97, v98
	v_pk_fma_f32 v[100:101], v[98:99], v[42:43], v[100:101] op_sel_hi:[1,1,0] neg_lo:[0,0,1] neg_hi:[0,0,1]
	v_mul_f32_e32 v98, v99, v86
	s_delay_alu instid0(VALU_DEP_3) | instskip(NEXT) | instid1(VALU_DEP_2)
	v_pk_add_f32 v[34:35], v[34:35], v[102:103] neg_lo:[0,1] neg_hi:[0,1]
	v_pk_fma_f32 v[96:97], v[96:97], v[42:43], v[98:99] op_sel_hi:[1,1,0]
	s_delay_alu instid0(VALU_DEP_1) | instskip(SKIP_4) | instid1(VALU_DEP_1)
	v_mov_b32_e32 v101, v97
	ds_load_2addr_b64 v[96:99], v90 offset0:31 offset1:32
	v_pk_add_f32 v[36:37], v[36:37], v[100:101] neg_lo:[0,1] neg_hi:[0,1]
	s_wait_dscnt 0x0
	v_pk_mul_f32 v[100:101], v[96:97], v[88:89] op_sel:[0,1]
	v_pk_fma_f32 v[102:103], v[96:97], v[86:87], v[100:101] op_sel:[0,0,1] op_sel_hi:[1,1,0] neg_lo:[0,0,1] neg_hi:[0,0,1]
	v_pk_fma_f32 v[96:97], v[96:97], v[86:87], v[100:101] op_sel:[0,0,1] op_sel_hi:[1,0,0]
	s_delay_alu instid0(VALU_DEP_1) | instskip(SKIP_1) | instid1(VALU_DEP_1)
	v_mov_b32_e32 v103, v97
	v_pk_mul_f32 v[96:97], v[98:99], v[88:89] op_sel:[0,1]
	v_pk_fma_f32 v[100:101], v[98:99], v[86:87], v[96:97] op_sel:[0,0,1] op_sel_hi:[1,1,0] neg_lo:[0,0,1] neg_hi:[0,0,1]
	v_pk_fma_f32 v[96:97], v[98:99], v[86:87], v[96:97] op_sel:[0,0,1] op_sel_hi:[1,0,0]
	s_delay_alu instid0(VALU_DEP_1)
	v_mov_b32_e32 v101, v97
	ds_load_2addr_b64 v[96:99], v90 offset0:33 offset1:34
	v_pk_add_f32 v[6:7], v[6:7], v[102:103] neg_lo:[0,1] neg_hi:[0,1]
	v_pk_add_f32 v[32:33], v[32:33], v[100:101] neg_lo:[0,1] neg_hi:[0,1]
	s_wait_dscnt 0x0
	v_pk_mul_f32 v[100:101], v[96:97], v[88:89] op_sel:[0,1]
	s_delay_alu instid0(VALU_DEP_1) | instskip(SKIP_1) | instid1(VALU_DEP_1)
	v_pk_fma_f32 v[102:103], v[96:97], v[86:87], v[100:101] op_sel:[0,0,1] op_sel_hi:[1,1,0] neg_lo:[0,0,1] neg_hi:[0,0,1]
	v_pk_fma_f32 v[96:97], v[96:97], v[86:87], v[100:101] op_sel:[0,0,1] op_sel_hi:[1,0,0]
	v_mov_b32_e32 v103, v97
	v_pk_mul_f32 v[96:97], v[98:99], v[88:89] op_sel:[0,1]
	s_delay_alu instid0(VALU_DEP_1) | instskip(SKIP_1) | instid1(VALU_DEP_1)
	v_pk_fma_f32 v[100:101], v[98:99], v[86:87], v[96:97] op_sel:[0,0,1] op_sel_hi:[1,1,0] neg_lo:[0,0,1] neg_hi:[0,0,1]
	v_pk_fma_f32 v[96:97], v[98:99], v[86:87], v[96:97] op_sel:[0,0,1] op_sel_hi:[1,0,0]
	v_mov_b32_e32 v101, v97
	ds_load_2addr_b64 v[96:99], v90 offset0:35 offset1:36
	v_pk_add_f32 v[28:29], v[28:29], v[102:103] neg_lo:[0,1] neg_hi:[0,1]
	v_pk_add_f32 v[30:31], v[30:31], v[100:101] neg_lo:[0,1] neg_hi:[0,1]
	s_wait_dscnt 0x0
	v_dual_mul_f32 v100, v97, v89 :: v_dual_mul_f32 v102, v97, v86
	s_delay_alu instid0(VALU_DEP_1) | instskip(NEXT) | instid1(VALU_DEP_2)
	v_pk_fma_f32 v[100:101], v[96:97], v[42:43], v[100:101] op_sel_hi:[1,1,0] neg_lo:[0,0,1] neg_hi:[0,0,1]
	v_pk_fma_f32 v[96:97], v[96:97], v[42:43], v[102:103] op_sel:[1,0,0] op_sel_hi:[0,1,0]
	s_delay_alu instid0(VALU_DEP_1) | instskip(SKIP_1) | instid1(VALU_DEP_2)
	v_mov_b32_e32 v101, v97
	v_pk_mul_f32 v[96:97], v[98:99], v[88:89] op_sel:[0,1]
	v_pk_add_f32 v[8:9], v[8:9], v[100:101] neg_lo:[0,1] neg_hi:[0,1]
	s_delay_alu instid0(VALU_DEP_2) | instskip(SKIP_1) | instid1(VALU_DEP_1)
	v_pk_fma_f32 v[100:101], v[98:99], v[86:87], v[96:97] op_sel:[0,0,1] op_sel_hi:[1,1,0] neg_lo:[0,0,1] neg_hi:[0,0,1]
	v_pk_fma_f32 v[96:97], v[98:99], v[86:87], v[96:97] op_sel:[0,0,1] op_sel_hi:[1,0,0]
	v_mov_b32_e32 v101, v97
	ds_load_2addr_b64 v[96:99], v90 offset0:37 offset1:38
	v_pk_add_f32 v[26:27], v[26:27], v[100:101] neg_lo:[0,1] neg_hi:[0,1]
	s_wait_dscnt 0x0
	v_pk_mul_f32 v[100:101], v[96:97], v[88:89] op_sel:[0,1]
	s_delay_alu instid0(VALU_DEP_1) | instskip(SKIP_1) | instid1(VALU_DEP_1)
	v_pk_fma_f32 v[102:103], v[96:97], v[86:87], v[100:101] op_sel:[0,0,1] op_sel_hi:[1,1,0] neg_lo:[0,0,1] neg_hi:[0,0,1]
	v_pk_fma_f32 v[96:97], v[96:97], v[86:87], v[100:101] op_sel:[0,0,1] op_sel_hi:[1,0,0]
	v_mov_b32_e32 v103, v97
	v_pk_mul_f32 v[96:97], v[98:99], v[88:89] op_sel:[0,1]
	s_delay_alu instid0(VALU_DEP_2) | instskip(NEXT) | instid1(VALU_DEP_2)
	v_pk_add_f32 v[20:21], v[20:21], v[102:103] neg_lo:[0,1] neg_hi:[0,1]
	v_pk_fma_f32 v[100:101], v[98:99], v[86:87], v[96:97] op_sel:[0,0,1] op_sel_hi:[1,1,0] neg_lo:[0,0,1] neg_hi:[0,0,1]
	v_pk_fma_f32 v[96:97], v[98:99], v[86:87], v[96:97] op_sel:[0,0,1] op_sel_hi:[1,0,0]
	s_delay_alu instid0(VALU_DEP_1) | instskip(SKIP_4) | instid1(VALU_DEP_1)
	v_mov_b32_e32 v101, v97
	ds_load_b64 v[96:97], v90 offset:312
	v_pk_add_f32 v[18:19], v[18:19], v[100:101] neg_lo:[0,1] neg_hi:[0,1]
	s_wait_dscnt 0x0
	v_pk_mul_f32 v[88:89], v[96:97], v[88:89] op_sel:[0,1]
	v_pk_fma_f32 v[98:99], v[96:97], v[86:87], v[88:89] op_sel:[0,0,1] op_sel_hi:[1,1,0] neg_lo:[0,0,1] neg_hi:[0,0,1]
	v_pk_fma_f32 v[86:87], v[96:97], v[86:87], v[88:89] op_sel:[0,0,1] op_sel_hi:[1,0,0]
	s_delay_alu instid0(VALU_DEP_1) | instskip(NEXT) | instid1(VALU_DEP_1)
	v_mov_b32_e32 v99, v87
	v_pk_add_f32 v[84:85], v[84:85], v[98:99] neg_lo:[0,1] neg_hi:[0,1]
.LBB78_146:
	s_or_b32 exec_lo, exec_lo, s0
	v_lshl_add_u32 v86, v94, 3, v90
	s_barrier_signal -1
	s_barrier_wait -1
	ds_store_b64 v86, v[10:11]
	s_wait_dscnt 0x0
	s_barrier_signal -1
	s_barrier_wait -1
	ds_load_b64 v[88:89], v90 offset:56
	v_mov_b32_e32 v86, 7
	s_cmp_lt_i32 s18, 9
	s_cbranch_scc1 .LBB78_149
; %bb.147:
	v_add3_u32 v87, v91, 0, 64
	v_mov_b32_e32 v86, 7
	s_mov_b32 s0, 8
.LBB78_148:                             ; =>This Inner Loop Header: Depth=1
	ds_load_b64 v[96:97], v87
	s_wait_dscnt 0x1
	v_cmp_gt_f32_e32 vcc_lo, 0, v88
	v_cndmask_b32_e64 v98, v88, -v88, vcc_lo
	v_cmp_gt_f32_e32 vcc_lo, 0, v89
	v_cndmask_b32_e64 v100, v89, -v89, vcc_lo
	s_wait_dscnt 0x0
	v_cmp_gt_f32_e32 vcc_lo, 0, v96
	v_cndmask_b32_e64 v99, v96, -v96, vcc_lo
	v_cmp_gt_f32_e32 vcc_lo, 0, v97
	v_cndmask_b32_e64 v101, v97, -v97, vcc_lo
	s_delay_alu instid0(VALU_DEP_1) | instskip(NEXT) | instid1(VALU_DEP_1)
	v_pk_add_f32 v[98:99], v[98:99], v[100:101]
	v_cmp_lt_f32_e32 vcc_lo, v98, v99
	v_dual_add_nc_u32 v87, 8, v87 :: v_dual_cndmask_b32 v89, v89, v97, vcc_lo
	v_cndmask_b32_e32 v88, v88, v96, vcc_lo
	v_cndmask_b32_e64 v86, v86, s0, vcc_lo
	s_add_co_i32 s0, s0, 1
	s_delay_alu instid0(SALU_CYCLE_1)
	s_cmp_lg_u32 s18, s0
	s_cbranch_scc1 .LBB78_148
.LBB78_149:
	s_wait_dscnt 0x0
	v_cmp_eq_f32_e32 vcc_lo, 0, v88
	v_cmp_eq_f32_e64 s0, 0, v89
	s_and_b32 s0, vcc_lo, s0
	s_delay_alu instid0(SALU_CYCLE_1) | instskip(NEXT) | instid1(SALU_CYCLE_1)
	s_and_saveexec_b32 s1, s0
	s_xor_b32 s0, exec_lo, s1
; %bb.150:
	v_cmp_ne_u32_e32 vcc_lo, 0, v92
	v_cndmask_b32_e32 v92, 8, v92, vcc_lo
; %bb.151:
	s_and_not1_saveexec_b32 s0, s0
	s_cbranch_execz .LBB78_157
; %bb.152:
	v_cmp_ngt_f32_e64 s1, |v88|, |v89|
	s_and_saveexec_b32 s12, s1
	s_delay_alu instid0(SALU_CYCLE_1)
	s_xor_b32 s1, exec_lo, s12
	s_cbranch_execz .LBB78_154
; %bb.153:
	v_div_scale_f32 v87, null, v89, v89, v88
	v_div_scale_f32 v97, vcc_lo, v88, v89, v88
	s_delay_alu instid0(VALU_DEP_2) | instskip(SKIP_1) | instid1(TRANS32_DEP_1)
	v_rcp_f32_e32 v95, v87
	v_nop
	v_fma_f32 v96, -v87, v95, 1.0
	s_delay_alu instid0(VALU_DEP_1) | instskip(NEXT) | instid1(VALU_DEP_1)
	v_fmac_f32_e32 v95, v96, v95
	v_mul_f32_e32 v96, v97, v95
	s_delay_alu instid0(VALU_DEP_1) | instskip(NEXT) | instid1(VALU_DEP_1)
	v_fma_f32 v98, -v87, v96, v97
	v_fmac_f32_e32 v96, v98, v95
	s_delay_alu instid0(VALU_DEP_1) | instskip(NEXT) | instid1(VALU_DEP_1)
	v_fma_f32 v87, -v87, v96, v97
	v_div_fmas_f32 v87, v87, v95, v96
	s_delay_alu instid0(VALU_DEP_1) | instskip(NEXT) | instid1(VALU_DEP_1)
	v_div_fixup_f32 v87, v87, v89, v88
	v_fmac_f32_e32 v89, v88, v87
	s_delay_alu instid0(VALU_DEP_1) | instskip(SKIP_1) | instid1(VALU_DEP_2)
	v_div_scale_f32 v88, null, v89, v89, 1.0
	v_div_scale_f32 v97, vcc_lo, 1.0, v89, 1.0
	v_rcp_f32_e32 v95, v88
	v_nop
	s_delay_alu instid0(TRANS32_DEP_1) | instskip(NEXT) | instid1(VALU_DEP_1)
	v_fma_f32 v96, -v88, v95, 1.0
	v_fmac_f32_e32 v95, v96, v95
	s_delay_alu instid0(VALU_DEP_1) | instskip(NEXT) | instid1(VALU_DEP_1)
	v_mul_f32_e32 v96, v97, v95
	v_fma_f32 v98, -v88, v96, v97
	s_delay_alu instid0(VALU_DEP_1) | instskip(NEXT) | instid1(VALU_DEP_1)
	v_fmac_f32_e32 v96, v98, v95
	v_fma_f32 v88, -v88, v96, v97
	s_delay_alu instid0(VALU_DEP_1) | instskip(NEXT) | instid1(VALU_DEP_1)
	v_div_fmas_f32 v88, v88, v95, v96
	v_div_fixup_f32 v89, v88, v89, 1.0
	s_delay_alu instid0(VALU_DEP_1)
	v_mul_f32_e32 v88, v87, v89
	v_xor_b32_e32 v89, 0x80000000, v89
.LBB78_154:
	s_and_not1_saveexec_b32 s1, s1
	s_cbranch_execz .LBB78_156
; %bb.155:
	s_delay_alu instid0(VALU_DEP_1) | instskip(SKIP_1) | instid1(VALU_DEP_2)
	v_div_scale_f32 v87, null, v88, v88, v89
	v_div_scale_f32 v97, vcc_lo, v89, v88, v89
	v_rcp_f32_e32 v95, v87
	v_nop
	s_delay_alu instid0(TRANS32_DEP_1) | instskip(NEXT) | instid1(VALU_DEP_1)
	v_fma_f32 v96, -v87, v95, 1.0
	v_fmac_f32_e32 v95, v96, v95
	s_delay_alu instid0(VALU_DEP_1) | instskip(NEXT) | instid1(VALU_DEP_1)
	v_mul_f32_e32 v96, v97, v95
	v_fma_f32 v98, -v87, v96, v97
	s_delay_alu instid0(VALU_DEP_1) | instskip(NEXT) | instid1(VALU_DEP_1)
	v_fmac_f32_e32 v96, v98, v95
	v_fma_f32 v87, -v87, v96, v97
	s_delay_alu instid0(VALU_DEP_1) | instskip(NEXT) | instid1(VALU_DEP_1)
	v_div_fmas_f32 v87, v87, v95, v96
	v_div_fixup_f32 v87, v87, v88, v89
	s_delay_alu instid0(VALU_DEP_1) | instskip(NEXT) | instid1(VALU_DEP_1)
	v_fmac_f32_e32 v88, v89, v87
	v_div_scale_f32 v89, null, v88, v88, 1.0
	s_delay_alu instid0(VALU_DEP_1) | instskip(SKIP_1) | instid1(TRANS32_DEP_1)
	v_rcp_f32_e32 v95, v89
	v_nop
	v_fma_f32 v96, -v89, v95, 1.0
	s_delay_alu instid0(VALU_DEP_1) | instskip(SKIP_1) | instid1(VALU_DEP_1)
	v_fmac_f32_e32 v95, v96, v95
	v_div_scale_f32 v96, vcc_lo, 1.0, v88, 1.0
	v_mul_f32_e32 v97, v96, v95
	s_delay_alu instid0(VALU_DEP_1) | instskip(NEXT) | instid1(VALU_DEP_1)
	v_fma_f32 v98, -v89, v97, v96
	v_fmac_f32_e32 v97, v98, v95
	s_delay_alu instid0(VALU_DEP_1) | instskip(NEXT) | instid1(VALU_DEP_1)
	v_fma_f32 v89, -v89, v97, v96
	v_div_fmas_f32 v89, v89, v95, v97
	s_delay_alu instid0(VALU_DEP_1) | instskip(NEXT) | instid1(VALU_DEP_1)
	v_div_fixup_f32 v88, v89, v88, 1.0
	v_mul_f32_e64 v89, v87, -v88
.LBB78_156:
	s_or_b32 exec_lo, exec_lo, s1
.LBB78_157:
	s_delay_alu instid0(SALU_CYCLE_1) | instskip(NEXT) | instid1(SALU_CYCLE_1)
	s_or_b32 exec_lo, exec_lo, s0
	s_mov_b32 s0, exec_lo
	v_cmpx_ne_u32_e64 v94, v86
	s_xor_b32 s0, exec_lo, s0
	s_cbranch_execz .LBB78_163
; %bb.158:
	s_mov_b32 s1, exec_lo
	v_cmpx_eq_u32_e32 7, v94
	s_cbranch_execz .LBB78_162
; %bb.159:
	v_cmp_ne_u32_e32 vcc_lo, 7, v86
	s_xor_b32 s12, s16, -1
	s_delay_alu instid0(SALU_CYCLE_1) | instskip(NEXT) | instid1(SALU_CYCLE_1)
	s_and_b32 s13, s12, vcc_lo
	s_and_saveexec_b32 s12, s13
	s_cbranch_execz .LBB78_161
; %bb.160:
	v_ashrrev_i32_e32 v87, 31, v86
	s_delay_alu instid0(VALU_DEP_1)
	v_lshl_add_u64 v[94:95], v[86:87], 2, v[4:5]
	s_clause 0x1
	global_load_b32 v87, v[94:95], off
	global_load_b32 v93, v[4:5], off offset:28
	s_wait_loadcnt 0x1
	global_store_b32 v[4:5], v87, off offset:28
	s_wait_loadcnt 0x0
	global_store_b32 v[94:95], v93, off
.LBB78_161:
	s_wait_xcnt 0x0
	s_or_b32 exec_lo, exec_lo, s12
	v_dual_mov_b32 v94, v86 :: v_dual_mov_b32 v93, v86
.LBB78_162:
	s_or_b32 exec_lo, exec_lo, s1
.LBB78_163:
	s_and_not1_saveexec_b32 s0, s0
	s_cbranch_execz .LBB78_165
; %bb.164:
	v_dual_mov_b32 v86, v50 :: v_dual_mov_b32 v87, v51
	v_dual_mov_b32 v94, v46 :: v_dual_mov_b32 v95, v47
	ds_store_2addr_b64 v90, v[86:87], v[94:95] offset0:8 offset1:9
	v_dual_mov_b32 v86, v48 :: v_dual_mov_b32 v87, v49
	v_dual_mov_b32 v94, v12 :: v_dual_mov_b32 v95, v13
	ds_store_2addr_b64 v90, v[86:87], v[94:95] offset0:10 offset1:11
	;; [unrolled: 3-line block ×15, first 2 shown]
	v_dual_mov_b32 v86, v18 :: v_dual_mov_b32 v87, v19
	v_mov_b32_e32 v94, 7
	ds_store_2addr_b64 v90, v[86:87], v[84:85] offset0:38 offset1:39
.LBB78_165:
	s_or_b32 exec_lo, exec_lo, s0
	s_delay_alu instid0(SALU_CYCLE_1)
	s_mov_b32 s0, exec_lo
	s_wait_storecnt_dscnt 0x0
	s_barrier_signal -1
	s_barrier_wait -1
	v_cmpx_lt_i32_e32 7, v94
	s_cbranch_execz .LBB78_167
; %bb.166:
	v_pk_mul_f32 v[96:97], v[88:89], v[10:11] op_sel:[1,1] op_sel_hi:[0,1]
	s_delay_alu instid0(VALU_DEP_1)
	v_pk_fma_f32 v[86:87], v[88:89], v[10:11], v[96:97] op_sel_hi:[1,0,1] neg_lo:[0,0,1] neg_hi:[0,0,1]
	v_pk_fma_f32 v[88:89], v[88:89], v[10:11], v[96:97] op_sel_hi:[1,0,1]
	ds_load_2addr_b64 v[96:99], v90 offset0:8 offset1:9
	v_dual_mov_b32 v10, v86 :: v_dual_mov_b32 v11, v89
	s_wait_dscnt 0x0
	v_pk_mul_f32 v[100:101], v[96:97], v[88:89] op_sel:[0,1]
	s_delay_alu instid0(VALU_DEP_1) | instskip(SKIP_1) | instid1(VALU_DEP_1)
	v_pk_fma_f32 v[102:103], v[96:97], v[86:87], v[100:101] op_sel:[0,0,1] op_sel_hi:[1,1,0] neg_lo:[0,0,1] neg_hi:[0,0,1]
	v_pk_fma_f32 v[96:97], v[96:97], v[86:87], v[100:101] op_sel:[0,0,1] op_sel_hi:[1,0,0]
	v_mov_b32_e32 v103, v97
	v_pk_mul_f32 v[96:97], v[98:99], v[88:89] op_sel:[0,1]
	s_delay_alu instid0(VALU_DEP_1) | instskip(SKIP_1) | instid1(VALU_DEP_1)
	v_pk_fma_f32 v[100:101], v[98:99], v[86:87], v[96:97] op_sel:[0,0,1] op_sel_hi:[1,1,0] neg_lo:[0,0,1] neg_hi:[0,0,1]
	v_pk_fma_f32 v[96:97], v[98:99], v[86:87], v[96:97] op_sel:[0,0,1] op_sel_hi:[1,0,0]
	v_mov_b32_e32 v101, v97
	ds_load_2addr_b64 v[96:99], v90 offset0:10 offset1:11
	v_pk_add_f32 v[50:51], v[50:51], v[102:103] neg_lo:[0,1] neg_hi:[0,1]
	v_pk_add_f32 v[46:47], v[46:47], v[100:101] neg_lo:[0,1] neg_hi:[0,1]
	s_wait_dscnt 0x0
	v_pk_mul_f32 v[100:101], v[96:97], v[88:89] op_sel:[0,1]
	s_delay_alu instid0(VALU_DEP_1) | instskip(SKIP_2) | instid1(VALU_DEP_2)
	v_pk_fma_f32 v[102:103], v[96:97], v[86:87], v[100:101] op_sel:[0,0,1] op_sel_hi:[1,1,0] neg_lo:[0,0,1] neg_hi:[0,0,1]
	v_pk_fma_f32 v[96:97], v[96:97], v[86:87], v[100:101] op_sel:[0,0,1] op_sel_hi:[1,0,0]
	v_dual_mul_f32 v100, v99, v89 :: v_dual_mov_b32 v96, v99
	v_dual_mov_b32 v103, v97 :: v_dual_mov_b32 v97, v98
	s_delay_alu instid0(VALU_DEP_2) | instskip(SKIP_1) | instid1(VALU_DEP_3)
	v_pk_fma_f32 v[100:101], v[98:99], v[10:11], v[100:101] op_sel_hi:[1,1,0] neg_lo:[0,0,1] neg_hi:[0,0,1]
	v_mul_f32_e32 v98, v99, v86
	v_pk_add_f32 v[48:49], v[48:49], v[102:103] neg_lo:[0,1] neg_hi:[0,1]
	s_delay_alu instid0(VALU_DEP_2) | instskip(NEXT) | instid1(VALU_DEP_1)
	v_pk_fma_f32 v[96:97], v[96:97], v[10:11], v[98:99] op_sel_hi:[1,1,0]
	v_mov_b32_e32 v101, v97
	ds_load_2addr_b64 v[96:99], v90 offset0:12 offset1:13
	v_pk_add_f32 v[12:13], v[12:13], v[100:101] neg_lo:[0,1] neg_hi:[0,1]
	s_wait_dscnt 0x0
	v_pk_mul_f32 v[100:101], v[96:97], v[88:89] op_sel:[0,1]
	s_delay_alu instid0(VALU_DEP_1) | instskip(SKIP_1) | instid1(VALU_DEP_1)
	v_pk_fma_f32 v[102:103], v[96:97], v[86:87], v[100:101] op_sel:[0,0,1] op_sel_hi:[1,1,0] neg_lo:[0,0,1] neg_hi:[0,0,1]
	v_pk_fma_f32 v[96:97], v[96:97], v[86:87], v[100:101] op_sel:[0,0,1] op_sel_hi:[1,0,0]
	v_mov_b32_e32 v103, v97
	v_pk_mul_f32 v[96:97], v[98:99], v[88:89] op_sel:[0,1]
	s_delay_alu instid0(VALU_DEP_1) | instskip(SKIP_1) | instid1(VALU_DEP_1)
	v_pk_fma_f32 v[100:101], v[98:99], v[86:87], v[96:97] op_sel:[0,0,1] op_sel_hi:[1,1,0] neg_lo:[0,0,1] neg_hi:[0,0,1]
	v_pk_fma_f32 v[96:97], v[98:99], v[86:87], v[96:97] op_sel:[0,0,1] op_sel_hi:[1,0,0]
	v_mov_b32_e32 v101, v97
	ds_load_2addr_b64 v[96:99], v90 offset0:14 offset1:15
	v_pk_add_f32 v[74:75], v[74:75], v[102:103] neg_lo:[0,1] neg_hi:[0,1]
	v_pk_add_f32 v[70:71], v[70:71], v[100:101] neg_lo:[0,1] neg_hi:[0,1]
	s_wait_dscnt 0x0
	v_pk_mul_f32 v[100:101], v[96:97], v[88:89] op_sel:[0,1]
	s_delay_alu instid0(VALU_DEP_1) | instskip(SKIP_1) | instid1(VALU_DEP_1)
	v_pk_fma_f32 v[102:103], v[96:97], v[86:87], v[100:101] op_sel:[0,0,1] op_sel_hi:[1,1,0] neg_lo:[0,0,1] neg_hi:[0,0,1]
	v_pk_fma_f32 v[96:97], v[96:97], v[86:87], v[100:101] op_sel:[0,0,1] op_sel_hi:[1,0,0]
	v_mov_b32_e32 v103, v97
	v_pk_mul_f32 v[96:97], v[98:99], v[88:89] op_sel:[0,1]
	s_delay_alu instid0(VALU_DEP_1) | instskip(SKIP_1) | instid1(VALU_DEP_1)
	v_pk_fma_f32 v[100:101], v[98:99], v[86:87], v[96:97] op_sel:[0,0,1] op_sel_hi:[1,1,0] neg_lo:[0,0,1] neg_hi:[0,0,1]
	v_pk_fma_f32 v[96:97], v[98:99], v[86:87], v[96:97] op_sel:[0,0,1] op_sel_hi:[1,0,0]
	v_mov_b32_e32 v101, v97
	ds_load_2addr_b64 v[96:99], v90 offset0:16 offset1:17
	v_pk_add_f32 v[72:73], v[72:73], v[102:103] neg_lo:[0,1] neg_hi:[0,1]
	v_pk_add_f32 v[24:25], v[24:25], v[100:101] neg_lo:[0,1] neg_hi:[0,1]
	s_wait_dscnt 0x0
	v_dual_mul_f32 v100, v97, v89 :: v_dual_mul_f32 v102, v97, v86
	s_delay_alu instid0(VALU_DEP_1) | instskip(NEXT) | instid1(VALU_DEP_2)
	v_pk_fma_f32 v[100:101], v[96:97], v[10:11], v[100:101] op_sel_hi:[1,1,0] neg_lo:[0,0,1] neg_hi:[0,0,1]
	v_pk_fma_f32 v[96:97], v[96:97], v[10:11], v[102:103] op_sel:[1,0,0] op_sel_hi:[0,1,0]
	s_delay_alu instid0(VALU_DEP_1) | instskip(SKIP_1) | instid1(VALU_DEP_2)
	v_mov_b32_e32 v101, v97
	v_pk_mul_f32 v[96:97], v[98:99], v[88:89] op_sel:[0,1]
	v_pk_add_f32 v[68:69], v[68:69], v[100:101] neg_lo:[0,1] neg_hi:[0,1]
	s_delay_alu instid0(VALU_DEP_2) | instskip(SKIP_1) | instid1(VALU_DEP_1)
	v_pk_fma_f32 v[100:101], v[98:99], v[86:87], v[96:97] op_sel:[0,0,1] op_sel_hi:[1,1,0] neg_lo:[0,0,1] neg_hi:[0,0,1]
	v_pk_fma_f32 v[96:97], v[98:99], v[86:87], v[96:97] op_sel:[0,0,1] op_sel_hi:[1,0,0]
	v_mov_b32_e32 v101, v97
	ds_load_2addr_b64 v[96:99], v90 offset0:18 offset1:19
	v_pk_add_f32 v[64:65], v[64:65], v[100:101] neg_lo:[0,1] neg_hi:[0,1]
	s_wait_dscnt 0x0
	v_pk_mul_f32 v[100:101], v[96:97], v[88:89] op_sel:[0,1]
	s_delay_alu instid0(VALU_DEP_1) | instskip(SKIP_1) | instid1(VALU_DEP_1)
	v_pk_fma_f32 v[102:103], v[96:97], v[86:87], v[100:101] op_sel:[0,0,1] op_sel_hi:[1,1,0] neg_lo:[0,0,1] neg_hi:[0,0,1]
	v_pk_fma_f32 v[96:97], v[96:97], v[86:87], v[100:101] op_sel:[0,0,1] op_sel_hi:[1,0,0]
	v_mov_b32_e32 v103, v97
	v_pk_mul_f32 v[96:97], v[98:99], v[88:89] op_sel:[0,1]
	s_delay_alu instid0(VALU_DEP_2) | instskip(NEXT) | instid1(VALU_DEP_2)
	v_pk_add_f32 v[66:67], v[66:67], v[102:103] neg_lo:[0,1] neg_hi:[0,1]
	v_pk_fma_f32 v[100:101], v[98:99], v[86:87], v[96:97] op_sel:[0,0,1] op_sel_hi:[1,1,0] neg_lo:[0,0,1] neg_hi:[0,0,1]
	v_pk_fma_f32 v[96:97], v[98:99], v[86:87], v[96:97] op_sel:[0,0,1] op_sel_hi:[1,0,0]
	s_delay_alu instid0(VALU_DEP_1) | instskip(SKIP_4) | instid1(VALU_DEP_1)
	v_mov_b32_e32 v101, v97
	ds_load_2addr_b64 v[96:99], v90 offset0:20 offset1:21
	v_pk_add_f32 v[22:23], v[22:23], v[100:101] neg_lo:[0,1] neg_hi:[0,1]
	s_wait_dscnt 0x0
	v_pk_mul_f32 v[100:101], v[96:97], v[88:89] op_sel:[0,1]
	v_pk_fma_f32 v[102:103], v[96:97], v[86:87], v[100:101] op_sel:[0,0,1] op_sel_hi:[1,1,0] neg_lo:[0,0,1] neg_hi:[0,0,1]
	v_pk_fma_f32 v[96:97], v[96:97], v[86:87], v[100:101] op_sel:[0,0,1] op_sel_hi:[1,0,0]
	v_dual_mul_f32 v100, v99, v89 :: v_dual_mov_b32 v96, v99
	s_delay_alu instid0(VALU_DEP_2) | instskip(NEXT) | instid1(VALU_DEP_2)
	v_dual_mov_b32 v103, v97 :: v_dual_mov_b32 v97, v98
	v_pk_fma_f32 v[100:101], v[98:99], v[10:11], v[100:101] op_sel_hi:[1,1,0] neg_lo:[0,0,1] neg_hi:[0,0,1]
	v_mul_f32_e32 v98, v99, v86
	s_delay_alu instid0(VALU_DEP_3) | instskip(NEXT) | instid1(VALU_DEP_2)
	v_pk_add_f32 v[62:63], v[62:63], v[102:103] neg_lo:[0,1] neg_hi:[0,1]
	v_pk_fma_f32 v[96:97], v[96:97], v[10:11], v[98:99] op_sel_hi:[1,1,0]
	s_delay_alu instid0(VALU_DEP_1) | instskip(SKIP_4) | instid1(VALU_DEP_1)
	v_mov_b32_e32 v101, v97
	ds_load_2addr_b64 v[96:99], v90 offset0:22 offset1:23
	v_pk_add_f32 v[58:59], v[58:59], v[100:101] neg_lo:[0,1] neg_hi:[0,1]
	s_wait_dscnt 0x0
	v_pk_mul_f32 v[100:101], v[96:97], v[88:89] op_sel:[0,1]
	v_pk_fma_f32 v[102:103], v[96:97], v[86:87], v[100:101] op_sel:[0,0,1] op_sel_hi:[1,1,0] neg_lo:[0,0,1] neg_hi:[0,0,1]
	v_pk_fma_f32 v[96:97], v[96:97], v[86:87], v[100:101] op_sel:[0,0,1] op_sel_hi:[1,0,0]
	s_delay_alu instid0(VALU_DEP_1) | instskip(SKIP_1) | instid1(VALU_DEP_1)
	v_mov_b32_e32 v103, v97
	v_pk_mul_f32 v[96:97], v[98:99], v[88:89] op_sel:[0,1]
	v_pk_fma_f32 v[100:101], v[98:99], v[86:87], v[96:97] op_sel:[0,0,1] op_sel_hi:[1,1,0] neg_lo:[0,0,1] neg_hi:[0,0,1]
	v_pk_fma_f32 v[96:97], v[98:99], v[86:87], v[96:97] op_sel:[0,0,1] op_sel_hi:[1,0,0]
	s_delay_alu instid0(VALU_DEP_1)
	v_mov_b32_e32 v101, v97
	ds_load_2addr_b64 v[96:99], v90 offset0:24 offset1:25
	v_pk_add_f32 v[60:61], v[60:61], v[102:103] neg_lo:[0,1] neg_hi:[0,1]
	v_pk_add_f32 v[16:17], v[16:17], v[100:101] neg_lo:[0,1] neg_hi:[0,1]
	s_wait_dscnt 0x0
	v_pk_mul_f32 v[100:101], v[96:97], v[88:89] op_sel:[0,1]
	s_delay_alu instid0(VALU_DEP_1) | instskip(SKIP_1) | instid1(VALU_DEP_1)
	v_pk_fma_f32 v[102:103], v[96:97], v[86:87], v[100:101] op_sel:[0,0,1] op_sel_hi:[1,1,0] neg_lo:[0,0,1] neg_hi:[0,0,1]
	v_pk_fma_f32 v[96:97], v[96:97], v[86:87], v[100:101] op_sel:[0,0,1] op_sel_hi:[1,0,0]
	v_mov_b32_e32 v103, v97
	v_pk_mul_f32 v[96:97], v[98:99], v[88:89] op_sel:[0,1]
	s_delay_alu instid0(VALU_DEP_1) | instskip(SKIP_1) | instid1(VALU_DEP_1)
	v_pk_fma_f32 v[100:101], v[98:99], v[86:87], v[96:97] op_sel:[0,0,1] op_sel_hi:[1,1,0] neg_lo:[0,0,1] neg_hi:[0,0,1]
	v_pk_fma_f32 v[96:97], v[98:99], v[86:87], v[96:97] op_sel:[0,0,1] op_sel_hi:[1,0,0]
	v_mov_b32_e32 v101, v97
	ds_load_2addr_b64 v[96:99], v90 offset0:26 offset1:27
	v_pk_add_f32 v[56:57], v[56:57], v[102:103] neg_lo:[0,1] neg_hi:[0,1]
	v_pk_add_f32 v[52:53], v[52:53], v[100:101] neg_lo:[0,1] neg_hi:[0,1]
	s_wait_dscnt 0x0
	v_dual_mul_f32 v100, v97, v89 :: v_dual_mul_f32 v102, v97, v86
	s_delay_alu instid0(VALU_DEP_1) | instskip(NEXT) | instid1(VALU_DEP_2)
	v_pk_fma_f32 v[100:101], v[96:97], v[10:11], v[100:101] op_sel_hi:[1,1,0] neg_lo:[0,0,1] neg_hi:[0,0,1]
	v_pk_fma_f32 v[96:97], v[96:97], v[10:11], v[102:103] op_sel:[1,0,0] op_sel_hi:[0,1,0]
	s_delay_alu instid0(VALU_DEP_1) | instskip(SKIP_1) | instid1(VALU_DEP_2)
	v_mov_b32_e32 v101, v97
	v_pk_mul_f32 v[96:97], v[98:99], v[88:89] op_sel:[0,1]
	v_pk_add_f32 v[54:55], v[54:55], v[100:101] neg_lo:[0,1] neg_hi:[0,1]
	s_delay_alu instid0(VALU_DEP_2) | instskip(SKIP_1) | instid1(VALU_DEP_1)
	v_pk_fma_f32 v[100:101], v[98:99], v[86:87], v[96:97] op_sel:[0,0,1] op_sel_hi:[1,1,0] neg_lo:[0,0,1] neg_hi:[0,0,1]
	v_pk_fma_f32 v[96:97], v[98:99], v[86:87], v[96:97] op_sel:[0,0,1] op_sel_hi:[1,0,0]
	v_mov_b32_e32 v101, v97
	ds_load_2addr_b64 v[96:99], v90 offset0:28 offset1:29
	v_pk_add_f32 v[14:15], v[14:15], v[100:101] neg_lo:[0,1] neg_hi:[0,1]
	s_wait_dscnt 0x0
	v_pk_mul_f32 v[100:101], v[96:97], v[88:89] op_sel:[0,1]
	s_delay_alu instid0(VALU_DEP_1) | instskip(SKIP_1) | instid1(VALU_DEP_1)
	v_pk_fma_f32 v[102:103], v[96:97], v[86:87], v[100:101] op_sel:[0,0,1] op_sel_hi:[1,1,0] neg_lo:[0,0,1] neg_hi:[0,0,1]
	v_pk_fma_f32 v[96:97], v[96:97], v[86:87], v[100:101] op_sel:[0,0,1] op_sel_hi:[1,0,0]
	v_mov_b32_e32 v103, v97
	v_pk_mul_f32 v[96:97], v[98:99], v[88:89] op_sel:[0,1]
	s_delay_alu instid0(VALU_DEP_2) | instskip(NEXT) | instid1(VALU_DEP_2)
	v_pk_add_f32 v[38:39], v[38:39], v[102:103] neg_lo:[0,1] neg_hi:[0,1]
	v_pk_fma_f32 v[100:101], v[98:99], v[86:87], v[96:97] op_sel:[0,0,1] op_sel_hi:[1,1,0] neg_lo:[0,0,1] neg_hi:[0,0,1]
	v_pk_fma_f32 v[96:97], v[98:99], v[86:87], v[96:97] op_sel:[0,0,1] op_sel_hi:[1,0,0]
	s_delay_alu instid0(VALU_DEP_1) | instskip(SKIP_4) | instid1(VALU_DEP_1)
	v_mov_b32_e32 v101, v97
	ds_load_2addr_b64 v[96:99], v90 offset0:30 offset1:31
	v_pk_add_f32 v[34:35], v[34:35], v[100:101] neg_lo:[0,1] neg_hi:[0,1]
	s_wait_dscnt 0x0
	v_pk_mul_f32 v[100:101], v[96:97], v[88:89] op_sel:[0,1]
	v_pk_fma_f32 v[102:103], v[96:97], v[86:87], v[100:101] op_sel:[0,0,1] op_sel_hi:[1,1,0] neg_lo:[0,0,1] neg_hi:[0,0,1]
	v_pk_fma_f32 v[96:97], v[96:97], v[86:87], v[100:101] op_sel:[0,0,1] op_sel_hi:[1,0,0]
	v_dual_mul_f32 v100, v99, v89 :: v_dual_mov_b32 v96, v99
	s_delay_alu instid0(VALU_DEP_2) | instskip(NEXT) | instid1(VALU_DEP_2)
	v_dual_mov_b32 v103, v97 :: v_dual_mov_b32 v97, v98
	v_pk_fma_f32 v[100:101], v[98:99], v[10:11], v[100:101] op_sel_hi:[1,1,0] neg_lo:[0,0,1] neg_hi:[0,0,1]
	v_mul_f32_e32 v98, v99, v86
	s_delay_alu instid0(VALU_DEP_3) | instskip(NEXT) | instid1(VALU_DEP_2)
	v_pk_add_f32 v[36:37], v[36:37], v[102:103] neg_lo:[0,1] neg_hi:[0,1]
	v_pk_fma_f32 v[96:97], v[96:97], v[10:11], v[98:99] op_sel_hi:[1,1,0]
	s_delay_alu instid0(VALU_DEP_1) | instskip(SKIP_4) | instid1(VALU_DEP_1)
	v_mov_b32_e32 v101, v97
	ds_load_2addr_b64 v[96:99], v90 offset0:32 offset1:33
	v_pk_add_f32 v[6:7], v[6:7], v[100:101] neg_lo:[0,1] neg_hi:[0,1]
	s_wait_dscnt 0x0
	v_pk_mul_f32 v[100:101], v[96:97], v[88:89] op_sel:[0,1]
	v_pk_fma_f32 v[102:103], v[96:97], v[86:87], v[100:101] op_sel:[0,0,1] op_sel_hi:[1,1,0] neg_lo:[0,0,1] neg_hi:[0,0,1]
	v_pk_fma_f32 v[96:97], v[96:97], v[86:87], v[100:101] op_sel:[0,0,1] op_sel_hi:[1,0,0]
	s_delay_alu instid0(VALU_DEP_1) | instskip(SKIP_1) | instid1(VALU_DEP_1)
	v_mov_b32_e32 v103, v97
	v_pk_mul_f32 v[96:97], v[98:99], v[88:89] op_sel:[0,1]
	v_pk_fma_f32 v[100:101], v[98:99], v[86:87], v[96:97] op_sel:[0,0,1] op_sel_hi:[1,1,0] neg_lo:[0,0,1] neg_hi:[0,0,1]
	v_pk_fma_f32 v[96:97], v[98:99], v[86:87], v[96:97] op_sel:[0,0,1] op_sel_hi:[1,0,0]
	s_delay_alu instid0(VALU_DEP_1)
	v_mov_b32_e32 v101, v97
	ds_load_2addr_b64 v[96:99], v90 offset0:34 offset1:35
	v_pk_add_f32 v[32:33], v[32:33], v[102:103] neg_lo:[0,1] neg_hi:[0,1]
	v_pk_add_f32 v[28:29], v[28:29], v[100:101] neg_lo:[0,1] neg_hi:[0,1]
	s_wait_dscnt 0x0
	v_pk_mul_f32 v[100:101], v[96:97], v[88:89] op_sel:[0,1]
	s_delay_alu instid0(VALU_DEP_1) | instskip(SKIP_1) | instid1(VALU_DEP_1)
	v_pk_fma_f32 v[102:103], v[96:97], v[86:87], v[100:101] op_sel:[0,0,1] op_sel_hi:[1,1,0] neg_lo:[0,0,1] neg_hi:[0,0,1]
	v_pk_fma_f32 v[96:97], v[96:97], v[86:87], v[100:101] op_sel:[0,0,1] op_sel_hi:[1,0,0]
	v_mov_b32_e32 v103, v97
	v_pk_mul_f32 v[96:97], v[98:99], v[88:89] op_sel:[0,1]
	s_delay_alu instid0(VALU_DEP_1) | instskip(SKIP_1) | instid1(VALU_DEP_1)
	v_pk_fma_f32 v[100:101], v[98:99], v[86:87], v[96:97] op_sel:[0,0,1] op_sel_hi:[1,1,0] neg_lo:[0,0,1] neg_hi:[0,0,1]
	v_pk_fma_f32 v[96:97], v[98:99], v[86:87], v[96:97] op_sel:[0,0,1] op_sel_hi:[1,0,0]
	v_mov_b32_e32 v101, v97
	ds_load_2addr_b64 v[96:99], v90 offset0:36 offset1:37
	v_pk_add_f32 v[30:31], v[30:31], v[102:103] neg_lo:[0,1] neg_hi:[0,1]
	v_pk_add_f32 v[8:9], v[8:9], v[100:101] neg_lo:[0,1] neg_hi:[0,1]
	s_wait_dscnt 0x0
	v_dual_mul_f32 v100, v97, v89 :: v_dual_mul_f32 v102, v97, v86
	s_delay_alu instid0(VALU_DEP_1) | instskip(NEXT) | instid1(VALU_DEP_2)
	v_pk_fma_f32 v[100:101], v[96:97], v[10:11], v[100:101] op_sel_hi:[1,1,0] neg_lo:[0,0,1] neg_hi:[0,0,1]
	v_pk_fma_f32 v[96:97], v[96:97], v[10:11], v[102:103] op_sel:[1,0,0] op_sel_hi:[0,1,0]
	s_delay_alu instid0(VALU_DEP_1) | instskip(SKIP_1) | instid1(VALU_DEP_2)
	v_mov_b32_e32 v101, v97
	v_pk_mul_f32 v[96:97], v[98:99], v[88:89] op_sel:[0,1]
	v_pk_add_f32 v[26:27], v[26:27], v[100:101] neg_lo:[0,1] neg_hi:[0,1]
	s_delay_alu instid0(VALU_DEP_2) | instskip(SKIP_1) | instid1(VALU_DEP_1)
	v_pk_fma_f32 v[100:101], v[98:99], v[86:87], v[96:97] op_sel:[0,0,1] op_sel_hi:[1,1,0] neg_lo:[0,0,1] neg_hi:[0,0,1]
	v_pk_fma_f32 v[96:97], v[98:99], v[86:87], v[96:97] op_sel:[0,0,1] op_sel_hi:[1,0,0]
	v_mov_b32_e32 v101, v97
	ds_load_2addr_b64 v[96:99], v90 offset0:38 offset1:39
	v_pk_add_f32 v[20:21], v[20:21], v[100:101] neg_lo:[0,1] neg_hi:[0,1]
	s_wait_dscnt 0x0
	v_pk_mul_f32 v[100:101], v[96:97], v[88:89] op_sel:[0,1]
	v_pk_mul_f32 v[88:89], v[98:99], v[88:89] op_sel:[0,1]
	s_delay_alu instid0(VALU_DEP_2) | instskip(SKIP_1) | instid1(VALU_DEP_1)
	v_pk_fma_f32 v[102:103], v[96:97], v[86:87], v[100:101] op_sel:[0,0,1] op_sel_hi:[1,1,0] neg_lo:[0,0,1] neg_hi:[0,0,1]
	v_pk_fma_f32 v[96:97], v[96:97], v[86:87], v[100:101] op_sel:[0,0,1] op_sel_hi:[1,0,0]
	v_mov_b32_e32 v103, v97
	s_delay_alu instid0(VALU_DEP_4) | instskip(SKIP_1) | instid1(VALU_DEP_3)
	v_pk_fma_f32 v[96:97], v[98:99], v[86:87], v[88:89] op_sel:[0,0,1] op_sel_hi:[1,1,0] neg_lo:[0,0,1] neg_hi:[0,0,1]
	v_pk_fma_f32 v[86:87], v[98:99], v[86:87], v[88:89] op_sel:[0,0,1] op_sel_hi:[1,0,0]
	v_pk_add_f32 v[18:19], v[18:19], v[102:103] neg_lo:[0,1] neg_hi:[0,1]
	s_delay_alu instid0(VALU_DEP_2) | instskip(NEXT) | instid1(VALU_DEP_1)
	v_mov_b32_e32 v97, v87
	v_pk_add_f32 v[84:85], v[84:85], v[96:97] neg_lo:[0,1] neg_hi:[0,1]
.LBB78_167:
	s_or_b32 exec_lo, exec_lo, s0
	v_lshl_add_u32 v86, v94, 3, v90
	s_barrier_signal -1
	s_barrier_wait -1
	ds_store_b64 v86, v[50:51]
	s_wait_dscnt 0x0
	s_barrier_signal -1
	s_barrier_wait -1
	ds_load_b64 v[88:89], v90 offset:64
	v_mov_b32_e32 v86, 8
	s_cmp_lt_i32 s18, 10
	s_cbranch_scc1 .LBB78_170
; %bb.168:
	v_add3_u32 v87, v91, 0, 0x48
	v_mov_b32_e32 v86, 8
	s_mov_b32 s0, 9
.LBB78_169:                             ; =>This Inner Loop Header: Depth=1
	ds_load_b64 v[96:97], v87
	s_wait_dscnt 0x1
	v_cmp_gt_f32_e32 vcc_lo, 0, v88
	v_cndmask_b32_e64 v98, v88, -v88, vcc_lo
	v_cmp_gt_f32_e32 vcc_lo, 0, v89
	v_cndmask_b32_e64 v100, v89, -v89, vcc_lo
	s_wait_dscnt 0x0
	v_cmp_gt_f32_e32 vcc_lo, 0, v96
	v_cndmask_b32_e64 v99, v96, -v96, vcc_lo
	v_cmp_gt_f32_e32 vcc_lo, 0, v97
	v_cndmask_b32_e64 v101, v97, -v97, vcc_lo
	s_delay_alu instid0(VALU_DEP_1) | instskip(NEXT) | instid1(VALU_DEP_1)
	v_pk_add_f32 v[98:99], v[98:99], v[100:101]
	v_cmp_lt_f32_e32 vcc_lo, v98, v99
	v_dual_add_nc_u32 v87, 8, v87 :: v_dual_cndmask_b32 v89, v89, v97, vcc_lo
	v_cndmask_b32_e32 v88, v88, v96, vcc_lo
	v_cndmask_b32_e64 v86, v86, s0, vcc_lo
	s_add_co_i32 s0, s0, 1
	s_delay_alu instid0(SALU_CYCLE_1)
	s_cmp_lg_u32 s18, s0
	s_cbranch_scc1 .LBB78_169
.LBB78_170:
	s_wait_dscnt 0x0
	v_cmp_eq_f32_e32 vcc_lo, 0, v88
	v_cmp_eq_f32_e64 s0, 0, v89
	s_and_b32 s0, vcc_lo, s0
	s_delay_alu instid0(SALU_CYCLE_1) | instskip(NEXT) | instid1(SALU_CYCLE_1)
	s_and_saveexec_b32 s1, s0
	s_xor_b32 s0, exec_lo, s1
; %bb.171:
	v_cmp_ne_u32_e32 vcc_lo, 0, v92
	v_cndmask_b32_e32 v92, 9, v92, vcc_lo
; %bb.172:
	s_and_not1_saveexec_b32 s0, s0
	s_cbranch_execz .LBB78_178
; %bb.173:
	v_cmp_ngt_f32_e64 s1, |v88|, |v89|
	s_and_saveexec_b32 s12, s1
	s_delay_alu instid0(SALU_CYCLE_1)
	s_xor_b32 s1, exec_lo, s12
	s_cbranch_execz .LBB78_175
; %bb.174:
	v_div_scale_f32 v87, null, v89, v89, v88
	v_div_scale_f32 v97, vcc_lo, v88, v89, v88
	s_delay_alu instid0(VALU_DEP_2) | instskip(SKIP_1) | instid1(TRANS32_DEP_1)
	v_rcp_f32_e32 v95, v87
	v_nop
	v_fma_f32 v96, -v87, v95, 1.0
	s_delay_alu instid0(VALU_DEP_1) | instskip(NEXT) | instid1(VALU_DEP_1)
	v_fmac_f32_e32 v95, v96, v95
	v_mul_f32_e32 v96, v97, v95
	s_delay_alu instid0(VALU_DEP_1) | instskip(NEXT) | instid1(VALU_DEP_1)
	v_fma_f32 v98, -v87, v96, v97
	v_fmac_f32_e32 v96, v98, v95
	s_delay_alu instid0(VALU_DEP_1) | instskip(NEXT) | instid1(VALU_DEP_1)
	v_fma_f32 v87, -v87, v96, v97
	v_div_fmas_f32 v87, v87, v95, v96
	s_delay_alu instid0(VALU_DEP_1) | instskip(NEXT) | instid1(VALU_DEP_1)
	v_div_fixup_f32 v87, v87, v89, v88
	v_fmac_f32_e32 v89, v88, v87
	s_delay_alu instid0(VALU_DEP_1) | instskip(SKIP_1) | instid1(VALU_DEP_2)
	v_div_scale_f32 v88, null, v89, v89, 1.0
	v_div_scale_f32 v97, vcc_lo, 1.0, v89, 1.0
	v_rcp_f32_e32 v95, v88
	v_nop
	s_delay_alu instid0(TRANS32_DEP_1) | instskip(NEXT) | instid1(VALU_DEP_1)
	v_fma_f32 v96, -v88, v95, 1.0
	v_fmac_f32_e32 v95, v96, v95
	s_delay_alu instid0(VALU_DEP_1) | instskip(NEXT) | instid1(VALU_DEP_1)
	v_mul_f32_e32 v96, v97, v95
	v_fma_f32 v98, -v88, v96, v97
	s_delay_alu instid0(VALU_DEP_1) | instskip(NEXT) | instid1(VALU_DEP_1)
	v_fmac_f32_e32 v96, v98, v95
	v_fma_f32 v88, -v88, v96, v97
	s_delay_alu instid0(VALU_DEP_1) | instskip(NEXT) | instid1(VALU_DEP_1)
	v_div_fmas_f32 v88, v88, v95, v96
	v_div_fixup_f32 v89, v88, v89, 1.0
	s_delay_alu instid0(VALU_DEP_1)
	v_mul_f32_e32 v88, v87, v89
	v_xor_b32_e32 v89, 0x80000000, v89
.LBB78_175:
	s_and_not1_saveexec_b32 s1, s1
	s_cbranch_execz .LBB78_177
; %bb.176:
	s_delay_alu instid0(VALU_DEP_1) | instskip(SKIP_1) | instid1(VALU_DEP_2)
	v_div_scale_f32 v87, null, v88, v88, v89
	v_div_scale_f32 v97, vcc_lo, v89, v88, v89
	v_rcp_f32_e32 v95, v87
	v_nop
	s_delay_alu instid0(TRANS32_DEP_1) | instskip(NEXT) | instid1(VALU_DEP_1)
	v_fma_f32 v96, -v87, v95, 1.0
	v_fmac_f32_e32 v95, v96, v95
	s_delay_alu instid0(VALU_DEP_1) | instskip(NEXT) | instid1(VALU_DEP_1)
	v_mul_f32_e32 v96, v97, v95
	v_fma_f32 v98, -v87, v96, v97
	s_delay_alu instid0(VALU_DEP_1) | instskip(NEXT) | instid1(VALU_DEP_1)
	v_fmac_f32_e32 v96, v98, v95
	v_fma_f32 v87, -v87, v96, v97
	s_delay_alu instid0(VALU_DEP_1) | instskip(NEXT) | instid1(VALU_DEP_1)
	v_div_fmas_f32 v87, v87, v95, v96
	v_div_fixup_f32 v87, v87, v88, v89
	s_delay_alu instid0(VALU_DEP_1) | instskip(NEXT) | instid1(VALU_DEP_1)
	v_fmac_f32_e32 v88, v89, v87
	v_div_scale_f32 v89, null, v88, v88, 1.0
	s_delay_alu instid0(VALU_DEP_1) | instskip(SKIP_1) | instid1(TRANS32_DEP_1)
	v_rcp_f32_e32 v95, v89
	v_nop
	v_fma_f32 v96, -v89, v95, 1.0
	s_delay_alu instid0(VALU_DEP_1) | instskip(SKIP_1) | instid1(VALU_DEP_1)
	v_fmac_f32_e32 v95, v96, v95
	v_div_scale_f32 v96, vcc_lo, 1.0, v88, 1.0
	v_mul_f32_e32 v97, v96, v95
	s_delay_alu instid0(VALU_DEP_1) | instskip(NEXT) | instid1(VALU_DEP_1)
	v_fma_f32 v98, -v89, v97, v96
	v_fmac_f32_e32 v97, v98, v95
	s_delay_alu instid0(VALU_DEP_1) | instskip(NEXT) | instid1(VALU_DEP_1)
	v_fma_f32 v89, -v89, v97, v96
	v_div_fmas_f32 v89, v89, v95, v97
	s_delay_alu instid0(VALU_DEP_1) | instskip(NEXT) | instid1(VALU_DEP_1)
	v_div_fixup_f32 v88, v89, v88, 1.0
	v_mul_f32_e64 v89, v87, -v88
.LBB78_177:
	s_or_b32 exec_lo, exec_lo, s1
.LBB78_178:
	s_delay_alu instid0(SALU_CYCLE_1) | instskip(NEXT) | instid1(SALU_CYCLE_1)
	s_or_b32 exec_lo, exec_lo, s0
	s_mov_b32 s0, exec_lo
	v_cmpx_ne_u32_e64 v94, v86
	s_xor_b32 s0, exec_lo, s0
	s_cbranch_execz .LBB78_184
; %bb.179:
	s_mov_b32 s1, exec_lo
	v_cmpx_eq_u32_e32 8, v94
	s_cbranch_execz .LBB78_183
; %bb.180:
	v_cmp_ne_u32_e32 vcc_lo, 8, v86
	s_xor_b32 s12, s16, -1
	s_delay_alu instid0(SALU_CYCLE_1) | instskip(NEXT) | instid1(SALU_CYCLE_1)
	s_and_b32 s13, s12, vcc_lo
	s_and_saveexec_b32 s12, s13
	s_cbranch_execz .LBB78_182
; %bb.181:
	v_ashrrev_i32_e32 v87, 31, v86
	s_delay_alu instid0(VALU_DEP_1)
	v_lshl_add_u64 v[94:95], v[86:87], 2, v[4:5]
	s_clause 0x1
	global_load_b32 v87, v[94:95], off
	global_load_b32 v93, v[4:5], off offset:32
	s_wait_loadcnt 0x1
	global_store_b32 v[4:5], v87, off offset:32
	s_wait_loadcnt 0x0
	global_store_b32 v[94:95], v93, off
.LBB78_182:
	s_wait_xcnt 0x0
	s_or_b32 exec_lo, exec_lo, s12
	v_dual_mov_b32 v94, v86 :: v_dual_mov_b32 v93, v86
.LBB78_183:
	s_or_b32 exec_lo, exec_lo, s1
.LBB78_184:
	s_and_not1_saveexec_b32 s0, s0
	s_cbranch_execz .LBB78_186
; %bb.185:
	v_mov_b32_e32 v94, 8
	ds_store_2addr_b64 v90, v[46:47], v[48:49] offset0:9 offset1:10
	ds_store_2addr_b64 v90, v[12:13], v[74:75] offset0:11 offset1:12
	;; [unrolled: 1-line block ×15, first 2 shown]
	ds_store_b64 v90, v[84:85] offset:312
.LBB78_186:
	s_or_b32 exec_lo, exec_lo, s0
	s_delay_alu instid0(SALU_CYCLE_1)
	s_mov_b32 s0, exec_lo
	s_wait_storecnt_dscnt 0x0
	s_barrier_signal -1
	s_barrier_wait -1
	v_cmpx_lt_i32_e32 8, v94
	s_cbranch_execz .LBB78_188
; %bb.187:
	v_pk_mul_f32 v[96:97], v[88:89], v[50:51] op_sel:[1,1] op_sel_hi:[0,1]
	s_delay_alu instid0(VALU_DEP_1)
	v_pk_fma_f32 v[86:87], v[88:89], v[50:51], v[96:97] op_sel_hi:[1,0,1] neg_lo:[0,0,1] neg_hi:[0,0,1]
	v_pk_fma_f32 v[88:89], v[88:89], v[50:51], v[96:97] op_sel_hi:[1,0,1]
	ds_load_2addr_b64 v[96:99], v90 offset0:9 offset1:10
	v_dual_mov_b32 v50, v86 :: v_dual_mov_b32 v51, v89
	s_wait_dscnt 0x0
	v_pk_mul_f32 v[100:101], v[96:97], v[88:89] op_sel:[0,1]
	s_delay_alu instid0(VALU_DEP_1) | instskip(SKIP_1) | instid1(VALU_DEP_1)
	v_pk_fma_f32 v[102:103], v[96:97], v[86:87], v[100:101] op_sel:[0,0,1] op_sel_hi:[1,1,0] neg_lo:[0,0,1] neg_hi:[0,0,1]
	v_pk_fma_f32 v[96:97], v[96:97], v[86:87], v[100:101] op_sel:[0,0,1] op_sel_hi:[1,0,0]
	v_mov_b32_e32 v103, v97
	v_pk_mul_f32 v[96:97], v[98:99], v[88:89] op_sel:[0,1]
	s_delay_alu instid0(VALU_DEP_1) | instskip(SKIP_1) | instid1(VALU_DEP_1)
	v_pk_fma_f32 v[100:101], v[98:99], v[86:87], v[96:97] op_sel:[0,0,1] op_sel_hi:[1,1,0] neg_lo:[0,0,1] neg_hi:[0,0,1]
	v_pk_fma_f32 v[96:97], v[98:99], v[86:87], v[96:97] op_sel:[0,0,1] op_sel_hi:[1,0,0]
	v_mov_b32_e32 v101, v97
	ds_load_2addr_b64 v[96:99], v90 offset0:11 offset1:12
	v_pk_add_f32 v[46:47], v[46:47], v[102:103] neg_lo:[0,1] neg_hi:[0,1]
	v_pk_add_f32 v[48:49], v[48:49], v[100:101] neg_lo:[0,1] neg_hi:[0,1]
	s_wait_dscnt 0x0
	v_pk_mul_f32 v[100:101], v[96:97], v[88:89] op_sel:[0,1]
	s_delay_alu instid0(VALU_DEP_1) | instskip(SKIP_2) | instid1(VALU_DEP_2)
	v_pk_fma_f32 v[102:103], v[96:97], v[86:87], v[100:101] op_sel:[0,0,1] op_sel_hi:[1,1,0] neg_lo:[0,0,1] neg_hi:[0,0,1]
	v_pk_fma_f32 v[96:97], v[96:97], v[86:87], v[100:101] op_sel:[0,0,1] op_sel_hi:[1,0,0]
	v_dual_mul_f32 v100, v99, v89 :: v_dual_mov_b32 v96, v99
	v_dual_mov_b32 v103, v97 :: v_dual_mov_b32 v97, v98
	s_delay_alu instid0(VALU_DEP_2) | instskip(SKIP_1) | instid1(VALU_DEP_3)
	v_pk_fma_f32 v[100:101], v[98:99], v[50:51], v[100:101] op_sel_hi:[1,1,0] neg_lo:[0,0,1] neg_hi:[0,0,1]
	v_mul_f32_e32 v98, v99, v86
	v_pk_add_f32 v[12:13], v[12:13], v[102:103] neg_lo:[0,1] neg_hi:[0,1]
	s_delay_alu instid0(VALU_DEP_2) | instskip(NEXT) | instid1(VALU_DEP_1)
	v_pk_fma_f32 v[96:97], v[96:97], v[50:51], v[98:99] op_sel_hi:[1,1,0]
	v_mov_b32_e32 v101, v97
	ds_load_2addr_b64 v[96:99], v90 offset0:13 offset1:14
	v_pk_add_f32 v[74:75], v[74:75], v[100:101] neg_lo:[0,1] neg_hi:[0,1]
	s_wait_dscnt 0x0
	v_pk_mul_f32 v[100:101], v[96:97], v[88:89] op_sel:[0,1]
	s_delay_alu instid0(VALU_DEP_1) | instskip(SKIP_1) | instid1(VALU_DEP_1)
	v_pk_fma_f32 v[102:103], v[96:97], v[86:87], v[100:101] op_sel:[0,0,1] op_sel_hi:[1,1,0] neg_lo:[0,0,1] neg_hi:[0,0,1]
	v_pk_fma_f32 v[96:97], v[96:97], v[86:87], v[100:101] op_sel:[0,0,1] op_sel_hi:[1,0,0]
	v_mov_b32_e32 v103, v97
	v_pk_mul_f32 v[96:97], v[98:99], v[88:89] op_sel:[0,1]
	s_delay_alu instid0(VALU_DEP_1) | instskip(SKIP_1) | instid1(VALU_DEP_1)
	v_pk_fma_f32 v[100:101], v[98:99], v[86:87], v[96:97] op_sel:[0,0,1] op_sel_hi:[1,1,0] neg_lo:[0,0,1] neg_hi:[0,0,1]
	v_pk_fma_f32 v[96:97], v[98:99], v[86:87], v[96:97] op_sel:[0,0,1] op_sel_hi:[1,0,0]
	v_mov_b32_e32 v101, v97
	ds_load_2addr_b64 v[96:99], v90 offset0:15 offset1:16
	v_pk_add_f32 v[70:71], v[70:71], v[102:103] neg_lo:[0,1] neg_hi:[0,1]
	v_pk_add_f32 v[72:73], v[72:73], v[100:101] neg_lo:[0,1] neg_hi:[0,1]
	s_wait_dscnt 0x0
	v_pk_mul_f32 v[100:101], v[96:97], v[88:89] op_sel:[0,1]
	s_delay_alu instid0(VALU_DEP_1) | instskip(SKIP_1) | instid1(VALU_DEP_1)
	v_pk_fma_f32 v[102:103], v[96:97], v[86:87], v[100:101] op_sel:[0,0,1] op_sel_hi:[1,1,0] neg_lo:[0,0,1] neg_hi:[0,0,1]
	v_pk_fma_f32 v[96:97], v[96:97], v[86:87], v[100:101] op_sel:[0,0,1] op_sel_hi:[1,0,0]
	v_mov_b32_e32 v103, v97
	v_pk_mul_f32 v[96:97], v[98:99], v[88:89] op_sel:[0,1]
	s_delay_alu instid0(VALU_DEP_1) | instskip(SKIP_1) | instid1(VALU_DEP_1)
	v_pk_fma_f32 v[100:101], v[98:99], v[86:87], v[96:97] op_sel:[0,0,1] op_sel_hi:[1,1,0] neg_lo:[0,0,1] neg_hi:[0,0,1]
	v_pk_fma_f32 v[96:97], v[98:99], v[86:87], v[96:97] op_sel:[0,0,1] op_sel_hi:[1,0,0]
	v_mov_b32_e32 v101, v97
	ds_load_2addr_b64 v[96:99], v90 offset0:17 offset1:18
	v_pk_add_f32 v[24:25], v[24:25], v[102:103] neg_lo:[0,1] neg_hi:[0,1]
	v_pk_add_f32 v[68:69], v[68:69], v[100:101] neg_lo:[0,1] neg_hi:[0,1]
	s_wait_dscnt 0x0
	v_dual_mul_f32 v100, v97, v89 :: v_dual_mul_f32 v102, v97, v86
	s_delay_alu instid0(VALU_DEP_1) | instskip(NEXT) | instid1(VALU_DEP_2)
	v_pk_fma_f32 v[100:101], v[96:97], v[50:51], v[100:101] op_sel_hi:[1,1,0] neg_lo:[0,0,1] neg_hi:[0,0,1]
	v_pk_fma_f32 v[96:97], v[96:97], v[50:51], v[102:103] op_sel:[1,0,0] op_sel_hi:[0,1,0]
	s_delay_alu instid0(VALU_DEP_1) | instskip(SKIP_1) | instid1(VALU_DEP_2)
	v_mov_b32_e32 v101, v97
	v_pk_mul_f32 v[96:97], v[98:99], v[88:89] op_sel:[0,1]
	v_pk_add_f32 v[64:65], v[64:65], v[100:101] neg_lo:[0,1] neg_hi:[0,1]
	s_delay_alu instid0(VALU_DEP_2) | instskip(SKIP_1) | instid1(VALU_DEP_1)
	v_pk_fma_f32 v[100:101], v[98:99], v[86:87], v[96:97] op_sel:[0,0,1] op_sel_hi:[1,1,0] neg_lo:[0,0,1] neg_hi:[0,0,1]
	v_pk_fma_f32 v[96:97], v[98:99], v[86:87], v[96:97] op_sel:[0,0,1] op_sel_hi:[1,0,0]
	v_mov_b32_e32 v101, v97
	ds_load_2addr_b64 v[96:99], v90 offset0:19 offset1:20
	v_pk_add_f32 v[66:67], v[66:67], v[100:101] neg_lo:[0,1] neg_hi:[0,1]
	s_wait_dscnt 0x0
	v_pk_mul_f32 v[100:101], v[96:97], v[88:89] op_sel:[0,1]
	s_delay_alu instid0(VALU_DEP_1) | instskip(SKIP_1) | instid1(VALU_DEP_1)
	v_pk_fma_f32 v[102:103], v[96:97], v[86:87], v[100:101] op_sel:[0,0,1] op_sel_hi:[1,1,0] neg_lo:[0,0,1] neg_hi:[0,0,1]
	v_pk_fma_f32 v[96:97], v[96:97], v[86:87], v[100:101] op_sel:[0,0,1] op_sel_hi:[1,0,0]
	v_mov_b32_e32 v103, v97
	v_pk_mul_f32 v[96:97], v[98:99], v[88:89] op_sel:[0,1]
	s_delay_alu instid0(VALU_DEP_2) | instskip(NEXT) | instid1(VALU_DEP_2)
	v_pk_add_f32 v[22:23], v[22:23], v[102:103] neg_lo:[0,1] neg_hi:[0,1]
	v_pk_fma_f32 v[100:101], v[98:99], v[86:87], v[96:97] op_sel:[0,0,1] op_sel_hi:[1,1,0] neg_lo:[0,0,1] neg_hi:[0,0,1]
	v_pk_fma_f32 v[96:97], v[98:99], v[86:87], v[96:97] op_sel:[0,0,1] op_sel_hi:[1,0,0]
	s_delay_alu instid0(VALU_DEP_1) | instskip(SKIP_4) | instid1(VALU_DEP_1)
	v_mov_b32_e32 v101, v97
	ds_load_2addr_b64 v[96:99], v90 offset0:21 offset1:22
	v_pk_add_f32 v[62:63], v[62:63], v[100:101] neg_lo:[0,1] neg_hi:[0,1]
	s_wait_dscnt 0x0
	v_pk_mul_f32 v[100:101], v[96:97], v[88:89] op_sel:[0,1]
	v_pk_fma_f32 v[102:103], v[96:97], v[86:87], v[100:101] op_sel:[0,0,1] op_sel_hi:[1,1,0] neg_lo:[0,0,1] neg_hi:[0,0,1]
	v_pk_fma_f32 v[96:97], v[96:97], v[86:87], v[100:101] op_sel:[0,0,1] op_sel_hi:[1,0,0]
	v_dual_mul_f32 v100, v99, v89 :: v_dual_mov_b32 v96, v99
	s_delay_alu instid0(VALU_DEP_2) | instskip(NEXT) | instid1(VALU_DEP_2)
	v_dual_mov_b32 v103, v97 :: v_dual_mov_b32 v97, v98
	v_pk_fma_f32 v[100:101], v[98:99], v[50:51], v[100:101] op_sel_hi:[1,1,0] neg_lo:[0,0,1] neg_hi:[0,0,1]
	v_mul_f32_e32 v98, v99, v86
	s_delay_alu instid0(VALU_DEP_3) | instskip(NEXT) | instid1(VALU_DEP_2)
	v_pk_add_f32 v[58:59], v[58:59], v[102:103] neg_lo:[0,1] neg_hi:[0,1]
	v_pk_fma_f32 v[96:97], v[96:97], v[50:51], v[98:99] op_sel_hi:[1,1,0]
	s_delay_alu instid0(VALU_DEP_1) | instskip(SKIP_4) | instid1(VALU_DEP_1)
	v_mov_b32_e32 v101, v97
	ds_load_2addr_b64 v[96:99], v90 offset0:23 offset1:24
	v_pk_add_f32 v[60:61], v[60:61], v[100:101] neg_lo:[0,1] neg_hi:[0,1]
	s_wait_dscnt 0x0
	v_pk_mul_f32 v[100:101], v[96:97], v[88:89] op_sel:[0,1]
	v_pk_fma_f32 v[102:103], v[96:97], v[86:87], v[100:101] op_sel:[0,0,1] op_sel_hi:[1,1,0] neg_lo:[0,0,1] neg_hi:[0,0,1]
	v_pk_fma_f32 v[96:97], v[96:97], v[86:87], v[100:101] op_sel:[0,0,1] op_sel_hi:[1,0,0]
	s_delay_alu instid0(VALU_DEP_1) | instskip(SKIP_1) | instid1(VALU_DEP_1)
	v_mov_b32_e32 v103, v97
	v_pk_mul_f32 v[96:97], v[98:99], v[88:89] op_sel:[0,1]
	v_pk_fma_f32 v[100:101], v[98:99], v[86:87], v[96:97] op_sel:[0,0,1] op_sel_hi:[1,1,0] neg_lo:[0,0,1] neg_hi:[0,0,1]
	v_pk_fma_f32 v[96:97], v[98:99], v[86:87], v[96:97] op_sel:[0,0,1] op_sel_hi:[1,0,0]
	s_delay_alu instid0(VALU_DEP_1)
	v_mov_b32_e32 v101, v97
	ds_load_2addr_b64 v[96:99], v90 offset0:25 offset1:26
	v_pk_add_f32 v[16:17], v[16:17], v[102:103] neg_lo:[0,1] neg_hi:[0,1]
	v_pk_add_f32 v[56:57], v[56:57], v[100:101] neg_lo:[0,1] neg_hi:[0,1]
	s_wait_dscnt 0x0
	v_pk_mul_f32 v[100:101], v[96:97], v[88:89] op_sel:[0,1]
	s_delay_alu instid0(VALU_DEP_1) | instskip(SKIP_1) | instid1(VALU_DEP_1)
	v_pk_fma_f32 v[102:103], v[96:97], v[86:87], v[100:101] op_sel:[0,0,1] op_sel_hi:[1,1,0] neg_lo:[0,0,1] neg_hi:[0,0,1]
	v_pk_fma_f32 v[96:97], v[96:97], v[86:87], v[100:101] op_sel:[0,0,1] op_sel_hi:[1,0,0]
	v_mov_b32_e32 v103, v97
	v_pk_mul_f32 v[96:97], v[98:99], v[88:89] op_sel:[0,1]
	s_delay_alu instid0(VALU_DEP_1) | instskip(SKIP_1) | instid1(VALU_DEP_1)
	v_pk_fma_f32 v[100:101], v[98:99], v[86:87], v[96:97] op_sel:[0,0,1] op_sel_hi:[1,1,0] neg_lo:[0,0,1] neg_hi:[0,0,1]
	v_pk_fma_f32 v[96:97], v[98:99], v[86:87], v[96:97] op_sel:[0,0,1] op_sel_hi:[1,0,0]
	v_mov_b32_e32 v101, v97
	ds_load_2addr_b64 v[96:99], v90 offset0:27 offset1:28
	v_pk_add_f32 v[52:53], v[52:53], v[102:103] neg_lo:[0,1] neg_hi:[0,1]
	v_pk_add_f32 v[54:55], v[54:55], v[100:101] neg_lo:[0,1] neg_hi:[0,1]
	s_wait_dscnt 0x0
	v_dual_mul_f32 v100, v97, v89 :: v_dual_mul_f32 v102, v97, v86
	s_delay_alu instid0(VALU_DEP_1) | instskip(NEXT) | instid1(VALU_DEP_2)
	v_pk_fma_f32 v[100:101], v[96:97], v[50:51], v[100:101] op_sel_hi:[1,1,0] neg_lo:[0,0,1] neg_hi:[0,0,1]
	v_pk_fma_f32 v[96:97], v[96:97], v[50:51], v[102:103] op_sel:[1,0,0] op_sel_hi:[0,1,0]
	s_delay_alu instid0(VALU_DEP_1) | instskip(SKIP_1) | instid1(VALU_DEP_2)
	v_mov_b32_e32 v101, v97
	v_pk_mul_f32 v[96:97], v[98:99], v[88:89] op_sel:[0,1]
	v_pk_add_f32 v[14:15], v[14:15], v[100:101] neg_lo:[0,1] neg_hi:[0,1]
	s_delay_alu instid0(VALU_DEP_2) | instskip(SKIP_1) | instid1(VALU_DEP_1)
	v_pk_fma_f32 v[100:101], v[98:99], v[86:87], v[96:97] op_sel:[0,0,1] op_sel_hi:[1,1,0] neg_lo:[0,0,1] neg_hi:[0,0,1]
	v_pk_fma_f32 v[96:97], v[98:99], v[86:87], v[96:97] op_sel:[0,0,1] op_sel_hi:[1,0,0]
	v_mov_b32_e32 v101, v97
	ds_load_2addr_b64 v[96:99], v90 offset0:29 offset1:30
	v_pk_add_f32 v[38:39], v[38:39], v[100:101] neg_lo:[0,1] neg_hi:[0,1]
	s_wait_dscnt 0x0
	v_pk_mul_f32 v[100:101], v[96:97], v[88:89] op_sel:[0,1]
	s_delay_alu instid0(VALU_DEP_1) | instskip(SKIP_1) | instid1(VALU_DEP_1)
	v_pk_fma_f32 v[102:103], v[96:97], v[86:87], v[100:101] op_sel:[0,0,1] op_sel_hi:[1,1,0] neg_lo:[0,0,1] neg_hi:[0,0,1]
	v_pk_fma_f32 v[96:97], v[96:97], v[86:87], v[100:101] op_sel:[0,0,1] op_sel_hi:[1,0,0]
	v_mov_b32_e32 v103, v97
	v_pk_mul_f32 v[96:97], v[98:99], v[88:89] op_sel:[0,1]
	s_delay_alu instid0(VALU_DEP_2) | instskip(NEXT) | instid1(VALU_DEP_2)
	v_pk_add_f32 v[34:35], v[34:35], v[102:103] neg_lo:[0,1] neg_hi:[0,1]
	v_pk_fma_f32 v[100:101], v[98:99], v[86:87], v[96:97] op_sel:[0,0,1] op_sel_hi:[1,1,0] neg_lo:[0,0,1] neg_hi:[0,0,1]
	v_pk_fma_f32 v[96:97], v[98:99], v[86:87], v[96:97] op_sel:[0,0,1] op_sel_hi:[1,0,0]
	s_delay_alu instid0(VALU_DEP_1) | instskip(SKIP_4) | instid1(VALU_DEP_1)
	v_mov_b32_e32 v101, v97
	ds_load_2addr_b64 v[96:99], v90 offset0:31 offset1:32
	v_pk_add_f32 v[36:37], v[36:37], v[100:101] neg_lo:[0,1] neg_hi:[0,1]
	s_wait_dscnt 0x0
	v_pk_mul_f32 v[100:101], v[96:97], v[88:89] op_sel:[0,1]
	v_pk_fma_f32 v[102:103], v[96:97], v[86:87], v[100:101] op_sel:[0,0,1] op_sel_hi:[1,1,0] neg_lo:[0,0,1] neg_hi:[0,0,1]
	v_pk_fma_f32 v[96:97], v[96:97], v[86:87], v[100:101] op_sel:[0,0,1] op_sel_hi:[1,0,0]
	v_dual_mul_f32 v100, v99, v89 :: v_dual_mov_b32 v96, v99
	s_delay_alu instid0(VALU_DEP_2) | instskip(NEXT) | instid1(VALU_DEP_2)
	v_dual_mov_b32 v103, v97 :: v_dual_mov_b32 v97, v98
	v_pk_fma_f32 v[100:101], v[98:99], v[50:51], v[100:101] op_sel_hi:[1,1,0] neg_lo:[0,0,1] neg_hi:[0,0,1]
	v_mul_f32_e32 v98, v99, v86
	s_delay_alu instid0(VALU_DEP_3) | instskip(NEXT) | instid1(VALU_DEP_2)
	v_pk_add_f32 v[6:7], v[6:7], v[102:103] neg_lo:[0,1] neg_hi:[0,1]
	v_pk_fma_f32 v[96:97], v[96:97], v[50:51], v[98:99] op_sel_hi:[1,1,0]
	s_delay_alu instid0(VALU_DEP_1) | instskip(SKIP_4) | instid1(VALU_DEP_1)
	v_mov_b32_e32 v101, v97
	ds_load_2addr_b64 v[96:99], v90 offset0:33 offset1:34
	v_pk_add_f32 v[32:33], v[32:33], v[100:101] neg_lo:[0,1] neg_hi:[0,1]
	s_wait_dscnt 0x0
	v_pk_mul_f32 v[100:101], v[96:97], v[88:89] op_sel:[0,1]
	v_pk_fma_f32 v[102:103], v[96:97], v[86:87], v[100:101] op_sel:[0,0,1] op_sel_hi:[1,1,0] neg_lo:[0,0,1] neg_hi:[0,0,1]
	v_pk_fma_f32 v[96:97], v[96:97], v[86:87], v[100:101] op_sel:[0,0,1] op_sel_hi:[1,0,0]
	s_delay_alu instid0(VALU_DEP_1) | instskip(SKIP_1) | instid1(VALU_DEP_1)
	v_mov_b32_e32 v103, v97
	v_pk_mul_f32 v[96:97], v[98:99], v[88:89] op_sel:[0,1]
	v_pk_fma_f32 v[100:101], v[98:99], v[86:87], v[96:97] op_sel:[0,0,1] op_sel_hi:[1,1,0] neg_lo:[0,0,1] neg_hi:[0,0,1]
	v_pk_fma_f32 v[96:97], v[98:99], v[86:87], v[96:97] op_sel:[0,0,1] op_sel_hi:[1,0,0]
	s_delay_alu instid0(VALU_DEP_1)
	v_mov_b32_e32 v101, v97
	ds_load_2addr_b64 v[96:99], v90 offset0:35 offset1:36
	v_pk_add_f32 v[28:29], v[28:29], v[102:103] neg_lo:[0,1] neg_hi:[0,1]
	v_pk_add_f32 v[30:31], v[30:31], v[100:101] neg_lo:[0,1] neg_hi:[0,1]
	s_wait_dscnt 0x0
	v_pk_mul_f32 v[100:101], v[96:97], v[88:89] op_sel:[0,1]
	s_delay_alu instid0(VALU_DEP_1) | instskip(SKIP_1) | instid1(VALU_DEP_1)
	v_pk_fma_f32 v[102:103], v[96:97], v[86:87], v[100:101] op_sel:[0,0,1] op_sel_hi:[1,1,0] neg_lo:[0,0,1] neg_hi:[0,0,1]
	v_pk_fma_f32 v[96:97], v[96:97], v[86:87], v[100:101] op_sel:[0,0,1] op_sel_hi:[1,0,0]
	v_mov_b32_e32 v103, v97
	v_pk_mul_f32 v[96:97], v[98:99], v[88:89] op_sel:[0,1]
	s_delay_alu instid0(VALU_DEP_1) | instskip(SKIP_1) | instid1(VALU_DEP_1)
	v_pk_fma_f32 v[100:101], v[98:99], v[86:87], v[96:97] op_sel:[0,0,1] op_sel_hi:[1,1,0] neg_lo:[0,0,1] neg_hi:[0,0,1]
	v_pk_fma_f32 v[96:97], v[98:99], v[86:87], v[96:97] op_sel:[0,0,1] op_sel_hi:[1,0,0]
	v_mov_b32_e32 v101, v97
	ds_load_2addr_b64 v[96:99], v90 offset0:37 offset1:38
	v_pk_add_f32 v[8:9], v[8:9], v[102:103] neg_lo:[0,1] neg_hi:[0,1]
	v_pk_add_f32 v[26:27], v[26:27], v[100:101] neg_lo:[0,1] neg_hi:[0,1]
	s_wait_dscnt 0x0
	v_dual_mul_f32 v100, v97, v89 :: v_dual_mul_f32 v102, v97, v86
	s_delay_alu instid0(VALU_DEP_1) | instskip(NEXT) | instid1(VALU_DEP_2)
	v_pk_fma_f32 v[100:101], v[96:97], v[50:51], v[100:101] op_sel_hi:[1,1,0] neg_lo:[0,0,1] neg_hi:[0,0,1]
	v_pk_fma_f32 v[96:97], v[96:97], v[50:51], v[102:103] op_sel:[1,0,0] op_sel_hi:[0,1,0]
	s_delay_alu instid0(VALU_DEP_1) | instskip(SKIP_1) | instid1(VALU_DEP_2)
	v_mov_b32_e32 v101, v97
	v_pk_mul_f32 v[96:97], v[98:99], v[88:89] op_sel:[0,1]
	v_pk_add_f32 v[20:21], v[20:21], v[100:101] neg_lo:[0,1] neg_hi:[0,1]
	s_delay_alu instid0(VALU_DEP_2) | instskip(SKIP_1) | instid1(VALU_DEP_1)
	v_pk_fma_f32 v[100:101], v[98:99], v[86:87], v[96:97] op_sel:[0,0,1] op_sel_hi:[1,1,0] neg_lo:[0,0,1] neg_hi:[0,0,1]
	v_pk_fma_f32 v[96:97], v[98:99], v[86:87], v[96:97] op_sel:[0,0,1] op_sel_hi:[1,0,0]
	v_mov_b32_e32 v101, v97
	ds_load_b64 v[96:97], v90 offset:312
	v_pk_add_f32 v[18:19], v[18:19], v[100:101] neg_lo:[0,1] neg_hi:[0,1]
	s_wait_dscnt 0x0
	v_pk_mul_f32 v[88:89], v[96:97], v[88:89] op_sel:[0,1]
	s_delay_alu instid0(VALU_DEP_1) | instskip(SKIP_1) | instid1(VALU_DEP_1)
	v_pk_fma_f32 v[98:99], v[96:97], v[86:87], v[88:89] op_sel:[0,0,1] op_sel_hi:[1,1,0] neg_lo:[0,0,1] neg_hi:[0,0,1]
	v_pk_fma_f32 v[86:87], v[96:97], v[86:87], v[88:89] op_sel:[0,0,1] op_sel_hi:[1,0,0]
	v_mov_b32_e32 v99, v87
	s_delay_alu instid0(VALU_DEP_1)
	v_pk_add_f32 v[84:85], v[84:85], v[98:99] neg_lo:[0,1] neg_hi:[0,1]
.LBB78_188:
	s_or_b32 exec_lo, exec_lo, s0
	v_lshl_add_u32 v86, v94, 3, v90
	s_barrier_signal -1
	s_barrier_wait -1
	ds_store_b64 v86, v[46:47]
	s_wait_dscnt 0x0
	s_barrier_signal -1
	s_barrier_wait -1
	ds_load_b64 v[88:89], v90 offset:72
	v_mov_b32_e32 v86, 9
	s_cmp_lt_i32 s18, 11
	s_cbranch_scc1 .LBB78_191
; %bb.189:
	v_add3_u32 v87, v91, 0, 0x50
	v_mov_b32_e32 v86, 9
	s_mov_b32 s0, 10
.LBB78_190:                             ; =>This Inner Loop Header: Depth=1
	ds_load_b64 v[96:97], v87
	s_wait_dscnt 0x1
	v_cmp_gt_f32_e32 vcc_lo, 0, v88
	v_cndmask_b32_e64 v98, v88, -v88, vcc_lo
	v_cmp_gt_f32_e32 vcc_lo, 0, v89
	v_cndmask_b32_e64 v100, v89, -v89, vcc_lo
	s_wait_dscnt 0x0
	v_cmp_gt_f32_e32 vcc_lo, 0, v96
	v_cndmask_b32_e64 v99, v96, -v96, vcc_lo
	v_cmp_gt_f32_e32 vcc_lo, 0, v97
	v_cndmask_b32_e64 v101, v97, -v97, vcc_lo
	s_delay_alu instid0(VALU_DEP_1) | instskip(NEXT) | instid1(VALU_DEP_1)
	v_pk_add_f32 v[98:99], v[98:99], v[100:101]
	v_cmp_lt_f32_e32 vcc_lo, v98, v99
	v_dual_add_nc_u32 v87, 8, v87 :: v_dual_cndmask_b32 v89, v89, v97, vcc_lo
	v_cndmask_b32_e32 v88, v88, v96, vcc_lo
	v_cndmask_b32_e64 v86, v86, s0, vcc_lo
	s_add_co_i32 s0, s0, 1
	s_delay_alu instid0(SALU_CYCLE_1)
	s_cmp_lg_u32 s18, s0
	s_cbranch_scc1 .LBB78_190
.LBB78_191:
	s_wait_dscnt 0x0
	v_cmp_eq_f32_e32 vcc_lo, 0, v88
	v_cmp_eq_f32_e64 s0, 0, v89
	s_and_b32 s0, vcc_lo, s0
	s_delay_alu instid0(SALU_CYCLE_1) | instskip(NEXT) | instid1(SALU_CYCLE_1)
	s_and_saveexec_b32 s1, s0
	s_xor_b32 s0, exec_lo, s1
; %bb.192:
	v_cmp_ne_u32_e32 vcc_lo, 0, v92
	v_cndmask_b32_e32 v92, 10, v92, vcc_lo
; %bb.193:
	s_and_not1_saveexec_b32 s0, s0
	s_cbranch_execz .LBB78_199
; %bb.194:
	v_cmp_ngt_f32_e64 s1, |v88|, |v89|
	s_and_saveexec_b32 s12, s1
	s_delay_alu instid0(SALU_CYCLE_1)
	s_xor_b32 s1, exec_lo, s12
	s_cbranch_execz .LBB78_196
; %bb.195:
	v_div_scale_f32 v87, null, v89, v89, v88
	v_div_scale_f32 v97, vcc_lo, v88, v89, v88
	s_delay_alu instid0(VALU_DEP_2) | instskip(SKIP_1) | instid1(TRANS32_DEP_1)
	v_rcp_f32_e32 v95, v87
	v_nop
	v_fma_f32 v96, -v87, v95, 1.0
	s_delay_alu instid0(VALU_DEP_1) | instskip(NEXT) | instid1(VALU_DEP_1)
	v_fmac_f32_e32 v95, v96, v95
	v_mul_f32_e32 v96, v97, v95
	s_delay_alu instid0(VALU_DEP_1) | instskip(NEXT) | instid1(VALU_DEP_1)
	v_fma_f32 v98, -v87, v96, v97
	v_fmac_f32_e32 v96, v98, v95
	s_delay_alu instid0(VALU_DEP_1) | instskip(NEXT) | instid1(VALU_DEP_1)
	v_fma_f32 v87, -v87, v96, v97
	v_div_fmas_f32 v87, v87, v95, v96
	s_delay_alu instid0(VALU_DEP_1) | instskip(NEXT) | instid1(VALU_DEP_1)
	v_div_fixup_f32 v87, v87, v89, v88
	v_fmac_f32_e32 v89, v88, v87
	s_delay_alu instid0(VALU_DEP_1) | instskip(SKIP_1) | instid1(VALU_DEP_2)
	v_div_scale_f32 v88, null, v89, v89, 1.0
	v_div_scale_f32 v97, vcc_lo, 1.0, v89, 1.0
	v_rcp_f32_e32 v95, v88
	v_nop
	s_delay_alu instid0(TRANS32_DEP_1) | instskip(NEXT) | instid1(VALU_DEP_1)
	v_fma_f32 v96, -v88, v95, 1.0
	v_fmac_f32_e32 v95, v96, v95
	s_delay_alu instid0(VALU_DEP_1) | instskip(NEXT) | instid1(VALU_DEP_1)
	v_mul_f32_e32 v96, v97, v95
	v_fma_f32 v98, -v88, v96, v97
	s_delay_alu instid0(VALU_DEP_1) | instskip(NEXT) | instid1(VALU_DEP_1)
	v_fmac_f32_e32 v96, v98, v95
	v_fma_f32 v88, -v88, v96, v97
	s_delay_alu instid0(VALU_DEP_1) | instskip(NEXT) | instid1(VALU_DEP_1)
	v_div_fmas_f32 v88, v88, v95, v96
	v_div_fixup_f32 v89, v88, v89, 1.0
	s_delay_alu instid0(VALU_DEP_1)
	v_mul_f32_e32 v88, v87, v89
	v_xor_b32_e32 v89, 0x80000000, v89
.LBB78_196:
	s_and_not1_saveexec_b32 s1, s1
	s_cbranch_execz .LBB78_198
; %bb.197:
	s_delay_alu instid0(VALU_DEP_1) | instskip(SKIP_1) | instid1(VALU_DEP_2)
	v_div_scale_f32 v87, null, v88, v88, v89
	v_div_scale_f32 v97, vcc_lo, v89, v88, v89
	v_rcp_f32_e32 v95, v87
	v_nop
	s_delay_alu instid0(TRANS32_DEP_1) | instskip(NEXT) | instid1(VALU_DEP_1)
	v_fma_f32 v96, -v87, v95, 1.0
	v_fmac_f32_e32 v95, v96, v95
	s_delay_alu instid0(VALU_DEP_1) | instskip(NEXT) | instid1(VALU_DEP_1)
	v_mul_f32_e32 v96, v97, v95
	v_fma_f32 v98, -v87, v96, v97
	s_delay_alu instid0(VALU_DEP_1) | instskip(NEXT) | instid1(VALU_DEP_1)
	v_fmac_f32_e32 v96, v98, v95
	v_fma_f32 v87, -v87, v96, v97
	s_delay_alu instid0(VALU_DEP_1) | instskip(NEXT) | instid1(VALU_DEP_1)
	v_div_fmas_f32 v87, v87, v95, v96
	v_div_fixup_f32 v87, v87, v88, v89
	s_delay_alu instid0(VALU_DEP_1) | instskip(NEXT) | instid1(VALU_DEP_1)
	v_fmac_f32_e32 v88, v89, v87
	v_div_scale_f32 v89, null, v88, v88, 1.0
	s_delay_alu instid0(VALU_DEP_1) | instskip(SKIP_1) | instid1(TRANS32_DEP_1)
	v_rcp_f32_e32 v95, v89
	v_nop
	v_fma_f32 v96, -v89, v95, 1.0
	s_delay_alu instid0(VALU_DEP_1) | instskip(SKIP_1) | instid1(VALU_DEP_1)
	v_fmac_f32_e32 v95, v96, v95
	v_div_scale_f32 v96, vcc_lo, 1.0, v88, 1.0
	v_mul_f32_e32 v97, v96, v95
	s_delay_alu instid0(VALU_DEP_1) | instskip(NEXT) | instid1(VALU_DEP_1)
	v_fma_f32 v98, -v89, v97, v96
	v_fmac_f32_e32 v97, v98, v95
	s_delay_alu instid0(VALU_DEP_1) | instskip(NEXT) | instid1(VALU_DEP_1)
	v_fma_f32 v89, -v89, v97, v96
	v_div_fmas_f32 v89, v89, v95, v97
	s_delay_alu instid0(VALU_DEP_1) | instskip(NEXT) | instid1(VALU_DEP_1)
	v_div_fixup_f32 v88, v89, v88, 1.0
	v_mul_f32_e64 v89, v87, -v88
.LBB78_198:
	s_or_b32 exec_lo, exec_lo, s1
.LBB78_199:
	s_delay_alu instid0(SALU_CYCLE_1) | instskip(NEXT) | instid1(SALU_CYCLE_1)
	s_or_b32 exec_lo, exec_lo, s0
	s_mov_b32 s0, exec_lo
	v_cmpx_ne_u32_e64 v94, v86
	s_xor_b32 s0, exec_lo, s0
	s_cbranch_execz .LBB78_205
; %bb.200:
	s_mov_b32 s1, exec_lo
	v_cmpx_eq_u32_e32 9, v94
	s_cbranch_execz .LBB78_204
; %bb.201:
	v_cmp_ne_u32_e32 vcc_lo, 9, v86
	s_xor_b32 s12, s16, -1
	s_delay_alu instid0(SALU_CYCLE_1) | instskip(NEXT) | instid1(SALU_CYCLE_1)
	s_and_b32 s13, s12, vcc_lo
	s_and_saveexec_b32 s12, s13
	s_cbranch_execz .LBB78_203
; %bb.202:
	v_ashrrev_i32_e32 v87, 31, v86
	s_delay_alu instid0(VALU_DEP_1)
	v_lshl_add_u64 v[94:95], v[86:87], 2, v[4:5]
	s_clause 0x1
	global_load_b32 v87, v[94:95], off
	global_load_b32 v93, v[4:5], off offset:36
	s_wait_loadcnt 0x1
	global_store_b32 v[4:5], v87, off offset:36
	s_wait_loadcnt 0x0
	global_store_b32 v[94:95], v93, off
.LBB78_203:
	s_wait_xcnt 0x0
	s_or_b32 exec_lo, exec_lo, s12
	v_dual_mov_b32 v94, v86 :: v_dual_mov_b32 v93, v86
.LBB78_204:
	s_or_b32 exec_lo, exec_lo, s1
.LBB78_205:
	s_and_not1_saveexec_b32 s0, s0
	s_cbranch_execz .LBB78_207
; %bb.206:
	v_dual_mov_b32 v86, v48 :: v_dual_mov_b32 v87, v49
	v_dual_mov_b32 v94, v12 :: v_dual_mov_b32 v95, v13
	ds_store_2addr_b64 v90, v[86:87], v[94:95] offset0:10 offset1:11
	v_dual_mov_b32 v86, v74 :: v_dual_mov_b32 v87, v75
	v_dual_mov_b32 v94, v70 :: v_dual_mov_b32 v95, v71
	ds_store_2addr_b64 v90, v[86:87], v[94:95] offset0:12 offset1:13
	;; [unrolled: 3-line block ×14, first 2 shown]
	v_dual_mov_b32 v86, v18 :: v_dual_mov_b32 v87, v19
	v_mov_b32_e32 v94, 9
	ds_store_2addr_b64 v90, v[86:87], v[84:85] offset0:38 offset1:39
.LBB78_207:
	s_or_b32 exec_lo, exec_lo, s0
	s_delay_alu instid0(SALU_CYCLE_1)
	s_mov_b32 s0, exec_lo
	s_wait_storecnt_dscnt 0x0
	s_barrier_signal -1
	s_barrier_wait -1
	v_cmpx_lt_i32_e32 9, v94
	s_cbranch_execz .LBB78_209
; %bb.208:
	v_pk_mul_f32 v[96:97], v[88:89], v[46:47] op_sel:[1,1] op_sel_hi:[0,1]
	s_delay_alu instid0(VALU_DEP_1)
	v_pk_fma_f32 v[86:87], v[88:89], v[46:47], v[96:97] op_sel_hi:[1,0,1] neg_lo:[0,0,1] neg_hi:[0,0,1]
	v_pk_fma_f32 v[88:89], v[88:89], v[46:47], v[96:97] op_sel_hi:[1,0,1]
	ds_load_2addr_b64 v[96:99], v90 offset0:10 offset1:11
	v_dual_mov_b32 v46, v86 :: v_dual_mov_b32 v47, v89
	s_wait_dscnt 0x0
	v_pk_mul_f32 v[100:101], v[96:97], v[88:89] op_sel:[0,1]
	s_delay_alu instid0(VALU_DEP_1) | instskip(SKIP_1) | instid1(VALU_DEP_1)
	v_pk_fma_f32 v[102:103], v[96:97], v[86:87], v[100:101] op_sel:[0,0,1] op_sel_hi:[1,1,0] neg_lo:[0,0,1] neg_hi:[0,0,1]
	v_pk_fma_f32 v[96:97], v[96:97], v[86:87], v[100:101] op_sel:[0,0,1] op_sel_hi:[1,0,0]
	v_mov_b32_e32 v103, v97
	v_pk_mul_f32 v[96:97], v[98:99], v[88:89] op_sel:[0,1]
	s_delay_alu instid0(VALU_DEP_1) | instskip(SKIP_1) | instid1(VALU_DEP_1)
	v_pk_fma_f32 v[100:101], v[98:99], v[86:87], v[96:97] op_sel:[0,0,1] op_sel_hi:[1,1,0] neg_lo:[0,0,1] neg_hi:[0,0,1]
	v_pk_fma_f32 v[96:97], v[98:99], v[86:87], v[96:97] op_sel:[0,0,1] op_sel_hi:[1,0,0]
	v_mov_b32_e32 v101, v97
	ds_load_2addr_b64 v[96:99], v90 offset0:12 offset1:13
	v_pk_add_f32 v[48:49], v[48:49], v[102:103] neg_lo:[0,1] neg_hi:[0,1]
	v_pk_add_f32 v[12:13], v[12:13], v[100:101] neg_lo:[0,1] neg_hi:[0,1]
	s_wait_dscnt 0x0
	v_pk_mul_f32 v[100:101], v[96:97], v[88:89] op_sel:[0,1]
	s_delay_alu instid0(VALU_DEP_1) | instskip(SKIP_2) | instid1(VALU_DEP_2)
	v_pk_fma_f32 v[102:103], v[96:97], v[86:87], v[100:101] op_sel:[0,0,1] op_sel_hi:[1,1,0] neg_lo:[0,0,1] neg_hi:[0,0,1]
	v_pk_fma_f32 v[96:97], v[96:97], v[86:87], v[100:101] op_sel:[0,0,1] op_sel_hi:[1,0,0]
	v_dual_mul_f32 v100, v99, v89 :: v_dual_mov_b32 v96, v99
	v_dual_mov_b32 v103, v97 :: v_dual_mov_b32 v97, v98
	s_delay_alu instid0(VALU_DEP_2) | instskip(SKIP_1) | instid1(VALU_DEP_3)
	v_pk_fma_f32 v[100:101], v[98:99], v[46:47], v[100:101] op_sel_hi:[1,1,0] neg_lo:[0,0,1] neg_hi:[0,0,1]
	v_mul_f32_e32 v98, v99, v86
	v_pk_add_f32 v[74:75], v[74:75], v[102:103] neg_lo:[0,1] neg_hi:[0,1]
	s_delay_alu instid0(VALU_DEP_2) | instskip(NEXT) | instid1(VALU_DEP_1)
	v_pk_fma_f32 v[96:97], v[96:97], v[46:47], v[98:99] op_sel_hi:[1,1,0]
	v_mov_b32_e32 v101, v97
	ds_load_2addr_b64 v[96:99], v90 offset0:14 offset1:15
	v_pk_add_f32 v[70:71], v[70:71], v[100:101] neg_lo:[0,1] neg_hi:[0,1]
	s_wait_dscnt 0x0
	v_pk_mul_f32 v[100:101], v[96:97], v[88:89] op_sel:[0,1]
	s_delay_alu instid0(VALU_DEP_1) | instskip(SKIP_1) | instid1(VALU_DEP_1)
	v_pk_fma_f32 v[102:103], v[96:97], v[86:87], v[100:101] op_sel:[0,0,1] op_sel_hi:[1,1,0] neg_lo:[0,0,1] neg_hi:[0,0,1]
	v_pk_fma_f32 v[96:97], v[96:97], v[86:87], v[100:101] op_sel:[0,0,1] op_sel_hi:[1,0,0]
	v_mov_b32_e32 v103, v97
	v_pk_mul_f32 v[96:97], v[98:99], v[88:89] op_sel:[0,1]
	s_delay_alu instid0(VALU_DEP_1) | instskip(SKIP_1) | instid1(VALU_DEP_1)
	v_pk_fma_f32 v[100:101], v[98:99], v[86:87], v[96:97] op_sel:[0,0,1] op_sel_hi:[1,1,0] neg_lo:[0,0,1] neg_hi:[0,0,1]
	v_pk_fma_f32 v[96:97], v[98:99], v[86:87], v[96:97] op_sel:[0,0,1] op_sel_hi:[1,0,0]
	v_mov_b32_e32 v101, v97
	ds_load_2addr_b64 v[96:99], v90 offset0:16 offset1:17
	v_pk_add_f32 v[72:73], v[72:73], v[102:103] neg_lo:[0,1] neg_hi:[0,1]
	v_pk_add_f32 v[24:25], v[24:25], v[100:101] neg_lo:[0,1] neg_hi:[0,1]
	s_wait_dscnt 0x0
	v_pk_mul_f32 v[100:101], v[96:97], v[88:89] op_sel:[0,1]
	s_delay_alu instid0(VALU_DEP_1) | instskip(SKIP_1) | instid1(VALU_DEP_1)
	v_pk_fma_f32 v[102:103], v[96:97], v[86:87], v[100:101] op_sel:[0,0,1] op_sel_hi:[1,1,0] neg_lo:[0,0,1] neg_hi:[0,0,1]
	v_pk_fma_f32 v[96:97], v[96:97], v[86:87], v[100:101] op_sel:[0,0,1] op_sel_hi:[1,0,0]
	v_mov_b32_e32 v103, v97
	v_pk_mul_f32 v[96:97], v[98:99], v[88:89] op_sel:[0,1]
	s_delay_alu instid0(VALU_DEP_1) | instskip(SKIP_1) | instid1(VALU_DEP_1)
	v_pk_fma_f32 v[100:101], v[98:99], v[86:87], v[96:97] op_sel:[0,0,1] op_sel_hi:[1,1,0] neg_lo:[0,0,1] neg_hi:[0,0,1]
	v_pk_fma_f32 v[96:97], v[98:99], v[86:87], v[96:97] op_sel:[0,0,1] op_sel_hi:[1,0,0]
	v_mov_b32_e32 v101, v97
	ds_load_2addr_b64 v[96:99], v90 offset0:18 offset1:19
	v_pk_add_f32 v[68:69], v[68:69], v[102:103] neg_lo:[0,1] neg_hi:[0,1]
	v_pk_add_f32 v[64:65], v[64:65], v[100:101] neg_lo:[0,1] neg_hi:[0,1]
	s_wait_dscnt 0x0
	v_dual_mul_f32 v100, v97, v89 :: v_dual_mul_f32 v102, v97, v86
	s_delay_alu instid0(VALU_DEP_1) | instskip(NEXT) | instid1(VALU_DEP_2)
	v_pk_fma_f32 v[100:101], v[96:97], v[46:47], v[100:101] op_sel_hi:[1,1,0] neg_lo:[0,0,1] neg_hi:[0,0,1]
	v_pk_fma_f32 v[96:97], v[96:97], v[46:47], v[102:103] op_sel:[1,0,0] op_sel_hi:[0,1,0]
	s_delay_alu instid0(VALU_DEP_1) | instskip(SKIP_1) | instid1(VALU_DEP_2)
	v_mov_b32_e32 v101, v97
	v_pk_mul_f32 v[96:97], v[98:99], v[88:89] op_sel:[0,1]
	v_pk_add_f32 v[66:67], v[66:67], v[100:101] neg_lo:[0,1] neg_hi:[0,1]
	s_delay_alu instid0(VALU_DEP_2) | instskip(SKIP_1) | instid1(VALU_DEP_1)
	v_pk_fma_f32 v[100:101], v[98:99], v[86:87], v[96:97] op_sel:[0,0,1] op_sel_hi:[1,1,0] neg_lo:[0,0,1] neg_hi:[0,0,1]
	v_pk_fma_f32 v[96:97], v[98:99], v[86:87], v[96:97] op_sel:[0,0,1] op_sel_hi:[1,0,0]
	v_mov_b32_e32 v101, v97
	ds_load_2addr_b64 v[96:99], v90 offset0:20 offset1:21
	v_pk_add_f32 v[22:23], v[22:23], v[100:101] neg_lo:[0,1] neg_hi:[0,1]
	s_wait_dscnt 0x0
	v_pk_mul_f32 v[100:101], v[96:97], v[88:89] op_sel:[0,1]
	s_delay_alu instid0(VALU_DEP_1) | instskip(SKIP_1) | instid1(VALU_DEP_1)
	v_pk_fma_f32 v[102:103], v[96:97], v[86:87], v[100:101] op_sel:[0,0,1] op_sel_hi:[1,1,0] neg_lo:[0,0,1] neg_hi:[0,0,1]
	v_pk_fma_f32 v[96:97], v[96:97], v[86:87], v[100:101] op_sel:[0,0,1] op_sel_hi:[1,0,0]
	v_mov_b32_e32 v103, v97
	v_pk_mul_f32 v[96:97], v[98:99], v[88:89] op_sel:[0,1]
	s_delay_alu instid0(VALU_DEP_2) | instskip(NEXT) | instid1(VALU_DEP_2)
	v_pk_add_f32 v[62:63], v[62:63], v[102:103] neg_lo:[0,1] neg_hi:[0,1]
	v_pk_fma_f32 v[100:101], v[98:99], v[86:87], v[96:97] op_sel:[0,0,1] op_sel_hi:[1,1,0] neg_lo:[0,0,1] neg_hi:[0,0,1]
	v_pk_fma_f32 v[96:97], v[98:99], v[86:87], v[96:97] op_sel:[0,0,1] op_sel_hi:[1,0,0]
	s_delay_alu instid0(VALU_DEP_1) | instskip(SKIP_4) | instid1(VALU_DEP_1)
	v_mov_b32_e32 v101, v97
	ds_load_2addr_b64 v[96:99], v90 offset0:22 offset1:23
	v_pk_add_f32 v[58:59], v[58:59], v[100:101] neg_lo:[0,1] neg_hi:[0,1]
	s_wait_dscnt 0x0
	v_pk_mul_f32 v[100:101], v[96:97], v[88:89] op_sel:[0,1]
	v_pk_fma_f32 v[102:103], v[96:97], v[86:87], v[100:101] op_sel:[0,0,1] op_sel_hi:[1,1,0] neg_lo:[0,0,1] neg_hi:[0,0,1]
	v_pk_fma_f32 v[96:97], v[96:97], v[86:87], v[100:101] op_sel:[0,0,1] op_sel_hi:[1,0,0]
	v_dual_mul_f32 v100, v99, v89 :: v_dual_mov_b32 v96, v99
	s_delay_alu instid0(VALU_DEP_2) | instskip(NEXT) | instid1(VALU_DEP_2)
	v_dual_mov_b32 v103, v97 :: v_dual_mov_b32 v97, v98
	v_pk_fma_f32 v[100:101], v[98:99], v[46:47], v[100:101] op_sel_hi:[1,1,0] neg_lo:[0,0,1] neg_hi:[0,0,1]
	v_mul_f32_e32 v98, v99, v86
	s_delay_alu instid0(VALU_DEP_3) | instskip(NEXT) | instid1(VALU_DEP_2)
	v_pk_add_f32 v[60:61], v[60:61], v[102:103] neg_lo:[0,1] neg_hi:[0,1]
	v_pk_fma_f32 v[96:97], v[96:97], v[46:47], v[98:99] op_sel_hi:[1,1,0]
	s_delay_alu instid0(VALU_DEP_1) | instskip(SKIP_4) | instid1(VALU_DEP_1)
	v_mov_b32_e32 v101, v97
	ds_load_2addr_b64 v[96:99], v90 offset0:24 offset1:25
	v_pk_add_f32 v[16:17], v[16:17], v[100:101] neg_lo:[0,1] neg_hi:[0,1]
	s_wait_dscnt 0x0
	v_pk_mul_f32 v[100:101], v[96:97], v[88:89] op_sel:[0,1]
	v_pk_fma_f32 v[102:103], v[96:97], v[86:87], v[100:101] op_sel:[0,0,1] op_sel_hi:[1,1,0] neg_lo:[0,0,1] neg_hi:[0,0,1]
	v_pk_fma_f32 v[96:97], v[96:97], v[86:87], v[100:101] op_sel:[0,0,1] op_sel_hi:[1,0,0]
	s_delay_alu instid0(VALU_DEP_1) | instskip(SKIP_1) | instid1(VALU_DEP_1)
	v_mov_b32_e32 v103, v97
	v_pk_mul_f32 v[96:97], v[98:99], v[88:89] op_sel:[0,1]
	v_pk_fma_f32 v[100:101], v[98:99], v[86:87], v[96:97] op_sel:[0,0,1] op_sel_hi:[1,1,0] neg_lo:[0,0,1] neg_hi:[0,0,1]
	v_pk_fma_f32 v[96:97], v[98:99], v[86:87], v[96:97] op_sel:[0,0,1] op_sel_hi:[1,0,0]
	s_delay_alu instid0(VALU_DEP_1)
	v_mov_b32_e32 v101, v97
	ds_load_2addr_b64 v[96:99], v90 offset0:26 offset1:27
	v_pk_add_f32 v[56:57], v[56:57], v[102:103] neg_lo:[0,1] neg_hi:[0,1]
	v_pk_add_f32 v[52:53], v[52:53], v[100:101] neg_lo:[0,1] neg_hi:[0,1]
	s_wait_dscnt 0x0
	v_pk_mul_f32 v[100:101], v[96:97], v[88:89] op_sel:[0,1]
	s_delay_alu instid0(VALU_DEP_1) | instskip(SKIP_1) | instid1(VALU_DEP_1)
	v_pk_fma_f32 v[102:103], v[96:97], v[86:87], v[100:101] op_sel:[0,0,1] op_sel_hi:[1,1,0] neg_lo:[0,0,1] neg_hi:[0,0,1]
	v_pk_fma_f32 v[96:97], v[96:97], v[86:87], v[100:101] op_sel:[0,0,1] op_sel_hi:[1,0,0]
	v_mov_b32_e32 v103, v97
	v_pk_mul_f32 v[96:97], v[98:99], v[88:89] op_sel:[0,1]
	s_delay_alu instid0(VALU_DEP_1) | instskip(SKIP_1) | instid1(VALU_DEP_1)
	v_pk_fma_f32 v[100:101], v[98:99], v[86:87], v[96:97] op_sel:[0,0,1] op_sel_hi:[1,1,0] neg_lo:[0,0,1] neg_hi:[0,0,1]
	v_pk_fma_f32 v[96:97], v[98:99], v[86:87], v[96:97] op_sel:[0,0,1] op_sel_hi:[1,0,0]
	v_mov_b32_e32 v101, v97
	ds_load_2addr_b64 v[96:99], v90 offset0:28 offset1:29
	v_pk_add_f32 v[54:55], v[54:55], v[102:103] neg_lo:[0,1] neg_hi:[0,1]
	v_pk_add_f32 v[14:15], v[14:15], v[100:101] neg_lo:[0,1] neg_hi:[0,1]
	s_wait_dscnt 0x0
	v_dual_mul_f32 v100, v97, v89 :: v_dual_mul_f32 v102, v97, v86
	s_delay_alu instid0(VALU_DEP_1) | instskip(NEXT) | instid1(VALU_DEP_2)
	v_pk_fma_f32 v[100:101], v[96:97], v[46:47], v[100:101] op_sel_hi:[1,1,0] neg_lo:[0,0,1] neg_hi:[0,0,1]
	v_pk_fma_f32 v[96:97], v[96:97], v[46:47], v[102:103] op_sel:[1,0,0] op_sel_hi:[0,1,0]
	s_delay_alu instid0(VALU_DEP_1) | instskip(SKIP_1) | instid1(VALU_DEP_2)
	v_mov_b32_e32 v101, v97
	v_pk_mul_f32 v[96:97], v[98:99], v[88:89] op_sel:[0,1]
	v_pk_add_f32 v[38:39], v[38:39], v[100:101] neg_lo:[0,1] neg_hi:[0,1]
	s_delay_alu instid0(VALU_DEP_2) | instskip(SKIP_1) | instid1(VALU_DEP_1)
	v_pk_fma_f32 v[100:101], v[98:99], v[86:87], v[96:97] op_sel:[0,0,1] op_sel_hi:[1,1,0] neg_lo:[0,0,1] neg_hi:[0,0,1]
	v_pk_fma_f32 v[96:97], v[98:99], v[86:87], v[96:97] op_sel:[0,0,1] op_sel_hi:[1,0,0]
	v_mov_b32_e32 v101, v97
	ds_load_2addr_b64 v[96:99], v90 offset0:30 offset1:31
	v_pk_add_f32 v[34:35], v[34:35], v[100:101] neg_lo:[0,1] neg_hi:[0,1]
	s_wait_dscnt 0x0
	v_pk_mul_f32 v[100:101], v[96:97], v[88:89] op_sel:[0,1]
	s_delay_alu instid0(VALU_DEP_1) | instskip(SKIP_1) | instid1(VALU_DEP_1)
	v_pk_fma_f32 v[102:103], v[96:97], v[86:87], v[100:101] op_sel:[0,0,1] op_sel_hi:[1,1,0] neg_lo:[0,0,1] neg_hi:[0,0,1]
	v_pk_fma_f32 v[96:97], v[96:97], v[86:87], v[100:101] op_sel:[0,0,1] op_sel_hi:[1,0,0]
	v_mov_b32_e32 v103, v97
	v_pk_mul_f32 v[96:97], v[98:99], v[88:89] op_sel:[0,1]
	s_delay_alu instid0(VALU_DEP_2) | instskip(NEXT) | instid1(VALU_DEP_2)
	v_pk_add_f32 v[36:37], v[36:37], v[102:103] neg_lo:[0,1] neg_hi:[0,1]
	v_pk_fma_f32 v[100:101], v[98:99], v[86:87], v[96:97] op_sel:[0,0,1] op_sel_hi:[1,1,0] neg_lo:[0,0,1] neg_hi:[0,0,1]
	v_pk_fma_f32 v[96:97], v[98:99], v[86:87], v[96:97] op_sel:[0,0,1] op_sel_hi:[1,0,0]
	s_delay_alu instid0(VALU_DEP_1) | instskip(SKIP_4) | instid1(VALU_DEP_1)
	v_mov_b32_e32 v101, v97
	ds_load_2addr_b64 v[96:99], v90 offset0:32 offset1:33
	v_pk_add_f32 v[6:7], v[6:7], v[100:101] neg_lo:[0,1] neg_hi:[0,1]
	s_wait_dscnt 0x0
	v_pk_mul_f32 v[100:101], v[96:97], v[88:89] op_sel:[0,1]
	v_pk_fma_f32 v[102:103], v[96:97], v[86:87], v[100:101] op_sel:[0,0,1] op_sel_hi:[1,1,0] neg_lo:[0,0,1] neg_hi:[0,0,1]
	v_pk_fma_f32 v[96:97], v[96:97], v[86:87], v[100:101] op_sel:[0,0,1] op_sel_hi:[1,0,0]
	v_dual_mul_f32 v100, v99, v89 :: v_dual_mov_b32 v96, v99
	s_delay_alu instid0(VALU_DEP_2) | instskip(NEXT) | instid1(VALU_DEP_2)
	v_dual_mov_b32 v103, v97 :: v_dual_mov_b32 v97, v98
	v_pk_fma_f32 v[100:101], v[98:99], v[46:47], v[100:101] op_sel_hi:[1,1,0] neg_lo:[0,0,1] neg_hi:[0,0,1]
	v_mul_f32_e32 v98, v99, v86
	s_delay_alu instid0(VALU_DEP_3) | instskip(NEXT) | instid1(VALU_DEP_2)
	v_pk_add_f32 v[32:33], v[32:33], v[102:103] neg_lo:[0,1] neg_hi:[0,1]
	v_pk_fma_f32 v[96:97], v[96:97], v[46:47], v[98:99] op_sel_hi:[1,1,0]
	s_delay_alu instid0(VALU_DEP_1) | instskip(SKIP_4) | instid1(VALU_DEP_1)
	v_mov_b32_e32 v101, v97
	ds_load_2addr_b64 v[96:99], v90 offset0:34 offset1:35
	v_pk_add_f32 v[28:29], v[28:29], v[100:101] neg_lo:[0,1] neg_hi:[0,1]
	s_wait_dscnt 0x0
	v_pk_mul_f32 v[100:101], v[96:97], v[88:89] op_sel:[0,1]
	v_pk_fma_f32 v[102:103], v[96:97], v[86:87], v[100:101] op_sel:[0,0,1] op_sel_hi:[1,1,0] neg_lo:[0,0,1] neg_hi:[0,0,1]
	v_pk_fma_f32 v[96:97], v[96:97], v[86:87], v[100:101] op_sel:[0,0,1] op_sel_hi:[1,0,0]
	s_delay_alu instid0(VALU_DEP_1) | instskip(SKIP_1) | instid1(VALU_DEP_1)
	v_mov_b32_e32 v103, v97
	v_pk_mul_f32 v[96:97], v[98:99], v[88:89] op_sel:[0,1]
	v_pk_fma_f32 v[100:101], v[98:99], v[86:87], v[96:97] op_sel:[0,0,1] op_sel_hi:[1,1,0] neg_lo:[0,0,1] neg_hi:[0,0,1]
	v_pk_fma_f32 v[96:97], v[98:99], v[86:87], v[96:97] op_sel:[0,0,1] op_sel_hi:[1,0,0]
	s_delay_alu instid0(VALU_DEP_1)
	v_mov_b32_e32 v101, v97
	ds_load_2addr_b64 v[96:99], v90 offset0:36 offset1:37
	v_pk_add_f32 v[30:31], v[30:31], v[102:103] neg_lo:[0,1] neg_hi:[0,1]
	v_pk_add_f32 v[8:9], v[8:9], v[100:101] neg_lo:[0,1] neg_hi:[0,1]
	s_wait_dscnt 0x0
	v_pk_mul_f32 v[100:101], v[96:97], v[88:89] op_sel:[0,1]
	s_delay_alu instid0(VALU_DEP_1) | instskip(SKIP_1) | instid1(VALU_DEP_1)
	v_pk_fma_f32 v[102:103], v[96:97], v[86:87], v[100:101] op_sel:[0,0,1] op_sel_hi:[1,1,0] neg_lo:[0,0,1] neg_hi:[0,0,1]
	v_pk_fma_f32 v[96:97], v[96:97], v[86:87], v[100:101] op_sel:[0,0,1] op_sel_hi:[1,0,0]
	v_mov_b32_e32 v103, v97
	v_pk_mul_f32 v[96:97], v[98:99], v[88:89] op_sel:[0,1]
	s_delay_alu instid0(VALU_DEP_1) | instskip(SKIP_1) | instid1(VALU_DEP_1)
	v_pk_fma_f32 v[100:101], v[98:99], v[86:87], v[96:97] op_sel:[0,0,1] op_sel_hi:[1,1,0] neg_lo:[0,0,1] neg_hi:[0,0,1]
	v_pk_fma_f32 v[96:97], v[98:99], v[86:87], v[96:97] op_sel:[0,0,1] op_sel_hi:[1,0,0]
	v_mov_b32_e32 v101, v97
	ds_load_2addr_b64 v[96:99], v90 offset0:38 offset1:39
	v_pk_add_f32 v[26:27], v[26:27], v[102:103] neg_lo:[0,1] neg_hi:[0,1]
	v_pk_add_f32 v[20:21], v[20:21], v[100:101] neg_lo:[0,1] neg_hi:[0,1]
	s_wait_dscnt 0x0
	v_mul_f32_e32 v88, v97, v89
	s_delay_alu instid0(VALU_DEP_1) | instskip(SKIP_1) | instid1(VALU_DEP_1)
	v_pk_fma_f32 v[100:101], v[96:97], v[46:47], v[88:89] op_sel_hi:[1,1,0] neg_lo:[0,0,1] neg_hi:[0,0,1]
	v_dual_mul_f32 v88, v97, v86 :: v_dual_mul_f32 v86, v99, v86
	v_pk_fma_f32 v[96:97], v[96:97], v[46:47], v[88:89] op_sel:[1,0,0] op_sel_hi:[0,1,0]
	v_dual_mov_b32 v96, v99 :: v_dual_mul_f32 v88, v99, v89
	s_delay_alu instid0(VALU_DEP_2) | instskip(NEXT) | instid1(VALU_DEP_2)
	v_dual_mov_b32 v101, v97 :: v_dual_mov_b32 v97, v98
	v_pk_fma_f32 v[88:89], v[98:99], v[46:47], v[88:89] op_sel_hi:[1,1,0] neg_lo:[0,0,1] neg_hi:[0,0,1]
	s_delay_alu instid0(VALU_DEP_2) | instskip(NEXT) | instid1(VALU_DEP_3)
	v_pk_add_f32 v[18:19], v[18:19], v[100:101] neg_lo:[0,1] neg_hi:[0,1]
	v_pk_fma_f32 v[86:87], v[96:97], v[46:47], v[86:87] op_sel_hi:[1,1,0]
	s_delay_alu instid0(VALU_DEP_1) | instskip(NEXT) | instid1(VALU_DEP_1)
	v_mov_b32_e32 v89, v87
	v_pk_add_f32 v[84:85], v[84:85], v[88:89] neg_lo:[0,1] neg_hi:[0,1]
.LBB78_209:
	s_or_b32 exec_lo, exec_lo, s0
	v_lshl_add_u32 v86, v94, 3, v90
	s_barrier_signal -1
	s_barrier_wait -1
	ds_store_b64 v86, v[48:49]
	s_wait_dscnt 0x0
	s_barrier_signal -1
	s_barrier_wait -1
	ds_load_b64 v[88:89], v90 offset:80
	v_mov_b32_e32 v86, 10
	s_cmp_lt_i32 s18, 12
	s_cbranch_scc1 .LBB78_212
; %bb.210:
	v_add3_u32 v87, v91, 0, 0x58
	v_mov_b32_e32 v86, 10
	s_mov_b32 s0, 11
.LBB78_211:                             ; =>This Inner Loop Header: Depth=1
	ds_load_b64 v[96:97], v87
	s_wait_dscnt 0x1
	v_cmp_gt_f32_e32 vcc_lo, 0, v88
	v_cndmask_b32_e64 v98, v88, -v88, vcc_lo
	v_cmp_gt_f32_e32 vcc_lo, 0, v89
	v_cndmask_b32_e64 v100, v89, -v89, vcc_lo
	s_wait_dscnt 0x0
	v_cmp_gt_f32_e32 vcc_lo, 0, v96
	v_cndmask_b32_e64 v99, v96, -v96, vcc_lo
	v_cmp_gt_f32_e32 vcc_lo, 0, v97
	v_cndmask_b32_e64 v101, v97, -v97, vcc_lo
	s_delay_alu instid0(VALU_DEP_1) | instskip(NEXT) | instid1(VALU_DEP_1)
	v_pk_add_f32 v[98:99], v[98:99], v[100:101]
	v_cmp_lt_f32_e32 vcc_lo, v98, v99
	v_dual_add_nc_u32 v87, 8, v87 :: v_dual_cndmask_b32 v89, v89, v97, vcc_lo
	v_cndmask_b32_e32 v88, v88, v96, vcc_lo
	v_cndmask_b32_e64 v86, v86, s0, vcc_lo
	s_add_co_i32 s0, s0, 1
	s_delay_alu instid0(SALU_CYCLE_1)
	s_cmp_lg_u32 s18, s0
	s_cbranch_scc1 .LBB78_211
.LBB78_212:
	s_wait_dscnt 0x0
	v_cmp_eq_f32_e32 vcc_lo, 0, v88
	v_cmp_eq_f32_e64 s0, 0, v89
	s_and_b32 s0, vcc_lo, s0
	s_delay_alu instid0(SALU_CYCLE_1) | instskip(NEXT) | instid1(SALU_CYCLE_1)
	s_and_saveexec_b32 s1, s0
	s_xor_b32 s0, exec_lo, s1
; %bb.213:
	v_cmp_ne_u32_e32 vcc_lo, 0, v92
	v_cndmask_b32_e32 v92, 11, v92, vcc_lo
; %bb.214:
	s_and_not1_saveexec_b32 s0, s0
	s_cbranch_execz .LBB78_220
; %bb.215:
	v_cmp_ngt_f32_e64 s1, |v88|, |v89|
	s_and_saveexec_b32 s12, s1
	s_delay_alu instid0(SALU_CYCLE_1)
	s_xor_b32 s1, exec_lo, s12
	s_cbranch_execz .LBB78_217
; %bb.216:
	v_div_scale_f32 v87, null, v89, v89, v88
	v_div_scale_f32 v97, vcc_lo, v88, v89, v88
	s_delay_alu instid0(VALU_DEP_2) | instskip(SKIP_1) | instid1(TRANS32_DEP_1)
	v_rcp_f32_e32 v95, v87
	v_nop
	v_fma_f32 v96, -v87, v95, 1.0
	s_delay_alu instid0(VALU_DEP_1) | instskip(NEXT) | instid1(VALU_DEP_1)
	v_fmac_f32_e32 v95, v96, v95
	v_mul_f32_e32 v96, v97, v95
	s_delay_alu instid0(VALU_DEP_1) | instskip(NEXT) | instid1(VALU_DEP_1)
	v_fma_f32 v98, -v87, v96, v97
	v_fmac_f32_e32 v96, v98, v95
	s_delay_alu instid0(VALU_DEP_1) | instskip(NEXT) | instid1(VALU_DEP_1)
	v_fma_f32 v87, -v87, v96, v97
	v_div_fmas_f32 v87, v87, v95, v96
	s_delay_alu instid0(VALU_DEP_1) | instskip(NEXT) | instid1(VALU_DEP_1)
	v_div_fixup_f32 v87, v87, v89, v88
	v_fmac_f32_e32 v89, v88, v87
	s_delay_alu instid0(VALU_DEP_1) | instskip(SKIP_1) | instid1(VALU_DEP_2)
	v_div_scale_f32 v88, null, v89, v89, 1.0
	v_div_scale_f32 v97, vcc_lo, 1.0, v89, 1.0
	v_rcp_f32_e32 v95, v88
	v_nop
	s_delay_alu instid0(TRANS32_DEP_1) | instskip(NEXT) | instid1(VALU_DEP_1)
	v_fma_f32 v96, -v88, v95, 1.0
	v_fmac_f32_e32 v95, v96, v95
	s_delay_alu instid0(VALU_DEP_1) | instskip(NEXT) | instid1(VALU_DEP_1)
	v_mul_f32_e32 v96, v97, v95
	v_fma_f32 v98, -v88, v96, v97
	s_delay_alu instid0(VALU_DEP_1) | instskip(NEXT) | instid1(VALU_DEP_1)
	v_fmac_f32_e32 v96, v98, v95
	v_fma_f32 v88, -v88, v96, v97
	s_delay_alu instid0(VALU_DEP_1) | instskip(NEXT) | instid1(VALU_DEP_1)
	v_div_fmas_f32 v88, v88, v95, v96
	v_div_fixup_f32 v89, v88, v89, 1.0
	s_delay_alu instid0(VALU_DEP_1)
	v_mul_f32_e32 v88, v87, v89
	v_xor_b32_e32 v89, 0x80000000, v89
.LBB78_217:
	s_and_not1_saveexec_b32 s1, s1
	s_cbranch_execz .LBB78_219
; %bb.218:
	s_delay_alu instid0(VALU_DEP_1) | instskip(SKIP_1) | instid1(VALU_DEP_2)
	v_div_scale_f32 v87, null, v88, v88, v89
	v_div_scale_f32 v97, vcc_lo, v89, v88, v89
	v_rcp_f32_e32 v95, v87
	v_nop
	s_delay_alu instid0(TRANS32_DEP_1) | instskip(NEXT) | instid1(VALU_DEP_1)
	v_fma_f32 v96, -v87, v95, 1.0
	v_fmac_f32_e32 v95, v96, v95
	s_delay_alu instid0(VALU_DEP_1) | instskip(NEXT) | instid1(VALU_DEP_1)
	v_mul_f32_e32 v96, v97, v95
	v_fma_f32 v98, -v87, v96, v97
	s_delay_alu instid0(VALU_DEP_1) | instskip(NEXT) | instid1(VALU_DEP_1)
	v_fmac_f32_e32 v96, v98, v95
	v_fma_f32 v87, -v87, v96, v97
	s_delay_alu instid0(VALU_DEP_1) | instskip(NEXT) | instid1(VALU_DEP_1)
	v_div_fmas_f32 v87, v87, v95, v96
	v_div_fixup_f32 v87, v87, v88, v89
	s_delay_alu instid0(VALU_DEP_1) | instskip(NEXT) | instid1(VALU_DEP_1)
	v_fmac_f32_e32 v88, v89, v87
	v_div_scale_f32 v89, null, v88, v88, 1.0
	s_delay_alu instid0(VALU_DEP_1) | instskip(SKIP_1) | instid1(TRANS32_DEP_1)
	v_rcp_f32_e32 v95, v89
	v_nop
	v_fma_f32 v96, -v89, v95, 1.0
	s_delay_alu instid0(VALU_DEP_1) | instskip(SKIP_1) | instid1(VALU_DEP_1)
	v_fmac_f32_e32 v95, v96, v95
	v_div_scale_f32 v96, vcc_lo, 1.0, v88, 1.0
	v_mul_f32_e32 v97, v96, v95
	s_delay_alu instid0(VALU_DEP_1) | instskip(NEXT) | instid1(VALU_DEP_1)
	v_fma_f32 v98, -v89, v97, v96
	v_fmac_f32_e32 v97, v98, v95
	s_delay_alu instid0(VALU_DEP_1) | instskip(NEXT) | instid1(VALU_DEP_1)
	v_fma_f32 v89, -v89, v97, v96
	v_div_fmas_f32 v89, v89, v95, v97
	s_delay_alu instid0(VALU_DEP_1) | instskip(NEXT) | instid1(VALU_DEP_1)
	v_div_fixup_f32 v88, v89, v88, 1.0
	v_mul_f32_e64 v89, v87, -v88
.LBB78_219:
	s_or_b32 exec_lo, exec_lo, s1
.LBB78_220:
	s_delay_alu instid0(SALU_CYCLE_1) | instskip(NEXT) | instid1(SALU_CYCLE_1)
	s_or_b32 exec_lo, exec_lo, s0
	s_mov_b32 s0, exec_lo
	v_cmpx_ne_u32_e64 v94, v86
	s_xor_b32 s0, exec_lo, s0
	s_cbranch_execz .LBB78_226
; %bb.221:
	s_mov_b32 s1, exec_lo
	v_cmpx_eq_u32_e32 10, v94
	s_cbranch_execz .LBB78_225
; %bb.222:
	v_cmp_ne_u32_e32 vcc_lo, 10, v86
	s_xor_b32 s12, s16, -1
	s_delay_alu instid0(SALU_CYCLE_1) | instskip(NEXT) | instid1(SALU_CYCLE_1)
	s_and_b32 s13, s12, vcc_lo
	s_and_saveexec_b32 s12, s13
	s_cbranch_execz .LBB78_224
; %bb.223:
	v_ashrrev_i32_e32 v87, 31, v86
	s_delay_alu instid0(VALU_DEP_1)
	v_lshl_add_u64 v[94:95], v[86:87], 2, v[4:5]
	s_clause 0x1
	global_load_b32 v87, v[94:95], off
	global_load_b32 v93, v[4:5], off offset:40
	s_wait_loadcnt 0x1
	global_store_b32 v[4:5], v87, off offset:40
	s_wait_loadcnt 0x0
	global_store_b32 v[94:95], v93, off
.LBB78_224:
	s_wait_xcnt 0x0
	s_or_b32 exec_lo, exec_lo, s12
	v_dual_mov_b32 v94, v86 :: v_dual_mov_b32 v93, v86
.LBB78_225:
	s_or_b32 exec_lo, exec_lo, s1
.LBB78_226:
	s_and_not1_saveexec_b32 s0, s0
	s_cbranch_execz .LBB78_228
; %bb.227:
	v_mov_b32_e32 v94, 10
	ds_store_2addr_b64 v90, v[12:13], v[74:75] offset0:11 offset1:12
	ds_store_2addr_b64 v90, v[70:71], v[72:73] offset0:13 offset1:14
	ds_store_2addr_b64 v90, v[24:25], v[68:69] offset0:15 offset1:16
	ds_store_2addr_b64 v90, v[64:65], v[66:67] offset0:17 offset1:18
	ds_store_2addr_b64 v90, v[22:23], v[62:63] offset0:19 offset1:20
	ds_store_2addr_b64 v90, v[58:59], v[60:61] offset0:21 offset1:22
	ds_store_2addr_b64 v90, v[16:17], v[56:57] offset0:23 offset1:24
	ds_store_2addr_b64 v90, v[52:53], v[54:55] offset0:25 offset1:26
	ds_store_2addr_b64 v90, v[14:15], v[38:39] offset0:27 offset1:28
	ds_store_2addr_b64 v90, v[34:35], v[36:37] offset0:29 offset1:30
	ds_store_2addr_b64 v90, v[6:7], v[32:33] offset0:31 offset1:32
	ds_store_2addr_b64 v90, v[28:29], v[30:31] offset0:33 offset1:34
	ds_store_2addr_b64 v90, v[8:9], v[26:27] offset0:35 offset1:36
	ds_store_2addr_b64 v90, v[20:21], v[18:19] offset0:37 offset1:38
	ds_store_b64 v90, v[84:85] offset:312
.LBB78_228:
	s_or_b32 exec_lo, exec_lo, s0
	s_delay_alu instid0(SALU_CYCLE_1)
	s_mov_b32 s0, exec_lo
	s_wait_storecnt_dscnt 0x0
	s_barrier_signal -1
	s_barrier_wait -1
	v_cmpx_lt_i32_e32 10, v94
	s_cbranch_execz .LBB78_230
; %bb.229:
	v_pk_mul_f32 v[96:97], v[88:89], v[48:49] op_sel:[1,1] op_sel_hi:[0,1]
	s_delay_alu instid0(VALU_DEP_1)
	v_pk_fma_f32 v[86:87], v[88:89], v[48:49], v[96:97] op_sel_hi:[1,0,1] neg_lo:[0,0,1] neg_hi:[0,0,1]
	v_pk_fma_f32 v[88:89], v[88:89], v[48:49], v[96:97] op_sel_hi:[1,0,1]
	ds_load_2addr_b64 v[96:99], v90 offset0:11 offset1:12
	v_dual_mov_b32 v48, v86 :: v_dual_mov_b32 v49, v89
	s_wait_dscnt 0x0
	v_pk_mul_f32 v[100:101], v[96:97], v[88:89] op_sel:[0,1]
	s_delay_alu instid0(VALU_DEP_1) | instskip(SKIP_1) | instid1(VALU_DEP_1)
	v_pk_fma_f32 v[102:103], v[96:97], v[86:87], v[100:101] op_sel:[0,0,1] op_sel_hi:[1,1,0] neg_lo:[0,0,1] neg_hi:[0,0,1]
	v_pk_fma_f32 v[96:97], v[96:97], v[86:87], v[100:101] op_sel:[0,0,1] op_sel_hi:[1,0,0]
	v_mov_b32_e32 v103, v97
	v_pk_mul_f32 v[96:97], v[98:99], v[88:89] op_sel:[0,1]
	s_delay_alu instid0(VALU_DEP_1) | instskip(SKIP_1) | instid1(VALU_DEP_1)
	v_pk_fma_f32 v[100:101], v[98:99], v[86:87], v[96:97] op_sel:[0,0,1] op_sel_hi:[1,1,0] neg_lo:[0,0,1] neg_hi:[0,0,1]
	v_pk_fma_f32 v[96:97], v[98:99], v[86:87], v[96:97] op_sel:[0,0,1] op_sel_hi:[1,0,0]
	v_mov_b32_e32 v101, v97
	ds_load_2addr_b64 v[96:99], v90 offset0:13 offset1:14
	v_pk_add_f32 v[12:13], v[12:13], v[102:103] neg_lo:[0,1] neg_hi:[0,1]
	v_pk_add_f32 v[74:75], v[74:75], v[100:101] neg_lo:[0,1] neg_hi:[0,1]
	s_wait_dscnt 0x0
	v_pk_mul_f32 v[100:101], v[96:97], v[88:89] op_sel:[0,1]
	s_delay_alu instid0(VALU_DEP_1) | instskip(SKIP_2) | instid1(VALU_DEP_2)
	v_pk_fma_f32 v[102:103], v[96:97], v[86:87], v[100:101] op_sel:[0,0,1] op_sel_hi:[1,1,0] neg_lo:[0,0,1] neg_hi:[0,0,1]
	v_pk_fma_f32 v[96:97], v[96:97], v[86:87], v[100:101] op_sel:[0,0,1] op_sel_hi:[1,0,0]
	v_dual_mul_f32 v100, v99, v89 :: v_dual_mov_b32 v96, v99
	v_dual_mov_b32 v103, v97 :: v_dual_mov_b32 v97, v98
	s_delay_alu instid0(VALU_DEP_2) | instskip(SKIP_1) | instid1(VALU_DEP_3)
	v_pk_fma_f32 v[100:101], v[98:99], v[48:49], v[100:101] op_sel_hi:[1,1,0] neg_lo:[0,0,1] neg_hi:[0,0,1]
	v_mul_f32_e32 v98, v99, v86
	v_pk_add_f32 v[70:71], v[70:71], v[102:103] neg_lo:[0,1] neg_hi:[0,1]
	s_delay_alu instid0(VALU_DEP_2) | instskip(NEXT) | instid1(VALU_DEP_1)
	v_pk_fma_f32 v[96:97], v[96:97], v[48:49], v[98:99] op_sel_hi:[1,1,0]
	v_mov_b32_e32 v101, v97
	ds_load_2addr_b64 v[96:99], v90 offset0:15 offset1:16
	v_pk_add_f32 v[72:73], v[72:73], v[100:101] neg_lo:[0,1] neg_hi:[0,1]
	s_wait_dscnt 0x0
	v_pk_mul_f32 v[100:101], v[96:97], v[88:89] op_sel:[0,1]
	s_delay_alu instid0(VALU_DEP_1) | instskip(SKIP_1) | instid1(VALU_DEP_1)
	v_pk_fma_f32 v[102:103], v[96:97], v[86:87], v[100:101] op_sel:[0,0,1] op_sel_hi:[1,1,0] neg_lo:[0,0,1] neg_hi:[0,0,1]
	v_pk_fma_f32 v[96:97], v[96:97], v[86:87], v[100:101] op_sel:[0,0,1] op_sel_hi:[1,0,0]
	v_mov_b32_e32 v103, v97
	v_pk_mul_f32 v[96:97], v[98:99], v[88:89] op_sel:[0,1]
	s_delay_alu instid0(VALU_DEP_1) | instskip(SKIP_1) | instid1(VALU_DEP_1)
	v_pk_fma_f32 v[100:101], v[98:99], v[86:87], v[96:97] op_sel:[0,0,1] op_sel_hi:[1,1,0] neg_lo:[0,0,1] neg_hi:[0,0,1]
	v_pk_fma_f32 v[96:97], v[98:99], v[86:87], v[96:97] op_sel:[0,0,1] op_sel_hi:[1,0,0]
	v_mov_b32_e32 v101, v97
	ds_load_2addr_b64 v[96:99], v90 offset0:17 offset1:18
	v_pk_add_f32 v[24:25], v[24:25], v[102:103] neg_lo:[0,1] neg_hi:[0,1]
	v_pk_add_f32 v[68:69], v[68:69], v[100:101] neg_lo:[0,1] neg_hi:[0,1]
	s_wait_dscnt 0x0
	v_pk_mul_f32 v[100:101], v[96:97], v[88:89] op_sel:[0,1]
	s_delay_alu instid0(VALU_DEP_1) | instskip(SKIP_1) | instid1(VALU_DEP_1)
	v_pk_fma_f32 v[102:103], v[96:97], v[86:87], v[100:101] op_sel:[0,0,1] op_sel_hi:[1,1,0] neg_lo:[0,0,1] neg_hi:[0,0,1]
	v_pk_fma_f32 v[96:97], v[96:97], v[86:87], v[100:101] op_sel:[0,0,1] op_sel_hi:[1,0,0]
	v_mov_b32_e32 v103, v97
	v_pk_mul_f32 v[96:97], v[98:99], v[88:89] op_sel:[0,1]
	s_delay_alu instid0(VALU_DEP_1) | instskip(SKIP_1) | instid1(VALU_DEP_1)
	v_pk_fma_f32 v[100:101], v[98:99], v[86:87], v[96:97] op_sel:[0,0,1] op_sel_hi:[1,1,0] neg_lo:[0,0,1] neg_hi:[0,0,1]
	v_pk_fma_f32 v[96:97], v[98:99], v[86:87], v[96:97] op_sel:[0,0,1] op_sel_hi:[1,0,0]
	v_mov_b32_e32 v101, v97
	ds_load_2addr_b64 v[96:99], v90 offset0:19 offset1:20
	v_pk_add_f32 v[64:65], v[64:65], v[102:103] neg_lo:[0,1] neg_hi:[0,1]
	v_pk_add_f32 v[66:67], v[66:67], v[100:101] neg_lo:[0,1] neg_hi:[0,1]
	s_wait_dscnt 0x0
	v_dual_mul_f32 v100, v97, v89 :: v_dual_mul_f32 v102, v97, v86
	s_delay_alu instid0(VALU_DEP_1) | instskip(NEXT) | instid1(VALU_DEP_2)
	v_pk_fma_f32 v[100:101], v[96:97], v[48:49], v[100:101] op_sel_hi:[1,1,0] neg_lo:[0,0,1] neg_hi:[0,0,1]
	v_pk_fma_f32 v[96:97], v[96:97], v[48:49], v[102:103] op_sel:[1,0,0] op_sel_hi:[0,1,0]
	s_delay_alu instid0(VALU_DEP_1) | instskip(SKIP_1) | instid1(VALU_DEP_2)
	v_mov_b32_e32 v101, v97
	v_pk_mul_f32 v[96:97], v[98:99], v[88:89] op_sel:[0,1]
	v_pk_add_f32 v[22:23], v[22:23], v[100:101] neg_lo:[0,1] neg_hi:[0,1]
	s_delay_alu instid0(VALU_DEP_2) | instskip(SKIP_1) | instid1(VALU_DEP_1)
	v_pk_fma_f32 v[100:101], v[98:99], v[86:87], v[96:97] op_sel:[0,0,1] op_sel_hi:[1,1,0] neg_lo:[0,0,1] neg_hi:[0,0,1]
	v_pk_fma_f32 v[96:97], v[98:99], v[86:87], v[96:97] op_sel:[0,0,1] op_sel_hi:[1,0,0]
	v_mov_b32_e32 v101, v97
	ds_load_2addr_b64 v[96:99], v90 offset0:21 offset1:22
	v_pk_add_f32 v[62:63], v[62:63], v[100:101] neg_lo:[0,1] neg_hi:[0,1]
	s_wait_dscnt 0x0
	v_pk_mul_f32 v[100:101], v[96:97], v[88:89] op_sel:[0,1]
	s_delay_alu instid0(VALU_DEP_1) | instskip(SKIP_1) | instid1(VALU_DEP_1)
	v_pk_fma_f32 v[102:103], v[96:97], v[86:87], v[100:101] op_sel:[0,0,1] op_sel_hi:[1,1,0] neg_lo:[0,0,1] neg_hi:[0,0,1]
	v_pk_fma_f32 v[96:97], v[96:97], v[86:87], v[100:101] op_sel:[0,0,1] op_sel_hi:[1,0,0]
	v_mov_b32_e32 v103, v97
	v_pk_mul_f32 v[96:97], v[98:99], v[88:89] op_sel:[0,1]
	s_delay_alu instid0(VALU_DEP_2) | instskip(NEXT) | instid1(VALU_DEP_2)
	v_pk_add_f32 v[58:59], v[58:59], v[102:103] neg_lo:[0,1] neg_hi:[0,1]
	v_pk_fma_f32 v[100:101], v[98:99], v[86:87], v[96:97] op_sel:[0,0,1] op_sel_hi:[1,1,0] neg_lo:[0,0,1] neg_hi:[0,0,1]
	v_pk_fma_f32 v[96:97], v[98:99], v[86:87], v[96:97] op_sel:[0,0,1] op_sel_hi:[1,0,0]
	s_delay_alu instid0(VALU_DEP_1) | instskip(SKIP_4) | instid1(VALU_DEP_1)
	v_mov_b32_e32 v101, v97
	ds_load_2addr_b64 v[96:99], v90 offset0:23 offset1:24
	v_pk_add_f32 v[60:61], v[60:61], v[100:101] neg_lo:[0,1] neg_hi:[0,1]
	s_wait_dscnt 0x0
	v_pk_mul_f32 v[100:101], v[96:97], v[88:89] op_sel:[0,1]
	v_pk_fma_f32 v[102:103], v[96:97], v[86:87], v[100:101] op_sel:[0,0,1] op_sel_hi:[1,1,0] neg_lo:[0,0,1] neg_hi:[0,0,1]
	v_pk_fma_f32 v[96:97], v[96:97], v[86:87], v[100:101] op_sel:[0,0,1] op_sel_hi:[1,0,0]
	v_dual_mul_f32 v100, v99, v89 :: v_dual_mov_b32 v96, v99
	s_delay_alu instid0(VALU_DEP_2) | instskip(NEXT) | instid1(VALU_DEP_2)
	v_dual_mov_b32 v103, v97 :: v_dual_mov_b32 v97, v98
	v_pk_fma_f32 v[100:101], v[98:99], v[48:49], v[100:101] op_sel_hi:[1,1,0] neg_lo:[0,0,1] neg_hi:[0,0,1]
	v_mul_f32_e32 v98, v99, v86
	s_delay_alu instid0(VALU_DEP_3) | instskip(NEXT) | instid1(VALU_DEP_2)
	v_pk_add_f32 v[16:17], v[16:17], v[102:103] neg_lo:[0,1] neg_hi:[0,1]
	v_pk_fma_f32 v[96:97], v[96:97], v[48:49], v[98:99] op_sel_hi:[1,1,0]
	s_delay_alu instid0(VALU_DEP_1) | instskip(SKIP_4) | instid1(VALU_DEP_1)
	v_mov_b32_e32 v101, v97
	ds_load_2addr_b64 v[96:99], v90 offset0:25 offset1:26
	v_pk_add_f32 v[56:57], v[56:57], v[100:101] neg_lo:[0,1] neg_hi:[0,1]
	s_wait_dscnt 0x0
	v_pk_mul_f32 v[100:101], v[96:97], v[88:89] op_sel:[0,1]
	v_pk_fma_f32 v[102:103], v[96:97], v[86:87], v[100:101] op_sel:[0,0,1] op_sel_hi:[1,1,0] neg_lo:[0,0,1] neg_hi:[0,0,1]
	v_pk_fma_f32 v[96:97], v[96:97], v[86:87], v[100:101] op_sel:[0,0,1] op_sel_hi:[1,0,0]
	s_delay_alu instid0(VALU_DEP_1) | instskip(SKIP_1) | instid1(VALU_DEP_1)
	v_mov_b32_e32 v103, v97
	v_pk_mul_f32 v[96:97], v[98:99], v[88:89] op_sel:[0,1]
	v_pk_fma_f32 v[100:101], v[98:99], v[86:87], v[96:97] op_sel:[0,0,1] op_sel_hi:[1,1,0] neg_lo:[0,0,1] neg_hi:[0,0,1]
	v_pk_fma_f32 v[96:97], v[98:99], v[86:87], v[96:97] op_sel:[0,0,1] op_sel_hi:[1,0,0]
	s_delay_alu instid0(VALU_DEP_1)
	v_mov_b32_e32 v101, v97
	ds_load_2addr_b64 v[96:99], v90 offset0:27 offset1:28
	v_pk_add_f32 v[52:53], v[52:53], v[102:103] neg_lo:[0,1] neg_hi:[0,1]
	v_pk_add_f32 v[54:55], v[54:55], v[100:101] neg_lo:[0,1] neg_hi:[0,1]
	s_wait_dscnt 0x0
	v_pk_mul_f32 v[100:101], v[96:97], v[88:89] op_sel:[0,1]
	s_delay_alu instid0(VALU_DEP_1) | instskip(SKIP_1) | instid1(VALU_DEP_1)
	v_pk_fma_f32 v[102:103], v[96:97], v[86:87], v[100:101] op_sel:[0,0,1] op_sel_hi:[1,1,0] neg_lo:[0,0,1] neg_hi:[0,0,1]
	v_pk_fma_f32 v[96:97], v[96:97], v[86:87], v[100:101] op_sel:[0,0,1] op_sel_hi:[1,0,0]
	v_mov_b32_e32 v103, v97
	v_pk_mul_f32 v[96:97], v[98:99], v[88:89] op_sel:[0,1]
	s_delay_alu instid0(VALU_DEP_1) | instskip(SKIP_1) | instid1(VALU_DEP_1)
	v_pk_fma_f32 v[100:101], v[98:99], v[86:87], v[96:97] op_sel:[0,0,1] op_sel_hi:[1,1,0] neg_lo:[0,0,1] neg_hi:[0,0,1]
	v_pk_fma_f32 v[96:97], v[98:99], v[86:87], v[96:97] op_sel:[0,0,1] op_sel_hi:[1,0,0]
	v_mov_b32_e32 v101, v97
	ds_load_2addr_b64 v[96:99], v90 offset0:29 offset1:30
	v_pk_add_f32 v[14:15], v[14:15], v[102:103] neg_lo:[0,1] neg_hi:[0,1]
	v_pk_add_f32 v[38:39], v[38:39], v[100:101] neg_lo:[0,1] neg_hi:[0,1]
	s_wait_dscnt 0x0
	v_dual_mul_f32 v100, v97, v89 :: v_dual_mul_f32 v102, v97, v86
	s_delay_alu instid0(VALU_DEP_1) | instskip(NEXT) | instid1(VALU_DEP_2)
	v_pk_fma_f32 v[100:101], v[96:97], v[48:49], v[100:101] op_sel_hi:[1,1,0] neg_lo:[0,0,1] neg_hi:[0,0,1]
	v_pk_fma_f32 v[96:97], v[96:97], v[48:49], v[102:103] op_sel:[1,0,0] op_sel_hi:[0,1,0]
	s_delay_alu instid0(VALU_DEP_1) | instskip(SKIP_1) | instid1(VALU_DEP_2)
	v_mov_b32_e32 v101, v97
	v_pk_mul_f32 v[96:97], v[98:99], v[88:89] op_sel:[0,1]
	v_pk_add_f32 v[34:35], v[34:35], v[100:101] neg_lo:[0,1] neg_hi:[0,1]
	s_delay_alu instid0(VALU_DEP_2) | instskip(SKIP_1) | instid1(VALU_DEP_1)
	v_pk_fma_f32 v[100:101], v[98:99], v[86:87], v[96:97] op_sel:[0,0,1] op_sel_hi:[1,1,0] neg_lo:[0,0,1] neg_hi:[0,0,1]
	v_pk_fma_f32 v[96:97], v[98:99], v[86:87], v[96:97] op_sel:[0,0,1] op_sel_hi:[1,0,0]
	v_mov_b32_e32 v101, v97
	ds_load_2addr_b64 v[96:99], v90 offset0:31 offset1:32
	v_pk_add_f32 v[36:37], v[36:37], v[100:101] neg_lo:[0,1] neg_hi:[0,1]
	s_wait_dscnt 0x0
	v_pk_mul_f32 v[100:101], v[96:97], v[88:89] op_sel:[0,1]
	s_delay_alu instid0(VALU_DEP_1) | instskip(SKIP_1) | instid1(VALU_DEP_1)
	v_pk_fma_f32 v[102:103], v[96:97], v[86:87], v[100:101] op_sel:[0,0,1] op_sel_hi:[1,1,0] neg_lo:[0,0,1] neg_hi:[0,0,1]
	v_pk_fma_f32 v[96:97], v[96:97], v[86:87], v[100:101] op_sel:[0,0,1] op_sel_hi:[1,0,0]
	v_mov_b32_e32 v103, v97
	v_pk_mul_f32 v[96:97], v[98:99], v[88:89] op_sel:[0,1]
	s_delay_alu instid0(VALU_DEP_2) | instskip(NEXT) | instid1(VALU_DEP_2)
	v_pk_add_f32 v[6:7], v[6:7], v[102:103] neg_lo:[0,1] neg_hi:[0,1]
	v_pk_fma_f32 v[100:101], v[98:99], v[86:87], v[96:97] op_sel:[0,0,1] op_sel_hi:[1,1,0] neg_lo:[0,0,1] neg_hi:[0,0,1]
	v_pk_fma_f32 v[96:97], v[98:99], v[86:87], v[96:97] op_sel:[0,0,1] op_sel_hi:[1,0,0]
	s_delay_alu instid0(VALU_DEP_1) | instskip(SKIP_4) | instid1(VALU_DEP_1)
	v_mov_b32_e32 v101, v97
	ds_load_2addr_b64 v[96:99], v90 offset0:33 offset1:34
	v_pk_add_f32 v[32:33], v[32:33], v[100:101] neg_lo:[0,1] neg_hi:[0,1]
	s_wait_dscnt 0x0
	v_pk_mul_f32 v[100:101], v[96:97], v[88:89] op_sel:[0,1]
	v_pk_fma_f32 v[102:103], v[96:97], v[86:87], v[100:101] op_sel:[0,0,1] op_sel_hi:[1,1,0] neg_lo:[0,0,1] neg_hi:[0,0,1]
	v_pk_fma_f32 v[96:97], v[96:97], v[86:87], v[100:101] op_sel:[0,0,1] op_sel_hi:[1,0,0]
	v_dual_mul_f32 v100, v99, v89 :: v_dual_mov_b32 v96, v99
	s_delay_alu instid0(VALU_DEP_2) | instskip(NEXT) | instid1(VALU_DEP_2)
	v_dual_mov_b32 v103, v97 :: v_dual_mov_b32 v97, v98
	v_pk_fma_f32 v[100:101], v[98:99], v[48:49], v[100:101] op_sel_hi:[1,1,0] neg_lo:[0,0,1] neg_hi:[0,0,1]
	v_mul_f32_e32 v98, v99, v86
	s_delay_alu instid0(VALU_DEP_3) | instskip(NEXT) | instid1(VALU_DEP_2)
	v_pk_add_f32 v[28:29], v[28:29], v[102:103] neg_lo:[0,1] neg_hi:[0,1]
	v_pk_fma_f32 v[96:97], v[96:97], v[48:49], v[98:99] op_sel_hi:[1,1,0]
	s_delay_alu instid0(VALU_DEP_1) | instskip(SKIP_4) | instid1(VALU_DEP_1)
	v_mov_b32_e32 v101, v97
	ds_load_2addr_b64 v[96:99], v90 offset0:35 offset1:36
	v_pk_add_f32 v[30:31], v[30:31], v[100:101] neg_lo:[0,1] neg_hi:[0,1]
	s_wait_dscnt 0x0
	v_pk_mul_f32 v[100:101], v[96:97], v[88:89] op_sel:[0,1]
	v_pk_fma_f32 v[102:103], v[96:97], v[86:87], v[100:101] op_sel:[0,0,1] op_sel_hi:[1,1,0] neg_lo:[0,0,1] neg_hi:[0,0,1]
	v_pk_fma_f32 v[96:97], v[96:97], v[86:87], v[100:101] op_sel:[0,0,1] op_sel_hi:[1,0,0]
	s_delay_alu instid0(VALU_DEP_1) | instskip(SKIP_1) | instid1(VALU_DEP_1)
	v_mov_b32_e32 v103, v97
	v_pk_mul_f32 v[96:97], v[98:99], v[88:89] op_sel:[0,1]
	v_pk_fma_f32 v[100:101], v[98:99], v[86:87], v[96:97] op_sel:[0,0,1] op_sel_hi:[1,1,0] neg_lo:[0,0,1] neg_hi:[0,0,1]
	v_pk_fma_f32 v[96:97], v[98:99], v[86:87], v[96:97] op_sel:[0,0,1] op_sel_hi:[1,0,0]
	s_delay_alu instid0(VALU_DEP_1)
	v_mov_b32_e32 v101, v97
	ds_load_2addr_b64 v[96:99], v90 offset0:37 offset1:38
	v_pk_add_f32 v[8:9], v[8:9], v[102:103] neg_lo:[0,1] neg_hi:[0,1]
	v_pk_add_f32 v[26:27], v[26:27], v[100:101] neg_lo:[0,1] neg_hi:[0,1]
	s_wait_dscnt 0x0
	v_pk_mul_f32 v[100:101], v[96:97], v[88:89] op_sel:[0,1]
	s_delay_alu instid0(VALU_DEP_1) | instskip(SKIP_1) | instid1(VALU_DEP_1)
	v_pk_fma_f32 v[102:103], v[96:97], v[86:87], v[100:101] op_sel:[0,0,1] op_sel_hi:[1,1,0] neg_lo:[0,0,1] neg_hi:[0,0,1]
	v_pk_fma_f32 v[96:97], v[96:97], v[86:87], v[100:101] op_sel:[0,0,1] op_sel_hi:[1,0,0]
	v_mov_b32_e32 v103, v97
	v_pk_mul_f32 v[96:97], v[98:99], v[88:89] op_sel:[0,1]
	s_delay_alu instid0(VALU_DEP_1) | instskip(SKIP_1) | instid1(VALU_DEP_1)
	v_pk_fma_f32 v[100:101], v[98:99], v[86:87], v[96:97] op_sel:[0,0,1] op_sel_hi:[1,1,0] neg_lo:[0,0,1] neg_hi:[0,0,1]
	v_pk_fma_f32 v[96:97], v[98:99], v[86:87], v[96:97] op_sel:[0,0,1] op_sel_hi:[1,0,0]
	v_mov_b32_e32 v101, v97
	ds_load_b64 v[96:97], v90 offset:312
	v_pk_add_f32 v[20:21], v[20:21], v[102:103] neg_lo:[0,1] neg_hi:[0,1]
	v_pk_add_f32 v[18:19], v[18:19], v[100:101] neg_lo:[0,1] neg_hi:[0,1]
	s_wait_dscnt 0x0
	v_pk_mul_f32 v[88:89], v[96:97], v[88:89] op_sel:[0,1]
	s_delay_alu instid0(VALU_DEP_1) | instskip(SKIP_1) | instid1(VALU_DEP_1)
	v_pk_fma_f32 v[98:99], v[96:97], v[86:87], v[88:89] op_sel:[0,0,1] op_sel_hi:[1,1,0] neg_lo:[0,0,1] neg_hi:[0,0,1]
	v_pk_fma_f32 v[86:87], v[96:97], v[86:87], v[88:89] op_sel:[0,0,1] op_sel_hi:[1,0,0]
	v_mov_b32_e32 v99, v87
	s_delay_alu instid0(VALU_DEP_1)
	v_pk_add_f32 v[84:85], v[84:85], v[98:99] neg_lo:[0,1] neg_hi:[0,1]
.LBB78_230:
	s_or_b32 exec_lo, exec_lo, s0
	v_lshl_add_u32 v86, v94, 3, v90
	s_barrier_signal -1
	s_barrier_wait -1
	ds_store_b64 v86, v[12:13]
	s_wait_dscnt 0x0
	s_barrier_signal -1
	s_barrier_wait -1
	ds_load_b64 v[88:89], v90 offset:88
	v_mov_b32_e32 v86, 11
	s_cmp_lt_i32 s18, 13
	s_cbranch_scc1 .LBB78_233
; %bb.231:
	v_add3_u32 v87, v91, 0, 0x60
	v_mov_b32_e32 v86, 11
	s_mov_b32 s0, 12
.LBB78_232:                             ; =>This Inner Loop Header: Depth=1
	ds_load_b64 v[96:97], v87
	s_wait_dscnt 0x1
	v_cmp_gt_f32_e32 vcc_lo, 0, v88
	v_cndmask_b32_e64 v98, v88, -v88, vcc_lo
	v_cmp_gt_f32_e32 vcc_lo, 0, v89
	v_cndmask_b32_e64 v100, v89, -v89, vcc_lo
	s_wait_dscnt 0x0
	v_cmp_gt_f32_e32 vcc_lo, 0, v96
	v_cndmask_b32_e64 v99, v96, -v96, vcc_lo
	v_cmp_gt_f32_e32 vcc_lo, 0, v97
	v_cndmask_b32_e64 v101, v97, -v97, vcc_lo
	s_delay_alu instid0(VALU_DEP_1) | instskip(NEXT) | instid1(VALU_DEP_1)
	v_pk_add_f32 v[98:99], v[98:99], v[100:101]
	v_cmp_lt_f32_e32 vcc_lo, v98, v99
	v_dual_add_nc_u32 v87, 8, v87 :: v_dual_cndmask_b32 v89, v89, v97, vcc_lo
	v_cndmask_b32_e32 v88, v88, v96, vcc_lo
	v_cndmask_b32_e64 v86, v86, s0, vcc_lo
	s_add_co_i32 s0, s0, 1
	s_delay_alu instid0(SALU_CYCLE_1)
	s_cmp_lg_u32 s18, s0
	s_cbranch_scc1 .LBB78_232
.LBB78_233:
	s_wait_dscnt 0x0
	v_cmp_eq_f32_e32 vcc_lo, 0, v88
	v_cmp_eq_f32_e64 s0, 0, v89
	s_and_b32 s0, vcc_lo, s0
	s_delay_alu instid0(SALU_CYCLE_1) | instskip(NEXT) | instid1(SALU_CYCLE_1)
	s_and_saveexec_b32 s1, s0
	s_xor_b32 s0, exec_lo, s1
; %bb.234:
	v_cmp_ne_u32_e32 vcc_lo, 0, v92
	v_cndmask_b32_e32 v92, 12, v92, vcc_lo
; %bb.235:
	s_and_not1_saveexec_b32 s0, s0
	s_cbranch_execz .LBB78_241
; %bb.236:
	v_cmp_ngt_f32_e64 s1, |v88|, |v89|
	s_and_saveexec_b32 s12, s1
	s_delay_alu instid0(SALU_CYCLE_1)
	s_xor_b32 s1, exec_lo, s12
	s_cbranch_execz .LBB78_238
; %bb.237:
	v_div_scale_f32 v87, null, v89, v89, v88
	v_div_scale_f32 v97, vcc_lo, v88, v89, v88
	s_delay_alu instid0(VALU_DEP_2) | instskip(SKIP_1) | instid1(TRANS32_DEP_1)
	v_rcp_f32_e32 v95, v87
	v_nop
	v_fma_f32 v96, -v87, v95, 1.0
	s_delay_alu instid0(VALU_DEP_1) | instskip(NEXT) | instid1(VALU_DEP_1)
	v_fmac_f32_e32 v95, v96, v95
	v_mul_f32_e32 v96, v97, v95
	s_delay_alu instid0(VALU_DEP_1) | instskip(NEXT) | instid1(VALU_DEP_1)
	v_fma_f32 v98, -v87, v96, v97
	v_fmac_f32_e32 v96, v98, v95
	s_delay_alu instid0(VALU_DEP_1) | instskip(NEXT) | instid1(VALU_DEP_1)
	v_fma_f32 v87, -v87, v96, v97
	v_div_fmas_f32 v87, v87, v95, v96
	s_delay_alu instid0(VALU_DEP_1) | instskip(NEXT) | instid1(VALU_DEP_1)
	v_div_fixup_f32 v87, v87, v89, v88
	v_fmac_f32_e32 v89, v88, v87
	s_delay_alu instid0(VALU_DEP_1) | instskip(SKIP_1) | instid1(VALU_DEP_2)
	v_div_scale_f32 v88, null, v89, v89, 1.0
	v_div_scale_f32 v97, vcc_lo, 1.0, v89, 1.0
	v_rcp_f32_e32 v95, v88
	v_nop
	s_delay_alu instid0(TRANS32_DEP_1) | instskip(NEXT) | instid1(VALU_DEP_1)
	v_fma_f32 v96, -v88, v95, 1.0
	v_fmac_f32_e32 v95, v96, v95
	s_delay_alu instid0(VALU_DEP_1) | instskip(NEXT) | instid1(VALU_DEP_1)
	v_mul_f32_e32 v96, v97, v95
	v_fma_f32 v98, -v88, v96, v97
	s_delay_alu instid0(VALU_DEP_1) | instskip(NEXT) | instid1(VALU_DEP_1)
	v_fmac_f32_e32 v96, v98, v95
	v_fma_f32 v88, -v88, v96, v97
	s_delay_alu instid0(VALU_DEP_1) | instskip(NEXT) | instid1(VALU_DEP_1)
	v_div_fmas_f32 v88, v88, v95, v96
	v_div_fixup_f32 v89, v88, v89, 1.0
	s_delay_alu instid0(VALU_DEP_1)
	v_mul_f32_e32 v88, v87, v89
	v_xor_b32_e32 v89, 0x80000000, v89
.LBB78_238:
	s_and_not1_saveexec_b32 s1, s1
	s_cbranch_execz .LBB78_240
; %bb.239:
	s_delay_alu instid0(VALU_DEP_1) | instskip(SKIP_1) | instid1(VALU_DEP_2)
	v_div_scale_f32 v87, null, v88, v88, v89
	v_div_scale_f32 v97, vcc_lo, v89, v88, v89
	v_rcp_f32_e32 v95, v87
	v_nop
	s_delay_alu instid0(TRANS32_DEP_1) | instskip(NEXT) | instid1(VALU_DEP_1)
	v_fma_f32 v96, -v87, v95, 1.0
	v_fmac_f32_e32 v95, v96, v95
	s_delay_alu instid0(VALU_DEP_1) | instskip(NEXT) | instid1(VALU_DEP_1)
	v_mul_f32_e32 v96, v97, v95
	v_fma_f32 v98, -v87, v96, v97
	s_delay_alu instid0(VALU_DEP_1) | instskip(NEXT) | instid1(VALU_DEP_1)
	v_fmac_f32_e32 v96, v98, v95
	v_fma_f32 v87, -v87, v96, v97
	s_delay_alu instid0(VALU_DEP_1) | instskip(NEXT) | instid1(VALU_DEP_1)
	v_div_fmas_f32 v87, v87, v95, v96
	v_div_fixup_f32 v87, v87, v88, v89
	s_delay_alu instid0(VALU_DEP_1) | instskip(NEXT) | instid1(VALU_DEP_1)
	v_fmac_f32_e32 v88, v89, v87
	v_div_scale_f32 v89, null, v88, v88, 1.0
	s_delay_alu instid0(VALU_DEP_1) | instskip(SKIP_1) | instid1(TRANS32_DEP_1)
	v_rcp_f32_e32 v95, v89
	v_nop
	v_fma_f32 v96, -v89, v95, 1.0
	s_delay_alu instid0(VALU_DEP_1) | instskip(SKIP_1) | instid1(VALU_DEP_1)
	v_fmac_f32_e32 v95, v96, v95
	v_div_scale_f32 v96, vcc_lo, 1.0, v88, 1.0
	v_mul_f32_e32 v97, v96, v95
	s_delay_alu instid0(VALU_DEP_1) | instskip(NEXT) | instid1(VALU_DEP_1)
	v_fma_f32 v98, -v89, v97, v96
	v_fmac_f32_e32 v97, v98, v95
	s_delay_alu instid0(VALU_DEP_1) | instskip(NEXT) | instid1(VALU_DEP_1)
	v_fma_f32 v89, -v89, v97, v96
	v_div_fmas_f32 v89, v89, v95, v97
	s_delay_alu instid0(VALU_DEP_1) | instskip(NEXT) | instid1(VALU_DEP_1)
	v_div_fixup_f32 v88, v89, v88, 1.0
	v_mul_f32_e64 v89, v87, -v88
.LBB78_240:
	s_or_b32 exec_lo, exec_lo, s1
.LBB78_241:
	s_delay_alu instid0(SALU_CYCLE_1) | instskip(NEXT) | instid1(SALU_CYCLE_1)
	s_or_b32 exec_lo, exec_lo, s0
	s_mov_b32 s0, exec_lo
	v_cmpx_ne_u32_e64 v94, v86
	s_xor_b32 s0, exec_lo, s0
	s_cbranch_execz .LBB78_247
; %bb.242:
	s_mov_b32 s1, exec_lo
	v_cmpx_eq_u32_e32 11, v94
	s_cbranch_execz .LBB78_246
; %bb.243:
	v_cmp_ne_u32_e32 vcc_lo, 11, v86
	s_xor_b32 s12, s16, -1
	s_delay_alu instid0(SALU_CYCLE_1) | instskip(NEXT) | instid1(SALU_CYCLE_1)
	s_and_b32 s13, s12, vcc_lo
	s_and_saveexec_b32 s12, s13
	s_cbranch_execz .LBB78_245
; %bb.244:
	v_ashrrev_i32_e32 v87, 31, v86
	s_delay_alu instid0(VALU_DEP_1)
	v_lshl_add_u64 v[94:95], v[86:87], 2, v[4:5]
	s_clause 0x1
	global_load_b32 v87, v[94:95], off
	global_load_b32 v93, v[4:5], off offset:44
	s_wait_loadcnt 0x1
	global_store_b32 v[4:5], v87, off offset:44
	s_wait_loadcnt 0x0
	global_store_b32 v[94:95], v93, off
.LBB78_245:
	s_wait_xcnt 0x0
	s_or_b32 exec_lo, exec_lo, s12
	v_dual_mov_b32 v94, v86 :: v_dual_mov_b32 v93, v86
.LBB78_246:
	s_or_b32 exec_lo, exec_lo, s1
.LBB78_247:
	s_and_not1_saveexec_b32 s0, s0
	s_cbranch_execz .LBB78_249
; %bb.248:
	v_dual_mov_b32 v86, v74 :: v_dual_mov_b32 v87, v75
	v_dual_mov_b32 v94, v70 :: v_dual_mov_b32 v95, v71
	ds_store_2addr_b64 v90, v[86:87], v[94:95] offset0:12 offset1:13
	v_dual_mov_b32 v86, v72 :: v_dual_mov_b32 v87, v73
	v_dual_mov_b32 v94, v24 :: v_dual_mov_b32 v95, v25
	ds_store_2addr_b64 v90, v[86:87], v[94:95] offset0:14 offset1:15
	v_dual_mov_b32 v86, v68 :: v_dual_mov_b32 v87, v69
	v_dual_mov_b32 v94, v64 :: v_dual_mov_b32 v95, v65
	ds_store_2addr_b64 v90, v[86:87], v[94:95] offset0:16 offset1:17
	v_dual_mov_b32 v86, v66 :: v_dual_mov_b32 v87, v67
	v_dual_mov_b32 v94, v22 :: v_dual_mov_b32 v95, v23
	ds_store_2addr_b64 v90, v[86:87], v[94:95] offset0:18 offset1:19
	v_dual_mov_b32 v86, v62 :: v_dual_mov_b32 v87, v63
	v_dual_mov_b32 v94, v58 :: v_dual_mov_b32 v95, v59
	ds_store_2addr_b64 v90, v[86:87], v[94:95] offset0:20 offset1:21
	v_dual_mov_b32 v86, v60 :: v_dual_mov_b32 v87, v61
	v_dual_mov_b32 v94, v16 :: v_dual_mov_b32 v95, v17
	ds_store_2addr_b64 v90, v[86:87], v[94:95] offset0:22 offset1:23
	v_dual_mov_b32 v86, v56 :: v_dual_mov_b32 v87, v57
	v_dual_mov_b32 v94, v52 :: v_dual_mov_b32 v95, v53
	ds_store_2addr_b64 v90, v[86:87], v[94:95] offset0:24 offset1:25
	v_dual_mov_b32 v86, v54 :: v_dual_mov_b32 v87, v55
	v_dual_mov_b32 v94, v14 :: v_dual_mov_b32 v95, v15
	ds_store_2addr_b64 v90, v[86:87], v[94:95] offset0:26 offset1:27
	v_dual_mov_b32 v86, v38 :: v_dual_mov_b32 v87, v39
	v_dual_mov_b32 v94, v34 :: v_dual_mov_b32 v95, v35
	ds_store_2addr_b64 v90, v[86:87], v[94:95] offset0:28 offset1:29
	v_dual_mov_b32 v86, v36 :: v_dual_mov_b32 v87, v37
	v_dual_mov_b32 v94, v6 :: v_dual_mov_b32 v95, v7
	ds_store_2addr_b64 v90, v[86:87], v[94:95] offset0:30 offset1:31
	v_dual_mov_b32 v86, v32 :: v_dual_mov_b32 v87, v33
	v_dual_mov_b32 v94, v28 :: v_dual_mov_b32 v95, v29
	ds_store_2addr_b64 v90, v[86:87], v[94:95] offset0:32 offset1:33
	v_dual_mov_b32 v86, v30 :: v_dual_mov_b32 v87, v31
	v_dual_mov_b32 v94, v8 :: v_dual_mov_b32 v95, v9
	ds_store_2addr_b64 v90, v[86:87], v[94:95] offset0:34 offset1:35
	v_dual_mov_b32 v86, v26 :: v_dual_mov_b32 v87, v27
	v_dual_mov_b32 v94, v20 :: v_dual_mov_b32 v95, v21
	ds_store_2addr_b64 v90, v[86:87], v[94:95] offset0:36 offset1:37
	v_dual_mov_b32 v86, v18 :: v_dual_mov_b32 v87, v19
	v_mov_b32_e32 v94, 11
	ds_store_2addr_b64 v90, v[86:87], v[84:85] offset0:38 offset1:39
.LBB78_249:
	s_or_b32 exec_lo, exec_lo, s0
	s_delay_alu instid0(SALU_CYCLE_1)
	s_mov_b32 s0, exec_lo
	s_wait_storecnt_dscnt 0x0
	s_barrier_signal -1
	s_barrier_wait -1
	v_cmpx_lt_i32_e32 11, v94
	s_cbranch_execz .LBB78_251
; %bb.250:
	v_pk_mul_f32 v[96:97], v[88:89], v[12:13] op_sel:[1,1] op_sel_hi:[0,1]
	s_delay_alu instid0(VALU_DEP_1)
	v_pk_fma_f32 v[86:87], v[88:89], v[12:13], v[96:97] op_sel_hi:[1,0,1] neg_lo:[0,0,1] neg_hi:[0,0,1]
	v_pk_fma_f32 v[88:89], v[88:89], v[12:13], v[96:97] op_sel_hi:[1,0,1]
	ds_load_2addr_b64 v[96:99], v90 offset0:12 offset1:13
	v_dual_mov_b32 v12, v86 :: v_dual_mov_b32 v13, v89
	s_wait_dscnt 0x0
	v_pk_mul_f32 v[100:101], v[96:97], v[88:89] op_sel:[0,1]
	s_delay_alu instid0(VALU_DEP_1) | instskip(SKIP_1) | instid1(VALU_DEP_1)
	v_pk_fma_f32 v[102:103], v[96:97], v[86:87], v[100:101] op_sel:[0,0,1] op_sel_hi:[1,1,0] neg_lo:[0,0,1] neg_hi:[0,0,1]
	v_pk_fma_f32 v[96:97], v[96:97], v[86:87], v[100:101] op_sel:[0,0,1] op_sel_hi:[1,0,0]
	v_mov_b32_e32 v103, v97
	v_pk_mul_f32 v[96:97], v[98:99], v[88:89] op_sel:[0,1]
	s_delay_alu instid0(VALU_DEP_1) | instskip(SKIP_1) | instid1(VALU_DEP_1)
	v_pk_fma_f32 v[100:101], v[98:99], v[86:87], v[96:97] op_sel:[0,0,1] op_sel_hi:[1,1,0] neg_lo:[0,0,1] neg_hi:[0,0,1]
	v_pk_fma_f32 v[96:97], v[98:99], v[86:87], v[96:97] op_sel:[0,0,1] op_sel_hi:[1,0,0]
	v_mov_b32_e32 v101, v97
	ds_load_2addr_b64 v[96:99], v90 offset0:14 offset1:15
	v_pk_add_f32 v[74:75], v[74:75], v[102:103] neg_lo:[0,1] neg_hi:[0,1]
	v_pk_add_f32 v[70:71], v[70:71], v[100:101] neg_lo:[0,1] neg_hi:[0,1]
	s_wait_dscnt 0x0
	v_pk_mul_f32 v[100:101], v[96:97], v[88:89] op_sel:[0,1]
	s_delay_alu instid0(VALU_DEP_1) | instskip(SKIP_2) | instid1(VALU_DEP_2)
	v_pk_fma_f32 v[102:103], v[96:97], v[86:87], v[100:101] op_sel:[0,0,1] op_sel_hi:[1,1,0] neg_lo:[0,0,1] neg_hi:[0,0,1]
	v_pk_fma_f32 v[96:97], v[96:97], v[86:87], v[100:101] op_sel:[0,0,1] op_sel_hi:[1,0,0]
	v_dual_mul_f32 v100, v99, v89 :: v_dual_mov_b32 v96, v99
	v_dual_mov_b32 v103, v97 :: v_dual_mov_b32 v97, v98
	s_delay_alu instid0(VALU_DEP_2) | instskip(SKIP_1) | instid1(VALU_DEP_3)
	v_pk_fma_f32 v[100:101], v[98:99], v[12:13], v[100:101] op_sel_hi:[1,1,0] neg_lo:[0,0,1] neg_hi:[0,0,1]
	v_mul_f32_e32 v98, v99, v86
	v_pk_add_f32 v[72:73], v[72:73], v[102:103] neg_lo:[0,1] neg_hi:[0,1]
	s_delay_alu instid0(VALU_DEP_2) | instskip(NEXT) | instid1(VALU_DEP_1)
	v_pk_fma_f32 v[96:97], v[96:97], v[12:13], v[98:99] op_sel_hi:[1,1,0]
	v_mov_b32_e32 v101, v97
	ds_load_2addr_b64 v[96:99], v90 offset0:16 offset1:17
	v_pk_add_f32 v[24:25], v[24:25], v[100:101] neg_lo:[0,1] neg_hi:[0,1]
	s_wait_dscnt 0x0
	v_pk_mul_f32 v[100:101], v[96:97], v[88:89] op_sel:[0,1]
	s_delay_alu instid0(VALU_DEP_1) | instskip(SKIP_1) | instid1(VALU_DEP_1)
	v_pk_fma_f32 v[102:103], v[96:97], v[86:87], v[100:101] op_sel:[0,0,1] op_sel_hi:[1,1,0] neg_lo:[0,0,1] neg_hi:[0,0,1]
	v_pk_fma_f32 v[96:97], v[96:97], v[86:87], v[100:101] op_sel:[0,0,1] op_sel_hi:[1,0,0]
	v_mov_b32_e32 v103, v97
	v_pk_mul_f32 v[96:97], v[98:99], v[88:89] op_sel:[0,1]
	s_delay_alu instid0(VALU_DEP_1) | instskip(SKIP_1) | instid1(VALU_DEP_1)
	v_pk_fma_f32 v[100:101], v[98:99], v[86:87], v[96:97] op_sel:[0,0,1] op_sel_hi:[1,1,0] neg_lo:[0,0,1] neg_hi:[0,0,1]
	v_pk_fma_f32 v[96:97], v[98:99], v[86:87], v[96:97] op_sel:[0,0,1] op_sel_hi:[1,0,0]
	v_mov_b32_e32 v101, v97
	ds_load_2addr_b64 v[96:99], v90 offset0:18 offset1:19
	v_pk_add_f32 v[68:69], v[68:69], v[102:103] neg_lo:[0,1] neg_hi:[0,1]
	v_pk_add_f32 v[64:65], v[64:65], v[100:101] neg_lo:[0,1] neg_hi:[0,1]
	s_wait_dscnt 0x0
	v_pk_mul_f32 v[100:101], v[96:97], v[88:89] op_sel:[0,1]
	s_delay_alu instid0(VALU_DEP_1) | instskip(SKIP_1) | instid1(VALU_DEP_1)
	v_pk_fma_f32 v[102:103], v[96:97], v[86:87], v[100:101] op_sel:[0,0,1] op_sel_hi:[1,1,0] neg_lo:[0,0,1] neg_hi:[0,0,1]
	v_pk_fma_f32 v[96:97], v[96:97], v[86:87], v[100:101] op_sel:[0,0,1] op_sel_hi:[1,0,0]
	v_mov_b32_e32 v103, v97
	v_pk_mul_f32 v[96:97], v[98:99], v[88:89] op_sel:[0,1]
	s_delay_alu instid0(VALU_DEP_1) | instskip(SKIP_1) | instid1(VALU_DEP_1)
	v_pk_fma_f32 v[100:101], v[98:99], v[86:87], v[96:97] op_sel:[0,0,1] op_sel_hi:[1,1,0] neg_lo:[0,0,1] neg_hi:[0,0,1]
	v_pk_fma_f32 v[96:97], v[98:99], v[86:87], v[96:97] op_sel:[0,0,1] op_sel_hi:[1,0,0]
	v_mov_b32_e32 v101, v97
	ds_load_2addr_b64 v[96:99], v90 offset0:20 offset1:21
	v_pk_add_f32 v[66:67], v[66:67], v[102:103] neg_lo:[0,1] neg_hi:[0,1]
	v_pk_add_f32 v[22:23], v[22:23], v[100:101] neg_lo:[0,1] neg_hi:[0,1]
	s_wait_dscnt 0x0
	v_dual_mul_f32 v100, v97, v89 :: v_dual_mul_f32 v102, v97, v86
	s_delay_alu instid0(VALU_DEP_1) | instskip(NEXT) | instid1(VALU_DEP_2)
	v_pk_fma_f32 v[100:101], v[96:97], v[12:13], v[100:101] op_sel_hi:[1,1,0] neg_lo:[0,0,1] neg_hi:[0,0,1]
	v_pk_fma_f32 v[96:97], v[96:97], v[12:13], v[102:103] op_sel:[1,0,0] op_sel_hi:[0,1,0]
	s_delay_alu instid0(VALU_DEP_1) | instskip(SKIP_1) | instid1(VALU_DEP_2)
	v_mov_b32_e32 v101, v97
	v_pk_mul_f32 v[96:97], v[98:99], v[88:89] op_sel:[0,1]
	v_pk_add_f32 v[62:63], v[62:63], v[100:101] neg_lo:[0,1] neg_hi:[0,1]
	s_delay_alu instid0(VALU_DEP_2) | instskip(SKIP_1) | instid1(VALU_DEP_1)
	v_pk_fma_f32 v[100:101], v[98:99], v[86:87], v[96:97] op_sel:[0,0,1] op_sel_hi:[1,1,0] neg_lo:[0,0,1] neg_hi:[0,0,1]
	v_pk_fma_f32 v[96:97], v[98:99], v[86:87], v[96:97] op_sel:[0,0,1] op_sel_hi:[1,0,0]
	v_mov_b32_e32 v101, v97
	ds_load_2addr_b64 v[96:99], v90 offset0:22 offset1:23
	v_pk_add_f32 v[58:59], v[58:59], v[100:101] neg_lo:[0,1] neg_hi:[0,1]
	s_wait_dscnt 0x0
	v_pk_mul_f32 v[100:101], v[96:97], v[88:89] op_sel:[0,1]
	s_delay_alu instid0(VALU_DEP_1) | instskip(SKIP_1) | instid1(VALU_DEP_1)
	v_pk_fma_f32 v[102:103], v[96:97], v[86:87], v[100:101] op_sel:[0,0,1] op_sel_hi:[1,1,0] neg_lo:[0,0,1] neg_hi:[0,0,1]
	v_pk_fma_f32 v[96:97], v[96:97], v[86:87], v[100:101] op_sel:[0,0,1] op_sel_hi:[1,0,0]
	v_mov_b32_e32 v103, v97
	v_pk_mul_f32 v[96:97], v[98:99], v[88:89] op_sel:[0,1]
	s_delay_alu instid0(VALU_DEP_2) | instskip(NEXT) | instid1(VALU_DEP_2)
	v_pk_add_f32 v[60:61], v[60:61], v[102:103] neg_lo:[0,1] neg_hi:[0,1]
	v_pk_fma_f32 v[100:101], v[98:99], v[86:87], v[96:97] op_sel:[0,0,1] op_sel_hi:[1,1,0] neg_lo:[0,0,1] neg_hi:[0,0,1]
	v_pk_fma_f32 v[96:97], v[98:99], v[86:87], v[96:97] op_sel:[0,0,1] op_sel_hi:[1,0,0]
	s_delay_alu instid0(VALU_DEP_1) | instskip(SKIP_4) | instid1(VALU_DEP_1)
	v_mov_b32_e32 v101, v97
	ds_load_2addr_b64 v[96:99], v90 offset0:24 offset1:25
	v_pk_add_f32 v[16:17], v[16:17], v[100:101] neg_lo:[0,1] neg_hi:[0,1]
	s_wait_dscnt 0x0
	v_pk_mul_f32 v[100:101], v[96:97], v[88:89] op_sel:[0,1]
	v_pk_fma_f32 v[102:103], v[96:97], v[86:87], v[100:101] op_sel:[0,0,1] op_sel_hi:[1,1,0] neg_lo:[0,0,1] neg_hi:[0,0,1]
	v_pk_fma_f32 v[96:97], v[96:97], v[86:87], v[100:101] op_sel:[0,0,1] op_sel_hi:[1,0,0]
	v_dual_mul_f32 v100, v99, v89 :: v_dual_mov_b32 v96, v99
	s_delay_alu instid0(VALU_DEP_2) | instskip(NEXT) | instid1(VALU_DEP_2)
	v_dual_mov_b32 v103, v97 :: v_dual_mov_b32 v97, v98
	v_pk_fma_f32 v[100:101], v[98:99], v[12:13], v[100:101] op_sel_hi:[1,1,0] neg_lo:[0,0,1] neg_hi:[0,0,1]
	v_mul_f32_e32 v98, v99, v86
	s_delay_alu instid0(VALU_DEP_3) | instskip(NEXT) | instid1(VALU_DEP_2)
	v_pk_add_f32 v[56:57], v[56:57], v[102:103] neg_lo:[0,1] neg_hi:[0,1]
	v_pk_fma_f32 v[96:97], v[96:97], v[12:13], v[98:99] op_sel_hi:[1,1,0]
	s_delay_alu instid0(VALU_DEP_1) | instskip(SKIP_4) | instid1(VALU_DEP_1)
	v_mov_b32_e32 v101, v97
	ds_load_2addr_b64 v[96:99], v90 offset0:26 offset1:27
	v_pk_add_f32 v[52:53], v[52:53], v[100:101] neg_lo:[0,1] neg_hi:[0,1]
	s_wait_dscnt 0x0
	v_pk_mul_f32 v[100:101], v[96:97], v[88:89] op_sel:[0,1]
	v_pk_fma_f32 v[102:103], v[96:97], v[86:87], v[100:101] op_sel:[0,0,1] op_sel_hi:[1,1,0] neg_lo:[0,0,1] neg_hi:[0,0,1]
	v_pk_fma_f32 v[96:97], v[96:97], v[86:87], v[100:101] op_sel:[0,0,1] op_sel_hi:[1,0,0]
	s_delay_alu instid0(VALU_DEP_1) | instskip(SKIP_1) | instid1(VALU_DEP_1)
	v_mov_b32_e32 v103, v97
	v_pk_mul_f32 v[96:97], v[98:99], v[88:89] op_sel:[0,1]
	v_pk_fma_f32 v[100:101], v[98:99], v[86:87], v[96:97] op_sel:[0,0,1] op_sel_hi:[1,1,0] neg_lo:[0,0,1] neg_hi:[0,0,1]
	v_pk_fma_f32 v[96:97], v[98:99], v[86:87], v[96:97] op_sel:[0,0,1] op_sel_hi:[1,0,0]
	s_delay_alu instid0(VALU_DEP_1)
	v_mov_b32_e32 v101, v97
	ds_load_2addr_b64 v[96:99], v90 offset0:28 offset1:29
	v_pk_add_f32 v[54:55], v[54:55], v[102:103] neg_lo:[0,1] neg_hi:[0,1]
	v_pk_add_f32 v[14:15], v[14:15], v[100:101] neg_lo:[0,1] neg_hi:[0,1]
	s_wait_dscnt 0x0
	v_pk_mul_f32 v[100:101], v[96:97], v[88:89] op_sel:[0,1]
	s_delay_alu instid0(VALU_DEP_1) | instskip(SKIP_1) | instid1(VALU_DEP_1)
	v_pk_fma_f32 v[102:103], v[96:97], v[86:87], v[100:101] op_sel:[0,0,1] op_sel_hi:[1,1,0] neg_lo:[0,0,1] neg_hi:[0,0,1]
	v_pk_fma_f32 v[96:97], v[96:97], v[86:87], v[100:101] op_sel:[0,0,1] op_sel_hi:[1,0,0]
	v_mov_b32_e32 v103, v97
	v_pk_mul_f32 v[96:97], v[98:99], v[88:89] op_sel:[0,1]
	s_delay_alu instid0(VALU_DEP_1) | instskip(SKIP_1) | instid1(VALU_DEP_1)
	v_pk_fma_f32 v[100:101], v[98:99], v[86:87], v[96:97] op_sel:[0,0,1] op_sel_hi:[1,1,0] neg_lo:[0,0,1] neg_hi:[0,0,1]
	v_pk_fma_f32 v[96:97], v[98:99], v[86:87], v[96:97] op_sel:[0,0,1] op_sel_hi:[1,0,0]
	v_mov_b32_e32 v101, v97
	ds_load_2addr_b64 v[96:99], v90 offset0:30 offset1:31
	v_pk_add_f32 v[38:39], v[38:39], v[102:103] neg_lo:[0,1] neg_hi:[0,1]
	v_pk_add_f32 v[34:35], v[34:35], v[100:101] neg_lo:[0,1] neg_hi:[0,1]
	s_wait_dscnt 0x0
	v_dual_mul_f32 v100, v97, v89 :: v_dual_mul_f32 v102, v97, v86
	s_delay_alu instid0(VALU_DEP_1) | instskip(NEXT) | instid1(VALU_DEP_2)
	v_pk_fma_f32 v[100:101], v[96:97], v[12:13], v[100:101] op_sel_hi:[1,1,0] neg_lo:[0,0,1] neg_hi:[0,0,1]
	v_pk_fma_f32 v[96:97], v[96:97], v[12:13], v[102:103] op_sel:[1,0,0] op_sel_hi:[0,1,0]
	s_delay_alu instid0(VALU_DEP_1) | instskip(SKIP_1) | instid1(VALU_DEP_2)
	v_mov_b32_e32 v101, v97
	v_pk_mul_f32 v[96:97], v[98:99], v[88:89] op_sel:[0,1]
	v_pk_add_f32 v[36:37], v[36:37], v[100:101] neg_lo:[0,1] neg_hi:[0,1]
	s_delay_alu instid0(VALU_DEP_2) | instskip(SKIP_1) | instid1(VALU_DEP_1)
	v_pk_fma_f32 v[100:101], v[98:99], v[86:87], v[96:97] op_sel:[0,0,1] op_sel_hi:[1,1,0] neg_lo:[0,0,1] neg_hi:[0,0,1]
	v_pk_fma_f32 v[96:97], v[98:99], v[86:87], v[96:97] op_sel:[0,0,1] op_sel_hi:[1,0,0]
	v_mov_b32_e32 v101, v97
	ds_load_2addr_b64 v[96:99], v90 offset0:32 offset1:33
	v_pk_add_f32 v[6:7], v[6:7], v[100:101] neg_lo:[0,1] neg_hi:[0,1]
	s_wait_dscnt 0x0
	v_pk_mul_f32 v[100:101], v[96:97], v[88:89] op_sel:[0,1]
	s_delay_alu instid0(VALU_DEP_1) | instskip(SKIP_1) | instid1(VALU_DEP_1)
	v_pk_fma_f32 v[102:103], v[96:97], v[86:87], v[100:101] op_sel:[0,0,1] op_sel_hi:[1,1,0] neg_lo:[0,0,1] neg_hi:[0,0,1]
	v_pk_fma_f32 v[96:97], v[96:97], v[86:87], v[100:101] op_sel:[0,0,1] op_sel_hi:[1,0,0]
	v_mov_b32_e32 v103, v97
	v_pk_mul_f32 v[96:97], v[98:99], v[88:89] op_sel:[0,1]
	s_delay_alu instid0(VALU_DEP_2) | instskip(NEXT) | instid1(VALU_DEP_2)
	v_pk_add_f32 v[32:33], v[32:33], v[102:103] neg_lo:[0,1] neg_hi:[0,1]
	v_pk_fma_f32 v[100:101], v[98:99], v[86:87], v[96:97] op_sel:[0,0,1] op_sel_hi:[1,1,0] neg_lo:[0,0,1] neg_hi:[0,0,1]
	v_pk_fma_f32 v[96:97], v[98:99], v[86:87], v[96:97] op_sel:[0,0,1] op_sel_hi:[1,0,0]
	s_delay_alu instid0(VALU_DEP_1) | instskip(SKIP_4) | instid1(VALU_DEP_1)
	v_mov_b32_e32 v101, v97
	ds_load_2addr_b64 v[96:99], v90 offset0:34 offset1:35
	v_pk_add_f32 v[28:29], v[28:29], v[100:101] neg_lo:[0,1] neg_hi:[0,1]
	s_wait_dscnt 0x0
	v_pk_mul_f32 v[100:101], v[96:97], v[88:89] op_sel:[0,1]
	v_pk_fma_f32 v[102:103], v[96:97], v[86:87], v[100:101] op_sel:[0,0,1] op_sel_hi:[1,1,0] neg_lo:[0,0,1] neg_hi:[0,0,1]
	v_pk_fma_f32 v[96:97], v[96:97], v[86:87], v[100:101] op_sel:[0,0,1] op_sel_hi:[1,0,0]
	v_dual_mul_f32 v100, v99, v89 :: v_dual_mov_b32 v96, v99
	s_delay_alu instid0(VALU_DEP_2) | instskip(NEXT) | instid1(VALU_DEP_2)
	v_dual_mov_b32 v103, v97 :: v_dual_mov_b32 v97, v98
	v_pk_fma_f32 v[100:101], v[98:99], v[12:13], v[100:101] op_sel_hi:[1,1,0] neg_lo:[0,0,1] neg_hi:[0,0,1]
	v_mul_f32_e32 v98, v99, v86
	s_delay_alu instid0(VALU_DEP_3) | instskip(NEXT) | instid1(VALU_DEP_2)
	v_pk_add_f32 v[30:31], v[30:31], v[102:103] neg_lo:[0,1] neg_hi:[0,1]
	v_pk_fma_f32 v[96:97], v[96:97], v[12:13], v[98:99] op_sel_hi:[1,1,0]
	s_delay_alu instid0(VALU_DEP_1) | instskip(SKIP_4) | instid1(VALU_DEP_1)
	v_mov_b32_e32 v101, v97
	ds_load_2addr_b64 v[96:99], v90 offset0:36 offset1:37
	v_pk_add_f32 v[8:9], v[8:9], v[100:101] neg_lo:[0,1] neg_hi:[0,1]
	s_wait_dscnt 0x0
	v_pk_mul_f32 v[100:101], v[96:97], v[88:89] op_sel:[0,1]
	v_pk_fma_f32 v[102:103], v[96:97], v[86:87], v[100:101] op_sel:[0,0,1] op_sel_hi:[1,1,0] neg_lo:[0,0,1] neg_hi:[0,0,1]
	v_pk_fma_f32 v[96:97], v[96:97], v[86:87], v[100:101] op_sel:[0,0,1] op_sel_hi:[1,0,0]
	s_delay_alu instid0(VALU_DEP_1) | instskip(SKIP_1) | instid1(VALU_DEP_1)
	v_mov_b32_e32 v103, v97
	v_pk_mul_f32 v[96:97], v[98:99], v[88:89] op_sel:[0,1]
	v_pk_fma_f32 v[100:101], v[98:99], v[86:87], v[96:97] op_sel:[0,0,1] op_sel_hi:[1,1,0] neg_lo:[0,0,1] neg_hi:[0,0,1]
	v_pk_fma_f32 v[96:97], v[98:99], v[86:87], v[96:97] op_sel:[0,0,1] op_sel_hi:[1,0,0]
	s_delay_alu instid0(VALU_DEP_1)
	v_mov_b32_e32 v101, v97
	ds_load_2addr_b64 v[96:99], v90 offset0:38 offset1:39
	v_pk_add_f32 v[26:27], v[26:27], v[102:103] neg_lo:[0,1] neg_hi:[0,1]
	v_pk_add_f32 v[20:21], v[20:21], v[100:101] neg_lo:[0,1] neg_hi:[0,1]
	s_wait_dscnt 0x0
	v_pk_mul_f32 v[100:101], v[96:97], v[88:89] op_sel:[0,1]
	v_pk_mul_f32 v[88:89], v[98:99], v[88:89] op_sel:[0,1]
	s_delay_alu instid0(VALU_DEP_2) | instskip(SKIP_1) | instid1(VALU_DEP_1)
	v_pk_fma_f32 v[102:103], v[96:97], v[86:87], v[100:101] op_sel:[0,0,1] op_sel_hi:[1,1,0] neg_lo:[0,0,1] neg_hi:[0,0,1]
	v_pk_fma_f32 v[96:97], v[96:97], v[86:87], v[100:101] op_sel:[0,0,1] op_sel_hi:[1,0,0]
	v_mov_b32_e32 v103, v97
	s_delay_alu instid0(VALU_DEP_4) | instskip(SKIP_1) | instid1(VALU_DEP_1)
	v_pk_fma_f32 v[96:97], v[98:99], v[86:87], v[88:89] op_sel:[0,0,1] op_sel_hi:[1,1,0] neg_lo:[0,0,1] neg_hi:[0,0,1]
	v_pk_fma_f32 v[86:87], v[98:99], v[86:87], v[88:89] op_sel:[0,0,1] op_sel_hi:[1,0,0]
	v_mov_b32_e32 v97, v87
	s_delay_alu instid0(VALU_DEP_4) | instskip(NEXT) | instid1(VALU_DEP_2)
	v_pk_add_f32 v[18:19], v[18:19], v[102:103] neg_lo:[0,1] neg_hi:[0,1]
	v_pk_add_f32 v[84:85], v[84:85], v[96:97] neg_lo:[0,1] neg_hi:[0,1]
.LBB78_251:
	s_or_b32 exec_lo, exec_lo, s0
	v_lshl_add_u32 v86, v94, 3, v90
	s_barrier_signal -1
	s_barrier_wait -1
	ds_store_b64 v86, v[74:75]
	s_wait_dscnt 0x0
	s_barrier_signal -1
	s_barrier_wait -1
	ds_load_b64 v[88:89], v90 offset:96
	v_mov_b32_e32 v86, 12
	s_cmp_lt_i32 s18, 14
	s_cbranch_scc1 .LBB78_254
; %bb.252:
	v_add3_u32 v87, v91, 0, 0x68
	v_mov_b32_e32 v86, 12
	s_mov_b32 s0, 13
.LBB78_253:                             ; =>This Inner Loop Header: Depth=1
	ds_load_b64 v[96:97], v87
	s_wait_dscnt 0x1
	v_cmp_gt_f32_e32 vcc_lo, 0, v88
	v_cndmask_b32_e64 v98, v88, -v88, vcc_lo
	v_cmp_gt_f32_e32 vcc_lo, 0, v89
	v_cndmask_b32_e64 v100, v89, -v89, vcc_lo
	s_wait_dscnt 0x0
	v_cmp_gt_f32_e32 vcc_lo, 0, v96
	v_cndmask_b32_e64 v99, v96, -v96, vcc_lo
	v_cmp_gt_f32_e32 vcc_lo, 0, v97
	v_cndmask_b32_e64 v101, v97, -v97, vcc_lo
	s_delay_alu instid0(VALU_DEP_1) | instskip(NEXT) | instid1(VALU_DEP_1)
	v_pk_add_f32 v[98:99], v[98:99], v[100:101]
	v_cmp_lt_f32_e32 vcc_lo, v98, v99
	v_dual_add_nc_u32 v87, 8, v87 :: v_dual_cndmask_b32 v89, v89, v97, vcc_lo
	v_cndmask_b32_e32 v88, v88, v96, vcc_lo
	v_cndmask_b32_e64 v86, v86, s0, vcc_lo
	s_add_co_i32 s0, s0, 1
	s_delay_alu instid0(SALU_CYCLE_1)
	s_cmp_lg_u32 s18, s0
	s_cbranch_scc1 .LBB78_253
.LBB78_254:
	s_wait_dscnt 0x0
	v_cmp_eq_f32_e32 vcc_lo, 0, v88
	v_cmp_eq_f32_e64 s0, 0, v89
	s_and_b32 s0, vcc_lo, s0
	s_delay_alu instid0(SALU_CYCLE_1) | instskip(NEXT) | instid1(SALU_CYCLE_1)
	s_and_saveexec_b32 s1, s0
	s_xor_b32 s0, exec_lo, s1
; %bb.255:
	v_cmp_ne_u32_e32 vcc_lo, 0, v92
	v_cndmask_b32_e32 v92, 13, v92, vcc_lo
; %bb.256:
	s_and_not1_saveexec_b32 s0, s0
	s_cbranch_execz .LBB78_262
; %bb.257:
	v_cmp_ngt_f32_e64 s1, |v88|, |v89|
	s_and_saveexec_b32 s12, s1
	s_delay_alu instid0(SALU_CYCLE_1)
	s_xor_b32 s1, exec_lo, s12
	s_cbranch_execz .LBB78_259
; %bb.258:
	v_div_scale_f32 v87, null, v89, v89, v88
	v_div_scale_f32 v97, vcc_lo, v88, v89, v88
	s_delay_alu instid0(VALU_DEP_2) | instskip(SKIP_1) | instid1(TRANS32_DEP_1)
	v_rcp_f32_e32 v95, v87
	v_nop
	v_fma_f32 v96, -v87, v95, 1.0
	s_delay_alu instid0(VALU_DEP_1) | instskip(NEXT) | instid1(VALU_DEP_1)
	v_fmac_f32_e32 v95, v96, v95
	v_mul_f32_e32 v96, v97, v95
	s_delay_alu instid0(VALU_DEP_1) | instskip(NEXT) | instid1(VALU_DEP_1)
	v_fma_f32 v98, -v87, v96, v97
	v_fmac_f32_e32 v96, v98, v95
	s_delay_alu instid0(VALU_DEP_1) | instskip(NEXT) | instid1(VALU_DEP_1)
	v_fma_f32 v87, -v87, v96, v97
	v_div_fmas_f32 v87, v87, v95, v96
	s_delay_alu instid0(VALU_DEP_1) | instskip(NEXT) | instid1(VALU_DEP_1)
	v_div_fixup_f32 v87, v87, v89, v88
	v_fmac_f32_e32 v89, v88, v87
	s_delay_alu instid0(VALU_DEP_1) | instskip(SKIP_1) | instid1(VALU_DEP_2)
	v_div_scale_f32 v88, null, v89, v89, 1.0
	v_div_scale_f32 v97, vcc_lo, 1.0, v89, 1.0
	v_rcp_f32_e32 v95, v88
	v_nop
	s_delay_alu instid0(TRANS32_DEP_1) | instskip(NEXT) | instid1(VALU_DEP_1)
	v_fma_f32 v96, -v88, v95, 1.0
	v_fmac_f32_e32 v95, v96, v95
	s_delay_alu instid0(VALU_DEP_1) | instskip(NEXT) | instid1(VALU_DEP_1)
	v_mul_f32_e32 v96, v97, v95
	v_fma_f32 v98, -v88, v96, v97
	s_delay_alu instid0(VALU_DEP_1) | instskip(NEXT) | instid1(VALU_DEP_1)
	v_fmac_f32_e32 v96, v98, v95
	v_fma_f32 v88, -v88, v96, v97
	s_delay_alu instid0(VALU_DEP_1) | instskip(NEXT) | instid1(VALU_DEP_1)
	v_div_fmas_f32 v88, v88, v95, v96
	v_div_fixup_f32 v89, v88, v89, 1.0
	s_delay_alu instid0(VALU_DEP_1)
	v_mul_f32_e32 v88, v87, v89
	v_xor_b32_e32 v89, 0x80000000, v89
.LBB78_259:
	s_and_not1_saveexec_b32 s1, s1
	s_cbranch_execz .LBB78_261
; %bb.260:
	s_delay_alu instid0(VALU_DEP_1) | instskip(SKIP_1) | instid1(VALU_DEP_2)
	v_div_scale_f32 v87, null, v88, v88, v89
	v_div_scale_f32 v97, vcc_lo, v89, v88, v89
	v_rcp_f32_e32 v95, v87
	v_nop
	s_delay_alu instid0(TRANS32_DEP_1) | instskip(NEXT) | instid1(VALU_DEP_1)
	v_fma_f32 v96, -v87, v95, 1.0
	v_fmac_f32_e32 v95, v96, v95
	s_delay_alu instid0(VALU_DEP_1) | instskip(NEXT) | instid1(VALU_DEP_1)
	v_mul_f32_e32 v96, v97, v95
	v_fma_f32 v98, -v87, v96, v97
	s_delay_alu instid0(VALU_DEP_1) | instskip(NEXT) | instid1(VALU_DEP_1)
	v_fmac_f32_e32 v96, v98, v95
	v_fma_f32 v87, -v87, v96, v97
	s_delay_alu instid0(VALU_DEP_1) | instskip(NEXT) | instid1(VALU_DEP_1)
	v_div_fmas_f32 v87, v87, v95, v96
	v_div_fixup_f32 v87, v87, v88, v89
	s_delay_alu instid0(VALU_DEP_1) | instskip(NEXT) | instid1(VALU_DEP_1)
	v_fmac_f32_e32 v88, v89, v87
	v_div_scale_f32 v89, null, v88, v88, 1.0
	s_delay_alu instid0(VALU_DEP_1) | instskip(SKIP_1) | instid1(TRANS32_DEP_1)
	v_rcp_f32_e32 v95, v89
	v_nop
	v_fma_f32 v96, -v89, v95, 1.0
	s_delay_alu instid0(VALU_DEP_1) | instskip(SKIP_1) | instid1(VALU_DEP_1)
	v_fmac_f32_e32 v95, v96, v95
	v_div_scale_f32 v96, vcc_lo, 1.0, v88, 1.0
	v_mul_f32_e32 v97, v96, v95
	s_delay_alu instid0(VALU_DEP_1) | instskip(NEXT) | instid1(VALU_DEP_1)
	v_fma_f32 v98, -v89, v97, v96
	v_fmac_f32_e32 v97, v98, v95
	s_delay_alu instid0(VALU_DEP_1) | instskip(NEXT) | instid1(VALU_DEP_1)
	v_fma_f32 v89, -v89, v97, v96
	v_div_fmas_f32 v89, v89, v95, v97
	s_delay_alu instid0(VALU_DEP_1) | instskip(NEXT) | instid1(VALU_DEP_1)
	v_div_fixup_f32 v88, v89, v88, 1.0
	v_mul_f32_e64 v89, v87, -v88
.LBB78_261:
	s_or_b32 exec_lo, exec_lo, s1
.LBB78_262:
	s_delay_alu instid0(SALU_CYCLE_1) | instskip(NEXT) | instid1(SALU_CYCLE_1)
	s_or_b32 exec_lo, exec_lo, s0
	s_mov_b32 s0, exec_lo
	v_cmpx_ne_u32_e64 v94, v86
	s_xor_b32 s0, exec_lo, s0
	s_cbranch_execz .LBB78_268
; %bb.263:
	s_mov_b32 s1, exec_lo
	v_cmpx_eq_u32_e32 12, v94
	s_cbranch_execz .LBB78_267
; %bb.264:
	v_cmp_ne_u32_e32 vcc_lo, 12, v86
	s_xor_b32 s12, s16, -1
	s_delay_alu instid0(SALU_CYCLE_1) | instskip(NEXT) | instid1(SALU_CYCLE_1)
	s_and_b32 s13, s12, vcc_lo
	s_and_saveexec_b32 s12, s13
	s_cbranch_execz .LBB78_266
; %bb.265:
	v_ashrrev_i32_e32 v87, 31, v86
	s_delay_alu instid0(VALU_DEP_1)
	v_lshl_add_u64 v[94:95], v[86:87], 2, v[4:5]
	s_clause 0x1
	global_load_b32 v87, v[94:95], off
	global_load_b32 v93, v[4:5], off offset:48
	s_wait_loadcnt 0x1
	global_store_b32 v[4:5], v87, off offset:48
	s_wait_loadcnt 0x0
	global_store_b32 v[94:95], v93, off
.LBB78_266:
	s_wait_xcnt 0x0
	s_or_b32 exec_lo, exec_lo, s12
	v_dual_mov_b32 v94, v86 :: v_dual_mov_b32 v93, v86
.LBB78_267:
	s_or_b32 exec_lo, exec_lo, s1
.LBB78_268:
	s_and_not1_saveexec_b32 s0, s0
	s_cbranch_execz .LBB78_270
; %bb.269:
	v_mov_b32_e32 v94, 12
	ds_store_2addr_b64 v90, v[70:71], v[72:73] offset0:13 offset1:14
	ds_store_2addr_b64 v90, v[24:25], v[68:69] offset0:15 offset1:16
	;; [unrolled: 1-line block ×13, first 2 shown]
	ds_store_b64 v90, v[84:85] offset:312
.LBB78_270:
	s_or_b32 exec_lo, exec_lo, s0
	s_delay_alu instid0(SALU_CYCLE_1)
	s_mov_b32 s0, exec_lo
	s_wait_storecnt_dscnt 0x0
	s_barrier_signal -1
	s_barrier_wait -1
	v_cmpx_lt_i32_e32 12, v94
	s_cbranch_execz .LBB78_272
; %bb.271:
	v_pk_mul_f32 v[96:97], v[88:89], v[74:75] op_sel:[1,1] op_sel_hi:[0,1]
	s_delay_alu instid0(VALU_DEP_1)
	v_pk_fma_f32 v[86:87], v[88:89], v[74:75], v[96:97] op_sel_hi:[1,0,1] neg_lo:[0,0,1] neg_hi:[0,0,1]
	v_pk_fma_f32 v[88:89], v[88:89], v[74:75], v[96:97] op_sel_hi:[1,0,1]
	ds_load_2addr_b64 v[96:99], v90 offset0:13 offset1:14
	v_dual_mov_b32 v74, v86 :: v_dual_mov_b32 v75, v89
	s_wait_dscnt 0x0
	v_pk_mul_f32 v[100:101], v[96:97], v[88:89] op_sel:[0,1]
	s_delay_alu instid0(VALU_DEP_1) | instskip(SKIP_1) | instid1(VALU_DEP_1)
	v_pk_fma_f32 v[102:103], v[96:97], v[86:87], v[100:101] op_sel:[0,0,1] op_sel_hi:[1,1,0] neg_lo:[0,0,1] neg_hi:[0,0,1]
	v_pk_fma_f32 v[96:97], v[96:97], v[86:87], v[100:101] op_sel:[0,0,1] op_sel_hi:[1,0,0]
	v_mov_b32_e32 v103, v97
	v_pk_mul_f32 v[96:97], v[98:99], v[88:89] op_sel:[0,1]
	s_delay_alu instid0(VALU_DEP_1) | instskip(SKIP_1) | instid1(VALU_DEP_1)
	v_pk_fma_f32 v[100:101], v[98:99], v[86:87], v[96:97] op_sel:[0,0,1] op_sel_hi:[1,1,0] neg_lo:[0,0,1] neg_hi:[0,0,1]
	v_pk_fma_f32 v[96:97], v[98:99], v[86:87], v[96:97] op_sel:[0,0,1] op_sel_hi:[1,0,0]
	v_mov_b32_e32 v101, v97
	ds_load_2addr_b64 v[96:99], v90 offset0:15 offset1:16
	v_pk_add_f32 v[70:71], v[70:71], v[102:103] neg_lo:[0,1] neg_hi:[0,1]
	v_pk_add_f32 v[72:73], v[72:73], v[100:101] neg_lo:[0,1] neg_hi:[0,1]
	s_wait_dscnt 0x0
	v_pk_mul_f32 v[100:101], v[96:97], v[88:89] op_sel:[0,1]
	s_delay_alu instid0(VALU_DEP_1) | instskip(SKIP_2) | instid1(VALU_DEP_2)
	v_pk_fma_f32 v[102:103], v[96:97], v[86:87], v[100:101] op_sel:[0,0,1] op_sel_hi:[1,1,0] neg_lo:[0,0,1] neg_hi:[0,0,1]
	v_pk_fma_f32 v[96:97], v[96:97], v[86:87], v[100:101] op_sel:[0,0,1] op_sel_hi:[1,0,0]
	v_dual_mul_f32 v100, v99, v89 :: v_dual_mov_b32 v96, v99
	v_dual_mov_b32 v103, v97 :: v_dual_mov_b32 v97, v98
	s_delay_alu instid0(VALU_DEP_2) | instskip(SKIP_1) | instid1(VALU_DEP_3)
	v_pk_fma_f32 v[100:101], v[98:99], v[74:75], v[100:101] op_sel_hi:[1,1,0] neg_lo:[0,0,1] neg_hi:[0,0,1]
	v_mul_f32_e32 v98, v99, v86
	v_pk_add_f32 v[24:25], v[24:25], v[102:103] neg_lo:[0,1] neg_hi:[0,1]
	s_delay_alu instid0(VALU_DEP_2) | instskip(NEXT) | instid1(VALU_DEP_1)
	v_pk_fma_f32 v[96:97], v[96:97], v[74:75], v[98:99] op_sel_hi:[1,1,0]
	v_mov_b32_e32 v101, v97
	ds_load_2addr_b64 v[96:99], v90 offset0:17 offset1:18
	v_pk_add_f32 v[68:69], v[68:69], v[100:101] neg_lo:[0,1] neg_hi:[0,1]
	s_wait_dscnt 0x0
	v_pk_mul_f32 v[100:101], v[96:97], v[88:89] op_sel:[0,1]
	s_delay_alu instid0(VALU_DEP_1) | instskip(SKIP_1) | instid1(VALU_DEP_1)
	v_pk_fma_f32 v[102:103], v[96:97], v[86:87], v[100:101] op_sel:[0,0,1] op_sel_hi:[1,1,0] neg_lo:[0,0,1] neg_hi:[0,0,1]
	v_pk_fma_f32 v[96:97], v[96:97], v[86:87], v[100:101] op_sel:[0,0,1] op_sel_hi:[1,0,0]
	v_mov_b32_e32 v103, v97
	v_pk_mul_f32 v[96:97], v[98:99], v[88:89] op_sel:[0,1]
	s_delay_alu instid0(VALU_DEP_1) | instskip(SKIP_1) | instid1(VALU_DEP_1)
	v_pk_fma_f32 v[100:101], v[98:99], v[86:87], v[96:97] op_sel:[0,0,1] op_sel_hi:[1,1,0] neg_lo:[0,0,1] neg_hi:[0,0,1]
	v_pk_fma_f32 v[96:97], v[98:99], v[86:87], v[96:97] op_sel:[0,0,1] op_sel_hi:[1,0,0]
	v_mov_b32_e32 v101, v97
	ds_load_2addr_b64 v[96:99], v90 offset0:19 offset1:20
	v_pk_add_f32 v[64:65], v[64:65], v[102:103] neg_lo:[0,1] neg_hi:[0,1]
	v_pk_add_f32 v[66:67], v[66:67], v[100:101] neg_lo:[0,1] neg_hi:[0,1]
	s_wait_dscnt 0x0
	v_pk_mul_f32 v[100:101], v[96:97], v[88:89] op_sel:[0,1]
	s_delay_alu instid0(VALU_DEP_1) | instskip(SKIP_1) | instid1(VALU_DEP_1)
	v_pk_fma_f32 v[102:103], v[96:97], v[86:87], v[100:101] op_sel:[0,0,1] op_sel_hi:[1,1,0] neg_lo:[0,0,1] neg_hi:[0,0,1]
	v_pk_fma_f32 v[96:97], v[96:97], v[86:87], v[100:101] op_sel:[0,0,1] op_sel_hi:[1,0,0]
	v_mov_b32_e32 v103, v97
	v_pk_mul_f32 v[96:97], v[98:99], v[88:89] op_sel:[0,1]
	s_delay_alu instid0(VALU_DEP_1) | instskip(SKIP_1) | instid1(VALU_DEP_1)
	v_pk_fma_f32 v[100:101], v[98:99], v[86:87], v[96:97] op_sel:[0,0,1] op_sel_hi:[1,1,0] neg_lo:[0,0,1] neg_hi:[0,0,1]
	v_pk_fma_f32 v[96:97], v[98:99], v[86:87], v[96:97] op_sel:[0,0,1] op_sel_hi:[1,0,0]
	v_mov_b32_e32 v101, v97
	ds_load_2addr_b64 v[96:99], v90 offset0:21 offset1:22
	v_pk_add_f32 v[22:23], v[22:23], v[102:103] neg_lo:[0,1] neg_hi:[0,1]
	v_pk_add_f32 v[62:63], v[62:63], v[100:101] neg_lo:[0,1] neg_hi:[0,1]
	s_wait_dscnt 0x0
	v_dual_mul_f32 v100, v97, v89 :: v_dual_mul_f32 v102, v97, v86
	s_delay_alu instid0(VALU_DEP_1) | instskip(NEXT) | instid1(VALU_DEP_2)
	v_pk_fma_f32 v[100:101], v[96:97], v[74:75], v[100:101] op_sel_hi:[1,1,0] neg_lo:[0,0,1] neg_hi:[0,0,1]
	v_pk_fma_f32 v[96:97], v[96:97], v[74:75], v[102:103] op_sel:[1,0,0] op_sel_hi:[0,1,0]
	s_delay_alu instid0(VALU_DEP_1) | instskip(SKIP_1) | instid1(VALU_DEP_2)
	v_mov_b32_e32 v101, v97
	v_pk_mul_f32 v[96:97], v[98:99], v[88:89] op_sel:[0,1]
	v_pk_add_f32 v[58:59], v[58:59], v[100:101] neg_lo:[0,1] neg_hi:[0,1]
	s_delay_alu instid0(VALU_DEP_2) | instskip(SKIP_1) | instid1(VALU_DEP_1)
	v_pk_fma_f32 v[100:101], v[98:99], v[86:87], v[96:97] op_sel:[0,0,1] op_sel_hi:[1,1,0] neg_lo:[0,0,1] neg_hi:[0,0,1]
	v_pk_fma_f32 v[96:97], v[98:99], v[86:87], v[96:97] op_sel:[0,0,1] op_sel_hi:[1,0,0]
	v_mov_b32_e32 v101, v97
	ds_load_2addr_b64 v[96:99], v90 offset0:23 offset1:24
	v_pk_add_f32 v[60:61], v[60:61], v[100:101] neg_lo:[0,1] neg_hi:[0,1]
	s_wait_dscnt 0x0
	v_pk_mul_f32 v[100:101], v[96:97], v[88:89] op_sel:[0,1]
	s_delay_alu instid0(VALU_DEP_1) | instskip(SKIP_1) | instid1(VALU_DEP_1)
	v_pk_fma_f32 v[102:103], v[96:97], v[86:87], v[100:101] op_sel:[0,0,1] op_sel_hi:[1,1,0] neg_lo:[0,0,1] neg_hi:[0,0,1]
	v_pk_fma_f32 v[96:97], v[96:97], v[86:87], v[100:101] op_sel:[0,0,1] op_sel_hi:[1,0,0]
	v_mov_b32_e32 v103, v97
	v_pk_mul_f32 v[96:97], v[98:99], v[88:89] op_sel:[0,1]
	s_delay_alu instid0(VALU_DEP_2) | instskip(NEXT) | instid1(VALU_DEP_2)
	v_pk_add_f32 v[16:17], v[16:17], v[102:103] neg_lo:[0,1] neg_hi:[0,1]
	v_pk_fma_f32 v[100:101], v[98:99], v[86:87], v[96:97] op_sel:[0,0,1] op_sel_hi:[1,1,0] neg_lo:[0,0,1] neg_hi:[0,0,1]
	v_pk_fma_f32 v[96:97], v[98:99], v[86:87], v[96:97] op_sel:[0,0,1] op_sel_hi:[1,0,0]
	s_delay_alu instid0(VALU_DEP_1) | instskip(SKIP_4) | instid1(VALU_DEP_1)
	v_mov_b32_e32 v101, v97
	ds_load_2addr_b64 v[96:99], v90 offset0:25 offset1:26
	v_pk_add_f32 v[56:57], v[56:57], v[100:101] neg_lo:[0,1] neg_hi:[0,1]
	s_wait_dscnt 0x0
	v_pk_mul_f32 v[100:101], v[96:97], v[88:89] op_sel:[0,1]
	v_pk_fma_f32 v[102:103], v[96:97], v[86:87], v[100:101] op_sel:[0,0,1] op_sel_hi:[1,1,0] neg_lo:[0,0,1] neg_hi:[0,0,1]
	v_pk_fma_f32 v[96:97], v[96:97], v[86:87], v[100:101] op_sel:[0,0,1] op_sel_hi:[1,0,0]
	v_dual_mul_f32 v100, v99, v89 :: v_dual_mov_b32 v96, v99
	s_delay_alu instid0(VALU_DEP_2) | instskip(NEXT) | instid1(VALU_DEP_2)
	v_dual_mov_b32 v103, v97 :: v_dual_mov_b32 v97, v98
	v_pk_fma_f32 v[100:101], v[98:99], v[74:75], v[100:101] op_sel_hi:[1,1,0] neg_lo:[0,0,1] neg_hi:[0,0,1]
	v_mul_f32_e32 v98, v99, v86
	s_delay_alu instid0(VALU_DEP_3) | instskip(NEXT) | instid1(VALU_DEP_2)
	v_pk_add_f32 v[52:53], v[52:53], v[102:103] neg_lo:[0,1] neg_hi:[0,1]
	v_pk_fma_f32 v[96:97], v[96:97], v[74:75], v[98:99] op_sel_hi:[1,1,0]
	s_delay_alu instid0(VALU_DEP_1) | instskip(SKIP_4) | instid1(VALU_DEP_1)
	v_mov_b32_e32 v101, v97
	ds_load_2addr_b64 v[96:99], v90 offset0:27 offset1:28
	v_pk_add_f32 v[54:55], v[54:55], v[100:101] neg_lo:[0,1] neg_hi:[0,1]
	s_wait_dscnt 0x0
	v_pk_mul_f32 v[100:101], v[96:97], v[88:89] op_sel:[0,1]
	v_pk_fma_f32 v[102:103], v[96:97], v[86:87], v[100:101] op_sel:[0,0,1] op_sel_hi:[1,1,0] neg_lo:[0,0,1] neg_hi:[0,0,1]
	v_pk_fma_f32 v[96:97], v[96:97], v[86:87], v[100:101] op_sel:[0,0,1] op_sel_hi:[1,0,0]
	s_delay_alu instid0(VALU_DEP_1) | instskip(SKIP_1) | instid1(VALU_DEP_1)
	v_mov_b32_e32 v103, v97
	v_pk_mul_f32 v[96:97], v[98:99], v[88:89] op_sel:[0,1]
	v_pk_fma_f32 v[100:101], v[98:99], v[86:87], v[96:97] op_sel:[0,0,1] op_sel_hi:[1,1,0] neg_lo:[0,0,1] neg_hi:[0,0,1]
	v_pk_fma_f32 v[96:97], v[98:99], v[86:87], v[96:97] op_sel:[0,0,1] op_sel_hi:[1,0,0]
	s_delay_alu instid0(VALU_DEP_1)
	v_mov_b32_e32 v101, v97
	ds_load_2addr_b64 v[96:99], v90 offset0:29 offset1:30
	v_pk_add_f32 v[14:15], v[14:15], v[102:103] neg_lo:[0,1] neg_hi:[0,1]
	v_pk_add_f32 v[38:39], v[38:39], v[100:101] neg_lo:[0,1] neg_hi:[0,1]
	s_wait_dscnt 0x0
	v_pk_mul_f32 v[100:101], v[96:97], v[88:89] op_sel:[0,1]
	s_delay_alu instid0(VALU_DEP_1) | instskip(SKIP_1) | instid1(VALU_DEP_1)
	v_pk_fma_f32 v[102:103], v[96:97], v[86:87], v[100:101] op_sel:[0,0,1] op_sel_hi:[1,1,0] neg_lo:[0,0,1] neg_hi:[0,0,1]
	v_pk_fma_f32 v[96:97], v[96:97], v[86:87], v[100:101] op_sel:[0,0,1] op_sel_hi:[1,0,0]
	v_mov_b32_e32 v103, v97
	v_pk_mul_f32 v[96:97], v[98:99], v[88:89] op_sel:[0,1]
	s_delay_alu instid0(VALU_DEP_1) | instskip(SKIP_1) | instid1(VALU_DEP_1)
	v_pk_fma_f32 v[100:101], v[98:99], v[86:87], v[96:97] op_sel:[0,0,1] op_sel_hi:[1,1,0] neg_lo:[0,0,1] neg_hi:[0,0,1]
	v_pk_fma_f32 v[96:97], v[98:99], v[86:87], v[96:97] op_sel:[0,0,1] op_sel_hi:[1,0,0]
	v_mov_b32_e32 v101, v97
	ds_load_2addr_b64 v[96:99], v90 offset0:31 offset1:32
	v_pk_add_f32 v[34:35], v[34:35], v[102:103] neg_lo:[0,1] neg_hi:[0,1]
	v_pk_add_f32 v[36:37], v[36:37], v[100:101] neg_lo:[0,1] neg_hi:[0,1]
	s_wait_dscnt 0x0
	v_dual_mul_f32 v100, v97, v89 :: v_dual_mul_f32 v102, v97, v86
	s_delay_alu instid0(VALU_DEP_1) | instskip(NEXT) | instid1(VALU_DEP_2)
	v_pk_fma_f32 v[100:101], v[96:97], v[74:75], v[100:101] op_sel_hi:[1,1,0] neg_lo:[0,0,1] neg_hi:[0,0,1]
	v_pk_fma_f32 v[96:97], v[96:97], v[74:75], v[102:103] op_sel:[1,0,0] op_sel_hi:[0,1,0]
	s_delay_alu instid0(VALU_DEP_1) | instskip(SKIP_1) | instid1(VALU_DEP_2)
	v_mov_b32_e32 v101, v97
	v_pk_mul_f32 v[96:97], v[98:99], v[88:89] op_sel:[0,1]
	v_pk_add_f32 v[6:7], v[6:7], v[100:101] neg_lo:[0,1] neg_hi:[0,1]
	s_delay_alu instid0(VALU_DEP_2) | instskip(SKIP_1) | instid1(VALU_DEP_1)
	v_pk_fma_f32 v[100:101], v[98:99], v[86:87], v[96:97] op_sel:[0,0,1] op_sel_hi:[1,1,0] neg_lo:[0,0,1] neg_hi:[0,0,1]
	v_pk_fma_f32 v[96:97], v[98:99], v[86:87], v[96:97] op_sel:[0,0,1] op_sel_hi:[1,0,0]
	v_mov_b32_e32 v101, v97
	ds_load_2addr_b64 v[96:99], v90 offset0:33 offset1:34
	v_pk_add_f32 v[32:33], v[32:33], v[100:101] neg_lo:[0,1] neg_hi:[0,1]
	s_wait_dscnt 0x0
	v_pk_mul_f32 v[100:101], v[96:97], v[88:89] op_sel:[0,1]
	s_delay_alu instid0(VALU_DEP_1) | instskip(SKIP_1) | instid1(VALU_DEP_1)
	v_pk_fma_f32 v[102:103], v[96:97], v[86:87], v[100:101] op_sel:[0,0,1] op_sel_hi:[1,1,0] neg_lo:[0,0,1] neg_hi:[0,0,1]
	v_pk_fma_f32 v[96:97], v[96:97], v[86:87], v[100:101] op_sel:[0,0,1] op_sel_hi:[1,0,0]
	v_mov_b32_e32 v103, v97
	v_pk_mul_f32 v[96:97], v[98:99], v[88:89] op_sel:[0,1]
	s_delay_alu instid0(VALU_DEP_2) | instskip(NEXT) | instid1(VALU_DEP_2)
	v_pk_add_f32 v[28:29], v[28:29], v[102:103] neg_lo:[0,1] neg_hi:[0,1]
	v_pk_fma_f32 v[100:101], v[98:99], v[86:87], v[96:97] op_sel:[0,0,1] op_sel_hi:[1,1,0] neg_lo:[0,0,1] neg_hi:[0,0,1]
	v_pk_fma_f32 v[96:97], v[98:99], v[86:87], v[96:97] op_sel:[0,0,1] op_sel_hi:[1,0,0]
	s_delay_alu instid0(VALU_DEP_1) | instskip(SKIP_4) | instid1(VALU_DEP_1)
	v_mov_b32_e32 v101, v97
	ds_load_2addr_b64 v[96:99], v90 offset0:35 offset1:36
	v_pk_add_f32 v[30:31], v[30:31], v[100:101] neg_lo:[0,1] neg_hi:[0,1]
	s_wait_dscnt 0x0
	v_pk_mul_f32 v[100:101], v[96:97], v[88:89] op_sel:[0,1]
	v_pk_fma_f32 v[102:103], v[96:97], v[86:87], v[100:101] op_sel:[0,0,1] op_sel_hi:[1,1,0] neg_lo:[0,0,1] neg_hi:[0,0,1]
	v_pk_fma_f32 v[96:97], v[96:97], v[86:87], v[100:101] op_sel:[0,0,1] op_sel_hi:[1,0,0]
	v_dual_mul_f32 v100, v99, v89 :: v_dual_mov_b32 v96, v99
	s_delay_alu instid0(VALU_DEP_2) | instskip(NEXT) | instid1(VALU_DEP_2)
	v_dual_mov_b32 v103, v97 :: v_dual_mov_b32 v97, v98
	v_pk_fma_f32 v[100:101], v[98:99], v[74:75], v[100:101] op_sel_hi:[1,1,0] neg_lo:[0,0,1] neg_hi:[0,0,1]
	v_mul_f32_e32 v98, v99, v86
	s_delay_alu instid0(VALU_DEP_3) | instskip(NEXT) | instid1(VALU_DEP_2)
	v_pk_add_f32 v[8:9], v[8:9], v[102:103] neg_lo:[0,1] neg_hi:[0,1]
	v_pk_fma_f32 v[96:97], v[96:97], v[74:75], v[98:99] op_sel_hi:[1,1,0]
	s_delay_alu instid0(VALU_DEP_1) | instskip(SKIP_4) | instid1(VALU_DEP_1)
	v_mov_b32_e32 v101, v97
	ds_load_2addr_b64 v[96:99], v90 offset0:37 offset1:38
	v_pk_add_f32 v[26:27], v[26:27], v[100:101] neg_lo:[0,1] neg_hi:[0,1]
	s_wait_dscnt 0x0
	v_pk_mul_f32 v[100:101], v[96:97], v[88:89] op_sel:[0,1]
	v_pk_fma_f32 v[102:103], v[96:97], v[86:87], v[100:101] op_sel:[0,0,1] op_sel_hi:[1,1,0] neg_lo:[0,0,1] neg_hi:[0,0,1]
	v_pk_fma_f32 v[96:97], v[96:97], v[86:87], v[100:101] op_sel:[0,0,1] op_sel_hi:[1,0,0]
	s_delay_alu instid0(VALU_DEP_1) | instskip(SKIP_1) | instid1(VALU_DEP_1)
	v_mov_b32_e32 v103, v97
	v_pk_mul_f32 v[96:97], v[98:99], v[88:89] op_sel:[0,1]
	v_pk_fma_f32 v[100:101], v[98:99], v[86:87], v[96:97] op_sel:[0,0,1] op_sel_hi:[1,1,0] neg_lo:[0,0,1] neg_hi:[0,0,1]
	v_pk_fma_f32 v[96:97], v[98:99], v[86:87], v[96:97] op_sel:[0,0,1] op_sel_hi:[1,0,0]
	s_delay_alu instid0(VALU_DEP_1)
	v_mov_b32_e32 v101, v97
	ds_load_b64 v[96:97], v90 offset:312
	v_pk_add_f32 v[20:21], v[20:21], v[102:103] neg_lo:[0,1] neg_hi:[0,1]
	v_pk_add_f32 v[18:19], v[18:19], v[100:101] neg_lo:[0,1] neg_hi:[0,1]
	s_wait_dscnt 0x0
	v_pk_mul_f32 v[88:89], v[96:97], v[88:89] op_sel:[0,1]
	s_delay_alu instid0(VALU_DEP_1) | instskip(SKIP_1) | instid1(VALU_DEP_1)
	v_pk_fma_f32 v[98:99], v[96:97], v[86:87], v[88:89] op_sel:[0,0,1] op_sel_hi:[1,1,0] neg_lo:[0,0,1] neg_hi:[0,0,1]
	v_pk_fma_f32 v[86:87], v[96:97], v[86:87], v[88:89] op_sel:[0,0,1] op_sel_hi:[1,0,0]
	v_mov_b32_e32 v99, v87
	s_delay_alu instid0(VALU_DEP_1)
	v_pk_add_f32 v[84:85], v[84:85], v[98:99] neg_lo:[0,1] neg_hi:[0,1]
.LBB78_272:
	s_or_b32 exec_lo, exec_lo, s0
	v_lshl_add_u32 v86, v94, 3, v90
	s_barrier_signal -1
	s_barrier_wait -1
	ds_store_b64 v86, v[70:71]
	s_wait_dscnt 0x0
	s_barrier_signal -1
	s_barrier_wait -1
	ds_load_b64 v[88:89], v90 offset:104
	v_mov_b32_e32 v86, 13
	s_cmp_lt_i32 s18, 15
	s_cbranch_scc1 .LBB78_275
; %bb.273:
	v_add3_u32 v87, v91, 0, 0x70
	v_mov_b32_e32 v86, 13
	s_mov_b32 s0, 14
.LBB78_274:                             ; =>This Inner Loop Header: Depth=1
	ds_load_b64 v[96:97], v87
	s_wait_dscnt 0x1
	v_cmp_gt_f32_e32 vcc_lo, 0, v88
	v_cndmask_b32_e64 v98, v88, -v88, vcc_lo
	v_cmp_gt_f32_e32 vcc_lo, 0, v89
	v_cndmask_b32_e64 v100, v89, -v89, vcc_lo
	s_wait_dscnt 0x0
	v_cmp_gt_f32_e32 vcc_lo, 0, v96
	v_cndmask_b32_e64 v99, v96, -v96, vcc_lo
	v_cmp_gt_f32_e32 vcc_lo, 0, v97
	v_cndmask_b32_e64 v101, v97, -v97, vcc_lo
	s_delay_alu instid0(VALU_DEP_1) | instskip(NEXT) | instid1(VALU_DEP_1)
	v_pk_add_f32 v[98:99], v[98:99], v[100:101]
	v_cmp_lt_f32_e32 vcc_lo, v98, v99
	v_dual_add_nc_u32 v87, 8, v87 :: v_dual_cndmask_b32 v89, v89, v97, vcc_lo
	v_cndmask_b32_e32 v88, v88, v96, vcc_lo
	v_cndmask_b32_e64 v86, v86, s0, vcc_lo
	s_add_co_i32 s0, s0, 1
	s_delay_alu instid0(SALU_CYCLE_1)
	s_cmp_lg_u32 s18, s0
	s_cbranch_scc1 .LBB78_274
.LBB78_275:
	s_wait_dscnt 0x0
	v_cmp_eq_f32_e32 vcc_lo, 0, v88
	v_cmp_eq_f32_e64 s0, 0, v89
	s_and_b32 s0, vcc_lo, s0
	s_delay_alu instid0(SALU_CYCLE_1) | instskip(NEXT) | instid1(SALU_CYCLE_1)
	s_and_saveexec_b32 s1, s0
	s_xor_b32 s0, exec_lo, s1
; %bb.276:
	v_cmp_ne_u32_e32 vcc_lo, 0, v92
	v_cndmask_b32_e32 v92, 14, v92, vcc_lo
; %bb.277:
	s_and_not1_saveexec_b32 s0, s0
	s_cbranch_execz .LBB78_283
; %bb.278:
	v_cmp_ngt_f32_e64 s1, |v88|, |v89|
	s_and_saveexec_b32 s12, s1
	s_delay_alu instid0(SALU_CYCLE_1)
	s_xor_b32 s1, exec_lo, s12
	s_cbranch_execz .LBB78_280
; %bb.279:
	v_div_scale_f32 v87, null, v89, v89, v88
	v_div_scale_f32 v97, vcc_lo, v88, v89, v88
	s_delay_alu instid0(VALU_DEP_2) | instskip(SKIP_1) | instid1(TRANS32_DEP_1)
	v_rcp_f32_e32 v95, v87
	v_nop
	v_fma_f32 v96, -v87, v95, 1.0
	s_delay_alu instid0(VALU_DEP_1) | instskip(NEXT) | instid1(VALU_DEP_1)
	v_fmac_f32_e32 v95, v96, v95
	v_mul_f32_e32 v96, v97, v95
	s_delay_alu instid0(VALU_DEP_1) | instskip(NEXT) | instid1(VALU_DEP_1)
	v_fma_f32 v98, -v87, v96, v97
	v_fmac_f32_e32 v96, v98, v95
	s_delay_alu instid0(VALU_DEP_1) | instskip(NEXT) | instid1(VALU_DEP_1)
	v_fma_f32 v87, -v87, v96, v97
	v_div_fmas_f32 v87, v87, v95, v96
	s_delay_alu instid0(VALU_DEP_1) | instskip(NEXT) | instid1(VALU_DEP_1)
	v_div_fixup_f32 v87, v87, v89, v88
	v_fmac_f32_e32 v89, v88, v87
	s_delay_alu instid0(VALU_DEP_1) | instskip(SKIP_1) | instid1(VALU_DEP_2)
	v_div_scale_f32 v88, null, v89, v89, 1.0
	v_div_scale_f32 v97, vcc_lo, 1.0, v89, 1.0
	v_rcp_f32_e32 v95, v88
	v_nop
	s_delay_alu instid0(TRANS32_DEP_1) | instskip(NEXT) | instid1(VALU_DEP_1)
	v_fma_f32 v96, -v88, v95, 1.0
	v_fmac_f32_e32 v95, v96, v95
	s_delay_alu instid0(VALU_DEP_1) | instskip(NEXT) | instid1(VALU_DEP_1)
	v_mul_f32_e32 v96, v97, v95
	v_fma_f32 v98, -v88, v96, v97
	s_delay_alu instid0(VALU_DEP_1) | instskip(NEXT) | instid1(VALU_DEP_1)
	v_fmac_f32_e32 v96, v98, v95
	v_fma_f32 v88, -v88, v96, v97
	s_delay_alu instid0(VALU_DEP_1) | instskip(NEXT) | instid1(VALU_DEP_1)
	v_div_fmas_f32 v88, v88, v95, v96
	v_div_fixup_f32 v89, v88, v89, 1.0
	s_delay_alu instid0(VALU_DEP_1)
	v_mul_f32_e32 v88, v87, v89
	v_xor_b32_e32 v89, 0x80000000, v89
.LBB78_280:
	s_and_not1_saveexec_b32 s1, s1
	s_cbranch_execz .LBB78_282
; %bb.281:
	s_delay_alu instid0(VALU_DEP_1) | instskip(SKIP_1) | instid1(VALU_DEP_2)
	v_div_scale_f32 v87, null, v88, v88, v89
	v_div_scale_f32 v97, vcc_lo, v89, v88, v89
	v_rcp_f32_e32 v95, v87
	v_nop
	s_delay_alu instid0(TRANS32_DEP_1) | instskip(NEXT) | instid1(VALU_DEP_1)
	v_fma_f32 v96, -v87, v95, 1.0
	v_fmac_f32_e32 v95, v96, v95
	s_delay_alu instid0(VALU_DEP_1) | instskip(NEXT) | instid1(VALU_DEP_1)
	v_mul_f32_e32 v96, v97, v95
	v_fma_f32 v98, -v87, v96, v97
	s_delay_alu instid0(VALU_DEP_1) | instskip(NEXT) | instid1(VALU_DEP_1)
	v_fmac_f32_e32 v96, v98, v95
	v_fma_f32 v87, -v87, v96, v97
	s_delay_alu instid0(VALU_DEP_1) | instskip(NEXT) | instid1(VALU_DEP_1)
	v_div_fmas_f32 v87, v87, v95, v96
	v_div_fixup_f32 v87, v87, v88, v89
	s_delay_alu instid0(VALU_DEP_1) | instskip(NEXT) | instid1(VALU_DEP_1)
	v_fmac_f32_e32 v88, v89, v87
	v_div_scale_f32 v89, null, v88, v88, 1.0
	s_delay_alu instid0(VALU_DEP_1) | instskip(SKIP_1) | instid1(TRANS32_DEP_1)
	v_rcp_f32_e32 v95, v89
	v_nop
	v_fma_f32 v96, -v89, v95, 1.0
	s_delay_alu instid0(VALU_DEP_1) | instskip(SKIP_1) | instid1(VALU_DEP_1)
	v_fmac_f32_e32 v95, v96, v95
	v_div_scale_f32 v96, vcc_lo, 1.0, v88, 1.0
	v_mul_f32_e32 v97, v96, v95
	s_delay_alu instid0(VALU_DEP_1) | instskip(NEXT) | instid1(VALU_DEP_1)
	v_fma_f32 v98, -v89, v97, v96
	v_fmac_f32_e32 v97, v98, v95
	s_delay_alu instid0(VALU_DEP_1) | instskip(NEXT) | instid1(VALU_DEP_1)
	v_fma_f32 v89, -v89, v97, v96
	v_div_fmas_f32 v89, v89, v95, v97
	s_delay_alu instid0(VALU_DEP_1) | instskip(NEXT) | instid1(VALU_DEP_1)
	v_div_fixup_f32 v88, v89, v88, 1.0
	v_mul_f32_e64 v89, v87, -v88
.LBB78_282:
	s_or_b32 exec_lo, exec_lo, s1
.LBB78_283:
	s_delay_alu instid0(SALU_CYCLE_1) | instskip(NEXT) | instid1(SALU_CYCLE_1)
	s_or_b32 exec_lo, exec_lo, s0
	s_mov_b32 s0, exec_lo
	v_cmpx_ne_u32_e64 v94, v86
	s_xor_b32 s0, exec_lo, s0
	s_cbranch_execz .LBB78_289
; %bb.284:
	s_mov_b32 s1, exec_lo
	v_cmpx_eq_u32_e32 13, v94
	s_cbranch_execz .LBB78_288
; %bb.285:
	v_cmp_ne_u32_e32 vcc_lo, 13, v86
	s_xor_b32 s12, s16, -1
	s_delay_alu instid0(SALU_CYCLE_1) | instskip(NEXT) | instid1(SALU_CYCLE_1)
	s_and_b32 s13, s12, vcc_lo
	s_and_saveexec_b32 s12, s13
	s_cbranch_execz .LBB78_287
; %bb.286:
	v_ashrrev_i32_e32 v87, 31, v86
	s_delay_alu instid0(VALU_DEP_1)
	v_lshl_add_u64 v[94:95], v[86:87], 2, v[4:5]
	s_clause 0x1
	global_load_b32 v87, v[94:95], off
	global_load_b32 v93, v[4:5], off offset:52
	s_wait_loadcnt 0x1
	global_store_b32 v[4:5], v87, off offset:52
	s_wait_loadcnt 0x0
	global_store_b32 v[94:95], v93, off
.LBB78_287:
	s_wait_xcnt 0x0
	s_or_b32 exec_lo, exec_lo, s12
	v_dual_mov_b32 v94, v86 :: v_dual_mov_b32 v93, v86
.LBB78_288:
	s_or_b32 exec_lo, exec_lo, s1
.LBB78_289:
	s_and_not1_saveexec_b32 s0, s0
	s_cbranch_execz .LBB78_291
; %bb.290:
	v_dual_mov_b32 v86, v72 :: v_dual_mov_b32 v87, v73
	v_dual_mov_b32 v94, v24 :: v_dual_mov_b32 v95, v25
	ds_store_2addr_b64 v90, v[86:87], v[94:95] offset0:14 offset1:15
	v_dual_mov_b32 v86, v68 :: v_dual_mov_b32 v87, v69
	v_dual_mov_b32 v94, v64 :: v_dual_mov_b32 v95, v65
	ds_store_2addr_b64 v90, v[86:87], v[94:95] offset0:16 offset1:17
	;; [unrolled: 3-line block ×12, first 2 shown]
	v_dual_mov_b32 v86, v18 :: v_dual_mov_b32 v87, v19
	v_mov_b32_e32 v94, 13
	ds_store_2addr_b64 v90, v[86:87], v[84:85] offset0:38 offset1:39
.LBB78_291:
	s_or_b32 exec_lo, exec_lo, s0
	s_delay_alu instid0(SALU_CYCLE_1)
	s_mov_b32 s0, exec_lo
	s_wait_storecnt_dscnt 0x0
	s_barrier_signal -1
	s_barrier_wait -1
	v_cmpx_lt_i32_e32 13, v94
	s_cbranch_execz .LBB78_293
; %bb.292:
	v_pk_mul_f32 v[96:97], v[88:89], v[70:71] op_sel:[1,1] op_sel_hi:[0,1]
	s_delay_alu instid0(VALU_DEP_1)
	v_pk_fma_f32 v[86:87], v[88:89], v[70:71], v[96:97] op_sel_hi:[1,0,1] neg_lo:[0,0,1] neg_hi:[0,0,1]
	v_pk_fma_f32 v[88:89], v[88:89], v[70:71], v[96:97] op_sel_hi:[1,0,1]
	ds_load_2addr_b64 v[96:99], v90 offset0:14 offset1:15
	v_dual_mov_b32 v70, v86 :: v_dual_mov_b32 v71, v89
	s_wait_dscnt 0x0
	v_pk_mul_f32 v[100:101], v[96:97], v[88:89] op_sel:[0,1]
	s_delay_alu instid0(VALU_DEP_1) | instskip(SKIP_1) | instid1(VALU_DEP_1)
	v_pk_fma_f32 v[102:103], v[96:97], v[86:87], v[100:101] op_sel:[0,0,1] op_sel_hi:[1,1,0] neg_lo:[0,0,1] neg_hi:[0,0,1]
	v_pk_fma_f32 v[96:97], v[96:97], v[86:87], v[100:101] op_sel:[0,0,1] op_sel_hi:[1,0,0]
	v_mov_b32_e32 v103, v97
	v_pk_mul_f32 v[96:97], v[98:99], v[88:89] op_sel:[0,1]
	s_delay_alu instid0(VALU_DEP_1) | instskip(SKIP_1) | instid1(VALU_DEP_1)
	v_pk_fma_f32 v[100:101], v[98:99], v[86:87], v[96:97] op_sel:[0,0,1] op_sel_hi:[1,1,0] neg_lo:[0,0,1] neg_hi:[0,0,1]
	v_pk_fma_f32 v[96:97], v[98:99], v[86:87], v[96:97] op_sel:[0,0,1] op_sel_hi:[1,0,0]
	v_mov_b32_e32 v101, v97
	ds_load_2addr_b64 v[96:99], v90 offset0:16 offset1:17
	v_pk_add_f32 v[72:73], v[72:73], v[102:103] neg_lo:[0,1] neg_hi:[0,1]
	v_pk_add_f32 v[24:25], v[24:25], v[100:101] neg_lo:[0,1] neg_hi:[0,1]
	s_wait_dscnt 0x0
	v_pk_mul_f32 v[100:101], v[96:97], v[88:89] op_sel:[0,1]
	s_delay_alu instid0(VALU_DEP_1) | instskip(SKIP_2) | instid1(VALU_DEP_2)
	v_pk_fma_f32 v[102:103], v[96:97], v[86:87], v[100:101] op_sel:[0,0,1] op_sel_hi:[1,1,0] neg_lo:[0,0,1] neg_hi:[0,0,1]
	v_pk_fma_f32 v[96:97], v[96:97], v[86:87], v[100:101] op_sel:[0,0,1] op_sel_hi:[1,0,0]
	v_dual_mul_f32 v100, v99, v89 :: v_dual_mov_b32 v96, v99
	v_dual_mov_b32 v103, v97 :: v_dual_mov_b32 v97, v98
	s_delay_alu instid0(VALU_DEP_2) | instskip(SKIP_1) | instid1(VALU_DEP_3)
	v_pk_fma_f32 v[100:101], v[98:99], v[70:71], v[100:101] op_sel_hi:[1,1,0] neg_lo:[0,0,1] neg_hi:[0,0,1]
	v_mul_f32_e32 v98, v99, v86
	v_pk_add_f32 v[68:69], v[68:69], v[102:103] neg_lo:[0,1] neg_hi:[0,1]
	s_delay_alu instid0(VALU_DEP_2) | instskip(NEXT) | instid1(VALU_DEP_1)
	v_pk_fma_f32 v[96:97], v[96:97], v[70:71], v[98:99] op_sel_hi:[1,1,0]
	v_mov_b32_e32 v101, v97
	ds_load_2addr_b64 v[96:99], v90 offset0:18 offset1:19
	v_pk_add_f32 v[64:65], v[64:65], v[100:101] neg_lo:[0,1] neg_hi:[0,1]
	s_wait_dscnt 0x0
	v_pk_mul_f32 v[100:101], v[96:97], v[88:89] op_sel:[0,1]
	s_delay_alu instid0(VALU_DEP_1) | instskip(SKIP_1) | instid1(VALU_DEP_1)
	v_pk_fma_f32 v[102:103], v[96:97], v[86:87], v[100:101] op_sel:[0,0,1] op_sel_hi:[1,1,0] neg_lo:[0,0,1] neg_hi:[0,0,1]
	v_pk_fma_f32 v[96:97], v[96:97], v[86:87], v[100:101] op_sel:[0,0,1] op_sel_hi:[1,0,0]
	v_mov_b32_e32 v103, v97
	v_pk_mul_f32 v[96:97], v[98:99], v[88:89] op_sel:[0,1]
	s_delay_alu instid0(VALU_DEP_1) | instskip(SKIP_1) | instid1(VALU_DEP_1)
	v_pk_fma_f32 v[100:101], v[98:99], v[86:87], v[96:97] op_sel:[0,0,1] op_sel_hi:[1,1,0] neg_lo:[0,0,1] neg_hi:[0,0,1]
	v_pk_fma_f32 v[96:97], v[98:99], v[86:87], v[96:97] op_sel:[0,0,1] op_sel_hi:[1,0,0]
	v_mov_b32_e32 v101, v97
	ds_load_2addr_b64 v[96:99], v90 offset0:20 offset1:21
	v_pk_add_f32 v[66:67], v[66:67], v[102:103] neg_lo:[0,1] neg_hi:[0,1]
	v_pk_add_f32 v[22:23], v[22:23], v[100:101] neg_lo:[0,1] neg_hi:[0,1]
	s_wait_dscnt 0x0
	v_pk_mul_f32 v[100:101], v[96:97], v[88:89] op_sel:[0,1]
	s_delay_alu instid0(VALU_DEP_1) | instskip(SKIP_1) | instid1(VALU_DEP_1)
	v_pk_fma_f32 v[102:103], v[96:97], v[86:87], v[100:101] op_sel:[0,0,1] op_sel_hi:[1,1,0] neg_lo:[0,0,1] neg_hi:[0,0,1]
	v_pk_fma_f32 v[96:97], v[96:97], v[86:87], v[100:101] op_sel:[0,0,1] op_sel_hi:[1,0,0]
	v_mov_b32_e32 v103, v97
	v_pk_mul_f32 v[96:97], v[98:99], v[88:89] op_sel:[0,1]
	s_delay_alu instid0(VALU_DEP_1) | instskip(SKIP_1) | instid1(VALU_DEP_1)
	v_pk_fma_f32 v[100:101], v[98:99], v[86:87], v[96:97] op_sel:[0,0,1] op_sel_hi:[1,1,0] neg_lo:[0,0,1] neg_hi:[0,0,1]
	v_pk_fma_f32 v[96:97], v[98:99], v[86:87], v[96:97] op_sel:[0,0,1] op_sel_hi:[1,0,0]
	v_mov_b32_e32 v101, v97
	ds_load_2addr_b64 v[96:99], v90 offset0:22 offset1:23
	v_pk_add_f32 v[62:63], v[62:63], v[102:103] neg_lo:[0,1] neg_hi:[0,1]
	v_pk_add_f32 v[58:59], v[58:59], v[100:101] neg_lo:[0,1] neg_hi:[0,1]
	s_wait_dscnt 0x0
	v_dual_mul_f32 v100, v97, v89 :: v_dual_mul_f32 v102, v97, v86
	s_delay_alu instid0(VALU_DEP_1) | instskip(NEXT) | instid1(VALU_DEP_2)
	v_pk_fma_f32 v[100:101], v[96:97], v[70:71], v[100:101] op_sel_hi:[1,1,0] neg_lo:[0,0,1] neg_hi:[0,0,1]
	v_pk_fma_f32 v[96:97], v[96:97], v[70:71], v[102:103] op_sel:[1,0,0] op_sel_hi:[0,1,0]
	s_delay_alu instid0(VALU_DEP_1) | instskip(SKIP_1) | instid1(VALU_DEP_2)
	v_mov_b32_e32 v101, v97
	v_pk_mul_f32 v[96:97], v[98:99], v[88:89] op_sel:[0,1]
	v_pk_add_f32 v[60:61], v[60:61], v[100:101] neg_lo:[0,1] neg_hi:[0,1]
	s_delay_alu instid0(VALU_DEP_2) | instskip(SKIP_1) | instid1(VALU_DEP_1)
	v_pk_fma_f32 v[100:101], v[98:99], v[86:87], v[96:97] op_sel:[0,0,1] op_sel_hi:[1,1,0] neg_lo:[0,0,1] neg_hi:[0,0,1]
	v_pk_fma_f32 v[96:97], v[98:99], v[86:87], v[96:97] op_sel:[0,0,1] op_sel_hi:[1,0,0]
	v_mov_b32_e32 v101, v97
	ds_load_2addr_b64 v[96:99], v90 offset0:24 offset1:25
	v_pk_add_f32 v[16:17], v[16:17], v[100:101] neg_lo:[0,1] neg_hi:[0,1]
	s_wait_dscnt 0x0
	v_pk_mul_f32 v[100:101], v[96:97], v[88:89] op_sel:[0,1]
	s_delay_alu instid0(VALU_DEP_1) | instskip(SKIP_1) | instid1(VALU_DEP_1)
	v_pk_fma_f32 v[102:103], v[96:97], v[86:87], v[100:101] op_sel:[0,0,1] op_sel_hi:[1,1,0] neg_lo:[0,0,1] neg_hi:[0,0,1]
	v_pk_fma_f32 v[96:97], v[96:97], v[86:87], v[100:101] op_sel:[0,0,1] op_sel_hi:[1,0,0]
	v_mov_b32_e32 v103, v97
	v_pk_mul_f32 v[96:97], v[98:99], v[88:89] op_sel:[0,1]
	s_delay_alu instid0(VALU_DEP_2) | instskip(NEXT) | instid1(VALU_DEP_2)
	v_pk_add_f32 v[56:57], v[56:57], v[102:103] neg_lo:[0,1] neg_hi:[0,1]
	v_pk_fma_f32 v[100:101], v[98:99], v[86:87], v[96:97] op_sel:[0,0,1] op_sel_hi:[1,1,0] neg_lo:[0,0,1] neg_hi:[0,0,1]
	v_pk_fma_f32 v[96:97], v[98:99], v[86:87], v[96:97] op_sel:[0,0,1] op_sel_hi:[1,0,0]
	s_delay_alu instid0(VALU_DEP_1) | instskip(SKIP_4) | instid1(VALU_DEP_1)
	v_mov_b32_e32 v101, v97
	ds_load_2addr_b64 v[96:99], v90 offset0:26 offset1:27
	v_pk_add_f32 v[52:53], v[52:53], v[100:101] neg_lo:[0,1] neg_hi:[0,1]
	s_wait_dscnt 0x0
	v_pk_mul_f32 v[100:101], v[96:97], v[88:89] op_sel:[0,1]
	v_pk_fma_f32 v[102:103], v[96:97], v[86:87], v[100:101] op_sel:[0,0,1] op_sel_hi:[1,1,0] neg_lo:[0,0,1] neg_hi:[0,0,1]
	v_pk_fma_f32 v[96:97], v[96:97], v[86:87], v[100:101] op_sel:[0,0,1] op_sel_hi:[1,0,0]
	v_dual_mul_f32 v100, v99, v89 :: v_dual_mov_b32 v96, v99
	s_delay_alu instid0(VALU_DEP_2) | instskip(NEXT) | instid1(VALU_DEP_2)
	v_dual_mov_b32 v103, v97 :: v_dual_mov_b32 v97, v98
	v_pk_fma_f32 v[100:101], v[98:99], v[70:71], v[100:101] op_sel_hi:[1,1,0] neg_lo:[0,0,1] neg_hi:[0,0,1]
	v_mul_f32_e32 v98, v99, v86
	s_delay_alu instid0(VALU_DEP_3) | instskip(NEXT) | instid1(VALU_DEP_2)
	v_pk_add_f32 v[54:55], v[54:55], v[102:103] neg_lo:[0,1] neg_hi:[0,1]
	v_pk_fma_f32 v[96:97], v[96:97], v[70:71], v[98:99] op_sel_hi:[1,1,0]
	s_delay_alu instid0(VALU_DEP_1) | instskip(SKIP_4) | instid1(VALU_DEP_1)
	v_mov_b32_e32 v101, v97
	ds_load_2addr_b64 v[96:99], v90 offset0:28 offset1:29
	v_pk_add_f32 v[14:15], v[14:15], v[100:101] neg_lo:[0,1] neg_hi:[0,1]
	s_wait_dscnt 0x0
	v_pk_mul_f32 v[100:101], v[96:97], v[88:89] op_sel:[0,1]
	v_pk_fma_f32 v[102:103], v[96:97], v[86:87], v[100:101] op_sel:[0,0,1] op_sel_hi:[1,1,0] neg_lo:[0,0,1] neg_hi:[0,0,1]
	v_pk_fma_f32 v[96:97], v[96:97], v[86:87], v[100:101] op_sel:[0,0,1] op_sel_hi:[1,0,0]
	s_delay_alu instid0(VALU_DEP_1) | instskip(SKIP_1) | instid1(VALU_DEP_1)
	v_mov_b32_e32 v103, v97
	v_pk_mul_f32 v[96:97], v[98:99], v[88:89] op_sel:[0,1]
	v_pk_fma_f32 v[100:101], v[98:99], v[86:87], v[96:97] op_sel:[0,0,1] op_sel_hi:[1,1,0] neg_lo:[0,0,1] neg_hi:[0,0,1]
	v_pk_fma_f32 v[96:97], v[98:99], v[86:87], v[96:97] op_sel:[0,0,1] op_sel_hi:[1,0,0]
	s_delay_alu instid0(VALU_DEP_1)
	v_mov_b32_e32 v101, v97
	ds_load_2addr_b64 v[96:99], v90 offset0:30 offset1:31
	v_pk_add_f32 v[38:39], v[38:39], v[102:103] neg_lo:[0,1] neg_hi:[0,1]
	v_pk_add_f32 v[34:35], v[34:35], v[100:101] neg_lo:[0,1] neg_hi:[0,1]
	s_wait_dscnt 0x0
	v_pk_mul_f32 v[100:101], v[96:97], v[88:89] op_sel:[0,1]
	s_delay_alu instid0(VALU_DEP_1) | instskip(SKIP_1) | instid1(VALU_DEP_1)
	v_pk_fma_f32 v[102:103], v[96:97], v[86:87], v[100:101] op_sel:[0,0,1] op_sel_hi:[1,1,0] neg_lo:[0,0,1] neg_hi:[0,0,1]
	v_pk_fma_f32 v[96:97], v[96:97], v[86:87], v[100:101] op_sel:[0,0,1] op_sel_hi:[1,0,0]
	v_mov_b32_e32 v103, v97
	v_pk_mul_f32 v[96:97], v[98:99], v[88:89] op_sel:[0,1]
	s_delay_alu instid0(VALU_DEP_1) | instskip(SKIP_1) | instid1(VALU_DEP_1)
	v_pk_fma_f32 v[100:101], v[98:99], v[86:87], v[96:97] op_sel:[0,0,1] op_sel_hi:[1,1,0] neg_lo:[0,0,1] neg_hi:[0,0,1]
	v_pk_fma_f32 v[96:97], v[98:99], v[86:87], v[96:97] op_sel:[0,0,1] op_sel_hi:[1,0,0]
	v_mov_b32_e32 v101, v97
	ds_load_2addr_b64 v[96:99], v90 offset0:32 offset1:33
	v_pk_add_f32 v[36:37], v[36:37], v[102:103] neg_lo:[0,1] neg_hi:[0,1]
	v_pk_add_f32 v[6:7], v[6:7], v[100:101] neg_lo:[0,1] neg_hi:[0,1]
	s_wait_dscnt 0x0
	v_dual_mul_f32 v100, v97, v89 :: v_dual_mul_f32 v102, v97, v86
	s_delay_alu instid0(VALU_DEP_1) | instskip(NEXT) | instid1(VALU_DEP_2)
	v_pk_fma_f32 v[100:101], v[96:97], v[70:71], v[100:101] op_sel_hi:[1,1,0] neg_lo:[0,0,1] neg_hi:[0,0,1]
	v_pk_fma_f32 v[96:97], v[96:97], v[70:71], v[102:103] op_sel:[1,0,0] op_sel_hi:[0,1,0]
	s_delay_alu instid0(VALU_DEP_1) | instskip(SKIP_1) | instid1(VALU_DEP_2)
	v_mov_b32_e32 v101, v97
	v_pk_mul_f32 v[96:97], v[98:99], v[88:89] op_sel:[0,1]
	v_pk_add_f32 v[32:33], v[32:33], v[100:101] neg_lo:[0,1] neg_hi:[0,1]
	s_delay_alu instid0(VALU_DEP_2) | instskip(SKIP_1) | instid1(VALU_DEP_1)
	v_pk_fma_f32 v[100:101], v[98:99], v[86:87], v[96:97] op_sel:[0,0,1] op_sel_hi:[1,1,0] neg_lo:[0,0,1] neg_hi:[0,0,1]
	v_pk_fma_f32 v[96:97], v[98:99], v[86:87], v[96:97] op_sel:[0,0,1] op_sel_hi:[1,0,0]
	v_mov_b32_e32 v101, v97
	ds_load_2addr_b64 v[96:99], v90 offset0:34 offset1:35
	v_pk_add_f32 v[28:29], v[28:29], v[100:101] neg_lo:[0,1] neg_hi:[0,1]
	s_wait_dscnt 0x0
	v_pk_mul_f32 v[100:101], v[96:97], v[88:89] op_sel:[0,1]
	s_delay_alu instid0(VALU_DEP_1) | instskip(SKIP_1) | instid1(VALU_DEP_1)
	v_pk_fma_f32 v[102:103], v[96:97], v[86:87], v[100:101] op_sel:[0,0,1] op_sel_hi:[1,1,0] neg_lo:[0,0,1] neg_hi:[0,0,1]
	v_pk_fma_f32 v[96:97], v[96:97], v[86:87], v[100:101] op_sel:[0,0,1] op_sel_hi:[1,0,0]
	v_mov_b32_e32 v103, v97
	v_pk_mul_f32 v[96:97], v[98:99], v[88:89] op_sel:[0,1]
	s_delay_alu instid0(VALU_DEP_2) | instskip(NEXT) | instid1(VALU_DEP_2)
	v_pk_add_f32 v[30:31], v[30:31], v[102:103] neg_lo:[0,1] neg_hi:[0,1]
	v_pk_fma_f32 v[100:101], v[98:99], v[86:87], v[96:97] op_sel:[0,0,1] op_sel_hi:[1,1,0] neg_lo:[0,0,1] neg_hi:[0,0,1]
	v_pk_fma_f32 v[96:97], v[98:99], v[86:87], v[96:97] op_sel:[0,0,1] op_sel_hi:[1,0,0]
	s_delay_alu instid0(VALU_DEP_1) | instskip(SKIP_4) | instid1(VALU_DEP_1)
	v_mov_b32_e32 v101, v97
	ds_load_2addr_b64 v[96:99], v90 offset0:36 offset1:37
	v_pk_add_f32 v[8:9], v[8:9], v[100:101] neg_lo:[0,1] neg_hi:[0,1]
	s_wait_dscnt 0x0
	v_pk_mul_f32 v[100:101], v[96:97], v[88:89] op_sel:[0,1]
	v_pk_fma_f32 v[102:103], v[96:97], v[86:87], v[100:101] op_sel:[0,0,1] op_sel_hi:[1,1,0] neg_lo:[0,0,1] neg_hi:[0,0,1]
	v_pk_fma_f32 v[96:97], v[96:97], v[86:87], v[100:101] op_sel:[0,0,1] op_sel_hi:[1,0,0]
	v_dual_mul_f32 v100, v99, v89 :: v_dual_mov_b32 v96, v99
	s_delay_alu instid0(VALU_DEP_2) | instskip(NEXT) | instid1(VALU_DEP_2)
	v_dual_mov_b32 v103, v97 :: v_dual_mov_b32 v97, v98
	v_pk_fma_f32 v[100:101], v[98:99], v[70:71], v[100:101] op_sel_hi:[1,1,0] neg_lo:[0,0,1] neg_hi:[0,0,1]
	v_mul_f32_e32 v98, v99, v86
	s_delay_alu instid0(VALU_DEP_3) | instskip(NEXT) | instid1(VALU_DEP_2)
	v_pk_add_f32 v[26:27], v[26:27], v[102:103] neg_lo:[0,1] neg_hi:[0,1]
	v_pk_fma_f32 v[96:97], v[96:97], v[70:71], v[98:99] op_sel_hi:[1,1,0]
	s_delay_alu instid0(VALU_DEP_1)
	v_mov_b32_e32 v101, v97
	ds_load_2addr_b64 v[96:99], v90 offset0:38 offset1:39
	v_pk_add_f32 v[20:21], v[20:21], v[100:101] neg_lo:[0,1] neg_hi:[0,1]
	s_wait_dscnt 0x0
	v_pk_mul_f32 v[100:101], v[96:97], v[88:89] op_sel:[0,1]
	v_pk_mul_f32 v[88:89], v[98:99], v[88:89] op_sel:[0,1]
	s_delay_alu instid0(VALU_DEP_2) | instskip(SKIP_1) | instid1(VALU_DEP_1)
	v_pk_fma_f32 v[102:103], v[96:97], v[86:87], v[100:101] op_sel:[0,0,1] op_sel_hi:[1,1,0] neg_lo:[0,0,1] neg_hi:[0,0,1]
	v_pk_fma_f32 v[96:97], v[96:97], v[86:87], v[100:101] op_sel:[0,0,1] op_sel_hi:[1,0,0]
	v_mov_b32_e32 v103, v97
	s_delay_alu instid0(VALU_DEP_4) | instskip(SKIP_1) | instid1(VALU_DEP_1)
	v_pk_fma_f32 v[96:97], v[98:99], v[86:87], v[88:89] op_sel:[0,0,1] op_sel_hi:[1,1,0] neg_lo:[0,0,1] neg_hi:[0,0,1]
	v_pk_fma_f32 v[86:87], v[98:99], v[86:87], v[88:89] op_sel:[0,0,1] op_sel_hi:[1,0,0]
	v_mov_b32_e32 v97, v87
	s_delay_alu instid0(VALU_DEP_4) | instskip(NEXT) | instid1(VALU_DEP_2)
	v_pk_add_f32 v[18:19], v[18:19], v[102:103] neg_lo:[0,1] neg_hi:[0,1]
	v_pk_add_f32 v[84:85], v[84:85], v[96:97] neg_lo:[0,1] neg_hi:[0,1]
.LBB78_293:
	s_or_b32 exec_lo, exec_lo, s0
	v_lshl_add_u32 v86, v94, 3, v90
	s_barrier_signal -1
	s_barrier_wait -1
	ds_store_b64 v86, v[72:73]
	s_wait_dscnt 0x0
	s_barrier_signal -1
	s_barrier_wait -1
	ds_load_b64 v[88:89], v90 offset:112
	v_mov_b32_e32 v86, 14
	s_cmp_lt_i32 s18, 16
	s_cbranch_scc1 .LBB78_296
; %bb.294:
	v_add3_u32 v87, v91, 0, 0x78
	v_mov_b32_e32 v86, 14
	s_mov_b32 s0, 15
.LBB78_295:                             ; =>This Inner Loop Header: Depth=1
	ds_load_b64 v[96:97], v87
	s_wait_dscnt 0x1
	v_cmp_gt_f32_e32 vcc_lo, 0, v88
	v_cndmask_b32_e64 v98, v88, -v88, vcc_lo
	v_cmp_gt_f32_e32 vcc_lo, 0, v89
	v_cndmask_b32_e64 v100, v89, -v89, vcc_lo
	s_wait_dscnt 0x0
	v_cmp_gt_f32_e32 vcc_lo, 0, v96
	v_cndmask_b32_e64 v99, v96, -v96, vcc_lo
	v_cmp_gt_f32_e32 vcc_lo, 0, v97
	v_cndmask_b32_e64 v101, v97, -v97, vcc_lo
	s_delay_alu instid0(VALU_DEP_1) | instskip(NEXT) | instid1(VALU_DEP_1)
	v_pk_add_f32 v[98:99], v[98:99], v[100:101]
	v_cmp_lt_f32_e32 vcc_lo, v98, v99
	v_dual_add_nc_u32 v87, 8, v87 :: v_dual_cndmask_b32 v89, v89, v97, vcc_lo
	v_cndmask_b32_e32 v88, v88, v96, vcc_lo
	v_cndmask_b32_e64 v86, v86, s0, vcc_lo
	s_add_co_i32 s0, s0, 1
	s_delay_alu instid0(SALU_CYCLE_1)
	s_cmp_lg_u32 s18, s0
	s_cbranch_scc1 .LBB78_295
.LBB78_296:
	s_wait_dscnt 0x0
	v_cmp_eq_f32_e32 vcc_lo, 0, v88
	v_cmp_eq_f32_e64 s0, 0, v89
	s_and_b32 s0, vcc_lo, s0
	s_delay_alu instid0(SALU_CYCLE_1) | instskip(NEXT) | instid1(SALU_CYCLE_1)
	s_and_saveexec_b32 s1, s0
	s_xor_b32 s0, exec_lo, s1
; %bb.297:
	v_cmp_ne_u32_e32 vcc_lo, 0, v92
	v_cndmask_b32_e32 v92, 15, v92, vcc_lo
; %bb.298:
	s_and_not1_saveexec_b32 s0, s0
	s_cbranch_execz .LBB78_304
; %bb.299:
	v_cmp_ngt_f32_e64 s1, |v88|, |v89|
	s_and_saveexec_b32 s12, s1
	s_delay_alu instid0(SALU_CYCLE_1)
	s_xor_b32 s1, exec_lo, s12
	s_cbranch_execz .LBB78_301
; %bb.300:
	v_div_scale_f32 v87, null, v89, v89, v88
	v_div_scale_f32 v97, vcc_lo, v88, v89, v88
	s_delay_alu instid0(VALU_DEP_2) | instskip(SKIP_1) | instid1(TRANS32_DEP_1)
	v_rcp_f32_e32 v95, v87
	v_nop
	v_fma_f32 v96, -v87, v95, 1.0
	s_delay_alu instid0(VALU_DEP_1) | instskip(NEXT) | instid1(VALU_DEP_1)
	v_fmac_f32_e32 v95, v96, v95
	v_mul_f32_e32 v96, v97, v95
	s_delay_alu instid0(VALU_DEP_1) | instskip(NEXT) | instid1(VALU_DEP_1)
	v_fma_f32 v98, -v87, v96, v97
	v_fmac_f32_e32 v96, v98, v95
	s_delay_alu instid0(VALU_DEP_1) | instskip(NEXT) | instid1(VALU_DEP_1)
	v_fma_f32 v87, -v87, v96, v97
	v_div_fmas_f32 v87, v87, v95, v96
	s_delay_alu instid0(VALU_DEP_1) | instskip(NEXT) | instid1(VALU_DEP_1)
	v_div_fixup_f32 v87, v87, v89, v88
	v_fmac_f32_e32 v89, v88, v87
	s_delay_alu instid0(VALU_DEP_1) | instskip(SKIP_1) | instid1(VALU_DEP_2)
	v_div_scale_f32 v88, null, v89, v89, 1.0
	v_div_scale_f32 v97, vcc_lo, 1.0, v89, 1.0
	v_rcp_f32_e32 v95, v88
	v_nop
	s_delay_alu instid0(TRANS32_DEP_1) | instskip(NEXT) | instid1(VALU_DEP_1)
	v_fma_f32 v96, -v88, v95, 1.0
	v_fmac_f32_e32 v95, v96, v95
	s_delay_alu instid0(VALU_DEP_1) | instskip(NEXT) | instid1(VALU_DEP_1)
	v_mul_f32_e32 v96, v97, v95
	v_fma_f32 v98, -v88, v96, v97
	s_delay_alu instid0(VALU_DEP_1) | instskip(NEXT) | instid1(VALU_DEP_1)
	v_fmac_f32_e32 v96, v98, v95
	v_fma_f32 v88, -v88, v96, v97
	s_delay_alu instid0(VALU_DEP_1) | instskip(NEXT) | instid1(VALU_DEP_1)
	v_div_fmas_f32 v88, v88, v95, v96
	v_div_fixup_f32 v89, v88, v89, 1.0
	s_delay_alu instid0(VALU_DEP_1)
	v_mul_f32_e32 v88, v87, v89
	v_xor_b32_e32 v89, 0x80000000, v89
.LBB78_301:
	s_and_not1_saveexec_b32 s1, s1
	s_cbranch_execz .LBB78_303
; %bb.302:
	s_delay_alu instid0(VALU_DEP_1) | instskip(SKIP_1) | instid1(VALU_DEP_2)
	v_div_scale_f32 v87, null, v88, v88, v89
	v_div_scale_f32 v97, vcc_lo, v89, v88, v89
	v_rcp_f32_e32 v95, v87
	v_nop
	s_delay_alu instid0(TRANS32_DEP_1) | instskip(NEXT) | instid1(VALU_DEP_1)
	v_fma_f32 v96, -v87, v95, 1.0
	v_fmac_f32_e32 v95, v96, v95
	s_delay_alu instid0(VALU_DEP_1) | instskip(NEXT) | instid1(VALU_DEP_1)
	v_mul_f32_e32 v96, v97, v95
	v_fma_f32 v98, -v87, v96, v97
	s_delay_alu instid0(VALU_DEP_1) | instskip(NEXT) | instid1(VALU_DEP_1)
	v_fmac_f32_e32 v96, v98, v95
	v_fma_f32 v87, -v87, v96, v97
	s_delay_alu instid0(VALU_DEP_1) | instskip(NEXT) | instid1(VALU_DEP_1)
	v_div_fmas_f32 v87, v87, v95, v96
	v_div_fixup_f32 v87, v87, v88, v89
	s_delay_alu instid0(VALU_DEP_1) | instskip(NEXT) | instid1(VALU_DEP_1)
	v_fmac_f32_e32 v88, v89, v87
	v_div_scale_f32 v89, null, v88, v88, 1.0
	s_delay_alu instid0(VALU_DEP_1) | instskip(SKIP_1) | instid1(TRANS32_DEP_1)
	v_rcp_f32_e32 v95, v89
	v_nop
	v_fma_f32 v96, -v89, v95, 1.0
	s_delay_alu instid0(VALU_DEP_1) | instskip(SKIP_1) | instid1(VALU_DEP_1)
	v_fmac_f32_e32 v95, v96, v95
	v_div_scale_f32 v96, vcc_lo, 1.0, v88, 1.0
	v_mul_f32_e32 v97, v96, v95
	s_delay_alu instid0(VALU_DEP_1) | instskip(NEXT) | instid1(VALU_DEP_1)
	v_fma_f32 v98, -v89, v97, v96
	v_fmac_f32_e32 v97, v98, v95
	s_delay_alu instid0(VALU_DEP_1) | instskip(NEXT) | instid1(VALU_DEP_1)
	v_fma_f32 v89, -v89, v97, v96
	v_div_fmas_f32 v89, v89, v95, v97
	s_delay_alu instid0(VALU_DEP_1) | instskip(NEXT) | instid1(VALU_DEP_1)
	v_div_fixup_f32 v88, v89, v88, 1.0
	v_mul_f32_e64 v89, v87, -v88
.LBB78_303:
	s_or_b32 exec_lo, exec_lo, s1
.LBB78_304:
	s_delay_alu instid0(SALU_CYCLE_1) | instskip(NEXT) | instid1(SALU_CYCLE_1)
	s_or_b32 exec_lo, exec_lo, s0
	s_mov_b32 s0, exec_lo
	v_cmpx_ne_u32_e64 v94, v86
	s_xor_b32 s0, exec_lo, s0
	s_cbranch_execz .LBB78_310
; %bb.305:
	s_mov_b32 s1, exec_lo
	v_cmpx_eq_u32_e32 14, v94
	s_cbranch_execz .LBB78_309
; %bb.306:
	v_cmp_ne_u32_e32 vcc_lo, 14, v86
	s_xor_b32 s12, s16, -1
	s_delay_alu instid0(SALU_CYCLE_1) | instskip(NEXT) | instid1(SALU_CYCLE_1)
	s_and_b32 s13, s12, vcc_lo
	s_and_saveexec_b32 s12, s13
	s_cbranch_execz .LBB78_308
; %bb.307:
	v_ashrrev_i32_e32 v87, 31, v86
	s_delay_alu instid0(VALU_DEP_1)
	v_lshl_add_u64 v[94:95], v[86:87], 2, v[4:5]
	s_clause 0x1
	global_load_b32 v87, v[94:95], off
	global_load_b32 v93, v[4:5], off offset:56
	s_wait_loadcnt 0x1
	global_store_b32 v[4:5], v87, off offset:56
	s_wait_loadcnt 0x0
	global_store_b32 v[94:95], v93, off
.LBB78_308:
	s_wait_xcnt 0x0
	s_or_b32 exec_lo, exec_lo, s12
	v_dual_mov_b32 v94, v86 :: v_dual_mov_b32 v93, v86
.LBB78_309:
	s_or_b32 exec_lo, exec_lo, s1
.LBB78_310:
	s_and_not1_saveexec_b32 s0, s0
	s_cbranch_execz .LBB78_312
; %bb.311:
	v_mov_b32_e32 v94, 14
	ds_store_2addr_b64 v90, v[24:25], v[68:69] offset0:15 offset1:16
	ds_store_2addr_b64 v90, v[64:65], v[66:67] offset0:17 offset1:18
	;; [unrolled: 1-line block ×12, first 2 shown]
	ds_store_b64 v90, v[84:85] offset:312
.LBB78_312:
	s_or_b32 exec_lo, exec_lo, s0
	s_delay_alu instid0(SALU_CYCLE_1)
	s_mov_b32 s0, exec_lo
	s_wait_storecnt_dscnt 0x0
	s_barrier_signal -1
	s_barrier_wait -1
	v_cmpx_lt_i32_e32 14, v94
	s_cbranch_execz .LBB78_314
; %bb.313:
	v_pk_mul_f32 v[96:97], v[88:89], v[72:73] op_sel:[1,1] op_sel_hi:[0,1]
	s_delay_alu instid0(VALU_DEP_1)
	v_pk_fma_f32 v[86:87], v[88:89], v[72:73], v[96:97] op_sel_hi:[1,0,1] neg_lo:[0,0,1] neg_hi:[0,0,1]
	v_pk_fma_f32 v[88:89], v[88:89], v[72:73], v[96:97] op_sel_hi:[1,0,1]
	ds_load_2addr_b64 v[96:99], v90 offset0:15 offset1:16
	v_dual_mov_b32 v72, v86 :: v_dual_mov_b32 v73, v89
	s_wait_dscnt 0x0
	v_pk_mul_f32 v[100:101], v[96:97], v[88:89] op_sel:[0,1]
	s_delay_alu instid0(VALU_DEP_1) | instskip(SKIP_1) | instid1(VALU_DEP_1)
	v_pk_fma_f32 v[102:103], v[96:97], v[86:87], v[100:101] op_sel:[0,0,1] op_sel_hi:[1,1,0] neg_lo:[0,0,1] neg_hi:[0,0,1]
	v_pk_fma_f32 v[96:97], v[96:97], v[86:87], v[100:101] op_sel:[0,0,1] op_sel_hi:[1,0,0]
	v_mov_b32_e32 v103, v97
	v_pk_mul_f32 v[96:97], v[98:99], v[88:89] op_sel:[0,1]
	s_delay_alu instid0(VALU_DEP_1) | instskip(SKIP_1) | instid1(VALU_DEP_1)
	v_pk_fma_f32 v[100:101], v[98:99], v[86:87], v[96:97] op_sel:[0,0,1] op_sel_hi:[1,1,0] neg_lo:[0,0,1] neg_hi:[0,0,1]
	v_pk_fma_f32 v[96:97], v[98:99], v[86:87], v[96:97] op_sel:[0,0,1] op_sel_hi:[1,0,0]
	v_mov_b32_e32 v101, v97
	ds_load_2addr_b64 v[96:99], v90 offset0:17 offset1:18
	v_pk_add_f32 v[24:25], v[24:25], v[102:103] neg_lo:[0,1] neg_hi:[0,1]
	v_pk_add_f32 v[68:69], v[68:69], v[100:101] neg_lo:[0,1] neg_hi:[0,1]
	s_wait_dscnt 0x0
	v_pk_mul_f32 v[100:101], v[96:97], v[88:89] op_sel:[0,1]
	s_delay_alu instid0(VALU_DEP_1) | instskip(SKIP_2) | instid1(VALU_DEP_2)
	v_pk_fma_f32 v[102:103], v[96:97], v[86:87], v[100:101] op_sel:[0,0,1] op_sel_hi:[1,1,0] neg_lo:[0,0,1] neg_hi:[0,0,1]
	v_pk_fma_f32 v[96:97], v[96:97], v[86:87], v[100:101] op_sel:[0,0,1] op_sel_hi:[1,0,0]
	v_dual_mul_f32 v100, v99, v89 :: v_dual_mov_b32 v96, v99
	v_dual_mov_b32 v103, v97 :: v_dual_mov_b32 v97, v98
	s_delay_alu instid0(VALU_DEP_2) | instskip(SKIP_1) | instid1(VALU_DEP_3)
	v_pk_fma_f32 v[100:101], v[98:99], v[72:73], v[100:101] op_sel_hi:[1,1,0] neg_lo:[0,0,1] neg_hi:[0,0,1]
	v_mul_f32_e32 v98, v99, v86
	v_pk_add_f32 v[64:65], v[64:65], v[102:103] neg_lo:[0,1] neg_hi:[0,1]
	s_delay_alu instid0(VALU_DEP_2) | instskip(NEXT) | instid1(VALU_DEP_1)
	v_pk_fma_f32 v[96:97], v[96:97], v[72:73], v[98:99] op_sel_hi:[1,1,0]
	v_mov_b32_e32 v101, v97
	ds_load_2addr_b64 v[96:99], v90 offset0:19 offset1:20
	v_pk_add_f32 v[66:67], v[66:67], v[100:101] neg_lo:[0,1] neg_hi:[0,1]
	s_wait_dscnt 0x0
	v_pk_mul_f32 v[100:101], v[96:97], v[88:89] op_sel:[0,1]
	s_delay_alu instid0(VALU_DEP_1) | instskip(SKIP_1) | instid1(VALU_DEP_1)
	v_pk_fma_f32 v[102:103], v[96:97], v[86:87], v[100:101] op_sel:[0,0,1] op_sel_hi:[1,1,0] neg_lo:[0,0,1] neg_hi:[0,0,1]
	v_pk_fma_f32 v[96:97], v[96:97], v[86:87], v[100:101] op_sel:[0,0,1] op_sel_hi:[1,0,0]
	v_mov_b32_e32 v103, v97
	v_pk_mul_f32 v[96:97], v[98:99], v[88:89] op_sel:[0,1]
	s_delay_alu instid0(VALU_DEP_1) | instskip(SKIP_1) | instid1(VALU_DEP_1)
	v_pk_fma_f32 v[100:101], v[98:99], v[86:87], v[96:97] op_sel:[0,0,1] op_sel_hi:[1,1,0] neg_lo:[0,0,1] neg_hi:[0,0,1]
	v_pk_fma_f32 v[96:97], v[98:99], v[86:87], v[96:97] op_sel:[0,0,1] op_sel_hi:[1,0,0]
	v_mov_b32_e32 v101, v97
	ds_load_2addr_b64 v[96:99], v90 offset0:21 offset1:22
	v_pk_add_f32 v[22:23], v[22:23], v[102:103] neg_lo:[0,1] neg_hi:[0,1]
	v_pk_add_f32 v[62:63], v[62:63], v[100:101] neg_lo:[0,1] neg_hi:[0,1]
	s_wait_dscnt 0x0
	v_pk_mul_f32 v[100:101], v[96:97], v[88:89] op_sel:[0,1]
	s_delay_alu instid0(VALU_DEP_1) | instskip(SKIP_1) | instid1(VALU_DEP_1)
	v_pk_fma_f32 v[102:103], v[96:97], v[86:87], v[100:101] op_sel:[0,0,1] op_sel_hi:[1,1,0] neg_lo:[0,0,1] neg_hi:[0,0,1]
	v_pk_fma_f32 v[96:97], v[96:97], v[86:87], v[100:101] op_sel:[0,0,1] op_sel_hi:[1,0,0]
	v_mov_b32_e32 v103, v97
	v_pk_mul_f32 v[96:97], v[98:99], v[88:89] op_sel:[0,1]
	s_delay_alu instid0(VALU_DEP_1) | instskip(SKIP_1) | instid1(VALU_DEP_1)
	v_pk_fma_f32 v[100:101], v[98:99], v[86:87], v[96:97] op_sel:[0,0,1] op_sel_hi:[1,1,0] neg_lo:[0,0,1] neg_hi:[0,0,1]
	v_pk_fma_f32 v[96:97], v[98:99], v[86:87], v[96:97] op_sel:[0,0,1] op_sel_hi:[1,0,0]
	v_mov_b32_e32 v101, v97
	ds_load_2addr_b64 v[96:99], v90 offset0:23 offset1:24
	v_pk_add_f32 v[58:59], v[58:59], v[102:103] neg_lo:[0,1] neg_hi:[0,1]
	v_pk_add_f32 v[60:61], v[60:61], v[100:101] neg_lo:[0,1] neg_hi:[0,1]
	s_wait_dscnt 0x0
	v_dual_mul_f32 v100, v97, v89 :: v_dual_mul_f32 v102, v97, v86
	s_delay_alu instid0(VALU_DEP_1) | instskip(NEXT) | instid1(VALU_DEP_2)
	v_pk_fma_f32 v[100:101], v[96:97], v[72:73], v[100:101] op_sel_hi:[1,1,0] neg_lo:[0,0,1] neg_hi:[0,0,1]
	v_pk_fma_f32 v[96:97], v[96:97], v[72:73], v[102:103] op_sel:[1,0,0] op_sel_hi:[0,1,0]
	s_delay_alu instid0(VALU_DEP_1) | instskip(SKIP_1) | instid1(VALU_DEP_2)
	v_mov_b32_e32 v101, v97
	v_pk_mul_f32 v[96:97], v[98:99], v[88:89] op_sel:[0,1]
	v_pk_add_f32 v[16:17], v[16:17], v[100:101] neg_lo:[0,1] neg_hi:[0,1]
	s_delay_alu instid0(VALU_DEP_2) | instskip(SKIP_1) | instid1(VALU_DEP_1)
	v_pk_fma_f32 v[100:101], v[98:99], v[86:87], v[96:97] op_sel:[0,0,1] op_sel_hi:[1,1,0] neg_lo:[0,0,1] neg_hi:[0,0,1]
	v_pk_fma_f32 v[96:97], v[98:99], v[86:87], v[96:97] op_sel:[0,0,1] op_sel_hi:[1,0,0]
	v_mov_b32_e32 v101, v97
	ds_load_2addr_b64 v[96:99], v90 offset0:25 offset1:26
	v_pk_add_f32 v[56:57], v[56:57], v[100:101] neg_lo:[0,1] neg_hi:[0,1]
	s_wait_dscnt 0x0
	v_pk_mul_f32 v[100:101], v[96:97], v[88:89] op_sel:[0,1]
	s_delay_alu instid0(VALU_DEP_1) | instskip(SKIP_1) | instid1(VALU_DEP_1)
	v_pk_fma_f32 v[102:103], v[96:97], v[86:87], v[100:101] op_sel:[0,0,1] op_sel_hi:[1,1,0] neg_lo:[0,0,1] neg_hi:[0,0,1]
	v_pk_fma_f32 v[96:97], v[96:97], v[86:87], v[100:101] op_sel:[0,0,1] op_sel_hi:[1,0,0]
	v_mov_b32_e32 v103, v97
	v_pk_mul_f32 v[96:97], v[98:99], v[88:89] op_sel:[0,1]
	s_delay_alu instid0(VALU_DEP_2) | instskip(NEXT) | instid1(VALU_DEP_2)
	v_pk_add_f32 v[52:53], v[52:53], v[102:103] neg_lo:[0,1] neg_hi:[0,1]
	v_pk_fma_f32 v[100:101], v[98:99], v[86:87], v[96:97] op_sel:[0,0,1] op_sel_hi:[1,1,0] neg_lo:[0,0,1] neg_hi:[0,0,1]
	v_pk_fma_f32 v[96:97], v[98:99], v[86:87], v[96:97] op_sel:[0,0,1] op_sel_hi:[1,0,0]
	s_delay_alu instid0(VALU_DEP_1) | instskip(SKIP_4) | instid1(VALU_DEP_1)
	v_mov_b32_e32 v101, v97
	ds_load_2addr_b64 v[96:99], v90 offset0:27 offset1:28
	v_pk_add_f32 v[54:55], v[54:55], v[100:101] neg_lo:[0,1] neg_hi:[0,1]
	s_wait_dscnt 0x0
	v_pk_mul_f32 v[100:101], v[96:97], v[88:89] op_sel:[0,1]
	v_pk_fma_f32 v[102:103], v[96:97], v[86:87], v[100:101] op_sel:[0,0,1] op_sel_hi:[1,1,0] neg_lo:[0,0,1] neg_hi:[0,0,1]
	v_pk_fma_f32 v[96:97], v[96:97], v[86:87], v[100:101] op_sel:[0,0,1] op_sel_hi:[1,0,0]
	v_dual_mul_f32 v100, v99, v89 :: v_dual_mov_b32 v96, v99
	s_delay_alu instid0(VALU_DEP_2) | instskip(NEXT) | instid1(VALU_DEP_2)
	v_dual_mov_b32 v103, v97 :: v_dual_mov_b32 v97, v98
	v_pk_fma_f32 v[100:101], v[98:99], v[72:73], v[100:101] op_sel_hi:[1,1,0] neg_lo:[0,0,1] neg_hi:[0,0,1]
	v_mul_f32_e32 v98, v99, v86
	s_delay_alu instid0(VALU_DEP_3) | instskip(NEXT) | instid1(VALU_DEP_2)
	v_pk_add_f32 v[14:15], v[14:15], v[102:103] neg_lo:[0,1] neg_hi:[0,1]
	v_pk_fma_f32 v[96:97], v[96:97], v[72:73], v[98:99] op_sel_hi:[1,1,0]
	s_delay_alu instid0(VALU_DEP_1) | instskip(SKIP_4) | instid1(VALU_DEP_1)
	v_mov_b32_e32 v101, v97
	ds_load_2addr_b64 v[96:99], v90 offset0:29 offset1:30
	v_pk_add_f32 v[38:39], v[38:39], v[100:101] neg_lo:[0,1] neg_hi:[0,1]
	s_wait_dscnt 0x0
	v_pk_mul_f32 v[100:101], v[96:97], v[88:89] op_sel:[0,1]
	v_pk_fma_f32 v[102:103], v[96:97], v[86:87], v[100:101] op_sel:[0,0,1] op_sel_hi:[1,1,0] neg_lo:[0,0,1] neg_hi:[0,0,1]
	v_pk_fma_f32 v[96:97], v[96:97], v[86:87], v[100:101] op_sel:[0,0,1] op_sel_hi:[1,0,0]
	s_delay_alu instid0(VALU_DEP_1) | instskip(SKIP_1) | instid1(VALU_DEP_1)
	v_mov_b32_e32 v103, v97
	v_pk_mul_f32 v[96:97], v[98:99], v[88:89] op_sel:[0,1]
	v_pk_fma_f32 v[100:101], v[98:99], v[86:87], v[96:97] op_sel:[0,0,1] op_sel_hi:[1,1,0] neg_lo:[0,0,1] neg_hi:[0,0,1]
	v_pk_fma_f32 v[96:97], v[98:99], v[86:87], v[96:97] op_sel:[0,0,1] op_sel_hi:[1,0,0]
	s_delay_alu instid0(VALU_DEP_1)
	v_mov_b32_e32 v101, v97
	ds_load_2addr_b64 v[96:99], v90 offset0:31 offset1:32
	v_pk_add_f32 v[34:35], v[34:35], v[102:103] neg_lo:[0,1] neg_hi:[0,1]
	v_pk_add_f32 v[36:37], v[36:37], v[100:101] neg_lo:[0,1] neg_hi:[0,1]
	s_wait_dscnt 0x0
	v_pk_mul_f32 v[100:101], v[96:97], v[88:89] op_sel:[0,1]
	s_delay_alu instid0(VALU_DEP_1) | instskip(SKIP_1) | instid1(VALU_DEP_1)
	v_pk_fma_f32 v[102:103], v[96:97], v[86:87], v[100:101] op_sel:[0,0,1] op_sel_hi:[1,1,0] neg_lo:[0,0,1] neg_hi:[0,0,1]
	v_pk_fma_f32 v[96:97], v[96:97], v[86:87], v[100:101] op_sel:[0,0,1] op_sel_hi:[1,0,0]
	v_mov_b32_e32 v103, v97
	v_pk_mul_f32 v[96:97], v[98:99], v[88:89] op_sel:[0,1]
	s_delay_alu instid0(VALU_DEP_1) | instskip(SKIP_1) | instid1(VALU_DEP_1)
	v_pk_fma_f32 v[100:101], v[98:99], v[86:87], v[96:97] op_sel:[0,0,1] op_sel_hi:[1,1,0] neg_lo:[0,0,1] neg_hi:[0,0,1]
	v_pk_fma_f32 v[96:97], v[98:99], v[86:87], v[96:97] op_sel:[0,0,1] op_sel_hi:[1,0,0]
	v_mov_b32_e32 v101, v97
	ds_load_2addr_b64 v[96:99], v90 offset0:33 offset1:34
	v_pk_add_f32 v[6:7], v[6:7], v[102:103] neg_lo:[0,1] neg_hi:[0,1]
	v_pk_add_f32 v[32:33], v[32:33], v[100:101] neg_lo:[0,1] neg_hi:[0,1]
	s_wait_dscnt 0x0
	v_dual_mul_f32 v100, v97, v89 :: v_dual_mul_f32 v102, v97, v86
	s_delay_alu instid0(VALU_DEP_1) | instskip(NEXT) | instid1(VALU_DEP_2)
	v_pk_fma_f32 v[100:101], v[96:97], v[72:73], v[100:101] op_sel_hi:[1,1,0] neg_lo:[0,0,1] neg_hi:[0,0,1]
	v_pk_fma_f32 v[96:97], v[96:97], v[72:73], v[102:103] op_sel:[1,0,0] op_sel_hi:[0,1,0]
	s_delay_alu instid0(VALU_DEP_1) | instskip(SKIP_1) | instid1(VALU_DEP_2)
	v_mov_b32_e32 v101, v97
	v_pk_mul_f32 v[96:97], v[98:99], v[88:89] op_sel:[0,1]
	v_pk_add_f32 v[28:29], v[28:29], v[100:101] neg_lo:[0,1] neg_hi:[0,1]
	s_delay_alu instid0(VALU_DEP_2) | instskip(SKIP_1) | instid1(VALU_DEP_1)
	v_pk_fma_f32 v[100:101], v[98:99], v[86:87], v[96:97] op_sel:[0,0,1] op_sel_hi:[1,1,0] neg_lo:[0,0,1] neg_hi:[0,0,1]
	v_pk_fma_f32 v[96:97], v[98:99], v[86:87], v[96:97] op_sel:[0,0,1] op_sel_hi:[1,0,0]
	v_mov_b32_e32 v101, v97
	ds_load_2addr_b64 v[96:99], v90 offset0:35 offset1:36
	v_pk_add_f32 v[30:31], v[30:31], v[100:101] neg_lo:[0,1] neg_hi:[0,1]
	s_wait_dscnt 0x0
	v_pk_mul_f32 v[100:101], v[96:97], v[88:89] op_sel:[0,1]
	s_delay_alu instid0(VALU_DEP_1) | instskip(SKIP_1) | instid1(VALU_DEP_1)
	v_pk_fma_f32 v[102:103], v[96:97], v[86:87], v[100:101] op_sel:[0,0,1] op_sel_hi:[1,1,0] neg_lo:[0,0,1] neg_hi:[0,0,1]
	v_pk_fma_f32 v[96:97], v[96:97], v[86:87], v[100:101] op_sel:[0,0,1] op_sel_hi:[1,0,0]
	v_mov_b32_e32 v103, v97
	v_pk_mul_f32 v[96:97], v[98:99], v[88:89] op_sel:[0,1]
	s_delay_alu instid0(VALU_DEP_2) | instskip(NEXT) | instid1(VALU_DEP_2)
	v_pk_add_f32 v[8:9], v[8:9], v[102:103] neg_lo:[0,1] neg_hi:[0,1]
	v_pk_fma_f32 v[100:101], v[98:99], v[86:87], v[96:97] op_sel:[0,0,1] op_sel_hi:[1,1,0] neg_lo:[0,0,1] neg_hi:[0,0,1]
	v_pk_fma_f32 v[96:97], v[98:99], v[86:87], v[96:97] op_sel:[0,0,1] op_sel_hi:[1,0,0]
	s_delay_alu instid0(VALU_DEP_1) | instskip(SKIP_4) | instid1(VALU_DEP_1)
	v_mov_b32_e32 v101, v97
	ds_load_2addr_b64 v[96:99], v90 offset0:37 offset1:38
	v_pk_add_f32 v[26:27], v[26:27], v[100:101] neg_lo:[0,1] neg_hi:[0,1]
	s_wait_dscnt 0x0
	v_pk_mul_f32 v[100:101], v[96:97], v[88:89] op_sel:[0,1]
	v_pk_fma_f32 v[102:103], v[96:97], v[86:87], v[100:101] op_sel:[0,0,1] op_sel_hi:[1,1,0] neg_lo:[0,0,1] neg_hi:[0,0,1]
	v_pk_fma_f32 v[96:97], v[96:97], v[86:87], v[100:101] op_sel:[0,0,1] op_sel_hi:[1,0,0]
	v_dual_mul_f32 v100, v99, v89 :: v_dual_mov_b32 v96, v99
	s_delay_alu instid0(VALU_DEP_2) | instskip(NEXT) | instid1(VALU_DEP_2)
	v_dual_mov_b32 v103, v97 :: v_dual_mov_b32 v97, v98
	v_pk_fma_f32 v[100:101], v[98:99], v[72:73], v[100:101] op_sel_hi:[1,1,0] neg_lo:[0,0,1] neg_hi:[0,0,1]
	v_mul_f32_e32 v98, v99, v86
	s_delay_alu instid0(VALU_DEP_3) | instskip(NEXT) | instid1(VALU_DEP_2)
	v_pk_add_f32 v[20:21], v[20:21], v[102:103] neg_lo:[0,1] neg_hi:[0,1]
	v_pk_fma_f32 v[96:97], v[96:97], v[72:73], v[98:99] op_sel_hi:[1,1,0]
	s_delay_alu instid0(VALU_DEP_1) | instskip(SKIP_4) | instid1(VALU_DEP_1)
	v_mov_b32_e32 v101, v97
	ds_load_b64 v[96:97], v90 offset:312
	v_pk_add_f32 v[18:19], v[18:19], v[100:101] neg_lo:[0,1] neg_hi:[0,1]
	s_wait_dscnt 0x0
	v_pk_mul_f32 v[88:89], v[96:97], v[88:89] op_sel:[0,1]
	v_pk_fma_f32 v[98:99], v[96:97], v[86:87], v[88:89] op_sel:[0,0,1] op_sel_hi:[1,1,0] neg_lo:[0,0,1] neg_hi:[0,0,1]
	v_pk_fma_f32 v[86:87], v[96:97], v[86:87], v[88:89] op_sel:[0,0,1] op_sel_hi:[1,0,0]
	s_delay_alu instid0(VALU_DEP_1) | instskip(NEXT) | instid1(VALU_DEP_1)
	v_mov_b32_e32 v99, v87
	v_pk_add_f32 v[84:85], v[84:85], v[98:99] neg_lo:[0,1] neg_hi:[0,1]
.LBB78_314:
	s_or_b32 exec_lo, exec_lo, s0
	v_lshl_add_u32 v86, v94, 3, v90
	s_barrier_signal -1
	s_barrier_wait -1
	ds_store_b64 v86, v[24:25]
	s_wait_dscnt 0x0
	s_barrier_signal -1
	s_barrier_wait -1
	ds_load_b64 v[88:89], v90 offset:120
	v_mov_b32_e32 v86, 15
	s_cmp_lt_i32 s18, 17
	s_cbranch_scc1 .LBB78_317
; %bb.315:
	v_add3_u32 v87, v91, 0, 0x80
	v_mov_b32_e32 v86, 15
	s_mov_b32 s0, 16
.LBB78_316:                             ; =>This Inner Loop Header: Depth=1
	ds_load_b64 v[96:97], v87
	s_wait_dscnt 0x1
	v_cmp_gt_f32_e32 vcc_lo, 0, v88
	v_cndmask_b32_e64 v98, v88, -v88, vcc_lo
	v_cmp_gt_f32_e32 vcc_lo, 0, v89
	v_cndmask_b32_e64 v100, v89, -v89, vcc_lo
	s_wait_dscnt 0x0
	v_cmp_gt_f32_e32 vcc_lo, 0, v96
	v_cndmask_b32_e64 v99, v96, -v96, vcc_lo
	v_cmp_gt_f32_e32 vcc_lo, 0, v97
	v_cndmask_b32_e64 v101, v97, -v97, vcc_lo
	s_delay_alu instid0(VALU_DEP_1) | instskip(NEXT) | instid1(VALU_DEP_1)
	v_pk_add_f32 v[98:99], v[98:99], v[100:101]
	v_cmp_lt_f32_e32 vcc_lo, v98, v99
	v_dual_add_nc_u32 v87, 8, v87 :: v_dual_cndmask_b32 v89, v89, v97, vcc_lo
	v_cndmask_b32_e32 v88, v88, v96, vcc_lo
	v_cndmask_b32_e64 v86, v86, s0, vcc_lo
	s_add_co_i32 s0, s0, 1
	s_delay_alu instid0(SALU_CYCLE_1)
	s_cmp_lg_u32 s18, s0
	s_cbranch_scc1 .LBB78_316
.LBB78_317:
	s_wait_dscnt 0x0
	v_cmp_eq_f32_e32 vcc_lo, 0, v88
	v_cmp_eq_f32_e64 s0, 0, v89
	s_and_b32 s0, vcc_lo, s0
	s_delay_alu instid0(SALU_CYCLE_1) | instskip(NEXT) | instid1(SALU_CYCLE_1)
	s_and_saveexec_b32 s1, s0
	s_xor_b32 s0, exec_lo, s1
; %bb.318:
	v_cmp_ne_u32_e32 vcc_lo, 0, v92
	v_cndmask_b32_e32 v92, 16, v92, vcc_lo
; %bb.319:
	s_and_not1_saveexec_b32 s0, s0
	s_cbranch_execz .LBB78_325
; %bb.320:
	v_cmp_ngt_f32_e64 s1, |v88|, |v89|
	s_and_saveexec_b32 s12, s1
	s_delay_alu instid0(SALU_CYCLE_1)
	s_xor_b32 s1, exec_lo, s12
	s_cbranch_execz .LBB78_322
; %bb.321:
	v_div_scale_f32 v87, null, v89, v89, v88
	v_div_scale_f32 v97, vcc_lo, v88, v89, v88
	s_delay_alu instid0(VALU_DEP_2) | instskip(SKIP_1) | instid1(TRANS32_DEP_1)
	v_rcp_f32_e32 v95, v87
	v_nop
	v_fma_f32 v96, -v87, v95, 1.0
	s_delay_alu instid0(VALU_DEP_1) | instskip(NEXT) | instid1(VALU_DEP_1)
	v_fmac_f32_e32 v95, v96, v95
	v_mul_f32_e32 v96, v97, v95
	s_delay_alu instid0(VALU_DEP_1) | instskip(NEXT) | instid1(VALU_DEP_1)
	v_fma_f32 v98, -v87, v96, v97
	v_fmac_f32_e32 v96, v98, v95
	s_delay_alu instid0(VALU_DEP_1) | instskip(NEXT) | instid1(VALU_DEP_1)
	v_fma_f32 v87, -v87, v96, v97
	v_div_fmas_f32 v87, v87, v95, v96
	s_delay_alu instid0(VALU_DEP_1) | instskip(NEXT) | instid1(VALU_DEP_1)
	v_div_fixup_f32 v87, v87, v89, v88
	v_fmac_f32_e32 v89, v88, v87
	s_delay_alu instid0(VALU_DEP_1) | instskip(SKIP_1) | instid1(VALU_DEP_2)
	v_div_scale_f32 v88, null, v89, v89, 1.0
	v_div_scale_f32 v97, vcc_lo, 1.0, v89, 1.0
	v_rcp_f32_e32 v95, v88
	v_nop
	s_delay_alu instid0(TRANS32_DEP_1) | instskip(NEXT) | instid1(VALU_DEP_1)
	v_fma_f32 v96, -v88, v95, 1.0
	v_fmac_f32_e32 v95, v96, v95
	s_delay_alu instid0(VALU_DEP_1) | instskip(NEXT) | instid1(VALU_DEP_1)
	v_mul_f32_e32 v96, v97, v95
	v_fma_f32 v98, -v88, v96, v97
	s_delay_alu instid0(VALU_DEP_1) | instskip(NEXT) | instid1(VALU_DEP_1)
	v_fmac_f32_e32 v96, v98, v95
	v_fma_f32 v88, -v88, v96, v97
	s_delay_alu instid0(VALU_DEP_1) | instskip(NEXT) | instid1(VALU_DEP_1)
	v_div_fmas_f32 v88, v88, v95, v96
	v_div_fixup_f32 v89, v88, v89, 1.0
	s_delay_alu instid0(VALU_DEP_1)
	v_mul_f32_e32 v88, v87, v89
	v_xor_b32_e32 v89, 0x80000000, v89
.LBB78_322:
	s_and_not1_saveexec_b32 s1, s1
	s_cbranch_execz .LBB78_324
; %bb.323:
	s_delay_alu instid0(VALU_DEP_1) | instskip(SKIP_1) | instid1(VALU_DEP_2)
	v_div_scale_f32 v87, null, v88, v88, v89
	v_div_scale_f32 v97, vcc_lo, v89, v88, v89
	v_rcp_f32_e32 v95, v87
	v_nop
	s_delay_alu instid0(TRANS32_DEP_1) | instskip(NEXT) | instid1(VALU_DEP_1)
	v_fma_f32 v96, -v87, v95, 1.0
	v_fmac_f32_e32 v95, v96, v95
	s_delay_alu instid0(VALU_DEP_1) | instskip(NEXT) | instid1(VALU_DEP_1)
	v_mul_f32_e32 v96, v97, v95
	v_fma_f32 v98, -v87, v96, v97
	s_delay_alu instid0(VALU_DEP_1) | instskip(NEXT) | instid1(VALU_DEP_1)
	v_fmac_f32_e32 v96, v98, v95
	v_fma_f32 v87, -v87, v96, v97
	s_delay_alu instid0(VALU_DEP_1) | instskip(NEXT) | instid1(VALU_DEP_1)
	v_div_fmas_f32 v87, v87, v95, v96
	v_div_fixup_f32 v87, v87, v88, v89
	s_delay_alu instid0(VALU_DEP_1) | instskip(NEXT) | instid1(VALU_DEP_1)
	v_fmac_f32_e32 v88, v89, v87
	v_div_scale_f32 v89, null, v88, v88, 1.0
	s_delay_alu instid0(VALU_DEP_1) | instskip(SKIP_1) | instid1(TRANS32_DEP_1)
	v_rcp_f32_e32 v95, v89
	v_nop
	v_fma_f32 v96, -v89, v95, 1.0
	s_delay_alu instid0(VALU_DEP_1) | instskip(SKIP_1) | instid1(VALU_DEP_1)
	v_fmac_f32_e32 v95, v96, v95
	v_div_scale_f32 v96, vcc_lo, 1.0, v88, 1.0
	v_mul_f32_e32 v97, v96, v95
	s_delay_alu instid0(VALU_DEP_1) | instskip(NEXT) | instid1(VALU_DEP_1)
	v_fma_f32 v98, -v89, v97, v96
	v_fmac_f32_e32 v97, v98, v95
	s_delay_alu instid0(VALU_DEP_1) | instskip(NEXT) | instid1(VALU_DEP_1)
	v_fma_f32 v89, -v89, v97, v96
	v_div_fmas_f32 v89, v89, v95, v97
	s_delay_alu instid0(VALU_DEP_1) | instskip(NEXT) | instid1(VALU_DEP_1)
	v_div_fixup_f32 v88, v89, v88, 1.0
	v_mul_f32_e64 v89, v87, -v88
.LBB78_324:
	s_or_b32 exec_lo, exec_lo, s1
.LBB78_325:
	s_delay_alu instid0(SALU_CYCLE_1) | instskip(NEXT) | instid1(SALU_CYCLE_1)
	s_or_b32 exec_lo, exec_lo, s0
	s_mov_b32 s0, exec_lo
	v_cmpx_ne_u32_e64 v94, v86
	s_xor_b32 s0, exec_lo, s0
	s_cbranch_execz .LBB78_331
; %bb.326:
	s_mov_b32 s1, exec_lo
	v_cmpx_eq_u32_e32 15, v94
	s_cbranch_execz .LBB78_330
; %bb.327:
	v_cmp_ne_u32_e32 vcc_lo, 15, v86
	s_xor_b32 s12, s16, -1
	s_delay_alu instid0(SALU_CYCLE_1) | instskip(NEXT) | instid1(SALU_CYCLE_1)
	s_and_b32 s13, s12, vcc_lo
	s_and_saveexec_b32 s12, s13
	s_cbranch_execz .LBB78_329
; %bb.328:
	v_ashrrev_i32_e32 v87, 31, v86
	s_delay_alu instid0(VALU_DEP_1)
	v_lshl_add_u64 v[94:95], v[86:87], 2, v[4:5]
	s_clause 0x1
	global_load_b32 v87, v[94:95], off
	global_load_b32 v93, v[4:5], off offset:60
	s_wait_loadcnt 0x1
	global_store_b32 v[4:5], v87, off offset:60
	s_wait_loadcnt 0x0
	global_store_b32 v[94:95], v93, off
.LBB78_329:
	s_wait_xcnt 0x0
	s_or_b32 exec_lo, exec_lo, s12
	v_dual_mov_b32 v94, v86 :: v_dual_mov_b32 v93, v86
.LBB78_330:
	s_or_b32 exec_lo, exec_lo, s1
.LBB78_331:
	s_and_not1_saveexec_b32 s0, s0
	s_cbranch_execz .LBB78_333
; %bb.332:
	v_dual_mov_b32 v86, v68 :: v_dual_mov_b32 v87, v69
	v_dual_mov_b32 v94, v64 :: v_dual_mov_b32 v95, v65
	ds_store_2addr_b64 v90, v[86:87], v[94:95] offset0:16 offset1:17
	v_dual_mov_b32 v86, v66 :: v_dual_mov_b32 v87, v67
	v_dual_mov_b32 v94, v22 :: v_dual_mov_b32 v95, v23
	ds_store_2addr_b64 v90, v[86:87], v[94:95] offset0:18 offset1:19
	;; [unrolled: 3-line block ×11, first 2 shown]
	v_dual_mov_b32 v86, v18 :: v_dual_mov_b32 v87, v19
	v_mov_b32_e32 v94, 15
	ds_store_2addr_b64 v90, v[86:87], v[84:85] offset0:38 offset1:39
.LBB78_333:
	s_or_b32 exec_lo, exec_lo, s0
	s_delay_alu instid0(SALU_CYCLE_1)
	s_mov_b32 s0, exec_lo
	s_wait_storecnt_dscnt 0x0
	s_barrier_signal -1
	s_barrier_wait -1
	v_cmpx_lt_i32_e32 15, v94
	s_cbranch_execz .LBB78_335
; %bb.334:
	v_pk_mul_f32 v[96:97], v[88:89], v[24:25] op_sel:[1,1] op_sel_hi:[0,1]
	s_delay_alu instid0(VALU_DEP_1)
	v_pk_fma_f32 v[86:87], v[88:89], v[24:25], v[96:97] op_sel_hi:[1,0,1] neg_lo:[0,0,1] neg_hi:[0,0,1]
	v_pk_fma_f32 v[88:89], v[88:89], v[24:25], v[96:97] op_sel_hi:[1,0,1]
	ds_load_2addr_b64 v[96:99], v90 offset0:16 offset1:17
	v_dual_mov_b32 v24, v86 :: v_dual_mov_b32 v25, v89
	s_wait_dscnt 0x0
	v_pk_mul_f32 v[100:101], v[96:97], v[88:89] op_sel:[0,1]
	s_delay_alu instid0(VALU_DEP_1) | instskip(SKIP_1) | instid1(VALU_DEP_1)
	v_pk_fma_f32 v[102:103], v[96:97], v[86:87], v[100:101] op_sel:[0,0,1] op_sel_hi:[1,1,0] neg_lo:[0,0,1] neg_hi:[0,0,1]
	v_pk_fma_f32 v[96:97], v[96:97], v[86:87], v[100:101] op_sel:[0,0,1] op_sel_hi:[1,0,0]
	v_mov_b32_e32 v103, v97
	v_pk_mul_f32 v[96:97], v[98:99], v[88:89] op_sel:[0,1]
	s_delay_alu instid0(VALU_DEP_1) | instskip(SKIP_1) | instid1(VALU_DEP_1)
	v_pk_fma_f32 v[100:101], v[98:99], v[86:87], v[96:97] op_sel:[0,0,1] op_sel_hi:[1,1,0] neg_lo:[0,0,1] neg_hi:[0,0,1]
	v_pk_fma_f32 v[96:97], v[98:99], v[86:87], v[96:97] op_sel:[0,0,1] op_sel_hi:[1,0,0]
	v_mov_b32_e32 v101, v97
	ds_load_2addr_b64 v[96:99], v90 offset0:18 offset1:19
	v_pk_add_f32 v[68:69], v[68:69], v[102:103] neg_lo:[0,1] neg_hi:[0,1]
	v_pk_add_f32 v[64:65], v[64:65], v[100:101] neg_lo:[0,1] neg_hi:[0,1]
	s_wait_dscnt 0x0
	v_pk_mul_f32 v[100:101], v[96:97], v[88:89] op_sel:[0,1]
	s_delay_alu instid0(VALU_DEP_1) | instskip(SKIP_2) | instid1(VALU_DEP_2)
	v_pk_fma_f32 v[102:103], v[96:97], v[86:87], v[100:101] op_sel:[0,0,1] op_sel_hi:[1,1,0] neg_lo:[0,0,1] neg_hi:[0,0,1]
	v_pk_fma_f32 v[96:97], v[96:97], v[86:87], v[100:101] op_sel:[0,0,1] op_sel_hi:[1,0,0]
	v_dual_mul_f32 v100, v99, v89 :: v_dual_mov_b32 v96, v99
	v_dual_mov_b32 v103, v97 :: v_dual_mov_b32 v97, v98
	s_delay_alu instid0(VALU_DEP_2) | instskip(SKIP_1) | instid1(VALU_DEP_3)
	v_pk_fma_f32 v[100:101], v[98:99], v[24:25], v[100:101] op_sel_hi:[1,1,0] neg_lo:[0,0,1] neg_hi:[0,0,1]
	v_mul_f32_e32 v98, v99, v86
	v_pk_add_f32 v[66:67], v[66:67], v[102:103] neg_lo:[0,1] neg_hi:[0,1]
	s_delay_alu instid0(VALU_DEP_2) | instskip(NEXT) | instid1(VALU_DEP_1)
	v_pk_fma_f32 v[96:97], v[96:97], v[24:25], v[98:99] op_sel_hi:[1,1,0]
	v_mov_b32_e32 v101, v97
	ds_load_2addr_b64 v[96:99], v90 offset0:20 offset1:21
	v_pk_add_f32 v[22:23], v[22:23], v[100:101] neg_lo:[0,1] neg_hi:[0,1]
	s_wait_dscnt 0x0
	v_pk_mul_f32 v[100:101], v[96:97], v[88:89] op_sel:[0,1]
	s_delay_alu instid0(VALU_DEP_1) | instskip(SKIP_1) | instid1(VALU_DEP_1)
	v_pk_fma_f32 v[102:103], v[96:97], v[86:87], v[100:101] op_sel:[0,0,1] op_sel_hi:[1,1,0] neg_lo:[0,0,1] neg_hi:[0,0,1]
	v_pk_fma_f32 v[96:97], v[96:97], v[86:87], v[100:101] op_sel:[0,0,1] op_sel_hi:[1,0,0]
	v_mov_b32_e32 v103, v97
	v_pk_mul_f32 v[96:97], v[98:99], v[88:89] op_sel:[0,1]
	s_delay_alu instid0(VALU_DEP_1) | instskip(SKIP_1) | instid1(VALU_DEP_1)
	v_pk_fma_f32 v[100:101], v[98:99], v[86:87], v[96:97] op_sel:[0,0,1] op_sel_hi:[1,1,0] neg_lo:[0,0,1] neg_hi:[0,0,1]
	v_pk_fma_f32 v[96:97], v[98:99], v[86:87], v[96:97] op_sel:[0,0,1] op_sel_hi:[1,0,0]
	v_mov_b32_e32 v101, v97
	ds_load_2addr_b64 v[96:99], v90 offset0:22 offset1:23
	v_pk_add_f32 v[62:63], v[62:63], v[102:103] neg_lo:[0,1] neg_hi:[0,1]
	v_pk_add_f32 v[58:59], v[58:59], v[100:101] neg_lo:[0,1] neg_hi:[0,1]
	s_wait_dscnt 0x0
	v_pk_mul_f32 v[100:101], v[96:97], v[88:89] op_sel:[0,1]
	s_delay_alu instid0(VALU_DEP_1) | instskip(SKIP_1) | instid1(VALU_DEP_1)
	v_pk_fma_f32 v[102:103], v[96:97], v[86:87], v[100:101] op_sel:[0,0,1] op_sel_hi:[1,1,0] neg_lo:[0,0,1] neg_hi:[0,0,1]
	v_pk_fma_f32 v[96:97], v[96:97], v[86:87], v[100:101] op_sel:[0,0,1] op_sel_hi:[1,0,0]
	v_mov_b32_e32 v103, v97
	v_pk_mul_f32 v[96:97], v[98:99], v[88:89] op_sel:[0,1]
	s_delay_alu instid0(VALU_DEP_1) | instskip(SKIP_1) | instid1(VALU_DEP_1)
	v_pk_fma_f32 v[100:101], v[98:99], v[86:87], v[96:97] op_sel:[0,0,1] op_sel_hi:[1,1,0] neg_lo:[0,0,1] neg_hi:[0,0,1]
	v_pk_fma_f32 v[96:97], v[98:99], v[86:87], v[96:97] op_sel:[0,0,1] op_sel_hi:[1,0,0]
	v_mov_b32_e32 v101, v97
	ds_load_2addr_b64 v[96:99], v90 offset0:24 offset1:25
	v_pk_add_f32 v[60:61], v[60:61], v[102:103] neg_lo:[0,1] neg_hi:[0,1]
	v_pk_add_f32 v[16:17], v[16:17], v[100:101] neg_lo:[0,1] neg_hi:[0,1]
	s_wait_dscnt 0x0
	v_dual_mul_f32 v100, v97, v89 :: v_dual_mul_f32 v102, v97, v86
	s_delay_alu instid0(VALU_DEP_1) | instskip(NEXT) | instid1(VALU_DEP_2)
	v_pk_fma_f32 v[100:101], v[96:97], v[24:25], v[100:101] op_sel_hi:[1,1,0] neg_lo:[0,0,1] neg_hi:[0,0,1]
	v_pk_fma_f32 v[96:97], v[96:97], v[24:25], v[102:103] op_sel:[1,0,0] op_sel_hi:[0,1,0]
	s_delay_alu instid0(VALU_DEP_1) | instskip(SKIP_1) | instid1(VALU_DEP_2)
	v_mov_b32_e32 v101, v97
	v_pk_mul_f32 v[96:97], v[98:99], v[88:89] op_sel:[0,1]
	v_pk_add_f32 v[56:57], v[56:57], v[100:101] neg_lo:[0,1] neg_hi:[0,1]
	s_delay_alu instid0(VALU_DEP_2) | instskip(SKIP_1) | instid1(VALU_DEP_1)
	v_pk_fma_f32 v[100:101], v[98:99], v[86:87], v[96:97] op_sel:[0,0,1] op_sel_hi:[1,1,0] neg_lo:[0,0,1] neg_hi:[0,0,1]
	v_pk_fma_f32 v[96:97], v[98:99], v[86:87], v[96:97] op_sel:[0,0,1] op_sel_hi:[1,0,0]
	v_mov_b32_e32 v101, v97
	ds_load_2addr_b64 v[96:99], v90 offset0:26 offset1:27
	v_pk_add_f32 v[52:53], v[52:53], v[100:101] neg_lo:[0,1] neg_hi:[0,1]
	s_wait_dscnt 0x0
	v_pk_mul_f32 v[100:101], v[96:97], v[88:89] op_sel:[0,1]
	s_delay_alu instid0(VALU_DEP_1) | instskip(SKIP_1) | instid1(VALU_DEP_1)
	v_pk_fma_f32 v[102:103], v[96:97], v[86:87], v[100:101] op_sel:[0,0,1] op_sel_hi:[1,1,0] neg_lo:[0,0,1] neg_hi:[0,0,1]
	v_pk_fma_f32 v[96:97], v[96:97], v[86:87], v[100:101] op_sel:[0,0,1] op_sel_hi:[1,0,0]
	v_mov_b32_e32 v103, v97
	v_pk_mul_f32 v[96:97], v[98:99], v[88:89] op_sel:[0,1]
	s_delay_alu instid0(VALU_DEP_2) | instskip(NEXT) | instid1(VALU_DEP_2)
	v_pk_add_f32 v[54:55], v[54:55], v[102:103] neg_lo:[0,1] neg_hi:[0,1]
	v_pk_fma_f32 v[100:101], v[98:99], v[86:87], v[96:97] op_sel:[0,0,1] op_sel_hi:[1,1,0] neg_lo:[0,0,1] neg_hi:[0,0,1]
	v_pk_fma_f32 v[96:97], v[98:99], v[86:87], v[96:97] op_sel:[0,0,1] op_sel_hi:[1,0,0]
	s_delay_alu instid0(VALU_DEP_1) | instskip(SKIP_4) | instid1(VALU_DEP_1)
	v_mov_b32_e32 v101, v97
	ds_load_2addr_b64 v[96:99], v90 offset0:28 offset1:29
	v_pk_add_f32 v[14:15], v[14:15], v[100:101] neg_lo:[0,1] neg_hi:[0,1]
	s_wait_dscnt 0x0
	v_pk_mul_f32 v[100:101], v[96:97], v[88:89] op_sel:[0,1]
	v_pk_fma_f32 v[102:103], v[96:97], v[86:87], v[100:101] op_sel:[0,0,1] op_sel_hi:[1,1,0] neg_lo:[0,0,1] neg_hi:[0,0,1]
	v_pk_fma_f32 v[96:97], v[96:97], v[86:87], v[100:101] op_sel:[0,0,1] op_sel_hi:[1,0,0]
	v_dual_mul_f32 v100, v99, v89 :: v_dual_mov_b32 v96, v99
	s_delay_alu instid0(VALU_DEP_2) | instskip(NEXT) | instid1(VALU_DEP_2)
	v_dual_mov_b32 v103, v97 :: v_dual_mov_b32 v97, v98
	v_pk_fma_f32 v[100:101], v[98:99], v[24:25], v[100:101] op_sel_hi:[1,1,0] neg_lo:[0,0,1] neg_hi:[0,0,1]
	v_mul_f32_e32 v98, v99, v86
	s_delay_alu instid0(VALU_DEP_3) | instskip(NEXT) | instid1(VALU_DEP_2)
	v_pk_add_f32 v[38:39], v[38:39], v[102:103] neg_lo:[0,1] neg_hi:[0,1]
	v_pk_fma_f32 v[96:97], v[96:97], v[24:25], v[98:99] op_sel_hi:[1,1,0]
	s_delay_alu instid0(VALU_DEP_1) | instskip(SKIP_4) | instid1(VALU_DEP_1)
	v_mov_b32_e32 v101, v97
	ds_load_2addr_b64 v[96:99], v90 offset0:30 offset1:31
	v_pk_add_f32 v[34:35], v[34:35], v[100:101] neg_lo:[0,1] neg_hi:[0,1]
	s_wait_dscnt 0x0
	v_pk_mul_f32 v[100:101], v[96:97], v[88:89] op_sel:[0,1]
	v_pk_fma_f32 v[102:103], v[96:97], v[86:87], v[100:101] op_sel:[0,0,1] op_sel_hi:[1,1,0] neg_lo:[0,0,1] neg_hi:[0,0,1]
	v_pk_fma_f32 v[96:97], v[96:97], v[86:87], v[100:101] op_sel:[0,0,1] op_sel_hi:[1,0,0]
	s_delay_alu instid0(VALU_DEP_1) | instskip(SKIP_1) | instid1(VALU_DEP_1)
	v_mov_b32_e32 v103, v97
	v_pk_mul_f32 v[96:97], v[98:99], v[88:89] op_sel:[0,1]
	v_pk_fma_f32 v[100:101], v[98:99], v[86:87], v[96:97] op_sel:[0,0,1] op_sel_hi:[1,1,0] neg_lo:[0,0,1] neg_hi:[0,0,1]
	v_pk_fma_f32 v[96:97], v[98:99], v[86:87], v[96:97] op_sel:[0,0,1] op_sel_hi:[1,0,0]
	s_delay_alu instid0(VALU_DEP_1)
	v_mov_b32_e32 v101, v97
	ds_load_2addr_b64 v[96:99], v90 offset0:32 offset1:33
	v_pk_add_f32 v[36:37], v[36:37], v[102:103] neg_lo:[0,1] neg_hi:[0,1]
	v_pk_add_f32 v[6:7], v[6:7], v[100:101] neg_lo:[0,1] neg_hi:[0,1]
	s_wait_dscnt 0x0
	v_pk_mul_f32 v[100:101], v[96:97], v[88:89] op_sel:[0,1]
	s_delay_alu instid0(VALU_DEP_1) | instskip(SKIP_1) | instid1(VALU_DEP_1)
	v_pk_fma_f32 v[102:103], v[96:97], v[86:87], v[100:101] op_sel:[0,0,1] op_sel_hi:[1,1,0] neg_lo:[0,0,1] neg_hi:[0,0,1]
	v_pk_fma_f32 v[96:97], v[96:97], v[86:87], v[100:101] op_sel:[0,0,1] op_sel_hi:[1,0,0]
	v_mov_b32_e32 v103, v97
	v_pk_mul_f32 v[96:97], v[98:99], v[88:89] op_sel:[0,1]
	s_delay_alu instid0(VALU_DEP_1) | instskip(SKIP_1) | instid1(VALU_DEP_1)
	v_pk_fma_f32 v[100:101], v[98:99], v[86:87], v[96:97] op_sel:[0,0,1] op_sel_hi:[1,1,0] neg_lo:[0,0,1] neg_hi:[0,0,1]
	v_pk_fma_f32 v[96:97], v[98:99], v[86:87], v[96:97] op_sel:[0,0,1] op_sel_hi:[1,0,0]
	v_mov_b32_e32 v101, v97
	ds_load_2addr_b64 v[96:99], v90 offset0:34 offset1:35
	v_pk_add_f32 v[32:33], v[32:33], v[102:103] neg_lo:[0,1] neg_hi:[0,1]
	v_pk_add_f32 v[28:29], v[28:29], v[100:101] neg_lo:[0,1] neg_hi:[0,1]
	s_wait_dscnt 0x0
	v_dual_mul_f32 v100, v97, v89 :: v_dual_mul_f32 v102, v97, v86
	s_delay_alu instid0(VALU_DEP_1) | instskip(NEXT) | instid1(VALU_DEP_2)
	v_pk_fma_f32 v[100:101], v[96:97], v[24:25], v[100:101] op_sel_hi:[1,1,0] neg_lo:[0,0,1] neg_hi:[0,0,1]
	v_pk_fma_f32 v[96:97], v[96:97], v[24:25], v[102:103] op_sel:[1,0,0] op_sel_hi:[0,1,0]
	s_delay_alu instid0(VALU_DEP_1) | instskip(SKIP_1) | instid1(VALU_DEP_2)
	v_mov_b32_e32 v101, v97
	v_pk_mul_f32 v[96:97], v[98:99], v[88:89] op_sel:[0,1]
	v_pk_add_f32 v[30:31], v[30:31], v[100:101] neg_lo:[0,1] neg_hi:[0,1]
	s_delay_alu instid0(VALU_DEP_2) | instskip(SKIP_1) | instid1(VALU_DEP_1)
	v_pk_fma_f32 v[100:101], v[98:99], v[86:87], v[96:97] op_sel:[0,0,1] op_sel_hi:[1,1,0] neg_lo:[0,0,1] neg_hi:[0,0,1]
	v_pk_fma_f32 v[96:97], v[98:99], v[86:87], v[96:97] op_sel:[0,0,1] op_sel_hi:[1,0,0]
	v_mov_b32_e32 v101, v97
	ds_load_2addr_b64 v[96:99], v90 offset0:36 offset1:37
	v_pk_add_f32 v[8:9], v[8:9], v[100:101] neg_lo:[0,1] neg_hi:[0,1]
	s_wait_dscnt 0x0
	v_pk_mul_f32 v[100:101], v[96:97], v[88:89] op_sel:[0,1]
	s_delay_alu instid0(VALU_DEP_1) | instskip(SKIP_1) | instid1(VALU_DEP_1)
	v_pk_fma_f32 v[102:103], v[96:97], v[86:87], v[100:101] op_sel:[0,0,1] op_sel_hi:[1,1,0] neg_lo:[0,0,1] neg_hi:[0,0,1]
	v_pk_fma_f32 v[96:97], v[96:97], v[86:87], v[100:101] op_sel:[0,0,1] op_sel_hi:[1,0,0]
	v_mov_b32_e32 v103, v97
	v_pk_mul_f32 v[96:97], v[98:99], v[88:89] op_sel:[0,1]
	s_delay_alu instid0(VALU_DEP_2) | instskip(NEXT) | instid1(VALU_DEP_2)
	v_pk_add_f32 v[26:27], v[26:27], v[102:103] neg_lo:[0,1] neg_hi:[0,1]
	v_pk_fma_f32 v[100:101], v[98:99], v[86:87], v[96:97] op_sel:[0,0,1] op_sel_hi:[1,1,0] neg_lo:[0,0,1] neg_hi:[0,0,1]
	v_pk_fma_f32 v[96:97], v[98:99], v[86:87], v[96:97] op_sel:[0,0,1] op_sel_hi:[1,0,0]
	s_delay_alu instid0(VALU_DEP_1)
	v_mov_b32_e32 v101, v97
	ds_load_2addr_b64 v[96:99], v90 offset0:38 offset1:39
	v_pk_add_f32 v[20:21], v[20:21], v[100:101] neg_lo:[0,1] neg_hi:[0,1]
	s_wait_dscnt 0x0
	v_pk_mul_f32 v[100:101], v[96:97], v[88:89] op_sel:[0,1]
	v_mul_f32_e32 v88, v99, v89
	s_delay_alu instid0(VALU_DEP_2) | instskip(SKIP_2) | instid1(VALU_DEP_4)
	v_pk_fma_f32 v[102:103], v[96:97], v[86:87], v[100:101] op_sel:[0,0,1] op_sel_hi:[1,1,0] neg_lo:[0,0,1] neg_hi:[0,0,1]
	v_pk_fma_f32 v[96:97], v[96:97], v[86:87], v[100:101] op_sel:[0,0,1] op_sel_hi:[1,0,0]
	v_dual_mov_b32 v96, v99 :: v_dual_mul_f32 v86, v99, v86
	v_pk_fma_f32 v[88:89], v[98:99], v[24:25], v[88:89] op_sel_hi:[1,1,0] neg_lo:[0,0,1] neg_hi:[0,0,1]
	s_delay_alu instid0(VALU_DEP_3) | instskip(NEXT) | instid1(VALU_DEP_1)
	v_dual_mov_b32 v103, v97 :: v_dual_mov_b32 v97, v98
	v_pk_add_f32 v[18:19], v[18:19], v[102:103] neg_lo:[0,1] neg_hi:[0,1]
	s_delay_alu instid0(VALU_DEP_2) | instskip(NEXT) | instid1(VALU_DEP_1)
	v_pk_fma_f32 v[86:87], v[96:97], v[24:25], v[86:87] op_sel_hi:[1,1,0]
	v_mov_b32_e32 v89, v87
	s_delay_alu instid0(VALU_DEP_1)
	v_pk_add_f32 v[84:85], v[84:85], v[88:89] neg_lo:[0,1] neg_hi:[0,1]
.LBB78_335:
	s_or_b32 exec_lo, exec_lo, s0
	v_lshl_add_u32 v86, v94, 3, v90
	s_barrier_signal -1
	s_barrier_wait -1
	ds_store_b64 v86, v[68:69]
	s_wait_dscnt 0x0
	s_barrier_signal -1
	s_barrier_wait -1
	ds_load_b64 v[88:89], v90 offset:128
	v_mov_b32_e32 v86, 16
	s_cmp_lt_i32 s18, 18
	s_cbranch_scc1 .LBB78_338
; %bb.336:
	v_add3_u32 v87, v91, 0, 0x88
	v_mov_b32_e32 v86, 16
	s_mov_b32 s0, 17
.LBB78_337:                             ; =>This Inner Loop Header: Depth=1
	ds_load_b64 v[96:97], v87
	s_wait_dscnt 0x1
	v_cmp_gt_f32_e32 vcc_lo, 0, v88
	v_cndmask_b32_e64 v98, v88, -v88, vcc_lo
	v_cmp_gt_f32_e32 vcc_lo, 0, v89
	v_cndmask_b32_e64 v100, v89, -v89, vcc_lo
	s_wait_dscnt 0x0
	v_cmp_gt_f32_e32 vcc_lo, 0, v96
	v_cndmask_b32_e64 v99, v96, -v96, vcc_lo
	v_cmp_gt_f32_e32 vcc_lo, 0, v97
	v_cndmask_b32_e64 v101, v97, -v97, vcc_lo
	s_delay_alu instid0(VALU_DEP_1) | instskip(NEXT) | instid1(VALU_DEP_1)
	v_pk_add_f32 v[98:99], v[98:99], v[100:101]
	v_cmp_lt_f32_e32 vcc_lo, v98, v99
	v_dual_add_nc_u32 v87, 8, v87 :: v_dual_cndmask_b32 v89, v89, v97, vcc_lo
	v_cndmask_b32_e32 v88, v88, v96, vcc_lo
	v_cndmask_b32_e64 v86, v86, s0, vcc_lo
	s_add_co_i32 s0, s0, 1
	s_delay_alu instid0(SALU_CYCLE_1)
	s_cmp_lg_u32 s18, s0
	s_cbranch_scc1 .LBB78_337
.LBB78_338:
	s_wait_dscnt 0x0
	v_cmp_eq_f32_e32 vcc_lo, 0, v88
	v_cmp_eq_f32_e64 s0, 0, v89
	s_and_b32 s0, vcc_lo, s0
	s_delay_alu instid0(SALU_CYCLE_1) | instskip(NEXT) | instid1(SALU_CYCLE_1)
	s_and_saveexec_b32 s1, s0
	s_xor_b32 s0, exec_lo, s1
; %bb.339:
	v_cmp_ne_u32_e32 vcc_lo, 0, v92
	v_cndmask_b32_e32 v92, 17, v92, vcc_lo
; %bb.340:
	s_and_not1_saveexec_b32 s0, s0
	s_cbranch_execz .LBB78_346
; %bb.341:
	v_cmp_ngt_f32_e64 s1, |v88|, |v89|
	s_and_saveexec_b32 s12, s1
	s_delay_alu instid0(SALU_CYCLE_1)
	s_xor_b32 s1, exec_lo, s12
	s_cbranch_execz .LBB78_343
; %bb.342:
	v_div_scale_f32 v87, null, v89, v89, v88
	v_div_scale_f32 v97, vcc_lo, v88, v89, v88
	s_delay_alu instid0(VALU_DEP_2) | instskip(SKIP_1) | instid1(TRANS32_DEP_1)
	v_rcp_f32_e32 v95, v87
	v_nop
	v_fma_f32 v96, -v87, v95, 1.0
	s_delay_alu instid0(VALU_DEP_1) | instskip(NEXT) | instid1(VALU_DEP_1)
	v_fmac_f32_e32 v95, v96, v95
	v_mul_f32_e32 v96, v97, v95
	s_delay_alu instid0(VALU_DEP_1) | instskip(NEXT) | instid1(VALU_DEP_1)
	v_fma_f32 v98, -v87, v96, v97
	v_fmac_f32_e32 v96, v98, v95
	s_delay_alu instid0(VALU_DEP_1) | instskip(NEXT) | instid1(VALU_DEP_1)
	v_fma_f32 v87, -v87, v96, v97
	v_div_fmas_f32 v87, v87, v95, v96
	s_delay_alu instid0(VALU_DEP_1) | instskip(NEXT) | instid1(VALU_DEP_1)
	v_div_fixup_f32 v87, v87, v89, v88
	v_fmac_f32_e32 v89, v88, v87
	s_delay_alu instid0(VALU_DEP_1) | instskip(SKIP_1) | instid1(VALU_DEP_2)
	v_div_scale_f32 v88, null, v89, v89, 1.0
	v_div_scale_f32 v97, vcc_lo, 1.0, v89, 1.0
	v_rcp_f32_e32 v95, v88
	v_nop
	s_delay_alu instid0(TRANS32_DEP_1) | instskip(NEXT) | instid1(VALU_DEP_1)
	v_fma_f32 v96, -v88, v95, 1.0
	v_fmac_f32_e32 v95, v96, v95
	s_delay_alu instid0(VALU_DEP_1) | instskip(NEXT) | instid1(VALU_DEP_1)
	v_mul_f32_e32 v96, v97, v95
	v_fma_f32 v98, -v88, v96, v97
	s_delay_alu instid0(VALU_DEP_1) | instskip(NEXT) | instid1(VALU_DEP_1)
	v_fmac_f32_e32 v96, v98, v95
	v_fma_f32 v88, -v88, v96, v97
	s_delay_alu instid0(VALU_DEP_1) | instskip(NEXT) | instid1(VALU_DEP_1)
	v_div_fmas_f32 v88, v88, v95, v96
	v_div_fixup_f32 v89, v88, v89, 1.0
	s_delay_alu instid0(VALU_DEP_1)
	v_mul_f32_e32 v88, v87, v89
	v_xor_b32_e32 v89, 0x80000000, v89
.LBB78_343:
	s_and_not1_saveexec_b32 s1, s1
	s_cbranch_execz .LBB78_345
; %bb.344:
	s_delay_alu instid0(VALU_DEP_1) | instskip(SKIP_1) | instid1(VALU_DEP_2)
	v_div_scale_f32 v87, null, v88, v88, v89
	v_div_scale_f32 v97, vcc_lo, v89, v88, v89
	v_rcp_f32_e32 v95, v87
	v_nop
	s_delay_alu instid0(TRANS32_DEP_1) | instskip(NEXT) | instid1(VALU_DEP_1)
	v_fma_f32 v96, -v87, v95, 1.0
	v_fmac_f32_e32 v95, v96, v95
	s_delay_alu instid0(VALU_DEP_1) | instskip(NEXT) | instid1(VALU_DEP_1)
	v_mul_f32_e32 v96, v97, v95
	v_fma_f32 v98, -v87, v96, v97
	s_delay_alu instid0(VALU_DEP_1) | instskip(NEXT) | instid1(VALU_DEP_1)
	v_fmac_f32_e32 v96, v98, v95
	v_fma_f32 v87, -v87, v96, v97
	s_delay_alu instid0(VALU_DEP_1) | instskip(NEXT) | instid1(VALU_DEP_1)
	v_div_fmas_f32 v87, v87, v95, v96
	v_div_fixup_f32 v87, v87, v88, v89
	s_delay_alu instid0(VALU_DEP_1) | instskip(NEXT) | instid1(VALU_DEP_1)
	v_fmac_f32_e32 v88, v89, v87
	v_div_scale_f32 v89, null, v88, v88, 1.0
	s_delay_alu instid0(VALU_DEP_1) | instskip(SKIP_1) | instid1(TRANS32_DEP_1)
	v_rcp_f32_e32 v95, v89
	v_nop
	v_fma_f32 v96, -v89, v95, 1.0
	s_delay_alu instid0(VALU_DEP_1) | instskip(SKIP_1) | instid1(VALU_DEP_1)
	v_fmac_f32_e32 v95, v96, v95
	v_div_scale_f32 v96, vcc_lo, 1.0, v88, 1.0
	v_mul_f32_e32 v97, v96, v95
	s_delay_alu instid0(VALU_DEP_1) | instskip(NEXT) | instid1(VALU_DEP_1)
	v_fma_f32 v98, -v89, v97, v96
	v_fmac_f32_e32 v97, v98, v95
	s_delay_alu instid0(VALU_DEP_1) | instskip(NEXT) | instid1(VALU_DEP_1)
	v_fma_f32 v89, -v89, v97, v96
	v_div_fmas_f32 v89, v89, v95, v97
	s_delay_alu instid0(VALU_DEP_1) | instskip(NEXT) | instid1(VALU_DEP_1)
	v_div_fixup_f32 v88, v89, v88, 1.0
	v_mul_f32_e64 v89, v87, -v88
.LBB78_345:
	s_or_b32 exec_lo, exec_lo, s1
.LBB78_346:
	s_delay_alu instid0(SALU_CYCLE_1) | instskip(NEXT) | instid1(SALU_CYCLE_1)
	s_or_b32 exec_lo, exec_lo, s0
	s_mov_b32 s0, exec_lo
	v_cmpx_ne_u32_e64 v94, v86
	s_xor_b32 s0, exec_lo, s0
	s_cbranch_execz .LBB78_352
; %bb.347:
	s_mov_b32 s1, exec_lo
	v_cmpx_eq_u32_e32 16, v94
	s_cbranch_execz .LBB78_351
; %bb.348:
	v_cmp_ne_u32_e32 vcc_lo, 16, v86
	s_xor_b32 s12, s16, -1
	s_delay_alu instid0(SALU_CYCLE_1) | instskip(NEXT) | instid1(SALU_CYCLE_1)
	s_and_b32 s13, s12, vcc_lo
	s_and_saveexec_b32 s12, s13
	s_cbranch_execz .LBB78_350
; %bb.349:
	v_ashrrev_i32_e32 v87, 31, v86
	s_delay_alu instid0(VALU_DEP_1)
	v_lshl_add_u64 v[94:95], v[86:87], 2, v[4:5]
	s_clause 0x1
	global_load_b32 v87, v[94:95], off
	global_load_b32 v93, v[4:5], off offset:64
	s_wait_loadcnt 0x1
	global_store_b32 v[4:5], v87, off offset:64
	s_wait_loadcnt 0x0
	global_store_b32 v[94:95], v93, off
.LBB78_350:
	s_wait_xcnt 0x0
	s_or_b32 exec_lo, exec_lo, s12
	v_dual_mov_b32 v94, v86 :: v_dual_mov_b32 v93, v86
.LBB78_351:
	s_or_b32 exec_lo, exec_lo, s1
.LBB78_352:
	s_and_not1_saveexec_b32 s0, s0
	s_cbranch_execz .LBB78_354
; %bb.353:
	v_mov_b32_e32 v94, 16
	ds_store_2addr_b64 v90, v[64:65], v[66:67] offset0:17 offset1:18
	ds_store_2addr_b64 v90, v[22:23], v[62:63] offset0:19 offset1:20
	;; [unrolled: 1-line block ×11, first 2 shown]
	ds_store_b64 v90, v[84:85] offset:312
.LBB78_354:
	s_or_b32 exec_lo, exec_lo, s0
	s_delay_alu instid0(SALU_CYCLE_1)
	s_mov_b32 s0, exec_lo
	s_wait_storecnt_dscnt 0x0
	s_barrier_signal -1
	s_barrier_wait -1
	v_cmpx_lt_i32_e32 16, v94
	s_cbranch_execz .LBB78_356
; %bb.355:
	v_pk_mul_f32 v[96:97], v[88:89], v[68:69] op_sel:[1,1] op_sel_hi:[0,1]
	s_delay_alu instid0(VALU_DEP_1)
	v_pk_fma_f32 v[86:87], v[88:89], v[68:69], v[96:97] op_sel_hi:[1,0,1] neg_lo:[0,0,1] neg_hi:[0,0,1]
	v_pk_fma_f32 v[88:89], v[88:89], v[68:69], v[96:97] op_sel_hi:[1,0,1]
	ds_load_2addr_b64 v[96:99], v90 offset0:17 offset1:18
	v_dual_mov_b32 v68, v86 :: v_dual_mov_b32 v69, v89
	s_wait_dscnt 0x0
	v_pk_mul_f32 v[100:101], v[96:97], v[88:89] op_sel:[0,1]
	s_delay_alu instid0(VALU_DEP_1) | instskip(SKIP_1) | instid1(VALU_DEP_1)
	v_pk_fma_f32 v[102:103], v[96:97], v[86:87], v[100:101] op_sel:[0,0,1] op_sel_hi:[1,1,0] neg_lo:[0,0,1] neg_hi:[0,0,1]
	v_pk_fma_f32 v[96:97], v[96:97], v[86:87], v[100:101] op_sel:[0,0,1] op_sel_hi:[1,0,0]
	v_mov_b32_e32 v103, v97
	v_pk_mul_f32 v[96:97], v[98:99], v[88:89] op_sel:[0,1]
	s_delay_alu instid0(VALU_DEP_1) | instskip(SKIP_1) | instid1(VALU_DEP_1)
	v_pk_fma_f32 v[100:101], v[98:99], v[86:87], v[96:97] op_sel:[0,0,1] op_sel_hi:[1,1,0] neg_lo:[0,0,1] neg_hi:[0,0,1]
	v_pk_fma_f32 v[96:97], v[98:99], v[86:87], v[96:97] op_sel:[0,0,1] op_sel_hi:[1,0,0]
	v_mov_b32_e32 v101, v97
	ds_load_2addr_b64 v[96:99], v90 offset0:19 offset1:20
	v_pk_add_f32 v[64:65], v[64:65], v[102:103] neg_lo:[0,1] neg_hi:[0,1]
	v_pk_add_f32 v[66:67], v[66:67], v[100:101] neg_lo:[0,1] neg_hi:[0,1]
	s_wait_dscnt 0x0
	v_pk_mul_f32 v[100:101], v[96:97], v[88:89] op_sel:[0,1]
	s_delay_alu instid0(VALU_DEP_1) | instskip(SKIP_2) | instid1(VALU_DEP_2)
	v_pk_fma_f32 v[102:103], v[96:97], v[86:87], v[100:101] op_sel:[0,0,1] op_sel_hi:[1,1,0] neg_lo:[0,0,1] neg_hi:[0,0,1]
	v_pk_fma_f32 v[96:97], v[96:97], v[86:87], v[100:101] op_sel:[0,0,1] op_sel_hi:[1,0,0]
	v_dual_mul_f32 v100, v99, v89 :: v_dual_mov_b32 v96, v99
	v_dual_mov_b32 v103, v97 :: v_dual_mov_b32 v97, v98
	s_delay_alu instid0(VALU_DEP_2) | instskip(SKIP_1) | instid1(VALU_DEP_3)
	v_pk_fma_f32 v[100:101], v[98:99], v[68:69], v[100:101] op_sel_hi:[1,1,0] neg_lo:[0,0,1] neg_hi:[0,0,1]
	v_mul_f32_e32 v98, v99, v86
	v_pk_add_f32 v[22:23], v[22:23], v[102:103] neg_lo:[0,1] neg_hi:[0,1]
	s_delay_alu instid0(VALU_DEP_2) | instskip(NEXT) | instid1(VALU_DEP_1)
	v_pk_fma_f32 v[96:97], v[96:97], v[68:69], v[98:99] op_sel_hi:[1,1,0]
	v_mov_b32_e32 v101, v97
	ds_load_2addr_b64 v[96:99], v90 offset0:21 offset1:22
	v_pk_add_f32 v[62:63], v[62:63], v[100:101] neg_lo:[0,1] neg_hi:[0,1]
	s_wait_dscnt 0x0
	v_pk_mul_f32 v[100:101], v[96:97], v[88:89] op_sel:[0,1]
	s_delay_alu instid0(VALU_DEP_1) | instskip(SKIP_1) | instid1(VALU_DEP_1)
	v_pk_fma_f32 v[102:103], v[96:97], v[86:87], v[100:101] op_sel:[0,0,1] op_sel_hi:[1,1,0] neg_lo:[0,0,1] neg_hi:[0,0,1]
	v_pk_fma_f32 v[96:97], v[96:97], v[86:87], v[100:101] op_sel:[0,0,1] op_sel_hi:[1,0,0]
	v_mov_b32_e32 v103, v97
	v_pk_mul_f32 v[96:97], v[98:99], v[88:89] op_sel:[0,1]
	s_delay_alu instid0(VALU_DEP_1) | instskip(SKIP_1) | instid1(VALU_DEP_1)
	v_pk_fma_f32 v[100:101], v[98:99], v[86:87], v[96:97] op_sel:[0,0,1] op_sel_hi:[1,1,0] neg_lo:[0,0,1] neg_hi:[0,0,1]
	v_pk_fma_f32 v[96:97], v[98:99], v[86:87], v[96:97] op_sel:[0,0,1] op_sel_hi:[1,0,0]
	v_mov_b32_e32 v101, v97
	ds_load_2addr_b64 v[96:99], v90 offset0:23 offset1:24
	v_pk_add_f32 v[58:59], v[58:59], v[102:103] neg_lo:[0,1] neg_hi:[0,1]
	v_pk_add_f32 v[60:61], v[60:61], v[100:101] neg_lo:[0,1] neg_hi:[0,1]
	s_wait_dscnt 0x0
	v_pk_mul_f32 v[100:101], v[96:97], v[88:89] op_sel:[0,1]
	s_delay_alu instid0(VALU_DEP_1) | instskip(SKIP_1) | instid1(VALU_DEP_1)
	v_pk_fma_f32 v[102:103], v[96:97], v[86:87], v[100:101] op_sel:[0,0,1] op_sel_hi:[1,1,0] neg_lo:[0,0,1] neg_hi:[0,0,1]
	v_pk_fma_f32 v[96:97], v[96:97], v[86:87], v[100:101] op_sel:[0,0,1] op_sel_hi:[1,0,0]
	v_mov_b32_e32 v103, v97
	v_pk_mul_f32 v[96:97], v[98:99], v[88:89] op_sel:[0,1]
	s_delay_alu instid0(VALU_DEP_1) | instskip(SKIP_1) | instid1(VALU_DEP_1)
	v_pk_fma_f32 v[100:101], v[98:99], v[86:87], v[96:97] op_sel:[0,0,1] op_sel_hi:[1,1,0] neg_lo:[0,0,1] neg_hi:[0,0,1]
	v_pk_fma_f32 v[96:97], v[98:99], v[86:87], v[96:97] op_sel:[0,0,1] op_sel_hi:[1,0,0]
	v_mov_b32_e32 v101, v97
	ds_load_2addr_b64 v[96:99], v90 offset0:25 offset1:26
	v_pk_add_f32 v[16:17], v[16:17], v[102:103] neg_lo:[0,1] neg_hi:[0,1]
	v_pk_add_f32 v[56:57], v[56:57], v[100:101] neg_lo:[0,1] neg_hi:[0,1]
	s_wait_dscnt 0x0
	v_dual_mul_f32 v100, v97, v89 :: v_dual_mul_f32 v102, v97, v86
	s_delay_alu instid0(VALU_DEP_1) | instskip(NEXT) | instid1(VALU_DEP_2)
	v_pk_fma_f32 v[100:101], v[96:97], v[68:69], v[100:101] op_sel_hi:[1,1,0] neg_lo:[0,0,1] neg_hi:[0,0,1]
	v_pk_fma_f32 v[96:97], v[96:97], v[68:69], v[102:103] op_sel:[1,0,0] op_sel_hi:[0,1,0]
	s_delay_alu instid0(VALU_DEP_1) | instskip(SKIP_1) | instid1(VALU_DEP_2)
	v_mov_b32_e32 v101, v97
	v_pk_mul_f32 v[96:97], v[98:99], v[88:89] op_sel:[0,1]
	v_pk_add_f32 v[52:53], v[52:53], v[100:101] neg_lo:[0,1] neg_hi:[0,1]
	s_delay_alu instid0(VALU_DEP_2) | instskip(SKIP_1) | instid1(VALU_DEP_1)
	v_pk_fma_f32 v[100:101], v[98:99], v[86:87], v[96:97] op_sel:[0,0,1] op_sel_hi:[1,1,0] neg_lo:[0,0,1] neg_hi:[0,0,1]
	v_pk_fma_f32 v[96:97], v[98:99], v[86:87], v[96:97] op_sel:[0,0,1] op_sel_hi:[1,0,0]
	v_mov_b32_e32 v101, v97
	ds_load_2addr_b64 v[96:99], v90 offset0:27 offset1:28
	v_pk_add_f32 v[54:55], v[54:55], v[100:101] neg_lo:[0,1] neg_hi:[0,1]
	s_wait_dscnt 0x0
	v_pk_mul_f32 v[100:101], v[96:97], v[88:89] op_sel:[0,1]
	s_delay_alu instid0(VALU_DEP_1) | instskip(SKIP_1) | instid1(VALU_DEP_1)
	v_pk_fma_f32 v[102:103], v[96:97], v[86:87], v[100:101] op_sel:[0,0,1] op_sel_hi:[1,1,0] neg_lo:[0,0,1] neg_hi:[0,0,1]
	v_pk_fma_f32 v[96:97], v[96:97], v[86:87], v[100:101] op_sel:[0,0,1] op_sel_hi:[1,0,0]
	v_mov_b32_e32 v103, v97
	v_pk_mul_f32 v[96:97], v[98:99], v[88:89] op_sel:[0,1]
	s_delay_alu instid0(VALU_DEP_2) | instskip(NEXT) | instid1(VALU_DEP_2)
	v_pk_add_f32 v[14:15], v[14:15], v[102:103] neg_lo:[0,1] neg_hi:[0,1]
	v_pk_fma_f32 v[100:101], v[98:99], v[86:87], v[96:97] op_sel:[0,0,1] op_sel_hi:[1,1,0] neg_lo:[0,0,1] neg_hi:[0,0,1]
	v_pk_fma_f32 v[96:97], v[98:99], v[86:87], v[96:97] op_sel:[0,0,1] op_sel_hi:[1,0,0]
	s_delay_alu instid0(VALU_DEP_1) | instskip(SKIP_4) | instid1(VALU_DEP_1)
	v_mov_b32_e32 v101, v97
	ds_load_2addr_b64 v[96:99], v90 offset0:29 offset1:30
	v_pk_add_f32 v[38:39], v[38:39], v[100:101] neg_lo:[0,1] neg_hi:[0,1]
	s_wait_dscnt 0x0
	v_pk_mul_f32 v[100:101], v[96:97], v[88:89] op_sel:[0,1]
	v_pk_fma_f32 v[102:103], v[96:97], v[86:87], v[100:101] op_sel:[0,0,1] op_sel_hi:[1,1,0] neg_lo:[0,0,1] neg_hi:[0,0,1]
	v_pk_fma_f32 v[96:97], v[96:97], v[86:87], v[100:101] op_sel:[0,0,1] op_sel_hi:[1,0,0]
	v_dual_mul_f32 v100, v99, v89 :: v_dual_mov_b32 v96, v99
	s_delay_alu instid0(VALU_DEP_2) | instskip(NEXT) | instid1(VALU_DEP_2)
	v_dual_mov_b32 v103, v97 :: v_dual_mov_b32 v97, v98
	v_pk_fma_f32 v[100:101], v[98:99], v[68:69], v[100:101] op_sel_hi:[1,1,0] neg_lo:[0,0,1] neg_hi:[0,0,1]
	v_mul_f32_e32 v98, v99, v86
	s_delay_alu instid0(VALU_DEP_3) | instskip(NEXT) | instid1(VALU_DEP_2)
	v_pk_add_f32 v[34:35], v[34:35], v[102:103] neg_lo:[0,1] neg_hi:[0,1]
	v_pk_fma_f32 v[96:97], v[96:97], v[68:69], v[98:99] op_sel_hi:[1,1,0]
	s_delay_alu instid0(VALU_DEP_1) | instskip(SKIP_4) | instid1(VALU_DEP_1)
	v_mov_b32_e32 v101, v97
	ds_load_2addr_b64 v[96:99], v90 offset0:31 offset1:32
	v_pk_add_f32 v[36:37], v[36:37], v[100:101] neg_lo:[0,1] neg_hi:[0,1]
	s_wait_dscnt 0x0
	v_pk_mul_f32 v[100:101], v[96:97], v[88:89] op_sel:[0,1]
	v_pk_fma_f32 v[102:103], v[96:97], v[86:87], v[100:101] op_sel:[0,0,1] op_sel_hi:[1,1,0] neg_lo:[0,0,1] neg_hi:[0,0,1]
	v_pk_fma_f32 v[96:97], v[96:97], v[86:87], v[100:101] op_sel:[0,0,1] op_sel_hi:[1,0,0]
	s_delay_alu instid0(VALU_DEP_1) | instskip(SKIP_1) | instid1(VALU_DEP_1)
	v_mov_b32_e32 v103, v97
	v_pk_mul_f32 v[96:97], v[98:99], v[88:89] op_sel:[0,1]
	v_pk_fma_f32 v[100:101], v[98:99], v[86:87], v[96:97] op_sel:[0,0,1] op_sel_hi:[1,1,0] neg_lo:[0,0,1] neg_hi:[0,0,1]
	v_pk_fma_f32 v[96:97], v[98:99], v[86:87], v[96:97] op_sel:[0,0,1] op_sel_hi:[1,0,0]
	s_delay_alu instid0(VALU_DEP_1)
	v_mov_b32_e32 v101, v97
	ds_load_2addr_b64 v[96:99], v90 offset0:33 offset1:34
	v_pk_add_f32 v[6:7], v[6:7], v[102:103] neg_lo:[0,1] neg_hi:[0,1]
	v_pk_add_f32 v[32:33], v[32:33], v[100:101] neg_lo:[0,1] neg_hi:[0,1]
	s_wait_dscnt 0x0
	v_pk_mul_f32 v[100:101], v[96:97], v[88:89] op_sel:[0,1]
	s_delay_alu instid0(VALU_DEP_1) | instskip(SKIP_1) | instid1(VALU_DEP_1)
	v_pk_fma_f32 v[102:103], v[96:97], v[86:87], v[100:101] op_sel:[0,0,1] op_sel_hi:[1,1,0] neg_lo:[0,0,1] neg_hi:[0,0,1]
	v_pk_fma_f32 v[96:97], v[96:97], v[86:87], v[100:101] op_sel:[0,0,1] op_sel_hi:[1,0,0]
	v_mov_b32_e32 v103, v97
	v_pk_mul_f32 v[96:97], v[98:99], v[88:89] op_sel:[0,1]
	s_delay_alu instid0(VALU_DEP_1) | instskip(SKIP_1) | instid1(VALU_DEP_1)
	v_pk_fma_f32 v[100:101], v[98:99], v[86:87], v[96:97] op_sel:[0,0,1] op_sel_hi:[1,1,0] neg_lo:[0,0,1] neg_hi:[0,0,1]
	v_pk_fma_f32 v[96:97], v[98:99], v[86:87], v[96:97] op_sel:[0,0,1] op_sel_hi:[1,0,0]
	v_mov_b32_e32 v101, v97
	ds_load_2addr_b64 v[96:99], v90 offset0:35 offset1:36
	v_pk_add_f32 v[28:29], v[28:29], v[102:103] neg_lo:[0,1] neg_hi:[0,1]
	v_pk_add_f32 v[30:31], v[30:31], v[100:101] neg_lo:[0,1] neg_hi:[0,1]
	s_wait_dscnt 0x0
	v_dual_mul_f32 v100, v97, v89 :: v_dual_mul_f32 v102, v97, v86
	s_delay_alu instid0(VALU_DEP_1) | instskip(NEXT) | instid1(VALU_DEP_2)
	v_pk_fma_f32 v[100:101], v[96:97], v[68:69], v[100:101] op_sel_hi:[1,1,0] neg_lo:[0,0,1] neg_hi:[0,0,1]
	v_pk_fma_f32 v[96:97], v[96:97], v[68:69], v[102:103] op_sel:[1,0,0] op_sel_hi:[0,1,0]
	s_delay_alu instid0(VALU_DEP_1) | instskip(SKIP_1) | instid1(VALU_DEP_2)
	v_mov_b32_e32 v101, v97
	v_pk_mul_f32 v[96:97], v[98:99], v[88:89] op_sel:[0,1]
	v_pk_add_f32 v[8:9], v[8:9], v[100:101] neg_lo:[0,1] neg_hi:[0,1]
	s_delay_alu instid0(VALU_DEP_2) | instskip(SKIP_1) | instid1(VALU_DEP_1)
	v_pk_fma_f32 v[100:101], v[98:99], v[86:87], v[96:97] op_sel:[0,0,1] op_sel_hi:[1,1,0] neg_lo:[0,0,1] neg_hi:[0,0,1]
	v_pk_fma_f32 v[96:97], v[98:99], v[86:87], v[96:97] op_sel:[0,0,1] op_sel_hi:[1,0,0]
	v_mov_b32_e32 v101, v97
	ds_load_2addr_b64 v[96:99], v90 offset0:37 offset1:38
	v_pk_add_f32 v[26:27], v[26:27], v[100:101] neg_lo:[0,1] neg_hi:[0,1]
	s_wait_dscnt 0x0
	v_pk_mul_f32 v[100:101], v[96:97], v[88:89] op_sel:[0,1]
	s_delay_alu instid0(VALU_DEP_1) | instskip(SKIP_1) | instid1(VALU_DEP_1)
	v_pk_fma_f32 v[102:103], v[96:97], v[86:87], v[100:101] op_sel:[0,0,1] op_sel_hi:[1,1,0] neg_lo:[0,0,1] neg_hi:[0,0,1]
	v_pk_fma_f32 v[96:97], v[96:97], v[86:87], v[100:101] op_sel:[0,0,1] op_sel_hi:[1,0,0]
	v_mov_b32_e32 v103, v97
	v_pk_mul_f32 v[96:97], v[98:99], v[88:89] op_sel:[0,1]
	s_delay_alu instid0(VALU_DEP_2) | instskip(NEXT) | instid1(VALU_DEP_2)
	v_pk_add_f32 v[20:21], v[20:21], v[102:103] neg_lo:[0,1] neg_hi:[0,1]
	v_pk_fma_f32 v[100:101], v[98:99], v[86:87], v[96:97] op_sel:[0,0,1] op_sel_hi:[1,1,0] neg_lo:[0,0,1] neg_hi:[0,0,1]
	v_pk_fma_f32 v[96:97], v[98:99], v[86:87], v[96:97] op_sel:[0,0,1] op_sel_hi:[1,0,0]
	s_delay_alu instid0(VALU_DEP_1) | instskip(SKIP_4) | instid1(VALU_DEP_1)
	v_mov_b32_e32 v101, v97
	ds_load_b64 v[96:97], v90 offset:312
	v_pk_add_f32 v[18:19], v[18:19], v[100:101] neg_lo:[0,1] neg_hi:[0,1]
	s_wait_dscnt 0x0
	v_pk_mul_f32 v[88:89], v[96:97], v[88:89] op_sel:[0,1]
	v_pk_fma_f32 v[98:99], v[96:97], v[86:87], v[88:89] op_sel:[0,0,1] op_sel_hi:[1,1,0] neg_lo:[0,0,1] neg_hi:[0,0,1]
	v_pk_fma_f32 v[86:87], v[96:97], v[86:87], v[88:89] op_sel:[0,0,1] op_sel_hi:[1,0,0]
	s_delay_alu instid0(VALU_DEP_1) | instskip(NEXT) | instid1(VALU_DEP_1)
	v_mov_b32_e32 v99, v87
	v_pk_add_f32 v[84:85], v[84:85], v[98:99] neg_lo:[0,1] neg_hi:[0,1]
.LBB78_356:
	s_or_b32 exec_lo, exec_lo, s0
	v_lshl_add_u32 v86, v94, 3, v90
	s_barrier_signal -1
	s_barrier_wait -1
	ds_store_b64 v86, v[64:65]
	s_wait_dscnt 0x0
	s_barrier_signal -1
	s_barrier_wait -1
	ds_load_b64 v[88:89], v90 offset:136
	v_mov_b32_e32 v86, 17
	s_cmp_lt_i32 s18, 19
	s_cbranch_scc1 .LBB78_359
; %bb.357:
	v_add3_u32 v87, v91, 0, 0x90
	v_mov_b32_e32 v86, 17
	s_mov_b32 s0, 18
.LBB78_358:                             ; =>This Inner Loop Header: Depth=1
	ds_load_b64 v[96:97], v87
	s_wait_dscnt 0x1
	v_cmp_gt_f32_e32 vcc_lo, 0, v88
	v_cndmask_b32_e64 v98, v88, -v88, vcc_lo
	v_cmp_gt_f32_e32 vcc_lo, 0, v89
	v_cndmask_b32_e64 v100, v89, -v89, vcc_lo
	s_wait_dscnt 0x0
	v_cmp_gt_f32_e32 vcc_lo, 0, v96
	v_cndmask_b32_e64 v99, v96, -v96, vcc_lo
	v_cmp_gt_f32_e32 vcc_lo, 0, v97
	v_cndmask_b32_e64 v101, v97, -v97, vcc_lo
	s_delay_alu instid0(VALU_DEP_1) | instskip(NEXT) | instid1(VALU_DEP_1)
	v_pk_add_f32 v[98:99], v[98:99], v[100:101]
	v_cmp_lt_f32_e32 vcc_lo, v98, v99
	v_dual_add_nc_u32 v87, 8, v87 :: v_dual_cndmask_b32 v89, v89, v97, vcc_lo
	v_cndmask_b32_e32 v88, v88, v96, vcc_lo
	v_cndmask_b32_e64 v86, v86, s0, vcc_lo
	s_add_co_i32 s0, s0, 1
	s_delay_alu instid0(SALU_CYCLE_1)
	s_cmp_lg_u32 s18, s0
	s_cbranch_scc1 .LBB78_358
.LBB78_359:
	s_wait_dscnt 0x0
	v_cmp_eq_f32_e32 vcc_lo, 0, v88
	v_cmp_eq_f32_e64 s0, 0, v89
	s_and_b32 s0, vcc_lo, s0
	s_delay_alu instid0(SALU_CYCLE_1) | instskip(NEXT) | instid1(SALU_CYCLE_1)
	s_and_saveexec_b32 s1, s0
	s_xor_b32 s0, exec_lo, s1
; %bb.360:
	v_cmp_ne_u32_e32 vcc_lo, 0, v92
	v_cndmask_b32_e32 v92, 18, v92, vcc_lo
; %bb.361:
	s_and_not1_saveexec_b32 s0, s0
	s_cbranch_execz .LBB78_367
; %bb.362:
	v_cmp_ngt_f32_e64 s1, |v88|, |v89|
	s_and_saveexec_b32 s12, s1
	s_delay_alu instid0(SALU_CYCLE_1)
	s_xor_b32 s1, exec_lo, s12
	s_cbranch_execz .LBB78_364
; %bb.363:
	v_div_scale_f32 v87, null, v89, v89, v88
	v_div_scale_f32 v97, vcc_lo, v88, v89, v88
	s_delay_alu instid0(VALU_DEP_2) | instskip(SKIP_1) | instid1(TRANS32_DEP_1)
	v_rcp_f32_e32 v95, v87
	v_nop
	v_fma_f32 v96, -v87, v95, 1.0
	s_delay_alu instid0(VALU_DEP_1) | instskip(NEXT) | instid1(VALU_DEP_1)
	v_fmac_f32_e32 v95, v96, v95
	v_mul_f32_e32 v96, v97, v95
	s_delay_alu instid0(VALU_DEP_1) | instskip(NEXT) | instid1(VALU_DEP_1)
	v_fma_f32 v98, -v87, v96, v97
	v_fmac_f32_e32 v96, v98, v95
	s_delay_alu instid0(VALU_DEP_1) | instskip(NEXT) | instid1(VALU_DEP_1)
	v_fma_f32 v87, -v87, v96, v97
	v_div_fmas_f32 v87, v87, v95, v96
	s_delay_alu instid0(VALU_DEP_1) | instskip(NEXT) | instid1(VALU_DEP_1)
	v_div_fixup_f32 v87, v87, v89, v88
	v_fmac_f32_e32 v89, v88, v87
	s_delay_alu instid0(VALU_DEP_1) | instskip(SKIP_1) | instid1(VALU_DEP_2)
	v_div_scale_f32 v88, null, v89, v89, 1.0
	v_div_scale_f32 v97, vcc_lo, 1.0, v89, 1.0
	v_rcp_f32_e32 v95, v88
	v_nop
	s_delay_alu instid0(TRANS32_DEP_1) | instskip(NEXT) | instid1(VALU_DEP_1)
	v_fma_f32 v96, -v88, v95, 1.0
	v_fmac_f32_e32 v95, v96, v95
	s_delay_alu instid0(VALU_DEP_1) | instskip(NEXT) | instid1(VALU_DEP_1)
	v_mul_f32_e32 v96, v97, v95
	v_fma_f32 v98, -v88, v96, v97
	s_delay_alu instid0(VALU_DEP_1) | instskip(NEXT) | instid1(VALU_DEP_1)
	v_fmac_f32_e32 v96, v98, v95
	v_fma_f32 v88, -v88, v96, v97
	s_delay_alu instid0(VALU_DEP_1) | instskip(NEXT) | instid1(VALU_DEP_1)
	v_div_fmas_f32 v88, v88, v95, v96
	v_div_fixup_f32 v89, v88, v89, 1.0
	s_delay_alu instid0(VALU_DEP_1)
	v_mul_f32_e32 v88, v87, v89
	v_xor_b32_e32 v89, 0x80000000, v89
.LBB78_364:
	s_and_not1_saveexec_b32 s1, s1
	s_cbranch_execz .LBB78_366
; %bb.365:
	s_delay_alu instid0(VALU_DEP_1) | instskip(SKIP_1) | instid1(VALU_DEP_2)
	v_div_scale_f32 v87, null, v88, v88, v89
	v_div_scale_f32 v97, vcc_lo, v89, v88, v89
	v_rcp_f32_e32 v95, v87
	v_nop
	s_delay_alu instid0(TRANS32_DEP_1) | instskip(NEXT) | instid1(VALU_DEP_1)
	v_fma_f32 v96, -v87, v95, 1.0
	v_fmac_f32_e32 v95, v96, v95
	s_delay_alu instid0(VALU_DEP_1) | instskip(NEXT) | instid1(VALU_DEP_1)
	v_mul_f32_e32 v96, v97, v95
	v_fma_f32 v98, -v87, v96, v97
	s_delay_alu instid0(VALU_DEP_1) | instskip(NEXT) | instid1(VALU_DEP_1)
	v_fmac_f32_e32 v96, v98, v95
	v_fma_f32 v87, -v87, v96, v97
	s_delay_alu instid0(VALU_DEP_1) | instskip(NEXT) | instid1(VALU_DEP_1)
	v_div_fmas_f32 v87, v87, v95, v96
	v_div_fixup_f32 v87, v87, v88, v89
	s_delay_alu instid0(VALU_DEP_1) | instskip(NEXT) | instid1(VALU_DEP_1)
	v_fmac_f32_e32 v88, v89, v87
	v_div_scale_f32 v89, null, v88, v88, 1.0
	s_delay_alu instid0(VALU_DEP_1) | instskip(SKIP_1) | instid1(TRANS32_DEP_1)
	v_rcp_f32_e32 v95, v89
	v_nop
	v_fma_f32 v96, -v89, v95, 1.0
	s_delay_alu instid0(VALU_DEP_1) | instskip(SKIP_1) | instid1(VALU_DEP_1)
	v_fmac_f32_e32 v95, v96, v95
	v_div_scale_f32 v96, vcc_lo, 1.0, v88, 1.0
	v_mul_f32_e32 v97, v96, v95
	s_delay_alu instid0(VALU_DEP_1) | instskip(NEXT) | instid1(VALU_DEP_1)
	v_fma_f32 v98, -v89, v97, v96
	v_fmac_f32_e32 v97, v98, v95
	s_delay_alu instid0(VALU_DEP_1) | instskip(NEXT) | instid1(VALU_DEP_1)
	v_fma_f32 v89, -v89, v97, v96
	v_div_fmas_f32 v89, v89, v95, v97
	s_delay_alu instid0(VALU_DEP_1) | instskip(NEXT) | instid1(VALU_DEP_1)
	v_div_fixup_f32 v88, v89, v88, 1.0
	v_mul_f32_e64 v89, v87, -v88
.LBB78_366:
	s_or_b32 exec_lo, exec_lo, s1
.LBB78_367:
	s_delay_alu instid0(SALU_CYCLE_1) | instskip(NEXT) | instid1(SALU_CYCLE_1)
	s_or_b32 exec_lo, exec_lo, s0
	s_mov_b32 s0, exec_lo
	v_cmpx_ne_u32_e64 v94, v86
	s_xor_b32 s0, exec_lo, s0
	s_cbranch_execz .LBB78_373
; %bb.368:
	s_mov_b32 s1, exec_lo
	v_cmpx_eq_u32_e32 17, v94
	s_cbranch_execz .LBB78_372
; %bb.369:
	v_cmp_ne_u32_e32 vcc_lo, 17, v86
	s_xor_b32 s12, s16, -1
	s_delay_alu instid0(SALU_CYCLE_1) | instskip(NEXT) | instid1(SALU_CYCLE_1)
	s_and_b32 s13, s12, vcc_lo
	s_and_saveexec_b32 s12, s13
	s_cbranch_execz .LBB78_371
; %bb.370:
	v_ashrrev_i32_e32 v87, 31, v86
	s_delay_alu instid0(VALU_DEP_1)
	v_lshl_add_u64 v[94:95], v[86:87], 2, v[4:5]
	s_clause 0x1
	global_load_b32 v87, v[94:95], off
	global_load_b32 v93, v[4:5], off offset:68
	s_wait_loadcnt 0x1
	global_store_b32 v[4:5], v87, off offset:68
	s_wait_loadcnt 0x0
	global_store_b32 v[94:95], v93, off
.LBB78_371:
	s_wait_xcnt 0x0
	s_or_b32 exec_lo, exec_lo, s12
	v_dual_mov_b32 v94, v86 :: v_dual_mov_b32 v93, v86
.LBB78_372:
	s_or_b32 exec_lo, exec_lo, s1
.LBB78_373:
	s_and_not1_saveexec_b32 s0, s0
	s_cbranch_execz .LBB78_375
; %bb.374:
	v_dual_mov_b32 v86, v66 :: v_dual_mov_b32 v87, v67
	v_dual_mov_b32 v94, v22 :: v_dual_mov_b32 v95, v23
	ds_store_2addr_b64 v90, v[86:87], v[94:95] offset0:18 offset1:19
	v_dual_mov_b32 v86, v62 :: v_dual_mov_b32 v87, v63
	v_dual_mov_b32 v94, v58 :: v_dual_mov_b32 v95, v59
	ds_store_2addr_b64 v90, v[86:87], v[94:95] offset0:20 offset1:21
	;; [unrolled: 3-line block ×10, first 2 shown]
	v_dual_mov_b32 v86, v18 :: v_dual_mov_b32 v87, v19
	v_mov_b32_e32 v94, 17
	ds_store_2addr_b64 v90, v[86:87], v[84:85] offset0:38 offset1:39
.LBB78_375:
	s_or_b32 exec_lo, exec_lo, s0
	s_delay_alu instid0(SALU_CYCLE_1)
	s_mov_b32 s0, exec_lo
	s_wait_storecnt_dscnt 0x0
	s_barrier_signal -1
	s_barrier_wait -1
	v_cmpx_lt_i32_e32 17, v94
	s_cbranch_execz .LBB78_377
; %bb.376:
	v_pk_mul_f32 v[96:97], v[88:89], v[64:65] op_sel:[1,1] op_sel_hi:[0,1]
	s_delay_alu instid0(VALU_DEP_1)
	v_pk_fma_f32 v[86:87], v[88:89], v[64:65], v[96:97] op_sel_hi:[1,0,1] neg_lo:[0,0,1] neg_hi:[0,0,1]
	v_pk_fma_f32 v[88:89], v[88:89], v[64:65], v[96:97] op_sel_hi:[1,0,1]
	ds_load_2addr_b64 v[96:99], v90 offset0:18 offset1:19
	v_dual_mov_b32 v64, v86 :: v_dual_mov_b32 v65, v89
	s_wait_dscnt 0x0
	v_pk_mul_f32 v[100:101], v[96:97], v[88:89] op_sel:[0,1]
	s_delay_alu instid0(VALU_DEP_1) | instskip(SKIP_1) | instid1(VALU_DEP_1)
	v_pk_fma_f32 v[102:103], v[96:97], v[86:87], v[100:101] op_sel:[0,0,1] op_sel_hi:[1,1,0] neg_lo:[0,0,1] neg_hi:[0,0,1]
	v_pk_fma_f32 v[96:97], v[96:97], v[86:87], v[100:101] op_sel:[0,0,1] op_sel_hi:[1,0,0]
	v_mov_b32_e32 v103, v97
	v_pk_mul_f32 v[96:97], v[98:99], v[88:89] op_sel:[0,1]
	s_delay_alu instid0(VALU_DEP_1) | instskip(SKIP_1) | instid1(VALU_DEP_1)
	v_pk_fma_f32 v[100:101], v[98:99], v[86:87], v[96:97] op_sel:[0,0,1] op_sel_hi:[1,1,0] neg_lo:[0,0,1] neg_hi:[0,0,1]
	v_pk_fma_f32 v[96:97], v[98:99], v[86:87], v[96:97] op_sel:[0,0,1] op_sel_hi:[1,0,0]
	v_mov_b32_e32 v101, v97
	ds_load_2addr_b64 v[96:99], v90 offset0:20 offset1:21
	v_pk_add_f32 v[66:67], v[66:67], v[102:103] neg_lo:[0,1] neg_hi:[0,1]
	v_pk_add_f32 v[22:23], v[22:23], v[100:101] neg_lo:[0,1] neg_hi:[0,1]
	s_wait_dscnt 0x0
	v_pk_mul_f32 v[100:101], v[96:97], v[88:89] op_sel:[0,1]
	s_delay_alu instid0(VALU_DEP_1) | instskip(SKIP_2) | instid1(VALU_DEP_2)
	v_pk_fma_f32 v[102:103], v[96:97], v[86:87], v[100:101] op_sel:[0,0,1] op_sel_hi:[1,1,0] neg_lo:[0,0,1] neg_hi:[0,0,1]
	v_pk_fma_f32 v[96:97], v[96:97], v[86:87], v[100:101] op_sel:[0,0,1] op_sel_hi:[1,0,0]
	v_dual_mul_f32 v100, v99, v89 :: v_dual_mov_b32 v96, v99
	v_dual_mov_b32 v103, v97 :: v_dual_mov_b32 v97, v98
	s_delay_alu instid0(VALU_DEP_2) | instskip(SKIP_1) | instid1(VALU_DEP_3)
	v_pk_fma_f32 v[100:101], v[98:99], v[64:65], v[100:101] op_sel_hi:[1,1,0] neg_lo:[0,0,1] neg_hi:[0,0,1]
	v_mul_f32_e32 v98, v99, v86
	v_pk_add_f32 v[62:63], v[62:63], v[102:103] neg_lo:[0,1] neg_hi:[0,1]
	s_delay_alu instid0(VALU_DEP_2) | instskip(NEXT) | instid1(VALU_DEP_1)
	v_pk_fma_f32 v[96:97], v[96:97], v[64:65], v[98:99] op_sel_hi:[1,1,0]
	v_mov_b32_e32 v101, v97
	ds_load_2addr_b64 v[96:99], v90 offset0:22 offset1:23
	v_pk_add_f32 v[58:59], v[58:59], v[100:101] neg_lo:[0,1] neg_hi:[0,1]
	s_wait_dscnt 0x0
	v_pk_mul_f32 v[100:101], v[96:97], v[88:89] op_sel:[0,1]
	s_delay_alu instid0(VALU_DEP_1) | instskip(SKIP_1) | instid1(VALU_DEP_1)
	v_pk_fma_f32 v[102:103], v[96:97], v[86:87], v[100:101] op_sel:[0,0,1] op_sel_hi:[1,1,0] neg_lo:[0,0,1] neg_hi:[0,0,1]
	v_pk_fma_f32 v[96:97], v[96:97], v[86:87], v[100:101] op_sel:[0,0,1] op_sel_hi:[1,0,0]
	v_mov_b32_e32 v103, v97
	v_pk_mul_f32 v[96:97], v[98:99], v[88:89] op_sel:[0,1]
	s_delay_alu instid0(VALU_DEP_1) | instskip(SKIP_1) | instid1(VALU_DEP_1)
	v_pk_fma_f32 v[100:101], v[98:99], v[86:87], v[96:97] op_sel:[0,0,1] op_sel_hi:[1,1,0] neg_lo:[0,0,1] neg_hi:[0,0,1]
	v_pk_fma_f32 v[96:97], v[98:99], v[86:87], v[96:97] op_sel:[0,0,1] op_sel_hi:[1,0,0]
	v_mov_b32_e32 v101, v97
	ds_load_2addr_b64 v[96:99], v90 offset0:24 offset1:25
	v_pk_add_f32 v[60:61], v[60:61], v[102:103] neg_lo:[0,1] neg_hi:[0,1]
	v_pk_add_f32 v[16:17], v[16:17], v[100:101] neg_lo:[0,1] neg_hi:[0,1]
	s_wait_dscnt 0x0
	v_pk_mul_f32 v[100:101], v[96:97], v[88:89] op_sel:[0,1]
	s_delay_alu instid0(VALU_DEP_1) | instskip(SKIP_1) | instid1(VALU_DEP_1)
	v_pk_fma_f32 v[102:103], v[96:97], v[86:87], v[100:101] op_sel:[0,0,1] op_sel_hi:[1,1,0] neg_lo:[0,0,1] neg_hi:[0,0,1]
	v_pk_fma_f32 v[96:97], v[96:97], v[86:87], v[100:101] op_sel:[0,0,1] op_sel_hi:[1,0,0]
	v_mov_b32_e32 v103, v97
	v_pk_mul_f32 v[96:97], v[98:99], v[88:89] op_sel:[0,1]
	s_delay_alu instid0(VALU_DEP_1) | instskip(SKIP_1) | instid1(VALU_DEP_1)
	v_pk_fma_f32 v[100:101], v[98:99], v[86:87], v[96:97] op_sel:[0,0,1] op_sel_hi:[1,1,0] neg_lo:[0,0,1] neg_hi:[0,0,1]
	v_pk_fma_f32 v[96:97], v[98:99], v[86:87], v[96:97] op_sel:[0,0,1] op_sel_hi:[1,0,0]
	v_mov_b32_e32 v101, v97
	ds_load_2addr_b64 v[96:99], v90 offset0:26 offset1:27
	v_pk_add_f32 v[56:57], v[56:57], v[102:103] neg_lo:[0,1] neg_hi:[0,1]
	v_pk_add_f32 v[52:53], v[52:53], v[100:101] neg_lo:[0,1] neg_hi:[0,1]
	s_wait_dscnt 0x0
	v_dual_mul_f32 v100, v97, v89 :: v_dual_mul_f32 v102, v97, v86
	s_delay_alu instid0(VALU_DEP_1) | instskip(NEXT) | instid1(VALU_DEP_2)
	v_pk_fma_f32 v[100:101], v[96:97], v[64:65], v[100:101] op_sel_hi:[1,1,0] neg_lo:[0,0,1] neg_hi:[0,0,1]
	v_pk_fma_f32 v[96:97], v[96:97], v[64:65], v[102:103] op_sel:[1,0,0] op_sel_hi:[0,1,0]
	s_delay_alu instid0(VALU_DEP_1) | instskip(SKIP_1) | instid1(VALU_DEP_2)
	v_mov_b32_e32 v101, v97
	v_pk_mul_f32 v[96:97], v[98:99], v[88:89] op_sel:[0,1]
	v_pk_add_f32 v[54:55], v[54:55], v[100:101] neg_lo:[0,1] neg_hi:[0,1]
	s_delay_alu instid0(VALU_DEP_2) | instskip(SKIP_1) | instid1(VALU_DEP_1)
	v_pk_fma_f32 v[100:101], v[98:99], v[86:87], v[96:97] op_sel:[0,0,1] op_sel_hi:[1,1,0] neg_lo:[0,0,1] neg_hi:[0,0,1]
	v_pk_fma_f32 v[96:97], v[98:99], v[86:87], v[96:97] op_sel:[0,0,1] op_sel_hi:[1,0,0]
	v_mov_b32_e32 v101, v97
	ds_load_2addr_b64 v[96:99], v90 offset0:28 offset1:29
	v_pk_add_f32 v[14:15], v[14:15], v[100:101] neg_lo:[0,1] neg_hi:[0,1]
	s_wait_dscnt 0x0
	v_pk_mul_f32 v[100:101], v[96:97], v[88:89] op_sel:[0,1]
	s_delay_alu instid0(VALU_DEP_1) | instskip(SKIP_1) | instid1(VALU_DEP_1)
	v_pk_fma_f32 v[102:103], v[96:97], v[86:87], v[100:101] op_sel:[0,0,1] op_sel_hi:[1,1,0] neg_lo:[0,0,1] neg_hi:[0,0,1]
	v_pk_fma_f32 v[96:97], v[96:97], v[86:87], v[100:101] op_sel:[0,0,1] op_sel_hi:[1,0,0]
	v_mov_b32_e32 v103, v97
	v_pk_mul_f32 v[96:97], v[98:99], v[88:89] op_sel:[0,1]
	s_delay_alu instid0(VALU_DEP_2) | instskip(NEXT) | instid1(VALU_DEP_2)
	v_pk_add_f32 v[38:39], v[38:39], v[102:103] neg_lo:[0,1] neg_hi:[0,1]
	v_pk_fma_f32 v[100:101], v[98:99], v[86:87], v[96:97] op_sel:[0,0,1] op_sel_hi:[1,1,0] neg_lo:[0,0,1] neg_hi:[0,0,1]
	v_pk_fma_f32 v[96:97], v[98:99], v[86:87], v[96:97] op_sel:[0,0,1] op_sel_hi:[1,0,0]
	s_delay_alu instid0(VALU_DEP_1) | instskip(SKIP_4) | instid1(VALU_DEP_1)
	v_mov_b32_e32 v101, v97
	ds_load_2addr_b64 v[96:99], v90 offset0:30 offset1:31
	v_pk_add_f32 v[34:35], v[34:35], v[100:101] neg_lo:[0,1] neg_hi:[0,1]
	s_wait_dscnt 0x0
	v_pk_mul_f32 v[100:101], v[96:97], v[88:89] op_sel:[0,1]
	v_pk_fma_f32 v[102:103], v[96:97], v[86:87], v[100:101] op_sel:[0,0,1] op_sel_hi:[1,1,0] neg_lo:[0,0,1] neg_hi:[0,0,1]
	v_pk_fma_f32 v[96:97], v[96:97], v[86:87], v[100:101] op_sel:[0,0,1] op_sel_hi:[1,0,0]
	v_dual_mul_f32 v100, v99, v89 :: v_dual_mov_b32 v96, v99
	s_delay_alu instid0(VALU_DEP_2) | instskip(NEXT) | instid1(VALU_DEP_2)
	v_dual_mov_b32 v103, v97 :: v_dual_mov_b32 v97, v98
	v_pk_fma_f32 v[100:101], v[98:99], v[64:65], v[100:101] op_sel_hi:[1,1,0] neg_lo:[0,0,1] neg_hi:[0,0,1]
	v_mul_f32_e32 v98, v99, v86
	s_delay_alu instid0(VALU_DEP_3) | instskip(NEXT) | instid1(VALU_DEP_2)
	v_pk_add_f32 v[36:37], v[36:37], v[102:103] neg_lo:[0,1] neg_hi:[0,1]
	v_pk_fma_f32 v[96:97], v[96:97], v[64:65], v[98:99] op_sel_hi:[1,1,0]
	s_delay_alu instid0(VALU_DEP_1) | instskip(SKIP_4) | instid1(VALU_DEP_1)
	v_mov_b32_e32 v101, v97
	ds_load_2addr_b64 v[96:99], v90 offset0:32 offset1:33
	v_pk_add_f32 v[6:7], v[6:7], v[100:101] neg_lo:[0,1] neg_hi:[0,1]
	s_wait_dscnt 0x0
	v_pk_mul_f32 v[100:101], v[96:97], v[88:89] op_sel:[0,1]
	v_pk_fma_f32 v[102:103], v[96:97], v[86:87], v[100:101] op_sel:[0,0,1] op_sel_hi:[1,1,0] neg_lo:[0,0,1] neg_hi:[0,0,1]
	v_pk_fma_f32 v[96:97], v[96:97], v[86:87], v[100:101] op_sel:[0,0,1] op_sel_hi:[1,0,0]
	s_delay_alu instid0(VALU_DEP_1) | instskip(SKIP_1) | instid1(VALU_DEP_1)
	v_mov_b32_e32 v103, v97
	v_pk_mul_f32 v[96:97], v[98:99], v[88:89] op_sel:[0,1]
	v_pk_fma_f32 v[100:101], v[98:99], v[86:87], v[96:97] op_sel:[0,0,1] op_sel_hi:[1,1,0] neg_lo:[0,0,1] neg_hi:[0,0,1]
	v_pk_fma_f32 v[96:97], v[98:99], v[86:87], v[96:97] op_sel:[0,0,1] op_sel_hi:[1,0,0]
	s_delay_alu instid0(VALU_DEP_1)
	v_mov_b32_e32 v101, v97
	ds_load_2addr_b64 v[96:99], v90 offset0:34 offset1:35
	v_pk_add_f32 v[32:33], v[32:33], v[102:103] neg_lo:[0,1] neg_hi:[0,1]
	v_pk_add_f32 v[28:29], v[28:29], v[100:101] neg_lo:[0,1] neg_hi:[0,1]
	s_wait_dscnt 0x0
	v_pk_mul_f32 v[100:101], v[96:97], v[88:89] op_sel:[0,1]
	s_delay_alu instid0(VALU_DEP_1) | instskip(SKIP_1) | instid1(VALU_DEP_1)
	v_pk_fma_f32 v[102:103], v[96:97], v[86:87], v[100:101] op_sel:[0,0,1] op_sel_hi:[1,1,0] neg_lo:[0,0,1] neg_hi:[0,0,1]
	v_pk_fma_f32 v[96:97], v[96:97], v[86:87], v[100:101] op_sel:[0,0,1] op_sel_hi:[1,0,0]
	v_mov_b32_e32 v103, v97
	v_pk_mul_f32 v[96:97], v[98:99], v[88:89] op_sel:[0,1]
	s_delay_alu instid0(VALU_DEP_1) | instskip(SKIP_1) | instid1(VALU_DEP_1)
	v_pk_fma_f32 v[100:101], v[98:99], v[86:87], v[96:97] op_sel:[0,0,1] op_sel_hi:[1,1,0] neg_lo:[0,0,1] neg_hi:[0,0,1]
	v_pk_fma_f32 v[96:97], v[98:99], v[86:87], v[96:97] op_sel:[0,0,1] op_sel_hi:[1,0,0]
	v_mov_b32_e32 v101, v97
	ds_load_2addr_b64 v[96:99], v90 offset0:36 offset1:37
	v_pk_add_f32 v[30:31], v[30:31], v[102:103] neg_lo:[0,1] neg_hi:[0,1]
	v_pk_add_f32 v[8:9], v[8:9], v[100:101] neg_lo:[0,1] neg_hi:[0,1]
	s_wait_dscnt 0x0
	v_dual_mul_f32 v100, v97, v89 :: v_dual_mul_f32 v102, v97, v86
	s_delay_alu instid0(VALU_DEP_1) | instskip(NEXT) | instid1(VALU_DEP_2)
	v_pk_fma_f32 v[100:101], v[96:97], v[64:65], v[100:101] op_sel_hi:[1,1,0] neg_lo:[0,0,1] neg_hi:[0,0,1]
	v_pk_fma_f32 v[96:97], v[96:97], v[64:65], v[102:103] op_sel:[1,0,0] op_sel_hi:[0,1,0]
	s_delay_alu instid0(VALU_DEP_1) | instskip(SKIP_1) | instid1(VALU_DEP_2)
	v_mov_b32_e32 v101, v97
	v_pk_mul_f32 v[96:97], v[98:99], v[88:89] op_sel:[0,1]
	v_pk_add_f32 v[26:27], v[26:27], v[100:101] neg_lo:[0,1] neg_hi:[0,1]
	s_delay_alu instid0(VALU_DEP_2) | instskip(SKIP_1) | instid1(VALU_DEP_1)
	v_pk_fma_f32 v[100:101], v[98:99], v[86:87], v[96:97] op_sel:[0,0,1] op_sel_hi:[1,1,0] neg_lo:[0,0,1] neg_hi:[0,0,1]
	v_pk_fma_f32 v[96:97], v[98:99], v[86:87], v[96:97] op_sel:[0,0,1] op_sel_hi:[1,0,0]
	v_mov_b32_e32 v101, v97
	ds_load_2addr_b64 v[96:99], v90 offset0:38 offset1:39
	v_pk_add_f32 v[20:21], v[20:21], v[100:101] neg_lo:[0,1] neg_hi:[0,1]
	s_wait_dscnt 0x0
	v_pk_mul_f32 v[100:101], v[96:97], v[88:89] op_sel:[0,1]
	v_pk_mul_f32 v[88:89], v[98:99], v[88:89] op_sel:[0,1]
	s_delay_alu instid0(VALU_DEP_2) | instskip(SKIP_1) | instid1(VALU_DEP_1)
	v_pk_fma_f32 v[102:103], v[96:97], v[86:87], v[100:101] op_sel:[0,0,1] op_sel_hi:[1,1,0] neg_lo:[0,0,1] neg_hi:[0,0,1]
	v_pk_fma_f32 v[96:97], v[96:97], v[86:87], v[100:101] op_sel:[0,0,1] op_sel_hi:[1,0,0]
	v_mov_b32_e32 v103, v97
	s_delay_alu instid0(VALU_DEP_4) | instskip(SKIP_1) | instid1(VALU_DEP_3)
	v_pk_fma_f32 v[96:97], v[98:99], v[86:87], v[88:89] op_sel:[0,0,1] op_sel_hi:[1,1,0] neg_lo:[0,0,1] neg_hi:[0,0,1]
	v_pk_fma_f32 v[86:87], v[98:99], v[86:87], v[88:89] op_sel:[0,0,1] op_sel_hi:[1,0,0]
	v_pk_add_f32 v[18:19], v[18:19], v[102:103] neg_lo:[0,1] neg_hi:[0,1]
	s_delay_alu instid0(VALU_DEP_2) | instskip(NEXT) | instid1(VALU_DEP_1)
	v_mov_b32_e32 v97, v87
	v_pk_add_f32 v[84:85], v[84:85], v[96:97] neg_lo:[0,1] neg_hi:[0,1]
.LBB78_377:
	s_or_b32 exec_lo, exec_lo, s0
	v_lshl_add_u32 v86, v94, 3, v90
	s_barrier_signal -1
	s_barrier_wait -1
	ds_store_b64 v86, v[66:67]
	s_wait_dscnt 0x0
	s_barrier_signal -1
	s_barrier_wait -1
	ds_load_b64 v[88:89], v90 offset:144
	v_mov_b32_e32 v86, 18
	s_cmp_lt_i32 s18, 20
	s_cbranch_scc1 .LBB78_380
; %bb.378:
	v_add3_u32 v87, v91, 0, 0x98
	v_mov_b32_e32 v86, 18
	s_mov_b32 s0, 19
.LBB78_379:                             ; =>This Inner Loop Header: Depth=1
	ds_load_b64 v[96:97], v87
	s_wait_dscnt 0x1
	v_cmp_gt_f32_e32 vcc_lo, 0, v88
	v_cndmask_b32_e64 v98, v88, -v88, vcc_lo
	v_cmp_gt_f32_e32 vcc_lo, 0, v89
	v_cndmask_b32_e64 v100, v89, -v89, vcc_lo
	s_wait_dscnt 0x0
	v_cmp_gt_f32_e32 vcc_lo, 0, v96
	v_cndmask_b32_e64 v99, v96, -v96, vcc_lo
	v_cmp_gt_f32_e32 vcc_lo, 0, v97
	v_cndmask_b32_e64 v101, v97, -v97, vcc_lo
	s_delay_alu instid0(VALU_DEP_1) | instskip(NEXT) | instid1(VALU_DEP_1)
	v_pk_add_f32 v[98:99], v[98:99], v[100:101]
	v_cmp_lt_f32_e32 vcc_lo, v98, v99
	v_dual_add_nc_u32 v87, 8, v87 :: v_dual_cndmask_b32 v89, v89, v97, vcc_lo
	v_cndmask_b32_e32 v88, v88, v96, vcc_lo
	v_cndmask_b32_e64 v86, v86, s0, vcc_lo
	s_add_co_i32 s0, s0, 1
	s_delay_alu instid0(SALU_CYCLE_1)
	s_cmp_lg_u32 s18, s0
	s_cbranch_scc1 .LBB78_379
.LBB78_380:
	s_wait_dscnt 0x0
	v_cmp_eq_f32_e32 vcc_lo, 0, v88
	v_cmp_eq_f32_e64 s0, 0, v89
	s_and_b32 s0, vcc_lo, s0
	s_delay_alu instid0(SALU_CYCLE_1) | instskip(NEXT) | instid1(SALU_CYCLE_1)
	s_and_saveexec_b32 s1, s0
	s_xor_b32 s0, exec_lo, s1
; %bb.381:
	v_cmp_ne_u32_e32 vcc_lo, 0, v92
	v_cndmask_b32_e32 v92, 19, v92, vcc_lo
; %bb.382:
	s_and_not1_saveexec_b32 s0, s0
	s_cbranch_execz .LBB78_388
; %bb.383:
	v_cmp_ngt_f32_e64 s1, |v88|, |v89|
	s_and_saveexec_b32 s12, s1
	s_delay_alu instid0(SALU_CYCLE_1)
	s_xor_b32 s1, exec_lo, s12
	s_cbranch_execz .LBB78_385
; %bb.384:
	v_div_scale_f32 v87, null, v89, v89, v88
	v_div_scale_f32 v97, vcc_lo, v88, v89, v88
	s_delay_alu instid0(VALU_DEP_2) | instskip(SKIP_1) | instid1(TRANS32_DEP_1)
	v_rcp_f32_e32 v95, v87
	v_nop
	v_fma_f32 v96, -v87, v95, 1.0
	s_delay_alu instid0(VALU_DEP_1) | instskip(NEXT) | instid1(VALU_DEP_1)
	v_fmac_f32_e32 v95, v96, v95
	v_mul_f32_e32 v96, v97, v95
	s_delay_alu instid0(VALU_DEP_1) | instskip(NEXT) | instid1(VALU_DEP_1)
	v_fma_f32 v98, -v87, v96, v97
	v_fmac_f32_e32 v96, v98, v95
	s_delay_alu instid0(VALU_DEP_1) | instskip(NEXT) | instid1(VALU_DEP_1)
	v_fma_f32 v87, -v87, v96, v97
	v_div_fmas_f32 v87, v87, v95, v96
	s_delay_alu instid0(VALU_DEP_1) | instskip(NEXT) | instid1(VALU_DEP_1)
	v_div_fixup_f32 v87, v87, v89, v88
	v_fmac_f32_e32 v89, v88, v87
	s_delay_alu instid0(VALU_DEP_1) | instskip(SKIP_1) | instid1(VALU_DEP_2)
	v_div_scale_f32 v88, null, v89, v89, 1.0
	v_div_scale_f32 v97, vcc_lo, 1.0, v89, 1.0
	v_rcp_f32_e32 v95, v88
	v_nop
	s_delay_alu instid0(TRANS32_DEP_1) | instskip(NEXT) | instid1(VALU_DEP_1)
	v_fma_f32 v96, -v88, v95, 1.0
	v_fmac_f32_e32 v95, v96, v95
	s_delay_alu instid0(VALU_DEP_1) | instskip(NEXT) | instid1(VALU_DEP_1)
	v_mul_f32_e32 v96, v97, v95
	v_fma_f32 v98, -v88, v96, v97
	s_delay_alu instid0(VALU_DEP_1) | instskip(NEXT) | instid1(VALU_DEP_1)
	v_fmac_f32_e32 v96, v98, v95
	v_fma_f32 v88, -v88, v96, v97
	s_delay_alu instid0(VALU_DEP_1) | instskip(NEXT) | instid1(VALU_DEP_1)
	v_div_fmas_f32 v88, v88, v95, v96
	v_div_fixup_f32 v89, v88, v89, 1.0
	s_delay_alu instid0(VALU_DEP_1)
	v_mul_f32_e32 v88, v87, v89
	v_xor_b32_e32 v89, 0x80000000, v89
.LBB78_385:
	s_and_not1_saveexec_b32 s1, s1
	s_cbranch_execz .LBB78_387
; %bb.386:
	s_delay_alu instid0(VALU_DEP_1) | instskip(SKIP_1) | instid1(VALU_DEP_2)
	v_div_scale_f32 v87, null, v88, v88, v89
	v_div_scale_f32 v97, vcc_lo, v89, v88, v89
	v_rcp_f32_e32 v95, v87
	v_nop
	s_delay_alu instid0(TRANS32_DEP_1) | instskip(NEXT) | instid1(VALU_DEP_1)
	v_fma_f32 v96, -v87, v95, 1.0
	v_fmac_f32_e32 v95, v96, v95
	s_delay_alu instid0(VALU_DEP_1) | instskip(NEXT) | instid1(VALU_DEP_1)
	v_mul_f32_e32 v96, v97, v95
	v_fma_f32 v98, -v87, v96, v97
	s_delay_alu instid0(VALU_DEP_1) | instskip(NEXT) | instid1(VALU_DEP_1)
	v_fmac_f32_e32 v96, v98, v95
	v_fma_f32 v87, -v87, v96, v97
	s_delay_alu instid0(VALU_DEP_1) | instskip(NEXT) | instid1(VALU_DEP_1)
	v_div_fmas_f32 v87, v87, v95, v96
	v_div_fixup_f32 v87, v87, v88, v89
	s_delay_alu instid0(VALU_DEP_1) | instskip(NEXT) | instid1(VALU_DEP_1)
	v_fmac_f32_e32 v88, v89, v87
	v_div_scale_f32 v89, null, v88, v88, 1.0
	s_delay_alu instid0(VALU_DEP_1) | instskip(SKIP_1) | instid1(TRANS32_DEP_1)
	v_rcp_f32_e32 v95, v89
	v_nop
	v_fma_f32 v96, -v89, v95, 1.0
	s_delay_alu instid0(VALU_DEP_1) | instskip(SKIP_1) | instid1(VALU_DEP_1)
	v_fmac_f32_e32 v95, v96, v95
	v_div_scale_f32 v96, vcc_lo, 1.0, v88, 1.0
	v_mul_f32_e32 v97, v96, v95
	s_delay_alu instid0(VALU_DEP_1) | instskip(NEXT) | instid1(VALU_DEP_1)
	v_fma_f32 v98, -v89, v97, v96
	v_fmac_f32_e32 v97, v98, v95
	s_delay_alu instid0(VALU_DEP_1) | instskip(NEXT) | instid1(VALU_DEP_1)
	v_fma_f32 v89, -v89, v97, v96
	v_div_fmas_f32 v89, v89, v95, v97
	s_delay_alu instid0(VALU_DEP_1) | instskip(NEXT) | instid1(VALU_DEP_1)
	v_div_fixup_f32 v88, v89, v88, 1.0
	v_mul_f32_e64 v89, v87, -v88
.LBB78_387:
	s_or_b32 exec_lo, exec_lo, s1
.LBB78_388:
	s_delay_alu instid0(SALU_CYCLE_1) | instskip(NEXT) | instid1(SALU_CYCLE_1)
	s_or_b32 exec_lo, exec_lo, s0
	s_mov_b32 s0, exec_lo
	v_cmpx_ne_u32_e64 v94, v86
	s_xor_b32 s0, exec_lo, s0
	s_cbranch_execz .LBB78_394
; %bb.389:
	s_mov_b32 s1, exec_lo
	v_cmpx_eq_u32_e32 18, v94
	s_cbranch_execz .LBB78_393
; %bb.390:
	v_cmp_ne_u32_e32 vcc_lo, 18, v86
	s_xor_b32 s12, s16, -1
	s_delay_alu instid0(SALU_CYCLE_1) | instskip(NEXT) | instid1(SALU_CYCLE_1)
	s_and_b32 s13, s12, vcc_lo
	s_and_saveexec_b32 s12, s13
	s_cbranch_execz .LBB78_392
; %bb.391:
	v_ashrrev_i32_e32 v87, 31, v86
	s_delay_alu instid0(VALU_DEP_1)
	v_lshl_add_u64 v[94:95], v[86:87], 2, v[4:5]
	s_clause 0x1
	global_load_b32 v87, v[94:95], off
	global_load_b32 v93, v[4:5], off offset:72
	s_wait_loadcnt 0x1
	global_store_b32 v[4:5], v87, off offset:72
	s_wait_loadcnt 0x0
	global_store_b32 v[94:95], v93, off
.LBB78_392:
	s_wait_xcnt 0x0
	s_or_b32 exec_lo, exec_lo, s12
	v_dual_mov_b32 v94, v86 :: v_dual_mov_b32 v93, v86
.LBB78_393:
	s_or_b32 exec_lo, exec_lo, s1
.LBB78_394:
	s_and_not1_saveexec_b32 s0, s0
	s_cbranch_execz .LBB78_396
; %bb.395:
	v_mov_b32_e32 v94, 18
	ds_store_2addr_b64 v90, v[22:23], v[62:63] offset0:19 offset1:20
	ds_store_2addr_b64 v90, v[58:59], v[60:61] offset0:21 offset1:22
	;; [unrolled: 1-line block ×10, first 2 shown]
	ds_store_b64 v90, v[84:85] offset:312
.LBB78_396:
	s_or_b32 exec_lo, exec_lo, s0
	s_delay_alu instid0(SALU_CYCLE_1)
	s_mov_b32 s0, exec_lo
	s_wait_storecnt_dscnt 0x0
	s_barrier_signal -1
	s_barrier_wait -1
	v_cmpx_lt_i32_e32 18, v94
	s_cbranch_execz .LBB78_398
; %bb.397:
	v_pk_mul_f32 v[96:97], v[88:89], v[66:67] op_sel:[1,1] op_sel_hi:[0,1]
	s_delay_alu instid0(VALU_DEP_1)
	v_pk_fma_f32 v[86:87], v[88:89], v[66:67], v[96:97] op_sel_hi:[1,0,1] neg_lo:[0,0,1] neg_hi:[0,0,1]
	v_pk_fma_f32 v[88:89], v[88:89], v[66:67], v[96:97] op_sel_hi:[1,0,1]
	ds_load_2addr_b64 v[96:99], v90 offset0:19 offset1:20
	v_dual_mov_b32 v66, v86 :: v_dual_mov_b32 v67, v89
	s_wait_dscnt 0x0
	v_pk_mul_f32 v[100:101], v[96:97], v[88:89] op_sel:[0,1]
	s_delay_alu instid0(VALU_DEP_1) | instskip(SKIP_1) | instid1(VALU_DEP_1)
	v_pk_fma_f32 v[102:103], v[96:97], v[86:87], v[100:101] op_sel:[0,0,1] op_sel_hi:[1,1,0] neg_lo:[0,0,1] neg_hi:[0,0,1]
	v_pk_fma_f32 v[96:97], v[96:97], v[86:87], v[100:101] op_sel:[0,0,1] op_sel_hi:[1,0,0]
	v_mov_b32_e32 v103, v97
	v_pk_mul_f32 v[96:97], v[98:99], v[88:89] op_sel:[0,1]
	s_delay_alu instid0(VALU_DEP_1) | instskip(SKIP_1) | instid1(VALU_DEP_1)
	v_pk_fma_f32 v[100:101], v[98:99], v[86:87], v[96:97] op_sel:[0,0,1] op_sel_hi:[1,1,0] neg_lo:[0,0,1] neg_hi:[0,0,1]
	v_pk_fma_f32 v[96:97], v[98:99], v[86:87], v[96:97] op_sel:[0,0,1] op_sel_hi:[1,0,0]
	v_mov_b32_e32 v101, v97
	ds_load_2addr_b64 v[96:99], v90 offset0:21 offset1:22
	v_pk_add_f32 v[22:23], v[22:23], v[102:103] neg_lo:[0,1] neg_hi:[0,1]
	v_pk_add_f32 v[62:63], v[62:63], v[100:101] neg_lo:[0,1] neg_hi:[0,1]
	s_wait_dscnt 0x0
	v_pk_mul_f32 v[100:101], v[96:97], v[88:89] op_sel:[0,1]
	s_delay_alu instid0(VALU_DEP_1) | instskip(SKIP_2) | instid1(VALU_DEP_2)
	v_pk_fma_f32 v[102:103], v[96:97], v[86:87], v[100:101] op_sel:[0,0,1] op_sel_hi:[1,1,0] neg_lo:[0,0,1] neg_hi:[0,0,1]
	v_pk_fma_f32 v[96:97], v[96:97], v[86:87], v[100:101] op_sel:[0,0,1] op_sel_hi:[1,0,0]
	v_dual_mul_f32 v100, v99, v89 :: v_dual_mov_b32 v96, v99
	v_dual_mov_b32 v103, v97 :: v_dual_mov_b32 v97, v98
	s_delay_alu instid0(VALU_DEP_2) | instskip(SKIP_1) | instid1(VALU_DEP_3)
	v_pk_fma_f32 v[100:101], v[98:99], v[66:67], v[100:101] op_sel_hi:[1,1,0] neg_lo:[0,0,1] neg_hi:[0,0,1]
	v_mul_f32_e32 v98, v99, v86
	v_pk_add_f32 v[58:59], v[58:59], v[102:103] neg_lo:[0,1] neg_hi:[0,1]
	s_delay_alu instid0(VALU_DEP_2) | instskip(NEXT) | instid1(VALU_DEP_1)
	v_pk_fma_f32 v[96:97], v[96:97], v[66:67], v[98:99] op_sel_hi:[1,1,0]
	v_mov_b32_e32 v101, v97
	ds_load_2addr_b64 v[96:99], v90 offset0:23 offset1:24
	v_pk_add_f32 v[60:61], v[60:61], v[100:101] neg_lo:[0,1] neg_hi:[0,1]
	s_wait_dscnt 0x0
	v_pk_mul_f32 v[100:101], v[96:97], v[88:89] op_sel:[0,1]
	s_delay_alu instid0(VALU_DEP_1) | instskip(SKIP_1) | instid1(VALU_DEP_1)
	v_pk_fma_f32 v[102:103], v[96:97], v[86:87], v[100:101] op_sel:[0,0,1] op_sel_hi:[1,1,0] neg_lo:[0,0,1] neg_hi:[0,0,1]
	v_pk_fma_f32 v[96:97], v[96:97], v[86:87], v[100:101] op_sel:[0,0,1] op_sel_hi:[1,0,0]
	v_mov_b32_e32 v103, v97
	v_pk_mul_f32 v[96:97], v[98:99], v[88:89] op_sel:[0,1]
	s_delay_alu instid0(VALU_DEP_1) | instskip(SKIP_1) | instid1(VALU_DEP_1)
	v_pk_fma_f32 v[100:101], v[98:99], v[86:87], v[96:97] op_sel:[0,0,1] op_sel_hi:[1,1,0] neg_lo:[0,0,1] neg_hi:[0,0,1]
	v_pk_fma_f32 v[96:97], v[98:99], v[86:87], v[96:97] op_sel:[0,0,1] op_sel_hi:[1,0,0]
	v_mov_b32_e32 v101, v97
	ds_load_2addr_b64 v[96:99], v90 offset0:25 offset1:26
	v_pk_add_f32 v[16:17], v[16:17], v[102:103] neg_lo:[0,1] neg_hi:[0,1]
	v_pk_add_f32 v[56:57], v[56:57], v[100:101] neg_lo:[0,1] neg_hi:[0,1]
	s_wait_dscnt 0x0
	v_pk_mul_f32 v[100:101], v[96:97], v[88:89] op_sel:[0,1]
	s_delay_alu instid0(VALU_DEP_1) | instskip(SKIP_1) | instid1(VALU_DEP_1)
	v_pk_fma_f32 v[102:103], v[96:97], v[86:87], v[100:101] op_sel:[0,0,1] op_sel_hi:[1,1,0] neg_lo:[0,0,1] neg_hi:[0,0,1]
	v_pk_fma_f32 v[96:97], v[96:97], v[86:87], v[100:101] op_sel:[0,0,1] op_sel_hi:[1,0,0]
	v_mov_b32_e32 v103, v97
	v_pk_mul_f32 v[96:97], v[98:99], v[88:89] op_sel:[0,1]
	s_delay_alu instid0(VALU_DEP_1) | instskip(SKIP_1) | instid1(VALU_DEP_1)
	v_pk_fma_f32 v[100:101], v[98:99], v[86:87], v[96:97] op_sel:[0,0,1] op_sel_hi:[1,1,0] neg_lo:[0,0,1] neg_hi:[0,0,1]
	v_pk_fma_f32 v[96:97], v[98:99], v[86:87], v[96:97] op_sel:[0,0,1] op_sel_hi:[1,0,0]
	v_mov_b32_e32 v101, v97
	ds_load_2addr_b64 v[96:99], v90 offset0:27 offset1:28
	v_pk_add_f32 v[52:53], v[52:53], v[102:103] neg_lo:[0,1] neg_hi:[0,1]
	v_pk_add_f32 v[54:55], v[54:55], v[100:101] neg_lo:[0,1] neg_hi:[0,1]
	s_wait_dscnt 0x0
	v_dual_mul_f32 v100, v97, v89 :: v_dual_mul_f32 v102, v97, v86
	s_delay_alu instid0(VALU_DEP_1) | instskip(NEXT) | instid1(VALU_DEP_2)
	v_pk_fma_f32 v[100:101], v[96:97], v[66:67], v[100:101] op_sel_hi:[1,1,0] neg_lo:[0,0,1] neg_hi:[0,0,1]
	v_pk_fma_f32 v[96:97], v[96:97], v[66:67], v[102:103] op_sel:[1,0,0] op_sel_hi:[0,1,0]
	s_delay_alu instid0(VALU_DEP_1) | instskip(SKIP_1) | instid1(VALU_DEP_2)
	v_mov_b32_e32 v101, v97
	v_pk_mul_f32 v[96:97], v[98:99], v[88:89] op_sel:[0,1]
	v_pk_add_f32 v[14:15], v[14:15], v[100:101] neg_lo:[0,1] neg_hi:[0,1]
	s_delay_alu instid0(VALU_DEP_2) | instskip(SKIP_1) | instid1(VALU_DEP_1)
	v_pk_fma_f32 v[100:101], v[98:99], v[86:87], v[96:97] op_sel:[0,0,1] op_sel_hi:[1,1,0] neg_lo:[0,0,1] neg_hi:[0,0,1]
	v_pk_fma_f32 v[96:97], v[98:99], v[86:87], v[96:97] op_sel:[0,0,1] op_sel_hi:[1,0,0]
	v_mov_b32_e32 v101, v97
	ds_load_2addr_b64 v[96:99], v90 offset0:29 offset1:30
	v_pk_add_f32 v[38:39], v[38:39], v[100:101] neg_lo:[0,1] neg_hi:[0,1]
	s_wait_dscnt 0x0
	v_pk_mul_f32 v[100:101], v[96:97], v[88:89] op_sel:[0,1]
	s_delay_alu instid0(VALU_DEP_1) | instskip(SKIP_1) | instid1(VALU_DEP_1)
	v_pk_fma_f32 v[102:103], v[96:97], v[86:87], v[100:101] op_sel:[0,0,1] op_sel_hi:[1,1,0] neg_lo:[0,0,1] neg_hi:[0,0,1]
	v_pk_fma_f32 v[96:97], v[96:97], v[86:87], v[100:101] op_sel:[0,0,1] op_sel_hi:[1,0,0]
	v_mov_b32_e32 v103, v97
	v_pk_mul_f32 v[96:97], v[98:99], v[88:89] op_sel:[0,1]
	s_delay_alu instid0(VALU_DEP_2) | instskip(NEXT) | instid1(VALU_DEP_2)
	v_pk_add_f32 v[34:35], v[34:35], v[102:103] neg_lo:[0,1] neg_hi:[0,1]
	v_pk_fma_f32 v[100:101], v[98:99], v[86:87], v[96:97] op_sel:[0,0,1] op_sel_hi:[1,1,0] neg_lo:[0,0,1] neg_hi:[0,0,1]
	v_pk_fma_f32 v[96:97], v[98:99], v[86:87], v[96:97] op_sel:[0,0,1] op_sel_hi:[1,0,0]
	s_delay_alu instid0(VALU_DEP_1) | instskip(SKIP_4) | instid1(VALU_DEP_1)
	v_mov_b32_e32 v101, v97
	ds_load_2addr_b64 v[96:99], v90 offset0:31 offset1:32
	v_pk_add_f32 v[36:37], v[36:37], v[100:101] neg_lo:[0,1] neg_hi:[0,1]
	s_wait_dscnt 0x0
	v_pk_mul_f32 v[100:101], v[96:97], v[88:89] op_sel:[0,1]
	v_pk_fma_f32 v[102:103], v[96:97], v[86:87], v[100:101] op_sel:[0,0,1] op_sel_hi:[1,1,0] neg_lo:[0,0,1] neg_hi:[0,0,1]
	v_pk_fma_f32 v[96:97], v[96:97], v[86:87], v[100:101] op_sel:[0,0,1] op_sel_hi:[1,0,0]
	v_dual_mul_f32 v100, v99, v89 :: v_dual_mov_b32 v96, v99
	s_delay_alu instid0(VALU_DEP_2) | instskip(NEXT) | instid1(VALU_DEP_2)
	v_dual_mov_b32 v103, v97 :: v_dual_mov_b32 v97, v98
	v_pk_fma_f32 v[100:101], v[98:99], v[66:67], v[100:101] op_sel_hi:[1,1,0] neg_lo:[0,0,1] neg_hi:[0,0,1]
	v_mul_f32_e32 v98, v99, v86
	s_delay_alu instid0(VALU_DEP_3) | instskip(NEXT) | instid1(VALU_DEP_2)
	v_pk_add_f32 v[6:7], v[6:7], v[102:103] neg_lo:[0,1] neg_hi:[0,1]
	v_pk_fma_f32 v[96:97], v[96:97], v[66:67], v[98:99] op_sel_hi:[1,1,0]
	s_delay_alu instid0(VALU_DEP_1) | instskip(SKIP_4) | instid1(VALU_DEP_1)
	v_mov_b32_e32 v101, v97
	ds_load_2addr_b64 v[96:99], v90 offset0:33 offset1:34
	v_pk_add_f32 v[32:33], v[32:33], v[100:101] neg_lo:[0,1] neg_hi:[0,1]
	s_wait_dscnt 0x0
	v_pk_mul_f32 v[100:101], v[96:97], v[88:89] op_sel:[0,1]
	v_pk_fma_f32 v[102:103], v[96:97], v[86:87], v[100:101] op_sel:[0,0,1] op_sel_hi:[1,1,0] neg_lo:[0,0,1] neg_hi:[0,0,1]
	v_pk_fma_f32 v[96:97], v[96:97], v[86:87], v[100:101] op_sel:[0,0,1] op_sel_hi:[1,0,0]
	s_delay_alu instid0(VALU_DEP_1) | instskip(SKIP_1) | instid1(VALU_DEP_1)
	v_mov_b32_e32 v103, v97
	v_pk_mul_f32 v[96:97], v[98:99], v[88:89] op_sel:[0,1]
	v_pk_fma_f32 v[100:101], v[98:99], v[86:87], v[96:97] op_sel:[0,0,1] op_sel_hi:[1,1,0] neg_lo:[0,0,1] neg_hi:[0,0,1]
	v_pk_fma_f32 v[96:97], v[98:99], v[86:87], v[96:97] op_sel:[0,0,1] op_sel_hi:[1,0,0]
	s_delay_alu instid0(VALU_DEP_1)
	v_mov_b32_e32 v101, v97
	ds_load_2addr_b64 v[96:99], v90 offset0:35 offset1:36
	v_pk_add_f32 v[28:29], v[28:29], v[102:103] neg_lo:[0,1] neg_hi:[0,1]
	v_pk_add_f32 v[30:31], v[30:31], v[100:101] neg_lo:[0,1] neg_hi:[0,1]
	s_wait_dscnt 0x0
	v_pk_mul_f32 v[100:101], v[96:97], v[88:89] op_sel:[0,1]
	s_delay_alu instid0(VALU_DEP_1) | instskip(SKIP_1) | instid1(VALU_DEP_1)
	v_pk_fma_f32 v[102:103], v[96:97], v[86:87], v[100:101] op_sel:[0,0,1] op_sel_hi:[1,1,0] neg_lo:[0,0,1] neg_hi:[0,0,1]
	v_pk_fma_f32 v[96:97], v[96:97], v[86:87], v[100:101] op_sel:[0,0,1] op_sel_hi:[1,0,0]
	v_mov_b32_e32 v103, v97
	v_pk_mul_f32 v[96:97], v[98:99], v[88:89] op_sel:[0,1]
	s_delay_alu instid0(VALU_DEP_1) | instskip(SKIP_1) | instid1(VALU_DEP_1)
	v_pk_fma_f32 v[100:101], v[98:99], v[86:87], v[96:97] op_sel:[0,0,1] op_sel_hi:[1,1,0] neg_lo:[0,0,1] neg_hi:[0,0,1]
	v_pk_fma_f32 v[96:97], v[98:99], v[86:87], v[96:97] op_sel:[0,0,1] op_sel_hi:[1,0,0]
	v_mov_b32_e32 v101, v97
	ds_load_2addr_b64 v[96:99], v90 offset0:37 offset1:38
	v_pk_add_f32 v[8:9], v[8:9], v[102:103] neg_lo:[0,1] neg_hi:[0,1]
	v_pk_add_f32 v[26:27], v[26:27], v[100:101] neg_lo:[0,1] neg_hi:[0,1]
	s_wait_dscnt 0x0
	v_dual_mul_f32 v100, v97, v89 :: v_dual_mul_f32 v102, v97, v86
	s_delay_alu instid0(VALU_DEP_1) | instskip(NEXT) | instid1(VALU_DEP_2)
	v_pk_fma_f32 v[100:101], v[96:97], v[66:67], v[100:101] op_sel_hi:[1,1,0] neg_lo:[0,0,1] neg_hi:[0,0,1]
	v_pk_fma_f32 v[96:97], v[96:97], v[66:67], v[102:103] op_sel:[1,0,0] op_sel_hi:[0,1,0]
	s_delay_alu instid0(VALU_DEP_1) | instskip(SKIP_1) | instid1(VALU_DEP_2)
	v_mov_b32_e32 v101, v97
	v_pk_mul_f32 v[96:97], v[98:99], v[88:89] op_sel:[0,1]
	v_pk_add_f32 v[20:21], v[20:21], v[100:101] neg_lo:[0,1] neg_hi:[0,1]
	s_delay_alu instid0(VALU_DEP_2) | instskip(SKIP_1) | instid1(VALU_DEP_1)
	v_pk_fma_f32 v[100:101], v[98:99], v[86:87], v[96:97] op_sel:[0,0,1] op_sel_hi:[1,1,0] neg_lo:[0,0,1] neg_hi:[0,0,1]
	v_pk_fma_f32 v[96:97], v[98:99], v[86:87], v[96:97] op_sel:[0,0,1] op_sel_hi:[1,0,0]
	v_mov_b32_e32 v101, v97
	ds_load_b64 v[96:97], v90 offset:312
	v_pk_add_f32 v[18:19], v[18:19], v[100:101] neg_lo:[0,1] neg_hi:[0,1]
	s_wait_dscnt 0x0
	v_pk_mul_f32 v[88:89], v[96:97], v[88:89] op_sel:[0,1]
	s_delay_alu instid0(VALU_DEP_1) | instskip(SKIP_1) | instid1(VALU_DEP_1)
	v_pk_fma_f32 v[98:99], v[96:97], v[86:87], v[88:89] op_sel:[0,0,1] op_sel_hi:[1,1,0] neg_lo:[0,0,1] neg_hi:[0,0,1]
	v_pk_fma_f32 v[86:87], v[96:97], v[86:87], v[88:89] op_sel:[0,0,1] op_sel_hi:[1,0,0]
	v_mov_b32_e32 v99, v87
	s_delay_alu instid0(VALU_DEP_1)
	v_pk_add_f32 v[84:85], v[84:85], v[98:99] neg_lo:[0,1] neg_hi:[0,1]
.LBB78_398:
	s_or_b32 exec_lo, exec_lo, s0
	v_lshl_add_u32 v86, v94, 3, v90
	s_barrier_signal -1
	s_barrier_wait -1
	ds_store_b64 v86, v[22:23]
	s_wait_dscnt 0x0
	s_barrier_signal -1
	s_barrier_wait -1
	ds_load_b64 v[88:89], v90 offset:152
	v_mov_b32_e32 v86, 19
	s_cmp_lt_i32 s18, 21
	s_cbranch_scc1 .LBB78_401
; %bb.399:
	v_add3_u32 v87, v91, 0, 0xa0
	v_mov_b32_e32 v86, 19
	s_mov_b32 s0, 20
.LBB78_400:                             ; =>This Inner Loop Header: Depth=1
	ds_load_b64 v[96:97], v87
	s_wait_dscnt 0x1
	v_cmp_gt_f32_e32 vcc_lo, 0, v88
	v_cndmask_b32_e64 v98, v88, -v88, vcc_lo
	v_cmp_gt_f32_e32 vcc_lo, 0, v89
	v_cndmask_b32_e64 v100, v89, -v89, vcc_lo
	s_wait_dscnt 0x0
	v_cmp_gt_f32_e32 vcc_lo, 0, v96
	v_cndmask_b32_e64 v99, v96, -v96, vcc_lo
	v_cmp_gt_f32_e32 vcc_lo, 0, v97
	v_cndmask_b32_e64 v101, v97, -v97, vcc_lo
	s_delay_alu instid0(VALU_DEP_1) | instskip(NEXT) | instid1(VALU_DEP_1)
	v_pk_add_f32 v[98:99], v[98:99], v[100:101]
	v_cmp_lt_f32_e32 vcc_lo, v98, v99
	v_dual_add_nc_u32 v87, 8, v87 :: v_dual_cndmask_b32 v89, v89, v97, vcc_lo
	v_cndmask_b32_e32 v88, v88, v96, vcc_lo
	v_cndmask_b32_e64 v86, v86, s0, vcc_lo
	s_add_co_i32 s0, s0, 1
	s_delay_alu instid0(SALU_CYCLE_1)
	s_cmp_lg_u32 s18, s0
	s_cbranch_scc1 .LBB78_400
.LBB78_401:
	s_wait_dscnt 0x0
	v_cmp_eq_f32_e32 vcc_lo, 0, v88
	v_cmp_eq_f32_e64 s0, 0, v89
	s_and_b32 s0, vcc_lo, s0
	s_delay_alu instid0(SALU_CYCLE_1) | instskip(NEXT) | instid1(SALU_CYCLE_1)
	s_and_saveexec_b32 s1, s0
	s_xor_b32 s0, exec_lo, s1
; %bb.402:
	v_cmp_ne_u32_e32 vcc_lo, 0, v92
	v_cndmask_b32_e32 v92, 20, v92, vcc_lo
; %bb.403:
	s_and_not1_saveexec_b32 s0, s0
	s_cbranch_execz .LBB78_409
; %bb.404:
	v_cmp_ngt_f32_e64 s1, |v88|, |v89|
	s_and_saveexec_b32 s12, s1
	s_delay_alu instid0(SALU_CYCLE_1)
	s_xor_b32 s1, exec_lo, s12
	s_cbranch_execz .LBB78_406
; %bb.405:
	v_div_scale_f32 v87, null, v89, v89, v88
	v_div_scale_f32 v97, vcc_lo, v88, v89, v88
	s_delay_alu instid0(VALU_DEP_2) | instskip(SKIP_1) | instid1(TRANS32_DEP_1)
	v_rcp_f32_e32 v95, v87
	v_nop
	v_fma_f32 v96, -v87, v95, 1.0
	s_delay_alu instid0(VALU_DEP_1) | instskip(NEXT) | instid1(VALU_DEP_1)
	v_fmac_f32_e32 v95, v96, v95
	v_mul_f32_e32 v96, v97, v95
	s_delay_alu instid0(VALU_DEP_1) | instskip(NEXT) | instid1(VALU_DEP_1)
	v_fma_f32 v98, -v87, v96, v97
	v_fmac_f32_e32 v96, v98, v95
	s_delay_alu instid0(VALU_DEP_1) | instskip(NEXT) | instid1(VALU_DEP_1)
	v_fma_f32 v87, -v87, v96, v97
	v_div_fmas_f32 v87, v87, v95, v96
	s_delay_alu instid0(VALU_DEP_1) | instskip(NEXT) | instid1(VALU_DEP_1)
	v_div_fixup_f32 v87, v87, v89, v88
	v_fmac_f32_e32 v89, v88, v87
	s_delay_alu instid0(VALU_DEP_1) | instskip(SKIP_1) | instid1(VALU_DEP_2)
	v_div_scale_f32 v88, null, v89, v89, 1.0
	v_div_scale_f32 v97, vcc_lo, 1.0, v89, 1.0
	v_rcp_f32_e32 v95, v88
	v_nop
	s_delay_alu instid0(TRANS32_DEP_1) | instskip(NEXT) | instid1(VALU_DEP_1)
	v_fma_f32 v96, -v88, v95, 1.0
	v_fmac_f32_e32 v95, v96, v95
	s_delay_alu instid0(VALU_DEP_1) | instskip(NEXT) | instid1(VALU_DEP_1)
	v_mul_f32_e32 v96, v97, v95
	v_fma_f32 v98, -v88, v96, v97
	s_delay_alu instid0(VALU_DEP_1) | instskip(NEXT) | instid1(VALU_DEP_1)
	v_fmac_f32_e32 v96, v98, v95
	v_fma_f32 v88, -v88, v96, v97
	s_delay_alu instid0(VALU_DEP_1) | instskip(NEXT) | instid1(VALU_DEP_1)
	v_div_fmas_f32 v88, v88, v95, v96
	v_div_fixup_f32 v89, v88, v89, 1.0
	s_delay_alu instid0(VALU_DEP_1)
	v_mul_f32_e32 v88, v87, v89
	v_xor_b32_e32 v89, 0x80000000, v89
.LBB78_406:
	s_and_not1_saveexec_b32 s1, s1
	s_cbranch_execz .LBB78_408
; %bb.407:
	s_delay_alu instid0(VALU_DEP_1) | instskip(SKIP_1) | instid1(VALU_DEP_2)
	v_div_scale_f32 v87, null, v88, v88, v89
	v_div_scale_f32 v97, vcc_lo, v89, v88, v89
	v_rcp_f32_e32 v95, v87
	v_nop
	s_delay_alu instid0(TRANS32_DEP_1) | instskip(NEXT) | instid1(VALU_DEP_1)
	v_fma_f32 v96, -v87, v95, 1.0
	v_fmac_f32_e32 v95, v96, v95
	s_delay_alu instid0(VALU_DEP_1) | instskip(NEXT) | instid1(VALU_DEP_1)
	v_mul_f32_e32 v96, v97, v95
	v_fma_f32 v98, -v87, v96, v97
	s_delay_alu instid0(VALU_DEP_1) | instskip(NEXT) | instid1(VALU_DEP_1)
	v_fmac_f32_e32 v96, v98, v95
	v_fma_f32 v87, -v87, v96, v97
	s_delay_alu instid0(VALU_DEP_1) | instskip(NEXT) | instid1(VALU_DEP_1)
	v_div_fmas_f32 v87, v87, v95, v96
	v_div_fixup_f32 v87, v87, v88, v89
	s_delay_alu instid0(VALU_DEP_1) | instskip(NEXT) | instid1(VALU_DEP_1)
	v_fmac_f32_e32 v88, v89, v87
	v_div_scale_f32 v89, null, v88, v88, 1.0
	s_delay_alu instid0(VALU_DEP_1) | instskip(SKIP_1) | instid1(TRANS32_DEP_1)
	v_rcp_f32_e32 v95, v89
	v_nop
	v_fma_f32 v96, -v89, v95, 1.0
	s_delay_alu instid0(VALU_DEP_1) | instskip(SKIP_1) | instid1(VALU_DEP_1)
	v_fmac_f32_e32 v95, v96, v95
	v_div_scale_f32 v96, vcc_lo, 1.0, v88, 1.0
	v_mul_f32_e32 v97, v96, v95
	s_delay_alu instid0(VALU_DEP_1) | instskip(NEXT) | instid1(VALU_DEP_1)
	v_fma_f32 v98, -v89, v97, v96
	v_fmac_f32_e32 v97, v98, v95
	s_delay_alu instid0(VALU_DEP_1) | instskip(NEXT) | instid1(VALU_DEP_1)
	v_fma_f32 v89, -v89, v97, v96
	v_div_fmas_f32 v89, v89, v95, v97
	s_delay_alu instid0(VALU_DEP_1) | instskip(NEXT) | instid1(VALU_DEP_1)
	v_div_fixup_f32 v88, v89, v88, 1.0
	v_mul_f32_e64 v89, v87, -v88
.LBB78_408:
	s_or_b32 exec_lo, exec_lo, s1
.LBB78_409:
	s_delay_alu instid0(SALU_CYCLE_1) | instskip(NEXT) | instid1(SALU_CYCLE_1)
	s_or_b32 exec_lo, exec_lo, s0
	s_mov_b32 s0, exec_lo
	v_cmpx_ne_u32_e64 v94, v86
	s_xor_b32 s0, exec_lo, s0
	s_cbranch_execz .LBB78_415
; %bb.410:
	s_mov_b32 s1, exec_lo
	v_cmpx_eq_u32_e32 19, v94
	s_cbranch_execz .LBB78_414
; %bb.411:
	v_cmp_ne_u32_e32 vcc_lo, 19, v86
	s_xor_b32 s12, s16, -1
	s_delay_alu instid0(SALU_CYCLE_1) | instskip(NEXT) | instid1(SALU_CYCLE_1)
	s_and_b32 s13, s12, vcc_lo
	s_and_saveexec_b32 s12, s13
	s_cbranch_execz .LBB78_413
; %bb.412:
	v_ashrrev_i32_e32 v87, 31, v86
	s_delay_alu instid0(VALU_DEP_1)
	v_lshl_add_u64 v[94:95], v[86:87], 2, v[4:5]
	s_clause 0x1
	global_load_b32 v87, v[94:95], off
	global_load_b32 v93, v[4:5], off offset:76
	s_wait_loadcnt 0x1
	global_store_b32 v[4:5], v87, off offset:76
	s_wait_loadcnt 0x0
	global_store_b32 v[94:95], v93, off
.LBB78_413:
	s_wait_xcnt 0x0
	s_or_b32 exec_lo, exec_lo, s12
	v_dual_mov_b32 v94, v86 :: v_dual_mov_b32 v93, v86
.LBB78_414:
	s_or_b32 exec_lo, exec_lo, s1
.LBB78_415:
	s_and_not1_saveexec_b32 s0, s0
	s_cbranch_execz .LBB78_417
; %bb.416:
	v_dual_mov_b32 v86, v62 :: v_dual_mov_b32 v87, v63
	v_dual_mov_b32 v94, v58 :: v_dual_mov_b32 v95, v59
	ds_store_2addr_b64 v90, v[86:87], v[94:95] offset0:20 offset1:21
	v_dual_mov_b32 v86, v60 :: v_dual_mov_b32 v87, v61
	v_dual_mov_b32 v94, v16 :: v_dual_mov_b32 v95, v17
	ds_store_2addr_b64 v90, v[86:87], v[94:95] offset0:22 offset1:23
	;; [unrolled: 3-line block ×9, first 2 shown]
	v_dual_mov_b32 v86, v18 :: v_dual_mov_b32 v87, v19
	v_mov_b32_e32 v94, 19
	ds_store_2addr_b64 v90, v[86:87], v[84:85] offset0:38 offset1:39
.LBB78_417:
	s_or_b32 exec_lo, exec_lo, s0
	s_delay_alu instid0(SALU_CYCLE_1)
	s_mov_b32 s0, exec_lo
	s_wait_storecnt_dscnt 0x0
	s_barrier_signal -1
	s_barrier_wait -1
	v_cmpx_lt_i32_e32 19, v94
	s_cbranch_execz .LBB78_419
; %bb.418:
	v_pk_mul_f32 v[96:97], v[88:89], v[22:23] op_sel:[1,1] op_sel_hi:[0,1]
	s_delay_alu instid0(VALU_DEP_1)
	v_pk_fma_f32 v[86:87], v[88:89], v[22:23], v[96:97] op_sel_hi:[1,0,1] neg_lo:[0,0,1] neg_hi:[0,0,1]
	v_pk_fma_f32 v[88:89], v[88:89], v[22:23], v[96:97] op_sel_hi:[1,0,1]
	ds_load_2addr_b64 v[96:99], v90 offset0:20 offset1:21
	v_dual_mov_b32 v22, v86 :: v_dual_mov_b32 v23, v89
	s_wait_dscnt 0x0
	v_pk_mul_f32 v[100:101], v[96:97], v[88:89] op_sel:[0,1]
	s_delay_alu instid0(VALU_DEP_1) | instskip(SKIP_1) | instid1(VALU_DEP_1)
	v_pk_fma_f32 v[102:103], v[96:97], v[86:87], v[100:101] op_sel:[0,0,1] op_sel_hi:[1,1,0] neg_lo:[0,0,1] neg_hi:[0,0,1]
	v_pk_fma_f32 v[96:97], v[96:97], v[86:87], v[100:101] op_sel:[0,0,1] op_sel_hi:[1,0,0]
	v_mov_b32_e32 v103, v97
	v_pk_mul_f32 v[96:97], v[98:99], v[88:89] op_sel:[0,1]
	s_delay_alu instid0(VALU_DEP_1) | instskip(SKIP_1) | instid1(VALU_DEP_1)
	v_pk_fma_f32 v[100:101], v[98:99], v[86:87], v[96:97] op_sel:[0,0,1] op_sel_hi:[1,1,0] neg_lo:[0,0,1] neg_hi:[0,0,1]
	v_pk_fma_f32 v[96:97], v[98:99], v[86:87], v[96:97] op_sel:[0,0,1] op_sel_hi:[1,0,0]
	v_mov_b32_e32 v101, v97
	ds_load_2addr_b64 v[96:99], v90 offset0:22 offset1:23
	v_pk_add_f32 v[62:63], v[62:63], v[102:103] neg_lo:[0,1] neg_hi:[0,1]
	v_pk_add_f32 v[58:59], v[58:59], v[100:101] neg_lo:[0,1] neg_hi:[0,1]
	s_wait_dscnt 0x0
	v_pk_mul_f32 v[100:101], v[96:97], v[88:89] op_sel:[0,1]
	s_delay_alu instid0(VALU_DEP_1) | instskip(SKIP_2) | instid1(VALU_DEP_2)
	v_pk_fma_f32 v[102:103], v[96:97], v[86:87], v[100:101] op_sel:[0,0,1] op_sel_hi:[1,1,0] neg_lo:[0,0,1] neg_hi:[0,0,1]
	v_pk_fma_f32 v[96:97], v[96:97], v[86:87], v[100:101] op_sel:[0,0,1] op_sel_hi:[1,0,0]
	v_dual_mul_f32 v100, v99, v89 :: v_dual_mov_b32 v96, v99
	v_dual_mov_b32 v103, v97 :: v_dual_mov_b32 v97, v98
	s_delay_alu instid0(VALU_DEP_2) | instskip(SKIP_1) | instid1(VALU_DEP_3)
	v_pk_fma_f32 v[100:101], v[98:99], v[22:23], v[100:101] op_sel_hi:[1,1,0] neg_lo:[0,0,1] neg_hi:[0,0,1]
	v_mul_f32_e32 v98, v99, v86
	v_pk_add_f32 v[60:61], v[60:61], v[102:103] neg_lo:[0,1] neg_hi:[0,1]
	s_delay_alu instid0(VALU_DEP_2) | instskip(NEXT) | instid1(VALU_DEP_1)
	v_pk_fma_f32 v[96:97], v[96:97], v[22:23], v[98:99] op_sel_hi:[1,1,0]
	v_mov_b32_e32 v101, v97
	ds_load_2addr_b64 v[96:99], v90 offset0:24 offset1:25
	v_pk_add_f32 v[16:17], v[16:17], v[100:101] neg_lo:[0,1] neg_hi:[0,1]
	s_wait_dscnt 0x0
	v_pk_mul_f32 v[100:101], v[96:97], v[88:89] op_sel:[0,1]
	s_delay_alu instid0(VALU_DEP_1) | instskip(SKIP_1) | instid1(VALU_DEP_1)
	v_pk_fma_f32 v[102:103], v[96:97], v[86:87], v[100:101] op_sel:[0,0,1] op_sel_hi:[1,1,0] neg_lo:[0,0,1] neg_hi:[0,0,1]
	v_pk_fma_f32 v[96:97], v[96:97], v[86:87], v[100:101] op_sel:[0,0,1] op_sel_hi:[1,0,0]
	v_mov_b32_e32 v103, v97
	v_pk_mul_f32 v[96:97], v[98:99], v[88:89] op_sel:[0,1]
	s_delay_alu instid0(VALU_DEP_1) | instskip(SKIP_1) | instid1(VALU_DEP_1)
	v_pk_fma_f32 v[100:101], v[98:99], v[86:87], v[96:97] op_sel:[0,0,1] op_sel_hi:[1,1,0] neg_lo:[0,0,1] neg_hi:[0,0,1]
	v_pk_fma_f32 v[96:97], v[98:99], v[86:87], v[96:97] op_sel:[0,0,1] op_sel_hi:[1,0,0]
	v_mov_b32_e32 v101, v97
	ds_load_2addr_b64 v[96:99], v90 offset0:26 offset1:27
	v_pk_add_f32 v[56:57], v[56:57], v[102:103] neg_lo:[0,1] neg_hi:[0,1]
	v_pk_add_f32 v[52:53], v[52:53], v[100:101] neg_lo:[0,1] neg_hi:[0,1]
	s_wait_dscnt 0x0
	v_pk_mul_f32 v[100:101], v[96:97], v[88:89] op_sel:[0,1]
	s_delay_alu instid0(VALU_DEP_1) | instskip(SKIP_1) | instid1(VALU_DEP_1)
	v_pk_fma_f32 v[102:103], v[96:97], v[86:87], v[100:101] op_sel:[0,0,1] op_sel_hi:[1,1,0] neg_lo:[0,0,1] neg_hi:[0,0,1]
	v_pk_fma_f32 v[96:97], v[96:97], v[86:87], v[100:101] op_sel:[0,0,1] op_sel_hi:[1,0,0]
	v_mov_b32_e32 v103, v97
	v_pk_mul_f32 v[96:97], v[98:99], v[88:89] op_sel:[0,1]
	s_delay_alu instid0(VALU_DEP_1) | instskip(SKIP_1) | instid1(VALU_DEP_1)
	v_pk_fma_f32 v[100:101], v[98:99], v[86:87], v[96:97] op_sel:[0,0,1] op_sel_hi:[1,1,0] neg_lo:[0,0,1] neg_hi:[0,0,1]
	v_pk_fma_f32 v[96:97], v[98:99], v[86:87], v[96:97] op_sel:[0,0,1] op_sel_hi:[1,0,0]
	v_mov_b32_e32 v101, v97
	ds_load_2addr_b64 v[96:99], v90 offset0:28 offset1:29
	v_pk_add_f32 v[54:55], v[54:55], v[102:103] neg_lo:[0,1] neg_hi:[0,1]
	v_pk_add_f32 v[14:15], v[14:15], v[100:101] neg_lo:[0,1] neg_hi:[0,1]
	s_wait_dscnt 0x0
	v_dual_mul_f32 v100, v97, v89 :: v_dual_mul_f32 v102, v97, v86
	s_delay_alu instid0(VALU_DEP_1) | instskip(NEXT) | instid1(VALU_DEP_2)
	v_pk_fma_f32 v[100:101], v[96:97], v[22:23], v[100:101] op_sel_hi:[1,1,0] neg_lo:[0,0,1] neg_hi:[0,0,1]
	v_pk_fma_f32 v[96:97], v[96:97], v[22:23], v[102:103] op_sel:[1,0,0] op_sel_hi:[0,1,0]
	s_delay_alu instid0(VALU_DEP_1) | instskip(SKIP_1) | instid1(VALU_DEP_2)
	v_mov_b32_e32 v101, v97
	v_pk_mul_f32 v[96:97], v[98:99], v[88:89] op_sel:[0,1]
	v_pk_add_f32 v[38:39], v[38:39], v[100:101] neg_lo:[0,1] neg_hi:[0,1]
	s_delay_alu instid0(VALU_DEP_2) | instskip(SKIP_1) | instid1(VALU_DEP_1)
	v_pk_fma_f32 v[100:101], v[98:99], v[86:87], v[96:97] op_sel:[0,0,1] op_sel_hi:[1,1,0] neg_lo:[0,0,1] neg_hi:[0,0,1]
	v_pk_fma_f32 v[96:97], v[98:99], v[86:87], v[96:97] op_sel:[0,0,1] op_sel_hi:[1,0,0]
	v_mov_b32_e32 v101, v97
	ds_load_2addr_b64 v[96:99], v90 offset0:30 offset1:31
	v_pk_add_f32 v[34:35], v[34:35], v[100:101] neg_lo:[0,1] neg_hi:[0,1]
	s_wait_dscnt 0x0
	v_pk_mul_f32 v[100:101], v[96:97], v[88:89] op_sel:[0,1]
	s_delay_alu instid0(VALU_DEP_1) | instskip(SKIP_1) | instid1(VALU_DEP_1)
	v_pk_fma_f32 v[102:103], v[96:97], v[86:87], v[100:101] op_sel:[0,0,1] op_sel_hi:[1,1,0] neg_lo:[0,0,1] neg_hi:[0,0,1]
	v_pk_fma_f32 v[96:97], v[96:97], v[86:87], v[100:101] op_sel:[0,0,1] op_sel_hi:[1,0,0]
	v_mov_b32_e32 v103, v97
	v_pk_mul_f32 v[96:97], v[98:99], v[88:89] op_sel:[0,1]
	s_delay_alu instid0(VALU_DEP_2) | instskip(NEXT) | instid1(VALU_DEP_2)
	v_pk_add_f32 v[36:37], v[36:37], v[102:103] neg_lo:[0,1] neg_hi:[0,1]
	v_pk_fma_f32 v[100:101], v[98:99], v[86:87], v[96:97] op_sel:[0,0,1] op_sel_hi:[1,1,0] neg_lo:[0,0,1] neg_hi:[0,0,1]
	v_pk_fma_f32 v[96:97], v[98:99], v[86:87], v[96:97] op_sel:[0,0,1] op_sel_hi:[1,0,0]
	s_delay_alu instid0(VALU_DEP_1) | instskip(SKIP_4) | instid1(VALU_DEP_1)
	v_mov_b32_e32 v101, v97
	ds_load_2addr_b64 v[96:99], v90 offset0:32 offset1:33
	v_pk_add_f32 v[6:7], v[6:7], v[100:101] neg_lo:[0,1] neg_hi:[0,1]
	s_wait_dscnt 0x0
	v_pk_mul_f32 v[100:101], v[96:97], v[88:89] op_sel:[0,1]
	v_pk_fma_f32 v[102:103], v[96:97], v[86:87], v[100:101] op_sel:[0,0,1] op_sel_hi:[1,1,0] neg_lo:[0,0,1] neg_hi:[0,0,1]
	v_pk_fma_f32 v[96:97], v[96:97], v[86:87], v[100:101] op_sel:[0,0,1] op_sel_hi:[1,0,0]
	v_dual_mul_f32 v100, v99, v89 :: v_dual_mov_b32 v96, v99
	s_delay_alu instid0(VALU_DEP_2) | instskip(NEXT) | instid1(VALU_DEP_2)
	v_dual_mov_b32 v103, v97 :: v_dual_mov_b32 v97, v98
	v_pk_fma_f32 v[100:101], v[98:99], v[22:23], v[100:101] op_sel_hi:[1,1,0] neg_lo:[0,0,1] neg_hi:[0,0,1]
	v_mul_f32_e32 v98, v99, v86
	s_delay_alu instid0(VALU_DEP_3) | instskip(NEXT) | instid1(VALU_DEP_2)
	v_pk_add_f32 v[32:33], v[32:33], v[102:103] neg_lo:[0,1] neg_hi:[0,1]
	v_pk_fma_f32 v[96:97], v[96:97], v[22:23], v[98:99] op_sel_hi:[1,1,0]
	s_delay_alu instid0(VALU_DEP_1) | instskip(SKIP_4) | instid1(VALU_DEP_1)
	v_mov_b32_e32 v101, v97
	ds_load_2addr_b64 v[96:99], v90 offset0:34 offset1:35
	v_pk_add_f32 v[28:29], v[28:29], v[100:101] neg_lo:[0,1] neg_hi:[0,1]
	s_wait_dscnt 0x0
	v_pk_mul_f32 v[100:101], v[96:97], v[88:89] op_sel:[0,1]
	v_pk_fma_f32 v[102:103], v[96:97], v[86:87], v[100:101] op_sel:[0,0,1] op_sel_hi:[1,1,0] neg_lo:[0,0,1] neg_hi:[0,0,1]
	v_pk_fma_f32 v[96:97], v[96:97], v[86:87], v[100:101] op_sel:[0,0,1] op_sel_hi:[1,0,0]
	s_delay_alu instid0(VALU_DEP_1) | instskip(SKIP_1) | instid1(VALU_DEP_1)
	v_mov_b32_e32 v103, v97
	v_pk_mul_f32 v[96:97], v[98:99], v[88:89] op_sel:[0,1]
	v_pk_fma_f32 v[100:101], v[98:99], v[86:87], v[96:97] op_sel:[0,0,1] op_sel_hi:[1,1,0] neg_lo:[0,0,1] neg_hi:[0,0,1]
	v_pk_fma_f32 v[96:97], v[98:99], v[86:87], v[96:97] op_sel:[0,0,1] op_sel_hi:[1,0,0]
	s_delay_alu instid0(VALU_DEP_1)
	v_mov_b32_e32 v101, v97
	ds_load_2addr_b64 v[96:99], v90 offset0:36 offset1:37
	v_pk_add_f32 v[30:31], v[30:31], v[102:103] neg_lo:[0,1] neg_hi:[0,1]
	v_pk_add_f32 v[8:9], v[8:9], v[100:101] neg_lo:[0,1] neg_hi:[0,1]
	s_wait_dscnt 0x0
	v_pk_mul_f32 v[100:101], v[96:97], v[88:89] op_sel:[0,1]
	s_delay_alu instid0(VALU_DEP_1) | instskip(SKIP_1) | instid1(VALU_DEP_1)
	v_pk_fma_f32 v[102:103], v[96:97], v[86:87], v[100:101] op_sel:[0,0,1] op_sel_hi:[1,1,0] neg_lo:[0,0,1] neg_hi:[0,0,1]
	v_pk_fma_f32 v[96:97], v[96:97], v[86:87], v[100:101] op_sel:[0,0,1] op_sel_hi:[1,0,0]
	v_mov_b32_e32 v103, v97
	v_pk_mul_f32 v[96:97], v[98:99], v[88:89] op_sel:[0,1]
	s_delay_alu instid0(VALU_DEP_1) | instskip(SKIP_1) | instid1(VALU_DEP_1)
	v_pk_fma_f32 v[100:101], v[98:99], v[86:87], v[96:97] op_sel:[0,0,1] op_sel_hi:[1,1,0] neg_lo:[0,0,1] neg_hi:[0,0,1]
	v_pk_fma_f32 v[96:97], v[98:99], v[86:87], v[96:97] op_sel:[0,0,1] op_sel_hi:[1,0,0]
	v_mov_b32_e32 v101, v97
	ds_load_2addr_b64 v[96:99], v90 offset0:38 offset1:39
	v_pk_add_f32 v[26:27], v[26:27], v[102:103] neg_lo:[0,1] neg_hi:[0,1]
	v_pk_add_f32 v[20:21], v[20:21], v[100:101] neg_lo:[0,1] neg_hi:[0,1]
	s_wait_dscnt 0x0
	v_dual_mul_f32 v100, v97, v89 :: v_dual_mul_f32 v102, v97, v86
	v_pk_mul_f32 v[88:89], v[98:99], v[88:89] op_sel:[0,1]
	s_delay_alu instid0(VALU_DEP_2) | instskip(NEXT) | instid1(VALU_DEP_3)
	v_pk_fma_f32 v[100:101], v[96:97], v[22:23], v[100:101] op_sel_hi:[1,1,0] neg_lo:[0,0,1] neg_hi:[0,0,1]
	v_pk_fma_f32 v[96:97], v[96:97], v[22:23], v[102:103] op_sel:[1,0,0] op_sel_hi:[0,1,0]
	s_delay_alu instid0(VALU_DEP_1) | instskip(NEXT) | instid1(VALU_DEP_4)
	v_mov_b32_e32 v101, v97
	v_pk_fma_f32 v[96:97], v[98:99], v[86:87], v[88:89] op_sel:[0,0,1] op_sel_hi:[1,1,0] neg_lo:[0,0,1] neg_hi:[0,0,1]
	v_pk_fma_f32 v[86:87], v[98:99], v[86:87], v[88:89] op_sel:[0,0,1] op_sel_hi:[1,0,0]
	s_delay_alu instid0(VALU_DEP_1) | instskip(NEXT) | instid1(VALU_DEP_4)
	v_mov_b32_e32 v97, v87
	v_pk_add_f32 v[18:19], v[18:19], v[100:101] neg_lo:[0,1] neg_hi:[0,1]
	s_delay_alu instid0(VALU_DEP_2)
	v_pk_add_f32 v[84:85], v[84:85], v[96:97] neg_lo:[0,1] neg_hi:[0,1]
.LBB78_419:
	s_or_b32 exec_lo, exec_lo, s0
	v_lshl_add_u32 v86, v94, 3, v90
	s_barrier_signal -1
	s_barrier_wait -1
	ds_store_b64 v86, v[62:63]
	s_wait_dscnt 0x0
	s_barrier_signal -1
	s_barrier_wait -1
	ds_load_b64 v[88:89], v90 offset:160
	v_mov_b32_e32 v86, 20
	s_cmp_lt_i32 s18, 22
	s_cbranch_scc1 .LBB78_422
; %bb.420:
	v_add3_u32 v87, v91, 0, 0xa8
	v_mov_b32_e32 v86, 20
	s_mov_b32 s0, 21
.LBB78_421:                             ; =>This Inner Loop Header: Depth=1
	ds_load_b64 v[96:97], v87
	s_wait_dscnt 0x1
	v_cmp_gt_f32_e32 vcc_lo, 0, v88
	v_cndmask_b32_e64 v98, v88, -v88, vcc_lo
	v_cmp_gt_f32_e32 vcc_lo, 0, v89
	v_cndmask_b32_e64 v100, v89, -v89, vcc_lo
	s_wait_dscnt 0x0
	v_cmp_gt_f32_e32 vcc_lo, 0, v96
	v_cndmask_b32_e64 v99, v96, -v96, vcc_lo
	v_cmp_gt_f32_e32 vcc_lo, 0, v97
	v_cndmask_b32_e64 v101, v97, -v97, vcc_lo
	s_delay_alu instid0(VALU_DEP_1) | instskip(NEXT) | instid1(VALU_DEP_1)
	v_pk_add_f32 v[98:99], v[98:99], v[100:101]
	v_cmp_lt_f32_e32 vcc_lo, v98, v99
	v_dual_add_nc_u32 v87, 8, v87 :: v_dual_cndmask_b32 v89, v89, v97, vcc_lo
	v_cndmask_b32_e32 v88, v88, v96, vcc_lo
	v_cndmask_b32_e64 v86, v86, s0, vcc_lo
	s_add_co_i32 s0, s0, 1
	s_delay_alu instid0(SALU_CYCLE_1)
	s_cmp_lg_u32 s18, s0
	s_cbranch_scc1 .LBB78_421
.LBB78_422:
	s_wait_dscnt 0x0
	v_cmp_eq_f32_e32 vcc_lo, 0, v88
	v_cmp_eq_f32_e64 s0, 0, v89
	s_and_b32 s0, vcc_lo, s0
	s_delay_alu instid0(SALU_CYCLE_1) | instskip(NEXT) | instid1(SALU_CYCLE_1)
	s_and_saveexec_b32 s1, s0
	s_xor_b32 s0, exec_lo, s1
; %bb.423:
	v_cmp_ne_u32_e32 vcc_lo, 0, v92
	v_cndmask_b32_e32 v92, 21, v92, vcc_lo
; %bb.424:
	s_and_not1_saveexec_b32 s0, s0
	s_cbranch_execz .LBB78_430
; %bb.425:
	v_cmp_ngt_f32_e64 s1, |v88|, |v89|
	s_and_saveexec_b32 s12, s1
	s_delay_alu instid0(SALU_CYCLE_1)
	s_xor_b32 s1, exec_lo, s12
	s_cbranch_execz .LBB78_427
; %bb.426:
	v_div_scale_f32 v87, null, v89, v89, v88
	v_div_scale_f32 v97, vcc_lo, v88, v89, v88
	s_delay_alu instid0(VALU_DEP_2) | instskip(SKIP_1) | instid1(TRANS32_DEP_1)
	v_rcp_f32_e32 v95, v87
	v_nop
	v_fma_f32 v96, -v87, v95, 1.0
	s_delay_alu instid0(VALU_DEP_1) | instskip(NEXT) | instid1(VALU_DEP_1)
	v_fmac_f32_e32 v95, v96, v95
	v_mul_f32_e32 v96, v97, v95
	s_delay_alu instid0(VALU_DEP_1) | instskip(NEXT) | instid1(VALU_DEP_1)
	v_fma_f32 v98, -v87, v96, v97
	v_fmac_f32_e32 v96, v98, v95
	s_delay_alu instid0(VALU_DEP_1) | instskip(NEXT) | instid1(VALU_DEP_1)
	v_fma_f32 v87, -v87, v96, v97
	v_div_fmas_f32 v87, v87, v95, v96
	s_delay_alu instid0(VALU_DEP_1) | instskip(NEXT) | instid1(VALU_DEP_1)
	v_div_fixup_f32 v87, v87, v89, v88
	v_fmac_f32_e32 v89, v88, v87
	s_delay_alu instid0(VALU_DEP_1) | instskip(SKIP_1) | instid1(VALU_DEP_2)
	v_div_scale_f32 v88, null, v89, v89, 1.0
	v_div_scale_f32 v97, vcc_lo, 1.0, v89, 1.0
	v_rcp_f32_e32 v95, v88
	v_nop
	s_delay_alu instid0(TRANS32_DEP_1) | instskip(NEXT) | instid1(VALU_DEP_1)
	v_fma_f32 v96, -v88, v95, 1.0
	v_fmac_f32_e32 v95, v96, v95
	s_delay_alu instid0(VALU_DEP_1) | instskip(NEXT) | instid1(VALU_DEP_1)
	v_mul_f32_e32 v96, v97, v95
	v_fma_f32 v98, -v88, v96, v97
	s_delay_alu instid0(VALU_DEP_1) | instskip(NEXT) | instid1(VALU_DEP_1)
	v_fmac_f32_e32 v96, v98, v95
	v_fma_f32 v88, -v88, v96, v97
	s_delay_alu instid0(VALU_DEP_1) | instskip(NEXT) | instid1(VALU_DEP_1)
	v_div_fmas_f32 v88, v88, v95, v96
	v_div_fixup_f32 v89, v88, v89, 1.0
	s_delay_alu instid0(VALU_DEP_1)
	v_mul_f32_e32 v88, v87, v89
	v_xor_b32_e32 v89, 0x80000000, v89
.LBB78_427:
	s_and_not1_saveexec_b32 s1, s1
	s_cbranch_execz .LBB78_429
; %bb.428:
	s_delay_alu instid0(VALU_DEP_1) | instskip(SKIP_1) | instid1(VALU_DEP_2)
	v_div_scale_f32 v87, null, v88, v88, v89
	v_div_scale_f32 v97, vcc_lo, v89, v88, v89
	v_rcp_f32_e32 v95, v87
	v_nop
	s_delay_alu instid0(TRANS32_DEP_1) | instskip(NEXT) | instid1(VALU_DEP_1)
	v_fma_f32 v96, -v87, v95, 1.0
	v_fmac_f32_e32 v95, v96, v95
	s_delay_alu instid0(VALU_DEP_1) | instskip(NEXT) | instid1(VALU_DEP_1)
	v_mul_f32_e32 v96, v97, v95
	v_fma_f32 v98, -v87, v96, v97
	s_delay_alu instid0(VALU_DEP_1) | instskip(NEXT) | instid1(VALU_DEP_1)
	v_fmac_f32_e32 v96, v98, v95
	v_fma_f32 v87, -v87, v96, v97
	s_delay_alu instid0(VALU_DEP_1) | instskip(NEXT) | instid1(VALU_DEP_1)
	v_div_fmas_f32 v87, v87, v95, v96
	v_div_fixup_f32 v87, v87, v88, v89
	s_delay_alu instid0(VALU_DEP_1) | instskip(NEXT) | instid1(VALU_DEP_1)
	v_fmac_f32_e32 v88, v89, v87
	v_div_scale_f32 v89, null, v88, v88, 1.0
	s_delay_alu instid0(VALU_DEP_1) | instskip(SKIP_1) | instid1(TRANS32_DEP_1)
	v_rcp_f32_e32 v95, v89
	v_nop
	v_fma_f32 v96, -v89, v95, 1.0
	s_delay_alu instid0(VALU_DEP_1) | instskip(SKIP_1) | instid1(VALU_DEP_1)
	v_fmac_f32_e32 v95, v96, v95
	v_div_scale_f32 v96, vcc_lo, 1.0, v88, 1.0
	v_mul_f32_e32 v97, v96, v95
	s_delay_alu instid0(VALU_DEP_1) | instskip(NEXT) | instid1(VALU_DEP_1)
	v_fma_f32 v98, -v89, v97, v96
	v_fmac_f32_e32 v97, v98, v95
	s_delay_alu instid0(VALU_DEP_1) | instskip(NEXT) | instid1(VALU_DEP_1)
	v_fma_f32 v89, -v89, v97, v96
	v_div_fmas_f32 v89, v89, v95, v97
	s_delay_alu instid0(VALU_DEP_1) | instskip(NEXT) | instid1(VALU_DEP_1)
	v_div_fixup_f32 v88, v89, v88, 1.0
	v_mul_f32_e64 v89, v87, -v88
.LBB78_429:
	s_or_b32 exec_lo, exec_lo, s1
.LBB78_430:
	s_delay_alu instid0(SALU_CYCLE_1) | instskip(NEXT) | instid1(SALU_CYCLE_1)
	s_or_b32 exec_lo, exec_lo, s0
	s_mov_b32 s0, exec_lo
	v_cmpx_ne_u32_e64 v94, v86
	s_xor_b32 s0, exec_lo, s0
	s_cbranch_execz .LBB78_436
; %bb.431:
	s_mov_b32 s1, exec_lo
	v_cmpx_eq_u32_e32 20, v94
	s_cbranch_execz .LBB78_435
; %bb.432:
	v_cmp_ne_u32_e32 vcc_lo, 20, v86
	s_xor_b32 s12, s16, -1
	s_delay_alu instid0(SALU_CYCLE_1) | instskip(NEXT) | instid1(SALU_CYCLE_1)
	s_and_b32 s13, s12, vcc_lo
	s_and_saveexec_b32 s12, s13
	s_cbranch_execz .LBB78_434
; %bb.433:
	v_ashrrev_i32_e32 v87, 31, v86
	s_delay_alu instid0(VALU_DEP_1)
	v_lshl_add_u64 v[94:95], v[86:87], 2, v[4:5]
	s_clause 0x1
	global_load_b32 v87, v[94:95], off
	global_load_b32 v93, v[4:5], off offset:80
	s_wait_loadcnt 0x1
	global_store_b32 v[4:5], v87, off offset:80
	s_wait_loadcnt 0x0
	global_store_b32 v[94:95], v93, off
.LBB78_434:
	s_wait_xcnt 0x0
	s_or_b32 exec_lo, exec_lo, s12
	v_dual_mov_b32 v94, v86 :: v_dual_mov_b32 v93, v86
.LBB78_435:
	s_or_b32 exec_lo, exec_lo, s1
.LBB78_436:
	s_and_not1_saveexec_b32 s0, s0
	s_cbranch_execz .LBB78_438
; %bb.437:
	v_mov_b32_e32 v94, 20
	ds_store_2addr_b64 v90, v[58:59], v[60:61] offset0:21 offset1:22
	ds_store_2addr_b64 v90, v[16:17], v[56:57] offset0:23 offset1:24
	;; [unrolled: 1-line block ×9, first 2 shown]
	ds_store_b64 v90, v[84:85] offset:312
.LBB78_438:
	s_or_b32 exec_lo, exec_lo, s0
	s_delay_alu instid0(SALU_CYCLE_1)
	s_mov_b32 s0, exec_lo
	s_wait_storecnt_dscnt 0x0
	s_barrier_signal -1
	s_barrier_wait -1
	v_cmpx_lt_i32_e32 20, v94
	s_cbranch_execz .LBB78_440
; %bb.439:
	v_pk_mul_f32 v[96:97], v[88:89], v[62:63] op_sel:[1,1] op_sel_hi:[0,1]
	s_delay_alu instid0(VALU_DEP_1)
	v_pk_fma_f32 v[86:87], v[88:89], v[62:63], v[96:97] op_sel_hi:[1,0,1] neg_lo:[0,0,1] neg_hi:[0,0,1]
	v_pk_fma_f32 v[88:89], v[88:89], v[62:63], v[96:97] op_sel_hi:[1,0,1]
	ds_load_2addr_b64 v[96:99], v90 offset0:21 offset1:22
	v_dual_mov_b32 v62, v86 :: v_dual_mov_b32 v63, v89
	s_wait_dscnt 0x0
	v_pk_mul_f32 v[100:101], v[96:97], v[88:89] op_sel:[0,1]
	s_delay_alu instid0(VALU_DEP_1) | instskip(SKIP_1) | instid1(VALU_DEP_1)
	v_pk_fma_f32 v[102:103], v[96:97], v[86:87], v[100:101] op_sel:[0,0,1] op_sel_hi:[1,1,0] neg_lo:[0,0,1] neg_hi:[0,0,1]
	v_pk_fma_f32 v[96:97], v[96:97], v[86:87], v[100:101] op_sel:[0,0,1] op_sel_hi:[1,0,0]
	v_mov_b32_e32 v103, v97
	v_pk_mul_f32 v[96:97], v[98:99], v[88:89] op_sel:[0,1]
	s_delay_alu instid0(VALU_DEP_1) | instskip(SKIP_1) | instid1(VALU_DEP_1)
	v_pk_fma_f32 v[100:101], v[98:99], v[86:87], v[96:97] op_sel:[0,0,1] op_sel_hi:[1,1,0] neg_lo:[0,0,1] neg_hi:[0,0,1]
	v_pk_fma_f32 v[96:97], v[98:99], v[86:87], v[96:97] op_sel:[0,0,1] op_sel_hi:[1,0,0]
	v_mov_b32_e32 v101, v97
	ds_load_2addr_b64 v[96:99], v90 offset0:23 offset1:24
	v_pk_add_f32 v[58:59], v[58:59], v[102:103] neg_lo:[0,1] neg_hi:[0,1]
	v_pk_add_f32 v[60:61], v[60:61], v[100:101] neg_lo:[0,1] neg_hi:[0,1]
	s_wait_dscnt 0x0
	v_pk_mul_f32 v[100:101], v[96:97], v[88:89] op_sel:[0,1]
	s_delay_alu instid0(VALU_DEP_1) | instskip(SKIP_2) | instid1(VALU_DEP_2)
	v_pk_fma_f32 v[102:103], v[96:97], v[86:87], v[100:101] op_sel:[0,0,1] op_sel_hi:[1,1,0] neg_lo:[0,0,1] neg_hi:[0,0,1]
	v_pk_fma_f32 v[96:97], v[96:97], v[86:87], v[100:101] op_sel:[0,0,1] op_sel_hi:[1,0,0]
	v_dual_mul_f32 v100, v99, v89 :: v_dual_mov_b32 v96, v99
	v_dual_mov_b32 v103, v97 :: v_dual_mov_b32 v97, v98
	s_delay_alu instid0(VALU_DEP_2) | instskip(SKIP_1) | instid1(VALU_DEP_3)
	v_pk_fma_f32 v[100:101], v[98:99], v[62:63], v[100:101] op_sel_hi:[1,1,0] neg_lo:[0,0,1] neg_hi:[0,0,1]
	v_mul_f32_e32 v98, v99, v86
	v_pk_add_f32 v[16:17], v[16:17], v[102:103] neg_lo:[0,1] neg_hi:[0,1]
	s_delay_alu instid0(VALU_DEP_2) | instskip(NEXT) | instid1(VALU_DEP_1)
	v_pk_fma_f32 v[96:97], v[96:97], v[62:63], v[98:99] op_sel_hi:[1,1,0]
	v_mov_b32_e32 v101, v97
	ds_load_2addr_b64 v[96:99], v90 offset0:25 offset1:26
	v_pk_add_f32 v[56:57], v[56:57], v[100:101] neg_lo:[0,1] neg_hi:[0,1]
	s_wait_dscnt 0x0
	v_pk_mul_f32 v[100:101], v[96:97], v[88:89] op_sel:[0,1]
	s_delay_alu instid0(VALU_DEP_1) | instskip(SKIP_1) | instid1(VALU_DEP_1)
	v_pk_fma_f32 v[102:103], v[96:97], v[86:87], v[100:101] op_sel:[0,0,1] op_sel_hi:[1,1,0] neg_lo:[0,0,1] neg_hi:[0,0,1]
	v_pk_fma_f32 v[96:97], v[96:97], v[86:87], v[100:101] op_sel:[0,0,1] op_sel_hi:[1,0,0]
	v_mov_b32_e32 v103, v97
	v_pk_mul_f32 v[96:97], v[98:99], v[88:89] op_sel:[0,1]
	s_delay_alu instid0(VALU_DEP_1) | instskip(SKIP_1) | instid1(VALU_DEP_1)
	v_pk_fma_f32 v[100:101], v[98:99], v[86:87], v[96:97] op_sel:[0,0,1] op_sel_hi:[1,1,0] neg_lo:[0,0,1] neg_hi:[0,0,1]
	v_pk_fma_f32 v[96:97], v[98:99], v[86:87], v[96:97] op_sel:[0,0,1] op_sel_hi:[1,0,0]
	v_mov_b32_e32 v101, v97
	ds_load_2addr_b64 v[96:99], v90 offset0:27 offset1:28
	v_pk_add_f32 v[52:53], v[52:53], v[102:103] neg_lo:[0,1] neg_hi:[0,1]
	v_pk_add_f32 v[54:55], v[54:55], v[100:101] neg_lo:[0,1] neg_hi:[0,1]
	s_wait_dscnt 0x0
	v_pk_mul_f32 v[100:101], v[96:97], v[88:89] op_sel:[0,1]
	s_delay_alu instid0(VALU_DEP_1) | instskip(SKIP_1) | instid1(VALU_DEP_1)
	v_pk_fma_f32 v[102:103], v[96:97], v[86:87], v[100:101] op_sel:[0,0,1] op_sel_hi:[1,1,0] neg_lo:[0,0,1] neg_hi:[0,0,1]
	v_pk_fma_f32 v[96:97], v[96:97], v[86:87], v[100:101] op_sel:[0,0,1] op_sel_hi:[1,0,0]
	v_mov_b32_e32 v103, v97
	v_pk_mul_f32 v[96:97], v[98:99], v[88:89] op_sel:[0,1]
	s_delay_alu instid0(VALU_DEP_1) | instskip(SKIP_1) | instid1(VALU_DEP_1)
	v_pk_fma_f32 v[100:101], v[98:99], v[86:87], v[96:97] op_sel:[0,0,1] op_sel_hi:[1,1,0] neg_lo:[0,0,1] neg_hi:[0,0,1]
	v_pk_fma_f32 v[96:97], v[98:99], v[86:87], v[96:97] op_sel:[0,0,1] op_sel_hi:[1,0,0]
	v_mov_b32_e32 v101, v97
	ds_load_2addr_b64 v[96:99], v90 offset0:29 offset1:30
	v_pk_add_f32 v[14:15], v[14:15], v[102:103] neg_lo:[0,1] neg_hi:[0,1]
	v_pk_add_f32 v[38:39], v[38:39], v[100:101] neg_lo:[0,1] neg_hi:[0,1]
	s_wait_dscnt 0x0
	v_dual_mul_f32 v100, v97, v89 :: v_dual_mul_f32 v102, v97, v86
	s_delay_alu instid0(VALU_DEP_1) | instskip(NEXT) | instid1(VALU_DEP_2)
	v_pk_fma_f32 v[100:101], v[96:97], v[62:63], v[100:101] op_sel_hi:[1,1,0] neg_lo:[0,0,1] neg_hi:[0,0,1]
	v_pk_fma_f32 v[96:97], v[96:97], v[62:63], v[102:103] op_sel:[1,0,0] op_sel_hi:[0,1,0]
	s_delay_alu instid0(VALU_DEP_1) | instskip(SKIP_1) | instid1(VALU_DEP_2)
	v_mov_b32_e32 v101, v97
	v_pk_mul_f32 v[96:97], v[98:99], v[88:89] op_sel:[0,1]
	v_pk_add_f32 v[34:35], v[34:35], v[100:101] neg_lo:[0,1] neg_hi:[0,1]
	s_delay_alu instid0(VALU_DEP_2) | instskip(SKIP_1) | instid1(VALU_DEP_1)
	v_pk_fma_f32 v[100:101], v[98:99], v[86:87], v[96:97] op_sel:[0,0,1] op_sel_hi:[1,1,0] neg_lo:[0,0,1] neg_hi:[0,0,1]
	v_pk_fma_f32 v[96:97], v[98:99], v[86:87], v[96:97] op_sel:[0,0,1] op_sel_hi:[1,0,0]
	v_mov_b32_e32 v101, v97
	ds_load_2addr_b64 v[96:99], v90 offset0:31 offset1:32
	v_pk_add_f32 v[36:37], v[36:37], v[100:101] neg_lo:[0,1] neg_hi:[0,1]
	s_wait_dscnt 0x0
	v_pk_mul_f32 v[100:101], v[96:97], v[88:89] op_sel:[0,1]
	s_delay_alu instid0(VALU_DEP_1) | instskip(SKIP_1) | instid1(VALU_DEP_1)
	v_pk_fma_f32 v[102:103], v[96:97], v[86:87], v[100:101] op_sel:[0,0,1] op_sel_hi:[1,1,0] neg_lo:[0,0,1] neg_hi:[0,0,1]
	v_pk_fma_f32 v[96:97], v[96:97], v[86:87], v[100:101] op_sel:[0,0,1] op_sel_hi:[1,0,0]
	v_mov_b32_e32 v103, v97
	v_pk_mul_f32 v[96:97], v[98:99], v[88:89] op_sel:[0,1]
	s_delay_alu instid0(VALU_DEP_2) | instskip(NEXT) | instid1(VALU_DEP_2)
	v_pk_add_f32 v[6:7], v[6:7], v[102:103] neg_lo:[0,1] neg_hi:[0,1]
	v_pk_fma_f32 v[100:101], v[98:99], v[86:87], v[96:97] op_sel:[0,0,1] op_sel_hi:[1,1,0] neg_lo:[0,0,1] neg_hi:[0,0,1]
	v_pk_fma_f32 v[96:97], v[98:99], v[86:87], v[96:97] op_sel:[0,0,1] op_sel_hi:[1,0,0]
	s_delay_alu instid0(VALU_DEP_1) | instskip(SKIP_4) | instid1(VALU_DEP_1)
	v_mov_b32_e32 v101, v97
	ds_load_2addr_b64 v[96:99], v90 offset0:33 offset1:34
	v_pk_add_f32 v[32:33], v[32:33], v[100:101] neg_lo:[0,1] neg_hi:[0,1]
	s_wait_dscnt 0x0
	v_pk_mul_f32 v[100:101], v[96:97], v[88:89] op_sel:[0,1]
	v_pk_fma_f32 v[102:103], v[96:97], v[86:87], v[100:101] op_sel:[0,0,1] op_sel_hi:[1,1,0] neg_lo:[0,0,1] neg_hi:[0,0,1]
	v_pk_fma_f32 v[96:97], v[96:97], v[86:87], v[100:101] op_sel:[0,0,1] op_sel_hi:[1,0,0]
	v_dual_mul_f32 v100, v99, v89 :: v_dual_mov_b32 v96, v99
	s_delay_alu instid0(VALU_DEP_2) | instskip(NEXT) | instid1(VALU_DEP_2)
	v_dual_mov_b32 v103, v97 :: v_dual_mov_b32 v97, v98
	v_pk_fma_f32 v[100:101], v[98:99], v[62:63], v[100:101] op_sel_hi:[1,1,0] neg_lo:[0,0,1] neg_hi:[0,0,1]
	v_mul_f32_e32 v98, v99, v86
	s_delay_alu instid0(VALU_DEP_3) | instskip(NEXT) | instid1(VALU_DEP_2)
	v_pk_add_f32 v[28:29], v[28:29], v[102:103] neg_lo:[0,1] neg_hi:[0,1]
	v_pk_fma_f32 v[96:97], v[96:97], v[62:63], v[98:99] op_sel_hi:[1,1,0]
	s_delay_alu instid0(VALU_DEP_1) | instskip(SKIP_4) | instid1(VALU_DEP_1)
	v_mov_b32_e32 v101, v97
	ds_load_2addr_b64 v[96:99], v90 offset0:35 offset1:36
	v_pk_add_f32 v[30:31], v[30:31], v[100:101] neg_lo:[0,1] neg_hi:[0,1]
	s_wait_dscnt 0x0
	v_pk_mul_f32 v[100:101], v[96:97], v[88:89] op_sel:[0,1]
	v_pk_fma_f32 v[102:103], v[96:97], v[86:87], v[100:101] op_sel:[0,0,1] op_sel_hi:[1,1,0] neg_lo:[0,0,1] neg_hi:[0,0,1]
	v_pk_fma_f32 v[96:97], v[96:97], v[86:87], v[100:101] op_sel:[0,0,1] op_sel_hi:[1,0,0]
	s_delay_alu instid0(VALU_DEP_1) | instskip(SKIP_1) | instid1(VALU_DEP_1)
	v_mov_b32_e32 v103, v97
	v_pk_mul_f32 v[96:97], v[98:99], v[88:89] op_sel:[0,1]
	v_pk_fma_f32 v[100:101], v[98:99], v[86:87], v[96:97] op_sel:[0,0,1] op_sel_hi:[1,1,0] neg_lo:[0,0,1] neg_hi:[0,0,1]
	v_pk_fma_f32 v[96:97], v[98:99], v[86:87], v[96:97] op_sel:[0,0,1] op_sel_hi:[1,0,0]
	s_delay_alu instid0(VALU_DEP_1)
	v_mov_b32_e32 v101, v97
	ds_load_2addr_b64 v[96:99], v90 offset0:37 offset1:38
	v_pk_add_f32 v[8:9], v[8:9], v[102:103] neg_lo:[0,1] neg_hi:[0,1]
	v_pk_add_f32 v[26:27], v[26:27], v[100:101] neg_lo:[0,1] neg_hi:[0,1]
	s_wait_dscnt 0x0
	v_pk_mul_f32 v[100:101], v[96:97], v[88:89] op_sel:[0,1]
	s_delay_alu instid0(VALU_DEP_1) | instskip(SKIP_1) | instid1(VALU_DEP_1)
	v_pk_fma_f32 v[102:103], v[96:97], v[86:87], v[100:101] op_sel:[0,0,1] op_sel_hi:[1,1,0] neg_lo:[0,0,1] neg_hi:[0,0,1]
	v_pk_fma_f32 v[96:97], v[96:97], v[86:87], v[100:101] op_sel:[0,0,1] op_sel_hi:[1,0,0]
	v_mov_b32_e32 v103, v97
	v_pk_mul_f32 v[96:97], v[98:99], v[88:89] op_sel:[0,1]
	s_delay_alu instid0(VALU_DEP_1) | instskip(SKIP_1) | instid1(VALU_DEP_1)
	v_pk_fma_f32 v[100:101], v[98:99], v[86:87], v[96:97] op_sel:[0,0,1] op_sel_hi:[1,1,0] neg_lo:[0,0,1] neg_hi:[0,0,1]
	v_pk_fma_f32 v[96:97], v[98:99], v[86:87], v[96:97] op_sel:[0,0,1] op_sel_hi:[1,0,0]
	v_mov_b32_e32 v101, v97
	ds_load_b64 v[96:97], v90 offset:312
	v_pk_add_f32 v[20:21], v[20:21], v[102:103] neg_lo:[0,1] neg_hi:[0,1]
	v_pk_add_f32 v[18:19], v[18:19], v[100:101] neg_lo:[0,1] neg_hi:[0,1]
	s_wait_dscnt 0x0
	v_pk_mul_f32 v[88:89], v[96:97], v[88:89] op_sel:[0,1]
	s_delay_alu instid0(VALU_DEP_1) | instskip(SKIP_1) | instid1(VALU_DEP_1)
	v_pk_fma_f32 v[98:99], v[96:97], v[86:87], v[88:89] op_sel:[0,0,1] op_sel_hi:[1,1,0] neg_lo:[0,0,1] neg_hi:[0,0,1]
	v_pk_fma_f32 v[86:87], v[96:97], v[86:87], v[88:89] op_sel:[0,0,1] op_sel_hi:[1,0,0]
	v_mov_b32_e32 v99, v87
	s_delay_alu instid0(VALU_DEP_1)
	v_pk_add_f32 v[84:85], v[84:85], v[98:99] neg_lo:[0,1] neg_hi:[0,1]
.LBB78_440:
	s_or_b32 exec_lo, exec_lo, s0
	v_lshl_add_u32 v86, v94, 3, v90
	s_barrier_signal -1
	s_barrier_wait -1
	ds_store_b64 v86, v[58:59]
	s_wait_dscnt 0x0
	s_barrier_signal -1
	s_barrier_wait -1
	ds_load_b64 v[86:87], v90 offset:168
	v_mov_b32_e32 v88, 21
	s_cmp_lt_i32 s18, 23
	s_cbranch_scc1 .LBB78_443
; %bb.441:
	v_add3_u32 v89, v91, 0, 0xb0
	v_mov_b32_e32 v88, 21
	s_mov_b32 s0, 22
.LBB78_442:                             ; =>This Inner Loop Header: Depth=1
	ds_load_b64 v[96:97], v89
	s_wait_dscnt 0x1
	v_cmp_gt_f32_e32 vcc_lo, 0, v86
	v_cndmask_b32_e64 v98, v86, -v86, vcc_lo
	v_cmp_gt_f32_e32 vcc_lo, 0, v87
	v_cndmask_b32_e64 v100, v87, -v87, vcc_lo
	s_wait_dscnt 0x0
	v_cmp_gt_f32_e32 vcc_lo, 0, v96
	v_cndmask_b32_e64 v99, v96, -v96, vcc_lo
	v_cmp_gt_f32_e32 vcc_lo, 0, v97
	v_cndmask_b32_e64 v101, v97, -v97, vcc_lo
	s_delay_alu instid0(VALU_DEP_1) | instskip(NEXT) | instid1(VALU_DEP_1)
	v_pk_add_f32 v[98:99], v[98:99], v[100:101]
	v_cmp_lt_f32_e32 vcc_lo, v98, v99
	v_dual_cndmask_b32 v86, v86, v96 :: v_dual_add_nc_u32 v89, 8, v89
	v_cndmask_b32_e32 v87, v87, v97, vcc_lo
	v_cndmask_b32_e64 v88, v88, s0, vcc_lo
	s_add_co_i32 s0, s0, 1
	s_delay_alu instid0(SALU_CYCLE_1)
	s_cmp_lg_u32 s18, s0
	s_cbranch_scc1 .LBB78_442
.LBB78_443:
	s_wait_dscnt 0x0
	v_cmp_eq_f32_e32 vcc_lo, 0, v86
	v_cmp_eq_f32_e64 s0, 0, v87
	s_and_b32 s0, vcc_lo, s0
	s_delay_alu instid0(SALU_CYCLE_1) | instskip(NEXT) | instid1(SALU_CYCLE_1)
	s_and_saveexec_b32 s1, s0
	s_xor_b32 s0, exec_lo, s1
; %bb.444:
	v_cmp_ne_u32_e32 vcc_lo, 0, v92
	v_cndmask_b32_e32 v92, 22, v92, vcc_lo
; %bb.445:
	s_and_not1_saveexec_b32 s0, s0
	s_cbranch_execz .LBB78_451
; %bb.446:
	v_cmp_ngt_f32_e64 s1, |v86|, |v87|
	s_and_saveexec_b32 s12, s1
	s_delay_alu instid0(SALU_CYCLE_1)
	s_xor_b32 s1, exec_lo, s12
	s_cbranch_execz .LBB78_448
; %bb.447:
	v_div_scale_f32 v89, null, v87, v87, v86
	v_div_scale_f32 v97, vcc_lo, v86, v87, v86
	s_delay_alu instid0(VALU_DEP_2) | instskip(SKIP_1) | instid1(TRANS32_DEP_1)
	v_rcp_f32_e32 v95, v89
	v_nop
	v_fma_f32 v96, -v89, v95, 1.0
	s_delay_alu instid0(VALU_DEP_1) | instskip(NEXT) | instid1(VALU_DEP_1)
	v_fmac_f32_e32 v95, v96, v95
	v_mul_f32_e32 v96, v97, v95
	s_delay_alu instid0(VALU_DEP_1) | instskip(NEXT) | instid1(VALU_DEP_1)
	v_fma_f32 v98, -v89, v96, v97
	v_fmac_f32_e32 v96, v98, v95
	s_delay_alu instid0(VALU_DEP_1) | instskip(NEXT) | instid1(VALU_DEP_1)
	v_fma_f32 v89, -v89, v96, v97
	v_div_fmas_f32 v89, v89, v95, v96
	s_delay_alu instid0(VALU_DEP_1) | instskip(NEXT) | instid1(VALU_DEP_1)
	v_div_fixup_f32 v89, v89, v87, v86
	v_fmac_f32_e32 v87, v86, v89
	s_delay_alu instid0(VALU_DEP_1) | instskip(SKIP_1) | instid1(VALU_DEP_2)
	v_div_scale_f32 v86, null, v87, v87, 1.0
	v_div_scale_f32 v97, vcc_lo, 1.0, v87, 1.0
	v_rcp_f32_e32 v95, v86
	v_nop
	s_delay_alu instid0(TRANS32_DEP_1) | instskip(NEXT) | instid1(VALU_DEP_1)
	v_fma_f32 v96, -v86, v95, 1.0
	v_fmac_f32_e32 v95, v96, v95
	s_delay_alu instid0(VALU_DEP_1) | instskip(NEXT) | instid1(VALU_DEP_1)
	v_mul_f32_e32 v96, v97, v95
	v_fma_f32 v98, -v86, v96, v97
	s_delay_alu instid0(VALU_DEP_1) | instskip(NEXT) | instid1(VALU_DEP_1)
	v_fmac_f32_e32 v96, v98, v95
	v_fma_f32 v86, -v86, v96, v97
	s_delay_alu instid0(VALU_DEP_1) | instskip(NEXT) | instid1(VALU_DEP_1)
	v_div_fmas_f32 v86, v86, v95, v96
	v_div_fixup_f32 v87, v86, v87, 1.0
	s_delay_alu instid0(VALU_DEP_1)
	v_mul_f32_e32 v86, v89, v87
	v_xor_b32_e32 v87, 0x80000000, v87
.LBB78_448:
	s_and_not1_saveexec_b32 s1, s1
	s_cbranch_execz .LBB78_450
; %bb.449:
	s_delay_alu instid0(VALU_DEP_1) | instskip(SKIP_1) | instid1(VALU_DEP_2)
	v_div_scale_f32 v89, null, v86, v86, v87
	v_div_scale_f32 v97, vcc_lo, v87, v86, v87
	v_rcp_f32_e32 v95, v89
	v_nop
	s_delay_alu instid0(TRANS32_DEP_1) | instskip(NEXT) | instid1(VALU_DEP_1)
	v_fma_f32 v96, -v89, v95, 1.0
	v_fmac_f32_e32 v95, v96, v95
	s_delay_alu instid0(VALU_DEP_1) | instskip(NEXT) | instid1(VALU_DEP_1)
	v_mul_f32_e32 v96, v97, v95
	v_fma_f32 v98, -v89, v96, v97
	s_delay_alu instid0(VALU_DEP_1) | instskip(NEXT) | instid1(VALU_DEP_1)
	v_fmac_f32_e32 v96, v98, v95
	v_fma_f32 v89, -v89, v96, v97
	s_delay_alu instid0(VALU_DEP_1) | instskip(NEXT) | instid1(VALU_DEP_1)
	v_div_fmas_f32 v89, v89, v95, v96
	v_div_fixup_f32 v89, v89, v86, v87
	s_delay_alu instid0(VALU_DEP_1) | instskip(NEXT) | instid1(VALU_DEP_1)
	v_fmac_f32_e32 v86, v87, v89
	v_div_scale_f32 v87, null, v86, v86, 1.0
	s_delay_alu instid0(VALU_DEP_1) | instskip(SKIP_1) | instid1(TRANS32_DEP_1)
	v_rcp_f32_e32 v95, v87
	v_nop
	v_fma_f32 v96, -v87, v95, 1.0
	s_delay_alu instid0(VALU_DEP_1) | instskip(SKIP_1) | instid1(VALU_DEP_1)
	v_fmac_f32_e32 v95, v96, v95
	v_div_scale_f32 v96, vcc_lo, 1.0, v86, 1.0
	v_mul_f32_e32 v97, v96, v95
	s_delay_alu instid0(VALU_DEP_1) | instskip(NEXT) | instid1(VALU_DEP_1)
	v_fma_f32 v98, -v87, v97, v96
	v_fmac_f32_e32 v97, v98, v95
	s_delay_alu instid0(VALU_DEP_1) | instskip(NEXT) | instid1(VALU_DEP_1)
	v_fma_f32 v87, -v87, v97, v96
	v_div_fmas_f32 v87, v87, v95, v97
	s_delay_alu instid0(VALU_DEP_1) | instskip(NEXT) | instid1(VALU_DEP_1)
	v_div_fixup_f32 v86, v87, v86, 1.0
	v_mul_f32_e64 v87, v89, -v86
.LBB78_450:
	s_or_b32 exec_lo, exec_lo, s1
.LBB78_451:
	s_delay_alu instid0(SALU_CYCLE_1) | instskip(NEXT) | instid1(SALU_CYCLE_1)
	s_or_b32 exec_lo, exec_lo, s0
	s_mov_b32 s0, exec_lo
	v_cmpx_ne_u32_e64 v94, v88
	s_xor_b32 s0, exec_lo, s0
	s_cbranch_execz .LBB78_457
; %bb.452:
	s_mov_b32 s1, exec_lo
	v_cmpx_eq_u32_e32 21, v94
	s_cbranch_execz .LBB78_456
; %bb.453:
	v_cmp_ne_u32_e32 vcc_lo, 21, v88
	s_xor_b32 s12, s16, -1
	s_delay_alu instid0(SALU_CYCLE_1) | instskip(NEXT) | instid1(SALU_CYCLE_1)
	s_and_b32 s13, s12, vcc_lo
	s_and_saveexec_b32 s12, s13
	s_cbranch_execz .LBB78_455
; %bb.454:
	v_ashrrev_i32_e32 v89, 31, v88
	s_delay_alu instid0(VALU_DEP_1)
	v_lshl_add_u64 v[94:95], v[88:89], 2, v[4:5]
	s_clause 0x1
	global_load_b32 v89, v[94:95], off
	global_load_b32 v93, v[4:5], off offset:84
	s_wait_loadcnt 0x1
	global_store_b32 v[4:5], v89, off offset:84
	s_wait_loadcnt 0x0
	global_store_b32 v[94:95], v93, off
.LBB78_455:
	s_wait_xcnt 0x0
	s_or_b32 exec_lo, exec_lo, s12
	v_dual_mov_b32 v94, v88 :: v_dual_mov_b32 v93, v88
.LBB78_456:
	s_or_b32 exec_lo, exec_lo, s1
.LBB78_457:
	s_and_not1_saveexec_b32 s0, s0
	s_cbranch_execz .LBB78_459
; %bb.458:
	v_dual_mov_b32 v88, v60 :: v_dual_mov_b32 v89, v61
	v_dual_mov_b32 v94, v16 :: v_dual_mov_b32 v95, v17
	;; [unrolled: 1-line block ×8, first 2 shown]
	ds_store_2addr_b64 v90, v[88:89], v[94:95] offset0:22 offset1:23
	ds_store_2addr_b64 v90, v[96:97], v[98:99] offset0:24 offset1:25
	;; [unrolled: 1-line block ×4, first 2 shown]
	v_dual_mov_b32 v88, v36 :: v_dual_mov_b32 v89, v37
	v_dual_mov_b32 v96, v6 :: v_dual_mov_b32 v97, v7
	;; [unrolled: 1-line block ×9, first 2 shown]
	v_mov_b32_e32 v111, v19
	ds_store_2addr_b64 v90, v[88:89], v[96:97] offset0:30 offset1:31
	ds_store_2addr_b64 v90, v[98:99], v[100:101] offset0:32 offset1:33
	;; [unrolled: 1-line block ×5, first 2 shown]
.LBB78_459:
	s_or_b32 exec_lo, exec_lo, s0
	s_delay_alu instid0(SALU_CYCLE_1)
	s_mov_b32 s0, exec_lo
	s_wait_storecnt_dscnt 0x0
	s_barrier_signal -1
	s_barrier_wait -1
	v_cmpx_lt_i32_e32 21, v94
	s_cbranch_execz .LBB78_461
; %bb.460:
	v_pk_mul_f32 v[96:97], v[86:87], v[58:59] op_sel:[1,1] op_sel_hi:[0,1]
	s_delay_alu instid0(VALU_DEP_1)
	v_pk_fma_f32 v[88:89], v[86:87], v[58:59], v[96:97] op_sel_hi:[1,0,1] neg_lo:[0,0,1] neg_hi:[0,0,1]
	v_pk_fma_f32 v[86:87], v[86:87], v[58:59], v[96:97] op_sel_hi:[1,0,1]
	ds_load_2addr_b64 v[96:99], v90 offset0:22 offset1:23
	v_dual_mov_b32 v58, v88 :: v_dual_mov_b32 v59, v87
	s_wait_dscnt 0x0
	v_pk_mul_f32 v[100:101], v[96:97], v[86:87] op_sel:[0,1]
	s_delay_alu instid0(VALU_DEP_1) | instskip(SKIP_1) | instid1(VALU_DEP_1)
	v_pk_fma_f32 v[102:103], v[96:97], v[88:89], v[100:101] op_sel:[0,0,1] op_sel_hi:[1,1,0] neg_lo:[0,0,1] neg_hi:[0,0,1]
	v_pk_fma_f32 v[96:97], v[96:97], v[88:89], v[100:101] op_sel:[0,0,1] op_sel_hi:[1,0,0]
	v_mov_b32_e32 v103, v97
	v_pk_mul_f32 v[96:97], v[98:99], v[86:87] op_sel:[0,1]
	s_delay_alu instid0(VALU_DEP_1) | instskip(SKIP_1) | instid1(VALU_DEP_1)
	v_pk_fma_f32 v[100:101], v[98:99], v[88:89], v[96:97] op_sel:[0,0,1] op_sel_hi:[1,1,0] neg_lo:[0,0,1] neg_hi:[0,0,1]
	v_pk_fma_f32 v[96:97], v[98:99], v[88:89], v[96:97] op_sel:[0,0,1] op_sel_hi:[1,0,0]
	v_mov_b32_e32 v101, v97
	ds_load_2addr_b64 v[96:99], v90 offset0:24 offset1:25
	v_pk_add_f32 v[60:61], v[60:61], v[102:103] neg_lo:[0,1] neg_hi:[0,1]
	v_pk_add_f32 v[16:17], v[16:17], v[100:101] neg_lo:[0,1] neg_hi:[0,1]
	s_wait_dscnt 0x0
	v_pk_mul_f32 v[100:101], v[96:97], v[86:87] op_sel:[0,1]
	s_delay_alu instid0(VALU_DEP_1) | instskip(SKIP_2) | instid1(VALU_DEP_2)
	v_pk_fma_f32 v[102:103], v[96:97], v[88:89], v[100:101] op_sel:[0,0,1] op_sel_hi:[1,1,0] neg_lo:[0,0,1] neg_hi:[0,0,1]
	v_pk_fma_f32 v[96:97], v[96:97], v[88:89], v[100:101] op_sel:[0,0,1] op_sel_hi:[1,0,0]
	v_dual_mul_f32 v100, v99, v87 :: v_dual_mov_b32 v96, v99
	v_dual_mov_b32 v103, v97 :: v_dual_mov_b32 v97, v98
	s_delay_alu instid0(VALU_DEP_2) | instskip(SKIP_1) | instid1(VALU_DEP_3)
	v_pk_fma_f32 v[100:101], v[98:99], v[58:59], v[100:101] op_sel_hi:[1,1,0] neg_lo:[0,0,1] neg_hi:[0,0,1]
	v_mul_f32_e32 v98, v99, v88
	v_pk_add_f32 v[56:57], v[56:57], v[102:103] neg_lo:[0,1] neg_hi:[0,1]
	s_delay_alu instid0(VALU_DEP_2) | instskip(NEXT) | instid1(VALU_DEP_1)
	v_pk_fma_f32 v[96:97], v[96:97], v[58:59], v[98:99] op_sel_hi:[1,1,0]
	v_mov_b32_e32 v101, v97
	ds_load_2addr_b64 v[96:99], v90 offset0:26 offset1:27
	v_pk_add_f32 v[52:53], v[52:53], v[100:101] neg_lo:[0,1] neg_hi:[0,1]
	s_wait_dscnt 0x0
	v_pk_mul_f32 v[100:101], v[96:97], v[86:87] op_sel:[0,1]
	s_delay_alu instid0(VALU_DEP_1) | instskip(SKIP_1) | instid1(VALU_DEP_1)
	v_pk_fma_f32 v[102:103], v[96:97], v[88:89], v[100:101] op_sel:[0,0,1] op_sel_hi:[1,1,0] neg_lo:[0,0,1] neg_hi:[0,0,1]
	v_pk_fma_f32 v[96:97], v[96:97], v[88:89], v[100:101] op_sel:[0,0,1] op_sel_hi:[1,0,0]
	v_mov_b32_e32 v103, v97
	v_pk_mul_f32 v[96:97], v[98:99], v[86:87] op_sel:[0,1]
	s_delay_alu instid0(VALU_DEP_1) | instskip(SKIP_1) | instid1(VALU_DEP_1)
	v_pk_fma_f32 v[100:101], v[98:99], v[88:89], v[96:97] op_sel:[0,0,1] op_sel_hi:[1,1,0] neg_lo:[0,0,1] neg_hi:[0,0,1]
	v_pk_fma_f32 v[96:97], v[98:99], v[88:89], v[96:97] op_sel:[0,0,1] op_sel_hi:[1,0,0]
	v_mov_b32_e32 v101, v97
	ds_load_2addr_b64 v[96:99], v90 offset0:28 offset1:29
	v_pk_add_f32 v[54:55], v[54:55], v[102:103] neg_lo:[0,1] neg_hi:[0,1]
	v_pk_add_f32 v[14:15], v[14:15], v[100:101] neg_lo:[0,1] neg_hi:[0,1]
	s_wait_dscnt 0x0
	v_pk_mul_f32 v[100:101], v[96:97], v[86:87] op_sel:[0,1]
	s_delay_alu instid0(VALU_DEP_1) | instskip(SKIP_1) | instid1(VALU_DEP_1)
	v_pk_fma_f32 v[102:103], v[96:97], v[88:89], v[100:101] op_sel:[0,0,1] op_sel_hi:[1,1,0] neg_lo:[0,0,1] neg_hi:[0,0,1]
	v_pk_fma_f32 v[96:97], v[96:97], v[88:89], v[100:101] op_sel:[0,0,1] op_sel_hi:[1,0,0]
	v_mov_b32_e32 v103, v97
	v_pk_mul_f32 v[96:97], v[98:99], v[86:87] op_sel:[0,1]
	s_delay_alu instid0(VALU_DEP_1) | instskip(SKIP_1) | instid1(VALU_DEP_1)
	v_pk_fma_f32 v[100:101], v[98:99], v[88:89], v[96:97] op_sel:[0,0,1] op_sel_hi:[1,1,0] neg_lo:[0,0,1] neg_hi:[0,0,1]
	v_pk_fma_f32 v[96:97], v[98:99], v[88:89], v[96:97] op_sel:[0,0,1] op_sel_hi:[1,0,0]
	v_mov_b32_e32 v101, v97
	ds_load_2addr_b64 v[96:99], v90 offset0:30 offset1:31
	v_pk_add_f32 v[38:39], v[38:39], v[102:103] neg_lo:[0,1] neg_hi:[0,1]
	v_pk_add_f32 v[34:35], v[34:35], v[100:101] neg_lo:[0,1] neg_hi:[0,1]
	s_wait_dscnt 0x0
	v_dual_mul_f32 v100, v97, v87 :: v_dual_mul_f32 v102, v97, v88
	s_delay_alu instid0(VALU_DEP_1) | instskip(NEXT) | instid1(VALU_DEP_2)
	v_pk_fma_f32 v[100:101], v[96:97], v[58:59], v[100:101] op_sel_hi:[1,1,0] neg_lo:[0,0,1] neg_hi:[0,0,1]
	v_pk_fma_f32 v[96:97], v[96:97], v[58:59], v[102:103] op_sel:[1,0,0] op_sel_hi:[0,1,0]
	s_delay_alu instid0(VALU_DEP_1) | instskip(SKIP_1) | instid1(VALU_DEP_2)
	v_mov_b32_e32 v101, v97
	v_pk_mul_f32 v[96:97], v[98:99], v[86:87] op_sel:[0,1]
	v_pk_add_f32 v[36:37], v[36:37], v[100:101] neg_lo:[0,1] neg_hi:[0,1]
	s_delay_alu instid0(VALU_DEP_2) | instskip(SKIP_1) | instid1(VALU_DEP_1)
	v_pk_fma_f32 v[100:101], v[98:99], v[88:89], v[96:97] op_sel:[0,0,1] op_sel_hi:[1,1,0] neg_lo:[0,0,1] neg_hi:[0,0,1]
	v_pk_fma_f32 v[96:97], v[98:99], v[88:89], v[96:97] op_sel:[0,0,1] op_sel_hi:[1,0,0]
	v_mov_b32_e32 v101, v97
	ds_load_2addr_b64 v[96:99], v90 offset0:32 offset1:33
	v_pk_add_f32 v[6:7], v[6:7], v[100:101] neg_lo:[0,1] neg_hi:[0,1]
	s_wait_dscnt 0x0
	v_pk_mul_f32 v[100:101], v[96:97], v[86:87] op_sel:[0,1]
	s_delay_alu instid0(VALU_DEP_1) | instskip(SKIP_1) | instid1(VALU_DEP_1)
	v_pk_fma_f32 v[102:103], v[96:97], v[88:89], v[100:101] op_sel:[0,0,1] op_sel_hi:[1,1,0] neg_lo:[0,0,1] neg_hi:[0,0,1]
	v_pk_fma_f32 v[96:97], v[96:97], v[88:89], v[100:101] op_sel:[0,0,1] op_sel_hi:[1,0,0]
	v_mov_b32_e32 v103, v97
	v_pk_mul_f32 v[96:97], v[98:99], v[86:87] op_sel:[0,1]
	s_delay_alu instid0(VALU_DEP_2) | instskip(NEXT) | instid1(VALU_DEP_2)
	v_pk_add_f32 v[32:33], v[32:33], v[102:103] neg_lo:[0,1] neg_hi:[0,1]
	v_pk_fma_f32 v[100:101], v[98:99], v[88:89], v[96:97] op_sel:[0,0,1] op_sel_hi:[1,1,0] neg_lo:[0,0,1] neg_hi:[0,0,1]
	v_pk_fma_f32 v[96:97], v[98:99], v[88:89], v[96:97] op_sel:[0,0,1] op_sel_hi:[1,0,0]
	s_delay_alu instid0(VALU_DEP_1) | instskip(SKIP_4) | instid1(VALU_DEP_1)
	v_mov_b32_e32 v101, v97
	ds_load_2addr_b64 v[96:99], v90 offset0:34 offset1:35
	v_pk_add_f32 v[28:29], v[28:29], v[100:101] neg_lo:[0,1] neg_hi:[0,1]
	s_wait_dscnt 0x0
	v_pk_mul_f32 v[100:101], v[96:97], v[86:87] op_sel:[0,1]
	v_pk_fma_f32 v[102:103], v[96:97], v[88:89], v[100:101] op_sel:[0,0,1] op_sel_hi:[1,1,0] neg_lo:[0,0,1] neg_hi:[0,0,1]
	v_pk_fma_f32 v[96:97], v[96:97], v[88:89], v[100:101] op_sel:[0,0,1] op_sel_hi:[1,0,0]
	v_dual_mul_f32 v100, v99, v87 :: v_dual_mov_b32 v96, v99
	s_delay_alu instid0(VALU_DEP_2) | instskip(NEXT) | instid1(VALU_DEP_2)
	v_dual_mov_b32 v103, v97 :: v_dual_mov_b32 v97, v98
	v_pk_fma_f32 v[100:101], v[98:99], v[58:59], v[100:101] op_sel_hi:[1,1,0] neg_lo:[0,0,1] neg_hi:[0,0,1]
	v_mul_f32_e32 v98, v99, v88
	s_delay_alu instid0(VALU_DEP_3) | instskip(NEXT) | instid1(VALU_DEP_2)
	v_pk_add_f32 v[30:31], v[30:31], v[102:103] neg_lo:[0,1] neg_hi:[0,1]
	v_pk_fma_f32 v[96:97], v[96:97], v[58:59], v[98:99] op_sel_hi:[1,1,0]
	s_delay_alu instid0(VALU_DEP_1) | instskip(SKIP_4) | instid1(VALU_DEP_1)
	v_mov_b32_e32 v101, v97
	ds_load_2addr_b64 v[96:99], v90 offset0:36 offset1:37
	v_pk_add_f32 v[8:9], v[8:9], v[100:101] neg_lo:[0,1] neg_hi:[0,1]
	s_wait_dscnt 0x0
	v_pk_mul_f32 v[100:101], v[96:97], v[86:87] op_sel:[0,1]
	v_pk_fma_f32 v[102:103], v[96:97], v[88:89], v[100:101] op_sel:[0,0,1] op_sel_hi:[1,1,0] neg_lo:[0,0,1] neg_hi:[0,0,1]
	v_pk_fma_f32 v[96:97], v[96:97], v[88:89], v[100:101] op_sel:[0,0,1] op_sel_hi:[1,0,0]
	s_delay_alu instid0(VALU_DEP_1) | instskip(SKIP_1) | instid1(VALU_DEP_1)
	v_mov_b32_e32 v103, v97
	v_pk_mul_f32 v[96:97], v[98:99], v[86:87] op_sel:[0,1]
	v_pk_fma_f32 v[100:101], v[98:99], v[88:89], v[96:97] op_sel:[0,0,1] op_sel_hi:[1,1,0] neg_lo:[0,0,1] neg_hi:[0,0,1]
	v_pk_fma_f32 v[96:97], v[98:99], v[88:89], v[96:97] op_sel:[0,0,1] op_sel_hi:[1,0,0]
	s_delay_alu instid0(VALU_DEP_1)
	v_mov_b32_e32 v101, v97
	ds_load_2addr_b64 v[96:99], v90 offset0:38 offset1:39
	v_pk_add_f32 v[26:27], v[26:27], v[102:103] neg_lo:[0,1] neg_hi:[0,1]
	v_pk_add_f32 v[20:21], v[20:21], v[100:101] neg_lo:[0,1] neg_hi:[0,1]
	s_wait_dscnt 0x0
	v_pk_mul_f32 v[100:101], v[96:97], v[86:87] op_sel:[0,1]
	v_mul_f32_e32 v86, v99, v87
	s_delay_alu instid0(VALU_DEP_2) | instskip(SKIP_2) | instid1(VALU_DEP_4)
	v_pk_fma_f32 v[102:103], v[96:97], v[88:89], v[100:101] op_sel:[0,0,1] op_sel_hi:[1,1,0] neg_lo:[0,0,1] neg_hi:[0,0,1]
	v_pk_fma_f32 v[96:97], v[96:97], v[88:89], v[100:101] op_sel:[0,0,1] op_sel_hi:[1,0,0]
	v_dual_mov_b32 v96, v99 :: v_dual_mul_f32 v88, v99, v88
	v_pk_fma_f32 v[86:87], v[98:99], v[58:59], v[86:87] op_sel_hi:[1,1,0] neg_lo:[0,0,1] neg_hi:[0,0,1]
	s_delay_alu instid0(VALU_DEP_3) | instskip(NEXT) | instid1(VALU_DEP_1)
	v_dual_mov_b32 v103, v97 :: v_dual_mov_b32 v97, v98
	v_pk_add_f32 v[18:19], v[18:19], v[102:103] neg_lo:[0,1] neg_hi:[0,1]
	s_delay_alu instid0(VALU_DEP_2) | instskip(NEXT) | instid1(VALU_DEP_1)
	v_pk_fma_f32 v[88:89], v[96:97], v[58:59], v[88:89] op_sel_hi:[1,1,0]
	v_mov_b32_e32 v87, v89
	s_delay_alu instid0(VALU_DEP_1)
	v_pk_add_f32 v[84:85], v[84:85], v[86:87] neg_lo:[0,1] neg_hi:[0,1]
.LBB78_461:
	s_or_b32 exec_lo, exec_lo, s0
	v_lshl_add_u32 v86, v94, 3, v90
	s_barrier_signal -1
	s_barrier_wait -1
	ds_store_b64 v86, v[60:61]
	s_wait_dscnt 0x0
	s_barrier_signal -1
	s_barrier_wait -1
	ds_load_b64 v[86:87], v90 offset:176
	v_mov_b32_e32 v88, 22
	s_cmp_lt_i32 s18, 24
	s_cbranch_scc1 .LBB78_464
; %bb.462:
	v_add3_u32 v89, v91, 0, 0xb8
	v_mov_b32_e32 v88, 22
	s_mov_b32 s0, 23
.LBB78_463:                             ; =>This Inner Loop Header: Depth=1
	ds_load_b64 v[96:97], v89
	s_wait_dscnt 0x1
	v_cmp_gt_f32_e32 vcc_lo, 0, v86
	v_cndmask_b32_e64 v98, v86, -v86, vcc_lo
	v_cmp_gt_f32_e32 vcc_lo, 0, v87
	v_cndmask_b32_e64 v100, v87, -v87, vcc_lo
	s_wait_dscnt 0x0
	v_cmp_gt_f32_e32 vcc_lo, 0, v96
	v_cndmask_b32_e64 v99, v96, -v96, vcc_lo
	v_cmp_gt_f32_e32 vcc_lo, 0, v97
	v_cndmask_b32_e64 v101, v97, -v97, vcc_lo
	s_delay_alu instid0(VALU_DEP_1) | instskip(NEXT) | instid1(VALU_DEP_1)
	v_pk_add_f32 v[98:99], v[98:99], v[100:101]
	v_cmp_lt_f32_e32 vcc_lo, v98, v99
	v_dual_cndmask_b32 v86, v86, v96 :: v_dual_add_nc_u32 v89, 8, v89
	v_cndmask_b32_e32 v87, v87, v97, vcc_lo
	v_cndmask_b32_e64 v88, v88, s0, vcc_lo
	s_add_co_i32 s0, s0, 1
	s_delay_alu instid0(SALU_CYCLE_1)
	s_cmp_lg_u32 s18, s0
	s_cbranch_scc1 .LBB78_463
.LBB78_464:
	s_wait_dscnt 0x0
	v_cmp_eq_f32_e32 vcc_lo, 0, v86
	v_cmp_eq_f32_e64 s0, 0, v87
	s_and_b32 s0, vcc_lo, s0
	s_delay_alu instid0(SALU_CYCLE_1) | instskip(NEXT) | instid1(SALU_CYCLE_1)
	s_and_saveexec_b32 s1, s0
	s_xor_b32 s0, exec_lo, s1
; %bb.465:
	v_cmp_ne_u32_e32 vcc_lo, 0, v92
	v_cndmask_b32_e32 v92, 23, v92, vcc_lo
; %bb.466:
	s_and_not1_saveexec_b32 s0, s0
	s_cbranch_execz .LBB78_472
; %bb.467:
	v_cmp_ngt_f32_e64 s1, |v86|, |v87|
	s_and_saveexec_b32 s12, s1
	s_delay_alu instid0(SALU_CYCLE_1)
	s_xor_b32 s1, exec_lo, s12
	s_cbranch_execz .LBB78_469
; %bb.468:
	v_div_scale_f32 v89, null, v87, v87, v86
	v_div_scale_f32 v97, vcc_lo, v86, v87, v86
	s_delay_alu instid0(VALU_DEP_2) | instskip(SKIP_1) | instid1(TRANS32_DEP_1)
	v_rcp_f32_e32 v95, v89
	v_nop
	v_fma_f32 v96, -v89, v95, 1.0
	s_delay_alu instid0(VALU_DEP_1) | instskip(NEXT) | instid1(VALU_DEP_1)
	v_fmac_f32_e32 v95, v96, v95
	v_mul_f32_e32 v96, v97, v95
	s_delay_alu instid0(VALU_DEP_1) | instskip(NEXT) | instid1(VALU_DEP_1)
	v_fma_f32 v98, -v89, v96, v97
	v_fmac_f32_e32 v96, v98, v95
	s_delay_alu instid0(VALU_DEP_1) | instskip(NEXT) | instid1(VALU_DEP_1)
	v_fma_f32 v89, -v89, v96, v97
	v_div_fmas_f32 v89, v89, v95, v96
	s_delay_alu instid0(VALU_DEP_1) | instskip(NEXT) | instid1(VALU_DEP_1)
	v_div_fixup_f32 v89, v89, v87, v86
	v_fmac_f32_e32 v87, v86, v89
	s_delay_alu instid0(VALU_DEP_1) | instskip(SKIP_1) | instid1(VALU_DEP_2)
	v_div_scale_f32 v86, null, v87, v87, 1.0
	v_div_scale_f32 v97, vcc_lo, 1.0, v87, 1.0
	v_rcp_f32_e32 v95, v86
	v_nop
	s_delay_alu instid0(TRANS32_DEP_1) | instskip(NEXT) | instid1(VALU_DEP_1)
	v_fma_f32 v96, -v86, v95, 1.0
	v_fmac_f32_e32 v95, v96, v95
	s_delay_alu instid0(VALU_DEP_1) | instskip(NEXT) | instid1(VALU_DEP_1)
	v_mul_f32_e32 v96, v97, v95
	v_fma_f32 v98, -v86, v96, v97
	s_delay_alu instid0(VALU_DEP_1) | instskip(NEXT) | instid1(VALU_DEP_1)
	v_fmac_f32_e32 v96, v98, v95
	v_fma_f32 v86, -v86, v96, v97
	s_delay_alu instid0(VALU_DEP_1) | instskip(NEXT) | instid1(VALU_DEP_1)
	v_div_fmas_f32 v86, v86, v95, v96
	v_div_fixup_f32 v87, v86, v87, 1.0
	s_delay_alu instid0(VALU_DEP_1)
	v_mul_f32_e32 v86, v89, v87
	v_xor_b32_e32 v87, 0x80000000, v87
.LBB78_469:
	s_and_not1_saveexec_b32 s1, s1
	s_cbranch_execz .LBB78_471
; %bb.470:
	s_delay_alu instid0(VALU_DEP_1) | instskip(SKIP_1) | instid1(VALU_DEP_2)
	v_div_scale_f32 v89, null, v86, v86, v87
	v_div_scale_f32 v97, vcc_lo, v87, v86, v87
	v_rcp_f32_e32 v95, v89
	v_nop
	s_delay_alu instid0(TRANS32_DEP_1) | instskip(NEXT) | instid1(VALU_DEP_1)
	v_fma_f32 v96, -v89, v95, 1.0
	v_fmac_f32_e32 v95, v96, v95
	s_delay_alu instid0(VALU_DEP_1) | instskip(NEXT) | instid1(VALU_DEP_1)
	v_mul_f32_e32 v96, v97, v95
	v_fma_f32 v98, -v89, v96, v97
	s_delay_alu instid0(VALU_DEP_1) | instskip(NEXT) | instid1(VALU_DEP_1)
	v_fmac_f32_e32 v96, v98, v95
	v_fma_f32 v89, -v89, v96, v97
	s_delay_alu instid0(VALU_DEP_1) | instskip(NEXT) | instid1(VALU_DEP_1)
	v_div_fmas_f32 v89, v89, v95, v96
	v_div_fixup_f32 v89, v89, v86, v87
	s_delay_alu instid0(VALU_DEP_1) | instskip(NEXT) | instid1(VALU_DEP_1)
	v_fmac_f32_e32 v86, v87, v89
	v_div_scale_f32 v87, null, v86, v86, 1.0
	s_delay_alu instid0(VALU_DEP_1) | instskip(SKIP_1) | instid1(TRANS32_DEP_1)
	v_rcp_f32_e32 v95, v87
	v_nop
	v_fma_f32 v96, -v87, v95, 1.0
	s_delay_alu instid0(VALU_DEP_1) | instskip(SKIP_1) | instid1(VALU_DEP_1)
	v_fmac_f32_e32 v95, v96, v95
	v_div_scale_f32 v96, vcc_lo, 1.0, v86, 1.0
	v_mul_f32_e32 v97, v96, v95
	s_delay_alu instid0(VALU_DEP_1) | instskip(NEXT) | instid1(VALU_DEP_1)
	v_fma_f32 v98, -v87, v97, v96
	v_fmac_f32_e32 v97, v98, v95
	s_delay_alu instid0(VALU_DEP_1) | instskip(NEXT) | instid1(VALU_DEP_1)
	v_fma_f32 v87, -v87, v97, v96
	v_div_fmas_f32 v87, v87, v95, v97
	s_delay_alu instid0(VALU_DEP_1) | instskip(NEXT) | instid1(VALU_DEP_1)
	v_div_fixup_f32 v86, v87, v86, 1.0
	v_mul_f32_e64 v87, v89, -v86
.LBB78_471:
	s_or_b32 exec_lo, exec_lo, s1
.LBB78_472:
	s_delay_alu instid0(SALU_CYCLE_1) | instskip(NEXT) | instid1(SALU_CYCLE_1)
	s_or_b32 exec_lo, exec_lo, s0
	s_mov_b32 s0, exec_lo
	v_cmpx_ne_u32_e64 v94, v88
	s_xor_b32 s0, exec_lo, s0
	s_cbranch_execz .LBB78_478
; %bb.473:
	s_mov_b32 s1, exec_lo
	v_cmpx_eq_u32_e32 22, v94
	s_cbranch_execz .LBB78_477
; %bb.474:
	v_cmp_ne_u32_e32 vcc_lo, 22, v88
	s_xor_b32 s12, s16, -1
	s_delay_alu instid0(SALU_CYCLE_1) | instskip(NEXT) | instid1(SALU_CYCLE_1)
	s_and_b32 s13, s12, vcc_lo
	s_and_saveexec_b32 s12, s13
	s_cbranch_execz .LBB78_476
; %bb.475:
	v_ashrrev_i32_e32 v89, 31, v88
	s_delay_alu instid0(VALU_DEP_1)
	v_lshl_add_u64 v[94:95], v[88:89], 2, v[4:5]
	s_clause 0x1
	global_load_b32 v89, v[94:95], off
	global_load_b32 v93, v[4:5], off offset:88
	s_wait_loadcnt 0x1
	global_store_b32 v[4:5], v89, off offset:88
	s_wait_loadcnt 0x0
	global_store_b32 v[94:95], v93, off
.LBB78_476:
	s_wait_xcnt 0x0
	s_or_b32 exec_lo, exec_lo, s12
	v_dual_mov_b32 v94, v88 :: v_dual_mov_b32 v93, v88
.LBB78_477:
	s_or_b32 exec_lo, exec_lo, s1
.LBB78_478:
	s_and_not1_saveexec_b32 s0, s0
	s_cbranch_execz .LBB78_480
; %bb.479:
	v_mov_b32_e32 v94, 22
	ds_store_2addr_b64 v90, v[16:17], v[56:57] offset0:23 offset1:24
	ds_store_2addr_b64 v90, v[52:53], v[54:55] offset0:25 offset1:26
	;; [unrolled: 1-line block ×8, first 2 shown]
	ds_store_b64 v90, v[84:85] offset:312
.LBB78_480:
	s_or_b32 exec_lo, exec_lo, s0
	s_delay_alu instid0(SALU_CYCLE_1)
	s_mov_b32 s0, exec_lo
	s_wait_storecnt_dscnt 0x0
	s_barrier_signal -1
	s_barrier_wait -1
	v_cmpx_lt_i32_e32 22, v94
	s_cbranch_execz .LBB78_482
; %bb.481:
	v_pk_mul_f32 v[96:97], v[86:87], v[60:61] op_sel:[1,1] op_sel_hi:[0,1]
	s_delay_alu instid0(VALU_DEP_1)
	v_pk_fma_f32 v[88:89], v[86:87], v[60:61], v[96:97] op_sel_hi:[1,0,1] neg_lo:[0,0,1] neg_hi:[0,0,1]
	v_pk_fma_f32 v[86:87], v[86:87], v[60:61], v[96:97] op_sel_hi:[1,0,1]
	ds_load_2addr_b64 v[96:99], v90 offset0:23 offset1:24
	v_dual_mov_b32 v60, v88 :: v_dual_mov_b32 v61, v87
	s_wait_dscnt 0x0
	v_pk_mul_f32 v[100:101], v[96:97], v[86:87] op_sel:[0,1]
	s_delay_alu instid0(VALU_DEP_1) | instskip(SKIP_1) | instid1(VALU_DEP_1)
	v_pk_fma_f32 v[102:103], v[96:97], v[88:89], v[100:101] op_sel:[0,0,1] op_sel_hi:[1,1,0] neg_lo:[0,0,1] neg_hi:[0,0,1]
	v_pk_fma_f32 v[96:97], v[96:97], v[88:89], v[100:101] op_sel:[0,0,1] op_sel_hi:[1,0,0]
	v_mov_b32_e32 v103, v97
	v_pk_mul_f32 v[96:97], v[98:99], v[86:87] op_sel:[0,1]
	s_delay_alu instid0(VALU_DEP_1) | instskip(SKIP_1) | instid1(VALU_DEP_1)
	v_pk_fma_f32 v[100:101], v[98:99], v[88:89], v[96:97] op_sel:[0,0,1] op_sel_hi:[1,1,0] neg_lo:[0,0,1] neg_hi:[0,0,1]
	v_pk_fma_f32 v[96:97], v[98:99], v[88:89], v[96:97] op_sel:[0,0,1] op_sel_hi:[1,0,0]
	v_mov_b32_e32 v101, v97
	ds_load_2addr_b64 v[96:99], v90 offset0:25 offset1:26
	v_pk_add_f32 v[16:17], v[16:17], v[102:103] neg_lo:[0,1] neg_hi:[0,1]
	v_pk_add_f32 v[56:57], v[56:57], v[100:101] neg_lo:[0,1] neg_hi:[0,1]
	s_wait_dscnt 0x0
	v_pk_mul_f32 v[100:101], v[96:97], v[86:87] op_sel:[0,1]
	s_delay_alu instid0(VALU_DEP_1) | instskip(SKIP_2) | instid1(VALU_DEP_2)
	v_pk_fma_f32 v[102:103], v[96:97], v[88:89], v[100:101] op_sel:[0,0,1] op_sel_hi:[1,1,0] neg_lo:[0,0,1] neg_hi:[0,0,1]
	v_pk_fma_f32 v[96:97], v[96:97], v[88:89], v[100:101] op_sel:[0,0,1] op_sel_hi:[1,0,0]
	v_dual_mul_f32 v100, v99, v87 :: v_dual_mov_b32 v96, v99
	v_dual_mov_b32 v103, v97 :: v_dual_mov_b32 v97, v98
	s_delay_alu instid0(VALU_DEP_2) | instskip(SKIP_1) | instid1(VALU_DEP_3)
	v_pk_fma_f32 v[100:101], v[98:99], v[60:61], v[100:101] op_sel_hi:[1,1,0] neg_lo:[0,0,1] neg_hi:[0,0,1]
	v_mul_f32_e32 v98, v99, v88
	v_pk_add_f32 v[52:53], v[52:53], v[102:103] neg_lo:[0,1] neg_hi:[0,1]
	s_delay_alu instid0(VALU_DEP_2) | instskip(NEXT) | instid1(VALU_DEP_1)
	v_pk_fma_f32 v[96:97], v[96:97], v[60:61], v[98:99] op_sel_hi:[1,1,0]
	v_mov_b32_e32 v101, v97
	ds_load_2addr_b64 v[96:99], v90 offset0:27 offset1:28
	v_pk_add_f32 v[54:55], v[54:55], v[100:101] neg_lo:[0,1] neg_hi:[0,1]
	s_wait_dscnt 0x0
	v_pk_mul_f32 v[100:101], v[96:97], v[86:87] op_sel:[0,1]
	s_delay_alu instid0(VALU_DEP_1) | instskip(SKIP_1) | instid1(VALU_DEP_1)
	v_pk_fma_f32 v[102:103], v[96:97], v[88:89], v[100:101] op_sel:[0,0,1] op_sel_hi:[1,1,0] neg_lo:[0,0,1] neg_hi:[0,0,1]
	v_pk_fma_f32 v[96:97], v[96:97], v[88:89], v[100:101] op_sel:[0,0,1] op_sel_hi:[1,0,0]
	v_mov_b32_e32 v103, v97
	v_pk_mul_f32 v[96:97], v[98:99], v[86:87] op_sel:[0,1]
	s_delay_alu instid0(VALU_DEP_1) | instskip(SKIP_1) | instid1(VALU_DEP_1)
	v_pk_fma_f32 v[100:101], v[98:99], v[88:89], v[96:97] op_sel:[0,0,1] op_sel_hi:[1,1,0] neg_lo:[0,0,1] neg_hi:[0,0,1]
	v_pk_fma_f32 v[96:97], v[98:99], v[88:89], v[96:97] op_sel:[0,0,1] op_sel_hi:[1,0,0]
	v_mov_b32_e32 v101, v97
	ds_load_2addr_b64 v[96:99], v90 offset0:29 offset1:30
	v_pk_add_f32 v[14:15], v[14:15], v[102:103] neg_lo:[0,1] neg_hi:[0,1]
	v_pk_add_f32 v[38:39], v[38:39], v[100:101] neg_lo:[0,1] neg_hi:[0,1]
	s_wait_dscnt 0x0
	v_pk_mul_f32 v[100:101], v[96:97], v[86:87] op_sel:[0,1]
	s_delay_alu instid0(VALU_DEP_1) | instskip(SKIP_1) | instid1(VALU_DEP_1)
	v_pk_fma_f32 v[102:103], v[96:97], v[88:89], v[100:101] op_sel:[0,0,1] op_sel_hi:[1,1,0] neg_lo:[0,0,1] neg_hi:[0,0,1]
	v_pk_fma_f32 v[96:97], v[96:97], v[88:89], v[100:101] op_sel:[0,0,1] op_sel_hi:[1,0,0]
	v_mov_b32_e32 v103, v97
	v_pk_mul_f32 v[96:97], v[98:99], v[86:87] op_sel:[0,1]
	s_delay_alu instid0(VALU_DEP_1) | instskip(SKIP_1) | instid1(VALU_DEP_1)
	v_pk_fma_f32 v[100:101], v[98:99], v[88:89], v[96:97] op_sel:[0,0,1] op_sel_hi:[1,1,0] neg_lo:[0,0,1] neg_hi:[0,0,1]
	v_pk_fma_f32 v[96:97], v[98:99], v[88:89], v[96:97] op_sel:[0,0,1] op_sel_hi:[1,0,0]
	v_mov_b32_e32 v101, v97
	ds_load_2addr_b64 v[96:99], v90 offset0:31 offset1:32
	v_pk_add_f32 v[34:35], v[34:35], v[102:103] neg_lo:[0,1] neg_hi:[0,1]
	v_pk_add_f32 v[36:37], v[36:37], v[100:101] neg_lo:[0,1] neg_hi:[0,1]
	s_wait_dscnt 0x0
	v_dual_mul_f32 v100, v97, v87 :: v_dual_mul_f32 v102, v97, v88
	s_delay_alu instid0(VALU_DEP_1) | instskip(NEXT) | instid1(VALU_DEP_2)
	v_pk_fma_f32 v[100:101], v[96:97], v[60:61], v[100:101] op_sel_hi:[1,1,0] neg_lo:[0,0,1] neg_hi:[0,0,1]
	v_pk_fma_f32 v[96:97], v[96:97], v[60:61], v[102:103] op_sel:[1,0,0] op_sel_hi:[0,1,0]
	s_delay_alu instid0(VALU_DEP_1) | instskip(SKIP_1) | instid1(VALU_DEP_2)
	v_mov_b32_e32 v101, v97
	v_pk_mul_f32 v[96:97], v[98:99], v[86:87] op_sel:[0,1]
	v_pk_add_f32 v[6:7], v[6:7], v[100:101] neg_lo:[0,1] neg_hi:[0,1]
	s_delay_alu instid0(VALU_DEP_2) | instskip(SKIP_1) | instid1(VALU_DEP_1)
	v_pk_fma_f32 v[100:101], v[98:99], v[88:89], v[96:97] op_sel:[0,0,1] op_sel_hi:[1,1,0] neg_lo:[0,0,1] neg_hi:[0,0,1]
	v_pk_fma_f32 v[96:97], v[98:99], v[88:89], v[96:97] op_sel:[0,0,1] op_sel_hi:[1,0,0]
	v_mov_b32_e32 v101, v97
	ds_load_2addr_b64 v[96:99], v90 offset0:33 offset1:34
	v_pk_add_f32 v[32:33], v[32:33], v[100:101] neg_lo:[0,1] neg_hi:[0,1]
	s_wait_dscnt 0x0
	v_pk_mul_f32 v[100:101], v[96:97], v[86:87] op_sel:[0,1]
	s_delay_alu instid0(VALU_DEP_1) | instskip(SKIP_1) | instid1(VALU_DEP_1)
	v_pk_fma_f32 v[102:103], v[96:97], v[88:89], v[100:101] op_sel:[0,0,1] op_sel_hi:[1,1,0] neg_lo:[0,0,1] neg_hi:[0,0,1]
	v_pk_fma_f32 v[96:97], v[96:97], v[88:89], v[100:101] op_sel:[0,0,1] op_sel_hi:[1,0,0]
	v_mov_b32_e32 v103, v97
	v_pk_mul_f32 v[96:97], v[98:99], v[86:87] op_sel:[0,1]
	s_delay_alu instid0(VALU_DEP_2) | instskip(NEXT) | instid1(VALU_DEP_2)
	v_pk_add_f32 v[28:29], v[28:29], v[102:103] neg_lo:[0,1] neg_hi:[0,1]
	v_pk_fma_f32 v[100:101], v[98:99], v[88:89], v[96:97] op_sel:[0,0,1] op_sel_hi:[1,1,0] neg_lo:[0,0,1] neg_hi:[0,0,1]
	v_pk_fma_f32 v[96:97], v[98:99], v[88:89], v[96:97] op_sel:[0,0,1] op_sel_hi:[1,0,0]
	s_delay_alu instid0(VALU_DEP_1) | instskip(SKIP_4) | instid1(VALU_DEP_1)
	v_mov_b32_e32 v101, v97
	ds_load_2addr_b64 v[96:99], v90 offset0:35 offset1:36
	v_pk_add_f32 v[30:31], v[30:31], v[100:101] neg_lo:[0,1] neg_hi:[0,1]
	s_wait_dscnt 0x0
	v_pk_mul_f32 v[100:101], v[96:97], v[86:87] op_sel:[0,1]
	v_pk_fma_f32 v[102:103], v[96:97], v[88:89], v[100:101] op_sel:[0,0,1] op_sel_hi:[1,1,0] neg_lo:[0,0,1] neg_hi:[0,0,1]
	v_pk_fma_f32 v[96:97], v[96:97], v[88:89], v[100:101] op_sel:[0,0,1] op_sel_hi:[1,0,0]
	v_dual_mul_f32 v100, v99, v87 :: v_dual_mov_b32 v96, v99
	s_delay_alu instid0(VALU_DEP_2) | instskip(NEXT) | instid1(VALU_DEP_2)
	v_dual_mov_b32 v103, v97 :: v_dual_mov_b32 v97, v98
	v_pk_fma_f32 v[100:101], v[98:99], v[60:61], v[100:101] op_sel_hi:[1,1,0] neg_lo:[0,0,1] neg_hi:[0,0,1]
	v_mul_f32_e32 v98, v99, v88
	s_delay_alu instid0(VALU_DEP_3) | instskip(NEXT) | instid1(VALU_DEP_2)
	v_pk_add_f32 v[8:9], v[8:9], v[102:103] neg_lo:[0,1] neg_hi:[0,1]
	v_pk_fma_f32 v[96:97], v[96:97], v[60:61], v[98:99] op_sel_hi:[1,1,0]
	s_delay_alu instid0(VALU_DEP_1) | instskip(SKIP_4) | instid1(VALU_DEP_1)
	v_mov_b32_e32 v101, v97
	ds_load_2addr_b64 v[96:99], v90 offset0:37 offset1:38
	v_pk_add_f32 v[26:27], v[26:27], v[100:101] neg_lo:[0,1] neg_hi:[0,1]
	s_wait_dscnt 0x0
	v_pk_mul_f32 v[100:101], v[96:97], v[86:87] op_sel:[0,1]
	v_pk_fma_f32 v[102:103], v[96:97], v[88:89], v[100:101] op_sel:[0,0,1] op_sel_hi:[1,1,0] neg_lo:[0,0,1] neg_hi:[0,0,1]
	v_pk_fma_f32 v[96:97], v[96:97], v[88:89], v[100:101] op_sel:[0,0,1] op_sel_hi:[1,0,0]
	s_delay_alu instid0(VALU_DEP_1) | instskip(SKIP_1) | instid1(VALU_DEP_1)
	v_mov_b32_e32 v103, v97
	v_pk_mul_f32 v[96:97], v[98:99], v[86:87] op_sel:[0,1]
	v_pk_fma_f32 v[100:101], v[98:99], v[88:89], v[96:97] op_sel:[0,0,1] op_sel_hi:[1,1,0] neg_lo:[0,0,1] neg_hi:[0,0,1]
	v_pk_fma_f32 v[96:97], v[98:99], v[88:89], v[96:97] op_sel:[0,0,1] op_sel_hi:[1,0,0]
	s_delay_alu instid0(VALU_DEP_1)
	v_mov_b32_e32 v101, v97
	ds_load_b64 v[96:97], v90 offset:312
	v_pk_add_f32 v[20:21], v[20:21], v[102:103] neg_lo:[0,1] neg_hi:[0,1]
	v_pk_add_f32 v[18:19], v[18:19], v[100:101] neg_lo:[0,1] neg_hi:[0,1]
	s_wait_dscnt 0x0
	v_pk_mul_f32 v[86:87], v[96:97], v[86:87] op_sel:[0,1]
	s_delay_alu instid0(VALU_DEP_1) | instskip(SKIP_1) | instid1(VALU_DEP_1)
	v_pk_fma_f32 v[98:99], v[96:97], v[88:89], v[86:87] op_sel:[0,0,1] op_sel_hi:[1,1,0] neg_lo:[0,0,1] neg_hi:[0,0,1]
	v_pk_fma_f32 v[86:87], v[96:97], v[88:89], v[86:87] op_sel:[0,0,1] op_sel_hi:[1,0,0]
	v_mov_b32_e32 v99, v87
	s_delay_alu instid0(VALU_DEP_1)
	v_pk_add_f32 v[84:85], v[84:85], v[98:99] neg_lo:[0,1] neg_hi:[0,1]
.LBB78_482:
	s_or_b32 exec_lo, exec_lo, s0
	v_lshl_add_u32 v86, v94, 3, v90
	s_barrier_signal -1
	s_barrier_wait -1
	ds_store_b64 v86, v[16:17]
	s_wait_dscnt 0x0
	s_barrier_signal -1
	s_barrier_wait -1
	ds_load_b64 v[86:87], v90 offset:184
	v_mov_b32_e32 v88, 23
	s_cmp_lt_i32 s18, 25
	s_cbranch_scc1 .LBB78_485
; %bb.483:
	v_add3_u32 v89, v91, 0, 0xc0
	v_mov_b32_e32 v88, 23
	s_mov_b32 s0, 24
.LBB78_484:                             ; =>This Inner Loop Header: Depth=1
	ds_load_b64 v[96:97], v89
	s_wait_dscnt 0x1
	v_cmp_gt_f32_e32 vcc_lo, 0, v86
	v_cndmask_b32_e64 v98, v86, -v86, vcc_lo
	v_cmp_gt_f32_e32 vcc_lo, 0, v87
	v_cndmask_b32_e64 v100, v87, -v87, vcc_lo
	s_wait_dscnt 0x0
	v_cmp_gt_f32_e32 vcc_lo, 0, v96
	v_cndmask_b32_e64 v99, v96, -v96, vcc_lo
	v_cmp_gt_f32_e32 vcc_lo, 0, v97
	v_cndmask_b32_e64 v101, v97, -v97, vcc_lo
	s_delay_alu instid0(VALU_DEP_1) | instskip(NEXT) | instid1(VALU_DEP_1)
	v_pk_add_f32 v[98:99], v[98:99], v[100:101]
	v_cmp_lt_f32_e32 vcc_lo, v98, v99
	v_dual_cndmask_b32 v86, v86, v96 :: v_dual_add_nc_u32 v89, 8, v89
	v_cndmask_b32_e32 v87, v87, v97, vcc_lo
	v_cndmask_b32_e64 v88, v88, s0, vcc_lo
	s_add_co_i32 s0, s0, 1
	s_delay_alu instid0(SALU_CYCLE_1)
	s_cmp_lg_u32 s18, s0
	s_cbranch_scc1 .LBB78_484
.LBB78_485:
	s_wait_dscnt 0x0
	v_cmp_eq_f32_e32 vcc_lo, 0, v86
	v_cmp_eq_f32_e64 s0, 0, v87
	s_and_b32 s0, vcc_lo, s0
	s_delay_alu instid0(SALU_CYCLE_1) | instskip(NEXT) | instid1(SALU_CYCLE_1)
	s_and_saveexec_b32 s1, s0
	s_xor_b32 s0, exec_lo, s1
; %bb.486:
	v_cmp_ne_u32_e32 vcc_lo, 0, v92
	v_cndmask_b32_e32 v92, 24, v92, vcc_lo
; %bb.487:
	s_and_not1_saveexec_b32 s0, s0
	s_cbranch_execz .LBB78_493
; %bb.488:
	v_cmp_ngt_f32_e64 s1, |v86|, |v87|
	s_and_saveexec_b32 s12, s1
	s_delay_alu instid0(SALU_CYCLE_1)
	s_xor_b32 s1, exec_lo, s12
	s_cbranch_execz .LBB78_490
; %bb.489:
	v_div_scale_f32 v89, null, v87, v87, v86
	v_div_scale_f32 v97, vcc_lo, v86, v87, v86
	s_delay_alu instid0(VALU_DEP_2) | instskip(SKIP_1) | instid1(TRANS32_DEP_1)
	v_rcp_f32_e32 v95, v89
	v_nop
	v_fma_f32 v96, -v89, v95, 1.0
	s_delay_alu instid0(VALU_DEP_1) | instskip(NEXT) | instid1(VALU_DEP_1)
	v_fmac_f32_e32 v95, v96, v95
	v_mul_f32_e32 v96, v97, v95
	s_delay_alu instid0(VALU_DEP_1) | instskip(NEXT) | instid1(VALU_DEP_1)
	v_fma_f32 v98, -v89, v96, v97
	v_fmac_f32_e32 v96, v98, v95
	s_delay_alu instid0(VALU_DEP_1) | instskip(NEXT) | instid1(VALU_DEP_1)
	v_fma_f32 v89, -v89, v96, v97
	v_div_fmas_f32 v89, v89, v95, v96
	s_delay_alu instid0(VALU_DEP_1) | instskip(NEXT) | instid1(VALU_DEP_1)
	v_div_fixup_f32 v89, v89, v87, v86
	v_fmac_f32_e32 v87, v86, v89
	s_delay_alu instid0(VALU_DEP_1) | instskip(SKIP_1) | instid1(VALU_DEP_2)
	v_div_scale_f32 v86, null, v87, v87, 1.0
	v_div_scale_f32 v97, vcc_lo, 1.0, v87, 1.0
	v_rcp_f32_e32 v95, v86
	v_nop
	s_delay_alu instid0(TRANS32_DEP_1) | instskip(NEXT) | instid1(VALU_DEP_1)
	v_fma_f32 v96, -v86, v95, 1.0
	v_fmac_f32_e32 v95, v96, v95
	s_delay_alu instid0(VALU_DEP_1) | instskip(NEXT) | instid1(VALU_DEP_1)
	v_mul_f32_e32 v96, v97, v95
	v_fma_f32 v98, -v86, v96, v97
	s_delay_alu instid0(VALU_DEP_1) | instskip(NEXT) | instid1(VALU_DEP_1)
	v_fmac_f32_e32 v96, v98, v95
	v_fma_f32 v86, -v86, v96, v97
	s_delay_alu instid0(VALU_DEP_1) | instskip(NEXT) | instid1(VALU_DEP_1)
	v_div_fmas_f32 v86, v86, v95, v96
	v_div_fixup_f32 v87, v86, v87, 1.0
	s_delay_alu instid0(VALU_DEP_1)
	v_mul_f32_e32 v86, v89, v87
	v_xor_b32_e32 v87, 0x80000000, v87
.LBB78_490:
	s_and_not1_saveexec_b32 s1, s1
	s_cbranch_execz .LBB78_492
; %bb.491:
	s_delay_alu instid0(VALU_DEP_1) | instskip(SKIP_1) | instid1(VALU_DEP_2)
	v_div_scale_f32 v89, null, v86, v86, v87
	v_div_scale_f32 v97, vcc_lo, v87, v86, v87
	v_rcp_f32_e32 v95, v89
	v_nop
	s_delay_alu instid0(TRANS32_DEP_1) | instskip(NEXT) | instid1(VALU_DEP_1)
	v_fma_f32 v96, -v89, v95, 1.0
	v_fmac_f32_e32 v95, v96, v95
	s_delay_alu instid0(VALU_DEP_1) | instskip(NEXT) | instid1(VALU_DEP_1)
	v_mul_f32_e32 v96, v97, v95
	v_fma_f32 v98, -v89, v96, v97
	s_delay_alu instid0(VALU_DEP_1) | instskip(NEXT) | instid1(VALU_DEP_1)
	v_fmac_f32_e32 v96, v98, v95
	v_fma_f32 v89, -v89, v96, v97
	s_delay_alu instid0(VALU_DEP_1) | instskip(NEXT) | instid1(VALU_DEP_1)
	v_div_fmas_f32 v89, v89, v95, v96
	v_div_fixup_f32 v89, v89, v86, v87
	s_delay_alu instid0(VALU_DEP_1) | instskip(NEXT) | instid1(VALU_DEP_1)
	v_fmac_f32_e32 v86, v87, v89
	v_div_scale_f32 v87, null, v86, v86, 1.0
	s_delay_alu instid0(VALU_DEP_1) | instskip(SKIP_1) | instid1(TRANS32_DEP_1)
	v_rcp_f32_e32 v95, v87
	v_nop
	v_fma_f32 v96, -v87, v95, 1.0
	s_delay_alu instid0(VALU_DEP_1) | instskip(SKIP_1) | instid1(VALU_DEP_1)
	v_fmac_f32_e32 v95, v96, v95
	v_div_scale_f32 v96, vcc_lo, 1.0, v86, 1.0
	v_mul_f32_e32 v97, v96, v95
	s_delay_alu instid0(VALU_DEP_1) | instskip(NEXT) | instid1(VALU_DEP_1)
	v_fma_f32 v98, -v87, v97, v96
	v_fmac_f32_e32 v97, v98, v95
	s_delay_alu instid0(VALU_DEP_1) | instskip(NEXT) | instid1(VALU_DEP_1)
	v_fma_f32 v87, -v87, v97, v96
	v_div_fmas_f32 v87, v87, v95, v97
	s_delay_alu instid0(VALU_DEP_1) | instskip(NEXT) | instid1(VALU_DEP_1)
	v_div_fixup_f32 v86, v87, v86, 1.0
	v_mul_f32_e64 v87, v89, -v86
.LBB78_492:
	s_or_b32 exec_lo, exec_lo, s1
.LBB78_493:
	s_delay_alu instid0(SALU_CYCLE_1) | instskip(NEXT) | instid1(SALU_CYCLE_1)
	s_or_b32 exec_lo, exec_lo, s0
	s_mov_b32 s0, exec_lo
	v_cmpx_ne_u32_e64 v94, v88
	s_xor_b32 s0, exec_lo, s0
	s_cbranch_execz .LBB78_499
; %bb.494:
	s_mov_b32 s1, exec_lo
	v_cmpx_eq_u32_e32 23, v94
	s_cbranch_execz .LBB78_498
; %bb.495:
	v_cmp_ne_u32_e32 vcc_lo, 23, v88
	s_xor_b32 s12, s16, -1
	s_delay_alu instid0(SALU_CYCLE_1) | instskip(NEXT) | instid1(SALU_CYCLE_1)
	s_and_b32 s13, s12, vcc_lo
	s_and_saveexec_b32 s12, s13
	s_cbranch_execz .LBB78_497
; %bb.496:
	v_ashrrev_i32_e32 v89, 31, v88
	s_delay_alu instid0(VALU_DEP_1)
	v_lshl_add_u64 v[94:95], v[88:89], 2, v[4:5]
	s_clause 0x1
	global_load_b32 v89, v[94:95], off
	global_load_b32 v93, v[4:5], off offset:92
	s_wait_loadcnt 0x1
	global_store_b32 v[4:5], v89, off offset:92
	s_wait_loadcnt 0x0
	global_store_b32 v[94:95], v93, off
.LBB78_497:
	s_wait_xcnt 0x0
	s_or_b32 exec_lo, exec_lo, s12
	v_dual_mov_b32 v94, v88 :: v_dual_mov_b32 v93, v88
.LBB78_498:
	s_or_b32 exec_lo, exec_lo, s1
.LBB78_499:
	s_and_not1_saveexec_b32 s0, s0
	s_cbranch_execz .LBB78_501
; %bb.500:
	v_dual_mov_b32 v88, v56 :: v_dual_mov_b32 v89, v57
	v_dual_mov_b32 v94, v52 :: v_dual_mov_b32 v95, v53
	;; [unrolled: 1-line block ×8, first 2 shown]
	ds_store_2addr_b64 v90, v[88:89], v[94:95] offset0:24 offset1:25
	ds_store_2addr_b64 v90, v[96:97], v[98:99] offset0:26 offset1:27
	;; [unrolled: 1-line block ×4, first 2 shown]
	v_dual_mov_b32 v88, v32 :: v_dual_mov_b32 v89, v33
	v_dual_mov_b32 v96, v28 :: v_dual_mov_b32 v97, v29
	;; [unrolled: 1-line block ×7, first 2 shown]
	v_mov_b32_e32 v107, v19
	ds_store_2addr_b64 v90, v[88:89], v[96:97] offset0:32 offset1:33
	ds_store_2addr_b64 v90, v[98:99], v[100:101] offset0:34 offset1:35
	;; [unrolled: 1-line block ×4, first 2 shown]
.LBB78_501:
	s_or_b32 exec_lo, exec_lo, s0
	s_delay_alu instid0(SALU_CYCLE_1)
	s_mov_b32 s0, exec_lo
	s_wait_storecnt_dscnt 0x0
	s_barrier_signal -1
	s_barrier_wait -1
	v_cmpx_lt_i32_e32 23, v94
	s_cbranch_execz .LBB78_503
; %bb.502:
	v_pk_mul_f32 v[96:97], v[86:87], v[16:17] op_sel:[1,1] op_sel_hi:[0,1]
	s_delay_alu instid0(VALU_DEP_1)
	v_pk_fma_f32 v[88:89], v[86:87], v[16:17], v[96:97] op_sel_hi:[1,0,1] neg_lo:[0,0,1] neg_hi:[0,0,1]
	v_pk_fma_f32 v[86:87], v[86:87], v[16:17], v[96:97] op_sel_hi:[1,0,1]
	ds_load_2addr_b64 v[96:99], v90 offset0:24 offset1:25
	v_dual_mov_b32 v16, v88 :: v_dual_mov_b32 v17, v87
	s_wait_dscnt 0x0
	v_pk_mul_f32 v[100:101], v[96:97], v[86:87] op_sel:[0,1]
	s_delay_alu instid0(VALU_DEP_1) | instskip(SKIP_1) | instid1(VALU_DEP_1)
	v_pk_fma_f32 v[102:103], v[96:97], v[88:89], v[100:101] op_sel:[0,0,1] op_sel_hi:[1,1,0] neg_lo:[0,0,1] neg_hi:[0,0,1]
	v_pk_fma_f32 v[96:97], v[96:97], v[88:89], v[100:101] op_sel:[0,0,1] op_sel_hi:[1,0,0]
	v_mov_b32_e32 v103, v97
	v_pk_mul_f32 v[96:97], v[98:99], v[86:87] op_sel:[0,1]
	s_delay_alu instid0(VALU_DEP_1) | instskip(SKIP_1) | instid1(VALU_DEP_1)
	v_pk_fma_f32 v[100:101], v[98:99], v[88:89], v[96:97] op_sel:[0,0,1] op_sel_hi:[1,1,0] neg_lo:[0,0,1] neg_hi:[0,0,1]
	v_pk_fma_f32 v[96:97], v[98:99], v[88:89], v[96:97] op_sel:[0,0,1] op_sel_hi:[1,0,0]
	v_mov_b32_e32 v101, v97
	ds_load_2addr_b64 v[96:99], v90 offset0:26 offset1:27
	v_pk_add_f32 v[56:57], v[56:57], v[102:103] neg_lo:[0,1] neg_hi:[0,1]
	v_pk_add_f32 v[52:53], v[52:53], v[100:101] neg_lo:[0,1] neg_hi:[0,1]
	s_wait_dscnt 0x0
	v_pk_mul_f32 v[100:101], v[96:97], v[86:87] op_sel:[0,1]
	s_delay_alu instid0(VALU_DEP_1) | instskip(SKIP_2) | instid1(VALU_DEP_2)
	v_pk_fma_f32 v[102:103], v[96:97], v[88:89], v[100:101] op_sel:[0,0,1] op_sel_hi:[1,1,0] neg_lo:[0,0,1] neg_hi:[0,0,1]
	v_pk_fma_f32 v[96:97], v[96:97], v[88:89], v[100:101] op_sel:[0,0,1] op_sel_hi:[1,0,0]
	v_dual_mul_f32 v100, v99, v87 :: v_dual_mov_b32 v96, v99
	v_dual_mov_b32 v103, v97 :: v_dual_mov_b32 v97, v98
	s_delay_alu instid0(VALU_DEP_2) | instskip(SKIP_1) | instid1(VALU_DEP_3)
	v_pk_fma_f32 v[100:101], v[98:99], v[16:17], v[100:101] op_sel_hi:[1,1,0] neg_lo:[0,0,1] neg_hi:[0,0,1]
	v_mul_f32_e32 v98, v99, v88
	v_pk_add_f32 v[54:55], v[54:55], v[102:103] neg_lo:[0,1] neg_hi:[0,1]
	s_delay_alu instid0(VALU_DEP_2) | instskip(NEXT) | instid1(VALU_DEP_1)
	v_pk_fma_f32 v[96:97], v[96:97], v[16:17], v[98:99] op_sel_hi:[1,1,0]
	v_mov_b32_e32 v101, v97
	ds_load_2addr_b64 v[96:99], v90 offset0:28 offset1:29
	v_pk_add_f32 v[14:15], v[14:15], v[100:101] neg_lo:[0,1] neg_hi:[0,1]
	s_wait_dscnt 0x0
	v_pk_mul_f32 v[100:101], v[96:97], v[86:87] op_sel:[0,1]
	s_delay_alu instid0(VALU_DEP_1) | instskip(SKIP_1) | instid1(VALU_DEP_1)
	v_pk_fma_f32 v[102:103], v[96:97], v[88:89], v[100:101] op_sel:[0,0,1] op_sel_hi:[1,1,0] neg_lo:[0,0,1] neg_hi:[0,0,1]
	v_pk_fma_f32 v[96:97], v[96:97], v[88:89], v[100:101] op_sel:[0,0,1] op_sel_hi:[1,0,0]
	v_mov_b32_e32 v103, v97
	v_pk_mul_f32 v[96:97], v[98:99], v[86:87] op_sel:[0,1]
	s_delay_alu instid0(VALU_DEP_1) | instskip(SKIP_1) | instid1(VALU_DEP_1)
	v_pk_fma_f32 v[100:101], v[98:99], v[88:89], v[96:97] op_sel:[0,0,1] op_sel_hi:[1,1,0] neg_lo:[0,0,1] neg_hi:[0,0,1]
	v_pk_fma_f32 v[96:97], v[98:99], v[88:89], v[96:97] op_sel:[0,0,1] op_sel_hi:[1,0,0]
	v_mov_b32_e32 v101, v97
	ds_load_2addr_b64 v[96:99], v90 offset0:30 offset1:31
	v_pk_add_f32 v[38:39], v[38:39], v[102:103] neg_lo:[0,1] neg_hi:[0,1]
	v_pk_add_f32 v[34:35], v[34:35], v[100:101] neg_lo:[0,1] neg_hi:[0,1]
	s_wait_dscnt 0x0
	v_pk_mul_f32 v[100:101], v[96:97], v[86:87] op_sel:[0,1]
	s_delay_alu instid0(VALU_DEP_1) | instskip(SKIP_1) | instid1(VALU_DEP_1)
	v_pk_fma_f32 v[102:103], v[96:97], v[88:89], v[100:101] op_sel:[0,0,1] op_sel_hi:[1,1,0] neg_lo:[0,0,1] neg_hi:[0,0,1]
	v_pk_fma_f32 v[96:97], v[96:97], v[88:89], v[100:101] op_sel:[0,0,1] op_sel_hi:[1,0,0]
	v_mov_b32_e32 v103, v97
	v_pk_mul_f32 v[96:97], v[98:99], v[86:87] op_sel:[0,1]
	s_delay_alu instid0(VALU_DEP_1) | instskip(SKIP_1) | instid1(VALU_DEP_1)
	v_pk_fma_f32 v[100:101], v[98:99], v[88:89], v[96:97] op_sel:[0,0,1] op_sel_hi:[1,1,0] neg_lo:[0,0,1] neg_hi:[0,0,1]
	v_pk_fma_f32 v[96:97], v[98:99], v[88:89], v[96:97] op_sel:[0,0,1] op_sel_hi:[1,0,0]
	v_mov_b32_e32 v101, v97
	ds_load_2addr_b64 v[96:99], v90 offset0:32 offset1:33
	v_pk_add_f32 v[36:37], v[36:37], v[102:103] neg_lo:[0,1] neg_hi:[0,1]
	v_pk_add_f32 v[6:7], v[6:7], v[100:101] neg_lo:[0,1] neg_hi:[0,1]
	s_wait_dscnt 0x0
	v_dual_mul_f32 v100, v97, v87 :: v_dual_mul_f32 v102, v97, v88
	s_delay_alu instid0(VALU_DEP_1) | instskip(NEXT) | instid1(VALU_DEP_2)
	v_pk_fma_f32 v[100:101], v[96:97], v[16:17], v[100:101] op_sel_hi:[1,1,0] neg_lo:[0,0,1] neg_hi:[0,0,1]
	v_pk_fma_f32 v[96:97], v[96:97], v[16:17], v[102:103] op_sel:[1,0,0] op_sel_hi:[0,1,0]
	s_delay_alu instid0(VALU_DEP_1) | instskip(SKIP_1) | instid1(VALU_DEP_2)
	v_mov_b32_e32 v101, v97
	v_pk_mul_f32 v[96:97], v[98:99], v[86:87] op_sel:[0,1]
	v_pk_add_f32 v[32:33], v[32:33], v[100:101] neg_lo:[0,1] neg_hi:[0,1]
	s_delay_alu instid0(VALU_DEP_2) | instskip(SKIP_1) | instid1(VALU_DEP_1)
	v_pk_fma_f32 v[100:101], v[98:99], v[88:89], v[96:97] op_sel:[0,0,1] op_sel_hi:[1,1,0] neg_lo:[0,0,1] neg_hi:[0,0,1]
	v_pk_fma_f32 v[96:97], v[98:99], v[88:89], v[96:97] op_sel:[0,0,1] op_sel_hi:[1,0,0]
	v_mov_b32_e32 v101, v97
	ds_load_2addr_b64 v[96:99], v90 offset0:34 offset1:35
	v_pk_add_f32 v[28:29], v[28:29], v[100:101] neg_lo:[0,1] neg_hi:[0,1]
	s_wait_dscnt 0x0
	v_pk_mul_f32 v[100:101], v[96:97], v[86:87] op_sel:[0,1]
	s_delay_alu instid0(VALU_DEP_1) | instskip(SKIP_1) | instid1(VALU_DEP_1)
	v_pk_fma_f32 v[102:103], v[96:97], v[88:89], v[100:101] op_sel:[0,0,1] op_sel_hi:[1,1,0] neg_lo:[0,0,1] neg_hi:[0,0,1]
	v_pk_fma_f32 v[96:97], v[96:97], v[88:89], v[100:101] op_sel:[0,0,1] op_sel_hi:[1,0,0]
	v_mov_b32_e32 v103, v97
	v_pk_mul_f32 v[96:97], v[98:99], v[86:87] op_sel:[0,1]
	s_delay_alu instid0(VALU_DEP_2) | instskip(NEXT) | instid1(VALU_DEP_2)
	v_pk_add_f32 v[30:31], v[30:31], v[102:103] neg_lo:[0,1] neg_hi:[0,1]
	v_pk_fma_f32 v[100:101], v[98:99], v[88:89], v[96:97] op_sel:[0,0,1] op_sel_hi:[1,1,0] neg_lo:[0,0,1] neg_hi:[0,0,1]
	v_pk_fma_f32 v[96:97], v[98:99], v[88:89], v[96:97] op_sel:[0,0,1] op_sel_hi:[1,0,0]
	s_delay_alu instid0(VALU_DEP_1) | instskip(SKIP_4) | instid1(VALU_DEP_1)
	v_mov_b32_e32 v101, v97
	ds_load_2addr_b64 v[96:99], v90 offset0:36 offset1:37
	v_pk_add_f32 v[8:9], v[8:9], v[100:101] neg_lo:[0,1] neg_hi:[0,1]
	s_wait_dscnt 0x0
	v_pk_mul_f32 v[100:101], v[96:97], v[86:87] op_sel:[0,1]
	v_pk_fma_f32 v[102:103], v[96:97], v[88:89], v[100:101] op_sel:[0,0,1] op_sel_hi:[1,1,0] neg_lo:[0,0,1] neg_hi:[0,0,1]
	v_pk_fma_f32 v[96:97], v[96:97], v[88:89], v[100:101] op_sel:[0,0,1] op_sel_hi:[1,0,0]
	v_dual_mul_f32 v100, v99, v87 :: v_dual_mov_b32 v96, v99
	s_delay_alu instid0(VALU_DEP_2) | instskip(NEXT) | instid1(VALU_DEP_2)
	v_dual_mov_b32 v103, v97 :: v_dual_mov_b32 v97, v98
	v_pk_fma_f32 v[100:101], v[98:99], v[16:17], v[100:101] op_sel_hi:[1,1,0] neg_lo:[0,0,1] neg_hi:[0,0,1]
	v_mul_f32_e32 v98, v99, v88
	s_delay_alu instid0(VALU_DEP_3) | instskip(NEXT) | instid1(VALU_DEP_2)
	v_pk_add_f32 v[26:27], v[26:27], v[102:103] neg_lo:[0,1] neg_hi:[0,1]
	v_pk_fma_f32 v[96:97], v[96:97], v[16:17], v[98:99] op_sel_hi:[1,1,0]
	s_delay_alu instid0(VALU_DEP_1)
	v_mov_b32_e32 v101, v97
	ds_load_2addr_b64 v[96:99], v90 offset0:38 offset1:39
	v_pk_add_f32 v[20:21], v[20:21], v[100:101] neg_lo:[0,1] neg_hi:[0,1]
	s_wait_dscnt 0x0
	v_pk_mul_f32 v[100:101], v[96:97], v[86:87] op_sel:[0,1]
	v_pk_mul_f32 v[86:87], v[98:99], v[86:87] op_sel:[0,1]
	s_delay_alu instid0(VALU_DEP_2) | instskip(SKIP_1) | instid1(VALU_DEP_1)
	v_pk_fma_f32 v[102:103], v[96:97], v[88:89], v[100:101] op_sel:[0,0,1] op_sel_hi:[1,1,0] neg_lo:[0,0,1] neg_hi:[0,0,1]
	v_pk_fma_f32 v[96:97], v[96:97], v[88:89], v[100:101] op_sel:[0,0,1] op_sel_hi:[1,0,0]
	v_mov_b32_e32 v103, v97
	s_delay_alu instid0(VALU_DEP_4) | instskip(SKIP_1) | instid1(VALU_DEP_1)
	v_pk_fma_f32 v[96:97], v[98:99], v[88:89], v[86:87] op_sel:[0,0,1] op_sel_hi:[1,1,0] neg_lo:[0,0,1] neg_hi:[0,0,1]
	v_pk_fma_f32 v[86:87], v[98:99], v[88:89], v[86:87] op_sel:[0,0,1] op_sel_hi:[1,0,0]
	v_mov_b32_e32 v97, v87
	s_delay_alu instid0(VALU_DEP_4) | instskip(NEXT) | instid1(VALU_DEP_2)
	v_pk_add_f32 v[18:19], v[18:19], v[102:103] neg_lo:[0,1] neg_hi:[0,1]
	v_pk_add_f32 v[84:85], v[84:85], v[96:97] neg_lo:[0,1] neg_hi:[0,1]
.LBB78_503:
	s_or_b32 exec_lo, exec_lo, s0
	v_lshl_add_u32 v86, v94, 3, v90
	s_barrier_signal -1
	s_barrier_wait -1
	ds_store_b64 v86, v[56:57]
	s_wait_dscnt 0x0
	s_barrier_signal -1
	s_barrier_wait -1
	ds_load_b64 v[86:87], v90 offset:192
	v_mov_b32_e32 v88, 24
	s_cmp_lt_i32 s18, 26
	s_cbranch_scc1 .LBB78_506
; %bb.504:
	v_add3_u32 v89, v91, 0, 0xc8
	v_mov_b32_e32 v88, 24
	s_mov_b32 s0, 25
.LBB78_505:                             ; =>This Inner Loop Header: Depth=1
	ds_load_b64 v[96:97], v89
	s_wait_dscnt 0x1
	v_cmp_gt_f32_e32 vcc_lo, 0, v86
	v_cndmask_b32_e64 v98, v86, -v86, vcc_lo
	v_cmp_gt_f32_e32 vcc_lo, 0, v87
	v_cndmask_b32_e64 v100, v87, -v87, vcc_lo
	s_wait_dscnt 0x0
	v_cmp_gt_f32_e32 vcc_lo, 0, v96
	v_cndmask_b32_e64 v99, v96, -v96, vcc_lo
	v_cmp_gt_f32_e32 vcc_lo, 0, v97
	v_cndmask_b32_e64 v101, v97, -v97, vcc_lo
	s_delay_alu instid0(VALU_DEP_1) | instskip(NEXT) | instid1(VALU_DEP_1)
	v_pk_add_f32 v[98:99], v[98:99], v[100:101]
	v_cmp_lt_f32_e32 vcc_lo, v98, v99
	v_dual_cndmask_b32 v86, v86, v96 :: v_dual_add_nc_u32 v89, 8, v89
	v_cndmask_b32_e32 v87, v87, v97, vcc_lo
	v_cndmask_b32_e64 v88, v88, s0, vcc_lo
	s_add_co_i32 s0, s0, 1
	s_delay_alu instid0(SALU_CYCLE_1)
	s_cmp_lg_u32 s18, s0
	s_cbranch_scc1 .LBB78_505
.LBB78_506:
	s_wait_dscnt 0x0
	v_cmp_eq_f32_e32 vcc_lo, 0, v86
	v_cmp_eq_f32_e64 s0, 0, v87
	s_and_b32 s0, vcc_lo, s0
	s_delay_alu instid0(SALU_CYCLE_1) | instskip(NEXT) | instid1(SALU_CYCLE_1)
	s_and_saveexec_b32 s1, s0
	s_xor_b32 s0, exec_lo, s1
; %bb.507:
	v_cmp_ne_u32_e32 vcc_lo, 0, v92
	v_cndmask_b32_e32 v92, 25, v92, vcc_lo
; %bb.508:
	s_and_not1_saveexec_b32 s0, s0
	s_cbranch_execz .LBB78_514
; %bb.509:
	v_cmp_ngt_f32_e64 s1, |v86|, |v87|
	s_and_saveexec_b32 s12, s1
	s_delay_alu instid0(SALU_CYCLE_1)
	s_xor_b32 s1, exec_lo, s12
	s_cbranch_execz .LBB78_511
; %bb.510:
	v_div_scale_f32 v89, null, v87, v87, v86
	v_div_scale_f32 v97, vcc_lo, v86, v87, v86
	s_delay_alu instid0(VALU_DEP_2) | instskip(SKIP_1) | instid1(TRANS32_DEP_1)
	v_rcp_f32_e32 v95, v89
	v_nop
	v_fma_f32 v96, -v89, v95, 1.0
	s_delay_alu instid0(VALU_DEP_1) | instskip(NEXT) | instid1(VALU_DEP_1)
	v_fmac_f32_e32 v95, v96, v95
	v_mul_f32_e32 v96, v97, v95
	s_delay_alu instid0(VALU_DEP_1) | instskip(NEXT) | instid1(VALU_DEP_1)
	v_fma_f32 v98, -v89, v96, v97
	v_fmac_f32_e32 v96, v98, v95
	s_delay_alu instid0(VALU_DEP_1) | instskip(NEXT) | instid1(VALU_DEP_1)
	v_fma_f32 v89, -v89, v96, v97
	v_div_fmas_f32 v89, v89, v95, v96
	s_delay_alu instid0(VALU_DEP_1) | instskip(NEXT) | instid1(VALU_DEP_1)
	v_div_fixup_f32 v89, v89, v87, v86
	v_fmac_f32_e32 v87, v86, v89
	s_delay_alu instid0(VALU_DEP_1) | instskip(SKIP_1) | instid1(VALU_DEP_2)
	v_div_scale_f32 v86, null, v87, v87, 1.0
	v_div_scale_f32 v97, vcc_lo, 1.0, v87, 1.0
	v_rcp_f32_e32 v95, v86
	v_nop
	s_delay_alu instid0(TRANS32_DEP_1) | instskip(NEXT) | instid1(VALU_DEP_1)
	v_fma_f32 v96, -v86, v95, 1.0
	v_fmac_f32_e32 v95, v96, v95
	s_delay_alu instid0(VALU_DEP_1) | instskip(NEXT) | instid1(VALU_DEP_1)
	v_mul_f32_e32 v96, v97, v95
	v_fma_f32 v98, -v86, v96, v97
	s_delay_alu instid0(VALU_DEP_1) | instskip(NEXT) | instid1(VALU_DEP_1)
	v_fmac_f32_e32 v96, v98, v95
	v_fma_f32 v86, -v86, v96, v97
	s_delay_alu instid0(VALU_DEP_1) | instskip(NEXT) | instid1(VALU_DEP_1)
	v_div_fmas_f32 v86, v86, v95, v96
	v_div_fixup_f32 v87, v86, v87, 1.0
	s_delay_alu instid0(VALU_DEP_1)
	v_mul_f32_e32 v86, v89, v87
	v_xor_b32_e32 v87, 0x80000000, v87
.LBB78_511:
	s_and_not1_saveexec_b32 s1, s1
	s_cbranch_execz .LBB78_513
; %bb.512:
	s_delay_alu instid0(VALU_DEP_1) | instskip(SKIP_1) | instid1(VALU_DEP_2)
	v_div_scale_f32 v89, null, v86, v86, v87
	v_div_scale_f32 v97, vcc_lo, v87, v86, v87
	v_rcp_f32_e32 v95, v89
	v_nop
	s_delay_alu instid0(TRANS32_DEP_1) | instskip(NEXT) | instid1(VALU_DEP_1)
	v_fma_f32 v96, -v89, v95, 1.0
	v_fmac_f32_e32 v95, v96, v95
	s_delay_alu instid0(VALU_DEP_1) | instskip(NEXT) | instid1(VALU_DEP_1)
	v_mul_f32_e32 v96, v97, v95
	v_fma_f32 v98, -v89, v96, v97
	s_delay_alu instid0(VALU_DEP_1) | instskip(NEXT) | instid1(VALU_DEP_1)
	v_fmac_f32_e32 v96, v98, v95
	v_fma_f32 v89, -v89, v96, v97
	s_delay_alu instid0(VALU_DEP_1) | instskip(NEXT) | instid1(VALU_DEP_1)
	v_div_fmas_f32 v89, v89, v95, v96
	v_div_fixup_f32 v89, v89, v86, v87
	s_delay_alu instid0(VALU_DEP_1) | instskip(NEXT) | instid1(VALU_DEP_1)
	v_fmac_f32_e32 v86, v87, v89
	v_div_scale_f32 v87, null, v86, v86, 1.0
	s_delay_alu instid0(VALU_DEP_1) | instskip(SKIP_1) | instid1(TRANS32_DEP_1)
	v_rcp_f32_e32 v95, v87
	v_nop
	v_fma_f32 v96, -v87, v95, 1.0
	s_delay_alu instid0(VALU_DEP_1) | instskip(SKIP_1) | instid1(VALU_DEP_1)
	v_fmac_f32_e32 v95, v96, v95
	v_div_scale_f32 v96, vcc_lo, 1.0, v86, 1.0
	v_mul_f32_e32 v97, v96, v95
	s_delay_alu instid0(VALU_DEP_1) | instskip(NEXT) | instid1(VALU_DEP_1)
	v_fma_f32 v98, -v87, v97, v96
	v_fmac_f32_e32 v97, v98, v95
	s_delay_alu instid0(VALU_DEP_1) | instskip(NEXT) | instid1(VALU_DEP_1)
	v_fma_f32 v87, -v87, v97, v96
	v_div_fmas_f32 v87, v87, v95, v97
	s_delay_alu instid0(VALU_DEP_1) | instskip(NEXT) | instid1(VALU_DEP_1)
	v_div_fixup_f32 v86, v87, v86, 1.0
	v_mul_f32_e64 v87, v89, -v86
.LBB78_513:
	s_or_b32 exec_lo, exec_lo, s1
.LBB78_514:
	s_delay_alu instid0(SALU_CYCLE_1) | instskip(NEXT) | instid1(SALU_CYCLE_1)
	s_or_b32 exec_lo, exec_lo, s0
	s_mov_b32 s0, exec_lo
	v_cmpx_ne_u32_e64 v94, v88
	s_xor_b32 s0, exec_lo, s0
	s_cbranch_execz .LBB78_520
; %bb.515:
	s_mov_b32 s1, exec_lo
	v_cmpx_eq_u32_e32 24, v94
	s_cbranch_execz .LBB78_519
; %bb.516:
	v_cmp_ne_u32_e32 vcc_lo, 24, v88
	s_xor_b32 s12, s16, -1
	s_delay_alu instid0(SALU_CYCLE_1) | instskip(NEXT) | instid1(SALU_CYCLE_1)
	s_and_b32 s13, s12, vcc_lo
	s_and_saveexec_b32 s12, s13
	s_cbranch_execz .LBB78_518
; %bb.517:
	v_ashrrev_i32_e32 v89, 31, v88
	s_delay_alu instid0(VALU_DEP_1)
	v_lshl_add_u64 v[94:95], v[88:89], 2, v[4:5]
	s_clause 0x1
	global_load_b32 v89, v[94:95], off
	global_load_b32 v93, v[4:5], off offset:96
	s_wait_loadcnt 0x1
	global_store_b32 v[4:5], v89, off offset:96
	s_wait_loadcnt 0x0
	global_store_b32 v[94:95], v93, off
.LBB78_518:
	s_wait_xcnt 0x0
	s_or_b32 exec_lo, exec_lo, s12
	v_dual_mov_b32 v94, v88 :: v_dual_mov_b32 v93, v88
.LBB78_519:
	s_or_b32 exec_lo, exec_lo, s1
.LBB78_520:
	s_and_not1_saveexec_b32 s0, s0
	s_cbranch_execz .LBB78_522
; %bb.521:
	v_mov_b32_e32 v94, 24
	ds_store_2addr_b64 v90, v[52:53], v[54:55] offset0:25 offset1:26
	ds_store_2addr_b64 v90, v[14:15], v[38:39] offset0:27 offset1:28
	;; [unrolled: 1-line block ×7, first 2 shown]
	ds_store_b64 v90, v[84:85] offset:312
.LBB78_522:
	s_or_b32 exec_lo, exec_lo, s0
	s_delay_alu instid0(SALU_CYCLE_1)
	s_mov_b32 s0, exec_lo
	s_wait_storecnt_dscnt 0x0
	s_barrier_signal -1
	s_barrier_wait -1
	v_cmpx_lt_i32_e32 24, v94
	s_cbranch_execz .LBB78_524
; %bb.523:
	v_pk_mul_f32 v[96:97], v[86:87], v[56:57] op_sel:[1,1] op_sel_hi:[0,1]
	s_delay_alu instid0(VALU_DEP_1)
	v_pk_fma_f32 v[88:89], v[86:87], v[56:57], v[96:97] op_sel_hi:[1,0,1] neg_lo:[0,0,1] neg_hi:[0,0,1]
	v_pk_fma_f32 v[86:87], v[86:87], v[56:57], v[96:97] op_sel_hi:[1,0,1]
	ds_load_2addr_b64 v[96:99], v90 offset0:25 offset1:26
	v_dual_mov_b32 v56, v88 :: v_dual_mov_b32 v57, v87
	s_wait_dscnt 0x0
	v_pk_mul_f32 v[100:101], v[96:97], v[86:87] op_sel:[0,1]
	s_delay_alu instid0(VALU_DEP_1) | instskip(SKIP_1) | instid1(VALU_DEP_1)
	v_pk_fma_f32 v[102:103], v[96:97], v[88:89], v[100:101] op_sel:[0,0,1] op_sel_hi:[1,1,0] neg_lo:[0,0,1] neg_hi:[0,0,1]
	v_pk_fma_f32 v[96:97], v[96:97], v[88:89], v[100:101] op_sel:[0,0,1] op_sel_hi:[1,0,0]
	v_mov_b32_e32 v103, v97
	v_pk_mul_f32 v[96:97], v[98:99], v[86:87] op_sel:[0,1]
	s_delay_alu instid0(VALU_DEP_1) | instskip(SKIP_1) | instid1(VALU_DEP_1)
	v_pk_fma_f32 v[100:101], v[98:99], v[88:89], v[96:97] op_sel:[0,0,1] op_sel_hi:[1,1,0] neg_lo:[0,0,1] neg_hi:[0,0,1]
	v_pk_fma_f32 v[96:97], v[98:99], v[88:89], v[96:97] op_sel:[0,0,1] op_sel_hi:[1,0,0]
	v_mov_b32_e32 v101, v97
	ds_load_2addr_b64 v[96:99], v90 offset0:27 offset1:28
	v_pk_add_f32 v[52:53], v[52:53], v[102:103] neg_lo:[0,1] neg_hi:[0,1]
	v_pk_add_f32 v[54:55], v[54:55], v[100:101] neg_lo:[0,1] neg_hi:[0,1]
	s_wait_dscnt 0x0
	v_pk_mul_f32 v[100:101], v[96:97], v[86:87] op_sel:[0,1]
	s_delay_alu instid0(VALU_DEP_1) | instskip(SKIP_2) | instid1(VALU_DEP_2)
	v_pk_fma_f32 v[102:103], v[96:97], v[88:89], v[100:101] op_sel:[0,0,1] op_sel_hi:[1,1,0] neg_lo:[0,0,1] neg_hi:[0,0,1]
	v_pk_fma_f32 v[96:97], v[96:97], v[88:89], v[100:101] op_sel:[0,0,1] op_sel_hi:[1,0,0]
	v_dual_mul_f32 v100, v99, v87 :: v_dual_mov_b32 v96, v99
	v_dual_mov_b32 v103, v97 :: v_dual_mov_b32 v97, v98
	s_delay_alu instid0(VALU_DEP_2) | instskip(SKIP_1) | instid1(VALU_DEP_3)
	v_pk_fma_f32 v[100:101], v[98:99], v[56:57], v[100:101] op_sel_hi:[1,1,0] neg_lo:[0,0,1] neg_hi:[0,0,1]
	v_mul_f32_e32 v98, v99, v88
	v_pk_add_f32 v[14:15], v[14:15], v[102:103] neg_lo:[0,1] neg_hi:[0,1]
	s_delay_alu instid0(VALU_DEP_2) | instskip(NEXT) | instid1(VALU_DEP_1)
	v_pk_fma_f32 v[96:97], v[96:97], v[56:57], v[98:99] op_sel_hi:[1,1,0]
	v_mov_b32_e32 v101, v97
	ds_load_2addr_b64 v[96:99], v90 offset0:29 offset1:30
	v_pk_add_f32 v[38:39], v[38:39], v[100:101] neg_lo:[0,1] neg_hi:[0,1]
	s_wait_dscnt 0x0
	v_pk_mul_f32 v[100:101], v[96:97], v[86:87] op_sel:[0,1]
	s_delay_alu instid0(VALU_DEP_1) | instskip(SKIP_1) | instid1(VALU_DEP_1)
	v_pk_fma_f32 v[102:103], v[96:97], v[88:89], v[100:101] op_sel:[0,0,1] op_sel_hi:[1,1,0] neg_lo:[0,0,1] neg_hi:[0,0,1]
	v_pk_fma_f32 v[96:97], v[96:97], v[88:89], v[100:101] op_sel:[0,0,1] op_sel_hi:[1,0,0]
	v_mov_b32_e32 v103, v97
	v_pk_mul_f32 v[96:97], v[98:99], v[86:87] op_sel:[0,1]
	s_delay_alu instid0(VALU_DEP_1) | instskip(SKIP_1) | instid1(VALU_DEP_1)
	v_pk_fma_f32 v[100:101], v[98:99], v[88:89], v[96:97] op_sel:[0,0,1] op_sel_hi:[1,1,0] neg_lo:[0,0,1] neg_hi:[0,0,1]
	v_pk_fma_f32 v[96:97], v[98:99], v[88:89], v[96:97] op_sel:[0,0,1] op_sel_hi:[1,0,0]
	v_mov_b32_e32 v101, v97
	ds_load_2addr_b64 v[96:99], v90 offset0:31 offset1:32
	v_pk_add_f32 v[34:35], v[34:35], v[102:103] neg_lo:[0,1] neg_hi:[0,1]
	v_pk_add_f32 v[36:37], v[36:37], v[100:101] neg_lo:[0,1] neg_hi:[0,1]
	s_wait_dscnt 0x0
	v_pk_mul_f32 v[100:101], v[96:97], v[86:87] op_sel:[0,1]
	s_delay_alu instid0(VALU_DEP_1) | instskip(SKIP_1) | instid1(VALU_DEP_1)
	v_pk_fma_f32 v[102:103], v[96:97], v[88:89], v[100:101] op_sel:[0,0,1] op_sel_hi:[1,1,0] neg_lo:[0,0,1] neg_hi:[0,0,1]
	v_pk_fma_f32 v[96:97], v[96:97], v[88:89], v[100:101] op_sel:[0,0,1] op_sel_hi:[1,0,0]
	v_mov_b32_e32 v103, v97
	v_pk_mul_f32 v[96:97], v[98:99], v[86:87] op_sel:[0,1]
	s_delay_alu instid0(VALU_DEP_1) | instskip(SKIP_1) | instid1(VALU_DEP_1)
	v_pk_fma_f32 v[100:101], v[98:99], v[88:89], v[96:97] op_sel:[0,0,1] op_sel_hi:[1,1,0] neg_lo:[0,0,1] neg_hi:[0,0,1]
	v_pk_fma_f32 v[96:97], v[98:99], v[88:89], v[96:97] op_sel:[0,0,1] op_sel_hi:[1,0,0]
	v_mov_b32_e32 v101, v97
	ds_load_2addr_b64 v[96:99], v90 offset0:33 offset1:34
	v_pk_add_f32 v[6:7], v[6:7], v[102:103] neg_lo:[0,1] neg_hi:[0,1]
	v_pk_add_f32 v[32:33], v[32:33], v[100:101] neg_lo:[0,1] neg_hi:[0,1]
	s_wait_dscnt 0x0
	v_dual_mul_f32 v100, v97, v87 :: v_dual_mul_f32 v102, v97, v88
	s_delay_alu instid0(VALU_DEP_1) | instskip(NEXT) | instid1(VALU_DEP_2)
	v_pk_fma_f32 v[100:101], v[96:97], v[56:57], v[100:101] op_sel_hi:[1,1,0] neg_lo:[0,0,1] neg_hi:[0,0,1]
	v_pk_fma_f32 v[96:97], v[96:97], v[56:57], v[102:103] op_sel:[1,0,0] op_sel_hi:[0,1,0]
	s_delay_alu instid0(VALU_DEP_1) | instskip(SKIP_1) | instid1(VALU_DEP_2)
	v_mov_b32_e32 v101, v97
	v_pk_mul_f32 v[96:97], v[98:99], v[86:87] op_sel:[0,1]
	v_pk_add_f32 v[28:29], v[28:29], v[100:101] neg_lo:[0,1] neg_hi:[0,1]
	s_delay_alu instid0(VALU_DEP_2) | instskip(SKIP_1) | instid1(VALU_DEP_1)
	v_pk_fma_f32 v[100:101], v[98:99], v[88:89], v[96:97] op_sel:[0,0,1] op_sel_hi:[1,1,0] neg_lo:[0,0,1] neg_hi:[0,0,1]
	v_pk_fma_f32 v[96:97], v[98:99], v[88:89], v[96:97] op_sel:[0,0,1] op_sel_hi:[1,0,0]
	v_mov_b32_e32 v101, v97
	ds_load_2addr_b64 v[96:99], v90 offset0:35 offset1:36
	v_pk_add_f32 v[30:31], v[30:31], v[100:101] neg_lo:[0,1] neg_hi:[0,1]
	s_wait_dscnt 0x0
	v_pk_mul_f32 v[100:101], v[96:97], v[86:87] op_sel:[0,1]
	s_delay_alu instid0(VALU_DEP_1) | instskip(SKIP_1) | instid1(VALU_DEP_1)
	v_pk_fma_f32 v[102:103], v[96:97], v[88:89], v[100:101] op_sel:[0,0,1] op_sel_hi:[1,1,0] neg_lo:[0,0,1] neg_hi:[0,0,1]
	v_pk_fma_f32 v[96:97], v[96:97], v[88:89], v[100:101] op_sel:[0,0,1] op_sel_hi:[1,0,0]
	v_mov_b32_e32 v103, v97
	v_pk_mul_f32 v[96:97], v[98:99], v[86:87] op_sel:[0,1]
	s_delay_alu instid0(VALU_DEP_2) | instskip(NEXT) | instid1(VALU_DEP_2)
	v_pk_add_f32 v[8:9], v[8:9], v[102:103] neg_lo:[0,1] neg_hi:[0,1]
	v_pk_fma_f32 v[100:101], v[98:99], v[88:89], v[96:97] op_sel:[0,0,1] op_sel_hi:[1,1,0] neg_lo:[0,0,1] neg_hi:[0,0,1]
	v_pk_fma_f32 v[96:97], v[98:99], v[88:89], v[96:97] op_sel:[0,0,1] op_sel_hi:[1,0,0]
	s_delay_alu instid0(VALU_DEP_1) | instskip(SKIP_4) | instid1(VALU_DEP_1)
	v_mov_b32_e32 v101, v97
	ds_load_2addr_b64 v[96:99], v90 offset0:37 offset1:38
	v_pk_add_f32 v[26:27], v[26:27], v[100:101] neg_lo:[0,1] neg_hi:[0,1]
	s_wait_dscnt 0x0
	v_pk_mul_f32 v[100:101], v[96:97], v[86:87] op_sel:[0,1]
	v_pk_fma_f32 v[102:103], v[96:97], v[88:89], v[100:101] op_sel:[0,0,1] op_sel_hi:[1,1,0] neg_lo:[0,0,1] neg_hi:[0,0,1]
	v_pk_fma_f32 v[96:97], v[96:97], v[88:89], v[100:101] op_sel:[0,0,1] op_sel_hi:[1,0,0]
	v_dual_mul_f32 v100, v99, v87 :: v_dual_mov_b32 v96, v99
	s_delay_alu instid0(VALU_DEP_2) | instskip(NEXT) | instid1(VALU_DEP_2)
	v_dual_mov_b32 v103, v97 :: v_dual_mov_b32 v97, v98
	v_pk_fma_f32 v[100:101], v[98:99], v[56:57], v[100:101] op_sel_hi:[1,1,0] neg_lo:[0,0,1] neg_hi:[0,0,1]
	v_mul_f32_e32 v98, v99, v88
	s_delay_alu instid0(VALU_DEP_3) | instskip(NEXT) | instid1(VALU_DEP_2)
	v_pk_add_f32 v[20:21], v[20:21], v[102:103] neg_lo:[0,1] neg_hi:[0,1]
	v_pk_fma_f32 v[96:97], v[96:97], v[56:57], v[98:99] op_sel_hi:[1,1,0]
	s_delay_alu instid0(VALU_DEP_1) | instskip(SKIP_4) | instid1(VALU_DEP_1)
	v_mov_b32_e32 v101, v97
	ds_load_b64 v[96:97], v90 offset:312
	v_pk_add_f32 v[18:19], v[18:19], v[100:101] neg_lo:[0,1] neg_hi:[0,1]
	s_wait_dscnt 0x0
	v_pk_mul_f32 v[86:87], v[96:97], v[86:87] op_sel:[0,1]
	v_pk_fma_f32 v[98:99], v[96:97], v[88:89], v[86:87] op_sel:[0,0,1] op_sel_hi:[1,1,0] neg_lo:[0,0,1] neg_hi:[0,0,1]
	v_pk_fma_f32 v[86:87], v[96:97], v[88:89], v[86:87] op_sel:[0,0,1] op_sel_hi:[1,0,0]
	s_delay_alu instid0(VALU_DEP_1) | instskip(NEXT) | instid1(VALU_DEP_1)
	v_mov_b32_e32 v99, v87
	v_pk_add_f32 v[84:85], v[84:85], v[98:99] neg_lo:[0,1] neg_hi:[0,1]
.LBB78_524:
	s_or_b32 exec_lo, exec_lo, s0
	v_lshl_add_u32 v86, v94, 3, v90
	s_barrier_signal -1
	s_barrier_wait -1
	ds_store_b64 v86, v[52:53]
	s_wait_dscnt 0x0
	s_barrier_signal -1
	s_barrier_wait -1
	ds_load_b64 v[86:87], v90 offset:200
	v_mov_b32_e32 v88, 25
	s_cmp_lt_i32 s18, 27
	s_cbranch_scc1 .LBB78_527
; %bb.525:
	v_add3_u32 v89, v91, 0, 0xd0
	v_mov_b32_e32 v88, 25
	s_mov_b32 s0, 26
.LBB78_526:                             ; =>This Inner Loop Header: Depth=1
	ds_load_b64 v[96:97], v89
	s_wait_dscnt 0x1
	v_cmp_gt_f32_e32 vcc_lo, 0, v86
	v_cndmask_b32_e64 v98, v86, -v86, vcc_lo
	v_cmp_gt_f32_e32 vcc_lo, 0, v87
	v_cndmask_b32_e64 v100, v87, -v87, vcc_lo
	s_wait_dscnt 0x0
	v_cmp_gt_f32_e32 vcc_lo, 0, v96
	v_cndmask_b32_e64 v99, v96, -v96, vcc_lo
	v_cmp_gt_f32_e32 vcc_lo, 0, v97
	v_cndmask_b32_e64 v101, v97, -v97, vcc_lo
	s_delay_alu instid0(VALU_DEP_1) | instskip(NEXT) | instid1(VALU_DEP_1)
	v_pk_add_f32 v[98:99], v[98:99], v[100:101]
	v_cmp_lt_f32_e32 vcc_lo, v98, v99
	v_dual_cndmask_b32 v86, v86, v96 :: v_dual_add_nc_u32 v89, 8, v89
	v_cndmask_b32_e32 v87, v87, v97, vcc_lo
	v_cndmask_b32_e64 v88, v88, s0, vcc_lo
	s_add_co_i32 s0, s0, 1
	s_delay_alu instid0(SALU_CYCLE_1)
	s_cmp_lg_u32 s18, s0
	s_cbranch_scc1 .LBB78_526
.LBB78_527:
	s_wait_dscnt 0x0
	v_cmp_eq_f32_e32 vcc_lo, 0, v86
	v_cmp_eq_f32_e64 s0, 0, v87
	s_and_b32 s0, vcc_lo, s0
	s_delay_alu instid0(SALU_CYCLE_1) | instskip(NEXT) | instid1(SALU_CYCLE_1)
	s_and_saveexec_b32 s1, s0
	s_xor_b32 s0, exec_lo, s1
; %bb.528:
	v_cmp_ne_u32_e32 vcc_lo, 0, v92
	v_cndmask_b32_e32 v92, 26, v92, vcc_lo
; %bb.529:
	s_and_not1_saveexec_b32 s0, s0
	s_cbranch_execz .LBB78_535
; %bb.530:
	v_cmp_ngt_f32_e64 s1, |v86|, |v87|
	s_and_saveexec_b32 s12, s1
	s_delay_alu instid0(SALU_CYCLE_1)
	s_xor_b32 s1, exec_lo, s12
	s_cbranch_execz .LBB78_532
; %bb.531:
	v_div_scale_f32 v89, null, v87, v87, v86
	v_div_scale_f32 v97, vcc_lo, v86, v87, v86
	s_delay_alu instid0(VALU_DEP_2) | instskip(SKIP_1) | instid1(TRANS32_DEP_1)
	v_rcp_f32_e32 v95, v89
	v_nop
	v_fma_f32 v96, -v89, v95, 1.0
	s_delay_alu instid0(VALU_DEP_1) | instskip(NEXT) | instid1(VALU_DEP_1)
	v_fmac_f32_e32 v95, v96, v95
	v_mul_f32_e32 v96, v97, v95
	s_delay_alu instid0(VALU_DEP_1) | instskip(NEXT) | instid1(VALU_DEP_1)
	v_fma_f32 v98, -v89, v96, v97
	v_fmac_f32_e32 v96, v98, v95
	s_delay_alu instid0(VALU_DEP_1) | instskip(NEXT) | instid1(VALU_DEP_1)
	v_fma_f32 v89, -v89, v96, v97
	v_div_fmas_f32 v89, v89, v95, v96
	s_delay_alu instid0(VALU_DEP_1) | instskip(NEXT) | instid1(VALU_DEP_1)
	v_div_fixup_f32 v89, v89, v87, v86
	v_fmac_f32_e32 v87, v86, v89
	s_delay_alu instid0(VALU_DEP_1) | instskip(SKIP_1) | instid1(VALU_DEP_2)
	v_div_scale_f32 v86, null, v87, v87, 1.0
	v_div_scale_f32 v97, vcc_lo, 1.0, v87, 1.0
	v_rcp_f32_e32 v95, v86
	v_nop
	s_delay_alu instid0(TRANS32_DEP_1) | instskip(NEXT) | instid1(VALU_DEP_1)
	v_fma_f32 v96, -v86, v95, 1.0
	v_fmac_f32_e32 v95, v96, v95
	s_delay_alu instid0(VALU_DEP_1) | instskip(NEXT) | instid1(VALU_DEP_1)
	v_mul_f32_e32 v96, v97, v95
	v_fma_f32 v98, -v86, v96, v97
	s_delay_alu instid0(VALU_DEP_1) | instskip(NEXT) | instid1(VALU_DEP_1)
	v_fmac_f32_e32 v96, v98, v95
	v_fma_f32 v86, -v86, v96, v97
	s_delay_alu instid0(VALU_DEP_1) | instskip(NEXT) | instid1(VALU_DEP_1)
	v_div_fmas_f32 v86, v86, v95, v96
	v_div_fixup_f32 v87, v86, v87, 1.0
	s_delay_alu instid0(VALU_DEP_1)
	v_mul_f32_e32 v86, v89, v87
	v_xor_b32_e32 v87, 0x80000000, v87
.LBB78_532:
	s_and_not1_saveexec_b32 s1, s1
	s_cbranch_execz .LBB78_534
; %bb.533:
	s_delay_alu instid0(VALU_DEP_1) | instskip(SKIP_1) | instid1(VALU_DEP_2)
	v_div_scale_f32 v89, null, v86, v86, v87
	v_div_scale_f32 v97, vcc_lo, v87, v86, v87
	v_rcp_f32_e32 v95, v89
	v_nop
	s_delay_alu instid0(TRANS32_DEP_1) | instskip(NEXT) | instid1(VALU_DEP_1)
	v_fma_f32 v96, -v89, v95, 1.0
	v_fmac_f32_e32 v95, v96, v95
	s_delay_alu instid0(VALU_DEP_1) | instskip(NEXT) | instid1(VALU_DEP_1)
	v_mul_f32_e32 v96, v97, v95
	v_fma_f32 v98, -v89, v96, v97
	s_delay_alu instid0(VALU_DEP_1) | instskip(NEXT) | instid1(VALU_DEP_1)
	v_fmac_f32_e32 v96, v98, v95
	v_fma_f32 v89, -v89, v96, v97
	s_delay_alu instid0(VALU_DEP_1) | instskip(NEXT) | instid1(VALU_DEP_1)
	v_div_fmas_f32 v89, v89, v95, v96
	v_div_fixup_f32 v89, v89, v86, v87
	s_delay_alu instid0(VALU_DEP_1) | instskip(NEXT) | instid1(VALU_DEP_1)
	v_fmac_f32_e32 v86, v87, v89
	v_div_scale_f32 v87, null, v86, v86, 1.0
	s_delay_alu instid0(VALU_DEP_1) | instskip(SKIP_1) | instid1(TRANS32_DEP_1)
	v_rcp_f32_e32 v95, v87
	v_nop
	v_fma_f32 v96, -v87, v95, 1.0
	s_delay_alu instid0(VALU_DEP_1) | instskip(SKIP_1) | instid1(VALU_DEP_1)
	v_fmac_f32_e32 v95, v96, v95
	v_div_scale_f32 v96, vcc_lo, 1.0, v86, 1.0
	v_mul_f32_e32 v97, v96, v95
	s_delay_alu instid0(VALU_DEP_1) | instskip(NEXT) | instid1(VALU_DEP_1)
	v_fma_f32 v98, -v87, v97, v96
	v_fmac_f32_e32 v97, v98, v95
	s_delay_alu instid0(VALU_DEP_1) | instskip(NEXT) | instid1(VALU_DEP_1)
	v_fma_f32 v87, -v87, v97, v96
	v_div_fmas_f32 v87, v87, v95, v97
	s_delay_alu instid0(VALU_DEP_1) | instskip(NEXT) | instid1(VALU_DEP_1)
	v_div_fixup_f32 v86, v87, v86, 1.0
	v_mul_f32_e64 v87, v89, -v86
.LBB78_534:
	s_or_b32 exec_lo, exec_lo, s1
.LBB78_535:
	s_delay_alu instid0(SALU_CYCLE_1) | instskip(NEXT) | instid1(SALU_CYCLE_1)
	s_or_b32 exec_lo, exec_lo, s0
	s_mov_b32 s0, exec_lo
	v_cmpx_ne_u32_e64 v94, v88
	s_xor_b32 s0, exec_lo, s0
	s_cbranch_execz .LBB78_541
; %bb.536:
	s_mov_b32 s1, exec_lo
	v_cmpx_eq_u32_e32 25, v94
	s_cbranch_execz .LBB78_540
; %bb.537:
	v_cmp_ne_u32_e32 vcc_lo, 25, v88
	s_xor_b32 s12, s16, -1
	s_delay_alu instid0(SALU_CYCLE_1) | instskip(NEXT) | instid1(SALU_CYCLE_1)
	s_and_b32 s13, s12, vcc_lo
	s_and_saveexec_b32 s12, s13
	s_cbranch_execz .LBB78_539
; %bb.538:
	v_ashrrev_i32_e32 v89, 31, v88
	s_delay_alu instid0(VALU_DEP_1)
	v_lshl_add_u64 v[94:95], v[88:89], 2, v[4:5]
	s_clause 0x1
	global_load_b32 v89, v[94:95], off
	global_load_b32 v93, v[4:5], off offset:100
	s_wait_loadcnt 0x1
	global_store_b32 v[4:5], v89, off offset:100
	s_wait_loadcnt 0x0
	global_store_b32 v[94:95], v93, off
.LBB78_539:
	s_wait_xcnt 0x0
	s_or_b32 exec_lo, exec_lo, s12
	v_dual_mov_b32 v94, v88 :: v_dual_mov_b32 v93, v88
.LBB78_540:
	s_or_b32 exec_lo, exec_lo, s1
.LBB78_541:
	s_and_not1_saveexec_b32 s0, s0
	s_cbranch_execz .LBB78_543
; %bb.542:
	v_dual_mov_b32 v88, v54 :: v_dual_mov_b32 v89, v55
	v_dual_mov_b32 v94, v14 :: v_dual_mov_b32 v95, v15
	;; [unrolled: 1-line block ×4, first 2 shown]
	ds_store_2addr_b64 v90, v[88:89], v[94:95] offset0:26 offset1:27
	ds_store_2addr_b64 v90, v[96:97], v[98:99] offset0:28 offset1:29
	v_dual_mov_b32 v88, v36 :: v_dual_mov_b32 v89, v37
	v_dual_mov_b32 v96, v6 :: v_dual_mov_b32 v97, v7
	;; [unrolled: 1-line block ×9, first 2 shown]
	v_mov_b32_e32 v111, v19
	ds_store_2addr_b64 v90, v[88:89], v[96:97] offset0:30 offset1:31
	ds_store_2addr_b64 v90, v[98:99], v[100:101] offset0:32 offset1:33
	ds_store_2addr_b64 v90, v[102:103], v[104:105] offset0:34 offset1:35
	ds_store_2addr_b64 v90, v[106:107], v[108:109] offset0:36 offset1:37
	ds_store_2addr_b64 v90, v[110:111], v[84:85] offset0:38 offset1:39
.LBB78_543:
	s_or_b32 exec_lo, exec_lo, s0
	s_delay_alu instid0(SALU_CYCLE_1)
	s_mov_b32 s0, exec_lo
	s_wait_storecnt_dscnt 0x0
	s_barrier_signal -1
	s_barrier_wait -1
	v_cmpx_lt_i32_e32 25, v94
	s_cbranch_execz .LBB78_545
; %bb.544:
	v_pk_mul_f32 v[88:89], v[86:87], v[52:53] op_sel:[1,1] op_sel_hi:[0,1]
	s_delay_alu instid0(VALU_DEP_1)
	v_pk_fma_f32 v[96:97], v[86:87], v[52:53], v[88:89] op_sel_hi:[1,0,1] neg_lo:[0,0,1] neg_hi:[0,0,1]
	v_pk_fma_f32 v[98:99], v[86:87], v[52:53], v[88:89] op_sel_hi:[1,0,1]
	ds_load_2addr_b64 v[86:89], v90 offset0:26 offset1:27
	v_dual_mov_b32 v52, v96 :: v_dual_mov_b32 v53, v99
	s_wait_dscnt 0x0
	v_pk_mul_f32 v[100:101], v[86:87], v[98:99] op_sel:[0,1]
	s_delay_alu instid0(VALU_DEP_1) | instskip(SKIP_1) | instid1(VALU_DEP_1)
	v_pk_fma_f32 v[102:103], v[86:87], v[96:97], v[100:101] op_sel:[0,0,1] op_sel_hi:[1,1,0] neg_lo:[0,0,1] neg_hi:[0,0,1]
	v_pk_fma_f32 v[86:87], v[86:87], v[96:97], v[100:101] op_sel:[0,0,1] op_sel_hi:[1,0,0]
	v_mov_b32_e32 v103, v87
	v_pk_mul_f32 v[86:87], v[88:89], v[98:99] op_sel:[0,1]
	s_delay_alu instid0(VALU_DEP_1) | instskip(SKIP_1) | instid1(VALU_DEP_1)
	v_pk_fma_f32 v[100:101], v[88:89], v[96:97], v[86:87] op_sel:[0,0,1] op_sel_hi:[1,1,0] neg_lo:[0,0,1] neg_hi:[0,0,1]
	v_pk_fma_f32 v[86:87], v[88:89], v[96:97], v[86:87] op_sel:[0,0,1] op_sel_hi:[1,0,0]
	v_mov_b32_e32 v101, v87
	ds_load_2addr_b64 v[86:89], v90 offset0:28 offset1:29
	v_pk_add_f32 v[54:55], v[54:55], v[102:103] neg_lo:[0,1] neg_hi:[0,1]
	v_pk_add_f32 v[14:15], v[14:15], v[100:101] neg_lo:[0,1] neg_hi:[0,1]
	s_wait_dscnt 0x0
	v_pk_mul_f32 v[100:101], v[86:87], v[98:99] op_sel:[0,1]
	s_delay_alu instid0(VALU_DEP_1) | instskip(SKIP_2) | instid1(VALU_DEP_2)
	v_pk_fma_f32 v[102:103], v[86:87], v[96:97], v[100:101] op_sel:[0,0,1] op_sel_hi:[1,1,0] neg_lo:[0,0,1] neg_hi:[0,0,1]
	v_pk_fma_f32 v[86:87], v[86:87], v[96:97], v[100:101] op_sel:[0,0,1] op_sel_hi:[1,0,0]
	v_dual_mul_f32 v100, v89, v99 :: v_dual_mov_b32 v86, v89
	v_dual_mov_b32 v103, v87 :: v_dual_mov_b32 v87, v88
	s_delay_alu instid0(VALU_DEP_2) | instskip(SKIP_1) | instid1(VALU_DEP_3)
	v_pk_fma_f32 v[100:101], v[88:89], v[52:53], v[100:101] op_sel_hi:[1,1,0] neg_lo:[0,0,1] neg_hi:[0,0,1]
	v_mul_f32_e32 v88, v89, v96
	v_pk_add_f32 v[38:39], v[38:39], v[102:103] neg_lo:[0,1] neg_hi:[0,1]
	s_delay_alu instid0(VALU_DEP_2) | instskip(NEXT) | instid1(VALU_DEP_1)
	v_pk_fma_f32 v[86:87], v[86:87], v[52:53], v[88:89] op_sel_hi:[1,1,0]
	v_mov_b32_e32 v101, v87
	ds_load_2addr_b64 v[86:89], v90 offset0:30 offset1:31
	v_pk_add_f32 v[34:35], v[34:35], v[100:101] neg_lo:[0,1] neg_hi:[0,1]
	s_wait_dscnt 0x0
	v_pk_mul_f32 v[100:101], v[86:87], v[98:99] op_sel:[0,1]
	s_delay_alu instid0(VALU_DEP_1) | instskip(SKIP_1) | instid1(VALU_DEP_1)
	v_pk_fma_f32 v[102:103], v[86:87], v[96:97], v[100:101] op_sel:[0,0,1] op_sel_hi:[1,1,0] neg_lo:[0,0,1] neg_hi:[0,0,1]
	v_pk_fma_f32 v[86:87], v[86:87], v[96:97], v[100:101] op_sel:[0,0,1] op_sel_hi:[1,0,0]
	v_mov_b32_e32 v103, v87
	v_pk_mul_f32 v[86:87], v[88:89], v[98:99] op_sel:[0,1]
	s_delay_alu instid0(VALU_DEP_1) | instskip(SKIP_1) | instid1(VALU_DEP_1)
	v_pk_fma_f32 v[100:101], v[88:89], v[96:97], v[86:87] op_sel:[0,0,1] op_sel_hi:[1,1,0] neg_lo:[0,0,1] neg_hi:[0,0,1]
	v_pk_fma_f32 v[86:87], v[88:89], v[96:97], v[86:87] op_sel:[0,0,1] op_sel_hi:[1,0,0]
	v_mov_b32_e32 v101, v87
	ds_load_2addr_b64 v[86:89], v90 offset0:32 offset1:33
	v_pk_add_f32 v[36:37], v[36:37], v[102:103] neg_lo:[0,1] neg_hi:[0,1]
	v_pk_add_f32 v[6:7], v[6:7], v[100:101] neg_lo:[0,1] neg_hi:[0,1]
	s_wait_dscnt 0x0
	v_pk_mul_f32 v[100:101], v[86:87], v[98:99] op_sel:[0,1]
	s_delay_alu instid0(VALU_DEP_1) | instskip(SKIP_1) | instid1(VALU_DEP_1)
	v_pk_fma_f32 v[102:103], v[86:87], v[96:97], v[100:101] op_sel:[0,0,1] op_sel_hi:[1,1,0] neg_lo:[0,0,1] neg_hi:[0,0,1]
	v_pk_fma_f32 v[86:87], v[86:87], v[96:97], v[100:101] op_sel:[0,0,1] op_sel_hi:[1,0,0]
	v_mov_b32_e32 v103, v87
	v_pk_mul_f32 v[86:87], v[88:89], v[98:99] op_sel:[0,1]
	s_delay_alu instid0(VALU_DEP_1) | instskip(SKIP_1) | instid1(VALU_DEP_1)
	v_pk_fma_f32 v[100:101], v[88:89], v[96:97], v[86:87] op_sel:[0,0,1] op_sel_hi:[1,1,0] neg_lo:[0,0,1] neg_hi:[0,0,1]
	v_pk_fma_f32 v[86:87], v[88:89], v[96:97], v[86:87] op_sel:[0,0,1] op_sel_hi:[1,0,0]
	v_mov_b32_e32 v101, v87
	ds_load_2addr_b64 v[86:89], v90 offset0:34 offset1:35
	v_pk_add_f32 v[32:33], v[32:33], v[102:103] neg_lo:[0,1] neg_hi:[0,1]
	v_pk_add_f32 v[28:29], v[28:29], v[100:101] neg_lo:[0,1] neg_hi:[0,1]
	s_wait_dscnt 0x0
	v_dual_mul_f32 v100, v87, v99 :: v_dual_mul_f32 v102, v87, v96
	s_delay_alu instid0(VALU_DEP_1) | instskip(NEXT) | instid1(VALU_DEP_2)
	v_pk_fma_f32 v[100:101], v[86:87], v[52:53], v[100:101] op_sel_hi:[1,1,0] neg_lo:[0,0,1] neg_hi:[0,0,1]
	v_pk_fma_f32 v[86:87], v[86:87], v[52:53], v[102:103] op_sel:[1,0,0] op_sel_hi:[0,1,0]
	s_delay_alu instid0(VALU_DEP_1) | instskip(SKIP_1) | instid1(VALU_DEP_2)
	v_mov_b32_e32 v101, v87
	v_pk_mul_f32 v[86:87], v[88:89], v[98:99] op_sel:[0,1]
	v_pk_add_f32 v[30:31], v[30:31], v[100:101] neg_lo:[0,1] neg_hi:[0,1]
	s_delay_alu instid0(VALU_DEP_2) | instskip(SKIP_1) | instid1(VALU_DEP_1)
	v_pk_fma_f32 v[100:101], v[88:89], v[96:97], v[86:87] op_sel:[0,0,1] op_sel_hi:[1,1,0] neg_lo:[0,0,1] neg_hi:[0,0,1]
	v_pk_fma_f32 v[86:87], v[88:89], v[96:97], v[86:87] op_sel:[0,0,1] op_sel_hi:[1,0,0]
	v_mov_b32_e32 v101, v87
	ds_load_2addr_b64 v[86:89], v90 offset0:36 offset1:37
	v_pk_add_f32 v[8:9], v[8:9], v[100:101] neg_lo:[0,1] neg_hi:[0,1]
	s_wait_dscnt 0x0
	v_pk_mul_f32 v[100:101], v[86:87], v[98:99] op_sel:[0,1]
	s_delay_alu instid0(VALU_DEP_1) | instskip(SKIP_1) | instid1(VALU_DEP_1)
	v_pk_fma_f32 v[102:103], v[86:87], v[96:97], v[100:101] op_sel:[0,0,1] op_sel_hi:[1,1,0] neg_lo:[0,0,1] neg_hi:[0,0,1]
	v_pk_fma_f32 v[86:87], v[86:87], v[96:97], v[100:101] op_sel:[0,0,1] op_sel_hi:[1,0,0]
	v_mov_b32_e32 v103, v87
	v_pk_mul_f32 v[86:87], v[88:89], v[98:99] op_sel:[0,1]
	s_delay_alu instid0(VALU_DEP_2) | instskip(NEXT) | instid1(VALU_DEP_2)
	v_pk_add_f32 v[26:27], v[26:27], v[102:103] neg_lo:[0,1] neg_hi:[0,1]
	v_pk_fma_f32 v[100:101], v[88:89], v[96:97], v[86:87] op_sel:[0,0,1] op_sel_hi:[1,1,0] neg_lo:[0,0,1] neg_hi:[0,0,1]
	v_pk_fma_f32 v[86:87], v[88:89], v[96:97], v[86:87] op_sel:[0,0,1] op_sel_hi:[1,0,0]
	s_delay_alu instid0(VALU_DEP_1) | instskip(SKIP_4) | instid1(VALU_DEP_1)
	v_mov_b32_e32 v101, v87
	ds_load_2addr_b64 v[86:89], v90 offset0:38 offset1:39
	v_pk_add_f32 v[20:21], v[20:21], v[100:101] neg_lo:[0,1] neg_hi:[0,1]
	s_wait_dscnt 0x0
	v_pk_mul_f32 v[100:101], v[86:87], v[98:99] op_sel:[0,1]
	v_pk_fma_f32 v[102:103], v[86:87], v[96:97], v[100:101] op_sel:[0,0,1] op_sel_hi:[1,1,0] neg_lo:[0,0,1] neg_hi:[0,0,1]
	v_pk_fma_f32 v[86:87], v[86:87], v[96:97], v[100:101] op_sel:[0,0,1] op_sel_hi:[1,0,0]
	s_delay_alu instid0(VALU_DEP_1) | instskip(SKIP_1) | instid1(VALU_DEP_2)
	v_mov_b32_e32 v103, v87
	v_pk_mul_f32 v[86:87], v[88:89], v[98:99] op_sel:[0,1]
	v_pk_add_f32 v[18:19], v[18:19], v[102:103] neg_lo:[0,1] neg_hi:[0,1]
	s_delay_alu instid0(VALU_DEP_2) | instskip(SKIP_1) | instid1(VALU_DEP_1)
	v_pk_fma_f32 v[98:99], v[88:89], v[96:97], v[86:87] op_sel:[0,0,1] op_sel_hi:[1,1,0] neg_lo:[0,0,1] neg_hi:[0,0,1]
	v_pk_fma_f32 v[86:87], v[88:89], v[96:97], v[86:87] op_sel:[0,0,1] op_sel_hi:[1,0,0]
	v_mov_b32_e32 v99, v87
	s_delay_alu instid0(VALU_DEP_1)
	v_pk_add_f32 v[84:85], v[84:85], v[98:99] neg_lo:[0,1] neg_hi:[0,1]
.LBB78_545:
	s_or_b32 exec_lo, exec_lo, s0
	v_lshl_add_u32 v86, v94, 3, v90
	s_barrier_signal -1
	s_barrier_wait -1
	ds_store_b64 v86, v[54:55]
	s_wait_dscnt 0x0
	s_barrier_signal -1
	s_barrier_wait -1
	ds_load_b64 v[86:87], v90 offset:208
	v_mov_b32_e32 v88, 26
	s_cmp_lt_i32 s18, 28
	s_cbranch_scc1 .LBB78_548
; %bb.546:
	v_add3_u32 v89, v91, 0, 0xd8
	v_mov_b32_e32 v88, 26
	s_mov_b32 s0, 27
.LBB78_547:                             ; =>This Inner Loop Header: Depth=1
	ds_load_b64 v[96:97], v89
	s_wait_dscnt 0x1
	v_cmp_gt_f32_e32 vcc_lo, 0, v86
	v_cndmask_b32_e64 v98, v86, -v86, vcc_lo
	v_cmp_gt_f32_e32 vcc_lo, 0, v87
	v_cndmask_b32_e64 v100, v87, -v87, vcc_lo
	s_wait_dscnt 0x0
	v_cmp_gt_f32_e32 vcc_lo, 0, v96
	v_cndmask_b32_e64 v99, v96, -v96, vcc_lo
	v_cmp_gt_f32_e32 vcc_lo, 0, v97
	v_cndmask_b32_e64 v101, v97, -v97, vcc_lo
	s_delay_alu instid0(VALU_DEP_1) | instskip(NEXT) | instid1(VALU_DEP_1)
	v_pk_add_f32 v[98:99], v[98:99], v[100:101]
	v_cmp_lt_f32_e32 vcc_lo, v98, v99
	v_dual_cndmask_b32 v86, v86, v96 :: v_dual_add_nc_u32 v89, 8, v89
	v_cndmask_b32_e32 v87, v87, v97, vcc_lo
	v_cndmask_b32_e64 v88, v88, s0, vcc_lo
	s_add_co_i32 s0, s0, 1
	s_delay_alu instid0(SALU_CYCLE_1)
	s_cmp_lg_u32 s18, s0
	s_cbranch_scc1 .LBB78_547
.LBB78_548:
	s_wait_dscnt 0x0
	v_cmp_eq_f32_e32 vcc_lo, 0, v86
	v_cmp_eq_f32_e64 s0, 0, v87
	s_and_b32 s0, vcc_lo, s0
	s_delay_alu instid0(SALU_CYCLE_1) | instskip(NEXT) | instid1(SALU_CYCLE_1)
	s_and_saveexec_b32 s1, s0
	s_xor_b32 s0, exec_lo, s1
; %bb.549:
	v_cmp_ne_u32_e32 vcc_lo, 0, v92
	v_cndmask_b32_e32 v92, 27, v92, vcc_lo
; %bb.550:
	s_and_not1_saveexec_b32 s0, s0
	s_cbranch_execz .LBB78_556
; %bb.551:
	v_cmp_ngt_f32_e64 s1, |v86|, |v87|
	s_and_saveexec_b32 s12, s1
	s_delay_alu instid0(SALU_CYCLE_1)
	s_xor_b32 s1, exec_lo, s12
	s_cbranch_execz .LBB78_553
; %bb.552:
	v_div_scale_f32 v89, null, v87, v87, v86
	v_div_scale_f32 v97, vcc_lo, v86, v87, v86
	s_delay_alu instid0(VALU_DEP_2) | instskip(SKIP_1) | instid1(TRANS32_DEP_1)
	v_rcp_f32_e32 v95, v89
	v_nop
	v_fma_f32 v96, -v89, v95, 1.0
	s_delay_alu instid0(VALU_DEP_1) | instskip(NEXT) | instid1(VALU_DEP_1)
	v_fmac_f32_e32 v95, v96, v95
	v_mul_f32_e32 v96, v97, v95
	s_delay_alu instid0(VALU_DEP_1) | instskip(NEXT) | instid1(VALU_DEP_1)
	v_fma_f32 v98, -v89, v96, v97
	v_fmac_f32_e32 v96, v98, v95
	s_delay_alu instid0(VALU_DEP_1) | instskip(NEXT) | instid1(VALU_DEP_1)
	v_fma_f32 v89, -v89, v96, v97
	v_div_fmas_f32 v89, v89, v95, v96
	s_delay_alu instid0(VALU_DEP_1) | instskip(NEXT) | instid1(VALU_DEP_1)
	v_div_fixup_f32 v89, v89, v87, v86
	v_fmac_f32_e32 v87, v86, v89
	s_delay_alu instid0(VALU_DEP_1) | instskip(SKIP_1) | instid1(VALU_DEP_2)
	v_div_scale_f32 v86, null, v87, v87, 1.0
	v_div_scale_f32 v97, vcc_lo, 1.0, v87, 1.0
	v_rcp_f32_e32 v95, v86
	v_nop
	s_delay_alu instid0(TRANS32_DEP_1) | instskip(NEXT) | instid1(VALU_DEP_1)
	v_fma_f32 v96, -v86, v95, 1.0
	v_fmac_f32_e32 v95, v96, v95
	s_delay_alu instid0(VALU_DEP_1) | instskip(NEXT) | instid1(VALU_DEP_1)
	v_mul_f32_e32 v96, v97, v95
	v_fma_f32 v98, -v86, v96, v97
	s_delay_alu instid0(VALU_DEP_1) | instskip(NEXT) | instid1(VALU_DEP_1)
	v_fmac_f32_e32 v96, v98, v95
	v_fma_f32 v86, -v86, v96, v97
	s_delay_alu instid0(VALU_DEP_1) | instskip(NEXT) | instid1(VALU_DEP_1)
	v_div_fmas_f32 v86, v86, v95, v96
	v_div_fixup_f32 v87, v86, v87, 1.0
	s_delay_alu instid0(VALU_DEP_1)
	v_mul_f32_e32 v86, v89, v87
	v_xor_b32_e32 v87, 0x80000000, v87
.LBB78_553:
	s_and_not1_saveexec_b32 s1, s1
	s_cbranch_execz .LBB78_555
; %bb.554:
	s_delay_alu instid0(VALU_DEP_1) | instskip(SKIP_1) | instid1(VALU_DEP_2)
	v_div_scale_f32 v89, null, v86, v86, v87
	v_div_scale_f32 v97, vcc_lo, v87, v86, v87
	v_rcp_f32_e32 v95, v89
	v_nop
	s_delay_alu instid0(TRANS32_DEP_1) | instskip(NEXT) | instid1(VALU_DEP_1)
	v_fma_f32 v96, -v89, v95, 1.0
	v_fmac_f32_e32 v95, v96, v95
	s_delay_alu instid0(VALU_DEP_1) | instskip(NEXT) | instid1(VALU_DEP_1)
	v_mul_f32_e32 v96, v97, v95
	v_fma_f32 v98, -v89, v96, v97
	s_delay_alu instid0(VALU_DEP_1) | instskip(NEXT) | instid1(VALU_DEP_1)
	v_fmac_f32_e32 v96, v98, v95
	v_fma_f32 v89, -v89, v96, v97
	s_delay_alu instid0(VALU_DEP_1) | instskip(NEXT) | instid1(VALU_DEP_1)
	v_div_fmas_f32 v89, v89, v95, v96
	v_div_fixup_f32 v89, v89, v86, v87
	s_delay_alu instid0(VALU_DEP_1) | instskip(NEXT) | instid1(VALU_DEP_1)
	v_fmac_f32_e32 v86, v87, v89
	v_div_scale_f32 v87, null, v86, v86, 1.0
	s_delay_alu instid0(VALU_DEP_1) | instskip(SKIP_1) | instid1(TRANS32_DEP_1)
	v_rcp_f32_e32 v95, v87
	v_nop
	v_fma_f32 v96, -v87, v95, 1.0
	s_delay_alu instid0(VALU_DEP_1) | instskip(SKIP_1) | instid1(VALU_DEP_1)
	v_fmac_f32_e32 v95, v96, v95
	v_div_scale_f32 v96, vcc_lo, 1.0, v86, 1.0
	v_mul_f32_e32 v97, v96, v95
	s_delay_alu instid0(VALU_DEP_1) | instskip(NEXT) | instid1(VALU_DEP_1)
	v_fma_f32 v98, -v87, v97, v96
	v_fmac_f32_e32 v97, v98, v95
	s_delay_alu instid0(VALU_DEP_1) | instskip(NEXT) | instid1(VALU_DEP_1)
	v_fma_f32 v87, -v87, v97, v96
	v_div_fmas_f32 v87, v87, v95, v97
	s_delay_alu instid0(VALU_DEP_1) | instskip(NEXT) | instid1(VALU_DEP_1)
	v_div_fixup_f32 v86, v87, v86, 1.0
	v_mul_f32_e64 v87, v89, -v86
.LBB78_555:
	s_or_b32 exec_lo, exec_lo, s1
.LBB78_556:
	s_delay_alu instid0(SALU_CYCLE_1) | instskip(NEXT) | instid1(SALU_CYCLE_1)
	s_or_b32 exec_lo, exec_lo, s0
	s_mov_b32 s0, exec_lo
	v_cmpx_ne_u32_e64 v94, v88
	s_xor_b32 s0, exec_lo, s0
	s_cbranch_execz .LBB78_562
; %bb.557:
	s_mov_b32 s1, exec_lo
	v_cmpx_eq_u32_e32 26, v94
	s_cbranch_execz .LBB78_561
; %bb.558:
	v_cmp_ne_u32_e32 vcc_lo, 26, v88
	s_xor_b32 s12, s16, -1
	s_delay_alu instid0(SALU_CYCLE_1) | instskip(NEXT) | instid1(SALU_CYCLE_1)
	s_and_b32 s13, s12, vcc_lo
	s_and_saveexec_b32 s12, s13
	s_cbranch_execz .LBB78_560
; %bb.559:
	v_ashrrev_i32_e32 v89, 31, v88
	s_delay_alu instid0(VALU_DEP_1)
	v_lshl_add_u64 v[94:95], v[88:89], 2, v[4:5]
	s_clause 0x1
	global_load_b32 v89, v[94:95], off
	global_load_b32 v93, v[4:5], off offset:104
	s_wait_loadcnt 0x1
	global_store_b32 v[4:5], v89, off offset:104
	s_wait_loadcnt 0x0
	global_store_b32 v[94:95], v93, off
.LBB78_560:
	s_wait_xcnt 0x0
	s_or_b32 exec_lo, exec_lo, s12
	v_dual_mov_b32 v94, v88 :: v_dual_mov_b32 v93, v88
.LBB78_561:
	s_or_b32 exec_lo, exec_lo, s1
.LBB78_562:
	s_and_not1_saveexec_b32 s0, s0
	s_cbranch_execz .LBB78_564
; %bb.563:
	v_mov_b32_e32 v94, 26
	ds_store_2addr_b64 v90, v[14:15], v[38:39] offset0:27 offset1:28
	ds_store_2addr_b64 v90, v[34:35], v[36:37] offset0:29 offset1:30
	;; [unrolled: 1-line block ×6, first 2 shown]
	ds_store_b64 v90, v[84:85] offset:312
.LBB78_564:
	s_or_b32 exec_lo, exec_lo, s0
	s_delay_alu instid0(SALU_CYCLE_1)
	s_mov_b32 s0, exec_lo
	s_wait_storecnt_dscnt 0x0
	s_barrier_signal -1
	s_barrier_wait -1
	v_cmpx_lt_i32_e32 26, v94
	s_cbranch_execz .LBB78_566
; %bb.565:
	v_pk_mul_f32 v[88:89], v[86:87], v[54:55] op_sel:[1,1] op_sel_hi:[0,1]
	s_delay_alu instid0(VALU_DEP_1)
	v_pk_fma_f32 v[96:97], v[86:87], v[54:55], v[88:89] op_sel_hi:[1,0,1] neg_lo:[0,0,1] neg_hi:[0,0,1]
	v_pk_fma_f32 v[98:99], v[86:87], v[54:55], v[88:89] op_sel_hi:[1,0,1]
	ds_load_2addr_b64 v[86:89], v90 offset0:27 offset1:28
	v_dual_mov_b32 v54, v96 :: v_dual_mov_b32 v55, v99
	s_wait_dscnt 0x0
	v_pk_mul_f32 v[100:101], v[86:87], v[98:99] op_sel:[0,1]
	s_delay_alu instid0(VALU_DEP_1) | instskip(SKIP_1) | instid1(VALU_DEP_1)
	v_pk_fma_f32 v[102:103], v[86:87], v[96:97], v[100:101] op_sel:[0,0,1] op_sel_hi:[1,1,0] neg_lo:[0,0,1] neg_hi:[0,0,1]
	v_pk_fma_f32 v[86:87], v[86:87], v[96:97], v[100:101] op_sel:[0,0,1] op_sel_hi:[1,0,0]
	v_mov_b32_e32 v103, v87
	v_pk_mul_f32 v[86:87], v[88:89], v[98:99] op_sel:[0,1]
	s_delay_alu instid0(VALU_DEP_1) | instskip(SKIP_1) | instid1(VALU_DEP_1)
	v_pk_fma_f32 v[100:101], v[88:89], v[96:97], v[86:87] op_sel:[0,0,1] op_sel_hi:[1,1,0] neg_lo:[0,0,1] neg_hi:[0,0,1]
	v_pk_fma_f32 v[86:87], v[88:89], v[96:97], v[86:87] op_sel:[0,0,1] op_sel_hi:[1,0,0]
	v_mov_b32_e32 v101, v87
	ds_load_2addr_b64 v[86:89], v90 offset0:29 offset1:30
	v_pk_add_f32 v[14:15], v[14:15], v[102:103] neg_lo:[0,1] neg_hi:[0,1]
	v_pk_add_f32 v[38:39], v[38:39], v[100:101] neg_lo:[0,1] neg_hi:[0,1]
	s_wait_dscnt 0x0
	v_pk_mul_f32 v[100:101], v[86:87], v[98:99] op_sel:[0,1]
	s_delay_alu instid0(VALU_DEP_1) | instskip(SKIP_2) | instid1(VALU_DEP_2)
	v_pk_fma_f32 v[102:103], v[86:87], v[96:97], v[100:101] op_sel:[0,0,1] op_sel_hi:[1,1,0] neg_lo:[0,0,1] neg_hi:[0,0,1]
	v_pk_fma_f32 v[86:87], v[86:87], v[96:97], v[100:101] op_sel:[0,0,1] op_sel_hi:[1,0,0]
	v_dual_mul_f32 v100, v89, v99 :: v_dual_mov_b32 v86, v89
	v_dual_mov_b32 v103, v87 :: v_dual_mov_b32 v87, v88
	s_delay_alu instid0(VALU_DEP_2) | instskip(SKIP_1) | instid1(VALU_DEP_3)
	v_pk_fma_f32 v[100:101], v[88:89], v[54:55], v[100:101] op_sel_hi:[1,1,0] neg_lo:[0,0,1] neg_hi:[0,0,1]
	v_mul_f32_e32 v88, v89, v96
	v_pk_add_f32 v[34:35], v[34:35], v[102:103] neg_lo:[0,1] neg_hi:[0,1]
	s_delay_alu instid0(VALU_DEP_2) | instskip(NEXT) | instid1(VALU_DEP_1)
	v_pk_fma_f32 v[86:87], v[86:87], v[54:55], v[88:89] op_sel_hi:[1,1,0]
	v_mov_b32_e32 v101, v87
	ds_load_2addr_b64 v[86:89], v90 offset0:31 offset1:32
	v_pk_add_f32 v[36:37], v[36:37], v[100:101] neg_lo:[0,1] neg_hi:[0,1]
	s_wait_dscnt 0x0
	v_pk_mul_f32 v[100:101], v[86:87], v[98:99] op_sel:[0,1]
	s_delay_alu instid0(VALU_DEP_1) | instskip(SKIP_1) | instid1(VALU_DEP_1)
	v_pk_fma_f32 v[102:103], v[86:87], v[96:97], v[100:101] op_sel:[0,0,1] op_sel_hi:[1,1,0] neg_lo:[0,0,1] neg_hi:[0,0,1]
	v_pk_fma_f32 v[86:87], v[86:87], v[96:97], v[100:101] op_sel:[0,0,1] op_sel_hi:[1,0,0]
	v_mov_b32_e32 v103, v87
	v_pk_mul_f32 v[86:87], v[88:89], v[98:99] op_sel:[0,1]
	s_delay_alu instid0(VALU_DEP_1) | instskip(SKIP_1) | instid1(VALU_DEP_1)
	v_pk_fma_f32 v[100:101], v[88:89], v[96:97], v[86:87] op_sel:[0,0,1] op_sel_hi:[1,1,0] neg_lo:[0,0,1] neg_hi:[0,0,1]
	v_pk_fma_f32 v[86:87], v[88:89], v[96:97], v[86:87] op_sel:[0,0,1] op_sel_hi:[1,0,0]
	v_mov_b32_e32 v101, v87
	ds_load_2addr_b64 v[86:89], v90 offset0:33 offset1:34
	v_pk_add_f32 v[6:7], v[6:7], v[102:103] neg_lo:[0,1] neg_hi:[0,1]
	v_pk_add_f32 v[32:33], v[32:33], v[100:101] neg_lo:[0,1] neg_hi:[0,1]
	s_wait_dscnt 0x0
	v_pk_mul_f32 v[100:101], v[86:87], v[98:99] op_sel:[0,1]
	s_delay_alu instid0(VALU_DEP_1) | instskip(SKIP_1) | instid1(VALU_DEP_1)
	v_pk_fma_f32 v[102:103], v[86:87], v[96:97], v[100:101] op_sel:[0,0,1] op_sel_hi:[1,1,0] neg_lo:[0,0,1] neg_hi:[0,0,1]
	v_pk_fma_f32 v[86:87], v[86:87], v[96:97], v[100:101] op_sel:[0,0,1] op_sel_hi:[1,0,0]
	v_mov_b32_e32 v103, v87
	v_pk_mul_f32 v[86:87], v[88:89], v[98:99] op_sel:[0,1]
	s_delay_alu instid0(VALU_DEP_1) | instskip(SKIP_1) | instid1(VALU_DEP_1)
	v_pk_fma_f32 v[100:101], v[88:89], v[96:97], v[86:87] op_sel:[0,0,1] op_sel_hi:[1,1,0] neg_lo:[0,0,1] neg_hi:[0,0,1]
	v_pk_fma_f32 v[86:87], v[88:89], v[96:97], v[86:87] op_sel:[0,0,1] op_sel_hi:[1,0,0]
	v_mov_b32_e32 v101, v87
	ds_load_2addr_b64 v[86:89], v90 offset0:35 offset1:36
	v_pk_add_f32 v[28:29], v[28:29], v[102:103] neg_lo:[0,1] neg_hi:[0,1]
	v_pk_add_f32 v[30:31], v[30:31], v[100:101] neg_lo:[0,1] neg_hi:[0,1]
	s_wait_dscnt 0x0
	v_dual_mul_f32 v100, v87, v99 :: v_dual_mul_f32 v102, v87, v96
	s_delay_alu instid0(VALU_DEP_1) | instskip(NEXT) | instid1(VALU_DEP_2)
	v_pk_fma_f32 v[100:101], v[86:87], v[54:55], v[100:101] op_sel_hi:[1,1,0] neg_lo:[0,0,1] neg_hi:[0,0,1]
	v_pk_fma_f32 v[86:87], v[86:87], v[54:55], v[102:103] op_sel:[1,0,0] op_sel_hi:[0,1,0]
	s_delay_alu instid0(VALU_DEP_1) | instskip(SKIP_1) | instid1(VALU_DEP_2)
	v_mov_b32_e32 v101, v87
	v_pk_mul_f32 v[86:87], v[88:89], v[98:99] op_sel:[0,1]
	v_pk_add_f32 v[8:9], v[8:9], v[100:101] neg_lo:[0,1] neg_hi:[0,1]
	s_delay_alu instid0(VALU_DEP_2) | instskip(SKIP_1) | instid1(VALU_DEP_1)
	v_pk_fma_f32 v[100:101], v[88:89], v[96:97], v[86:87] op_sel:[0,0,1] op_sel_hi:[1,1,0] neg_lo:[0,0,1] neg_hi:[0,0,1]
	v_pk_fma_f32 v[86:87], v[88:89], v[96:97], v[86:87] op_sel:[0,0,1] op_sel_hi:[1,0,0]
	v_mov_b32_e32 v101, v87
	ds_load_2addr_b64 v[86:89], v90 offset0:37 offset1:38
	v_pk_add_f32 v[26:27], v[26:27], v[100:101] neg_lo:[0,1] neg_hi:[0,1]
	s_wait_dscnt 0x0
	v_pk_mul_f32 v[100:101], v[86:87], v[98:99] op_sel:[0,1]
	s_delay_alu instid0(VALU_DEP_1) | instskip(SKIP_1) | instid1(VALU_DEP_1)
	v_pk_fma_f32 v[102:103], v[86:87], v[96:97], v[100:101] op_sel:[0,0,1] op_sel_hi:[1,1,0] neg_lo:[0,0,1] neg_hi:[0,0,1]
	v_pk_fma_f32 v[86:87], v[86:87], v[96:97], v[100:101] op_sel:[0,0,1] op_sel_hi:[1,0,0]
	v_mov_b32_e32 v103, v87
	v_pk_mul_f32 v[86:87], v[88:89], v[98:99] op_sel:[0,1]
	s_delay_alu instid0(VALU_DEP_2) | instskip(NEXT) | instid1(VALU_DEP_2)
	v_pk_add_f32 v[20:21], v[20:21], v[102:103] neg_lo:[0,1] neg_hi:[0,1]
	v_pk_fma_f32 v[100:101], v[88:89], v[96:97], v[86:87] op_sel:[0,0,1] op_sel_hi:[1,1,0] neg_lo:[0,0,1] neg_hi:[0,0,1]
	v_pk_fma_f32 v[86:87], v[88:89], v[96:97], v[86:87] op_sel:[0,0,1] op_sel_hi:[1,0,0]
	s_delay_alu instid0(VALU_DEP_1) | instskip(SKIP_4) | instid1(VALU_DEP_1)
	v_mov_b32_e32 v101, v87
	ds_load_b64 v[86:87], v90 offset:312
	v_pk_add_f32 v[18:19], v[18:19], v[100:101] neg_lo:[0,1] neg_hi:[0,1]
	s_wait_dscnt 0x0
	v_pk_mul_f32 v[88:89], v[86:87], v[98:99] op_sel:[0,1]
	v_pk_fma_f32 v[98:99], v[86:87], v[96:97], v[88:89] op_sel:[0,0,1] op_sel_hi:[1,1,0] neg_lo:[0,0,1] neg_hi:[0,0,1]
	v_pk_fma_f32 v[86:87], v[86:87], v[96:97], v[88:89] op_sel:[0,0,1] op_sel_hi:[1,0,0]
	s_delay_alu instid0(VALU_DEP_1) | instskip(NEXT) | instid1(VALU_DEP_1)
	v_mov_b32_e32 v99, v87
	v_pk_add_f32 v[84:85], v[84:85], v[98:99] neg_lo:[0,1] neg_hi:[0,1]
.LBB78_566:
	s_or_b32 exec_lo, exec_lo, s0
	v_lshl_add_u32 v86, v94, 3, v90
	s_barrier_signal -1
	s_barrier_wait -1
	ds_store_b64 v86, v[14:15]
	s_wait_dscnt 0x0
	s_barrier_signal -1
	s_barrier_wait -1
	ds_load_b64 v[86:87], v90 offset:216
	v_mov_b32_e32 v88, 27
	s_cmp_lt_i32 s18, 29
	s_cbranch_scc1 .LBB78_569
; %bb.567:
	v_add3_u32 v89, v91, 0, 0xe0
	v_mov_b32_e32 v88, 27
	s_mov_b32 s0, 28
.LBB78_568:                             ; =>This Inner Loop Header: Depth=1
	ds_load_b64 v[96:97], v89
	s_wait_dscnt 0x1
	v_cmp_gt_f32_e32 vcc_lo, 0, v86
	v_cndmask_b32_e64 v98, v86, -v86, vcc_lo
	v_cmp_gt_f32_e32 vcc_lo, 0, v87
	v_cndmask_b32_e64 v100, v87, -v87, vcc_lo
	s_wait_dscnt 0x0
	v_cmp_gt_f32_e32 vcc_lo, 0, v96
	v_cndmask_b32_e64 v99, v96, -v96, vcc_lo
	v_cmp_gt_f32_e32 vcc_lo, 0, v97
	v_cndmask_b32_e64 v101, v97, -v97, vcc_lo
	s_delay_alu instid0(VALU_DEP_1) | instskip(NEXT) | instid1(VALU_DEP_1)
	v_pk_add_f32 v[98:99], v[98:99], v[100:101]
	v_cmp_lt_f32_e32 vcc_lo, v98, v99
	v_dual_cndmask_b32 v86, v86, v96 :: v_dual_add_nc_u32 v89, 8, v89
	v_cndmask_b32_e32 v87, v87, v97, vcc_lo
	v_cndmask_b32_e64 v88, v88, s0, vcc_lo
	s_add_co_i32 s0, s0, 1
	s_delay_alu instid0(SALU_CYCLE_1)
	s_cmp_lg_u32 s18, s0
	s_cbranch_scc1 .LBB78_568
.LBB78_569:
	s_wait_dscnt 0x0
	v_cmp_eq_f32_e32 vcc_lo, 0, v86
	v_cmp_eq_f32_e64 s0, 0, v87
	s_and_b32 s0, vcc_lo, s0
	s_delay_alu instid0(SALU_CYCLE_1) | instskip(NEXT) | instid1(SALU_CYCLE_1)
	s_and_saveexec_b32 s1, s0
	s_xor_b32 s0, exec_lo, s1
; %bb.570:
	v_cmp_ne_u32_e32 vcc_lo, 0, v92
	v_cndmask_b32_e32 v92, 28, v92, vcc_lo
; %bb.571:
	s_and_not1_saveexec_b32 s0, s0
	s_cbranch_execz .LBB78_577
; %bb.572:
	v_cmp_ngt_f32_e64 s1, |v86|, |v87|
	s_and_saveexec_b32 s12, s1
	s_delay_alu instid0(SALU_CYCLE_1)
	s_xor_b32 s1, exec_lo, s12
	s_cbranch_execz .LBB78_574
; %bb.573:
	v_div_scale_f32 v89, null, v87, v87, v86
	v_div_scale_f32 v97, vcc_lo, v86, v87, v86
	s_delay_alu instid0(VALU_DEP_2) | instskip(SKIP_1) | instid1(TRANS32_DEP_1)
	v_rcp_f32_e32 v95, v89
	v_nop
	v_fma_f32 v96, -v89, v95, 1.0
	s_delay_alu instid0(VALU_DEP_1) | instskip(NEXT) | instid1(VALU_DEP_1)
	v_fmac_f32_e32 v95, v96, v95
	v_mul_f32_e32 v96, v97, v95
	s_delay_alu instid0(VALU_DEP_1) | instskip(NEXT) | instid1(VALU_DEP_1)
	v_fma_f32 v98, -v89, v96, v97
	v_fmac_f32_e32 v96, v98, v95
	s_delay_alu instid0(VALU_DEP_1) | instskip(NEXT) | instid1(VALU_DEP_1)
	v_fma_f32 v89, -v89, v96, v97
	v_div_fmas_f32 v89, v89, v95, v96
	s_delay_alu instid0(VALU_DEP_1) | instskip(NEXT) | instid1(VALU_DEP_1)
	v_div_fixup_f32 v89, v89, v87, v86
	v_fmac_f32_e32 v87, v86, v89
	s_delay_alu instid0(VALU_DEP_1) | instskip(SKIP_1) | instid1(VALU_DEP_2)
	v_div_scale_f32 v86, null, v87, v87, 1.0
	v_div_scale_f32 v97, vcc_lo, 1.0, v87, 1.0
	v_rcp_f32_e32 v95, v86
	v_nop
	s_delay_alu instid0(TRANS32_DEP_1) | instskip(NEXT) | instid1(VALU_DEP_1)
	v_fma_f32 v96, -v86, v95, 1.0
	v_fmac_f32_e32 v95, v96, v95
	s_delay_alu instid0(VALU_DEP_1) | instskip(NEXT) | instid1(VALU_DEP_1)
	v_mul_f32_e32 v96, v97, v95
	v_fma_f32 v98, -v86, v96, v97
	s_delay_alu instid0(VALU_DEP_1) | instskip(NEXT) | instid1(VALU_DEP_1)
	v_fmac_f32_e32 v96, v98, v95
	v_fma_f32 v86, -v86, v96, v97
	s_delay_alu instid0(VALU_DEP_1) | instskip(NEXT) | instid1(VALU_DEP_1)
	v_div_fmas_f32 v86, v86, v95, v96
	v_div_fixup_f32 v87, v86, v87, 1.0
	s_delay_alu instid0(VALU_DEP_1)
	v_mul_f32_e32 v86, v89, v87
	v_xor_b32_e32 v87, 0x80000000, v87
.LBB78_574:
	s_and_not1_saveexec_b32 s1, s1
	s_cbranch_execz .LBB78_576
; %bb.575:
	s_delay_alu instid0(VALU_DEP_1) | instskip(SKIP_1) | instid1(VALU_DEP_2)
	v_div_scale_f32 v89, null, v86, v86, v87
	v_div_scale_f32 v97, vcc_lo, v87, v86, v87
	v_rcp_f32_e32 v95, v89
	v_nop
	s_delay_alu instid0(TRANS32_DEP_1) | instskip(NEXT) | instid1(VALU_DEP_1)
	v_fma_f32 v96, -v89, v95, 1.0
	v_fmac_f32_e32 v95, v96, v95
	s_delay_alu instid0(VALU_DEP_1) | instskip(NEXT) | instid1(VALU_DEP_1)
	v_mul_f32_e32 v96, v97, v95
	v_fma_f32 v98, -v89, v96, v97
	s_delay_alu instid0(VALU_DEP_1) | instskip(NEXT) | instid1(VALU_DEP_1)
	v_fmac_f32_e32 v96, v98, v95
	v_fma_f32 v89, -v89, v96, v97
	s_delay_alu instid0(VALU_DEP_1) | instskip(NEXT) | instid1(VALU_DEP_1)
	v_div_fmas_f32 v89, v89, v95, v96
	v_div_fixup_f32 v89, v89, v86, v87
	s_delay_alu instid0(VALU_DEP_1) | instskip(NEXT) | instid1(VALU_DEP_1)
	v_fmac_f32_e32 v86, v87, v89
	v_div_scale_f32 v87, null, v86, v86, 1.0
	s_delay_alu instid0(VALU_DEP_1) | instskip(SKIP_1) | instid1(TRANS32_DEP_1)
	v_rcp_f32_e32 v95, v87
	v_nop
	v_fma_f32 v96, -v87, v95, 1.0
	s_delay_alu instid0(VALU_DEP_1) | instskip(SKIP_1) | instid1(VALU_DEP_1)
	v_fmac_f32_e32 v95, v96, v95
	v_div_scale_f32 v96, vcc_lo, 1.0, v86, 1.0
	v_mul_f32_e32 v97, v96, v95
	s_delay_alu instid0(VALU_DEP_1) | instskip(NEXT) | instid1(VALU_DEP_1)
	v_fma_f32 v98, -v87, v97, v96
	v_fmac_f32_e32 v97, v98, v95
	s_delay_alu instid0(VALU_DEP_1) | instskip(NEXT) | instid1(VALU_DEP_1)
	v_fma_f32 v87, -v87, v97, v96
	v_div_fmas_f32 v87, v87, v95, v97
	s_delay_alu instid0(VALU_DEP_1) | instskip(NEXT) | instid1(VALU_DEP_1)
	v_div_fixup_f32 v86, v87, v86, 1.0
	v_mul_f32_e64 v87, v89, -v86
.LBB78_576:
	s_or_b32 exec_lo, exec_lo, s1
.LBB78_577:
	s_delay_alu instid0(SALU_CYCLE_1) | instskip(NEXT) | instid1(SALU_CYCLE_1)
	s_or_b32 exec_lo, exec_lo, s0
	s_mov_b32 s0, exec_lo
	v_cmpx_ne_u32_e64 v94, v88
	s_xor_b32 s0, exec_lo, s0
	s_cbranch_execz .LBB78_583
; %bb.578:
	s_mov_b32 s1, exec_lo
	v_cmpx_eq_u32_e32 27, v94
	s_cbranch_execz .LBB78_582
; %bb.579:
	v_cmp_ne_u32_e32 vcc_lo, 27, v88
	s_xor_b32 s12, s16, -1
	s_delay_alu instid0(SALU_CYCLE_1) | instskip(NEXT) | instid1(SALU_CYCLE_1)
	s_and_b32 s13, s12, vcc_lo
	s_and_saveexec_b32 s12, s13
	s_cbranch_execz .LBB78_581
; %bb.580:
	v_ashrrev_i32_e32 v89, 31, v88
	s_delay_alu instid0(VALU_DEP_1)
	v_lshl_add_u64 v[94:95], v[88:89], 2, v[4:5]
	s_clause 0x1
	global_load_b32 v89, v[94:95], off
	global_load_b32 v93, v[4:5], off offset:108
	s_wait_loadcnt 0x1
	global_store_b32 v[4:5], v89, off offset:108
	s_wait_loadcnt 0x0
	global_store_b32 v[94:95], v93, off
.LBB78_581:
	s_wait_xcnt 0x0
	s_or_b32 exec_lo, exec_lo, s12
	v_dual_mov_b32 v94, v88 :: v_dual_mov_b32 v93, v88
.LBB78_582:
	s_or_b32 exec_lo, exec_lo, s1
.LBB78_583:
	s_and_not1_saveexec_b32 s0, s0
	s_cbranch_execz .LBB78_585
; %bb.584:
	v_dual_mov_b32 v88, v38 :: v_dual_mov_b32 v89, v39
	v_dual_mov_b32 v94, v34 :: v_dual_mov_b32 v95, v35
	;; [unrolled: 1-line block ×4, first 2 shown]
	ds_store_2addr_b64 v90, v[88:89], v[94:95] offset0:28 offset1:29
	ds_store_2addr_b64 v90, v[96:97], v[98:99] offset0:30 offset1:31
	v_dual_mov_b32 v88, v32 :: v_dual_mov_b32 v89, v33
	v_dual_mov_b32 v96, v28 :: v_dual_mov_b32 v97, v29
	;; [unrolled: 1-line block ×7, first 2 shown]
	v_mov_b32_e32 v107, v19
	ds_store_2addr_b64 v90, v[88:89], v[96:97] offset0:32 offset1:33
	ds_store_2addr_b64 v90, v[98:99], v[100:101] offset0:34 offset1:35
	;; [unrolled: 1-line block ×4, first 2 shown]
.LBB78_585:
	s_or_b32 exec_lo, exec_lo, s0
	s_delay_alu instid0(SALU_CYCLE_1)
	s_mov_b32 s0, exec_lo
	s_wait_storecnt_dscnt 0x0
	s_barrier_signal -1
	s_barrier_wait -1
	v_cmpx_lt_i32_e32 27, v94
	s_cbranch_execz .LBB78_587
; %bb.586:
	v_pk_mul_f32 v[88:89], v[86:87], v[14:15] op_sel:[1,1] op_sel_hi:[0,1]
	s_delay_alu instid0(VALU_DEP_1)
	v_pk_fma_f32 v[96:97], v[86:87], v[14:15], v[88:89] op_sel_hi:[1,0,1] neg_lo:[0,0,1] neg_hi:[0,0,1]
	v_pk_fma_f32 v[98:99], v[86:87], v[14:15], v[88:89] op_sel_hi:[1,0,1]
	ds_load_2addr_b64 v[86:89], v90 offset0:28 offset1:29
	v_dual_mov_b32 v14, v96 :: v_dual_mov_b32 v15, v99
	s_wait_dscnt 0x0
	v_pk_mul_f32 v[100:101], v[86:87], v[98:99] op_sel:[0,1]
	s_delay_alu instid0(VALU_DEP_1) | instskip(SKIP_1) | instid1(VALU_DEP_1)
	v_pk_fma_f32 v[102:103], v[86:87], v[96:97], v[100:101] op_sel:[0,0,1] op_sel_hi:[1,1,0] neg_lo:[0,0,1] neg_hi:[0,0,1]
	v_pk_fma_f32 v[86:87], v[86:87], v[96:97], v[100:101] op_sel:[0,0,1] op_sel_hi:[1,0,0]
	v_mov_b32_e32 v103, v87
	v_pk_mul_f32 v[86:87], v[88:89], v[98:99] op_sel:[0,1]
	s_delay_alu instid0(VALU_DEP_1) | instskip(SKIP_1) | instid1(VALU_DEP_1)
	v_pk_fma_f32 v[100:101], v[88:89], v[96:97], v[86:87] op_sel:[0,0,1] op_sel_hi:[1,1,0] neg_lo:[0,0,1] neg_hi:[0,0,1]
	v_pk_fma_f32 v[86:87], v[88:89], v[96:97], v[86:87] op_sel:[0,0,1] op_sel_hi:[1,0,0]
	v_mov_b32_e32 v101, v87
	ds_load_2addr_b64 v[86:89], v90 offset0:30 offset1:31
	v_pk_add_f32 v[38:39], v[38:39], v[102:103] neg_lo:[0,1] neg_hi:[0,1]
	v_pk_add_f32 v[34:35], v[34:35], v[100:101] neg_lo:[0,1] neg_hi:[0,1]
	s_wait_dscnt 0x0
	v_pk_mul_f32 v[100:101], v[86:87], v[98:99] op_sel:[0,1]
	s_delay_alu instid0(VALU_DEP_1) | instskip(SKIP_2) | instid1(VALU_DEP_2)
	v_pk_fma_f32 v[102:103], v[86:87], v[96:97], v[100:101] op_sel:[0,0,1] op_sel_hi:[1,1,0] neg_lo:[0,0,1] neg_hi:[0,0,1]
	v_pk_fma_f32 v[86:87], v[86:87], v[96:97], v[100:101] op_sel:[0,0,1] op_sel_hi:[1,0,0]
	v_dual_mul_f32 v100, v89, v99 :: v_dual_mov_b32 v86, v89
	v_dual_mov_b32 v103, v87 :: v_dual_mov_b32 v87, v88
	s_delay_alu instid0(VALU_DEP_2) | instskip(SKIP_1) | instid1(VALU_DEP_3)
	v_pk_fma_f32 v[100:101], v[88:89], v[14:15], v[100:101] op_sel_hi:[1,1,0] neg_lo:[0,0,1] neg_hi:[0,0,1]
	v_mul_f32_e32 v88, v89, v96
	v_pk_add_f32 v[36:37], v[36:37], v[102:103] neg_lo:[0,1] neg_hi:[0,1]
	s_delay_alu instid0(VALU_DEP_2) | instskip(NEXT) | instid1(VALU_DEP_1)
	v_pk_fma_f32 v[86:87], v[86:87], v[14:15], v[88:89] op_sel_hi:[1,1,0]
	v_mov_b32_e32 v101, v87
	ds_load_2addr_b64 v[86:89], v90 offset0:32 offset1:33
	v_pk_add_f32 v[6:7], v[6:7], v[100:101] neg_lo:[0,1] neg_hi:[0,1]
	s_wait_dscnt 0x0
	v_pk_mul_f32 v[100:101], v[86:87], v[98:99] op_sel:[0,1]
	s_delay_alu instid0(VALU_DEP_1) | instskip(SKIP_1) | instid1(VALU_DEP_1)
	v_pk_fma_f32 v[102:103], v[86:87], v[96:97], v[100:101] op_sel:[0,0,1] op_sel_hi:[1,1,0] neg_lo:[0,0,1] neg_hi:[0,0,1]
	v_pk_fma_f32 v[86:87], v[86:87], v[96:97], v[100:101] op_sel:[0,0,1] op_sel_hi:[1,0,0]
	v_mov_b32_e32 v103, v87
	v_pk_mul_f32 v[86:87], v[88:89], v[98:99] op_sel:[0,1]
	s_delay_alu instid0(VALU_DEP_1) | instskip(SKIP_1) | instid1(VALU_DEP_1)
	v_pk_fma_f32 v[100:101], v[88:89], v[96:97], v[86:87] op_sel:[0,0,1] op_sel_hi:[1,1,0] neg_lo:[0,0,1] neg_hi:[0,0,1]
	v_pk_fma_f32 v[86:87], v[88:89], v[96:97], v[86:87] op_sel:[0,0,1] op_sel_hi:[1,0,0]
	v_mov_b32_e32 v101, v87
	ds_load_2addr_b64 v[86:89], v90 offset0:34 offset1:35
	v_pk_add_f32 v[32:33], v[32:33], v[102:103] neg_lo:[0,1] neg_hi:[0,1]
	v_pk_add_f32 v[28:29], v[28:29], v[100:101] neg_lo:[0,1] neg_hi:[0,1]
	s_wait_dscnt 0x0
	v_pk_mul_f32 v[100:101], v[86:87], v[98:99] op_sel:[0,1]
	s_delay_alu instid0(VALU_DEP_1) | instskip(SKIP_1) | instid1(VALU_DEP_1)
	v_pk_fma_f32 v[102:103], v[86:87], v[96:97], v[100:101] op_sel:[0,0,1] op_sel_hi:[1,1,0] neg_lo:[0,0,1] neg_hi:[0,0,1]
	v_pk_fma_f32 v[86:87], v[86:87], v[96:97], v[100:101] op_sel:[0,0,1] op_sel_hi:[1,0,0]
	v_mov_b32_e32 v103, v87
	v_pk_mul_f32 v[86:87], v[88:89], v[98:99] op_sel:[0,1]
	s_delay_alu instid0(VALU_DEP_1) | instskip(SKIP_1) | instid1(VALU_DEP_1)
	v_pk_fma_f32 v[100:101], v[88:89], v[96:97], v[86:87] op_sel:[0,0,1] op_sel_hi:[1,1,0] neg_lo:[0,0,1] neg_hi:[0,0,1]
	v_pk_fma_f32 v[86:87], v[88:89], v[96:97], v[86:87] op_sel:[0,0,1] op_sel_hi:[1,0,0]
	v_mov_b32_e32 v101, v87
	ds_load_2addr_b64 v[86:89], v90 offset0:36 offset1:37
	v_pk_add_f32 v[30:31], v[30:31], v[102:103] neg_lo:[0,1] neg_hi:[0,1]
	v_pk_add_f32 v[8:9], v[8:9], v[100:101] neg_lo:[0,1] neg_hi:[0,1]
	s_wait_dscnt 0x0
	v_dual_mul_f32 v100, v87, v99 :: v_dual_mul_f32 v102, v87, v96
	s_delay_alu instid0(VALU_DEP_1) | instskip(NEXT) | instid1(VALU_DEP_2)
	v_pk_fma_f32 v[100:101], v[86:87], v[14:15], v[100:101] op_sel_hi:[1,1,0] neg_lo:[0,0,1] neg_hi:[0,0,1]
	v_pk_fma_f32 v[86:87], v[86:87], v[14:15], v[102:103] op_sel:[1,0,0] op_sel_hi:[0,1,0]
	s_delay_alu instid0(VALU_DEP_1) | instskip(SKIP_1) | instid1(VALU_DEP_2)
	v_mov_b32_e32 v101, v87
	v_pk_mul_f32 v[86:87], v[88:89], v[98:99] op_sel:[0,1]
	v_pk_add_f32 v[26:27], v[26:27], v[100:101] neg_lo:[0,1] neg_hi:[0,1]
	s_delay_alu instid0(VALU_DEP_2) | instskip(SKIP_1) | instid1(VALU_DEP_1)
	v_pk_fma_f32 v[100:101], v[88:89], v[96:97], v[86:87] op_sel:[0,0,1] op_sel_hi:[1,1,0] neg_lo:[0,0,1] neg_hi:[0,0,1]
	v_pk_fma_f32 v[86:87], v[88:89], v[96:97], v[86:87] op_sel:[0,0,1] op_sel_hi:[1,0,0]
	v_mov_b32_e32 v101, v87
	ds_load_2addr_b64 v[86:89], v90 offset0:38 offset1:39
	v_pk_add_f32 v[20:21], v[20:21], v[100:101] neg_lo:[0,1] neg_hi:[0,1]
	s_wait_dscnt 0x0
	v_pk_mul_f32 v[100:101], v[86:87], v[98:99] op_sel:[0,1]
	v_mul_f32_e32 v98, v89, v99
	s_delay_alu instid0(VALU_DEP_2) | instskip(SKIP_2) | instid1(VALU_DEP_4)
	v_pk_fma_f32 v[102:103], v[86:87], v[96:97], v[100:101] op_sel:[0,0,1] op_sel_hi:[1,1,0] neg_lo:[0,0,1] neg_hi:[0,0,1]
	v_pk_fma_f32 v[86:87], v[86:87], v[96:97], v[100:101] op_sel:[0,0,1] op_sel_hi:[1,0,0]
	v_mov_b32_e32 v86, v89
	v_pk_fma_f32 v[98:99], v[88:89], v[14:15], v[98:99] op_sel_hi:[1,1,0] neg_lo:[0,0,1] neg_hi:[0,0,1]
	s_delay_alu instid0(VALU_DEP_3) | instskip(SKIP_1) | instid1(VALU_DEP_2)
	v_dual_mov_b32 v103, v87 :: v_dual_mov_b32 v87, v88
	v_mul_f32_e32 v88, v89, v96
	v_pk_add_f32 v[18:19], v[18:19], v[102:103] neg_lo:[0,1] neg_hi:[0,1]
	s_delay_alu instid0(VALU_DEP_2) | instskip(NEXT) | instid1(VALU_DEP_1)
	v_pk_fma_f32 v[86:87], v[86:87], v[14:15], v[88:89] op_sel_hi:[1,1,0]
	v_mov_b32_e32 v99, v87
	s_delay_alu instid0(VALU_DEP_1)
	v_pk_add_f32 v[84:85], v[84:85], v[98:99] neg_lo:[0,1] neg_hi:[0,1]
.LBB78_587:
	s_or_b32 exec_lo, exec_lo, s0
	v_lshl_add_u32 v86, v94, 3, v90
	s_barrier_signal -1
	s_barrier_wait -1
	ds_store_b64 v86, v[38:39]
	s_wait_dscnt 0x0
	s_barrier_signal -1
	s_barrier_wait -1
	ds_load_b64 v[86:87], v90 offset:224
	v_mov_b32_e32 v88, 28
	s_cmp_lt_i32 s18, 30
	s_cbranch_scc1 .LBB78_590
; %bb.588:
	v_add3_u32 v89, v91, 0, 0xe8
	v_mov_b32_e32 v88, 28
	s_mov_b32 s0, 29
.LBB78_589:                             ; =>This Inner Loop Header: Depth=1
	ds_load_b64 v[96:97], v89
	s_wait_dscnt 0x1
	v_cmp_gt_f32_e32 vcc_lo, 0, v86
	v_cndmask_b32_e64 v98, v86, -v86, vcc_lo
	v_cmp_gt_f32_e32 vcc_lo, 0, v87
	v_cndmask_b32_e64 v100, v87, -v87, vcc_lo
	s_wait_dscnt 0x0
	v_cmp_gt_f32_e32 vcc_lo, 0, v96
	v_cndmask_b32_e64 v99, v96, -v96, vcc_lo
	v_cmp_gt_f32_e32 vcc_lo, 0, v97
	v_cndmask_b32_e64 v101, v97, -v97, vcc_lo
	s_delay_alu instid0(VALU_DEP_1) | instskip(NEXT) | instid1(VALU_DEP_1)
	v_pk_add_f32 v[98:99], v[98:99], v[100:101]
	v_cmp_lt_f32_e32 vcc_lo, v98, v99
	v_dual_cndmask_b32 v86, v86, v96 :: v_dual_add_nc_u32 v89, 8, v89
	v_cndmask_b32_e32 v87, v87, v97, vcc_lo
	v_cndmask_b32_e64 v88, v88, s0, vcc_lo
	s_add_co_i32 s0, s0, 1
	s_delay_alu instid0(SALU_CYCLE_1)
	s_cmp_lg_u32 s18, s0
	s_cbranch_scc1 .LBB78_589
.LBB78_590:
	s_wait_dscnt 0x0
	v_cmp_eq_f32_e32 vcc_lo, 0, v86
	v_cmp_eq_f32_e64 s0, 0, v87
	s_and_b32 s0, vcc_lo, s0
	s_delay_alu instid0(SALU_CYCLE_1) | instskip(NEXT) | instid1(SALU_CYCLE_1)
	s_and_saveexec_b32 s1, s0
	s_xor_b32 s0, exec_lo, s1
; %bb.591:
	v_cmp_ne_u32_e32 vcc_lo, 0, v92
	v_cndmask_b32_e32 v92, 29, v92, vcc_lo
; %bb.592:
	s_and_not1_saveexec_b32 s0, s0
	s_cbranch_execz .LBB78_598
; %bb.593:
	v_cmp_ngt_f32_e64 s1, |v86|, |v87|
	s_and_saveexec_b32 s12, s1
	s_delay_alu instid0(SALU_CYCLE_1)
	s_xor_b32 s1, exec_lo, s12
	s_cbranch_execz .LBB78_595
; %bb.594:
	v_div_scale_f32 v89, null, v87, v87, v86
	v_div_scale_f32 v97, vcc_lo, v86, v87, v86
	s_delay_alu instid0(VALU_DEP_2) | instskip(SKIP_1) | instid1(TRANS32_DEP_1)
	v_rcp_f32_e32 v95, v89
	v_nop
	v_fma_f32 v96, -v89, v95, 1.0
	s_delay_alu instid0(VALU_DEP_1) | instskip(NEXT) | instid1(VALU_DEP_1)
	v_fmac_f32_e32 v95, v96, v95
	v_mul_f32_e32 v96, v97, v95
	s_delay_alu instid0(VALU_DEP_1) | instskip(NEXT) | instid1(VALU_DEP_1)
	v_fma_f32 v98, -v89, v96, v97
	v_fmac_f32_e32 v96, v98, v95
	s_delay_alu instid0(VALU_DEP_1) | instskip(NEXT) | instid1(VALU_DEP_1)
	v_fma_f32 v89, -v89, v96, v97
	v_div_fmas_f32 v89, v89, v95, v96
	s_delay_alu instid0(VALU_DEP_1) | instskip(NEXT) | instid1(VALU_DEP_1)
	v_div_fixup_f32 v89, v89, v87, v86
	v_fmac_f32_e32 v87, v86, v89
	s_delay_alu instid0(VALU_DEP_1) | instskip(SKIP_1) | instid1(VALU_DEP_2)
	v_div_scale_f32 v86, null, v87, v87, 1.0
	v_div_scale_f32 v97, vcc_lo, 1.0, v87, 1.0
	v_rcp_f32_e32 v95, v86
	v_nop
	s_delay_alu instid0(TRANS32_DEP_1) | instskip(NEXT) | instid1(VALU_DEP_1)
	v_fma_f32 v96, -v86, v95, 1.0
	v_fmac_f32_e32 v95, v96, v95
	s_delay_alu instid0(VALU_DEP_1) | instskip(NEXT) | instid1(VALU_DEP_1)
	v_mul_f32_e32 v96, v97, v95
	v_fma_f32 v98, -v86, v96, v97
	s_delay_alu instid0(VALU_DEP_1) | instskip(NEXT) | instid1(VALU_DEP_1)
	v_fmac_f32_e32 v96, v98, v95
	v_fma_f32 v86, -v86, v96, v97
	s_delay_alu instid0(VALU_DEP_1) | instskip(NEXT) | instid1(VALU_DEP_1)
	v_div_fmas_f32 v86, v86, v95, v96
	v_div_fixup_f32 v87, v86, v87, 1.0
	s_delay_alu instid0(VALU_DEP_1)
	v_mul_f32_e32 v86, v89, v87
	v_xor_b32_e32 v87, 0x80000000, v87
.LBB78_595:
	s_and_not1_saveexec_b32 s1, s1
	s_cbranch_execz .LBB78_597
; %bb.596:
	s_delay_alu instid0(VALU_DEP_1) | instskip(SKIP_1) | instid1(VALU_DEP_2)
	v_div_scale_f32 v89, null, v86, v86, v87
	v_div_scale_f32 v97, vcc_lo, v87, v86, v87
	v_rcp_f32_e32 v95, v89
	v_nop
	s_delay_alu instid0(TRANS32_DEP_1) | instskip(NEXT) | instid1(VALU_DEP_1)
	v_fma_f32 v96, -v89, v95, 1.0
	v_fmac_f32_e32 v95, v96, v95
	s_delay_alu instid0(VALU_DEP_1) | instskip(NEXT) | instid1(VALU_DEP_1)
	v_mul_f32_e32 v96, v97, v95
	v_fma_f32 v98, -v89, v96, v97
	s_delay_alu instid0(VALU_DEP_1) | instskip(NEXT) | instid1(VALU_DEP_1)
	v_fmac_f32_e32 v96, v98, v95
	v_fma_f32 v89, -v89, v96, v97
	s_delay_alu instid0(VALU_DEP_1) | instskip(NEXT) | instid1(VALU_DEP_1)
	v_div_fmas_f32 v89, v89, v95, v96
	v_div_fixup_f32 v89, v89, v86, v87
	s_delay_alu instid0(VALU_DEP_1) | instskip(NEXT) | instid1(VALU_DEP_1)
	v_fmac_f32_e32 v86, v87, v89
	v_div_scale_f32 v87, null, v86, v86, 1.0
	s_delay_alu instid0(VALU_DEP_1) | instskip(SKIP_1) | instid1(TRANS32_DEP_1)
	v_rcp_f32_e32 v95, v87
	v_nop
	v_fma_f32 v96, -v87, v95, 1.0
	s_delay_alu instid0(VALU_DEP_1) | instskip(SKIP_1) | instid1(VALU_DEP_1)
	v_fmac_f32_e32 v95, v96, v95
	v_div_scale_f32 v96, vcc_lo, 1.0, v86, 1.0
	v_mul_f32_e32 v97, v96, v95
	s_delay_alu instid0(VALU_DEP_1) | instskip(NEXT) | instid1(VALU_DEP_1)
	v_fma_f32 v98, -v87, v97, v96
	v_fmac_f32_e32 v97, v98, v95
	s_delay_alu instid0(VALU_DEP_1) | instskip(NEXT) | instid1(VALU_DEP_1)
	v_fma_f32 v87, -v87, v97, v96
	v_div_fmas_f32 v87, v87, v95, v97
	s_delay_alu instid0(VALU_DEP_1) | instskip(NEXT) | instid1(VALU_DEP_1)
	v_div_fixup_f32 v86, v87, v86, 1.0
	v_mul_f32_e64 v87, v89, -v86
.LBB78_597:
	s_or_b32 exec_lo, exec_lo, s1
.LBB78_598:
	s_delay_alu instid0(SALU_CYCLE_1) | instskip(NEXT) | instid1(SALU_CYCLE_1)
	s_or_b32 exec_lo, exec_lo, s0
	s_mov_b32 s0, exec_lo
	v_cmpx_ne_u32_e64 v94, v88
	s_xor_b32 s0, exec_lo, s0
	s_cbranch_execz .LBB78_604
; %bb.599:
	s_mov_b32 s1, exec_lo
	v_cmpx_eq_u32_e32 28, v94
	s_cbranch_execz .LBB78_603
; %bb.600:
	v_cmp_ne_u32_e32 vcc_lo, 28, v88
	s_xor_b32 s12, s16, -1
	s_delay_alu instid0(SALU_CYCLE_1) | instskip(NEXT) | instid1(SALU_CYCLE_1)
	s_and_b32 s13, s12, vcc_lo
	s_and_saveexec_b32 s12, s13
	s_cbranch_execz .LBB78_602
; %bb.601:
	v_ashrrev_i32_e32 v89, 31, v88
	s_delay_alu instid0(VALU_DEP_1)
	v_lshl_add_u64 v[94:95], v[88:89], 2, v[4:5]
	s_clause 0x1
	global_load_b32 v89, v[94:95], off
	global_load_b32 v93, v[4:5], off offset:112
	s_wait_loadcnt 0x1
	global_store_b32 v[4:5], v89, off offset:112
	s_wait_loadcnt 0x0
	global_store_b32 v[94:95], v93, off
.LBB78_602:
	s_wait_xcnt 0x0
	s_or_b32 exec_lo, exec_lo, s12
	v_dual_mov_b32 v94, v88 :: v_dual_mov_b32 v93, v88
.LBB78_603:
	s_or_b32 exec_lo, exec_lo, s1
.LBB78_604:
	s_and_not1_saveexec_b32 s0, s0
	s_cbranch_execz .LBB78_606
; %bb.605:
	v_mov_b32_e32 v94, 28
	ds_store_2addr_b64 v90, v[34:35], v[36:37] offset0:29 offset1:30
	ds_store_2addr_b64 v90, v[6:7], v[32:33] offset0:31 offset1:32
	;; [unrolled: 1-line block ×5, first 2 shown]
	ds_store_b64 v90, v[84:85] offset:312
.LBB78_606:
	s_or_b32 exec_lo, exec_lo, s0
	s_delay_alu instid0(SALU_CYCLE_1)
	s_mov_b32 s0, exec_lo
	s_wait_storecnt_dscnt 0x0
	s_barrier_signal -1
	s_barrier_wait -1
	v_cmpx_lt_i32_e32 28, v94
	s_cbranch_execz .LBB78_608
; %bb.607:
	v_pk_mul_f32 v[88:89], v[86:87], v[38:39] op_sel:[1,1] op_sel_hi:[0,1]
	s_delay_alu instid0(VALU_DEP_1)
	v_pk_fma_f32 v[96:97], v[86:87], v[38:39], v[88:89] op_sel_hi:[1,0,1] neg_lo:[0,0,1] neg_hi:[0,0,1]
	v_pk_fma_f32 v[98:99], v[86:87], v[38:39], v[88:89] op_sel_hi:[1,0,1]
	ds_load_2addr_b64 v[86:89], v90 offset0:29 offset1:30
	v_dual_mov_b32 v38, v96 :: v_dual_mov_b32 v39, v99
	s_wait_dscnt 0x0
	v_pk_mul_f32 v[100:101], v[86:87], v[98:99] op_sel:[0,1]
	s_delay_alu instid0(VALU_DEP_1) | instskip(SKIP_1) | instid1(VALU_DEP_1)
	v_pk_fma_f32 v[102:103], v[86:87], v[96:97], v[100:101] op_sel:[0,0,1] op_sel_hi:[1,1,0] neg_lo:[0,0,1] neg_hi:[0,0,1]
	v_pk_fma_f32 v[86:87], v[86:87], v[96:97], v[100:101] op_sel:[0,0,1] op_sel_hi:[1,0,0]
	v_mov_b32_e32 v103, v87
	v_pk_mul_f32 v[86:87], v[88:89], v[98:99] op_sel:[0,1]
	s_delay_alu instid0(VALU_DEP_1) | instskip(SKIP_1) | instid1(VALU_DEP_1)
	v_pk_fma_f32 v[100:101], v[88:89], v[96:97], v[86:87] op_sel:[0,0,1] op_sel_hi:[1,1,0] neg_lo:[0,0,1] neg_hi:[0,0,1]
	v_pk_fma_f32 v[86:87], v[88:89], v[96:97], v[86:87] op_sel:[0,0,1] op_sel_hi:[1,0,0]
	v_mov_b32_e32 v101, v87
	ds_load_2addr_b64 v[86:89], v90 offset0:31 offset1:32
	v_pk_add_f32 v[34:35], v[34:35], v[102:103] neg_lo:[0,1] neg_hi:[0,1]
	v_pk_add_f32 v[36:37], v[36:37], v[100:101] neg_lo:[0,1] neg_hi:[0,1]
	s_wait_dscnt 0x0
	v_pk_mul_f32 v[100:101], v[86:87], v[98:99] op_sel:[0,1]
	s_delay_alu instid0(VALU_DEP_1) | instskip(SKIP_2) | instid1(VALU_DEP_2)
	v_pk_fma_f32 v[102:103], v[86:87], v[96:97], v[100:101] op_sel:[0,0,1] op_sel_hi:[1,1,0] neg_lo:[0,0,1] neg_hi:[0,0,1]
	v_pk_fma_f32 v[86:87], v[86:87], v[96:97], v[100:101] op_sel:[0,0,1] op_sel_hi:[1,0,0]
	v_dual_mul_f32 v100, v89, v99 :: v_dual_mov_b32 v86, v89
	v_dual_mov_b32 v103, v87 :: v_dual_mov_b32 v87, v88
	s_delay_alu instid0(VALU_DEP_2) | instskip(SKIP_1) | instid1(VALU_DEP_3)
	v_pk_fma_f32 v[100:101], v[88:89], v[38:39], v[100:101] op_sel_hi:[1,1,0] neg_lo:[0,0,1] neg_hi:[0,0,1]
	v_mul_f32_e32 v88, v89, v96
	v_pk_add_f32 v[6:7], v[6:7], v[102:103] neg_lo:[0,1] neg_hi:[0,1]
	s_delay_alu instid0(VALU_DEP_2) | instskip(NEXT) | instid1(VALU_DEP_1)
	v_pk_fma_f32 v[86:87], v[86:87], v[38:39], v[88:89] op_sel_hi:[1,1,0]
	v_mov_b32_e32 v101, v87
	ds_load_2addr_b64 v[86:89], v90 offset0:33 offset1:34
	v_pk_add_f32 v[32:33], v[32:33], v[100:101] neg_lo:[0,1] neg_hi:[0,1]
	s_wait_dscnt 0x0
	v_pk_mul_f32 v[100:101], v[86:87], v[98:99] op_sel:[0,1]
	s_delay_alu instid0(VALU_DEP_1) | instskip(SKIP_1) | instid1(VALU_DEP_1)
	v_pk_fma_f32 v[102:103], v[86:87], v[96:97], v[100:101] op_sel:[0,0,1] op_sel_hi:[1,1,0] neg_lo:[0,0,1] neg_hi:[0,0,1]
	v_pk_fma_f32 v[86:87], v[86:87], v[96:97], v[100:101] op_sel:[0,0,1] op_sel_hi:[1,0,0]
	v_mov_b32_e32 v103, v87
	v_pk_mul_f32 v[86:87], v[88:89], v[98:99] op_sel:[0,1]
	s_delay_alu instid0(VALU_DEP_1) | instskip(SKIP_1) | instid1(VALU_DEP_1)
	v_pk_fma_f32 v[100:101], v[88:89], v[96:97], v[86:87] op_sel:[0,0,1] op_sel_hi:[1,1,0] neg_lo:[0,0,1] neg_hi:[0,0,1]
	v_pk_fma_f32 v[86:87], v[88:89], v[96:97], v[86:87] op_sel:[0,0,1] op_sel_hi:[1,0,0]
	v_mov_b32_e32 v101, v87
	ds_load_2addr_b64 v[86:89], v90 offset0:35 offset1:36
	v_pk_add_f32 v[28:29], v[28:29], v[102:103] neg_lo:[0,1] neg_hi:[0,1]
	v_pk_add_f32 v[30:31], v[30:31], v[100:101] neg_lo:[0,1] neg_hi:[0,1]
	s_wait_dscnt 0x0
	v_pk_mul_f32 v[100:101], v[86:87], v[98:99] op_sel:[0,1]
	s_delay_alu instid0(VALU_DEP_1) | instskip(SKIP_1) | instid1(VALU_DEP_1)
	v_pk_fma_f32 v[102:103], v[86:87], v[96:97], v[100:101] op_sel:[0,0,1] op_sel_hi:[1,1,0] neg_lo:[0,0,1] neg_hi:[0,0,1]
	v_pk_fma_f32 v[86:87], v[86:87], v[96:97], v[100:101] op_sel:[0,0,1] op_sel_hi:[1,0,0]
	v_mov_b32_e32 v103, v87
	v_pk_mul_f32 v[86:87], v[88:89], v[98:99] op_sel:[0,1]
	s_delay_alu instid0(VALU_DEP_1) | instskip(SKIP_1) | instid1(VALU_DEP_1)
	v_pk_fma_f32 v[100:101], v[88:89], v[96:97], v[86:87] op_sel:[0,0,1] op_sel_hi:[1,1,0] neg_lo:[0,0,1] neg_hi:[0,0,1]
	v_pk_fma_f32 v[86:87], v[88:89], v[96:97], v[86:87] op_sel:[0,0,1] op_sel_hi:[1,0,0]
	v_mov_b32_e32 v101, v87
	ds_load_2addr_b64 v[86:89], v90 offset0:37 offset1:38
	v_pk_add_f32 v[8:9], v[8:9], v[102:103] neg_lo:[0,1] neg_hi:[0,1]
	v_pk_add_f32 v[26:27], v[26:27], v[100:101] neg_lo:[0,1] neg_hi:[0,1]
	s_wait_dscnt 0x0
	v_dual_mul_f32 v100, v87, v99 :: v_dual_mul_f32 v102, v87, v96
	s_delay_alu instid0(VALU_DEP_1) | instskip(NEXT) | instid1(VALU_DEP_2)
	v_pk_fma_f32 v[100:101], v[86:87], v[38:39], v[100:101] op_sel_hi:[1,1,0] neg_lo:[0,0,1] neg_hi:[0,0,1]
	v_pk_fma_f32 v[86:87], v[86:87], v[38:39], v[102:103] op_sel:[1,0,0] op_sel_hi:[0,1,0]
	s_delay_alu instid0(VALU_DEP_1) | instskip(SKIP_1) | instid1(VALU_DEP_2)
	v_mov_b32_e32 v101, v87
	v_pk_mul_f32 v[86:87], v[88:89], v[98:99] op_sel:[0,1]
	v_pk_add_f32 v[20:21], v[20:21], v[100:101] neg_lo:[0,1] neg_hi:[0,1]
	s_delay_alu instid0(VALU_DEP_2) | instskip(SKIP_1) | instid1(VALU_DEP_1)
	v_pk_fma_f32 v[100:101], v[88:89], v[96:97], v[86:87] op_sel:[0,0,1] op_sel_hi:[1,1,0] neg_lo:[0,0,1] neg_hi:[0,0,1]
	v_pk_fma_f32 v[86:87], v[88:89], v[96:97], v[86:87] op_sel:[0,0,1] op_sel_hi:[1,0,0]
	v_mov_b32_e32 v101, v87
	ds_load_b64 v[86:87], v90 offset:312
	v_pk_add_f32 v[18:19], v[18:19], v[100:101] neg_lo:[0,1] neg_hi:[0,1]
	s_wait_dscnt 0x0
	v_pk_mul_f32 v[88:89], v[86:87], v[98:99] op_sel:[0,1]
	s_delay_alu instid0(VALU_DEP_1) | instskip(SKIP_1) | instid1(VALU_DEP_1)
	v_pk_fma_f32 v[98:99], v[86:87], v[96:97], v[88:89] op_sel:[0,0,1] op_sel_hi:[1,1,0] neg_lo:[0,0,1] neg_hi:[0,0,1]
	v_pk_fma_f32 v[86:87], v[86:87], v[96:97], v[88:89] op_sel:[0,0,1] op_sel_hi:[1,0,0]
	v_mov_b32_e32 v99, v87
	s_delay_alu instid0(VALU_DEP_1)
	v_pk_add_f32 v[84:85], v[84:85], v[98:99] neg_lo:[0,1] neg_hi:[0,1]
.LBB78_608:
	s_or_b32 exec_lo, exec_lo, s0
	v_lshl_add_u32 v86, v94, 3, v90
	s_barrier_signal -1
	s_barrier_wait -1
	ds_store_b64 v86, v[34:35]
	s_wait_dscnt 0x0
	s_barrier_signal -1
	s_barrier_wait -1
	ds_load_b64 v[86:87], v90 offset:232
	v_mov_b32_e32 v88, 29
	s_cmp_lt_i32 s18, 31
	s_cbranch_scc1 .LBB78_611
; %bb.609:
	v_add3_u32 v89, v91, 0, 0xf0
	v_mov_b32_e32 v88, 29
	s_mov_b32 s0, 30
.LBB78_610:                             ; =>This Inner Loop Header: Depth=1
	ds_load_b64 v[96:97], v89
	s_wait_dscnt 0x1
	v_cmp_gt_f32_e32 vcc_lo, 0, v86
	v_cndmask_b32_e64 v98, v86, -v86, vcc_lo
	v_cmp_gt_f32_e32 vcc_lo, 0, v87
	v_cndmask_b32_e64 v100, v87, -v87, vcc_lo
	s_wait_dscnt 0x0
	v_cmp_gt_f32_e32 vcc_lo, 0, v96
	v_cndmask_b32_e64 v99, v96, -v96, vcc_lo
	v_cmp_gt_f32_e32 vcc_lo, 0, v97
	v_cndmask_b32_e64 v101, v97, -v97, vcc_lo
	s_delay_alu instid0(VALU_DEP_1) | instskip(NEXT) | instid1(VALU_DEP_1)
	v_pk_add_f32 v[98:99], v[98:99], v[100:101]
	v_cmp_lt_f32_e32 vcc_lo, v98, v99
	v_dual_cndmask_b32 v86, v86, v96 :: v_dual_add_nc_u32 v89, 8, v89
	v_cndmask_b32_e32 v87, v87, v97, vcc_lo
	v_cndmask_b32_e64 v88, v88, s0, vcc_lo
	s_add_co_i32 s0, s0, 1
	s_delay_alu instid0(SALU_CYCLE_1)
	s_cmp_lg_u32 s18, s0
	s_cbranch_scc1 .LBB78_610
.LBB78_611:
	s_wait_dscnt 0x0
	v_cmp_eq_f32_e32 vcc_lo, 0, v86
	v_cmp_eq_f32_e64 s0, 0, v87
	s_and_b32 s0, vcc_lo, s0
	s_delay_alu instid0(SALU_CYCLE_1) | instskip(NEXT) | instid1(SALU_CYCLE_1)
	s_and_saveexec_b32 s1, s0
	s_xor_b32 s0, exec_lo, s1
; %bb.612:
	v_cmp_ne_u32_e32 vcc_lo, 0, v92
	v_cndmask_b32_e32 v92, 30, v92, vcc_lo
; %bb.613:
	s_and_not1_saveexec_b32 s0, s0
	s_cbranch_execz .LBB78_619
; %bb.614:
	v_cmp_ngt_f32_e64 s1, |v86|, |v87|
	s_and_saveexec_b32 s12, s1
	s_delay_alu instid0(SALU_CYCLE_1)
	s_xor_b32 s1, exec_lo, s12
	s_cbranch_execz .LBB78_616
; %bb.615:
	v_div_scale_f32 v89, null, v87, v87, v86
	v_div_scale_f32 v97, vcc_lo, v86, v87, v86
	s_delay_alu instid0(VALU_DEP_2) | instskip(SKIP_1) | instid1(TRANS32_DEP_1)
	v_rcp_f32_e32 v95, v89
	v_nop
	v_fma_f32 v96, -v89, v95, 1.0
	s_delay_alu instid0(VALU_DEP_1) | instskip(NEXT) | instid1(VALU_DEP_1)
	v_fmac_f32_e32 v95, v96, v95
	v_mul_f32_e32 v96, v97, v95
	s_delay_alu instid0(VALU_DEP_1) | instskip(NEXT) | instid1(VALU_DEP_1)
	v_fma_f32 v98, -v89, v96, v97
	v_fmac_f32_e32 v96, v98, v95
	s_delay_alu instid0(VALU_DEP_1) | instskip(NEXT) | instid1(VALU_DEP_1)
	v_fma_f32 v89, -v89, v96, v97
	v_div_fmas_f32 v89, v89, v95, v96
	s_delay_alu instid0(VALU_DEP_1) | instskip(NEXT) | instid1(VALU_DEP_1)
	v_div_fixup_f32 v89, v89, v87, v86
	v_fmac_f32_e32 v87, v86, v89
	s_delay_alu instid0(VALU_DEP_1) | instskip(SKIP_1) | instid1(VALU_DEP_2)
	v_div_scale_f32 v86, null, v87, v87, 1.0
	v_div_scale_f32 v97, vcc_lo, 1.0, v87, 1.0
	v_rcp_f32_e32 v95, v86
	v_nop
	s_delay_alu instid0(TRANS32_DEP_1) | instskip(NEXT) | instid1(VALU_DEP_1)
	v_fma_f32 v96, -v86, v95, 1.0
	v_fmac_f32_e32 v95, v96, v95
	s_delay_alu instid0(VALU_DEP_1) | instskip(NEXT) | instid1(VALU_DEP_1)
	v_mul_f32_e32 v96, v97, v95
	v_fma_f32 v98, -v86, v96, v97
	s_delay_alu instid0(VALU_DEP_1) | instskip(NEXT) | instid1(VALU_DEP_1)
	v_fmac_f32_e32 v96, v98, v95
	v_fma_f32 v86, -v86, v96, v97
	s_delay_alu instid0(VALU_DEP_1) | instskip(NEXT) | instid1(VALU_DEP_1)
	v_div_fmas_f32 v86, v86, v95, v96
	v_div_fixup_f32 v87, v86, v87, 1.0
	s_delay_alu instid0(VALU_DEP_1)
	v_mul_f32_e32 v86, v89, v87
	v_xor_b32_e32 v87, 0x80000000, v87
.LBB78_616:
	s_and_not1_saveexec_b32 s1, s1
	s_cbranch_execz .LBB78_618
; %bb.617:
	s_delay_alu instid0(VALU_DEP_1) | instskip(SKIP_1) | instid1(VALU_DEP_2)
	v_div_scale_f32 v89, null, v86, v86, v87
	v_div_scale_f32 v97, vcc_lo, v87, v86, v87
	v_rcp_f32_e32 v95, v89
	v_nop
	s_delay_alu instid0(TRANS32_DEP_1) | instskip(NEXT) | instid1(VALU_DEP_1)
	v_fma_f32 v96, -v89, v95, 1.0
	v_fmac_f32_e32 v95, v96, v95
	s_delay_alu instid0(VALU_DEP_1) | instskip(NEXT) | instid1(VALU_DEP_1)
	v_mul_f32_e32 v96, v97, v95
	v_fma_f32 v98, -v89, v96, v97
	s_delay_alu instid0(VALU_DEP_1) | instskip(NEXT) | instid1(VALU_DEP_1)
	v_fmac_f32_e32 v96, v98, v95
	v_fma_f32 v89, -v89, v96, v97
	s_delay_alu instid0(VALU_DEP_1) | instskip(NEXT) | instid1(VALU_DEP_1)
	v_div_fmas_f32 v89, v89, v95, v96
	v_div_fixup_f32 v89, v89, v86, v87
	s_delay_alu instid0(VALU_DEP_1) | instskip(NEXT) | instid1(VALU_DEP_1)
	v_fmac_f32_e32 v86, v87, v89
	v_div_scale_f32 v87, null, v86, v86, 1.0
	s_delay_alu instid0(VALU_DEP_1) | instskip(SKIP_1) | instid1(TRANS32_DEP_1)
	v_rcp_f32_e32 v95, v87
	v_nop
	v_fma_f32 v96, -v87, v95, 1.0
	s_delay_alu instid0(VALU_DEP_1) | instskip(SKIP_1) | instid1(VALU_DEP_1)
	v_fmac_f32_e32 v95, v96, v95
	v_div_scale_f32 v96, vcc_lo, 1.0, v86, 1.0
	v_mul_f32_e32 v97, v96, v95
	s_delay_alu instid0(VALU_DEP_1) | instskip(NEXT) | instid1(VALU_DEP_1)
	v_fma_f32 v98, -v87, v97, v96
	v_fmac_f32_e32 v97, v98, v95
	s_delay_alu instid0(VALU_DEP_1) | instskip(NEXT) | instid1(VALU_DEP_1)
	v_fma_f32 v87, -v87, v97, v96
	v_div_fmas_f32 v87, v87, v95, v97
	s_delay_alu instid0(VALU_DEP_1) | instskip(NEXT) | instid1(VALU_DEP_1)
	v_div_fixup_f32 v86, v87, v86, 1.0
	v_mul_f32_e64 v87, v89, -v86
.LBB78_618:
	s_or_b32 exec_lo, exec_lo, s1
.LBB78_619:
	s_delay_alu instid0(SALU_CYCLE_1) | instskip(NEXT) | instid1(SALU_CYCLE_1)
	s_or_b32 exec_lo, exec_lo, s0
	s_mov_b32 s0, exec_lo
	v_cmpx_ne_u32_e64 v94, v88
	s_xor_b32 s0, exec_lo, s0
	s_cbranch_execz .LBB78_625
; %bb.620:
	s_mov_b32 s1, exec_lo
	v_cmpx_eq_u32_e32 29, v94
	s_cbranch_execz .LBB78_624
; %bb.621:
	v_cmp_ne_u32_e32 vcc_lo, 29, v88
	s_xor_b32 s12, s16, -1
	s_delay_alu instid0(SALU_CYCLE_1) | instskip(NEXT) | instid1(SALU_CYCLE_1)
	s_and_b32 s13, s12, vcc_lo
	s_and_saveexec_b32 s12, s13
	s_cbranch_execz .LBB78_623
; %bb.622:
	v_ashrrev_i32_e32 v89, 31, v88
	s_delay_alu instid0(VALU_DEP_1)
	v_lshl_add_u64 v[94:95], v[88:89], 2, v[4:5]
	s_clause 0x1
	global_load_b32 v89, v[94:95], off
	global_load_b32 v93, v[4:5], off offset:116
	s_wait_loadcnt 0x1
	global_store_b32 v[4:5], v89, off offset:116
	s_wait_loadcnt 0x0
	global_store_b32 v[94:95], v93, off
.LBB78_623:
	s_wait_xcnt 0x0
	s_or_b32 exec_lo, exec_lo, s12
	v_dual_mov_b32 v94, v88 :: v_dual_mov_b32 v93, v88
.LBB78_624:
	s_or_b32 exec_lo, exec_lo, s1
.LBB78_625:
	s_and_not1_saveexec_b32 s0, s0
	s_cbranch_execz .LBB78_627
; %bb.626:
	v_dual_mov_b32 v88, v36 :: v_dual_mov_b32 v89, v37
	v_dual_mov_b32 v96, v6 :: v_dual_mov_b32 v97, v7
	;; [unrolled: 1-line block ×9, first 2 shown]
	v_mov_b32_e32 v111, v19
	ds_store_2addr_b64 v90, v[88:89], v[96:97] offset0:30 offset1:31
	ds_store_2addr_b64 v90, v[98:99], v[100:101] offset0:32 offset1:33
	;; [unrolled: 1-line block ×5, first 2 shown]
.LBB78_627:
	s_or_b32 exec_lo, exec_lo, s0
	s_delay_alu instid0(SALU_CYCLE_1)
	s_mov_b32 s0, exec_lo
	s_wait_storecnt_dscnt 0x0
	s_barrier_signal -1
	s_barrier_wait -1
	v_cmpx_lt_i32_e32 29, v94
	s_cbranch_execz .LBB78_629
; %bb.628:
	v_pk_mul_f32 v[88:89], v[86:87], v[34:35] op_sel:[1,1] op_sel_hi:[0,1]
	s_delay_alu instid0(VALU_DEP_1)
	v_pk_fma_f32 v[96:97], v[86:87], v[34:35], v[88:89] op_sel_hi:[1,0,1] neg_lo:[0,0,1] neg_hi:[0,0,1]
	v_pk_fma_f32 v[98:99], v[86:87], v[34:35], v[88:89] op_sel_hi:[1,0,1]
	ds_load_2addr_b64 v[86:89], v90 offset0:30 offset1:31
	v_dual_mov_b32 v34, v96 :: v_dual_mov_b32 v35, v99
	s_wait_dscnt 0x0
	v_pk_mul_f32 v[100:101], v[86:87], v[98:99] op_sel:[0,1]
	s_delay_alu instid0(VALU_DEP_1) | instskip(SKIP_1) | instid1(VALU_DEP_1)
	v_pk_fma_f32 v[102:103], v[86:87], v[96:97], v[100:101] op_sel:[0,0,1] op_sel_hi:[1,1,0] neg_lo:[0,0,1] neg_hi:[0,0,1]
	v_pk_fma_f32 v[86:87], v[86:87], v[96:97], v[100:101] op_sel:[0,0,1] op_sel_hi:[1,0,0]
	v_mov_b32_e32 v103, v87
	v_pk_mul_f32 v[86:87], v[88:89], v[98:99] op_sel:[0,1]
	s_delay_alu instid0(VALU_DEP_1) | instskip(SKIP_1) | instid1(VALU_DEP_1)
	v_pk_fma_f32 v[100:101], v[88:89], v[96:97], v[86:87] op_sel:[0,0,1] op_sel_hi:[1,1,0] neg_lo:[0,0,1] neg_hi:[0,0,1]
	v_pk_fma_f32 v[86:87], v[88:89], v[96:97], v[86:87] op_sel:[0,0,1] op_sel_hi:[1,0,0]
	v_mov_b32_e32 v101, v87
	ds_load_2addr_b64 v[86:89], v90 offset0:32 offset1:33
	v_pk_add_f32 v[36:37], v[36:37], v[102:103] neg_lo:[0,1] neg_hi:[0,1]
	v_pk_add_f32 v[6:7], v[6:7], v[100:101] neg_lo:[0,1] neg_hi:[0,1]
	s_wait_dscnt 0x0
	v_pk_mul_f32 v[100:101], v[86:87], v[98:99] op_sel:[0,1]
	s_delay_alu instid0(VALU_DEP_1) | instskip(SKIP_2) | instid1(VALU_DEP_2)
	v_pk_fma_f32 v[102:103], v[86:87], v[96:97], v[100:101] op_sel:[0,0,1] op_sel_hi:[1,1,0] neg_lo:[0,0,1] neg_hi:[0,0,1]
	v_pk_fma_f32 v[86:87], v[86:87], v[96:97], v[100:101] op_sel:[0,0,1] op_sel_hi:[1,0,0]
	v_dual_mul_f32 v100, v89, v99 :: v_dual_mov_b32 v86, v89
	v_dual_mov_b32 v103, v87 :: v_dual_mov_b32 v87, v88
	s_delay_alu instid0(VALU_DEP_2) | instskip(SKIP_1) | instid1(VALU_DEP_3)
	v_pk_fma_f32 v[100:101], v[88:89], v[34:35], v[100:101] op_sel_hi:[1,1,0] neg_lo:[0,0,1] neg_hi:[0,0,1]
	v_mul_f32_e32 v88, v89, v96
	v_pk_add_f32 v[32:33], v[32:33], v[102:103] neg_lo:[0,1] neg_hi:[0,1]
	s_delay_alu instid0(VALU_DEP_2) | instskip(NEXT) | instid1(VALU_DEP_1)
	v_pk_fma_f32 v[86:87], v[86:87], v[34:35], v[88:89] op_sel_hi:[1,1,0]
	v_mov_b32_e32 v101, v87
	ds_load_2addr_b64 v[86:89], v90 offset0:34 offset1:35
	v_pk_add_f32 v[28:29], v[28:29], v[100:101] neg_lo:[0,1] neg_hi:[0,1]
	s_wait_dscnt 0x0
	v_pk_mul_f32 v[100:101], v[86:87], v[98:99] op_sel:[0,1]
	s_delay_alu instid0(VALU_DEP_1) | instskip(SKIP_1) | instid1(VALU_DEP_1)
	v_pk_fma_f32 v[102:103], v[86:87], v[96:97], v[100:101] op_sel:[0,0,1] op_sel_hi:[1,1,0] neg_lo:[0,0,1] neg_hi:[0,0,1]
	v_pk_fma_f32 v[86:87], v[86:87], v[96:97], v[100:101] op_sel:[0,0,1] op_sel_hi:[1,0,0]
	v_mov_b32_e32 v103, v87
	v_pk_mul_f32 v[86:87], v[88:89], v[98:99] op_sel:[0,1]
	s_delay_alu instid0(VALU_DEP_1) | instskip(SKIP_1) | instid1(VALU_DEP_1)
	v_pk_fma_f32 v[100:101], v[88:89], v[96:97], v[86:87] op_sel:[0,0,1] op_sel_hi:[1,1,0] neg_lo:[0,0,1] neg_hi:[0,0,1]
	v_pk_fma_f32 v[86:87], v[88:89], v[96:97], v[86:87] op_sel:[0,0,1] op_sel_hi:[1,0,0]
	v_mov_b32_e32 v101, v87
	ds_load_2addr_b64 v[86:89], v90 offset0:36 offset1:37
	v_pk_add_f32 v[30:31], v[30:31], v[102:103] neg_lo:[0,1] neg_hi:[0,1]
	v_pk_add_f32 v[8:9], v[8:9], v[100:101] neg_lo:[0,1] neg_hi:[0,1]
	s_wait_dscnt 0x0
	v_pk_mul_f32 v[100:101], v[86:87], v[98:99] op_sel:[0,1]
	s_delay_alu instid0(VALU_DEP_1) | instskip(SKIP_1) | instid1(VALU_DEP_1)
	v_pk_fma_f32 v[102:103], v[86:87], v[96:97], v[100:101] op_sel:[0,0,1] op_sel_hi:[1,1,0] neg_lo:[0,0,1] neg_hi:[0,0,1]
	v_pk_fma_f32 v[86:87], v[86:87], v[96:97], v[100:101] op_sel:[0,0,1] op_sel_hi:[1,0,0]
	v_mov_b32_e32 v103, v87
	v_pk_mul_f32 v[86:87], v[88:89], v[98:99] op_sel:[0,1]
	s_delay_alu instid0(VALU_DEP_1) | instskip(SKIP_1) | instid1(VALU_DEP_1)
	v_pk_fma_f32 v[100:101], v[88:89], v[96:97], v[86:87] op_sel:[0,0,1] op_sel_hi:[1,1,0] neg_lo:[0,0,1] neg_hi:[0,0,1]
	v_pk_fma_f32 v[86:87], v[88:89], v[96:97], v[86:87] op_sel:[0,0,1] op_sel_hi:[1,0,0]
	v_mov_b32_e32 v101, v87
	ds_load_2addr_b64 v[86:89], v90 offset0:38 offset1:39
	v_pk_add_f32 v[26:27], v[26:27], v[102:103] neg_lo:[0,1] neg_hi:[0,1]
	v_pk_add_f32 v[20:21], v[20:21], v[100:101] neg_lo:[0,1] neg_hi:[0,1]
	s_wait_dscnt 0x0
	v_dual_mul_f32 v100, v87, v99 :: v_dual_mul_f32 v102, v87, v96
	s_delay_alu instid0(VALU_DEP_1) | instskip(NEXT) | instid1(VALU_DEP_2)
	v_pk_fma_f32 v[100:101], v[86:87], v[34:35], v[100:101] op_sel_hi:[1,1,0] neg_lo:[0,0,1] neg_hi:[0,0,1]
	v_pk_fma_f32 v[86:87], v[86:87], v[34:35], v[102:103] op_sel:[1,0,0] op_sel_hi:[0,1,0]
	s_delay_alu instid0(VALU_DEP_1) | instskip(SKIP_1) | instid1(VALU_DEP_1)
	v_mov_b32_e32 v101, v87
	v_pk_mul_f32 v[86:87], v[88:89], v[98:99] op_sel:[0,1]
	v_pk_fma_f32 v[98:99], v[88:89], v[96:97], v[86:87] op_sel:[0,0,1] op_sel_hi:[1,1,0] neg_lo:[0,0,1] neg_hi:[0,0,1]
	v_pk_fma_f32 v[86:87], v[88:89], v[96:97], v[86:87] op_sel:[0,0,1] op_sel_hi:[1,0,0]
	s_delay_alu instid0(VALU_DEP_1) | instskip(SKIP_1) | instid1(VALU_DEP_2)
	v_mov_b32_e32 v99, v87
	v_pk_add_f32 v[18:19], v[18:19], v[100:101] neg_lo:[0,1] neg_hi:[0,1]
	v_pk_add_f32 v[84:85], v[84:85], v[98:99] neg_lo:[0,1] neg_hi:[0,1]
.LBB78_629:
	s_or_b32 exec_lo, exec_lo, s0
	v_lshl_add_u32 v86, v94, 3, v90
	s_barrier_signal -1
	s_barrier_wait -1
	ds_store_b64 v86, v[36:37]
	s_wait_dscnt 0x0
	s_barrier_signal -1
	s_barrier_wait -1
	ds_load_b64 v[86:87], v90 offset:240
	v_mov_b32_e32 v88, 30
	s_cmp_lt_i32 s18, 32
	s_cbranch_scc1 .LBB78_632
; %bb.630:
	v_add3_u32 v89, v91, 0, 0xf8
	v_mov_b32_e32 v88, 30
	s_mov_b32 s0, 31
.LBB78_631:                             ; =>This Inner Loop Header: Depth=1
	ds_load_b64 v[96:97], v89
	s_wait_dscnt 0x1
	v_cmp_gt_f32_e32 vcc_lo, 0, v86
	v_cndmask_b32_e64 v98, v86, -v86, vcc_lo
	v_cmp_gt_f32_e32 vcc_lo, 0, v87
	v_cndmask_b32_e64 v100, v87, -v87, vcc_lo
	s_wait_dscnt 0x0
	v_cmp_gt_f32_e32 vcc_lo, 0, v96
	v_cndmask_b32_e64 v99, v96, -v96, vcc_lo
	v_cmp_gt_f32_e32 vcc_lo, 0, v97
	v_cndmask_b32_e64 v101, v97, -v97, vcc_lo
	s_delay_alu instid0(VALU_DEP_1) | instskip(NEXT) | instid1(VALU_DEP_1)
	v_pk_add_f32 v[98:99], v[98:99], v[100:101]
	v_cmp_lt_f32_e32 vcc_lo, v98, v99
	v_dual_cndmask_b32 v86, v86, v96 :: v_dual_add_nc_u32 v89, 8, v89
	v_cndmask_b32_e32 v87, v87, v97, vcc_lo
	v_cndmask_b32_e64 v88, v88, s0, vcc_lo
	s_add_co_i32 s0, s0, 1
	s_delay_alu instid0(SALU_CYCLE_1)
	s_cmp_lg_u32 s18, s0
	s_cbranch_scc1 .LBB78_631
.LBB78_632:
	s_wait_dscnt 0x0
	v_cmp_eq_f32_e32 vcc_lo, 0, v86
	v_cmp_eq_f32_e64 s0, 0, v87
	s_and_b32 s0, vcc_lo, s0
	s_delay_alu instid0(SALU_CYCLE_1) | instskip(NEXT) | instid1(SALU_CYCLE_1)
	s_and_saveexec_b32 s1, s0
	s_xor_b32 s0, exec_lo, s1
; %bb.633:
	v_cmp_ne_u32_e32 vcc_lo, 0, v92
	v_cndmask_b32_e32 v92, 31, v92, vcc_lo
; %bb.634:
	s_and_not1_saveexec_b32 s0, s0
	s_cbranch_execz .LBB78_640
; %bb.635:
	v_cmp_ngt_f32_e64 s1, |v86|, |v87|
	s_and_saveexec_b32 s12, s1
	s_delay_alu instid0(SALU_CYCLE_1)
	s_xor_b32 s1, exec_lo, s12
	s_cbranch_execz .LBB78_637
; %bb.636:
	v_div_scale_f32 v89, null, v87, v87, v86
	v_div_scale_f32 v97, vcc_lo, v86, v87, v86
	s_delay_alu instid0(VALU_DEP_2) | instskip(SKIP_1) | instid1(TRANS32_DEP_1)
	v_rcp_f32_e32 v95, v89
	v_nop
	v_fma_f32 v96, -v89, v95, 1.0
	s_delay_alu instid0(VALU_DEP_1) | instskip(NEXT) | instid1(VALU_DEP_1)
	v_fmac_f32_e32 v95, v96, v95
	v_mul_f32_e32 v96, v97, v95
	s_delay_alu instid0(VALU_DEP_1) | instskip(NEXT) | instid1(VALU_DEP_1)
	v_fma_f32 v98, -v89, v96, v97
	v_fmac_f32_e32 v96, v98, v95
	s_delay_alu instid0(VALU_DEP_1) | instskip(NEXT) | instid1(VALU_DEP_1)
	v_fma_f32 v89, -v89, v96, v97
	v_div_fmas_f32 v89, v89, v95, v96
	s_delay_alu instid0(VALU_DEP_1) | instskip(NEXT) | instid1(VALU_DEP_1)
	v_div_fixup_f32 v89, v89, v87, v86
	v_fmac_f32_e32 v87, v86, v89
	s_delay_alu instid0(VALU_DEP_1) | instskip(SKIP_1) | instid1(VALU_DEP_2)
	v_div_scale_f32 v86, null, v87, v87, 1.0
	v_div_scale_f32 v97, vcc_lo, 1.0, v87, 1.0
	v_rcp_f32_e32 v95, v86
	v_nop
	s_delay_alu instid0(TRANS32_DEP_1) | instskip(NEXT) | instid1(VALU_DEP_1)
	v_fma_f32 v96, -v86, v95, 1.0
	v_fmac_f32_e32 v95, v96, v95
	s_delay_alu instid0(VALU_DEP_1) | instskip(NEXT) | instid1(VALU_DEP_1)
	v_mul_f32_e32 v96, v97, v95
	v_fma_f32 v98, -v86, v96, v97
	s_delay_alu instid0(VALU_DEP_1) | instskip(NEXT) | instid1(VALU_DEP_1)
	v_fmac_f32_e32 v96, v98, v95
	v_fma_f32 v86, -v86, v96, v97
	s_delay_alu instid0(VALU_DEP_1) | instskip(NEXT) | instid1(VALU_DEP_1)
	v_div_fmas_f32 v86, v86, v95, v96
	v_div_fixup_f32 v87, v86, v87, 1.0
	s_delay_alu instid0(VALU_DEP_1)
	v_mul_f32_e32 v86, v89, v87
	v_xor_b32_e32 v87, 0x80000000, v87
.LBB78_637:
	s_and_not1_saveexec_b32 s1, s1
	s_cbranch_execz .LBB78_639
; %bb.638:
	s_delay_alu instid0(VALU_DEP_1) | instskip(SKIP_1) | instid1(VALU_DEP_2)
	v_div_scale_f32 v89, null, v86, v86, v87
	v_div_scale_f32 v97, vcc_lo, v87, v86, v87
	v_rcp_f32_e32 v95, v89
	v_nop
	s_delay_alu instid0(TRANS32_DEP_1) | instskip(NEXT) | instid1(VALU_DEP_1)
	v_fma_f32 v96, -v89, v95, 1.0
	v_fmac_f32_e32 v95, v96, v95
	s_delay_alu instid0(VALU_DEP_1) | instskip(NEXT) | instid1(VALU_DEP_1)
	v_mul_f32_e32 v96, v97, v95
	v_fma_f32 v98, -v89, v96, v97
	s_delay_alu instid0(VALU_DEP_1) | instskip(NEXT) | instid1(VALU_DEP_1)
	v_fmac_f32_e32 v96, v98, v95
	v_fma_f32 v89, -v89, v96, v97
	s_delay_alu instid0(VALU_DEP_1) | instskip(NEXT) | instid1(VALU_DEP_1)
	v_div_fmas_f32 v89, v89, v95, v96
	v_div_fixup_f32 v89, v89, v86, v87
	s_delay_alu instid0(VALU_DEP_1) | instskip(NEXT) | instid1(VALU_DEP_1)
	v_fmac_f32_e32 v86, v87, v89
	v_div_scale_f32 v87, null, v86, v86, 1.0
	s_delay_alu instid0(VALU_DEP_1) | instskip(SKIP_1) | instid1(TRANS32_DEP_1)
	v_rcp_f32_e32 v95, v87
	v_nop
	v_fma_f32 v96, -v87, v95, 1.0
	s_delay_alu instid0(VALU_DEP_1) | instskip(SKIP_1) | instid1(VALU_DEP_1)
	v_fmac_f32_e32 v95, v96, v95
	v_div_scale_f32 v96, vcc_lo, 1.0, v86, 1.0
	v_mul_f32_e32 v97, v96, v95
	s_delay_alu instid0(VALU_DEP_1) | instskip(NEXT) | instid1(VALU_DEP_1)
	v_fma_f32 v98, -v87, v97, v96
	v_fmac_f32_e32 v97, v98, v95
	s_delay_alu instid0(VALU_DEP_1) | instskip(NEXT) | instid1(VALU_DEP_1)
	v_fma_f32 v87, -v87, v97, v96
	v_div_fmas_f32 v87, v87, v95, v97
	s_delay_alu instid0(VALU_DEP_1) | instskip(NEXT) | instid1(VALU_DEP_1)
	v_div_fixup_f32 v86, v87, v86, 1.0
	v_mul_f32_e64 v87, v89, -v86
.LBB78_639:
	s_or_b32 exec_lo, exec_lo, s1
.LBB78_640:
	s_delay_alu instid0(SALU_CYCLE_1) | instskip(NEXT) | instid1(SALU_CYCLE_1)
	s_or_b32 exec_lo, exec_lo, s0
	s_mov_b32 s0, exec_lo
	v_cmpx_ne_u32_e64 v94, v88
	s_xor_b32 s0, exec_lo, s0
	s_cbranch_execz .LBB78_646
; %bb.641:
	s_mov_b32 s1, exec_lo
	v_cmpx_eq_u32_e32 30, v94
	s_cbranch_execz .LBB78_645
; %bb.642:
	v_cmp_ne_u32_e32 vcc_lo, 30, v88
	s_xor_b32 s12, s16, -1
	s_delay_alu instid0(SALU_CYCLE_1) | instskip(NEXT) | instid1(SALU_CYCLE_1)
	s_and_b32 s13, s12, vcc_lo
	s_and_saveexec_b32 s12, s13
	s_cbranch_execz .LBB78_644
; %bb.643:
	v_ashrrev_i32_e32 v89, 31, v88
	s_delay_alu instid0(VALU_DEP_1)
	v_lshl_add_u64 v[94:95], v[88:89], 2, v[4:5]
	s_clause 0x1
	global_load_b32 v89, v[94:95], off
	global_load_b32 v93, v[4:5], off offset:120
	s_wait_loadcnt 0x1
	global_store_b32 v[4:5], v89, off offset:120
	s_wait_loadcnt 0x0
	global_store_b32 v[94:95], v93, off
.LBB78_644:
	s_wait_xcnt 0x0
	s_or_b32 exec_lo, exec_lo, s12
	v_dual_mov_b32 v94, v88 :: v_dual_mov_b32 v93, v88
.LBB78_645:
	s_or_b32 exec_lo, exec_lo, s1
.LBB78_646:
	s_and_not1_saveexec_b32 s0, s0
	s_cbranch_execz .LBB78_648
; %bb.647:
	v_mov_b32_e32 v94, 30
	ds_store_2addr_b64 v90, v[6:7], v[32:33] offset0:31 offset1:32
	ds_store_2addr_b64 v90, v[28:29], v[30:31] offset0:33 offset1:34
	;; [unrolled: 1-line block ×4, first 2 shown]
	ds_store_b64 v90, v[84:85] offset:312
.LBB78_648:
	s_or_b32 exec_lo, exec_lo, s0
	s_delay_alu instid0(SALU_CYCLE_1)
	s_mov_b32 s0, exec_lo
	s_wait_storecnt_dscnt 0x0
	s_barrier_signal -1
	s_barrier_wait -1
	v_cmpx_lt_i32_e32 30, v94
	s_cbranch_execz .LBB78_650
; %bb.649:
	v_pk_mul_f32 v[88:89], v[86:87], v[36:37] op_sel:[1,1] op_sel_hi:[0,1]
	s_delay_alu instid0(VALU_DEP_1)
	v_pk_fma_f32 v[96:97], v[86:87], v[36:37], v[88:89] op_sel_hi:[1,0,1] neg_lo:[0,0,1] neg_hi:[0,0,1]
	v_pk_fma_f32 v[98:99], v[86:87], v[36:37], v[88:89] op_sel_hi:[1,0,1]
	ds_load_2addr_b64 v[86:89], v90 offset0:31 offset1:32
	v_dual_mov_b32 v36, v96 :: v_dual_mov_b32 v37, v99
	s_wait_dscnt 0x0
	v_pk_mul_f32 v[100:101], v[86:87], v[98:99] op_sel:[0,1]
	s_delay_alu instid0(VALU_DEP_1) | instskip(SKIP_1) | instid1(VALU_DEP_1)
	v_pk_fma_f32 v[102:103], v[86:87], v[96:97], v[100:101] op_sel:[0,0,1] op_sel_hi:[1,1,0] neg_lo:[0,0,1] neg_hi:[0,0,1]
	v_pk_fma_f32 v[86:87], v[86:87], v[96:97], v[100:101] op_sel:[0,0,1] op_sel_hi:[1,0,0]
	v_mov_b32_e32 v103, v87
	v_pk_mul_f32 v[86:87], v[88:89], v[98:99] op_sel:[0,1]
	s_delay_alu instid0(VALU_DEP_1) | instskip(SKIP_1) | instid1(VALU_DEP_1)
	v_pk_fma_f32 v[100:101], v[88:89], v[96:97], v[86:87] op_sel:[0,0,1] op_sel_hi:[1,1,0] neg_lo:[0,0,1] neg_hi:[0,0,1]
	v_pk_fma_f32 v[86:87], v[88:89], v[96:97], v[86:87] op_sel:[0,0,1] op_sel_hi:[1,0,0]
	v_mov_b32_e32 v101, v87
	ds_load_2addr_b64 v[86:89], v90 offset0:33 offset1:34
	v_pk_add_f32 v[6:7], v[6:7], v[102:103] neg_lo:[0,1] neg_hi:[0,1]
	v_pk_add_f32 v[32:33], v[32:33], v[100:101] neg_lo:[0,1] neg_hi:[0,1]
	s_wait_dscnt 0x0
	v_pk_mul_f32 v[100:101], v[86:87], v[98:99] op_sel:[0,1]
	s_delay_alu instid0(VALU_DEP_1) | instskip(SKIP_2) | instid1(VALU_DEP_2)
	v_pk_fma_f32 v[102:103], v[86:87], v[96:97], v[100:101] op_sel:[0,0,1] op_sel_hi:[1,1,0] neg_lo:[0,0,1] neg_hi:[0,0,1]
	v_pk_fma_f32 v[86:87], v[86:87], v[96:97], v[100:101] op_sel:[0,0,1] op_sel_hi:[1,0,0]
	v_dual_mul_f32 v100, v89, v99 :: v_dual_mov_b32 v86, v89
	v_dual_mov_b32 v103, v87 :: v_dual_mov_b32 v87, v88
	s_delay_alu instid0(VALU_DEP_2) | instskip(SKIP_1) | instid1(VALU_DEP_3)
	v_pk_fma_f32 v[100:101], v[88:89], v[36:37], v[100:101] op_sel_hi:[1,1,0] neg_lo:[0,0,1] neg_hi:[0,0,1]
	v_mul_f32_e32 v88, v89, v96
	v_pk_add_f32 v[28:29], v[28:29], v[102:103] neg_lo:[0,1] neg_hi:[0,1]
	s_delay_alu instid0(VALU_DEP_2) | instskip(NEXT) | instid1(VALU_DEP_1)
	v_pk_fma_f32 v[86:87], v[86:87], v[36:37], v[88:89] op_sel_hi:[1,1,0]
	v_mov_b32_e32 v101, v87
	ds_load_2addr_b64 v[86:89], v90 offset0:35 offset1:36
	v_pk_add_f32 v[30:31], v[30:31], v[100:101] neg_lo:[0,1] neg_hi:[0,1]
	s_wait_dscnt 0x0
	v_pk_mul_f32 v[100:101], v[86:87], v[98:99] op_sel:[0,1]
	s_delay_alu instid0(VALU_DEP_1) | instskip(SKIP_1) | instid1(VALU_DEP_1)
	v_pk_fma_f32 v[102:103], v[86:87], v[96:97], v[100:101] op_sel:[0,0,1] op_sel_hi:[1,1,0] neg_lo:[0,0,1] neg_hi:[0,0,1]
	v_pk_fma_f32 v[86:87], v[86:87], v[96:97], v[100:101] op_sel:[0,0,1] op_sel_hi:[1,0,0]
	v_mov_b32_e32 v103, v87
	v_pk_mul_f32 v[86:87], v[88:89], v[98:99] op_sel:[0,1]
	s_delay_alu instid0(VALU_DEP_1) | instskip(SKIP_1) | instid1(VALU_DEP_1)
	v_pk_fma_f32 v[100:101], v[88:89], v[96:97], v[86:87] op_sel:[0,0,1] op_sel_hi:[1,1,0] neg_lo:[0,0,1] neg_hi:[0,0,1]
	v_pk_fma_f32 v[86:87], v[88:89], v[96:97], v[86:87] op_sel:[0,0,1] op_sel_hi:[1,0,0]
	v_mov_b32_e32 v101, v87
	ds_load_2addr_b64 v[86:89], v90 offset0:37 offset1:38
	v_pk_add_f32 v[8:9], v[8:9], v[102:103] neg_lo:[0,1] neg_hi:[0,1]
	v_pk_add_f32 v[26:27], v[26:27], v[100:101] neg_lo:[0,1] neg_hi:[0,1]
	s_wait_dscnt 0x0
	v_pk_mul_f32 v[100:101], v[86:87], v[98:99] op_sel:[0,1]
	s_delay_alu instid0(VALU_DEP_1) | instskip(SKIP_1) | instid1(VALU_DEP_1)
	v_pk_fma_f32 v[102:103], v[86:87], v[96:97], v[100:101] op_sel:[0,0,1] op_sel_hi:[1,1,0] neg_lo:[0,0,1] neg_hi:[0,0,1]
	v_pk_fma_f32 v[86:87], v[86:87], v[96:97], v[100:101] op_sel:[0,0,1] op_sel_hi:[1,0,0]
	v_mov_b32_e32 v103, v87
	v_pk_mul_f32 v[86:87], v[88:89], v[98:99] op_sel:[0,1]
	s_delay_alu instid0(VALU_DEP_1) | instskip(SKIP_1) | instid1(VALU_DEP_1)
	v_pk_fma_f32 v[100:101], v[88:89], v[96:97], v[86:87] op_sel:[0,0,1] op_sel_hi:[1,1,0] neg_lo:[0,0,1] neg_hi:[0,0,1]
	v_pk_fma_f32 v[86:87], v[88:89], v[96:97], v[86:87] op_sel:[0,0,1] op_sel_hi:[1,0,0]
	v_mov_b32_e32 v101, v87
	ds_load_b64 v[86:87], v90 offset:312
	v_pk_add_f32 v[20:21], v[20:21], v[102:103] neg_lo:[0,1] neg_hi:[0,1]
	v_pk_add_f32 v[18:19], v[18:19], v[100:101] neg_lo:[0,1] neg_hi:[0,1]
	s_wait_dscnt 0x0
	v_pk_mul_f32 v[88:89], v[86:87], v[98:99] op_sel:[0,1]
	s_delay_alu instid0(VALU_DEP_1) | instskip(SKIP_1) | instid1(VALU_DEP_1)
	v_pk_fma_f32 v[98:99], v[86:87], v[96:97], v[88:89] op_sel:[0,0,1] op_sel_hi:[1,1,0] neg_lo:[0,0,1] neg_hi:[0,0,1]
	v_pk_fma_f32 v[86:87], v[86:87], v[96:97], v[88:89] op_sel:[0,0,1] op_sel_hi:[1,0,0]
	v_mov_b32_e32 v99, v87
	s_delay_alu instid0(VALU_DEP_1)
	v_pk_add_f32 v[84:85], v[84:85], v[98:99] neg_lo:[0,1] neg_hi:[0,1]
.LBB78_650:
	s_or_b32 exec_lo, exec_lo, s0
	v_lshl_add_u32 v86, v94, 3, v90
	s_barrier_signal -1
	s_barrier_wait -1
	ds_store_b64 v86, v[6:7]
	s_wait_dscnt 0x0
	s_barrier_signal -1
	s_barrier_wait -1
	ds_load_b64 v[86:87], v90 offset:248
	v_mov_b32_e32 v88, 31
	s_cmp_lt_i32 s18, 33
	s_cbranch_scc1 .LBB78_653
; %bb.651:
	v_add3_u32 v89, v91, 0, 0x100
	v_mov_b32_e32 v88, 31
	s_mov_b32 s0, 32
.LBB78_652:                             ; =>This Inner Loop Header: Depth=1
	ds_load_b64 v[96:97], v89
	s_wait_dscnt 0x1
	v_cmp_gt_f32_e32 vcc_lo, 0, v86
	v_cndmask_b32_e64 v98, v86, -v86, vcc_lo
	v_cmp_gt_f32_e32 vcc_lo, 0, v87
	v_cndmask_b32_e64 v100, v87, -v87, vcc_lo
	s_wait_dscnt 0x0
	v_cmp_gt_f32_e32 vcc_lo, 0, v96
	v_cndmask_b32_e64 v99, v96, -v96, vcc_lo
	v_cmp_gt_f32_e32 vcc_lo, 0, v97
	v_cndmask_b32_e64 v101, v97, -v97, vcc_lo
	s_delay_alu instid0(VALU_DEP_1) | instskip(NEXT) | instid1(VALU_DEP_1)
	v_pk_add_f32 v[98:99], v[98:99], v[100:101]
	v_cmp_lt_f32_e32 vcc_lo, v98, v99
	v_dual_cndmask_b32 v86, v86, v96 :: v_dual_add_nc_u32 v89, 8, v89
	v_cndmask_b32_e32 v87, v87, v97, vcc_lo
	v_cndmask_b32_e64 v88, v88, s0, vcc_lo
	s_add_co_i32 s0, s0, 1
	s_delay_alu instid0(SALU_CYCLE_1)
	s_cmp_lg_u32 s18, s0
	s_cbranch_scc1 .LBB78_652
.LBB78_653:
	s_wait_dscnt 0x0
	v_cmp_eq_f32_e32 vcc_lo, 0, v86
	v_cmp_eq_f32_e64 s0, 0, v87
	s_and_b32 s0, vcc_lo, s0
	s_delay_alu instid0(SALU_CYCLE_1) | instskip(NEXT) | instid1(SALU_CYCLE_1)
	s_and_saveexec_b32 s1, s0
	s_xor_b32 s0, exec_lo, s1
; %bb.654:
	v_cmp_ne_u32_e32 vcc_lo, 0, v92
	v_cndmask_b32_e32 v92, 32, v92, vcc_lo
; %bb.655:
	s_and_not1_saveexec_b32 s0, s0
	s_cbranch_execz .LBB78_661
; %bb.656:
	v_cmp_ngt_f32_e64 s1, |v86|, |v87|
	s_and_saveexec_b32 s12, s1
	s_delay_alu instid0(SALU_CYCLE_1)
	s_xor_b32 s1, exec_lo, s12
	s_cbranch_execz .LBB78_658
; %bb.657:
	v_div_scale_f32 v89, null, v87, v87, v86
	v_div_scale_f32 v97, vcc_lo, v86, v87, v86
	s_delay_alu instid0(VALU_DEP_2) | instskip(SKIP_1) | instid1(TRANS32_DEP_1)
	v_rcp_f32_e32 v95, v89
	v_nop
	v_fma_f32 v96, -v89, v95, 1.0
	s_delay_alu instid0(VALU_DEP_1) | instskip(NEXT) | instid1(VALU_DEP_1)
	v_fmac_f32_e32 v95, v96, v95
	v_mul_f32_e32 v96, v97, v95
	s_delay_alu instid0(VALU_DEP_1) | instskip(NEXT) | instid1(VALU_DEP_1)
	v_fma_f32 v98, -v89, v96, v97
	v_fmac_f32_e32 v96, v98, v95
	s_delay_alu instid0(VALU_DEP_1) | instskip(NEXT) | instid1(VALU_DEP_1)
	v_fma_f32 v89, -v89, v96, v97
	v_div_fmas_f32 v89, v89, v95, v96
	s_delay_alu instid0(VALU_DEP_1) | instskip(NEXT) | instid1(VALU_DEP_1)
	v_div_fixup_f32 v89, v89, v87, v86
	v_fmac_f32_e32 v87, v86, v89
	s_delay_alu instid0(VALU_DEP_1) | instskip(SKIP_1) | instid1(VALU_DEP_2)
	v_div_scale_f32 v86, null, v87, v87, 1.0
	v_div_scale_f32 v97, vcc_lo, 1.0, v87, 1.0
	v_rcp_f32_e32 v95, v86
	v_nop
	s_delay_alu instid0(TRANS32_DEP_1) | instskip(NEXT) | instid1(VALU_DEP_1)
	v_fma_f32 v96, -v86, v95, 1.0
	v_fmac_f32_e32 v95, v96, v95
	s_delay_alu instid0(VALU_DEP_1) | instskip(NEXT) | instid1(VALU_DEP_1)
	v_mul_f32_e32 v96, v97, v95
	v_fma_f32 v98, -v86, v96, v97
	s_delay_alu instid0(VALU_DEP_1) | instskip(NEXT) | instid1(VALU_DEP_1)
	v_fmac_f32_e32 v96, v98, v95
	v_fma_f32 v86, -v86, v96, v97
	s_delay_alu instid0(VALU_DEP_1) | instskip(NEXT) | instid1(VALU_DEP_1)
	v_div_fmas_f32 v86, v86, v95, v96
	v_div_fixup_f32 v87, v86, v87, 1.0
	s_delay_alu instid0(VALU_DEP_1)
	v_mul_f32_e32 v86, v89, v87
	v_xor_b32_e32 v87, 0x80000000, v87
.LBB78_658:
	s_and_not1_saveexec_b32 s1, s1
	s_cbranch_execz .LBB78_660
; %bb.659:
	s_delay_alu instid0(VALU_DEP_1) | instskip(SKIP_1) | instid1(VALU_DEP_2)
	v_div_scale_f32 v89, null, v86, v86, v87
	v_div_scale_f32 v97, vcc_lo, v87, v86, v87
	v_rcp_f32_e32 v95, v89
	v_nop
	s_delay_alu instid0(TRANS32_DEP_1) | instskip(NEXT) | instid1(VALU_DEP_1)
	v_fma_f32 v96, -v89, v95, 1.0
	v_fmac_f32_e32 v95, v96, v95
	s_delay_alu instid0(VALU_DEP_1) | instskip(NEXT) | instid1(VALU_DEP_1)
	v_mul_f32_e32 v96, v97, v95
	v_fma_f32 v98, -v89, v96, v97
	s_delay_alu instid0(VALU_DEP_1) | instskip(NEXT) | instid1(VALU_DEP_1)
	v_fmac_f32_e32 v96, v98, v95
	v_fma_f32 v89, -v89, v96, v97
	s_delay_alu instid0(VALU_DEP_1) | instskip(NEXT) | instid1(VALU_DEP_1)
	v_div_fmas_f32 v89, v89, v95, v96
	v_div_fixup_f32 v89, v89, v86, v87
	s_delay_alu instid0(VALU_DEP_1) | instskip(NEXT) | instid1(VALU_DEP_1)
	v_fmac_f32_e32 v86, v87, v89
	v_div_scale_f32 v87, null, v86, v86, 1.0
	s_delay_alu instid0(VALU_DEP_1) | instskip(SKIP_1) | instid1(TRANS32_DEP_1)
	v_rcp_f32_e32 v95, v87
	v_nop
	v_fma_f32 v96, -v87, v95, 1.0
	s_delay_alu instid0(VALU_DEP_1) | instskip(SKIP_1) | instid1(VALU_DEP_1)
	v_fmac_f32_e32 v95, v96, v95
	v_div_scale_f32 v96, vcc_lo, 1.0, v86, 1.0
	v_mul_f32_e32 v97, v96, v95
	s_delay_alu instid0(VALU_DEP_1) | instskip(NEXT) | instid1(VALU_DEP_1)
	v_fma_f32 v98, -v87, v97, v96
	v_fmac_f32_e32 v97, v98, v95
	s_delay_alu instid0(VALU_DEP_1) | instskip(NEXT) | instid1(VALU_DEP_1)
	v_fma_f32 v87, -v87, v97, v96
	v_div_fmas_f32 v87, v87, v95, v97
	s_delay_alu instid0(VALU_DEP_1) | instskip(NEXT) | instid1(VALU_DEP_1)
	v_div_fixup_f32 v86, v87, v86, 1.0
	v_mul_f32_e64 v87, v89, -v86
.LBB78_660:
	s_or_b32 exec_lo, exec_lo, s1
.LBB78_661:
	s_delay_alu instid0(SALU_CYCLE_1) | instskip(NEXT) | instid1(SALU_CYCLE_1)
	s_or_b32 exec_lo, exec_lo, s0
	s_mov_b32 s0, exec_lo
	v_cmpx_ne_u32_e64 v94, v88
	s_xor_b32 s0, exec_lo, s0
	s_cbranch_execz .LBB78_667
; %bb.662:
	s_mov_b32 s1, exec_lo
	v_cmpx_eq_u32_e32 31, v94
	s_cbranch_execz .LBB78_666
; %bb.663:
	v_cmp_ne_u32_e32 vcc_lo, 31, v88
	s_xor_b32 s12, s16, -1
	s_delay_alu instid0(SALU_CYCLE_1) | instskip(NEXT) | instid1(SALU_CYCLE_1)
	s_and_b32 s13, s12, vcc_lo
	s_and_saveexec_b32 s12, s13
	s_cbranch_execz .LBB78_665
; %bb.664:
	v_ashrrev_i32_e32 v89, 31, v88
	s_delay_alu instid0(VALU_DEP_1)
	v_lshl_add_u64 v[94:95], v[88:89], 2, v[4:5]
	s_clause 0x1
	global_load_b32 v89, v[94:95], off
	global_load_b32 v93, v[4:5], off offset:124
	s_wait_loadcnt 0x1
	global_store_b32 v[4:5], v89, off offset:124
	s_wait_loadcnt 0x0
	global_store_b32 v[94:95], v93, off
.LBB78_665:
	s_wait_xcnt 0x0
	s_or_b32 exec_lo, exec_lo, s12
	v_dual_mov_b32 v94, v88 :: v_dual_mov_b32 v93, v88
.LBB78_666:
	s_or_b32 exec_lo, exec_lo, s1
.LBB78_667:
	s_and_not1_saveexec_b32 s0, s0
	s_cbranch_execz .LBB78_669
; %bb.668:
	v_dual_mov_b32 v88, v32 :: v_dual_mov_b32 v89, v33
	v_dual_mov_b32 v96, v28 :: v_dual_mov_b32 v97, v29
	;; [unrolled: 1-line block ×7, first 2 shown]
	v_mov_b32_e32 v107, v19
	ds_store_2addr_b64 v90, v[88:89], v[96:97] offset0:32 offset1:33
	ds_store_2addr_b64 v90, v[98:99], v[100:101] offset0:34 offset1:35
	;; [unrolled: 1-line block ×4, first 2 shown]
.LBB78_669:
	s_or_b32 exec_lo, exec_lo, s0
	s_delay_alu instid0(SALU_CYCLE_1)
	s_mov_b32 s0, exec_lo
	s_wait_storecnt_dscnt 0x0
	s_barrier_signal -1
	s_barrier_wait -1
	v_cmpx_lt_i32_e32 31, v94
	s_cbranch_execz .LBB78_671
; %bb.670:
	v_pk_mul_f32 v[88:89], v[86:87], v[6:7] op_sel:[1,1] op_sel_hi:[0,1]
	s_delay_alu instid0(VALU_DEP_1)
	v_pk_fma_f32 v[96:97], v[86:87], v[6:7], v[88:89] op_sel_hi:[1,0,1] neg_lo:[0,0,1] neg_hi:[0,0,1]
	v_pk_fma_f32 v[98:99], v[86:87], v[6:7], v[88:89] op_sel_hi:[1,0,1]
	ds_load_2addr_b64 v[86:89], v90 offset0:32 offset1:33
	v_dual_mov_b32 v6, v96 :: v_dual_mov_b32 v7, v99
	s_wait_dscnt 0x0
	v_pk_mul_f32 v[100:101], v[86:87], v[98:99] op_sel:[0,1]
	s_delay_alu instid0(VALU_DEP_1) | instskip(SKIP_1) | instid1(VALU_DEP_1)
	v_pk_fma_f32 v[102:103], v[86:87], v[96:97], v[100:101] op_sel:[0,0,1] op_sel_hi:[1,1,0] neg_lo:[0,0,1] neg_hi:[0,0,1]
	v_pk_fma_f32 v[86:87], v[86:87], v[96:97], v[100:101] op_sel:[0,0,1] op_sel_hi:[1,0,0]
	v_mov_b32_e32 v103, v87
	v_pk_mul_f32 v[86:87], v[88:89], v[98:99] op_sel:[0,1]
	s_delay_alu instid0(VALU_DEP_1) | instskip(SKIP_1) | instid1(VALU_DEP_1)
	v_pk_fma_f32 v[100:101], v[88:89], v[96:97], v[86:87] op_sel:[0,0,1] op_sel_hi:[1,1,0] neg_lo:[0,0,1] neg_hi:[0,0,1]
	v_pk_fma_f32 v[86:87], v[88:89], v[96:97], v[86:87] op_sel:[0,0,1] op_sel_hi:[1,0,0]
	v_mov_b32_e32 v101, v87
	ds_load_2addr_b64 v[86:89], v90 offset0:34 offset1:35
	v_pk_add_f32 v[32:33], v[32:33], v[102:103] neg_lo:[0,1] neg_hi:[0,1]
	v_pk_add_f32 v[28:29], v[28:29], v[100:101] neg_lo:[0,1] neg_hi:[0,1]
	s_wait_dscnt 0x0
	v_pk_mul_f32 v[100:101], v[86:87], v[98:99] op_sel:[0,1]
	s_delay_alu instid0(VALU_DEP_1) | instskip(SKIP_2) | instid1(VALU_DEP_2)
	v_pk_fma_f32 v[102:103], v[86:87], v[96:97], v[100:101] op_sel:[0,0,1] op_sel_hi:[1,1,0] neg_lo:[0,0,1] neg_hi:[0,0,1]
	v_pk_fma_f32 v[86:87], v[86:87], v[96:97], v[100:101] op_sel:[0,0,1] op_sel_hi:[1,0,0]
	v_dual_mul_f32 v100, v89, v99 :: v_dual_mov_b32 v86, v89
	v_dual_mov_b32 v103, v87 :: v_dual_mov_b32 v87, v88
	s_delay_alu instid0(VALU_DEP_2) | instskip(SKIP_1) | instid1(VALU_DEP_3)
	v_pk_fma_f32 v[100:101], v[88:89], v[6:7], v[100:101] op_sel_hi:[1,1,0] neg_lo:[0,0,1] neg_hi:[0,0,1]
	v_mul_f32_e32 v88, v89, v96
	v_pk_add_f32 v[30:31], v[30:31], v[102:103] neg_lo:[0,1] neg_hi:[0,1]
	s_delay_alu instid0(VALU_DEP_2) | instskip(NEXT) | instid1(VALU_DEP_1)
	v_pk_fma_f32 v[86:87], v[86:87], v[6:7], v[88:89] op_sel_hi:[1,1,0]
	v_mov_b32_e32 v101, v87
	ds_load_2addr_b64 v[86:89], v90 offset0:36 offset1:37
	v_pk_add_f32 v[8:9], v[8:9], v[100:101] neg_lo:[0,1] neg_hi:[0,1]
	s_wait_dscnt 0x0
	v_pk_mul_f32 v[100:101], v[86:87], v[98:99] op_sel:[0,1]
	s_delay_alu instid0(VALU_DEP_1) | instskip(SKIP_1) | instid1(VALU_DEP_1)
	v_pk_fma_f32 v[102:103], v[86:87], v[96:97], v[100:101] op_sel:[0,0,1] op_sel_hi:[1,1,0] neg_lo:[0,0,1] neg_hi:[0,0,1]
	v_pk_fma_f32 v[86:87], v[86:87], v[96:97], v[100:101] op_sel:[0,0,1] op_sel_hi:[1,0,0]
	v_mov_b32_e32 v103, v87
	v_pk_mul_f32 v[86:87], v[88:89], v[98:99] op_sel:[0,1]
	s_delay_alu instid0(VALU_DEP_1) | instskip(SKIP_1) | instid1(VALU_DEP_1)
	v_pk_fma_f32 v[100:101], v[88:89], v[96:97], v[86:87] op_sel:[0,0,1] op_sel_hi:[1,1,0] neg_lo:[0,0,1] neg_hi:[0,0,1]
	v_pk_fma_f32 v[86:87], v[88:89], v[96:97], v[86:87] op_sel:[0,0,1] op_sel_hi:[1,0,0]
	v_mov_b32_e32 v101, v87
	ds_load_2addr_b64 v[86:89], v90 offset0:38 offset1:39
	v_pk_add_f32 v[26:27], v[26:27], v[102:103] neg_lo:[0,1] neg_hi:[0,1]
	v_pk_add_f32 v[20:21], v[20:21], v[100:101] neg_lo:[0,1] neg_hi:[0,1]
	s_wait_dscnt 0x0
	v_pk_mul_f32 v[100:101], v[86:87], v[98:99] op_sel:[0,1]
	s_delay_alu instid0(VALU_DEP_1) | instskip(SKIP_1) | instid1(VALU_DEP_1)
	v_pk_fma_f32 v[102:103], v[86:87], v[96:97], v[100:101] op_sel:[0,0,1] op_sel_hi:[1,1,0] neg_lo:[0,0,1] neg_hi:[0,0,1]
	v_pk_fma_f32 v[86:87], v[86:87], v[96:97], v[100:101] op_sel:[0,0,1] op_sel_hi:[1,0,0]
	v_mov_b32_e32 v103, v87
	v_pk_mul_f32 v[86:87], v[88:89], v[98:99] op_sel:[0,1]
	s_delay_alu instid0(VALU_DEP_1) | instskip(SKIP_1) | instid1(VALU_DEP_1)
	v_pk_fma_f32 v[98:99], v[88:89], v[96:97], v[86:87] op_sel:[0,0,1] op_sel_hi:[1,1,0] neg_lo:[0,0,1] neg_hi:[0,0,1]
	v_pk_fma_f32 v[86:87], v[88:89], v[96:97], v[86:87] op_sel:[0,0,1] op_sel_hi:[1,0,0]
	v_mov_b32_e32 v99, v87
	v_pk_add_f32 v[18:19], v[18:19], v[102:103] neg_lo:[0,1] neg_hi:[0,1]
	s_delay_alu instid0(VALU_DEP_2)
	v_pk_add_f32 v[84:85], v[84:85], v[98:99] neg_lo:[0,1] neg_hi:[0,1]
.LBB78_671:
	s_or_b32 exec_lo, exec_lo, s0
	v_lshl_add_u32 v86, v94, 3, v90
	s_barrier_signal -1
	s_barrier_wait -1
	ds_store_b64 v86, v[32:33]
	s_wait_dscnt 0x0
	s_barrier_signal -1
	s_barrier_wait -1
	ds_load_b64 v[86:87], v90 offset:256
	v_mov_b32_e32 v88, 32
	s_cmp_lt_i32 s18, 34
	s_cbranch_scc1 .LBB78_674
; %bb.672:
	v_add3_u32 v89, v91, 0, 0x108
	v_mov_b32_e32 v88, 32
	s_mov_b32 s0, 33
.LBB78_673:                             ; =>This Inner Loop Header: Depth=1
	ds_load_b64 v[96:97], v89
	s_wait_dscnt 0x1
	v_cmp_gt_f32_e32 vcc_lo, 0, v86
	v_cndmask_b32_e64 v98, v86, -v86, vcc_lo
	v_cmp_gt_f32_e32 vcc_lo, 0, v87
	v_cndmask_b32_e64 v100, v87, -v87, vcc_lo
	s_wait_dscnt 0x0
	v_cmp_gt_f32_e32 vcc_lo, 0, v96
	v_cndmask_b32_e64 v99, v96, -v96, vcc_lo
	v_cmp_gt_f32_e32 vcc_lo, 0, v97
	v_cndmask_b32_e64 v101, v97, -v97, vcc_lo
	s_delay_alu instid0(VALU_DEP_1) | instskip(NEXT) | instid1(VALU_DEP_1)
	v_pk_add_f32 v[98:99], v[98:99], v[100:101]
	v_cmp_lt_f32_e32 vcc_lo, v98, v99
	v_dual_cndmask_b32 v86, v86, v96 :: v_dual_add_nc_u32 v89, 8, v89
	v_cndmask_b32_e32 v87, v87, v97, vcc_lo
	v_cndmask_b32_e64 v88, v88, s0, vcc_lo
	s_add_co_i32 s0, s0, 1
	s_delay_alu instid0(SALU_CYCLE_1)
	s_cmp_lg_u32 s18, s0
	s_cbranch_scc1 .LBB78_673
.LBB78_674:
	s_wait_dscnt 0x0
	v_cmp_eq_f32_e32 vcc_lo, 0, v86
	v_cmp_eq_f32_e64 s0, 0, v87
	s_and_b32 s0, vcc_lo, s0
	s_delay_alu instid0(SALU_CYCLE_1) | instskip(NEXT) | instid1(SALU_CYCLE_1)
	s_and_saveexec_b32 s1, s0
	s_xor_b32 s0, exec_lo, s1
; %bb.675:
	v_cmp_ne_u32_e32 vcc_lo, 0, v92
	v_cndmask_b32_e32 v92, 33, v92, vcc_lo
; %bb.676:
	s_and_not1_saveexec_b32 s0, s0
	s_cbranch_execz .LBB78_682
; %bb.677:
	v_cmp_ngt_f32_e64 s1, |v86|, |v87|
	s_and_saveexec_b32 s12, s1
	s_delay_alu instid0(SALU_CYCLE_1)
	s_xor_b32 s1, exec_lo, s12
	s_cbranch_execz .LBB78_679
; %bb.678:
	v_div_scale_f32 v89, null, v87, v87, v86
	v_div_scale_f32 v97, vcc_lo, v86, v87, v86
	s_delay_alu instid0(VALU_DEP_2) | instskip(SKIP_1) | instid1(TRANS32_DEP_1)
	v_rcp_f32_e32 v95, v89
	v_nop
	v_fma_f32 v96, -v89, v95, 1.0
	s_delay_alu instid0(VALU_DEP_1) | instskip(NEXT) | instid1(VALU_DEP_1)
	v_fmac_f32_e32 v95, v96, v95
	v_mul_f32_e32 v96, v97, v95
	s_delay_alu instid0(VALU_DEP_1) | instskip(NEXT) | instid1(VALU_DEP_1)
	v_fma_f32 v98, -v89, v96, v97
	v_fmac_f32_e32 v96, v98, v95
	s_delay_alu instid0(VALU_DEP_1) | instskip(NEXT) | instid1(VALU_DEP_1)
	v_fma_f32 v89, -v89, v96, v97
	v_div_fmas_f32 v89, v89, v95, v96
	s_delay_alu instid0(VALU_DEP_1) | instskip(NEXT) | instid1(VALU_DEP_1)
	v_div_fixup_f32 v89, v89, v87, v86
	v_fmac_f32_e32 v87, v86, v89
	s_delay_alu instid0(VALU_DEP_1) | instskip(SKIP_1) | instid1(VALU_DEP_2)
	v_div_scale_f32 v86, null, v87, v87, 1.0
	v_div_scale_f32 v97, vcc_lo, 1.0, v87, 1.0
	v_rcp_f32_e32 v95, v86
	v_nop
	s_delay_alu instid0(TRANS32_DEP_1) | instskip(NEXT) | instid1(VALU_DEP_1)
	v_fma_f32 v96, -v86, v95, 1.0
	v_fmac_f32_e32 v95, v96, v95
	s_delay_alu instid0(VALU_DEP_1) | instskip(NEXT) | instid1(VALU_DEP_1)
	v_mul_f32_e32 v96, v97, v95
	v_fma_f32 v98, -v86, v96, v97
	s_delay_alu instid0(VALU_DEP_1) | instskip(NEXT) | instid1(VALU_DEP_1)
	v_fmac_f32_e32 v96, v98, v95
	v_fma_f32 v86, -v86, v96, v97
	s_delay_alu instid0(VALU_DEP_1) | instskip(NEXT) | instid1(VALU_DEP_1)
	v_div_fmas_f32 v86, v86, v95, v96
	v_div_fixup_f32 v87, v86, v87, 1.0
	s_delay_alu instid0(VALU_DEP_1)
	v_mul_f32_e32 v86, v89, v87
	v_xor_b32_e32 v87, 0x80000000, v87
.LBB78_679:
	s_and_not1_saveexec_b32 s1, s1
	s_cbranch_execz .LBB78_681
; %bb.680:
	s_delay_alu instid0(VALU_DEP_1) | instskip(SKIP_1) | instid1(VALU_DEP_2)
	v_div_scale_f32 v89, null, v86, v86, v87
	v_div_scale_f32 v97, vcc_lo, v87, v86, v87
	v_rcp_f32_e32 v95, v89
	v_nop
	s_delay_alu instid0(TRANS32_DEP_1) | instskip(NEXT) | instid1(VALU_DEP_1)
	v_fma_f32 v96, -v89, v95, 1.0
	v_fmac_f32_e32 v95, v96, v95
	s_delay_alu instid0(VALU_DEP_1) | instskip(NEXT) | instid1(VALU_DEP_1)
	v_mul_f32_e32 v96, v97, v95
	v_fma_f32 v98, -v89, v96, v97
	s_delay_alu instid0(VALU_DEP_1) | instskip(NEXT) | instid1(VALU_DEP_1)
	v_fmac_f32_e32 v96, v98, v95
	v_fma_f32 v89, -v89, v96, v97
	s_delay_alu instid0(VALU_DEP_1) | instskip(NEXT) | instid1(VALU_DEP_1)
	v_div_fmas_f32 v89, v89, v95, v96
	v_div_fixup_f32 v89, v89, v86, v87
	s_delay_alu instid0(VALU_DEP_1) | instskip(NEXT) | instid1(VALU_DEP_1)
	v_fmac_f32_e32 v86, v87, v89
	v_div_scale_f32 v87, null, v86, v86, 1.0
	s_delay_alu instid0(VALU_DEP_1) | instskip(SKIP_1) | instid1(TRANS32_DEP_1)
	v_rcp_f32_e32 v95, v87
	v_nop
	v_fma_f32 v96, -v87, v95, 1.0
	s_delay_alu instid0(VALU_DEP_1) | instskip(SKIP_1) | instid1(VALU_DEP_1)
	v_fmac_f32_e32 v95, v96, v95
	v_div_scale_f32 v96, vcc_lo, 1.0, v86, 1.0
	v_mul_f32_e32 v97, v96, v95
	s_delay_alu instid0(VALU_DEP_1) | instskip(NEXT) | instid1(VALU_DEP_1)
	v_fma_f32 v98, -v87, v97, v96
	v_fmac_f32_e32 v97, v98, v95
	s_delay_alu instid0(VALU_DEP_1) | instskip(NEXT) | instid1(VALU_DEP_1)
	v_fma_f32 v87, -v87, v97, v96
	v_div_fmas_f32 v87, v87, v95, v97
	s_delay_alu instid0(VALU_DEP_1) | instskip(NEXT) | instid1(VALU_DEP_1)
	v_div_fixup_f32 v86, v87, v86, 1.0
	v_mul_f32_e64 v87, v89, -v86
.LBB78_681:
	s_or_b32 exec_lo, exec_lo, s1
.LBB78_682:
	s_delay_alu instid0(SALU_CYCLE_1) | instskip(NEXT) | instid1(SALU_CYCLE_1)
	s_or_b32 exec_lo, exec_lo, s0
	s_mov_b32 s0, exec_lo
	v_cmpx_ne_u32_e64 v94, v88
	s_xor_b32 s0, exec_lo, s0
	s_cbranch_execz .LBB78_688
; %bb.683:
	s_mov_b32 s1, exec_lo
	v_cmpx_eq_u32_e32 32, v94
	s_cbranch_execz .LBB78_687
; %bb.684:
	v_cmp_ne_u32_e32 vcc_lo, 32, v88
	s_xor_b32 s12, s16, -1
	s_delay_alu instid0(SALU_CYCLE_1) | instskip(NEXT) | instid1(SALU_CYCLE_1)
	s_and_b32 s13, s12, vcc_lo
	s_and_saveexec_b32 s12, s13
	s_cbranch_execz .LBB78_686
; %bb.685:
	v_ashrrev_i32_e32 v89, 31, v88
	s_delay_alu instid0(VALU_DEP_1)
	v_lshl_add_u64 v[94:95], v[88:89], 2, v[4:5]
	s_clause 0x1
	global_load_b32 v89, v[94:95], off
	global_load_b32 v93, v[4:5], off offset:128
	s_wait_loadcnt 0x1
	global_store_b32 v[4:5], v89, off offset:128
	s_wait_loadcnt 0x0
	global_store_b32 v[94:95], v93, off
.LBB78_686:
	s_wait_xcnt 0x0
	s_or_b32 exec_lo, exec_lo, s12
	v_dual_mov_b32 v94, v88 :: v_dual_mov_b32 v93, v88
.LBB78_687:
	s_or_b32 exec_lo, exec_lo, s1
.LBB78_688:
	s_and_not1_saveexec_b32 s0, s0
	s_cbranch_execz .LBB78_690
; %bb.689:
	v_mov_b32_e32 v94, 32
	ds_store_2addr_b64 v90, v[28:29], v[30:31] offset0:33 offset1:34
	ds_store_2addr_b64 v90, v[8:9], v[26:27] offset0:35 offset1:36
	;; [unrolled: 1-line block ×3, first 2 shown]
	ds_store_b64 v90, v[84:85] offset:312
.LBB78_690:
	s_or_b32 exec_lo, exec_lo, s0
	s_delay_alu instid0(SALU_CYCLE_1)
	s_mov_b32 s0, exec_lo
	s_wait_storecnt_dscnt 0x0
	s_barrier_signal -1
	s_barrier_wait -1
	v_cmpx_lt_i32_e32 32, v94
	s_cbranch_execz .LBB78_692
; %bb.691:
	v_pk_mul_f32 v[88:89], v[86:87], v[32:33] op_sel:[1,1] op_sel_hi:[0,1]
	s_delay_alu instid0(VALU_DEP_1)
	v_pk_fma_f32 v[96:97], v[86:87], v[32:33], v[88:89] op_sel_hi:[1,0,1] neg_lo:[0,0,1] neg_hi:[0,0,1]
	v_pk_fma_f32 v[98:99], v[86:87], v[32:33], v[88:89] op_sel_hi:[1,0,1]
	ds_load_2addr_b64 v[86:89], v90 offset0:33 offset1:34
	v_dual_mov_b32 v32, v96 :: v_dual_mov_b32 v33, v99
	s_wait_dscnt 0x0
	v_pk_mul_f32 v[100:101], v[86:87], v[98:99] op_sel:[0,1]
	s_delay_alu instid0(VALU_DEP_1) | instskip(SKIP_1) | instid1(VALU_DEP_1)
	v_pk_fma_f32 v[102:103], v[86:87], v[96:97], v[100:101] op_sel:[0,0,1] op_sel_hi:[1,1,0] neg_lo:[0,0,1] neg_hi:[0,0,1]
	v_pk_fma_f32 v[86:87], v[86:87], v[96:97], v[100:101] op_sel:[0,0,1] op_sel_hi:[1,0,0]
	v_mov_b32_e32 v103, v87
	v_pk_mul_f32 v[86:87], v[88:89], v[98:99] op_sel:[0,1]
	s_delay_alu instid0(VALU_DEP_1) | instskip(SKIP_1) | instid1(VALU_DEP_1)
	v_pk_fma_f32 v[100:101], v[88:89], v[96:97], v[86:87] op_sel:[0,0,1] op_sel_hi:[1,1,0] neg_lo:[0,0,1] neg_hi:[0,0,1]
	v_pk_fma_f32 v[86:87], v[88:89], v[96:97], v[86:87] op_sel:[0,0,1] op_sel_hi:[1,0,0]
	v_mov_b32_e32 v101, v87
	ds_load_2addr_b64 v[86:89], v90 offset0:35 offset1:36
	v_pk_add_f32 v[28:29], v[28:29], v[102:103] neg_lo:[0,1] neg_hi:[0,1]
	v_pk_add_f32 v[30:31], v[30:31], v[100:101] neg_lo:[0,1] neg_hi:[0,1]
	s_wait_dscnt 0x0
	v_pk_mul_f32 v[100:101], v[86:87], v[98:99] op_sel:[0,1]
	s_delay_alu instid0(VALU_DEP_1) | instskip(SKIP_2) | instid1(VALU_DEP_2)
	v_pk_fma_f32 v[102:103], v[86:87], v[96:97], v[100:101] op_sel:[0,0,1] op_sel_hi:[1,1,0] neg_lo:[0,0,1] neg_hi:[0,0,1]
	v_pk_fma_f32 v[86:87], v[86:87], v[96:97], v[100:101] op_sel:[0,0,1] op_sel_hi:[1,0,0]
	v_dual_mul_f32 v100, v89, v99 :: v_dual_mov_b32 v86, v89
	v_dual_mov_b32 v103, v87 :: v_dual_mov_b32 v87, v88
	s_delay_alu instid0(VALU_DEP_2) | instskip(SKIP_1) | instid1(VALU_DEP_3)
	v_pk_fma_f32 v[100:101], v[88:89], v[32:33], v[100:101] op_sel_hi:[1,1,0] neg_lo:[0,0,1] neg_hi:[0,0,1]
	v_mul_f32_e32 v88, v89, v96
	v_pk_add_f32 v[8:9], v[8:9], v[102:103] neg_lo:[0,1] neg_hi:[0,1]
	s_delay_alu instid0(VALU_DEP_2) | instskip(NEXT) | instid1(VALU_DEP_1)
	v_pk_fma_f32 v[86:87], v[86:87], v[32:33], v[88:89] op_sel_hi:[1,1,0]
	v_mov_b32_e32 v101, v87
	ds_load_2addr_b64 v[86:89], v90 offset0:37 offset1:38
	v_pk_add_f32 v[26:27], v[26:27], v[100:101] neg_lo:[0,1] neg_hi:[0,1]
	s_wait_dscnt 0x0
	v_pk_mul_f32 v[100:101], v[86:87], v[98:99] op_sel:[0,1]
	s_delay_alu instid0(VALU_DEP_1) | instskip(SKIP_1) | instid1(VALU_DEP_1)
	v_pk_fma_f32 v[102:103], v[86:87], v[96:97], v[100:101] op_sel:[0,0,1] op_sel_hi:[1,1,0] neg_lo:[0,0,1] neg_hi:[0,0,1]
	v_pk_fma_f32 v[86:87], v[86:87], v[96:97], v[100:101] op_sel:[0,0,1] op_sel_hi:[1,0,0]
	v_mov_b32_e32 v103, v87
	v_pk_mul_f32 v[86:87], v[88:89], v[98:99] op_sel:[0,1]
	s_delay_alu instid0(VALU_DEP_1) | instskip(SKIP_1) | instid1(VALU_DEP_1)
	v_pk_fma_f32 v[100:101], v[88:89], v[96:97], v[86:87] op_sel:[0,0,1] op_sel_hi:[1,1,0] neg_lo:[0,0,1] neg_hi:[0,0,1]
	v_pk_fma_f32 v[86:87], v[88:89], v[96:97], v[86:87] op_sel:[0,0,1] op_sel_hi:[1,0,0]
	v_mov_b32_e32 v101, v87
	ds_load_b64 v[86:87], v90 offset:312
	v_pk_add_f32 v[20:21], v[20:21], v[102:103] neg_lo:[0,1] neg_hi:[0,1]
	v_pk_add_f32 v[18:19], v[18:19], v[100:101] neg_lo:[0,1] neg_hi:[0,1]
	s_wait_dscnt 0x0
	v_pk_mul_f32 v[88:89], v[86:87], v[98:99] op_sel:[0,1]
	s_delay_alu instid0(VALU_DEP_1) | instskip(SKIP_1) | instid1(VALU_DEP_1)
	v_pk_fma_f32 v[98:99], v[86:87], v[96:97], v[88:89] op_sel:[0,0,1] op_sel_hi:[1,1,0] neg_lo:[0,0,1] neg_hi:[0,0,1]
	v_pk_fma_f32 v[86:87], v[86:87], v[96:97], v[88:89] op_sel:[0,0,1] op_sel_hi:[1,0,0]
	v_mov_b32_e32 v99, v87
	s_delay_alu instid0(VALU_DEP_1)
	v_pk_add_f32 v[84:85], v[84:85], v[98:99] neg_lo:[0,1] neg_hi:[0,1]
.LBB78_692:
	s_or_b32 exec_lo, exec_lo, s0
	v_lshl_add_u32 v86, v94, 3, v90
	s_barrier_signal -1
	s_barrier_wait -1
	ds_store_b64 v86, v[28:29]
	s_wait_dscnt 0x0
	s_barrier_signal -1
	s_barrier_wait -1
	ds_load_b64 v[86:87], v90 offset:264
	v_mov_b32_e32 v88, 33
	s_cmp_lt_i32 s18, 35
	s_cbranch_scc1 .LBB78_695
; %bb.693:
	v_add3_u32 v89, v91, 0, 0x110
	v_mov_b32_e32 v88, 33
	s_mov_b32 s0, 34
.LBB78_694:                             ; =>This Inner Loop Header: Depth=1
	ds_load_b64 v[96:97], v89
	s_wait_dscnt 0x1
	v_cmp_gt_f32_e32 vcc_lo, 0, v86
	v_cndmask_b32_e64 v98, v86, -v86, vcc_lo
	v_cmp_gt_f32_e32 vcc_lo, 0, v87
	v_cndmask_b32_e64 v100, v87, -v87, vcc_lo
	s_wait_dscnt 0x0
	v_cmp_gt_f32_e32 vcc_lo, 0, v96
	v_cndmask_b32_e64 v99, v96, -v96, vcc_lo
	v_cmp_gt_f32_e32 vcc_lo, 0, v97
	v_cndmask_b32_e64 v101, v97, -v97, vcc_lo
	s_delay_alu instid0(VALU_DEP_1) | instskip(NEXT) | instid1(VALU_DEP_1)
	v_pk_add_f32 v[98:99], v[98:99], v[100:101]
	v_cmp_lt_f32_e32 vcc_lo, v98, v99
	v_dual_cndmask_b32 v86, v86, v96 :: v_dual_add_nc_u32 v89, 8, v89
	v_cndmask_b32_e32 v87, v87, v97, vcc_lo
	v_cndmask_b32_e64 v88, v88, s0, vcc_lo
	s_add_co_i32 s0, s0, 1
	s_delay_alu instid0(SALU_CYCLE_1)
	s_cmp_lg_u32 s18, s0
	s_cbranch_scc1 .LBB78_694
.LBB78_695:
	s_wait_dscnt 0x0
	v_cmp_eq_f32_e32 vcc_lo, 0, v86
	v_cmp_eq_f32_e64 s0, 0, v87
	s_and_b32 s0, vcc_lo, s0
	s_delay_alu instid0(SALU_CYCLE_1) | instskip(NEXT) | instid1(SALU_CYCLE_1)
	s_and_saveexec_b32 s1, s0
	s_xor_b32 s0, exec_lo, s1
; %bb.696:
	v_cmp_ne_u32_e32 vcc_lo, 0, v92
	v_cndmask_b32_e32 v92, 34, v92, vcc_lo
; %bb.697:
	s_and_not1_saveexec_b32 s0, s0
	s_cbranch_execz .LBB78_703
; %bb.698:
	v_cmp_ngt_f32_e64 s1, |v86|, |v87|
	s_and_saveexec_b32 s12, s1
	s_delay_alu instid0(SALU_CYCLE_1)
	s_xor_b32 s1, exec_lo, s12
	s_cbranch_execz .LBB78_700
; %bb.699:
	v_div_scale_f32 v89, null, v87, v87, v86
	v_div_scale_f32 v97, vcc_lo, v86, v87, v86
	s_delay_alu instid0(VALU_DEP_2) | instskip(SKIP_1) | instid1(TRANS32_DEP_1)
	v_rcp_f32_e32 v95, v89
	v_nop
	v_fma_f32 v96, -v89, v95, 1.0
	s_delay_alu instid0(VALU_DEP_1) | instskip(NEXT) | instid1(VALU_DEP_1)
	v_fmac_f32_e32 v95, v96, v95
	v_mul_f32_e32 v96, v97, v95
	s_delay_alu instid0(VALU_DEP_1) | instskip(NEXT) | instid1(VALU_DEP_1)
	v_fma_f32 v98, -v89, v96, v97
	v_fmac_f32_e32 v96, v98, v95
	s_delay_alu instid0(VALU_DEP_1) | instskip(NEXT) | instid1(VALU_DEP_1)
	v_fma_f32 v89, -v89, v96, v97
	v_div_fmas_f32 v89, v89, v95, v96
	s_delay_alu instid0(VALU_DEP_1) | instskip(NEXT) | instid1(VALU_DEP_1)
	v_div_fixup_f32 v89, v89, v87, v86
	v_fmac_f32_e32 v87, v86, v89
	s_delay_alu instid0(VALU_DEP_1) | instskip(SKIP_1) | instid1(VALU_DEP_2)
	v_div_scale_f32 v86, null, v87, v87, 1.0
	v_div_scale_f32 v97, vcc_lo, 1.0, v87, 1.0
	v_rcp_f32_e32 v95, v86
	v_nop
	s_delay_alu instid0(TRANS32_DEP_1) | instskip(NEXT) | instid1(VALU_DEP_1)
	v_fma_f32 v96, -v86, v95, 1.0
	v_fmac_f32_e32 v95, v96, v95
	s_delay_alu instid0(VALU_DEP_1) | instskip(NEXT) | instid1(VALU_DEP_1)
	v_mul_f32_e32 v96, v97, v95
	v_fma_f32 v98, -v86, v96, v97
	s_delay_alu instid0(VALU_DEP_1) | instskip(NEXT) | instid1(VALU_DEP_1)
	v_fmac_f32_e32 v96, v98, v95
	v_fma_f32 v86, -v86, v96, v97
	s_delay_alu instid0(VALU_DEP_1) | instskip(NEXT) | instid1(VALU_DEP_1)
	v_div_fmas_f32 v86, v86, v95, v96
	v_div_fixup_f32 v87, v86, v87, 1.0
	s_delay_alu instid0(VALU_DEP_1)
	v_mul_f32_e32 v86, v89, v87
	v_xor_b32_e32 v87, 0x80000000, v87
.LBB78_700:
	s_and_not1_saveexec_b32 s1, s1
	s_cbranch_execz .LBB78_702
; %bb.701:
	s_delay_alu instid0(VALU_DEP_1) | instskip(SKIP_1) | instid1(VALU_DEP_2)
	v_div_scale_f32 v89, null, v86, v86, v87
	v_div_scale_f32 v97, vcc_lo, v87, v86, v87
	v_rcp_f32_e32 v95, v89
	v_nop
	s_delay_alu instid0(TRANS32_DEP_1) | instskip(NEXT) | instid1(VALU_DEP_1)
	v_fma_f32 v96, -v89, v95, 1.0
	v_fmac_f32_e32 v95, v96, v95
	s_delay_alu instid0(VALU_DEP_1) | instskip(NEXT) | instid1(VALU_DEP_1)
	v_mul_f32_e32 v96, v97, v95
	v_fma_f32 v98, -v89, v96, v97
	s_delay_alu instid0(VALU_DEP_1) | instskip(NEXT) | instid1(VALU_DEP_1)
	v_fmac_f32_e32 v96, v98, v95
	v_fma_f32 v89, -v89, v96, v97
	s_delay_alu instid0(VALU_DEP_1) | instskip(NEXT) | instid1(VALU_DEP_1)
	v_div_fmas_f32 v89, v89, v95, v96
	v_div_fixup_f32 v89, v89, v86, v87
	s_delay_alu instid0(VALU_DEP_1) | instskip(NEXT) | instid1(VALU_DEP_1)
	v_fmac_f32_e32 v86, v87, v89
	v_div_scale_f32 v87, null, v86, v86, 1.0
	s_delay_alu instid0(VALU_DEP_1) | instskip(SKIP_1) | instid1(TRANS32_DEP_1)
	v_rcp_f32_e32 v95, v87
	v_nop
	v_fma_f32 v96, -v87, v95, 1.0
	s_delay_alu instid0(VALU_DEP_1) | instskip(SKIP_1) | instid1(VALU_DEP_1)
	v_fmac_f32_e32 v95, v96, v95
	v_div_scale_f32 v96, vcc_lo, 1.0, v86, 1.0
	v_mul_f32_e32 v97, v96, v95
	s_delay_alu instid0(VALU_DEP_1) | instskip(NEXT) | instid1(VALU_DEP_1)
	v_fma_f32 v98, -v87, v97, v96
	v_fmac_f32_e32 v97, v98, v95
	s_delay_alu instid0(VALU_DEP_1) | instskip(NEXT) | instid1(VALU_DEP_1)
	v_fma_f32 v87, -v87, v97, v96
	v_div_fmas_f32 v87, v87, v95, v97
	s_delay_alu instid0(VALU_DEP_1) | instskip(NEXT) | instid1(VALU_DEP_1)
	v_div_fixup_f32 v86, v87, v86, 1.0
	v_mul_f32_e64 v87, v89, -v86
.LBB78_702:
	s_or_b32 exec_lo, exec_lo, s1
.LBB78_703:
	s_delay_alu instid0(SALU_CYCLE_1) | instskip(NEXT) | instid1(SALU_CYCLE_1)
	s_or_b32 exec_lo, exec_lo, s0
	s_mov_b32 s0, exec_lo
	v_cmpx_ne_u32_e64 v94, v88
	s_xor_b32 s0, exec_lo, s0
	s_cbranch_execz .LBB78_709
; %bb.704:
	s_mov_b32 s1, exec_lo
	v_cmpx_eq_u32_e32 33, v94
	s_cbranch_execz .LBB78_708
; %bb.705:
	v_cmp_ne_u32_e32 vcc_lo, 33, v88
	s_xor_b32 s12, s16, -1
	s_delay_alu instid0(SALU_CYCLE_1) | instskip(NEXT) | instid1(SALU_CYCLE_1)
	s_and_b32 s13, s12, vcc_lo
	s_and_saveexec_b32 s12, s13
	s_cbranch_execz .LBB78_707
; %bb.706:
	v_ashrrev_i32_e32 v89, 31, v88
	s_delay_alu instid0(VALU_DEP_1)
	v_lshl_add_u64 v[94:95], v[88:89], 2, v[4:5]
	s_clause 0x1
	global_load_b32 v89, v[94:95], off
	global_load_b32 v93, v[4:5], off offset:132
	s_wait_loadcnt 0x1
	global_store_b32 v[4:5], v89, off offset:132
	s_wait_loadcnt 0x0
	global_store_b32 v[94:95], v93, off
.LBB78_707:
	s_wait_xcnt 0x0
	s_or_b32 exec_lo, exec_lo, s12
	v_dual_mov_b32 v94, v88 :: v_dual_mov_b32 v93, v88
.LBB78_708:
	s_or_b32 exec_lo, exec_lo, s1
.LBB78_709:
	s_and_not1_saveexec_b32 s0, s0
	s_cbranch_execz .LBB78_711
; %bb.710:
	v_dual_mov_b32 v88, v30 :: v_dual_mov_b32 v89, v31
	v_dual_mov_b32 v96, v8 :: v_dual_mov_b32 v97, v9
	;; [unrolled: 1-line block ×5, first 2 shown]
	v_mov_b32_e32 v103, v19
	ds_store_2addr_b64 v90, v[88:89], v[96:97] offset0:34 offset1:35
	ds_store_2addr_b64 v90, v[98:99], v[100:101] offset0:36 offset1:37
	;; [unrolled: 1-line block ×3, first 2 shown]
.LBB78_711:
	s_or_b32 exec_lo, exec_lo, s0
	s_delay_alu instid0(SALU_CYCLE_1)
	s_mov_b32 s0, exec_lo
	s_wait_storecnt_dscnt 0x0
	s_barrier_signal -1
	s_barrier_wait -1
	v_cmpx_lt_i32_e32 33, v94
	s_cbranch_execz .LBB78_713
; %bb.712:
	v_pk_mul_f32 v[88:89], v[86:87], v[28:29] op_sel:[1,1] op_sel_hi:[0,1]
	s_delay_alu instid0(VALU_DEP_1)
	v_pk_fma_f32 v[96:97], v[86:87], v[28:29], v[88:89] op_sel_hi:[1,0,1] neg_lo:[0,0,1] neg_hi:[0,0,1]
	v_pk_fma_f32 v[98:99], v[86:87], v[28:29], v[88:89] op_sel_hi:[1,0,1]
	ds_load_2addr_b64 v[86:89], v90 offset0:34 offset1:35
	v_dual_mov_b32 v28, v96 :: v_dual_mov_b32 v29, v99
	s_wait_dscnt 0x0
	v_pk_mul_f32 v[100:101], v[86:87], v[98:99] op_sel:[0,1]
	s_delay_alu instid0(VALU_DEP_1) | instskip(SKIP_1) | instid1(VALU_DEP_1)
	v_pk_fma_f32 v[102:103], v[86:87], v[96:97], v[100:101] op_sel:[0,0,1] op_sel_hi:[1,1,0] neg_lo:[0,0,1] neg_hi:[0,0,1]
	v_pk_fma_f32 v[86:87], v[86:87], v[96:97], v[100:101] op_sel:[0,0,1] op_sel_hi:[1,0,0]
	v_mov_b32_e32 v103, v87
	v_pk_mul_f32 v[86:87], v[88:89], v[98:99] op_sel:[0,1]
	s_delay_alu instid0(VALU_DEP_1) | instskip(SKIP_1) | instid1(VALU_DEP_1)
	v_pk_fma_f32 v[100:101], v[88:89], v[96:97], v[86:87] op_sel:[0,0,1] op_sel_hi:[1,1,0] neg_lo:[0,0,1] neg_hi:[0,0,1]
	v_pk_fma_f32 v[86:87], v[88:89], v[96:97], v[86:87] op_sel:[0,0,1] op_sel_hi:[1,0,0]
	v_mov_b32_e32 v101, v87
	ds_load_2addr_b64 v[86:89], v90 offset0:36 offset1:37
	v_pk_add_f32 v[30:31], v[30:31], v[102:103] neg_lo:[0,1] neg_hi:[0,1]
	v_pk_add_f32 v[8:9], v[8:9], v[100:101] neg_lo:[0,1] neg_hi:[0,1]
	s_wait_dscnt 0x0
	v_pk_mul_f32 v[100:101], v[86:87], v[98:99] op_sel:[0,1]
	s_delay_alu instid0(VALU_DEP_1) | instskip(SKIP_2) | instid1(VALU_DEP_2)
	v_pk_fma_f32 v[102:103], v[86:87], v[96:97], v[100:101] op_sel:[0,0,1] op_sel_hi:[1,1,0] neg_lo:[0,0,1] neg_hi:[0,0,1]
	v_pk_fma_f32 v[86:87], v[86:87], v[96:97], v[100:101] op_sel:[0,0,1] op_sel_hi:[1,0,0]
	v_dual_mul_f32 v100, v89, v99 :: v_dual_mov_b32 v86, v89
	v_dual_mov_b32 v103, v87 :: v_dual_mov_b32 v87, v88
	s_delay_alu instid0(VALU_DEP_2) | instskip(SKIP_1) | instid1(VALU_DEP_3)
	v_pk_fma_f32 v[100:101], v[88:89], v[28:29], v[100:101] op_sel_hi:[1,1,0] neg_lo:[0,0,1] neg_hi:[0,0,1]
	v_mul_f32_e32 v88, v89, v96
	v_pk_add_f32 v[26:27], v[26:27], v[102:103] neg_lo:[0,1] neg_hi:[0,1]
	s_delay_alu instid0(VALU_DEP_2) | instskip(NEXT) | instid1(VALU_DEP_1)
	v_pk_fma_f32 v[86:87], v[86:87], v[28:29], v[88:89] op_sel_hi:[1,1,0]
	v_mov_b32_e32 v101, v87
	ds_load_2addr_b64 v[86:89], v90 offset0:38 offset1:39
	v_pk_add_f32 v[20:21], v[20:21], v[100:101] neg_lo:[0,1] neg_hi:[0,1]
	s_wait_dscnt 0x0
	v_pk_mul_f32 v[100:101], v[86:87], v[98:99] op_sel:[0,1]
	v_mul_f32_e32 v98, v89, v99
	s_delay_alu instid0(VALU_DEP_2) | instskip(SKIP_2) | instid1(VALU_DEP_4)
	v_pk_fma_f32 v[102:103], v[86:87], v[96:97], v[100:101] op_sel:[0,0,1] op_sel_hi:[1,1,0] neg_lo:[0,0,1] neg_hi:[0,0,1]
	v_pk_fma_f32 v[86:87], v[86:87], v[96:97], v[100:101] op_sel:[0,0,1] op_sel_hi:[1,0,0]
	v_mov_b32_e32 v86, v89
	v_pk_fma_f32 v[98:99], v[88:89], v[28:29], v[98:99] op_sel_hi:[1,1,0] neg_lo:[0,0,1] neg_hi:[0,0,1]
	s_delay_alu instid0(VALU_DEP_3) | instskip(SKIP_1) | instid1(VALU_DEP_2)
	v_dual_mov_b32 v103, v87 :: v_dual_mov_b32 v87, v88
	v_mul_f32_e32 v88, v89, v96
	v_pk_add_f32 v[18:19], v[18:19], v[102:103] neg_lo:[0,1] neg_hi:[0,1]
	s_delay_alu instid0(VALU_DEP_2) | instskip(NEXT) | instid1(VALU_DEP_1)
	v_pk_fma_f32 v[86:87], v[86:87], v[28:29], v[88:89] op_sel_hi:[1,1,0]
	v_mov_b32_e32 v99, v87
	s_delay_alu instid0(VALU_DEP_1)
	v_pk_add_f32 v[84:85], v[84:85], v[98:99] neg_lo:[0,1] neg_hi:[0,1]
.LBB78_713:
	s_or_b32 exec_lo, exec_lo, s0
	v_lshl_add_u32 v86, v94, 3, v90
	s_barrier_signal -1
	s_barrier_wait -1
	ds_store_b64 v86, v[30:31]
	s_wait_dscnt 0x0
	s_barrier_signal -1
	s_barrier_wait -1
	ds_load_b64 v[86:87], v90 offset:272
	v_mov_b32_e32 v88, 34
	s_cmp_lt_i32 s18, 36
	s_cbranch_scc1 .LBB78_716
; %bb.714:
	v_add3_u32 v89, v91, 0, 0x118
	v_mov_b32_e32 v88, 34
	s_mov_b32 s0, 35
.LBB78_715:                             ; =>This Inner Loop Header: Depth=1
	ds_load_b64 v[96:97], v89
	s_wait_dscnt 0x1
	v_cmp_gt_f32_e32 vcc_lo, 0, v86
	v_cndmask_b32_e64 v98, v86, -v86, vcc_lo
	v_cmp_gt_f32_e32 vcc_lo, 0, v87
	v_cndmask_b32_e64 v100, v87, -v87, vcc_lo
	s_wait_dscnt 0x0
	v_cmp_gt_f32_e32 vcc_lo, 0, v96
	v_cndmask_b32_e64 v99, v96, -v96, vcc_lo
	v_cmp_gt_f32_e32 vcc_lo, 0, v97
	v_cndmask_b32_e64 v101, v97, -v97, vcc_lo
	s_delay_alu instid0(VALU_DEP_1) | instskip(NEXT) | instid1(VALU_DEP_1)
	v_pk_add_f32 v[98:99], v[98:99], v[100:101]
	v_cmp_lt_f32_e32 vcc_lo, v98, v99
	v_dual_cndmask_b32 v86, v86, v96 :: v_dual_add_nc_u32 v89, 8, v89
	v_cndmask_b32_e32 v87, v87, v97, vcc_lo
	v_cndmask_b32_e64 v88, v88, s0, vcc_lo
	s_add_co_i32 s0, s0, 1
	s_delay_alu instid0(SALU_CYCLE_1)
	s_cmp_lg_u32 s18, s0
	s_cbranch_scc1 .LBB78_715
.LBB78_716:
	s_wait_dscnt 0x0
	v_cmp_eq_f32_e32 vcc_lo, 0, v86
	v_cmp_eq_f32_e64 s0, 0, v87
	s_and_b32 s0, vcc_lo, s0
	s_delay_alu instid0(SALU_CYCLE_1) | instskip(NEXT) | instid1(SALU_CYCLE_1)
	s_and_saveexec_b32 s1, s0
	s_xor_b32 s0, exec_lo, s1
; %bb.717:
	v_cmp_ne_u32_e32 vcc_lo, 0, v92
	v_cndmask_b32_e32 v92, 35, v92, vcc_lo
; %bb.718:
	s_and_not1_saveexec_b32 s0, s0
	s_cbranch_execz .LBB78_724
; %bb.719:
	v_cmp_ngt_f32_e64 s1, |v86|, |v87|
	s_and_saveexec_b32 s12, s1
	s_delay_alu instid0(SALU_CYCLE_1)
	s_xor_b32 s1, exec_lo, s12
	s_cbranch_execz .LBB78_721
; %bb.720:
	v_div_scale_f32 v89, null, v87, v87, v86
	v_div_scale_f32 v97, vcc_lo, v86, v87, v86
	s_delay_alu instid0(VALU_DEP_2) | instskip(SKIP_1) | instid1(TRANS32_DEP_1)
	v_rcp_f32_e32 v95, v89
	v_nop
	v_fma_f32 v96, -v89, v95, 1.0
	s_delay_alu instid0(VALU_DEP_1) | instskip(NEXT) | instid1(VALU_DEP_1)
	v_fmac_f32_e32 v95, v96, v95
	v_mul_f32_e32 v96, v97, v95
	s_delay_alu instid0(VALU_DEP_1) | instskip(NEXT) | instid1(VALU_DEP_1)
	v_fma_f32 v98, -v89, v96, v97
	v_fmac_f32_e32 v96, v98, v95
	s_delay_alu instid0(VALU_DEP_1) | instskip(NEXT) | instid1(VALU_DEP_1)
	v_fma_f32 v89, -v89, v96, v97
	v_div_fmas_f32 v89, v89, v95, v96
	s_delay_alu instid0(VALU_DEP_1) | instskip(NEXT) | instid1(VALU_DEP_1)
	v_div_fixup_f32 v89, v89, v87, v86
	v_fmac_f32_e32 v87, v86, v89
	s_delay_alu instid0(VALU_DEP_1) | instskip(SKIP_1) | instid1(VALU_DEP_2)
	v_div_scale_f32 v86, null, v87, v87, 1.0
	v_div_scale_f32 v97, vcc_lo, 1.0, v87, 1.0
	v_rcp_f32_e32 v95, v86
	v_nop
	s_delay_alu instid0(TRANS32_DEP_1) | instskip(NEXT) | instid1(VALU_DEP_1)
	v_fma_f32 v96, -v86, v95, 1.0
	v_fmac_f32_e32 v95, v96, v95
	s_delay_alu instid0(VALU_DEP_1) | instskip(NEXT) | instid1(VALU_DEP_1)
	v_mul_f32_e32 v96, v97, v95
	v_fma_f32 v98, -v86, v96, v97
	s_delay_alu instid0(VALU_DEP_1) | instskip(NEXT) | instid1(VALU_DEP_1)
	v_fmac_f32_e32 v96, v98, v95
	v_fma_f32 v86, -v86, v96, v97
	s_delay_alu instid0(VALU_DEP_1) | instskip(NEXT) | instid1(VALU_DEP_1)
	v_div_fmas_f32 v86, v86, v95, v96
	v_div_fixup_f32 v87, v86, v87, 1.0
	s_delay_alu instid0(VALU_DEP_1)
	v_mul_f32_e32 v86, v89, v87
	v_xor_b32_e32 v87, 0x80000000, v87
.LBB78_721:
	s_and_not1_saveexec_b32 s1, s1
	s_cbranch_execz .LBB78_723
; %bb.722:
	s_delay_alu instid0(VALU_DEP_1) | instskip(SKIP_1) | instid1(VALU_DEP_2)
	v_div_scale_f32 v89, null, v86, v86, v87
	v_div_scale_f32 v97, vcc_lo, v87, v86, v87
	v_rcp_f32_e32 v95, v89
	v_nop
	s_delay_alu instid0(TRANS32_DEP_1) | instskip(NEXT) | instid1(VALU_DEP_1)
	v_fma_f32 v96, -v89, v95, 1.0
	v_fmac_f32_e32 v95, v96, v95
	s_delay_alu instid0(VALU_DEP_1) | instskip(NEXT) | instid1(VALU_DEP_1)
	v_mul_f32_e32 v96, v97, v95
	v_fma_f32 v98, -v89, v96, v97
	s_delay_alu instid0(VALU_DEP_1) | instskip(NEXT) | instid1(VALU_DEP_1)
	v_fmac_f32_e32 v96, v98, v95
	v_fma_f32 v89, -v89, v96, v97
	s_delay_alu instid0(VALU_DEP_1) | instskip(NEXT) | instid1(VALU_DEP_1)
	v_div_fmas_f32 v89, v89, v95, v96
	v_div_fixup_f32 v89, v89, v86, v87
	s_delay_alu instid0(VALU_DEP_1) | instskip(NEXT) | instid1(VALU_DEP_1)
	v_fmac_f32_e32 v86, v87, v89
	v_div_scale_f32 v87, null, v86, v86, 1.0
	s_delay_alu instid0(VALU_DEP_1) | instskip(SKIP_1) | instid1(TRANS32_DEP_1)
	v_rcp_f32_e32 v95, v87
	v_nop
	v_fma_f32 v96, -v87, v95, 1.0
	s_delay_alu instid0(VALU_DEP_1) | instskip(SKIP_1) | instid1(VALU_DEP_1)
	v_fmac_f32_e32 v95, v96, v95
	v_div_scale_f32 v96, vcc_lo, 1.0, v86, 1.0
	v_mul_f32_e32 v97, v96, v95
	s_delay_alu instid0(VALU_DEP_1) | instskip(NEXT) | instid1(VALU_DEP_1)
	v_fma_f32 v98, -v87, v97, v96
	v_fmac_f32_e32 v97, v98, v95
	s_delay_alu instid0(VALU_DEP_1) | instskip(NEXT) | instid1(VALU_DEP_1)
	v_fma_f32 v87, -v87, v97, v96
	v_div_fmas_f32 v87, v87, v95, v97
	s_delay_alu instid0(VALU_DEP_1) | instskip(NEXT) | instid1(VALU_DEP_1)
	v_div_fixup_f32 v86, v87, v86, 1.0
	v_mul_f32_e64 v87, v89, -v86
.LBB78_723:
	s_or_b32 exec_lo, exec_lo, s1
.LBB78_724:
	s_delay_alu instid0(SALU_CYCLE_1) | instskip(NEXT) | instid1(SALU_CYCLE_1)
	s_or_b32 exec_lo, exec_lo, s0
	s_mov_b32 s0, exec_lo
	v_cmpx_ne_u32_e64 v94, v88
	s_xor_b32 s0, exec_lo, s0
	s_cbranch_execz .LBB78_730
; %bb.725:
	s_mov_b32 s1, exec_lo
	v_cmpx_eq_u32_e32 34, v94
	s_cbranch_execz .LBB78_729
; %bb.726:
	v_cmp_ne_u32_e32 vcc_lo, 34, v88
	s_xor_b32 s12, s16, -1
	s_delay_alu instid0(SALU_CYCLE_1) | instskip(NEXT) | instid1(SALU_CYCLE_1)
	s_and_b32 s13, s12, vcc_lo
	s_and_saveexec_b32 s12, s13
	s_cbranch_execz .LBB78_728
; %bb.727:
	v_ashrrev_i32_e32 v89, 31, v88
	s_delay_alu instid0(VALU_DEP_1)
	v_lshl_add_u64 v[94:95], v[88:89], 2, v[4:5]
	s_clause 0x1
	global_load_b32 v89, v[94:95], off
	global_load_b32 v93, v[4:5], off offset:136
	s_wait_loadcnt 0x1
	global_store_b32 v[4:5], v89, off offset:136
	s_wait_loadcnt 0x0
	global_store_b32 v[94:95], v93, off
.LBB78_728:
	s_wait_xcnt 0x0
	s_or_b32 exec_lo, exec_lo, s12
	v_dual_mov_b32 v94, v88 :: v_dual_mov_b32 v93, v88
.LBB78_729:
	s_or_b32 exec_lo, exec_lo, s1
.LBB78_730:
	s_and_not1_saveexec_b32 s0, s0
	s_cbranch_execz .LBB78_732
; %bb.731:
	v_mov_b32_e32 v94, 34
	ds_store_2addr_b64 v90, v[8:9], v[26:27] offset0:35 offset1:36
	ds_store_2addr_b64 v90, v[20:21], v[18:19] offset0:37 offset1:38
	ds_store_b64 v90, v[84:85] offset:312
.LBB78_732:
	s_or_b32 exec_lo, exec_lo, s0
	s_delay_alu instid0(SALU_CYCLE_1)
	s_mov_b32 s0, exec_lo
	s_wait_storecnt_dscnt 0x0
	s_barrier_signal -1
	s_barrier_wait -1
	v_cmpx_lt_i32_e32 34, v94
	s_cbranch_execz .LBB78_734
; %bb.733:
	v_pk_mul_f32 v[88:89], v[86:87], v[30:31] op_sel:[1,1] op_sel_hi:[0,1]
	s_delay_alu instid0(VALU_DEP_1)
	v_pk_fma_f32 v[96:97], v[86:87], v[30:31], v[88:89] op_sel_hi:[1,0,1] neg_lo:[0,0,1] neg_hi:[0,0,1]
	v_pk_fma_f32 v[98:99], v[86:87], v[30:31], v[88:89] op_sel_hi:[1,0,1]
	ds_load_2addr_b64 v[86:89], v90 offset0:35 offset1:36
	v_dual_mov_b32 v30, v96 :: v_dual_mov_b32 v31, v99
	s_wait_dscnt 0x0
	v_pk_mul_f32 v[100:101], v[86:87], v[98:99] op_sel:[0,1]
	s_delay_alu instid0(VALU_DEP_1) | instskip(SKIP_1) | instid1(VALU_DEP_1)
	v_pk_fma_f32 v[102:103], v[86:87], v[96:97], v[100:101] op_sel:[0,0,1] op_sel_hi:[1,1,0] neg_lo:[0,0,1] neg_hi:[0,0,1]
	v_pk_fma_f32 v[86:87], v[86:87], v[96:97], v[100:101] op_sel:[0,0,1] op_sel_hi:[1,0,0]
	v_mov_b32_e32 v103, v87
	v_pk_mul_f32 v[86:87], v[88:89], v[98:99] op_sel:[0,1]
	s_delay_alu instid0(VALU_DEP_1) | instskip(SKIP_1) | instid1(VALU_DEP_1)
	v_pk_fma_f32 v[100:101], v[88:89], v[96:97], v[86:87] op_sel:[0,0,1] op_sel_hi:[1,1,0] neg_lo:[0,0,1] neg_hi:[0,0,1]
	v_pk_fma_f32 v[86:87], v[88:89], v[96:97], v[86:87] op_sel:[0,0,1] op_sel_hi:[1,0,0]
	v_mov_b32_e32 v101, v87
	ds_load_2addr_b64 v[86:89], v90 offset0:37 offset1:38
	v_pk_add_f32 v[8:9], v[8:9], v[102:103] neg_lo:[0,1] neg_hi:[0,1]
	v_pk_add_f32 v[26:27], v[26:27], v[100:101] neg_lo:[0,1] neg_hi:[0,1]
	s_wait_dscnt 0x0
	v_pk_mul_f32 v[100:101], v[86:87], v[98:99] op_sel:[0,1]
	s_delay_alu instid0(VALU_DEP_1) | instskip(SKIP_2) | instid1(VALU_DEP_2)
	v_pk_fma_f32 v[102:103], v[86:87], v[96:97], v[100:101] op_sel:[0,0,1] op_sel_hi:[1,1,0] neg_lo:[0,0,1] neg_hi:[0,0,1]
	v_pk_fma_f32 v[86:87], v[86:87], v[96:97], v[100:101] op_sel:[0,0,1] op_sel_hi:[1,0,0]
	v_dual_mul_f32 v100, v89, v99 :: v_dual_mov_b32 v86, v89
	v_dual_mov_b32 v103, v87 :: v_dual_mov_b32 v87, v88
	s_delay_alu instid0(VALU_DEP_2) | instskip(SKIP_1) | instid1(VALU_DEP_3)
	v_pk_fma_f32 v[100:101], v[88:89], v[30:31], v[100:101] op_sel_hi:[1,1,0] neg_lo:[0,0,1] neg_hi:[0,0,1]
	v_mul_f32_e32 v88, v89, v96
	v_pk_add_f32 v[20:21], v[20:21], v[102:103] neg_lo:[0,1] neg_hi:[0,1]
	s_delay_alu instid0(VALU_DEP_2) | instskip(NEXT) | instid1(VALU_DEP_1)
	v_pk_fma_f32 v[86:87], v[86:87], v[30:31], v[88:89] op_sel_hi:[1,1,0]
	v_mov_b32_e32 v101, v87
	ds_load_b64 v[86:87], v90 offset:312
	v_pk_add_f32 v[18:19], v[18:19], v[100:101] neg_lo:[0,1] neg_hi:[0,1]
	s_wait_dscnt 0x0
	v_pk_mul_f32 v[88:89], v[86:87], v[98:99] op_sel:[0,1]
	s_delay_alu instid0(VALU_DEP_1) | instskip(SKIP_1) | instid1(VALU_DEP_1)
	v_pk_fma_f32 v[98:99], v[86:87], v[96:97], v[88:89] op_sel:[0,0,1] op_sel_hi:[1,1,0] neg_lo:[0,0,1] neg_hi:[0,0,1]
	v_pk_fma_f32 v[86:87], v[86:87], v[96:97], v[88:89] op_sel:[0,0,1] op_sel_hi:[1,0,0]
	v_mov_b32_e32 v99, v87
	s_delay_alu instid0(VALU_DEP_1)
	v_pk_add_f32 v[84:85], v[84:85], v[98:99] neg_lo:[0,1] neg_hi:[0,1]
.LBB78_734:
	s_or_b32 exec_lo, exec_lo, s0
	v_lshl_add_u32 v86, v94, 3, v90
	s_barrier_signal -1
	s_barrier_wait -1
	ds_store_b64 v86, v[8:9]
	s_wait_dscnt 0x0
	s_barrier_signal -1
	s_barrier_wait -1
	ds_load_b64 v[86:87], v90 offset:280
	v_mov_b32_e32 v88, 35
	s_cmp_lt_i32 s18, 37
	s_cbranch_scc1 .LBB78_737
; %bb.735:
	v_add3_u32 v89, v91, 0, 0x120
	v_mov_b32_e32 v88, 35
	s_mov_b32 s0, 36
.LBB78_736:                             ; =>This Inner Loop Header: Depth=1
	ds_load_b64 v[96:97], v89
	s_wait_dscnt 0x1
	v_cmp_gt_f32_e32 vcc_lo, 0, v86
	v_cndmask_b32_e64 v98, v86, -v86, vcc_lo
	v_cmp_gt_f32_e32 vcc_lo, 0, v87
	v_cndmask_b32_e64 v100, v87, -v87, vcc_lo
	s_wait_dscnt 0x0
	v_cmp_gt_f32_e32 vcc_lo, 0, v96
	v_cndmask_b32_e64 v99, v96, -v96, vcc_lo
	v_cmp_gt_f32_e32 vcc_lo, 0, v97
	v_cndmask_b32_e64 v101, v97, -v97, vcc_lo
	s_delay_alu instid0(VALU_DEP_1) | instskip(NEXT) | instid1(VALU_DEP_1)
	v_pk_add_f32 v[98:99], v[98:99], v[100:101]
	v_cmp_lt_f32_e32 vcc_lo, v98, v99
	v_dual_cndmask_b32 v86, v86, v96 :: v_dual_add_nc_u32 v89, 8, v89
	v_cndmask_b32_e32 v87, v87, v97, vcc_lo
	v_cndmask_b32_e64 v88, v88, s0, vcc_lo
	s_add_co_i32 s0, s0, 1
	s_delay_alu instid0(SALU_CYCLE_1)
	s_cmp_lg_u32 s18, s0
	s_cbranch_scc1 .LBB78_736
.LBB78_737:
	s_wait_dscnt 0x0
	v_cmp_eq_f32_e32 vcc_lo, 0, v86
	v_cmp_eq_f32_e64 s0, 0, v87
	s_and_b32 s0, vcc_lo, s0
	s_delay_alu instid0(SALU_CYCLE_1) | instskip(NEXT) | instid1(SALU_CYCLE_1)
	s_and_saveexec_b32 s1, s0
	s_xor_b32 s0, exec_lo, s1
; %bb.738:
	v_cmp_ne_u32_e32 vcc_lo, 0, v92
	v_cndmask_b32_e32 v92, 36, v92, vcc_lo
; %bb.739:
	s_and_not1_saveexec_b32 s0, s0
	s_cbranch_execz .LBB78_745
; %bb.740:
	v_cmp_ngt_f32_e64 s1, |v86|, |v87|
	s_and_saveexec_b32 s12, s1
	s_delay_alu instid0(SALU_CYCLE_1)
	s_xor_b32 s1, exec_lo, s12
	s_cbranch_execz .LBB78_742
; %bb.741:
	v_div_scale_f32 v89, null, v87, v87, v86
	v_div_scale_f32 v97, vcc_lo, v86, v87, v86
	s_delay_alu instid0(VALU_DEP_2) | instskip(SKIP_1) | instid1(TRANS32_DEP_1)
	v_rcp_f32_e32 v95, v89
	v_nop
	v_fma_f32 v96, -v89, v95, 1.0
	s_delay_alu instid0(VALU_DEP_1) | instskip(NEXT) | instid1(VALU_DEP_1)
	v_fmac_f32_e32 v95, v96, v95
	v_mul_f32_e32 v96, v97, v95
	s_delay_alu instid0(VALU_DEP_1) | instskip(NEXT) | instid1(VALU_DEP_1)
	v_fma_f32 v98, -v89, v96, v97
	v_fmac_f32_e32 v96, v98, v95
	s_delay_alu instid0(VALU_DEP_1) | instskip(NEXT) | instid1(VALU_DEP_1)
	v_fma_f32 v89, -v89, v96, v97
	v_div_fmas_f32 v89, v89, v95, v96
	s_delay_alu instid0(VALU_DEP_1) | instskip(NEXT) | instid1(VALU_DEP_1)
	v_div_fixup_f32 v89, v89, v87, v86
	v_fmac_f32_e32 v87, v86, v89
	s_delay_alu instid0(VALU_DEP_1) | instskip(SKIP_1) | instid1(VALU_DEP_2)
	v_div_scale_f32 v86, null, v87, v87, 1.0
	v_div_scale_f32 v97, vcc_lo, 1.0, v87, 1.0
	v_rcp_f32_e32 v95, v86
	v_nop
	s_delay_alu instid0(TRANS32_DEP_1) | instskip(NEXT) | instid1(VALU_DEP_1)
	v_fma_f32 v96, -v86, v95, 1.0
	v_fmac_f32_e32 v95, v96, v95
	s_delay_alu instid0(VALU_DEP_1) | instskip(NEXT) | instid1(VALU_DEP_1)
	v_mul_f32_e32 v96, v97, v95
	v_fma_f32 v98, -v86, v96, v97
	s_delay_alu instid0(VALU_DEP_1) | instskip(NEXT) | instid1(VALU_DEP_1)
	v_fmac_f32_e32 v96, v98, v95
	v_fma_f32 v86, -v86, v96, v97
	s_delay_alu instid0(VALU_DEP_1) | instskip(NEXT) | instid1(VALU_DEP_1)
	v_div_fmas_f32 v86, v86, v95, v96
	v_div_fixup_f32 v87, v86, v87, 1.0
	s_delay_alu instid0(VALU_DEP_1)
	v_mul_f32_e32 v86, v89, v87
	v_xor_b32_e32 v87, 0x80000000, v87
.LBB78_742:
	s_and_not1_saveexec_b32 s1, s1
	s_cbranch_execz .LBB78_744
; %bb.743:
	s_delay_alu instid0(VALU_DEP_1) | instskip(SKIP_1) | instid1(VALU_DEP_2)
	v_div_scale_f32 v89, null, v86, v86, v87
	v_div_scale_f32 v97, vcc_lo, v87, v86, v87
	v_rcp_f32_e32 v95, v89
	v_nop
	s_delay_alu instid0(TRANS32_DEP_1) | instskip(NEXT) | instid1(VALU_DEP_1)
	v_fma_f32 v96, -v89, v95, 1.0
	v_fmac_f32_e32 v95, v96, v95
	s_delay_alu instid0(VALU_DEP_1) | instskip(NEXT) | instid1(VALU_DEP_1)
	v_mul_f32_e32 v96, v97, v95
	v_fma_f32 v98, -v89, v96, v97
	s_delay_alu instid0(VALU_DEP_1) | instskip(NEXT) | instid1(VALU_DEP_1)
	v_fmac_f32_e32 v96, v98, v95
	v_fma_f32 v89, -v89, v96, v97
	s_delay_alu instid0(VALU_DEP_1) | instskip(NEXT) | instid1(VALU_DEP_1)
	v_div_fmas_f32 v89, v89, v95, v96
	v_div_fixup_f32 v89, v89, v86, v87
	s_delay_alu instid0(VALU_DEP_1) | instskip(NEXT) | instid1(VALU_DEP_1)
	v_fmac_f32_e32 v86, v87, v89
	v_div_scale_f32 v87, null, v86, v86, 1.0
	s_delay_alu instid0(VALU_DEP_1) | instskip(SKIP_1) | instid1(TRANS32_DEP_1)
	v_rcp_f32_e32 v95, v87
	v_nop
	v_fma_f32 v96, -v87, v95, 1.0
	s_delay_alu instid0(VALU_DEP_1) | instskip(SKIP_1) | instid1(VALU_DEP_1)
	v_fmac_f32_e32 v95, v96, v95
	v_div_scale_f32 v96, vcc_lo, 1.0, v86, 1.0
	v_mul_f32_e32 v97, v96, v95
	s_delay_alu instid0(VALU_DEP_1) | instskip(NEXT) | instid1(VALU_DEP_1)
	v_fma_f32 v98, -v87, v97, v96
	v_fmac_f32_e32 v97, v98, v95
	s_delay_alu instid0(VALU_DEP_1) | instskip(NEXT) | instid1(VALU_DEP_1)
	v_fma_f32 v87, -v87, v97, v96
	v_div_fmas_f32 v87, v87, v95, v97
	s_delay_alu instid0(VALU_DEP_1) | instskip(NEXT) | instid1(VALU_DEP_1)
	v_div_fixup_f32 v86, v87, v86, 1.0
	v_mul_f32_e64 v87, v89, -v86
.LBB78_744:
	s_or_b32 exec_lo, exec_lo, s1
.LBB78_745:
	s_delay_alu instid0(SALU_CYCLE_1) | instskip(NEXT) | instid1(SALU_CYCLE_1)
	s_or_b32 exec_lo, exec_lo, s0
	s_mov_b32 s0, exec_lo
	v_cmpx_ne_u32_e64 v94, v88
	s_xor_b32 s0, exec_lo, s0
	s_cbranch_execz .LBB78_751
; %bb.746:
	s_mov_b32 s1, exec_lo
	v_cmpx_eq_u32_e32 35, v94
	s_cbranch_execz .LBB78_750
; %bb.747:
	v_cmp_ne_u32_e32 vcc_lo, 35, v88
	s_xor_b32 s12, s16, -1
	s_delay_alu instid0(SALU_CYCLE_1) | instskip(NEXT) | instid1(SALU_CYCLE_1)
	s_and_b32 s13, s12, vcc_lo
	s_and_saveexec_b32 s12, s13
	s_cbranch_execz .LBB78_749
; %bb.748:
	v_ashrrev_i32_e32 v89, 31, v88
	s_delay_alu instid0(VALU_DEP_1)
	v_lshl_add_u64 v[94:95], v[88:89], 2, v[4:5]
	s_clause 0x1
	global_load_b32 v89, v[94:95], off
	global_load_b32 v93, v[4:5], off offset:140
	s_wait_loadcnt 0x1
	global_store_b32 v[4:5], v89, off offset:140
	s_wait_loadcnt 0x0
	global_store_b32 v[94:95], v93, off
.LBB78_749:
	s_wait_xcnt 0x0
	s_or_b32 exec_lo, exec_lo, s12
	v_dual_mov_b32 v94, v88 :: v_dual_mov_b32 v93, v88
.LBB78_750:
	s_or_b32 exec_lo, exec_lo, s1
.LBB78_751:
	s_and_not1_saveexec_b32 s0, s0
	s_cbranch_execz .LBB78_753
; %bb.752:
	v_dual_mov_b32 v88, v26 :: v_dual_mov_b32 v89, v27
	v_dual_mov_b32 v96, v20 :: v_dual_mov_b32 v97, v21
	;; [unrolled: 1-line block ×3, first 2 shown]
	v_mov_b32_e32 v99, v19
	ds_store_2addr_b64 v90, v[88:89], v[96:97] offset0:36 offset1:37
	ds_store_2addr_b64 v90, v[98:99], v[84:85] offset0:38 offset1:39
.LBB78_753:
	s_or_b32 exec_lo, exec_lo, s0
	s_delay_alu instid0(SALU_CYCLE_1)
	s_mov_b32 s0, exec_lo
	s_wait_storecnt_dscnt 0x0
	s_barrier_signal -1
	s_barrier_wait -1
	v_cmpx_lt_i32_e32 35, v94
	s_cbranch_execz .LBB78_755
; %bb.754:
	v_pk_mul_f32 v[88:89], v[86:87], v[8:9] op_sel:[1,1] op_sel_hi:[0,1]
	s_delay_alu instid0(VALU_DEP_1)
	v_pk_fma_f32 v[96:97], v[86:87], v[8:9], v[88:89] op_sel_hi:[1,0,1] neg_lo:[0,0,1] neg_hi:[0,0,1]
	v_pk_fma_f32 v[98:99], v[86:87], v[8:9], v[88:89] op_sel_hi:[1,0,1]
	ds_load_2addr_b64 v[86:89], v90 offset0:36 offset1:37
	v_dual_mov_b32 v8, v96 :: v_dual_mov_b32 v9, v99
	s_wait_dscnt 0x0
	v_pk_mul_f32 v[100:101], v[86:87], v[98:99] op_sel:[0,1]
	s_delay_alu instid0(VALU_DEP_1) | instskip(SKIP_1) | instid1(VALU_DEP_1)
	v_pk_fma_f32 v[102:103], v[86:87], v[96:97], v[100:101] op_sel:[0,0,1] op_sel_hi:[1,1,0] neg_lo:[0,0,1] neg_hi:[0,0,1]
	v_pk_fma_f32 v[86:87], v[86:87], v[96:97], v[100:101] op_sel:[0,0,1] op_sel_hi:[1,0,0]
	v_mov_b32_e32 v103, v87
	v_pk_mul_f32 v[86:87], v[88:89], v[98:99] op_sel:[0,1]
	s_delay_alu instid0(VALU_DEP_1) | instskip(SKIP_1) | instid1(VALU_DEP_1)
	v_pk_fma_f32 v[100:101], v[88:89], v[96:97], v[86:87] op_sel:[0,0,1] op_sel_hi:[1,1,0] neg_lo:[0,0,1] neg_hi:[0,0,1]
	v_pk_fma_f32 v[86:87], v[88:89], v[96:97], v[86:87] op_sel:[0,0,1] op_sel_hi:[1,0,0]
	v_mov_b32_e32 v101, v87
	ds_load_2addr_b64 v[86:89], v90 offset0:38 offset1:39
	v_pk_add_f32 v[26:27], v[26:27], v[102:103] neg_lo:[0,1] neg_hi:[0,1]
	v_pk_add_f32 v[20:21], v[20:21], v[100:101] neg_lo:[0,1] neg_hi:[0,1]
	s_wait_dscnt 0x0
	v_pk_mul_f32 v[100:101], v[86:87], v[98:99] op_sel:[0,1]
	s_delay_alu instid0(VALU_DEP_1) | instskip(SKIP_1) | instid1(VALU_DEP_1)
	v_pk_fma_f32 v[102:103], v[86:87], v[96:97], v[100:101] op_sel:[0,0,1] op_sel_hi:[1,1,0] neg_lo:[0,0,1] neg_hi:[0,0,1]
	v_pk_fma_f32 v[86:87], v[86:87], v[96:97], v[100:101] op_sel:[0,0,1] op_sel_hi:[1,0,0]
	v_dual_mov_b32 v86, v89 :: v_dual_mov_b32 v103, v87
	v_mov_b32_e32 v87, v88
	s_delay_alu instid0(VALU_DEP_2) | instskip(NEXT) | instid1(VALU_DEP_2)
	v_pk_add_f32 v[18:19], v[18:19], v[102:103] neg_lo:[0,1] neg_hi:[0,1]
	v_pk_mul_f32 v[86:87], v[86:87], v[98:99] op_sel:[0,1]
	s_delay_alu instid0(VALU_DEP_1) | instskip(SKIP_1) | instid1(VALU_DEP_1)
	v_pk_fma_f32 v[98:99], v[88:89], v[96:97], v[86:87] neg_lo:[0,0,1] neg_hi:[0,0,1]
	v_pk_fma_f32 v[86:87], v[88:89], v[96:97], v[86:87] op_sel_hi:[1,0,1]
	v_mov_b32_e32 v99, v87
	s_delay_alu instid0(VALU_DEP_1)
	v_pk_add_f32 v[84:85], v[84:85], v[98:99] neg_lo:[0,1] neg_hi:[0,1]
.LBB78_755:
	s_or_b32 exec_lo, exec_lo, s0
	v_lshl_add_u32 v86, v94, 3, v90
	s_barrier_signal -1
	s_barrier_wait -1
	ds_store_b64 v86, v[26:27]
	s_wait_dscnt 0x0
	s_barrier_signal -1
	s_barrier_wait -1
	ds_load_b64 v[86:87], v90 offset:288
	v_mov_b32_e32 v88, 36
	s_cmp_lt_i32 s18, 38
	s_cbranch_scc1 .LBB78_758
; %bb.756:
	v_add3_u32 v89, v91, 0, 0x128
	v_mov_b32_e32 v88, 36
	s_mov_b32 s0, 37
.LBB78_757:                             ; =>This Inner Loop Header: Depth=1
	ds_load_b64 v[96:97], v89
	s_wait_dscnt 0x1
	v_cmp_gt_f32_e32 vcc_lo, 0, v86
	v_cndmask_b32_e64 v98, v86, -v86, vcc_lo
	v_cmp_gt_f32_e32 vcc_lo, 0, v87
	v_cndmask_b32_e64 v100, v87, -v87, vcc_lo
	s_wait_dscnt 0x0
	v_cmp_gt_f32_e32 vcc_lo, 0, v96
	v_cndmask_b32_e64 v99, v96, -v96, vcc_lo
	v_cmp_gt_f32_e32 vcc_lo, 0, v97
	v_cndmask_b32_e64 v101, v97, -v97, vcc_lo
	s_delay_alu instid0(VALU_DEP_1) | instskip(NEXT) | instid1(VALU_DEP_1)
	v_pk_add_f32 v[98:99], v[98:99], v[100:101]
	v_cmp_lt_f32_e32 vcc_lo, v98, v99
	v_dual_cndmask_b32 v86, v86, v96 :: v_dual_add_nc_u32 v89, 8, v89
	v_cndmask_b32_e32 v87, v87, v97, vcc_lo
	v_cndmask_b32_e64 v88, v88, s0, vcc_lo
	s_add_co_i32 s0, s0, 1
	s_delay_alu instid0(SALU_CYCLE_1)
	s_cmp_lg_u32 s18, s0
	s_cbranch_scc1 .LBB78_757
.LBB78_758:
	s_wait_dscnt 0x0
	v_cmp_eq_f32_e32 vcc_lo, 0, v86
	v_cmp_eq_f32_e64 s0, 0, v87
	s_and_b32 s0, vcc_lo, s0
	s_delay_alu instid0(SALU_CYCLE_1) | instskip(NEXT) | instid1(SALU_CYCLE_1)
	s_and_saveexec_b32 s1, s0
	s_xor_b32 s0, exec_lo, s1
; %bb.759:
	v_cmp_ne_u32_e32 vcc_lo, 0, v92
	v_cndmask_b32_e32 v92, 37, v92, vcc_lo
; %bb.760:
	s_and_not1_saveexec_b32 s0, s0
	s_cbranch_execz .LBB78_766
; %bb.761:
	v_cmp_ngt_f32_e64 s1, |v86|, |v87|
	s_and_saveexec_b32 s12, s1
	s_delay_alu instid0(SALU_CYCLE_1)
	s_xor_b32 s1, exec_lo, s12
	s_cbranch_execz .LBB78_763
; %bb.762:
	v_div_scale_f32 v89, null, v87, v87, v86
	v_div_scale_f32 v97, vcc_lo, v86, v87, v86
	s_delay_alu instid0(VALU_DEP_2) | instskip(SKIP_1) | instid1(TRANS32_DEP_1)
	v_rcp_f32_e32 v95, v89
	v_nop
	v_fma_f32 v96, -v89, v95, 1.0
	s_delay_alu instid0(VALU_DEP_1) | instskip(NEXT) | instid1(VALU_DEP_1)
	v_fmac_f32_e32 v95, v96, v95
	v_mul_f32_e32 v96, v97, v95
	s_delay_alu instid0(VALU_DEP_1) | instskip(NEXT) | instid1(VALU_DEP_1)
	v_fma_f32 v98, -v89, v96, v97
	v_fmac_f32_e32 v96, v98, v95
	s_delay_alu instid0(VALU_DEP_1) | instskip(NEXT) | instid1(VALU_DEP_1)
	v_fma_f32 v89, -v89, v96, v97
	v_div_fmas_f32 v89, v89, v95, v96
	s_delay_alu instid0(VALU_DEP_1) | instskip(NEXT) | instid1(VALU_DEP_1)
	v_div_fixup_f32 v89, v89, v87, v86
	v_fmac_f32_e32 v87, v86, v89
	s_delay_alu instid0(VALU_DEP_1) | instskip(SKIP_1) | instid1(VALU_DEP_2)
	v_div_scale_f32 v86, null, v87, v87, 1.0
	v_div_scale_f32 v97, vcc_lo, 1.0, v87, 1.0
	v_rcp_f32_e32 v95, v86
	v_nop
	s_delay_alu instid0(TRANS32_DEP_1) | instskip(NEXT) | instid1(VALU_DEP_1)
	v_fma_f32 v96, -v86, v95, 1.0
	v_fmac_f32_e32 v95, v96, v95
	s_delay_alu instid0(VALU_DEP_1) | instskip(NEXT) | instid1(VALU_DEP_1)
	v_mul_f32_e32 v96, v97, v95
	v_fma_f32 v98, -v86, v96, v97
	s_delay_alu instid0(VALU_DEP_1) | instskip(NEXT) | instid1(VALU_DEP_1)
	v_fmac_f32_e32 v96, v98, v95
	v_fma_f32 v86, -v86, v96, v97
	s_delay_alu instid0(VALU_DEP_1) | instskip(NEXT) | instid1(VALU_DEP_1)
	v_div_fmas_f32 v86, v86, v95, v96
	v_div_fixup_f32 v87, v86, v87, 1.0
	s_delay_alu instid0(VALU_DEP_1)
	v_mul_f32_e32 v86, v89, v87
	v_xor_b32_e32 v87, 0x80000000, v87
.LBB78_763:
	s_and_not1_saveexec_b32 s1, s1
	s_cbranch_execz .LBB78_765
; %bb.764:
	s_delay_alu instid0(VALU_DEP_1) | instskip(SKIP_1) | instid1(VALU_DEP_2)
	v_div_scale_f32 v89, null, v86, v86, v87
	v_div_scale_f32 v97, vcc_lo, v87, v86, v87
	v_rcp_f32_e32 v95, v89
	v_nop
	s_delay_alu instid0(TRANS32_DEP_1) | instskip(NEXT) | instid1(VALU_DEP_1)
	v_fma_f32 v96, -v89, v95, 1.0
	v_fmac_f32_e32 v95, v96, v95
	s_delay_alu instid0(VALU_DEP_1) | instskip(NEXT) | instid1(VALU_DEP_1)
	v_mul_f32_e32 v96, v97, v95
	v_fma_f32 v98, -v89, v96, v97
	s_delay_alu instid0(VALU_DEP_1) | instskip(NEXT) | instid1(VALU_DEP_1)
	v_fmac_f32_e32 v96, v98, v95
	v_fma_f32 v89, -v89, v96, v97
	s_delay_alu instid0(VALU_DEP_1) | instskip(NEXT) | instid1(VALU_DEP_1)
	v_div_fmas_f32 v89, v89, v95, v96
	v_div_fixup_f32 v89, v89, v86, v87
	s_delay_alu instid0(VALU_DEP_1) | instskip(NEXT) | instid1(VALU_DEP_1)
	v_fmac_f32_e32 v86, v87, v89
	v_div_scale_f32 v87, null, v86, v86, 1.0
	s_delay_alu instid0(VALU_DEP_1) | instskip(SKIP_1) | instid1(TRANS32_DEP_1)
	v_rcp_f32_e32 v95, v87
	v_nop
	v_fma_f32 v96, -v87, v95, 1.0
	s_delay_alu instid0(VALU_DEP_1) | instskip(SKIP_1) | instid1(VALU_DEP_1)
	v_fmac_f32_e32 v95, v96, v95
	v_div_scale_f32 v96, vcc_lo, 1.0, v86, 1.0
	v_mul_f32_e32 v97, v96, v95
	s_delay_alu instid0(VALU_DEP_1) | instskip(NEXT) | instid1(VALU_DEP_1)
	v_fma_f32 v98, -v87, v97, v96
	v_fmac_f32_e32 v97, v98, v95
	s_delay_alu instid0(VALU_DEP_1) | instskip(NEXT) | instid1(VALU_DEP_1)
	v_fma_f32 v87, -v87, v97, v96
	v_div_fmas_f32 v87, v87, v95, v97
	s_delay_alu instid0(VALU_DEP_1) | instskip(NEXT) | instid1(VALU_DEP_1)
	v_div_fixup_f32 v86, v87, v86, 1.0
	v_mul_f32_e64 v87, v89, -v86
.LBB78_765:
	s_or_b32 exec_lo, exec_lo, s1
.LBB78_766:
	s_delay_alu instid0(SALU_CYCLE_1) | instskip(NEXT) | instid1(SALU_CYCLE_1)
	s_or_b32 exec_lo, exec_lo, s0
	s_mov_b32 s0, exec_lo
	v_cmpx_ne_u32_e64 v94, v88
	s_xor_b32 s0, exec_lo, s0
	s_cbranch_execz .LBB78_772
; %bb.767:
	s_mov_b32 s1, exec_lo
	v_cmpx_eq_u32_e32 36, v94
	s_cbranch_execz .LBB78_771
; %bb.768:
	v_cmp_ne_u32_e32 vcc_lo, 36, v88
	s_xor_b32 s12, s16, -1
	s_delay_alu instid0(SALU_CYCLE_1) | instskip(NEXT) | instid1(SALU_CYCLE_1)
	s_and_b32 s13, s12, vcc_lo
	s_and_saveexec_b32 s12, s13
	s_cbranch_execz .LBB78_770
; %bb.769:
	v_ashrrev_i32_e32 v89, 31, v88
	s_delay_alu instid0(VALU_DEP_1)
	v_lshl_add_u64 v[94:95], v[88:89], 2, v[4:5]
	s_clause 0x1
	global_load_b32 v89, v[94:95], off
	global_load_b32 v93, v[4:5], off offset:144
	s_wait_loadcnt 0x1
	global_store_b32 v[4:5], v89, off offset:144
	s_wait_loadcnt 0x0
	global_store_b32 v[94:95], v93, off
.LBB78_770:
	s_wait_xcnt 0x0
	s_or_b32 exec_lo, exec_lo, s12
	v_dual_mov_b32 v94, v88 :: v_dual_mov_b32 v93, v88
.LBB78_771:
	s_or_b32 exec_lo, exec_lo, s1
.LBB78_772:
	s_and_not1_saveexec_b32 s0, s0
	s_cbranch_execz .LBB78_774
; %bb.773:
	v_mov_b32_e32 v94, 36
	ds_store_2addr_b64 v90, v[20:21], v[18:19] offset0:37 offset1:38
	ds_store_b64 v90, v[84:85] offset:312
.LBB78_774:
	s_or_b32 exec_lo, exec_lo, s0
	s_delay_alu instid0(SALU_CYCLE_1)
	s_mov_b32 s0, exec_lo
	s_wait_storecnt_dscnt 0x0
	s_barrier_signal -1
	s_barrier_wait -1
	v_cmpx_lt_i32_e32 36, v94
	s_cbranch_execz .LBB78_776
; %bb.775:
	ds_load_2addr_b64 v[96:99], v90 offset0:37 offset1:38
	ds_load_b64 v[88:89], v90 offset:312
	v_pk_mul_f32 v[100:101], v[86:87], v[26:27] op_sel:[1,1] op_sel_hi:[0,1]
	s_delay_alu instid0(VALU_DEP_1) | instskip(SKIP_2) | instid1(VALU_DEP_2)
	v_pk_fma_f32 v[102:103], v[86:87], v[26:27], v[100:101] op_sel_hi:[1,0,1]
	v_pk_fma_f32 v[26:27], v[86:87], v[26:27], v[100:101] op_sel_hi:[1,0,1] neg_lo:[0,0,1] neg_hi:[0,0,1]
	s_wait_dscnt 0x1
	v_pk_mul_f32 v[86:87], v[96:97], v[102:103] op_sel:[0,1]
	v_pk_mul_f32 v[100:101], v[98:99], v[102:103] op_sel:[0,1]
	s_wait_dscnt 0x0
	v_pk_mul_f32 v[104:105], v[88:89], v[102:103] op_sel:[1,1] op_sel_hi:[0,1]
	s_delay_alu instid0(VALU_DEP_3) | instskip(SKIP_2) | instid1(VALU_DEP_4)
	v_pk_fma_f32 v[106:107], v[96:97], v[26:27], v[86:87] op_sel:[0,0,1] op_sel_hi:[1,1,0] neg_lo:[0,0,1] neg_hi:[0,0,1]
	v_pk_fma_f32 v[86:87], v[96:97], v[26:27], v[86:87] op_sel:[0,0,1] op_sel_hi:[1,0,0]
	v_pk_fma_f32 v[96:97], v[98:99], v[26:27], v[100:101] op_sel:[0,0,1] op_sel_hi:[1,0,0]
	v_pk_fma_f32 v[108:109], v[88:89], v[26:27], v[104:105] op_sel_hi:[1,0,1]
	v_pk_fma_f32 v[98:99], v[98:99], v[26:27], v[100:101] op_sel:[0,0,1] op_sel_hi:[1,1,0] neg_lo:[0,0,1] neg_hi:[0,0,1]
	v_pk_fma_f32 v[88:89], v[88:89], v[26:27], v[104:105] neg_lo:[0,0,1] neg_hi:[0,0,1]
	s_delay_alu instid0(VALU_DEP_4) | instskip(NEXT) | instid1(VALU_DEP_4)
	v_dual_mov_b32 v107, v87 :: v_dual_mov_b32 v99, v97
	v_dual_mov_b32 v89, v109 :: v_dual_mov_b32 v27, v103
	s_delay_alu instid0(VALU_DEP_2) | instskip(NEXT) | instid1(VALU_DEP_3)
	v_pk_add_f32 v[20:21], v[20:21], v[106:107] neg_lo:[0,1] neg_hi:[0,1]
	v_pk_add_f32 v[18:19], v[18:19], v[98:99] neg_lo:[0,1] neg_hi:[0,1]
	s_delay_alu instid0(VALU_DEP_3)
	v_pk_add_f32 v[84:85], v[84:85], v[88:89] neg_lo:[0,1] neg_hi:[0,1]
.LBB78_776:
	s_or_b32 exec_lo, exec_lo, s0
	v_lshl_add_u32 v86, v94, 3, v90
	s_barrier_signal -1
	s_barrier_wait -1
	ds_store_b64 v86, v[20:21]
	s_wait_dscnt 0x0
	s_barrier_signal -1
	s_barrier_wait -1
	ds_load_b64 v[86:87], v90 offset:296
	v_mov_b32_e32 v88, 37
	s_cmp_lt_i32 s18, 39
	s_cbranch_scc1 .LBB78_779
; %bb.777:
	v_add3_u32 v89, v91, 0, 0x130
	v_mov_b32_e32 v88, 37
	s_mov_b32 s0, 38
.LBB78_778:                             ; =>This Inner Loop Header: Depth=1
	ds_load_b64 v[96:97], v89
	s_wait_dscnt 0x1
	v_cmp_gt_f32_e32 vcc_lo, 0, v86
	v_cndmask_b32_e64 v98, v86, -v86, vcc_lo
	v_cmp_gt_f32_e32 vcc_lo, 0, v87
	v_cndmask_b32_e64 v100, v87, -v87, vcc_lo
	s_wait_dscnt 0x0
	v_cmp_gt_f32_e32 vcc_lo, 0, v96
	v_cndmask_b32_e64 v99, v96, -v96, vcc_lo
	v_cmp_gt_f32_e32 vcc_lo, 0, v97
	v_cndmask_b32_e64 v101, v97, -v97, vcc_lo
	s_delay_alu instid0(VALU_DEP_1) | instskip(NEXT) | instid1(VALU_DEP_1)
	v_pk_add_f32 v[98:99], v[98:99], v[100:101]
	v_cmp_lt_f32_e32 vcc_lo, v98, v99
	v_dual_cndmask_b32 v86, v86, v96 :: v_dual_add_nc_u32 v89, 8, v89
	v_cndmask_b32_e32 v87, v87, v97, vcc_lo
	v_cndmask_b32_e64 v88, v88, s0, vcc_lo
	s_add_co_i32 s0, s0, 1
	s_delay_alu instid0(SALU_CYCLE_1)
	s_cmp_lg_u32 s18, s0
	s_cbranch_scc1 .LBB78_778
.LBB78_779:
	s_wait_dscnt 0x0
	v_cmp_eq_f32_e32 vcc_lo, 0, v86
	v_cmp_eq_f32_e64 s0, 0, v87
	s_and_b32 s0, vcc_lo, s0
	s_delay_alu instid0(SALU_CYCLE_1) | instskip(NEXT) | instid1(SALU_CYCLE_1)
	s_and_saveexec_b32 s1, s0
	s_xor_b32 s0, exec_lo, s1
; %bb.780:
	v_cmp_ne_u32_e32 vcc_lo, 0, v92
	v_cndmask_b32_e32 v92, 38, v92, vcc_lo
; %bb.781:
	s_and_not1_saveexec_b32 s0, s0
	s_cbranch_execz .LBB78_787
; %bb.782:
	v_cmp_ngt_f32_e64 s1, |v86|, |v87|
	s_and_saveexec_b32 s12, s1
	s_delay_alu instid0(SALU_CYCLE_1)
	s_xor_b32 s1, exec_lo, s12
	s_cbranch_execz .LBB78_784
; %bb.783:
	v_div_scale_f32 v89, null, v87, v87, v86
	v_div_scale_f32 v97, vcc_lo, v86, v87, v86
	s_delay_alu instid0(VALU_DEP_2) | instskip(SKIP_1) | instid1(TRANS32_DEP_1)
	v_rcp_f32_e32 v95, v89
	v_nop
	v_fma_f32 v96, -v89, v95, 1.0
	s_delay_alu instid0(VALU_DEP_1) | instskip(NEXT) | instid1(VALU_DEP_1)
	v_fmac_f32_e32 v95, v96, v95
	v_mul_f32_e32 v96, v97, v95
	s_delay_alu instid0(VALU_DEP_1) | instskip(NEXT) | instid1(VALU_DEP_1)
	v_fma_f32 v98, -v89, v96, v97
	v_fmac_f32_e32 v96, v98, v95
	s_delay_alu instid0(VALU_DEP_1) | instskip(NEXT) | instid1(VALU_DEP_1)
	v_fma_f32 v89, -v89, v96, v97
	v_div_fmas_f32 v89, v89, v95, v96
	s_delay_alu instid0(VALU_DEP_1) | instskip(NEXT) | instid1(VALU_DEP_1)
	v_div_fixup_f32 v89, v89, v87, v86
	v_fmac_f32_e32 v87, v86, v89
	s_delay_alu instid0(VALU_DEP_1) | instskip(SKIP_1) | instid1(VALU_DEP_2)
	v_div_scale_f32 v86, null, v87, v87, 1.0
	v_div_scale_f32 v97, vcc_lo, 1.0, v87, 1.0
	v_rcp_f32_e32 v95, v86
	v_nop
	s_delay_alu instid0(TRANS32_DEP_1) | instskip(NEXT) | instid1(VALU_DEP_1)
	v_fma_f32 v96, -v86, v95, 1.0
	v_fmac_f32_e32 v95, v96, v95
	s_delay_alu instid0(VALU_DEP_1) | instskip(NEXT) | instid1(VALU_DEP_1)
	v_mul_f32_e32 v96, v97, v95
	v_fma_f32 v98, -v86, v96, v97
	s_delay_alu instid0(VALU_DEP_1) | instskip(NEXT) | instid1(VALU_DEP_1)
	v_fmac_f32_e32 v96, v98, v95
	v_fma_f32 v86, -v86, v96, v97
	s_delay_alu instid0(VALU_DEP_1) | instskip(NEXT) | instid1(VALU_DEP_1)
	v_div_fmas_f32 v86, v86, v95, v96
	v_div_fixup_f32 v87, v86, v87, 1.0
	s_delay_alu instid0(VALU_DEP_1)
	v_mul_f32_e32 v86, v89, v87
	v_xor_b32_e32 v87, 0x80000000, v87
.LBB78_784:
	s_and_not1_saveexec_b32 s1, s1
	s_cbranch_execz .LBB78_786
; %bb.785:
	s_delay_alu instid0(VALU_DEP_1) | instskip(SKIP_1) | instid1(VALU_DEP_2)
	v_div_scale_f32 v89, null, v86, v86, v87
	v_div_scale_f32 v97, vcc_lo, v87, v86, v87
	v_rcp_f32_e32 v95, v89
	v_nop
	s_delay_alu instid0(TRANS32_DEP_1) | instskip(NEXT) | instid1(VALU_DEP_1)
	v_fma_f32 v96, -v89, v95, 1.0
	v_fmac_f32_e32 v95, v96, v95
	s_delay_alu instid0(VALU_DEP_1) | instskip(NEXT) | instid1(VALU_DEP_1)
	v_mul_f32_e32 v96, v97, v95
	v_fma_f32 v98, -v89, v96, v97
	s_delay_alu instid0(VALU_DEP_1) | instskip(NEXT) | instid1(VALU_DEP_1)
	v_fmac_f32_e32 v96, v98, v95
	v_fma_f32 v89, -v89, v96, v97
	s_delay_alu instid0(VALU_DEP_1) | instskip(NEXT) | instid1(VALU_DEP_1)
	v_div_fmas_f32 v89, v89, v95, v96
	v_div_fixup_f32 v89, v89, v86, v87
	s_delay_alu instid0(VALU_DEP_1) | instskip(NEXT) | instid1(VALU_DEP_1)
	v_fmac_f32_e32 v86, v87, v89
	v_div_scale_f32 v87, null, v86, v86, 1.0
	s_delay_alu instid0(VALU_DEP_1) | instskip(SKIP_1) | instid1(TRANS32_DEP_1)
	v_rcp_f32_e32 v95, v87
	v_nop
	v_fma_f32 v96, -v87, v95, 1.0
	s_delay_alu instid0(VALU_DEP_1) | instskip(SKIP_1) | instid1(VALU_DEP_1)
	v_fmac_f32_e32 v95, v96, v95
	v_div_scale_f32 v96, vcc_lo, 1.0, v86, 1.0
	v_mul_f32_e32 v97, v96, v95
	s_delay_alu instid0(VALU_DEP_1) | instskip(NEXT) | instid1(VALU_DEP_1)
	v_fma_f32 v98, -v87, v97, v96
	v_fmac_f32_e32 v97, v98, v95
	s_delay_alu instid0(VALU_DEP_1) | instskip(NEXT) | instid1(VALU_DEP_1)
	v_fma_f32 v87, -v87, v97, v96
	v_div_fmas_f32 v87, v87, v95, v97
	s_delay_alu instid0(VALU_DEP_1) | instskip(NEXT) | instid1(VALU_DEP_1)
	v_div_fixup_f32 v86, v87, v86, 1.0
	v_mul_f32_e64 v87, v89, -v86
.LBB78_786:
	s_or_b32 exec_lo, exec_lo, s1
.LBB78_787:
	s_delay_alu instid0(SALU_CYCLE_1) | instskip(NEXT) | instid1(SALU_CYCLE_1)
	s_or_b32 exec_lo, exec_lo, s0
	s_mov_b32 s0, exec_lo
	v_cmpx_ne_u32_e64 v94, v88
	s_xor_b32 s0, exec_lo, s0
	s_cbranch_execz .LBB78_793
; %bb.788:
	s_mov_b32 s1, exec_lo
	v_cmpx_eq_u32_e32 37, v94
	s_cbranch_execz .LBB78_792
; %bb.789:
	v_cmp_ne_u32_e32 vcc_lo, 37, v88
	s_xor_b32 s12, s16, -1
	s_delay_alu instid0(SALU_CYCLE_1) | instskip(NEXT) | instid1(SALU_CYCLE_1)
	s_and_b32 s13, s12, vcc_lo
	s_and_saveexec_b32 s12, s13
	s_cbranch_execz .LBB78_791
; %bb.790:
	v_ashrrev_i32_e32 v89, 31, v88
	s_delay_alu instid0(VALU_DEP_1)
	v_lshl_add_u64 v[94:95], v[88:89], 2, v[4:5]
	s_clause 0x1
	global_load_b32 v89, v[94:95], off
	global_load_b32 v93, v[4:5], off offset:148
	s_wait_loadcnt 0x1
	global_store_b32 v[4:5], v89, off offset:148
	s_wait_loadcnt 0x0
	global_store_b32 v[94:95], v93, off
.LBB78_791:
	s_wait_xcnt 0x0
	s_or_b32 exec_lo, exec_lo, s12
	v_dual_mov_b32 v94, v88 :: v_dual_mov_b32 v93, v88
.LBB78_792:
	s_or_b32 exec_lo, exec_lo, s1
.LBB78_793:
	s_and_not1_saveexec_b32 s0, s0
; %bb.794:
	v_dual_mov_b32 v88, v18 :: v_dual_mov_b32 v89, v19
	v_mov_b32_e32 v94, 37
	ds_store_2addr_b64 v90, v[88:89], v[84:85] offset0:38 offset1:39
; %bb.795:
	s_or_b32 exec_lo, exec_lo, s0
	s_delay_alu instid0(SALU_CYCLE_1)
	s_mov_b32 s0, exec_lo
	s_wait_storecnt_dscnt 0x0
	s_barrier_signal -1
	s_barrier_wait -1
	v_cmpx_lt_i32_e32 37, v94
	s_cbranch_execz .LBB78_797
; %bb.796:
	ds_load_2addr_b64 v[96:99], v90 offset0:38 offset1:39
	v_pk_mul_f32 v[88:89], v[86:87], v[20:21] op_sel:[1,1] op_sel_hi:[0,1]
	s_delay_alu instid0(VALU_DEP_1) | instskip(SKIP_3) | instid1(VALU_DEP_3)
	v_pk_fma_f32 v[100:101], v[86:87], v[20:21], v[88:89] op_sel_hi:[1,0,1]
	v_pk_fma_f32 v[20:21], v[86:87], v[20:21], v[88:89] op_sel_hi:[1,0,1] neg_lo:[0,0,1] neg_hi:[0,0,1]
	s_wait_dscnt 0x0
	v_dual_mov_b32 v102, v99 :: v_dual_mov_b32 v103, v98
	v_pk_mul_f32 v[86:87], v[96:97], v[100:101] op_sel:[0,1]
	s_delay_alu instid0(VALU_DEP_2) | instskip(NEXT) | instid1(VALU_DEP_2)
	v_pk_mul_f32 v[88:89], v[102:103], v[100:101] op_sel:[0,1]
	v_pk_fma_f32 v[102:103], v[96:97], v[20:21], v[86:87] op_sel:[0,0,1] op_sel_hi:[1,0,0]
	v_pk_fma_f32 v[86:87], v[96:97], v[20:21], v[86:87] op_sel:[0,0,1] op_sel_hi:[1,1,0] neg_lo:[0,0,1] neg_hi:[0,0,1]
	s_delay_alu instid0(VALU_DEP_3) | instskip(SKIP_1) | instid1(VALU_DEP_4)
	v_pk_fma_f32 v[104:105], v[98:99], v[20:21], v[88:89] op_sel_hi:[1,0,1]
	v_pk_fma_f32 v[88:89], v[98:99], v[20:21], v[88:89] neg_lo:[0,0,1] neg_hi:[0,0,1]
	v_dual_mov_b32 v87, v103 :: v_dual_mov_b32 v21, v101
	s_delay_alu instid0(VALU_DEP_3) | instskip(NEXT) | instid1(VALU_DEP_2)
	v_mov_b32_e32 v89, v105
	v_pk_add_f32 v[18:19], v[18:19], v[86:87] neg_lo:[0,1] neg_hi:[0,1]
	s_delay_alu instid0(VALU_DEP_2)
	v_pk_add_f32 v[84:85], v[84:85], v[88:89] neg_lo:[0,1] neg_hi:[0,1]
.LBB78_797:
	s_or_b32 exec_lo, exec_lo, s0
	v_lshl_add_u32 v86, v94, 3, v90
	s_barrier_signal -1
	s_barrier_wait -1
	ds_store_b64 v86, v[18:19]
	s_wait_dscnt 0x0
	s_barrier_signal -1
	s_barrier_wait -1
	ds_load_b64 v[86:87], v90 offset:304
	v_mov_b32_e32 v88, 38
	s_cmp_lt_i32 s18, 40
	s_cbranch_scc1 .LBB78_800
; %bb.798:
	v_add3_u32 v89, v91, 0, 0x138
	v_mov_b32_e32 v88, 38
	s_mov_b32 s0, 39
.LBB78_799:                             ; =>This Inner Loop Header: Depth=1
	ds_load_b64 v[96:97], v89
	s_wait_dscnt 0x1
	v_cmp_gt_f32_e32 vcc_lo, 0, v86
	v_cndmask_b32_e64 v98, v86, -v86, vcc_lo
	v_cmp_gt_f32_e32 vcc_lo, 0, v87
	v_cndmask_b32_e64 v100, v87, -v87, vcc_lo
	s_wait_dscnt 0x0
	v_cmp_gt_f32_e32 vcc_lo, 0, v96
	v_cndmask_b32_e64 v99, v96, -v96, vcc_lo
	v_cmp_gt_f32_e32 vcc_lo, 0, v97
	v_cndmask_b32_e64 v101, v97, -v97, vcc_lo
	s_delay_alu instid0(VALU_DEP_1) | instskip(NEXT) | instid1(VALU_DEP_1)
	v_pk_add_f32 v[98:99], v[98:99], v[100:101]
	v_cmp_lt_f32_e32 vcc_lo, v98, v99
	v_dual_cndmask_b32 v86, v86, v96 :: v_dual_add_nc_u32 v89, 8, v89
	v_cndmask_b32_e32 v87, v87, v97, vcc_lo
	v_cndmask_b32_e64 v88, v88, s0, vcc_lo
	s_add_co_i32 s0, s0, 1
	s_delay_alu instid0(SALU_CYCLE_1)
	s_cmp_lg_u32 s18, s0
	s_cbranch_scc1 .LBB78_799
.LBB78_800:
	s_wait_dscnt 0x0
	v_cmp_eq_f32_e32 vcc_lo, 0, v86
	v_cmp_eq_f32_e64 s0, 0, v87
	s_and_b32 s0, vcc_lo, s0
	s_delay_alu instid0(SALU_CYCLE_1) | instskip(NEXT) | instid1(SALU_CYCLE_1)
	s_and_saveexec_b32 s1, s0
	s_xor_b32 s0, exec_lo, s1
; %bb.801:
	v_cmp_ne_u32_e32 vcc_lo, 0, v92
	v_cndmask_b32_e32 v92, 39, v92, vcc_lo
; %bb.802:
	s_and_not1_saveexec_b32 s0, s0
	s_cbranch_execz .LBB78_808
; %bb.803:
	v_cmp_ngt_f32_e64 s1, |v86|, |v87|
	s_and_saveexec_b32 s12, s1
	s_delay_alu instid0(SALU_CYCLE_1)
	s_xor_b32 s1, exec_lo, s12
	s_cbranch_execz .LBB78_805
; %bb.804:
	v_div_scale_f32 v89, null, v87, v87, v86
	v_div_scale_f32 v97, vcc_lo, v86, v87, v86
	s_delay_alu instid0(VALU_DEP_2) | instskip(SKIP_1) | instid1(TRANS32_DEP_1)
	v_rcp_f32_e32 v95, v89
	v_nop
	v_fma_f32 v96, -v89, v95, 1.0
	s_delay_alu instid0(VALU_DEP_1) | instskip(NEXT) | instid1(VALU_DEP_1)
	v_fmac_f32_e32 v95, v96, v95
	v_mul_f32_e32 v96, v97, v95
	s_delay_alu instid0(VALU_DEP_1) | instskip(NEXT) | instid1(VALU_DEP_1)
	v_fma_f32 v98, -v89, v96, v97
	v_fmac_f32_e32 v96, v98, v95
	s_delay_alu instid0(VALU_DEP_1) | instskip(NEXT) | instid1(VALU_DEP_1)
	v_fma_f32 v89, -v89, v96, v97
	v_div_fmas_f32 v89, v89, v95, v96
	s_delay_alu instid0(VALU_DEP_1) | instskip(NEXT) | instid1(VALU_DEP_1)
	v_div_fixup_f32 v89, v89, v87, v86
	v_fmac_f32_e32 v87, v86, v89
	s_delay_alu instid0(VALU_DEP_1) | instskip(SKIP_1) | instid1(VALU_DEP_2)
	v_div_scale_f32 v86, null, v87, v87, 1.0
	v_div_scale_f32 v97, vcc_lo, 1.0, v87, 1.0
	v_rcp_f32_e32 v95, v86
	v_nop
	s_delay_alu instid0(TRANS32_DEP_1) | instskip(NEXT) | instid1(VALU_DEP_1)
	v_fma_f32 v96, -v86, v95, 1.0
	v_fmac_f32_e32 v95, v96, v95
	s_delay_alu instid0(VALU_DEP_1) | instskip(NEXT) | instid1(VALU_DEP_1)
	v_mul_f32_e32 v96, v97, v95
	v_fma_f32 v98, -v86, v96, v97
	s_delay_alu instid0(VALU_DEP_1) | instskip(NEXT) | instid1(VALU_DEP_1)
	v_fmac_f32_e32 v96, v98, v95
	v_fma_f32 v86, -v86, v96, v97
	s_delay_alu instid0(VALU_DEP_1) | instskip(NEXT) | instid1(VALU_DEP_1)
	v_div_fmas_f32 v86, v86, v95, v96
	v_div_fixup_f32 v87, v86, v87, 1.0
	s_delay_alu instid0(VALU_DEP_1)
	v_mul_f32_e32 v86, v89, v87
	v_xor_b32_e32 v87, 0x80000000, v87
.LBB78_805:
	s_and_not1_saveexec_b32 s1, s1
	s_cbranch_execz .LBB78_807
; %bb.806:
	s_delay_alu instid0(VALU_DEP_1) | instskip(SKIP_1) | instid1(VALU_DEP_2)
	v_div_scale_f32 v89, null, v86, v86, v87
	v_div_scale_f32 v97, vcc_lo, v87, v86, v87
	v_rcp_f32_e32 v95, v89
	v_nop
	s_delay_alu instid0(TRANS32_DEP_1) | instskip(NEXT) | instid1(VALU_DEP_1)
	v_fma_f32 v96, -v89, v95, 1.0
	v_fmac_f32_e32 v95, v96, v95
	s_delay_alu instid0(VALU_DEP_1) | instskip(NEXT) | instid1(VALU_DEP_1)
	v_mul_f32_e32 v96, v97, v95
	v_fma_f32 v98, -v89, v96, v97
	s_delay_alu instid0(VALU_DEP_1) | instskip(NEXT) | instid1(VALU_DEP_1)
	v_fmac_f32_e32 v96, v98, v95
	v_fma_f32 v89, -v89, v96, v97
	s_delay_alu instid0(VALU_DEP_1) | instskip(NEXT) | instid1(VALU_DEP_1)
	v_div_fmas_f32 v89, v89, v95, v96
	v_div_fixup_f32 v89, v89, v86, v87
	s_delay_alu instid0(VALU_DEP_1) | instskip(NEXT) | instid1(VALU_DEP_1)
	v_fmac_f32_e32 v86, v87, v89
	v_div_scale_f32 v87, null, v86, v86, 1.0
	s_delay_alu instid0(VALU_DEP_1) | instskip(SKIP_1) | instid1(TRANS32_DEP_1)
	v_rcp_f32_e32 v95, v87
	v_nop
	v_fma_f32 v96, -v87, v95, 1.0
	s_delay_alu instid0(VALU_DEP_1) | instskip(SKIP_1) | instid1(VALU_DEP_1)
	v_fmac_f32_e32 v95, v96, v95
	v_div_scale_f32 v96, vcc_lo, 1.0, v86, 1.0
	v_mul_f32_e32 v97, v96, v95
	s_delay_alu instid0(VALU_DEP_1) | instskip(NEXT) | instid1(VALU_DEP_1)
	v_fma_f32 v98, -v87, v97, v96
	v_fmac_f32_e32 v97, v98, v95
	s_delay_alu instid0(VALU_DEP_1) | instskip(NEXT) | instid1(VALU_DEP_1)
	v_fma_f32 v87, -v87, v97, v96
	v_div_fmas_f32 v87, v87, v95, v97
	s_delay_alu instid0(VALU_DEP_1) | instskip(NEXT) | instid1(VALU_DEP_1)
	v_div_fixup_f32 v86, v87, v86, 1.0
	v_mul_f32_e64 v87, v89, -v86
.LBB78_807:
	s_or_b32 exec_lo, exec_lo, s1
.LBB78_808:
	s_delay_alu instid0(SALU_CYCLE_1) | instskip(NEXT) | instid1(SALU_CYCLE_1)
	s_or_b32 exec_lo, exec_lo, s0
	s_mov_b32 s0, exec_lo
	v_cmpx_ne_u32_e64 v94, v88
	s_xor_b32 s0, exec_lo, s0
	s_cbranch_execz .LBB78_814
; %bb.809:
	s_mov_b32 s1, exec_lo
	v_cmpx_eq_u32_e32 38, v94
	s_cbranch_execz .LBB78_813
; %bb.810:
	v_cmp_ne_u32_e32 vcc_lo, 38, v88
	s_xor_b32 s12, s16, -1
	s_delay_alu instid0(SALU_CYCLE_1) | instskip(NEXT) | instid1(SALU_CYCLE_1)
	s_and_b32 s13, s12, vcc_lo
	s_and_saveexec_b32 s12, s13
	s_cbranch_execz .LBB78_812
; %bb.811:
	v_ashrrev_i32_e32 v89, 31, v88
	s_delay_alu instid0(VALU_DEP_1)
	v_lshl_add_u64 v[94:95], v[88:89], 2, v[4:5]
	s_clause 0x1
	global_load_b32 v89, v[94:95], off
	global_load_b32 v93, v[4:5], off offset:152
	s_wait_loadcnt 0x1
	global_store_b32 v[4:5], v89, off offset:152
	s_wait_loadcnt 0x0
	global_store_b32 v[94:95], v93, off
.LBB78_812:
	s_wait_xcnt 0x0
	s_or_b32 exec_lo, exec_lo, s12
	v_dual_mov_b32 v94, v88 :: v_dual_mov_b32 v93, v88
.LBB78_813:
	s_or_b32 exec_lo, exec_lo, s1
.LBB78_814:
	s_and_not1_saveexec_b32 s0, s0
; %bb.815:
	v_mov_b32_e32 v94, 38
	ds_store_b64 v90, v[84:85] offset:312
; %bb.816:
	s_or_b32 exec_lo, exec_lo, s0
	s_delay_alu instid0(SALU_CYCLE_1)
	s_mov_b32 s0, exec_lo
	s_wait_storecnt_dscnt 0x0
	s_barrier_signal -1
	s_barrier_wait -1
	v_cmpx_lt_i32_e32 38, v94
	s_cbranch_execz .LBB78_818
; %bb.817:
	ds_load_b64 v[88:89], v90 offset:312
	v_pk_mul_f32 v[96:97], v[86:87], v[18:19] op_sel:[1,1] op_sel_hi:[0,1]
	s_delay_alu instid0(VALU_DEP_1) | instskip(SKIP_2) | instid1(VALU_DEP_2)
	v_pk_fma_f32 v[98:99], v[86:87], v[18:19], v[96:97] op_sel_hi:[1,0,1]
	v_pk_fma_f32 v[18:19], v[86:87], v[18:19], v[96:97] op_sel_hi:[1,0,1] neg_lo:[0,0,1] neg_hi:[0,0,1]
	s_wait_dscnt 0x0
	v_pk_mul_f32 v[86:87], v[88:89], v[98:99] op_sel:[1,1] op_sel_hi:[0,1]
	s_delay_alu instid0(VALU_DEP_1) | instskip(SKIP_1) | instid1(VALU_DEP_2)
	v_pk_fma_f32 v[96:97], v[88:89], v[18:19], v[86:87] op_sel_hi:[1,0,1]
	v_pk_fma_f32 v[86:87], v[88:89], v[18:19], v[86:87] neg_lo:[0,0,1] neg_hi:[0,0,1]
	v_dual_mov_b32 v19, v99 :: v_dual_mov_b32 v87, v97
	s_delay_alu instid0(VALU_DEP_1)
	v_pk_add_f32 v[84:85], v[84:85], v[86:87] neg_lo:[0,1] neg_hi:[0,1]
.LBB78_818:
	s_or_b32 exec_lo, exec_lo, s0
	v_lshl_add_u32 v86, v94, 3, v90
	s_barrier_signal -1
	s_barrier_wait -1
	ds_store_b64 v86, v[84:85]
	s_wait_dscnt 0x0
	s_barrier_signal -1
	s_barrier_wait -1
	ds_load_b64 v[86:87], v90 offset:312
	v_mov_b32_e32 v88, 39
	s_cmp_lt_i32 s18, 41
	s_cbranch_scc1 .LBB78_821
; %bb.819:
	v_add3_u32 v89, v91, 0, 0x140
	v_mov_b32_e32 v88, 39
	s_mov_b32 s0, 40
.LBB78_820:                             ; =>This Inner Loop Header: Depth=1
	ds_load_b64 v[90:91], v89
	s_wait_dscnt 0x1
	v_cmp_gt_f32_e32 vcc_lo, 0, v86
	v_cndmask_b32_e64 v96, v86, -v86, vcc_lo
	v_cmp_gt_f32_e32 vcc_lo, 0, v87
	v_cndmask_b32_e64 v98, v87, -v87, vcc_lo
	s_wait_dscnt 0x0
	v_cmp_gt_f32_e32 vcc_lo, 0, v90
	v_cndmask_b32_e64 v97, v90, -v90, vcc_lo
	v_cmp_gt_f32_e32 vcc_lo, 0, v91
	v_cndmask_b32_e64 v99, v91, -v91, vcc_lo
	s_delay_alu instid0(VALU_DEP_1) | instskip(NEXT) | instid1(VALU_DEP_1)
	v_pk_add_f32 v[96:97], v[96:97], v[98:99]
	v_cmp_lt_f32_e32 vcc_lo, v96, v97
	v_dual_add_nc_u32 v89, 8, v89 :: v_dual_cndmask_b32 v87, v87, v91, vcc_lo
	v_cndmask_b32_e32 v86, v86, v90, vcc_lo
	v_cndmask_b32_e64 v88, v88, s0, vcc_lo
	s_add_co_i32 s0, s0, 1
	s_delay_alu instid0(SALU_CYCLE_1)
	s_cmp_lg_u32 s18, s0
	s_cbranch_scc1 .LBB78_820
.LBB78_821:
	s_wait_dscnt 0x0
	v_cmp_eq_f32_e32 vcc_lo, 0, v86
	v_cmp_eq_f32_e64 s0, 0, v87
	s_and_b32 s0, vcc_lo, s0
	s_delay_alu instid0(SALU_CYCLE_1) | instskip(NEXT) | instid1(SALU_CYCLE_1)
	s_and_saveexec_b32 s1, s0
	s_xor_b32 s0, exec_lo, s1
; %bb.822:
	v_cmp_ne_u32_e32 vcc_lo, 0, v92
	v_cndmask_b32_e32 v92, 40, v92, vcc_lo
; %bb.823:
	s_and_not1_saveexec_b32 s0, s0
	s_cbranch_execz .LBB78_829
; %bb.824:
	v_cmp_ngt_f32_e64 s1, |v86|, |v87|
	s_and_saveexec_b32 s12, s1
	s_delay_alu instid0(SALU_CYCLE_1)
	s_xor_b32 s1, exec_lo, s12
	s_cbranch_execz .LBB78_826
; %bb.825:
	v_div_scale_f32 v89, null, v87, v87, v86
	v_div_scale_f32 v95, vcc_lo, v86, v87, v86
	s_delay_alu instid0(VALU_DEP_2) | instskip(SKIP_1) | instid1(TRANS32_DEP_1)
	v_rcp_f32_e32 v90, v89
	v_nop
	v_fma_f32 v91, -v89, v90, 1.0
	s_delay_alu instid0(VALU_DEP_1) | instskip(NEXT) | instid1(VALU_DEP_1)
	v_fmac_f32_e32 v90, v91, v90
	v_mul_f32_e32 v91, v95, v90
	s_delay_alu instid0(VALU_DEP_1) | instskip(NEXT) | instid1(VALU_DEP_1)
	v_fma_f32 v96, -v89, v91, v95
	v_fmac_f32_e32 v91, v96, v90
	s_delay_alu instid0(VALU_DEP_1) | instskip(NEXT) | instid1(VALU_DEP_1)
	v_fma_f32 v89, -v89, v91, v95
	v_div_fmas_f32 v89, v89, v90, v91
	s_delay_alu instid0(VALU_DEP_1) | instskip(NEXT) | instid1(VALU_DEP_1)
	v_div_fixup_f32 v89, v89, v87, v86
	v_fmac_f32_e32 v87, v86, v89
	s_delay_alu instid0(VALU_DEP_1) | instskip(SKIP_1) | instid1(VALU_DEP_2)
	v_div_scale_f32 v86, null, v87, v87, 1.0
	v_div_scale_f32 v95, vcc_lo, 1.0, v87, 1.0
	v_rcp_f32_e32 v90, v86
	v_nop
	s_delay_alu instid0(TRANS32_DEP_1) | instskip(NEXT) | instid1(VALU_DEP_1)
	v_fma_f32 v91, -v86, v90, 1.0
	v_fmac_f32_e32 v90, v91, v90
	s_delay_alu instid0(VALU_DEP_1) | instskip(NEXT) | instid1(VALU_DEP_1)
	v_mul_f32_e32 v91, v95, v90
	v_fma_f32 v96, -v86, v91, v95
	s_delay_alu instid0(VALU_DEP_1) | instskip(NEXT) | instid1(VALU_DEP_1)
	v_fmac_f32_e32 v91, v96, v90
	v_fma_f32 v86, -v86, v91, v95
	s_delay_alu instid0(VALU_DEP_1) | instskip(NEXT) | instid1(VALU_DEP_1)
	v_div_fmas_f32 v86, v86, v90, v91
	v_div_fixup_f32 v87, v86, v87, 1.0
	s_delay_alu instid0(VALU_DEP_1)
	v_mul_f32_e32 v86, v89, v87
	v_xor_b32_e32 v87, 0x80000000, v87
.LBB78_826:
	s_and_not1_saveexec_b32 s1, s1
	s_cbranch_execz .LBB78_828
; %bb.827:
	s_delay_alu instid0(VALU_DEP_1) | instskip(SKIP_1) | instid1(VALU_DEP_2)
	v_div_scale_f32 v89, null, v86, v86, v87
	v_div_scale_f32 v95, vcc_lo, v87, v86, v87
	v_rcp_f32_e32 v90, v89
	v_nop
	s_delay_alu instid0(TRANS32_DEP_1) | instskip(NEXT) | instid1(VALU_DEP_1)
	v_fma_f32 v91, -v89, v90, 1.0
	v_fmac_f32_e32 v90, v91, v90
	s_delay_alu instid0(VALU_DEP_1) | instskip(NEXT) | instid1(VALU_DEP_1)
	v_mul_f32_e32 v91, v95, v90
	v_fma_f32 v96, -v89, v91, v95
	s_delay_alu instid0(VALU_DEP_1) | instskip(NEXT) | instid1(VALU_DEP_1)
	v_fmac_f32_e32 v91, v96, v90
	v_fma_f32 v89, -v89, v91, v95
	s_delay_alu instid0(VALU_DEP_1) | instskip(NEXT) | instid1(VALU_DEP_1)
	v_div_fmas_f32 v89, v89, v90, v91
	v_div_fixup_f32 v89, v89, v86, v87
	s_delay_alu instid0(VALU_DEP_1) | instskip(NEXT) | instid1(VALU_DEP_1)
	v_fmac_f32_e32 v86, v87, v89
	v_div_scale_f32 v87, null, v86, v86, 1.0
	s_delay_alu instid0(VALU_DEP_1) | instskip(SKIP_1) | instid1(TRANS32_DEP_1)
	v_rcp_f32_e32 v90, v87
	v_nop
	v_fma_f32 v91, -v87, v90, 1.0
	s_delay_alu instid0(VALU_DEP_1) | instskip(SKIP_1) | instid1(VALU_DEP_1)
	v_fmac_f32_e32 v90, v91, v90
	v_div_scale_f32 v91, vcc_lo, 1.0, v86, 1.0
	v_mul_f32_e32 v95, v91, v90
	s_delay_alu instid0(VALU_DEP_1) | instskip(NEXT) | instid1(VALU_DEP_1)
	v_fma_f32 v96, -v87, v95, v91
	v_fmac_f32_e32 v95, v96, v90
	s_delay_alu instid0(VALU_DEP_1) | instskip(NEXT) | instid1(VALU_DEP_1)
	v_fma_f32 v87, -v87, v95, v91
	v_div_fmas_f32 v87, v87, v90, v95
	s_delay_alu instid0(VALU_DEP_1) | instskip(NEXT) | instid1(VALU_DEP_1)
	v_div_fixup_f32 v86, v87, v86, 1.0
	v_mul_f32_e64 v87, v89, -v86
.LBB78_828:
	s_or_b32 exec_lo, exec_lo, s1
.LBB78_829:
	s_delay_alu instid0(SALU_CYCLE_1)
	s_or_b32 exec_lo, exec_lo, s0
	v_mov_b32_e32 v90, 39
	s_mov_b32 s0, exec_lo
	v_cmpx_ne_u32_e64 v94, v88
	s_cbranch_execz .LBB78_835
; %bb.830:
	s_mov_b32 s1, exec_lo
	v_cmpx_eq_u32_e32 39, v94
	s_cbranch_execz .LBB78_834
; %bb.831:
	v_cmp_ne_u32_e32 vcc_lo, 39, v88
	s_xor_b32 s12, s16, -1
	s_delay_alu instid0(SALU_CYCLE_1) | instskip(NEXT) | instid1(SALU_CYCLE_1)
	s_and_b32 s13, s12, vcc_lo
	s_and_saveexec_b32 s12, s13
	s_cbranch_execz .LBB78_833
; %bb.832:
	v_ashrrev_i32_e32 v89, 31, v88
	s_delay_alu instid0(VALU_DEP_1)
	v_lshl_add_u64 v[90:91], v[88:89], 2, v[4:5]
	s_clause 0x1
	global_load_b32 v89, v[90:91], off
	global_load_b32 v93, v[4:5], off offset:156
	s_wait_loadcnt 0x1
	global_store_b32 v[4:5], v89, off offset:156
	s_wait_loadcnt 0x0
	global_store_b32 v[90:91], v93, off
.LBB78_833:
	s_wait_xcnt 0x0
	s_or_b32 exec_lo, exec_lo, s12
	v_dual_mov_b32 v94, v88 :: v_dual_mov_b32 v93, v88
.LBB78_834:
	s_or_b32 exec_lo, exec_lo, s1
	s_delay_alu instid0(VALU_DEP_1)
	v_mov_b32_e32 v90, v94
.LBB78_835:
	s_or_b32 exec_lo, exec_lo, s0
	s_delay_alu instid0(VALU_DEP_1)
	v_ashrrev_i32_e32 v91, 31, v90
	s_mov_b32 s0, exec_lo
	s_wait_storecnt 0x0
	s_barrier_signal -1
	s_barrier_wait -1
	s_barrier_signal -1
	s_barrier_wait -1
	v_cmpx_gt_i32_e32 40, v90
	s_cbranch_execz .LBB78_837
; %bb.836:
	v_mul_u64_e32 v[4:5], s[10:11], v[2:3]
	v_add3_u32 v88, v93, s17, 1
	s_delay_alu instid0(VALU_DEP_2) | instskip(NEXT) | instid1(VALU_DEP_1)
	v_lshl_add_u64 v[4:5], v[4:5], 2, s[6:7]
	v_lshl_add_u64 v[4:5], s[8:9], 2, v[4:5]
	s_delay_alu instid0(VALU_DEP_1)
	v_lshl_add_u64 v[4:5], v[90:91], 2, v[4:5]
	global_store_b32 v[4:5], v88, off
.LBB78_837:
	s_wait_xcnt 0x0
	s_or_b32 exec_lo, exec_lo, s0
	s_delay_alu instid0(SALU_CYCLE_1)
	s_mov_b32 s1, exec_lo
	v_cmpx_eq_u32_e32 0, v90
	s_cbranch_execz .LBB78_840
; %bb.838:
	s_wait_kmcnt 0x0
	v_lshl_add_u64 v[2:3], v[2:3], 2, s[4:5]
	v_cmp_ne_u32_e64 s0, 0, v92
	global_load_b32 v4, v[2:3], off
	s_wait_loadcnt 0x0
	v_cmp_eq_u32_e32 vcc_lo, 0, v4
	s_and_b32 s0, vcc_lo, s0
	s_wait_xcnt 0x0
	s_and_b32 exec_lo, exec_lo, s0
	s_cbranch_execz .LBB78_840
; %bb.839:
	v_add_nc_u32_e32 v4, s17, v92
	global_store_b32 v[2:3], v4, off
.LBB78_840:
	s_wait_xcnt 0x0
	s_or_b32 exec_lo, exec_lo, s1
	v_add3_u32 v4, s2, s2, v90
	v_pk_mul_f32 v[2:3], v[86:87], v[84:85] op_sel:[1,1] op_sel_hi:[0,1]
	v_cmp_lt_i32_e32 vcc_lo, 39, v90
	v_lshl_add_u64 v[90:91], v[90:91], 3, v[0:1]
	s_delay_alu instid0(VALU_DEP_4) | instskip(NEXT) | instid1(VALU_DEP_4)
	v_add_nc_u32_e32 v88, s2, v4
	v_pk_fma_f32 v[106:107], v[86:87], v[84:85], v[2:3] op_sel_hi:[1,0,1]
	v_pk_fma_f32 v[2:3], v[86:87], v[84:85], v[2:3] neg_lo:[0,0,1] neg_hi:[0,0,1]
	global_store_b64 v[90:91], v[82:83], off
	s_wait_xcnt 0x0
	v_lshl_add_u64 v[82:83], s[2:3], 3, v[90:91]
	v_dual_cndmask_b32 v3, v85, v107 :: v_dual_add_nc_u32 v92, s2, v88
	v_dual_cndmask_b32 v2, v84, v2 :: v_dual_ashrrev_i32 v5, 31, v4
	s_delay_alu instid0(VALU_DEP_2) | instskip(NEXT) | instid1(VALU_DEP_2)
	v_add_nc_u32_e32 v94, s2, v92
	v_lshl_add_u64 v[4:5], v[4:5], 3, v[0:1]
	s_clause 0x1
	global_store_b64 v[82:83], v[80:81], off
	global_store_b64 v[4:5], v[78:79], off
	v_add_nc_u32_e32 v96, s2, v94
	s_delay_alu instid0(VALU_DEP_1) | instskip(NEXT) | instid1(VALU_DEP_1)
	v_add_nc_u32_e32 v98, s2, v96
	v_dual_add_nc_u32 v100, s2, v98 :: v_dual_ashrrev_i32 v99, 31, v98
	s_delay_alu instid0(VALU_DEP_1) | instskip(NEXT) | instid1(VALU_DEP_1)
	v_dual_add_nc_u32 v102, s2, v100 :: v_dual_ashrrev_i32 v101, 31, v100
	v_dual_ashrrev_i32 v103, 31, v102 :: v_dual_add_nc_u32 v104, s2, v102
	v_dual_ashrrev_i32 v89, 31, v88 :: v_dual_ashrrev_i32 v95, 31, v94
	s_delay_alu instid0(VALU_DEP_2) | instskip(SKIP_1) | instid1(VALU_DEP_2)
	v_add_nc_u32_e32 v86, s2, v104
	s_wait_xcnt 0x1
	v_lshl_add_u64 v[80:81], v[88:89], 3, v[0:1]
	s_delay_alu instid0(VALU_DEP_3) | instskip(NEXT) | instid1(VALU_DEP_3)
	v_lshl_add_u64 v[88:89], v[94:95], 3, v[0:1]
	v_add_nc_u32_e32 v84, s2, v86
	s_delay_alu instid0(VALU_DEP_1) | instskip(NEXT) | instid1(VALU_DEP_1)
	v_add_nc_u32_e32 v106, s2, v84
	v_dual_add_nc_u32 v90, s2, v106 :: v_dual_ashrrev_i32 v85, 31, v84
	v_ashrrev_i32_e32 v87, 31, v86
	s_wait_xcnt 0x0
	s_delay_alu instid0(VALU_DEP_2) | instskip(NEXT) | instid1(VALU_DEP_1)
	v_dual_add_nc_u32 v4, s2, v90 :: v_dual_ashrrev_i32 v91, 31, v90
	v_dual_ashrrev_i32 v107, 31, v106 :: v_dual_add_nc_u32 v78, s2, v4
	s_delay_alu instid0(VALU_DEP_1) | instskip(SKIP_1) | instid1(VALU_DEP_2)
	v_dual_ashrrev_i32 v93, 31, v92 :: v_dual_add_nc_u32 v94, s2, v78
	v_ashrrev_i32_e32 v97, 31, v96
	v_lshl_add_u64 v[82:83], v[92:93], 3, v[0:1]
	v_dual_ashrrev_i32 v5, 31, v4 :: v_dual_ashrrev_i32 v79, 31, v78
	s_delay_alu instid0(VALU_DEP_4) | instskip(NEXT) | instid1(VALU_DEP_4)
	v_ashrrev_i32_e32 v95, 31, v94
	v_lshl_add_u64 v[92:93], v[96:97], 3, v[0:1]
	s_clause 0x3
	global_store_b64 v[80:81], v[76:77], off
	global_store_b64 v[82:83], v[44:45], off
	;; [unrolled: 1-line block ×4, first 2 shown]
	s_wait_xcnt 0x1
	v_add_nc_u32_e32 v40, s2, v94
	v_lshl_add_u64 v[44:45], v[98:99], 3, v[0:1]
	v_lshl_add_u64 v[76:77], v[100:101], 3, v[0:1]
	;; [unrolled: 1-line block ×4, first 2 shown]
	s_wait_xcnt 0x0
	v_add_nc_u32_e32 v42, s2, v40
	s_delay_alu instid0(VALU_DEP_1) | instskip(NEXT) | instid1(VALU_DEP_1)
	v_dual_ashrrev_i32 v105, 31, v104 :: v_dual_add_nc_u32 v88, s2, v42
	v_lshl_add_u64 v[82:83], v[104:105], 3, v[0:1]
	s_clause 0x3
	global_store_b64 v[44:45], v[10:11], off
	global_store_b64 v[76:77], v[50:51], off
	;; [unrolled: 1-line block ×4, first 2 shown]
	s_wait_xcnt 0x1
	v_lshl_add_u64 v[46:47], v[86:87], 3, v[0:1]
	v_add_nc_u32_e32 v10, s2, v88
	s_wait_xcnt 0x0
	v_lshl_add_u64 v[48:49], v[84:85], 3, v[0:1]
	v_lshl_add_u64 v[50:51], v[106:107], 3, v[0:1]
	;; [unrolled: 1-line block ×3, first 2 shown]
	s_clause 0x3
	global_store_b64 v[46:47], v[12:13], off
	global_store_b64 v[48:49], v[74:75], off
	;; [unrolled: 1-line block ×4, first 2 shown]
	v_add_nc_u32_e32 v44, s2, v10
	s_wait_xcnt 0x1
	v_lshl_add_u64 v[50:51], v[94:95], 3, v[0:1]
	v_dual_ashrrev_i32 v43, 31, v42 :: v_dual_ashrrev_i32 v89, 31, v88
	v_lshl_add_u64 v[48:49], v[78:79], 3, v[0:1]
	v_add_nc_u32_e32 v80, s2, v44
	s_delay_alu instid0(VALU_DEP_1) | instskip(SKIP_1) | instid1(VALU_DEP_2)
	v_dual_add_nc_u32 v12, s2, v80 :: v_dual_ashrrev_i32 v11, 31, v10
	v_ashrrev_i32_e32 v45, 31, v44
	v_add_nc_u32_e32 v46, s2, v12
	v_ashrrev_i32_e32 v41, 31, v40
	s_delay_alu instid0(VALU_DEP_4) | instskip(NEXT) | instid1(VALU_DEP_4)
	v_lshl_add_u64 v[10:11], v[10:11], 3, v[0:1]
	v_lshl_add_u64 v[44:45], v[44:45], 3, v[0:1]
	s_delay_alu instid0(VALU_DEP_4) | instskip(NEXT) | instid1(VALU_DEP_4)
	v_add_nc_u32_e32 v70, s2, v46
	v_lshl_add_u64 v[40:41], v[40:41], 3, v[0:1]
	s_clause 0x3
	global_store_b64 v[4:5], v[24:25], off
	global_store_b64 v[48:49], v[68:69], off
	;; [unrolled: 1-line block ×4, first 2 shown]
	s_wait_xcnt 0x0
	v_lshl_add_u64 v[40:41], v[42:43], 3, v[0:1]
	v_add_nc_u32_e32 v4, s2, v70
	v_ashrrev_i32_e32 v47, 31, v46
	v_lshl_add_u64 v[42:43], v[88:89], 3, v[0:1]
	s_clause 0x3
	global_store_b64 v[40:41], v[22:23], off
	global_store_b64 v[42:43], v[62:63], off
	;; [unrolled: 1-line block ×4, first 2 shown]
	v_dual_add_nc_u32 v24, s2, v4 :: v_dual_ashrrev_i32 v71, 31, v70
	s_wait_xcnt 0x2
	v_lshl_add_u64 v[42:43], v[46:47], 3, v[0:1]
	s_delay_alu instid0(VALU_DEP_2) | instskip(SKIP_2) | instid1(VALU_DEP_2)
	v_add_nc_u32_e32 v48, s2, v24
	s_wait_xcnt 0x0
	v_lshl_add_u64 v[44:45], v[70:71], 3, v[0:1]
	v_add_nc_u32_e32 v10, s2, v48
	s_delay_alu instid0(VALU_DEP_1) | instskip(NEXT) | instid1(VALU_DEP_1)
	v_dual_ashrrev_i32 v81, 31, v80 :: v_dual_add_nc_u32 v22, s2, v10
	v_lshl_add_u64 v[40:41], v[80:81], 3, v[0:1]
	s_delay_alu instid0(VALU_DEP_2) | instskip(SKIP_2) | instid1(VALU_DEP_2)
	v_dual_ashrrev_i32 v49, 31, v48 :: v_dual_ashrrev_i32 v23, 31, v22
	v_dual_add_nc_u32 v46, s2, v22 :: v_dual_ashrrev_i32 v13, 31, v12
	v_dual_ashrrev_i32 v5, 31, v4 :: v_dual_ashrrev_i32 v11, 31, v10
	v_ashrrev_i32_e32 v47, 31, v46
	s_delay_alu instid0(VALU_DEP_3)
	v_lshl_add_u64 v[12:13], v[12:13], 3, v[0:1]
	s_clause 0x3
	global_store_b64 v[40:41], v[16:17], off
	global_store_b64 v[12:13], v[56:57], off
	;; [unrolled: 1-line block ×4, first 2 shown]
	s_wait_xcnt 0x2
	v_add_nc_u32_e32 v12, s2, v46
	v_lshl_add_u64 v[4:5], v[4:5], 3, v[0:1]
	v_lshl_add_u64 v[40:41], v[48:49], 3, v[0:1]
	;; [unrolled: 1-line block ×3, first 2 shown]
	s_delay_alu instid0(VALU_DEP_4) | instskip(SKIP_1) | instid1(VALU_DEP_1)
	v_add_nc_u32_e32 v16, s2, v12
	s_wait_xcnt 0x1
	v_dual_add_nc_u32 v42, s2, v16 :: v_dual_ashrrev_i32 v17, 31, v16
	s_delay_alu instid0(VALU_DEP_1) | instskip(NEXT) | instid1(VALU_DEP_2)
	v_dual_ashrrev_i32 v25, 31, v24 :: v_dual_ashrrev_i32 v43, 31, v42
	v_lshl_add_u64 v[16:17], v[16:17], 3, v[0:1]
	s_delay_alu instid0(VALU_DEP_2)
	v_lshl_add_u64 v[24:25], v[24:25], 3, v[0:1]
	s_clause 0x3
	global_store_b64 v[4:5], v[14:15], off
	global_store_b64 v[24:25], v[38:39], off
	;; [unrolled: 1-line block ×4, first 2 shown]
	s_wait_xcnt 0x3
	v_add_nc_u32_e32 v4, s2, v42
	v_lshl_add_u64 v[14:15], v[22:23], 3, v[0:1]
	v_lshl_add_u64 v[22:23], v[46:47], 3, v[0:1]
	s_wait_xcnt 0x0
	s_delay_alu instid0(VALU_DEP_3) | instskip(NEXT) | instid1(VALU_DEP_1)
	v_add_nc_u32_e32 v10, s2, v4
	v_dual_ashrrev_i32 v13, 31, v12 :: v_dual_add_nc_u32 v24, s2, v10
	s_delay_alu instid0(VALU_DEP_1)
	v_lshl_add_u64 v[12:13], v[12:13], 3, v[0:1]
	s_clause 0x3
	global_store_b64 v[14:15], v[6:7], off
	global_store_b64 v[22:23], v[32:33], off
	;; [unrolled: 1-line block ×4, first 2 shown]
	s_wait_xcnt 0x3
	v_dual_add_nc_u32 v6, s2, v24 :: v_dual_ashrrev_i32 v11, 31, v10
	v_ashrrev_i32_e32 v5, 31, v4
	v_ashrrev_i32_e32 v25, 31, v24
	s_wait_xcnt 0x1
	v_lshl_add_u64 v[12:13], v[42:43], 3, v[0:1]
	v_ashrrev_i32_e32 v7, 31, v6
	v_lshl_add_u64 v[10:11], v[10:11], 3, v[0:1]
	v_lshl_add_u64 v[4:5], v[4:5], 3, v[0:1]
	;; [unrolled: 1-line block ×3, first 2 shown]
	s_delay_alu instid0(VALU_DEP_4)
	v_lshl_add_u64 v[0:1], v[6:7], 3, v[0:1]
	s_clause 0x4
	global_store_b64 v[12:13], v[8:9], off
	global_store_b64 v[4:5], v[26:27], off
	;; [unrolled: 1-line block ×5, first 2 shown]
.LBB78_841:
	s_sendmsg sendmsg(MSG_DEALLOC_VGPRS)
	s_endpgm
	.section	.rodata,"a",@progbits
	.p2align	6, 0x0
	.amdhsa_kernel _ZN9rocsolver6v33100L18getf2_small_kernelILi40E19rocblas_complex_numIfEiiPS3_EEvT1_T3_lS5_lPS5_llPT2_S5_S5_S7_l
		.amdhsa_group_segment_fixed_size 0
		.amdhsa_private_segment_fixed_size 0
		.amdhsa_kernarg_size 352
		.amdhsa_user_sgpr_count 2
		.amdhsa_user_sgpr_dispatch_ptr 0
		.amdhsa_user_sgpr_queue_ptr 0
		.amdhsa_user_sgpr_kernarg_segment_ptr 1
		.amdhsa_user_sgpr_dispatch_id 0
		.amdhsa_user_sgpr_kernarg_preload_length 0
		.amdhsa_user_sgpr_kernarg_preload_offset 0
		.amdhsa_user_sgpr_private_segment_size 0
		.amdhsa_wavefront_size32 1
		.amdhsa_uses_dynamic_stack 0
		.amdhsa_enable_private_segment 0
		.amdhsa_system_sgpr_workgroup_id_x 1
		.amdhsa_system_sgpr_workgroup_id_y 1
		.amdhsa_system_sgpr_workgroup_id_z 0
		.amdhsa_system_sgpr_workgroup_info 0
		.amdhsa_system_vgpr_workitem_id 1
		.amdhsa_next_free_vgpr 112
		.amdhsa_next_free_sgpr 19
		.amdhsa_named_barrier_count 0
		.amdhsa_reserve_vcc 1
		.amdhsa_float_round_mode_32 0
		.amdhsa_float_round_mode_16_64 0
		.amdhsa_float_denorm_mode_32 3
		.amdhsa_float_denorm_mode_16_64 3
		.amdhsa_fp16_overflow 0
		.amdhsa_memory_ordered 1
		.amdhsa_forward_progress 1
		.amdhsa_inst_pref_size 255
		.amdhsa_round_robin_scheduling 0
		.amdhsa_exception_fp_ieee_invalid_op 0
		.amdhsa_exception_fp_denorm_src 0
		.amdhsa_exception_fp_ieee_div_zero 0
		.amdhsa_exception_fp_ieee_overflow 0
		.amdhsa_exception_fp_ieee_underflow 0
		.amdhsa_exception_fp_ieee_inexact 0
		.amdhsa_exception_int_div_zero 0
	.end_amdhsa_kernel
	.section	.text._ZN9rocsolver6v33100L18getf2_small_kernelILi40E19rocblas_complex_numIfEiiPS3_EEvT1_T3_lS5_lPS5_llPT2_S5_S5_S7_l,"axG",@progbits,_ZN9rocsolver6v33100L18getf2_small_kernelILi40E19rocblas_complex_numIfEiiPS3_EEvT1_T3_lS5_lPS5_llPT2_S5_S5_S7_l,comdat
.Lfunc_end78:
	.size	_ZN9rocsolver6v33100L18getf2_small_kernelILi40E19rocblas_complex_numIfEiiPS3_EEvT1_T3_lS5_lPS5_llPT2_S5_S5_S7_l, .Lfunc_end78-_ZN9rocsolver6v33100L18getf2_small_kernelILi40E19rocblas_complex_numIfEiiPS3_EEvT1_T3_lS5_lPS5_llPT2_S5_S5_S7_l
                                        ; -- End function
	.set _ZN9rocsolver6v33100L18getf2_small_kernelILi40E19rocblas_complex_numIfEiiPS3_EEvT1_T3_lS5_lPS5_llPT2_S5_S5_S7_l.num_vgpr, 112
	.set _ZN9rocsolver6v33100L18getf2_small_kernelILi40E19rocblas_complex_numIfEiiPS3_EEvT1_T3_lS5_lPS5_llPT2_S5_S5_S7_l.num_agpr, 0
	.set _ZN9rocsolver6v33100L18getf2_small_kernelILi40E19rocblas_complex_numIfEiiPS3_EEvT1_T3_lS5_lPS5_llPT2_S5_S5_S7_l.numbered_sgpr, 19
	.set _ZN9rocsolver6v33100L18getf2_small_kernelILi40E19rocblas_complex_numIfEiiPS3_EEvT1_T3_lS5_lPS5_llPT2_S5_S5_S7_l.num_named_barrier, 0
	.set _ZN9rocsolver6v33100L18getf2_small_kernelILi40E19rocblas_complex_numIfEiiPS3_EEvT1_T3_lS5_lPS5_llPT2_S5_S5_S7_l.private_seg_size, 0
	.set _ZN9rocsolver6v33100L18getf2_small_kernelILi40E19rocblas_complex_numIfEiiPS3_EEvT1_T3_lS5_lPS5_llPT2_S5_S5_S7_l.uses_vcc, 1
	.set _ZN9rocsolver6v33100L18getf2_small_kernelILi40E19rocblas_complex_numIfEiiPS3_EEvT1_T3_lS5_lPS5_llPT2_S5_S5_S7_l.uses_flat_scratch, 0
	.set _ZN9rocsolver6v33100L18getf2_small_kernelILi40E19rocblas_complex_numIfEiiPS3_EEvT1_T3_lS5_lPS5_llPT2_S5_S5_S7_l.has_dyn_sized_stack, 0
	.set _ZN9rocsolver6v33100L18getf2_small_kernelILi40E19rocblas_complex_numIfEiiPS3_EEvT1_T3_lS5_lPS5_llPT2_S5_S5_S7_l.has_recursion, 0
	.set _ZN9rocsolver6v33100L18getf2_small_kernelILi40E19rocblas_complex_numIfEiiPS3_EEvT1_T3_lS5_lPS5_llPT2_S5_S5_S7_l.has_indirect_call, 0
	.section	.AMDGPU.csdata,"",@progbits
; Kernel info:
; codeLenInByte = 85520
; TotalNumSgprs: 21
; NumVgprs: 112
; ScratchSize: 0
; MemoryBound: 0
; FloatMode: 240
; IeeeMode: 1
; LDSByteSize: 0 bytes/workgroup (compile time only)
; SGPRBlocks: 0
; VGPRBlocks: 6
; NumSGPRsForWavesPerEU: 21
; NumVGPRsForWavesPerEU: 112
; NamedBarCnt: 0
; Occupancy: 9
; WaveLimiterHint : 0
; COMPUTE_PGM_RSRC2:SCRATCH_EN: 0
; COMPUTE_PGM_RSRC2:USER_SGPR: 2
; COMPUTE_PGM_RSRC2:TRAP_HANDLER: 0
; COMPUTE_PGM_RSRC2:TGID_X_EN: 1
; COMPUTE_PGM_RSRC2:TGID_Y_EN: 1
; COMPUTE_PGM_RSRC2:TGID_Z_EN: 0
; COMPUTE_PGM_RSRC2:TIDIG_COMP_CNT: 1
	.section	.text._ZN9rocsolver6v33100L23getf2_npvt_small_kernelILi40E19rocblas_complex_numIfEiiPS3_EEvT1_T3_lS5_lPT2_S5_S5_,"axG",@progbits,_ZN9rocsolver6v33100L23getf2_npvt_small_kernelILi40E19rocblas_complex_numIfEiiPS3_EEvT1_T3_lS5_lPT2_S5_S5_,comdat
	.globl	_ZN9rocsolver6v33100L23getf2_npvt_small_kernelILi40E19rocblas_complex_numIfEiiPS3_EEvT1_T3_lS5_lPT2_S5_S5_ ; -- Begin function _ZN9rocsolver6v33100L23getf2_npvt_small_kernelILi40E19rocblas_complex_numIfEiiPS3_EEvT1_T3_lS5_lPT2_S5_S5_
	.p2align	8
	.type	_ZN9rocsolver6v33100L23getf2_npvt_small_kernelILi40E19rocblas_complex_numIfEiiPS3_EEvT1_T3_lS5_lPT2_S5_S5_,@function
_ZN9rocsolver6v33100L23getf2_npvt_small_kernelILi40E19rocblas_complex_numIfEiiPS3_EEvT1_T3_lS5_lPT2_S5_S5_: ; @_ZN9rocsolver6v33100L23getf2_npvt_small_kernelILi40E19rocblas_complex_numIfEiiPS3_EEvT1_T3_lS5_lPT2_S5_S5_
; %bb.0:
	s_clause 0x1
	s_load_u16 s14, s[0:1], 0x46
	s_load_b64 s[2:3], s[0:1], 0x30
	s_bfe_u32 s4, ttmp6, 0x40010
	s_bfe_u32 s5, ttmp6, 0x40004
	s_add_co_i32 s4, s4, 1
	s_getreg_b32 s6, hwreg(HW_REG_IB_STS2, 6, 4)
	s_mul_i32 s4, ttmp7, s4
	v_bfe_u32 v162, v0, 10, 10
	s_add_co_i32 s5, s5, s4
	s_cmp_eq_u32 s6, 0
	s_cselect_b32 s4, ttmp7, s5
	s_wait_kmcnt 0x0
	v_mad_u32 v2, s4, s14, v162
	s_delay_alu instid0(VALU_DEP_1)
	v_cmp_gt_i32_e32 vcc_lo, s2, v2
	s_and_saveexec_b32 s2, vcc_lo
	s_cbranch_execz .LBB79_363
; %bb.1:
	s_clause 0x1
	s_load_b32 s12, s[0:1], 0x18
	s_load_b128 s[8:11], s[0:1], 0x8
	v_and_b32_e32 v242, 0x3ff, v0
	s_load_b128 s[4:7], s[0:1], 0x20
	s_mulk_i32 s14, 0x140
	v_mad_u32_u24 v244, 0x140, v162, 0
	v_ashrrev_i32_e32 v3, 31, v2
	s_wait_xcnt 0x0
	v_cmp_ne_u32_e64 s1, 0, v242
	v_cmp_eq_u32_e64 s0, 0, v242
	v_mov_b32_e32 v15, 0
	s_wait_kmcnt 0x0
	v_add3_u32 v6, s12, s12, v242
	s_ashr_i32 s13, s12, 31
	v_mul_u64_e32 v[12:13], s[4:5], v[2:3]
	s_delay_alu instid0(VALU_DEP_2) | instskip(NEXT) | instid1(VALU_DEP_1)
	v_add_nc_u32_e32 v0, s12, v6
	v_add_nc_u32_e32 v4, s12, v0
	s_delay_alu instid0(VALU_DEP_1) | instskip(SKIP_1) | instid1(VALU_DEP_2)
	v_dual_add_nc_u32 v8, s12, v4 :: v_dual_ashrrev_i32 v7, 31, v6
	v_ashrrev_i32_e32 v1, 31, v0
	v_add_nc_u32_e32 v24, s12, v8
	s_delay_alu instid0(VALU_DEP_1) | instskip(NEXT) | instid1(VALU_DEP_1)
	v_add_nc_u32_e32 v10, s12, v24
	v_add_nc_u32_e32 v16, s12, v10
	s_delay_alu instid0(VALU_DEP_1) | instskip(SKIP_1) | instid1(VALU_DEP_2)
	v_add_nc_u32_e32 v22, s12, v16
	v_lshl_add_u64 v[12:13], v[12:13], 3, s[8:9]
	v_dual_add_nc_u32 v20, s12, v22 :: v_dual_ashrrev_i32 v9, 31, v8
	v_ashrrev_i32_e32 v11, 31, v10
	s_delay_alu instid0(VALU_DEP_3) | instskip(NEXT) | instid1(VALU_DEP_3)
	v_lshl_add_u64 v[130:131], s[10:11], 3, v[12:13]
	v_add_nc_u32_e32 v28, s12, v20
	s_delay_alu instid0(VALU_DEP_2) | instskip(SKIP_1) | instid1(VALU_DEP_3)
	v_lshl_add_u64 v[12:13], v[0:1], 3, v[130:131]
	v_lshl_add_u64 v[0:1], v[8:9], 3, v[130:131]
	v_add_nc_u32_e32 v30, s12, v28
	v_lshl_add_u64 v[8:9], v[10:11], 3, v[130:131]
	v_lshl_add_u64 v[6:7], v[6:7], 3, v[130:131]
	scratch_store_b64 off, v[0:1], off      ; 8-byte Folded Spill
	v_dual_add_nc_u32 v34, s12, v30 :: v_dual_ashrrev_i32 v25, 31, v24
	v_ashrrev_i32_e32 v23, 31, v22
	v_ashrrev_i32_e32 v31, 31, v30
	s_delay_alu instid0(VALU_DEP_3) | instskip(SKIP_2) | instid1(VALU_DEP_4)
	v_add_nc_u32_e32 v40, s12, v34
	v_lshlrev_b32_e32 v14, 3, v242
	v_ashrrev_i32_e32 v35, 31, v34
	v_lshl_add_u64 v[30:31], v[30:31], 3, v[130:131]
	s_delay_alu instid0(VALU_DEP_4) | instskip(SKIP_3) | instid1(VALU_DEP_4)
	v_add_nc_u32_e32 v42, s12, v40
	v_ashrrev_i32_e32 v5, 31, v4
	v_add_nc_u64_e32 v[18:19], v[130:131], v[14:15]
	v_lshl_add_u64 v[34:35], v[34:35], 3, v[130:131]
	v_add_nc_u32_e32 v44, s12, v42
	s_delay_alu instid0(VALU_DEP_4)
	v_lshl_add_u64 v[14:15], v[4:5], 3, v[130:131]
	v_lshl_add_u64 v[4:5], v[24:25], 3, v[130:131]
	v_ashrrev_i32_e32 v43, 31, v42
	v_lshl_add_u64 v[32:33], s[12:13], 3, v[18:19]
	v_add_nc_u32_e32 v50, s12, v44
	v_ashrrev_i32_e32 v17, 31, v16
	global_load_b64 v[26:27], v[14:15], off
	v_lshl_add_u64 v[42:43], v[42:43], 3, v[130:131]
	v_add_nc_u32_e32 v52, s12, v50
	v_lshl_add_u64 v[10:11], v[16:17], 3, v[130:131]
	v_lshl_add_u64 v[16:17], v[22:23], 3, v[130:131]
	s_clause 0x6
	global_load_b64 v[22:23], v[0:1], off
	global_load_b64 v[24:25], v[4:5], off
	;; [unrolled: 1-line block ×7, first 2 shown]
	s_wait_xcnt 0x6
	v_dual_add_nc_u32 v54, s12, v52 :: v_dual_lshlrev_b32 v0, 3, v162
	s_delay_alu instid0(VALU_DEP_1) | instskip(SKIP_1) | instid1(VALU_DEP_3)
	v_dual_add_nc_u32 v56, s12, v54 :: v_dual_ashrrev_i32 v41, 31, v40
	v_ashrrev_i32_e32 v51, 31, v50
	v_add3_u32 v243, 0, s14, v0
	s_delay_alu instid0(VALU_DEP_3) | instskip(SKIP_1) | instid1(VALU_DEP_4)
	v_dual_ashrrev_i32 v55, 31, v54 :: v_dual_add_nc_u32 v62, s12, v56
	v_ashrrev_i32_e32 v21, 31, v20
	v_lshl_add_u64 v[50:51], v[50:51], 3, v[130:131]
	v_lshl_add_u64 v[40:41], v[40:41], 3, v[130:131]
	s_delay_alu instid0(VALU_DEP_4) | instskip(SKIP_2) | instid1(VALU_DEP_2)
	v_lshl_add_u64 v[54:55], v[54:55], 3, v[130:131]
	v_dual_add_nc_u32 v64, s12, v62 :: v_dual_ashrrev_i32 v63, 31, v62
	v_lshl_add_u64 v[20:21], v[20:21], 3, v[130:131]
	v_add_nc_u32_e32 v66, s12, v64
	v_ashrrev_i32_e32 v29, 31, v28
	s_delay_alu instid0(VALU_DEP_4) | instskip(NEXT) | instid1(VALU_DEP_3)
	v_lshl_add_u64 v[62:63], v[62:63], 3, v[130:131]
	v_add_nc_u32_e32 v68, s12, v66
	s_delay_alu instid0(VALU_DEP_3)
	v_lshl_add_u64 v[28:29], v[28:29], 3, v[130:131]
	s_clause 0x7
	global_load_b64 v[74:75], v[10:11], off
	global_load_b64 v[58:59], v[16:17], off
	;; [unrolled: 1-line block ×8, first 2 shown]
	v_dual_add_nc_u32 v76, s12, v68 :: v_dual_ashrrev_i32 v67, 31, v66
	s_delay_alu instid0(VALU_DEP_1) | instskip(SKIP_2) | instid1(VALU_DEP_4)
	v_add_nc_u32_e32 v78, s12, v76
	v_ashrrev_i32_e32 v45, 31, v44
	v_ashrrev_i32_e32 v69, 31, v68
	v_lshl_add_u64 v[66:67], v[66:67], 3, v[130:131]
	s_delay_alu instid0(VALU_DEP_4) | instskip(NEXT) | instid1(VALU_DEP_4)
	v_dual_add_nc_u32 v80, s12, v78 :: v_dual_ashrrev_i32 v79, 31, v78
	v_lshl_add_u64 v[44:45], v[44:45], 3, v[130:131]
	s_delay_alu instid0(VALU_DEP_4) | instskip(NEXT) | instid1(VALU_DEP_3)
	v_lshl_add_u64 v[68:69], v[68:69], 3, v[130:131]
	v_add_nc_u32_e32 v82, s12, v80
	v_ashrrev_i32_e32 v53, 31, v52
	v_lshl_add_u64 v[78:79], v[78:79], 3, v[130:131]
	s_delay_alu instid0(VALU_DEP_3) | instskip(NEXT) | instid1(VALU_DEP_3)
	v_dual_add_nc_u32 v102, s12, v82 :: v_dual_ashrrev_i32 v57, 31, v56
	v_lshl_add_u64 v[52:53], v[52:53], 3, v[130:131]
	s_clause 0x3
	global_load_b64 v[84:85], v[44:45], off
	global_load_b64 v[114:115], v[50:51], off
	;; [unrolled: 1-line block ×4, first 2 shown]
	v_add_nc_u32_e32 v104, s12, v102
	v_lshl_add_u64 v[56:57], v[56:57], 3, v[130:131]
	v_ashrrev_i32_e32 v83, 31, v82
	s_delay_alu instid0(VALU_DEP_3) | instskip(SKIP_2) | instid1(VALU_DEP_4)
	v_dual_ashrrev_i32 v103, 31, v102 :: v_dual_add_nc_u32 v106, s12, v104
	v_ashrrev_i32_e32 v65, 31, v64
	v_ashrrev_i32_e32 v81, 31, v80
	v_lshl_add_u64 v[82:83], v[82:83], 3, v[130:131]
	s_delay_alu instid0(VALU_DEP_4)
	v_lshl_add_u64 v[102:103], v[102:103], 3, v[130:131]
	v_dual_add_nc_u32 v108, s12, v106 :: v_dual_ashrrev_i32 v107, 31, v106
	v_lshl_add_u64 v[64:65], v[64:65], 3, v[130:131]
	v_lshl_add_u64 v[80:81], v[80:81], 3, v[130:131]
	s_clause 0x3
	global_load_b64 v[110:111], v[56:57], off
	global_load_b64 v[142:143], v[62:63], off
	;; [unrolled: 1-line block ×4, first 2 shown]
	v_add_nc_u32_e32 v118, s12, v108
	v_ashrrev_i32_e32 v77, 31, v76
	v_ashrrev_i32_e32 v105, 31, v104
	v_lshl_add_u64 v[106:107], v[106:107], 3, v[130:131]
	s_delay_alu instid0(VALU_DEP_4) | instskip(NEXT) | instid1(VALU_DEP_4)
	v_dual_add_nc_u32 v120, s12, v118 :: v_dual_ashrrev_i32 v119, 31, v118
	v_lshl_add_u64 v[76:77], v[76:77], 3, v[130:131]
	s_delay_alu instid0(VALU_DEP_4)
	v_lshl_add_u64 v[104:105], v[104:105], 3, v[130:131]
	s_clause 0x3
	global_load_b64 v[100:101], v[68:69], off
	global_load_b64 v[96:97], v[76:77], off
	;; [unrolled: 1-line block ×4, first 2 shown]
	v_add_nc_u32_e32 v132, s12, v120
	v_lshl_add_u64 v[118:119], v[118:119], 3, v[130:131]
	s_clause 0x3
	global_load_b64 v[128:129], v[82:83], off
	global_load_b64 v[124:125], v[102:103], off
	;; [unrolled: 1-line block ×4, first 2 shown]
	v_add_nc_u32_e32 v134, s12, v132
	s_delay_alu instid0(VALU_DEP_1) | instskip(NEXT) | instid1(VALU_DEP_1)
	v_add_nc_u32_e32 v136, s12, v134
	v_dual_add_nc_u32 v138, s12, v136 :: v_dual_ashrrev_i32 v137, 31, v136
	s_delay_alu instid0(VALU_DEP_1) | instskip(SKIP_2) | instid1(VALU_DEP_3)
	v_dual_ashrrev_i32 v121, 31, v120 :: v_dual_ashrrev_i32 v139, 31, v138
	v_dual_add_nc_u32 v146, s12, v138 :: v_dual_ashrrev_i32 v109, 31, v108
	v_dual_ashrrev_i32 v135, 31, v134 :: v_dual_ashrrev_i32 v133, 31, v132
	v_lshl_add_u64 v[120:121], v[120:121], 3, v[130:131]
	s_delay_alu instid0(VALU_DEP_3) | instskip(NEXT) | instid1(VALU_DEP_4)
	v_ashrrev_i32_e32 v147, 31, v146
	v_lshl_add_u64 v[108:109], v[108:109], 3, v[130:131]
	s_delay_alu instid0(VALU_DEP_4)
	v_lshl_add_u64 v[134:135], v[134:135], 3, v[130:131]
	v_lshl_add_u64 v[132:133], v[132:133], 3, v[130:131]
	;; [unrolled: 1-line block ×5, first 2 shown]
	s_clause 0x7
	global_load_b64 v[152:153], v[108:109], off
	global_load_b64 v[148:149], v[118:119], off
	;; [unrolled: 1-line block ×8, first 2 shown]
	s_wait_xcnt 0x0
	s_and_saveexec_b32 s4, s0
	s_cbranch_execz .LBB79_8
; %bb.2:
	s_wait_loadcnt 0x23
	ds_store_b64 v243, v[46:47]
	s_wait_loadcnt 0x21
	ds_store_2addr_b64 v244, v[48:49], v[38:39] offset0:1 offset1:2
	s_wait_loadcnt 0x20
	ds_store_2addr_b64 v244, v[36:37], v[26:27] offset0:3 offset1:4
	ds_store_2addr_b64 v244, v[22:23], v[24:25] offset0:5 offset1:6
	s_wait_loadcnt 0x1f
	ds_store_2addr_b64 v244, v[60:61], v[74:75] offset0:7 offset1:8
	s_wait_loadcnt 0x1d
	;; [unrolled: 2-line block ×17, first 2 shown]
	ds_store_b64 v244, v[160:161] offset:312
	ds_load_b64 v[162:163], v243
	s_wait_dscnt 0x0
	v_cmp_neq_f32_e32 vcc_lo, 0, v162
	v_cmp_neq_f32_e64 s2, 0, v163
	s_or_b32 s2, vcc_lo, s2
	s_delay_alu instid0(SALU_CYCLE_1)
	s_and_b32 exec_lo, exec_lo, s2
	s_cbranch_execz .LBB79_8
; %bb.3:
	v_cmp_ngt_f32_e64 s2, |v162|, |v163|
                                        ; implicit-def: $vgpr164_vgpr165
	s_and_saveexec_b32 s5, s2
	s_delay_alu instid0(SALU_CYCLE_1)
	s_xor_b32 s2, exec_lo, s5
	s_cbranch_execz .LBB79_5
; %bb.4:
	v_div_scale_f32 v0, null, v163, v163, v162
	v_div_scale_f32 v165, vcc_lo, v162, v163, v162
	s_delay_alu instid0(VALU_DEP_2) | instskip(SKIP_1) | instid1(TRANS32_DEP_1)
	v_rcp_f32_e32 v1, v0
	v_nop
	v_fma_f32 v164, -v0, v1, 1.0
	s_delay_alu instid0(VALU_DEP_1) | instskip(NEXT) | instid1(VALU_DEP_1)
	v_fmac_f32_e32 v1, v164, v1
	v_mul_f32_e32 v164, v165, v1
	s_delay_alu instid0(VALU_DEP_1) | instskip(NEXT) | instid1(VALU_DEP_1)
	v_fma_f32 v166, -v0, v164, v165
	v_fmac_f32_e32 v164, v166, v1
	s_delay_alu instid0(VALU_DEP_1) | instskip(NEXT) | instid1(VALU_DEP_1)
	v_fma_f32 v0, -v0, v164, v165
	v_div_fmas_f32 v0, v0, v1, v164
	s_delay_alu instid0(VALU_DEP_1) | instskip(NEXT) | instid1(VALU_DEP_1)
	v_div_fixup_f32 v0, v0, v163, v162
	v_fmac_f32_e32 v163, v162, v0
	s_delay_alu instid0(VALU_DEP_1) | instskip(SKIP_1) | instid1(VALU_DEP_2)
	v_div_scale_f32 v1, null, v163, v163, 1.0
	v_div_scale_f32 v165, vcc_lo, 1.0, v163, 1.0
	v_rcp_f32_e32 v162, v1
	v_nop
	s_delay_alu instid0(TRANS32_DEP_1) | instskip(NEXT) | instid1(VALU_DEP_1)
	v_fma_f32 v164, -v1, v162, 1.0
	v_fmac_f32_e32 v162, v164, v162
	s_delay_alu instid0(VALU_DEP_1) | instskip(NEXT) | instid1(VALU_DEP_1)
	v_mul_f32_e32 v164, v165, v162
	v_fma_f32 v166, -v1, v164, v165
	s_delay_alu instid0(VALU_DEP_1) | instskip(NEXT) | instid1(VALU_DEP_1)
	v_fmac_f32_e32 v164, v166, v162
	v_fma_f32 v1, -v1, v164, v165
	s_delay_alu instid0(VALU_DEP_1) | instskip(NEXT) | instid1(VALU_DEP_1)
	v_div_fmas_f32 v1, v1, v162, v164
	v_div_fixup_f32 v1, v1, v163, 1.0
                                        ; implicit-def: $vgpr162_vgpr163
	s_delay_alu instid0(VALU_DEP_1)
	v_mul_f32_e32 v164, v0, v1
	v_xor_b32_e32 v165, 0x80000000, v1
.LBB79_5:
	s_and_not1_saveexec_b32 s2, s2
	s_cbranch_execz .LBB79_7
; %bb.6:
	v_div_scale_f32 v0, null, v162, v162, v163
	v_div_scale_f32 v165, vcc_lo, v163, v162, v163
	s_delay_alu instid0(VALU_DEP_2) | instskip(SKIP_1) | instid1(TRANS32_DEP_1)
	v_rcp_f32_e32 v1, v0
	v_nop
	v_fma_f32 v164, -v0, v1, 1.0
	s_delay_alu instid0(VALU_DEP_1) | instskip(NEXT) | instid1(VALU_DEP_1)
	v_fmac_f32_e32 v1, v164, v1
	v_mul_f32_e32 v164, v165, v1
	s_delay_alu instid0(VALU_DEP_1) | instskip(NEXT) | instid1(VALU_DEP_1)
	v_fma_f32 v166, -v0, v164, v165
	v_fmac_f32_e32 v164, v166, v1
	s_delay_alu instid0(VALU_DEP_1) | instskip(NEXT) | instid1(VALU_DEP_1)
	v_fma_f32 v0, -v0, v164, v165
	v_div_fmas_f32 v0, v0, v1, v164
	s_delay_alu instid0(VALU_DEP_1) | instskip(NEXT) | instid1(VALU_DEP_1)
	v_div_fixup_f32 v0, v0, v162, v163
	v_fmac_f32_e32 v162, v163, v0
	s_delay_alu instid0(VALU_DEP_1) | instskip(NEXT) | instid1(VALU_DEP_1)
	v_div_scale_f32 v1, null, v162, v162, 1.0
	v_rcp_f32_e32 v163, v1
	v_nop
	s_delay_alu instid0(TRANS32_DEP_1) | instskip(NEXT) | instid1(VALU_DEP_1)
	v_fma_f32 v164, -v1, v163, 1.0
	v_fmac_f32_e32 v163, v164, v163
	v_div_scale_f32 v164, vcc_lo, 1.0, v162, 1.0
	s_delay_alu instid0(VALU_DEP_1) | instskip(NEXT) | instid1(VALU_DEP_1)
	v_mul_f32_e32 v165, v164, v163
	v_fma_f32 v166, -v1, v165, v164
	s_delay_alu instid0(VALU_DEP_1) | instskip(NEXT) | instid1(VALU_DEP_1)
	v_fmac_f32_e32 v165, v166, v163
	v_fma_f32 v1, -v1, v165, v164
	s_delay_alu instid0(VALU_DEP_1) | instskip(NEXT) | instid1(VALU_DEP_1)
	v_div_fmas_f32 v1, v1, v163, v165
	v_div_fixup_f32 v164, v1, v162, 1.0
	s_delay_alu instid0(VALU_DEP_1)
	v_mul_f32_e64 v165, v0, -v164
.LBB79_7:
	s_or_b32 exec_lo, exec_lo, s2
	ds_store_b64 v243, v[164:165]
.LBB79_8:
	s_or_b32 exec_lo, exec_lo, s4
	s_wait_storecnt 0x0
	s_wait_loadcnt_dscnt 0x0
	s_barrier_signal -1
	s_barrier_wait -1
	ds_load_b64 v[162:163], v243
	s_and_saveexec_b32 s2, s1
	s_cbranch_execz .LBB79_10
; %bb.9:
	ds_load_2addr_b64 v[168:171], v244 offset0:1 offset1:2
	s_wait_dscnt 0x1
	v_pk_mul_f32 v[166:167], v[162:163], v[46:47] op_sel:[1,1] op_sel_hi:[0,1]
	s_delay_alu instid0(VALU_DEP_1) | instskip(SKIP_1) | instid1(VALU_DEP_1)
	v_pk_fma_f32 v[164:165], v[162:163], v[46:47], v[166:167] op_sel_hi:[1,0,1] neg_lo:[0,0,1] neg_hi:[0,0,1]
	v_pk_fma_f32 v[166:167], v[162:163], v[46:47], v[166:167] op_sel_hi:[1,0,1]
	v_dual_mov_b32 v46, v164 :: v_dual_mov_b32 v47, v167
	s_wait_dscnt 0x0
	s_delay_alu instid0(VALU_DEP_2) | instskip(NEXT) | instid1(VALU_DEP_1)
	v_pk_mul_f32 v[172:173], v[168:169], v[166:167] op_sel:[0,1]
	v_pk_fma_f32 v[174:175], v[168:169], v[164:165], v[172:173] op_sel:[0,0,1] op_sel_hi:[1,1,0] neg_lo:[0,0,1] neg_hi:[0,0,1]
	v_pk_fma_f32 v[168:169], v[168:169], v[164:165], v[172:173] op_sel:[0,0,1] op_sel_hi:[1,0,0]
	s_delay_alu instid0(VALU_DEP_1) | instskip(SKIP_1) | instid1(VALU_DEP_1)
	v_mov_b32_e32 v175, v169
	v_pk_mul_f32 v[168:169], v[170:171], v[166:167] op_sel:[0,1]
	v_pk_fma_f32 v[172:173], v[170:171], v[164:165], v[168:169] op_sel:[0,0,1] op_sel_hi:[1,1,0] neg_lo:[0,0,1] neg_hi:[0,0,1]
	v_pk_fma_f32 v[168:169], v[170:171], v[164:165], v[168:169] op_sel:[0,0,1] op_sel_hi:[1,0,0]
	s_delay_alu instid0(VALU_DEP_1)
	v_mov_b32_e32 v173, v169
	ds_load_2addr_b64 v[168:171], v244 offset0:3 offset1:4
	v_pk_add_f32 v[48:49], v[48:49], v[174:175] neg_lo:[0,1] neg_hi:[0,1]
	v_pk_add_f32 v[38:39], v[38:39], v[172:173] neg_lo:[0,1] neg_hi:[0,1]
	s_wait_dscnt 0x0
	v_pk_mul_f32 v[172:173], v[168:169], v[166:167] op_sel:[0,1]
	s_delay_alu instid0(VALU_DEP_1) | instskip(SKIP_2) | instid1(VALU_DEP_2)
	v_pk_fma_f32 v[174:175], v[168:169], v[164:165], v[172:173] op_sel:[0,0,1] op_sel_hi:[1,1,0] neg_lo:[0,0,1] neg_hi:[0,0,1]
	v_pk_fma_f32 v[168:169], v[168:169], v[164:165], v[172:173] op_sel:[0,0,1] op_sel_hi:[1,0,0]
	v_dual_mul_f32 v172, v171, v167 :: v_dual_mov_b32 v168, v171
	v_dual_mov_b32 v175, v169 :: v_dual_mov_b32 v169, v170
	s_delay_alu instid0(VALU_DEP_2) | instskip(SKIP_1) | instid1(VALU_DEP_3)
	v_pk_fma_f32 v[172:173], v[170:171], v[46:47], v[172:173] op_sel_hi:[1,1,0] neg_lo:[0,0,1] neg_hi:[0,0,1]
	v_mul_f32_e32 v170, v171, v164
	v_pk_add_f32 v[36:37], v[36:37], v[174:175] neg_lo:[0,1] neg_hi:[0,1]
	s_delay_alu instid0(VALU_DEP_2) | instskip(NEXT) | instid1(VALU_DEP_1)
	v_pk_fma_f32 v[168:169], v[168:169], v[46:47], v[170:171] op_sel_hi:[1,1,0]
	v_mov_b32_e32 v173, v169
	ds_load_2addr_b64 v[168:171], v244 offset0:5 offset1:6
	v_pk_add_f32 v[26:27], v[26:27], v[172:173] neg_lo:[0,1] neg_hi:[0,1]
	s_wait_dscnt 0x0
	v_pk_mul_f32 v[172:173], v[168:169], v[166:167] op_sel:[0,1]
	s_delay_alu instid0(VALU_DEP_1) | instskip(SKIP_1) | instid1(VALU_DEP_1)
	v_pk_fma_f32 v[174:175], v[168:169], v[164:165], v[172:173] op_sel:[0,0,1] op_sel_hi:[1,1,0] neg_lo:[0,0,1] neg_hi:[0,0,1]
	v_pk_fma_f32 v[168:169], v[168:169], v[164:165], v[172:173] op_sel:[0,0,1] op_sel_hi:[1,0,0]
	v_mov_b32_e32 v175, v169
	v_pk_mul_f32 v[168:169], v[170:171], v[166:167] op_sel:[0,1]
	s_delay_alu instid0(VALU_DEP_1) | instskip(SKIP_1) | instid1(VALU_DEP_1)
	v_pk_fma_f32 v[172:173], v[170:171], v[164:165], v[168:169] op_sel:[0,0,1] op_sel_hi:[1,1,0] neg_lo:[0,0,1] neg_hi:[0,0,1]
	v_pk_fma_f32 v[168:169], v[170:171], v[164:165], v[168:169] op_sel:[0,0,1] op_sel_hi:[1,0,0]
	v_mov_b32_e32 v173, v169
	ds_load_2addr_b64 v[168:171], v244 offset0:7 offset1:8
	v_pk_add_f32 v[22:23], v[22:23], v[174:175] neg_lo:[0,1] neg_hi:[0,1]
	v_pk_add_f32 v[24:25], v[24:25], v[172:173] neg_lo:[0,1] neg_hi:[0,1]
	s_wait_dscnt 0x0
	v_pk_mul_f32 v[172:173], v[168:169], v[166:167] op_sel:[0,1]
	s_delay_alu instid0(VALU_DEP_1) | instskip(SKIP_1) | instid1(VALU_DEP_1)
	v_pk_fma_f32 v[174:175], v[168:169], v[164:165], v[172:173] op_sel:[0,0,1] op_sel_hi:[1,1,0] neg_lo:[0,0,1] neg_hi:[0,0,1]
	v_pk_fma_f32 v[168:169], v[168:169], v[164:165], v[172:173] op_sel:[0,0,1] op_sel_hi:[1,0,0]
	v_mov_b32_e32 v175, v169
	v_pk_mul_f32 v[168:169], v[170:171], v[166:167] op_sel:[0,1]
	s_delay_alu instid0(VALU_DEP_1) | instskip(SKIP_1) | instid1(VALU_DEP_1)
	v_pk_fma_f32 v[172:173], v[170:171], v[164:165], v[168:169] op_sel:[0,0,1] op_sel_hi:[1,1,0] neg_lo:[0,0,1] neg_hi:[0,0,1]
	v_pk_fma_f32 v[168:169], v[170:171], v[164:165], v[168:169] op_sel:[0,0,1] op_sel_hi:[1,0,0]
	v_mov_b32_e32 v173, v169
	ds_load_2addr_b64 v[168:171], v244 offset0:9 offset1:10
	v_pk_add_f32 v[60:61], v[60:61], v[174:175] neg_lo:[0,1] neg_hi:[0,1]
	v_pk_add_f32 v[74:75], v[74:75], v[172:173] neg_lo:[0,1] neg_hi:[0,1]
	s_wait_dscnt 0x0
	v_dual_mul_f32 v172, v169, v167 :: v_dual_mul_f32 v174, v169, v164
	s_delay_alu instid0(VALU_DEP_1) | instskip(NEXT) | instid1(VALU_DEP_2)
	v_pk_fma_f32 v[172:173], v[168:169], v[46:47], v[172:173] op_sel_hi:[1,1,0] neg_lo:[0,0,1] neg_hi:[0,0,1]
	v_pk_fma_f32 v[168:169], v[168:169], v[46:47], v[174:175] op_sel:[1,0,0] op_sel_hi:[0,1,0]
	s_delay_alu instid0(VALU_DEP_1) | instskip(SKIP_1) | instid1(VALU_DEP_2)
	v_mov_b32_e32 v173, v169
	v_pk_mul_f32 v[168:169], v[170:171], v[166:167] op_sel:[0,1]
	v_pk_add_f32 v[58:59], v[58:59], v[172:173] neg_lo:[0,1] neg_hi:[0,1]
	s_delay_alu instid0(VALU_DEP_2) | instskip(SKIP_1) | instid1(VALU_DEP_1)
	v_pk_fma_f32 v[172:173], v[170:171], v[164:165], v[168:169] op_sel:[0,0,1] op_sel_hi:[1,1,0] neg_lo:[0,0,1] neg_hi:[0,0,1]
	v_pk_fma_f32 v[168:169], v[170:171], v[164:165], v[168:169] op_sel:[0,0,1] op_sel_hi:[1,0,0]
	v_mov_b32_e32 v173, v169
	ds_load_2addr_b64 v[168:171], v244 offset0:11 offset1:12
	v_pk_add_f32 v[72:73], v[72:73], v[172:173] neg_lo:[0,1] neg_hi:[0,1]
	s_wait_dscnt 0x0
	v_pk_mul_f32 v[172:173], v[168:169], v[166:167] op_sel:[0,1]
	s_delay_alu instid0(VALU_DEP_1) | instskip(SKIP_1) | instid1(VALU_DEP_1)
	v_pk_fma_f32 v[174:175], v[168:169], v[164:165], v[172:173] op_sel:[0,0,1] op_sel_hi:[1,1,0] neg_lo:[0,0,1] neg_hi:[0,0,1]
	v_pk_fma_f32 v[168:169], v[168:169], v[164:165], v[172:173] op_sel:[0,0,1] op_sel_hi:[1,0,0]
	v_mov_b32_e32 v175, v169
	v_pk_mul_f32 v[168:169], v[170:171], v[166:167] op_sel:[0,1]
	s_delay_alu instid0(VALU_DEP_2) | instskip(NEXT) | instid1(VALU_DEP_2)
	v_pk_add_f32 v[70:71], v[70:71], v[174:175] neg_lo:[0,1] neg_hi:[0,1]
	v_pk_fma_f32 v[172:173], v[170:171], v[164:165], v[168:169] op_sel:[0,0,1] op_sel_hi:[1,1,0] neg_lo:[0,0,1] neg_hi:[0,0,1]
	v_pk_fma_f32 v[168:169], v[170:171], v[164:165], v[168:169] op_sel:[0,0,1] op_sel_hi:[1,0,0]
	s_delay_alu instid0(VALU_DEP_1) | instskip(SKIP_4) | instid1(VALU_DEP_1)
	v_mov_b32_e32 v173, v169
	ds_load_2addr_b64 v[168:171], v244 offset0:13 offset1:14
	v_pk_add_f32 v[92:93], v[92:93], v[172:173] neg_lo:[0,1] neg_hi:[0,1]
	s_wait_dscnt 0x0
	v_pk_mul_f32 v[172:173], v[168:169], v[166:167] op_sel:[0,1]
	v_pk_fma_f32 v[174:175], v[168:169], v[164:165], v[172:173] op_sel:[0,0,1] op_sel_hi:[1,1,0] neg_lo:[0,0,1] neg_hi:[0,0,1]
	v_pk_fma_f32 v[168:169], v[168:169], v[164:165], v[172:173] op_sel:[0,0,1] op_sel_hi:[1,0,0]
	v_dual_mul_f32 v172, v171, v167 :: v_dual_mov_b32 v168, v171
	s_delay_alu instid0(VALU_DEP_2) | instskip(NEXT) | instid1(VALU_DEP_2)
	v_dual_mov_b32 v175, v169 :: v_dual_mov_b32 v169, v170
	v_pk_fma_f32 v[172:173], v[170:171], v[46:47], v[172:173] op_sel_hi:[1,1,0] neg_lo:[0,0,1] neg_hi:[0,0,1]
	v_mul_f32_e32 v170, v171, v164
	s_delay_alu instid0(VALU_DEP_3) | instskip(NEXT) | instid1(VALU_DEP_2)
	v_pk_add_f32 v[88:89], v[88:89], v[174:175] neg_lo:[0,1] neg_hi:[0,1]
	v_pk_fma_f32 v[168:169], v[168:169], v[46:47], v[170:171] op_sel_hi:[1,1,0]
	s_delay_alu instid0(VALU_DEP_1) | instskip(SKIP_4) | instid1(VALU_DEP_1)
	v_mov_b32_e32 v173, v169
	ds_load_2addr_b64 v[168:171], v244 offset0:15 offset1:16
	v_pk_add_f32 v[90:91], v[90:91], v[172:173] neg_lo:[0,1] neg_hi:[0,1]
	s_wait_dscnt 0x0
	v_pk_mul_f32 v[172:173], v[168:169], v[166:167] op_sel:[0,1]
	v_pk_fma_f32 v[174:175], v[168:169], v[164:165], v[172:173] op_sel:[0,0,1] op_sel_hi:[1,1,0] neg_lo:[0,0,1] neg_hi:[0,0,1]
	v_pk_fma_f32 v[168:169], v[168:169], v[164:165], v[172:173] op_sel:[0,0,1] op_sel_hi:[1,0,0]
	s_delay_alu instid0(VALU_DEP_1) | instskip(SKIP_1) | instid1(VALU_DEP_1)
	v_mov_b32_e32 v175, v169
	v_pk_mul_f32 v[168:169], v[170:171], v[166:167] op_sel:[0,1]
	v_pk_fma_f32 v[172:173], v[170:171], v[164:165], v[168:169] op_sel:[0,0,1] op_sel_hi:[1,1,0] neg_lo:[0,0,1] neg_hi:[0,0,1]
	v_pk_fma_f32 v[168:169], v[170:171], v[164:165], v[168:169] op_sel:[0,0,1] op_sel_hi:[1,0,0]
	s_delay_alu instid0(VALU_DEP_1)
	v_mov_b32_e32 v173, v169
	ds_load_2addr_b64 v[168:171], v244 offset0:17 offset1:18
	v_pk_add_f32 v[86:87], v[86:87], v[174:175] neg_lo:[0,1] neg_hi:[0,1]
	v_pk_add_f32 v[84:85], v[84:85], v[172:173] neg_lo:[0,1] neg_hi:[0,1]
	s_wait_dscnt 0x0
	v_pk_mul_f32 v[172:173], v[168:169], v[166:167] op_sel:[0,1]
	s_delay_alu instid0(VALU_DEP_1) | instskip(SKIP_1) | instid1(VALU_DEP_1)
	v_pk_fma_f32 v[174:175], v[168:169], v[164:165], v[172:173] op_sel:[0,0,1] op_sel_hi:[1,1,0] neg_lo:[0,0,1] neg_hi:[0,0,1]
	v_pk_fma_f32 v[168:169], v[168:169], v[164:165], v[172:173] op_sel:[0,0,1] op_sel_hi:[1,0,0]
	v_mov_b32_e32 v175, v169
	v_pk_mul_f32 v[168:169], v[170:171], v[166:167] op_sel:[0,1]
	s_delay_alu instid0(VALU_DEP_1) | instskip(SKIP_1) | instid1(VALU_DEP_1)
	v_pk_fma_f32 v[172:173], v[170:171], v[164:165], v[168:169] op_sel:[0,0,1] op_sel_hi:[1,1,0] neg_lo:[0,0,1] neg_hi:[0,0,1]
	v_pk_fma_f32 v[168:169], v[170:171], v[164:165], v[168:169] op_sel:[0,0,1] op_sel_hi:[1,0,0]
	v_mov_b32_e32 v173, v169
	ds_load_2addr_b64 v[168:171], v244 offset0:19 offset1:20
	v_pk_add_f32 v[114:115], v[114:115], v[174:175] neg_lo:[0,1] neg_hi:[0,1]
	v_pk_add_f32 v[116:117], v[116:117], v[172:173] neg_lo:[0,1] neg_hi:[0,1]
	s_wait_dscnt 0x0
	v_dual_mul_f32 v172, v169, v167 :: v_dual_mul_f32 v174, v169, v164
	s_delay_alu instid0(VALU_DEP_1) | instskip(NEXT) | instid1(VALU_DEP_2)
	v_pk_fma_f32 v[172:173], v[168:169], v[46:47], v[172:173] op_sel_hi:[1,1,0] neg_lo:[0,0,1] neg_hi:[0,0,1]
	v_pk_fma_f32 v[168:169], v[168:169], v[46:47], v[174:175] op_sel:[1,0,0] op_sel_hi:[0,1,0]
	s_delay_alu instid0(VALU_DEP_1) | instskip(SKIP_1) | instid1(VALU_DEP_2)
	v_mov_b32_e32 v173, v169
	v_pk_mul_f32 v[168:169], v[170:171], v[166:167] op_sel:[0,1]
	v_pk_add_f32 v[112:113], v[112:113], v[172:173] neg_lo:[0,1] neg_hi:[0,1]
	s_delay_alu instid0(VALU_DEP_2) | instskip(SKIP_1) | instid1(VALU_DEP_1)
	v_pk_fma_f32 v[172:173], v[170:171], v[164:165], v[168:169] op_sel:[0,0,1] op_sel_hi:[1,1,0] neg_lo:[0,0,1] neg_hi:[0,0,1]
	v_pk_fma_f32 v[168:169], v[170:171], v[164:165], v[168:169] op_sel:[0,0,1] op_sel_hi:[1,0,0]
	v_mov_b32_e32 v173, v169
	ds_load_2addr_b64 v[168:171], v244 offset0:21 offset1:22
	v_pk_add_f32 v[110:111], v[110:111], v[172:173] neg_lo:[0,1] neg_hi:[0,1]
	s_wait_dscnt 0x0
	v_pk_mul_f32 v[172:173], v[168:169], v[166:167] op_sel:[0,1]
	s_delay_alu instid0(VALU_DEP_1) | instskip(SKIP_1) | instid1(VALU_DEP_1)
	v_pk_fma_f32 v[174:175], v[168:169], v[164:165], v[172:173] op_sel:[0,0,1] op_sel_hi:[1,1,0] neg_lo:[0,0,1] neg_hi:[0,0,1]
	v_pk_fma_f32 v[168:169], v[168:169], v[164:165], v[172:173] op_sel:[0,0,1] op_sel_hi:[1,0,0]
	v_mov_b32_e32 v175, v169
	v_pk_mul_f32 v[168:169], v[170:171], v[166:167] op_sel:[0,1]
	s_delay_alu instid0(VALU_DEP_2) | instskip(NEXT) | instid1(VALU_DEP_2)
	v_pk_add_f32 v[142:143], v[142:143], v[174:175] neg_lo:[0,1] neg_hi:[0,1]
	v_pk_fma_f32 v[172:173], v[170:171], v[164:165], v[168:169] op_sel:[0,0,1] op_sel_hi:[1,1,0] neg_lo:[0,0,1] neg_hi:[0,0,1]
	v_pk_fma_f32 v[168:169], v[170:171], v[164:165], v[168:169] op_sel:[0,0,1] op_sel_hi:[1,0,0]
	s_delay_alu instid0(VALU_DEP_1) | instskip(SKIP_4) | instid1(VALU_DEP_1)
	v_mov_b32_e32 v173, v169
	ds_load_2addr_b64 v[168:171], v244 offset0:23 offset1:24
	v_pk_add_f32 v[144:145], v[144:145], v[172:173] neg_lo:[0,1] neg_hi:[0,1]
	s_wait_dscnt 0x0
	v_pk_mul_f32 v[172:173], v[168:169], v[166:167] op_sel:[0,1]
	v_pk_fma_f32 v[174:175], v[168:169], v[164:165], v[172:173] op_sel:[0,0,1] op_sel_hi:[1,1,0] neg_lo:[0,0,1] neg_hi:[0,0,1]
	v_pk_fma_f32 v[168:169], v[168:169], v[164:165], v[172:173] op_sel:[0,0,1] op_sel_hi:[1,0,0]
	v_dual_mul_f32 v172, v171, v167 :: v_dual_mov_b32 v168, v171
	s_delay_alu instid0(VALU_DEP_2) | instskip(NEXT) | instid1(VALU_DEP_2)
	v_dual_mov_b32 v175, v169 :: v_dual_mov_b32 v169, v170
	v_pk_fma_f32 v[172:173], v[170:171], v[46:47], v[172:173] op_sel_hi:[1,1,0] neg_lo:[0,0,1] neg_hi:[0,0,1]
	v_mul_f32_e32 v170, v171, v164
	s_delay_alu instid0(VALU_DEP_3) | instskip(NEXT) | instid1(VALU_DEP_2)
	v_pk_add_f32 v[140:141], v[140:141], v[174:175] neg_lo:[0,1] neg_hi:[0,1]
	v_pk_fma_f32 v[168:169], v[168:169], v[46:47], v[170:171] op_sel_hi:[1,1,0]
	s_delay_alu instid0(VALU_DEP_1) | instskip(SKIP_4) | instid1(VALU_DEP_1)
	v_mov_b32_e32 v173, v169
	ds_load_2addr_b64 v[168:171], v244 offset0:25 offset1:26
	v_pk_add_f32 v[100:101], v[100:101], v[172:173] neg_lo:[0,1] neg_hi:[0,1]
	s_wait_dscnt 0x0
	v_pk_mul_f32 v[172:173], v[168:169], v[166:167] op_sel:[0,1]
	v_pk_fma_f32 v[174:175], v[168:169], v[164:165], v[172:173] op_sel:[0,0,1] op_sel_hi:[1,1,0] neg_lo:[0,0,1] neg_hi:[0,0,1]
	v_pk_fma_f32 v[168:169], v[168:169], v[164:165], v[172:173] op_sel:[0,0,1] op_sel_hi:[1,0,0]
	s_delay_alu instid0(VALU_DEP_1) | instskip(SKIP_1) | instid1(VALU_DEP_1)
	v_mov_b32_e32 v175, v169
	v_pk_mul_f32 v[168:169], v[170:171], v[166:167] op_sel:[0,1]
	v_pk_fma_f32 v[172:173], v[170:171], v[164:165], v[168:169] op_sel:[0,0,1] op_sel_hi:[1,1,0] neg_lo:[0,0,1] neg_hi:[0,0,1]
	v_pk_fma_f32 v[168:169], v[170:171], v[164:165], v[168:169] op_sel:[0,0,1] op_sel_hi:[1,0,0]
	s_delay_alu instid0(VALU_DEP_1)
	v_mov_b32_e32 v173, v169
	ds_load_2addr_b64 v[168:171], v244 offset0:27 offset1:28
	v_pk_add_f32 v[96:97], v[96:97], v[174:175] neg_lo:[0,1] neg_hi:[0,1]
	v_pk_add_f32 v[98:99], v[98:99], v[172:173] neg_lo:[0,1] neg_hi:[0,1]
	s_wait_dscnt 0x0
	v_pk_mul_f32 v[172:173], v[168:169], v[166:167] op_sel:[0,1]
	s_delay_alu instid0(VALU_DEP_1) | instskip(SKIP_1) | instid1(VALU_DEP_1)
	v_pk_fma_f32 v[174:175], v[168:169], v[164:165], v[172:173] op_sel:[0,0,1] op_sel_hi:[1,1,0] neg_lo:[0,0,1] neg_hi:[0,0,1]
	v_pk_fma_f32 v[168:169], v[168:169], v[164:165], v[172:173] op_sel:[0,0,1] op_sel_hi:[1,0,0]
	v_mov_b32_e32 v175, v169
	v_pk_mul_f32 v[168:169], v[170:171], v[166:167] op_sel:[0,1]
	s_delay_alu instid0(VALU_DEP_1) | instskip(SKIP_1) | instid1(VALU_DEP_1)
	v_pk_fma_f32 v[172:173], v[170:171], v[164:165], v[168:169] op_sel:[0,0,1] op_sel_hi:[1,1,0] neg_lo:[0,0,1] neg_hi:[0,0,1]
	v_pk_fma_f32 v[168:169], v[170:171], v[164:165], v[168:169] op_sel:[0,0,1] op_sel_hi:[1,0,0]
	v_mov_b32_e32 v173, v169
	ds_load_2addr_b64 v[168:171], v244 offset0:29 offset1:30
	v_pk_add_f32 v[94:95], v[94:95], v[174:175] neg_lo:[0,1] neg_hi:[0,1]
	v_pk_add_f32 v[128:129], v[128:129], v[172:173] neg_lo:[0,1] neg_hi:[0,1]
	s_wait_dscnt 0x0
	v_dual_mul_f32 v172, v169, v167 :: v_dual_mul_f32 v174, v169, v164
	s_delay_alu instid0(VALU_DEP_1) | instskip(NEXT) | instid1(VALU_DEP_2)
	v_pk_fma_f32 v[172:173], v[168:169], v[46:47], v[172:173] op_sel_hi:[1,1,0] neg_lo:[0,0,1] neg_hi:[0,0,1]
	v_pk_fma_f32 v[168:169], v[168:169], v[46:47], v[174:175] op_sel:[1,0,0] op_sel_hi:[0,1,0]
	s_delay_alu instid0(VALU_DEP_1) | instskip(SKIP_1) | instid1(VALU_DEP_2)
	v_mov_b32_e32 v173, v169
	v_pk_mul_f32 v[168:169], v[170:171], v[166:167] op_sel:[0,1]
	v_pk_add_f32 v[124:125], v[124:125], v[172:173] neg_lo:[0,1] neg_hi:[0,1]
	s_delay_alu instid0(VALU_DEP_2) | instskip(SKIP_1) | instid1(VALU_DEP_1)
	v_pk_fma_f32 v[172:173], v[170:171], v[164:165], v[168:169] op_sel:[0,0,1] op_sel_hi:[1,1,0] neg_lo:[0,0,1] neg_hi:[0,0,1]
	v_pk_fma_f32 v[168:169], v[170:171], v[164:165], v[168:169] op_sel:[0,0,1] op_sel_hi:[1,0,0]
	v_mov_b32_e32 v173, v169
	ds_load_2addr_b64 v[168:171], v244 offset0:31 offset1:32
	v_pk_add_f32 v[126:127], v[126:127], v[172:173] neg_lo:[0,1] neg_hi:[0,1]
	s_wait_dscnt 0x0
	v_pk_mul_f32 v[172:173], v[168:169], v[166:167] op_sel:[0,1]
	s_delay_alu instid0(VALU_DEP_1) | instskip(SKIP_1) | instid1(VALU_DEP_1)
	v_pk_fma_f32 v[174:175], v[168:169], v[164:165], v[172:173] op_sel:[0,0,1] op_sel_hi:[1,1,0] neg_lo:[0,0,1] neg_hi:[0,0,1]
	v_pk_fma_f32 v[168:169], v[168:169], v[164:165], v[172:173] op_sel:[0,0,1] op_sel_hi:[1,0,0]
	v_mov_b32_e32 v175, v169
	v_pk_mul_f32 v[168:169], v[170:171], v[166:167] op_sel:[0,1]
	s_delay_alu instid0(VALU_DEP_2) | instskip(NEXT) | instid1(VALU_DEP_2)
	v_pk_add_f32 v[122:123], v[122:123], v[174:175] neg_lo:[0,1] neg_hi:[0,1]
	v_pk_fma_f32 v[172:173], v[170:171], v[164:165], v[168:169] op_sel:[0,0,1] op_sel_hi:[1,1,0] neg_lo:[0,0,1] neg_hi:[0,0,1]
	v_pk_fma_f32 v[168:169], v[170:171], v[164:165], v[168:169] op_sel:[0,0,1] op_sel_hi:[1,0,0]
	s_delay_alu instid0(VALU_DEP_1) | instskip(SKIP_4) | instid1(VALU_DEP_1)
	v_mov_b32_e32 v173, v169
	ds_load_2addr_b64 v[168:171], v244 offset0:33 offset1:34
	v_pk_add_f32 v[152:153], v[152:153], v[172:173] neg_lo:[0,1] neg_hi:[0,1]
	s_wait_dscnt 0x0
	v_pk_mul_f32 v[172:173], v[168:169], v[166:167] op_sel:[0,1]
	v_pk_fma_f32 v[174:175], v[168:169], v[164:165], v[172:173] op_sel:[0,0,1] op_sel_hi:[1,1,0] neg_lo:[0,0,1] neg_hi:[0,0,1]
	v_pk_fma_f32 v[168:169], v[168:169], v[164:165], v[172:173] op_sel:[0,0,1] op_sel_hi:[1,0,0]
	v_dual_mul_f32 v172, v171, v167 :: v_dual_mov_b32 v168, v171
	s_delay_alu instid0(VALU_DEP_2) | instskip(NEXT) | instid1(VALU_DEP_2)
	v_dual_mov_b32 v175, v169 :: v_dual_mov_b32 v169, v170
	v_pk_fma_f32 v[172:173], v[170:171], v[46:47], v[172:173] op_sel_hi:[1,1,0] neg_lo:[0,0,1] neg_hi:[0,0,1]
	v_mul_f32_e32 v170, v171, v164
	s_delay_alu instid0(VALU_DEP_3) | instskip(NEXT) | instid1(VALU_DEP_2)
	v_pk_add_f32 v[148:149], v[148:149], v[174:175] neg_lo:[0,1] neg_hi:[0,1]
	v_pk_fma_f32 v[168:169], v[168:169], v[46:47], v[170:171] op_sel_hi:[1,1,0]
	s_delay_alu instid0(VALU_DEP_1) | instskip(SKIP_4) | instid1(VALU_DEP_1)
	v_mov_b32_e32 v173, v169
	ds_load_2addr_b64 v[168:171], v244 offset0:35 offset1:36
	v_pk_add_f32 v[150:151], v[150:151], v[172:173] neg_lo:[0,1] neg_hi:[0,1]
	s_wait_dscnt 0x0
	v_pk_mul_f32 v[172:173], v[168:169], v[166:167] op_sel:[0,1]
	v_pk_fma_f32 v[174:175], v[168:169], v[164:165], v[172:173] op_sel:[0,0,1] op_sel_hi:[1,1,0] neg_lo:[0,0,1] neg_hi:[0,0,1]
	v_pk_fma_f32 v[168:169], v[168:169], v[164:165], v[172:173] op_sel:[0,0,1] op_sel_hi:[1,0,0]
	s_delay_alu instid0(VALU_DEP_1) | instskip(SKIP_1) | instid1(VALU_DEP_1)
	v_mov_b32_e32 v175, v169
	v_pk_mul_f32 v[168:169], v[170:171], v[166:167] op_sel:[0,1]
	v_pk_fma_f32 v[172:173], v[170:171], v[164:165], v[168:169] op_sel:[0,0,1] op_sel_hi:[1,1,0] neg_lo:[0,0,1] neg_hi:[0,0,1]
	v_pk_fma_f32 v[168:169], v[170:171], v[164:165], v[168:169] op_sel:[0,0,1] op_sel_hi:[1,0,0]
	s_delay_alu instid0(VALU_DEP_1)
	v_mov_b32_e32 v173, v169
	ds_load_2addr_b64 v[168:171], v244 offset0:37 offset1:38
	v_pk_add_f32 v[146:147], v[146:147], v[174:175] neg_lo:[0,1] neg_hi:[0,1]
	v_pk_add_f32 v[158:159], v[158:159], v[172:173] neg_lo:[0,1] neg_hi:[0,1]
	s_wait_dscnt 0x0
	v_pk_mul_f32 v[172:173], v[168:169], v[166:167] op_sel:[0,1]
	s_delay_alu instid0(VALU_DEP_1) | instskip(SKIP_1) | instid1(VALU_DEP_1)
	v_pk_fma_f32 v[174:175], v[168:169], v[164:165], v[172:173] op_sel:[0,0,1] op_sel_hi:[1,1,0] neg_lo:[0,0,1] neg_hi:[0,0,1]
	v_pk_fma_f32 v[168:169], v[168:169], v[164:165], v[172:173] op_sel:[0,0,1] op_sel_hi:[1,0,0]
	v_mov_b32_e32 v175, v169
	v_pk_mul_f32 v[168:169], v[170:171], v[166:167] op_sel:[0,1]
	s_delay_alu instid0(VALU_DEP_1) | instskip(SKIP_1) | instid1(VALU_DEP_1)
	v_pk_fma_f32 v[172:173], v[170:171], v[164:165], v[168:169] op_sel:[0,0,1] op_sel_hi:[1,1,0] neg_lo:[0,0,1] neg_hi:[0,0,1]
	v_pk_fma_f32 v[168:169], v[170:171], v[164:165], v[168:169] op_sel:[0,0,1] op_sel_hi:[1,0,0]
	v_mov_b32_e32 v173, v169
	ds_load_b64 v[168:169], v244 offset:312
	v_pk_add_f32 v[156:157], v[156:157], v[174:175] neg_lo:[0,1] neg_hi:[0,1]
	v_pk_add_f32 v[154:155], v[154:155], v[172:173] neg_lo:[0,1] neg_hi:[0,1]
	s_wait_dscnt 0x0
	v_pk_mul_f32 v[166:167], v[168:169], v[166:167] op_sel:[0,1]
	s_delay_alu instid0(VALU_DEP_1) | instskip(SKIP_1) | instid1(VALU_DEP_1)
	v_pk_fma_f32 v[170:171], v[168:169], v[164:165], v[166:167] op_sel:[0,0,1] op_sel_hi:[1,1,0] neg_lo:[0,0,1] neg_hi:[0,0,1]
	v_pk_fma_f32 v[164:165], v[168:169], v[164:165], v[166:167] op_sel:[0,0,1] op_sel_hi:[1,0,0]
	v_mov_b32_e32 v171, v165
	s_delay_alu instid0(VALU_DEP_1)
	v_pk_add_f32 v[160:161], v[160:161], v[170:171] neg_lo:[0,1] neg_hi:[0,1]
.LBB79_10:
	s_or_b32 exec_lo, exec_lo, s2
	s_delay_alu instid0(SALU_CYCLE_1)
	s_mov_b32 s2, exec_lo
	s_wait_dscnt 0x0
	s_barrier_signal -1
	s_barrier_wait -1
	v_cmpx_eq_u32_e32 1, v242
	s_cbranch_execz .LBB79_17
; %bb.11:
	v_dual_mov_b32 v164, v38 :: v_dual_mov_b32 v165, v39
	v_dual_mov_b32 v166, v36 :: v_dual_mov_b32 v167, v37
	;; [unrolled: 1-line block ×4, first 2 shown]
	ds_store_b64 v243, v[48:49]
	ds_store_2addr_b64 v244, v[164:165], v[166:167] offset0:2 offset1:3
	ds_store_2addr_b64 v244, v[168:169], v[170:171] offset0:4 offset1:5
	v_dual_mov_b32 v164, v24 :: v_dual_mov_b32 v165, v25
	v_dual_mov_b32 v166, v60 :: v_dual_mov_b32 v167, v61
	;; [unrolled: 1-line block ×12, first 2 shown]
	ds_store_2addr_b64 v244, v[164:165], v[166:167] offset0:6 offset1:7
	ds_store_2addr_b64 v244, v[168:169], v[170:171] offset0:8 offset1:9
	ds_store_2addr_b64 v244, v[172:173], v[174:175] offset0:10 offset1:11
	ds_store_2addr_b64 v244, v[176:177], v[178:179] offset0:12 offset1:13
	ds_store_2addr_b64 v244, v[180:181], v[182:183] offset0:14 offset1:15
	ds_store_2addr_b64 v244, v[184:185], v[186:187] offset0:16 offset1:17
	v_dual_mov_b32 v164, v116 :: v_dual_mov_b32 v165, v117
	v_dual_mov_b32 v166, v112 :: v_dual_mov_b32 v167, v113
	;; [unrolled: 1-line block ×12, first 2 shown]
	ds_store_2addr_b64 v244, v[164:165], v[166:167] offset0:18 offset1:19
	ds_store_2addr_b64 v244, v[168:169], v[170:171] offset0:20 offset1:21
	;; [unrolled: 1-line block ×6, first 2 shown]
	v_dual_mov_b32 v164, v126 :: v_dual_mov_b32 v165, v127
	v_dual_mov_b32 v166, v122 :: v_dual_mov_b32 v167, v123
	;; [unrolled: 1-line block ×9, first 2 shown]
	ds_store_2addr_b64 v244, v[164:165], v[166:167] offset0:30 offset1:31
	ds_store_2addr_b64 v244, v[168:169], v[170:171] offset0:32 offset1:33
	;; [unrolled: 1-line block ×5, first 2 shown]
	ds_load_b64 v[164:165], v243
	s_wait_dscnt 0x0
	v_cmp_neq_f32_e32 vcc_lo, 0, v164
	v_cmp_neq_f32_e64 s1, 0, v165
	s_or_b32 s1, vcc_lo, s1
	s_delay_alu instid0(SALU_CYCLE_1)
	s_and_b32 exec_lo, exec_lo, s1
	s_cbranch_execz .LBB79_17
; %bb.12:
	v_cmp_ngt_f32_e64 s1, |v164|, |v165|
                                        ; implicit-def: $vgpr166_vgpr167
	s_and_saveexec_b32 s4, s1
	s_delay_alu instid0(SALU_CYCLE_1)
	s_xor_b32 s1, exec_lo, s4
	s_cbranch_execz .LBB79_14
; %bb.13:
	v_div_scale_f32 v0, null, v165, v165, v164
	v_div_scale_f32 v167, vcc_lo, v164, v165, v164
	s_delay_alu instid0(VALU_DEP_2) | instskip(SKIP_1) | instid1(TRANS32_DEP_1)
	v_rcp_f32_e32 v1, v0
	v_nop
	v_fma_f32 v166, -v0, v1, 1.0
	s_delay_alu instid0(VALU_DEP_1) | instskip(NEXT) | instid1(VALU_DEP_1)
	v_fmac_f32_e32 v1, v166, v1
	v_mul_f32_e32 v166, v167, v1
	s_delay_alu instid0(VALU_DEP_1) | instskip(NEXT) | instid1(VALU_DEP_1)
	v_fma_f32 v168, -v0, v166, v167
	v_fmac_f32_e32 v166, v168, v1
	s_delay_alu instid0(VALU_DEP_1) | instskip(NEXT) | instid1(VALU_DEP_1)
	v_fma_f32 v0, -v0, v166, v167
	v_div_fmas_f32 v0, v0, v1, v166
	s_delay_alu instid0(VALU_DEP_1) | instskip(NEXT) | instid1(VALU_DEP_1)
	v_div_fixup_f32 v0, v0, v165, v164
	v_fmac_f32_e32 v165, v164, v0
	s_delay_alu instid0(VALU_DEP_1) | instskip(SKIP_1) | instid1(VALU_DEP_2)
	v_div_scale_f32 v1, null, v165, v165, 1.0
	v_div_scale_f32 v167, vcc_lo, 1.0, v165, 1.0
	v_rcp_f32_e32 v164, v1
	v_nop
	s_delay_alu instid0(TRANS32_DEP_1) | instskip(NEXT) | instid1(VALU_DEP_1)
	v_fma_f32 v166, -v1, v164, 1.0
	v_fmac_f32_e32 v164, v166, v164
	s_delay_alu instid0(VALU_DEP_1) | instskip(NEXT) | instid1(VALU_DEP_1)
	v_mul_f32_e32 v166, v167, v164
	v_fma_f32 v168, -v1, v166, v167
	s_delay_alu instid0(VALU_DEP_1) | instskip(NEXT) | instid1(VALU_DEP_1)
	v_fmac_f32_e32 v166, v168, v164
	v_fma_f32 v1, -v1, v166, v167
	s_delay_alu instid0(VALU_DEP_1) | instskip(NEXT) | instid1(VALU_DEP_1)
	v_div_fmas_f32 v1, v1, v164, v166
	v_div_fixup_f32 v1, v1, v165, 1.0
                                        ; implicit-def: $vgpr164_vgpr165
	s_delay_alu instid0(VALU_DEP_1)
	v_mul_f32_e32 v166, v0, v1
	v_xor_b32_e32 v167, 0x80000000, v1
.LBB79_14:
	s_and_not1_saveexec_b32 s1, s1
	s_cbranch_execz .LBB79_16
; %bb.15:
	v_div_scale_f32 v0, null, v164, v164, v165
	v_div_scale_f32 v167, vcc_lo, v165, v164, v165
	s_delay_alu instid0(VALU_DEP_2) | instskip(SKIP_1) | instid1(TRANS32_DEP_1)
	v_rcp_f32_e32 v1, v0
	v_nop
	v_fma_f32 v166, -v0, v1, 1.0
	s_delay_alu instid0(VALU_DEP_1) | instskip(NEXT) | instid1(VALU_DEP_1)
	v_fmac_f32_e32 v1, v166, v1
	v_mul_f32_e32 v166, v167, v1
	s_delay_alu instid0(VALU_DEP_1) | instskip(NEXT) | instid1(VALU_DEP_1)
	v_fma_f32 v168, -v0, v166, v167
	v_fmac_f32_e32 v166, v168, v1
	s_delay_alu instid0(VALU_DEP_1) | instskip(NEXT) | instid1(VALU_DEP_1)
	v_fma_f32 v0, -v0, v166, v167
	v_div_fmas_f32 v0, v0, v1, v166
	s_delay_alu instid0(VALU_DEP_1) | instskip(NEXT) | instid1(VALU_DEP_1)
	v_div_fixup_f32 v0, v0, v164, v165
	v_fmac_f32_e32 v164, v165, v0
	s_delay_alu instid0(VALU_DEP_1) | instskip(NEXT) | instid1(VALU_DEP_1)
	v_div_scale_f32 v1, null, v164, v164, 1.0
	v_rcp_f32_e32 v165, v1
	v_nop
	s_delay_alu instid0(TRANS32_DEP_1) | instskip(NEXT) | instid1(VALU_DEP_1)
	v_fma_f32 v166, -v1, v165, 1.0
	v_fmac_f32_e32 v165, v166, v165
	v_div_scale_f32 v166, vcc_lo, 1.0, v164, 1.0
	s_delay_alu instid0(VALU_DEP_1) | instskip(NEXT) | instid1(VALU_DEP_1)
	v_mul_f32_e32 v167, v166, v165
	v_fma_f32 v168, -v1, v167, v166
	s_delay_alu instid0(VALU_DEP_1) | instskip(NEXT) | instid1(VALU_DEP_1)
	v_fmac_f32_e32 v167, v168, v165
	v_fma_f32 v1, -v1, v167, v166
	s_delay_alu instid0(VALU_DEP_1) | instskip(NEXT) | instid1(VALU_DEP_1)
	v_div_fmas_f32 v1, v1, v165, v167
	v_div_fixup_f32 v166, v1, v164, 1.0
	s_delay_alu instid0(VALU_DEP_1)
	v_mul_f32_e64 v167, v0, -v166
.LBB79_16:
	s_or_b32 exec_lo, exec_lo, s1
	ds_store_b64 v243, v[166:167]
.LBB79_17:
	s_or_b32 exec_lo, exec_lo, s2
	s_wait_dscnt 0x0
	s_barrier_signal -1
	s_barrier_wait -1
	ds_load_b64 v[164:165], v243
	s_mov_b32 s1, exec_lo
	v_cmpx_lt_u32_e32 1, v242
	s_cbranch_execz .LBB79_19
; %bb.18:
	ds_load_2addr_b64 v[170:173], v244 offset0:2 offset1:3
	s_wait_dscnt 0x1
	v_pk_mul_f32 v[168:169], v[164:165], v[48:49] op_sel:[1,1] op_sel_hi:[0,1]
	s_delay_alu instid0(VALU_DEP_1) | instskip(SKIP_1) | instid1(VALU_DEP_1)
	v_pk_fma_f32 v[166:167], v[164:165], v[48:49], v[168:169] op_sel_hi:[1,0,1] neg_lo:[0,0,1] neg_hi:[0,0,1]
	v_pk_fma_f32 v[168:169], v[164:165], v[48:49], v[168:169] op_sel_hi:[1,0,1]
	v_dual_mov_b32 v48, v166 :: v_dual_mov_b32 v49, v169
	s_wait_dscnt 0x0
	s_delay_alu instid0(VALU_DEP_2) | instskip(NEXT) | instid1(VALU_DEP_1)
	v_pk_mul_f32 v[174:175], v[170:171], v[168:169] op_sel:[0,1]
	v_pk_fma_f32 v[176:177], v[170:171], v[166:167], v[174:175] op_sel:[0,0,1] op_sel_hi:[1,1,0] neg_lo:[0,0,1] neg_hi:[0,0,1]
	v_pk_fma_f32 v[170:171], v[170:171], v[166:167], v[174:175] op_sel:[0,0,1] op_sel_hi:[1,0,0]
	s_delay_alu instid0(VALU_DEP_1) | instskip(SKIP_1) | instid1(VALU_DEP_1)
	v_mov_b32_e32 v177, v171
	v_pk_mul_f32 v[170:171], v[172:173], v[168:169] op_sel:[0,1]
	v_pk_fma_f32 v[174:175], v[172:173], v[166:167], v[170:171] op_sel:[0,0,1] op_sel_hi:[1,1,0] neg_lo:[0,0,1] neg_hi:[0,0,1]
	v_pk_fma_f32 v[170:171], v[172:173], v[166:167], v[170:171] op_sel:[0,0,1] op_sel_hi:[1,0,0]
	s_delay_alu instid0(VALU_DEP_1)
	v_mov_b32_e32 v175, v171
	ds_load_2addr_b64 v[170:173], v244 offset0:4 offset1:5
	v_pk_add_f32 v[38:39], v[38:39], v[176:177] neg_lo:[0,1] neg_hi:[0,1]
	v_pk_add_f32 v[36:37], v[36:37], v[174:175] neg_lo:[0,1] neg_hi:[0,1]
	s_wait_dscnt 0x0
	v_pk_mul_f32 v[174:175], v[170:171], v[168:169] op_sel:[0,1]
	s_delay_alu instid0(VALU_DEP_1) | instskip(SKIP_2) | instid1(VALU_DEP_2)
	v_pk_fma_f32 v[176:177], v[170:171], v[166:167], v[174:175] op_sel:[0,0,1] op_sel_hi:[1,1,0] neg_lo:[0,0,1] neg_hi:[0,0,1]
	v_pk_fma_f32 v[170:171], v[170:171], v[166:167], v[174:175] op_sel:[0,0,1] op_sel_hi:[1,0,0]
	v_dual_mul_f32 v174, v173, v169 :: v_dual_mov_b32 v170, v173
	v_dual_mov_b32 v177, v171 :: v_dual_mov_b32 v171, v172
	s_delay_alu instid0(VALU_DEP_2) | instskip(SKIP_1) | instid1(VALU_DEP_3)
	v_pk_fma_f32 v[174:175], v[172:173], v[48:49], v[174:175] op_sel_hi:[1,1,0] neg_lo:[0,0,1] neg_hi:[0,0,1]
	v_mul_f32_e32 v172, v173, v166
	v_pk_add_f32 v[26:27], v[26:27], v[176:177] neg_lo:[0,1] neg_hi:[0,1]
	s_delay_alu instid0(VALU_DEP_2) | instskip(NEXT) | instid1(VALU_DEP_1)
	v_pk_fma_f32 v[170:171], v[170:171], v[48:49], v[172:173] op_sel_hi:[1,1,0]
	v_mov_b32_e32 v175, v171
	ds_load_2addr_b64 v[170:173], v244 offset0:6 offset1:7
	v_pk_add_f32 v[22:23], v[22:23], v[174:175] neg_lo:[0,1] neg_hi:[0,1]
	s_wait_dscnt 0x0
	v_pk_mul_f32 v[174:175], v[170:171], v[168:169] op_sel:[0,1]
	s_delay_alu instid0(VALU_DEP_1) | instskip(SKIP_1) | instid1(VALU_DEP_1)
	v_pk_fma_f32 v[176:177], v[170:171], v[166:167], v[174:175] op_sel:[0,0,1] op_sel_hi:[1,1,0] neg_lo:[0,0,1] neg_hi:[0,0,1]
	v_pk_fma_f32 v[170:171], v[170:171], v[166:167], v[174:175] op_sel:[0,0,1] op_sel_hi:[1,0,0]
	v_mov_b32_e32 v177, v171
	v_pk_mul_f32 v[170:171], v[172:173], v[168:169] op_sel:[0,1]
	s_delay_alu instid0(VALU_DEP_1) | instskip(SKIP_1) | instid1(VALU_DEP_1)
	v_pk_fma_f32 v[174:175], v[172:173], v[166:167], v[170:171] op_sel:[0,0,1] op_sel_hi:[1,1,0] neg_lo:[0,0,1] neg_hi:[0,0,1]
	v_pk_fma_f32 v[170:171], v[172:173], v[166:167], v[170:171] op_sel:[0,0,1] op_sel_hi:[1,0,0]
	v_mov_b32_e32 v175, v171
	ds_load_2addr_b64 v[170:173], v244 offset0:8 offset1:9
	v_pk_add_f32 v[24:25], v[24:25], v[176:177] neg_lo:[0,1] neg_hi:[0,1]
	v_pk_add_f32 v[60:61], v[60:61], v[174:175] neg_lo:[0,1] neg_hi:[0,1]
	s_wait_dscnt 0x0
	v_pk_mul_f32 v[174:175], v[170:171], v[168:169] op_sel:[0,1]
	s_delay_alu instid0(VALU_DEP_1) | instskip(SKIP_1) | instid1(VALU_DEP_1)
	v_pk_fma_f32 v[176:177], v[170:171], v[166:167], v[174:175] op_sel:[0,0,1] op_sel_hi:[1,1,0] neg_lo:[0,0,1] neg_hi:[0,0,1]
	v_pk_fma_f32 v[170:171], v[170:171], v[166:167], v[174:175] op_sel:[0,0,1] op_sel_hi:[1,0,0]
	v_mov_b32_e32 v177, v171
	v_pk_mul_f32 v[170:171], v[172:173], v[168:169] op_sel:[0,1]
	s_delay_alu instid0(VALU_DEP_1) | instskip(SKIP_1) | instid1(VALU_DEP_1)
	v_pk_fma_f32 v[174:175], v[172:173], v[166:167], v[170:171] op_sel:[0,0,1] op_sel_hi:[1,1,0] neg_lo:[0,0,1] neg_hi:[0,0,1]
	v_pk_fma_f32 v[170:171], v[172:173], v[166:167], v[170:171] op_sel:[0,0,1] op_sel_hi:[1,0,0]
	v_mov_b32_e32 v175, v171
	ds_load_2addr_b64 v[170:173], v244 offset0:10 offset1:11
	v_pk_add_f32 v[74:75], v[74:75], v[176:177] neg_lo:[0,1] neg_hi:[0,1]
	v_pk_add_f32 v[58:59], v[58:59], v[174:175] neg_lo:[0,1] neg_hi:[0,1]
	s_wait_dscnt 0x0
	v_dual_mul_f32 v174, v171, v169 :: v_dual_mul_f32 v176, v171, v166
	s_delay_alu instid0(VALU_DEP_1) | instskip(NEXT) | instid1(VALU_DEP_2)
	v_pk_fma_f32 v[174:175], v[170:171], v[48:49], v[174:175] op_sel_hi:[1,1,0] neg_lo:[0,0,1] neg_hi:[0,0,1]
	v_pk_fma_f32 v[170:171], v[170:171], v[48:49], v[176:177] op_sel:[1,0,0] op_sel_hi:[0,1,0]
	s_delay_alu instid0(VALU_DEP_1) | instskip(SKIP_1) | instid1(VALU_DEP_2)
	v_mov_b32_e32 v175, v171
	v_pk_mul_f32 v[170:171], v[172:173], v[168:169] op_sel:[0,1]
	v_pk_add_f32 v[72:73], v[72:73], v[174:175] neg_lo:[0,1] neg_hi:[0,1]
	s_delay_alu instid0(VALU_DEP_2) | instskip(SKIP_1) | instid1(VALU_DEP_1)
	v_pk_fma_f32 v[174:175], v[172:173], v[166:167], v[170:171] op_sel:[0,0,1] op_sel_hi:[1,1,0] neg_lo:[0,0,1] neg_hi:[0,0,1]
	v_pk_fma_f32 v[170:171], v[172:173], v[166:167], v[170:171] op_sel:[0,0,1] op_sel_hi:[1,0,0]
	v_mov_b32_e32 v175, v171
	ds_load_2addr_b64 v[170:173], v244 offset0:12 offset1:13
	v_pk_add_f32 v[70:71], v[70:71], v[174:175] neg_lo:[0,1] neg_hi:[0,1]
	s_wait_dscnt 0x0
	v_pk_mul_f32 v[174:175], v[170:171], v[168:169] op_sel:[0,1]
	s_delay_alu instid0(VALU_DEP_1) | instskip(SKIP_1) | instid1(VALU_DEP_1)
	v_pk_fma_f32 v[176:177], v[170:171], v[166:167], v[174:175] op_sel:[0,0,1] op_sel_hi:[1,1,0] neg_lo:[0,0,1] neg_hi:[0,0,1]
	v_pk_fma_f32 v[170:171], v[170:171], v[166:167], v[174:175] op_sel:[0,0,1] op_sel_hi:[1,0,0]
	v_mov_b32_e32 v177, v171
	v_pk_mul_f32 v[170:171], v[172:173], v[168:169] op_sel:[0,1]
	s_delay_alu instid0(VALU_DEP_2) | instskip(NEXT) | instid1(VALU_DEP_2)
	v_pk_add_f32 v[92:93], v[92:93], v[176:177] neg_lo:[0,1] neg_hi:[0,1]
	v_pk_fma_f32 v[174:175], v[172:173], v[166:167], v[170:171] op_sel:[0,0,1] op_sel_hi:[1,1,0] neg_lo:[0,0,1] neg_hi:[0,0,1]
	v_pk_fma_f32 v[170:171], v[172:173], v[166:167], v[170:171] op_sel:[0,0,1] op_sel_hi:[1,0,0]
	s_delay_alu instid0(VALU_DEP_1) | instskip(SKIP_4) | instid1(VALU_DEP_1)
	v_mov_b32_e32 v175, v171
	ds_load_2addr_b64 v[170:173], v244 offset0:14 offset1:15
	v_pk_add_f32 v[88:89], v[88:89], v[174:175] neg_lo:[0,1] neg_hi:[0,1]
	s_wait_dscnt 0x0
	v_pk_mul_f32 v[174:175], v[170:171], v[168:169] op_sel:[0,1]
	v_pk_fma_f32 v[176:177], v[170:171], v[166:167], v[174:175] op_sel:[0,0,1] op_sel_hi:[1,1,0] neg_lo:[0,0,1] neg_hi:[0,0,1]
	v_pk_fma_f32 v[170:171], v[170:171], v[166:167], v[174:175] op_sel:[0,0,1] op_sel_hi:[1,0,0]
	v_dual_mul_f32 v174, v173, v169 :: v_dual_mov_b32 v170, v173
	s_delay_alu instid0(VALU_DEP_2) | instskip(NEXT) | instid1(VALU_DEP_2)
	v_dual_mov_b32 v177, v171 :: v_dual_mov_b32 v171, v172
	v_pk_fma_f32 v[174:175], v[172:173], v[48:49], v[174:175] op_sel_hi:[1,1,0] neg_lo:[0,0,1] neg_hi:[0,0,1]
	v_mul_f32_e32 v172, v173, v166
	s_delay_alu instid0(VALU_DEP_3) | instskip(NEXT) | instid1(VALU_DEP_2)
	v_pk_add_f32 v[90:91], v[90:91], v[176:177] neg_lo:[0,1] neg_hi:[0,1]
	v_pk_fma_f32 v[170:171], v[170:171], v[48:49], v[172:173] op_sel_hi:[1,1,0]
	s_delay_alu instid0(VALU_DEP_1) | instskip(SKIP_4) | instid1(VALU_DEP_1)
	v_mov_b32_e32 v175, v171
	ds_load_2addr_b64 v[170:173], v244 offset0:16 offset1:17
	v_pk_add_f32 v[86:87], v[86:87], v[174:175] neg_lo:[0,1] neg_hi:[0,1]
	s_wait_dscnt 0x0
	v_pk_mul_f32 v[174:175], v[170:171], v[168:169] op_sel:[0,1]
	v_pk_fma_f32 v[176:177], v[170:171], v[166:167], v[174:175] op_sel:[0,0,1] op_sel_hi:[1,1,0] neg_lo:[0,0,1] neg_hi:[0,0,1]
	v_pk_fma_f32 v[170:171], v[170:171], v[166:167], v[174:175] op_sel:[0,0,1] op_sel_hi:[1,0,0]
	s_delay_alu instid0(VALU_DEP_1) | instskip(SKIP_1) | instid1(VALU_DEP_1)
	v_mov_b32_e32 v177, v171
	v_pk_mul_f32 v[170:171], v[172:173], v[168:169] op_sel:[0,1]
	v_pk_fma_f32 v[174:175], v[172:173], v[166:167], v[170:171] op_sel:[0,0,1] op_sel_hi:[1,1,0] neg_lo:[0,0,1] neg_hi:[0,0,1]
	v_pk_fma_f32 v[170:171], v[172:173], v[166:167], v[170:171] op_sel:[0,0,1] op_sel_hi:[1,0,0]
	s_delay_alu instid0(VALU_DEP_1)
	v_mov_b32_e32 v175, v171
	ds_load_2addr_b64 v[170:173], v244 offset0:18 offset1:19
	v_pk_add_f32 v[84:85], v[84:85], v[176:177] neg_lo:[0,1] neg_hi:[0,1]
	v_pk_add_f32 v[114:115], v[114:115], v[174:175] neg_lo:[0,1] neg_hi:[0,1]
	s_wait_dscnt 0x0
	v_pk_mul_f32 v[174:175], v[170:171], v[168:169] op_sel:[0,1]
	s_delay_alu instid0(VALU_DEP_1) | instskip(SKIP_1) | instid1(VALU_DEP_1)
	v_pk_fma_f32 v[176:177], v[170:171], v[166:167], v[174:175] op_sel:[0,0,1] op_sel_hi:[1,1,0] neg_lo:[0,0,1] neg_hi:[0,0,1]
	v_pk_fma_f32 v[170:171], v[170:171], v[166:167], v[174:175] op_sel:[0,0,1] op_sel_hi:[1,0,0]
	v_mov_b32_e32 v177, v171
	v_pk_mul_f32 v[170:171], v[172:173], v[168:169] op_sel:[0,1]
	s_delay_alu instid0(VALU_DEP_1) | instskip(SKIP_1) | instid1(VALU_DEP_1)
	v_pk_fma_f32 v[174:175], v[172:173], v[166:167], v[170:171] op_sel:[0,0,1] op_sel_hi:[1,1,0] neg_lo:[0,0,1] neg_hi:[0,0,1]
	v_pk_fma_f32 v[170:171], v[172:173], v[166:167], v[170:171] op_sel:[0,0,1] op_sel_hi:[1,0,0]
	v_mov_b32_e32 v175, v171
	ds_load_2addr_b64 v[170:173], v244 offset0:20 offset1:21
	v_pk_add_f32 v[116:117], v[116:117], v[176:177] neg_lo:[0,1] neg_hi:[0,1]
	v_pk_add_f32 v[112:113], v[112:113], v[174:175] neg_lo:[0,1] neg_hi:[0,1]
	s_wait_dscnt 0x0
	v_dual_mul_f32 v174, v171, v169 :: v_dual_mul_f32 v176, v171, v166
	s_delay_alu instid0(VALU_DEP_1) | instskip(NEXT) | instid1(VALU_DEP_2)
	v_pk_fma_f32 v[174:175], v[170:171], v[48:49], v[174:175] op_sel_hi:[1,1,0] neg_lo:[0,0,1] neg_hi:[0,0,1]
	v_pk_fma_f32 v[170:171], v[170:171], v[48:49], v[176:177] op_sel:[1,0,0] op_sel_hi:[0,1,0]
	s_delay_alu instid0(VALU_DEP_1) | instskip(SKIP_1) | instid1(VALU_DEP_2)
	v_mov_b32_e32 v175, v171
	v_pk_mul_f32 v[170:171], v[172:173], v[168:169] op_sel:[0,1]
	v_pk_add_f32 v[110:111], v[110:111], v[174:175] neg_lo:[0,1] neg_hi:[0,1]
	s_delay_alu instid0(VALU_DEP_2) | instskip(SKIP_1) | instid1(VALU_DEP_1)
	v_pk_fma_f32 v[174:175], v[172:173], v[166:167], v[170:171] op_sel:[0,0,1] op_sel_hi:[1,1,0] neg_lo:[0,0,1] neg_hi:[0,0,1]
	v_pk_fma_f32 v[170:171], v[172:173], v[166:167], v[170:171] op_sel:[0,0,1] op_sel_hi:[1,0,0]
	v_mov_b32_e32 v175, v171
	ds_load_2addr_b64 v[170:173], v244 offset0:22 offset1:23
	v_pk_add_f32 v[142:143], v[142:143], v[174:175] neg_lo:[0,1] neg_hi:[0,1]
	s_wait_dscnt 0x0
	v_pk_mul_f32 v[174:175], v[170:171], v[168:169] op_sel:[0,1]
	s_delay_alu instid0(VALU_DEP_1) | instskip(SKIP_1) | instid1(VALU_DEP_1)
	v_pk_fma_f32 v[176:177], v[170:171], v[166:167], v[174:175] op_sel:[0,0,1] op_sel_hi:[1,1,0] neg_lo:[0,0,1] neg_hi:[0,0,1]
	v_pk_fma_f32 v[170:171], v[170:171], v[166:167], v[174:175] op_sel:[0,0,1] op_sel_hi:[1,0,0]
	v_mov_b32_e32 v177, v171
	v_pk_mul_f32 v[170:171], v[172:173], v[168:169] op_sel:[0,1]
	s_delay_alu instid0(VALU_DEP_2) | instskip(NEXT) | instid1(VALU_DEP_2)
	v_pk_add_f32 v[144:145], v[144:145], v[176:177] neg_lo:[0,1] neg_hi:[0,1]
	v_pk_fma_f32 v[174:175], v[172:173], v[166:167], v[170:171] op_sel:[0,0,1] op_sel_hi:[1,1,0] neg_lo:[0,0,1] neg_hi:[0,0,1]
	v_pk_fma_f32 v[170:171], v[172:173], v[166:167], v[170:171] op_sel:[0,0,1] op_sel_hi:[1,0,0]
	s_delay_alu instid0(VALU_DEP_1) | instskip(SKIP_4) | instid1(VALU_DEP_1)
	v_mov_b32_e32 v175, v171
	ds_load_2addr_b64 v[170:173], v244 offset0:24 offset1:25
	v_pk_add_f32 v[140:141], v[140:141], v[174:175] neg_lo:[0,1] neg_hi:[0,1]
	s_wait_dscnt 0x0
	v_pk_mul_f32 v[174:175], v[170:171], v[168:169] op_sel:[0,1]
	v_pk_fma_f32 v[176:177], v[170:171], v[166:167], v[174:175] op_sel:[0,0,1] op_sel_hi:[1,1,0] neg_lo:[0,0,1] neg_hi:[0,0,1]
	v_pk_fma_f32 v[170:171], v[170:171], v[166:167], v[174:175] op_sel:[0,0,1] op_sel_hi:[1,0,0]
	v_dual_mul_f32 v174, v173, v169 :: v_dual_mov_b32 v170, v173
	s_delay_alu instid0(VALU_DEP_2) | instskip(NEXT) | instid1(VALU_DEP_2)
	v_dual_mov_b32 v177, v171 :: v_dual_mov_b32 v171, v172
	v_pk_fma_f32 v[174:175], v[172:173], v[48:49], v[174:175] op_sel_hi:[1,1,0] neg_lo:[0,0,1] neg_hi:[0,0,1]
	v_mul_f32_e32 v172, v173, v166
	s_delay_alu instid0(VALU_DEP_3) | instskip(NEXT) | instid1(VALU_DEP_2)
	v_pk_add_f32 v[100:101], v[100:101], v[176:177] neg_lo:[0,1] neg_hi:[0,1]
	v_pk_fma_f32 v[170:171], v[170:171], v[48:49], v[172:173] op_sel_hi:[1,1,0]
	s_delay_alu instid0(VALU_DEP_1) | instskip(SKIP_4) | instid1(VALU_DEP_1)
	v_mov_b32_e32 v175, v171
	ds_load_2addr_b64 v[170:173], v244 offset0:26 offset1:27
	v_pk_add_f32 v[96:97], v[96:97], v[174:175] neg_lo:[0,1] neg_hi:[0,1]
	s_wait_dscnt 0x0
	v_pk_mul_f32 v[174:175], v[170:171], v[168:169] op_sel:[0,1]
	v_pk_fma_f32 v[176:177], v[170:171], v[166:167], v[174:175] op_sel:[0,0,1] op_sel_hi:[1,1,0] neg_lo:[0,0,1] neg_hi:[0,0,1]
	v_pk_fma_f32 v[170:171], v[170:171], v[166:167], v[174:175] op_sel:[0,0,1] op_sel_hi:[1,0,0]
	s_delay_alu instid0(VALU_DEP_1) | instskip(SKIP_1) | instid1(VALU_DEP_1)
	v_mov_b32_e32 v177, v171
	v_pk_mul_f32 v[170:171], v[172:173], v[168:169] op_sel:[0,1]
	v_pk_fma_f32 v[174:175], v[172:173], v[166:167], v[170:171] op_sel:[0,0,1] op_sel_hi:[1,1,0] neg_lo:[0,0,1] neg_hi:[0,0,1]
	v_pk_fma_f32 v[170:171], v[172:173], v[166:167], v[170:171] op_sel:[0,0,1] op_sel_hi:[1,0,0]
	s_delay_alu instid0(VALU_DEP_1)
	v_mov_b32_e32 v175, v171
	ds_load_2addr_b64 v[170:173], v244 offset0:28 offset1:29
	v_pk_add_f32 v[98:99], v[98:99], v[176:177] neg_lo:[0,1] neg_hi:[0,1]
	v_pk_add_f32 v[94:95], v[94:95], v[174:175] neg_lo:[0,1] neg_hi:[0,1]
	s_wait_dscnt 0x0
	v_pk_mul_f32 v[174:175], v[170:171], v[168:169] op_sel:[0,1]
	s_delay_alu instid0(VALU_DEP_1) | instskip(SKIP_1) | instid1(VALU_DEP_1)
	v_pk_fma_f32 v[176:177], v[170:171], v[166:167], v[174:175] op_sel:[0,0,1] op_sel_hi:[1,1,0] neg_lo:[0,0,1] neg_hi:[0,0,1]
	v_pk_fma_f32 v[170:171], v[170:171], v[166:167], v[174:175] op_sel:[0,0,1] op_sel_hi:[1,0,0]
	v_mov_b32_e32 v177, v171
	v_pk_mul_f32 v[170:171], v[172:173], v[168:169] op_sel:[0,1]
	s_delay_alu instid0(VALU_DEP_1) | instskip(SKIP_1) | instid1(VALU_DEP_1)
	v_pk_fma_f32 v[174:175], v[172:173], v[166:167], v[170:171] op_sel:[0,0,1] op_sel_hi:[1,1,0] neg_lo:[0,0,1] neg_hi:[0,0,1]
	v_pk_fma_f32 v[170:171], v[172:173], v[166:167], v[170:171] op_sel:[0,0,1] op_sel_hi:[1,0,0]
	v_mov_b32_e32 v175, v171
	ds_load_2addr_b64 v[170:173], v244 offset0:30 offset1:31
	v_pk_add_f32 v[128:129], v[128:129], v[176:177] neg_lo:[0,1] neg_hi:[0,1]
	v_pk_add_f32 v[124:125], v[124:125], v[174:175] neg_lo:[0,1] neg_hi:[0,1]
	s_wait_dscnt 0x0
	v_dual_mul_f32 v174, v171, v169 :: v_dual_mul_f32 v176, v171, v166
	s_delay_alu instid0(VALU_DEP_1) | instskip(NEXT) | instid1(VALU_DEP_2)
	v_pk_fma_f32 v[174:175], v[170:171], v[48:49], v[174:175] op_sel_hi:[1,1,0] neg_lo:[0,0,1] neg_hi:[0,0,1]
	v_pk_fma_f32 v[170:171], v[170:171], v[48:49], v[176:177] op_sel:[1,0,0] op_sel_hi:[0,1,0]
	s_delay_alu instid0(VALU_DEP_1) | instskip(SKIP_1) | instid1(VALU_DEP_2)
	v_mov_b32_e32 v175, v171
	v_pk_mul_f32 v[170:171], v[172:173], v[168:169] op_sel:[0,1]
	v_pk_add_f32 v[126:127], v[126:127], v[174:175] neg_lo:[0,1] neg_hi:[0,1]
	s_delay_alu instid0(VALU_DEP_2) | instskip(SKIP_1) | instid1(VALU_DEP_1)
	v_pk_fma_f32 v[174:175], v[172:173], v[166:167], v[170:171] op_sel:[0,0,1] op_sel_hi:[1,1,0] neg_lo:[0,0,1] neg_hi:[0,0,1]
	v_pk_fma_f32 v[170:171], v[172:173], v[166:167], v[170:171] op_sel:[0,0,1] op_sel_hi:[1,0,0]
	v_mov_b32_e32 v175, v171
	ds_load_2addr_b64 v[170:173], v244 offset0:32 offset1:33
	v_pk_add_f32 v[122:123], v[122:123], v[174:175] neg_lo:[0,1] neg_hi:[0,1]
	s_wait_dscnt 0x0
	v_pk_mul_f32 v[174:175], v[170:171], v[168:169] op_sel:[0,1]
	s_delay_alu instid0(VALU_DEP_1) | instskip(SKIP_1) | instid1(VALU_DEP_1)
	v_pk_fma_f32 v[176:177], v[170:171], v[166:167], v[174:175] op_sel:[0,0,1] op_sel_hi:[1,1,0] neg_lo:[0,0,1] neg_hi:[0,0,1]
	v_pk_fma_f32 v[170:171], v[170:171], v[166:167], v[174:175] op_sel:[0,0,1] op_sel_hi:[1,0,0]
	v_mov_b32_e32 v177, v171
	v_pk_mul_f32 v[170:171], v[172:173], v[168:169] op_sel:[0,1]
	s_delay_alu instid0(VALU_DEP_2) | instskip(NEXT) | instid1(VALU_DEP_2)
	v_pk_add_f32 v[152:153], v[152:153], v[176:177] neg_lo:[0,1] neg_hi:[0,1]
	v_pk_fma_f32 v[174:175], v[172:173], v[166:167], v[170:171] op_sel:[0,0,1] op_sel_hi:[1,1,0] neg_lo:[0,0,1] neg_hi:[0,0,1]
	v_pk_fma_f32 v[170:171], v[172:173], v[166:167], v[170:171] op_sel:[0,0,1] op_sel_hi:[1,0,0]
	s_delay_alu instid0(VALU_DEP_1) | instskip(SKIP_4) | instid1(VALU_DEP_1)
	v_mov_b32_e32 v175, v171
	ds_load_2addr_b64 v[170:173], v244 offset0:34 offset1:35
	v_pk_add_f32 v[148:149], v[148:149], v[174:175] neg_lo:[0,1] neg_hi:[0,1]
	s_wait_dscnt 0x0
	v_pk_mul_f32 v[174:175], v[170:171], v[168:169] op_sel:[0,1]
	v_pk_fma_f32 v[176:177], v[170:171], v[166:167], v[174:175] op_sel:[0,0,1] op_sel_hi:[1,1,0] neg_lo:[0,0,1] neg_hi:[0,0,1]
	v_pk_fma_f32 v[170:171], v[170:171], v[166:167], v[174:175] op_sel:[0,0,1] op_sel_hi:[1,0,0]
	v_dual_mul_f32 v174, v173, v169 :: v_dual_mov_b32 v170, v173
	s_delay_alu instid0(VALU_DEP_2) | instskip(NEXT) | instid1(VALU_DEP_2)
	v_dual_mov_b32 v177, v171 :: v_dual_mov_b32 v171, v172
	v_pk_fma_f32 v[174:175], v[172:173], v[48:49], v[174:175] op_sel_hi:[1,1,0] neg_lo:[0,0,1] neg_hi:[0,0,1]
	v_mul_f32_e32 v172, v173, v166
	s_delay_alu instid0(VALU_DEP_3) | instskip(NEXT) | instid1(VALU_DEP_2)
	v_pk_add_f32 v[150:151], v[150:151], v[176:177] neg_lo:[0,1] neg_hi:[0,1]
	v_pk_fma_f32 v[170:171], v[170:171], v[48:49], v[172:173] op_sel_hi:[1,1,0]
	s_delay_alu instid0(VALU_DEP_1) | instskip(SKIP_4) | instid1(VALU_DEP_1)
	v_mov_b32_e32 v175, v171
	ds_load_2addr_b64 v[170:173], v244 offset0:36 offset1:37
	v_pk_add_f32 v[146:147], v[146:147], v[174:175] neg_lo:[0,1] neg_hi:[0,1]
	s_wait_dscnt 0x0
	v_pk_mul_f32 v[174:175], v[170:171], v[168:169] op_sel:[0,1]
	v_pk_fma_f32 v[176:177], v[170:171], v[166:167], v[174:175] op_sel:[0,0,1] op_sel_hi:[1,1,0] neg_lo:[0,0,1] neg_hi:[0,0,1]
	v_pk_fma_f32 v[170:171], v[170:171], v[166:167], v[174:175] op_sel:[0,0,1] op_sel_hi:[1,0,0]
	s_delay_alu instid0(VALU_DEP_1) | instskip(SKIP_1) | instid1(VALU_DEP_1)
	v_mov_b32_e32 v177, v171
	v_pk_mul_f32 v[170:171], v[172:173], v[168:169] op_sel:[0,1]
	v_pk_fma_f32 v[174:175], v[172:173], v[166:167], v[170:171] op_sel:[0,0,1] op_sel_hi:[1,1,0] neg_lo:[0,0,1] neg_hi:[0,0,1]
	v_pk_fma_f32 v[170:171], v[172:173], v[166:167], v[170:171] op_sel:[0,0,1] op_sel_hi:[1,0,0]
	s_delay_alu instid0(VALU_DEP_1)
	v_mov_b32_e32 v175, v171
	ds_load_2addr_b64 v[170:173], v244 offset0:38 offset1:39
	v_pk_add_f32 v[158:159], v[158:159], v[176:177] neg_lo:[0,1] neg_hi:[0,1]
	v_pk_add_f32 v[156:157], v[156:157], v[174:175] neg_lo:[0,1] neg_hi:[0,1]
	s_wait_dscnt 0x0
	v_pk_mul_f32 v[174:175], v[170:171], v[168:169] op_sel:[0,1]
	v_pk_mul_f32 v[168:169], v[172:173], v[168:169] op_sel:[0,1]
	s_delay_alu instid0(VALU_DEP_2) | instskip(SKIP_1) | instid1(VALU_DEP_1)
	v_pk_fma_f32 v[176:177], v[170:171], v[166:167], v[174:175] op_sel:[0,0,1] op_sel_hi:[1,1,0] neg_lo:[0,0,1] neg_hi:[0,0,1]
	v_pk_fma_f32 v[170:171], v[170:171], v[166:167], v[174:175] op_sel:[0,0,1] op_sel_hi:[1,0,0]
	v_mov_b32_e32 v177, v171
	s_delay_alu instid0(VALU_DEP_4) | instskip(SKIP_1) | instid1(VALU_DEP_1)
	v_pk_fma_f32 v[170:171], v[172:173], v[166:167], v[168:169] op_sel:[0,0,1] op_sel_hi:[1,1,0] neg_lo:[0,0,1] neg_hi:[0,0,1]
	v_pk_fma_f32 v[166:167], v[172:173], v[166:167], v[168:169] op_sel:[0,0,1] op_sel_hi:[1,0,0]
	v_mov_b32_e32 v171, v167
	s_delay_alu instid0(VALU_DEP_4) | instskip(NEXT) | instid1(VALU_DEP_2)
	v_pk_add_f32 v[154:155], v[154:155], v[176:177] neg_lo:[0,1] neg_hi:[0,1]
	v_pk_add_f32 v[160:161], v[160:161], v[170:171] neg_lo:[0,1] neg_hi:[0,1]
.LBB79_19:
	s_or_b32 exec_lo, exec_lo, s1
	s_delay_alu instid0(SALU_CYCLE_1)
	s_mov_b32 s2, exec_lo
	s_wait_dscnt 0x0
	s_barrier_signal -1
	s_barrier_wait -1
	v_cmpx_eq_u32_e32 2, v242
	s_cbranch_execz .LBB79_26
; %bb.20:
	ds_store_b64 v243, v[38:39]
	ds_store_2addr_b64 v244, v[36:37], v[26:27] offset0:3 offset1:4
	ds_store_2addr_b64 v244, v[22:23], v[24:25] offset0:5 offset1:6
	;; [unrolled: 1-line block ×18, first 2 shown]
	ds_store_b64 v244, v[160:161] offset:312
	ds_load_b64 v[166:167], v243
	s_wait_dscnt 0x0
	v_cmp_neq_f32_e32 vcc_lo, 0, v166
	v_cmp_neq_f32_e64 s1, 0, v167
	s_or_b32 s1, vcc_lo, s1
	s_delay_alu instid0(SALU_CYCLE_1)
	s_and_b32 exec_lo, exec_lo, s1
	s_cbranch_execz .LBB79_26
; %bb.21:
	v_cmp_ngt_f32_e64 s1, |v166|, |v167|
                                        ; implicit-def: $vgpr168_vgpr169
	s_and_saveexec_b32 s4, s1
	s_delay_alu instid0(SALU_CYCLE_1)
	s_xor_b32 s1, exec_lo, s4
	s_cbranch_execz .LBB79_23
; %bb.22:
	v_div_scale_f32 v0, null, v167, v167, v166
	v_div_scale_f32 v169, vcc_lo, v166, v167, v166
	s_delay_alu instid0(VALU_DEP_2) | instskip(SKIP_1) | instid1(TRANS32_DEP_1)
	v_rcp_f32_e32 v1, v0
	v_nop
	v_fma_f32 v168, -v0, v1, 1.0
	s_delay_alu instid0(VALU_DEP_1) | instskip(NEXT) | instid1(VALU_DEP_1)
	v_fmac_f32_e32 v1, v168, v1
	v_mul_f32_e32 v168, v169, v1
	s_delay_alu instid0(VALU_DEP_1) | instskip(NEXT) | instid1(VALU_DEP_1)
	v_fma_f32 v170, -v0, v168, v169
	v_fmac_f32_e32 v168, v170, v1
	s_delay_alu instid0(VALU_DEP_1) | instskip(NEXT) | instid1(VALU_DEP_1)
	v_fma_f32 v0, -v0, v168, v169
	v_div_fmas_f32 v0, v0, v1, v168
	s_delay_alu instid0(VALU_DEP_1) | instskip(NEXT) | instid1(VALU_DEP_1)
	v_div_fixup_f32 v0, v0, v167, v166
	v_fmac_f32_e32 v167, v166, v0
	s_delay_alu instid0(VALU_DEP_1) | instskip(SKIP_1) | instid1(VALU_DEP_2)
	v_div_scale_f32 v1, null, v167, v167, 1.0
	v_div_scale_f32 v169, vcc_lo, 1.0, v167, 1.0
	v_rcp_f32_e32 v166, v1
	v_nop
	s_delay_alu instid0(TRANS32_DEP_1) | instskip(NEXT) | instid1(VALU_DEP_1)
	v_fma_f32 v168, -v1, v166, 1.0
	v_fmac_f32_e32 v166, v168, v166
	s_delay_alu instid0(VALU_DEP_1) | instskip(NEXT) | instid1(VALU_DEP_1)
	v_mul_f32_e32 v168, v169, v166
	v_fma_f32 v170, -v1, v168, v169
	s_delay_alu instid0(VALU_DEP_1) | instskip(NEXT) | instid1(VALU_DEP_1)
	v_fmac_f32_e32 v168, v170, v166
	v_fma_f32 v1, -v1, v168, v169
	s_delay_alu instid0(VALU_DEP_1) | instskip(NEXT) | instid1(VALU_DEP_1)
	v_div_fmas_f32 v1, v1, v166, v168
	v_div_fixup_f32 v1, v1, v167, 1.0
                                        ; implicit-def: $vgpr166_vgpr167
	s_delay_alu instid0(VALU_DEP_1)
	v_mul_f32_e32 v168, v0, v1
	v_xor_b32_e32 v169, 0x80000000, v1
.LBB79_23:
	s_and_not1_saveexec_b32 s1, s1
	s_cbranch_execz .LBB79_25
; %bb.24:
	v_div_scale_f32 v0, null, v166, v166, v167
	v_div_scale_f32 v169, vcc_lo, v167, v166, v167
	s_delay_alu instid0(VALU_DEP_2) | instskip(SKIP_1) | instid1(TRANS32_DEP_1)
	v_rcp_f32_e32 v1, v0
	v_nop
	v_fma_f32 v168, -v0, v1, 1.0
	s_delay_alu instid0(VALU_DEP_1) | instskip(NEXT) | instid1(VALU_DEP_1)
	v_fmac_f32_e32 v1, v168, v1
	v_mul_f32_e32 v168, v169, v1
	s_delay_alu instid0(VALU_DEP_1) | instskip(NEXT) | instid1(VALU_DEP_1)
	v_fma_f32 v170, -v0, v168, v169
	v_fmac_f32_e32 v168, v170, v1
	s_delay_alu instid0(VALU_DEP_1) | instskip(NEXT) | instid1(VALU_DEP_1)
	v_fma_f32 v0, -v0, v168, v169
	v_div_fmas_f32 v0, v0, v1, v168
	s_delay_alu instid0(VALU_DEP_1) | instskip(NEXT) | instid1(VALU_DEP_1)
	v_div_fixup_f32 v0, v0, v166, v167
	v_fmac_f32_e32 v166, v167, v0
	s_delay_alu instid0(VALU_DEP_1) | instskip(NEXT) | instid1(VALU_DEP_1)
	v_div_scale_f32 v1, null, v166, v166, 1.0
	v_rcp_f32_e32 v167, v1
	v_nop
	s_delay_alu instid0(TRANS32_DEP_1) | instskip(NEXT) | instid1(VALU_DEP_1)
	v_fma_f32 v168, -v1, v167, 1.0
	v_fmac_f32_e32 v167, v168, v167
	v_div_scale_f32 v168, vcc_lo, 1.0, v166, 1.0
	s_delay_alu instid0(VALU_DEP_1) | instskip(NEXT) | instid1(VALU_DEP_1)
	v_mul_f32_e32 v169, v168, v167
	v_fma_f32 v170, -v1, v169, v168
	s_delay_alu instid0(VALU_DEP_1) | instskip(NEXT) | instid1(VALU_DEP_1)
	v_fmac_f32_e32 v169, v170, v167
	v_fma_f32 v1, -v1, v169, v168
	s_delay_alu instid0(VALU_DEP_1) | instskip(NEXT) | instid1(VALU_DEP_1)
	v_div_fmas_f32 v1, v1, v167, v169
	v_div_fixup_f32 v168, v1, v166, 1.0
	s_delay_alu instid0(VALU_DEP_1)
	v_mul_f32_e64 v169, v0, -v168
.LBB79_25:
	s_or_b32 exec_lo, exec_lo, s1
	ds_store_b64 v243, v[168:169]
.LBB79_26:
	s_or_b32 exec_lo, exec_lo, s2
	s_wait_dscnt 0x0
	s_barrier_signal -1
	s_barrier_wait -1
	ds_load_b64 v[166:167], v243
	s_mov_b32 s1, exec_lo
	v_cmpx_lt_u32_e32 2, v242
	s_cbranch_execz .LBB79_28
; %bb.27:
	ds_load_2addr_b64 v[172:175], v244 offset0:3 offset1:4
	s_wait_dscnt 0x1
	v_pk_mul_f32 v[170:171], v[166:167], v[38:39] op_sel:[1,1] op_sel_hi:[0,1]
	s_delay_alu instid0(VALU_DEP_1) | instskip(SKIP_1) | instid1(VALU_DEP_1)
	v_pk_fma_f32 v[168:169], v[166:167], v[38:39], v[170:171] op_sel_hi:[1,0,1] neg_lo:[0,0,1] neg_hi:[0,0,1]
	v_pk_fma_f32 v[170:171], v[166:167], v[38:39], v[170:171] op_sel_hi:[1,0,1]
	v_dual_mov_b32 v38, v168 :: v_dual_mov_b32 v39, v171
	s_wait_dscnt 0x0
	s_delay_alu instid0(VALU_DEP_2) | instskip(NEXT) | instid1(VALU_DEP_1)
	v_pk_mul_f32 v[176:177], v[172:173], v[170:171] op_sel:[0,1]
	v_pk_fma_f32 v[178:179], v[172:173], v[168:169], v[176:177] op_sel:[0,0,1] op_sel_hi:[1,1,0] neg_lo:[0,0,1] neg_hi:[0,0,1]
	v_pk_fma_f32 v[172:173], v[172:173], v[168:169], v[176:177] op_sel:[0,0,1] op_sel_hi:[1,0,0]
	s_delay_alu instid0(VALU_DEP_1) | instskip(SKIP_1) | instid1(VALU_DEP_1)
	v_mov_b32_e32 v179, v173
	v_pk_mul_f32 v[172:173], v[174:175], v[170:171] op_sel:[0,1]
	v_pk_fma_f32 v[176:177], v[174:175], v[168:169], v[172:173] op_sel:[0,0,1] op_sel_hi:[1,1,0] neg_lo:[0,0,1] neg_hi:[0,0,1]
	v_pk_fma_f32 v[172:173], v[174:175], v[168:169], v[172:173] op_sel:[0,0,1] op_sel_hi:[1,0,0]
	s_delay_alu instid0(VALU_DEP_1)
	v_mov_b32_e32 v177, v173
	ds_load_2addr_b64 v[172:175], v244 offset0:5 offset1:6
	v_pk_add_f32 v[36:37], v[36:37], v[178:179] neg_lo:[0,1] neg_hi:[0,1]
	v_pk_add_f32 v[26:27], v[26:27], v[176:177] neg_lo:[0,1] neg_hi:[0,1]
	s_wait_dscnt 0x0
	v_pk_mul_f32 v[176:177], v[172:173], v[170:171] op_sel:[0,1]
	s_delay_alu instid0(VALU_DEP_1) | instskip(SKIP_2) | instid1(VALU_DEP_2)
	v_pk_fma_f32 v[178:179], v[172:173], v[168:169], v[176:177] op_sel:[0,0,1] op_sel_hi:[1,1,0] neg_lo:[0,0,1] neg_hi:[0,0,1]
	v_pk_fma_f32 v[172:173], v[172:173], v[168:169], v[176:177] op_sel:[0,0,1] op_sel_hi:[1,0,0]
	v_dual_mul_f32 v176, v175, v171 :: v_dual_mov_b32 v172, v175
	v_dual_mov_b32 v179, v173 :: v_dual_mov_b32 v173, v174
	s_delay_alu instid0(VALU_DEP_2) | instskip(SKIP_1) | instid1(VALU_DEP_3)
	v_pk_fma_f32 v[176:177], v[174:175], v[38:39], v[176:177] op_sel_hi:[1,1,0] neg_lo:[0,0,1] neg_hi:[0,0,1]
	v_mul_f32_e32 v174, v175, v168
	v_pk_add_f32 v[22:23], v[22:23], v[178:179] neg_lo:[0,1] neg_hi:[0,1]
	s_delay_alu instid0(VALU_DEP_2) | instskip(NEXT) | instid1(VALU_DEP_1)
	v_pk_fma_f32 v[172:173], v[172:173], v[38:39], v[174:175] op_sel_hi:[1,1,0]
	v_mov_b32_e32 v177, v173
	ds_load_2addr_b64 v[172:175], v244 offset0:7 offset1:8
	v_pk_add_f32 v[24:25], v[24:25], v[176:177] neg_lo:[0,1] neg_hi:[0,1]
	s_wait_dscnt 0x0
	v_pk_mul_f32 v[176:177], v[172:173], v[170:171] op_sel:[0,1]
	s_delay_alu instid0(VALU_DEP_1) | instskip(SKIP_1) | instid1(VALU_DEP_1)
	v_pk_fma_f32 v[178:179], v[172:173], v[168:169], v[176:177] op_sel:[0,0,1] op_sel_hi:[1,1,0] neg_lo:[0,0,1] neg_hi:[0,0,1]
	v_pk_fma_f32 v[172:173], v[172:173], v[168:169], v[176:177] op_sel:[0,0,1] op_sel_hi:[1,0,0]
	v_mov_b32_e32 v179, v173
	v_pk_mul_f32 v[172:173], v[174:175], v[170:171] op_sel:[0,1]
	s_delay_alu instid0(VALU_DEP_1) | instskip(SKIP_1) | instid1(VALU_DEP_1)
	v_pk_fma_f32 v[176:177], v[174:175], v[168:169], v[172:173] op_sel:[0,0,1] op_sel_hi:[1,1,0] neg_lo:[0,0,1] neg_hi:[0,0,1]
	v_pk_fma_f32 v[172:173], v[174:175], v[168:169], v[172:173] op_sel:[0,0,1] op_sel_hi:[1,0,0]
	v_mov_b32_e32 v177, v173
	ds_load_2addr_b64 v[172:175], v244 offset0:9 offset1:10
	v_pk_add_f32 v[60:61], v[60:61], v[178:179] neg_lo:[0,1] neg_hi:[0,1]
	v_pk_add_f32 v[74:75], v[74:75], v[176:177] neg_lo:[0,1] neg_hi:[0,1]
	s_wait_dscnt 0x0
	v_pk_mul_f32 v[176:177], v[172:173], v[170:171] op_sel:[0,1]
	s_delay_alu instid0(VALU_DEP_1) | instskip(SKIP_1) | instid1(VALU_DEP_1)
	v_pk_fma_f32 v[178:179], v[172:173], v[168:169], v[176:177] op_sel:[0,0,1] op_sel_hi:[1,1,0] neg_lo:[0,0,1] neg_hi:[0,0,1]
	v_pk_fma_f32 v[172:173], v[172:173], v[168:169], v[176:177] op_sel:[0,0,1] op_sel_hi:[1,0,0]
	v_mov_b32_e32 v179, v173
	v_pk_mul_f32 v[172:173], v[174:175], v[170:171] op_sel:[0,1]
	s_delay_alu instid0(VALU_DEP_1) | instskip(SKIP_1) | instid1(VALU_DEP_1)
	v_pk_fma_f32 v[176:177], v[174:175], v[168:169], v[172:173] op_sel:[0,0,1] op_sel_hi:[1,1,0] neg_lo:[0,0,1] neg_hi:[0,0,1]
	v_pk_fma_f32 v[172:173], v[174:175], v[168:169], v[172:173] op_sel:[0,0,1] op_sel_hi:[1,0,0]
	v_mov_b32_e32 v177, v173
	ds_load_2addr_b64 v[172:175], v244 offset0:11 offset1:12
	v_pk_add_f32 v[58:59], v[58:59], v[178:179] neg_lo:[0,1] neg_hi:[0,1]
	v_pk_add_f32 v[72:73], v[72:73], v[176:177] neg_lo:[0,1] neg_hi:[0,1]
	s_wait_dscnt 0x0
	v_dual_mul_f32 v176, v173, v171 :: v_dual_mul_f32 v178, v173, v168
	s_delay_alu instid0(VALU_DEP_1) | instskip(NEXT) | instid1(VALU_DEP_2)
	v_pk_fma_f32 v[176:177], v[172:173], v[38:39], v[176:177] op_sel_hi:[1,1,0] neg_lo:[0,0,1] neg_hi:[0,0,1]
	v_pk_fma_f32 v[172:173], v[172:173], v[38:39], v[178:179] op_sel:[1,0,0] op_sel_hi:[0,1,0]
	s_delay_alu instid0(VALU_DEP_1) | instskip(SKIP_1) | instid1(VALU_DEP_2)
	v_mov_b32_e32 v177, v173
	v_pk_mul_f32 v[172:173], v[174:175], v[170:171] op_sel:[0,1]
	v_pk_add_f32 v[70:71], v[70:71], v[176:177] neg_lo:[0,1] neg_hi:[0,1]
	s_delay_alu instid0(VALU_DEP_2) | instskip(SKIP_1) | instid1(VALU_DEP_1)
	v_pk_fma_f32 v[176:177], v[174:175], v[168:169], v[172:173] op_sel:[0,0,1] op_sel_hi:[1,1,0] neg_lo:[0,0,1] neg_hi:[0,0,1]
	v_pk_fma_f32 v[172:173], v[174:175], v[168:169], v[172:173] op_sel:[0,0,1] op_sel_hi:[1,0,0]
	v_mov_b32_e32 v177, v173
	ds_load_2addr_b64 v[172:175], v244 offset0:13 offset1:14
	v_pk_add_f32 v[92:93], v[92:93], v[176:177] neg_lo:[0,1] neg_hi:[0,1]
	s_wait_dscnt 0x0
	v_pk_mul_f32 v[176:177], v[172:173], v[170:171] op_sel:[0,1]
	s_delay_alu instid0(VALU_DEP_1) | instskip(SKIP_1) | instid1(VALU_DEP_1)
	v_pk_fma_f32 v[178:179], v[172:173], v[168:169], v[176:177] op_sel:[0,0,1] op_sel_hi:[1,1,0] neg_lo:[0,0,1] neg_hi:[0,0,1]
	v_pk_fma_f32 v[172:173], v[172:173], v[168:169], v[176:177] op_sel:[0,0,1] op_sel_hi:[1,0,0]
	v_mov_b32_e32 v179, v173
	v_pk_mul_f32 v[172:173], v[174:175], v[170:171] op_sel:[0,1]
	s_delay_alu instid0(VALU_DEP_2) | instskip(NEXT) | instid1(VALU_DEP_2)
	v_pk_add_f32 v[88:89], v[88:89], v[178:179] neg_lo:[0,1] neg_hi:[0,1]
	v_pk_fma_f32 v[176:177], v[174:175], v[168:169], v[172:173] op_sel:[0,0,1] op_sel_hi:[1,1,0] neg_lo:[0,0,1] neg_hi:[0,0,1]
	v_pk_fma_f32 v[172:173], v[174:175], v[168:169], v[172:173] op_sel:[0,0,1] op_sel_hi:[1,0,0]
	s_delay_alu instid0(VALU_DEP_1) | instskip(SKIP_4) | instid1(VALU_DEP_1)
	v_mov_b32_e32 v177, v173
	ds_load_2addr_b64 v[172:175], v244 offset0:15 offset1:16
	v_pk_add_f32 v[90:91], v[90:91], v[176:177] neg_lo:[0,1] neg_hi:[0,1]
	s_wait_dscnt 0x0
	v_pk_mul_f32 v[176:177], v[172:173], v[170:171] op_sel:[0,1]
	v_pk_fma_f32 v[178:179], v[172:173], v[168:169], v[176:177] op_sel:[0,0,1] op_sel_hi:[1,1,0] neg_lo:[0,0,1] neg_hi:[0,0,1]
	v_pk_fma_f32 v[172:173], v[172:173], v[168:169], v[176:177] op_sel:[0,0,1] op_sel_hi:[1,0,0]
	v_dual_mul_f32 v176, v175, v171 :: v_dual_mov_b32 v172, v175
	s_delay_alu instid0(VALU_DEP_2) | instskip(NEXT) | instid1(VALU_DEP_2)
	v_dual_mov_b32 v179, v173 :: v_dual_mov_b32 v173, v174
	v_pk_fma_f32 v[176:177], v[174:175], v[38:39], v[176:177] op_sel_hi:[1,1,0] neg_lo:[0,0,1] neg_hi:[0,0,1]
	v_mul_f32_e32 v174, v175, v168
	s_delay_alu instid0(VALU_DEP_3) | instskip(NEXT) | instid1(VALU_DEP_2)
	v_pk_add_f32 v[86:87], v[86:87], v[178:179] neg_lo:[0,1] neg_hi:[0,1]
	v_pk_fma_f32 v[172:173], v[172:173], v[38:39], v[174:175] op_sel_hi:[1,1,0]
	s_delay_alu instid0(VALU_DEP_1) | instskip(SKIP_4) | instid1(VALU_DEP_1)
	v_mov_b32_e32 v177, v173
	ds_load_2addr_b64 v[172:175], v244 offset0:17 offset1:18
	v_pk_add_f32 v[84:85], v[84:85], v[176:177] neg_lo:[0,1] neg_hi:[0,1]
	s_wait_dscnt 0x0
	v_pk_mul_f32 v[176:177], v[172:173], v[170:171] op_sel:[0,1]
	v_pk_fma_f32 v[178:179], v[172:173], v[168:169], v[176:177] op_sel:[0,0,1] op_sel_hi:[1,1,0] neg_lo:[0,0,1] neg_hi:[0,0,1]
	v_pk_fma_f32 v[172:173], v[172:173], v[168:169], v[176:177] op_sel:[0,0,1] op_sel_hi:[1,0,0]
	s_delay_alu instid0(VALU_DEP_1) | instskip(SKIP_1) | instid1(VALU_DEP_1)
	v_mov_b32_e32 v179, v173
	v_pk_mul_f32 v[172:173], v[174:175], v[170:171] op_sel:[0,1]
	v_pk_fma_f32 v[176:177], v[174:175], v[168:169], v[172:173] op_sel:[0,0,1] op_sel_hi:[1,1,0] neg_lo:[0,0,1] neg_hi:[0,0,1]
	v_pk_fma_f32 v[172:173], v[174:175], v[168:169], v[172:173] op_sel:[0,0,1] op_sel_hi:[1,0,0]
	s_delay_alu instid0(VALU_DEP_1)
	v_mov_b32_e32 v177, v173
	ds_load_2addr_b64 v[172:175], v244 offset0:19 offset1:20
	v_pk_add_f32 v[114:115], v[114:115], v[178:179] neg_lo:[0,1] neg_hi:[0,1]
	v_pk_add_f32 v[116:117], v[116:117], v[176:177] neg_lo:[0,1] neg_hi:[0,1]
	s_wait_dscnt 0x0
	v_pk_mul_f32 v[176:177], v[172:173], v[170:171] op_sel:[0,1]
	s_delay_alu instid0(VALU_DEP_1) | instskip(SKIP_1) | instid1(VALU_DEP_1)
	v_pk_fma_f32 v[178:179], v[172:173], v[168:169], v[176:177] op_sel:[0,0,1] op_sel_hi:[1,1,0] neg_lo:[0,0,1] neg_hi:[0,0,1]
	v_pk_fma_f32 v[172:173], v[172:173], v[168:169], v[176:177] op_sel:[0,0,1] op_sel_hi:[1,0,0]
	v_mov_b32_e32 v179, v173
	v_pk_mul_f32 v[172:173], v[174:175], v[170:171] op_sel:[0,1]
	s_delay_alu instid0(VALU_DEP_1) | instskip(SKIP_1) | instid1(VALU_DEP_1)
	v_pk_fma_f32 v[176:177], v[174:175], v[168:169], v[172:173] op_sel:[0,0,1] op_sel_hi:[1,1,0] neg_lo:[0,0,1] neg_hi:[0,0,1]
	v_pk_fma_f32 v[172:173], v[174:175], v[168:169], v[172:173] op_sel:[0,0,1] op_sel_hi:[1,0,0]
	v_mov_b32_e32 v177, v173
	ds_load_2addr_b64 v[172:175], v244 offset0:21 offset1:22
	v_pk_add_f32 v[112:113], v[112:113], v[178:179] neg_lo:[0,1] neg_hi:[0,1]
	v_pk_add_f32 v[110:111], v[110:111], v[176:177] neg_lo:[0,1] neg_hi:[0,1]
	s_wait_dscnt 0x0
	v_dual_mul_f32 v176, v173, v171 :: v_dual_mul_f32 v178, v173, v168
	s_delay_alu instid0(VALU_DEP_1) | instskip(NEXT) | instid1(VALU_DEP_2)
	v_pk_fma_f32 v[176:177], v[172:173], v[38:39], v[176:177] op_sel_hi:[1,1,0] neg_lo:[0,0,1] neg_hi:[0,0,1]
	v_pk_fma_f32 v[172:173], v[172:173], v[38:39], v[178:179] op_sel:[1,0,0] op_sel_hi:[0,1,0]
	s_delay_alu instid0(VALU_DEP_1) | instskip(SKIP_1) | instid1(VALU_DEP_2)
	v_mov_b32_e32 v177, v173
	v_pk_mul_f32 v[172:173], v[174:175], v[170:171] op_sel:[0,1]
	v_pk_add_f32 v[142:143], v[142:143], v[176:177] neg_lo:[0,1] neg_hi:[0,1]
	s_delay_alu instid0(VALU_DEP_2) | instskip(SKIP_1) | instid1(VALU_DEP_1)
	v_pk_fma_f32 v[176:177], v[174:175], v[168:169], v[172:173] op_sel:[0,0,1] op_sel_hi:[1,1,0] neg_lo:[0,0,1] neg_hi:[0,0,1]
	v_pk_fma_f32 v[172:173], v[174:175], v[168:169], v[172:173] op_sel:[0,0,1] op_sel_hi:[1,0,0]
	v_mov_b32_e32 v177, v173
	ds_load_2addr_b64 v[172:175], v244 offset0:23 offset1:24
	v_pk_add_f32 v[144:145], v[144:145], v[176:177] neg_lo:[0,1] neg_hi:[0,1]
	s_wait_dscnt 0x0
	v_pk_mul_f32 v[176:177], v[172:173], v[170:171] op_sel:[0,1]
	s_delay_alu instid0(VALU_DEP_1) | instskip(SKIP_1) | instid1(VALU_DEP_1)
	v_pk_fma_f32 v[178:179], v[172:173], v[168:169], v[176:177] op_sel:[0,0,1] op_sel_hi:[1,1,0] neg_lo:[0,0,1] neg_hi:[0,0,1]
	v_pk_fma_f32 v[172:173], v[172:173], v[168:169], v[176:177] op_sel:[0,0,1] op_sel_hi:[1,0,0]
	v_mov_b32_e32 v179, v173
	v_pk_mul_f32 v[172:173], v[174:175], v[170:171] op_sel:[0,1]
	s_delay_alu instid0(VALU_DEP_2) | instskip(NEXT) | instid1(VALU_DEP_2)
	v_pk_add_f32 v[140:141], v[140:141], v[178:179] neg_lo:[0,1] neg_hi:[0,1]
	v_pk_fma_f32 v[176:177], v[174:175], v[168:169], v[172:173] op_sel:[0,0,1] op_sel_hi:[1,1,0] neg_lo:[0,0,1] neg_hi:[0,0,1]
	v_pk_fma_f32 v[172:173], v[174:175], v[168:169], v[172:173] op_sel:[0,0,1] op_sel_hi:[1,0,0]
	s_delay_alu instid0(VALU_DEP_1) | instskip(SKIP_4) | instid1(VALU_DEP_1)
	v_mov_b32_e32 v177, v173
	ds_load_2addr_b64 v[172:175], v244 offset0:25 offset1:26
	v_pk_add_f32 v[100:101], v[100:101], v[176:177] neg_lo:[0,1] neg_hi:[0,1]
	s_wait_dscnt 0x0
	v_pk_mul_f32 v[176:177], v[172:173], v[170:171] op_sel:[0,1]
	v_pk_fma_f32 v[178:179], v[172:173], v[168:169], v[176:177] op_sel:[0,0,1] op_sel_hi:[1,1,0] neg_lo:[0,0,1] neg_hi:[0,0,1]
	v_pk_fma_f32 v[172:173], v[172:173], v[168:169], v[176:177] op_sel:[0,0,1] op_sel_hi:[1,0,0]
	v_dual_mul_f32 v176, v175, v171 :: v_dual_mov_b32 v172, v175
	s_delay_alu instid0(VALU_DEP_2) | instskip(NEXT) | instid1(VALU_DEP_2)
	v_dual_mov_b32 v179, v173 :: v_dual_mov_b32 v173, v174
	v_pk_fma_f32 v[176:177], v[174:175], v[38:39], v[176:177] op_sel_hi:[1,1,0] neg_lo:[0,0,1] neg_hi:[0,0,1]
	v_mul_f32_e32 v174, v175, v168
	s_delay_alu instid0(VALU_DEP_3) | instskip(NEXT) | instid1(VALU_DEP_2)
	v_pk_add_f32 v[96:97], v[96:97], v[178:179] neg_lo:[0,1] neg_hi:[0,1]
	v_pk_fma_f32 v[172:173], v[172:173], v[38:39], v[174:175] op_sel_hi:[1,1,0]
	s_delay_alu instid0(VALU_DEP_1) | instskip(SKIP_4) | instid1(VALU_DEP_1)
	v_mov_b32_e32 v177, v173
	ds_load_2addr_b64 v[172:175], v244 offset0:27 offset1:28
	v_pk_add_f32 v[98:99], v[98:99], v[176:177] neg_lo:[0,1] neg_hi:[0,1]
	s_wait_dscnt 0x0
	v_pk_mul_f32 v[176:177], v[172:173], v[170:171] op_sel:[0,1]
	v_pk_fma_f32 v[178:179], v[172:173], v[168:169], v[176:177] op_sel:[0,0,1] op_sel_hi:[1,1,0] neg_lo:[0,0,1] neg_hi:[0,0,1]
	v_pk_fma_f32 v[172:173], v[172:173], v[168:169], v[176:177] op_sel:[0,0,1] op_sel_hi:[1,0,0]
	s_delay_alu instid0(VALU_DEP_1) | instskip(SKIP_1) | instid1(VALU_DEP_1)
	v_mov_b32_e32 v179, v173
	v_pk_mul_f32 v[172:173], v[174:175], v[170:171] op_sel:[0,1]
	v_pk_fma_f32 v[176:177], v[174:175], v[168:169], v[172:173] op_sel:[0,0,1] op_sel_hi:[1,1,0] neg_lo:[0,0,1] neg_hi:[0,0,1]
	v_pk_fma_f32 v[172:173], v[174:175], v[168:169], v[172:173] op_sel:[0,0,1] op_sel_hi:[1,0,0]
	s_delay_alu instid0(VALU_DEP_1)
	v_mov_b32_e32 v177, v173
	ds_load_2addr_b64 v[172:175], v244 offset0:29 offset1:30
	v_pk_add_f32 v[94:95], v[94:95], v[178:179] neg_lo:[0,1] neg_hi:[0,1]
	v_pk_add_f32 v[128:129], v[128:129], v[176:177] neg_lo:[0,1] neg_hi:[0,1]
	s_wait_dscnt 0x0
	v_pk_mul_f32 v[176:177], v[172:173], v[170:171] op_sel:[0,1]
	s_delay_alu instid0(VALU_DEP_1) | instskip(SKIP_1) | instid1(VALU_DEP_1)
	v_pk_fma_f32 v[178:179], v[172:173], v[168:169], v[176:177] op_sel:[0,0,1] op_sel_hi:[1,1,0] neg_lo:[0,0,1] neg_hi:[0,0,1]
	v_pk_fma_f32 v[172:173], v[172:173], v[168:169], v[176:177] op_sel:[0,0,1] op_sel_hi:[1,0,0]
	v_mov_b32_e32 v179, v173
	v_pk_mul_f32 v[172:173], v[174:175], v[170:171] op_sel:[0,1]
	s_delay_alu instid0(VALU_DEP_1) | instskip(SKIP_1) | instid1(VALU_DEP_1)
	v_pk_fma_f32 v[176:177], v[174:175], v[168:169], v[172:173] op_sel:[0,0,1] op_sel_hi:[1,1,0] neg_lo:[0,0,1] neg_hi:[0,0,1]
	v_pk_fma_f32 v[172:173], v[174:175], v[168:169], v[172:173] op_sel:[0,0,1] op_sel_hi:[1,0,0]
	v_mov_b32_e32 v177, v173
	ds_load_2addr_b64 v[172:175], v244 offset0:31 offset1:32
	v_pk_add_f32 v[124:125], v[124:125], v[178:179] neg_lo:[0,1] neg_hi:[0,1]
	v_pk_add_f32 v[126:127], v[126:127], v[176:177] neg_lo:[0,1] neg_hi:[0,1]
	s_wait_dscnt 0x0
	v_dual_mul_f32 v176, v173, v171 :: v_dual_mul_f32 v178, v173, v168
	s_delay_alu instid0(VALU_DEP_1) | instskip(NEXT) | instid1(VALU_DEP_2)
	v_pk_fma_f32 v[176:177], v[172:173], v[38:39], v[176:177] op_sel_hi:[1,1,0] neg_lo:[0,0,1] neg_hi:[0,0,1]
	v_pk_fma_f32 v[172:173], v[172:173], v[38:39], v[178:179] op_sel:[1,0,0] op_sel_hi:[0,1,0]
	s_delay_alu instid0(VALU_DEP_1) | instskip(SKIP_1) | instid1(VALU_DEP_2)
	v_mov_b32_e32 v177, v173
	v_pk_mul_f32 v[172:173], v[174:175], v[170:171] op_sel:[0,1]
	v_pk_add_f32 v[122:123], v[122:123], v[176:177] neg_lo:[0,1] neg_hi:[0,1]
	s_delay_alu instid0(VALU_DEP_2) | instskip(SKIP_1) | instid1(VALU_DEP_1)
	v_pk_fma_f32 v[176:177], v[174:175], v[168:169], v[172:173] op_sel:[0,0,1] op_sel_hi:[1,1,0] neg_lo:[0,0,1] neg_hi:[0,0,1]
	v_pk_fma_f32 v[172:173], v[174:175], v[168:169], v[172:173] op_sel:[0,0,1] op_sel_hi:[1,0,0]
	v_mov_b32_e32 v177, v173
	ds_load_2addr_b64 v[172:175], v244 offset0:33 offset1:34
	v_pk_add_f32 v[152:153], v[152:153], v[176:177] neg_lo:[0,1] neg_hi:[0,1]
	s_wait_dscnt 0x0
	v_pk_mul_f32 v[176:177], v[172:173], v[170:171] op_sel:[0,1]
	s_delay_alu instid0(VALU_DEP_1) | instskip(SKIP_1) | instid1(VALU_DEP_1)
	v_pk_fma_f32 v[178:179], v[172:173], v[168:169], v[176:177] op_sel:[0,0,1] op_sel_hi:[1,1,0] neg_lo:[0,0,1] neg_hi:[0,0,1]
	v_pk_fma_f32 v[172:173], v[172:173], v[168:169], v[176:177] op_sel:[0,0,1] op_sel_hi:[1,0,0]
	v_mov_b32_e32 v179, v173
	v_pk_mul_f32 v[172:173], v[174:175], v[170:171] op_sel:[0,1]
	s_delay_alu instid0(VALU_DEP_2) | instskip(NEXT) | instid1(VALU_DEP_2)
	v_pk_add_f32 v[148:149], v[148:149], v[178:179] neg_lo:[0,1] neg_hi:[0,1]
	v_pk_fma_f32 v[176:177], v[174:175], v[168:169], v[172:173] op_sel:[0,0,1] op_sel_hi:[1,1,0] neg_lo:[0,0,1] neg_hi:[0,0,1]
	v_pk_fma_f32 v[172:173], v[174:175], v[168:169], v[172:173] op_sel:[0,0,1] op_sel_hi:[1,0,0]
	s_delay_alu instid0(VALU_DEP_1) | instskip(SKIP_4) | instid1(VALU_DEP_1)
	v_mov_b32_e32 v177, v173
	ds_load_2addr_b64 v[172:175], v244 offset0:35 offset1:36
	v_pk_add_f32 v[150:151], v[150:151], v[176:177] neg_lo:[0,1] neg_hi:[0,1]
	s_wait_dscnt 0x0
	v_pk_mul_f32 v[176:177], v[172:173], v[170:171] op_sel:[0,1]
	v_pk_fma_f32 v[178:179], v[172:173], v[168:169], v[176:177] op_sel:[0,0,1] op_sel_hi:[1,1,0] neg_lo:[0,0,1] neg_hi:[0,0,1]
	v_pk_fma_f32 v[172:173], v[172:173], v[168:169], v[176:177] op_sel:[0,0,1] op_sel_hi:[1,0,0]
	v_dual_mul_f32 v176, v175, v171 :: v_dual_mov_b32 v172, v175
	s_delay_alu instid0(VALU_DEP_2) | instskip(NEXT) | instid1(VALU_DEP_2)
	v_dual_mov_b32 v179, v173 :: v_dual_mov_b32 v173, v174
	v_pk_fma_f32 v[176:177], v[174:175], v[38:39], v[176:177] op_sel_hi:[1,1,0] neg_lo:[0,0,1] neg_hi:[0,0,1]
	v_mul_f32_e32 v174, v175, v168
	s_delay_alu instid0(VALU_DEP_3) | instskip(NEXT) | instid1(VALU_DEP_2)
	v_pk_add_f32 v[146:147], v[146:147], v[178:179] neg_lo:[0,1] neg_hi:[0,1]
	v_pk_fma_f32 v[172:173], v[172:173], v[38:39], v[174:175] op_sel_hi:[1,1,0]
	s_delay_alu instid0(VALU_DEP_1) | instskip(SKIP_4) | instid1(VALU_DEP_1)
	v_mov_b32_e32 v177, v173
	ds_load_2addr_b64 v[172:175], v244 offset0:37 offset1:38
	v_pk_add_f32 v[158:159], v[158:159], v[176:177] neg_lo:[0,1] neg_hi:[0,1]
	s_wait_dscnt 0x0
	v_pk_mul_f32 v[176:177], v[172:173], v[170:171] op_sel:[0,1]
	v_pk_fma_f32 v[178:179], v[172:173], v[168:169], v[176:177] op_sel:[0,0,1] op_sel_hi:[1,1,0] neg_lo:[0,0,1] neg_hi:[0,0,1]
	v_pk_fma_f32 v[172:173], v[172:173], v[168:169], v[176:177] op_sel:[0,0,1] op_sel_hi:[1,0,0]
	s_delay_alu instid0(VALU_DEP_1) | instskip(SKIP_1) | instid1(VALU_DEP_1)
	v_mov_b32_e32 v179, v173
	v_pk_mul_f32 v[172:173], v[174:175], v[170:171] op_sel:[0,1]
	v_pk_fma_f32 v[176:177], v[174:175], v[168:169], v[172:173] op_sel:[0,0,1] op_sel_hi:[1,1,0] neg_lo:[0,0,1] neg_hi:[0,0,1]
	v_pk_fma_f32 v[172:173], v[174:175], v[168:169], v[172:173] op_sel:[0,0,1] op_sel_hi:[1,0,0]
	s_delay_alu instid0(VALU_DEP_1)
	v_mov_b32_e32 v177, v173
	ds_load_b64 v[172:173], v244 offset:312
	v_pk_add_f32 v[156:157], v[156:157], v[178:179] neg_lo:[0,1] neg_hi:[0,1]
	v_pk_add_f32 v[154:155], v[154:155], v[176:177] neg_lo:[0,1] neg_hi:[0,1]
	s_wait_dscnt 0x0
	v_pk_mul_f32 v[170:171], v[172:173], v[170:171] op_sel:[0,1]
	s_delay_alu instid0(VALU_DEP_1) | instskip(SKIP_1) | instid1(VALU_DEP_1)
	v_pk_fma_f32 v[174:175], v[172:173], v[168:169], v[170:171] op_sel:[0,0,1] op_sel_hi:[1,1,0] neg_lo:[0,0,1] neg_hi:[0,0,1]
	v_pk_fma_f32 v[168:169], v[172:173], v[168:169], v[170:171] op_sel:[0,0,1] op_sel_hi:[1,0,0]
	v_mov_b32_e32 v175, v169
	s_delay_alu instid0(VALU_DEP_1)
	v_pk_add_f32 v[160:161], v[160:161], v[174:175] neg_lo:[0,1] neg_hi:[0,1]
.LBB79_28:
	s_or_b32 exec_lo, exec_lo, s1
	s_delay_alu instid0(SALU_CYCLE_1)
	s_mov_b32 s2, exec_lo
	s_wait_dscnt 0x0
	s_barrier_signal -1
	s_barrier_wait -1
	v_cmpx_eq_u32_e32 3, v242
	s_cbranch_execz .LBB79_35
; %bb.29:
	v_dual_mov_b32 v168, v26 :: v_dual_mov_b32 v169, v27
	v_dual_mov_b32 v170, v22 :: v_dual_mov_b32 v171, v23
	ds_store_b64 v243, v[36:37]
	ds_store_2addr_b64 v244, v[168:169], v[170:171] offset0:4 offset1:5
	v_dual_mov_b32 v168, v24 :: v_dual_mov_b32 v169, v25
	v_dual_mov_b32 v170, v60 :: v_dual_mov_b32 v171, v61
	ds_store_2addr_b64 v244, v[168:169], v[170:171] offset0:6 offset1:7
	v_dual_mov_b32 v168, v74 :: v_dual_mov_b32 v169, v75
	v_dual_mov_b32 v170, v58 :: v_dual_mov_b32 v171, v59
	;; [unrolled: 3-line block ×16, first 2 shown]
	ds_store_2addr_b64 v244, v[168:169], v[170:171] offset0:36 offset1:37
	v_dual_mov_b32 v168, v154 :: v_dual_mov_b32 v169, v155
	ds_store_2addr_b64 v244, v[168:169], v[160:161] offset0:38 offset1:39
	ds_load_b64 v[168:169], v243
	s_wait_dscnt 0x0
	v_cmp_neq_f32_e32 vcc_lo, 0, v168
	v_cmp_neq_f32_e64 s1, 0, v169
	s_or_b32 s1, vcc_lo, s1
	s_delay_alu instid0(SALU_CYCLE_1)
	s_and_b32 exec_lo, exec_lo, s1
	s_cbranch_execz .LBB79_35
; %bb.30:
	v_cmp_ngt_f32_e64 s1, |v168|, |v169|
                                        ; implicit-def: $vgpr170_vgpr171
	s_and_saveexec_b32 s4, s1
	s_delay_alu instid0(SALU_CYCLE_1)
	s_xor_b32 s1, exec_lo, s4
	s_cbranch_execz .LBB79_32
; %bb.31:
	v_div_scale_f32 v0, null, v169, v169, v168
	v_div_scale_f32 v171, vcc_lo, v168, v169, v168
	s_delay_alu instid0(VALU_DEP_2) | instskip(SKIP_1) | instid1(TRANS32_DEP_1)
	v_rcp_f32_e32 v1, v0
	v_nop
	v_fma_f32 v170, -v0, v1, 1.0
	s_delay_alu instid0(VALU_DEP_1) | instskip(NEXT) | instid1(VALU_DEP_1)
	v_fmac_f32_e32 v1, v170, v1
	v_mul_f32_e32 v170, v171, v1
	s_delay_alu instid0(VALU_DEP_1) | instskip(NEXT) | instid1(VALU_DEP_1)
	v_fma_f32 v172, -v0, v170, v171
	v_fmac_f32_e32 v170, v172, v1
	s_delay_alu instid0(VALU_DEP_1) | instskip(NEXT) | instid1(VALU_DEP_1)
	v_fma_f32 v0, -v0, v170, v171
	v_div_fmas_f32 v0, v0, v1, v170
	s_delay_alu instid0(VALU_DEP_1) | instskip(NEXT) | instid1(VALU_DEP_1)
	v_div_fixup_f32 v0, v0, v169, v168
	v_fmac_f32_e32 v169, v168, v0
	s_delay_alu instid0(VALU_DEP_1) | instskip(SKIP_1) | instid1(VALU_DEP_2)
	v_div_scale_f32 v1, null, v169, v169, 1.0
	v_div_scale_f32 v171, vcc_lo, 1.0, v169, 1.0
	v_rcp_f32_e32 v168, v1
	v_nop
	s_delay_alu instid0(TRANS32_DEP_1) | instskip(NEXT) | instid1(VALU_DEP_1)
	v_fma_f32 v170, -v1, v168, 1.0
	v_fmac_f32_e32 v168, v170, v168
	s_delay_alu instid0(VALU_DEP_1) | instskip(NEXT) | instid1(VALU_DEP_1)
	v_mul_f32_e32 v170, v171, v168
	v_fma_f32 v172, -v1, v170, v171
	s_delay_alu instid0(VALU_DEP_1) | instskip(NEXT) | instid1(VALU_DEP_1)
	v_fmac_f32_e32 v170, v172, v168
	v_fma_f32 v1, -v1, v170, v171
	s_delay_alu instid0(VALU_DEP_1) | instskip(NEXT) | instid1(VALU_DEP_1)
	v_div_fmas_f32 v1, v1, v168, v170
	v_div_fixup_f32 v1, v1, v169, 1.0
                                        ; implicit-def: $vgpr168_vgpr169
	s_delay_alu instid0(VALU_DEP_1)
	v_mul_f32_e32 v170, v0, v1
	v_xor_b32_e32 v171, 0x80000000, v1
.LBB79_32:
	s_and_not1_saveexec_b32 s1, s1
	s_cbranch_execz .LBB79_34
; %bb.33:
	v_div_scale_f32 v0, null, v168, v168, v169
	v_div_scale_f32 v171, vcc_lo, v169, v168, v169
	s_delay_alu instid0(VALU_DEP_2) | instskip(SKIP_1) | instid1(TRANS32_DEP_1)
	v_rcp_f32_e32 v1, v0
	v_nop
	v_fma_f32 v170, -v0, v1, 1.0
	s_delay_alu instid0(VALU_DEP_1) | instskip(NEXT) | instid1(VALU_DEP_1)
	v_fmac_f32_e32 v1, v170, v1
	v_mul_f32_e32 v170, v171, v1
	s_delay_alu instid0(VALU_DEP_1) | instskip(NEXT) | instid1(VALU_DEP_1)
	v_fma_f32 v172, -v0, v170, v171
	v_fmac_f32_e32 v170, v172, v1
	s_delay_alu instid0(VALU_DEP_1) | instskip(NEXT) | instid1(VALU_DEP_1)
	v_fma_f32 v0, -v0, v170, v171
	v_div_fmas_f32 v0, v0, v1, v170
	s_delay_alu instid0(VALU_DEP_1) | instskip(NEXT) | instid1(VALU_DEP_1)
	v_div_fixup_f32 v0, v0, v168, v169
	v_fmac_f32_e32 v168, v169, v0
	s_delay_alu instid0(VALU_DEP_1) | instskip(NEXT) | instid1(VALU_DEP_1)
	v_div_scale_f32 v1, null, v168, v168, 1.0
	v_rcp_f32_e32 v169, v1
	v_nop
	s_delay_alu instid0(TRANS32_DEP_1) | instskip(NEXT) | instid1(VALU_DEP_1)
	v_fma_f32 v170, -v1, v169, 1.0
	v_fmac_f32_e32 v169, v170, v169
	v_div_scale_f32 v170, vcc_lo, 1.0, v168, 1.0
	s_delay_alu instid0(VALU_DEP_1) | instskip(NEXT) | instid1(VALU_DEP_1)
	v_mul_f32_e32 v171, v170, v169
	v_fma_f32 v172, -v1, v171, v170
	s_delay_alu instid0(VALU_DEP_1) | instskip(NEXT) | instid1(VALU_DEP_1)
	v_fmac_f32_e32 v171, v172, v169
	v_fma_f32 v1, -v1, v171, v170
	s_delay_alu instid0(VALU_DEP_1) | instskip(NEXT) | instid1(VALU_DEP_1)
	v_div_fmas_f32 v1, v1, v169, v171
	v_div_fixup_f32 v170, v1, v168, 1.0
	s_delay_alu instid0(VALU_DEP_1)
	v_mul_f32_e64 v171, v0, -v170
.LBB79_34:
	s_or_b32 exec_lo, exec_lo, s1
	ds_store_b64 v243, v[170:171]
.LBB79_35:
	s_or_b32 exec_lo, exec_lo, s2
	s_wait_dscnt 0x0
	s_barrier_signal -1
	s_barrier_wait -1
	ds_load_b64 v[168:169], v243
	s_mov_b32 s1, exec_lo
	v_cmpx_lt_u32_e32 3, v242
	s_cbranch_execz .LBB79_37
; %bb.36:
	ds_load_2addr_b64 v[174:177], v244 offset0:4 offset1:5
	s_wait_dscnt 0x1
	v_pk_mul_f32 v[172:173], v[168:169], v[36:37] op_sel:[1,1] op_sel_hi:[0,1]
	s_delay_alu instid0(VALU_DEP_1) | instskip(SKIP_1) | instid1(VALU_DEP_1)
	v_pk_fma_f32 v[170:171], v[168:169], v[36:37], v[172:173] op_sel_hi:[1,0,1] neg_lo:[0,0,1] neg_hi:[0,0,1]
	v_pk_fma_f32 v[172:173], v[168:169], v[36:37], v[172:173] op_sel_hi:[1,0,1]
	v_dual_mov_b32 v36, v170 :: v_dual_mov_b32 v37, v173
	s_wait_dscnt 0x0
	s_delay_alu instid0(VALU_DEP_2) | instskip(NEXT) | instid1(VALU_DEP_1)
	v_pk_mul_f32 v[178:179], v[174:175], v[172:173] op_sel:[0,1]
	v_pk_fma_f32 v[180:181], v[174:175], v[170:171], v[178:179] op_sel:[0,0,1] op_sel_hi:[1,1,0] neg_lo:[0,0,1] neg_hi:[0,0,1]
	v_pk_fma_f32 v[174:175], v[174:175], v[170:171], v[178:179] op_sel:[0,0,1] op_sel_hi:[1,0,0]
	s_delay_alu instid0(VALU_DEP_1) | instskip(SKIP_1) | instid1(VALU_DEP_1)
	v_mov_b32_e32 v181, v175
	v_pk_mul_f32 v[174:175], v[176:177], v[172:173] op_sel:[0,1]
	v_pk_fma_f32 v[178:179], v[176:177], v[170:171], v[174:175] op_sel:[0,0,1] op_sel_hi:[1,1,0] neg_lo:[0,0,1] neg_hi:[0,0,1]
	v_pk_fma_f32 v[174:175], v[176:177], v[170:171], v[174:175] op_sel:[0,0,1] op_sel_hi:[1,0,0]
	s_delay_alu instid0(VALU_DEP_1)
	v_mov_b32_e32 v179, v175
	ds_load_2addr_b64 v[174:177], v244 offset0:6 offset1:7
	v_pk_add_f32 v[26:27], v[26:27], v[180:181] neg_lo:[0,1] neg_hi:[0,1]
	v_pk_add_f32 v[22:23], v[22:23], v[178:179] neg_lo:[0,1] neg_hi:[0,1]
	s_wait_dscnt 0x0
	v_pk_mul_f32 v[178:179], v[174:175], v[172:173] op_sel:[0,1]
	s_delay_alu instid0(VALU_DEP_1) | instskip(SKIP_2) | instid1(VALU_DEP_2)
	v_pk_fma_f32 v[180:181], v[174:175], v[170:171], v[178:179] op_sel:[0,0,1] op_sel_hi:[1,1,0] neg_lo:[0,0,1] neg_hi:[0,0,1]
	v_pk_fma_f32 v[174:175], v[174:175], v[170:171], v[178:179] op_sel:[0,0,1] op_sel_hi:[1,0,0]
	v_dual_mul_f32 v178, v177, v173 :: v_dual_mov_b32 v174, v177
	v_dual_mov_b32 v181, v175 :: v_dual_mov_b32 v175, v176
	s_delay_alu instid0(VALU_DEP_2) | instskip(SKIP_1) | instid1(VALU_DEP_3)
	v_pk_fma_f32 v[178:179], v[176:177], v[36:37], v[178:179] op_sel_hi:[1,1,0] neg_lo:[0,0,1] neg_hi:[0,0,1]
	v_mul_f32_e32 v176, v177, v170
	v_pk_add_f32 v[24:25], v[24:25], v[180:181] neg_lo:[0,1] neg_hi:[0,1]
	s_delay_alu instid0(VALU_DEP_2) | instskip(NEXT) | instid1(VALU_DEP_1)
	v_pk_fma_f32 v[174:175], v[174:175], v[36:37], v[176:177] op_sel_hi:[1,1,0]
	v_mov_b32_e32 v179, v175
	ds_load_2addr_b64 v[174:177], v244 offset0:8 offset1:9
	v_pk_add_f32 v[60:61], v[60:61], v[178:179] neg_lo:[0,1] neg_hi:[0,1]
	s_wait_dscnt 0x0
	v_pk_mul_f32 v[178:179], v[174:175], v[172:173] op_sel:[0,1]
	s_delay_alu instid0(VALU_DEP_1) | instskip(SKIP_1) | instid1(VALU_DEP_1)
	v_pk_fma_f32 v[180:181], v[174:175], v[170:171], v[178:179] op_sel:[0,0,1] op_sel_hi:[1,1,0] neg_lo:[0,0,1] neg_hi:[0,0,1]
	v_pk_fma_f32 v[174:175], v[174:175], v[170:171], v[178:179] op_sel:[0,0,1] op_sel_hi:[1,0,0]
	v_mov_b32_e32 v181, v175
	v_pk_mul_f32 v[174:175], v[176:177], v[172:173] op_sel:[0,1]
	s_delay_alu instid0(VALU_DEP_1) | instskip(SKIP_1) | instid1(VALU_DEP_1)
	v_pk_fma_f32 v[178:179], v[176:177], v[170:171], v[174:175] op_sel:[0,0,1] op_sel_hi:[1,1,0] neg_lo:[0,0,1] neg_hi:[0,0,1]
	v_pk_fma_f32 v[174:175], v[176:177], v[170:171], v[174:175] op_sel:[0,0,1] op_sel_hi:[1,0,0]
	v_mov_b32_e32 v179, v175
	ds_load_2addr_b64 v[174:177], v244 offset0:10 offset1:11
	v_pk_add_f32 v[74:75], v[74:75], v[180:181] neg_lo:[0,1] neg_hi:[0,1]
	v_pk_add_f32 v[58:59], v[58:59], v[178:179] neg_lo:[0,1] neg_hi:[0,1]
	s_wait_dscnt 0x0
	v_pk_mul_f32 v[178:179], v[174:175], v[172:173] op_sel:[0,1]
	s_delay_alu instid0(VALU_DEP_1) | instskip(SKIP_1) | instid1(VALU_DEP_1)
	v_pk_fma_f32 v[180:181], v[174:175], v[170:171], v[178:179] op_sel:[0,0,1] op_sel_hi:[1,1,0] neg_lo:[0,0,1] neg_hi:[0,0,1]
	v_pk_fma_f32 v[174:175], v[174:175], v[170:171], v[178:179] op_sel:[0,0,1] op_sel_hi:[1,0,0]
	v_mov_b32_e32 v181, v175
	v_pk_mul_f32 v[174:175], v[176:177], v[172:173] op_sel:[0,1]
	s_delay_alu instid0(VALU_DEP_1) | instskip(SKIP_1) | instid1(VALU_DEP_1)
	v_pk_fma_f32 v[178:179], v[176:177], v[170:171], v[174:175] op_sel:[0,0,1] op_sel_hi:[1,1,0] neg_lo:[0,0,1] neg_hi:[0,0,1]
	v_pk_fma_f32 v[174:175], v[176:177], v[170:171], v[174:175] op_sel:[0,0,1] op_sel_hi:[1,0,0]
	v_mov_b32_e32 v179, v175
	ds_load_2addr_b64 v[174:177], v244 offset0:12 offset1:13
	v_pk_add_f32 v[72:73], v[72:73], v[180:181] neg_lo:[0,1] neg_hi:[0,1]
	v_pk_add_f32 v[70:71], v[70:71], v[178:179] neg_lo:[0,1] neg_hi:[0,1]
	s_wait_dscnt 0x0
	v_dual_mul_f32 v178, v175, v173 :: v_dual_mul_f32 v180, v175, v170
	s_delay_alu instid0(VALU_DEP_1) | instskip(NEXT) | instid1(VALU_DEP_2)
	v_pk_fma_f32 v[178:179], v[174:175], v[36:37], v[178:179] op_sel_hi:[1,1,0] neg_lo:[0,0,1] neg_hi:[0,0,1]
	v_pk_fma_f32 v[174:175], v[174:175], v[36:37], v[180:181] op_sel:[1,0,0] op_sel_hi:[0,1,0]
	s_delay_alu instid0(VALU_DEP_1) | instskip(SKIP_1) | instid1(VALU_DEP_2)
	v_mov_b32_e32 v179, v175
	v_pk_mul_f32 v[174:175], v[176:177], v[172:173] op_sel:[0,1]
	v_pk_add_f32 v[92:93], v[92:93], v[178:179] neg_lo:[0,1] neg_hi:[0,1]
	s_delay_alu instid0(VALU_DEP_2) | instskip(SKIP_1) | instid1(VALU_DEP_1)
	v_pk_fma_f32 v[178:179], v[176:177], v[170:171], v[174:175] op_sel:[0,0,1] op_sel_hi:[1,1,0] neg_lo:[0,0,1] neg_hi:[0,0,1]
	v_pk_fma_f32 v[174:175], v[176:177], v[170:171], v[174:175] op_sel:[0,0,1] op_sel_hi:[1,0,0]
	v_mov_b32_e32 v179, v175
	ds_load_2addr_b64 v[174:177], v244 offset0:14 offset1:15
	v_pk_add_f32 v[88:89], v[88:89], v[178:179] neg_lo:[0,1] neg_hi:[0,1]
	s_wait_dscnt 0x0
	v_pk_mul_f32 v[178:179], v[174:175], v[172:173] op_sel:[0,1]
	s_delay_alu instid0(VALU_DEP_1) | instskip(SKIP_1) | instid1(VALU_DEP_1)
	v_pk_fma_f32 v[180:181], v[174:175], v[170:171], v[178:179] op_sel:[0,0,1] op_sel_hi:[1,1,0] neg_lo:[0,0,1] neg_hi:[0,0,1]
	v_pk_fma_f32 v[174:175], v[174:175], v[170:171], v[178:179] op_sel:[0,0,1] op_sel_hi:[1,0,0]
	v_mov_b32_e32 v181, v175
	v_pk_mul_f32 v[174:175], v[176:177], v[172:173] op_sel:[0,1]
	s_delay_alu instid0(VALU_DEP_2) | instskip(NEXT) | instid1(VALU_DEP_2)
	v_pk_add_f32 v[90:91], v[90:91], v[180:181] neg_lo:[0,1] neg_hi:[0,1]
	v_pk_fma_f32 v[178:179], v[176:177], v[170:171], v[174:175] op_sel:[0,0,1] op_sel_hi:[1,1,0] neg_lo:[0,0,1] neg_hi:[0,0,1]
	v_pk_fma_f32 v[174:175], v[176:177], v[170:171], v[174:175] op_sel:[0,0,1] op_sel_hi:[1,0,0]
	s_delay_alu instid0(VALU_DEP_1) | instskip(SKIP_4) | instid1(VALU_DEP_1)
	v_mov_b32_e32 v179, v175
	ds_load_2addr_b64 v[174:177], v244 offset0:16 offset1:17
	v_pk_add_f32 v[86:87], v[86:87], v[178:179] neg_lo:[0,1] neg_hi:[0,1]
	s_wait_dscnt 0x0
	v_pk_mul_f32 v[178:179], v[174:175], v[172:173] op_sel:[0,1]
	v_pk_fma_f32 v[180:181], v[174:175], v[170:171], v[178:179] op_sel:[0,0,1] op_sel_hi:[1,1,0] neg_lo:[0,0,1] neg_hi:[0,0,1]
	v_pk_fma_f32 v[174:175], v[174:175], v[170:171], v[178:179] op_sel:[0,0,1] op_sel_hi:[1,0,0]
	v_dual_mul_f32 v178, v177, v173 :: v_dual_mov_b32 v174, v177
	s_delay_alu instid0(VALU_DEP_2) | instskip(NEXT) | instid1(VALU_DEP_2)
	v_dual_mov_b32 v181, v175 :: v_dual_mov_b32 v175, v176
	v_pk_fma_f32 v[178:179], v[176:177], v[36:37], v[178:179] op_sel_hi:[1,1,0] neg_lo:[0,0,1] neg_hi:[0,0,1]
	v_mul_f32_e32 v176, v177, v170
	s_delay_alu instid0(VALU_DEP_3) | instskip(NEXT) | instid1(VALU_DEP_2)
	v_pk_add_f32 v[84:85], v[84:85], v[180:181] neg_lo:[0,1] neg_hi:[0,1]
	v_pk_fma_f32 v[174:175], v[174:175], v[36:37], v[176:177] op_sel_hi:[1,1,0]
	s_delay_alu instid0(VALU_DEP_1) | instskip(SKIP_4) | instid1(VALU_DEP_1)
	v_mov_b32_e32 v179, v175
	ds_load_2addr_b64 v[174:177], v244 offset0:18 offset1:19
	v_pk_add_f32 v[114:115], v[114:115], v[178:179] neg_lo:[0,1] neg_hi:[0,1]
	s_wait_dscnt 0x0
	v_pk_mul_f32 v[178:179], v[174:175], v[172:173] op_sel:[0,1]
	v_pk_fma_f32 v[180:181], v[174:175], v[170:171], v[178:179] op_sel:[0,0,1] op_sel_hi:[1,1,0] neg_lo:[0,0,1] neg_hi:[0,0,1]
	v_pk_fma_f32 v[174:175], v[174:175], v[170:171], v[178:179] op_sel:[0,0,1] op_sel_hi:[1,0,0]
	s_delay_alu instid0(VALU_DEP_1) | instskip(SKIP_1) | instid1(VALU_DEP_1)
	v_mov_b32_e32 v181, v175
	v_pk_mul_f32 v[174:175], v[176:177], v[172:173] op_sel:[0,1]
	v_pk_fma_f32 v[178:179], v[176:177], v[170:171], v[174:175] op_sel:[0,0,1] op_sel_hi:[1,1,0] neg_lo:[0,0,1] neg_hi:[0,0,1]
	v_pk_fma_f32 v[174:175], v[176:177], v[170:171], v[174:175] op_sel:[0,0,1] op_sel_hi:[1,0,0]
	s_delay_alu instid0(VALU_DEP_1)
	v_mov_b32_e32 v179, v175
	ds_load_2addr_b64 v[174:177], v244 offset0:20 offset1:21
	v_pk_add_f32 v[116:117], v[116:117], v[180:181] neg_lo:[0,1] neg_hi:[0,1]
	v_pk_add_f32 v[112:113], v[112:113], v[178:179] neg_lo:[0,1] neg_hi:[0,1]
	s_wait_dscnt 0x0
	v_pk_mul_f32 v[178:179], v[174:175], v[172:173] op_sel:[0,1]
	s_delay_alu instid0(VALU_DEP_1) | instskip(SKIP_1) | instid1(VALU_DEP_1)
	v_pk_fma_f32 v[180:181], v[174:175], v[170:171], v[178:179] op_sel:[0,0,1] op_sel_hi:[1,1,0] neg_lo:[0,0,1] neg_hi:[0,0,1]
	v_pk_fma_f32 v[174:175], v[174:175], v[170:171], v[178:179] op_sel:[0,0,1] op_sel_hi:[1,0,0]
	v_mov_b32_e32 v181, v175
	v_pk_mul_f32 v[174:175], v[176:177], v[172:173] op_sel:[0,1]
	s_delay_alu instid0(VALU_DEP_1) | instskip(SKIP_1) | instid1(VALU_DEP_1)
	v_pk_fma_f32 v[178:179], v[176:177], v[170:171], v[174:175] op_sel:[0,0,1] op_sel_hi:[1,1,0] neg_lo:[0,0,1] neg_hi:[0,0,1]
	v_pk_fma_f32 v[174:175], v[176:177], v[170:171], v[174:175] op_sel:[0,0,1] op_sel_hi:[1,0,0]
	v_mov_b32_e32 v179, v175
	ds_load_2addr_b64 v[174:177], v244 offset0:22 offset1:23
	v_pk_add_f32 v[110:111], v[110:111], v[180:181] neg_lo:[0,1] neg_hi:[0,1]
	v_pk_add_f32 v[142:143], v[142:143], v[178:179] neg_lo:[0,1] neg_hi:[0,1]
	s_wait_dscnt 0x0
	v_dual_mul_f32 v178, v175, v173 :: v_dual_mul_f32 v180, v175, v170
	s_delay_alu instid0(VALU_DEP_1) | instskip(NEXT) | instid1(VALU_DEP_2)
	v_pk_fma_f32 v[178:179], v[174:175], v[36:37], v[178:179] op_sel_hi:[1,1,0] neg_lo:[0,0,1] neg_hi:[0,0,1]
	v_pk_fma_f32 v[174:175], v[174:175], v[36:37], v[180:181] op_sel:[1,0,0] op_sel_hi:[0,1,0]
	s_delay_alu instid0(VALU_DEP_1) | instskip(SKIP_1) | instid1(VALU_DEP_2)
	v_mov_b32_e32 v179, v175
	v_pk_mul_f32 v[174:175], v[176:177], v[172:173] op_sel:[0,1]
	v_pk_add_f32 v[144:145], v[144:145], v[178:179] neg_lo:[0,1] neg_hi:[0,1]
	s_delay_alu instid0(VALU_DEP_2) | instskip(SKIP_1) | instid1(VALU_DEP_1)
	v_pk_fma_f32 v[178:179], v[176:177], v[170:171], v[174:175] op_sel:[0,0,1] op_sel_hi:[1,1,0] neg_lo:[0,0,1] neg_hi:[0,0,1]
	v_pk_fma_f32 v[174:175], v[176:177], v[170:171], v[174:175] op_sel:[0,0,1] op_sel_hi:[1,0,0]
	v_mov_b32_e32 v179, v175
	ds_load_2addr_b64 v[174:177], v244 offset0:24 offset1:25
	v_pk_add_f32 v[140:141], v[140:141], v[178:179] neg_lo:[0,1] neg_hi:[0,1]
	s_wait_dscnt 0x0
	v_pk_mul_f32 v[178:179], v[174:175], v[172:173] op_sel:[0,1]
	s_delay_alu instid0(VALU_DEP_1) | instskip(SKIP_1) | instid1(VALU_DEP_1)
	v_pk_fma_f32 v[180:181], v[174:175], v[170:171], v[178:179] op_sel:[0,0,1] op_sel_hi:[1,1,0] neg_lo:[0,0,1] neg_hi:[0,0,1]
	v_pk_fma_f32 v[174:175], v[174:175], v[170:171], v[178:179] op_sel:[0,0,1] op_sel_hi:[1,0,0]
	v_mov_b32_e32 v181, v175
	v_pk_mul_f32 v[174:175], v[176:177], v[172:173] op_sel:[0,1]
	s_delay_alu instid0(VALU_DEP_2) | instskip(NEXT) | instid1(VALU_DEP_2)
	v_pk_add_f32 v[100:101], v[100:101], v[180:181] neg_lo:[0,1] neg_hi:[0,1]
	v_pk_fma_f32 v[178:179], v[176:177], v[170:171], v[174:175] op_sel:[0,0,1] op_sel_hi:[1,1,0] neg_lo:[0,0,1] neg_hi:[0,0,1]
	v_pk_fma_f32 v[174:175], v[176:177], v[170:171], v[174:175] op_sel:[0,0,1] op_sel_hi:[1,0,0]
	s_delay_alu instid0(VALU_DEP_1) | instskip(SKIP_4) | instid1(VALU_DEP_1)
	v_mov_b32_e32 v179, v175
	ds_load_2addr_b64 v[174:177], v244 offset0:26 offset1:27
	v_pk_add_f32 v[96:97], v[96:97], v[178:179] neg_lo:[0,1] neg_hi:[0,1]
	s_wait_dscnt 0x0
	v_pk_mul_f32 v[178:179], v[174:175], v[172:173] op_sel:[0,1]
	v_pk_fma_f32 v[180:181], v[174:175], v[170:171], v[178:179] op_sel:[0,0,1] op_sel_hi:[1,1,0] neg_lo:[0,0,1] neg_hi:[0,0,1]
	v_pk_fma_f32 v[174:175], v[174:175], v[170:171], v[178:179] op_sel:[0,0,1] op_sel_hi:[1,0,0]
	v_dual_mul_f32 v178, v177, v173 :: v_dual_mov_b32 v174, v177
	s_delay_alu instid0(VALU_DEP_2) | instskip(NEXT) | instid1(VALU_DEP_2)
	v_dual_mov_b32 v181, v175 :: v_dual_mov_b32 v175, v176
	v_pk_fma_f32 v[178:179], v[176:177], v[36:37], v[178:179] op_sel_hi:[1,1,0] neg_lo:[0,0,1] neg_hi:[0,0,1]
	v_mul_f32_e32 v176, v177, v170
	s_delay_alu instid0(VALU_DEP_3) | instskip(NEXT) | instid1(VALU_DEP_2)
	v_pk_add_f32 v[98:99], v[98:99], v[180:181] neg_lo:[0,1] neg_hi:[0,1]
	v_pk_fma_f32 v[174:175], v[174:175], v[36:37], v[176:177] op_sel_hi:[1,1,0]
	s_delay_alu instid0(VALU_DEP_1) | instskip(SKIP_4) | instid1(VALU_DEP_1)
	v_mov_b32_e32 v179, v175
	ds_load_2addr_b64 v[174:177], v244 offset0:28 offset1:29
	v_pk_add_f32 v[94:95], v[94:95], v[178:179] neg_lo:[0,1] neg_hi:[0,1]
	s_wait_dscnt 0x0
	v_pk_mul_f32 v[178:179], v[174:175], v[172:173] op_sel:[0,1]
	v_pk_fma_f32 v[180:181], v[174:175], v[170:171], v[178:179] op_sel:[0,0,1] op_sel_hi:[1,1,0] neg_lo:[0,0,1] neg_hi:[0,0,1]
	v_pk_fma_f32 v[174:175], v[174:175], v[170:171], v[178:179] op_sel:[0,0,1] op_sel_hi:[1,0,0]
	s_delay_alu instid0(VALU_DEP_1) | instskip(SKIP_1) | instid1(VALU_DEP_1)
	v_mov_b32_e32 v181, v175
	v_pk_mul_f32 v[174:175], v[176:177], v[172:173] op_sel:[0,1]
	v_pk_fma_f32 v[178:179], v[176:177], v[170:171], v[174:175] op_sel:[0,0,1] op_sel_hi:[1,1,0] neg_lo:[0,0,1] neg_hi:[0,0,1]
	v_pk_fma_f32 v[174:175], v[176:177], v[170:171], v[174:175] op_sel:[0,0,1] op_sel_hi:[1,0,0]
	s_delay_alu instid0(VALU_DEP_1)
	v_mov_b32_e32 v179, v175
	ds_load_2addr_b64 v[174:177], v244 offset0:30 offset1:31
	v_pk_add_f32 v[128:129], v[128:129], v[180:181] neg_lo:[0,1] neg_hi:[0,1]
	v_pk_add_f32 v[124:125], v[124:125], v[178:179] neg_lo:[0,1] neg_hi:[0,1]
	s_wait_dscnt 0x0
	v_pk_mul_f32 v[178:179], v[174:175], v[172:173] op_sel:[0,1]
	s_delay_alu instid0(VALU_DEP_1) | instskip(SKIP_1) | instid1(VALU_DEP_1)
	v_pk_fma_f32 v[180:181], v[174:175], v[170:171], v[178:179] op_sel:[0,0,1] op_sel_hi:[1,1,0] neg_lo:[0,0,1] neg_hi:[0,0,1]
	v_pk_fma_f32 v[174:175], v[174:175], v[170:171], v[178:179] op_sel:[0,0,1] op_sel_hi:[1,0,0]
	v_mov_b32_e32 v181, v175
	v_pk_mul_f32 v[174:175], v[176:177], v[172:173] op_sel:[0,1]
	s_delay_alu instid0(VALU_DEP_1) | instskip(SKIP_1) | instid1(VALU_DEP_1)
	v_pk_fma_f32 v[178:179], v[176:177], v[170:171], v[174:175] op_sel:[0,0,1] op_sel_hi:[1,1,0] neg_lo:[0,0,1] neg_hi:[0,0,1]
	v_pk_fma_f32 v[174:175], v[176:177], v[170:171], v[174:175] op_sel:[0,0,1] op_sel_hi:[1,0,0]
	v_mov_b32_e32 v179, v175
	ds_load_2addr_b64 v[174:177], v244 offset0:32 offset1:33
	v_pk_add_f32 v[126:127], v[126:127], v[180:181] neg_lo:[0,1] neg_hi:[0,1]
	v_pk_add_f32 v[122:123], v[122:123], v[178:179] neg_lo:[0,1] neg_hi:[0,1]
	s_wait_dscnt 0x0
	v_dual_mul_f32 v178, v175, v173 :: v_dual_mul_f32 v180, v175, v170
	s_delay_alu instid0(VALU_DEP_1) | instskip(NEXT) | instid1(VALU_DEP_2)
	v_pk_fma_f32 v[178:179], v[174:175], v[36:37], v[178:179] op_sel_hi:[1,1,0] neg_lo:[0,0,1] neg_hi:[0,0,1]
	v_pk_fma_f32 v[174:175], v[174:175], v[36:37], v[180:181] op_sel:[1,0,0] op_sel_hi:[0,1,0]
	s_delay_alu instid0(VALU_DEP_1) | instskip(SKIP_1) | instid1(VALU_DEP_2)
	v_mov_b32_e32 v179, v175
	v_pk_mul_f32 v[174:175], v[176:177], v[172:173] op_sel:[0,1]
	v_pk_add_f32 v[152:153], v[152:153], v[178:179] neg_lo:[0,1] neg_hi:[0,1]
	s_delay_alu instid0(VALU_DEP_2) | instskip(SKIP_1) | instid1(VALU_DEP_1)
	v_pk_fma_f32 v[178:179], v[176:177], v[170:171], v[174:175] op_sel:[0,0,1] op_sel_hi:[1,1,0] neg_lo:[0,0,1] neg_hi:[0,0,1]
	v_pk_fma_f32 v[174:175], v[176:177], v[170:171], v[174:175] op_sel:[0,0,1] op_sel_hi:[1,0,0]
	v_mov_b32_e32 v179, v175
	ds_load_2addr_b64 v[174:177], v244 offset0:34 offset1:35
	v_pk_add_f32 v[148:149], v[148:149], v[178:179] neg_lo:[0,1] neg_hi:[0,1]
	s_wait_dscnt 0x0
	v_pk_mul_f32 v[178:179], v[174:175], v[172:173] op_sel:[0,1]
	s_delay_alu instid0(VALU_DEP_1) | instskip(SKIP_1) | instid1(VALU_DEP_1)
	v_pk_fma_f32 v[180:181], v[174:175], v[170:171], v[178:179] op_sel:[0,0,1] op_sel_hi:[1,1,0] neg_lo:[0,0,1] neg_hi:[0,0,1]
	v_pk_fma_f32 v[174:175], v[174:175], v[170:171], v[178:179] op_sel:[0,0,1] op_sel_hi:[1,0,0]
	v_mov_b32_e32 v181, v175
	v_pk_mul_f32 v[174:175], v[176:177], v[172:173] op_sel:[0,1]
	s_delay_alu instid0(VALU_DEP_2) | instskip(NEXT) | instid1(VALU_DEP_2)
	v_pk_add_f32 v[150:151], v[150:151], v[180:181] neg_lo:[0,1] neg_hi:[0,1]
	v_pk_fma_f32 v[178:179], v[176:177], v[170:171], v[174:175] op_sel:[0,0,1] op_sel_hi:[1,1,0] neg_lo:[0,0,1] neg_hi:[0,0,1]
	v_pk_fma_f32 v[174:175], v[176:177], v[170:171], v[174:175] op_sel:[0,0,1] op_sel_hi:[1,0,0]
	s_delay_alu instid0(VALU_DEP_1) | instskip(SKIP_4) | instid1(VALU_DEP_1)
	v_mov_b32_e32 v179, v175
	ds_load_2addr_b64 v[174:177], v244 offset0:36 offset1:37
	v_pk_add_f32 v[146:147], v[146:147], v[178:179] neg_lo:[0,1] neg_hi:[0,1]
	s_wait_dscnt 0x0
	v_pk_mul_f32 v[178:179], v[174:175], v[172:173] op_sel:[0,1]
	v_pk_fma_f32 v[180:181], v[174:175], v[170:171], v[178:179] op_sel:[0,0,1] op_sel_hi:[1,1,0] neg_lo:[0,0,1] neg_hi:[0,0,1]
	v_pk_fma_f32 v[174:175], v[174:175], v[170:171], v[178:179] op_sel:[0,0,1] op_sel_hi:[1,0,0]
	v_dual_mul_f32 v178, v177, v173 :: v_dual_mov_b32 v174, v177
	s_delay_alu instid0(VALU_DEP_2) | instskip(NEXT) | instid1(VALU_DEP_2)
	v_dual_mov_b32 v181, v175 :: v_dual_mov_b32 v175, v176
	v_pk_fma_f32 v[178:179], v[176:177], v[36:37], v[178:179] op_sel_hi:[1,1,0] neg_lo:[0,0,1] neg_hi:[0,0,1]
	v_mul_f32_e32 v176, v177, v170
	s_delay_alu instid0(VALU_DEP_3) | instskip(NEXT) | instid1(VALU_DEP_2)
	v_pk_add_f32 v[158:159], v[158:159], v[180:181] neg_lo:[0,1] neg_hi:[0,1]
	v_pk_fma_f32 v[174:175], v[174:175], v[36:37], v[176:177] op_sel_hi:[1,1,0]
	s_delay_alu instid0(VALU_DEP_1)
	v_mov_b32_e32 v179, v175
	ds_load_2addr_b64 v[174:177], v244 offset0:38 offset1:39
	v_pk_add_f32 v[156:157], v[156:157], v[178:179] neg_lo:[0,1] neg_hi:[0,1]
	s_wait_dscnt 0x0
	v_pk_mul_f32 v[178:179], v[174:175], v[172:173] op_sel:[0,1]
	v_mul_f32_e32 v172, v177, v173
	s_delay_alu instid0(VALU_DEP_2) | instskip(SKIP_2) | instid1(VALU_DEP_4)
	v_pk_fma_f32 v[180:181], v[174:175], v[170:171], v[178:179] op_sel:[0,0,1] op_sel_hi:[1,1,0] neg_lo:[0,0,1] neg_hi:[0,0,1]
	v_pk_fma_f32 v[174:175], v[174:175], v[170:171], v[178:179] op_sel:[0,0,1] op_sel_hi:[1,0,0]
	v_dual_mov_b32 v174, v177 :: v_dual_mul_f32 v170, v177, v170
	v_pk_fma_f32 v[172:173], v[176:177], v[36:37], v[172:173] op_sel_hi:[1,1,0] neg_lo:[0,0,1] neg_hi:[0,0,1]
	s_delay_alu instid0(VALU_DEP_3) | instskip(NEXT) | instid1(VALU_DEP_1)
	v_dual_mov_b32 v181, v175 :: v_dual_mov_b32 v175, v176
	v_pk_add_f32 v[154:155], v[154:155], v[180:181] neg_lo:[0,1] neg_hi:[0,1]
	s_delay_alu instid0(VALU_DEP_2) | instskip(NEXT) | instid1(VALU_DEP_1)
	v_pk_fma_f32 v[170:171], v[174:175], v[36:37], v[170:171] op_sel_hi:[1,1,0]
	v_mov_b32_e32 v173, v171
	s_delay_alu instid0(VALU_DEP_1)
	v_pk_add_f32 v[160:161], v[160:161], v[172:173] neg_lo:[0,1] neg_hi:[0,1]
.LBB79_37:
	s_or_b32 exec_lo, exec_lo, s1
	s_delay_alu instid0(SALU_CYCLE_1)
	s_mov_b32 s2, exec_lo
	s_wait_dscnt 0x0
	s_barrier_signal -1
	s_barrier_wait -1
	v_cmpx_eq_u32_e32 4, v242
	s_cbranch_execz .LBB79_44
; %bb.38:
	ds_store_b64 v243, v[26:27]
	ds_store_2addr_b64 v244, v[22:23], v[24:25] offset0:5 offset1:6
	ds_store_2addr_b64 v244, v[60:61], v[74:75] offset0:7 offset1:8
	ds_store_2addr_b64 v244, v[58:59], v[72:73] offset0:9 offset1:10
	ds_store_2addr_b64 v244, v[70:71], v[92:93] offset0:11 offset1:12
	ds_store_2addr_b64 v244, v[88:89], v[90:91] offset0:13 offset1:14
	ds_store_2addr_b64 v244, v[86:87], v[84:85] offset0:15 offset1:16
	ds_store_2addr_b64 v244, v[114:115], v[116:117] offset0:17 offset1:18
	ds_store_2addr_b64 v244, v[112:113], v[110:111] offset0:19 offset1:20
	ds_store_2addr_b64 v244, v[142:143], v[144:145] offset0:21 offset1:22
	ds_store_2addr_b64 v244, v[140:141], v[100:101] offset0:23 offset1:24
	ds_store_2addr_b64 v244, v[96:97], v[98:99] offset0:25 offset1:26
	ds_store_2addr_b64 v244, v[94:95], v[128:129] offset0:27 offset1:28
	ds_store_2addr_b64 v244, v[124:125], v[126:127] offset0:29 offset1:30
	ds_store_2addr_b64 v244, v[122:123], v[152:153] offset0:31 offset1:32
	ds_store_2addr_b64 v244, v[148:149], v[150:151] offset0:33 offset1:34
	ds_store_2addr_b64 v244, v[146:147], v[158:159] offset0:35 offset1:36
	ds_store_2addr_b64 v244, v[156:157], v[154:155] offset0:37 offset1:38
	ds_store_b64 v244, v[160:161] offset:312
	ds_load_b64 v[170:171], v243
	s_wait_dscnt 0x0
	v_cmp_neq_f32_e32 vcc_lo, 0, v170
	v_cmp_neq_f32_e64 s1, 0, v171
	s_or_b32 s1, vcc_lo, s1
	s_delay_alu instid0(SALU_CYCLE_1)
	s_and_b32 exec_lo, exec_lo, s1
	s_cbranch_execz .LBB79_44
; %bb.39:
	v_cmp_ngt_f32_e64 s1, |v170|, |v171|
                                        ; implicit-def: $vgpr172_vgpr173
	s_and_saveexec_b32 s4, s1
	s_delay_alu instid0(SALU_CYCLE_1)
	s_xor_b32 s1, exec_lo, s4
	s_cbranch_execz .LBB79_41
; %bb.40:
	v_div_scale_f32 v0, null, v171, v171, v170
	v_div_scale_f32 v173, vcc_lo, v170, v171, v170
	s_delay_alu instid0(VALU_DEP_2) | instskip(SKIP_1) | instid1(TRANS32_DEP_1)
	v_rcp_f32_e32 v1, v0
	v_nop
	v_fma_f32 v172, -v0, v1, 1.0
	s_delay_alu instid0(VALU_DEP_1) | instskip(NEXT) | instid1(VALU_DEP_1)
	v_fmac_f32_e32 v1, v172, v1
	v_mul_f32_e32 v172, v173, v1
	s_delay_alu instid0(VALU_DEP_1) | instskip(NEXT) | instid1(VALU_DEP_1)
	v_fma_f32 v174, -v0, v172, v173
	v_fmac_f32_e32 v172, v174, v1
	s_delay_alu instid0(VALU_DEP_1) | instskip(NEXT) | instid1(VALU_DEP_1)
	v_fma_f32 v0, -v0, v172, v173
	v_div_fmas_f32 v0, v0, v1, v172
	s_delay_alu instid0(VALU_DEP_1) | instskip(NEXT) | instid1(VALU_DEP_1)
	v_div_fixup_f32 v0, v0, v171, v170
	v_fmac_f32_e32 v171, v170, v0
	s_delay_alu instid0(VALU_DEP_1) | instskip(SKIP_1) | instid1(VALU_DEP_2)
	v_div_scale_f32 v1, null, v171, v171, 1.0
	v_div_scale_f32 v173, vcc_lo, 1.0, v171, 1.0
	v_rcp_f32_e32 v170, v1
	v_nop
	s_delay_alu instid0(TRANS32_DEP_1) | instskip(NEXT) | instid1(VALU_DEP_1)
	v_fma_f32 v172, -v1, v170, 1.0
	v_fmac_f32_e32 v170, v172, v170
	s_delay_alu instid0(VALU_DEP_1) | instskip(NEXT) | instid1(VALU_DEP_1)
	v_mul_f32_e32 v172, v173, v170
	v_fma_f32 v174, -v1, v172, v173
	s_delay_alu instid0(VALU_DEP_1) | instskip(NEXT) | instid1(VALU_DEP_1)
	v_fmac_f32_e32 v172, v174, v170
	v_fma_f32 v1, -v1, v172, v173
	s_delay_alu instid0(VALU_DEP_1) | instskip(NEXT) | instid1(VALU_DEP_1)
	v_div_fmas_f32 v1, v1, v170, v172
	v_div_fixup_f32 v1, v1, v171, 1.0
                                        ; implicit-def: $vgpr170_vgpr171
	s_delay_alu instid0(VALU_DEP_1)
	v_mul_f32_e32 v172, v0, v1
	v_xor_b32_e32 v173, 0x80000000, v1
.LBB79_41:
	s_and_not1_saveexec_b32 s1, s1
	s_cbranch_execz .LBB79_43
; %bb.42:
	v_div_scale_f32 v0, null, v170, v170, v171
	v_div_scale_f32 v173, vcc_lo, v171, v170, v171
	s_delay_alu instid0(VALU_DEP_2) | instskip(SKIP_1) | instid1(TRANS32_DEP_1)
	v_rcp_f32_e32 v1, v0
	v_nop
	v_fma_f32 v172, -v0, v1, 1.0
	s_delay_alu instid0(VALU_DEP_1) | instskip(NEXT) | instid1(VALU_DEP_1)
	v_fmac_f32_e32 v1, v172, v1
	v_mul_f32_e32 v172, v173, v1
	s_delay_alu instid0(VALU_DEP_1) | instskip(NEXT) | instid1(VALU_DEP_1)
	v_fma_f32 v174, -v0, v172, v173
	v_fmac_f32_e32 v172, v174, v1
	s_delay_alu instid0(VALU_DEP_1) | instskip(NEXT) | instid1(VALU_DEP_1)
	v_fma_f32 v0, -v0, v172, v173
	v_div_fmas_f32 v0, v0, v1, v172
	s_delay_alu instid0(VALU_DEP_1) | instskip(NEXT) | instid1(VALU_DEP_1)
	v_div_fixup_f32 v0, v0, v170, v171
	v_fmac_f32_e32 v170, v171, v0
	s_delay_alu instid0(VALU_DEP_1) | instskip(NEXT) | instid1(VALU_DEP_1)
	v_div_scale_f32 v1, null, v170, v170, 1.0
	v_rcp_f32_e32 v171, v1
	v_nop
	s_delay_alu instid0(TRANS32_DEP_1) | instskip(NEXT) | instid1(VALU_DEP_1)
	v_fma_f32 v172, -v1, v171, 1.0
	v_fmac_f32_e32 v171, v172, v171
	v_div_scale_f32 v172, vcc_lo, 1.0, v170, 1.0
	s_delay_alu instid0(VALU_DEP_1) | instskip(NEXT) | instid1(VALU_DEP_1)
	v_mul_f32_e32 v173, v172, v171
	v_fma_f32 v174, -v1, v173, v172
	s_delay_alu instid0(VALU_DEP_1) | instskip(NEXT) | instid1(VALU_DEP_1)
	v_fmac_f32_e32 v173, v174, v171
	v_fma_f32 v1, -v1, v173, v172
	s_delay_alu instid0(VALU_DEP_1) | instskip(NEXT) | instid1(VALU_DEP_1)
	v_div_fmas_f32 v1, v1, v171, v173
	v_div_fixup_f32 v172, v1, v170, 1.0
	s_delay_alu instid0(VALU_DEP_1)
	v_mul_f32_e64 v173, v0, -v172
.LBB79_43:
	s_or_b32 exec_lo, exec_lo, s1
	ds_store_b64 v243, v[172:173]
.LBB79_44:
	s_or_b32 exec_lo, exec_lo, s2
	s_wait_dscnt 0x0
	s_barrier_signal -1
	s_barrier_wait -1
	ds_load_b64 v[170:171], v243
	s_mov_b32 s1, exec_lo
	v_cmpx_lt_u32_e32 4, v242
	s_cbranch_execz .LBB79_46
; %bb.45:
	ds_load_2addr_b64 v[176:179], v244 offset0:5 offset1:6
	s_wait_dscnt 0x1
	v_pk_mul_f32 v[174:175], v[170:171], v[26:27] op_sel:[1,1] op_sel_hi:[0,1]
	s_delay_alu instid0(VALU_DEP_1) | instskip(SKIP_1) | instid1(VALU_DEP_1)
	v_pk_fma_f32 v[172:173], v[170:171], v[26:27], v[174:175] op_sel_hi:[1,0,1] neg_lo:[0,0,1] neg_hi:[0,0,1]
	v_pk_fma_f32 v[174:175], v[170:171], v[26:27], v[174:175] op_sel_hi:[1,0,1]
	v_dual_mov_b32 v26, v172 :: v_dual_mov_b32 v27, v175
	s_wait_dscnt 0x0
	s_delay_alu instid0(VALU_DEP_2) | instskip(NEXT) | instid1(VALU_DEP_1)
	v_pk_mul_f32 v[180:181], v[176:177], v[174:175] op_sel:[0,1]
	v_pk_fma_f32 v[182:183], v[176:177], v[172:173], v[180:181] op_sel:[0,0,1] op_sel_hi:[1,1,0] neg_lo:[0,0,1] neg_hi:[0,0,1]
	v_pk_fma_f32 v[176:177], v[176:177], v[172:173], v[180:181] op_sel:[0,0,1] op_sel_hi:[1,0,0]
	s_delay_alu instid0(VALU_DEP_1) | instskip(SKIP_1) | instid1(VALU_DEP_1)
	v_mov_b32_e32 v183, v177
	v_pk_mul_f32 v[176:177], v[178:179], v[174:175] op_sel:[0,1]
	v_pk_fma_f32 v[180:181], v[178:179], v[172:173], v[176:177] op_sel:[0,0,1] op_sel_hi:[1,1,0] neg_lo:[0,0,1] neg_hi:[0,0,1]
	v_pk_fma_f32 v[176:177], v[178:179], v[172:173], v[176:177] op_sel:[0,0,1] op_sel_hi:[1,0,0]
	s_delay_alu instid0(VALU_DEP_1)
	v_mov_b32_e32 v181, v177
	ds_load_2addr_b64 v[176:179], v244 offset0:7 offset1:8
	v_pk_add_f32 v[22:23], v[22:23], v[182:183] neg_lo:[0,1] neg_hi:[0,1]
	v_pk_add_f32 v[24:25], v[24:25], v[180:181] neg_lo:[0,1] neg_hi:[0,1]
	s_wait_dscnt 0x0
	v_pk_mul_f32 v[180:181], v[176:177], v[174:175] op_sel:[0,1]
	s_delay_alu instid0(VALU_DEP_1) | instskip(SKIP_2) | instid1(VALU_DEP_2)
	v_pk_fma_f32 v[182:183], v[176:177], v[172:173], v[180:181] op_sel:[0,0,1] op_sel_hi:[1,1,0] neg_lo:[0,0,1] neg_hi:[0,0,1]
	v_pk_fma_f32 v[176:177], v[176:177], v[172:173], v[180:181] op_sel:[0,0,1] op_sel_hi:[1,0,0]
	v_dual_mul_f32 v180, v179, v175 :: v_dual_mov_b32 v176, v179
	v_dual_mov_b32 v183, v177 :: v_dual_mov_b32 v177, v178
	s_delay_alu instid0(VALU_DEP_2) | instskip(SKIP_1) | instid1(VALU_DEP_3)
	v_pk_fma_f32 v[180:181], v[178:179], v[26:27], v[180:181] op_sel_hi:[1,1,0] neg_lo:[0,0,1] neg_hi:[0,0,1]
	v_mul_f32_e32 v178, v179, v172
	v_pk_add_f32 v[60:61], v[60:61], v[182:183] neg_lo:[0,1] neg_hi:[0,1]
	s_delay_alu instid0(VALU_DEP_2) | instskip(NEXT) | instid1(VALU_DEP_1)
	v_pk_fma_f32 v[176:177], v[176:177], v[26:27], v[178:179] op_sel_hi:[1,1,0]
	v_mov_b32_e32 v181, v177
	ds_load_2addr_b64 v[176:179], v244 offset0:9 offset1:10
	v_pk_add_f32 v[74:75], v[74:75], v[180:181] neg_lo:[0,1] neg_hi:[0,1]
	s_wait_dscnt 0x0
	v_pk_mul_f32 v[180:181], v[176:177], v[174:175] op_sel:[0,1]
	s_delay_alu instid0(VALU_DEP_1) | instskip(SKIP_1) | instid1(VALU_DEP_1)
	v_pk_fma_f32 v[182:183], v[176:177], v[172:173], v[180:181] op_sel:[0,0,1] op_sel_hi:[1,1,0] neg_lo:[0,0,1] neg_hi:[0,0,1]
	v_pk_fma_f32 v[176:177], v[176:177], v[172:173], v[180:181] op_sel:[0,0,1] op_sel_hi:[1,0,0]
	v_mov_b32_e32 v183, v177
	v_pk_mul_f32 v[176:177], v[178:179], v[174:175] op_sel:[0,1]
	s_delay_alu instid0(VALU_DEP_1) | instskip(SKIP_1) | instid1(VALU_DEP_1)
	v_pk_fma_f32 v[180:181], v[178:179], v[172:173], v[176:177] op_sel:[0,0,1] op_sel_hi:[1,1,0] neg_lo:[0,0,1] neg_hi:[0,0,1]
	v_pk_fma_f32 v[176:177], v[178:179], v[172:173], v[176:177] op_sel:[0,0,1] op_sel_hi:[1,0,0]
	v_mov_b32_e32 v181, v177
	ds_load_2addr_b64 v[176:179], v244 offset0:11 offset1:12
	v_pk_add_f32 v[58:59], v[58:59], v[182:183] neg_lo:[0,1] neg_hi:[0,1]
	v_pk_add_f32 v[72:73], v[72:73], v[180:181] neg_lo:[0,1] neg_hi:[0,1]
	s_wait_dscnt 0x0
	v_pk_mul_f32 v[180:181], v[176:177], v[174:175] op_sel:[0,1]
	s_delay_alu instid0(VALU_DEP_1) | instskip(SKIP_1) | instid1(VALU_DEP_1)
	v_pk_fma_f32 v[182:183], v[176:177], v[172:173], v[180:181] op_sel:[0,0,1] op_sel_hi:[1,1,0] neg_lo:[0,0,1] neg_hi:[0,0,1]
	v_pk_fma_f32 v[176:177], v[176:177], v[172:173], v[180:181] op_sel:[0,0,1] op_sel_hi:[1,0,0]
	v_mov_b32_e32 v183, v177
	v_pk_mul_f32 v[176:177], v[178:179], v[174:175] op_sel:[0,1]
	s_delay_alu instid0(VALU_DEP_1) | instskip(SKIP_1) | instid1(VALU_DEP_1)
	v_pk_fma_f32 v[180:181], v[178:179], v[172:173], v[176:177] op_sel:[0,0,1] op_sel_hi:[1,1,0] neg_lo:[0,0,1] neg_hi:[0,0,1]
	v_pk_fma_f32 v[176:177], v[178:179], v[172:173], v[176:177] op_sel:[0,0,1] op_sel_hi:[1,0,0]
	v_mov_b32_e32 v181, v177
	ds_load_2addr_b64 v[176:179], v244 offset0:13 offset1:14
	v_pk_add_f32 v[70:71], v[70:71], v[182:183] neg_lo:[0,1] neg_hi:[0,1]
	v_pk_add_f32 v[92:93], v[92:93], v[180:181] neg_lo:[0,1] neg_hi:[0,1]
	s_wait_dscnt 0x0
	v_dual_mul_f32 v180, v177, v175 :: v_dual_mul_f32 v182, v177, v172
	s_delay_alu instid0(VALU_DEP_1) | instskip(NEXT) | instid1(VALU_DEP_2)
	v_pk_fma_f32 v[180:181], v[176:177], v[26:27], v[180:181] op_sel_hi:[1,1,0] neg_lo:[0,0,1] neg_hi:[0,0,1]
	v_pk_fma_f32 v[176:177], v[176:177], v[26:27], v[182:183] op_sel:[1,0,0] op_sel_hi:[0,1,0]
	s_delay_alu instid0(VALU_DEP_1) | instskip(SKIP_1) | instid1(VALU_DEP_2)
	v_mov_b32_e32 v181, v177
	v_pk_mul_f32 v[176:177], v[178:179], v[174:175] op_sel:[0,1]
	v_pk_add_f32 v[88:89], v[88:89], v[180:181] neg_lo:[0,1] neg_hi:[0,1]
	s_delay_alu instid0(VALU_DEP_2) | instskip(SKIP_1) | instid1(VALU_DEP_1)
	v_pk_fma_f32 v[180:181], v[178:179], v[172:173], v[176:177] op_sel:[0,0,1] op_sel_hi:[1,1,0] neg_lo:[0,0,1] neg_hi:[0,0,1]
	v_pk_fma_f32 v[176:177], v[178:179], v[172:173], v[176:177] op_sel:[0,0,1] op_sel_hi:[1,0,0]
	v_mov_b32_e32 v181, v177
	ds_load_2addr_b64 v[176:179], v244 offset0:15 offset1:16
	v_pk_add_f32 v[90:91], v[90:91], v[180:181] neg_lo:[0,1] neg_hi:[0,1]
	s_wait_dscnt 0x0
	v_pk_mul_f32 v[180:181], v[176:177], v[174:175] op_sel:[0,1]
	s_delay_alu instid0(VALU_DEP_1) | instskip(SKIP_1) | instid1(VALU_DEP_1)
	v_pk_fma_f32 v[182:183], v[176:177], v[172:173], v[180:181] op_sel:[0,0,1] op_sel_hi:[1,1,0] neg_lo:[0,0,1] neg_hi:[0,0,1]
	v_pk_fma_f32 v[176:177], v[176:177], v[172:173], v[180:181] op_sel:[0,0,1] op_sel_hi:[1,0,0]
	v_mov_b32_e32 v183, v177
	v_pk_mul_f32 v[176:177], v[178:179], v[174:175] op_sel:[0,1]
	s_delay_alu instid0(VALU_DEP_2) | instskip(NEXT) | instid1(VALU_DEP_2)
	v_pk_add_f32 v[86:87], v[86:87], v[182:183] neg_lo:[0,1] neg_hi:[0,1]
	v_pk_fma_f32 v[180:181], v[178:179], v[172:173], v[176:177] op_sel:[0,0,1] op_sel_hi:[1,1,0] neg_lo:[0,0,1] neg_hi:[0,0,1]
	v_pk_fma_f32 v[176:177], v[178:179], v[172:173], v[176:177] op_sel:[0,0,1] op_sel_hi:[1,0,0]
	s_delay_alu instid0(VALU_DEP_1) | instskip(SKIP_4) | instid1(VALU_DEP_1)
	v_mov_b32_e32 v181, v177
	ds_load_2addr_b64 v[176:179], v244 offset0:17 offset1:18
	v_pk_add_f32 v[84:85], v[84:85], v[180:181] neg_lo:[0,1] neg_hi:[0,1]
	s_wait_dscnt 0x0
	v_pk_mul_f32 v[180:181], v[176:177], v[174:175] op_sel:[0,1]
	v_pk_fma_f32 v[182:183], v[176:177], v[172:173], v[180:181] op_sel:[0,0,1] op_sel_hi:[1,1,0] neg_lo:[0,0,1] neg_hi:[0,0,1]
	v_pk_fma_f32 v[176:177], v[176:177], v[172:173], v[180:181] op_sel:[0,0,1] op_sel_hi:[1,0,0]
	v_dual_mul_f32 v180, v179, v175 :: v_dual_mov_b32 v176, v179
	s_delay_alu instid0(VALU_DEP_2) | instskip(NEXT) | instid1(VALU_DEP_2)
	v_dual_mov_b32 v183, v177 :: v_dual_mov_b32 v177, v178
	v_pk_fma_f32 v[180:181], v[178:179], v[26:27], v[180:181] op_sel_hi:[1,1,0] neg_lo:[0,0,1] neg_hi:[0,0,1]
	v_mul_f32_e32 v178, v179, v172
	s_delay_alu instid0(VALU_DEP_3) | instskip(NEXT) | instid1(VALU_DEP_2)
	v_pk_add_f32 v[114:115], v[114:115], v[182:183] neg_lo:[0,1] neg_hi:[0,1]
	v_pk_fma_f32 v[176:177], v[176:177], v[26:27], v[178:179] op_sel_hi:[1,1,0]
	s_delay_alu instid0(VALU_DEP_1) | instskip(SKIP_4) | instid1(VALU_DEP_1)
	v_mov_b32_e32 v181, v177
	ds_load_2addr_b64 v[176:179], v244 offset0:19 offset1:20
	v_pk_add_f32 v[116:117], v[116:117], v[180:181] neg_lo:[0,1] neg_hi:[0,1]
	s_wait_dscnt 0x0
	v_pk_mul_f32 v[180:181], v[176:177], v[174:175] op_sel:[0,1]
	v_pk_fma_f32 v[182:183], v[176:177], v[172:173], v[180:181] op_sel:[0,0,1] op_sel_hi:[1,1,0] neg_lo:[0,0,1] neg_hi:[0,0,1]
	v_pk_fma_f32 v[176:177], v[176:177], v[172:173], v[180:181] op_sel:[0,0,1] op_sel_hi:[1,0,0]
	s_delay_alu instid0(VALU_DEP_1) | instskip(SKIP_1) | instid1(VALU_DEP_1)
	v_mov_b32_e32 v183, v177
	v_pk_mul_f32 v[176:177], v[178:179], v[174:175] op_sel:[0,1]
	v_pk_fma_f32 v[180:181], v[178:179], v[172:173], v[176:177] op_sel:[0,0,1] op_sel_hi:[1,1,0] neg_lo:[0,0,1] neg_hi:[0,0,1]
	v_pk_fma_f32 v[176:177], v[178:179], v[172:173], v[176:177] op_sel:[0,0,1] op_sel_hi:[1,0,0]
	s_delay_alu instid0(VALU_DEP_1)
	v_mov_b32_e32 v181, v177
	ds_load_2addr_b64 v[176:179], v244 offset0:21 offset1:22
	v_pk_add_f32 v[112:113], v[112:113], v[182:183] neg_lo:[0,1] neg_hi:[0,1]
	v_pk_add_f32 v[110:111], v[110:111], v[180:181] neg_lo:[0,1] neg_hi:[0,1]
	s_wait_dscnt 0x0
	v_pk_mul_f32 v[180:181], v[176:177], v[174:175] op_sel:[0,1]
	s_delay_alu instid0(VALU_DEP_1) | instskip(SKIP_1) | instid1(VALU_DEP_1)
	v_pk_fma_f32 v[182:183], v[176:177], v[172:173], v[180:181] op_sel:[0,0,1] op_sel_hi:[1,1,0] neg_lo:[0,0,1] neg_hi:[0,0,1]
	v_pk_fma_f32 v[176:177], v[176:177], v[172:173], v[180:181] op_sel:[0,0,1] op_sel_hi:[1,0,0]
	v_mov_b32_e32 v183, v177
	v_pk_mul_f32 v[176:177], v[178:179], v[174:175] op_sel:[0,1]
	s_delay_alu instid0(VALU_DEP_1) | instskip(SKIP_1) | instid1(VALU_DEP_1)
	v_pk_fma_f32 v[180:181], v[178:179], v[172:173], v[176:177] op_sel:[0,0,1] op_sel_hi:[1,1,0] neg_lo:[0,0,1] neg_hi:[0,0,1]
	v_pk_fma_f32 v[176:177], v[178:179], v[172:173], v[176:177] op_sel:[0,0,1] op_sel_hi:[1,0,0]
	v_mov_b32_e32 v181, v177
	ds_load_2addr_b64 v[176:179], v244 offset0:23 offset1:24
	v_pk_add_f32 v[142:143], v[142:143], v[182:183] neg_lo:[0,1] neg_hi:[0,1]
	v_pk_add_f32 v[144:145], v[144:145], v[180:181] neg_lo:[0,1] neg_hi:[0,1]
	s_wait_dscnt 0x0
	v_dual_mul_f32 v180, v177, v175 :: v_dual_mul_f32 v182, v177, v172
	s_delay_alu instid0(VALU_DEP_1) | instskip(NEXT) | instid1(VALU_DEP_2)
	v_pk_fma_f32 v[180:181], v[176:177], v[26:27], v[180:181] op_sel_hi:[1,1,0] neg_lo:[0,0,1] neg_hi:[0,0,1]
	v_pk_fma_f32 v[176:177], v[176:177], v[26:27], v[182:183] op_sel:[1,0,0] op_sel_hi:[0,1,0]
	s_delay_alu instid0(VALU_DEP_1) | instskip(SKIP_1) | instid1(VALU_DEP_2)
	v_mov_b32_e32 v181, v177
	v_pk_mul_f32 v[176:177], v[178:179], v[174:175] op_sel:[0,1]
	v_pk_add_f32 v[140:141], v[140:141], v[180:181] neg_lo:[0,1] neg_hi:[0,1]
	s_delay_alu instid0(VALU_DEP_2) | instskip(SKIP_1) | instid1(VALU_DEP_1)
	v_pk_fma_f32 v[180:181], v[178:179], v[172:173], v[176:177] op_sel:[0,0,1] op_sel_hi:[1,1,0] neg_lo:[0,0,1] neg_hi:[0,0,1]
	v_pk_fma_f32 v[176:177], v[178:179], v[172:173], v[176:177] op_sel:[0,0,1] op_sel_hi:[1,0,0]
	v_mov_b32_e32 v181, v177
	ds_load_2addr_b64 v[176:179], v244 offset0:25 offset1:26
	v_pk_add_f32 v[100:101], v[100:101], v[180:181] neg_lo:[0,1] neg_hi:[0,1]
	s_wait_dscnt 0x0
	v_pk_mul_f32 v[180:181], v[176:177], v[174:175] op_sel:[0,1]
	s_delay_alu instid0(VALU_DEP_1) | instskip(SKIP_1) | instid1(VALU_DEP_1)
	v_pk_fma_f32 v[182:183], v[176:177], v[172:173], v[180:181] op_sel:[0,0,1] op_sel_hi:[1,1,0] neg_lo:[0,0,1] neg_hi:[0,0,1]
	v_pk_fma_f32 v[176:177], v[176:177], v[172:173], v[180:181] op_sel:[0,0,1] op_sel_hi:[1,0,0]
	v_mov_b32_e32 v183, v177
	v_pk_mul_f32 v[176:177], v[178:179], v[174:175] op_sel:[0,1]
	s_delay_alu instid0(VALU_DEP_2) | instskip(NEXT) | instid1(VALU_DEP_2)
	v_pk_add_f32 v[96:97], v[96:97], v[182:183] neg_lo:[0,1] neg_hi:[0,1]
	v_pk_fma_f32 v[180:181], v[178:179], v[172:173], v[176:177] op_sel:[0,0,1] op_sel_hi:[1,1,0] neg_lo:[0,0,1] neg_hi:[0,0,1]
	v_pk_fma_f32 v[176:177], v[178:179], v[172:173], v[176:177] op_sel:[0,0,1] op_sel_hi:[1,0,0]
	s_delay_alu instid0(VALU_DEP_1) | instskip(SKIP_4) | instid1(VALU_DEP_1)
	v_mov_b32_e32 v181, v177
	ds_load_2addr_b64 v[176:179], v244 offset0:27 offset1:28
	v_pk_add_f32 v[98:99], v[98:99], v[180:181] neg_lo:[0,1] neg_hi:[0,1]
	s_wait_dscnt 0x0
	v_pk_mul_f32 v[180:181], v[176:177], v[174:175] op_sel:[0,1]
	v_pk_fma_f32 v[182:183], v[176:177], v[172:173], v[180:181] op_sel:[0,0,1] op_sel_hi:[1,1,0] neg_lo:[0,0,1] neg_hi:[0,0,1]
	v_pk_fma_f32 v[176:177], v[176:177], v[172:173], v[180:181] op_sel:[0,0,1] op_sel_hi:[1,0,0]
	v_dual_mul_f32 v180, v179, v175 :: v_dual_mov_b32 v176, v179
	s_delay_alu instid0(VALU_DEP_2) | instskip(NEXT) | instid1(VALU_DEP_2)
	v_dual_mov_b32 v183, v177 :: v_dual_mov_b32 v177, v178
	v_pk_fma_f32 v[180:181], v[178:179], v[26:27], v[180:181] op_sel_hi:[1,1,0] neg_lo:[0,0,1] neg_hi:[0,0,1]
	v_mul_f32_e32 v178, v179, v172
	s_delay_alu instid0(VALU_DEP_3) | instskip(NEXT) | instid1(VALU_DEP_2)
	v_pk_add_f32 v[94:95], v[94:95], v[182:183] neg_lo:[0,1] neg_hi:[0,1]
	v_pk_fma_f32 v[176:177], v[176:177], v[26:27], v[178:179] op_sel_hi:[1,1,0]
	s_delay_alu instid0(VALU_DEP_1) | instskip(SKIP_4) | instid1(VALU_DEP_1)
	v_mov_b32_e32 v181, v177
	ds_load_2addr_b64 v[176:179], v244 offset0:29 offset1:30
	v_pk_add_f32 v[128:129], v[128:129], v[180:181] neg_lo:[0,1] neg_hi:[0,1]
	s_wait_dscnt 0x0
	v_pk_mul_f32 v[180:181], v[176:177], v[174:175] op_sel:[0,1]
	v_pk_fma_f32 v[182:183], v[176:177], v[172:173], v[180:181] op_sel:[0,0,1] op_sel_hi:[1,1,0] neg_lo:[0,0,1] neg_hi:[0,0,1]
	v_pk_fma_f32 v[176:177], v[176:177], v[172:173], v[180:181] op_sel:[0,0,1] op_sel_hi:[1,0,0]
	s_delay_alu instid0(VALU_DEP_1) | instskip(SKIP_1) | instid1(VALU_DEP_1)
	v_mov_b32_e32 v183, v177
	v_pk_mul_f32 v[176:177], v[178:179], v[174:175] op_sel:[0,1]
	v_pk_fma_f32 v[180:181], v[178:179], v[172:173], v[176:177] op_sel:[0,0,1] op_sel_hi:[1,1,0] neg_lo:[0,0,1] neg_hi:[0,0,1]
	v_pk_fma_f32 v[176:177], v[178:179], v[172:173], v[176:177] op_sel:[0,0,1] op_sel_hi:[1,0,0]
	s_delay_alu instid0(VALU_DEP_1)
	v_mov_b32_e32 v181, v177
	ds_load_2addr_b64 v[176:179], v244 offset0:31 offset1:32
	v_pk_add_f32 v[124:125], v[124:125], v[182:183] neg_lo:[0,1] neg_hi:[0,1]
	v_pk_add_f32 v[126:127], v[126:127], v[180:181] neg_lo:[0,1] neg_hi:[0,1]
	s_wait_dscnt 0x0
	v_pk_mul_f32 v[180:181], v[176:177], v[174:175] op_sel:[0,1]
	s_delay_alu instid0(VALU_DEP_1) | instskip(SKIP_1) | instid1(VALU_DEP_1)
	v_pk_fma_f32 v[182:183], v[176:177], v[172:173], v[180:181] op_sel:[0,0,1] op_sel_hi:[1,1,0] neg_lo:[0,0,1] neg_hi:[0,0,1]
	v_pk_fma_f32 v[176:177], v[176:177], v[172:173], v[180:181] op_sel:[0,0,1] op_sel_hi:[1,0,0]
	v_mov_b32_e32 v183, v177
	v_pk_mul_f32 v[176:177], v[178:179], v[174:175] op_sel:[0,1]
	s_delay_alu instid0(VALU_DEP_1) | instskip(SKIP_1) | instid1(VALU_DEP_1)
	v_pk_fma_f32 v[180:181], v[178:179], v[172:173], v[176:177] op_sel:[0,0,1] op_sel_hi:[1,1,0] neg_lo:[0,0,1] neg_hi:[0,0,1]
	v_pk_fma_f32 v[176:177], v[178:179], v[172:173], v[176:177] op_sel:[0,0,1] op_sel_hi:[1,0,0]
	v_mov_b32_e32 v181, v177
	ds_load_2addr_b64 v[176:179], v244 offset0:33 offset1:34
	v_pk_add_f32 v[122:123], v[122:123], v[182:183] neg_lo:[0,1] neg_hi:[0,1]
	v_pk_add_f32 v[152:153], v[152:153], v[180:181] neg_lo:[0,1] neg_hi:[0,1]
	s_wait_dscnt 0x0
	v_dual_mul_f32 v180, v177, v175 :: v_dual_mul_f32 v182, v177, v172
	s_delay_alu instid0(VALU_DEP_1) | instskip(NEXT) | instid1(VALU_DEP_2)
	v_pk_fma_f32 v[180:181], v[176:177], v[26:27], v[180:181] op_sel_hi:[1,1,0] neg_lo:[0,0,1] neg_hi:[0,0,1]
	v_pk_fma_f32 v[176:177], v[176:177], v[26:27], v[182:183] op_sel:[1,0,0] op_sel_hi:[0,1,0]
	s_delay_alu instid0(VALU_DEP_1) | instskip(SKIP_1) | instid1(VALU_DEP_2)
	v_mov_b32_e32 v181, v177
	v_pk_mul_f32 v[176:177], v[178:179], v[174:175] op_sel:[0,1]
	v_pk_add_f32 v[148:149], v[148:149], v[180:181] neg_lo:[0,1] neg_hi:[0,1]
	s_delay_alu instid0(VALU_DEP_2) | instskip(SKIP_1) | instid1(VALU_DEP_1)
	v_pk_fma_f32 v[180:181], v[178:179], v[172:173], v[176:177] op_sel:[0,0,1] op_sel_hi:[1,1,0] neg_lo:[0,0,1] neg_hi:[0,0,1]
	v_pk_fma_f32 v[176:177], v[178:179], v[172:173], v[176:177] op_sel:[0,0,1] op_sel_hi:[1,0,0]
	v_mov_b32_e32 v181, v177
	ds_load_2addr_b64 v[176:179], v244 offset0:35 offset1:36
	v_pk_add_f32 v[150:151], v[150:151], v[180:181] neg_lo:[0,1] neg_hi:[0,1]
	s_wait_dscnt 0x0
	v_pk_mul_f32 v[180:181], v[176:177], v[174:175] op_sel:[0,1]
	s_delay_alu instid0(VALU_DEP_1) | instskip(SKIP_1) | instid1(VALU_DEP_1)
	v_pk_fma_f32 v[182:183], v[176:177], v[172:173], v[180:181] op_sel:[0,0,1] op_sel_hi:[1,1,0] neg_lo:[0,0,1] neg_hi:[0,0,1]
	v_pk_fma_f32 v[176:177], v[176:177], v[172:173], v[180:181] op_sel:[0,0,1] op_sel_hi:[1,0,0]
	v_mov_b32_e32 v183, v177
	v_pk_mul_f32 v[176:177], v[178:179], v[174:175] op_sel:[0,1]
	s_delay_alu instid0(VALU_DEP_2) | instskip(NEXT) | instid1(VALU_DEP_2)
	v_pk_add_f32 v[146:147], v[146:147], v[182:183] neg_lo:[0,1] neg_hi:[0,1]
	v_pk_fma_f32 v[180:181], v[178:179], v[172:173], v[176:177] op_sel:[0,0,1] op_sel_hi:[1,1,0] neg_lo:[0,0,1] neg_hi:[0,0,1]
	v_pk_fma_f32 v[176:177], v[178:179], v[172:173], v[176:177] op_sel:[0,0,1] op_sel_hi:[1,0,0]
	s_delay_alu instid0(VALU_DEP_1) | instskip(SKIP_4) | instid1(VALU_DEP_1)
	v_mov_b32_e32 v181, v177
	ds_load_2addr_b64 v[176:179], v244 offset0:37 offset1:38
	v_pk_add_f32 v[158:159], v[158:159], v[180:181] neg_lo:[0,1] neg_hi:[0,1]
	s_wait_dscnt 0x0
	v_pk_mul_f32 v[180:181], v[176:177], v[174:175] op_sel:[0,1]
	v_pk_fma_f32 v[182:183], v[176:177], v[172:173], v[180:181] op_sel:[0,0,1] op_sel_hi:[1,1,0] neg_lo:[0,0,1] neg_hi:[0,0,1]
	v_pk_fma_f32 v[176:177], v[176:177], v[172:173], v[180:181] op_sel:[0,0,1] op_sel_hi:[1,0,0]
	v_dual_mul_f32 v180, v179, v175 :: v_dual_mov_b32 v176, v179
	s_delay_alu instid0(VALU_DEP_2) | instskip(NEXT) | instid1(VALU_DEP_2)
	v_dual_mov_b32 v183, v177 :: v_dual_mov_b32 v177, v178
	v_pk_fma_f32 v[180:181], v[178:179], v[26:27], v[180:181] op_sel_hi:[1,1,0] neg_lo:[0,0,1] neg_hi:[0,0,1]
	v_mul_f32_e32 v178, v179, v172
	s_delay_alu instid0(VALU_DEP_3) | instskip(NEXT) | instid1(VALU_DEP_2)
	v_pk_add_f32 v[156:157], v[156:157], v[182:183] neg_lo:[0,1] neg_hi:[0,1]
	v_pk_fma_f32 v[176:177], v[176:177], v[26:27], v[178:179] op_sel_hi:[1,1,0]
	s_delay_alu instid0(VALU_DEP_1) | instskip(SKIP_4) | instid1(VALU_DEP_1)
	v_mov_b32_e32 v181, v177
	ds_load_b64 v[176:177], v244 offset:312
	v_pk_add_f32 v[154:155], v[154:155], v[180:181] neg_lo:[0,1] neg_hi:[0,1]
	s_wait_dscnt 0x0
	v_pk_mul_f32 v[174:175], v[176:177], v[174:175] op_sel:[0,1]
	v_pk_fma_f32 v[178:179], v[176:177], v[172:173], v[174:175] op_sel:[0,0,1] op_sel_hi:[1,1,0] neg_lo:[0,0,1] neg_hi:[0,0,1]
	v_pk_fma_f32 v[172:173], v[176:177], v[172:173], v[174:175] op_sel:[0,0,1] op_sel_hi:[1,0,0]
	s_delay_alu instid0(VALU_DEP_1) | instskip(NEXT) | instid1(VALU_DEP_1)
	v_mov_b32_e32 v179, v173
	v_pk_add_f32 v[160:161], v[160:161], v[178:179] neg_lo:[0,1] neg_hi:[0,1]
.LBB79_46:
	s_or_b32 exec_lo, exec_lo, s1
	s_delay_alu instid0(SALU_CYCLE_1)
	s_mov_b32 s2, exec_lo
	s_wait_dscnt 0x0
	s_barrier_signal -1
	s_barrier_wait -1
	v_cmpx_eq_u32_e32 5, v242
	s_cbranch_execz .LBB79_53
; %bb.47:
	v_dual_mov_b32 v172, v24 :: v_dual_mov_b32 v173, v25
	v_dual_mov_b32 v174, v60 :: v_dual_mov_b32 v175, v61
	ds_store_b64 v243, v[22:23]
	ds_store_2addr_b64 v244, v[172:173], v[174:175] offset0:6 offset1:7
	v_dual_mov_b32 v172, v74 :: v_dual_mov_b32 v173, v75
	v_dual_mov_b32 v174, v58 :: v_dual_mov_b32 v175, v59
	ds_store_2addr_b64 v244, v[172:173], v[174:175] offset0:8 offset1:9
	v_dual_mov_b32 v172, v72 :: v_dual_mov_b32 v173, v73
	v_dual_mov_b32 v174, v70 :: v_dual_mov_b32 v175, v71
	;; [unrolled: 3-line block ×15, first 2 shown]
	ds_store_2addr_b64 v244, v[172:173], v[174:175] offset0:36 offset1:37
	v_dual_mov_b32 v172, v154 :: v_dual_mov_b32 v173, v155
	ds_store_2addr_b64 v244, v[172:173], v[160:161] offset0:38 offset1:39
	ds_load_b64 v[172:173], v243
	s_wait_dscnt 0x0
	v_cmp_neq_f32_e32 vcc_lo, 0, v172
	v_cmp_neq_f32_e64 s1, 0, v173
	s_or_b32 s1, vcc_lo, s1
	s_delay_alu instid0(SALU_CYCLE_1)
	s_and_b32 exec_lo, exec_lo, s1
	s_cbranch_execz .LBB79_53
; %bb.48:
	v_cmp_ngt_f32_e64 s1, |v172|, |v173|
                                        ; implicit-def: $vgpr174_vgpr175
	s_and_saveexec_b32 s4, s1
	s_delay_alu instid0(SALU_CYCLE_1)
	s_xor_b32 s1, exec_lo, s4
	s_cbranch_execz .LBB79_50
; %bb.49:
	v_div_scale_f32 v0, null, v173, v173, v172
	v_div_scale_f32 v175, vcc_lo, v172, v173, v172
	s_delay_alu instid0(VALU_DEP_2) | instskip(SKIP_1) | instid1(TRANS32_DEP_1)
	v_rcp_f32_e32 v1, v0
	v_nop
	v_fma_f32 v174, -v0, v1, 1.0
	s_delay_alu instid0(VALU_DEP_1) | instskip(NEXT) | instid1(VALU_DEP_1)
	v_fmac_f32_e32 v1, v174, v1
	v_mul_f32_e32 v174, v175, v1
	s_delay_alu instid0(VALU_DEP_1) | instskip(NEXT) | instid1(VALU_DEP_1)
	v_fma_f32 v176, -v0, v174, v175
	v_fmac_f32_e32 v174, v176, v1
	s_delay_alu instid0(VALU_DEP_1) | instskip(NEXT) | instid1(VALU_DEP_1)
	v_fma_f32 v0, -v0, v174, v175
	v_div_fmas_f32 v0, v0, v1, v174
	s_delay_alu instid0(VALU_DEP_1) | instskip(NEXT) | instid1(VALU_DEP_1)
	v_div_fixup_f32 v0, v0, v173, v172
	v_fmac_f32_e32 v173, v172, v0
	s_delay_alu instid0(VALU_DEP_1) | instskip(SKIP_1) | instid1(VALU_DEP_2)
	v_div_scale_f32 v1, null, v173, v173, 1.0
	v_div_scale_f32 v175, vcc_lo, 1.0, v173, 1.0
	v_rcp_f32_e32 v172, v1
	v_nop
	s_delay_alu instid0(TRANS32_DEP_1) | instskip(NEXT) | instid1(VALU_DEP_1)
	v_fma_f32 v174, -v1, v172, 1.0
	v_fmac_f32_e32 v172, v174, v172
	s_delay_alu instid0(VALU_DEP_1) | instskip(NEXT) | instid1(VALU_DEP_1)
	v_mul_f32_e32 v174, v175, v172
	v_fma_f32 v176, -v1, v174, v175
	s_delay_alu instid0(VALU_DEP_1) | instskip(NEXT) | instid1(VALU_DEP_1)
	v_fmac_f32_e32 v174, v176, v172
	v_fma_f32 v1, -v1, v174, v175
	s_delay_alu instid0(VALU_DEP_1) | instskip(NEXT) | instid1(VALU_DEP_1)
	v_div_fmas_f32 v1, v1, v172, v174
	v_div_fixup_f32 v1, v1, v173, 1.0
                                        ; implicit-def: $vgpr172_vgpr173
	s_delay_alu instid0(VALU_DEP_1)
	v_mul_f32_e32 v174, v0, v1
	v_xor_b32_e32 v175, 0x80000000, v1
.LBB79_50:
	s_and_not1_saveexec_b32 s1, s1
	s_cbranch_execz .LBB79_52
; %bb.51:
	v_div_scale_f32 v0, null, v172, v172, v173
	v_div_scale_f32 v175, vcc_lo, v173, v172, v173
	s_delay_alu instid0(VALU_DEP_2) | instskip(SKIP_1) | instid1(TRANS32_DEP_1)
	v_rcp_f32_e32 v1, v0
	v_nop
	v_fma_f32 v174, -v0, v1, 1.0
	s_delay_alu instid0(VALU_DEP_1) | instskip(NEXT) | instid1(VALU_DEP_1)
	v_fmac_f32_e32 v1, v174, v1
	v_mul_f32_e32 v174, v175, v1
	s_delay_alu instid0(VALU_DEP_1) | instskip(NEXT) | instid1(VALU_DEP_1)
	v_fma_f32 v176, -v0, v174, v175
	v_fmac_f32_e32 v174, v176, v1
	s_delay_alu instid0(VALU_DEP_1) | instskip(NEXT) | instid1(VALU_DEP_1)
	v_fma_f32 v0, -v0, v174, v175
	v_div_fmas_f32 v0, v0, v1, v174
	s_delay_alu instid0(VALU_DEP_1) | instskip(NEXT) | instid1(VALU_DEP_1)
	v_div_fixup_f32 v0, v0, v172, v173
	v_fmac_f32_e32 v172, v173, v0
	s_delay_alu instid0(VALU_DEP_1) | instskip(NEXT) | instid1(VALU_DEP_1)
	v_div_scale_f32 v1, null, v172, v172, 1.0
	v_rcp_f32_e32 v173, v1
	v_nop
	s_delay_alu instid0(TRANS32_DEP_1) | instskip(NEXT) | instid1(VALU_DEP_1)
	v_fma_f32 v174, -v1, v173, 1.0
	v_fmac_f32_e32 v173, v174, v173
	v_div_scale_f32 v174, vcc_lo, 1.0, v172, 1.0
	s_delay_alu instid0(VALU_DEP_1) | instskip(NEXT) | instid1(VALU_DEP_1)
	v_mul_f32_e32 v175, v174, v173
	v_fma_f32 v176, -v1, v175, v174
	s_delay_alu instid0(VALU_DEP_1) | instskip(NEXT) | instid1(VALU_DEP_1)
	v_fmac_f32_e32 v175, v176, v173
	v_fma_f32 v1, -v1, v175, v174
	s_delay_alu instid0(VALU_DEP_1) | instskip(NEXT) | instid1(VALU_DEP_1)
	v_div_fmas_f32 v1, v1, v173, v175
	v_div_fixup_f32 v174, v1, v172, 1.0
	s_delay_alu instid0(VALU_DEP_1)
	v_mul_f32_e64 v175, v0, -v174
.LBB79_52:
	s_or_b32 exec_lo, exec_lo, s1
	ds_store_b64 v243, v[174:175]
.LBB79_53:
	s_or_b32 exec_lo, exec_lo, s2
	s_wait_dscnt 0x0
	s_barrier_signal -1
	s_barrier_wait -1
	ds_load_b64 v[172:173], v243
	s_mov_b32 s1, exec_lo
	v_cmpx_lt_u32_e32 5, v242
	s_cbranch_execz .LBB79_55
; %bb.54:
	ds_load_2addr_b64 v[178:181], v244 offset0:6 offset1:7
	s_wait_dscnt 0x1
	v_pk_mul_f32 v[176:177], v[172:173], v[22:23] op_sel:[1,1] op_sel_hi:[0,1]
	s_delay_alu instid0(VALU_DEP_1) | instskip(SKIP_1) | instid1(VALU_DEP_1)
	v_pk_fma_f32 v[174:175], v[172:173], v[22:23], v[176:177] op_sel_hi:[1,0,1] neg_lo:[0,0,1] neg_hi:[0,0,1]
	v_pk_fma_f32 v[176:177], v[172:173], v[22:23], v[176:177] op_sel_hi:[1,0,1]
	v_dual_mov_b32 v22, v174 :: v_dual_mov_b32 v23, v177
	s_wait_dscnt 0x0
	s_delay_alu instid0(VALU_DEP_2) | instskip(NEXT) | instid1(VALU_DEP_1)
	v_pk_mul_f32 v[182:183], v[178:179], v[176:177] op_sel:[0,1]
	v_pk_fma_f32 v[184:185], v[178:179], v[174:175], v[182:183] op_sel:[0,0,1] op_sel_hi:[1,1,0] neg_lo:[0,0,1] neg_hi:[0,0,1]
	v_pk_fma_f32 v[178:179], v[178:179], v[174:175], v[182:183] op_sel:[0,0,1] op_sel_hi:[1,0,0]
	s_delay_alu instid0(VALU_DEP_1) | instskip(SKIP_1) | instid1(VALU_DEP_1)
	v_mov_b32_e32 v185, v179
	v_pk_mul_f32 v[178:179], v[180:181], v[176:177] op_sel:[0,1]
	v_pk_fma_f32 v[182:183], v[180:181], v[174:175], v[178:179] op_sel:[0,0,1] op_sel_hi:[1,1,0] neg_lo:[0,0,1] neg_hi:[0,0,1]
	v_pk_fma_f32 v[178:179], v[180:181], v[174:175], v[178:179] op_sel:[0,0,1] op_sel_hi:[1,0,0]
	s_delay_alu instid0(VALU_DEP_1)
	v_mov_b32_e32 v183, v179
	ds_load_2addr_b64 v[178:181], v244 offset0:8 offset1:9
	v_pk_add_f32 v[24:25], v[24:25], v[184:185] neg_lo:[0,1] neg_hi:[0,1]
	v_pk_add_f32 v[60:61], v[60:61], v[182:183] neg_lo:[0,1] neg_hi:[0,1]
	s_wait_dscnt 0x0
	v_pk_mul_f32 v[182:183], v[178:179], v[176:177] op_sel:[0,1]
	s_delay_alu instid0(VALU_DEP_1) | instskip(SKIP_2) | instid1(VALU_DEP_2)
	v_pk_fma_f32 v[184:185], v[178:179], v[174:175], v[182:183] op_sel:[0,0,1] op_sel_hi:[1,1,0] neg_lo:[0,0,1] neg_hi:[0,0,1]
	v_pk_fma_f32 v[178:179], v[178:179], v[174:175], v[182:183] op_sel:[0,0,1] op_sel_hi:[1,0,0]
	v_dual_mul_f32 v182, v181, v177 :: v_dual_mov_b32 v178, v181
	v_dual_mov_b32 v185, v179 :: v_dual_mov_b32 v179, v180
	s_delay_alu instid0(VALU_DEP_2) | instskip(SKIP_1) | instid1(VALU_DEP_3)
	v_pk_fma_f32 v[182:183], v[180:181], v[22:23], v[182:183] op_sel_hi:[1,1,0] neg_lo:[0,0,1] neg_hi:[0,0,1]
	v_mul_f32_e32 v180, v181, v174
	v_pk_add_f32 v[74:75], v[74:75], v[184:185] neg_lo:[0,1] neg_hi:[0,1]
	s_delay_alu instid0(VALU_DEP_2) | instskip(NEXT) | instid1(VALU_DEP_1)
	v_pk_fma_f32 v[178:179], v[178:179], v[22:23], v[180:181] op_sel_hi:[1,1,0]
	v_mov_b32_e32 v183, v179
	ds_load_2addr_b64 v[178:181], v244 offset0:10 offset1:11
	v_pk_add_f32 v[58:59], v[58:59], v[182:183] neg_lo:[0,1] neg_hi:[0,1]
	s_wait_dscnt 0x0
	v_pk_mul_f32 v[182:183], v[178:179], v[176:177] op_sel:[0,1]
	s_delay_alu instid0(VALU_DEP_1) | instskip(SKIP_1) | instid1(VALU_DEP_1)
	v_pk_fma_f32 v[184:185], v[178:179], v[174:175], v[182:183] op_sel:[0,0,1] op_sel_hi:[1,1,0] neg_lo:[0,0,1] neg_hi:[0,0,1]
	v_pk_fma_f32 v[178:179], v[178:179], v[174:175], v[182:183] op_sel:[0,0,1] op_sel_hi:[1,0,0]
	v_mov_b32_e32 v185, v179
	v_pk_mul_f32 v[178:179], v[180:181], v[176:177] op_sel:[0,1]
	s_delay_alu instid0(VALU_DEP_1) | instskip(SKIP_1) | instid1(VALU_DEP_1)
	v_pk_fma_f32 v[182:183], v[180:181], v[174:175], v[178:179] op_sel:[0,0,1] op_sel_hi:[1,1,0] neg_lo:[0,0,1] neg_hi:[0,0,1]
	v_pk_fma_f32 v[178:179], v[180:181], v[174:175], v[178:179] op_sel:[0,0,1] op_sel_hi:[1,0,0]
	v_mov_b32_e32 v183, v179
	ds_load_2addr_b64 v[178:181], v244 offset0:12 offset1:13
	v_pk_add_f32 v[72:73], v[72:73], v[184:185] neg_lo:[0,1] neg_hi:[0,1]
	v_pk_add_f32 v[70:71], v[70:71], v[182:183] neg_lo:[0,1] neg_hi:[0,1]
	s_wait_dscnt 0x0
	v_pk_mul_f32 v[182:183], v[178:179], v[176:177] op_sel:[0,1]
	s_delay_alu instid0(VALU_DEP_1) | instskip(SKIP_1) | instid1(VALU_DEP_1)
	v_pk_fma_f32 v[184:185], v[178:179], v[174:175], v[182:183] op_sel:[0,0,1] op_sel_hi:[1,1,0] neg_lo:[0,0,1] neg_hi:[0,0,1]
	v_pk_fma_f32 v[178:179], v[178:179], v[174:175], v[182:183] op_sel:[0,0,1] op_sel_hi:[1,0,0]
	v_mov_b32_e32 v185, v179
	v_pk_mul_f32 v[178:179], v[180:181], v[176:177] op_sel:[0,1]
	s_delay_alu instid0(VALU_DEP_1) | instskip(SKIP_1) | instid1(VALU_DEP_1)
	v_pk_fma_f32 v[182:183], v[180:181], v[174:175], v[178:179] op_sel:[0,0,1] op_sel_hi:[1,1,0] neg_lo:[0,0,1] neg_hi:[0,0,1]
	v_pk_fma_f32 v[178:179], v[180:181], v[174:175], v[178:179] op_sel:[0,0,1] op_sel_hi:[1,0,0]
	v_mov_b32_e32 v183, v179
	ds_load_2addr_b64 v[178:181], v244 offset0:14 offset1:15
	v_pk_add_f32 v[92:93], v[92:93], v[184:185] neg_lo:[0,1] neg_hi:[0,1]
	v_pk_add_f32 v[88:89], v[88:89], v[182:183] neg_lo:[0,1] neg_hi:[0,1]
	s_wait_dscnt 0x0
	v_dual_mul_f32 v182, v179, v177 :: v_dual_mul_f32 v184, v179, v174
	s_delay_alu instid0(VALU_DEP_1) | instskip(NEXT) | instid1(VALU_DEP_2)
	v_pk_fma_f32 v[182:183], v[178:179], v[22:23], v[182:183] op_sel_hi:[1,1,0] neg_lo:[0,0,1] neg_hi:[0,0,1]
	v_pk_fma_f32 v[178:179], v[178:179], v[22:23], v[184:185] op_sel:[1,0,0] op_sel_hi:[0,1,0]
	s_delay_alu instid0(VALU_DEP_1) | instskip(SKIP_1) | instid1(VALU_DEP_2)
	v_mov_b32_e32 v183, v179
	v_pk_mul_f32 v[178:179], v[180:181], v[176:177] op_sel:[0,1]
	v_pk_add_f32 v[90:91], v[90:91], v[182:183] neg_lo:[0,1] neg_hi:[0,1]
	s_delay_alu instid0(VALU_DEP_2) | instskip(SKIP_1) | instid1(VALU_DEP_1)
	v_pk_fma_f32 v[182:183], v[180:181], v[174:175], v[178:179] op_sel:[0,0,1] op_sel_hi:[1,1,0] neg_lo:[0,0,1] neg_hi:[0,0,1]
	v_pk_fma_f32 v[178:179], v[180:181], v[174:175], v[178:179] op_sel:[0,0,1] op_sel_hi:[1,0,0]
	v_mov_b32_e32 v183, v179
	ds_load_2addr_b64 v[178:181], v244 offset0:16 offset1:17
	v_pk_add_f32 v[86:87], v[86:87], v[182:183] neg_lo:[0,1] neg_hi:[0,1]
	s_wait_dscnt 0x0
	v_pk_mul_f32 v[182:183], v[178:179], v[176:177] op_sel:[0,1]
	s_delay_alu instid0(VALU_DEP_1) | instskip(SKIP_1) | instid1(VALU_DEP_1)
	v_pk_fma_f32 v[184:185], v[178:179], v[174:175], v[182:183] op_sel:[0,0,1] op_sel_hi:[1,1,0] neg_lo:[0,0,1] neg_hi:[0,0,1]
	v_pk_fma_f32 v[178:179], v[178:179], v[174:175], v[182:183] op_sel:[0,0,1] op_sel_hi:[1,0,0]
	v_mov_b32_e32 v185, v179
	v_pk_mul_f32 v[178:179], v[180:181], v[176:177] op_sel:[0,1]
	s_delay_alu instid0(VALU_DEP_2) | instskip(NEXT) | instid1(VALU_DEP_2)
	v_pk_add_f32 v[84:85], v[84:85], v[184:185] neg_lo:[0,1] neg_hi:[0,1]
	v_pk_fma_f32 v[182:183], v[180:181], v[174:175], v[178:179] op_sel:[0,0,1] op_sel_hi:[1,1,0] neg_lo:[0,0,1] neg_hi:[0,0,1]
	v_pk_fma_f32 v[178:179], v[180:181], v[174:175], v[178:179] op_sel:[0,0,1] op_sel_hi:[1,0,0]
	s_delay_alu instid0(VALU_DEP_1) | instskip(SKIP_4) | instid1(VALU_DEP_1)
	v_mov_b32_e32 v183, v179
	ds_load_2addr_b64 v[178:181], v244 offset0:18 offset1:19
	v_pk_add_f32 v[114:115], v[114:115], v[182:183] neg_lo:[0,1] neg_hi:[0,1]
	s_wait_dscnt 0x0
	v_pk_mul_f32 v[182:183], v[178:179], v[176:177] op_sel:[0,1]
	v_pk_fma_f32 v[184:185], v[178:179], v[174:175], v[182:183] op_sel:[0,0,1] op_sel_hi:[1,1,0] neg_lo:[0,0,1] neg_hi:[0,0,1]
	v_pk_fma_f32 v[178:179], v[178:179], v[174:175], v[182:183] op_sel:[0,0,1] op_sel_hi:[1,0,0]
	v_dual_mul_f32 v182, v181, v177 :: v_dual_mov_b32 v178, v181
	s_delay_alu instid0(VALU_DEP_2) | instskip(NEXT) | instid1(VALU_DEP_2)
	v_dual_mov_b32 v185, v179 :: v_dual_mov_b32 v179, v180
	v_pk_fma_f32 v[182:183], v[180:181], v[22:23], v[182:183] op_sel_hi:[1,1,0] neg_lo:[0,0,1] neg_hi:[0,0,1]
	v_mul_f32_e32 v180, v181, v174
	s_delay_alu instid0(VALU_DEP_3) | instskip(NEXT) | instid1(VALU_DEP_2)
	v_pk_add_f32 v[116:117], v[116:117], v[184:185] neg_lo:[0,1] neg_hi:[0,1]
	v_pk_fma_f32 v[178:179], v[178:179], v[22:23], v[180:181] op_sel_hi:[1,1,0]
	s_delay_alu instid0(VALU_DEP_1) | instskip(SKIP_4) | instid1(VALU_DEP_1)
	v_mov_b32_e32 v183, v179
	ds_load_2addr_b64 v[178:181], v244 offset0:20 offset1:21
	v_pk_add_f32 v[112:113], v[112:113], v[182:183] neg_lo:[0,1] neg_hi:[0,1]
	s_wait_dscnt 0x0
	v_pk_mul_f32 v[182:183], v[178:179], v[176:177] op_sel:[0,1]
	v_pk_fma_f32 v[184:185], v[178:179], v[174:175], v[182:183] op_sel:[0,0,1] op_sel_hi:[1,1,0] neg_lo:[0,0,1] neg_hi:[0,0,1]
	v_pk_fma_f32 v[178:179], v[178:179], v[174:175], v[182:183] op_sel:[0,0,1] op_sel_hi:[1,0,0]
	s_delay_alu instid0(VALU_DEP_1) | instskip(SKIP_1) | instid1(VALU_DEP_1)
	v_mov_b32_e32 v185, v179
	v_pk_mul_f32 v[178:179], v[180:181], v[176:177] op_sel:[0,1]
	v_pk_fma_f32 v[182:183], v[180:181], v[174:175], v[178:179] op_sel:[0,0,1] op_sel_hi:[1,1,0] neg_lo:[0,0,1] neg_hi:[0,0,1]
	v_pk_fma_f32 v[178:179], v[180:181], v[174:175], v[178:179] op_sel:[0,0,1] op_sel_hi:[1,0,0]
	s_delay_alu instid0(VALU_DEP_1)
	v_mov_b32_e32 v183, v179
	ds_load_2addr_b64 v[178:181], v244 offset0:22 offset1:23
	v_pk_add_f32 v[110:111], v[110:111], v[184:185] neg_lo:[0,1] neg_hi:[0,1]
	v_pk_add_f32 v[142:143], v[142:143], v[182:183] neg_lo:[0,1] neg_hi:[0,1]
	s_wait_dscnt 0x0
	v_pk_mul_f32 v[182:183], v[178:179], v[176:177] op_sel:[0,1]
	s_delay_alu instid0(VALU_DEP_1) | instskip(SKIP_1) | instid1(VALU_DEP_1)
	v_pk_fma_f32 v[184:185], v[178:179], v[174:175], v[182:183] op_sel:[0,0,1] op_sel_hi:[1,1,0] neg_lo:[0,0,1] neg_hi:[0,0,1]
	v_pk_fma_f32 v[178:179], v[178:179], v[174:175], v[182:183] op_sel:[0,0,1] op_sel_hi:[1,0,0]
	v_mov_b32_e32 v185, v179
	v_pk_mul_f32 v[178:179], v[180:181], v[176:177] op_sel:[0,1]
	s_delay_alu instid0(VALU_DEP_1) | instskip(SKIP_1) | instid1(VALU_DEP_1)
	v_pk_fma_f32 v[182:183], v[180:181], v[174:175], v[178:179] op_sel:[0,0,1] op_sel_hi:[1,1,0] neg_lo:[0,0,1] neg_hi:[0,0,1]
	v_pk_fma_f32 v[178:179], v[180:181], v[174:175], v[178:179] op_sel:[0,0,1] op_sel_hi:[1,0,0]
	v_mov_b32_e32 v183, v179
	ds_load_2addr_b64 v[178:181], v244 offset0:24 offset1:25
	v_pk_add_f32 v[144:145], v[144:145], v[184:185] neg_lo:[0,1] neg_hi:[0,1]
	v_pk_add_f32 v[140:141], v[140:141], v[182:183] neg_lo:[0,1] neg_hi:[0,1]
	s_wait_dscnt 0x0
	v_dual_mul_f32 v182, v179, v177 :: v_dual_mul_f32 v184, v179, v174
	s_delay_alu instid0(VALU_DEP_1) | instskip(NEXT) | instid1(VALU_DEP_2)
	v_pk_fma_f32 v[182:183], v[178:179], v[22:23], v[182:183] op_sel_hi:[1,1,0] neg_lo:[0,0,1] neg_hi:[0,0,1]
	v_pk_fma_f32 v[178:179], v[178:179], v[22:23], v[184:185] op_sel:[1,0,0] op_sel_hi:[0,1,0]
	s_delay_alu instid0(VALU_DEP_1) | instskip(SKIP_1) | instid1(VALU_DEP_2)
	v_mov_b32_e32 v183, v179
	v_pk_mul_f32 v[178:179], v[180:181], v[176:177] op_sel:[0,1]
	v_pk_add_f32 v[100:101], v[100:101], v[182:183] neg_lo:[0,1] neg_hi:[0,1]
	s_delay_alu instid0(VALU_DEP_2) | instskip(SKIP_1) | instid1(VALU_DEP_1)
	v_pk_fma_f32 v[182:183], v[180:181], v[174:175], v[178:179] op_sel:[0,0,1] op_sel_hi:[1,1,0] neg_lo:[0,0,1] neg_hi:[0,0,1]
	v_pk_fma_f32 v[178:179], v[180:181], v[174:175], v[178:179] op_sel:[0,0,1] op_sel_hi:[1,0,0]
	v_mov_b32_e32 v183, v179
	ds_load_2addr_b64 v[178:181], v244 offset0:26 offset1:27
	v_pk_add_f32 v[96:97], v[96:97], v[182:183] neg_lo:[0,1] neg_hi:[0,1]
	s_wait_dscnt 0x0
	v_pk_mul_f32 v[182:183], v[178:179], v[176:177] op_sel:[0,1]
	s_delay_alu instid0(VALU_DEP_1) | instskip(SKIP_1) | instid1(VALU_DEP_1)
	v_pk_fma_f32 v[184:185], v[178:179], v[174:175], v[182:183] op_sel:[0,0,1] op_sel_hi:[1,1,0] neg_lo:[0,0,1] neg_hi:[0,0,1]
	v_pk_fma_f32 v[178:179], v[178:179], v[174:175], v[182:183] op_sel:[0,0,1] op_sel_hi:[1,0,0]
	v_mov_b32_e32 v185, v179
	v_pk_mul_f32 v[178:179], v[180:181], v[176:177] op_sel:[0,1]
	s_delay_alu instid0(VALU_DEP_2) | instskip(NEXT) | instid1(VALU_DEP_2)
	v_pk_add_f32 v[98:99], v[98:99], v[184:185] neg_lo:[0,1] neg_hi:[0,1]
	v_pk_fma_f32 v[182:183], v[180:181], v[174:175], v[178:179] op_sel:[0,0,1] op_sel_hi:[1,1,0] neg_lo:[0,0,1] neg_hi:[0,0,1]
	v_pk_fma_f32 v[178:179], v[180:181], v[174:175], v[178:179] op_sel:[0,0,1] op_sel_hi:[1,0,0]
	s_delay_alu instid0(VALU_DEP_1) | instskip(SKIP_4) | instid1(VALU_DEP_1)
	v_mov_b32_e32 v183, v179
	ds_load_2addr_b64 v[178:181], v244 offset0:28 offset1:29
	v_pk_add_f32 v[94:95], v[94:95], v[182:183] neg_lo:[0,1] neg_hi:[0,1]
	s_wait_dscnt 0x0
	v_pk_mul_f32 v[182:183], v[178:179], v[176:177] op_sel:[0,1]
	v_pk_fma_f32 v[184:185], v[178:179], v[174:175], v[182:183] op_sel:[0,0,1] op_sel_hi:[1,1,0] neg_lo:[0,0,1] neg_hi:[0,0,1]
	v_pk_fma_f32 v[178:179], v[178:179], v[174:175], v[182:183] op_sel:[0,0,1] op_sel_hi:[1,0,0]
	v_dual_mul_f32 v182, v181, v177 :: v_dual_mov_b32 v178, v181
	s_delay_alu instid0(VALU_DEP_2) | instskip(NEXT) | instid1(VALU_DEP_2)
	v_dual_mov_b32 v185, v179 :: v_dual_mov_b32 v179, v180
	v_pk_fma_f32 v[182:183], v[180:181], v[22:23], v[182:183] op_sel_hi:[1,1,0] neg_lo:[0,0,1] neg_hi:[0,0,1]
	v_mul_f32_e32 v180, v181, v174
	s_delay_alu instid0(VALU_DEP_3) | instskip(NEXT) | instid1(VALU_DEP_2)
	v_pk_add_f32 v[128:129], v[128:129], v[184:185] neg_lo:[0,1] neg_hi:[0,1]
	v_pk_fma_f32 v[178:179], v[178:179], v[22:23], v[180:181] op_sel_hi:[1,1,0]
	s_delay_alu instid0(VALU_DEP_1) | instskip(SKIP_4) | instid1(VALU_DEP_1)
	v_mov_b32_e32 v183, v179
	ds_load_2addr_b64 v[178:181], v244 offset0:30 offset1:31
	v_pk_add_f32 v[124:125], v[124:125], v[182:183] neg_lo:[0,1] neg_hi:[0,1]
	s_wait_dscnt 0x0
	v_pk_mul_f32 v[182:183], v[178:179], v[176:177] op_sel:[0,1]
	v_pk_fma_f32 v[184:185], v[178:179], v[174:175], v[182:183] op_sel:[0,0,1] op_sel_hi:[1,1,0] neg_lo:[0,0,1] neg_hi:[0,0,1]
	v_pk_fma_f32 v[178:179], v[178:179], v[174:175], v[182:183] op_sel:[0,0,1] op_sel_hi:[1,0,0]
	s_delay_alu instid0(VALU_DEP_1) | instskip(SKIP_1) | instid1(VALU_DEP_1)
	v_mov_b32_e32 v185, v179
	v_pk_mul_f32 v[178:179], v[180:181], v[176:177] op_sel:[0,1]
	v_pk_fma_f32 v[182:183], v[180:181], v[174:175], v[178:179] op_sel:[0,0,1] op_sel_hi:[1,1,0] neg_lo:[0,0,1] neg_hi:[0,0,1]
	v_pk_fma_f32 v[178:179], v[180:181], v[174:175], v[178:179] op_sel:[0,0,1] op_sel_hi:[1,0,0]
	s_delay_alu instid0(VALU_DEP_1)
	v_mov_b32_e32 v183, v179
	ds_load_2addr_b64 v[178:181], v244 offset0:32 offset1:33
	v_pk_add_f32 v[126:127], v[126:127], v[184:185] neg_lo:[0,1] neg_hi:[0,1]
	v_pk_add_f32 v[122:123], v[122:123], v[182:183] neg_lo:[0,1] neg_hi:[0,1]
	s_wait_dscnt 0x0
	v_pk_mul_f32 v[182:183], v[178:179], v[176:177] op_sel:[0,1]
	s_delay_alu instid0(VALU_DEP_1) | instskip(SKIP_1) | instid1(VALU_DEP_1)
	v_pk_fma_f32 v[184:185], v[178:179], v[174:175], v[182:183] op_sel:[0,0,1] op_sel_hi:[1,1,0] neg_lo:[0,0,1] neg_hi:[0,0,1]
	v_pk_fma_f32 v[178:179], v[178:179], v[174:175], v[182:183] op_sel:[0,0,1] op_sel_hi:[1,0,0]
	v_mov_b32_e32 v185, v179
	v_pk_mul_f32 v[178:179], v[180:181], v[176:177] op_sel:[0,1]
	s_delay_alu instid0(VALU_DEP_1) | instskip(SKIP_1) | instid1(VALU_DEP_1)
	v_pk_fma_f32 v[182:183], v[180:181], v[174:175], v[178:179] op_sel:[0,0,1] op_sel_hi:[1,1,0] neg_lo:[0,0,1] neg_hi:[0,0,1]
	v_pk_fma_f32 v[178:179], v[180:181], v[174:175], v[178:179] op_sel:[0,0,1] op_sel_hi:[1,0,0]
	v_mov_b32_e32 v183, v179
	ds_load_2addr_b64 v[178:181], v244 offset0:34 offset1:35
	v_pk_add_f32 v[152:153], v[152:153], v[184:185] neg_lo:[0,1] neg_hi:[0,1]
	v_pk_add_f32 v[148:149], v[148:149], v[182:183] neg_lo:[0,1] neg_hi:[0,1]
	s_wait_dscnt 0x0
	v_dual_mul_f32 v182, v179, v177 :: v_dual_mul_f32 v184, v179, v174
	s_delay_alu instid0(VALU_DEP_1) | instskip(NEXT) | instid1(VALU_DEP_2)
	v_pk_fma_f32 v[182:183], v[178:179], v[22:23], v[182:183] op_sel_hi:[1,1,0] neg_lo:[0,0,1] neg_hi:[0,0,1]
	v_pk_fma_f32 v[178:179], v[178:179], v[22:23], v[184:185] op_sel:[1,0,0] op_sel_hi:[0,1,0]
	s_delay_alu instid0(VALU_DEP_1) | instskip(SKIP_1) | instid1(VALU_DEP_2)
	v_mov_b32_e32 v183, v179
	v_pk_mul_f32 v[178:179], v[180:181], v[176:177] op_sel:[0,1]
	v_pk_add_f32 v[150:151], v[150:151], v[182:183] neg_lo:[0,1] neg_hi:[0,1]
	s_delay_alu instid0(VALU_DEP_2) | instskip(SKIP_1) | instid1(VALU_DEP_1)
	v_pk_fma_f32 v[182:183], v[180:181], v[174:175], v[178:179] op_sel:[0,0,1] op_sel_hi:[1,1,0] neg_lo:[0,0,1] neg_hi:[0,0,1]
	v_pk_fma_f32 v[178:179], v[180:181], v[174:175], v[178:179] op_sel:[0,0,1] op_sel_hi:[1,0,0]
	v_mov_b32_e32 v183, v179
	ds_load_2addr_b64 v[178:181], v244 offset0:36 offset1:37
	v_pk_add_f32 v[146:147], v[146:147], v[182:183] neg_lo:[0,1] neg_hi:[0,1]
	s_wait_dscnt 0x0
	v_pk_mul_f32 v[182:183], v[178:179], v[176:177] op_sel:[0,1]
	s_delay_alu instid0(VALU_DEP_1) | instskip(SKIP_1) | instid1(VALU_DEP_1)
	v_pk_fma_f32 v[184:185], v[178:179], v[174:175], v[182:183] op_sel:[0,0,1] op_sel_hi:[1,1,0] neg_lo:[0,0,1] neg_hi:[0,0,1]
	v_pk_fma_f32 v[178:179], v[178:179], v[174:175], v[182:183] op_sel:[0,0,1] op_sel_hi:[1,0,0]
	v_mov_b32_e32 v185, v179
	v_pk_mul_f32 v[178:179], v[180:181], v[176:177] op_sel:[0,1]
	s_delay_alu instid0(VALU_DEP_2) | instskip(NEXT) | instid1(VALU_DEP_2)
	v_pk_add_f32 v[158:159], v[158:159], v[184:185] neg_lo:[0,1] neg_hi:[0,1]
	v_pk_fma_f32 v[182:183], v[180:181], v[174:175], v[178:179] op_sel:[0,0,1] op_sel_hi:[1,1,0] neg_lo:[0,0,1] neg_hi:[0,0,1]
	v_pk_fma_f32 v[178:179], v[180:181], v[174:175], v[178:179] op_sel:[0,0,1] op_sel_hi:[1,0,0]
	s_delay_alu instid0(VALU_DEP_1)
	v_mov_b32_e32 v183, v179
	ds_load_2addr_b64 v[178:181], v244 offset0:38 offset1:39
	v_pk_add_f32 v[156:157], v[156:157], v[182:183] neg_lo:[0,1] neg_hi:[0,1]
	s_wait_dscnt 0x0
	v_pk_mul_f32 v[182:183], v[178:179], v[176:177] op_sel:[0,1]
	v_pk_mul_f32 v[176:177], v[180:181], v[176:177] op_sel:[0,1]
	s_delay_alu instid0(VALU_DEP_2) | instskip(SKIP_1) | instid1(VALU_DEP_1)
	v_pk_fma_f32 v[184:185], v[178:179], v[174:175], v[182:183] op_sel:[0,0,1] op_sel_hi:[1,1,0] neg_lo:[0,0,1] neg_hi:[0,0,1]
	v_pk_fma_f32 v[178:179], v[178:179], v[174:175], v[182:183] op_sel:[0,0,1] op_sel_hi:[1,0,0]
	v_mov_b32_e32 v185, v179
	s_delay_alu instid0(VALU_DEP_4) | instskip(SKIP_1) | instid1(VALU_DEP_3)
	v_pk_fma_f32 v[178:179], v[180:181], v[174:175], v[176:177] op_sel:[0,0,1] op_sel_hi:[1,1,0] neg_lo:[0,0,1] neg_hi:[0,0,1]
	v_pk_fma_f32 v[174:175], v[180:181], v[174:175], v[176:177] op_sel:[0,0,1] op_sel_hi:[1,0,0]
	v_pk_add_f32 v[154:155], v[154:155], v[184:185] neg_lo:[0,1] neg_hi:[0,1]
	s_delay_alu instid0(VALU_DEP_2) | instskip(NEXT) | instid1(VALU_DEP_1)
	v_mov_b32_e32 v179, v175
	v_pk_add_f32 v[160:161], v[160:161], v[178:179] neg_lo:[0,1] neg_hi:[0,1]
.LBB79_55:
	s_or_b32 exec_lo, exec_lo, s1
	s_delay_alu instid0(SALU_CYCLE_1)
	s_mov_b32 s2, exec_lo
	s_wait_dscnt 0x0
	s_barrier_signal -1
	s_barrier_wait -1
	v_cmpx_eq_u32_e32 6, v242
	s_cbranch_execz .LBB79_62
; %bb.56:
	ds_store_b64 v243, v[24:25]
	ds_store_2addr_b64 v244, v[60:61], v[74:75] offset0:7 offset1:8
	ds_store_2addr_b64 v244, v[58:59], v[72:73] offset0:9 offset1:10
	;; [unrolled: 1-line block ×16, first 2 shown]
	ds_store_b64 v244, v[160:161] offset:312
	ds_load_b64 v[174:175], v243
	s_wait_dscnt 0x0
	v_cmp_neq_f32_e32 vcc_lo, 0, v174
	v_cmp_neq_f32_e64 s1, 0, v175
	s_or_b32 s1, vcc_lo, s1
	s_delay_alu instid0(SALU_CYCLE_1)
	s_and_b32 exec_lo, exec_lo, s1
	s_cbranch_execz .LBB79_62
; %bb.57:
	v_cmp_ngt_f32_e64 s1, |v174|, |v175|
                                        ; implicit-def: $vgpr176_vgpr177
	s_and_saveexec_b32 s4, s1
	s_delay_alu instid0(SALU_CYCLE_1)
	s_xor_b32 s1, exec_lo, s4
	s_cbranch_execz .LBB79_59
; %bb.58:
	v_div_scale_f32 v0, null, v175, v175, v174
	v_div_scale_f32 v177, vcc_lo, v174, v175, v174
	s_delay_alu instid0(VALU_DEP_2) | instskip(SKIP_1) | instid1(TRANS32_DEP_1)
	v_rcp_f32_e32 v1, v0
	v_nop
	v_fma_f32 v176, -v0, v1, 1.0
	s_delay_alu instid0(VALU_DEP_1) | instskip(NEXT) | instid1(VALU_DEP_1)
	v_fmac_f32_e32 v1, v176, v1
	v_mul_f32_e32 v176, v177, v1
	s_delay_alu instid0(VALU_DEP_1) | instskip(NEXT) | instid1(VALU_DEP_1)
	v_fma_f32 v178, -v0, v176, v177
	v_fmac_f32_e32 v176, v178, v1
	s_delay_alu instid0(VALU_DEP_1) | instskip(NEXT) | instid1(VALU_DEP_1)
	v_fma_f32 v0, -v0, v176, v177
	v_div_fmas_f32 v0, v0, v1, v176
	s_delay_alu instid0(VALU_DEP_1) | instskip(NEXT) | instid1(VALU_DEP_1)
	v_div_fixup_f32 v0, v0, v175, v174
	v_fmac_f32_e32 v175, v174, v0
	s_delay_alu instid0(VALU_DEP_1) | instskip(SKIP_1) | instid1(VALU_DEP_2)
	v_div_scale_f32 v1, null, v175, v175, 1.0
	v_div_scale_f32 v177, vcc_lo, 1.0, v175, 1.0
	v_rcp_f32_e32 v174, v1
	v_nop
	s_delay_alu instid0(TRANS32_DEP_1) | instskip(NEXT) | instid1(VALU_DEP_1)
	v_fma_f32 v176, -v1, v174, 1.0
	v_fmac_f32_e32 v174, v176, v174
	s_delay_alu instid0(VALU_DEP_1) | instskip(NEXT) | instid1(VALU_DEP_1)
	v_mul_f32_e32 v176, v177, v174
	v_fma_f32 v178, -v1, v176, v177
	s_delay_alu instid0(VALU_DEP_1) | instskip(NEXT) | instid1(VALU_DEP_1)
	v_fmac_f32_e32 v176, v178, v174
	v_fma_f32 v1, -v1, v176, v177
	s_delay_alu instid0(VALU_DEP_1) | instskip(NEXT) | instid1(VALU_DEP_1)
	v_div_fmas_f32 v1, v1, v174, v176
	v_div_fixup_f32 v1, v1, v175, 1.0
                                        ; implicit-def: $vgpr174_vgpr175
	s_delay_alu instid0(VALU_DEP_1)
	v_mul_f32_e32 v176, v0, v1
	v_xor_b32_e32 v177, 0x80000000, v1
.LBB79_59:
	s_and_not1_saveexec_b32 s1, s1
	s_cbranch_execz .LBB79_61
; %bb.60:
	v_div_scale_f32 v0, null, v174, v174, v175
	v_div_scale_f32 v177, vcc_lo, v175, v174, v175
	s_delay_alu instid0(VALU_DEP_2) | instskip(SKIP_1) | instid1(TRANS32_DEP_1)
	v_rcp_f32_e32 v1, v0
	v_nop
	v_fma_f32 v176, -v0, v1, 1.0
	s_delay_alu instid0(VALU_DEP_1) | instskip(NEXT) | instid1(VALU_DEP_1)
	v_fmac_f32_e32 v1, v176, v1
	v_mul_f32_e32 v176, v177, v1
	s_delay_alu instid0(VALU_DEP_1) | instskip(NEXT) | instid1(VALU_DEP_1)
	v_fma_f32 v178, -v0, v176, v177
	v_fmac_f32_e32 v176, v178, v1
	s_delay_alu instid0(VALU_DEP_1) | instskip(NEXT) | instid1(VALU_DEP_1)
	v_fma_f32 v0, -v0, v176, v177
	v_div_fmas_f32 v0, v0, v1, v176
	s_delay_alu instid0(VALU_DEP_1) | instskip(NEXT) | instid1(VALU_DEP_1)
	v_div_fixup_f32 v0, v0, v174, v175
	v_fmac_f32_e32 v174, v175, v0
	s_delay_alu instid0(VALU_DEP_1) | instskip(NEXT) | instid1(VALU_DEP_1)
	v_div_scale_f32 v1, null, v174, v174, 1.0
	v_rcp_f32_e32 v175, v1
	v_nop
	s_delay_alu instid0(TRANS32_DEP_1) | instskip(NEXT) | instid1(VALU_DEP_1)
	v_fma_f32 v176, -v1, v175, 1.0
	v_fmac_f32_e32 v175, v176, v175
	v_div_scale_f32 v176, vcc_lo, 1.0, v174, 1.0
	s_delay_alu instid0(VALU_DEP_1) | instskip(NEXT) | instid1(VALU_DEP_1)
	v_mul_f32_e32 v177, v176, v175
	v_fma_f32 v178, -v1, v177, v176
	s_delay_alu instid0(VALU_DEP_1) | instskip(NEXT) | instid1(VALU_DEP_1)
	v_fmac_f32_e32 v177, v178, v175
	v_fma_f32 v1, -v1, v177, v176
	s_delay_alu instid0(VALU_DEP_1) | instskip(NEXT) | instid1(VALU_DEP_1)
	v_div_fmas_f32 v1, v1, v175, v177
	v_div_fixup_f32 v176, v1, v174, 1.0
	s_delay_alu instid0(VALU_DEP_1)
	v_mul_f32_e64 v177, v0, -v176
.LBB79_61:
	s_or_b32 exec_lo, exec_lo, s1
	ds_store_b64 v243, v[176:177]
.LBB79_62:
	s_or_b32 exec_lo, exec_lo, s2
	s_wait_dscnt 0x0
	s_barrier_signal -1
	s_barrier_wait -1
	ds_load_b64 v[174:175], v243
	s_mov_b32 s1, exec_lo
	v_cmpx_lt_u32_e32 6, v242
	s_cbranch_execz .LBB79_64
; %bb.63:
	ds_load_2addr_b64 v[180:183], v244 offset0:7 offset1:8
	s_wait_dscnt 0x1
	v_pk_mul_f32 v[178:179], v[174:175], v[24:25] op_sel:[1,1] op_sel_hi:[0,1]
	s_delay_alu instid0(VALU_DEP_1) | instskip(SKIP_1) | instid1(VALU_DEP_1)
	v_pk_fma_f32 v[176:177], v[174:175], v[24:25], v[178:179] op_sel_hi:[1,0,1] neg_lo:[0,0,1] neg_hi:[0,0,1]
	v_pk_fma_f32 v[178:179], v[174:175], v[24:25], v[178:179] op_sel_hi:[1,0,1]
	v_dual_mov_b32 v24, v176 :: v_dual_mov_b32 v25, v179
	s_wait_dscnt 0x0
	s_delay_alu instid0(VALU_DEP_2) | instskip(NEXT) | instid1(VALU_DEP_1)
	v_pk_mul_f32 v[184:185], v[180:181], v[178:179] op_sel:[0,1]
	v_pk_fma_f32 v[186:187], v[180:181], v[176:177], v[184:185] op_sel:[0,0,1] op_sel_hi:[1,1,0] neg_lo:[0,0,1] neg_hi:[0,0,1]
	v_pk_fma_f32 v[180:181], v[180:181], v[176:177], v[184:185] op_sel:[0,0,1] op_sel_hi:[1,0,0]
	s_delay_alu instid0(VALU_DEP_1) | instskip(SKIP_1) | instid1(VALU_DEP_1)
	v_mov_b32_e32 v187, v181
	v_pk_mul_f32 v[180:181], v[182:183], v[178:179] op_sel:[0,1]
	v_pk_fma_f32 v[184:185], v[182:183], v[176:177], v[180:181] op_sel:[0,0,1] op_sel_hi:[1,1,0] neg_lo:[0,0,1] neg_hi:[0,0,1]
	v_pk_fma_f32 v[180:181], v[182:183], v[176:177], v[180:181] op_sel:[0,0,1] op_sel_hi:[1,0,0]
	s_delay_alu instid0(VALU_DEP_1)
	v_mov_b32_e32 v185, v181
	ds_load_2addr_b64 v[180:183], v244 offset0:9 offset1:10
	v_pk_add_f32 v[60:61], v[60:61], v[186:187] neg_lo:[0,1] neg_hi:[0,1]
	v_pk_add_f32 v[74:75], v[74:75], v[184:185] neg_lo:[0,1] neg_hi:[0,1]
	s_wait_dscnt 0x0
	v_pk_mul_f32 v[184:185], v[180:181], v[178:179] op_sel:[0,1]
	s_delay_alu instid0(VALU_DEP_1) | instskip(SKIP_2) | instid1(VALU_DEP_2)
	v_pk_fma_f32 v[186:187], v[180:181], v[176:177], v[184:185] op_sel:[0,0,1] op_sel_hi:[1,1,0] neg_lo:[0,0,1] neg_hi:[0,0,1]
	v_pk_fma_f32 v[180:181], v[180:181], v[176:177], v[184:185] op_sel:[0,0,1] op_sel_hi:[1,0,0]
	v_dual_mul_f32 v184, v183, v179 :: v_dual_mov_b32 v180, v183
	v_dual_mov_b32 v187, v181 :: v_dual_mov_b32 v181, v182
	s_delay_alu instid0(VALU_DEP_2) | instskip(SKIP_1) | instid1(VALU_DEP_3)
	v_pk_fma_f32 v[184:185], v[182:183], v[24:25], v[184:185] op_sel_hi:[1,1,0] neg_lo:[0,0,1] neg_hi:[0,0,1]
	v_mul_f32_e32 v182, v183, v176
	v_pk_add_f32 v[58:59], v[58:59], v[186:187] neg_lo:[0,1] neg_hi:[0,1]
	s_delay_alu instid0(VALU_DEP_2) | instskip(NEXT) | instid1(VALU_DEP_1)
	v_pk_fma_f32 v[180:181], v[180:181], v[24:25], v[182:183] op_sel_hi:[1,1,0]
	v_mov_b32_e32 v185, v181
	ds_load_2addr_b64 v[180:183], v244 offset0:11 offset1:12
	v_pk_add_f32 v[72:73], v[72:73], v[184:185] neg_lo:[0,1] neg_hi:[0,1]
	s_wait_dscnt 0x0
	v_pk_mul_f32 v[184:185], v[180:181], v[178:179] op_sel:[0,1]
	s_delay_alu instid0(VALU_DEP_1) | instskip(SKIP_1) | instid1(VALU_DEP_1)
	v_pk_fma_f32 v[186:187], v[180:181], v[176:177], v[184:185] op_sel:[0,0,1] op_sel_hi:[1,1,0] neg_lo:[0,0,1] neg_hi:[0,0,1]
	v_pk_fma_f32 v[180:181], v[180:181], v[176:177], v[184:185] op_sel:[0,0,1] op_sel_hi:[1,0,0]
	v_mov_b32_e32 v187, v181
	v_pk_mul_f32 v[180:181], v[182:183], v[178:179] op_sel:[0,1]
	s_delay_alu instid0(VALU_DEP_1) | instskip(SKIP_1) | instid1(VALU_DEP_1)
	v_pk_fma_f32 v[184:185], v[182:183], v[176:177], v[180:181] op_sel:[0,0,1] op_sel_hi:[1,1,0] neg_lo:[0,0,1] neg_hi:[0,0,1]
	v_pk_fma_f32 v[180:181], v[182:183], v[176:177], v[180:181] op_sel:[0,0,1] op_sel_hi:[1,0,0]
	v_mov_b32_e32 v185, v181
	ds_load_2addr_b64 v[180:183], v244 offset0:13 offset1:14
	v_pk_add_f32 v[70:71], v[70:71], v[186:187] neg_lo:[0,1] neg_hi:[0,1]
	v_pk_add_f32 v[92:93], v[92:93], v[184:185] neg_lo:[0,1] neg_hi:[0,1]
	s_wait_dscnt 0x0
	v_pk_mul_f32 v[184:185], v[180:181], v[178:179] op_sel:[0,1]
	s_delay_alu instid0(VALU_DEP_1) | instskip(SKIP_1) | instid1(VALU_DEP_1)
	v_pk_fma_f32 v[186:187], v[180:181], v[176:177], v[184:185] op_sel:[0,0,1] op_sel_hi:[1,1,0] neg_lo:[0,0,1] neg_hi:[0,0,1]
	v_pk_fma_f32 v[180:181], v[180:181], v[176:177], v[184:185] op_sel:[0,0,1] op_sel_hi:[1,0,0]
	v_mov_b32_e32 v187, v181
	v_pk_mul_f32 v[180:181], v[182:183], v[178:179] op_sel:[0,1]
	s_delay_alu instid0(VALU_DEP_1) | instskip(SKIP_1) | instid1(VALU_DEP_1)
	v_pk_fma_f32 v[184:185], v[182:183], v[176:177], v[180:181] op_sel:[0,0,1] op_sel_hi:[1,1,0] neg_lo:[0,0,1] neg_hi:[0,0,1]
	v_pk_fma_f32 v[180:181], v[182:183], v[176:177], v[180:181] op_sel:[0,0,1] op_sel_hi:[1,0,0]
	v_mov_b32_e32 v185, v181
	ds_load_2addr_b64 v[180:183], v244 offset0:15 offset1:16
	v_pk_add_f32 v[88:89], v[88:89], v[186:187] neg_lo:[0,1] neg_hi:[0,1]
	v_pk_add_f32 v[90:91], v[90:91], v[184:185] neg_lo:[0,1] neg_hi:[0,1]
	s_wait_dscnt 0x0
	v_dual_mul_f32 v184, v181, v179 :: v_dual_mul_f32 v186, v181, v176
	s_delay_alu instid0(VALU_DEP_1) | instskip(NEXT) | instid1(VALU_DEP_2)
	v_pk_fma_f32 v[184:185], v[180:181], v[24:25], v[184:185] op_sel_hi:[1,1,0] neg_lo:[0,0,1] neg_hi:[0,0,1]
	v_pk_fma_f32 v[180:181], v[180:181], v[24:25], v[186:187] op_sel:[1,0,0] op_sel_hi:[0,1,0]
	s_delay_alu instid0(VALU_DEP_1) | instskip(SKIP_1) | instid1(VALU_DEP_2)
	v_mov_b32_e32 v185, v181
	v_pk_mul_f32 v[180:181], v[182:183], v[178:179] op_sel:[0,1]
	v_pk_add_f32 v[86:87], v[86:87], v[184:185] neg_lo:[0,1] neg_hi:[0,1]
	s_delay_alu instid0(VALU_DEP_2) | instskip(SKIP_1) | instid1(VALU_DEP_1)
	v_pk_fma_f32 v[184:185], v[182:183], v[176:177], v[180:181] op_sel:[0,0,1] op_sel_hi:[1,1,0] neg_lo:[0,0,1] neg_hi:[0,0,1]
	v_pk_fma_f32 v[180:181], v[182:183], v[176:177], v[180:181] op_sel:[0,0,1] op_sel_hi:[1,0,0]
	v_mov_b32_e32 v185, v181
	ds_load_2addr_b64 v[180:183], v244 offset0:17 offset1:18
	v_pk_add_f32 v[84:85], v[84:85], v[184:185] neg_lo:[0,1] neg_hi:[0,1]
	s_wait_dscnt 0x0
	v_pk_mul_f32 v[184:185], v[180:181], v[178:179] op_sel:[0,1]
	s_delay_alu instid0(VALU_DEP_1) | instskip(SKIP_1) | instid1(VALU_DEP_1)
	v_pk_fma_f32 v[186:187], v[180:181], v[176:177], v[184:185] op_sel:[0,0,1] op_sel_hi:[1,1,0] neg_lo:[0,0,1] neg_hi:[0,0,1]
	v_pk_fma_f32 v[180:181], v[180:181], v[176:177], v[184:185] op_sel:[0,0,1] op_sel_hi:[1,0,0]
	v_mov_b32_e32 v187, v181
	v_pk_mul_f32 v[180:181], v[182:183], v[178:179] op_sel:[0,1]
	s_delay_alu instid0(VALU_DEP_2) | instskip(NEXT) | instid1(VALU_DEP_2)
	v_pk_add_f32 v[114:115], v[114:115], v[186:187] neg_lo:[0,1] neg_hi:[0,1]
	v_pk_fma_f32 v[184:185], v[182:183], v[176:177], v[180:181] op_sel:[0,0,1] op_sel_hi:[1,1,0] neg_lo:[0,0,1] neg_hi:[0,0,1]
	v_pk_fma_f32 v[180:181], v[182:183], v[176:177], v[180:181] op_sel:[0,0,1] op_sel_hi:[1,0,0]
	s_delay_alu instid0(VALU_DEP_1) | instskip(SKIP_4) | instid1(VALU_DEP_1)
	v_mov_b32_e32 v185, v181
	ds_load_2addr_b64 v[180:183], v244 offset0:19 offset1:20
	v_pk_add_f32 v[116:117], v[116:117], v[184:185] neg_lo:[0,1] neg_hi:[0,1]
	s_wait_dscnt 0x0
	v_pk_mul_f32 v[184:185], v[180:181], v[178:179] op_sel:[0,1]
	v_pk_fma_f32 v[186:187], v[180:181], v[176:177], v[184:185] op_sel:[0,0,1] op_sel_hi:[1,1,0] neg_lo:[0,0,1] neg_hi:[0,0,1]
	v_pk_fma_f32 v[180:181], v[180:181], v[176:177], v[184:185] op_sel:[0,0,1] op_sel_hi:[1,0,0]
	v_dual_mul_f32 v184, v183, v179 :: v_dual_mov_b32 v180, v183
	s_delay_alu instid0(VALU_DEP_2) | instskip(NEXT) | instid1(VALU_DEP_2)
	v_dual_mov_b32 v187, v181 :: v_dual_mov_b32 v181, v182
	v_pk_fma_f32 v[184:185], v[182:183], v[24:25], v[184:185] op_sel_hi:[1,1,0] neg_lo:[0,0,1] neg_hi:[0,0,1]
	v_mul_f32_e32 v182, v183, v176
	s_delay_alu instid0(VALU_DEP_3) | instskip(NEXT) | instid1(VALU_DEP_2)
	v_pk_add_f32 v[112:113], v[112:113], v[186:187] neg_lo:[0,1] neg_hi:[0,1]
	v_pk_fma_f32 v[180:181], v[180:181], v[24:25], v[182:183] op_sel_hi:[1,1,0]
	s_delay_alu instid0(VALU_DEP_1) | instskip(SKIP_4) | instid1(VALU_DEP_1)
	v_mov_b32_e32 v185, v181
	ds_load_2addr_b64 v[180:183], v244 offset0:21 offset1:22
	v_pk_add_f32 v[110:111], v[110:111], v[184:185] neg_lo:[0,1] neg_hi:[0,1]
	s_wait_dscnt 0x0
	v_pk_mul_f32 v[184:185], v[180:181], v[178:179] op_sel:[0,1]
	v_pk_fma_f32 v[186:187], v[180:181], v[176:177], v[184:185] op_sel:[0,0,1] op_sel_hi:[1,1,0] neg_lo:[0,0,1] neg_hi:[0,0,1]
	v_pk_fma_f32 v[180:181], v[180:181], v[176:177], v[184:185] op_sel:[0,0,1] op_sel_hi:[1,0,0]
	s_delay_alu instid0(VALU_DEP_1) | instskip(SKIP_1) | instid1(VALU_DEP_1)
	v_mov_b32_e32 v187, v181
	v_pk_mul_f32 v[180:181], v[182:183], v[178:179] op_sel:[0,1]
	v_pk_fma_f32 v[184:185], v[182:183], v[176:177], v[180:181] op_sel:[0,0,1] op_sel_hi:[1,1,0] neg_lo:[0,0,1] neg_hi:[0,0,1]
	v_pk_fma_f32 v[180:181], v[182:183], v[176:177], v[180:181] op_sel:[0,0,1] op_sel_hi:[1,0,0]
	s_delay_alu instid0(VALU_DEP_1)
	v_mov_b32_e32 v185, v181
	ds_load_2addr_b64 v[180:183], v244 offset0:23 offset1:24
	v_pk_add_f32 v[142:143], v[142:143], v[186:187] neg_lo:[0,1] neg_hi:[0,1]
	v_pk_add_f32 v[144:145], v[144:145], v[184:185] neg_lo:[0,1] neg_hi:[0,1]
	s_wait_dscnt 0x0
	v_pk_mul_f32 v[184:185], v[180:181], v[178:179] op_sel:[0,1]
	s_delay_alu instid0(VALU_DEP_1) | instskip(SKIP_1) | instid1(VALU_DEP_1)
	v_pk_fma_f32 v[186:187], v[180:181], v[176:177], v[184:185] op_sel:[0,0,1] op_sel_hi:[1,1,0] neg_lo:[0,0,1] neg_hi:[0,0,1]
	v_pk_fma_f32 v[180:181], v[180:181], v[176:177], v[184:185] op_sel:[0,0,1] op_sel_hi:[1,0,0]
	v_mov_b32_e32 v187, v181
	v_pk_mul_f32 v[180:181], v[182:183], v[178:179] op_sel:[0,1]
	s_delay_alu instid0(VALU_DEP_1) | instskip(SKIP_1) | instid1(VALU_DEP_1)
	v_pk_fma_f32 v[184:185], v[182:183], v[176:177], v[180:181] op_sel:[0,0,1] op_sel_hi:[1,1,0] neg_lo:[0,0,1] neg_hi:[0,0,1]
	v_pk_fma_f32 v[180:181], v[182:183], v[176:177], v[180:181] op_sel:[0,0,1] op_sel_hi:[1,0,0]
	v_mov_b32_e32 v185, v181
	ds_load_2addr_b64 v[180:183], v244 offset0:25 offset1:26
	v_pk_add_f32 v[140:141], v[140:141], v[186:187] neg_lo:[0,1] neg_hi:[0,1]
	v_pk_add_f32 v[100:101], v[100:101], v[184:185] neg_lo:[0,1] neg_hi:[0,1]
	s_wait_dscnt 0x0
	v_dual_mul_f32 v184, v181, v179 :: v_dual_mul_f32 v186, v181, v176
	s_delay_alu instid0(VALU_DEP_1) | instskip(NEXT) | instid1(VALU_DEP_2)
	v_pk_fma_f32 v[184:185], v[180:181], v[24:25], v[184:185] op_sel_hi:[1,1,0] neg_lo:[0,0,1] neg_hi:[0,0,1]
	v_pk_fma_f32 v[180:181], v[180:181], v[24:25], v[186:187] op_sel:[1,0,0] op_sel_hi:[0,1,0]
	s_delay_alu instid0(VALU_DEP_1) | instskip(SKIP_1) | instid1(VALU_DEP_2)
	v_mov_b32_e32 v185, v181
	v_pk_mul_f32 v[180:181], v[182:183], v[178:179] op_sel:[0,1]
	v_pk_add_f32 v[96:97], v[96:97], v[184:185] neg_lo:[0,1] neg_hi:[0,1]
	s_delay_alu instid0(VALU_DEP_2) | instskip(SKIP_1) | instid1(VALU_DEP_1)
	v_pk_fma_f32 v[184:185], v[182:183], v[176:177], v[180:181] op_sel:[0,0,1] op_sel_hi:[1,1,0] neg_lo:[0,0,1] neg_hi:[0,0,1]
	v_pk_fma_f32 v[180:181], v[182:183], v[176:177], v[180:181] op_sel:[0,0,1] op_sel_hi:[1,0,0]
	v_mov_b32_e32 v185, v181
	ds_load_2addr_b64 v[180:183], v244 offset0:27 offset1:28
	v_pk_add_f32 v[98:99], v[98:99], v[184:185] neg_lo:[0,1] neg_hi:[0,1]
	s_wait_dscnt 0x0
	v_pk_mul_f32 v[184:185], v[180:181], v[178:179] op_sel:[0,1]
	s_delay_alu instid0(VALU_DEP_1) | instskip(SKIP_1) | instid1(VALU_DEP_1)
	v_pk_fma_f32 v[186:187], v[180:181], v[176:177], v[184:185] op_sel:[0,0,1] op_sel_hi:[1,1,0] neg_lo:[0,0,1] neg_hi:[0,0,1]
	v_pk_fma_f32 v[180:181], v[180:181], v[176:177], v[184:185] op_sel:[0,0,1] op_sel_hi:[1,0,0]
	v_mov_b32_e32 v187, v181
	v_pk_mul_f32 v[180:181], v[182:183], v[178:179] op_sel:[0,1]
	s_delay_alu instid0(VALU_DEP_2) | instskip(NEXT) | instid1(VALU_DEP_2)
	v_pk_add_f32 v[94:95], v[94:95], v[186:187] neg_lo:[0,1] neg_hi:[0,1]
	v_pk_fma_f32 v[184:185], v[182:183], v[176:177], v[180:181] op_sel:[0,0,1] op_sel_hi:[1,1,0] neg_lo:[0,0,1] neg_hi:[0,0,1]
	v_pk_fma_f32 v[180:181], v[182:183], v[176:177], v[180:181] op_sel:[0,0,1] op_sel_hi:[1,0,0]
	s_delay_alu instid0(VALU_DEP_1) | instskip(SKIP_4) | instid1(VALU_DEP_1)
	v_mov_b32_e32 v185, v181
	ds_load_2addr_b64 v[180:183], v244 offset0:29 offset1:30
	v_pk_add_f32 v[128:129], v[128:129], v[184:185] neg_lo:[0,1] neg_hi:[0,1]
	s_wait_dscnt 0x0
	v_pk_mul_f32 v[184:185], v[180:181], v[178:179] op_sel:[0,1]
	v_pk_fma_f32 v[186:187], v[180:181], v[176:177], v[184:185] op_sel:[0,0,1] op_sel_hi:[1,1,0] neg_lo:[0,0,1] neg_hi:[0,0,1]
	v_pk_fma_f32 v[180:181], v[180:181], v[176:177], v[184:185] op_sel:[0,0,1] op_sel_hi:[1,0,0]
	v_dual_mul_f32 v184, v183, v179 :: v_dual_mov_b32 v180, v183
	s_delay_alu instid0(VALU_DEP_2) | instskip(NEXT) | instid1(VALU_DEP_2)
	v_dual_mov_b32 v187, v181 :: v_dual_mov_b32 v181, v182
	v_pk_fma_f32 v[184:185], v[182:183], v[24:25], v[184:185] op_sel_hi:[1,1,0] neg_lo:[0,0,1] neg_hi:[0,0,1]
	v_mul_f32_e32 v182, v183, v176
	s_delay_alu instid0(VALU_DEP_3) | instskip(NEXT) | instid1(VALU_DEP_2)
	v_pk_add_f32 v[124:125], v[124:125], v[186:187] neg_lo:[0,1] neg_hi:[0,1]
	v_pk_fma_f32 v[180:181], v[180:181], v[24:25], v[182:183] op_sel_hi:[1,1,0]
	s_delay_alu instid0(VALU_DEP_1) | instskip(SKIP_4) | instid1(VALU_DEP_1)
	v_mov_b32_e32 v185, v181
	ds_load_2addr_b64 v[180:183], v244 offset0:31 offset1:32
	v_pk_add_f32 v[126:127], v[126:127], v[184:185] neg_lo:[0,1] neg_hi:[0,1]
	s_wait_dscnt 0x0
	v_pk_mul_f32 v[184:185], v[180:181], v[178:179] op_sel:[0,1]
	v_pk_fma_f32 v[186:187], v[180:181], v[176:177], v[184:185] op_sel:[0,0,1] op_sel_hi:[1,1,0] neg_lo:[0,0,1] neg_hi:[0,0,1]
	v_pk_fma_f32 v[180:181], v[180:181], v[176:177], v[184:185] op_sel:[0,0,1] op_sel_hi:[1,0,0]
	s_delay_alu instid0(VALU_DEP_1) | instskip(SKIP_1) | instid1(VALU_DEP_1)
	v_mov_b32_e32 v187, v181
	v_pk_mul_f32 v[180:181], v[182:183], v[178:179] op_sel:[0,1]
	v_pk_fma_f32 v[184:185], v[182:183], v[176:177], v[180:181] op_sel:[0,0,1] op_sel_hi:[1,1,0] neg_lo:[0,0,1] neg_hi:[0,0,1]
	v_pk_fma_f32 v[180:181], v[182:183], v[176:177], v[180:181] op_sel:[0,0,1] op_sel_hi:[1,0,0]
	s_delay_alu instid0(VALU_DEP_1)
	v_mov_b32_e32 v185, v181
	ds_load_2addr_b64 v[180:183], v244 offset0:33 offset1:34
	v_pk_add_f32 v[122:123], v[122:123], v[186:187] neg_lo:[0,1] neg_hi:[0,1]
	v_pk_add_f32 v[152:153], v[152:153], v[184:185] neg_lo:[0,1] neg_hi:[0,1]
	s_wait_dscnt 0x0
	v_pk_mul_f32 v[184:185], v[180:181], v[178:179] op_sel:[0,1]
	s_delay_alu instid0(VALU_DEP_1) | instskip(SKIP_1) | instid1(VALU_DEP_1)
	v_pk_fma_f32 v[186:187], v[180:181], v[176:177], v[184:185] op_sel:[0,0,1] op_sel_hi:[1,1,0] neg_lo:[0,0,1] neg_hi:[0,0,1]
	v_pk_fma_f32 v[180:181], v[180:181], v[176:177], v[184:185] op_sel:[0,0,1] op_sel_hi:[1,0,0]
	v_mov_b32_e32 v187, v181
	v_pk_mul_f32 v[180:181], v[182:183], v[178:179] op_sel:[0,1]
	s_delay_alu instid0(VALU_DEP_1) | instskip(SKIP_1) | instid1(VALU_DEP_1)
	v_pk_fma_f32 v[184:185], v[182:183], v[176:177], v[180:181] op_sel:[0,0,1] op_sel_hi:[1,1,0] neg_lo:[0,0,1] neg_hi:[0,0,1]
	v_pk_fma_f32 v[180:181], v[182:183], v[176:177], v[180:181] op_sel:[0,0,1] op_sel_hi:[1,0,0]
	v_mov_b32_e32 v185, v181
	ds_load_2addr_b64 v[180:183], v244 offset0:35 offset1:36
	v_pk_add_f32 v[148:149], v[148:149], v[186:187] neg_lo:[0,1] neg_hi:[0,1]
	v_pk_add_f32 v[150:151], v[150:151], v[184:185] neg_lo:[0,1] neg_hi:[0,1]
	s_wait_dscnt 0x0
	v_dual_mul_f32 v184, v181, v179 :: v_dual_mul_f32 v186, v181, v176
	s_delay_alu instid0(VALU_DEP_1) | instskip(NEXT) | instid1(VALU_DEP_2)
	v_pk_fma_f32 v[184:185], v[180:181], v[24:25], v[184:185] op_sel_hi:[1,1,0] neg_lo:[0,0,1] neg_hi:[0,0,1]
	v_pk_fma_f32 v[180:181], v[180:181], v[24:25], v[186:187] op_sel:[1,0,0] op_sel_hi:[0,1,0]
	s_delay_alu instid0(VALU_DEP_1) | instskip(SKIP_1) | instid1(VALU_DEP_2)
	v_mov_b32_e32 v185, v181
	v_pk_mul_f32 v[180:181], v[182:183], v[178:179] op_sel:[0,1]
	v_pk_add_f32 v[146:147], v[146:147], v[184:185] neg_lo:[0,1] neg_hi:[0,1]
	s_delay_alu instid0(VALU_DEP_2) | instskip(SKIP_1) | instid1(VALU_DEP_1)
	v_pk_fma_f32 v[184:185], v[182:183], v[176:177], v[180:181] op_sel:[0,0,1] op_sel_hi:[1,1,0] neg_lo:[0,0,1] neg_hi:[0,0,1]
	v_pk_fma_f32 v[180:181], v[182:183], v[176:177], v[180:181] op_sel:[0,0,1] op_sel_hi:[1,0,0]
	v_mov_b32_e32 v185, v181
	ds_load_2addr_b64 v[180:183], v244 offset0:37 offset1:38
	v_pk_add_f32 v[158:159], v[158:159], v[184:185] neg_lo:[0,1] neg_hi:[0,1]
	s_wait_dscnt 0x0
	v_pk_mul_f32 v[184:185], v[180:181], v[178:179] op_sel:[0,1]
	s_delay_alu instid0(VALU_DEP_1) | instskip(SKIP_1) | instid1(VALU_DEP_1)
	v_pk_fma_f32 v[186:187], v[180:181], v[176:177], v[184:185] op_sel:[0,0,1] op_sel_hi:[1,1,0] neg_lo:[0,0,1] neg_hi:[0,0,1]
	v_pk_fma_f32 v[180:181], v[180:181], v[176:177], v[184:185] op_sel:[0,0,1] op_sel_hi:[1,0,0]
	v_mov_b32_e32 v187, v181
	v_pk_mul_f32 v[180:181], v[182:183], v[178:179] op_sel:[0,1]
	s_delay_alu instid0(VALU_DEP_2) | instskip(NEXT) | instid1(VALU_DEP_2)
	v_pk_add_f32 v[156:157], v[156:157], v[186:187] neg_lo:[0,1] neg_hi:[0,1]
	v_pk_fma_f32 v[184:185], v[182:183], v[176:177], v[180:181] op_sel:[0,0,1] op_sel_hi:[1,1,0] neg_lo:[0,0,1] neg_hi:[0,0,1]
	v_pk_fma_f32 v[180:181], v[182:183], v[176:177], v[180:181] op_sel:[0,0,1] op_sel_hi:[1,0,0]
	s_delay_alu instid0(VALU_DEP_1) | instskip(SKIP_4) | instid1(VALU_DEP_1)
	v_mov_b32_e32 v185, v181
	ds_load_b64 v[180:181], v244 offset:312
	v_pk_add_f32 v[154:155], v[154:155], v[184:185] neg_lo:[0,1] neg_hi:[0,1]
	s_wait_dscnt 0x0
	v_pk_mul_f32 v[178:179], v[180:181], v[178:179] op_sel:[0,1]
	v_pk_fma_f32 v[182:183], v[180:181], v[176:177], v[178:179] op_sel:[0,0,1] op_sel_hi:[1,1,0] neg_lo:[0,0,1] neg_hi:[0,0,1]
	v_pk_fma_f32 v[176:177], v[180:181], v[176:177], v[178:179] op_sel:[0,0,1] op_sel_hi:[1,0,0]
	s_delay_alu instid0(VALU_DEP_1) | instskip(NEXT) | instid1(VALU_DEP_1)
	v_mov_b32_e32 v183, v177
	v_pk_add_f32 v[160:161], v[160:161], v[182:183] neg_lo:[0,1] neg_hi:[0,1]
.LBB79_64:
	s_or_b32 exec_lo, exec_lo, s1
	s_delay_alu instid0(SALU_CYCLE_1)
	s_mov_b32 s2, exec_lo
	s_wait_dscnt 0x0
	s_barrier_signal -1
	s_barrier_wait -1
	v_cmpx_eq_u32_e32 7, v242
	s_cbranch_execz .LBB79_71
; %bb.65:
	v_dual_mov_b32 v176, v74 :: v_dual_mov_b32 v177, v75
	v_dual_mov_b32 v178, v58 :: v_dual_mov_b32 v179, v59
	ds_store_b64 v243, v[60:61]
	ds_store_2addr_b64 v244, v[176:177], v[178:179] offset0:8 offset1:9
	v_dual_mov_b32 v176, v72 :: v_dual_mov_b32 v177, v73
	v_dual_mov_b32 v178, v70 :: v_dual_mov_b32 v179, v71
	ds_store_2addr_b64 v244, v[176:177], v[178:179] offset0:10 offset1:11
	v_dual_mov_b32 v176, v92 :: v_dual_mov_b32 v177, v93
	v_dual_mov_b32 v178, v88 :: v_dual_mov_b32 v179, v89
	;; [unrolled: 3-line block ×14, first 2 shown]
	ds_store_2addr_b64 v244, v[176:177], v[178:179] offset0:36 offset1:37
	v_dual_mov_b32 v176, v154 :: v_dual_mov_b32 v177, v155
	ds_store_2addr_b64 v244, v[176:177], v[160:161] offset0:38 offset1:39
	ds_load_b64 v[176:177], v243
	s_wait_dscnt 0x0
	v_cmp_neq_f32_e32 vcc_lo, 0, v176
	v_cmp_neq_f32_e64 s1, 0, v177
	s_or_b32 s1, vcc_lo, s1
	s_delay_alu instid0(SALU_CYCLE_1)
	s_and_b32 exec_lo, exec_lo, s1
	s_cbranch_execz .LBB79_71
; %bb.66:
	v_cmp_ngt_f32_e64 s1, |v176|, |v177|
                                        ; implicit-def: $vgpr178_vgpr179
	s_and_saveexec_b32 s4, s1
	s_delay_alu instid0(SALU_CYCLE_1)
	s_xor_b32 s1, exec_lo, s4
	s_cbranch_execz .LBB79_68
; %bb.67:
	v_div_scale_f32 v0, null, v177, v177, v176
	v_div_scale_f32 v179, vcc_lo, v176, v177, v176
	s_delay_alu instid0(VALU_DEP_2) | instskip(SKIP_1) | instid1(TRANS32_DEP_1)
	v_rcp_f32_e32 v1, v0
	v_nop
	v_fma_f32 v178, -v0, v1, 1.0
	s_delay_alu instid0(VALU_DEP_1) | instskip(NEXT) | instid1(VALU_DEP_1)
	v_fmac_f32_e32 v1, v178, v1
	v_mul_f32_e32 v178, v179, v1
	s_delay_alu instid0(VALU_DEP_1) | instskip(NEXT) | instid1(VALU_DEP_1)
	v_fma_f32 v180, -v0, v178, v179
	v_fmac_f32_e32 v178, v180, v1
	s_delay_alu instid0(VALU_DEP_1) | instskip(NEXT) | instid1(VALU_DEP_1)
	v_fma_f32 v0, -v0, v178, v179
	v_div_fmas_f32 v0, v0, v1, v178
	s_delay_alu instid0(VALU_DEP_1) | instskip(NEXT) | instid1(VALU_DEP_1)
	v_div_fixup_f32 v0, v0, v177, v176
	v_fmac_f32_e32 v177, v176, v0
	s_delay_alu instid0(VALU_DEP_1) | instskip(SKIP_1) | instid1(VALU_DEP_2)
	v_div_scale_f32 v1, null, v177, v177, 1.0
	v_div_scale_f32 v179, vcc_lo, 1.0, v177, 1.0
	v_rcp_f32_e32 v176, v1
	v_nop
	s_delay_alu instid0(TRANS32_DEP_1) | instskip(NEXT) | instid1(VALU_DEP_1)
	v_fma_f32 v178, -v1, v176, 1.0
	v_fmac_f32_e32 v176, v178, v176
	s_delay_alu instid0(VALU_DEP_1) | instskip(NEXT) | instid1(VALU_DEP_1)
	v_mul_f32_e32 v178, v179, v176
	v_fma_f32 v180, -v1, v178, v179
	s_delay_alu instid0(VALU_DEP_1) | instskip(NEXT) | instid1(VALU_DEP_1)
	v_fmac_f32_e32 v178, v180, v176
	v_fma_f32 v1, -v1, v178, v179
	s_delay_alu instid0(VALU_DEP_1) | instskip(NEXT) | instid1(VALU_DEP_1)
	v_div_fmas_f32 v1, v1, v176, v178
	v_div_fixup_f32 v1, v1, v177, 1.0
                                        ; implicit-def: $vgpr176_vgpr177
	s_delay_alu instid0(VALU_DEP_1)
	v_mul_f32_e32 v178, v0, v1
	v_xor_b32_e32 v179, 0x80000000, v1
.LBB79_68:
	s_and_not1_saveexec_b32 s1, s1
	s_cbranch_execz .LBB79_70
; %bb.69:
	v_div_scale_f32 v0, null, v176, v176, v177
	v_div_scale_f32 v179, vcc_lo, v177, v176, v177
	s_delay_alu instid0(VALU_DEP_2) | instskip(SKIP_1) | instid1(TRANS32_DEP_1)
	v_rcp_f32_e32 v1, v0
	v_nop
	v_fma_f32 v178, -v0, v1, 1.0
	s_delay_alu instid0(VALU_DEP_1) | instskip(NEXT) | instid1(VALU_DEP_1)
	v_fmac_f32_e32 v1, v178, v1
	v_mul_f32_e32 v178, v179, v1
	s_delay_alu instid0(VALU_DEP_1) | instskip(NEXT) | instid1(VALU_DEP_1)
	v_fma_f32 v180, -v0, v178, v179
	v_fmac_f32_e32 v178, v180, v1
	s_delay_alu instid0(VALU_DEP_1) | instskip(NEXT) | instid1(VALU_DEP_1)
	v_fma_f32 v0, -v0, v178, v179
	v_div_fmas_f32 v0, v0, v1, v178
	s_delay_alu instid0(VALU_DEP_1) | instskip(NEXT) | instid1(VALU_DEP_1)
	v_div_fixup_f32 v0, v0, v176, v177
	v_fmac_f32_e32 v176, v177, v0
	s_delay_alu instid0(VALU_DEP_1) | instskip(NEXT) | instid1(VALU_DEP_1)
	v_div_scale_f32 v1, null, v176, v176, 1.0
	v_rcp_f32_e32 v177, v1
	v_nop
	s_delay_alu instid0(TRANS32_DEP_1) | instskip(NEXT) | instid1(VALU_DEP_1)
	v_fma_f32 v178, -v1, v177, 1.0
	v_fmac_f32_e32 v177, v178, v177
	v_div_scale_f32 v178, vcc_lo, 1.0, v176, 1.0
	s_delay_alu instid0(VALU_DEP_1) | instskip(NEXT) | instid1(VALU_DEP_1)
	v_mul_f32_e32 v179, v178, v177
	v_fma_f32 v180, -v1, v179, v178
	s_delay_alu instid0(VALU_DEP_1) | instskip(NEXT) | instid1(VALU_DEP_1)
	v_fmac_f32_e32 v179, v180, v177
	v_fma_f32 v1, -v1, v179, v178
	s_delay_alu instid0(VALU_DEP_1) | instskip(NEXT) | instid1(VALU_DEP_1)
	v_div_fmas_f32 v1, v1, v177, v179
	v_div_fixup_f32 v178, v1, v176, 1.0
	s_delay_alu instid0(VALU_DEP_1)
	v_mul_f32_e64 v179, v0, -v178
.LBB79_70:
	s_or_b32 exec_lo, exec_lo, s1
	ds_store_b64 v243, v[178:179]
.LBB79_71:
	s_or_b32 exec_lo, exec_lo, s2
	s_wait_dscnt 0x0
	s_barrier_signal -1
	s_barrier_wait -1
	ds_load_b64 v[176:177], v243
	s_mov_b32 s1, exec_lo
	v_cmpx_lt_u32_e32 7, v242
	s_cbranch_execz .LBB79_73
; %bb.72:
	ds_load_2addr_b64 v[182:185], v244 offset0:8 offset1:9
	ds_load_2addr_b64 v[186:189], v244 offset0:10 offset1:11
	;; [unrolled: 1-line block ×3, first 2 shown]
	s_wait_dscnt 0x3
	v_pk_mul_f32 v[180:181], v[176:177], v[60:61] op_sel:[1,1] op_sel_hi:[0,1]
	ds_load_2addr_b64 v[194:197], v244 offset0:14 offset1:15
	ds_load_2addr_b64 v[198:201], v244 offset0:16 offset1:17
	v_pk_fma_f32 v[178:179], v[176:177], v[60:61], v[180:181] op_sel_hi:[1,0,1] neg_lo:[0,0,1] neg_hi:[0,0,1]
	v_pk_fma_f32 v[180:181], v[176:177], v[60:61], v[180:181] op_sel_hi:[1,0,1]
	s_delay_alu instid0(VALU_DEP_1) | instskip(SKIP_1) | instid1(VALU_DEP_2)
	v_dual_mov_b32 v60, v178 :: v_dual_mov_b32 v61, v181
	s_wait_dscnt 0x4
	v_pk_mul_f32 v[202:203], v[182:183], v[180:181] op_sel:[0,1]
	v_pk_mul_f32 v[204:205], v[184:185], v[180:181] op_sel:[0,1]
	s_wait_dscnt 0x3
	v_pk_mul_f32 v[206:207], v[186:187], v[180:181] op_sel:[0,1]
	v_dual_mov_b32 v208, v189 :: v_dual_mov_b32 v209, v188
	v_dual_mul_f32 v210, v189, v181 :: v_dual_mul_f32 v212, v189, v178
	s_wait_dscnt 0x2
	v_pk_mul_f32 v[214:215], v[190:191], v[180:181] op_sel:[0,1]
	v_pk_mul_f32 v[216:217], v[192:193], v[180:181] op_sel:[0,1]
	v_pk_fma_f32 v[218:219], v[182:183], v[178:179], v[202:203] op_sel:[0,0,1] op_sel_hi:[1,1,0] neg_lo:[0,0,1] neg_hi:[0,0,1]
	v_pk_fma_f32 v[182:183], v[182:183], v[178:179], v[202:203] op_sel:[0,0,1] op_sel_hi:[1,0,0]
	v_pk_fma_f32 v[202:203], v[184:185], v[178:179], v[204:205] op_sel:[0,0,1] op_sel_hi:[1,1,0] neg_lo:[0,0,1] neg_hi:[0,0,1]
	v_pk_fma_f32 v[184:185], v[184:185], v[178:179], v[204:205] op_sel:[0,0,1] op_sel_hi:[1,0,0]
	;; [unrolled: 2-line block ×3, first 2 shown]
	v_pk_fma_f32 v[206:207], v[208:209], v[60:61], v[212:213] op_sel_hi:[1,1,0]
	v_pk_fma_f32 v[208:209], v[190:191], v[178:179], v[214:215] op_sel:[0,0,1] op_sel_hi:[1,0,0]
	v_dual_mov_b32 v219, v183 :: v_dual_mov_b32 v203, v185
	v_pk_fma_f32 v[182:183], v[192:193], v[178:179], v[216:217] op_sel:[0,0,1] op_sel_hi:[1,0,0]
	v_pk_fma_f32 v[188:189], v[188:189], v[60:61], v[210:211] op_sel_hi:[1,1,0] neg_lo:[0,0,1] neg_hi:[0,0,1]
	v_dual_mov_b32 v205, v187 :: v_dual_mov_b32 v189, v207
	v_pk_fma_f32 v[186:187], v[190:191], v[178:179], v[214:215] op_sel:[0,0,1] op_sel_hi:[1,1,0] neg_lo:[0,0,1] neg_hi:[0,0,1]
	v_pk_fma_f32 v[190:191], v[192:193], v[178:179], v[216:217] op_sel:[0,0,1] op_sel_hi:[1,1,0] neg_lo:[0,0,1] neg_hi:[0,0,1]
	s_wait_dscnt 0x1
	v_pk_mul_f32 v[192:193], v[194:195], v[180:181] op_sel:[0,1]
	v_dual_mov_b32 v187, v209 :: v_dual_mov_b32 v191, v183
	ds_load_2addr_b64 v[182:185], v244 offset0:18 offset1:19
	v_pk_add_f32 v[58:59], v[58:59], v[202:203] neg_lo:[0,1] neg_hi:[0,1]
	v_pk_mul_f32 v[202:203], v[196:197], v[180:181] op_sel:[0,1]
	v_pk_add_f32 v[70:71], v[70:71], v[188:189] neg_lo:[0,1] neg_hi:[0,1]
	v_pk_fma_f32 v[188:189], v[194:195], v[178:179], v[192:193] op_sel:[0,0,1] op_sel_hi:[1,0,0]
	v_pk_add_f32 v[88:89], v[88:89], v[190:191] neg_lo:[0,1] neg_hi:[0,1]
	v_pk_fma_f32 v[190:191], v[194:195], v[178:179], v[192:193] op_sel:[0,0,1] op_sel_hi:[1,1,0] neg_lo:[0,0,1] neg_hi:[0,0,1]
	v_pk_add_f32 v[92:93], v[92:93], v[186:187] neg_lo:[0,1] neg_hi:[0,1]
	v_pk_fma_f32 v[186:187], v[196:197], v[178:179], v[202:203] op_sel:[0,0,1] op_sel_hi:[1,0,0]
	s_wait_dscnt 0x1
	v_dual_mov_b32 v191, v189 :: v_dual_mul_f32 v192, v199, v178
	v_pk_fma_f32 v[194:195], v[196:197], v[178:179], v[202:203] op_sel:[0,0,1] op_sel_hi:[1,1,0] neg_lo:[0,0,1] neg_hi:[0,0,1]
	v_pk_add_f32 v[72:73], v[72:73], v[204:205] neg_lo:[0,1] neg_hi:[0,1]
	v_mov_b32_e32 v195, v187
	ds_load_2addr_b64 v[186:189], v244 offset0:20 offset1:21
	v_pk_fma_f32 v[192:193], v[198:199], v[60:61], v[192:193] op_sel:[1,0,0] op_sel_hi:[0,1,0]
	v_mul_f32_e32 v196, v199, v181
	v_pk_mul_f32 v[202:203], v[200:201], v[180:181] op_sel:[0,1]
	v_pk_add_f32 v[86:87], v[86:87], v[194:195] neg_lo:[0,1] neg_hi:[0,1]
	v_pk_add_f32 v[90:91], v[90:91], v[190:191] neg_lo:[0,1] neg_hi:[0,1]
	s_wait_dscnt 0x1
	v_pk_mul_f32 v[204:205], v[184:185], v[180:181] op_sel:[0,1]
	v_pk_fma_f32 v[194:195], v[198:199], v[60:61], v[196:197] op_sel_hi:[1,1,0] neg_lo:[0,0,1] neg_hi:[0,0,1]
	v_mov_b32_e32 v195, v193
	v_pk_mul_f32 v[196:197], v[182:183], v[180:181] op_sel:[0,1]
	ds_load_2addr_b64 v[190:193], v244 offset0:22 offset1:23
	v_pk_fma_f32 v[198:199], v[200:201], v[178:179], v[202:203] op_sel:[0,0,1] op_sel_hi:[1,0,0]
	v_pk_fma_f32 v[200:201], v[200:201], v[178:179], v[202:203] op_sel:[0,0,1] op_sel_hi:[1,1,0] neg_lo:[0,0,1] neg_hi:[0,0,1]
	v_pk_add_f32 v[84:85], v[84:85], v[194:195] neg_lo:[0,1] neg_hi:[0,1]
	v_pk_fma_f32 v[194:195], v[182:183], v[178:179], v[196:197] op_sel:[0,0,1] op_sel_hi:[1,0,0]
	v_pk_fma_f32 v[182:183], v[182:183], v[178:179], v[196:197] op_sel:[0,0,1] op_sel_hi:[1,1,0] neg_lo:[0,0,1] neg_hi:[0,0,1]
	v_pk_fma_f32 v[202:203], v[184:185], v[178:179], v[204:205] op_sel:[0,0,1] op_sel_hi:[1,0,0]
	v_mov_b32_e32 v201, v199
	v_pk_add_f32 v[74:75], v[74:75], v[218:219] neg_lo:[0,1] neg_hi:[0,1]
	v_mov_b32_e32 v183, v195
	v_pk_fma_f32 v[194:195], v[184:185], v[178:179], v[204:205] op_sel:[0,0,1] op_sel_hi:[1,1,0] neg_lo:[0,0,1] neg_hi:[0,0,1]
	v_mov_b32_e32 v195, v203
	s_wait_dscnt 0x1
	v_pk_mul_f32 v[198:199], v[186:187], v[180:181] op_sel:[0,1]
	v_pk_add_f32 v[114:115], v[114:115], v[200:201] neg_lo:[0,1] neg_hi:[0,1]
	v_pk_add_f32 v[116:117], v[116:117], v[182:183] neg_lo:[0,1] neg_hi:[0,1]
	ds_load_2addr_b64 v[182:185], v244 offset0:24 offset1:25
	v_pk_add_f32 v[112:113], v[112:113], v[194:195] neg_lo:[0,1] neg_hi:[0,1]
	v_pk_fma_f32 v[200:201], v[186:187], v[178:179], v[198:199] op_sel:[0,0,1] op_sel_hi:[1,0,0]
	ds_load_2addr_b64 v[194:197], v244 offset0:26 offset1:27
	v_dual_mov_b32 v202, v189 :: v_dual_mov_b32 v203, v188
	v_dual_mul_f32 v200, v189, v178 :: v_dual_mul_f32 v204, v189, v181
	s_wait_dscnt 0x2
	v_pk_mul_f32 v[206:207], v[190:191], v[180:181] op_sel:[0,1]
	v_pk_fma_f32 v[186:187], v[186:187], v[178:179], v[198:199] op_sel:[0,0,1] op_sel_hi:[1,1,0] neg_lo:[0,0,1] neg_hi:[0,0,1]
	s_delay_alu instid0(VALU_DEP_3)
	v_pk_fma_f32 v[198:199], v[202:203], v[60:61], v[200:201] op_sel_hi:[1,1,0]
	v_mov_b32_e32 v187, v201
	v_pk_mul_f32 v[202:203], v[192:193], v[180:181] op_sel:[0,1]
	v_pk_fma_f32 v[200:201], v[190:191], v[178:179], v[206:207] op_sel:[0,0,1] op_sel_hi:[1,0,0]
	v_pk_fma_f32 v[188:189], v[188:189], v[60:61], v[204:205] op_sel_hi:[1,1,0] neg_lo:[0,0,1] neg_hi:[0,0,1]
	v_mov_b32_e32 v189, v199
	v_pk_add_f32 v[110:111], v[110:111], v[186:187] neg_lo:[0,1] neg_hi:[0,1]
	v_pk_fma_f32 v[186:187], v[192:193], v[178:179], v[202:203] op_sel:[0,0,1] op_sel_hi:[1,0,0]
	v_pk_fma_f32 v[190:191], v[190:191], v[178:179], v[206:207] op_sel:[0,0,1] op_sel_hi:[1,1,0] neg_lo:[0,0,1] neg_hi:[0,0,1]
	s_wait_dscnt 0x1
	v_pk_mul_f32 v[198:199], v[182:183], v[180:181] op_sel:[0,1]
	v_mov_b32_e32 v191, v201
	v_pk_fma_f32 v[200:201], v[192:193], v[178:179], v[202:203] op_sel:[0,0,1] op_sel_hi:[1,1,0] neg_lo:[0,0,1] neg_hi:[0,0,1]
	v_pk_add_f32 v[142:143], v[142:143], v[188:189] neg_lo:[0,1] neg_hi:[0,1]
	v_mov_b32_e32 v201, v187
	ds_load_2addr_b64 v[186:189], v244 offset0:28 offset1:29
	v_pk_mul_f32 v[204:205], v[184:185], v[180:181] op_sel:[0,1]
	v_pk_fma_f32 v[202:203], v[182:183], v[178:179], v[198:199] op_sel:[0,0,1] op_sel_hi:[1,0,0]
	s_wait_dscnt 0x1
	v_mul_f32_e32 v202, v195, v178
	v_pk_add_f32 v[144:145], v[144:145], v[190:191] neg_lo:[0,1] neg_hi:[0,1]
	ds_load_2addr_b64 v[190:193], v244 offset0:30 offset1:31
	v_pk_fma_f32 v[182:183], v[182:183], v[178:179], v[198:199] op_sel:[0,0,1] op_sel_hi:[1,1,0] neg_lo:[0,0,1] neg_hi:[0,0,1]
	v_pk_fma_f32 v[198:199], v[184:185], v[178:179], v[204:205] op_sel:[0,0,1] op_sel_hi:[1,0,0]
	v_mul_f32_e32 v198, v195, v181
	v_mov_b32_e32 v183, v203
	v_pk_fma_f32 v[202:203], v[194:195], v[60:61], v[202:203] op_sel:[1,0,0] op_sel_hi:[0,1,0]
	v_pk_fma_f32 v[184:185], v[184:185], v[178:179], v[204:205] op_sel:[0,0,1] op_sel_hi:[1,1,0] neg_lo:[0,0,1] neg_hi:[0,0,1]
	v_pk_mul_f32 v[204:205], v[196:197], v[180:181] op_sel:[0,1]
	v_pk_fma_f32 v[194:195], v[194:195], v[60:61], v[198:199] op_sel_hi:[1,1,0] neg_lo:[0,0,1] neg_hi:[0,0,1]
	s_delay_alu instid0(VALU_DEP_4) | instskip(SKIP_1) | instid1(VALU_DEP_4)
	v_dual_mov_b32 v185, v199 :: v_dual_mov_b32 v195, v203
	v_pk_add_f32 v[100:101], v[100:101], v[182:183] neg_lo:[0,1] neg_hi:[0,1]
	v_pk_fma_f32 v[198:199], v[196:197], v[178:179], v[204:205] op_sel:[0,0,1] op_sel_hi:[1,0,0]
	v_pk_add_f32 v[140:141], v[140:141], v[200:201] neg_lo:[0,1] neg_hi:[0,1]
	s_delay_alu instid0(VALU_DEP_4)
	v_pk_add_f32 v[96:97], v[96:97], v[184:185] neg_lo:[0,1] neg_hi:[0,1]
	v_pk_add_f32 v[98:99], v[98:99], v[194:195] neg_lo:[0,1] neg_hi:[0,1]
	v_pk_fma_f32 v[194:195], v[196:197], v[178:179], v[204:205] op_sel:[0,0,1] op_sel_hi:[1,1,0] neg_lo:[0,0,1] neg_hi:[0,0,1]
	v_mov_b32_e32 v195, v199
	s_wait_dscnt 0x1
	v_pk_mul_f32 v[198:199], v[188:189], v[180:181] op_sel:[0,1]
	v_pk_mul_f32 v[196:197], v[186:187], v[180:181] op_sel:[0,1]
	ds_load_2addr_b64 v[182:185], v244 offset0:32 offset1:33
	s_wait_dscnt 0x1
	v_pk_mul_f32 v[200:201], v[190:191], v[180:181] op_sel:[0,1]
	v_pk_fma_f32 v[204:205], v[188:189], v[178:179], v[198:199] op_sel:[0,0,1] op_sel_hi:[1,0,0]
	v_pk_fma_f32 v[188:189], v[188:189], v[178:179], v[198:199] op_sel:[0,0,1] op_sel_hi:[1,1,0] neg_lo:[0,0,1] neg_hi:[0,0,1]
	v_pk_fma_f32 v[202:203], v[186:187], v[178:179], v[196:197] op_sel:[0,0,1] op_sel_hi:[1,0,0]
	v_pk_fma_f32 v[186:187], v[186:187], v[178:179], v[196:197] op_sel:[0,0,1] op_sel_hi:[1,1,0] neg_lo:[0,0,1] neg_hi:[0,0,1]
	v_pk_fma_f32 v[206:207], v[190:191], v[178:179], v[200:201] op_sel:[0,0,1] op_sel_hi:[1,0,0]
	v_mov_b32_e32 v189, v205
	v_pk_add_f32 v[94:95], v[94:95], v[194:195] neg_lo:[0,1] neg_hi:[0,1]
	ds_load_2addr_b64 v[194:197], v244 offset0:34 offset1:35
	v_pk_fma_f32 v[190:191], v[190:191], v[178:179], v[200:201] op_sel:[0,0,1] op_sel_hi:[1,1,0] neg_lo:[0,0,1] neg_hi:[0,0,1]
	v_dual_mov_b32 v187, v203 :: v_dual_mov_b32 v191, v207
	v_dual_mov_b32 v198, v193 :: v_dual_mov_b32 v199, v192
	v_mul_f32_e32 v200, v193, v178
	s_delay_alu instid0(VALU_DEP_3)
	v_pk_add_f32 v[128:129], v[128:129], v[186:187] neg_lo:[0,1] neg_hi:[0,1]
	v_pk_add_f32 v[124:125], v[124:125], v[188:189] neg_lo:[0,1] neg_hi:[0,1]
	;; [unrolled: 1-line block ×3, first 2 shown]
	ds_load_2addr_b64 v[186:189], v244 offset0:36 offset1:37
	v_pk_fma_f32 v[198:199], v[198:199], v[60:61], v[200:201] op_sel_hi:[1,1,0]
	v_mul_f32_e32 v190, v193, v181
	s_wait_dscnt 0x2
	v_pk_mul_f32 v[200:201], v[182:183], v[180:181] op_sel:[0,1]
	v_pk_mul_f32 v[202:203], v[184:185], v[180:181] op_sel:[0,1]
	s_delay_alu instid0(VALU_DEP_3)
	v_pk_fma_f32 v[204:205], v[192:193], v[60:61], v[190:191] op_sel_hi:[1,1,0] neg_lo:[0,0,1] neg_hi:[0,0,1]
	ds_load_2addr_b64 v[190:193], v244 offset0:38 offset1:39
	v_mov_b32_e32 v205, v199
	v_pk_fma_f32 v[198:199], v[182:183], v[178:179], v[200:201] op_sel:[0,0,1] op_sel_hi:[1,0,0]
	s_wait_dscnt 0x2
	v_pk_mul_f32 v[206:207], v[194:195], v[180:181] op_sel:[0,1]
	v_pk_fma_f32 v[208:209], v[184:185], v[178:179], v[202:203] op_sel:[0,0,1] op_sel_hi:[1,0,0]
	v_pk_fma_f32 v[182:183], v[182:183], v[178:179], v[200:201] op_sel:[0,0,1] op_sel_hi:[1,1,0] neg_lo:[0,0,1] neg_hi:[0,0,1]
	v_pk_mul_f32 v[200:201], v[196:197], v[180:181] op_sel:[0,1]
	v_mov_b32_e32 v183, v199
	v_pk_fma_f32 v[198:199], v[194:195], v[178:179], v[206:207] op_sel:[0,0,1] op_sel_hi:[1,0,0]
	v_pk_fma_f32 v[184:185], v[184:185], v[178:179], v[202:203] op_sel:[0,0,1] op_sel_hi:[1,1,0] neg_lo:[0,0,1] neg_hi:[0,0,1]
	v_mov_b32_e32 v185, v209
	v_pk_fma_f32 v[194:195], v[194:195], v[178:179], v[206:207] op_sel:[0,0,1] op_sel_hi:[1,1,0] neg_lo:[0,0,1] neg_hi:[0,0,1]
	v_pk_add_f32 v[152:153], v[152:153], v[182:183] neg_lo:[0,1] neg_hi:[0,1]
	v_pk_fma_f32 v[182:183], v[196:197], v[178:179], v[200:201] op_sel:[0,0,1] op_sel_hi:[1,0,0]
	v_mov_b32_e32 v195, v199
	s_wait_dscnt 0x1
	v_mul_f32_e32 v182, v187, v178
	v_pk_add_f32 v[148:149], v[148:149], v[184:185] neg_lo:[0,1] neg_hi:[0,1]
	v_pk_fma_f32 v[184:185], v[196:197], v[178:179], v[200:201] op_sel:[0,0,1] op_sel_hi:[1,1,0] neg_lo:[0,0,1] neg_hi:[0,0,1]
	v_mov_b32_e32 v185, v183
	v_pk_add_f32 v[150:151], v[150:151], v[194:195] neg_lo:[0,1] neg_hi:[0,1]
	v_mul_f32_e32 v194, v187, v181
	v_pk_mul_f32 v[196:197], v[188:189], v[180:181] op_sel:[0,1]
	v_pk_fma_f32 v[182:183], v[186:187], v[60:61], v[182:183] op_sel:[1,0,0] op_sel_hi:[0,1,0]
	s_wait_dscnt 0x0
	v_pk_mul_f32 v[198:199], v[190:191], v[180:181] op_sel:[0,1]
	v_pk_mul_f32 v[180:181], v[192:193], v[180:181] op_sel:[0,1]
	v_pk_fma_f32 v[186:187], v[186:187], v[60:61], v[194:195] op_sel_hi:[1,1,0] neg_lo:[0,0,1] neg_hi:[0,0,1]
	v_pk_fma_f32 v[194:195], v[188:189], v[178:179], v[196:197] op_sel:[0,0,1] op_sel_hi:[1,0,0]
	v_mov_b32_e32 v187, v183
	v_pk_fma_f32 v[182:183], v[190:191], v[178:179], v[198:199] op_sel:[0,0,1] op_sel_hi:[1,0,0]
	v_pk_fma_f32 v[188:189], v[188:189], v[178:179], v[196:197] op_sel:[0,0,1] op_sel_hi:[1,1,0] neg_lo:[0,0,1] neg_hi:[0,0,1]
	v_pk_fma_f32 v[196:197], v[192:193], v[178:179], v[180:181] op_sel:[0,0,1] op_sel_hi:[1,0,0]
	v_pk_fma_f32 v[190:191], v[190:191], v[178:179], v[198:199] op_sel:[0,0,1] op_sel_hi:[1,1,0] neg_lo:[0,0,1] neg_hi:[0,0,1]
	v_pk_fma_f32 v[178:179], v[192:193], v[178:179], v[180:181] op_sel:[0,0,1] op_sel_hi:[1,1,0] neg_lo:[0,0,1] neg_hi:[0,0,1]
	v_dual_mov_b32 v189, v195 :: v_dual_mov_b32 v191, v183
	s_delay_alu instid0(VALU_DEP_4)
	v_mov_b32_e32 v179, v197
	v_pk_add_f32 v[122:123], v[122:123], v[204:205] neg_lo:[0,1] neg_hi:[0,1]
	v_pk_add_f32 v[146:147], v[146:147], v[184:185] neg_lo:[0,1] neg_hi:[0,1]
	;; [unrolled: 1-line block ×6, first 2 shown]
.LBB79_73:
	s_or_b32 exec_lo, exec_lo, s1
	s_delay_alu instid0(SALU_CYCLE_1)
	s_mov_b32 s2, exec_lo
	s_wait_dscnt 0x0
	s_barrier_signal -1
	s_barrier_wait -1
	v_cmpx_eq_u32_e32 8, v242
	s_cbranch_execz .LBB79_80
; %bb.74:
	ds_store_b64 v243, v[74:75]
	ds_store_2addr_b64 v244, v[58:59], v[72:73] offset0:9 offset1:10
	ds_store_2addr_b64 v244, v[70:71], v[92:93] offset0:11 offset1:12
	;; [unrolled: 1-line block ×15, first 2 shown]
	ds_store_b64 v244, v[160:161] offset:312
	ds_load_b64 v[178:179], v243
	s_wait_dscnt 0x0
	v_cmp_neq_f32_e32 vcc_lo, 0, v178
	v_cmp_neq_f32_e64 s1, 0, v179
	s_or_b32 s1, vcc_lo, s1
	s_delay_alu instid0(SALU_CYCLE_1)
	s_and_b32 exec_lo, exec_lo, s1
	s_cbranch_execz .LBB79_80
; %bb.75:
	v_cmp_ngt_f32_e64 s1, |v178|, |v179|
                                        ; implicit-def: $vgpr180_vgpr181
	s_and_saveexec_b32 s4, s1
	s_delay_alu instid0(SALU_CYCLE_1)
	s_xor_b32 s1, exec_lo, s4
	s_cbranch_execz .LBB79_77
; %bb.76:
	v_div_scale_f32 v0, null, v179, v179, v178
	v_div_scale_f32 v181, vcc_lo, v178, v179, v178
	s_delay_alu instid0(VALU_DEP_2) | instskip(SKIP_1) | instid1(TRANS32_DEP_1)
	v_rcp_f32_e32 v1, v0
	v_nop
	v_fma_f32 v180, -v0, v1, 1.0
	s_delay_alu instid0(VALU_DEP_1) | instskip(NEXT) | instid1(VALU_DEP_1)
	v_fmac_f32_e32 v1, v180, v1
	v_mul_f32_e32 v180, v181, v1
	s_delay_alu instid0(VALU_DEP_1) | instskip(NEXT) | instid1(VALU_DEP_1)
	v_fma_f32 v182, -v0, v180, v181
	v_fmac_f32_e32 v180, v182, v1
	s_delay_alu instid0(VALU_DEP_1) | instskip(NEXT) | instid1(VALU_DEP_1)
	v_fma_f32 v0, -v0, v180, v181
	v_div_fmas_f32 v0, v0, v1, v180
	s_delay_alu instid0(VALU_DEP_1) | instskip(NEXT) | instid1(VALU_DEP_1)
	v_div_fixup_f32 v0, v0, v179, v178
	v_fmac_f32_e32 v179, v178, v0
	s_delay_alu instid0(VALU_DEP_1) | instskip(SKIP_1) | instid1(VALU_DEP_2)
	v_div_scale_f32 v1, null, v179, v179, 1.0
	v_div_scale_f32 v181, vcc_lo, 1.0, v179, 1.0
	v_rcp_f32_e32 v178, v1
	v_nop
	s_delay_alu instid0(TRANS32_DEP_1) | instskip(NEXT) | instid1(VALU_DEP_1)
	v_fma_f32 v180, -v1, v178, 1.0
	v_fmac_f32_e32 v178, v180, v178
	s_delay_alu instid0(VALU_DEP_1) | instskip(NEXT) | instid1(VALU_DEP_1)
	v_mul_f32_e32 v180, v181, v178
	v_fma_f32 v182, -v1, v180, v181
	s_delay_alu instid0(VALU_DEP_1) | instskip(NEXT) | instid1(VALU_DEP_1)
	v_fmac_f32_e32 v180, v182, v178
	v_fma_f32 v1, -v1, v180, v181
	s_delay_alu instid0(VALU_DEP_1) | instskip(NEXT) | instid1(VALU_DEP_1)
	v_div_fmas_f32 v1, v1, v178, v180
	v_div_fixup_f32 v1, v1, v179, 1.0
                                        ; implicit-def: $vgpr178_vgpr179
	s_delay_alu instid0(VALU_DEP_1)
	v_mul_f32_e32 v180, v0, v1
	v_xor_b32_e32 v181, 0x80000000, v1
.LBB79_77:
	s_and_not1_saveexec_b32 s1, s1
	s_cbranch_execz .LBB79_79
; %bb.78:
	v_div_scale_f32 v0, null, v178, v178, v179
	v_div_scale_f32 v181, vcc_lo, v179, v178, v179
	s_delay_alu instid0(VALU_DEP_2) | instskip(SKIP_1) | instid1(TRANS32_DEP_1)
	v_rcp_f32_e32 v1, v0
	v_nop
	v_fma_f32 v180, -v0, v1, 1.0
	s_delay_alu instid0(VALU_DEP_1) | instskip(NEXT) | instid1(VALU_DEP_1)
	v_fmac_f32_e32 v1, v180, v1
	v_mul_f32_e32 v180, v181, v1
	s_delay_alu instid0(VALU_DEP_1) | instskip(NEXT) | instid1(VALU_DEP_1)
	v_fma_f32 v182, -v0, v180, v181
	v_fmac_f32_e32 v180, v182, v1
	s_delay_alu instid0(VALU_DEP_1) | instskip(NEXT) | instid1(VALU_DEP_1)
	v_fma_f32 v0, -v0, v180, v181
	v_div_fmas_f32 v0, v0, v1, v180
	s_delay_alu instid0(VALU_DEP_1) | instskip(NEXT) | instid1(VALU_DEP_1)
	v_div_fixup_f32 v0, v0, v178, v179
	v_fmac_f32_e32 v178, v179, v0
	s_delay_alu instid0(VALU_DEP_1) | instskip(NEXT) | instid1(VALU_DEP_1)
	v_div_scale_f32 v1, null, v178, v178, 1.0
	v_rcp_f32_e32 v179, v1
	v_nop
	s_delay_alu instid0(TRANS32_DEP_1) | instskip(NEXT) | instid1(VALU_DEP_1)
	v_fma_f32 v180, -v1, v179, 1.0
	v_fmac_f32_e32 v179, v180, v179
	v_div_scale_f32 v180, vcc_lo, 1.0, v178, 1.0
	s_delay_alu instid0(VALU_DEP_1) | instskip(NEXT) | instid1(VALU_DEP_1)
	v_mul_f32_e32 v181, v180, v179
	v_fma_f32 v182, -v1, v181, v180
	s_delay_alu instid0(VALU_DEP_1) | instskip(NEXT) | instid1(VALU_DEP_1)
	v_fmac_f32_e32 v181, v182, v179
	v_fma_f32 v1, -v1, v181, v180
	s_delay_alu instid0(VALU_DEP_1) | instskip(NEXT) | instid1(VALU_DEP_1)
	v_div_fmas_f32 v1, v1, v179, v181
	v_div_fixup_f32 v180, v1, v178, 1.0
	s_delay_alu instid0(VALU_DEP_1)
	v_mul_f32_e64 v181, v0, -v180
.LBB79_79:
	s_or_b32 exec_lo, exec_lo, s1
	ds_store_b64 v243, v[180:181]
.LBB79_80:
	s_or_b32 exec_lo, exec_lo, s2
	s_wait_dscnt 0x0
	s_barrier_signal -1
	s_barrier_wait -1
	ds_load_b64 v[178:179], v243
	s_mov_b32 s1, exec_lo
	v_cmpx_lt_u32_e32 8, v242
	s_cbranch_execz .LBB79_82
; %bb.81:
	ds_load_2addr_b64 v[184:187], v244 offset0:9 offset1:10
	ds_load_2addr_b64 v[188:191], v244 offset0:11 offset1:12
	;; [unrolled: 1-line block ×3, first 2 shown]
	s_wait_dscnt 0x3
	v_pk_mul_f32 v[182:183], v[178:179], v[74:75] op_sel:[1,1] op_sel_hi:[0,1]
	ds_load_2addr_b64 v[196:199], v244 offset0:15 offset1:16
	ds_load_2addr_b64 v[200:203], v244 offset0:17 offset1:18
	v_pk_fma_f32 v[180:181], v[178:179], v[74:75], v[182:183] op_sel_hi:[1,0,1] neg_lo:[0,0,1] neg_hi:[0,0,1]
	v_pk_fma_f32 v[182:183], v[178:179], v[74:75], v[182:183] op_sel_hi:[1,0,1]
	s_delay_alu instid0(VALU_DEP_1) | instskip(SKIP_1) | instid1(VALU_DEP_2)
	v_dual_mov_b32 v74, v180 :: v_dual_mov_b32 v75, v183
	s_wait_dscnt 0x4
	v_pk_mul_f32 v[204:205], v[184:185], v[182:183] op_sel:[0,1]
	v_pk_mul_f32 v[206:207], v[186:187], v[182:183] op_sel:[0,1]
	s_wait_dscnt 0x3
	v_pk_mul_f32 v[208:209], v[188:189], v[182:183] op_sel:[0,1]
	v_dual_mov_b32 v210, v191 :: v_dual_mov_b32 v211, v190
	v_dual_mul_f32 v212, v191, v183 :: v_dual_mul_f32 v214, v191, v180
	v_pk_fma_f32 v[220:221], v[184:185], v[180:181], v[204:205] op_sel:[0,0,1] op_sel_hi:[1,1,0] neg_lo:[0,0,1] neg_hi:[0,0,1]
	v_pk_fma_f32 v[184:185], v[184:185], v[180:181], v[204:205] op_sel:[0,0,1] op_sel_hi:[1,0,0]
	v_pk_fma_f32 v[204:205], v[186:187], v[180:181], v[206:207] op_sel:[0,0,1] op_sel_hi:[1,1,0] neg_lo:[0,0,1] neg_hi:[0,0,1]
	v_pk_fma_f32 v[186:187], v[186:187], v[180:181], v[206:207] op_sel:[0,0,1] op_sel_hi:[1,0,0]
	;; [unrolled: 2-line block ×3, first 2 shown]
	v_pk_fma_f32 v[208:209], v[210:211], v[74:75], v[214:215] op_sel_hi:[1,1,0]
	v_pk_fma_f32 v[190:191], v[190:191], v[74:75], v[212:213] op_sel_hi:[1,1,0] neg_lo:[0,0,1] neg_hi:[0,0,1]
	s_wait_dscnt 0x2
	v_pk_mul_f32 v[216:217], v[192:193], v[182:183] op_sel:[0,1]
	v_pk_mul_f32 v[218:219], v[194:195], v[182:183] op_sel:[0,1]
	v_dual_mov_b32 v221, v185 :: v_dual_mov_b32 v205, v187
	v_dual_mov_b32 v207, v189 :: v_dual_mov_b32 v191, v209
	s_delay_alu instid0(VALU_DEP_4)
	v_pk_fma_f32 v[188:189], v[192:193], v[180:181], v[216:217] op_sel:[0,0,1] op_sel_hi:[1,0,0]
	ds_load_2addr_b64 v[184:187], v244 offset0:19 offset1:20
	v_pk_add_f32 v[72:73], v[72:73], v[204:205] neg_lo:[0,1] neg_hi:[0,1]
	v_pk_fma_f32 v[204:205], v[194:195], v[180:181], v[218:219] op_sel:[0,0,1] op_sel_hi:[1,0,0]
	v_pk_add_f32 v[92:93], v[92:93], v[190:191] neg_lo:[0,1] neg_hi:[0,1]
	s_wait_dscnt 0x2
	v_pk_mul_f32 v[190:191], v[196:197], v[182:183] op_sel:[0,1]
	v_pk_fma_f32 v[192:193], v[192:193], v[180:181], v[216:217] op_sel:[0,0,1] op_sel_hi:[1,1,0] neg_lo:[0,0,1] neg_hi:[0,0,1]
	v_pk_fma_f32 v[194:195], v[194:195], v[180:181], v[218:219] op_sel:[0,0,1] op_sel_hi:[1,1,0] neg_lo:[0,0,1] neg_hi:[0,0,1]
	v_dual_mov_b32 v193, v189 :: v_dual_mov_b32 v195, v205
	s_delay_alu instid0(VALU_DEP_4) | instskip(SKIP_2) | instid1(VALU_DEP_4)
	v_pk_fma_f32 v[188:189], v[196:197], v[180:181], v[190:191] op_sel:[0,0,1] op_sel_hi:[1,0,0]
	v_pk_mul_f32 v[204:205], v[198:199], v[182:183] op_sel:[0,1]
	v_pk_fma_f32 v[196:197], v[196:197], v[180:181], v[190:191] op_sel:[0,0,1] op_sel_hi:[1,1,0] neg_lo:[0,0,1] neg_hi:[0,0,1]
	v_pk_add_f32 v[88:89], v[88:89], v[192:193] neg_lo:[0,1] neg_hi:[0,1]
	v_pk_add_f32 v[90:91], v[90:91], v[194:195] neg_lo:[0,1] neg_hi:[0,1]
	;; [unrolled: 1-line block ×3, first 2 shown]
	v_pk_fma_f32 v[192:193], v[198:199], v[180:181], v[204:205] op_sel:[0,0,1] op_sel_hi:[1,0,0]
	v_mov_b32_e32 v197, v189
	ds_load_2addr_b64 v[188:191], v244 offset0:21 offset1:22
	v_pk_fma_f32 v[194:195], v[198:199], v[180:181], v[204:205] op_sel:[0,0,1] op_sel_hi:[1,1,0] neg_lo:[0,0,1] neg_hi:[0,0,1]
	s_wait_dscnt 0x2
	v_mul_f32_e32 v192, v201, v180
	v_mov_b32_e32 v195, v193
	v_pk_add_f32 v[86:87], v[86:87], v[196:197] neg_lo:[0,1] neg_hi:[0,1]
	v_mul_f32_e32 v196, v201, v183
	v_pk_mul_f32 v[198:199], v[202:203], v[182:183] op_sel:[0,1]
	v_pk_fma_f32 v[192:193], v[200:201], v[74:75], v[192:193] op_sel:[1,0,0] op_sel_hi:[0,1,0]
	s_wait_dscnt 0x1
	v_pk_mul_f32 v[204:205], v[184:185], v[182:183] op_sel:[0,1]
	v_pk_add_f32 v[84:85], v[84:85], v[194:195] neg_lo:[0,1] neg_hi:[0,1]
	v_pk_fma_f32 v[196:197], v[200:201], v[74:75], v[196:197] op_sel_hi:[1,1,0] neg_lo:[0,0,1] neg_hi:[0,0,1]
	v_pk_fma_f32 v[200:201], v[202:203], v[180:181], v[198:199] op_sel:[0,0,1] op_sel_hi:[1,0,0]
	v_pk_fma_f32 v[198:199], v[202:203], v[180:181], v[198:199] op_sel:[0,0,1] op_sel_hi:[1,1,0] neg_lo:[0,0,1] neg_hi:[0,0,1]
	v_mov_b32_e32 v197, v193
	v_pk_fma_f32 v[206:207], v[184:185], v[180:181], v[204:205] op_sel:[0,0,1] op_sel_hi:[1,0,0]
	ds_load_2addr_b64 v[192:195], v244 offset0:23 offset1:24
	v_mov_b32_e32 v199, v201
	v_pk_mul_f32 v[200:201], v[186:187], v[182:183] op_sel:[0,1]
	v_pk_fma_f32 v[184:185], v[184:185], v[180:181], v[204:205] op_sel:[0,0,1] op_sel_hi:[1,1,0] neg_lo:[0,0,1] neg_hi:[0,0,1]
	v_pk_add_f32 v[114:115], v[114:115], v[196:197] neg_lo:[0,1] neg_hi:[0,1]
	s_wait_dscnt 0x1
	v_pk_mul_f32 v[202:203], v[188:189], v[182:183] op_sel:[0,1]
	v_pk_add_f32 v[116:117], v[116:117], v[198:199] neg_lo:[0,1] neg_hi:[0,1]
	v_pk_fma_f32 v[196:197], v[186:187], v[180:181], v[200:201] op_sel:[0,0,1] op_sel_hi:[1,0,0]
	v_mov_b32_e32 v185, v207
	v_pk_fma_f32 v[200:201], v[186:187], v[180:181], v[200:201] op_sel:[0,0,1] op_sel_hi:[1,1,0] neg_lo:[0,0,1] neg_hi:[0,0,1]
	v_pk_fma_f32 v[198:199], v[188:189], v[180:181], v[202:203] op_sel:[0,0,1] op_sel_hi:[1,0,0]
	v_pk_fma_f32 v[188:189], v[188:189], v[180:181], v[202:203] op_sel:[0,0,1] op_sel_hi:[1,1,0] neg_lo:[0,0,1] neg_hi:[0,0,1]
	v_mov_b32_e32 v201, v197
	v_pk_add_f32 v[112:113], v[112:113], v[184:185] neg_lo:[0,1] neg_hi:[0,1]
	ds_load_2addr_b64 v[184:187], v244 offset0:25 offset1:26
	v_dual_mov_b32 v189, v199 :: v_dual_mov_b32 v196, v191
	v_dual_mov_b32 v197, v190 :: v_dual_mul_f32 v198, v191, v180
	v_pk_add_f32 v[110:111], v[110:111], v[200:201] neg_lo:[0,1] neg_hi:[0,1]
	s_delay_alu instid0(VALU_DEP_3)
	v_pk_add_f32 v[142:143], v[142:143], v[188:189] neg_lo:[0,1] neg_hi:[0,1]
	s_wait_dscnt 0x1
	v_pk_mul_f32 v[202:203], v[192:193], v[182:183] op_sel:[0,1]
	v_pk_mul_f32 v[206:207], v[194:195], v[182:183] op_sel:[0,1]
	v_pk_fma_f32 v[200:201], v[196:197], v[74:75], v[198:199] op_sel_hi:[1,1,0]
	v_mul_f32_e32 v188, v191, v183
	ds_load_2addr_b64 v[196:199], v244 offset0:27 offset1:28
	v_pk_fma_f32 v[204:205], v[192:193], v[180:181], v[202:203] op_sel:[0,0,1] op_sel_hi:[1,0,0]
	v_pk_fma_f32 v[192:193], v[192:193], v[180:181], v[202:203] op_sel:[0,0,1] op_sel_hi:[1,1,0] neg_lo:[0,0,1] neg_hi:[0,0,1]
	v_pk_add_f32 v[58:59], v[58:59], v[220:221] neg_lo:[0,1] neg_hi:[0,1]
	v_pk_fma_f32 v[208:209], v[190:191], v[74:75], v[188:189] op_sel_hi:[1,1,0] neg_lo:[0,0,1] neg_hi:[0,0,1]
	v_mov_b32_e32 v209, v201
	v_pk_fma_f32 v[200:201], v[194:195], v[180:181], v[206:207] op_sel:[0,0,1] op_sel_hi:[1,0,0]
	ds_load_2addr_b64 v[188:191], v244 offset0:29 offset1:30
	v_pk_fma_f32 v[194:195], v[194:195], v[180:181], v[206:207] op_sel:[0,0,1] op_sel_hi:[1,1,0] neg_lo:[0,0,1] neg_hi:[0,0,1]
	v_mov_b32_e32 v193, v205
	s_wait_dscnt 0x2
	v_pk_mul_f32 v[202:203], v[184:185], v[182:183] op_sel:[0,1]
	v_mov_b32_e32 v195, v201
	v_pk_mul_f32 v[200:201], v[186:187], v[182:183] op_sel:[0,1]
	ds_load_b64 v[206:207], v244 offset:312
	v_pk_add_f32 v[140:141], v[140:141], v[192:193] neg_lo:[0,1] neg_hi:[0,1]
	v_pk_fma_f32 v[204:205], v[184:185], v[180:181], v[202:203] op_sel:[0,0,1] op_sel_hi:[1,0,0]
	v_pk_add_f32 v[100:101], v[100:101], v[194:195] neg_lo:[0,1] neg_hi:[0,1]
	v_pk_fma_f32 v[184:185], v[184:185], v[180:181], v[202:203] op_sel:[0,0,1] op_sel_hi:[1,1,0] neg_lo:[0,0,1] neg_hi:[0,0,1]
	v_pk_fma_f32 v[202:203], v[186:187], v[180:181], v[200:201] op_sel:[0,0,1] op_sel_hi:[1,0,0]
	ds_load_2addr_b64 v[192:195], v244 offset0:31 offset1:32
	v_pk_fma_f32 v[186:187], v[186:187], v[180:181], v[200:201] op_sel:[0,0,1] op_sel_hi:[1,1,0] neg_lo:[0,0,1] neg_hi:[0,0,1]
	v_mov_b32_e32 v185, v205
	s_wait_dscnt 0x3
	v_dual_mul_f32 v200, v197, v180 :: v_dual_mul_f32 v202, v197, v183
	v_mov_b32_e32 v187, v203
	v_pk_add_f32 v[144:145], v[144:145], v[208:209] neg_lo:[0,1] neg_hi:[0,1]
	v_pk_add_f32 v[96:97], v[96:97], v[184:185] neg_lo:[0,1] neg_hi:[0,1]
	v_pk_mul_f32 v[184:185], v[198:199], v[182:183] op_sel:[0,1]
	v_pk_fma_f32 v[200:201], v[196:197], v[74:75], v[200:201] op_sel:[1,0,0] op_sel_hi:[0,1,0]
	v_pk_add_f32 v[98:99], v[98:99], v[186:187] neg_lo:[0,1] neg_hi:[0,1]
	s_wait_dscnt 0x2
	v_pk_mul_f32 v[186:187], v[188:189], v[182:183] op_sel:[0,1]
	v_pk_fma_f32 v[196:197], v[196:197], v[74:75], v[202:203] op_sel_hi:[1,1,0] neg_lo:[0,0,1] neg_hi:[0,0,1]
	v_pk_fma_f32 v[204:205], v[198:199], v[180:181], v[184:185] op_sel:[0,0,1] op_sel_hi:[1,0,0]
	v_mov_b32_e32 v197, v201
	v_pk_mul_f32 v[202:203], v[190:191], v[182:183] op_sel:[0,1]
	v_pk_fma_f32 v[200:201], v[188:189], v[180:181], v[186:187] op_sel:[0,0,1] op_sel_hi:[1,0,0]
	v_pk_fma_f32 v[198:199], v[198:199], v[180:181], v[184:185] op_sel:[0,0,1] op_sel_hi:[1,1,0] neg_lo:[0,0,1] neg_hi:[0,0,1]
	v_pk_fma_f32 v[188:189], v[188:189], v[180:181], v[186:187] op_sel:[0,0,1] op_sel_hi:[1,1,0] neg_lo:[0,0,1] neg_hi:[0,0,1]
	v_mov_b32_e32 v199, v205
	ds_load_2addr_b64 v[184:187], v244 offset0:33 offset1:34
	v_pk_add_f32 v[94:95], v[94:95], v[196:197] neg_lo:[0,1] neg_hi:[0,1]
	v_pk_fma_f32 v[196:197], v[190:191], v[180:181], v[202:203] op_sel:[0,0,1] op_sel_hi:[1,0,0]
	v_mov_b32_e32 v189, v201
	s_wait_dscnt 0x1
	v_pk_mul_f32 v[200:201], v[192:193], v[182:183] op_sel:[0,1]
	v_pk_add_f32 v[128:129], v[128:129], v[198:199] neg_lo:[0,1] neg_hi:[0,1]
	v_pk_fma_f32 v[202:203], v[190:191], v[180:181], v[202:203] op_sel:[0,0,1] op_sel_hi:[1,1,0] neg_lo:[0,0,1] neg_hi:[0,0,1]
	v_mov_b32_e32 v203, v197
	v_pk_add_f32 v[124:125], v[124:125], v[188:189] neg_lo:[0,1] neg_hi:[0,1]
	v_pk_fma_f32 v[198:199], v[192:193], v[180:181], v[200:201] op_sel:[0,0,1] op_sel_hi:[1,0,0]
	ds_load_2addr_b64 v[188:191], v244 offset0:35 offset1:36
	v_pk_fma_f32 v[192:193], v[192:193], v[180:181], v[200:201] op_sel:[0,0,1] op_sel_hi:[1,1,0] neg_lo:[0,0,1] neg_hi:[0,0,1]
	v_dual_mov_b32 v196, v195 :: v_dual_mov_b32 v197, v194
	v_mul_f32_e32 v198, v195, v180
	v_mov_b32_e32 v193, v199
	v_pk_add_f32 v[126:127], v[126:127], v[202:203] neg_lo:[0,1] neg_hi:[0,1]
	s_delay_alu instid0(VALU_DEP_3)
	v_pk_fma_f32 v[202:203], v[196:197], v[74:75], v[198:199] op_sel_hi:[1,1,0]
	ds_load_2addr_b64 v[196:199], v244 offset0:37 offset1:38
	v_pk_add_f32 v[122:123], v[122:123], v[192:193] neg_lo:[0,1] neg_hi:[0,1]
	v_mul_f32_e32 v192, v195, v183
	s_wait_dscnt 0x2
	v_pk_mul_f32 v[200:201], v[184:185], v[182:183] op_sel:[0,1]
	v_pk_mul_f32 v[204:205], v[186:187], v[182:183] op_sel:[0,1]
	s_delay_alu instid0(VALU_DEP_3) | instskip(NEXT) | instid1(VALU_DEP_3)
	v_pk_fma_f32 v[192:193], v[194:195], v[74:75], v[192:193] op_sel_hi:[1,1,0] neg_lo:[0,0,1] neg_hi:[0,0,1]
	v_pk_fma_f32 v[194:195], v[184:185], v[180:181], v[200:201] op_sel:[0,0,1] op_sel_hi:[1,0,0]
	v_mov_b32_e32 v193, v203
	s_delay_alu instid0(VALU_DEP_4)
	v_pk_fma_f32 v[202:203], v[186:187], v[180:181], v[204:205] op_sel:[0,0,1] op_sel_hi:[1,0,0]
	v_pk_fma_f32 v[184:185], v[184:185], v[180:181], v[200:201] op_sel:[0,0,1] op_sel_hi:[1,1,0] neg_lo:[0,0,1] neg_hi:[0,0,1]
	s_wait_dscnt 0x1
	v_pk_mul_f32 v[200:201], v[188:189], v[182:183] op_sel:[0,1]
	v_pk_fma_f32 v[186:187], v[186:187], v[180:181], v[204:205] op_sel:[0,0,1] op_sel_hi:[1,1,0] neg_lo:[0,0,1] neg_hi:[0,0,1]
	v_dual_mov_b32 v185, v195 :: v_dual_mov_b32 v187, v203
	v_pk_mul_f32 v[194:195], v[190:191], v[182:183] op_sel:[0,1]
	v_pk_add_f32 v[152:153], v[152:153], v[192:193] neg_lo:[0,1] neg_hi:[0,1]
	v_pk_fma_f32 v[192:193], v[188:189], v[180:181], v[200:201] op_sel:[0,0,1] op_sel_hi:[1,0,0]
	s_delay_alu instid0(VALU_DEP_4)
	v_pk_add_f32 v[148:149], v[148:149], v[184:185] neg_lo:[0,1] neg_hi:[0,1]
	v_pk_add_f32 v[150:151], v[150:151], v[186:187] neg_lo:[0,1] neg_hi:[0,1]
	v_pk_fma_f32 v[184:185], v[188:189], v[180:181], v[200:201] op_sel:[0,0,1] op_sel_hi:[1,1,0] neg_lo:[0,0,1] neg_hi:[0,0,1]
	v_pk_fma_f32 v[186:187], v[190:191], v[180:181], v[194:195] op_sel:[0,0,1] op_sel_hi:[1,1,0] neg_lo:[0,0,1] neg_hi:[0,0,1]
	s_wait_dscnt 0x0
	v_mul_f32_e32 v188, v197, v180
	v_pk_fma_f32 v[190:191], v[190:191], v[180:181], v[194:195] op_sel:[0,0,1] op_sel_hi:[1,0,0]
	v_mov_b32_e32 v185, v193
	v_pk_mul_f32 v[192:193], v[198:199], v[182:183] op_sel:[0,1]
	v_mul_f32_e32 v190, v197, v183
	v_pk_mul_f32 v[182:183], v[206:207], v[182:183] op_sel:[0,1]
	v_pk_fma_f32 v[188:189], v[196:197], v[74:75], v[188:189] op_sel:[1,0,0] op_sel_hi:[0,1,0]
	v_mov_b32_e32 v187, v191
	v_pk_fma_f32 v[194:195], v[198:199], v[180:181], v[192:193] op_sel:[0,0,1] op_sel_hi:[1,0,0]
	v_pk_fma_f32 v[190:191], v[196:197], v[74:75], v[190:191] op_sel_hi:[1,1,0] neg_lo:[0,0,1] neg_hi:[0,0,1]
	v_pk_fma_f32 v[196:197], v[206:207], v[180:181], v[182:183] op_sel:[0,0,1] op_sel_hi:[1,0,0]
	v_mov_b32_e32 v191, v189
	v_pk_fma_f32 v[188:189], v[198:199], v[180:181], v[192:193] op_sel:[0,0,1] op_sel_hi:[1,1,0] neg_lo:[0,0,1] neg_hi:[0,0,1]
	v_pk_fma_f32 v[180:181], v[206:207], v[180:181], v[182:183] op_sel:[0,0,1] op_sel_hi:[1,1,0] neg_lo:[0,0,1] neg_hi:[0,0,1]
	s_delay_alu instid0(VALU_DEP_4) | instskip(SKIP_3) | instid1(VALU_DEP_4)
	v_dual_mov_b32 v189, v195 :: v_dual_mov_b32 v181, v197
	v_pk_add_f32 v[146:147], v[146:147], v[184:185] neg_lo:[0,1] neg_hi:[0,1]
	v_pk_add_f32 v[158:159], v[158:159], v[186:187] neg_lo:[0,1] neg_hi:[0,1]
	;; [unrolled: 1-line block ×5, first 2 shown]
.LBB79_82:
	s_or_b32 exec_lo, exec_lo, s1
	s_delay_alu instid0(SALU_CYCLE_1)
	s_mov_b32 s2, exec_lo
	s_wait_dscnt 0x0
	s_barrier_signal -1
	s_barrier_wait -1
	v_cmpx_eq_u32_e32 9, v242
	s_cbranch_execz .LBB79_89
; %bb.83:
	v_dual_mov_b32 v180, v72 :: v_dual_mov_b32 v181, v73
	v_dual_mov_b32 v182, v70 :: v_dual_mov_b32 v183, v71
	;; [unrolled: 1-line block ×8, first 2 shown]
	ds_store_b64 v243, v[58:59]
	ds_store_2addr_b64 v244, v[180:181], v[182:183] offset0:10 offset1:11
	ds_store_2addr_b64 v244, v[184:185], v[186:187] offset0:12 offset1:13
	;; [unrolled: 1-line block ×4, first 2 shown]
	v_dual_mov_b32 v180, v116 :: v_dual_mov_b32 v181, v117
	v_dual_mov_b32 v182, v112 :: v_dual_mov_b32 v183, v113
	;; [unrolled: 1-line block ×12, first 2 shown]
	ds_store_2addr_b64 v244, v[180:181], v[182:183] offset0:18 offset1:19
	ds_store_2addr_b64 v244, v[184:185], v[186:187] offset0:20 offset1:21
	;; [unrolled: 1-line block ×6, first 2 shown]
	v_dual_mov_b32 v180, v126 :: v_dual_mov_b32 v181, v127
	v_dual_mov_b32 v182, v122 :: v_dual_mov_b32 v183, v123
	;; [unrolled: 1-line block ×9, first 2 shown]
	ds_store_2addr_b64 v244, v[180:181], v[182:183] offset0:30 offset1:31
	ds_store_2addr_b64 v244, v[184:185], v[186:187] offset0:32 offset1:33
	;; [unrolled: 1-line block ×5, first 2 shown]
	ds_load_b64 v[180:181], v243
	s_wait_dscnt 0x0
	v_cmp_neq_f32_e32 vcc_lo, 0, v180
	v_cmp_neq_f32_e64 s1, 0, v181
	s_or_b32 s1, vcc_lo, s1
	s_delay_alu instid0(SALU_CYCLE_1)
	s_and_b32 exec_lo, exec_lo, s1
	s_cbranch_execz .LBB79_89
; %bb.84:
	v_cmp_ngt_f32_e64 s1, |v180|, |v181|
                                        ; implicit-def: $vgpr182_vgpr183
	s_and_saveexec_b32 s4, s1
	s_delay_alu instid0(SALU_CYCLE_1)
	s_xor_b32 s1, exec_lo, s4
	s_cbranch_execz .LBB79_86
; %bb.85:
	v_div_scale_f32 v0, null, v181, v181, v180
	v_div_scale_f32 v183, vcc_lo, v180, v181, v180
	s_delay_alu instid0(VALU_DEP_2) | instskip(SKIP_1) | instid1(TRANS32_DEP_1)
	v_rcp_f32_e32 v1, v0
	v_nop
	v_fma_f32 v182, -v0, v1, 1.0
	s_delay_alu instid0(VALU_DEP_1) | instskip(NEXT) | instid1(VALU_DEP_1)
	v_fmac_f32_e32 v1, v182, v1
	v_mul_f32_e32 v182, v183, v1
	s_delay_alu instid0(VALU_DEP_1) | instskip(NEXT) | instid1(VALU_DEP_1)
	v_fma_f32 v184, -v0, v182, v183
	v_fmac_f32_e32 v182, v184, v1
	s_delay_alu instid0(VALU_DEP_1) | instskip(NEXT) | instid1(VALU_DEP_1)
	v_fma_f32 v0, -v0, v182, v183
	v_div_fmas_f32 v0, v0, v1, v182
	s_delay_alu instid0(VALU_DEP_1) | instskip(NEXT) | instid1(VALU_DEP_1)
	v_div_fixup_f32 v0, v0, v181, v180
	v_fmac_f32_e32 v181, v180, v0
	s_delay_alu instid0(VALU_DEP_1) | instskip(SKIP_1) | instid1(VALU_DEP_2)
	v_div_scale_f32 v1, null, v181, v181, 1.0
	v_div_scale_f32 v183, vcc_lo, 1.0, v181, 1.0
	v_rcp_f32_e32 v180, v1
	v_nop
	s_delay_alu instid0(TRANS32_DEP_1) | instskip(NEXT) | instid1(VALU_DEP_1)
	v_fma_f32 v182, -v1, v180, 1.0
	v_fmac_f32_e32 v180, v182, v180
	s_delay_alu instid0(VALU_DEP_1) | instskip(NEXT) | instid1(VALU_DEP_1)
	v_mul_f32_e32 v182, v183, v180
	v_fma_f32 v184, -v1, v182, v183
	s_delay_alu instid0(VALU_DEP_1) | instskip(NEXT) | instid1(VALU_DEP_1)
	v_fmac_f32_e32 v182, v184, v180
	v_fma_f32 v1, -v1, v182, v183
	s_delay_alu instid0(VALU_DEP_1) | instskip(NEXT) | instid1(VALU_DEP_1)
	v_div_fmas_f32 v1, v1, v180, v182
	v_div_fixup_f32 v1, v1, v181, 1.0
                                        ; implicit-def: $vgpr180_vgpr181
	s_delay_alu instid0(VALU_DEP_1)
	v_mul_f32_e32 v182, v0, v1
	v_xor_b32_e32 v183, 0x80000000, v1
.LBB79_86:
	s_and_not1_saveexec_b32 s1, s1
	s_cbranch_execz .LBB79_88
; %bb.87:
	v_div_scale_f32 v0, null, v180, v180, v181
	v_div_scale_f32 v183, vcc_lo, v181, v180, v181
	s_delay_alu instid0(VALU_DEP_2) | instskip(SKIP_1) | instid1(TRANS32_DEP_1)
	v_rcp_f32_e32 v1, v0
	v_nop
	v_fma_f32 v182, -v0, v1, 1.0
	s_delay_alu instid0(VALU_DEP_1) | instskip(NEXT) | instid1(VALU_DEP_1)
	v_fmac_f32_e32 v1, v182, v1
	v_mul_f32_e32 v182, v183, v1
	s_delay_alu instid0(VALU_DEP_1) | instskip(NEXT) | instid1(VALU_DEP_1)
	v_fma_f32 v184, -v0, v182, v183
	v_fmac_f32_e32 v182, v184, v1
	s_delay_alu instid0(VALU_DEP_1) | instskip(NEXT) | instid1(VALU_DEP_1)
	v_fma_f32 v0, -v0, v182, v183
	v_div_fmas_f32 v0, v0, v1, v182
	s_delay_alu instid0(VALU_DEP_1) | instskip(NEXT) | instid1(VALU_DEP_1)
	v_div_fixup_f32 v0, v0, v180, v181
	v_fmac_f32_e32 v180, v181, v0
	s_delay_alu instid0(VALU_DEP_1) | instskip(NEXT) | instid1(VALU_DEP_1)
	v_div_scale_f32 v1, null, v180, v180, 1.0
	v_rcp_f32_e32 v181, v1
	v_nop
	s_delay_alu instid0(TRANS32_DEP_1) | instskip(NEXT) | instid1(VALU_DEP_1)
	v_fma_f32 v182, -v1, v181, 1.0
	v_fmac_f32_e32 v181, v182, v181
	v_div_scale_f32 v182, vcc_lo, 1.0, v180, 1.0
	s_delay_alu instid0(VALU_DEP_1) | instskip(NEXT) | instid1(VALU_DEP_1)
	v_mul_f32_e32 v183, v182, v181
	v_fma_f32 v184, -v1, v183, v182
	s_delay_alu instid0(VALU_DEP_1) | instskip(NEXT) | instid1(VALU_DEP_1)
	v_fmac_f32_e32 v183, v184, v181
	v_fma_f32 v1, -v1, v183, v182
	s_delay_alu instid0(VALU_DEP_1) | instskip(NEXT) | instid1(VALU_DEP_1)
	v_div_fmas_f32 v1, v1, v181, v183
	v_div_fixup_f32 v182, v1, v180, 1.0
	s_delay_alu instid0(VALU_DEP_1)
	v_mul_f32_e64 v183, v0, -v182
.LBB79_88:
	s_or_b32 exec_lo, exec_lo, s1
	ds_store_b64 v243, v[182:183]
.LBB79_89:
	s_or_b32 exec_lo, exec_lo, s2
	s_wait_dscnt 0x0
	s_barrier_signal -1
	s_barrier_wait -1
	ds_load_b64 v[180:181], v243
	s_mov_b32 s1, exec_lo
	v_cmpx_lt_u32_e32 9, v242
	s_cbranch_execz .LBB79_91
; %bb.90:
	ds_load_2addr_b64 v[186:189], v244 offset0:10 offset1:11
	ds_load_2addr_b64 v[190:193], v244 offset0:12 offset1:13
	;; [unrolled: 1-line block ×3, first 2 shown]
	s_wait_dscnt 0x3
	v_pk_mul_f32 v[182:183], v[180:181], v[58:59] op_sel:[1,1] op_sel_hi:[0,1]
	ds_load_2addr_b64 v[198:201], v244 offset0:16 offset1:17
	ds_load_2addr_b64 v[202:205], v244 offset0:18 offset1:19
	v_pk_fma_f32 v[184:185], v[180:181], v[58:59], v[182:183] op_sel_hi:[1,0,1] neg_lo:[0,0,1] neg_hi:[0,0,1]
	v_pk_fma_f32 v[182:183], v[180:181], v[58:59], v[182:183] op_sel_hi:[1,0,1]
	s_delay_alu instid0(VALU_DEP_1) | instskip(SKIP_1) | instid1(VALU_DEP_2)
	v_dual_mov_b32 v58, v184 :: v_dual_mov_b32 v59, v183
	s_wait_dscnt 0x4
	v_pk_mul_f32 v[206:207], v[186:187], v[182:183] op_sel:[0,1]
	v_pk_mul_f32 v[208:209], v[188:189], v[182:183] op_sel:[0,1]
	s_wait_dscnt 0x3
	v_pk_mul_f32 v[210:211], v[190:191], v[182:183] op_sel:[0,1]
	v_dual_mov_b32 v212, v193 :: v_dual_mov_b32 v213, v192
	v_pk_fma_f32 v[224:225], v[186:187], v[184:185], v[206:207] op_sel:[0,0,1] op_sel_hi:[1,1,0] neg_lo:[0,0,1] neg_hi:[0,0,1]
	v_pk_fma_f32 v[186:187], v[186:187], v[184:185], v[206:207] op_sel:[0,0,1] op_sel_hi:[1,0,0]
	v_pk_fma_f32 v[206:207], v[188:189], v[184:185], v[208:209] op_sel:[0,0,1] op_sel_hi:[1,1,0] neg_lo:[0,0,1] neg_hi:[0,0,1]
	v_pk_fma_f32 v[188:189], v[188:189], v[184:185], v[208:209] op_sel:[0,0,1] op_sel_hi:[1,0,0]
	v_dual_mul_f32 v214, v193, v183 :: v_dual_mul_f32 v216, v193, v184
	s_wait_dscnt 0x2
	v_pk_mul_f32 v[218:219], v[194:195], v[182:183] op_sel:[0,1]
	v_pk_fma_f32 v[208:209], v[190:191], v[184:185], v[210:211] op_sel:[0,0,1] op_sel_hi:[1,1,0] neg_lo:[0,0,1] neg_hi:[0,0,1]
	v_pk_fma_f32 v[190:191], v[190:191], v[184:185], v[210:211] op_sel:[0,0,1] op_sel_hi:[1,0,0]
	v_pk_mul_f32 v[220:221], v[196:197], v[182:183] op_sel:[0,1]
	v_dual_mov_b32 v225, v187 :: v_dual_mov_b32 v207, v189
	v_pk_fma_f32 v[210:211], v[212:213], v[58:59], v[216:217] op_sel_hi:[1,1,0]
	s_delay_alu instid0(VALU_DEP_4)
	v_mov_b32_e32 v209, v191
	v_pk_fma_f32 v[190:191], v[194:195], v[184:185], v[218:219] op_sel:[0,0,1] op_sel_hi:[1,0,0]
	s_wait_dscnt 0x1
	v_pk_mul_f32 v[222:223], v[198:199], v[182:183] op_sel:[0,1]
	v_pk_add_f32 v[70:71], v[70:71], v[206:207] neg_lo:[0,1] neg_hi:[0,1]
	v_pk_fma_f32 v[206:207], v[196:197], v[184:185], v[220:221] op_sel:[0,0,1] op_sel_hi:[1,0,0]
	ds_load_2addr_b64 v[186:189], v244 offset0:20 offset1:21
	v_pk_fma_f32 v[194:195], v[194:195], v[184:185], v[218:219] op_sel:[0,0,1] op_sel_hi:[1,1,0] neg_lo:[0,0,1] neg_hi:[0,0,1]
	v_pk_fma_f32 v[192:193], v[192:193], v[58:59], v[214:215] op_sel_hi:[1,1,0] neg_lo:[0,0,1] neg_hi:[0,0,1]
	v_mov_b32_e32 v195, v191
	v_pk_fma_f32 v[190:191], v[196:197], v[184:185], v[220:221] op_sel:[0,0,1] op_sel_hi:[1,1,0] neg_lo:[0,0,1] neg_hi:[0,0,1]
	v_mov_b32_e32 v193, v211
	v_pk_add_f32 v[92:93], v[92:93], v[208:209] neg_lo:[0,1] neg_hi:[0,1]
	v_pk_fma_f32 v[208:209], v[198:199], v[184:185], v[222:223] op_sel:[0,0,1] op_sel_hi:[1,0,0]
	v_mov_b32_e32 v191, v207
	v_pk_fma_f32 v[196:197], v[198:199], v[184:185], v[222:223] op_sel:[0,0,1] op_sel_hi:[1,1,0] neg_lo:[0,0,1] neg_hi:[0,0,1]
	v_pk_add_f32 v[88:89], v[88:89], v[192:193] neg_lo:[0,1] neg_hi:[0,1]
	v_pk_mul_f32 v[192:193], v[200:201], v[182:183] op_sel:[0,1]
	v_mov_b32_e32 v197, v209
	v_pk_add_f32 v[86:87], v[86:87], v[190:191] neg_lo:[0,1] neg_hi:[0,1]
	s_wait_dscnt 0x1
	v_mul_f32_e32 v190, v203, v184
	v_pk_add_f32 v[90:91], v[90:91], v[194:195] neg_lo:[0,1] neg_hi:[0,1]
	v_pk_fma_f32 v[198:199], v[200:201], v[184:185], v[192:193] op_sel:[0,0,1] op_sel_hi:[1,1,0] neg_lo:[0,0,1] neg_hi:[0,0,1]
	v_pk_fma_f32 v[194:195], v[200:201], v[184:185], v[192:193] op_sel:[0,0,1] op_sel_hi:[1,0,0]
	v_pk_add_f32 v[84:85], v[84:85], v[196:197] neg_lo:[0,1] neg_hi:[0,1]
	v_pk_fma_f32 v[200:201], v[202:203], v[58:59], v[190:191] op_sel:[1,0,0] op_sel_hi:[0,1,0]
	ds_load_2addr_b64 v[190:193], v244 offset0:22 offset1:23
	v_mul_f32_e32 v194, v203, v183
	v_pk_mul_f32 v[196:197], v[204:205], v[182:183] op_sel:[0,1]
	s_wait_dscnt 0x1
	v_pk_mul_f32 v[206:207], v[186:187], v[182:183] op_sel:[0,1]
	v_pk_add_f32 v[72:73], v[72:73], v[224:225] neg_lo:[0,1] neg_hi:[0,1]
	v_pk_fma_f32 v[202:203], v[202:203], v[58:59], v[194:195] op_sel_hi:[1,1,0] neg_lo:[0,0,1] neg_hi:[0,0,1]
	v_pk_fma_f32 v[208:209], v[204:205], v[184:185], v[196:197] op_sel:[0,0,1] op_sel_hi:[1,0,0]
	v_mov_b32_e32 v203, v201
	v_pk_fma_f32 v[200:201], v[204:205], v[184:185], v[196:197] op_sel:[0,0,1] op_sel_hi:[1,1,0] neg_lo:[0,0,1] neg_hi:[0,0,1]
	v_pk_fma_f32 v[204:205], v[186:187], v[184:185], v[206:207] op_sel:[0,0,1] op_sel_hi:[1,0,0]
	s_delay_alu instid0(VALU_DEP_4)
	v_dual_mov_b32 v199, v195 :: v_dual_mov_b32 v201, v209
	v_pk_fma_f32 v[186:187], v[186:187], v[184:185], v[206:207] op_sel:[0,0,1] op_sel_hi:[1,1,0] neg_lo:[0,0,1] neg_hi:[0,0,1]
	v_pk_mul_f32 v[206:207], v[188:189], v[182:183] op_sel:[0,1]
	ds_load_2addr_b64 v[194:197], v244 offset0:24 offset1:25
	v_mov_b32_e32 v187, v205
	v_pk_add_f32 v[116:117], v[116:117], v[202:203] neg_lo:[0,1] neg_hi:[0,1]
	v_pk_add_f32 v[114:115], v[114:115], v[198:199] neg_lo:[0,1] neg_hi:[0,1]
	v_pk_fma_f32 v[202:203], v[188:189], v[184:185], v[206:207] op_sel:[0,0,1] op_sel_hi:[1,0,0]
	v_pk_add_f32 v[112:113], v[112:113], v[200:201] neg_lo:[0,1] neg_hi:[0,1]
	ds_load_2addr_b64 v[198:201], v244 offset0:26 offset1:27
	s_wait_dscnt 0x2
	v_mov_b32_e32 v202, v193
	v_pk_add_f32 v[110:111], v[110:111], v[186:187] neg_lo:[0,1] neg_hi:[0,1]
	v_pk_fma_f32 v[186:187], v[188:189], v[184:185], v[206:207] op_sel:[0,0,1] op_sel_hi:[1,1,0] neg_lo:[0,0,1] neg_hi:[0,0,1]
	v_pk_mul_f32 v[188:189], v[190:191], v[182:183] op_sel:[0,1]
	v_dual_mov_b32 v187, v203 :: v_dual_mov_b32 v203, v192
	v_mul_f32_e32 v204, v193, v184
	s_delay_alu instid0(VALU_DEP_3) | instskip(NEXT) | instid1(VALU_DEP_3)
	v_pk_fma_f32 v[206:207], v[190:191], v[184:185], v[188:189] op_sel:[0,0,1] op_sel_hi:[1,0,0]
	v_pk_add_f32 v[142:143], v[142:143], v[186:187] neg_lo:[0,1] neg_hi:[0,1]
	v_mul_f32_e32 v186, v193, v183
	v_pk_fma_f32 v[190:191], v[190:191], v[184:185], v[188:189] op_sel:[0,0,1] op_sel_hi:[1,1,0] neg_lo:[0,0,1] neg_hi:[0,0,1]
	v_pk_fma_f32 v[202:203], v[202:203], v[58:59], v[204:205] op_sel_hi:[1,1,0]
	v_mov_b32_e32 v191, v207
	s_wait_dscnt 0x1
	v_pk_mul_f32 v[204:205], v[194:195], v[182:183] op_sel:[0,1]
	v_pk_fma_f32 v[192:193], v[192:193], v[58:59], v[186:187] op_sel_hi:[1,1,0] neg_lo:[0,0,1] neg_hi:[0,0,1]
	ds_load_2addr_b64 v[186:189], v244 offset0:28 offset1:29
	v_mov_b32_e32 v193, v203
	v_pk_add_f32 v[144:145], v[144:145], v[190:191] neg_lo:[0,1] neg_hi:[0,1]
	v_pk_fma_f32 v[190:191], v[194:195], v[184:185], v[204:205] op_sel:[0,0,1] op_sel_hi:[1,0,0]
	v_pk_mul_f32 v[202:203], v[196:197], v[182:183] op_sel:[0,1]
	s_wait_dscnt 0x1
	v_pk_mul_f32 v[206:207], v[198:199], v[182:183] op_sel:[0,1]
	v_pk_fma_f32 v[194:195], v[194:195], v[184:185], v[204:205] op_sel:[0,0,1] op_sel_hi:[1,1,0] neg_lo:[0,0,1] neg_hi:[0,0,1]
	v_pk_add_f32 v[140:141], v[140:141], v[192:193] neg_lo:[0,1] neg_hi:[0,1]
	v_pk_fma_f32 v[204:205], v[196:197], v[184:185], v[202:203] op_sel:[0,0,1] op_sel_hi:[1,0,0]
	v_mov_b32_e32 v195, v191
	ds_load_2addr_b64 v[190:193], v244 offset0:30 offset1:31
	v_pk_fma_f32 v[208:209], v[198:199], v[184:185], v[206:207] op_sel:[0,0,1] op_sel_hi:[1,0,0]
	v_pk_fma_f32 v[196:197], v[196:197], v[184:185], v[202:203] op_sel:[0,0,1] op_sel_hi:[1,1,0] neg_lo:[0,0,1] neg_hi:[0,0,1]
	v_pk_mul_f32 v[202:203], v[200:201], v[182:183] op_sel:[0,1]
	v_pk_fma_f32 v[198:199], v[198:199], v[184:185], v[206:207] op_sel:[0,0,1] op_sel_hi:[1,1,0] neg_lo:[0,0,1] neg_hi:[0,0,1]
	s_delay_alu instid0(VALU_DEP_4) | instskip(SKIP_1) | instid1(VALU_DEP_4)
	v_dual_mov_b32 v197, v205 :: v_dual_mov_b32 v199, v209
	v_pk_add_f32 v[100:101], v[100:101], v[194:195] neg_lo:[0,1] neg_hi:[0,1]
	v_pk_fma_f32 v[194:195], v[200:201], v[184:185], v[202:203] op_sel:[0,0,1] op_sel_hi:[1,0,0]
	s_wait_dscnt 0x1
	v_mul_f32_e32 v194, v187, v184
	v_pk_add_f32 v[96:97], v[96:97], v[196:197] neg_lo:[0,1] neg_hi:[0,1]
	v_pk_add_f32 v[98:99], v[98:99], v[198:199] neg_lo:[0,1] neg_hi:[0,1]
	v_pk_fma_f32 v[198:199], v[200:201], v[184:185], v[202:203] op_sel:[0,0,1] op_sel_hi:[1,1,0] neg_lo:[0,0,1] neg_hi:[0,0,1]
	v_mul_f32_e32 v200, v187, v183
	v_pk_fma_f32 v[202:203], v[186:187], v[58:59], v[194:195] op_sel:[1,0,0] op_sel_hi:[0,1,0]
	v_mov_b32_e32 v199, v195
	ds_load_2addr_b64 v[194:197], v244 offset0:32 offset1:33
	v_pk_mul_f32 v[204:205], v[188:189], v[182:183] op_sel:[0,1]
	v_pk_fma_f32 v[186:187], v[186:187], v[58:59], v[200:201] op_sel_hi:[1,1,0] neg_lo:[0,0,1] neg_hi:[0,0,1]
	v_mov_b32_e32 v187, v203
	s_wait_dscnt 0x1
	v_pk_mul_f32 v[202:203], v[190:191], v[182:183] op_sel:[0,1]
	v_pk_add_f32 v[94:95], v[94:95], v[198:199] neg_lo:[0,1] neg_hi:[0,1]
	v_pk_fma_f32 v[206:207], v[188:189], v[184:185], v[204:205] op_sel:[0,0,1] op_sel_hi:[1,0,0]
	v_pk_mul_f32 v[208:209], v[192:193], v[182:183] op_sel:[0,1]
	ds_load_2addr_b64 v[198:201], v244 offset0:34 offset1:35
	v_pk_add_f32 v[128:129], v[128:129], v[186:187] neg_lo:[0,1] neg_hi:[0,1]
	v_pk_fma_f32 v[186:187], v[190:191], v[184:185], v[202:203] op_sel:[0,0,1] op_sel_hi:[1,0,0]
	v_pk_fma_f32 v[188:189], v[188:189], v[184:185], v[204:205] op_sel:[0,0,1] op_sel_hi:[1,1,0] neg_lo:[0,0,1] neg_hi:[0,0,1]
	v_pk_fma_f32 v[204:205], v[192:193], v[184:185], v[208:209] op_sel:[0,0,1] op_sel_hi:[1,0,0]
	v_mov_b32_e32 v189, v207
	v_pk_fma_f32 v[190:191], v[190:191], v[184:185], v[202:203] op_sel:[0,0,1] op_sel_hi:[1,1,0] neg_lo:[0,0,1] neg_hi:[0,0,1]
	v_mov_b32_e32 v191, v187
	v_pk_fma_f32 v[192:193], v[192:193], v[184:185], v[208:209] op_sel:[0,0,1] op_sel_hi:[1,1,0] neg_lo:[0,0,1] neg_hi:[0,0,1]
	v_mov_b32_e32 v193, v205
	v_pk_add_f32 v[124:125], v[124:125], v[188:189] neg_lo:[0,1] neg_hi:[0,1]
	ds_load_2addr_b64 v[186:189], v244 offset0:36 offset1:37
	v_pk_add_f32 v[126:127], v[126:127], v[190:191] neg_lo:[0,1] neg_hi:[0,1]
	s_wait_dscnt 0x2
	v_pk_mul_f32 v[190:191], v[194:195], v[182:183] op_sel:[0,1]
	v_pk_add_f32 v[122:123], v[122:123], v[192:193] neg_lo:[0,1] neg_hi:[0,1]
	v_dual_mov_b32 v192, v197 :: v_dual_mov_b32 v193, v196
	v_mul_f32_e32 v202, v197, v184
	s_delay_alu instid0(VALU_DEP_4)
	v_pk_fma_f32 v[204:205], v[194:195], v[184:185], v[190:191] op_sel:[0,0,1] op_sel_hi:[1,1,0] neg_lo:[0,0,1] neg_hi:[0,0,1]
	v_pk_fma_f32 v[194:195], v[194:195], v[184:185], v[190:191] op_sel:[0,0,1] op_sel_hi:[1,0,0]
	v_mul_f32_e32 v194, v197, v183
	s_wait_dscnt 0x1
	v_pk_mul_f32 v[206:207], v[198:199], v[182:183] op_sel:[0,1]
	v_pk_fma_f32 v[202:203], v[192:193], v[58:59], v[202:203] op_sel_hi:[1,1,0]
	ds_load_2addr_b64 v[190:193], v244 offset0:38 offset1:39
	v_mov_b32_e32 v205, v195
	v_pk_fma_f32 v[194:195], v[196:197], v[58:59], v[194:195] op_sel_hi:[1,1,0] neg_lo:[0,0,1] neg_hi:[0,0,1]
	v_pk_fma_f32 v[208:209], v[198:199], v[184:185], v[206:207] op_sel:[0,0,1] op_sel_hi:[1,0,0]
	v_mov_b32_e32 v195, v203
	v_pk_fma_f32 v[196:197], v[198:199], v[184:185], v[206:207] op_sel:[0,0,1] op_sel_hi:[1,1,0] neg_lo:[0,0,1] neg_hi:[0,0,1]
	v_pk_mul_f32 v[198:199], v[200:201], v[182:183] op_sel:[0,1]
	v_pk_add_f32 v[152:153], v[152:153], v[204:205] neg_lo:[0,1] neg_hi:[0,1]
	s_wait_dscnt 0x1
	v_pk_mul_f32 v[202:203], v[186:187], v[182:183] op_sel:[0,1]
	v_pk_add_f32 v[148:149], v[148:149], v[194:195] neg_lo:[0,1] neg_hi:[0,1]
	v_pk_mul_f32 v[204:205], v[188:189], v[182:183] op_sel:[0,1]
	v_pk_fma_f32 v[194:195], v[200:201], v[184:185], v[198:199] op_sel:[0,0,1] op_sel_hi:[1,0,0]
	v_mov_b32_e32 v197, v209
	v_pk_fma_f32 v[198:199], v[200:201], v[184:185], v[198:199] op_sel:[0,0,1] op_sel_hi:[1,1,0] neg_lo:[0,0,1] neg_hi:[0,0,1]
	s_delay_alu instid0(VALU_DEP_3) | instskip(NEXT) | instid1(VALU_DEP_3)
	v_mov_b32_e32 v199, v195
	v_pk_add_f32 v[150:151], v[150:151], v[196:197] neg_lo:[0,1] neg_hi:[0,1]
	v_pk_fma_f32 v[196:197], v[186:187], v[184:185], v[202:203] op_sel:[0,0,1] op_sel_hi:[1,0,0]
	v_pk_fma_f32 v[186:187], v[186:187], v[184:185], v[202:203] op_sel:[0,0,1] op_sel_hi:[1,1,0] neg_lo:[0,0,1] neg_hi:[0,0,1]
	s_wait_dscnt 0x0
	v_dual_mul_f32 v182, v191, v184 :: v_dual_mov_b32 v196, v193
	v_mul_f32_e32 v200, v193, v184
	v_dual_mov_b32 v187, v197 :: v_dual_mov_b32 v197, v192
	v_pk_fma_f32 v[194:195], v[188:189], v[184:185], v[204:205] op_sel:[0,0,1] op_sel_hi:[1,1,0] neg_lo:[0,0,1] neg_hi:[0,0,1]
	v_pk_fma_f32 v[184:185], v[188:189], v[184:185], v[204:205] op_sel:[0,0,1] op_sel_hi:[1,0,0]
	v_mul_f32_e32 v184, v191, v183
	v_pk_fma_f32 v[188:189], v[190:191], v[58:59], v[182:183] op_sel:[1,0,0] op_sel_hi:[0,1,0]
	v_mul_f32_e32 v182, v193, v183
	v_pk_fma_f32 v[196:197], v[196:197], v[58:59], v[200:201] op_sel_hi:[1,1,0]
	v_mov_b32_e32 v195, v185
	v_pk_fma_f32 v[184:185], v[190:191], v[58:59], v[184:185] op_sel_hi:[1,1,0] neg_lo:[0,0,1] neg_hi:[0,0,1]
	v_mov_b32_e32 v185, v189
	v_pk_fma_f32 v[182:183], v[192:193], v[58:59], v[182:183] op_sel_hi:[1,1,0] neg_lo:[0,0,1] neg_hi:[0,0,1]
	v_mov_b32_e32 v183, v197
	v_pk_add_f32 v[146:147], v[146:147], v[198:199] neg_lo:[0,1] neg_hi:[0,1]
	v_pk_add_f32 v[158:159], v[158:159], v[186:187] neg_lo:[0,1] neg_hi:[0,1]
	;; [unrolled: 1-line block ×5, first 2 shown]
.LBB79_91:
	s_or_b32 exec_lo, exec_lo, s1
	s_delay_alu instid0(SALU_CYCLE_1)
	s_mov_b32 s2, exec_lo
	s_wait_dscnt 0x0
	s_barrier_signal -1
	s_barrier_wait -1
	v_cmpx_eq_u32_e32 10, v242
	s_cbranch_execz .LBB79_98
; %bb.92:
	ds_store_b64 v243, v[72:73]
	ds_store_2addr_b64 v244, v[70:71], v[92:93] offset0:11 offset1:12
	ds_store_2addr_b64 v244, v[88:89], v[90:91] offset0:13 offset1:14
	;; [unrolled: 1-line block ×14, first 2 shown]
	ds_store_b64 v244, v[160:161] offset:312
	ds_load_b64 v[182:183], v243
	s_wait_dscnt 0x0
	v_cmp_neq_f32_e32 vcc_lo, 0, v182
	v_cmp_neq_f32_e64 s1, 0, v183
	s_or_b32 s1, vcc_lo, s1
	s_delay_alu instid0(SALU_CYCLE_1)
	s_and_b32 exec_lo, exec_lo, s1
	s_cbranch_execz .LBB79_98
; %bb.93:
	v_cmp_ngt_f32_e64 s1, |v182|, |v183|
                                        ; implicit-def: $vgpr184_vgpr185
	s_and_saveexec_b32 s4, s1
	s_delay_alu instid0(SALU_CYCLE_1)
	s_xor_b32 s1, exec_lo, s4
	s_cbranch_execz .LBB79_95
; %bb.94:
	v_div_scale_f32 v0, null, v183, v183, v182
	v_div_scale_f32 v185, vcc_lo, v182, v183, v182
	s_delay_alu instid0(VALU_DEP_2) | instskip(SKIP_1) | instid1(TRANS32_DEP_1)
	v_rcp_f32_e32 v1, v0
	v_nop
	v_fma_f32 v184, -v0, v1, 1.0
	s_delay_alu instid0(VALU_DEP_1) | instskip(NEXT) | instid1(VALU_DEP_1)
	v_fmac_f32_e32 v1, v184, v1
	v_mul_f32_e32 v184, v185, v1
	s_delay_alu instid0(VALU_DEP_1) | instskip(NEXT) | instid1(VALU_DEP_1)
	v_fma_f32 v186, -v0, v184, v185
	v_fmac_f32_e32 v184, v186, v1
	s_delay_alu instid0(VALU_DEP_1) | instskip(NEXT) | instid1(VALU_DEP_1)
	v_fma_f32 v0, -v0, v184, v185
	v_div_fmas_f32 v0, v0, v1, v184
	s_delay_alu instid0(VALU_DEP_1) | instskip(NEXT) | instid1(VALU_DEP_1)
	v_div_fixup_f32 v0, v0, v183, v182
	v_fmac_f32_e32 v183, v182, v0
	s_delay_alu instid0(VALU_DEP_1) | instskip(SKIP_1) | instid1(VALU_DEP_2)
	v_div_scale_f32 v1, null, v183, v183, 1.0
	v_div_scale_f32 v185, vcc_lo, 1.0, v183, 1.0
	v_rcp_f32_e32 v182, v1
	v_nop
	s_delay_alu instid0(TRANS32_DEP_1) | instskip(NEXT) | instid1(VALU_DEP_1)
	v_fma_f32 v184, -v1, v182, 1.0
	v_fmac_f32_e32 v182, v184, v182
	s_delay_alu instid0(VALU_DEP_1) | instskip(NEXT) | instid1(VALU_DEP_1)
	v_mul_f32_e32 v184, v185, v182
	v_fma_f32 v186, -v1, v184, v185
	s_delay_alu instid0(VALU_DEP_1) | instskip(NEXT) | instid1(VALU_DEP_1)
	v_fmac_f32_e32 v184, v186, v182
	v_fma_f32 v1, -v1, v184, v185
	s_delay_alu instid0(VALU_DEP_1) | instskip(NEXT) | instid1(VALU_DEP_1)
	v_div_fmas_f32 v1, v1, v182, v184
	v_div_fixup_f32 v1, v1, v183, 1.0
                                        ; implicit-def: $vgpr182_vgpr183
	s_delay_alu instid0(VALU_DEP_1)
	v_mul_f32_e32 v184, v0, v1
	v_xor_b32_e32 v185, 0x80000000, v1
.LBB79_95:
	s_and_not1_saveexec_b32 s1, s1
	s_cbranch_execz .LBB79_97
; %bb.96:
	v_div_scale_f32 v0, null, v182, v182, v183
	v_div_scale_f32 v185, vcc_lo, v183, v182, v183
	s_delay_alu instid0(VALU_DEP_2) | instskip(SKIP_1) | instid1(TRANS32_DEP_1)
	v_rcp_f32_e32 v1, v0
	v_nop
	v_fma_f32 v184, -v0, v1, 1.0
	s_delay_alu instid0(VALU_DEP_1) | instskip(NEXT) | instid1(VALU_DEP_1)
	v_fmac_f32_e32 v1, v184, v1
	v_mul_f32_e32 v184, v185, v1
	s_delay_alu instid0(VALU_DEP_1) | instskip(NEXT) | instid1(VALU_DEP_1)
	v_fma_f32 v186, -v0, v184, v185
	v_fmac_f32_e32 v184, v186, v1
	s_delay_alu instid0(VALU_DEP_1) | instskip(NEXT) | instid1(VALU_DEP_1)
	v_fma_f32 v0, -v0, v184, v185
	v_div_fmas_f32 v0, v0, v1, v184
	s_delay_alu instid0(VALU_DEP_1) | instskip(NEXT) | instid1(VALU_DEP_1)
	v_div_fixup_f32 v0, v0, v182, v183
	v_fmac_f32_e32 v182, v183, v0
	s_delay_alu instid0(VALU_DEP_1) | instskip(NEXT) | instid1(VALU_DEP_1)
	v_div_scale_f32 v1, null, v182, v182, 1.0
	v_rcp_f32_e32 v183, v1
	v_nop
	s_delay_alu instid0(TRANS32_DEP_1) | instskip(NEXT) | instid1(VALU_DEP_1)
	v_fma_f32 v184, -v1, v183, 1.0
	v_fmac_f32_e32 v183, v184, v183
	v_div_scale_f32 v184, vcc_lo, 1.0, v182, 1.0
	s_delay_alu instid0(VALU_DEP_1) | instskip(NEXT) | instid1(VALU_DEP_1)
	v_mul_f32_e32 v185, v184, v183
	v_fma_f32 v186, -v1, v185, v184
	s_delay_alu instid0(VALU_DEP_1) | instskip(NEXT) | instid1(VALU_DEP_1)
	v_fmac_f32_e32 v185, v186, v183
	v_fma_f32 v1, -v1, v185, v184
	s_delay_alu instid0(VALU_DEP_1) | instskip(NEXT) | instid1(VALU_DEP_1)
	v_div_fmas_f32 v1, v1, v183, v185
	v_div_fixup_f32 v184, v1, v182, 1.0
	s_delay_alu instid0(VALU_DEP_1)
	v_mul_f32_e64 v185, v0, -v184
.LBB79_97:
	s_or_b32 exec_lo, exec_lo, s1
	ds_store_b64 v243, v[184:185]
.LBB79_98:
	s_or_b32 exec_lo, exec_lo, s2
	s_wait_dscnt 0x0
	s_barrier_signal -1
	s_barrier_wait -1
	ds_load_b64 v[182:183], v243
	s_mov_b32 s1, exec_lo
	v_cmpx_lt_u32_e32 10, v242
	s_cbranch_execz .LBB79_100
; %bb.99:
	ds_load_2addr_b64 v[188:191], v244 offset0:11 offset1:12
	ds_load_2addr_b64 v[192:195], v244 offset0:13 offset1:14
	;; [unrolled: 1-line block ×3, first 2 shown]
	s_wait_dscnt 0x3
	v_pk_mul_f32 v[186:187], v[182:183], v[72:73] op_sel:[1,1] op_sel_hi:[0,1]
	ds_load_2addr_b64 v[200:203], v244 offset0:17 offset1:18
	ds_load_2addr_b64 v[204:207], v244 offset0:19 offset1:20
	v_pk_fma_f32 v[184:185], v[182:183], v[72:73], v[186:187] op_sel_hi:[1,0,1] neg_lo:[0,0,1] neg_hi:[0,0,1]
	v_pk_fma_f32 v[186:187], v[182:183], v[72:73], v[186:187] op_sel_hi:[1,0,1]
	s_delay_alu instid0(VALU_DEP_1) | instskip(SKIP_1) | instid1(VALU_DEP_2)
	v_dual_mov_b32 v72, v184 :: v_dual_mov_b32 v73, v187
	s_wait_dscnt 0x4
	v_pk_mul_f32 v[208:209], v[188:189], v[186:187] op_sel:[0,1]
	v_pk_mul_f32 v[210:211], v[190:191], v[186:187] op_sel:[0,1]
	s_wait_dscnt 0x3
	v_pk_mul_f32 v[212:213], v[192:193], v[186:187] op_sel:[0,1]
	v_dual_mov_b32 v214, v195 :: v_dual_mov_b32 v215, v194
	v_dual_mul_f32 v216, v195, v187 :: v_dual_mul_f32 v218, v195, v184
	s_wait_dscnt 0x2
	v_pk_mul_f32 v[220:221], v[196:197], v[186:187] op_sel:[0,1]
	v_pk_mul_f32 v[222:223], v[198:199], v[186:187] op_sel:[0,1]
	v_pk_fma_f32 v[224:225], v[188:189], v[184:185], v[208:209] op_sel:[0,0,1] op_sel_hi:[1,1,0] neg_lo:[0,0,1] neg_hi:[0,0,1]
	v_pk_fma_f32 v[188:189], v[188:189], v[184:185], v[208:209] op_sel:[0,0,1] op_sel_hi:[1,0,0]
	v_pk_fma_f32 v[208:209], v[190:191], v[184:185], v[210:211] op_sel:[0,0,1] op_sel_hi:[1,1,0] neg_lo:[0,0,1] neg_hi:[0,0,1]
	v_pk_fma_f32 v[190:191], v[190:191], v[184:185], v[210:211] op_sel:[0,0,1] op_sel_hi:[1,0,0]
	;; [unrolled: 2-line block ×3, first 2 shown]
	v_pk_fma_f32 v[212:213], v[214:215], v[72:73], v[218:219] op_sel_hi:[1,1,0]
	v_pk_fma_f32 v[214:215], v[196:197], v[184:185], v[220:221] op_sel:[0,0,1] op_sel_hi:[1,1,0] neg_lo:[0,0,1] neg_hi:[0,0,1]
	v_pk_fma_f32 v[196:197], v[196:197], v[184:185], v[220:221] op_sel:[0,0,1] op_sel_hi:[1,0,0]
	v_dual_mov_b32 v225, v189 :: v_dual_mov_b32 v209, v191
	v_pk_fma_f32 v[188:189], v[198:199], v[184:185], v[222:223] op_sel:[0,0,1] op_sel_hi:[1,0,0]
	v_pk_fma_f32 v[190:191], v[198:199], v[184:185], v[222:223] op_sel:[0,0,1] op_sel_hi:[1,1,0] neg_lo:[0,0,1] neg_hi:[0,0,1]
	s_delay_alu instid0(VALU_DEP_4)
	v_mov_b32_e32 v215, v197
	v_pk_fma_f32 v[194:195], v[194:195], v[72:73], v[216:217] op_sel_hi:[1,1,0] neg_lo:[0,0,1] neg_hi:[0,0,1]
	v_dual_mov_b32 v211, v193 :: v_dual_mov_b32 v195, v213
	v_mov_b32_e32 v191, v189
	s_wait_dscnt 0x1
	v_pk_mul_f32 v[192:193], v[200:201], v[186:187] op_sel:[0,1]
	v_pk_add_f32 v[92:93], v[92:93], v[208:209] neg_lo:[0,1] neg_hi:[0,1]
	s_wait_dscnt 0x0
	v_pk_mul_f32 v[208:209], v[206:207], v[186:187] op_sel:[0,1]
	v_pk_add_f32 v[90:91], v[90:91], v[194:195] neg_lo:[0,1] neg_hi:[0,1]
	v_pk_add_f32 v[84:85], v[84:85], v[190:191] neg_lo:[0,1] neg_hi:[0,1]
	ds_load_2addr_b64 v[188:191], v244 offset0:21 offset1:22
	v_pk_fma_f32 v[196:197], v[200:201], v[184:185], v[192:193] op_sel:[0,0,1] op_sel_hi:[1,0,0]
	v_pk_fma_f32 v[198:199], v[200:201], v[184:185], v[192:193] op_sel:[0,0,1] op_sel_hi:[1,1,0] neg_lo:[0,0,1] neg_hi:[0,0,1]
	v_pk_mul_f32 v[200:201], v[202:203], v[186:187] op_sel:[0,1]
	ds_load_2addr_b64 v[192:195], v244 offset0:23 offset1:24
	v_mul_f32_e32 v196, v205, v184
	v_pk_add_f32 v[88:89], v[88:89], v[210:211] neg_lo:[0,1] neg_hi:[0,1]
	v_pk_add_f32 v[86:87], v[86:87], v[214:215] neg_lo:[0,1] neg_hi:[0,1]
	v_pk_fma_f32 v[210:211], v[202:203], v[184:185], v[200:201] op_sel:[0,0,1] op_sel_hi:[1,0,0]
	v_mul_f32_e32 v210, v205, v187
	v_mov_b32_e32 v199, v197
	v_pk_fma_f32 v[196:197], v[204:205], v[72:73], v[196:197] op_sel:[1,0,0] op_sel_hi:[0,1,0]
	v_pk_fma_f32 v[200:201], v[202:203], v[184:185], v[200:201] op_sel:[0,0,1] op_sel_hi:[1,1,0] neg_lo:[0,0,1] neg_hi:[0,0,1]
	v_pk_fma_f32 v[202:203], v[206:207], v[184:185], v[208:209] op_sel:[0,0,1] op_sel_hi:[1,0,0]
	v_mov_b32_e32 v201, v211
	v_pk_fma_f32 v[204:205], v[204:205], v[72:73], v[210:211] op_sel_hi:[1,1,0] neg_lo:[0,0,1] neg_hi:[0,0,1]
	v_mov_b32_e32 v205, v197
	v_pk_fma_f32 v[196:197], v[206:207], v[184:185], v[208:209] op_sel:[0,0,1] op_sel_hi:[1,1,0] neg_lo:[0,0,1] neg_hi:[0,0,1]
	v_mov_b32_e32 v197, v203
	v_pk_add_f32 v[116:117], v[116:117], v[200:201] neg_lo:[0,1] neg_hi:[0,1]
	s_wait_dscnt 0x1
	v_pk_mul_f32 v[200:201], v[188:189], v[186:187] op_sel:[0,1]
	v_pk_add_f32 v[114:115], v[114:115], v[198:199] neg_lo:[0,1] neg_hi:[0,1]
	v_pk_add_f32 v[112:113], v[112:113], v[204:205] neg_lo:[0,1] neg_hi:[0,1]
	;; [unrolled: 1-line block ×3, first 2 shown]
	ds_load_2addr_b64 v[196:199], v244 offset0:25 offset1:26
	s_wait_dscnt 0x1
	v_pk_mul_f32 v[206:207], v[192:193], v[186:187] op_sel:[0,1]
	v_pk_mul_f32 v[204:205], v[190:191], v[186:187] op_sel:[0,1]
	v_pk_fma_f32 v[208:209], v[188:189], v[184:185], v[200:201] op_sel:[0,0,1] op_sel_hi:[1,0,0]
	v_pk_fma_f32 v[188:189], v[188:189], v[184:185], v[200:201] op_sel:[0,0,1] op_sel_hi:[1,1,0] neg_lo:[0,0,1] neg_hi:[0,0,1]
	ds_load_2addr_b64 v[200:203], v244 offset0:27 offset1:28
	v_pk_fma_f32 v[212:213], v[192:193], v[184:185], v[206:207] op_sel:[0,0,1] op_sel_hi:[1,0,0]
	v_pk_fma_f32 v[210:211], v[190:191], v[184:185], v[204:205] op_sel:[0,0,1] op_sel_hi:[1,0,0]
	v_pk_fma_f32 v[192:193], v[192:193], v[184:185], v[206:207] op_sel:[0,0,1] op_sel_hi:[1,1,0] neg_lo:[0,0,1] neg_hi:[0,0,1]
	v_pk_fma_f32 v[190:191], v[190:191], v[184:185], v[204:205] op_sel:[0,0,1] op_sel_hi:[1,1,0] neg_lo:[0,0,1] neg_hi:[0,0,1]
	s_delay_alu instid0(VALU_DEP_4) | instskip(SKIP_2) | instid1(VALU_DEP_3)
	v_dual_mov_b32 v204, v195 :: v_dual_mov_b32 v193, v213
	v_dual_mov_b32 v205, v194 :: v_dual_mul_f32 v206, v195, v184
	v_dual_mov_b32 v189, v209 :: v_dual_mov_b32 v191, v211
	v_pk_add_f32 v[140:141], v[140:141], v[192:193] neg_lo:[0,1] neg_hi:[0,1]
	v_pk_add_f32 v[70:71], v[70:71], v[224:225] neg_lo:[0,1] neg_hi:[0,1]
	s_delay_alu instid0(VALU_DEP_4)
	v_pk_fma_f32 v[204:205], v[204:205], v[72:73], v[206:207] op_sel_hi:[1,1,0]
	v_mul_f32_e32 v192, v195, v187
	v_pk_add_f32 v[142:143], v[142:143], v[188:189] neg_lo:[0,1] neg_hi:[0,1]
	v_pk_add_f32 v[144:145], v[144:145], v[190:191] neg_lo:[0,1] neg_hi:[0,1]
	ds_load_2addr_b64 v[188:191], v244 offset0:29 offset1:30
	s_wait_dscnt 0x2
	v_pk_mul_f32 v[206:207], v[196:197], v[186:187] op_sel:[0,1]
	v_pk_mul_f32 v[208:209], v[198:199], v[186:187] op_sel:[0,1]
	v_pk_fma_f32 v[210:211], v[194:195], v[72:73], v[192:193] op_sel_hi:[1,1,0] neg_lo:[0,0,1] neg_hi:[0,0,1]
	v_mov_b32_e32 v211, v205
	s_wait_dscnt 0x1
	v_pk_mul_f32 v[204:205], v[200:201], v[186:187] op_sel:[0,1]
	ds_load_2addr_b64 v[192:195], v244 offset0:31 offset1:32
	v_pk_fma_f32 v[212:213], v[196:197], v[184:185], v[206:207] op_sel:[0,0,1] op_sel_hi:[1,0,0]
	v_pk_fma_f32 v[214:215], v[198:199], v[184:185], v[208:209] op_sel:[0,0,1] op_sel_hi:[1,0,0]
	v_pk_fma_f32 v[196:197], v[196:197], v[184:185], v[206:207] op_sel:[0,0,1] op_sel_hi:[1,1,0] neg_lo:[0,0,1] neg_hi:[0,0,1]
	v_pk_fma_f32 v[206:207], v[200:201], v[184:185], v[204:205] op_sel:[0,0,1] op_sel_hi:[1,0,0]
	v_pk_fma_f32 v[198:199], v[198:199], v[184:185], v[208:209] op_sel:[0,0,1] op_sel_hi:[1,1,0] neg_lo:[0,0,1] neg_hi:[0,0,1]
	s_delay_alu instid0(VALU_DEP_4) | instskip(SKIP_1) | instid1(VALU_DEP_4)
	v_dual_mov_b32 v197, v213 :: v_dual_mov_b32 v199, v215
	v_pk_fma_f32 v[200:201], v[200:201], v[184:185], v[204:205] op_sel:[0,0,1] op_sel_hi:[1,1,0] neg_lo:[0,0,1] neg_hi:[0,0,1]
	v_mov_b32_e32 v201, v207
	v_pk_mul_f32 v[204:205], v[202:203], v[186:187] op_sel:[0,1]
	s_delay_alu instid0(VALU_DEP_4)
	v_pk_add_f32 v[96:97], v[96:97], v[196:197] neg_lo:[0,1] neg_hi:[0,1]
	v_pk_add_f32 v[98:99], v[98:99], v[198:199] neg_lo:[0,1] neg_hi:[0,1]
	ds_load_2addr_b64 v[196:199], v244 offset0:33 offset1:34
	s_wait_dscnt 0x2
	v_mul_f32_e32 v206, v189, v184
	v_pk_add_f32 v[94:95], v[94:95], v[200:201] neg_lo:[0,1] neg_hi:[0,1]
	v_pk_fma_f32 v[200:201], v[202:203], v[184:185], v[204:205] op_sel:[0,0,1] op_sel_hi:[1,1,0] neg_lo:[0,0,1] neg_hi:[0,0,1]
	v_pk_fma_f32 v[202:203], v[202:203], v[184:185], v[204:205] op_sel:[0,0,1] op_sel_hi:[1,0,0]
	v_mul_f32_e32 v202, v189, v187
	v_pk_mul_f32 v[204:205], v[190:191], v[186:187] op_sel:[0,1]
	v_pk_add_f32 v[100:101], v[100:101], v[210:211] neg_lo:[0,1] neg_hi:[0,1]
	v_pk_fma_f32 v[206:207], v[188:189], v[72:73], v[206:207] op_sel:[1,0,0] op_sel_hi:[0,1,0]
	s_wait_dscnt 0x1
	v_pk_mul_f32 v[208:209], v[192:193], v[186:187] op_sel:[0,1]
	v_mov_b32_e32 v201, v203
	v_pk_fma_f32 v[210:211], v[190:191], v[184:185], v[204:205] op_sel:[0,0,1] op_sel_hi:[1,0,0]
	v_pk_fma_f32 v[202:203], v[188:189], v[72:73], v[202:203] op_sel_hi:[1,1,0] neg_lo:[0,0,1] neg_hi:[0,0,1]
	v_pk_fma_f32 v[204:205], v[190:191], v[184:185], v[204:205] op_sel:[0,0,1] op_sel_hi:[1,1,0] neg_lo:[0,0,1] neg_hi:[0,0,1]
	ds_load_2addr_b64 v[188:191], v244 offset0:35 offset1:36
	v_dual_mov_b32 v203, v207 :: v_dual_mov_b32 v205, v211
	v_pk_fma_f32 v[206:207], v[192:193], v[184:185], v[208:209] op_sel:[0,0,1] op_sel_hi:[1,0,0]
	v_pk_fma_f32 v[192:193], v[192:193], v[184:185], v[208:209] op_sel:[0,0,1] op_sel_hi:[1,1,0] neg_lo:[0,0,1] neg_hi:[0,0,1]
	v_pk_add_f32 v[128:129], v[128:129], v[200:201] neg_lo:[0,1] neg_hi:[0,1]
	s_delay_alu instid0(VALU_DEP_4)
	v_pk_add_f32 v[124:125], v[124:125], v[202:203] neg_lo:[0,1] neg_hi:[0,1]
	v_pk_add_f32 v[126:127], v[126:127], v[204:205] neg_lo:[0,1] neg_hi:[0,1]
	v_mov_b32_e32 v193, v207
	v_pk_mul_f32 v[206:207], v[194:195], v[186:187] op_sel:[0,1]
	s_wait_dscnt 0x1
	v_pk_mul_f32 v[204:205], v[196:197], v[186:187] op_sel:[0,1]
	ds_load_b64 v[208:209], v244 offset:312
	v_pk_fma_f32 v[202:203], v[194:195], v[184:185], v[206:207] op_sel:[0,0,1] op_sel_hi:[1,0,0]
	v_pk_fma_f32 v[200:201], v[194:195], v[184:185], v[206:207] op_sel:[0,0,1] op_sel_hi:[1,1,0] neg_lo:[0,0,1] neg_hi:[0,0,1]
	v_mov_b32_e32 v206, v199
	v_pk_add_f32 v[122:123], v[122:123], v[192:193] neg_lo:[0,1] neg_hi:[0,1]
	ds_load_2addr_b64 v[192:195], v244 offset0:37 offset1:38
	v_pk_fma_f32 v[210:211], v[196:197], v[184:185], v[204:205] op_sel:[0,0,1] op_sel_hi:[1,0,0]
	v_mov_b32_e32 v201, v203
	v_pk_fma_f32 v[196:197], v[196:197], v[184:185], v[204:205] op_sel:[0,0,1] op_sel_hi:[1,1,0] neg_lo:[0,0,1] neg_hi:[0,0,1]
	s_wait_dscnt 0x2
	v_pk_mul_f32 v[204:205], v[188:189], v[186:187] op_sel:[0,1]
	v_dual_mov_b32 v207, v198 :: v_dual_mul_f32 v202, v199, v184
	v_mov_b32_e32 v197, v211
	v_pk_add_f32 v[152:153], v[152:153], v[200:201] neg_lo:[0,1] neg_hi:[0,1]
	s_delay_alu instid0(VALU_DEP_4)
	v_pk_fma_f32 v[200:201], v[188:189], v[184:185], v[204:205] op_sel:[0,0,1] op_sel_hi:[1,0,0]
	v_mul_f32_e32 v210, v199, v187
	v_pk_fma_f32 v[202:203], v[206:207], v[72:73], v[202:203] op_sel_hi:[1,1,0]
	v_pk_add_f32 v[148:149], v[148:149], v[196:197] neg_lo:[0,1] neg_hi:[0,1]
	v_pk_mul_f32 v[196:197], v[190:191], v[186:187] op_sel:[0,1]
	v_pk_fma_f32 v[188:189], v[188:189], v[184:185], v[204:205] op_sel:[0,0,1] op_sel_hi:[1,1,0] neg_lo:[0,0,1] neg_hi:[0,0,1]
	v_mov_b32_e32 v189, v201
	v_pk_fma_f32 v[198:199], v[198:199], v[72:73], v[210:211] op_sel_hi:[1,1,0] neg_lo:[0,0,1] neg_hi:[0,0,1]
	s_delay_alu instid0(VALU_DEP_4)
	v_pk_fma_f32 v[200:201], v[190:191], v[184:185], v[196:197] op_sel:[0,0,1] op_sel_hi:[1,0,0]
	v_mov_b32_e32 v199, v203
	v_pk_fma_f32 v[190:191], v[190:191], v[184:185], v[196:197] op_sel:[0,0,1] op_sel_hi:[1,1,0] neg_lo:[0,0,1] neg_hi:[0,0,1]
	s_wait_dscnt 0x0
	v_pk_mul_f32 v[202:203], v[194:195], v[186:187] op_sel:[0,1]
	v_pk_add_f32 v[146:147], v[146:147], v[188:189] neg_lo:[0,1] neg_hi:[0,1]
	v_mov_b32_e32 v191, v201
	v_pk_add_f32 v[150:151], v[150:151], v[198:199] neg_lo:[0,1] neg_hi:[0,1]
	v_pk_mul_f32 v[198:199], v[192:193], v[186:187] op_sel:[0,1]
	v_pk_mul_f32 v[186:187], v[208:209], v[186:187] op_sel:[0,1]
	v_pk_fma_f32 v[200:201], v[194:195], v[184:185], v[202:203] op_sel:[0,0,1] op_sel_hi:[1,0,0]
	v_pk_fma_f32 v[194:195], v[194:195], v[184:185], v[202:203] op_sel:[0,0,1] op_sel_hi:[1,1,0] neg_lo:[0,0,1] neg_hi:[0,0,1]
	v_pk_add_f32 v[158:159], v[158:159], v[190:191] neg_lo:[0,1] neg_hi:[0,1]
	v_pk_fma_f32 v[196:197], v[192:193], v[184:185], v[198:199] op_sel:[0,0,1] op_sel_hi:[1,0,0]
	v_pk_fma_f32 v[192:193], v[192:193], v[184:185], v[198:199] op_sel:[0,0,1] op_sel_hi:[1,1,0] neg_lo:[0,0,1] neg_hi:[0,0,1]
	v_pk_fma_f32 v[198:199], v[208:209], v[184:185], v[186:187] op_sel:[0,0,1] op_sel_hi:[1,0,0]
	v_pk_fma_f32 v[184:185], v[208:209], v[184:185], v[186:187] op_sel:[0,0,1] op_sel_hi:[1,1,0] neg_lo:[0,0,1] neg_hi:[0,0,1]
	s_delay_alu instid0(VALU_DEP_4) | instskip(NEXT) | instid1(VALU_DEP_3)
	v_dual_mov_b32 v195, v201 :: v_dual_mov_b32 v193, v197
	v_mov_b32_e32 v185, v199
	s_delay_alu instid0(VALU_DEP_2) | instskip(NEXT) | instid1(VALU_DEP_3)
	v_pk_add_f32 v[154:155], v[154:155], v[194:195] neg_lo:[0,1] neg_hi:[0,1]
	v_pk_add_f32 v[156:157], v[156:157], v[192:193] neg_lo:[0,1] neg_hi:[0,1]
	s_delay_alu instid0(VALU_DEP_3)
	v_pk_add_f32 v[160:161], v[160:161], v[184:185] neg_lo:[0,1] neg_hi:[0,1]
.LBB79_100:
	s_or_b32 exec_lo, exec_lo, s1
	s_delay_alu instid0(SALU_CYCLE_1)
	s_mov_b32 s2, exec_lo
	s_wait_dscnt 0x0
	s_barrier_signal -1
	s_barrier_wait -1
	v_cmpx_eq_u32_e32 11, v242
	s_cbranch_execz .LBB79_107
; %bb.101:
	v_dual_mov_b32 v184, v92 :: v_dual_mov_b32 v185, v93
	v_dual_mov_b32 v186, v88 :: v_dual_mov_b32 v187, v89
	;; [unrolled: 1-line block ×4, first 2 shown]
	ds_store_b64 v243, v[70:71]
	ds_store_2addr_b64 v244, v[184:185], v[186:187] offset0:12 offset1:13
	ds_store_2addr_b64 v244, v[188:189], v[190:191] offset0:14 offset1:15
	v_dual_mov_b32 v184, v84 :: v_dual_mov_b32 v185, v85
	v_dual_mov_b32 v186, v114 :: v_dual_mov_b32 v187, v115
	v_dual_mov_b32 v188, v116 :: v_dual_mov_b32 v189, v117
	v_dual_mov_b32 v190, v112 :: v_dual_mov_b32 v191, v113
	v_dual_mov_b32 v192, v110 :: v_dual_mov_b32 v193, v111
	v_dual_mov_b32 v194, v142 :: v_dual_mov_b32 v195, v143
	v_dual_mov_b32 v196, v144 :: v_dual_mov_b32 v197, v145
	v_dual_mov_b32 v198, v140 :: v_dual_mov_b32 v199, v141
	v_dual_mov_b32 v200, v100 :: v_dual_mov_b32 v201, v101
	v_dual_mov_b32 v202, v96 :: v_dual_mov_b32 v203, v97
	v_dual_mov_b32 v204, v98 :: v_dual_mov_b32 v205, v99
	v_dual_mov_b32 v206, v94 :: v_dual_mov_b32 v207, v95
	ds_store_2addr_b64 v244, v[184:185], v[186:187] offset0:16 offset1:17
	ds_store_2addr_b64 v244, v[188:189], v[190:191] offset0:18 offset1:19
	ds_store_2addr_b64 v244, v[192:193], v[194:195] offset0:20 offset1:21
	ds_store_2addr_b64 v244, v[196:197], v[198:199] offset0:22 offset1:23
	ds_store_2addr_b64 v244, v[200:201], v[202:203] offset0:24 offset1:25
	ds_store_2addr_b64 v244, v[204:205], v[206:207] offset0:26 offset1:27
	v_dual_mov_b32 v184, v128 :: v_dual_mov_b32 v185, v129
	v_dual_mov_b32 v186, v124 :: v_dual_mov_b32 v187, v125
	v_dual_mov_b32 v188, v126 :: v_dual_mov_b32 v189, v127
	v_dual_mov_b32 v190, v122 :: v_dual_mov_b32 v191, v123
	v_dual_mov_b32 v192, v152 :: v_dual_mov_b32 v193, v153
	v_dual_mov_b32 v194, v148 :: v_dual_mov_b32 v195, v149
	v_dual_mov_b32 v196, v150 :: v_dual_mov_b32 v197, v151
	v_dual_mov_b32 v198, v146 :: v_dual_mov_b32 v199, v147
	v_dual_mov_b32 v200, v158 :: v_dual_mov_b32 v201, v159
	v_dual_mov_b32 v202, v156 :: v_dual_mov_b32 v203, v157
	v_dual_mov_b32 v204, v154 :: v_dual_mov_b32 v205, v155
	ds_store_2addr_b64 v244, v[184:185], v[186:187] offset0:28 offset1:29
	ds_store_2addr_b64 v244, v[188:189], v[190:191] offset0:30 offset1:31
	;; [unrolled: 1-line block ×6, first 2 shown]
	ds_load_b64 v[184:185], v243
	s_wait_dscnt 0x0
	v_cmp_neq_f32_e32 vcc_lo, 0, v184
	v_cmp_neq_f32_e64 s1, 0, v185
	s_or_b32 s1, vcc_lo, s1
	s_delay_alu instid0(SALU_CYCLE_1)
	s_and_b32 exec_lo, exec_lo, s1
	s_cbranch_execz .LBB79_107
; %bb.102:
	v_cmp_ngt_f32_e64 s1, |v184|, |v185|
                                        ; implicit-def: $vgpr186_vgpr187
	s_and_saveexec_b32 s4, s1
	s_delay_alu instid0(SALU_CYCLE_1)
	s_xor_b32 s1, exec_lo, s4
	s_cbranch_execz .LBB79_104
; %bb.103:
	v_div_scale_f32 v0, null, v185, v185, v184
	v_div_scale_f32 v187, vcc_lo, v184, v185, v184
	s_delay_alu instid0(VALU_DEP_2) | instskip(SKIP_1) | instid1(TRANS32_DEP_1)
	v_rcp_f32_e32 v1, v0
	v_nop
	v_fma_f32 v186, -v0, v1, 1.0
	s_delay_alu instid0(VALU_DEP_1) | instskip(NEXT) | instid1(VALU_DEP_1)
	v_fmac_f32_e32 v1, v186, v1
	v_mul_f32_e32 v186, v187, v1
	s_delay_alu instid0(VALU_DEP_1) | instskip(NEXT) | instid1(VALU_DEP_1)
	v_fma_f32 v188, -v0, v186, v187
	v_fmac_f32_e32 v186, v188, v1
	s_delay_alu instid0(VALU_DEP_1) | instskip(NEXT) | instid1(VALU_DEP_1)
	v_fma_f32 v0, -v0, v186, v187
	v_div_fmas_f32 v0, v0, v1, v186
	s_delay_alu instid0(VALU_DEP_1) | instskip(NEXT) | instid1(VALU_DEP_1)
	v_div_fixup_f32 v0, v0, v185, v184
	v_fmac_f32_e32 v185, v184, v0
	s_delay_alu instid0(VALU_DEP_1) | instskip(SKIP_1) | instid1(VALU_DEP_2)
	v_div_scale_f32 v1, null, v185, v185, 1.0
	v_div_scale_f32 v187, vcc_lo, 1.0, v185, 1.0
	v_rcp_f32_e32 v184, v1
	v_nop
	s_delay_alu instid0(TRANS32_DEP_1) | instskip(NEXT) | instid1(VALU_DEP_1)
	v_fma_f32 v186, -v1, v184, 1.0
	v_fmac_f32_e32 v184, v186, v184
	s_delay_alu instid0(VALU_DEP_1) | instskip(NEXT) | instid1(VALU_DEP_1)
	v_mul_f32_e32 v186, v187, v184
	v_fma_f32 v188, -v1, v186, v187
	s_delay_alu instid0(VALU_DEP_1) | instskip(NEXT) | instid1(VALU_DEP_1)
	v_fmac_f32_e32 v186, v188, v184
	v_fma_f32 v1, -v1, v186, v187
	s_delay_alu instid0(VALU_DEP_1) | instskip(NEXT) | instid1(VALU_DEP_1)
	v_div_fmas_f32 v1, v1, v184, v186
	v_div_fixup_f32 v1, v1, v185, 1.0
                                        ; implicit-def: $vgpr184_vgpr185
	s_delay_alu instid0(VALU_DEP_1)
	v_mul_f32_e32 v186, v0, v1
	v_xor_b32_e32 v187, 0x80000000, v1
.LBB79_104:
	s_and_not1_saveexec_b32 s1, s1
	s_cbranch_execz .LBB79_106
; %bb.105:
	v_div_scale_f32 v0, null, v184, v184, v185
	v_div_scale_f32 v187, vcc_lo, v185, v184, v185
	s_delay_alu instid0(VALU_DEP_2) | instskip(SKIP_1) | instid1(TRANS32_DEP_1)
	v_rcp_f32_e32 v1, v0
	v_nop
	v_fma_f32 v186, -v0, v1, 1.0
	s_delay_alu instid0(VALU_DEP_1) | instskip(NEXT) | instid1(VALU_DEP_1)
	v_fmac_f32_e32 v1, v186, v1
	v_mul_f32_e32 v186, v187, v1
	s_delay_alu instid0(VALU_DEP_1) | instskip(NEXT) | instid1(VALU_DEP_1)
	v_fma_f32 v188, -v0, v186, v187
	v_fmac_f32_e32 v186, v188, v1
	s_delay_alu instid0(VALU_DEP_1) | instskip(NEXT) | instid1(VALU_DEP_1)
	v_fma_f32 v0, -v0, v186, v187
	v_div_fmas_f32 v0, v0, v1, v186
	s_delay_alu instid0(VALU_DEP_1) | instskip(NEXT) | instid1(VALU_DEP_1)
	v_div_fixup_f32 v0, v0, v184, v185
	v_fmac_f32_e32 v184, v185, v0
	s_delay_alu instid0(VALU_DEP_1) | instskip(NEXT) | instid1(VALU_DEP_1)
	v_div_scale_f32 v1, null, v184, v184, 1.0
	v_rcp_f32_e32 v185, v1
	v_nop
	s_delay_alu instid0(TRANS32_DEP_1) | instskip(NEXT) | instid1(VALU_DEP_1)
	v_fma_f32 v186, -v1, v185, 1.0
	v_fmac_f32_e32 v185, v186, v185
	v_div_scale_f32 v186, vcc_lo, 1.0, v184, 1.0
	s_delay_alu instid0(VALU_DEP_1) | instskip(NEXT) | instid1(VALU_DEP_1)
	v_mul_f32_e32 v187, v186, v185
	v_fma_f32 v188, -v1, v187, v186
	s_delay_alu instid0(VALU_DEP_1) | instskip(NEXT) | instid1(VALU_DEP_1)
	v_fmac_f32_e32 v187, v188, v185
	v_fma_f32 v1, -v1, v187, v186
	s_delay_alu instid0(VALU_DEP_1) | instskip(NEXT) | instid1(VALU_DEP_1)
	v_div_fmas_f32 v1, v1, v185, v187
	v_div_fixup_f32 v186, v1, v184, 1.0
	s_delay_alu instid0(VALU_DEP_1)
	v_mul_f32_e64 v187, v0, -v186
.LBB79_106:
	s_or_b32 exec_lo, exec_lo, s1
	ds_store_b64 v243, v[186:187]
.LBB79_107:
	s_or_b32 exec_lo, exec_lo, s2
	s_wait_dscnt 0x0
	s_barrier_signal -1
	s_barrier_wait -1
	ds_load_b64 v[184:185], v243
	s_mov_b32 s1, exec_lo
	v_cmpx_lt_u32_e32 11, v242
	s_cbranch_execz .LBB79_109
; %bb.108:
	ds_load_2addr_b64 v[190:193], v244 offset0:12 offset1:13
	ds_load_2addr_b64 v[194:197], v244 offset0:14 offset1:15
	;; [unrolled: 1-line block ×3, first 2 shown]
	s_wait_dscnt 0x3
	v_pk_mul_f32 v[188:189], v[184:185], v[70:71] op_sel:[1,1] op_sel_hi:[0,1]
	ds_load_2addr_b64 v[202:205], v244 offset0:18 offset1:19
	ds_load_2addr_b64 v[206:209], v244 offset0:20 offset1:21
	v_pk_fma_f32 v[186:187], v[184:185], v[70:71], v[188:189] op_sel_hi:[1,0,1] neg_lo:[0,0,1] neg_hi:[0,0,1]
	v_pk_fma_f32 v[188:189], v[184:185], v[70:71], v[188:189] op_sel_hi:[1,0,1]
	s_delay_alu instid0(VALU_DEP_1) | instskip(SKIP_1) | instid1(VALU_DEP_2)
	v_dual_mov_b32 v70, v186 :: v_dual_mov_b32 v71, v189
	s_wait_dscnt 0x4
	v_pk_mul_f32 v[210:211], v[190:191], v[188:189] op_sel:[0,1]
	v_pk_mul_f32 v[212:213], v[192:193], v[188:189] op_sel:[0,1]
	s_wait_dscnt 0x3
	v_pk_mul_f32 v[214:215], v[194:195], v[188:189] op_sel:[0,1]
	v_dual_mov_b32 v216, v197 :: v_dual_mov_b32 v217, v196
	v_dual_mul_f32 v218, v197, v189 :: v_dual_mul_f32 v220, v197, v186
	s_wait_dscnt 0x2
	v_pk_mul_f32 v[222:223], v[198:199], v[188:189] op_sel:[0,1]
	v_pk_mul_f32 v[224:225], v[200:201], v[188:189] op_sel:[0,1]
	v_pk_fma_f32 v[226:227], v[190:191], v[186:187], v[210:211] op_sel:[0,0,1] op_sel_hi:[1,1,0] neg_lo:[0,0,1] neg_hi:[0,0,1]
	v_pk_fma_f32 v[190:191], v[190:191], v[186:187], v[210:211] op_sel:[0,0,1] op_sel_hi:[1,0,0]
	v_pk_fma_f32 v[210:211], v[192:193], v[186:187], v[212:213] op_sel:[0,0,1] op_sel_hi:[1,1,0] neg_lo:[0,0,1] neg_hi:[0,0,1]
	v_pk_fma_f32 v[192:193], v[192:193], v[186:187], v[212:213] op_sel:[0,0,1] op_sel_hi:[1,0,0]
	;; [unrolled: 2-line block ×3, first 2 shown]
	v_pk_fma_f32 v[214:215], v[216:217], v[70:71], v[220:221] op_sel_hi:[1,1,0]
	v_pk_fma_f32 v[196:197], v[196:197], v[70:71], v[218:219] op_sel_hi:[1,1,0] neg_lo:[0,0,1] neg_hi:[0,0,1]
	v_dual_mov_b32 v227, v191 :: v_dual_mov_b32 v211, v193
	s_delay_alu instid0(VALU_DEP_3)
	v_dual_mov_b32 v213, v195 :: v_dual_mov_b32 v197, v215
	v_pk_fma_f32 v[190:191], v[198:199], v[186:187], v[222:223] op_sel:[0,0,1] op_sel_hi:[1,0,0]
	v_pk_fma_f32 v[194:195], v[200:201], v[186:187], v[224:225] op_sel:[0,0,1] op_sel_hi:[1,0,0]
	v_pk_fma_f32 v[216:217], v[198:199], v[186:187], v[222:223] op_sel:[0,0,1] op_sel_hi:[1,1,0] neg_lo:[0,0,1] neg_hi:[0,0,1]
	v_pk_fma_f32 v[198:199], v[200:201], v[186:187], v[224:225] op_sel:[0,0,1] op_sel_hi:[1,1,0] neg_lo:[0,0,1] neg_hi:[0,0,1]
	s_wait_dscnt 0x1
	v_pk_mul_f32 v[200:201], v[202:203], v[188:189] op_sel:[0,1]
	v_dual_mov_b32 v217, v191 :: v_dual_mov_b32 v199, v195
	ds_load_2addr_b64 v[190:193], v244 offset0:22 offset1:23
	v_pk_add_f32 v[86:87], v[86:87], v[196:197] neg_lo:[0,1] neg_hi:[0,1]
	v_pk_mul_f32 v[196:197], v[204:205], v[188:189] op_sel:[0,1]
	v_pk_fma_f32 v[194:195], v[202:203], v[186:187], v[200:201] op_sel:[0,0,1] op_sel_hi:[1,0,0]
	s_wait_dscnt 0x1
	v_mul_f32_e32 v194, v207, v186
	v_pk_add_f32 v[114:115], v[114:115], v[198:199] neg_lo:[0,1] neg_hi:[0,1]
	v_pk_fma_f32 v[198:199], v[202:203], v[186:187], v[200:201] op_sel:[0,0,1] op_sel_hi:[1,1,0] neg_lo:[0,0,1] neg_hi:[0,0,1]
	v_pk_fma_f32 v[200:201], v[204:205], v[186:187], v[196:197] op_sel:[0,0,1] op_sel_hi:[1,0,0]
	v_mul_f32_e32 v200, v207, v189
	v_pk_fma_f32 v[202:203], v[206:207], v[70:71], v[194:195] op_sel:[1,0,0] op_sel_hi:[0,1,0]
	v_pk_fma_f32 v[204:205], v[204:205], v[186:187], v[196:197] op_sel:[0,0,1] op_sel_hi:[1,1,0] neg_lo:[0,0,1] neg_hi:[0,0,1]
	s_delay_alu instid0(VALU_DEP_4) | instskip(NEXT) | instid1(VALU_DEP_4)
	v_dual_mov_b32 v199, v195 :: v_dual_mov_b32 v205, v201
	v_pk_fma_f32 v[200:201], v[206:207], v[70:71], v[200:201] op_sel_hi:[1,1,0] neg_lo:[0,0,1] neg_hi:[0,0,1]
	ds_load_2addr_b64 v[194:197], v244 offset0:24 offset1:25
	v_mov_b32_e32 v201, v203
	v_pk_mul_f32 v[202:203], v[208:209], v[188:189] op_sel:[0,1]
	v_pk_add_f32 v[88:89], v[88:89], v[210:211] neg_lo:[0,1] neg_hi:[0,1]
	v_pk_add_f32 v[116:117], v[116:117], v[198:199] neg_lo:[0,1] neg_hi:[0,1]
	;; [unrolled: 1-line block ×3, first 2 shown]
	s_wait_dscnt 0x1
	v_pk_mul_f32 v[206:207], v[190:191], v[188:189] op_sel:[0,1]
	v_pk_fma_f32 v[210:211], v[208:209], v[186:187], v[202:203] op_sel:[0,0,1] op_sel_hi:[1,0,0]
	v_pk_fma_f32 v[202:203], v[208:209], v[186:187], v[202:203] op_sel:[0,0,1] op_sel_hi:[1,1,0] neg_lo:[0,0,1] neg_hi:[0,0,1]
	v_pk_add_f32 v[112:113], v[112:113], v[204:205] neg_lo:[0,1] neg_hi:[0,1]
	v_pk_mul_f32 v[204:205], v[192:193], v[188:189] op_sel:[0,1]
	v_pk_fma_f32 v[212:213], v[190:191], v[186:187], v[206:207] op_sel:[0,0,1] op_sel_hi:[1,0,0]
	v_mov_b32_e32 v203, v211
	v_pk_add_f32 v[110:111], v[110:111], v[200:201] neg_lo:[0,1] neg_hi:[0,1]
	ds_load_2addr_b64 v[198:201], v244 offset0:26 offset1:27
	v_pk_fma_f32 v[190:191], v[190:191], v[186:187], v[206:207] op_sel:[0,0,1] op_sel_hi:[1,1,0] neg_lo:[0,0,1] neg_hi:[0,0,1]
	v_pk_fma_f32 v[208:209], v[192:193], v[186:187], v[204:205] op_sel:[0,0,1] op_sel_hi:[1,0,0]
	v_mov_b32_e32 v191, v213
	v_pk_fma_f32 v[204:205], v[192:193], v[186:187], v[204:205] op_sel:[0,0,1] op_sel_hi:[1,1,0] neg_lo:[0,0,1] neg_hi:[0,0,1]
	v_pk_add_f32 v[142:143], v[142:143], v[202:203] neg_lo:[0,1] neg_hi:[0,1]
	s_wait_dscnt 0x1
	v_pk_mul_f32 v[206:207], v[194:195], v[188:189] op_sel:[0,1]
	v_mov_b32_e32 v205, v209
	v_pk_add_f32 v[144:145], v[144:145], v[190:191] neg_lo:[0,1] neg_hi:[0,1]
	ds_load_2addr_b64 v[190:193], v244 offset0:28 offset1:29
	v_pk_add_f32 v[92:93], v[92:93], v[226:227] neg_lo:[0,1] neg_hi:[0,1]
	v_pk_fma_f32 v[202:203], v[194:195], v[186:187], v[206:207] op_sel:[0,0,1] op_sel_hi:[1,0,0]
	v_pk_fma_f32 v[194:195], v[194:195], v[186:187], v[206:207] op_sel:[0,0,1] op_sel_hi:[1,1,0] neg_lo:[0,0,1] neg_hi:[0,0,1]
	v_dual_mov_b32 v206, v197 :: v_dual_mov_b32 v207, v196
	s_delay_alu instid0(VALU_DEP_3)
	v_dual_mul_f32 v208, v197, v186 :: v_dual_mov_b32 v195, v203
	v_pk_add_f32 v[140:141], v[140:141], v[204:205] neg_lo:[0,1] neg_hi:[0,1]
	ds_load_2addr_b64 v[202:205], v244 offset0:30 offset1:31
	v_pk_add_f32 v[84:85], v[84:85], v[216:217] neg_lo:[0,1] neg_hi:[0,1]
	s_wait_dscnt 0x2
	v_pk_mul_f32 v[212:213], v[198:199], v[188:189] op_sel:[0,1]
	v_pk_fma_f32 v[206:207], v[206:207], v[70:71], v[208:209] op_sel_hi:[1,1,0]
	v_mul_f32_e32 v210, v197, v189
	v_pk_add_f32 v[100:101], v[100:101], v[194:195] neg_lo:[0,1] neg_hi:[0,1]
	v_pk_mul_f32 v[208:209], v[200:201], v[188:189] op_sel:[0,1]
	v_pk_fma_f32 v[194:195], v[198:199], v[186:187], v[212:213] op_sel:[0,0,1] op_sel_hi:[1,0,0]
	v_pk_fma_f32 v[198:199], v[198:199], v[186:187], v[212:213] op_sel:[0,0,1] op_sel_hi:[1,1,0] neg_lo:[0,0,1] neg_hi:[0,0,1]
	v_pk_fma_f32 v[210:211], v[196:197], v[70:71], v[210:211] op_sel_hi:[1,1,0] neg_lo:[0,0,1] neg_hi:[0,0,1]
	v_mov_b32_e32 v211, v207
	v_pk_fma_f32 v[206:207], v[200:201], v[186:187], v[208:209] op_sel:[0,0,1] op_sel_hi:[1,0,0]
	v_mov_b32_e32 v199, v195
	ds_load_2addr_b64 v[194:197], v244 offset0:32 offset1:33
	s_wait_dscnt 0x2
	v_pk_mul_f32 v[212:213], v[190:191], v[188:189] op_sel:[0,1]
	v_pk_fma_f32 v[200:201], v[200:201], v[186:187], v[208:209] op_sel:[0,0,1] op_sel_hi:[1,1,0] neg_lo:[0,0,1] neg_hi:[0,0,1]
	v_mov_b32_e32 v201, v207
	v_pk_add_f32 v[98:99], v[98:99], v[198:199] neg_lo:[0,1] neg_hi:[0,1]
	v_pk_mul_f32 v[206:207], v[192:193], v[188:189] op_sel:[0,1]
	v_pk_fma_f32 v[198:199], v[190:191], v[186:187], v[212:213] op_sel:[0,0,1] op_sel_hi:[1,0,0]
	s_wait_dscnt 0x1
	v_mul_f32_e32 v208, v203, v186
	v_pk_fma_f32 v[190:191], v[190:191], v[186:187], v[212:213] op_sel:[0,0,1] op_sel_hi:[1,1,0] neg_lo:[0,0,1] neg_hi:[0,0,1]
	v_pk_add_f32 v[96:97], v[96:97], v[210:211] neg_lo:[0,1] neg_hi:[0,1]
	v_pk_add_f32 v[94:95], v[94:95], v[200:201] neg_lo:[0,1] neg_hi:[0,1]
	v_pk_fma_f32 v[210:211], v[192:193], v[186:187], v[206:207] op_sel:[0,0,1] op_sel_hi:[1,0,0]
	v_mov_b32_e32 v191, v199
	ds_load_2addr_b64 v[198:201], v244 offset0:34 offset1:35
	v_mul_f32_e32 v210, v203, v189
	v_pk_fma_f32 v[208:209], v[202:203], v[70:71], v[208:209] op_sel:[1,0,0] op_sel_hi:[0,1,0]
	v_pk_fma_f32 v[192:193], v[192:193], v[186:187], v[206:207] op_sel:[0,0,1] op_sel_hi:[1,1,0] neg_lo:[0,0,1] neg_hi:[0,0,1]
	v_pk_mul_f32 v[206:207], v[204:205], v[188:189] op_sel:[0,1]
	v_mov_b32_e32 v193, v211
	v_pk_fma_f32 v[202:203], v[202:203], v[70:71], v[210:211] op_sel_hi:[1,1,0] neg_lo:[0,0,1] neg_hi:[0,0,1]
	v_pk_add_f32 v[128:129], v[128:129], v[190:191] neg_lo:[0,1] neg_hi:[0,1]
	s_delay_alu instid0(VALU_DEP_4)
	v_pk_fma_f32 v[190:191], v[204:205], v[186:187], v[206:207] op_sel:[0,0,1] op_sel_hi:[1,0,0]
	v_mov_b32_e32 v203, v209
	s_wait_dscnt 0x1
	v_pk_mul_f32 v[208:209], v[194:195], v[188:189] op_sel:[0,1]
	v_pk_fma_f32 v[204:205], v[204:205], v[186:187], v[206:207] op_sel:[0,0,1] op_sel_hi:[1,1,0] neg_lo:[0,0,1] neg_hi:[0,0,1]
	v_pk_add_f32 v[124:125], v[124:125], v[192:193] neg_lo:[0,1] neg_hi:[0,1]
	v_mov_b32_e32 v205, v191
	v_pk_add_f32 v[126:127], v[126:127], v[202:203] neg_lo:[0,1] neg_hi:[0,1]
	v_pk_fma_f32 v[202:203], v[194:195], v[186:187], v[208:209] op_sel:[0,0,1] op_sel_hi:[1,0,0]
	ds_load_2addr_b64 v[190:193], v244 offset0:36 offset1:37
	v_pk_fma_f32 v[194:195], v[194:195], v[186:187], v[208:209] op_sel:[0,0,1] op_sel_hi:[1,1,0] neg_lo:[0,0,1] neg_hi:[0,0,1]
	v_pk_mul_f32 v[206:207], v[196:197], v[188:189] op_sel:[0,1]
	v_pk_add_f32 v[122:123], v[122:123], v[204:205] neg_lo:[0,1] neg_hi:[0,1]
	s_wait_dscnt 0x1
	v_dual_mov_b32 v195, v203 :: v_dual_mov_b32 v210, v201
	ds_load_2addr_b64 v[202:205], v244 offset0:38 offset1:39
	v_pk_mul_f32 v[208:209], v[198:199], v[188:189] op_sel:[0,1]
	v_mov_b32_e32 v211, v200
	v_pk_add_f32 v[152:153], v[152:153], v[194:195] neg_lo:[0,1] neg_hi:[0,1]
	v_pk_fma_f32 v[194:195], v[196:197], v[186:187], v[206:207] op_sel:[0,0,1] op_sel_hi:[1,1,0] neg_lo:[0,0,1] neg_hi:[0,0,1]
	v_pk_fma_f32 v[196:197], v[196:197], v[186:187], v[206:207] op_sel:[0,0,1] op_sel_hi:[1,0,0]
	v_pk_fma_f32 v[206:207], v[198:199], v[186:187], v[208:209] op_sel:[0,0,1] op_sel_hi:[1,0,0]
	v_mul_f32_e32 v196, v201, v186
	v_pk_fma_f32 v[198:199], v[198:199], v[186:187], v[208:209] op_sel:[0,0,1] op_sel_hi:[1,1,0] neg_lo:[0,0,1] neg_hi:[0,0,1]
	v_mul_f32_e32 v206, v201, v189
	s_delay_alu instid0(VALU_DEP_4) | instskip(NEXT) | instid1(VALU_DEP_4)
	v_dual_mov_b32 v195, v197 :: v_dual_mov_b32 v199, v207
	v_pk_fma_f32 v[196:197], v[210:211], v[70:71], v[196:197] op_sel_hi:[1,1,0]
	s_delay_alu instid0(VALU_DEP_2)
	v_pk_add_f32 v[148:149], v[148:149], v[194:195] neg_lo:[0,1] neg_hi:[0,1]
	s_wait_dscnt 0x1
	v_pk_mul_f32 v[194:195], v[190:191], v[188:189] op_sel:[0,1]
	v_pk_add_f32 v[150:151], v[150:151], v[198:199] neg_lo:[0,1] neg_hi:[0,1]
	v_pk_fma_f32 v[198:199], v[200:201], v[70:71], v[206:207] op_sel_hi:[1,1,0] neg_lo:[0,0,1] neg_hi:[0,0,1]
	v_mov_b32_e32 v199, v197
	v_pk_mul_f32 v[196:197], v[192:193], v[188:189] op_sel:[0,1]
	v_pk_fma_f32 v[200:201], v[190:191], v[186:187], v[194:195] op_sel:[0,0,1] op_sel_hi:[1,0,0]
	s_wait_dscnt 0x0
	v_pk_mul_f32 v[206:207], v[202:203], v[188:189] op_sel:[0,1]
	v_pk_mul_f32 v[188:189], v[204:205], v[188:189] op_sel:[0,1]
	v_pk_fma_f32 v[190:191], v[190:191], v[186:187], v[194:195] op_sel:[0,0,1] op_sel_hi:[1,1,0] neg_lo:[0,0,1] neg_hi:[0,0,1]
	v_pk_fma_f32 v[194:195], v[192:193], v[186:187], v[196:197] op_sel:[0,0,1] op_sel_hi:[1,0,0]
	v_mov_b32_e32 v191, v201
	v_pk_fma_f32 v[200:201], v[202:203], v[186:187], v[206:207] op_sel:[0,0,1] op_sel_hi:[1,0,0]
	v_pk_fma_f32 v[192:193], v[192:193], v[186:187], v[196:197] op_sel:[0,0,1] op_sel_hi:[1,1,0] neg_lo:[0,0,1] neg_hi:[0,0,1]
	v_pk_fma_f32 v[196:197], v[204:205], v[186:187], v[188:189] op_sel:[0,0,1] op_sel_hi:[1,0,0]
	v_mov_b32_e32 v193, v195
	v_pk_fma_f32 v[194:195], v[202:203], v[186:187], v[206:207] op_sel:[0,0,1] op_sel_hi:[1,1,0] neg_lo:[0,0,1] neg_hi:[0,0,1]
	v_pk_fma_f32 v[186:187], v[204:205], v[186:187], v[188:189] op_sel:[0,0,1] op_sel_hi:[1,1,0] neg_lo:[0,0,1] neg_hi:[0,0,1]
	s_delay_alu instid0(VALU_DEP_4) | instskip(SKIP_3) | instid1(VALU_DEP_4)
	v_dual_mov_b32 v195, v201 :: v_dual_mov_b32 v187, v197
	v_pk_add_f32 v[146:147], v[146:147], v[198:199] neg_lo:[0,1] neg_hi:[0,1]
	v_pk_add_f32 v[158:159], v[158:159], v[190:191] neg_lo:[0,1] neg_hi:[0,1]
	;; [unrolled: 1-line block ×5, first 2 shown]
.LBB79_109:
	s_or_b32 exec_lo, exec_lo, s1
	s_delay_alu instid0(SALU_CYCLE_1)
	s_mov_b32 s2, exec_lo
	s_wait_dscnt 0x0
	s_barrier_signal -1
	s_barrier_wait -1
	v_cmpx_eq_u32_e32 12, v242
	s_cbranch_execz .LBB79_116
; %bb.110:
	ds_store_b64 v243, v[92:93]
	ds_store_2addr_b64 v244, v[88:89], v[90:91] offset0:13 offset1:14
	ds_store_2addr_b64 v244, v[86:87], v[84:85] offset0:15 offset1:16
	;; [unrolled: 1-line block ×13, first 2 shown]
	ds_store_b64 v244, v[160:161] offset:312
	ds_load_b64 v[186:187], v243
	s_wait_dscnt 0x0
	v_cmp_neq_f32_e32 vcc_lo, 0, v186
	v_cmp_neq_f32_e64 s1, 0, v187
	s_or_b32 s1, vcc_lo, s1
	s_delay_alu instid0(SALU_CYCLE_1)
	s_and_b32 exec_lo, exec_lo, s1
	s_cbranch_execz .LBB79_116
; %bb.111:
	v_cmp_ngt_f32_e64 s1, |v186|, |v187|
                                        ; implicit-def: $vgpr188_vgpr189
	s_and_saveexec_b32 s4, s1
	s_delay_alu instid0(SALU_CYCLE_1)
	s_xor_b32 s1, exec_lo, s4
	s_cbranch_execz .LBB79_113
; %bb.112:
	v_div_scale_f32 v0, null, v187, v187, v186
	v_div_scale_f32 v189, vcc_lo, v186, v187, v186
	s_delay_alu instid0(VALU_DEP_2) | instskip(SKIP_1) | instid1(TRANS32_DEP_1)
	v_rcp_f32_e32 v1, v0
	v_nop
	v_fma_f32 v188, -v0, v1, 1.0
	s_delay_alu instid0(VALU_DEP_1) | instskip(NEXT) | instid1(VALU_DEP_1)
	v_fmac_f32_e32 v1, v188, v1
	v_mul_f32_e32 v188, v189, v1
	s_delay_alu instid0(VALU_DEP_1) | instskip(NEXT) | instid1(VALU_DEP_1)
	v_fma_f32 v190, -v0, v188, v189
	v_fmac_f32_e32 v188, v190, v1
	s_delay_alu instid0(VALU_DEP_1) | instskip(NEXT) | instid1(VALU_DEP_1)
	v_fma_f32 v0, -v0, v188, v189
	v_div_fmas_f32 v0, v0, v1, v188
	s_delay_alu instid0(VALU_DEP_1) | instskip(NEXT) | instid1(VALU_DEP_1)
	v_div_fixup_f32 v0, v0, v187, v186
	v_fmac_f32_e32 v187, v186, v0
	s_delay_alu instid0(VALU_DEP_1) | instskip(SKIP_1) | instid1(VALU_DEP_2)
	v_div_scale_f32 v1, null, v187, v187, 1.0
	v_div_scale_f32 v189, vcc_lo, 1.0, v187, 1.0
	v_rcp_f32_e32 v186, v1
	v_nop
	s_delay_alu instid0(TRANS32_DEP_1) | instskip(NEXT) | instid1(VALU_DEP_1)
	v_fma_f32 v188, -v1, v186, 1.0
	v_fmac_f32_e32 v186, v188, v186
	s_delay_alu instid0(VALU_DEP_1) | instskip(NEXT) | instid1(VALU_DEP_1)
	v_mul_f32_e32 v188, v189, v186
	v_fma_f32 v190, -v1, v188, v189
	s_delay_alu instid0(VALU_DEP_1) | instskip(NEXT) | instid1(VALU_DEP_1)
	v_fmac_f32_e32 v188, v190, v186
	v_fma_f32 v1, -v1, v188, v189
	s_delay_alu instid0(VALU_DEP_1) | instskip(NEXT) | instid1(VALU_DEP_1)
	v_div_fmas_f32 v1, v1, v186, v188
	v_div_fixup_f32 v1, v1, v187, 1.0
                                        ; implicit-def: $vgpr186_vgpr187
	s_delay_alu instid0(VALU_DEP_1)
	v_mul_f32_e32 v188, v0, v1
	v_xor_b32_e32 v189, 0x80000000, v1
.LBB79_113:
	s_and_not1_saveexec_b32 s1, s1
	s_cbranch_execz .LBB79_115
; %bb.114:
	v_div_scale_f32 v0, null, v186, v186, v187
	v_div_scale_f32 v189, vcc_lo, v187, v186, v187
	s_delay_alu instid0(VALU_DEP_2) | instskip(SKIP_1) | instid1(TRANS32_DEP_1)
	v_rcp_f32_e32 v1, v0
	v_nop
	v_fma_f32 v188, -v0, v1, 1.0
	s_delay_alu instid0(VALU_DEP_1) | instskip(NEXT) | instid1(VALU_DEP_1)
	v_fmac_f32_e32 v1, v188, v1
	v_mul_f32_e32 v188, v189, v1
	s_delay_alu instid0(VALU_DEP_1) | instskip(NEXT) | instid1(VALU_DEP_1)
	v_fma_f32 v190, -v0, v188, v189
	v_fmac_f32_e32 v188, v190, v1
	s_delay_alu instid0(VALU_DEP_1) | instskip(NEXT) | instid1(VALU_DEP_1)
	v_fma_f32 v0, -v0, v188, v189
	v_div_fmas_f32 v0, v0, v1, v188
	s_delay_alu instid0(VALU_DEP_1) | instskip(NEXT) | instid1(VALU_DEP_1)
	v_div_fixup_f32 v0, v0, v186, v187
	v_fmac_f32_e32 v186, v187, v0
	s_delay_alu instid0(VALU_DEP_1) | instskip(NEXT) | instid1(VALU_DEP_1)
	v_div_scale_f32 v1, null, v186, v186, 1.0
	v_rcp_f32_e32 v187, v1
	v_nop
	s_delay_alu instid0(TRANS32_DEP_1) | instskip(NEXT) | instid1(VALU_DEP_1)
	v_fma_f32 v188, -v1, v187, 1.0
	v_fmac_f32_e32 v187, v188, v187
	v_div_scale_f32 v188, vcc_lo, 1.0, v186, 1.0
	s_delay_alu instid0(VALU_DEP_1) | instskip(NEXT) | instid1(VALU_DEP_1)
	v_mul_f32_e32 v189, v188, v187
	v_fma_f32 v190, -v1, v189, v188
	s_delay_alu instid0(VALU_DEP_1) | instskip(NEXT) | instid1(VALU_DEP_1)
	v_fmac_f32_e32 v189, v190, v187
	v_fma_f32 v1, -v1, v189, v188
	s_delay_alu instid0(VALU_DEP_1) | instskip(NEXT) | instid1(VALU_DEP_1)
	v_div_fmas_f32 v1, v1, v187, v189
	v_div_fixup_f32 v188, v1, v186, 1.0
	s_delay_alu instid0(VALU_DEP_1)
	v_mul_f32_e64 v189, v0, -v188
.LBB79_115:
	s_or_b32 exec_lo, exec_lo, s1
	ds_store_b64 v243, v[188:189]
.LBB79_116:
	s_or_b32 exec_lo, exec_lo, s2
	s_wait_dscnt 0x0
	s_barrier_signal -1
	s_barrier_wait -1
	ds_load_b64 v[186:187], v243
	s_mov_b32 s1, exec_lo
	v_cmpx_lt_u32_e32 12, v242
	s_cbranch_execz .LBB79_118
; %bb.117:
	ds_load_2addr_b64 v[192:195], v244 offset0:13 offset1:14
	ds_load_2addr_b64 v[196:199], v244 offset0:15 offset1:16
	;; [unrolled: 1-line block ×3, first 2 shown]
	s_wait_dscnt 0x3
	v_pk_mul_f32 v[190:191], v[186:187], v[92:93] op_sel:[1,1] op_sel_hi:[0,1]
	ds_load_2addr_b64 v[204:207], v244 offset0:19 offset1:20
	ds_load_2addr_b64 v[208:211], v244 offset0:21 offset1:22
	v_pk_fma_f32 v[188:189], v[186:187], v[92:93], v[190:191] op_sel_hi:[1,0,1] neg_lo:[0,0,1] neg_hi:[0,0,1]
	v_pk_fma_f32 v[190:191], v[186:187], v[92:93], v[190:191] op_sel_hi:[1,0,1]
	s_delay_alu instid0(VALU_DEP_1) | instskip(SKIP_1) | instid1(VALU_DEP_2)
	v_dual_mov_b32 v92, v188 :: v_dual_mov_b32 v93, v191
	s_wait_dscnt 0x4
	v_pk_mul_f32 v[212:213], v[192:193], v[190:191] op_sel:[0,1]
	v_pk_mul_f32 v[214:215], v[194:195], v[190:191] op_sel:[0,1]
	s_wait_dscnt 0x3
	v_pk_mul_f32 v[216:217], v[196:197], v[190:191] op_sel:[0,1]
	s_wait_dscnt 0x2
	v_pk_mul_f32 v[224:225], v[200:201], v[190:191] op_sel:[0,1]
	v_dual_mov_b32 v218, v199 :: v_dual_mov_b32 v219, v198
	v_pk_fma_f32 v[228:229], v[192:193], v[188:189], v[212:213] op_sel:[0,0,1] op_sel_hi:[1,1,0] neg_lo:[0,0,1] neg_hi:[0,0,1]
	v_pk_fma_f32 v[192:193], v[192:193], v[188:189], v[212:213] op_sel:[0,0,1] op_sel_hi:[1,0,0]
	v_dual_mul_f32 v220, v199, v191 :: v_dual_mul_f32 v222, v199, v188
	v_pk_mul_f32 v[226:227], v[202:203], v[190:191] op_sel:[0,1]
	v_pk_fma_f32 v[212:213], v[194:195], v[188:189], v[214:215] op_sel:[0,0,1] op_sel_hi:[1,1,0] neg_lo:[0,0,1] neg_hi:[0,0,1]
	v_pk_fma_f32 v[194:195], v[194:195], v[188:189], v[214:215] op_sel:[0,0,1] op_sel_hi:[1,0,0]
	v_pk_fma_f32 v[214:215], v[196:197], v[188:189], v[216:217] op_sel:[0,0,1] op_sel_hi:[1,1,0] neg_lo:[0,0,1] neg_hi:[0,0,1]
	v_pk_fma_f32 v[196:197], v[196:197], v[188:189], v[216:217] op_sel:[0,0,1] op_sel_hi:[1,0,0]
	v_mov_b32_e32 v229, v193
	v_pk_fma_f32 v[192:193], v[200:201], v[188:189], v[224:225] op_sel:[0,0,1] op_sel_hi:[1,0,0]
	v_pk_fma_f32 v[216:217], v[218:219], v[92:93], v[222:223] op_sel_hi:[1,1,0]
	v_pk_fma_f32 v[218:219], v[200:201], v[188:189], v[224:225] op_sel:[0,0,1] op_sel_hi:[1,1,0] neg_lo:[0,0,1] neg_hi:[0,0,1]
	v_dual_mov_b32 v213, v195 :: v_dual_mov_b32 v215, v197
	v_pk_fma_f32 v[196:197], v[202:203], v[188:189], v[226:227] op_sel:[0,0,1] op_sel_hi:[1,0,0]
	s_wait_dscnt 0x1
	v_pk_mul_f32 v[200:201], v[204:205], v[190:191] op_sel:[0,1]
	v_pk_fma_f32 v[198:199], v[198:199], v[92:93], v[220:221] op_sel_hi:[1,1,0] neg_lo:[0,0,1] neg_hi:[0,0,1]
	v_mov_b32_e32 v219, v193
	ds_load_2addr_b64 v[192:195], v244 offset0:23 offset1:24
	v_pk_fma_f32 v[202:203], v[202:203], v[188:189], v[226:227] op_sel:[0,0,1] op_sel_hi:[1,1,0] neg_lo:[0,0,1] neg_hi:[0,0,1]
	v_mov_b32_e32 v199, v217
	v_pk_add_f32 v[90:91], v[90:91], v[212:213] neg_lo:[0,1] neg_hi:[0,1]
	v_mov_b32_e32 v203, v197
	v_pk_mul_f32 v[212:213], v[206:207], v[190:191] op_sel:[0,1]
	v_pk_fma_f32 v[196:197], v[204:205], v[188:189], v[200:201] op_sel:[0,0,1] op_sel_hi:[1,0,0]
	v_pk_fma_f32 v[200:201], v[204:205], v[188:189], v[200:201] op_sel:[0,0,1] op_sel_hi:[1,1,0] neg_lo:[0,0,1] neg_hi:[0,0,1]
	v_pk_add_f32 v[84:85], v[84:85], v[198:199] neg_lo:[0,1] neg_hi:[0,1]
	v_pk_add_f32 v[116:117], v[116:117], v[202:203] neg_lo:[0,1] neg_hi:[0,1]
	v_pk_fma_f32 v[202:203], v[206:207], v[188:189], v[212:213] op_sel:[0,0,1] op_sel_hi:[1,0,0]
	v_mov_b32_e32 v201, v197
	ds_load_2addr_b64 v[196:199], v244 offset0:25 offset1:26
	v_pk_fma_f32 v[204:205], v[206:207], v[188:189], v[212:213] op_sel:[0,0,1] op_sel_hi:[1,1,0] neg_lo:[0,0,1] neg_hi:[0,0,1]
	s_wait_dscnt 0x2
	v_dual_mul_f32 v202, v209, v188 :: v_dual_mul_f32 v206, v209, v191
	v_mov_b32_e32 v205, v203
	v_pk_add_f32 v[112:113], v[112:113], v[200:201] neg_lo:[0,1] neg_hi:[0,1]
	v_pk_mul_f32 v[200:201], v[210:211], v[190:191] op_sel:[0,1]
	s_delay_alu instid0(VALU_DEP_4)
	v_pk_fma_f32 v[202:203], v[208:209], v[92:93], v[202:203] op_sel:[1,0,0] op_sel_hi:[0,1,0]
	v_pk_fma_f32 v[206:207], v[208:209], v[92:93], v[206:207] op_sel_hi:[1,1,0] neg_lo:[0,0,1] neg_hi:[0,0,1]
	v_pk_add_f32 v[110:111], v[110:111], v[204:205] neg_lo:[0,1] neg_hi:[0,1]
	s_wait_dscnt 0x1
	v_pk_mul_f32 v[204:205], v[192:193], v[190:191] op_sel:[0,1]
	v_pk_fma_f32 v[212:213], v[210:211], v[188:189], v[200:201] op_sel:[0,0,1] op_sel_hi:[1,0,0]
	v_pk_fma_f32 v[208:209], v[210:211], v[188:189], v[200:201] op_sel:[0,0,1] op_sel_hi:[1,1,0] neg_lo:[0,0,1] neg_hi:[0,0,1]
	v_mov_b32_e32 v207, v203
	ds_load_2addr_b64 v[200:203], v244 offset0:27 offset1:28
	v_pk_fma_f32 v[210:211], v[192:193], v[188:189], v[204:205] op_sel:[0,0,1] op_sel_hi:[1,0,0]
	v_mov_b32_e32 v209, v213
	v_pk_mul_f32 v[212:213], v[194:195], v[190:191] op_sel:[0,1]
	v_pk_fma_f32 v[192:193], v[192:193], v[188:189], v[204:205] op_sel:[0,0,1] op_sel_hi:[1,1,0] neg_lo:[0,0,1] neg_hi:[0,0,1]
	v_pk_add_f32 v[142:143], v[142:143], v[206:207] neg_lo:[0,1] neg_hi:[0,1]
	s_wait_dscnt 0x1
	v_pk_mul_f32 v[204:205], v[196:197], v[190:191] op_sel:[0,1]
	v_pk_add_f32 v[144:145], v[144:145], v[208:209] neg_lo:[0,1] neg_hi:[0,1]
	v_pk_fma_f32 v[206:207], v[194:195], v[188:189], v[212:213] op_sel:[0,0,1] op_sel_hi:[1,0,0]
	v_mov_b32_e32 v193, v211
	v_pk_fma_f32 v[210:211], v[194:195], v[188:189], v[212:213] op_sel:[0,0,1] op_sel_hi:[1,1,0] neg_lo:[0,0,1] neg_hi:[0,0,1]
	v_pk_fma_f32 v[208:209], v[196:197], v[188:189], v[204:205] op_sel:[0,0,1] op_sel_hi:[1,0,0]
	v_pk_fma_f32 v[196:197], v[196:197], v[188:189], v[204:205] op_sel:[0,0,1] op_sel_hi:[1,1,0] neg_lo:[0,0,1] neg_hi:[0,0,1]
	v_mov_b32_e32 v211, v207
	v_pk_add_f32 v[140:141], v[140:141], v[192:193] neg_lo:[0,1] neg_hi:[0,1]
	ds_load_2addr_b64 v[192:195], v244 offset0:29 offset1:30
	v_dual_mov_b32 v197, v209 :: v_dual_mov_b32 v204, v199
	v_dual_mov_b32 v205, v198 :: v_dual_mul_f32 v206, v199, v188
	v_pk_add_f32 v[100:101], v[100:101], v[210:211] neg_lo:[0,1] neg_hi:[0,1]
	v_mul_f32_e32 v208, v199, v191
	s_delay_alu instid0(VALU_DEP_4)
	v_pk_add_f32 v[96:97], v[96:97], v[196:197] neg_lo:[0,1] neg_hi:[0,1]
	s_wait_dscnt 0x1
	v_pk_mul_f32 v[196:197], v[200:201], v[190:191] op_sel:[0,1]
	v_pk_fma_f32 v[210:211], v[204:205], v[92:93], v[206:207] op_sel_hi:[1,1,0]
	ds_load_2addr_b64 v[204:207], v244 offset0:31 offset1:32
	v_pk_mul_f32 v[212:213], v[202:203], v[190:191] op_sel:[0,1]
	v_pk_fma_f32 v[208:209], v[198:199], v[92:93], v[208:209] op_sel_hi:[1,1,0] neg_lo:[0,0,1] neg_hi:[0,0,1]
	v_pk_add_f32 v[86:87], v[86:87], v[214:215] neg_lo:[0,1] neg_hi:[0,1]
	v_pk_fma_f32 v[214:215], v[200:201], v[188:189], v[196:197] op_sel:[0,0,1] op_sel_hi:[1,0,0]
	v_mov_b32_e32 v209, v211
	v_pk_fma_f32 v[210:211], v[202:203], v[188:189], v[212:213] op_sel:[0,0,1] op_sel_hi:[1,0,0]
	v_pk_fma_f32 v[200:201], v[200:201], v[188:189], v[196:197] op_sel:[0,0,1] op_sel_hi:[1,1,0] neg_lo:[0,0,1] neg_hi:[0,0,1]
	ds_load_2addr_b64 v[196:199], v244 offset0:33 offset1:34
	v_pk_fma_f32 v[202:203], v[202:203], v[188:189], v[212:213] op_sel:[0,0,1] op_sel_hi:[1,1,0] neg_lo:[0,0,1] neg_hi:[0,0,1]
	v_mov_b32_e32 v201, v215
	s_wait_dscnt 0x2
	v_pk_mul_f32 v[212:213], v[192:193], v[190:191] op_sel:[0,1]
	v_mov_b32_e32 v203, v211
	v_pk_mul_f32 v[210:211], v[194:195], v[190:191] op_sel:[0,1]
	v_pk_add_f32 v[98:99], v[98:99], v[208:209] neg_lo:[0,1] neg_hi:[0,1]
	v_pk_add_f32 v[94:95], v[94:95], v[200:201] neg_lo:[0,1] neg_hi:[0,1]
	v_pk_fma_f32 v[208:209], v[192:193], v[188:189], v[212:213] op_sel:[0,0,1] op_sel_hi:[1,0,0]
	v_pk_add_f32 v[88:89], v[88:89], v[228:229] neg_lo:[0,1] neg_hi:[0,1]
	v_pk_fma_f32 v[200:201], v[194:195], v[188:189], v[210:211] op_sel:[0,0,1] op_sel_hi:[1,0,0]
	v_pk_add_f32 v[114:115], v[114:115], v[218:219] neg_lo:[0,1] neg_hi:[0,1]
	s_wait_dscnt 0x1
	v_mul_f32_e32 v200, v205, v188
	v_pk_add_f32 v[128:129], v[128:129], v[202:203] neg_lo:[0,1] neg_hi:[0,1]
	v_pk_fma_f32 v[202:203], v[192:193], v[188:189], v[212:213] op_sel:[0,0,1] op_sel_hi:[1,1,0] neg_lo:[0,0,1] neg_hi:[0,0,1]
	v_mov_b32_e32 v203, v209
	v_pk_fma_f32 v[208:209], v[194:195], v[188:189], v[210:211] op_sel:[0,0,1] op_sel_hi:[1,1,0] neg_lo:[0,0,1] neg_hi:[0,0,1]
	v_mul_f32_e32 v210, v205, v191
	ds_load_2addr_b64 v[192:195], v244 offset0:35 offset1:36
	v_mov_b32_e32 v209, v201
	v_pk_fma_f32 v[200:201], v[204:205], v[92:93], v[200:201] op_sel:[1,0,0] op_sel_hi:[0,1,0]
	v_pk_add_f32 v[124:125], v[124:125], v[202:203] neg_lo:[0,1] neg_hi:[0,1]
	v_pk_mul_f32 v[202:203], v[206:207], v[190:191] op_sel:[0,1]
	v_pk_fma_f32 v[204:205], v[204:205], v[92:93], v[210:211] op_sel_hi:[1,1,0] neg_lo:[0,0,1] neg_hi:[0,0,1]
	s_wait_dscnt 0x1
	v_pk_mul_f32 v[212:213], v[198:199], v[190:191] op_sel:[0,1]
	v_mov_b32_e32 v205, v201
	v_pk_add_f32 v[126:127], v[126:127], v[208:209] neg_lo:[0,1] neg_hi:[0,1]
	v_pk_mul_f32 v[208:209], v[196:197], v[190:191] op_sel:[0,1]
	v_pk_fma_f32 v[210:211], v[206:207], v[188:189], v[202:203] op_sel:[0,0,1] op_sel_hi:[1,0,0]
	v_pk_fma_f32 v[206:207], v[206:207], v[188:189], v[202:203] op_sel:[0,0,1] op_sel_hi:[1,1,0] neg_lo:[0,0,1] neg_hi:[0,0,1]
	ds_load_2addr_b64 v[200:203], v244 offset0:37 offset1:38
	v_pk_add_f32 v[122:123], v[122:123], v[204:205] neg_lo:[0,1] neg_hi:[0,1]
	v_pk_fma_f32 v[214:215], v[196:197], v[188:189], v[208:209] op_sel:[0,0,1] op_sel_hi:[1,0,0]
	v_pk_fma_f32 v[196:197], v[196:197], v[188:189], v[208:209] op_sel:[0,0,1] op_sel_hi:[1,1,0] neg_lo:[0,0,1] neg_hi:[0,0,1]
	ds_load_b64 v[208:209], v244 offset:312
	v_mov_b32_e32 v207, v211
	v_pk_fma_f32 v[210:211], v[198:199], v[188:189], v[212:213] op_sel:[0,0,1] op_sel_hi:[1,0,0]
	v_pk_fma_f32 v[198:199], v[198:199], v[188:189], v[212:213] op_sel:[0,0,1] op_sel_hi:[1,1,0] neg_lo:[0,0,1] neg_hi:[0,0,1]
	v_mov_b32_e32 v197, v215
	s_wait_dscnt 0x2
	v_mul_f32_e32 v204, v195, v191
	v_pk_add_f32 v[152:153], v[152:153], v[206:207] neg_lo:[0,1] neg_hi:[0,1]
	v_mov_b32_e32 v199, v211
	v_pk_mul_f32 v[210:211], v[192:193], v[190:191] op_sel:[0,1]
	v_pk_add_f32 v[148:149], v[148:149], v[196:197] neg_lo:[0,1] neg_hi:[0,1]
	s_delay_alu instid0(VALU_DEP_3) | instskip(NEXT) | instid1(VALU_DEP_3)
	v_pk_add_f32 v[150:151], v[150:151], v[198:199] neg_lo:[0,1] neg_hi:[0,1]
	v_pk_fma_f32 v[196:197], v[192:193], v[188:189], v[210:211] op_sel:[0,0,1] op_sel_hi:[1,0,0]
	v_dual_mov_b32 v198, v195 :: v_dual_mov_b32 v199, v194
	v_mul_f32_e32 v196, v195, v188
	v_pk_fma_f32 v[192:193], v[192:193], v[188:189], v[210:211] op_sel:[0,0,1] op_sel_hi:[1,1,0] neg_lo:[0,0,1] neg_hi:[0,0,1]
	s_delay_alu instid0(VALU_DEP_4)
	v_mov_b32_e32 v193, v197
	s_wait_dscnt 0x1
	v_pk_mul_f32 v[206:207], v[200:201], v[190:191] op_sel:[0,1]
	v_pk_fma_f32 v[194:195], v[194:195], v[92:93], v[204:205] op_sel_hi:[1,1,0] neg_lo:[0,0,1] neg_hi:[0,0,1]
	v_pk_fma_f32 v[196:197], v[198:199], v[92:93], v[196:197] op_sel_hi:[1,1,0]
	v_pk_mul_f32 v[198:199], v[202:203], v[190:191] op_sel:[0,1]
	s_wait_dscnt 0x0
	v_pk_mul_f32 v[190:191], v[208:209], v[190:191] op_sel:[0,1]
	v_pk_fma_f32 v[204:205], v[200:201], v[188:189], v[206:207] op_sel:[0,0,1] op_sel_hi:[1,0,0]
	v_pk_fma_f32 v[200:201], v[200:201], v[188:189], v[206:207] op_sel:[0,0,1] op_sel_hi:[1,1,0] neg_lo:[0,0,1] neg_hi:[0,0,1]
	v_mov_b32_e32 v195, v197
	v_pk_fma_f32 v[196:197], v[202:203], v[188:189], v[198:199] op_sel:[0,0,1] op_sel_hi:[1,0,0]
	v_pk_fma_f32 v[206:207], v[208:209], v[188:189], v[190:191] op_sel:[0,0,1] op_sel_hi:[1,0,0]
	v_pk_fma_f32 v[198:199], v[202:203], v[188:189], v[198:199] op_sel:[0,0,1] op_sel_hi:[1,1,0] neg_lo:[0,0,1] neg_hi:[0,0,1]
	v_pk_fma_f32 v[188:189], v[208:209], v[188:189], v[190:191] op_sel:[0,0,1] op_sel_hi:[1,1,0] neg_lo:[0,0,1] neg_hi:[0,0,1]
	s_delay_alu instid0(VALU_DEP_4) | instskip(NEXT) | instid1(VALU_DEP_4)
	v_dual_mov_b32 v201, v205 :: v_dual_mov_b32 v199, v197
	v_mov_b32_e32 v189, v207
	v_pk_add_f32 v[146:147], v[146:147], v[192:193] neg_lo:[0,1] neg_hi:[0,1]
	v_pk_add_f32 v[158:159], v[158:159], v[194:195] neg_lo:[0,1] neg_hi:[0,1]
	s_delay_alu instid0(VALU_DEP_4)
	v_pk_add_f32 v[156:157], v[156:157], v[200:201] neg_lo:[0,1] neg_hi:[0,1]
	v_pk_add_f32 v[154:155], v[154:155], v[198:199] neg_lo:[0,1] neg_hi:[0,1]
	;; [unrolled: 1-line block ×3, first 2 shown]
.LBB79_118:
	s_or_b32 exec_lo, exec_lo, s1
	s_delay_alu instid0(SALU_CYCLE_1)
	s_mov_b32 s2, exec_lo
	s_wait_dscnt 0x0
	s_barrier_signal -1
	s_barrier_wait -1
	v_cmpx_eq_u32_e32 13, v242
	s_cbranch_execz .LBB79_125
; %bb.119:
	v_dual_mov_b32 v188, v90 :: v_dual_mov_b32 v189, v91
	v_dual_mov_b32 v190, v86 :: v_dual_mov_b32 v191, v87
	;; [unrolled: 1-line block ×4, first 2 shown]
	ds_store_b64 v243, v[88:89]
	ds_store_2addr_b64 v244, v[188:189], v[190:191] offset0:14 offset1:15
	ds_store_2addr_b64 v244, v[192:193], v[194:195] offset0:16 offset1:17
	v_dual_mov_b32 v188, v116 :: v_dual_mov_b32 v189, v117
	v_dual_mov_b32 v190, v112 :: v_dual_mov_b32 v191, v113
	;; [unrolled: 1-line block ×12, first 2 shown]
	ds_store_2addr_b64 v244, v[188:189], v[190:191] offset0:18 offset1:19
	ds_store_2addr_b64 v244, v[192:193], v[194:195] offset0:20 offset1:21
	ds_store_2addr_b64 v244, v[196:197], v[198:199] offset0:22 offset1:23
	ds_store_2addr_b64 v244, v[200:201], v[202:203] offset0:24 offset1:25
	ds_store_2addr_b64 v244, v[204:205], v[206:207] offset0:26 offset1:27
	ds_store_2addr_b64 v244, v[208:209], v[210:211] offset0:28 offset1:29
	v_dual_mov_b32 v188, v126 :: v_dual_mov_b32 v189, v127
	v_dual_mov_b32 v190, v122 :: v_dual_mov_b32 v191, v123
	;; [unrolled: 1-line block ×9, first 2 shown]
	ds_store_2addr_b64 v244, v[188:189], v[190:191] offset0:30 offset1:31
	ds_store_2addr_b64 v244, v[192:193], v[194:195] offset0:32 offset1:33
	;; [unrolled: 1-line block ×5, first 2 shown]
	ds_load_b64 v[188:189], v243
	s_wait_dscnt 0x0
	v_cmp_neq_f32_e32 vcc_lo, 0, v188
	v_cmp_neq_f32_e64 s1, 0, v189
	s_or_b32 s1, vcc_lo, s1
	s_delay_alu instid0(SALU_CYCLE_1)
	s_and_b32 exec_lo, exec_lo, s1
	s_cbranch_execz .LBB79_125
; %bb.120:
	v_cmp_ngt_f32_e64 s1, |v188|, |v189|
                                        ; implicit-def: $vgpr190_vgpr191
	s_and_saveexec_b32 s4, s1
	s_delay_alu instid0(SALU_CYCLE_1)
	s_xor_b32 s1, exec_lo, s4
	s_cbranch_execz .LBB79_122
; %bb.121:
	v_div_scale_f32 v0, null, v189, v189, v188
	v_div_scale_f32 v191, vcc_lo, v188, v189, v188
	s_delay_alu instid0(VALU_DEP_2) | instskip(SKIP_1) | instid1(TRANS32_DEP_1)
	v_rcp_f32_e32 v1, v0
	v_nop
	v_fma_f32 v190, -v0, v1, 1.0
	s_delay_alu instid0(VALU_DEP_1) | instskip(NEXT) | instid1(VALU_DEP_1)
	v_fmac_f32_e32 v1, v190, v1
	v_mul_f32_e32 v190, v191, v1
	s_delay_alu instid0(VALU_DEP_1) | instskip(NEXT) | instid1(VALU_DEP_1)
	v_fma_f32 v192, -v0, v190, v191
	v_fmac_f32_e32 v190, v192, v1
	s_delay_alu instid0(VALU_DEP_1) | instskip(NEXT) | instid1(VALU_DEP_1)
	v_fma_f32 v0, -v0, v190, v191
	v_div_fmas_f32 v0, v0, v1, v190
	s_delay_alu instid0(VALU_DEP_1) | instskip(NEXT) | instid1(VALU_DEP_1)
	v_div_fixup_f32 v0, v0, v189, v188
	v_fmac_f32_e32 v189, v188, v0
	s_delay_alu instid0(VALU_DEP_1) | instskip(SKIP_1) | instid1(VALU_DEP_2)
	v_div_scale_f32 v1, null, v189, v189, 1.0
	v_div_scale_f32 v191, vcc_lo, 1.0, v189, 1.0
	v_rcp_f32_e32 v188, v1
	v_nop
	s_delay_alu instid0(TRANS32_DEP_1) | instskip(NEXT) | instid1(VALU_DEP_1)
	v_fma_f32 v190, -v1, v188, 1.0
	v_fmac_f32_e32 v188, v190, v188
	s_delay_alu instid0(VALU_DEP_1) | instskip(NEXT) | instid1(VALU_DEP_1)
	v_mul_f32_e32 v190, v191, v188
	v_fma_f32 v192, -v1, v190, v191
	s_delay_alu instid0(VALU_DEP_1) | instskip(NEXT) | instid1(VALU_DEP_1)
	v_fmac_f32_e32 v190, v192, v188
	v_fma_f32 v1, -v1, v190, v191
	s_delay_alu instid0(VALU_DEP_1) | instskip(NEXT) | instid1(VALU_DEP_1)
	v_div_fmas_f32 v1, v1, v188, v190
	v_div_fixup_f32 v1, v1, v189, 1.0
                                        ; implicit-def: $vgpr188_vgpr189
	s_delay_alu instid0(VALU_DEP_1)
	v_mul_f32_e32 v190, v0, v1
	v_xor_b32_e32 v191, 0x80000000, v1
.LBB79_122:
	s_and_not1_saveexec_b32 s1, s1
	s_cbranch_execz .LBB79_124
; %bb.123:
	v_div_scale_f32 v0, null, v188, v188, v189
	v_div_scale_f32 v191, vcc_lo, v189, v188, v189
	s_delay_alu instid0(VALU_DEP_2) | instskip(SKIP_1) | instid1(TRANS32_DEP_1)
	v_rcp_f32_e32 v1, v0
	v_nop
	v_fma_f32 v190, -v0, v1, 1.0
	s_delay_alu instid0(VALU_DEP_1) | instskip(NEXT) | instid1(VALU_DEP_1)
	v_fmac_f32_e32 v1, v190, v1
	v_mul_f32_e32 v190, v191, v1
	s_delay_alu instid0(VALU_DEP_1) | instskip(NEXT) | instid1(VALU_DEP_1)
	v_fma_f32 v192, -v0, v190, v191
	v_fmac_f32_e32 v190, v192, v1
	s_delay_alu instid0(VALU_DEP_1) | instskip(NEXT) | instid1(VALU_DEP_1)
	v_fma_f32 v0, -v0, v190, v191
	v_div_fmas_f32 v0, v0, v1, v190
	s_delay_alu instid0(VALU_DEP_1) | instskip(NEXT) | instid1(VALU_DEP_1)
	v_div_fixup_f32 v0, v0, v188, v189
	v_fmac_f32_e32 v188, v189, v0
	s_delay_alu instid0(VALU_DEP_1) | instskip(NEXT) | instid1(VALU_DEP_1)
	v_div_scale_f32 v1, null, v188, v188, 1.0
	v_rcp_f32_e32 v189, v1
	v_nop
	s_delay_alu instid0(TRANS32_DEP_1) | instskip(NEXT) | instid1(VALU_DEP_1)
	v_fma_f32 v190, -v1, v189, 1.0
	v_fmac_f32_e32 v189, v190, v189
	v_div_scale_f32 v190, vcc_lo, 1.0, v188, 1.0
	s_delay_alu instid0(VALU_DEP_1) | instskip(NEXT) | instid1(VALU_DEP_1)
	v_mul_f32_e32 v191, v190, v189
	v_fma_f32 v192, -v1, v191, v190
	s_delay_alu instid0(VALU_DEP_1) | instskip(NEXT) | instid1(VALU_DEP_1)
	v_fmac_f32_e32 v191, v192, v189
	v_fma_f32 v1, -v1, v191, v190
	s_delay_alu instid0(VALU_DEP_1) | instskip(NEXT) | instid1(VALU_DEP_1)
	v_div_fmas_f32 v1, v1, v189, v191
	v_div_fixup_f32 v190, v1, v188, 1.0
	s_delay_alu instid0(VALU_DEP_1)
	v_mul_f32_e64 v191, v0, -v190
.LBB79_124:
	s_or_b32 exec_lo, exec_lo, s1
	ds_store_b64 v243, v[190:191]
.LBB79_125:
	s_or_b32 exec_lo, exec_lo, s2
	s_wait_dscnt 0x0
	s_barrier_signal -1
	s_barrier_wait -1
	ds_load_b64 v[188:189], v243
	s_mov_b32 s1, exec_lo
	v_cmpx_lt_u32_e32 13, v242
	s_cbranch_execz .LBB79_127
; %bb.126:
	ds_load_2addr_b64 v[194:197], v244 offset0:14 offset1:15
	ds_load_2addr_b64 v[198:201], v244 offset0:16 offset1:17
	;; [unrolled: 1-line block ×3, first 2 shown]
	s_wait_dscnt 0x3
	v_pk_mul_f32 v[192:193], v[188:189], v[88:89] op_sel:[1,1] op_sel_hi:[0,1]
	ds_load_2addr_b64 v[206:209], v244 offset0:20 offset1:21
	ds_load_2addr_b64 v[210:213], v244 offset0:22 offset1:23
	v_pk_fma_f32 v[190:191], v[188:189], v[88:89], v[192:193] op_sel_hi:[1,0,1] neg_lo:[0,0,1] neg_hi:[0,0,1]
	v_pk_fma_f32 v[192:193], v[188:189], v[88:89], v[192:193] op_sel_hi:[1,0,1]
	s_delay_alu instid0(VALU_DEP_1) | instskip(SKIP_1) | instid1(VALU_DEP_2)
	v_dual_mov_b32 v88, v190 :: v_dual_mov_b32 v89, v193
	s_wait_dscnt 0x4
	v_pk_mul_f32 v[214:215], v[194:195], v[192:193] op_sel:[0,1]
	v_pk_mul_f32 v[216:217], v[196:197], v[192:193] op_sel:[0,1]
	s_wait_dscnt 0x3
	v_pk_mul_f32 v[218:219], v[198:199], v[192:193] op_sel:[0,1]
	s_wait_dscnt 0x2
	v_pk_mul_f32 v[226:227], v[202:203], v[192:193] op_sel:[0,1]
	v_dual_mov_b32 v220, v201 :: v_dual_mov_b32 v221, v200
	v_pk_fma_f32 v[230:231], v[194:195], v[190:191], v[214:215] op_sel:[0,0,1] op_sel_hi:[1,1,0] neg_lo:[0,0,1] neg_hi:[0,0,1]
	v_pk_fma_f32 v[194:195], v[194:195], v[190:191], v[214:215] op_sel:[0,0,1] op_sel_hi:[1,0,0]
	v_dual_mul_f32 v222, v201, v193 :: v_dual_mul_f32 v224, v201, v190
	v_pk_mul_f32 v[228:229], v[204:205], v[192:193] op_sel:[0,1]
	v_pk_fma_f32 v[214:215], v[196:197], v[190:191], v[216:217] op_sel:[0,0,1] op_sel_hi:[1,1,0] neg_lo:[0,0,1] neg_hi:[0,0,1]
	v_pk_fma_f32 v[196:197], v[196:197], v[190:191], v[216:217] op_sel:[0,0,1] op_sel_hi:[1,0,0]
	v_pk_fma_f32 v[216:217], v[198:199], v[190:191], v[218:219] op_sel:[0,0,1] op_sel_hi:[1,1,0] neg_lo:[0,0,1] neg_hi:[0,0,1]
	v_pk_fma_f32 v[198:199], v[198:199], v[190:191], v[218:219] op_sel:[0,0,1] op_sel_hi:[1,0,0]
	v_mov_b32_e32 v231, v195
	v_pk_fma_f32 v[194:195], v[202:203], v[190:191], v[226:227] op_sel:[0,0,1] op_sel_hi:[1,0,0]
	v_pk_fma_f32 v[218:219], v[220:221], v[88:89], v[224:225] op_sel_hi:[1,1,0]
	v_pk_fma_f32 v[220:221], v[202:203], v[190:191], v[226:227] op_sel:[0,0,1] op_sel_hi:[1,1,0] neg_lo:[0,0,1] neg_hi:[0,0,1]
	v_dual_mov_b32 v215, v197 :: v_dual_mov_b32 v217, v199
	v_pk_fma_f32 v[198:199], v[204:205], v[190:191], v[228:229] op_sel:[0,0,1] op_sel_hi:[1,0,0]
	v_mov_b32_e32 v221, v195
	s_wait_dscnt 0x1
	v_pk_mul_f32 v[202:203], v[206:207], v[192:193] op_sel:[0,1]
	ds_load_2addr_b64 v[194:197], v244 offset0:24 offset1:25
	v_pk_fma_f32 v[200:201], v[200:201], v[88:89], v[222:223] op_sel_hi:[1,1,0] neg_lo:[0,0,1] neg_hi:[0,0,1]
	v_pk_fma_f32 v[204:205], v[204:205], v[190:191], v[228:229] op_sel:[0,0,1] op_sel_hi:[1,1,0] neg_lo:[0,0,1] neg_hi:[0,0,1]
	v_mov_b32_e32 v201, v219
	v_pk_add_f32 v[86:87], v[86:87], v[214:215] neg_lo:[0,1] neg_hi:[0,1]
	v_mov_b32_e32 v205, v199
	v_pk_mul_f32 v[214:215], v[208:209], v[192:193] op_sel:[0,1]
	v_pk_fma_f32 v[198:199], v[206:207], v[190:191], v[202:203] op_sel:[0,0,1] op_sel_hi:[1,0,0]
	v_pk_fma_f32 v[202:203], v[206:207], v[190:191], v[202:203] op_sel:[0,0,1] op_sel_hi:[1,1,0] neg_lo:[0,0,1] neg_hi:[0,0,1]
	v_pk_add_f32 v[114:115], v[114:115], v[200:201] neg_lo:[0,1] neg_hi:[0,1]
	v_pk_add_f32 v[112:113], v[112:113], v[204:205] neg_lo:[0,1] neg_hi:[0,1]
	v_pk_fma_f32 v[204:205], v[208:209], v[190:191], v[214:215] op_sel:[0,0,1] op_sel_hi:[1,0,0]
	v_mov_b32_e32 v203, v199
	ds_load_2addr_b64 v[198:201], v244 offset0:26 offset1:27
	v_pk_fma_f32 v[206:207], v[208:209], v[190:191], v[214:215] op_sel:[0,0,1] op_sel_hi:[1,1,0] neg_lo:[0,0,1] neg_hi:[0,0,1]
	s_wait_dscnt 0x2
	v_dual_mul_f32 v204, v211, v190 :: v_dual_mov_b32 v207, v205
	v_pk_mul_f32 v[208:209], v[212:213], v[192:193] op_sel:[0,1]
	v_pk_add_f32 v[110:111], v[110:111], v[202:203] neg_lo:[0,1] neg_hi:[0,1]
	v_mul_f32_e32 v202, v211, v193
	s_delay_alu instid0(VALU_DEP_4)
	v_pk_fma_f32 v[204:205], v[210:211], v[88:89], v[204:205] op_sel:[1,0,0] op_sel_hi:[0,1,0]
	v_pk_add_f32 v[142:143], v[142:143], v[206:207] neg_lo:[0,1] neg_hi:[0,1]
	s_wait_dscnt 0x1
	v_pk_mul_f32 v[206:207], v[194:195], v[192:193] op_sel:[0,1]
	v_pk_fma_f32 v[214:215], v[212:213], v[190:191], v[208:209] op_sel:[0,0,1] op_sel_hi:[1,0,0]
	v_pk_fma_f32 v[210:211], v[210:211], v[88:89], v[202:203] op_sel_hi:[1,1,0] neg_lo:[0,0,1] neg_hi:[0,0,1]
	v_pk_fma_f32 v[208:209], v[212:213], v[190:191], v[208:209] op_sel:[0,0,1] op_sel_hi:[1,1,0] neg_lo:[0,0,1] neg_hi:[0,0,1]
	v_mov_b32_e32 v211, v205
	v_pk_fma_f32 v[212:213], v[194:195], v[190:191], v[206:207] op_sel:[0,0,1] op_sel_hi:[1,0,0]
	v_mov_b32_e32 v209, v215
	v_pk_fma_f32 v[194:195], v[194:195], v[190:191], v[206:207] op_sel:[0,0,1] op_sel_hi:[1,1,0] neg_lo:[0,0,1] neg_hi:[0,0,1]
	v_pk_mul_f32 v[206:207], v[196:197], v[192:193] op_sel:[0,1]
	ds_load_2addr_b64 v[202:205], v244 offset0:28 offset1:29
	v_pk_add_f32 v[144:145], v[144:145], v[210:211] neg_lo:[0,1] neg_hi:[0,1]
	v_pk_add_f32 v[140:141], v[140:141], v[208:209] neg_lo:[0,1] neg_hi:[0,1]
	;; [unrolled: 1-line block ×3, first 2 shown]
	v_pk_fma_f32 v[208:209], v[196:197], v[190:191], v[206:207] op_sel:[0,0,1] op_sel_hi:[1,0,0]
	v_mov_b32_e32 v195, v213
	s_wait_dscnt 0x1
	v_pk_mul_f32 v[212:213], v[198:199], v[192:193] op_sel:[0,1]
	v_pk_fma_f32 v[206:207], v[196:197], v[190:191], v[206:207] op_sel:[0,0,1] op_sel_hi:[1,1,0] neg_lo:[0,0,1] neg_hi:[0,0,1]
	v_dual_mov_b32 v208, v201 :: v_dual_mov_b32 v207, v209
	v_pk_add_f32 v[100:101], v[100:101], v[194:195] neg_lo:[0,1] neg_hi:[0,1]
	s_delay_alu instid0(VALU_DEP_4)
	v_pk_fma_f32 v[210:211], v[198:199], v[190:191], v[212:213] op_sel:[0,0,1] op_sel_hi:[1,0,0]
	ds_load_2addr_b64 v[194:197], v244 offset0:30 offset1:31
	v_pk_fma_f32 v[198:199], v[198:199], v[190:191], v[212:213] op_sel:[0,0,1] op_sel_hi:[1,1,0] neg_lo:[0,0,1] neg_hi:[0,0,1]
	v_dual_mov_b32 v209, v200 :: v_dual_mul_f32 v210, v201, v190
	v_mov_b32_e32 v199, v211
	v_pk_add_f32 v[96:97], v[96:97], v[206:207] neg_lo:[0,1] neg_hi:[0,1]
	v_pk_add_f32 v[90:91], v[90:91], v[230:231] neg_lo:[0,1] neg_hi:[0,1]
	;; [unrolled: 1-line block ×3, first 2 shown]
	v_pk_fma_f32 v[206:207], v[208:209], v[88:89], v[210:211] op_sel_hi:[1,1,0]
	v_mul_f32_e32 v212, v201, v193
	s_wait_dscnt 0x1
	v_pk_mul_f32 v[214:215], v[202:203], v[192:193] op_sel:[0,1]
	v_pk_add_f32 v[98:99], v[98:99], v[198:199] neg_lo:[0,1] neg_hi:[0,1]
	s_delay_alu instid0(VALU_DEP_3)
	v_pk_fma_f32 v[210:211], v[200:201], v[88:89], v[212:213] op_sel_hi:[1,1,0] neg_lo:[0,0,1] neg_hi:[0,0,1]
	v_pk_mul_f32 v[212:213], v[204:205], v[192:193] op_sel:[0,1]
	ds_load_2addr_b64 v[198:201], v244 offset0:32 offset1:33
	v_pk_fma_f32 v[208:209], v[202:203], v[190:191], v[214:215] op_sel:[0,0,1] op_sel_hi:[1,0,0]
	v_pk_fma_f32 v[202:203], v[202:203], v[190:191], v[214:215] op_sel:[0,0,1] op_sel_hi:[1,1,0] neg_lo:[0,0,1] neg_hi:[0,0,1]
	v_mov_b32_e32 v211, v207
	v_pk_fma_f32 v[214:215], v[204:205], v[190:191], v[212:213] op_sel:[0,0,1] op_sel_hi:[1,0,0]
	s_wait_dscnt 0x1
	v_pk_mul_f32 v[216:217], v[194:195], v[192:193] op_sel:[0,1]
	v_pk_fma_f32 v[204:205], v[204:205], v[190:191], v[212:213] op_sel:[0,0,1] op_sel_hi:[1,1,0] neg_lo:[0,0,1] neg_hi:[0,0,1]
	v_mov_b32_e32 v203, v209
	ds_load_2addr_b64 v[206:209], v244 offset0:34 offset1:35
	v_mov_b32_e32 v205, v215
	v_pk_mul_f32 v[212:213], v[196:197], v[192:193] op_sel:[0,1]
	v_pk_add_f32 v[94:95], v[94:95], v[210:211] neg_lo:[0,1] neg_hi:[0,1]
	v_pk_fma_f32 v[210:211], v[194:195], v[190:191], v[216:217] op_sel:[0,0,1] op_sel_hi:[1,0,0]
	v_pk_add_f32 v[128:129], v[128:129], v[202:203] neg_lo:[0,1] neg_hi:[0,1]
	v_pk_add_f32 v[124:125], v[124:125], v[204:205] neg_lo:[0,1] neg_hi:[0,1]
	v_pk_fma_f32 v[204:205], v[194:195], v[190:191], v[216:217] op_sel:[0,0,1] op_sel_hi:[1,1,0] neg_lo:[0,0,1] neg_hi:[0,0,1]
	v_pk_fma_f32 v[202:203], v[196:197], v[190:191], v[212:213] op_sel:[0,0,1] op_sel_hi:[1,0,0]
	v_mov_b32_e32 v205, v211
	v_pk_fma_f32 v[210:211], v[196:197], v[190:191], v[212:213] op_sel:[0,0,1] op_sel_hi:[1,1,0] neg_lo:[0,0,1] neg_hi:[0,0,1]
	ds_load_2addr_b64 v[194:197], v244 offset0:36 offset1:37
	s_wait_dscnt 0x2
	v_mul_f32_e32 v202, v199, v190
	v_mov_b32_e32 v211, v203
	v_pk_add_f32 v[126:127], v[126:127], v[204:205] neg_lo:[0,1] neg_hi:[0,1]
	v_mul_f32_e32 v204, v199, v193
	v_pk_mul_f32 v[212:213], v[200:201], v[192:193] op_sel:[0,1]
	s_delay_alu instid0(VALU_DEP_4) | instskip(SKIP_1) | instid1(VALU_DEP_4)
	v_pk_add_f32 v[122:123], v[122:123], v[210:211] neg_lo:[0,1] neg_hi:[0,1]
	v_pk_fma_f32 v[210:211], v[198:199], v[88:89], v[202:203] op_sel:[1,0,0] op_sel_hi:[0,1,0]
	v_pk_fma_f32 v[198:199], v[198:199], v[88:89], v[204:205] op_sel_hi:[1,1,0] neg_lo:[0,0,1] neg_hi:[0,0,1]
	ds_load_2addr_b64 v[202:205], v244 offset0:38 offset1:39
	s_wait_dscnt 0x2
	v_pk_mul_f32 v[214:215], v[206:207], v[192:193] op_sel:[0,1]
	v_pk_fma_f32 v[216:217], v[200:201], v[190:191], v[212:213] op_sel:[0,0,1] op_sel_hi:[1,0,0]
	v_mov_b32_e32 v199, v211
	v_pk_fma_f32 v[200:201], v[200:201], v[190:191], v[212:213] op_sel:[0,0,1] op_sel_hi:[1,1,0] neg_lo:[0,0,1] neg_hi:[0,0,1]
	v_pk_mul_f32 v[212:213], v[208:209], v[192:193] op_sel:[0,1]
	v_pk_fma_f32 v[210:211], v[206:207], v[190:191], v[214:215] op_sel:[0,0,1] op_sel_hi:[1,0,0]
	v_mov_b32_e32 v201, v217
	v_pk_fma_f32 v[206:207], v[206:207], v[190:191], v[214:215] op_sel:[0,0,1] op_sel_hi:[1,1,0] neg_lo:[0,0,1] neg_hi:[0,0,1]
	v_pk_add_f32 v[152:153], v[152:153], v[198:199] neg_lo:[0,1] neg_hi:[0,1]
	v_pk_fma_f32 v[198:199], v[208:209], v[190:191], v[212:213] op_sel:[0,0,1] op_sel_hi:[1,0,0]
	v_mov_b32_e32 v207, v211
	s_wait_dscnt 0x1
	v_pk_mul_f32 v[210:211], v[194:195], v[192:193] op_sel:[0,1]
	v_pk_add_f32 v[148:149], v[148:149], v[200:201] neg_lo:[0,1] neg_hi:[0,1]
	v_pk_fma_f32 v[200:201], v[208:209], v[190:191], v[212:213] op_sel:[0,0,1] op_sel_hi:[1,1,0] neg_lo:[0,0,1] neg_hi:[0,0,1]
	v_mov_b32_e32 v201, v199
	v_pk_add_f32 v[150:151], v[150:151], v[206:207] neg_lo:[0,1] neg_hi:[0,1]
	v_pk_fma_f32 v[198:199], v[194:195], v[190:191], v[210:211] op_sel:[0,0,1] op_sel_hi:[1,1,0] neg_lo:[0,0,1] neg_hi:[0,0,1]
	v_pk_fma_f32 v[194:195], v[194:195], v[190:191], v[210:211] op_sel:[0,0,1] op_sel_hi:[1,0,0]
	v_dual_mov_b32 v206, v197 :: v_dual_mov_b32 v207, v196
	v_dual_mul_f32 v208, v197, v190 :: v_dual_mul_f32 v194, v197, v193
	s_wait_dscnt 0x0
	v_pk_mul_f32 v[210:211], v[202:203], v[192:193] op_sel:[0,1]
	v_pk_mul_f32 v[192:193], v[204:205], v[192:193] op_sel:[0,1]
	v_pk_add_f32 v[146:147], v[146:147], v[200:201] neg_lo:[0,1] neg_hi:[0,1]
	v_pk_fma_f32 v[206:207], v[206:207], v[88:89], v[208:209] op_sel_hi:[1,1,0]
	v_mov_b32_e32 v199, v195
	v_pk_fma_f32 v[208:209], v[202:203], v[190:191], v[210:211] op_sel:[0,0,1] op_sel_hi:[1,0,0]
	v_pk_fma_f32 v[194:195], v[196:197], v[88:89], v[194:195] op_sel_hi:[1,1,0] neg_lo:[0,0,1] neg_hi:[0,0,1]
	v_pk_fma_f32 v[196:197], v[204:205], v[190:191], v[192:193] op_sel:[0,0,1] op_sel_hi:[1,0,0]
	v_pk_fma_f32 v[202:203], v[202:203], v[190:191], v[210:211] op_sel:[0,0,1] op_sel_hi:[1,1,0] neg_lo:[0,0,1] neg_hi:[0,0,1]
	v_pk_fma_f32 v[190:191], v[204:205], v[190:191], v[192:193] op_sel:[0,0,1] op_sel_hi:[1,1,0] neg_lo:[0,0,1] neg_hi:[0,0,1]
	v_dual_mov_b32 v195, v207 :: v_dual_mov_b32 v203, v209
	s_delay_alu instid0(VALU_DEP_4) | instskip(SKIP_1) | instid1(VALU_DEP_3)
	v_mov_b32_e32 v191, v197
	v_pk_add_f32 v[158:159], v[158:159], v[198:199] neg_lo:[0,1] neg_hi:[0,1]
	v_pk_add_f32 v[156:157], v[156:157], v[194:195] neg_lo:[0,1] neg_hi:[0,1]
	s_delay_alu instid0(VALU_DEP_4) | instskip(NEXT) | instid1(VALU_DEP_4)
	v_pk_add_f32 v[154:155], v[154:155], v[202:203] neg_lo:[0,1] neg_hi:[0,1]
	v_pk_add_f32 v[160:161], v[160:161], v[190:191] neg_lo:[0,1] neg_hi:[0,1]
.LBB79_127:
	s_or_b32 exec_lo, exec_lo, s1
	s_delay_alu instid0(SALU_CYCLE_1)
	s_mov_b32 s2, exec_lo
	s_wait_dscnt 0x0
	s_barrier_signal -1
	s_barrier_wait -1
	v_cmpx_eq_u32_e32 14, v242
	s_cbranch_execz .LBB79_134
; %bb.128:
	ds_store_b64 v243, v[90:91]
	ds_store_2addr_b64 v244, v[86:87], v[84:85] offset0:15 offset1:16
	ds_store_2addr_b64 v244, v[114:115], v[116:117] offset0:17 offset1:18
	;; [unrolled: 1-line block ×12, first 2 shown]
	ds_store_b64 v244, v[160:161] offset:312
	ds_load_b64 v[190:191], v243
	s_wait_dscnt 0x0
	v_cmp_neq_f32_e32 vcc_lo, 0, v190
	v_cmp_neq_f32_e64 s1, 0, v191
	s_or_b32 s1, vcc_lo, s1
	s_delay_alu instid0(SALU_CYCLE_1)
	s_and_b32 exec_lo, exec_lo, s1
	s_cbranch_execz .LBB79_134
; %bb.129:
	v_cmp_ngt_f32_e64 s1, |v190|, |v191|
                                        ; implicit-def: $vgpr192_vgpr193
	s_and_saveexec_b32 s4, s1
	s_delay_alu instid0(SALU_CYCLE_1)
	s_xor_b32 s1, exec_lo, s4
	s_cbranch_execz .LBB79_131
; %bb.130:
	v_div_scale_f32 v0, null, v191, v191, v190
	v_div_scale_f32 v193, vcc_lo, v190, v191, v190
	s_delay_alu instid0(VALU_DEP_2) | instskip(SKIP_1) | instid1(TRANS32_DEP_1)
	v_rcp_f32_e32 v1, v0
	v_nop
	v_fma_f32 v192, -v0, v1, 1.0
	s_delay_alu instid0(VALU_DEP_1) | instskip(NEXT) | instid1(VALU_DEP_1)
	v_fmac_f32_e32 v1, v192, v1
	v_mul_f32_e32 v192, v193, v1
	s_delay_alu instid0(VALU_DEP_1) | instskip(NEXT) | instid1(VALU_DEP_1)
	v_fma_f32 v194, -v0, v192, v193
	v_fmac_f32_e32 v192, v194, v1
	s_delay_alu instid0(VALU_DEP_1) | instskip(NEXT) | instid1(VALU_DEP_1)
	v_fma_f32 v0, -v0, v192, v193
	v_div_fmas_f32 v0, v0, v1, v192
	s_delay_alu instid0(VALU_DEP_1) | instskip(NEXT) | instid1(VALU_DEP_1)
	v_div_fixup_f32 v0, v0, v191, v190
	v_fmac_f32_e32 v191, v190, v0
	s_delay_alu instid0(VALU_DEP_1) | instskip(SKIP_1) | instid1(VALU_DEP_2)
	v_div_scale_f32 v1, null, v191, v191, 1.0
	v_div_scale_f32 v193, vcc_lo, 1.0, v191, 1.0
	v_rcp_f32_e32 v190, v1
	v_nop
	s_delay_alu instid0(TRANS32_DEP_1) | instskip(NEXT) | instid1(VALU_DEP_1)
	v_fma_f32 v192, -v1, v190, 1.0
	v_fmac_f32_e32 v190, v192, v190
	s_delay_alu instid0(VALU_DEP_1) | instskip(NEXT) | instid1(VALU_DEP_1)
	v_mul_f32_e32 v192, v193, v190
	v_fma_f32 v194, -v1, v192, v193
	s_delay_alu instid0(VALU_DEP_1) | instskip(NEXT) | instid1(VALU_DEP_1)
	v_fmac_f32_e32 v192, v194, v190
	v_fma_f32 v1, -v1, v192, v193
	s_delay_alu instid0(VALU_DEP_1) | instskip(NEXT) | instid1(VALU_DEP_1)
	v_div_fmas_f32 v1, v1, v190, v192
	v_div_fixup_f32 v1, v1, v191, 1.0
                                        ; implicit-def: $vgpr190_vgpr191
	s_delay_alu instid0(VALU_DEP_1)
	v_mul_f32_e32 v192, v0, v1
	v_xor_b32_e32 v193, 0x80000000, v1
.LBB79_131:
	s_and_not1_saveexec_b32 s1, s1
	s_cbranch_execz .LBB79_133
; %bb.132:
	v_div_scale_f32 v0, null, v190, v190, v191
	v_div_scale_f32 v193, vcc_lo, v191, v190, v191
	s_delay_alu instid0(VALU_DEP_2) | instskip(SKIP_1) | instid1(TRANS32_DEP_1)
	v_rcp_f32_e32 v1, v0
	v_nop
	v_fma_f32 v192, -v0, v1, 1.0
	s_delay_alu instid0(VALU_DEP_1) | instskip(NEXT) | instid1(VALU_DEP_1)
	v_fmac_f32_e32 v1, v192, v1
	v_mul_f32_e32 v192, v193, v1
	s_delay_alu instid0(VALU_DEP_1) | instskip(NEXT) | instid1(VALU_DEP_1)
	v_fma_f32 v194, -v0, v192, v193
	v_fmac_f32_e32 v192, v194, v1
	s_delay_alu instid0(VALU_DEP_1) | instskip(NEXT) | instid1(VALU_DEP_1)
	v_fma_f32 v0, -v0, v192, v193
	v_div_fmas_f32 v0, v0, v1, v192
	s_delay_alu instid0(VALU_DEP_1) | instskip(NEXT) | instid1(VALU_DEP_1)
	v_div_fixup_f32 v0, v0, v190, v191
	v_fmac_f32_e32 v190, v191, v0
	s_delay_alu instid0(VALU_DEP_1) | instskip(NEXT) | instid1(VALU_DEP_1)
	v_div_scale_f32 v1, null, v190, v190, 1.0
	v_rcp_f32_e32 v191, v1
	v_nop
	s_delay_alu instid0(TRANS32_DEP_1) | instskip(NEXT) | instid1(VALU_DEP_1)
	v_fma_f32 v192, -v1, v191, 1.0
	v_fmac_f32_e32 v191, v192, v191
	v_div_scale_f32 v192, vcc_lo, 1.0, v190, 1.0
	s_delay_alu instid0(VALU_DEP_1) | instskip(NEXT) | instid1(VALU_DEP_1)
	v_mul_f32_e32 v193, v192, v191
	v_fma_f32 v194, -v1, v193, v192
	s_delay_alu instid0(VALU_DEP_1) | instskip(NEXT) | instid1(VALU_DEP_1)
	v_fmac_f32_e32 v193, v194, v191
	v_fma_f32 v1, -v1, v193, v192
	s_delay_alu instid0(VALU_DEP_1) | instskip(NEXT) | instid1(VALU_DEP_1)
	v_div_fmas_f32 v1, v1, v191, v193
	v_div_fixup_f32 v192, v1, v190, 1.0
	s_delay_alu instid0(VALU_DEP_1)
	v_mul_f32_e64 v193, v0, -v192
.LBB79_133:
	s_or_b32 exec_lo, exec_lo, s1
	ds_store_b64 v243, v[192:193]
.LBB79_134:
	s_or_b32 exec_lo, exec_lo, s2
	s_wait_dscnt 0x0
	s_barrier_signal -1
	s_barrier_wait -1
	ds_load_b64 v[190:191], v243
	s_mov_b32 s1, exec_lo
	v_cmpx_lt_u32_e32 14, v242
	s_cbranch_execz .LBB79_136
; %bb.135:
	ds_load_2addr_b64 v[196:199], v244 offset0:15 offset1:16
	ds_load_2addr_b64 v[200:203], v244 offset0:17 offset1:18
	;; [unrolled: 1-line block ×3, first 2 shown]
	s_wait_dscnt 0x3
	v_pk_mul_f32 v[194:195], v[190:191], v[90:91] op_sel:[1,1] op_sel_hi:[0,1]
	ds_load_2addr_b64 v[208:211], v244 offset0:21 offset1:22
	ds_load_2addr_b64 v[212:215], v244 offset0:23 offset1:24
	v_pk_fma_f32 v[192:193], v[190:191], v[90:91], v[194:195] op_sel_hi:[1,0,1] neg_lo:[0,0,1] neg_hi:[0,0,1]
	v_pk_fma_f32 v[194:195], v[190:191], v[90:91], v[194:195] op_sel_hi:[1,0,1]
	s_delay_alu instid0(VALU_DEP_1) | instskip(SKIP_1) | instid1(VALU_DEP_2)
	v_dual_mov_b32 v90, v192 :: v_dual_mov_b32 v91, v195
	s_wait_dscnt 0x4
	v_pk_mul_f32 v[216:217], v[196:197], v[194:195] op_sel:[0,1]
	v_pk_mul_f32 v[218:219], v[198:199], v[194:195] op_sel:[0,1]
	s_wait_dscnt 0x3
	v_pk_mul_f32 v[220:221], v[200:201], v[194:195] op_sel:[0,1]
	v_dual_mov_b32 v222, v203 :: v_dual_mov_b32 v223, v202
	v_dual_mul_f32 v224, v203, v195 :: v_dual_mul_f32 v226, v203, v192
	s_wait_dscnt 0x2
	v_pk_mul_f32 v[228:229], v[204:205], v[194:195] op_sel:[0,1]
	v_pk_mul_f32 v[230:231], v[206:207], v[194:195] op_sel:[0,1]
	v_pk_fma_f32 v[232:233], v[196:197], v[192:193], v[216:217] op_sel:[0,0,1] op_sel_hi:[1,1,0] neg_lo:[0,0,1] neg_hi:[0,0,1]
	v_pk_fma_f32 v[196:197], v[196:197], v[192:193], v[216:217] op_sel:[0,0,1] op_sel_hi:[1,0,0]
	v_pk_fma_f32 v[216:217], v[198:199], v[192:193], v[218:219] op_sel:[0,0,1] op_sel_hi:[1,1,0] neg_lo:[0,0,1] neg_hi:[0,0,1]
	v_pk_fma_f32 v[198:199], v[198:199], v[192:193], v[218:219] op_sel:[0,0,1] op_sel_hi:[1,0,0]
	;; [unrolled: 2-line block ×3, first 2 shown]
	v_pk_fma_f32 v[220:221], v[222:223], v[90:91], v[226:227] op_sel_hi:[1,1,0]
	v_pk_fma_f32 v[222:223], v[204:205], v[192:193], v[228:229] op_sel:[0,0,1] op_sel_hi:[1,0,0]
	v_dual_mov_b32 v233, v197 :: v_dual_mov_b32 v217, v199
	v_pk_fma_f32 v[196:197], v[206:207], v[192:193], v[230:231] op_sel:[0,0,1] op_sel_hi:[1,0,0]
	v_pk_fma_f32 v[202:203], v[202:203], v[90:91], v[224:225] op_sel_hi:[1,1,0] neg_lo:[0,0,1] neg_hi:[0,0,1]
	v_dual_mov_b32 v219, v201 :: v_dual_mov_b32 v203, v221
	v_pk_fma_f32 v[200:201], v[204:205], v[192:193], v[228:229] op_sel:[0,0,1] op_sel_hi:[1,1,0] neg_lo:[0,0,1] neg_hi:[0,0,1]
	v_pk_fma_f32 v[204:205], v[206:207], v[192:193], v[230:231] op_sel:[0,0,1] op_sel_hi:[1,1,0] neg_lo:[0,0,1] neg_hi:[0,0,1]
	v_dual_mov_b32 v201, v223 :: v_dual_mov_b32 v205, v197
	ds_load_2addr_b64 v[196:199], v244 offset0:25 offset1:26
	v_pk_add_f32 v[84:85], v[84:85], v[216:217] neg_lo:[0,1] neg_hi:[0,1]
	s_wait_dscnt 0x2
	v_pk_mul_f32 v[206:207], v[208:209], v[194:195] op_sel:[0,1]
	v_pk_add_f32 v[116:117], v[116:117], v[202:203] neg_lo:[0,1] neg_hi:[0,1]
	v_pk_add_f32 v[112:113], v[112:113], v[200:201] neg_lo:[0,1] neg_hi:[0,1]
	v_pk_mul_f32 v[216:217], v[210:211], v[194:195] op_sel:[0,1]
	ds_load_2addr_b64 v[200:203], v244 offset0:27 offset1:28
	v_pk_add_f32 v[114:115], v[114:115], v[218:219] neg_lo:[0,1] neg_hi:[0,1]
	v_pk_add_f32 v[110:111], v[110:111], v[204:205] neg_lo:[0,1] neg_hi:[0,1]
	v_pk_fma_f32 v[204:205], v[208:209], v[192:193], v[206:207] op_sel:[0,0,1] op_sel_hi:[1,1,0] neg_lo:[0,0,1] neg_hi:[0,0,1]
	s_wait_dscnt 0x2
	v_mul_f32_e32 v218, v213, v192
	v_pk_fma_f32 v[206:207], v[208:209], v[192:193], v[206:207] op_sel:[0,0,1] op_sel_hi:[1,0,0]
	v_pk_fma_f32 v[208:209], v[210:211], v[192:193], v[216:217] op_sel:[0,0,1] op_sel_hi:[1,0,0]
	v_mul_f32_e32 v206, v213, v195
	v_pk_fma_f32 v[210:211], v[210:211], v[192:193], v[216:217] op_sel:[0,0,1] op_sel_hi:[1,1,0] neg_lo:[0,0,1] neg_hi:[0,0,1]
	v_pk_fma_f32 v[218:219], v[212:213], v[90:91], v[218:219] op_sel:[1,0,0] op_sel_hi:[0,1,0]
	s_delay_alu instid0(VALU_DEP_4)
	v_dual_mov_b32 v205, v207 :: v_dual_mov_b32 v211, v209
	v_pk_mul_f32 v[208:209], v[214:215], v[194:195] op_sel:[0,1]
	v_pk_fma_f32 v[206:207], v[212:213], v[90:91], v[206:207] op_sel_hi:[1,1,0] neg_lo:[0,0,1] neg_hi:[0,0,1]
	s_wait_dscnt 0x1
	v_pk_mul_f32 v[212:213], v[196:197], v[194:195] op_sel:[0,1]
	v_pk_add_f32 v[142:143], v[142:143], v[204:205] neg_lo:[0,1] neg_hi:[0,1]
	v_pk_add_f32 v[144:145], v[144:145], v[210:211] neg_lo:[0,1] neg_hi:[0,1]
	v_pk_fma_f32 v[210:211], v[214:215], v[192:193], v[208:209] op_sel:[0,0,1] op_sel_hi:[1,0,0]
	v_mov_b32_e32 v207, v219
	v_pk_fma_f32 v[214:215], v[214:215], v[192:193], v[208:209] op_sel:[0,0,1] op_sel_hi:[1,1,0] neg_lo:[0,0,1] neg_hi:[0,0,1]
	v_pk_fma_f32 v[208:209], v[196:197], v[192:193], v[212:213] op_sel:[0,0,1] op_sel_hi:[1,0,0]
	v_pk_fma_f32 v[196:197], v[196:197], v[192:193], v[212:213] op_sel:[0,0,1] op_sel_hi:[1,1,0] neg_lo:[0,0,1] neg_hi:[0,0,1]
	v_mov_b32_e32 v215, v211
	v_pk_add_f32 v[140:141], v[140:141], v[206:207] neg_lo:[0,1] neg_hi:[0,1]
	ds_load_2addr_b64 v[204:207], v244 offset0:29 offset1:30
	s_wait_dscnt 0x1
	v_pk_mul_f32 v[212:213], v[200:201], v[194:195] op_sel:[0,1]
	v_pk_mul_f32 v[216:217], v[198:199], v[194:195] op_sel:[0,1]
	v_pk_add_f32 v[100:101], v[100:101], v[214:215] neg_lo:[0,1] neg_hi:[0,1]
	v_pk_add_f32 v[86:87], v[86:87], v[232:233] neg_lo:[0,1] neg_hi:[0,1]
	s_delay_alu instid0(VALU_DEP_4)
	v_pk_fma_f32 v[214:215], v[200:201], v[192:193], v[212:213] op_sel:[0,0,1] op_sel_hi:[1,0,0]
	v_mov_b32_e32 v197, v209
	ds_load_2addr_b64 v[208:211], v244 offset0:31 offset1:32
	v_pk_fma_f32 v[218:219], v[198:199], v[192:193], v[216:217] op_sel:[0,0,1] op_sel_hi:[1,0,0]
	v_mul_f32_e32 v214, v203, v192
	v_pk_add_f32 v[96:97], v[96:97], v[196:197] neg_lo:[0,1] neg_hi:[0,1]
	v_pk_fma_f32 v[196:197], v[198:199], v[192:193], v[216:217] op_sel:[0,0,1] op_sel_hi:[1,1,0] neg_lo:[0,0,1] neg_hi:[0,0,1]
	v_pk_fma_f32 v[198:199], v[200:201], v[192:193], v[212:213] op_sel:[0,0,1] op_sel_hi:[1,1,0] neg_lo:[0,0,1] neg_hi:[0,0,1]
	v_dual_mov_b32 v197, v219 :: v_dual_mov_b32 v200, v203
	v_dual_mov_b32 v199, v215 :: v_dual_mov_b32 v201, v202
	v_mul_f32_e32 v212, v203, v195
	s_wait_dscnt 0x1
	v_pk_mul_f32 v[216:217], v[204:205], v[194:195] op_sel:[0,1]
	v_pk_add_f32 v[98:99], v[98:99], v[196:197] neg_lo:[0,1] neg_hi:[0,1]
	v_pk_add_f32 v[94:95], v[94:95], v[198:199] neg_lo:[0,1] neg_hi:[0,1]
	ds_load_2addr_b64 v[196:199], v244 offset0:33 offset1:34
	v_pk_fma_f32 v[212:213], v[202:203], v[90:91], v[212:213] op_sel_hi:[1,1,0] neg_lo:[0,0,1] neg_hi:[0,0,1]
	v_pk_fma_f32 v[200:201], v[200:201], v[90:91], v[214:215] op_sel_hi:[1,1,0]
	v_pk_mul_f32 v[202:203], v[206:207], v[194:195] op_sel:[0,1]
	v_pk_fma_f32 v[214:215], v[204:205], v[192:193], v[216:217] op_sel:[0,0,1] op_sel_hi:[1,0,0]
	s_wait_dscnt 0x1
	v_pk_mul_f32 v[218:219], v[208:209], v[194:195] op_sel:[0,1]
	v_pk_fma_f32 v[204:205], v[204:205], v[192:193], v[216:217] op_sel:[0,0,1] op_sel_hi:[1,1,0] neg_lo:[0,0,1] neg_hi:[0,0,1]
	v_mov_b32_e32 v213, v201
	v_pk_fma_f32 v[216:217], v[206:207], v[192:193], v[202:203] op_sel:[0,0,1] op_sel_hi:[1,0,0]
	v_pk_fma_f32 v[206:207], v[206:207], v[192:193], v[202:203] op_sel:[0,0,1] op_sel_hi:[1,1,0] neg_lo:[0,0,1] neg_hi:[0,0,1]
	ds_load_2addr_b64 v[200:203], v244 offset0:35 offset1:36
	v_mov_b32_e32 v205, v215
	v_pk_fma_f32 v[214:215], v[208:209], v[192:193], v[218:219] op_sel:[0,0,1] op_sel_hi:[1,0,0]
	v_mov_b32_e32 v207, v217
	v_pk_fma_f32 v[208:209], v[208:209], v[192:193], v[218:219] op_sel:[0,0,1] op_sel_hi:[1,1,0] neg_lo:[0,0,1] neg_hi:[0,0,1]
	ds_load_b64 v[218:219], v244 offset:312
	v_pk_add_f32 v[124:125], v[124:125], v[204:205] neg_lo:[0,1] neg_hi:[0,1]
	v_mov_b32_e32 v209, v215
	v_pk_mul_f32 v[214:215], v[210:211], v[194:195] op_sel:[0,1]
	v_pk_add_f32 v[126:127], v[126:127], v[206:207] neg_lo:[0,1] neg_hi:[0,1]
	ds_load_2addr_b64 v[204:207], v244 offset0:37 offset1:38
	v_pk_add_f32 v[128:129], v[128:129], v[212:213] neg_lo:[0,1] neg_hi:[0,1]
	v_pk_add_f32 v[122:123], v[122:123], v[208:209] neg_lo:[0,1] neg_hi:[0,1]
	v_pk_fma_f32 v[208:209], v[210:211], v[192:193], v[214:215] op_sel:[0,0,1] op_sel_hi:[1,1,0] neg_lo:[0,0,1] neg_hi:[0,0,1]
	v_pk_fma_f32 v[210:211], v[210:211], v[192:193], v[214:215] op_sel:[0,0,1] op_sel_hi:[1,0,0]
	s_wait_dscnt 0x3
	v_mul_f32_e32 v210, v197, v192
	v_pk_mul_f32 v[212:213], v[198:199], v[194:195] op_sel:[0,1]
	s_delay_alu instid0(VALU_DEP_3) | instskip(NEXT) | instid1(VALU_DEP_3)
	v_dual_mul_f32 v214, v197, v195 :: v_dual_mov_b32 v209, v211
	v_pk_fma_f32 v[210:211], v[196:197], v[90:91], v[210:211] op_sel:[1,0,0] op_sel_hi:[0,1,0]
	s_delay_alu instid0(VALU_DEP_3) | instskip(NEXT) | instid1(VALU_DEP_3)
	v_pk_fma_f32 v[216:217], v[198:199], v[192:193], v[212:213] op_sel:[0,0,1] op_sel_hi:[1,0,0]
	v_pk_fma_f32 v[196:197], v[196:197], v[90:91], v[214:215] op_sel_hi:[1,1,0] neg_lo:[0,0,1] neg_hi:[0,0,1]
	s_wait_dscnt 0x2
	v_pk_mul_f32 v[214:215], v[200:201], v[194:195] op_sel:[0,1]
	v_pk_fma_f32 v[198:199], v[198:199], v[192:193], v[212:213] op_sel:[0,0,1] op_sel_hi:[1,1,0] neg_lo:[0,0,1] neg_hi:[0,0,1]
	v_dual_mov_b32 v197, v211 :: v_dual_mov_b32 v199, v217
	v_pk_mul_f32 v[210:211], v[202:203], v[194:195] op_sel:[0,1]
	v_pk_add_f32 v[152:153], v[152:153], v[208:209] neg_lo:[0,1] neg_hi:[0,1]
	v_pk_fma_f32 v[208:209], v[200:201], v[192:193], v[214:215] op_sel:[0,0,1] op_sel_hi:[1,0,0]
	s_delay_alu instid0(VALU_DEP_4)
	v_pk_add_f32 v[148:149], v[148:149], v[196:197] neg_lo:[0,1] neg_hi:[0,1]
	v_pk_fma_f32 v[196:197], v[200:201], v[192:193], v[214:215] op_sel:[0,0,1] op_sel_hi:[1,1,0] neg_lo:[0,0,1] neg_hi:[0,0,1]
	v_pk_fma_f32 v[200:201], v[202:203], v[192:193], v[210:211] op_sel:[0,0,1] op_sel_hi:[1,0,0]
	v_pk_add_f32 v[150:151], v[150:151], v[198:199] neg_lo:[0,1] neg_hi:[0,1]
	s_wait_dscnt 0x0
	v_dual_mov_b32 v197, v209 :: v_dual_mov_b32 v208, v207
	v_pk_fma_f32 v[198:199], v[202:203], v[192:193], v[210:211] op_sel:[0,0,1] op_sel_hi:[1,1,0] neg_lo:[0,0,1] neg_hi:[0,0,1]
	v_pk_mul_f32 v[202:203], v[204:205], v[194:195] op_sel:[0,1]
	v_dual_mov_b32 v209, v206 :: v_dual_mul_f32 v200, v207, v192
	v_pk_mul_f32 v[210:211], v[218:219], v[194:195] op_sel:[0,1]
	v_dual_mov_b32 v199, v201 :: v_dual_mul_f32 v194, v207, v195
	s_delay_alu instid0(VALU_DEP_4) | instskip(NEXT) | instid1(VALU_DEP_4)
	v_pk_fma_f32 v[212:213], v[204:205], v[192:193], v[202:203] op_sel:[0,0,1] op_sel_hi:[1,0,0]
	v_pk_fma_f32 v[200:201], v[208:209], v[90:91], v[200:201] op_sel_hi:[1,1,0]
	v_pk_fma_f32 v[202:203], v[204:205], v[192:193], v[202:203] op_sel:[0,0,1] op_sel_hi:[1,1,0] neg_lo:[0,0,1] neg_hi:[0,0,1]
	v_pk_fma_f32 v[204:205], v[218:219], v[192:193], v[210:211] op_sel:[0,0,1] op_sel_hi:[1,0,0]
	v_pk_fma_f32 v[194:195], v[206:207], v[90:91], v[194:195] op_sel_hi:[1,1,0] neg_lo:[0,0,1] neg_hi:[0,0,1]
	v_pk_fma_f32 v[192:193], v[218:219], v[192:193], v[210:211] op_sel:[0,0,1] op_sel_hi:[1,1,0] neg_lo:[0,0,1] neg_hi:[0,0,1]
	v_dual_mov_b32 v203, v213 :: v_dual_mov_b32 v195, v201
	s_delay_alu instid0(VALU_DEP_4) | instskip(SKIP_2) | instid1(VALU_DEP_4)
	v_mov_b32_e32 v193, v205
	v_pk_add_f32 v[146:147], v[146:147], v[196:197] neg_lo:[0,1] neg_hi:[0,1]
	v_pk_add_f32 v[158:159], v[158:159], v[198:199] neg_lo:[0,1] neg_hi:[0,1]
	;; [unrolled: 1-line block ×5, first 2 shown]
.LBB79_136:
	s_or_b32 exec_lo, exec_lo, s1
	s_delay_alu instid0(SALU_CYCLE_1)
	s_mov_b32 s2, exec_lo
	s_wait_dscnt 0x0
	s_barrier_signal -1
	s_barrier_wait -1
	v_cmpx_eq_u32_e32 15, v242
	s_cbranch_execz .LBB79_143
; %bb.137:
	v_dual_mov_b32 v192, v84 :: v_dual_mov_b32 v193, v85
	v_dual_mov_b32 v194, v114 :: v_dual_mov_b32 v195, v115
	;; [unrolled: 1-line block ×10, first 2 shown]
	ds_store_b64 v243, v[86:87]
	v_dual_mov_b32 v212, v98 :: v_dual_mov_b32 v213, v99
	v_dual_mov_b32 v214, v94 :: v_dual_mov_b32 v215, v95
	ds_store_2addr_b64 v244, v[192:193], v[194:195] offset0:16 offset1:17
	ds_store_2addr_b64 v244, v[196:197], v[198:199] offset0:18 offset1:19
	;; [unrolled: 1-line block ×6, first 2 shown]
	v_dual_mov_b32 v192, v128 :: v_dual_mov_b32 v193, v129
	v_dual_mov_b32 v194, v124 :: v_dual_mov_b32 v195, v125
	;; [unrolled: 1-line block ×11, first 2 shown]
	ds_store_2addr_b64 v244, v[192:193], v[194:195] offset0:28 offset1:29
	ds_store_2addr_b64 v244, v[196:197], v[198:199] offset0:30 offset1:31
	;; [unrolled: 1-line block ×6, first 2 shown]
	ds_load_b64 v[192:193], v243
	s_wait_dscnt 0x0
	v_cmp_neq_f32_e32 vcc_lo, 0, v192
	v_cmp_neq_f32_e64 s1, 0, v193
	s_or_b32 s1, vcc_lo, s1
	s_delay_alu instid0(SALU_CYCLE_1)
	s_and_b32 exec_lo, exec_lo, s1
	s_cbranch_execz .LBB79_143
; %bb.138:
	v_cmp_ngt_f32_e64 s1, |v192|, |v193|
                                        ; implicit-def: $vgpr194_vgpr195
	s_and_saveexec_b32 s4, s1
	s_delay_alu instid0(SALU_CYCLE_1)
	s_xor_b32 s1, exec_lo, s4
	s_cbranch_execz .LBB79_140
; %bb.139:
	v_div_scale_f32 v0, null, v193, v193, v192
	v_div_scale_f32 v195, vcc_lo, v192, v193, v192
	s_delay_alu instid0(VALU_DEP_2) | instskip(SKIP_1) | instid1(TRANS32_DEP_1)
	v_rcp_f32_e32 v1, v0
	v_nop
	v_fma_f32 v194, -v0, v1, 1.0
	s_delay_alu instid0(VALU_DEP_1) | instskip(NEXT) | instid1(VALU_DEP_1)
	v_fmac_f32_e32 v1, v194, v1
	v_mul_f32_e32 v194, v195, v1
	s_delay_alu instid0(VALU_DEP_1) | instskip(NEXT) | instid1(VALU_DEP_1)
	v_fma_f32 v196, -v0, v194, v195
	v_fmac_f32_e32 v194, v196, v1
	s_delay_alu instid0(VALU_DEP_1) | instskip(NEXT) | instid1(VALU_DEP_1)
	v_fma_f32 v0, -v0, v194, v195
	v_div_fmas_f32 v0, v0, v1, v194
	s_delay_alu instid0(VALU_DEP_1) | instskip(NEXT) | instid1(VALU_DEP_1)
	v_div_fixup_f32 v0, v0, v193, v192
	v_fmac_f32_e32 v193, v192, v0
	s_delay_alu instid0(VALU_DEP_1) | instskip(SKIP_1) | instid1(VALU_DEP_2)
	v_div_scale_f32 v1, null, v193, v193, 1.0
	v_div_scale_f32 v195, vcc_lo, 1.0, v193, 1.0
	v_rcp_f32_e32 v192, v1
	v_nop
	s_delay_alu instid0(TRANS32_DEP_1) | instskip(NEXT) | instid1(VALU_DEP_1)
	v_fma_f32 v194, -v1, v192, 1.0
	v_fmac_f32_e32 v192, v194, v192
	s_delay_alu instid0(VALU_DEP_1) | instskip(NEXT) | instid1(VALU_DEP_1)
	v_mul_f32_e32 v194, v195, v192
	v_fma_f32 v196, -v1, v194, v195
	s_delay_alu instid0(VALU_DEP_1) | instskip(NEXT) | instid1(VALU_DEP_1)
	v_fmac_f32_e32 v194, v196, v192
	v_fma_f32 v1, -v1, v194, v195
	s_delay_alu instid0(VALU_DEP_1) | instskip(NEXT) | instid1(VALU_DEP_1)
	v_div_fmas_f32 v1, v1, v192, v194
	v_div_fixup_f32 v1, v1, v193, 1.0
                                        ; implicit-def: $vgpr192_vgpr193
	s_delay_alu instid0(VALU_DEP_1)
	v_mul_f32_e32 v194, v0, v1
	v_xor_b32_e32 v195, 0x80000000, v1
.LBB79_140:
	s_and_not1_saveexec_b32 s1, s1
	s_cbranch_execz .LBB79_142
; %bb.141:
	v_div_scale_f32 v0, null, v192, v192, v193
	v_div_scale_f32 v195, vcc_lo, v193, v192, v193
	s_delay_alu instid0(VALU_DEP_2) | instskip(SKIP_1) | instid1(TRANS32_DEP_1)
	v_rcp_f32_e32 v1, v0
	v_nop
	v_fma_f32 v194, -v0, v1, 1.0
	s_delay_alu instid0(VALU_DEP_1) | instskip(NEXT) | instid1(VALU_DEP_1)
	v_fmac_f32_e32 v1, v194, v1
	v_mul_f32_e32 v194, v195, v1
	s_delay_alu instid0(VALU_DEP_1) | instskip(NEXT) | instid1(VALU_DEP_1)
	v_fma_f32 v196, -v0, v194, v195
	v_fmac_f32_e32 v194, v196, v1
	s_delay_alu instid0(VALU_DEP_1) | instskip(NEXT) | instid1(VALU_DEP_1)
	v_fma_f32 v0, -v0, v194, v195
	v_div_fmas_f32 v0, v0, v1, v194
	s_delay_alu instid0(VALU_DEP_1) | instskip(NEXT) | instid1(VALU_DEP_1)
	v_div_fixup_f32 v0, v0, v192, v193
	v_fmac_f32_e32 v192, v193, v0
	s_delay_alu instid0(VALU_DEP_1) | instskip(NEXT) | instid1(VALU_DEP_1)
	v_div_scale_f32 v1, null, v192, v192, 1.0
	v_rcp_f32_e32 v193, v1
	v_nop
	s_delay_alu instid0(TRANS32_DEP_1) | instskip(NEXT) | instid1(VALU_DEP_1)
	v_fma_f32 v194, -v1, v193, 1.0
	v_fmac_f32_e32 v193, v194, v193
	v_div_scale_f32 v194, vcc_lo, 1.0, v192, 1.0
	s_delay_alu instid0(VALU_DEP_1) | instskip(NEXT) | instid1(VALU_DEP_1)
	v_mul_f32_e32 v195, v194, v193
	v_fma_f32 v196, -v1, v195, v194
	s_delay_alu instid0(VALU_DEP_1) | instskip(NEXT) | instid1(VALU_DEP_1)
	v_fmac_f32_e32 v195, v196, v193
	v_fma_f32 v1, -v1, v195, v194
	s_delay_alu instid0(VALU_DEP_1) | instskip(NEXT) | instid1(VALU_DEP_1)
	v_div_fmas_f32 v1, v1, v193, v195
	v_div_fixup_f32 v194, v1, v192, 1.0
	s_delay_alu instid0(VALU_DEP_1)
	v_mul_f32_e64 v195, v0, -v194
.LBB79_142:
	s_or_b32 exec_lo, exec_lo, s1
	ds_store_b64 v243, v[194:195]
.LBB79_143:
	s_or_b32 exec_lo, exec_lo, s2
	s_wait_dscnt 0x0
	s_barrier_signal -1
	s_barrier_wait -1
	ds_load_b64 v[192:193], v243
	s_mov_b32 s1, exec_lo
	v_cmpx_lt_u32_e32 15, v242
	s_cbranch_execz .LBB79_145
; %bb.144:
	ds_load_2addr_b64 v[198:201], v244 offset0:16 offset1:17
	ds_load_2addr_b64 v[202:205], v244 offset0:18 offset1:19
	;; [unrolled: 1-line block ×3, first 2 shown]
	s_wait_dscnt 0x3
	v_pk_mul_f32 v[196:197], v[192:193], v[86:87] op_sel:[1,1] op_sel_hi:[0,1]
	ds_load_2addr_b64 v[210:213], v244 offset0:22 offset1:23
	ds_load_2addr_b64 v[214:217], v244 offset0:24 offset1:25
	v_pk_fma_f32 v[194:195], v[192:193], v[86:87], v[196:197] op_sel_hi:[1,0,1] neg_lo:[0,0,1] neg_hi:[0,0,1]
	v_pk_fma_f32 v[196:197], v[192:193], v[86:87], v[196:197] op_sel_hi:[1,0,1]
	s_delay_alu instid0(VALU_DEP_1) | instskip(SKIP_1) | instid1(VALU_DEP_2)
	v_dual_mov_b32 v86, v194 :: v_dual_mov_b32 v87, v197
	s_wait_dscnt 0x4
	v_pk_mul_f32 v[218:219], v[198:199], v[196:197] op_sel:[0,1]
	v_pk_mul_f32 v[220:221], v[200:201], v[196:197] op_sel:[0,1]
	s_wait_dscnt 0x3
	v_pk_mul_f32 v[222:223], v[202:203], v[196:197] op_sel:[0,1]
	v_dual_mov_b32 v224, v205 :: v_dual_mov_b32 v225, v204
	v_dual_mul_f32 v226, v205, v197 :: v_dual_mul_f32 v228, v205, v194
	s_wait_dscnt 0x2
	v_pk_mul_f32 v[230:231], v[206:207], v[196:197] op_sel:[0,1]
	v_pk_mul_f32 v[232:233], v[208:209], v[196:197] op_sel:[0,1]
	v_pk_fma_f32 v[234:235], v[198:199], v[194:195], v[218:219] op_sel:[0,0,1] op_sel_hi:[1,1,0] neg_lo:[0,0,1] neg_hi:[0,0,1]
	v_pk_fma_f32 v[198:199], v[198:199], v[194:195], v[218:219] op_sel:[0,0,1] op_sel_hi:[1,0,0]
	v_pk_fma_f32 v[218:219], v[200:201], v[194:195], v[220:221] op_sel:[0,0,1] op_sel_hi:[1,1,0] neg_lo:[0,0,1] neg_hi:[0,0,1]
	v_pk_fma_f32 v[200:201], v[200:201], v[194:195], v[220:221] op_sel:[0,0,1] op_sel_hi:[1,0,0]
	;; [unrolled: 2-line block ×3, first 2 shown]
	v_pk_fma_f32 v[222:223], v[224:225], v[86:87], v[228:229] op_sel_hi:[1,1,0]
	v_pk_fma_f32 v[204:205], v[204:205], v[86:87], v[226:227] op_sel_hi:[1,1,0] neg_lo:[0,0,1] neg_hi:[0,0,1]
	v_pk_fma_f32 v[224:225], v[206:207], v[194:195], v[230:231] op_sel:[0,0,1] op_sel_hi:[1,1,0] neg_lo:[0,0,1] neg_hi:[0,0,1]
	v_dual_mov_b32 v235, v199 :: v_dual_mov_b32 v219, v201
	s_delay_alu instid0(VALU_DEP_4)
	v_dual_mov_b32 v221, v203 :: v_dual_mov_b32 v205, v223
	v_pk_fma_f32 v[198:199], v[206:207], v[194:195], v[230:231] op_sel:[0,0,1] op_sel_hi:[1,0,0]
	v_pk_fma_f32 v[202:203], v[208:209], v[194:195], v[232:233] op_sel:[0,0,1] op_sel_hi:[1,0,0]
	v_pk_fma_f32 v[206:207], v[208:209], v[194:195], v[232:233] op_sel:[0,0,1] op_sel_hi:[1,1,0] neg_lo:[0,0,1] neg_hi:[0,0,1]
	s_wait_dscnt 0x1
	v_pk_mul_f32 v[208:209], v[210:211], v[196:197] op_sel:[0,1]
	v_pk_add_f32 v[112:113], v[112:113], v[204:205] neg_lo:[0,1] neg_hi:[0,1]
	v_dual_mov_b32 v225, v199 :: v_dual_mov_b32 v207, v203
	ds_load_2addr_b64 v[198:201], v244 offset0:26 offset1:27
	v_pk_fma_f32 v[204:205], v[210:211], v[194:195], v[208:209] op_sel:[0,0,1] op_sel_hi:[1,0,0]
	v_pk_mul_f32 v[202:203], v[212:213], v[196:197] op_sel:[0,1]
	v_pk_fma_f32 v[208:209], v[210:211], v[194:195], v[208:209] op_sel:[0,0,1] op_sel_hi:[1,1,0] neg_lo:[0,0,1] neg_hi:[0,0,1]
	v_pk_add_f32 v[142:143], v[142:143], v[206:207] neg_lo:[0,1] neg_hi:[0,1]
	v_pk_add_f32 v[114:115], v[114:115], v[218:219] neg_lo:[0,1] neg_hi:[0,1]
	v_mov_b32_e32 v209, v205
	v_pk_fma_f32 v[206:207], v[212:213], v[194:195], v[202:203] op_sel:[0,0,1] op_sel_hi:[1,0,0]
	s_wait_dscnt 0x1
	v_mul_f32_e32 v206, v215, v194
	v_pk_fma_f32 v[210:211], v[212:213], v[194:195], v[202:203] op_sel:[0,0,1] op_sel_hi:[1,1,0] neg_lo:[0,0,1] neg_hi:[0,0,1]
	ds_load_2addr_b64 v[202:205], v244 offset0:28 offset1:29
	v_pk_add_f32 v[144:145], v[144:145], v[208:209] neg_lo:[0,1] neg_hi:[0,1]
	v_pk_mul_f32 v[208:209], v[216:217], v[196:197] op_sel:[0,1]
	v_mul_f32_e32 v212, v215, v197
	v_pk_add_f32 v[116:117], v[116:117], v[220:221] neg_lo:[0,1] neg_hi:[0,1]
	v_pk_add_f32 v[84:85], v[84:85], v[234:235] neg_lo:[0,1] neg_hi:[0,1]
	;; [unrolled: 1-line block ×3, first 2 shown]
	v_pk_fma_f32 v[218:219], v[216:217], v[194:195], v[208:209] op_sel:[0,0,1] op_sel_hi:[1,0,0]
	v_mov_b32_e32 v211, v207
	v_pk_fma_f32 v[216:217], v[216:217], v[194:195], v[208:209] op_sel:[0,0,1] op_sel_hi:[1,1,0] neg_lo:[0,0,1] neg_hi:[0,0,1]
	v_pk_fma_f32 v[206:207], v[214:215], v[86:87], v[206:207] op_sel:[1,0,0] op_sel_hi:[0,1,0]
	s_delay_alu instid0(VALU_DEP_4) | instskip(NEXT) | instid1(VALU_DEP_4)
	v_mov_b32_e32 v217, v219
	v_pk_add_f32 v[140:141], v[140:141], v[210:211] neg_lo:[0,1] neg_hi:[0,1]
	v_pk_fma_f32 v[210:211], v[214:215], v[86:87], v[212:213] op_sel_hi:[1,1,0] neg_lo:[0,0,1] neg_hi:[0,0,1]
	s_wait_dscnt 0x1
	v_pk_mul_f32 v[214:215], v[200:201], v[196:197] op_sel:[0,1]
	v_pk_mul_f32 v[212:213], v[198:199], v[196:197] op_sel:[0,1]
	v_pk_add_f32 v[96:97], v[96:97], v[216:217] neg_lo:[0,1] neg_hi:[0,1]
	s_delay_alu instid0(VALU_DEP_3)
	v_pk_fma_f32 v[222:223], v[200:201], v[194:195], v[214:215] op_sel:[0,0,1] op_sel_hi:[1,0,0]
	v_mov_b32_e32 v211, v207
	ds_load_2addr_b64 v[206:209], v244 offset0:30 offset1:31
	v_pk_fma_f32 v[220:221], v[198:199], v[194:195], v[212:213] op_sel:[0,0,1] op_sel_hi:[1,0,0]
	v_pk_fma_f32 v[198:199], v[198:199], v[194:195], v[212:213] op_sel:[0,0,1] op_sel_hi:[1,1,0] neg_lo:[0,0,1] neg_hi:[0,0,1]
	s_wait_dscnt 0x1
	v_pk_mul_f32 v[212:213], v[202:203], v[196:197] op_sel:[0,1]
	v_pk_fma_f32 v[200:201], v[200:201], v[194:195], v[214:215] op_sel:[0,0,1] op_sel_hi:[1,1,0] neg_lo:[0,0,1] neg_hi:[0,0,1]
	v_dual_mov_b32 v201, v223 :: v_dual_mov_b32 v199, v221
	v_pk_add_f32 v[100:101], v[100:101], v[210:211] neg_lo:[0,1] neg_hi:[0,1]
	s_delay_alu instid0(VALU_DEP_4) | instskip(SKIP_1) | instid1(VALU_DEP_4)
	v_pk_fma_f32 v[210:211], v[202:203], v[194:195], v[212:213] op_sel:[0,0,1] op_sel_hi:[1,0,0]
	v_dual_mov_b32 v214, v205 :: v_dual_mov_b32 v215, v204
	v_pk_add_f32 v[98:99], v[98:99], v[198:199] neg_lo:[0,1] neg_hi:[0,1]
	v_pk_add_f32 v[94:95], v[94:95], v[200:201] neg_lo:[0,1] neg_hi:[0,1]
	ds_load_2addr_b64 v[198:201], v244 offset0:32 offset1:33
	v_mul_f32_e32 v210, v205, v194
	v_pk_fma_f32 v[202:203], v[202:203], v[194:195], v[212:213] op_sel:[0,0,1] op_sel_hi:[1,1,0] neg_lo:[0,0,1] neg_hi:[0,0,1]
	v_mov_b32_e32 v203, v211
	s_delay_alu instid0(VALU_DEP_3)
	v_pk_fma_f32 v[214:215], v[214:215], v[86:87], v[210:211] op_sel_hi:[1,1,0]
	s_wait_dscnt 0x1
	v_pk_mul_f32 v[218:219], v[206:207], v[196:197] op_sel:[0,1]
	v_mul_f32_e32 v216, v205, v197
	ds_load_2addr_b64 v[210:213], v244 offset0:34 offset1:35
	v_pk_mul_f32 v[220:221], v[208:209], v[196:197] op_sel:[0,1]
	v_pk_add_f32 v[128:129], v[128:129], v[202:203] neg_lo:[0,1] neg_hi:[0,1]
	v_pk_fma_f32 v[202:203], v[206:207], v[194:195], v[218:219] op_sel:[0,0,1] op_sel_hi:[1,0,0]
	v_pk_fma_f32 v[216:217], v[204:205], v[86:87], v[216:217] op_sel_hi:[1,1,0] neg_lo:[0,0,1] neg_hi:[0,0,1]
	v_pk_fma_f32 v[206:207], v[206:207], v[194:195], v[218:219] op_sel:[0,0,1] op_sel_hi:[1,1,0] neg_lo:[0,0,1] neg_hi:[0,0,1]
	v_mov_b32_e32 v217, v215
	v_pk_fma_f32 v[214:215], v[208:209], v[194:195], v[220:221] op_sel:[0,0,1] op_sel_hi:[1,0,0]
	v_mov_b32_e32 v207, v203
	ds_load_2addr_b64 v[202:205], v244 offset0:36 offset1:37
	v_pk_fma_f32 v[208:209], v[208:209], v[194:195], v[220:221] op_sel:[0,0,1] op_sel_hi:[1,1,0] neg_lo:[0,0,1] neg_hi:[0,0,1]
	v_pk_add_f32 v[124:125], v[124:125], v[216:217] neg_lo:[0,1] neg_hi:[0,1]
	v_mov_b32_e32 v209, v215
	s_wait_dscnt 0x2
	v_pk_mul_f32 v[214:215], v[198:199], v[196:197] op_sel:[0,1]
	v_pk_mul_f32 v[216:217], v[200:201], v[196:197] op_sel:[0,1]
	v_pk_add_f32 v[126:127], v[126:127], v[206:207] neg_lo:[0,1] neg_hi:[0,1]
	v_pk_add_f32 v[122:123], v[122:123], v[208:209] neg_lo:[0,1] neg_hi:[0,1]
	ds_load_2addr_b64 v[206:209], v244 offset0:38 offset1:39
	v_pk_fma_f32 v[218:219], v[198:199], v[194:195], v[214:215] op_sel:[0,0,1] op_sel_hi:[1,0,0]
	v_pk_fma_f32 v[198:199], v[198:199], v[194:195], v[214:215] op_sel:[0,0,1] op_sel_hi:[1,1,0] neg_lo:[0,0,1] neg_hi:[0,0,1]
	v_pk_fma_f32 v[214:215], v[200:201], v[194:195], v[216:217] op_sel:[0,0,1] op_sel_hi:[1,0,0]
	s_wait_dscnt 0x2
	v_dual_mul_f32 v214, v211, v194 :: v_dual_mul_f32 v218, v211, v197
	v_pk_fma_f32 v[200:201], v[200:201], v[194:195], v[216:217] op_sel:[0,0,1] op_sel_hi:[1,1,0] neg_lo:[0,0,1] neg_hi:[0,0,1]
	s_delay_alu instid0(VALU_DEP_3) | instskip(NEXT) | instid1(VALU_DEP_3)
	v_dual_mov_b32 v199, v219 :: v_dual_mov_b32 v201, v215
	v_pk_fma_f32 v[216:217], v[210:211], v[86:87], v[214:215] op_sel:[1,0,0] op_sel_hi:[0,1,0]
	s_delay_alu instid0(VALU_DEP_4)
	v_pk_fma_f32 v[210:211], v[210:211], v[86:87], v[218:219] op_sel_hi:[1,1,0] neg_lo:[0,0,1] neg_hi:[0,0,1]
	s_wait_dscnt 0x1
	v_pk_mul_f32 v[218:219], v[202:203], v[196:197] op_sel:[0,1]
	v_pk_mul_f32 v[214:215], v[212:213], v[196:197] op_sel:[0,1]
	v_pk_add_f32 v[148:149], v[148:149], v[200:201] neg_lo:[0,1] neg_hi:[0,1]
	v_pk_add_f32 v[152:153], v[152:153], v[198:199] neg_lo:[0,1] neg_hi:[0,1]
	s_delay_alu instid0(VALU_DEP_4) | instskip(SKIP_2) | instid1(VALU_DEP_2)
	v_pk_fma_f32 v[200:201], v[202:203], v[194:195], v[218:219] op_sel:[0,0,1] op_sel_hi:[1,0,0]
	v_mov_b32_e32 v211, v217
	v_pk_fma_f32 v[198:199], v[212:213], v[194:195], v[214:215] op_sel:[0,0,1] op_sel_hi:[1,0,0]
	v_pk_add_f32 v[150:151], v[150:151], v[210:211] neg_lo:[0,1] neg_hi:[0,1]
	v_pk_fma_f32 v[210:211], v[212:213], v[194:195], v[214:215] op_sel:[0,0,1] op_sel_hi:[1,1,0] neg_lo:[0,0,1] neg_hi:[0,0,1]
	s_wait_dscnt 0x0
	s_delay_alu instid0(VALU_DEP_3)
	v_dual_mov_b32 v211, v199 :: v_dual_mov_b32 v212, v209
	v_pk_fma_f32 v[198:199], v[202:203], v[194:195], v[218:219] op_sel:[0,0,1] op_sel_hi:[1,1,0] neg_lo:[0,0,1] neg_hi:[0,0,1]
	v_mov_b32_e32 v199, v201
	v_pk_mul_f32 v[200:201], v[204:205], v[196:197] op_sel:[0,1]
	v_pk_mul_f32 v[202:203], v[206:207], v[196:197] op_sel:[0,1]
	v_dual_mov_b32 v213, v208 :: v_dual_mul_f32 v196, v209, v194
	v_pk_add_f32 v[146:147], v[146:147], v[210:211] neg_lo:[0,1] neg_hi:[0,1]
	s_delay_alu instid0(VALU_DEP_4)
	v_pk_fma_f32 v[214:215], v[204:205], v[194:195], v[200:201] op_sel:[0,0,1] op_sel_hi:[1,0,0]
	v_pk_fma_f32 v[200:201], v[204:205], v[194:195], v[200:201] op_sel:[0,0,1] op_sel_hi:[1,1,0] neg_lo:[0,0,1] neg_hi:[0,0,1]
	v_pk_fma_f32 v[204:205], v[206:207], v[194:195], v[202:203] op_sel:[0,0,1] op_sel_hi:[1,0,0]
	v_mul_f32_e32 v204, v209, v197
	v_pk_fma_f32 v[196:197], v[212:213], v[86:87], v[196:197] op_sel_hi:[1,1,0]
	v_mov_b32_e32 v201, v215
	v_pk_fma_f32 v[194:195], v[206:207], v[194:195], v[202:203] op_sel:[0,0,1] op_sel_hi:[1,1,0] neg_lo:[0,0,1] neg_hi:[0,0,1]
	v_mov_b32_e32 v195, v205
	v_pk_fma_f32 v[202:203], v[208:209], v[86:87], v[204:205] op_sel_hi:[1,1,0] neg_lo:[0,0,1] neg_hi:[0,0,1]
	v_mov_b32_e32 v203, v197
	v_pk_add_f32 v[158:159], v[158:159], v[198:199] neg_lo:[0,1] neg_hi:[0,1]
	v_pk_add_f32 v[156:157], v[156:157], v[200:201] neg_lo:[0,1] neg_hi:[0,1]
	;; [unrolled: 1-line block ×3, first 2 shown]
	s_delay_alu instid0(VALU_DEP_4)
	v_pk_add_f32 v[160:161], v[160:161], v[202:203] neg_lo:[0,1] neg_hi:[0,1]
.LBB79_145:
	s_or_b32 exec_lo, exec_lo, s1
	s_delay_alu instid0(SALU_CYCLE_1)
	s_mov_b32 s2, exec_lo
	s_wait_dscnt 0x0
	s_barrier_signal -1
	s_barrier_wait -1
	v_cmpx_eq_u32_e32 16, v242
	s_cbranch_execz .LBB79_152
; %bb.146:
	ds_store_b64 v243, v[84:85]
	ds_store_2addr_b64 v244, v[114:115], v[116:117] offset0:17 offset1:18
	ds_store_2addr_b64 v244, v[112:113], v[110:111] offset0:19 offset1:20
	;; [unrolled: 1-line block ×11, first 2 shown]
	ds_store_b64 v244, v[160:161] offset:312
	ds_load_b64 v[194:195], v243
	s_wait_dscnt 0x0
	v_cmp_neq_f32_e32 vcc_lo, 0, v194
	v_cmp_neq_f32_e64 s1, 0, v195
	s_or_b32 s1, vcc_lo, s1
	s_delay_alu instid0(SALU_CYCLE_1)
	s_and_b32 exec_lo, exec_lo, s1
	s_cbranch_execz .LBB79_152
; %bb.147:
	v_cmp_ngt_f32_e64 s1, |v194|, |v195|
                                        ; implicit-def: $vgpr196_vgpr197
	s_and_saveexec_b32 s4, s1
	s_delay_alu instid0(SALU_CYCLE_1)
	s_xor_b32 s1, exec_lo, s4
	s_cbranch_execz .LBB79_149
; %bb.148:
	v_div_scale_f32 v0, null, v195, v195, v194
	v_div_scale_f32 v197, vcc_lo, v194, v195, v194
	s_delay_alu instid0(VALU_DEP_2) | instskip(SKIP_1) | instid1(TRANS32_DEP_1)
	v_rcp_f32_e32 v1, v0
	v_nop
	v_fma_f32 v196, -v0, v1, 1.0
	s_delay_alu instid0(VALU_DEP_1) | instskip(NEXT) | instid1(VALU_DEP_1)
	v_fmac_f32_e32 v1, v196, v1
	v_mul_f32_e32 v196, v197, v1
	s_delay_alu instid0(VALU_DEP_1) | instskip(NEXT) | instid1(VALU_DEP_1)
	v_fma_f32 v198, -v0, v196, v197
	v_fmac_f32_e32 v196, v198, v1
	s_delay_alu instid0(VALU_DEP_1) | instskip(NEXT) | instid1(VALU_DEP_1)
	v_fma_f32 v0, -v0, v196, v197
	v_div_fmas_f32 v0, v0, v1, v196
	s_delay_alu instid0(VALU_DEP_1) | instskip(NEXT) | instid1(VALU_DEP_1)
	v_div_fixup_f32 v0, v0, v195, v194
	v_fmac_f32_e32 v195, v194, v0
	s_delay_alu instid0(VALU_DEP_1) | instskip(SKIP_1) | instid1(VALU_DEP_2)
	v_div_scale_f32 v1, null, v195, v195, 1.0
	v_div_scale_f32 v197, vcc_lo, 1.0, v195, 1.0
	v_rcp_f32_e32 v194, v1
	v_nop
	s_delay_alu instid0(TRANS32_DEP_1) | instskip(NEXT) | instid1(VALU_DEP_1)
	v_fma_f32 v196, -v1, v194, 1.0
	v_fmac_f32_e32 v194, v196, v194
	s_delay_alu instid0(VALU_DEP_1) | instskip(NEXT) | instid1(VALU_DEP_1)
	v_mul_f32_e32 v196, v197, v194
	v_fma_f32 v198, -v1, v196, v197
	s_delay_alu instid0(VALU_DEP_1) | instskip(NEXT) | instid1(VALU_DEP_1)
	v_fmac_f32_e32 v196, v198, v194
	v_fma_f32 v1, -v1, v196, v197
	s_delay_alu instid0(VALU_DEP_1) | instskip(NEXT) | instid1(VALU_DEP_1)
	v_div_fmas_f32 v1, v1, v194, v196
	v_div_fixup_f32 v1, v1, v195, 1.0
                                        ; implicit-def: $vgpr194_vgpr195
	s_delay_alu instid0(VALU_DEP_1)
	v_mul_f32_e32 v196, v0, v1
	v_xor_b32_e32 v197, 0x80000000, v1
.LBB79_149:
	s_and_not1_saveexec_b32 s1, s1
	s_cbranch_execz .LBB79_151
; %bb.150:
	v_div_scale_f32 v0, null, v194, v194, v195
	v_div_scale_f32 v197, vcc_lo, v195, v194, v195
	s_delay_alu instid0(VALU_DEP_2) | instskip(SKIP_1) | instid1(TRANS32_DEP_1)
	v_rcp_f32_e32 v1, v0
	v_nop
	v_fma_f32 v196, -v0, v1, 1.0
	s_delay_alu instid0(VALU_DEP_1) | instskip(NEXT) | instid1(VALU_DEP_1)
	v_fmac_f32_e32 v1, v196, v1
	v_mul_f32_e32 v196, v197, v1
	s_delay_alu instid0(VALU_DEP_1) | instskip(NEXT) | instid1(VALU_DEP_1)
	v_fma_f32 v198, -v0, v196, v197
	v_fmac_f32_e32 v196, v198, v1
	s_delay_alu instid0(VALU_DEP_1) | instskip(NEXT) | instid1(VALU_DEP_1)
	v_fma_f32 v0, -v0, v196, v197
	v_div_fmas_f32 v0, v0, v1, v196
	s_delay_alu instid0(VALU_DEP_1) | instskip(NEXT) | instid1(VALU_DEP_1)
	v_div_fixup_f32 v0, v0, v194, v195
	v_fmac_f32_e32 v194, v195, v0
	s_delay_alu instid0(VALU_DEP_1) | instskip(NEXT) | instid1(VALU_DEP_1)
	v_div_scale_f32 v1, null, v194, v194, 1.0
	v_rcp_f32_e32 v195, v1
	v_nop
	s_delay_alu instid0(TRANS32_DEP_1) | instskip(NEXT) | instid1(VALU_DEP_1)
	v_fma_f32 v196, -v1, v195, 1.0
	v_fmac_f32_e32 v195, v196, v195
	v_div_scale_f32 v196, vcc_lo, 1.0, v194, 1.0
	s_delay_alu instid0(VALU_DEP_1) | instskip(NEXT) | instid1(VALU_DEP_1)
	v_mul_f32_e32 v197, v196, v195
	v_fma_f32 v198, -v1, v197, v196
	s_delay_alu instid0(VALU_DEP_1) | instskip(NEXT) | instid1(VALU_DEP_1)
	v_fmac_f32_e32 v197, v198, v195
	v_fma_f32 v1, -v1, v197, v196
	s_delay_alu instid0(VALU_DEP_1) | instskip(NEXT) | instid1(VALU_DEP_1)
	v_div_fmas_f32 v1, v1, v195, v197
	v_div_fixup_f32 v196, v1, v194, 1.0
	s_delay_alu instid0(VALU_DEP_1)
	v_mul_f32_e64 v197, v0, -v196
.LBB79_151:
	s_or_b32 exec_lo, exec_lo, s1
	ds_store_b64 v243, v[196:197]
.LBB79_152:
	s_or_b32 exec_lo, exec_lo, s2
	s_wait_dscnt 0x0
	s_barrier_signal -1
	s_barrier_wait -1
	ds_load_b64 v[194:195], v243
	s_mov_b32 s1, exec_lo
	v_cmpx_lt_u32_e32 16, v242
	s_cbranch_execz .LBB79_154
; %bb.153:
	ds_load_2addr_b64 v[196:199], v244 offset0:17 offset1:18
	ds_load_2addr_b64 v[200:203], v244 offset0:19 offset1:20
	;; [unrolled: 1-line block ×3, first 2 shown]
	s_wait_dscnt 0x3
	v_pk_mul_f32 v[212:213], v[194:195], v[84:85] op_sel:[1,1] op_sel_hi:[0,1]
	ds_load_2addr_b64 v[208:211], v244 offset0:23 offset1:24
	v_pk_fma_f32 v[218:219], v[194:195], v[84:85], v[212:213] op_sel_hi:[1,0,1]
	v_pk_fma_f32 v[216:217], v[194:195], v[84:85], v[212:213] op_sel_hi:[1,0,1] neg_lo:[0,0,1] neg_hi:[0,0,1]
	ds_load_2addr_b64 v[212:215], v244 offset0:25 offset1:26
	v_dual_mov_b32 v85, v219 :: v_dual_mov_b32 v84, v216
	s_wait_dscnt 0x4
	v_pk_mul_f32 v[220:221], v[196:197], v[218:219] op_sel:[0,1]
	v_pk_mul_f32 v[222:223], v[198:199], v[218:219] op_sel:[0,1]
	s_wait_dscnt 0x3
	v_pk_mul_f32 v[224:225], v[200:201], v[218:219] op_sel:[0,1]
	v_dual_mov_b32 v226, v203 :: v_dual_mov_b32 v227, v202
	v_pk_fma_f32 v[238:239], v[196:197], v[216:217], v[220:221] op_sel:[0,0,1] op_sel_hi:[1,1,0] neg_lo:[0,0,1] neg_hi:[0,0,1]
	v_pk_fma_f32 v[196:197], v[196:197], v[216:217], v[220:221] op_sel:[0,0,1] op_sel_hi:[1,0,0]
	v_pk_fma_f32 v[220:221], v[198:199], v[216:217], v[222:223] op_sel:[0,0,1] op_sel_hi:[1,1,0] neg_lo:[0,0,1] neg_hi:[0,0,1]
	v_pk_fma_f32 v[198:199], v[198:199], v[216:217], v[222:223] op_sel:[0,0,1] op_sel_hi:[1,0,0]
	v_dual_mul_f32 v228, v203, v219 :: v_dual_mul_f32 v230, v203, v216
	s_wait_dscnt 0x2
	v_pk_mul_f32 v[232:233], v[204:205], v[218:219] op_sel:[0,1]
	v_pk_fma_f32 v[222:223], v[200:201], v[216:217], v[224:225] op_sel:[0,0,1] op_sel_hi:[1,1,0] neg_lo:[0,0,1] neg_hi:[0,0,1]
	v_pk_fma_f32 v[200:201], v[200:201], v[216:217], v[224:225] op_sel:[0,0,1] op_sel_hi:[1,0,0]
	v_dual_mov_b32 v239, v197 :: v_dual_mov_b32 v221, v199
	ds_load_2addr_b64 v[196:199], v244 offset0:27 offset1:28
	v_pk_mul_f32 v[234:235], v[206:207], v[218:219] op_sel:[0,1]
	s_wait_dscnt 0x2
	v_pk_mul_f32 v[236:237], v[208:209], v[218:219] op_sel:[0,1]
	v_pk_fma_f32 v[224:225], v[226:227], v[84:85], v[230:231] op_sel_hi:[1,1,0]
	v_mov_b32_e32 v223, v201
	v_pk_fma_f32 v[200:201], v[204:205], v[216:217], v[232:233] op_sel:[0,0,1] op_sel_hi:[1,0,0]
	v_pk_fma_f32 v[202:203], v[202:203], v[84:85], v[228:229] op_sel_hi:[1,1,0] neg_lo:[0,0,1] neg_hi:[0,0,1]
	v_pk_fma_f32 v[204:205], v[204:205], v[216:217], v[232:233] op_sel:[0,0,1] op_sel_hi:[1,1,0] neg_lo:[0,0,1] neg_hi:[0,0,1]
	v_mov_b32_e32 v203, v225
	v_pk_add_f32 v[116:117], v[116:117], v[220:221] neg_lo:[0,1] neg_hi:[0,1]
	v_pk_add_f32 v[112:113], v[112:113], v[222:223] neg_lo:[0,1] neg_hi:[0,1]
	v_pk_fma_f32 v[220:221], v[206:207], v[216:217], v[234:235] op_sel:[0,0,1] op_sel_hi:[1,0,0]
	v_pk_fma_f32 v[222:223], v[208:209], v[216:217], v[236:237] op_sel:[0,0,1] op_sel_hi:[1,0,0]
	v_mov_b32_e32 v205, v201
	v_pk_fma_f32 v[200:201], v[206:207], v[216:217], v[234:235] op_sel:[0,0,1] op_sel_hi:[1,1,0] neg_lo:[0,0,1] neg_hi:[0,0,1]
	v_pk_fma_f32 v[206:207], v[208:209], v[216:217], v[236:237] op_sel:[0,0,1] op_sel_hi:[1,1,0] neg_lo:[0,0,1] neg_hi:[0,0,1]
	v_pk_mul_f32 v[208:209], v[210:211], v[218:219] op_sel:[0,1]
	v_mov_b32_e32 v201, v221
	v_pk_add_f32 v[142:143], v[142:143], v[204:205] neg_lo:[0,1] neg_hi:[0,1]
	v_mov_b32_e32 v207, v223
	v_pk_add_f32 v[110:111], v[110:111], v[202:203] neg_lo:[0,1] neg_hi:[0,1]
	v_pk_fma_f32 v[204:205], v[210:211], v[216:217], v[208:209] op_sel:[0,0,1] op_sel_hi:[1,0,0]
	s_wait_dscnt 0x1
	v_mul_f32_e32 v204, v213, v216
	v_pk_add_f32 v[144:145], v[144:145], v[200:201] neg_lo:[0,1] neg_hi:[0,1]
	ds_load_2addr_b64 v[200:203], v244 offset0:29 offset1:30
	v_pk_add_f32 v[140:141], v[140:141], v[206:207] neg_lo:[0,1] neg_hi:[0,1]
	v_pk_fma_f32 v[220:221], v[210:211], v[216:217], v[208:209] op_sel:[0,0,1] op_sel_hi:[1,1,0] neg_lo:[0,0,1] neg_hi:[0,0,1]
	v_pk_mul_f32 v[208:209], v[214:215], v[218:219] op_sel:[0,1]
	s_wait_dscnt 0x1
	v_pk_mul_f32 v[210:211], v[196:197], v[218:219] op_sel:[0,1]
	v_pk_fma_f32 v[222:223], v[212:213], v[84:85], v[204:205] op_sel:[1,0,0] op_sel_hi:[0,1,0]
	v_mul_f32_e32 v206, v213, v219
	v_mov_b32_e32 v221, v205
	v_pk_fma_f32 v[204:205], v[214:215], v[216:217], v[208:209] op_sel:[0,0,1] op_sel_hi:[1,0,0]
	v_pk_fma_f32 v[208:209], v[214:215], v[216:217], v[208:209] op_sel:[0,0,1] op_sel_hi:[1,1,0] neg_lo:[0,0,1] neg_hi:[0,0,1]
	v_pk_add_f32 v[114:115], v[114:115], v[238:239] neg_lo:[0,1] neg_hi:[0,1]
	v_pk_fma_f32 v[212:213], v[212:213], v[84:85], v[206:207] op_sel_hi:[1,1,0] neg_lo:[0,0,1] neg_hi:[0,0,1]
	v_pk_fma_f32 v[206:207], v[196:197], v[216:217], v[210:211] op_sel:[0,0,1] op_sel_hi:[1,0,0]
	v_pk_fma_f32 v[196:197], v[196:197], v[216:217], v[210:211] op_sel:[0,0,1] op_sel_hi:[1,1,0] neg_lo:[0,0,1] neg_hi:[0,0,1]
	v_dual_mov_b32 v209, v205 :: v_dual_mov_b32 v213, v223
	v_pk_mul_f32 v[210:211], v[198:199], v[218:219] op_sel:[0,1]
	s_delay_alu instid0(VALU_DEP_4)
	v_mov_b32_e32 v197, v207
	ds_load_2addr_b64 v[204:207], v244 offset0:31 offset1:32
	v_pk_add_f32 v[100:101], v[100:101], v[220:221] neg_lo:[0,1] neg_hi:[0,1]
	v_pk_add_f32 v[96:97], v[96:97], v[212:213] neg_lo:[0,1] neg_hi:[0,1]
	s_wait_dscnt 0x1
	v_pk_mul_f32 v[212:213], v[200:201], v[218:219] op_sel:[0,1]
	v_pk_add_f32 v[98:99], v[98:99], v[208:209] neg_lo:[0,1] neg_hi:[0,1]
	v_pk_fma_f32 v[208:209], v[198:199], v[216:217], v[210:211] op_sel:[0,0,1] op_sel_hi:[1,1,0] neg_lo:[0,0,1] neg_hi:[0,0,1]
	v_pk_fma_f32 v[210:211], v[198:199], v[216:217], v[210:211] op_sel:[0,0,1] op_sel_hi:[1,0,0]
	v_mov_b32_e32 v214, v203
	v_pk_fma_f32 v[220:221], v[200:201], v[216:217], v[212:213] op_sel:[0,0,1] op_sel_hi:[1,0,0]
	v_pk_add_f32 v[94:95], v[94:95], v[196:197] neg_lo:[0,1] neg_hi:[0,1]
	v_dual_mov_b32 v215, v202 :: v_dual_mul_f32 v210, v203, v216
	ds_load_2addr_b64 v[196:199], v244 offset0:33 offset1:34
	v_mul_f32_e32 v220, v203, v219
	v_pk_fma_f32 v[212:213], v[200:201], v[216:217], v[212:213] op_sel:[0,0,1] op_sel_hi:[1,1,0] neg_lo:[0,0,1] neg_hi:[0,0,1]
	v_mov_b32_e32 v209, v211
	v_pk_fma_f32 v[210:211], v[214:215], v[84:85], v[210:211] op_sel_hi:[1,1,0]
	v_mov_b32_e32 v213, v221
	v_pk_fma_f32 v[214:215], v[202:203], v[84:85], v[220:221] op_sel_hi:[1,1,0] neg_lo:[0,0,1] neg_hi:[0,0,1]
	ds_load_2addr_b64 v[200:203], v244 offset0:35 offset1:36
	s_wait_dscnt 0x2
	v_pk_mul_f32 v[220:221], v[204:205], v[218:219] op_sel:[0,1]
	v_mov_b32_e32 v215, v211
	v_pk_add_f32 v[128:129], v[128:129], v[208:209] neg_lo:[0,1] neg_hi:[0,1]
	v_pk_mul_f32 v[208:209], v[206:207], v[218:219] op_sel:[0,1]
	v_pk_add_f32 v[124:125], v[124:125], v[212:213] neg_lo:[0,1] neg_hi:[0,1]
	v_pk_fma_f32 v[210:211], v[204:205], v[216:217], v[220:221] op_sel:[0,0,1] op_sel_hi:[1,0,0]
	v_pk_fma_f32 v[212:213], v[204:205], v[216:217], v[220:221] op_sel:[0,0,1] op_sel_hi:[1,1,0] neg_lo:[0,0,1] neg_hi:[0,0,1]
	v_pk_add_f32 v[126:127], v[126:127], v[214:215] neg_lo:[0,1] neg_hi:[0,1]
	v_pk_fma_f32 v[214:215], v[206:207], v[216:217], v[208:209] op_sel:[0,0,1] op_sel_hi:[1,0,0]
	v_pk_fma_f32 v[208:209], v[206:207], v[216:217], v[208:209] op_sel:[0,0,1] op_sel_hi:[1,1,0] neg_lo:[0,0,1] neg_hi:[0,0,1]
	v_mov_b32_e32 v213, v211
	ds_load_2addr_b64 v[204:207], v244 offset0:37 offset1:38
	s_wait_dscnt 0x2
	v_pk_mul_f32 v[210:211], v[196:197], v[218:219] op_sel:[0,1]
	v_mov_b32_e32 v209, v215
	v_pk_mul_f32 v[214:215], v[198:199], v[218:219] op_sel:[0,1]
	v_pk_add_f32 v[122:123], v[122:123], v[212:213] neg_lo:[0,1] neg_hi:[0,1]
	ds_load_b64 v[212:213], v244 offset:312
	v_pk_fma_f32 v[220:221], v[196:197], v[216:217], v[210:211] op_sel:[0,0,1] op_sel_hi:[1,0,0]
	v_pk_add_f32 v[152:153], v[152:153], v[208:209] neg_lo:[0,1] neg_hi:[0,1]
	v_pk_fma_f32 v[208:209], v[198:199], v[216:217], v[214:215] op_sel:[0,0,1] op_sel_hi:[1,0,0]
	v_pk_fma_f32 v[196:197], v[196:197], v[216:217], v[210:211] op_sel:[0,0,1] op_sel_hi:[1,1,0] neg_lo:[0,0,1] neg_hi:[0,0,1]
	s_wait_dscnt 0x2
	v_dual_mul_f32 v208, v201, v216 :: v_dual_mul_f32 v210, v201, v219
	v_mov_b32_e32 v197, v221
	v_pk_fma_f32 v[198:199], v[198:199], v[216:217], v[214:215] op_sel:[0,0,1] op_sel_hi:[1,1,0] neg_lo:[0,0,1] neg_hi:[0,0,1]
	v_mov_b32_e32 v199, v209
	s_delay_alu instid0(VALU_DEP_4) | instskip(NEXT) | instid1(VALU_DEP_4)
	v_pk_fma_f32 v[208:209], v[200:201], v[84:85], v[208:209] op_sel:[1,0,0] op_sel_hi:[0,1,0]
	v_pk_add_f32 v[148:149], v[148:149], v[196:197] neg_lo:[0,1] neg_hi:[0,1]
	v_pk_mul_f32 v[196:197], v[202:203], v[218:219] op_sel:[0,1]
	s_delay_alu instid0(VALU_DEP_4)
	v_pk_add_f32 v[150:151], v[150:151], v[198:199] neg_lo:[0,1] neg_hi:[0,1]
	v_pk_fma_f32 v[198:199], v[200:201], v[84:85], v[210:211] op_sel_hi:[1,1,0] neg_lo:[0,0,1] neg_hi:[0,0,1]
	v_mov_b32_e32 v199, v209
	s_wait_dscnt 0x1
	v_pk_mul_f32 v[200:201], v[204:205], v[218:219] op_sel:[0,1]
	v_pk_fma_f32 v[208:209], v[202:203], v[216:217], v[196:197] op_sel:[0,0,1] op_sel_hi:[1,0,0]
	v_pk_mul_f32 v[210:211], v[206:207], v[218:219] op_sel:[0,1]
	v_pk_fma_f32 v[196:197], v[202:203], v[216:217], v[196:197] op_sel:[0,0,1] op_sel_hi:[1,1,0] neg_lo:[0,0,1] neg_hi:[0,0,1]
	s_wait_dscnt 0x0
	v_pk_mul_f32 v[202:203], v[212:213], v[218:219] op_sel:[0,1]
	v_pk_fma_f32 v[214:215], v[204:205], v[216:217], v[200:201] op_sel:[0,0,1] op_sel_hi:[1,0,0]
	v_mov_b32_e32 v197, v209
	v_pk_fma_f32 v[208:209], v[206:207], v[216:217], v[210:211] op_sel:[0,0,1] op_sel_hi:[1,0,0]
	v_pk_fma_f32 v[200:201], v[204:205], v[216:217], v[200:201] op_sel:[0,0,1] op_sel_hi:[1,1,0] neg_lo:[0,0,1] neg_hi:[0,0,1]
	v_pk_fma_f32 v[204:205], v[212:213], v[216:217], v[202:203] op_sel:[0,0,1] op_sel_hi:[1,0,0]
	v_pk_fma_f32 v[206:207], v[206:207], v[216:217], v[210:211] op_sel:[0,0,1] op_sel_hi:[1,1,0] neg_lo:[0,0,1] neg_hi:[0,0,1]
	v_pk_fma_f32 v[202:203], v[212:213], v[216:217], v[202:203] op_sel:[0,0,1] op_sel_hi:[1,1,0] neg_lo:[0,0,1] neg_hi:[0,0,1]
	v_dual_mov_b32 v201, v215 :: v_dual_mov_b32 v207, v209
	s_delay_alu instid0(VALU_DEP_4) | instskip(SKIP_2) | instid1(VALU_DEP_4)
	v_mov_b32_e32 v203, v205
	v_pk_add_f32 v[146:147], v[146:147], v[198:199] neg_lo:[0,1] neg_hi:[0,1]
	v_pk_add_f32 v[158:159], v[158:159], v[196:197] neg_lo:[0,1] neg_hi:[0,1]
	;; [unrolled: 1-line block ×5, first 2 shown]
.LBB79_154:
	s_or_b32 exec_lo, exec_lo, s1
	s_delay_alu instid0(SALU_CYCLE_1)
	s_mov_b32 s2, exec_lo
	s_wait_dscnt 0x0
	s_barrier_signal -1
	s_barrier_wait -1
	v_cmpx_eq_u32_e32 17, v242
	s_cbranch_execz .LBB79_161
; %bb.155:
	v_dual_mov_b32 v196, v116 :: v_dual_mov_b32 v197, v117
	v_dual_mov_b32 v198, v112 :: v_dual_mov_b32 v199, v113
	;; [unrolled: 1-line block ×10, first 2 shown]
	ds_store_b64 v243, v[114:115]
	v_dual_mov_b32 v216, v128 :: v_dual_mov_b32 v217, v129
	v_dual_mov_b32 v218, v124 :: v_dual_mov_b32 v219, v125
	ds_store_2addr_b64 v244, v[196:197], v[198:199] offset0:18 offset1:19
	ds_store_2addr_b64 v244, v[200:201], v[202:203] offset0:20 offset1:21
	;; [unrolled: 1-line block ×6, first 2 shown]
	v_dual_mov_b32 v196, v126 :: v_dual_mov_b32 v197, v127
	v_dual_mov_b32 v198, v122 :: v_dual_mov_b32 v199, v123
	;; [unrolled: 1-line block ×9, first 2 shown]
	ds_store_2addr_b64 v244, v[196:197], v[198:199] offset0:30 offset1:31
	ds_store_2addr_b64 v244, v[200:201], v[202:203] offset0:32 offset1:33
	;; [unrolled: 1-line block ×5, first 2 shown]
	ds_load_b64 v[196:197], v243
	s_wait_dscnt 0x0
	v_cmp_neq_f32_e32 vcc_lo, 0, v196
	v_cmp_neq_f32_e64 s1, 0, v197
	s_or_b32 s1, vcc_lo, s1
	s_delay_alu instid0(SALU_CYCLE_1)
	s_and_b32 exec_lo, exec_lo, s1
	s_cbranch_execz .LBB79_161
; %bb.156:
	v_cmp_ngt_f32_e64 s1, |v196|, |v197|
                                        ; implicit-def: $vgpr198_vgpr199
	s_and_saveexec_b32 s4, s1
	s_delay_alu instid0(SALU_CYCLE_1)
	s_xor_b32 s1, exec_lo, s4
	s_cbranch_execz .LBB79_158
; %bb.157:
	v_div_scale_f32 v0, null, v197, v197, v196
	v_div_scale_f32 v199, vcc_lo, v196, v197, v196
	s_delay_alu instid0(VALU_DEP_2) | instskip(SKIP_1) | instid1(TRANS32_DEP_1)
	v_rcp_f32_e32 v1, v0
	v_nop
	v_fma_f32 v198, -v0, v1, 1.0
	s_delay_alu instid0(VALU_DEP_1) | instskip(NEXT) | instid1(VALU_DEP_1)
	v_fmac_f32_e32 v1, v198, v1
	v_mul_f32_e32 v198, v199, v1
	s_delay_alu instid0(VALU_DEP_1) | instskip(NEXT) | instid1(VALU_DEP_1)
	v_fma_f32 v200, -v0, v198, v199
	v_fmac_f32_e32 v198, v200, v1
	s_delay_alu instid0(VALU_DEP_1) | instskip(NEXT) | instid1(VALU_DEP_1)
	v_fma_f32 v0, -v0, v198, v199
	v_div_fmas_f32 v0, v0, v1, v198
	s_delay_alu instid0(VALU_DEP_1) | instskip(NEXT) | instid1(VALU_DEP_1)
	v_div_fixup_f32 v0, v0, v197, v196
	v_fmac_f32_e32 v197, v196, v0
	s_delay_alu instid0(VALU_DEP_1) | instskip(SKIP_1) | instid1(VALU_DEP_2)
	v_div_scale_f32 v1, null, v197, v197, 1.0
	v_div_scale_f32 v199, vcc_lo, 1.0, v197, 1.0
	v_rcp_f32_e32 v196, v1
	v_nop
	s_delay_alu instid0(TRANS32_DEP_1) | instskip(NEXT) | instid1(VALU_DEP_1)
	v_fma_f32 v198, -v1, v196, 1.0
	v_fmac_f32_e32 v196, v198, v196
	s_delay_alu instid0(VALU_DEP_1) | instskip(NEXT) | instid1(VALU_DEP_1)
	v_mul_f32_e32 v198, v199, v196
	v_fma_f32 v200, -v1, v198, v199
	s_delay_alu instid0(VALU_DEP_1) | instskip(NEXT) | instid1(VALU_DEP_1)
	v_fmac_f32_e32 v198, v200, v196
	v_fma_f32 v1, -v1, v198, v199
	s_delay_alu instid0(VALU_DEP_1) | instskip(NEXT) | instid1(VALU_DEP_1)
	v_div_fmas_f32 v1, v1, v196, v198
	v_div_fixup_f32 v1, v1, v197, 1.0
                                        ; implicit-def: $vgpr196_vgpr197
	s_delay_alu instid0(VALU_DEP_1)
	v_mul_f32_e32 v198, v0, v1
	v_xor_b32_e32 v199, 0x80000000, v1
.LBB79_158:
	s_and_not1_saveexec_b32 s1, s1
	s_cbranch_execz .LBB79_160
; %bb.159:
	v_div_scale_f32 v0, null, v196, v196, v197
	v_div_scale_f32 v199, vcc_lo, v197, v196, v197
	s_delay_alu instid0(VALU_DEP_2) | instskip(SKIP_1) | instid1(TRANS32_DEP_1)
	v_rcp_f32_e32 v1, v0
	v_nop
	v_fma_f32 v198, -v0, v1, 1.0
	s_delay_alu instid0(VALU_DEP_1) | instskip(NEXT) | instid1(VALU_DEP_1)
	v_fmac_f32_e32 v1, v198, v1
	v_mul_f32_e32 v198, v199, v1
	s_delay_alu instid0(VALU_DEP_1) | instskip(NEXT) | instid1(VALU_DEP_1)
	v_fma_f32 v200, -v0, v198, v199
	v_fmac_f32_e32 v198, v200, v1
	s_delay_alu instid0(VALU_DEP_1) | instskip(NEXT) | instid1(VALU_DEP_1)
	v_fma_f32 v0, -v0, v198, v199
	v_div_fmas_f32 v0, v0, v1, v198
	s_delay_alu instid0(VALU_DEP_1) | instskip(NEXT) | instid1(VALU_DEP_1)
	v_div_fixup_f32 v0, v0, v196, v197
	v_fmac_f32_e32 v196, v197, v0
	s_delay_alu instid0(VALU_DEP_1) | instskip(NEXT) | instid1(VALU_DEP_1)
	v_div_scale_f32 v1, null, v196, v196, 1.0
	v_rcp_f32_e32 v197, v1
	v_nop
	s_delay_alu instid0(TRANS32_DEP_1) | instskip(NEXT) | instid1(VALU_DEP_1)
	v_fma_f32 v198, -v1, v197, 1.0
	v_fmac_f32_e32 v197, v198, v197
	v_div_scale_f32 v198, vcc_lo, 1.0, v196, 1.0
	s_delay_alu instid0(VALU_DEP_1) | instskip(NEXT) | instid1(VALU_DEP_1)
	v_mul_f32_e32 v199, v198, v197
	v_fma_f32 v200, -v1, v199, v198
	s_delay_alu instid0(VALU_DEP_1) | instskip(NEXT) | instid1(VALU_DEP_1)
	v_fmac_f32_e32 v199, v200, v197
	v_fma_f32 v1, -v1, v199, v198
	s_delay_alu instid0(VALU_DEP_1) | instskip(NEXT) | instid1(VALU_DEP_1)
	v_div_fmas_f32 v1, v1, v197, v199
	v_div_fixup_f32 v198, v1, v196, 1.0
	s_delay_alu instid0(VALU_DEP_1)
	v_mul_f32_e64 v199, v0, -v198
.LBB79_160:
	s_or_b32 exec_lo, exec_lo, s1
	ds_store_b64 v243, v[198:199]
.LBB79_161:
	s_or_b32 exec_lo, exec_lo, s2
	s_wait_dscnt 0x0
	s_barrier_signal -1
	s_barrier_wait -1
	ds_load_b64 v[196:197], v243
	s_mov_b32 s1, exec_lo
	v_cmpx_lt_u32_e32 17, v242
	s_cbranch_execz .LBB79_163
; %bb.162:
	ds_load_2addr_b64 v[198:201], v244 offset0:18 offset1:19
	ds_load_2addr_b64 v[202:205], v244 offset0:20 offset1:21
	ds_load_2addr_b64 v[206:209], v244 offset0:22 offset1:23
	s_wait_dscnt 0x3
	v_pk_mul_f32 v[210:211], v[196:197], v[114:115] op_sel:[1,1] op_sel_hi:[0,1]
	s_delay_alu instid0(VALU_DEP_1)
	v_pk_fma_f32 v[218:219], v[196:197], v[114:115], v[210:211] op_sel_hi:[1,0,1] neg_lo:[0,0,1] neg_hi:[0,0,1]
	v_pk_fma_f32 v[220:221], v[196:197], v[114:115], v[210:211] op_sel_hi:[1,0,1]
	ds_load_2addr_b64 v[210:213], v244 offset0:24 offset1:25
	ds_load_2addr_b64 v[214:217], v244 offset0:26 offset1:27
	v_dual_mov_b32 v114, v218 :: v_dual_mov_b32 v115, v221
	s_wait_dscnt 0x4
	v_pk_mul_f32 v[222:223], v[198:199], v[220:221] op_sel:[0,1]
	v_pk_mul_f32 v[224:225], v[200:201], v[220:221] op_sel:[0,1]
	s_wait_dscnt 0x3
	v_pk_mul_f32 v[226:227], v[202:203], v[220:221] op_sel:[0,1]
	v_dual_mov_b32 v228, v205 :: v_dual_mov_b32 v229, v204
	v_dual_mul_f32 v230, v205, v221 :: v_dual_mul_f32 v232, v205, v218
	s_wait_dscnt 0x2
	v_pk_mul_f32 v[234:235], v[206:207], v[220:221] op_sel:[0,1]
	v_pk_mul_f32 v[236:237], v[208:209], v[220:221] op_sel:[0,1]
	v_pk_fma_f32 v[238:239], v[198:199], v[218:219], v[222:223] op_sel:[0,0,1] op_sel_hi:[1,1,0] neg_lo:[0,0,1] neg_hi:[0,0,1]
	v_pk_fma_f32 v[198:199], v[198:199], v[218:219], v[222:223] op_sel:[0,0,1] op_sel_hi:[1,0,0]
	v_pk_fma_f32 v[222:223], v[200:201], v[218:219], v[224:225] op_sel:[0,0,1] op_sel_hi:[1,1,0] neg_lo:[0,0,1] neg_hi:[0,0,1]
	v_pk_fma_f32 v[200:201], v[200:201], v[218:219], v[224:225] op_sel:[0,0,1] op_sel_hi:[1,0,0]
	;; [unrolled: 2-line block ×3, first 2 shown]
	v_pk_fma_f32 v[226:227], v[228:229], v[114:115], v[232:233] op_sel_hi:[1,1,0]
	v_pk_fma_f32 v[228:229], v[206:207], v[218:219], v[234:235] op_sel:[0,0,1] op_sel_hi:[1,1,0] neg_lo:[0,0,1] neg_hi:[0,0,1]
	v_pk_fma_f32 v[206:207], v[206:207], v[218:219], v[234:235] op_sel:[0,0,1] op_sel_hi:[1,0,0]
	v_dual_mov_b32 v239, v199 :: v_dual_mov_b32 v223, v201
	v_pk_fma_f32 v[198:199], v[208:209], v[218:219], v[236:237] op_sel:[0,0,1] op_sel_hi:[1,0,0]
	v_pk_fma_f32 v[204:205], v[204:205], v[114:115], v[230:231] op_sel_hi:[1,1,0] neg_lo:[0,0,1] neg_hi:[0,0,1]
	v_dual_mov_b32 v225, v203 :: v_dual_mov_b32 v205, v227
	v_mov_b32_e32 v229, v207
	s_wait_dscnt 0x1
	v_pk_mul_f32 v[202:203], v[210:211], v[220:221] op_sel:[0,1]
	v_pk_fma_f32 v[206:207], v[208:209], v[218:219], v[236:237] op_sel:[0,0,1] op_sel_hi:[1,1,0] neg_lo:[0,0,1] neg_hi:[0,0,1]
	v_mov_b32_e32 v207, v199
	ds_load_2addr_b64 v[198:201], v244 offset0:28 offset1:29
	v_pk_add_f32 v[142:143], v[142:143], v[204:205] neg_lo:[0,1] neg_hi:[0,1]
	v_pk_fma_f32 v[208:209], v[210:211], v[218:219], v[202:203] op_sel:[0,0,1] op_sel_hi:[1,0,0]
	v_pk_fma_f32 v[210:211], v[210:211], v[218:219], v[202:203] op_sel:[0,0,1] op_sel_hi:[1,1,0] neg_lo:[0,0,1] neg_hi:[0,0,1]
	ds_load_2addr_b64 v[202:205], v244 offset0:30 offset1:31
	v_pk_add_f32 v[112:113], v[112:113], v[222:223] neg_lo:[0,1] neg_hi:[0,1]
	v_pk_mul_f32 v[222:223], v[212:213], v[220:221] op_sel:[0,1]
	v_pk_add_f32 v[110:111], v[110:111], v[224:225] neg_lo:[0,1] neg_hi:[0,1]
	s_wait_dscnt 0x2
	v_dual_mul_f32 v208, v215, v218 :: v_dual_mov_b32 v211, v209
	v_pk_add_f32 v[140:141], v[140:141], v[206:207] neg_lo:[0,1] neg_hi:[0,1]
	v_pk_fma_f32 v[224:225], v[212:213], v[218:219], v[222:223] op_sel:[0,0,1] op_sel_hi:[1,0,0]
	v_pk_fma_f32 v[212:213], v[212:213], v[218:219], v[222:223] op_sel:[0,0,1] op_sel_hi:[1,1,0] neg_lo:[0,0,1] neg_hi:[0,0,1]
	v_pk_mul_f32 v[222:223], v[216:217], v[220:221] op_sel:[0,1]
	v_mul_f32_e32 v224, v215, v221
	v_pk_fma_f32 v[208:209], v[214:215], v[114:115], v[208:209] op_sel:[1,0,0] op_sel_hi:[0,1,0]
	v_mov_b32_e32 v213, v225
	v_pk_add_f32 v[100:101], v[100:101], v[210:211] neg_lo:[0,1] neg_hi:[0,1]
	v_pk_fma_f32 v[206:207], v[216:217], v[218:219], v[222:223] op_sel:[0,0,1] op_sel_hi:[1,0,0]
	v_pk_fma_f32 v[214:215], v[214:215], v[114:115], v[224:225] op_sel_hi:[1,1,0] neg_lo:[0,0,1] neg_hi:[0,0,1]
	v_pk_fma_f32 v[210:211], v[216:217], v[218:219], v[222:223] op_sel:[0,0,1] op_sel_hi:[1,1,0] neg_lo:[0,0,1] neg_hi:[0,0,1]
	v_mov_b32_e32 v215, v209
	v_pk_add_f32 v[96:97], v[96:97], v[212:213] neg_lo:[0,1] neg_hi:[0,1]
	v_mov_b32_e32 v211, v207
	s_wait_dscnt 0x1
	v_pk_mul_f32 v[212:213], v[198:199], v[220:221] op_sel:[0,1]
	ds_load_2addr_b64 v[206:209], v244 offset0:32 offset1:33
	s_wait_dscnt 0x1
	v_pk_mul_f32 v[216:217], v[202:203], v[220:221] op_sel:[0,1]
	v_pk_add_f32 v[98:99], v[98:99], v[214:215] neg_lo:[0,1] neg_hi:[0,1]
	v_pk_mul_f32 v[214:215], v[200:201], v[220:221] op_sel:[0,1]
	v_pk_add_f32 v[94:95], v[94:95], v[210:211] neg_lo:[0,1] neg_hi:[0,1]
	v_pk_fma_f32 v[222:223], v[198:199], v[218:219], v[212:213] op_sel:[0,0,1] op_sel_hi:[1,0,0]
	v_pk_fma_f32 v[198:199], v[198:199], v[218:219], v[212:213] op_sel:[0,0,1] op_sel_hi:[1,1,0] neg_lo:[0,0,1] neg_hi:[0,0,1]
	ds_load_2addr_b64 v[210:213], v244 offset0:34 offset1:35
	v_pk_fma_f32 v[226:227], v[202:203], v[218:219], v[216:217] op_sel:[0,0,1] op_sel_hi:[1,0,0]
	v_pk_fma_f32 v[224:225], v[200:201], v[218:219], v[214:215] op_sel:[0,0,1] op_sel_hi:[1,0,0]
	v_pk_fma_f32 v[202:203], v[202:203], v[218:219], v[216:217] op_sel:[0,0,1] op_sel_hi:[1,1,0] neg_lo:[0,0,1] neg_hi:[0,0,1]
	v_pk_fma_f32 v[200:201], v[200:201], v[218:219], v[214:215] op_sel:[0,0,1] op_sel_hi:[1,1,0] neg_lo:[0,0,1] neg_hi:[0,0,1]
	s_delay_alu instid0(VALU_DEP_4) | instskip(SKIP_2) | instid1(VALU_DEP_3)
	v_dual_mov_b32 v214, v205 :: v_dual_mov_b32 v203, v227
	v_dual_mov_b32 v215, v204 :: v_dual_mul_f32 v216, v205, v218
	v_dual_mov_b32 v199, v223 :: v_dual_mov_b32 v201, v225
	v_pk_add_f32 v[126:127], v[126:127], v[202:203] neg_lo:[0,1] neg_hi:[0,1]
	v_pk_add_f32 v[144:145], v[144:145], v[228:229] neg_lo:[0,1] neg_hi:[0,1]
	s_delay_alu instid0(VALU_DEP_4)
	v_pk_fma_f32 v[214:215], v[214:215], v[114:115], v[216:217] op_sel_hi:[1,1,0]
	v_mul_f32_e32 v202, v205, v221
	v_pk_add_f32 v[128:129], v[128:129], v[198:199] neg_lo:[0,1] neg_hi:[0,1]
	v_pk_add_f32 v[124:125], v[124:125], v[200:201] neg_lo:[0,1] neg_hi:[0,1]
	s_wait_dscnt 0x1
	v_pk_mul_f32 v[216:217], v[206:207], v[220:221] op_sel:[0,1]
	ds_load_2addr_b64 v[198:201], v244 offset0:36 offset1:37
	v_pk_mul_f32 v[222:223], v[208:209], v[220:221] op_sel:[0,1]
	v_pk_fma_f32 v[224:225], v[204:205], v[114:115], v[202:203] op_sel_hi:[1,1,0] neg_lo:[0,0,1] neg_hi:[0,0,1]
	v_mov_b32_e32 v225, v215
	v_pk_fma_f32 v[214:215], v[206:207], v[218:219], v[216:217] op_sel:[0,0,1] op_sel_hi:[1,0,0]
	s_wait_dscnt 0x1
	v_pk_mul_f32 v[226:227], v[210:211], v[220:221] op_sel:[0,1]
	ds_load_2addr_b64 v[202:205], v244 offset0:38 offset1:39
	v_pk_fma_f32 v[228:229], v[208:209], v[218:219], v[222:223] op_sel:[0,0,1] op_sel_hi:[1,0,0]
	v_pk_fma_f32 v[206:207], v[206:207], v[218:219], v[216:217] op_sel:[0,0,1] op_sel_hi:[1,1,0] neg_lo:[0,0,1] neg_hi:[0,0,1]
	v_mov_b32_e32 v207, v215
	v_pk_fma_f32 v[214:215], v[210:211], v[218:219], v[226:227] op_sel:[0,0,1] op_sel_hi:[1,0,0]
	v_pk_mul_f32 v[216:217], v[212:213], v[220:221] op_sel:[0,1]
	v_pk_fma_f32 v[208:209], v[208:209], v[218:219], v[222:223] op_sel:[0,0,1] op_sel_hi:[1,1,0] neg_lo:[0,0,1] neg_hi:[0,0,1]
	v_mov_b32_e32 v209, v229
	v_pk_fma_f32 v[210:211], v[210:211], v[218:219], v[226:227] op_sel:[0,0,1] op_sel_hi:[1,1,0] neg_lo:[0,0,1] neg_hi:[0,0,1]
	v_pk_add_f32 v[152:153], v[152:153], v[206:207] neg_lo:[0,1] neg_hi:[0,1]
	v_pk_fma_f32 v[206:207], v[212:213], v[218:219], v[216:217] op_sel:[0,0,1] op_sel_hi:[1,0,0]
	v_mov_b32_e32 v211, v215
	v_pk_add_f32 v[148:149], v[148:149], v[208:209] neg_lo:[0,1] neg_hi:[0,1]
	v_pk_fma_f32 v[208:209], v[212:213], v[218:219], v[216:217] op_sel:[0,0,1] op_sel_hi:[1,1,0] neg_lo:[0,0,1] neg_hi:[0,0,1]
	s_wait_dscnt 0x1
	v_mul_f32_e32 v206, v199, v218
	v_mov_b32_e32 v209, v207
	v_pk_add_f32 v[150:151], v[150:151], v[210:211] neg_lo:[0,1] neg_hi:[0,1]
	v_mul_f32_e32 v210, v199, v221
	v_pk_mul_f32 v[212:213], v[200:201], v[220:221] op_sel:[0,1]
	v_pk_fma_f32 v[206:207], v[198:199], v[114:115], v[206:207] op_sel:[1,0,0] op_sel_hi:[0,1,0]
	s_wait_dscnt 0x0
	v_pk_mul_f32 v[214:215], v[202:203], v[220:221] op_sel:[0,1]
	v_pk_add_f32 v[116:117], v[116:117], v[238:239] neg_lo:[0,1] neg_hi:[0,1]
	v_pk_fma_f32 v[198:199], v[198:199], v[114:115], v[210:211] op_sel_hi:[1,1,0] neg_lo:[0,0,1] neg_hi:[0,0,1]
	v_pk_mul_f32 v[210:211], v[204:205], v[220:221] op_sel:[0,1]
	v_pk_fma_f32 v[216:217], v[200:201], v[218:219], v[212:213] op_sel:[0,0,1] op_sel_hi:[1,0,0]
	v_mov_b32_e32 v199, v207
	v_pk_fma_f32 v[206:207], v[202:203], v[218:219], v[214:215] op_sel:[0,0,1] op_sel_hi:[1,0,0]
	v_pk_fma_f32 v[200:201], v[200:201], v[218:219], v[212:213] op_sel:[0,0,1] op_sel_hi:[1,1,0] neg_lo:[0,0,1] neg_hi:[0,0,1]
	v_pk_fma_f32 v[212:213], v[204:205], v[218:219], v[210:211] op_sel:[0,0,1] op_sel_hi:[1,0,0]
	v_pk_fma_f32 v[202:203], v[202:203], v[218:219], v[214:215] op_sel:[0,0,1] op_sel_hi:[1,1,0] neg_lo:[0,0,1] neg_hi:[0,0,1]
	v_pk_fma_f32 v[204:205], v[204:205], v[218:219], v[210:211] op_sel:[0,0,1] op_sel_hi:[1,1,0] neg_lo:[0,0,1] neg_hi:[0,0,1]
	v_dual_mov_b32 v201, v217 :: v_dual_mov_b32 v203, v207
	s_delay_alu instid0(VALU_DEP_4)
	v_mov_b32_e32 v205, v213
	v_pk_add_f32 v[122:123], v[122:123], v[224:225] neg_lo:[0,1] neg_hi:[0,1]
	v_pk_add_f32 v[146:147], v[146:147], v[208:209] neg_lo:[0,1] neg_hi:[0,1]
	;; [unrolled: 1-line block ×6, first 2 shown]
.LBB79_163:
	s_or_b32 exec_lo, exec_lo, s1
	s_delay_alu instid0(SALU_CYCLE_1)
	s_mov_b32 s2, exec_lo
	s_wait_dscnt 0x0
	s_barrier_signal -1
	s_barrier_wait -1
	v_cmpx_eq_u32_e32 18, v242
	s_cbranch_execz .LBB79_170
; %bb.164:
	ds_store_b64 v243, v[116:117]
	ds_store_2addr_b64 v244, v[112:113], v[110:111] offset0:19 offset1:20
	ds_store_2addr_b64 v244, v[142:143], v[144:145] offset0:21 offset1:22
	;; [unrolled: 1-line block ×10, first 2 shown]
	ds_store_b64 v244, v[160:161] offset:312
	ds_load_b64 v[198:199], v243
	s_wait_dscnt 0x0
	v_cmp_neq_f32_e32 vcc_lo, 0, v198
	v_cmp_neq_f32_e64 s1, 0, v199
	s_or_b32 s1, vcc_lo, s1
	s_delay_alu instid0(SALU_CYCLE_1)
	s_and_b32 exec_lo, exec_lo, s1
	s_cbranch_execz .LBB79_170
; %bb.165:
	v_cmp_ngt_f32_e64 s1, |v198|, |v199|
                                        ; implicit-def: $vgpr200_vgpr201
	s_and_saveexec_b32 s4, s1
	s_delay_alu instid0(SALU_CYCLE_1)
	s_xor_b32 s1, exec_lo, s4
	s_cbranch_execz .LBB79_167
; %bb.166:
	v_div_scale_f32 v0, null, v199, v199, v198
	v_div_scale_f32 v201, vcc_lo, v198, v199, v198
	s_delay_alu instid0(VALU_DEP_2) | instskip(SKIP_1) | instid1(TRANS32_DEP_1)
	v_rcp_f32_e32 v1, v0
	v_nop
	v_fma_f32 v200, -v0, v1, 1.0
	s_delay_alu instid0(VALU_DEP_1) | instskip(NEXT) | instid1(VALU_DEP_1)
	v_fmac_f32_e32 v1, v200, v1
	v_mul_f32_e32 v200, v201, v1
	s_delay_alu instid0(VALU_DEP_1) | instskip(NEXT) | instid1(VALU_DEP_1)
	v_fma_f32 v202, -v0, v200, v201
	v_fmac_f32_e32 v200, v202, v1
	s_delay_alu instid0(VALU_DEP_1) | instskip(NEXT) | instid1(VALU_DEP_1)
	v_fma_f32 v0, -v0, v200, v201
	v_div_fmas_f32 v0, v0, v1, v200
	s_delay_alu instid0(VALU_DEP_1) | instskip(NEXT) | instid1(VALU_DEP_1)
	v_div_fixup_f32 v0, v0, v199, v198
	v_fmac_f32_e32 v199, v198, v0
	s_delay_alu instid0(VALU_DEP_1) | instskip(SKIP_1) | instid1(VALU_DEP_2)
	v_div_scale_f32 v1, null, v199, v199, 1.0
	v_div_scale_f32 v201, vcc_lo, 1.0, v199, 1.0
	v_rcp_f32_e32 v198, v1
	v_nop
	s_delay_alu instid0(TRANS32_DEP_1) | instskip(NEXT) | instid1(VALU_DEP_1)
	v_fma_f32 v200, -v1, v198, 1.0
	v_fmac_f32_e32 v198, v200, v198
	s_delay_alu instid0(VALU_DEP_1) | instskip(NEXT) | instid1(VALU_DEP_1)
	v_mul_f32_e32 v200, v201, v198
	v_fma_f32 v202, -v1, v200, v201
	s_delay_alu instid0(VALU_DEP_1) | instskip(NEXT) | instid1(VALU_DEP_1)
	v_fmac_f32_e32 v200, v202, v198
	v_fma_f32 v1, -v1, v200, v201
	s_delay_alu instid0(VALU_DEP_1) | instskip(NEXT) | instid1(VALU_DEP_1)
	v_div_fmas_f32 v1, v1, v198, v200
	v_div_fixup_f32 v1, v1, v199, 1.0
                                        ; implicit-def: $vgpr198_vgpr199
	s_delay_alu instid0(VALU_DEP_1)
	v_mul_f32_e32 v200, v0, v1
	v_xor_b32_e32 v201, 0x80000000, v1
.LBB79_167:
	s_and_not1_saveexec_b32 s1, s1
	s_cbranch_execz .LBB79_169
; %bb.168:
	v_div_scale_f32 v0, null, v198, v198, v199
	v_div_scale_f32 v201, vcc_lo, v199, v198, v199
	s_delay_alu instid0(VALU_DEP_2) | instskip(SKIP_1) | instid1(TRANS32_DEP_1)
	v_rcp_f32_e32 v1, v0
	v_nop
	v_fma_f32 v200, -v0, v1, 1.0
	s_delay_alu instid0(VALU_DEP_1) | instskip(NEXT) | instid1(VALU_DEP_1)
	v_fmac_f32_e32 v1, v200, v1
	v_mul_f32_e32 v200, v201, v1
	s_delay_alu instid0(VALU_DEP_1) | instskip(NEXT) | instid1(VALU_DEP_1)
	v_fma_f32 v202, -v0, v200, v201
	v_fmac_f32_e32 v200, v202, v1
	s_delay_alu instid0(VALU_DEP_1) | instskip(NEXT) | instid1(VALU_DEP_1)
	v_fma_f32 v0, -v0, v200, v201
	v_div_fmas_f32 v0, v0, v1, v200
	s_delay_alu instid0(VALU_DEP_1) | instskip(NEXT) | instid1(VALU_DEP_1)
	v_div_fixup_f32 v0, v0, v198, v199
	v_fmac_f32_e32 v198, v199, v0
	s_delay_alu instid0(VALU_DEP_1) | instskip(NEXT) | instid1(VALU_DEP_1)
	v_div_scale_f32 v1, null, v198, v198, 1.0
	v_rcp_f32_e32 v199, v1
	v_nop
	s_delay_alu instid0(TRANS32_DEP_1) | instskip(NEXT) | instid1(VALU_DEP_1)
	v_fma_f32 v200, -v1, v199, 1.0
	v_fmac_f32_e32 v199, v200, v199
	v_div_scale_f32 v200, vcc_lo, 1.0, v198, 1.0
	s_delay_alu instid0(VALU_DEP_1) | instskip(NEXT) | instid1(VALU_DEP_1)
	v_mul_f32_e32 v201, v200, v199
	v_fma_f32 v202, -v1, v201, v200
	s_delay_alu instid0(VALU_DEP_1) | instskip(NEXT) | instid1(VALU_DEP_1)
	v_fmac_f32_e32 v201, v202, v199
	v_fma_f32 v1, -v1, v201, v200
	s_delay_alu instid0(VALU_DEP_1) | instskip(NEXT) | instid1(VALU_DEP_1)
	v_div_fmas_f32 v1, v1, v199, v201
	v_div_fixup_f32 v200, v1, v198, 1.0
	s_delay_alu instid0(VALU_DEP_1)
	v_mul_f32_e64 v201, v0, -v200
.LBB79_169:
	s_or_b32 exec_lo, exec_lo, s1
	ds_store_b64 v243, v[200:201]
.LBB79_170:
	s_or_b32 exec_lo, exec_lo, s2
	s_wait_dscnt 0x0
	s_barrier_signal -1
	s_barrier_wait -1
	ds_load_b64 v[198:199], v243
	s_mov_b32 s1, exec_lo
	v_cmpx_lt_u32_e32 18, v242
	s_cbranch_execz .LBB79_172
; %bb.171:
	ds_load_2addr_b64 v[200:203], v244 offset0:19 offset1:20
	ds_load_2addr_b64 v[204:207], v244 offset0:21 offset1:22
	;; [unrolled: 1-line block ×3, first 2 shown]
	s_wait_dscnt 0x3
	v_pk_mul_f32 v[212:213], v[198:199], v[116:117] op_sel:[1,1] op_sel_hi:[0,1]
	s_delay_alu instid0(VALU_DEP_1)
	v_pk_fma_f32 v[222:223], v[198:199], v[116:117], v[212:213] op_sel_hi:[1,0,1]
	v_pk_fma_f32 v[220:221], v[198:199], v[116:117], v[212:213] op_sel_hi:[1,0,1] neg_lo:[0,0,1] neg_hi:[0,0,1]
	ds_load_2addr_b64 v[212:215], v244 offset0:25 offset1:26
	ds_load_2addr_b64 v[216:219], v244 offset0:27 offset1:28
	v_dual_mov_b32 v117, v223 :: v_dual_mov_b32 v116, v220
	s_wait_dscnt 0x4
	v_pk_mul_f32 v[224:225], v[200:201], v[222:223] op_sel:[0,1]
	v_pk_mul_f32 v[226:227], v[202:203], v[222:223] op_sel:[0,1]
	s_wait_dscnt 0x3
	v_pk_mul_f32 v[228:229], v[204:205], v[222:223] op_sel:[0,1]
	s_wait_dscnt 0x2
	v_pk_mul_f32 v[236:237], v[208:209], v[222:223] op_sel:[0,1]
	v_dual_mov_b32 v230, v207 :: v_dual_mov_b32 v231, v206
	v_pk_fma_f32 v[240:241], v[200:201], v[220:221], v[224:225] op_sel:[0,0,1] op_sel_hi:[1,1,0] neg_lo:[0,0,1] neg_hi:[0,0,1]
	v_pk_fma_f32 v[200:201], v[200:201], v[220:221], v[224:225] op_sel:[0,0,1] op_sel_hi:[1,0,0]
	v_dual_mul_f32 v232, v207, v223 :: v_dual_mul_f32 v234, v207, v220
	v_pk_mul_f32 v[238:239], v[210:211], v[222:223] op_sel:[0,1]
	v_pk_fma_f32 v[224:225], v[202:203], v[220:221], v[226:227] op_sel:[0,0,1] op_sel_hi:[1,1,0] neg_lo:[0,0,1] neg_hi:[0,0,1]
	v_pk_fma_f32 v[202:203], v[202:203], v[220:221], v[226:227] op_sel:[0,0,1] op_sel_hi:[1,0,0]
	v_pk_fma_f32 v[226:227], v[204:205], v[220:221], v[228:229] op_sel:[0,0,1] op_sel_hi:[1,1,0] neg_lo:[0,0,1] neg_hi:[0,0,1]
	v_pk_fma_f32 v[204:205], v[204:205], v[220:221], v[228:229] op_sel:[0,0,1] op_sel_hi:[1,0,0]
	v_mov_b32_e32 v241, v201
	v_pk_fma_f32 v[200:201], v[208:209], v[220:221], v[236:237] op_sel:[0,0,1] op_sel_hi:[1,0,0]
	v_pk_fma_f32 v[228:229], v[230:231], v[116:117], v[234:235] op_sel_hi:[1,1,0]
	v_pk_fma_f32 v[230:231], v[208:209], v[220:221], v[236:237] op_sel:[0,0,1] op_sel_hi:[1,1,0] neg_lo:[0,0,1] neg_hi:[0,0,1]
	v_dual_mov_b32 v225, v203 :: v_dual_mov_b32 v227, v205
	v_pk_fma_f32 v[204:205], v[210:211], v[220:221], v[238:239] op_sel:[0,0,1] op_sel_hi:[1,0,0]
	v_mov_b32_e32 v231, v201
	s_wait_dscnt 0x1
	v_pk_mul_f32 v[208:209], v[212:213], v[222:223] op_sel:[0,1]
	ds_load_2addr_b64 v[200:203], v244 offset0:29 offset1:30
	v_pk_fma_f32 v[206:207], v[206:207], v[116:117], v[232:233] op_sel_hi:[1,1,0] neg_lo:[0,0,1] neg_hi:[0,0,1]
	v_pk_fma_f32 v[210:211], v[210:211], v[220:221], v[238:239] op_sel:[0,0,1] op_sel_hi:[1,1,0] neg_lo:[0,0,1] neg_hi:[0,0,1]
	v_mov_b32_e32 v207, v229
	v_pk_add_f32 v[110:111], v[110:111], v[224:225] neg_lo:[0,1] neg_hi:[0,1]
	v_mov_b32_e32 v211, v205
	v_pk_mul_f32 v[224:225], v[214:215], v[222:223] op_sel:[0,1]
	v_pk_fma_f32 v[204:205], v[212:213], v[220:221], v[208:209] op_sel:[0,0,1] op_sel_hi:[1,0,0]
	v_pk_fma_f32 v[208:209], v[212:213], v[220:221], v[208:209] op_sel:[0,0,1] op_sel_hi:[1,1,0] neg_lo:[0,0,1] neg_hi:[0,0,1]
	v_pk_add_f32 v[144:145], v[144:145], v[206:207] neg_lo:[0,1] neg_hi:[0,1]
	v_pk_add_f32 v[100:101], v[100:101], v[210:211] neg_lo:[0,1] neg_hi:[0,1]
	v_pk_fma_f32 v[210:211], v[214:215], v[220:221], v[224:225] op_sel:[0,0,1] op_sel_hi:[1,0,0]
	v_mov_b32_e32 v209, v205
	ds_load_2addr_b64 v[204:207], v244 offset0:31 offset1:32
	v_pk_fma_f32 v[212:213], v[214:215], v[220:221], v[224:225] op_sel:[0,0,1] op_sel_hi:[1,1,0] neg_lo:[0,0,1] neg_hi:[0,0,1]
	s_wait_dscnt 0x2
	v_dual_mul_f32 v210, v217, v220 :: v_dual_mul_f32 v214, v217, v223
	v_mov_b32_e32 v213, v211
	v_pk_add_f32 v[96:97], v[96:97], v[208:209] neg_lo:[0,1] neg_hi:[0,1]
	v_pk_mul_f32 v[208:209], v[218:219], v[222:223] op_sel:[0,1]
	s_delay_alu instid0(VALU_DEP_4)
	v_pk_fma_f32 v[210:211], v[216:217], v[116:117], v[210:211] op_sel:[1,0,0] op_sel_hi:[0,1,0]
	v_pk_fma_f32 v[214:215], v[216:217], v[116:117], v[214:215] op_sel_hi:[1,1,0] neg_lo:[0,0,1] neg_hi:[0,0,1]
	v_pk_add_f32 v[98:99], v[98:99], v[212:213] neg_lo:[0,1] neg_hi:[0,1]
	s_wait_dscnt 0x1
	v_pk_mul_f32 v[212:213], v[200:201], v[222:223] op_sel:[0,1]
	v_pk_fma_f32 v[224:225], v[218:219], v[220:221], v[208:209] op_sel:[0,0,1] op_sel_hi:[1,0,0]
	v_mov_b32_e32 v215, v211
	v_pk_fma_f32 v[216:217], v[218:219], v[220:221], v[208:209] op_sel:[0,0,1] op_sel_hi:[1,1,0] neg_lo:[0,0,1] neg_hi:[0,0,1]
	ds_load_2addr_b64 v[208:211], v244 offset0:33 offset1:34
	v_pk_fma_f32 v[218:219], v[200:201], v[220:221], v[212:213] op_sel:[0,0,1] op_sel_hi:[1,0,0]
	v_pk_fma_f32 v[200:201], v[200:201], v[220:221], v[212:213] op_sel:[0,0,1] op_sel_hi:[1,1,0] neg_lo:[0,0,1] neg_hi:[0,0,1]
	v_pk_mul_f32 v[212:213], v[202:203], v[222:223] op_sel:[0,1]
	v_mov_b32_e32 v217, v225
	v_pk_add_f32 v[94:95], v[94:95], v[214:215] neg_lo:[0,1] neg_hi:[0,1]
	v_pk_add_f32 v[142:143], v[142:143], v[226:227] neg_lo:[0,1] neg_hi:[0,1]
	v_pk_add_f32 v[112:113], v[112:113], v[240:241] neg_lo:[0,1] neg_hi:[0,1]
	v_pk_fma_f32 v[214:215], v[202:203], v[220:221], v[212:213] op_sel:[0,0,1] op_sel_hi:[1,0,0]
	v_mov_b32_e32 v201, v219
	s_wait_dscnt 0x1
	v_pk_mul_f32 v[218:219], v[204:205], v[222:223] op_sel:[0,1]
	v_pk_fma_f32 v[212:213], v[202:203], v[220:221], v[212:213] op_sel:[0,0,1] op_sel_hi:[1,1,0] neg_lo:[0,0,1] neg_hi:[0,0,1]
	v_pk_add_f32 v[128:129], v[128:129], v[216:217] neg_lo:[0,1] neg_hi:[0,1]
	v_mov_b32_e32 v213, v215
	v_pk_add_f32 v[124:125], v[124:125], v[200:201] neg_lo:[0,1] neg_hi:[0,1]
	v_pk_fma_f32 v[216:217], v[204:205], v[220:221], v[218:219] op_sel:[0,0,1] op_sel_hi:[1,0,0]
	ds_load_2addr_b64 v[200:203], v244 offset0:35 offset1:36
	v_pk_fma_f32 v[204:205], v[204:205], v[220:221], v[218:219] op_sel:[0,0,1] op_sel_hi:[1,1,0] neg_lo:[0,0,1] neg_hi:[0,0,1]
	v_dual_mov_b32 v214, v207 :: v_dual_mov_b32 v215, v206
	v_dual_mul_f32 v216, v207, v220 :: v_dual_mov_b32 v205, v217
	v_pk_add_f32 v[126:127], v[126:127], v[212:213] neg_lo:[0,1] neg_hi:[0,1]
	ds_load_b64 v[226:227], v244 offset:312
	s_wait_dscnt 0x2
	v_pk_mul_f32 v[218:219], v[208:209], v[222:223] op_sel:[0,1]
	v_pk_fma_f32 v[216:217], v[214:215], v[116:117], v[216:217] op_sel_hi:[1,1,0]
	ds_load_2addr_b64 v[212:215], v244 offset0:37 offset1:38
	v_pk_add_f32 v[122:123], v[122:123], v[204:205] neg_lo:[0,1] neg_hi:[0,1]
	v_mul_f32_e32 v204, v207, v223
	v_pk_mul_f32 v[224:225], v[210:211], v[222:223] op_sel:[0,1]
	v_pk_add_f32 v[140:141], v[140:141], v[230:231] neg_lo:[0,1] neg_hi:[0,1]
	s_delay_alu instid0(VALU_DEP_3)
	v_pk_fma_f32 v[204:205], v[206:207], v[116:117], v[204:205] op_sel_hi:[1,1,0] neg_lo:[0,0,1] neg_hi:[0,0,1]
	v_pk_fma_f32 v[206:207], v[208:209], v[220:221], v[218:219] op_sel:[0,0,1] op_sel_hi:[1,0,0]
	v_mov_b32_e32 v205, v217
	v_pk_fma_f32 v[216:217], v[210:211], v[220:221], v[224:225] op_sel:[0,0,1] op_sel_hi:[1,0,0]
	v_pk_fma_f32 v[208:209], v[208:209], v[220:221], v[218:219] op_sel:[0,0,1] op_sel_hi:[1,1,0] neg_lo:[0,0,1] neg_hi:[0,0,1]
	s_wait_dscnt 0x2
	v_pk_mul_f32 v[218:219], v[200:201], v[222:223] op_sel:[0,1]
	v_mov_b32_e32 v209, v207
	v_pk_fma_f32 v[206:207], v[210:211], v[220:221], v[224:225] op_sel:[0,0,1] op_sel_hi:[1,1,0] neg_lo:[0,0,1] neg_hi:[0,0,1]
	v_mov_b32_e32 v207, v217
	v_pk_add_f32 v[152:153], v[152:153], v[204:205] neg_lo:[0,1] neg_hi:[0,1]
	v_pk_fma_f32 v[204:205], v[200:201], v[220:221], v[218:219] op_sel:[0,0,1] op_sel_hi:[1,0,0]
	v_pk_mul_f32 v[210:211], v[202:203], v[222:223] op_sel:[0,1]
	v_pk_fma_f32 v[200:201], v[200:201], v[220:221], v[218:219] op_sel:[0,0,1] op_sel_hi:[1,1,0] neg_lo:[0,0,1] neg_hi:[0,0,1]
	v_pk_add_f32 v[150:151], v[150:151], v[206:207] neg_lo:[0,1] neg_hi:[0,1]
	s_wait_dscnt 0x0
	v_mul_f32_e32 v206, v213, v220
	v_mov_b32_e32 v201, v205
	v_pk_fma_f32 v[204:205], v[202:203], v[220:221], v[210:211] op_sel:[0,0,1] op_sel_hi:[1,1,0] neg_lo:[0,0,1] neg_hi:[0,0,1]
	v_pk_fma_f32 v[202:203], v[202:203], v[220:221], v[210:211] op_sel:[0,0,1] op_sel_hi:[1,0,0]
	v_pk_add_f32 v[148:149], v[148:149], v[208:209] neg_lo:[0,1] neg_hi:[0,1]
	v_pk_mul_f32 v[208:209], v[214:215], v[222:223] op_sel:[0,1]
	v_mul_f32_e32 v202, v213, v223
	v_pk_mul_f32 v[210:211], v[226:227], v[222:223] op_sel:[0,1]
	v_pk_fma_f32 v[206:207], v[212:213], v[116:117], v[206:207] op_sel:[1,0,0] op_sel_hi:[0,1,0]
	v_mov_b32_e32 v205, v203
	v_pk_fma_f32 v[216:217], v[214:215], v[220:221], v[208:209] op_sel:[0,0,1] op_sel_hi:[1,0,0]
	v_pk_fma_f32 v[202:203], v[212:213], v[116:117], v[202:203] op_sel_hi:[1,1,0] neg_lo:[0,0,1] neg_hi:[0,0,1]
	v_pk_fma_f32 v[212:213], v[226:227], v[220:221], v[210:211] op_sel:[0,0,1] op_sel_hi:[1,0,0]
	v_mov_b32_e32 v203, v207
	v_pk_fma_f32 v[206:207], v[214:215], v[220:221], v[208:209] op_sel:[0,0,1] op_sel_hi:[1,1,0] neg_lo:[0,0,1] neg_hi:[0,0,1]
	v_pk_fma_f32 v[208:209], v[226:227], v[220:221], v[210:211] op_sel:[0,0,1] op_sel_hi:[1,1,0] neg_lo:[0,0,1] neg_hi:[0,0,1]
	s_delay_alu instid0(VALU_DEP_4) | instskip(SKIP_3) | instid1(VALU_DEP_4)
	v_dual_mov_b32 v207, v217 :: v_dual_mov_b32 v209, v213
	v_pk_add_f32 v[146:147], v[146:147], v[200:201] neg_lo:[0,1] neg_hi:[0,1]
	v_pk_add_f32 v[158:159], v[158:159], v[204:205] neg_lo:[0,1] neg_hi:[0,1]
	;; [unrolled: 1-line block ×5, first 2 shown]
.LBB79_172:
	s_or_b32 exec_lo, exec_lo, s1
	s_delay_alu instid0(SALU_CYCLE_1)
	s_mov_b32 s2, exec_lo
	s_wait_dscnt 0x0
	s_barrier_signal -1
	s_barrier_wait -1
	v_cmpx_eq_u32_e32 19, v242
	s_cbranch_execz .LBB79_179
; %bb.173:
	v_dual_mov_b32 v200, v110 :: v_dual_mov_b32 v201, v111
	v_dual_mov_b32 v202, v142 :: v_dual_mov_b32 v203, v143
	;; [unrolled: 1-line block ×8, first 2 shown]
	ds_store_b64 v243, v[112:113]
	ds_store_2addr_b64 v244, v[200:201], v[202:203] offset0:20 offset1:21
	ds_store_2addr_b64 v244, v[204:205], v[206:207] offset0:22 offset1:23
	;; [unrolled: 1-line block ×4, first 2 shown]
	v_dual_mov_b32 v200, v128 :: v_dual_mov_b32 v201, v129
	v_dual_mov_b32 v202, v124 :: v_dual_mov_b32 v203, v125
	v_dual_mov_b32 v204, v126 :: v_dual_mov_b32 v205, v127
	v_dual_mov_b32 v206, v122 :: v_dual_mov_b32 v207, v123
	v_dual_mov_b32 v208, v152 :: v_dual_mov_b32 v209, v153
	v_dual_mov_b32 v210, v148 :: v_dual_mov_b32 v211, v149
	v_dual_mov_b32 v212, v150 :: v_dual_mov_b32 v213, v151
	v_dual_mov_b32 v214, v146 :: v_dual_mov_b32 v215, v147
	v_dual_mov_b32 v216, v158 :: v_dual_mov_b32 v217, v159
	v_dual_mov_b32 v218, v156 :: v_dual_mov_b32 v219, v157
	v_dual_mov_b32 v220, v154 :: v_dual_mov_b32 v221, v155
	ds_store_2addr_b64 v244, v[200:201], v[202:203] offset0:28 offset1:29
	ds_store_2addr_b64 v244, v[204:205], v[206:207] offset0:30 offset1:31
	;; [unrolled: 1-line block ×6, first 2 shown]
	ds_load_b64 v[200:201], v243
	s_wait_dscnt 0x0
	v_cmp_neq_f32_e32 vcc_lo, 0, v200
	v_cmp_neq_f32_e64 s1, 0, v201
	s_or_b32 s1, vcc_lo, s1
	s_delay_alu instid0(SALU_CYCLE_1)
	s_and_b32 exec_lo, exec_lo, s1
	s_cbranch_execz .LBB79_179
; %bb.174:
	v_cmp_ngt_f32_e64 s1, |v200|, |v201|
                                        ; implicit-def: $vgpr202_vgpr203
	s_and_saveexec_b32 s4, s1
	s_delay_alu instid0(SALU_CYCLE_1)
	s_xor_b32 s1, exec_lo, s4
	s_cbranch_execz .LBB79_176
; %bb.175:
	v_div_scale_f32 v0, null, v201, v201, v200
	v_div_scale_f32 v203, vcc_lo, v200, v201, v200
	s_delay_alu instid0(VALU_DEP_2) | instskip(SKIP_1) | instid1(TRANS32_DEP_1)
	v_rcp_f32_e32 v1, v0
	v_nop
	v_fma_f32 v202, -v0, v1, 1.0
	s_delay_alu instid0(VALU_DEP_1) | instskip(NEXT) | instid1(VALU_DEP_1)
	v_fmac_f32_e32 v1, v202, v1
	v_mul_f32_e32 v202, v203, v1
	s_delay_alu instid0(VALU_DEP_1) | instskip(NEXT) | instid1(VALU_DEP_1)
	v_fma_f32 v204, -v0, v202, v203
	v_fmac_f32_e32 v202, v204, v1
	s_delay_alu instid0(VALU_DEP_1) | instskip(NEXT) | instid1(VALU_DEP_1)
	v_fma_f32 v0, -v0, v202, v203
	v_div_fmas_f32 v0, v0, v1, v202
	s_delay_alu instid0(VALU_DEP_1) | instskip(NEXT) | instid1(VALU_DEP_1)
	v_div_fixup_f32 v0, v0, v201, v200
	v_fmac_f32_e32 v201, v200, v0
	s_delay_alu instid0(VALU_DEP_1) | instskip(SKIP_1) | instid1(VALU_DEP_2)
	v_div_scale_f32 v1, null, v201, v201, 1.0
	v_div_scale_f32 v203, vcc_lo, 1.0, v201, 1.0
	v_rcp_f32_e32 v200, v1
	v_nop
	s_delay_alu instid0(TRANS32_DEP_1) | instskip(NEXT) | instid1(VALU_DEP_1)
	v_fma_f32 v202, -v1, v200, 1.0
	v_fmac_f32_e32 v200, v202, v200
	s_delay_alu instid0(VALU_DEP_1) | instskip(NEXT) | instid1(VALU_DEP_1)
	v_mul_f32_e32 v202, v203, v200
	v_fma_f32 v204, -v1, v202, v203
	s_delay_alu instid0(VALU_DEP_1) | instskip(NEXT) | instid1(VALU_DEP_1)
	v_fmac_f32_e32 v202, v204, v200
	v_fma_f32 v1, -v1, v202, v203
	s_delay_alu instid0(VALU_DEP_1) | instskip(NEXT) | instid1(VALU_DEP_1)
	v_div_fmas_f32 v1, v1, v200, v202
	v_div_fixup_f32 v1, v1, v201, 1.0
                                        ; implicit-def: $vgpr200_vgpr201
	s_delay_alu instid0(VALU_DEP_1)
	v_mul_f32_e32 v202, v0, v1
	v_xor_b32_e32 v203, 0x80000000, v1
.LBB79_176:
	s_and_not1_saveexec_b32 s1, s1
	s_cbranch_execz .LBB79_178
; %bb.177:
	v_div_scale_f32 v0, null, v200, v200, v201
	v_div_scale_f32 v203, vcc_lo, v201, v200, v201
	s_delay_alu instid0(VALU_DEP_2) | instskip(SKIP_1) | instid1(TRANS32_DEP_1)
	v_rcp_f32_e32 v1, v0
	v_nop
	v_fma_f32 v202, -v0, v1, 1.0
	s_delay_alu instid0(VALU_DEP_1) | instskip(NEXT) | instid1(VALU_DEP_1)
	v_fmac_f32_e32 v1, v202, v1
	v_mul_f32_e32 v202, v203, v1
	s_delay_alu instid0(VALU_DEP_1) | instskip(NEXT) | instid1(VALU_DEP_1)
	v_fma_f32 v204, -v0, v202, v203
	v_fmac_f32_e32 v202, v204, v1
	s_delay_alu instid0(VALU_DEP_1) | instskip(NEXT) | instid1(VALU_DEP_1)
	v_fma_f32 v0, -v0, v202, v203
	v_div_fmas_f32 v0, v0, v1, v202
	s_delay_alu instid0(VALU_DEP_1) | instskip(NEXT) | instid1(VALU_DEP_1)
	v_div_fixup_f32 v0, v0, v200, v201
	v_fmac_f32_e32 v200, v201, v0
	s_delay_alu instid0(VALU_DEP_1) | instskip(NEXT) | instid1(VALU_DEP_1)
	v_div_scale_f32 v1, null, v200, v200, 1.0
	v_rcp_f32_e32 v201, v1
	v_nop
	s_delay_alu instid0(TRANS32_DEP_1) | instskip(NEXT) | instid1(VALU_DEP_1)
	v_fma_f32 v202, -v1, v201, 1.0
	v_fmac_f32_e32 v201, v202, v201
	v_div_scale_f32 v202, vcc_lo, 1.0, v200, 1.0
	s_delay_alu instid0(VALU_DEP_1) | instskip(NEXT) | instid1(VALU_DEP_1)
	v_mul_f32_e32 v203, v202, v201
	v_fma_f32 v204, -v1, v203, v202
	s_delay_alu instid0(VALU_DEP_1) | instskip(NEXT) | instid1(VALU_DEP_1)
	v_fmac_f32_e32 v203, v204, v201
	v_fma_f32 v1, -v1, v203, v202
	s_delay_alu instid0(VALU_DEP_1) | instskip(NEXT) | instid1(VALU_DEP_1)
	v_div_fmas_f32 v1, v1, v201, v203
	v_div_fixup_f32 v202, v1, v200, 1.0
	s_delay_alu instid0(VALU_DEP_1)
	v_mul_f32_e64 v203, v0, -v202
.LBB79_178:
	s_or_b32 exec_lo, exec_lo, s1
	ds_store_b64 v243, v[202:203]
.LBB79_179:
	s_or_b32 exec_lo, exec_lo, s2
	s_wait_dscnt 0x0
	s_barrier_signal -1
	s_barrier_wait -1
	ds_load_b64 v[200:201], v243
	s_mov_b32 s1, exec_lo
	v_cmpx_lt_u32_e32 19, v242
	s_cbranch_execz .LBB79_181
; %bb.180:
	ds_load_2addr_b64 v[202:205], v244 offset0:20 offset1:21
	ds_load_2addr_b64 v[206:209], v244 offset0:22 offset1:23
	;; [unrolled: 1-line block ×3, first 2 shown]
	s_wait_dscnt 0x3
	v_pk_mul_f32 v[214:215], v[200:201], v[112:113] op_sel:[1,1] op_sel_hi:[0,1]
	s_delay_alu instid0(VALU_DEP_1)
	v_pk_fma_f32 v[222:223], v[200:201], v[112:113], v[214:215] op_sel_hi:[1,0,1] neg_lo:[0,0,1] neg_hi:[0,0,1]
	v_pk_fma_f32 v[224:225], v[200:201], v[112:113], v[214:215] op_sel_hi:[1,0,1]
	ds_load_2addr_b64 v[214:217], v244 offset0:26 offset1:27
	ds_load_2addr_b64 v[218:221], v244 offset0:28 offset1:29
	v_dual_mov_b32 v112, v222 :: v_dual_mov_b32 v113, v225
	s_wait_dscnt 0x4
	v_pk_mul_f32 v[226:227], v[202:203], v[224:225] op_sel:[0,1]
	v_pk_mul_f32 v[228:229], v[204:205], v[224:225] op_sel:[0,1]
	s_wait_dscnt 0x3
	v_pk_mul_f32 v[230:231], v[206:207], v[224:225] op_sel:[0,1]
	v_dual_mov_b32 v232, v209 :: v_dual_mov_b32 v233, v208
	v_dual_mul_f32 v234, v209, v225 :: v_dual_mul_f32 v236, v209, v222
	v_pk_fma_f32 v[246:247], v[202:203], v[222:223], v[226:227] op_sel:[0,0,1] op_sel_hi:[1,1,0] neg_lo:[0,0,1] neg_hi:[0,0,1]
	v_pk_fma_f32 v[202:203], v[202:203], v[222:223], v[226:227] op_sel:[0,0,1] op_sel_hi:[1,0,0]
	v_pk_fma_f32 v[226:227], v[204:205], v[222:223], v[228:229] op_sel:[0,0,1] op_sel_hi:[1,1,0] neg_lo:[0,0,1] neg_hi:[0,0,1]
	v_pk_fma_f32 v[204:205], v[204:205], v[222:223], v[228:229] op_sel:[0,0,1] op_sel_hi:[1,0,0]
	;; [unrolled: 2-line block ×3, first 2 shown]
	v_pk_fma_f32 v[230:231], v[232:233], v[112:113], v[236:237] op_sel_hi:[1,1,0]
	s_wait_dscnt 0x2
	v_pk_mul_f32 v[238:239], v[210:211], v[224:225] op_sel:[0,1]
	v_pk_fma_f32 v[208:209], v[208:209], v[112:113], v[234:235] op_sel_hi:[1,1,0] neg_lo:[0,0,1] neg_hi:[0,0,1]
	v_pk_mul_f32 v[240:241], v[212:213], v[224:225] op_sel:[0,1]
	v_dual_mov_b32 v229, v207 :: v_dual_mov_b32 v209, v231
	v_dual_mov_b32 v247, v203 :: v_dual_mov_b32 v227, v205
	v_pk_fma_f32 v[202:203], v[210:211], v[222:223], v[238:239] op_sel:[0,0,1] op_sel_hi:[1,0,0]
	s_wait_dscnt 0x1
	v_pk_mul_f32 v[206:207], v[214:215], v[224:225] op_sel:[0,1]
	v_pk_add_f32 v[140:141], v[140:141], v[208:209] neg_lo:[0,1] neg_hi:[0,1]
	v_pk_fma_f32 v[208:209], v[210:211], v[222:223], v[238:239] op_sel:[0,0,1] op_sel_hi:[1,1,0] neg_lo:[0,0,1] neg_hi:[0,0,1]
	v_pk_fma_f32 v[210:211], v[212:213], v[222:223], v[240:241] op_sel:[0,0,1] op_sel_hi:[1,0,0]
	v_mov_b32_e32 v209, v203
	ds_load_2addr_b64 v[202:205], v244 offset0:30 offset1:31
	v_pk_add_f32 v[144:145], v[144:145], v[228:229] neg_lo:[0,1] neg_hi:[0,1]
	v_pk_mul_f32 v[228:229], v[216:217], v[224:225] op_sel:[0,1]
	v_pk_add_f32 v[142:143], v[142:143], v[226:227] neg_lo:[0,1] neg_hi:[0,1]
	v_pk_fma_f32 v[226:227], v[214:215], v[222:223], v[206:207] op_sel:[0,0,1] op_sel_hi:[1,0,0]
	v_pk_fma_f32 v[212:213], v[212:213], v[222:223], v[240:241] op_sel:[0,0,1] op_sel_hi:[1,1,0] neg_lo:[0,0,1] neg_hi:[0,0,1]
	v_mov_b32_e32 v213, v211
	v_pk_fma_f32 v[206:207], v[214:215], v[222:223], v[206:207] op_sel:[0,0,1] op_sel_hi:[1,1,0] neg_lo:[0,0,1] neg_hi:[0,0,1]
	v_pk_add_f32 v[100:101], v[100:101], v[208:209] neg_lo:[0,1] neg_hi:[0,1]
	v_pk_fma_f32 v[208:209], v[216:217], v[222:223], v[228:229] op_sel:[0,0,1] op_sel_hi:[1,0,0]
	v_mov_b32_e32 v207, v227
	s_wait_dscnt 0x1
	v_mul_f32_e32 v208, v219, v222
	v_pk_fma_f32 v[210:211], v[216:217], v[222:223], v[228:229] op_sel:[0,0,1] op_sel_hi:[1,1,0] neg_lo:[0,0,1] neg_hi:[0,0,1]
	v_pk_add_f32 v[96:97], v[96:97], v[212:213] neg_lo:[0,1] neg_hi:[0,1]
	v_mov_b32_e32 v211, v209
	v_pk_add_f32 v[98:99], v[98:99], v[206:207] neg_lo:[0,1] neg_hi:[0,1]
	v_mul_f32_e32 v212, v219, v225
	v_pk_fma_f32 v[214:215], v[218:219], v[112:113], v[208:209] op_sel:[1,0,0] op_sel_hi:[0,1,0]
	ds_load_2addr_b64 v[206:209], v244 offset0:32 offset1:33
	v_pk_mul_f32 v[216:217], v[220:221], v[224:225] op_sel:[0,1]
	s_wait_dscnt 0x1
	v_pk_mul_f32 v[226:227], v[202:203], v[224:225] op_sel:[0,1]
	v_pk_fma_f32 v[218:219], v[218:219], v[112:113], v[212:213] op_sel_hi:[1,1,0] neg_lo:[0,0,1] neg_hi:[0,0,1]
	v_pk_add_f32 v[94:95], v[94:95], v[210:211] neg_lo:[0,1] neg_hi:[0,1]
	v_mov_b32_e32 v219, v215
	v_pk_fma_f32 v[214:215], v[220:221], v[222:223], v[216:217] op_sel:[0,0,1] op_sel_hi:[1,0,0]
	v_pk_mul_f32 v[228:229], v[204:205], v[224:225] op_sel:[0,1]
	ds_load_2addr_b64 v[210:213], v244 offset0:34 offset1:35
	v_pk_fma_f32 v[230:231], v[202:203], v[222:223], v[226:227] op_sel:[0,0,1] op_sel_hi:[1,0,0]
	v_pk_fma_f32 v[216:217], v[220:221], v[222:223], v[216:217] op_sel:[0,0,1] op_sel_hi:[1,1,0] neg_lo:[0,0,1] neg_hi:[0,0,1]
	v_pk_fma_f32 v[202:203], v[202:203], v[222:223], v[226:227] op_sel:[0,0,1] op_sel_hi:[1,1,0] neg_lo:[0,0,1] neg_hi:[0,0,1]
	v_mov_b32_e32 v217, v215
	v_pk_fma_f32 v[214:215], v[204:205], v[222:223], v[228:229] op_sel:[0,0,1] op_sel_hi:[1,0,0]
	v_mov_b32_e32 v203, v231
	v_pk_add_f32 v[128:129], v[128:129], v[218:219] neg_lo:[0,1] neg_hi:[0,1]
	v_pk_fma_f32 v[218:219], v[204:205], v[222:223], v[228:229] op_sel:[0,0,1] op_sel_hi:[1,1,0] neg_lo:[0,0,1] neg_hi:[0,0,1]
	v_pk_add_f32 v[124:125], v[124:125], v[216:217] neg_lo:[0,1] neg_hi:[0,1]
	v_mov_b32_e32 v219, v215
	v_pk_add_f32 v[126:127], v[126:127], v[202:203] neg_lo:[0,1] neg_hi:[0,1]
	ds_load_2addr_b64 v[202:205], v244 offset0:36 offset1:37
	s_wait_dscnt 0x2
	v_pk_mul_f32 v[220:221], v[206:207], v[224:225] op_sel:[0,1]
	v_mul_f32_e32 v226, v209, v222
	v_pk_add_f32 v[122:123], v[122:123], v[218:219] neg_lo:[0,1] neg_hi:[0,1]
	v_dual_mov_b32 v218, v209 :: v_dual_mov_b32 v219, v208
	s_delay_alu instid0(VALU_DEP_4)
	v_pk_fma_f32 v[228:229], v[206:207], v[222:223], v[220:221] op_sel:[0,0,1] op_sel_hi:[1,0,0]
	v_mul_f32_e32 v228, v209, v225
	ds_load_2addr_b64 v[214:217], v244 offset0:38 offset1:39
	s_wait_dscnt 0x2
	v_pk_mul_f32 v[230:231], v[210:211], v[224:225] op_sel:[0,1]
	v_pk_fma_f32 v[218:219], v[218:219], v[112:113], v[226:227] op_sel_hi:[1,1,0]
	v_pk_fma_f32 v[206:207], v[206:207], v[222:223], v[220:221] op_sel:[0,0,1] op_sel_hi:[1,1,0] neg_lo:[0,0,1] neg_hi:[0,0,1]
	v_pk_fma_f32 v[208:209], v[208:209], v[112:113], v[228:229] op_sel_hi:[1,1,0] neg_lo:[0,0,1] neg_hi:[0,0,1]
	v_mov_b32_e32 v207, v229
	v_pk_fma_f32 v[220:221], v[210:211], v[222:223], v[230:231] op_sel:[0,0,1] op_sel_hi:[1,0,0]
	v_mov_b32_e32 v209, v219
	v_pk_mul_f32 v[218:219], v[212:213], v[224:225] op_sel:[0,1]
	v_pk_fma_f32 v[210:211], v[210:211], v[222:223], v[230:231] op_sel:[0,0,1] op_sel_hi:[1,1,0] neg_lo:[0,0,1] neg_hi:[0,0,1]
	v_pk_add_f32 v[152:153], v[152:153], v[206:207] neg_lo:[0,1] neg_hi:[0,1]
	v_mov_b32_e32 v211, v221
	s_wait_dscnt 0x1
	v_pk_mul_f32 v[206:207], v[202:203], v[224:225] op_sel:[0,1]
	v_pk_fma_f32 v[220:221], v[212:213], v[222:223], v[218:219] op_sel:[0,0,1] op_sel_hi:[1,0,0]
	v_pk_add_f32 v[148:149], v[148:149], v[208:209] neg_lo:[0,1] neg_hi:[0,1]
	v_pk_fma_f32 v[208:209], v[212:213], v[222:223], v[218:219] op_sel:[0,0,1] op_sel_hi:[1,1,0] neg_lo:[0,0,1] neg_hi:[0,0,1]
	v_pk_mul_f32 v[212:213], v[204:205], v[224:225] op_sel:[0,1]
	v_pk_add_f32 v[110:111], v[110:111], v[246:247] neg_lo:[0,1] neg_hi:[0,1]
	v_mov_b32_e32 v209, v221
	v_pk_add_f32 v[150:151], v[150:151], v[210:211] neg_lo:[0,1] neg_hi:[0,1]
	v_pk_fma_f32 v[210:211], v[202:203], v[222:223], v[206:207] op_sel:[0,0,1] op_sel_hi:[1,0,0]
	v_pk_fma_f32 v[202:203], v[202:203], v[222:223], v[206:207] op_sel:[0,0,1] op_sel_hi:[1,1,0] neg_lo:[0,0,1] neg_hi:[0,0,1]
	s_wait_dscnt 0x0
	v_mul_f32_e32 v206, v215, v222
	v_pk_fma_f32 v[218:219], v[204:205], v[222:223], v[212:213] op_sel:[0,0,1] op_sel_hi:[1,0,0]
	v_mul_f32_e32 v218, v215, v225
	v_mov_b32_e32 v203, v211
	v_pk_mul_f32 v[210:211], v[216:217], v[224:225] op_sel:[0,1]
	v_pk_fma_f32 v[206:207], v[214:215], v[112:113], v[206:207] op_sel:[1,0,0] op_sel_hi:[0,1,0]
	v_pk_fma_f32 v[204:205], v[204:205], v[222:223], v[212:213] op_sel:[0,0,1] op_sel_hi:[1,1,0] neg_lo:[0,0,1] neg_hi:[0,0,1]
	v_pk_fma_f32 v[214:215], v[214:215], v[112:113], v[218:219] op_sel_hi:[1,1,0] neg_lo:[0,0,1] neg_hi:[0,0,1]
	v_mov_b32_e32 v205, v219
	v_pk_fma_f32 v[212:213], v[216:217], v[222:223], v[210:211] op_sel:[0,0,1] op_sel_hi:[1,0,0]
	v_mov_b32_e32 v215, v207
	v_pk_fma_f32 v[206:207], v[216:217], v[222:223], v[210:211] op_sel:[0,0,1] op_sel_hi:[1,1,0] neg_lo:[0,0,1] neg_hi:[0,0,1]
	v_pk_add_f32 v[146:147], v[146:147], v[208:209] neg_lo:[0,1] neg_hi:[0,1]
	v_pk_add_f32 v[158:159], v[158:159], v[202:203] neg_lo:[0,1] neg_hi:[0,1]
	v_mov_b32_e32 v207, v213
	v_pk_add_f32 v[156:157], v[156:157], v[204:205] neg_lo:[0,1] neg_hi:[0,1]
	v_pk_add_f32 v[154:155], v[154:155], v[214:215] neg_lo:[0,1] neg_hi:[0,1]
	s_delay_alu instid0(VALU_DEP_3)
	v_pk_add_f32 v[160:161], v[160:161], v[206:207] neg_lo:[0,1] neg_hi:[0,1]
.LBB79_181:
	s_or_b32 exec_lo, exec_lo, s1
	s_delay_alu instid0(SALU_CYCLE_1)
	s_mov_b32 s2, exec_lo
	s_wait_dscnt 0x0
	s_barrier_signal -1
	s_barrier_wait -1
	v_cmpx_eq_u32_e32 20, v242
	s_cbranch_execz .LBB79_188
; %bb.182:
	ds_store_b64 v243, v[110:111]
	ds_store_2addr_b64 v244, v[142:143], v[144:145] offset0:21 offset1:22
	ds_store_2addr_b64 v244, v[140:141], v[100:101] offset0:23 offset1:24
	ds_store_2addr_b64 v244, v[96:97], v[98:99] offset0:25 offset1:26
	ds_store_2addr_b64 v244, v[94:95], v[128:129] offset0:27 offset1:28
	ds_store_2addr_b64 v244, v[124:125], v[126:127] offset0:29 offset1:30
	ds_store_2addr_b64 v244, v[122:123], v[152:153] offset0:31 offset1:32
	ds_store_2addr_b64 v244, v[148:149], v[150:151] offset0:33 offset1:34
	ds_store_2addr_b64 v244, v[146:147], v[158:159] offset0:35 offset1:36
	ds_store_2addr_b64 v244, v[156:157], v[154:155] offset0:37 offset1:38
	ds_store_b64 v244, v[160:161] offset:312
	ds_load_b64 v[202:203], v243
	s_wait_dscnt 0x0
	v_cmp_neq_f32_e32 vcc_lo, 0, v202
	v_cmp_neq_f32_e64 s1, 0, v203
	s_or_b32 s1, vcc_lo, s1
	s_delay_alu instid0(SALU_CYCLE_1)
	s_and_b32 exec_lo, exec_lo, s1
	s_cbranch_execz .LBB79_188
; %bb.183:
	v_cmp_ngt_f32_e64 s1, |v202|, |v203|
                                        ; implicit-def: $vgpr204_vgpr205
	s_and_saveexec_b32 s4, s1
	s_delay_alu instid0(SALU_CYCLE_1)
	s_xor_b32 s1, exec_lo, s4
	s_cbranch_execz .LBB79_185
; %bb.184:
	v_div_scale_f32 v0, null, v203, v203, v202
	v_div_scale_f32 v205, vcc_lo, v202, v203, v202
	s_delay_alu instid0(VALU_DEP_2) | instskip(SKIP_1) | instid1(TRANS32_DEP_1)
	v_rcp_f32_e32 v1, v0
	v_nop
	v_fma_f32 v204, -v0, v1, 1.0
	s_delay_alu instid0(VALU_DEP_1) | instskip(NEXT) | instid1(VALU_DEP_1)
	v_fmac_f32_e32 v1, v204, v1
	v_mul_f32_e32 v204, v205, v1
	s_delay_alu instid0(VALU_DEP_1) | instskip(NEXT) | instid1(VALU_DEP_1)
	v_fma_f32 v206, -v0, v204, v205
	v_fmac_f32_e32 v204, v206, v1
	s_delay_alu instid0(VALU_DEP_1) | instskip(NEXT) | instid1(VALU_DEP_1)
	v_fma_f32 v0, -v0, v204, v205
	v_div_fmas_f32 v0, v0, v1, v204
	s_delay_alu instid0(VALU_DEP_1) | instskip(NEXT) | instid1(VALU_DEP_1)
	v_div_fixup_f32 v0, v0, v203, v202
	v_fmac_f32_e32 v203, v202, v0
	s_delay_alu instid0(VALU_DEP_1) | instskip(SKIP_1) | instid1(VALU_DEP_2)
	v_div_scale_f32 v1, null, v203, v203, 1.0
	v_div_scale_f32 v205, vcc_lo, 1.0, v203, 1.0
	v_rcp_f32_e32 v202, v1
	v_nop
	s_delay_alu instid0(TRANS32_DEP_1) | instskip(NEXT) | instid1(VALU_DEP_1)
	v_fma_f32 v204, -v1, v202, 1.0
	v_fmac_f32_e32 v202, v204, v202
	s_delay_alu instid0(VALU_DEP_1) | instskip(NEXT) | instid1(VALU_DEP_1)
	v_mul_f32_e32 v204, v205, v202
	v_fma_f32 v206, -v1, v204, v205
	s_delay_alu instid0(VALU_DEP_1) | instskip(NEXT) | instid1(VALU_DEP_1)
	v_fmac_f32_e32 v204, v206, v202
	v_fma_f32 v1, -v1, v204, v205
	s_delay_alu instid0(VALU_DEP_1) | instskip(NEXT) | instid1(VALU_DEP_1)
	v_div_fmas_f32 v1, v1, v202, v204
	v_div_fixup_f32 v1, v1, v203, 1.0
                                        ; implicit-def: $vgpr202_vgpr203
	s_delay_alu instid0(VALU_DEP_1)
	v_mul_f32_e32 v204, v0, v1
	v_xor_b32_e32 v205, 0x80000000, v1
.LBB79_185:
	s_and_not1_saveexec_b32 s1, s1
	s_cbranch_execz .LBB79_187
; %bb.186:
	v_div_scale_f32 v0, null, v202, v202, v203
	v_div_scale_f32 v205, vcc_lo, v203, v202, v203
	s_delay_alu instid0(VALU_DEP_2) | instskip(SKIP_1) | instid1(TRANS32_DEP_1)
	v_rcp_f32_e32 v1, v0
	v_nop
	v_fma_f32 v204, -v0, v1, 1.0
	s_delay_alu instid0(VALU_DEP_1) | instskip(NEXT) | instid1(VALU_DEP_1)
	v_fmac_f32_e32 v1, v204, v1
	v_mul_f32_e32 v204, v205, v1
	s_delay_alu instid0(VALU_DEP_1) | instskip(NEXT) | instid1(VALU_DEP_1)
	v_fma_f32 v206, -v0, v204, v205
	v_fmac_f32_e32 v204, v206, v1
	s_delay_alu instid0(VALU_DEP_1) | instskip(NEXT) | instid1(VALU_DEP_1)
	v_fma_f32 v0, -v0, v204, v205
	v_div_fmas_f32 v0, v0, v1, v204
	s_delay_alu instid0(VALU_DEP_1) | instskip(NEXT) | instid1(VALU_DEP_1)
	v_div_fixup_f32 v0, v0, v202, v203
	v_fmac_f32_e32 v202, v203, v0
	s_delay_alu instid0(VALU_DEP_1) | instskip(NEXT) | instid1(VALU_DEP_1)
	v_div_scale_f32 v1, null, v202, v202, 1.0
	v_rcp_f32_e32 v203, v1
	v_nop
	s_delay_alu instid0(TRANS32_DEP_1) | instskip(NEXT) | instid1(VALU_DEP_1)
	v_fma_f32 v204, -v1, v203, 1.0
	v_fmac_f32_e32 v203, v204, v203
	v_div_scale_f32 v204, vcc_lo, 1.0, v202, 1.0
	s_delay_alu instid0(VALU_DEP_1) | instskip(NEXT) | instid1(VALU_DEP_1)
	v_mul_f32_e32 v205, v204, v203
	v_fma_f32 v206, -v1, v205, v204
	s_delay_alu instid0(VALU_DEP_1) | instskip(NEXT) | instid1(VALU_DEP_1)
	v_fmac_f32_e32 v205, v206, v203
	v_fma_f32 v1, -v1, v205, v204
	s_delay_alu instid0(VALU_DEP_1) | instskip(NEXT) | instid1(VALU_DEP_1)
	v_div_fmas_f32 v1, v1, v203, v205
	v_div_fixup_f32 v204, v1, v202, 1.0
	s_delay_alu instid0(VALU_DEP_1)
	v_mul_f32_e64 v205, v0, -v204
.LBB79_187:
	s_or_b32 exec_lo, exec_lo, s1
	ds_store_b64 v243, v[204:205]
.LBB79_188:
	s_or_b32 exec_lo, exec_lo, s2
	s_wait_dscnt 0x0
	s_barrier_signal -1
	s_barrier_wait -1
	ds_load_b64 v[202:203], v243
	s_mov_b32 s1, exec_lo
	v_cmpx_lt_u32_e32 20, v242
	s_cbranch_execz .LBB79_190
; %bb.189:
	ds_load_2addr_b64 v[204:207], v244 offset0:21 offset1:22
	ds_load_2addr_b64 v[208:211], v244 offset0:23 offset1:24
	;; [unrolled: 1-line block ×3, first 2 shown]
	s_wait_dscnt 0x3
	v_pk_mul_f32 v[220:221], v[202:203], v[110:111] op_sel:[1,1] op_sel_hi:[0,1]
	ds_load_2addr_b64 v[216:219], v244 offset0:27 offset1:28
	v_pk_fma_f32 v[226:227], v[202:203], v[110:111], v[220:221] op_sel_hi:[1,0,1]
	v_pk_fma_f32 v[224:225], v[202:203], v[110:111], v[220:221] op_sel_hi:[1,0,1] neg_lo:[0,0,1] neg_hi:[0,0,1]
	ds_load_2addr_b64 v[220:223], v244 offset0:29 offset1:30
	v_dual_mov_b32 v111, v227 :: v_dual_mov_b32 v110, v224
	s_wait_dscnt 0x4
	v_pk_mul_f32 v[228:229], v[204:205], v[226:227] op_sel:[0,1]
	v_pk_mul_f32 v[230:231], v[206:207], v[226:227] op_sel:[0,1]
	s_wait_dscnt 0x3
	v_pk_mul_f32 v[232:233], v[208:209], v[226:227] op_sel:[0,1]
	v_dual_mov_b32 v234, v211 :: v_dual_mov_b32 v235, v210
	v_dual_mul_f32 v236, v211, v227 :: v_dual_mul_f32 v238, v211, v224
	v_pk_fma_f32 v[250:251], v[204:205], v[224:225], v[228:229] op_sel:[0,0,1] op_sel_hi:[1,1,0] neg_lo:[0,0,1] neg_hi:[0,0,1]
	v_pk_fma_f32 v[204:205], v[204:205], v[224:225], v[228:229] op_sel:[0,0,1] op_sel_hi:[1,0,0]
	v_pk_fma_f32 v[228:229], v[206:207], v[224:225], v[230:231] op_sel:[0,0,1] op_sel_hi:[1,1,0] neg_lo:[0,0,1] neg_hi:[0,0,1]
	v_pk_fma_f32 v[206:207], v[206:207], v[224:225], v[230:231] op_sel:[0,0,1] op_sel_hi:[1,0,0]
	;; [unrolled: 2-line block ×3, first 2 shown]
	s_wait_dscnt 0x2
	v_pk_mul_f32 v[240:241], v[212:213], v[226:227] op_sel:[0,1]
	s_wait_dscnt 0x1
	v_pk_mul_f32 v[248:249], v[216:217], v[226:227] op_sel:[0,1]
	v_pk_fma_f32 v[232:233], v[234:235], v[110:111], v[238:239] op_sel_hi:[1,1,0]
	v_pk_mul_f32 v[246:247], v[214:215], v[226:227] op_sel:[0,1]
	v_dual_mov_b32 v231, v209 :: v_dual_mov_b32 v251, v205
	v_mov_b32_e32 v229, v207
	v_pk_fma_f32 v[208:209], v[212:213], v[224:225], v[240:241] op_sel:[0,0,1] op_sel_hi:[1,0,0]
	v_pk_fma_f32 v[210:211], v[210:211], v[110:111], v[236:237] op_sel_hi:[1,1,0] neg_lo:[0,0,1] neg_hi:[0,0,1]
	ds_load_2addr_b64 v[204:207], v244 offset0:31 offset1:32
	v_mov_b32_e32 v211, v233
	v_pk_add_f32 v[140:141], v[140:141], v[230:231] neg_lo:[0,1] neg_hi:[0,1]
	v_pk_fma_f32 v[230:231], v[216:217], v[224:225], v[248:249] op_sel:[0,0,1] op_sel_hi:[1,0,0]
	v_pk_fma_f32 v[212:213], v[212:213], v[224:225], v[240:241] op_sel:[0,0,1] op_sel_hi:[1,1,0] neg_lo:[0,0,1] neg_hi:[0,0,1]
	v_pk_add_f32 v[144:145], v[144:145], v[228:229] neg_lo:[0,1] neg_hi:[0,1]
	v_pk_fma_f32 v[228:229], v[214:215], v[224:225], v[246:247] op_sel:[0,0,1] op_sel_hi:[1,0,0]
	v_mov_b32_e32 v213, v209
	v_pk_fma_f32 v[208:209], v[214:215], v[224:225], v[246:247] op_sel:[0,0,1] op_sel_hi:[1,1,0] neg_lo:[0,0,1] neg_hi:[0,0,1]
	v_pk_fma_f32 v[214:215], v[216:217], v[224:225], v[248:249] op_sel:[0,0,1] op_sel_hi:[1,1,0] neg_lo:[0,0,1] neg_hi:[0,0,1]
	v_mov_b32_e32 v215, v231
	v_pk_mul_f32 v[216:217], v[218:219], v[226:227] op_sel:[0,1]
	v_mov_b32_e32 v209, v229
	v_pk_add_f32 v[96:97], v[96:97], v[212:213] neg_lo:[0,1] neg_hi:[0,1]
	s_wait_dscnt 0x1
	v_mul_f32_e32 v212, v221, v224
	v_pk_add_f32 v[94:95], v[94:95], v[214:215] neg_lo:[0,1] neg_hi:[0,1]
	v_pk_fma_f32 v[214:215], v[218:219], v[224:225], v[216:217] op_sel:[0,0,1] op_sel_hi:[1,0,0]
	v_mul_f32_e32 v214, v221, v227
	v_pk_add_f32 v[100:101], v[100:101], v[210:211] neg_lo:[0,1] neg_hi:[0,1]
	v_pk_add_f32 v[98:99], v[98:99], v[208:209] neg_lo:[0,1] neg_hi:[0,1]
	v_pk_fma_f32 v[228:229], v[218:219], v[224:225], v[216:217] op_sel:[0,0,1] op_sel_hi:[1,1,0] neg_lo:[0,0,1] neg_hi:[0,0,1]
	v_pk_mul_f32 v[216:217], v[222:223], v[226:227] op_sel:[0,1]
	ds_load_2addr_b64 v[208:211], v244 offset0:33 offset1:34
	v_pk_fma_f32 v[212:213], v[220:221], v[110:111], v[212:213] op_sel:[1,0,0] op_sel_hi:[0,1,0]
	v_mov_b32_e32 v229, v215
	v_pk_fma_f32 v[220:221], v[220:221], v[110:111], v[214:215] op_sel_hi:[1,1,0] neg_lo:[0,0,1] neg_hi:[0,0,1]
	v_pk_fma_f32 v[230:231], v[222:223], v[224:225], v[216:217] op_sel:[0,0,1] op_sel_hi:[1,0,0]
	s_wait_dscnt 0x1
	v_pk_mul_f32 v[218:219], v[204:205], v[226:227] op_sel:[0,1]
	v_mov_b32_e32 v221, v213
	ds_load_2addr_b64 v[212:215], v244 offset0:35 offset1:36
	v_pk_fma_f32 v[216:217], v[222:223], v[224:225], v[216:217] op_sel:[0,0,1] op_sel_hi:[1,1,0] neg_lo:[0,0,1] neg_hi:[0,0,1]
	v_mov_b32_e32 v217, v231
	v_pk_fma_f32 v[232:233], v[204:205], v[224:225], v[218:219] op_sel:[0,0,1] op_sel_hi:[1,0,0]
	v_pk_fma_f32 v[204:205], v[204:205], v[224:225], v[218:219] op_sel:[0,0,1] op_sel_hi:[1,1,0] neg_lo:[0,0,1] neg_hi:[0,0,1]
	v_pk_mul_f32 v[218:219], v[206:207], v[226:227] op_sel:[0,1]
	v_pk_add_f32 v[124:125], v[124:125], v[220:221] neg_lo:[0,1] neg_hi:[0,1]
	v_pk_add_f32 v[126:127], v[126:127], v[216:217] neg_lo:[0,1] neg_hi:[0,1]
	v_mov_b32_e32 v205, v233
	v_pk_add_f32 v[128:129], v[128:129], v[228:229] neg_lo:[0,1] neg_hi:[0,1]
	v_pk_fma_f32 v[216:217], v[206:207], v[224:225], v[218:219] op_sel:[0,0,1] op_sel_hi:[1,1,0] neg_lo:[0,0,1] neg_hi:[0,0,1]
	v_pk_fma_f32 v[218:219], v[206:207], v[224:225], v[218:219] op_sel:[0,0,1] op_sel_hi:[1,0,0]
	ds_load_b64 v[228:229], v244 offset:312
	s_wait_dscnt 0x2
	v_pk_mul_f32 v[220:221], v[208:209], v[226:227] op_sel:[0,1]
	v_mov_b32_e32 v222, v211
	v_pk_add_f32 v[122:123], v[122:123], v[204:205] neg_lo:[0,1] neg_hi:[0,1]
	ds_load_2addr_b64 v[204:207], v244 offset0:37 offset1:38
	v_dual_mov_b32 v223, v210 :: v_dual_mul_f32 v218, v211, v224
	v_pk_fma_f32 v[230:231], v[208:209], v[224:225], v[220:221] op_sel:[0,0,1] op_sel_hi:[1,0,0]
	v_mov_b32_e32 v217, v219
	v_pk_fma_f32 v[208:209], v[208:209], v[224:225], v[220:221] op_sel:[0,0,1] op_sel_hi:[1,1,0] neg_lo:[0,0,1] neg_hi:[0,0,1]
	s_wait_dscnt 0x2
	v_pk_mul_f32 v[220:221], v[212:213], v[226:227] op_sel:[0,1]
	v_pk_fma_f32 v[218:219], v[222:223], v[110:111], v[218:219] op_sel_hi:[1,1,0]
	v_mov_b32_e32 v209, v231
	v_pk_add_f32 v[152:153], v[152:153], v[216:217] neg_lo:[0,1] neg_hi:[0,1]
	v_pk_add_f32 v[142:143], v[142:143], v[250:251] neg_lo:[0,1] neg_hi:[0,1]
	v_pk_fma_f32 v[216:217], v[212:213], v[224:225], v[220:221] op_sel:[0,0,1] op_sel_hi:[1,0,0]
	v_mul_f32_e32 v230, v211, v227
	v_pk_add_f32 v[148:149], v[148:149], v[208:209] neg_lo:[0,1] neg_hi:[0,1]
	v_pk_mul_f32 v[208:209], v[214:215], v[226:227] op_sel:[0,1]
	s_delay_alu instid0(VALU_DEP_3) | instskip(SKIP_3) | instid1(VALU_DEP_2)
	v_pk_fma_f32 v[210:211], v[210:211], v[110:111], v[230:231] op_sel_hi:[1,1,0] neg_lo:[0,0,1] neg_hi:[0,0,1]
	v_mov_b32_e32 v211, v219
	s_wait_dscnt 0x0
	v_pk_mul_f32 v[218:219], v[206:207], v[226:227] op_sel:[0,1]
	v_pk_add_f32 v[150:151], v[150:151], v[210:211] neg_lo:[0,1] neg_hi:[0,1]
	v_pk_fma_f32 v[210:211], v[212:213], v[224:225], v[220:221] op_sel:[0,0,1] op_sel_hi:[1,1,0] neg_lo:[0,0,1] neg_hi:[0,0,1]
	v_mov_b32_e32 v211, v217
	v_pk_mul_f32 v[212:213], v[204:205], v[226:227] op_sel:[0,1]
	v_pk_fma_f32 v[216:217], v[214:215], v[224:225], v[208:209] op_sel:[0,0,1] op_sel_hi:[1,0,0]
	v_pk_fma_f32 v[208:209], v[214:215], v[224:225], v[208:209] op_sel:[0,0,1] op_sel_hi:[1,1,0] neg_lo:[0,0,1] neg_hi:[0,0,1]
	v_pk_mul_f32 v[214:215], v[228:229], v[226:227] op_sel:[0,1]
	v_pk_add_f32 v[146:147], v[146:147], v[210:211] neg_lo:[0,1] neg_hi:[0,1]
	v_pk_fma_f32 v[220:221], v[204:205], v[224:225], v[212:213] op_sel:[0,0,1] op_sel_hi:[1,0,0]
	v_mov_b32_e32 v209, v217
	v_pk_fma_f32 v[216:217], v[206:207], v[224:225], v[218:219] op_sel:[0,0,1] op_sel_hi:[1,0,0]
	v_pk_fma_f32 v[204:205], v[204:205], v[224:225], v[212:213] op_sel:[0,0,1] op_sel_hi:[1,1,0] neg_lo:[0,0,1] neg_hi:[0,0,1]
	v_pk_fma_f32 v[212:213], v[228:229], v[224:225], v[214:215] op_sel:[0,0,1] op_sel_hi:[1,0,0]
	v_pk_fma_f32 v[206:207], v[206:207], v[224:225], v[218:219] op_sel:[0,0,1] op_sel_hi:[1,1,0] neg_lo:[0,0,1] neg_hi:[0,0,1]
	v_pk_fma_f32 v[214:215], v[228:229], v[224:225], v[214:215] op_sel:[0,0,1] op_sel_hi:[1,1,0] neg_lo:[0,0,1] neg_hi:[0,0,1]
	v_dual_mov_b32 v205, v221 :: v_dual_mov_b32 v207, v217
	s_delay_alu instid0(VALU_DEP_4) | instskip(SKIP_1) | instid1(VALU_DEP_3)
	v_mov_b32_e32 v215, v213
	v_pk_add_f32 v[158:159], v[158:159], v[208:209] neg_lo:[0,1] neg_hi:[0,1]
	v_pk_add_f32 v[156:157], v[156:157], v[204:205] neg_lo:[0,1] neg_hi:[0,1]
	s_delay_alu instid0(VALU_DEP_4) | instskip(NEXT) | instid1(VALU_DEP_4)
	v_pk_add_f32 v[154:155], v[154:155], v[206:207] neg_lo:[0,1] neg_hi:[0,1]
	v_pk_add_f32 v[160:161], v[160:161], v[214:215] neg_lo:[0,1] neg_hi:[0,1]
.LBB79_190:
	s_or_b32 exec_lo, exec_lo, s1
	s_delay_alu instid0(SALU_CYCLE_1)
	s_mov_b32 s2, exec_lo
	s_wait_dscnt 0x0
	s_barrier_signal -1
	s_barrier_wait -1
	v_cmpx_eq_u32_e32 21, v242
	s_cbranch_execz .LBB79_197
; %bb.191:
	v_dual_mov_b32 v204, v144 :: v_dual_mov_b32 v205, v145
	v_dual_mov_b32 v206, v140 :: v_dual_mov_b32 v207, v141
	;; [unrolled: 1-line block ×8, first 2 shown]
	ds_store_b64 v243, v[142:143]
	ds_store_2addr_b64 v244, v[204:205], v[206:207] offset0:22 offset1:23
	ds_store_2addr_b64 v244, v[208:209], v[210:211] offset0:24 offset1:25
	;; [unrolled: 1-line block ×4, first 2 shown]
	v_dual_mov_b32 v204, v126 :: v_dual_mov_b32 v205, v127
	v_dual_mov_b32 v206, v122 :: v_dual_mov_b32 v207, v123
	;; [unrolled: 1-line block ×9, first 2 shown]
	ds_store_2addr_b64 v244, v[204:205], v[206:207] offset0:30 offset1:31
	ds_store_2addr_b64 v244, v[208:209], v[210:211] offset0:32 offset1:33
	;; [unrolled: 1-line block ×5, first 2 shown]
	ds_load_b64 v[204:205], v243
	s_wait_dscnt 0x0
	v_cmp_neq_f32_e32 vcc_lo, 0, v204
	v_cmp_neq_f32_e64 s1, 0, v205
	s_or_b32 s1, vcc_lo, s1
	s_delay_alu instid0(SALU_CYCLE_1)
	s_and_b32 exec_lo, exec_lo, s1
	s_cbranch_execz .LBB79_197
; %bb.192:
	v_cmp_ngt_f32_e64 s1, |v204|, |v205|
                                        ; implicit-def: $vgpr206_vgpr207
	s_and_saveexec_b32 s4, s1
	s_delay_alu instid0(SALU_CYCLE_1)
	s_xor_b32 s1, exec_lo, s4
	s_cbranch_execz .LBB79_194
; %bb.193:
	v_div_scale_f32 v0, null, v205, v205, v204
	v_div_scale_f32 v207, vcc_lo, v204, v205, v204
	s_delay_alu instid0(VALU_DEP_2) | instskip(SKIP_1) | instid1(TRANS32_DEP_1)
	v_rcp_f32_e32 v1, v0
	v_nop
	v_fma_f32 v206, -v0, v1, 1.0
	s_delay_alu instid0(VALU_DEP_1) | instskip(NEXT) | instid1(VALU_DEP_1)
	v_fmac_f32_e32 v1, v206, v1
	v_mul_f32_e32 v206, v207, v1
	s_delay_alu instid0(VALU_DEP_1) | instskip(NEXT) | instid1(VALU_DEP_1)
	v_fma_f32 v208, -v0, v206, v207
	v_fmac_f32_e32 v206, v208, v1
	s_delay_alu instid0(VALU_DEP_1) | instskip(NEXT) | instid1(VALU_DEP_1)
	v_fma_f32 v0, -v0, v206, v207
	v_div_fmas_f32 v0, v0, v1, v206
	s_delay_alu instid0(VALU_DEP_1) | instskip(NEXT) | instid1(VALU_DEP_1)
	v_div_fixup_f32 v0, v0, v205, v204
	v_fmac_f32_e32 v205, v204, v0
	s_delay_alu instid0(VALU_DEP_1) | instskip(SKIP_1) | instid1(VALU_DEP_2)
	v_div_scale_f32 v1, null, v205, v205, 1.0
	v_div_scale_f32 v207, vcc_lo, 1.0, v205, 1.0
	v_rcp_f32_e32 v204, v1
	v_nop
	s_delay_alu instid0(TRANS32_DEP_1) | instskip(NEXT) | instid1(VALU_DEP_1)
	v_fma_f32 v206, -v1, v204, 1.0
	v_fmac_f32_e32 v204, v206, v204
	s_delay_alu instid0(VALU_DEP_1) | instskip(NEXT) | instid1(VALU_DEP_1)
	v_mul_f32_e32 v206, v207, v204
	v_fma_f32 v208, -v1, v206, v207
	s_delay_alu instid0(VALU_DEP_1) | instskip(NEXT) | instid1(VALU_DEP_1)
	v_fmac_f32_e32 v206, v208, v204
	v_fma_f32 v1, -v1, v206, v207
	s_delay_alu instid0(VALU_DEP_1) | instskip(NEXT) | instid1(VALU_DEP_1)
	v_div_fmas_f32 v1, v1, v204, v206
	v_div_fixup_f32 v1, v1, v205, 1.0
                                        ; implicit-def: $vgpr204_vgpr205
	s_delay_alu instid0(VALU_DEP_1)
	v_mul_f32_e32 v206, v0, v1
	v_xor_b32_e32 v207, 0x80000000, v1
.LBB79_194:
	s_and_not1_saveexec_b32 s1, s1
	s_cbranch_execz .LBB79_196
; %bb.195:
	v_div_scale_f32 v0, null, v204, v204, v205
	v_div_scale_f32 v207, vcc_lo, v205, v204, v205
	s_delay_alu instid0(VALU_DEP_2) | instskip(SKIP_1) | instid1(TRANS32_DEP_1)
	v_rcp_f32_e32 v1, v0
	v_nop
	v_fma_f32 v206, -v0, v1, 1.0
	s_delay_alu instid0(VALU_DEP_1) | instskip(NEXT) | instid1(VALU_DEP_1)
	v_fmac_f32_e32 v1, v206, v1
	v_mul_f32_e32 v206, v207, v1
	s_delay_alu instid0(VALU_DEP_1) | instskip(NEXT) | instid1(VALU_DEP_1)
	v_fma_f32 v208, -v0, v206, v207
	v_fmac_f32_e32 v206, v208, v1
	s_delay_alu instid0(VALU_DEP_1) | instskip(NEXT) | instid1(VALU_DEP_1)
	v_fma_f32 v0, -v0, v206, v207
	v_div_fmas_f32 v0, v0, v1, v206
	s_delay_alu instid0(VALU_DEP_1) | instskip(NEXT) | instid1(VALU_DEP_1)
	v_div_fixup_f32 v0, v0, v204, v205
	v_fmac_f32_e32 v204, v205, v0
	s_delay_alu instid0(VALU_DEP_1) | instskip(NEXT) | instid1(VALU_DEP_1)
	v_div_scale_f32 v1, null, v204, v204, 1.0
	v_rcp_f32_e32 v205, v1
	v_nop
	s_delay_alu instid0(TRANS32_DEP_1) | instskip(NEXT) | instid1(VALU_DEP_1)
	v_fma_f32 v206, -v1, v205, 1.0
	v_fmac_f32_e32 v205, v206, v205
	v_div_scale_f32 v206, vcc_lo, 1.0, v204, 1.0
	s_delay_alu instid0(VALU_DEP_1) | instskip(NEXT) | instid1(VALU_DEP_1)
	v_mul_f32_e32 v207, v206, v205
	v_fma_f32 v208, -v1, v207, v206
	s_delay_alu instid0(VALU_DEP_1) | instskip(NEXT) | instid1(VALU_DEP_1)
	v_fmac_f32_e32 v207, v208, v205
	v_fma_f32 v1, -v1, v207, v206
	s_delay_alu instid0(VALU_DEP_1) | instskip(NEXT) | instid1(VALU_DEP_1)
	v_div_fmas_f32 v1, v1, v205, v207
	v_div_fixup_f32 v206, v1, v204, 1.0
	s_delay_alu instid0(VALU_DEP_1)
	v_mul_f32_e64 v207, v0, -v206
.LBB79_196:
	s_or_b32 exec_lo, exec_lo, s1
	ds_store_b64 v243, v[206:207]
.LBB79_197:
	s_or_b32 exec_lo, exec_lo, s2
	s_wait_dscnt 0x0
	s_barrier_signal -1
	s_barrier_wait -1
	ds_load_b64 v[204:205], v243
	s_mov_b32 s1, exec_lo
	v_cmpx_lt_u32_e32 21, v242
	s_cbranch_execz .LBB79_199
; %bb.198:
	ds_load_2addr_b64 v[206:209], v244 offset0:22 offset1:23
	ds_load_2addr_b64 v[210:213], v244 offset0:24 offset1:25
	;; [unrolled: 1-line block ×3, first 2 shown]
	s_wait_dscnt 0x3
	v_pk_mul_f32 v[218:219], v[204:205], v[142:143] op_sel:[1,1] op_sel_hi:[0,1]
	s_delay_alu instid0(VALU_DEP_1)
	v_pk_fma_f32 v[226:227], v[204:205], v[142:143], v[218:219] op_sel_hi:[1,0,1] neg_lo:[0,0,1] neg_hi:[0,0,1]
	v_pk_fma_f32 v[228:229], v[204:205], v[142:143], v[218:219] op_sel_hi:[1,0,1]
	ds_load_2addr_b64 v[218:221], v244 offset0:28 offset1:29
	ds_load_2addr_b64 v[222:225], v244 offset0:30 offset1:31
	v_dual_mov_b32 v142, v226 :: v_dual_mov_b32 v143, v229
	s_wait_dscnt 0x4
	v_pk_mul_f32 v[230:231], v[206:207], v[228:229] op_sel:[0,1]
	v_pk_mul_f32 v[232:233], v[208:209], v[228:229] op_sel:[0,1]
	s_wait_dscnt 0x3
	v_pk_mul_f32 v[234:235], v[210:211], v[228:229] op_sel:[0,1]
	s_wait_dscnt 0x2
	v_pk_mul_f32 v[246:247], v[214:215], v[228:229] op_sel:[0,1]
	v_dual_mov_b32 v236, v213 :: v_dual_mov_b32 v237, v212
	v_pk_fma_f32 v[250:251], v[206:207], v[226:227], v[230:231] op_sel:[0,0,1] op_sel_hi:[1,1,0] neg_lo:[0,0,1] neg_hi:[0,0,1]
	v_pk_fma_f32 v[206:207], v[206:207], v[226:227], v[230:231] op_sel:[0,0,1] op_sel_hi:[1,0,0]
	v_dual_mul_f32 v238, v213, v229 :: v_dual_mul_f32 v240, v213, v226
	v_pk_mul_f32 v[248:249], v[216:217], v[228:229] op_sel:[0,1]
	v_pk_fma_f32 v[230:231], v[208:209], v[226:227], v[232:233] op_sel:[0,0,1] op_sel_hi:[1,1,0] neg_lo:[0,0,1] neg_hi:[0,0,1]
	v_pk_fma_f32 v[208:209], v[208:209], v[226:227], v[232:233] op_sel:[0,0,1] op_sel_hi:[1,0,0]
	v_pk_fma_f32 v[232:233], v[210:211], v[226:227], v[234:235] op_sel:[0,0,1] op_sel_hi:[1,1,0] neg_lo:[0,0,1] neg_hi:[0,0,1]
	v_pk_fma_f32 v[210:211], v[210:211], v[226:227], v[234:235] op_sel:[0,0,1] op_sel_hi:[1,0,0]
	v_mov_b32_e32 v251, v207
	v_pk_fma_f32 v[206:207], v[214:215], v[226:227], v[246:247] op_sel:[0,0,1] op_sel_hi:[1,0,0]
	v_pk_fma_f32 v[234:235], v[236:237], v[142:143], v[240:241] op_sel_hi:[1,1,0]
	v_pk_fma_f32 v[236:237], v[214:215], v[226:227], v[246:247] op_sel:[0,0,1] op_sel_hi:[1,1,0] neg_lo:[0,0,1] neg_hi:[0,0,1]
	v_dual_mov_b32 v231, v209 :: v_dual_mov_b32 v233, v211
	v_pk_fma_f32 v[210:211], v[216:217], v[226:227], v[248:249] op_sel:[0,0,1] op_sel_hi:[1,0,0]
	s_wait_dscnt 0x1
	v_pk_mul_f32 v[214:215], v[218:219], v[228:229] op_sel:[0,1]
	v_mov_b32_e32 v237, v207
	ds_load_2addr_b64 v[206:209], v244 offset0:32 offset1:33
	v_pk_fma_f32 v[212:213], v[212:213], v[142:143], v[238:239] op_sel_hi:[1,1,0] neg_lo:[0,0,1] neg_hi:[0,0,1]
	v_pk_fma_f32 v[216:217], v[216:217], v[226:227], v[248:249] op_sel:[0,0,1] op_sel_hi:[1,1,0] neg_lo:[0,0,1] neg_hi:[0,0,1]
	v_mov_b32_e32 v213, v235
	v_pk_add_f32 v[140:141], v[140:141], v[230:231] neg_lo:[0,1] neg_hi:[0,1]
	v_pk_mul_f32 v[230:231], v[220:221], v[228:229] op_sel:[0,1]
	v_mov_b32_e32 v217, v211
	v_pk_fma_f32 v[210:211], v[218:219], v[226:227], v[214:215] op_sel:[0,0,1] op_sel_hi:[1,0,0]
	v_pk_fma_f32 v[214:215], v[218:219], v[226:227], v[214:215] op_sel:[0,0,1] op_sel_hi:[1,1,0] neg_lo:[0,0,1] neg_hi:[0,0,1]
	v_pk_add_f32 v[96:97], v[96:97], v[212:213] neg_lo:[0,1] neg_hi:[0,1]
	v_pk_fma_f32 v[212:213], v[220:221], v[226:227], v[230:231] op_sel:[0,0,1] op_sel_hi:[1,0,0]
	v_pk_add_f32 v[94:95], v[94:95], v[216:217] neg_lo:[0,1] neg_hi:[0,1]
	v_mov_b32_e32 v215, v211
	v_pk_fma_f32 v[216:217], v[220:221], v[226:227], v[230:231] op_sel:[0,0,1] op_sel_hi:[1,1,0] neg_lo:[0,0,1] neg_hi:[0,0,1]
	s_wait_dscnt 0x1
	v_dual_mul_f32 v218, v223, v226 :: v_dual_mov_b32 v217, v213
	ds_load_2addr_b64 v[210:213], v244 offset0:34 offset1:35
	v_pk_add_f32 v[128:129], v[128:129], v[214:215] neg_lo:[0,1] neg_hi:[0,1]
	v_mul_f32_e32 v214, v223, v229
	v_pk_mul_f32 v[220:221], v[224:225], v[228:229] op_sel:[0,1]
	v_pk_fma_f32 v[218:219], v[222:223], v[142:143], v[218:219] op_sel:[1,0,0] op_sel_hi:[0,1,0]
	v_pk_add_f32 v[124:125], v[124:125], v[216:217] neg_lo:[0,1] neg_hi:[0,1]
	v_pk_add_f32 v[100:101], v[100:101], v[232:233] neg_lo:[0,1] neg_hi:[0,1]
	v_pk_fma_f32 v[222:223], v[222:223], v[142:143], v[214:215] op_sel_hi:[1,1,0] neg_lo:[0,0,1] neg_hi:[0,0,1]
	ds_load_2addr_b64 v[214:217], v244 offset0:36 offset1:37
	s_wait_dscnt 0x2
	v_pk_mul_f32 v[230:231], v[206:207], v[228:229] op_sel:[0,1]
	v_pk_fma_f32 v[232:233], v[224:225], v[226:227], v[220:221] op_sel:[0,0,1] op_sel_hi:[1,0,0]
	v_pk_fma_f32 v[220:221], v[224:225], v[226:227], v[220:221] op_sel:[0,0,1] op_sel_hi:[1,1,0] neg_lo:[0,0,1] neg_hi:[0,0,1]
	v_mov_b32_e32 v223, v219
	v_pk_mul_f32 v[224:225], v[208:209], v[228:229] op_sel:[0,1]
	v_pk_fma_f32 v[218:219], v[206:207], v[226:227], v[230:231] op_sel:[0,0,1] op_sel_hi:[1,0,0]
	v_mov_b32_e32 v221, v233
	v_pk_fma_f32 v[206:207], v[206:207], v[226:227], v[230:231] op_sel:[0,0,1] op_sel_hi:[1,1,0] neg_lo:[0,0,1] neg_hi:[0,0,1]
	v_pk_add_f32 v[126:127], v[126:127], v[222:223] neg_lo:[0,1] neg_hi:[0,1]
	v_pk_fma_f32 v[222:223], v[208:209], v[226:227], v[224:225] op_sel:[0,0,1] op_sel_hi:[1,0,0]
	s_wait_dscnt 0x1
	v_dual_mov_b32 v207, v219 :: v_dual_mov_b32 v222, v213
	v_pk_add_f32 v[122:123], v[122:123], v[220:221] neg_lo:[0,1] neg_hi:[0,1]
	ds_load_2addr_b64 v[218:221], v244 offset0:38 offset1:39
	v_pk_mul_f32 v[230:231], v[210:211], v[228:229] op_sel:[0,1]
	v_pk_add_f32 v[152:153], v[152:153], v[206:207] neg_lo:[0,1] neg_hi:[0,1]
	v_pk_fma_f32 v[206:207], v[208:209], v[226:227], v[224:225] op_sel:[0,0,1] op_sel_hi:[1,1,0] neg_lo:[0,0,1] neg_hi:[0,0,1]
	v_dual_mov_b32 v207, v223 :: v_dual_mov_b32 v223, v212
	s_delay_alu instid0(VALU_DEP_4)
	v_pk_fma_f32 v[208:209], v[210:211], v[226:227], v[230:231] op_sel:[0,0,1] op_sel_hi:[1,0,0]
	s_wait_dscnt 0x1
	v_pk_mul_f32 v[224:225], v[214:215], v[228:229] op_sel:[0,1]
	v_mul_f32_e32 v208, v213, v226
	v_pk_fma_f32 v[210:211], v[210:211], v[226:227], v[230:231] op_sel:[0,0,1] op_sel_hi:[1,1,0] neg_lo:[0,0,1] neg_hi:[0,0,1]
	v_mul_f32_e32 v230, v213, v229
	v_pk_add_f32 v[148:149], v[148:149], v[206:207] neg_lo:[0,1] neg_hi:[0,1]
	v_pk_fma_f32 v[206:207], v[214:215], v[226:227], v[224:225] op_sel:[0,0,1] op_sel_hi:[1,0,0]
	v_mov_b32_e32 v211, v209
	v_pk_fma_f32 v[208:209], v[222:223], v[142:143], v[208:209] op_sel_hi:[1,1,0]
	v_pk_add_f32 v[144:145], v[144:145], v[250:251] neg_lo:[0,1] neg_hi:[0,1]
	v_pk_add_f32 v[98:99], v[98:99], v[236:237] neg_lo:[0,1] neg_hi:[0,1]
	s_delay_alu instid0(VALU_DEP_4)
	v_pk_add_f32 v[150:151], v[150:151], v[210:211] neg_lo:[0,1] neg_hi:[0,1]
	v_pk_fma_f32 v[210:211], v[212:213], v[142:143], v[230:231] op_sel_hi:[1,1,0] neg_lo:[0,0,1] neg_hi:[0,0,1]
	v_mov_b32_e32 v211, v209
	v_pk_fma_f32 v[208:209], v[214:215], v[226:227], v[224:225] op_sel:[0,0,1] op_sel_hi:[1,1,0] neg_lo:[0,0,1] neg_hi:[0,0,1]
	v_mov_b32_e32 v209, v207
	v_pk_mul_f32 v[206:207], v[216:217], v[228:229] op_sel:[0,1]
	s_wait_dscnt 0x0
	v_pk_mul_f32 v[212:213], v[218:219], v[228:229] op_sel:[0,1]
	v_dual_mov_b32 v214, v221 :: v_dual_mov_b32 v215, v220
	v_mul_f32_e32 v222, v221, v226
	v_pk_fma_f32 v[224:225], v[216:217], v[226:227], v[206:207] op_sel:[0,0,1] op_sel_hi:[1,0,0]
	v_pk_fma_f32 v[206:207], v[216:217], v[226:227], v[206:207] op_sel:[0,0,1] op_sel_hi:[1,1,0] neg_lo:[0,0,1] neg_hi:[0,0,1]
	v_pk_fma_f32 v[216:217], v[218:219], v[226:227], v[212:213] op_sel:[0,0,1] op_sel_hi:[1,0,0]
	v_pk_fma_f32 v[212:213], v[218:219], v[226:227], v[212:213] op_sel:[0,0,1] op_sel_hi:[1,1,0] neg_lo:[0,0,1] neg_hi:[0,0,1]
	v_pk_fma_f32 v[214:215], v[214:215], v[142:143], v[222:223] op_sel_hi:[1,1,0]
	v_mul_f32_e32 v216, v221, v229
	s_delay_alu instid0(VALU_DEP_4) | instskip(SKIP_2) | instid1(VALU_DEP_4)
	v_dual_mov_b32 v207, v225 :: v_dual_mov_b32 v213, v217
	v_pk_add_f32 v[146:147], v[146:147], v[210:211] neg_lo:[0,1] neg_hi:[0,1]
	v_pk_add_f32 v[158:159], v[158:159], v[208:209] neg_lo:[0,1] neg_hi:[0,1]
	v_pk_fma_f32 v[216:217], v[220:221], v[142:143], v[216:217] op_sel_hi:[1,1,0] neg_lo:[0,0,1] neg_hi:[0,0,1]
	v_mov_b32_e32 v217, v215
	v_pk_add_f32 v[156:157], v[156:157], v[206:207] neg_lo:[0,1] neg_hi:[0,1]
	v_pk_add_f32 v[154:155], v[154:155], v[212:213] neg_lo:[0,1] neg_hi:[0,1]
	s_delay_alu instid0(VALU_DEP_3)
	v_pk_add_f32 v[160:161], v[160:161], v[216:217] neg_lo:[0,1] neg_hi:[0,1]
.LBB79_199:
	s_or_b32 exec_lo, exec_lo, s1
	s_delay_alu instid0(SALU_CYCLE_1)
	s_mov_b32 s2, exec_lo
	s_wait_dscnt 0x0
	s_barrier_signal -1
	s_barrier_wait -1
	v_cmpx_eq_u32_e32 22, v242
	s_cbranch_execz .LBB79_206
; %bb.200:
	ds_store_b64 v243, v[144:145]
	ds_store_2addr_b64 v244, v[140:141], v[100:101] offset0:23 offset1:24
	ds_store_2addr_b64 v244, v[96:97], v[98:99] offset0:25 offset1:26
	;; [unrolled: 1-line block ×8, first 2 shown]
	ds_store_b64 v244, v[160:161] offset:312
	ds_load_b64 v[206:207], v243
	s_wait_dscnt 0x0
	v_cmp_neq_f32_e32 vcc_lo, 0, v206
	v_cmp_neq_f32_e64 s1, 0, v207
	s_or_b32 s1, vcc_lo, s1
	s_delay_alu instid0(SALU_CYCLE_1)
	s_and_b32 exec_lo, exec_lo, s1
	s_cbranch_execz .LBB79_206
; %bb.201:
	v_cmp_ngt_f32_e64 s1, |v206|, |v207|
                                        ; implicit-def: $vgpr208_vgpr209
	s_and_saveexec_b32 s4, s1
	s_delay_alu instid0(SALU_CYCLE_1)
	s_xor_b32 s1, exec_lo, s4
	s_cbranch_execz .LBB79_203
; %bb.202:
	v_div_scale_f32 v0, null, v207, v207, v206
	v_div_scale_f32 v209, vcc_lo, v206, v207, v206
	s_delay_alu instid0(VALU_DEP_2) | instskip(SKIP_1) | instid1(TRANS32_DEP_1)
	v_rcp_f32_e32 v1, v0
	v_nop
	v_fma_f32 v208, -v0, v1, 1.0
	s_delay_alu instid0(VALU_DEP_1) | instskip(NEXT) | instid1(VALU_DEP_1)
	v_fmac_f32_e32 v1, v208, v1
	v_mul_f32_e32 v208, v209, v1
	s_delay_alu instid0(VALU_DEP_1) | instskip(NEXT) | instid1(VALU_DEP_1)
	v_fma_f32 v210, -v0, v208, v209
	v_fmac_f32_e32 v208, v210, v1
	s_delay_alu instid0(VALU_DEP_1) | instskip(NEXT) | instid1(VALU_DEP_1)
	v_fma_f32 v0, -v0, v208, v209
	v_div_fmas_f32 v0, v0, v1, v208
	s_delay_alu instid0(VALU_DEP_1) | instskip(NEXT) | instid1(VALU_DEP_1)
	v_div_fixup_f32 v0, v0, v207, v206
	v_fmac_f32_e32 v207, v206, v0
	s_delay_alu instid0(VALU_DEP_1) | instskip(SKIP_1) | instid1(VALU_DEP_2)
	v_div_scale_f32 v1, null, v207, v207, 1.0
	v_div_scale_f32 v209, vcc_lo, 1.0, v207, 1.0
	v_rcp_f32_e32 v206, v1
	v_nop
	s_delay_alu instid0(TRANS32_DEP_1) | instskip(NEXT) | instid1(VALU_DEP_1)
	v_fma_f32 v208, -v1, v206, 1.0
	v_fmac_f32_e32 v206, v208, v206
	s_delay_alu instid0(VALU_DEP_1) | instskip(NEXT) | instid1(VALU_DEP_1)
	v_mul_f32_e32 v208, v209, v206
	v_fma_f32 v210, -v1, v208, v209
	s_delay_alu instid0(VALU_DEP_1) | instskip(NEXT) | instid1(VALU_DEP_1)
	v_fmac_f32_e32 v208, v210, v206
	v_fma_f32 v1, -v1, v208, v209
	s_delay_alu instid0(VALU_DEP_1) | instskip(NEXT) | instid1(VALU_DEP_1)
	v_div_fmas_f32 v1, v1, v206, v208
	v_div_fixup_f32 v1, v1, v207, 1.0
                                        ; implicit-def: $vgpr206_vgpr207
	s_delay_alu instid0(VALU_DEP_1)
	v_mul_f32_e32 v208, v0, v1
	v_xor_b32_e32 v209, 0x80000000, v1
.LBB79_203:
	s_and_not1_saveexec_b32 s1, s1
	s_cbranch_execz .LBB79_205
; %bb.204:
	v_div_scale_f32 v0, null, v206, v206, v207
	v_div_scale_f32 v209, vcc_lo, v207, v206, v207
	s_delay_alu instid0(VALU_DEP_2) | instskip(SKIP_1) | instid1(TRANS32_DEP_1)
	v_rcp_f32_e32 v1, v0
	v_nop
	v_fma_f32 v208, -v0, v1, 1.0
	s_delay_alu instid0(VALU_DEP_1) | instskip(NEXT) | instid1(VALU_DEP_1)
	v_fmac_f32_e32 v1, v208, v1
	v_mul_f32_e32 v208, v209, v1
	s_delay_alu instid0(VALU_DEP_1) | instskip(NEXT) | instid1(VALU_DEP_1)
	v_fma_f32 v210, -v0, v208, v209
	v_fmac_f32_e32 v208, v210, v1
	s_delay_alu instid0(VALU_DEP_1) | instskip(NEXT) | instid1(VALU_DEP_1)
	v_fma_f32 v0, -v0, v208, v209
	v_div_fmas_f32 v0, v0, v1, v208
	s_delay_alu instid0(VALU_DEP_1) | instskip(NEXT) | instid1(VALU_DEP_1)
	v_div_fixup_f32 v0, v0, v206, v207
	v_fmac_f32_e32 v206, v207, v0
	s_delay_alu instid0(VALU_DEP_1) | instskip(NEXT) | instid1(VALU_DEP_1)
	v_div_scale_f32 v1, null, v206, v206, 1.0
	v_rcp_f32_e32 v207, v1
	v_nop
	s_delay_alu instid0(TRANS32_DEP_1) | instskip(NEXT) | instid1(VALU_DEP_1)
	v_fma_f32 v208, -v1, v207, 1.0
	v_fmac_f32_e32 v207, v208, v207
	v_div_scale_f32 v208, vcc_lo, 1.0, v206, 1.0
	s_delay_alu instid0(VALU_DEP_1) | instskip(NEXT) | instid1(VALU_DEP_1)
	v_mul_f32_e32 v209, v208, v207
	v_fma_f32 v210, -v1, v209, v208
	s_delay_alu instid0(VALU_DEP_1) | instskip(NEXT) | instid1(VALU_DEP_1)
	v_fmac_f32_e32 v209, v210, v207
	v_fma_f32 v1, -v1, v209, v208
	s_delay_alu instid0(VALU_DEP_1) | instskip(NEXT) | instid1(VALU_DEP_1)
	v_div_fmas_f32 v1, v1, v207, v209
	v_div_fixup_f32 v208, v1, v206, 1.0
	s_delay_alu instid0(VALU_DEP_1)
	v_mul_f32_e64 v209, v0, -v208
.LBB79_205:
	s_or_b32 exec_lo, exec_lo, s1
	ds_store_b64 v243, v[208:209]
.LBB79_206:
	s_or_b32 exec_lo, exec_lo, s2
	s_wait_dscnt 0x0
	s_barrier_signal -1
	s_barrier_wait -1
	ds_load_b64 v[206:207], v243
	s_mov_b32 s1, exec_lo
	v_cmpx_lt_u32_e32 22, v242
	s_cbranch_execz .LBB79_208
; %bb.207:
	ds_load_2addr_b64 v[208:211], v244 offset0:23 offset1:24
	ds_load_2addr_b64 v[212:215], v244 offset0:25 offset1:26
	;; [unrolled: 1-line block ×3, first 2 shown]
	s_wait_dscnt 0x3
	v_pk_mul_f32 v[220:221], v[206:207], v[144:145] op_sel:[1,1] op_sel_hi:[0,1]
	s_delay_alu instid0(VALU_DEP_1)
	v_pk_fma_f32 v[230:231], v[206:207], v[144:145], v[220:221] op_sel_hi:[1,0,1]
	v_pk_fma_f32 v[228:229], v[206:207], v[144:145], v[220:221] op_sel_hi:[1,0,1] neg_lo:[0,0,1] neg_hi:[0,0,1]
	ds_load_2addr_b64 v[220:223], v244 offset0:29 offset1:30
	ds_load_2addr_b64 v[224:227], v244 offset0:31 offset1:32
	v_dual_mov_b32 v145, v231 :: v_dual_mov_b32 v144, v228
	s_wait_dscnt 0x4
	v_pk_mul_f32 v[232:233], v[208:209], v[230:231] op_sel:[0,1]
	v_pk_mul_f32 v[234:235], v[210:211], v[230:231] op_sel:[0,1]
	s_wait_dscnt 0x3
	v_pk_mul_f32 v[236:237], v[212:213], v[230:231] op_sel:[0,1]
	v_dual_mov_b32 v238, v215 :: v_dual_mov_b32 v239, v214
	v_dual_mul_f32 v240, v215, v231 :: v_dual_mul_f32 v246, v215, v228
	s_wait_dscnt 0x2
	v_pk_mul_f32 v[248:249], v[216:217], v[230:231] op_sel:[0,1]
	v_pk_fma_f32 v[252:253], v[208:209], v[228:229], v[232:233] op_sel:[0,0,1] op_sel_hi:[1,1,0] neg_lo:[0,0,1] neg_hi:[0,0,1]
	v_pk_fma_f32 v[208:209], v[208:209], v[228:229], v[232:233] op_sel:[0,0,1] op_sel_hi:[1,0,0]
	v_pk_mul_f32 v[250:251], v[218:219], v[230:231] op_sel:[0,1]
	v_pk_fma_f32 v[232:233], v[210:211], v[228:229], v[234:235] op_sel:[0,0,1] op_sel_hi:[1,1,0] neg_lo:[0,0,1] neg_hi:[0,0,1]
	v_pk_fma_f32 v[210:211], v[210:211], v[228:229], v[234:235] op_sel:[0,0,1] op_sel_hi:[1,0,0]
	v_pk_fma_f32 v[234:235], v[212:213], v[228:229], v[236:237] op_sel:[0,0,1] op_sel_hi:[1,1,0] neg_lo:[0,0,1] neg_hi:[0,0,1]
	v_pk_fma_f32 v[212:213], v[212:213], v[228:229], v[236:237] op_sel:[0,0,1] op_sel_hi:[1,0,0]
	v_pk_fma_f32 v[236:237], v[238:239], v[144:145], v[246:247] op_sel_hi:[1,1,0]
	s_delay_alu instid0(VALU_DEP_4)
	v_dual_mov_b32 v253, v209 :: v_dual_mov_b32 v233, v211
	v_pk_fma_f32 v[208:209], v[216:217], v[228:229], v[248:249] op_sel:[0,0,1] op_sel_hi:[1,0,0]
	v_pk_fma_f32 v[214:215], v[214:215], v[144:145], v[240:241] op_sel_hi:[1,1,0] neg_lo:[0,0,1] neg_hi:[0,0,1]
	v_pk_fma_f32 v[238:239], v[216:217], v[228:229], v[248:249] op_sel:[0,0,1] op_sel_hi:[1,1,0] neg_lo:[0,0,1] neg_hi:[0,0,1]
	v_dual_mov_b32 v235, v213 :: v_dual_mov_b32 v215, v237
	v_pk_fma_f32 v[212:213], v[218:219], v[228:229], v[250:251] op_sel:[0,0,1] op_sel_hi:[1,0,0]
	v_mov_b32_e32 v239, v209
	v_pk_fma_f32 v[216:217], v[218:219], v[228:229], v[250:251] op_sel:[0,0,1] op_sel_hi:[1,1,0] neg_lo:[0,0,1] neg_hi:[0,0,1]
	s_wait_dscnt 0x1
	v_pk_mul_f32 v[218:219], v[220:221], v[230:231] op_sel:[0,1]
	ds_load_2addr_b64 v[208:211], v244 offset0:33 offset1:34
	v_mov_b32_e32 v217, v213
	v_pk_mul_f32 v[212:213], v[222:223], v[230:231] op_sel:[0,1]
	v_pk_add_f32 v[98:99], v[98:99], v[214:215] neg_lo:[0,1] neg_hi:[0,1]
	v_pk_fma_f32 v[214:215], v[220:221], v[228:229], v[218:219] op_sel:[0,0,1] op_sel_hi:[1,0,0]
	v_pk_fma_f32 v[218:219], v[220:221], v[228:229], v[218:219] op_sel:[0,0,1] op_sel_hi:[1,1,0] neg_lo:[0,0,1] neg_hi:[0,0,1]
	v_pk_add_f32 v[128:129], v[128:129], v[216:217] neg_lo:[0,1] neg_hi:[0,1]
	v_pk_fma_f32 v[216:217], v[222:223], v[228:229], v[212:213] op_sel:[0,0,1] op_sel_hi:[1,0,0]
	v_pk_fma_f32 v[220:221], v[222:223], v[228:229], v[212:213] op_sel:[0,0,1] op_sel_hi:[1,1,0] neg_lo:[0,0,1] neg_hi:[0,0,1]
	s_wait_dscnt 0x1
	v_dual_mov_b32 v219, v215 :: v_dual_mul_f32 v216, v225, v228
	ds_load_2addr_b64 v[212:215], v244 offset0:35 offset1:36
	v_mov_b32_e32 v221, v217
	v_mul_f32_e32 v222, v225, v231
	v_pk_add_f32 v[124:125], v[124:125], v[218:219] neg_lo:[0,1] neg_hi:[0,1]
	v_pk_mul_f32 v[218:219], v[226:227], v[230:231] op_sel:[0,1]
	v_pk_add_f32 v[100:101], v[100:101], v[232:233] neg_lo:[0,1] neg_hi:[0,1]
	v_pk_fma_f32 v[216:217], v[224:225], v[144:145], v[216:217] op_sel:[1,0,0] op_sel_hi:[0,1,0]
	v_pk_add_f32 v[126:127], v[126:127], v[220:221] neg_lo:[0,1] neg_hi:[0,1]
	v_pk_fma_f32 v[220:221], v[224:225], v[144:145], v[222:223] op_sel_hi:[1,1,0] neg_lo:[0,0,1] neg_hi:[0,0,1]
	v_pk_fma_f32 v[224:225], v[226:227], v[228:229], v[218:219] op_sel:[0,0,1] op_sel_hi:[1,0,0]
	s_wait_dscnt 0x1
	v_pk_mul_f32 v[232:233], v[210:211], v[230:231] op_sel:[0,1]
	v_pk_mul_f32 v[222:223], v[208:209], v[230:231] op_sel:[0,1]
	v_pk_fma_f32 v[226:227], v[226:227], v[228:229], v[218:219] op_sel:[0,0,1] op_sel_hi:[1,1,0] neg_lo:[0,0,1] neg_hi:[0,0,1]
	v_pk_add_f32 v[96:97], v[96:97], v[234:235] neg_lo:[0,1] neg_hi:[0,1]
	v_mov_b32_e32 v227, v225
	v_pk_fma_f32 v[224:225], v[210:211], v[228:229], v[232:233] op_sel:[0,0,1] op_sel_hi:[1,0,0]
	v_mov_b32_e32 v221, v217
	ds_load_2addr_b64 v[216:219], v244 offset0:37 offset1:38
	v_pk_fma_f32 v[234:235], v[208:209], v[228:229], v[222:223] op_sel:[0,0,1] op_sel_hi:[1,0,0]
	v_pk_fma_f32 v[208:209], v[208:209], v[228:229], v[222:223] op_sel:[0,0,1] op_sel_hi:[1,1,0] neg_lo:[0,0,1] neg_hi:[0,0,1]
	ds_load_b64 v[222:223], v244 offset:312
	v_pk_fma_f32 v[210:211], v[210:211], v[228:229], v[232:233] op_sel:[0,0,1] op_sel_hi:[1,1,0] neg_lo:[0,0,1] neg_hi:[0,0,1]
	v_dual_mov_b32 v211, v225 :: v_dual_mov_b32 v209, v235
	s_wait_dscnt 0x2
	v_pk_mul_f32 v[224:225], v[212:213], v[230:231] op_sel:[0,1]
	v_pk_add_f32 v[122:123], v[122:123], v[220:221] neg_lo:[0,1] neg_hi:[0,1]
	v_mul_f32_e32 v220, v215, v231
	v_pk_add_f32 v[150:151], v[150:151], v[210:211] neg_lo:[0,1] neg_hi:[0,1]
	v_pk_add_f32 v[148:149], v[148:149], v[208:209] neg_lo:[0,1] neg_hi:[0,1]
	v_pk_fma_f32 v[208:209], v[212:213], v[228:229], v[224:225] op_sel:[0,0,1] op_sel_hi:[1,0,0]
	v_dual_mov_b32 v210, v215 :: v_dual_mov_b32 v211, v214
	v_mul_f32_e32 v208, v215, v228
	v_pk_fma_f32 v[212:213], v[212:213], v[228:229], v[224:225] op_sel:[0,0,1] op_sel_hi:[1,1,0] neg_lo:[0,0,1] neg_hi:[0,0,1]
	s_delay_alu instid0(VALU_DEP_4)
	v_mov_b32_e32 v213, v209
	v_pk_fma_f32 v[214:215], v[214:215], v[144:145], v[220:221] op_sel_hi:[1,1,0] neg_lo:[0,0,1] neg_hi:[0,0,1]
	v_pk_add_f32 v[152:153], v[152:153], v[226:227] neg_lo:[0,1] neg_hi:[0,1]
	s_wait_dscnt 0x1
	v_pk_mul_f32 v[224:225], v[216:217], v[230:231] op_sel:[0,1]
	v_pk_fma_f32 v[208:209], v[210:211], v[144:145], v[208:209] op_sel_hi:[1,1,0]
	v_pk_mul_f32 v[210:211], v[218:219], v[230:231] op_sel:[0,1]
	s_wait_dscnt 0x0
	v_pk_mul_f32 v[220:221], v[222:223], v[230:231] op_sel:[0,1]
	v_pk_add_f32 v[140:141], v[140:141], v[252:253] neg_lo:[0,1] neg_hi:[0,1]
	v_pk_fma_f32 v[226:227], v[216:217], v[228:229], v[224:225] op_sel:[0,0,1] op_sel_hi:[1,0,0]
	v_mov_b32_e32 v215, v209
	v_pk_fma_f32 v[208:209], v[218:219], v[228:229], v[210:211] op_sel:[0,0,1] op_sel_hi:[1,0,0]
	v_pk_fma_f32 v[216:217], v[216:217], v[228:229], v[224:225] op_sel:[0,0,1] op_sel_hi:[1,1,0] neg_lo:[0,0,1] neg_hi:[0,0,1]
	v_pk_fma_f32 v[224:225], v[222:223], v[228:229], v[220:221] op_sel:[0,0,1] op_sel_hi:[1,0,0]
	v_pk_fma_f32 v[210:211], v[218:219], v[228:229], v[210:211] op_sel:[0,0,1] op_sel_hi:[1,1,0] neg_lo:[0,0,1] neg_hi:[0,0,1]
	s_delay_alu instid0(VALU_DEP_4) | instskip(SKIP_1) | instid1(VALU_DEP_4)
	v_dual_mov_b32 v217, v227 :: v_dual_mov_b32 v211, v209
	v_pk_fma_f32 v[208:209], v[222:223], v[228:229], v[220:221] op_sel:[0,0,1] op_sel_hi:[1,1,0] neg_lo:[0,0,1] neg_hi:[0,0,1]
	v_mov_b32_e32 v209, v225
	v_pk_add_f32 v[94:95], v[94:95], v[238:239] neg_lo:[0,1] neg_hi:[0,1]
	v_pk_add_f32 v[146:147], v[146:147], v[212:213] neg_lo:[0,1] neg_hi:[0,1]
	;; [unrolled: 1-line block ×6, first 2 shown]
.LBB79_208:
	s_or_b32 exec_lo, exec_lo, s1
	s_delay_alu instid0(SALU_CYCLE_1)
	s_mov_b32 s2, exec_lo
	s_wait_dscnt 0x0
	s_barrier_signal -1
	s_barrier_wait -1
	v_cmpx_eq_u32_e32 23, v242
	s_cbranch_execz .LBB79_215
; %bb.209:
	v_dual_mov_b32 v208, v100 :: v_dual_mov_b32 v209, v101
	v_dual_mov_b32 v210, v96 :: v_dual_mov_b32 v211, v97
	;; [unrolled: 1-line block ×4, first 2 shown]
	ds_store_b64 v243, v[140:141]
	ds_store_2addr_b64 v244, v[208:209], v[210:211] offset0:24 offset1:25
	ds_store_2addr_b64 v244, v[212:213], v[214:215] offset0:26 offset1:27
	v_dual_mov_b32 v208, v128 :: v_dual_mov_b32 v209, v129
	v_dual_mov_b32 v210, v124 :: v_dual_mov_b32 v211, v125
	;; [unrolled: 1-line block ×11, first 2 shown]
	ds_store_2addr_b64 v244, v[208:209], v[210:211] offset0:28 offset1:29
	ds_store_2addr_b64 v244, v[212:213], v[214:215] offset0:30 offset1:31
	;; [unrolled: 1-line block ×6, first 2 shown]
	ds_load_b64 v[208:209], v243
	s_wait_dscnt 0x0
	v_cmp_neq_f32_e32 vcc_lo, 0, v208
	v_cmp_neq_f32_e64 s1, 0, v209
	s_or_b32 s1, vcc_lo, s1
	s_delay_alu instid0(SALU_CYCLE_1)
	s_and_b32 exec_lo, exec_lo, s1
	s_cbranch_execz .LBB79_215
; %bb.210:
	v_cmp_ngt_f32_e64 s1, |v208|, |v209|
                                        ; implicit-def: $vgpr210_vgpr211
	s_and_saveexec_b32 s4, s1
	s_delay_alu instid0(SALU_CYCLE_1)
	s_xor_b32 s1, exec_lo, s4
	s_cbranch_execz .LBB79_212
; %bb.211:
	v_div_scale_f32 v0, null, v209, v209, v208
	v_div_scale_f32 v211, vcc_lo, v208, v209, v208
	s_delay_alu instid0(VALU_DEP_2) | instskip(SKIP_1) | instid1(TRANS32_DEP_1)
	v_rcp_f32_e32 v1, v0
	v_nop
	v_fma_f32 v210, -v0, v1, 1.0
	s_delay_alu instid0(VALU_DEP_1) | instskip(NEXT) | instid1(VALU_DEP_1)
	v_fmac_f32_e32 v1, v210, v1
	v_mul_f32_e32 v210, v211, v1
	s_delay_alu instid0(VALU_DEP_1) | instskip(NEXT) | instid1(VALU_DEP_1)
	v_fma_f32 v212, -v0, v210, v211
	v_fmac_f32_e32 v210, v212, v1
	s_delay_alu instid0(VALU_DEP_1) | instskip(NEXT) | instid1(VALU_DEP_1)
	v_fma_f32 v0, -v0, v210, v211
	v_div_fmas_f32 v0, v0, v1, v210
	s_delay_alu instid0(VALU_DEP_1) | instskip(NEXT) | instid1(VALU_DEP_1)
	v_div_fixup_f32 v0, v0, v209, v208
	v_fmac_f32_e32 v209, v208, v0
	s_delay_alu instid0(VALU_DEP_1) | instskip(SKIP_1) | instid1(VALU_DEP_2)
	v_div_scale_f32 v1, null, v209, v209, 1.0
	v_div_scale_f32 v211, vcc_lo, 1.0, v209, 1.0
	v_rcp_f32_e32 v208, v1
	v_nop
	s_delay_alu instid0(TRANS32_DEP_1) | instskip(NEXT) | instid1(VALU_DEP_1)
	v_fma_f32 v210, -v1, v208, 1.0
	v_fmac_f32_e32 v208, v210, v208
	s_delay_alu instid0(VALU_DEP_1) | instskip(NEXT) | instid1(VALU_DEP_1)
	v_mul_f32_e32 v210, v211, v208
	v_fma_f32 v212, -v1, v210, v211
	s_delay_alu instid0(VALU_DEP_1) | instskip(NEXT) | instid1(VALU_DEP_1)
	v_fmac_f32_e32 v210, v212, v208
	v_fma_f32 v1, -v1, v210, v211
	s_delay_alu instid0(VALU_DEP_1) | instskip(NEXT) | instid1(VALU_DEP_1)
	v_div_fmas_f32 v1, v1, v208, v210
	v_div_fixup_f32 v1, v1, v209, 1.0
                                        ; implicit-def: $vgpr208_vgpr209
	s_delay_alu instid0(VALU_DEP_1)
	v_mul_f32_e32 v210, v0, v1
	v_xor_b32_e32 v211, 0x80000000, v1
.LBB79_212:
	s_and_not1_saveexec_b32 s1, s1
	s_cbranch_execz .LBB79_214
; %bb.213:
	v_div_scale_f32 v0, null, v208, v208, v209
	v_div_scale_f32 v211, vcc_lo, v209, v208, v209
	s_delay_alu instid0(VALU_DEP_2) | instskip(SKIP_1) | instid1(TRANS32_DEP_1)
	v_rcp_f32_e32 v1, v0
	v_nop
	v_fma_f32 v210, -v0, v1, 1.0
	s_delay_alu instid0(VALU_DEP_1) | instskip(NEXT) | instid1(VALU_DEP_1)
	v_fmac_f32_e32 v1, v210, v1
	v_mul_f32_e32 v210, v211, v1
	s_delay_alu instid0(VALU_DEP_1) | instskip(NEXT) | instid1(VALU_DEP_1)
	v_fma_f32 v212, -v0, v210, v211
	v_fmac_f32_e32 v210, v212, v1
	s_delay_alu instid0(VALU_DEP_1) | instskip(NEXT) | instid1(VALU_DEP_1)
	v_fma_f32 v0, -v0, v210, v211
	v_div_fmas_f32 v0, v0, v1, v210
	s_delay_alu instid0(VALU_DEP_1) | instskip(NEXT) | instid1(VALU_DEP_1)
	v_div_fixup_f32 v0, v0, v208, v209
	v_fmac_f32_e32 v208, v209, v0
	s_delay_alu instid0(VALU_DEP_1) | instskip(NEXT) | instid1(VALU_DEP_1)
	v_div_scale_f32 v1, null, v208, v208, 1.0
	v_rcp_f32_e32 v209, v1
	v_nop
	s_delay_alu instid0(TRANS32_DEP_1) | instskip(NEXT) | instid1(VALU_DEP_1)
	v_fma_f32 v210, -v1, v209, 1.0
	v_fmac_f32_e32 v209, v210, v209
	v_div_scale_f32 v210, vcc_lo, 1.0, v208, 1.0
	s_delay_alu instid0(VALU_DEP_1) | instskip(NEXT) | instid1(VALU_DEP_1)
	v_mul_f32_e32 v211, v210, v209
	v_fma_f32 v212, -v1, v211, v210
	s_delay_alu instid0(VALU_DEP_1) | instskip(NEXT) | instid1(VALU_DEP_1)
	v_fmac_f32_e32 v211, v212, v209
	v_fma_f32 v1, -v1, v211, v210
	s_delay_alu instid0(VALU_DEP_1) | instskip(NEXT) | instid1(VALU_DEP_1)
	v_div_fmas_f32 v1, v1, v209, v211
	v_div_fixup_f32 v210, v1, v208, 1.0
	s_delay_alu instid0(VALU_DEP_1)
	v_mul_f32_e64 v211, v0, -v210
.LBB79_214:
	s_or_b32 exec_lo, exec_lo, s1
	ds_store_b64 v243, v[210:211]
.LBB79_215:
	s_or_b32 exec_lo, exec_lo, s2
	s_wait_dscnt 0x0
	s_barrier_signal -1
	s_barrier_wait -1
	ds_load_b64 v[208:209], v243
	s_mov_b32 s1, exec_lo
	v_cmpx_lt_u32_e32 23, v242
	s_cbranch_execz .LBB79_217
; %bb.216:
	ds_load_2addr_b64 v[210:213], v244 offset0:24 offset1:25
	ds_load_2addr_b64 v[214:217], v244 offset0:26 offset1:27
	;; [unrolled: 1-line block ×3, first 2 shown]
	s_wait_dscnt 0x3
	v_pk_mul_f32 v[222:223], v[208:209], v[140:141] op_sel:[1,1] op_sel_hi:[0,1]
	s_delay_alu instid0(VALU_DEP_1)
	v_pk_fma_f32 v[230:231], v[208:209], v[140:141], v[222:223] op_sel_hi:[1,0,1] neg_lo:[0,0,1] neg_hi:[0,0,1]
	v_pk_fma_f32 v[232:233], v[208:209], v[140:141], v[222:223] op_sel_hi:[1,0,1]
	ds_load_2addr_b64 v[222:225], v244 offset0:30 offset1:31
	ds_load_2addr_b64 v[226:229], v244 offset0:32 offset1:33
	v_dual_mov_b32 v140, v230 :: v_dual_mov_b32 v141, v233
	s_wait_dscnt 0x4
	v_pk_mul_f32 v[234:235], v[210:211], v[232:233] op_sel:[0,1]
	v_pk_mul_f32 v[236:237], v[212:213], v[232:233] op_sel:[0,1]
	s_wait_dscnt 0x3
	v_pk_mul_f32 v[238:239], v[214:215], v[232:233] op_sel:[0,1]
	v_dual_mov_b32 v240, v217 :: v_dual_mov_b32 v241, v216
	v_dual_mul_f32 v246, v217, v233 :: v_dual_mul_f32 v248, v217, v230
	s_wait_dscnt 0x2
	v_pk_mul_f32 v[250:251], v[218:219], v[232:233] op_sel:[0,1]
	v_pk_fma_f32 v[254:255], v[210:211], v[230:231], v[234:235] op_sel:[0,0,1] op_sel_hi:[1,1,0] neg_lo:[0,0,1] neg_hi:[0,0,1]
	v_pk_fma_f32 v[210:211], v[210:211], v[230:231], v[234:235] op_sel:[0,0,1] op_sel_hi:[1,0,0]
	v_pk_fma_f32 v[234:235], v[212:213], v[230:231], v[236:237] op_sel:[0,0,1] op_sel_hi:[1,1,0] neg_lo:[0,0,1] neg_hi:[0,0,1]
	v_pk_fma_f32 v[212:213], v[212:213], v[230:231], v[236:237] op_sel:[0,0,1] op_sel_hi:[1,0,0]
	v_pk_mul_f32 v[252:253], v[220:221], v[232:233] op_sel:[0,1]
	v_pk_fma_f32 v[236:237], v[214:215], v[230:231], v[238:239] op_sel:[0,0,1] op_sel_hi:[1,1,0] neg_lo:[0,0,1] neg_hi:[0,0,1]
	v_pk_fma_f32 v[214:215], v[214:215], v[230:231], v[238:239] op_sel:[0,0,1] op_sel_hi:[1,0,0]
	v_pk_fma_f32 v[238:239], v[240:241], v[140:141], v[248:249] op_sel_hi:[1,1,0]
	v_dual_mov_b32 v255, v211 :: v_dual_mov_b32 v235, v213
	v_pk_fma_f32 v[210:211], v[218:219], v[230:231], v[250:251] op_sel:[0,0,1] op_sel_hi:[1,0,0]
	v_pk_fma_f32 v[240:241], v[218:219], v[230:231], v[250:251] op_sel:[0,0,1] op_sel_hi:[1,1,0] neg_lo:[0,0,1] neg_hi:[0,0,1]
	v_mov_b32_e32 v237, v215
	v_pk_fma_f32 v[214:215], v[220:221], v[230:231], v[252:253] op_sel:[0,0,1] op_sel_hi:[1,0,0]
	s_wait_dscnt 0x1
	v_pk_mul_f32 v[218:219], v[222:223], v[232:233] op_sel:[0,1]
	v_pk_fma_f32 v[216:217], v[216:217], v[140:141], v[246:247] op_sel_hi:[1,1,0] neg_lo:[0,0,1] neg_hi:[0,0,1]
	v_mov_b32_e32 v217, v239
	v_pk_add_f32 v[96:97], v[96:97], v[234:235] neg_lo:[0,1] neg_hi:[0,1]
	v_mov_b32_e32 v241, v211
	ds_load_2addr_b64 v[210:213], v244 offset0:34 offset1:35
	v_pk_fma_f32 v[220:221], v[220:221], v[230:231], v[252:253] op_sel:[0,0,1] op_sel_hi:[1,1,0] neg_lo:[0,0,1] neg_hi:[0,0,1]
	v_pk_mul_f32 v[234:235], v[224:225], v[232:233] op_sel:[0,1]
	v_mov_b32_e32 v221, v215
	v_pk_fma_f32 v[214:215], v[222:223], v[230:231], v[218:219] op_sel:[0,0,1] op_sel_hi:[1,0,0]
	v_pk_add_f32 v[94:95], v[94:95], v[216:217] neg_lo:[0,1] neg_hi:[0,1]
	v_pk_fma_f32 v[218:219], v[222:223], v[230:231], v[218:219] op_sel:[0,0,1] op_sel_hi:[1,1,0] neg_lo:[0,0,1] neg_hi:[0,0,1]
	v_pk_fma_f32 v[216:217], v[224:225], v[230:231], v[234:235] op_sel:[0,0,1] op_sel_hi:[1,0,0]
	v_pk_add_f32 v[124:125], v[124:125], v[220:221] neg_lo:[0,1] neg_hi:[0,1]
	v_mov_b32_e32 v219, v215
	v_pk_fma_f32 v[220:221], v[224:225], v[230:231], v[234:235] op_sel:[0,0,1] op_sel_hi:[1,1,0] neg_lo:[0,0,1] neg_hi:[0,0,1]
	s_wait_dscnt 0x1
	v_dual_mul_f32 v222, v227, v230 :: v_dual_mov_b32 v221, v217
	ds_load_2addr_b64 v[214:217], v244 offset0:36 offset1:37
	v_pk_add_f32 v[126:127], v[126:127], v[218:219] neg_lo:[0,1] neg_hi:[0,1]
	v_mul_f32_e32 v218, v227, v233
	v_pk_fma_f32 v[222:223], v[226:227], v[140:141], v[222:223] op_sel:[1,0,0] op_sel_hi:[0,1,0]
	v_pk_add_f32 v[122:123], v[122:123], v[220:221] neg_lo:[0,1] neg_hi:[0,1]
	v_pk_mul_f32 v[224:225], v[228:229], v[232:233] op_sel:[0,1]
	v_pk_add_f32 v[98:99], v[98:99], v[236:237] neg_lo:[0,1] neg_hi:[0,1]
	v_pk_fma_f32 v[226:227], v[226:227], v[140:141], v[218:219] op_sel_hi:[1,1,0] neg_lo:[0,0,1] neg_hi:[0,0,1]
	ds_load_2addr_b64 v[218:221], v244 offset0:38 offset1:39
	s_wait_dscnt 0x2
	v_pk_mul_f32 v[234:235], v[210:211], v[232:233] op_sel:[0,1]
	v_pk_fma_f32 v[236:237], v[228:229], v[230:231], v[224:225] op_sel:[0,0,1] op_sel_hi:[1,0,0]
	v_mov_b32_e32 v227, v223
	v_pk_fma_f32 v[224:225], v[228:229], v[230:231], v[224:225] op_sel:[0,0,1] op_sel_hi:[1,1,0] neg_lo:[0,0,1] neg_hi:[0,0,1]
	v_pk_mul_f32 v[228:229], v[212:213], v[232:233] op_sel:[0,1]
	v_pk_fma_f32 v[222:223], v[210:211], v[230:231], v[234:235] op_sel:[0,0,1] op_sel_hi:[1,0,0]
	v_pk_fma_f32 v[210:211], v[210:211], v[230:231], v[234:235] op_sel:[0,0,1] op_sel_hi:[1,1,0] neg_lo:[0,0,1] neg_hi:[0,0,1]
	v_mov_b32_e32 v225, v237
	v_pk_add_f32 v[152:153], v[152:153], v[226:227] neg_lo:[0,1] neg_hi:[0,1]
	v_pk_add_f32 v[100:101], v[100:101], v[254:255] neg_lo:[0,1] neg_hi:[0,1]
	v_mov_b32_e32 v211, v223
	s_wait_dscnt 0x1
	v_pk_mul_f32 v[226:227], v[214:215], v[232:233] op_sel:[0,1]
	v_pk_fma_f32 v[222:223], v[212:213], v[230:231], v[228:229] op_sel:[0,0,1] op_sel_hi:[1,0,0]
	v_mov_b32_e32 v222, v217
	v_pk_add_f32 v[148:149], v[148:149], v[224:225] neg_lo:[0,1] neg_hi:[0,1]
	v_pk_add_f32 v[150:151], v[150:151], v[210:211] neg_lo:[0,1] neg_hi:[0,1]
	v_pk_fma_f32 v[210:211], v[212:213], v[230:231], v[228:229] op_sel:[0,0,1] op_sel_hi:[1,1,0] neg_lo:[0,0,1] neg_hi:[0,0,1]
	v_pk_fma_f32 v[212:213], v[214:215], v[230:231], v[226:227] op_sel:[0,0,1] op_sel_hi:[1,1,0] neg_lo:[0,0,1] neg_hi:[0,0,1]
	v_pk_fma_f32 v[214:215], v[214:215], v[230:231], v[226:227] op_sel:[0,0,1] op_sel_hi:[1,0,0]
	v_dual_mov_b32 v211, v223 :: v_dual_mov_b32 v223, v216
	v_dual_mul_f32 v224, v217, v230 :: v_dual_mul_f32 v214, v217, v233
	s_wait_dscnt 0x0
	v_pk_mul_f32 v[226:227], v[218:219], v[232:233] op_sel:[0,1]
	v_pk_mul_f32 v[228:229], v[220:221], v[232:233] op_sel:[0,1]
	v_pk_add_f32 v[128:129], v[128:129], v[240:241] neg_lo:[0,1] neg_hi:[0,1]
	v_pk_fma_f32 v[222:223], v[222:223], v[140:141], v[224:225] op_sel_hi:[1,1,0]
	v_mov_b32_e32 v213, v215
	v_pk_fma_f32 v[224:225], v[218:219], v[230:231], v[226:227] op_sel:[0,0,1] op_sel_hi:[1,0,0]
	v_pk_fma_f32 v[214:215], v[216:217], v[140:141], v[214:215] op_sel_hi:[1,1,0] neg_lo:[0,0,1] neg_hi:[0,0,1]
	v_pk_fma_f32 v[216:217], v[220:221], v[230:231], v[228:229] op_sel:[0,0,1] op_sel_hi:[1,0,0]
	v_pk_fma_f32 v[218:219], v[218:219], v[230:231], v[226:227] op_sel:[0,0,1] op_sel_hi:[1,1,0] neg_lo:[0,0,1] neg_hi:[0,0,1]
	v_pk_fma_f32 v[220:221], v[220:221], v[230:231], v[228:229] op_sel:[0,0,1] op_sel_hi:[1,1,0] neg_lo:[0,0,1] neg_hi:[0,0,1]
	v_dual_mov_b32 v215, v223 :: v_dual_mov_b32 v219, v225
	s_delay_alu instid0(VALU_DEP_4) | instskip(SKIP_2) | instid1(VALU_DEP_4)
	v_mov_b32_e32 v221, v217
	v_pk_add_f32 v[146:147], v[146:147], v[210:211] neg_lo:[0,1] neg_hi:[0,1]
	v_pk_add_f32 v[158:159], v[158:159], v[212:213] neg_lo:[0,1] neg_hi:[0,1]
	;; [unrolled: 1-line block ×5, first 2 shown]
.LBB79_217:
	s_or_b32 exec_lo, exec_lo, s1
	s_delay_alu instid0(SALU_CYCLE_1)
	s_mov_b32 s2, exec_lo
	s_wait_dscnt 0x0
	s_barrier_signal -1
	s_barrier_wait -1
	v_cmpx_eq_u32_e32 24, v242
	s_cbranch_execz .LBB79_224
; %bb.218:
	ds_store_b64 v243, v[100:101]
	ds_store_2addr_b64 v244, v[96:97], v[98:99] offset0:25 offset1:26
	ds_store_2addr_b64 v244, v[94:95], v[128:129] offset0:27 offset1:28
	;; [unrolled: 1-line block ×7, first 2 shown]
	ds_store_b64 v244, v[160:161] offset:312
	ds_load_b64 v[210:211], v243
	s_wait_dscnt 0x0
	v_cmp_neq_f32_e32 vcc_lo, 0, v210
	v_cmp_neq_f32_e64 s1, 0, v211
	s_or_b32 s1, vcc_lo, s1
	s_delay_alu instid0(SALU_CYCLE_1)
	s_and_b32 exec_lo, exec_lo, s1
	s_cbranch_execz .LBB79_224
; %bb.219:
	v_cmp_ngt_f32_e64 s1, |v210|, |v211|
                                        ; implicit-def: $vgpr212_vgpr213
	s_and_saveexec_b32 s4, s1
	s_delay_alu instid0(SALU_CYCLE_1)
	s_xor_b32 s1, exec_lo, s4
	s_cbranch_execz .LBB79_221
; %bb.220:
	v_div_scale_f32 v0, null, v211, v211, v210
	v_div_scale_f32 v213, vcc_lo, v210, v211, v210
	s_delay_alu instid0(VALU_DEP_2) | instskip(SKIP_1) | instid1(TRANS32_DEP_1)
	v_rcp_f32_e32 v1, v0
	v_nop
	v_fma_f32 v212, -v0, v1, 1.0
	s_delay_alu instid0(VALU_DEP_1) | instskip(NEXT) | instid1(VALU_DEP_1)
	v_fmac_f32_e32 v1, v212, v1
	v_mul_f32_e32 v212, v213, v1
	s_delay_alu instid0(VALU_DEP_1) | instskip(NEXT) | instid1(VALU_DEP_1)
	v_fma_f32 v214, -v0, v212, v213
	v_fmac_f32_e32 v212, v214, v1
	s_delay_alu instid0(VALU_DEP_1) | instskip(NEXT) | instid1(VALU_DEP_1)
	v_fma_f32 v0, -v0, v212, v213
	v_div_fmas_f32 v0, v0, v1, v212
	s_delay_alu instid0(VALU_DEP_1) | instskip(NEXT) | instid1(VALU_DEP_1)
	v_div_fixup_f32 v0, v0, v211, v210
	v_fmac_f32_e32 v211, v210, v0
	s_delay_alu instid0(VALU_DEP_1) | instskip(SKIP_1) | instid1(VALU_DEP_2)
	v_div_scale_f32 v1, null, v211, v211, 1.0
	v_div_scale_f32 v213, vcc_lo, 1.0, v211, 1.0
	v_rcp_f32_e32 v210, v1
	v_nop
	s_delay_alu instid0(TRANS32_DEP_1) | instskip(NEXT) | instid1(VALU_DEP_1)
	v_fma_f32 v212, -v1, v210, 1.0
	v_fmac_f32_e32 v210, v212, v210
	s_delay_alu instid0(VALU_DEP_1) | instskip(NEXT) | instid1(VALU_DEP_1)
	v_mul_f32_e32 v212, v213, v210
	v_fma_f32 v214, -v1, v212, v213
	s_delay_alu instid0(VALU_DEP_1) | instskip(NEXT) | instid1(VALU_DEP_1)
	v_fmac_f32_e32 v212, v214, v210
	v_fma_f32 v1, -v1, v212, v213
	s_delay_alu instid0(VALU_DEP_1) | instskip(NEXT) | instid1(VALU_DEP_1)
	v_div_fmas_f32 v1, v1, v210, v212
	v_div_fixup_f32 v1, v1, v211, 1.0
                                        ; implicit-def: $vgpr210_vgpr211
	s_delay_alu instid0(VALU_DEP_1)
	v_mul_f32_e32 v212, v0, v1
	v_xor_b32_e32 v213, 0x80000000, v1
.LBB79_221:
	s_and_not1_saveexec_b32 s1, s1
	s_cbranch_execz .LBB79_223
; %bb.222:
	v_div_scale_f32 v0, null, v210, v210, v211
	v_div_scale_f32 v213, vcc_lo, v211, v210, v211
	s_delay_alu instid0(VALU_DEP_2) | instskip(SKIP_1) | instid1(TRANS32_DEP_1)
	v_rcp_f32_e32 v1, v0
	v_nop
	v_fma_f32 v212, -v0, v1, 1.0
	s_delay_alu instid0(VALU_DEP_1) | instskip(NEXT) | instid1(VALU_DEP_1)
	v_fmac_f32_e32 v1, v212, v1
	v_mul_f32_e32 v212, v213, v1
	s_delay_alu instid0(VALU_DEP_1) | instskip(NEXT) | instid1(VALU_DEP_1)
	v_fma_f32 v214, -v0, v212, v213
	v_fmac_f32_e32 v212, v214, v1
	s_delay_alu instid0(VALU_DEP_1) | instskip(NEXT) | instid1(VALU_DEP_1)
	v_fma_f32 v0, -v0, v212, v213
	v_div_fmas_f32 v0, v0, v1, v212
	s_delay_alu instid0(VALU_DEP_1) | instskip(NEXT) | instid1(VALU_DEP_1)
	v_div_fixup_f32 v0, v0, v210, v211
	v_fmac_f32_e32 v210, v211, v0
	s_delay_alu instid0(VALU_DEP_1) | instskip(NEXT) | instid1(VALU_DEP_1)
	v_div_scale_f32 v1, null, v210, v210, 1.0
	v_rcp_f32_e32 v211, v1
	v_nop
	s_delay_alu instid0(TRANS32_DEP_1) | instskip(NEXT) | instid1(VALU_DEP_1)
	v_fma_f32 v212, -v1, v211, 1.0
	v_fmac_f32_e32 v211, v212, v211
	v_div_scale_f32 v212, vcc_lo, 1.0, v210, 1.0
	s_delay_alu instid0(VALU_DEP_1) | instskip(NEXT) | instid1(VALU_DEP_1)
	v_mul_f32_e32 v213, v212, v211
	v_fma_f32 v214, -v1, v213, v212
	s_delay_alu instid0(VALU_DEP_1) | instskip(NEXT) | instid1(VALU_DEP_1)
	v_fmac_f32_e32 v213, v214, v211
	v_fma_f32 v1, -v1, v213, v212
	s_delay_alu instid0(VALU_DEP_1) | instskip(NEXT) | instid1(VALU_DEP_1)
	v_div_fmas_f32 v1, v1, v211, v213
	v_div_fixup_f32 v212, v1, v210, 1.0
	s_delay_alu instid0(VALU_DEP_1)
	v_mul_f32_e64 v213, v0, -v212
.LBB79_223:
	s_or_b32 exec_lo, exec_lo, s1
	ds_store_b64 v243, v[212:213]
.LBB79_224:
	s_or_b32 exec_lo, exec_lo, s2
	s_wait_dscnt 0x0
	s_barrier_signal -1
	s_barrier_wait -1
	ds_load_b64 v[210:211], v243
	s_mov_b32 s1, exec_lo
	v_cmpx_lt_u32_e32 24, v242
	s_cbranch_execz .LBB79_226
; %bb.225:
	ds_load_2addr_b64 v[216:219], v244 offset0:25 offset1:26
	s_wait_dscnt 0x1
	v_pk_mul_f32 v[214:215], v[210:211], v[100:101] op_sel:[1,1] op_sel_hi:[0,1]
	s_delay_alu instid0(VALU_DEP_1) | instskip(SKIP_1) | instid1(VALU_DEP_1)
	v_pk_fma_f32 v[212:213], v[210:211], v[100:101], v[214:215] op_sel_hi:[1,0,1] neg_lo:[0,0,1] neg_hi:[0,0,1]
	v_pk_fma_f32 v[214:215], v[210:211], v[100:101], v[214:215] op_sel_hi:[1,0,1]
	v_dual_mov_b32 v100, v212 :: v_dual_mov_b32 v101, v215
	s_wait_dscnt 0x0
	s_delay_alu instid0(VALU_DEP_2) | instskip(NEXT) | instid1(VALU_DEP_1)
	v_pk_mul_f32 v[220:221], v[216:217], v[214:215] op_sel:[0,1]
	v_pk_fma_f32 v[222:223], v[216:217], v[212:213], v[220:221] op_sel:[0,0,1] op_sel_hi:[1,1,0] neg_lo:[0,0,1] neg_hi:[0,0,1]
	v_pk_fma_f32 v[216:217], v[216:217], v[212:213], v[220:221] op_sel:[0,0,1] op_sel_hi:[1,0,0]
	s_delay_alu instid0(VALU_DEP_1) | instskip(SKIP_1) | instid1(VALU_DEP_1)
	v_mov_b32_e32 v223, v217
	v_pk_mul_f32 v[216:217], v[218:219], v[214:215] op_sel:[0,1]
	v_pk_fma_f32 v[220:221], v[218:219], v[212:213], v[216:217] op_sel:[0,0,1] op_sel_hi:[1,1,0] neg_lo:[0,0,1] neg_hi:[0,0,1]
	v_pk_fma_f32 v[216:217], v[218:219], v[212:213], v[216:217] op_sel:[0,0,1] op_sel_hi:[1,0,0]
	s_delay_alu instid0(VALU_DEP_1)
	v_mov_b32_e32 v221, v217
	ds_load_2addr_b64 v[216:219], v244 offset0:27 offset1:28
	v_pk_add_f32 v[96:97], v[96:97], v[222:223] neg_lo:[0,1] neg_hi:[0,1]
	v_pk_add_f32 v[98:99], v[98:99], v[220:221] neg_lo:[0,1] neg_hi:[0,1]
	s_wait_dscnt 0x0
	v_pk_mul_f32 v[220:221], v[216:217], v[214:215] op_sel:[0,1]
	s_delay_alu instid0(VALU_DEP_1) | instskip(SKIP_2) | instid1(VALU_DEP_2)
	v_pk_fma_f32 v[222:223], v[216:217], v[212:213], v[220:221] op_sel:[0,0,1] op_sel_hi:[1,1,0] neg_lo:[0,0,1] neg_hi:[0,0,1]
	v_pk_fma_f32 v[216:217], v[216:217], v[212:213], v[220:221] op_sel:[0,0,1] op_sel_hi:[1,0,0]
	v_dual_mul_f32 v220, v219, v215 :: v_dual_mov_b32 v216, v219
	v_dual_mov_b32 v223, v217 :: v_dual_mov_b32 v217, v218
	s_delay_alu instid0(VALU_DEP_2) | instskip(SKIP_1) | instid1(VALU_DEP_3)
	v_pk_fma_f32 v[220:221], v[218:219], v[100:101], v[220:221] op_sel_hi:[1,1,0] neg_lo:[0,0,1] neg_hi:[0,0,1]
	v_mul_f32_e32 v218, v219, v212
	v_pk_add_f32 v[94:95], v[94:95], v[222:223] neg_lo:[0,1] neg_hi:[0,1]
	s_delay_alu instid0(VALU_DEP_2) | instskip(NEXT) | instid1(VALU_DEP_1)
	v_pk_fma_f32 v[216:217], v[216:217], v[100:101], v[218:219] op_sel_hi:[1,1,0]
	v_mov_b32_e32 v221, v217
	ds_load_2addr_b64 v[216:219], v244 offset0:29 offset1:30
	v_pk_add_f32 v[128:129], v[128:129], v[220:221] neg_lo:[0,1] neg_hi:[0,1]
	s_wait_dscnt 0x0
	v_pk_mul_f32 v[220:221], v[216:217], v[214:215] op_sel:[0,1]
	s_delay_alu instid0(VALU_DEP_1) | instskip(SKIP_1) | instid1(VALU_DEP_1)
	v_pk_fma_f32 v[222:223], v[216:217], v[212:213], v[220:221] op_sel:[0,0,1] op_sel_hi:[1,1,0] neg_lo:[0,0,1] neg_hi:[0,0,1]
	v_pk_fma_f32 v[216:217], v[216:217], v[212:213], v[220:221] op_sel:[0,0,1] op_sel_hi:[1,0,0]
	v_mov_b32_e32 v223, v217
	v_pk_mul_f32 v[216:217], v[218:219], v[214:215] op_sel:[0,1]
	s_delay_alu instid0(VALU_DEP_1) | instskip(SKIP_1) | instid1(VALU_DEP_1)
	v_pk_fma_f32 v[220:221], v[218:219], v[212:213], v[216:217] op_sel:[0,0,1] op_sel_hi:[1,1,0] neg_lo:[0,0,1] neg_hi:[0,0,1]
	v_pk_fma_f32 v[216:217], v[218:219], v[212:213], v[216:217] op_sel:[0,0,1] op_sel_hi:[1,0,0]
	v_mov_b32_e32 v221, v217
	ds_load_2addr_b64 v[216:219], v244 offset0:31 offset1:32
	v_pk_add_f32 v[124:125], v[124:125], v[222:223] neg_lo:[0,1] neg_hi:[0,1]
	v_pk_add_f32 v[126:127], v[126:127], v[220:221] neg_lo:[0,1] neg_hi:[0,1]
	s_wait_dscnt 0x0
	v_pk_mul_f32 v[220:221], v[216:217], v[214:215] op_sel:[0,1]
	s_delay_alu instid0(VALU_DEP_1) | instskip(SKIP_1) | instid1(VALU_DEP_1)
	v_pk_fma_f32 v[222:223], v[216:217], v[212:213], v[220:221] op_sel:[0,0,1] op_sel_hi:[1,1,0] neg_lo:[0,0,1] neg_hi:[0,0,1]
	v_pk_fma_f32 v[216:217], v[216:217], v[212:213], v[220:221] op_sel:[0,0,1] op_sel_hi:[1,0,0]
	v_mov_b32_e32 v223, v217
	v_pk_mul_f32 v[216:217], v[218:219], v[214:215] op_sel:[0,1]
	s_delay_alu instid0(VALU_DEP_1) | instskip(SKIP_1) | instid1(VALU_DEP_1)
	v_pk_fma_f32 v[220:221], v[218:219], v[212:213], v[216:217] op_sel:[0,0,1] op_sel_hi:[1,1,0] neg_lo:[0,0,1] neg_hi:[0,0,1]
	v_pk_fma_f32 v[216:217], v[218:219], v[212:213], v[216:217] op_sel:[0,0,1] op_sel_hi:[1,0,0]
	v_mov_b32_e32 v221, v217
	ds_load_2addr_b64 v[216:219], v244 offset0:33 offset1:34
	v_pk_add_f32 v[122:123], v[122:123], v[222:223] neg_lo:[0,1] neg_hi:[0,1]
	v_pk_add_f32 v[152:153], v[152:153], v[220:221] neg_lo:[0,1] neg_hi:[0,1]
	s_wait_dscnt 0x0
	v_dual_mul_f32 v220, v217, v215 :: v_dual_mul_f32 v222, v217, v212
	s_delay_alu instid0(VALU_DEP_1) | instskip(NEXT) | instid1(VALU_DEP_2)
	v_pk_fma_f32 v[220:221], v[216:217], v[100:101], v[220:221] op_sel_hi:[1,1,0] neg_lo:[0,0,1] neg_hi:[0,0,1]
	v_pk_fma_f32 v[216:217], v[216:217], v[100:101], v[222:223] op_sel:[1,0,0] op_sel_hi:[0,1,0]
	s_delay_alu instid0(VALU_DEP_1) | instskip(SKIP_1) | instid1(VALU_DEP_2)
	v_mov_b32_e32 v221, v217
	v_pk_mul_f32 v[216:217], v[218:219], v[214:215] op_sel:[0,1]
	v_pk_add_f32 v[148:149], v[148:149], v[220:221] neg_lo:[0,1] neg_hi:[0,1]
	s_delay_alu instid0(VALU_DEP_2) | instskip(SKIP_1) | instid1(VALU_DEP_1)
	v_pk_fma_f32 v[220:221], v[218:219], v[212:213], v[216:217] op_sel:[0,0,1] op_sel_hi:[1,1,0] neg_lo:[0,0,1] neg_hi:[0,0,1]
	v_pk_fma_f32 v[216:217], v[218:219], v[212:213], v[216:217] op_sel:[0,0,1] op_sel_hi:[1,0,0]
	v_mov_b32_e32 v221, v217
	ds_load_2addr_b64 v[216:219], v244 offset0:35 offset1:36
	v_pk_add_f32 v[150:151], v[150:151], v[220:221] neg_lo:[0,1] neg_hi:[0,1]
	s_wait_dscnt 0x0
	v_pk_mul_f32 v[220:221], v[216:217], v[214:215] op_sel:[0,1]
	s_delay_alu instid0(VALU_DEP_1) | instskip(SKIP_1) | instid1(VALU_DEP_1)
	v_pk_fma_f32 v[222:223], v[216:217], v[212:213], v[220:221] op_sel:[0,0,1] op_sel_hi:[1,1,0] neg_lo:[0,0,1] neg_hi:[0,0,1]
	v_pk_fma_f32 v[216:217], v[216:217], v[212:213], v[220:221] op_sel:[0,0,1] op_sel_hi:[1,0,0]
	v_mov_b32_e32 v223, v217
	v_pk_mul_f32 v[216:217], v[218:219], v[214:215] op_sel:[0,1]
	s_delay_alu instid0(VALU_DEP_2) | instskip(NEXT) | instid1(VALU_DEP_2)
	v_pk_add_f32 v[146:147], v[146:147], v[222:223] neg_lo:[0,1] neg_hi:[0,1]
	v_pk_fma_f32 v[220:221], v[218:219], v[212:213], v[216:217] op_sel:[0,0,1] op_sel_hi:[1,1,0] neg_lo:[0,0,1] neg_hi:[0,0,1]
	v_pk_fma_f32 v[216:217], v[218:219], v[212:213], v[216:217] op_sel:[0,0,1] op_sel_hi:[1,0,0]
	s_delay_alu instid0(VALU_DEP_1) | instskip(SKIP_4) | instid1(VALU_DEP_1)
	v_mov_b32_e32 v221, v217
	ds_load_2addr_b64 v[216:219], v244 offset0:37 offset1:38
	v_pk_add_f32 v[158:159], v[158:159], v[220:221] neg_lo:[0,1] neg_hi:[0,1]
	s_wait_dscnt 0x0
	v_pk_mul_f32 v[220:221], v[216:217], v[214:215] op_sel:[0,1]
	v_pk_fma_f32 v[222:223], v[216:217], v[212:213], v[220:221] op_sel:[0,0,1] op_sel_hi:[1,1,0] neg_lo:[0,0,1] neg_hi:[0,0,1]
	v_pk_fma_f32 v[216:217], v[216:217], v[212:213], v[220:221] op_sel:[0,0,1] op_sel_hi:[1,0,0]
	v_dual_mul_f32 v220, v219, v215 :: v_dual_mov_b32 v216, v219
	s_delay_alu instid0(VALU_DEP_2) | instskip(NEXT) | instid1(VALU_DEP_2)
	v_dual_mov_b32 v223, v217 :: v_dual_mov_b32 v217, v218
	v_pk_fma_f32 v[220:221], v[218:219], v[100:101], v[220:221] op_sel_hi:[1,1,0] neg_lo:[0,0,1] neg_hi:[0,0,1]
	v_mul_f32_e32 v218, v219, v212
	s_delay_alu instid0(VALU_DEP_3) | instskip(NEXT) | instid1(VALU_DEP_2)
	v_pk_add_f32 v[156:157], v[156:157], v[222:223] neg_lo:[0,1] neg_hi:[0,1]
	v_pk_fma_f32 v[216:217], v[216:217], v[100:101], v[218:219] op_sel_hi:[1,1,0]
	s_delay_alu instid0(VALU_DEP_1) | instskip(SKIP_4) | instid1(VALU_DEP_1)
	v_mov_b32_e32 v221, v217
	ds_load_b64 v[216:217], v244 offset:312
	v_pk_add_f32 v[154:155], v[154:155], v[220:221] neg_lo:[0,1] neg_hi:[0,1]
	s_wait_dscnt 0x0
	v_pk_mul_f32 v[214:215], v[216:217], v[214:215] op_sel:[0,1]
	v_pk_fma_f32 v[218:219], v[216:217], v[212:213], v[214:215] op_sel:[0,0,1] op_sel_hi:[1,1,0] neg_lo:[0,0,1] neg_hi:[0,0,1]
	v_pk_fma_f32 v[212:213], v[216:217], v[212:213], v[214:215] op_sel:[0,0,1] op_sel_hi:[1,0,0]
	s_delay_alu instid0(VALU_DEP_1) | instskip(NEXT) | instid1(VALU_DEP_1)
	v_mov_b32_e32 v219, v213
	v_pk_add_f32 v[160:161], v[160:161], v[218:219] neg_lo:[0,1] neg_hi:[0,1]
.LBB79_226:
	s_or_b32 exec_lo, exec_lo, s1
	s_delay_alu instid0(SALU_CYCLE_1)
	s_mov_b32 s2, exec_lo
	s_wait_dscnt 0x0
	s_barrier_signal -1
	s_barrier_wait -1
	v_cmpx_eq_u32_e32 25, v242
	s_cbranch_execz .LBB79_233
; %bb.227:
	v_dual_mov_b32 v212, v98 :: v_dual_mov_b32 v213, v99
	v_dual_mov_b32 v214, v94 :: v_dual_mov_b32 v215, v95
	;; [unrolled: 1-line block ×4, first 2 shown]
	ds_store_b64 v243, v[96:97]
	ds_store_2addr_b64 v244, v[212:213], v[214:215] offset0:26 offset1:27
	ds_store_2addr_b64 v244, v[216:217], v[218:219] offset0:28 offset1:29
	v_dual_mov_b32 v212, v126 :: v_dual_mov_b32 v213, v127
	v_dual_mov_b32 v214, v122 :: v_dual_mov_b32 v215, v123
	;; [unrolled: 1-line block ×9, first 2 shown]
	ds_store_2addr_b64 v244, v[212:213], v[214:215] offset0:30 offset1:31
	ds_store_2addr_b64 v244, v[216:217], v[218:219] offset0:32 offset1:33
	;; [unrolled: 1-line block ×5, first 2 shown]
	ds_load_b64 v[212:213], v243
	s_wait_dscnt 0x0
	v_cmp_neq_f32_e32 vcc_lo, 0, v212
	v_cmp_neq_f32_e64 s1, 0, v213
	s_or_b32 s1, vcc_lo, s1
	s_delay_alu instid0(SALU_CYCLE_1)
	s_and_b32 exec_lo, exec_lo, s1
	s_cbranch_execz .LBB79_233
; %bb.228:
	v_cmp_ngt_f32_e64 s1, |v212|, |v213|
                                        ; implicit-def: $vgpr214_vgpr215
	s_and_saveexec_b32 s4, s1
	s_delay_alu instid0(SALU_CYCLE_1)
	s_xor_b32 s1, exec_lo, s4
	s_cbranch_execz .LBB79_230
; %bb.229:
	v_div_scale_f32 v0, null, v213, v213, v212
	v_div_scale_f32 v215, vcc_lo, v212, v213, v212
	s_delay_alu instid0(VALU_DEP_2) | instskip(SKIP_1) | instid1(TRANS32_DEP_1)
	v_rcp_f32_e32 v1, v0
	v_nop
	v_fma_f32 v214, -v0, v1, 1.0
	s_delay_alu instid0(VALU_DEP_1) | instskip(NEXT) | instid1(VALU_DEP_1)
	v_fmac_f32_e32 v1, v214, v1
	v_mul_f32_e32 v214, v215, v1
	s_delay_alu instid0(VALU_DEP_1) | instskip(NEXT) | instid1(VALU_DEP_1)
	v_fma_f32 v216, -v0, v214, v215
	v_fmac_f32_e32 v214, v216, v1
	s_delay_alu instid0(VALU_DEP_1) | instskip(NEXT) | instid1(VALU_DEP_1)
	v_fma_f32 v0, -v0, v214, v215
	v_div_fmas_f32 v0, v0, v1, v214
	s_delay_alu instid0(VALU_DEP_1) | instskip(NEXT) | instid1(VALU_DEP_1)
	v_div_fixup_f32 v0, v0, v213, v212
	v_fmac_f32_e32 v213, v212, v0
	s_delay_alu instid0(VALU_DEP_1) | instskip(SKIP_1) | instid1(VALU_DEP_2)
	v_div_scale_f32 v1, null, v213, v213, 1.0
	v_div_scale_f32 v215, vcc_lo, 1.0, v213, 1.0
	v_rcp_f32_e32 v212, v1
	v_nop
	s_delay_alu instid0(TRANS32_DEP_1) | instskip(NEXT) | instid1(VALU_DEP_1)
	v_fma_f32 v214, -v1, v212, 1.0
	v_fmac_f32_e32 v212, v214, v212
	s_delay_alu instid0(VALU_DEP_1) | instskip(NEXT) | instid1(VALU_DEP_1)
	v_mul_f32_e32 v214, v215, v212
	v_fma_f32 v216, -v1, v214, v215
	s_delay_alu instid0(VALU_DEP_1) | instskip(NEXT) | instid1(VALU_DEP_1)
	v_fmac_f32_e32 v214, v216, v212
	v_fma_f32 v1, -v1, v214, v215
	s_delay_alu instid0(VALU_DEP_1) | instskip(NEXT) | instid1(VALU_DEP_1)
	v_div_fmas_f32 v1, v1, v212, v214
	v_div_fixup_f32 v1, v1, v213, 1.0
                                        ; implicit-def: $vgpr212_vgpr213
	s_delay_alu instid0(VALU_DEP_1)
	v_mul_f32_e32 v214, v0, v1
	v_xor_b32_e32 v215, 0x80000000, v1
.LBB79_230:
	s_and_not1_saveexec_b32 s1, s1
	s_cbranch_execz .LBB79_232
; %bb.231:
	v_div_scale_f32 v0, null, v212, v212, v213
	v_div_scale_f32 v215, vcc_lo, v213, v212, v213
	s_delay_alu instid0(VALU_DEP_2) | instskip(SKIP_1) | instid1(TRANS32_DEP_1)
	v_rcp_f32_e32 v1, v0
	v_nop
	v_fma_f32 v214, -v0, v1, 1.0
	s_delay_alu instid0(VALU_DEP_1) | instskip(NEXT) | instid1(VALU_DEP_1)
	v_fmac_f32_e32 v1, v214, v1
	v_mul_f32_e32 v214, v215, v1
	s_delay_alu instid0(VALU_DEP_1) | instskip(NEXT) | instid1(VALU_DEP_1)
	v_fma_f32 v216, -v0, v214, v215
	v_fmac_f32_e32 v214, v216, v1
	s_delay_alu instid0(VALU_DEP_1) | instskip(NEXT) | instid1(VALU_DEP_1)
	v_fma_f32 v0, -v0, v214, v215
	v_div_fmas_f32 v0, v0, v1, v214
	s_delay_alu instid0(VALU_DEP_1) | instskip(NEXT) | instid1(VALU_DEP_1)
	v_div_fixup_f32 v0, v0, v212, v213
	v_fmac_f32_e32 v212, v213, v0
	s_delay_alu instid0(VALU_DEP_1) | instskip(NEXT) | instid1(VALU_DEP_1)
	v_div_scale_f32 v1, null, v212, v212, 1.0
	v_rcp_f32_e32 v213, v1
	v_nop
	s_delay_alu instid0(TRANS32_DEP_1) | instskip(NEXT) | instid1(VALU_DEP_1)
	v_fma_f32 v214, -v1, v213, 1.0
	v_fmac_f32_e32 v213, v214, v213
	v_div_scale_f32 v214, vcc_lo, 1.0, v212, 1.0
	s_delay_alu instid0(VALU_DEP_1) | instskip(NEXT) | instid1(VALU_DEP_1)
	v_mul_f32_e32 v215, v214, v213
	v_fma_f32 v216, -v1, v215, v214
	s_delay_alu instid0(VALU_DEP_1) | instskip(NEXT) | instid1(VALU_DEP_1)
	v_fmac_f32_e32 v215, v216, v213
	v_fma_f32 v1, -v1, v215, v214
	s_delay_alu instid0(VALU_DEP_1) | instskip(NEXT) | instid1(VALU_DEP_1)
	v_div_fmas_f32 v1, v1, v213, v215
	v_div_fixup_f32 v214, v1, v212, 1.0
	s_delay_alu instid0(VALU_DEP_1)
	v_mul_f32_e64 v215, v0, -v214
.LBB79_232:
	s_or_b32 exec_lo, exec_lo, s1
	ds_store_b64 v243, v[214:215]
.LBB79_233:
	s_or_b32 exec_lo, exec_lo, s2
	s_wait_dscnt 0x0
	s_barrier_signal -1
	s_barrier_wait -1
	ds_load_b64 v[212:213], v243
	s_mov_b32 s1, exec_lo
	v_cmpx_lt_u32_e32 25, v242
	s_cbranch_execz .LBB79_235
; %bb.234:
	ds_load_2addr_b64 v[218:221], v244 offset0:26 offset1:27
	s_wait_dscnt 0x1
	v_pk_mul_f32 v[216:217], v[212:213], v[96:97] op_sel:[1,1] op_sel_hi:[0,1]
	s_delay_alu instid0(VALU_DEP_1) | instskip(SKIP_1) | instid1(VALU_DEP_1)
	v_pk_fma_f32 v[214:215], v[212:213], v[96:97], v[216:217] op_sel_hi:[1,0,1] neg_lo:[0,0,1] neg_hi:[0,0,1]
	v_pk_fma_f32 v[216:217], v[212:213], v[96:97], v[216:217] op_sel_hi:[1,0,1]
	v_dual_mov_b32 v96, v214 :: v_dual_mov_b32 v97, v217
	s_wait_dscnt 0x0
	s_delay_alu instid0(VALU_DEP_2) | instskip(NEXT) | instid1(VALU_DEP_1)
	v_pk_mul_f32 v[222:223], v[218:219], v[216:217] op_sel:[0,1]
	v_pk_fma_f32 v[224:225], v[218:219], v[214:215], v[222:223] op_sel:[0,0,1] op_sel_hi:[1,1,0] neg_lo:[0,0,1] neg_hi:[0,0,1]
	v_pk_fma_f32 v[218:219], v[218:219], v[214:215], v[222:223] op_sel:[0,0,1] op_sel_hi:[1,0,0]
	s_delay_alu instid0(VALU_DEP_1) | instskip(SKIP_1) | instid1(VALU_DEP_1)
	v_mov_b32_e32 v225, v219
	v_pk_mul_f32 v[218:219], v[220:221], v[216:217] op_sel:[0,1]
	v_pk_fma_f32 v[222:223], v[220:221], v[214:215], v[218:219] op_sel:[0,0,1] op_sel_hi:[1,1,0] neg_lo:[0,0,1] neg_hi:[0,0,1]
	v_pk_fma_f32 v[218:219], v[220:221], v[214:215], v[218:219] op_sel:[0,0,1] op_sel_hi:[1,0,0]
	s_delay_alu instid0(VALU_DEP_1)
	v_mov_b32_e32 v223, v219
	ds_load_2addr_b64 v[218:221], v244 offset0:28 offset1:29
	v_pk_add_f32 v[98:99], v[98:99], v[224:225] neg_lo:[0,1] neg_hi:[0,1]
	v_pk_add_f32 v[94:95], v[94:95], v[222:223] neg_lo:[0,1] neg_hi:[0,1]
	s_wait_dscnt 0x0
	v_pk_mul_f32 v[222:223], v[218:219], v[216:217] op_sel:[0,1]
	s_delay_alu instid0(VALU_DEP_1) | instskip(SKIP_2) | instid1(VALU_DEP_2)
	v_pk_fma_f32 v[224:225], v[218:219], v[214:215], v[222:223] op_sel:[0,0,1] op_sel_hi:[1,1,0] neg_lo:[0,0,1] neg_hi:[0,0,1]
	v_pk_fma_f32 v[218:219], v[218:219], v[214:215], v[222:223] op_sel:[0,0,1] op_sel_hi:[1,0,0]
	v_dual_mul_f32 v222, v221, v217 :: v_dual_mov_b32 v218, v221
	v_dual_mov_b32 v225, v219 :: v_dual_mov_b32 v219, v220
	s_delay_alu instid0(VALU_DEP_2) | instskip(SKIP_1) | instid1(VALU_DEP_3)
	v_pk_fma_f32 v[222:223], v[220:221], v[96:97], v[222:223] op_sel_hi:[1,1,0] neg_lo:[0,0,1] neg_hi:[0,0,1]
	v_mul_f32_e32 v220, v221, v214
	v_pk_add_f32 v[128:129], v[128:129], v[224:225] neg_lo:[0,1] neg_hi:[0,1]
	s_delay_alu instid0(VALU_DEP_2) | instskip(NEXT) | instid1(VALU_DEP_1)
	v_pk_fma_f32 v[218:219], v[218:219], v[96:97], v[220:221] op_sel_hi:[1,1,0]
	v_mov_b32_e32 v223, v219
	ds_load_2addr_b64 v[218:221], v244 offset0:30 offset1:31
	v_pk_add_f32 v[124:125], v[124:125], v[222:223] neg_lo:[0,1] neg_hi:[0,1]
	s_wait_dscnt 0x0
	v_pk_mul_f32 v[222:223], v[218:219], v[216:217] op_sel:[0,1]
	s_delay_alu instid0(VALU_DEP_1) | instskip(SKIP_1) | instid1(VALU_DEP_1)
	v_pk_fma_f32 v[224:225], v[218:219], v[214:215], v[222:223] op_sel:[0,0,1] op_sel_hi:[1,1,0] neg_lo:[0,0,1] neg_hi:[0,0,1]
	v_pk_fma_f32 v[218:219], v[218:219], v[214:215], v[222:223] op_sel:[0,0,1] op_sel_hi:[1,0,0]
	v_mov_b32_e32 v225, v219
	v_pk_mul_f32 v[218:219], v[220:221], v[216:217] op_sel:[0,1]
	s_delay_alu instid0(VALU_DEP_1) | instskip(SKIP_1) | instid1(VALU_DEP_1)
	v_pk_fma_f32 v[222:223], v[220:221], v[214:215], v[218:219] op_sel:[0,0,1] op_sel_hi:[1,1,0] neg_lo:[0,0,1] neg_hi:[0,0,1]
	v_pk_fma_f32 v[218:219], v[220:221], v[214:215], v[218:219] op_sel:[0,0,1] op_sel_hi:[1,0,0]
	v_mov_b32_e32 v223, v219
	ds_load_2addr_b64 v[218:221], v244 offset0:32 offset1:33
	v_pk_add_f32 v[126:127], v[126:127], v[224:225] neg_lo:[0,1] neg_hi:[0,1]
	v_pk_add_f32 v[122:123], v[122:123], v[222:223] neg_lo:[0,1] neg_hi:[0,1]
	s_wait_dscnt 0x0
	v_pk_mul_f32 v[222:223], v[218:219], v[216:217] op_sel:[0,1]
	s_delay_alu instid0(VALU_DEP_1) | instskip(SKIP_1) | instid1(VALU_DEP_1)
	v_pk_fma_f32 v[224:225], v[218:219], v[214:215], v[222:223] op_sel:[0,0,1] op_sel_hi:[1,1,0] neg_lo:[0,0,1] neg_hi:[0,0,1]
	v_pk_fma_f32 v[218:219], v[218:219], v[214:215], v[222:223] op_sel:[0,0,1] op_sel_hi:[1,0,0]
	v_mov_b32_e32 v225, v219
	v_pk_mul_f32 v[218:219], v[220:221], v[216:217] op_sel:[0,1]
	s_delay_alu instid0(VALU_DEP_1) | instskip(SKIP_1) | instid1(VALU_DEP_1)
	v_pk_fma_f32 v[222:223], v[220:221], v[214:215], v[218:219] op_sel:[0,0,1] op_sel_hi:[1,1,0] neg_lo:[0,0,1] neg_hi:[0,0,1]
	v_pk_fma_f32 v[218:219], v[220:221], v[214:215], v[218:219] op_sel:[0,0,1] op_sel_hi:[1,0,0]
	v_mov_b32_e32 v223, v219
	ds_load_2addr_b64 v[218:221], v244 offset0:34 offset1:35
	v_pk_add_f32 v[152:153], v[152:153], v[224:225] neg_lo:[0,1] neg_hi:[0,1]
	v_pk_add_f32 v[148:149], v[148:149], v[222:223] neg_lo:[0,1] neg_hi:[0,1]
	s_wait_dscnt 0x0
	v_dual_mul_f32 v222, v219, v217 :: v_dual_mul_f32 v224, v219, v214
	s_delay_alu instid0(VALU_DEP_1) | instskip(NEXT) | instid1(VALU_DEP_2)
	v_pk_fma_f32 v[222:223], v[218:219], v[96:97], v[222:223] op_sel_hi:[1,1,0] neg_lo:[0,0,1] neg_hi:[0,0,1]
	v_pk_fma_f32 v[218:219], v[218:219], v[96:97], v[224:225] op_sel:[1,0,0] op_sel_hi:[0,1,0]
	s_delay_alu instid0(VALU_DEP_1) | instskip(SKIP_1) | instid1(VALU_DEP_2)
	v_mov_b32_e32 v223, v219
	v_pk_mul_f32 v[218:219], v[220:221], v[216:217] op_sel:[0,1]
	v_pk_add_f32 v[150:151], v[150:151], v[222:223] neg_lo:[0,1] neg_hi:[0,1]
	s_delay_alu instid0(VALU_DEP_2) | instskip(SKIP_1) | instid1(VALU_DEP_1)
	v_pk_fma_f32 v[222:223], v[220:221], v[214:215], v[218:219] op_sel:[0,0,1] op_sel_hi:[1,1,0] neg_lo:[0,0,1] neg_hi:[0,0,1]
	v_pk_fma_f32 v[218:219], v[220:221], v[214:215], v[218:219] op_sel:[0,0,1] op_sel_hi:[1,0,0]
	v_mov_b32_e32 v223, v219
	ds_load_2addr_b64 v[218:221], v244 offset0:36 offset1:37
	v_pk_add_f32 v[146:147], v[146:147], v[222:223] neg_lo:[0,1] neg_hi:[0,1]
	s_wait_dscnt 0x0
	v_pk_mul_f32 v[222:223], v[218:219], v[216:217] op_sel:[0,1]
	s_delay_alu instid0(VALU_DEP_1) | instskip(SKIP_1) | instid1(VALU_DEP_1)
	v_pk_fma_f32 v[224:225], v[218:219], v[214:215], v[222:223] op_sel:[0,0,1] op_sel_hi:[1,1,0] neg_lo:[0,0,1] neg_hi:[0,0,1]
	v_pk_fma_f32 v[218:219], v[218:219], v[214:215], v[222:223] op_sel:[0,0,1] op_sel_hi:[1,0,0]
	v_mov_b32_e32 v225, v219
	v_pk_mul_f32 v[218:219], v[220:221], v[216:217] op_sel:[0,1]
	s_delay_alu instid0(VALU_DEP_2) | instskip(NEXT) | instid1(VALU_DEP_2)
	v_pk_add_f32 v[158:159], v[158:159], v[224:225] neg_lo:[0,1] neg_hi:[0,1]
	v_pk_fma_f32 v[222:223], v[220:221], v[214:215], v[218:219] op_sel:[0,0,1] op_sel_hi:[1,1,0] neg_lo:[0,0,1] neg_hi:[0,0,1]
	v_pk_fma_f32 v[218:219], v[220:221], v[214:215], v[218:219] op_sel:[0,0,1] op_sel_hi:[1,0,0]
	s_delay_alu instid0(VALU_DEP_1)
	v_mov_b32_e32 v223, v219
	ds_load_2addr_b64 v[218:221], v244 offset0:38 offset1:39
	v_pk_add_f32 v[156:157], v[156:157], v[222:223] neg_lo:[0,1] neg_hi:[0,1]
	s_wait_dscnt 0x0
	v_pk_mul_f32 v[222:223], v[218:219], v[216:217] op_sel:[0,1]
	v_pk_mul_f32 v[216:217], v[220:221], v[216:217] op_sel:[0,1]
	s_delay_alu instid0(VALU_DEP_2) | instskip(SKIP_1) | instid1(VALU_DEP_1)
	v_pk_fma_f32 v[224:225], v[218:219], v[214:215], v[222:223] op_sel:[0,0,1] op_sel_hi:[1,1,0] neg_lo:[0,0,1] neg_hi:[0,0,1]
	v_pk_fma_f32 v[218:219], v[218:219], v[214:215], v[222:223] op_sel:[0,0,1] op_sel_hi:[1,0,0]
	v_mov_b32_e32 v225, v219
	s_delay_alu instid0(VALU_DEP_4) | instskip(SKIP_1) | instid1(VALU_DEP_3)
	v_pk_fma_f32 v[218:219], v[220:221], v[214:215], v[216:217] op_sel:[0,0,1] op_sel_hi:[1,1,0] neg_lo:[0,0,1] neg_hi:[0,0,1]
	v_pk_fma_f32 v[214:215], v[220:221], v[214:215], v[216:217] op_sel:[0,0,1] op_sel_hi:[1,0,0]
	v_pk_add_f32 v[154:155], v[154:155], v[224:225] neg_lo:[0,1] neg_hi:[0,1]
	s_delay_alu instid0(VALU_DEP_2) | instskip(NEXT) | instid1(VALU_DEP_1)
	v_mov_b32_e32 v219, v215
	v_pk_add_f32 v[160:161], v[160:161], v[218:219] neg_lo:[0,1] neg_hi:[0,1]
.LBB79_235:
	s_or_b32 exec_lo, exec_lo, s1
	s_delay_alu instid0(SALU_CYCLE_1)
	s_mov_b32 s2, exec_lo
	s_wait_dscnt 0x0
	s_barrier_signal -1
	s_barrier_wait -1
	v_cmpx_eq_u32_e32 26, v242
	s_cbranch_execz .LBB79_242
; %bb.236:
	ds_store_b64 v243, v[98:99]
	ds_store_2addr_b64 v244, v[94:95], v[128:129] offset0:27 offset1:28
	ds_store_2addr_b64 v244, v[124:125], v[126:127] offset0:29 offset1:30
	;; [unrolled: 1-line block ×6, first 2 shown]
	ds_store_b64 v244, v[160:161] offset:312
	ds_load_b64 v[214:215], v243
	s_wait_dscnt 0x0
	v_cmp_neq_f32_e32 vcc_lo, 0, v214
	v_cmp_neq_f32_e64 s1, 0, v215
	s_or_b32 s1, vcc_lo, s1
	s_delay_alu instid0(SALU_CYCLE_1)
	s_and_b32 exec_lo, exec_lo, s1
	s_cbranch_execz .LBB79_242
; %bb.237:
	v_cmp_ngt_f32_e64 s1, |v214|, |v215|
                                        ; implicit-def: $vgpr216_vgpr217
	s_and_saveexec_b32 s4, s1
	s_delay_alu instid0(SALU_CYCLE_1)
	s_xor_b32 s1, exec_lo, s4
	s_cbranch_execz .LBB79_239
; %bb.238:
	v_div_scale_f32 v0, null, v215, v215, v214
	v_div_scale_f32 v217, vcc_lo, v214, v215, v214
	s_delay_alu instid0(VALU_DEP_2) | instskip(SKIP_1) | instid1(TRANS32_DEP_1)
	v_rcp_f32_e32 v1, v0
	v_nop
	v_fma_f32 v216, -v0, v1, 1.0
	s_delay_alu instid0(VALU_DEP_1) | instskip(NEXT) | instid1(VALU_DEP_1)
	v_fmac_f32_e32 v1, v216, v1
	v_mul_f32_e32 v216, v217, v1
	s_delay_alu instid0(VALU_DEP_1) | instskip(NEXT) | instid1(VALU_DEP_1)
	v_fma_f32 v218, -v0, v216, v217
	v_fmac_f32_e32 v216, v218, v1
	s_delay_alu instid0(VALU_DEP_1) | instskip(NEXT) | instid1(VALU_DEP_1)
	v_fma_f32 v0, -v0, v216, v217
	v_div_fmas_f32 v0, v0, v1, v216
	s_delay_alu instid0(VALU_DEP_1) | instskip(NEXT) | instid1(VALU_DEP_1)
	v_div_fixup_f32 v0, v0, v215, v214
	v_fmac_f32_e32 v215, v214, v0
	s_delay_alu instid0(VALU_DEP_1) | instskip(SKIP_1) | instid1(VALU_DEP_2)
	v_div_scale_f32 v1, null, v215, v215, 1.0
	v_div_scale_f32 v217, vcc_lo, 1.0, v215, 1.0
	v_rcp_f32_e32 v214, v1
	v_nop
	s_delay_alu instid0(TRANS32_DEP_1) | instskip(NEXT) | instid1(VALU_DEP_1)
	v_fma_f32 v216, -v1, v214, 1.0
	v_fmac_f32_e32 v214, v216, v214
	s_delay_alu instid0(VALU_DEP_1) | instskip(NEXT) | instid1(VALU_DEP_1)
	v_mul_f32_e32 v216, v217, v214
	v_fma_f32 v218, -v1, v216, v217
	s_delay_alu instid0(VALU_DEP_1) | instskip(NEXT) | instid1(VALU_DEP_1)
	v_fmac_f32_e32 v216, v218, v214
	v_fma_f32 v1, -v1, v216, v217
	s_delay_alu instid0(VALU_DEP_1) | instskip(NEXT) | instid1(VALU_DEP_1)
	v_div_fmas_f32 v1, v1, v214, v216
	v_div_fixup_f32 v1, v1, v215, 1.0
                                        ; implicit-def: $vgpr214_vgpr215
	s_delay_alu instid0(VALU_DEP_1)
	v_mul_f32_e32 v216, v0, v1
	v_xor_b32_e32 v217, 0x80000000, v1
.LBB79_239:
	s_and_not1_saveexec_b32 s1, s1
	s_cbranch_execz .LBB79_241
; %bb.240:
	v_div_scale_f32 v0, null, v214, v214, v215
	v_div_scale_f32 v217, vcc_lo, v215, v214, v215
	s_delay_alu instid0(VALU_DEP_2) | instskip(SKIP_1) | instid1(TRANS32_DEP_1)
	v_rcp_f32_e32 v1, v0
	v_nop
	v_fma_f32 v216, -v0, v1, 1.0
	s_delay_alu instid0(VALU_DEP_1) | instskip(NEXT) | instid1(VALU_DEP_1)
	v_fmac_f32_e32 v1, v216, v1
	v_mul_f32_e32 v216, v217, v1
	s_delay_alu instid0(VALU_DEP_1) | instskip(NEXT) | instid1(VALU_DEP_1)
	v_fma_f32 v218, -v0, v216, v217
	v_fmac_f32_e32 v216, v218, v1
	s_delay_alu instid0(VALU_DEP_1) | instskip(NEXT) | instid1(VALU_DEP_1)
	v_fma_f32 v0, -v0, v216, v217
	v_div_fmas_f32 v0, v0, v1, v216
	s_delay_alu instid0(VALU_DEP_1) | instskip(NEXT) | instid1(VALU_DEP_1)
	v_div_fixup_f32 v0, v0, v214, v215
	v_fmac_f32_e32 v214, v215, v0
	s_delay_alu instid0(VALU_DEP_1) | instskip(NEXT) | instid1(VALU_DEP_1)
	v_div_scale_f32 v1, null, v214, v214, 1.0
	v_rcp_f32_e32 v215, v1
	v_nop
	s_delay_alu instid0(TRANS32_DEP_1) | instskip(NEXT) | instid1(VALU_DEP_1)
	v_fma_f32 v216, -v1, v215, 1.0
	v_fmac_f32_e32 v215, v216, v215
	v_div_scale_f32 v216, vcc_lo, 1.0, v214, 1.0
	s_delay_alu instid0(VALU_DEP_1) | instskip(NEXT) | instid1(VALU_DEP_1)
	v_mul_f32_e32 v217, v216, v215
	v_fma_f32 v218, -v1, v217, v216
	s_delay_alu instid0(VALU_DEP_1) | instskip(NEXT) | instid1(VALU_DEP_1)
	v_fmac_f32_e32 v217, v218, v215
	v_fma_f32 v1, -v1, v217, v216
	s_delay_alu instid0(VALU_DEP_1) | instskip(NEXT) | instid1(VALU_DEP_1)
	v_div_fmas_f32 v1, v1, v215, v217
	v_div_fixup_f32 v216, v1, v214, 1.0
	s_delay_alu instid0(VALU_DEP_1)
	v_mul_f32_e64 v217, v0, -v216
.LBB79_241:
	s_or_b32 exec_lo, exec_lo, s1
	ds_store_b64 v243, v[216:217]
.LBB79_242:
	s_or_b32 exec_lo, exec_lo, s2
	s_wait_dscnt 0x0
	s_barrier_signal -1
	s_barrier_wait -1
	ds_load_b64 v[214:215], v243
	s_mov_b32 s1, exec_lo
	v_cmpx_lt_u32_e32 26, v242
	s_cbranch_execz .LBB79_244
; %bb.243:
	ds_load_2addr_b64 v[220:223], v244 offset0:27 offset1:28
	s_wait_dscnt 0x1
	v_pk_mul_f32 v[218:219], v[214:215], v[98:99] op_sel:[1,1] op_sel_hi:[0,1]
	s_delay_alu instid0(VALU_DEP_1) | instskip(SKIP_1) | instid1(VALU_DEP_1)
	v_pk_fma_f32 v[216:217], v[214:215], v[98:99], v[218:219] op_sel_hi:[1,0,1] neg_lo:[0,0,1] neg_hi:[0,0,1]
	v_pk_fma_f32 v[218:219], v[214:215], v[98:99], v[218:219] op_sel_hi:[1,0,1]
	v_dual_mov_b32 v98, v216 :: v_dual_mov_b32 v99, v219
	s_wait_dscnt 0x0
	s_delay_alu instid0(VALU_DEP_2) | instskip(NEXT) | instid1(VALU_DEP_1)
	v_pk_mul_f32 v[224:225], v[220:221], v[218:219] op_sel:[0,1]
	v_pk_fma_f32 v[226:227], v[220:221], v[216:217], v[224:225] op_sel:[0,0,1] op_sel_hi:[1,1,0] neg_lo:[0,0,1] neg_hi:[0,0,1]
	v_pk_fma_f32 v[220:221], v[220:221], v[216:217], v[224:225] op_sel:[0,0,1] op_sel_hi:[1,0,0]
	s_delay_alu instid0(VALU_DEP_1) | instskip(SKIP_1) | instid1(VALU_DEP_1)
	v_mov_b32_e32 v227, v221
	v_pk_mul_f32 v[220:221], v[222:223], v[218:219] op_sel:[0,1]
	v_pk_fma_f32 v[224:225], v[222:223], v[216:217], v[220:221] op_sel:[0,0,1] op_sel_hi:[1,1,0] neg_lo:[0,0,1] neg_hi:[0,0,1]
	v_pk_fma_f32 v[220:221], v[222:223], v[216:217], v[220:221] op_sel:[0,0,1] op_sel_hi:[1,0,0]
	s_delay_alu instid0(VALU_DEP_1)
	v_mov_b32_e32 v225, v221
	ds_load_2addr_b64 v[220:223], v244 offset0:29 offset1:30
	v_pk_add_f32 v[94:95], v[94:95], v[226:227] neg_lo:[0,1] neg_hi:[0,1]
	v_pk_add_f32 v[128:129], v[128:129], v[224:225] neg_lo:[0,1] neg_hi:[0,1]
	s_wait_dscnt 0x0
	v_pk_mul_f32 v[224:225], v[220:221], v[218:219] op_sel:[0,1]
	s_delay_alu instid0(VALU_DEP_1) | instskip(SKIP_2) | instid1(VALU_DEP_2)
	v_pk_fma_f32 v[226:227], v[220:221], v[216:217], v[224:225] op_sel:[0,0,1] op_sel_hi:[1,1,0] neg_lo:[0,0,1] neg_hi:[0,0,1]
	v_pk_fma_f32 v[220:221], v[220:221], v[216:217], v[224:225] op_sel:[0,0,1] op_sel_hi:[1,0,0]
	v_dual_mul_f32 v224, v223, v219 :: v_dual_mov_b32 v220, v223
	v_dual_mov_b32 v227, v221 :: v_dual_mov_b32 v221, v222
	s_delay_alu instid0(VALU_DEP_2) | instskip(SKIP_1) | instid1(VALU_DEP_3)
	v_pk_fma_f32 v[224:225], v[222:223], v[98:99], v[224:225] op_sel_hi:[1,1,0] neg_lo:[0,0,1] neg_hi:[0,0,1]
	v_mul_f32_e32 v222, v223, v216
	v_pk_add_f32 v[124:125], v[124:125], v[226:227] neg_lo:[0,1] neg_hi:[0,1]
	s_delay_alu instid0(VALU_DEP_2) | instskip(NEXT) | instid1(VALU_DEP_1)
	v_pk_fma_f32 v[220:221], v[220:221], v[98:99], v[222:223] op_sel_hi:[1,1,0]
	v_mov_b32_e32 v225, v221
	ds_load_2addr_b64 v[220:223], v244 offset0:31 offset1:32
	v_pk_add_f32 v[126:127], v[126:127], v[224:225] neg_lo:[0,1] neg_hi:[0,1]
	s_wait_dscnt 0x0
	v_pk_mul_f32 v[224:225], v[220:221], v[218:219] op_sel:[0,1]
	s_delay_alu instid0(VALU_DEP_1) | instskip(SKIP_1) | instid1(VALU_DEP_1)
	v_pk_fma_f32 v[226:227], v[220:221], v[216:217], v[224:225] op_sel:[0,0,1] op_sel_hi:[1,1,0] neg_lo:[0,0,1] neg_hi:[0,0,1]
	v_pk_fma_f32 v[220:221], v[220:221], v[216:217], v[224:225] op_sel:[0,0,1] op_sel_hi:[1,0,0]
	v_mov_b32_e32 v227, v221
	v_pk_mul_f32 v[220:221], v[222:223], v[218:219] op_sel:[0,1]
	s_delay_alu instid0(VALU_DEP_1) | instskip(SKIP_1) | instid1(VALU_DEP_1)
	v_pk_fma_f32 v[224:225], v[222:223], v[216:217], v[220:221] op_sel:[0,0,1] op_sel_hi:[1,1,0] neg_lo:[0,0,1] neg_hi:[0,0,1]
	v_pk_fma_f32 v[220:221], v[222:223], v[216:217], v[220:221] op_sel:[0,0,1] op_sel_hi:[1,0,0]
	v_mov_b32_e32 v225, v221
	ds_load_2addr_b64 v[220:223], v244 offset0:33 offset1:34
	v_pk_add_f32 v[122:123], v[122:123], v[226:227] neg_lo:[0,1] neg_hi:[0,1]
	v_pk_add_f32 v[152:153], v[152:153], v[224:225] neg_lo:[0,1] neg_hi:[0,1]
	s_wait_dscnt 0x0
	v_pk_mul_f32 v[224:225], v[220:221], v[218:219] op_sel:[0,1]
	s_delay_alu instid0(VALU_DEP_1) | instskip(SKIP_1) | instid1(VALU_DEP_1)
	v_pk_fma_f32 v[226:227], v[220:221], v[216:217], v[224:225] op_sel:[0,0,1] op_sel_hi:[1,1,0] neg_lo:[0,0,1] neg_hi:[0,0,1]
	v_pk_fma_f32 v[220:221], v[220:221], v[216:217], v[224:225] op_sel:[0,0,1] op_sel_hi:[1,0,0]
	v_mov_b32_e32 v227, v221
	v_pk_mul_f32 v[220:221], v[222:223], v[218:219] op_sel:[0,1]
	s_delay_alu instid0(VALU_DEP_1) | instskip(SKIP_1) | instid1(VALU_DEP_1)
	v_pk_fma_f32 v[224:225], v[222:223], v[216:217], v[220:221] op_sel:[0,0,1] op_sel_hi:[1,1,0] neg_lo:[0,0,1] neg_hi:[0,0,1]
	v_pk_fma_f32 v[220:221], v[222:223], v[216:217], v[220:221] op_sel:[0,0,1] op_sel_hi:[1,0,0]
	v_mov_b32_e32 v225, v221
	ds_load_2addr_b64 v[220:223], v244 offset0:35 offset1:36
	v_pk_add_f32 v[148:149], v[148:149], v[226:227] neg_lo:[0,1] neg_hi:[0,1]
	v_pk_add_f32 v[150:151], v[150:151], v[224:225] neg_lo:[0,1] neg_hi:[0,1]
	s_wait_dscnt 0x0
	v_dual_mul_f32 v224, v221, v219 :: v_dual_mul_f32 v226, v221, v216
	s_delay_alu instid0(VALU_DEP_1) | instskip(NEXT) | instid1(VALU_DEP_2)
	v_pk_fma_f32 v[224:225], v[220:221], v[98:99], v[224:225] op_sel_hi:[1,1,0] neg_lo:[0,0,1] neg_hi:[0,0,1]
	v_pk_fma_f32 v[220:221], v[220:221], v[98:99], v[226:227] op_sel:[1,0,0] op_sel_hi:[0,1,0]
	s_delay_alu instid0(VALU_DEP_1) | instskip(SKIP_1) | instid1(VALU_DEP_2)
	v_mov_b32_e32 v225, v221
	v_pk_mul_f32 v[220:221], v[222:223], v[218:219] op_sel:[0,1]
	v_pk_add_f32 v[146:147], v[146:147], v[224:225] neg_lo:[0,1] neg_hi:[0,1]
	s_delay_alu instid0(VALU_DEP_2) | instskip(SKIP_1) | instid1(VALU_DEP_1)
	v_pk_fma_f32 v[224:225], v[222:223], v[216:217], v[220:221] op_sel:[0,0,1] op_sel_hi:[1,1,0] neg_lo:[0,0,1] neg_hi:[0,0,1]
	v_pk_fma_f32 v[220:221], v[222:223], v[216:217], v[220:221] op_sel:[0,0,1] op_sel_hi:[1,0,0]
	v_mov_b32_e32 v225, v221
	ds_load_2addr_b64 v[220:223], v244 offset0:37 offset1:38
	v_pk_add_f32 v[158:159], v[158:159], v[224:225] neg_lo:[0,1] neg_hi:[0,1]
	s_wait_dscnt 0x0
	v_pk_mul_f32 v[224:225], v[220:221], v[218:219] op_sel:[0,1]
	s_delay_alu instid0(VALU_DEP_1) | instskip(SKIP_1) | instid1(VALU_DEP_1)
	v_pk_fma_f32 v[226:227], v[220:221], v[216:217], v[224:225] op_sel:[0,0,1] op_sel_hi:[1,1,0] neg_lo:[0,0,1] neg_hi:[0,0,1]
	v_pk_fma_f32 v[220:221], v[220:221], v[216:217], v[224:225] op_sel:[0,0,1] op_sel_hi:[1,0,0]
	v_mov_b32_e32 v227, v221
	v_pk_mul_f32 v[220:221], v[222:223], v[218:219] op_sel:[0,1]
	s_delay_alu instid0(VALU_DEP_2) | instskip(NEXT) | instid1(VALU_DEP_2)
	v_pk_add_f32 v[156:157], v[156:157], v[226:227] neg_lo:[0,1] neg_hi:[0,1]
	v_pk_fma_f32 v[224:225], v[222:223], v[216:217], v[220:221] op_sel:[0,0,1] op_sel_hi:[1,1,0] neg_lo:[0,0,1] neg_hi:[0,0,1]
	v_pk_fma_f32 v[220:221], v[222:223], v[216:217], v[220:221] op_sel:[0,0,1] op_sel_hi:[1,0,0]
	s_delay_alu instid0(VALU_DEP_1) | instskip(SKIP_4) | instid1(VALU_DEP_1)
	v_mov_b32_e32 v225, v221
	ds_load_b64 v[220:221], v244 offset:312
	v_pk_add_f32 v[154:155], v[154:155], v[224:225] neg_lo:[0,1] neg_hi:[0,1]
	s_wait_dscnt 0x0
	v_pk_mul_f32 v[218:219], v[220:221], v[218:219] op_sel:[0,1]
	v_pk_fma_f32 v[222:223], v[220:221], v[216:217], v[218:219] op_sel:[0,0,1] op_sel_hi:[1,1,0] neg_lo:[0,0,1] neg_hi:[0,0,1]
	v_pk_fma_f32 v[216:217], v[220:221], v[216:217], v[218:219] op_sel:[0,0,1] op_sel_hi:[1,0,0]
	s_delay_alu instid0(VALU_DEP_1) | instskip(NEXT) | instid1(VALU_DEP_1)
	v_mov_b32_e32 v223, v217
	v_pk_add_f32 v[160:161], v[160:161], v[222:223] neg_lo:[0,1] neg_hi:[0,1]
.LBB79_244:
	s_or_b32 exec_lo, exec_lo, s1
	s_delay_alu instid0(SALU_CYCLE_1)
	s_mov_b32 s2, exec_lo
	s_wait_dscnt 0x0
	s_barrier_signal -1
	s_barrier_wait -1
	v_cmpx_eq_u32_e32 27, v242
	s_cbranch_execz .LBB79_251
; %bb.245:
	v_dual_mov_b32 v216, v128 :: v_dual_mov_b32 v217, v129
	v_dual_mov_b32 v218, v124 :: v_dual_mov_b32 v219, v125
	;; [unrolled: 1-line block ×10, first 2 shown]
	ds_store_b64 v243, v[94:95]
	v_dual_mov_b32 v236, v154 :: v_dual_mov_b32 v237, v155
	ds_store_2addr_b64 v244, v[216:217], v[218:219] offset0:28 offset1:29
	ds_store_2addr_b64 v244, v[220:221], v[222:223] offset0:30 offset1:31
	;; [unrolled: 1-line block ×6, first 2 shown]
	ds_load_b64 v[216:217], v243
	s_wait_dscnt 0x0
	v_cmp_neq_f32_e32 vcc_lo, 0, v216
	v_cmp_neq_f32_e64 s1, 0, v217
	s_or_b32 s1, vcc_lo, s1
	s_delay_alu instid0(SALU_CYCLE_1)
	s_and_b32 exec_lo, exec_lo, s1
	s_cbranch_execz .LBB79_251
; %bb.246:
	v_cmp_ngt_f32_e64 s1, |v216|, |v217|
                                        ; implicit-def: $vgpr218_vgpr219
	s_and_saveexec_b32 s4, s1
	s_delay_alu instid0(SALU_CYCLE_1)
	s_xor_b32 s1, exec_lo, s4
	s_cbranch_execz .LBB79_248
; %bb.247:
	v_div_scale_f32 v0, null, v217, v217, v216
	v_div_scale_f32 v219, vcc_lo, v216, v217, v216
	s_delay_alu instid0(VALU_DEP_2) | instskip(SKIP_1) | instid1(TRANS32_DEP_1)
	v_rcp_f32_e32 v1, v0
	v_nop
	v_fma_f32 v218, -v0, v1, 1.0
	s_delay_alu instid0(VALU_DEP_1) | instskip(NEXT) | instid1(VALU_DEP_1)
	v_fmac_f32_e32 v1, v218, v1
	v_mul_f32_e32 v218, v219, v1
	s_delay_alu instid0(VALU_DEP_1) | instskip(NEXT) | instid1(VALU_DEP_1)
	v_fma_f32 v220, -v0, v218, v219
	v_fmac_f32_e32 v218, v220, v1
	s_delay_alu instid0(VALU_DEP_1) | instskip(NEXT) | instid1(VALU_DEP_1)
	v_fma_f32 v0, -v0, v218, v219
	v_div_fmas_f32 v0, v0, v1, v218
	s_delay_alu instid0(VALU_DEP_1) | instskip(NEXT) | instid1(VALU_DEP_1)
	v_div_fixup_f32 v0, v0, v217, v216
	v_fmac_f32_e32 v217, v216, v0
	s_delay_alu instid0(VALU_DEP_1) | instskip(SKIP_1) | instid1(VALU_DEP_2)
	v_div_scale_f32 v1, null, v217, v217, 1.0
	v_div_scale_f32 v219, vcc_lo, 1.0, v217, 1.0
	v_rcp_f32_e32 v216, v1
	v_nop
	s_delay_alu instid0(TRANS32_DEP_1) | instskip(NEXT) | instid1(VALU_DEP_1)
	v_fma_f32 v218, -v1, v216, 1.0
	v_fmac_f32_e32 v216, v218, v216
	s_delay_alu instid0(VALU_DEP_1) | instskip(NEXT) | instid1(VALU_DEP_1)
	v_mul_f32_e32 v218, v219, v216
	v_fma_f32 v220, -v1, v218, v219
	s_delay_alu instid0(VALU_DEP_1) | instskip(NEXT) | instid1(VALU_DEP_1)
	v_fmac_f32_e32 v218, v220, v216
	v_fma_f32 v1, -v1, v218, v219
	s_delay_alu instid0(VALU_DEP_1) | instskip(NEXT) | instid1(VALU_DEP_1)
	v_div_fmas_f32 v1, v1, v216, v218
	v_div_fixup_f32 v1, v1, v217, 1.0
                                        ; implicit-def: $vgpr216_vgpr217
	s_delay_alu instid0(VALU_DEP_1)
	v_mul_f32_e32 v218, v0, v1
	v_xor_b32_e32 v219, 0x80000000, v1
.LBB79_248:
	s_and_not1_saveexec_b32 s1, s1
	s_cbranch_execz .LBB79_250
; %bb.249:
	v_div_scale_f32 v0, null, v216, v216, v217
	v_div_scale_f32 v219, vcc_lo, v217, v216, v217
	s_delay_alu instid0(VALU_DEP_2) | instskip(SKIP_1) | instid1(TRANS32_DEP_1)
	v_rcp_f32_e32 v1, v0
	v_nop
	v_fma_f32 v218, -v0, v1, 1.0
	s_delay_alu instid0(VALU_DEP_1) | instskip(NEXT) | instid1(VALU_DEP_1)
	v_fmac_f32_e32 v1, v218, v1
	v_mul_f32_e32 v218, v219, v1
	s_delay_alu instid0(VALU_DEP_1) | instskip(NEXT) | instid1(VALU_DEP_1)
	v_fma_f32 v220, -v0, v218, v219
	v_fmac_f32_e32 v218, v220, v1
	s_delay_alu instid0(VALU_DEP_1) | instskip(NEXT) | instid1(VALU_DEP_1)
	v_fma_f32 v0, -v0, v218, v219
	v_div_fmas_f32 v0, v0, v1, v218
	s_delay_alu instid0(VALU_DEP_1) | instskip(NEXT) | instid1(VALU_DEP_1)
	v_div_fixup_f32 v0, v0, v216, v217
	v_fmac_f32_e32 v216, v217, v0
	s_delay_alu instid0(VALU_DEP_1) | instskip(NEXT) | instid1(VALU_DEP_1)
	v_div_scale_f32 v1, null, v216, v216, 1.0
	v_rcp_f32_e32 v217, v1
	v_nop
	s_delay_alu instid0(TRANS32_DEP_1) | instskip(NEXT) | instid1(VALU_DEP_1)
	v_fma_f32 v218, -v1, v217, 1.0
	v_fmac_f32_e32 v217, v218, v217
	v_div_scale_f32 v218, vcc_lo, 1.0, v216, 1.0
	s_delay_alu instid0(VALU_DEP_1) | instskip(NEXT) | instid1(VALU_DEP_1)
	v_mul_f32_e32 v219, v218, v217
	v_fma_f32 v220, -v1, v219, v218
	s_delay_alu instid0(VALU_DEP_1) | instskip(NEXT) | instid1(VALU_DEP_1)
	v_fmac_f32_e32 v219, v220, v217
	v_fma_f32 v1, -v1, v219, v218
	s_delay_alu instid0(VALU_DEP_1) | instskip(NEXT) | instid1(VALU_DEP_1)
	v_div_fmas_f32 v1, v1, v217, v219
	v_div_fixup_f32 v218, v1, v216, 1.0
	s_delay_alu instid0(VALU_DEP_1)
	v_mul_f32_e64 v219, v0, -v218
.LBB79_250:
	s_or_b32 exec_lo, exec_lo, s1
	ds_store_b64 v243, v[218:219]
.LBB79_251:
	s_or_b32 exec_lo, exec_lo, s2
	s_wait_dscnt 0x0
	s_barrier_signal -1
	s_barrier_wait -1
	ds_load_b64 v[216:217], v243
	s_mov_b32 s1, exec_lo
	v_cmpx_lt_u32_e32 27, v242
	s_cbranch_execz .LBB79_253
; %bb.252:
	ds_load_2addr_b64 v[222:225], v244 offset0:28 offset1:29
	s_wait_dscnt 0x1
	v_pk_mul_f32 v[220:221], v[216:217], v[94:95] op_sel:[1,1] op_sel_hi:[0,1]
	s_delay_alu instid0(VALU_DEP_1) | instskip(SKIP_1) | instid1(VALU_DEP_1)
	v_pk_fma_f32 v[218:219], v[216:217], v[94:95], v[220:221] op_sel_hi:[1,0,1] neg_lo:[0,0,1] neg_hi:[0,0,1]
	v_pk_fma_f32 v[220:221], v[216:217], v[94:95], v[220:221] op_sel_hi:[1,0,1]
	v_dual_mov_b32 v94, v218 :: v_dual_mov_b32 v95, v221
	s_wait_dscnt 0x0
	s_delay_alu instid0(VALU_DEP_2) | instskip(NEXT) | instid1(VALU_DEP_1)
	v_pk_mul_f32 v[226:227], v[222:223], v[220:221] op_sel:[0,1]
	v_pk_fma_f32 v[228:229], v[222:223], v[218:219], v[226:227] op_sel:[0,0,1] op_sel_hi:[1,1,0] neg_lo:[0,0,1] neg_hi:[0,0,1]
	v_pk_fma_f32 v[222:223], v[222:223], v[218:219], v[226:227] op_sel:[0,0,1] op_sel_hi:[1,0,0]
	s_delay_alu instid0(VALU_DEP_1) | instskip(SKIP_1) | instid1(VALU_DEP_1)
	v_mov_b32_e32 v229, v223
	v_pk_mul_f32 v[222:223], v[224:225], v[220:221] op_sel:[0,1]
	v_pk_fma_f32 v[226:227], v[224:225], v[218:219], v[222:223] op_sel:[0,0,1] op_sel_hi:[1,1,0] neg_lo:[0,0,1] neg_hi:[0,0,1]
	v_pk_fma_f32 v[222:223], v[224:225], v[218:219], v[222:223] op_sel:[0,0,1] op_sel_hi:[1,0,0]
	s_delay_alu instid0(VALU_DEP_1)
	v_mov_b32_e32 v227, v223
	ds_load_2addr_b64 v[222:225], v244 offset0:30 offset1:31
	v_pk_add_f32 v[128:129], v[128:129], v[228:229] neg_lo:[0,1] neg_hi:[0,1]
	v_pk_add_f32 v[124:125], v[124:125], v[226:227] neg_lo:[0,1] neg_hi:[0,1]
	s_wait_dscnt 0x0
	v_pk_mul_f32 v[226:227], v[222:223], v[220:221] op_sel:[0,1]
	s_delay_alu instid0(VALU_DEP_1) | instskip(SKIP_2) | instid1(VALU_DEP_2)
	v_pk_fma_f32 v[228:229], v[222:223], v[218:219], v[226:227] op_sel:[0,0,1] op_sel_hi:[1,1,0] neg_lo:[0,0,1] neg_hi:[0,0,1]
	v_pk_fma_f32 v[222:223], v[222:223], v[218:219], v[226:227] op_sel:[0,0,1] op_sel_hi:[1,0,0]
	v_dual_mul_f32 v226, v225, v221 :: v_dual_mov_b32 v222, v225
	v_dual_mov_b32 v229, v223 :: v_dual_mov_b32 v223, v224
	s_delay_alu instid0(VALU_DEP_2) | instskip(SKIP_1) | instid1(VALU_DEP_3)
	v_pk_fma_f32 v[226:227], v[224:225], v[94:95], v[226:227] op_sel_hi:[1,1,0] neg_lo:[0,0,1] neg_hi:[0,0,1]
	v_mul_f32_e32 v224, v225, v218
	v_pk_add_f32 v[126:127], v[126:127], v[228:229] neg_lo:[0,1] neg_hi:[0,1]
	s_delay_alu instid0(VALU_DEP_2) | instskip(NEXT) | instid1(VALU_DEP_1)
	v_pk_fma_f32 v[222:223], v[222:223], v[94:95], v[224:225] op_sel_hi:[1,1,0]
	v_mov_b32_e32 v227, v223
	ds_load_2addr_b64 v[222:225], v244 offset0:32 offset1:33
	v_pk_add_f32 v[122:123], v[122:123], v[226:227] neg_lo:[0,1] neg_hi:[0,1]
	s_wait_dscnt 0x0
	v_pk_mul_f32 v[226:227], v[222:223], v[220:221] op_sel:[0,1]
	s_delay_alu instid0(VALU_DEP_1) | instskip(SKIP_1) | instid1(VALU_DEP_1)
	v_pk_fma_f32 v[228:229], v[222:223], v[218:219], v[226:227] op_sel:[0,0,1] op_sel_hi:[1,1,0] neg_lo:[0,0,1] neg_hi:[0,0,1]
	v_pk_fma_f32 v[222:223], v[222:223], v[218:219], v[226:227] op_sel:[0,0,1] op_sel_hi:[1,0,0]
	v_mov_b32_e32 v229, v223
	v_pk_mul_f32 v[222:223], v[224:225], v[220:221] op_sel:[0,1]
	s_delay_alu instid0(VALU_DEP_1) | instskip(SKIP_1) | instid1(VALU_DEP_1)
	v_pk_fma_f32 v[226:227], v[224:225], v[218:219], v[222:223] op_sel:[0,0,1] op_sel_hi:[1,1,0] neg_lo:[0,0,1] neg_hi:[0,0,1]
	v_pk_fma_f32 v[222:223], v[224:225], v[218:219], v[222:223] op_sel:[0,0,1] op_sel_hi:[1,0,0]
	v_mov_b32_e32 v227, v223
	ds_load_2addr_b64 v[222:225], v244 offset0:34 offset1:35
	v_pk_add_f32 v[152:153], v[152:153], v[228:229] neg_lo:[0,1] neg_hi:[0,1]
	v_pk_add_f32 v[148:149], v[148:149], v[226:227] neg_lo:[0,1] neg_hi:[0,1]
	s_wait_dscnt 0x0
	v_pk_mul_f32 v[226:227], v[222:223], v[220:221] op_sel:[0,1]
	s_delay_alu instid0(VALU_DEP_1) | instskip(SKIP_1) | instid1(VALU_DEP_1)
	v_pk_fma_f32 v[228:229], v[222:223], v[218:219], v[226:227] op_sel:[0,0,1] op_sel_hi:[1,1,0] neg_lo:[0,0,1] neg_hi:[0,0,1]
	v_pk_fma_f32 v[222:223], v[222:223], v[218:219], v[226:227] op_sel:[0,0,1] op_sel_hi:[1,0,0]
	v_mov_b32_e32 v229, v223
	v_pk_mul_f32 v[222:223], v[224:225], v[220:221] op_sel:[0,1]
	s_delay_alu instid0(VALU_DEP_1) | instskip(SKIP_1) | instid1(VALU_DEP_1)
	v_pk_fma_f32 v[226:227], v[224:225], v[218:219], v[222:223] op_sel:[0,0,1] op_sel_hi:[1,1,0] neg_lo:[0,0,1] neg_hi:[0,0,1]
	v_pk_fma_f32 v[222:223], v[224:225], v[218:219], v[222:223] op_sel:[0,0,1] op_sel_hi:[1,0,0]
	v_mov_b32_e32 v227, v223
	ds_load_2addr_b64 v[222:225], v244 offset0:36 offset1:37
	v_pk_add_f32 v[150:151], v[150:151], v[228:229] neg_lo:[0,1] neg_hi:[0,1]
	v_pk_add_f32 v[146:147], v[146:147], v[226:227] neg_lo:[0,1] neg_hi:[0,1]
	s_wait_dscnt 0x0
	v_dual_mul_f32 v226, v223, v221 :: v_dual_mul_f32 v228, v223, v218
	s_delay_alu instid0(VALU_DEP_1) | instskip(NEXT) | instid1(VALU_DEP_2)
	v_pk_fma_f32 v[226:227], v[222:223], v[94:95], v[226:227] op_sel_hi:[1,1,0] neg_lo:[0,0,1] neg_hi:[0,0,1]
	v_pk_fma_f32 v[222:223], v[222:223], v[94:95], v[228:229] op_sel:[1,0,0] op_sel_hi:[0,1,0]
	s_delay_alu instid0(VALU_DEP_1) | instskip(SKIP_1) | instid1(VALU_DEP_2)
	v_mov_b32_e32 v227, v223
	v_pk_mul_f32 v[222:223], v[224:225], v[220:221] op_sel:[0,1]
	v_pk_add_f32 v[158:159], v[158:159], v[226:227] neg_lo:[0,1] neg_hi:[0,1]
	s_delay_alu instid0(VALU_DEP_2) | instskip(SKIP_1) | instid1(VALU_DEP_1)
	v_pk_fma_f32 v[226:227], v[224:225], v[218:219], v[222:223] op_sel:[0,0,1] op_sel_hi:[1,1,0] neg_lo:[0,0,1] neg_hi:[0,0,1]
	v_pk_fma_f32 v[222:223], v[224:225], v[218:219], v[222:223] op_sel:[0,0,1] op_sel_hi:[1,0,0]
	v_mov_b32_e32 v227, v223
	ds_load_2addr_b64 v[222:225], v244 offset0:38 offset1:39
	v_pk_add_f32 v[156:157], v[156:157], v[226:227] neg_lo:[0,1] neg_hi:[0,1]
	s_wait_dscnt 0x0
	v_pk_mul_f32 v[226:227], v[222:223], v[220:221] op_sel:[0,1]
	v_mul_f32_e32 v220, v225, v221
	s_delay_alu instid0(VALU_DEP_2) | instskip(SKIP_2) | instid1(VALU_DEP_4)
	v_pk_fma_f32 v[228:229], v[222:223], v[218:219], v[226:227] op_sel:[0,0,1] op_sel_hi:[1,1,0] neg_lo:[0,0,1] neg_hi:[0,0,1]
	v_pk_fma_f32 v[222:223], v[222:223], v[218:219], v[226:227] op_sel:[0,0,1] op_sel_hi:[1,0,0]
	v_dual_mov_b32 v222, v225 :: v_dual_mul_f32 v218, v225, v218
	v_pk_fma_f32 v[220:221], v[224:225], v[94:95], v[220:221] op_sel_hi:[1,1,0] neg_lo:[0,0,1] neg_hi:[0,0,1]
	s_delay_alu instid0(VALU_DEP_3) | instskip(NEXT) | instid1(VALU_DEP_1)
	v_dual_mov_b32 v229, v223 :: v_dual_mov_b32 v223, v224
	v_pk_add_f32 v[154:155], v[154:155], v[228:229] neg_lo:[0,1] neg_hi:[0,1]
	s_delay_alu instid0(VALU_DEP_2) | instskip(NEXT) | instid1(VALU_DEP_1)
	v_pk_fma_f32 v[218:219], v[222:223], v[94:95], v[218:219] op_sel_hi:[1,1,0]
	v_mov_b32_e32 v221, v219
	s_delay_alu instid0(VALU_DEP_1)
	v_pk_add_f32 v[160:161], v[160:161], v[220:221] neg_lo:[0,1] neg_hi:[0,1]
.LBB79_253:
	s_or_b32 exec_lo, exec_lo, s1
	s_delay_alu instid0(SALU_CYCLE_1)
	s_mov_b32 s2, exec_lo
	s_wait_dscnt 0x0
	s_barrier_signal -1
	s_barrier_wait -1
	v_cmpx_eq_u32_e32 28, v242
	s_cbranch_execz .LBB79_260
; %bb.254:
	ds_store_b64 v243, v[128:129]
	ds_store_2addr_b64 v244, v[124:125], v[126:127] offset0:29 offset1:30
	ds_store_2addr_b64 v244, v[122:123], v[152:153] offset0:31 offset1:32
	;; [unrolled: 1-line block ×5, first 2 shown]
	ds_store_b64 v244, v[160:161] offset:312
	ds_load_b64 v[218:219], v243
	s_wait_dscnt 0x0
	v_cmp_neq_f32_e32 vcc_lo, 0, v218
	v_cmp_neq_f32_e64 s1, 0, v219
	s_or_b32 s1, vcc_lo, s1
	s_delay_alu instid0(SALU_CYCLE_1)
	s_and_b32 exec_lo, exec_lo, s1
	s_cbranch_execz .LBB79_260
; %bb.255:
	v_cmp_ngt_f32_e64 s1, |v218|, |v219|
                                        ; implicit-def: $vgpr220_vgpr221
	s_and_saveexec_b32 s4, s1
	s_delay_alu instid0(SALU_CYCLE_1)
	s_xor_b32 s1, exec_lo, s4
	s_cbranch_execz .LBB79_257
; %bb.256:
	v_div_scale_f32 v0, null, v219, v219, v218
	v_div_scale_f32 v221, vcc_lo, v218, v219, v218
	s_delay_alu instid0(VALU_DEP_2) | instskip(SKIP_1) | instid1(TRANS32_DEP_1)
	v_rcp_f32_e32 v1, v0
	v_nop
	v_fma_f32 v220, -v0, v1, 1.0
	s_delay_alu instid0(VALU_DEP_1) | instskip(NEXT) | instid1(VALU_DEP_1)
	v_fmac_f32_e32 v1, v220, v1
	v_mul_f32_e32 v220, v221, v1
	s_delay_alu instid0(VALU_DEP_1) | instskip(NEXT) | instid1(VALU_DEP_1)
	v_fma_f32 v222, -v0, v220, v221
	v_fmac_f32_e32 v220, v222, v1
	s_delay_alu instid0(VALU_DEP_1) | instskip(NEXT) | instid1(VALU_DEP_1)
	v_fma_f32 v0, -v0, v220, v221
	v_div_fmas_f32 v0, v0, v1, v220
	s_delay_alu instid0(VALU_DEP_1) | instskip(NEXT) | instid1(VALU_DEP_1)
	v_div_fixup_f32 v0, v0, v219, v218
	v_fmac_f32_e32 v219, v218, v0
	s_delay_alu instid0(VALU_DEP_1) | instskip(SKIP_1) | instid1(VALU_DEP_2)
	v_div_scale_f32 v1, null, v219, v219, 1.0
	v_div_scale_f32 v221, vcc_lo, 1.0, v219, 1.0
	v_rcp_f32_e32 v218, v1
	v_nop
	s_delay_alu instid0(TRANS32_DEP_1) | instskip(NEXT) | instid1(VALU_DEP_1)
	v_fma_f32 v220, -v1, v218, 1.0
	v_fmac_f32_e32 v218, v220, v218
	s_delay_alu instid0(VALU_DEP_1) | instskip(NEXT) | instid1(VALU_DEP_1)
	v_mul_f32_e32 v220, v221, v218
	v_fma_f32 v222, -v1, v220, v221
	s_delay_alu instid0(VALU_DEP_1) | instskip(NEXT) | instid1(VALU_DEP_1)
	v_fmac_f32_e32 v220, v222, v218
	v_fma_f32 v1, -v1, v220, v221
	s_delay_alu instid0(VALU_DEP_1) | instskip(NEXT) | instid1(VALU_DEP_1)
	v_div_fmas_f32 v1, v1, v218, v220
	v_div_fixup_f32 v1, v1, v219, 1.0
                                        ; implicit-def: $vgpr218_vgpr219
	s_delay_alu instid0(VALU_DEP_1)
	v_mul_f32_e32 v220, v0, v1
	v_xor_b32_e32 v221, 0x80000000, v1
.LBB79_257:
	s_and_not1_saveexec_b32 s1, s1
	s_cbranch_execz .LBB79_259
; %bb.258:
	v_div_scale_f32 v0, null, v218, v218, v219
	v_div_scale_f32 v221, vcc_lo, v219, v218, v219
	s_delay_alu instid0(VALU_DEP_2) | instskip(SKIP_1) | instid1(TRANS32_DEP_1)
	v_rcp_f32_e32 v1, v0
	v_nop
	v_fma_f32 v220, -v0, v1, 1.0
	s_delay_alu instid0(VALU_DEP_1) | instskip(NEXT) | instid1(VALU_DEP_1)
	v_fmac_f32_e32 v1, v220, v1
	v_mul_f32_e32 v220, v221, v1
	s_delay_alu instid0(VALU_DEP_1) | instskip(NEXT) | instid1(VALU_DEP_1)
	v_fma_f32 v222, -v0, v220, v221
	v_fmac_f32_e32 v220, v222, v1
	s_delay_alu instid0(VALU_DEP_1) | instskip(NEXT) | instid1(VALU_DEP_1)
	v_fma_f32 v0, -v0, v220, v221
	v_div_fmas_f32 v0, v0, v1, v220
	s_delay_alu instid0(VALU_DEP_1) | instskip(NEXT) | instid1(VALU_DEP_1)
	v_div_fixup_f32 v0, v0, v218, v219
	v_fmac_f32_e32 v218, v219, v0
	s_delay_alu instid0(VALU_DEP_1) | instskip(NEXT) | instid1(VALU_DEP_1)
	v_div_scale_f32 v1, null, v218, v218, 1.0
	v_rcp_f32_e32 v219, v1
	v_nop
	s_delay_alu instid0(TRANS32_DEP_1) | instskip(NEXT) | instid1(VALU_DEP_1)
	v_fma_f32 v220, -v1, v219, 1.0
	v_fmac_f32_e32 v219, v220, v219
	v_div_scale_f32 v220, vcc_lo, 1.0, v218, 1.0
	s_delay_alu instid0(VALU_DEP_1) | instskip(NEXT) | instid1(VALU_DEP_1)
	v_mul_f32_e32 v221, v220, v219
	v_fma_f32 v222, -v1, v221, v220
	s_delay_alu instid0(VALU_DEP_1) | instskip(NEXT) | instid1(VALU_DEP_1)
	v_fmac_f32_e32 v221, v222, v219
	v_fma_f32 v1, -v1, v221, v220
	s_delay_alu instid0(VALU_DEP_1) | instskip(NEXT) | instid1(VALU_DEP_1)
	v_div_fmas_f32 v1, v1, v219, v221
	v_div_fixup_f32 v220, v1, v218, 1.0
	s_delay_alu instid0(VALU_DEP_1)
	v_mul_f32_e64 v221, v0, -v220
.LBB79_259:
	s_or_b32 exec_lo, exec_lo, s1
	ds_store_b64 v243, v[220:221]
.LBB79_260:
	s_or_b32 exec_lo, exec_lo, s2
	s_wait_dscnt 0x0
	s_barrier_signal -1
	s_barrier_wait -1
	ds_load_b64 v[218:219], v243
	s_mov_b32 s1, exec_lo
	v_cmpx_lt_u32_e32 28, v242
	s_cbranch_execz .LBB79_262
; %bb.261:
	ds_load_2addr_b64 v[224:227], v244 offset0:29 offset1:30
	s_wait_dscnt 0x1
	v_pk_mul_f32 v[222:223], v[218:219], v[128:129] op_sel:[1,1] op_sel_hi:[0,1]
	s_delay_alu instid0(VALU_DEP_1) | instskip(SKIP_1) | instid1(VALU_DEP_1)
	v_pk_fma_f32 v[220:221], v[218:219], v[128:129], v[222:223] op_sel_hi:[1,0,1] neg_lo:[0,0,1] neg_hi:[0,0,1]
	v_pk_fma_f32 v[222:223], v[218:219], v[128:129], v[222:223] op_sel_hi:[1,0,1]
	v_dual_mov_b32 v128, v220 :: v_dual_mov_b32 v129, v223
	s_wait_dscnt 0x0
	s_delay_alu instid0(VALU_DEP_2) | instskip(NEXT) | instid1(VALU_DEP_1)
	v_pk_mul_f32 v[228:229], v[224:225], v[222:223] op_sel:[0,1]
	v_pk_fma_f32 v[230:231], v[224:225], v[220:221], v[228:229] op_sel:[0,0,1] op_sel_hi:[1,1,0] neg_lo:[0,0,1] neg_hi:[0,0,1]
	v_pk_fma_f32 v[224:225], v[224:225], v[220:221], v[228:229] op_sel:[0,0,1] op_sel_hi:[1,0,0]
	s_delay_alu instid0(VALU_DEP_1) | instskip(SKIP_1) | instid1(VALU_DEP_1)
	v_mov_b32_e32 v231, v225
	v_pk_mul_f32 v[224:225], v[226:227], v[222:223] op_sel:[0,1]
	v_pk_fma_f32 v[228:229], v[226:227], v[220:221], v[224:225] op_sel:[0,0,1] op_sel_hi:[1,1,0] neg_lo:[0,0,1] neg_hi:[0,0,1]
	v_pk_fma_f32 v[224:225], v[226:227], v[220:221], v[224:225] op_sel:[0,0,1] op_sel_hi:[1,0,0]
	s_delay_alu instid0(VALU_DEP_1)
	v_mov_b32_e32 v229, v225
	ds_load_2addr_b64 v[224:227], v244 offset0:31 offset1:32
	v_pk_add_f32 v[124:125], v[124:125], v[230:231] neg_lo:[0,1] neg_hi:[0,1]
	v_pk_add_f32 v[126:127], v[126:127], v[228:229] neg_lo:[0,1] neg_hi:[0,1]
	s_wait_dscnt 0x0
	v_pk_mul_f32 v[228:229], v[224:225], v[222:223] op_sel:[0,1]
	s_delay_alu instid0(VALU_DEP_1) | instskip(SKIP_2) | instid1(VALU_DEP_2)
	v_pk_fma_f32 v[230:231], v[224:225], v[220:221], v[228:229] op_sel:[0,0,1] op_sel_hi:[1,1,0] neg_lo:[0,0,1] neg_hi:[0,0,1]
	v_pk_fma_f32 v[224:225], v[224:225], v[220:221], v[228:229] op_sel:[0,0,1] op_sel_hi:[1,0,0]
	v_dual_mul_f32 v228, v227, v223 :: v_dual_mov_b32 v224, v227
	v_dual_mov_b32 v231, v225 :: v_dual_mov_b32 v225, v226
	s_delay_alu instid0(VALU_DEP_2) | instskip(SKIP_1) | instid1(VALU_DEP_3)
	v_pk_fma_f32 v[228:229], v[226:227], v[128:129], v[228:229] op_sel_hi:[1,1,0] neg_lo:[0,0,1] neg_hi:[0,0,1]
	v_mul_f32_e32 v226, v227, v220
	v_pk_add_f32 v[122:123], v[122:123], v[230:231] neg_lo:[0,1] neg_hi:[0,1]
	s_delay_alu instid0(VALU_DEP_2) | instskip(NEXT) | instid1(VALU_DEP_1)
	v_pk_fma_f32 v[224:225], v[224:225], v[128:129], v[226:227] op_sel_hi:[1,1,0]
	v_mov_b32_e32 v229, v225
	ds_load_2addr_b64 v[224:227], v244 offset0:33 offset1:34
	v_pk_add_f32 v[152:153], v[152:153], v[228:229] neg_lo:[0,1] neg_hi:[0,1]
	s_wait_dscnt 0x0
	v_pk_mul_f32 v[228:229], v[224:225], v[222:223] op_sel:[0,1]
	s_delay_alu instid0(VALU_DEP_1) | instskip(SKIP_1) | instid1(VALU_DEP_1)
	v_pk_fma_f32 v[230:231], v[224:225], v[220:221], v[228:229] op_sel:[0,0,1] op_sel_hi:[1,1,0] neg_lo:[0,0,1] neg_hi:[0,0,1]
	v_pk_fma_f32 v[224:225], v[224:225], v[220:221], v[228:229] op_sel:[0,0,1] op_sel_hi:[1,0,0]
	v_mov_b32_e32 v231, v225
	v_pk_mul_f32 v[224:225], v[226:227], v[222:223] op_sel:[0,1]
	s_delay_alu instid0(VALU_DEP_1) | instskip(SKIP_1) | instid1(VALU_DEP_1)
	v_pk_fma_f32 v[228:229], v[226:227], v[220:221], v[224:225] op_sel:[0,0,1] op_sel_hi:[1,1,0] neg_lo:[0,0,1] neg_hi:[0,0,1]
	v_pk_fma_f32 v[224:225], v[226:227], v[220:221], v[224:225] op_sel:[0,0,1] op_sel_hi:[1,0,0]
	v_mov_b32_e32 v229, v225
	ds_load_2addr_b64 v[224:227], v244 offset0:35 offset1:36
	v_pk_add_f32 v[148:149], v[148:149], v[230:231] neg_lo:[0,1] neg_hi:[0,1]
	v_pk_add_f32 v[150:151], v[150:151], v[228:229] neg_lo:[0,1] neg_hi:[0,1]
	s_wait_dscnt 0x0
	v_pk_mul_f32 v[228:229], v[224:225], v[222:223] op_sel:[0,1]
	s_delay_alu instid0(VALU_DEP_1) | instskip(SKIP_1) | instid1(VALU_DEP_1)
	v_pk_fma_f32 v[230:231], v[224:225], v[220:221], v[228:229] op_sel:[0,0,1] op_sel_hi:[1,1,0] neg_lo:[0,0,1] neg_hi:[0,0,1]
	v_pk_fma_f32 v[224:225], v[224:225], v[220:221], v[228:229] op_sel:[0,0,1] op_sel_hi:[1,0,0]
	v_mov_b32_e32 v231, v225
	v_pk_mul_f32 v[224:225], v[226:227], v[222:223] op_sel:[0,1]
	s_delay_alu instid0(VALU_DEP_1) | instskip(SKIP_1) | instid1(VALU_DEP_1)
	v_pk_fma_f32 v[228:229], v[226:227], v[220:221], v[224:225] op_sel:[0,0,1] op_sel_hi:[1,1,0] neg_lo:[0,0,1] neg_hi:[0,0,1]
	v_pk_fma_f32 v[224:225], v[226:227], v[220:221], v[224:225] op_sel:[0,0,1] op_sel_hi:[1,0,0]
	v_mov_b32_e32 v229, v225
	ds_load_2addr_b64 v[224:227], v244 offset0:37 offset1:38
	v_pk_add_f32 v[146:147], v[146:147], v[230:231] neg_lo:[0,1] neg_hi:[0,1]
	v_pk_add_f32 v[158:159], v[158:159], v[228:229] neg_lo:[0,1] neg_hi:[0,1]
	s_wait_dscnt 0x0
	v_dual_mul_f32 v228, v225, v223 :: v_dual_mul_f32 v230, v225, v220
	s_delay_alu instid0(VALU_DEP_1) | instskip(NEXT) | instid1(VALU_DEP_2)
	v_pk_fma_f32 v[228:229], v[224:225], v[128:129], v[228:229] op_sel_hi:[1,1,0] neg_lo:[0,0,1] neg_hi:[0,0,1]
	v_pk_fma_f32 v[224:225], v[224:225], v[128:129], v[230:231] op_sel:[1,0,0] op_sel_hi:[0,1,0]
	s_delay_alu instid0(VALU_DEP_1) | instskip(SKIP_1) | instid1(VALU_DEP_2)
	v_mov_b32_e32 v229, v225
	v_pk_mul_f32 v[224:225], v[226:227], v[222:223] op_sel:[0,1]
	v_pk_add_f32 v[156:157], v[156:157], v[228:229] neg_lo:[0,1] neg_hi:[0,1]
	s_delay_alu instid0(VALU_DEP_2) | instskip(SKIP_1) | instid1(VALU_DEP_1)
	v_pk_fma_f32 v[228:229], v[226:227], v[220:221], v[224:225] op_sel:[0,0,1] op_sel_hi:[1,1,0] neg_lo:[0,0,1] neg_hi:[0,0,1]
	v_pk_fma_f32 v[224:225], v[226:227], v[220:221], v[224:225] op_sel:[0,0,1] op_sel_hi:[1,0,0]
	v_mov_b32_e32 v229, v225
	ds_load_b64 v[224:225], v244 offset:312
	v_pk_add_f32 v[154:155], v[154:155], v[228:229] neg_lo:[0,1] neg_hi:[0,1]
	s_wait_dscnt 0x0
	v_pk_mul_f32 v[222:223], v[224:225], v[222:223] op_sel:[0,1]
	s_delay_alu instid0(VALU_DEP_1) | instskip(SKIP_1) | instid1(VALU_DEP_1)
	v_pk_fma_f32 v[226:227], v[224:225], v[220:221], v[222:223] op_sel:[0,0,1] op_sel_hi:[1,1,0] neg_lo:[0,0,1] neg_hi:[0,0,1]
	v_pk_fma_f32 v[220:221], v[224:225], v[220:221], v[222:223] op_sel:[0,0,1] op_sel_hi:[1,0,0]
	v_mov_b32_e32 v227, v221
	s_delay_alu instid0(VALU_DEP_1)
	v_pk_add_f32 v[160:161], v[160:161], v[226:227] neg_lo:[0,1] neg_hi:[0,1]
.LBB79_262:
	s_or_b32 exec_lo, exec_lo, s1
	s_delay_alu instid0(SALU_CYCLE_1)
	s_mov_b32 s2, exec_lo
	s_wait_dscnt 0x0
	s_barrier_signal -1
	s_barrier_wait -1
	v_cmpx_eq_u32_e32 29, v242
	s_cbranch_execz .LBB79_269
; %bb.263:
	v_dual_mov_b32 v220, v126 :: v_dual_mov_b32 v221, v127
	v_dual_mov_b32 v222, v122 :: v_dual_mov_b32 v223, v123
	;; [unrolled: 1-line block ×9, first 2 shown]
	ds_store_b64 v243, v[124:125]
	ds_store_2addr_b64 v244, v[220:221], v[222:223] offset0:30 offset1:31
	ds_store_2addr_b64 v244, v[224:225], v[226:227] offset0:32 offset1:33
	;; [unrolled: 1-line block ×5, first 2 shown]
	ds_load_b64 v[220:221], v243
	s_wait_dscnt 0x0
	v_cmp_neq_f32_e32 vcc_lo, 0, v220
	v_cmp_neq_f32_e64 s1, 0, v221
	s_or_b32 s1, vcc_lo, s1
	s_delay_alu instid0(SALU_CYCLE_1)
	s_and_b32 exec_lo, exec_lo, s1
	s_cbranch_execz .LBB79_269
; %bb.264:
	v_cmp_ngt_f32_e64 s1, |v220|, |v221|
                                        ; implicit-def: $vgpr222_vgpr223
	s_and_saveexec_b32 s4, s1
	s_delay_alu instid0(SALU_CYCLE_1)
	s_xor_b32 s1, exec_lo, s4
	s_cbranch_execz .LBB79_266
; %bb.265:
	v_div_scale_f32 v0, null, v221, v221, v220
	v_div_scale_f32 v223, vcc_lo, v220, v221, v220
	s_delay_alu instid0(VALU_DEP_2) | instskip(SKIP_1) | instid1(TRANS32_DEP_1)
	v_rcp_f32_e32 v1, v0
	v_nop
	v_fma_f32 v222, -v0, v1, 1.0
	s_delay_alu instid0(VALU_DEP_1) | instskip(NEXT) | instid1(VALU_DEP_1)
	v_fmac_f32_e32 v1, v222, v1
	v_mul_f32_e32 v222, v223, v1
	s_delay_alu instid0(VALU_DEP_1) | instskip(NEXT) | instid1(VALU_DEP_1)
	v_fma_f32 v224, -v0, v222, v223
	v_fmac_f32_e32 v222, v224, v1
	s_delay_alu instid0(VALU_DEP_1) | instskip(NEXT) | instid1(VALU_DEP_1)
	v_fma_f32 v0, -v0, v222, v223
	v_div_fmas_f32 v0, v0, v1, v222
	s_delay_alu instid0(VALU_DEP_1) | instskip(NEXT) | instid1(VALU_DEP_1)
	v_div_fixup_f32 v0, v0, v221, v220
	v_fmac_f32_e32 v221, v220, v0
	s_delay_alu instid0(VALU_DEP_1) | instskip(SKIP_1) | instid1(VALU_DEP_2)
	v_div_scale_f32 v1, null, v221, v221, 1.0
	v_div_scale_f32 v223, vcc_lo, 1.0, v221, 1.0
	v_rcp_f32_e32 v220, v1
	v_nop
	s_delay_alu instid0(TRANS32_DEP_1) | instskip(NEXT) | instid1(VALU_DEP_1)
	v_fma_f32 v222, -v1, v220, 1.0
	v_fmac_f32_e32 v220, v222, v220
	s_delay_alu instid0(VALU_DEP_1) | instskip(NEXT) | instid1(VALU_DEP_1)
	v_mul_f32_e32 v222, v223, v220
	v_fma_f32 v224, -v1, v222, v223
	s_delay_alu instid0(VALU_DEP_1) | instskip(NEXT) | instid1(VALU_DEP_1)
	v_fmac_f32_e32 v222, v224, v220
	v_fma_f32 v1, -v1, v222, v223
	s_delay_alu instid0(VALU_DEP_1) | instskip(NEXT) | instid1(VALU_DEP_1)
	v_div_fmas_f32 v1, v1, v220, v222
	v_div_fixup_f32 v1, v1, v221, 1.0
                                        ; implicit-def: $vgpr220_vgpr221
	s_delay_alu instid0(VALU_DEP_1)
	v_mul_f32_e32 v222, v0, v1
	v_xor_b32_e32 v223, 0x80000000, v1
.LBB79_266:
	s_and_not1_saveexec_b32 s1, s1
	s_cbranch_execz .LBB79_268
; %bb.267:
	v_div_scale_f32 v0, null, v220, v220, v221
	v_div_scale_f32 v223, vcc_lo, v221, v220, v221
	s_delay_alu instid0(VALU_DEP_2) | instskip(SKIP_1) | instid1(TRANS32_DEP_1)
	v_rcp_f32_e32 v1, v0
	v_nop
	v_fma_f32 v222, -v0, v1, 1.0
	s_delay_alu instid0(VALU_DEP_1) | instskip(NEXT) | instid1(VALU_DEP_1)
	v_fmac_f32_e32 v1, v222, v1
	v_mul_f32_e32 v222, v223, v1
	s_delay_alu instid0(VALU_DEP_1) | instskip(NEXT) | instid1(VALU_DEP_1)
	v_fma_f32 v224, -v0, v222, v223
	v_fmac_f32_e32 v222, v224, v1
	s_delay_alu instid0(VALU_DEP_1) | instskip(NEXT) | instid1(VALU_DEP_1)
	v_fma_f32 v0, -v0, v222, v223
	v_div_fmas_f32 v0, v0, v1, v222
	s_delay_alu instid0(VALU_DEP_1) | instskip(NEXT) | instid1(VALU_DEP_1)
	v_div_fixup_f32 v0, v0, v220, v221
	v_fmac_f32_e32 v220, v221, v0
	s_delay_alu instid0(VALU_DEP_1) | instskip(NEXT) | instid1(VALU_DEP_1)
	v_div_scale_f32 v1, null, v220, v220, 1.0
	v_rcp_f32_e32 v221, v1
	v_nop
	s_delay_alu instid0(TRANS32_DEP_1) | instskip(NEXT) | instid1(VALU_DEP_1)
	v_fma_f32 v222, -v1, v221, 1.0
	v_fmac_f32_e32 v221, v222, v221
	v_div_scale_f32 v222, vcc_lo, 1.0, v220, 1.0
	s_delay_alu instid0(VALU_DEP_1) | instskip(NEXT) | instid1(VALU_DEP_1)
	v_mul_f32_e32 v223, v222, v221
	v_fma_f32 v224, -v1, v223, v222
	s_delay_alu instid0(VALU_DEP_1) | instskip(NEXT) | instid1(VALU_DEP_1)
	v_fmac_f32_e32 v223, v224, v221
	v_fma_f32 v1, -v1, v223, v222
	s_delay_alu instid0(VALU_DEP_1) | instskip(NEXT) | instid1(VALU_DEP_1)
	v_div_fmas_f32 v1, v1, v221, v223
	v_div_fixup_f32 v222, v1, v220, 1.0
	s_delay_alu instid0(VALU_DEP_1)
	v_mul_f32_e64 v223, v0, -v222
.LBB79_268:
	s_or_b32 exec_lo, exec_lo, s1
	ds_store_b64 v243, v[222:223]
.LBB79_269:
	s_or_b32 exec_lo, exec_lo, s2
	s_wait_dscnt 0x0
	s_barrier_signal -1
	s_barrier_wait -1
	ds_load_b64 v[220:221], v243
	s_mov_b32 s1, exec_lo
	v_cmpx_lt_u32_e32 29, v242
	s_cbranch_execz .LBB79_271
; %bb.270:
	ds_load_2addr_b64 v[226:229], v244 offset0:30 offset1:31
	s_wait_dscnt 0x1
	v_pk_mul_f32 v[224:225], v[220:221], v[124:125] op_sel:[1,1] op_sel_hi:[0,1]
	s_delay_alu instid0(VALU_DEP_1) | instskip(SKIP_1) | instid1(VALU_DEP_1)
	v_pk_fma_f32 v[222:223], v[220:221], v[124:125], v[224:225] op_sel_hi:[1,0,1] neg_lo:[0,0,1] neg_hi:[0,0,1]
	v_pk_fma_f32 v[224:225], v[220:221], v[124:125], v[224:225] op_sel_hi:[1,0,1]
	v_dual_mov_b32 v124, v222 :: v_dual_mov_b32 v125, v225
	s_wait_dscnt 0x0
	s_delay_alu instid0(VALU_DEP_2) | instskip(NEXT) | instid1(VALU_DEP_1)
	v_pk_mul_f32 v[230:231], v[226:227], v[224:225] op_sel:[0,1]
	v_pk_fma_f32 v[232:233], v[226:227], v[222:223], v[230:231] op_sel:[0,0,1] op_sel_hi:[1,1,0] neg_lo:[0,0,1] neg_hi:[0,0,1]
	v_pk_fma_f32 v[226:227], v[226:227], v[222:223], v[230:231] op_sel:[0,0,1] op_sel_hi:[1,0,0]
	s_delay_alu instid0(VALU_DEP_1) | instskip(SKIP_1) | instid1(VALU_DEP_1)
	v_mov_b32_e32 v233, v227
	v_pk_mul_f32 v[226:227], v[228:229], v[224:225] op_sel:[0,1]
	v_pk_fma_f32 v[230:231], v[228:229], v[222:223], v[226:227] op_sel:[0,0,1] op_sel_hi:[1,1,0] neg_lo:[0,0,1] neg_hi:[0,0,1]
	v_pk_fma_f32 v[226:227], v[228:229], v[222:223], v[226:227] op_sel:[0,0,1] op_sel_hi:[1,0,0]
	s_delay_alu instid0(VALU_DEP_1)
	v_mov_b32_e32 v231, v227
	ds_load_2addr_b64 v[226:229], v244 offset0:32 offset1:33
	v_pk_add_f32 v[126:127], v[126:127], v[232:233] neg_lo:[0,1] neg_hi:[0,1]
	v_pk_add_f32 v[122:123], v[122:123], v[230:231] neg_lo:[0,1] neg_hi:[0,1]
	s_wait_dscnt 0x0
	v_pk_mul_f32 v[230:231], v[226:227], v[224:225] op_sel:[0,1]
	s_delay_alu instid0(VALU_DEP_1) | instskip(SKIP_2) | instid1(VALU_DEP_2)
	v_pk_fma_f32 v[232:233], v[226:227], v[222:223], v[230:231] op_sel:[0,0,1] op_sel_hi:[1,1,0] neg_lo:[0,0,1] neg_hi:[0,0,1]
	v_pk_fma_f32 v[226:227], v[226:227], v[222:223], v[230:231] op_sel:[0,0,1] op_sel_hi:[1,0,0]
	v_dual_mul_f32 v230, v229, v225 :: v_dual_mov_b32 v226, v229
	v_dual_mov_b32 v233, v227 :: v_dual_mov_b32 v227, v228
	s_delay_alu instid0(VALU_DEP_2) | instskip(SKIP_1) | instid1(VALU_DEP_3)
	v_pk_fma_f32 v[230:231], v[228:229], v[124:125], v[230:231] op_sel_hi:[1,1,0] neg_lo:[0,0,1] neg_hi:[0,0,1]
	v_mul_f32_e32 v228, v229, v222
	v_pk_add_f32 v[152:153], v[152:153], v[232:233] neg_lo:[0,1] neg_hi:[0,1]
	s_delay_alu instid0(VALU_DEP_2) | instskip(NEXT) | instid1(VALU_DEP_1)
	v_pk_fma_f32 v[226:227], v[226:227], v[124:125], v[228:229] op_sel_hi:[1,1,0]
	v_mov_b32_e32 v231, v227
	ds_load_2addr_b64 v[226:229], v244 offset0:34 offset1:35
	v_pk_add_f32 v[148:149], v[148:149], v[230:231] neg_lo:[0,1] neg_hi:[0,1]
	s_wait_dscnt 0x0
	v_pk_mul_f32 v[230:231], v[226:227], v[224:225] op_sel:[0,1]
	s_delay_alu instid0(VALU_DEP_1) | instskip(SKIP_1) | instid1(VALU_DEP_1)
	v_pk_fma_f32 v[232:233], v[226:227], v[222:223], v[230:231] op_sel:[0,0,1] op_sel_hi:[1,1,0] neg_lo:[0,0,1] neg_hi:[0,0,1]
	v_pk_fma_f32 v[226:227], v[226:227], v[222:223], v[230:231] op_sel:[0,0,1] op_sel_hi:[1,0,0]
	v_mov_b32_e32 v233, v227
	v_pk_mul_f32 v[226:227], v[228:229], v[224:225] op_sel:[0,1]
	s_delay_alu instid0(VALU_DEP_1) | instskip(SKIP_1) | instid1(VALU_DEP_1)
	v_pk_fma_f32 v[230:231], v[228:229], v[222:223], v[226:227] op_sel:[0,0,1] op_sel_hi:[1,1,0] neg_lo:[0,0,1] neg_hi:[0,0,1]
	v_pk_fma_f32 v[226:227], v[228:229], v[222:223], v[226:227] op_sel:[0,0,1] op_sel_hi:[1,0,0]
	v_mov_b32_e32 v231, v227
	ds_load_2addr_b64 v[226:229], v244 offset0:36 offset1:37
	v_pk_add_f32 v[150:151], v[150:151], v[232:233] neg_lo:[0,1] neg_hi:[0,1]
	v_pk_add_f32 v[146:147], v[146:147], v[230:231] neg_lo:[0,1] neg_hi:[0,1]
	s_wait_dscnt 0x0
	v_pk_mul_f32 v[230:231], v[226:227], v[224:225] op_sel:[0,1]
	s_delay_alu instid0(VALU_DEP_1) | instskip(SKIP_1) | instid1(VALU_DEP_1)
	v_pk_fma_f32 v[232:233], v[226:227], v[222:223], v[230:231] op_sel:[0,0,1] op_sel_hi:[1,1,0] neg_lo:[0,0,1] neg_hi:[0,0,1]
	v_pk_fma_f32 v[226:227], v[226:227], v[222:223], v[230:231] op_sel:[0,0,1] op_sel_hi:[1,0,0]
	v_mov_b32_e32 v233, v227
	v_pk_mul_f32 v[226:227], v[228:229], v[224:225] op_sel:[0,1]
	s_delay_alu instid0(VALU_DEP_1) | instskip(SKIP_1) | instid1(VALU_DEP_1)
	v_pk_fma_f32 v[230:231], v[228:229], v[222:223], v[226:227] op_sel:[0,0,1] op_sel_hi:[1,1,0] neg_lo:[0,0,1] neg_hi:[0,0,1]
	v_pk_fma_f32 v[226:227], v[228:229], v[222:223], v[226:227] op_sel:[0,0,1] op_sel_hi:[1,0,0]
	v_mov_b32_e32 v231, v227
	ds_load_2addr_b64 v[226:229], v244 offset0:38 offset1:39
	v_pk_add_f32 v[158:159], v[158:159], v[232:233] neg_lo:[0,1] neg_hi:[0,1]
	v_pk_add_f32 v[156:157], v[156:157], v[230:231] neg_lo:[0,1] neg_hi:[0,1]
	s_wait_dscnt 0x0
	v_dual_mul_f32 v230, v227, v225 :: v_dual_mul_f32 v232, v227, v222
	v_pk_mul_f32 v[224:225], v[228:229], v[224:225] op_sel:[0,1]
	s_delay_alu instid0(VALU_DEP_2) | instskip(NEXT) | instid1(VALU_DEP_3)
	v_pk_fma_f32 v[230:231], v[226:227], v[124:125], v[230:231] op_sel_hi:[1,1,0] neg_lo:[0,0,1] neg_hi:[0,0,1]
	v_pk_fma_f32 v[226:227], v[226:227], v[124:125], v[232:233] op_sel:[1,0,0] op_sel_hi:[0,1,0]
	s_delay_alu instid0(VALU_DEP_1) | instskip(NEXT) | instid1(VALU_DEP_4)
	v_mov_b32_e32 v231, v227
	v_pk_fma_f32 v[226:227], v[228:229], v[222:223], v[224:225] op_sel:[0,0,1] op_sel_hi:[1,1,0] neg_lo:[0,0,1] neg_hi:[0,0,1]
	v_pk_fma_f32 v[222:223], v[228:229], v[222:223], v[224:225] op_sel:[0,0,1] op_sel_hi:[1,0,0]
	s_delay_alu instid0(VALU_DEP_1) | instskip(NEXT) | instid1(VALU_DEP_4)
	v_mov_b32_e32 v227, v223
	v_pk_add_f32 v[154:155], v[154:155], v[230:231] neg_lo:[0,1] neg_hi:[0,1]
	s_delay_alu instid0(VALU_DEP_2)
	v_pk_add_f32 v[160:161], v[160:161], v[226:227] neg_lo:[0,1] neg_hi:[0,1]
.LBB79_271:
	s_or_b32 exec_lo, exec_lo, s1
	s_delay_alu instid0(SALU_CYCLE_1)
	s_mov_b32 s2, exec_lo
	s_wait_dscnt 0x0
	s_barrier_signal -1
	s_barrier_wait -1
	v_cmpx_eq_u32_e32 30, v242
	s_cbranch_execz .LBB79_278
; %bb.272:
	ds_store_b64 v243, v[126:127]
	ds_store_2addr_b64 v244, v[122:123], v[152:153] offset0:31 offset1:32
	ds_store_2addr_b64 v244, v[148:149], v[150:151] offset0:33 offset1:34
	;; [unrolled: 1-line block ×4, first 2 shown]
	ds_store_b64 v244, v[160:161] offset:312
	ds_load_b64 v[222:223], v243
	s_wait_dscnt 0x0
	v_cmp_neq_f32_e32 vcc_lo, 0, v222
	v_cmp_neq_f32_e64 s1, 0, v223
	s_or_b32 s1, vcc_lo, s1
	s_delay_alu instid0(SALU_CYCLE_1)
	s_and_b32 exec_lo, exec_lo, s1
	s_cbranch_execz .LBB79_278
; %bb.273:
	v_cmp_ngt_f32_e64 s1, |v222|, |v223|
                                        ; implicit-def: $vgpr224_vgpr225
	s_and_saveexec_b32 s4, s1
	s_delay_alu instid0(SALU_CYCLE_1)
	s_xor_b32 s1, exec_lo, s4
	s_cbranch_execz .LBB79_275
; %bb.274:
	v_div_scale_f32 v0, null, v223, v223, v222
	v_div_scale_f32 v225, vcc_lo, v222, v223, v222
	s_delay_alu instid0(VALU_DEP_2) | instskip(SKIP_1) | instid1(TRANS32_DEP_1)
	v_rcp_f32_e32 v1, v0
	v_nop
	v_fma_f32 v224, -v0, v1, 1.0
	s_delay_alu instid0(VALU_DEP_1) | instskip(NEXT) | instid1(VALU_DEP_1)
	v_fmac_f32_e32 v1, v224, v1
	v_mul_f32_e32 v224, v225, v1
	s_delay_alu instid0(VALU_DEP_1) | instskip(NEXT) | instid1(VALU_DEP_1)
	v_fma_f32 v226, -v0, v224, v225
	v_fmac_f32_e32 v224, v226, v1
	s_delay_alu instid0(VALU_DEP_1) | instskip(NEXT) | instid1(VALU_DEP_1)
	v_fma_f32 v0, -v0, v224, v225
	v_div_fmas_f32 v0, v0, v1, v224
	s_delay_alu instid0(VALU_DEP_1) | instskip(NEXT) | instid1(VALU_DEP_1)
	v_div_fixup_f32 v0, v0, v223, v222
	v_fmac_f32_e32 v223, v222, v0
	s_delay_alu instid0(VALU_DEP_1) | instskip(SKIP_1) | instid1(VALU_DEP_2)
	v_div_scale_f32 v1, null, v223, v223, 1.0
	v_div_scale_f32 v225, vcc_lo, 1.0, v223, 1.0
	v_rcp_f32_e32 v222, v1
	v_nop
	s_delay_alu instid0(TRANS32_DEP_1) | instskip(NEXT) | instid1(VALU_DEP_1)
	v_fma_f32 v224, -v1, v222, 1.0
	v_fmac_f32_e32 v222, v224, v222
	s_delay_alu instid0(VALU_DEP_1) | instskip(NEXT) | instid1(VALU_DEP_1)
	v_mul_f32_e32 v224, v225, v222
	v_fma_f32 v226, -v1, v224, v225
	s_delay_alu instid0(VALU_DEP_1) | instskip(NEXT) | instid1(VALU_DEP_1)
	v_fmac_f32_e32 v224, v226, v222
	v_fma_f32 v1, -v1, v224, v225
	s_delay_alu instid0(VALU_DEP_1) | instskip(NEXT) | instid1(VALU_DEP_1)
	v_div_fmas_f32 v1, v1, v222, v224
	v_div_fixup_f32 v1, v1, v223, 1.0
                                        ; implicit-def: $vgpr222_vgpr223
	s_delay_alu instid0(VALU_DEP_1)
	v_mul_f32_e32 v224, v0, v1
	v_xor_b32_e32 v225, 0x80000000, v1
.LBB79_275:
	s_and_not1_saveexec_b32 s1, s1
	s_cbranch_execz .LBB79_277
; %bb.276:
	v_div_scale_f32 v0, null, v222, v222, v223
	v_div_scale_f32 v225, vcc_lo, v223, v222, v223
	s_delay_alu instid0(VALU_DEP_2) | instskip(SKIP_1) | instid1(TRANS32_DEP_1)
	v_rcp_f32_e32 v1, v0
	v_nop
	v_fma_f32 v224, -v0, v1, 1.0
	s_delay_alu instid0(VALU_DEP_1) | instskip(NEXT) | instid1(VALU_DEP_1)
	v_fmac_f32_e32 v1, v224, v1
	v_mul_f32_e32 v224, v225, v1
	s_delay_alu instid0(VALU_DEP_1) | instskip(NEXT) | instid1(VALU_DEP_1)
	v_fma_f32 v226, -v0, v224, v225
	v_fmac_f32_e32 v224, v226, v1
	s_delay_alu instid0(VALU_DEP_1) | instskip(NEXT) | instid1(VALU_DEP_1)
	v_fma_f32 v0, -v0, v224, v225
	v_div_fmas_f32 v0, v0, v1, v224
	s_delay_alu instid0(VALU_DEP_1) | instskip(NEXT) | instid1(VALU_DEP_1)
	v_div_fixup_f32 v0, v0, v222, v223
	v_fmac_f32_e32 v222, v223, v0
	s_delay_alu instid0(VALU_DEP_1) | instskip(NEXT) | instid1(VALU_DEP_1)
	v_div_scale_f32 v1, null, v222, v222, 1.0
	v_rcp_f32_e32 v223, v1
	v_nop
	s_delay_alu instid0(TRANS32_DEP_1) | instskip(NEXT) | instid1(VALU_DEP_1)
	v_fma_f32 v224, -v1, v223, 1.0
	v_fmac_f32_e32 v223, v224, v223
	v_div_scale_f32 v224, vcc_lo, 1.0, v222, 1.0
	s_delay_alu instid0(VALU_DEP_1) | instskip(NEXT) | instid1(VALU_DEP_1)
	v_mul_f32_e32 v225, v224, v223
	v_fma_f32 v226, -v1, v225, v224
	s_delay_alu instid0(VALU_DEP_1) | instskip(NEXT) | instid1(VALU_DEP_1)
	v_fmac_f32_e32 v225, v226, v223
	v_fma_f32 v1, -v1, v225, v224
	s_delay_alu instid0(VALU_DEP_1) | instskip(NEXT) | instid1(VALU_DEP_1)
	v_div_fmas_f32 v1, v1, v223, v225
	v_div_fixup_f32 v224, v1, v222, 1.0
	s_delay_alu instid0(VALU_DEP_1)
	v_mul_f32_e64 v225, v0, -v224
.LBB79_277:
	s_or_b32 exec_lo, exec_lo, s1
	ds_store_b64 v243, v[224:225]
.LBB79_278:
	s_or_b32 exec_lo, exec_lo, s2
	s_wait_dscnt 0x0
	s_barrier_signal -1
	s_barrier_wait -1
	ds_load_b64 v[222:223], v243
	s_mov_b32 s1, exec_lo
	v_cmpx_lt_u32_e32 30, v242
	s_cbranch_execz .LBB79_280
; %bb.279:
	ds_load_2addr_b64 v[228:231], v244 offset0:31 offset1:32
	s_wait_dscnt 0x1
	v_pk_mul_f32 v[226:227], v[222:223], v[126:127] op_sel:[1,1] op_sel_hi:[0,1]
	s_delay_alu instid0(VALU_DEP_1) | instskip(SKIP_1) | instid1(VALU_DEP_1)
	v_pk_fma_f32 v[224:225], v[222:223], v[126:127], v[226:227] op_sel_hi:[1,0,1] neg_lo:[0,0,1] neg_hi:[0,0,1]
	v_pk_fma_f32 v[226:227], v[222:223], v[126:127], v[226:227] op_sel_hi:[1,0,1]
	v_dual_mov_b32 v126, v224 :: v_dual_mov_b32 v127, v227
	s_wait_dscnt 0x0
	s_delay_alu instid0(VALU_DEP_2) | instskip(NEXT) | instid1(VALU_DEP_1)
	v_pk_mul_f32 v[232:233], v[228:229], v[226:227] op_sel:[0,1]
	v_pk_fma_f32 v[234:235], v[228:229], v[224:225], v[232:233] op_sel:[0,0,1] op_sel_hi:[1,1,0] neg_lo:[0,0,1] neg_hi:[0,0,1]
	v_pk_fma_f32 v[228:229], v[228:229], v[224:225], v[232:233] op_sel:[0,0,1] op_sel_hi:[1,0,0]
	s_delay_alu instid0(VALU_DEP_1) | instskip(SKIP_1) | instid1(VALU_DEP_1)
	v_mov_b32_e32 v235, v229
	v_pk_mul_f32 v[228:229], v[230:231], v[226:227] op_sel:[0,1]
	v_pk_fma_f32 v[232:233], v[230:231], v[224:225], v[228:229] op_sel:[0,0,1] op_sel_hi:[1,1,0] neg_lo:[0,0,1] neg_hi:[0,0,1]
	v_pk_fma_f32 v[228:229], v[230:231], v[224:225], v[228:229] op_sel:[0,0,1] op_sel_hi:[1,0,0]
	s_delay_alu instid0(VALU_DEP_1)
	v_mov_b32_e32 v233, v229
	ds_load_2addr_b64 v[228:231], v244 offset0:33 offset1:34
	v_pk_add_f32 v[122:123], v[122:123], v[234:235] neg_lo:[0,1] neg_hi:[0,1]
	v_pk_add_f32 v[152:153], v[152:153], v[232:233] neg_lo:[0,1] neg_hi:[0,1]
	s_wait_dscnt 0x0
	v_pk_mul_f32 v[232:233], v[228:229], v[226:227] op_sel:[0,1]
	s_delay_alu instid0(VALU_DEP_1) | instskip(SKIP_2) | instid1(VALU_DEP_2)
	v_pk_fma_f32 v[234:235], v[228:229], v[224:225], v[232:233] op_sel:[0,0,1] op_sel_hi:[1,1,0] neg_lo:[0,0,1] neg_hi:[0,0,1]
	v_pk_fma_f32 v[228:229], v[228:229], v[224:225], v[232:233] op_sel:[0,0,1] op_sel_hi:[1,0,0]
	v_dual_mul_f32 v232, v231, v227 :: v_dual_mov_b32 v228, v231
	v_dual_mov_b32 v235, v229 :: v_dual_mov_b32 v229, v230
	s_delay_alu instid0(VALU_DEP_2) | instskip(SKIP_1) | instid1(VALU_DEP_3)
	v_pk_fma_f32 v[232:233], v[230:231], v[126:127], v[232:233] op_sel_hi:[1,1,0] neg_lo:[0,0,1] neg_hi:[0,0,1]
	v_mul_f32_e32 v230, v231, v224
	v_pk_add_f32 v[148:149], v[148:149], v[234:235] neg_lo:[0,1] neg_hi:[0,1]
	s_delay_alu instid0(VALU_DEP_2) | instskip(NEXT) | instid1(VALU_DEP_1)
	v_pk_fma_f32 v[228:229], v[228:229], v[126:127], v[230:231] op_sel_hi:[1,1,0]
	v_mov_b32_e32 v233, v229
	ds_load_2addr_b64 v[228:231], v244 offset0:35 offset1:36
	v_pk_add_f32 v[150:151], v[150:151], v[232:233] neg_lo:[0,1] neg_hi:[0,1]
	s_wait_dscnt 0x0
	v_pk_mul_f32 v[232:233], v[228:229], v[226:227] op_sel:[0,1]
	s_delay_alu instid0(VALU_DEP_1) | instskip(SKIP_1) | instid1(VALU_DEP_1)
	v_pk_fma_f32 v[234:235], v[228:229], v[224:225], v[232:233] op_sel:[0,0,1] op_sel_hi:[1,1,0] neg_lo:[0,0,1] neg_hi:[0,0,1]
	v_pk_fma_f32 v[228:229], v[228:229], v[224:225], v[232:233] op_sel:[0,0,1] op_sel_hi:[1,0,0]
	v_mov_b32_e32 v235, v229
	v_pk_mul_f32 v[228:229], v[230:231], v[226:227] op_sel:[0,1]
	s_delay_alu instid0(VALU_DEP_1) | instskip(SKIP_1) | instid1(VALU_DEP_1)
	v_pk_fma_f32 v[232:233], v[230:231], v[224:225], v[228:229] op_sel:[0,0,1] op_sel_hi:[1,1,0] neg_lo:[0,0,1] neg_hi:[0,0,1]
	v_pk_fma_f32 v[228:229], v[230:231], v[224:225], v[228:229] op_sel:[0,0,1] op_sel_hi:[1,0,0]
	v_mov_b32_e32 v233, v229
	ds_load_2addr_b64 v[228:231], v244 offset0:37 offset1:38
	v_pk_add_f32 v[146:147], v[146:147], v[234:235] neg_lo:[0,1] neg_hi:[0,1]
	v_pk_add_f32 v[158:159], v[158:159], v[232:233] neg_lo:[0,1] neg_hi:[0,1]
	s_wait_dscnt 0x0
	v_pk_mul_f32 v[232:233], v[228:229], v[226:227] op_sel:[0,1]
	s_delay_alu instid0(VALU_DEP_1) | instskip(SKIP_1) | instid1(VALU_DEP_1)
	v_pk_fma_f32 v[234:235], v[228:229], v[224:225], v[232:233] op_sel:[0,0,1] op_sel_hi:[1,1,0] neg_lo:[0,0,1] neg_hi:[0,0,1]
	v_pk_fma_f32 v[228:229], v[228:229], v[224:225], v[232:233] op_sel:[0,0,1] op_sel_hi:[1,0,0]
	v_mov_b32_e32 v235, v229
	v_pk_mul_f32 v[228:229], v[230:231], v[226:227] op_sel:[0,1]
	s_delay_alu instid0(VALU_DEP_1) | instskip(SKIP_1) | instid1(VALU_DEP_1)
	v_pk_fma_f32 v[232:233], v[230:231], v[224:225], v[228:229] op_sel:[0,0,1] op_sel_hi:[1,1,0] neg_lo:[0,0,1] neg_hi:[0,0,1]
	v_pk_fma_f32 v[228:229], v[230:231], v[224:225], v[228:229] op_sel:[0,0,1] op_sel_hi:[1,0,0]
	v_mov_b32_e32 v233, v229
	ds_load_b64 v[228:229], v244 offset:312
	v_pk_add_f32 v[156:157], v[156:157], v[234:235] neg_lo:[0,1] neg_hi:[0,1]
	v_pk_add_f32 v[154:155], v[154:155], v[232:233] neg_lo:[0,1] neg_hi:[0,1]
	s_wait_dscnt 0x0
	v_pk_mul_f32 v[226:227], v[228:229], v[226:227] op_sel:[0,1]
	s_delay_alu instid0(VALU_DEP_1) | instskip(SKIP_1) | instid1(VALU_DEP_1)
	v_pk_fma_f32 v[230:231], v[228:229], v[224:225], v[226:227] op_sel:[0,0,1] op_sel_hi:[1,1,0] neg_lo:[0,0,1] neg_hi:[0,0,1]
	v_pk_fma_f32 v[224:225], v[228:229], v[224:225], v[226:227] op_sel:[0,0,1] op_sel_hi:[1,0,0]
	v_mov_b32_e32 v231, v225
	s_delay_alu instid0(VALU_DEP_1)
	v_pk_add_f32 v[160:161], v[160:161], v[230:231] neg_lo:[0,1] neg_hi:[0,1]
.LBB79_280:
	s_or_b32 exec_lo, exec_lo, s1
	s_delay_alu instid0(SALU_CYCLE_1)
	s_mov_b32 s2, exec_lo
	s_wait_dscnt 0x0
	s_barrier_signal -1
	s_barrier_wait -1
	v_cmpx_eq_u32_e32 31, v242
	s_cbranch_execz .LBB79_287
; %bb.281:
	v_dual_mov_b32 v224, v152 :: v_dual_mov_b32 v225, v153
	v_dual_mov_b32 v226, v148 :: v_dual_mov_b32 v227, v149
	;; [unrolled: 1-line block ×7, first 2 shown]
	ds_store_b64 v243, v[122:123]
	ds_store_2addr_b64 v244, v[224:225], v[226:227] offset0:32 offset1:33
	ds_store_2addr_b64 v244, v[228:229], v[230:231] offset0:34 offset1:35
	;; [unrolled: 1-line block ×4, first 2 shown]
	ds_load_b64 v[224:225], v243
	s_wait_dscnt 0x0
	v_cmp_neq_f32_e32 vcc_lo, 0, v224
	v_cmp_neq_f32_e64 s1, 0, v225
	s_or_b32 s1, vcc_lo, s1
	s_delay_alu instid0(SALU_CYCLE_1)
	s_and_b32 exec_lo, exec_lo, s1
	s_cbranch_execz .LBB79_287
; %bb.282:
	v_cmp_ngt_f32_e64 s1, |v224|, |v225|
                                        ; implicit-def: $vgpr226_vgpr227
	s_and_saveexec_b32 s4, s1
	s_delay_alu instid0(SALU_CYCLE_1)
	s_xor_b32 s1, exec_lo, s4
	s_cbranch_execz .LBB79_284
; %bb.283:
	v_div_scale_f32 v0, null, v225, v225, v224
	v_div_scale_f32 v227, vcc_lo, v224, v225, v224
	s_delay_alu instid0(VALU_DEP_2) | instskip(SKIP_1) | instid1(TRANS32_DEP_1)
	v_rcp_f32_e32 v1, v0
	v_nop
	v_fma_f32 v226, -v0, v1, 1.0
	s_delay_alu instid0(VALU_DEP_1) | instskip(NEXT) | instid1(VALU_DEP_1)
	v_fmac_f32_e32 v1, v226, v1
	v_mul_f32_e32 v226, v227, v1
	s_delay_alu instid0(VALU_DEP_1) | instskip(NEXT) | instid1(VALU_DEP_1)
	v_fma_f32 v228, -v0, v226, v227
	v_fmac_f32_e32 v226, v228, v1
	s_delay_alu instid0(VALU_DEP_1) | instskip(NEXT) | instid1(VALU_DEP_1)
	v_fma_f32 v0, -v0, v226, v227
	v_div_fmas_f32 v0, v0, v1, v226
	s_delay_alu instid0(VALU_DEP_1) | instskip(NEXT) | instid1(VALU_DEP_1)
	v_div_fixup_f32 v0, v0, v225, v224
	v_fmac_f32_e32 v225, v224, v0
	s_delay_alu instid0(VALU_DEP_1) | instskip(SKIP_1) | instid1(VALU_DEP_2)
	v_div_scale_f32 v1, null, v225, v225, 1.0
	v_div_scale_f32 v227, vcc_lo, 1.0, v225, 1.0
	v_rcp_f32_e32 v224, v1
	v_nop
	s_delay_alu instid0(TRANS32_DEP_1) | instskip(NEXT) | instid1(VALU_DEP_1)
	v_fma_f32 v226, -v1, v224, 1.0
	v_fmac_f32_e32 v224, v226, v224
	s_delay_alu instid0(VALU_DEP_1) | instskip(NEXT) | instid1(VALU_DEP_1)
	v_mul_f32_e32 v226, v227, v224
	v_fma_f32 v228, -v1, v226, v227
	s_delay_alu instid0(VALU_DEP_1) | instskip(NEXT) | instid1(VALU_DEP_1)
	v_fmac_f32_e32 v226, v228, v224
	v_fma_f32 v1, -v1, v226, v227
	s_delay_alu instid0(VALU_DEP_1) | instskip(NEXT) | instid1(VALU_DEP_1)
	v_div_fmas_f32 v1, v1, v224, v226
	v_div_fixup_f32 v1, v1, v225, 1.0
                                        ; implicit-def: $vgpr224_vgpr225
	s_delay_alu instid0(VALU_DEP_1)
	v_mul_f32_e32 v226, v0, v1
	v_xor_b32_e32 v227, 0x80000000, v1
.LBB79_284:
	s_and_not1_saveexec_b32 s1, s1
	s_cbranch_execz .LBB79_286
; %bb.285:
	v_div_scale_f32 v0, null, v224, v224, v225
	v_div_scale_f32 v227, vcc_lo, v225, v224, v225
	s_delay_alu instid0(VALU_DEP_2) | instskip(SKIP_1) | instid1(TRANS32_DEP_1)
	v_rcp_f32_e32 v1, v0
	v_nop
	v_fma_f32 v226, -v0, v1, 1.0
	s_delay_alu instid0(VALU_DEP_1) | instskip(NEXT) | instid1(VALU_DEP_1)
	v_fmac_f32_e32 v1, v226, v1
	v_mul_f32_e32 v226, v227, v1
	s_delay_alu instid0(VALU_DEP_1) | instskip(NEXT) | instid1(VALU_DEP_1)
	v_fma_f32 v228, -v0, v226, v227
	v_fmac_f32_e32 v226, v228, v1
	s_delay_alu instid0(VALU_DEP_1) | instskip(NEXT) | instid1(VALU_DEP_1)
	v_fma_f32 v0, -v0, v226, v227
	v_div_fmas_f32 v0, v0, v1, v226
	s_delay_alu instid0(VALU_DEP_1) | instskip(NEXT) | instid1(VALU_DEP_1)
	v_div_fixup_f32 v0, v0, v224, v225
	v_fmac_f32_e32 v224, v225, v0
	s_delay_alu instid0(VALU_DEP_1) | instskip(NEXT) | instid1(VALU_DEP_1)
	v_div_scale_f32 v1, null, v224, v224, 1.0
	v_rcp_f32_e32 v225, v1
	v_nop
	s_delay_alu instid0(TRANS32_DEP_1) | instskip(NEXT) | instid1(VALU_DEP_1)
	v_fma_f32 v226, -v1, v225, 1.0
	v_fmac_f32_e32 v225, v226, v225
	v_div_scale_f32 v226, vcc_lo, 1.0, v224, 1.0
	s_delay_alu instid0(VALU_DEP_1) | instskip(NEXT) | instid1(VALU_DEP_1)
	v_mul_f32_e32 v227, v226, v225
	v_fma_f32 v228, -v1, v227, v226
	s_delay_alu instid0(VALU_DEP_1) | instskip(NEXT) | instid1(VALU_DEP_1)
	v_fmac_f32_e32 v227, v228, v225
	v_fma_f32 v1, -v1, v227, v226
	s_delay_alu instid0(VALU_DEP_1) | instskip(NEXT) | instid1(VALU_DEP_1)
	v_div_fmas_f32 v1, v1, v225, v227
	v_div_fixup_f32 v226, v1, v224, 1.0
	s_delay_alu instid0(VALU_DEP_1)
	v_mul_f32_e64 v227, v0, -v226
.LBB79_286:
	s_or_b32 exec_lo, exec_lo, s1
	ds_store_b64 v243, v[226:227]
.LBB79_287:
	s_or_b32 exec_lo, exec_lo, s2
	s_wait_dscnt 0x0
	s_barrier_signal -1
	s_barrier_wait -1
	ds_load_b64 v[224:225], v243
	s_mov_b32 s1, exec_lo
	v_cmpx_lt_u32_e32 31, v242
	s_cbranch_execz .LBB79_289
; %bb.288:
	ds_load_2addr_b64 v[230:233], v244 offset0:32 offset1:33
	s_wait_dscnt 0x1
	v_pk_mul_f32 v[228:229], v[224:225], v[122:123] op_sel:[1,1] op_sel_hi:[0,1]
	s_delay_alu instid0(VALU_DEP_1) | instskip(SKIP_1) | instid1(VALU_DEP_1)
	v_pk_fma_f32 v[226:227], v[224:225], v[122:123], v[228:229] op_sel_hi:[1,0,1] neg_lo:[0,0,1] neg_hi:[0,0,1]
	v_pk_fma_f32 v[228:229], v[224:225], v[122:123], v[228:229] op_sel_hi:[1,0,1]
	v_dual_mov_b32 v122, v226 :: v_dual_mov_b32 v123, v229
	s_wait_dscnt 0x0
	s_delay_alu instid0(VALU_DEP_2) | instskip(NEXT) | instid1(VALU_DEP_1)
	v_pk_mul_f32 v[234:235], v[230:231], v[228:229] op_sel:[0,1]
	v_pk_fma_f32 v[236:237], v[230:231], v[226:227], v[234:235] op_sel:[0,0,1] op_sel_hi:[1,1,0] neg_lo:[0,0,1] neg_hi:[0,0,1]
	v_pk_fma_f32 v[230:231], v[230:231], v[226:227], v[234:235] op_sel:[0,0,1] op_sel_hi:[1,0,0]
	s_delay_alu instid0(VALU_DEP_1) | instskip(SKIP_1) | instid1(VALU_DEP_1)
	v_mov_b32_e32 v237, v231
	v_pk_mul_f32 v[230:231], v[232:233], v[228:229] op_sel:[0,1]
	v_pk_fma_f32 v[234:235], v[232:233], v[226:227], v[230:231] op_sel:[0,0,1] op_sel_hi:[1,1,0] neg_lo:[0,0,1] neg_hi:[0,0,1]
	v_pk_fma_f32 v[230:231], v[232:233], v[226:227], v[230:231] op_sel:[0,0,1] op_sel_hi:[1,0,0]
	s_delay_alu instid0(VALU_DEP_1)
	v_mov_b32_e32 v235, v231
	ds_load_2addr_b64 v[230:233], v244 offset0:34 offset1:35
	v_pk_add_f32 v[152:153], v[152:153], v[236:237] neg_lo:[0,1] neg_hi:[0,1]
	v_pk_add_f32 v[148:149], v[148:149], v[234:235] neg_lo:[0,1] neg_hi:[0,1]
	s_wait_dscnt 0x0
	v_pk_mul_f32 v[234:235], v[230:231], v[228:229] op_sel:[0,1]
	s_delay_alu instid0(VALU_DEP_1) | instskip(SKIP_2) | instid1(VALU_DEP_2)
	v_pk_fma_f32 v[236:237], v[230:231], v[226:227], v[234:235] op_sel:[0,0,1] op_sel_hi:[1,1,0] neg_lo:[0,0,1] neg_hi:[0,0,1]
	v_pk_fma_f32 v[230:231], v[230:231], v[226:227], v[234:235] op_sel:[0,0,1] op_sel_hi:[1,0,0]
	v_dual_mul_f32 v234, v233, v229 :: v_dual_mov_b32 v230, v233
	v_dual_mov_b32 v237, v231 :: v_dual_mov_b32 v231, v232
	s_delay_alu instid0(VALU_DEP_2) | instskip(SKIP_1) | instid1(VALU_DEP_3)
	v_pk_fma_f32 v[234:235], v[232:233], v[122:123], v[234:235] op_sel_hi:[1,1,0] neg_lo:[0,0,1] neg_hi:[0,0,1]
	v_mul_f32_e32 v232, v233, v226
	v_pk_add_f32 v[150:151], v[150:151], v[236:237] neg_lo:[0,1] neg_hi:[0,1]
	s_delay_alu instid0(VALU_DEP_2) | instskip(NEXT) | instid1(VALU_DEP_1)
	v_pk_fma_f32 v[230:231], v[230:231], v[122:123], v[232:233] op_sel_hi:[1,1,0]
	v_mov_b32_e32 v235, v231
	ds_load_2addr_b64 v[230:233], v244 offset0:36 offset1:37
	v_pk_add_f32 v[146:147], v[146:147], v[234:235] neg_lo:[0,1] neg_hi:[0,1]
	s_wait_dscnt 0x0
	v_pk_mul_f32 v[234:235], v[230:231], v[228:229] op_sel:[0,1]
	s_delay_alu instid0(VALU_DEP_1) | instskip(SKIP_1) | instid1(VALU_DEP_1)
	v_pk_fma_f32 v[236:237], v[230:231], v[226:227], v[234:235] op_sel:[0,0,1] op_sel_hi:[1,1,0] neg_lo:[0,0,1] neg_hi:[0,0,1]
	v_pk_fma_f32 v[230:231], v[230:231], v[226:227], v[234:235] op_sel:[0,0,1] op_sel_hi:[1,0,0]
	v_mov_b32_e32 v237, v231
	v_pk_mul_f32 v[230:231], v[232:233], v[228:229] op_sel:[0,1]
	s_delay_alu instid0(VALU_DEP_1) | instskip(SKIP_1) | instid1(VALU_DEP_1)
	v_pk_fma_f32 v[234:235], v[232:233], v[226:227], v[230:231] op_sel:[0,0,1] op_sel_hi:[1,1,0] neg_lo:[0,0,1] neg_hi:[0,0,1]
	v_pk_fma_f32 v[230:231], v[232:233], v[226:227], v[230:231] op_sel:[0,0,1] op_sel_hi:[1,0,0]
	v_mov_b32_e32 v235, v231
	ds_load_2addr_b64 v[230:233], v244 offset0:38 offset1:39
	v_pk_add_f32 v[158:159], v[158:159], v[236:237] neg_lo:[0,1] neg_hi:[0,1]
	v_pk_add_f32 v[156:157], v[156:157], v[234:235] neg_lo:[0,1] neg_hi:[0,1]
	s_wait_dscnt 0x0
	v_pk_mul_f32 v[234:235], v[230:231], v[228:229] op_sel:[0,1]
	v_pk_mul_f32 v[228:229], v[232:233], v[228:229] op_sel:[0,1]
	s_delay_alu instid0(VALU_DEP_2) | instskip(SKIP_1) | instid1(VALU_DEP_1)
	v_pk_fma_f32 v[236:237], v[230:231], v[226:227], v[234:235] op_sel:[0,0,1] op_sel_hi:[1,1,0] neg_lo:[0,0,1] neg_hi:[0,0,1]
	v_pk_fma_f32 v[230:231], v[230:231], v[226:227], v[234:235] op_sel:[0,0,1] op_sel_hi:[1,0,0]
	v_mov_b32_e32 v237, v231
	s_delay_alu instid0(VALU_DEP_4) | instskip(SKIP_1) | instid1(VALU_DEP_1)
	v_pk_fma_f32 v[230:231], v[232:233], v[226:227], v[228:229] op_sel:[0,0,1] op_sel_hi:[1,1,0] neg_lo:[0,0,1] neg_hi:[0,0,1]
	v_pk_fma_f32 v[226:227], v[232:233], v[226:227], v[228:229] op_sel:[0,0,1] op_sel_hi:[1,0,0]
	v_mov_b32_e32 v231, v227
	s_delay_alu instid0(VALU_DEP_4) | instskip(NEXT) | instid1(VALU_DEP_2)
	v_pk_add_f32 v[154:155], v[154:155], v[236:237] neg_lo:[0,1] neg_hi:[0,1]
	v_pk_add_f32 v[160:161], v[160:161], v[230:231] neg_lo:[0,1] neg_hi:[0,1]
.LBB79_289:
	s_or_b32 exec_lo, exec_lo, s1
	s_delay_alu instid0(SALU_CYCLE_1)
	s_mov_b32 s2, exec_lo
	s_wait_dscnt 0x0
	s_barrier_signal -1
	s_barrier_wait -1
	v_cmpx_eq_u32_e32 32, v242
	s_cbranch_execz .LBB79_296
; %bb.290:
	ds_store_b64 v243, v[152:153]
	ds_store_2addr_b64 v244, v[148:149], v[150:151] offset0:33 offset1:34
	ds_store_2addr_b64 v244, v[146:147], v[158:159] offset0:35 offset1:36
	;; [unrolled: 1-line block ×3, first 2 shown]
	ds_store_b64 v244, v[160:161] offset:312
	ds_load_b64 v[226:227], v243
	s_wait_dscnt 0x0
	v_cmp_neq_f32_e32 vcc_lo, 0, v226
	v_cmp_neq_f32_e64 s1, 0, v227
	s_or_b32 s1, vcc_lo, s1
	s_delay_alu instid0(SALU_CYCLE_1)
	s_and_b32 exec_lo, exec_lo, s1
	s_cbranch_execz .LBB79_296
; %bb.291:
	v_cmp_ngt_f32_e64 s1, |v226|, |v227|
                                        ; implicit-def: $vgpr228_vgpr229
	s_and_saveexec_b32 s4, s1
	s_delay_alu instid0(SALU_CYCLE_1)
	s_xor_b32 s1, exec_lo, s4
	s_cbranch_execz .LBB79_293
; %bb.292:
	v_div_scale_f32 v0, null, v227, v227, v226
	v_div_scale_f32 v229, vcc_lo, v226, v227, v226
	s_delay_alu instid0(VALU_DEP_2) | instskip(SKIP_1) | instid1(TRANS32_DEP_1)
	v_rcp_f32_e32 v1, v0
	v_nop
	v_fma_f32 v228, -v0, v1, 1.0
	s_delay_alu instid0(VALU_DEP_1) | instskip(NEXT) | instid1(VALU_DEP_1)
	v_fmac_f32_e32 v1, v228, v1
	v_mul_f32_e32 v228, v229, v1
	s_delay_alu instid0(VALU_DEP_1) | instskip(NEXT) | instid1(VALU_DEP_1)
	v_fma_f32 v230, -v0, v228, v229
	v_fmac_f32_e32 v228, v230, v1
	s_delay_alu instid0(VALU_DEP_1) | instskip(NEXT) | instid1(VALU_DEP_1)
	v_fma_f32 v0, -v0, v228, v229
	v_div_fmas_f32 v0, v0, v1, v228
	s_delay_alu instid0(VALU_DEP_1) | instskip(NEXT) | instid1(VALU_DEP_1)
	v_div_fixup_f32 v0, v0, v227, v226
	v_fmac_f32_e32 v227, v226, v0
	s_delay_alu instid0(VALU_DEP_1) | instskip(SKIP_1) | instid1(VALU_DEP_2)
	v_div_scale_f32 v1, null, v227, v227, 1.0
	v_div_scale_f32 v229, vcc_lo, 1.0, v227, 1.0
	v_rcp_f32_e32 v226, v1
	v_nop
	s_delay_alu instid0(TRANS32_DEP_1) | instskip(NEXT) | instid1(VALU_DEP_1)
	v_fma_f32 v228, -v1, v226, 1.0
	v_fmac_f32_e32 v226, v228, v226
	s_delay_alu instid0(VALU_DEP_1) | instskip(NEXT) | instid1(VALU_DEP_1)
	v_mul_f32_e32 v228, v229, v226
	v_fma_f32 v230, -v1, v228, v229
	s_delay_alu instid0(VALU_DEP_1) | instskip(NEXT) | instid1(VALU_DEP_1)
	v_fmac_f32_e32 v228, v230, v226
	v_fma_f32 v1, -v1, v228, v229
	s_delay_alu instid0(VALU_DEP_1) | instskip(NEXT) | instid1(VALU_DEP_1)
	v_div_fmas_f32 v1, v1, v226, v228
	v_div_fixup_f32 v1, v1, v227, 1.0
                                        ; implicit-def: $vgpr226_vgpr227
	s_delay_alu instid0(VALU_DEP_1)
	v_mul_f32_e32 v228, v0, v1
	v_xor_b32_e32 v229, 0x80000000, v1
.LBB79_293:
	s_and_not1_saveexec_b32 s1, s1
	s_cbranch_execz .LBB79_295
; %bb.294:
	v_div_scale_f32 v0, null, v226, v226, v227
	v_div_scale_f32 v229, vcc_lo, v227, v226, v227
	s_delay_alu instid0(VALU_DEP_2) | instskip(SKIP_1) | instid1(TRANS32_DEP_1)
	v_rcp_f32_e32 v1, v0
	v_nop
	v_fma_f32 v228, -v0, v1, 1.0
	s_delay_alu instid0(VALU_DEP_1) | instskip(NEXT) | instid1(VALU_DEP_1)
	v_fmac_f32_e32 v1, v228, v1
	v_mul_f32_e32 v228, v229, v1
	s_delay_alu instid0(VALU_DEP_1) | instskip(NEXT) | instid1(VALU_DEP_1)
	v_fma_f32 v230, -v0, v228, v229
	v_fmac_f32_e32 v228, v230, v1
	s_delay_alu instid0(VALU_DEP_1) | instskip(NEXT) | instid1(VALU_DEP_1)
	v_fma_f32 v0, -v0, v228, v229
	v_div_fmas_f32 v0, v0, v1, v228
	s_delay_alu instid0(VALU_DEP_1) | instskip(NEXT) | instid1(VALU_DEP_1)
	v_div_fixup_f32 v0, v0, v226, v227
	v_fmac_f32_e32 v226, v227, v0
	s_delay_alu instid0(VALU_DEP_1) | instskip(NEXT) | instid1(VALU_DEP_1)
	v_div_scale_f32 v1, null, v226, v226, 1.0
	v_rcp_f32_e32 v227, v1
	v_nop
	s_delay_alu instid0(TRANS32_DEP_1) | instskip(NEXT) | instid1(VALU_DEP_1)
	v_fma_f32 v228, -v1, v227, 1.0
	v_fmac_f32_e32 v227, v228, v227
	v_div_scale_f32 v228, vcc_lo, 1.0, v226, 1.0
	s_delay_alu instid0(VALU_DEP_1) | instskip(NEXT) | instid1(VALU_DEP_1)
	v_mul_f32_e32 v229, v228, v227
	v_fma_f32 v230, -v1, v229, v228
	s_delay_alu instid0(VALU_DEP_1) | instskip(NEXT) | instid1(VALU_DEP_1)
	v_fmac_f32_e32 v229, v230, v227
	v_fma_f32 v1, -v1, v229, v228
	s_delay_alu instid0(VALU_DEP_1) | instskip(NEXT) | instid1(VALU_DEP_1)
	v_div_fmas_f32 v1, v1, v227, v229
	v_div_fixup_f32 v228, v1, v226, 1.0
	s_delay_alu instid0(VALU_DEP_1)
	v_mul_f32_e64 v229, v0, -v228
.LBB79_295:
	s_or_b32 exec_lo, exec_lo, s1
	ds_store_b64 v243, v[228:229]
.LBB79_296:
	s_or_b32 exec_lo, exec_lo, s2
	s_wait_dscnt 0x0
	s_barrier_signal -1
	s_barrier_wait -1
	ds_load_b64 v[226:227], v243
	s_mov_b32 s1, exec_lo
	v_cmpx_lt_u32_e32 32, v242
	s_cbranch_execz .LBB79_298
; %bb.297:
	s_wait_dscnt 0x0
	v_pk_mul_f32 v[230:231], v[226:227], v[152:153] op_sel:[1,1] op_sel_hi:[0,1]
	s_delay_alu instid0(VALU_DEP_1)
	v_pk_fma_f32 v[228:229], v[226:227], v[152:153], v[230:231] op_sel_hi:[1,0,1] neg_lo:[0,0,1] neg_hi:[0,0,1]
	v_pk_fma_f32 v[234:235], v[226:227], v[152:153], v[230:231] op_sel_hi:[1,0,1]
	ds_load_2addr_b64 v[230:233], v244 offset0:33 offset1:34
	v_dual_mov_b32 v152, v228 :: v_dual_mov_b32 v153, v235
	s_wait_dscnt 0x0
	v_pk_mul_f32 v[236:237], v[230:231], v[234:235] op_sel:[0,1]
	s_delay_alu instid0(VALU_DEP_1) | instskip(SKIP_1) | instid1(VALU_DEP_1)
	v_pk_fma_f32 v[238:239], v[230:231], v[228:229], v[236:237] op_sel:[0,0,1] op_sel_hi:[1,1,0] neg_lo:[0,0,1] neg_hi:[0,0,1]
	v_pk_fma_f32 v[230:231], v[230:231], v[228:229], v[236:237] op_sel:[0,0,1] op_sel_hi:[1,0,0]
	v_mov_b32_e32 v239, v231
	v_pk_mul_f32 v[230:231], v[232:233], v[234:235] op_sel:[0,1]
	s_delay_alu instid0(VALU_DEP_1) | instskip(SKIP_1) | instid1(VALU_DEP_1)
	v_pk_fma_f32 v[236:237], v[232:233], v[228:229], v[230:231] op_sel:[0,0,1] op_sel_hi:[1,1,0] neg_lo:[0,0,1] neg_hi:[0,0,1]
	v_pk_fma_f32 v[230:231], v[232:233], v[228:229], v[230:231] op_sel:[0,0,1] op_sel_hi:[1,0,0]
	v_mov_b32_e32 v237, v231
	ds_load_2addr_b64 v[230:233], v244 offset0:35 offset1:36
	v_pk_add_f32 v[148:149], v[148:149], v[238:239] neg_lo:[0,1] neg_hi:[0,1]
	v_pk_add_f32 v[150:151], v[150:151], v[236:237] neg_lo:[0,1] neg_hi:[0,1]
	s_wait_dscnt 0x0
	v_pk_mul_f32 v[236:237], v[230:231], v[234:235] op_sel:[0,1]
	s_delay_alu instid0(VALU_DEP_1) | instskip(SKIP_2) | instid1(VALU_DEP_2)
	v_pk_fma_f32 v[238:239], v[230:231], v[228:229], v[236:237] op_sel:[0,0,1] op_sel_hi:[1,1,0] neg_lo:[0,0,1] neg_hi:[0,0,1]
	v_pk_fma_f32 v[230:231], v[230:231], v[228:229], v[236:237] op_sel:[0,0,1] op_sel_hi:[1,0,0]
	v_dual_mul_f32 v236, v233, v235 :: v_dual_mov_b32 v230, v233
	v_dual_mov_b32 v239, v231 :: v_dual_mov_b32 v231, v232
	s_delay_alu instid0(VALU_DEP_2) | instskip(SKIP_1) | instid1(VALU_DEP_3)
	v_pk_fma_f32 v[236:237], v[232:233], v[152:153], v[236:237] op_sel_hi:[1,1,0] neg_lo:[0,0,1] neg_hi:[0,0,1]
	v_mul_f32_e32 v232, v233, v228
	v_pk_add_f32 v[146:147], v[146:147], v[238:239] neg_lo:[0,1] neg_hi:[0,1]
	s_delay_alu instid0(VALU_DEP_2) | instskip(NEXT) | instid1(VALU_DEP_1)
	v_pk_fma_f32 v[230:231], v[230:231], v[152:153], v[232:233] op_sel_hi:[1,1,0]
	v_mov_b32_e32 v237, v231
	ds_load_2addr_b64 v[230:233], v244 offset0:37 offset1:38
	v_pk_add_f32 v[158:159], v[158:159], v[236:237] neg_lo:[0,1] neg_hi:[0,1]
	s_wait_dscnt 0x0
	v_pk_mul_f32 v[236:237], v[230:231], v[234:235] op_sel:[0,1]
	s_delay_alu instid0(VALU_DEP_1) | instskip(SKIP_1) | instid1(VALU_DEP_1)
	v_pk_fma_f32 v[238:239], v[230:231], v[228:229], v[236:237] op_sel:[0,0,1] op_sel_hi:[1,1,0] neg_lo:[0,0,1] neg_hi:[0,0,1]
	v_pk_fma_f32 v[230:231], v[230:231], v[228:229], v[236:237] op_sel:[0,0,1] op_sel_hi:[1,0,0]
	v_mov_b32_e32 v239, v231
	v_pk_mul_f32 v[230:231], v[232:233], v[234:235] op_sel:[0,1]
	s_delay_alu instid0(VALU_DEP_1) | instskip(SKIP_1) | instid1(VALU_DEP_1)
	v_pk_fma_f32 v[236:237], v[232:233], v[228:229], v[230:231] op_sel:[0,0,1] op_sel_hi:[1,1,0] neg_lo:[0,0,1] neg_hi:[0,0,1]
	v_pk_fma_f32 v[230:231], v[232:233], v[228:229], v[230:231] op_sel:[0,0,1] op_sel_hi:[1,0,0]
	v_mov_b32_e32 v237, v231
	ds_load_b64 v[230:231], v244 offset:312
	v_pk_add_f32 v[156:157], v[156:157], v[238:239] neg_lo:[0,1] neg_hi:[0,1]
	v_pk_add_f32 v[154:155], v[154:155], v[236:237] neg_lo:[0,1] neg_hi:[0,1]
	s_wait_dscnt 0x0
	v_pk_mul_f32 v[232:233], v[230:231], v[234:235] op_sel:[0,1]
	s_delay_alu instid0(VALU_DEP_1) | instskip(SKIP_1) | instid1(VALU_DEP_1)
	v_pk_fma_f32 v[234:235], v[230:231], v[228:229], v[232:233] op_sel:[0,0,1] op_sel_hi:[1,1,0] neg_lo:[0,0,1] neg_hi:[0,0,1]
	v_pk_fma_f32 v[228:229], v[230:231], v[228:229], v[232:233] op_sel:[0,0,1] op_sel_hi:[1,0,0]
	v_mov_b32_e32 v235, v229
	s_delay_alu instid0(VALU_DEP_1)
	v_pk_add_f32 v[160:161], v[160:161], v[234:235] neg_lo:[0,1] neg_hi:[0,1]
.LBB79_298:
	s_or_b32 exec_lo, exec_lo, s1
	s_delay_alu instid0(SALU_CYCLE_1)
	s_mov_b32 s2, exec_lo
	s_wait_dscnt 0x0
	s_barrier_signal -1
	s_barrier_wait -1
	v_cmpx_eq_u32_e32 33, v242
	s_cbranch_execz .LBB79_305
; %bb.299:
	v_dual_mov_b32 v228, v150 :: v_dual_mov_b32 v229, v151
	v_dual_mov_b32 v230, v146 :: v_dual_mov_b32 v231, v147
	;; [unrolled: 1-line block ×5, first 2 shown]
	ds_store_b64 v243, v[148:149]
	ds_store_2addr_b64 v244, v[228:229], v[230:231] offset0:34 offset1:35
	ds_store_2addr_b64 v244, v[232:233], v[234:235] offset0:36 offset1:37
	;; [unrolled: 1-line block ×3, first 2 shown]
	ds_load_b64 v[228:229], v243
	s_wait_dscnt 0x0
	v_cmp_neq_f32_e32 vcc_lo, 0, v228
	v_cmp_neq_f32_e64 s1, 0, v229
	s_or_b32 s1, vcc_lo, s1
	s_delay_alu instid0(SALU_CYCLE_1)
	s_and_b32 exec_lo, exec_lo, s1
	s_cbranch_execz .LBB79_305
; %bb.300:
	v_cmp_ngt_f32_e64 s1, |v228|, |v229|
                                        ; implicit-def: $vgpr230_vgpr231
	s_and_saveexec_b32 s4, s1
	s_delay_alu instid0(SALU_CYCLE_1)
	s_xor_b32 s1, exec_lo, s4
	s_cbranch_execz .LBB79_302
; %bb.301:
	v_div_scale_f32 v0, null, v229, v229, v228
	v_div_scale_f32 v231, vcc_lo, v228, v229, v228
	s_delay_alu instid0(VALU_DEP_2) | instskip(SKIP_1) | instid1(TRANS32_DEP_1)
	v_rcp_f32_e32 v1, v0
	v_nop
	v_fma_f32 v230, -v0, v1, 1.0
	s_delay_alu instid0(VALU_DEP_1) | instskip(NEXT) | instid1(VALU_DEP_1)
	v_fmac_f32_e32 v1, v230, v1
	v_mul_f32_e32 v230, v231, v1
	s_delay_alu instid0(VALU_DEP_1) | instskip(NEXT) | instid1(VALU_DEP_1)
	v_fma_f32 v232, -v0, v230, v231
	v_fmac_f32_e32 v230, v232, v1
	s_delay_alu instid0(VALU_DEP_1) | instskip(NEXT) | instid1(VALU_DEP_1)
	v_fma_f32 v0, -v0, v230, v231
	v_div_fmas_f32 v0, v0, v1, v230
	s_delay_alu instid0(VALU_DEP_1) | instskip(NEXT) | instid1(VALU_DEP_1)
	v_div_fixup_f32 v0, v0, v229, v228
	v_fmac_f32_e32 v229, v228, v0
	s_delay_alu instid0(VALU_DEP_1) | instskip(SKIP_1) | instid1(VALU_DEP_2)
	v_div_scale_f32 v1, null, v229, v229, 1.0
	v_div_scale_f32 v231, vcc_lo, 1.0, v229, 1.0
	v_rcp_f32_e32 v228, v1
	v_nop
	s_delay_alu instid0(TRANS32_DEP_1) | instskip(NEXT) | instid1(VALU_DEP_1)
	v_fma_f32 v230, -v1, v228, 1.0
	v_fmac_f32_e32 v228, v230, v228
	s_delay_alu instid0(VALU_DEP_1) | instskip(NEXT) | instid1(VALU_DEP_1)
	v_mul_f32_e32 v230, v231, v228
	v_fma_f32 v232, -v1, v230, v231
	s_delay_alu instid0(VALU_DEP_1) | instskip(NEXT) | instid1(VALU_DEP_1)
	v_fmac_f32_e32 v230, v232, v228
	v_fma_f32 v1, -v1, v230, v231
	s_delay_alu instid0(VALU_DEP_1) | instskip(NEXT) | instid1(VALU_DEP_1)
	v_div_fmas_f32 v1, v1, v228, v230
	v_div_fixup_f32 v1, v1, v229, 1.0
                                        ; implicit-def: $vgpr228_vgpr229
	s_delay_alu instid0(VALU_DEP_1)
	v_mul_f32_e32 v230, v0, v1
	v_xor_b32_e32 v231, 0x80000000, v1
.LBB79_302:
	s_and_not1_saveexec_b32 s1, s1
	s_cbranch_execz .LBB79_304
; %bb.303:
	v_div_scale_f32 v0, null, v228, v228, v229
	v_div_scale_f32 v231, vcc_lo, v229, v228, v229
	s_delay_alu instid0(VALU_DEP_2) | instskip(SKIP_1) | instid1(TRANS32_DEP_1)
	v_rcp_f32_e32 v1, v0
	v_nop
	v_fma_f32 v230, -v0, v1, 1.0
	s_delay_alu instid0(VALU_DEP_1) | instskip(NEXT) | instid1(VALU_DEP_1)
	v_fmac_f32_e32 v1, v230, v1
	v_mul_f32_e32 v230, v231, v1
	s_delay_alu instid0(VALU_DEP_1) | instskip(NEXT) | instid1(VALU_DEP_1)
	v_fma_f32 v232, -v0, v230, v231
	v_fmac_f32_e32 v230, v232, v1
	s_delay_alu instid0(VALU_DEP_1) | instskip(NEXT) | instid1(VALU_DEP_1)
	v_fma_f32 v0, -v0, v230, v231
	v_div_fmas_f32 v0, v0, v1, v230
	s_delay_alu instid0(VALU_DEP_1) | instskip(NEXT) | instid1(VALU_DEP_1)
	v_div_fixup_f32 v0, v0, v228, v229
	v_fmac_f32_e32 v228, v229, v0
	s_delay_alu instid0(VALU_DEP_1) | instskip(NEXT) | instid1(VALU_DEP_1)
	v_div_scale_f32 v1, null, v228, v228, 1.0
	v_rcp_f32_e32 v229, v1
	v_nop
	s_delay_alu instid0(TRANS32_DEP_1) | instskip(NEXT) | instid1(VALU_DEP_1)
	v_fma_f32 v230, -v1, v229, 1.0
	v_fmac_f32_e32 v229, v230, v229
	v_div_scale_f32 v230, vcc_lo, 1.0, v228, 1.0
	s_delay_alu instid0(VALU_DEP_1) | instskip(NEXT) | instid1(VALU_DEP_1)
	v_mul_f32_e32 v231, v230, v229
	v_fma_f32 v232, -v1, v231, v230
	s_delay_alu instid0(VALU_DEP_1) | instskip(NEXT) | instid1(VALU_DEP_1)
	v_fmac_f32_e32 v231, v232, v229
	v_fma_f32 v1, -v1, v231, v230
	s_delay_alu instid0(VALU_DEP_1) | instskip(NEXT) | instid1(VALU_DEP_1)
	v_div_fmas_f32 v1, v1, v229, v231
	v_div_fixup_f32 v230, v1, v228, 1.0
	s_delay_alu instid0(VALU_DEP_1)
	v_mul_f32_e64 v231, v0, -v230
.LBB79_304:
	s_or_b32 exec_lo, exec_lo, s1
	ds_store_b64 v243, v[230:231]
.LBB79_305:
	s_or_b32 exec_lo, exec_lo, s2
	s_wait_dscnt 0x0
	s_barrier_signal -1
	s_barrier_wait -1
	ds_load_b64 v[228:229], v243
	s_mov_b32 s1, exec_lo
	v_cmpx_lt_u32_e32 33, v242
	s_cbranch_execz .LBB79_307
; %bb.306:
	s_wait_dscnt 0x0
	v_pk_mul_f32 v[230:231], v[228:229], v[148:149] op_sel:[1,1] op_sel_hi:[0,1]
	s_delay_alu instid0(VALU_DEP_1)
	v_pk_fma_f32 v[234:235], v[228:229], v[148:149], v[230:231] op_sel_hi:[1,0,1] neg_lo:[0,0,1] neg_hi:[0,0,1]
	v_pk_fma_f32 v[236:237], v[228:229], v[148:149], v[230:231] op_sel_hi:[1,0,1]
	ds_load_2addr_b64 v[230:233], v244 offset0:34 offset1:35
	v_dual_mov_b32 v148, v234 :: v_dual_mov_b32 v149, v237
	s_wait_dscnt 0x0
	v_pk_mul_f32 v[238:239], v[230:231], v[236:237] op_sel:[0,1]
	s_delay_alu instid0(VALU_DEP_1) | instskip(SKIP_1) | instid1(VALU_DEP_1)
	v_pk_fma_f32 v[240:241], v[230:231], v[234:235], v[238:239] op_sel:[0,0,1] op_sel_hi:[1,1,0] neg_lo:[0,0,1] neg_hi:[0,0,1]
	v_pk_fma_f32 v[230:231], v[230:231], v[234:235], v[238:239] op_sel:[0,0,1] op_sel_hi:[1,0,0]
	v_mov_b32_e32 v241, v231
	v_pk_mul_f32 v[230:231], v[232:233], v[236:237] op_sel:[0,1]
	s_delay_alu instid0(VALU_DEP_1) | instskip(SKIP_1) | instid1(VALU_DEP_1)
	v_pk_fma_f32 v[238:239], v[232:233], v[234:235], v[230:231] op_sel:[0,0,1] op_sel_hi:[1,1,0] neg_lo:[0,0,1] neg_hi:[0,0,1]
	v_pk_fma_f32 v[230:231], v[232:233], v[234:235], v[230:231] op_sel:[0,0,1] op_sel_hi:[1,0,0]
	v_mov_b32_e32 v239, v231
	ds_load_2addr_b64 v[230:233], v244 offset0:36 offset1:37
	v_pk_add_f32 v[150:151], v[150:151], v[240:241] neg_lo:[0,1] neg_hi:[0,1]
	v_pk_add_f32 v[146:147], v[146:147], v[238:239] neg_lo:[0,1] neg_hi:[0,1]
	s_wait_dscnt 0x0
	v_pk_mul_f32 v[238:239], v[230:231], v[236:237] op_sel:[0,1]
	s_delay_alu instid0(VALU_DEP_1) | instskip(SKIP_2) | instid1(VALU_DEP_2)
	v_pk_fma_f32 v[240:241], v[230:231], v[234:235], v[238:239] op_sel:[0,0,1] op_sel_hi:[1,1,0] neg_lo:[0,0,1] neg_hi:[0,0,1]
	v_pk_fma_f32 v[230:231], v[230:231], v[234:235], v[238:239] op_sel:[0,0,1] op_sel_hi:[1,0,0]
	v_dual_mul_f32 v238, v233, v237 :: v_dual_mov_b32 v230, v233
	v_dual_mov_b32 v241, v231 :: v_dual_mov_b32 v231, v232
	s_delay_alu instid0(VALU_DEP_2) | instskip(SKIP_1) | instid1(VALU_DEP_3)
	v_pk_fma_f32 v[238:239], v[232:233], v[148:149], v[238:239] op_sel_hi:[1,1,0] neg_lo:[0,0,1] neg_hi:[0,0,1]
	v_mul_f32_e32 v232, v233, v234
	v_pk_add_f32 v[158:159], v[158:159], v[240:241] neg_lo:[0,1] neg_hi:[0,1]
	s_delay_alu instid0(VALU_DEP_2) | instskip(NEXT) | instid1(VALU_DEP_1)
	v_pk_fma_f32 v[230:231], v[230:231], v[148:149], v[232:233] op_sel_hi:[1,1,0]
	v_mov_b32_e32 v239, v231
	ds_load_2addr_b64 v[230:233], v244 offset0:38 offset1:39
	v_pk_add_f32 v[156:157], v[156:157], v[238:239] neg_lo:[0,1] neg_hi:[0,1]
	s_wait_dscnt 0x0
	v_pk_mul_f32 v[238:239], v[230:231], v[236:237] op_sel:[0,1]
	v_mul_f32_e32 v236, v233, v237
	s_delay_alu instid0(VALU_DEP_2) | instskip(SKIP_2) | instid1(VALU_DEP_4)
	v_pk_fma_f32 v[240:241], v[230:231], v[234:235], v[238:239] op_sel:[0,0,1] op_sel_hi:[1,1,0] neg_lo:[0,0,1] neg_hi:[0,0,1]
	v_pk_fma_f32 v[230:231], v[230:231], v[234:235], v[238:239] op_sel:[0,0,1] op_sel_hi:[1,0,0]
	v_mov_b32_e32 v230, v233
	v_pk_fma_f32 v[236:237], v[232:233], v[148:149], v[236:237] op_sel_hi:[1,1,0] neg_lo:[0,0,1] neg_hi:[0,0,1]
	s_delay_alu instid0(VALU_DEP_3) | instskip(SKIP_1) | instid1(VALU_DEP_2)
	v_dual_mov_b32 v241, v231 :: v_dual_mov_b32 v231, v232
	v_mul_f32_e32 v232, v233, v234
	v_pk_add_f32 v[154:155], v[154:155], v[240:241] neg_lo:[0,1] neg_hi:[0,1]
	s_delay_alu instid0(VALU_DEP_2) | instskip(NEXT) | instid1(VALU_DEP_1)
	v_pk_fma_f32 v[230:231], v[230:231], v[148:149], v[232:233] op_sel_hi:[1,1,0]
	v_mov_b32_e32 v237, v231
	s_delay_alu instid0(VALU_DEP_1)
	v_pk_add_f32 v[160:161], v[160:161], v[236:237] neg_lo:[0,1] neg_hi:[0,1]
.LBB79_307:
	s_or_b32 exec_lo, exec_lo, s1
	s_delay_alu instid0(SALU_CYCLE_1)
	s_mov_b32 s2, exec_lo
	s_wait_dscnt 0x0
	s_barrier_signal -1
	s_barrier_wait -1
	v_cmpx_eq_u32_e32 34, v242
	s_cbranch_execz .LBB79_314
; %bb.308:
	ds_store_b64 v243, v[150:151]
	ds_store_2addr_b64 v244, v[146:147], v[158:159] offset0:35 offset1:36
	ds_store_2addr_b64 v244, v[156:157], v[154:155] offset0:37 offset1:38
	ds_store_b64 v244, v[160:161] offset:312
	ds_load_b64 v[230:231], v243
	s_wait_dscnt 0x0
	v_cmp_neq_f32_e32 vcc_lo, 0, v230
	v_cmp_neq_f32_e64 s1, 0, v231
	s_or_b32 s1, vcc_lo, s1
	s_delay_alu instid0(SALU_CYCLE_1)
	s_and_b32 exec_lo, exec_lo, s1
	s_cbranch_execz .LBB79_314
; %bb.309:
	v_cmp_ngt_f32_e64 s1, |v230|, |v231|
                                        ; implicit-def: $vgpr232_vgpr233
	s_and_saveexec_b32 s4, s1
	s_delay_alu instid0(SALU_CYCLE_1)
	s_xor_b32 s1, exec_lo, s4
	s_cbranch_execz .LBB79_311
; %bb.310:
	v_div_scale_f32 v0, null, v231, v231, v230
	v_div_scale_f32 v233, vcc_lo, v230, v231, v230
	s_delay_alu instid0(VALU_DEP_2) | instskip(SKIP_1) | instid1(TRANS32_DEP_1)
	v_rcp_f32_e32 v1, v0
	v_nop
	v_fma_f32 v232, -v0, v1, 1.0
	s_delay_alu instid0(VALU_DEP_1) | instskip(NEXT) | instid1(VALU_DEP_1)
	v_fmac_f32_e32 v1, v232, v1
	v_mul_f32_e32 v232, v233, v1
	s_delay_alu instid0(VALU_DEP_1) | instskip(NEXT) | instid1(VALU_DEP_1)
	v_fma_f32 v234, -v0, v232, v233
	v_fmac_f32_e32 v232, v234, v1
	s_delay_alu instid0(VALU_DEP_1) | instskip(NEXT) | instid1(VALU_DEP_1)
	v_fma_f32 v0, -v0, v232, v233
	v_div_fmas_f32 v0, v0, v1, v232
	s_delay_alu instid0(VALU_DEP_1) | instskip(NEXT) | instid1(VALU_DEP_1)
	v_div_fixup_f32 v0, v0, v231, v230
	v_fmac_f32_e32 v231, v230, v0
	s_delay_alu instid0(VALU_DEP_1) | instskip(SKIP_1) | instid1(VALU_DEP_2)
	v_div_scale_f32 v1, null, v231, v231, 1.0
	v_div_scale_f32 v233, vcc_lo, 1.0, v231, 1.0
	v_rcp_f32_e32 v230, v1
	v_nop
	s_delay_alu instid0(TRANS32_DEP_1) | instskip(NEXT) | instid1(VALU_DEP_1)
	v_fma_f32 v232, -v1, v230, 1.0
	v_fmac_f32_e32 v230, v232, v230
	s_delay_alu instid0(VALU_DEP_1) | instskip(NEXT) | instid1(VALU_DEP_1)
	v_mul_f32_e32 v232, v233, v230
	v_fma_f32 v234, -v1, v232, v233
	s_delay_alu instid0(VALU_DEP_1) | instskip(NEXT) | instid1(VALU_DEP_1)
	v_fmac_f32_e32 v232, v234, v230
	v_fma_f32 v1, -v1, v232, v233
	s_delay_alu instid0(VALU_DEP_1) | instskip(NEXT) | instid1(VALU_DEP_1)
	v_div_fmas_f32 v1, v1, v230, v232
	v_div_fixup_f32 v1, v1, v231, 1.0
                                        ; implicit-def: $vgpr230_vgpr231
	s_delay_alu instid0(VALU_DEP_1)
	v_mul_f32_e32 v232, v0, v1
	v_xor_b32_e32 v233, 0x80000000, v1
.LBB79_311:
	s_and_not1_saveexec_b32 s1, s1
	s_cbranch_execz .LBB79_313
; %bb.312:
	v_div_scale_f32 v0, null, v230, v230, v231
	v_div_scale_f32 v233, vcc_lo, v231, v230, v231
	s_delay_alu instid0(VALU_DEP_2) | instskip(SKIP_1) | instid1(TRANS32_DEP_1)
	v_rcp_f32_e32 v1, v0
	v_nop
	v_fma_f32 v232, -v0, v1, 1.0
	s_delay_alu instid0(VALU_DEP_1) | instskip(NEXT) | instid1(VALU_DEP_1)
	v_fmac_f32_e32 v1, v232, v1
	v_mul_f32_e32 v232, v233, v1
	s_delay_alu instid0(VALU_DEP_1) | instskip(NEXT) | instid1(VALU_DEP_1)
	v_fma_f32 v234, -v0, v232, v233
	v_fmac_f32_e32 v232, v234, v1
	s_delay_alu instid0(VALU_DEP_1) | instskip(NEXT) | instid1(VALU_DEP_1)
	v_fma_f32 v0, -v0, v232, v233
	v_div_fmas_f32 v0, v0, v1, v232
	s_delay_alu instid0(VALU_DEP_1) | instskip(NEXT) | instid1(VALU_DEP_1)
	v_div_fixup_f32 v0, v0, v230, v231
	v_fmac_f32_e32 v230, v231, v0
	s_delay_alu instid0(VALU_DEP_1) | instskip(NEXT) | instid1(VALU_DEP_1)
	v_div_scale_f32 v1, null, v230, v230, 1.0
	v_rcp_f32_e32 v231, v1
	v_nop
	s_delay_alu instid0(TRANS32_DEP_1) | instskip(NEXT) | instid1(VALU_DEP_1)
	v_fma_f32 v232, -v1, v231, 1.0
	v_fmac_f32_e32 v231, v232, v231
	v_div_scale_f32 v232, vcc_lo, 1.0, v230, 1.0
	s_delay_alu instid0(VALU_DEP_1) | instskip(NEXT) | instid1(VALU_DEP_1)
	v_mul_f32_e32 v233, v232, v231
	v_fma_f32 v234, -v1, v233, v232
	s_delay_alu instid0(VALU_DEP_1) | instskip(NEXT) | instid1(VALU_DEP_1)
	v_fmac_f32_e32 v233, v234, v231
	v_fma_f32 v1, -v1, v233, v232
	s_delay_alu instid0(VALU_DEP_1) | instskip(NEXT) | instid1(VALU_DEP_1)
	v_div_fmas_f32 v1, v1, v231, v233
	v_div_fixup_f32 v232, v1, v230, 1.0
	s_delay_alu instid0(VALU_DEP_1)
	v_mul_f32_e64 v233, v0, -v232
.LBB79_313:
	s_or_b32 exec_lo, exec_lo, s1
	ds_store_b64 v243, v[232:233]
.LBB79_314:
	s_or_b32 exec_lo, exec_lo, s2
	s_wait_dscnt 0x0
	s_barrier_signal -1
	s_barrier_wait -1
	ds_load_b64 v[230:231], v243
	s_mov_b32 s1, exec_lo
	v_cmpx_lt_u32_e32 34, v242
	s_cbranch_execz .LBB79_316
; %bb.315:
	s_wait_dscnt 0x0
	v_pk_mul_f32 v[232:233], v[230:231], v[150:151] op_sel:[1,1] op_sel_hi:[0,1]
	s_delay_alu instid0(VALU_DEP_1)
	v_pk_fma_f32 v[236:237], v[230:231], v[150:151], v[232:233] op_sel_hi:[1,0,1] neg_lo:[0,0,1] neg_hi:[0,0,1]
	v_pk_fma_f32 v[238:239], v[230:231], v[150:151], v[232:233] op_sel_hi:[1,0,1]
	ds_load_2addr_b64 v[232:235], v244 offset0:35 offset1:36
	v_dual_mov_b32 v150, v236 :: v_dual_mov_b32 v151, v239
	s_wait_dscnt 0x0
	v_pk_mul_f32 v[240:241], v[232:233], v[238:239] op_sel:[0,1]
	s_delay_alu instid0(VALU_DEP_1) | instskip(SKIP_1) | instid1(VALU_DEP_1)
	v_pk_fma_f32 v[246:247], v[232:233], v[236:237], v[240:241] op_sel:[0,0,1] op_sel_hi:[1,1,0] neg_lo:[0,0,1] neg_hi:[0,0,1]
	v_pk_fma_f32 v[232:233], v[232:233], v[236:237], v[240:241] op_sel:[0,0,1] op_sel_hi:[1,0,0]
	v_mov_b32_e32 v247, v233
	v_pk_mul_f32 v[232:233], v[234:235], v[238:239] op_sel:[0,1]
	s_delay_alu instid0(VALU_DEP_1) | instskip(SKIP_1) | instid1(VALU_DEP_1)
	v_pk_fma_f32 v[240:241], v[234:235], v[236:237], v[232:233] op_sel:[0,0,1] op_sel_hi:[1,1,0] neg_lo:[0,0,1] neg_hi:[0,0,1]
	v_pk_fma_f32 v[232:233], v[234:235], v[236:237], v[232:233] op_sel:[0,0,1] op_sel_hi:[1,0,0]
	v_mov_b32_e32 v241, v233
	ds_load_2addr_b64 v[232:235], v244 offset0:37 offset1:38
	v_pk_add_f32 v[146:147], v[146:147], v[246:247] neg_lo:[0,1] neg_hi:[0,1]
	v_pk_add_f32 v[158:159], v[158:159], v[240:241] neg_lo:[0,1] neg_hi:[0,1]
	s_wait_dscnt 0x0
	v_pk_mul_f32 v[240:241], v[232:233], v[238:239] op_sel:[0,1]
	s_delay_alu instid0(VALU_DEP_1) | instskip(SKIP_2) | instid1(VALU_DEP_2)
	v_pk_fma_f32 v[246:247], v[232:233], v[236:237], v[240:241] op_sel:[0,0,1] op_sel_hi:[1,1,0] neg_lo:[0,0,1] neg_hi:[0,0,1]
	v_pk_fma_f32 v[232:233], v[232:233], v[236:237], v[240:241] op_sel:[0,0,1] op_sel_hi:[1,0,0]
	v_dual_mul_f32 v240, v235, v239 :: v_dual_mov_b32 v232, v235
	v_dual_mov_b32 v247, v233 :: v_dual_mov_b32 v233, v234
	s_delay_alu instid0(VALU_DEP_2) | instskip(SKIP_1) | instid1(VALU_DEP_3)
	v_pk_fma_f32 v[240:241], v[234:235], v[150:151], v[240:241] op_sel_hi:[1,1,0] neg_lo:[0,0,1] neg_hi:[0,0,1]
	v_mul_f32_e32 v234, v235, v236
	v_pk_add_f32 v[156:157], v[156:157], v[246:247] neg_lo:[0,1] neg_hi:[0,1]
	s_delay_alu instid0(VALU_DEP_2) | instskip(NEXT) | instid1(VALU_DEP_1)
	v_pk_fma_f32 v[232:233], v[232:233], v[150:151], v[234:235] op_sel_hi:[1,1,0]
	v_mov_b32_e32 v241, v233
	ds_load_b64 v[232:233], v244 offset:312
	v_pk_add_f32 v[154:155], v[154:155], v[240:241] neg_lo:[0,1] neg_hi:[0,1]
	s_wait_dscnt 0x0
	v_pk_mul_f32 v[234:235], v[232:233], v[238:239] op_sel:[0,1]
	s_delay_alu instid0(VALU_DEP_1) | instskip(SKIP_1) | instid1(VALU_DEP_1)
	v_pk_fma_f32 v[238:239], v[232:233], v[236:237], v[234:235] op_sel:[0,0,1] op_sel_hi:[1,1,0] neg_lo:[0,0,1] neg_hi:[0,0,1]
	v_pk_fma_f32 v[232:233], v[232:233], v[236:237], v[234:235] op_sel:[0,0,1] op_sel_hi:[1,0,0]
	v_mov_b32_e32 v239, v233
	s_delay_alu instid0(VALU_DEP_1)
	v_pk_add_f32 v[160:161], v[160:161], v[238:239] neg_lo:[0,1] neg_hi:[0,1]
.LBB79_316:
	s_or_b32 exec_lo, exec_lo, s1
	s_delay_alu instid0(SALU_CYCLE_1)
	s_mov_b32 s2, exec_lo
	s_wait_dscnt 0x0
	s_barrier_signal -1
	s_barrier_wait -1
	v_cmpx_eq_u32_e32 35, v242
	s_cbranch_execz .LBB79_323
; %bb.317:
	v_dual_mov_b32 v232, v158 :: v_dual_mov_b32 v233, v159
	v_dual_mov_b32 v234, v156 :: v_dual_mov_b32 v235, v157
	;; [unrolled: 1-line block ×3, first 2 shown]
	ds_store_b64 v243, v[146:147]
	ds_store_2addr_b64 v244, v[232:233], v[234:235] offset0:36 offset1:37
	ds_store_2addr_b64 v244, v[236:237], v[160:161] offset0:38 offset1:39
	ds_load_b64 v[232:233], v243
	s_wait_dscnt 0x0
	v_cmp_neq_f32_e32 vcc_lo, 0, v232
	v_cmp_neq_f32_e64 s1, 0, v233
	s_or_b32 s1, vcc_lo, s1
	s_delay_alu instid0(SALU_CYCLE_1)
	s_and_b32 exec_lo, exec_lo, s1
	s_cbranch_execz .LBB79_323
; %bb.318:
	v_cmp_ngt_f32_e64 s1, |v232|, |v233|
                                        ; implicit-def: $vgpr234_vgpr235
	s_and_saveexec_b32 s4, s1
	s_delay_alu instid0(SALU_CYCLE_1)
	s_xor_b32 s1, exec_lo, s4
	s_cbranch_execz .LBB79_320
; %bb.319:
	v_div_scale_f32 v0, null, v233, v233, v232
	v_div_scale_f32 v235, vcc_lo, v232, v233, v232
	s_delay_alu instid0(VALU_DEP_2) | instskip(SKIP_1) | instid1(TRANS32_DEP_1)
	v_rcp_f32_e32 v1, v0
	v_nop
	v_fma_f32 v234, -v0, v1, 1.0
	s_delay_alu instid0(VALU_DEP_1) | instskip(NEXT) | instid1(VALU_DEP_1)
	v_fmac_f32_e32 v1, v234, v1
	v_mul_f32_e32 v234, v235, v1
	s_delay_alu instid0(VALU_DEP_1) | instskip(NEXT) | instid1(VALU_DEP_1)
	v_fma_f32 v236, -v0, v234, v235
	v_fmac_f32_e32 v234, v236, v1
	s_delay_alu instid0(VALU_DEP_1) | instskip(NEXT) | instid1(VALU_DEP_1)
	v_fma_f32 v0, -v0, v234, v235
	v_div_fmas_f32 v0, v0, v1, v234
	s_delay_alu instid0(VALU_DEP_1) | instskip(NEXT) | instid1(VALU_DEP_1)
	v_div_fixup_f32 v0, v0, v233, v232
	v_fmac_f32_e32 v233, v232, v0
	s_delay_alu instid0(VALU_DEP_1) | instskip(SKIP_1) | instid1(VALU_DEP_2)
	v_div_scale_f32 v1, null, v233, v233, 1.0
	v_div_scale_f32 v235, vcc_lo, 1.0, v233, 1.0
	v_rcp_f32_e32 v232, v1
	v_nop
	s_delay_alu instid0(TRANS32_DEP_1) | instskip(NEXT) | instid1(VALU_DEP_1)
	v_fma_f32 v234, -v1, v232, 1.0
	v_fmac_f32_e32 v232, v234, v232
	s_delay_alu instid0(VALU_DEP_1) | instskip(NEXT) | instid1(VALU_DEP_1)
	v_mul_f32_e32 v234, v235, v232
	v_fma_f32 v236, -v1, v234, v235
	s_delay_alu instid0(VALU_DEP_1) | instskip(NEXT) | instid1(VALU_DEP_1)
	v_fmac_f32_e32 v234, v236, v232
	v_fma_f32 v1, -v1, v234, v235
	s_delay_alu instid0(VALU_DEP_1) | instskip(NEXT) | instid1(VALU_DEP_1)
	v_div_fmas_f32 v1, v1, v232, v234
	v_div_fixup_f32 v1, v1, v233, 1.0
                                        ; implicit-def: $vgpr232_vgpr233
	s_delay_alu instid0(VALU_DEP_1)
	v_mul_f32_e32 v234, v0, v1
	v_xor_b32_e32 v235, 0x80000000, v1
.LBB79_320:
	s_and_not1_saveexec_b32 s1, s1
	s_cbranch_execz .LBB79_322
; %bb.321:
	v_div_scale_f32 v0, null, v232, v232, v233
	v_div_scale_f32 v235, vcc_lo, v233, v232, v233
	s_delay_alu instid0(VALU_DEP_2) | instskip(SKIP_1) | instid1(TRANS32_DEP_1)
	v_rcp_f32_e32 v1, v0
	v_nop
	v_fma_f32 v234, -v0, v1, 1.0
	s_delay_alu instid0(VALU_DEP_1) | instskip(NEXT) | instid1(VALU_DEP_1)
	v_fmac_f32_e32 v1, v234, v1
	v_mul_f32_e32 v234, v235, v1
	s_delay_alu instid0(VALU_DEP_1) | instskip(NEXT) | instid1(VALU_DEP_1)
	v_fma_f32 v236, -v0, v234, v235
	v_fmac_f32_e32 v234, v236, v1
	s_delay_alu instid0(VALU_DEP_1) | instskip(NEXT) | instid1(VALU_DEP_1)
	v_fma_f32 v0, -v0, v234, v235
	v_div_fmas_f32 v0, v0, v1, v234
	s_delay_alu instid0(VALU_DEP_1) | instskip(NEXT) | instid1(VALU_DEP_1)
	v_div_fixup_f32 v0, v0, v232, v233
	v_fmac_f32_e32 v232, v233, v0
	s_delay_alu instid0(VALU_DEP_1) | instskip(NEXT) | instid1(VALU_DEP_1)
	v_div_scale_f32 v1, null, v232, v232, 1.0
	v_rcp_f32_e32 v233, v1
	v_nop
	s_delay_alu instid0(TRANS32_DEP_1) | instskip(NEXT) | instid1(VALU_DEP_1)
	v_fma_f32 v234, -v1, v233, 1.0
	v_fmac_f32_e32 v233, v234, v233
	v_div_scale_f32 v234, vcc_lo, 1.0, v232, 1.0
	s_delay_alu instid0(VALU_DEP_1) | instskip(NEXT) | instid1(VALU_DEP_1)
	v_mul_f32_e32 v235, v234, v233
	v_fma_f32 v236, -v1, v235, v234
	s_delay_alu instid0(VALU_DEP_1) | instskip(NEXT) | instid1(VALU_DEP_1)
	v_fmac_f32_e32 v235, v236, v233
	v_fma_f32 v1, -v1, v235, v234
	s_delay_alu instid0(VALU_DEP_1) | instskip(NEXT) | instid1(VALU_DEP_1)
	v_div_fmas_f32 v1, v1, v233, v235
	v_div_fixup_f32 v234, v1, v232, 1.0
	s_delay_alu instid0(VALU_DEP_1)
	v_mul_f32_e64 v235, v0, -v234
.LBB79_322:
	s_or_b32 exec_lo, exec_lo, s1
	ds_store_b64 v243, v[234:235]
.LBB79_323:
	s_or_b32 exec_lo, exec_lo, s2
	s_wait_dscnt 0x0
	s_barrier_signal -1
	s_barrier_wait -1
	ds_load_b64 v[232:233], v243
	s_mov_b32 s1, exec_lo
	v_cmpx_lt_u32_e32 35, v242
	s_cbranch_execz .LBB79_325
; %bb.324:
	s_wait_dscnt 0x0
	v_pk_mul_f32 v[234:235], v[232:233], v[146:147] op_sel:[1,1] op_sel_hi:[0,1]
	s_delay_alu instid0(VALU_DEP_1)
	v_pk_fma_f32 v[238:239], v[232:233], v[146:147], v[234:235] op_sel_hi:[1,0,1] neg_lo:[0,0,1] neg_hi:[0,0,1]
	v_pk_fma_f32 v[240:241], v[232:233], v[146:147], v[234:235] op_sel_hi:[1,0,1]
	ds_load_2addr_b64 v[234:237], v244 offset0:36 offset1:37
	v_dual_mov_b32 v146, v238 :: v_dual_mov_b32 v147, v241
	s_wait_dscnt 0x0
	v_pk_mul_f32 v[246:247], v[234:235], v[240:241] op_sel:[0,1]
	s_delay_alu instid0(VALU_DEP_1) | instskip(SKIP_1) | instid1(VALU_DEP_1)
	v_pk_fma_f32 v[248:249], v[234:235], v[238:239], v[246:247] op_sel:[0,0,1] op_sel_hi:[1,1,0] neg_lo:[0,0,1] neg_hi:[0,0,1]
	v_pk_fma_f32 v[234:235], v[234:235], v[238:239], v[246:247] op_sel:[0,0,1] op_sel_hi:[1,0,0]
	v_mov_b32_e32 v249, v235
	v_pk_mul_f32 v[234:235], v[236:237], v[240:241] op_sel:[0,1]
	s_delay_alu instid0(VALU_DEP_1) | instskip(SKIP_1) | instid1(VALU_DEP_1)
	v_pk_fma_f32 v[246:247], v[236:237], v[238:239], v[234:235] op_sel:[0,0,1] op_sel_hi:[1,1,0] neg_lo:[0,0,1] neg_hi:[0,0,1]
	v_pk_fma_f32 v[234:235], v[236:237], v[238:239], v[234:235] op_sel:[0,0,1] op_sel_hi:[1,0,0]
	v_mov_b32_e32 v247, v235
	ds_load_2addr_b64 v[234:237], v244 offset0:38 offset1:39
	v_pk_add_f32 v[158:159], v[158:159], v[248:249] neg_lo:[0,1] neg_hi:[0,1]
	v_pk_add_f32 v[156:157], v[156:157], v[246:247] neg_lo:[0,1] neg_hi:[0,1]
	s_wait_dscnt 0x0
	v_pk_mul_f32 v[246:247], v[234:235], v[240:241] op_sel:[0,1]
	s_delay_alu instid0(VALU_DEP_1) | instskip(SKIP_1) | instid1(VALU_DEP_1)
	v_pk_fma_f32 v[248:249], v[234:235], v[238:239], v[246:247] op_sel:[0,0,1] op_sel_hi:[1,1,0] neg_lo:[0,0,1] neg_hi:[0,0,1]
	v_pk_fma_f32 v[234:235], v[234:235], v[238:239], v[246:247] op_sel:[0,0,1] op_sel_hi:[1,0,0]
	v_dual_mov_b32 v234, v237 :: v_dual_mov_b32 v249, v235
	v_mov_b32_e32 v235, v236
	s_delay_alu instid0(VALU_DEP_2) | instskip(NEXT) | instid1(VALU_DEP_2)
	v_pk_add_f32 v[154:155], v[154:155], v[248:249] neg_lo:[0,1] neg_hi:[0,1]
	v_pk_mul_f32 v[234:235], v[234:235], v[240:241] op_sel:[0,1]
	s_delay_alu instid0(VALU_DEP_1) | instskip(SKIP_1) | instid1(VALU_DEP_1)
	v_pk_fma_f32 v[240:241], v[236:237], v[238:239], v[234:235] neg_lo:[0,0,1] neg_hi:[0,0,1]
	v_pk_fma_f32 v[234:235], v[236:237], v[238:239], v[234:235] op_sel_hi:[1,0,1]
	v_mov_b32_e32 v241, v235
	s_delay_alu instid0(VALU_DEP_1)
	v_pk_add_f32 v[160:161], v[160:161], v[240:241] neg_lo:[0,1] neg_hi:[0,1]
.LBB79_325:
	s_or_b32 exec_lo, exec_lo, s1
	s_delay_alu instid0(SALU_CYCLE_1)
	s_mov_b32 s2, exec_lo
	s_wait_dscnt 0x0
	s_barrier_signal -1
	s_barrier_wait -1
	v_cmpx_eq_u32_e32 36, v242
	s_cbranch_execz .LBB79_332
; %bb.326:
	ds_store_b64 v243, v[158:159]
	ds_store_2addr_b64 v244, v[156:157], v[154:155] offset0:37 offset1:38
	ds_store_b64 v244, v[160:161] offset:312
	ds_load_b64 v[234:235], v243
	s_wait_dscnt 0x0
	v_cmp_neq_f32_e32 vcc_lo, 0, v234
	v_cmp_neq_f32_e64 s1, 0, v235
	s_or_b32 s1, vcc_lo, s1
	s_delay_alu instid0(SALU_CYCLE_1)
	s_and_b32 exec_lo, exec_lo, s1
	s_cbranch_execz .LBB79_332
; %bb.327:
	v_cmp_ngt_f32_e64 s1, |v234|, |v235|
                                        ; implicit-def: $vgpr236_vgpr237
	s_and_saveexec_b32 s4, s1
	s_delay_alu instid0(SALU_CYCLE_1)
	s_xor_b32 s1, exec_lo, s4
	s_cbranch_execz .LBB79_329
; %bb.328:
	v_div_scale_f32 v0, null, v235, v235, v234
	v_div_scale_f32 v237, vcc_lo, v234, v235, v234
	s_delay_alu instid0(VALU_DEP_2) | instskip(SKIP_1) | instid1(TRANS32_DEP_1)
	v_rcp_f32_e32 v1, v0
	v_nop
	v_fma_f32 v236, -v0, v1, 1.0
	s_delay_alu instid0(VALU_DEP_1) | instskip(NEXT) | instid1(VALU_DEP_1)
	v_fmac_f32_e32 v1, v236, v1
	v_mul_f32_e32 v236, v237, v1
	s_delay_alu instid0(VALU_DEP_1) | instskip(NEXT) | instid1(VALU_DEP_1)
	v_fma_f32 v238, -v0, v236, v237
	v_fmac_f32_e32 v236, v238, v1
	s_delay_alu instid0(VALU_DEP_1) | instskip(NEXT) | instid1(VALU_DEP_1)
	v_fma_f32 v0, -v0, v236, v237
	v_div_fmas_f32 v0, v0, v1, v236
	s_delay_alu instid0(VALU_DEP_1) | instskip(NEXT) | instid1(VALU_DEP_1)
	v_div_fixup_f32 v0, v0, v235, v234
	v_fmac_f32_e32 v235, v234, v0
	s_delay_alu instid0(VALU_DEP_1) | instskip(SKIP_1) | instid1(VALU_DEP_2)
	v_div_scale_f32 v1, null, v235, v235, 1.0
	v_div_scale_f32 v237, vcc_lo, 1.0, v235, 1.0
	v_rcp_f32_e32 v234, v1
	v_nop
	s_delay_alu instid0(TRANS32_DEP_1) | instskip(NEXT) | instid1(VALU_DEP_1)
	v_fma_f32 v236, -v1, v234, 1.0
	v_fmac_f32_e32 v234, v236, v234
	s_delay_alu instid0(VALU_DEP_1) | instskip(NEXT) | instid1(VALU_DEP_1)
	v_mul_f32_e32 v236, v237, v234
	v_fma_f32 v238, -v1, v236, v237
	s_delay_alu instid0(VALU_DEP_1) | instskip(NEXT) | instid1(VALU_DEP_1)
	v_fmac_f32_e32 v236, v238, v234
	v_fma_f32 v1, -v1, v236, v237
	s_delay_alu instid0(VALU_DEP_1) | instskip(NEXT) | instid1(VALU_DEP_1)
	v_div_fmas_f32 v1, v1, v234, v236
	v_div_fixup_f32 v1, v1, v235, 1.0
                                        ; implicit-def: $vgpr234_vgpr235
	s_delay_alu instid0(VALU_DEP_1)
	v_mul_f32_e32 v236, v0, v1
	v_xor_b32_e32 v237, 0x80000000, v1
.LBB79_329:
	s_and_not1_saveexec_b32 s1, s1
	s_cbranch_execz .LBB79_331
; %bb.330:
	v_div_scale_f32 v0, null, v234, v234, v235
	v_div_scale_f32 v237, vcc_lo, v235, v234, v235
	s_delay_alu instid0(VALU_DEP_2) | instskip(SKIP_1) | instid1(TRANS32_DEP_1)
	v_rcp_f32_e32 v1, v0
	v_nop
	v_fma_f32 v236, -v0, v1, 1.0
	s_delay_alu instid0(VALU_DEP_1) | instskip(NEXT) | instid1(VALU_DEP_1)
	v_fmac_f32_e32 v1, v236, v1
	v_mul_f32_e32 v236, v237, v1
	s_delay_alu instid0(VALU_DEP_1) | instskip(NEXT) | instid1(VALU_DEP_1)
	v_fma_f32 v238, -v0, v236, v237
	v_fmac_f32_e32 v236, v238, v1
	s_delay_alu instid0(VALU_DEP_1) | instskip(NEXT) | instid1(VALU_DEP_1)
	v_fma_f32 v0, -v0, v236, v237
	v_div_fmas_f32 v0, v0, v1, v236
	s_delay_alu instid0(VALU_DEP_1) | instskip(NEXT) | instid1(VALU_DEP_1)
	v_div_fixup_f32 v0, v0, v234, v235
	v_fmac_f32_e32 v234, v235, v0
	s_delay_alu instid0(VALU_DEP_1) | instskip(NEXT) | instid1(VALU_DEP_1)
	v_div_scale_f32 v1, null, v234, v234, 1.0
	v_rcp_f32_e32 v235, v1
	v_nop
	s_delay_alu instid0(TRANS32_DEP_1) | instskip(NEXT) | instid1(VALU_DEP_1)
	v_fma_f32 v236, -v1, v235, 1.0
	v_fmac_f32_e32 v235, v236, v235
	v_div_scale_f32 v236, vcc_lo, 1.0, v234, 1.0
	s_delay_alu instid0(VALU_DEP_1) | instskip(NEXT) | instid1(VALU_DEP_1)
	v_mul_f32_e32 v237, v236, v235
	v_fma_f32 v238, -v1, v237, v236
	s_delay_alu instid0(VALU_DEP_1) | instskip(NEXT) | instid1(VALU_DEP_1)
	v_fmac_f32_e32 v237, v238, v235
	v_fma_f32 v1, -v1, v237, v236
	s_delay_alu instid0(VALU_DEP_1) | instskip(NEXT) | instid1(VALU_DEP_1)
	v_div_fmas_f32 v1, v1, v235, v237
	v_div_fixup_f32 v236, v1, v234, 1.0
	s_delay_alu instid0(VALU_DEP_1)
	v_mul_f32_e64 v237, v0, -v236
.LBB79_331:
	s_or_b32 exec_lo, exec_lo, s1
	ds_store_b64 v243, v[236:237]
.LBB79_332:
	s_or_b32 exec_lo, exec_lo, s2
	s_wait_dscnt 0x0
	s_barrier_signal -1
	s_barrier_wait -1
	ds_load_b64 v[234:235], v243
	s_mov_b32 s1, exec_lo
	v_cmpx_lt_u32_e32 36, v242
	s_cbranch_execz .LBB79_334
; %bb.333:
	ds_load_2addr_b64 v[236:239], v244 offset0:37 offset1:38
	ds_load_b64 v[240:241], v244 offset:312
	s_wait_dscnt 0x2
	v_pk_mul_f32 v[246:247], v[234:235], v[158:159] op_sel:[1,1] op_sel_hi:[0,1]
	s_delay_alu instid0(VALU_DEP_1) | instskip(SKIP_2) | instid1(VALU_DEP_2)
	v_pk_fma_f32 v[248:249], v[234:235], v[158:159], v[246:247] op_sel_hi:[1,0,1]
	v_pk_fma_f32 v[158:159], v[234:235], v[158:159], v[246:247] op_sel_hi:[1,0,1] neg_lo:[0,0,1] neg_hi:[0,0,1]
	s_wait_dscnt 0x1
	v_pk_mul_f32 v[246:247], v[236:237], v[248:249] op_sel:[0,1]
	v_pk_mul_f32 v[250:251], v[238:239], v[248:249] op_sel:[0,1]
	s_wait_dscnt 0x0
	v_pk_mul_f32 v[252:253], v[240:241], v[248:249] op_sel:[1,1] op_sel_hi:[0,1]
	s_delay_alu instid0(VALU_DEP_3) | instskip(SKIP_2) | instid1(VALU_DEP_4)
	v_pk_fma_f32 v[254:255], v[236:237], v[158:159], v[246:247] op_sel:[0,0,1] op_sel_hi:[1,1,0] neg_lo:[0,0,1] neg_hi:[0,0,1]
	v_pk_fma_f32 v[236:237], v[236:237], v[158:159], v[246:247] op_sel:[0,0,1] op_sel_hi:[1,0,0]
	v_pk_fma_f32 v[246:247], v[238:239], v[158:159], v[250:251] op_sel:[0,0,1] op_sel_hi:[1,0,0]
	v_pk_fma_f32 v[0:1], v[240:241], v[158:159], v[252:253] op_sel_hi:[1,0,1]
	v_pk_fma_f32 v[238:239], v[238:239], v[158:159], v[250:251] op_sel:[0,0,1] op_sel_hi:[1,1,0] neg_lo:[0,0,1] neg_hi:[0,0,1]
	v_pk_fma_f32 v[240:241], v[240:241], v[158:159], v[252:253] neg_lo:[0,0,1] neg_hi:[0,0,1]
	s_delay_alu instid0(VALU_DEP_4) | instskip(NEXT) | instid1(VALU_DEP_4)
	v_dual_mov_b32 v255, v237 :: v_dual_mov_b32 v239, v247
	v_dual_mov_b32 v241, v1 :: v_dual_mov_b32 v159, v249
	s_delay_alu instid0(VALU_DEP_2) | instskip(NEXT) | instid1(VALU_DEP_3)
	v_pk_add_f32 v[156:157], v[156:157], v[254:255] neg_lo:[0,1] neg_hi:[0,1]
	v_pk_add_f32 v[154:155], v[154:155], v[238:239] neg_lo:[0,1] neg_hi:[0,1]
	s_delay_alu instid0(VALU_DEP_3)
	v_pk_add_f32 v[160:161], v[160:161], v[240:241] neg_lo:[0,1] neg_hi:[0,1]
.LBB79_334:
	s_or_b32 exec_lo, exec_lo, s1
	s_delay_alu instid0(SALU_CYCLE_1)
	s_mov_b32 s2, exec_lo
	s_wait_dscnt 0x0
	s_barrier_signal -1
	s_barrier_wait -1
	v_cmpx_eq_u32_e32 37, v242
	s_cbranch_execz .LBB79_341
; %bb.335:
	v_dual_mov_b32 v0, v154 :: v_dual_mov_b32 v1, v155
	ds_store_b64 v243, v[156:157]
	ds_store_2addr_b64 v244, v[0:1], v[160:161] offset0:38 offset1:39
	ds_load_b64 v[236:237], v243
	s_wait_dscnt 0x0
	v_cmp_neq_f32_e32 vcc_lo, 0, v236
	v_cmp_neq_f32_e64 s1, 0, v237
	s_or_b32 s1, vcc_lo, s1
	s_delay_alu instid0(SALU_CYCLE_1)
	s_and_b32 exec_lo, exec_lo, s1
	s_cbranch_execz .LBB79_341
; %bb.336:
	v_cmp_ngt_f32_e64 s1, |v236|, |v237|
                                        ; implicit-def: $vgpr238_vgpr239
	s_and_saveexec_b32 s4, s1
	s_delay_alu instid0(SALU_CYCLE_1)
	s_xor_b32 s1, exec_lo, s4
	s_cbranch_execz .LBB79_338
; %bb.337:
	v_div_scale_f32 v0, null, v237, v237, v236
	v_div_scale_f32 v239, vcc_lo, v236, v237, v236
	s_delay_alu instid0(VALU_DEP_2) | instskip(SKIP_1) | instid1(TRANS32_DEP_1)
	v_rcp_f32_e32 v1, v0
	v_nop
	v_fma_f32 v238, -v0, v1, 1.0
	s_delay_alu instid0(VALU_DEP_1) | instskip(NEXT) | instid1(VALU_DEP_1)
	v_fmac_f32_e32 v1, v238, v1
	v_mul_f32_e32 v238, v239, v1
	s_delay_alu instid0(VALU_DEP_1) | instskip(NEXT) | instid1(VALU_DEP_1)
	v_fma_f32 v240, -v0, v238, v239
	v_fmac_f32_e32 v238, v240, v1
	s_delay_alu instid0(VALU_DEP_1) | instskip(NEXT) | instid1(VALU_DEP_1)
	v_fma_f32 v0, -v0, v238, v239
	v_div_fmas_f32 v0, v0, v1, v238
	s_delay_alu instid0(VALU_DEP_1) | instskip(NEXT) | instid1(VALU_DEP_1)
	v_div_fixup_f32 v0, v0, v237, v236
	v_fmac_f32_e32 v237, v236, v0
	s_delay_alu instid0(VALU_DEP_1) | instskip(SKIP_1) | instid1(VALU_DEP_2)
	v_div_scale_f32 v1, null, v237, v237, 1.0
	v_div_scale_f32 v239, vcc_lo, 1.0, v237, 1.0
	v_rcp_f32_e32 v236, v1
	v_nop
	s_delay_alu instid0(TRANS32_DEP_1) | instskip(NEXT) | instid1(VALU_DEP_1)
	v_fma_f32 v238, -v1, v236, 1.0
	v_fmac_f32_e32 v236, v238, v236
	s_delay_alu instid0(VALU_DEP_1) | instskip(NEXT) | instid1(VALU_DEP_1)
	v_mul_f32_e32 v238, v239, v236
	v_fma_f32 v240, -v1, v238, v239
	s_delay_alu instid0(VALU_DEP_1) | instskip(NEXT) | instid1(VALU_DEP_1)
	v_fmac_f32_e32 v238, v240, v236
	v_fma_f32 v1, -v1, v238, v239
	s_delay_alu instid0(VALU_DEP_1) | instskip(NEXT) | instid1(VALU_DEP_1)
	v_div_fmas_f32 v1, v1, v236, v238
	v_div_fixup_f32 v1, v1, v237, 1.0
                                        ; implicit-def: $vgpr236_vgpr237
	s_delay_alu instid0(VALU_DEP_1)
	v_mul_f32_e32 v238, v0, v1
	v_xor_b32_e32 v239, 0x80000000, v1
.LBB79_338:
	s_and_not1_saveexec_b32 s1, s1
	s_cbranch_execz .LBB79_340
; %bb.339:
	v_div_scale_f32 v0, null, v236, v236, v237
	v_div_scale_f32 v239, vcc_lo, v237, v236, v237
	s_delay_alu instid0(VALU_DEP_2) | instskip(SKIP_1) | instid1(TRANS32_DEP_1)
	v_rcp_f32_e32 v1, v0
	v_nop
	v_fma_f32 v238, -v0, v1, 1.0
	s_delay_alu instid0(VALU_DEP_1) | instskip(NEXT) | instid1(VALU_DEP_1)
	v_fmac_f32_e32 v1, v238, v1
	v_mul_f32_e32 v238, v239, v1
	s_delay_alu instid0(VALU_DEP_1) | instskip(NEXT) | instid1(VALU_DEP_1)
	v_fma_f32 v240, -v0, v238, v239
	v_fmac_f32_e32 v238, v240, v1
	s_delay_alu instid0(VALU_DEP_1) | instskip(NEXT) | instid1(VALU_DEP_1)
	v_fma_f32 v0, -v0, v238, v239
	v_div_fmas_f32 v0, v0, v1, v238
	s_delay_alu instid0(VALU_DEP_1) | instskip(NEXT) | instid1(VALU_DEP_1)
	v_div_fixup_f32 v0, v0, v236, v237
	v_fmac_f32_e32 v236, v237, v0
	s_delay_alu instid0(VALU_DEP_1) | instskip(NEXT) | instid1(VALU_DEP_1)
	v_div_scale_f32 v1, null, v236, v236, 1.0
	v_rcp_f32_e32 v237, v1
	v_nop
	s_delay_alu instid0(TRANS32_DEP_1) | instskip(NEXT) | instid1(VALU_DEP_1)
	v_fma_f32 v238, -v1, v237, 1.0
	v_fmac_f32_e32 v237, v238, v237
	v_div_scale_f32 v238, vcc_lo, 1.0, v236, 1.0
	s_delay_alu instid0(VALU_DEP_1) | instskip(NEXT) | instid1(VALU_DEP_1)
	v_mul_f32_e32 v239, v238, v237
	v_fma_f32 v240, -v1, v239, v238
	s_delay_alu instid0(VALU_DEP_1) | instskip(NEXT) | instid1(VALU_DEP_1)
	v_fmac_f32_e32 v239, v240, v237
	v_fma_f32 v1, -v1, v239, v238
	s_delay_alu instid0(VALU_DEP_1) | instskip(NEXT) | instid1(VALU_DEP_1)
	v_div_fmas_f32 v1, v1, v237, v239
	v_div_fixup_f32 v238, v1, v236, 1.0
	s_delay_alu instid0(VALU_DEP_1)
	v_mul_f32_e64 v239, v0, -v238
.LBB79_340:
	s_or_b32 exec_lo, exec_lo, s1
	ds_store_b64 v243, v[238:239]
.LBB79_341:
	s_or_b32 exec_lo, exec_lo, s2
	s_wait_dscnt 0x0
	s_barrier_signal -1
	s_barrier_wait -1
	ds_load_b64 v[236:237], v243
	s_mov_b32 s1, exec_lo
	v_cmpx_lt_u32_e32 37, v242
	s_cbranch_execz .LBB79_343
; %bb.342:
	ds_load_2addr_b64 v[238:241], v244 offset0:38 offset1:39
	s_wait_dscnt 0x1
	v_pk_mul_f32 v[0:1], v[236:237], v[156:157] op_sel:[1,1] op_sel_hi:[0,1]
	s_delay_alu instid0(VALU_DEP_1) | instskip(SKIP_3) | instid1(VALU_DEP_3)
	v_pk_fma_f32 v[246:247], v[236:237], v[156:157], v[0:1] op_sel_hi:[1,0,1]
	v_pk_fma_f32 v[156:157], v[236:237], v[156:157], v[0:1] op_sel_hi:[1,0,1] neg_lo:[0,0,1] neg_hi:[0,0,1]
	s_wait_dscnt 0x0
	v_dual_mov_b32 v248, v241 :: v_dual_mov_b32 v249, v240
	v_pk_mul_f32 v[0:1], v[238:239], v[246:247] op_sel:[0,1]
	s_delay_alu instid0(VALU_DEP_2) | instskip(NEXT) | instid1(VALU_DEP_2)
	v_pk_mul_f32 v[248:249], v[248:249], v[246:247] op_sel:[0,1]
	v_pk_fma_f32 v[250:251], v[238:239], v[156:157], v[0:1] op_sel:[0,0,1] op_sel_hi:[1,0,0]
	v_pk_fma_f32 v[0:1], v[238:239], v[156:157], v[0:1] op_sel:[0,0,1] op_sel_hi:[1,1,0] neg_lo:[0,0,1] neg_hi:[0,0,1]
	s_delay_alu instid0(VALU_DEP_3) | instskip(SKIP_1) | instid1(VALU_DEP_4)
	v_pk_fma_f32 v[252:253], v[240:241], v[156:157], v[248:249] op_sel_hi:[1,0,1]
	v_pk_fma_f32 v[238:239], v[240:241], v[156:157], v[248:249] neg_lo:[0,0,1] neg_hi:[0,0,1]
	v_dual_mov_b32 v1, v251 :: v_dual_mov_b32 v157, v247
	s_delay_alu instid0(VALU_DEP_3) | instskip(NEXT) | instid1(VALU_DEP_2)
	v_mov_b32_e32 v239, v253
	v_pk_add_f32 v[154:155], v[154:155], v[0:1] neg_lo:[0,1] neg_hi:[0,1]
	s_delay_alu instid0(VALU_DEP_2)
	v_pk_add_f32 v[160:161], v[160:161], v[238:239] neg_lo:[0,1] neg_hi:[0,1]
.LBB79_343:
	s_or_b32 exec_lo, exec_lo, s1
	s_delay_alu instid0(SALU_CYCLE_1)
	s_mov_b32 s2, exec_lo
	s_wait_dscnt 0x0
	s_barrier_signal -1
	s_barrier_wait -1
	v_cmpx_eq_u32_e32 38, v242
	s_cbranch_execz .LBB79_350
; %bb.344:
	ds_store_b64 v243, v[154:155]
	ds_store_b64 v244, v[160:161] offset:312
	ds_load_b64 v[238:239], v243
	s_wait_dscnt 0x0
	v_cmp_neq_f32_e32 vcc_lo, 0, v238
	v_cmp_neq_f32_e64 s1, 0, v239
	s_or_b32 s1, vcc_lo, s1
	s_delay_alu instid0(SALU_CYCLE_1)
	s_and_b32 exec_lo, exec_lo, s1
	s_cbranch_execz .LBB79_350
; %bb.345:
	v_cmp_ngt_f32_e64 s1, |v238|, |v239|
                                        ; implicit-def: $vgpr240_vgpr241
	s_and_saveexec_b32 s4, s1
	s_delay_alu instid0(SALU_CYCLE_1)
	s_xor_b32 s1, exec_lo, s4
	s_cbranch_execz .LBB79_347
; %bb.346:
	v_div_scale_f32 v0, null, v239, v239, v238
	v_div_scale_f32 v241, vcc_lo, v238, v239, v238
	s_delay_alu instid0(VALU_DEP_2) | instskip(SKIP_1) | instid1(TRANS32_DEP_1)
	v_rcp_f32_e32 v1, v0
	v_nop
	v_fma_f32 v240, -v0, v1, 1.0
	s_delay_alu instid0(VALU_DEP_1) | instskip(NEXT) | instid1(VALU_DEP_1)
	v_fmac_f32_e32 v1, v240, v1
	v_mul_f32_e32 v240, v241, v1
	s_delay_alu instid0(VALU_DEP_1) | instskip(NEXT) | instid1(VALU_DEP_1)
	v_fma_f32 v245, -v0, v240, v241
	v_fmac_f32_e32 v240, v245, v1
	s_delay_alu instid0(VALU_DEP_1) | instskip(NEXT) | instid1(VALU_DEP_1)
	v_fma_f32 v0, -v0, v240, v241
	v_div_fmas_f32 v0, v0, v1, v240
	s_delay_alu instid0(VALU_DEP_1) | instskip(NEXT) | instid1(VALU_DEP_1)
	v_div_fixup_f32 v0, v0, v239, v238
	v_fmac_f32_e32 v239, v238, v0
	s_delay_alu instid0(VALU_DEP_1) | instskip(SKIP_1) | instid1(VALU_DEP_2)
	v_div_scale_f32 v1, null, v239, v239, 1.0
	v_div_scale_f32 v241, vcc_lo, 1.0, v239, 1.0
	v_rcp_f32_e32 v238, v1
	v_nop
	s_delay_alu instid0(TRANS32_DEP_1) | instskip(NEXT) | instid1(VALU_DEP_1)
	v_fma_f32 v240, -v1, v238, 1.0
	v_fmac_f32_e32 v238, v240, v238
	s_delay_alu instid0(VALU_DEP_1) | instskip(NEXT) | instid1(VALU_DEP_1)
	v_mul_f32_e32 v240, v241, v238
	v_fma_f32 v245, -v1, v240, v241
	s_delay_alu instid0(VALU_DEP_1) | instskip(NEXT) | instid1(VALU_DEP_1)
	v_fmac_f32_e32 v240, v245, v238
	v_fma_f32 v1, -v1, v240, v241
	s_delay_alu instid0(VALU_DEP_1) | instskip(NEXT) | instid1(VALU_DEP_1)
	v_div_fmas_f32 v1, v1, v238, v240
	v_div_fixup_f32 v1, v1, v239, 1.0
                                        ; implicit-def: $vgpr238_vgpr239
	s_delay_alu instid0(VALU_DEP_1)
	v_mul_f32_e32 v240, v0, v1
	v_xor_b32_e32 v241, 0x80000000, v1
.LBB79_347:
	s_and_not1_saveexec_b32 s1, s1
	s_cbranch_execz .LBB79_349
; %bb.348:
	v_div_scale_f32 v0, null, v238, v238, v239
	v_div_scale_f32 v241, vcc_lo, v239, v238, v239
	s_delay_alu instid0(VALU_DEP_2) | instskip(SKIP_1) | instid1(TRANS32_DEP_1)
	v_rcp_f32_e32 v1, v0
	v_nop
	v_fma_f32 v240, -v0, v1, 1.0
	s_delay_alu instid0(VALU_DEP_1) | instskip(NEXT) | instid1(VALU_DEP_1)
	v_fmac_f32_e32 v1, v240, v1
	v_mul_f32_e32 v240, v241, v1
	s_delay_alu instid0(VALU_DEP_1) | instskip(NEXT) | instid1(VALU_DEP_1)
	v_fma_f32 v245, -v0, v240, v241
	v_fmac_f32_e32 v240, v245, v1
	s_delay_alu instid0(VALU_DEP_1) | instskip(NEXT) | instid1(VALU_DEP_1)
	v_fma_f32 v0, -v0, v240, v241
	v_div_fmas_f32 v0, v0, v1, v240
	s_delay_alu instid0(VALU_DEP_1) | instskip(NEXT) | instid1(VALU_DEP_1)
	v_div_fixup_f32 v0, v0, v238, v239
	v_fmac_f32_e32 v238, v239, v0
	s_delay_alu instid0(VALU_DEP_1) | instskip(NEXT) | instid1(VALU_DEP_1)
	v_div_scale_f32 v1, null, v238, v238, 1.0
	v_rcp_f32_e32 v239, v1
	v_nop
	s_delay_alu instid0(TRANS32_DEP_1) | instskip(NEXT) | instid1(VALU_DEP_1)
	v_fma_f32 v240, -v1, v239, 1.0
	v_fmac_f32_e32 v239, v240, v239
	v_div_scale_f32 v240, vcc_lo, 1.0, v238, 1.0
	s_delay_alu instid0(VALU_DEP_1) | instskip(NEXT) | instid1(VALU_DEP_1)
	v_mul_f32_e32 v241, v240, v239
	v_fma_f32 v245, -v1, v241, v240
	s_delay_alu instid0(VALU_DEP_1) | instskip(NEXT) | instid1(VALU_DEP_1)
	v_fmac_f32_e32 v241, v245, v239
	v_fma_f32 v1, -v1, v241, v240
	s_delay_alu instid0(VALU_DEP_1) | instskip(NEXT) | instid1(VALU_DEP_1)
	v_div_fmas_f32 v1, v1, v239, v241
	v_div_fixup_f32 v240, v1, v238, 1.0
	s_delay_alu instid0(VALU_DEP_1)
	v_mul_f32_e64 v241, v0, -v240
.LBB79_349:
	s_or_b32 exec_lo, exec_lo, s1
	ds_store_b64 v243, v[240:241]
.LBB79_350:
	s_or_b32 exec_lo, exec_lo, s2
	s_wait_dscnt 0x0
	s_barrier_signal -1
	s_barrier_wait -1
	ds_load_b64 v[238:239], v243
	s_mov_b32 s1, exec_lo
	v_cmpx_lt_u32_e32 38, v242
	s_cbranch_execz .LBB79_352
; %bb.351:
	ds_load_b64 v[0:1], v244 offset:312
	s_wait_dscnt 0x1
	v_pk_mul_f32 v[240:241], v[238:239], v[154:155] op_sel:[1,1] op_sel_hi:[0,1]
	s_delay_alu instid0(VALU_DEP_1) | instskip(SKIP_2) | instid1(VALU_DEP_2)
	v_pk_fma_f32 v[244:245], v[238:239], v[154:155], v[240:241] op_sel_hi:[1,0,1]
	v_pk_fma_f32 v[154:155], v[238:239], v[154:155], v[240:241] op_sel_hi:[1,0,1] neg_lo:[0,0,1] neg_hi:[0,0,1]
	s_wait_dscnt 0x0
	v_pk_mul_f32 v[240:241], v[0:1], v[244:245] op_sel:[1,1] op_sel_hi:[0,1]
	s_delay_alu instid0(VALU_DEP_1) | instskip(SKIP_1) | instid1(VALU_DEP_2)
	v_pk_fma_f32 v[246:247], v[0:1], v[154:155], v[240:241] op_sel_hi:[1,0,1]
	v_pk_fma_f32 v[0:1], v[0:1], v[154:155], v[240:241] neg_lo:[0,0,1] neg_hi:[0,0,1]
	v_dual_mov_b32 v155, v245 :: v_dual_mov_b32 v1, v247
	s_delay_alu instid0(VALU_DEP_1)
	v_pk_add_f32 v[160:161], v[160:161], v[0:1] neg_lo:[0,1] neg_hi:[0,1]
.LBB79_352:
	s_or_b32 exec_lo, exec_lo, s1
	s_delay_alu instid0(SALU_CYCLE_1)
	s_mov_b32 s2, exec_lo
	s_wait_dscnt 0x0
	s_barrier_signal -1
	s_barrier_wait -1
	v_cmpx_eq_u32_e32 39, v242
	s_cbranch_execz .LBB79_359
; %bb.353:
	v_cmp_neq_f32_e32 vcc_lo, 0, v160
	v_cmp_neq_f32_e64 s1, 0, v161
	ds_store_b64 v243, v[160:161]
	s_or_b32 s1, vcc_lo, s1
	s_delay_alu instid0(SALU_CYCLE_1)
	s_and_b32 exec_lo, exec_lo, s1
	s_cbranch_execz .LBB79_359
; %bb.354:
	v_cmp_ngt_f32_e64 s1, |v160|, |v161|
                                        ; implicit-def: $vgpr240_vgpr241
	s_and_saveexec_b32 s4, s1
	s_delay_alu instid0(SALU_CYCLE_1)
	s_xor_b32 s1, exec_lo, s4
	s_cbranch_execz .LBB79_356
; %bb.355:
	v_div_scale_f32 v0, null, v161, v161, v160
	v_div_scale_f32 v241, vcc_lo, v160, v161, v160
	s_delay_alu instid0(VALU_DEP_2) | instskip(SKIP_1) | instid1(TRANS32_DEP_1)
	v_rcp_f32_e32 v1, v0
	v_nop
	v_fma_f32 v240, -v0, v1, 1.0
	s_delay_alu instid0(VALU_DEP_1) | instskip(NEXT) | instid1(VALU_DEP_1)
	v_fmac_f32_e32 v1, v240, v1
	v_mul_f32_e32 v240, v241, v1
	s_delay_alu instid0(VALU_DEP_1) | instskip(NEXT) | instid1(VALU_DEP_1)
	v_fma_f32 v244, -v0, v240, v241
	v_fmac_f32_e32 v240, v244, v1
	s_delay_alu instid0(VALU_DEP_1) | instskip(NEXT) | instid1(VALU_DEP_1)
	v_fma_f32 v0, -v0, v240, v241
	v_div_fmas_f32 v0, v0, v1, v240
	s_delay_alu instid0(VALU_DEP_1) | instskip(NEXT) | instid1(VALU_DEP_1)
	v_div_fixup_f32 v0, v0, v161, v160
	v_fma_f32 v1, v160, v0, v161
	s_delay_alu instid0(VALU_DEP_1) | instskip(SKIP_1) | instid1(VALU_DEP_2)
	v_div_scale_f32 v240, null, v1, v1, 1.0
	v_div_scale_f32 v245, vcc_lo, 1.0, v1, 1.0
	v_rcp_f32_e32 v241, v240
	v_nop
	s_delay_alu instid0(TRANS32_DEP_1) | instskip(NEXT) | instid1(VALU_DEP_1)
	v_fma_f32 v244, -v240, v241, 1.0
	v_fmac_f32_e32 v241, v244, v241
	s_delay_alu instid0(VALU_DEP_1) | instskip(NEXT) | instid1(VALU_DEP_1)
	v_mul_f32_e32 v244, v245, v241
	v_fma_f32 v246, -v240, v244, v245
	s_delay_alu instid0(VALU_DEP_1) | instskip(NEXT) | instid1(VALU_DEP_1)
	v_fmac_f32_e32 v244, v246, v241
	v_fma_f32 v240, -v240, v244, v245
	s_delay_alu instid0(VALU_DEP_1) | instskip(NEXT) | instid1(VALU_DEP_1)
	v_div_fmas_f32 v240, v240, v241, v244
	v_div_fixup_f32 v1, v240, v1, 1.0
	s_delay_alu instid0(VALU_DEP_1)
	v_mul_f32_e32 v240, v0, v1
	v_xor_b32_e32 v241, 0x80000000, v1
.LBB79_356:
	s_and_not1_saveexec_b32 s1, s1
	s_cbranch_execz .LBB79_358
; %bb.357:
	v_div_scale_f32 v0, null, v160, v160, v161
	v_div_scale_f32 v241, vcc_lo, v161, v160, v161
	s_delay_alu instid0(VALU_DEP_2) | instskip(SKIP_1) | instid1(TRANS32_DEP_1)
	v_rcp_f32_e32 v1, v0
	v_nop
	v_fma_f32 v240, -v0, v1, 1.0
	s_delay_alu instid0(VALU_DEP_1) | instskip(NEXT) | instid1(VALU_DEP_1)
	v_fmac_f32_e32 v1, v240, v1
	v_mul_f32_e32 v240, v241, v1
	s_delay_alu instid0(VALU_DEP_1) | instskip(NEXT) | instid1(VALU_DEP_1)
	v_fma_f32 v244, -v0, v240, v241
	v_fmac_f32_e32 v240, v244, v1
	s_delay_alu instid0(VALU_DEP_1) | instskip(NEXT) | instid1(VALU_DEP_1)
	v_fma_f32 v0, -v0, v240, v241
	v_div_fmas_f32 v0, v0, v1, v240
	s_delay_alu instid0(VALU_DEP_1) | instskip(NEXT) | instid1(VALU_DEP_1)
	v_div_fixup_f32 v0, v0, v160, v161
	v_fma_f32 v1, v161, v0, v160
	s_delay_alu instid0(VALU_DEP_1) | instskip(NEXT) | instid1(VALU_DEP_1)
	v_div_scale_f32 v240, null, v1, v1, 1.0
	v_rcp_f32_e32 v241, v240
	v_nop
	s_delay_alu instid0(TRANS32_DEP_1) | instskip(NEXT) | instid1(VALU_DEP_1)
	v_fma_f32 v244, -v240, v241, 1.0
	v_fmac_f32_e32 v241, v244, v241
	v_div_scale_f32 v244, vcc_lo, 1.0, v1, 1.0
	s_delay_alu instid0(VALU_DEP_1) | instskip(NEXT) | instid1(VALU_DEP_1)
	v_mul_f32_e32 v245, v244, v241
	v_fma_f32 v246, -v240, v245, v244
	s_delay_alu instid0(VALU_DEP_1) | instskip(NEXT) | instid1(VALU_DEP_1)
	v_fmac_f32_e32 v245, v246, v241
	v_fma_f32 v240, -v240, v245, v244
	s_delay_alu instid0(VALU_DEP_1) | instskip(NEXT) | instid1(VALU_DEP_1)
	v_div_fmas_f32 v240, v240, v241, v245
	v_div_fixup_f32 v240, v240, v1, 1.0
	s_delay_alu instid0(VALU_DEP_1)
	v_mul_f32_e64 v241, v0, -v240
.LBB79_358:
	s_or_b32 exec_lo, exec_lo, s1
	ds_store_b64 v243, v[240:241]
.LBB79_359:
	s_or_b32 exec_lo, exec_lo, s2
	s_wait_dscnt 0x0
	s_barrier_signal -1
	s_barrier_wait -1
	ds_load_b64 v[240:241], v243
	s_wait_dscnt 0x0
	s_barrier_signal -1
	s_barrier_wait -1
	s_and_saveexec_b32 s4, s0
	s_cbranch_execz .LBB79_362
; %bb.360:
	v_cmp_eq_f32_e32 vcc_lo, 0, v162
	v_cmp_eq_f32_e64 s0, 0, v163
	v_cmp_neq_f32_e64 s1, 0, v164
	v_cmp_neq_f32_e64 s2, 0, v165
	v_lshl_add_u64 v[2:3], v[2:3], 2, s[6:7]
	s_and_b32 s0, vcc_lo, s0
	s_delay_alu instid0(SALU_CYCLE_1)
	v_cndmask_b32_e64 v0, 0, 1, s0
	s_or_b32 s1, s1, s2
	global_load_b32 v1, v[2:3], off
	s_or_b32 vcc_lo, s1, s0
	v_cmp_eq_f32_e64 s0, 0, v167
	v_cndmask_b32_e32 v0, 2, v0, vcc_lo
	v_cmp_eq_f32_e32 vcc_lo, 0, v166
	s_delay_alu instid0(VALU_DEP_2) | instskip(SKIP_3) | instid1(SALU_CYCLE_1)
	v_cmp_eq_u32_e64 s1, 0, v0
	s_and_b32 s0, vcc_lo, s0
	v_cmp_eq_f32_e32 vcc_lo, 0, v168
	s_and_b32 s0, s0, s1
	v_cndmask_b32_e64 v0, v0, 3, s0
	v_cmp_eq_f32_e64 s0, 0, v169
	s_delay_alu instid0(VALU_DEP_2) | instskip(SKIP_3) | instid1(SALU_CYCLE_1)
	v_cmp_eq_u32_e64 s1, 0, v0
	s_and_b32 s0, vcc_lo, s0
	v_cmp_eq_f32_e32 vcc_lo, 0, v170
	s_and_b32 s0, s0, s1
	v_cndmask_b32_e64 v0, v0, 4, s0
	v_cmp_eq_f32_e64 s0, 0, v171
	;; [unrolled: 7-line block ×37, first 2 shown]
	s_delay_alu instid0(VALU_DEP_2) | instskip(SKIP_4) | instid1(SALU_CYCLE_1)
	v_cmp_eq_u32_e64 s1, 0, v0
	s_and_b32 s0, vcc_lo, s0
	s_wait_loadcnt 0x0
	v_cmp_eq_u32_e32 vcc_lo, 0, v1
	s_and_b32 s0, s0, s1
	v_cndmask_b32_e64 v162, v0, 40, s0
	s_delay_alu instid0(VALU_DEP_1) | instskip(SKIP_1) | instid1(SALU_CYCLE_1)
	v_cmp_ne_u32_e64 s0, 0, v162
	s_and_b32 s0, vcc_lo, s0
	s_and_b32 exec_lo, exec_lo, s0
	s_cbranch_execz .LBB79_362
; %bb.361:
	v_add_nc_u32_e32 v0, s3, v162
	global_store_b32 v[2:3], v0, off
.LBB79_362:
	s_wait_xcnt 0x0
	s_or_b32 exec_lo, exec_lo, s4
	v_pk_mul_f32 v[0:1], v[240:241], v[160:161] op_sel:[1,1] op_sel_hi:[0,1]
	v_cmp_lt_u32_e32 vcc_lo, 39, v242
	s_clause 0x4
	global_store_b64 v[18:19], v[46:47], off
	global_store_b64 v[32:33], v[48:49], off
	;; [unrolled: 1-line block ×5, first 2 shown]
	v_pk_fma_f32 v[2:3], v[240:241], v[160:161], v[0:1] op_sel_hi:[1,0,1]
	v_pk_fma_f32 v[0:1], v[240:241], v[160:161], v[0:1] neg_lo:[0,0,1] neg_hi:[0,0,1]
	s_delay_alu instid0(VALU_DEP_1)
	v_dual_cndmask_b32 v1, v161, v3 :: v_dual_cndmask_b32 v0, v160, v0
	scratch_load_b64 v[2:3], off, off th:TH_LOAD_LU ; 8-byte Folded Reload
	s_wait_loadcnt 0x0
	s_clause 0x22
	global_store_b64 v[2:3], v[22:23], off
	global_store_b64 v[4:5], v[24:25], off
	;; [unrolled: 1-line block ×35, first 2 shown]
.LBB79_363:
	s_sendmsg sendmsg(MSG_DEALLOC_VGPRS)
	s_endpgm
	.section	.rodata,"a",@progbits
	.p2align	6, 0x0
	.amdhsa_kernel _ZN9rocsolver6v33100L23getf2_npvt_small_kernelILi40E19rocblas_complex_numIfEiiPS3_EEvT1_T3_lS5_lPT2_S5_S5_
		.amdhsa_group_segment_fixed_size 0
		.amdhsa_private_segment_fixed_size 12
		.amdhsa_kernarg_size 312
		.amdhsa_user_sgpr_count 2
		.amdhsa_user_sgpr_dispatch_ptr 0
		.amdhsa_user_sgpr_queue_ptr 0
		.amdhsa_user_sgpr_kernarg_segment_ptr 1
		.amdhsa_user_sgpr_dispatch_id 0
		.amdhsa_user_sgpr_kernarg_preload_length 0
		.amdhsa_user_sgpr_kernarg_preload_offset 0
		.amdhsa_user_sgpr_private_segment_size 0
		.amdhsa_wavefront_size32 1
		.amdhsa_uses_dynamic_stack 0
		.amdhsa_enable_private_segment 1
		.amdhsa_system_sgpr_workgroup_id_x 1
		.amdhsa_system_sgpr_workgroup_id_y 1
		.amdhsa_system_sgpr_workgroup_id_z 0
		.amdhsa_system_sgpr_workgroup_info 0
		.amdhsa_system_vgpr_workitem_id 1
		.amdhsa_next_free_vgpr 256
		.amdhsa_next_free_sgpr 15
		.amdhsa_named_barrier_count 0
		.amdhsa_reserve_vcc 1
		.amdhsa_float_round_mode_32 0
		.amdhsa_float_round_mode_16_64 0
		.amdhsa_float_denorm_mode_32 3
		.amdhsa_float_denorm_mode_16_64 3
		.amdhsa_fp16_overflow 0
		.amdhsa_memory_ordered 1
		.amdhsa_forward_progress 1
		.amdhsa_inst_pref_size 255
		.amdhsa_round_robin_scheduling 0
		.amdhsa_exception_fp_ieee_invalid_op 0
		.amdhsa_exception_fp_denorm_src 0
		.amdhsa_exception_fp_ieee_div_zero 0
		.amdhsa_exception_fp_ieee_overflow 0
		.amdhsa_exception_fp_ieee_underflow 0
		.amdhsa_exception_fp_ieee_inexact 0
		.amdhsa_exception_int_div_zero 0
	.end_amdhsa_kernel
	.section	.text._ZN9rocsolver6v33100L23getf2_npvt_small_kernelILi40E19rocblas_complex_numIfEiiPS3_EEvT1_T3_lS5_lPT2_S5_S5_,"axG",@progbits,_ZN9rocsolver6v33100L23getf2_npvt_small_kernelILi40E19rocblas_complex_numIfEiiPS3_EEvT1_T3_lS5_lPT2_S5_S5_,comdat
.Lfunc_end79:
	.size	_ZN9rocsolver6v33100L23getf2_npvt_small_kernelILi40E19rocblas_complex_numIfEiiPS3_EEvT1_T3_lS5_lPT2_S5_S5_, .Lfunc_end79-_ZN9rocsolver6v33100L23getf2_npvt_small_kernelILi40E19rocblas_complex_numIfEiiPS3_EEvT1_T3_lS5_lPT2_S5_S5_
                                        ; -- End function
	.set _ZN9rocsolver6v33100L23getf2_npvt_small_kernelILi40E19rocblas_complex_numIfEiiPS3_EEvT1_T3_lS5_lPT2_S5_S5_.num_vgpr, 256
	.set _ZN9rocsolver6v33100L23getf2_npvt_small_kernelILi40E19rocblas_complex_numIfEiiPS3_EEvT1_T3_lS5_lPT2_S5_S5_.num_agpr, 0
	.set _ZN9rocsolver6v33100L23getf2_npvt_small_kernelILi40E19rocblas_complex_numIfEiiPS3_EEvT1_T3_lS5_lPT2_S5_S5_.numbered_sgpr, 15
	.set _ZN9rocsolver6v33100L23getf2_npvt_small_kernelILi40E19rocblas_complex_numIfEiiPS3_EEvT1_T3_lS5_lPT2_S5_S5_.num_named_barrier, 0
	.set _ZN9rocsolver6v33100L23getf2_npvt_small_kernelILi40E19rocblas_complex_numIfEiiPS3_EEvT1_T3_lS5_lPT2_S5_S5_.private_seg_size, 12
	.set _ZN9rocsolver6v33100L23getf2_npvt_small_kernelILi40E19rocblas_complex_numIfEiiPS3_EEvT1_T3_lS5_lPT2_S5_S5_.uses_vcc, 1
	.set _ZN9rocsolver6v33100L23getf2_npvt_small_kernelILi40E19rocblas_complex_numIfEiiPS3_EEvT1_T3_lS5_lPT2_S5_S5_.uses_flat_scratch, 0
	.set _ZN9rocsolver6v33100L23getf2_npvt_small_kernelILi40E19rocblas_complex_numIfEiiPS3_EEvT1_T3_lS5_lPT2_S5_S5_.has_dyn_sized_stack, 0
	.set _ZN9rocsolver6v33100L23getf2_npvt_small_kernelILi40E19rocblas_complex_numIfEiiPS3_EEvT1_T3_lS5_lPT2_S5_S5_.has_recursion, 0
	.set _ZN9rocsolver6v33100L23getf2_npvt_small_kernelILi40E19rocblas_complex_numIfEiiPS3_EEvT1_T3_lS5_lPT2_S5_S5_.has_indirect_call, 0
	.section	.AMDGPU.csdata,"",@progbits
; Kernel info:
; codeLenInByte = 71380
; TotalNumSgprs: 17
; NumVgprs: 256
; ScratchSize: 12
; MemoryBound: 0
; FloatMode: 240
; IeeeMode: 1
; LDSByteSize: 0 bytes/workgroup (compile time only)
; SGPRBlocks: 0
; VGPRBlocks: 15
; NumSGPRsForWavesPerEU: 17
; NumVGPRsForWavesPerEU: 256
; NamedBarCnt: 0
; Occupancy: 4
; WaveLimiterHint : 0
; COMPUTE_PGM_RSRC2:SCRATCH_EN: 1
; COMPUTE_PGM_RSRC2:USER_SGPR: 2
; COMPUTE_PGM_RSRC2:TRAP_HANDLER: 0
; COMPUTE_PGM_RSRC2:TGID_X_EN: 1
; COMPUTE_PGM_RSRC2:TGID_Y_EN: 1
; COMPUTE_PGM_RSRC2:TGID_Z_EN: 0
; COMPUTE_PGM_RSRC2:TIDIG_COMP_CNT: 1
	.section	.text._ZN9rocsolver6v33100L18getf2_small_kernelILi41E19rocblas_complex_numIfEiiPS3_EEvT1_T3_lS5_lPS5_llPT2_S5_S5_S7_l,"axG",@progbits,_ZN9rocsolver6v33100L18getf2_small_kernelILi41E19rocblas_complex_numIfEiiPS3_EEvT1_T3_lS5_lPS5_llPT2_S5_S5_S7_l,comdat
	.globl	_ZN9rocsolver6v33100L18getf2_small_kernelILi41E19rocblas_complex_numIfEiiPS3_EEvT1_T3_lS5_lPS5_llPT2_S5_S5_S7_l ; -- Begin function _ZN9rocsolver6v33100L18getf2_small_kernelILi41E19rocblas_complex_numIfEiiPS3_EEvT1_T3_lS5_lPS5_llPT2_S5_S5_S7_l
	.p2align	8
	.type	_ZN9rocsolver6v33100L18getf2_small_kernelILi41E19rocblas_complex_numIfEiiPS3_EEvT1_T3_lS5_lPS5_llPT2_S5_S5_S7_l,@function
_ZN9rocsolver6v33100L18getf2_small_kernelILi41E19rocblas_complex_numIfEiiPS3_EEvT1_T3_lS5_lPS5_llPT2_S5_S5_S7_l: ; @_ZN9rocsolver6v33100L18getf2_small_kernelILi41E19rocblas_complex_numIfEiiPS3_EEvT1_T3_lS5_lPS5_llPT2_S5_S5_S7_l
; %bb.0:
	s_clause 0x1
	s_load_u16 s2, s[0:1], 0x6e
	s_load_b64 s[16:17], s[0:1], 0x48
	s_bfe_u32 s3, ttmp6, 0x40010
	s_bfe_u32 s4, ttmp6, 0x40004
	s_add_co_i32 s3, s3, 1
	s_getreg_b32 s5, hwreg(HW_REG_IB_STS2, 6, 4)
	s_mul_i32 s3, ttmp7, s3
	v_bfe_u32 v90, v0, 10, 10
	s_add_co_i32 s4, s4, s3
	s_cmp_eq_u32 s5, 0
	s_cselect_b32 s3, ttmp7, s4
	s_wait_kmcnt 0x0
	v_mad_u32 v2, s3, s2, v90
	s_mov_b32 s2, exec_lo
	s_delay_alu instid0(VALU_DEP_1)
	v_cmpx_gt_i32_e64 s16, v2
	s_cbranch_execz .LBB80_862
; %bb.1:
	s_load_b128 s[4:7], s[0:1], 0x50
	v_mov_b64_e32 v[4:5], 0
	v_ashrrev_i32_e32 v3, 31, v2
	s_wait_kmcnt 0x0
	s_cmp_eq_u64 s[4:5], 0
	s_cselect_b32 s16, -1, 0
	s_delay_alu instid0(SALU_CYCLE_1)
	s_and_b32 vcc_lo, exec_lo, s16
	s_cbranch_vccnz .LBB80_3
; %bb.2:
	v_mul_u64_e32 v[4:5], s[6:7], v[2:3]
	s_delay_alu instid0(VALU_DEP_1)
	v_lshl_add_u64 v[4:5], v[4:5], 2, s[4:5]
.LBB80_3:
	s_clause 0x2
	s_load_b32 s2, s[0:1], 0x18
	s_load_b128 s[12:15], s[0:1], 0x8
	s_load_b32 s18, s[0:1], 0x0
	v_and_b32_e32 v95, 0x3ff, v0
	s_load_b256 s[4:11], s[0:1], 0x20
	s_delay_alu instid0(VALU_DEP_1) | instskip(SKIP_4) | instid1(VALU_DEP_2)
	v_dual_mov_b32 v89, 0 :: v_dual_lshlrev_b32 v88, 3, v95
	s_wait_kmcnt 0x0
	v_add3_u32 v6, s2, s2, v95
	s_ashr_i32 s3, s2, 31
	v_mul_u64_e32 v[0:1], s[4:5], v[2:3]
	v_add_nc_u32_e32 v8, s2, v6
	s_max_i32 s4, s18, 41
	s_cmp_lt_i32 s18, 2
	s_delay_alu instid0(VALU_DEP_1) | instskip(NEXT) | instid1(VALU_DEP_1)
	v_dual_ashrrev_i32 v7, 31, v6 :: v_dual_add_nc_u32 v10, s2, v8
	v_add_nc_u32_e32 v12, s2, v10
	s_delay_alu instid0(VALU_DEP_1) | instskip(NEXT) | instid1(VALU_DEP_1)
	v_add_nc_u32_e32 v14, s2, v12
	v_dual_add_nc_u32 v16, s2, v14 :: v_dual_ashrrev_i32 v9, 31, v8
	v_ashrrev_i32_e32 v11, 31, v10
	s_delay_alu instid0(VALU_DEP_2) | instskip(SKIP_1) | instid1(VALU_DEP_1)
	v_dual_ashrrev_i32 v15, 31, v14 :: v_dual_ashrrev_i32 v17, 31, v16
	v_add_nc_u32_e32 v18, s2, v16
	v_dual_ashrrev_i32 v13, 31, v12 :: v_dual_add_nc_u32 v20, s2, v18
	v_lshl_add_u64 v[0:1], v[0:1], 3, s[12:13]
	s_delay_alu instid0(VALU_DEP_2) | instskip(NEXT) | instid1(VALU_DEP_2)
	v_dual_ashrrev_i32 v19, 31, v18 :: v_dual_add_nc_u32 v22, s2, v20
	v_lshl_add_u64 v[0:1], s[14:15], 3, v[0:1]
	s_delay_alu instid0(VALU_DEP_2) | instskip(NEXT) | instid1(VALU_DEP_2)
	v_add_nc_u32_e32 v28, s2, v22
	v_lshl_add_u64 v[10:11], v[10:11], 3, v[0:1]
	v_add_nc_u64_e32 v[30:31], v[0:1], v[88:89]
	v_lshl_add_u64 v[12:13], v[12:13], 3, v[0:1]
	v_lshl_add_u64 v[14:15], v[14:15], 3, v[0:1]
	v_add_nc_u32_e32 v36, s2, v28
	v_lshl_add_u64 v[16:17], v[16:17], 3, v[0:1]
	v_lshl_add_u64 v[6:7], v[6:7], 3, v[0:1]
	;; [unrolled: 1-line block ×4, first 2 shown]
	v_add_nc_u32_e32 v38, s2, v36
	s_delay_alu instid0(VALU_DEP_1) | instskip(SKIP_1) | instid1(VALU_DEP_2)
	v_dual_ashrrev_i32 v29, 31, v28 :: v_dual_add_nc_u32 v40, s2, v38
	v_ashrrev_i32_e32 v23, 31, v22
	v_dual_ashrrev_i32 v39, 31, v38 :: v_dual_add_nc_u32 v42, s2, v40
	s_delay_alu instid0(VALU_DEP_1) | instskip(NEXT) | instid1(VALU_DEP_1)
	v_dual_add_nc_u32 v44, s2, v42 :: v_dual_ashrrev_i32 v43, 31, v42
	v_add_nc_u32_e32 v46, s2, v44
	s_delay_alu instid0(VALU_DEP_1) | instskip(NEXT) | instid1(VALU_DEP_1)
	v_dual_ashrrev_i32 v21, 31, v20 :: v_dual_add_nc_u32 v48, s2, v46
	v_lshl_add_u64 v[54:55], v[20:21], 3, v[0:1]
	s_clause 0x3
	global_load_b64 v[26:27], v[10:11], off
	global_load_b64 v[20:21], v[12:13], off
	;; [unrolled: 1-line block ×4, first 2 shown]
	s_wait_xcnt 0x3
	v_lshl_add_u64 v[10:11], s[2:3], 3, v[30:31]
	s_clause 0x3
	global_load_b64 v[80:81], v[6:7], off
	global_load_b64 v[78:79], v[8:9], off
	;; [unrolled: 1-line block ×4, first 2 shown]
	v_add_nc_u32_e32 v50, s2, v48
	s_wait_xcnt 0x6
	v_lshl_add_u64 v[12:13], v[22:23], 3, v[0:1]
	s_wait_xcnt 0x3
	v_lshl_add_u64 v[6:7], v[28:29], 3, v[0:1]
	s_clause 0x3
	global_load_b64 v[34:35], v[52:53], off
	global_load_b64 v[30:31], v[54:55], off
	;; [unrolled: 1-line block ×4, first 2 shown]
	v_add_nc_u32_e32 v56, s2, v50
	v_lshl_add_u64 v[16:17], v[38:39], 3, v[0:1]
	v_dual_ashrrev_i32 v49, 31, v48 :: v_dual_ashrrev_i32 v51, 31, v50
	s_delay_alu instid0(VALU_DEP_3) | instskip(SKIP_1) | instid1(VALU_DEP_2)
	v_dual_ashrrev_i32 v47, 31, v46 :: v_dual_add_nc_u32 v14, s2, v56
	v_ashrrev_i32_e32 v37, 31, v36
	v_dual_ashrrev_i32 v57, 31, v56 :: v_dual_add_nc_u32 v8, s2, v14
	s_wait_xcnt 0x4
	s_delay_alu instid0(VALU_DEP_2)
	v_lshl_add_u64 v[10:11], v[36:37], 3, v[0:1]
	v_lshl_add_u64 v[36:37], v[42:43], 3, v[0:1]
	;; [unrolled: 1-line block ×3, first 2 shown]
	s_wait_xcnt 0x0
	v_dual_ashrrev_i32 v15, 31, v14 :: v_dual_add_nc_u32 v6, s2, v8
	v_ashrrev_i32_e32 v41, 31, v40
	v_ashrrev_i32_e32 v9, 31, v8
	s_delay_alu instid0(VALU_DEP_3) | instskip(NEXT) | instid1(VALU_DEP_4)
	v_lshl_add_u64 v[14:15], v[14:15], 3, v[0:1]
	v_add_nc_u32_e32 v12, s2, v6
	s_delay_alu instid0(VALU_DEP_4)
	v_lshl_add_u64 v[22:23], v[40:41], 3, v[0:1]
	s_clause 0x3
	global_load_b64 v[76:77], v[10:11], off
	global_load_b64 v[72:73], v[16:17], off
	;; [unrolled: 1-line block ×4, first 2 shown]
	v_add_nc_u32_e32 v38, s2, v12
	v_ashrrev_i32_e32 v45, 31, v44
	s_wait_xcnt 0x0
	v_lshl_add_u64 v[36:37], v[46:47], 3, v[0:1]
	v_lshl_add_u64 v[40:41], v[48:49], 3, v[0:1]
	;; [unrolled: 1-line block ×3, first 2 shown]
	v_add_nc_u32_e32 v10, s2, v38
	v_lshl_add_u64 v[16:17], v[44:45], 3, v[0:1]
	s_clause 0x3
	global_load_b64 v[68:69], v[16:17], off
	global_load_b64 v[64:65], v[36:37], off
	;; [unrolled: 1-line block ×4, first 2 shown]
	v_add_nc_u32_e32 v22, s2, v10
	s_wait_xcnt 0x2
	v_lshl_add_u64 v[36:37], v[56:57], 3, v[0:1]
	v_ashrrev_i32_e32 v39, 31, v38
	s_delay_alu instid0(VALU_DEP_3) | instskip(NEXT) | instid1(VALU_DEP_1)
	v_add_nc_u32_e32 v44, s2, v22
	v_dual_ashrrev_i32 v11, 31, v10 :: v_dual_ashrrev_i32 v45, 31, v44
	v_dual_add_nc_u32 v16, s2, v44 :: v_dual_ashrrev_i32 v7, 31, v6
	s_delay_alu instid0(VALU_DEP_2) | instskip(SKIP_1) | instid1(VALU_DEP_2)
	v_lshl_add_u64 v[10:11], v[10:11], 3, v[0:1]
	s_wait_xcnt 0x1
	v_add_nc_u32_e32 v40, s2, v16
	s_delay_alu instid0(VALU_DEP_3)
	v_lshl_add_u64 v[6:7], v[6:7], 3, v[0:1]
	s_clause 0x3
	global_load_b64 v[60:61], v[36:37], off
	global_load_b64 v[56:57], v[14:15], off
	;; [unrolled: 1-line block ×4, first 2 shown]
	s_wait_xcnt 0x2
	v_lshl_add_u64 v[14:15], v[38:39], 3, v[0:1]
	v_add_nc_u32_e32 v42, s2, v40
	v_ashrrev_i32_e32 v13, 31, v12
	v_ashrrev_i32_e32 v17, 31, v16
	s_wait_xcnt 0x0
	s_delay_alu instid0(VALU_DEP_3) | instskip(NEXT) | instid1(VALU_DEP_3)
	v_dual_ashrrev_i32 v41, 31, v40 :: v_dual_add_nc_u32 v6, s2, v42
	v_lshl_add_u64 v[8:9], v[12:13], 3, v[0:1]
	s_delay_alu instid0(VALU_DEP_2) | instskip(NEXT) | instid1(VALU_DEP_1)
	v_add_nc_u32_e32 v12, s2, v6
	v_dual_ashrrev_i32 v23, 31, v22 :: v_dual_add_nc_u32 v86, s2, v12
	s_delay_alu instid0(VALU_DEP_1)
	v_lshl_add_u64 v[22:23], v[22:23], 3, v[0:1]
	s_clause 0x3
	global_load_b64 v[52:53], v[8:9], off
	global_load_b64 v[48:49], v[14:15], off
	;; [unrolled: 1-line block ×4, first 2 shown]
	s_wait_xcnt 0x1
	v_lshl_add_u64 v[10:11], v[44:45], 3, v[0:1]
	v_add_nc_u32_e32 v8, s2, v86
	v_ashrrev_i32_e32 v43, 31, v42
	v_lshl_add_u64 v[14:15], v[16:17], 3, v[0:1]
	v_lshl_add_u64 v[16:17], v[40:41], 3, v[0:1]
	s_delay_alu instid0(VALU_DEP_4)
	v_dual_ashrrev_i32 v87, 31, v86 :: v_dual_ashrrev_i32 v9, 31, v8
	s_wait_xcnt 0x0
	v_add_nc_u32_e32 v22, s2, v8
	v_lshl_add_u64 v[44:45], v[42:43], 3, v[0:1]
	s_clause 0x3
	global_load_b64 v[42:43], v[10:11], off
	global_load_b64 v[38:39], v[14:15], off
	;; [unrolled: 1-line block ×4, first 2 shown]
	v_dual_ashrrev_i32 v13, 31, v12 :: v_dual_add_nc_u32 v92, s2, v22
	v_ashrrev_i32_e32 v7, 31, v6
	v_lshl_add_u64 v[86:87], v[86:87], 3, v[0:1]
	v_lshl_add_u64 v[98:99], v[8:9], 3, v[0:1]
	s_wait_xcnt 0x1
	v_dual_ashrrev_i32 v23, 31, v22 :: v_dual_add_nc_u32 v16, s2, v92
	v_lshl_add_u64 v[6:7], v[6:7], 3, v[0:1]
	v_lshl_add_u64 v[96:97], v[12:13], 3, v[0:1]
	v_ashrrev_i32_e32 v93, 31, v92
	s_clause 0x3
	global_load_b64 v[14:15], v[6:7], off
	global_load_b64 v[10:11], v[96:97], off
	;; [unrolled: 1-line block ×4, first 2 shown]
	s_wait_xcnt 0x4
	v_dual_add_nc_u32 v44, s2, v16 :: v_dual_ashrrev_i32 v17, 31, v16
	s_wait_xcnt 0x2
	v_lshl_add_u64 v[96:97], v[22:23], 3, v[0:1]
	v_lshl_add_u64 v[92:93], v[92:93], 3, v[0:1]
	s_delay_alu instid0(VALU_DEP_3) | instskip(SKIP_2) | instid1(VALU_DEP_2)
	v_dual_add_nc_u32 v100, s2, v44 :: v_dual_ashrrev_i32 v45, 31, v44
	s_wait_xcnt 0x0
	v_lshl_add_u64 v[98:99], v[16:17], 3, v[0:1]
	v_ashrrev_i32_e32 v101, 31, v100
	s_delay_alu instid0(VALU_DEP_3) | instskip(NEXT) | instid1(VALU_DEP_2)
	v_lshl_add_u64 v[102:103], v[44:45], 3, v[0:1]
	v_lshl_add_u64 v[100:101], v[100:101], 3, v[0:1]
	s_clause 0x4
	global_load_b64 v[6:7], v[96:97], off
	global_load_b64 v[44:45], v[92:93], off
	;; [unrolled: 1-line block ×5, first 2 shown]
	s_wait_xcnt 0x3
	v_mul_lo_u32 v93, s4, v90
	s_load_b64 s[4:5], s[0:1], 0x40
	s_delay_alu instid0(VALU_DEP_1) | instskip(NEXT) | instid1(VALU_DEP_1)
	v_lshl_add_u32 v92, v93, 3, 0
	v_dual_lshlrev_b32 v93, 3, v93 :: v_dual_add_nc_u32 v88, v92, v88
	s_wait_loadcnt 0x22
	ds_store_b64 v88, v[84:85]
	s_wait_loadcnt_dscnt 0x0
	s_barrier_signal -1
	s_barrier_wait -1
	ds_load_b64 v[90:91], v92
	s_cbranch_scc1 .LBB80_6
; %bb.4:
	v_add3_u32 v88, v93, 0, 8
	v_mov_b32_e32 v89, 0
	s_wait_xcnt 0x0
	s_mov_b32 s1, 1
.LBB80_5:                               ; =>This Inner Loop Header: Depth=1
	ds_load_b64 v[96:97], v88
	s_wait_dscnt 0x1
	v_cmp_gt_f32_e32 vcc_lo, 0, v90
	v_cmp_gt_f32_e64 s0, 0, v91
	s_delay_alu instid0(VALU_DEP_1) | instskip(SKIP_3) | instid1(VALU_DEP_1)
	v_dual_cndmask_b32 v98, v90, -v90, vcc_lo :: v_dual_cndmask_b32 v100, v91, -v91, s0
	s_wait_dscnt 0x0
	v_cmp_gt_f32_e32 vcc_lo, 0, v96
	v_cmp_gt_f32_e64 s0, 0, v97
	v_dual_cndmask_b32 v99, v96, -v96, vcc_lo :: v_dual_cndmask_b32 v101, v97, -v97, s0
	s_delay_alu instid0(VALU_DEP_1) | instskip(NEXT) | instid1(VALU_DEP_1)
	v_pk_add_f32 v[98:99], v[98:99], v[100:101]
	v_cmp_lt_f32_e32 vcc_lo, v98, v99
	v_dual_cndmask_b32 v91, v91, v97 :: v_dual_add_nc_u32 v88, 8, v88
	v_cndmask_b32_e32 v90, v90, v96, vcc_lo
	v_cndmask_b32_e64 v89, v89, s1, vcc_lo
	s_add_co_i32 s1, s1, 1
	s_delay_alu instid0(SALU_CYCLE_1)
	s_cmp_eq_u32 s18, s1
	s_cbranch_scc0 .LBB80_5
.LBB80_6:
	s_wait_dscnt 0x0
	v_cmp_neq_f32_e32 vcc_lo, 0, v90
	s_wait_xcnt 0x0
	v_cmp_neq_f32_e64 s0, 0, v91
	v_dual_mov_b32 v94, 1 :: v_dual_mov_b32 v97, 1
	s_or_b32 s1, vcc_lo, s0
	s_delay_alu instid0(SALU_CYCLE_1)
	s_and_saveexec_b32 s0, s1
	s_cbranch_execz .LBB80_12
; %bb.7:
	v_cmp_ngt_f32_e64 s1, |v90|, |v91|
	s_and_saveexec_b32 s12, s1
	s_delay_alu instid0(SALU_CYCLE_1)
	s_xor_b32 s1, exec_lo, s12
	s_cbranch_execz .LBB80_9
; %bb.8:
	v_div_scale_f32 v88, null, v91, v91, v90
	v_div_scale_f32 v97, vcc_lo, v90, v91, v90
	s_delay_alu instid0(VALU_DEP_2) | instskip(SKIP_1) | instid1(TRANS32_DEP_1)
	v_rcp_f32_e32 v94, v88
	v_nop
	v_fma_f32 v96, -v88, v94, 1.0
	s_delay_alu instid0(VALU_DEP_1) | instskip(NEXT) | instid1(VALU_DEP_1)
	v_fmac_f32_e32 v94, v96, v94
	v_mul_f32_e32 v96, v97, v94
	s_delay_alu instid0(VALU_DEP_1) | instskip(NEXT) | instid1(VALU_DEP_1)
	v_fma_f32 v98, -v88, v96, v97
	v_fmac_f32_e32 v96, v98, v94
	s_delay_alu instid0(VALU_DEP_1) | instskip(NEXT) | instid1(VALU_DEP_1)
	v_fma_f32 v88, -v88, v96, v97
	v_div_fmas_f32 v88, v88, v94, v96
	s_delay_alu instid0(VALU_DEP_1) | instskip(NEXT) | instid1(VALU_DEP_1)
	v_div_fixup_f32 v88, v88, v91, v90
	v_fmac_f32_e32 v91, v90, v88
	s_delay_alu instid0(VALU_DEP_1) | instskip(SKIP_1) | instid1(VALU_DEP_2)
	v_div_scale_f32 v90, null, v91, v91, 1.0
	v_div_scale_f32 v97, vcc_lo, 1.0, v91, 1.0
	v_rcp_f32_e32 v94, v90
	v_nop
	s_delay_alu instid0(TRANS32_DEP_1) | instskip(NEXT) | instid1(VALU_DEP_1)
	v_fma_f32 v96, -v90, v94, 1.0
	v_fmac_f32_e32 v94, v96, v94
	s_delay_alu instid0(VALU_DEP_1) | instskip(NEXT) | instid1(VALU_DEP_1)
	v_mul_f32_e32 v96, v97, v94
	v_fma_f32 v98, -v90, v96, v97
	s_delay_alu instid0(VALU_DEP_1) | instskip(NEXT) | instid1(VALU_DEP_1)
	v_fmac_f32_e32 v96, v98, v94
	v_fma_f32 v90, -v90, v96, v97
	s_delay_alu instid0(VALU_DEP_1) | instskip(NEXT) | instid1(VALU_DEP_1)
	v_div_fmas_f32 v90, v90, v94, v96
	v_div_fixup_f32 v91, v90, v91, 1.0
	s_delay_alu instid0(VALU_DEP_1)
	v_mul_f32_e32 v90, v88, v91
	v_xor_b32_e32 v91, 0x80000000, v91
.LBB80_9:
	s_and_not1_saveexec_b32 s1, s1
	s_cbranch_execz .LBB80_11
; %bb.10:
	s_delay_alu instid0(VALU_DEP_1) | instskip(SKIP_1) | instid1(VALU_DEP_2)
	v_div_scale_f32 v88, null, v90, v90, v91
	v_div_scale_f32 v97, vcc_lo, v91, v90, v91
	v_rcp_f32_e32 v94, v88
	v_nop
	s_delay_alu instid0(TRANS32_DEP_1) | instskip(NEXT) | instid1(VALU_DEP_1)
	v_fma_f32 v96, -v88, v94, 1.0
	v_fmac_f32_e32 v94, v96, v94
	s_delay_alu instid0(VALU_DEP_1) | instskip(NEXT) | instid1(VALU_DEP_1)
	v_mul_f32_e32 v96, v97, v94
	v_fma_f32 v98, -v88, v96, v97
	s_delay_alu instid0(VALU_DEP_1) | instskip(NEXT) | instid1(VALU_DEP_1)
	v_fmac_f32_e32 v96, v98, v94
	v_fma_f32 v88, -v88, v96, v97
	s_delay_alu instid0(VALU_DEP_1) | instskip(NEXT) | instid1(VALU_DEP_1)
	v_div_fmas_f32 v88, v88, v94, v96
	v_div_fixup_f32 v88, v88, v90, v91
	s_delay_alu instid0(VALU_DEP_1) | instskip(NEXT) | instid1(VALU_DEP_1)
	v_fmac_f32_e32 v90, v91, v88
	v_div_scale_f32 v91, null, v90, v90, 1.0
	s_delay_alu instid0(VALU_DEP_1) | instskip(SKIP_1) | instid1(TRANS32_DEP_1)
	v_rcp_f32_e32 v94, v91
	v_nop
	v_fma_f32 v96, -v91, v94, 1.0
	s_delay_alu instid0(VALU_DEP_1) | instskip(SKIP_1) | instid1(VALU_DEP_1)
	v_fmac_f32_e32 v94, v96, v94
	v_div_scale_f32 v96, vcc_lo, 1.0, v90, 1.0
	v_mul_f32_e32 v97, v96, v94
	s_delay_alu instid0(VALU_DEP_1) | instskip(NEXT) | instid1(VALU_DEP_1)
	v_fma_f32 v98, -v91, v97, v96
	v_fmac_f32_e32 v97, v98, v94
	s_delay_alu instid0(VALU_DEP_1) | instskip(NEXT) | instid1(VALU_DEP_1)
	v_fma_f32 v91, -v91, v97, v96
	v_div_fmas_f32 v91, v91, v94, v97
	s_delay_alu instid0(VALU_DEP_1) | instskip(NEXT) | instid1(VALU_DEP_1)
	v_div_fixup_f32 v90, v91, v90, 1.0
	v_mul_f32_e64 v91, v88, -v90
.LBB80_11:
	s_or_b32 exec_lo, exec_lo, s1
	v_dual_mov_b32 v97, 0 :: v_dual_mov_b32 v94, 2
.LBB80_12:
	s_or_b32 exec_lo, exec_lo, s0
	s_delay_alu instid0(SALU_CYCLE_1)
	s_mov_b32 s0, exec_lo
	v_cmpx_ne_u32_e64 v95, v89
	s_xor_b32 s0, exec_lo, s0
	s_cbranch_execz .LBB80_18
; %bb.13:
	s_mov_b32 s1, exec_lo
	v_cmpx_eq_u32_e32 0, v95
	s_cbranch_execz .LBB80_17
; %bb.14:
	v_cmp_ne_u32_e32 vcc_lo, 0, v89
	s_xor_b32 s12, s16, -1
	s_delay_alu instid0(SALU_CYCLE_1) | instskip(NEXT) | instid1(SALU_CYCLE_1)
	s_and_b32 s13, s12, vcc_lo
	s_and_saveexec_b32 s12, s13
	s_cbranch_execz .LBB80_16
; %bb.15:
	v_dual_mov_b32 v98, v89 :: v_dual_ashrrev_i32 v99, 31, v89
	s_delay_alu instid0(VALU_DEP_1)
	v_lshl_add_u64 v[98:99], v[98:99], 2, v[4:5]
	s_clause 0x1
	global_load_b32 v88, v[98:99], off
	global_load_b32 v95, v[4:5], off
	s_wait_loadcnt 0x1
	global_store_b32 v[4:5], v88, off
	s_wait_loadcnt 0x0
	global_store_b32 v[98:99], v95, off
.LBB80_16:
	s_wait_xcnt 0x0
	s_or_b32 exec_lo, exec_lo, s12
	v_mov_b32_e32 v95, v89
.LBB80_17:
	s_or_b32 exec_lo, exec_lo, s1
.LBB80_18:
	s_or_saveexec_b32 s0, s0
	s_delay_alu instid0(VALU_DEP_1)
	v_mov_b32_e32 v96, v95
	s_xor_b32 exec_lo, exec_lo, s0
	s_cbranch_execz .LBB80_20
; %bb.19:
	v_mov_b32_e32 v96, 0
	ds_store_2addr_b64 v92, v[82:83], v[80:81] offset0:1 offset1:2
	ds_store_2addr_b64 v92, v[78:79], v[26:27] offset0:3 offset1:4
	;; [unrolled: 1-line block ×20, first 2 shown]
.LBB80_20:
	s_or_b32 exec_lo, exec_lo, s0
	s_delay_alu instid0(SALU_CYCLE_1)
	s_mov_b32 s0, exec_lo
	s_wait_storecnt_dscnt 0x0
	s_barrier_signal -1
	s_barrier_wait -1
	v_cmpx_lt_i32_e32 0, v96
	s_cbranch_execz .LBB80_22
; %bb.21:
	v_pk_mul_f32 v[98:99], v[90:91], v[84:85] op_sel:[1,1] op_sel_hi:[0,1]
	s_delay_alu instid0(VALU_DEP_1)
	v_pk_fma_f32 v[88:89], v[90:91], v[84:85], v[98:99] op_sel_hi:[1,0,1] neg_lo:[0,0,1] neg_hi:[0,0,1]
	v_pk_fma_f32 v[90:91], v[90:91], v[84:85], v[98:99] op_sel_hi:[1,0,1]
	ds_load_2addr_b64 v[98:101], v92 offset0:1 offset1:2
	v_dual_mov_b32 v84, v88 :: v_dual_mov_b32 v85, v91
	s_wait_dscnt 0x0
	v_pk_mul_f32 v[102:103], v[98:99], v[90:91] op_sel:[0,1]
	s_delay_alu instid0(VALU_DEP_1) | instskip(SKIP_1) | instid1(VALU_DEP_1)
	v_pk_fma_f32 v[104:105], v[98:99], v[88:89], v[102:103] op_sel:[0,0,1] op_sel_hi:[1,1,0] neg_lo:[0,0,1] neg_hi:[0,0,1]
	v_pk_fma_f32 v[98:99], v[98:99], v[88:89], v[102:103] op_sel:[0,0,1] op_sel_hi:[1,0,0]
	v_mov_b32_e32 v105, v99
	v_pk_mul_f32 v[98:99], v[100:101], v[90:91] op_sel:[0,1]
	s_delay_alu instid0(VALU_DEP_1) | instskip(SKIP_1) | instid1(VALU_DEP_1)
	v_pk_fma_f32 v[102:103], v[100:101], v[88:89], v[98:99] op_sel:[0,0,1] op_sel_hi:[1,1,0] neg_lo:[0,0,1] neg_hi:[0,0,1]
	v_pk_fma_f32 v[98:99], v[100:101], v[88:89], v[98:99] op_sel:[0,0,1] op_sel_hi:[1,0,0]
	v_mov_b32_e32 v103, v99
	ds_load_2addr_b64 v[98:101], v92 offset0:3 offset1:4
	v_pk_add_f32 v[82:83], v[82:83], v[104:105] neg_lo:[0,1] neg_hi:[0,1]
	v_pk_add_f32 v[80:81], v[80:81], v[102:103] neg_lo:[0,1] neg_hi:[0,1]
	s_wait_dscnt 0x0
	v_pk_mul_f32 v[102:103], v[98:99], v[90:91] op_sel:[0,1]
	s_delay_alu instid0(VALU_DEP_1) | instskip(SKIP_2) | instid1(VALU_DEP_2)
	v_pk_fma_f32 v[104:105], v[98:99], v[88:89], v[102:103] op_sel:[0,0,1] op_sel_hi:[1,1,0] neg_lo:[0,0,1] neg_hi:[0,0,1]
	v_pk_fma_f32 v[98:99], v[98:99], v[88:89], v[102:103] op_sel:[0,0,1] op_sel_hi:[1,0,0]
	v_dual_mul_f32 v102, v101, v91 :: v_dual_mov_b32 v98, v101
	v_dual_mov_b32 v105, v99 :: v_dual_mov_b32 v99, v100
	s_delay_alu instid0(VALU_DEP_2) | instskip(SKIP_1) | instid1(VALU_DEP_3)
	v_pk_fma_f32 v[102:103], v[100:101], v[84:85], v[102:103] op_sel_hi:[1,1,0] neg_lo:[0,0,1] neg_hi:[0,0,1]
	v_mul_f32_e32 v100, v101, v88
	v_pk_add_f32 v[78:79], v[78:79], v[104:105] neg_lo:[0,1] neg_hi:[0,1]
	s_delay_alu instid0(VALU_DEP_2) | instskip(NEXT) | instid1(VALU_DEP_1)
	v_pk_fma_f32 v[98:99], v[98:99], v[84:85], v[100:101] op_sel_hi:[1,1,0]
	v_mov_b32_e32 v103, v99
	ds_load_2addr_b64 v[98:101], v92 offset0:5 offset1:6
	v_pk_add_f32 v[26:27], v[26:27], v[102:103] neg_lo:[0,1] neg_hi:[0,1]
	s_wait_dscnt 0x0
	v_pk_mul_f32 v[102:103], v[98:99], v[90:91] op_sel:[0,1]
	s_delay_alu instid0(VALU_DEP_1) | instskip(SKIP_1) | instid1(VALU_DEP_1)
	v_pk_fma_f32 v[104:105], v[98:99], v[88:89], v[102:103] op_sel:[0,0,1] op_sel_hi:[1,1,0] neg_lo:[0,0,1] neg_hi:[0,0,1]
	v_pk_fma_f32 v[98:99], v[98:99], v[88:89], v[102:103] op_sel:[0,0,1] op_sel_hi:[1,0,0]
	v_mov_b32_e32 v105, v99
	v_pk_mul_f32 v[98:99], v[100:101], v[90:91] op_sel:[0,1]
	s_delay_alu instid0(VALU_DEP_1) | instskip(SKIP_1) | instid1(VALU_DEP_1)
	v_pk_fma_f32 v[102:103], v[100:101], v[88:89], v[98:99] op_sel:[0,0,1] op_sel_hi:[1,1,0] neg_lo:[0,0,1] neg_hi:[0,0,1]
	v_pk_fma_f32 v[98:99], v[100:101], v[88:89], v[98:99] op_sel:[0,0,1] op_sel_hi:[1,0,0]
	v_mov_b32_e32 v103, v99
	ds_load_2addr_b64 v[98:101], v92 offset0:7 offset1:8
	v_pk_add_f32 v[20:21], v[20:21], v[104:105] neg_lo:[0,1] neg_hi:[0,1]
	v_pk_add_f32 v[24:25], v[24:25], v[102:103] neg_lo:[0,1] neg_hi:[0,1]
	s_wait_dscnt 0x0
	v_pk_mul_f32 v[102:103], v[98:99], v[90:91] op_sel:[0,1]
	s_delay_alu instid0(VALU_DEP_1) | instskip(SKIP_1) | instid1(VALU_DEP_1)
	v_pk_fma_f32 v[104:105], v[98:99], v[88:89], v[102:103] op_sel:[0,0,1] op_sel_hi:[1,1,0] neg_lo:[0,0,1] neg_hi:[0,0,1]
	v_pk_fma_f32 v[98:99], v[98:99], v[88:89], v[102:103] op_sel:[0,0,1] op_sel_hi:[1,0,0]
	v_mov_b32_e32 v105, v99
	v_pk_mul_f32 v[98:99], v[100:101], v[90:91] op_sel:[0,1]
	s_delay_alu instid0(VALU_DEP_1) | instskip(SKIP_1) | instid1(VALU_DEP_1)
	v_pk_fma_f32 v[102:103], v[100:101], v[88:89], v[98:99] op_sel:[0,0,1] op_sel_hi:[1,1,0] neg_lo:[0,0,1] neg_hi:[0,0,1]
	v_pk_fma_f32 v[98:99], v[100:101], v[88:89], v[98:99] op_sel:[0,0,1] op_sel_hi:[1,0,0]
	v_mov_b32_e32 v103, v99
	ds_load_2addr_b64 v[98:101], v92 offset0:9 offset1:10
	v_pk_add_f32 v[18:19], v[18:19], v[104:105] neg_lo:[0,1] neg_hi:[0,1]
	v_pk_add_f32 v[34:35], v[34:35], v[102:103] neg_lo:[0,1] neg_hi:[0,1]
	s_wait_dscnt 0x0
	v_dual_mul_f32 v102, v99, v91 :: v_dual_mul_f32 v104, v99, v88
	s_delay_alu instid0(VALU_DEP_1) | instskip(NEXT) | instid1(VALU_DEP_2)
	v_pk_fma_f32 v[102:103], v[98:99], v[84:85], v[102:103] op_sel_hi:[1,1,0] neg_lo:[0,0,1] neg_hi:[0,0,1]
	v_pk_fma_f32 v[98:99], v[98:99], v[84:85], v[104:105] op_sel:[1,0,0] op_sel_hi:[0,1,0]
	s_delay_alu instid0(VALU_DEP_1) | instskip(SKIP_1) | instid1(VALU_DEP_2)
	v_mov_b32_e32 v103, v99
	v_pk_mul_f32 v[98:99], v[100:101], v[90:91] op_sel:[0,1]
	v_pk_add_f32 v[30:31], v[30:31], v[102:103] neg_lo:[0,1] neg_hi:[0,1]
	s_delay_alu instid0(VALU_DEP_2) | instskip(SKIP_1) | instid1(VALU_DEP_1)
	v_pk_fma_f32 v[102:103], v[100:101], v[88:89], v[98:99] op_sel:[0,0,1] op_sel_hi:[1,1,0] neg_lo:[0,0,1] neg_hi:[0,0,1]
	v_pk_fma_f32 v[98:99], v[100:101], v[88:89], v[98:99] op_sel:[0,0,1] op_sel_hi:[1,0,0]
	v_mov_b32_e32 v103, v99
	ds_load_2addr_b64 v[98:101], v92 offset0:11 offset1:12
	v_pk_add_f32 v[32:33], v[32:33], v[102:103] neg_lo:[0,1] neg_hi:[0,1]
	s_wait_dscnt 0x0
	v_pk_mul_f32 v[102:103], v[98:99], v[90:91] op_sel:[0,1]
	s_delay_alu instid0(VALU_DEP_1) | instskip(SKIP_1) | instid1(VALU_DEP_1)
	v_pk_fma_f32 v[104:105], v[98:99], v[88:89], v[102:103] op_sel:[0,0,1] op_sel_hi:[1,1,0] neg_lo:[0,0,1] neg_hi:[0,0,1]
	v_pk_fma_f32 v[98:99], v[98:99], v[88:89], v[102:103] op_sel:[0,0,1] op_sel_hi:[1,0,0]
	v_mov_b32_e32 v105, v99
	v_pk_mul_f32 v[98:99], v[100:101], v[90:91] op_sel:[0,1]
	s_delay_alu instid0(VALU_DEP_2) | instskip(NEXT) | instid1(VALU_DEP_2)
	v_pk_add_f32 v[28:29], v[28:29], v[104:105] neg_lo:[0,1] neg_hi:[0,1]
	v_pk_fma_f32 v[102:103], v[100:101], v[88:89], v[98:99] op_sel:[0,0,1] op_sel_hi:[1,1,0] neg_lo:[0,0,1] neg_hi:[0,0,1]
	v_pk_fma_f32 v[98:99], v[100:101], v[88:89], v[98:99] op_sel:[0,0,1] op_sel_hi:[1,0,0]
	s_delay_alu instid0(VALU_DEP_1) | instskip(SKIP_4) | instid1(VALU_DEP_1)
	v_mov_b32_e32 v103, v99
	ds_load_2addr_b64 v[98:101], v92 offset0:13 offset1:14
	v_pk_add_f32 v[76:77], v[76:77], v[102:103] neg_lo:[0,1] neg_hi:[0,1]
	s_wait_dscnt 0x0
	v_pk_mul_f32 v[102:103], v[98:99], v[90:91] op_sel:[0,1]
	v_pk_fma_f32 v[104:105], v[98:99], v[88:89], v[102:103] op_sel:[0,0,1] op_sel_hi:[1,1,0] neg_lo:[0,0,1] neg_hi:[0,0,1]
	v_pk_fma_f32 v[98:99], v[98:99], v[88:89], v[102:103] op_sel:[0,0,1] op_sel_hi:[1,0,0]
	v_dual_mul_f32 v102, v101, v91 :: v_dual_mov_b32 v98, v101
	s_delay_alu instid0(VALU_DEP_2) | instskip(NEXT) | instid1(VALU_DEP_2)
	v_dual_mov_b32 v105, v99 :: v_dual_mov_b32 v99, v100
	v_pk_fma_f32 v[102:103], v[100:101], v[84:85], v[102:103] op_sel_hi:[1,1,0] neg_lo:[0,0,1] neg_hi:[0,0,1]
	v_mul_f32_e32 v100, v101, v88
	s_delay_alu instid0(VALU_DEP_3) | instskip(NEXT) | instid1(VALU_DEP_2)
	v_pk_add_f32 v[72:73], v[72:73], v[104:105] neg_lo:[0,1] neg_hi:[0,1]
	v_pk_fma_f32 v[98:99], v[98:99], v[84:85], v[100:101] op_sel_hi:[1,1,0]
	s_delay_alu instid0(VALU_DEP_1) | instskip(SKIP_4) | instid1(VALU_DEP_1)
	v_mov_b32_e32 v103, v99
	ds_load_2addr_b64 v[98:101], v92 offset0:15 offset1:16
	v_pk_add_f32 v[74:75], v[74:75], v[102:103] neg_lo:[0,1] neg_hi:[0,1]
	s_wait_dscnt 0x0
	v_pk_mul_f32 v[102:103], v[98:99], v[90:91] op_sel:[0,1]
	v_pk_fma_f32 v[104:105], v[98:99], v[88:89], v[102:103] op_sel:[0,0,1] op_sel_hi:[1,1,0] neg_lo:[0,0,1] neg_hi:[0,0,1]
	v_pk_fma_f32 v[98:99], v[98:99], v[88:89], v[102:103] op_sel:[0,0,1] op_sel_hi:[1,0,0]
	s_delay_alu instid0(VALU_DEP_1) | instskip(SKIP_1) | instid1(VALU_DEP_1)
	v_mov_b32_e32 v105, v99
	v_pk_mul_f32 v[98:99], v[100:101], v[90:91] op_sel:[0,1]
	v_pk_fma_f32 v[102:103], v[100:101], v[88:89], v[98:99] op_sel:[0,0,1] op_sel_hi:[1,1,0] neg_lo:[0,0,1] neg_hi:[0,0,1]
	v_pk_fma_f32 v[98:99], v[100:101], v[88:89], v[98:99] op_sel:[0,0,1] op_sel_hi:[1,0,0]
	s_delay_alu instid0(VALU_DEP_1)
	v_mov_b32_e32 v103, v99
	ds_load_2addr_b64 v[98:101], v92 offset0:17 offset1:18
	v_pk_add_f32 v[70:71], v[70:71], v[104:105] neg_lo:[0,1] neg_hi:[0,1]
	v_pk_add_f32 v[68:69], v[68:69], v[102:103] neg_lo:[0,1] neg_hi:[0,1]
	s_wait_dscnt 0x0
	v_pk_mul_f32 v[102:103], v[98:99], v[90:91] op_sel:[0,1]
	s_delay_alu instid0(VALU_DEP_1) | instskip(SKIP_1) | instid1(VALU_DEP_1)
	v_pk_fma_f32 v[104:105], v[98:99], v[88:89], v[102:103] op_sel:[0,0,1] op_sel_hi:[1,1,0] neg_lo:[0,0,1] neg_hi:[0,0,1]
	v_pk_fma_f32 v[98:99], v[98:99], v[88:89], v[102:103] op_sel:[0,0,1] op_sel_hi:[1,0,0]
	v_mov_b32_e32 v105, v99
	v_pk_mul_f32 v[98:99], v[100:101], v[90:91] op_sel:[0,1]
	s_delay_alu instid0(VALU_DEP_1) | instskip(SKIP_1) | instid1(VALU_DEP_1)
	v_pk_fma_f32 v[102:103], v[100:101], v[88:89], v[98:99] op_sel:[0,0,1] op_sel_hi:[1,1,0] neg_lo:[0,0,1] neg_hi:[0,0,1]
	v_pk_fma_f32 v[98:99], v[100:101], v[88:89], v[98:99] op_sel:[0,0,1] op_sel_hi:[1,0,0]
	v_mov_b32_e32 v103, v99
	ds_load_2addr_b64 v[98:101], v92 offset0:19 offset1:20
	v_pk_add_f32 v[64:65], v[64:65], v[104:105] neg_lo:[0,1] neg_hi:[0,1]
	v_pk_add_f32 v[66:67], v[66:67], v[102:103] neg_lo:[0,1] neg_hi:[0,1]
	s_wait_dscnt 0x0
	v_dual_mul_f32 v102, v99, v91 :: v_dual_mul_f32 v104, v99, v88
	s_delay_alu instid0(VALU_DEP_1) | instskip(NEXT) | instid1(VALU_DEP_2)
	v_pk_fma_f32 v[102:103], v[98:99], v[84:85], v[102:103] op_sel_hi:[1,1,0] neg_lo:[0,0,1] neg_hi:[0,0,1]
	v_pk_fma_f32 v[98:99], v[98:99], v[84:85], v[104:105] op_sel:[1,0,0] op_sel_hi:[0,1,0]
	s_delay_alu instid0(VALU_DEP_1) | instskip(SKIP_1) | instid1(VALU_DEP_2)
	v_mov_b32_e32 v103, v99
	v_pk_mul_f32 v[98:99], v[100:101], v[90:91] op_sel:[0,1]
	v_pk_add_f32 v[62:63], v[62:63], v[102:103] neg_lo:[0,1] neg_hi:[0,1]
	s_delay_alu instid0(VALU_DEP_2) | instskip(SKIP_1) | instid1(VALU_DEP_1)
	v_pk_fma_f32 v[102:103], v[100:101], v[88:89], v[98:99] op_sel:[0,0,1] op_sel_hi:[1,1,0] neg_lo:[0,0,1] neg_hi:[0,0,1]
	v_pk_fma_f32 v[98:99], v[100:101], v[88:89], v[98:99] op_sel:[0,0,1] op_sel_hi:[1,0,0]
	v_mov_b32_e32 v103, v99
	ds_load_2addr_b64 v[98:101], v92 offset0:21 offset1:22
	v_pk_add_f32 v[60:61], v[60:61], v[102:103] neg_lo:[0,1] neg_hi:[0,1]
	s_wait_dscnt 0x0
	v_pk_mul_f32 v[102:103], v[98:99], v[90:91] op_sel:[0,1]
	s_delay_alu instid0(VALU_DEP_1) | instskip(SKIP_1) | instid1(VALU_DEP_1)
	v_pk_fma_f32 v[104:105], v[98:99], v[88:89], v[102:103] op_sel:[0,0,1] op_sel_hi:[1,1,0] neg_lo:[0,0,1] neg_hi:[0,0,1]
	v_pk_fma_f32 v[98:99], v[98:99], v[88:89], v[102:103] op_sel:[0,0,1] op_sel_hi:[1,0,0]
	v_mov_b32_e32 v105, v99
	v_pk_mul_f32 v[98:99], v[100:101], v[90:91] op_sel:[0,1]
	s_delay_alu instid0(VALU_DEP_2) | instskip(NEXT) | instid1(VALU_DEP_2)
	v_pk_add_f32 v[56:57], v[56:57], v[104:105] neg_lo:[0,1] neg_hi:[0,1]
	v_pk_fma_f32 v[102:103], v[100:101], v[88:89], v[98:99] op_sel:[0,0,1] op_sel_hi:[1,1,0] neg_lo:[0,0,1] neg_hi:[0,0,1]
	v_pk_fma_f32 v[98:99], v[100:101], v[88:89], v[98:99] op_sel:[0,0,1] op_sel_hi:[1,0,0]
	s_delay_alu instid0(VALU_DEP_1) | instskip(SKIP_4) | instid1(VALU_DEP_1)
	v_mov_b32_e32 v103, v99
	ds_load_2addr_b64 v[98:101], v92 offset0:23 offset1:24
	v_pk_add_f32 v[58:59], v[58:59], v[102:103] neg_lo:[0,1] neg_hi:[0,1]
	s_wait_dscnt 0x0
	v_pk_mul_f32 v[102:103], v[98:99], v[90:91] op_sel:[0,1]
	v_pk_fma_f32 v[104:105], v[98:99], v[88:89], v[102:103] op_sel:[0,0,1] op_sel_hi:[1,1,0] neg_lo:[0,0,1] neg_hi:[0,0,1]
	v_pk_fma_f32 v[98:99], v[98:99], v[88:89], v[102:103] op_sel:[0,0,1] op_sel_hi:[1,0,0]
	v_dual_mul_f32 v102, v101, v91 :: v_dual_mov_b32 v98, v101
	s_delay_alu instid0(VALU_DEP_2) | instskip(NEXT) | instid1(VALU_DEP_2)
	v_dual_mov_b32 v105, v99 :: v_dual_mov_b32 v99, v100
	v_pk_fma_f32 v[102:103], v[100:101], v[84:85], v[102:103] op_sel_hi:[1,1,0] neg_lo:[0,0,1] neg_hi:[0,0,1]
	v_mul_f32_e32 v100, v101, v88
	s_delay_alu instid0(VALU_DEP_3) | instskip(NEXT) | instid1(VALU_DEP_2)
	v_pk_add_f32 v[54:55], v[54:55], v[104:105] neg_lo:[0,1] neg_hi:[0,1]
	v_pk_fma_f32 v[98:99], v[98:99], v[84:85], v[100:101] op_sel_hi:[1,1,0]
	s_delay_alu instid0(VALU_DEP_1) | instskip(SKIP_4) | instid1(VALU_DEP_1)
	v_mov_b32_e32 v103, v99
	ds_load_2addr_b64 v[98:101], v92 offset0:25 offset1:26
	v_pk_add_f32 v[52:53], v[52:53], v[102:103] neg_lo:[0,1] neg_hi:[0,1]
	s_wait_dscnt 0x0
	v_pk_mul_f32 v[102:103], v[98:99], v[90:91] op_sel:[0,1]
	v_pk_fma_f32 v[104:105], v[98:99], v[88:89], v[102:103] op_sel:[0,0,1] op_sel_hi:[1,1,0] neg_lo:[0,0,1] neg_hi:[0,0,1]
	v_pk_fma_f32 v[98:99], v[98:99], v[88:89], v[102:103] op_sel:[0,0,1] op_sel_hi:[1,0,0]
	s_delay_alu instid0(VALU_DEP_1) | instskip(SKIP_1) | instid1(VALU_DEP_1)
	v_mov_b32_e32 v105, v99
	v_pk_mul_f32 v[98:99], v[100:101], v[90:91] op_sel:[0,1]
	v_pk_fma_f32 v[102:103], v[100:101], v[88:89], v[98:99] op_sel:[0,0,1] op_sel_hi:[1,1,0] neg_lo:[0,0,1] neg_hi:[0,0,1]
	v_pk_fma_f32 v[98:99], v[100:101], v[88:89], v[98:99] op_sel:[0,0,1] op_sel_hi:[1,0,0]
	s_delay_alu instid0(VALU_DEP_1)
	v_mov_b32_e32 v103, v99
	ds_load_2addr_b64 v[98:101], v92 offset0:27 offset1:28
	v_pk_add_f32 v[48:49], v[48:49], v[104:105] neg_lo:[0,1] neg_hi:[0,1]
	v_pk_add_f32 v[50:51], v[50:51], v[102:103] neg_lo:[0,1] neg_hi:[0,1]
	s_wait_dscnt 0x0
	v_pk_mul_f32 v[102:103], v[98:99], v[90:91] op_sel:[0,1]
	s_delay_alu instid0(VALU_DEP_1) | instskip(SKIP_1) | instid1(VALU_DEP_1)
	v_pk_fma_f32 v[104:105], v[98:99], v[88:89], v[102:103] op_sel:[0,0,1] op_sel_hi:[1,1,0] neg_lo:[0,0,1] neg_hi:[0,0,1]
	v_pk_fma_f32 v[98:99], v[98:99], v[88:89], v[102:103] op_sel:[0,0,1] op_sel_hi:[1,0,0]
	v_mov_b32_e32 v105, v99
	v_pk_mul_f32 v[98:99], v[100:101], v[90:91] op_sel:[0,1]
	s_delay_alu instid0(VALU_DEP_1) | instskip(SKIP_1) | instid1(VALU_DEP_1)
	v_pk_fma_f32 v[102:103], v[100:101], v[88:89], v[98:99] op_sel:[0,0,1] op_sel_hi:[1,1,0] neg_lo:[0,0,1] neg_hi:[0,0,1]
	v_pk_fma_f32 v[98:99], v[100:101], v[88:89], v[98:99] op_sel:[0,0,1] op_sel_hi:[1,0,0]
	v_mov_b32_e32 v103, v99
	ds_load_2addr_b64 v[98:101], v92 offset0:29 offset1:30
	v_pk_add_f32 v[46:47], v[46:47], v[104:105] neg_lo:[0,1] neg_hi:[0,1]
	v_pk_add_f32 v[42:43], v[42:43], v[102:103] neg_lo:[0,1] neg_hi:[0,1]
	s_wait_dscnt 0x0
	v_dual_mul_f32 v102, v99, v91 :: v_dual_mul_f32 v104, v99, v88
	s_delay_alu instid0(VALU_DEP_1) | instskip(NEXT) | instid1(VALU_DEP_2)
	v_pk_fma_f32 v[102:103], v[98:99], v[84:85], v[102:103] op_sel_hi:[1,1,0] neg_lo:[0,0,1] neg_hi:[0,0,1]
	v_pk_fma_f32 v[98:99], v[98:99], v[84:85], v[104:105] op_sel:[1,0,0] op_sel_hi:[0,1,0]
	s_delay_alu instid0(VALU_DEP_1) | instskip(SKIP_1) | instid1(VALU_DEP_2)
	v_mov_b32_e32 v103, v99
	v_pk_mul_f32 v[98:99], v[100:101], v[90:91] op_sel:[0,1]
	v_pk_add_f32 v[38:39], v[38:39], v[102:103] neg_lo:[0,1] neg_hi:[0,1]
	s_delay_alu instid0(VALU_DEP_2) | instskip(SKIP_1) | instid1(VALU_DEP_1)
	v_pk_fma_f32 v[102:103], v[100:101], v[88:89], v[98:99] op_sel:[0,0,1] op_sel_hi:[1,1,0] neg_lo:[0,0,1] neg_hi:[0,0,1]
	v_pk_fma_f32 v[98:99], v[100:101], v[88:89], v[98:99] op_sel:[0,0,1] op_sel_hi:[1,0,0]
	v_mov_b32_e32 v103, v99
	ds_load_2addr_b64 v[98:101], v92 offset0:31 offset1:32
	v_pk_add_f32 v[40:41], v[40:41], v[102:103] neg_lo:[0,1] neg_hi:[0,1]
	s_wait_dscnt 0x0
	v_pk_mul_f32 v[102:103], v[98:99], v[90:91] op_sel:[0,1]
	s_delay_alu instid0(VALU_DEP_1) | instskip(SKIP_1) | instid1(VALU_DEP_1)
	v_pk_fma_f32 v[104:105], v[98:99], v[88:89], v[102:103] op_sel:[0,0,1] op_sel_hi:[1,1,0] neg_lo:[0,0,1] neg_hi:[0,0,1]
	v_pk_fma_f32 v[98:99], v[98:99], v[88:89], v[102:103] op_sel:[0,0,1] op_sel_hi:[1,0,0]
	v_mov_b32_e32 v105, v99
	v_pk_mul_f32 v[98:99], v[100:101], v[90:91] op_sel:[0,1]
	s_delay_alu instid0(VALU_DEP_2) | instskip(NEXT) | instid1(VALU_DEP_2)
	v_pk_add_f32 v[36:37], v[36:37], v[104:105] neg_lo:[0,1] neg_hi:[0,1]
	v_pk_fma_f32 v[102:103], v[100:101], v[88:89], v[98:99] op_sel:[0,0,1] op_sel_hi:[1,1,0] neg_lo:[0,0,1] neg_hi:[0,0,1]
	v_pk_fma_f32 v[98:99], v[100:101], v[88:89], v[98:99] op_sel:[0,0,1] op_sel_hi:[1,0,0]
	s_delay_alu instid0(VALU_DEP_1) | instskip(SKIP_4) | instid1(VALU_DEP_1)
	v_mov_b32_e32 v103, v99
	ds_load_2addr_b64 v[98:101], v92 offset0:33 offset1:34
	v_pk_add_f32 v[14:15], v[14:15], v[102:103] neg_lo:[0,1] neg_hi:[0,1]
	s_wait_dscnt 0x0
	v_pk_mul_f32 v[102:103], v[98:99], v[90:91] op_sel:[0,1]
	v_pk_fma_f32 v[104:105], v[98:99], v[88:89], v[102:103] op_sel:[0,0,1] op_sel_hi:[1,1,0] neg_lo:[0,0,1] neg_hi:[0,0,1]
	v_pk_fma_f32 v[98:99], v[98:99], v[88:89], v[102:103] op_sel:[0,0,1] op_sel_hi:[1,0,0]
	v_dual_mul_f32 v102, v101, v91 :: v_dual_mov_b32 v98, v101
	s_delay_alu instid0(VALU_DEP_2) | instskip(NEXT) | instid1(VALU_DEP_2)
	v_dual_mov_b32 v105, v99 :: v_dual_mov_b32 v99, v100
	v_pk_fma_f32 v[102:103], v[100:101], v[84:85], v[102:103] op_sel_hi:[1,1,0] neg_lo:[0,0,1] neg_hi:[0,0,1]
	v_mul_f32_e32 v100, v101, v88
	s_delay_alu instid0(VALU_DEP_3) | instskip(NEXT) | instid1(VALU_DEP_2)
	v_pk_add_f32 v[10:11], v[10:11], v[104:105] neg_lo:[0,1] neg_hi:[0,1]
	v_pk_fma_f32 v[98:99], v[98:99], v[84:85], v[100:101] op_sel_hi:[1,1,0]
	s_delay_alu instid0(VALU_DEP_1) | instskip(SKIP_4) | instid1(VALU_DEP_1)
	v_mov_b32_e32 v103, v99
	ds_load_2addr_b64 v[98:101], v92 offset0:35 offset1:36
	v_pk_add_f32 v[12:13], v[12:13], v[102:103] neg_lo:[0,1] neg_hi:[0,1]
	s_wait_dscnt 0x0
	v_pk_mul_f32 v[102:103], v[98:99], v[90:91] op_sel:[0,1]
	v_pk_fma_f32 v[104:105], v[98:99], v[88:89], v[102:103] op_sel:[0,0,1] op_sel_hi:[1,1,0] neg_lo:[0,0,1] neg_hi:[0,0,1]
	v_pk_fma_f32 v[98:99], v[98:99], v[88:89], v[102:103] op_sel:[0,0,1] op_sel_hi:[1,0,0]
	s_delay_alu instid0(VALU_DEP_1) | instskip(SKIP_1) | instid1(VALU_DEP_1)
	v_mov_b32_e32 v105, v99
	v_pk_mul_f32 v[98:99], v[100:101], v[90:91] op_sel:[0,1]
	v_pk_fma_f32 v[102:103], v[100:101], v[88:89], v[98:99] op_sel:[0,0,1] op_sel_hi:[1,1,0] neg_lo:[0,0,1] neg_hi:[0,0,1]
	v_pk_fma_f32 v[98:99], v[100:101], v[88:89], v[98:99] op_sel:[0,0,1] op_sel_hi:[1,0,0]
	s_delay_alu instid0(VALU_DEP_1)
	v_mov_b32_e32 v103, v99
	ds_load_2addr_b64 v[98:101], v92 offset0:37 offset1:38
	v_pk_add_f32 v[8:9], v[8:9], v[104:105] neg_lo:[0,1] neg_hi:[0,1]
	v_pk_add_f32 v[6:7], v[6:7], v[102:103] neg_lo:[0,1] neg_hi:[0,1]
	s_wait_dscnt 0x0
	v_pk_mul_f32 v[102:103], v[98:99], v[90:91] op_sel:[0,1]
	s_delay_alu instid0(VALU_DEP_1) | instskip(SKIP_1) | instid1(VALU_DEP_1)
	v_pk_fma_f32 v[104:105], v[98:99], v[88:89], v[102:103] op_sel:[0,0,1] op_sel_hi:[1,1,0] neg_lo:[0,0,1] neg_hi:[0,0,1]
	v_pk_fma_f32 v[98:99], v[98:99], v[88:89], v[102:103] op_sel:[0,0,1] op_sel_hi:[1,0,0]
	v_mov_b32_e32 v105, v99
	v_pk_mul_f32 v[98:99], v[100:101], v[90:91] op_sel:[0,1]
	s_delay_alu instid0(VALU_DEP_1) | instskip(SKIP_1) | instid1(VALU_DEP_1)
	v_pk_fma_f32 v[102:103], v[100:101], v[88:89], v[98:99] op_sel:[0,0,1] op_sel_hi:[1,1,0] neg_lo:[0,0,1] neg_hi:[0,0,1]
	v_pk_fma_f32 v[98:99], v[100:101], v[88:89], v[98:99] op_sel:[0,0,1] op_sel_hi:[1,0,0]
	v_mov_b32_e32 v103, v99
	ds_load_2addr_b64 v[98:101], v92 offset0:39 offset1:40
	v_pk_add_f32 v[44:45], v[44:45], v[104:105] neg_lo:[0,1] neg_hi:[0,1]
	v_pk_add_f32 v[22:23], v[22:23], v[102:103] neg_lo:[0,1] neg_hi:[0,1]
	s_wait_dscnt 0x0
	v_dual_mul_f32 v102, v99, v91 :: v_dual_mul_f32 v104, v99, v88
	v_pk_mul_f32 v[90:91], v[100:101], v[90:91] op_sel:[0,1]
	s_delay_alu instid0(VALU_DEP_2) | instskip(NEXT) | instid1(VALU_DEP_3)
	v_pk_fma_f32 v[102:103], v[98:99], v[84:85], v[102:103] op_sel_hi:[1,1,0] neg_lo:[0,0,1] neg_hi:[0,0,1]
	v_pk_fma_f32 v[98:99], v[98:99], v[84:85], v[104:105] op_sel:[1,0,0] op_sel_hi:[0,1,0]
	s_delay_alu instid0(VALU_DEP_1) | instskip(NEXT) | instid1(VALU_DEP_4)
	v_mov_b32_e32 v103, v99
	v_pk_fma_f32 v[98:99], v[100:101], v[88:89], v[90:91] op_sel:[0,0,1] op_sel_hi:[1,1,0] neg_lo:[0,0,1] neg_hi:[0,0,1]
	v_pk_fma_f32 v[88:89], v[100:101], v[88:89], v[90:91] op_sel:[0,0,1] op_sel_hi:[1,0,0]
	s_delay_alu instid0(VALU_DEP_1) | instskip(NEXT) | instid1(VALU_DEP_4)
	v_mov_b32_e32 v99, v89
	v_pk_add_f32 v[16:17], v[16:17], v[102:103] neg_lo:[0,1] neg_hi:[0,1]
	s_delay_alu instid0(VALU_DEP_2)
	v_pk_add_f32 v[86:87], v[86:87], v[98:99] neg_lo:[0,1] neg_hi:[0,1]
.LBB80_22:
	s_or_b32 exec_lo, exec_lo, s0
	v_lshl_add_u32 v88, v96, 3, v92
	s_barrier_signal -1
	s_barrier_wait -1
	ds_store_b64 v88, v[82:83]
	s_wait_dscnt 0x0
	s_barrier_signal -1
	s_barrier_wait -1
	ds_load_b64 v[90:91], v92 offset:8
	v_mov_b32_e32 v88, 1
	s_cmp_lt_i32 s18, 3
	s_cbranch_scc1 .LBB80_25
; %bb.23:
	v_add3_u32 v89, v93, 0, 16
	v_mov_b32_e32 v88, 1
	s_mov_b32 s0, 2
.LBB80_24:                              ; =>This Inner Loop Header: Depth=1
	ds_load_b64 v[98:99], v89
	s_wait_dscnt 0x1
	v_cmp_gt_f32_e32 vcc_lo, 0, v90
	v_cndmask_b32_e64 v100, v90, -v90, vcc_lo
	v_cmp_gt_f32_e32 vcc_lo, 0, v91
	v_cndmask_b32_e64 v102, v91, -v91, vcc_lo
	s_wait_dscnt 0x0
	v_cmp_gt_f32_e32 vcc_lo, 0, v98
	v_cndmask_b32_e64 v101, v98, -v98, vcc_lo
	v_cmp_gt_f32_e32 vcc_lo, 0, v99
	v_cndmask_b32_e64 v103, v99, -v99, vcc_lo
	s_delay_alu instid0(VALU_DEP_1) | instskip(NEXT) | instid1(VALU_DEP_1)
	v_pk_add_f32 v[100:101], v[100:101], v[102:103]
	v_cmp_lt_f32_e32 vcc_lo, v100, v101
	v_dual_add_nc_u32 v89, 8, v89 :: v_dual_cndmask_b32 v91, v91, v99, vcc_lo
	v_cndmask_b32_e32 v90, v90, v98, vcc_lo
	v_cndmask_b32_e64 v88, v88, s0, vcc_lo
	s_add_co_i32 s0, s0, 1
	s_delay_alu instid0(SALU_CYCLE_1)
	s_cmp_lg_u32 s18, s0
	s_cbranch_scc1 .LBB80_24
.LBB80_25:
	s_wait_dscnt 0x0
	v_cmp_neq_f32_e32 vcc_lo, 0, v90
	v_cmp_neq_f32_e64 s0, 0, v91
	s_or_b32 s1, vcc_lo, s0
	s_delay_alu instid0(SALU_CYCLE_1)
	s_and_saveexec_b32 s0, s1
	s_cbranch_execz .LBB80_31
; %bb.26:
	v_cmp_ngt_f32_e64 s1, |v90|, |v91|
	s_and_saveexec_b32 s12, s1
	s_delay_alu instid0(SALU_CYCLE_1)
	s_xor_b32 s1, exec_lo, s12
	s_cbranch_execz .LBB80_28
; %bb.27:
	v_div_scale_f32 v89, null, v91, v91, v90
	v_div_scale_f32 v99, vcc_lo, v90, v91, v90
	s_delay_alu instid0(VALU_DEP_2) | instskip(SKIP_1) | instid1(TRANS32_DEP_1)
	v_rcp_f32_e32 v94, v89
	v_nop
	v_fma_f32 v98, -v89, v94, 1.0
	s_delay_alu instid0(VALU_DEP_1) | instskip(NEXT) | instid1(VALU_DEP_1)
	v_fmac_f32_e32 v94, v98, v94
	v_mul_f32_e32 v98, v99, v94
	s_delay_alu instid0(VALU_DEP_1) | instskip(NEXT) | instid1(VALU_DEP_1)
	v_fma_f32 v100, -v89, v98, v99
	v_fmac_f32_e32 v98, v100, v94
	s_delay_alu instid0(VALU_DEP_1) | instskip(NEXT) | instid1(VALU_DEP_1)
	v_fma_f32 v89, -v89, v98, v99
	v_div_fmas_f32 v89, v89, v94, v98
	s_delay_alu instid0(VALU_DEP_1) | instskip(NEXT) | instid1(VALU_DEP_1)
	v_div_fixup_f32 v89, v89, v91, v90
	v_fmac_f32_e32 v91, v90, v89
	s_delay_alu instid0(VALU_DEP_1) | instskip(SKIP_1) | instid1(VALU_DEP_2)
	v_div_scale_f32 v90, null, v91, v91, 1.0
	v_div_scale_f32 v99, vcc_lo, 1.0, v91, 1.0
	v_rcp_f32_e32 v94, v90
	v_nop
	s_delay_alu instid0(TRANS32_DEP_1) | instskip(NEXT) | instid1(VALU_DEP_1)
	v_fma_f32 v98, -v90, v94, 1.0
	v_fmac_f32_e32 v94, v98, v94
	s_delay_alu instid0(VALU_DEP_1) | instskip(NEXT) | instid1(VALU_DEP_1)
	v_mul_f32_e32 v98, v99, v94
	v_fma_f32 v100, -v90, v98, v99
	s_delay_alu instid0(VALU_DEP_1) | instskip(NEXT) | instid1(VALU_DEP_1)
	v_fmac_f32_e32 v98, v100, v94
	v_fma_f32 v90, -v90, v98, v99
	s_delay_alu instid0(VALU_DEP_1) | instskip(NEXT) | instid1(VALU_DEP_1)
	v_div_fmas_f32 v90, v90, v94, v98
	v_div_fixup_f32 v91, v90, v91, 1.0
	s_delay_alu instid0(VALU_DEP_1)
	v_mul_f32_e32 v90, v89, v91
	v_xor_b32_e32 v91, 0x80000000, v91
.LBB80_28:
	s_and_not1_saveexec_b32 s1, s1
	s_cbranch_execz .LBB80_30
; %bb.29:
	s_delay_alu instid0(VALU_DEP_1) | instskip(SKIP_1) | instid1(VALU_DEP_2)
	v_div_scale_f32 v89, null, v90, v90, v91
	v_div_scale_f32 v99, vcc_lo, v91, v90, v91
	v_rcp_f32_e32 v94, v89
	v_nop
	s_delay_alu instid0(TRANS32_DEP_1) | instskip(NEXT) | instid1(VALU_DEP_1)
	v_fma_f32 v98, -v89, v94, 1.0
	v_fmac_f32_e32 v94, v98, v94
	s_delay_alu instid0(VALU_DEP_1) | instskip(NEXT) | instid1(VALU_DEP_1)
	v_mul_f32_e32 v98, v99, v94
	v_fma_f32 v100, -v89, v98, v99
	s_delay_alu instid0(VALU_DEP_1) | instskip(NEXT) | instid1(VALU_DEP_1)
	v_fmac_f32_e32 v98, v100, v94
	v_fma_f32 v89, -v89, v98, v99
	s_delay_alu instid0(VALU_DEP_1) | instskip(NEXT) | instid1(VALU_DEP_1)
	v_div_fmas_f32 v89, v89, v94, v98
	v_div_fixup_f32 v89, v89, v90, v91
	s_delay_alu instid0(VALU_DEP_1) | instskip(NEXT) | instid1(VALU_DEP_1)
	v_fmac_f32_e32 v90, v91, v89
	v_div_scale_f32 v91, null, v90, v90, 1.0
	s_delay_alu instid0(VALU_DEP_1) | instskip(SKIP_1) | instid1(TRANS32_DEP_1)
	v_rcp_f32_e32 v94, v91
	v_nop
	v_fma_f32 v98, -v91, v94, 1.0
	s_delay_alu instid0(VALU_DEP_1) | instskip(SKIP_1) | instid1(VALU_DEP_1)
	v_fmac_f32_e32 v94, v98, v94
	v_div_scale_f32 v98, vcc_lo, 1.0, v90, 1.0
	v_mul_f32_e32 v99, v98, v94
	s_delay_alu instid0(VALU_DEP_1) | instskip(NEXT) | instid1(VALU_DEP_1)
	v_fma_f32 v100, -v91, v99, v98
	v_fmac_f32_e32 v99, v100, v94
	s_delay_alu instid0(VALU_DEP_1) | instskip(NEXT) | instid1(VALU_DEP_1)
	v_fma_f32 v91, -v91, v99, v98
	v_div_fmas_f32 v91, v91, v94, v99
	s_delay_alu instid0(VALU_DEP_1) | instskip(NEXT) | instid1(VALU_DEP_1)
	v_div_fixup_f32 v90, v91, v90, 1.0
	v_mul_f32_e64 v91, v89, -v90
.LBB80_30:
	s_or_b32 exec_lo, exec_lo, s1
	v_mov_b32_e32 v94, v97
.LBB80_31:
	s_or_b32 exec_lo, exec_lo, s0
	s_delay_alu instid0(SALU_CYCLE_1)
	s_mov_b32 s0, exec_lo
	v_cmpx_ne_u32_e64 v96, v88
	s_xor_b32 s0, exec_lo, s0
	s_cbranch_execz .LBB80_37
; %bb.32:
	s_mov_b32 s1, exec_lo
	v_cmpx_eq_u32_e32 1, v96
	s_cbranch_execz .LBB80_36
; %bb.33:
	v_cmp_ne_u32_e32 vcc_lo, 1, v88
	s_xor_b32 s12, s16, -1
	s_delay_alu instid0(SALU_CYCLE_1) | instskip(NEXT) | instid1(SALU_CYCLE_1)
	s_and_b32 s13, s12, vcc_lo
	s_and_saveexec_b32 s12, s13
	s_cbranch_execz .LBB80_35
; %bb.34:
	v_ashrrev_i32_e32 v89, 31, v88
	s_delay_alu instid0(VALU_DEP_1)
	v_lshl_add_u64 v[96:97], v[88:89], 2, v[4:5]
	s_clause 0x1
	global_load_b32 v89, v[96:97], off
	global_load_b32 v95, v[4:5], off offset:4
	s_wait_loadcnt 0x1
	global_store_b32 v[4:5], v89, off offset:4
	s_wait_loadcnt 0x0
	global_store_b32 v[96:97], v95, off
.LBB80_35:
	s_wait_xcnt 0x0
	s_or_b32 exec_lo, exec_lo, s12
	v_dual_mov_b32 v96, v88 :: v_dual_mov_b32 v95, v88
.LBB80_36:
	s_or_b32 exec_lo, exec_lo, s1
.LBB80_37:
	s_and_not1_saveexec_b32 s0, s0
	s_cbranch_execz .LBB80_39
; %bb.38:
	v_dual_mov_b32 v88, v80 :: v_dual_mov_b32 v89, v81
	v_dual_mov_b32 v96, v78 :: v_dual_mov_b32 v97, v79
	ds_store_2addr_b64 v92, v[88:89], v[96:97] offset0:2 offset1:3
	v_dual_mov_b32 v88, v26 :: v_dual_mov_b32 v89, v27
	v_dual_mov_b32 v96, v20 :: v_dual_mov_b32 v97, v21
	ds_store_2addr_b64 v92, v[88:89], v[96:97] offset0:4 offset1:5
	;; [unrolled: 3-line block ×19, first 2 shown]
	ds_store_b64 v92, v[86:87] offset:320
	v_mov_b32_e32 v96, 1
.LBB80_39:
	s_or_b32 exec_lo, exec_lo, s0
	s_delay_alu instid0(SALU_CYCLE_1)
	s_mov_b32 s0, exec_lo
	s_wait_storecnt_dscnt 0x0
	s_barrier_signal -1
	s_barrier_wait -1
	v_cmpx_lt_i32_e32 1, v96
	s_cbranch_execz .LBB80_41
; %bb.40:
	v_pk_mul_f32 v[98:99], v[90:91], v[82:83] op_sel:[1,1] op_sel_hi:[0,1]
	s_delay_alu instid0(VALU_DEP_1)
	v_pk_fma_f32 v[88:89], v[90:91], v[82:83], v[98:99] op_sel_hi:[1,0,1] neg_lo:[0,0,1] neg_hi:[0,0,1]
	v_pk_fma_f32 v[90:91], v[90:91], v[82:83], v[98:99] op_sel_hi:[1,0,1]
	ds_load_2addr_b64 v[98:101], v92 offset0:2 offset1:3
	v_dual_mov_b32 v82, v88 :: v_dual_mov_b32 v83, v91
	s_wait_dscnt 0x0
	v_pk_mul_f32 v[102:103], v[98:99], v[90:91] op_sel:[0,1]
	s_delay_alu instid0(VALU_DEP_1) | instskip(SKIP_1) | instid1(VALU_DEP_1)
	v_pk_fma_f32 v[104:105], v[98:99], v[88:89], v[102:103] op_sel:[0,0,1] op_sel_hi:[1,1,0] neg_lo:[0,0,1] neg_hi:[0,0,1]
	v_pk_fma_f32 v[98:99], v[98:99], v[88:89], v[102:103] op_sel:[0,0,1] op_sel_hi:[1,0,0]
	v_mov_b32_e32 v105, v99
	v_pk_mul_f32 v[98:99], v[100:101], v[90:91] op_sel:[0,1]
	s_delay_alu instid0(VALU_DEP_1) | instskip(SKIP_1) | instid1(VALU_DEP_1)
	v_pk_fma_f32 v[102:103], v[100:101], v[88:89], v[98:99] op_sel:[0,0,1] op_sel_hi:[1,1,0] neg_lo:[0,0,1] neg_hi:[0,0,1]
	v_pk_fma_f32 v[98:99], v[100:101], v[88:89], v[98:99] op_sel:[0,0,1] op_sel_hi:[1,0,0]
	v_mov_b32_e32 v103, v99
	ds_load_2addr_b64 v[98:101], v92 offset0:4 offset1:5
	v_pk_add_f32 v[80:81], v[80:81], v[104:105] neg_lo:[0,1] neg_hi:[0,1]
	v_pk_add_f32 v[78:79], v[78:79], v[102:103] neg_lo:[0,1] neg_hi:[0,1]
	s_wait_dscnt 0x0
	v_pk_mul_f32 v[102:103], v[98:99], v[90:91] op_sel:[0,1]
	s_delay_alu instid0(VALU_DEP_1) | instskip(SKIP_2) | instid1(VALU_DEP_2)
	v_pk_fma_f32 v[104:105], v[98:99], v[88:89], v[102:103] op_sel:[0,0,1] op_sel_hi:[1,1,0] neg_lo:[0,0,1] neg_hi:[0,0,1]
	v_pk_fma_f32 v[98:99], v[98:99], v[88:89], v[102:103] op_sel:[0,0,1] op_sel_hi:[1,0,0]
	v_dual_mul_f32 v102, v101, v91 :: v_dual_mov_b32 v98, v101
	v_dual_mov_b32 v105, v99 :: v_dual_mov_b32 v99, v100
	s_delay_alu instid0(VALU_DEP_2) | instskip(SKIP_1) | instid1(VALU_DEP_3)
	v_pk_fma_f32 v[102:103], v[100:101], v[82:83], v[102:103] op_sel_hi:[1,1,0] neg_lo:[0,0,1] neg_hi:[0,0,1]
	v_mul_f32_e32 v100, v101, v88
	v_pk_add_f32 v[26:27], v[26:27], v[104:105] neg_lo:[0,1] neg_hi:[0,1]
	s_delay_alu instid0(VALU_DEP_2) | instskip(NEXT) | instid1(VALU_DEP_1)
	v_pk_fma_f32 v[98:99], v[98:99], v[82:83], v[100:101] op_sel_hi:[1,1,0]
	v_mov_b32_e32 v103, v99
	ds_load_2addr_b64 v[98:101], v92 offset0:6 offset1:7
	v_pk_add_f32 v[20:21], v[20:21], v[102:103] neg_lo:[0,1] neg_hi:[0,1]
	s_wait_dscnt 0x0
	v_pk_mul_f32 v[102:103], v[98:99], v[90:91] op_sel:[0,1]
	s_delay_alu instid0(VALU_DEP_1) | instskip(SKIP_1) | instid1(VALU_DEP_1)
	v_pk_fma_f32 v[104:105], v[98:99], v[88:89], v[102:103] op_sel:[0,0,1] op_sel_hi:[1,1,0] neg_lo:[0,0,1] neg_hi:[0,0,1]
	v_pk_fma_f32 v[98:99], v[98:99], v[88:89], v[102:103] op_sel:[0,0,1] op_sel_hi:[1,0,0]
	v_mov_b32_e32 v105, v99
	v_pk_mul_f32 v[98:99], v[100:101], v[90:91] op_sel:[0,1]
	s_delay_alu instid0(VALU_DEP_1) | instskip(SKIP_1) | instid1(VALU_DEP_1)
	v_pk_fma_f32 v[102:103], v[100:101], v[88:89], v[98:99] op_sel:[0,0,1] op_sel_hi:[1,1,0] neg_lo:[0,0,1] neg_hi:[0,0,1]
	v_pk_fma_f32 v[98:99], v[100:101], v[88:89], v[98:99] op_sel:[0,0,1] op_sel_hi:[1,0,0]
	v_mov_b32_e32 v103, v99
	ds_load_2addr_b64 v[98:101], v92 offset0:8 offset1:9
	v_pk_add_f32 v[24:25], v[24:25], v[104:105] neg_lo:[0,1] neg_hi:[0,1]
	v_pk_add_f32 v[18:19], v[18:19], v[102:103] neg_lo:[0,1] neg_hi:[0,1]
	s_wait_dscnt 0x0
	v_pk_mul_f32 v[102:103], v[98:99], v[90:91] op_sel:[0,1]
	s_delay_alu instid0(VALU_DEP_1) | instskip(SKIP_1) | instid1(VALU_DEP_1)
	v_pk_fma_f32 v[104:105], v[98:99], v[88:89], v[102:103] op_sel:[0,0,1] op_sel_hi:[1,1,0] neg_lo:[0,0,1] neg_hi:[0,0,1]
	v_pk_fma_f32 v[98:99], v[98:99], v[88:89], v[102:103] op_sel:[0,0,1] op_sel_hi:[1,0,0]
	v_mov_b32_e32 v105, v99
	v_pk_mul_f32 v[98:99], v[100:101], v[90:91] op_sel:[0,1]
	s_delay_alu instid0(VALU_DEP_1) | instskip(SKIP_1) | instid1(VALU_DEP_1)
	v_pk_fma_f32 v[102:103], v[100:101], v[88:89], v[98:99] op_sel:[0,0,1] op_sel_hi:[1,1,0] neg_lo:[0,0,1] neg_hi:[0,0,1]
	v_pk_fma_f32 v[98:99], v[100:101], v[88:89], v[98:99] op_sel:[0,0,1] op_sel_hi:[1,0,0]
	v_mov_b32_e32 v103, v99
	ds_load_2addr_b64 v[98:101], v92 offset0:10 offset1:11
	v_pk_add_f32 v[34:35], v[34:35], v[104:105] neg_lo:[0,1] neg_hi:[0,1]
	v_pk_add_f32 v[30:31], v[30:31], v[102:103] neg_lo:[0,1] neg_hi:[0,1]
	s_wait_dscnt 0x0
	v_dual_mul_f32 v102, v99, v91 :: v_dual_mul_f32 v104, v99, v88
	s_delay_alu instid0(VALU_DEP_1) | instskip(NEXT) | instid1(VALU_DEP_2)
	v_pk_fma_f32 v[102:103], v[98:99], v[82:83], v[102:103] op_sel_hi:[1,1,0] neg_lo:[0,0,1] neg_hi:[0,0,1]
	v_pk_fma_f32 v[98:99], v[98:99], v[82:83], v[104:105] op_sel:[1,0,0] op_sel_hi:[0,1,0]
	s_delay_alu instid0(VALU_DEP_1) | instskip(SKIP_1) | instid1(VALU_DEP_2)
	v_mov_b32_e32 v103, v99
	v_pk_mul_f32 v[98:99], v[100:101], v[90:91] op_sel:[0,1]
	v_pk_add_f32 v[32:33], v[32:33], v[102:103] neg_lo:[0,1] neg_hi:[0,1]
	s_delay_alu instid0(VALU_DEP_2) | instskip(SKIP_1) | instid1(VALU_DEP_1)
	v_pk_fma_f32 v[102:103], v[100:101], v[88:89], v[98:99] op_sel:[0,0,1] op_sel_hi:[1,1,0] neg_lo:[0,0,1] neg_hi:[0,0,1]
	v_pk_fma_f32 v[98:99], v[100:101], v[88:89], v[98:99] op_sel:[0,0,1] op_sel_hi:[1,0,0]
	v_mov_b32_e32 v103, v99
	ds_load_2addr_b64 v[98:101], v92 offset0:12 offset1:13
	v_pk_add_f32 v[28:29], v[28:29], v[102:103] neg_lo:[0,1] neg_hi:[0,1]
	s_wait_dscnt 0x0
	v_pk_mul_f32 v[102:103], v[98:99], v[90:91] op_sel:[0,1]
	s_delay_alu instid0(VALU_DEP_1) | instskip(SKIP_1) | instid1(VALU_DEP_1)
	v_pk_fma_f32 v[104:105], v[98:99], v[88:89], v[102:103] op_sel:[0,0,1] op_sel_hi:[1,1,0] neg_lo:[0,0,1] neg_hi:[0,0,1]
	v_pk_fma_f32 v[98:99], v[98:99], v[88:89], v[102:103] op_sel:[0,0,1] op_sel_hi:[1,0,0]
	v_mov_b32_e32 v105, v99
	v_pk_mul_f32 v[98:99], v[100:101], v[90:91] op_sel:[0,1]
	s_delay_alu instid0(VALU_DEP_2) | instskip(NEXT) | instid1(VALU_DEP_2)
	v_pk_add_f32 v[76:77], v[76:77], v[104:105] neg_lo:[0,1] neg_hi:[0,1]
	v_pk_fma_f32 v[102:103], v[100:101], v[88:89], v[98:99] op_sel:[0,0,1] op_sel_hi:[1,1,0] neg_lo:[0,0,1] neg_hi:[0,0,1]
	v_pk_fma_f32 v[98:99], v[100:101], v[88:89], v[98:99] op_sel:[0,0,1] op_sel_hi:[1,0,0]
	s_delay_alu instid0(VALU_DEP_1) | instskip(SKIP_4) | instid1(VALU_DEP_1)
	v_mov_b32_e32 v103, v99
	ds_load_2addr_b64 v[98:101], v92 offset0:14 offset1:15
	v_pk_add_f32 v[72:73], v[72:73], v[102:103] neg_lo:[0,1] neg_hi:[0,1]
	s_wait_dscnt 0x0
	v_pk_mul_f32 v[102:103], v[98:99], v[90:91] op_sel:[0,1]
	v_pk_fma_f32 v[104:105], v[98:99], v[88:89], v[102:103] op_sel:[0,0,1] op_sel_hi:[1,1,0] neg_lo:[0,0,1] neg_hi:[0,0,1]
	v_pk_fma_f32 v[98:99], v[98:99], v[88:89], v[102:103] op_sel:[0,0,1] op_sel_hi:[1,0,0]
	v_dual_mul_f32 v102, v101, v91 :: v_dual_mov_b32 v98, v101
	s_delay_alu instid0(VALU_DEP_2) | instskip(NEXT) | instid1(VALU_DEP_2)
	v_dual_mov_b32 v105, v99 :: v_dual_mov_b32 v99, v100
	v_pk_fma_f32 v[102:103], v[100:101], v[82:83], v[102:103] op_sel_hi:[1,1,0] neg_lo:[0,0,1] neg_hi:[0,0,1]
	v_mul_f32_e32 v100, v101, v88
	s_delay_alu instid0(VALU_DEP_3) | instskip(NEXT) | instid1(VALU_DEP_2)
	v_pk_add_f32 v[74:75], v[74:75], v[104:105] neg_lo:[0,1] neg_hi:[0,1]
	v_pk_fma_f32 v[98:99], v[98:99], v[82:83], v[100:101] op_sel_hi:[1,1,0]
	s_delay_alu instid0(VALU_DEP_1) | instskip(SKIP_4) | instid1(VALU_DEP_1)
	v_mov_b32_e32 v103, v99
	ds_load_2addr_b64 v[98:101], v92 offset0:16 offset1:17
	v_pk_add_f32 v[70:71], v[70:71], v[102:103] neg_lo:[0,1] neg_hi:[0,1]
	s_wait_dscnt 0x0
	v_pk_mul_f32 v[102:103], v[98:99], v[90:91] op_sel:[0,1]
	v_pk_fma_f32 v[104:105], v[98:99], v[88:89], v[102:103] op_sel:[0,0,1] op_sel_hi:[1,1,0] neg_lo:[0,0,1] neg_hi:[0,0,1]
	v_pk_fma_f32 v[98:99], v[98:99], v[88:89], v[102:103] op_sel:[0,0,1] op_sel_hi:[1,0,0]
	s_delay_alu instid0(VALU_DEP_1) | instskip(SKIP_1) | instid1(VALU_DEP_1)
	v_mov_b32_e32 v105, v99
	v_pk_mul_f32 v[98:99], v[100:101], v[90:91] op_sel:[0,1]
	v_pk_fma_f32 v[102:103], v[100:101], v[88:89], v[98:99] op_sel:[0,0,1] op_sel_hi:[1,1,0] neg_lo:[0,0,1] neg_hi:[0,0,1]
	v_pk_fma_f32 v[98:99], v[100:101], v[88:89], v[98:99] op_sel:[0,0,1] op_sel_hi:[1,0,0]
	s_delay_alu instid0(VALU_DEP_1)
	v_mov_b32_e32 v103, v99
	ds_load_2addr_b64 v[98:101], v92 offset0:18 offset1:19
	v_pk_add_f32 v[68:69], v[68:69], v[104:105] neg_lo:[0,1] neg_hi:[0,1]
	v_pk_add_f32 v[64:65], v[64:65], v[102:103] neg_lo:[0,1] neg_hi:[0,1]
	s_wait_dscnt 0x0
	v_pk_mul_f32 v[102:103], v[98:99], v[90:91] op_sel:[0,1]
	s_delay_alu instid0(VALU_DEP_1) | instskip(SKIP_1) | instid1(VALU_DEP_1)
	v_pk_fma_f32 v[104:105], v[98:99], v[88:89], v[102:103] op_sel:[0,0,1] op_sel_hi:[1,1,0] neg_lo:[0,0,1] neg_hi:[0,0,1]
	v_pk_fma_f32 v[98:99], v[98:99], v[88:89], v[102:103] op_sel:[0,0,1] op_sel_hi:[1,0,0]
	v_mov_b32_e32 v105, v99
	v_pk_mul_f32 v[98:99], v[100:101], v[90:91] op_sel:[0,1]
	s_delay_alu instid0(VALU_DEP_1) | instskip(SKIP_1) | instid1(VALU_DEP_1)
	v_pk_fma_f32 v[102:103], v[100:101], v[88:89], v[98:99] op_sel:[0,0,1] op_sel_hi:[1,1,0] neg_lo:[0,0,1] neg_hi:[0,0,1]
	v_pk_fma_f32 v[98:99], v[100:101], v[88:89], v[98:99] op_sel:[0,0,1] op_sel_hi:[1,0,0]
	v_mov_b32_e32 v103, v99
	ds_load_2addr_b64 v[98:101], v92 offset0:20 offset1:21
	v_pk_add_f32 v[66:67], v[66:67], v[104:105] neg_lo:[0,1] neg_hi:[0,1]
	v_pk_add_f32 v[62:63], v[62:63], v[102:103] neg_lo:[0,1] neg_hi:[0,1]
	s_wait_dscnt 0x0
	v_dual_mul_f32 v102, v99, v91 :: v_dual_mul_f32 v104, v99, v88
	s_delay_alu instid0(VALU_DEP_1) | instskip(NEXT) | instid1(VALU_DEP_2)
	v_pk_fma_f32 v[102:103], v[98:99], v[82:83], v[102:103] op_sel_hi:[1,1,0] neg_lo:[0,0,1] neg_hi:[0,0,1]
	v_pk_fma_f32 v[98:99], v[98:99], v[82:83], v[104:105] op_sel:[1,0,0] op_sel_hi:[0,1,0]
	s_delay_alu instid0(VALU_DEP_1) | instskip(SKIP_1) | instid1(VALU_DEP_2)
	v_mov_b32_e32 v103, v99
	v_pk_mul_f32 v[98:99], v[100:101], v[90:91] op_sel:[0,1]
	v_pk_add_f32 v[60:61], v[60:61], v[102:103] neg_lo:[0,1] neg_hi:[0,1]
	s_delay_alu instid0(VALU_DEP_2) | instskip(SKIP_1) | instid1(VALU_DEP_1)
	v_pk_fma_f32 v[102:103], v[100:101], v[88:89], v[98:99] op_sel:[0,0,1] op_sel_hi:[1,1,0] neg_lo:[0,0,1] neg_hi:[0,0,1]
	v_pk_fma_f32 v[98:99], v[100:101], v[88:89], v[98:99] op_sel:[0,0,1] op_sel_hi:[1,0,0]
	v_mov_b32_e32 v103, v99
	ds_load_2addr_b64 v[98:101], v92 offset0:22 offset1:23
	v_pk_add_f32 v[56:57], v[56:57], v[102:103] neg_lo:[0,1] neg_hi:[0,1]
	s_wait_dscnt 0x0
	v_pk_mul_f32 v[102:103], v[98:99], v[90:91] op_sel:[0,1]
	s_delay_alu instid0(VALU_DEP_1) | instskip(SKIP_1) | instid1(VALU_DEP_1)
	v_pk_fma_f32 v[104:105], v[98:99], v[88:89], v[102:103] op_sel:[0,0,1] op_sel_hi:[1,1,0] neg_lo:[0,0,1] neg_hi:[0,0,1]
	v_pk_fma_f32 v[98:99], v[98:99], v[88:89], v[102:103] op_sel:[0,0,1] op_sel_hi:[1,0,0]
	v_mov_b32_e32 v105, v99
	v_pk_mul_f32 v[98:99], v[100:101], v[90:91] op_sel:[0,1]
	s_delay_alu instid0(VALU_DEP_2) | instskip(NEXT) | instid1(VALU_DEP_2)
	v_pk_add_f32 v[58:59], v[58:59], v[104:105] neg_lo:[0,1] neg_hi:[0,1]
	v_pk_fma_f32 v[102:103], v[100:101], v[88:89], v[98:99] op_sel:[0,0,1] op_sel_hi:[1,1,0] neg_lo:[0,0,1] neg_hi:[0,0,1]
	v_pk_fma_f32 v[98:99], v[100:101], v[88:89], v[98:99] op_sel:[0,0,1] op_sel_hi:[1,0,0]
	s_delay_alu instid0(VALU_DEP_1) | instskip(SKIP_4) | instid1(VALU_DEP_1)
	v_mov_b32_e32 v103, v99
	ds_load_2addr_b64 v[98:101], v92 offset0:24 offset1:25
	v_pk_add_f32 v[54:55], v[54:55], v[102:103] neg_lo:[0,1] neg_hi:[0,1]
	s_wait_dscnt 0x0
	v_pk_mul_f32 v[102:103], v[98:99], v[90:91] op_sel:[0,1]
	v_pk_fma_f32 v[104:105], v[98:99], v[88:89], v[102:103] op_sel:[0,0,1] op_sel_hi:[1,1,0] neg_lo:[0,0,1] neg_hi:[0,0,1]
	v_pk_fma_f32 v[98:99], v[98:99], v[88:89], v[102:103] op_sel:[0,0,1] op_sel_hi:[1,0,0]
	v_dual_mul_f32 v102, v101, v91 :: v_dual_mov_b32 v98, v101
	s_delay_alu instid0(VALU_DEP_2) | instskip(NEXT) | instid1(VALU_DEP_2)
	v_dual_mov_b32 v105, v99 :: v_dual_mov_b32 v99, v100
	v_pk_fma_f32 v[102:103], v[100:101], v[82:83], v[102:103] op_sel_hi:[1,1,0] neg_lo:[0,0,1] neg_hi:[0,0,1]
	v_mul_f32_e32 v100, v101, v88
	s_delay_alu instid0(VALU_DEP_3) | instskip(NEXT) | instid1(VALU_DEP_2)
	v_pk_add_f32 v[52:53], v[52:53], v[104:105] neg_lo:[0,1] neg_hi:[0,1]
	v_pk_fma_f32 v[98:99], v[98:99], v[82:83], v[100:101] op_sel_hi:[1,1,0]
	s_delay_alu instid0(VALU_DEP_1) | instskip(SKIP_4) | instid1(VALU_DEP_1)
	v_mov_b32_e32 v103, v99
	ds_load_2addr_b64 v[98:101], v92 offset0:26 offset1:27
	v_pk_add_f32 v[48:49], v[48:49], v[102:103] neg_lo:[0,1] neg_hi:[0,1]
	s_wait_dscnt 0x0
	v_pk_mul_f32 v[102:103], v[98:99], v[90:91] op_sel:[0,1]
	v_pk_fma_f32 v[104:105], v[98:99], v[88:89], v[102:103] op_sel:[0,0,1] op_sel_hi:[1,1,0] neg_lo:[0,0,1] neg_hi:[0,0,1]
	v_pk_fma_f32 v[98:99], v[98:99], v[88:89], v[102:103] op_sel:[0,0,1] op_sel_hi:[1,0,0]
	s_delay_alu instid0(VALU_DEP_1) | instskip(SKIP_1) | instid1(VALU_DEP_1)
	v_mov_b32_e32 v105, v99
	v_pk_mul_f32 v[98:99], v[100:101], v[90:91] op_sel:[0,1]
	v_pk_fma_f32 v[102:103], v[100:101], v[88:89], v[98:99] op_sel:[0,0,1] op_sel_hi:[1,1,0] neg_lo:[0,0,1] neg_hi:[0,0,1]
	v_pk_fma_f32 v[98:99], v[100:101], v[88:89], v[98:99] op_sel:[0,0,1] op_sel_hi:[1,0,0]
	s_delay_alu instid0(VALU_DEP_1)
	v_mov_b32_e32 v103, v99
	ds_load_2addr_b64 v[98:101], v92 offset0:28 offset1:29
	v_pk_add_f32 v[50:51], v[50:51], v[104:105] neg_lo:[0,1] neg_hi:[0,1]
	v_pk_add_f32 v[46:47], v[46:47], v[102:103] neg_lo:[0,1] neg_hi:[0,1]
	s_wait_dscnt 0x0
	v_pk_mul_f32 v[102:103], v[98:99], v[90:91] op_sel:[0,1]
	s_delay_alu instid0(VALU_DEP_1) | instskip(SKIP_1) | instid1(VALU_DEP_1)
	v_pk_fma_f32 v[104:105], v[98:99], v[88:89], v[102:103] op_sel:[0,0,1] op_sel_hi:[1,1,0] neg_lo:[0,0,1] neg_hi:[0,0,1]
	v_pk_fma_f32 v[98:99], v[98:99], v[88:89], v[102:103] op_sel:[0,0,1] op_sel_hi:[1,0,0]
	v_mov_b32_e32 v105, v99
	v_pk_mul_f32 v[98:99], v[100:101], v[90:91] op_sel:[0,1]
	s_delay_alu instid0(VALU_DEP_1) | instskip(SKIP_1) | instid1(VALU_DEP_1)
	v_pk_fma_f32 v[102:103], v[100:101], v[88:89], v[98:99] op_sel:[0,0,1] op_sel_hi:[1,1,0] neg_lo:[0,0,1] neg_hi:[0,0,1]
	v_pk_fma_f32 v[98:99], v[100:101], v[88:89], v[98:99] op_sel:[0,0,1] op_sel_hi:[1,0,0]
	v_mov_b32_e32 v103, v99
	ds_load_2addr_b64 v[98:101], v92 offset0:30 offset1:31
	v_pk_add_f32 v[42:43], v[42:43], v[104:105] neg_lo:[0,1] neg_hi:[0,1]
	v_pk_add_f32 v[38:39], v[38:39], v[102:103] neg_lo:[0,1] neg_hi:[0,1]
	s_wait_dscnt 0x0
	v_dual_mul_f32 v102, v99, v91 :: v_dual_mul_f32 v104, v99, v88
	s_delay_alu instid0(VALU_DEP_1) | instskip(NEXT) | instid1(VALU_DEP_2)
	v_pk_fma_f32 v[102:103], v[98:99], v[82:83], v[102:103] op_sel_hi:[1,1,0] neg_lo:[0,0,1] neg_hi:[0,0,1]
	v_pk_fma_f32 v[98:99], v[98:99], v[82:83], v[104:105] op_sel:[1,0,0] op_sel_hi:[0,1,0]
	s_delay_alu instid0(VALU_DEP_1) | instskip(SKIP_1) | instid1(VALU_DEP_2)
	v_mov_b32_e32 v103, v99
	v_pk_mul_f32 v[98:99], v[100:101], v[90:91] op_sel:[0,1]
	v_pk_add_f32 v[40:41], v[40:41], v[102:103] neg_lo:[0,1] neg_hi:[0,1]
	s_delay_alu instid0(VALU_DEP_2) | instskip(SKIP_1) | instid1(VALU_DEP_1)
	v_pk_fma_f32 v[102:103], v[100:101], v[88:89], v[98:99] op_sel:[0,0,1] op_sel_hi:[1,1,0] neg_lo:[0,0,1] neg_hi:[0,0,1]
	v_pk_fma_f32 v[98:99], v[100:101], v[88:89], v[98:99] op_sel:[0,0,1] op_sel_hi:[1,0,0]
	v_mov_b32_e32 v103, v99
	ds_load_2addr_b64 v[98:101], v92 offset0:32 offset1:33
	v_pk_add_f32 v[36:37], v[36:37], v[102:103] neg_lo:[0,1] neg_hi:[0,1]
	s_wait_dscnt 0x0
	v_pk_mul_f32 v[102:103], v[98:99], v[90:91] op_sel:[0,1]
	s_delay_alu instid0(VALU_DEP_1) | instskip(SKIP_1) | instid1(VALU_DEP_1)
	v_pk_fma_f32 v[104:105], v[98:99], v[88:89], v[102:103] op_sel:[0,0,1] op_sel_hi:[1,1,0] neg_lo:[0,0,1] neg_hi:[0,0,1]
	v_pk_fma_f32 v[98:99], v[98:99], v[88:89], v[102:103] op_sel:[0,0,1] op_sel_hi:[1,0,0]
	v_mov_b32_e32 v105, v99
	v_pk_mul_f32 v[98:99], v[100:101], v[90:91] op_sel:[0,1]
	s_delay_alu instid0(VALU_DEP_2) | instskip(NEXT) | instid1(VALU_DEP_2)
	v_pk_add_f32 v[14:15], v[14:15], v[104:105] neg_lo:[0,1] neg_hi:[0,1]
	v_pk_fma_f32 v[102:103], v[100:101], v[88:89], v[98:99] op_sel:[0,0,1] op_sel_hi:[1,1,0] neg_lo:[0,0,1] neg_hi:[0,0,1]
	v_pk_fma_f32 v[98:99], v[100:101], v[88:89], v[98:99] op_sel:[0,0,1] op_sel_hi:[1,0,0]
	s_delay_alu instid0(VALU_DEP_1) | instskip(SKIP_4) | instid1(VALU_DEP_1)
	v_mov_b32_e32 v103, v99
	ds_load_2addr_b64 v[98:101], v92 offset0:34 offset1:35
	v_pk_add_f32 v[10:11], v[10:11], v[102:103] neg_lo:[0,1] neg_hi:[0,1]
	s_wait_dscnt 0x0
	v_pk_mul_f32 v[102:103], v[98:99], v[90:91] op_sel:[0,1]
	v_pk_fma_f32 v[104:105], v[98:99], v[88:89], v[102:103] op_sel:[0,0,1] op_sel_hi:[1,1,0] neg_lo:[0,0,1] neg_hi:[0,0,1]
	v_pk_fma_f32 v[98:99], v[98:99], v[88:89], v[102:103] op_sel:[0,0,1] op_sel_hi:[1,0,0]
	v_dual_mul_f32 v102, v101, v91 :: v_dual_mov_b32 v98, v101
	s_delay_alu instid0(VALU_DEP_2) | instskip(NEXT) | instid1(VALU_DEP_2)
	v_dual_mov_b32 v105, v99 :: v_dual_mov_b32 v99, v100
	v_pk_fma_f32 v[102:103], v[100:101], v[82:83], v[102:103] op_sel_hi:[1,1,0] neg_lo:[0,0,1] neg_hi:[0,0,1]
	v_mul_f32_e32 v100, v101, v88
	s_delay_alu instid0(VALU_DEP_3) | instskip(NEXT) | instid1(VALU_DEP_2)
	v_pk_add_f32 v[12:13], v[12:13], v[104:105] neg_lo:[0,1] neg_hi:[0,1]
	v_pk_fma_f32 v[98:99], v[98:99], v[82:83], v[100:101] op_sel_hi:[1,1,0]
	s_delay_alu instid0(VALU_DEP_1) | instskip(SKIP_4) | instid1(VALU_DEP_1)
	v_mov_b32_e32 v103, v99
	ds_load_2addr_b64 v[98:101], v92 offset0:36 offset1:37
	v_pk_add_f32 v[8:9], v[8:9], v[102:103] neg_lo:[0,1] neg_hi:[0,1]
	s_wait_dscnt 0x0
	v_pk_mul_f32 v[102:103], v[98:99], v[90:91] op_sel:[0,1]
	v_pk_fma_f32 v[104:105], v[98:99], v[88:89], v[102:103] op_sel:[0,0,1] op_sel_hi:[1,1,0] neg_lo:[0,0,1] neg_hi:[0,0,1]
	v_pk_fma_f32 v[98:99], v[98:99], v[88:89], v[102:103] op_sel:[0,0,1] op_sel_hi:[1,0,0]
	s_delay_alu instid0(VALU_DEP_1) | instskip(SKIP_1) | instid1(VALU_DEP_1)
	v_mov_b32_e32 v105, v99
	v_pk_mul_f32 v[98:99], v[100:101], v[90:91] op_sel:[0,1]
	v_pk_fma_f32 v[102:103], v[100:101], v[88:89], v[98:99] op_sel:[0,0,1] op_sel_hi:[1,1,0] neg_lo:[0,0,1] neg_hi:[0,0,1]
	v_pk_fma_f32 v[98:99], v[100:101], v[88:89], v[98:99] op_sel:[0,0,1] op_sel_hi:[1,0,0]
	s_delay_alu instid0(VALU_DEP_1)
	v_mov_b32_e32 v103, v99
	ds_load_2addr_b64 v[98:101], v92 offset0:38 offset1:39
	v_pk_add_f32 v[6:7], v[6:7], v[104:105] neg_lo:[0,1] neg_hi:[0,1]
	v_pk_add_f32 v[44:45], v[44:45], v[102:103] neg_lo:[0,1] neg_hi:[0,1]
	s_wait_dscnt 0x0
	v_pk_mul_f32 v[102:103], v[98:99], v[90:91] op_sel:[0,1]
	s_delay_alu instid0(VALU_DEP_1) | instskip(SKIP_1) | instid1(VALU_DEP_1)
	v_pk_fma_f32 v[104:105], v[98:99], v[88:89], v[102:103] op_sel:[0,0,1] op_sel_hi:[1,1,0] neg_lo:[0,0,1] neg_hi:[0,0,1]
	v_pk_fma_f32 v[98:99], v[98:99], v[88:89], v[102:103] op_sel:[0,0,1] op_sel_hi:[1,0,0]
	v_mov_b32_e32 v105, v99
	v_pk_mul_f32 v[98:99], v[100:101], v[90:91] op_sel:[0,1]
	s_delay_alu instid0(VALU_DEP_1) | instskip(SKIP_1) | instid1(VALU_DEP_1)
	v_pk_fma_f32 v[102:103], v[100:101], v[88:89], v[98:99] op_sel:[0,0,1] op_sel_hi:[1,1,0] neg_lo:[0,0,1] neg_hi:[0,0,1]
	v_pk_fma_f32 v[98:99], v[100:101], v[88:89], v[98:99] op_sel:[0,0,1] op_sel_hi:[1,0,0]
	v_mov_b32_e32 v103, v99
	ds_load_b64 v[98:99], v92 offset:320
	v_pk_add_f32 v[22:23], v[22:23], v[104:105] neg_lo:[0,1] neg_hi:[0,1]
	v_pk_add_f32 v[16:17], v[16:17], v[102:103] neg_lo:[0,1] neg_hi:[0,1]
	s_wait_dscnt 0x0
	v_pk_mul_f32 v[90:91], v[98:99], v[90:91] op_sel:[0,1]
	s_delay_alu instid0(VALU_DEP_1) | instskip(SKIP_1) | instid1(VALU_DEP_1)
	v_pk_fma_f32 v[100:101], v[98:99], v[88:89], v[90:91] op_sel:[0,0,1] op_sel_hi:[1,1,0] neg_lo:[0,0,1] neg_hi:[0,0,1]
	v_pk_fma_f32 v[88:89], v[98:99], v[88:89], v[90:91] op_sel:[0,0,1] op_sel_hi:[1,0,0]
	v_mov_b32_e32 v101, v89
	s_delay_alu instid0(VALU_DEP_1)
	v_pk_add_f32 v[86:87], v[86:87], v[100:101] neg_lo:[0,1] neg_hi:[0,1]
.LBB80_41:
	s_or_b32 exec_lo, exec_lo, s0
	v_lshl_add_u32 v88, v96, 3, v92
	s_barrier_signal -1
	s_barrier_wait -1
	ds_store_b64 v88, v[80:81]
	s_wait_dscnt 0x0
	s_barrier_signal -1
	s_barrier_wait -1
	ds_load_b64 v[90:91], v92 offset:16
	v_mov_b32_e32 v88, 2
	s_cmp_lt_i32 s18, 4
	s_mov_b32 s0, 3
	s_cbranch_scc1 .LBB80_44
; %bb.42:
	v_add3_u32 v89, v93, 0, 24
	v_mov_b32_e32 v88, 2
.LBB80_43:                              ; =>This Inner Loop Header: Depth=1
	ds_load_b64 v[98:99], v89
	s_wait_dscnt 0x1
	v_cmp_gt_f32_e32 vcc_lo, 0, v90
	v_cndmask_b32_e64 v100, v90, -v90, vcc_lo
	v_cmp_gt_f32_e32 vcc_lo, 0, v91
	v_cndmask_b32_e64 v102, v91, -v91, vcc_lo
	s_wait_dscnt 0x0
	v_cmp_gt_f32_e32 vcc_lo, 0, v98
	v_cndmask_b32_e64 v101, v98, -v98, vcc_lo
	v_cmp_gt_f32_e32 vcc_lo, 0, v99
	v_cndmask_b32_e64 v103, v99, -v99, vcc_lo
	s_delay_alu instid0(VALU_DEP_1) | instskip(NEXT) | instid1(VALU_DEP_1)
	v_pk_add_f32 v[100:101], v[100:101], v[102:103]
	v_cmp_lt_f32_e32 vcc_lo, v100, v101
	v_dual_add_nc_u32 v89, 8, v89 :: v_dual_cndmask_b32 v91, v91, v99, vcc_lo
	v_cndmask_b32_e32 v90, v90, v98, vcc_lo
	v_cndmask_b32_e64 v88, v88, s0, vcc_lo
	s_add_co_i32 s0, s0, 1
	s_delay_alu instid0(SALU_CYCLE_1)
	s_cmp_lg_u32 s18, s0
	s_cbranch_scc1 .LBB80_43
.LBB80_44:
	s_wait_dscnt 0x0
	v_cmp_eq_f32_e32 vcc_lo, 0, v90
	v_cmp_eq_f32_e64 s0, 0, v91
	s_and_b32 s0, vcc_lo, s0
	s_delay_alu instid0(SALU_CYCLE_1) | instskip(NEXT) | instid1(SALU_CYCLE_1)
	s_and_saveexec_b32 s1, s0
	s_xor_b32 s0, exec_lo, s1
; %bb.45:
	v_cmp_ne_u32_e32 vcc_lo, 0, v94
	v_cndmask_b32_e32 v94, 3, v94, vcc_lo
; %bb.46:
	s_and_not1_saveexec_b32 s0, s0
	s_cbranch_execz .LBB80_52
; %bb.47:
	v_cmp_ngt_f32_e64 s1, |v90|, |v91|
	s_and_saveexec_b32 s12, s1
	s_delay_alu instid0(SALU_CYCLE_1)
	s_xor_b32 s1, exec_lo, s12
	s_cbranch_execz .LBB80_49
; %bb.48:
	v_div_scale_f32 v89, null, v91, v91, v90
	v_div_scale_f32 v99, vcc_lo, v90, v91, v90
	s_delay_alu instid0(VALU_DEP_2) | instskip(SKIP_1) | instid1(TRANS32_DEP_1)
	v_rcp_f32_e32 v97, v89
	v_nop
	v_fma_f32 v98, -v89, v97, 1.0
	s_delay_alu instid0(VALU_DEP_1) | instskip(NEXT) | instid1(VALU_DEP_1)
	v_fmac_f32_e32 v97, v98, v97
	v_mul_f32_e32 v98, v99, v97
	s_delay_alu instid0(VALU_DEP_1) | instskip(NEXT) | instid1(VALU_DEP_1)
	v_fma_f32 v100, -v89, v98, v99
	v_fmac_f32_e32 v98, v100, v97
	s_delay_alu instid0(VALU_DEP_1) | instskip(NEXT) | instid1(VALU_DEP_1)
	v_fma_f32 v89, -v89, v98, v99
	v_div_fmas_f32 v89, v89, v97, v98
	s_delay_alu instid0(VALU_DEP_1) | instskip(NEXT) | instid1(VALU_DEP_1)
	v_div_fixup_f32 v89, v89, v91, v90
	v_fmac_f32_e32 v91, v90, v89
	s_delay_alu instid0(VALU_DEP_1) | instskip(SKIP_1) | instid1(VALU_DEP_2)
	v_div_scale_f32 v90, null, v91, v91, 1.0
	v_div_scale_f32 v99, vcc_lo, 1.0, v91, 1.0
	v_rcp_f32_e32 v97, v90
	v_nop
	s_delay_alu instid0(TRANS32_DEP_1) | instskip(NEXT) | instid1(VALU_DEP_1)
	v_fma_f32 v98, -v90, v97, 1.0
	v_fmac_f32_e32 v97, v98, v97
	s_delay_alu instid0(VALU_DEP_1) | instskip(NEXT) | instid1(VALU_DEP_1)
	v_mul_f32_e32 v98, v99, v97
	v_fma_f32 v100, -v90, v98, v99
	s_delay_alu instid0(VALU_DEP_1) | instskip(NEXT) | instid1(VALU_DEP_1)
	v_fmac_f32_e32 v98, v100, v97
	v_fma_f32 v90, -v90, v98, v99
	s_delay_alu instid0(VALU_DEP_1) | instskip(NEXT) | instid1(VALU_DEP_1)
	v_div_fmas_f32 v90, v90, v97, v98
	v_div_fixup_f32 v91, v90, v91, 1.0
	s_delay_alu instid0(VALU_DEP_1)
	v_mul_f32_e32 v90, v89, v91
	v_xor_b32_e32 v91, 0x80000000, v91
.LBB80_49:
	s_and_not1_saveexec_b32 s1, s1
	s_cbranch_execz .LBB80_51
; %bb.50:
	s_delay_alu instid0(VALU_DEP_1) | instskip(SKIP_1) | instid1(VALU_DEP_2)
	v_div_scale_f32 v89, null, v90, v90, v91
	v_div_scale_f32 v99, vcc_lo, v91, v90, v91
	v_rcp_f32_e32 v97, v89
	v_nop
	s_delay_alu instid0(TRANS32_DEP_1) | instskip(NEXT) | instid1(VALU_DEP_1)
	v_fma_f32 v98, -v89, v97, 1.0
	v_fmac_f32_e32 v97, v98, v97
	s_delay_alu instid0(VALU_DEP_1) | instskip(NEXT) | instid1(VALU_DEP_1)
	v_mul_f32_e32 v98, v99, v97
	v_fma_f32 v100, -v89, v98, v99
	s_delay_alu instid0(VALU_DEP_1) | instskip(NEXT) | instid1(VALU_DEP_1)
	v_fmac_f32_e32 v98, v100, v97
	v_fma_f32 v89, -v89, v98, v99
	s_delay_alu instid0(VALU_DEP_1) | instskip(NEXT) | instid1(VALU_DEP_1)
	v_div_fmas_f32 v89, v89, v97, v98
	v_div_fixup_f32 v89, v89, v90, v91
	s_delay_alu instid0(VALU_DEP_1) | instskip(NEXT) | instid1(VALU_DEP_1)
	v_fmac_f32_e32 v90, v91, v89
	v_div_scale_f32 v91, null, v90, v90, 1.0
	s_delay_alu instid0(VALU_DEP_1) | instskip(SKIP_1) | instid1(TRANS32_DEP_1)
	v_rcp_f32_e32 v97, v91
	v_nop
	v_fma_f32 v98, -v91, v97, 1.0
	s_delay_alu instid0(VALU_DEP_1) | instskip(SKIP_1) | instid1(VALU_DEP_1)
	v_fmac_f32_e32 v97, v98, v97
	v_div_scale_f32 v98, vcc_lo, 1.0, v90, 1.0
	v_mul_f32_e32 v99, v98, v97
	s_delay_alu instid0(VALU_DEP_1) | instskip(NEXT) | instid1(VALU_DEP_1)
	v_fma_f32 v100, -v91, v99, v98
	v_fmac_f32_e32 v99, v100, v97
	s_delay_alu instid0(VALU_DEP_1) | instskip(NEXT) | instid1(VALU_DEP_1)
	v_fma_f32 v91, -v91, v99, v98
	v_div_fmas_f32 v91, v91, v97, v99
	s_delay_alu instid0(VALU_DEP_1) | instskip(NEXT) | instid1(VALU_DEP_1)
	v_div_fixup_f32 v90, v91, v90, 1.0
	v_mul_f32_e64 v91, v89, -v90
.LBB80_51:
	s_or_b32 exec_lo, exec_lo, s1
.LBB80_52:
	s_delay_alu instid0(SALU_CYCLE_1) | instskip(NEXT) | instid1(SALU_CYCLE_1)
	s_or_b32 exec_lo, exec_lo, s0
	s_mov_b32 s0, exec_lo
	v_cmpx_ne_u32_e64 v96, v88
	s_xor_b32 s0, exec_lo, s0
	s_cbranch_execz .LBB80_58
; %bb.53:
	s_mov_b32 s1, exec_lo
	v_cmpx_eq_u32_e32 2, v96
	s_cbranch_execz .LBB80_57
; %bb.54:
	v_cmp_ne_u32_e32 vcc_lo, 2, v88
	s_xor_b32 s12, s16, -1
	s_delay_alu instid0(SALU_CYCLE_1) | instskip(NEXT) | instid1(SALU_CYCLE_1)
	s_and_b32 s13, s12, vcc_lo
	s_and_saveexec_b32 s12, s13
	s_cbranch_execz .LBB80_56
; %bb.55:
	v_ashrrev_i32_e32 v89, 31, v88
	s_delay_alu instid0(VALU_DEP_1)
	v_lshl_add_u64 v[96:97], v[88:89], 2, v[4:5]
	s_clause 0x1
	global_load_b32 v89, v[96:97], off
	global_load_b32 v95, v[4:5], off offset:8
	s_wait_loadcnt 0x1
	global_store_b32 v[4:5], v89, off offset:8
	s_wait_loadcnt 0x0
	global_store_b32 v[96:97], v95, off
.LBB80_56:
	s_wait_xcnt 0x0
	s_or_b32 exec_lo, exec_lo, s12
	v_dual_mov_b32 v96, v88 :: v_dual_mov_b32 v95, v88
.LBB80_57:
	s_or_b32 exec_lo, exec_lo, s1
.LBB80_58:
	s_and_not1_saveexec_b32 s0, s0
	s_cbranch_execz .LBB80_60
; %bb.59:
	v_mov_b32_e32 v96, 2
	ds_store_2addr_b64 v92, v[78:79], v[26:27] offset0:3 offset1:4
	ds_store_2addr_b64 v92, v[20:21], v[24:25] offset0:5 offset1:6
	;; [unrolled: 1-line block ×19, first 2 shown]
.LBB80_60:
	s_or_b32 exec_lo, exec_lo, s0
	s_delay_alu instid0(SALU_CYCLE_1)
	s_mov_b32 s0, exec_lo
	s_wait_storecnt_dscnt 0x0
	s_barrier_signal -1
	s_barrier_wait -1
	v_cmpx_lt_i32_e32 2, v96
	s_cbranch_execz .LBB80_62
; %bb.61:
	v_pk_mul_f32 v[98:99], v[90:91], v[80:81] op_sel:[1,1] op_sel_hi:[0,1]
	s_delay_alu instid0(VALU_DEP_1)
	v_pk_fma_f32 v[88:89], v[90:91], v[80:81], v[98:99] op_sel_hi:[1,0,1] neg_lo:[0,0,1] neg_hi:[0,0,1]
	v_pk_fma_f32 v[90:91], v[90:91], v[80:81], v[98:99] op_sel_hi:[1,0,1]
	ds_load_2addr_b64 v[98:101], v92 offset0:3 offset1:4
	v_dual_mov_b32 v80, v88 :: v_dual_mov_b32 v81, v91
	s_wait_dscnt 0x0
	v_pk_mul_f32 v[102:103], v[98:99], v[90:91] op_sel:[0,1]
	s_delay_alu instid0(VALU_DEP_1) | instskip(SKIP_1) | instid1(VALU_DEP_1)
	v_pk_fma_f32 v[104:105], v[98:99], v[88:89], v[102:103] op_sel:[0,0,1] op_sel_hi:[1,1,0] neg_lo:[0,0,1] neg_hi:[0,0,1]
	v_pk_fma_f32 v[98:99], v[98:99], v[88:89], v[102:103] op_sel:[0,0,1] op_sel_hi:[1,0,0]
	v_mov_b32_e32 v105, v99
	v_pk_mul_f32 v[98:99], v[100:101], v[90:91] op_sel:[0,1]
	s_delay_alu instid0(VALU_DEP_1) | instskip(SKIP_1) | instid1(VALU_DEP_1)
	v_pk_fma_f32 v[102:103], v[100:101], v[88:89], v[98:99] op_sel:[0,0,1] op_sel_hi:[1,1,0] neg_lo:[0,0,1] neg_hi:[0,0,1]
	v_pk_fma_f32 v[98:99], v[100:101], v[88:89], v[98:99] op_sel:[0,0,1] op_sel_hi:[1,0,0]
	v_mov_b32_e32 v103, v99
	ds_load_2addr_b64 v[98:101], v92 offset0:5 offset1:6
	v_pk_add_f32 v[78:79], v[78:79], v[104:105] neg_lo:[0,1] neg_hi:[0,1]
	v_pk_add_f32 v[26:27], v[26:27], v[102:103] neg_lo:[0,1] neg_hi:[0,1]
	s_wait_dscnt 0x0
	v_pk_mul_f32 v[102:103], v[98:99], v[90:91] op_sel:[0,1]
	s_delay_alu instid0(VALU_DEP_1) | instskip(SKIP_2) | instid1(VALU_DEP_2)
	v_pk_fma_f32 v[104:105], v[98:99], v[88:89], v[102:103] op_sel:[0,0,1] op_sel_hi:[1,1,0] neg_lo:[0,0,1] neg_hi:[0,0,1]
	v_pk_fma_f32 v[98:99], v[98:99], v[88:89], v[102:103] op_sel:[0,0,1] op_sel_hi:[1,0,0]
	v_dual_mul_f32 v102, v101, v91 :: v_dual_mov_b32 v98, v101
	v_dual_mov_b32 v105, v99 :: v_dual_mov_b32 v99, v100
	s_delay_alu instid0(VALU_DEP_2) | instskip(SKIP_1) | instid1(VALU_DEP_3)
	v_pk_fma_f32 v[102:103], v[100:101], v[80:81], v[102:103] op_sel_hi:[1,1,0] neg_lo:[0,0,1] neg_hi:[0,0,1]
	v_mul_f32_e32 v100, v101, v88
	v_pk_add_f32 v[20:21], v[20:21], v[104:105] neg_lo:[0,1] neg_hi:[0,1]
	s_delay_alu instid0(VALU_DEP_2) | instskip(NEXT) | instid1(VALU_DEP_1)
	v_pk_fma_f32 v[98:99], v[98:99], v[80:81], v[100:101] op_sel_hi:[1,1,0]
	v_mov_b32_e32 v103, v99
	ds_load_2addr_b64 v[98:101], v92 offset0:7 offset1:8
	v_pk_add_f32 v[24:25], v[24:25], v[102:103] neg_lo:[0,1] neg_hi:[0,1]
	s_wait_dscnt 0x0
	v_pk_mul_f32 v[102:103], v[98:99], v[90:91] op_sel:[0,1]
	s_delay_alu instid0(VALU_DEP_1) | instskip(SKIP_1) | instid1(VALU_DEP_1)
	v_pk_fma_f32 v[104:105], v[98:99], v[88:89], v[102:103] op_sel:[0,0,1] op_sel_hi:[1,1,0] neg_lo:[0,0,1] neg_hi:[0,0,1]
	v_pk_fma_f32 v[98:99], v[98:99], v[88:89], v[102:103] op_sel:[0,0,1] op_sel_hi:[1,0,0]
	v_mov_b32_e32 v105, v99
	v_pk_mul_f32 v[98:99], v[100:101], v[90:91] op_sel:[0,1]
	s_delay_alu instid0(VALU_DEP_1) | instskip(SKIP_1) | instid1(VALU_DEP_1)
	v_pk_fma_f32 v[102:103], v[100:101], v[88:89], v[98:99] op_sel:[0,0,1] op_sel_hi:[1,1,0] neg_lo:[0,0,1] neg_hi:[0,0,1]
	v_pk_fma_f32 v[98:99], v[100:101], v[88:89], v[98:99] op_sel:[0,0,1] op_sel_hi:[1,0,0]
	v_mov_b32_e32 v103, v99
	ds_load_2addr_b64 v[98:101], v92 offset0:9 offset1:10
	v_pk_add_f32 v[18:19], v[18:19], v[104:105] neg_lo:[0,1] neg_hi:[0,1]
	v_pk_add_f32 v[34:35], v[34:35], v[102:103] neg_lo:[0,1] neg_hi:[0,1]
	s_wait_dscnt 0x0
	v_pk_mul_f32 v[102:103], v[98:99], v[90:91] op_sel:[0,1]
	s_delay_alu instid0(VALU_DEP_1) | instskip(SKIP_1) | instid1(VALU_DEP_1)
	v_pk_fma_f32 v[104:105], v[98:99], v[88:89], v[102:103] op_sel:[0,0,1] op_sel_hi:[1,1,0] neg_lo:[0,0,1] neg_hi:[0,0,1]
	v_pk_fma_f32 v[98:99], v[98:99], v[88:89], v[102:103] op_sel:[0,0,1] op_sel_hi:[1,0,0]
	v_mov_b32_e32 v105, v99
	v_pk_mul_f32 v[98:99], v[100:101], v[90:91] op_sel:[0,1]
	s_delay_alu instid0(VALU_DEP_1) | instskip(SKIP_1) | instid1(VALU_DEP_1)
	v_pk_fma_f32 v[102:103], v[100:101], v[88:89], v[98:99] op_sel:[0,0,1] op_sel_hi:[1,1,0] neg_lo:[0,0,1] neg_hi:[0,0,1]
	v_pk_fma_f32 v[98:99], v[100:101], v[88:89], v[98:99] op_sel:[0,0,1] op_sel_hi:[1,0,0]
	v_mov_b32_e32 v103, v99
	ds_load_2addr_b64 v[98:101], v92 offset0:11 offset1:12
	v_pk_add_f32 v[30:31], v[30:31], v[104:105] neg_lo:[0,1] neg_hi:[0,1]
	v_pk_add_f32 v[32:33], v[32:33], v[102:103] neg_lo:[0,1] neg_hi:[0,1]
	s_wait_dscnt 0x0
	v_dual_mul_f32 v102, v99, v91 :: v_dual_mul_f32 v104, v99, v88
	s_delay_alu instid0(VALU_DEP_1) | instskip(NEXT) | instid1(VALU_DEP_2)
	v_pk_fma_f32 v[102:103], v[98:99], v[80:81], v[102:103] op_sel_hi:[1,1,0] neg_lo:[0,0,1] neg_hi:[0,0,1]
	v_pk_fma_f32 v[98:99], v[98:99], v[80:81], v[104:105] op_sel:[1,0,0] op_sel_hi:[0,1,0]
	s_delay_alu instid0(VALU_DEP_1) | instskip(SKIP_1) | instid1(VALU_DEP_2)
	v_mov_b32_e32 v103, v99
	v_pk_mul_f32 v[98:99], v[100:101], v[90:91] op_sel:[0,1]
	v_pk_add_f32 v[28:29], v[28:29], v[102:103] neg_lo:[0,1] neg_hi:[0,1]
	s_delay_alu instid0(VALU_DEP_2) | instskip(SKIP_1) | instid1(VALU_DEP_1)
	v_pk_fma_f32 v[102:103], v[100:101], v[88:89], v[98:99] op_sel:[0,0,1] op_sel_hi:[1,1,0] neg_lo:[0,0,1] neg_hi:[0,0,1]
	v_pk_fma_f32 v[98:99], v[100:101], v[88:89], v[98:99] op_sel:[0,0,1] op_sel_hi:[1,0,0]
	v_mov_b32_e32 v103, v99
	ds_load_2addr_b64 v[98:101], v92 offset0:13 offset1:14
	v_pk_add_f32 v[76:77], v[76:77], v[102:103] neg_lo:[0,1] neg_hi:[0,1]
	s_wait_dscnt 0x0
	v_pk_mul_f32 v[102:103], v[98:99], v[90:91] op_sel:[0,1]
	s_delay_alu instid0(VALU_DEP_1) | instskip(SKIP_1) | instid1(VALU_DEP_1)
	v_pk_fma_f32 v[104:105], v[98:99], v[88:89], v[102:103] op_sel:[0,0,1] op_sel_hi:[1,1,0] neg_lo:[0,0,1] neg_hi:[0,0,1]
	v_pk_fma_f32 v[98:99], v[98:99], v[88:89], v[102:103] op_sel:[0,0,1] op_sel_hi:[1,0,0]
	v_mov_b32_e32 v105, v99
	v_pk_mul_f32 v[98:99], v[100:101], v[90:91] op_sel:[0,1]
	s_delay_alu instid0(VALU_DEP_2) | instskip(NEXT) | instid1(VALU_DEP_2)
	v_pk_add_f32 v[72:73], v[72:73], v[104:105] neg_lo:[0,1] neg_hi:[0,1]
	v_pk_fma_f32 v[102:103], v[100:101], v[88:89], v[98:99] op_sel:[0,0,1] op_sel_hi:[1,1,0] neg_lo:[0,0,1] neg_hi:[0,0,1]
	v_pk_fma_f32 v[98:99], v[100:101], v[88:89], v[98:99] op_sel:[0,0,1] op_sel_hi:[1,0,0]
	s_delay_alu instid0(VALU_DEP_1) | instskip(SKIP_4) | instid1(VALU_DEP_1)
	v_mov_b32_e32 v103, v99
	ds_load_2addr_b64 v[98:101], v92 offset0:15 offset1:16
	v_pk_add_f32 v[74:75], v[74:75], v[102:103] neg_lo:[0,1] neg_hi:[0,1]
	s_wait_dscnt 0x0
	v_pk_mul_f32 v[102:103], v[98:99], v[90:91] op_sel:[0,1]
	v_pk_fma_f32 v[104:105], v[98:99], v[88:89], v[102:103] op_sel:[0,0,1] op_sel_hi:[1,1,0] neg_lo:[0,0,1] neg_hi:[0,0,1]
	v_pk_fma_f32 v[98:99], v[98:99], v[88:89], v[102:103] op_sel:[0,0,1] op_sel_hi:[1,0,0]
	v_dual_mul_f32 v102, v101, v91 :: v_dual_mov_b32 v98, v101
	s_delay_alu instid0(VALU_DEP_2) | instskip(NEXT) | instid1(VALU_DEP_2)
	v_dual_mov_b32 v105, v99 :: v_dual_mov_b32 v99, v100
	v_pk_fma_f32 v[102:103], v[100:101], v[80:81], v[102:103] op_sel_hi:[1,1,0] neg_lo:[0,0,1] neg_hi:[0,0,1]
	v_mul_f32_e32 v100, v101, v88
	s_delay_alu instid0(VALU_DEP_3) | instskip(NEXT) | instid1(VALU_DEP_2)
	v_pk_add_f32 v[70:71], v[70:71], v[104:105] neg_lo:[0,1] neg_hi:[0,1]
	v_pk_fma_f32 v[98:99], v[98:99], v[80:81], v[100:101] op_sel_hi:[1,1,0]
	s_delay_alu instid0(VALU_DEP_1) | instskip(SKIP_4) | instid1(VALU_DEP_1)
	v_mov_b32_e32 v103, v99
	ds_load_2addr_b64 v[98:101], v92 offset0:17 offset1:18
	v_pk_add_f32 v[68:69], v[68:69], v[102:103] neg_lo:[0,1] neg_hi:[0,1]
	s_wait_dscnt 0x0
	v_pk_mul_f32 v[102:103], v[98:99], v[90:91] op_sel:[0,1]
	v_pk_fma_f32 v[104:105], v[98:99], v[88:89], v[102:103] op_sel:[0,0,1] op_sel_hi:[1,1,0] neg_lo:[0,0,1] neg_hi:[0,0,1]
	v_pk_fma_f32 v[98:99], v[98:99], v[88:89], v[102:103] op_sel:[0,0,1] op_sel_hi:[1,0,0]
	s_delay_alu instid0(VALU_DEP_1) | instskip(SKIP_1) | instid1(VALU_DEP_1)
	v_mov_b32_e32 v105, v99
	v_pk_mul_f32 v[98:99], v[100:101], v[90:91] op_sel:[0,1]
	v_pk_fma_f32 v[102:103], v[100:101], v[88:89], v[98:99] op_sel:[0,0,1] op_sel_hi:[1,1,0] neg_lo:[0,0,1] neg_hi:[0,0,1]
	v_pk_fma_f32 v[98:99], v[100:101], v[88:89], v[98:99] op_sel:[0,0,1] op_sel_hi:[1,0,0]
	s_delay_alu instid0(VALU_DEP_1)
	v_mov_b32_e32 v103, v99
	ds_load_2addr_b64 v[98:101], v92 offset0:19 offset1:20
	v_pk_add_f32 v[64:65], v[64:65], v[104:105] neg_lo:[0,1] neg_hi:[0,1]
	v_pk_add_f32 v[66:67], v[66:67], v[102:103] neg_lo:[0,1] neg_hi:[0,1]
	s_wait_dscnt 0x0
	v_pk_mul_f32 v[102:103], v[98:99], v[90:91] op_sel:[0,1]
	s_delay_alu instid0(VALU_DEP_1) | instskip(SKIP_1) | instid1(VALU_DEP_1)
	v_pk_fma_f32 v[104:105], v[98:99], v[88:89], v[102:103] op_sel:[0,0,1] op_sel_hi:[1,1,0] neg_lo:[0,0,1] neg_hi:[0,0,1]
	v_pk_fma_f32 v[98:99], v[98:99], v[88:89], v[102:103] op_sel:[0,0,1] op_sel_hi:[1,0,0]
	v_mov_b32_e32 v105, v99
	v_pk_mul_f32 v[98:99], v[100:101], v[90:91] op_sel:[0,1]
	s_delay_alu instid0(VALU_DEP_1) | instskip(SKIP_1) | instid1(VALU_DEP_1)
	v_pk_fma_f32 v[102:103], v[100:101], v[88:89], v[98:99] op_sel:[0,0,1] op_sel_hi:[1,1,0] neg_lo:[0,0,1] neg_hi:[0,0,1]
	v_pk_fma_f32 v[98:99], v[100:101], v[88:89], v[98:99] op_sel:[0,0,1] op_sel_hi:[1,0,0]
	v_mov_b32_e32 v103, v99
	ds_load_2addr_b64 v[98:101], v92 offset0:21 offset1:22
	v_pk_add_f32 v[62:63], v[62:63], v[104:105] neg_lo:[0,1] neg_hi:[0,1]
	v_pk_add_f32 v[60:61], v[60:61], v[102:103] neg_lo:[0,1] neg_hi:[0,1]
	s_wait_dscnt 0x0
	v_dual_mul_f32 v102, v99, v91 :: v_dual_mul_f32 v104, v99, v88
	s_delay_alu instid0(VALU_DEP_1) | instskip(NEXT) | instid1(VALU_DEP_2)
	v_pk_fma_f32 v[102:103], v[98:99], v[80:81], v[102:103] op_sel_hi:[1,1,0] neg_lo:[0,0,1] neg_hi:[0,0,1]
	v_pk_fma_f32 v[98:99], v[98:99], v[80:81], v[104:105] op_sel:[1,0,0] op_sel_hi:[0,1,0]
	s_delay_alu instid0(VALU_DEP_1) | instskip(SKIP_1) | instid1(VALU_DEP_2)
	v_mov_b32_e32 v103, v99
	v_pk_mul_f32 v[98:99], v[100:101], v[90:91] op_sel:[0,1]
	v_pk_add_f32 v[56:57], v[56:57], v[102:103] neg_lo:[0,1] neg_hi:[0,1]
	s_delay_alu instid0(VALU_DEP_2) | instskip(SKIP_1) | instid1(VALU_DEP_1)
	v_pk_fma_f32 v[102:103], v[100:101], v[88:89], v[98:99] op_sel:[0,0,1] op_sel_hi:[1,1,0] neg_lo:[0,0,1] neg_hi:[0,0,1]
	v_pk_fma_f32 v[98:99], v[100:101], v[88:89], v[98:99] op_sel:[0,0,1] op_sel_hi:[1,0,0]
	v_mov_b32_e32 v103, v99
	ds_load_2addr_b64 v[98:101], v92 offset0:23 offset1:24
	v_pk_add_f32 v[58:59], v[58:59], v[102:103] neg_lo:[0,1] neg_hi:[0,1]
	s_wait_dscnt 0x0
	v_pk_mul_f32 v[102:103], v[98:99], v[90:91] op_sel:[0,1]
	s_delay_alu instid0(VALU_DEP_1) | instskip(SKIP_1) | instid1(VALU_DEP_1)
	v_pk_fma_f32 v[104:105], v[98:99], v[88:89], v[102:103] op_sel:[0,0,1] op_sel_hi:[1,1,0] neg_lo:[0,0,1] neg_hi:[0,0,1]
	v_pk_fma_f32 v[98:99], v[98:99], v[88:89], v[102:103] op_sel:[0,0,1] op_sel_hi:[1,0,0]
	v_mov_b32_e32 v105, v99
	v_pk_mul_f32 v[98:99], v[100:101], v[90:91] op_sel:[0,1]
	s_delay_alu instid0(VALU_DEP_2) | instskip(NEXT) | instid1(VALU_DEP_2)
	v_pk_add_f32 v[54:55], v[54:55], v[104:105] neg_lo:[0,1] neg_hi:[0,1]
	v_pk_fma_f32 v[102:103], v[100:101], v[88:89], v[98:99] op_sel:[0,0,1] op_sel_hi:[1,1,0] neg_lo:[0,0,1] neg_hi:[0,0,1]
	v_pk_fma_f32 v[98:99], v[100:101], v[88:89], v[98:99] op_sel:[0,0,1] op_sel_hi:[1,0,0]
	s_delay_alu instid0(VALU_DEP_1) | instskip(SKIP_4) | instid1(VALU_DEP_1)
	v_mov_b32_e32 v103, v99
	ds_load_2addr_b64 v[98:101], v92 offset0:25 offset1:26
	v_pk_add_f32 v[52:53], v[52:53], v[102:103] neg_lo:[0,1] neg_hi:[0,1]
	s_wait_dscnt 0x0
	v_pk_mul_f32 v[102:103], v[98:99], v[90:91] op_sel:[0,1]
	v_pk_fma_f32 v[104:105], v[98:99], v[88:89], v[102:103] op_sel:[0,0,1] op_sel_hi:[1,1,0] neg_lo:[0,0,1] neg_hi:[0,0,1]
	v_pk_fma_f32 v[98:99], v[98:99], v[88:89], v[102:103] op_sel:[0,0,1] op_sel_hi:[1,0,0]
	v_dual_mul_f32 v102, v101, v91 :: v_dual_mov_b32 v98, v101
	s_delay_alu instid0(VALU_DEP_2) | instskip(NEXT) | instid1(VALU_DEP_2)
	v_dual_mov_b32 v105, v99 :: v_dual_mov_b32 v99, v100
	v_pk_fma_f32 v[102:103], v[100:101], v[80:81], v[102:103] op_sel_hi:[1,1,0] neg_lo:[0,0,1] neg_hi:[0,0,1]
	v_mul_f32_e32 v100, v101, v88
	s_delay_alu instid0(VALU_DEP_3) | instskip(NEXT) | instid1(VALU_DEP_2)
	v_pk_add_f32 v[48:49], v[48:49], v[104:105] neg_lo:[0,1] neg_hi:[0,1]
	v_pk_fma_f32 v[98:99], v[98:99], v[80:81], v[100:101] op_sel_hi:[1,1,0]
	s_delay_alu instid0(VALU_DEP_1) | instskip(SKIP_4) | instid1(VALU_DEP_1)
	v_mov_b32_e32 v103, v99
	ds_load_2addr_b64 v[98:101], v92 offset0:27 offset1:28
	v_pk_add_f32 v[50:51], v[50:51], v[102:103] neg_lo:[0,1] neg_hi:[0,1]
	s_wait_dscnt 0x0
	v_pk_mul_f32 v[102:103], v[98:99], v[90:91] op_sel:[0,1]
	v_pk_fma_f32 v[104:105], v[98:99], v[88:89], v[102:103] op_sel:[0,0,1] op_sel_hi:[1,1,0] neg_lo:[0,0,1] neg_hi:[0,0,1]
	v_pk_fma_f32 v[98:99], v[98:99], v[88:89], v[102:103] op_sel:[0,0,1] op_sel_hi:[1,0,0]
	s_delay_alu instid0(VALU_DEP_1) | instskip(SKIP_1) | instid1(VALU_DEP_1)
	v_mov_b32_e32 v105, v99
	v_pk_mul_f32 v[98:99], v[100:101], v[90:91] op_sel:[0,1]
	v_pk_fma_f32 v[102:103], v[100:101], v[88:89], v[98:99] op_sel:[0,0,1] op_sel_hi:[1,1,0] neg_lo:[0,0,1] neg_hi:[0,0,1]
	v_pk_fma_f32 v[98:99], v[100:101], v[88:89], v[98:99] op_sel:[0,0,1] op_sel_hi:[1,0,0]
	s_delay_alu instid0(VALU_DEP_1)
	v_mov_b32_e32 v103, v99
	ds_load_2addr_b64 v[98:101], v92 offset0:29 offset1:30
	v_pk_add_f32 v[46:47], v[46:47], v[104:105] neg_lo:[0,1] neg_hi:[0,1]
	v_pk_add_f32 v[42:43], v[42:43], v[102:103] neg_lo:[0,1] neg_hi:[0,1]
	s_wait_dscnt 0x0
	v_pk_mul_f32 v[102:103], v[98:99], v[90:91] op_sel:[0,1]
	s_delay_alu instid0(VALU_DEP_1) | instskip(SKIP_1) | instid1(VALU_DEP_1)
	v_pk_fma_f32 v[104:105], v[98:99], v[88:89], v[102:103] op_sel:[0,0,1] op_sel_hi:[1,1,0] neg_lo:[0,0,1] neg_hi:[0,0,1]
	v_pk_fma_f32 v[98:99], v[98:99], v[88:89], v[102:103] op_sel:[0,0,1] op_sel_hi:[1,0,0]
	v_mov_b32_e32 v105, v99
	v_pk_mul_f32 v[98:99], v[100:101], v[90:91] op_sel:[0,1]
	s_delay_alu instid0(VALU_DEP_1) | instskip(SKIP_1) | instid1(VALU_DEP_1)
	v_pk_fma_f32 v[102:103], v[100:101], v[88:89], v[98:99] op_sel:[0,0,1] op_sel_hi:[1,1,0] neg_lo:[0,0,1] neg_hi:[0,0,1]
	v_pk_fma_f32 v[98:99], v[100:101], v[88:89], v[98:99] op_sel:[0,0,1] op_sel_hi:[1,0,0]
	v_mov_b32_e32 v103, v99
	ds_load_2addr_b64 v[98:101], v92 offset0:31 offset1:32
	v_pk_add_f32 v[38:39], v[38:39], v[104:105] neg_lo:[0,1] neg_hi:[0,1]
	v_pk_add_f32 v[40:41], v[40:41], v[102:103] neg_lo:[0,1] neg_hi:[0,1]
	s_wait_dscnt 0x0
	v_dual_mul_f32 v102, v99, v91 :: v_dual_mul_f32 v104, v99, v88
	s_delay_alu instid0(VALU_DEP_1) | instskip(NEXT) | instid1(VALU_DEP_2)
	v_pk_fma_f32 v[102:103], v[98:99], v[80:81], v[102:103] op_sel_hi:[1,1,0] neg_lo:[0,0,1] neg_hi:[0,0,1]
	v_pk_fma_f32 v[98:99], v[98:99], v[80:81], v[104:105] op_sel:[1,0,0] op_sel_hi:[0,1,0]
	s_delay_alu instid0(VALU_DEP_1) | instskip(SKIP_1) | instid1(VALU_DEP_2)
	v_mov_b32_e32 v103, v99
	v_pk_mul_f32 v[98:99], v[100:101], v[90:91] op_sel:[0,1]
	v_pk_add_f32 v[36:37], v[36:37], v[102:103] neg_lo:[0,1] neg_hi:[0,1]
	s_delay_alu instid0(VALU_DEP_2) | instskip(SKIP_1) | instid1(VALU_DEP_1)
	v_pk_fma_f32 v[102:103], v[100:101], v[88:89], v[98:99] op_sel:[0,0,1] op_sel_hi:[1,1,0] neg_lo:[0,0,1] neg_hi:[0,0,1]
	v_pk_fma_f32 v[98:99], v[100:101], v[88:89], v[98:99] op_sel:[0,0,1] op_sel_hi:[1,0,0]
	v_mov_b32_e32 v103, v99
	ds_load_2addr_b64 v[98:101], v92 offset0:33 offset1:34
	v_pk_add_f32 v[14:15], v[14:15], v[102:103] neg_lo:[0,1] neg_hi:[0,1]
	s_wait_dscnt 0x0
	v_pk_mul_f32 v[102:103], v[98:99], v[90:91] op_sel:[0,1]
	s_delay_alu instid0(VALU_DEP_1) | instskip(SKIP_1) | instid1(VALU_DEP_1)
	v_pk_fma_f32 v[104:105], v[98:99], v[88:89], v[102:103] op_sel:[0,0,1] op_sel_hi:[1,1,0] neg_lo:[0,0,1] neg_hi:[0,0,1]
	v_pk_fma_f32 v[98:99], v[98:99], v[88:89], v[102:103] op_sel:[0,0,1] op_sel_hi:[1,0,0]
	v_mov_b32_e32 v105, v99
	v_pk_mul_f32 v[98:99], v[100:101], v[90:91] op_sel:[0,1]
	s_delay_alu instid0(VALU_DEP_2) | instskip(NEXT) | instid1(VALU_DEP_2)
	v_pk_add_f32 v[10:11], v[10:11], v[104:105] neg_lo:[0,1] neg_hi:[0,1]
	v_pk_fma_f32 v[102:103], v[100:101], v[88:89], v[98:99] op_sel:[0,0,1] op_sel_hi:[1,1,0] neg_lo:[0,0,1] neg_hi:[0,0,1]
	v_pk_fma_f32 v[98:99], v[100:101], v[88:89], v[98:99] op_sel:[0,0,1] op_sel_hi:[1,0,0]
	s_delay_alu instid0(VALU_DEP_1) | instskip(SKIP_4) | instid1(VALU_DEP_1)
	v_mov_b32_e32 v103, v99
	ds_load_2addr_b64 v[98:101], v92 offset0:35 offset1:36
	v_pk_add_f32 v[12:13], v[12:13], v[102:103] neg_lo:[0,1] neg_hi:[0,1]
	s_wait_dscnt 0x0
	v_pk_mul_f32 v[102:103], v[98:99], v[90:91] op_sel:[0,1]
	v_pk_fma_f32 v[104:105], v[98:99], v[88:89], v[102:103] op_sel:[0,0,1] op_sel_hi:[1,1,0] neg_lo:[0,0,1] neg_hi:[0,0,1]
	v_pk_fma_f32 v[98:99], v[98:99], v[88:89], v[102:103] op_sel:[0,0,1] op_sel_hi:[1,0,0]
	v_dual_mul_f32 v102, v101, v91 :: v_dual_mov_b32 v98, v101
	s_delay_alu instid0(VALU_DEP_2) | instskip(NEXT) | instid1(VALU_DEP_2)
	v_dual_mov_b32 v105, v99 :: v_dual_mov_b32 v99, v100
	v_pk_fma_f32 v[102:103], v[100:101], v[80:81], v[102:103] op_sel_hi:[1,1,0] neg_lo:[0,0,1] neg_hi:[0,0,1]
	v_mul_f32_e32 v100, v101, v88
	s_delay_alu instid0(VALU_DEP_3) | instskip(NEXT) | instid1(VALU_DEP_2)
	v_pk_add_f32 v[8:9], v[8:9], v[104:105] neg_lo:[0,1] neg_hi:[0,1]
	v_pk_fma_f32 v[98:99], v[98:99], v[80:81], v[100:101] op_sel_hi:[1,1,0]
	s_delay_alu instid0(VALU_DEP_1) | instskip(SKIP_4) | instid1(VALU_DEP_1)
	v_mov_b32_e32 v103, v99
	ds_load_2addr_b64 v[98:101], v92 offset0:37 offset1:38
	v_pk_add_f32 v[6:7], v[6:7], v[102:103] neg_lo:[0,1] neg_hi:[0,1]
	s_wait_dscnt 0x0
	v_pk_mul_f32 v[102:103], v[98:99], v[90:91] op_sel:[0,1]
	v_pk_fma_f32 v[104:105], v[98:99], v[88:89], v[102:103] op_sel:[0,0,1] op_sel_hi:[1,1,0] neg_lo:[0,0,1] neg_hi:[0,0,1]
	v_pk_fma_f32 v[98:99], v[98:99], v[88:89], v[102:103] op_sel:[0,0,1] op_sel_hi:[1,0,0]
	s_delay_alu instid0(VALU_DEP_1) | instskip(SKIP_1) | instid1(VALU_DEP_1)
	v_mov_b32_e32 v105, v99
	v_pk_mul_f32 v[98:99], v[100:101], v[90:91] op_sel:[0,1]
	v_pk_fma_f32 v[102:103], v[100:101], v[88:89], v[98:99] op_sel:[0,0,1] op_sel_hi:[1,1,0] neg_lo:[0,0,1] neg_hi:[0,0,1]
	v_pk_fma_f32 v[98:99], v[100:101], v[88:89], v[98:99] op_sel:[0,0,1] op_sel_hi:[1,0,0]
	s_delay_alu instid0(VALU_DEP_1)
	v_mov_b32_e32 v103, v99
	ds_load_2addr_b64 v[98:101], v92 offset0:39 offset1:40
	v_pk_add_f32 v[44:45], v[44:45], v[104:105] neg_lo:[0,1] neg_hi:[0,1]
	v_pk_add_f32 v[22:23], v[22:23], v[102:103] neg_lo:[0,1] neg_hi:[0,1]
	s_wait_dscnt 0x0
	v_pk_mul_f32 v[102:103], v[98:99], v[90:91] op_sel:[0,1]
	v_pk_mul_f32 v[90:91], v[100:101], v[90:91] op_sel:[0,1]
	s_delay_alu instid0(VALU_DEP_2) | instskip(SKIP_1) | instid1(VALU_DEP_1)
	v_pk_fma_f32 v[104:105], v[98:99], v[88:89], v[102:103] op_sel:[0,0,1] op_sel_hi:[1,1,0] neg_lo:[0,0,1] neg_hi:[0,0,1]
	v_pk_fma_f32 v[98:99], v[98:99], v[88:89], v[102:103] op_sel:[0,0,1] op_sel_hi:[1,0,0]
	v_mov_b32_e32 v105, v99
	s_delay_alu instid0(VALU_DEP_4) | instskip(SKIP_1) | instid1(VALU_DEP_1)
	v_pk_fma_f32 v[98:99], v[100:101], v[88:89], v[90:91] op_sel:[0,0,1] op_sel_hi:[1,1,0] neg_lo:[0,0,1] neg_hi:[0,0,1]
	v_pk_fma_f32 v[88:89], v[100:101], v[88:89], v[90:91] op_sel:[0,0,1] op_sel_hi:[1,0,0]
	v_mov_b32_e32 v99, v89
	s_delay_alu instid0(VALU_DEP_4) | instskip(NEXT) | instid1(VALU_DEP_2)
	v_pk_add_f32 v[16:17], v[16:17], v[104:105] neg_lo:[0,1] neg_hi:[0,1]
	v_pk_add_f32 v[86:87], v[86:87], v[98:99] neg_lo:[0,1] neg_hi:[0,1]
.LBB80_62:
	s_or_b32 exec_lo, exec_lo, s0
	v_lshl_add_u32 v88, v96, 3, v92
	s_barrier_signal -1
	s_barrier_wait -1
	ds_store_b64 v88, v[78:79]
	s_wait_dscnt 0x0
	s_barrier_signal -1
	s_barrier_wait -1
	ds_load_b64 v[90:91], v92 offset:24
	v_mov_b32_e32 v88, 3
	s_cmp_lt_i32 s18, 5
	s_cbranch_scc1 .LBB80_65
; %bb.63:
	v_mov_b32_e32 v88, 3
	v_add3_u32 v89, v93, 0, 32
	s_mov_b32 s0, 4
.LBB80_64:                              ; =>This Inner Loop Header: Depth=1
	ds_load_b64 v[98:99], v89
	s_wait_dscnt 0x1
	v_cmp_gt_f32_e32 vcc_lo, 0, v90
	v_cndmask_b32_e64 v100, v90, -v90, vcc_lo
	v_cmp_gt_f32_e32 vcc_lo, 0, v91
	v_cndmask_b32_e64 v102, v91, -v91, vcc_lo
	s_wait_dscnt 0x0
	v_cmp_gt_f32_e32 vcc_lo, 0, v98
	v_cndmask_b32_e64 v101, v98, -v98, vcc_lo
	v_cmp_gt_f32_e32 vcc_lo, 0, v99
	v_cndmask_b32_e64 v103, v99, -v99, vcc_lo
	s_delay_alu instid0(VALU_DEP_1) | instskip(NEXT) | instid1(VALU_DEP_1)
	v_pk_add_f32 v[100:101], v[100:101], v[102:103]
	v_cmp_lt_f32_e32 vcc_lo, v100, v101
	v_dual_add_nc_u32 v89, 8, v89 :: v_dual_cndmask_b32 v91, v91, v99, vcc_lo
	v_cndmask_b32_e32 v90, v90, v98, vcc_lo
	v_cndmask_b32_e64 v88, v88, s0, vcc_lo
	s_add_co_i32 s0, s0, 1
	s_delay_alu instid0(SALU_CYCLE_1)
	s_cmp_lg_u32 s18, s0
	s_cbranch_scc1 .LBB80_64
.LBB80_65:
	s_wait_dscnt 0x0
	v_cmp_eq_f32_e32 vcc_lo, 0, v90
	v_cmp_eq_f32_e64 s0, 0, v91
	s_and_b32 s0, vcc_lo, s0
	s_delay_alu instid0(SALU_CYCLE_1) | instskip(NEXT) | instid1(SALU_CYCLE_1)
	s_and_saveexec_b32 s1, s0
	s_xor_b32 s0, exec_lo, s1
; %bb.66:
	v_cmp_ne_u32_e32 vcc_lo, 0, v94
	v_cndmask_b32_e32 v94, 4, v94, vcc_lo
; %bb.67:
	s_and_not1_saveexec_b32 s0, s0
	s_cbranch_execz .LBB80_73
; %bb.68:
	v_cmp_ngt_f32_e64 s1, |v90|, |v91|
	s_and_saveexec_b32 s12, s1
	s_delay_alu instid0(SALU_CYCLE_1)
	s_xor_b32 s1, exec_lo, s12
	s_cbranch_execz .LBB80_70
; %bb.69:
	v_div_scale_f32 v89, null, v91, v91, v90
	v_div_scale_f32 v99, vcc_lo, v90, v91, v90
	s_delay_alu instid0(VALU_DEP_2) | instskip(SKIP_1) | instid1(TRANS32_DEP_1)
	v_rcp_f32_e32 v97, v89
	v_nop
	v_fma_f32 v98, -v89, v97, 1.0
	s_delay_alu instid0(VALU_DEP_1) | instskip(NEXT) | instid1(VALU_DEP_1)
	v_fmac_f32_e32 v97, v98, v97
	v_mul_f32_e32 v98, v99, v97
	s_delay_alu instid0(VALU_DEP_1) | instskip(NEXT) | instid1(VALU_DEP_1)
	v_fma_f32 v100, -v89, v98, v99
	v_fmac_f32_e32 v98, v100, v97
	s_delay_alu instid0(VALU_DEP_1) | instskip(NEXT) | instid1(VALU_DEP_1)
	v_fma_f32 v89, -v89, v98, v99
	v_div_fmas_f32 v89, v89, v97, v98
	s_delay_alu instid0(VALU_DEP_1) | instskip(NEXT) | instid1(VALU_DEP_1)
	v_div_fixup_f32 v89, v89, v91, v90
	v_fmac_f32_e32 v91, v90, v89
	s_delay_alu instid0(VALU_DEP_1) | instskip(SKIP_1) | instid1(VALU_DEP_2)
	v_div_scale_f32 v90, null, v91, v91, 1.0
	v_div_scale_f32 v99, vcc_lo, 1.0, v91, 1.0
	v_rcp_f32_e32 v97, v90
	v_nop
	s_delay_alu instid0(TRANS32_DEP_1) | instskip(NEXT) | instid1(VALU_DEP_1)
	v_fma_f32 v98, -v90, v97, 1.0
	v_fmac_f32_e32 v97, v98, v97
	s_delay_alu instid0(VALU_DEP_1) | instskip(NEXT) | instid1(VALU_DEP_1)
	v_mul_f32_e32 v98, v99, v97
	v_fma_f32 v100, -v90, v98, v99
	s_delay_alu instid0(VALU_DEP_1) | instskip(NEXT) | instid1(VALU_DEP_1)
	v_fmac_f32_e32 v98, v100, v97
	v_fma_f32 v90, -v90, v98, v99
	s_delay_alu instid0(VALU_DEP_1) | instskip(NEXT) | instid1(VALU_DEP_1)
	v_div_fmas_f32 v90, v90, v97, v98
	v_div_fixup_f32 v91, v90, v91, 1.0
	s_delay_alu instid0(VALU_DEP_1)
	v_mul_f32_e32 v90, v89, v91
	v_xor_b32_e32 v91, 0x80000000, v91
.LBB80_70:
	s_and_not1_saveexec_b32 s1, s1
	s_cbranch_execz .LBB80_72
; %bb.71:
	s_delay_alu instid0(VALU_DEP_1) | instskip(SKIP_1) | instid1(VALU_DEP_2)
	v_div_scale_f32 v89, null, v90, v90, v91
	v_div_scale_f32 v99, vcc_lo, v91, v90, v91
	v_rcp_f32_e32 v97, v89
	v_nop
	s_delay_alu instid0(TRANS32_DEP_1) | instskip(NEXT) | instid1(VALU_DEP_1)
	v_fma_f32 v98, -v89, v97, 1.0
	v_fmac_f32_e32 v97, v98, v97
	s_delay_alu instid0(VALU_DEP_1) | instskip(NEXT) | instid1(VALU_DEP_1)
	v_mul_f32_e32 v98, v99, v97
	v_fma_f32 v100, -v89, v98, v99
	s_delay_alu instid0(VALU_DEP_1) | instskip(NEXT) | instid1(VALU_DEP_1)
	v_fmac_f32_e32 v98, v100, v97
	v_fma_f32 v89, -v89, v98, v99
	s_delay_alu instid0(VALU_DEP_1) | instskip(NEXT) | instid1(VALU_DEP_1)
	v_div_fmas_f32 v89, v89, v97, v98
	v_div_fixup_f32 v89, v89, v90, v91
	s_delay_alu instid0(VALU_DEP_1) | instskip(NEXT) | instid1(VALU_DEP_1)
	v_fmac_f32_e32 v90, v91, v89
	v_div_scale_f32 v91, null, v90, v90, 1.0
	s_delay_alu instid0(VALU_DEP_1) | instskip(SKIP_1) | instid1(TRANS32_DEP_1)
	v_rcp_f32_e32 v97, v91
	v_nop
	v_fma_f32 v98, -v91, v97, 1.0
	s_delay_alu instid0(VALU_DEP_1) | instskip(SKIP_1) | instid1(VALU_DEP_1)
	v_fmac_f32_e32 v97, v98, v97
	v_div_scale_f32 v98, vcc_lo, 1.0, v90, 1.0
	v_mul_f32_e32 v99, v98, v97
	s_delay_alu instid0(VALU_DEP_1) | instskip(NEXT) | instid1(VALU_DEP_1)
	v_fma_f32 v100, -v91, v99, v98
	v_fmac_f32_e32 v99, v100, v97
	s_delay_alu instid0(VALU_DEP_1) | instskip(NEXT) | instid1(VALU_DEP_1)
	v_fma_f32 v91, -v91, v99, v98
	v_div_fmas_f32 v91, v91, v97, v99
	s_delay_alu instid0(VALU_DEP_1) | instskip(NEXT) | instid1(VALU_DEP_1)
	v_div_fixup_f32 v90, v91, v90, 1.0
	v_mul_f32_e64 v91, v89, -v90
.LBB80_72:
	s_or_b32 exec_lo, exec_lo, s1
.LBB80_73:
	s_delay_alu instid0(SALU_CYCLE_1) | instskip(NEXT) | instid1(SALU_CYCLE_1)
	s_or_b32 exec_lo, exec_lo, s0
	s_mov_b32 s0, exec_lo
	v_cmpx_ne_u32_e64 v96, v88
	s_xor_b32 s0, exec_lo, s0
	s_cbranch_execz .LBB80_79
; %bb.74:
	s_mov_b32 s1, exec_lo
	v_cmpx_eq_u32_e32 3, v96
	s_cbranch_execz .LBB80_78
; %bb.75:
	v_cmp_ne_u32_e32 vcc_lo, 3, v88
	s_xor_b32 s12, s16, -1
	s_delay_alu instid0(SALU_CYCLE_1) | instskip(NEXT) | instid1(SALU_CYCLE_1)
	s_and_b32 s13, s12, vcc_lo
	s_and_saveexec_b32 s12, s13
	s_cbranch_execz .LBB80_77
; %bb.76:
	v_ashrrev_i32_e32 v89, 31, v88
	s_delay_alu instid0(VALU_DEP_1)
	v_lshl_add_u64 v[96:97], v[88:89], 2, v[4:5]
	s_clause 0x1
	global_load_b32 v89, v[96:97], off
	global_load_b32 v95, v[4:5], off offset:12
	s_wait_loadcnt 0x1
	global_store_b32 v[4:5], v89, off offset:12
	s_wait_loadcnt 0x0
	global_store_b32 v[96:97], v95, off
.LBB80_77:
	s_wait_xcnt 0x0
	s_or_b32 exec_lo, exec_lo, s12
	v_dual_mov_b32 v96, v88 :: v_dual_mov_b32 v95, v88
.LBB80_78:
	s_or_b32 exec_lo, exec_lo, s1
.LBB80_79:
	s_and_not1_saveexec_b32 s0, s0
	s_cbranch_execz .LBB80_81
; %bb.80:
	v_dual_mov_b32 v88, v26 :: v_dual_mov_b32 v89, v27
	v_dual_mov_b32 v96, v20 :: v_dual_mov_b32 v97, v21
	ds_store_2addr_b64 v92, v[88:89], v[96:97] offset0:4 offset1:5
	v_dual_mov_b32 v88, v24 :: v_dual_mov_b32 v89, v25
	v_dual_mov_b32 v96, v18 :: v_dual_mov_b32 v97, v19
	ds_store_2addr_b64 v92, v[88:89], v[96:97] offset0:6 offset1:7
	;; [unrolled: 3-line block ×18, first 2 shown]
	ds_store_b64 v92, v[86:87] offset:320
	v_mov_b32_e32 v96, 3
.LBB80_81:
	s_or_b32 exec_lo, exec_lo, s0
	s_delay_alu instid0(SALU_CYCLE_1)
	s_mov_b32 s0, exec_lo
	s_wait_storecnt_dscnt 0x0
	s_barrier_signal -1
	s_barrier_wait -1
	v_cmpx_lt_i32_e32 3, v96
	s_cbranch_execz .LBB80_83
; %bb.82:
	v_pk_mul_f32 v[98:99], v[90:91], v[78:79] op_sel:[1,1] op_sel_hi:[0,1]
	s_delay_alu instid0(VALU_DEP_1)
	v_pk_fma_f32 v[88:89], v[90:91], v[78:79], v[98:99] op_sel_hi:[1,0,1] neg_lo:[0,0,1] neg_hi:[0,0,1]
	v_pk_fma_f32 v[90:91], v[90:91], v[78:79], v[98:99] op_sel_hi:[1,0,1]
	ds_load_2addr_b64 v[98:101], v92 offset0:4 offset1:5
	v_dual_mov_b32 v78, v88 :: v_dual_mov_b32 v79, v91
	s_wait_dscnt 0x0
	v_pk_mul_f32 v[102:103], v[98:99], v[90:91] op_sel:[0,1]
	s_delay_alu instid0(VALU_DEP_1) | instskip(SKIP_1) | instid1(VALU_DEP_1)
	v_pk_fma_f32 v[104:105], v[98:99], v[88:89], v[102:103] op_sel:[0,0,1] op_sel_hi:[1,1,0] neg_lo:[0,0,1] neg_hi:[0,0,1]
	v_pk_fma_f32 v[98:99], v[98:99], v[88:89], v[102:103] op_sel:[0,0,1] op_sel_hi:[1,0,0]
	v_mov_b32_e32 v105, v99
	v_pk_mul_f32 v[98:99], v[100:101], v[90:91] op_sel:[0,1]
	s_delay_alu instid0(VALU_DEP_1) | instskip(SKIP_1) | instid1(VALU_DEP_1)
	v_pk_fma_f32 v[102:103], v[100:101], v[88:89], v[98:99] op_sel:[0,0,1] op_sel_hi:[1,1,0] neg_lo:[0,0,1] neg_hi:[0,0,1]
	v_pk_fma_f32 v[98:99], v[100:101], v[88:89], v[98:99] op_sel:[0,0,1] op_sel_hi:[1,0,0]
	v_mov_b32_e32 v103, v99
	ds_load_2addr_b64 v[98:101], v92 offset0:6 offset1:7
	v_pk_add_f32 v[26:27], v[26:27], v[104:105] neg_lo:[0,1] neg_hi:[0,1]
	v_pk_add_f32 v[20:21], v[20:21], v[102:103] neg_lo:[0,1] neg_hi:[0,1]
	s_wait_dscnt 0x0
	v_pk_mul_f32 v[102:103], v[98:99], v[90:91] op_sel:[0,1]
	s_delay_alu instid0(VALU_DEP_1) | instskip(SKIP_2) | instid1(VALU_DEP_2)
	v_pk_fma_f32 v[104:105], v[98:99], v[88:89], v[102:103] op_sel:[0,0,1] op_sel_hi:[1,1,0] neg_lo:[0,0,1] neg_hi:[0,0,1]
	v_pk_fma_f32 v[98:99], v[98:99], v[88:89], v[102:103] op_sel:[0,0,1] op_sel_hi:[1,0,0]
	v_dual_mul_f32 v102, v101, v91 :: v_dual_mov_b32 v98, v101
	v_dual_mov_b32 v105, v99 :: v_dual_mov_b32 v99, v100
	s_delay_alu instid0(VALU_DEP_2) | instskip(SKIP_1) | instid1(VALU_DEP_3)
	v_pk_fma_f32 v[102:103], v[100:101], v[78:79], v[102:103] op_sel_hi:[1,1,0] neg_lo:[0,0,1] neg_hi:[0,0,1]
	v_mul_f32_e32 v100, v101, v88
	v_pk_add_f32 v[24:25], v[24:25], v[104:105] neg_lo:[0,1] neg_hi:[0,1]
	s_delay_alu instid0(VALU_DEP_2) | instskip(NEXT) | instid1(VALU_DEP_1)
	v_pk_fma_f32 v[98:99], v[98:99], v[78:79], v[100:101] op_sel_hi:[1,1,0]
	v_mov_b32_e32 v103, v99
	ds_load_2addr_b64 v[98:101], v92 offset0:8 offset1:9
	v_pk_add_f32 v[18:19], v[18:19], v[102:103] neg_lo:[0,1] neg_hi:[0,1]
	s_wait_dscnt 0x0
	v_pk_mul_f32 v[102:103], v[98:99], v[90:91] op_sel:[0,1]
	s_delay_alu instid0(VALU_DEP_1) | instskip(SKIP_1) | instid1(VALU_DEP_1)
	v_pk_fma_f32 v[104:105], v[98:99], v[88:89], v[102:103] op_sel:[0,0,1] op_sel_hi:[1,1,0] neg_lo:[0,0,1] neg_hi:[0,0,1]
	v_pk_fma_f32 v[98:99], v[98:99], v[88:89], v[102:103] op_sel:[0,0,1] op_sel_hi:[1,0,0]
	v_mov_b32_e32 v105, v99
	v_pk_mul_f32 v[98:99], v[100:101], v[90:91] op_sel:[0,1]
	s_delay_alu instid0(VALU_DEP_1) | instskip(SKIP_1) | instid1(VALU_DEP_1)
	v_pk_fma_f32 v[102:103], v[100:101], v[88:89], v[98:99] op_sel:[0,0,1] op_sel_hi:[1,1,0] neg_lo:[0,0,1] neg_hi:[0,0,1]
	v_pk_fma_f32 v[98:99], v[100:101], v[88:89], v[98:99] op_sel:[0,0,1] op_sel_hi:[1,0,0]
	v_mov_b32_e32 v103, v99
	ds_load_2addr_b64 v[98:101], v92 offset0:10 offset1:11
	v_pk_add_f32 v[34:35], v[34:35], v[104:105] neg_lo:[0,1] neg_hi:[0,1]
	v_pk_add_f32 v[30:31], v[30:31], v[102:103] neg_lo:[0,1] neg_hi:[0,1]
	s_wait_dscnt 0x0
	v_pk_mul_f32 v[102:103], v[98:99], v[90:91] op_sel:[0,1]
	s_delay_alu instid0(VALU_DEP_1) | instskip(SKIP_1) | instid1(VALU_DEP_1)
	v_pk_fma_f32 v[104:105], v[98:99], v[88:89], v[102:103] op_sel:[0,0,1] op_sel_hi:[1,1,0] neg_lo:[0,0,1] neg_hi:[0,0,1]
	v_pk_fma_f32 v[98:99], v[98:99], v[88:89], v[102:103] op_sel:[0,0,1] op_sel_hi:[1,0,0]
	v_mov_b32_e32 v105, v99
	v_pk_mul_f32 v[98:99], v[100:101], v[90:91] op_sel:[0,1]
	s_delay_alu instid0(VALU_DEP_1) | instskip(SKIP_1) | instid1(VALU_DEP_1)
	v_pk_fma_f32 v[102:103], v[100:101], v[88:89], v[98:99] op_sel:[0,0,1] op_sel_hi:[1,1,0] neg_lo:[0,0,1] neg_hi:[0,0,1]
	v_pk_fma_f32 v[98:99], v[100:101], v[88:89], v[98:99] op_sel:[0,0,1] op_sel_hi:[1,0,0]
	v_mov_b32_e32 v103, v99
	ds_load_2addr_b64 v[98:101], v92 offset0:12 offset1:13
	v_pk_add_f32 v[32:33], v[32:33], v[104:105] neg_lo:[0,1] neg_hi:[0,1]
	v_pk_add_f32 v[28:29], v[28:29], v[102:103] neg_lo:[0,1] neg_hi:[0,1]
	s_wait_dscnt 0x0
	v_dual_mul_f32 v102, v99, v91 :: v_dual_mul_f32 v104, v99, v88
	s_delay_alu instid0(VALU_DEP_1) | instskip(NEXT) | instid1(VALU_DEP_2)
	v_pk_fma_f32 v[102:103], v[98:99], v[78:79], v[102:103] op_sel_hi:[1,1,0] neg_lo:[0,0,1] neg_hi:[0,0,1]
	v_pk_fma_f32 v[98:99], v[98:99], v[78:79], v[104:105] op_sel:[1,0,0] op_sel_hi:[0,1,0]
	s_delay_alu instid0(VALU_DEP_1) | instskip(SKIP_1) | instid1(VALU_DEP_2)
	v_mov_b32_e32 v103, v99
	v_pk_mul_f32 v[98:99], v[100:101], v[90:91] op_sel:[0,1]
	v_pk_add_f32 v[76:77], v[76:77], v[102:103] neg_lo:[0,1] neg_hi:[0,1]
	s_delay_alu instid0(VALU_DEP_2) | instskip(SKIP_1) | instid1(VALU_DEP_1)
	v_pk_fma_f32 v[102:103], v[100:101], v[88:89], v[98:99] op_sel:[0,0,1] op_sel_hi:[1,1,0] neg_lo:[0,0,1] neg_hi:[0,0,1]
	v_pk_fma_f32 v[98:99], v[100:101], v[88:89], v[98:99] op_sel:[0,0,1] op_sel_hi:[1,0,0]
	v_mov_b32_e32 v103, v99
	ds_load_2addr_b64 v[98:101], v92 offset0:14 offset1:15
	v_pk_add_f32 v[72:73], v[72:73], v[102:103] neg_lo:[0,1] neg_hi:[0,1]
	s_wait_dscnt 0x0
	v_pk_mul_f32 v[102:103], v[98:99], v[90:91] op_sel:[0,1]
	s_delay_alu instid0(VALU_DEP_1) | instskip(SKIP_1) | instid1(VALU_DEP_1)
	v_pk_fma_f32 v[104:105], v[98:99], v[88:89], v[102:103] op_sel:[0,0,1] op_sel_hi:[1,1,0] neg_lo:[0,0,1] neg_hi:[0,0,1]
	v_pk_fma_f32 v[98:99], v[98:99], v[88:89], v[102:103] op_sel:[0,0,1] op_sel_hi:[1,0,0]
	v_mov_b32_e32 v105, v99
	v_pk_mul_f32 v[98:99], v[100:101], v[90:91] op_sel:[0,1]
	s_delay_alu instid0(VALU_DEP_2) | instskip(NEXT) | instid1(VALU_DEP_2)
	v_pk_add_f32 v[74:75], v[74:75], v[104:105] neg_lo:[0,1] neg_hi:[0,1]
	v_pk_fma_f32 v[102:103], v[100:101], v[88:89], v[98:99] op_sel:[0,0,1] op_sel_hi:[1,1,0] neg_lo:[0,0,1] neg_hi:[0,0,1]
	v_pk_fma_f32 v[98:99], v[100:101], v[88:89], v[98:99] op_sel:[0,0,1] op_sel_hi:[1,0,0]
	s_delay_alu instid0(VALU_DEP_1) | instskip(SKIP_4) | instid1(VALU_DEP_1)
	v_mov_b32_e32 v103, v99
	ds_load_2addr_b64 v[98:101], v92 offset0:16 offset1:17
	v_pk_add_f32 v[70:71], v[70:71], v[102:103] neg_lo:[0,1] neg_hi:[0,1]
	s_wait_dscnt 0x0
	v_pk_mul_f32 v[102:103], v[98:99], v[90:91] op_sel:[0,1]
	v_pk_fma_f32 v[104:105], v[98:99], v[88:89], v[102:103] op_sel:[0,0,1] op_sel_hi:[1,1,0] neg_lo:[0,0,1] neg_hi:[0,0,1]
	v_pk_fma_f32 v[98:99], v[98:99], v[88:89], v[102:103] op_sel:[0,0,1] op_sel_hi:[1,0,0]
	v_dual_mul_f32 v102, v101, v91 :: v_dual_mov_b32 v98, v101
	s_delay_alu instid0(VALU_DEP_2) | instskip(NEXT) | instid1(VALU_DEP_2)
	v_dual_mov_b32 v105, v99 :: v_dual_mov_b32 v99, v100
	v_pk_fma_f32 v[102:103], v[100:101], v[78:79], v[102:103] op_sel_hi:[1,1,0] neg_lo:[0,0,1] neg_hi:[0,0,1]
	v_mul_f32_e32 v100, v101, v88
	s_delay_alu instid0(VALU_DEP_3) | instskip(NEXT) | instid1(VALU_DEP_2)
	v_pk_add_f32 v[68:69], v[68:69], v[104:105] neg_lo:[0,1] neg_hi:[0,1]
	v_pk_fma_f32 v[98:99], v[98:99], v[78:79], v[100:101] op_sel_hi:[1,1,0]
	s_delay_alu instid0(VALU_DEP_1) | instskip(SKIP_4) | instid1(VALU_DEP_1)
	v_mov_b32_e32 v103, v99
	ds_load_2addr_b64 v[98:101], v92 offset0:18 offset1:19
	v_pk_add_f32 v[64:65], v[64:65], v[102:103] neg_lo:[0,1] neg_hi:[0,1]
	s_wait_dscnt 0x0
	v_pk_mul_f32 v[102:103], v[98:99], v[90:91] op_sel:[0,1]
	v_pk_fma_f32 v[104:105], v[98:99], v[88:89], v[102:103] op_sel:[0,0,1] op_sel_hi:[1,1,0] neg_lo:[0,0,1] neg_hi:[0,0,1]
	v_pk_fma_f32 v[98:99], v[98:99], v[88:89], v[102:103] op_sel:[0,0,1] op_sel_hi:[1,0,0]
	s_delay_alu instid0(VALU_DEP_1) | instskip(SKIP_1) | instid1(VALU_DEP_1)
	v_mov_b32_e32 v105, v99
	v_pk_mul_f32 v[98:99], v[100:101], v[90:91] op_sel:[0,1]
	v_pk_fma_f32 v[102:103], v[100:101], v[88:89], v[98:99] op_sel:[0,0,1] op_sel_hi:[1,1,0] neg_lo:[0,0,1] neg_hi:[0,0,1]
	v_pk_fma_f32 v[98:99], v[100:101], v[88:89], v[98:99] op_sel:[0,0,1] op_sel_hi:[1,0,0]
	s_delay_alu instid0(VALU_DEP_1)
	v_mov_b32_e32 v103, v99
	ds_load_2addr_b64 v[98:101], v92 offset0:20 offset1:21
	v_pk_add_f32 v[66:67], v[66:67], v[104:105] neg_lo:[0,1] neg_hi:[0,1]
	v_pk_add_f32 v[62:63], v[62:63], v[102:103] neg_lo:[0,1] neg_hi:[0,1]
	s_wait_dscnt 0x0
	v_pk_mul_f32 v[102:103], v[98:99], v[90:91] op_sel:[0,1]
	s_delay_alu instid0(VALU_DEP_1) | instskip(SKIP_1) | instid1(VALU_DEP_1)
	v_pk_fma_f32 v[104:105], v[98:99], v[88:89], v[102:103] op_sel:[0,0,1] op_sel_hi:[1,1,0] neg_lo:[0,0,1] neg_hi:[0,0,1]
	v_pk_fma_f32 v[98:99], v[98:99], v[88:89], v[102:103] op_sel:[0,0,1] op_sel_hi:[1,0,0]
	v_mov_b32_e32 v105, v99
	v_pk_mul_f32 v[98:99], v[100:101], v[90:91] op_sel:[0,1]
	s_delay_alu instid0(VALU_DEP_1) | instskip(SKIP_1) | instid1(VALU_DEP_1)
	v_pk_fma_f32 v[102:103], v[100:101], v[88:89], v[98:99] op_sel:[0,0,1] op_sel_hi:[1,1,0] neg_lo:[0,0,1] neg_hi:[0,0,1]
	v_pk_fma_f32 v[98:99], v[100:101], v[88:89], v[98:99] op_sel:[0,0,1] op_sel_hi:[1,0,0]
	v_mov_b32_e32 v103, v99
	ds_load_2addr_b64 v[98:101], v92 offset0:22 offset1:23
	v_pk_add_f32 v[60:61], v[60:61], v[104:105] neg_lo:[0,1] neg_hi:[0,1]
	v_pk_add_f32 v[56:57], v[56:57], v[102:103] neg_lo:[0,1] neg_hi:[0,1]
	s_wait_dscnt 0x0
	v_dual_mul_f32 v102, v99, v91 :: v_dual_mul_f32 v104, v99, v88
	s_delay_alu instid0(VALU_DEP_1) | instskip(NEXT) | instid1(VALU_DEP_2)
	v_pk_fma_f32 v[102:103], v[98:99], v[78:79], v[102:103] op_sel_hi:[1,1,0] neg_lo:[0,0,1] neg_hi:[0,0,1]
	v_pk_fma_f32 v[98:99], v[98:99], v[78:79], v[104:105] op_sel:[1,0,0] op_sel_hi:[0,1,0]
	s_delay_alu instid0(VALU_DEP_1) | instskip(SKIP_1) | instid1(VALU_DEP_2)
	v_mov_b32_e32 v103, v99
	v_pk_mul_f32 v[98:99], v[100:101], v[90:91] op_sel:[0,1]
	v_pk_add_f32 v[58:59], v[58:59], v[102:103] neg_lo:[0,1] neg_hi:[0,1]
	s_delay_alu instid0(VALU_DEP_2) | instskip(SKIP_1) | instid1(VALU_DEP_1)
	v_pk_fma_f32 v[102:103], v[100:101], v[88:89], v[98:99] op_sel:[0,0,1] op_sel_hi:[1,1,0] neg_lo:[0,0,1] neg_hi:[0,0,1]
	v_pk_fma_f32 v[98:99], v[100:101], v[88:89], v[98:99] op_sel:[0,0,1] op_sel_hi:[1,0,0]
	v_mov_b32_e32 v103, v99
	ds_load_2addr_b64 v[98:101], v92 offset0:24 offset1:25
	v_pk_add_f32 v[54:55], v[54:55], v[102:103] neg_lo:[0,1] neg_hi:[0,1]
	s_wait_dscnt 0x0
	v_pk_mul_f32 v[102:103], v[98:99], v[90:91] op_sel:[0,1]
	s_delay_alu instid0(VALU_DEP_1) | instskip(SKIP_1) | instid1(VALU_DEP_1)
	v_pk_fma_f32 v[104:105], v[98:99], v[88:89], v[102:103] op_sel:[0,0,1] op_sel_hi:[1,1,0] neg_lo:[0,0,1] neg_hi:[0,0,1]
	v_pk_fma_f32 v[98:99], v[98:99], v[88:89], v[102:103] op_sel:[0,0,1] op_sel_hi:[1,0,0]
	v_mov_b32_e32 v105, v99
	v_pk_mul_f32 v[98:99], v[100:101], v[90:91] op_sel:[0,1]
	s_delay_alu instid0(VALU_DEP_2) | instskip(NEXT) | instid1(VALU_DEP_2)
	v_pk_add_f32 v[52:53], v[52:53], v[104:105] neg_lo:[0,1] neg_hi:[0,1]
	v_pk_fma_f32 v[102:103], v[100:101], v[88:89], v[98:99] op_sel:[0,0,1] op_sel_hi:[1,1,0] neg_lo:[0,0,1] neg_hi:[0,0,1]
	v_pk_fma_f32 v[98:99], v[100:101], v[88:89], v[98:99] op_sel:[0,0,1] op_sel_hi:[1,0,0]
	s_delay_alu instid0(VALU_DEP_1) | instskip(SKIP_4) | instid1(VALU_DEP_1)
	v_mov_b32_e32 v103, v99
	ds_load_2addr_b64 v[98:101], v92 offset0:26 offset1:27
	v_pk_add_f32 v[48:49], v[48:49], v[102:103] neg_lo:[0,1] neg_hi:[0,1]
	s_wait_dscnt 0x0
	v_pk_mul_f32 v[102:103], v[98:99], v[90:91] op_sel:[0,1]
	v_pk_fma_f32 v[104:105], v[98:99], v[88:89], v[102:103] op_sel:[0,0,1] op_sel_hi:[1,1,0] neg_lo:[0,0,1] neg_hi:[0,0,1]
	v_pk_fma_f32 v[98:99], v[98:99], v[88:89], v[102:103] op_sel:[0,0,1] op_sel_hi:[1,0,0]
	v_dual_mul_f32 v102, v101, v91 :: v_dual_mov_b32 v98, v101
	s_delay_alu instid0(VALU_DEP_2) | instskip(NEXT) | instid1(VALU_DEP_2)
	v_dual_mov_b32 v105, v99 :: v_dual_mov_b32 v99, v100
	v_pk_fma_f32 v[102:103], v[100:101], v[78:79], v[102:103] op_sel_hi:[1,1,0] neg_lo:[0,0,1] neg_hi:[0,0,1]
	v_mul_f32_e32 v100, v101, v88
	s_delay_alu instid0(VALU_DEP_3) | instskip(NEXT) | instid1(VALU_DEP_2)
	v_pk_add_f32 v[50:51], v[50:51], v[104:105] neg_lo:[0,1] neg_hi:[0,1]
	v_pk_fma_f32 v[98:99], v[98:99], v[78:79], v[100:101] op_sel_hi:[1,1,0]
	s_delay_alu instid0(VALU_DEP_1) | instskip(SKIP_4) | instid1(VALU_DEP_1)
	v_mov_b32_e32 v103, v99
	ds_load_2addr_b64 v[98:101], v92 offset0:28 offset1:29
	v_pk_add_f32 v[46:47], v[46:47], v[102:103] neg_lo:[0,1] neg_hi:[0,1]
	s_wait_dscnt 0x0
	v_pk_mul_f32 v[102:103], v[98:99], v[90:91] op_sel:[0,1]
	v_pk_fma_f32 v[104:105], v[98:99], v[88:89], v[102:103] op_sel:[0,0,1] op_sel_hi:[1,1,0] neg_lo:[0,0,1] neg_hi:[0,0,1]
	v_pk_fma_f32 v[98:99], v[98:99], v[88:89], v[102:103] op_sel:[0,0,1] op_sel_hi:[1,0,0]
	s_delay_alu instid0(VALU_DEP_1) | instskip(SKIP_1) | instid1(VALU_DEP_1)
	v_mov_b32_e32 v105, v99
	v_pk_mul_f32 v[98:99], v[100:101], v[90:91] op_sel:[0,1]
	v_pk_fma_f32 v[102:103], v[100:101], v[88:89], v[98:99] op_sel:[0,0,1] op_sel_hi:[1,1,0] neg_lo:[0,0,1] neg_hi:[0,0,1]
	v_pk_fma_f32 v[98:99], v[100:101], v[88:89], v[98:99] op_sel:[0,0,1] op_sel_hi:[1,0,0]
	s_delay_alu instid0(VALU_DEP_1)
	v_mov_b32_e32 v103, v99
	ds_load_2addr_b64 v[98:101], v92 offset0:30 offset1:31
	v_pk_add_f32 v[42:43], v[42:43], v[104:105] neg_lo:[0,1] neg_hi:[0,1]
	v_pk_add_f32 v[38:39], v[38:39], v[102:103] neg_lo:[0,1] neg_hi:[0,1]
	s_wait_dscnt 0x0
	v_pk_mul_f32 v[102:103], v[98:99], v[90:91] op_sel:[0,1]
	s_delay_alu instid0(VALU_DEP_1) | instskip(SKIP_1) | instid1(VALU_DEP_1)
	v_pk_fma_f32 v[104:105], v[98:99], v[88:89], v[102:103] op_sel:[0,0,1] op_sel_hi:[1,1,0] neg_lo:[0,0,1] neg_hi:[0,0,1]
	v_pk_fma_f32 v[98:99], v[98:99], v[88:89], v[102:103] op_sel:[0,0,1] op_sel_hi:[1,0,0]
	v_mov_b32_e32 v105, v99
	v_pk_mul_f32 v[98:99], v[100:101], v[90:91] op_sel:[0,1]
	s_delay_alu instid0(VALU_DEP_1) | instskip(SKIP_1) | instid1(VALU_DEP_1)
	v_pk_fma_f32 v[102:103], v[100:101], v[88:89], v[98:99] op_sel:[0,0,1] op_sel_hi:[1,1,0] neg_lo:[0,0,1] neg_hi:[0,0,1]
	v_pk_fma_f32 v[98:99], v[100:101], v[88:89], v[98:99] op_sel:[0,0,1] op_sel_hi:[1,0,0]
	v_mov_b32_e32 v103, v99
	ds_load_2addr_b64 v[98:101], v92 offset0:32 offset1:33
	v_pk_add_f32 v[40:41], v[40:41], v[104:105] neg_lo:[0,1] neg_hi:[0,1]
	v_pk_add_f32 v[36:37], v[36:37], v[102:103] neg_lo:[0,1] neg_hi:[0,1]
	s_wait_dscnt 0x0
	v_dual_mul_f32 v102, v99, v91 :: v_dual_mul_f32 v104, v99, v88
	s_delay_alu instid0(VALU_DEP_1) | instskip(NEXT) | instid1(VALU_DEP_2)
	v_pk_fma_f32 v[102:103], v[98:99], v[78:79], v[102:103] op_sel_hi:[1,1,0] neg_lo:[0,0,1] neg_hi:[0,0,1]
	v_pk_fma_f32 v[98:99], v[98:99], v[78:79], v[104:105] op_sel:[1,0,0] op_sel_hi:[0,1,0]
	s_delay_alu instid0(VALU_DEP_1) | instskip(SKIP_1) | instid1(VALU_DEP_2)
	v_mov_b32_e32 v103, v99
	v_pk_mul_f32 v[98:99], v[100:101], v[90:91] op_sel:[0,1]
	v_pk_add_f32 v[14:15], v[14:15], v[102:103] neg_lo:[0,1] neg_hi:[0,1]
	s_delay_alu instid0(VALU_DEP_2) | instskip(SKIP_1) | instid1(VALU_DEP_1)
	v_pk_fma_f32 v[102:103], v[100:101], v[88:89], v[98:99] op_sel:[0,0,1] op_sel_hi:[1,1,0] neg_lo:[0,0,1] neg_hi:[0,0,1]
	v_pk_fma_f32 v[98:99], v[100:101], v[88:89], v[98:99] op_sel:[0,0,1] op_sel_hi:[1,0,0]
	v_mov_b32_e32 v103, v99
	ds_load_2addr_b64 v[98:101], v92 offset0:34 offset1:35
	v_pk_add_f32 v[10:11], v[10:11], v[102:103] neg_lo:[0,1] neg_hi:[0,1]
	s_wait_dscnt 0x0
	v_pk_mul_f32 v[102:103], v[98:99], v[90:91] op_sel:[0,1]
	s_delay_alu instid0(VALU_DEP_1) | instskip(SKIP_1) | instid1(VALU_DEP_1)
	v_pk_fma_f32 v[104:105], v[98:99], v[88:89], v[102:103] op_sel:[0,0,1] op_sel_hi:[1,1,0] neg_lo:[0,0,1] neg_hi:[0,0,1]
	v_pk_fma_f32 v[98:99], v[98:99], v[88:89], v[102:103] op_sel:[0,0,1] op_sel_hi:[1,0,0]
	v_mov_b32_e32 v105, v99
	v_pk_mul_f32 v[98:99], v[100:101], v[90:91] op_sel:[0,1]
	s_delay_alu instid0(VALU_DEP_2) | instskip(NEXT) | instid1(VALU_DEP_2)
	v_pk_add_f32 v[12:13], v[12:13], v[104:105] neg_lo:[0,1] neg_hi:[0,1]
	v_pk_fma_f32 v[102:103], v[100:101], v[88:89], v[98:99] op_sel:[0,0,1] op_sel_hi:[1,1,0] neg_lo:[0,0,1] neg_hi:[0,0,1]
	v_pk_fma_f32 v[98:99], v[100:101], v[88:89], v[98:99] op_sel:[0,0,1] op_sel_hi:[1,0,0]
	s_delay_alu instid0(VALU_DEP_1) | instskip(SKIP_4) | instid1(VALU_DEP_1)
	v_mov_b32_e32 v103, v99
	ds_load_2addr_b64 v[98:101], v92 offset0:36 offset1:37
	v_pk_add_f32 v[8:9], v[8:9], v[102:103] neg_lo:[0,1] neg_hi:[0,1]
	s_wait_dscnt 0x0
	v_pk_mul_f32 v[102:103], v[98:99], v[90:91] op_sel:[0,1]
	v_pk_fma_f32 v[104:105], v[98:99], v[88:89], v[102:103] op_sel:[0,0,1] op_sel_hi:[1,1,0] neg_lo:[0,0,1] neg_hi:[0,0,1]
	v_pk_fma_f32 v[98:99], v[98:99], v[88:89], v[102:103] op_sel:[0,0,1] op_sel_hi:[1,0,0]
	v_dual_mul_f32 v102, v101, v91 :: v_dual_mov_b32 v98, v101
	s_delay_alu instid0(VALU_DEP_2) | instskip(NEXT) | instid1(VALU_DEP_2)
	v_dual_mov_b32 v105, v99 :: v_dual_mov_b32 v99, v100
	v_pk_fma_f32 v[102:103], v[100:101], v[78:79], v[102:103] op_sel_hi:[1,1,0] neg_lo:[0,0,1] neg_hi:[0,0,1]
	v_mul_f32_e32 v100, v101, v88
	s_delay_alu instid0(VALU_DEP_3) | instskip(NEXT) | instid1(VALU_DEP_2)
	v_pk_add_f32 v[6:7], v[6:7], v[104:105] neg_lo:[0,1] neg_hi:[0,1]
	v_pk_fma_f32 v[98:99], v[98:99], v[78:79], v[100:101] op_sel_hi:[1,1,0]
	s_delay_alu instid0(VALU_DEP_1) | instskip(SKIP_4) | instid1(VALU_DEP_1)
	v_mov_b32_e32 v103, v99
	ds_load_2addr_b64 v[98:101], v92 offset0:38 offset1:39
	v_pk_add_f32 v[44:45], v[44:45], v[102:103] neg_lo:[0,1] neg_hi:[0,1]
	s_wait_dscnt 0x0
	v_pk_mul_f32 v[102:103], v[98:99], v[90:91] op_sel:[0,1]
	v_pk_fma_f32 v[104:105], v[98:99], v[88:89], v[102:103] op_sel:[0,0,1] op_sel_hi:[1,1,0] neg_lo:[0,0,1] neg_hi:[0,0,1]
	v_pk_fma_f32 v[98:99], v[98:99], v[88:89], v[102:103] op_sel:[0,0,1] op_sel_hi:[1,0,0]
	s_delay_alu instid0(VALU_DEP_1) | instskip(SKIP_1) | instid1(VALU_DEP_1)
	v_mov_b32_e32 v105, v99
	v_pk_mul_f32 v[98:99], v[100:101], v[90:91] op_sel:[0,1]
	v_pk_fma_f32 v[102:103], v[100:101], v[88:89], v[98:99] op_sel:[0,0,1] op_sel_hi:[1,1,0] neg_lo:[0,0,1] neg_hi:[0,0,1]
	v_pk_fma_f32 v[98:99], v[100:101], v[88:89], v[98:99] op_sel:[0,0,1] op_sel_hi:[1,0,0]
	s_delay_alu instid0(VALU_DEP_1)
	v_mov_b32_e32 v103, v99
	ds_load_b64 v[98:99], v92 offset:320
	v_pk_add_f32 v[22:23], v[22:23], v[104:105] neg_lo:[0,1] neg_hi:[0,1]
	v_pk_add_f32 v[16:17], v[16:17], v[102:103] neg_lo:[0,1] neg_hi:[0,1]
	s_wait_dscnt 0x0
	v_pk_mul_f32 v[90:91], v[98:99], v[90:91] op_sel:[0,1]
	s_delay_alu instid0(VALU_DEP_1) | instskip(SKIP_1) | instid1(VALU_DEP_1)
	v_pk_fma_f32 v[100:101], v[98:99], v[88:89], v[90:91] op_sel:[0,0,1] op_sel_hi:[1,1,0] neg_lo:[0,0,1] neg_hi:[0,0,1]
	v_pk_fma_f32 v[88:89], v[98:99], v[88:89], v[90:91] op_sel:[0,0,1] op_sel_hi:[1,0,0]
	v_mov_b32_e32 v101, v89
	s_delay_alu instid0(VALU_DEP_1)
	v_pk_add_f32 v[86:87], v[86:87], v[100:101] neg_lo:[0,1] neg_hi:[0,1]
.LBB80_83:
	s_or_b32 exec_lo, exec_lo, s0
	v_lshl_add_u32 v88, v96, 3, v92
	s_barrier_signal -1
	s_barrier_wait -1
	ds_store_b64 v88, v[26:27]
	s_wait_dscnt 0x0
	s_barrier_signal -1
	s_barrier_wait -1
	ds_load_b64 v[90:91], v92 offset:32
	v_mov_b32_e32 v88, 4
	s_cmp_lt_i32 s18, 6
	s_cbranch_scc1 .LBB80_86
; %bb.84:
	v_add3_u32 v89, v93, 0, 40
	v_mov_b32_e32 v88, 4
	s_mov_b32 s0, 5
.LBB80_85:                              ; =>This Inner Loop Header: Depth=1
	ds_load_b64 v[98:99], v89
	s_wait_dscnt 0x1
	v_cmp_gt_f32_e32 vcc_lo, 0, v90
	v_cndmask_b32_e64 v100, v90, -v90, vcc_lo
	v_cmp_gt_f32_e32 vcc_lo, 0, v91
	v_cndmask_b32_e64 v102, v91, -v91, vcc_lo
	s_wait_dscnt 0x0
	v_cmp_gt_f32_e32 vcc_lo, 0, v98
	v_cndmask_b32_e64 v101, v98, -v98, vcc_lo
	v_cmp_gt_f32_e32 vcc_lo, 0, v99
	v_cndmask_b32_e64 v103, v99, -v99, vcc_lo
	s_delay_alu instid0(VALU_DEP_1) | instskip(NEXT) | instid1(VALU_DEP_1)
	v_pk_add_f32 v[100:101], v[100:101], v[102:103]
	v_cmp_lt_f32_e32 vcc_lo, v100, v101
	v_dual_add_nc_u32 v89, 8, v89 :: v_dual_cndmask_b32 v91, v91, v99, vcc_lo
	v_cndmask_b32_e32 v90, v90, v98, vcc_lo
	v_cndmask_b32_e64 v88, v88, s0, vcc_lo
	s_add_co_i32 s0, s0, 1
	s_delay_alu instid0(SALU_CYCLE_1)
	s_cmp_lg_u32 s18, s0
	s_cbranch_scc1 .LBB80_85
.LBB80_86:
	s_wait_dscnt 0x0
	v_cmp_eq_f32_e32 vcc_lo, 0, v90
	v_cmp_eq_f32_e64 s0, 0, v91
	s_and_b32 s0, vcc_lo, s0
	s_delay_alu instid0(SALU_CYCLE_1) | instskip(NEXT) | instid1(SALU_CYCLE_1)
	s_and_saveexec_b32 s1, s0
	s_xor_b32 s0, exec_lo, s1
; %bb.87:
	v_cmp_ne_u32_e32 vcc_lo, 0, v94
	v_cndmask_b32_e32 v94, 5, v94, vcc_lo
; %bb.88:
	s_and_not1_saveexec_b32 s0, s0
	s_cbranch_execz .LBB80_94
; %bb.89:
	v_cmp_ngt_f32_e64 s1, |v90|, |v91|
	s_and_saveexec_b32 s12, s1
	s_delay_alu instid0(SALU_CYCLE_1)
	s_xor_b32 s1, exec_lo, s12
	s_cbranch_execz .LBB80_91
; %bb.90:
	v_div_scale_f32 v89, null, v91, v91, v90
	v_div_scale_f32 v99, vcc_lo, v90, v91, v90
	s_delay_alu instid0(VALU_DEP_2) | instskip(SKIP_1) | instid1(TRANS32_DEP_1)
	v_rcp_f32_e32 v97, v89
	v_nop
	v_fma_f32 v98, -v89, v97, 1.0
	s_delay_alu instid0(VALU_DEP_1) | instskip(NEXT) | instid1(VALU_DEP_1)
	v_fmac_f32_e32 v97, v98, v97
	v_mul_f32_e32 v98, v99, v97
	s_delay_alu instid0(VALU_DEP_1) | instskip(NEXT) | instid1(VALU_DEP_1)
	v_fma_f32 v100, -v89, v98, v99
	v_fmac_f32_e32 v98, v100, v97
	s_delay_alu instid0(VALU_DEP_1) | instskip(NEXT) | instid1(VALU_DEP_1)
	v_fma_f32 v89, -v89, v98, v99
	v_div_fmas_f32 v89, v89, v97, v98
	s_delay_alu instid0(VALU_DEP_1) | instskip(NEXT) | instid1(VALU_DEP_1)
	v_div_fixup_f32 v89, v89, v91, v90
	v_fmac_f32_e32 v91, v90, v89
	s_delay_alu instid0(VALU_DEP_1) | instskip(SKIP_1) | instid1(VALU_DEP_2)
	v_div_scale_f32 v90, null, v91, v91, 1.0
	v_div_scale_f32 v99, vcc_lo, 1.0, v91, 1.0
	v_rcp_f32_e32 v97, v90
	v_nop
	s_delay_alu instid0(TRANS32_DEP_1) | instskip(NEXT) | instid1(VALU_DEP_1)
	v_fma_f32 v98, -v90, v97, 1.0
	v_fmac_f32_e32 v97, v98, v97
	s_delay_alu instid0(VALU_DEP_1) | instskip(NEXT) | instid1(VALU_DEP_1)
	v_mul_f32_e32 v98, v99, v97
	v_fma_f32 v100, -v90, v98, v99
	s_delay_alu instid0(VALU_DEP_1) | instskip(NEXT) | instid1(VALU_DEP_1)
	v_fmac_f32_e32 v98, v100, v97
	v_fma_f32 v90, -v90, v98, v99
	s_delay_alu instid0(VALU_DEP_1) | instskip(NEXT) | instid1(VALU_DEP_1)
	v_div_fmas_f32 v90, v90, v97, v98
	v_div_fixup_f32 v91, v90, v91, 1.0
	s_delay_alu instid0(VALU_DEP_1)
	v_mul_f32_e32 v90, v89, v91
	v_xor_b32_e32 v91, 0x80000000, v91
.LBB80_91:
	s_and_not1_saveexec_b32 s1, s1
	s_cbranch_execz .LBB80_93
; %bb.92:
	s_delay_alu instid0(VALU_DEP_1) | instskip(SKIP_1) | instid1(VALU_DEP_2)
	v_div_scale_f32 v89, null, v90, v90, v91
	v_div_scale_f32 v99, vcc_lo, v91, v90, v91
	v_rcp_f32_e32 v97, v89
	v_nop
	s_delay_alu instid0(TRANS32_DEP_1) | instskip(NEXT) | instid1(VALU_DEP_1)
	v_fma_f32 v98, -v89, v97, 1.0
	v_fmac_f32_e32 v97, v98, v97
	s_delay_alu instid0(VALU_DEP_1) | instskip(NEXT) | instid1(VALU_DEP_1)
	v_mul_f32_e32 v98, v99, v97
	v_fma_f32 v100, -v89, v98, v99
	s_delay_alu instid0(VALU_DEP_1) | instskip(NEXT) | instid1(VALU_DEP_1)
	v_fmac_f32_e32 v98, v100, v97
	v_fma_f32 v89, -v89, v98, v99
	s_delay_alu instid0(VALU_DEP_1) | instskip(NEXT) | instid1(VALU_DEP_1)
	v_div_fmas_f32 v89, v89, v97, v98
	v_div_fixup_f32 v89, v89, v90, v91
	s_delay_alu instid0(VALU_DEP_1) | instskip(NEXT) | instid1(VALU_DEP_1)
	v_fmac_f32_e32 v90, v91, v89
	v_div_scale_f32 v91, null, v90, v90, 1.0
	s_delay_alu instid0(VALU_DEP_1) | instskip(SKIP_1) | instid1(TRANS32_DEP_1)
	v_rcp_f32_e32 v97, v91
	v_nop
	v_fma_f32 v98, -v91, v97, 1.0
	s_delay_alu instid0(VALU_DEP_1) | instskip(SKIP_1) | instid1(VALU_DEP_1)
	v_fmac_f32_e32 v97, v98, v97
	v_div_scale_f32 v98, vcc_lo, 1.0, v90, 1.0
	v_mul_f32_e32 v99, v98, v97
	s_delay_alu instid0(VALU_DEP_1) | instskip(NEXT) | instid1(VALU_DEP_1)
	v_fma_f32 v100, -v91, v99, v98
	v_fmac_f32_e32 v99, v100, v97
	s_delay_alu instid0(VALU_DEP_1) | instskip(NEXT) | instid1(VALU_DEP_1)
	v_fma_f32 v91, -v91, v99, v98
	v_div_fmas_f32 v91, v91, v97, v99
	s_delay_alu instid0(VALU_DEP_1) | instskip(NEXT) | instid1(VALU_DEP_1)
	v_div_fixup_f32 v90, v91, v90, 1.0
	v_mul_f32_e64 v91, v89, -v90
.LBB80_93:
	s_or_b32 exec_lo, exec_lo, s1
.LBB80_94:
	s_delay_alu instid0(SALU_CYCLE_1) | instskip(NEXT) | instid1(SALU_CYCLE_1)
	s_or_b32 exec_lo, exec_lo, s0
	s_mov_b32 s0, exec_lo
	v_cmpx_ne_u32_e64 v96, v88
	s_xor_b32 s0, exec_lo, s0
	s_cbranch_execz .LBB80_100
; %bb.95:
	s_mov_b32 s1, exec_lo
	v_cmpx_eq_u32_e32 4, v96
	s_cbranch_execz .LBB80_99
; %bb.96:
	v_cmp_ne_u32_e32 vcc_lo, 4, v88
	s_xor_b32 s12, s16, -1
	s_delay_alu instid0(SALU_CYCLE_1) | instskip(NEXT) | instid1(SALU_CYCLE_1)
	s_and_b32 s13, s12, vcc_lo
	s_and_saveexec_b32 s12, s13
	s_cbranch_execz .LBB80_98
; %bb.97:
	v_ashrrev_i32_e32 v89, 31, v88
	s_delay_alu instid0(VALU_DEP_1)
	v_lshl_add_u64 v[96:97], v[88:89], 2, v[4:5]
	s_clause 0x1
	global_load_b32 v89, v[96:97], off
	global_load_b32 v95, v[4:5], off offset:16
	s_wait_loadcnt 0x1
	global_store_b32 v[4:5], v89, off offset:16
	s_wait_loadcnt 0x0
	global_store_b32 v[96:97], v95, off
.LBB80_98:
	s_wait_xcnt 0x0
	s_or_b32 exec_lo, exec_lo, s12
	v_dual_mov_b32 v96, v88 :: v_dual_mov_b32 v95, v88
.LBB80_99:
	s_or_b32 exec_lo, exec_lo, s1
.LBB80_100:
	s_and_not1_saveexec_b32 s0, s0
	s_cbranch_execz .LBB80_102
; %bb.101:
	v_mov_b32_e32 v96, 4
	ds_store_2addr_b64 v92, v[20:21], v[24:25] offset0:5 offset1:6
	ds_store_2addr_b64 v92, v[18:19], v[34:35] offset0:7 offset1:8
	;; [unrolled: 1-line block ×18, first 2 shown]
.LBB80_102:
	s_or_b32 exec_lo, exec_lo, s0
	s_delay_alu instid0(SALU_CYCLE_1)
	s_mov_b32 s0, exec_lo
	s_wait_storecnt_dscnt 0x0
	s_barrier_signal -1
	s_barrier_wait -1
	v_cmpx_lt_i32_e32 4, v96
	s_cbranch_execz .LBB80_104
; %bb.103:
	v_pk_mul_f32 v[98:99], v[90:91], v[26:27] op_sel:[1,1] op_sel_hi:[0,1]
	s_delay_alu instid0(VALU_DEP_1)
	v_pk_fma_f32 v[88:89], v[90:91], v[26:27], v[98:99] op_sel_hi:[1,0,1] neg_lo:[0,0,1] neg_hi:[0,0,1]
	v_pk_fma_f32 v[90:91], v[90:91], v[26:27], v[98:99] op_sel_hi:[1,0,1]
	ds_load_2addr_b64 v[98:101], v92 offset0:5 offset1:6
	v_dual_mov_b32 v26, v88 :: v_dual_mov_b32 v27, v91
	s_wait_dscnt 0x0
	v_pk_mul_f32 v[102:103], v[98:99], v[90:91] op_sel:[0,1]
	s_delay_alu instid0(VALU_DEP_1) | instskip(SKIP_1) | instid1(VALU_DEP_1)
	v_pk_fma_f32 v[104:105], v[98:99], v[88:89], v[102:103] op_sel:[0,0,1] op_sel_hi:[1,1,0] neg_lo:[0,0,1] neg_hi:[0,0,1]
	v_pk_fma_f32 v[98:99], v[98:99], v[88:89], v[102:103] op_sel:[0,0,1] op_sel_hi:[1,0,0]
	v_mov_b32_e32 v105, v99
	v_pk_mul_f32 v[98:99], v[100:101], v[90:91] op_sel:[0,1]
	s_delay_alu instid0(VALU_DEP_1) | instskip(SKIP_1) | instid1(VALU_DEP_1)
	v_pk_fma_f32 v[102:103], v[100:101], v[88:89], v[98:99] op_sel:[0,0,1] op_sel_hi:[1,1,0] neg_lo:[0,0,1] neg_hi:[0,0,1]
	v_pk_fma_f32 v[98:99], v[100:101], v[88:89], v[98:99] op_sel:[0,0,1] op_sel_hi:[1,0,0]
	v_mov_b32_e32 v103, v99
	ds_load_2addr_b64 v[98:101], v92 offset0:7 offset1:8
	v_pk_add_f32 v[20:21], v[20:21], v[104:105] neg_lo:[0,1] neg_hi:[0,1]
	v_pk_add_f32 v[24:25], v[24:25], v[102:103] neg_lo:[0,1] neg_hi:[0,1]
	s_wait_dscnt 0x0
	v_pk_mul_f32 v[102:103], v[98:99], v[90:91] op_sel:[0,1]
	s_delay_alu instid0(VALU_DEP_1) | instskip(SKIP_2) | instid1(VALU_DEP_2)
	v_pk_fma_f32 v[104:105], v[98:99], v[88:89], v[102:103] op_sel:[0,0,1] op_sel_hi:[1,1,0] neg_lo:[0,0,1] neg_hi:[0,0,1]
	v_pk_fma_f32 v[98:99], v[98:99], v[88:89], v[102:103] op_sel:[0,0,1] op_sel_hi:[1,0,0]
	v_dual_mul_f32 v102, v101, v91 :: v_dual_mov_b32 v98, v101
	v_dual_mov_b32 v105, v99 :: v_dual_mov_b32 v99, v100
	s_delay_alu instid0(VALU_DEP_2) | instskip(SKIP_1) | instid1(VALU_DEP_3)
	v_pk_fma_f32 v[102:103], v[100:101], v[26:27], v[102:103] op_sel_hi:[1,1,0] neg_lo:[0,0,1] neg_hi:[0,0,1]
	v_mul_f32_e32 v100, v101, v88
	v_pk_add_f32 v[18:19], v[18:19], v[104:105] neg_lo:[0,1] neg_hi:[0,1]
	s_delay_alu instid0(VALU_DEP_2) | instskip(NEXT) | instid1(VALU_DEP_1)
	v_pk_fma_f32 v[98:99], v[98:99], v[26:27], v[100:101] op_sel_hi:[1,1,0]
	v_mov_b32_e32 v103, v99
	ds_load_2addr_b64 v[98:101], v92 offset0:9 offset1:10
	v_pk_add_f32 v[34:35], v[34:35], v[102:103] neg_lo:[0,1] neg_hi:[0,1]
	s_wait_dscnt 0x0
	v_pk_mul_f32 v[102:103], v[98:99], v[90:91] op_sel:[0,1]
	s_delay_alu instid0(VALU_DEP_1) | instskip(SKIP_1) | instid1(VALU_DEP_1)
	v_pk_fma_f32 v[104:105], v[98:99], v[88:89], v[102:103] op_sel:[0,0,1] op_sel_hi:[1,1,0] neg_lo:[0,0,1] neg_hi:[0,0,1]
	v_pk_fma_f32 v[98:99], v[98:99], v[88:89], v[102:103] op_sel:[0,0,1] op_sel_hi:[1,0,0]
	v_mov_b32_e32 v105, v99
	v_pk_mul_f32 v[98:99], v[100:101], v[90:91] op_sel:[0,1]
	s_delay_alu instid0(VALU_DEP_1) | instskip(SKIP_1) | instid1(VALU_DEP_1)
	v_pk_fma_f32 v[102:103], v[100:101], v[88:89], v[98:99] op_sel:[0,0,1] op_sel_hi:[1,1,0] neg_lo:[0,0,1] neg_hi:[0,0,1]
	v_pk_fma_f32 v[98:99], v[100:101], v[88:89], v[98:99] op_sel:[0,0,1] op_sel_hi:[1,0,0]
	v_mov_b32_e32 v103, v99
	ds_load_2addr_b64 v[98:101], v92 offset0:11 offset1:12
	v_pk_add_f32 v[30:31], v[30:31], v[104:105] neg_lo:[0,1] neg_hi:[0,1]
	v_pk_add_f32 v[32:33], v[32:33], v[102:103] neg_lo:[0,1] neg_hi:[0,1]
	s_wait_dscnt 0x0
	v_pk_mul_f32 v[102:103], v[98:99], v[90:91] op_sel:[0,1]
	s_delay_alu instid0(VALU_DEP_1) | instskip(SKIP_1) | instid1(VALU_DEP_1)
	v_pk_fma_f32 v[104:105], v[98:99], v[88:89], v[102:103] op_sel:[0,0,1] op_sel_hi:[1,1,0] neg_lo:[0,0,1] neg_hi:[0,0,1]
	v_pk_fma_f32 v[98:99], v[98:99], v[88:89], v[102:103] op_sel:[0,0,1] op_sel_hi:[1,0,0]
	v_mov_b32_e32 v105, v99
	v_pk_mul_f32 v[98:99], v[100:101], v[90:91] op_sel:[0,1]
	s_delay_alu instid0(VALU_DEP_1) | instskip(SKIP_1) | instid1(VALU_DEP_1)
	v_pk_fma_f32 v[102:103], v[100:101], v[88:89], v[98:99] op_sel:[0,0,1] op_sel_hi:[1,1,0] neg_lo:[0,0,1] neg_hi:[0,0,1]
	v_pk_fma_f32 v[98:99], v[100:101], v[88:89], v[98:99] op_sel:[0,0,1] op_sel_hi:[1,0,0]
	v_mov_b32_e32 v103, v99
	ds_load_2addr_b64 v[98:101], v92 offset0:13 offset1:14
	v_pk_add_f32 v[28:29], v[28:29], v[104:105] neg_lo:[0,1] neg_hi:[0,1]
	v_pk_add_f32 v[76:77], v[76:77], v[102:103] neg_lo:[0,1] neg_hi:[0,1]
	s_wait_dscnt 0x0
	v_dual_mul_f32 v102, v99, v91 :: v_dual_mul_f32 v104, v99, v88
	s_delay_alu instid0(VALU_DEP_1) | instskip(NEXT) | instid1(VALU_DEP_2)
	v_pk_fma_f32 v[102:103], v[98:99], v[26:27], v[102:103] op_sel_hi:[1,1,0] neg_lo:[0,0,1] neg_hi:[0,0,1]
	v_pk_fma_f32 v[98:99], v[98:99], v[26:27], v[104:105] op_sel:[1,0,0] op_sel_hi:[0,1,0]
	s_delay_alu instid0(VALU_DEP_1) | instskip(SKIP_1) | instid1(VALU_DEP_2)
	v_mov_b32_e32 v103, v99
	v_pk_mul_f32 v[98:99], v[100:101], v[90:91] op_sel:[0,1]
	v_pk_add_f32 v[72:73], v[72:73], v[102:103] neg_lo:[0,1] neg_hi:[0,1]
	s_delay_alu instid0(VALU_DEP_2) | instskip(SKIP_1) | instid1(VALU_DEP_1)
	v_pk_fma_f32 v[102:103], v[100:101], v[88:89], v[98:99] op_sel:[0,0,1] op_sel_hi:[1,1,0] neg_lo:[0,0,1] neg_hi:[0,0,1]
	v_pk_fma_f32 v[98:99], v[100:101], v[88:89], v[98:99] op_sel:[0,0,1] op_sel_hi:[1,0,0]
	v_mov_b32_e32 v103, v99
	ds_load_2addr_b64 v[98:101], v92 offset0:15 offset1:16
	v_pk_add_f32 v[74:75], v[74:75], v[102:103] neg_lo:[0,1] neg_hi:[0,1]
	s_wait_dscnt 0x0
	v_pk_mul_f32 v[102:103], v[98:99], v[90:91] op_sel:[0,1]
	s_delay_alu instid0(VALU_DEP_1) | instskip(SKIP_1) | instid1(VALU_DEP_1)
	v_pk_fma_f32 v[104:105], v[98:99], v[88:89], v[102:103] op_sel:[0,0,1] op_sel_hi:[1,1,0] neg_lo:[0,0,1] neg_hi:[0,0,1]
	v_pk_fma_f32 v[98:99], v[98:99], v[88:89], v[102:103] op_sel:[0,0,1] op_sel_hi:[1,0,0]
	v_mov_b32_e32 v105, v99
	v_pk_mul_f32 v[98:99], v[100:101], v[90:91] op_sel:[0,1]
	s_delay_alu instid0(VALU_DEP_2) | instskip(NEXT) | instid1(VALU_DEP_2)
	v_pk_add_f32 v[70:71], v[70:71], v[104:105] neg_lo:[0,1] neg_hi:[0,1]
	v_pk_fma_f32 v[102:103], v[100:101], v[88:89], v[98:99] op_sel:[0,0,1] op_sel_hi:[1,1,0] neg_lo:[0,0,1] neg_hi:[0,0,1]
	v_pk_fma_f32 v[98:99], v[100:101], v[88:89], v[98:99] op_sel:[0,0,1] op_sel_hi:[1,0,0]
	s_delay_alu instid0(VALU_DEP_1) | instskip(SKIP_4) | instid1(VALU_DEP_1)
	v_mov_b32_e32 v103, v99
	ds_load_2addr_b64 v[98:101], v92 offset0:17 offset1:18
	v_pk_add_f32 v[68:69], v[68:69], v[102:103] neg_lo:[0,1] neg_hi:[0,1]
	s_wait_dscnt 0x0
	v_pk_mul_f32 v[102:103], v[98:99], v[90:91] op_sel:[0,1]
	v_pk_fma_f32 v[104:105], v[98:99], v[88:89], v[102:103] op_sel:[0,0,1] op_sel_hi:[1,1,0] neg_lo:[0,0,1] neg_hi:[0,0,1]
	v_pk_fma_f32 v[98:99], v[98:99], v[88:89], v[102:103] op_sel:[0,0,1] op_sel_hi:[1,0,0]
	v_dual_mul_f32 v102, v101, v91 :: v_dual_mov_b32 v98, v101
	s_delay_alu instid0(VALU_DEP_2) | instskip(NEXT) | instid1(VALU_DEP_2)
	v_dual_mov_b32 v105, v99 :: v_dual_mov_b32 v99, v100
	v_pk_fma_f32 v[102:103], v[100:101], v[26:27], v[102:103] op_sel_hi:[1,1,0] neg_lo:[0,0,1] neg_hi:[0,0,1]
	v_mul_f32_e32 v100, v101, v88
	s_delay_alu instid0(VALU_DEP_3) | instskip(NEXT) | instid1(VALU_DEP_2)
	v_pk_add_f32 v[64:65], v[64:65], v[104:105] neg_lo:[0,1] neg_hi:[0,1]
	v_pk_fma_f32 v[98:99], v[98:99], v[26:27], v[100:101] op_sel_hi:[1,1,0]
	s_delay_alu instid0(VALU_DEP_1) | instskip(SKIP_4) | instid1(VALU_DEP_1)
	v_mov_b32_e32 v103, v99
	ds_load_2addr_b64 v[98:101], v92 offset0:19 offset1:20
	v_pk_add_f32 v[66:67], v[66:67], v[102:103] neg_lo:[0,1] neg_hi:[0,1]
	s_wait_dscnt 0x0
	v_pk_mul_f32 v[102:103], v[98:99], v[90:91] op_sel:[0,1]
	v_pk_fma_f32 v[104:105], v[98:99], v[88:89], v[102:103] op_sel:[0,0,1] op_sel_hi:[1,1,0] neg_lo:[0,0,1] neg_hi:[0,0,1]
	v_pk_fma_f32 v[98:99], v[98:99], v[88:89], v[102:103] op_sel:[0,0,1] op_sel_hi:[1,0,0]
	s_delay_alu instid0(VALU_DEP_1) | instskip(SKIP_1) | instid1(VALU_DEP_1)
	v_mov_b32_e32 v105, v99
	v_pk_mul_f32 v[98:99], v[100:101], v[90:91] op_sel:[0,1]
	v_pk_fma_f32 v[102:103], v[100:101], v[88:89], v[98:99] op_sel:[0,0,1] op_sel_hi:[1,1,0] neg_lo:[0,0,1] neg_hi:[0,0,1]
	v_pk_fma_f32 v[98:99], v[100:101], v[88:89], v[98:99] op_sel:[0,0,1] op_sel_hi:[1,0,0]
	s_delay_alu instid0(VALU_DEP_1)
	v_mov_b32_e32 v103, v99
	ds_load_2addr_b64 v[98:101], v92 offset0:21 offset1:22
	v_pk_add_f32 v[62:63], v[62:63], v[104:105] neg_lo:[0,1] neg_hi:[0,1]
	v_pk_add_f32 v[60:61], v[60:61], v[102:103] neg_lo:[0,1] neg_hi:[0,1]
	s_wait_dscnt 0x0
	v_pk_mul_f32 v[102:103], v[98:99], v[90:91] op_sel:[0,1]
	s_delay_alu instid0(VALU_DEP_1) | instskip(SKIP_1) | instid1(VALU_DEP_1)
	v_pk_fma_f32 v[104:105], v[98:99], v[88:89], v[102:103] op_sel:[0,0,1] op_sel_hi:[1,1,0] neg_lo:[0,0,1] neg_hi:[0,0,1]
	v_pk_fma_f32 v[98:99], v[98:99], v[88:89], v[102:103] op_sel:[0,0,1] op_sel_hi:[1,0,0]
	v_mov_b32_e32 v105, v99
	v_pk_mul_f32 v[98:99], v[100:101], v[90:91] op_sel:[0,1]
	s_delay_alu instid0(VALU_DEP_1) | instskip(SKIP_1) | instid1(VALU_DEP_1)
	v_pk_fma_f32 v[102:103], v[100:101], v[88:89], v[98:99] op_sel:[0,0,1] op_sel_hi:[1,1,0] neg_lo:[0,0,1] neg_hi:[0,0,1]
	v_pk_fma_f32 v[98:99], v[100:101], v[88:89], v[98:99] op_sel:[0,0,1] op_sel_hi:[1,0,0]
	v_mov_b32_e32 v103, v99
	ds_load_2addr_b64 v[98:101], v92 offset0:23 offset1:24
	v_pk_add_f32 v[56:57], v[56:57], v[104:105] neg_lo:[0,1] neg_hi:[0,1]
	v_pk_add_f32 v[58:59], v[58:59], v[102:103] neg_lo:[0,1] neg_hi:[0,1]
	s_wait_dscnt 0x0
	v_dual_mul_f32 v102, v99, v91 :: v_dual_mul_f32 v104, v99, v88
	s_delay_alu instid0(VALU_DEP_1) | instskip(NEXT) | instid1(VALU_DEP_2)
	v_pk_fma_f32 v[102:103], v[98:99], v[26:27], v[102:103] op_sel_hi:[1,1,0] neg_lo:[0,0,1] neg_hi:[0,0,1]
	v_pk_fma_f32 v[98:99], v[98:99], v[26:27], v[104:105] op_sel:[1,0,0] op_sel_hi:[0,1,0]
	s_delay_alu instid0(VALU_DEP_1) | instskip(SKIP_1) | instid1(VALU_DEP_2)
	v_mov_b32_e32 v103, v99
	v_pk_mul_f32 v[98:99], v[100:101], v[90:91] op_sel:[0,1]
	v_pk_add_f32 v[54:55], v[54:55], v[102:103] neg_lo:[0,1] neg_hi:[0,1]
	s_delay_alu instid0(VALU_DEP_2) | instskip(SKIP_1) | instid1(VALU_DEP_1)
	v_pk_fma_f32 v[102:103], v[100:101], v[88:89], v[98:99] op_sel:[0,0,1] op_sel_hi:[1,1,0] neg_lo:[0,0,1] neg_hi:[0,0,1]
	v_pk_fma_f32 v[98:99], v[100:101], v[88:89], v[98:99] op_sel:[0,0,1] op_sel_hi:[1,0,0]
	v_mov_b32_e32 v103, v99
	ds_load_2addr_b64 v[98:101], v92 offset0:25 offset1:26
	v_pk_add_f32 v[52:53], v[52:53], v[102:103] neg_lo:[0,1] neg_hi:[0,1]
	s_wait_dscnt 0x0
	v_pk_mul_f32 v[102:103], v[98:99], v[90:91] op_sel:[0,1]
	s_delay_alu instid0(VALU_DEP_1) | instskip(SKIP_1) | instid1(VALU_DEP_1)
	v_pk_fma_f32 v[104:105], v[98:99], v[88:89], v[102:103] op_sel:[0,0,1] op_sel_hi:[1,1,0] neg_lo:[0,0,1] neg_hi:[0,0,1]
	v_pk_fma_f32 v[98:99], v[98:99], v[88:89], v[102:103] op_sel:[0,0,1] op_sel_hi:[1,0,0]
	v_mov_b32_e32 v105, v99
	v_pk_mul_f32 v[98:99], v[100:101], v[90:91] op_sel:[0,1]
	s_delay_alu instid0(VALU_DEP_2) | instskip(NEXT) | instid1(VALU_DEP_2)
	v_pk_add_f32 v[48:49], v[48:49], v[104:105] neg_lo:[0,1] neg_hi:[0,1]
	v_pk_fma_f32 v[102:103], v[100:101], v[88:89], v[98:99] op_sel:[0,0,1] op_sel_hi:[1,1,0] neg_lo:[0,0,1] neg_hi:[0,0,1]
	v_pk_fma_f32 v[98:99], v[100:101], v[88:89], v[98:99] op_sel:[0,0,1] op_sel_hi:[1,0,0]
	s_delay_alu instid0(VALU_DEP_1) | instskip(SKIP_4) | instid1(VALU_DEP_1)
	v_mov_b32_e32 v103, v99
	ds_load_2addr_b64 v[98:101], v92 offset0:27 offset1:28
	v_pk_add_f32 v[50:51], v[50:51], v[102:103] neg_lo:[0,1] neg_hi:[0,1]
	s_wait_dscnt 0x0
	v_pk_mul_f32 v[102:103], v[98:99], v[90:91] op_sel:[0,1]
	v_pk_fma_f32 v[104:105], v[98:99], v[88:89], v[102:103] op_sel:[0,0,1] op_sel_hi:[1,1,0] neg_lo:[0,0,1] neg_hi:[0,0,1]
	v_pk_fma_f32 v[98:99], v[98:99], v[88:89], v[102:103] op_sel:[0,0,1] op_sel_hi:[1,0,0]
	v_dual_mul_f32 v102, v101, v91 :: v_dual_mov_b32 v98, v101
	s_delay_alu instid0(VALU_DEP_2) | instskip(NEXT) | instid1(VALU_DEP_2)
	v_dual_mov_b32 v105, v99 :: v_dual_mov_b32 v99, v100
	v_pk_fma_f32 v[102:103], v[100:101], v[26:27], v[102:103] op_sel_hi:[1,1,0] neg_lo:[0,0,1] neg_hi:[0,0,1]
	v_mul_f32_e32 v100, v101, v88
	s_delay_alu instid0(VALU_DEP_3) | instskip(NEXT) | instid1(VALU_DEP_2)
	v_pk_add_f32 v[46:47], v[46:47], v[104:105] neg_lo:[0,1] neg_hi:[0,1]
	v_pk_fma_f32 v[98:99], v[98:99], v[26:27], v[100:101] op_sel_hi:[1,1,0]
	s_delay_alu instid0(VALU_DEP_1) | instskip(SKIP_4) | instid1(VALU_DEP_1)
	v_mov_b32_e32 v103, v99
	ds_load_2addr_b64 v[98:101], v92 offset0:29 offset1:30
	v_pk_add_f32 v[42:43], v[42:43], v[102:103] neg_lo:[0,1] neg_hi:[0,1]
	s_wait_dscnt 0x0
	v_pk_mul_f32 v[102:103], v[98:99], v[90:91] op_sel:[0,1]
	v_pk_fma_f32 v[104:105], v[98:99], v[88:89], v[102:103] op_sel:[0,0,1] op_sel_hi:[1,1,0] neg_lo:[0,0,1] neg_hi:[0,0,1]
	v_pk_fma_f32 v[98:99], v[98:99], v[88:89], v[102:103] op_sel:[0,0,1] op_sel_hi:[1,0,0]
	s_delay_alu instid0(VALU_DEP_1) | instskip(SKIP_1) | instid1(VALU_DEP_1)
	v_mov_b32_e32 v105, v99
	v_pk_mul_f32 v[98:99], v[100:101], v[90:91] op_sel:[0,1]
	v_pk_fma_f32 v[102:103], v[100:101], v[88:89], v[98:99] op_sel:[0,0,1] op_sel_hi:[1,1,0] neg_lo:[0,0,1] neg_hi:[0,0,1]
	v_pk_fma_f32 v[98:99], v[100:101], v[88:89], v[98:99] op_sel:[0,0,1] op_sel_hi:[1,0,0]
	s_delay_alu instid0(VALU_DEP_1)
	v_mov_b32_e32 v103, v99
	ds_load_2addr_b64 v[98:101], v92 offset0:31 offset1:32
	v_pk_add_f32 v[38:39], v[38:39], v[104:105] neg_lo:[0,1] neg_hi:[0,1]
	v_pk_add_f32 v[40:41], v[40:41], v[102:103] neg_lo:[0,1] neg_hi:[0,1]
	s_wait_dscnt 0x0
	v_pk_mul_f32 v[102:103], v[98:99], v[90:91] op_sel:[0,1]
	s_delay_alu instid0(VALU_DEP_1) | instskip(SKIP_1) | instid1(VALU_DEP_1)
	v_pk_fma_f32 v[104:105], v[98:99], v[88:89], v[102:103] op_sel:[0,0,1] op_sel_hi:[1,1,0] neg_lo:[0,0,1] neg_hi:[0,0,1]
	v_pk_fma_f32 v[98:99], v[98:99], v[88:89], v[102:103] op_sel:[0,0,1] op_sel_hi:[1,0,0]
	v_mov_b32_e32 v105, v99
	v_pk_mul_f32 v[98:99], v[100:101], v[90:91] op_sel:[0,1]
	s_delay_alu instid0(VALU_DEP_1) | instskip(SKIP_1) | instid1(VALU_DEP_1)
	v_pk_fma_f32 v[102:103], v[100:101], v[88:89], v[98:99] op_sel:[0,0,1] op_sel_hi:[1,1,0] neg_lo:[0,0,1] neg_hi:[0,0,1]
	v_pk_fma_f32 v[98:99], v[100:101], v[88:89], v[98:99] op_sel:[0,0,1] op_sel_hi:[1,0,0]
	v_mov_b32_e32 v103, v99
	ds_load_2addr_b64 v[98:101], v92 offset0:33 offset1:34
	v_pk_add_f32 v[36:37], v[36:37], v[104:105] neg_lo:[0,1] neg_hi:[0,1]
	v_pk_add_f32 v[14:15], v[14:15], v[102:103] neg_lo:[0,1] neg_hi:[0,1]
	s_wait_dscnt 0x0
	v_dual_mul_f32 v102, v99, v91 :: v_dual_mul_f32 v104, v99, v88
	s_delay_alu instid0(VALU_DEP_1) | instskip(NEXT) | instid1(VALU_DEP_2)
	v_pk_fma_f32 v[102:103], v[98:99], v[26:27], v[102:103] op_sel_hi:[1,1,0] neg_lo:[0,0,1] neg_hi:[0,0,1]
	v_pk_fma_f32 v[98:99], v[98:99], v[26:27], v[104:105] op_sel:[1,0,0] op_sel_hi:[0,1,0]
	s_delay_alu instid0(VALU_DEP_1) | instskip(SKIP_1) | instid1(VALU_DEP_2)
	v_mov_b32_e32 v103, v99
	v_pk_mul_f32 v[98:99], v[100:101], v[90:91] op_sel:[0,1]
	v_pk_add_f32 v[10:11], v[10:11], v[102:103] neg_lo:[0,1] neg_hi:[0,1]
	s_delay_alu instid0(VALU_DEP_2) | instskip(SKIP_1) | instid1(VALU_DEP_1)
	v_pk_fma_f32 v[102:103], v[100:101], v[88:89], v[98:99] op_sel:[0,0,1] op_sel_hi:[1,1,0] neg_lo:[0,0,1] neg_hi:[0,0,1]
	v_pk_fma_f32 v[98:99], v[100:101], v[88:89], v[98:99] op_sel:[0,0,1] op_sel_hi:[1,0,0]
	v_mov_b32_e32 v103, v99
	ds_load_2addr_b64 v[98:101], v92 offset0:35 offset1:36
	v_pk_add_f32 v[12:13], v[12:13], v[102:103] neg_lo:[0,1] neg_hi:[0,1]
	s_wait_dscnt 0x0
	v_pk_mul_f32 v[102:103], v[98:99], v[90:91] op_sel:[0,1]
	s_delay_alu instid0(VALU_DEP_1) | instskip(SKIP_1) | instid1(VALU_DEP_1)
	v_pk_fma_f32 v[104:105], v[98:99], v[88:89], v[102:103] op_sel:[0,0,1] op_sel_hi:[1,1,0] neg_lo:[0,0,1] neg_hi:[0,0,1]
	v_pk_fma_f32 v[98:99], v[98:99], v[88:89], v[102:103] op_sel:[0,0,1] op_sel_hi:[1,0,0]
	v_mov_b32_e32 v105, v99
	v_pk_mul_f32 v[98:99], v[100:101], v[90:91] op_sel:[0,1]
	s_delay_alu instid0(VALU_DEP_2) | instskip(NEXT) | instid1(VALU_DEP_2)
	v_pk_add_f32 v[8:9], v[8:9], v[104:105] neg_lo:[0,1] neg_hi:[0,1]
	v_pk_fma_f32 v[102:103], v[100:101], v[88:89], v[98:99] op_sel:[0,0,1] op_sel_hi:[1,1,0] neg_lo:[0,0,1] neg_hi:[0,0,1]
	v_pk_fma_f32 v[98:99], v[100:101], v[88:89], v[98:99] op_sel:[0,0,1] op_sel_hi:[1,0,0]
	s_delay_alu instid0(VALU_DEP_1) | instskip(SKIP_4) | instid1(VALU_DEP_1)
	v_mov_b32_e32 v103, v99
	ds_load_2addr_b64 v[98:101], v92 offset0:37 offset1:38
	v_pk_add_f32 v[6:7], v[6:7], v[102:103] neg_lo:[0,1] neg_hi:[0,1]
	s_wait_dscnt 0x0
	v_pk_mul_f32 v[102:103], v[98:99], v[90:91] op_sel:[0,1]
	v_pk_fma_f32 v[104:105], v[98:99], v[88:89], v[102:103] op_sel:[0,0,1] op_sel_hi:[1,1,0] neg_lo:[0,0,1] neg_hi:[0,0,1]
	v_pk_fma_f32 v[98:99], v[98:99], v[88:89], v[102:103] op_sel:[0,0,1] op_sel_hi:[1,0,0]
	v_dual_mul_f32 v102, v101, v91 :: v_dual_mov_b32 v98, v101
	s_delay_alu instid0(VALU_DEP_2) | instskip(NEXT) | instid1(VALU_DEP_2)
	v_dual_mov_b32 v105, v99 :: v_dual_mov_b32 v99, v100
	v_pk_fma_f32 v[102:103], v[100:101], v[26:27], v[102:103] op_sel_hi:[1,1,0] neg_lo:[0,0,1] neg_hi:[0,0,1]
	v_mul_f32_e32 v100, v101, v88
	s_delay_alu instid0(VALU_DEP_3) | instskip(NEXT) | instid1(VALU_DEP_2)
	v_pk_add_f32 v[44:45], v[44:45], v[104:105] neg_lo:[0,1] neg_hi:[0,1]
	v_pk_fma_f32 v[98:99], v[98:99], v[26:27], v[100:101] op_sel_hi:[1,1,0]
	s_delay_alu instid0(VALU_DEP_1)
	v_mov_b32_e32 v103, v99
	ds_load_2addr_b64 v[98:101], v92 offset0:39 offset1:40
	v_pk_add_f32 v[22:23], v[22:23], v[102:103] neg_lo:[0,1] neg_hi:[0,1]
	s_wait_dscnt 0x0
	v_pk_mul_f32 v[102:103], v[98:99], v[90:91] op_sel:[0,1]
	v_mul_f32_e32 v90, v101, v91
	s_delay_alu instid0(VALU_DEP_2) | instskip(SKIP_2) | instid1(VALU_DEP_4)
	v_pk_fma_f32 v[104:105], v[98:99], v[88:89], v[102:103] op_sel:[0,0,1] op_sel_hi:[1,1,0] neg_lo:[0,0,1] neg_hi:[0,0,1]
	v_pk_fma_f32 v[98:99], v[98:99], v[88:89], v[102:103] op_sel:[0,0,1] op_sel_hi:[1,0,0]
	v_dual_mov_b32 v98, v101 :: v_dual_mul_f32 v88, v101, v88
	v_pk_fma_f32 v[90:91], v[100:101], v[26:27], v[90:91] op_sel_hi:[1,1,0] neg_lo:[0,0,1] neg_hi:[0,0,1]
	s_delay_alu instid0(VALU_DEP_3) | instskip(NEXT) | instid1(VALU_DEP_1)
	v_dual_mov_b32 v105, v99 :: v_dual_mov_b32 v99, v100
	v_pk_add_f32 v[16:17], v[16:17], v[104:105] neg_lo:[0,1] neg_hi:[0,1]
	s_delay_alu instid0(VALU_DEP_2) | instskip(NEXT) | instid1(VALU_DEP_1)
	v_pk_fma_f32 v[88:89], v[98:99], v[26:27], v[88:89] op_sel_hi:[1,1,0]
	v_mov_b32_e32 v91, v89
	s_delay_alu instid0(VALU_DEP_1)
	v_pk_add_f32 v[86:87], v[86:87], v[90:91] neg_lo:[0,1] neg_hi:[0,1]
.LBB80_104:
	s_or_b32 exec_lo, exec_lo, s0
	v_lshl_add_u32 v88, v96, 3, v92
	s_barrier_signal -1
	s_barrier_wait -1
	ds_store_b64 v88, v[20:21]
	s_wait_dscnt 0x0
	s_barrier_signal -1
	s_barrier_wait -1
	ds_load_b64 v[90:91], v92 offset:40
	v_mov_b32_e32 v88, 5
	s_cmp_lt_i32 s18, 7
	s_cbranch_scc1 .LBB80_107
; %bb.105:
	v_add3_u32 v89, v93, 0, 48
	v_mov_b32_e32 v88, 5
	s_mov_b32 s0, 6
.LBB80_106:                             ; =>This Inner Loop Header: Depth=1
	ds_load_b64 v[98:99], v89
	s_wait_dscnt 0x1
	v_cmp_gt_f32_e32 vcc_lo, 0, v90
	v_cndmask_b32_e64 v100, v90, -v90, vcc_lo
	v_cmp_gt_f32_e32 vcc_lo, 0, v91
	v_cndmask_b32_e64 v102, v91, -v91, vcc_lo
	s_wait_dscnt 0x0
	v_cmp_gt_f32_e32 vcc_lo, 0, v98
	v_cndmask_b32_e64 v101, v98, -v98, vcc_lo
	v_cmp_gt_f32_e32 vcc_lo, 0, v99
	v_cndmask_b32_e64 v103, v99, -v99, vcc_lo
	s_delay_alu instid0(VALU_DEP_1) | instskip(NEXT) | instid1(VALU_DEP_1)
	v_pk_add_f32 v[100:101], v[100:101], v[102:103]
	v_cmp_lt_f32_e32 vcc_lo, v100, v101
	v_dual_add_nc_u32 v89, 8, v89 :: v_dual_cndmask_b32 v91, v91, v99, vcc_lo
	v_cndmask_b32_e32 v90, v90, v98, vcc_lo
	v_cndmask_b32_e64 v88, v88, s0, vcc_lo
	s_add_co_i32 s0, s0, 1
	s_delay_alu instid0(SALU_CYCLE_1)
	s_cmp_lg_u32 s18, s0
	s_cbranch_scc1 .LBB80_106
.LBB80_107:
	s_wait_dscnt 0x0
	v_cmp_eq_f32_e32 vcc_lo, 0, v90
	v_cmp_eq_f32_e64 s0, 0, v91
	s_and_b32 s0, vcc_lo, s0
	s_delay_alu instid0(SALU_CYCLE_1) | instskip(NEXT) | instid1(SALU_CYCLE_1)
	s_and_saveexec_b32 s1, s0
	s_xor_b32 s0, exec_lo, s1
; %bb.108:
	v_cmp_ne_u32_e32 vcc_lo, 0, v94
	v_cndmask_b32_e32 v94, 6, v94, vcc_lo
; %bb.109:
	s_and_not1_saveexec_b32 s0, s0
	s_cbranch_execz .LBB80_115
; %bb.110:
	v_cmp_ngt_f32_e64 s1, |v90|, |v91|
	s_and_saveexec_b32 s12, s1
	s_delay_alu instid0(SALU_CYCLE_1)
	s_xor_b32 s1, exec_lo, s12
	s_cbranch_execz .LBB80_112
; %bb.111:
	v_div_scale_f32 v89, null, v91, v91, v90
	v_div_scale_f32 v99, vcc_lo, v90, v91, v90
	s_delay_alu instid0(VALU_DEP_2) | instskip(SKIP_1) | instid1(TRANS32_DEP_1)
	v_rcp_f32_e32 v97, v89
	v_nop
	v_fma_f32 v98, -v89, v97, 1.0
	s_delay_alu instid0(VALU_DEP_1) | instskip(NEXT) | instid1(VALU_DEP_1)
	v_fmac_f32_e32 v97, v98, v97
	v_mul_f32_e32 v98, v99, v97
	s_delay_alu instid0(VALU_DEP_1) | instskip(NEXT) | instid1(VALU_DEP_1)
	v_fma_f32 v100, -v89, v98, v99
	v_fmac_f32_e32 v98, v100, v97
	s_delay_alu instid0(VALU_DEP_1) | instskip(NEXT) | instid1(VALU_DEP_1)
	v_fma_f32 v89, -v89, v98, v99
	v_div_fmas_f32 v89, v89, v97, v98
	s_delay_alu instid0(VALU_DEP_1) | instskip(NEXT) | instid1(VALU_DEP_1)
	v_div_fixup_f32 v89, v89, v91, v90
	v_fmac_f32_e32 v91, v90, v89
	s_delay_alu instid0(VALU_DEP_1) | instskip(SKIP_1) | instid1(VALU_DEP_2)
	v_div_scale_f32 v90, null, v91, v91, 1.0
	v_div_scale_f32 v99, vcc_lo, 1.0, v91, 1.0
	v_rcp_f32_e32 v97, v90
	v_nop
	s_delay_alu instid0(TRANS32_DEP_1) | instskip(NEXT) | instid1(VALU_DEP_1)
	v_fma_f32 v98, -v90, v97, 1.0
	v_fmac_f32_e32 v97, v98, v97
	s_delay_alu instid0(VALU_DEP_1) | instskip(NEXT) | instid1(VALU_DEP_1)
	v_mul_f32_e32 v98, v99, v97
	v_fma_f32 v100, -v90, v98, v99
	s_delay_alu instid0(VALU_DEP_1) | instskip(NEXT) | instid1(VALU_DEP_1)
	v_fmac_f32_e32 v98, v100, v97
	v_fma_f32 v90, -v90, v98, v99
	s_delay_alu instid0(VALU_DEP_1) | instskip(NEXT) | instid1(VALU_DEP_1)
	v_div_fmas_f32 v90, v90, v97, v98
	v_div_fixup_f32 v91, v90, v91, 1.0
	s_delay_alu instid0(VALU_DEP_1)
	v_mul_f32_e32 v90, v89, v91
	v_xor_b32_e32 v91, 0x80000000, v91
.LBB80_112:
	s_and_not1_saveexec_b32 s1, s1
	s_cbranch_execz .LBB80_114
; %bb.113:
	s_delay_alu instid0(VALU_DEP_1) | instskip(SKIP_1) | instid1(VALU_DEP_2)
	v_div_scale_f32 v89, null, v90, v90, v91
	v_div_scale_f32 v99, vcc_lo, v91, v90, v91
	v_rcp_f32_e32 v97, v89
	v_nop
	s_delay_alu instid0(TRANS32_DEP_1) | instskip(NEXT) | instid1(VALU_DEP_1)
	v_fma_f32 v98, -v89, v97, 1.0
	v_fmac_f32_e32 v97, v98, v97
	s_delay_alu instid0(VALU_DEP_1) | instskip(NEXT) | instid1(VALU_DEP_1)
	v_mul_f32_e32 v98, v99, v97
	v_fma_f32 v100, -v89, v98, v99
	s_delay_alu instid0(VALU_DEP_1) | instskip(NEXT) | instid1(VALU_DEP_1)
	v_fmac_f32_e32 v98, v100, v97
	v_fma_f32 v89, -v89, v98, v99
	s_delay_alu instid0(VALU_DEP_1) | instskip(NEXT) | instid1(VALU_DEP_1)
	v_div_fmas_f32 v89, v89, v97, v98
	v_div_fixup_f32 v89, v89, v90, v91
	s_delay_alu instid0(VALU_DEP_1) | instskip(NEXT) | instid1(VALU_DEP_1)
	v_fmac_f32_e32 v90, v91, v89
	v_div_scale_f32 v91, null, v90, v90, 1.0
	s_delay_alu instid0(VALU_DEP_1) | instskip(SKIP_1) | instid1(TRANS32_DEP_1)
	v_rcp_f32_e32 v97, v91
	v_nop
	v_fma_f32 v98, -v91, v97, 1.0
	s_delay_alu instid0(VALU_DEP_1) | instskip(SKIP_1) | instid1(VALU_DEP_1)
	v_fmac_f32_e32 v97, v98, v97
	v_div_scale_f32 v98, vcc_lo, 1.0, v90, 1.0
	v_mul_f32_e32 v99, v98, v97
	s_delay_alu instid0(VALU_DEP_1) | instskip(NEXT) | instid1(VALU_DEP_1)
	v_fma_f32 v100, -v91, v99, v98
	v_fmac_f32_e32 v99, v100, v97
	s_delay_alu instid0(VALU_DEP_1) | instskip(NEXT) | instid1(VALU_DEP_1)
	v_fma_f32 v91, -v91, v99, v98
	v_div_fmas_f32 v91, v91, v97, v99
	s_delay_alu instid0(VALU_DEP_1) | instskip(NEXT) | instid1(VALU_DEP_1)
	v_div_fixup_f32 v90, v91, v90, 1.0
	v_mul_f32_e64 v91, v89, -v90
.LBB80_114:
	s_or_b32 exec_lo, exec_lo, s1
.LBB80_115:
	s_delay_alu instid0(SALU_CYCLE_1) | instskip(NEXT) | instid1(SALU_CYCLE_1)
	s_or_b32 exec_lo, exec_lo, s0
	s_mov_b32 s0, exec_lo
	v_cmpx_ne_u32_e64 v96, v88
	s_xor_b32 s0, exec_lo, s0
	s_cbranch_execz .LBB80_121
; %bb.116:
	s_mov_b32 s1, exec_lo
	v_cmpx_eq_u32_e32 5, v96
	s_cbranch_execz .LBB80_120
; %bb.117:
	v_cmp_ne_u32_e32 vcc_lo, 5, v88
	s_xor_b32 s12, s16, -1
	s_delay_alu instid0(SALU_CYCLE_1) | instskip(NEXT) | instid1(SALU_CYCLE_1)
	s_and_b32 s13, s12, vcc_lo
	s_and_saveexec_b32 s12, s13
	s_cbranch_execz .LBB80_119
; %bb.118:
	v_ashrrev_i32_e32 v89, 31, v88
	s_delay_alu instid0(VALU_DEP_1)
	v_lshl_add_u64 v[96:97], v[88:89], 2, v[4:5]
	s_clause 0x1
	global_load_b32 v89, v[96:97], off
	global_load_b32 v95, v[4:5], off offset:20
	s_wait_loadcnt 0x1
	global_store_b32 v[4:5], v89, off offset:20
	s_wait_loadcnt 0x0
	global_store_b32 v[96:97], v95, off
.LBB80_119:
	s_wait_xcnt 0x0
	s_or_b32 exec_lo, exec_lo, s12
	v_dual_mov_b32 v96, v88 :: v_dual_mov_b32 v95, v88
.LBB80_120:
	s_or_b32 exec_lo, exec_lo, s1
.LBB80_121:
	s_and_not1_saveexec_b32 s0, s0
	s_cbranch_execz .LBB80_123
; %bb.122:
	v_dual_mov_b32 v88, v24 :: v_dual_mov_b32 v89, v25
	v_dual_mov_b32 v96, v18 :: v_dual_mov_b32 v97, v19
	ds_store_2addr_b64 v92, v[88:89], v[96:97] offset0:6 offset1:7
	v_dual_mov_b32 v88, v34 :: v_dual_mov_b32 v89, v35
	v_dual_mov_b32 v96, v30 :: v_dual_mov_b32 v97, v31
	ds_store_2addr_b64 v92, v[88:89], v[96:97] offset0:8 offset1:9
	;; [unrolled: 3-line block ×17, first 2 shown]
	ds_store_b64 v92, v[86:87] offset:320
	v_mov_b32_e32 v96, 5
.LBB80_123:
	s_or_b32 exec_lo, exec_lo, s0
	s_delay_alu instid0(SALU_CYCLE_1)
	s_mov_b32 s0, exec_lo
	s_wait_storecnt_dscnt 0x0
	s_barrier_signal -1
	s_barrier_wait -1
	v_cmpx_lt_i32_e32 5, v96
	s_cbranch_execz .LBB80_125
; %bb.124:
	v_pk_mul_f32 v[98:99], v[90:91], v[20:21] op_sel:[1,1] op_sel_hi:[0,1]
	s_delay_alu instid0(VALU_DEP_1)
	v_pk_fma_f32 v[88:89], v[90:91], v[20:21], v[98:99] op_sel_hi:[1,0,1] neg_lo:[0,0,1] neg_hi:[0,0,1]
	v_pk_fma_f32 v[90:91], v[90:91], v[20:21], v[98:99] op_sel_hi:[1,0,1]
	ds_load_2addr_b64 v[98:101], v92 offset0:6 offset1:7
	v_dual_mov_b32 v20, v88 :: v_dual_mov_b32 v21, v91
	s_wait_dscnt 0x0
	v_pk_mul_f32 v[102:103], v[98:99], v[90:91] op_sel:[0,1]
	s_delay_alu instid0(VALU_DEP_1) | instskip(SKIP_1) | instid1(VALU_DEP_1)
	v_pk_fma_f32 v[104:105], v[98:99], v[88:89], v[102:103] op_sel:[0,0,1] op_sel_hi:[1,1,0] neg_lo:[0,0,1] neg_hi:[0,0,1]
	v_pk_fma_f32 v[98:99], v[98:99], v[88:89], v[102:103] op_sel:[0,0,1] op_sel_hi:[1,0,0]
	v_mov_b32_e32 v105, v99
	v_pk_mul_f32 v[98:99], v[100:101], v[90:91] op_sel:[0,1]
	s_delay_alu instid0(VALU_DEP_1) | instskip(SKIP_1) | instid1(VALU_DEP_1)
	v_pk_fma_f32 v[102:103], v[100:101], v[88:89], v[98:99] op_sel:[0,0,1] op_sel_hi:[1,1,0] neg_lo:[0,0,1] neg_hi:[0,0,1]
	v_pk_fma_f32 v[98:99], v[100:101], v[88:89], v[98:99] op_sel:[0,0,1] op_sel_hi:[1,0,0]
	v_mov_b32_e32 v103, v99
	ds_load_2addr_b64 v[98:101], v92 offset0:8 offset1:9
	v_pk_add_f32 v[24:25], v[24:25], v[104:105] neg_lo:[0,1] neg_hi:[0,1]
	v_pk_add_f32 v[18:19], v[18:19], v[102:103] neg_lo:[0,1] neg_hi:[0,1]
	s_wait_dscnt 0x0
	v_pk_mul_f32 v[102:103], v[98:99], v[90:91] op_sel:[0,1]
	s_delay_alu instid0(VALU_DEP_1) | instskip(SKIP_2) | instid1(VALU_DEP_2)
	v_pk_fma_f32 v[104:105], v[98:99], v[88:89], v[102:103] op_sel:[0,0,1] op_sel_hi:[1,1,0] neg_lo:[0,0,1] neg_hi:[0,0,1]
	v_pk_fma_f32 v[98:99], v[98:99], v[88:89], v[102:103] op_sel:[0,0,1] op_sel_hi:[1,0,0]
	v_dual_mul_f32 v102, v101, v91 :: v_dual_mov_b32 v98, v101
	v_dual_mov_b32 v105, v99 :: v_dual_mov_b32 v99, v100
	s_delay_alu instid0(VALU_DEP_2) | instskip(SKIP_1) | instid1(VALU_DEP_3)
	v_pk_fma_f32 v[102:103], v[100:101], v[20:21], v[102:103] op_sel_hi:[1,1,0] neg_lo:[0,0,1] neg_hi:[0,0,1]
	v_mul_f32_e32 v100, v101, v88
	v_pk_add_f32 v[34:35], v[34:35], v[104:105] neg_lo:[0,1] neg_hi:[0,1]
	s_delay_alu instid0(VALU_DEP_2) | instskip(NEXT) | instid1(VALU_DEP_1)
	v_pk_fma_f32 v[98:99], v[98:99], v[20:21], v[100:101] op_sel_hi:[1,1,0]
	v_mov_b32_e32 v103, v99
	ds_load_2addr_b64 v[98:101], v92 offset0:10 offset1:11
	v_pk_add_f32 v[30:31], v[30:31], v[102:103] neg_lo:[0,1] neg_hi:[0,1]
	s_wait_dscnt 0x0
	v_pk_mul_f32 v[102:103], v[98:99], v[90:91] op_sel:[0,1]
	s_delay_alu instid0(VALU_DEP_1) | instskip(SKIP_1) | instid1(VALU_DEP_1)
	v_pk_fma_f32 v[104:105], v[98:99], v[88:89], v[102:103] op_sel:[0,0,1] op_sel_hi:[1,1,0] neg_lo:[0,0,1] neg_hi:[0,0,1]
	v_pk_fma_f32 v[98:99], v[98:99], v[88:89], v[102:103] op_sel:[0,0,1] op_sel_hi:[1,0,0]
	v_mov_b32_e32 v105, v99
	v_pk_mul_f32 v[98:99], v[100:101], v[90:91] op_sel:[0,1]
	s_delay_alu instid0(VALU_DEP_1) | instskip(SKIP_1) | instid1(VALU_DEP_1)
	v_pk_fma_f32 v[102:103], v[100:101], v[88:89], v[98:99] op_sel:[0,0,1] op_sel_hi:[1,1,0] neg_lo:[0,0,1] neg_hi:[0,0,1]
	v_pk_fma_f32 v[98:99], v[100:101], v[88:89], v[98:99] op_sel:[0,0,1] op_sel_hi:[1,0,0]
	v_mov_b32_e32 v103, v99
	ds_load_2addr_b64 v[98:101], v92 offset0:12 offset1:13
	v_pk_add_f32 v[32:33], v[32:33], v[104:105] neg_lo:[0,1] neg_hi:[0,1]
	v_pk_add_f32 v[28:29], v[28:29], v[102:103] neg_lo:[0,1] neg_hi:[0,1]
	s_wait_dscnt 0x0
	v_pk_mul_f32 v[102:103], v[98:99], v[90:91] op_sel:[0,1]
	s_delay_alu instid0(VALU_DEP_1) | instskip(SKIP_1) | instid1(VALU_DEP_1)
	v_pk_fma_f32 v[104:105], v[98:99], v[88:89], v[102:103] op_sel:[0,0,1] op_sel_hi:[1,1,0] neg_lo:[0,0,1] neg_hi:[0,0,1]
	v_pk_fma_f32 v[98:99], v[98:99], v[88:89], v[102:103] op_sel:[0,0,1] op_sel_hi:[1,0,0]
	v_mov_b32_e32 v105, v99
	v_pk_mul_f32 v[98:99], v[100:101], v[90:91] op_sel:[0,1]
	s_delay_alu instid0(VALU_DEP_1) | instskip(SKIP_1) | instid1(VALU_DEP_1)
	v_pk_fma_f32 v[102:103], v[100:101], v[88:89], v[98:99] op_sel:[0,0,1] op_sel_hi:[1,1,0] neg_lo:[0,0,1] neg_hi:[0,0,1]
	v_pk_fma_f32 v[98:99], v[100:101], v[88:89], v[98:99] op_sel:[0,0,1] op_sel_hi:[1,0,0]
	v_mov_b32_e32 v103, v99
	ds_load_2addr_b64 v[98:101], v92 offset0:14 offset1:15
	v_pk_add_f32 v[76:77], v[76:77], v[104:105] neg_lo:[0,1] neg_hi:[0,1]
	v_pk_add_f32 v[72:73], v[72:73], v[102:103] neg_lo:[0,1] neg_hi:[0,1]
	s_wait_dscnt 0x0
	v_dual_mul_f32 v102, v99, v91 :: v_dual_mul_f32 v104, v99, v88
	s_delay_alu instid0(VALU_DEP_1) | instskip(NEXT) | instid1(VALU_DEP_2)
	v_pk_fma_f32 v[102:103], v[98:99], v[20:21], v[102:103] op_sel_hi:[1,1,0] neg_lo:[0,0,1] neg_hi:[0,0,1]
	v_pk_fma_f32 v[98:99], v[98:99], v[20:21], v[104:105] op_sel:[1,0,0] op_sel_hi:[0,1,0]
	s_delay_alu instid0(VALU_DEP_1) | instskip(SKIP_1) | instid1(VALU_DEP_2)
	v_mov_b32_e32 v103, v99
	v_pk_mul_f32 v[98:99], v[100:101], v[90:91] op_sel:[0,1]
	v_pk_add_f32 v[74:75], v[74:75], v[102:103] neg_lo:[0,1] neg_hi:[0,1]
	s_delay_alu instid0(VALU_DEP_2) | instskip(SKIP_1) | instid1(VALU_DEP_1)
	v_pk_fma_f32 v[102:103], v[100:101], v[88:89], v[98:99] op_sel:[0,0,1] op_sel_hi:[1,1,0] neg_lo:[0,0,1] neg_hi:[0,0,1]
	v_pk_fma_f32 v[98:99], v[100:101], v[88:89], v[98:99] op_sel:[0,0,1] op_sel_hi:[1,0,0]
	v_mov_b32_e32 v103, v99
	ds_load_2addr_b64 v[98:101], v92 offset0:16 offset1:17
	v_pk_add_f32 v[70:71], v[70:71], v[102:103] neg_lo:[0,1] neg_hi:[0,1]
	s_wait_dscnt 0x0
	v_pk_mul_f32 v[102:103], v[98:99], v[90:91] op_sel:[0,1]
	s_delay_alu instid0(VALU_DEP_1) | instskip(SKIP_1) | instid1(VALU_DEP_1)
	v_pk_fma_f32 v[104:105], v[98:99], v[88:89], v[102:103] op_sel:[0,0,1] op_sel_hi:[1,1,0] neg_lo:[0,0,1] neg_hi:[0,0,1]
	v_pk_fma_f32 v[98:99], v[98:99], v[88:89], v[102:103] op_sel:[0,0,1] op_sel_hi:[1,0,0]
	v_mov_b32_e32 v105, v99
	v_pk_mul_f32 v[98:99], v[100:101], v[90:91] op_sel:[0,1]
	s_delay_alu instid0(VALU_DEP_2) | instskip(NEXT) | instid1(VALU_DEP_2)
	v_pk_add_f32 v[68:69], v[68:69], v[104:105] neg_lo:[0,1] neg_hi:[0,1]
	v_pk_fma_f32 v[102:103], v[100:101], v[88:89], v[98:99] op_sel:[0,0,1] op_sel_hi:[1,1,0] neg_lo:[0,0,1] neg_hi:[0,0,1]
	v_pk_fma_f32 v[98:99], v[100:101], v[88:89], v[98:99] op_sel:[0,0,1] op_sel_hi:[1,0,0]
	s_delay_alu instid0(VALU_DEP_1) | instskip(SKIP_4) | instid1(VALU_DEP_1)
	v_mov_b32_e32 v103, v99
	ds_load_2addr_b64 v[98:101], v92 offset0:18 offset1:19
	v_pk_add_f32 v[64:65], v[64:65], v[102:103] neg_lo:[0,1] neg_hi:[0,1]
	s_wait_dscnt 0x0
	v_pk_mul_f32 v[102:103], v[98:99], v[90:91] op_sel:[0,1]
	v_pk_fma_f32 v[104:105], v[98:99], v[88:89], v[102:103] op_sel:[0,0,1] op_sel_hi:[1,1,0] neg_lo:[0,0,1] neg_hi:[0,0,1]
	v_pk_fma_f32 v[98:99], v[98:99], v[88:89], v[102:103] op_sel:[0,0,1] op_sel_hi:[1,0,0]
	v_dual_mul_f32 v102, v101, v91 :: v_dual_mov_b32 v98, v101
	s_delay_alu instid0(VALU_DEP_2) | instskip(NEXT) | instid1(VALU_DEP_2)
	v_dual_mov_b32 v105, v99 :: v_dual_mov_b32 v99, v100
	v_pk_fma_f32 v[102:103], v[100:101], v[20:21], v[102:103] op_sel_hi:[1,1,0] neg_lo:[0,0,1] neg_hi:[0,0,1]
	v_mul_f32_e32 v100, v101, v88
	s_delay_alu instid0(VALU_DEP_3) | instskip(NEXT) | instid1(VALU_DEP_2)
	v_pk_add_f32 v[66:67], v[66:67], v[104:105] neg_lo:[0,1] neg_hi:[0,1]
	v_pk_fma_f32 v[98:99], v[98:99], v[20:21], v[100:101] op_sel_hi:[1,1,0]
	s_delay_alu instid0(VALU_DEP_1) | instskip(SKIP_4) | instid1(VALU_DEP_1)
	v_mov_b32_e32 v103, v99
	ds_load_2addr_b64 v[98:101], v92 offset0:20 offset1:21
	v_pk_add_f32 v[62:63], v[62:63], v[102:103] neg_lo:[0,1] neg_hi:[0,1]
	s_wait_dscnt 0x0
	v_pk_mul_f32 v[102:103], v[98:99], v[90:91] op_sel:[0,1]
	v_pk_fma_f32 v[104:105], v[98:99], v[88:89], v[102:103] op_sel:[0,0,1] op_sel_hi:[1,1,0] neg_lo:[0,0,1] neg_hi:[0,0,1]
	v_pk_fma_f32 v[98:99], v[98:99], v[88:89], v[102:103] op_sel:[0,0,1] op_sel_hi:[1,0,0]
	s_delay_alu instid0(VALU_DEP_1) | instskip(SKIP_1) | instid1(VALU_DEP_1)
	v_mov_b32_e32 v105, v99
	v_pk_mul_f32 v[98:99], v[100:101], v[90:91] op_sel:[0,1]
	v_pk_fma_f32 v[102:103], v[100:101], v[88:89], v[98:99] op_sel:[0,0,1] op_sel_hi:[1,1,0] neg_lo:[0,0,1] neg_hi:[0,0,1]
	v_pk_fma_f32 v[98:99], v[100:101], v[88:89], v[98:99] op_sel:[0,0,1] op_sel_hi:[1,0,0]
	s_delay_alu instid0(VALU_DEP_1)
	v_mov_b32_e32 v103, v99
	ds_load_2addr_b64 v[98:101], v92 offset0:22 offset1:23
	v_pk_add_f32 v[60:61], v[60:61], v[104:105] neg_lo:[0,1] neg_hi:[0,1]
	v_pk_add_f32 v[56:57], v[56:57], v[102:103] neg_lo:[0,1] neg_hi:[0,1]
	s_wait_dscnt 0x0
	v_pk_mul_f32 v[102:103], v[98:99], v[90:91] op_sel:[0,1]
	s_delay_alu instid0(VALU_DEP_1) | instskip(SKIP_1) | instid1(VALU_DEP_1)
	v_pk_fma_f32 v[104:105], v[98:99], v[88:89], v[102:103] op_sel:[0,0,1] op_sel_hi:[1,1,0] neg_lo:[0,0,1] neg_hi:[0,0,1]
	v_pk_fma_f32 v[98:99], v[98:99], v[88:89], v[102:103] op_sel:[0,0,1] op_sel_hi:[1,0,0]
	v_mov_b32_e32 v105, v99
	v_pk_mul_f32 v[98:99], v[100:101], v[90:91] op_sel:[0,1]
	s_delay_alu instid0(VALU_DEP_1) | instskip(SKIP_1) | instid1(VALU_DEP_1)
	v_pk_fma_f32 v[102:103], v[100:101], v[88:89], v[98:99] op_sel:[0,0,1] op_sel_hi:[1,1,0] neg_lo:[0,0,1] neg_hi:[0,0,1]
	v_pk_fma_f32 v[98:99], v[100:101], v[88:89], v[98:99] op_sel:[0,0,1] op_sel_hi:[1,0,0]
	v_mov_b32_e32 v103, v99
	ds_load_2addr_b64 v[98:101], v92 offset0:24 offset1:25
	v_pk_add_f32 v[58:59], v[58:59], v[104:105] neg_lo:[0,1] neg_hi:[0,1]
	v_pk_add_f32 v[54:55], v[54:55], v[102:103] neg_lo:[0,1] neg_hi:[0,1]
	s_wait_dscnt 0x0
	v_dual_mul_f32 v102, v99, v91 :: v_dual_mul_f32 v104, v99, v88
	s_delay_alu instid0(VALU_DEP_1) | instskip(NEXT) | instid1(VALU_DEP_2)
	v_pk_fma_f32 v[102:103], v[98:99], v[20:21], v[102:103] op_sel_hi:[1,1,0] neg_lo:[0,0,1] neg_hi:[0,0,1]
	v_pk_fma_f32 v[98:99], v[98:99], v[20:21], v[104:105] op_sel:[1,0,0] op_sel_hi:[0,1,0]
	s_delay_alu instid0(VALU_DEP_1) | instskip(SKIP_1) | instid1(VALU_DEP_2)
	v_mov_b32_e32 v103, v99
	v_pk_mul_f32 v[98:99], v[100:101], v[90:91] op_sel:[0,1]
	v_pk_add_f32 v[52:53], v[52:53], v[102:103] neg_lo:[0,1] neg_hi:[0,1]
	s_delay_alu instid0(VALU_DEP_2) | instskip(SKIP_1) | instid1(VALU_DEP_1)
	v_pk_fma_f32 v[102:103], v[100:101], v[88:89], v[98:99] op_sel:[0,0,1] op_sel_hi:[1,1,0] neg_lo:[0,0,1] neg_hi:[0,0,1]
	v_pk_fma_f32 v[98:99], v[100:101], v[88:89], v[98:99] op_sel:[0,0,1] op_sel_hi:[1,0,0]
	v_mov_b32_e32 v103, v99
	ds_load_2addr_b64 v[98:101], v92 offset0:26 offset1:27
	v_pk_add_f32 v[48:49], v[48:49], v[102:103] neg_lo:[0,1] neg_hi:[0,1]
	s_wait_dscnt 0x0
	v_pk_mul_f32 v[102:103], v[98:99], v[90:91] op_sel:[0,1]
	s_delay_alu instid0(VALU_DEP_1) | instskip(SKIP_1) | instid1(VALU_DEP_1)
	v_pk_fma_f32 v[104:105], v[98:99], v[88:89], v[102:103] op_sel:[0,0,1] op_sel_hi:[1,1,0] neg_lo:[0,0,1] neg_hi:[0,0,1]
	v_pk_fma_f32 v[98:99], v[98:99], v[88:89], v[102:103] op_sel:[0,0,1] op_sel_hi:[1,0,0]
	v_mov_b32_e32 v105, v99
	v_pk_mul_f32 v[98:99], v[100:101], v[90:91] op_sel:[0,1]
	s_delay_alu instid0(VALU_DEP_2) | instskip(NEXT) | instid1(VALU_DEP_2)
	v_pk_add_f32 v[50:51], v[50:51], v[104:105] neg_lo:[0,1] neg_hi:[0,1]
	v_pk_fma_f32 v[102:103], v[100:101], v[88:89], v[98:99] op_sel:[0,0,1] op_sel_hi:[1,1,0] neg_lo:[0,0,1] neg_hi:[0,0,1]
	v_pk_fma_f32 v[98:99], v[100:101], v[88:89], v[98:99] op_sel:[0,0,1] op_sel_hi:[1,0,0]
	s_delay_alu instid0(VALU_DEP_1) | instskip(SKIP_4) | instid1(VALU_DEP_1)
	v_mov_b32_e32 v103, v99
	ds_load_2addr_b64 v[98:101], v92 offset0:28 offset1:29
	v_pk_add_f32 v[46:47], v[46:47], v[102:103] neg_lo:[0,1] neg_hi:[0,1]
	s_wait_dscnt 0x0
	v_pk_mul_f32 v[102:103], v[98:99], v[90:91] op_sel:[0,1]
	v_pk_fma_f32 v[104:105], v[98:99], v[88:89], v[102:103] op_sel:[0,0,1] op_sel_hi:[1,1,0] neg_lo:[0,0,1] neg_hi:[0,0,1]
	v_pk_fma_f32 v[98:99], v[98:99], v[88:89], v[102:103] op_sel:[0,0,1] op_sel_hi:[1,0,0]
	v_dual_mul_f32 v102, v101, v91 :: v_dual_mov_b32 v98, v101
	s_delay_alu instid0(VALU_DEP_2) | instskip(NEXT) | instid1(VALU_DEP_2)
	v_dual_mov_b32 v105, v99 :: v_dual_mov_b32 v99, v100
	v_pk_fma_f32 v[102:103], v[100:101], v[20:21], v[102:103] op_sel_hi:[1,1,0] neg_lo:[0,0,1] neg_hi:[0,0,1]
	v_mul_f32_e32 v100, v101, v88
	s_delay_alu instid0(VALU_DEP_3) | instskip(NEXT) | instid1(VALU_DEP_2)
	v_pk_add_f32 v[42:43], v[42:43], v[104:105] neg_lo:[0,1] neg_hi:[0,1]
	v_pk_fma_f32 v[98:99], v[98:99], v[20:21], v[100:101] op_sel_hi:[1,1,0]
	s_delay_alu instid0(VALU_DEP_1) | instskip(SKIP_4) | instid1(VALU_DEP_1)
	v_mov_b32_e32 v103, v99
	ds_load_2addr_b64 v[98:101], v92 offset0:30 offset1:31
	v_pk_add_f32 v[38:39], v[38:39], v[102:103] neg_lo:[0,1] neg_hi:[0,1]
	s_wait_dscnt 0x0
	v_pk_mul_f32 v[102:103], v[98:99], v[90:91] op_sel:[0,1]
	v_pk_fma_f32 v[104:105], v[98:99], v[88:89], v[102:103] op_sel:[0,0,1] op_sel_hi:[1,1,0] neg_lo:[0,0,1] neg_hi:[0,0,1]
	v_pk_fma_f32 v[98:99], v[98:99], v[88:89], v[102:103] op_sel:[0,0,1] op_sel_hi:[1,0,0]
	s_delay_alu instid0(VALU_DEP_1) | instskip(SKIP_1) | instid1(VALU_DEP_1)
	v_mov_b32_e32 v105, v99
	v_pk_mul_f32 v[98:99], v[100:101], v[90:91] op_sel:[0,1]
	v_pk_fma_f32 v[102:103], v[100:101], v[88:89], v[98:99] op_sel:[0,0,1] op_sel_hi:[1,1,0] neg_lo:[0,0,1] neg_hi:[0,0,1]
	v_pk_fma_f32 v[98:99], v[100:101], v[88:89], v[98:99] op_sel:[0,0,1] op_sel_hi:[1,0,0]
	s_delay_alu instid0(VALU_DEP_1)
	v_mov_b32_e32 v103, v99
	ds_load_2addr_b64 v[98:101], v92 offset0:32 offset1:33
	v_pk_add_f32 v[40:41], v[40:41], v[104:105] neg_lo:[0,1] neg_hi:[0,1]
	v_pk_add_f32 v[36:37], v[36:37], v[102:103] neg_lo:[0,1] neg_hi:[0,1]
	s_wait_dscnt 0x0
	v_pk_mul_f32 v[102:103], v[98:99], v[90:91] op_sel:[0,1]
	s_delay_alu instid0(VALU_DEP_1) | instskip(SKIP_1) | instid1(VALU_DEP_1)
	v_pk_fma_f32 v[104:105], v[98:99], v[88:89], v[102:103] op_sel:[0,0,1] op_sel_hi:[1,1,0] neg_lo:[0,0,1] neg_hi:[0,0,1]
	v_pk_fma_f32 v[98:99], v[98:99], v[88:89], v[102:103] op_sel:[0,0,1] op_sel_hi:[1,0,0]
	v_mov_b32_e32 v105, v99
	v_pk_mul_f32 v[98:99], v[100:101], v[90:91] op_sel:[0,1]
	s_delay_alu instid0(VALU_DEP_1) | instskip(SKIP_1) | instid1(VALU_DEP_1)
	v_pk_fma_f32 v[102:103], v[100:101], v[88:89], v[98:99] op_sel:[0,0,1] op_sel_hi:[1,1,0] neg_lo:[0,0,1] neg_hi:[0,0,1]
	v_pk_fma_f32 v[98:99], v[100:101], v[88:89], v[98:99] op_sel:[0,0,1] op_sel_hi:[1,0,0]
	v_mov_b32_e32 v103, v99
	ds_load_2addr_b64 v[98:101], v92 offset0:34 offset1:35
	v_pk_add_f32 v[14:15], v[14:15], v[104:105] neg_lo:[0,1] neg_hi:[0,1]
	v_pk_add_f32 v[10:11], v[10:11], v[102:103] neg_lo:[0,1] neg_hi:[0,1]
	s_wait_dscnt 0x0
	v_dual_mul_f32 v102, v99, v91 :: v_dual_mul_f32 v104, v99, v88
	s_delay_alu instid0(VALU_DEP_1) | instskip(NEXT) | instid1(VALU_DEP_2)
	v_pk_fma_f32 v[102:103], v[98:99], v[20:21], v[102:103] op_sel_hi:[1,1,0] neg_lo:[0,0,1] neg_hi:[0,0,1]
	v_pk_fma_f32 v[98:99], v[98:99], v[20:21], v[104:105] op_sel:[1,0,0] op_sel_hi:[0,1,0]
	s_delay_alu instid0(VALU_DEP_1) | instskip(SKIP_1) | instid1(VALU_DEP_2)
	v_mov_b32_e32 v103, v99
	v_pk_mul_f32 v[98:99], v[100:101], v[90:91] op_sel:[0,1]
	v_pk_add_f32 v[12:13], v[12:13], v[102:103] neg_lo:[0,1] neg_hi:[0,1]
	s_delay_alu instid0(VALU_DEP_2) | instskip(SKIP_1) | instid1(VALU_DEP_1)
	v_pk_fma_f32 v[102:103], v[100:101], v[88:89], v[98:99] op_sel:[0,0,1] op_sel_hi:[1,1,0] neg_lo:[0,0,1] neg_hi:[0,0,1]
	v_pk_fma_f32 v[98:99], v[100:101], v[88:89], v[98:99] op_sel:[0,0,1] op_sel_hi:[1,0,0]
	v_mov_b32_e32 v103, v99
	ds_load_2addr_b64 v[98:101], v92 offset0:36 offset1:37
	v_pk_add_f32 v[8:9], v[8:9], v[102:103] neg_lo:[0,1] neg_hi:[0,1]
	s_wait_dscnt 0x0
	v_pk_mul_f32 v[102:103], v[98:99], v[90:91] op_sel:[0,1]
	s_delay_alu instid0(VALU_DEP_1) | instskip(SKIP_1) | instid1(VALU_DEP_1)
	v_pk_fma_f32 v[104:105], v[98:99], v[88:89], v[102:103] op_sel:[0,0,1] op_sel_hi:[1,1,0] neg_lo:[0,0,1] neg_hi:[0,0,1]
	v_pk_fma_f32 v[98:99], v[98:99], v[88:89], v[102:103] op_sel:[0,0,1] op_sel_hi:[1,0,0]
	v_mov_b32_e32 v105, v99
	v_pk_mul_f32 v[98:99], v[100:101], v[90:91] op_sel:[0,1]
	s_delay_alu instid0(VALU_DEP_2) | instskip(NEXT) | instid1(VALU_DEP_2)
	v_pk_add_f32 v[6:7], v[6:7], v[104:105] neg_lo:[0,1] neg_hi:[0,1]
	v_pk_fma_f32 v[102:103], v[100:101], v[88:89], v[98:99] op_sel:[0,0,1] op_sel_hi:[1,1,0] neg_lo:[0,0,1] neg_hi:[0,0,1]
	v_pk_fma_f32 v[98:99], v[100:101], v[88:89], v[98:99] op_sel:[0,0,1] op_sel_hi:[1,0,0]
	s_delay_alu instid0(VALU_DEP_1) | instskip(SKIP_4) | instid1(VALU_DEP_1)
	v_mov_b32_e32 v103, v99
	ds_load_2addr_b64 v[98:101], v92 offset0:38 offset1:39
	v_pk_add_f32 v[44:45], v[44:45], v[102:103] neg_lo:[0,1] neg_hi:[0,1]
	s_wait_dscnt 0x0
	v_pk_mul_f32 v[102:103], v[98:99], v[90:91] op_sel:[0,1]
	v_pk_fma_f32 v[104:105], v[98:99], v[88:89], v[102:103] op_sel:[0,0,1] op_sel_hi:[1,1,0] neg_lo:[0,0,1] neg_hi:[0,0,1]
	v_pk_fma_f32 v[98:99], v[98:99], v[88:89], v[102:103] op_sel:[0,0,1] op_sel_hi:[1,0,0]
	v_dual_mul_f32 v102, v101, v91 :: v_dual_mov_b32 v98, v101
	s_delay_alu instid0(VALU_DEP_2) | instskip(NEXT) | instid1(VALU_DEP_2)
	v_dual_mov_b32 v105, v99 :: v_dual_mov_b32 v99, v100
	v_pk_fma_f32 v[102:103], v[100:101], v[20:21], v[102:103] op_sel_hi:[1,1,0] neg_lo:[0,0,1] neg_hi:[0,0,1]
	v_mul_f32_e32 v100, v101, v88
	s_delay_alu instid0(VALU_DEP_3) | instskip(NEXT) | instid1(VALU_DEP_2)
	v_pk_add_f32 v[22:23], v[22:23], v[104:105] neg_lo:[0,1] neg_hi:[0,1]
	v_pk_fma_f32 v[98:99], v[98:99], v[20:21], v[100:101] op_sel_hi:[1,1,0]
	s_delay_alu instid0(VALU_DEP_1) | instskip(SKIP_4) | instid1(VALU_DEP_1)
	v_mov_b32_e32 v103, v99
	ds_load_b64 v[98:99], v92 offset:320
	v_pk_add_f32 v[16:17], v[16:17], v[102:103] neg_lo:[0,1] neg_hi:[0,1]
	s_wait_dscnt 0x0
	v_pk_mul_f32 v[90:91], v[98:99], v[90:91] op_sel:[0,1]
	v_pk_fma_f32 v[100:101], v[98:99], v[88:89], v[90:91] op_sel:[0,0,1] op_sel_hi:[1,1,0] neg_lo:[0,0,1] neg_hi:[0,0,1]
	v_pk_fma_f32 v[88:89], v[98:99], v[88:89], v[90:91] op_sel:[0,0,1] op_sel_hi:[1,0,0]
	s_delay_alu instid0(VALU_DEP_1) | instskip(NEXT) | instid1(VALU_DEP_1)
	v_mov_b32_e32 v101, v89
	v_pk_add_f32 v[86:87], v[86:87], v[100:101] neg_lo:[0,1] neg_hi:[0,1]
.LBB80_125:
	s_or_b32 exec_lo, exec_lo, s0
	v_lshl_add_u32 v88, v96, 3, v92
	s_barrier_signal -1
	s_barrier_wait -1
	ds_store_b64 v88, v[24:25]
	s_wait_dscnt 0x0
	s_barrier_signal -1
	s_barrier_wait -1
	ds_load_b64 v[90:91], v92 offset:48
	v_mov_b32_e32 v88, 6
	s_cmp_lt_i32 s18, 8
	s_cbranch_scc1 .LBB80_128
; %bb.126:
	v_add3_u32 v89, v93, 0, 56
	v_mov_b32_e32 v88, 6
	s_mov_b32 s0, 7
.LBB80_127:                             ; =>This Inner Loop Header: Depth=1
	ds_load_b64 v[98:99], v89
	s_wait_dscnt 0x1
	v_cmp_gt_f32_e32 vcc_lo, 0, v90
	v_cndmask_b32_e64 v100, v90, -v90, vcc_lo
	v_cmp_gt_f32_e32 vcc_lo, 0, v91
	v_cndmask_b32_e64 v102, v91, -v91, vcc_lo
	s_wait_dscnt 0x0
	v_cmp_gt_f32_e32 vcc_lo, 0, v98
	v_cndmask_b32_e64 v101, v98, -v98, vcc_lo
	v_cmp_gt_f32_e32 vcc_lo, 0, v99
	v_cndmask_b32_e64 v103, v99, -v99, vcc_lo
	s_delay_alu instid0(VALU_DEP_1) | instskip(NEXT) | instid1(VALU_DEP_1)
	v_pk_add_f32 v[100:101], v[100:101], v[102:103]
	v_cmp_lt_f32_e32 vcc_lo, v100, v101
	v_dual_add_nc_u32 v89, 8, v89 :: v_dual_cndmask_b32 v91, v91, v99, vcc_lo
	v_cndmask_b32_e32 v90, v90, v98, vcc_lo
	v_cndmask_b32_e64 v88, v88, s0, vcc_lo
	s_add_co_i32 s0, s0, 1
	s_delay_alu instid0(SALU_CYCLE_1)
	s_cmp_lg_u32 s18, s0
	s_cbranch_scc1 .LBB80_127
.LBB80_128:
	s_wait_dscnt 0x0
	v_cmp_eq_f32_e32 vcc_lo, 0, v90
	v_cmp_eq_f32_e64 s0, 0, v91
	s_and_b32 s0, vcc_lo, s0
	s_delay_alu instid0(SALU_CYCLE_1) | instskip(NEXT) | instid1(SALU_CYCLE_1)
	s_and_saveexec_b32 s1, s0
	s_xor_b32 s0, exec_lo, s1
; %bb.129:
	v_cmp_ne_u32_e32 vcc_lo, 0, v94
	v_cndmask_b32_e32 v94, 7, v94, vcc_lo
; %bb.130:
	s_and_not1_saveexec_b32 s0, s0
	s_cbranch_execz .LBB80_136
; %bb.131:
	v_cmp_ngt_f32_e64 s1, |v90|, |v91|
	s_and_saveexec_b32 s12, s1
	s_delay_alu instid0(SALU_CYCLE_1)
	s_xor_b32 s1, exec_lo, s12
	s_cbranch_execz .LBB80_133
; %bb.132:
	v_div_scale_f32 v89, null, v91, v91, v90
	v_div_scale_f32 v99, vcc_lo, v90, v91, v90
	s_delay_alu instid0(VALU_DEP_2) | instskip(SKIP_1) | instid1(TRANS32_DEP_1)
	v_rcp_f32_e32 v97, v89
	v_nop
	v_fma_f32 v98, -v89, v97, 1.0
	s_delay_alu instid0(VALU_DEP_1) | instskip(NEXT) | instid1(VALU_DEP_1)
	v_fmac_f32_e32 v97, v98, v97
	v_mul_f32_e32 v98, v99, v97
	s_delay_alu instid0(VALU_DEP_1) | instskip(NEXT) | instid1(VALU_DEP_1)
	v_fma_f32 v100, -v89, v98, v99
	v_fmac_f32_e32 v98, v100, v97
	s_delay_alu instid0(VALU_DEP_1) | instskip(NEXT) | instid1(VALU_DEP_1)
	v_fma_f32 v89, -v89, v98, v99
	v_div_fmas_f32 v89, v89, v97, v98
	s_delay_alu instid0(VALU_DEP_1) | instskip(NEXT) | instid1(VALU_DEP_1)
	v_div_fixup_f32 v89, v89, v91, v90
	v_fmac_f32_e32 v91, v90, v89
	s_delay_alu instid0(VALU_DEP_1) | instskip(SKIP_1) | instid1(VALU_DEP_2)
	v_div_scale_f32 v90, null, v91, v91, 1.0
	v_div_scale_f32 v99, vcc_lo, 1.0, v91, 1.0
	v_rcp_f32_e32 v97, v90
	v_nop
	s_delay_alu instid0(TRANS32_DEP_1) | instskip(NEXT) | instid1(VALU_DEP_1)
	v_fma_f32 v98, -v90, v97, 1.0
	v_fmac_f32_e32 v97, v98, v97
	s_delay_alu instid0(VALU_DEP_1) | instskip(NEXT) | instid1(VALU_DEP_1)
	v_mul_f32_e32 v98, v99, v97
	v_fma_f32 v100, -v90, v98, v99
	s_delay_alu instid0(VALU_DEP_1) | instskip(NEXT) | instid1(VALU_DEP_1)
	v_fmac_f32_e32 v98, v100, v97
	v_fma_f32 v90, -v90, v98, v99
	s_delay_alu instid0(VALU_DEP_1) | instskip(NEXT) | instid1(VALU_DEP_1)
	v_div_fmas_f32 v90, v90, v97, v98
	v_div_fixup_f32 v91, v90, v91, 1.0
	s_delay_alu instid0(VALU_DEP_1)
	v_mul_f32_e32 v90, v89, v91
	v_xor_b32_e32 v91, 0x80000000, v91
.LBB80_133:
	s_and_not1_saveexec_b32 s1, s1
	s_cbranch_execz .LBB80_135
; %bb.134:
	s_delay_alu instid0(VALU_DEP_1) | instskip(SKIP_1) | instid1(VALU_DEP_2)
	v_div_scale_f32 v89, null, v90, v90, v91
	v_div_scale_f32 v99, vcc_lo, v91, v90, v91
	v_rcp_f32_e32 v97, v89
	v_nop
	s_delay_alu instid0(TRANS32_DEP_1) | instskip(NEXT) | instid1(VALU_DEP_1)
	v_fma_f32 v98, -v89, v97, 1.0
	v_fmac_f32_e32 v97, v98, v97
	s_delay_alu instid0(VALU_DEP_1) | instskip(NEXT) | instid1(VALU_DEP_1)
	v_mul_f32_e32 v98, v99, v97
	v_fma_f32 v100, -v89, v98, v99
	s_delay_alu instid0(VALU_DEP_1) | instskip(NEXT) | instid1(VALU_DEP_1)
	v_fmac_f32_e32 v98, v100, v97
	v_fma_f32 v89, -v89, v98, v99
	s_delay_alu instid0(VALU_DEP_1) | instskip(NEXT) | instid1(VALU_DEP_1)
	v_div_fmas_f32 v89, v89, v97, v98
	v_div_fixup_f32 v89, v89, v90, v91
	s_delay_alu instid0(VALU_DEP_1) | instskip(NEXT) | instid1(VALU_DEP_1)
	v_fmac_f32_e32 v90, v91, v89
	v_div_scale_f32 v91, null, v90, v90, 1.0
	s_delay_alu instid0(VALU_DEP_1) | instskip(SKIP_1) | instid1(TRANS32_DEP_1)
	v_rcp_f32_e32 v97, v91
	v_nop
	v_fma_f32 v98, -v91, v97, 1.0
	s_delay_alu instid0(VALU_DEP_1) | instskip(SKIP_1) | instid1(VALU_DEP_1)
	v_fmac_f32_e32 v97, v98, v97
	v_div_scale_f32 v98, vcc_lo, 1.0, v90, 1.0
	v_mul_f32_e32 v99, v98, v97
	s_delay_alu instid0(VALU_DEP_1) | instskip(NEXT) | instid1(VALU_DEP_1)
	v_fma_f32 v100, -v91, v99, v98
	v_fmac_f32_e32 v99, v100, v97
	s_delay_alu instid0(VALU_DEP_1) | instskip(NEXT) | instid1(VALU_DEP_1)
	v_fma_f32 v91, -v91, v99, v98
	v_div_fmas_f32 v91, v91, v97, v99
	s_delay_alu instid0(VALU_DEP_1) | instskip(NEXT) | instid1(VALU_DEP_1)
	v_div_fixup_f32 v90, v91, v90, 1.0
	v_mul_f32_e64 v91, v89, -v90
.LBB80_135:
	s_or_b32 exec_lo, exec_lo, s1
.LBB80_136:
	s_delay_alu instid0(SALU_CYCLE_1) | instskip(NEXT) | instid1(SALU_CYCLE_1)
	s_or_b32 exec_lo, exec_lo, s0
	s_mov_b32 s0, exec_lo
	v_cmpx_ne_u32_e64 v96, v88
	s_xor_b32 s0, exec_lo, s0
	s_cbranch_execz .LBB80_142
; %bb.137:
	s_mov_b32 s1, exec_lo
	v_cmpx_eq_u32_e32 6, v96
	s_cbranch_execz .LBB80_141
; %bb.138:
	v_cmp_ne_u32_e32 vcc_lo, 6, v88
	s_xor_b32 s12, s16, -1
	s_delay_alu instid0(SALU_CYCLE_1) | instskip(NEXT) | instid1(SALU_CYCLE_1)
	s_and_b32 s13, s12, vcc_lo
	s_and_saveexec_b32 s12, s13
	s_cbranch_execz .LBB80_140
; %bb.139:
	v_ashrrev_i32_e32 v89, 31, v88
	s_delay_alu instid0(VALU_DEP_1)
	v_lshl_add_u64 v[96:97], v[88:89], 2, v[4:5]
	s_clause 0x1
	global_load_b32 v89, v[96:97], off
	global_load_b32 v95, v[4:5], off offset:24
	s_wait_loadcnt 0x1
	global_store_b32 v[4:5], v89, off offset:24
	s_wait_loadcnt 0x0
	global_store_b32 v[96:97], v95, off
.LBB80_140:
	s_wait_xcnt 0x0
	s_or_b32 exec_lo, exec_lo, s12
	v_dual_mov_b32 v96, v88 :: v_dual_mov_b32 v95, v88
.LBB80_141:
	s_or_b32 exec_lo, exec_lo, s1
.LBB80_142:
	s_and_not1_saveexec_b32 s0, s0
	s_cbranch_execz .LBB80_144
; %bb.143:
	v_mov_b32_e32 v96, 6
	ds_store_2addr_b64 v92, v[18:19], v[34:35] offset0:7 offset1:8
	ds_store_2addr_b64 v92, v[30:31], v[32:33] offset0:9 offset1:10
	ds_store_2addr_b64 v92, v[28:29], v[76:77] offset0:11 offset1:12
	ds_store_2addr_b64 v92, v[72:73], v[74:75] offset0:13 offset1:14
	ds_store_2addr_b64 v92, v[70:71], v[68:69] offset0:15 offset1:16
	ds_store_2addr_b64 v92, v[64:65], v[66:67] offset0:17 offset1:18
	ds_store_2addr_b64 v92, v[62:63], v[60:61] offset0:19 offset1:20
	ds_store_2addr_b64 v92, v[56:57], v[58:59] offset0:21 offset1:22
	ds_store_2addr_b64 v92, v[54:55], v[52:53] offset0:23 offset1:24
	ds_store_2addr_b64 v92, v[48:49], v[50:51] offset0:25 offset1:26
	ds_store_2addr_b64 v92, v[46:47], v[42:43] offset0:27 offset1:28
	ds_store_2addr_b64 v92, v[38:39], v[40:41] offset0:29 offset1:30
	ds_store_2addr_b64 v92, v[36:37], v[14:15] offset0:31 offset1:32
	ds_store_2addr_b64 v92, v[10:11], v[12:13] offset0:33 offset1:34
	ds_store_2addr_b64 v92, v[8:9], v[6:7] offset0:35 offset1:36
	ds_store_2addr_b64 v92, v[44:45], v[22:23] offset0:37 offset1:38
	ds_store_2addr_b64 v92, v[16:17], v[86:87] offset0:39 offset1:40
.LBB80_144:
	s_or_b32 exec_lo, exec_lo, s0
	s_delay_alu instid0(SALU_CYCLE_1)
	s_mov_b32 s0, exec_lo
	s_wait_storecnt_dscnt 0x0
	s_barrier_signal -1
	s_barrier_wait -1
	v_cmpx_lt_i32_e32 6, v96
	s_cbranch_execz .LBB80_146
; %bb.145:
	v_pk_mul_f32 v[98:99], v[90:91], v[24:25] op_sel:[1,1] op_sel_hi:[0,1]
	s_delay_alu instid0(VALU_DEP_1)
	v_pk_fma_f32 v[88:89], v[90:91], v[24:25], v[98:99] op_sel_hi:[1,0,1] neg_lo:[0,0,1] neg_hi:[0,0,1]
	v_pk_fma_f32 v[90:91], v[90:91], v[24:25], v[98:99] op_sel_hi:[1,0,1]
	ds_load_2addr_b64 v[98:101], v92 offset0:7 offset1:8
	v_dual_mov_b32 v24, v88 :: v_dual_mov_b32 v25, v91
	s_wait_dscnt 0x0
	v_pk_mul_f32 v[102:103], v[98:99], v[90:91] op_sel:[0,1]
	s_delay_alu instid0(VALU_DEP_1) | instskip(SKIP_1) | instid1(VALU_DEP_1)
	v_pk_fma_f32 v[104:105], v[98:99], v[88:89], v[102:103] op_sel:[0,0,1] op_sel_hi:[1,1,0] neg_lo:[0,0,1] neg_hi:[0,0,1]
	v_pk_fma_f32 v[98:99], v[98:99], v[88:89], v[102:103] op_sel:[0,0,1] op_sel_hi:[1,0,0]
	v_mov_b32_e32 v105, v99
	v_pk_mul_f32 v[98:99], v[100:101], v[90:91] op_sel:[0,1]
	s_delay_alu instid0(VALU_DEP_1) | instskip(SKIP_1) | instid1(VALU_DEP_1)
	v_pk_fma_f32 v[102:103], v[100:101], v[88:89], v[98:99] op_sel:[0,0,1] op_sel_hi:[1,1,0] neg_lo:[0,0,1] neg_hi:[0,0,1]
	v_pk_fma_f32 v[98:99], v[100:101], v[88:89], v[98:99] op_sel:[0,0,1] op_sel_hi:[1,0,0]
	v_mov_b32_e32 v103, v99
	ds_load_2addr_b64 v[98:101], v92 offset0:9 offset1:10
	v_pk_add_f32 v[18:19], v[18:19], v[104:105] neg_lo:[0,1] neg_hi:[0,1]
	v_pk_add_f32 v[34:35], v[34:35], v[102:103] neg_lo:[0,1] neg_hi:[0,1]
	s_wait_dscnt 0x0
	v_pk_mul_f32 v[102:103], v[98:99], v[90:91] op_sel:[0,1]
	s_delay_alu instid0(VALU_DEP_1) | instskip(SKIP_2) | instid1(VALU_DEP_2)
	v_pk_fma_f32 v[104:105], v[98:99], v[88:89], v[102:103] op_sel:[0,0,1] op_sel_hi:[1,1,0] neg_lo:[0,0,1] neg_hi:[0,0,1]
	v_pk_fma_f32 v[98:99], v[98:99], v[88:89], v[102:103] op_sel:[0,0,1] op_sel_hi:[1,0,0]
	v_dual_mul_f32 v102, v101, v91 :: v_dual_mov_b32 v98, v101
	v_dual_mov_b32 v105, v99 :: v_dual_mov_b32 v99, v100
	s_delay_alu instid0(VALU_DEP_2) | instskip(SKIP_1) | instid1(VALU_DEP_3)
	v_pk_fma_f32 v[102:103], v[100:101], v[24:25], v[102:103] op_sel_hi:[1,1,0] neg_lo:[0,0,1] neg_hi:[0,0,1]
	v_mul_f32_e32 v100, v101, v88
	v_pk_add_f32 v[30:31], v[30:31], v[104:105] neg_lo:[0,1] neg_hi:[0,1]
	s_delay_alu instid0(VALU_DEP_2) | instskip(NEXT) | instid1(VALU_DEP_1)
	v_pk_fma_f32 v[98:99], v[98:99], v[24:25], v[100:101] op_sel_hi:[1,1,0]
	v_mov_b32_e32 v103, v99
	ds_load_2addr_b64 v[98:101], v92 offset0:11 offset1:12
	v_pk_add_f32 v[32:33], v[32:33], v[102:103] neg_lo:[0,1] neg_hi:[0,1]
	s_wait_dscnt 0x0
	v_pk_mul_f32 v[102:103], v[98:99], v[90:91] op_sel:[0,1]
	s_delay_alu instid0(VALU_DEP_1) | instskip(SKIP_1) | instid1(VALU_DEP_1)
	v_pk_fma_f32 v[104:105], v[98:99], v[88:89], v[102:103] op_sel:[0,0,1] op_sel_hi:[1,1,0] neg_lo:[0,0,1] neg_hi:[0,0,1]
	v_pk_fma_f32 v[98:99], v[98:99], v[88:89], v[102:103] op_sel:[0,0,1] op_sel_hi:[1,0,0]
	v_mov_b32_e32 v105, v99
	v_pk_mul_f32 v[98:99], v[100:101], v[90:91] op_sel:[0,1]
	s_delay_alu instid0(VALU_DEP_1) | instskip(SKIP_1) | instid1(VALU_DEP_1)
	v_pk_fma_f32 v[102:103], v[100:101], v[88:89], v[98:99] op_sel:[0,0,1] op_sel_hi:[1,1,0] neg_lo:[0,0,1] neg_hi:[0,0,1]
	v_pk_fma_f32 v[98:99], v[100:101], v[88:89], v[98:99] op_sel:[0,0,1] op_sel_hi:[1,0,0]
	v_mov_b32_e32 v103, v99
	ds_load_2addr_b64 v[98:101], v92 offset0:13 offset1:14
	v_pk_add_f32 v[28:29], v[28:29], v[104:105] neg_lo:[0,1] neg_hi:[0,1]
	v_pk_add_f32 v[76:77], v[76:77], v[102:103] neg_lo:[0,1] neg_hi:[0,1]
	s_wait_dscnt 0x0
	v_pk_mul_f32 v[102:103], v[98:99], v[90:91] op_sel:[0,1]
	s_delay_alu instid0(VALU_DEP_1) | instskip(SKIP_1) | instid1(VALU_DEP_1)
	v_pk_fma_f32 v[104:105], v[98:99], v[88:89], v[102:103] op_sel:[0,0,1] op_sel_hi:[1,1,0] neg_lo:[0,0,1] neg_hi:[0,0,1]
	v_pk_fma_f32 v[98:99], v[98:99], v[88:89], v[102:103] op_sel:[0,0,1] op_sel_hi:[1,0,0]
	v_mov_b32_e32 v105, v99
	v_pk_mul_f32 v[98:99], v[100:101], v[90:91] op_sel:[0,1]
	s_delay_alu instid0(VALU_DEP_1) | instskip(SKIP_1) | instid1(VALU_DEP_1)
	v_pk_fma_f32 v[102:103], v[100:101], v[88:89], v[98:99] op_sel:[0,0,1] op_sel_hi:[1,1,0] neg_lo:[0,0,1] neg_hi:[0,0,1]
	v_pk_fma_f32 v[98:99], v[100:101], v[88:89], v[98:99] op_sel:[0,0,1] op_sel_hi:[1,0,0]
	v_mov_b32_e32 v103, v99
	ds_load_2addr_b64 v[98:101], v92 offset0:15 offset1:16
	v_pk_add_f32 v[72:73], v[72:73], v[104:105] neg_lo:[0,1] neg_hi:[0,1]
	v_pk_add_f32 v[74:75], v[74:75], v[102:103] neg_lo:[0,1] neg_hi:[0,1]
	s_wait_dscnt 0x0
	v_dual_mul_f32 v102, v99, v91 :: v_dual_mul_f32 v104, v99, v88
	s_delay_alu instid0(VALU_DEP_1) | instskip(NEXT) | instid1(VALU_DEP_2)
	v_pk_fma_f32 v[102:103], v[98:99], v[24:25], v[102:103] op_sel_hi:[1,1,0] neg_lo:[0,0,1] neg_hi:[0,0,1]
	v_pk_fma_f32 v[98:99], v[98:99], v[24:25], v[104:105] op_sel:[1,0,0] op_sel_hi:[0,1,0]
	s_delay_alu instid0(VALU_DEP_1) | instskip(SKIP_1) | instid1(VALU_DEP_2)
	v_mov_b32_e32 v103, v99
	v_pk_mul_f32 v[98:99], v[100:101], v[90:91] op_sel:[0,1]
	v_pk_add_f32 v[70:71], v[70:71], v[102:103] neg_lo:[0,1] neg_hi:[0,1]
	s_delay_alu instid0(VALU_DEP_2) | instskip(SKIP_1) | instid1(VALU_DEP_1)
	v_pk_fma_f32 v[102:103], v[100:101], v[88:89], v[98:99] op_sel:[0,0,1] op_sel_hi:[1,1,0] neg_lo:[0,0,1] neg_hi:[0,0,1]
	v_pk_fma_f32 v[98:99], v[100:101], v[88:89], v[98:99] op_sel:[0,0,1] op_sel_hi:[1,0,0]
	v_mov_b32_e32 v103, v99
	ds_load_2addr_b64 v[98:101], v92 offset0:17 offset1:18
	v_pk_add_f32 v[68:69], v[68:69], v[102:103] neg_lo:[0,1] neg_hi:[0,1]
	s_wait_dscnt 0x0
	v_pk_mul_f32 v[102:103], v[98:99], v[90:91] op_sel:[0,1]
	s_delay_alu instid0(VALU_DEP_1) | instskip(SKIP_1) | instid1(VALU_DEP_1)
	v_pk_fma_f32 v[104:105], v[98:99], v[88:89], v[102:103] op_sel:[0,0,1] op_sel_hi:[1,1,0] neg_lo:[0,0,1] neg_hi:[0,0,1]
	v_pk_fma_f32 v[98:99], v[98:99], v[88:89], v[102:103] op_sel:[0,0,1] op_sel_hi:[1,0,0]
	v_mov_b32_e32 v105, v99
	v_pk_mul_f32 v[98:99], v[100:101], v[90:91] op_sel:[0,1]
	s_delay_alu instid0(VALU_DEP_2) | instskip(NEXT) | instid1(VALU_DEP_2)
	v_pk_add_f32 v[64:65], v[64:65], v[104:105] neg_lo:[0,1] neg_hi:[0,1]
	v_pk_fma_f32 v[102:103], v[100:101], v[88:89], v[98:99] op_sel:[0,0,1] op_sel_hi:[1,1,0] neg_lo:[0,0,1] neg_hi:[0,0,1]
	v_pk_fma_f32 v[98:99], v[100:101], v[88:89], v[98:99] op_sel:[0,0,1] op_sel_hi:[1,0,0]
	s_delay_alu instid0(VALU_DEP_1) | instskip(SKIP_4) | instid1(VALU_DEP_1)
	v_mov_b32_e32 v103, v99
	ds_load_2addr_b64 v[98:101], v92 offset0:19 offset1:20
	v_pk_add_f32 v[66:67], v[66:67], v[102:103] neg_lo:[0,1] neg_hi:[0,1]
	s_wait_dscnt 0x0
	v_pk_mul_f32 v[102:103], v[98:99], v[90:91] op_sel:[0,1]
	v_pk_fma_f32 v[104:105], v[98:99], v[88:89], v[102:103] op_sel:[0,0,1] op_sel_hi:[1,1,0] neg_lo:[0,0,1] neg_hi:[0,0,1]
	v_pk_fma_f32 v[98:99], v[98:99], v[88:89], v[102:103] op_sel:[0,0,1] op_sel_hi:[1,0,0]
	v_dual_mul_f32 v102, v101, v91 :: v_dual_mov_b32 v98, v101
	s_delay_alu instid0(VALU_DEP_2) | instskip(NEXT) | instid1(VALU_DEP_2)
	v_dual_mov_b32 v105, v99 :: v_dual_mov_b32 v99, v100
	v_pk_fma_f32 v[102:103], v[100:101], v[24:25], v[102:103] op_sel_hi:[1,1,0] neg_lo:[0,0,1] neg_hi:[0,0,1]
	v_mul_f32_e32 v100, v101, v88
	s_delay_alu instid0(VALU_DEP_3) | instskip(NEXT) | instid1(VALU_DEP_2)
	v_pk_add_f32 v[62:63], v[62:63], v[104:105] neg_lo:[0,1] neg_hi:[0,1]
	v_pk_fma_f32 v[98:99], v[98:99], v[24:25], v[100:101] op_sel_hi:[1,1,0]
	s_delay_alu instid0(VALU_DEP_1) | instskip(SKIP_4) | instid1(VALU_DEP_1)
	v_mov_b32_e32 v103, v99
	ds_load_2addr_b64 v[98:101], v92 offset0:21 offset1:22
	v_pk_add_f32 v[60:61], v[60:61], v[102:103] neg_lo:[0,1] neg_hi:[0,1]
	s_wait_dscnt 0x0
	v_pk_mul_f32 v[102:103], v[98:99], v[90:91] op_sel:[0,1]
	v_pk_fma_f32 v[104:105], v[98:99], v[88:89], v[102:103] op_sel:[0,0,1] op_sel_hi:[1,1,0] neg_lo:[0,0,1] neg_hi:[0,0,1]
	v_pk_fma_f32 v[98:99], v[98:99], v[88:89], v[102:103] op_sel:[0,0,1] op_sel_hi:[1,0,0]
	s_delay_alu instid0(VALU_DEP_1) | instskip(SKIP_1) | instid1(VALU_DEP_1)
	v_mov_b32_e32 v105, v99
	v_pk_mul_f32 v[98:99], v[100:101], v[90:91] op_sel:[0,1]
	v_pk_fma_f32 v[102:103], v[100:101], v[88:89], v[98:99] op_sel:[0,0,1] op_sel_hi:[1,1,0] neg_lo:[0,0,1] neg_hi:[0,0,1]
	v_pk_fma_f32 v[98:99], v[100:101], v[88:89], v[98:99] op_sel:[0,0,1] op_sel_hi:[1,0,0]
	s_delay_alu instid0(VALU_DEP_1)
	v_mov_b32_e32 v103, v99
	ds_load_2addr_b64 v[98:101], v92 offset0:23 offset1:24
	v_pk_add_f32 v[56:57], v[56:57], v[104:105] neg_lo:[0,1] neg_hi:[0,1]
	v_pk_add_f32 v[58:59], v[58:59], v[102:103] neg_lo:[0,1] neg_hi:[0,1]
	s_wait_dscnt 0x0
	v_pk_mul_f32 v[102:103], v[98:99], v[90:91] op_sel:[0,1]
	s_delay_alu instid0(VALU_DEP_1) | instskip(SKIP_1) | instid1(VALU_DEP_1)
	v_pk_fma_f32 v[104:105], v[98:99], v[88:89], v[102:103] op_sel:[0,0,1] op_sel_hi:[1,1,0] neg_lo:[0,0,1] neg_hi:[0,0,1]
	v_pk_fma_f32 v[98:99], v[98:99], v[88:89], v[102:103] op_sel:[0,0,1] op_sel_hi:[1,0,0]
	v_mov_b32_e32 v105, v99
	v_pk_mul_f32 v[98:99], v[100:101], v[90:91] op_sel:[0,1]
	s_delay_alu instid0(VALU_DEP_1) | instskip(SKIP_1) | instid1(VALU_DEP_1)
	v_pk_fma_f32 v[102:103], v[100:101], v[88:89], v[98:99] op_sel:[0,0,1] op_sel_hi:[1,1,0] neg_lo:[0,0,1] neg_hi:[0,0,1]
	v_pk_fma_f32 v[98:99], v[100:101], v[88:89], v[98:99] op_sel:[0,0,1] op_sel_hi:[1,0,0]
	v_mov_b32_e32 v103, v99
	ds_load_2addr_b64 v[98:101], v92 offset0:25 offset1:26
	v_pk_add_f32 v[54:55], v[54:55], v[104:105] neg_lo:[0,1] neg_hi:[0,1]
	v_pk_add_f32 v[52:53], v[52:53], v[102:103] neg_lo:[0,1] neg_hi:[0,1]
	s_wait_dscnt 0x0
	v_dual_mul_f32 v102, v99, v91 :: v_dual_mul_f32 v104, v99, v88
	s_delay_alu instid0(VALU_DEP_1) | instskip(NEXT) | instid1(VALU_DEP_2)
	v_pk_fma_f32 v[102:103], v[98:99], v[24:25], v[102:103] op_sel_hi:[1,1,0] neg_lo:[0,0,1] neg_hi:[0,0,1]
	v_pk_fma_f32 v[98:99], v[98:99], v[24:25], v[104:105] op_sel:[1,0,0] op_sel_hi:[0,1,0]
	s_delay_alu instid0(VALU_DEP_1) | instskip(SKIP_1) | instid1(VALU_DEP_2)
	v_mov_b32_e32 v103, v99
	v_pk_mul_f32 v[98:99], v[100:101], v[90:91] op_sel:[0,1]
	v_pk_add_f32 v[48:49], v[48:49], v[102:103] neg_lo:[0,1] neg_hi:[0,1]
	s_delay_alu instid0(VALU_DEP_2) | instskip(SKIP_1) | instid1(VALU_DEP_1)
	v_pk_fma_f32 v[102:103], v[100:101], v[88:89], v[98:99] op_sel:[0,0,1] op_sel_hi:[1,1,0] neg_lo:[0,0,1] neg_hi:[0,0,1]
	v_pk_fma_f32 v[98:99], v[100:101], v[88:89], v[98:99] op_sel:[0,0,1] op_sel_hi:[1,0,0]
	v_mov_b32_e32 v103, v99
	ds_load_2addr_b64 v[98:101], v92 offset0:27 offset1:28
	v_pk_add_f32 v[50:51], v[50:51], v[102:103] neg_lo:[0,1] neg_hi:[0,1]
	s_wait_dscnt 0x0
	v_pk_mul_f32 v[102:103], v[98:99], v[90:91] op_sel:[0,1]
	s_delay_alu instid0(VALU_DEP_1) | instskip(SKIP_1) | instid1(VALU_DEP_1)
	v_pk_fma_f32 v[104:105], v[98:99], v[88:89], v[102:103] op_sel:[0,0,1] op_sel_hi:[1,1,0] neg_lo:[0,0,1] neg_hi:[0,0,1]
	v_pk_fma_f32 v[98:99], v[98:99], v[88:89], v[102:103] op_sel:[0,0,1] op_sel_hi:[1,0,0]
	v_mov_b32_e32 v105, v99
	v_pk_mul_f32 v[98:99], v[100:101], v[90:91] op_sel:[0,1]
	s_delay_alu instid0(VALU_DEP_2) | instskip(NEXT) | instid1(VALU_DEP_2)
	v_pk_add_f32 v[46:47], v[46:47], v[104:105] neg_lo:[0,1] neg_hi:[0,1]
	v_pk_fma_f32 v[102:103], v[100:101], v[88:89], v[98:99] op_sel:[0,0,1] op_sel_hi:[1,1,0] neg_lo:[0,0,1] neg_hi:[0,0,1]
	v_pk_fma_f32 v[98:99], v[100:101], v[88:89], v[98:99] op_sel:[0,0,1] op_sel_hi:[1,0,0]
	s_delay_alu instid0(VALU_DEP_1) | instskip(SKIP_4) | instid1(VALU_DEP_1)
	v_mov_b32_e32 v103, v99
	ds_load_2addr_b64 v[98:101], v92 offset0:29 offset1:30
	v_pk_add_f32 v[42:43], v[42:43], v[102:103] neg_lo:[0,1] neg_hi:[0,1]
	s_wait_dscnt 0x0
	v_pk_mul_f32 v[102:103], v[98:99], v[90:91] op_sel:[0,1]
	v_pk_fma_f32 v[104:105], v[98:99], v[88:89], v[102:103] op_sel:[0,0,1] op_sel_hi:[1,1,0] neg_lo:[0,0,1] neg_hi:[0,0,1]
	v_pk_fma_f32 v[98:99], v[98:99], v[88:89], v[102:103] op_sel:[0,0,1] op_sel_hi:[1,0,0]
	v_dual_mul_f32 v102, v101, v91 :: v_dual_mov_b32 v98, v101
	s_delay_alu instid0(VALU_DEP_2) | instskip(NEXT) | instid1(VALU_DEP_2)
	v_dual_mov_b32 v105, v99 :: v_dual_mov_b32 v99, v100
	v_pk_fma_f32 v[102:103], v[100:101], v[24:25], v[102:103] op_sel_hi:[1,1,0] neg_lo:[0,0,1] neg_hi:[0,0,1]
	v_mul_f32_e32 v100, v101, v88
	s_delay_alu instid0(VALU_DEP_3) | instskip(NEXT) | instid1(VALU_DEP_2)
	v_pk_add_f32 v[38:39], v[38:39], v[104:105] neg_lo:[0,1] neg_hi:[0,1]
	v_pk_fma_f32 v[98:99], v[98:99], v[24:25], v[100:101] op_sel_hi:[1,1,0]
	s_delay_alu instid0(VALU_DEP_1) | instskip(SKIP_4) | instid1(VALU_DEP_1)
	v_mov_b32_e32 v103, v99
	ds_load_2addr_b64 v[98:101], v92 offset0:31 offset1:32
	v_pk_add_f32 v[40:41], v[40:41], v[102:103] neg_lo:[0,1] neg_hi:[0,1]
	s_wait_dscnt 0x0
	v_pk_mul_f32 v[102:103], v[98:99], v[90:91] op_sel:[0,1]
	v_pk_fma_f32 v[104:105], v[98:99], v[88:89], v[102:103] op_sel:[0,0,1] op_sel_hi:[1,1,0] neg_lo:[0,0,1] neg_hi:[0,0,1]
	v_pk_fma_f32 v[98:99], v[98:99], v[88:89], v[102:103] op_sel:[0,0,1] op_sel_hi:[1,0,0]
	s_delay_alu instid0(VALU_DEP_1) | instskip(SKIP_1) | instid1(VALU_DEP_1)
	v_mov_b32_e32 v105, v99
	v_pk_mul_f32 v[98:99], v[100:101], v[90:91] op_sel:[0,1]
	v_pk_fma_f32 v[102:103], v[100:101], v[88:89], v[98:99] op_sel:[0,0,1] op_sel_hi:[1,1,0] neg_lo:[0,0,1] neg_hi:[0,0,1]
	v_pk_fma_f32 v[98:99], v[100:101], v[88:89], v[98:99] op_sel:[0,0,1] op_sel_hi:[1,0,0]
	s_delay_alu instid0(VALU_DEP_1)
	v_mov_b32_e32 v103, v99
	ds_load_2addr_b64 v[98:101], v92 offset0:33 offset1:34
	v_pk_add_f32 v[36:37], v[36:37], v[104:105] neg_lo:[0,1] neg_hi:[0,1]
	v_pk_add_f32 v[14:15], v[14:15], v[102:103] neg_lo:[0,1] neg_hi:[0,1]
	s_wait_dscnt 0x0
	v_pk_mul_f32 v[102:103], v[98:99], v[90:91] op_sel:[0,1]
	s_delay_alu instid0(VALU_DEP_1) | instskip(SKIP_1) | instid1(VALU_DEP_1)
	v_pk_fma_f32 v[104:105], v[98:99], v[88:89], v[102:103] op_sel:[0,0,1] op_sel_hi:[1,1,0] neg_lo:[0,0,1] neg_hi:[0,0,1]
	v_pk_fma_f32 v[98:99], v[98:99], v[88:89], v[102:103] op_sel:[0,0,1] op_sel_hi:[1,0,0]
	v_mov_b32_e32 v105, v99
	v_pk_mul_f32 v[98:99], v[100:101], v[90:91] op_sel:[0,1]
	s_delay_alu instid0(VALU_DEP_1) | instskip(SKIP_1) | instid1(VALU_DEP_1)
	v_pk_fma_f32 v[102:103], v[100:101], v[88:89], v[98:99] op_sel:[0,0,1] op_sel_hi:[1,1,0] neg_lo:[0,0,1] neg_hi:[0,0,1]
	v_pk_fma_f32 v[98:99], v[100:101], v[88:89], v[98:99] op_sel:[0,0,1] op_sel_hi:[1,0,0]
	v_mov_b32_e32 v103, v99
	ds_load_2addr_b64 v[98:101], v92 offset0:35 offset1:36
	v_pk_add_f32 v[10:11], v[10:11], v[104:105] neg_lo:[0,1] neg_hi:[0,1]
	v_pk_add_f32 v[12:13], v[12:13], v[102:103] neg_lo:[0,1] neg_hi:[0,1]
	s_wait_dscnt 0x0
	v_dual_mul_f32 v102, v99, v91 :: v_dual_mul_f32 v104, v99, v88
	s_delay_alu instid0(VALU_DEP_1) | instskip(NEXT) | instid1(VALU_DEP_2)
	v_pk_fma_f32 v[102:103], v[98:99], v[24:25], v[102:103] op_sel_hi:[1,1,0] neg_lo:[0,0,1] neg_hi:[0,0,1]
	v_pk_fma_f32 v[98:99], v[98:99], v[24:25], v[104:105] op_sel:[1,0,0] op_sel_hi:[0,1,0]
	s_delay_alu instid0(VALU_DEP_1) | instskip(SKIP_1) | instid1(VALU_DEP_2)
	v_mov_b32_e32 v103, v99
	v_pk_mul_f32 v[98:99], v[100:101], v[90:91] op_sel:[0,1]
	v_pk_add_f32 v[8:9], v[8:9], v[102:103] neg_lo:[0,1] neg_hi:[0,1]
	s_delay_alu instid0(VALU_DEP_2) | instskip(SKIP_1) | instid1(VALU_DEP_1)
	v_pk_fma_f32 v[102:103], v[100:101], v[88:89], v[98:99] op_sel:[0,0,1] op_sel_hi:[1,1,0] neg_lo:[0,0,1] neg_hi:[0,0,1]
	v_pk_fma_f32 v[98:99], v[100:101], v[88:89], v[98:99] op_sel:[0,0,1] op_sel_hi:[1,0,0]
	v_mov_b32_e32 v103, v99
	ds_load_2addr_b64 v[98:101], v92 offset0:37 offset1:38
	v_pk_add_f32 v[6:7], v[6:7], v[102:103] neg_lo:[0,1] neg_hi:[0,1]
	s_wait_dscnt 0x0
	v_pk_mul_f32 v[102:103], v[98:99], v[90:91] op_sel:[0,1]
	s_delay_alu instid0(VALU_DEP_1) | instskip(SKIP_1) | instid1(VALU_DEP_1)
	v_pk_fma_f32 v[104:105], v[98:99], v[88:89], v[102:103] op_sel:[0,0,1] op_sel_hi:[1,1,0] neg_lo:[0,0,1] neg_hi:[0,0,1]
	v_pk_fma_f32 v[98:99], v[98:99], v[88:89], v[102:103] op_sel:[0,0,1] op_sel_hi:[1,0,0]
	v_mov_b32_e32 v105, v99
	v_pk_mul_f32 v[98:99], v[100:101], v[90:91] op_sel:[0,1]
	s_delay_alu instid0(VALU_DEP_2) | instskip(NEXT) | instid1(VALU_DEP_2)
	v_pk_add_f32 v[44:45], v[44:45], v[104:105] neg_lo:[0,1] neg_hi:[0,1]
	v_pk_fma_f32 v[102:103], v[100:101], v[88:89], v[98:99] op_sel:[0,0,1] op_sel_hi:[1,1,0] neg_lo:[0,0,1] neg_hi:[0,0,1]
	v_pk_fma_f32 v[98:99], v[100:101], v[88:89], v[98:99] op_sel:[0,0,1] op_sel_hi:[1,0,0]
	s_delay_alu instid0(VALU_DEP_1)
	v_mov_b32_e32 v103, v99
	ds_load_2addr_b64 v[98:101], v92 offset0:39 offset1:40
	v_pk_add_f32 v[22:23], v[22:23], v[102:103] neg_lo:[0,1] neg_hi:[0,1]
	s_wait_dscnt 0x0
	v_pk_mul_f32 v[102:103], v[98:99], v[90:91] op_sel:[0,1]
	v_pk_mul_f32 v[90:91], v[100:101], v[90:91] op_sel:[0,1]
	s_delay_alu instid0(VALU_DEP_2) | instskip(SKIP_1) | instid1(VALU_DEP_1)
	v_pk_fma_f32 v[104:105], v[98:99], v[88:89], v[102:103] op_sel:[0,0,1] op_sel_hi:[1,1,0] neg_lo:[0,0,1] neg_hi:[0,0,1]
	v_pk_fma_f32 v[98:99], v[98:99], v[88:89], v[102:103] op_sel:[0,0,1] op_sel_hi:[1,0,0]
	v_mov_b32_e32 v105, v99
	s_delay_alu instid0(VALU_DEP_4) | instskip(SKIP_1) | instid1(VALU_DEP_3)
	v_pk_fma_f32 v[98:99], v[100:101], v[88:89], v[90:91] op_sel:[0,0,1] op_sel_hi:[1,1,0] neg_lo:[0,0,1] neg_hi:[0,0,1]
	v_pk_fma_f32 v[88:89], v[100:101], v[88:89], v[90:91] op_sel:[0,0,1] op_sel_hi:[1,0,0]
	v_pk_add_f32 v[16:17], v[16:17], v[104:105] neg_lo:[0,1] neg_hi:[0,1]
	s_delay_alu instid0(VALU_DEP_2) | instskip(NEXT) | instid1(VALU_DEP_1)
	v_mov_b32_e32 v99, v89
	v_pk_add_f32 v[86:87], v[86:87], v[98:99] neg_lo:[0,1] neg_hi:[0,1]
.LBB80_146:
	s_or_b32 exec_lo, exec_lo, s0
	v_lshl_add_u32 v88, v96, 3, v92
	s_barrier_signal -1
	s_barrier_wait -1
	ds_store_b64 v88, v[18:19]
	s_wait_dscnt 0x0
	s_barrier_signal -1
	s_barrier_wait -1
	ds_load_b64 v[90:91], v92 offset:56
	v_mov_b32_e32 v88, 7
	s_cmp_lt_i32 s18, 9
	s_cbranch_scc1 .LBB80_149
; %bb.147:
	v_add3_u32 v89, v93, 0, 64
	v_mov_b32_e32 v88, 7
	s_mov_b32 s0, 8
.LBB80_148:                             ; =>This Inner Loop Header: Depth=1
	ds_load_b64 v[98:99], v89
	s_wait_dscnt 0x1
	v_cmp_gt_f32_e32 vcc_lo, 0, v90
	v_cndmask_b32_e64 v100, v90, -v90, vcc_lo
	v_cmp_gt_f32_e32 vcc_lo, 0, v91
	v_cndmask_b32_e64 v102, v91, -v91, vcc_lo
	s_wait_dscnt 0x0
	v_cmp_gt_f32_e32 vcc_lo, 0, v98
	v_cndmask_b32_e64 v101, v98, -v98, vcc_lo
	v_cmp_gt_f32_e32 vcc_lo, 0, v99
	v_cndmask_b32_e64 v103, v99, -v99, vcc_lo
	s_delay_alu instid0(VALU_DEP_1) | instskip(NEXT) | instid1(VALU_DEP_1)
	v_pk_add_f32 v[100:101], v[100:101], v[102:103]
	v_cmp_lt_f32_e32 vcc_lo, v100, v101
	v_dual_add_nc_u32 v89, 8, v89 :: v_dual_cndmask_b32 v91, v91, v99, vcc_lo
	v_cndmask_b32_e32 v90, v90, v98, vcc_lo
	v_cndmask_b32_e64 v88, v88, s0, vcc_lo
	s_add_co_i32 s0, s0, 1
	s_delay_alu instid0(SALU_CYCLE_1)
	s_cmp_lg_u32 s18, s0
	s_cbranch_scc1 .LBB80_148
.LBB80_149:
	s_wait_dscnt 0x0
	v_cmp_eq_f32_e32 vcc_lo, 0, v90
	v_cmp_eq_f32_e64 s0, 0, v91
	s_and_b32 s0, vcc_lo, s0
	s_delay_alu instid0(SALU_CYCLE_1) | instskip(NEXT) | instid1(SALU_CYCLE_1)
	s_and_saveexec_b32 s1, s0
	s_xor_b32 s0, exec_lo, s1
; %bb.150:
	v_cmp_ne_u32_e32 vcc_lo, 0, v94
	v_cndmask_b32_e32 v94, 8, v94, vcc_lo
; %bb.151:
	s_and_not1_saveexec_b32 s0, s0
	s_cbranch_execz .LBB80_157
; %bb.152:
	v_cmp_ngt_f32_e64 s1, |v90|, |v91|
	s_and_saveexec_b32 s12, s1
	s_delay_alu instid0(SALU_CYCLE_1)
	s_xor_b32 s1, exec_lo, s12
	s_cbranch_execz .LBB80_154
; %bb.153:
	v_div_scale_f32 v89, null, v91, v91, v90
	v_div_scale_f32 v99, vcc_lo, v90, v91, v90
	s_delay_alu instid0(VALU_DEP_2) | instskip(SKIP_1) | instid1(TRANS32_DEP_1)
	v_rcp_f32_e32 v97, v89
	v_nop
	v_fma_f32 v98, -v89, v97, 1.0
	s_delay_alu instid0(VALU_DEP_1) | instskip(NEXT) | instid1(VALU_DEP_1)
	v_fmac_f32_e32 v97, v98, v97
	v_mul_f32_e32 v98, v99, v97
	s_delay_alu instid0(VALU_DEP_1) | instskip(NEXT) | instid1(VALU_DEP_1)
	v_fma_f32 v100, -v89, v98, v99
	v_fmac_f32_e32 v98, v100, v97
	s_delay_alu instid0(VALU_DEP_1) | instskip(NEXT) | instid1(VALU_DEP_1)
	v_fma_f32 v89, -v89, v98, v99
	v_div_fmas_f32 v89, v89, v97, v98
	s_delay_alu instid0(VALU_DEP_1) | instskip(NEXT) | instid1(VALU_DEP_1)
	v_div_fixup_f32 v89, v89, v91, v90
	v_fmac_f32_e32 v91, v90, v89
	s_delay_alu instid0(VALU_DEP_1) | instskip(SKIP_1) | instid1(VALU_DEP_2)
	v_div_scale_f32 v90, null, v91, v91, 1.0
	v_div_scale_f32 v99, vcc_lo, 1.0, v91, 1.0
	v_rcp_f32_e32 v97, v90
	v_nop
	s_delay_alu instid0(TRANS32_DEP_1) | instskip(NEXT) | instid1(VALU_DEP_1)
	v_fma_f32 v98, -v90, v97, 1.0
	v_fmac_f32_e32 v97, v98, v97
	s_delay_alu instid0(VALU_DEP_1) | instskip(NEXT) | instid1(VALU_DEP_1)
	v_mul_f32_e32 v98, v99, v97
	v_fma_f32 v100, -v90, v98, v99
	s_delay_alu instid0(VALU_DEP_1) | instskip(NEXT) | instid1(VALU_DEP_1)
	v_fmac_f32_e32 v98, v100, v97
	v_fma_f32 v90, -v90, v98, v99
	s_delay_alu instid0(VALU_DEP_1) | instskip(NEXT) | instid1(VALU_DEP_1)
	v_div_fmas_f32 v90, v90, v97, v98
	v_div_fixup_f32 v91, v90, v91, 1.0
	s_delay_alu instid0(VALU_DEP_1)
	v_mul_f32_e32 v90, v89, v91
	v_xor_b32_e32 v91, 0x80000000, v91
.LBB80_154:
	s_and_not1_saveexec_b32 s1, s1
	s_cbranch_execz .LBB80_156
; %bb.155:
	s_delay_alu instid0(VALU_DEP_1) | instskip(SKIP_1) | instid1(VALU_DEP_2)
	v_div_scale_f32 v89, null, v90, v90, v91
	v_div_scale_f32 v99, vcc_lo, v91, v90, v91
	v_rcp_f32_e32 v97, v89
	v_nop
	s_delay_alu instid0(TRANS32_DEP_1) | instskip(NEXT) | instid1(VALU_DEP_1)
	v_fma_f32 v98, -v89, v97, 1.0
	v_fmac_f32_e32 v97, v98, v97
	s_delay_alu instid0(VALU_DEP_1) | instskip(NEXT) | instid1(VALU_DEP_1)
	v_mul_f32_e32 v98, v99, v97
	v_fma_f32 v100, -v89, v98, v99
	s_delay_alu instid0(VALU_DEP_1) | instskip(NEXT) | instid1(VALU_DEP_1)
	v_fmac_f32_e32 v98, v100, v97
	v_fma_f32 v89, -v89, v98, v99
	s_delay_alu instid0(VALU_DEP_1) | instskip(NEXT) | instid1(VALU_DEP_1)
	v_div_fmas_f32 v89, v89, v97, v98
	v_div_fixup_f32 v89, v89, v90, v91
	s_delay_alu instid0(VALU_DEP_1) | instskip(NEXT) | instid1(VALU_DEP_1)
	v_fmac_f32_e32 v90, v91, v89
	v_div_scale_f32 v91, null, v90, v90, 1.0
	s_delay_alu instid0(VALU_DEP_1) | instskip(SKIP_1) | instid1(TRANS32_DEP_1)
	v_rcp_f32_e32 v97, v91
	v_nop
	v_fma_f32 v98, -v91, v97, 1.0
	s_delay_alu instid0(VALU_DEP_1) | instskip(SKIP_1) | instid1(VALU_DEP_1)
	v_fmac_f32_e32 v97, v98, v97
	v_div_scale_f32 v98, vcc_lo, 1.0, v90, 1.0
	v_mul_f32_e32 v99, v98, v97
	s_delay_alu instid0(VALU_DEP_1) | instskip(NEXT) | instid1(VALU_DEP_1)
	v_fma_f32 v100, -v91, v99, v98
	v_fmac_f32_e32 v99, v100, v97
	s_delay_alu instid0(VALU_DEP_1) | instskip(NEXT) | instid1(VALU_DEP_1)
	v_fma_f32 v91, -v91, v99, v98
	v_div_fmas_f32 v91, v91, v97, v99
	s_delay_alu instid0(VALU_DEP_1) | instskip(NEXT) | instid1(VALU_DEP_1)
	v_div_fixup_f32 v90, v91, v90, 1.0
	v_mul_f32_e64 v91, v89, -v90
.LBB80_156:
	s_or_b32 exec_lo, exec_lo, s1
.LBB80_157:
	s_delay_alu instid0(SALU_CYCLE_1) | instskip(NEXT) | instid1(SALU_CYCLE_1)
	s_or_b32 exec_lo, exec_lo, s0
	s_mov_b32 s0, exec_lo
	v_cmpx_ne_u32_e64 v96, v88
	s_xor_b32 s0, exec_lo, s0
	s_cbranch_execz .LBB80_163
; %bb.158:
	s_mov_b32 s1, exec_lo
	v_cmpx_eq_u32_e32 7, v96
	s_cbranch_execz .LBB80_162
; %bb.159:
	v_cmp_ne_u32_e32 vcc_lo, 7, v88
	s_xor_b32 s12, s16, -1
	s_delay_alu instid0(SALU_CYCLE_1) | instskip(NEXT) | instid1(SALU_CYCLE_1)
	s_and_b32 s13, s12, vcc_lo
	s_and_saveexec_b32 s12, s13
	s_cbranch_execz .LBB80_161
; %bb.160:
	v_ashrrev_i32_e32 v89, 31, v88
	s_delay_alu instid0(VALU_DEP_1)
	v_lshl_add_u64 v[96:97], v[88:89], 2, v[4:5]
	s_clause 0x1
	global_load_b32 v89, v[96:97], off
	global_load_b32 v95, v[4:5], off offset:28
	s_wait_loadcnt 0x1
	global_store_b32 v[4:5], v89, off offset:28
	s_wait_loadcnt 0x0
	global_store_b32 v[96:97], v95, off
.LBB80_161:
	s_wait_xcnt 0x0
	s_or_b32 exec_lo, exec_lo, s12
	v_dual_mov_b32 v96, v88 :: v_dual_mov_b32 v95, v88
.LBB80_162:
	s_or_b32 exec_lo, exec_lo, s1
.LBB80_163:
	s_and_not1_saveexec_b32 s0, s0
	s_cbranch_execz .LBB80_165
; %bb.164:
	v_dual_mov_b32 v88, v34 :: v_dual_mov_b32 v89, v35
	v_dual_mov_b32 v96, v30 :: v_dual_mov_b32 v97, v31
	ds_store_2addr_b64 v92, v[88:89], v[96:97] offset0:8 offset1:9
	v_dual_mov_b32 v88, v32 :: v_dual_mov_b32 v89, v33
	v_dual_mov_b32 v96, v28 :: v_dual_mov_b32 v97, v29
	ds_store_2addr_b64 v92, v[88:89], v[96:97] offset0:10 offset1:11
	;; [unrolled: 3-line block ×16, first 2 shown]
	ds_store_b64 v92, v[86:87] offset:320
	v_mov_b32_e32 v96, 7
.LBB80_165:
	s_or_b32 exec_lo, exec_lo, s0
	s_delay_alu instid0(SALU_CYCLE_1)
	s_mov_b32 s0, exec_lo
	s_wait_storecnt_dscnt 0x0
	s_barrier_signal -1
	s_barrier_wait -1
	v_cmpx_lt_i32_e32 7, v96
	s_cbranch_execz .LBB80_167
; %bb.166:
	v_pk_mul_f32 v[98:99], v[90:91], v[18:19] op_sel:[1,1] op_sel_hi:[0,1]
	s_delay_alu instid0(VALU_DEP_1)
	v_pk_fma_f32 v[88:89], v[90:91], v[18:19], v[98:99] op_sel_hi:[1,0,1] neg_lo:[0,0,1] neg_hi:[0,0,1]
	v_pk_fma_f32 v[90:91], v[90:91], v[18:19], v[98:99] op_sel_hi:[1,0,1]
	ds_load_2addr_b64 v[98:101], v92 offset0:8 offset1:9
	v_dual_mov_b32 v18, v88 :: v_dual_mov_b32 v19, v91
	s_wait_dscnt 0x0
	v_pk_mul_f32 v[102:103], v[98:99], v[90:91] op_sel:[0,1]
	s_delay_alu instid0(VALU_DEP_1) | instskip(SKIP_1) | instid1(VALU_DEP_1)
	v_pk_fma_f32 v[104:105], v[98:99], v[88:89], v[102:103] op_sel:[0,0,1] op_sel_hi:[1,1,0] neg_lo:[0,0,1] neg_hi:[0,0,1]
	v_pk_fma_f32 v[98:99], v[98:99], v[88:89], v[102:103] op_sel:[0,0,1] op_sel_hi:[1,0,0]
	v_mov_b32_e32 v105, v99
	v_pk_mul_f32 v[98:99], v[100:101], v[90:91] op_sel:[0,1]
	s_delay_alu instid0(VALU_DEP_1) | instskip(SKIP_1) | instid1(VALU_DEP_1)
	v_pk_fma_f32 v[102:103], v[100:101], v[88:89], v[98:99] op_sel:[0,0,1] op_sel_hi:[1,1,0] neg_lo:[0,0,1] neg_hi:[0,0,1]
	v_pk_fma_f32 v[98:99], v[100:101], v[88:89], v[98:99] op_sel:[0,0,1] op_sel_hi:[1,0,0]
	v_mov_b32_e32 v103, v99
	ds_load_2addr_b64 v[98:101], v92 offset0:10 offset1:11
	v_pk_add_f32 v[34:35], v[34:35], v[104:105] neg_lo:[0,1] neg_hi:[0,1]
	v_pk_add_f32 v[30:31], v[30:31], v[102:103] neg_lo:[0,1] neg_hi:[0,1]
	s_wait_dscnt 0x0
	v_pk_mul_f32 v[102:103], v[98:99], v[90:91] op_sel:[0,1]
	s_delay_alu instid0(VALU_DEP_1) | instskip(SKIP_2) | instid1(VALU_DEP_2)
	v_pk_fma_f32 v[104:105], v[98:99], v[88:89], v[102:103] op_sel:[0,0,1] op_sel_hi:[1,1,0] neg_lo:[0,0,1] neg_hi:[0,0,1]
	v_pk_fma_f32 v[98:99], v[98:99], v[88:89], v[102:103] op_sel:[0,0,1] op_sel_hi:[1,0,0]
	v_dual_mul_f32 v102, v101, v91 :: v_dual_mov_b32 v98, v101
	v_dual_mov_b32 v105, v99 :: v_dual_mov_b32 v99, v100
	s_delay_alu instid0(VALU_DEP_2) | instskip(SKIP_1) | instid1(VALU_DEP_3)
	v_pk_fma_f32 v[102:103], v[100:101], v[18:19], v[102:103] op_sel_hi:[1,1,0] neg_lo:[0,0,1] neg_hi:[0,0,1]
	v_mul_f32_e32 v100, v101, v88
	v_pk_add_f32 v[32:33], v[32:33], v[104:105] neg_lo:[0,1] neg_hi:[0,1]
	s_delay_alu instid0(VALU_DEP_2) | instskip(NEXT) | instid1(VALU_DEP_1)
	v_pk_fma_f32 v[98:99], v[98:99], v[18:19], v[100:101] op_sel_hi:[1,1,0]
	v_mov_b32_e32 v103, v99
	ds_load_2addr_b64 v[98:101], v92 offset0:12 offset1:13
	v_pk_add_f32 v[28:29], v[28:29], v[102:103] neg_lo:[0,1] neg_hi:[0,1]
	s_wait_dscnt 0x0
	v_pk_mul_f32 v[102:103], v[98:99], v[90:91] op_sel:[0,1]
	s_delay_alu instid0(VALU_DEP_1) | instskip(SKIP_1) | instid1(VALU_DEP_1)
	v_pk_fma_f32 v[104:105], v[98:99], v[88:89], v[102:103] op_sel:[0,0,1] op_sel_hi:[1,1,0] neg_lo:[0,0,1] neg_hi:[0,0,1]
	v_pk_fma_f32 v[98:99], v[98:99], v[88:89], v[102:103] op_sel:[0,0,1] op_sel_hi:[1,0,0]
	v_mov_b32_e32 v105, v99
	v_pk_mul_f32 v[98:99], v[100:101], v[90:91] op_sel:[0,1]
	s_delay_alu instid0(VALU_DEP_1) | instskip(SKIP_1) | instid1(VALU_DEP_1)
	v_pk_fma_f32 v[102:103], v[100:101], v[88:89], v[98:99] op_sel:[0,0,1] op_sel_hi:[1,1,0] neg_lo:[0,0,1] neg_hi:[0,0,1]
	v_pk_fma_f32 v[98:99], v[100:101], v[88:89], v[98:99] op_sel:[0,0,1] op_sel_hi:[1,0,0]
	v_mov_b32_e32 v103, v99
	ds_load_2addr_b64 v[98:101], v92 offset0:14 offset1:15
	v_pk_add_f32 v[76:77], v[76:77], v[104:105] neg_lo:[0,1] neg_hi:[0,1]
	v_pk_add_f32 v[72:73], v[72:73], v[102:103] neg_lo:[0,1] neg_hi:[0,1]
	s_wait_dscnt 0x0
	v_pk_mul_f32 v[102:103], v[98:99], v[90:91] op_sel:[0,1]
	s_delay_alu instid0(VALU_DEP_1) | instskip(SKIP_1) | instid1(VALU_DEP_1)
	v_pk_fma_f32 v[104:105], v[98:99], v[88:89], v[102:103] op_sel:[0,0,1] op_sel_hi:[1,1,0] neg_lo:[0,0,1] neg_hi:[0,0,1]
	v_pk_fma_f32 v[98:99], v[98:99], v[88:89], v[102:103] op_sel:[0,0,1] op_sel_hi:[1,0,0]
	v_mov_b32_e32 v105, v99
	v_pk_mul_f32 v[98:99], v[100:101], v[90:91] op_sel:[0,1]
	s_delay_alu instid0(VALU_DEP_1) | instskip(SKIP_1) | instid1(VALU_DEP_1)
	v_pk_fma_f32 v[102:103], v[100:101], v[88:89], v[98:99] op_sel:[0,0,1] op_sel_hi:[1,1,0] neg_lo:[0,0,1] neg_hi:[0,0,1]
	v_pk_fma_f32 v[98:99], v[100:101], v[88:89], v[98:99] op_sel:[0,0,1] op_sel_hi:[1,0,0]
	v_mov_b32_e32 v103, v99
	ds_load_2addr_b64 v[98:101], v92 offset0:16 offset1:17
	v_pk_add_f32 v[74:75], v[74:75], v[104:105] neg_lo:[0,1] neg_hi:[0,1]
	v_pk_add_f32 v[70:71], v[70:71], v[102:103] neg_lo:[0,1] neg_hi:[0,1]
	s_wait_dscnt 0x0
	v_dual_mul_f32 v102, v99, v91 :: v_dual_mul_f32 v104, v99, v88
	s_delay_alu instid0(VALU_DEP_1) | instskip(NEXT) | instid1(VALU_DEP_2)
	v_pk_fma_f32 v[102:103], v[98:99], v[18:19], v[102:103] op_sel_hi:[1,1,0] neg_lo:[0,0,1] neg_hi:[0,0,1]
	v_pk_fma_f32 v[98:99], v[98:99], v[18:19], v[104:105] op_sel:[1,0,0] op_sel_hi:[0,1,0]
	s_delay_alu instid0(VALU_DEP_1) | instskip(SKIP_1) | instid1(VALU_DEP_2)
	v_mov_b32_e32 v103, v99
	v_pk_mul_f32 v[98:99], v[100:101], v[90:91] op_sel:[0,1]
	v_pk_add_f32 v[68:69], v[68:69], v[102:103] neg_lo:[0,1] neg_hi:[0,1]
	s_delay_alu instid0(VALU_DEP_2) | instskip(SKIP_1) | instid1(VALU_DEP_1)
	v_pk_fma_f32 v[102:103], v[100:101], v[88:89], v[98:99] op_sel:[0,0,1] op_sel_hi:[1,1,0] neg_lo:[0,0,1] neg_hi:[0,0,1]
	v_pk_fma_f32 v[98:99], v[100:101], v[88:89], v[98:99] op_sel:[0,0,1] op_sel_hi:[1,0,0]
	v_mov_b32_e32 v103, v99
	ds_load_2addr_b64 v[98:101], v92 offset0:18 offset1:19
	v_pk_add_f32 v[64:65], v[64:65], v[102:103] neg_lo:[0,1] neg_hi:[0,1]
	s_wait_dscnt 0x0
	v_pk_mul_f32 v[102:103], v[98:99], v[90:91] op_sel:[0,1]
	s_delay_alu instid0(VALU_DEP_1) | instskip(SKIP_1) | instid1(VALU_DEP_1)
	v_pk_fma_f32 v[104:105], v[98:99], v[88:89], v[102:103] op_sel:[0,0,1] op_sel_hi:[1,1,0] neg_lo:[0,0,1] neg_hi:[0,0,1]
	v_pk_fma_f32 v[98:99], v[98:99], v[88:89], v[102:103] op_sel:[0,0,1] op_sel_hi:[1,0,0]
	v_mov_b32_e32 v105, v99
	v_pk_mul_f32 v[98:99], v[100:101], v[90:91] op_sel:[0,1]
	s_delay_alu instid0(VALU_DEP_2) | instskip(NEXT) | instid1(VALU_DEP_2)
	v_pk_add_f32 v[66:67], v[66:67], v[104:105] neg_lo:[0,1] neg_hi:[0,1]
	v_pk_fma_f32 v[102:103], v[100:101], v[88:89], v[98:99] op_sel:[0,0,1] op_sel_hi:[1,1,0] neg_lo:[0,0,1] neg_hi:[0,0,1]
	v_pk_fma_f32 v[98:99], v[100:101], v[88:89], v[98:99] op_sel:[0,0,1] op_sel_hi:[1,0,0]
	s_delay_alu instid0(VALU_DEP_1) | instskip(SKIP_4) | instid1(VALU_DEP_1)
	v_mov_b32_e32 v103, v99
	ds_load_2addr_b64 v[98:101], v92 offset0:20 offset1:21
	v_pk_add_f32 v[62:63], v[62:63], v[102:103] neg_lo:[0,1] neg_hi:[0,1]
	s_wait_dscnt 0x0
	v_pk_mul_f32 v[102:103], v[98:99], v[90:91] op_sel:[0,1]
	v_pk_fma_f32 v[104:105], v[98:99], v[88:89], v[102:103] op_sel:[0,0,1] op_sel_hi:[1,1,0] neg_lo:[0,0,1] neg_hi:[0,0,1]
	v_pk_fma_f32 v[98:99], v[98:99], v[88:89], v[102:103] op_sel:[0,0,1] op_sel_hi:[1,0,0]
	v_dual_mul_f32 v102, v101, v91 :: v_dual_mov_b32 v98, v101
	s_delay_alu instid0(VALU_DEP_2) | instskip(NEXT) | instid1(VALU_DEP_2)
	v_dual_mov_b32 v105, v99 :: v_dual_mov_b32 v99, v100
	v_pk_fma_f32 v[102:103], v[100:101], v[18:19], v[102:103] op_sel_hi:[1,1,0] neg_lo:[0,0,1] neg_hi:[0,0,1]
	v_mul_f32_e32 v100, v101, v88
	s_delay_alu instid0(VALU_DEP_3) | instskip(NEXT) | instid1(VALU_DEP_2)
	v_pk_add_f32 v[60:61], v[60:61], v[104:105] neg_lo:[0,1] neg_hi:[0,1]
	v_pk_fma_f32 v[98:99], v[98:99], v[18:19], v[100:101] op_sel_hi:[1,1,0]
	s_delay_alu instid0(VALU_DEP_1) | instskip(SKIP_4) | instid1(VALU_DEP_1)
	v_mov_b32_e32 v103, v99
	ds_load_2addr_b64 v[98:101], v92 offset0:22 offset1:23
	v_pk_add_f32 v[56:57], v[56:57], v[102:103] neg_lo:[0,1] neg_hi:[0,1]
	s_wait_dscnt 0x0
	v_pk_mul_f32 v[102:103], v[98:99], v[90:91] op_sel:[0,1]
	v_pk_fma_f32 v[104:105], v[98:99], v[88:89], v[102:103] op_sel:[0,0,1] op_sel_hi:[1,1,0] neg_lo:[0,0,1] neg_hi:[0,0,1]
	v_pk_fma_f32 v[98:99], v[98:99], v[88:89], v[102:103] op_sel:[0,0,1] op_sel_hi:[1,0,0]
	s_delay_alu instid0(VALU_DEP_1) | instskip(SKIP_1) | instid1(VALU_DEP_1)
	v_mov_b32_e32 v105, v99
	v_pk_mul_f32 v[98:99], v[100:101], v[90:91] op_sel:[0,1]
	v_pk_fma_f32 v[102:103], v[100:101], v[88:89], v[98:99] op_sel:[0,0,1] op_sel_hi:[1,1,0] neg_lo:[0,0,1] neg_hi:[0,0,1]
	v_pk_fma_f32 v[98:99], v[100:101], v[88:89], v[98:99] op_sel:[0,0,1] op_sel_hi:[1,0,0]
	s_delay_alu instid0(VALU_DEP_1)
	v_mov_b32_e32 v103, v99
	ds_load_2addr_b64 v[98:101], v92 offset0:24 offset1:25
	v_pk_add_f32 v[58:59], v[58:59], v[104:105] neg_lo:[0,1] neg_hi:[0,1]
	v_pk_add_f32 v[54:55], v[54:55], v[102:103] neg_lo:[0,1] neg_hi:[0,1]
	s_wait_dscnt 0x0
	v_pk_mul_f32 v[102:103], v[98:99], v[90:91] op_sel:[0,1]
	s_delay_alu instid0(VALU_DEP_1) | instskip(SKIP_1) | instid1(VALU_DEP_1)
	v_pk_fma_f32 v[104:105], v[98:99], v[88:89], v[102:103] op_sel:[0,0,1] op_sel_hi:[1,1,0] neg_lo:[0,0,1] neg_hi:[0,0,1]
	v_pk_fma_f32 v[98:99], v[98:99], v[88:89], v[102:103] op_sel:[0,0,1] op_sel_hi:[1,0,0]
	v_mov_b32_e32 v105, v99
	v_pk_mul_f32 v[98:99], v[100:101], v[90:91] op_sel:[0,1]
	s_delay_alu instid0(VALU_DEP_1) | instskip(SKIP_1) | instid1(VALU_DEP_1)
	v_pk_fma_f32 v[102:103], v[100:101], v[88:89], v[98:99] op_sel:[0,0,1] op_sel_hi:[1,1,0] neg_lo:[0,0,1] neg_hi:[0,0,1]
	v_pk_fma_f32 v[98:99], v[100:101], v[88:89], v[98:99] op_sel:[0,0,1] op_sel_hi:[1,0,0]
	v_mov_b32_e32 v103, v99
	ds_load_2addr_b64 v[98:101], v92 offset0:26 offset1:27
	v_pk_add_f32 v[52:53], v[52:53], v[104:105] neg_lo:[0,1] neg_hi:[0,1]
	v_pk_add_f32 v[48:49], v[48:49], v[102:103] neg_lo:[0,1] neg_hi:[0,1]
	s_wait_dscnt 0x0
	v_dual_mul_f32 v102, v99, v91 :: v_dual_mul_f32 v104, v99, v88
	s_delay_alu instid0(VALU_DEP_1) | instskip(NEXT) | instid1(VALU_DEP_2)
	v_pk_fma_f32 v[102:103], v[98:99], v[18:19], v[102:103] op_sel_hi:[1,1,0] neg_lo:[0,0,1] neg_hi:[0,0,1]
	v_pk_fma_f32 v[98:99], v[98:99], v[18:19], v[104:105] op_sel:[1,0,0] op_sel_hi:[0,1,0]
	s_delay_alu instid0(VALU_DEP_1) | instskip(SKIP_1) | instid1(VALU_DEP_2)
	v_mov_b32_e32 v103, v99
	v_pk_mul_f32 v[98:99], v[100:101], v[90:91] op_sel:[0,1]
	v_pk_add_f32 v[50:51], v[50:51], v[102:103] neg_lo:[0,1] neg_hi:[0,1]
	s_delay_alu instid0(VALU_DEP_2) | instskip(SKIP_1) | instid1(VALU_DEP_1)
	v_pk_fma_f32 v[102:103], v[100:101], v[88:89], v[98:99] op_sel:[0,0,1] op_sel_hi:[1,1,0] neg_lo:[0,0,1] neg_hi:[0,0,1]
	v_pk_fma_f32 v[98:99], v[100:101], v[88:89], v[98:99] op_sel:[0,0,1] op_sel_hi:[1,0,0]
	v_mov_b32_e32 v103, v99
	ds_load_2addr_b64 v[98:101], v92 offset0:28 offset1:29
	v_pk_add_f32 v[46:47], v[46:47], v[102:103] neg_lo:[0,1] neg_hi:[0,1]
	s_wait_dscnt 0x0
	v_pk_mul_f32 v[102:103], v[98:99], v[90:91] op_sel:[0,1]
	s_delay_alu instid0(VALU_DEP_1) | instskip(SKIP_1) | instid1(VALU_DEP_1)
	v_pk_fma_f32 v[104:105], v[98:99], v[88:89], v[102:103] op_sel:[0,0,1] op_sel_hi:[1,1,0] neg_lo:[0,0,1] neg_hi:[0,0,1]
	v_pk_fma_f32 v[98:99], v[98:99], v[88:89], v[102:103] op_sel:[0,0,1] op_sel_hi:[1,0,0]
	v_mov_b32_e32 v105, v99
	v_pk_mul_f32 v[98:99], v[100:101], v[90:91] op_sel:[0,1]
	s_delay_alu instid0(VALU_DEP_2) | instskip(NEXT) | instid1(VALU_DEP_2)
	v_pk_add_f32 v[42:43], v[42:43], v[104:105] neg_lo:[0,1] neg_hi:[0,1]
	v_pk_fma_f32 v[102:103], v[100:101], v[88:89], v[98:99] op_sel:[0,0,1] op_sel_hi:[1,1,0] neg_lo:[0,0,1] neg_hi:[0,0,1]
	v_pk_fma_f32 v[98:99], v[100:101], v[88:89], v[98:99] op_sel:[0,0,1] op_sel_hi:[1,0,0]
	s_delay_alu instid0(VALU_DEP_1) | instskip(SKIP_4) | instid1(VALU_DEP_1)
	v_mov_b32_e32 v103, v99
	ds_load_2addr_b64 v[98:101], v92 offset0:30 offset1:31
	v_pk_add_f32 v[38:39], v[38:39], v[102:103] neg_lo:[0,1] neg_hi:[0,1]
	s_wait_dscnt 0x0
	v_pk_mul_f32 v[102:103], v[98:99], v[90:91] op_sel:[0,1]
	v_pk_fma_f32 v[104:105], v[98:99], v[88:89], v[102:103] op_sel:[0,0,1] op_sel_hi:[1,1,0] neg_lo:[0,0,1] neg_hi:[0,0,1]
	v_pk_fma_f32 v[98:99], v[98:99], v[88:89], v[102:103] op_sel:[0,0,1] op_sel_hi:[1,0,0]
	v_dual_mul_f32 v102, v101, v91 :: v_dual_mov_b32 v98, v101
	s_delay_alu instid0(VALU_DEP_2) | instskip(NEXT) | instid1(VALU_DEP_2)
	v_dual_mov_b32 v105, v99 :: v_dual_mov_b32 v99, v100
	v_pk_fma_f32 v[102:103], v[100:101], v[18:19], v[102:103] op_sel_hi:[1,1,0] neg_lo:[0,0,1] neg_hi:[0,0,1]
	v_mul_f32_e32 v100, v101, v88
	s_delay_alu instid0(VALU_DEP_3) | instskip(NEXT) | instid1(VALU_DEP_2)
	v_pk_add_f32 v[40:41], v[40:41], v[104:105] neg_lo:[0,1] neg_hi:[0,1]
	v_pk_fma_f32 v[98:99], v[98:99], v[18:19], v[100:101] op_sel_hi:[1,1,0]
	s_delay_alu instid0(VALU_DEP_1) | instskip(SKIP_4) | instid1(VALU_DEP_1)
	v_mov_b32_e32 v103, v99
	ds_load_2addr_b64 v[98:101], v92 offset0:32 offset1:33
	v_pk_add_f32 v[36:37], v[36:37], v[102:103] neg_lo:[0,1] neg_hi:[0,1]
	s_wait_dscnt 0x0
	v_pk_mul_f32 v[102:103], v[98:99], v[90:91] op_sel:[0,1]
	v_pk_fma_f32 v[104:105], v[98:99], v[88:89], v[102:103] op_sel:[0,0,1] op_sel_hi:[1,1,0] neg_lo:[0,0,1] neg_hi:[0,0,1]
	v_pk_fma_f32 v[98:99], v[98:99], v[88:89], v[102:103] op_sel:[0,0,1] op_sel_hi:[1,0,0]
	s_delay_alu instid0(VALU_DEP_1) | instskip(SKIP_1) | instid1(VALU_DEP_1)
	v_mov_b32_e32 v105, v99
	v_pk_mul_f32 v[98:99], v[100:101], v[90:91] op_sel:[0,1]
	v_pk_fma_f32 v[102:103], v[100:101], v[88:89], v[98:99] op_sel:[0,0,1] op_sel_hi:[1,1,0] neg_lo:[0,0,1] neg_hi:[0,0,1]
	v_pk_fma_f32 v[98:99], v[100:101], v[88:89], v[98:99] op_sel:[0,0,1] op_sel_hi:[1,0,0]
	s_delay_alu instid0(VALU_DEP_1)
	v_mov_b32_e32 v103, v99
	ds_load_2addr_b64 v[98:101], v92 offset0:34 offset1:35
	v_pk_add_f32 v[14:15], v[14:15], v[104:105] neg_lo:[0,1] neg_hi:[0,1]
	v_pk_add_f32 v[10:11], v[10:11], v[102:103] neg_lo:[0,1] neg_hi:[0,1]
	s_wait_dscnt 0x0
	v_pk_mul_f32 v[102:103], v[98:99], v[90:91] op_sel:[0,1]
	s_delay_alu instid0(VALU_DEP_1) | instskip(SKIP_1) | instid1(VALU_DEP_1)
	v_pk_fma_f32 v[104:105], v[98:99], v[88:89], v[102:103] op_sel:[0,0,1] op_sel_hi:[1,1,0] neg_lo:[0,0,1] neg_hi:[0,0,1]
	v_pk_fma_f32 v[98:99], v[98:99], v[88:89], v[102:103] op_sel:[0,0,1] op_sel_hi:[1,0,0]
	v_mov_b32_e32 v105, v99
	v_pk_mul_f32 v[98:99], v[100:101], v[90:91] op_sel:[0,1]
	s_delay_alu instid0(VALU_DEP_1) | instskip(SKIP_1) | instid1(VALU_DEP_1)
	v_pk_fma_f32 v[102:103], v[100:101], v[88:89], v[98:99] op_sel:[0,0,1] op_sel_hi:[1,1,0] neg_lo:[0,0,1] neg_hi:[0,0,1]
	v_pk_fma_f32 v[98:99], v[100:101], v[88:89], v[98:99] op_sel:[0,0,1] op_sel_hi:[1,0,0]
	v_mov_b32_e32 v103, v99
	ds_load_2addr_b64 v[98:101], v92 offset0:36 offset1:37
	v_pk_add_f32 v[12:13], v[12:13], v[104:105] neg_lo:[0,1] neg_hi:[0,1]
	v_pk_add_f32 v[8:9], v[8:9], v[102:103] neg_lo:[0,1] neg_hi:[0,1]
	s_wait_dscnt 0x0
	v_dual_mul_f32 v102, v99, v91 :: v_dual_mul_f32 v104, v99, v88
	s_delay_alu instid0(VALU_DEP_1) | instskip(NEXT) | instid1(VALU_DEP_2)
	v_pk_fma_f32 v[102:103], v[98:99], v[18:19], v[102:103] op_sel_hi:[1,1,0] neg_lo:[0,0,1] neg_hi:[0,0,1]
	v_pk_fma_f32 v[98:99], v[98:99], v[18:19], v[104:105] op_sel:[1,0,0] op_sel_hi:[0,1,0]
	s_delay_alu instid0(VALU_DEP_1) | instskip(SKIP_1) | instid1(VALU_DEP_2)
	v_mov_b32_e32 v103, v99
	v_pk_mul_f32 v[98:99], v[100:101], v[90:91] op_sel:[0,1]
	v_pk_add_f32 v[6:7], v[6:7], v[102:103] neg_lo:[0,1] neg_hi:[0,1]
	s_delay_alu instid0(VALU_DEP_2) | instskip(SKIP_1) | instid1(VALU_DEP_1)
	v_pk_fma_f32 v[102:103], v[100:101], v[88:89], v[98:99] op_sel:[0,0,1] op_sel_hi:[1,1,0] neg_lo:[0,0,1] neg_hi:[0,0,1]
	v_pk_fma_f32 v[98:99], v[100:101], v[88:89], v[98:99] op_sel:[0,0,1] op_sel_hi:[1,0,0]
	v_mov_b32_e32 v103, v99
	ds_load_2addr_b64 v[98:101], v92 offset0:38 offset1:39
	v_pk_add_f32 v[44:45], v[44:45], v[102:103] neg_lo:[0,1] neg_hi:[0,1]
	s_wait_dscnt 0x0
	v_pk_mul_f32 v[102:103], v[98:99], v[90:91] op_sel:[0,1]
	s_delay_alu instid0(VALU_DEP_1) | instskip(SKIP_1) | instid1(VALU_DEP_1)
	v_pk_fma_f32 v[104:105], v[98:99], v[88:89], v[102:103] op_sel:[0,0,1] op_sel_hi:[1,1,0] neg_lo:[0,0,1] neg_hi:[0,0,1]
	v_pk_fma_f32 v[98:99], v[98:99], v[88:89], v[102:103] op_sel:[0,0,1] op_sel_hi:[1,0,0]
	v_mov_b32_e32 v105, v99
	v_pk_mul_f32 v[98:99], v[100:101], v[90:91] op_sel:[0,1]
	s_delay_alu instid0(VALU_DEP_2) | instskip(NEXT) | instid1(VALU_DEP_2)
	v_pk_add_f32 v[22:23], v[22:23], v[104:105] neg_lo:[0,1] neg_hi:[0,1]
	v_pk_fma_f32 v[102:103], v[100:101], v[88:89], v[98:99] op_sel:[0,0,1] op_sel_hi:[1,1,0] neg_lo:[0,0,1] neg_hi:[0,0,1]
	v_pk_fma_f32 v[98:99], v[100:101], v[88:89], v[98:99] op_sel:[0,0,1] op_sel_hi:[1,0,0]
	s_delay_alu instid0(VALU_DEP_1) | instskip(SKIP_4) | instid1(VALU_DEP_1)
	v_mov_b32_e32 v103, v99
	ds_load_b64 v[98:99], v92 offset:320
	v_pk_add_f32 v[16:17], v[16:17], v[102:103] neg_lo:[0,1] neg_hi:[0,1]
	s_wait_dscnt 0x0
	v_pk_mul_f32 v[90:91], v[98:99], v[90:91] op_sel:[0,1]
	v_pk_fma_f32 v[100:101], v[98:99], v[88:89], v[90:91] op_sel:[0,0,1] op_sel_hi:[1,1,0] neg_lo:[0,0,1] neg_hi:[0,0,1]
	v_pk_fma_f32 v[88:89], v[98:99], v[88:89], v[90:91] op_sel:[0,0,1] op_sel_hi:[1,0,0]
	s_delay_alu instid0(VALU_DEP_1) | instskip(NEXT) | instid1(VALU_DEP_1)
	v_mov_b32_e32 v101, v89
	v_pk_add_f32 v[86:87], v[86:87], v[100:101] neg_lo:[0,1] neg_hi:[0,1]
.LBB80_167:
	s_or_b32 exec_lo, exec_lo, s0
	v_lshl_add_u32 v88, v96, 3, v92
	s_barrier_signal -1
	s_barrier_wait -1
	ds_store_b64 v88, v[34:35]
	s_wait_dscnt 0x0
	s_barrier_signal -1
	s_barrier_wait -1
	ds_load_b64 v[90:91], v92 offset:64
	v_mov_b32_e32 v88, 8
	s_cmp_lt_i32 s18, 10
	s_cbranch_scc1 .LBB80_170
; %bb.168:
	v_add3_u32 v89, v93, 0, 0x48
	v_mov_b32_e32 v88, 8
	s_mov_b32 s0, 9
.LBB80_169:                             ; =>This Inner Loop Header: Depth=1
	ds_load_b64 v[98:99], v89
	s_wait_dscnt 0x1
	v_cmp_gt_f32_e32 vcc_lo, 0, v90
	v_cndmask_b32_e64 v100, v90, -v90, vcc_lo
	v_cmp_gt_f32_e32 vcc_lo, 0, v91
	v_cndmask_b32_e64 v102, v91, -v91, vcc_lo
	s_wait_dscnt 0x0
	v_cmp_gt_f32_e32 vcc_lo, 0, v98
	v_cndmask_b32_e64 v101, v98, -v98, vcc_lo
	v_cmp_gt_f32_e32 vcc_lo, 0, v99
	v_cndmask_b32_e64 v103, v99, -v99, vcc_lo
	s_delay_alu instid0(VALU_DEP_1) | instskip(NEXT) | instid1(VALU_DEP_1)
	v_pk_add_f32 v[100:101], v[100:101], v[102:103]
	v_cmp_lt_f32_e32 vcc_lo, v100, v101
	v_dual_add_nc_u32 v89, 8, v89 :: v_dual_cndmask_b32 v91, v91, v99, vcc_lo
	v_cndmask_b32_e32 v90, v90, v98, vcc_lo
	v_cndmask_b32_e64 v88, v88, s0, vcc_lo
	s_add_co_i32 s0, s0, 1
	s_delay_alu instid0(SALU_CYCLE_1)
	s_cmp_lg_u32 s18, s0
	s_cbranch_scc1 .LBB80_169
.LBB80_170:
	s_wait_dscnt 0x0
	v_cmp_eq_f32_e32 vcc_lo, 0, v90
	v_cmp_eq_f32_e64 s0, 0, v91
	s_and_b32 s0, vcc_lo, s0
	s_delay_alu instid0(SALU_CYCLE_1) | instskip(NEXT) | instid1(SALU_CYCLE_1)
	s_and_saveexec_b32 s1, s0
	s_xor_b32 s0, exec_lo, s1
; %bb.171:
	v_cmp_ne_u32_e32 vcc_lo, 0, v94
	v_cndmask_b32_e32 v94, 9, v94, vcc_lo
; %bb.172:
	s_and_not1_saveexec_b32 s0, s0
	s_cbranch_execz .LBB80_178
; %bb.173:
	v_cmp_ngt_f32_e64 s1, |v90|, |v91|
	s_and_saveexec_b32 s12, s1
	s_delay_alu instid0(SALU_CYCLE_1)
	s_xor_b32 s1, exec_lo, s12
	s_cbranch_execz .LBB80_175
; %bb.174:
	v_div_scale_f32 v89, null, v91, v91, v90
	v_div_scale_f32 v99, vcc_lo, v90, v91, v90
	s_delay_alu instid0(VALU_DEP_2) | instskip(SKIP_1) | instid1(TRANS32_DEP_1)
	v_rcp_f32_e32 v97, v89
	v_nop
	v_fma_f32 v98, -v89, v97, 1.0
	s_delay_alu instid0(VALU_DEP_1) | instskip(NEXT) | instid1(VALU_DEP_1)
	v_fmac_f32_e32 v97, v98, v97
	v_mul_f32_e32 v98, v99, v97
	s_delay_alu instid0(VALU_DEP_1) | instskip(NEXT) | instid1(VALU_DEP_1)
	v_fma_f32 v100, -v89, v98, v99
	v_fmac_f32_e32 v98, v100, v97
	s_delay_alu instid0(VALU_DEP_1) | instskip(NEXT) | instid1(VALU_DEP_1)
	v_fma_f32 v89, -v89, v98, v99
	v_div_fmas_f32 v89, v89, v97, v98
	s_delay_alu instid0(VALU_DEP_1) | instskip(NEXT) | instid1(VALU_DEP_1)
	v_div_fixup_f32 v89, v89, v91, v90
	v_fmac_f32_e32 v91, v90, v89
	s_delay_alu instid0(VALU_DEP_1) | instskip(SKIP_1) | instid1(VALU_DEP_2)
	v_div_scale_f32 v90, null, v91, v91, 1.0
	v_div_scale_f32 v99, vcc_lo, 1.0, v91, 1.0
	v_rcp_f32_e32 v97, v90
	v_nop
	s_delay_alu instid0(TRANS32_DEP_1) | instskip(NEXT) | instid1(VALU_DEP_1)
	v_fma_f32 v98, -v90, v97, 1.0
	v_fmac_f32_e32 v97, v98, v97
	s_delay_alu instid0(VALU_DEP_1) | instskip(NEXT) | instid1(VALU_DEP_1)
	v_mul_f32_e32 v98, v99, v97
	v_fma_f32 v100, -v90, v98, v99
	s_delay_alu instid0(VALU_DEP_1) | instskip(NEXT) | instid1(VALU_DEP_1)
	v_fmac_f32_e32 v98, v100, v97
	v_fma_f32 v90, -v90, v98, v99
	s_delay_alu instid0(VALU_DEP_1) | instskip(NEXT) | instid1(VALU_DEP_1)
	v_div_fmas_f32 v90, v90, v97, v98
	v_div_fixup_f32 v91, v90, v91, 1.0
	s_delay_alu instid0(VALU_DEP_1)
	v_mul_f32_e32 v90, v89, v91
	v_xor_b32_e32 v91, 0x80000000, v91
.LBB80_175:
	s_and_not1_saveexec_b32 s1, s1
	s_cbranch_execz .LBB80_177
; %bb.176:
	s_delay_alu instid0(VALU_DEP_1) | instskip(SKIP_1) | instid1(VALU_DEP_2)
	v_div_scale_f32 v89, null, v90, v90, v91
	v_div_scale_f32 v99, vcc_lo, v91, v90, v91
	v_rcp_f32_e32 v97, v89
	v_nop
	s_delay_alu instid0(TRANS32_DEP_1) | instskip(NEXT) | instid1(VALU_DEP_1)
	v_fma_f32 v98, -v89, v97, 1.0
	v_fmac_f32_e32 v97, v98, v97
	s_delay_alu instid0(VALU_DEP_1) | instskip(NEXT) | instid1(VALU_DEP_1)
	v_mul_f32_e32 v98, v99, v97
	v_fma_f32 v100, -v89, v98, v99
	s_delay_alu instid0(VALU_DEP_1) | instskip(NEXT) | instid1(VALU_DEP_1)
	v_fmac_f32_e32 v98, v100, v97
	v_fma_f32 v89, -v89, v98, v99
	s_delay_alu instid0(VALU_DEP_1) | instskip(NEXT) | instid1(VALU_DEP_1)
	v_div_fmas_f32 v89, v89, v97, v98
	v_div_fixup_f32 v89, v89, v90, v91
	s_delay_alu instid0(VALU_DEP_1) | instskip(NEXT) | instid1(VALU_DEP_1)
	v_fmac_f32_e32 v90, v91, v89
	v_div_scale_f32 v91, null, v90, v90, 1.0
	s_delay_alu instid0(VALU_DEP_1) | instskip(SKIP_1) | instid1(TRANS32_DEP_1)
	v_rcp_f32_e32 v97, v91
	v_nop
	v_fma_f32 v98, -v91, v97, 1.0
	s_delay_alu instid0(VALU_DEP_1) | instskip(SKIP_1) | instid1(VALU_DEP_1)
	v_fmac_f32_e32 v97, v98, v97
	v_div_scale_f32 v98, vcc_lo, 1.0, v90, 1.0
	v_mul_f32_e32 v99, v98, v97
	s_delay_alu instid0(VALU_DEP_1) | instskip(NEXT) | instid1(VALU_DEP_1)
	v_fma_f32 v100, -v91, v99, v98
	v_fmac_f32_e32 v99, v100, v97
	s_delay_alu instid0(VALU_DEP_1) | instskip(NEXT) | instid1(VALU_DEP_1)
	v_fma_f32 v91, -v91, v99, v98
	v_div_fmas_f32 v91, v91, v97, v99
	s_delay_alu instid0(VALU_DEP_1) | instskip(NEXT) | instid1(VALU_DEP_1)
	v_div_fixup_f32 v90, v91, v90, 1.0
	v_mul_f32_e64 v91, v89, -v90
.LBB80_177:
	s_or_b32 exec_lo, exec_lo, s1
.LBB80_178:
	s_delay_alu instid0(SALU_CYCLE_1) | instskip(NEXT) | instid1(SALU_CYCLE_1)
	s_or_b32 exec_lo, exec_lo, s0
	s_mov_b32 s0, exec_lo
	v_cmpx_ne_u32_e64 v96, v88
	s_xor_b32 s0, exec_lo, s0
	s_cbranch_execz .LBB80_184
; %bb.179:
	s_mov_b32 s1, exec_lo
	v_cmpx_eq_u32_e32 8, v96
	s_cbranch_execz .LBB80_183
; %bb.180:
	v_cmp_ne_u32_e32 vcc_lo, 8, v88
	s_xor_b32 s12, s16, -1
	s_delay_alu instid0(SALU_CYCLE_1) | instskip(NEXT) | instid1(SALU_CYCLE_1)
	s_and_b32 s13, s12, vcc_lo
	s_and_saveexec_b32 s12, s13
	s_cbranch_execz .LBB80_182
; %bb.181:
	v_ashrrev_i32_e32 v89, 31, v88
	s_delay_alu instid0(VALU_DEP_1)
	v_lshl_add_u64 v[96:97], v[88:89], 2, v[4:5]
	s_clause 0x1
	global_load_b32 v89, v[96:97], off
	global_load_b32 v95, v[4:5], off offset:32
	s_wait_loadcnt 0x1
	global_store_b32 v[4:5], v89, off offset:32
	s_wait_loadcnt 0x0
	global_store_b32 v[96:97], v95, off
.LBB80_182:
	s_wait_xcnt 0x0
	s_or_b32 exec_lo, exec_lo, s12
	v_dual_mov_b32 v96, v88 :: v_dual_mov_b32 v95, v88
.LBB80_183:
	s_or_b32 exec_lo, exec_lo, s1
.LBB80_184:
	s_and_not1_saveexec_b32 s0, s0
	s_cbranch_execz .LBB80_186
; %bb.185:
	v_mov_b32_e32 v96, 8
	ds_store_2addr_b64 v92, v[30:31], v[32:33] offset0:9 offset1:10
	ds_store_2addr_b64 v92, v[28:29], v[76:77] offset0:11 offset1:12
	;; [unrolled: 1-line block ×16, first 2 shown]
.LBB80_186:
	s_or_b32 exec_lo, exec_lo, s0
	s_delay_alu instid0(SALU_CYCLE_1)
	s_mov_b32 s0, exec_lo
	s_wait_storecnt_dscnt 0x0
	s_barrier_signal -1
	s_barrier_wait -1
	v_cmpx_lt_i32_e32 8, v96
	s_cbranch_execz .LBB80_188
; %bb.187:
	v_pk_mul_f32 v[98:99], v[90:91], v[34:35] op_sel:[1,1] op_sel_hi:[0,1]
	s_delay_alu instid0(VALU_DEP_1)
	v_pk_fma_f32 v[88:89], v[90:91], v[34:35], v[98:99] op_sel_hi:[1,0,1] neg_lo:[0,0,1] neg_hi:[0,0,1]
	v_pk_fma_f32 v[90:91], v[90:91], v[34:35], v[98:99] op_sel_hi:[1,0,1]
	ds_load_2addr_b64 v[98:101], v92 offset0:9 offset1:10
	v_dual_mov_b32 v34, v88 :: v_dual_mov_b32 v35, v91
	s_wait_dscnt 0x0
	v_pk_mul_f32 v[102:103], v[98:99], v[90:91] op_sel:[0,1]
	s_delay_alu instid0(VALU_DEP_1) | instskip(SKIP_1) | instid1(VALU_DEP_1)
	v_pk_fma_f32 v[104:105], v[98:99], v[88:89], v[102:103] op_sel:[0,0,1] op_sel_hi:[1,1,0] neg_lo:[0,0,1] neg_hi:[0,0,1]
	v_pk_fma_f32 v[98:99], v[98:99], v[88:89], v[102:103] op_sel:[0,0,1] op_sel_hi:[1,0,0]
	v_mov_b32_e32 v105, v99
	v_pk_mul_f32 v[98:99], v[100:101], v[90:91] op_sel:[0,1]
	s_delay_alu instid0(VALU_DEP_1) | instskip(SKIP_1) | instid1(VALU_DEP_1)
	v_pk_fma_f32 v[102:103], v[100:101], v[88:89], v[98:99] op_sel:[0,0,1] op_sel_hi:[1,1,0] neg_lo:[0,0,1] neg_hi:[0,0,1]
	v_pk_fma_f32 v[98:99], v[100:101], v[88:89], v[98:99] op_sel:[0,0,1] op_sel_hi:[1,0,0]
	v_mov_b32_e32 v103, v99
	ds_load_2addr_b64 v[98:101], v92 offset0:11 offset1:12
	v_pk_add_f32 v[30:31], v[30:31], v[104:105] neg_lo:[0,1] neg_hi:[0,1]
	v_pk_add_f32 v[32:33], v[32:33], v[102:103] neg_lo:[0,1] neg_hi:[0,1]
	s_wait_dscnt 0x0
	v_pk_mul_f32 v[102:103], v[98:99], v[90:91] op_sel:[0,1]
	s_delay_alu instid0(VALU_DEP_1) | instskip(SKIP_2) | instid1(VALU_DEP_2)
	v_pk_fma_f32 v[104:105], v[98:99], v[88:89], v[102:103] op_sel:[0,0,1] op_sel_hi:[1,1,0] neg_lo:[0,0,1] neg_hi:[0,0,1]
	v_pk_fma_f32 v[98:99], v[98:99], v[88:89], v[102:103] op_sel:[0,0,1] op_sel_hi:[1,0,0]
	v_dual_mul_f32 v102, v101, v91 :: v_dual_mov_b32 v98, v101
	v_dual_mov_b32 v105, v99 :: v_dual_mov_b32 v99, v100
	s_delay_alu instid0(VALU_DEP_2) | instskip(SKIP_1) | instid1(VALU_DEP_3)
	v_pk_fma_f32 v[102:103], v[100:101], v[34:35], v[102:103] op_sel_hi:[1,1,0] neg_lo:[0,0,1] neg_hi:[0,0,1]
	v_mul_f32_e32 v100, v101, v88
	v_pk_add_f32 v[28:29], v[28:29], v[104:105] neg_lo:[0,1] neg_hi:[0,1]
	s_delay_alu instid0(VALU_DEP_2) | instskip(NEXT) | instid1(VALU_DEP_1)
	v_pk_fma_f32 v[98:99], v[98:99], v[34:35], v[100:101] op_sel_hi:[1,1,0]
	v_mov_b32_e32 v103, v99
	ds_load_2addr_b64 v[98:101], v92 offset0:13 offset1:14
	v_pk_add_f32 v[76:77], v[76:77], v[102:103] neg_lo:[0,1] neg_hi:[0,1]
	s_wait_dscnt 0x0
	v_pk_mul_f32 v[102:103], v[98:99], v[90:91] op_sel:[0,1]
	s_delay_alu instid0(VALU_DEP_1) | instskip(SKIP_1) | instid1(VALU_DEP_1)
	v_pk_fma_f32 v[104:105], v[98:99], v[88:89], v[102:103] op_sel:[0,0,1] op_sel_hi:[1,1,0] neg_lo:[0,0,1] neg_hi:[0,0,1]
	v_pk_fma_f32 v[98:99], v[98:99], v[88:89], v[102:103] op_sel:[0,0,1] op_sel_hi:[1,0,0]
	v_mov_b32_e32 v105, v99
	v_pk_mul_f32 v[98:99], v[100:101], v[90:91] op_sel:[0,1]
	s_delay_alu instid0(VALU_DEP_1) | instskip(SKIP_1) | instid1(VALU_DEP_1)
	v_pk_fma_f32 v[102:103], v[100:101], v[88:89], v[98:99] op_sel:[0,0,1] op_sel_hi:[1,1,0] neg_lo:[0,0,1] neg_hi:[0,0,1]
	v_pk_fma_f32 v[98:99], v[100:101], v[88:89], v[98:99] op_sel:[0,0,1] op_sel_hi:[1,0,0]
	v_mov_b32_e32 v103, v99
	ds_load_2addr_b64 v[98:101], v92 offset0:15 offset1:16
	v_pk_add_f32 v[72:73], v[72:73], v[104:105] neg_lo:[0,1] neg_hi:[0,1]
	v_pk_add_f32 v[74:75], v[74:75], v[102:103] neg_lo:[0,1] neg_hi:[0,1]
	s_wait_dscnt 0x0
	v_pk_mul_f32 v[102:103], v[98:99], v[90:91] op_sel:[0,1]
	s_delay_alu instid0(VALU_DEP_1) | instskip(SKIP_1) | instid1(VALU_DEP_1)
	v_pk_fma_f32 v[104:105], v[98:99], v[88:89], v[102:103] op_sel:[0,0,1] op_sel_hi:[1,1,0] neg_lo:[0,0,1] neg_hi:[0,0,1]
	v_pk_fma_f32 v[98:99], v[98:99], v[88:89], v[102:103] op_sel:[0,0,1] op_sel_hi:[1,0,0]
	v_mov_b32_e32 v105, v99
	v_pk_mul_f32 v[98:99], v[100:101], v[90:91] op_sel:[0,1]
	s_delay_alu instid0(VALU_DEP_1) | instskip(SKIP_1) | instid1(VALU_DEP_1)
	v_pk_fma_f32 v[102:103], v[100:101], v[88:89], v[98:99] op_sel:[0,0,1] op_sel_hi:[1,1,0] neg_lo:[0,0,1] neg_hi:[0,0,1]
	v_pk_fma_f32 v[98:99], v[100:101], v[88:89], v[98:99] op_sel:[0,0,1] op_sel_hi:[1,0,0]
	v_mov_b32_e32 v103, v99
	ds_load_2addr_b64 v[98:101], v92 offset0:17 offset1:18
	v_pk_add_f32 v[70:71], v[70:71], v[104:105] neg_lo:[0,1] neg_hi:[0,1]
	v_pk_add_f32 v[68:69], v[68:69], v[102:103] neg_lo:[0,1] neg_hi:[0,1]
	s_wait_dscnt 0x0
	v_dual_mul_f32 v102, v99, v91 :: v_dual_mul_f32 v104, v99, v88
	s_delay_alu instid0(VALU_DEP_1) | instskip(NEXT) | instid1(VALU_DEP_2)
	v_pk_fma_f32 v[102:103], v[98:99], v[34:35], v[102:103] op_sel_hi:[1,1,0] neg_lo:[0,0,1] neg_hi:[0,0,1]
	v_pk_fma_f32 v[98:99], v[98:99], v[34:35], v[104:105] op_sel:[1,0,0] op_sel_hi:[0,1,0]
	s_delay_alu instid0(VALU_DEP_1) | instskip(SKIP_1) | instid1(VALU_DEP_2)
	v_mov_b32_e32 v103, v99
	v_pk_mul_f32 v[98:99], v[100:101], v[90:91] op_sel:[0,1]
	v_pk_add_f32 v[64:65], v[64:65], v[102:103] neg_lo:[0,1] neg_hi:[0,1]
	s_delay_alu instid0(VALU_DEP_2) | instskip(SKIP_1) | instid1(VALU_DEP_1)
	v_pk_fma_f32 v[102:103], v[100:101], v[88:89], v[98:99] op_sel:[0,0,1] op_sel_hi:[1,1,0] neg_lo:[0,0,1] neg_hi:[0,0,1]
	v_pk_fma_f32 v[98:99], v[100:101], v[88:89], v[98:99] op_sel:[0,0,1] op_sel_hi:[1,0,0]
	v_mov_b32_e32 v103, v99
	ds_load_2addr_b64 v[98:101], v92 offset0:19 offset1:20
	v_pk_add_f32 v[66:67], v[66:67], v[102:103] neg_lo:[0,1] neg_hi:[0,1]
	s_wait_dscnt 0x0
	v_pk_mul_f32 v[102:103], v[98:99], v[90:91] op_sel:[0,1]
	s_delay_alu instid0(VALU_DEP_1) | instskip(SKIP_1) | instid1(VALU_DEP_1)
	v_pk_fma_f32 v[104:105], v[98:99], v[88:89], v[102:103] op_sel:[0,0,1] op_sel_hi:[1,1,0] neg_lo:[0,0,1] neg_hi:[0,0,1]
	v_pk_fma_f32 v[98:99], v[98:99], v[88:89], v[102:103] op_sel:[0,0,1] op_sel_hi:[1,0,0]
	v_mov_b32_e32 v105, v99
	v_pk_mul_f32 v[98:99], v[100:101], v[90:91] op_sel:[0,1]
	s_delay_alu instid0(VALU_DEP_2) | instskip(NEXT) | instid1(VALU_DEP_2)
	v_pk_add_f32 v[62:63], v[62:63], v[104:105] neg_lo:[0,1] neg_hi:[0,1]
	v_pk_fma_f32 v[102:103], v[100:101], v[88:89], v[98:99] op_sel:[0,0,1] op_sel_hi:[1,1,0] neg_lo:[0,0,1] neg_hi:[0,0,1]
	v_pk_fma_f32 v[98:99], v[100:101], v[88:89], v[98:99] op_sel:[0,0,1] op_sel_hi:[1,0,0]
	s_delay_alu instid0(VALU_DEP_1) | instskip(SKIP_4) | instid1(VALU_DEP_1)
	v_mov_b32_e32 v103, v99
	ds_load_2addr_b64 v[98:101], v92 offset0:21 offset1:22
	v_pk_add_f32 v[60:61], v[60:61], v[102:103] neg_lo:[0,1] neg_hi:[0,1]
	s_wait_dscnt 0x0
	v_pk_mul_f32 v[102:103], v[98:99], v[90:91] op_sel:[0,1]
	v_pk_fma_f32 v[104:105], v[98:99], v[88:89], v[102:103] op_sel:[0,0,1] op_sel_hi:[1,1,0] neg_lo:[0,0,1] neg_hi:[0,0,1]
	v_pk_fma_f32 v[98:99], v[98:99], v[88:89], v[102:103] op_sel:[0,0,1] op_sel_hi:[1,0,0]
	v_dual_mul_f32 v102, v101, v91 :: v_dual_mov_b32 v98, v101
	s_delay_alu instid0(VALU_DEP_2) | instskip(NEXT) | instid1(VALU_DEP_2)
	v_dual_mov_b32 v105, v99 :: v_dual_mov_b32 v99, v100
	v_pk_fma_f32 v[102:103], v[100:101], v[34:35], v[102:103] op_sel_hi:[1,1,0] neg_lo:[0,0,1] neg_hi:[0,0,1]
	v_mul_f32_e32 v100, v101, v88
	s_delay_alu instid0(VALU_DEP_3) | instskip(NEXT) | instid1(VALU_DEP_2)
	v_pk_add_f32 v[56:57], v[56:57], v[104:105] neg_lo:[0,1] neg_hi:[0,1]
	v_pk_fma_f32 v[98:99], v[98:99], v[34:35], v[100:101] op_sel_hi:[1,1,0]
	s_delay_alu instid0(VALU_DEP_1) | instskip(SKIP_4) | instid1(VALU_DEP_1)
	v_mov_b32_e32 v103, v99
	ds_load_2addr_b64 v[98:101], v92 offset0:23 offset1:24
	v_pk_add_f32 v[58:59], v[58:59], v[102:103] neg_lo:[0,1] neg_hi:[0,1]
	s_wait_dscnt 0x0
	v_pk_mul_f32 v[102:103], v[98:99], v[90:91] op_sel:[0,1]
	v_pk_fma_f32 v[104:105], v[98:99], v[88:89], v[102:103] op_sel:[0,0,1] op_sel_hi:[1,1,0] neg_lo:[0,0,1] neg_hi:[0,0,1]
	v_pk_fma_f32 v[98:99], v[98:99], v[88:89], v[102:103] op_sel:[0,0,1] op_sel_hi:[1,0,0]
	s_delay_alu instid0(VALU_DEP_1) | instskip(SKIP_1) | instid1(VALU_DEP_1)
	v_mov_b32_e32 v105, v99
	v_pk_mul_f32 v[98:99], v[100:101], v[90:91] op_sel:[0,1]
	v_pk_fma_f32 v[102:103], v[100:101], v[88:89], v[98:99] op_sel:[0,0,1] op_sel_hi:[1,1,0] neg_lo:[0,0,1] neg_hi:[0,0,1]
	v_pk_fma_f32 v[98:99], v[100:101], v[88:89], v[98:99] op_sel:[0,0,1] op_sel_hi:[1,0,0]
	s_delay_alu instid0(VALU_DEP_1)
	v_mov_b32_e32 v103, v99
	ds_load_2addr_b64 v[98:101], v92 offset0:25 offset1:26
	v_pk_add_f32 v[54:55], v[54:55], v[104:105] neg_lo:[0,1] neg_hi:[0,1]
	v_pk_add_f32 v[52:53], v[52:53], v[102:103] neg_lo:[0,1] neg_hi:[0,1]
	s_wait_dscnt 0x0
	v_pk_mul_f32 v[102:103], v[98:99], v[90:91] op_sel:[0,1]
	s_delay_alu instid0(VALU_DEP_1) | instskip(SKIP_1) | instid1(VALU_DEP_1)
	v_pk_fma_f32 v[104:105], v[98:99], v[88:89], v[102:103] op_sel:[0,0,1] op_sel_hi:[1,1,0] neg_lo:[0,0,1] neg_hi:[0,0,1]
	v_pk_fma_f32 v[98:99], v[98:99], v[88:89], v[102:103] op_sel:[0,0,1] op_sel_hi:[1,0,0]
	v_mov_b32_e32 v105, v99
	v_pk_mul_f32 v[98:99], v[100:101], v[90:91] op_sel:[0,1]
	s_delay_alu instid0(VALU_DEP_1) | instskip(SKIP_1) | instid1(VALU_DEP_1)
	v_pk_fma_f32 v[102:103], v[100:101], v[88:89], v[98:99] op_sel:[0,0,1] op_sel_hi:[1,1,0] neg_lo:[0,0,1] neg_hi:[0,0,1]
	v_pk_fma_f32 v[98:99], v[100:101], v[88:89], v[98:99] op_sel:[0,0,1] op_sel_hi:[1,0,0]
	v_mov_b32_e32 v103, v99
	ds_load_2addr_b64 v[98:101], v92 offset0:27 offset1:28
	v_pk_add_f32 v[48:49], v[48:49], v[104:105] neg_lo:[0,1] neg_hi:[0,1]
	v_pk_add_f32 v[50:51], v[50:51], v[102:103] neg_lo:[0,1] neg_hi:[0,1]
	s_wait_dscnt 0x0
	v_dual_mul_f32 v102, v99, v91 :: v_dual_mul_f32 v104, v99, v88
	s_delay_alu instid0(VALU_DEP_1) | instskip(NEXT) | instid1(VALU_DEP_2)
	v_pk_fma_f32 v[102:103], v[98:99], v[34:35], v[102:103] op_sel_hi:[1,1,0] neg_lo:[0,0,1] neg_hi:[0,0,1]
	v_pk_fma_f32 v[98:99], v[98:99], v[34:35], v[104:105] op_sel:[1,0,0] op_sel_hi:[0,1,0]
	s_delay_alu instid0(VALU_DEP_1) | instskip(SKIP_1) | instid1(VALU_DEP_2)
	v_mov_b32_e32 v103, v99
	v_pk_mul_f32 v[98:99], v[100:101], v[90:91] op_sel:[0,1]
	v_pk_add_f32 v[46:47], v[46:47], v[102:103] neg_lo:[0,1] neg_hi:[0,1]
	s_delay_alu instid0(VALU_DEP_2) | instskip(SKIP_1) | instid1(VALU_DEP_1)
	v_pk_fma_f32 v[102:103], v[100:101], v[88:89], v[98:99] op_sel:[0,0,1] op_sel_hi:[1,1,0] neg_lo:[0,0,1] neg_hi:[0,0,1]
	v_pk_fma_f32 v[98:99], v[100:101], v[88:89], v[98:99] op_sel:[0,0,1] op_sel_hi:[1,0,0]
	v_mov_b32_e32 v103, v99
	ds_load_2addr_b64 v[98:101], v92 offset0:29 offset1:30
	v_pk_add_f32 v[42:43], v[42:43], v[102:103] neg_lo:[0,1] neg_hi:[0,1]
	s_wait_dscnt 0x0
	v_pk_mul_f32 v[102:103], v[98:99], v[90:91] op_sel:[0,1]
	s_delay_alu instid0(VALU_DEP_1) | instskip(SKIP_1) | instid1(VALU_DEP_1)
	v_pk_fma_f32 v[104:105], v[98:99], v[88:89], v[102:103] op_sel:[0,0,1] op_sel_hi:[1,1,0] neg_lo:[0,0,1] neg_hi:[0,0,1]
	v_pk_fma_f32 v[98:99], v[98:99], v[88:89], v[102:103] op_sel:[0,0,1] op_sel_hi:[1,0,0]
	v_mov_b32_e32 v105, v99
	v_pk_mul_f32 v[98:99], v[100:101], v[90:91] op_sel:[0,1]
	s_delay_alu instid0(VALU_DEP_2) | instskip(NEXT) | instid1(VALU_DEP_2)
	v_pk_add_f32 v[38:39], v[38:39], v[104:105] neg_lo:[0,1] neg_hi:[0,1]
	v_pk_fma_f32 v[102:103], v[100:101], v[88:89], v[98:99] op_sel:[0,0,1] op_sel_hi:[1,1,0] neg_lo:[0,0,1] neg_hi:[0,0,1]
	v_pk_fma_f32 v[98:99], v[100:101], v[88:89], v[98:99] op_sel:[0,0,1] op_sel_hi:[1,0,0]
	s_delay_alu instid0(VALU_DEP_1) | instskip(SKIP_4) | instid1(VALU_DEP_1)
	v_mov_b32_e32 v103, v99
	ds_load_2addr_b64 v[98:101], v92 offset0:31 offset1:32
	v_pk_add_f32 v[40:41], v[40:41], v[102:103] neg_lo:[0,1] neg_hi:[0,1]
	s_wait_dscnt 0x0
	v_pk_mul_f32 v[102:103], v[98:99], v[90:91] op_sel:[0,1]
	v_pk_fma_f32 v[104:105], v[98:99], v[88:89], v[102:103] op_sel:[0,0,1] op_sel_hi:[1,1,0] neg_lo:[0,0,1] neg_hi:[0,0,1]
	v_pk_fma_f32 v[98:99], v[98:99], v[88:89], v[102:103] op_sel:[0,0,1] op_sel_hi:[1,0,0]
	v_dual_mul_f32 v102, v101, v91 :: v_dual_mov_b32 v98, v101
	s_delay_alu instid0(VALU_DEP_2) | instskip(NEXT) | instid1(VALU_DEP_2)
	v_dual_mov_b32 v105, v99 :: v_dual_mov_b32 v99, v100
	v_pk_fma_f32 v[102:103], v[100:101], v[34:35], v[102:103] op_sel_hi:[1,1,0] neg_lo:[0,0,1] neg_hi:[0,0,1]
	v_mul_f32_e32 v100, v101, v88
	s_delay_alu instid0(VALU_DEP_3) | instskip(NEXT) | instid1(VALU_DEP_2)
	v_pk_add_f32 v[36:37], v[36:37], v[104:105] neg_lo:[0,1] neg_hi:[0,1]
	v_pk_fma_f32 v[98:99], v[98:99], v[34:35], v[100:101] op_sel_hi:[1,1,0]
	s_delay_alu instid0(VALU_DEP_1) | instskip(SKIP_4) | instid1(VALU_DEP_1)
	v_mov_b32_e32 v103, v99
	ds_load_2addr_b64 v[98:101], v92 offset0:33 offset1:34
	v_pk_add_f32 v[14:15], v[14:15], v[102:103] neg_lo:[0,1] neg_hi:[0,1]
	s_wait_dscnt 0x0
	v_pk_mul_f32 v[102:103], v[98:99], v[90:91] op_sel:[0,1]
	v_pk_fma_f32 v[104:105], v[98:99], v[88:89], v[102:103] op_sel:[0,0,1] op_sel_hi:[1,1,0] neg_lo:[0,0,1] neg_hi:[0,0,1]
	v_pk_fma_f32 v[98:99], v[98:99], v[88:89], v[102:103] op_sel:[0,0,1] op_sel_hi:[1,0,0]
	s_delay_alu instid0(VALU_DEP_1) | instskip(SKIP_1) | instid1(VALU_DEP_1)
	v_mov_b32_e32 v105, v99
	v_pk_mul_f32 v[98:99], v[100:101], v[90:91] op_sel:[0,1]
	v_pk_fma_f32 v[102:103], v[100:101], v[88:89], v[98:99] op_sel:[0,0,1] op_sel_hi:[1,1,0] neg_lo:[0,0,1] neg_hi:[0,0,1]
	v_pk_fma_f32 v[98:99], v[100:101], v[88:89], v[98:99] op_sel:[0,0,1] op_sel_hi:[1,0,0]
	s_delay_alu instid0(VALU_DEP_1)
	v_mov_b32_e32 v103, v99
	ds_load_2addr_b64 v[98:101], v92 offset0:35 offset1:36
	v_pk_add_f32 v[10:11], v[10:11], v[104:105] neg_lo:[0,1] neg_hi:[0,1]
	v_pk_add_f32 v[12:13], v[12:13], v[102:103] neg_lo:[0,1] neg_hi:[0,1]
	s_wait_dscnt 0x0
	v_pk_mul_f32 v[102:103], v[98:99], v[90:91] op_sel:[0,1]
	s_delay_alu instid0(VALU_DEP_1) | instskip(SKIP_1) | instid1(VALU_DEP_1)
	v_pk_fma_f32 v[104:105], v[98:99], v[88:89], v[102:103] op_sel:[0,0,1] op_sel_hi:[1,1,0] neg_lo:[0,0,1] neg_hi:[0,0,1]
	v_pk_fma_f32 v[98:99], v[98:99], v[88:89], v[102:103] op_sel:[0,0,1] op_sel_hi:[1,0,0]
	v_mov_b32_e32 v105, v99
	v_pk_mul_f32 v[98:99], v[100:101], v[90:91] op_sel:[0,1]
	s_delay_alu instid0(VALU_DEP_1) | instskip(SKIP_1) | instid1(VALU_DEP_1)
	v_pk_fma_f32 v[102:103], v[100:101], v[88:89], v[98:99] op_sel:[0,0,1] op_sel_hi:[1,1,0] neg_lo:[0,0,1] neg_hi:[0,0,1]
	v_pk_fma_f32 v[98:99], v[100:101], v[88:89], v[98:99] op_sel:[0,0,1] op_sel_hi:[1,0,0]
	v_mov_b32_e32 v103, v99
	ds_load_2addr_b64 v[98:101], v92 offset0:37 offset1:38
	v_pk_add_f32 v[8:9], v[8:9], v[104:105] neg_lo:[0,1] neg_hi:[0,1]
	v_pk_add_f32 v[6:7], v[6:7], v[102:103] neg_lo:[0,1] neg_hi:[0,1]
	s_wait_dscnt 0x0
	v_dual_mul_f32 v102, v99, v91 :: v_dual_mul_f32 v104, v99, v88
	s_delay_alu instid0(VALU_DEP_1) | instskip(NEXT) | instid1(VALU_DEP_2)
	v_pk_fma_f32 v[102:103], v[98:99], v[34:35], v[102:103] op_sel_hi:[1,1,0] neg_lo:[0,0,1] neg_hi:[0,0,1]
	v_pk_fma_f32 v[98:99], v[98:99], v[34:35], v[104:105] op_sel:[1,0,0] op_sel_hi:[0,1,0]
	s_delay_alu instid0(VALU_DEP_1) | instskip(SKIP_1) | instid1(VALU_DEP_2)
	v_mov_b32_e32 v103, v99
	v_pk_mul_f32 v[98:99], v[100:101], v[90:91] op_sel:[0,1]
	v_pk_add_f32 v[44:45], v[44:45], v[102:103] neg_lo:[0,1] neg_hi:[0,1]
	s_delay_alu instid0(VALU_DEP_2) | instskip(SKIP_1) | instid1(VALU_DEP_1)
	v_pk_fma_f32 v[102:103], v[100:101], v[88:89], v[98:99] op_sel:[0,0,1] op_sel_hi:[1,1,0] neg_lo:[0,0,1] neg_hi:[0,0,1]
	v_pk_fma_f32 v[98:99], v[100:101], v[88:89], v[98:99] op_sel:[0,0,1] op_sel_hi:[1,0,0]
	v_mov_b32_e32 v103, v99
	ds_load_2addr_b64 v[98:101], v92 offset0:39 offset1:40
	v_pk_add_f32 v[22:23], v[22:23], v[102:103] neg_lo:[0,1] neg_hi:[0,1]
	s_wait_dscnt 0x0
	v_pk_mul_f32 v[102:103], v[98:99], v[90:91] op_sel:[0,1]
	v_pk_mul_f32 v[90:91], v[100:101], v[90:91] op_sel:[0,1]
	s_delay_alu instid0(VALU_DEP_2) | instskip(SKIP_1) | instid1(VALU_DEP_1)
	v_pk_fma_f32 v[104:105], v[98:99], v[88:89], v[102:103] op_sel:[0,0,1] op_sel_hi:[1,1,0] neg_lo:[0,0,1] neg_hi:[0,0,1]
	v_pk_fma_f32 v[98:99], v[98:99], v[88:89], v[102:103] op_sel:[0,0,1] op_sel_hi:[1,0,0]
	v_mov_b32_e32 v105, v99
	s_delay_alu instid0(VALU_DEP_4) | instskip(SKIP_1) | instid1(VALU_DEP_3)
	v_pk_fma_f32 v[98:99], v[100:101], v[88:89], v[90:91] op_sel:[0,0,1] op_sel_hi:[1,1,0] neg_lo:[0,0,1] neg_hi:[0,0,1]
	v_pk_fma_f32 v[88:89], v[100:101], v[88:89], v[90:91] op_sel:[0,0,1] op_sel_hi:[1,0,0]
	v_pk_add_f32 v[16:17], v[16:17], v[104:105] neg_lo:[0,1] neg_hi:[0,1]
	s_delay_alu instid0(VALU_DEP_2) | instskip(NEXT) | instid1(VALU_DEP_1)
	v_mov_b32_e32 v99, v89
	v_pk_add_f32 v[86:87], v[86:87], v[98:99] neg_lo:[0,1] neg_hi:[0,1]
.LBB80_188:
	s_or_b32 exec_lo, exec_lo, s0
	v_lshl_add_u32 v88, v96, 3, v92
	s_barrier_signal -1
	s_barrier_wait -1
	ds_store_b64 v88, v[30:31]
	s_wait_dscnt 0x0
	s_barrier_signal -1
	s_barrier_wait -1
	ds_load_b64 v[90:91], v92 offset:72
	v_mov_b32_e32 v88, 9
	s_cmp_lt_i32 s18, 11
	s_cbranch_scc1 .LBB80_191
; %bb.189:
	v_add3_u32 v89, v93, 0, 0x50
	v_mov_b32_e32 v88, 9
	s_mov_b32 s0, 10
.LBB80_190:                             ; =>This Inner Loop Header: Depth=1
	ds_load_b64 v[98:99], v89
	s_wait_dscnt 0x1
	v_cmp_gt_f32_e32 vcc_lo, 0, v90
	v_cndmask_b32_e64 v100, v90, -v90, vcc_lo
	v_cmp_gt_f32_e32 vcc_lo, 0, v91
	v_cndmask_b32_e64 v102, v91, -v91, vcc_lo
	s_wait_dscnt 0x0
	v_cmp_gt_f32_e32 vcc_lo, 0, v98
	v_cndmask_b32_e64 v101, v98, -v98, vcc_lo
	v_cmp_gt_f32_e32 vcc_lo, 0, v99
	v_cndmask_b32_e64 v103, v99, -v99, vcc_lo
	s_delay_alu instid0(VALU_DEP_1) | instskip(NEXT) | instid1(VALU_DEP_1)
	v_pk_add_f32 v[100:101], v[100:101], v[102:103]
	v_cmp_lt_f32_e32 vcc_lo, v100, v101
	v_dual_add_nc_u32 v89, 8, v89 :: v_dual_cndmask_b32 v91, v91, v99, vcc_lo
	v_cndmask_b32_e32 v90, v90, v98, vcc_lo
	v_cndmask_b32_e64 v88, v88, s0, vcc_lo
	s_add_co_i32 s0, s0, 1
	s_delay_alu instid0(SALU_CYCLE_1)
	s_cmp_lg_u32 s18, s0
	s_cbranch_scc1 .LBB80_190
.LBB80_191:
	s_wait_dscnt 0x0
	v_cmp_eq_f32_e32 vcc_lo, 0, v90
	v_cmp_eq_f32_e64 s0, 0, v91
	s_and_b32 s0, vcc_lo, s0
	s_delay_alu instid0(SALU_CYCLE_1) | instskip(NEXT) | instid1(SALU_CYCLE_1)
	s_and_saveexec_b32 s1, s0
	s_xor_b32 s0, exec_lo, s1
; %bb.192:
	v_cmp_ne_u32_e32 vcc_lo, 0, v94
	v_cndmask_b32_e32 v94, 10, v94, vcc_lo
; %bb.193:
	s_and_not1_saveexec_b32 s0, s0
	s_cbranch_execz .LBB80_199
; %bb.194:
	v_cmp_ngt_f32_e64 s1, |v90|, |v91|
	s_and_saveexec_b32 s12, s1
	s_delay_alu instid0(SALU_CYCLE_1)
	s_xor_b32 s1, exec_lo, s12
	s_cbranch_execz .LBB80_196
; %bb.195:
	v_div_scale_f32 v89, null, v91, v91, v90
	v_div_scale_f32 v99, vcc_lo, v90, v91, v90
	s_delay_alu instid0(VALU_DEP_2) | instskip(SKIP_1) | instid1(TRANS32_DEP_1)
	v_rcp_f32_e32 v97, v89
	v_nop
	v_fma_f32 v98, -v89, v97, 1.0
	s_delay_alu instid0(VALU_DEP_1) | instskip(NEXT) | instid1(VALU_DEP_1)
	v_fmac_f32_e32 v97, v98, v97
	v_mul_f32_e32 v98, v99, v97
	s_delay_alu instid0(VALU_DEP_1) | instskip(NEXT) | instid1(VALU_DEP_1)
	v_fma_f32 v100, -v89, v98, v99
	v_fmac_f32_e32 v98, v100, v97
	s_delay_alu instid0(VALU_DEP_1) | instskip(NEXT) | instid1(VALU_DEP_1)
	v_fma_f32 v89, -v89, v98, v99
	v_div_fmas_f32 v89, v89, v97, v98
	s_delay_alu instid0(VALU_DEP_1) | instskip(NEXT) | instid1(VALU_DEP_1)
	v_div_fixup_f32 v89, v89, v91, v90
	v_fmac_f32_e32 v91, v90, v89
	s_delay_alu instid0(VALU_DEP_1) | instskip(SKIP_1) | instid1(VALU_DEP_2)
	v_div_scale_f32 v90, null, v91, v91, 1.0
	v_div_scale_f32 v99, vcc_lo, 1.0, v91, 1.0
	v_rcp_f32_e32 v97, v90
	v_nop
	s_delay_alu instid0(TRANS32_DEP_1) | instskip(NEXT) | instid1(VALU_DEP_1)
	v_fma_f32 v98, -v90, v97, 1.0
	v_fmac_f32_e32 v97, v98, v97
	s_delay_alu instid0(VALU_DEP_1) | instskip(NEXT) | instid1(VALU_DEP_1)
	v_mul_f32_e32 v98, v99, v97
	v_fma_f32 v100, -v90, v98, v99
	s_delay_alu instid0(VALU_DEP_1) | instskip(NEXT) | instid1(VALU_DEP_1)
	v_fmac_f32_e32 v98, v100, v97
	v_fma_f32 v90, -v90, v98, v99
	s_delay_alu instid0(VALU_DEP_1) | instskip(NEXT) | instid1(VALU_DEP_1)
	v_div_fmas_f32 v90, v90, v97, v98
	v_div_fixup_f32 v91, v90, v91, 1.0
	s_delay_alu instid0(VALU_DEP_1)
	v_mul_f32_e32 v90, v89, v91
	v_xor_b32_e32 v91, 0x80000000, v91
.LBB80_196:
	s_and_not1_saveexec_b32 s1, s1
	s_cbranch_execz .LBB80_198
; %bb.197:
	s_delay_alu instid0(VALU_DEP_1) | instskip(SKIP_1) | instid1(VALU_DEP_2)
	v_div_scale_f32 v89, null, v90, v90, v91
	v_div_scale_f32 v99, vcc_lo, v91, v90, v91
	v_rcp_f32_e32 v97, v89
	v_nop
	s_delay_alu instid0(TRANS32_DEP_1) | instskip(NEXT) | instid1(VALU_DEP_1)
	v_fma_f32 v98, -v89, v97, 1.0
	v_fmac_f32_e32 v97, v98, v97
	s_delay_alu instid0(VALU_DEP_1) | instskip(NEXT) | instid1(VALU_DEP_1)
	v_mul_f32_e32 v98, v99, v97
	v_fma_f32 v100, -v89, v98, v99
	s_delay_alu instid0(VALU_DEP_1) | instskip(NEXT) | instid1(VALU_DEP_1)
	v_fmac_f32_e32 v98, v100, v97
	v_fma_f32 v89, -v89, v98, v99
	s_delay_alu instid0(VALU_DEP_1) | instskip(NEXT) | instid1(VALU_DEP_1)
	v_div_fmas_f32 v89, v89, v97, v98
	v_div_fixup_f32 v89, v89, v90, v91
	s_delay_alu instid0(VALU_DEP_1) | instskip(NEXT) | instid1(VALU_DEP_1)
	v_fmac_f32_e32 v90, v91, v89
	v_div_scale_f32 v91, null, v90, v90, 1.0
	s_delay_alu instid0(VALU_DEP_1) | instskip(SKIP_1) | instid1(TRANS32_DEP_1)
	v_rcp_f32_e32 v97, v91
	v_nop
	v_fma_f32 v98, -v91, v97, 1.0
	s_delay_alu instid0(VALU_DEP_1) | instskip(SKIP_1) | instid1(VALU_DEP_1)
	v_fmac_f32_e32 v97, v98, v97
	v_div_scale_f32 v98, vcc_lo, 1.0, v90, 1.0
	v_mul_f32_e32 v99, v98, v97
	s_delay_alu instid0(VALU_DEP_1) | instskip(NEXT) | instid1(VALU_DEP_1)
	v_fma_f32 v100, -v91, v99, v98
	v_fmac_f32_e32 v99, v100, v97
	s_delay_alu instid0(VALU_DEP_1) | instskip(NEXT) | instid1(VALU_DEP_1)
	v_fma_f32 v91, -v91, v99, v98
	v_div_fmas_f32 v91, v91, v97, v99
	s_delay_alu instid0(VALU_DEP_1) | instskip(NEXT) | instid1(VALU_DEP_1)
	v_div_fixup_f32 v90, v91, v90, 1.0
	v_mul_f32_e64 v91, v89, -v90
.LBB80_198:
	s_or_b32 exec_lo, exec_lo, s1
.LBB80_199:
	s_delay_alu instid0(SALU_CYCLE_1) | instskip(NEXT) | instid1(SALU_CYCLE_1)
	s_or_b32 exec_lo, exec_lo, s0
	s_mov_b32 s0, exec_lo
	v_cmpx_ne_u32_e64 v96, v88
	s_xor_b32 s0, exec_lo, s0
	s_cbranch_execz .LBB80_205
; %bb.200:
	s_mov_b32 s1, exec_lo
	v_cmpx_eq_u32_e32 9, v96
	s_cbranch_execz .LBB80_204
; %bb.201:
	v_cmp_ne_u32_e32 vcc_lo, 9, v88
	s_xor_b32 s12, s16, -1
	s_delay_alu instid0(SALU_CYCLE_1) | instskip(NEXT) | instid1(SALU_CYCLE_1)
	s_and_b32 s13, s12, vcc_lo
	s_and_saveexec_b32 s12, s13
	s_cbranch_execz .LBB80_203
; %bb.202:
	v_ashrrev_i32_e32 v89, 31, v88
	s_delay_alu instid0(VALU_DEP_1)
	v_lshl_add_u64 v[96:97], v[88:89], 2, v[4:5]
	s_clause 0x1
	global_load_b32 v89, v[96:97], off
	global_load_b32 v95, v[4:5], off offset:36
	s_wait_loadcnt 0x1
	global_store_b32 v[4:5], v89, off offset:36
	s_wait_loadcnt 0x0
	global_store_b32 v[96:97], v95, off
.LBB80_203:
	s_wait_xcnt 0x0
	s_or_b32 exec_lo, exec_lo, s12
	v_dual_mov_b32 v96, v88 :: v_dual_mov_b32 v95, v88
.LBB80_204:
	s_or_b32 exec_lo, exec_lo, s1
.LBB80_205:
	s_and_not1_saveexec_b32 s0, s0
	s_cbranch_execz .LBB80_207
; %bb.206:
	v_dual_mov_b32 v88, v32 :: v_dual_mov_b32 v89, v33
	v_dual_mov_b32 v96, v28 :: v_dual_mov_b32 v97, v29
	ds_store_2addr_b64 v92, v[88:89], v[96:97] offset0:10 offset1:11
	v_dual_mov_b32 v88, v76 :: v_dual_mov_b32 v89, v77
	v_dual_mov_b32 v96, v72 :: v_dual_mov_b32 v97, v73
	ds_store_2addr_b64 v92, v[88:89], v[96:97] offset0:12 offset1:13
	;; [unrolled: 3-line block ×15, first 2 shown]
	ds_store_b64 v92, v[86:87] offset:320
	v_mov_b32_e32 v96, 9
.LBB80_207:
	s_or_b32 exec_lo, exec_lo, s0
	s_delay_alu instid0(SALU_CYCLE_1)
	s_mov_b32 s0, exec_lo
	s_wait_storecnt_dscnt 0x0
	s_barrier_signal -1
	s_barrier_wait -1
	v_cmpx_lt_i32_e32 9, v96
	s_cbranch_execz .LBB80_209
; %bb.208:
	v_pk_mul_f32 v[98:99], v[90:91], v[30:31] op_sel:[1,1] op_sel_hi:[0,1]
	s_delay_alu instid0(VALU_DEP_1)
	v_pk_fma_f32 v[88:89], v[90:91], v[30:31], v[98:99] op_sel_hi:[1,0,1] neg_lo:[0,0,1] neg_hi:[0,0,1]
	v_pk_fma_f32 v[90:91], v[90:91], v[30:31], v[98:99] op_sel_hi:[1,0,1]
	ds_load_2addr_b64 v[98:101], v92 offset0:10 offset1:11
	v_dual_mov_b32 v30, v88 :: v_dual_mov_b32 v31, v91
	s_wait_dscnt 0x0
	v_pk_mul_f32 v[102:103], v[98:99], v[90:91] op_sel:[0,1]
	s_delay_alu instid0(VALU_DEP_1) | instskip(SKIP_1) | instid1(VALU_DEP_1)
	v_pk_fma_f32 v[104:105], v[98:99], v[88:89], v[102:103] op_sel:[0,0,1] op_sel_hi:[1,1,0] neg_lo:[0,0,1] neg_hi:[0,0,1]
	v_pk_fma_f32 v[98:99], v[98:99], v[88:89], v[102:103] op_sel:[0,0,1] op_sel_hi:[1,0,0]
	v_mov_b32_e32 v105, v99
	v_pk_mul_f32 v[98:99], v[100:101], v[90:91] op_sel:[0,1]
	s_delay_alu instid0(VALU_DEP_1) | instskip(SKIP_1) | instid1(VALU_DEP_1)
	v_pk_fma_f32 v[102:103], v[100:101], v[88:89], v[98:99] op_sel:[0,0,1] op_sel_hi:[1,1,0] neg_lo:[0,0,1] neg_hi:[0,0,1]
	v_pk_fma_f32 v[98:99], v[100:101], v[88:89], v[98:99] op_sel:[0,0,1] op_sel_hi:[1,0,0]
	v_mov_b32_e32 v103, v99
	ds_load_2addr_b64 v[98:101], v92 offset0:12 offset1:13
	v_pk_add_f32 v[32:33], v[32:33], v[104:105] neg_lo:[0,1] neg_hi:[0,1]
	v_pk_add_f32 v[28:29], v[28:29], v[102:103] neg_lo:[0,1] neg_hi:[0,1]
	s_wait_dscnt 0x0
	v_pk_mul_f32 v[102:103], v[98:99], v[90:91] op_sel:[0,1]
	s_delay_alu instid0(VALU_DEP_1) | instskip(SKIP_2) | instid1(VALU_DEP_2)
	v_pk_fma_f32 v[104:105], v[98:99], v[88:89], v[102:103] op_sel:[0,0,1] op_sel_hi:[1,1,0] neg_lo:[0,0,1] neg_hi:[0,0,1]
	v_pk_fma_f32 v[98:99], v[98:99], v[88:89], v[102:103] op_sel:[0,0,1] op_sel_hi:[1,0,0]
	v_dual_mul_f32 v102, v101, v91 :: v_dual_mov_b32 v98, v101
	v_dual_mov_b32 v105, v99 :: v_dual_mov_b32 v99, v100
	s_delay_alu instid0(VALU_DEP_2) | instskip(SKIP_1) | instid1(VALU_DEP_3)
	v_pk_fma_f32 v[102:103], v[100:101], v[30:31], v[102:103] op_sel_hi:[1,1,0] neg_lo:[0,0,1] neg_hi:[0,0,1]
	v_mul_f32_e32 v100, v101, v88
	v_pk_add_f32 v[76:77], v[76:77], v[104:105] neg_lo:[0,1] neg_hi:[0,1]
	s_delay_alu instid0(VALU_DEP_2) | instskip(NEXT) | instid1(VALU_DEP_1)
	v_pk_fma_f32 v[98:99], v[98:99], v[30:31], v[100:101] op_sel_hi:[1,1,0]
	v_mov_b32_e32 v103, v99
	ds_load_2addr_b64 v[98:101], v92 offset0:14 offset1:15
	v_pk_add_f32 v[72:73], v[72:73], v[102:103] neg_lo:[0,1] neg_hi:[0,1]
	s_wait_dscnt 0x0
	v_pk_mul_f32 v[102:103], v[98:99], v[90:91] op_sel:[0,1]
	s_delay_alu instid0(VALU_DEP_1) | instskip(SKIP_1) | instid1(VALU_DEP_1)
	v_pk_fma_f32 v[104:105], v[98:99], v[88:89], v[102:103] op_sel:[0,0,1] op_sel_hi:[1,1,0] neg_lo:[0,0,1] neg_hi:[0,0,1]
	v_pk_fma_f32 v[98:99], v[98:99], v[88:89], v[102:103] op_sel:[0,0,1] op_sel_hi:[1,0,0]
	v_mov_b32_e32 v105, v99
	v_pk_mul_f32 v[98:99], v[100:101], v[90:91] op_sel:[0,1]
	s_delay_alu instid0(VALU_DEP_1) | instskip(SKIP_1) | instid1(VALU_DEP_1)
	v_pk_fma_f32 v[102:103], v[100:101], v[88:89], v[98:99] op_sel:[0,0,1] op_sel_hi:[1,1,0] neg_lo:[0,0,1] neg_hi:[0,0,1]
	v_pk_fma_f32 v[98:99], v[100:101], v[88:89], v[98:99] op_sel:[0,0,1] op_sel_hi:[1,0,0]
	v_mov_b32_e32 v103, v99
	ds_load_2addr_b64 v[98:101], v92 offset0:16 offset1:17
	v_pk_add_f32 v[74:75], v[74:75], v[104:105] neg_lo:[0,1] neg_hi:[0,1]
	v_pk_add_f32 v[70:71], v[70:71], v[102:103] neg_lo:[0,1] neg_hi:[0,1]
	s_wait_dscnt 0x0
	v_pk_mul_f32 v[102:103], v[98:99], v[90:91] op_sel:[0,1]
	s_delay_alu instid0(VALU_DEP_1) | instskip(SKIP_1) | instid1(VALU_DEP_1)
	v_pk_fma_f32 v[104:105], v[98:99], v[88:89], v[102:103] op_sel:[0,0,1] op_sel_hi:[1,1,0] neg_lo:[0,0,1] neg_hi:[0,0,1]
	v_pk_fma_f32 v[98:99], v[98:99], v[88:89], v[102:103] op_sel:[0,0,1] op_sel_hi:[1,0,0]
	v_mov_b32_e32 v105, v99
	v_pk_mul_f32 v[98:99], v[100:101], v[90:91] op_sel:[0,1]
	s_delay_alu instid0(VALU_DEP_1) | instskip(SKIP_1) | instid1(VALU_DEP_1)
	v_pk_fma_f32 v[102:103], v[100:101], v[88:89], v[98:99] op_sel:[0,0,1] op_sel_hi:[1,1,0] neg_lo:[0,0,1] neg_hi:[0,0,1]
	v_pk_fma_f32 v[98:99], v[100:101], v[88:89], v[98:99] op_sel:[0,0,1] op_sel_hi:[1,0,0]
	v_mov_b32_e32 v103, v99
	ds_load_2addr_b64 v[98:101], v92 offset0:18 offset1:19
	v_pk_add_f32 v[68:69], v[68:69], v[104:105] neg_lo:[0,1] neg_hi:[0,1]
	v_pk_add_f32 v[64:65], v[64:65], v[102:103] neg_lo:[0,1] neg_hi:[0,1]
	s_wait_dscnt 0x0
	v_dual_mul_f32 v102, v99, v91 :: v_dual_mul_f32 v104, v99, v88
	s_delay_alu instid0(VALU_DEP_1) | instskip(NEXT) | instid1(VALU_DEP_2)
	v_pk_fma_f32 v[102:103], v[98:99], v[30:31], v[102:103] op_sel_hi:[1,1,0] neg_lo:[0,0,1] neg_hi:[0,0,1]
	v_pk_fma_f32 v[98:99], v[98:99], v[30:31], v[104:105] op_sel:[1,0,0] op_sel_hi:[0,1,0]
	s_delay_alu instid0(VALU_DEP_1) | instskip(SKIP_1) | instid1(VALU_DEP_2)
	v_mov_b32_e32 v103, v99
	v_pk_mul_f32 v[98:99], v[100:101], v[90:91] op_sel:[0,1]
	v_pk_add_f32 v[66:67], v[66:67], v[102:103] neg_lo:[0,1] neg_hi:[0,1]
	s_delay_alu instid0(VALU_DEP_2) | instskip(SKIP_1) | instid1(VALU_DEP_1)
	v_pk_fma_f32 v[102:103], v[100:101], v[88:89], v[98:99] op_sel:[0,0,1] op_sel_hi:[1,1,0] neg_lo:[0,0,1] neg_hi:[0,0,1]
	v_pk_fma_f32 v[98:99], v[100:101], v[88:89], v[98:99] op_sel:[0,0,1] op_sel_hi:[1,0,0]
	v_mov_b32_e32 v103, v99
	ds_load_2addr_b64 v[98:101], v92 offset0:20 offset1:21
	v_pk_add_f32 v[62:63], v[62:63], v[102:103] neg_lo:[0,1] neg_hi:[0,1]
	s_wait_dscnt 0x0
	v_pk_mul_f32 v[102:103], v[98:99], v[90:91] op_sel:[0,1]
	s_delay_alu instid0(VALU_DEP_1) | instskip(SKIP_1) | instid1(VALU_DEP_1)
	v_pk_fma_f32 v[104:105], v[98:99], v[88:89], v[102:103] op_sel:[0,0,1] op_sel_hi:[1,1,0] neg_lo:[0,0,1] neg_hi:[0,0,1]
	v_pk_fma_f32 v[98:99], v[98:99], v[88:89], v[102:103] op_sel:[0,0,1] op_sel_hi:[1,0,0]
	v_mov_b32_e32 v105, v99
	v_pk_mul_f32 v[98:99], v[100:101], v[90:91] op_sel:[0,1]
	s_delay_alu instid0(VALU_DEP_2) | instskip(NEXT) | instid1(VALU_DEP_2)
	v_pk_add_f32 v[60:61], v[60:61], v[104:105] neg_lo:[0,1] neg_hi:[0,1]
	v_pk_fma_f32 v[102:103], v[100:101], v[88:89], v[98:99] op_sel:[0,0,1] op_sel_hi:[1,1,0] neg_lo:[0,0,1] neg_hi:[0,0,1]
	v_pk_fma_f32 v[98:99], v[100:101], v[88:89], v[98:99] op_sel:[0,0,1] op_sel_hi:[1,0,0]
	s_delay_alu instid0(VALU_DEP_1) | instskip(SKIP_4) | instid1(VALU_DEP_1)
	v_mov_b32_e32 v103, v99
	ds_load_2addr_b64 v[98:101], v92 offset0:22 offset1:23
	v_pk_add_f32 v[56:57], v[56:57], v[102:103] neg_lo:[0,1] neg_hi:[0,1]
	s_wait_dscnt 0x0
	v_pk_mul_f32 v[102:103], v[98:99], v[90:91] op_sel:[0,1]
	v_pk_fma_f32 v[104:105], v[98:99], v[88:89], v[102:103] op_sel:[0,0,1] op_sel_hi:[1,1,0] neg_lo:[0,0,1] neg_hi:[0,0,1]
	v_pk_fma_f32 v[98:99], v[98:99], v[88:89], v[102:103] op_sel:[0,0,1] op_sel_hi:[1,0,0]
	v_dual_mul_f32 v102, v101, v91 :: v_dual_mov_b32 v98, v101
	s_delay_alu instid0(VALU_DEP_2) | instskip(NEXT) | instid1(VALU_DEP_2)
	v_dual_mov_b32 v105, v99 :: v_dual_mov_b32 v99, v100
	v_pk_fma_f32 v[102:103], v[100:101], v[30:31], v[102:103] op_sel_hi:[1,1,0] neg_lo:[0,0,1] neg_hi:[0,0,1]
	v_mul_f32_e32 v100, v101, v88
	s_delay_alu instid0(VALU_DEP_3) | instskip(NEXT) | instid1(VALU_DEP_2)
	v_pk_add_f32 v[58:59], v[58:59], v[104:105] neg_lo:[0,1] neg_hi:[0,1]
	v_pk_fma_f32 v[98:99], v[98:99], v[30:31], v[100:101] op_sel_hi:[1,1,0]
	s_delay_alu instid0(VALU_DEP_1) | instskip(SKIP_4) | instid1(VALU_DEP_1)
	v_mov_b32_e32 v103, v99
	ds_load_2addr_b64 v[98:101], v92 offset0:24 offset1:25
	v_pk_add_f32 v[54:55], v[54:55], v[102:103] neg_lo:[0,1] neg_hi:[0,1]
	s_wait_dscnt 0x0
	v_pk_mul_f32 v[102:103], v[98:99], v[90:91] op_sel:[0,1]
	v_pk_fma_f32 v[104:105], v[98:99], v[88:89], v[102:103] op_sel:[0,0,1] op_sel_hi:[1,1,0] neg_lo:[0,0,1] neg_hi:[0,0,1]
	v_pk_fma_f32 v[98:99], v[98:99], v[88:89], v[102:103] op_sel:[0,0,1] op_sel_hi:[1,0,0]
	s_delay_alu instid0(VALU_DEP_1) | instskip(SKIP_1) | instid1(VALU_DEP_1)
	v_mov_b32_e32 v105, v99
	v_pk_mul_f32 v[98:99], v[100:101], v[90:91] op_sel:[0,1]
	v_pk_fma_f32 v[102:103], v[100:101], v[88:89], v[98:99] op_sel:[0,0,1] op_sel_hi:[1,1,0] neg_lo:[0,0,1] neg_hi:[0,0,1]
	v_pk_fma_f32 v[98:99], v[100:101], v[88:89], v[98:99] op_sel:[0,0,1] op_sel_hi:[1,0,0]
	s_delay_alu instid0(VALU_DEP_1)
	v_mov_b32_e32 v103, v99
	ds_load_2addr_b64 v[98:101], v92 offset0:26 offset1:27
	v_pk_add_f32 v[52:53], v[52:53], v[104:105] neg_lo:[0,1] neg_hi:[0,1]
	v_pk_add_f32 v[48:49], v[48:49], v[102:103] neg_lo:[0,1] neg_hi:[0,1]
	s_wait_dscnt 0x0
	v_pk_mul_f32 v[102:103], v[98:99], v[90:91] op_sel:[0,1]
	s_delay_alu instid0(VALU_DEP_1) | instskip(SKIP_1) | instid1(VALU_DEP_1)
	v_pk_fma_f32 v[104:105], v[98:99], v[88:89], v[102:103] op_sel:[0,0,1] op_sel_hi:[1,1,0] neg_lo:[0,0,1] neg_hi:[0,0,1]
	v_pk_fma_f32 v[98:99], v[98:99], v[88:89], v[102:103] op_sel:[0,0,1] op_sel_hi:[1,0,0]
	v_mov_b32_e32 v105, v99
	v_pk_mul_f32 v[98:99], v[100:101], v[90:91] op_sel:[0,1]
	s_delay_alu instid0(VALU_DEP_1) | instskip(SKIP_1) | instid1(VALU_DEP_1)
	v_pk_fma_f32 v[102:103], v[100:101], v[88:89], v[98:99] op_sel:[0,0,1] op_sel_hi:[1,1,0] neg_lo:[0,0,1] neg_hi:[0,0,1]
	v_pk_fma_f32 v[98:99], v[100:101], v[88:89], v[98:99] op_sel:[0,0,1] op_sel_hi:[1,0,0]
	v_mov_b32_e32 v103, v99
	ds_load_2addr_b64 v[98:101], v92 offset0:28 offset1:29
	v_pk_add_f32 v[50:51], v[50:51], v[104:105] neg_lo:[0,1] neg_hi:[0,1]
	v_pk_add_f32 v[46:47], v[46:47], v[102:103] neg_lo:[0,1] neg_hi:[0,1]
	s_wait_dscnt 0x0
	v_dual_mul_f32 v102, v99, v91 :: v_dual_mul_f32 v104, v99, v88
	s_delay_alu instid0(VALU_DEP_1) | instskip(NEXT) | instid1(VALU_DEP_2)
	v_pk_fma_f32 v[102:103], v[98:99], v[30:31], v[102:103] op_sel_hi:[1,1,0] neg_lo:[0,0,1] neg_hi:[0,0,1]
	v_pk_fma_f32 v[98:99], v[98:99], v[30:31], v[104:105] op_sel:[1,0,0] op_sel_hi:[0,1,0]
	s_delay_alu instid0(VALU_DEP_1) | instskip(SKIP_1) | instid1(VALU_DEP_2)
	v_mov_b32_e32 v103, v99
	v_pk_mul_f32 v[98:99], v[100:101], v[90:91] op_sel:[0,1]
	v_pk_add_f32 v[42:43], v[42:43], v[102:103] neg_lo:[0,1] neg_hi:[0,1]
	s_delay_alu instid0(VALU_DEP_2) | instskip(SKIP_1) | instid1(VALU_DEP_1)
	v_pk_fma_f32 v[102:103], v[100:101], v[88:89], v[98:99] op_sel:[0,0,1] op_sel_hi:[1,1,0] neg_lo:[0,0,1] neg_hi:[0,0,1]
	v_pk_fma_f32 v[98:99], v[100:101], v[88:89], v[98:99] op_sel:[0,0,1] op_sel_hi:[1,0,0]
	v_mov_b32_e32 v103, v99
	ds_load_2addr_b64 v[98:101], v92 offset0:30 offset1:31
	v_pk_add_f32 v[38:39], v[38:39], v[102:103] neg_lo:[0,1] neg_hi:[0,1]
	s_wait_dscnt 0x0
	v_pk_mul_f32 v[102:103], v[98:99], v[90:91] op_sel:[0,1]
	s_delay_alu instid0(VALU_DEP_1) | instskip(SKIP_1) | instid1(VALU_DEP_1)
	v_pk_fma_f32 v[104:105], v[98:99], v[88:89], v[102:103] op_sel:[0,0,1] op_sel_hi:[1,1,0] neg_lo:[0,0,1] neg_hi:[0,0,1]
	v_pk_fma_f32 v[98:99], v[98:99], v[88:89], v[102:103] op_sel:[0,0,1] op_sel_hi:[1,0,0]
	v_mov_b32_e32 v105, v99
	v_pk_mul_f32 v[98:99], v[100:101], v[90:91] op_sel:[0,1]
	s_delay_alu instid0(VALU_DEP_2) | instskip(NEXT) | instid1(VALU_DEP_2)
	v_pk_add_f32 v[40:41], v[40:41], v[104:105] neg_lo:[0,1] neg_hi:[0,1]
	v_pk_fma_f32 v[102:103], v[100:101], v[88:89], v[98:99] op_sel:[0,0,1] op_sel_hi:[1,1,0] neg_lo:[0,0,1] neg_hi:[0,0,1]
	v_pk_fma_f32 v[98:99], v[100:101], v[88:89], v[98:99] op_sel:[0,0,1] op_sel_hi:[1,0,0]
	s_delay_alu instid0(VALU_DEP_1) | instskip(SKIP_4) | instid1(VALU_DEP_1)
	v_mov_b32_e32 v103, v99
	ds_load_2addr_b64 v[98:101], v92 offset0:32 offset1:33
	v_pk_add_f32 v[36:37], v[36:37], v[102:103] neg_lo:[0,1] neg_hi:[0,1]
	s_wait_dscnt 0x0
	v_pk_mul_f32 v[102:103], v[98:99], v[90:91] op_sel:[0,1]
	v_pk_fma_f32 v[104:105], v[98:99], v[88:89], v[102:103] op_sel:[0,0,1] op_sel_hi:[1,1,0] neg_lo:[0,0,1] neg_hi:[0,0,1]
	v_pk_fma_f32 v[98:99], v[98:99], v[88:89], v[102:103] op_sel:[0,0,1] op_sel_hi:[1,0,0]
	v_dual_mul_f32 v102, v101, v91 :: v_dual_mov_b32 v98, v101
	s_delay_alu instid0(VALU_DEP_2) | instskip(NEXT) | instid1(VALU_DEP_2)
	v_dual_mov_b32 v105, v99 :: v_dual_mov_b32 v99, v100
	v_pk_fma_f32 v[102:103], v[100:101], v[30:31], v[102:103] op_sel_hi:[1,1,0] neg_lo:[0,0,1] neg_hi:[0,0,1]
	v_mul_f32_e32 v100, v101, v88
	s_delay_alu instid0(VALU_DEP_3) | instskip(NEXT) | instid1(VALU_DEP_2)
	v_pk_add_f32 v[14:15], v[14:15], v[104:105] neg_lo:[0,1] neg_hi:[0,1]
	v_pk_fma_f32 v[98:99], v[98:99], v[30:31], v[100:101] op_sel_hi:[1,1,0]
	s_delay_alu instid0(VALU_DEP_1) | instskip(SKIP_4) | instid1(VALU_DEP_1)
	v_mov_b32_e32 v103, v99
	ds_load_2addr_b64 v[98:101], v92 offset0:34 offset1:35
	v_pk_add_f32 v[10:11], v[10:11], v[102:103] neg_lo:[0,1] neg_hi:[0,1]
	s_wait_dscnt 0x0
	v_pk_mul_f32 v[102:103], v[98:99], v[90:91] op_sel:[0,1]
	v_pk_fma_f32 v[104:105], v[98:99], v[88:89], v[102:103] op_sel:[0,0,1] op_sel_hi:[1,1,0] neg_lo:[0,0,1] neg_hi:[0,0,1]
	v_pk_fma_f32 v[98:99], v[98:99], v[88:89], v[102:103] op_sel:[0,0,1] op_sel_hi:[1,0,0]
	s_delay_alu instid0(VALU_DEP_1) | instskip(SKIP_1) | instid1(VALU_DEP_1)
	v_mov_b32_e32 v105, v99
	v_pk_mul_f32 v[98:99], v[100:101], v[90:91] op_sel:[0,1]
	v_pk_fma_f32 v[102:103], v[100:101], v[88:89], v[98:99] op_sel:[0,0,1] op_sel_hi:[1,1,0] neg_lo:[0,0,1] neg_hi:[0,0,1]
	v_pk_fma_f32 v[98:99], v[100:101], v[88:89], v[98:99] op_sel:[0,0,1] op_sel_hi:[1,0,0]
	s_delay_alu instid0(VALU_DEP_1)
	v_mov_b32_e32 v103, v99
	ds_load_2addr_b64 v[98:101], v92 offset0:36 offset1:37
	v_pk_add_f32 v[12:13], v[12:13], v[104:105] neg_lo:[0,1] neg_hi:[0,1]
	v_pk_add_f32 v[8:9], v[8:9], v[102:103] neg_lo:[0,1] neg_hi:[0,1]
	s_wait_dscnt 0x0
	v_pk_mul_f32 v[102:103], v[98:99], v[90:91] op_sel:[0,1]
	s_delay_alu instid0(VALU_DEP_1) | instskip(SKIP_1) | instid1(VALU_DEP_1)
	v_pk_fma_f32 v[104:105], v[98:99], v[88:89], v[102:103] op_sel:[0,0,1] op_sel_hi:[1,1,0] neg_lo:[0,0,1] neg_hi:[0,0,1]
	v_pk_fma_f32 v[98:99], v[98:99], v[88:89], v[102:103] op_sel:[0,0,1] op_sel_hi:[1,0,0]
	v_mov_b32_e32 v105, v99
	v_pk_mul_f32 v[98:99], v[100:101], v[90:91] op_sel:[0,1]
	s_delay_alu instid0(VALU_DEP_1) | instskip(SKIP_1) | instid1(VALU_DEP_1)
	v_pk_fma_f32 v[102:103], v[100:101], v[88:89], v[98:99] op_sel:[0,0,1] op_sel_hi:[1,1,0] neg_lo:[0,0,1] neg_hi:[0,0,1]
	v_pk_fma_f32 v[98:99], v[100:101], v[88:89], v[98:99] op_sel:[0,0,1] op_sel_hi:[1,0,0]
	v_mov_b32_e32 v103, v99
	ds_load_2addr_b64 v[98:101], v92 offset0:38 offset1:39
	v_pk_add_f32 v[6:7], v[6:7], v[104:105] neg_lo:[0,1] neg_hi:[0,1]
	v_pk_add_f32 v[44:45], v[44:45], v[102:103] neg_lo:[0,1] neg_hi:[0,1]
	s_wait_dscnt 0x0
	v_dual_mul_f32 v102, v99, v91 :: v_dual_mul_f32 v104, v99, v88
	s_delay_alu instid0(VALU_DEP_1) | instskip(NEXT) | instid1(VALU_DEP_2)
	v_pk_fma_f32 v[102:103], v[98:99], v[30:31], v[102:103] op_sel_hi:[1,1,0] neg_lo:[0,0,1] neg_hi:[0,0,1]
	v_pk_fma_f32 v[98:99], v[98:99], v[30:31], v[104:105] op_sel:[1,0,0] op_sel_hi:[0,1,0]
	s_delay_alu instid0(VALU_DEP_1) | instskip(SKIP_1) | instid1(VALU_DEP_2)
	v_mov_b32_e32 v103, v99
	v_pk_mul_f32 v[98:99], v[100:101], v[90:91] op_sel:[0,1]
	v_pk_add_f32 v[22:23], v[22:23], v[102:103] neg_lo:[0,1] neg_hi:[0,1]
	s_delay_alu instid0(VALU_DEP_2) | instskip(SKIP_1) | instid1(VALU_DEP_1)
	v_pk_fma_f32 v[102:103], v[100:101], v[88:89], v[98:99] op_sel:[0,0,1] op_sel_hi:[1,1,0] neg_lo:[0,0,1] neg_hi:[0,0,1]
	v_pk_fma_f32 v[98:99], v[100:101], v[88:89], v[98:99] op_sel:[0,0,1] op_sel_hi:[1,0,0]
	v_mov_b32_e32 v103, v99
	ds_load_b64 v[98:99], v92 offset:320
	v_pk_add_f32 v[16:17], v[16:17], v[102:103] neg_lo:[0,1] neg_hi:[0,1]
	s_wait_dscnt 0x0
	v_pk_mul_f32 v[90:91], v[98:99], v[90:91] op_sel:[0,1]
	s_delay_alu instid0(VALU_DEP_1) | instskip(SKIP_1) | instid1(VALU_DEP_1)
	v_pk_fma_f32 v[100:101], v[98:99], v[88:89], v[90:91] op_sel:[0,0,1] op_sel_hi:[1,1,0] neg_lo:[0,0,1] neg_hi:[0,0,1]
	v_pk_fma_f32 v[88:89], v[98:99], v[88:89], v[90:91] op_sel:[0,0,1] op_sel_hi:[1,0,0]
	v_mov_b32_e32 v101, v89
	s_delay_alu instid0(VALU_DEP_1)
	v_pk_add_f32 v[86:87], v[86:87], v[100:101] neg_lo:[0,1] neg_hi:[0,1]
.LBB80_209:
	s_or_b32 exec_lo, exec_lo, s0
	v_lshl_add_u32 v88, v96, 3, v92
	s_barrier_signal -1
	s_barrier_wait -1
	ds_store_b64 v88, v[32:33]
	s_wait_dscnt 0x0
	s_barrier_signal -1
	s_barrier_wait -1
	ds_load_b64 v[90:91], v92 offset:80
	v_mov_b32_e32 v88, 10
	s_cmp_lt_i32 s18, 12
	s_cbranch_scc1 .LBB80_212
; %bb.210:
	v_add3_u32 v89, v93, 0, 0x58
	v_mov_b32_e32 v88, 10
	s_mov_b32 s0, 11
.LBB80_211:                             ; =>This Inner Loop Header: Depth=1
	ds_load_b64 v[98:99], v89
	s_wait_dscnt 0x1
	v_cmp_gt_f32_e32 vcc_lo, 0, v90
	v_cndmask_b32_e64 v100, v90, -v90, vcc_lo
	v_cmp_gt_f32_e32 vcc_lo, 0, v91
	v_cndmask_b32_e64 v102, v91, -v91, vcc_lo
	s_wait_dscnt 0x0
	v_cmp_gt_f32_e32 vcc_lo, 0, v98
	v_cndmask_b32_e64 v101, v98, -v98, vcc_lo
	v_cmp_gt_f32_e32 vcc_lo, 0, v99
	v_cndmask_b32_e64 v103, v99, -v99, vcc_lo
	s_delay_alu instid0(VALU_DEP_1) | instskip(NEXT) | instid1(VALU_DEP_1)
	v_pk_add_f32 v[100:101], v[100:101], v[102:103]
	v_cmp_lt_f32_e32 vcc_lo, v100, v101
	v_dual_add_nc_u32 v89, 8, v89 :: v_dual_cndmask_b32 v91, v91, v99, vcc_lo
	v_cndmask_b32_e32 v90, v90, v98, vcc_lo
	v_cndmask_b32_e64 v88, v88, s0, vcc_lo
	s_add_co_i32 s0, s0, 1
	s_delay_alu instid0(SALU_CYCLE_1)
	s_cmp_lg_u32 s18, s0
	s_cbranch_scc1 .LBB80_211
.LBB80_212:
	s_wait_dscnt 0x0
	v_cmp_eq_f32_e32 vcc_lo, 0, v90
	v_cmp_eq_f32_e64 s0, 0, v91
	s_and_b32 s0, vcc_lo, s0
	s_delay_alu instid0(SALU_CYCLE_1) | instskip(NEXT) | instid1(SALU_CYCLE_1)
	s_and_saveexec_b32 s1, s0
	s_xor_b32 s0, exec_lo, s1
; %bb.213:
	v_cmp_ne_u32_e32 vcc_lo, 0, v94
	v_cndmask_b32_e32 v94, 11, v94, vcc_lo
; %bb.214:
	s_and_not1_saveexec_b32 s0, s0
	s_cbranch_execz .LBB80_220
; %bb.215:
	v_cmp_ngt_f32_e64 s1, |v90|, |v91|
	s_and_saveexec_b32 s12, s1
	s_delay_alu instid0(SALU_CYCLE_1)
	s_xor_b32 s1, exec_lo, s12
	s_cbranch_execz .LBB80_217
; %bb.216:
	v_div_scale_f32 v89, null, v91, v91, v90
	v_div_scale_f32 v99, vcc_lo, v90, v91, v90
	s_delay_alu instid0(VALU_DEP_2) | instskip(SKIP_1) | instid1(TRANS32_DEP_1)
	v_rcp_f32_e32 v97, v89
	v_nop
	v_fma_f32 v98, -v89, v97, 1.0
	s_delay_alu instid0(VALU_DEP_1) | instskip(NEXT) | instid1(VALU_DEP_1)
	v_fmac_f32_e32 v97, v98, v97
	v_mul_f32_e32 v98, v99, v97
	s_delay_alu instid0(VALU_DEP_1) | instskip(NEXT) | instid1(VALU_DEP_1)
	v_fma_f32 v100, -v89, v98, v99
	v_fmac_f32_e32 v98, v100, v97
	s_delay_alu instid0(VALU_DEP_1) | instskip(NEXT) | instid1(VALU_DEP_1)
	v_fma_f32 v89, -v89, v98, v99
	v_div_fmas_f32 v89, v89, v97, v98
	s_delay_alu instid0(VALU_DEP_1) | instskip(NEXT) | instid1(VALU_DEP_1)
	v_div_fixup_f32 v89, v89, v91, v90
	v_fmac_f32_e32 v91, v90, v89
	s_delay_alu instid0(VALU_DEP_1) | instskip(SKIP_1) | instid1(VALU_DEP_2)
	v_div_scale_f32 v90, null, v91, v91, 1.0
	v_div_scale_f32 v99, vcc_lo, 1.0, v91, 1.0
	v_rcp_f32_e32 v97, v90
	v_nop
	s_delay_alu instid0(TRANS32_DEP_1) | instskip(NEXT) | instid1(VALU_DEP_1)
	v_fma_f32 v98, -v90, v97, 1.0
	v_fmac_f32_e32 v97, v98, v97
	s_delay_alu instid0(VALU_DEP_1) | instskip(NEXT) | instid1(VALU_DEP_1)
	v_mul_f32_e32 v98, v99, v97
	v_fma_f32 v100, -v90, v98, v99
	s_delay_alu instid0(VALU_DEP_1) | instskip(NEXT) | instid1(VALU_DEP_1)
	v_fmac_f32_e32 v98, v100, v97
	v_fma_f32 v90, -v90, v98, v99
	s_delay_alu instid0(VALU_DEP_1) | instskip(NEXT) | instid1(VALU_DEP_1)
	v_div_fmas_f32 v90, v90, v97, v98
	v_div_fixup_f32 v91, v90, v91, 1.0
	s_delay_alu instid0(VALU_DEP_1)
	v_mul_f32_e32 v90, v89, v91
	v_xor_b32_e32 v91, 0x80000000, v91
.LBB80_217:
	s_and_not1_saveexec_b32 s1, s1
	s_cbranch_execz .LBB80_219
; %bb.218:
	s_delay_alu instid0(VALU_DEP_1) | instskip(SKIP_1) | instid1(VALU_DEP_2)
	v_div_scale_f32 v89, null, v90, v90, v91
	v_div_scale_f32 v99, vcc_lo, v91, v90, v91
	v_rcp_f32_e32 v97, v89
	v_nop
	s_delay_alu instid0(TRANS32_DEP_1) | instskip(NEXT) | instid1(VALU_DEP_1)
	v_fma_f32 v98, -v89, v97, 1.0
	v_fmac_f32_e32 v97, v98, v97
	s_delay_alu instid0(VALU_DEP_1) | instskip(NEXT) | instid1(VALU_DEP_1)
	v_mul_f32_e32 v98, v99, v97
	v_fma_f32 v100, -v89, v98, v99
	s_delay_alu instid0(VALU_DEP_1) | instskip(NEXT) | instid1(VALU_DEP_1)
	v_fmac_f32_e32 v98, v100, v97
	v_fma_f32 v89, -v89, v98, v99
	s_delay_alu instid0(VALU_DEP_1) | instskip(NEXT) | instid1(VALU_DEP_1)
	v_div_fmas_f32 v89, v89, v97, v98
	v_div_fixup_f32 v89, v89, v90, v91
	s_delay_alu instid0(VALU_DEP_1) | instskip(NEXT) | instid1(VALU_DEP_1)
	v_fmac_f32_e32 v90, v91, v89
	v_div_scale_f32 v91, null, v90, v90, 1.0
	s_delay_alu instid0(VALU_DEP_1) | instskip(SKIP_1) | instid1(TRANS32_DEP_1)
	v_rcp_f32_e32 v97, v91
	v_nop
	v_fma_f32 v98, -v91, v97, 1.0
	s_delay_alu instid0(VALU_DEP_1) | instskip(SKIP_1) | instid1(VALU_DEP_1)
	v_fmac_f32_e32 v97, v98, v97
	v_div_scale_f32 v98, vcc_lo, 1.0, v90, 1.0
	v_mul_f32_e32 v99, v98, v97
	s_delay_alu instid0(VALU_DEP_1) | instskip(NEXT) | instid1(VALU_DEP_1)
	v_fma_f32 v100, -v91, v99, v98
	v_fmac_f32_e32 v99, v100, v97
	s_delay_alu instid0(VALU_DEP_1) | instskip(NEXT) | instid1(VALU_DEP_1)
	v_fma_f32 v91, -v91, v99, v98
	v_div_fmas_f32 v91, v91, v97, v99
	s_delay_alu instid0(VALU_DEP_1) | instskip(NEXT) | instid1(VALU_DEP_1)
	v_div_fixup_f32 v90, v91, v90, 1.0
	v_mul_f32_e64 v91, v89, -v90
.LBB80_219:
	s_or_b32 exec_lo, exec_lo, s1
.LBB80_220:
	s_delay_alu instid0(SALU_CYCLE_1) | instskip(NEXT) | instid1(SALU_CYCLE_1)
	s_or_b32 exec_lo, exec_lo, s0
	s_mov_b32 s0, exec_lo
	v_cmpx_ne_u32_e64 v96, v88
	s_xor_b32 s0, exec_lo, s0
	s_cbranch_execz .LBB80_226
; %bb.221:
	s_mov_b32 s1, exec_lo
	v_cmpx_eq_u32_e32 10, v96
	s_cbranch_execz .LBB80_225
; %bb.222:
	v_cmp_ne_u32_e32 vcc_lo, 10, v88
	s_xor_b32 s12, s16, -1
	s_delay_alu instid0(SALU_CYCLE_1) | instskip(NEXT) | instid1(SALU_CYCLE_1)
	s_and_b32 s13, s12, vcc_lo
	s_and_saveexec_b32 s12, s13
	s_cbranch_execz .LBB80_224
; %bb.223:
	v_ashrrev_i32_e32 v89, 31, v88
	s_delay_alu instid0(VALU_DEP_1)
	v_lshl_add_u64 v[96:97], v[88:89], 2, v[4:5]
	s_clause 0x1
	global_load_b32 v89, v[96:97], off
	global_load_b32 v95, v[4:5], off offset:40
	s_wait_loadcnt 0x1
	global_store_b32 v[4:5], v89, off offset:40
	s_wait_loadcnt 0x0
	global_store_b32 v[96:97], v95, off
.LBB80_224:
	s_wait_xcnt 0x0
	s_or_b32 exec_lo, exec_lo, s12
	v_dual_mov_b32 v96, v88 :: v_dual_mov_b32 v95, v88
.LBB80_225:
	s_or_b32 exec_lo, exec_lo, s1
.LBB80_226:
	s_and_not1_saveexec_b32 s0, s0
	s_cbranch_execz .LBB80_228
; %bb.227:
	v_mov_b32_e32 v96, 10
	ds_store_2addr_b64 v92, v[28:29], v[76:77] offset0:11 offset1:12
	ds_store_2addr_b64 v92, v[72:73], v[74:75] offset0:13 offset1:14
	ds_store_2addr_b64 v92, v[70:71], v[68:69] offset0:15 offset1:16
	ds_store_2addr_b64 v92, v[64:65], v[66:67] offset0:17 offset1:18
	ds_store_2addr_b64 v92, v[62:63], v[60:61] offset0:19 offset1:20
	ds_store_2addr_b64 v92, v[56:57], v[58:59] offset0:21 offset1:22
	ds_store_2addr_b64 v92, v[54:55], v[52:53] offset0:23 offset1:24
	ds_store_2addr_b64 v92, v[48:49], v[50:51] offset0:25 offset1:26
	ds_store_2addr_b64 v92, v[46:47], v[42:43] offset0:27 offset1:28
	ds_store_2addr_b64 v92, v[38:39], v[40:41] offset0:29 offset1:30
	ds_store_2addr_b64 v92, v[36:37], v[14:15] offset0:31 offset1:32
	ds_store_2addr_b64 v92, v[10:11], v[12:13] offset0:33 offset1:34
	ds_store_2addr_b64 v92, v[8:9], v[6:7] offset0:35 offset1:36
	ds_store_2addr_b64 v92, v[44:45], v[22:23] offset0:37 offset1:38
	ds_store_2addr_b64 v92, v[16:17], v[86:87] offset0:39 offset1:40
.LBB80_228:
	s_or_b32 exec_lo, exec_lo, s0
	s_delay_alu instid0(SALU_CYCLE_1)
	s_mov_b32 s0, exec_lo
	s_wait_storecnt_dscnt 0x0
	s_barrier_signal -1
	s_barrier_wait -1
	v_cmpx_lt_i32_e32 10, v96
	s_cbranch_execz .LBB80_230
; %bb.229:
	v_pk_mul_f32 v[98:99], v[90:91], v[32:33] op_sel:[1,1] op_sel_hi:[0,1]
	s_delay_alu instid0(VALU_DEP_1)
	v_pk_fma_f32 v[88:89], v[90:91], v[32:33], v[98:99] op_sel_hi:[1,0,1] neg_lo:[0,0,1] neg_hi:[0,0,1]
	v_pk_fma_f32 v[90:91], v[90:91], v[32:33], v[98:99] op_sel_hi:[1,0,1]
	ds_load_2addr_b64 v[98:101], v92 offset0:11 offset1:12
	v_dual_mov_b32 v32, v88 :: v_dual_mov_b32 v33, v91
	s_wait_dscnt 0x0
	v_pk_mul_f32 v[102:103], v[98:99], v[90:91] op_sel:[0,1]
	s_delay_alu instid0(VALU_DEP_1) | instskip(SKIP_1) | instid1(VALU_DEP_1)
	v_pk_fma_f32 v[104:105], v[98:99], v[88:89], v[102:103] op_sel:[0,0,1] op_sel_hi:[1,1,0] neg_lo:[0,0,1] neg_hi:[0,0,1]
	v_pk_fma_f32 v[98:99], v[98:99], v[88:89], v[102:103] op_sel:[0,0,1] op_sel_hi:[1,0,0]
	v_mov_b32_e32 v105, v99
	v_pk_mul_f32 v[98:99], v[100:101], v[90:91] op_sel:[0,1]
	s_delay_alu instid0(VALU_DEP_1) | instskip(SKIP_1) | instid1(VALU_DEP_1)
	v_pk_fma_f32 v[102:103], v[100:101], v[88:89], v[98:99] op_sel:[0,0,1] op_sel_hi:[1,1,0] neg_lo:[0,0,1] neg_hi:[0,0,1]
	v_pk_fma_f32 v[98:99], v[100:101], v[88:89], v[98:99] op_sel:[0,0,1] op_sel_hi:[1,0,0]
	v_mov_b32_e32 v103, v99
	ds_load_2addr_b64 v[98:101], v92 offset0:13 offset1:14
	v_pk_add_f32 v[28:29], v[28:29], v[104:105] neg_lo:[0,1] neg_hi:[0,1]
	v_pk_add_f32 v[76:77], v[76:77], v[102:103] neg_lo:[0,1] neg_hi:[0,1]
	s_wait_dscnt 0x0
	v_pk_mul_f32 v[102:103], v[98:99], v[90:91] op_sel:[0,1]
	s_delay_alu instid0(VALU_DEP_1) | instskip(SKIP_2) | instid1(VALU_DEP_2)
	v_pk_fma_f32 v[104:105], v[98:99], v[88:89], v[102:103] op_sel:[0,0,1] op_sel_hi:[1,1,0] neg_lo:[0,0,1] neg_hi:[0,0,1]
	v_pk_fma_f32 v[98:99], v[98:99], v[88:89], v[102:103] op_sel:[0,0,1] op_sel_hi:[1,0,0]
	v_dual_mul_f32 v102, v101, v91 :: v_dual_mov_b32 v98, v101
	v_dual_mov_b32 v105, v99 :: v_dual_mov_b32 v99, v100
	s_delay_alu instid0(VALU_DEP_2) | instskip(SKIP_1) | instid1(VALU_DEP_3)
	v_pk_fma_f32 v[102:103], v[100:101], v[32:33], v[102:103] op_sel_hi:[1,1,0] neg_lo:[0,0,1] neg_hi:[0,0,1]
	v_mul_f32_e32 v100, v101, v88
	v_pk_add_f32 v[72:73], v[72:73], v[104:105] neg_lo:[0,1] neg_hi:[0,1]
	s_delay_alu instid0(VALU_DEP_2) | instskip(NEXT) | instid1(VALU_DEP_1)
	v_pk_fma_f32 v[98:99], v[98:99], v[32:33], v[100:101] op_sel_hi:[1,1,0]
	v_mov_b32_e32 v103, v99
	ds_load_2addr_b64 v[98:101], v92 offset0:15 offset1:16
	v_pk_add_f32 v[74:75], v[74:75], v[102:103] neg_lo:[0,1] neg_hi:[0,1]
	s_wait_dscnt 0x0
	v_pk_mul_f32 v[102:103], v[98:99], v[90:91] op_sel:[0,1]
	s_delay_alu instid0(VALU_DEP_1) | instskip(SKIP_1) | instid1(VALU_DEP_1)
	v_pk_fma_f32 v[104:105], v[98:99], v[88:89], v[102:103] op_sel:[0,0,1] op_sel_hi:[1,1,0] neg_lo:[0,0,1] neg_hi:[0,0,1]
	v_pk_fma_f32 v[98:99], v[98:99], v[88:89], v[102:103] op_sel:[0,0,1] op_sel_hi:[1,0,0]
	v_mov_b32_e32 v105, v99
	v_pk_mul_f32 v[98:99], v[100:101], v[90:91] op_sel:[0,1]
	s_delay_alu instid0(VALU_DEP_1) | instskip(SKIP_1) | instid1(VALU_DEP_1)
	v_pk_fma_f32 v[102:103], v[100:101], v[88:89], v[98:99] op_sel:[0,0,1] op_sel_hi:[1,1,0] neg_lo:[0,0,1] neg_hi:[0,0,1]
	v_pk_fma_f32 v[98:99], v[100:101], v[88:89], v[98:99] op_sel:[0,0,1] op_sel_hi:[1,0,0]
	v_mov_b32_e32 v103, v99
	ds_load_2addr_b64 v[98:101], v92 offset0:17 offset1:18
	v_pk_add_f32 v[70:71], v[70:71], v[104:105] neg_lo:[0,1] neg_hi:[0,1]
	v_pk_add_f32 v[68:69], v[68:69], v[102:103] neg_lo:[0,1] neg_hi:[0,1]
	s_wait_dscnt 0x0
	v_pk_mul_f32 v[102:103], v[98:99], v[90:91] op_sel:[0,1]
	s_delay_alu instid0(VALU_DEP_1) | instskip(SKIP_1) | instid1(VALU_DEP_1)
	v_pk_fma_f32 v[104:105], v[98:99], v[88:89], v[102:103] op_sel:[0,0,1] op_sel_hi:[1,1,0] neg_lo:[0,0,1] neg_hi:[0,0,1]
	v_pk_fma_f32 v[98:99], v[98:99], v[88:89], v[102:103] op_sel:[0,0,1] op_sel_hi:[1,0,0]
	v_mov_b32_e32 v105, v99
	v_pk_mul_f32 v[98:99], v[100:101], v[90:91] op_sel:[0,1]
	s_delay_alu instid0(VALU_DEP_1) | instskip(SKIP_1) | instid1(VALU_DEP_1)
	v_pk_fma_f32 v[102:103], v[100:101], v[88:89], v[98:99] op_sel:[0,0,1] op_sel_hi:[1,1,0] neg_lo:[0,0,1] neg_hi:[0,0,1]
	v_pk_fma_f32 v[98:99], v[100:101], v[88:89], v[98:99] op_sel:[0,0,1] op_sel_hi:[1,0,0]
	v_mov_b32_e32 v103, v99
	ds_load_2addr_b64 v[98:101], v92 offset0:19 offset1:20
	v_pk_add_f32 v[64:65], v[64:65], v[104:105] neg_lo:[0,1] neg_hi:[0,1]
	v_pk_add_f32 v[66:67], v[66:67], v[102:103] neg_lo:[0,1] neg_hi:[0,1]
	s_wait_dscnt 0x0
	v_dual_mul_f32 v102, v99, v91 :: v_dual_mul_f32 v104, v99, v88
	s_delay_alu instid0(VALU_DEP_1) | instskip(NEXT) | instid1(VALU_DEP_2)
	v_pk_fma_f32 v[102:103], v[98:99], v[32:33], v[102:103] op_sel_hi:[1,1,0] neg_lo:[0,0,1] neg_hi:[0,0,1]
	v_pk_fma_f32 v[98:99], v[98:99], v[32:33], v[104:105] op_sel:[1,0,0] op_sel_hi:[0,1,0]
	s_delay_alu instid0(VALU_DEP_1) | instskip(SKIP_1) | instid1(VALU_DEP_2)
	v_mov_b32_e32 v103, v99
	v_pk_mul_f32 v[98:99], v[100:101], v[90:91] op_sel:[0,1]
	v_pk_add_f32 v[62:63], v[62:63], v[102:103] neg_lo:[0,1] neg_hi:[0,1]
	s_delay_alu instid0(VALU_DEP_2) | instskip(SKIP_1) | instid1(VALU_DEP_1)
	v_pk_fma_f32 v[102:103], v[100:101], v[88:89], v[98:99] op_sel:[0,0,1] op_sel_hi:[1,1,0] neg_lo:[0,0,1] neg_hi:[0,0,1]
	v_pk_fma_f32 v[98:99], v[100:101], v[88:89], v[98:99] op_sel:[0,0,1] op_sel_hi:[1,0,0]
	v_mov_b32_e32 v103, v99
	ds_load_2addr_b64 v[98:101], v92 offset0:21 offset1:22
	v_pk_add_f32 v[60:61], v[60:61], v[102:103] neg_lo:[0,1] neg_hi:[0,1]
	s_wait_dscnt 0x0
	v_pk_mul_f32 v[102:103], v[98:99], v[90:91] op_sel:[0,1]
	s_delay_alu instid0(VALU_DEP_1) | instskip(SKIP_1) | instid1(VALU_DEP_1)
	v_pk_fma_f32 v[104:105], v[98:99], v[88:89], v[102:103] op_sel:[0,0,1] op_sel_hi:[1,1,0] neg_lo:[0,0,1] neg_hi:[0,0,1]
	v_pk_fma_f32 v[98:99], v[98:99], v[88:89], v[102:103] op_sel:[0,0,1] op_sel_hi:[1,0,0]
	v_mov_b32_e32 v105, v99
	v_pk_mul_f32 v[98:99], v[100:101], v[90:91] op_sel:[0,1]
	s_delay_alu instid0(VALU_DEP_2) | instskip(NEXT) | instid1(VALU_DEP_2)
	v_pk_add_f32 v[56:57], v[56:57], v[104:105] neg_lo:[0,1] neg_hi:[0,1]
	v_pk_fma_f32 v[102:103], v[100:101], v[88:89], v[98:99] op_sel:[0,0,1] op_sel_hi:[1,1,0] neg_lo:[0,0,1] neg_hi:[0,0,1]
	v_pk_fma_f32 v[98:99], v[100:101], v[88:89], v[98:99] op_sel:[0,0,1] op_sel_hi:[1,0,0]
	s_delay_alu instid0(VALU_DEP_1) | instskip(SKIP_4) | instid1(VALU_DEP_1)
	v_mov_b32_e32 v103, v99
	ds_load_2addr_b64 v[98:101], v92 offset0:23 offset1:24
	v_pk_add_f32 v[58:59], v[58:59], v[102:103] neg_lo:[0,1] neg_hi:[0,1]
	s_wait_dscnt 0x0
	v_pk_mul_f32 v[102:103], v[98:99], v[90:91] op_sel:[0,1]
	v_pk_fma_f32 v[104:105], v[98:99], v[88:89], v[102:103] op_sel:[0,0,1] op_sel_hi:[1,1,0] neg_lo:[0,0,1] neg_hi:[0,0,1]
	v_pk_fma_f32 v[98:99], v[98:99], v[88:89], v[102:103] op_sel:[0,0,1] op_sel_hi:[1,0,0]
	v_dual_mul_f32 v102, v101, v91 :: v_dual_mov_b32 v98, v101
	s_delay_alu instid0(VALU_DEP_2) | instskip(NEXT) | instid1(VALU_DEP_2)
	v_dual_mov_b32 v105, v99 :: v_dual_mov_b32 v99, v100
	v_pk_fma_f32 v[102:103], v[100:101], v[32:33], v[102:103] op_sel_hi:[1,1,0] neg_lo:[0,0,1] neg_hi:[0,0,1]
	v_mul_f32_e32 v100, v101, v88
	s_delay_alu instid0(VALU_DEP_3) | instskip(NEXT) | instid1(VALU_DEP_2)
	v_pk_add_f32 v[54:55], v[54:55], v[104:105] neg_lo:[0,1] neg_hi:[0,1]
	v_pk_fma_f32 v[98:99], v[98:99], v[32:33], v[100:101] op_sel_hi:[1,1,0]
	s_delay_alu instid0(VALU_DEP_1) | instskip(SKIP_4) | instid1(VALU_DEP_1)
	v_mov_b32_e32 v103, v99
	ds_load_2addr_b64 v[98:101], v92 offset0:25 offset1:26
	v_pk_add_f32 v[52:53], v[52:53], v[102:103] neg_lo:[0,1] neg_hi:[0,1]
	s_wait_dscnt 0x0
	v_pk_mul_f32 v[102:103], v[98:99], v[90:91] op_sel:[0,1]
	v_pk_fma_f32 v[104:105], v[98:99], v[88:89], v[102:103] op_sel:[0,0,1] op_sel_hi:[1,1,0] neg_lo:[0,0,1] neg_hi:[0,0,1]
	v_pk_fma_f32 v[98:99], v[98:99], v[88:89], v[102:103] op_sel:[0,0,1] op_sel_hi:[1,0,0]
	s_delay_alu instid0(VALU_DEP_1) | instskip(SKIP_1) | instid1(VALU_DEP_1)
	v_mov_b32_e32 v105, v99
	v_pk_mul_f32 v[98:99], v[100:101], v[90:91] op_sel:[0,1]
	v_pk_fma_f32 v[102:103], v[100:101], v[88:89], v[98:99] op_sel:[0,0,1] op_sel_hi:[1,1,0] neg_lo:[0,0,1] neg_hi:[0,0,1]
	v_pk_fma_f32 v[98:99], v[100:101], v[88:89], v[98:99] op_sel:[0,0,1] op_sel_hi:[1,0,0]
	s_delay_alu instid0(VALU_DEP_1)
	v_mov_b32_e32 v103, v99
	ds_load_2addr_b64 v[98:101], v92 offset0:27 offset1:28
	v_pk_add_f32 v[48:49], v[48:49], v[104:105] neg_lo:[0,1] neg_hi:[0,1]
	v_pk_add_f32 v[50:51], v[50:51], v[102:103] neg_lo:[0,1] neg_hi:[0,1]
	s_wait_dscnt 0x0
	v_pk_mul_f32 v[102:103], v[98:99], v[90:91] op_sel:[0,1]
	s_delay_alu instid0(VALU_DEP_1) | instskip(SKIP_1) | instid1(VALU_DEP_1)
	v_pk_fma_f32 v[104:105], v[98:99], v[88:89], v[102:103] op_sel:[0,0,1] op_sel_hi:[1,1,0] neg_lo:[0,0,1] neg_hi:[0,0,1]
	v_pk_fma_f32 v[98:99], v[98:99], v[88:89], v[102:103] op_sel:[0,0,1] op_sel_hi:[1,0,0]
	v_mov_b32_e32 v105, v99
	v_pk_mul_f32 v[98:99], v[100:101], v[90:91] op_sel:[0,1]
	s_delay_alu instid0(VALU_DEP_1) | instskip(SKIP_1) | instid1(VALU_DEP_1)
	v_pk_fma_f32 v[102:103], v[100:101], v[88:89], v[98:99] op_sel:[0,0,1] op_sel_hi:[1,1,0] neg_lo:[0,0,1] neg_hi:[0,0,1]
	v_pk_fma_f32 v[98:99], v[100:101], v[88:89], v[98:99] op_sel:[0,0,1] op_sel_hi:[1,0,0]
	v_mov_b32_e32 v103, v99
	ds_load_2addr_b64 v[98:101], v92 offset0:29 offset1:30
	v_pk_add_f32 v[46:47], v[46:47], v[104:105] neg_lo:[0,1] neg_hi:[0,1]
	v_pk_add_f32 v[42:43], v[42:43], v[102:103] neg_lo:[0,1] neg_hi:[0,1]
	s_wait_dscnt 0x0
	v_dual_mul_f32 v102, v99, v91 :: v_dual_mul_f32 v104, v99, v88
	s_delay_alu instid0(VALU_DEP_1) | instskip(NEXT) | instid1(VALU_DEP_2)
	v_pk_fma_f32 v[102:103], v[98:99], v[32:33], v[102:103] op_sel_hi:[1,1,0] neg_lo:[0,0,1] neg_hi:[0,0,1]
	v_pk_fma_f32 v[98:99], v[98:99], v[32:33], v[104:105] op_sel:[1,0,0] op_sel_hi:[0,1,0]
	s_delay_alu instid0(VALU_DEP_1) | instskip(SKIP_1) | instid1(VALU_DEP_2)
	v_mov_b32_e32 v103, v99
	v_pk_mul_f32 v[98:99], v[100:101], v[90:91] op_sel:[0,1]
	v_pk_add_f32 v[38:39], v[38:39], v[102:103] neg_lo:[0,1] neg_hi:[0,1]
	s_delay_alu instid0(VALU_DEP_2) | instskip(SKIP_1) | instid1(VALU_DEP_1)
	v_pk_fma_f32 v[102:103], v[100:101], v[88:89], v[98:99] op_sel:[0,0,1] op_sel_hi:[1,1,0] neg_lo:[0,0,1] neg_hi:[0,0,1]
	v_pk_fma_f32 v[98:99], v[100:101], v[88:89], v[98:99] op_sel:[0,0,1] op_sel_hi:[1,0,0]
	v_mov_b32_e32 v103, v99
	ds_load_2addr_b64 v[98:101], v92 offset0:31 offset1:32
	v_pk_add_f32 v[40:41], v[40:41], v[102:103] neg_lo:[0,1] neg_hi:[0,1]
	s_wait_dscnt 0x0
	v_pk_mul_f32 v[102:103], v[98:99], v[90:91] op_sel:[0,1]
	s_delay_alu instid0(VALU_DEP_1) | instskip(SKIP_1) | instid1(VALU_DEP_1)
	v_pk_fma_f32 v[104:105], v[98:99], v[88:89], v[102:103] op_sel:[0,0,1] op_sel_hi:[1,1,0] neg_lo:[0,0,1] neg_hi:[0,0,1]
	v_pk_fma_f32 v[98:99], v[98:99], v[88:89], v[102:103] op_sel:[0,0,1] op_sel_hi:[1,0,0]
	v_mov_b32_e32 v105, v99
	v_pk_mul_f32 v[98:99], v[100:101], v[90:91] op_sel:[0,1]
	s_delay_alu instid0(VALU_DEP_2) | instskip(NEXT) | instid1(VALU_DEP_2)
	v_pk_add_f32 v[36:37], v[36:37], v[104:105] neg_lo:[0,1] neg_hi:[0,1]
	v_pk_fma_f32 v[102:103], v[100:101], v[88:89], v[98:99] op_sel:[0,0,1] op_sel_hi:[1,1,0] neg_lo:[0,0,1] neg_hi:[0,0,1]
	v_pk_fma_f32 v[98:99], v[100:101], v[88:89], v[98:99] op_sel:[0,0,1] op_sel_hi:[1,0,0]
	s_delay_alu instid0(VALU_DEP_1) | instskip(SKIP_4) | instid1(VALU_DEP_1)
	v_mov_b32_e32 v103, v99
	ds_load_2addr_b64 v[98:101], v92 offset0:33 offset1:34
	v_pk_add_f32 v[14:15], v[14:15], v[102:103] neg_lo:[0,1] neg_hi:[0,1]
	s_wait_dscnt 0x0
	v_pk_mul_f32 v[102:103], v[98:99], v[90:91] op_sel:[0,1]
	v_pk_fma_f32 v[104:105], v[98:99], v[88:89], v[102:103] op_sel:[0,0,1] op_sel_hi:[1,1,0] neg_lo:[0,0,1] neg_hi:[0,0,1]
	v_pk_fma_f32 v[98:99], v[98:99], v[88:89], v[102:103] op_sel:[0,0,1] op_sel_hi:[1,0,0]
	v_dual_mul_f32 v102, v101, v91 :: v_dual_mov_b32 v98, v101
	s_delay_alu instid0(VALU_DEP_2) | instskip(NEXT) | instid1(VALU_DEP_2)
	v_dual_mov_b32 v105, v99 :: v_dual_mov_b32 v99, v100
	v_pk_fma_f32 v[102:103], v[100:101], v[32:33], v[102:103] op_sel_hi:[1,1,0] neg_lo:[0,0,1] neg_hi:[0,0,1]
	v_mul_f32_e32 v100, v101, v88
	s_delay_alu instid0(VALU_DEP_3) | instskip(NEXT) | instid1(VALU_DEP_2)
	v_pk_add_f32 v[10:11], v[10:11], v[104:105] neg_lo:[0,1] neg_hi:[0,1]
	v_pk_fma_f32 v[98:99], v[98:99], v[32:33], v[100:101] op_sel_hi:[1,1,0]
	s_delay_alu instid0(VALU_DEP_1) | instskip(SKIP_4) | instid1(VALU_DEP_1)
	v_mov_b32_e32 v103, v99
	ds_load_2addr_b64 v[98:101], v92 offset0:35 offset1:36
	v_pk_add_f32 v[12:13], v[12:13], v[102:103] neg_lo:[0,1] neg_hi:[0,1]
	s_wait_dscnt 0x0
	v_pk_mul_f32 v[102:103], v[98:99], v[90:91] op_sel:[0,1]
	v_pk_fma_f32 v[104:105], v[98:99], v[88:89], v[102:103] op_sel:[0,0,1] op_sel_hi:[1,1,0] neg_lo:[0,0,1] neg_hi:[0,0,1]
	v_pk_fma_f32 v[98:99], v[98:99], v[88:89], v[102:103] op_sel:[0,0,1] op_sel_hi:[1,0,0]
	s_delay_alu instid0(VALU_DEP_1) | instskip(SKIP_1) | instid1(VALU_DEP_1)
	v_mov_b32_e32 v105, v99
	v_pk_mul_f32 v[98:99], v[100:101], v[90:91] op_sel:[0,1]
	v_pk_fma_f32 v[102:103], v[100:101], v[88:89], v[98:99] op_sel:[0,0,1] op_sel_hi:[1,1,0] neg_lo:[0,0,1] neg_hi:[0,0,1]
	v_pk_fma_f32 v[98:99], v[100:101], v[88:89], v[98:99] op_sel:[0,0,1] op_sel_hi:[1,0,0]
	s_delay_alu instid0(VALU_DEP_1)
	v_mov_b32_e32 v103, v99
	ds_load_2addr_b64 v[98:101], v92 offset0:37 offset1:38
	v_pk_add_f32 v[8:9], v[8:9], v[104:105] neg_lo:[0,1] neg_hi:[0,1]
	v_pk_add_f32 v[6:7], v[6:7], v[102:103] neg_lo:[0,1] neg_hi:[0,1]
	s_wait_dscnt 0x0
	v_pk_mul_f32 v[102:103], v[98:99], v[90:91] op_sel:[0,1]
	s_delay_alu instid0(VALU_DEP_1) | instskip(SKIP_1) | instid1(VALU_DEP_1)
	v_pk_fma_f32 v[104:105], v[98:99], v[88:89], v[102:103] op_sel:[0,0,1] op_sel_hi:[1,1,0] neg_lo:[0,0,1] neg_hi:[0,0,1]
	v_pk_fma_f32 v[98:99], v[98:99], v[88:89], v[102:103] op_sel:[0,0,1] op_sel_hi:[1,0,0]
	v_mov_b32_e32 v105, v99
	v_pk_mul_f32 v[98:99], v[100:101], v[90:91] op_sel:[0,1]
	s_delay_alu instid0(VALU_DEP_1) | instskip(SKIP_1) | instid1(VALU_DEP_1)
	v_pk_fma_f32 v[102:103], v[100:101], v[88:89], v[98:99] op_sel:[0,0,1] op_sel_hi:[1,1,0] neg_lo:[0,0,1] neg_hi:[0,0,1]
	v_pk_fma_f32 v[98:99], v[100:101], v[88:89], v[98:99] op_sel:[0,0,1] op_sel_hi:[1,0,0]
	v_mov_b32_e32 v103, v99
	ds_load_2addr_b64 v[98:101], v92 offset0:39 offset1:40
	v_pk_add_f32 v[44:45], v[44:45], v[104:105] neg_lo:[0,1] neg_hi:[0,1]
	v_pk_add_f32 v[22:23], v[22:23], v[102:103] neg_lo:[0,1] neg_hi:[0,1]
	s_wait_dscnt 0x0
	v_mul_f32_e32 v90, v99, v91
	s_delay_alu instid0(VALU_DEP_1) | instskip(SKIP_1) | instid1(VALU_DEP_1)
	v_pk_fma_f32 v[102:103], v[98:99], v[32:33], v[90:91] op_sel_hi:[1,1,0] neg_lo:[0,0,1] neg_hi:[0,0,1]
	v_dual_mul_f32 v90, v99, v88 :: v_dual_mul_f32 v88, v101, v88
	v_pk_fma_f32 v[98:99], v[98:99], v[32:33], v[90:91] op_sel:[1,0,0] op_sel_hi:[0,1,0]
	v_dual_mov_b32 v98, v101 :: v_dual_mul_f32 v90, v101, v91
	s_delay_alu instid0(VALU_DEP_2) | instskip(NEXT) | instid1(VALU_DEP_2)
	v_dual_mov_b32 v103, v99 :: v_dual_mov_b32 v99, v100
	v_pk_fma_f32 v[90:91], v[100:101], v[32:33], v[90:91] op_sel_hi:[1,1,0] neg_lo:[0,0,1] neg_hi:[0,0,1]
	s_delay_alu instid0(VALU_DEP_2) | instskip(NEXT) | instid1(VALU_DEP_3)
	v_pk_add_f32 v[16:17], v[16:17], v[102:103] neg_lo:[0,1] neg_hi:[0,1]
	v_pk_fma_f32 v[88:89], v[98:99], v[32:33], v[88:89] op_sel_hi:[1,1,0]
	s_delay_alu instid0(VALU_DEP_1) | instskip(NEXT) | instid1(VALU_DEP_1)
	v_mov_b32_e32 v91, v89
	v_pk_add_f32 v[86:87], v[86:87], v[90:91] neg_lo:[0,1] neg_hi:[0,1]
.LBB80_230:
	s_or_b32 exec_lo, exec_lo, s0
	v_lshl_add_u32 v88, v96, 3, v92
	s_barrier_signal -1
	s_barrier_wait -1
	ds_store_b64 v88, v[28:29]
	s_wait_dscnt 0x0
	s_barrier_signal -1
	s_barrier_wait -1
	ds_load_b64 v[90:91], v92 offset:88
	v_mov_b32_e32 v88, 11
	s_cmp_lt_i32 s18, 13
	s_cbranch_scc1 .LBB80_233
; %bb.231:
	v_add3_u32 v89, v93, 0, 0x60
	v_mov_b32_e32 v88, 11
	s_mov_b32 s0, 12
.LBB80_232:                             ; =>This Inner Loop Header: Depth=1
	ds_load_b64 v[98:99], v89
	s_wait_dscnt 0x1
	v_cmp_gt_f32_e32 vcc_lo, 0, v90
	v_cndmask_b32_e64 v100, v90, -v90, vcc_lo
	v_cmp_gt_f32_e32 vcc_lo, 0, v91
	v_cndmask_b32_e64 v102, v91, -v91, vcc_lo
	s_wait_dscnt 0x0
	v_cmp_gt_f32_e32 vcc_lo, 0, v98
	v_cndmask_b32_e64 v101, v98, -v98, vcc_lo
	v_cmp_gt_f32_e32 vcc_lo, 0, v99
	v_cndmask_b32_e64 v103, v99, -v99, vcc_lo
	s_delay_alu instid0(VALU_DEP_1) | instskip(NEXT) | instid1(VALU_DEP_1)
	v_pk_add_f32 v[100:101], v[100:101], v[102:103]
	v_cmp_lt_f32_e32 vcc_lo, v100, v101
	v_dual_add_nc_u32 v89, 8, v89 :: v_dual_cndmask_b32 v91, v91, v99, vcc_lo
	v_cndmask_b32_e32 v90, v90, v98, vcc_lo
	v_cndmask_b32_e64 v88, v88, s0, vcc_lo
	s_add_co_i32 s0, s0, 1
	s_delay_alu instid0(SALU_CYCLE_1)
	s_cmp_lg_u32 s18, s0
	s_cbranch_scc1 .LBB80_232
.LBB80_233:
	s_wait_dscnt 0x0
	v_cmp_eq_f32_e32 vcc_lo, 0, v90
	v_cmp_eq_f32_e64 s0, 0, v91
	s_and_b32 s0, vcc_lo, s0
	s_delay_alu instid0(SALU_CYCLE_1) | instskip(NEXT) | instid1(SALU_CYCLE_1)
	s_and_saveexec_b32 s1, s0
	s_xor_b32 s0, exec_lo, s1
; %bb.234:
	v_cmp_ne_u32_e32 vcc_lo, 0, v94
	v_cndmask_b32_e32 v94, 12, v94, vcc_lo
; %bb.235:
	s_and_not1_saveexec_b32 s0, s0
	s_cbranch_execz .LBB80_241
; %bb.236:
	v_cmp_ngt_f32_e64 s1, |v90|, |v91|
	s_and_saveexec_b32 s12, s1
	s_delay_alu instid0(SALU_CYCLE_1)
	s_xor_b32 s1, exec_lo, s12
	s_cbranch_execz .LBB80_238
; %bb.237:
	v_div_scale_f32 v89, null, v91, v91, v90
	v_div_scale_f32 v99, vcc_lo, v90, v91, v90
	s_delay_alu instid0(VALU_DEP_2) | instskip(SKIP_1) | instid1(TRANS32_DEP_1)
	v_rcp_f32_e32 v97, v89
	v_nop
	v_fma_f32 v98, -v89, v97, 1.0
	s_delay_alu instid0(VALU_DEP_1) | instskip(NEXT) | instid1(VALU_DEP_1)
	v_fmac_f32_e32 v97, v98, v97
	v_mul_f32_e32 v98, v99, v97
	s_delay_alu instid0(VALU_DEP_1) | instskip(NEXT) | instid1(VALU_DEP_1)
	v_fma_f32 v100, -v89, v98, v99
	v_fmac_f32_e32 v98, v100, v97
	s_delay_alu instid0(VALU_DEP_1) | instskip(NEXT) | instid1(VALU_DEP_1)
	v_fma_f32 v89, -v89, v98, v99
	v_div_fmas_f32 v89, v89, v97, v98
	s_delay_alu instid0(VALU_DEP_1) | instskip(NEXT) | instid1(VALU_DEP_1)
	v_div_fixup_f32 v89, v89, v91, v90
	v_fmac_f32_e32 v91, v90, v89
	s_delay_alu instid0(VALU_DEP_1) | instskip(SKIP_1) | instid1(VALU_DEP_2)
	v_div_scale_f32 v90, null, v91, v91, 1.0
	v_div_scale_f32 v99, vcc_lo, 1.0, v91, 1.0
	v_rcp_f32_e32 v97, v90
	v_nop
	s_delay_alu instid0(TRANS32_DEP_1) | instskip(NEXT) | instid1(VALU_DEP_1)
	v_fma_f32 v98, -v90, v97, 1.0
	v_fmac_f32_e32 v97, v98, v97
	s_delay_alu instid0(VALU_DEP_1) | instskip(NEXT) | instid1(VALU_DEP_1)
	v_mul_f32_e32 v98, v99, v97
	v_fma_f32 v100, -v90, v98, v99
	s_delay_alu instid0(VALU_DEP_1) | instskip(NEXT) | instid1(VALU_DEP_1)
	v_fmac_f32_e32 v98, v100, v97
	v_fma_f32 v90, -v90, v98, v99
	s_delay_alu instid0(VALU_DEP_1) | instskip(NEXT) | instid1(VALU_DEP_1)
	v_div_fmas_f32 v90, v90, v97, v98
	v_div_fixup_f32 v91, v90, v91, 1.0
	s_delay_alu instid0(VALU_DEP_1)
	v_mul_f32_e32 v90, v89, v91
	v_xor_b32_e32 v91, 0x80000000, v91
.LBB80_238:
	s_and_not1_saveexec_b32 s1, s1
	s_cbranch_execz .LBB80_240
; %bb.239:
	s_delay_alu instid0(VALU_DEP_1) | instskip(SKIP_1) | instid1(VALU_DEP_2)
	v_div_scale_f32 v89, null, v90, v90, v91
	v_div_scale_f32 v99, vcc_lo, v91, v90, v91
	v_rcp_f32_e32 v97, v89
	v_nop
	s_delay_alu instid0(TRANS32_DEP_1) | instskip(NEXT) | instid1(VALU_DEP_1)
	v_fma_f32 v98, -v89, v97, 1.0
	v_fmac_f32_e32 v97, v98, v97
	s_delay_alu instid0(VALU_DEP_1) | instskip(NEXT) | instid1(VALU_DEP_1)
	v_mul_f32_e32 v98, v99, v97
	v_fma_f32 v100, -v89, v98, v99
	s_delay_alu instid0(VALU_DEP_1) | instskip(NEXT) | instid1(VALU_DEP_1)
	v_fmac_f32_e32 v98, v100, v97
	v_fma_f32 v89, -v89, v98, v99
	s_delay_alu instid0(VALU_DEP_1) | instskip(NEXT) | instid1(VALU_DEP_1)
	v_div_fmas_f32 v89, v89, v97, v98
	v_div_fixup_f32 v89, v89, v90, v91
	s_delay_alu instid0(VALU_DEP_1) | instskip(NEXT) | instid1(VALU_DEP_1)
	v_fmac_f32_e32 v90, v91, v89
	v_div_scale_f32 v91, null, v90, v90, 1.0
	s_delay_alu instid0(VALU_DEP_1) | instskip(SKIP_1) | instid1(TRANS32_DEP_1)
	v_rcp_f32_e32 v97, v91
	v_nop
	v_fma_f32 v98, -v91, v97, 1.0
	s_delay_alu instid0(VALU_DEP_1) | instskip(SKIP_1) | instid1(VALU_DEP_1)
	v_fmac_f32_e32 v97, v98, v97
	v_div_scale_f32 v98, vcc_lo, 1.0, v90, 1.0
	v_mul_f32_e32 v99, v98, v97
	s_delay_alu instid0(VALU_DEP_1) | instskip(NEXT) | instid1(VALU_DEP_1)
	v_fma_f32 v100, -v91, v99, v98
	v_fmac_f32_e32 v99, v100, v97
	s_delay_alu instid0(VALU_DEP_1) | instskip(NEXT) | instid1(VALU_DEP_1)
	v_fma_f32 v91, -v91, v99, v98
	v_div_fmas_f32 v91, v91, v97, v99
	s_delay_alu instid0(VALU_DEP_1) | instskip(NEXT) | instid1(VALU_DEP_1)
	v_div_fixup_f32 v90, v91, v90, 1.0
	v_mul_f32_e64 v91, v89, -v90
.LBB80_240:
	s_or_b32 exec_lo, exec_lo, s1
.LBB80_241:
	s_delay_alu instid0(SALU_CYCLE_1) | instskip(NEXT) | instid1(SALU_CYCLE_1)
	s_or_b32 exec_lo, exec_lo, s0
	s_mov_b32 s0, exec_lo
	v_cmpx_ne_u32_e64 v96, v88
	s_xor_b32 s0, exec_lo, s0
	s_cbranch_execz .LBB80_247
; %bb.242:
	s_mov_b32 s1, exec_lo
	v_cmpx_eq_u32_e32 11, v96
	s_cbranch_execz .LBB80_246
; %bb.243:
	v_cmp_ne_u32_e32 vcc_lo, 11, v88
	s_xor_b32 s12, s16, -1
	s_delay_alu instid0(SALU_CYCLE_1) | instskip(NEXT) | instid1(SALU_CYCLE_1)
	s_and_b32 s13, s12, vcc_lo
	s_and_saveexec_b32 s12, s13
	s_cbranch_execz .LBB80_245
; %bb.244:
	v_ashrrev_i32_e32 v89, 31, v88
	s_delay_alu instid0(VALU_DEP_1)
	v_lshl_add_u64 v[96:97], v[88:89], 2, v[4:5]
	s_clause 0x1
	global_load_b32 v89, v[96:97], off
	global_load_b32 v95, v[4:5], off offset:44
	s_wait_loadcnt 0x1
	global_store_b32 v[4:5], v89, off offset:44
	s_wait_loadcnt 0x0
	global_store_b32 v[96:97], v95, off
.LBB80_245:
	s_wait_xcnt 0x0
	s_or_b32 exec_lo, exec_lo, s12
	v_dual_mov_b32 v96, v88 :: v_dual_mov_b32 v95, v88
.LBB80_246:
	s_or_b32 exec_lo, exec_lo, s1
.LBB80_247:
	s_and_not1_saveexec_b32 s0, s0
	s_cbranch_execz .LBB80_249
; %bb.248:
	v_dual_mov_b32 v88, v76 :: v_dual_mov_b32 v89, v77
	v_dual_mov_b32 v96, v72 :: v_dual_mov_b32 v97, v73
	ds_store_2addr_b64 v92, v[88:89], v[96:97] offset0:12 offset1:13
	v_dual_mov_b32 v88, v74 :: v_dual_mov_b32 v89, v75
	v_dual_mov_b32 v96, v70 :: v_dual_mov_b32 v97, v71
	ds_store_2addr_b64 v92, v[88:89], v[96:97] offset0:14 offset1:15
	;; [unrolled: 3-line block ×14, first 2 shown]
	ds_store_b64 v92, v[86:87] offset:320
	v_mov_b32_e32 v96, 11
.LBB80_249:
	s_or_b32 exec_lo, exec_lo, s0
	s_delay_alu instid0(SALU_CYCLE_1)
	s_mov_b32 s0, exec_lo
	s_wait_storecnt_dscnt 0x0
	s_barrier_signal -1
	s_barrier_wait -1
	v_cmpx_lt_i32_e32 11, v96
	s_cbranch_execz .LBB80_251
; %bb.250:
	v_pk_mul_f32 v[98:99], v[90:91], v[28:29] op_sel:[1,1] op_sel_hi:[0,1]
	s_delay_alu instid0(VALU_DEP_1)
	v_pk_fma_f32 v[88:89], v[90:91], v[28:29], v[98:99] op_sel_hi:[1,0,1] neg_lo:[0,0,1] neg_hi:[0,0,1]
	v_pk_fma_f32 v[90:91], v[90:91], v[28:29], v[98:99] op_sel_hi:[1,0,1]
	ds_load_2addr_b64 v[98:101], v92 offset0:12 offset1:13
	v_dual_mov_b32 v28, v88 :: v_dual_mov_b32 v29, v91
	s_wait_dscnt 0x0
	v_pk_mul_f32 v[102:103], v[98:99], v[90:91] op_sel:[0,1]
	s_delay_alu instid0(VALU_DEP_1) | instskip(SKIP_1) | instid1(VALU_DEP_1)
	v_pk_fma_f32 v[104:105], v[98:99], v[88:89], v[102:103] op_sel:[0,0,1] op_sel_hi:[1,1,0] neg_lo:[0,0,1] neg_hi:[0,0,1]
	v_pk_fma_f32 v[98:99], v[98:99], v[88:89], v[102:103] op_sel:[0,0,1] op_sel_hi:[1,0,0]
	v_mov_b32_e32 v105, v99
	v_pk_mul_f32 v[98:99], v[100:101], v[90:91] op_sel:[0,1]
	s_delay_alu instid0(VALU_DEP_1) | instskip(SKIP_1) | instid1(VALU_DEP_1)
	v_pk_fma_f32 v[102:103], v[100:101], v[88:89], v[98:99] op_sel:[0,0,1] op_sel_hi:[1,1,0] neg_lo:[0,0,1] neg_hi:[0,0,1]
	v_pk_fma_f32 v[98:99], v[100:101], v[88:89], v[98:99] op_sel:[0,0,1] op_sel_hi:[1,0,0]
	v_mov_b32_e32 v103, v99
	ds_load_2addr_b64 v[98:101], v92 offset0:14 offset1:15
	v_pk_add_f32 v[76:77], v[76:77], v[104:105] neg_lo:[0,1] neg_hi:[0,1]
	v_pk_add_f32 v[72:73], v[72:73], v[102:103] neg_lo:[0,1] neg_hi:[0,1]
	s_wait_dscnt 0x0
	v_pk_mul_f32 v[102:103], v[98:99], v[90:91] op_sel:[0,1]
	s_delay_alu instid0(VALU_DEP_1) | instskip(SKIP_2) | instid1(VALU_DEP_2)
	v_pk_fma_f32 v[104:105], v[98:99], v[88:89], v[102:103] op_sel:[0,0,1] op_sel_hi:[1,1,0] neg_lo:[0,0,1] neg_hi:[0,0,1]
	v_pk_fma_f32 v[98:99], v[98:99], v[88:89], v[102:103] op_sel:[0,0,1] op_sel_hi:[1,0,0]
	v_dual_mul_f32 v102, v101, v91 :: v_dual_mov_b32 v98, v101
	v_dual_mov_b32 v105, v99 :: v_dual_mov_b32 v99, v100
	s_delay_alu instid0(VALU_DEP_2) | instskip(SKIP_1) | instid1(VALU_DEP_3)
	v_pk_fma_f32 v[102:103], v[100:101], v[28:29], v[102:103] op_sel_hi:[1,1,0] neg_lo:[0,0,1] neg_hi:[0,0,1]
	v_mul_f32_e32 v100, v101, v88
	v_pk_add_f32 v[74:75], v[74:75], v[104:105] neg_lo:[0,1] neg_hi:[0,1]
	s_delay_alu instid0(VALU_DEP_2) | instskip(NEXT) | instid1(VALU_DEP_1)
	v_pk_fma_f32 v[98:99], v[98:99], v[28:29], v[100:101] op_sel_hi:[1,1,0]
	v_mov_b32_e32 v103, v99
	ds_load_2addr_b64 v[98:101], v92 offset0:16 offset1:17
	v_pk_add_f32 v[70:71], v[70:71], v[102:103] neg_lo:[0,1] neg_hi:[0,1]
	s_wait_dscnt 0x0
	v_pk_mul_f32 v[102:103], v[98:99], v[90:91] op_sel:[0,1]
	s_delay_alu instid0(VALU_DEP_1) | instskip(SKIP_1) | instid1(VALU_DEP_1)
	v_pk_fma_f32 v[104:105], v[98:99], v[88:89], v[102:103] op_sel:[0,0,1] op_sel_hi:[1,1,0] neg_lo:[0,0,1] neg_hi:[0,0,1]
	v_pk_fma_f32 v[98:99], v[98:99], v[88:89], v[102:103] op_sel:[0,0,1] op_sel_hi:[1,0,0]
	v_mov_b32_e32 v105, v99
	v_pk_mul_f32 v[98:99], v[100:101], v[90:91] op_sel:[0,1]
	s_delay_alu instid0(VALU_DEP_1) | instskip(SKIP_1) | instid1(VALU_DEP_1)
	v_pk_fma_f32 v[102:103], v[100:101], v[88:89], v[98:99] op_sel:[0,0,1] op_sel_hi:[1,1,0] neg_lo:[0,0,1] neg_hi:[0,0,1]
	v_pk_fma_f32 v[98:99], v[100:101], v[88:89], v[98:99] op_sel:[0,0,1] op_sel_hi:[1,0,0]
	v_mov_b32_e32 v103, v99
	ds_load_2addr_b64 v[98:101], v92 offset0:18 offset1:19
	v_pk_add_f32 v[68:69], v[68:69], v[104:105] neg_lo:[0,1] neg_hi:[0,1]
	v_pk_add_f32 v[64:65], v[64:65], v[102:103] neg_lo:[0,1] neg_hi:[0,1]
	s_wait_dscnt 0x0
	v_pk_mul_f32 v[102:103], v[98:99], v[90:91] op_sel:[0,1]
	s_delay_alu instid0(VALU_DEP_1) | instskip(SKIP_1) | instid1(VALU_DEP_1)
	v_pk_fma_f32 v[104:105], v[98:99], v[88:89], v[102:103] op_sel:[0,0,1] op_sel_hi:[1,1,0] neg_lo:[0,0,1] neg_hi:[0,0,1]
	v_pk_fma_f32 v[98:99], v[98:99], v[88:89], v[102:103] op_sel:[0,0,1] op_sel_hi:[1,0,0]
	v_mov_b32_e32 v105, v99
	v_pk_mul_f32 v[98:99], v[100:101], v[90:91] op_sel:[0,1]
	s_delay_alu instid0(VALU_DEP_1) | instskip(SKIP_1) | instid1(VALU_DEP_1)
	v_pk_fma_f32 v[102:103], v[100:101], v[88:89], v[98:99] op_sel:[0,0,1] op_sel_hi:[1,1,0] neg_lo:[0,0,1] neg_hi:[0,0,1]
	v_pk_fma_f32 v[98:99], v[100:101], v[88:89], v[98:99] op_sel:[0,0,1] op_sel_hi:[1,0,0]
	v_mov_b32_e32 v103, v99
	ds_load_2addr_b64 v[98:101], v92 offset0:20 offset1:21
	v_pk_add_f32 v[66:67], v[66:67], v[104:105] neg_lo:[0,1] neg_hi:[0,1]
	v_pk_add_f32 v[62:63], v[62:63], v[102:103] neg_lo:[0,1] neg_hi:[0,1]
	s_wait_dscnt 0x0
	v_dual_mul_f32 v102, v99, v91 :: v_dual_mul_f32 v104, v99, v88
	s_delay_alu instid0(VALU_DEP_1) | instskip(NEXT) | instid1(VALU_DEP_2)
	v_pk_fma_f32 v[102:103], v[98:99], v[28:29], v[102:103] op_sel_hi:[1,1,0] neg_lo:[0,0,1] neg_hi:[0,0,1]
	v_pk_fma_f32 v[98:99], v[98:99], v[28:29], v[104:105] op_sel:[1,0,0] op_sel_hi:[0,1,0]
	s_delay_alu instid0(VALU_DEP_1) | instskip(SKIP_1) | instid1(VALU_DEP_2)
	v_mov_b32_e32 v103, v99
	v_pk_mul_f32 v[98:99], v[100:101], v[90:91] op_sel:[0,1]
	v_pk_add_f32 v[60:61], v[60:61], v[102:103] neg_lo:[0,1] neg_hi:[0,1]
	s_delay_alu instid0(VALU_DEP_2) | instskip(SKIP_1) | instid1(VALU_DEP_1)
	v_pk_fma_f32 v[102:103], v[100:101], v[88:89], v[98:99] op_sel:[0,0,1] op_sel_hi:[1,1,0] neg_lo:[0,0,1] neg_hi:[0,0,1]
	v_pk_fma_f32 v[98:99], v[100:101], v[88:89], v[98:99] op_sel:[0,0,1] op_sel_hi:[1,0,0]
	v_mov_b32_e32 v103, v99
	ds_load_2addr_b64 v[98:101], v92 offset0:22 offset1:23
	v_pk_add_f32 v[56:57], v[56:57], v[102:103] neg_lo:[0,1] neg_hi:[0,1]
	s_wait_dscnt 0x0
	v_pk_mul_f32 v[102:103], v[98:99], v[90:91] op_sel:[0,1]
	s_delay_alu instid0(VALU_DEP_1) | instskip(SKIP_1) | instid1(VALU_DEP_1)
	v_pk_fma_f32 v[104:105], v[98:99], v[88:89], v[102:103] op_sel:[0,0,1] op_sel_hi:[1,1,0] neg_lo:[0,0,1] neg_hi:[0,0,1]
	v_pk_fma_f32 v[98:99], v[98:99], v[88:89], v[102:103] op_sel:[0,0,1] op_sel_hi:[1,0,0]
	v_mov_b32_e32 v105, v99
	v_pk_mul_f32 v[98:99], v[100:101], v[90:91] op_sel:[0,1]
	s_delay_alu instid0(VALU_DEP_2) | instskip(NEXT) | instid1(VALU_DEP_2)
	v_pk_add_f32 v[58:59], v[58:59], v[104:105] neg_lo:[0,1] neg_hi:[0,1]
	v_pk_fma_f32 v[102:103], v[100:101], v[88:89], v[98:99] op_sel:[0,0,1] op_sel_hi:[1,1,0] neg_lo:[0,0,1] neg_hi:[0,0,1]
	v_pk_fma_f32 v[98:99], v[100:101], v[88:89], v[98:99] op_sel:[0,0,1] op_sel_hi:[1,0,0]
	s_delay_alu instid0(VALU_DEP_1) | instskip(SKIP_4) | instid1(VALU_DEP_1)
	v_mov_b32_e32 v103, v99
	ds_load_2addr_b64 v[98:101], v92 offset0:24 offset1:25
	v_pk_add_f32 v[54:55], v[54:55], v[102:103] neg_lo:[0,1] neg_hi:[0,1]
	s_wait_dscnt 0x0
	v_pk_mul_f32 v[102:103], v[98:99], v[90:91] op_sel:[0,1]
	v_pk_fma_f32 v[104:105], v[98:99], v[88:89], v[102:103] op_sel:[0,0,1] op_sel_hi:[1,1,0] neg_lo:[0,0,1] neg_hi:[0,0,1]
	v_pk_fma_f32 v[98:99], v[98:99], v[88:89], v[102:103] op_sel:[0,0,1] op_sel_hi:[1,0,0]
	v_dual_mul_f32 v102, v101, v91 :: v_dual_mov_b32 v98, v101
	s_delay_alu instid0(VALU_DEP_2) | instskip(NEXT) | instid1(VALU_DEP_2)
	v_dual_mov_b32 v105, v99 :: v_dual_mov_b32 v99, v100
	v_pk_fma_f32 v[102:103], v[100:101], v[28:29], v[102:103] op_sel_hi:[1,1,0] neg_lo:[0,0,1] neg_hi:[0,0,1]
	v_mul_f32_e32 v100, v101, v88
	s_delay_alu instid0(VALU_DEP_3) | instskip(NEXT) | instid1(VALU_DEP_2)
	v_pk_add_f32 v[52:53], v[52:53], v[104:105] neg_lo:[0,1] neg_hi:[0,1]
	v_pk_fma_f32 v[98:99], v[98:99], v[28:29], v[100:101] op_sel_hi:[1,1,0]
	s_delay_alu instid0(VALU_DEP_1) | instskip(SKIP_4) | instid1(VALU_DEP_1)
	v_mov_b32_e32 v103, v99
	ds_load_2addr_b64 v[98:101], v92 offset0:26 offset1:27
	v_pk_add_f32 v[48:49], v[48:49], v[102:103] neg_lo:[0,1] neg_hi:[0,1]
	s_wait_dscnt 0x0
	v_pk_mul_f32 v[102:103], v[98:99], v[90:91] op_sel:[0,1]
	v_pk_fma_f32 v[104:105], v[98:99], v[88:89], v[102:103] op_sel:[0,0,1] op_sel_hi:[1,1,0] neg_lo:[0,0,1] neg_hi:[0,0,1]
	v_pk_fma_f32 v[98:99], v[98:99], v[88:89], v[102:103] op_sel:[0,0,1] op_sel_hi:[1,0,0]
	s_delay_alu instid0(VALU_DEP_1) | instskip(SKIP_1) | instid1(VALU_DEP_1)
	v_mov_b32_e32 v105, v99
	v_pk_mul_f32 v[98:99], v[100:101], v[90:91] op_sel:[0,1]
	v_pk_fma_f32 v[102:103], v[100:101], v[88:89], v[98:99] op_sel:[0,0,1] op_sel_hi:[1,1,0] neg_lo:[0,0,1] neg_hi:[0,0,1]
	v_pk_fma_f32 v[98:99], v[100:101], v[88:89], v[98:99] op_sel:[0,0,1] op_sel_hi:[1,0,0]
	s_delay_alu instid0(VALU_DEP_1)
	v_mov_b32_e32 v103, v99
	ds_load_2addr_b64 v[98:101], v92 offset0:28 offset1:29
	v_pk_add_f32 v[50:51], v[50:51], v[104:105] neg_lo:[0,1] neg_hi:[0,1]
	v_pk_add_f32 v[46:47], v[46:47], v[102:103] neg_lo:[0,1] neg_hi:[0,1]
	s_wait_dscnt 0x0
	v_pk_mul_f32 v[102:103], v[98:99], v[90:91] op_sel:[0,1]
	s_delay_alu instid0(VALU_DEP_1) | instskip(SKIP_1) | instid1(VALU_DEP_1)
	v_pk_fma_f32 v[104:105], v[98:99], v[88:89], v[102:103] op_sel:[0,0,1] op_sel_hi:[1,1,0] neg_lo:[0,0,1] neg_hi:[0,0,1]
	v_pk_fma_f32 v[98:99], v[98:99], v[88:89], v[102:103] op_sel:[0,0,1] op_sel_hi:[1,0,0]
	v_mov_b32_e32 v105, v99
	v_pk_mul_f32 v[98:99], v[100:101], v[90:91] op_sel:[0,1]
	s_delay_alu instid0(VALU_DEP_1) | instskip(SKIP_1) | instid1(VALU_DEP_1)
	v_pk_fma_f32 v[102:103], v[100:101], v[88:89], v[98:99] op_sel:[0,0,1] op_sel_hi:[1,1,0] neg_lo:[0,0,1] neg_hi:[0,0,1]
	v_pk_fma_f32 v[98:99], v[100:101], v[88:89], v[98:99] op_sel:[0,0,1] op_sel_hi:[1,0,0]
	v_mov_b32_e32 v103, v99
	ds_load_2addr_b64 v[98:101], v92 offset0:30 offset1:31
	v_pk_add_f32 v[42:43], v[42:43], v[104:105] neg_lo:[0,1] neg_hi:[0,1]
	v_pk_add_f32 v[38:39], v[38:39], v[102:103] neg_lo:[0,1] neg_hi:[0,1]
	s_wait_dscnt 0x0
	v_dual_mul_f32 v102, v99, v91 :: v_dual_mul_f32 v104, v99, v88
	s_delay_alu instid0(VALU_DEP_1) | instskip(NEXT) | instid1(VALU_DEP_2)
	v_pk_fma_f32 v[102:103], v[98:99], v[28:29], v[102:103] op_sel_hi:[1,1,0] neg_lo:[0,0,1] neg_hi:[0,0,1]
	v_pk_fma_f32 v[98:99], v[98:99], v[28:29], v[104:105] op_sel:[1,0,0] op_sel_hi:[0,1,0]
	s_delay_alu instid0(VALU_DEP_1) | instskip(SKIP_1) | instid1(VALU_DEP_2)
	v_mov_b32_e32 v103, v99
	v_pk_mul_f32 v[98:99], v[100:101], v[90:91] op_sel:[0,1]
	v_pk_add_f32 v[40:41], v[40:41], v[102:103] neg_lo:[0,1] neg_hi:[0,1]
	s_delay_alu instid0(VALU_DEP_2) | instskip(SKIP_1) | instid1(VALU_DEP_1)
	v_pk_fma_f32 v[102:103], v[100:101], v[88:89], v[98:99] op_sel:[0,0,1] op_sel_hi:[1,1,0] neg_lo:[0,0,1] neg_hi:[0,0,1]
	v_pk_fma_f32 v[98:99], v[100:101], v[88:89], v[98:99] op_sel:[0,0,1] op_sel_hi:[1,0,0]
	v_mov_b32_e32 v103, v99
	ds_load_2addr_b64 v[98:101], v92 offset0:32 offset1:33
	v_pk_add_f32 v[36:37], v[36:37], v[102:103] neg_lo:[0,1] neg_hi:[0,1]
	s_wait_dscnt 0x0
	v_pk_mul_f32 v[102:103], v[98:99], v[90:91] op_sel:[0,1]
	s_delay_alu instid0(VALU_DEP_1) | instskip(SKIP_1) | instid1(VALU_DEP_1)
	v_pk_fma_f32 v[104:105], v[98:99], v[88:89], v[102:103] op_sel:[0,0,1] op_sel_hi:[1,1,0] neg_lo:[0,0,1] neg_hi:[0,0,1]
	v_pk_fma_f32 v[98:99], v[98:99], v[88:89], v[102:103] op_sel:[0,0,1] op_sel_hi:[1,0,0]
	v_mov_b32_e32 v105, v99
	v_pk_mul_f32 v[98:99], v[100:101], v[90:91] op_sel:[0,1]
	s_delay_alu instid0(VALU_DEP_2) | instskip(NEXT) | instid1(VALU_DEP_2)
	v_pk_add_f32 v[14:15], v[14:15], v[104:105] neg_lo:[0,1] neg_hi:[0,1]
	v_pk_fma_f32 v[102:103], v[100:101], v[88:89], v[98:99] op_sel:[0,0,1] op_sel_hi:[1,1,0] neg_lo:[0,0,1] neg_hi:[0,0,1]
	v_pk_fma_f32 v[98:99], v[100:101], v[88:89], v[98:99] op_sel:[0,0,1] op_sel_hi:[1,0,0]
	s_delay_alu instid0(VALU_DEP_1) | instskip(SKIP_4) | instid1(VALU_DEP_1)
	v_mov_b32_e32 v103, v99
	ds_load_2addr_b64 v[98:101], v92 offset0:34 offset1:35
	v_pk_add_f32 v[10:11], v[10:11], v[102:103] neg_lo:[0,1] neg_hi:[0,1]
	s_wait_dscnt 0x0
	v_pk_mul_f32 v[102:103], v[98:99], v[90:91] op_sel:[0,1]
	v_pk_fma_f32 v[104:105], v[98:99], v[88:89], v[102:103] op_sel:[0,0,1] op_sel_hi:[1,1,0] neg_lo:[0,0,1] neg_hi:[0,0,1]
	v_pk_fma_f32 v[98:99], v[98:99], v[88:89], v[102:103] op_sel:[0,0,1] op_sel_hi:[1,0,0]
	v_dual_mul_f32 v102, v101, v91 :: v_dual_mov_b32 v98, v101
	s_delay_alu instid0(VALU_DEP_2) | instskip(NEXT) | instid1(VALU_DEP_2)
	v_dual_mov_b32 v105, v99 :: v_dual_mov_b32 v99, v100
	v_pk_fma_f32 v[102:103], v[100:101], v[28:29], v[102:103] op_sel_hi:[1,1,0] neg_lo:[0,0,1] neg_hi:[0,0,1]
	v_mul_f32_e32 v100, v101, v88
	s_delay_alu instid0(VALU_DEP_3) | instskip(NEXT) | instid1(VALU_DEP_2)
	v_pk_add_f32 v[12:13], v[12:13], v[104:105] neg_lo:[0,1] neg_hi:[0,1]
	v_pk_fma_f32 v[98:99], v[98:99], v[28:29], v[100:101] op_sel_hi:[1,1,0]
	s_delay_alu instid0(VALU_DEP_1) | instskip(SKIP_4) | instid1(VALU_DEP_1)
	v_mov_b32_e32 v103, v99
	ds_load_2addr_b64 v[98:101], v92 offset0:36 offset1:37
	v_pk_add_f32 v[8:9], v[8:9], v[102:103] neg_lo:[0,1] neg_hi:[0,1]
	s_wait_dscnt 0x0
	v_pk_mul_f32 v[102:103], v[98:99], v[90:91] op_sel:[0,1]
	v_pk_fma_f32 v[104:105], v[98:99], v[88:89], v[102:103] op_sel:[0,0,1] op_sel_hi:[1,1,0] neg_lo:[0,0,1] neg_hi:[0,0,1]
	v_pk_fma_f32 v[98:99], v[98:99], v[88:89], v[102:103] op_sel:[0,0,1] op_sel_hi:[1,0,0]
	s_delay_alu instid0(VALU_DEP_1) | instskip(SKIP_1) | instid1(VALU_DEP_1)
	v_mov_b32_e32 v105, v99
	v_pk_mul_f32 v[98:99], v[100:101], v[90:91] op_sel:[0,1]
	v_pk_fma_f32 v[102:103], v[100:101], v[88:89], v[98:99] op_sel:[0,0,1] op_sel_hi:[1,1,0] neg_lo:[0,0,1] neg_hi:[0,0,1]
	v_pk_fma_f32 v[98:99], v[100:101], v[88:89], v[98:99] op_sel:[0,0,1] op_sel_hi:[1,0,0]
	s_delay_alu instid0(VALU_DEP_1)
	v_mov_b32_e32 v103, v99
	ds_load_2addr_b64 v[98:101], v92 offset0:38 offset1:39
	v_pk_add_f32 v[6:7], v[6:7], v[104:105] neg_lo:[0,1] neg_hi:[0,1]
	v_pk_add_f32 v[44:45], v[44:45], v[102:103] neg_lo:[0,1] neg_hi:[0,1]
	s_wait_dscnt 0x0
	v_pk_mul_f32 v[102:103], v[98:99], v[90:91] op_sel:[0,1]
	s_delay_alu instid0(VALU_DEP_1) | instskip(SKIP_1) | instid1(VALU_DEP_1)
	v_pk_fma_f32 v[104:105], v[98:99], v[88:89], v[102:103] op_sel:[0,0,1] op_sel_hi:[1,1,0] neg_lo:[0,0,1] neg_hi:[0,0,1]
	v_pk_fma_f32 v[98:99], v[98:99], v[88:89], v[102:103] op_sel:[0,0,1] op_sel_hi:[1,0,0]
	v_mov_b32_e32 v105, v99
	v_pk_mul_f32 v[98:99], v[100:101], v[90:91] op_sel:[0,1]
	s_delay_alu instid0(VALU_DEP_1) | instskip(SKIP_1) | instid1(VALU_DEP_1)
	v_pk_fma_f32 v[102:103], v[100:101], v[88:89], v[98:99] op_sel:[0,0,1] op_sel_hi:[1,1,0] neg_lo:[0,0,1] neg_hi:[0,0,1]
	v_pk_fma_f32 v[98:99], v[100:101], v[88:89], v[98:99] op_sel:[0,0,1] op_sel_hi:[1,0,0]
	v_mov_b32_e32 v103, v99
	ds_load_b64 v[98:99], v92 offset:320
	v_pk_add_f32 v[22:23], v[22:23], v[104:105] neg_lo:[0,1] neg_hi:[0,1]
	v_pk_add_f32 v[16:17], v[16:17], v[102:103] neg_lo:[0,1] neg_hi:[0,1]
	s_wait_dscnt 0x0
	v_pk_mul_f32 v[90:91], v[98:99], v[90:91] op_sel:[0,1]
	s_delay_alu instid0(VALU_DEP_1) | instskip(SKIP_1) | instid1(VALU_DEP_1)
	v_pk_fma_f32 v[100:101], v[98:99], v[88:89], v[90:91] op_sel:[0,0,1] op_sel_hi:[1,1,0] neg_lo:[0,0,1] neg_hi:[0,0,1]
	v_pk_fma_f32 v[88:89], v[98:99], v[88:89], v[90:91] op_sel:[0,0,1] op_sel_hi:[1,0,0]
	v_mov_b32_e32 v101, v89
	s_delay_alu instid0(VALU_DEP_1)
	v_pk_add_f32 v[86:87], v[86:87], v[100:101] neg_lo:[0,1] neg_hi:[0,1]
.LBB80_251:
	s_or_b32 exec_lo, exec_lo, s0
	v_lshl_add_u32 v88, v96, 3, v92
	s_barrier_signal -1
	s_barrier_wait -1
	ds_store_b64 v88, v[76:77]
	s_wait_dscnt 0x0
	s_barrier_signal -1
	s_barrier_wait -1
	ds_load_b64 v[90:91], v92 offset:96
	v_mov_b32_e32 v88, 12
	s_cmp_lt_i32 s18, 14
	s_cbranch_scc1 .LBB80_254
; %bb.252:
	v_add3_u32 v89, v93, 0, 0x68
	v_mov_b32_e32 v88, 12
	s_mov_b32 s0, 13
.LBB80_253:                             ; =>This Inner Loop Header: Depth=1
	ds_load_b64 v[98:99], v89
	s_wait_dscnt 0x1
	v_cmp_gt_f32_e32 vcc_lo, 0, v90
	v_cndmask_b32_e64 v100, v90, -v90, vcc_lo
	v_cmp_gt_f32_e32 vcc_lo, 0, v91
	v_cndmask_b32_e64 v102, v91, -v91, vcc_lo
	s_wait_dscnt 0x0
	v_cmp_gt_f32_e32 vcc_lo, 0, v98
	v_cndmask_b32_e64 v101, v98, -v98, vcc_lo
	v_cmp_gt_f32_e32 vcc_lo, 0, v99
	v_cndmask_b32_e64 v103, v99, -v99, vcc_lo
	s_delay_alu instid0(VALU_DEP_1) | instskip(NEXT) | instid1(VALU_DEP_1)
	v_pk_add_f32 v[100:101], v[100:101], v[102:103]
	v_cmp_lt_f32_e32 vcc_lo, v100, v101
	v_dual_add_nc_u32 v89, 8, v89 :: v_dual_cndmask_b32 v91, v91, v99, vcc_lo
	v_cndmask_b32_e32 v90, v90, v98, vcc_lo
	v_cndmask_b32_e64 v88, v88, s0, vcc_lo
	s_add_co_i32 s0, s0, 1
	s_delay_alu instid0(SALU_CYCLE_1)
	s_cmp_lg_u32 s18, s0
	s_cbranch_scc1 .LBB80_253
.LBB80_254:
	s_wait_dscnt 0x0
	v_cmp_eq_f32_e32 vcc_lo, 0, v90
	v_cmp_eq_f32_e64 s0, 0, v91
	s_and_b32 s0, vcc_lo, s0
	s_delay_alu instid0(SALU_CYCLE_1) | instskip(NEXT) | instid1(SALU_CYCLE_1)
	s_and_saveexec_b32 s1, s0
	s_xor_b32 s0, exec_lo, s1
; %bb.255:
	v_cmp_ne_u32_e32 vcc_lo, 0, v94
	v_cndmask_b32_e32 v94, 13, v94, vcc_lo
; %bb.256:
	s_and_not1_saveexec_b32 s0, s0
	s_cbranch_execz .LBB80_262
; %bb.257:
	v_cmp_ngt_f32_e64 s1, |v90|, |v91|
	s_and_saveexec_b32 s12, s1
	s_delay_alu instid0(SALU_CYCLE_1)
	s_xor_b32 s1, exec_lo, s12
	s_cbranch_execz .LBB80_259
; %bb.258:
	v_div_scale_f32 v89, null, v91, v91, v90
	v_div_scale_f32 v99, vcc_lo, v90, v91, v90
	s_delay_alu instid0(VALU_DEP_2) | instskip(SKIP_1) | instid1(TRANS32_DEP_1)
	v_rcp_f32_e32 v97, v89
	v_nop
	v_fma_f32 v98, -v89, v97, 1.0
	s_delay_alu instid0(VALU_DEP_1) | instskip(NEXT) | instid1(VALU_DEP_1)
	v_fmac_f32_e32 v97, v98, v97
	v_mul_f32_e32 v98, v99, v97
	s_delay_alu instid0(VALU_DEP_1) | instskip(NEXT) | instid1(VALU_DEP_1)
	v_fma_f32 v100, -v89, v98, v99
	v_fmac_f32_e32 v98, v100, v97
	s_delay_alu instid0(VALU_DEP_1) | instskip(NEXT) | instid1(VALU_DEP_1)
	v_fma_f32 v89, -v89, v98, v99
	v_div_fmas_f32 v89, v89, v97, v98
	s_delay_alu instid0(VALU_DEP_1) | instskip(NEXT) | instid1(VALU_DEP_1)
	v_div_fixup_f32 v89, v89, v91, v90
	v_fmac_f32_e32 v91, v90, v89
	s_delay_alu instid0(VALU_DEP_1) | instskip(SKIP_1) | instid1(VALU_DEP_2)
	v_div_scale_f32 v90, null, v91, v91, 1.0
	v_div_scale_f32 v99, vcc_lo, 1.0, v91, 1.0
	v_rcp_f32_e32 v97, v90
	v_nop
	s_delay_alu instid0(TRANS32_DEP_1) | instskip(NEXT) | instid1(VALU_DEP_1)
	v_fma_f32 v98, -v90, v97, 1.0
	v_fmac_f32_e32 v97, v98, v97
	s_delay_alu instid0(VALU_DEP_1) | instskip(NEXT) | instid1(VALU_DEP_1)
	v_mul_f32_e32 v98, v99, v97
	v_fma_f32 v100, -v90, v98, v99
	s_delay_alu instid0(VALU_DEP_1) | instskip(NEXT) | instid1(VALU_DEP_1)
	v_fmac_f32_e32 v98, v100, v97
	v_fma_f32 v90, -v90, v98, v99
	s_delay_alu instid0(VALU_DEP_1) | instskip(NEXT) | instid1(VALU_DEP_1)
	v_div_fmas_f32 v90, v90, v97, v98
	v_div_fixup_f32 v91, v90, v91, 1.0
	s_delay_alu instid0(VALU_DEP_1)
	v_mul_f32_e32 v90, v89, v91
	v_xor_b32_e32 v91, 0x80000000, v91
.LBB80_259:
	s_and_not1_saveexec_b32 s1, s1
	s_cbranch_execz .LBB80_261
; %bb.260:
	s_delay_alu instid0(VALU_DEP_1) | instskip(SKIP_1) | instid1(VALU_DEP_2)
	v_div_scale_f32 v89, null, v90, v90, v91
	v_div_scale_f32 v99, vcc_lo, v91, v90, v91
	v_rcp_f32_e32 v97, v89
	v_nop
	s_delay_alu instid0(TRANS32_DEP_1) | instskip(NEXT) | instid1(VALU_DEP_1)
	v_fma_f32 v98, -v89, v97, 1.0
	v_fmac_f32_e32 v97, v98, v97
	s_delay_alu instid0(VALU_DEP_1) | instskip(NEXT) | instid1(VALU_DEP_1)
	v_mul_f32_e32 v98, v99, v97
	v_fma_f32 v100, -v89, v98, v99
	s_delay_alu instid0(VALU_DEP_1) | instskip(NEXT) | instid1(VALU_DEP_1)
	v_fmac_f32_e32 v98, v100, v97
	v_fma_f32 v89, -v89, v98, v99
	s_delay_alu instid0(VALU_DEP_1) | instskip(NEXT) | instid1(VALU_DEP_1)
	v_div_fmas_f32 v89, v89, v97, v98
	v_div_fixup_f32 v89, v89, v90, v91
	s_delay_alu instid0(VALU_DEP_1) | instskip(NEXT) | instid1(VALU_DEP_1)
	v_fmac_f32_e32 v90, v91, v89
	v_div_scale_f32 v91, null, v90, v90, 1.0
	s_delay_alu instid0(VALU_DEP_1) | instskip(SKIP_1) | instid1(TRANS32_DEP_1)
	v_rcp_f32_e32 v97, v91
	v_nop
	v_fma_f32 v98, -v91, v97, 1.0
	s_delay_alu instid0(VALU_DEP_1) | instskip(SKIP_1) | instid1(VALU_DEP_1)
	v_fmac_f32_e32 v97, v98, v97
	v_div_scale_f32 v98, vcc_lo, 1.0, v90, 1.0
	v_mul_f32_e32 v99, v98, v97
	s_delay_alu instid0(VALU_DEP_1) | instskip(NEXT) | instid1(VALU_DEP_1)
	v_fma_f32 v100, -v91, v99, v98
	v_fmac_f32_e32 v99, v100, v97
	s_delay_alu instid0(VALU_DEP_1) | instskip(NEXT) | instid1(VALU_DEP_1)
	v_fma_f32 v91, -v91, v99, v98
	v_div_fmas_f32 v91, v91, v97, v99
	s_delay_alu instid0(VALU_DEP_1) | instskip(NEXT) | instid1(VALU_DEP_1)
	v_div_fixup_f32 v90, v91, v90, 1.0
	v_mul_f32_e64 v91, v89, -v90
.LBB80_261:
	s_or_b32 exec_lo, exec_lo, s1
.LBB80_262:
	s_delay_alu instid0(SALU_CYCLE_1) | instskip(NEXT) | instid1(SALU_CYCLE_1)
	s_or_b32 exec_lo, exec_lo, s0
	s_mov_b32 s0, exec_lo
	v_cmpx_ne_u32_e64 v96, v88
	s_xor_b32 s0, exec_lo, s0
	s_cbranch_execz .LBB80_268
; %bb.263:
	s_mov_b32 s1, exec_lo
	v_cmpx_eq_u32_e32 12, v96
	s_cbranch_execz .LBB80_267
; %bb.264:
	v_cmp_ne_u32_e32 vcc_lo, 12, v88
	s_xor_b32 s12, s16, -1
	s_delay_alu instid0(SALU_CYCLE_1) | instskip(NEXT) | instid1(SALU_CYCLE_1)
	s_and_b32 s13, s12, vcc_lo
	s_and_saveexec_b32 s12, s13
	s_cbranch_execz .LBB80_266
; %bb.265:
	v_ashrrev_i32_e32 v89, 31, v88
	s_delay_alu instid0(VALU_DEP_1)
	v_lshl_add_u64 v[96:97], v[88:89], 2, v[4:5]
	s_clause 0x1
	global_load_b32 v89, v[96:97], off
	global_load_b32 v95, v[4:5], off offset:48
	s_wait_loadcnt 0x1
	global_store_b32 v[4:5], v89, off offset:48
	s_wait_loadcnt 0x0
	global_store_b32 v[96:97], v95, off
.LBB80_266:
	s_wait_xcnt 0x0
	s_or_b32 exec_lo, exec_lo, s12
	v_dual_mov_b32 v96, v88 :: v_dual_mov_b32 v95, v88
.LBB80_267:
	s_or_b32 exec_lo, exec_lo, s1
.LBB80_268:
	s_and_not1_saveexec_b32 s0, s0
	s_cbranch_execz .LBB80_270
; %bb.269:
	v_mov_b32_e32 v96, 12
	ds_store_2addr_b64 v92, v[72:73], v[74:75] offset0:13 offset1:14
	ds_store_2addr_b64 v92, v[70:71], v[68:69] offset0:15 offset1:16
	ds_store_2addr_b64 v92, v[64:65], v[66:67] offset0:17 offset1:18
	ds_store_2addr_b64 v92, v[62:63], v[60:61] offset0:19 offset1:20
	ds_store_2addr_b64 v92, v[56:57], v[58:59] offset0:21 offset1:22
	ds_store_2addr_b64 v92, v[54:55], v[52:53] offset0:23 offset1:24
	ds_store_2addr_b64 v92, v[48:49], v[50:51] offset0:25 offset1:26
	ds_store_2addr_b64 v92, v[46:47], v[42:43] offset0:27 offset1:28
	ds_store_2addr_b64 v92, v[38:39], v[40:41] offset0:29 offset1:30
	ds_store_2addr_b64 v92, v[36:37], v[14:15] offset0:31 offset1:32
	ds_store_2addr_b64 v92, v[10:11], v[12:13] offset0:33 offset1:34
	ds_store_2addr_b64 v92, v[8:9], v[6:7] offset0:35 offset1:36
	ds_store_2addr_b64 v92, v[44:45], v[22:23] offset0:37 offset1:38
	ds_store_2addr_b64 v92, v[16:17], v[86:87] offset0:39 offset1:40
.LBB80_270:
	s_or_b32 exec_lo, exec_lo, s0
	s_delay_alu instid0(SALU_CYCLE_1)
	s_mov_b32 s0, exec_lo
	s_wait_storecnt_dscnt 0x0
	s_barrier_signal -1
	s_barrier_wait -1
	v_cmpx_lt_i32_e32 12, v96
	s_cbranch_execz .LBB80_272
; %bb.271:
	v_pk_mul_f32 v[98:99], v[90:91], v[76:77] op_sel:[1,1] op_sel_hi:[0,1]
	s_delay_alu instid0(VALU_DEP_1)
	v_pk_fma_f32 v[88:89], v[90:91], v[76:77], v[98:99] op_sel_hi:[1,0,1] neg_lo:[0,0,1] neg_hi:[0,0,1]
	v_pk_fma_f32 v[90:91], v[90:91], v[76:77], v[98:99] op_sel_hi:[1,0,1]
	ds_load_2addr_b64 v[98:101], v92 offset0:13 offset1:14
	v_dual_mov_b32 v76, v88 :: v_dual_mov_b32 v77, v91
	s_wait_dscnt 0x0
	v_pk_mul_f32 v[102:103], v[98:99], v[90:91] op_sel:[0,1]
	s_delay_alu instid0(VALU_DEP_1) | instskip(SKIP_1) | instid1(VALU_DEP_1)
	v_pk_fma_f32 v[104:105], v[98:99], v[88:89], v[102:103] op_sel:[0,0,1] op_sel_hi:[1,1,0] neg_lo:[0,0,1] neg_hi:[0,0,1]
	v_pk_fma_f32 v[98:99], v[98:99], v[88:89], v[102:103] op_sel:[0,0,1] op_sel_hi:[1,0,0]
	v_mov_b32_e32 v105, v99
	v_pk_mul_f32 v[98:99], v[100:101], v[90:91] op_sel:[0,1]
	s_delay_alu instid0(VALU_DEP_1) | instskip(SKIP_1) | instid1(VALU_DEP_1)
	v_pk_fma_f32 v[102:103], v[100:101], v[88:89], v[98:99] op_sel:[0,0,1] op_sel_hi:[1,1,0] neg_lo:[0,0,1] neg_hi:[0,0,1]
	v_pk_fma_f32 v[98:99], v[100:101], v[88:89], v[98:99] op_sel:[0,0,1] op_sel_hi:[1,0,0]
	v_mov_b32_e32 v103, v99
	ds_load_2addr_b64 v[98:101], v92 offset0:15 offset1:16
	v_pk_add_f32 v[72:73], v[72:73], v[104:105] neg_lo:[0,1] neg_hi:[0,1]
	v_pk_add_f32 v[74:75], v[74:75], v[102:103] neg_lo:[0,1] neg_hi:[0,1]
	s_wait_dscnt 0x0
	v_pk_mul_f32 v[102:103], v[98:99], v[90:91] op_sel:[0,1]
	s_delay_alu instid0(VALU_DEP_1) | instskip(SKIP_2) | instid1(VALU_DEP_2)
	v_pk_fma_f32 v[104:105], v[98:99], v[88:89], v[102:103] op_sel:[0,0,1] op_sel_hi:[1,1,0] neg_lo:[0,0,1] neg_hi:[0,0,1]
	v_pk_fma_f32 v[98:99], v[98:99], v[88:89], v[102:103] op_sel:[0,0,1] op_sel_hi:[1,0,0]
	v_dual_mul_f32 v102, v101, v91 :: v_dual_mov_b32 v98, v101
	v_dual_mov_b32 v105, v99 :: v_dual_mov_b32 v99, v100
	s_delay_alu instid0(VALU_DEP_2) | instskip(SKIP_1) | instid1(VALU_DEP_3)
	v_pk_fma_f32 v[102:103], v[100:101], v[76:77], v[102:103] op_sel_hi:[1,1,0] neg_lo:[0,0,1] neg_hi:[0,0,1]
	v_mul_f32_e32 v100, v101, v88
	v_pk_add_f32 v[70:71], v[70:71], v[104:105] neg_lo:[0,1] neg_hi:[0,1]
	s_delay_alu instid0(VALU_DEP_2) | instskip(NEXT) | instid1(VALU_DEP_1)
	v_pk_fma_f32 v[98:99], v[98:99], v[76:77], v[100:101] op_sel_hi:[1,1,0]
	v_mov_b32_e32 v103, v99
	ds_load_2addr_b64 v[98:101], v92 offset0:17 offset1:18
	v_pk_add_f32 v[68:69], v[68:69], v[102:103] neg_lo:[0,1] neg_hi:[0,1]
	s_wait_dscnt 0x0
	v_pk_mul_f32 v[102:103], v[98:99], v[90:91] op_sel:[0,1]
	s_delay_alu instid0(VALU_DEP_1) | instskip(SKIP_1) | instid1(VALU_DEP_1)
	v_pk_fma_f32 v[104:105], v[98:99], v[88:89], v[102:103] op_sel:[0,0,1] op_sel_hi:[1,1,0] neg_lo:[0,0,1] neg_hi:[0,0,1]
	v_pk_fma_f32 v[98:99], v[98:99], v[88:89], v[102:103] op_sel:[0,0,1] op_sel_hi:[1,0,0]
	v_mov_b32_e32 v105, v99
	v_pk_mul_f32 v[98:99], v[100:101], v[90:91] op_sel:[0,1]
	s_delay_alu instid0(VALU_DEP_1) | instskip(SKIP_1) | instid1(VALU_DEP_1)
	v_pk_fma_f32 v[102:103], v[100:101], v[88:89], v[98:99] op_sel:[0,0,1] op_sel_hi:[1,1,0] neg_lo:[0,0,1] neg_hi:[0,0,1]
	v_pk_fma_f32 v[98:99], v[100:101], v[88:89], v[98:99] op_sel:[0,0,1] op_sel_hi:[1,0,0]
	v_mov_b32_e32 v103, v99
	ds_load_2addr_b64 v[98:101], v92 offset0:19 offset1:20
	v_pk_add_f32 v[64:65], v[64:65], v[104:105] neg_lo:[0,1] neg_hi:[0,1]
	v_pk_add_f32 v[66:67], v[66:67], v[102:103] neg_lo:[0,1] neg_hi:[0,1]
	s_wait_dscnt 0x0
	v_pk_mul_f32 v[102:103], v[98:99], v[90:91] op_sel:[0,1]
	s_delay_alu instid0(VALU_DEP_1) | instskip(SKIP_1) | instid1(VALU_DEP_1)
	v_pk_fma_f32 v[104:105], v[98:99], v[88:89], v[102:103] op_sel:[0,0,1] op_sel_hi:[1,1,0] neg_lo:[0,0,1] neg_hi:[0,0,1]
	v_pk_fma_f32 v[98:99], v[98:99], v[88:89], v[102:103] op_sel:[0,0,1] op_sel_hi:[1,0,0]
	v_mov_b32_e32 v105, v99
	v_pk_mul_f32 v[98:99], v[100:101], v[90:91] op_sel:[0,1]
	s_delay_alu instid0(VALU_DEP_1) | instskip(SKIP_1) | instid1(VALU_DEP_1)
	v_pk_fma_f32 v[102:103], v[100:101], v[88:89], v[98:99] op_sel:[0,0,1] op_sel_hi:[1,1,0] neg_lo:[0,0,1] neg_hi:[0,0,1]
	v_pk_fma_f32 v[98:99], v[100:101], v[88:89], v[98:99] op_sel:[0,0,1] op_sel_hi:[1,0,0]
	v_mov_b32_e32 v103, v99
	ds_load_2addr_b64 v[98:101], v92 offset0:21 offset1:22
	v_pk_add_f32 v[62:63], v[62:63], v[104:105] neg_lo:[0,1] neg_hi:[0,1]
	v_pk_add_f32 v[60:61], v[60:61], v[102:103] neg_lo:[0,1] neg_hi:[0,1]
	s_wait_dscnt 0x0
	v_dual_mul_f32 v102, v99, v91 :: v_dual_mul_f32 v104, v99, v88
	s_delay_alu instid0(VALU_DEP_1) | instskip(NEXT) | instid1(VALU_DEP_2)
	v_pk_fma_f32 v[102:103], v[98:99], v[76:77], v[102:103] op_sel_hi:[1,1,0] neg_lo:[0,0,1] neg_hi:[0,0,1]
	v_pk_fma_f32 v[98:99], v[98:99], v[76:77], v[104:105] op_sel:[1,0,0] op_sel_hi:[0,1,0]
	s_delay_alu instid0(VALU_DEP_1) | instskip(SKIP_1) | instid1(VALU_DEP_2)
	v_mov_b32_e32 v103, v99
	v_pk_mul_f32 v[98:99], v[100:101], v[90:91] op_sel:[0,1]
	v_pk_add_f32 v[56:57], v[56:57], v[102:103] neg_lo:[0,1] neg_hi:[0,1]
	s_delay_alu instid0(VALU_DEP_2) | instskip(SKIP_1) | instid1(VALU_DEP_1)
	v_pk_fma_f32 v[102:103], v[100:101], v[88:89], v[98:99] op_sel:[0,0,1] op_sel_hi:[1,1,0] neg_lo:[0,0,1] neg_hi:[0,0,1]
	v_pk_fma_f32 v[98:99], v[100:101], v[88:89], v[98:99] op_sel:[0,0,1] op_sel_hi:[1,0,0]
	v_mov_b32_e32 v103, v99
	ds_load_2addr_b64 v[98:101], v92 offset0:23 offset1:24
	v_pk_add_f32 v[58:59], v[58:59], v[102:103] neg_lo:[0,1] neg_hi:[0,1]
	s_wait_dscnt 0x0
	v_pk_mul_f32 v[102:103], v[98:99], v[90:91] op_sel:[0,1]
	s_delay_alu instid0(VALU_DEP_1) | instskip(SKIP_1) | instid1(VALU_DEP_1)
	v_pk_fma_f32 v[104:105], v[98:99], v[88:89], v[102:103] op_sel:[0,0,1] op_sel_hi:[1,1,0] neg_lo:[0,0,1] neg_hi:[0,0,1]
	v_pk_fma_f32 v[98:99], v[98:99], v[88:89], v[102:103] op_sel:[0,0,1] op_sel_hi:[1,0,0]
	v_mov_b32_e32 v105, v99
	v_pk_mul_f32 v[98:99], v[100:101], v[90:91] op_sel:[0,1]
	s_delay_alu instid0(VALU_DEP_2) | instskip(NEXT) | instid1(VALU_DEP_2)
	v_pk_add_f32 v[54:55], v[54:55], v[104:105] neg_lo:[0,1] neg_hi:[0,1]
	v_pk_fma_f32 v[102:103], v[100:101], v[88:89], v[98:99] op_sel:[0,0,1] op_sel_hi:[1,1,0] neg_lo:[0,0,1] neg_hi:[0,0,1]
	v_pk_fma_f32 v[98:99], v[100:101], v[88:89], v[98:99] op_sel:[0,0,1] op_sel_hi:[1,0,0]
	s_delay_alu instid0(VALU_DEP_1) | instskip(SKIP_4) | instid1(VALU_DEP_1)
	v_mov_b32_e32 v103, v99
	ds_load_2addr_b64 v[98:101], v92 offset0:25 offset1:26
	v_pk_add_f32 v[52:53], v[52:53], v[102:103] neg_lo:[0,1] neg_hi:[0,1]
	s_wait_dscnt 0x0
	v_pk_mul_f32 v[102:103], v[98:99], v[90:91] op_sel:[0,1]
	v_pk_fma_f32 v[104:105], v[98:99], v[88:89], v[102:103] op_sel:[0,0,1] op_sel_hi:[1,1,0] neg_lo:[0,0,1] neg_hi:[0,0,1]
	v_pk_fma_f32 v[98:99], v[98:99], v[88:89], v[102:103] op_sel:[0,0,1] op_sel_hi:[1,0,0]
	v_dual_mul_f32 v102, v101, v91 :: v_dual_mov_b32 v98, v101
	s_delay_alu instid0(VALU_DEP_2) | instskip(NEXT) | instid1(VALU_DEP_2)
	v_dual_mov_b32 v105, v99 :: v_dual_mov_b32 v99, v100
	v_pk_fma_f32 v[102:103], v[100:101], v[76:77], v[102:103] op_sel_hi:[1,1,0] neg_lo:[0,0,1] neg_hi:[0,0,1]
	v_mul_f32_e32 v100, v101, v88
	s_delay_alu instid0(VALU_DEP_3) | instskip(NEXT) | instid1(VALU_DEP_2)
	v_pk_add_f32 v[48:49], v[48:49], v[104:105] neg_lo:[0,1] neg_hi:[0,1]
	v_pk_fma_f32 v[98:99], v[98:99], v[76:77], v[100:101] op_sel_hi:[1,1,0]
	s_delay_alu instid0(VALU_DEP_1) | instskip(SKIP_4) | instid1(VALU_DEP_1)
	v_mov_b32_e32 v103, v99
	ds_load_2addr_b64 v[98:101], v92 offset0:27 offset1:28
	v_pk_add_f32 v[50:51], v[50:51], v[102:103] neg_lo:[0,1] neg_hi:[0,1]
	s_wait_dscnt 0x0
	v_pk_mul_f32 v[102:103], v[98:99], v[90:91] op_sel:[0,1]
	v_pk_fma_f32 v[104:105], v[98:99], v[88:89], v[102:103] op_sel:[0,0,1] op_sel_hi:[1,1,0] neg_lo:[0,0,1] neg_hi:[0,0,1]
	v_pk_fma_f32 v[98:99], v[98:99], v[88:89], v[102:103] op_sel:[0,0,1] op_sel_hi:[1,0,0]
	s_delay_alu instid0(VALU_DEP_1) | instskip(SKIP_1) | instid1(VALU_DEP_1)
	v_mov_b32_e32 v105, v99
	v_pk_mul_f32 v[98:99], v[100:101], v[90:91] op_sel:[0,1]
	v_pk_fma_f32 v[102:103], v[100:101], v[88:89], v[98:99] op_sel:[0,0,1] op_sel_hi:[1,1,0] neg_lo:[0,0,1] neg_hi:[0,0,1]
	v_pk_fma_f32 v[98:99], v[100:101], v[88:89], v[98:99] op_sel:[0,0,1] op_sel_hi:[1,0,0]
	s_delay_alu instid0(VALU_DEP_1)
	v_mov_b32_e32 v103, v99
	ds_load_2addr_b64 v[98:101], v92 offset0:29 offset1:30
	v_pk_add_f32 v[46:47], v[46:47], v[104:105] neg_lo:[0,1] neg_hi:[0,1]
	v_pk_add_f32 v[42:43], v[42:43], v[102:103] neg_lo:[0,1] neg_hi:[0,1]
	s_wait_dscnt 0x0
	v_pk_mul_f32 v[102:103], v[98:99], v[90:91] op_sel:[0,1]
	s_delay_alu instid0(VALU_DEP_1) | instskip(SKIP_1) | instid1(VALU_DEP_1)
	v_pk_fma_f32 v[104:105], v[98:99], v[88:89], v[102:103] op_sel:[0,0,1] op_sel_hi:[1,1,0] neg_lo:[0,0,1] neg_hi:[0,0,1]
	v_pk_fma_f32 v[98:99], v[98:99], v[88:89], v[102:103] op_sel:[0,0,1] op_sel_hi:[1,0,0]
	v_mov_b32_e32 v105, v99
	v_pk_mul_f32 v[98:99], v[100:101], v[90:91] op_sel:[0,1]
	s_delay_alu instid0(VALU_DEP_1) | instskip(SKIP_1) | instid1(VALU_DEP_1)
	v_pk_fma_f32 v[102:103], v[100:101], v[88:89], v[98:99] op_sel:[0,0,1] op_sel_hi:[1,1,0] neg_lo:[0,0,1] neg_hi:[0,0,1]
	v_pk_fma_f32 v[98:99], v[100:101], v[88:89], v[98:99] op_sel:[0,0,1] op_sel_hi:[1,0,0]
	v_mov_b32_e32 v103, v99
	ds_load_2addr_b64 v[98:101], v92 offset0:31 offset1:32
	v_pk_add_f32 v[38:39], v[38:39], v[104:105] neg_lo:[0,1] neg_hi:[0,1]
	v_pk_add_f32 v[40:41], v[40:41], v[102:103] neg_lo:[0,1] neg_hi:[0,1]
	s_wait_dscnt 0x0
	v_dual_mul_f32 v102, v99, v91 :: v_dual_mul_f32 v104, v99, v88
	s_delay_alu instid0(VALU_DEP_1) | instskip(NEXT) | instid1(VALU_DEP_2)
	v_pk_fma_f32 v[102:103], v[98:99], v[76:77], v[102:103] op_sel_hi:[1,1,0] neg_lo:[0,0,1] neg_hi:[0,0,1]
	v_pk_fma_f32 v[98:99], v[98:99], v[76:77], v[104:105] op_sel:[1,0,0] op_sel_hi:[0,1,0]
	s_delay_alu instid0(VALU_DEP_1) | instskip(SKIP_1) | instid1(VALU_DEP_2)
	v_mov_b32_e32 v103, v99
	v_pk_mul_f32 v[98:99], v[100:101], v[90:91] op_sel:[0,1]
	v_pk_add_f32 v[36:37], v[36:37], v[102:103] neg_lo:[0,1] neg_hi:[0,1]
	s_delay_alu instid0(VALU_DEP_2) | instskip(SKIP_1) | instid1(VALU_DEP_1)
	v_pk_fma_f32 v[102:103], v[100:101], v[88:89], v[98:99] op_sel:[0,0,1] op_sel_hi:[1,1,0] neg_lo:[0,0,1] neg_hi:[0,0,1]
	v_pk_fma_f32 v[98:99], v[100:101], v[88:89], v[98:99] op_sel:[0,0,1] op_sel_hi:[1,0,0]
	v_mov_b32_e32 v103, v99
	ds_load_2addr_b64 v[98:101], v92 offset0:33 offset1:34
	v_pk_add_f32 v[14:15], v[14:15], v[102:103] neg_lo:[0,1] neg_hi:[0,1]
	s_wait_dscnt 0x0
	v_pk_mul_f32 v[102:103], v[98:99], v[90:91] op_sel:[0,1]
	s_delay_alu instid0(VALU_DEP_1) | instskip(SKIP_1) | instid1(VALU_DEP_1)
	v_pk_fma_f32 v[104:105], v[98:99], v[88:89], v[102:103] op_sel:[0,0,1] op_sel_hi:[1,1,0] neg_lo:[0,0,1] neg_hi:[0,0,1]
	v_pk_fma_f32 v[98:99], v[98:99], v[88:89], v[102:103] op_sel:[0,0,1] op_sel_hi:[1,0,0]
	v_mov_b32_e32 v105, v99
	v_pk_mul_f32 v[98:99], v[100:101], v[90:91] op_sel:[0,1]
	s_delay_alu instid0(VALU_DEP_2) | instskip(NEXT) | instid1(VALU_DEP_2)
	v_pk_add_f32 v[10:11], v[10:11], v[104:105] neg_lo:[0,1] neg_hi:[0,1]
	v_pk_fma_f32 v[102:103], v[100:101], v[88:89], v[98:99] op_sel:[0,0,1] op_sel_hi:[1,1,0] neg_lo:[0,0,1] neg_hi:[0,0,1]
	v_pk_fma_f32 v[98:99], v[100:101], v[88:89], v[98:99] op_sel:[0,0,1] op_sel_hi:[1,0,0]
	s_delay_alu instid0(VALU_DEP_1) | instskip(SKIP_4) | instid1(VALU_DEP_1)
	v_mov_b32_e32 v103, v99
	ds_load_2addr_b64 v[98:101], v92 offset0:35 offset1:36
	v_pk_add_f32 v[12:13], v[12:13], v[102:103] neg_lo:[0,1] neg_hi:[0,1]
	s_wait_dscnt 0x0
	v_pk_mul_f32 v[102:103], v[98:99], v[90:91] op_sel:[0,1]
	v_pk_fma_f32 v[104:105], v[98:99], v[88:89], v[102:103] op_sel:[0,0,1] op_sel_hi:[1,1,0] neg_lo:[0,0,1] neg_hi:[0,0,1]
	v_pk_fma_f32 v[98:99], v[98:99], v[88:89], v[102:103] op_sel:[0,0,1] op_sel_hi:[1,0,0]
	v_dual_mul_f32 v102, v101, v91 :: v_dual_mov_b32 v98, v101
	s_delay_alu instid0(VALU_DEP_2) | instskip(NEXT) | instid1(VALU_DEP_2)
	v_dual_mov_b32 v105, v99 :: v_dual_mov_b32 v99, v100
	v_pk_fma_f32 v[102:103], v[100:101], v[76:77], v[102:103] op_sel_hi:[1,1,0] neg_lo:[0,0,1] neg_hi:[0,0,1]
	v_mul_f32_e32 v100, v101, v88
	s_delay_alu instid0(VALU_DEP_3) | instskip(NEXT) | instid1(VALU_DEP_2)
	v_pk_add_f32 v[8:9], v[8:9], v[104:105] neg_lo:[0,1] neg_hi:[0,1]
	v_pk_fma_f32 v[98:99], v[98:99], v[76:77], v[100:101] op_sel_hi:[1,1,0]
	s_delay_alu instid0(VALU_DEP_1) | instskip(SKIP_4) | instid1(VALU_DEP_1)
	v_mov_b32_e32 v103, v99
	ds_load_2addr_b64 v[98:101], v92 offset0:37 offset1:38
	v_pk_add_f32 v[6:7], v[6:7], v[102:103] neg_lo:[0,1] neg_hi:[0,1]
	s_wait_dscnt 0x0
	v_pk_mul_f32 v[102:103], v[98:99], v[90:91] op_sel:[0,1]
	v_pk_fma_f32 v[104:105], v[98:99], v[88:89], v[102:103] op_sel:[0,0,1] op_sel_hi:[1,1,0] neg_lo:[0,0,1] neg_hi:[0,0,1]
	v_pk_fma_f32 v[98:99], v[98:99], v[88:89], v[102:103] op_sel:[0,0,1] op_sel_hi:[1,0,0]
	s_delay_alu instid0(VALU_DEP_1) | instskip(SKIP_1) | instid1(VALU_DEP_1)
	v_mov_b32_e32 v105, v99
	v_pk_mul_f32 v[98:99], v[100:101], v[90:91] op_sel:[0,1]
	v_pk_fma_f32 v[102:103], v[100:101], v[88:89], v[98:99] op_sel:[0,0,1] op_sel_hi:[1,1,0] neg_lo:[0,0,1] neg_hi:[0,0,1]
	v_pk_fma_f32 v[98:99], v[100:101], v[88:89], v[98:99] op_sel:[0,0,1] op_sel_hi:[1,0,0]
	s_delay_alu instid0(VALU_DEP_1)
	v_mov_b32_e32 v103, v99
	ds_load_2addr_b64 v[98:101], v92 offset0:39 offset1:40
	v_pk_add_f32 v[44:45], v[44:45], v[104:105] neg_lo:[0,1] neg_hi:[0,1]
	v_pk_add_f32 v[22:23], v[22:23], v[102:103] neg_lo:[0,1] neg_hi:[0,1]
	s_wait_dscnt 0x0
	v_pk_mul_f32 v[102:103], v[98:99], v[90:91] op_sel:[0,1]
	v_pk_mul_f32 v[90:91], v[100:101], v[90:91] op_sel:[0,1]
	s_delay_alu instid0(VALU_DEP_2) | instskip(SKIP_1) | instid1(VALU_DEP_1)
	v_pk_fma_f32 v[104:105], v[98:99], v[88:89], v[102:103] op_sel:[0,0,1] op_sel_hi:[1,1,0] neg_lo:[0,0,1] neg_hi:[0,0,1]
	v_pk_fma_f32 v[98:99], v[98:99], v[88:89], v[102:103] op_sel:[0,0,1] op_sel_hi:[1,0,0]
	v_mov_b32_e32 v105, v99
	s_delay_alu instid0(VALU_DEP_4) | instskip(SKIP_1) | instid1(VALU_DEP_1)
	v_pk_fma_f32 v[98:99], v[100:101], v[88:89], v[90:91] op_sel:[0,0,1] op_sel_hi:[1,1,0] neg_lo:[0,0,1] neg_hi:[0,0,1]
	v_pk_fma_f32 v[88:89], v[100:101], v[88:89], v[90:91] op_sel:[0,0,1] op_sel_hi:[1,0,0]
	v_mov_b32_e32 v99, v89
	s_delay_alu instid0(VALU_DEP_4) | instskip(NEXT) | instid1(VALU_DEP_2)
	v_pk_add_f32 v[16:17], v[16:17], v[104:105] neg_lo:[0,1] neg_hi:[0,1]
	v_pk_add_f32 v[86:87], v[86:87], v[98:99] neg_lo:[0,1] neg_hi:[0,1]
.LBB80_272:
	s_or_b32 exec_lo, exec_lo, s0
	v_lshl_add_u32 v88, v96, 3, v92
	s_barrier_signal -1
	s_barrier_wait -1
	ds_store_b64 v88, v[72:73]
	s_wait_dscnt 0x0
	s_barrier_signal -1
	s_barrier_wait -1
	ds_load_b64 v[90:91], v92 offset:104
	v_mov_b32_e32 v88, 13
	s_cmp_lt_i32 s18, 15
	s_cbranch_scc1 .LBB80_275
; %bb.273:
	v_add3_u32 v89, v93, 0, 0x70
	v_mov_b32_e32 v88, 13
	s_mov_b32 s0, 14
.LBB80_274:                             ; =>This Inner Loop Header: Depth=1
	ds_load_b64 v[98:99], v89
	s_wait_dscnt 0x1
	v_cmp_gt_f32_e32 vcc_lo, 0, v90
	v_cndmask_b32_e64 v100, v90, -v90, vcc_lo
	v_cmp_gt_f32_e32 vcc_lo, 0, v91
	v_cndmask_b32_e64 v102, v91, -v91, vcc_lo
	s_wait_dscnt 0x0
	v_cmp_gt_f32_e32 vcc_lo, 0, v98
	v_cndmask_b32_e64 v101, v98, -v98, vcc_lo
	v_cmp_gt_f32_e32 vcc_lo, 0, v99
	v_cndmask_b32_e64 v103, v99, -v99, vcc_lo
	s_delay_alu instid0(VALU_DEP_1) | instskip(NEXT) | instid1(VALU_DEP_1)
	v_pk_add_f32 v[100:101], v[100:101], v[102:103]
	v_cmp_lt_f32_e32 vcc_lo, v100, v101
	v_dual_add_nc_u32 v89, 8, v89 :: v_dual_cndmask_b32 v91, v91, v99, vcc_lo
	v_cndmask_b32_e32 v90, v90, v98, vcc_lo
	v_cndmask_b32_e64 v88, v88, s0, vcc_lo
	s_add_co_i32 s0, s0, 1
	s_delay_alu instid0(SALU_CYCLE_1)
	s_cmp_lg_u32 s18, s0
	s_cbranch_scc1 .LBB80_274
.LBB80_275:
	s_wait_dscnt 0x0
	v_cmp_eq_f32_e32 vcc_lo, 0, v90
	v_cmp_eq_f32_e64 s0, 0, v91
	s_and_b32 s0, vcc_lo, s0
	s_delay_alu instid0(SALU_CYCLE_1) | instskip(NEXT) | instid1(SALU_CYCLE_1)
	s_and_saveexec_b32 s1, s0
	s_xor_b32 s0, exec_lo, s1
; %bb.276:
	v_cmp_ne_u32_e32 vcc_lo, 0, v94
	v_cndmask_b32_e32 v94, 14, v94, vcc_lo
; %bb.277:
	s_and_not1_saveexec_b32 s0, s0
	s_cbranch_execz .LBB80_283
; %bb.278:
	v_cmp_ngt_f32_e64 s1, |v90|, |v91|
	s_and_saveexec_b32 s12, s1
	s_delay_alu instid0(SALU_CYCLE_1)
	s_xor_b32 s1, exec_lo, s12
	s_cbranch_execz .LBB80_280
; %bb.279:
	v_div_scale_f32 v89, null, v91, v91, v90
	v_div_scale_f32 v99, vcc_lo, v90, v91, v90
	s_delay_alu instid0(VALU_DEP_2) | instskip(SKIP_1) | instid1(TRANS32_DEP_1)
	v_rcp_f32_e32 v97, v89
	v_nop
	v_fma_f32 v98, -v89, v97, 1.0
	s_delay_alu instid0(VALU_DEP_1) | instskip(NEXT) | instid1(VALU_DEP_1)
	v_fmac_f32_e32 v97, v98, v97
	v_mul_f32_e32 v98, v99, v97
	s_delay_alu instid0(VALU_DEP_1) | instskip(NEXT) | instid1(VALU_DEP_1)
	v_fma_f32 v100, -v89, v98, v99
	v_fmac_f32_e32 v98, v100, v97
	s_delay_alu instid0(VALU_DEP_1) | instskip(NEXT) | instid1(VALU_DEP_1)
	v_fma_f32 v89, -v89, v98, v99
	v_div_fmas_f32 v89, v89, v97, v98
	s_delay_alu instid0(VALU_DEP_1) | instskip(NEXT) | instid1(VALU_DEP_1)
	v_div_fixup_f32 v89, v89, v91, v90
	v_fmac_f32_e32 v91, v90, v89
	s_delay_alu instid0(VALU_DEP_1) | instskip(SKIP_1) | instid1(VALU_DEP_2)
	v_div_scale_f32 v90, null, v91, v91, 1.0
	v_div_scale_f32 v99, vcc_lo, 1.0, v91, 1.0
	v_rcp_f32_e32 v97, v90
	v_nop
	s_delay_alu instid0(TRANS32_DEP_1) | instskip(NEXT) | instid1(VALU_DEP_1)
	v_fma_f32 v98, -v90, v97, 1.0
	v_fmac_f32_e32 v97, v98, v97
	s_delay_alu instid0(VALU_DEP_1) | instskip(NEXT) | instid1(VALU_DEP_1)
	v_mul_f32_e32 v98, v99, v97
	v_fma_f32 v100, -v90, v98, v99
	s_delay_alu instid0(VALU_DEP_1) | instskip(NEXT) | instid1(VALU_DEP_1)
	v_fmac_f32_e32 v98, v100, v97
	v_fma_f32 v90, -v90, v98, v99
	s_delay_alu instid0(VALU_DEP_1) | instskip(NEXT) | instid1(VALU_DEP_1)
	v_div_fmas_f32 v90, v90, v97, v98
	v_div_fixup_f32 v91, v90, v91, 1.0
	s_delay_alu instid0(VALU_DEP_1)
	v_mul_f32_e32 v90, v89, v91
	v_xor_b32_e32 v91, 0x80000000, v91
.LBB80_280:
	s_and_not1_saveexec_b32 s1, s1
	s_cbranch_execz .LBB80_282
; %bb.281:
	s_delay_alu instid0(VALU_DEP_1) | instskip(SKIP_1) | instid1(VALU_DEP_2)
	v_div_scale_f32 v89, null, v90, v90, v91
	v_div_scale_f32 v99, vcc_lo, v91, v90, v91
	v_rcp_f32_e32 v97, v89
	v_nop
	s_delay_alu instid0(TRANS32_DEP_1) | instskip(NEXT) | instid1(VALU_DEP_1)
	v_fma_f32 v98, -v89, v97, 1.0
	v_fmac_f32_e32 v97, v98, v97
	s_delay_alu instid0(VALU_DEP_1) | instskip(NEXT) | instid1(VALU_DEP_1)
	v_mul_f32_e32 v98, v99, v97
	v_fma_f32 v100, -v89, v98, v99
	s_delay_alu instid0(VALU_DEP_1) | instskip(NEXT) | instid1(VALU_DEP_1)
	v_fmac_f32_e32 v98, v100, v97
	v_fma_f32 v89, -v89, v98, v99
	s_delay_alu instid0(VALU_DEP_1) | instskip(NEXT) | instid1(VALU_DEP_1)
	v_div_fmas_f32 v89, v89, v97, v98
	v_div_fixup_f32 v89, v89, v90, v91
	s_delay_alu instid0(VALU_DEP_1) | instskip(NEXT) | instid1(VALU_DEP_1)
	v_fmac_f32_e32 v90, v91, v89
	v_div_scale_f32 v91, null, v90, v90, 1.0
	s_delay_alu instid0(VALU_DEP_1) | instskip(SKIP_1) | instid1(TRANS32_DEP_1)
	v_rcp_f32_e32 v97, v91
	v_nop
	v_fma_f32 v98, -v91, v97, 1.0
	s_delay_alu instid0(VALU_DEP_1) | instskip(SKIP_1) | instid1(VALU_DEP_1)
	v_fmac_f32_e32 v97, v98, v97
	v_div_scale_f32 v98, vcc_lo, 1.0, v90, 1.0
	v_mul_f32_e32 v99, v98, v97
	s_delay_alu instid0(VALU_DEP_1) | instskip(NEXT) | instid1(VALU_DEP_1)
	v_fma_f32 v100, -v91, v99, v98
	v_fmac_f32_e32 v99, v100, v97
	s_delay_alu instid0(VALU_DEP_1) | instskip(NEXT) | instid1(VALU_DEP_1)
	v_fma_f32 v91, -v91, v99, v98
	v_div_fmas_f32 v91, v91, v97, v99
	s_delay_alu instid0(VALU_DEP_1) | instskip(NEXT) | instid1(VALU_DEP_1)
	v_div_fixup_f32 v90, v91, v90, 1.0
	v_mul_f32_e64 v91, v89, -v90
.LBB80_282:
	s_or_b32 exec_lo, exec_lo, s1
.LBB80_283:
	s_delay_alu instid0(SALU_CYCLE_1) | instskip(NEXT) | instid1(SALU_CYCLE_1)
	s_or_b32 exec_lo, exec_lo, s0
	s_mov_b32 s0, exec_lo
	v_cmpx_ne_u32_e64 v96, v88
	s_xor_b32 s0, exec_lo, s0
	s_cbranch_execz .LBB80_289
; %bb.284:
	s_mov_b32 s1, exec_lo
	v_cmpx_eq_u32_e32 13, v96
	s_cbranch_execz .LBB80_288
; %bb.285:
	v_cmp_ne_u32_e32 vcc_lo, 13, v88
	s_xor_b32 s12, s16, -1
	s_delay_alu instid0(SALU_CYCLE_1) | instskip(NEXT) | instid1(SALU_CYCLE_1)
	s_and_b32 s13, s12, vcc_lo
	s_and_saveexec_b32 s12, s13
	s_cbranch_execz .LBB80_287
; %bb.286:
	v_ashrrev_i32_e32 v89, 31, v88
	s_delay_alu instid0(VALU_DEP_1)
	v_lshl_add_u64 v[96:97], v[88:89], 2, v[4:5]
	s_clause 0x1
	global_load_b32 v89, v[96:97], off
	global_load_b32 v95, v[4:5], off offset:52
	s_wait_loadcnt 0x1
	global_store_b32 v[4:5], v89, off offset:52
	s_wait_loadcnt 0x0
	global_store_b32 v[96:97], v95, off
.LBB80_287:
	s_wait_xcnt 0x0
	s_or_b32 exec_lo, exec_lo, s12
	v_dual_mov_b32 v96, v88 :: v_dual_mov_b32 v95, v88
.LBB80_288:
	s_or_b32 exec_lo, exec_lo, s1
.LBB80_289:
	s_and_not1_saveexec_b32 s0, s0
	s_cbranch_execz .LBB80_291
; %bb.290:
	v_dual_mov_b32 v88, v74 :: v_dual_mov_b32 v89, v75
	v_dual_mov_b32 v96, v70 :: v_dual_mov_b32 v97, v71
	ds_store_2addr_b64 v92, v[88:89], v[96:97] offset0:14 offset1:15
	v_dual_mov_b32 v88, v68 :: v_dual_mov_b32 v89, v69
	v_dual_mov_b32 v96, v64 :: v_dual_mov_b32 v97, v65
	ds_store_2addr_b64 v92, v[88:89], v[96:97] offset0:16 offset1:17
	;; [unrolled: 3-line block ×13, first 2 shown]
	ds_store_b64 v92, v[86:87] offset:320
	v_mov_b32_e32 v96, 13
.LBB80_291:
	s_or_b32 exec_lo, exec_lo, s0
	s_delay_alu instid0(SALU_CYCLE_1)
	s_mov_b32 s0, exec_lo
	s_wait_storecnt_dscnt 0x0
	s_barrier_signal -1
	s_barrier_wait -1
	v_cmpx_lt_i32_e32 13, v96
	s_cbranch_execz .LBB80_293
; %bb.292:
	v_pk_mul_f32 v[98:99], v[90:91], v[72:73] op_sel:[1,1] op_sel_hi:[0,1]
	s_delay_alu instid0(VALU_DEP_1)
	v_pk_fma_f32 v[88:89], v[90:91], v[72:73], v[98:99] op_sel_hi:[1,0,1] neg_lo:[0,0,1] neg_hi:[0,0,1]
	v_pk_fma_f32 v[90:91], v[90:91], v[72:73], v[98:99] op_sel_hi:[1,0,1]
	ds_load_2addr_b64 v[98:101], v92 offset0:14 offset1:15
	v_dual_mov_b32 v72, v88 :: v_dual_mov_b32 v73, v91
	s_wait_dscnt 0x0
	v_pk_mul_f32 v[102:103], v[98:99], v[90:91] op_sel:[0,1]
	s_delay_alu instid0(VALU_DEP_1) | instskip(SKIP_1) | instid1(VALU_DEP_1)
	v_pk_fma_f32 v[104:105], v[98:99], v[88:89], v[102:103] op_sel:[0,0,1] op_sel_hi:[1,1,0] neg_lo:[0,0,1] neg_hi:[0,0,1]
	v_pk_fma_f32 v[98:99], v[98:99], v[88:89], v[102:103] op_sel:[0,0,1] op_sel_hi:[1,0,0]
	v_mov_b32_e32 v105, v99
	v_pk_mul_f32 v[98:99], v[100:101], v[90:91] op_sel:[0,1]
	s_delay_alu instid0(VALU_DEP_1) | instskip(SKIP_1) | instid1(VALU_DEP_1)
	v_pk_fma_f32 v[102:103], v[100:101], v[88:89], v[98:99] op_sel:[0,0,1] op_sel_hi:[1,1,0] neg_lo:[0,0,1] neg_hi:[0,0,1]
	v_pk_fma_f32 v[98:99], v[100:101], v[88:89], v[98:99] op_sel:[0,0,1] op_sel_hi:[1,0,0]
	v_mov_b32_e32 v103, v99
	ds_load_2addr_b64 v[98:101], v92 offset0:16 offset1:17
	v_pk_add_f32 v[74:75], v[74:75], v[104:105] neg_lo:[0,1] neg_hi:[0,1]
	v_pk_add_f32 v[70:71], v[70:71], v[102:103] neg_lo:[0,1] neg_hi:[0,1]
	s_wait_dscnt 0x0
	v_pk_mul_f32 v[102:103], v[98:99], v[90:91] op_sel:[0,1]
	s_delay_alu instid0(VALU_DEP_1) | instskip(SKIP_2) | instid1(VALU_DEP_2)
	v_pk_fma_f32 v[104:105], v[98:99], v[88:89], v[102:103] op_sel:[0,0,1] op_sel_hi:[1,1,0] neg_lo:[0,0,1] neg_hi:[0,0,1]
	v_pk_fma_f32 v[98:99], v[98:99], v[88:89], v[102:103] op_sel:[0,0,1] op_sel_hi:[1,0,0]
	v_dual_mul_f32 v102, v101, v91 :: v_dual_mov_b32 v98, v101
	v_dual_mov_b32 v105, v99 :: v_dual_mov_b32 v99, v100
	s_delay_alu instid0(VALU_DEP_2) | instskip(SKIP_1) | instid1(VALU_DEP_3)
	v_pk_fma_f32 v[102:103], v[100:101], v[72:73], v[102:103] op_sel_hi:[1,1,0] neg_lo:[0,0,1] neg_hi:[0,0,1]
	v_mul_f32_e32 v100, v101, v88
	v_pk_add_f32 v[68:69], v[68:69], v[104:105] neg_lo:[0,1] neg_hi:[0,1]
	s_delay_alu instid0(VALU_DEP_2) | instskip(NEXT) | instid1(VALU_DEP_1)
	v_pk_fma_f32 v[98:99], v[98:99], v[72:73], v[100:101] op_sel_hi:[1,1,0]
	v_mov_b32_e32 v103, v99
	ds_load_2addr_b64 v[98:101], v92 offset0:18 offset1:19
	v_pk_add_f32 v[64:65], v[64:65], v[102:103] neg_lo:[0,1] neg_hi:[0,1]
	s_wait_dscnt 0x0
	v_pk_mul_f32 v[102:103], v[98:99], v[90:91] op_sel:[0,1]
	s_delay_alu instid0(VALU_DEP_1) | instskip(SKIP_1) | instid1(VALU_DEP_1)
	v_pk_fma_f32 v[104:105], v[98:99], v[88:89], v[102:103] op_sel:[0,0,1] op_sel_hi:[1,1,0] neg_lo:[0,0,1] neg_hi:[0,0,1]
	v_pk_fma_f32 v[98:99], v[98:99], v[88:89], v[102:103] op_sel:[0,0,1] op_sel_hi:[1,0,0]
	v_mov_b32_e32 v105, v99
	v_pk_mul_f32 v[98:99], v[100:101], v[90:91] op_sel:[0,1]
	s_delay_alu instid0(VALU_DEP_1) | instskip(SKIP_1) | instid1(VALU_DEP_1)
	v_pk_fma_f32 v[102:103], v[100:101], v[88:89], v[98:99] op_sel:[0,0,1] op_sel_hi:[1,1,0] neg_lo:[0,0,1] neg_hi:[0,0,1]
	v_pk_fma_f32 v[98:99], v[100:101], v[88:89], v[98:99] op_sel:[0,0,1] op_sel_hi:[1,0,0]
	v_mov_b32_e32 v103, v99
	ds_load_2addr_b64 v[98:101], v92 offset0:20 offset1:21
	v_pk_add_f32 v[66:67], v[66:67], v[104:105] neg_lo:[0,1] neg_hi:[0,1]
	v_pk_add_f32 v[62:63], v[62:63], v[102:103] neg_lo:[0,1] neg_hi:[0,1]
	s_wait_dscnt 0x0
	v_pk_mul_f32 v[102:103], v[98:99], v[90:91] op_sel:[0,1]
	s_delay_alu instid0(VALU_DEP_1) | instskip(SKIP_1) | instid1(VALU_DEP_1)
	v_pk_fma_f32 v[104:105], v[98:99], v[88:89], v[102:103] op_sel:[0,0,1] op_sel_hi:[1,1,0] neg_lo:[0,0,1] neg_hi:[0,0,1]
	v_pk_fma_f32 v[98:99], v[98:99], v[88:89], v[102:103] op_sel:[0,0,1] op_sel_hi:[1,0,0]
	v_mov_b32_e32 v105, v99
	v_pk_mul_f32 v[98:99], v[100:101], v[90:91] op_sel:[0,1]
	s_delay_alu instid0(VALU_DEP_1) | instskip(SKIP_1) | instid1(VALU_DEP_1)
	v_pk_fma_f32 v[102:103], v[100:101], v[88:89], v[98:99] op_sel:[0,0,1] op_sel_hi:[1,1,0] neg_lo:[0,0,1] neg_hi:[0,0,1]
	v_pk_fma_f32 v[98:99], v[100:101], v[88:89], v[98:99] op_sel:[0,0,1] op_sel_hi:[1,0,0]
	v_mov_b32_e32 v103, v99
	ds_load_2addr_b64 v[98:101], v92 offset0:22 offset1:23
	v_pk_add_f32 v[60:61], v[60:61], v[104:105] neg_lo:[0,1] neg_hi:[0,1]
	v_pk_add_f32 v[56:57], v[56:57], v[102:103] neg_lo:[0,1] neg_hi:[0,1]
	s_wait_dscnt 0x0
	v_dual_mul_f32 v102, v99, v91 :: v_dual_mul_f32 v104, v99, v88
	s_delay_alu instid0(VALU_DEP_1) | instskip(NEXT) | instid1(VALU_DEP_2)
	v_pk_fma_f32 v[102:103], v[98:99], v[72:73], v[102:103] op_sel_hi:[1,1,0] neg_lo:[0,0,1] neg_hi:[0,0,1]
	v_pk_fma_f32 v[98:99], v[98:99], v[72:73], v[104:105] op_sel:[1,0,0] op_sel_hi:[0,1,0]
	s_delay_alu instid0(VALU_DEP_1) | instskip(SKIP_1) | instid1(VALU_DEP_2)
	v_mov_b32_e32 v103, v99
	v_pk_mul_f32 v[98:99], v[100:101], v[90:91] op_sel:[0,1]
	v_pk_add_f32 v[58:59], v[58:59], v[102:103] neg_lo:[0,1] neg_hi:[0,1]
	s_delay_alu instid0(VALU_DEP_2) | instskip(SKIP_1) | instid1(VALU_DEP_1)
	v_pk_fma_f32 v[102:103], v[100:101], v[88:89], v[98:99] op_sel:[0,0,1] op_sel_hi:[1,1,0] neg_lo:[0,0,1] neg_hi:[0,0,1]
	v_pk_fma_f32 v[98:99], v[100:101], v[88:89], v[98:99] op_sel:[0,0,1] op_sel_hi:[1,0,0]
	v_mov_b32_e32 v103, v99
	ds_load_2addr_b64 v[98:101], v92 offset0:24 offset1:25
	v_pk_add_f32 v[54:55], v[54:55], v[102:103] neg_lo:[0,1] neg_hi:[0,1]
	s_wait_dscnt 0x0
	v_pk_mul_f32 v[102:103], v[98:99], v[90:91] op_sel:[0,1]
	s_delay_alu instid0(VALU_DEP_1) | instskip(SKIP_1) | instid1(VALU_DEP_1)
	v_pk_fma_f32 v[104:105], v[98:99], v[88:89], v[102:103] op_sel:[0,0,1] op_sel_hi:[1,1,0] neg_lo:[0,0,1] neg_hi:[0,0,1]
	v_pk_fma_f32 v[98:99], v[98:99], v[88:89], v[102:103] op_sel:[0,0,1] op_sel_hi:[1,0,0]
	v_mov_b32_e32 v105, v99
	v_pk_mul_f32 v[98:99], v[100:101], v[90:91] op_sel:[0,1]
	s_delay_alu instid0(VALU_DEP_2) | instskip(NEXT) | instid1(VALU_DEP_2)
	v_pk_add_f32 v[52:53], v[52:53], v[104:105] neg_lo:[0,1] neg_hi:[0,1]
	v_pk_fma_f32 v[102:103], v[100:101], v[88:89], v[98:99] op_sel:[0,0,1] op_sel_hi:[1,1,0] neg_lo:[0,0,1] neg_hi:[0,0,1]
	v_pk_fma_f32 v[98:99], v[100:101], v[88:89], v[98:99] op_sel:[0,0,1] op_sel_hi:[1,0,0]
	s_delay_alu instid0(VALU_DEP_1) | instskip(SKIP_4) | instid1(VALU_DEP_1)
	v_mov_b32_e32 v103, v99
	ds_load_2addr_b64 v[98:101], v92 offset0:26 offset1:27
	v_pk_add_f32 v[48:49], v[48:49], v[102:103] neg_lo:[0,1] neg_hi:[0,1]
	s_wait_dscnt 0x0
	v_pk_mul_f32 v[102:103], v[98:99], v[90:91] op_sel:[0,1]
	v_pk_fma_f32 v[104:105], v[98:99], v[88:89], v[102:103] op_sel:[0,0,1] op_sel_hi:[1,1,0] neg_lo:[0,0,1] neg_hi:[0,0,1]
	v_pk_fma_f32 v[98:99], v[98:99], v[88:89], v[102:103] op_sel:[0,0,1] op_sel_hi:[1,0,0]
	v_dual_mul_f32 v102, v101, v91 :: v_dual_mov_b32 v98, v101
	s_delay_alu instid0(VALU_DEP_2) | instskip(NEXT) | instid1(VALU_DEP_2)
	v_dual_mov_b32 v105, v99 :: v_dual_mov_b32 v99, v100
	v_pk_fma_f32 v[102:103], v[100:101], v[72:73], v[102:103] op_sel_hi:[1,1,0] neg_lo:[0,0,1] neg_hi:[0,0,1]
	v_mul_f32_e32 v100, v101, v88
	s_delay_alu instid0(VALU_DEP_3) | instskip(NEXT) | instid1(VALU_DEP_2)
	v_pk_add_f32 v[50:51], v[50:51], v[104:105] neg_lo:[0,1] neg_hi:[0,1]
	v_pk_fma_f32 v[98:99], v[98:99], v[72:73], v[100:101] op_sel_hi:[1,1,0]
	s_delay_alu instid0(VALU_DEP_1) | instskip(SKIP_4) | instid1(VALU_DEP_1)
	v_mov_b32_e32 v103, v99
	ds_load_2addr_b64 v[98:101], v92 offset0:28 offset1:29
	v_pk_add_f32 v[46:47], v[46:47], v[102:103] neg_lo:[0,1] neg_hi:[0,1]
	s_wait_dscnt 0x0
	v_pk_mul_f32 v[102:103], v[98:99], v[90:91] op_sel:[0,1]
	v_pk_fma_f32 v[104:105], v[98:99], v[88:89], v[102:103] op_sel:[0,0,1] op_sel_hi:[1,1,0] neg_lo:[0,0,1] neg_hi:[0,0,1]
	v_pk_fma_f32 v[98:99], v[98:99], v[88:89], v[102:103] op_sel:[0,0,1] op_sel_hi:[1,0,0]
	s_delay_alu instid0(VALU_DEP_1) | instskip(SKIP_1) | instid1(VALU_DEP_1)
	v_mov_b32_e32 v105, v99
	v_pk_mul_f32 v[98:99], v[100:101], v[90:91] op_sel:[0,1]
	v_pk_fma_f32 v[102:103], v[100:101], v[88:89], v[98:99] op_sel:[0,0,1] op_sel_hi:[1,1,0] neg_lo:[0,0,1] neg_hi:[0,0,1]
	v_pk_fma_f32 v[98:99], v[100:101], v[88:89], v[98:99] op_sel:[0,0,1] op_sel_hi:[1,0,0]
	s_delay_alu instid0(VALU_DEP_1)
	v_mov_b32_e32 v103, v99
	ds_load_2addr_b64 v[98:101], v92 offset0:30 offset1:31
	v_pk_add_f32 v[42:43], v[42:43], v[104:105] neg_lo:[0,1] neg_hi:[0,1]
	v_pk_add_f32 v[38:39], v[38:39], v[102:103] neg_lo:[0,1] neg_hi:[0,1]
	s_wait_dscnt 0x0
	v_pk_mul_f32 v[102:103], v[98:99], v[90:91] op_sel:[0,1]
	s_delay_alu instid0(VALU_DEP_1) | instskip(SKIP_1) | instid1(VALU_DEP_1)
	v_pk_fma_f32 v[104:105], v[98:99], v[88:89], v[102:103] op_sel:[0,0,1] op_sel_hi:[1,1,0] neg_lo:[0,0,1] neg_hi:[0,0,1]
	v_pk_fma_f32 v[98:99], v[98:99], v[88:89], v[102:103] op_sel:[0,0,1] op_sel_hi:[1,0,0]
	v_mov_b32_e32 v105, v99
	v_pk_mul_f32 v[98:99], v[100:101], v[90:91] op_sel:[0,1]
	s_delay_alu instid0(VALU_DEP_1) | instskip(SKIP_1) | instid1(VALU_DEP_1)
	v_pk_fma_f32 v[102:103], v[100:101], v[88:89], v[98:99] op_sel:[0,0,1] op_sel_hi:[1,1,0] neg_lo:[0,0,1] neg_hi:[0,0,1]
	v_pk_fma_f32 v[98:99], v[100:101], v[88:89], v[98:99] op_sel:[0,0,1] op_sel_hi:[1,0,0]
	v_mov_b32_e32 v103, v99
	ds_load_2addr_b64 v[98:101], v92 offset0:32 offset1:33
	v_pk_add_f32 v[40:41], v[40:41], v[104:105] neg_lo:[0,1] neg_hi:[0,1]
	v_pk_add_f32 v[36:37], v[36:37], v[102:103] neg_lo:[0,1] neg_hi:[0,1]
	s_wait_dscnt 0x0
	v_dual_mul_f32 v102, v99, v91 :: v_dual_mul_f32 v104, v99, v88
	s_delay_alu instid0(VALU_DEP_1) | instskip(NEXT) | instid1(VALU_DEP_2)
	v_pk_fma_f32 v[102:103], v[98:99], v[72:73], v[102:103] op_sel_hi:[1,1,0] neg_lo:[0,0,1] neg_hi:[0,0,1]
	v_pk_fma_f32 v[98:99], v[98:99], v[72:73], v[104:105] op_sel:[1,0,0] op_sel_hi:[0,1,0]
	s_delay_alu instid0(VALU_DEP_1) | instskip(SKIP_1) | instid1(VALU_DEP_2)
	v_mov_b32_e32 v103, v99
	v_pk_mul_f32 v[98:99], v[100:101], v[90:91] op_sel:[0,1]
	v_pk_add_f32 v[14:15], v[14:15], v[102:103] neg_lo:[0,1] neg_hi:[0,1]
	s_delay_alu instid0(VALU_DEP_2) | instskip(SKIP_1) | instid1(VALU_DEP_1)
	v_pk_fma_f32 v[102:103], v[100:101], v[88:89], v[98:99] op_sel:[0,0,1] op_sel_hi:[1,1,0] neg_lo:[0,0,1] neg_hi:[0,0,1]
	v_pk_fma_f32 v[98:99], v[100:101], v[88:89], v[98:99] op_sel:[0,0,1] op_sel_hi:[1,0,0]
	v_mov_b32_e32 v103, v99
	ds_load_2addr_b64 v[98:101], v92 offset0:34 offset1:35
	v_pk_add_f32 v[10:11], v[10:11], v[102:103] neg_lo:[0,1] neg_hi:[0,1]
	s_wait_dscnt 0x0
	v_pk_mul_f32 v[102:103], v[98:99], v[90:91] op_sel:[0,1]
	s_delay_alu instid0(VALU_DEP_1) | instskip(SKIP_1) | instid1(VALU_DEP_1)
	v_pk_fma_f32 v[104:105], v[98:99], v[88:89], v[102:103] op_sel:[0,0,1] op_sel_hi:[1,1,0] neg_lo:[0,0,1] neg_hi:[0,0,1]
	v_pk_fma_f32 v[98:99], v[98:99], v[88:89], v[102:103] op_sel:[0,0,1] op_sel_hi:[1,0,0]
	v_mov_b32_e32 v105, v99
	v_pk_mul_f32 v[98:99], v[100:101], v[90:91] op_sel:[0,1]
	s_delay_alu instid0(VALU_DEP_2) | instskip(NEXT) | instid1(VALU_DEP_2)
	v_pk_add_f32 v[12:13], v[12:13], v[104:105] neg_lo:[0,1] neg_hi:[0,1]
	v_pk_fma_f32 v[102:103], v[100:101], v[88:89], v[98:99] op_sel:[0,0,1] op_sel_hi:[1,1,0] neg_lo:[0,0,1] neg_hi:[0,0,1]
	v_pk_fma_f32 v[98:99], v[100:101], v[88:89], v[98:99] op_sel:[0,0,1] op_sel_hi:[1,0,0]
	s_delay_alu instid0(VALU_DEP_1) | instskip(SKIP_4) | instid1(VALU_DEP_1)
	v_mov_b32_e32 v103, v99
	ds_load_2addr_b64 v[98:101], v92 offset0:36 offset1:37
	v_pk_add_f32 v[8:9], v[8:9], v[102:103] neg_lo:[0,1] neg_hi:[0,1]
	s_wait_dscnt 0x0
	v_pk_mul_f32 v[102:103], v[98:99], v[90:91] op_sel:[0,1]
	v_pk_fma_f32 v[104:105], v[98:99], v[88:89], v[102:103] op_sel:[0,0,1] op_sel_hi:[1,1,0] neg_lo:[0,0,1] neg_hi:[0,0,1]
	v_pk_fma_f32 v[98:99], v[98:99], v[88:89], v[102:103] op_sel:[0,0,1] op_sel_hi:[1,0,0]
	v_dual_mul_f32 v102, v101, v91 :: v_dual_mov_b32 v98, v101
	s_delay_alu instid0(VALU_DEP_2) | instskip(NEXT) | instid1(VALU_DEP_2)
	v_dual_mov_b32 v105, v99 :: v_dual_mov_b32 v99, v100
	v_pk_fma_f32 v[102:103], v[100:101], v[72:73], v[102:103] op_sel_hi:[1,1,0] neg_lo:[0,0,1] neg_hi:[0,0,1]
	v_mul_f32_e32 v100, v101, v88
	s_delay_alu instid0(VALU_DEP_3) | instskip(NEXT) | instid1(VALU_DEP_2)
	v_pk_add_f32 v[6:7], v[6:7], v[104:105] neg_lo:[0,1] neg_hi:[0,1]
	v_pk_fma_f32 v[98:99], v[98:99], v[72:73], v[100:101] op_sel_hi:[1,1,0]
	s_delay_alu instid0(VALU_DEP_1) | instskip(SKIP_4) | instid1(VALU_DEP_1)
	v_mov_b32_e32 v103, v99
	ds_load_2addr_b64 v[98:101], v92 offset0:38 offset1:39
	v_pk_add_f32 v[44:45], v[44:45], v[102:103] neg_lo:[0,1] neg_hi:[0,1]
	s_wait_dscnt 0x0
	v_pk_mul_f32 v[102:103], v[98:99], v[90:91] op_sel:[0,1]
	v_pk_fma_f32 v[104:105], v[98:99], v[88:89], v[102:103] op_sel:[0,0,1] op_sel_hi:[1,1,0] neg_lo:[0,0,1] neg_hi:[0,0,1]
	v_pk_fma_f32 v[98:99], v[98:99], v[88:89], v[102:103] op_sel:[0,0,1] op_sel_hi:[1,0,0]
	s_delay_alu instid0(VALU_DEP_1) | instskip(SKIP_1) | instid1(VALU_DEP_1)
	v_mov_b32_e32 v105, v99
	v_pk_mul_f32 v[98:99], v[100:101], v[90:91] op_sel:[0,1]
	v_pk_fma_f32 v[102:103], v[100:101], v[88:89], v[98:99] op_sel:[0,0,1] op_sel_hi:[1,1,0] neg_lo:[0,0,1] neg_hi:[0,0,1]
	v_pk_fma_f32 v[98:99], v[100:101], v[88:89], v[98:99] op_sel:[0,0,1] op_sel_hi:[1,0,0]
	s_delay_alu instid0(VALU_DEP_1)
	v_mov_b32_e32 v103, v99
	ds_load_b64 v[98:99], v92 offset:320
	v_pk_add_f32 v[22:23], v[22:23], v[104:105] neg_lo:[0,1] neg_hi:[0,1]
	v_pk_add_f32 v[16:17], v[16:17], v[102:103] neg_lo:[0,1] neg_hi:[0,1]
	s_wait_dscnt 0x0
	v_pk_mul_f32 v[90:91], v[98:99], v[90:91] op_sel:[0,1]
	s_delay_alu instid0(VALU_DEP_1) | instskip(SKIP_1) | instid1(VALU_DEP_1)
	v_pk_fma_f32 v[100:101], v[98:99], v[88:89], v[90:91] op_sel:[0,0,1] op_sel_hi:[1,1,0] neg_lo:[0,0,1] neg_hi:[0,0,1]
	v_pk_fma_f32 v[88:89], v[98:99], v[88:89], v[90:91] op_sel:[0,0,1] op_sel_hi:[1,0,0]
	v_mov_b32_e32 v101, v89
	s_delay_alu instid0(VALU_DEP_1)
	v_pk_add_f32 v[86:87], v[86:87], v[100:101] neg_lo:[0,1] neg_hi:[0,1]
.LBB80_293:
	s_or_b32 exec_lo, exec_lo, s0
	v_lshl_add_u32 v88, v96, 3, v92
	s_barrier_signal -1
	s_barrier_wait -1
	ds_store_b64 v88, v[74:75]
	s_wait_dscnt 0x0
	s_barrier_signal -1
	s_barrier_wait -1
	ds_load_b64 v[90:91], v92 offset:112
	v_mov_b32_e32 v88, 14
	s_cmp_lt_i32 s18, 16
	s_cbranch_scc1 .LBB80_296
; %bb.294:
	v_add3_u32 v89, v93, 0, 0x78
	v_mov_b32_e32 v88, 14
	s_mov_b32 s0, 15
.LBB80_295:                             ; =>This Inner Loop Header: Depth=1
	ds_load_b64 v[98:99], v89
	s_wait_dscnt 0x1
	v_cmp_gt_f32_e32 vcc_lo, 0, v90
	v_cndmask_b32_e64 v100, v90, -v90, vcc_lo
	v_cmp_gt_f32_e32 vcc_lo, 0, v91
	v_cndmask_b32_e64 v102, v91, -v91, vcc_lo
	s_wait_dscnt 0x0
	v_cmp_gt_f32_e32 vcc_lo, 0, v98
	v_cndmask_b32_e64 v101, v98, -v98, vcc_lo
	v_cmp_gt_f32_e32 vcc_lo, 0, v99
	v_cndmask_b32_e64 v103, v99, -v99, vcc_lo
	s_delay_alu instid0(VALU_DEP_1) | instskip(NEXT) | instid1(VALU_DEP_1)
	v_pk_add_f32 v[100:101], v[100:101], v[102:103]
	v_cmp_lt_f32_e32 vcc_lo, v100, v101
	v_dual_add_nc_u32 v89, 8, v89 :: v_dual_cndmask_b32 v91, v91, v99, vcc_lo
	v_cndmask_b32_e32 v90, v90, v98, vcc_lo
	v_cndmask_b32_e64 v88, v88, s0, vcc_lo
	s_add_co_i32 s0, s0, 1
	s_delay_alu instid0(SALU_CYCLE_1)
	s_cmp_lg_u32 s18, s0
	s_cbranch_scc1 .LBB80_295
.LBB80_296:
	s_wait_dscnt 0x0
	v_cmp_eq_f32_e32 vcc_lo, 0, v90
	v_cmp_eq_f32_e64 s0, 0, v91
	s_and_b32 s0, vcc_lo, s0
	s_delay_alu instid0(SALU_CYCLE_1) | instskip(NEXT) | instid1(SALU_CYCLE_1)
	s_and_saveexec_b32 s1, s0
	s_xor_b32 s0, exec_lo, s1
; %bb.297:
	v_cmp_ne_u32_e32 vcc_lo, 0, v94
	v_cndmask_b32_e32 v94, 15, v94, vcc_lo
; %bb.298:
	s_and_not1_saveexec_b32 s0, s0
	s_cbranch_execz .LBB80_304
; %bb.299:
	v_cmp_ngt_f32_e64 s1, |v90|, |v91|
	s_and_saveexec_b32 s12, s1
	s_delay_alu instid0(SALU_CYCLE_1)
	s_xor_b32 s1, exec_lo, s12
	s_cbranch_execz .LBB80_301
; %bb.300:
	v_div_scale_f32 v89, null, v91, v91, v90
	v_div_scale_f32 v99, vcc_lo, v90, v91, v90
	s_delay_alu instid0(VALU_DEP_2) | instskip(SKIP_1) | instid1(TRANS32_DEP_1)
	v_rcp_f32_e32 v97, v89
	v_nop
	v_fma_f32 v98, -v89, v97, 1.0
	s_delay_alu instid0(VALU_DEP_1) | instskip(NEXT) | instid1(VALU_DEP_1)
	v_fmac_f32_e32 v97, v98, v97
	v_mul_f32_e32 v98, v99, v97
	s_delay_alu instid0(VALU_DEP_1) | instskip(NEXT) | instid1(VALU_DEP_1)
	v_fma_f32 v100, -v89, v98, v99
	v_fmac_f32_e32 v98, v100, v97
	s_delay_alu instid0(VALU_DEP_1) | instskip(NEXT) | instid1(VALU_DEP_1)
	v_fma_f32 v89, -v89, v98, v99
	v_div_fmas_f32 v89, v89, v97, v98
	s_delay_alu instid0(VALU_DEP_1) | instskip(NEXT) | instid1(VALU_DEP_1)
	v_div_fixup_f32 v89, v89, v91, v90
	v_fmac_f32_e32 v91, v90, v89
	s_delay_alu instid0(VALU_DEP_1) | instskip(SKIP_1) | instid1(VALU_DEP_2)
	v_div_scale_f32 v90, null, v91, v91, 1.0
	v_div_scale_f32 v99, vcc_lo, 1.0, v91, 1.0
	v_rcp_f32_e32 v97, v90
	v_nop
	s_delay_alu instid0(TRANS32_DEP_1) | instskip(NEXT) | instid1(VALU_DEP_1)
	v_fma_f32 v98, -v90, v97, 1.0
	v_fmac_f32_e32 v97, v98, v97
	s_delay_alu instid0(VALU_DEP_1) | instskip(NEXT) | instid1(VALU_DEP_1)
	v_mul_f32_e32 v98, v99, v97
	v_fma_f32 v100, -v90, v98, v99
	s_delay_alu instid0(VALU_DEP_1) | instskip(NEXT) | instid1(VALU_DEP_1)
	v_fmac_f32_e32 v98, v100, v97
	v_fma_f32 v90, -v90, v98, v99
	s_delay_alu instid0(VALU_DEP_1) | instskip(NEXT) | instid1(VALU_DEP_1)
	v_div_fmas_f32 v90, v90, v97, v98
	v_div_fixup_f32 v91, v90, v91, 1.0
	s_delay_alu instid0(VALU_DEP_1)
	v_mul_f32_e32 v90, v89, v91
	v_xor_b32_e32 v91, 0x80000000, v91
.LBB80_301:
	s_and_not1_saveexec_b32 s1, s1
	s_cbranch_execz .LBB80_303
; %bb.302:
	s_delay_alu instid0(VALU_DEP_1) | instskip(SKIP_1) | instid1(VALU_DEP_2)
	v_div_scale_f32 v89, null, v90, v90, v91
	v_div_scale_f32 v99, vcc_lo, v91, v90, v91
	v_rcp_f32_e32 v97, v89
	v_nop
	s_delay_alu instid0(TRANS32_DEP_1) | instskip(NEXT) | instid1(VALU_DEP_1)
	v_fma_f32 v98, -v89, v97, 1.0
	v_fmac_f32_e32 v97, v98, v97
	s_delay_alu instid0(VALU_DEP_1) | instskip(NEXT) | instid1(VALU_DEP_1)
	v_mul_f32_e32 v98, v99, v97
	v_fma_f32 v100, -v89, v98, v99
	s_delay_alu instid0(VALU_DEP_1) | instskip(NEXT) | instid1(VALU_DEP_1)
	v_fmac_f32_e32 v98, v100, v97
	v_fma_f32 v89, -v89, v98, v99
	s_delay_alu instid0(VALU_DEP_1) | instskip(NEXT) | instid1(VALU_DEP_1)
	v_div_fmas_f32 v89, v89, v97, v98
	v_div_fixup_f32 v89, v89, v90, v91
	s_delay_alu instid0(VALU_DEP_1) | instskip(NEXT) | instid1(VALU_DEP_1)
	v_fmac_f32_e32 v90, v91, v89
	v_div_scale_f32 v91, null, v90, v90, 1.0
	s_delay_alu instid0(VALU_DEP_1) | instskip(SKIP_1) | instid1(TRANS32_DEP_1)
	v_rcp_f32_e32 v97, v91
	v_nop
	v_fma_f32 v98, -v91, v97, 1.0
	s_delay_alu instid0(VALU_DEP_1) | instskip(SKIP_1) | instid1(VALU_DEP_1)
	v_fmac_f32_e32 v97, v98, v97
	v_div_scale_f32 v98, vcc_lo, 1.0, v90, 1.0
	v_mul_f32_e32 v99, v98, v97
	s_delay_alu instid0(VALU_DEP_1) | instskip(NEXT) | instid1(VALU_DEP_1)
	v_fma_f32 v100, -v91, v99, v98
	v_fmac_f32_e32 v99, v100, v97
	s_delay_alu instid0(VALU_DEP_1) | instskip(NEXT) | instid1(VALU_DEP_1)
	v_fma_f32 v91, -v91, v99, v98
	v_div_fmas_f32 v91, v91, v97, v99
	s_delay_alu instid0(VALU_DEP_1) | instskip(NEXT) | instid1(VALU_DEP_1)
	v_div_fixup_f32 v90, v91, v90, 1.0
	v_mul_f32_e64 v91, v89, -v90
.LBB80_303:
	s_or_b32 exec_lo, exec_lo, s1
.LBB80_304:
	s_delay_alu instid0(SALU_CYCLE_1) | instskip(NEXT) | instid1(SALU_CYCLE_1)
	s_or_b32 exec_lo, exec_lo, s0
	s_mov_b32 s0, exec_lo
	v_cmpx_ne_u32_e64 v96, v88
	s_xor_b32 s0, exec_lo, s0
	s_cbranch_execz .LBB80_310
; %bb.305:
	s_mov_b32 s1, exec_lo
	v_cmpx_eq_u32_e32 14, v96
	s_cbranch_execz .LBB80_309
; %bb.306:
	v_cmp_ne_u32_e32 vcc_lo, 14, v88
	s_xor_b32 s12, s16, -1
	s_delay_alu instid0(SALU_CYCLE_1) | instskip(NEXT) | instid1(SALU_CYCLE_1)
	s_and_b32 s13, s12, vcc_lo
	s_and_saveexec_b32 s12, s13
	s_cbranch_execz .LBB80_308
; %bb.307:
	v_ashrrev_i32_e32 v89, 31, v88
	s_delay_alu instid0(VALU_DEP_1)
	v_lshl_add_u64 v[96:97], v[88:89], 2, v[4:5]
	s_clause 0x1
	global_load_b32 v89, v[96:97], off
	global_load_b32 v95, v[4:5], off offset:56
	s_wait_loadcnt 0x1
	global_store_b32 v[4:5], v89, off offset:56
	s_wait_loadcnt 0x0
	global_store_b32 v[96:97], v95, off
.LBB80_308:
	s_wait_xcnt 0x0
	s_or_b32 exec_lo, exec_lo, s12
	v_dual_mov_b32 v96, v88 :: v_dual_mov_b32 v95, v88
.LBB80_309:
	s_or_b32 exec_lo, exec_lo, s1
.LBB80_310:
	s_and_not1_saveexec_b32 s0, s0
	s_cbranch_execz .LBB80_312
; %bb.311:
	v_mov_b32_e32 v96, 14
	ds_store_2addr_b64 v92, v[70:71], v[68:69] offset0:15 offset1:16
	ds_store_2addr_b64 v92, v[64:65], v[66:67] offset0:17 offset1:18
	;; [unrolled: 1-line block ×13, first 2 shown]
.LBB80_312:
	s_or_b32 exec_lo, exec_lo, s0
	s_delay_alu instid0(SALU_CYCLE_1)
	s_mov_b32 s0, exec_lo
	s_wait_storecnt_dscnt 0x0
	s_barrier_signal -1
	s_barrier_wait -1
	v_cmpx_lt_i32_e32 14, v96
	s_cbranch_execz .LBB80_314
; %bb.313:
	v_pk_mul_f32 v[98:99], v[90:91], v[74:75] op_sel:[1,1] op_sel_hi:[0,1]
	s_delay_alu instid0(VALU_DEP_1)
	v_pk_fma_f32 v[88:89], v[90:91], v[74:75], v[98:99] op_sel_hi:[1,0,1] neg_lo:[0,0,1] neg_hi:[0,0,1]
	v_pk_fma_f32 v[90:91], v[90:91], v[74:75], v[98:99] op_sel_hi:[1,0,1]
	ds_load_2addr_b64 v[98:101], v92 offset0:15 offset1:16
	v_dual_mov_b32 v74, v88 :: v_dual_mov_b32 v75, v91
	s_wait_dscnt 0x0
	v_pk_mul_f32 v[102:103], v[98:99], v[90:91] op_sel:[0,1]
	s_delay_alu instid0(VALU_DEP_1) | instskip(SKIP_1) | instid1(VALU_DEP_1)
	v_pk_fma_f32 v[104:105], v[98:99], v[88:89], v[102:103] op_sel:[0,0,1] op_sel_hi:[1,1,0] neg_lo:[0,0,1] neg_hi:[0,0,1]
	v_pk_fma_f32 v[98:99], v[98:99], v[88:89], v[102:103] op_sel:[0,0,1] op_sel_hi:[1,0,0]
	v_mov_b32_e32 v105, v99
	v_pk_mul_f32 v[98:99], v[100:101], v[90:91] op_sel:[0,1]
	s_delay_alu instid0(VALU_DEP_1) | instskip(SKIP_1) | instid1(VALU_DEP_1)
	v_pk_fma_f32 v[102:103], v[100:101], v[88:89], v[98:99] op_sel:[0,0,1] op_sel_hi:[1,1,0] neg_lo:[0,0,1] neg_hi:[0,0,1]
	v_pk_fma_f32 v[98:99], v[100:101], v[88:89], v[98:99] op_sel:[0,0,1] op_sel_hi:[1,0,0]
	v_mov_b32_e32 v103, v99
	ds_load_2addr_b64 v[98:101], v92 offset0:17 offset1:18
	v_pk_add_f32 v[70:71], v[70:71], v[104:105] neg_lo:[0,1] neg_hi:[0,1]
	v_pk_add_f32 v[68:69], v[68:69], v[102:103] neg_lo:[0,1] neg_hi:[0,1]
	s_wait_dscnt 0x0
	v_pk_mul_f32 v[102:103], v[98:99], v[90:91] op_sel:[0,1]
	s_delay_alu instid0(VALU_DEP_1) | instskip(SKIP_2) | instid1(VALU_DEP_2)
	v_pk_fma_f32 v[104:105], v[98:99], v[88:89], v[102:103] op_sel:[0,0,1] op_sel_hi:[1,1,0] neg_lo:[0,0,1] neg_hi:[0,0,1]
	v_pk_fma_f32 v[98:99], v[98:99], v[88:89], v[102:103] op_sel:[0,0,1] op_sel_hi:[1,0,0]
	v_dual_mul_f32 v102, v101, v91 :: v_dual_mov_b32 v98, v101
	v_dual_mov_b32 v105, v99 :: v_dual_mov_b32 v99, v100
	s_delay_alu instid0(VALU_DEP_2) | instskip(SKIP_1) | instid1(VALU_DEP_3)
	v_pk_fma_f32 v[102:103], v[100:101], v[74:75], v[102:103] op_sel_hi:[1,1,0] neg_lo:[0,0,1] neg_hi:[0,0,1]
	v_mul_f32_e32 v100, v101, v88
	v_pk_add_f32 v[64:65], v[64:65], v[104:105] neg_lo:[0,1] neg_hi:[0,1]
	s_delay_alu instid0(VALU_DEP_2) | instskip(NEXT) | instid1(VALU_DEP_1)
	v_pk_fma_f32 v[98:99], v[98:99], v[74:75], v[100:101] op_sel_hi:[1,1,0]
	v_mov_b32_e32 v103, v99
	ds_load_2addr_b64 v[98:101], v92 offset0:19 offset1:20
	v_pk_add_f32 v[66:67], v[66:67], v[102:103] neg_lo:[0,1] neg_hi:[0,1]
	s_wait_dscnt 0x0
	v_pk_mul_f32 v[102:103], v[98:99], v[90:91] op_sel:[0,1]
	s_delay_alu instid0(VALU_DEP_1) | instskip(SKIP_1) | instid1(VALU_DEP_1)
	v_pk_fma_f32 v[104:105], v[98:99], v[88:89], v[102:103] op_sel:[0,0,1] op_sel_hi:[1,1,0] neg_lo:[0,0,1] neg_hi:[0,0,1]
	v_pk_fma_f32 v[98:99], v[98:99], v[88:89], v[102:103] op_sel:[0,0,1] op_sel_hi:[1,0,0]
	v_mov_b32_e32 v105, v99
	v_pk_mul_f32 v[98:99], v[100:101], v[90:91] op_sel:[0,1]
	s_delay_alu instid0(VALU_DEP_1) | instskip(SKIP_1) | instid1(VALU_DEP_1)
	v_pk_fma_f32 v[102:103], v[100:101], v[88:89], v[98:99] op_sel:[0,0,1] op_sel_hi:[1,1,0] neg_lo:[0,0,1] neg_hi:[0,0,1]
	v_pk_fma_f32 v[98:99], v[100:101], v[88:89], v[98:99] op_sel:[0,0,1] op_sel_hi:[1,0,0]
	v_mov_b32_e32 v103, v99
	ds_load_2addr_b64 v[98:101], v92 offset0:21 offset1:22
	v_pk_add_f32 v[62:63], v[62:63], v[104:105] neg_lo:[0,1] neg_hi:[0,1]
	v_pk_add_f32 v[60:61], v[60:61], v[102:103] neg_lo:[0,1] neg_hi:[0,1]
	s_wait_dscnt 0x0
	v_pk_mul_f32 v[102:103], v[98:99], v[90:91] op_sel:[0,1]
	s_delay_alu instid0(VALU_DEP_1) | instskip(SKIP_1) | instid1(VALU_DEP_1)
	v_pk_fma_f32 v[104:105], v[98:99], v[88:89], v[102:103] op_sel:[0,0,1] op_sel_hi:[1,1,0] neg_lo:[0,0,1] neg_hi:[0,0,1]
	v_pk_fma_f32 v[98:99], v[98:99], v[88:89], v[102:103] op_sel:[0,0,1] op_sel_hi:[1,0,0]
	v_mov_b32_e32 v105, v99
	v_pk_mul_f32 v[98:99], v[100:101], v[90:91] op_sel:[0,1]
	s_delay_alu instid0(VALU_DEP_1) | instskip(SKIP_1) | instid1(VALU_DEP_1)
	v_pk_fma_f32 v[102:103], v[100:101], v[88:89], v[98:99] op_sel:[0,0,1] op_sel_hi:[1,1,0] neg_lo:[0,0,1] neg_hi:[0,0,1]
	v_pk_fma_f32 v[98:99], v[100:101], v[88:89], v[98:99] op_sel:[0,0,1] op_sel_hi:[1,0,0]
	v_mov_b32_e32 v103, v99
	ds_load_2addr_b64 v[98:101], v92 offset0:23 offset1:24
	v_pk_add_f32 v[56:57], v[56:57], v[104:105] neg_lo:[0,1] neg_hi:[0,1]
	v_pk_add_f32 v[58:59], v[58:59], v[102:103] neg_lo:[0,1] neg_hi:[0,1]
	s_wait_dscnt 0x0
	v_dual_mul_f32 v102, v99, v91 :: v_dual_mul_f32 v104, v99, v88
	s_delay_alu instid0(VALU_DEP_1) | instskip(NEXT) | instid1(VALU_DEP_2)
	v_pk_fma_f32 v[102:103], v[98:99], v[74:75], v[102:103] op_sel_hi:[1,1,0] neg_lo:[0,0,1] neg_hi:[0,0,1]
	v_pk_fma_f32 v[98:99], v[98:99], v[74:75], v[104:105] op_sel:[1,0,0] op_sel_hi:[0,1,0]
	s_delay_alu instid0(VALU_DEP_1) | instskip(SKIP_1) | instid1(VALU_DEP_2)
	v_mov_b32_e32 v103, v99
	v_pk_mul_f32 v[98:99], v[100:101], v[90:91] op_sel:[0,1]
	v_pk_add_f32 v[54:55], v[54:55], v[102:103] neg_lo:[0,1] neg_hi:[0,1]
	s_delay_alu instid0(VALU_DEP_2) | instskip(SKIP_1) | instid1(VALU_DEP_1)
	v_pk_fma_f32 v[102:103], v[100:101], v[88:89], v[98:99] op_sel:[0,0,1] op_sel_hi:[1,1,0] neg_lo:[0,0,1] neg_hi:[0,0,1]
	v_pk_fma_f32 v[98:99], v[100:101], v[88:89], v[98:99] op_sel:[0,0,1] op_sel_hi:[1,0,0]
	v_mov_b32_e32 v103, v99
	ds_load_2addr_b64 v[98:101], v92 offset0:25 offset1:26
	v_pk_add_f32 v[52:53], v[52:53], v[102:103] neg_lo:[0,1] neg_hi:[0,1]
	s_wait_dscnt 0x0
	v_pk_mul_f32 v[102:103], v[98:99], v[90:91] op_sel:[0,1]
	s_delay_alu instid0(VALU_DEP_1) | instskip(SKIP_1) | instid1(VALU_DEP_1)
	v_pk_fma_f32 v[104:105], v[98:99], v[88:89], v[102:103] op_sel:[0,0,1] op_sel_hi:[1,1,0] neg_lo:[0,0,1] neg_hi:[0,0,1]
	v_pk_fma_f32 v[98:99], v[98:99], v[88:89], v[102:103] op_sel:[0,0,1] op_sel_hi:[1,0,0]
	v_mov_b32_e32 v105, v99
	v_pk_mul_f32 v[98:99], v[100:101], v[90:91] op_sel:[0,1]
	s_delay_alu instid0(VALU_DEP_2) | instskip(NEXT) | instid1(VALU_DEP_2)
	v_pk_add_f32 v[48:49], v[48:49], v[104:105] neg_lo:[0,1] neg_hi:[0,1]
	v_pk_fma_f32 v[102:103], v[100:101], v[88:89], v[98:99] op_sel:[0,0,1] op_sel_hi:[1,1,0] neg_lo:[0,0,1] neg_hi:[0,0,1]
	v_pk_fma_f32 v[98:99], v[100:101], v[88:89], v[98:99] op_sel:[0,0,1] op_sel_hi:[1,0,0]
	s_delay_alu instid0(VALU_DEP_1) | instskip(SKIP_4) | instid1(VALU_DEP_1)
	v_mov_b32_e32 v103, v99
	ds_load_2addr_b64 v[98:101], v92 offset0:27 offset1:28
	v_pk_add_f32 v[50:51], v[50:51], v[102:103] neg_lo:[0,1] neg_hi:[0,1]
	s_wait_dscnt 0x0
	v_pk_mul_f32 v[102:103], v[98:99], v[90:91] op_sel:[0,1]
	v_pk_fma_f32 v[104:105], v[98:99], v[88:89], v[102:103] op_sel:[0,0,1] op_sel_hi:[1,1,0] neg_lo:[0,0,1] neg_hi:[0,0,1]
	v_pk_fma_f32 v[98:99], v[98:99], v[88:89], v[102:103] op_sel:[0,0,1] op_sel_hi:[1,0,0]
	v_dual_mul_f32 v102, v101, v91 :: v_dual_mov_b32 v98, v101
	s_delay_alu instid0(VALU_DEP_2) | instskip(NEXT) | instid1(VALU_DEP_2)
	v_dual_mov_b32 v105, v99 :: v_dual_mov_b32 v99, v100
	v_pk_fma_f32 v[102:103], v[100:101], v[74:75], v[102:103] op_sel_hi:[1,1,0] neg_lo:[0,0,1] neg_hi:[0,0,1]
	v_mul_f32_e32 v100, v101, v88
	s_delay_alu instid0(VALU_DEP_3) | instskip(NEXT) | instid1(VALU_DEP_2)
	v_pk_add_f32 v[46:47], v[46:47], v[104:105] neg_lo:[0,1] neg_hi:[0,1]
	v_pk_fma_f32 v[98:99], v[98:99], v[74:75], v[100:101] op_sel_hi:[1,1,0]
	s_delay_alu instid0(VALU_DEP_1) | instskip(SKIP_4) | instid1(VALU_DEP_1)
	v_mov_b32_e32 v103, v99
	ds_load_2addr_b64 v[98:101], v92 offset0:29 offset1:30
	v_pk_add_f32 v[42:43], v[42:43], v[102:103] neg_lo:[0,1] neg_hi:[0,1]
	s_wait_dscnt 0x0
	v_pk_mul_f32 v[102:103], v[98:99], v[90:91] op_sel:[0,1]
	v_pk_fma_f32 v[104:105], v[98:99], v[88:89], v[102:103] op_sel:[0,0,1] op_sel_hi:[1,1,0] neg_lo:[0,0,1] neg_hi:[0,0,1]
	v_pk_fma_f32 v[98:99], v[98:99], v[88:89], v[102:103] op_sel:[0,0,1] op_sel_hi:[1,0,0]
	s_delay_alu instid0(VALU_DEP_1) | instskip(SKIP_1) | instid1(VALU_DEP_1)
	v_mov_b32_e32 v105, v99
	v_pk_mul_f32 v[98:99], v[100:101], v[90:91] op_sel:[0,1]
	v_pk_fma_f32 v[102:103], v[100:101], v[88:89], v[98:99] op_sel:[0,0,1] op_sel_hi:[1,1,0] neg_lo:[0,0,1] neg_hi:[0,0,1]
	v_pk_fma_f32 v[98:99], v[100:101], v[88:89], v[98:99] op_sel:[0,0,1] op_sel_hi:[1,0,0]
	s_delay_alu instid0(VALU_DEP_1)
	v_mov_b32_e32 v103, v99
	ds_load_2addr_b64 v[98:101], v92 offset0:31 offset1:32
	v_pk_add_f32 v[38:39], v[38:39], v[104:105] neg_lo:[0,1] neg_hi:[0,1]
	v_pk_add_f32 v[40:41], v[40:41], v[102:103] neg_lo:[0,1] neg_hi:[0,1]
	s_wait_dscnt 0x0
	v_pk_mul_f32 v[102:103], v[98:99], v[90:91] op_sel:[0,1]
	s_delay_alu instid0(VALU_DEP_1) | instskip(SKIP_1) | instid1(VALU_DEP_1)
	v_pk_fma_f32 v[104:105], v[98:99], v[88:89], v[102:103] op_sel:[0,0,1] op_sel_hi:[1,1,0] neg_lo:[0,0,1] neg_hi:[0,0,1]
	v_pk_fma_f32 v[98:99], v[98:99], v[88:89], v[102:103] op_sel:[0,0,1] op_sel_hi:[1,0,0]
	v_mov_b32_e32 v105, v99
	v_pk_mul_f32 v[98:99], v[100:101], v[90:91] op_sel:[0,1]
	s_delay_alu instid0(VALU_DEP_1) | instskip(SKIP_1) | instid1(VALU_DEP_1)
	v_pk_fma_f32 v[102:103], v[100:101], v[88:89], v[98:99] op_sel:[0,0,1] op_sel_hi:[1,1,0] neg_lo:[0,0,1] neg_hi:[0,0,1]
	v_pk_fma_f32 v[98:99], v[100:101], v[88:89], v[98:99] op_sel:[0,0,1] op_sel_hi:[1,0,0]
	v_mov_b32_e32 v103, v99
	ds_load_2addr_b64 v[98:101], v92 offset0:33 offset1:34
	v_pk_add_f32 v[36:37], v[36:37], v[104:105] neg_lo:[0,1] neg_hi:[0,1]
	v_pk_add_f32 v[14:15], v[14:15], v[102:103] neg_lo:[0,1] neg_hi:[0,1]
	s_wait_dscnt 0x0
	v_dual_mul_f32 v102, v99, v91 :: v_dual_mul_f32 v104, v99, v88
	s_delay_alu instid0(VALU_DEP_1) | instskip(NEXT) | instid1(VALU_DEP_2)
	v_pk_fma_f32 v[102:103], v[98:99], v[74:75], v[102:103] op_sel_hi:[1,1,0] neg_lo:[0,0,1] neg_hi:[0,0,1]
	v_pk_fma_f32 v[98:99], v[98:99], v[74:75], v[104:105] op_sel:[1,0,0] op_sel_hi:[0,1,0]
	s_delay_alu instid0(VALU_DEP_1) | instskip(SKIP_1) | instid1(VALU_DEP_2)
	v_mov_b32_e32 v103, v99
	v_pk_mul_f32 v[98:99], v[100:101], v[90:91] op_sel:[0,1]
	v_pk_add_f32 v[10:11], v[10:11], v[102:103] neg_lo:[0,1] neg_hi:[0,1]
	s_delay_alu instid0(VALU_DEP_2) | instskip(SKIP_1) | instid1(VALU_DEP_1)
	v_pk_fma_f32 v[102:103], v[100:101], v[88:89], v[98:99] op_sel:[0,0,1] op_sel_hi:[1,1,0] neg_lo:[0,0,1] neg_hi:[0,0,1]
	v_pk_fma_f32 v[98:99], v[100:101], v[88:89], v[98:99] op_sel:[0,0,1] op_sel_hi:[1,0,0]
	v_mov_b32_e32 v103, v99
	ds_load_2addr_b64 v[98:101], v92 offset0:35 offset1:36
	v_pk_add_f32 v[12:13], v[12:13], v[102:103] neg_lo:[0,1] neg_hi:[0,1]
	s_wait_dscnt 0x0
	v_pk_mul_f32 v[102:103], v[98:99], v[90:91] op_sel:[0,1]
	s_delay_alu instid0(VALU_DEP_1) | instskip(SKIP_1) | instid1(VALU_DEP_1)
	v_pk_fma_f32 v[104:105], v[98:99], v[88:89], v[102:103] op_sel:[0,0,1] op_sel_hi:[1,1,0] neg_lo:[0,0,1] neg_hi:[0,0,1]
	v_pk_fma_f32 v[98:99], v[98:99], v[88:89], v[102:103] op_sel:[0,0,1] op_sel_hi:[1,0,0]
	v_mov_b32_e32 v105, v99
	v_pk_mul_f32 v[98:99], v[100:101], v[90:91] op_sel:[0,1]
	s_delay_alu instid0(VALU_DEP_2) | instskip(NEXT) | instid1(VALU_DEP_2)
	v_pk_add_f32 v[8:9], v[8:9], v[104:105] neg_lo:[0,1] neg_hi:[0,1]
	v_pk_fma_f32 v[102:103], v[100:101], v[88:89], v[98:99] op_sel:[0,0,1] op_sel_hi:[1,1,0] neg_lo:[0,0,1] neg_hi:[0,0,1]
	v_pk_fma_f32 v[98:99], v[100:101], v[88:89], v[98:99] op_sel:[0,0,1] op_sel_hi:[1,0,0]
	s_delay_alu instid0(VALU_DEP_1) | instskip(SKIP_4) | instid1(VALU_DEP_1)
	v_mov_b32_e32 v103, v99
	ds_load_2addr_b64 v[98:101], v92 offset0:37 offset1:38
	v_pk_add_f32 v[6:7], v[6:7], v[102:103] neg_lo:[0,1] neg_hi:[0,1]
	s_wait_dscnt 0x0
	v_pk_mul_f32 v[102:103], v[98:99], v[90:91] op_sel:[0,1]
	v_pk_fma_f32 v[104:105], v[98:99], v[88:89], v[102:103] op_sel:[0,0,1] op_sel_hi:[1,1,0] neg_lo:[0,0,1] neg_hi:[0,0,1]
	v_pk_fma_f32 v[98:99], v[98:99], v[88:89], v[102:103] op_sel:[0,0,1] op_sel_hi:[1,0,0]
	v_dual_mul_f32 v102, v101, v91 :: v_dual_mov_b32 v98, v101
	s_delay_alu instid0(VALU_DEP_2) | instskip(NEXT) | instid1(VALU_DEP_2)
	v_dual_mov_b32 v105, v99 :: v_dual_mov_b32 v99, v100
	v_pk_fma_f32 v[102:103], v[100:101], v[74:75], v[102:103] op_sel_hi:[1,1,0] neg_lo:[0,0,1] neg_hi:[0,0,1]
	v_mul_f32_e32 v100, v101, v88
	s_delay_alu instid0(VALU_DEP_3) | instskip(NEXT) | instid1(VALU_DEP_2)
	v_pk_add_f32 v[44:45], v[44:45], v[104:105] neg_lo:[0,1] neg_hi:[0,1]
	v_pk_fma_f32 v[98:99], v[98:99], v[74:75], v[100:101] op_sel_hi:[1,1,0]
	s_delay_alu instid0(VALU_DEP_1)
	v_mov_b32_e32 v103, v99
	ds_load_2addr_b64 v[98:101], v92 offset0:39 offset1:40
	v_pk_add_f32 v[22:23], v[22:23], v[102:103] neg_lo:[0,1] neg_hi:[0,1]
	s_wait_dscnt 0x0
	v_pk_mul_f32 v[102:103], v[98:99], v[90:91] op_sel:[0,1]
	v_pk_mul_f32 v[90:91], v[100:101], v[90:91] op_sel:[0,1]
	s_delay_alu instid0(VALU_DEP_2) | instskip(SKIP_1) | instid1(VALU_DEP_1)
	v_pk_fma_f32 v[104:105], v[98:99], v[88:89], v[102:103] op_sel:[0,0,1] op_sel_hi:[1,1,0] neg_lo:[0,0,1] neg_hi:[0,0,1]
	v_pk_fma_f32 v[98:99], v[98:99], v[88:89], v[102:103] op_sel:[0,0,1] op_sel_hi:[1,0,0]
	v_mov_b32_e32 v105, v99
	s_delay_alu instid0(VALU_DEP_4) | instskip(SKIP_1) | instid1(VALU_DEP_1)
	v_pk_fma_f32 v[98:99], v[100:101], v[88:89], v[90:91] op_sel:[0,0,1] op_sel_hi:[1,1,0] neg_lo:[0,0,1] neg_hi:[0,0,1]
	v_pk_fma_f32 v[88:89], v[100:101], v[88:89], v[90:91] op_sel:[0,0,1] op_sel_hi:[1,0,0]
	v_mov_b32_e32 v99, v89
	s_delay_alu instid0(VALU_DEP_4) | instskip(NEXT) | instid1(VALU_DEP_2)
	v_pk_add_f32 v[16:17], v[16:17], v[104:105] neg_lo:[0,1] neg_hi:[0,1]
	v_pk_add_f32 v[86:87], v[86:87], v[98:99] neg_lo:[0,1] neg_hi:[0,1]
.LBB80_314:
	s_or_b32 exec_lo, exec_lo, s0
	v_lshl_add_u32 v88, v96, 3, v92
	s_barrier_signal -1
	s_barrier_wait -1
	ds_store_b64 v88, v[70:71]
	s_wait_dscnt 0x0
	s_barrier_signal -1
	s_barrier_wait -1
	ds_load_b64 v[90:91], v92 offset:120
	v_mov_b32_e32 v88, 15
	s_cmp_lt_i32 s18, 17
	s_cbranch_scc1 .LBB80_317
; %bb.315:
	v_add3_u32 v89, v93, 0, 0x80
	v_mov_b32_e32 v88, 15
	s_mov_b32 s0, 16
.LBB80_316:                             ; =>This Inner Loop Header: Depth=1
	ds_load_b64 v[98:99], v89
	s_wait_dscnt 0x1
	v_cmp_gt_f32_e32 vcc_lo, 0, v90
	v_cndmask_b32_e64 v100, v90, -v90, vcc_lo
	v_cmp_gt_f32_e32 vcc_lo, 0, v91
	v_cndmask_b32_e64 v102, v91, -v91, vcc_lo
	s_wait_dscnt 0x0
	v_cmp_gt_f32_e32 vcc_lo, 0, v98
	v_cndmask_b32_e64 v101, v98, -v98, vcc_lo
	v_cmp_gt_f32_e32 vcc_lo, 0, v99
	v_cndmask_b32_e64 v103, v99, -v99, vcc_lo
	s_delay_alu instid0(VALU_DEP_1) | instskip(NEXT) | instid1(VALU_DEP_1)
	v_pk_add_f32 v[100:101], v[100:101], v[102:103]
	v_cmp_lt_f32_e32 vcc_lo, v100, v101
	v_dual_add_nc_u32 v89, 8, v89 :: v_dual_cndmask_b32 v91, v91, v99, vcc_lo
	v_cndmask_b32_e32 v90, v90, v98, vcc_lo
	v_cndmask_b32_e64 v88, v88, s0, vcc_lo
	s_add_co_i32 s0, s0, 1
	s_delay_alu instid0(SALU_CYCLE_1)
	s_cmp_lg_u32 s18, s0
	s_cbranch_scc1 .LBB80_316
.LBB80_317:
	s_wait_dscnt 0x0
	v_cmp_eq_f32_e32 vcc_lo, 0, v90
	v_cmp_eq_f32_e64 s0, 0, v91
	s_and_b32 s0, vcc_lo, s0
	s_delay_alu instid0(SALU_CYCLE_1) | instskip(NEXT) | instid1(SALU_CYCLE_1)
	s_and_saveexec_b32 s1, s0
	s_xor_b32 s0, exec_lo, s1
; %bb.318:
	v_cmp_ne_u32_e32 vcc_lo, 0, v94
	v_cndmask_b32_e32 v94, 16, v94, vcc_lo
; %bb.319:
	s_and_not1_saveexec_b32 s0, s0
	s_cbranch_execz .LBB80_325
; %bb.320:
	v_cmp_ngt_f32_e64 s1, |v90|, |v91|
	s_and_saveexec_b32 s12, s1
	s_delay_alu instid0(SALU_CYCLE_1)
	s_xor_b32 s1, exec_lo, s12
	s_cbranch_execz .LBB80_322
; %bb.321:
	v_div_scale_f32 v89, null, v91, v91, v90
	v_div_scale_f32 v99, vcc_lo, v90, v91, v90
	s_delay_alu instid0(VALU_DEP_2) | instskip(SKIP_1) | instid1(TRANS32_DEP_1)
	v_rcp_f32_e32 v97, v89
	v_nop
	v_fma_f32 v98, -v89, v97, 1.0
	s_delay_alu instid0(VALU_DEP_1) | instskip(NEXT) | instid1(VALU_DEP_1)
	v_fmac_f32_e32 v97, v98, v97
	v_mul_f32_e32 v98, v99, v97
	s_delay_alu instid0(VALU_DEP_1) | instskip(NEXT) | instid1(VALU_DEP_1)
	v_fma_f32 v100, -v89, v98, v99
	v_fmac_f32_e32 v98, v100, v97
	s_delay_alu instid0(VALU_DEP_1) | instskip(NEXT) | instid1(VALU_DEP_1)
	v_fma_f32 v89, -v89, v98, v99
	v_div_fmas_f32 v89, v89, v97, v98
	s_delay_alu instid0(VALU_DEP_1) | instskip(NEXT) | instid1(VALU_DEP_1)
	v_div_fixup_f32 v89, v89, v91, v90
	v_fmac_f32_e32 v91, v90, v89
	s_delay_alu instid0(VALU_DEP_1) | instskip(SKIP_1) | instid1(VALU_DEP_2)
	v_div_scale_f32 v90, null, v91, v91, 1.0
	v_div_scale_f32 v99, vcc_lo, 1.0, v91, 1.0
	v_rcp_f32_e32 v97, v90
	v_nop
	s_delay_alu instid0(TRANS32_DEP_1) | instskip(NEXT) | instid1(VALU_DEP_1)
	v_fma_f32 v98, -v90, v97, 1.0
	v_fmac_f32_e32 v97, v98, v97
	s_delay_alu instid0(VALU_DEP_1) | instskip(NEXT) | instid1(VALU_DEP_1)
	v_mul_f32_e32 v98, v99, v97
	v_fma_f32 v100, -v90, v98, v99
	s_delay_alu instid0(VALU_DEP_1) | instskip(NEXT) | instid1(VALU_DEP_1)
	v_fmac_f32_e32 v98, v100, v97
	v_fma_f32 v90, -v90, v98, v99
	s_delay_alu instid0(VALU_DEP_1) | instskip(NEXT) | instid1(VALU_DEP_1)
	v_div_fmas_f32 v90, v90, v97, v98
	v_div_fixup_f32 v91, v90, v91, 1.0
	s_delay_alu instid0(VALU_DEP_1)
	v_mul_f32_e32 v90, v89, v91
	v_xor_b32_e32 v91, 0x80000000, v91
.LBB80_322:
	s_and_not1_saveexec_b32 s1, s1
	s_cbranch_execz .LBB80_324
; %bb.323:
	s_delay_alu instid0(VALU_DEP_1) | instskip(SKIP_1) | instid1(VALU_DEP_2)
	v_div_scale_f32 v89, null, v90, v90, v91
	v_div_scale_f32 v99, vcc_lo, v91, v90, v91
	v_rcp_f32_e32 v97, v89
	v_nop
	s_delay_alu instid0(TRANS32_DEP_1) | instskip(NEXT) | instid1(VALU_DEP_1)
	v_fma_f32 v98, -v89, v97, 1.0
	v_fmac_f32_e32 v97, v98, v97
	s_delay_alu instid0(VALU_DEP_1) | instskip(NEXT) | instid1(VALU_DEP_1)
	v_mul_f32_e32 v98, v99, v97
	v_fma_f32 v100, -v89, v98, v99
	s_delay_alu instid0(VALU_DEP_1) | instskip(NEXT) | instid1(VALU_DEP_1)
	v_fmac_f32_e32 v98, v100, v97
	v_fma_f32 v89, -v89, v98, v99
	s_delay_alu instid0(VALU_DEP_1) | instskip(NEXT) | instid1(VALU_DEP_1)
	v_div_fmas_f32 v89, v89, v97, v98
	v_div_fixup_f32 v89, v89, v90, v91
	s_delay_alu instid0(VALU_DEP_1) | instskip(NEXT) | instid1(VALU_DEP_1)
	v_fmac_f32_e32 v90, v91, v89
	v_div_scale_f32 v91, null, v90, v90, 1.0
	s_delay_alu instid0(VALU_DEP_1) | instskip(SKIP_1) | instid1(TRANS32_DEP_1)
	v_rcp_f32_e32 v97, v91
	v_nop
	v_fma_f32 v98, -v91, v97, 1.0
	s_delay_alu instid0(VALU_DEP_1) | instskip(SKIP_1) | instid1(VALU_DEP_1)
	v_fmac_f32_e32 v97, v98, v97
	v_div_scale_f32 v98, vcc_lo, 1.0, v90, 1.0
	v_mul_f32_e32 v99, v98, v97
	s_delay_alu instid0(VALU_DEP_1) | instskip(NEXT) | instid1(VALU_DEP_1)
	v_fma_f32 v100, -v91, v99, v98
	v_fmac_f32_e32 v99, v100, v97
	s_delay_alu instid0(VALU_DEP_1) | instskip(NEXT) | instid1(VALU_DEP_1)
	v_fma_f32 v91, -v91, v99, v98
	v_div_fmas_f32 v91, v91, v97, v99
	s_delay_alu instid0(VALU_DEP_1) | instskip(NEXT) | instid1(VALU_DEP_1)
	v_div_fixup_f32 v90, v91, v90, 1.0
	v_mul_f32_e64 v91, v89, -v90
.LBB80_324:
	s_or_b32 exec_lo, exec_lo, s1
.LBB80_325:
	s_delay_alu instid0(SALU_CYCLE_1) | instskip(NEXT) | instid1(SALU_CYCLE_1)
	s_or_b32 exec_lo, exec_lo, s0
	s_mov_b32 s0, exec_lo
	v_cmpx_ne_u32_e64 v96, v88
	s_xor_b32 s0, exec_lo, s0
	s_cbranch_execz .LBB80_331
; %bb.326:
	s_mov_b32 s1, exec_lo
	v_cmpx_eq_u32_e32 15, v96
	s_cbranch_execz .LBB80_330
; %bb.327:
	v_cmp_ne_u32_e32 vcc_lo, 15, v88
	s_xor_b32 s12, s16, -1
	s_delay_alu instid0(SALU_CYCLE_1) | instskip(NEXT) | instid1(SALU_CYCLE_1)
	s_and_b32 s13, s12, vcc_lo
	s_and_saveexec_b32 s12, s13
	s_cbranch_execz .LBB80_329
; %bb.328:
	v_ashrrev_i32_e32 v89, 31, v88
	s_delay_alu instid0(VALU_DEP_1)
	v_lshl_add_u64 v[96:97], v[88:89], 2, v[4:5]
	s_clause 0x1
	global_load_b32 v89, v[96:97], off
	global_load_b32 v95, v[4:5], off offset:60
	s_wait_loadcnt 0x1
	global_store_b32 v[4:5], v89, off offset:60
	s_wait_loadcnt 0x0
	global_store_b32 v[96:97], v95, off
.LBB80_329:
	s_wait_xcnt 0x0
	s_or_b32 exec_lo, exec_lo, s12
	v_dual_mov_b32 v96, v88 :: v_dual_mov_b32 v95, v88
.LBB80_330:
	s_or_b32 exec_lo, exec_lo, s1
.LBB80_331:
	s_and_not1_saveexec_b32 s0, s0
	s_cbranch_execz .LBB80_333
; %bb.332:
	v_dual_mov_b32 v88, v68 :: v_dual_mov_b32 v89, v69
	v_dual_mov_b32 v96, v64 :: v_dual_mov_b32 v97, v65
	ds_store_2addr_b64 v92, v[88:89], v[96:97] offset0:16 offset1:17
	v_dual_mov_b32 v88, v66 :: v_dual_mov_b32 v89, v67
	v_dual_mov_b32 v96, v62 :: v_dual_mov_b32 v97, v63
	ds_store_2addr_b64 v92, v[88:89], v[96:97] offset0:18 offset1:19
	;; [unrolled: 3-line block ×12, first 2 shown]
	ds_store_b64 v92, v[86:87] offset:320
	v_mov_b32_e32 v96, 15
.LBB80_333:
	s_or_b32 exec_lo, exec_lo, s0
	s_delay_alu instid0(SALU_CYCLE_1)
	s_mov_b32 s0, exec_lo
	s_wait_storecnt_dscnt 0x0
	s_barrier_signal -1
	s_barrier_wait -1
	v_cmpx_lt_i32_e32 15, v96
	s_cbranch_execz .LBB80_335
; %bb.334:
	v_pk_mul_f32 v[98:99], v[90:91], v[70:71] op_sel:[1,1] op_sel_hi:[0,1]
	s_delay_alu instid0(VALU_DEP_1)
	v_pk_fma_f32 v[88:89], v[90:91], v[70:71], v[98:99] op_sel_hi:[1,0,1] neg_lo:[0,0,1] neg_hi:[0,0,1]
	v_pk_fma_f32 v[90:91], v[90:91], v[70:71], v[98:99] op_sel_hi:[1,0,1]
	ds_load_2addr_b64 v[98:101], v92 offset0:16 offset1:17
	v_dual_mov_b32 v70, v88 :: v_dual_mov_b32 v71, v91
	s_wait_dscnt 0x0
	v_pk_mul_f32 v[102:103], v[98:99], v[90:91] op_sel:[0,1]
	s_delay_alu instid0(VALU_DEP_1) | instskip(SKIP_1) | instid1(VALU_DEP_1)
	v_pk_fma_f32 v[104:105], v[98:99], v[88:89], v[102:103] op_sel:[0,0,1] op_sel_hi:[1,1,0] neg_lo:[0,0,1] neg_hi:[0,0,1]
	v_pk_fma_f32 v[98:99], v[98:99], v[88:89], v[102:103] op_sel:[0,0,1] op_sel_hi:[1,0,0]
	v_mov_b32_e32 v105, v99
	v_pk_mul_f32 v[98:99], v[100:101], v[90:91] op_sel:[0,1]
	s_delay_alu instid0(VALU_DEP_1) | instskip(SKIP_1) | instid1(VALU_DEP_1)
	v_pk_fma_f32 v[102:103], v[100:101], v[88:89], v[98:99] op_sel:[0,0,1] op_sel_hi:[1,1,0] neg_lo:[0,0,1] neg_hi:[0,0,1]
	v_pk_fma_f32 v[98:99], v[100:101], v[88:89], v[98:99] op_sel:[0,0,1] op_sel_hi:[1,0,0]
	v_mov_b32_e32 v103, v99
	ds_load_2addr_b64 v[98:101], v92 offset0:18 offset1:19
	v_pk_add_f32 v[68:69], v[68:69], v[104:105] neg_lo:[0,1] neg_hi:[0,1]
	v_pk_add_f32 v[64:65], v[64:65], v[102:103] neg_lo:[0,1] neg_hi:[0,1]
	s_wait_dscnt 0x0
	v_pk_mul_f32 v[102:103], v[98:99], v[90:91] op_sel:[0,1]
	s_delay_alu instid0(VALU_DEP_1) | instskip(SKIP_2) | instid1(VALU_DEP_2)
	v_pk_fma_f32 v[104:105], v[98:99], v[88:89], v[102:103] op_sel:[0,0,1] op_sel_hi:[1,1,0] neg_lo:[0,0,1] neg_hi:[0,0,1]
	v_pk_fma_f32 v[98:99], v[98:99], v[88:89], v[102:103] op_sel:[0,0,1] op_sel_hi:[1,0,0]
	v_dual_mul_f32 v102, v101, v91 :: v_dual_mov_b32 v98, v101
	v_dual_mov_b32 v105, v99 :: v_dual_mov_b32 v99, v100
	s_delay_alu instid0(VALU_DEP_2) | instskip(SKIP_1) | instid1(VALU_DEP_3)
	v_pk_fma_f32 v[102:103], v[100:101], v[70:71], v[102:103] op_sel_hi:[1,1,0] neg_lo:[0,0,1] neg_hi:[0,0,1]
	v_mul_f32_e32 v100, v101, v88
	v_pk_add_f32 v[66:67], v[66:67], v[104:105] neg_lo:[0,1] neg_hi:[0,1]
	s_delay_alu instid0(VALU_DEP_2) | instskip(NEXT) | instid1(VALU_DEP_1)
	v_pk_fma_f32 v[98:99], v[98:99], v[70:71], v[100:101] op_sel_hi:[1,1,0]
	v_mov_b32_e32 v103, v99
	ds_load_2addr_b64 v[98:101], v92 offset0:20 offset1:21
	v_pk_add_f32 v[62:63], v[62:63], v[102:103] neg_lo:[0,1] neg_hi:[0,1]
	s_wait_dscnt 0x0
	v_pk_mul_f32 v[102:103], v[98:99], v[90:91] op_sel:[0,1]
	s_delay_alu instid0(VALU_DEP_1) | instskip(SKIP_1) | instid1(VALU_DEP_1)
	v_pk_fma_f32 v[104:105], v[98:99], v[88:89], v[102:103] op_sel:[0,0,1] op_sel_hi:[1,1,0] neg_lo:[0,0,1] neg_hi:[0,0,1]
	v_pk_fma_f32 v[98:99], v[98:99], v[88:89], v[102:103] op_sel:[0,0,1] op_sel_hi:[1,0,0]
	v_mov_b32_e32 v105, v99
	v_pk_mul_f32 v[98:99], v[100:101], v[90:91] op_sel:[0,1]
	s_delay_alu instid0(VALU_DEP_1) | instskip(SKIP_1) | instid1(VALU_DEP_1)
	v_pk_fma_f32 v[102:103], v[100:101], v[88:89], v[98:99] op_sel:[0,0,1] op_sel_hi:[1,1,0] neg_lo:[0,0,1] neg_hi:[0,0,1]
	v_pk_fma_f32 v[98:99], v[100:101], v[88:89], v[98:99] op_sel:[0,0,1] op_sel_hi:[1,0,0]
	v_mov_b32_e32 v103, v99
	ds_load_2addr_b64 v[98:101], v92 offset0:22 offset1:23
	v_pk_add_f32 v[60:61], v[60:61], v[104:105] neg_lo:[0,1] neg_hi:[0,1]
	v_pk_add_f32 v[56:57], v[56:57], v[102:103] neg_lo:[0,1] neg_hi:[0,1]
	s_wait_dscnt 0x0
	v_pk_mul_f32 v[102:103], v[98:99], v[90:91] op_sel:[0,1]
	s_delay_alu instid0(VALU_DEP_1) | instskip(SKIP_1) | instid1(VALU_DEP_1)
	v_pk_fma_f32 v[104:105], v[98:99], v[88:89], v[102:103] op_sel:[0,0,1] op_sel_hi:[1,1,0] neg_lo:[0,0,1] neg_hi:[0,0,1]
	v_pk_fma_f32 v[98:99], v[98:99], v[88:89], v[102:103] op_sel:[0,0,1] op_sel_hi:[1,0,0]
	v_mov_b32_e32 v105, v99
	v_pk_mul_f32 v[98:99], v[100:101], v[90:91] op_sel:[0,1]
	s_delay_alu instid0(VALU_DEP_1) | instskip(SKIP_1) | instid1(VALU_DEP_1)
	v_pk_fma_f32 v[102:103], v[100:101], v[88:89], v[98:99] op_sel:[0,0,1] op_sel_hi:[1,1,0] neg_lo:[0,0,1] neg_hi:[0,0,1]
	v_pk_fma_f32 v[98:99], v[100:101], v[88:89], v[98:99] op_sel:[0,0,1] op_sel_hi:[1,0,0]
	v_mov_b32_e32 v103, v99
	ds_load_2addr_b64 v[98:101], v92 offset0:24 offset1:25
	v_pk_add_f32 v[58:59], v[58:59], v[104:105] neg_lo:[0,1] neg_hi:[0,1]
	v_pk_add_f32 v[54:55], v[54:55], v[102:103] neg_lo:[0,1] neg_hi:[0,1]
	s_wait_dscnt 0x0
	v_dual_mul_f32 v102, v99, v91 :: v_dual_mul_f32 v104, v99, v88
	s_delay_alu instid0(VALU_DEP_1) | instskip(NEXT) | instid1(VALU_DEP_2)
	v_pk_fma_f32 v[102:103], v[98:99], v[70:71], v[102:103] op_sel_hi:[1,1,0] neg_lo:[0,0,1] neg_hi:[0,0,1]
	v_pk_fma_f32 v[98:99], v[98:99], v[70:71], v[104:105] op_sel:[1,0,0] op_sel_hi:[0,1,0]
	s_delay_alu instid0(VALU_DEP_1) | instskip(SKIP_1) | instid1(VALU_DEP_2)
	v_mov_b32_e32 v103, v99
	v_pk_mul_f32 v[98:99], v[100:101], v[90:91] op_sel:[0,1]
	v_pk_add_f32 v[52:53], v[52:53], v[102:103] neg_lo:[0,1] neg_hi:[0,1]
	s_delay_alu instid0(VALU_DEP_2) | instskip(SKIP_1) | instid1(VALU_DEP_1)
	v_pk_fma_f32 v[102:103], v[100:101], v[88:89], v[98:99] op_sel:[0,0,1] op_sel_hi:[1,1,0] neg_lo:[0,0,1] neg_hi:[0,0,1]
	v_pk_fma_f32 v[98:99], v[100:101], v[88:89], v[98:99] op_sel:[0,0,1] op_sel_hi:[1,0,0]
	v_mov_b32_e32 v103, v99
	ds_load_2addr_b64 v[98:101], v92 offset0:26 offset1:27
	v_pk_add_f32 v[48:49], v[48:49], v[102:103] neg_lo:[0,1] neg_hi:[0,1]
	s_wait_dscnt 0x0
	v_pk_mul_f32 v[102:103], v[98:99], v[90:91] op_sel:[0,1]
	s_delay_alu instid0(VALU_DEP_1) | instskip(SKIP_1) | instid1(VALU_DEP_1)
	v_pk_fma_f32 v[104:105], v[98:99], v[88:89], v[102:103] op_sel:[0,0,1] op_sel_hi:[1,1,0] neg_lo:[0,0,1] neg_hi:[0,0,1]
	v_pk_fma_f32 v[98:99], v[98:99], v[88:89], v[102:103] op_sel:[0,0,1] op_sel_hi:[1,0,0]
	v_mov_b32_e32 v105, v99
	v_pk_mul_f32 v[98:99], v[100:101], v[90:91] op_sel:[0,1]
	s_delay_alu instid0(VALU_DEP_2) | instskip(NEXT) | instid1(VALU_DEP_2)
	v_pk_add_f32 v[50:51], v[50:51], v[104:105] neg_lo:[0,1] neg_hi:[0,1]
	v_pk_fma_f32 v[102:103], v[100:101], v[88:89], v[98:99] op_sel:[0,0,1] op_sel_hi:[1,1,0] neg_lo:[0,0,1] neg_hi:[0,0,1]
	v_pk_fma_f32 v[98:99], v[100:101], v[88:89], v[98:99] op_sel:[0,0,1] op_sel_hi:[1,0,0]
	s_delay_alu instid0(VALU_DEP_1) | instskip(SKIP_4) | instid1(VALU_DEP_1)
	v_mov_b32_e32 v103, v99
	ds_load_2addr_b64 v[98:101], v92 offset0:28 offset1:29
	v_pk_add_f32 v[46:47], v[46:47], v[102:103] neg_lo:[0,1] neg_hi:[0,1]
	s_wait_dscnt 0x0
	v_pk_mul_f32 v[102:103], v[98:99], v[90:91] op_sel:[0,1]
	v_pk_fma_f32 v[104:105], v[98:99], v[88:89], v[102:103] op_sel:[0,0,1] op_sel_hi:[1,1,0] neg_lo:[0,0,1] neg_hi:[0,0,1]
	v_pk_fma_f32 v[98:99], v[98:99], v[88:89], v[102:103] op_sel:[0,0,1] op_sel_hi:[1,0,0]
	v_dual_mul_f32 v102, v101, v91 :: v_dual_mov_b32 v98, v101
	s_delay_alu instid0(VALU_DEP_2) | instskip(NEXT) | instid1(VALU_DEP_2)
	v_dual_mov_b32 v105, v99 :: v_dual_mov_b32 v99, v100
	v_pk_fma_f32 v[102:103], v[100:101], v[70:71], v[102:103] op_sel_hi:[1,1,0] neg_lo:[0,0,1] neg_hi:[0,0,1]
	v_mul_f32_e32 v100, v101, v88
	s_delay_alu instid0(VALU_DEP_3) | instskip(NEXT) | instid1(VALU_DEP_2)
	v_pk_add_f32 v[42:43], v[42:43], v[104:105] neg_lo:[0,1] neg_hi:[0,1]
	v_pk_fma_f32 v[98:99], v[98:99], v[70:71], v[100:101] op_sel_hi:[1,1,0]
	s_delay_alu instid0(VALU_DEP_1) | instskip(SKIP_4) | instid1(VALU_DEP_1)
	v_mov_b32_e32 v103, v99
	ds_load_2addr_b64 v[98:101], v92 offset0:30 offset1:31
	v_pk_add_f32 v[38:39], v[38:39], v[102:103] neg_lo:[0,1] neg_hi:[0,1]
	s_wait_dscnt 0x0
	v_pk_mul_f32 v[102:103], v[98:99], v[90:91] op_sel:[0,1]
	v_pk_fma_f32 v[104:105], v[98:99], v[88:89], v[102:103] op_sel:[0,0,1] op_sel_hi:[1,1,0] neg_lo:[0,0,1] neg_hi:[0,0,1]
	v_pk_fma_f32 v[98:99], v[98:99], v[88:89], v[102:103] op_sel:[0,0,1] op_sel_hi:[1,0,0]
	s_delay_alu instid0(VALU_DEP_1) | instskip(SKIP_1) | instid1(VALU_DEP_1)
	v_mov_b32_e32 v105, v99
	v_pk_mul_f32 v[98:99], v[100:101], v[90:91] op_sel:[0,1]
	v_pk_fma_f32 v[102:103], v[100:101], v[88:89], v[98:99] op_sel:[0,0,1] op_sel_hi:[1,1,0] neg_lo:[0,0,1] neg_hi:[0,0,1]
	v_pk_fma_f32 v[98:99], v[100:101], v[88:89], v[98:99] op_sel:[0,0,1] op_sel_hi:[1,0,0]
	s_delay_alu instid0(VALU_DEP_1)
	v_mov_b32_e32 v103, v99
	ds_load_2addr_b64 v[98:101], v92 offset0:32 offset1:33
	v_pk_add_f32 v[40:41], v[40:41], v[104:105] neg_lo:[0,1] neg_hi:[0,1]
	v_pk_add_f32 v[36:37], v[36:37], v[102:103] neg_lo:[0,1] neg_hi:[0,1]
	s_wait_dscnt 0x0
	v_pk_mul_f32 v[102:103], v[98:99], v[90:91] op_sel:[0,1]
	s_delay_alu instid0(VALU_DEP_1) | instskip(SKIP_1) | instid1(VALU_DEP_1)
	v_pk_fma_f32 v[104:105], v[98:99], v[88:89], v[102:103] op_sel:[0,0,1] op_sel_hi:[1,1,0] neg_lo:[0,0,1] neg_hi:[0,0,1]
	v_pk_fma_f32 v[98:99], v[98:99], v[88:89], v[102:103] op_sel:[0,0,1] op_sel_hi:[1,0,0]
	v_mov_b32_e32 v105, v99
	v_pk_mul_f32 v[98:99], v[100:101], v[90:91] op_sel:[0,1]
	s_delay_alu instid0(VALU_DEP_1) | instskip(SKIP_1) | instid1(VALU_DEP_1)
	v_pk_fma_f32 v[102:103], v[100:101], v[88:89], v[98:99] op_sel:[0,0,1] op_sel_hi:[1,1,0] neg_lo:[0,0,1] neg_hi:[0,0,1]
	v_pk_fma_f32 v[98:99], v[100:101], v[88:89], v[98:99] op_sel:[0,0,1] op_sel_hi:[1,0,0]
	v_mov_b32_e32 v103, v99
	ds_load_2addr_b64 v[98:101], v92 offset0:34 offset1:35
	v_pk_add_f32 v[14:15], v[14:15], v[104:105] neg_lo:[0,1] neg_hi:[0,1]
	v_pk_add_f32 v[10:11], v[10:11], v[102:103] neg_lo:[0,1] neg_hi:[0,1]
	s_wait_dscnt 0x0
	v_dual_mul_f32 v102, v99, v91 :: v_dual_mul_f32 v104, v99, v88
	s_delay_alu instid0(VALU_DEP_1) | instskip(NEXT) | instid1(VALU_DEP_2)
	v_pk_fma_f32 v[102:103], v[98:99], v[70:71], v[102:103] op_sel_hi:[1,1,0] neg_lo:[0,0,1] neg_hi:[0,0,1]
	v_pk_fma_f32 v[98:99], v[98:99], v[70:71], v[104:105] op_sel:[1,0,0] op_sel_hi:[0,1,0]
	s_delay_alu instid0(VALU_DEP_1) | instskip(SKIP_1) | instid1(VALU_DEP_2)
	v_mov_b32_e32 v103, v99
	v_pk_mul_f32 v[98:99], v[100:101], v[90:91] op_sel:[0,1]
	v_pk_add_f32 v[12:13], v[12:13], v[102:103] neg_lo:[0,1] neg_hi:[0,1]
	s_delay_alu instid0(VALU_DEP_2) | instskip(SKIP_1) | instid1(VALU_DEP_1)
	v_pk_fma_f32 v[102:103], v[100:101], v[88:89], v[98:99] op_sel:[0,0,1] op_sel_hi:[1,1,0] neg_lo:[0,0,1] neg_hi:[0,0,1]
	v_pk_fma_f32 v[98:99], v[100:101], v[88:89], v[98:99] op_sel:[0,0,1] op_sel_hi:[1,0,0]
	v_mov_b32_e32 v103, v99
	ds_load_2addr_b64 v[98:101], v92 offset0:36 offset1:37
	v_pk_add_f32 v[8:9], v[8:9], v[102:103] neg_lo:[0,1] neg_hi:[0,1]
	s_wait_dscnt 0x0
	v_pk_mul_f32 v[102:103], v[98:99], v[90:91] op_sel:[0,1]
	s_delay_alu instid0(VALU_DEP_1) | instskip(SKIP_1) | instid1(VALU_DEP_1)
	v_pk_fma_f32 v[104:105], v[98:99], v[88:89], v[102:103] op_sel:[0,0,1] op_sel_hi:[1,1,0] neg_lo:[0,0,1] neg_hi:[0,0,1]
	v_pk_fma_f32 v[98:99], v[98:99], v[88:89], v[102:103] op_sel:[0,0,1] op_sel_hi:[1,0,0]
	v_mov_b32_e32 v105, v99
	v_pk_mul_f32 v[98:99], v[100:101], v[90:91] op_sel:[0,1]
	s_delay_alu instid0(VALU_DEP_2) | instskip(NEXT) | instid1(VALU_DEP_2)
	v_pk_add_f32 v[6:7], v[6:7], v[104:105] neg_lo:[0,1] neg_hi:[0,1]
	v_pk_fma_f32 v[102:103], v[100:101], v[88:89], v[98:99] op_sel:[0,0,1] op_sel_hi:[1,1,0] neg_lo:[0,0,1] neg_hi:[0,0,1]
	v_pk_fma_f32 v[98:99], v[100:101], v[88:89], v[98:99] op_sel:[0,0,1] op_sel_hi:[1,0,0]
	s_delay_alu instid0(VALU_DEP_1) | instskip(SKIP_4) | instid1(VALU_DEP_1)
	v_mov_b32_e32 v103, v99
	ds_load_2addr_b64 v[98:101], v92 offset0:38 offset1:39
	v_pk_add_f32 v[44:45], v[44:45], v[102:103] neg_lo:[0,1] neg_hi:[0,1]
	s_wait_dscnt 0x0
	v_pk_mul_f32 v[102:103], v[98:99], v[90:91] op_sel:[0,1]
	v_pk_fma_f32 v[104:105], v[98:99], v[88:89], v[102:103] op_sel:[0,0,1] op_sel_hi:[1,1,0] neg_lo:[0,0,1] neg_hi:[0,0,1]
	v_pk_fma_f32 v[98:99], v[98:99], v[88:89], v[102:103] op_sel:[0,0,1] op_sel_hi:[1,0,0]
	v_dual_mul_f32 v102, v101, v91 :: v_dual_mov_b32 v98, v101
	s_delay_alu instid0(VALU_DEP_2) | instskip(NEXT) | instid1(VALU_DEP_2)
	v_dual_mov_b32 v105, v99 :: v_dual_mov_b32 v99, v100
	v_pk_fma_f32 v[102:103], v[100:101], v[70:71], v[102:103] op_sel_hi:[1,1,0] neg_lo:[0,0,1] neg_hi:[0,0,1]
	v_mul_f32_e32 v100, v101, v88
	s_delay_alu instid0(VALU_DEP_3) | instskip(NEXT) | instid1(VALU_DEP_2)
	v_pk_add_f32 v[22:23], v[22:23], v[104:105] neg_lo:[0,1] neg_hi:[0,1]
	v_pk_fma_f32 v[98:99], v[98:99], v[70:71], v[100:101] op_sel_hi:[1,1,0]
	s_delay_alu instid0(VALU_DEP_1) | instskip(SKIP_4) | instid1(VALU_DEP_1)
	v_mov_b32_e32 v103, v99
	ds_load_b64 v[98:99], v92 offset:320
	v_pk_add_f32 v[16:17], v[16:17], v[102:103] neg_lo:[0,1] neg_hi:[0,1]
	s_wait_dscnt 0x0
	v_pk_mul_f32 v[90:91], v[98:99], v[90:91] op_sel:[0,1]
	v_pk_fma_f32 v[100:101], v[98:99], v[88:89], v[90:91] op_sel:[0,0,1] op_sel_hi:[1,1,0] neg_lo:[0,0,1] neg_hi:[0,0,1]
	v_pk_fma_f32 v[88:89], v[98:99], v[88:89], v[90:91] op_sel:[0,0,1] op_sel_hi:[1,0,0]
	s_delay_alu instid0(VALU_DEP_1) | instskip(NEXT) | instid1(VALU_DEP_1)
	v_mov_b32_e32 v101, v89
	v_pk_add_f32 v[86:87], v[86:87], v[100:101] neg_lo:[0,1] neg_hi:[0,1]
.LBB80_335:
	s_or_b32 exec_lo, exec_lo, s0
	v_lshl_add_u32 v88, v96, 3, v92
	s_barrier_signal -1
	s_barrier_wait -1
	ds_store_b64 v88, v[68:69]
	s_wait_dscnt 0x0
	s_barrier_signal -1
	s_barrier_wait -1
	ds_load_b64 v[90:91], v92 offset:128
	v_mov_b32_e32 v88, 16
	s_cmp_lt_i32 s18, 18
	s_cbranch_scc1 .LBB80_338
; %bb.336:
	v_add3_u32 v89, v93, 0, 0x88
	v_mov_b32_e32 v88, 16
	s_mov_b32 s0, 17
.LBB80_337:                             ; =>This Inner Loop Header: Depth=1
	ds_load_b64 v[98:99], v89
	s_wait_dscnt 0x1
	v_cmp_gt_f32_e32 vcc_lo, 0, v90
	v_cndmask_b32_e64 v100, v90, -v90, vcc_lo
	v_cmp_gt_f32_e32 vcc_lo, 0, v91
	v_cndmask_b32_e64 v102, v91, -v91, vcc_lo
	s_wait_dscnt 0x0
	v_cmp_gt_f32_e32 vcc_lo, 0, v98
	v_cndmask_b32_e64 v101, v98, -v98, vcc_lo
	v_cmp_gt_f32_e32 vcc_lo, 0, v99
	v_cndmask_b32_e64 v103, v99, -v99, vcc_lo
	s_delay_alu instid0(VALU_DEP_1) | instskip(NEXT) | instid1(VALU_DEP_1)
	v_pk_add_f32 v[100:101], v[100:101], v[102:103]
	v_cmp_lt_f32_e32 vcc_lo, v100, v101
	v_dual_add_nc_u32 v89, 8, v89 :: v_dual_cndmask_b32 v91, v91, v99, vcc_lo
	v_cndmask_b32_e32 v90, v90, v98, vcc_lo
	v_cndmask_b32_e64 v88, v88, s0, vcc_lo
	s_add_co_i32 s0, s0, 1
	s_delay_alu instid0(SALU_CYCLE_1)
	s_cmp_lg_u32 s18, s0
	s_cbranch_scc1 .LBB80_337
.LBB80_338:
	s_wait_dscnt 0x0
	v_cmp_eq_f32_e32 vcc_lo, 0, v90
	v_cmp_eq_f32_e64 s0, 0, v91
	s_and_b32 s0, vcc_lo, s0
	s_delay_alu instid0(SALU_CYCLE_1) | instskip(NEXT) | instid1(SALU_CYCLE_1)
	s_and_saveexec_b32 s1, s0
	s_xor_b32 s0, exec_lo, s1
; %bb.339:
	v_cmp_ne_u32_e32 vcc_lo, 0, v94
	v_cndmask_b32_e32 v94, 17, v94, vcc_lo
; %bb.340:
	s_and_not1_saveexec_b32 s0, s0
	s_cbranch_execz .LBB80_346
; %bb.341:
	v_cmp_ngt_f32_e64 s1, |v90|, |v91|
	s_and_saveexec_b32 s12, s1
	s_delay_alu instid0(SALU_CYCLE_1)
	s_xor_b32 s1, exec_lo, s12
	s_cbranch_execz .LBB80_343
; %bb.342:
	v_div_scale_f32 v89, null, v91, v91, v90
	v_div_scale_f32 v99, vcc_lo, v90, v91, v90
	s_delay_alu instid0(VALU_DEP_2) | instskip(SKIP_1) | instid1(TRANS32_DEP_1)
	v_rcp_f32_e32 v97, v89
	v_nop
	v_fma_f32 v98, -v89, v97, 1.0
	s_delay_alu instid0(VALU_DEP_1) | instskip(NEXT) | instid1(VALU_DEP_1)
	v_fmac_f32_e32 v97, v98, v97
	v_mul_f32_e32 v98, v99, v97
	s_delay_alu instid0(VALU_DEP_1) | instskip(NEXT) | instid1(VALU_DEP_1)
	v_fma_f32 v100, -v89, v98, v99
	v_fmac_f32_e32 v98, v100, v97
	s_delay_alu instid0(VALU_DEP_1) | instskip(NEXT) | instid1(VALU_DEP_1)
	v_fma_f32 v89, -v89, v98, v99
	v_div_fmas_f32 v89, v89, v97, v98
	s_delay_alu instid0(VALU_DEP_1) | instskip(NEXT) | instid1(VALU_DEP_1)
	v_div_fixup_f32 v89, v89, v91, v90
	v_fmac_f32_e32 v91, v90, v89
	s_delay_alu instid0(VALU_DEP_1) | instskip(SKIP_1) | instid1(VALU_DEP_2)
	v_div_scale_f32 v90, null, v91, v91, 1.0
	v_div_scale_f32 v99, vcc_lo, 1.0, v91, 1.0
	v_rcp_f32_e32 v97, v90
	v_nop
	s_delay_alu instid0(TRANS32_DEP_1) | instskip(NEXT) | instid1(VALU_DEP_1)
	v_fma_f32 v98, -v90, v97, 1.0
	v_fmac_f32_e32 v97, v98, v97
	s_delay_alu instid0(VALU_DEP_1) | instskip(NEXT) | instid1(VALU_DEP_1)
	v_mul_f32_e32 v98, v99, v97
	v_fma_f32 v100, -v90, v98, v99
	s_delay_alu instid0(VALU_DEP_1) | instskip(NEXT) | instid1(VALU_DEP_1)
	v_fmac_f32_e32 v98, v100, v97
	v_fma_f32 v90, -v90, v98, v99
	s_delay_alu instid0(VALU_DEP_1) | instskip(NEXT) | instid1(VALU_DEP_1)
	v_div_fmas_f32 v90, v90, v97, v98
	v_div_fixup_f32 v91, v90, v91, 1.0
	s_delay_alu instid0(VALU_DEP_1)
	v_mul_f32_e32 v90, v89, v91
	v_xor_b32_e32 v91, 0x80000000, v91
.LBB80_343:
	s_and_not1_saveexec_b32 s1, s1
	s_cbranch_execz .LBB80_345
; %bb.344:
	s_delay_alu instid0(VALU_DEP_1) | instskip(SKIP_1) | instid1(VALU_DEP_2)
	v_div_scale_f32 v89, null, v90, v90, v91
	v_div_scale_f32 v99, vcc_lo, v91, v90, v91
	v_rcp_f32_e32 v97, v89
	v_nop
	s_delay_alu instid0(TRANS32_DEP_1) | instskip(NEXT) | instid1(VALU_DEP_1)
	v_fma_f32 v98, -v89, v97, 1.0
	v_fmac_f32_e32 v97, v98, v97
	s_delay_alu instid0(VALU_DEP_1) | instskip(NEXT) | instid1(VALU_DEP_1)
	v_mul_f32_e32 v98, v99, v97
	v_fma_f32 v100, -v89, v98, v99
	s_delay_alu instid0(VALU_DEP_1) | instskip(NEXT) | instid1(VALU_DEP_1)
	v_fmac_f32_e32 v98, v100, v97
	v_fma_f32 v89, -v89, v98, v99
	s_delay_alu instid0(VALU_DEP_1) | instskip(NEXT) | instid1(VALU_DEP_1)
	v_div_fmas_f32 v89, v89, v97, v98
	v_div_fixup_f32 v89, v89, v90, v91
	s_delay_alu instid0(VALU_DEP_1) | instskip(NEXT) | instid1(VALU_DEP_1)
	v_fmac_f32_e32 v90, v91, v89
	v_div_scale_f32 v91, null, v90, v90, 1.0
	s_delay_alu instid0(VALU_DEP_1) | instskip(SKIP_1) | instid1(TRANS32_DEP_1)
	v_rcp_f32_e32 v97, v91
	v_nop
	v_fma_f32 v98, -v91, v97, 1.0
	s_delay_alu instid0(VALU_DEP_1) | instskip(SKIP_1) | instid1(VALU_DEP_1)
	v_fmac_f32_e32 v97, v98, v97
	v_div_scale_f32 v98, vcc_lo, 1.0, v90, 1.0
	v_mul_f32_e32 v99, v98, v97
	s_delay_alu instid0(VALU_DEP_1) | instskip(NEXT) | instid1(VALU_DEP_1)
	v_fma_f32 v100, -v91, v99, v98
	v_fmac_f32_e32 v99, v100, v97
	s_delay_alu instid0(VALU_DEP_1) | instskip(NEXT) | instid1(VALU_DEP_1)
	v_fma_f32 v91, -v91, v99, v98
	v_div_fmas_f32 v91, v91, v97, v99
	s_delay_alu instid0(VALU_DEP_1) | instskip(NEXT) | instid1(VALU_DEP_1)
	v_div_fixup_f32 v90, v91, v90, 1.0
	v_mul_f32_e64 v91, v89, -v90
.LBB80_345:
	s_or_b32 exec_lo, exec_lo, s1
.LBB80_346:
	s_delay_alu instid0(SALU_CYCLE_1) | instskip(NEXT) | instid1(SALU_CYCLE_1)
	s_or_b32 exec_lo, exec_lo, s0
	s_mov_b32 s0, exec_lo
	v_cmpx_ne_u32_e64 v96, v88
	s_xor_b32 s0, exec_lo, s0
	s_cbranch_execz .LBB80_352
; %bb.347:
	s_mov_b32 s1, exec_lo
	v_cmpx_eq_u32_e32 16, v96
	s_cbranch_execz .LBB80_351
; %bb.348:
	v_cmp_ne_u32_e32 vcc_lo, 16, v88
	s_xor_b32 s12, s16, -1
	s_delay_alu instid0(SALU_CYCLE_1) | instskip(NEXT) | instid1(SALU_CYCLE_1)
	s_and_b32 s13, s12, vcc_lo
	s_and_saveexec_b32 s12, s13
	s_cbranch_execz .LBB80_350
; %bb.349:
	v_ashrrev_i32_e32 v89, 31, v88
	s_delay_alu instid0(VALU_DEP_1)
	v_lshl_add_u64 v[96:97], v[88:89], 2, v[4:5]
	s_clause 0x1
	global_load_b32 v89, v[96:97], off
	global_load_b32 v95, v[4:5], off offset:64
	s_wait_loadcnt 0x1
	global_store_b32 v[4:5], v89, off offset:64
	s_wait_loadcnt 0x0
	global_store_b32 v[96:97], v95, off
.LBB80_350:
	s_wait_xcnt 0x0
	s_or_b32 exec_lo, exec_lo, s12
	v_dual_mov_b32 v96, v88 :: v_dual_mov_b32 v95, v88
.LBB80_351:
	s_or_b32 exec_lo, exec_lo, s1
.LBB80_352:
	s_and_not1_saveexec_b32 s0, s0
	s_cbranch_execz .LBB80_354
; %bb.353:
	v_mov_b32_e32 v96, 16
	ds_store_2addr_b64 v92, v[64:65], v[66:67] offset0:17 offset1:18
	ds_store_2addr_b64 v92, v[62:63], v[60:61] offset0:19 offset1:20
	;; [unrolled: 1-line block ×12, first 2 shown]
.LBB80_354:
	s_or_b32 exec_lo, exec_lo, s0
	s_delay_alu instid0(SALU_CYCLE_1)
	s_mov_b32 s0, exec_lo
	s_wait_storecnt_dscnt 0x0
	s_barrier_signal -1
	s_barrier_wait -1
	v_cmpx_lt_i32_e32 16, v96
	s_cbranch_execz .LBB80_356
; %bb.355:
	v_pk_mul_f32 v[98:99], v[90:91], v[68:69] op_sel:[1,1] op_sel_hi:[0,1]
	s_delay_alu instid0(VALU_DEP_1)
	v_pk_fma_f32 v[88:89], v[90:91], v[68:69], v[98:99] op_sel_hi:[1,0,1] neg_lo:[0,0,1] neg_hi:[0,0,1]
	v_pk_fma_f32 v[90:91], v[90:91], v[68:69], v[98:99] op_sel_hi:[1,0,1]
	ds_load_2addr_b64 v[98:101], v92 offset0:17 offset1:18
	v_dual_mov_b32 v68, v88 :: v_dual_mov_b32 v69, v91
	s_wait_dscnt 0x0
	v_pk_mul_f32 v[102:103], v[98:99], v[90:91] op_sel:[0,1]
	s_delay_alu instid0(VALU_DEP_1) | instskip(SKIP_1) | instid1(VALU_DEP_1)
	v_pk_fma_f32 v[104:105], v[98:99], v[88:89], v[102:103] op_sel:[0,0,1] op_sel_hi:[1,1,0] neg_lo:[0,0,1] neg_hi:[0,0,1]
	v_pk_fma_f32 v[98:99], v[98:99], v[88:89], v[102:103] op_sel:[0,0,1] op_sel_hi:[1,0,0]
	v_mov_b32_e32 v105, v99
	v_pk_mul_f32 v[98:99], v[100:101], v[90:91] op_sel:[0,1]
	s_delay_alu instid0(VALU_DEP_1) | instskip(SKIP_1) | instid1(VALU_DEP_1)
	v_pk_fma_f32 v[102:103], v[100:101], v[88:89], v[98:99] op_sel:[0,0,1] op_sel_hi:[1,1,0] neg_lo:[0,0,1] neg_hi:[0,0,1]
	v_pk_fma_f32 v[98:99], v[100:101], v[88:89], v[98:99] op_sel:[0,0,1] op_sel_hi:[1,0,0]
	v_mov_b32_e32 v103, v99
	ds_load_2addr_b64 v[98:101], v92 offset0:19 offset1:20
	v_pk_add_f32 v[64:65], v[64:65], v[104:105] neg_lo:[0,1] neg_hi:[0,1]
	v_pk_add_f32 v[66:67], v[66:67], v[102:103] neg_lo:[0,1] neg_hi:[0,1]
	s_wait_dscnt 0x0
	v_pk_mul_f32 v[102:103], v[98:99], v[90:91] op_sel:[0,1]
	s_delay_alu instid0(VALU_DEP_1) | instskip(SKIP_2) | instid1(VALU_DEP_2)
	v_pk_fma_f32 v[104:105], v[98:99], v[88:89], v[102:103] op_sel:[0,0,1] op_sel_hi:[1,1,0] neg_lo:[0,0,1] neg_hi:[0,0,1]
	v_pk_fma_f32 v[98:99], v[98:99], v[88:89], v[102:103] op_sel:[0,0,1] op_sel_hi:[1,0,0]
	v_dual_mul_f32 v102, v101, v91 :: v_dual_mov_b32 v98, v101
	v_dual_mov_b32 v105, v99 :: v_dual_mov_b32 v99, v100
	s_delay_alu instid0(VALU_DEP_2) | instskip(SKIP_1) | instid1(VALU_DEP_3)
	v_pk_fma_f32 v[102:103], v[100:101], v[68:69], v[102:103] op_sel_hi:[1,1,0] neg_lo:[0,0,1] neg_hi:[0,0,1]
	v_mul_f32_e32 v100, v101, v88
	v_pk_add_f32 v[62:63], v[62:63], v[104:105] neg_lo:[0,1] neg_hi:[0,1]
	s_delay_alu instid0(VALU_DEP_2) | instskip(NEXT) | instid1(VALU_DEP_1)
	v_pk_fma_f32 v[98:99], v[98:99], v[68:69], v[100:101] op_sel_hi:[1,1,0]
	v_mov_b32_e32 v103, v99
	ds_load_2addr_b64 v[98:101], v92 offset0:21 offset1:22
	v_pk_add_f32 v[60:61], v[60:61], v[102:103] neg_lo:[0,1] neg_hi:[0,1]
	s_wait_dscnt 0x0
	v_pk_mul_f32 v[102:103], v[98:99], v[90:91] op_sel:[0,1]
	s_delay_alu instid0(VALU_DEP_1) | instskip(SKIP_1) | instid1(VALU_DEP_1)
	v_pk_fma_f32 v[104:105], v[98:99], v[88:89], v[102:103] op_sel:[0,0,1] op_sel_hi:[1,1,0] neg_lo:[0,0,1] neg_hi:[0,0,1]
	v_pk_fma_f32 v[98:99], v[98:99], v[88:89], v[102:103] op_sel:[0,0,1] op_sel_hi:[1,0,0]
	v_mov_b32_e32 v105, v99
	v_pk_mul_f32 v[98:99], v[100:101], v[90:91] op_sel:[0,1]
	s_delay_alu instid0(VALU_DEP_1) | instskip(SKIP_1) | instid1(VALU_DEP_1)
	v_pk_fma_f32 v[102:103], v[100:101], v[88:89], v[98:99] op_sel:[0,0,1] op_sel_hi:[1,1,0] neg_lo:[0,0,1] neg_hi:[0,0,1]
	v_pk_fma_f32 v[98:99], v[100:101], v[88:89], v[98:99] op_sel:[0,0,1] op_sel_hi:[1,0,0]
	v_mov_b32_e32 v103, v99
	ds_load_2addr_b64 v[98:101], v92 offset0:23 offset1:24
	v_pk_add_f32 v[56:57], v[56:57], v[104:105] neg_lo:[0,1] neg_hi:[0,1]
	v_pk_add_f32 v[58:59], v[58:59], v[102:103] neg_lo:[0,1] neg_hi:[0,1]
	s_wait_dscnt 0x0
	v_pk_mul_f32 v[102:103], v[98:99], v[90:91] op_sel:[0,1]
	s_delay_alu instid0(VALU_DEP_1) | instskip(SKIP_1) | instid1(VALU_DEP_1)
	v_pk_fma_f32 v[104:105], v[98:99], v[88:89], v[102:103] op_sel:[0,0,1] op_sel_hi:[1,1,0] neg_lo:[0,0,1] neg_hi:[0,0,1]
	v_pk_fma_f32 v[98:99], v[98:99], v[88:89], v[102:103] op_sel:[0,0,1] op_sel_hi:[1,0,0]
	v_mov_b32_e32 v105, v99
	v_pk_mul_f32 v[98:99], v[100:101], v[90:91] op_sel:[0,1]
	s_delay_alu instid0(VALU_DEP_1) | instskip(SKIP_1) | instid1(VALU_DEP_1)
	v_pk_fma_f32 v[102:103], v[100:101], v[88:89], v[98:99] op_sel:[0,0,1] op_sel_hi:[1,1,0] neg_lo:[0,0,1] neg_hi:[0,0,1]
	v_pk_fma_f32 v[98:99], v[100:101], v[88:89], v[98:99] op_sel:[0,0,1] op_sel_hi:[1,0,0]
	v_mov_b32_e32 v103, v99
	ds_load_2addr_b64 v[98:101], v92 offset0:25 offset1:26
	v_pk_add_f32 v[54:55], v[54:55], v[104:105] neg_lo:[0,1] neg_hi:[0,1]
	v_pk_add_f32 v[52:53], v[52:53], v[102:103] neg_lo:[0,1] neg_hi:[0,1]
	s_wait_dscnt 0x0
	v_dual_mul_f32 v102, v99, v91 :: v_dual_mul_f32 v104, v99, v88
	s_delay_alu instid0(VALU_DEP_1) | instskip(NEXT) | instid1(VALU_DEP_2)
	v_pk_fma_f32 v[102:103], v[98:99], v[68:69], v[102:103] op_sel_hi:[1,1,0] neg_lo:[0,0,1] neg_hi:[0,0,1]
	v_pk_fma_f32 v[98:99], v[98:99], v[68:69], v[104:105] op_sel:[1,0,0] op_sel_hi:[0,1,0]
	s_delay_alu instid0(VALU_DEP_1) | instskip(SKIP_1) | instid1(VALU_DEP_2)
	v_mov_b32_e32 v103, v99
	v_pk_mul_f32 v[98:99], v[100:101], v[90:91] op_sel:[0,1]
	v_pk_add_f32 v[48:49], v[48:49], v[102:103] neg_lo:[0,1] neg_hi:[0,1]
	s_delay_alu instid0(VALU_DEP_2) | instskip(SKIP_1) | instid1(VALU_DEP_1)
	v_pk_fma_f32 v[102:103], v[100:101], v[88:89], v[98:99] op_sel:[0,0,1] op_sel_hi:[1,1,0] neg_lo:[0,0,1] neg_hi:[0,0,1]
	v_pk_fma_f32 v[98:99], v[100:101], v[88:89], v[98:99] op_sel:[0,0,1] op_sel_hi:[1,0,0]
	v_mov_b32_e32 v103, v99
	ds_load_2addr_b64 v[98:101], v92 offset0:27 offset1:28
	v_pk_add_f32 v[50:51], v[50:51], v[102:103] neg_lo:[0,1] neg_hi:[0,1]
	s_wait_dscnt 0x0
	v_pk_mul_f32 v[102:103], v[98:99], v[90:91] op_sel:[0,1]
	s_delay_alu instid0(VALU_DEP_1) | instskip(SKIP_1) | instid1(VALU_DEP_1)
	v_pk_fma_f32 v[104:105], v[98:99], v[88:89], v[102:103] op_sel:[0,0,1] op_sel_hi:[1,1,0] neg_lo:[0,0,1] neg_hi:[0,0,1]
	v_pk_fma_f32 v[98:99], v[98:99], v[88:89], v[102:103] op_sel:[0,0,1] op_sel_hi:[1,0,0]
	v_mov_b32_e32 v105, v99
	v_pk_mul_f32 v[98:99], v[100:101], v[90:91] op_sel:[0,1]
	s_delay_alu instid0(VALU_DEP_2) | instskip(NEXT) | instid1(VALU_DEP_2)
	v_pk_add_f32 v[46:47], v[46:47], v[104:105] neg_lo:[0,1] neg_hi:[0,1]
	v_pk_fma_f32 v[102:103], v[100:101], v[88:89], v[98:99] op_sel:[0,0,1] op_sel_hi:[1,1,0] neg_lo:[0,0,1] neg_hi:[0,0,1]
	v_pk_fma_f32 v[98:99], v[100:101], v[88:89], v[98:99] op_sel:[0,0,1] op_sel_hi:[1,0,0]
	s_delay_alu instid0(VALU_DEP_1) | instskip(SKIP_4) | instid1(VALU_DEP_1)
	v_mov_b32_e32 v103, v99
	ds_load_2addr_b64 v[98:101], v92 offset0:29 offset1:30
	v_pk_add_f32 v[42:43], v[42:43], v[102:103] neg_lo:[0,1] neg_hi:[0,1]
	s_wait_dscnt 0x0
	v_pk_mul_f32 v[102:103], v[98:99], v[90:91] op_sel:[0,1]
	v_pk_fma_f32 v[104:105], v[98:99], v[88:89], v[102:103] op_sel:[0,0,1] op_sel_hi:[1,1,0] neg_lo:[0,0,1] neg_hi:[0,0,1]
	v_pk_fma_f32 v[98:99], v[98:99], v[88:89], v[102:103] op_sel:[0,0,1] op_sel_hi:[1,0,0]
	v_dual_mul_f32 v102, v101, v91 :: v_dual_mov_b32 v98, v101
	s_delay_alu instid0(VALU_DEP_2) | instskip(NEXT) | instid1(VALU_DEP_2)
	v_dual_mov_b32 v105, v99 :: v_dual_mov_b32 v99, v100
	v_pk_fma_f32 v[102:103], v[100:101], v[68:69], v[102:103] op_sel_hi:[1,1,0] neg_lo:[0,0,1] neg_hi:[0,0,1]
	v_mul_f32_e32 v100, v101, v88
	s_delay_alu instid0(VALU_DEP_3) | instskip(NEXT) | instid1(VALU_DEP_2)
	v_pk_add_f32 v[38:39], v[38:39], v[104:105] neg_lo:[0,1] neg_hi:[0,1]
	v_pk_fma_f32 v[98:99], v[98:99], v[68:69], v[100:101] op_sel_hi:[1,1,0]
	s_delay_alu instid0(VALU_DEP_1) | instskip(SKIP_4) | instid1(VALU_DEP_1)
	v_mov_b32_e32 v103, v99
	ds_load_2addr_b64 v[98:101], v92 offset0:31 offset1:32
	v_pk_add_f32 v[40:41], v[40:41], v[102:103] neg_lo:[0,1] neg_hi:[0,1]
	s_wait_dscnt 0x0
	v_pk_mul_f32 v[102:103], v[98:99], v[90:91] op_sel:[0,1]
	v_pk_fma_f32 v[104:105], v[98:99], v[88:89], v[102:103] op_sel:[0,0,1] op_sel_hi:[1,1,0] neg_lo:[0,0,1] neg_hi:[0,0,1]
	v_pk_fma_f32 v[98:99], v[98:99], v[88:89], v[102:103] op_sel:[0,0,1] op_sel_hi:[1,0,0]
	s_delay_alu instid0(VALU_DEP_1) | instskip(SKIP_1) | instid1(VALU_DEP_1)
	v_mov_b32_e32 v105, v99
	v_pk_mul_f32 v[98:99], v[100:101], v[90:91] op_sel:[0,1]
	v_pk_fma_f32 v[102:103], v[100:101], v[88:89], v[98:99] op_sel:[0,0,1] op_sel_hi:[1,1,0] neg_lo:[0,0,1] neg_hi:[0,0,1]
	v_pk_fma_f32 v[98:99], v[100:101], v[88:89], v[98:99] op_sel:[0,0,1] op_sel_hi:[1,0,0]
	s_delay_alu instid0(VALU_DEP_1)
	v_mov_b32_e32 v103, v99
	ds_load_2addr_b64 v[98:101], v92 offset0:33 offset1:34
	v_pk_add_f32 v[36:37], v[36:37], v[104:105] neg_lo:[0,1] neg_hi:[0,1]
	v_pk_add_f32 v[14:15], v[14:15], v[102:103] neg_lo:[0,1] neg_hi:[0,1]
	s_wait_dscnt 0x0
	v_pk_mul_f32 v[102:103], v[98:99], v[90:91] op_sel:[0,1]
	s_delay_alu instid0(VALU_DEP_1) | instskip(SKIP_1) | instid1(VALU_DEP_1)
	v_pk_fma_f32 v[104:105], v[98:99], v[88:89], v[102:103] op_sel:[0,0,1] op_sel_hi:[1,1,0] neg_lo:[0,0,1] neg_hi:[0,0,1]
	v_pk_fma_f32 v[98:99], v[98:99], v[88:89], v[102:103] op_sel:[0,0,1] op_sel_hi:[1,0,0]
	v_mov_b32_e32 v105, v99
	v_pk_mul_f32 v[98:99], v[100:101], v[90:91] op_sel:[0,1]
	s_delay_alu instid0(VALU_DEP_1) | instskip(SKIP_1) | instid1(VALU_DEP_1)
	v_pk_fma_f32 v[102:103], v[100:101], v[88:89], v[98:99] op_sel:[0,0,1] op_sel_hi:[1,1,0] neg_lo:[0,0,1] neg_hi:[0,0,1]
	v_pk_fma_f32 v[98:99], v[100:101], v[88:89], v[98:99] op_sel:[0,0,1] op_sel_hi:[1,0,0]
	v_mov_b32_e32 v103, v99
	ds_load_2addr_b64 v[98:101], v92 offset0:35 offset1:36
	v_pk_add_f32 v[10:11], v[10:11], v[104:105] neg_lo:[0,1] neg_hi:[0,1]
	v_pk_add_f32 v[12:13], v[12:13], v[102:103] neg_lo:[0,1] neg_hi:[0,1]
	s_wait_dscnt 0x0
	v_dual_mul_f32 v102, v99, v91 :: v_dual_mul_f32 v104, v99, v88
	s_delay_alu instid0(VALU_DEP_1) | instskip(NEXT) | instid1(VALU_DEP_2)
	v_pk_fma_f32 v[102:103], v[98:99], v[68:69], v[102:103] op_sel_hi:[1,1,0] neg_lo:[0,0,1] neg_hi:[0,0,1]
	v_pk_fma_f32 v[98:99], v[98:99], v[68:69], v[104:105] op_sel:[1,0,0] op_sel_hi:[0,1,0]
	s_delay_alu instid0(VALU_DEP_1) | instskip(SKIP_1) | instid1(VALU_DEP_2)
	v_mov_b32_e32 v103, v99
	v_pk_mul_f32 v[98:99], v[100:101], v[90:91] op_sel:[0,1]
	v_pk_add_f32 v[8:9], v[8:9], v[102:103] neg_lo:[0,1] neg_hi:[0,1]
	s_delay_alu instid0(VALU_DEP_2) | instskip(SKIP_1) | instid1(VALU_DEP_1)
	v_pk_fma_f32 v[102:103], v[100:101], v[88:89], v[98:99] op_sel:[0,0,1] op_sel_hi:[1,1,0] neg_lo:[0,0,1] neg_hi:[0,0,1]
	v_pk_fma_f32 v[98:99], v[100:101], v[88:89], v[98:99] op_sel:[0,0,1] op_sel_hi:[1,0,0]
	v_mov_b32_e32 v103, v99
	ds_load_2addr_b64 v[98:101], v92 offset0:37 offset1:38
	v_pk_add_f32 v[6:7], v[6:7], v[102:103] neg_lo:[0,1] neg_hi:[0,1]
	s_wait_dscnt 0x0
	v_pk_mul_f32 v[102:103], v[98:99], v[90:91] op_sel:[0,1]
	s_delay_alu instid0(VALU_DEP_1) | instskip(SKIP_1) | instid1(VALU_DEP_1)
	v_pk_fma_f32 v[104:105], v[98:99], v[88:89], v[102:103] op_sel:[0,0,1] op_sel_hi:[1,1,0] neg_lo:[0,0,1] neg_hi:[0,0,1]
	v_pk_fma_f32 v[98:99], v[98:99], v[88:89], v[102:103] op_sel:[0,0,1] op_sel_hi:[1,0,0]
	v_mov_b32_e32 v105, v99
	v_pk_mul_f32 v[98:99], v[100:101], v[90:91] op_sel:[0,1]
	s_delay_alu instid0(VALU_DEP_2) | instskip(NEXT) | instid1(VALU_DEP_2)
	v_pk_add_f32 v[44:45], v[44:45], v[104:105] neg_lo:[0,1] neg_hi:[0,1]
	v_pk_fma_f32 v[102:103], v[100:101], v[88:89], v[98:99] op_sel:[0,0,1] op_sel_hi:[1,1,0] neg_lo:[0,0,1] neg_hi:[0,0,1]
	v_pk_fma_f32 v[98:99], v[100:101], v[88:89], v[98:99] op_sel:[0,0,1] op_sel_hi:[1,0,0]
	s_delay_alu instid0(VALU_DEP_1)
	v_mov_b32_e32 v103, v99
	ds_load_2addr_b64 v[98:101], v92 offset0:39 offset1:40
	v_pk_add_f32 v[22:23], v[22:23], v[102:103] neg_lo:[0,1] neg_hi:[0,1]
	s_wait_dscnt 0x0
	v_pk_mul_f32 v[102:103], v[98:99], v[90:91] op_sel:[0,1]
	v_mul_f32_e32 v90, v101, v91
	s_delay_alu instid0(VALU_DEP_2) | instskip(SKIP_2) | instid1(VALU_DEP_4)
	v_pk_fma_f32 v[104:105], v[98:99], v[88:89], v[102:103] op_sel:[0,0,1] op_sel_hi:[1,1,0] neg_lo:[0,0,1] neg_hi:[0,0,1]
	v_pk_fma_f32 v[98:99], v[98:99], v[88:89], v[102:103] op_sel:[0,0,1] op_sel_hi:[1,0,0]
	v_dual_mov_b32 v98, v101 :: v_dual_mul_f32 v88, v101, v88
	v_pk_fma_f32 v[90:91], v[100:101], v[68:69], v[90:91] op_sel_hi:[1,1,0] neg_lo:[0,0,1] neg_hi:[0,0,1]
	s_delay_alu instid0(VALU_DEP_3) | instskip(NEXT) | instid1(VALU_DEP_1)
	v_dual_mov_b32 v105, v99 :: v_dual_mov_b32 v99, v100
	v_pk_add_f32 v[16:17], v[16:17], v[104:105] neg_lo:[0,1] neg_hi:[0,1]
	s_delay_alu instid0(VALU_DEP_2) | instskip(NEXT) | instid1(VALU_DEP_1)
	v_pk_fma_f32 v[88:89], v[98:99], v[68:69], v[88:89] op_sel_hi:[1,1,0]
	v_mov_b32_e32 v91, v89
	s_delay_alu instid0(VALU_DEP_1)
	v_pk_add_f32 v[86:87], v[86:87], v[90:91] neg_lo:[0,1] neg_hi:[0,1]
.LBB80_356:
	s_or_b32 exec_lo, exec_lo, s0
	v_lshl_add_u32 v88, v96, 3, v92
	s_barrier_signal -1
	s_barrier_wait -1
	ds_store_b64 v88, v[64:65]
	s_wait_dscnt 0x0
	s_barrier_signal -1
	s_barrier_wait -1
	ds_load_b64 v[90:91], v92 offset:136
	v_mov_b32_e32 v88, 17
	s_cmp_lt_i32 s18, 19
	s_cbranch_scc1 .LBB80_359
; %bb.357:
	v_add3_u32 v89, v93, 0, 0x90
	v_mov_b32_e32 v88, 17
	s_mov_b32 s0, 18
.LBB80_358:                             ; =>This Inner Loop Header: Depth=1
	ds_load_b64 v[98:99], v89
	s_wait_dscnt 0x1
	v_cmp_gt_f32_e32 vcc_lo, 0, v90
	v_cndmask_b32_e64 v100, v90, -v90, vcc_lo
	v_cmp_gt_f32_e32 vcc_lo, 0, v91
	v_cndmask_b32_e64 v102, v91, -v91, vcc_lo
	s_wait_dscnt 0x0
	v_cmp_gt_f32_e32 vcc_lo, 0, v98
	v_cndmask_b32_e64 v101, v98, -v98, vcc_lo
	v_cmp_gt_f32_e32 vcc_lo, 0, v99
	v_cndmask_b32_e64 v103, v99, -v99, vcc_lo
	s_delay_alu instid0(VALU_DEP_1) | instskip(NEXT) | instid1(VALU_DEP_1)
	v_pk_add_f32 v[100:101], v[100:101], v[102:103]
	v_cmp_lt_f32_e32 vcc_lo, v100, v101
	v_dual_add_nc_u32 v89, 8, v89 :: v_dual_cndmask_b32 v91, v91, v99, vcc_lo
	v_cndmask_b32_e32 v90, v90, v98, vcc_lo
	v_cndmask_b32_e64 v88, v88, s0, vcc_lo
	s_add_co_i32 s0, s0, 1
	s_delay_alu instid0(SALU_CYCLE_1)
	s_cmp_lg_u32 s18, s0
	s_cbranch_scc1 .LBB80_358
.LBB80_359:
	s_wait_dscnt 0x0
	v_cmp_eq_f32_e32 vcc_lo, 0, v90
	v_cmp_eq_f32_e64 s0, 0, v91
	s_and_b32 s0, vcc_lo, s0
	s_delay_alu instid0(SALU_CYCLE_1) | instskip(NEXT) | instid1(SALU_CYCLE_1)
	s_and_saveexec_b32 s1, s0
	s_xor_b32 s0, exec_lo, s1
; %bb.360:
	v_cmp_ne_u32_e32 vcc_lo, 0, v94
	v_cndmask_b32_e32 v94, 18, v94, vcc_lo
; %bb.361:
	s_and_not1_saveexec_b32 s0, s0
	s_cbranch_execz .LBB80_367
; %bb.362:
	v_cmp_ngt_f32_e64 s1, |v90|, |v91|
	s_and_saveexec_b32 s12, s1
	s_delay_alu instid0(SALU_CYCLE_1)
	s_xor_b32 s1, exec_lo, s12
	s_cbranch_execz .LBB80_364
; %bb.363:
	v_div_scale_f32 v89, null, v91, v91, v90
	v_div_scale_f32 v99, vcc_lo, v90, v91, v90
	s_delay_alu instid0(VALU_DEP_2) | instskip(SKIP_1) | instid1(TRANS32_DEP_1)
	v_rcp_f32_e32 v97, v89
	v_nop
	v_fma_f32 v98, -v89, v97, 1.0
	s_delay_alu instid0(VALU_DEP_1) | instskip(NEXT) | instid1(VALU_DEP_1)
	v_fmac_f32_e32 v97, v98, v97
	v_mul_f32_e32 v98, v99, v97
	s_delay_alu instid0(VALU_DEP_1) | instskip(NEXT) | instid1(VALU_DEP_1)
	v_fma_f32 v100, -v89, v98, v99
	v_fmac_f32_e32 v98, v100, v97
	s_delay_alu instid0(VALU_DEP_1) | instskip(NEXT) | instid1(VALU_DEP_1)
	v_fma_f32 v89, -v89, v98, v99
	v_div_fmas_f32 v89, v89, v97, v98
	s_delay_alu instid0(VALU_DEP_1) | instskip(NEXT) | instid1(VALU_DEP_1)
	v_div_fixup_f32 v89, v89, v91, v90
	v_fmac_f32_e32 v91, v90, v89
	s_delay_alu instid0(VALU_DEP_1) | instskip(SKIP_1) | instid1(VALU_DEP_2)
	v_div_scale_f32 v90, null, v91, v91, 1.0
	v_div_scale_f32 v99, vcc_lo, 1.0, v91, 1.0
	v_rcp_f32_e32 v97, v90
	v_nop
	s_delay_alu instid0(TRANS32_DEP_1) | instskip(NEXT) | instid1(VALU_DEP_1)
	v_fma_f32 v98, -v90, v97, 1.0
	v_fmac_f32_e32 v97, v98, v97
	s_delay_alu instid0(VALU_DEP_1) | instskip(NEXT) | instid1(VALU_DEP_1)
	v_mul_f32_e32 v98, v99, v97
	v_fma_f32 v100, -v90, v98, v99
	s_delay_alu instid0(VALU_DEP_1) | instskip(NEXT) | instid1(VALU_DEP_1)
	v_fmac_f32_e32 v98, v100, v97
	v_fma_f32 v90, -v90, v98, v99
	s_delay_alu instid0(VALU_DEP_1) | instskip(NEXT) | instid1(VALU_DEP_1)
	v_div_fmas_f32 v90, v90, v97, v98
	v_div_fixup_f32 v91, v90, v91, 1.0
	s_delay_alu instid0(VALU_DEP_1)
	v_mul_f32_e32 v90, v89, v91
	v_xor_b32_e32 v91, 0x80000000, v91
.LBB80_364:
	s_and_not1_saveexec_b32 s1, s1
	s_cbranch_execz .LBB80_366
; %bb.365:
	s_delay_alu instid0(VALU_DEP_1) | instskip(SKIP_1) | instid1(VALU_DEP_2)
	v_div_scale_f32 v89, null, v90, v90, v91
	v_div_scale_f32 v99, vcc_lo, v91, v90, v91
	v_rcp_f32_e32 v97, v89
	v_nop
	s_delay_alu instid0(TRANS32_DEP_1) | instskip(NEXT) | instid1(VALU_DEP_1)
	v_fma_f32 v98, -v89, v97, 1.0
	v_fmac_f32_e32 v97, v98, v97
	s_delay_alu instid0(VALU_DEP_1) | instskip(NEXT) | instid1(VALU_DEP_1)
	v_mul_f32_e32 v98, v99, v97
	v_fma_f32 v100, -v89, v98, v99
	s_delay_alu instid0(VALU_DEP_1) | instskip(NEXT) | instid1(VALU_DEP_1)
	v_fmac_f32_e32 v98, v100, v97
	v_fma_f32 v89, -v89, v98, v99
	s_delay_alu instid0(VALU_DEP_1) | instskip(NEXT) | instid1(VALU_DEP_1)
	v_div_fmas_f32 v89, v89, v97, v98
	v_div_fixup_f32 v89, v89, v90, v91
	s_delay_alu instid0(VALU_DEP_1) | instskip(NEXT) | instid1(VALU_DEP_1)
	v_fmac_f32_e32 v90, v91, v89
	v_div_scale_f32 v91, null, v90, v90, 1.0
	s_delay_alu instid0(VALU_DEP_1) | instskip(SKIP_1) | instid1(TRANS32_DEP_1)
	v_rcp_f32_e32 v97, v91
	v_nop
	v_fma_f32 v98, -v91, v97, 1.0
	s_delay_alu instid0(VALU_DEP_1) | instskip(SKIP_1) | instid1(VALU_DEP_1)
	v_fmac_f32_e32 v97, v98, v97
	v_div_scale_f32 v98, vcc_lo, 1.0, v90, 1.0
	v_mul_f32_e32 v99, v98, v97
	s_delay_alu instid0(VALU_DEP_1) | instskip(NEXT) | instid1(VALU_DEP_1)
	v_fma_f32 v100, -v91, v99, v98
	v_fmac_f32_e32 v99, v100, v97
	s_delay_alu instid0(VALU_DEP_1) | instskip(NEXT) | instid1(VALU_DEP_1)
	v_fma_f32 v91, -v91, v99, v98
	v_div_fmas_f32 v91, v91, v97, v99
	s_delay_alu instid0(VALU_DEP_1) | instskip(NEXT) | instid1(VALU_DEP_1)
	v_div_fixup_f32 v90, v91, v90, 1.0
	v_mul_f32_e64 v91, v89, -v90
.LBB80_366:
	s_or_b32 exec_lo, exec_lo, s1
.LBB80_367:
	s_delay_alu instid0(SALU_CYCLE_1) | instskip(NEXT) | instid1(SALU_CYCLE_1)
	s_or_b32 exec_lo, exec_lo, s0
	s_mov_b32 s0, exec_lo
	v_cmpx_ne_u32_e64 v96, v88
	s_xor_b32 s0, exec_lo, s0
	s_cbranch_execz .LBB80_373
; %bb.368:
	s_mov_b32 s1, exec_lo
	v_cmpx_eq_u32_e32 17, v96
	s_cbranch_execz .LBB80_372
; %bb.369:
	v_cmp_ne_u32_e32 vcc_lo, 17, v88
	s_xor_b32 s12, s16, -1
	s_delay_alu instid0(SALU_CYCLE_1) | instskip(NEXT) | instid1(SALU_CYCLE_1)
	s_and_b32 s13, s12, vcc_lo
	s_and_saveexec_b32 s12, s13
	s_cbranch_execz .LBB80_371
; %bb.370:
	v_ashrrev_i32_e32 v89, 31, v88
	s_delay_alu instid0(VALU_DEP_1)
	v_lshl_add_u64 v[96:97], v[88:89], 2, v[4:5]
	s_clause 0x1
	global_load_b32 v89, v[96:97], off
	global_load_b32 v95, v[4:5], off offset:68
	s_wait_loadcnt 0x1
	global_store_b32 v[4:5], v89, off offset:68
	s_wait_loadcnt 0x0
	global_store_b32 v[96:97], v95, off
.LBB80_371:
	s_wait_xcnt 0x0
	s_or_b32 exec_lo, exec_lo, s12
	v_dual_mov_b32 v96, v88 :: v_dual_mov_b32 v95, v88
.LBB80_372:
	s_or_b32 exec_lo, exec_lo, s1
.LBB80_373:
	s_and_not1_saveexec_b32 s0, s0
	s_cbranch_execz .LBB80_375
; %bb.374:
	v_dual_mov_b32 v88, v66 :: v_dual_mov_b32 v89, v67
	v_dual_mov_b32 v96, v62 :: v_dual_mov_b32 v97, v63
	ds_store_2addr_b64 v92, v[88:89], v[96:97] offset0:18 offset1:19
	v_dual_mov_b32 v88, v60 :: v_dual_mov_b32 v89, v61
	v_dual_mov_b32 v96, v56 :: v_dual_mov_b32 v97, v57
	ds_store_2addr_b64 v92, v[88:89], v[96:97] offset0:20 offset1:21
	;; [unrolled: 3-line block ×11, first 2 shown]
	ds_store_b64 v92, v[86:87] offset:320
	v_mov_b32_e32 v96, 17
.LBB80_375:
	s_or_b32 exec_lo, exec_lo, s0
	s_delay_alu instid0(SALU_CYCLE_1)
	s_mov_b32 s0, exec_lo
	s_wait_storecnt_dscnt 0x0
	s_barrier_signal -1
	s_barrier_wait -1
	v_cmpx_lt_i32_e32 17, v96
	s_cbranch_execz .LBB80_377
; %bb.376:
	v_pk_mul_f32 v[98:99], v[90:91], v[64:65] op_sel:[1,1] op_sel_hi:[0,1]
	s_delay_alu instid0(VALU_DEP_1)
	v_pk_fma_f32 v[88:89], v[90:91], v[64:65], v[98:99] op_sel_hi:[1,0,1] neg_lo:[0,0,1] neg_hi:[0,0,1]
	v_pk_fma_f32 v[90:91], v[90:91], v[64:65], v[98:99] op_sel_hi:[1,0,1]
	ds_load_2addr_b64 v[98:101], v92 offset0:18 offset1:19
	v_dual_mov_b32 v64, v88 :: v_dual_mov_b32 v65, v91
	s_wait_dscnt 0x0
	v_pk_mul_f32 v[102:103], v[98:99], v[90:91] op_sel:[0,1]
	s_delay_alu instid0(VALU_DEP_1) | instskip(SKIP_1) | instid1(VALU_DEP_1)
	v_pk_fma_f32 v[104:105], v[98:99], v[88:89], v[102:103] op_sel:[0,0,1] op_sel_hi:[1,1,0] neg_lo:[0,0,1] neg_hi:[0,0,1]
	v_pk_fma_f32 v[98:99], v[98:99], v[88:89], v[102:103] op_sel:[0,0,1] op_sel_hi:[1,0,0]
	v_mov_b32_e32 v105, v99
	v_pk_mul_f32 v[98:99], v[100:101], v[90:91] op_sel:[0,1]
	s_delay_alu instid0(VALU_DEP_1) | instskip(SKIP_1) | instid1(VALU_DEP_1)
	v_pk_fma_f32 v[102:103], v[100:101], v[88:89], v[98:99] op_sel:[0,0,1] op_sel_hi:[1,1,0] neg_lo:[0,0,1] neg_hi:[0,0,1]
	v_pk_fma_f32 v[98:99], v[100:101], v[88:89], v[98:99] op_sel:[0,0,1] op_sel_hi:[1,0,0]
	v_mov_b32_e32 v103, v99
	ds_load_2addr_b64 v[98:101], v92 offset0:20 offset1:21
	v_pk_add_f32 v[66:67], v[66:67], v[104:105] neg_lo:[0,1] neg_hi:[0,1]
	v_pk_add_f32 v[62:63], v[62:63], v[102:103] neg_lo:[0,1] neg_hi:[0,1]
	s_wait_dscnt 0x0
	v_pk_mul_f32 v[102:103], v[98:99], v[90:91] op_sel:[0,1]
	s_delay_alu instid0(VALU_DEP_1) | instskip(SKIP_2) | instid1(VALU_DEP_2)
	v_pk_fma_f32 v[104:105], v[98:99], v[88:89], v[102:103] op_sel:[0,0,1] op_sel_hi:[1,1,0] neg_lo:[0,0,1] neg_hi:[0,0,1]
	v_pk_fma_f32 v[98:99], v[98:99], v[88:89], v[102:103] op_sel:[0,0,1] op_sel_hi:[1,0,0]
	v_dual_mul_f32 v102, v101, v91 :: v_dual_mov_b32 v98, v101
	v_dual_mov_b32 v105, v99 :: v_dual_mov_b32 v99, v100
	s_delay_alu instid0(VALU_DEP_2) | instskip(SKIP_1) | instid1(VALU_DEP_3)
	v_pk_fma_f32 v[102:103], v[100:101], v[64:65], v[102:103] op_sel_hi:[1,1,0] neg_lo:[0,0,1] neg_hi:[0,0,1]
	v_mul_f32_e32 v100, v101, v88
	v_pk_add_f32 v[60:61], v[60:61], v[104:105] neg_lo:[0,1] neg_hi:[0,1]
	s_delay_alu instid0(VALU_DEP_2) | instskip(NEXT) | instid1(VALU_DEP_1)
	v_pk_fma_f32 v[98:99], v[98:99], v[64:65], v[100:101] op_sel_hi:[1,1,0]
	v_mov_b32_e32 v103, v99
	ds_load_2addr_b64 v[98:101], v92 offset0:22 offset1:23
	v_pk_add_f32 v[56:57], v[56:57], v[102:103] neg_lo:[0,1] neg_hi:[0,1]
	s_wait_dscnt 0x0
	v_pk_mul_f32 v[102:103], v[98:99], v[90:91] op_sel:[0,1]
	s_delay_alu instid0(VALU_DEP_1) | instskip(SKIP_1) | instid1(VALU_DEP_1)
	v_pk_fma_f32 v[104:105], v[98:99], v[88:89], v[102:103] op_sel:[0,0,1] op_sel_hi:[1,1,0] neg_lo:[0,0,1] neg_hi:[0,0,1]
	v_pk_fma_f32 v[98:99], v[98:99], v[88:89], v[102:103] op_sel:[0,0,1] op_sel_hi:[1,0,0]
	v_mov_b32_e32 v105, v99
	v_pk_mul_f32 v[98:99], v[100:101], v[90:91] op_sel:[0,1]
	s_delay_alu instid0(VALU_DEP_1) | instskip(SKIP_1) | instid1(VALU_DEP_1)
	v_pk_fma_f32 v[102:103], v[100:101], v[88:89], v[98:99] op_sel:[0,0,1] op_sel_hi:[1,1,0] neg_lo:[0,0,1] neg_hi:[0,0,1]
	v_pk_fma_f32 v[98:99], v[100:101], v[88:89], v[98:99] op_sel:[0,0,1] op_sel_hi:[1,0,0]
	v_mov_b32_e32 v103, v99
	ds_load_2addr_b64 v[98:101], v92 offset0:24 offset1:25
	v_pk_add_f32 v[58:59], v[58:59], v[104:105] neg_lo:[0,1] neg_hi:[0,1]
	v_pk_add_f32 v[54:55], v[54:55], v[102:103] neg_lo:[0,1] neg_hi:[0,1]
	s_wait_dscnt 0x0
	v_pk_mul_f32 v[102:103], v[98:99], v[90:91] op_sel:[0,1]
	s_delay_alu instid0(VALU_DEP_1) | instskip(SKIP_1) | instid1(VALU_DEP_1)
	v_pk_fma_f32 v[104:105], v[98:99], v[88:89], v[102:103] op_sel:[0,0,1] op_sel_hi:[1,1,0] neg_lo:[0,0,1] neg_hi:[0,0,1]
	v_pk_fma_f32 v[98:99], v[98:99], v[88:89], v[102:103] op_sel:[0,0,1] op_sel_hi:[1,0,0]
	v_mov_b32_e32 v105, v99
	v_pk_mul_f32 v[98:99], v[100:101], v[90:91] op_sel:[0,1]
	s_delay_alu instid0(VALU_DEP_1) | instskip(SKIP_1) | instid1(VALU_DEP_1)
	v_pk_fma_f32 v[102:103], v[100:101], v[88:89], v[98:99] op_sel:[0,0,1] op_sel_hi:[1,1,0] neg_lo:[0,0,1] neg_hi:[0,0,1]
	v_pk_fma_f32 v[98:99], v[100:101], v[88:89], v[98:99] op_sel:[0,0,1] op_sel_hi:[1,0,0]
	v_mov_b32_e32 v103, v99
	ds_load_2addr_b64 v[98:101], v92 offset0:26 offset1:27
	v_pk_add_f32 v[52:53], v[52:53], v[104:105] neg_lo:[0,1] neg_hi:[0,1]
	v_pk_add_f32 v[48:49], v[48:49], v[102:103] neg_lo:[0,1] neg_hi:[0,1]
	s_wait_dscnt 0x0
	v_dual_mul_f32 v102, v99, v91 :: v_dual_mul_f32 v104, v99, v88
	s_delay_alu instid0(VALU_DEP_1) | instskip(NEXT) | instid1(VALU_DEP_2)
	v_pk_fma_f32 v[102:103], v[98:99], v[64:65], v[102:103] op_sel_hi:[1,1,0] neg_lo:[0,0,1] neg_hi:[0,0,1]
	v_pk_fma_f32 v[98:99], v[98:99], v[64:65], v[104:105] op_sel:[1,0,0] op_sel_hi:[0,1,0]
	s_delay_alu instid0(VALU_DEP_1) | instskip(SKIP_1) | instid1(VALU_DEP_2)
	v_mov_b32_e32 v103, v99
	v_pk_mul_f32 v[98:99], v[100:101], v[90:91] op_sel:[0,1]
	v_pk_add_f32 v[50:51], v[50:51], v[102:103] neg_lo:[0,1] neg_hi:[0,1]
	s_delay_alu instid0(VALU_DEP_2) | instskip(SKIP_1) | instid1(VALU_DEP_1)
	v_pk_fma_f32 v[102:103], v[100:101], v[88:89], v[98:99] op_sel:[0,0,1] op_sel_hi:[1,1,0] neg_lo:[0,0,1] neg_hi:[0,0,1]
	v_pk_fma_f32 v[98:99], v[100:101], v[88:89], v[98:99] op_sel:[0,0,1] op_sel_hi:[1,0,0]
	v_mov_b32_e32 v103, v99
	ds_load_2addr_b64 v[98:101], v92 offset0:28 offset1:29
	v_pk_add_f32 v[46:47], v[46:47], v[102:103] neg_lo:[0,1] neg_hi:[0,1]
	s_wait_dscnt 0x0
	v_pk_mul_f32 v[102:103], v[98:99], v[90:91] op_sel:[0,1]
	s_delay_alu instid0(VALU_DEP_1) | instskip(SKIP_1) | instid1(VALU_DEP_1)
	v_pk_fma_f32 v[104:105], v[98:99], v[88:89], v[102:103] op_sel:[0,0,1] op_sel_hi:[1,1,0] neg_lo:[0,0,1] neg_hi:[0,0,1]
	v_pk_fma_f32 v[98:99], v[98:99], v[88:89], v[102:103] op_sel:[0,0,1] op_sel_hi:[1,0,0]
	v_mov_b32_e32 v105, v99
	v_pk_mul_f32 v[98:99], v[100:101], v[90:91] op_sel:[0,1]
	s_delay_alu instid0(VALU_DEP_2) | instskip(NEXT) | instid1(VALU_DEP_2)
	v_pk_add_f32 v[42:43], v[42:43], v[104:105] neg_lo:[0,1] neg_hi:[0,1]
	v_pk_fma_f32 v[102:103], v[100:101], v[88:89], v[98:99] op_sel:[0,0,1] op_sel_hi:[1,1,0] neg_lo:[0,0,1] neg_hi:[0,0,1]
	v_pk_fma_f32 v[98:99], v[100:101], v[88:89], v[98:99] op_sel:[0,0,1] op_sel_hi:[1,0,0]
	s_delay_alu instid0(VALU_DEP_1) | instskip(SKIP_4) | instid1(VALU_DEP_1)
	v_mov_b32_e32 v103, v99
	ds_load_2addr_b64 v[98:101], v92 offset0:30 offset1:31
	v_pk_add_f32 v[38:39], v[38:39], v[102:103] neg_lo:[0,1] neg_hi:[0,1]
	s_wait_dscnt 0x0
	v_pk_mul_f32 v[102:103], v[98:99], v[90:91] op_sel:[0,1]
	v_pk_fma_f32 v[104:105], v[98:99], v[88:89], v[102:103] op_sel:[0,0,1] op_sel_hi:[1,1,0] neg_lo:[0,0,1] neg_hi:[0,0,1]
	v_pk_fma_f32 v[98:99], v[98:99], v[88:89], v[102:103] op_sel:[0,0,1] op_sel_hi:[1,0,0]
	v_dual_mul_f32 v102, v101, v91 :: v_dual_mov_b32 v98, v101
	s_delay_alu instid0(VALU_DEP_2) | instskip(NEXT) | instid1(VALU_DEP_2)
	v_dual_mov_b32 v105, v99 :: v_dual_mov_b32 v99, v100
	v_pk_fma_f32 v[102:103], v[100:101], v[64:65], v[102:103] op_sel_hi:[1,1,0] neg_lo:[0,0,1] neg_hi:[0,0,1]
	v_mul_f32_e32 v100, v101, v88
	s_delay_alu instid0(VALU_DEP_3) | instskip(NEXT) | instid1(VALU_DEP_2)
	v_pk_add_f32 v[40:41], v[40:41], v[104:105] neg_lo:[0,1] neg_hi:[0,1]
	v_pk_fma_f32 v[98:99], v[98:99], v[64:65], v[100:101] op_sel_hi:[1,1,0]
	s_delay_alu instid0(VALU_DEP_1) | instskip(SKIP_4) | instid1(VALU_DEP_1)
	v_mov_b32_e32 v103, v99
	ds_load_2addr_b64 v[98:101], v92 offset0:32 offset1:33
	v_pk_add_f32 v[36:37], v[36:37], v[102:103] neg_lo:[0,1] neg_hi:[0,1]
	s_wait_dscnt 0x0
	v_pk_mul_f32 v[102:103], v[98:99], v[90:91] op_sel:[0,1]
	v_pk_fma_f32 v[104:105], v[98:99], v[88:89], v[102:103] op_sel:[0,0,1] op_sel_hi:[1,1,0] neg_lo:[0,0,1] neg_hi:[0,0,1]
	v_pk_fma_f32 v[98:99], v[98:99], v[88:89], v[102:103] op_sel:[0,0,1] op_sel_hi:[1,0,0]
	s_delay_alu instid0(VALU_DEP_1) | instskip(SKIP_1) | instid1(VALU_DEP_1)
	v_mov_b32_e32 v105, v99
	v_pk_mul_f32 v[98:99], v[100:101], v[90:91] op_sel:[0,1]
	v_pk_fma_f32 v[102:103], v[100:101], v[88:89], v[98:99] op_sel:[0,0,1] op_sel_hi:[1,1,0] neg_lo:[0,0,1] neg_hi:[0,0,1]
	v_pk_fma_f32 v[98:99], v[100:101], v[88:89], v[98:99] op_sel:[0,0,1] op_sel_hi:[1,0,0]
	s_delay_alu instid0(VALU_DEP_1)
	v_mov_b32_e32 v103, v99
	ds_load_2addr_b64 v[98:101], v92 offset0:34 offset1:35
	v_pk_add_f32 v[14:15], v[14:15], v[104:105] neg_lo:[0,1] neg_hi:[0,1]
	v_pk_add_f32 v[10:11], v[10:11], v[102:103] neg_lo:[0,1] neg_hi:[0,1]
	s_wait_dscnt 0x0
	v_pk_mul_f32 v[102:103], v[98:99], v[90:91] op_sel:[0,1]
	s_delay_alu instid0(VALU_DEP_1) | instskip(SKIP_1) | instid1(VALU_DEP_1)
	v_pk_fma_f32 v[104:105], v[98:99], v[88:89], v[102:103] op_sel:[0,0,1] op_sel_hi:[1,1,0] neg_lo:[0,0,1] neg_hi:[0,0,1]
	v_pk_fma_f32 v[98:99], v[98:99], v[88:89], v[102:103] op_sel:[0,0,1] op_sel_hi:[1,0,0]
	v_mov_b32_e32 v105, v99
	v_pk_mul_f32 v[98:99], v[100:101], v[90:91] op_sel:[0,1]
	s_delay_alu instid0(VALU_DEP_1) | instskip(SKIP_1) | instid1(VALU_DEP_1)
	v_pk_fma_f32 v[102:103], v[100:101], v[88:89], v[98:99] op_sel:[0,0,1] op_sel_hi:[1,1,0] neg_lo:[0,0,1] neg_hi:[0,0,1]
	v_pk_fma_f32 v[98:99], v[100:101], v[88:89], v[98:99] op_sel:[0,0,1] op_sel_hi:[1,0,0]
	v_mov_b32_e32 v103, v99
	ds_load_2addr_b64 v[98:101], v92 offset0:36 offset1:37
	v_pk_add_f32 v[12:13], v[12:13], v[104:105] neg_lo:[0,1] neg_hi:[0,1]
	v_pk_add_f32 v[8:9], v[8:9], v[102:103] neg_lo:[0,1] neg_hi:[0,1]
	s_wait_dscnt 0x0
	v_dual_mul_f32 v102, v99, v91 :: v_dual_mul_f32 v104, v99, v88
	s_delay_alu instid0(VALU_DEP_1) | instskip(NEXT) | instid1(VALU_DEP_2)
	v_pk_fma_f32 v[102:103], v[98:99], v[64:65], v[102:103] op_sel_hi:[1,1,0] neg_lo:[0,0,1] neg_hi:[0,0,1]
	v_pk_fma_f32 v[98:99], v[98:99], v[64:65], v[104:105] op_sel:[1,0,0] op_sel_hi:[0,1,0]
	s_delay_alu instid0(VALU_DEP_1) | instskip(SKIP_1) | instid1(VALU_DEP_2)
	v_mov_b32_e32 v103, v99
	v_pk_mul_f32 v[98:99], v[100:101], v[90:91] op_sel:[0,1]
	v_pk_add_f32 v[6:7], v[6:7], v[102:103] neg_lo:[0,1] neg_hi:[0,1]
	s_delay_alu instid0(VALU_DEP_2) | instskip(SKIP_1) | instid1(VALU_DEP_1)
	v_pk_fma_f32 v[102:103], v[100:101], v[88:89], v[98:99] op_sel:[0,0,1] op_sel_hi:[1,1,0] neg_lo:[0,0,1] neg_hi:[0,0,1]
	v_pk_fma_f32 v[98:99], v[100:101], v[88:89], v[98:99] op_sel:[0,0,1] op_sel_hi:[1,0,0]
	v_mov_b32_e32 v103, v99
	ds_load_2addr_b64 v[98:101], v92 offset0:38 offset1:39
	v_pk_add_f32 v[44:45], v[44:45], v[102:103] neg_lo:[0,1] neg_hi:[0,1]
	s_wait_dscnt 0x0
	v_pk_mul_f32 v[102:103], v[98:99], v[90:91] op_sel:[0,1]
	s_delay_alu instid0(VALU_DEP_1) | instskip(SKIP_1) | instid1(VALU_DEP_1)
	v_pk_fma_f32 v[104:105], v[98:99], v[88:89], v[102:103] op_sel:[0,0,1] op_sel_hi:[1,1,0] neg_lo:[0,0,1] neg_hi:[0,0,1]
	v_pk_fma_f32 v[98:99], v[98:99], v[88:89], v[102:103] op_sel:[0,0,1] op_sel_hi:[1,0,0]
	v_mov_b32_e32 v105, v99
	v_pk_mul_f32 v[98:99], v[100:101], v[90:91] op_sel:[0,1]
	s_delay_alu instid0(VALU_DEP_2) | instskip(NEXT) | instid1(VALU_DEP_2)
	v_pk_add_f32 v[22:23], v[22:23], v[104:105] neg_lo:[0,1] neg_hi:[0,1]
	v_pk_fma_f32 v[102:103], v[100:101], v[88:89], v[98:99] op_sel:[0,0,1] op_sel_hi:[1,1,0] neg_lo:[0,0,1] neg_hi:[0,0,1]
	v_pk_fma_f32 v[98:99], v[100:101], v[88:89], v[98:99] op_sel:[0,0,1] op_sel_hi:[1,0,0]
	s_delay_alu instid0(VALU_DEP_1) | instskip(SKIP_4) | instid1(VALU_DEP_1)
	v_mov_b32_e32 v103, v99
	ds_load_b64 v[98:99], v92 offset:320
	v_pk_add_f32 v[16:17], v[16:17], v[102:103] neg_lo:[0,1] neg_hi:[0,1]
	s_wait_dscnt 0x0
	v_pk_mul_f32 v[90:91], v[98:99], v[90:91] op_sel:[0,1]
	v_pk_fma_f32 v[100:101], v[98:99], v[88:89], v[90:91] op_sel:[0,0,1] op_sel_hi:[1,1,0] neg_lo:[0,0,1] neg_hi:[0,0,1]
	v_pk_fma_f32 v[88:89], v[98:99], v[88:89], v[90:91] op_sel:[0,0,1] op_sel_hi:[1,0,0]
	s_delay_alu instid0(VALU_DEP_1) | instskip(NEXT) | instid1(VALU_DEP_1)
	v_mov_b32_e32 v101, v89
	v_pk_add_f32 v[86:87], v[86:87], v[100:101] neg_lo:[0,1] neg_hi:[0,1]
.LBB80_377:
	s_or_b32 exec_lo, exec_lo, s0
	v_lshl_add_u32 v88, v96, 3, v92
	s_barrier_signal -1
	s_barrier_wait -1
	ds_store_b64 v88, v[66:67]
	s_wait_dscnt 0x0
	s_barrier_signal -1
	s_barrier_wait -1
	ds_load_b64 v[90:91], v92 offset:144
	v_mov_b32_e32 v88, 18
	s_cmp_lt_i32 s18, 20
	s_cbranch_scc1 .LBB80_380
; %bb.378:
	v_add3_u32 v89, v93, 0, 0x98
	v_mov_b32_e32 v88, 18
	s_mov_b32 s0, 19
.LBB80_379:                             ; =>This Inner Loop Header: Depth=1
	ds_load_b64 v[98:99], v89
	s_wait_dscnt 0x1
	v_cmp_gt_f32_e32 vcc_lo, 0, v90
	v_cndmask_b32_e64 v100, v90, -v90, vcc_lo
	v_cmp_gt_f32_e32 vcc_lo, 0, v91
	v_cndmask_b32_e64 v102, v91, -v91, vcc_lo
	s_wait_dscnt 0x0
	v_cmp_gt_f32_e32 vcc_lo, 0, v98
	v_cndmask_b32_e64 v101, v98, -v98, vcc_lo
	v_cmp_gt_f32_e32 vcc_lo, 0, v99
	v_cndmask_b32_e64 v103, v99, -v99, vcc_lo
	s_delay_alu instid0(VALU_DEP_1) | instskip(NEXT) | instid1(VALU_DEP_1)
	v_pk_add_f32 v[100:101], v[100:101], v[102:103]
	v_cmp_lt_f32_e32 vcc_lo, v100, v101
	v_dual_add_nc_u32 v89, 8, v89 :: v_dual_cndmask_b32 v91, v91, v99, vcc_lo
	v_cndmask_b32_e32 v90, v90, v98, vcc_lo
	v_cndmask_b32_e64 v88, v88, s0, vcc_lo
	s_add_co_i32 s0, s0, 1
	s_delay_alu instid0(SALU_CYCLE_1)
	s_cmp_lg_u32 s18, s0
	s_cbranch_scc1 .LBB80_379
.LBB80_380:
	s_wait_dscnt 0x0
	v_cmp_eq_f32_e32 vcc_lo, 0, v90
	v_cmp_eq_f32_e64 s0, 0, v91
	s_and_b32 s0, vcc_lo, s0
	s_delay_alu instid0(SALU_CYCLE_1) | instskip(NEXT) | instid1(SALU_CYCLE_1)
	s_and_saveexec_b32 s1, s0
	s_xor_b32 s0, exec_lo, s1
; %bb.381:
	v_cmp_ne_u32_e32 vcc_lo, 0, v94
	v_cndmask_b32_e32 v94, 19, v94, vcc_lo
; %bb.382:
	s_and_not1_saveexec_b32 s0, s0
	s_cbranch_execz .LBB80_388
; %bb.383:
	v_cmp_ngt_f32_e64 s1, |v90|, |v91|
	s_and_saveexec_b32 s12, s1
	s_delay_alu instid0(SALU_CYCLE_1)
	s_xor_b32 s1, exec_lo, s12
	s_cbranch_execz .LBB80_385
; %bb.384:
	v_div_scale_f32 v89, null, v91, v91, v90
	v_div_scale_f32 v99, vcc_lo, v90, v91, v90
	s_delay_alu instid0(VALU_DEP_2) | instskip(SKIP_1) | instid1(TRANS32_DEP_1)
	v_rcp_f32_e32 v97, v89
	v_nop
	v_fma_f32 v98, -v89, v97, 1.0
	s_delay_alu instid0(VALU_DEP_1) | instskip(NEXT) | instid1(VALU_DEP_1)
	v_fmac_f32_e32 v97, v98, v97
	v_mul_f32_e32 v98, v99, v97
	s_delay_alu instid0(VALU_DEP_1) | instskip(NEXT) | instid1(VALU_DEP_1)
	v_fma_f32 v100, -v89, v98, v99
	v_fmac_f32_e32 v98, v100, v97
	s_delay_alu instid0(VALU_DEP_1) | instskip(NEXT) | instid1(VALU_DEP_1)
	v_fma_f32 v89, -v89, v98, v99
	v_div_fmas_f32 v89, v89, v97, v98
	s_delay_alu instid0(VALU_DEP_1) | instskip(NEXT) | instid1(VALU_DEP_1)
	v_div_fixup_f32 v89, v89, v91, v90
	v_fmac_f32_e32 v91, v90, v89
	s_delay_alu instid0(VALU_DEP_1) | instskip(SKIP_1) | instid1(VALU_DEP_2)
	v_div_scale_f32 v90, null, v91, v91, 1.0
	v_div_scale_f32 v99, vcc_lo, 1.0, v91, 1.0
	v_rcp_f32_e32 v97, v90
	v_nop
	s_delay_alu instid0(TRANS32_DEP_1) | instskip(NEXT) | instid1(VALU_DEP_1)
	v_fma_f32 v98, -v90, v97, 1.0
	v_fmac_f32_e32 v97, v98, v97
	s_delay_alu instid0(VALU_DEP_1) | instskip(NEXT) | instid1(VALU_DEP_1)
	v_mul_f32_e32 v98, v99, v97
	v_fma_f32 v100, -v90, v98, v99
	s_delay_alu instid0(VALU_DEP_1) | instskip(NEXT) | instid1(VALU_DEP_1)
	v_fmac_f32_e32 v98, v100, v97
	v_fma_f32 v90, -v90, v98, v99
	s_delay_alu instid0(VALU_DEP_1) | instskip(NEXT) | instid1(VALU_DEP_1)
	v_div_fmas_f32 v90, v90, v97, v98
	v_div_fixup_f32 v91, v90, v91, 1.0
	s_delay_alu instid0(VALU_DEP_1)
	v_mul_f32_e32 v90, v89, v91
	v_xor_b32_e32 v91, 0x80000000, v91
.LBB80_385:
	s_and_not1_saveexec_b32 s1, s1
	s_cbranch_execz .LBB80_387
; %bb.386:
	s_delay_alu instid0(VALU_DEP_1) | instskip(SKIP_1) | instid1(VALU_DEP_2)
	v_div_scale_f32 v89, null, v90, v90, v91
	v_div_scale_f32 v99, vcc_lo, v91, v90, v91
	v_rcp_f32_e32 v97, v89
	v_nop
	s_delay_alu instid0(TRANS32_DEP_1) | instskip(NEXT) | instid1(VALU_DEP_1)
	v_fma_f32 v98, -v89, v97, 1.0
	v_fmac_f32_e32 v97, v98, v97
	s_delay_alu instid0(VALU_DEP_1) | instskip(NEXT) | instid1(VALU_DEP_1)
	v_mul_f32_e32 v98, v99, v97
	v_fma_f32 v100, -v89, v98, v99
	s_delay_alu instid0(VALU_DEP_1) | instskip(NEXT) | instid1(VALU_DEP_1)
	v_fmac_f32_e32 v98, v100, v97
	v_fma_f32 v89, -v89, v98, v99
	s_delay_alu instid0(VALU_DEP_1) | instskip(NEXT) | instid1(VALU_DEP_1)
	v_div_fmas_f32 v89, v89, v97, v98
	v_div_fixup_f32 v89, v89, v90, v91
	s_delay_alu instid0(VALU_DEP_1) | instskip(NEXT) | instid1(VALU_DEP_1)
	v_fmac_f32_e32 v90, v91, v89
	v_div_scale_f32 v91, null, v90, v90, 1.0
	s_delay_alu instid0(VALU_DEP_1) | instskip(SKIP_1) | instid1(TRANS32_DEP_1)
	v_rcp_f32_e32 v97, v91
	v_nop
	v_fma_f32 v98, -v91, v97, 1.0
	s_delay_alu instid0(VALU_DEP_1) | instskip(SKIP_1) | instid1(VALU_DEP_1)
	v_fmac_f32_e32 v97, v98, v97
	v_div_scale_f32 v98, vcc_lo, 1.0, v90, 1.0
	v_mul_f32_e32 v99, v98, v97
	s_delay_alu instid0(VALU_DEP_1) | instskip(NEXT) | instid1(VALU_DEP_1)
	v_fma_f32 v100, -v91, v99, v98
	v_fmac_f32_e32 v99, v100, v97
	s_delay_alu instid0(VALU_DEP_1) | instskip(NEXT) | instid1(VALU_DEP_1)
	v_fma_f32 v91, -v91, v99, v98
	v_div_fmas_f32 v91, v91, v97, v99
	s_delay_alu instid0(VALU_DEP_1) | instskip(NEXT) | instid1(VALU_DEP_1)
	v_div_fixup_f32 v90, v91, v90, 1.0
	v_mul_f32_e64 v91, v89, -v90
.LBB80_387:
	s_or_b32 exec_lo, exec_lo, s1
.LBB80_388:
	s_delay_alu instid0(SALU_CYCLE_1) | instskip(NEXT) | instid1(SALU_CYCLE_1)
	s_or_b32 exec_lo, exec_lo, s0
	s_mov_b32 s0, exec_lo
	v_cmpx_ne_u32_e64 v96, v88
	s_xor_b32 s0, exec_lo, s0
	s_cbranch_execz .LBB80_394
; %bb.389:
	s_mov_b32 s1, exec_lo
	v_cmpx_eq_u32_e32 18, v96
	s_cbranch_execz .LBB80_393
; %bb.390:
	v_cmp_ne_u32_e32 vcc_lo, 18, v88
	s_xor_b32 s12, s16, -1
	s_delay_alu instid0(SALU_CYCLE_1) | instskip(NEXT) | instid1(SALU_CYCLE_1)
	s_and_b32 s13, s12, vcc_lo
	s_and_saveexec_b32 s12, s13
	s_cbranch_execz .LBB80_392
; %bb.391:
	v_ashrrev_i32_e32 v89, 31, v88
	s_delay_alu instid0(VALU_DEP_1)
	v_lshl_add_u64 v[96:97], v[88:89], 2, v[4:5]
	s_clause 0x1
	global_load_b32 v89, v[96:97], off
	global_load_b32 v95, v[4:5], off offset:72
	s_wait_loadcnt 0x1
	global_store_b32 v[4:5], v89, off offset:72
	s_wait_loadcnt 0x0
	global_store_b32 v[96:97], v95, off
.LBB80_392:
	s_wait_xcnt 0x0
	s_or_b32 exec_lo, exec_lo, s12
	v_dual_mov_b32 v96, v88 :: v_dual_mov_b32 v95, v88
.LBB80_393:
	s_or_b32 exec_lo, exec_lo, s1
.LBB80_394:
	s_and_not1_saveexec_b32 s0, s0
	s_cbranch_execz .LBB80_396
; %bb.395:
	v_mov_b32_e32 v96, 18
	ds_store_2addr_b64 v92, v[62:63], v[60:61] offset0:19 offset1:20
	ds_store_2addr_b64 v92, v[56:57], v[58:59] offset0:21 offset1:22
	;; [unrolled: 1-line block ×11, first 2 shown]
.LBB80_396:
	s_or_b32 exec_lo, exec_lo, s0
	s_delay_alu instid0(SALU_CYCLE_1)
	s_mov_b32 s0, exec_lo
	s_wait_storecnt_dscnt 0x0
	s_barrier_signal -1
	s_barrier_wait -1
	v_cmpx_lt_i32_e32 18, v96
	s_cbranch_execz .LBB80_398
; %bb.397:
	v_pk_mul_f32 v[98:99], v[90:91], v[66:67] op_sel:[1,1] op_sel_hi:[0,1]
	s_delay_alu instid0(VALU_DEP_1)
	v_pk_fma_f32 v[88:89], v[90:91], v[66:67], v[98:99] op_sel_hi:[1,0,1] neg_lo:[0,0,1] neg_hi:[0,0,1]
	v_pk_fma_f32 v[90:91], v[90:91], v[66:67], v[98:99] op_sel_hi:[1,0,1]
	ds_load_2addr_b64 v[98:101], v92 offset0:19 offset1:20
	v_dual_mov_b32 v66, v88 :: v_dual_mov_b32 v67, v91
	s_wait_dscnt 0x0
	v_pk_mul_f32 v[102:103], v[98:99], v[90:91] op_sel:[0,1]
	s_delay_alu instid0(VALU_DEP_1) | instskip(SKIP_1) | instid1(VALU_DEP_1)
	v_pk_fma_f32 v[104:105], v[98:99], v[88:89], v[102:103] op_sel:[0,0,1] op_sel_hi:[1,1,0] neg_lo:[0,0,1] neg_hi:[0,0,1]
	v_pk_fma_f32 v[98:99], v[98:99], v[88:89], v[102:103] op_sel:[0,0,1] op_sel_hi:[1,0,0]
	v_mov_b32_e32 v105, v99
	v_pk_mul_f32 v[98:99], v[100:101], v[90:91] op_sel:[0,1]
	s_delay_alu instid0(VALU_DEP_1) | instskip(SKIP_1) | instid1(VALU_DEP_1)
	v_pk_fma_f32 v[102:103], v[100:101], v[88:89], v[98:99] op_sel:[0,0,1] op_sel_hi:[1,1,0] neg_lo:[0,0,1] neg_hi:[0,0,1]
	v_pk_fma_f32 v[98:99], v[100:101], v[88:89], v[98:99] op_sel:[0,0,1] op_sel_hi:[1,0,0]
	v_mov_b32_e32 v103, v99
	ds_load_2addr_b64 v[98:101], v92 offset0:21 offset1:22
	v_pk_add_f32 v[62:63], v[62:63], v[104:105] neg_lo:[0,1] neg_hi:[0,1]
	v_pk_add_f32 v[60:61], v[60:61], v[102:103] neg_lo:[0,1] neg_hi:[0,1]
	s_wait_dscnt 0x0
	v_pk_mul_f32 v[102:103], v[98:99], v[90:91] op_sel:[0,1]
	s_delay_alu instid0(VALU_DEP_1) | instskip(SKIP_2) | instid1(VALU_DEP_2)
	v_pk_fma_f32 v[104:105], v[98:99], v[88:89], v[102:103] op_sel:[0,0,1] op_sel_hi:[1,1,0] neg_lo:[0,0,1] neg_hi:[0,0,1]
	v_pk_fma_f32 v[98:99], v[98:99], v[88:89], v[102:103] op_sel:[0,0,1] op_sel_hi:[1,0,0]
	v_dual_mul_f32 v102, v101, v91 :: v_dual_mov_b32 v98, v101
	v_dual_mov_b32 v105, v99 :: v_dual_mov_b32 v99, v100
	s_delay_alu instid0(VALU_DEP_2) | instskip(SKIP_1) | instid1(VALU_DEP_3)
	v_pk_fma_f32 v[102:103], v[100:101], v[66:67], v[102:103] op_sel_hi:[1,1,0] neg_lo:[0,0,1] neg_hi:[0,0,1]
	v_mul_f32_e32 v100, v101, v88
	v_pk_add_f32 v[56:57], v[56:57], v[104:105] neg_lo:[0,1] neg_hi:[0,1]
	s_delay_alu instid0(VALU_DEP_2) | instskip(NEXT) | instid1(VALU_DEP_1)
	v_pk_fma_f32 v[98:99], v[98:99], v[66:67], v[100:101] op_sel_hi:[1,1,0]
	v_mov_b32_e32 v103, v99
	ds_load_2addr_b64 v[98:101], v92 offset0:23 offset1:24
	v_pk_add_f32 v[58:59], v[58:59], v[102:103] neg_lo:[0,1] neg_hi:[0,1]
	s_wait_dscnt 0x0
	v_pk_mul_f32 v[102:103], v[98:99], v[90:91] op_sel:[0,1]
	s_delay_alu instid0(VALU_DEP_1) | instskip(SKIP_1) | instid1(VALU_DEP_1)
	v_pk_fma_f32 v[104:105], v[98:99], v[88:89], v[102:103] op_sel:[0,0,1] op_sel_hi:[1,1,0] neg_lo:[0,0,1] neg_hi:[0,0,1]
	v_pk_fma_f32 v[98:99], v[98:99], v[88:89], v[102:103] op_sel:[0,0,1] op_sel_hi:[1,0,0]
	v_mov_b32_e32 v105, v99
	v_pk_mul_f32 v[98:99], v[100:101], v[90:91] op_sel:[0,1]
	s_delay_alu instid0(VALU_DEP_1) | instskip(SKIP_1) | instid1(VALU_DEP_1)
	v_pk_fma_f32 v[102:103], v[100:101], v[88:89], v[98:99] op_sel:[0,0,1] op_sel_hi:[1,1,0] neg_lo:[0,0,1] neg_hi:[0,0,1]
	v_pk_fma_f32 v[98:99], v[100:101], v[88:89], v[98:99] op_sel:[0,0,1] op_sel_hi:[1,0,0]
	v_mov_b32_e32 v103, v99
	ds_load_2addr_b64 v[98:101], v92 offset0:25 offset1:26
	v_pk_add_f32 v[54:55], v[54:55], v[104:105] neg_lo:[0,1] neg_hi:[0,1]
	v_pk_add_f32 v[52:53], v[52:53], v[102:103] neg_lo:[0,1] neg_hi:[0,1]
	s_wait_dscnt 0x0
	v_pk_mul_f32 v[102:103], v[98:99], v[90:91] op_sel:[0,1]
	s_delay_alu instid0(VALU_DEP_1) | instskip(SKIP_1) | instid1(VALU_DEP_1)
	v_pk_fma_f32 v[104:105], v[98:99], v[88:89], v[102:103] op_sel:[0,0,1] op_sel_hi:[1,1,0] neg_lo:[0,0,1] neg_hi:[0,0,1]
	v_pk_fma_f32 v[98:99], v[98:99], v[88:89], v[102:103] op_sel:[0,0,1] op_sel_hi:[1,0,0]
	v_mov_b32_e32 v105, v99
	v_pk_mul_f32 v[98:99], v[100:101], v[90:91] op_sel:[0,1]
	s_delay_alu instid0(VALU_DEP_1) | instskip(SKIP_1) | instid1(VALU_DEP_1)
	v_pk_fma_f32 v[102:103], v[100:101], v[88:89], v[98:99] op_sel:[0,0,1] op_sel_hi:[1,1,0] neg_lo:[0,0,1] neg_hi:[0,0,1]
	v_pk_fma_f32 v[98:99], v[100:101], v[88:89], v[98:99] op_sel:[0,0,1] op_sel_hi:[1,0,0]
	v_mov_b32_e32 v103, v99
	ds_load_2addr_b64 v[98:101], v92 offset0:27 offset1:28
	v_pk_add_f32 v[48:49], v[48:49], v[104:105] neg_lo:[0,1] neg_hi:[0,1]
	v_pk_add_f32 v[50:51], v[50:51], v[102:103] neg_lo:[0,1] neg_hi:[0,1]
	s_wait_dscnt 0x0
	v_dual_mul_f32 v102, v99, v91 :: v_dual_mul_f32 v104, v99, v88
	s_delay_alu instid0(VALU_DEP_1) | instskip(NEXT) | instid1(VALU_DEP_2)
	v_pk_fma_f32 v[102:103], v[98:99], v[66:67], v[102:103] op_sel_hi:[1,1,0] neg_lo:[0,0,1] neg_hi:[0,0,1]
	v_pk_fma_f32 v[98:99], v[98:99], v[66:67], v[104:105] op_sel:[1,0,0] op_sel_hi:[0,1,0]
	s_delay_alu instid0(VALU_DEP_1) | instskip(SKIP_1) | instid1(VALU_DEP_2)
	v_mov_b32_e32 v103, v99
	v_pk_mul_f32 v[98:99], v[100:101], v[90:91] op_sel:[0,1]
	v_pk_add_f32 v[46:47], v[46:47], v[102:103] neg_lo:[0,1] neg_hi:[0,1]
	s_delay_alu instid0(VALU_DEP_2) | instskip(SKIP_1) | instid1(VALU_DEP_1)
	v_pk_fma_f32 v[102:103], v[100:101], v[88:89], v[98:99] op_sel:[0,0,1] op_sel_hi:[1,1,0] neg_lo:[0,0,1] neg_hi:[0,0,1]
	v_pk_fma_f32 v[98:99], v[100:101], v[88:89], v[98:99] op_sel:[0,0,1] op_sel_hi:[1,0,0]
	v_mov_b32_e32 v103, v99
	ds_load_2addr_b64 v[98:101], v92 offset0:29 offset1:30
	v_pk_add_f32 v[42:43], v[42:43], v[102:103] neg_lo:[0,1] neg_hi:[0,1]
	s_wait_dscnt 0x0
	v_pk_mul_f32 v[102:103], v[98:99], v[90:91] op_sel:[0,1]
	s_delay_alu instid0(VALU_DEP_1) | instskip(SKIP_1) | instid1(VALU_DEP_1)
	v_pk_fma_f32 v[104:105], v[98:99], v[88:89], v[102:103] op_sel:[0,0,1] op_sel_hi:[1,1,0] neg_lo:[0,0,1] neg_hi:[0,0,1]
	v_pk_fma_f32 v[98:99], v[98:99], v[88:89], v[102:103] op_sel:[0,0,1] op_sel_hi:[1,0,0]
	v_mov_b32_e32 v105, v99
	v_pk_mul_f32 v[98:99], v[100:101], v[90:91] op_sel:[0,1]
	s_delay_alu instid0(VALU_DEP_2) | instskip(NEXT) | instid1(VALU_DEP_2)
	v_pk_add_f32 v[38:39], v[38:39], v[104:105] neg_lo:[0,1] neg_hi:[0,1]
	v_pk_fma_f32 v[102:103], v[100:101], v[88:89], v[98:99] op_sel:[0,0,1] op_sel_hi:[1,1,0] neg_lo:[0,0,1] neg_hi:[0,0,1]
	v_pk_fma_f32 v[98:99], v[100:101], v[88:89], v[98:99] op_sel:[0,0,1] op_sel_hi:[1,0,0]
	s_delay_alu instid0(VALU_DEP_1) | instskip(SKIP_4) | instid1(VALU_DEP_1)
	v_mov_b32_e32 v103, v99
	ds_load_2addr_b64 v[98:101], v92 offset0:31 offset1:32
	v_pk_add_f32 v[40:41], v[40:41], v[102:103] neg_lo:[0,1] neg_hi:[0,1]
	s_wait_dscnt 0x0
	v_pk_mul_f32 v[102:103], v[98:99], v[90:91] op_sel:[0,1]
	v_pk_fma_f32 v[104:105], v[98:99], v[88:89], v[102:103] op_sel:[0,0,1] op_sel_hi:[1,1,0] neg_lo:[0,0,1] neg_hi:[0,0,1]
	v_pk_fma_f32 v[98:99], v[98:99], v[88:89], v[102:103] op_sel:[0,0,1] op_sel_hi:[1,0,0]
	v_dual_mul_f32 v102, v101, v91 :: v_dual_mov_b32 v98, v101
	s_delay_alu instid0(VALU_DEP_2) | instskip(NEXT) | instid1(VALU_DEP_2)
	v_dual_mov_b32 v105, v99 :: v_dual_mov_b32 v99, v100
	v_pk_fma_f32 v[102:103], v[100:101], v[66:67], v[102:103] op_sel_hi:[1,1,0] neg_lo:[0,0,1] neg_hi:[0,0,1]
	v_mul_f32_e32 v100, v101, v88
	s_delay_alu instid0(VALU_DEP_3) | instskip(NEXT) | instid1(VALU_DEP_2)
	v_pk_add_f32 v[36:37], v[36:37], v[104:105] neg_lo:[0,1] neg_hi:[0,1]
	v_pk_fma_f32 v[98:99], v[98:99], v[66:67], v[100:101] op_sel_hi:[1,1,0]
	s_delay_alu instid0(VALU_DEP_1) | instskip(SKIP_4) | instid1(VALU_DEP_1)
	v_mov_b32_e32 v103, v99
	ds_load_2addr_b64 v[98:101], v92 offset0:33 offset1:34
	v_pk_add_f32 v[14:15], v[14:15], v[102:103] neg_lo:[0,1] neg_hi:[0,1]
	s_wait_dscnt 0x0
	v_pk_mul_f32 v[102:103], v[98:99], v[90:91] op_sel:[0,1]
	v_pk_fma_f32 v[104:105], v[98:99], v[88:89], v[102:103] op_sel:[0,0,1] op_sel_hi:[1,1,0] neg_lo:[0,0,1] neg_hi:[0,0,1]
	v_pk_fma_f32 v[98:99], v[98:99], v[88:89], v[102:103] op_sel:[0,0,1] op_sel_hi:[1,0,0]
	s_delay_alu instid0(VALU_DEP_1) | instskip(SKIP_1) | instid1(VALU_DEP_1)
	v_mov_b32_e32 v105, v99
	v_pk_mul_f32 v[98:99], v[100:101], v[90:91] op_sel:[0,1]
	v_pk_fma_f32 v[102:103], v[100:101], v[88:89], v[98:99] op_sel:[0,0,1] op_sel_hi:[1,1,0] neg_lo:[0,0,1] neg_hi:[0,0,1]
	v_pk_fma_f32 v[98:99], v[100:101], v[88:89], v[98:99] op_sel:[0,0,1] op_sel_hi:[1,0,0]
	s_delay_alu instid0(VALU_DEP_1)
	v_mov_b32_e32 v103, v99
	ds_load_2addr_b64 v[98:101], v92 offset0:35 offset1:36
	v_pk_add_f32 v[10:11], v[10:11], v[104:105] neg_lo:[0,1] neg_hi:[0,1]
	v_pk_add_f32 v[12:13], v[12:13], v[102:103] neg_lo:[0,1] neg_hi:[0,1]
	s_wait_dscnt 0x0
	v_pk_mul_f32 v[102:103], v[98:99], v[90:91] op_sel:[0,1]
	s_delay_alu instid0(VALU_DEP_1) | instskip(SKIP_1) | instid1(VALU_DEP_1)
	v_pk_fma_f32 v[104:105], v[98:99], v[88:89], v[102:103] op_sel:[0,0,1] op_sel_hi:[1,1,0] neg_lo:[0,0,1] neg_hi:[0,0,1]
	v_pk_fma_f32 v[98:99], v[98:99], v[88:89], v[102:103] op_sel:[0,0,1] op_sel_hi:[1,0,0]
	v_mov_b32_e32 v105, v99
	v_pk_mul_f32 v[98:99], v[100:101], v[90:91] op_sel:[0,1]
	s_delay_alu instid0(VALU_DEP_1) | instskip(SKIP_1) | instid1(VALU_DEP_1)
	v_pk_fma_f32 v[102:103], v[100:101], v[88:89], v[98:99] op_sel:[0,0,1] op_sel_hi:[1,1,0] neg_lo:[0,0,1] neg_hi:[0,0,1]
	v_pk_fma_f32 v[98:99], v[100:101], v[88:89], v[98:99] op_sel:[0,0,1] op_sel_hi:[1,0,0]
	v_mov_b32_e32 v103, v99
	ds_load_2addr_b64 v[98:101], v92 offset0:37 offset1:38
	v_pk_add_f32 v[8:9], v[8:9], v[104:105] neg_lo:[0,1] neg_hi:[0,1]
	v_pk_add_f32 v[6:7], v[6:7], v[102:103] neg_lo:[0,1] neg_hi:[0,1]
	s_wait_dscnt 0x0
	v_dual_mul_f32 v102, v99, v91 :: v_dual_mul_f32 v104, v99, v88
	s_delay_alu instid0(VALU_DEP_1) | instskip(NEXT) | instid1(VALU_DEP_2)
	v_pk_fma_f32 v[102:103], v[98:99], v[66:67], v[102:103] op_sel_hi:[1,1,0] neg_lo:[0,0,1] neg_hi:[0,0,1]
	v_pk_fma_f32 v[98:99], v[98:99], v[66:67], v[104:105] op_sel:[1,0,0] op_sel_hi:[0,1,0]
	s_delay_alu instid0(VALU_DEP_1) | instskip(SKIP_1) | instid1(VALU_DEP_2)
	v_mov_b32_e32 v103, v99
	v_pk_mul_f32 v[98:99], v[100:101], v[90:91] op_sel:[0,1]
	v_pk_add_f32 v[44:45], v[44:45], v[102:103] neg_lo:[0,1] neg_hi:[0,1]
	s_delay_alu instid0(VALU_DEP_2) | instskip(SKIP_1) | instid1(VALU_DEP_1)
	v_pk_fma_f32 v[102:103], v[100:101], v[88:89], v[98:99] op_sel:[0,0,1] op_sel_hi:[1,1,0] neg_lo:[0,0,1] neg_hi:[0,0,1]
	v_pk_fma_f32 v[98:99], v[100:101], v[88:89], v[98:99] op_sel:[0,0,1] op_sel_hi:[1,0,0]
	v_mov_b32_e32 v103, v99
	ds_load_2addr_b64 v[98:101], v92 offset0:39 offset1:40
	v_pk_add_f32 v[22:23], v[22:23], v[102:103] neg_lo:[0,1] neg_hi:[0,1]
	s_wait_dscnt 0x0
	v_pk_mul_f32 v[102:103], v[98:99], v[90:91] op_sel:[0,1]
	v_pk_mul_f32 v[90:91], v[100:101], v[90:91] op_sel:[0,1]
	s_delay_alu instid0(VALU_DEP_2) | instskip(SKIP_1) | instid1(VALU_DEP_1)
	v_pk_fma_f32 v[104:105], v[98:99], v[88:89], v[102:103] op_sel:[0,0,1] op_sel_hi:[1,1,0] neg_lo:[0,0,1] neg_hi:[0,0,1]
	v_pk_fma_f32 v[98:99], v[98:99], v[88:89], v[102:103] op_sel:[0,0,1] op_sel_hi:[1,0,0]
	v_mov_b32_e32 v105, v99
	s_delay_alu instid0(VALU_DEP_4) | instskip(SKIP_1) | instid1(VALU_DEP_3)
	v_pk_fma_f32 v[98:99], v[100:101], v[88:89], v[90:91] op_sel:[0,0,1] op_sel_hi:[1,1,0] neg_lo:[0,0,1] neg_hi:[0,0,1]
	v_pk_fma_f32 v[88:89], v[100:101], v[88:89], v[90:91] op_sel:[0,0,1] op_sel_hi:[1,0,0]
	v_pk_add_f32 v[16:17], v[16:17], v[104:105] neg_lo:[0,1] neg_hi:[0,1]
	s_delay_alu instid0(VALU_DEP_2) | instskip(NEXT) | instid1(VALU_DEP_1)
	v_mov_b32_e32 v99, v89
	v_pk_add_f32 v[86:87], v[86:87], v[98:99] neg_lo:[0,1] neg_hi:[0,1]
.LBB80_398:
	s_or_b32 exec_lo, exec_lo, s0
	v_lshl_add_u32 v88, v96, 3, v92
	s_barrier_signal -1
	s_barrier_wait -1
	ds_store_b64 v88, v[62:63]
	s_wait_dscnt 0x0
	s_barrier_signal -1
	s_barrier_wait -1
	ds_load_b64 v[90:91], v92 offset:152
	v_mov_b32_e32 v88, 19
	s_cmp_lt_i32 s18, 21
	s_cbranch_scc1 .LBB80_401
; %bb.399:
	v_add3_u32 v89, v93, 0, 0xa0
	v_mov_b32_e32 v88, 19
	s_mov_b32 s0, 20
.LBB80_400:                             ; =>This Inner Loop Header: Depth=1
	ds_load_b64 v[98:99], v89
	s_wait_dscnt 0x1
	v_cmp_gt_f32_e32 vcc_lo, 0, v90
	v_cndmask_b32_e64 v100, v90, -v90, vcc_lo
	v_cmp_gt_f32_e32 vcc_lo, 0, v91
	v_cndmask_b32_e64 v102, v91, -v91, vcc_lo
	s_wait_dscnt 0x0
	v_cmp_gt_f32_e32 vcc_lo, 0, v98
	v_cndmask_b32_e64 v101, v98, -v98, vcc_lo
	v_cmp_gt_f32_e32 vcc_lo, 0, v99
	v_cndmask_b32_e64 v103, v99, -v99, vcc_lo
	s_delay_alu instid0(VALU_DEP_1) | instskip(NEXT) | instid1(VALU_DEP_1)
	v_pk_add_f32 v[100:101], v[100:101], v[102:103]
	v_cmp_lt_f32_e32 vcc_lo, v100, v101
	v_dual_add_nc_u32 v89, 8, v89 :: v_dual_cndmask_b32 v91, v91, v99, vcc_lo
	v_cndmask_b32_e32 v90, v90, v98, vcc_lo
	v_cndmask_b32_e64 v88, v88, s0, vcc_lo
	s_add_co_i32 s0, s0, 1
	s_delay_alu instid0(SALU_CYCLE_1)
	s_cmp_lg_u32 s18, s0
	s_cbranch_scc1 .LBB80_400
.LBB80_401:
	s_wait_dscnt 0x0
	v_cmp_eq_f32_e32 vcc_lo, 0, v90
	v_cmp_eq_f32_e64 s0, 0, v91
	s_and_b32 s0, vcc_lo, s0
	s_delay_alu instid0(SALU_CYCLE_1) | instskip(NEXT) | instid1(SALU_CYCLE_1)
	s_and_saveexec_b32 s1, s0
	s_xor_b32 s0, exec_lo, s1
; %bb.402:
	v_cmp_ne_u32_e32 vcc_lo, 0, v94
	v_cndmask_b32_e32 v94, 20, v94, vcc_lo
; %bb.403:
	s_and_not1_saveexec_b32 s0, s0
	s_cbranch_execz .LBB80_409
; %bb.404:
	v_cmp_ngt_f32_e64 s1, |v90|, |v91|
	s_and_saveexec_b32 s12, s1
	s_delay_alu instid0(SALU_CYCLE_1)
	s_xor_b32 s1, exec_lo, s12
	s_cbranch_execz .LBB80_406
; %bb.405:
	v_div_scale_f32 v89, null, v91, v91, v90
	v_div_scale_f32 v99, vcc_lo, v90, v91, v90
	s_delay_alu instid0(VALU_DEP_2) | instskip(SKIP_1) | instid1(TRANS32_DEP_1)
	v_rcp_f32_e32 v97, v89
	v_nop
	v_fma_f32 v98, -v89, v97, 1.0
	s_delay_alu instid0(VALU_DEP_1) | instskip(NEXT) | instid1(VALU_DEP_1)
	v_fmac_f32_e32 v97, v98, v97
	v_mul_f32_e32 v98, v99, v97
	s_delay_alu instid0(VALU_DEP_1) | instskip(NEXT) | instid1(VALU_DEP_1)
	v_fma_f32 v100, -v89, v98, v99
	v_fmac_f32_e32 v98, v100, v97
	s_delay_alu instid0(VALU_DEP_1) | instskip(NEXT) | instid1(VALU_DEP_1)
	v_fma_f32 v89, -v89, v98, v99
	v_div_fmas_f32 v89, v89, v97, v98
	s_delay_alu instid0(VALU_DEP_1) | instskip(NEXT) | instid1(VALU_DEP_1)
	v_div_fixup_f32 v89, v89, v91, v90
	v_fmac_f32_e32 v91, v90, v89
	s_delay_alu instid0(VALU_DEP_1) | instskip(SKIP_1) | instid1(VALU_DEP_2)
	v_div_scale_f32 v90, null, v91, v91, 1.0
	v_div_scale_f32 v99, vcc_lo, 1.0, v91, 1.0
	v_rcp_f32_e32 v97, v90
	v_nop
	s_delay_alu instid0(TRANS32_DEP_1) | instskip(NEXT) | instid1(VALU_DEP_1)
	v_fma_f32 v98, -v90, v97, 1.0
	v_fmac_f32_e32 v97, v98, v97
	s_delay_alu instid0(VALU_DEP_1) | instskip(NEXT) | instid1(VALU_DEP_1)
	v_mul_f32_e32 v98, v99, v97
	v_fma_f32 v100, -v90, v98, v99
	s_delay_alu instid0(VALU_DEP_1) | instskip(NEXT) | instid1(VALU_DEP_1)
	v_fmac_f32_e32 v98, v100, v97
	v_fma_f32 v90, -v90, v98, v99
	s_delay_alu instid0(VALU_DEP_1) | instskip(NEXT) | instid1(VALU_DEP_1)
	v_div_fmas_f32 v90, v90, v97, v98
	v_div_fixup_f32 v91, v90, v91, 1.0
	s_delay_alu instid0(VALU_DEP_1)
	v_mul_f32_e32 v90, v89, v91
	v_xor_b32_e32 v91, 0x80000000, v91
.LBB80_406:
	s_and_not1_saveexec_b32 s1, s1
	s_cbranch_execz .LBB80_408
; %bb.407:
	s_delay_alu instid0(VALU_DEP_1) | instskip(SKIP_1) | instid1(VALU_DEP_2)
	v_div_scale_f32 v89, null, v90, v90, v91
	v_div_scale_f32 v99, vcc_lo, v91, v90, v91
	v_rcp_f32_e32 v97, v89
	v_nop
	s_delay_alu instid0(TRANS32_DEP_1) | instskip(NEXT) | instid1(VALU_DEP_1)
	v_fma_f32 v98, -v89, v97, 1.0
	v_fmac_f32_e32 v97, v98, v97
	s_delay_alu instid0(VALU_DEP_1) | instskip(NEXT) | instid1(VALU_DEP_1)
	v_mul_f32_e32 v98, v99, v97
	v_fma_f32 v100, -v89, v98, v99
	s_delay_alu instid0(VALU_DEP_1) | instskip(NEXT) | instid1(VALU_DEP_1)
	v_fmac_f32_e32 v98, v100, v97
	v_fma_f32 v89, -v89, v98, v99
	s_delay_alu instid0(VALU_DEP_1) | instskip(NEXT) | instid1(VALU_DEP_1)
	v_div_fmas_f32 v89, v89, v97, v98
	v_div_fixup_f32 v89, v89, v90, v91
	s_delay_alu instid0(VALU_DEP_1) | instskip(NEXT) | instid1(VALU_DEP_1)
	v_fmac_f32_e32 v90, v91, v89
	v_div_scale_f32 v91, null, v90, v90, 1.0
	s_delay_alu instid0(VALU_DEP_1) | instskip(SKIP_1) | instid1(TRANS32_DEP_1)
	v_rcp_f32_e32 v97, v91
	v_nop
	v_fma_f32 v98, -v91, v97, 1.0
	s_delay_alu instid0(VALU_DEP_1) | instskip(SKIP_1) | instid1(VALU_DEP_1)
	v_fmac_f32_e32 v97, v98, v97
	v_div_scale_f32 v98, vcc_lo, 1.0, v90, 1.0
	v_mul_f32_e32 v99, v98, v97
	s_delay_alu instid0(VALU_DEP_1) | instskip(NEXT) | instid1(VALU_DEP_1)
	v_fma_f32 v100, -v91, v99, v98
	v_fmac_f32_e32 v99, v100, v97
	s_delay_alu instid0(VALU_DEP_1) | instskip(NEXT) | instid1(VALU_DEP_1)
	v_fma_f32 v91, -v91, v99, v98
	v_div_fmas_f32 v91, v91, v97, v99
	s_delay_alu instid0(VALU_DEP_1) | instskip(NEXT) | instid1(VALU_DEP_1)
	v_div_fixup_f32 v90, v91, v90, 1.0
	v_mul_f32_e64 v91, v89, -v90
.LBB80_408:
	s_or_b32 exec_lo, exec_lo, s1
.LBB80_409:
	s_delay_alu instid0(SALU_CYCLE_1) | instskip(NEXT) | instid1(SALU_CYCLE_1)
	s_or_b32 exec_lo, exec_lo, s0
	s_mov_b32 s0, exec_lo
	v_cmpx_ne_u32_e64 v96, v88
	s_xor_b32 s0, exec_lo, s0
	s_cbranch_execz .LBB80_415
; %bb.410:
	s_mov_b32 s1, exec_lo
	v_cmpx_eq_u32_e32 19, v96
	s_cbranch_execz .LBB80_414
; %bb.411:
	v_cmp_ne_u32_e32 vcc_lo, 19, v88
	s_xor_b32 s12, s16, -1
	s_delay_alu instid0(SALU_CYCLE_1) | instskip(NEXT) | instid1(SALU_CYCLE_1)
	s_and_b32 s13, s12, vcc_lo
	s_and_saveexec_b32 s12, s13
	s_cbranch_execz .LBB80_413
; %bb.412:
	v_ashrrev_i32_e32 v89, 31, v88
	s_delay_alu instid0(VALU_DEP_1)
	v_lshl_add_u64 v[96:97], v[88:89], 2, v[4:5]
	s_clause 0x1
	global_load_b32 v89, v[96:97], off
	global_load_b32 v95, v[4:5], off offset:76
	s_wait_loadcnt 0x1
	global_store_b32 v[4:5], v89, off offset:76
	s_wait_loadcnt 0x0
	global_store_b32 v[96:97], v95, off
.LBB80_413:
	s_wait_xcnt 0x0
	s_or_b32 exec_lo, exec_lo, s12
	v_dual_mov_b32 v96, v88 :: v_dual_mov_b32 v95, v88
.LBB80_414:
	s_or_b32 exec_lo, exec_lo, s1
.LBB80_415:
	s_and_not1_saveexec_b32 s0, s0
	s_cbranch_execz .LBB80_417
; %bb.416:
	v_dual_mov_b32 v88, v60 :: v_dual_mov_b32 v89, v61
	v_dual_mov_b32 v96, v56 :: v_dual_mov_b32 v97, v57
	ds_store_2addr_b64 v92, v[88:89], v[96:97] offset0:20 offset1:21
	v_dual_mov_b32 v88, v58 :: v_dual_mov_b32 v89, v59
	v_dual_mov_b32 v96, v54 :: v_dual_mov_b32 v97, v55
	ds_store_2addr_b64 v92, v[88:89], v[96:97] offset0:22 offset1:23
	;; [unrolled: 3-line block ×10, first 2 shown]
	ds_store_b64 v92, v[86:87] offset:320
	v_mov_b32_e32 v96, 19
.LBB80_417:
	s_or_b32 exec_lo, exec_lo, s0
	s_delay_alu instid0(SALU_CYCLE_1)
	s_mov_b32 s0, exec_lo
	s_wait_storecnt_dscnt 0x0
	s_barrier_signal -1
	s_barrier_wait -1
	v_cmpx_lt_i32_e32 19, v96
	s_cbranch_execz .LBB80_419
; %bb.418:
	v_pk_mul_f32 v[98:99], v[90:91], v[62:63] op_sel:[1,1] op_sel_hi:[0,1]
	s_delay_alu instid0(VALU_DEP_1)
	v_pk_fma_f32 v[88:89], v[90:91], v[62:63], v[98:99] op_sel_hi:[1,0,1] neg_lo:[0,0,1] neg_hi:[0,0,1]
	v_pk_fma_f32 v[90:91], v[90:91], v[62:63], v[98:99] op_sel_hi:[1,0,1]
	ds_load_2addr_b64 v[98:101], v92 offset0:20 offset1:21
	v_dual_mov_b32 v62, v88 :: v_dual_mov_b32 v63, v91
	s_wait_dscnt 0x0
	v_pk_mul_f32 v[102:103], v[98:99], v[90:91] op_sel:[0,1]
	s_delay_alu instid0(VALU_DEP_1) | instskip(SKIP_1) | instid1(VALU_DEP_1)
	v_pk_fma_f32 v[104:105], v[98:99], v[88:89], v[102:103] op_sel:[0,0,1] op_sel_hi:[1,1,0] neg_lo:[0,0,1] neg_hi:[0,0,1]
	v_pk_fma_f32 v[98:99], v[98:99], v[88:89], v[102:103] op_sel:[0,0,1] op_sel_hi:[1,0,0]
	v_mov_b32_e32 v105, v99
	v_pk_mul_f32 v[98:99], v[100:101], v[90:91] op_sel:[0,1]
	s_delay_alu instid0(VALU_DEP_1) | instskip(SKIP_1) | instid1(VALU_DEP_1)
	v_pk_fma_f32 v[102:103], v[100:101], v[88:89], v[98:99] op_sel:[0,0,1] op_sel_hi:[1,1,0] neg_lo:[0,0,1] neg_hi:[0,0,1]
	v_pk_fma_f32 v[98:99], v[100:101], v[88:89], v[98:99] op_sel:[0,0,1] op_sel_hi:[1,0,0]
	v_mov_b32_e32 v103, v99
	ds_load_2addr_b64 v[98:101], v92 offset0:22 offset1:23
	v_pk_add_f32 v[60:61], v[60:61], v[104:105] neg_lo:[0,1] neg_hi:[0,1]
	v_pk_add_f32 v[56:57], v[56:57], v[102:103] neg_lo:[0,1] neg_hi:[0,1]
	s_wait_dscnt 0x0
	v_pk_mul_f32 v[102:103], v[98:99], v[90:91] op_sel:[0,1]
	s_delay_alu instid0(VALU_DEP_1) | instskip(SKIP_2) | instid1(VALU_DEP_2)
	v_pk_fma_f32 v[104:105], v[98:99], v[88:89], v[102:103] op_sel:[0,0,1] op_sel_hi:[1,1,0] neg_lo:[0,0,1] neg_hi:[0,0,1]
	v_pk_fma_f32 v[98:99], v[98:99], v[88:89], v[102:103] op_sel:[0,0,1] op_sel_hi:[1,0,0]
	v_dual_mul_f32 v102, v101, v91 :: v_dual_mov_b32 v98, v101
	v_dual_mov_b32 v105, v99 :: v_dual_mov_b32 v99, v100
	s_delay_alu instid0(VALU_DEP_2) | instskip(SKIP_1) | instid1(VALU_DEP_3)
	v_pk_fma_f32 v[102:103], v[100:101], v[62:63], v[102:103] op_sel_hi:[1,1,0] neg_lo:[0,0,1] neg_hi:[0,0,1]
	v_mul_f32_e32 v100, v101, v88
	v_pk_add_f32 v[58:59], v[58:59], v[104:105] neg_lo:[0,1] neg_hi:[0,1]
	s_delay_alu instid0(VALU_DEP_2) | instskip(NEXT) | instid1(VALU_DEP_1)
	v_pk_fma_f32 v[98:99], v[98:99], v[62:63], v[100:101] op_sel_hi:[1,1,0]
	v_mov_b32_e32 v103, v99
	ds_load_2addr_b64 v[98:101], v92 offset0:24 offset1:25
	v_pk_add_f32 v[54:55], v[54:55], v[102:103] neg_lo:[0,1] neg_hi:[0,1]
	s_wait_dscnt 0x0
	v_pk_mul_f32 v[102:103], v[98:99], v[90:91] op_sel:[0,1]
	s_delay_alu instid0(VALU_DEP_1) | instskip(SKIP_1) | instid1(VALU_DEP_1)
	v_pk_fma_f32 v[104:105], v[98:99], v[88:89], v[102:103] op_sel:[0,0,1] op_sel_hi:[1,1,0] neg_lo:[0,0,1] neg_hi:[0,0,1]
	v_pk_fma_f32 v[98:99], v[98:99], v[88:89], v[102:103] op_sel:[0,0,1] op_sel_hi:[1,0,0]
	v_mov_b32_e32 v105, v99
	v_pk_mul_f32 v[98:99], v[100:101], v[90:91] op_sel:[0,1]
	s_delay_alu instid0(VALU_DEP_1) | instskip(SKIP_1) | instid1(VALU_DEP_1)
	v_pk_fma_f32 v[102:103], v[100:101], v[88:89], v[98:99] op_sel:[0,0,1] op_sel_hi:[1,1,0] neg_lo:[0,0,1] neg_hi:[0,0,1]
	v_pk_fma_f32 v[98:99], v[100:101], v[88:89], v[98:99] op_sel:[0,0,1] op_sel_hi:[1,0,0]
	v_mov_b32_e32 v103, v99
	ds_load_2addr_b64 v[98:101], v92 offset0:26 offset1:27
	v_pk_add_f32 v[52:53], v[52:53], v[104:105] neg_lo:[0,1] neg_hi:[0,1]
	v_pk_add_f32 v[48:49], v[48:49], v[102:103] neg_lo:[0,1] neg_hi:[0,1]
	s_wait_dscnt 0x0
	v_pk_mul_f32 v[102:103], v[98:99], v[90:91] op_sel:[0,1]
	s_delay_alu instid0(VALU_DEP_1) | instskip(SKIP_1) | instid1(VALU_DEP_1)
	v_pk_fma_f32 v[104:105], v[98:99], v[88:89], v[102:103] op_sel:[0,0,1] op_sel_hi:[1,1,0] neg_lo:[0,0,1] neg_hi:[0,0,1]
	v_pk_fma_f32 v[98:99], v[98:99], v[88:89], v[102:103] op_sel:[0,0,1] op_sel_hi:[1,0,0]
	v_mov_b32_e32 v105, v99
	v_pk_mul_f32 v[98:99], v[100:101], v[90:91] op_sel:[0,1]
	s_delay_alu instid0(VALU_DEP_1) | instskip(SKIP_1) | instid1(VALU_DEP_1)
	v_pk_fma_f32 v[102:103], v[100:101], v[88:89], v[98:99] op_sel:[0,0,1] op_sel_hi:[1,1,0] neg_lo:[0,0,1] neg_hi:[0,0,1]
	v_pk_fma_f32 v[98:99], v[100:101], v[88:89], v[98:99] op_sel:[0,0,1] op_sel_hi:[1,0,0]
	v_mov_b32_e32 v103, v99
	ds_load_2addr_b64 v[98:101], v92 offset0:28 offset1:29
	v_pk_add_f32 v[50:51], v[50:51], v[104:105] neg_lo:[0,1] neg_hi:[0,1]
	v_pk_add_f32 v[46:47], v[46:47], v[102:103] neg_lo:[0,1] neg_hi:[0,1]
	s_wait_dscnt 0x0
	v_dual_mul_f32 v102, v99, v91 :: v_dual_mul_f32 v104, v99, v88
	s_delay_alu instid0(VALU_DEP_1) | instskip(NEXT) | instid1(VALU_DEP_2)
	v_pk_fma_f32 v[102:103], v[98:99], v[62:63], v[102:103] op_sel_hi:[1,1,0] neg_lo:[0,0,1] neg_hi:[0,0,1]
	v_pk_fma_f32 v[98:99], v[98:99], v[62:63], v[104:105] op_sel:[1,0,0] op_sel_hi:[0,1,0]
	s_delay_alu instid0(VALU_DEP_1) | instskip(SKIP_1) | instid1(VALU_DEP_2)
	v_mov_b32_e32 v103, v99
	v_pk_mul_f32 v[98:99], v[100:101], v[90:91] op_sel:[0,1]
	v_pk_add_f32 v[42:43], v[42:43], v[102:103] neg_lo:[0,1] neg_hi:[0,1]
	s_delay_alu instid0(VALU_DEP_2) | instskip(SKIP_1) | instid1(VALU_DEP_1)
	v_pk_fma_f32 v[102:103], v[100:101], v[88:89], v[98:99] op_sel:[0,0,1] op_sel_hi:[1,1,0] neg_lo:[0,0,1] neg_hi:[0,0,1]
	v_pk_fma_f32 v[98:99], v[100:101], v[88:89], v[98:99] op_sel:[0,0,1] op_sel_hi:[1,0,0]
	v_mov_b32_e32 v103, v99
	ds_load_2addr_b64 v[98:101], v92 offset0:30 offset1:31
	v_pk_add_f32 v[38:39], v[38:39], v[102:103] neg_lo:[0,1] neg_hi:[0,1]
	s_wait_dscnt 0x0
	v_pk_mul_f32 v[102:103], v[98:99], v[90:91] op_sel:[0,1]
	s_delay_alu instid0(VALU_DEP_1) | instskip(SKIP_1) | instid1(VALU_DEP_1)
	v_pk_fma_f32 v[104:105], v[98:99], v[88:89], v[102:103] op_sel:[0,0,1] op_sel_hi:[1,1,0] neg_lo:[0,0,1] neg_hi:[0,0,1]
	v_pk_fma_f32 v[98:99], v[98:99], v[88:89], v[102:103] op_sel:[0,0,1] op_sel_hi:[1,0,0]
	v_mov_b32_e32 v105, v99
	v_pk_mul_f32 v[98:99], v[100:101], v[90:91] op_sel:[0,1]
	s_delay_alu instid0(VALU_DEP_2) | instskip(NEXT) | instid1(VALU_DEP_2)
	v_pk_add_f32 v[40:41], v[40:41], v[104:105] neg_lo:[0,1] neg_hi:[0,1]
	v_pk_fma_f32 v[102:103], v[100:101], v[88:89], v[98:99] op_sel:[0,0,1] op_sel_hi:[1,1,0] neg_lo:[0,0,1] neg_hi:[0,0,1]
	v_pk_fma_f32 v[98:99], v[100:101], v[88:89], v[98:99] op_sel:[0,0,1] op_sel_hi:[1,0,0]
	s_delay_alu instid0(VALU_DEP_1) | instskip(SKIP_4) | instid1(VALU_DEP_1)
	v_mov_b32_e32 v103, v99
	ds_load_2addr_b64 v[98:101], v92 offset0:32 offset1:33
	v_pk_add_f32 v[36:37], v[36:37], v[102:103] neg_lo:[0,1] neg_hi:[0,1]
	s_wait_dscnt 0x0
	v_pk_mul_f32 v[102:103], v[98:99], v[90:91] op_sel:[0,1]
	v_pk_fma_f32 v[104:105], v[98:99], v[88:89], v[102:103] op_sel:[0,0,1] op_sel_hi:[1,1,0] neg_lo:[0,0,1] neg_hi:[0,0,1]
	v_pk_fma_f32 v[98:99], v[98:99], v[88:89], v[102:103] op_sel:[0,0,1] op_sel_hi:[1,0,0]
	v_dual_mul_f32 v102, v101, v91 :: v_dual_mov_b32 v98, v101
	s_delay_alu instid0(VALU_DEP_2) | instskip(NEXT) | instid1(VALU_DEP_2)
	v_dual_mov_b32 v105, v99 :: v_dual_mov_b32 v99, v100
	v_pk_fma_f32 v[102:103], v[100:101], v[62:63], v[102:103] op_sel_hi:[1,1,0] neg_lo:[0,0,1] neg_hi:[0,0,1]
	v_mul_f32_e32 v100, v101, v88
	s_delay_alu instid0(VALU_DEP_3) | instskip(NEXT) | instid1(VALU_DEP_2)
	v_pk_add_f32 v[14:15], v[14:15], v[104:105] neg_lo:[0,1] neg_hi:[0,1]
	v_pk_fma_f32 v[98:99], v[98:99], v[62:63], v[100:101] op_sel_hi:[1,1,0]
	s_delay_alu instid0(VALU_DEP_1) | instskip(SKIP_4) | instid1(VALU_DEP_1)
	v_mov_b32_e32 v103, v99
	ds_load_2addr_b64 v[98:101], v92 offset0:34 offset1:35
	v_pk_add_f32 v[10:11], v[10:11], v[102:103] neg_lo:[0,1] neg_hi:[0,1]
	s_wait_dscnt 0x0
	v_pk_mul_f32 v[102:103], v[98:99], v[90:91] op_sel:[0,1]
	v_pk_fma_f32 v[104:105], v[98:99], v[88:89], v[102:103] op_sel:[0,0,1] op_sel_hi:[1,1,0] neg_lo:[0,0,1] neg_hi:[0,0,1]
	v_pk_fma_f32 v[98:99], v[98:99], v[88:89], v[102:103] op_sel:[0,0,1] op_sel_hi:[1,0,0]
	s_delay_alu instid0(VALU_DEP_1) | instskip(SKIP_1) | instid1(VALU_DEP_1)
	v_mov_b32_e32 v105, v99
	v_pk_mul_f32 v[98:99], v[100:101], v[90:91] op_sel:[0,1]
	v_pk_fma_f32 v[102:103], v[100:101], v[88:89], v[98:99] op_sel:[0,0,1] op_sel_hi:[1,1,0] neg_lo:[0,0,1] neg_hi:[0,0,1]
	v_pk_fma_f32 v[98:99], v[100:101], v[88:89], v[98:99] op_sel:[0,0,1] op_sel_hi:[1,0,0]
	s_delay_alu instid0(VALU_DEP_1)
	v_mov_b32_e32 v103, v99
	ds_load_2addr_b64 v[98:101], v92 offset0:36 offset1:37
	v_pk_add_f32 v[12:13], v[12:13], v[104:105] neg_lo:[0,1] neg_hi:[0,1]
	v_pk_add_f32 v[8:9], v[8:9], v[102:103] neg_lo:[0,1] neg_hi:[0,1]
	s_wait_dscnt 0x0
	v_pk_mul_f32 v[102:103], v[98:99], v[90:91] op_sel:[0,1]
	s_delay_alu instid0(VALU_DEP_1) | instskip(SKIP_1) | instid1(VALU_DEP_1)
	v_pk_fma_f32 v[104:105], v[98:99], v[88:89], v[102:103] op_sel:[0,0,1] op_sel_hi:[1,1,0] neg_lo:[0,0,1] neg_hi:[0,0,1]
	v_pk_fma_f32 v[98:99], v[98:99], v[88:89], v[102:103] op_sel:[0,0,1] op_sel_hi:[1,0,0]
	v_mov_b32_e32 v105, v99
	v_pk_mul_f32 v[98:99], v[100:101], v[90:91] op_sel:[0,1]
	s_delay_alu instid0(VALU_DEP_1) | instskip(SKIP_1) | instid1(VALU_DEP_1)
	v_pk_fma_f32 v[102:103], v[100:101], v[88:89], v[98:99] op_sel:[0,0,1] op_sel_hi:[1,1,0] neg_lo:[0,0,1] neg_hi:[0,0,1]
	v_pk_fma_f32 v[98:99], v[100:101], v[88:89], v[98:99] op_sel:[0,0,1] op_sel_hi:[1,0,0]
	v_mov_b32_e32 v103, v99
	ds_load_2addr_b64 v[98:101], v92 offset0:38 offset1:39
	v_pk_add_f32 v[6:7], v[6:7], v[104:105] neg_lo:[0,1] neg_hi:[0,1]
	v_pk_add_f32 v[44:45], v[44:45], v[102:103] neg_lo:[0,1] neg_hi:[0,1]
	s_wait_dscnt 0x0
	v_dual_mul_f32 v102, v99, v91 :: v_dual_mul_f32 v104, v99, v88
	s_delay_alu instid0(VALU_DEP_1) | instskip(NEXT) | instid1(VALU_DEP_2)
	v_pk_fma_f32 v[102:103], v[98:99], v[62:63], v[102:103] op_sel_hi:[1,1,0] neg_lo:[0,0,1] neg_hi:[0,0,1]
	v_pk_fma_f32 v[98:99], v[98:99], v[62:63], v[104:105] op_sel:[1,0,0] op_sel_hi:[0,1,0]
	s_delay_alu instid0(VALU_DEP_1) | instskip(SKIP_1) | instid1(VALU_DEP_2)
	v_mov_b32_e32 v103, v99
	v_pk_mul_f32 v[98:99], v[100:101], v[90:91] op_sel:[0,1]
	v_pk_add_f32 v[22:23], v[22:23], v[102:103] neg_lo:[0,1] neg_hi:[0,1]
	s_delay_alu instid0(VALU_DEP_2) | instskip(SKIP_1) | instid1(VALU_DEP_1)
	v_pk_fma_f32 v[102:103], v[100:101], v[88:89], v[98:99] op_sel:[0,0,1] op_sel_hi:[1,1,0] neg_lo:[0,0,1] neg_hi:[0,0,1]
	v_pk_fma_f32 v[98:99], v[100:101], v[88:89], v[98:99] op_sel:[0,0,1] op_sel_hi:[1,0,0]
	v_mov_b32_e32 v103, v99
	ds_load_b64 v[98:99], v92 offset:320
	v_pk_add_f32 v[16:17], v[16:17], v[102:103] neg_lo:[0,1] neg_hi:[0,1]
	s_wait_dscnt 0x0
	v_pk_mul_f32 v[90:91], v[98:99], v[90:91] op_sel:[0,1]
	s_delay_alu instid0(VALU_DEP_1) | instskip(SKIP_1) | instid1(VALU_DEP_1)
	v_pk_fma_f32 v[100:101], v[98:99], v[88:89], v[90:91] op_sel:[0,0,1] op_sel_hi:[1,1,0] neg_lo:[0,0,1] neg_hi:[0,0,1]
	v_pk_fma_f32 v[88:89], v[98:99], v[88:89], v[90:91] op_sel:[0,0,1] op_sel_hi:[1,0,0]
	v_mov_b32_e32 v101, v89
	s_delay_alu instid0(VALU_DEP_1)
	v_pk_add_f32 v[86:87], v[86:87], v[100:101] neg_lo:[0,1] neg_hi:[0,1]
.LBB80_419:
	s_or_b32 exec_lo, exec_lo, s0
	v_lshl_add_u32 v88, v96, 3, v92
	s_barrier_signal -1
	s_barrier_wait -1
	ds_store_b64 v88, v[60:61]
	s_wait_dscnt 0x0
	s_barrier_signal -1
	s_barrier_wait -1
	ds_load_b64 v[90:91], v92 offset:160
	v_mov_b32_e32 v88, 20
	s_cmp_lt_i32 s18, 22
	s_cbranch_scc1 .LBB80_422
; %bb.420:
	v_add3_u32 v89, v93, 0, 0xa8
	v_mov_b32_e32 v88, 20
	s_mov_b32 s0, 21
.LBB80_421:                             ; =>This Inner Loop Header: Depth=1
	ds_load_b64 v[98:99], v89
	s_wait_dscnt 0x1
	v_cmp_gt_f32_e32 vcc_lo, 0, v90
	v_cndmask_b32_e64 v100, v90, -v90, vcc_lo
	v_cmp_gt_f32_e32 vcc_lo, 0, v91
	v_cndmask_b32_e64 v102, v91, -v91, vcc_lo
	s_wait_dscnt 0x0
	v_cmp_gt_f32_e32 vcc_lo, 0, v98
	v_cndmask_b32_e64 v101, v98, -v98, vcc_lo
	v_cmp_gt_f32_e32 vcc_lo, 0, v99
	v_cndmask_b32_e64 v103, v99, -v99, vcc_lo
	s_delay_alu instid0(VALU_DEP_1) | instskip(NEXT) | instid1(VALU_DEP_1)
	v_pk_add_f32 v[100:101], v[100:101], v[102:103]
	v_cmp_lt_f32_e32 vcc_lo, v100, v101
	v_dual_add_nc_u32 v89, 8, v89 :: v_dual_cndmask_b32 v91, v91, v99, vcc_lo
	v_cndmask_b32_e32 v90, v90, v98, vcc_lo
	v_cndmask_b32_e64 v88, v88, s0, vcc_lo
	s_add_co_i32 s0, s0, 1
	s_delay_alu instid0(SALU_CYCLE_1)
	s_cmp_lg_u32 s18, s0
	s_cbranch_scc1 .LBB80_421
.LBB80_422:
	s_wait_dscnt 0x0
	v_cmp_eq_f32_e32 vcc_lo, 0, v90
	v_cmp_eq_f32_e64 s0, 0, v91
	s_and_b32 s0, vcc_lo, s0
	s_delay_alu instid0(SALU_CYCLE_1) | instskip(NEXT) | instid1(SALU_CYCLE_1)
	s_and_saveexec_b32 s1, s0
	s_xor_b32 s0, exec_lo, s1
; %bb.423:
	v_cmp_ne_u32_e32 vcc_lo, 0, v94
	v_cndmask_b32_e32 v94, 21, v94, vcc_lo
; %bb.424:
	s_and_not1_saveexec_b32 s0, s0
	s_cbranch_execz .LBB80_430
; %bb.425:
	v_cmp_ngt_f32_e64 s1, |v90|, |v91|
	s_and_saveexec_b32 s12, s1
	s_delay_alu instid0(SALU_CYCLE_1)
	s_xor_b32 s1, exec_lo, s12
	s_cbranch_execz .LBB80_427
; %bb.426:
	v_div_scale_f32 v89, null, v91, v91, v90
	v_div_scale_f32 v99, vcc_lo, v90, v91, v90
	s_delay_alu instid0(VALU_DEP_2) | instskip(SKIP_1) | instid1(TRANS32_DEP_1)
	v_rcp_f32_e32 v97, v89
	v_nop
	v_fma_f32 v98, -v89, v97, 1.0
	s_delay_alu instid0(VALU_DEP_1) | instskip(NEXT) | instid1(VALU_DEP_1)
	v_fmac_f32_e32 v97, v98, v97
	v_mul_f32_e32 v98, v99, v97
	s_delay_alu instid0(VALU_DEP_1) | instskip(NEXT) | instid1(VALU_DEP_1)
	v_fma_f32 v100, -v89, v98, v99
	v_fmac_f32_e32 v98, v100, v97
	s_delay_alu instid0(VALU_DEP_1) | instskip(NEXT) | instid1(VALU_DEP_1)
	v_fma_f32 v89, -v89, v98, v99
	v_div_fmas_f32 v89, v89, v97, v98
	s_delay_alu instid0(VALU_DEP_1) | instskip(NEXT) | instid1(VALU_DEP_1)
	v_div_fixup_f32 v89, v89, v91, v90
	v_fmac_f32_e32 v91, v90, v89
	s_delay_alu instid0(VALU_DEP_1) | instskip(SKIP_1) | instid1(VALU_DEP_2)
	v_div_scale_f32 v90, null, v91, v91, 1.0
	v_div_scale_f32 v99, vcc_lo, 1.0, v91, 1.0
	v_rcp_f32_e32 v97, v90
	v_nop
	s_delay_alu instid0(TRANS32_DEP_1) | instskip(NEXT) | instid1(VALU_DEP_1)
	v_fma_f32 v98, -v90, v97, 1.0
	v_fmac_f32_e32 v97, v98, v97
	s_delay_alu instid0(VALU_DEP_1) | instskip(NEXT) | instid1(VALU_DEP_1)
	v_mul_f32_e32 v98, v99, v97
	v_fma_f32 v100, -v90, v98, v99
	s_delay_alu instid0(VALU_DEP_1) | instskip(NEXT) | instid1(VALU_DEP_1)
	v_fmac_f32_e32 v98, v100, v97
	v_fma_f32 v90, -v90, v98, v99
	s_delay_alu instid0(VALU_DEP_1) | instskip(NEXT) | instid1(VALU_DEP_1)
	v_div_fmas_f32 v90, v90, v97, v98
	v_div_fixup_f32 v91, v90, v91, 1.0
	s_delay_alu instid0(VALU_DEP_1)
	v_mul_f32_e32 v90, v89, v91
	v_xor_b32_e32 v91, 0x80000000, v91
.LBB80_427:
	s_and_not1_saveexec_b32 s1, s1
	s_cbranch_execz .LBB80_429
; %bb.428:
	s_delay_alu instid0(VALU_DEP_1) | instskip(SKIP_1) | instid1(VALU_DEP_2)
	v_div_scale_f32 v89, null, v90, v90, v91
	v_div_scale_f32 v99, vcc_lo, v91, v90, v91
	v_rcp_f32_e32 v97, v89
	v_nop
	s_delay_alu instid0(TRANS32_DEP_1) | instskip(NEXT) | instid1(VALU_DEP_1)
	v_fma_f32 v98, -v89, v97, 1.0
	v_fmac_f32_e32 v97, v98, v97
	s_delay_alu instid0(VALU_DEP_1) | instskip(NEXT) | instid1(VALU_DEP_1)
	v_mul_f32_e32 v98, v99, v97
	v_fma_f32 v100, -v89, v98, v99
	s_delay_alu instid0(VALU_DEP_1) | instskip(NEXT) | instid1(VALU_DEP_1)
	v_fmac_f32_e32 v98, v100, v97
	v_fma_f32 v89, -v89, v98, v99
	s_delay_alu instid0(VALU_DEP_1) | instskip(NEXT) | instid1(VALU_DEP_1)
	v_div_fmas_f32 v89, v89, v97, v98
	v_div_fixup_f32 v89, v89, v90, v91
	s_delay_alu instid0(VALU_DEP_1) | instskip(NEXT) | instid1(VALU_DEP_1)
	v_fmac_f32_e32 v90, v91, v89
	v_div_scale_f32 v91, null, v90, v90, 1.0
	s_delay_alu instid0(VALU_DEP_1) | instskip(SKIP_1) | instid1(TRANS32_DEP_1)
	v_rcp_f32_e32 v97, v91
	v_nop
	v_fma_f32 v98, -v91, v97, 1.0
	s_delay_alu instid0(VALU_DEP_1) | instskip(SKIP_1) | instid1(VALU_DEP_1)
	v_fmac_f32_e32 v97, v98, v97
	v_div_scale_f32 v98, vcc_lo, 1.0, v90, 1.0
	v_mul_f32_e32 v99, v98, v97
	s_delay_alu instid0(VALU_DEP_1) | instskip(NEXT) | instid1(VALU_DEP_1)
	v_fma_f32 v100, -v91, v99, v98
	v_fmac_f32_e32 v99, v100, v97
	s_delay_alu instid0(VALU_DEP_1) | instskip(NEXT) | instid1(VALU_DEP_1)
	v_fma_f32 v91, -v91, v99, v98
	v_div_fmas_f32 v91, v91, v97, v99
	s_delay_alu instid0(VALU_DEP_1) | instskip(NEXT) | instid1(VALU_DEP_1)
	v_div_fixup_f32 v90, v91, v90, 1.0
	v_mul_f32_e64 v91, v89, -v90
.LBB80_429:
	s_or_b32 exec_lo, exec_lo, s1
.LBB80_430:
	s_delay_alu instid0(SALU_CYCLE_1) | instskip(NEXT) | instid1(SALU_CYCLE_1)
	s_or_b32 exec_lo, exec_lo, s0
	s_mov_b32 s0, exec_lo
	v_cmpx_ne_u32_e64 v96, v88
	s_xor_b32 s0, exec_lo, s0
	s_cbranch_execz .LBB80_436
; %bb.431:
	s_mov_b32 s1, exec_lo
	v_cmpx_eq_u32_e32 20, v96
	s_cbranch_execz .LBB80_435
; %bb.432:
	v_cmp_ne_u32_e32 vcc_lo, 20, v88
	s_xor_b32 s12, s16, -1
	s_delay_alu instid0(SALU_CYCLE_1) | instskip(NEXT) | instid1(SALU_CYCLE_1)
	s_and_b32 s13, s12, vcc_lo
	s_and_saveexec_b32 s12, s13
	s_cbranch_execz .LBB80_434
; %bb.433:
	v_ashrrev_i32_e32 v89, 31, v88
	s_delay_alu instid0(VALU_DEP_1)
	v_lshl_add_u64 v[96:97], v[88:89], 2, v[4:5]
	s_clause 0x1
	global_load_b32 v89, v[96:97], off
	global_load_b32 v95, v[4:5], off offset:80
	s_wait_loadcnt 0x1
	global_store_b32 v[4:5], v89, off offset:80
	s_wait_loadcnt 0x0
	global_store_b32 v[96:97], v95, off
.LBB80_434:
	s_wait_xcnt 0x0
	s_or_b32 exec_lo, exec_lo, s12
	v_dual_mov_b32 v96, v88 :: v_dual_mov_b32 v95, v88
.LBB80_435:
	s_or_b32 exec_lo, exec_lo, s1
.LBB80_436:
	s_and_not1_saveexec_b32 s0, s0
	s_cbranch_execz .LBB80_438
; %bb.437:
	v_mov_b32_e32 v96, 20
	ds_store_2addr_b64 v92, v[56:57], v[58:59] offset0:21 offset1:22
	ds_store_2addr_b64 v92, v[54:55], v[52:53] offset0:23 offset1:24
	;; [unrolled: 1-line block ×10, first 2 shown]
.LBB80_438:
	s_or_b32 exec_lo, exec_lo, s0
	s_delay_alu instid0(SALU_CYCLE_1)
	s_mov_b32 s0, exec_lo
	s_wait_storecnt_dscnt 0x0
	s_barrier_signal -1
	s_barrier_wait -1
	v_cmpx_lt_i32_e32 20, v96
	s_cbranch_execz .LBB80_440
; %bb.439:
	v_pk_mul_f32 v[98:99], v[90:91], v[60:61] op_sel:[1,1] op_sel_hi:[0,1]
	s_delay_alu instid0(VALU_DEP_1)
	v_pk_fma_f32 v[88:89], v[90:91], v[60:61], v[98:99] op_sel_hi:[1,0,1] neg_lo:[0,0,1] neg_hi:[0,0,1]
	v_pk_fma_f32 v[90:91], v[90:91], v[60:61], v[98:99] op_sel_hi:[1,0,1]
	ds_load_2addr_b64 v[98:101], v92 offset0:21 offset1:22
	v_dual_mov_b32 v60, v88 :: v_dual_mov_b32 v61, v91
	s_wait_dscnt 0x0
	v_pk_mul_f32 v[102:103], v[98:99], v[90:91] op_sel:[0,1]
	s_delay_alu instid0(VALU_DEP_1) | instskip(SKIP_1) | instid1(VALU_DEP_1)
	v_pk_fma_f32 v[104:105], v[98:99], v[88:89], v[102:103] op_sel:[0,0,1] op_sel_hi:[1,1,0] neg_lo:[0,0,1] neg_hi:[0,0,1]
	v_pk_fma_f32 v[98:99], v[98:99], v[88:89], v[102:103] op_sel:[0,0,1] op_sel_hi:[1,0,0]
	v_mov_b32_e32 v105, v99
	v_pk_mul_f32 v[98:99], v[100:101], v[90:91] op_sel:[0,1]
	s_delay_alu instid0(VALU_DEP_1) | instskip(SKIP_1) | instid1(VALU_DEP_1)
	v_pk_fma_f32 v[102:103], v[100:101], v[88:89], v[98:99] op_sel:[0,0,1] op_sel_hi:[1,1,0] neg_lo:[0,0,1] neg_hi:[0,0,1]
	v_pk_fma_f32 v[98:99], v[100:101], v[88:89], v[98:99] op_sel:[0,0,1] op_sel_hi:[1,0,0]
	v_mov_b32_e32 v103, v99
	ds_load_2addr_b64 v[98:101], v92 offset0:23 offset1:24
	v_pk_add_f32 v[56:57], v[56:57], v[104:105] neg_lo:[0,1] neg_hi:[0,1]
	v_pk_add_f32 v[58:59], v[58:59], v[102:103] neg_lo:[0,1] neg_hi:[0,1]
	s_wait_dscnt 0x0
	v_pk_mul_f32 v[102:103], v[98:99], v[90:91] op_sel:[0,1]
	s_delay_alu instid0(VALU_DEP_1) | instskip(SKIP_2) | instid1(VALU_DEP_2)
	v_pk_fma_f32 v[104:105], v[98:99], v[88:89], v[102:103] op_sel:[0,0,1] op_sel_hi:[1,1,0] neg_lo:[0,0,1] neg_hi:[0,0,1]
	v_pk_fma_f32 v[98:99], v[98:99], v[88:89], v[102:103] op_sel:[0,0,1] op_sel_hi:[1,0,0]
	v_dual_mul_f32 v102, v101, v91 :: v_dual_mov_b32 v98, v101
	v_dual_mov_b32 v105, v99 :: v_dual_mov_b32 v99, v100
	s_delay_alu instid0(VALU_DEP_2) | instskip(SKIP_1) | instid1(VALU_DEP_3)
	v_pk_fma_f32 v[102:103], v[100:101], v[60:61], v[102:103] op_sel_hi:[1,1,0] neg_lo:[0,0,1] neg_hi:[0,0,1]
	v_mul_f32_e32 v100, v101, v88
	v_pk_add_f32 v[54:55], v[54:55], v[104:105] neg_lo:[0,1] neg_hi:[0,1]
	s_delay_alu instid0(VALU_DEP_2) | instskip(NEXT) | instid1(VALU_DEP_1)
	v_pk_fma_f32 v[98:99], v[98:99], v[60:61], v[100:101] op_sel_hi:[1,1,0]
	v_mov_b32_e32 v103, v99
	ds_load_2addr_b64 v[98:101], v92 offset0:25 offset1:26
	v_pk_add_f32 v[52:53], v[52:53], v[102:103] neg_lo:[0,1] neg_hi:[0,1]
	s_wait_dscnt 0x0
	v_pk_mul_f32 v[102:103], v[98:99], v[90:91] op_sel:[0,1]
	s_delay_alu instid0(VALU_DEP_1) | instskip(SKIP_1) | instid1(VALU_DEP_1)
	v_pk_fma_f32 v[104:105], v[98:99], v[88:89], v[102:103] op_sel:[0,0,1] op_sel_hi:[1,1,0] neg_lo:[0,0,1] neg_hi:[0,0,1]
	v_pk_fma_f32 v[98:99], v[98:99], v[88:89], v[102:103] op_sel:[0,0,1] op_sel_hi:[1,0,0]
	v_mov_b32_e32 v105, v99
	v_pk_mul_f32 v[98:99], v[100:101], v[90:91] op_sel:[0,1]
	s_delay_alu instid0(VALU_DEP_1) | instskip(SKIP_1) | instid1(VALU_DEP_1)
	v_pk_fma_f32 v[102:103], v[100:101], v[88:89], v[98:99] op_sel:[0,0,1] op_sel_hi:[1,1,0] neg_lo:[0,0,1] neg_hi:[0,0,1]
	v_pk_fma_f32 v[98:99], v[100:101], v[88:89], v[98:99] op_sel:[0,0,1] op_sel_hi:[1,0,0]
	v_mov_b32_e32 v103, v99
	ds_load_2addr_b64 v[98:101], v92 offset0:27 offset1:28
	v_pk_add_f32 v[48:49], v[48:49], v[104:105] neg_lo:[0,1] neg_hi:[0,1]
	v_pk_add_f32 v[50:51], v[50:51], v[102:103] neg_lo:[0,1] neg_hi:[0,1]
	s_wait_dscnt 0x0
	v_pk_mul_f32 v[102:103], v[98:99], v[90:91] op_sel:[0,1]
	s_delay_alu instid0(VALU_DEP_1) | instskip(SKIP_1) | instid1(VALU_DEP_1)
	v_pk_fma_f32 v[104:105], v[98:99], v[88:89], v[102:103] op_sel:[0,0,1] op_sel_hi:[1,1,0] neg_lo:[0,0,1] neg_hi:[0,0,1]
	v_pk_fma_f32 v[98:99], v[98:99], v[88:89], v[102:103] op_sel:[0,0,1] op_sel_hi:[1,0,0]
	v_mov_b32_e32 v105, v99
	v_pk_mul_f32 v[98:99], v[100:101], v[90:91] op_sel:[0,1]
	s_delay_alu instid0(VALU_DEP_1) | instskip(SKIP_1) | instid1(VALU_DEP_1)
	v_pk_fma_f32 v[102:103], v[100:101], v[88:89], v[98:99] op_sel:[0,0,1] op_sel_hi:[1,1,0] neg_lo:[0,0,1] neg_hi:[0,0,1]
	v_pk_fma_f32 v[98:99], v[100:101], v[88:89], v[98:99] op_sel:[0,0,1] op_sel_hi:[1,0,0]
	v_mov_b32_e32 v103, v99
	ds_load_2addr_b64 v[98:101], v92 offset0:29 offset1:30
	v_pk_add_f32 v[46:47], v[46:47], v[104:105] neg_lo:[0,1] neg_hi:[0,1]
	v_pk_add_f32 v[42:43], v[42:43], v[102:103] neg_lo:[0,1] neg_hi:[0,1]
	s_wait_dscnt 0x0
	v_dual_mul_f32 v102, v99, v91 :: v_dual_mul_f32 v104, v99, v88
	s_delay_alu instid0(VALU_DEP_1) | instskip(NEXT) | instid1(VALU_DEP_2)
	v_pk_fma_f32 v[102:103], v[98:99], v[60:61], v[102:103] op_sel_hi:[1,1,0] neg_lo:[0,0,1] neg_hi:[0,0,1]
	v_pk_fma_f32 v[98:99], v[98:99], v[60:61], v[104:105] op_sel:[1,0,0] op_sel_hi:[0,1,0]
	s_delay_alu instid0(VALU_DEP_1) | instskip(SKIP_1) | instid1(VALU_DEP_2)
	v_mov_b32_e32 v103, v99
	v_pk_mul_f32 v[98:99], v[100:101], v[90:91] op_sel:[0,1]
	v_pk_add_f32 v[38:39], v[38:39], v[102:103] neg_lo:[0,1] neg_hi:[0,1]
	s_delay_alu instid0(VALU_DEP_2) | instskip(SKIP_1) | instid1(VALU_DEP_1)
	v_pk_fma_f32 v[102:103], v[100:101], v[88:89], v[98:99] op_sel:[0,0,1] op_sel_hi:[1,1,0] neg_lo:[0,0,1] neg_hi:[0,0,1]
	v_pk_fma_f32 v[98:99], v[100:101], v[88:89], v[98:99] op_sel:[0,0,1] op_sel_hi:[1,0,0]
	v_mov_b32_e32 v103, v99
	ds_load_2addr_b64 v[98:101], v92 offset0:31 offset1:32
	v_pk_add_f32 v[40:41], v[40:41], v[102:103] neg_lo:[0,1] neg_hi:[0,1]
	s_wait_dscnt 0x0
	v_pk_mul_f32 v[102:103], v[98:99], v[90:91] op_sel:[0,1]
	s_delay_alu instid0(VALU_DEP_1) | instskip(SKIP_1) | instid1(VALU_DEP_1)
	v_pk_fma_f32 v[104:105], v[98:99], v[88:89], v[102:103] op_sel:[0,0,1] op_sel_hi:[1,1,0] neg_lo:[0,0,1] neg_hi:[0,0,1]
	v_pk_fma_f32 v[98:99], v[98:99], v[88:89], v[102:103] op_sel:[0,0,1] op_sel_hi:[1,0,0]
	v_mov_b32_e32 v105, v99
	v_pk_mul_f32 v[98:99], v[100:101], v[90:91] op_sel:[0,1]
	s_delay_alu instid0(VALU_DEP_2) | instskip(NEXT) | instid1(VALU_DEP_2)
	v_pk_add_f32 v[36:37], v[36:37], v[104:105] neg_lo:[0,1] neg_hi:[0,1]
	v_pk_fma_f32 v[102:103], v[100:101], v[88:89], v[98:99] op_sel:[0,0,1] op_sel_hi:[1,1,0] neg_lo:[0,0,1] neg_hi:[0,0,1]
	v_pk_fma_f32 v[98:99], v[100:101], v[88:89], v[98:99] op_sel:[0,0,1] op_sel_hi:[1,0,0]
	s_delay_alu instid0(VALU_DEP_1) | instskip(SKIP_4) | instid1(VALU_DEP_1)
	v_mov_b32_e32 v103, v99
	ds_load_2addr_b64 v[98:101], v92 offset0:33 offset1:34
	v_pk_add_f32 v[14:15], v[14:15], v[102:103] neg_lo:[0,1] neg_hi:[0,1]
	s_wait_dscnt 0x0
	v_pk_mul_f32 v[102:103], v[98:99], v[90:91] op_sel:[0,1]
	v_pk_fma_f32 v[104:105], v[98:99], v[88:89], v[102:103] op_sel:[0,0,1] op_sel_hi:[1,1,0] neg_lo:[0,0,1] neg_hi:[0,0,1]
	v_pk_fma_f32 v[98:99], v[98:99], v[88:89], v[102:103] op_sel:[0,0,1] op_sel_hi:[1,0,0]
	v_dual_mul_f32 v102, v101, v91 :: v_dual_mov_b32 v98, v101
	s_delay_alu instid0(VALU_DEP_2) | instskip(NEXT) | instid1(VALU_DEP_2)
	v_dual_mov_b32 v105, v99 :: v_dual_mov_b32 v99, v100
	v_pk_fma_f32 v[102:103], v[100:101], v[60:61], v[102:103] op_sel_hi:[1,1,0] neg_lo:[0,0,1] neg_hi:[0,0,1]
	v_mul_f32_e32 v100, v101, v88
	s_delay_alu instid0(VALU_DEP_3) | instskip(NEXT) | instid1(VALU_DEP_2)
	v_pk_add_f32 v[10:11], v[10:11], v[104:105] neg_lo:[0,1] neg_hi:[0,1]
	v_pk_fma_f32 v[98:99], v[98:99], v[60:61], v[100:101] op_sel_hi:[1,1,0]
	s_delay_alu instid0(VALU_DEP_1) | instskip(SKIP_4) | instid1(VALU_DEP_1)
	v_mov_b32_e32 v103, v99
	ds_load_2addr_b64 v[98:101], v92 offset0:35 offset1:36
	v_pk_add_f32 v[12:13], v[12:13], v[102:103] neg_lo:[0,1] neg_hi:[0,1]
	s_wait_dscnt 0x0
	v_pk_mul_f32 v[102:103], v[98:99], v[90:91] op_sel:[0,1]
	v_pk_fma_f32 v[104:105], v[98:99], v[88:89], v[102:103] op_sel:[0,0,1] op_sel_hi:[1,1,0] neg_lo:[0,0,1] neg_hi:[0,0,1]
	v_pk_fma_f32 v[98:99], v[98:99], v[88:89], v[102:103] op_sel:[0,0,1] op_sel_hi:[1,0,0]
	s_delay_alu instid0(VALU_DEP_1) | instskip(SKIP_1) | instid1(VALU_DEP_1)
	v_mov_b32_e32 v105, v99
	v_pk_mul_f32 v[98:99], v[100:101], v[90:91] op_sel:[0,1]
	v_pk_fma_f32 v[102:103], v[100:101], v[88:89], v[98:99] op_sel:[0,0,1] op_sel_hi:[1,1,0] neg_lo:[0,0,1] neg_hi:[0,0,1]
	v_pk_fma_f32 v[98:99], v[100:101], v[88:89], v[98:99] op_sel:[0,0,1] op_sel_hi:[1,0,0]
	s_delay_alu instid0(VALU_DEP_1)
	v_mov_b32_e32 v103, v99
	ds_load_2addr_b64 v[98:101], v92 offset0:37 offset1:38
	v_pk_add_f32 v[8:9], v[8:9], v[104:105] neg_lo:[0,1] neg_hi:[0,1]
	v_pk_add_f32 v[6:7], v[6:7], v[102:103] neg_lo:[0,1] neg_hi:[0,1]
	s_wait_dscnt 0x0
	v_pk_mul_f32 v[102:103], v[98:99], v[90:91] op_sel:[0,1]
	s_delay_alu instid0(VALU_DEP_1) | instskip(SKIP_1) | instid1(VALU_DEP_1)
	v_pk_fma_f32 v[104:105], v[98:99], v[88:89], v[102:103] op_sel:[0,0,1] op_sel_hi:[1,1,0] neg_lo:[0,0,1] neg_hi:[0,0,1]
	v_pk_fma_f32 v[98:99], v[98:99], v[88:89], v[102:103] op_sel:[0,0,1] op_sel_hi:[1,0,0]
	v_mov_b32_e32 v105, v99
	v_pk_mul_f32 v[98:99], v[100:101], v[90:91] op_sel:[0,1]
	s_delay_alu instid0(VALU_DEP_1) | instskip(SKIP_1) | instid1(VALU_DEP_1)
	v_pk_fma_f32 v[102:103], v[100:101], v[88:89], v[98:99] op_sel:[0,0,1] op_sel_hi:[1,1,0] neg_lo:[0,0,1] neg_hi:[0,0,1]
	v_pk_fma_f32 v[98:99], v[100:101], v[88:89], v[98:99] op_sel:[0,0,1] op_sel_hi:[1,0,0]
	v_mov_b32_e32 v103, v99
	ds_load_2addr_b64 v[98:101], v92 offset0:39 offset1:40
	v_pk_add_f32 v[44:45], v[44:45], v[104:105] neg_lo:[0,1] neg_hi:[0,1]
	v_pk_add_f32 v[22:23], v[22:23], v[102:103] neg_lo:[0,1] neg_hi:[0,1]
	s_wait_dscnt 0x0
	v_dual_mul_f32 v102, v99, v91 :: v_dual_mul_f32 v104, v99, v88
	v_pk_mul_f32 v[90:91], v[100:101], v[90:91] op_sel:[0,1]
	s_delay_alu instid0(VALU_DEP_2) | instskip(NEXT) | instid1(VALU_DEP_3)
	v_pk_fma_f32 v[102:103], v[98:99], v[60:61], v[102:103] op_sel_hi:[1,1,0] neg_lo:[0,0,1] neg_hi:[0,0,1]
	v_pk_fma_f32 v[98:99], v[98:99], v[60:61], v[104:105] op_sel:[1,0,0] op_sel_hi:[0,1,0]
	s_delay_alu instid0(VALU_DEP_1) | instskip(NEXT) | instid1(VALU_DEP_4)
	v_mov_b32_e32 v103, v99
	v_pk_fma_f32 v[98:99], v[100:101], v[88:89], v[90:91] op_sel:[0,0,1] op_sel_hi:[1,1,0] neg_lo:[0,0,1] neg_hi:[0,0,1]
	v_pk_fma_f32 v[88:89], v[100:101], v[88:89], v[90:91] op_sel:[0,0,1] op_sel_hi:[1,0,0]
	s_delay_alu instid0(VALU_DEP_1) | instskip(NEXT) | instid1(VALU_DEP_4)
	v_mov_b32_e32 v99, v89
	v_pk_add_f32 v[16:17], v[16:17], v[102:103] neg_lo:[0,1] neg_hi:[0,1]
	s_delay_alu instid0(VALU_DEP_2)
	v_pk_add_f32 v[86:87], v[86:87], v[98:99] neg_lo:[0,1] neg_hi:[0,1]
.LBB80_440:
	s_or_b32 exec_lo, exec_lo, s0
	v_lshl_add_u32 v88, v96, 3, v92
	s_barrier_signal -1
	s_barrier_wait -1
	ds_store_b64 v88, v[56:57]
	s_wait_dscnt 0x0
	s_barrier_signal -1
	s_barrier_wait -1
	ds_load_b64 v[88:89], v92 offset:168
	v_mov_b32_e32 v90, 21
	s_cmp_lt_i32 s18, 23
	s_cbranch_scc1 .LBB80_443
; %bb.441:
	v_add3_u32 v91, v93, 0, 0xb0
	v_mov_b32_e32 v90, 21
	s_mov_b32 s0, 22
.LBB80_442:                             ; =>This Inner Loop Header: Depth=1
	ds_load_b64 v[98:99], v91
	s_wait_dscnt 0x1
	v_cmp_gt_f32_e32 vcc_lo, 0, v88
	v_cndmask_b32_e64 v100, v88, -v88, vcc_lo
	v_cmp_gt_f32_e32 vcc_lo, 0, v89
	v_cndmask_b32_e64 v102, v89, -v89, vcc_lo
	s_wait_dscnt 0x0
	v_cmp_gt_f32_e32 vcc_lo, 0, v98
	v_cndmask_b32_e64 v101, v98, -v98, vcc_lo
	v_cmp_gt_f32_e32 vcc_lo, 0, v99
	v_cndmask_b32_e64 v103, v99, -v99, vcc_lo
	s_delay_alu instid0(VALU_DEP_1) | instskip(NEXT) | instid1(VALU_DEP_1)
	v_pk_add_f32 v[100:101], v[100:101], v[102:103]
	v_cmp_lt_f32_e32 vcc_lo, v100, v101
	v_dual_cndmask_b32 v88, v88, v98 :: v_dual_add_nc_u32 v91, 8, v91
	v_cndmask_b32_e32 v89, v89, v99, vcc_lo
	v_cndmask_b32_e64 v90, v90, s0, vcc_lo
	s_add_co_i32 s0, s0, 1
	s_delay_alu instid0(SALU_CYCLE_1)
	s_cmp_lg_u32 s18, s0
	s_cbranch_scc1 .LBB80_442
.LBB80_443:
	s_wait_dscnt 0x0
	v_cmp_eq_f32_e32 vcc_lo, 0, v88
	v_cmp_eq_f32_e64 s0, 0, v89
	s_and_b32 s0, vcc_lo, s0
	s_delay_alu instid0(SALU_CYCLE_1) | instskip(NEXT) | instid1(SALU_CYCLE_1)
	s_and_saveexec_b32 s1, s0
	s_xor_b32 s0, exec_lo, s1
; %bb.444:
	v_cmp_ne_u32_e32 vcc_lo, 0, v94
	v_cndmask_b32_e32 v94, 22, v94, vcc_lo
; %bb.445:
	s_and_not1_saveexec_b32 s0, s0
	s_cbranch_execz .LBB80_451
; %bb.446:
	v_cmp_ngt_f32_e64 s1, |v88|, |v89|
	s_and_saveexec_b32 s12, s1
	s_delay_alu instid0(SALU_CYCLE_1)
	s_xor_b32 s1, exec_lo, s12
	s_cbranch_execz .LBB80_448
; %bb.447:
	v_div_scale_f32 v91, null, v89, v89, v88
	v_div_scale_f32 v99, vcc_lo, v88, v89, v88
	s_delay_alu instid0(VALU_DEP_2) | instskip(SKIP_1) | instid1(TRANS32_DEP_1)
	v_rcp_f32_e32 v97, v91
	v_nop
	v_fma_f32 v98, -v91, v97, 1.0
	s_delay_alu instid0(VALU_DEP_1) | instskip(NEXT) | instid1(VALU_DEP_1)
	v_fmac_f32_e32 v97, v98, v97
	v_mul_f32_e32 v98, v99, v97
	s_delay_alu instid0(VALU_DEP_1) | instskip(NEXT) | instid1(VALU_DEP_1)
	v_fma_f32 v100, -v91, v98, v99
	v_fmac_f32_e32 v98, v100, v97
	s_delay_alu instid0(VALU_DEP_1) | instskip(NEXT) | instid1(VALU_DEP_1)
	v_fma_f32 v91, -v91, v98, v99
	v_div_fmas_f32 v91, v91, v97, v98
	s_delay_alu instid0(VALU_DEP_1) | instskip(NEXT) | instid1(VALU_DEP_1)
	v_div_fixup_f32 v91, v91, v89, v88
	v_fmac_f32_e32 v89, v88, v91
	s_delay_alu instid0(VALU_DEP_1) | instskip(SKIP_1) | instid1(VALU_DEP_2)
	v_div_scale_f32 v88, null, v89, v89, 1.0
	v_div_scale_f32 v99, vcc_lo, 1.0, v89, 1.0
	v_rcp_f32_e32 v97, v88
	v_nop
	s_delay_alu instid0(TRANS32_DEP_1) | instskip(NEXT) | instid1(VALU_DEP_1)
	v_fma_f32 v98, -v88, v97, 1.0
	v_fmac_f32_e32 v97, v98, v97
	s_delay_alu instid0(VALU_DEP_1) | instskip(NEXT) | instid1(VALU_DEP_1)
	v_mul_f32_e32 v98, v99, v97
	v_fma_f32 v100, -v88, v98, v99
	s_delay_alu instid0(VALU_DEP_1) | instskip(NEXT) | instid1(VALU_DEP_1)
	v_fmac_f32_e32 v98, v100, v97
	v_fma_f32 v88, -v88, v98, v99
	s_delay_alu instid0(VALU_DEP_1) | instskip(NEXT) | instid1(VALU_DEP_1)
	v_div_fmas_f32 v88, v88, v97, v98
	v_div_fixup_f32 v89, v88, v89, 1.0
	s_delay_alu instid0(VALU_DEP_1)
	v_mul_f32_e32 v88, v91, v89
	v_xor_b32_e32 v89, 0x80000000, v89
.LBB80_448:
	s_and_not1_saveexec_b32 s1, s1
	s_cbranch_execz .LBB80_450
; %bb.449:
	s_delay_alu instid0(VALU_DEP_1) | instskip(SKIP_1) | instid1(VALU_DEP_2)
	v_div_scale_f32 v91, null, v88, v88, v89
	v_div_scale_f32 v99, vcc_lo, v89, v88, v89
	v_rcp_f32_e32 v97, v91
	v_nop
	s_delay_alu instid0(TRANS32_DEP_1) | instskip(NEXT) | instid1(VALU_DEP_1)
	v_fma_f32 v98, -v91, v97, 1.0
	v_fmac_f32_e32 v97, v98, v97
	s_delay_alu instid0(VALU_DEP_1) | instskip(NEXT) | instid1(VALU_DEP_1)
	v_mul_f32_e32 v98, v99, v97
	v_fma_f32 v100, -v91, v98, v99
	s_delay_alu instid0(VALU_DEP_1) | instskip(NEXT) | instid1(VALU_DEP_1)
	v_fmac_f32_e32 v98, v100, v97
	v_fma_f32 v91, -v91, v98, v99
	s_delay_alu instid0(VALU_DEP_1) | instskip(NEXT) | instid1(VALU_DEP_1)
	v_div_fmas_f32 v91, v91, v97, v98
	v_div_fixup_f32 v91, v91, v88, v89
	s_delay_alu instid0(VALU_DEP_1) | instskip(NEXT) | instid1(VALU_DEP_1)
	v_fmac_f32_e32 v88, v89, v91
	v_div_scale_f32 v89, null, v88, v88, 1.0
	s_delay_alu instid0(VALU_DEP_1) | instskip(SKIP_1) | instid1(TRANS32_DEP_1)
	v_rcp_f32_e32 v97, v89
	v_nop
	v_fma_f32 v98, -v89, v97, 1.0
	s_delay_alu instid0(VALU_DEP_1) | instskip(SKIP_1) | instid1(VALU_DEP_1)
	v_fmac_f32_e32 v97, v98, v97
	v_div_scale_f32 v98, vcc_lo, 1.0, v88, 1.0
	v_mul_f32_e32 v99, v98, v97
	s_delay_alu instid0(VALU_DEP_1) | instskip(NEXT) | instid1(VALU_DEP_1)
	v_fma_f32 v100, -v89, v99, v98
	v_fmac_f32_e32 v99, v100, v97
	s_delay_alu instid0(VALU_DEP_1) | instskip(NEXT) | instid1(VALU_DEP_1)
	v_fma_f32 v89, -v89, v99, v98
	v_div_fmas_f32 v89, v89, v97, v99
	s_delay_alu instid0(VALU_DEP_1) | instskip(NEXT) | instid1(VALU_DEP_1)
	v_div_fixup_f32 v88, v89, v88, 1.0
	v_mul_f32_e64 v89, v91, -v88
.LBB80_450:
	s_or_b32 exec_lo, exec_lo, s1
.LBB80_451:
	s_delay_alu instid0(SALU_CYCLE_1) | instskip(NEXT) | instid1(SALU_CYCLE_1)
	s_or_b32 exec_lo, exec_lo, s0
	s_mov_b32 s0, exec_lo
	v_cmpx_ne_u32_e64 v96, v90
	s_xor_b32 s0, exec_lo, s0
	s_cbranch_execz .LBB80_457
; %bb.452:
	s_mov_b32 s1, exec_lo
	v_cmpx_eq_u32_e32 21, v96
	s_cbranch_execz .LBB80_456
; %bb.453:
	v_cmp_ne_u32_e32 vcc_lo, 21, v90
	s_xor_b32 s12, s16, -1
	s_delay_alu instid0(SALU_CYCLE_1) | instskip(NEXT) | instid1(SALU_CYCLE_1)
	s_and_b32 s13, s12, vcc_lo
	s_and_saveexec_b32 s12, s13
	s_cbranch_execz .LBB80_455
; %bb.454:
	v_ashrrev_i32_e32 v91, 31, v90
	s_delay_alu instid0(VALU_DEP_1)
	v_lshl_add_u64 v[96:97], v[90:91], 2, v[4:5]
	s_clause 0x1
	global_load_b32 v91, v[96:97], off
	global_load_b32 v95, v[4:5], off offset:84
	s_wait_loadcnt 0x1
	global_store_b32 v[4:5], v91, off offset:84
	s_wait_loadcnt 0x0
	global_store_b32 v[96:97], v95, off
.LBB80_455:
	s_wait_xcnt 0x0
	s_or_b32 exec_lo, exec_lo, s12
	v_dual_mov_b32 v96, v90 :: v_dual_mov_b32 v95, v90
.LBB80_456:
	s_or_b32 exec_lo, exec_lo, s1
.LBB80_457:
	s_and_not1_saveexec_b32 s0, s0
	s_cbranch_execz .LBB80_459
; %bb.458:
	v_dual_mov_b32 v90, v58 :: v_dual_mov_b32 v91, v59
	v_dual_mov_b32 v96, v54 :: v_dual_mov_b32 v97, v55
	ds_store_2addr_b64 v92, v[90:91], v[96:97] offset0:22 offset1:23
	v_dual_mov_b32 v90, v52 :: v_dual_mov_b32 v91, v53
	v_dual_mov_b32 v96, v48 :: v_dual_mov_b32 v97, v49
	ds_store_2addr_b64 v92, v[90:91], v[96:97] offset0:24 offset1:25
	;; [unrolled: 3-line block ×9, first 2 shown]
	ds_store_b64 v92, v[86:87] offset:320
	v_mov_b32_e32 v96, 21
.LBB80_459:
	s_or_b32 exec_lo, exec_lo, s0
	s_delay_alu instid0(SALU_CYCLE_1)
	s_mov_b32 s0, exec_lo
	s_wait_storecnt_dscnt 0x0
	s_barrier_signal -1
	s_barrier_wait -1
	v_cmpx_lt_i32_e32 21, v96
	s_cbranch_execz .LBB80_461
; %bb.460:
	v_pk_mul_f32 v[98:99], v[88:89], v[56:57] op_sel:[1,1] op_sel_hi:[0,1]
	s_delay_alu instid0(VALU_DEP_1)
	v_pk_fma_f32 v[90:91], v[88:89], v[56:57], v[98:99] op_sel_hi:[1,0,1] neg_lo:[0,0,1] neg_hi:[0,0,1]
	v_pk_fma_f32 v[88:89], v[88:89], v[56:57], v[98:99] op_sel_hi:[1,0,1]
	ds_load_2addr_b64 v[98:101], v92 offset0:22 offset1:23
	v_dual_mov_b32 v56, v90 :: v_dual_mov_b32 v57, v89
	s_wait_dscnt 0x0
	v_pk_mul_f32 v[102:103], v[98:99], v[88:89] op_sel:[0,1]
	s_delay_alu instid0(VALU_DEP_1) | instskip(SKIP_1) | instid1(VALU_DEP_1)
	v_pk_fma_f32 v[104:105], v[98:99], v[90:91], v[102:103] op_sel:[0,0,1] op_sel_hi:[1,1,0] neg_lo:[0,0,1] neg_hi:[0,0,1]
	v_pk_fma_f32 v[98:99], v[98:99], v[90:91], v[102:103] op_sel:[0,0,1] op_sel_hi:[1,0,0]
	v_mov_b32_e32 v105, v99
	v_pk_mul_f32 v[98:99], v[100:101], v[88:89] op_sel:[0,1]
	s_delay_alu instid0(VALU_DEP_1) | instskip(SKIP_1) | instid1(VALU_DEP_1)
	v_pk_fma_f32 v[102:103], v[100:101], v[90:91], v[98:99] op_sel:[0,0,1] op_sel_hi:[1,1,0] neg_lo:[0,0,1] neg_hi:[0,0,1]
	v_pk_fma_f32 v[98:99], v[100:101], v[90:91], v[98:99] op_sel:[0,0,1] op_sel_hi:[1,0,0]
	v_mov_b32_e32 v103, v99
	ds_load_2addr_b64 v[98:101], v92 offset0:24 offset1:25
	v_pk_add_f32 v[58:59], v[58:59], v[104:105] neg_lo:[0,1] neg_hi:[0,1]
	v_pk_add_f32 v[54:55], v[54:55], v[102:103] neg_lo:[0,1] neg_hi:[0,1]
	s_wait_dscnt 0x0
	v_pk_mul_f32 v[102:103], v[98:99], v[88:89] op_sel:[0,1]
	s_delay_alu instid0(VALU_DEP_1) | instskip(SKIP_2) | instid1(VALU_DEP_2)
	v_pk_fma_f32 v[104:105], v[98:99], v[90:91], v[102:103] op_sel:[0,0,1] op_sel_hi:[1,1,0] neg_lo:[0,0,1] neg_hi:[0,0,1]
	v_pk_fma_f32 v[98:99], v[98:99], v[90:91], v[102:103] op_sel:[0,0,1] op_sel_hi:[1,0,0]
	v_dual_mul_f32 v102, v101, v89 :: v_dual_mov_b32 v98, v101
	v_dual_mov_b32 v105, v99 :: v_dual_mov_b32 v99, v100
	s_delay_alu instid0(VALU_DEP_2) | instskip(SKIP_1) | instid1(VALU_DEP_3)
	v_pk_fma_f32 v[102:103], v[100:101], v[56:57], v[102:103] op_sel_hi:[1,1,0] neg_lo:[0,0,1] neg_hi:[0,0,1]
	v_mul_f32_e32 v100, v101, v90
	v_pk_add_f32 v[52:53], v[52:53], v[104:105] neg_lo:[0,1] neg_hi:[0,1]
	s_delay_alu instid0(VALU_DEP_2) | instskip(NEXT) | instid1(VALU_DEP_1)
	v_pk_fma_f32 v[98:99], v[98:99], v[56:57], v[100:101] op_sel_hi:[1,1,0]
	v_mov_b32_e32 v103, v99
	ds_load_2addr_b64 v[98:101], v92 offset0:26 offset1:27
	v_pk_add_f32 v[48:49], v[48:49], v[102:103] neg_lo:[0,1] neg_hi:[0,1]
	s_wait_dscnt 0x0
	v_pk_mul_f32 v[102:103], v[98:99], v[88:89] op_sel:[0,1]
	s_delay_alu instid0(VALU_DEP_1) | instskip(SKIP_1) | instid1(VALU_DEP_1)
	v_pk_fma_f32 v[104:105], v[98:99], v[90:91], v[102:103] op_sel:[0,0,1] op_sel_hi:[1,1,0] neg_lo:[0,0,1] neg_hi:[0,0,1]
	v_pk_fma_f32 v[98:99], v[98:99], v[90:91], v[102:103] op_sel:[0,0,1] op_sel_hi:[1,0,0]
	v_mov_b32_e32 v105, v99
	v_pk_mul_f32 v[98:99], v[100:101], v[88:89] op_sel:[0,1]
	s_delay_alu instid0(VALU_DEP_1) | instskip(SKIP_1) | instid1(VALU_DEP_1)
	v_pk_fma_f32 v[102:103], v[100:101], v[90:91], v[98:99] op_sel:[0,0,1] op_sel_hi:[1,1,0] neg_lo:[0,0,1] neg_hi:[0,0,1]
	v_pk_fma_f32 v[98:99], v[100:101], v[90:91], v[98:99] op_sel:[0,0,1] op_sel_hi:[1,0,0]
	v_mov_b32_e32 v103, v99
	ds_load_2addr_b64 v[98:101], v92 offset0:28 offset1:29
	v_pk_add_f32 v[50:51], v[50:51], v[104:105] neg_lo:[0,1] neg_hi:[0,1]
	v_pk_add_f32 v[46:47], v[46:47], v[102:103] neg_lo:[0,1] neg_hi:[0,1]
	s_wait_dscnt 0x0
	v_pk_mul_f32 v[102:103], v[98:99], v[88:89] op_sel:[0,1]
	s_delay_alu instid0(VALU_DEP_1) | instskip(SKIP_1) | instid1(VALU_DEP_1)
	v_pk_fma_f32 v[104:105], v[98:99], v[90:91], v[102:103] op_sel:[0,0,1] op_sel_hi:[1,1,0] neg_lo:[0,0,1] neg_hi:[0,0,1]
	v_pk_fma_f32 v[98:99], v[98:99], v[90:91], v[102:103] op_sel:[0,0,1] op_sel_hi:[1,0,0]
	v_mov_b32_e32 v105, v99
	v_pk_mul_f32 v[98:99], v[100:101], v[88:89] op_sel:[0,1]
	s_delay_alu instid0(VALU_DEP_1) | instskip(SKIP_1) | instid1(VALU_DEP_1)
	v_pk_fma_f32 v[102:103], v[100:101], v[90:91], v[98:99] op_sel:[0,0,1] op_sel_hi:[1,1,0] neg_lo:[0,0,1] neg_hi:[0,0,1]
	v_pk_fma_f32 v[98:99], v[100:101], v[90:91], v[98:99] op_sel:[0,0,1] op_sel_hi:[1,0,0]
	v_mov_b32_e32 v103, v99
	ds_load_2addr_b64 v[98:101], v92 offset0:30 offset1:31
	v_pk_add_f32 v[42:43], v[42:43], v[104:105] neg_lo:[0,1] neg_hi:[0,1]
	v_pk_add_f32 v[38:39], v[38:39], v[102:103] neg_lo:[0,1] neg_hi:[0,1]
	s_wait_dscnt 0x0
	v_dual_mul_f32 v102, v99, v89 :: v_dual_mul_f32 v104, v99, v90
	s_delay_alu instid0(VALU_DEP_1) | instskip(NEXT) | instid1(VALU_DEP_2)
	v_pk_fma_f32 v[102:103], v[98:99], v[56:57], v[102:103] op_sel_hi:[1,1,0] neg_lo:[0,0,1] neg_hi:[0,0,1]
	v_pk_fma_f32 v[98:99], v[98:99], v[56:57], v[104:105] op_sel:[1,0,0] op_sel_hi:[0,1,0]
	s_delay_alu instid0(VALU_DEP_1) | instskip(SKIP_1) | instid1(VALU_DEP_2)
	v_mov_b32_e32 v103, v99
	v_pk_mul_f32 v[98:99], v[100:101], v[88:89] op_sel:[0,1]
	v_pk_add_f32 v[40:41], v[40:41], v[102:103] neg_lo:[0,1] neg_hi:[0,1]
	s_delay_alu instid0(VALU_DEP_2) | instskip(SKIP_1) | instid1(VALU_DEP_1)
	v_pk_fma_f32 v[102:103], v[100:101], v[90:91], v[98:99] op_sel:[0,0,1] op_sel_hi:[1,1,0] neg_lo:[0,0,1] neg_hi:[0,0,1]
	v_pk_fma_f32 v[98:99], v[100:101], v[90:91], v[98:99] op_sel:[0,0,1] op_sel_hi:[1,0,0]
	v_mov_b32_e32 v103, v99
	ds_load_2addr_b64 v[98:101], v92 offset0:32 offset1:33
	v_pk_add_f32 v[36:37], v[36:37], v[102:103] neg_lo:[0,1] neg_hi:[0,1]
	s_wait_dscnt 0x0
	v_pk_mul_f32 v[102:103], v[98:99], v[88:89] op_sel:[0,1]
	s_delay_alu instid0(VALU_DEP_1) | instskip(SKIP_1) | instid1(VALU_DEP_1)
	v_pk_fma_f32 v[104:105], v[98:99], v[90:91], v[102:103] op_sel:[0,0,1] op_sel_hi:[1,1,0] neg_lo:[0,0,1] neg_hi:[0,0,1]
	v_pk_fma_f32 v[98:99], v[98:99], v[90:91], v[102:103] op_sel:[0,0,1] op_sel_hi:[1,0,0]
	v_mov_b32_e32 v105, v99
	v_pk_mul_f32 v[98:99], v[100:101], v[88:89] op_sel:[0,1]
	s_delay_alu instid0(VALU_DEP_2) | instskip(NEXT) | instid1(VALU_DEP_2)
	v_pk_add_f32 v[14:15], v[14:15], v[104:105] neg_lo:[0,1] neg_hi:[0,1]
	v_pk_fma_f32 v[102:103], v[100:101], v[90:91], v[98:99] op_sel:[0,0,1] op_sel_hi:[1,1,0] neg_lo:[0,0,1] neg_hi:[0,0,1]
	v_pk_fma_f32 v[98:99], v[100:101], v[90:91], v[98:99] op_sel:[0,0,1] op_sel_hi:[1,0,0]
	s_delay_alu instid0(VALU_DEP_1) | instskip(SKIP_4) | instid1(VALU_DEP_1)
	v_mov_b32_e32 v103, v99
	ds_load_2addr_b64 v[98:101], v92 offset0:34 offset1:35
	v_pk_add_f32 v[10:11], v[10:11], v[102:103] neg_lo:[0,1] neg_hi:[0,1]
	s_wait_dscnt 0x0
	v_pk_mul_f32 v[102:103], v[98:99], v[88:89] op_sel:[0,1]
	v_pk_fma_f32 v[104:105], v[98:99], v[90:91], v[102:103] op_sel:[0,0,1] op_sel_hi:[1,1,0] neg_lo:[0,0,1] neg_hi:[0,0,1]
	v_pk_fma_f32 v[98:99], v[98:99], v[90:91], v[102:103] op_sel:[0,0,1] op_sel_hi:[1,0,0]
	v_dual_mul_f32 v102, v101, v89 :: v_dual_mov_b32 v98, v101
	s_delay_alu instid0(VALU_DEP_2) | instskip(NEXT) | instid1(VALU_DEP_2)
	v_dual_mov_b32 v105, v99 :: v_dual_mov_b32 v99, v100
	v_pk_fma_f32 v[102:103], v[100:101], v[56:57], v[102:103] op_sel_hi:[1,1,0] neg_lo:[0,0,1] neg_hi:[0,0,1]
	v_mul_f32_e32 v100, v101, v90
	s_delay_alu instid0(VALU_DEP_3) | instskip(NEXT) | instid1(VALU_DEP_2)
	v_pk_add_f32 v[12:13], v[12:13], v[104:105] neg_lo:[0,1] neg_hi:[0,1]
	v_pk_fma_f32 v[98:99], v[98:99], v[56:57], v[100:101] op_sel_hi:[1,1,0]
	s_delay_alu instid0(VALU_DEP_1) | instskip(SKIP_4) | instid1(VALU_DEP_1)
	v_mov_b32_e32 v103, v99
	ds_load_2addr_b64 v[98:101], v92 offset0:36 offset1:37
	v_pk_add_f32 v[8:9], v[8:9], v[102:103] neg_lo:[0,1] neg_hi:[0,1]
	s_wait_dscnt 0x0
	v_pk_mul_f32 v[102:103], v[98:99], v[88:89] op_sel:[0,1]
	v_pk_fma_f32 v[104:105], v[98:99], v[90:91], v[102:103] op_sel:[0,0,1] op_sel_hi:[1,1,0] neg_lo:[0,0,1] neg_hi:[0,0,1]
	v_pk_fma_f32 v[98:99], v[98:99], v[90:91], v[102:103] op_sel:[0,0,1] op_sel_hi:[1,0,0]
	s_delay_alu instid0(VALU_DEP_1) | instskip(SKIP_1) | instid1(VALU_DEP_1)
	v_mov_b32_e32 v105, v99
	v_pk_mul_f32 v[98:99], v[100:101], v[88:89] op_sel:[0,1]
	v_pk_fma_f32 v[102:103], v[100:101], v[90:91], v[98:99] op_sel:[0,0,1] op_sel_hi:[1,1,0] neg_lo:[0,0,1] neg_hi:[0,0,1]
	v_pk_fma_f32 v[98:99], v[100:101], v[90:91], v[98:99] op_sel:[0,0,1] op_sel_hi:[1,0,0]
	s_delay_alu instid0(VALU_DEP_1)
	v_mov_b32_e32 v103, v99
	ds_load_2addr_b64 v[98:101], v92 offset0:38 offset1:39
	v_pk_add_f32 v[6:7], v[6:7], v[104:105] neg_lo:[0,1] neg_hi:[0,1]
	v_pk_add_f32 v[44:45], v[44:45], v[102:103] neg_lo:[0,1] neg_hi:[0,1]
	s_wait_dscnt 0x0
	v_pk_mul_f32 v[102:103], v[98:99], v[88:89] op_sel:[0,1]
	s_delay_alu instid0(VALU_DEP_1) | instskip(SKIP_1) | instid1(VALU_DEP_1)
	v_pk_fma_f32 v[104:105], v[98:99], v[90:91], v[102:103] op_sel:[0,0,1] op_sel_hi:[1,1,0] neg_lo:[0,0,1] neg_hi:[0,0,1]
	v_pk_fma_f32 v[98:99], v[98:99], v[90:91], v[102:103] op_sel:[0,0,1] op_sel_hi:[1,0,0]
	v_mov_b32_e32 v105, v99
	v_pk_mul_f32 v[98:99], v[100:101], v[88:89] op_sel:[0,1]
	s_delay_alu instid0(VALU_DEP_1) | instskip(SKIP_1) | instid1(VALU_DEP_1)
	v_pk_fma_f32 v[102:103], v[100:101], v[90:91], v[98:99] op_sel:[0,0,1] op_sel_hi:[1,1,0] neg_lo:[0,0,1] neg_hi:[0,0,1]
	v_pk_fma_f32 v[98:99], v[100:101], v[90:91], v[98:99] op_sel:[0,0,1] op_sel_hi:[1,0,0]
	v_mov_b32_e32 v103, v99
	ds_load_b64 v[98:99], v92 offset:320
	v_pk_add_f32 v[22:23], v[22:23], v[104:105] neg_lo:[0,1] neg_hi:[0,1]
	v_pk_add_f32 v[16:17], v[16:17], v[102:103] neg_lo:[0,1] neg_hi:[0,1]
	s_wait_dscnt 0x0
	v_pk_mul_f32 v[88:89], v[98:99], v[88:89] op_sel:[0,1]
	s_delay_alu instid0(VALU_DEP_1) | instskip(SKIP_1) | instid1(VALU_DEP_1)
	v_pk_fma_f32 v[100:101], v[98:99], v[90:91], v[88:89] op_sel:[0,0,1] op_sel_hi:[1,1,0] neg_lo:[0,0,1] neg_hi:[0,0,1]
	v_pk_fma_f32 v[88:89], v[98:99], v[90:91], v[88:89] op_sel:[0,0,1] op_sel_hi:[1,0,0]
	v_mov_b32_e32 v101, v89
	s_delay_alu instid0(VALU_DEP_1)
	v_pk_add_f32 v[86:87], v[86:87], v[100:101] neg_lo:[0,1] neg_hi:[0,1]
.LBB80_461:
	s_or_b32 exec_lo, exec_lo, s0
	v_lshl_add_u32 v88, v96, 3, v92
	s_barrier_signal -1
	s_barrier_wait -1
	ds_store_b64 v88, v[58:59]
	s_wait_dscnt 0x0
	s_barrier_signal -1
	s_barrier_wait -1
	ds_load_b64 v[88:89], v92 offset:176
	v_mov_b32_e32 v90, 22
	s_cmp_lt_i32 s18, 24
	s_cbranch_scc1 .LBB80_464
; %bb.462:
	v_add3_u32 v91, v93, 0, 0xb8
	v_mov_b32_e32 v90, 22
	s_mov_b32 s0, 23
.LBB80_463:                             ; =>This Inner Loop Header: Depth=1
	ds_load_b64 v[98:99], v91
	s_wait_dscnt 0x1
	v_cmp_gt_f32_e32 vcc_lo, 0, v88
	v_cndmask_b32_e64 v100, v88, -v88, vcc_lo
	v_cmp_gt_f32_e32 vcc_lo, 0, v89
	v_cndmask_b32_e64 v102, v89, -v89, vcc_lo
	s_wait_dscnt 0x0
	v_cmp_gt_f32_e32 vcc_lo, 0, v98
	v_cndmask_b32_e64 v101, v98, -v98, vcc_lo
	v_cmp_gt_f32_e32 vcc_lo, 0, v99
	v_cndmask_b32_e64 v103, v99, -v99, vcc_lo
	s_delay_alu instid0(VALU_DEP_1) | instskip(NEXT) | instid1(VALU_DEP_1)
	v_pk_add_f32 v[100:101], v[100:101], v[102:103]
	v_cmp_lt_f32_e32 vcc_lo, v100, v101
	v_dual_cndmask_b32 v88, v88, v98 :: v_dual_add_nc_u32 v91, 8, v91
	v_cndmask_b32_e32 v89, v89, v99, vcc_lo
	v_cndmask_b32_e64 v90, v90, s0, vcc_lo
	s_add_co_i32 s0, s0, 1
	s_delay_alu instid0(SALU_CYCLE_1)
	s_cmp_lg_u32 s18, s0
	s_cbranch_scc1 .LBB80_463
.LBB80_464:
	s_wait_dscnt 0x0
	v_cmp_eq_f32_e32 vcc_lo, 0, v88
	v_cmp_eq_f32_e64 s0, 0, v89
	s_and_b32 s0, vcc_lo, s0
	s_delay_alu instid0(SALU_CYCLE_1) | instskip(NEXT) | instid1(SALU_CYCLE_1)
	s_and_saveexec_b32 s1, s0
	s_xor_b32 s0, exec_lo, s1
; %bb.465:
	v_cmp_ne_u32_e32 vcc_lo, 0, v94
	v_cndmask_b32_e32 v94, 23, v94, vcc_lo
; %bb.466:
	s_and_not1_saveexec_b32 s0, s0
	s_cbranch_execz .LBB80_472
; %bb.467:
	v_cmp_ngt_f32_e64 s1, |v88|, |v89|
	s_and_saveexec_b32 s12, s1
	s_delay_alu instid0(SALU_CYCLE_1)
	s_xor_b32 s1, exec_lo, s12
	s_cbranch_execz .LBB80_469
; %bb.468:
	v_div_scale_f32 v91, null, v89, v89, v88
	v_div_scale_f32 v99, vcc_lo, v88, v89, v88
	s_delay_alu instid0(VALU_DEP_2) | instskip(SKIP_1) | instid1(TRANS32_DEP_1)
	v_rcp_f32_e32 v97, v91
	v_nop
	v_fma_f32 v98, -v91, v97, 1.0
	s_delay_alu instid0(VALU_DEP_1) | instskip(NEXT) | instid1(VALU_DEP_1)
	v_fmac_f32_e32 v97, v98, v97
	v_mul_f32_e32 v98, v99, v97
	s_delay_alu instid0(VALU_DEP_1) | instskip(NEXT) | instid1(VALU_DEP_1)
	v_fma_f32 v100, -v91, v98, v99
	v_fmac_f32_e32 v98, v100, v97
	s_delay_alu instid0(VALU_DEP_1) | instskip(NEXT) | instid1(VALU_DEP_1)
	v_fma_f32 v91, -v91, v98, v99
	v_div_fmas_f32 v91, v91, v97, v98
	s_delay_alu instid0(VALU_DEP_1) | instskip(NEXT) | instid1(VALU_DEP_1)
	v_div_fixup_f32 v91, v91, v89, v88
	v_fmac_f32_e32 v89, v88, v91
	s_delay_alu instid0(VALU_DEP_1) | instskip(SKIP_1) | instid1(VALU_DEP_2)
	v_div_scale_f32 v88, null, v89, v89, 1.0
	v_div_scale_f32 v99, vcc_lo, 1.0, v89, 1.0
	v_rcp_f32_e32 v97, v88
	v_nop
	s_delay_alu instid0(TRANS32_DEP_1) | instskip(NEXT) | instid1(VALU_DEP_1)
	v_fma_f32 v98, -v88, v97, 1.0
	v_fmac_f32_e32 v97, v98, v97
	s_delay_alu instid0(VALU_DEP_1) | instskip(NEXT) | instid1(VALU_DEP_1)
	v_mul_f32_e32 v98, v99, v97
	v_fma_f32 v100, -v88, v98, v99
	s_delay_alu instid0(VALU_DEP_1) | instskip(NEXT) | instid1(VALU_DEP_1)
	v_fmac_f32_e32 v98, v100, v97
	v_fma_f32 v88, -v88, v98, v99
	s_delay_alu instid0(VALU_DEP_1) | instskip(NEXT) | instid1(VALU_DEP_1)
	v_div_fmas_f32 v88, v88, v97, v98
	v_div_fixup_f32 v89, v88, v89, 1.0
	s_delay_alu instid0(VALU_DEP_1)
	v_mul_f32_e32 v88, v91, v89
	v_xor_b32_e32 v89, 0x80000000, v89
.LBB80_469:
	s_and_not1_saveexec_b32 s1, s1
	s_cbranch_execz .LBB80_471
; %bb.470:
	s_delay_alu instid0(VALU_DEP_1) | instskip(SKIP_1) | instid1(VALU_DEP_2)
	v_div_scale_f32 v91, null, v88, v88, v89
	v_div_scale_f32 v99, vcc_lo, v89, v88, v89
	v_rcp_f32_e32 v97, v91
	v_nop
	s_delay_alu instid0(TRANS32_DEP_1) | instskip(NEXT) | instid1(VALU_DEP_1)
	v_fma_f32 v98, -v91, v97, 1.0
	v_fmac_f32_e32 v97, v98, v97
	s_delay_alu instid0(VALU_DEP_1) | instskip(NEXT) | instid1(VALU_DEP_1)
	v_mul_f32_e32 v98, v99, v97
	v_fma_f32 v100, -v91, v98, v99
	s_delay_alu instid0(VALU_DEP_1) | instskip(NEXT) | instid1(VALU_DEP_1)
	v_fmac_f32_e32 v98, v100, v97
	v_fma_f32 v91, -v91, v98, v99
	s_delay_alu instid0(VALU_DEP_1) | instskip(NEXT) | instid1(VALU_DEP_1)
	v_div_fmas_f32 v91, v91, v97, v98
	v_div_fixup_f32 v91, v91, v88, v89
	s_delay_alu instid0(VALU_DEP_1) | instskip(NEXT) | instid1(VALU_DEP_1)
	v_fmac_f32_e32 v88, v89, v91
	v_div_scale_f32 v89, null, v88, v88, 1.0
	s_delay_alu instid0(VALU_DEP_1) | instskip(SKIP_1) | instid1(TRANS32_DEP_1)
	v_rcp_f32_e32 v97, v89
	v_nop
	v_fma_f32 v98, -v89, v97, 1.0
	s_delay_alu instid0(VALU_DEP_1) | instskip(SKIP_1) | instid1(VALU_DEP_1)
	v_fmac_f32_e32 v97, v98, v97
	v_div_scale_f32 v98, vcc_lo, 1.0, v88, 1.0
	v_mul_f32_e32 v99, v98, v97
	s_delay_alu instid0(VALU_DEP_1) | instskip(NEXT) | instid1(VALU_DEP_1)
	v_fma_f32 v100, -v89, v99, v98
	v_fmac_f32_e32 v99, v100, v97
	s_delay_alu instid0(VALU_DEP_1) | instskip(NEXT) | instid1(VALU_DEP_1)
	v_fma_f32 v89, -v89, v99, v98
	v_div_fmas_f32 v89, v89, v97, v99
	s_delay_alu instid0(VALU_DEP_1) | instskip(NEXT) | instid1(VALU_DEP_1)
	v_div_fixup_f32 v88, v89, v88, 1.0
	v_mul_f32_e64 v89, v91, -v88
.LBB80_471:
	s_or_b32 exec_lo, exec_lo, s1
.LBB80_472:
	s_delay_alu instid0(SALU_CYCLE_1) | instskip(NEXT) | instid1(SALU_CYCLE_1)
	s_or_b32 exec_lo, exec_lo, s0
	s_mov_b32 s0, exec_lo
	v_cmpx_ne_u32_e64 v96, v90
	s_xor_b32 s0, exec_lo, s0
	s_cbranch_execz .LBB80_478
; %bb.473:
	s_mov_b32 s1, exec_lo
	v_cmpx_eq_u32_e32 22, v96
	s_cbranch_execz .LBB80_477
; %bb.474:
	v_cmp_ne_u32_e32 vcc_lo, 22, v90
	s_xor_b32 s12, s16, -1
	s_delay_alu instid0(SALU_CYCLE_1) | instskip(NEXT) | instid1(SALU_CYCLE_1)
	s_and_b32 s13, s12, vcc_lo
	s_and_saveexec_b32 s12, s13
	s_cbranch_execz .LBB80_476
; %bb.475:
	v_ashrrev_i32_e32 v91, 31, v90
	s_delay_alu instid0(VALU_DEP_1)
	v_lshl_add_u64 v[96:97], v[90:91], 2, v[4:5]
	s_clause 0x1
	global_load_b32 v91, v[96:97], off
	global_load_b32 v95, v[4:5], off offset:88
	s_wait_loadcnt 0x1
	global_store_b32 v[4:5], v91, off offset:88
	s_wait_loadcnt 0x0
	global_store_b32 v[96:97], v95, off
.LBB80_476:
	s_wait_xcnt 0x0
	s_or_b32 exec_lo, exec_lo, s12
	v_dual_mov_b32 v96, v90 :: v_dual_mov_b32 v95, v90
.LBB80_477:
	s_or_b32 exec_lo, exec_lo, s1
.LBB80_478:
	s_and_not1_saveexec_b32 s0, s0
	s_cbranch_execz .LBB80_480
; %bb.479:
	v_mov_b32_e32 v96, 22
	ds_store_2addr_b64 v92, v[54:55], v[52:53] offset0:23 offset1:24
	ds_store_2addr_b64 v92, v[48:49], v[50:51] offset0:25 offset1:26
	;; [unrolled: 1-line block ×9, first 2 shown]
.LBB80_480:
	s_or_b32 exec_lo, exec_lo, s0
	s_delay_alu instid0(SALU_CYCLE_1)
	s_mov_b32 s0, exec_lo
	s_wait_storecnt_dscnt 0x0
	s_barrier_signal -1
	s_barrier_wait -1
	v_cmpx_lt_i32_e32 22, v96
	s_cbranch_execz .LBB80_482
; %bb.481:
	v_pk_mul_f32 v[98:99], v[88:89], v[58:59] op_sel:[1,1] op_sel_hi:[0,1]
	s_delay_alu instid0(VALU_DEP_1)
	v_pk_fma_f32 v[90:91], v[88:89], v[58:59], v[98:99] op_sel_hi:[1,0,1] neg_lo:[0,0,1] neg_hi:[0,0,1]
	v_pk_fma_f32 v[88:89], v[88:89], v[58:59], v[98:99] op_sel_hi:[1,0,1]
	ds_load_2addr_b64 v[98:101], v92 offset0:23 offset1:24
	v_dual_mov_b32 v58, v90 :: v_dual_mov_b32 v59, v89
	s_wait_dscnt 0x0
	v_pk_mul_f32 v[102:103], v[98:99], v[88:89] op_sel:[0,1]
	s_delay_alu instid0(VALU_DEP_1) | instskip(SKIP_1) | instid1(VALU_DEP_1)
	v_pk_fma_f32 v[104:105], v[98:99], v[90:91], v[102:103] op_sel:[0,0,1] op_sel_hi:[1,1,0] neg_lo:[0,0,1] neg_hi:[0,0,1]
	v_pk_fma_f32 v[98:99], v[98:99], v[90:91], v[102:103] op_sel:[0,0,1] op_sel_hi:[1,0,0]
	v_mov_b32_e32 v105, v99
	v_pk_mul_f32 v[98:99], v[100:101], v[88:89] op_sel:[0,1]
	s_delay_alu instid0(VALU_DEP_1) | instskip(SKIP_1) | instid1(VALU_DEP_1)
	v_pk_fma_f32 v[102:103], v[100:101], v[90:91], v[98:99] op_sel:[0,0,1] op_sel_hi:[1,1,0] neg_lo:[0,0,1] neg_hi:[0,0,1]
	v_pk_fma_f32 v[98:99], v[100:101], v[90:91], v[98:99] op_sel:[0,0,1] op_sel_hi:[1,0,0]
	v_mov_b32_e32 v103, v99
	ds_load_2addr_b64 v[98:101], v92 offset0:25 offset1:26
	v_pk_add_f32 v[54:55], v[54:55], v[104:105] neg_lo:[0,1] neg_hi:[0,1]
	v_pk_add_f32 v[52:53], v[52:53], v[102:103] neg_lo:[0,1] neg_hi:[0,1]
	s_wait_dscnt 0x0
	v_pk_mul_f32 v[102:103], v[98:99], v[88:89] op_sel:[0,1]
	s_delay_alu instid0(VALU_DEP_1) | instskip(SKIP_2) | instid1(VALU_DEP_2)
	v_pk_fma_f32 v[104:105], v[98:99], v[90:91], v[102:103] op_sel:[0,0,1] op_sel_hi:[1,1,0] neg_lo:[0,0,1] neg_hi:[0,0,1]
	v_pk_fma_f32 v[98:99], v[98:99], v[90:91], v[102:103] op_sel:[0,0,1] op_sel_hi:[1,0,0]
	v_dual_mul_f32 v102, v101, v89 :: v_dual_mov_b32 v98, v101
	v_dual_mov_b32 v105, v99 :: v_dual_mov_b32 v99, v100
	s_delay_alu instid0(VALU_DEP_2) | instskip(SKIP_1) | instid1(VALU_DEP_3)
	v_pk_fma_f32 v[102:103], v[100:101], v[58:59], v[102:103] op_sel_hi:[1,1,0] neg_lo:[0,0,1] neg_hi:[0,0,1]
	v_mul_f32_e32 v100, v101, v90
	v_pk_add_f32 v[48:49], v[48:49], v[104:105] neg_lo:[0,1] neg_hi:[0,1]
	s_delay_alu instid0(VALU_DEP_2) | instskip(NEXT) | instid1(VALU_DEP_1)
	v_pk_fma_f32 v[98:99], v[98:99], v[58:59], v[100:101] op_sel_hi:[1,1,0]
	v_mov_b32_e32 v103, v99
	ds_load_2addr_b64 v[98:101], v92 offset0:27 offset1:28
	v_pk_add_f32 v[50:51], v[50:51], v[102:103] neg_lo:[0,1] neg_hi:[0,1]
	s_wait_dscnt 0x0
	v_pk_mul_f32 v[102:103], v[98:99], v[88:89] op_sel:[0,1]
	s_delay_alu instid0(VALU_DEP_1) | instskip(SKIP_1) | instid1(VALU_DEP_1)
	v_pk_fma_f32 v[104:105], v[98:99], v[90:91], v[102:103] op_sel:[0,0,1] op_sel_hi:[1,1,0] neg_lo:[0,0,1] neg_hi:[0,0,1]
	v_pk_fma_f32 v[98:99], v[98:99], v[90:91], v[102:103] op_sel:[0,0,1] op_sel_hi:[1,0,0]
	v_mov_b32_e32 v105, v99
	v_pk_mul_f32 v[98:99], v[100:101], v[88:89] op_sel:[0,1]
	s_delay_alu instid0(VALU_DEP_1) | instskip(SKIP_1) | instid1(VALU_DEP_1)
	v_pk_fma_f32 v[102:103], v[100:101], v[90:91], v[98:99] op_sel:[0,0,1] op_sel_hi:[1,1,0] neg_lo:[0,0,1] neg_hi:[0,0,1]
	v_pk_fma_f32 v[98:99], v[100:101], v[90:91], v[98:99] op_sel:[0,0,1] op_sel_hi:[1,0,0]
	v_mov_b32_e32 v103, v99
	ds_load_2addr_b64 v[98:101], v92 offset0:29 offset1:30
	v_pk_add_f32 v[46:47], v[46:47], v[104:105] neg_lo:[0,1] neg_hi:[0,1]
	v_pk_add_f32 v[42:43], v[42:43], v[102:103] neg_lo:[0,1] neg_hi:[0,1]
	s_wait_dscnt 0x0
	v_pk_mul_f32 v[102:103], v[98:99], v[88:89] op_sel:[0,1]
	s_delay_alu instid0(VALU_DEP_1) | instskip(SKIP_1) | instid1(VALU_DEP_1)
	v_pk_fma_f32 v[104:105], v[98:99], v[90:91], v[102:103] op_sel:[0,0,1] op_sel_hi:[1,1,0] neg_lo:[0,0,1] neg_hi:[0,0,1]
	v_pk_fma_f32 v[98:99], v[98:99], v[90:91], v[102:103] op_sel:[0,0,1] op_sel_hi:[1,0,0]
	v_mov_b32_e32 v105, v99
	v_pk_mul_f32 v[98:99], v[100:101], v[88:89] op_sel:[0,1]
	s_delay_alu instid0(VALU_DEP_1) | instskip(SKIP_1) | instid1(VALU_DEP_1)
	v_pk_fma_f32 v[102:103], v[100:101], v[90:91], v[98:99] op_sel:[0,0,1] op_sel_hi:[1,1,0] neg_lo:[0,0,1] neg_hi:[0,0,1]
	v_pk_fma_f32 v[98:99], v[100:101], v[90:91], v[98:99] op_sel:[0,0,1] op_sel_hi:[1,0,0]
	v_mov_b32_e32 v103, v99
	ds_load_2addr_b64 v[98:101], v92 offset0:31 offset1:32
	v_pk_add_f32 v[38:39], v[38:39], v[104:105] neg_lo:[0,1] neg_hi:[0,1]
	v_pk_add_f32 v[40:41], v[40:41], v[102:103] neg_lo:[0,1] neg_hi:[0,1]
	s_wait_dscnt 0x0
	v_dual_mul_f32 v102, v99, v89 :: v_dual_mul_f32 v104, v99, v90
	s_delay_alu instid0(VALU_DEP_1) | instskip(NEXT) | instid1(VALU_DEP_2)
	v_pk_fma_f32 v[102:103], v[98:99], v[58:59], v[102:103] op_sel_hi:[1,1,0] neg_lo:[0,0,1] neg_hi:[0,0,1]
	v_pk_fma_f32 v[98:99], v[98:99], v[58:59], v[104:105] op_sel:[1,0,0] op_sel_hi:[0,1,0]
	s_delay_alu instid0(VALU_DEP_1) | instskip(SKIP_1) | instid1(VALU_DEP_2)
	v_mov_b32_e32 v103, v99
	v_pk_mul_f32 v[98:99], v[100:101], v[88:89] op_sel:[0,1]
	v_pk_add_f32 v[36:37], v[36:37], v[102:103] neg_lo:[0,1] neg_hi:[0,1]
	s_delay_alu instid0(VALU_DEP_2) | instskip(SKIP_1) | instid1(VALU_DEP_1)
	v_pk_fma_f32 v[102:103], v[100:101], v[90:91], v[98:99] op_sel:[0,0,1] op_sel_hi:[1,1,0] neg_lo:[0,0,1] neg_hi:[0,0,1]
	v_pk_fma_f32 v[98:99], v[100:101], v[90:91], v[98:99] op_sel:[0,0,1] op_sel_hi:[1,0,0]
	v_mov_b32_e32 v103, v99
	ds_load_2addr_b64 v[98:101], v92 offset0:33 offset1:34
	v_pk_add_f32 v[14:15], v[14:15], v[102:103] neg_lo:[0,1] neg_hi:[0,1]
	s_wait_dscnt 0x0
	v_pk_mul_f32 v[102:103], v[98:99], v[88:89] op_sel:[0,1]
	s_delay_alu instid0(VALU_DEP_1) | instskip(SKIP_1) | instid1(VALU_DEP_1)
	v_pk_fma_f32 v[104:105], v[98:99], v[90:91], v[102:103] op_sel:[0,0,1] op_sel_hi:[1,1,0] neg_lo:[0,0,1] neg_hi:[0,0,1]
	v_pk_fma_f32 v[98:99], v[98:99], v[90:91], v[102:103] op_sel:[0,0,1] op_sel_hi:[1,0,0]
	v_mov_b32_e32 v105, v99
	v_pk_mul_f32 v[98:99], v[100:101], v[88:89] op_sel:[0,1]
	s_delay_alu instid0(VALU_DEP_2) | instskip(NEXT) | instid1(VALU_DEP_2)
	v_pk_add_f32 v[10:11], v[10:11], v[104:105] neg_lo:[0,1] neg_hi:[0,1]
	v_pk_fma_f32 v[102:103], v[100:101], v[90:91], v[98:99] op_sel:[0,0,1] op_sel_hi:[1,1,0] neg_lo:[0,0,1] neg_hi:[0,0,1]
	v_pk_fma_f32 v[98:99], v[100:101], v[90:91], v[98:99] op_sel:[0,0,1] op_sel_hi:[1,0,0]
	s_delay_alu instid0(VALU_DEP_1) | instskip(SKIP_4) | instid1(VALU_DEP_1)
	v_mov_b32_e32 v103, v99
	ds_load_2addr_b64 v[98:101], v92 offset0:35 offset1:36
	v_pk_add_f32 v[12:13], v[12:13], v[102:103] neg_lo:[0,1] neg_hi:[0,1]
	s_wait_dscnt 0x0
	v_pk_mul_f32 v[102:103], v[98:99], v[88:89] op_sel:[0,1]
	v_pk_fma_f32 v[104:105], v[98:99], v[90:91], v[102:103] op_sel:[0,0,1] op_sel_hi:[1,1,0] neg_lo:[0,0,1] neg_hi:[0,0,1]
	v_pk_fma_f32 v[98:99], v[98:99], v[90:91], v[102:103] op_sel:[0,0,1] op_sel_hi:[1,0,0]
	v_dual_mul_f32 v102, v101, v89 :: v_dual_mov_b32 v98, v101
	s_delay_alu instid0(VALU_DEP_2) | instskip(NEXT) | instid1(VALU_DEP_2)
	v_dual_mov_b32 v105, v99 :: v_dual_mov_b32 v99, v100
	v_pk_fma_f32 v[102:103], v[100:101], v[58:59], v[102:103] op_sel_hi:[1,1,0] neg_lo:[0,0,1] neg_hi:[0,0,1]
	v_mul_f32_e32 v100, v101, v90
	s_delay_alu instid0(VALU_DEP_3) | instskip(NEXT) | instid1(VALU_DEP_2)
	v_pk_add_f32 v[8:9], v[8:9], v[104:105] neg_lo:[0,1] neg_hi:[0,1]
	v_pk_fma_f32 v[98:99], v[98:99], v[58:59], v[100:101] op_sel_hi:[1,1,0]
	s_delay_alu instid0(VALU_DEP_1) | instskip(SKIP_4) | instid1(VALU_DEP_1)
	v_mov_b32_e32 v103, v99
	ds_load_2addr_b64 v[98:101], v92 offset0:37 offset1:38
	v_pk_add_f32 v[6:7], v[6:7], v[102:103] neg_lo:[0,1] neg_hi:[0,1]
	s_wait_dscnt 0x0
	v_pk_mul_f32 v[102:103], v[98:99], v[88:89] op_sel:[0,1]
	v_pk_fma_f32 v[104:105], v[98:99], v[90:91], v[102:103] op_sel:[0,0,1] op_sel_hi:[1,1,0] neg_lo:[0,0,1] neg_hi:[0,0,1]
	v_pk_fma_f32 v[98:99], v[98:99], v[90:91], v[102:103] op_sel:[0,0,1] op_sel_hi:[1,0,0]
	s_delay_alu instid0(VALU_DEP_1) | instskip(SKIP_1) | instid1(VALU_DEP_1)
	v_mov_b32_e32 v105, v99
	v_pk_mul_f32 v[98:99], v[100:101], v[88:89] op_sel:[0,1]
	v_pk_fma_f32 v[102:103], v[100:101], v[90:91], v[98:99] op_sel:[0,0,1] op_sel_hi:[1,1,0] neg_lo:[0,0,1] neg_hi:[0,0,1]
	v_pk_fma_f32 v[98:99], v[100:101], v[90:91], v[98:99] op_sel:[0,0,1] op_sel_hi:[1,0,0]
	s_delay_alu instid0(VALU_DEP_1)
	v_mov_b32_e32 v103, v99
	ds_load_2addr_b64 v[98:101], v92 offset0:39 offset1:40
	v_pk_add_f32 v[44:45], v[44:45], v[104:105] neg_lo:[0,1] neg_hi:[0,1]
	v_pk_add_f32 v[22:23], v[22:23], v[102:103] neg_lo:[0,1] neg_hi:[0,1]
	s_wait_dscnt 0x0
	v_pk_mul_f32 v[102:103], v[98:99], v[88:89] op_sel:[0,1]
	v_mul_f32_e32 v88, v101, v89
	s_delay_alu instid0(VALU_DEP_2) | instskip(SKIP_2) | instid1(VALU_DEP_4)
	v_pk_fma_f32 v[104:105], v[98:99], v[90:91], v[102:103] op_sel:[0,0,1] op_sel_hi:[1,1,0] neg_lo:[0,0,1] neg_hi:[0,0,1]
	v_pk_fma_f32 v[98:99], v[98:99], v[90:91], v[102:103] op_sel:[0,0,1] op_sel_hi:[1,0,0]
	v_dual_mov_b32 v98, v101 :: v_dual_mul_f32 v90, v101, v90
	v_pk_fma_f32 v[88:89], v[100:101], v[58:59], v[88:89] op_sel_hi:[1,1,0] neg_lo:[0,0,1] neg_hi:[0,0,1]
	s_delay_alu instid0(VALU_DEP_3) | instskip(NEXT) | instid1(VALU_DEP_1)
	v_dual_mov_b32 v105, v99 :: v_dual_mov_b32 v99, v100
	v_pk_add_f32 v[16:17], v[16:17], v[104:105] neg_lo:[0,1] neg_hi:[0,1]
	s_delay_alu instid0(VALU_DEP_2) | instskip(NEXT) | instid1(VALU_DEP_1)
	v_pk_fma_f32 v[90:91], v[98:99], v[58:59], v[90:91] op_sel_hi:[1,1,0]
	v_mov_b32_e32 v89, v91
	s_delay_alu instid0(VALU_DEP_1)
	v_pk_add_f32 v[86:87], v[86:87], v[88:89] neg_lo:[0,1] neg_hi:[0,1]
.LBB80_482:
	s_or_b32 exec_lo, exec_lo, s0
	v_lshl_add_u32 v88, v96, 3, v92
	s_barrier_signal -1
	s_barrier_wait -1
	ds_store_b64 v88, v[54:55]
	s_wait_dscnt 0x0
	s_barrier_signal -1
	s_barrier_wait -1
	ds_load_b64 v[88:89], v92 offset:184
	v_mov_b32_e32 v90, 23
	s_cmp_lt_i32 s18, 25
	s_cbranch_scc1 .LBB80_485
; %bb.483:
	v_add3_u32 v91, v93, 0, 0xc0
	v_mov_b32_e32 v90, 23
	s_mov_b32 s0, 24
.LBB80_484:                             ; =>This Inner Loop Header: Depth=1
	ds_load_b64 v[98:99], v91
	s_wait_dscnt 0x1
	v_cmp_gt_f32_e32 vcc_lo, 0, v88
	v_cndmask_b32_e64 v100, v88, -v88, vcc_lo
	v_cmp_gt_f32_e32 vcc_lo, 0, v89
	v_cndmask_b32_e64 v102, v89, -v89, vcc_lo
	s_wait_dscnt 0x0
	v_cmp_gt_f32_e32 vcc_lo, 0, v98
	v_cndmask_b32_e64 v101, v98, -v98, vcc_lo
	v_cmp_gt_f32_e32 vcc_lo, 0, v99
	v_cndmask_b32_e64 v103, v99, -v99, vcc_lo
	s_delay_alu instid0(VALU_DEP_1) | instskip(NEXT) | instid1(VALU_DEP_1)
	v_pk_add_f32 v[100:101], v[100:101], v[102:103]
	v_cmp_lt_f32_e32 vcc_lo, v100, v101
	v_dual_cndmask_b32 v88, v88, v98 :: v_dual_add_nc_u32 v91, 8, v91
	v_cndmask_b32_e32 v89, v89, v99, vcc_lo
	v_cndmask_b32_e64 v90, v90, s0, vcc_lo
	s_add_co_i32 s0, s0, 1
	s_delay_alu instid0(SALU_CYCLE_1)
	s_cmp_lg_u32 s18, s0
	s_cbranch_scc1 .LBB80_484
.LBB80_485:
	s_wait_dscnt 0x0
	v_cmp_eq_f32_e32 vcc_lo, 0, v88
	v_cmp_eq_f32_e64 s0, 0, v89
	s_and_b32 s0, vcc_lo, s0
	s_delay_alu instid0(SALU_CYCLE_1) | instskip(NEXT) | instid1(SALU_CYCLE_1)
	s_and_saveexec_b32 s1, s0
	s_xor_b32 s0, exec_lo, s1
; %bb.486:
	v_cmp_ne_u32_e32 vcc_lo, 0, v94
	v_cndmask_b32_e32 v94, 24, v94, vcc_lo
; %bb.487:
	s_and_not1_saveexec_b32 s0, s0
	s_cbranch_execz .LBB80_493
; %bb.488:
	v_cmp_ngt_f32_e64 s1, |v88|, |v89|
	s_and_saveexec_b32 s12, s1
	s_delay_alu instid0(SALU_CYCLE_1)
	s_xor_b32 s1, exec_lo, s12
	s_cbranch_execz .LBB80_490
; %bb.489:
	v_div_scale_f32 v91, null, v89, v89, v88
	v_div_scale_f32 v99, vcc_lo, v88, v89, v88
	s_delay_alu instid0(VALU_DEP_2) | instskip(SKIP_1) | instid1(TRANS32_DEP_1)
	v_rcp_f32_e32 v97, v91
	v_nop
	v_fma_f32 v98, -v91, v97, 1.0
	s_delay_alu instid0(VALU_DEP_1) | instskip(NEXT) | instid1(VALU_DEP_1)
	v_fmac_f32_e32 v97, v98, v97
	v_mul_f32_e32 v98, v99, v97
	s_delay_alu instid0(VALU_DEP_1) | instskip(NEXT) | instid1(VALU_DEP_1)
	v_fma_f32 v100, -v91, v98, v99
	v_fmac_f32_e32 v98, v100, v97
	s_delay_alu instid0(VALU_DEP_1) | instskip(NEXT) | instid1(VALU_DEP_1)
	v_fma_f32 v91, -v91, v98, v99
	v_div_fmas_f32 v91, v91, v97, v98
	s_delay_alu instid0(VALU_DEP_1) | instskip(NEXT) | instid1(VALU_DEP_1)
	v_div_fixup_f32 v91, v91, v89, v88
	v_fmac_f32_e32 v89, v88, v91
	s_delay_alu instid0(VALU_DEP_1) | instskip(SKIP_1) | instid1(VALU_DEP_2)
	v_div_scale_f32 v88, null, v89, v89, 1.0
	v_div_scale_f32 v99, vcc_lo, 1.0, v89, 1.0
	v_rcp_f32_e32 v97, v88
	v_nop
	s_delay_alu instid0(TRANS32_DEP_1) | instskip(NEXT) | instid1(VALU_DEP_1)
	v_fma_f32 v98, -v88, v97, 1.0
	v_fmac_f32_e32 v97, v98, v97
	s_delay_alu instid0(VALU_DEP_1) | instskip(NEXT) | instid1(VALU_DEP_1)
	v_mul_f32_e32 v98, v99, v97
	v_fma_f32 v100, -v88, v98, v99
	s_delay_alu instid0(VALU_DEP_1) | instskip(NEXT) | instid1(VALU_DEP_1)
	v_fmac_f32_e32 v98, v100, v97
	v_fma_f32 v88, -v88, v98, v99
	s_delay_alu instid0(VALU_DEP_1) | instskip(NEXT) | instid1(VALU_DEP_1)
	v_div_fmas_f32 v88, v88, v97, v98
	v_div_fixup_f32 v89, v88, v89, 1.0
	s_delay_alu instid0(VALU_DEP_1)
	v_mul_f32_e32 v88, v91, v89
	v_xor_b32_e32 v89, 0x80000000, v89
.LBB80_490:
	s_and_not1_saveexec_b32 s1, s1
	s_cbranch_execz .LBB80_492
; %bb.491:
	s_delay_alu instid0(VALU_DEP_1) | instskip(SKIP_1) | instid1(VALU_DEP_2)
	v_div_scale_f32 v91, null, v88, v88, v89
	v_div_scale_f32 v99, vcc_lo, v89, v88, v89
	v_rcp_f32_e32 v97, v91
	v_nop
	s_delay_alu instid0(TRANS32_DEP_1) | instskip(NEXT) | instid1(VALU_DEP_1)
	v_fma_f32 v98, -v91, v97, 1.0
	v_fmac_f32_e32 v97, v98, v97
	s_delay_alu instid0(VALU_DEP_1) | instskip(NEXT) | instid1(VALU_DEP_1)
	v_mul_f32_e32 v98, v99, v97
	v_fma_f32 v100, -v91, v98, v99
	s_delay_alu instid0(VALU_DEP_1) | instskip(NEXT) | instid1(VALU_DEP_1)
	v_fmac_f32_e32 v98, v100, v97
	v_fma_f32 v91, -v91, v98, v99
	s_delay_alu instid0(VALU_DEP_1) | instskip(NEXT) | instid1(VALU_DEP_1)
	v_div_fmas_f32 v91, v91, v97, v98
	v_div_fixup_f32 v91, v91, v88, v89
	s_delay_alu instid0(VALU_DEP_1) | instskip(NEXT) | instid1(VALU_DEP_1)
	v_fmac_f32_e32 v88, v89, v91
	v_div_scale_f32 v89, null, v88, v88, 1.0
	s_delay_alu instid0(VALU_DEP_1) | instskip(SKIP_1) | instid1(TRANS32_DEP_1)
	v_rcp_f32_e32 v97, v89
	v_nop
	v_fma_f32 v98, -v89, v97, 1.0
	s_delay_alu instid0(VALU_DEP_1) | instskip(SKIP_1) | instid1(VALU_DEP_1)
	v_fmac_f32_e32 v97, v98, v97
	v_div_scale_f32 v98, vcc_lo, 1.0, v88, 1.0
	v_mul_f32_e32 v99, v98, v97
	s_delay_alu instid0(VALU_DEP_1) | instskip(NEXT) | instid1(VALU_DEP_1)
	v_fma_f32 v100, -v89, v99, v98
	v_fmac_f32_e32 v99, v100, v97
	s_delay_alu instid0(VALU_DEP_1) | instskip(NEXT) | instid1(VALU_DEP_1)
	v_fma_f32 v89, -v89, v99, v98
	v_div_fmas_f32 v89, v89, v97, v99
	s_delay_alu instid0(VALU_DEP_1) | instskip(NEXT) | instid1(VALU_DEP_1)
	v_div_fixup_f32 v88, v89, v88, 1.0
	v_mul_f32_e64 v89, v91, -v88
.LBB80_492:
	s_or_b32 exec_lo, exec_lo, s1
.LBB80_493:
	s_delay_alu instid0(SALU_CYCLE_1) | instskip(NEXT) | instid1(SALU_CYCLE_1)
	s_or_b32 exec_lo, exec_lo, s0
	s_mov_b32 s0, exec_lo
	v_cmpx_ne_u32_e64 v96, v90
	s_xor_b32 s0, exec_lo, s0
	s_cbranch_execz .LBB80_499
; %bb.494:
	s_mov_b32 s1, exec_lo
	v_cmpx_eq_u32_e32 23, v96
	s_cbranch_execz .LBB80_498
; %bb.495:
	v_cmp_ne_u32_e32 vcc_lo, 23, v90
	s_xor_b32 s12, s16, -1
	s_delay_alu instid0(SALU_CYCLE_1) | instskip(NEXT) | instid1(SALU_CYCLE_1)
	s_and_b32 s13, s12, vcc_lo
	s_and_saveexec_b32 s12, s13
	s_cbranch_execz .LBB80_497
; %bb.496:
	v_ashrrev_i32_e32 v91, 31, v90
	s_delay_alu instid0(VALU_DEP_1)
	v_lshl_add_u64 v[96:97], v[90:91], 2, v[4:5]
	s_clause 0x1
	global_load_b32 v91, v[96:97], off
	global_load_b32 v95, v[4:5], off offset:92
	s_wait_loadcnt 0x1
	global_store_b32 v[4:5], v91, off offset:92
	s_wait_loadcnt 0x0
	global_store_b32 v[96:97], v95, off
.LBB80_497:
	s_wait_xcnt 0x0
	s_or_b32 exec_lo, exec_lo, s12
	v_dual_mov_b32 v96, v90 :: v_dual_mov_b32 v95, v90
.LBB80_498:
	s_or_b32 exec_lo, exec_lo, s1
.LBB80_499:
	s_and_not1_saveexec_b32 s0, s0
	s_cbranch_execz .LBB80_501
; %bb.500:
	v_dual_mov_b32 v90, v52 :: v_dual_mov_b32 v91, v53
	v_dual_mov_b32 v96, v48 :: v_dual_mov_b32 v97, v49
	;; [unrolled: 1-line block ×8, first 2 shown]
	ds_store_2addr_b64 v92, v[90:91], v[96:97] offset0:24 offset1:25
	ds_store_2addr_b64 v92, v[98:99], v[100:101] offset0:26 offset1:27
	;; [unrolled: 1-line block ×4, first 2 shown]
	v_dual_mov_b32 v90, v14 :: v_dual_mov_b32 v91, v15
	v_dual_mov_b32 v98, v10 :: v_dual_mov_b32 v99, v11
	;; [unrolled: 1-line block ×8, first 2 shown]
	v_mov_b32_e32 v111, v17
	ds_store_2addr_b64 v92, v[90:91], v[98:99] offset0:32 offset1:33
	ds_store_2addr_b64 v92, v[100:101], v[102:103] offset0:34 offset1:35
	;; [unrolled: 1-line block ×4, first 2 shown]
	ds_store_b64 v92, v[86:87] offset:320
.LBB80_501:
	s_or_b32 exec_lo, exec_lo, s0
	s_delay_alu instid0(SALU_CYCLE_1)
	s_mov_b32 s0, exec_lo
	s_wait_storecnt_dscnt 0x0
	s_barrier_signal -1
	s_barrier_wait -1
	v_cmpx_lt_i32_e32 23, v96
	s_cbranch_execz .LBB80_503
; %bb.502:
	v_pk_mul_f32 v[98:99], v[88:89], v[54:55] op_sel:[1,1] op_sel_hi:[0,1]
	s_delay_alu instid0(VALU_DEP_1)
	v_pk_fma_f32 v[90:91], v[88:89], v[54:55], v[98:99] op_sel_hi:[1,0,1] neg_lo:[0,0,1] neg_hi:[0,0,1]
	v_pk_fma_f32 v[88:89], v[88:89], v[54:55], v[98:99] op_sel_hi:[1,0,1]
	ds_load_2addr_b64 v[98:101], v92 offset0:24 offset1:25
	v_dual_mov_b32 v54, v90 :: v_dual_mov_b32 v55, v89
	s_wait_dscnt 0x0
	v_pk_mul_f32 v[102:103], v[98:99], v[88:89] op_sel:[0,1]
	s_delay_alu instid0(VALU_DEP_1) | instskip(SKIP_1) | instid1(VALU_DEP_1)
	v_pk_fma_f32 v[104:105], v[98:99], v[90:91], v[102:103] op_sel:[0,0,1] op_sel_hi:[1,1,0] neg_lo:[0,0,1] neg_hi:[0,0,1]
	v_pk_fma_f32 v[98:99], v[98:99], v[90:91], v[102:103] op_sel:[0,0,1] op_sel_hi:[1,0,0]
	v_mov_b32_e32 v105, v99
	v_pk_mul_f32 v[98:99], v[100:101], v[88:89] op_sel:[0,1]
	s_delay_alu instid0(VALU_DEP_1) | instskip(SKIP_1) | instid1(VALU_DEP_1)
	v_pk_fma_f32 v[102:103], v[100:101], v[90:91], v[98:99] op_sel:[0,0,1] op_sel_hi:[1,1,0] neg_lo:[0,0,1] neg_hi:[0,0,1]
	v_pk_fma_f32 v[98:99], v[100:101], v[90:91], v[98:99] op_sel:[0,0,1] op_sel_hi:[1,0,0]
	v_mov_b32_e32 v103, v99
	ds_load_2addr_b64 v[98:101], v92 offset0:26 offset1:27
	v_pk_add_f32 v[52:53], v[52:53], v[104:105] neg_lo:[0,1] neg_hi:[0,1]
	v_pk_add_f32 v[48:49], v[48:49], v[102:103] neg_lo:[0,1] neg_hi:[0,1]
	s_wait_dscnt 0x0
	v_pk_mul_f32 v[102:103], v[98:99], v[88:89] op_sel:[0,1]
	s_delay_alu instid0(VALU_DEP_1) | instskip(SKIP_2) | instid1(VALU_DEP_2)
	v_pk_fma_f32 v[104:105], v[98:99], v[90:91], v[102:103] op_sel:[0,0,1] op_sel_hi:[1,1,0] neg_lo:[0,0,1] neg_hi:[0,0,1]
	v_pk_fma_f32 v[98:99], v[98:99], v[90:91], v[102:103] op_sel:[0,0,1] op_sel_hi:[1,0,0]
	v_dual_mul_f32 v102, v101, v89 :: v_dual_mov_b32 v98, v101
	v_dual_mov_b32 v105, v99 :: v_dual_mov_b32 v99, v100
	s_delay_alu instid0(VALU_DEP_2) | instskip(SKIP_1) | instid1(VALU_DEP_3)
	v_pk_fma_f32 v[102:103], v[100:101], v[54:55], v[102:103] op_sel_hi:[1,1,0] neg_lo:[0,0,1] neg_hi:[0,0,1]
	v_mul_f32_e32 v100, v101, v90
	v_pk_add_f32 v[50:51], v[50:51], v[104:105] neg_lo:[0,1] neg_hi:[0,1]
	s_delay_alu instid0(VALU_DEP_2) | instskip(NEXT) | instid1(VALU_DEP_1)
	v_pk_fma_f32 v[98:99], v[98:99], v[54:55], v[100:101] op_sel_hi:[1,1,0]
	v_mov_b32_e32 v103, v99
	ds_load_2addr_b64 v[98:101], v92 offset0:28 offset1:29
	v_pk_add_f32 v[46:47], v[46:47], v[102:103] neg_lo:[0,1] neg_hi:[0,1]
	s_wait_dscnt 0x0
	v_pk_mul_f32 v[102:103], v[98:99], v[88:89] op_sel:[0,1]
	s_delay_alu instid0(VALU_DEP_1) | instskip(SKIP_1) | instid1(VALU_DEP_1)
	v_pk_fma_f32 v[104:105], v[98:99], v[90:91], v[102:103] op_sel:[0,0,1] op_sel_hi:[1,1,0] neg_lo:[0,0,1] neg_hi:[0,0,1]
	v_pk_fma_f32 v[98:99], v[98:99], v[90:91], v[102:103] op_sel:[0,0,1] op_sel_hi:[1,0,0]
	v_mov_b32_e32 v105, v99
	v_pk_mul_f32 v[98:99], v[100:101], v[88:89] op_sel:[0,1]
	s_delay_alu instid0(VALU_DEP_1) | instskip(SKIP_1) | instid1(VALU_DEP_1)
	v_pk_fma_f32 v[102:103], v[100:101], v[90:91], v[98:99] op_sel:[0,0,1] op_sel_hi:[1,1,0] neg_lo:[0,0,1] neg_hi:[0,0,1]
	v_pk_fma_f32 v[98:99], v[100:101], v[90:91], v[98:99] op_sel:[0,0,1] op_sel_hi:[1,0,0]
	v_mov_b32_e32 v103, v99
	ds_load_2addr_b64 v[98:101], v92 offset0:30 offset1:31
	v_pk_add_f32 v[42:43], v[42:43], v[104:105] neg_lo:[0,1] neg_hi:[0,1]
	v_pk_add_f32 v[38:39], v[38:39], v[102:103] neg_lo:[0,1] neg_hi:[0,1]
	s_wait_dscnt 0x0
	v_pk_mul_f32 v[102:103], v[98:99], v[88:89] op_sel:[0,1]
	s_delay_alu instid0(VALU_DEP_1) | instskip(SKIP_1) | instid1(VALU_DEP_1)
	v_pk_fma_f32 v[104:105], v[98:99], v[90:91], v[102:103] op_sel:[0,0,1] op_sel_hi:[1,1,0] neg_lo:[0,0,1] neg_hi:[0,0,1]
	v_pk_fma_f32 v[98:99], v[98:99], v[90:91], v[102:103] op_sel:[0,0,1] op_sel_hi:[1,0,0]
	v_mov_b32_e32 v105, v99
	v_pk_mul_f32 v[98:99], v[100:101], v[88:89] op_sel:[0,1]
	s_delay_alu instid0(VALU_DEP_1) | instskip(SKIP_1) | instid1(VALU_DEP_1)
	v_pk_fma_f32 v[102:103], v[100:101], v[90:91], v[98:99] op_sel:[0,0,1] op_sel_hi:[1,1,0] neg_lo:[0,0,1] neg_hi:[0,0,1]
	v_pk_fma_f32 v[98:99], v[100:101], v[90:91], v[98:99] op_sel:[0,0,1] op_sel_hi:[1,0,0]
	v_mov_b32_e32 v103, v99
	ds_load_2addr_b64 v[98:101], v92 offset0:32 offset1:33
	v_pk_add_f32 v[40:41], v[40:41], v[104:105] neg_lo:[0,1] neg_hi:[0,1]
	v_pk_add_f32 v[36:37], v[36:37], v[102:103] neg_lo:[0,1] neg_hi:[0,1]
	s_wait_dscnt 0x0
	v_dual_mul_f32 v102, v99, v89 :: v_dual_mul_f32 v104, v99, v90
	s_delay_alu instid0(VALU_DEP_1) | instskip(NEXT) | instid1(VALU_DEP_2)
	v_pk_fma_f32 v[102:103], v[98:99], v[54:55], v[102:103] op_sel_hi:[1,1,0] neg_lo:[0,0,1] neg_hi:[0,0,1]
	v_pk_fma_f32 v[98:99], v[98:99], v[54:55], v[104:105] op_sel:[1,0,0] op_sel_hi:[0,1,0]
	s_delay_alu instid0(VALU_DEP_1) | instskip(SKIP_1) | instid1(VALU_DEP_2)
	v_mov_b32_e32 v103, v99
	v_pk_mul_f32 v[98:99], v[100:101], v[88:89] op_sel:[0,1]
	v_pk_add_f32 v[14:15], v[14:15], v[102:103] neg_lo:[0,1] neg_hi:[0,1]
	s_delay_alu instid0(VALU_DEP_2) | instskip(SKIP_1) | instid1(VALU_DEP_1)
	v_pk_fma_f32 v[102:103], v[100:101], v[90:91], v[98:99] op_sel:[0,0,1] op_sel_hi:[1,1,0] neg_lo:[0,0,1] neg_hi:[0,0,1]
	v_pk_fma_f32 v[98:99], v[100:101], v[90:91], v[98:99] op_sel:[0,0,1] op_sel_hi:[1,0,0]
	v_mov_b32_e32 v103, v99
	ds_load_2addr_b64 v[98:101], v92 offset0:34 offset1:35
	v_pk_add_f32 v[10:11], v[10:11], v[102:103] neg_lo:[0,1] neg_hi:[0,1]
	s_wait_dscnt 0x0
	v_pk_mul_f32 v[102:103], v[98:99], v[88:89] op_sel:[0,1]
	s_delay_alu instid0(VALU_DEP_1) | instskip(SKIP_1) | instid1(VALU_DEP_1)
	v_pk_fma_f32 v[104:105], v[98:99], v[90:91], v[102:103] op_sel:[0,0,1] op_sel_hi:[1,1,0] neg_lo:[0,0,1] neg_hi:[0,0,1]
	v_pk_fma_f32 v[98:99], v[98:99], v[90:91], v[102:103] op_sel:[0,0,1] op_sel_hi:[1,0,0]
	v_mov_b32_e32 v105, v99
	v_pk_mul_f32 v[98:99], v[100:101], v[88:89] op_sel:[0,1]
	s_delay_alu instid0(VALU_DEP_2) | instskip(NEXT) | instid1(VALU_DEP_2)
	v_pk_add_f32 v[12:13], v[12:13], v[104:105] neg_lo:[0,1] neg_hi:[0,1]
	v_pk_fma_f32 v[102:103], v[100:101], v[90:91], v[98:99] op_sel:[0,0,1] op_sel_hi:[1,1,0] neg_lo:[0,0,1] neg_hi:[0,0,1]
	v_pk_fma_f32 v[98:99], v[100:101], v[90:91], v[98:99] op_sel:[0,0,1] op_sel_hi:[1,0,0]
	s_delay_alu instid0(VALU_DEP_1) | instskip(SKIP_4) | instid1(VALU_DEP_1)
	v_mov_b32_e32 v103, v99
	ds_load_2addr_b64 v[98:101], v92 offset0:36 offset1:37
	v_pk_add_f32 v[8:9], v[8:9], v[102:103] neg_lo:[0,1] neg_hi:[0,1]
	s_wait_dscnt 0x0
	v_pk_mul_f32 v[102:103], v[98:99], v[88:89] op_sel:[0,1]
	v_pk_fma_f32 v[104:105], v[98:99], v[90:91], v[102:103] op_sel:[0,0,1] op_sel_hi:[1,1,0] neg_lo:[0,0,1] neg_hi:[0,0,1]
	v_pk_fma_f32 v[98:99], v[98:99], v[90:91], v[102:103] op_sel:[0,0,1] op_sel_hi:[1,0,0]
	v_dual_mul_f32 v102, v101, v89 :: v_dual_mov_b32 v98, v101
	s_delay_alu instid0(VALU_DEP_2) | instskip(NEXT) | instid1(VALU_DEP_2)
	v_dual_mov_b32 v105, v99 :: v_dual_mov_b32 v99, v100
	v_pk_fma_f32 v[102:103], v[100:101], v[54:55], v[102:103] op_sel_hi:[1,1,0] neg_lo:[0,0,1] neg_hi:[0,0,1]
	v_mul_f32_e32 v100, v101, v90
	s_delay_alu instid0(VALU_DEP_3) | instskip(NEXT) | instid1(VALU_DEP_2)
	v_pk_add_f32 v[6:7], v[6:7], v[104:105] neg_lo:[0,1] neg_hi:[0,1]
	v_pk_fma_f32 v[98:99], v[98:99], v[54:55], v[100:101] op_sel_hi:[1,1,0]
	s_delay_alu instid0(VALU_DEP_1) | instskip(SKIP_4) | instid1(VALU_DEP_1)
	v_mov_b32_e32 v103, v99
	ds_load_2addr_b64 v[98:101], v92 offset0:38 offset1:39
	v_pk_add_f32 v[44:45], v[44:45], v[102:103] neg_lo:[0,1] neg_hi:[0,1]
	s_wait_dscnt 0x0
	v_pk_mul_f32 v[102:103], v[98:99], v[88:89] op_sel:[0,1]
	v_pk_fma_f32 v[104:105], v[98:99], v[90:91], v[102:103] op_sel:[0,0,1] op_sel_hi:[1,1,0] neg_lo:[0,0,1] neg_hi:[0,0,1]
	v_pk_fma_f32 v[98:99], v[98:99], v[90:91], v[102:103] op_sel:[0,0,1] op_sel_hi:[1,0,0]
	s_delay_alu instid0(VALU_DEP_1) | instskip(SKIP_1) | instid1(VALU_DEP_1)
	v_mov_b32_e32 v105, v99
	v_pk_mul_f32 v[98:99], v[100:101], v[88:89] op_sel:[0,1]
	v_pk_fma_f32 v[102:103], v[100:101], v[90:91], v[98:99] op_sel:[0,0,1] op_sel_hi:[1,1,0] neg_lo:[0,0,1] neg_hi:[0,0,1]
	v_pk_fma_f32 v[98:99], v[100:101], v[90:91], v[98:99] op_sel:[0,0,1] op_sel_hi:[1,0,0]
	s_delay_alu instid0(VALU_DEP_1)
	v_mov_b32_e32 v103, v99
	ds_load_b64 v[98:99], v92 offset:320
	v_pk_add_f32 v[22:23], v[22:23], v[104:105] neg_lo:[0,1] neg_hi:[0,1]
	v_pk_add_f32 v[16:17], v[16:17], v[102:103] neg_lo:[0,1] neg_hi:[0,1]
	s_wait_dscnt 0x0
	v_pk_mul_f32 v[88:89], v[98:99], v[88:89] op_sel:[0,1]
	s_delay_alu instid0(VALU_DEP_1) | instskip(SKIP_1) | instid1(VALU_DEP_1)
	v_pk_fma_f32 v[100:101], v[98:99], v[90:91], v[88:89] op_sel:[0,0,1] op_sel_hi:[1,1,0] neg_lo:[0,0,1] neg_hi:[0,0,1]
	v_pk_fma_f32 v[88:89], v[98:99], v[90:91], v[88:89] op_sel:[0,0,1] op_sel_hi:[1,0,0]
	v_mov_b32_e32 v101, v89
	s_delay_alu instid0(VALU_DEP_1)
	v_pk_add_f32 v[86:87], v[86:87], v[100:101] neg_lo:[0,1] neg_hi:[0,1]
.LBB80_503:
	s_or_b32 exec_lo, exec_lo, s0
	v_lshl_add_u32 v88, v96, 3, v92
	s_barrier_signal -1
	s_barrier_wait -1
	ds_store_b64 v88, v[52:53]
	s_wait_dscnt 0x0
	s_barrier_signal -1
	s_barrier_wait -1
	ds_load_b64 v[88:89], v92 offset:192
	v_mov_b32_e32 v90, 24
	s_cmp_lt_i32 s18, 26
	s_cbranch_scc1 .LBB80_506
; %bb.504:
	v_add3_u32 v91, v93, 0, 0xc8
	v_mov_b32_e32 v90, 24
	s_mov_b32 s0, 25
.LBB80_505:                             ; =>This Inner Loop Header: Depth=1
	ds_load_b64 v[98:99], v91
	s_wait_dscnt 0x1
	v_cmp_gt_f32_e32 vcc_lo, 0, v88
	v_cndmask_b32_e64 v100, v88, -v88, vcc_lo
	v_cmp_gt_f32_e32 vcc_lo, 0, v89
	v_cndmask_b32_e64 v102, v89, -v89, vcc_lo
	s_wait_dscnt 0x0
	v_cmp_gt_f32_e32 vcc_lo, 0, v98
	v_cndmask_b32_e64 v101, v98, -v98, vcc_lo
	v_cmp_gt_f32_e32 vcc_lo, 0, v99
	v_cndmask_b32_e64 v103, v99, -v99, vcc_lo
	s_delay_alu instid0(VALU_DEP_1) | instskip(NEXT) | instid1(VALU_DEP_1)
	v_pk_add_f32 v[100:101], v[100:101], v[102:103]
	v_cmp_lt_f32_e32 vcc_lo, v100, v101
	v_dual_cndmask_b32 v88, v88, v98 :: v_dual_add_nc_u32 v91, 8, v91
	v_cndmask_b32_e32 v89, v89, v99, vcc_lo
	v_cndmask_b32_e64 v90, v90, s0, vcc_lo
	s_add_co_i32 s0, s0, 1
	s_delay_alu instid0(SALU_CYCLE_1)
	s_cmp_lg_u32 s18, s0
	s_cbranch_scc1 .LBB80_505
.LBB80_506:
	s_wait_dscnt 0x0
	v_cmp_eq_f32_e32 vcc_lo, 0, v88
	v_cmp_eq_f32_e64 s0, 0, v89
	s_and_b32 s0, vcc_lo, s0
	s_delay_alu instid0(SALU_CYCLE_1) | instskip(NEXT) | instid1(SALU_CYCLE_1)
	s_and_saveexec_b32 s1, s0
	s_xor_b32 s0, exec_lo, s1
; %bb.507:
	v_cmp_ne_u32_e32 vcc_lo, 0, v94
	v_cndmask_b32_e32 v94, 25, v94, vcc_lo
; %bb.508:
	s_and_not1_saveexec_b32 s0, s0
	s_cbranch_execz .LBB80_514
; %bb.509:
	v_cmp_ngt_f32_e64 s1, |v88|, |v89|
	s_and_saveexec_b32 s12, s1
	s_delay_alu instid0(SALU_CYCLE_1)
	s_xor_b32 s1, exec_lo, s12
	s_cbranch_execz .LBB80_511
; %bb.510:
	v_div_scale_f32 v91, null, v89, v89, v88
	v_div_scale_f32 v99, vcc_lo, v88, v89, v88
	s_delay_alu instid0(VALU_DEP_2) | instskip(SKIP_1) | instid1(TRANS32_DEP_1)
	v_rcp_f32_e32 v97, v91
	v_nop
	v_fma_f32 v98, -v91, v97, 1.0
	s_delay_alu instid0(VALU_DEP_1) | instskip(NEXT) | instid1(VALU_DEP_1)
	v_fmac_f32_e32 v97, v98, v97
	v_mul_f32_e32 v98, v99, v97
	s_delay_alu instid0(VALU_DEP_1) | instskip(NEXT) | instid1(VALU_DEP_1)
	v_fma_f32 v100, -v91, v98, v99
	v_fmac_f32_e32 v98, v100, v97
	s_delay_alu instid0(VALU_DEP_1) | instskip(NEXT) | instid1(VALU_DEP_1)
	v_fma_f32 v91, -v91, v98, v99
	v_div_fmas_f32 v91, v91, v97, v98
	s_delay_alu instid0(VALU_DEP_1) | instskip(NEXT) | instid1(VALU_DEP_1)
	v_div_fixup_f32 v91, v91, v89, v88
	v_fmac_f32_e32 v89, v88, v91
	s_delay_alu instid0(VALU_DEP_1) | instskip(SKIP_1) | instid1(VALU_DEP_2)
	v_div_scale_f32 v88, null, v89, v89, 1.0
	v_div_scale_f32 v99, vcc_lo, 1.0, v89, 1.0
	v_rcp_f32_e32 v97, v88
	v_nop
	s_delay_alu instid0(TRANS32_DEP_1) | instskip(NEXT) | instid1(VALU_DEP_1)
	v_fma_f32 v98, -v88, v97, 1.0
	v_fmac_f32_e32 v97, v98, v97
	s_delay_alu instid0(VALU_DEP_1) | instskip(NEXT) | instid1(VALU_DEP_1)
	v_mul_f32_e32 v98, v99, v97
	v_fma_f32 v100, -v88, v98, v99
	s_delay_alu instid0(VALU_DEP_1) | instskip(NEXT) | instid1(VALU_DEP_1)
	v_fmac_f32_e32 v98, v100, v97
	v_fma_f32 v88, -v88, v98, v99
	s_delay_alu instid0(VALU_DEP_1) | instskip(NEXT) | instid1(VALU_DEP_1)
	v_div_fmas_f32 v88, v88, v97, v98
	v_div_fixup_f32 v89, v88, v89, 1.0
	s_delay_alu instid0(VALU_DEP_1)
	v_mul_f32_e32 v88, v91, v89
	v_xor_b32_e32 v89, 0x80000000, v89
.LBB80_511:
	s_and_not1_saveexec_b32 s1, s1
	s_cbranch_execz .LBB80_513
; %bb.512:
	s_delay_alu instid0(VALU_DEP_1) | instskip(SKIP_1) | instid1(VALU_DEP_2)
	v_div_scale_f32 v91, null, v88, v88, v89
	v_div_scale_f32 v99, vcc_lo, v89, v88, v89
	v_rcp_f32_e32 v97, v91
	v_nop
	s_delay_alu instid0(TRANS32_DEP_1) | instskip(NEXT) | instid1(VALU_DEP_1)
	v_fma_f32 v98, -v91, v97, 1.0
	v_fmac_f32_e32 v97, v98, v97
	s_delay_alu instid0(VALU_DEP_1) | instskip(NEXT) | instid1(VALU_DEP_1)
	v_mul_f32_e32 v98, v99, v97
	v_fma_f32 v100, -v91, v98, v99
	s_delay_alu instid0(VALU_DEP_1) | instskip(NEXT) | instid1(VALU_DEP_1)
	v_fmac_f32_e32 v98, v100, v97
	v_fma_f32 v91, -v91, v98, v99
	s_delay_alu instid0(VALU_DEP_1) | instskip(NEXT) | instid1(VALU_DEP_1)
	v_div_fmas_f32 v91, v91, v97, v98
	v_div_fixup_f32 v91, v91, v88, v89
	s_delay_alu instid0(VALU_DEP_1) | instskip(NEXT) | instid1(VALU_DEP_1)
	v_fmac_f32_e32 v88, v89, v91
	v_div_scale_f32 v89, null, v88, v88, 1.0
	s_delay_alu instid0(VALU_DEP_1) | instskip(SKIP_1) | instid1(TRANS32_DEP_1)
	v_rcp_f32_e32 v97, v89
	v_nop
	v_fma_f32 v98, -v89, v97, 1.0
	s_delay_alu instid0(VALU_DEP_1) | instskip(SKIP_1) | instid1(VALU_DEP_1)
	v_fmac_f32_e32 v97, v98, v97
	v_div_scale_f32 v98, vcc_lo, 1.0, v88, 1.0
	v_mul_f32_e32 v99, v98, v97
	s_delay_alu instid0(VALU_DEP_1) | instskip(NEXT) | instid1(VALU_DEP_1)
	v_fma_f32 v100, -v89, v99, v98
	v_fmac_f32_e32 v99, v100, v97
	s_delay_alu instid0(VALU_DEP_1) | instskip(NEXT) | instid1(VALU_DEP_1)
	v_fma_f32 v89, -v89, v99, v98
	v_div_fmas_f32 v89, v89, v97, v99
	s_delay_alu instid0(VALU_DEP_1) | instskip(NEXT) | instid1(VALU_DEP_1)
	v_div_fixup_f32 v88, v89, v88, 1.0
	v_mul_f32_e64 v89, v91, -v88
.LBB80_513:
	s_or_b32 exec_lo, exec_lo, s1
.LBB80_514:
	s_delay_alu instid0(SALU_CYCLE_1) | instskip(NEXT) | instid1(SALU_CYCLE_1)
	s_or_b32 exec_lo, exec_lo, s0
	s_mov_b32 s0, exec_lo
	v_cmpx_ne_u32_e64 v96, v90
	s_xor_b32 s0, exec_lo, s0
	s_cbranch_execz .LBB80_520
; %bb.515:
	s_mov_b32 s1, exec_lo
	v_cmpx_eq_u32_e32 24, v96
	s_cbranch_execz .LBB80_519
; %bb.516:
	v_cmp_ne_u32_e32 vcc_lo, 24, v90
	s_xor_b32 s12, s16, -1
	s_delay_alu instid0(SALU_CYCLE_1) | instskip(NEXT) | instid1(SALU_CYCLE_1)
	s_and_b32 s13, s12, vcc_lo
	s_and_saveexec_b32 s12, s13
	s_cbranch_execz .LBB80_518
; %bb.517:
	v_ashrrev_i32_e32 v91, 31, v90
	s_delay_alu instid0(VALU_DEP_1)
	v_lshl_add_u64 v[96:97], v[90:91], 2, v[4:5]
	s_clause 0x1
	global_load_b32 v91, v[96:97], off
	global_load_b32 v95, v[4:5], off offset:96
	s_wait_loadcnt 0x1
	global_store_b32 v[4:5], v91, off offset:96
	s_wait_loadcnt 0x0
	global_store_b32 v[96:97], v95, off
.LBB80_518:
	s_wait_xcnt 0x0
	s_or_b32 exec_lo, exec_lo, s12
	v_dual_mov_b32 v96, v90 :: v_dual_mov_b32 v95, v90
.LBB80_519:
	s_or_b32 exec_lo, exec_lo, s1
.LBB80_520:
	s_and_not1_saveexec_b32 s0, s0
	s_cbranch_execz .LBB80_522
; %bb.521:
	v_mov_b32_e32 v96, 24
	ds_store_2addr_b64 v92, v[48:49], v[50:51] offset0:25 offset1:26
	ds_store_2addr_b64 v92, v[46:47], v[42:43] offset0:27 offset1:28
	;; [unrolled: 1-line block ×8, first 2 shown]
.LBB80_522:
	s_or_b32 exec_lo, exec_lo, s0
	s_delay_alu instid0(SALU_CYCLE_1)
	s_mov_b32 s0, exec_lo
	s_wait_storecnt_dscnt 0x0
	s_barrier_signal -1
	s_barrier_wait -1
	v_cmpx_lt_i32_e32 24, v96
	s_cbranch_execz .LBB80_524
; %bb.523:
	v_pk_mul_f32 v[98:99], v[88:89], v[52:53] op_sel:[1,1] op_sel_hi:[0,1]
	s_delay_alu instid0(VALU_DEP_1)
	v_pk_fma_f32 v[90:91], v[88:89], v[52:53], v[98:99] op_sel_hi:[1,0,1] neg_lo:[0,0,1] neg_hi:[0,0,1]
	v_pk_fma_f32 v[88:89], v[88:89], v[52:53], v[98:99] op_sel_hi:[1,0,1]
	ds_load_2addr_b64 v[98:101], v92 offset0:25 offset1:26
	v_dual_mov_b32 v52, v90 :: v_dual_mov_b32 v53, v89
	s_wait_dscnt 0x0
	v_pk_mul_f32 v[102:103], v[98:99], v[88:89] op_sel:[0,1]
	s_delay_alu instid0(VALU_DEP_1) | instskip(SKIP_1) | instid1(VALU_DEP_1)
	v_pk_fma_f32 v[104:105], v[98:99], v[90:91], v[102:103] op_sel:[0,0,1] op_sel_hi:[1,1,0] neg_lo:[0,0,1] neg_hi:[0,0,1]
	v_pk_fma_f32 v[98:99], v[98:99], v[90:91], v[102:103] op_sel:[0,0,1] op_sel_hi:[1,0,0]
	v_mov_b32_e32 v105, v99
	v_pk_mul_f32 v[98:99], v[100:101], v[88:89] op_sel:[0,1]
	s_delay_alu instid0(VALU_DEP_1) | instskip(SKIP_1) | instid1(VALU_DEP_1)
	v_pk_fma_f32 v[102:103], v[100:101], v[90:91], v[98:99] op_sel:[0,0,1] op_sel_hi:[1,1,0] neg_lo:[0,0,1] neg_hi:[0,0,1]
	v_pk_fma_f32 v[98:99], v[100:101], v[90:91], v[98:99] op_sel:[0,0,1] op_sel_hi:[1,0,0]
	v_mov_b32_e32 v103, v99
	ds_load_2addr_b64 v[98:101], v92 offset0:27 offset1:28
	v_pk_add_f32 v[48:49], v[48:49], v[104:105] neg_lo:[0,1] neg_hi:[0,1]
	v_pk_add_f32 v[50:51], v[50:51], v[102:103] neg_lo:[0,1] neg_hi:[0,1]
	s_wait_dscnt 0x0
	v_pk_mul_f32 v[102:103], v[98:99], v[88:89] op_sel:[0,1]
	s_delay_alu instid0(VALU_DEP_1) | instskip(SKIP_2) | instid1(VALU_DEP_2)
	v_pk_fma_f32 v[104:105], v[98:99], v[90:91], v[102:103] op_sel:[0,0,1] op_sel_hi:[1,1,0] neg_lo:[0,0,1] neg_hi:[0,0,1]
	v_pk_fma_f32 v[98:99], v[98:99], v[90:91], v[102:103] op_sel:[0,0,1] op_sel_hi:[1,0,0]
	v_dual_mul_f32 v102, v101, v89 :: v_dual_mov_b32 v98, v101
	v_dual_mov_b32 v105, v99 :: v_dual_mov_b32 v99, v100
	s_delay_alu instid0(VALU_DEP_2) | instskip(SKIP_1) | instid1(VALU_DEP_3)
	v_pk_fma_f32 v[102:103], v[100:101], v[52:53], v[102:103] op_sel_hi:[1,1,0] neg_lo:[0,0,1] neg_hi:[0,0,1]
	v_mul_f32_e32 v100, v101, v90
	v_pk_add_f32 v[46:47], v[46:47], v[104:105] neg_lo:[0,1] neg_hi:[0,1]
	s_delay_alu instid0(VALU_DEP_2) | instskip(NEXT) | instid1(VALU_DEP_1)
	v_pk_fma_f32 v[98:99], v[98:99], v[52:53], v[100:101] op_sel_hi:[1,1,0]
	v_mov_b32_e32 v103, v99
	ds_load_2addr_b64 v[98:101], v92 offset0:29 offset1:30
	v_pk_add_f32 v[42:43], v[42:43], v[102:103] neg_lo:[0,1] neg_hi:[0,1]
	s_wait_dscnt 0x0
	v_pk_mul_f32 v[102:103], v[98:99], v[88:89] op_sel:[0,1]
	s_delay_alu instid0(VALU_DEP_1) | instskip(SKIP_1) | instid1(VALU_DEP_1)
	v_pk_fma_f32 v[104:105], v[98:99], v[90:91], v[102:103] op_sel:[0,0,1] op_sel_hi:[1,1,0] neg_lo:[0,0,1] neg_hi:[0,0,1]
	v_pk_fma_f32 v[98:99], v[98:99], v[90:91], v[102:103] op_sel:[0,0,1] op_sel_hi:[1,0,0]
	v_mov_b32_e32 v105, v99
	v_pk_mul_f32 v[98:99], v[100:101], v[88:89] op_sel:[0,1]
	s_delay_alu instid0(VALU_DEP_1) | instskip(SKIP_1) | instid1(VALU_DEP_1)
	v_pk_fma_f32 v[102:103], v[100:101], v[90:91], v[98:99] op_sel:[0,0,1] op_sel_hi:[1,1,0] neg_lo:[0,0,1] neg_hi:[0,0,1]
	v_pk_fma_f32 v[98:99], v[100:101], v[90:91], v[98:99] op_sel:[0,0,1] op_sel_hi:[1,0,0]
	v_mov_b32_e32 v103, v99
	ds_load_2addr_b64 v[98:101], v92 offset0:31 offset1:32
	v_pk_add_f32 v[38:39], v[38:39], v[104:105] neg_lo:[0,1] neg_hi:[0,1]
	v_pk_add_f32 v[40:41], v[40:41], v[102:103] neg_lo:[0,1] neg_hi:[0,1]
	s_wait_dscnt 0x0
	v_pk_mul_f32 v[102:103], v[98:99], v[88:89] op_sel:[0,1]
	s_delay_alu instid0(VALU_DEP_1) | instskip(SKIP_1) | instid1(VALU_DEP_1)
	v_pk_fma_f32 v[104:105], v[98:99], v[90:91], v[102:103] op_sel:[0,0,1] op_sel_hi:[1,1,0] neg_lo:[0,0,1] neg_hi:[0,0,1]
	v_pk_fma_f32 v[98:99], v[98:99], v[90:91], v[102:103] op_sel:[0,0,1] op_sel_hi:[1,0,0]
	v_mov_b32_e32 v105, v99
	v_pk_mul_f32 v[98:99], v[100:101], v[88:89] op_sel:[0,1]
	s_delay_alu instid0(VALU_DEP_1) | instskip(SKIP_1) | instid1(VALU_DEP_1)
	v_pk_fma_f32 v[102:103], v[100:101], v[90:91], v[98:99] op_sel:[0,0,1] op_sel_hi:[1,1,0] neg_lo:[0,0,1] neg_hi:[0,0,1]
	v_pk_fma_f32 v[98:99], v[100:101], v[90:91], v[98:99] op_sel:[0,0,1] op_sel_hi:[1,0,0]
	v_mov_b32_e32 v103, v99
	ds_load_2addr_b64 v[98:101], v92 offset0:33 offset1:34
	v_pk_add_f32 v[36:37], v[36:37], v[104:105] neg_lo:[0,1] neg_hi:[0,1]
	v_pk_add_f32 v[14:15], v[14:15], v[102:103] neg_lo:[0,1] neg_hi:[0,1]
	s_wait_dscnt 0x0
	v_dual_mul_f32 v102, v99, v89 :: v_dual_mul_f32 v104, v99, v90
	s_delay_alu instid0(VALU_DEP_1) | instskip(NEXT) | instid1(VALU_DEP_2)
	v_pk_fma_f32 v[102:103], v[98:99], v[52:53], v[102:103] op_sel_hi:[1,1,0] neg_lo:[0,0,1] neg_hi:[0,0,1]
	v_pk_fma_f32 v[98:99], v[98:99], v[52:53], v[104:105] op_sel:[1,0,0] op_sel_hi:[0,1,0]
	s_delay_alu instid0(VALU_DEP_1) | instskip(SKIP_1) | instid1(VALU_DEP_2)
	v_mov_b32_e32 v103, v99
	v_pk_mul_f32 v[98:99], v[100:101], v[88:89] op_sel:[0,1]
	v_pk_add_f32 v[10:11], v[10:11], v[102:103] neg_lo:[0,1] neg_hi:[0,1]
	s_delay_alu instid0(VALU_DEP_2) | instskip(SKIP_1) | instid1(VALU_DEP_1)
	v_pk_fma_f32 v[102:103], v[100:101], v[90:91], v[98:99] op_sel:[0,0,1] op_sel_hi:[1,1,0] neg_lo:[0,0,1] neg_hi:[0,0,1]
	v_pk_fma_f32 v[98:99], v[100:101], v[90:91], v[98:99] op_sel:[0,0,1] op_sel_hi:[1,0,0]
	v_mov_b32_e32 v103, v99
	ds_load_2addr_b64 v[98:101], v92 offset0:35 offset1:36
	v_pk_add_f32 v[12:13], v[12:13], v[102:103] neg_lo:[0,1] neg_hi:[0,1]
	s_wait_dscnt 0x0
	v_pk_mul_f32 v[102:103], v[98:99], v[88:89] op_sel:[0,1]
	s_delay_alu instid0(VALU_DEP_1) | instskip(SKIP_1) | instid1(VALU_DEP_1)
	v_pk_fma_f32 v[104:105], v[98:99], v[90:91], v[102:103] op_sel:[0,0,1] op_sel_hi:[1,1,0] neg_lo:[0,0,1] neg_hi:[0,0,1]
	v_pk_fma_f32 v[98:99], v[98:99], v[90:91], v[102:103] op_sel:[0,0,1] op_sel_hi:[1,0,0]
	v_mov_b32_e32 v105, v99
	v_pk_mul_f32 v[98:99], v[100:101], v[88:89] op_sel:[0,1]
	s_delay_alu instid0(VALU_DEP_2) | instskip(NEXT) | instid1(VALU_DEP_2)
	v_pk_add_f32 v[8:9], v[8:9], v[104:105] neg_lo:[0,1] neg_hi:[0,1]
	v_pk_fma_f32 v[102:103], v[100:101], v[90:91], v[98:99] op_sel:[0,0,1] op_sel_hi:[1,1,0] neg_lo:[0,0,1] neg_hi:[0,0,1]
	v_pk_fma_f32 v[98:99], v[100:101], v[90:91], v[98:99] op_sel:[0,0,1] op_sel_hi:[1,0,0]
	s_delay_alu instid0(VALU_DEP_1) | instskip(SKIP_4) | instid1(VALU_DEP_1)
	v_mov_b32_e32 v103, v99
	ds_load_2addr_b64 v[98:101], v92 offset0:37 offset1:38
	v_pk_add_f32 v[6:7], v[6:7], v[102:103] neg_lo:[0,1] neg_hi:[0,1]
	s_wait_dscnt 0x0
	v_pk_mul_f32 v[102:103], v[98:99], v[88:89] op_sel:[0,1]
	v_pk_fma_f32 v[104:105], v[98:99], v[90:91], v[102:103] op_sel:[0,0,1] op_sel_hi:[1,1,0] neg_lo:[0,0,1] neg_hi:[0,0,1]
	v_pk_fma_f32 v[98:99], v[98:99], v[90:91], v[102:103] op_sel:[0,0,1] op_sel_hi:[1,0,0]
	v_dual_mul_f32 v102, v101, v89 :: v_dual_mov_b32 v98, v101
	s_delay_alu instid0(VALU_DEP_2) | instskip(NEXT) | instid1(VALU_DEP_2)
	v_dual_mov_b32 v105, v99 :: v_dual_mov_b32 v99, v100
	v_pk_fma_f32 v[102:103], v[100:101], v[52:53], v[102:103] op_sel_hi:[1,1,0] neg_lo:[0,0,1] neg_hi:[0,0,1]
	v_mul_f32_e32 v100, v101, v90
	s_delay_alu instid0(VALU_DEP_3) | instskip(NEXT) | instid1(VALU_DEP_2)
	v_pk_add_f32 v[44:45], v[44:45], v[104:105] neg_lo:[0,1] neg_hi:[0,1]
	v_pk_fma_f32 v[98:99], v[98:99], v[52:53], v[100:101] op_sel_hi:[1,1,0]
	s_delay_alu instid0(VALU_DEP_1)
	v_mov_b32_e32 v103, v99
	ds_load_2addr_b64 v[98:101], v92 offset0:39 offset1:40
	v_pk_add_f32 v[22:23], v[22:23], v[102:103] neg_lo:[0,1] neg_hi:[0,1]
	s_wait_dscnt 0x0
	v_pk_mul_f32 v[102:103], v[98:99], v[88:89] op_sel:[0,1]
	v_pk_mul_f32 v[88:89], v[100:101], v[88:89] op_sel:[0,1]
	s_delay_alu instid0(VALU_DEP_2) | instskip(SKIP_1) | instid1(VALU_DEP_1)
	v_pk_fma_f32 v[104:105], v[98:99], v[90:91], v[102:103] op_sel:[0,0,1] op_sel_hi:[1,1,0] neg_lo:[0,0,1] neg_hi:[0,0,1]
	v_pk_fma_f32 v[98:99], v[98:99], v[90:91], v[102:103] op_sel:[0,0,1] op_sel_hi:[1,0,0]
	v_mov_b32_e32 v105, v99
	s_delay_alu instid0(VALU_DEP_4) | instskip(SKIP_1) | instid1(VALU_DEP_1)
	v_pk_fma_f32 v[98:99], v[100:101], v[90:91], v[88:89] op_sel:[0,0,1] op_sel_hi:[1,1,0] neg_lo:[0,0,1] neg_hi:[0,0,1]
	v_pk_fma_f32 v[88:89], v[100:101], v[90:91], v[88:89] op_sel:[0,0,1] op_sel_hi:[1,0,0]
	v_mov_b32_e32 v99, v89
	s_delay_alu instid0(VALU_DEP_4) | instskip(NEXT) | instid1(VALU_DEP_2)
	v_pk_add_f32 v[16:17], v[16:17], v[104:105] neg_lo:[0,1] neg_hi:[0,1]
	v_pk_add_f32 v[86:87], v[86:87], v[98:99] neg_lo:[0,1] neg_hi:[0,1]
.LBB80_524:
	s_or_b32 exec_lo, exec_lo, s0
	v_lshl_add_u32 v88, v96, 3, v92
	s_barrier_signal -1
	s_barrier_wait -1
	ds_store_b64 v88, v[48:49]
	s_wait_dscnt 0x0
	s_barrier_signal -1
	s_barrier_wait -1
	ds_load_b64 v[88:89], v92 offset:200
	v_mov_b32_e32 v90, 25
	s_cmp_lt_i32 s18, 27
	s_cbranch_scc1 .LBB80_527
; %bb.525:
	v_add3_u32 v91, v93, 0, 0xd0
	v_mov_b32_e32 v90, 25
	s_mov_b32 s0, 26
.LBB80_526:                             ; =>This Inner Loop Header: Depth=1
	ds_load_b64 v[98:99], v91
	s_wait_dscnt 0x1
	v_cmp_gt_f32_e32 vcc_lo, 0, v88
	v_cndmask_b32_e64 v100, v88, -v88, vcc_lo
	v_cmp_gt_f32_e32 vcc_lo, 0, v89
	v_cndmask_b32_e64 v102, v89, -v89, vcc_lo
	s_wait_dscnt 0x0
	v_cmp_gt_f32_e32 vcc_lo, 0, v98
	v_cndmask_b32_e64 v101, v98, -v98, vcc_lo
	v_cmp_gt_f32_e32 vcc_lo, 0, v99
	v_cndmask_b32_e64 v103, v99, -v99, vcc_lo
	s_delay_alu instid0(VALU_DEP_1) | instskip(NEXT) | instid1(VALU_DEP_1)
	v_pk_add_f32 v[100:101], v[100:101], v[102:103]
	v_cmp_lt_f32_e32 vcc_lo, v100, v101
	v_dual_cndmask_b32 v88, v88, v98 :: v_dual_add_nc_u32 v91, 8, v91
	v_cndmask_b32_e32 v89, v89, v99, vcc_lo
	v_cndmask_b32_e64 v90, v90, s0, vcc_lo
	s_add_co_i32 s0, s0, 1
	s_delay_alu instid0(SALU_CYCLE_1)
	s_cmp_lg_u32 s18, s0
	s_cbranch_scc1 .LBB80_526
.LBB80_527:
	s_wait_dscnt 0x0
	v_cmp_eq_f32_e32 vcc_lo, 0, v88
	v_cmp_eq_f32_e64 s0, 0, v89
	s_and_b32 s0, vcc_lo, s0
	s_delay_alu instid0(SALU_CYCLE_1) | instskip(NEXT) | instid1(SALU_CYCLE_1)
	s_and_saveexec_b32 s1, s0
	s_xor_b32 s0, exec_lo, s1
; %bb.528:
	v_cmp_ne_u32_e32 vcc_lo, 0, v94
	v_cndmask_b32_e32 v94, 26, v94, vcc_lo
; %bb.529:
	s_and_not1_saveexec_b32 s0, s0
	s_cbranch_execz .LBB80_535
; %bb.530:
	v_cmp_ngt_f32_e64 s1, |v88|, |v89|
	s_and_saveexec_b32 s12, s1
	s_delay_alu instid0(SALU_CYCLE_1)
	s_xor_b32 s1, exec_lo, s12
	s_cbranch_execz .LBB80_532
; %bb.531:
	v_div_scale_f32 v91, null, v89, v89, v88
	v_div_scale_f32 v99, vcc_lo, v88, v89, v88
	s_delay_alu instid0(VALU_DEP_2) | instskip(SKIP_1) | instid1(TRANS32_DEP_1)
	v_rcp_f32_e32 v97, v91
	v_nop
	v_fma_f32 v98, -v91, v97, 1.0
	s_delay_alu instid0(VALU_DEP_1) | instskip(NEXT) | instid1(VALU_DEP_1)
	v_fmac_f32_e32 v97, v98, v97
	v_mul_f32_e32 v98, v99, v97
	s_delay_alu instid0(VALU_DEP_1) | instskip(NEXT) | instid1(VALU_DEP_1)
	v_fma_f32 v100, -v91, v98, v99
	v_fmac_f32_e32 v98, v100, v97
	s_delay_alu instid0(VALU_DEP_1) | instskip(NEXT) | instid1(VALU_DEP_1)
	v_fma_f32 v91, -v91, v98, v99
	v_div_fmas_f32 v91, v91, v97, v98
	s_delay_alu instid0(VALU_DEP_1) | instskip(NEXT) | instid1(VALU_DEP_1)
	v_div_fixup_f32 v91, v91, v89, v88
	v_fmac_f32_e32 v89, v88, v91
	s_delay_alu instid0(VALU_DEP_1) | instskip(SKIP_1) | instid1(VALU_DEP_2)
	v_div_scale_f32 v88, null, v89, v89, 1.0
	v_div_scale_f32 v99, vcc_lo, 1.0, v89, 1.0
	v_rcp_f32_e32 v97, v88
	v_nop
	s_delay_alu instid0(TRANS32_DEP_1) | instskip(NEXT) | instid1(VALU_DEP_1)
	v_fma_f32 v98, -v88, v97, 1.0
	v_fmac_f32_e32 v97, v98, v97
	s_delay_alu instid0(VALU_DEP_1) | instskip(NEXT) | instid1(VALU_DEP_1)
	v_mul_f32_e32 v98, v99, v97
	v_fma_f32 v100, -v88, v98, v99
	s_delay_alu instid0(VALU_DEP_1) | instskip(NEXT) | instid1(VALU_DEP_1)
	v_fmac_f32_e32 v98, v100, v97
	v_fma_f32 v88, -v88, v98, v99
	s_delay_alu instid0(VALU_DEP_1) | instskip(NEXT) | instid1(VALU_DEP_1)
	v_div_fmas_f32 v88, v88, v97, v98
	v_div_fixup_f32 v89, v88, v89, 1.0
	s_delay_alu instid0(VALU_DEP_1)
	v_mul_f32_e32 v88, v91, v89
	v_xor_b32_e32 v89, 0x80000000, v89
.LBB80_532:
	s_and_not1_saveexec_b32 s1, s1
	s_cbranch_execz .LBB80_534
; %bb.533:
	s_delay_alu instid0(VALU_DEP_1) | instskip(SKIP_1) | instid1(VALU_DEP_2)
	v_div_scale_f32 v91, null, v88, v88, v89
	v_div_scale_f32 v99, vcc_lo, v89, v88, v89
	v_rcp_f32_e32 v97, v91
	v_nop
	s_delay_alu instid0(TRANS32_DEP_1) | instskip(NEXT) | instid1(VALU_DEP_1)
	v_fma_f32 v98, -v91, v97, 1.0
	v_fmac_f32_e32 v97, v98, v97
	s_delay_alu instid0(VALU_DEP_1) | instskip(NEXT) | instid1(VALU_DEP_1)
	v_mul_f32_e32 v98, v99, v97
	v_fma_f32 v100, -v91, v98, v99
	s_delay_alu instid0(VALU_DEP_1) | instskip(NEXT) | instid1(VALU_DEP_1)
	v_fmac_f32_e32 v98, v100, v97
	v_fma_f32 v91, -v91, v98, v99
	s_delay_alu instid0(VALU_DEP_1) | instskip(NEXT) | instid1(VALU_DEP_1)
	v_div_fmas_f32 v91, v91, v97, v98
	v_div_fixup_f32 v91, v91, v88, v89
	s_delay_alu instid0(VALU_DEP_1) | instskip(NEXT) | instid1(VALU_DEP_1)
	v_fmac_f32_e32 v88, v89, v91
	v_div_scale_f32 v89, null, v88, v88, 1.0
	s_delay_alu instid0(VALU_DEP_1) | instskip(SKIP_1) | instid1(TRANS32_DEP_1)
	v_rcp_f32_e32 v97, v89
	v_nop
	v_fma_f32 v98, -v89, v97, 1.0
	s_delay_alu instid0(VALU_DEP_1) | instskip(SKIP_1) | instid1(VALU_DEP_1)
	v_fmac_f32_e32 v97, v98, v97
	v_div_scale_f32 v98, vcc_lo, 1.0, v88, 1.0
	v_mul_f32_e32 v99, v98, v97
	s_delay_alu instid0(VALU_DEP_1) | instskip(NEXT) | instid1(VALU_DEP_1)
	v_fma_f32 v100, -v89, v99, v98
	v_fmac_f32_e32 v99, v100, v97
	s_delay_alu instid0(VALU_DEP_1) | instskip(NEXT) | instid1(VALU_DEP_1)
	v_fma_f32 v89, -v89, v99, v98
	v_div_fmas_f32 v89, v89, v97, v99
	s_delay_alu instid0(VALU_DEP_1) | instskip(NEXT) | instid1(VALU_DEP_1)
	v_div_fixup_f32 v88, v89, v88, 1.0
	v_mul_f32_e64 v89, v91, -v88
.LBB80_534:
	s_or_b32 exec_lo, exec_lo, s1
.LBB80_535:
	s_delay_alu instid0(SALU_CYCLE_1) | instskip(NEXT) | instid1(SALU_CYCLE_1)
	s_or_b32 exec_lo, exec_lo, s0
	s_mov_b32 s0, exec_lo
	v_cmpx_ne_u32_e64 v96, v90
	s_xor_b32 s0, exec_lo, s0
	s_cbranch_execz .LBB80_541
; %bb.536:
	s_mov_b32 s1, exec_lo
	v_cmpx_eq_u32_e32 25, v96
	s_cbranch_execz .LBB80_540
; %bb.537:
	v_cmp_ne_u32_e32 vcc_lo, 25, v90
	s_xor_b32 s12, s16, -1
	s_delay_alu instid0(SALU_CYCLE_1) | instskip(NEXT) | instid1(SALU_CYCLE_1)
	s_and_b32 s13, s12, vcc_lo
	s_and_saveexec_b32 s12, s13
	s_cbranch_execz .LBB80_539
; %bb.538:
	v_ashrrev_i32_e32 v91, 31, v90
	s_delay_alu instid0(VALU_DEP_1)
	v_lshl_add_u64 v[96:97], v[90:91], 2, v[4:5]
	s_clause 0x1
	global_load_b32 v91, v[96:97], off
	global_load_b32 v95, v[4:5], off offset:100
	s_wait_loadcnt 0x1
	global_store_b32 v[4:5], v91, off offset:100
	s_wait_loadcnt 0x0
	global_store_b32 v[96:97], v95, off
.LBB80_539:
	s_wait_xcnt 0x0
	s_or_b32 exec_lo, exec_lo, s12
	v_dual_mov_b32 v96, v90 :: v_dual_mov_b32 v95, v90
.LBB80_540:
	s_or_b32 exec_lo, exec_lo, s1
.LBB80_541:
	s_and_not1_saveexec_b32 s0, s0
	s_cbranch_execz .LBB80_543
; %bb.542:
	v_dual_mov_b32 v90, v50 :: v_dual_mov_b32 v91, v51
	v_dual_mov_b32 v96, v46 :: v_dual_mov_b32 v97, v47
	ds_store_2addr_b64 v92, v[90:91], v[96:97] offset0:26 offset1:27
	v_dual_mov_b32 v90, v42 :: v_dual_mov_b32 v91, v43
	v_dual_mov_b32 v96, v38 :: v_dual_mov_b32 v97, v39
	ds_store_2addr_b64 v92, v[90:91], v[96:97] offset0:28 offset1:29
	;; [unrolled: 3-line block ×7, first 2 shown]
	ds_store_b64 v92, v[86:87] offset:320
	v_mov_b32_e32 v96, 25
.LBB80_543:
	s_or_b32 exec_lo, exec_lo, s0
	s_delay_alu instid0(SALU_CYCLE_1)
	s_mov_b32 s0, exec_lo
	s_wait_storecnt_dscnt 0x0
	s_barrier_signal -1
	s_barrier_wait -1
	v_cmpx_lt_i32_e32 25, v96
	s_cbranch_execz .LBB80_545
; %bb.544:
	v_pk_mul_f32 v[98:99], v[88:89], v[48:49] op_sel:[1,1] op_sel_hi:[0,1]
	s_delay_alu instid0(VALU_DEP_1)
	v_pk_fma_f32 v[90:91], v[88:89], v[48:49], v[98:99] op_sel_hi:[1,0,1] neg_lo:[0,0,1] neg_hi:[0,0,1]
	v_pk_fma_f32 v[88:89], v[88:89], v[48:49], v[98:99] op_sel_hi:[1,0,1]
	ds_load_2addr_b64 v[98:101], v92 offset0:26 offset1:27
	v_dual_mov_b32 v48, v90 :: v_dual_mov_b32 v49, v89
	s_wait_dscnt 0x0
	v_pk_mul_f32 v[102:103], v[98:99], v[88:89] op_sel:[0,1]
	s_delay_alu instid0(VALU_DEP_1) | instskip(SKIP_1) | instid1(VALU_DEP_1)
	v_pk_fma_f32 v[104:105], v[98:99], v[90:91], v[102:103] op_sel:[0,0,1] op_sel_hi:[1,1,0] neg_lo:[0,0,1] neg_hi:[0,0,1]
	v_pk_fma_f32 v[98:99], v[98:99], v[90:91], v[102:103] op_sel:[0,0,1] op_sel_hi:[1,0,0]
	v_mov_b32_e32 v105, v99
	v_pk_mul_f32 v[98:99], v[100:101], v[88:89] op_sel:[0,1]
	s_delay_alu instid0(VALU_DEP_1) | instskip(SKIP_1) | instid1(VALU_DEP_1)
	v_pk_fma_f32 v[102:103], v[100:101], v[90:91], v[98:99] op_sel:[0,0,1] op_sel_hi:[1,1,0] neg_lo:[0,0,1] neg_hi:[0,0,1]
	v_pk_fma_f32 v[98:99], v[100:101], v[90:91], v[98:99] op_sel:[0,0,1] op_sel_hi:[1,0,0]
	v_mov_b32_e32 v103, v99
	ds_load_2addr_b64 v[98:101], v92 offset0:28 offset1:29
	v_pk_add_f32 v[50:51], v[50:51], v[104:105] neg_lo:[0,1] neg_hi:[0,1]
	v_pk_add_f32 v[46:47], v[46:47], v[102:103] neg_lo:[0,1] neg_hi:[0,1]
	s_wait_dscnt 0x0
	v_pk_mul_f32 v[102:103], v[98:99], v[88:89] op_sel:[0,1]
	s_delay_alu instid0(VALU_DEP_1) | instskip(SKIP_2) | instid1(VALU_DEP_2)
	v_pk_fma_f32 v[104:105], v[98:99], v[90:91], v[102:103] op_sel:[0,0,1] op_sel_hi:[1,1,0] neg_lo:[0,0,1] neg_hi:[0,0,1]
	v_pk_fma_f32 v[98:99], v[98:99], v[90:91], v[102:103] op_sel:[0,0,1] op_sel_hi:[1,0,0]
	v_dual_mul_f32 v102, v101, v89 :: v_dual_mov_b32 v98, v101
	v_dual_mov_b32 v105, v99 :: v_dual_mov_b32 v99, v100
	s_delay_alu instid0(VALU_DEP_2) | instskip(SKIP_1) | instid1(VALU_DEP_3)
	v_pk_fma_f32 v[102:103], v[100:101], v[48:49], v[102:103] op_sel_hi:[1,1,0] neg_lo:[0,0,1] neg_hi:[0,0,1]
	v_mul_f32_e32 v100, v101, v90
	v_pk_add_f32 v[42:43], v[42:43], v[104:105] neg_lo:[0,1] neg_hi:[0,1]
	s_delay_alu instid0(VALU_DEP_2) | instskip(NEXT) | instid1(VALU_DEP_1)
	v_pk_fma_f32 v[98:99], v[98:99], v[48:49], v[100:101] op_sel_hi:[1,1,0]
	v_mov_b32_e32 v103, v99
	ds_load_2addr_b64 v[98:101], v92 offset0:30 offset1:31
	v_pk_add_f32 v[38:39], v[38:39], v[102:103] neg_lo:[0,1] neg_hi:[0,1]
	s_wait_dscnt 0x0
	v_pk_mul_f32 v[102:103], v[98:99], v[88:89] op_sel:[0,1]
	s_delay_alu instid0(VALU_DEP_1) | instskip(SKIP_1) | instid1(VALU_DEP_1)
	v_pk_fma_f32 v[104:105], v[98:99], v[90:91], v[102:103] op_sel:[0,0,1] op_sel_hi:[1,1,0] neg_lo:[0,0,1] neg_hi:[0,0,1]
	v_pk_fma_f32 v[98:99], v[98:99], v[90:91], v[102:103] op_sel:[0,0,1] op_sel_hi:[1,0,0]
	v_mov_b32_e32 v105, v99
	v_pk_mul_f32 v[98:99], v[100:101], v[88:89] op_sel:[0,1]
	s_delay_alu instid0(VALU_DEP_1) | instskip(SKIP_1) | instid1(VALU_DEP_1)
	v_pk_fma_f32 v[102:103], v[100:101], v[90:91], v[98:99] op_sel:[0,0,1] op_sel_hi:[1,1,0] neg_lo:[0,0,1] neg_hi:[0,0,1]
	v_pk_fma_f32 v[98:99], v[100:101], v[90:91], v[98:99] op_sel:[0,0,1] op_sel_hi:[1,0,0]
	v_mov_b32_e32 v103, v99
	ds_load_2addr_b64 v[98:101], v92 offset0:32 offset1:33
	v_pk_add_f32 v[40:41], v[40:41], v[104:105] neg_lo:[0,1] neg_hi:[0,1]
	v_pk_add_f32 v[36:37], v[36:37], v[102:103] neg_lo:[0,1] neg_hi:[0,1]
	s_wait_dscnt 0x0
	v_pk_mul_f32 v[102:103], v[98:99], v[88:89] op_sel:[0,1]
	s_delay_alu instid0(VALU_DEP_1) | instskip(SKIP_1) | instid1(VALU_DEP_1)
	v_pk_fma_f32 v[104:105], v[98:99], v[90:91], v[102:103] op_sel:[0,0,1] op_sel_hi:[1,1,0] neg_lo:[0,0,1] neg_hi:[0,0,1]
	v_pk_fma_f32 v[98:99], v[98:99], v[90:91], v[102:103] op_sel:[0,0,1] op_sel_hi:[1,0,0]
	v_mov_b32_e32 v105, v99
	v_pk_mul_f32 v[98:99], v[100:101], v[88:89] op_sel:[0,1]
	s_delay_alu instid0(VALU_DEP_1) | instskip(SKIP_1) | instid1(VALU_DEP_1)
	v_pk_fma_f32 v[102:103], v[100:101], v[90:91], v[98:99] op_sel:[0,0,1] op_sel_hi:[1,1,0] neg_lo:[0,0,1] neg_hi:[0,0,1]
	v_pk_fma_f32 v[98:99], v[100:101], v[90:91], v[98:99] op_sel:[0,0,1] op_sel_hi:[1,0,0]
	v_mov_b32_e32 v103, v99
	ds_load_2addr_b64 v[98:101], v92 offset0:34 offset1:35
	v_pk_add_f32 v[14:15], v[14:15], v[104:105] neg_lo:[0,1] neg_hi:[0,1]
	v_pk_add_f32 v[10:11], v[10:11], v[102:103] neg_lo:[0,1] neg_hi:[0,1]
	s_wait_dscnt 0x0
	v_dual_mul_f32 v102, v99, v89 :: v_dual_mul_f32 v104, v99, v90
	s_delay_alu instid0(VALU_DEP_1) | instskip(NEXT) | instid1(VALU_DEP_2)
	v_pk_fma_f32 v[102:103], v[98:99], v[48:49], v[102:103] op_sel_hi:[1,1,0] neg_lo:[0,0,1] neg_hi:[0,0,1]
	v_pk_fma_f32 v[98:99], v[98:99], v[48:49], v[104:105] op_sel:[1,0,0] op_sel_hi:[0,1,0]
	s_delay_alu instid0(VALU_DEP_1) | instskip(SKIP_1) | instid1(VALU_DEP_2)
	v_mov_b32_e32 v103, v99
	v_pk_mul_f32 v[98:99], v[100:101], v[88:89] op_sel:[0,1]
	v_pk_add_f32 v[12:13], v[12:13], v[102:103] neg_lo:[0,1] neg_hi:[0,1]
	s_delay_alu instid0(VALU_DEP_2) | instskip(SKIP_1) | instid1(VALU_DEP_1)
	v_pk_fma_f32 v[102:103], v[100:101], v[90:91], v[98:99] op_sel:[0,0,1] op_sel_hi:[1,1,0] neg_lo:[0,0,1] neg_hi:[0,0,1]
	v_pk_fma_f32 v[98:99], v[100:101], v[90:91], v[98:99] op_sel:[0,0,1] op_sel_hi:[1,0,0]
	v_mov_b32_e32 v103, v99
	ds_load_2addr_b64 v[98:101], v92 offset0:36 offset1:37
	v_pk_add_f32 v[8:9], v[8:9], v[102:103] neg_lo:[0,1] neg_hi:[0,1]
	s_wait_dscnt 0x0
	v_pk_mul_f32 v[102:103], v[98:99], v[88:89] op_sel:[0,1]
	s_delay_alu instid0(VALU_DEP_1) | instskip(SKIP_1) | instid1(VALU_DEP_1)
	v_pk_fma_f32 v[104:105], v[98:99], v[90:91], v[102:103] op_sel:[0,0,1] op_sel_hi:[1,1,0] neg_lo:[0,0,1] neg_hi:[0,0,1]
	v_pk_fma_f32 v[98:99], v[98:99], v[90:91], v[102:103] op_sel:[0,0,1] op_sel_hi:[1,0,0]
	v_mov_b32_e32 v105, v99
	v_pk_mul_f32 v[98:99], v[100:101], v[88:89] op_sel:[0,1]
	s_delay_alu instid0(VALU_DEP_2) | instskip(NEXT) | instid1(VALU_DEP_2)
	v_pk_add_f32 v[6:7], v[6:7], v[104:105] neg_lo:[0,1] neg_hi:[0,1]
	v_pk_fma_f32 v[102:103], v[100:101], v[90:91], v[98:99] op_sel:[0,0,1] op_sel_hi:[1,1,0] neg_lo:[0,0,1] neg_hi:[0,0,1]
	v_pk_fma_f32 v[98:99], v[100:101], v[90:91], v[98:99] op_sel:[0,0,1] op_sel_hi:[1,0,0]
	s_delay_alu instid0(VALU_DEP_1) | instskip(SKIP_4) | instid1(VALU_DEP_1)
	v_mov_b32_e32 v103, v99
	ds_load_2addr_b64 v[98:101], v92 offset0:38 offset1:39
	v_pk_add_f32 v[44:45], v[44:45], v[102:103] neg_lo:[0,1] neg_hi:[0,1]
	s_wait_dscnt 0x0
	v_pk_mul_f32 v[102:103], v[98:99], v[88:89] op_sel:[0,1]
	v_pk_fma_f32 v[104:105], v[98:99], v[90:91], v[102:103] op_sel:[0,0,1] op_sel_hi:[1,1,0] neg_lo:[0,0,1] neg_hi:[0,0,1]
	v_pk_fma_f32 v[98:99], v[98:99], v[90:91], v[102:103] op_sel:[0,0,1] op_sel_hi:[1,0,0]
	v_dual_mul_f32 v102, v101, v89 :: v_dual_mov_b32 v98, v101
	s_delay_alu instid0(VALU_DEP_2) | instskip(NEXT) | instid1(VALU_DEP_2)
	v_dual_mov_b32 v105, v99 :: v_dual_mov_b32 v99, v100
	v_pk_fma_f32 v[102:103], v[100:101], v[48:49], v[102:103] op_sel_hi:[1,1,0] neg_lo:[0,0,1] neg_hi:[0,0,1]
	v_mul_f32_e32 v100, v101, v90
	s_delay_alu instid0(VALU_DEP_3) | instskip(NEXT) | instid1(VALU_DEP_2)
	v_pk_add_f32 v[22:23], v[22:23], v[104:105] neg_lo:[0,1] neg_hi:[0,1]
	v_pk_fma_f32 v[98:99], v[98:99], v[48:49], v[100:101] op_sel_hi:[1,1,0]
	s_delay_alu instid0(VALU_DEP_1) | instskip(SKIP_4) | instid1(VALU_DEP_1)
	v_mov_b32_e32 v103, v99
	ds_load_b64 v[98:99], v92 offset:320
	v_pk_add_f32 v[16:17], v[16:17], v[102:103] neg_lo:[0,1] neg_hi:[0,1]
	s_wait_dscnt 0x0
	v_pk_mul_f32 v[88:89], v[98:99], v[88:89] op_sel:[0,1]
	v_pk_fma_f32 v[100:101], v[98:99], v[90:91], v[88:89] op_sel:[0,0,1] op_sel_hi:[1,1,0] neg_lo:[0,0,1] neg_hi:[0,0,1]
	v_pk_fma_f32 v[88:89], v[98:99], v[90:91], v[88:89] op_sel:[0,0,1] op_sel_hi:[1,0,0]
	s_delay_alu instid0(VALU_DEP_1) | instskip(NEXT) | instid1(VALU_DEP_1)
	v_mov_b32_e32 v101, v89
	v_pk_add_f32 v[86:87], v[86:87], v[100:101] neg_lo:[0,1] neg_hi:[0,1]
.LBB80_545:
	s_or_b32 exec_lo, exec_lo, s0
	v_lshl_add_u32 v88, v96, 3, v92
	s_barrier_signal -1
	s_barrier_wait -1
	ds_store_b64 v88, v[50:51]
	s_wait_dscnt 0x0
	s_barrier_signal -1
	s_barrier_wait -1
	ds_load_b64 v[88:89], v92 offset:208
	v_mov_b32_e32 v90, 26
	s_cmp_lt_i32 s18, 28
	s_cbranch_scc1 .LBB80_548
; %bb.546:
	v_add3_u32 v91, v93, 0, 0xd8
	v_mov_b32_e32 v90, 26
	s_mov_b32 s0, 27
.LBB80_547:                             ; =>This Inner Loop Header: Depth=1
	ds_load_b64 v[98:99], v91
	s_wait_dscnt 0x1
	v_cmp_gt_f32_e32 vcc_lo, 0, v88
	v_cndmask_b32_e64 v100, v88, -v88, vcc_lo
	v_cmp_gt_f32_e32 vcc_lo, 0, v89
	v_cndmask_b32_e64 v102, v89, -v89, vcc_lo
	s_wait_dscnt 0x0
	v_cmp_gt_f32_e32 vcc_lo, 0, v98
	v_cndmask_b32_e64 v101, v98, -v98, vcc_lo
	v_cmp_gt_f32_e32 vcc_lo, 0, v99
	v_cndmask_b32_e64 v103, v99, -v99, vcc_lo
	s_delay_alu instid0(VALU_DEP_1) | instskip(NEXT) | instid1(VALU_DEP_1)
	v_pk_add_f32 v[100:101], v[100:101], v[102:103]
	v_cmp_lt_f32_e32 vcc_lo, v100, v101
	v_dual_cndmask_b32 v88, v88, v98 :: v_dual_add_nc_u32 v91, 8, v91
	v_cndmask_b32_e32 v89, v89, v99, vcc_lo
	v_cndmask_b32_e64 v90, v90, s0, vcc_lo
	s_add_co_i32 s0, s0, 1
	s_delay_alu instid0(SALU_CYCLE_1)
	s_cmp_lg_u32 s18, s0
	s_cbranch_scc1 .LBB80_547
.LBB80_548:
	s_wait_dscnt 0x0
	v_cmp_eq_f32_e32 vcc_lo, 0, v88
	v_cmp_eq_f32_e64 s0, 0, v89
	s_and_b32 s0, vcc_lo, s0
	s_delay_alu instid0(SALU_CYCLE_1) | instskip(NEXT) | instid1(SALU_CYCLE_1)
	s_and_saveexec_b32 s1, s0
	s_xor_b32 s0, exec_lo, s1
; %bb.549:
	v_cmp_ne_u32_e32 vcc_lo, 0, v94
	v_cndmask_b32_e32 v94, 27, v94, vcc_lo
; %bb.550:
	s_and_not1_saveexec_b32 s0, s0
	s_cbranch_execz .LBB80_556
; %bb.551:
	v_cmp_ngt_f32_e64 s1, |v88|, |v89|
	s_and_saveexec_b32 s12, s1
	s_delay_alu instid0(SALU_CYCLE_1)
	s_xor_b32 s1, exec_lo, s12
	s_cbranch_execz .LBB80_553
; %bb.552:
	v_div_scale_f32 v91, null, v89, v89, v88
	v_div_scale_f32 v99, vcc_lo, v88, v89, v88
	s_delay_alu instid0(VALU_DEP_2) | instskip(SKIP_1) | instid1(TRANS32_DEP_1)
	v_rcp_f32_e32 v97, v91
	v_nop
	v_fma_f32 v98, -v91, v97, 1.0
	s_delay_alu instid0(VALU_DEP_1) | instskip(NEXT) | instid1(VALU_DEP_1)
	v_fmac_f32_e32 v97, v98, v97
	v_mul_f32_e32 v98, v99, v97
	s_delay_alu instid0(VALU_DEP_1) | instskip(NEXT) | instid1(VALU_DEP_1)
	v_fma_f32 v100, -v91, v98, v99
	v_fmac_f32_e32 v98, v100, v97
	s_delay_alu instid0(VALU_DEP_1) | instskip(NEXT) | instid1(VALU_DEP_1)
	v_fma_f32 v91, -v91, v98, v99
	v_div_fmas_f32 v91, v91, v97, v98
	s_delay_alu instid0(VALU_DEP_1) | instskip(NEXT) | instid1(VALU_DEP_1)
	v_div_fixup_f32 v91, v91, v89, v88
	v_fmac_f32_e32 v89, v88, v91
	s_delay_alu instid0(VALU_DEP_1) | instskip(SKIP_1) | instid1(VALU_DEP_2)
	v_div_scale_f32 v88, null, v89, v89, 1.0
	v_div_scale_f32 v99, vcc_lo, 1.0, v89, 1.0
	v_rcp_f32_e32 v97, v88
	v_nop
	s_delay_alu instid0(TRANS32_DEP_1) | instskip(NEXT) | instid1(VALU_DEP_1)
	v_fma_f32 v98, -v88, v97, 1.0
	v_fmac_f32_e32 v97, v98, v97
	s_delay_alu instid0(VALU_DEP_1) | instskip(NEXT) | instid1(VALU_DEP_1)
	v_mul_f32_e32 v98, v99, v97
	v_fma_f32 v100, -v88, v98, v99
	s_delay_alu instid0(VALU_DEP_1) | instskip(NEXT) | instid1(VALU_DEP_1)
	v_fmac_f32_e32 v98, v100, v97
	v_fma_f32 v88, -v88, v98, v99
	s_delay_alu instid0(VALU_DEP_1) | instskip(NEXT) | instid1(VALU_DEP_1)
	v_div_fmas_f32 v88, v88, v97, v98
	v_div_fixup_f32 v89, v88, v89, 1.0
	s_delay_alu instid0(VALU_DEP_1)
	v_mul_f32_e32 v88, v91, v89
	v_xor_b32_e32 v89, 0x80000000, v89
.LBB80_553:
	s_and_not1_saveexec_b32 s1, s1
	s_cbranch_execz .LBB80_555
; %bb.554:
	s_delay_alu instid0(VALU_DEP_1) | instskip(SKIP_1) | instid1(VALU_DEP_2)
	v_div_scale_f32 v91, null, v88, v88, v89
	v_div_scale_f32 v99, vcc_lo, v89, v88, v89
	v_rcp_f32_e32 v97, v91
	v_nop
	s_delay_alu instid0(TRANS32_DEP_1) | instskip(NEXT) | instid1(VALU_DEP_1)
	v_fma_f32 v98, -v91, v97, 1.0
	v_fmac_f32_e32 v97, v98, v97
	s_delay_alu instid0(VALU_DEP_1) | instskip(NEXT) | instid1(VALU_DEP_1)
	v_mul_f32_e32 v98, v99, v97
	v_fma_f32 v100, -v91, v98, v99
	s_delay_alu instid0(VALU_DEP_1) | instskip(NEXT) | instid1(VALU_DEP_1)
	v_fmac_f32_e32 v98, v100, v97
	v_fma_f32 v91, -v91, v98, v99
	s_delay_alu instid0(VALU_DEP_1) | instskip(NEXT) | instid1(VALU_DEP_1)
	v_div_fmas_f32 v91, v91, v97, v98
	v_div_fixup_f32 v91, v91, v88, v89
	s_delay_alu instid0(VALU_DEP_1) | instskip(NEXT) | instid1(VALU_DEP_1)
	v_fmac_f32_e32 v88, v89, v91
	v_div_scale_f32 v89, null, v88, v88, 1.0
	s_delay_alu instid0(VALU_DEP_1) | instskip(SKIP_1) | instid1(TRANS32_DEP_1)
	v_rcp_f32_e32 v97, v89
	v_nop
	v_fma_f32 v98, -v89, v97, 1.0
	s_delay_alu instid0(VALU_DEP_1) | instskip(SKIP_1) | instid1(VALU_DEP_1)
	v_fmac_f32_e32 v97, v98, v97
	v_div_scale_f32 v98, vcc_lo, 1.0, v88, 1.0
	v_mul_f32_e32 v99, v98, v97
	s_delay_alu instid0(VALU_DEP_1) | instskip(NEXT) | instid1(VALU_DEP_1)
	v_fma_f32 v100, -v89, v99, v98
	v_fmac_f32_e32 v99, v100, v97
	s_delay_alu instid0(VALU_DEP_1) | instskip(NEXT) | instid1(VALU_DEP_1)
	v_fma_f32 v89, -v89, v99, v98
	v_div_fmas_f32 v89, v89, v97, v99
	s_delay_alu instid0(VALU_DEP_1) | instskip(NEXT) | instid1(VALU_DEP_1)
	v_div_fixup_f32 v88, v89, v88, 1.0
	v_mul_f32_e64 v89, v91, -v88
.LBB80_555:
	s_or_b32 exec_lo, exec_lo, s1
.LBB80_556:
	s_delay_alu instid0(SALU_CYCLE_1) | instskip(NEXT) | instid1(SALU_CYCLE_1)
	s_or_b32 exec_lo, exec_lo, s0
	s_mov_b32 s0, exec_lo
	v_cmpx_ne_u32_e64 v96, v90
	s_xor_b32 s0, exec_lo, s0
	s_cbranch_execz .LBB80_562
; %bb.557:
	s_mov_b32 s1, exec_lo
	v_cmpx_eq_u32_e32 26, v96
	s_cbranch_execz .LBB80_561
; %bb.558:
	v_cmp_ne_u32_e32 vcc_lo, 26, v90
	s_xor_b32 s12, s16, -1
	s_delay_alu instid0(SALU_CYCLE_1) | instskip(NEXT) | instid1(SALU_CYCLE_1)
	s_and_b32 s13, s12, vcc_lo
	s_and_saveexec_b32 s12, s13
	s_cbranch_execz .LBB80_560
; %bb.559:
	v_ashrrev_i32_e32 v91, 31, v90
	s_delay_alu instid0(VALU_DEP_1)
	v_lshl_add_u64 v[96:97], v[90:91], 2, v[4:5]
	s_clause 0x1
	global_load_b32 v91, v[96:97], off
	global_load_b32 v95, v[4:5], off offset:104
	s_wait_loadcnt 0x1
	global_store_b32 v[4:5], v91, off offset:104
	s_wait_loadcnt 0x0
	global_store_b32 v[96:97], v95, off
.LBB80_560:
	s_wait_xcnt 0x0
	s_or_b32 exec_lo, exec_lo, s12
	v_dual_mov_b32 v96, v90 :: v_dual_mov_b32 v95, v90
.LBB80_561:
	s_or_b32 exec_lo, exec_lo, s1
.LBB80_562:
	s_and_not1_saveexec_b32 s0, s0
	s_cbranch_execz .LBB80_564
; %bb.563:
	v_mov_b32_e32 v96, 26
	ds_store_2addr_b64 v92, v[46:47], v[42:43] offset0:27 offset1:28
	ds_store_2addr_b64 v92, v[38:39], v[40:41] offset0:29 offset1:30
	;; [unrolled: 1-line block ×7, first 2 shown]
.LBB80_564:
	s_or_b32 exec_lo, exec_lo, s0
	s_delay_alu instid0(SALU_CYCLE_1)
	s_mov_b32 s0, exec_lo
	s_wait_storecnt_dscnt 0x0
	s_barrier_signal -1
	s_barrier_wait -1
	v_cmpx_lt_i32_e32 26, v96
	s_cbranch_execz .LBB80_566
; %bb.565:
	v_pk_mul_f32 v[90:91], v[88:89], v[50:51] op_sel:[1,1] op_sel_hi:[0,1]
	s_delay_alu instid0(VALU_DEP_1)
	v_pk_fma_f32 v[98:99], v[88:89], v[50:51], v[90:91] op_sel_hi:[1,0,1] neg_lo:[0,0,1] neg_hi:[0,0,1]
	v_pk_fma_f32 v[100:101], v[88:89], v[50:51], v[90:91] op_sel_hi:[1,0,1]
	ds_load_2addr_b64 v[88:91], v92 offset0:27 offset1:28
	v_dual_mov_b32 v50, v98 :: v_dual_mov_b32 v51, v101
	s_wait_dscnt 0x0
	v_pk_mul_f32 v[102:103], v[88:89], v[100:101] op_sel:[0,1]
	s_delay_alu instid0(VALU_DEP_1) | instskip(SKIP_1) | instid1(VALU_DEP_1)
	v_pk_fma_f32 v[104:105], v[88:89], v[98:99], v[102:103] op_sel:[0,0,1] op_sel_hi:[1,1,0] neg_lo:[0,0,1] neg_hi:[0,0,1]
	v_pk_fma_f32 v[88:89], v[88:89], v[98:99], v[102:103] op_sel:[0,0,1] op_sel_hi:[1,0,0]
	v_mov_b32_e32 v105, v89
	v_pk_mul_f32 v[88:89], v[90:91], v[100:101] op_sel:[0,1]
	s_delay_alu instid0(VALU_DEP_1) | instskip(SKIP_1) | instid1(VALU_DEP_1)
	v_pk_fma_f32 v[102:103], v[90:91], v[98:99], v[88:89] op_sel:[0,0,1] op_sel_hi:[1,1,0] neg_lo:[0,0,1] neg_hi:[0,0,1]
	v_pk_fma_f32 v[88:89], v[90:91], v[98:99], v[88:89] op_sel:[0,0,1] op_sel_hi:[1,0,0]
	v_mov_b32_e32 v103, v89
	ds_load_2addr_b64 v[88:91], v92 offset0:29 offset1:30
	v_pk_add_f32 v[46:47], v[46:47], v[104:105] neg_lo:[0,1] neg_hi:[0,1]
	v_pk_add_f32 v[42:43], v[42:43], v[102:103] neg_lo:[0,1] neg_hi:[0,1]
	s_wait_dscnt 0x0
	v_pk_mul_f32 v[102:103], v[88:89], v[100:101] op_sel:[0,1]
	s_delay_alu instid0(VALU_DEP_1) | instskip(SKIP_2) | instid1(VALU_DEP_2)
	v_pk_fma_f32 v[104:105], v[88:89], v[98:99], v[102:103] op_sel:[0,0,1] op_sel_hi:[1,1,0] neg_lo:[0,0,1] neg_hi:[0,0,1]
	v_pk_fma_f32 v[88:89], v[88:89], v[98:99], v[102:103] op_sel:[0,0,1] op_sel_hi:[1,0,0]
	v_dual_mul_f32 v102, v91, v101 :: v_dual_mov_b32 v88, v91
	v_dual_mov_b32 v105, v89 :: v_dual_mov_b32 v89, v90
	s_delay_alu instid0(VALU_DEP_2) | instskip(SKIP_1) | instid1(VALU_DEP_3)
	v_pk_fma_f32 v[102:103], v[90:91], v[50:51], v[102:103] op_sel_hi:[1,1,0] neg_lo:[0,0,1] neg_hi:[0,0,1]
	v_mul_f32_e32 v90, v91, v98
	v_pk_add_f32 v[38:39], v[38:39], v[104:105] neg_lo:[0,1] neg_hi:[0,1]
	s_delay_alu instid0(VALU_DEP_2) | instskip(NEXT) | instid1(VALU_DEP_1)
	v_pk_fma_f32 v[88:89], v[88:89], v[50:51], v[90:91] op_sel_hi:[1,1,0]
	v_mov_b32_e32 v103, v89
	ds_load_2addr_b64 v[88:91], v92 offset0:31 offset1:32
	v_pk_add_f32 v[40:41], v[40:41], v[102:103] neg_lo:[0,1] neg_hi:[0,1]
	s_wait_dscnt 0x0
	v_pk_mul_f32 v[102:103], v[88:89], v[100:101] op_sel:[0,1]
	s_delay_alu instid0(VALU_DEP_1) | instskip(SKIP_1) | instid1(VALU_DEP_1)
	v_pk_fma_f32 v[104:105], v[88:89], v[98:99], v[102:103] op_sel:[0,0,1] op_sel_hi:[1,1,0] neg_lo:[0,0,1] neg_hi:[0,0,1]
	v_pk_fma_f32 v[88:89], v[88:89], v[98:99], v[102:103] op_sel:[0,0,1] op_sel_hi:[1,0,0]
	v_mov_b32_e32 v105, v89
	v_pk_mul_f32 v[88:89], v[90:91], v[100:101] op_sel:[0,1]
	s_delay_alu instid0(VALU_DEP_1) | instskip(SKIP_1) | instid1(VALU_DEP_1)
	v_pk_fma_f32 v[102:103], v[90:91], v[98:99], v[88:89] op_sel:[0,0,1] op_sel_hi:[1,1,0] neg_lo:[0,0,1] neg_hi:[0,0,1]
	v_pk_fma_f32 v[88:89], v[90:91], v[98:99], v[88:89] op_sel:[0,0,1] op_sel_hi:[1,0,0]
	v_mov_b32_e32 v103, v89
	ds_load_2addr_b64 v[88:91], v92 offset0:33 offset1:34
	v_pk_add_f32 v[36:37], v[36:37], v[104:105] neg_lo:[0,1] neg_hi:[0,1]
	v_pk_add_f32 v[14:15], v[14:15], v[102:103] neg_lo:[0,1] neg_hi:[0,1]
	s_wait_dscnt 0x0
	v_pk_mul_f32 v[102:103], v[88:89], v[100:101] op_sel:[0,1]
	s_delay_alu instid0(VALU_DEP_1) | instskip(SKIP_1) | instid1(VALU_DEP_1)
	v_pk_fma_f32 v[104:105], v[88:89], v[98:99], v[102:103] op_sel:[0,0,1] op_sel_hi:[1,1,0] neg_lo:[0,0,1] neg_hi:[0,0,1]
	v_pk_fma_f32 v[88:89], v[88:89], v[98:99], v[102:103] op_sel:[0,0,1] op_sel_hi:[1,0,0]
	v_mov_b32_e32 v105, v89
	v_pk_mul_f32 v[88:89], v[90:91], v[100:101] op_sel:[0,1]
	s_delay_alu instid0(VALU_DEP_1) | instskip(SKIP_1) | instid1(VALU_DEP_1)
	v_pk_fma_f32 v[102:103], v[90:91], v[98:99], v[88:89] op_sel:[0,0,1] op_sel_hi:[1,1,0] neg_lo:[0,0,1] neg_hi:[0,0,1]
	v_pk_fma_f32 v[88:89], v[90:91], v[98:99], v[88:89] op_sel:[0,0,1] op_sel_hi:[1,0,0]
	v_mov_b32_e32 v103, v89
	ds_load_2addr_b64 v[88:91], v92 offset0:35 offset1:36
	v_pk_add_f32 v[10:11], v[10:11], v[104:105] neg_lo:[0,1] neg_hi:[0,1]
	v_pk_add_f32 v[12:13], v[12:13], v[102:103] neg_lo:[0,1] neg_hi:[0,1]
	s_wait_dscnt 0x0
	v_dual_mul_f32 v102, v89, v101 :: v_dual_mul_f32 v104, v89, v98
	s_delay_alu instid0(VALU_DEP_1) | instskip(NEXT) | instid1(VALU_DEP_2)
	v_pk_fma_f32 v[102:103], v[88:89], v[50:51], v[102:103] op_sel_hi:[1,1,0] neg_lo:[0,0,1] neg_hi:[0,0,1]
	v_pk_fma_f32 v[88:89], v[88:89], v[50:51], v[104:105] op_sel:[1,0,0] op_sel_hi:[0,1,0]
	s_delay_alu instid0(VALU_DEP_1) | instskip(SKIP_1) | instid1(VALU_DEP_2)
	v_mov_b32_e32 v103, v89
	v_pk_mul_f32 v[88:89], v[90:91], v[100:101] op_sel:[0,1]
	v_pk_add_f32 v[8:9], v[8:9], v[102:103] neg_lo:[0,1] neg_hi:[0,1]
	s_delay_alu instid0(VALU_DEP_2) | instskip(SKIP_1) | instid1(VALU_DEP_1)
	v_pk_fma_f32 v[102:103], v[90:91], v[98:99], v[88:89] op_sel:[0,0,1] op_sel_hi:[1,1,0] neg_lo:[0,0,1] neg_hi:[0,0,1]
	v_pk_fma_f32 v[88:89], v[90:91], v[98:99], v[88:89] op_sel:[0,0,1] op_sel_hi:[1,0,0]
	v_mov_b32_e32 v103, v89
	ds_load_2addr_b64 v[88:91], v92 offset0:37 offset1:38
	v_pk_add_f32 v[6:7], v[6:7], v[102:103] neg_lo:[0,1] neg_hi:[0,1]
	s_wait_dscnt 0x0
	v_pk_mul_f32 v[102:103], v[88:89], v[100:101] op_sel:[0,1]
	s_delay_alu instid0(VALU_DEP_1) | instskip(SKIP_1) | instid1(VALU_DEP_1)
	v_pk_fma_f32 v[104:105], v[88:89], v[98:99], v[102:103] op_sel:[0,0,1] op_sel_hi:[1,1,0] neg_lo:[0,0,1] neg_hi:[0,0,1]
	v_pk_fma_f32 v[88:89], v[88:89], v[98:99], v[102:103] op_sel:[0,0,1] op_sel_hi:[1,0,0]
	v_mov_b32_e32 v105, v89
	v_pk_mul_f32 v[88:89], v[90:91], v[100:101] op_sel:[0,1]
	s_delay_alu instid0(VALU_DEP_2) | instskip(NEXT) | instid1(VALU_DEP_2)
	v_pk_add_f32 v[44:45], v[44:45], v[104:105] neg_lo:[0,1] neg_hi:[0,1]
	v_pk_fma_f32 v[102:103], v[90:91], v[98:99], v[88:89] op_sel:[0,0,1] op_sel_hi:[1,1,0] neg_lo:[0,0,1] neg_hi:[0,0,1]
	v_pk_fma_f32 v[88:89], v[90:91], v[98:99], v[88:89] op_sel:[0,0,1] op_sel_hi:[1,0,0]
	s_delay_alu instid0(VALU_DEP_1) | instskip(SKIP_4) | instid1(VALU_DEP_1)
	v_mov_b32_e32 v103, v89
	ds_load_2addr_b64 v[88:91], v92 offset0:39 offset1:40
	v_pk_add_f32 v[22:23], v[22:23], v[102:103] neg_lo:[0,1] neg_hi:[0,1]
	s_wait_dscnt 0x0
	v_pk_mul_f32 v[102:103], v[88:89], v[100:101] op_sel:[0,1]
	v_pk_fma_f32 v[104:105], v[88:89], v[98:99], v[102:103] op_sel:[0,0,1] op_sel_hi:[1,1,0] neg_lo:[0,0,1] neg_hi:[0,0,1]
	v_pk_fma_f32 v[88:89], v[88:89], v[98:99], v[102:103] op_sel:[0,0,1] op_sel_hi:[1,0,0]
	s_delay_alu instid0(VALU_DEP_1) | instskip(SKIP_1) | instid1(VALU_DEP_2)
	v_mov_b32_e32 v105, v89
	v_pk_mul_f32 v[88:89], v[90:91], v[100:101] op_sel:[0,1]
	v_pk_add_f32 v[16:17], v[16:17], v[104:105] neg_lo:[0,1] neg_hi:[0,1]
	s_delay_alu instid0(VALU_DEP_2) | instskip(SKIP_1) | instid1(VALU_DEP_1)
	v_pk_fma_f32 v[100:101], v[90:91], v[98:99], v[88:89] op_sel:[0,0,1] op_sel_hi:[1,1,0] neg_lo:[0,0,1] neg_hi:[0,0,1]
	v_pk_fma_f32 v[88:89], v[90:91], v[98:99], v[88:89] op_sel:[0,0,1] op_sel_hi:[1,0,0]
	v_mov_b32_e32 v101, v89
	s_delay_alu instid0(VALU_DEP_1)
	v_pk_add_f32 v[86:87], v[86:87], v[100:101] neg_lo:[0,1] neg_hi:[0,1]
.LBB80_566:
	s_or_b32 exec_lo, exec_lo, s0
	v_lshl_add_u32 v88, v96, 3, v92
	s_barrier_signal -1
	s_barrier_wait -1
	ds_store_b64 v88, v[46:47]
	s_wait_dscnt 0x0
	s_barrier_signal -1
	s_barrier_wait -1
	ds_load_b64 v[88:89], v92 offset:216
	v_mov_b32_e32 v90, 27
	s_cmp_lt_i32 s18, 29
	s_cbranch_scc1 .LBB80_569
; %bb.567:
	v_add3_u32 v91, v93, 0, 0xe0
	v_mov_b32_e32 v90, 27
	s_mov_b32 s0, 28
.LBB80_568:                             ; =>This Inner Loop Header: Depth=1
	ds_load_b64 v[98:99], v91
	s_wait_dscnt 0x1
	v_cmp_gt_f32_e32 vcc_lo, 0, v88
	v_cndmask_b32_e64 v100, v88, -v88, vcc_lo
	v_cmp_gt_f32_e32 vcc_lo, 0, v89
	v_cndmask_b32_e64 v102, v89, -v89, vcc_lo
	s_wait_dscnt 0x0
	v_cmp_gt_f32_e32 vcc_lo, 0, v98
	v_cndmask_b32_e64 v101, v98, -v98, vcc_lo
	v_cmp_gt_f32_e32 vcc_lo, 0, v99
	v_cndmask_b32_e64 v103, v99, -v99, vcc_lo
	s_delay_alu instid0(VALU_DEP_1) | instskip(NEXT) | instid1(VALU_DEP_1)
	v_pk_add_f32 v[100:101], v[100:101], v[102:103]
	v_cmp_lt_f32_e32 vcc_lo, v100, v101
	v_dual_cndmask_b32 v88, v88, v98 :: v_dual_add_nc_u32 v91, 8, v91
	v_cndmask_b32_e32 v89, v89, v99, vcc_lo
	v_cndmask_b32_e64 v90, v90, s0, vcc_lo
	s_add_co_i32 s0, s0, 1
	s_delay_alu instid0(SALU_CYCLE_1)
	s_cmp_lg_u32 s18, s0
	s_cbranch_scc1 .LBB80_568
.LBB80_569:
	s_wait_dscnt 0x0
	v_cmp_eq_f32_e32 vcc_lo, 0, v88
	v_cmp_eq_f32_e64 s0, 0, v89
	s_and_b32 s0, vcc_lo, s0
	s_delay_alu instid0(SALU_CYCLE_1) | instskip(NEXT) | instid1(SALU_CYCLE_1)
	s_and_saveexec_b32 s1, s0
	s_xor_b32 s0, exec_lo, s1
; %bb.570:
	v_cmp_ne_u32_e32 vcc_lo, 0, v94
	v_cndmask_b32_e32 v94, 28, v94, vcc_lo
; %bb.571:
	s_and_not1_saveexec_b32 s0, s0
	s_cbranch_execz .LBB80_577
; %bb.572:
	v_cmp_ngt_f32_e64 s1, |v88|, |v89|
	s_and_saveexec_b32 s12, s1
	s_delay_alu instid0(SALU_CYCLE_1)
	s_xor_b32 s1, exec_lo, s12
	s_cbranch_execz .LBB80_574
; %bb.573:
	v_div_scale_f32 v91, null, v89, v89, v88
	v_div_scale_f32 v99, vcc_lo, v88, v89, v88
	s_delay_alu instid0(VALU_DEP_2) | instskip(SKIP_1) | instid1(TRANS32_DEP_1)
	v_rcp_f32_e32 v97, v91
	v_nop
	v_fma_f32 v98, -v91, v97, 1.0
	s_delay_alu instid0(VALU_DEP_1) | instskip(NEXT) | instid1(VALU_DEP_1)
	v_fmac_f32_e32 v97, v98, v97
	v_mul_f32_e32 v98, v99, v97
	s_delay_alu instid0(VALU_DEP_1) | instskip(NEXT) | instid1(VALU_DEP_1)
	v_fma_f32 v100, -v91, v98, v99
	v_fmac_f32_e32 v98, v100, v97
	s_delay_alu instid0(VALU_DEP_1) | instskip(NEXT) | instid1(VALU_DEP_1)
	v_fma_f32 v91, -v91, v98, v99
	v_div_fmas_f32 v91, v91, v97, v98
	s_delay_alu instid0(VALU_DEP_1) | instskip(NEXT) | instid1(VALU_DEP_1)
	v_div_fixup_f32 v91, v91, v89, v88
	v_fmac_f32_e32 v89, v88, v91
	s_delay_alu instid0(VALU_DEP_1) | instskip(SKIP_1) | instid1(VALU_DEP_2)
	v_div_scale_f32 v88, null, v89, v89, 1.0
	v_div_scale_f32 v99, vcc_lo, 1.0, v89, 1.0
	v_rcp_f32_e32 v97, v88
	v_nop
	s_delay_alu instid0(TRANS32_DEP_1) | instskip(NEXT) | instid1(VALU_DEP_1)
	v_fma_f32 v98, -v88, v97, 1.0
	v_fmac_f32_e32 v97, v98, v97
	s_delay_alu instid0(VALU_DEP_1) | instskip(NEXT) | instid1(VALU_DEP_1)
	v_mul_f32_e32 v98, v99, v97
	v_fma_f32 v100, -v88, v98, v99
	s_delay_alu instid0(VALU_DEP_1) | instskip(NEXT) | instid1(VALU_DEP_1)
	v_fmac_f32_e32 v98, v100, v97
	v_fma_f32 v88, -v88, v98, v99
	s_delay_alu instid0(VALU_DEP_1) | instskip(NEXT) | instid1(VALU_DEP_1)
	v_div_fmas_f32 v88, v88, v97, v98
	v_div_fixup_f32 v89, v88, v89, 1.0
	s_delay_alu instid0(VALU_DEP_1)
	v_mul_f32_e32 v88, v91, v89
	v_xor_b32_e32 v89, 0x80000000, v89
.LBB80_574:
	s_and_not1_saveexec_b32 s1, s1
	s_cbranch_execz .LBB80_576
; %bb.575:
	s_delay_alu instid0(VALU_DEP_1) | instskip(SKIP_1) | instid1(VALU_DEP_2)
	v_div_scale_f32 v91, null, v88, v88, v89
	v_div_scale_f32 v99, vcc_lo, v89, v88, v89
	v_rcp_f32_e32 v97, v91
	v_nop
	s_delay_alu instid0(TRANS32_DEP_1) | instskip(NEXT) | instid1(VALU_DEP_1)
	v_fma_f32 v98, -v91, v97, 1.0
	v_fmac_f32_e32 v97, v98, v97
	s_delay_alu instid0(VALU_DEP_1) | instskip(NEXT) | instid1(VALU_DEP_1)
	v_mul_f32_e32 v98, v99, v97
	v_fma_f32 v100, -v91, v98, v99
	s_delay_alu instid0(VALU_DEP_1) | instskip(NEXT) | instid1(VALU_DEP_1)
	v_fmac_f32_e32 v98, v100, v97
	v_fma_f32 v91, -v91, v98, v99
	s_delay_alu instid0(VALU_DEP_1) | instskip(NEXT) | instid1(VALU_DEP_1)
	v_div_fmas_f32 v91, v91, v97, v98
	v_div_fixup_f32 v91, v91, v88, v89
	s_delay_alu instid0(VALU_DEP_1) | instskip(NEXT) | instid1(VALU_DEP_1)
	v_fmac_f32_e32 v88, v89, v91
	v_div_scale_f32 v89, null, v88, v88, 1.0
	s_delay_alu instid0(VALU_DEP_1) | instskip(SKIP_1) | instid1(TRANS32_DEP_1)
	v_rcp_f32_e32 v97, v89
	v_nop
	v_fma_f32 v98, -v89, v97, 1.0
	s_delay_alu instid0(VALU_DEP_1) | instskip(SKIP_1) | instid1(VALU_DEP_1)
	v_fmac_f32_e32 v97, v98, v97
	v_div_scale_f32 v98, vcc_lo, 1.0, v88, 1.0
	v_mul_f32_e32 v99, v98, v97
	s_delay_alu instid0(VALU_DEP_1) | instskip(NEXT) | instid1(VALU_DEP_1)
	v_fma_f32 v100, -v89, v99, v98
	v_fmac_f32_e32 v99, v100, v97
	s_delay_alu instid0(VALU_DEP_1) | instskip(NEXT) | instid1(VALU_DEP_1)
	v_fma_f32 v89, -v89, v99, v98
	v_div_fmas_f32 v89, v89, v97, v99
	s_delay_alu instid0(VALU_DEP_1) | instskip(NEXT) | instid1(VALU_DEP_1)
	v_div_fixup_f32 v88, v89, v88, 1.0
	v_mul_f32_e64 v89, v91, -v88
.LBB80_576:
	s_or_b32 exec_lo, exec_lo, s1
.LBB80_577:
	s_delay_alu instid0(SALU_CYCLE_1) | instskip(NEXT) | instid1(SALU_CYCLE_1)
	s_or_b32 exec_lo, exec_lo, s0
	s_mov_b32 s0, exec_lo
	v_cmpx_ne_u32_e64 v96, v90
	s_xor_b32 s0, exec_lo, s0
	s_cbranch_execz .LBB80_583
; %bb.578:
	s_mov_b32 s1, exec_lo
	v_cmpx_eq_u32_e32 27, v96
	s_cbranch_execz .LBB80_582
; %bb.579:
	v_cmp_ne_u32_e32 vcc_lo, 27, v90
	s_xor_b32 s12, s16, -1
	s_delay_alu instid0(SALU_CYCLE_1) | instskip(NEXT) | instid1(SALU_CYCLE_1)
	s_and_b32 s13, s12, vcc_lo
	s_and_saveexec_b32 s12, s13
	s_cbranch_execz .LBB80_581
; %bb.580:
	v_ashrrev_i32_e32 v91, 31, v90
	s_delay_alu instid0(VALU_DEP_1)
	v_lshl_add_u64 v[96:97], v[90:91], 2, v[4:5]
	s_clause 0x1
	global_load_b32 v91, v[96:97], off
	global_load_b32 v95, v[4:5], off offset:108
	s_wait_loadcnt 0x1
	global_store_b32 v[4:5], v91, off offset:108
	s_wait_loadcnt 0x0
	global_store_b32 v[96:97], v95, off
.LBB80_581:
	s_wait_xcnt 0x0
	s_or_b32 exec_lo, exec_lo, s12
	v_dual_mov_b32 v96, v90 :: v_dual_mov_b32 v95, v90
.LBB80_582:
	s_or_b32 exec_lo, exec_lo, s1
.LBB80_583:
	s_and_not1_saveexec_b32 s0, s0
	s_cbranch_execz .LBB80_585
; %bb.584:
	v_dual_mov_b32 v90, v42 :: v_dual_mov_b32 v91, v43
	v_dual_mov_b32 v96, v38 :: v_dual_mov_b32 v97, v39
	;; [unrolled: 1-line block ×4, first 2 shown]
	ds_store_2addr_b64 v92, v[90:91], v[96:97] offset0:28 offset1:29
	ds_store_2addr_b64 v92, v[98:99], v[100:101] offset0:30 offset1:31
	v_dual_mov_b32 v90, v14 :: v_dual_mov_b32 v91, v15
	v_dual_mov_b32 v98, v10 :: v_dual_mov_b32 v99, v11
	;; [unrolled: 1-line block ×8, first 2 shown]
	v_mov_b32_e32 v111, v17
	ds_store_2addr_b64 v92, v[90:91], v[98:99] offset0:32 offset1:33
	ds_store_2addr_b64 v92, v[100:101], v[102:103] offset0:34 offset1:35
	;; [unrolled: 1-line block ×4, first 2 shown]
	ds_store_b64 v92, v[86:87] offset:320
.LBB80_585:
	s_or_b32 exec_lo, exec_lo, s0
	s_delay_alu instid0(SALU_CYCLE_1)
	s_mov_b32 s0, exec_lo
	s_wait_storecnt_dscnt 0x0
	s_barrier_signal -1
	s_barrier_wait -1
	v_cmpx_lt_i32_e32 27, v96
	s_cbranch_execz .LBB80_587
; %bb.586:
	v_pk_mul_f32 v[90:91], v[88:89], v[46:47] op_sel:[1,1] op_sel_hi:[0,1]
	s_delay_alu instid0(VALU_DEP_1)
	v_pk_fma_f32 v[98:99], v[88:89], v[46:47], v[90:91] op_sel_hi:[1,0,1] neg_lo:[0,0,1] neg_hi:[0,0,1]
	v_pk_fma_f32 v[100:101], v[88:89], v[46:47], v[90:91] op_sel_hi:[1,0,1]
	ds_load_2addr_b64 v[88:91], v92 offset0:28 offset1:29
	v_dual_mov_b32 v46, v98 :: v_dual_mov_b32 v47, v101
	s_wait_dscnt 0x0
	v_pk_mul_f32 v[102:103], v[88:89], v[100:101] op_sel:[0,1]
	s_delay_alu instid0(VALU_DEP_1) | instskip(SKIP_1) | instid1(VALU_DEP_1)
	v_pk_fma_f32 v[104:105], v[88:89], v[98:99], v[102:103] op_sel:[0,0,1] op_sel_hi:[1,1,0] neg_lo:[0,0,1] neg_hi:[0,0,1]
	v_pk_fma_f32 v[88:89], v[88:89], v[98:99], v[102:103] op_sel:[0,0,1] op_sel_hi:[1,0,0]
	v_mov_b32_e32 v105, v89
	v_pk_mul_f32 v[88:89], v[90:91], v[100:101] op_sel:[0,1]
	s_delay_alu instid0(VALU_DEP_1) | instskip(SKIP_1) | instid1(VALU_DEP_1)
	v_pk_fma_f32 v[102:103], v[90:91], v[98:99], v[88:89] op_sel:[0,0,1] op_sel_hi:[1,1,0] neg_lo:[0,0,1] neg_hi:[0,0,1]
	v_pk_fma_f32 v[88:89], v[90:91], v[98:99], v[88:89] op_sel:[0,0,1] op_sel_hi:[1,0,0]
	v_mov_b32_e32 v103, v89
	ds_load_2addr_b64 v[88:91], v92 offset0:30 offset1:31
	v_pk_add_f32 v[42:43], v[42:43], v[104:105] neg_lo:[0,1] neg_hi:[0,1]
	v_pk_add_f32 v[38:39], v[38:39], v[102:103] neg_lo:[0,1] neg_hi:[0,1]
	s_wait_dscnt 0x0
	v_pk_mul_f32 v[102:103], v[88:89], v[100:101] op_sel:[0,1]
	s_delay_alu instid0(VALU_DEP_1) | instskip(SKIP_2) | instid1(VALU_DEP_2)
	v_pk_fma_f32 v[104:105], v[88:89], v[98:99], v[102:103] op_sel:[0,0,1] op_sel_hi:[1,1,0] neg_lo:[0,0,1] neg_hi:[0,0,1]
	v_pk_fma_f32 v[88:89], v[88:89], v[98:99], v[102:103] op_sel:[0,0,1] op_sel_hi:[1,0,0]
	v_dual_mul_f32 v102, v91, v101 :: v_dual_mov_b32 v88, v91
	v_dual_mov_b32 v105, v89 :: v_dual_mov_b32 v89, v90
	s_delay_alu instid0(VALU_DEP_2) | instskip(SKIP_1) | instid1(VALU_DEP_3)
	v_pk_fma_f32 v[102:103], v[90:91], v[46:47], v[102:103] op_sel_hi:[1,1,0] neg_lo:[0,0,1] neg_hi:[0,0,1]
	v_mul_f32_e32 v90, v91, v98
	v_pk_add_f32 v[40:41], v[40:41], v[104:105] neg_lo:[0,1] neg_hi:[0,1]
	s_delay_alu instid0(VALU_DEP_2) | instskip(NEXT) | instid1(VALU_DEP_1)
	v_pk_fma_f32 v[88:89], v[88:89], v[46:47], v[90:91] op_sel_hi:[1,1,0]
	v_mov_b32_e32 v103, v89
	ds_load_2addr_b64 v[88:91], v92 offset0:32 offset1:33
	v_pk_add_f32 v[36:37], v[36:37], v[102:103] neg_lo:[0,1] neg_hi:[0,1]
	s_wait_dscnt 0x0
	v_pk_mul_f32 v[102:103], v[88:89], v[100:101] op_sel:[0,1]
	s_delay_alu instid0(VALU_DEP_1) | instskip(SKIP_1) | instid1(VALU_DEP_1)
	v_pk_fma_f32 v[104:105], v[88:89], v[98:99], v[102:103] op_sel:[0,0,1] op_sel_hi:[1,1,0] neg_lo:[0,0,1] neg_hi:[0,0,1]
	v_pk_fma_f32 v[88:89], v[88:89], v[98:99], v[102:103] op_sel:[0,0,1] op_sel_hi:[1,0,0]
	v_mov_b32_e32 v105, v89
	v_pk_mul_f32 v[88:89], v[90:91], v[100:101] op_sel:[0,1]
	s_delay_alu instid0(VALU_DEP_1) | instskip(SKIP_1) | instid1(VALU_DEP_1)
	v_pk_fma_f32 v[102:103], v[90:91], v[98:99], v[88:89] op_sel:[0,0,1] op_sel_hi:[1,1,0] neg_lo:[0,0,1] neg_hi:[0,0,1]
	v_pk_fma_f32 v[88:89], v[90:91], v[98:99], v[88:89] op_sel:[0,0,1] op_sel_hi:[1,0,0]
	v_mov_b32_e32 v103, v89
	ds_load_2addr_b64 v[88:91], v92 offset0:34 offset1:35
	v_pk_add_f32 v[14:15], v[14:15], v[104:105] neg_lo:[0,1] neg_hi:[0,1]
	v_pk_add_f32 v[10:11], v[10:11], v[102:103] neg_lo:[0,1] neg_hi:[0,1]
	s_wait_dscnt 0x0
	v_pk_mul_f32 v[102:103], v[88:89], v[100:101] op_sel:[0,1]
	s_delay_alu instid0(VALU_DEP_1) | instskip(SKIP_1) | instid1(VALU_DEP_1)
	v_pk_fma_f32 v[104:105], v[88:89], v[98:99], v[102:103] op_sel:[0,0,1] op_sel_hi:[1,1,0] neg_lo:[0,0,1] neg_hi:[0,0,1]
	v_pk_fma_f32 v[88:89], v[88:89], v[98:99], v[102:103] op_sel:[0,0,1] op_sel_hi:[1,0,0]
	v_mov_b32_e32 v105, v89
	v_pk_mul_f32 v[88:89], v[90:91], v[100:101] op_sel:[0,1]
	s_delay_alu instid0(VALU_DEP_1) | instskip(SKIP_1) | instid1(VALU_DEP_1)
	v_pk_fma_f32 v[102:103], v[90:91], v[98:99], v[88:89] op_sel:[0,0,1] op_sel_hi:[1,1,0] neg_lo:[0,0,1] neg_hi:[0,0,1]
	v_pk_fma_f32 v[88:89], v[90:91], v[98:99], v[88:89] op_sel:[0,0,1] op_sel_hi:[1,0,0]
	v_mov_b32_e32 v103, v89
	ds_load_2addr_b64 v[88:91], v92 offset0:36 offset1:37
	v_pk_add_f32 v[12:13], v[12:13], v[104:105] neg_lo:[0,1] neg_hi:[0,1]
	v_pk_add_f32 v[8:9], v[8:9], v[102:103] neg_lo:[0,1] neg_hi:[0,1]
	s_wait_dscnt 0x0
	v_dual_mul_f32 v102, v89, v101 :: v_dual_mul_f32 v104, v89, v98
	s_delay_alu instid0(VALU_DEP_1) | instskip(NEXT) | instid1(VALU_DEP_2)
	v_pk_fma_f32 v[102:103], v[88:89], v[46:47], v[102:103] op_sel_hi:[1,1,0] neg_lo:[0,0,1] neg_hi:[0,0,1]
	v_pk_fma_f32 v[88:89], v[88:89], v[46:47], v[104:105] op_sel:[1,0,0] op_sel_hi:[0,1,0]
	s_delay_alu instid0(VALU_DEP_1) | instskip(SKIP_1) | instid1(VALU_DEP_2)
	v_mov_b32_e32 v103, v89
	v_pk_mul_f32 v[88:89], v[90:91], v[100:101] op_sel:[0,1]
	v_pk_add_f32 v[6:7], v[6:7], v[102:103] neg_lo:[0,1] neg_hi:[0,1]
	s_delay_alu instid0(VALU_DEP_2) | instskip(SKIP_1) | instid1(VALU_DEP_1)
	v_pk_fma_f32 v[102:103], v[90:91], v[98:99], v[88:89] op_sel:[0,0,1] op_sel_hi:[1,1,0] neg_lo:[0,0,1] neg_hi:[0,0,1]
	v_pk_fma_f32 v[88:89], v[90:91], v[98:99], v[88:89] op_sel:[0,0,1] op_sel_hi:[1,0,0]
	v_mov_b32_e32 v103, v89
	ds_load_2addr_b64 v[88:91], v92 offset0:38 offset1:39
	v_pk_add_f32 v[44:45], v[44:45], v[102:103] neg_lo:[0,1] neg_hi:[0,1]
	s_wait_dscnt 0x0
	v_pk_mul_f32 v[102:103], v[88:89], v[100:101] op_sel:[0,1]
	s_delay_alu instid0(VALU_DEP_1) | instskip(SKIP_1) | instid1(VALU_DEP_1)
	v_pk_fma_f32 v[104:105], v[88:89], v[98:99], v[102:103] op_sel:[0,0,1] op_sel_hi:[1,1,0] neg_lo:[0,0,1] neg_hi:[0,0,1]
	v_pk_fma_f32 v[88:89], v[88:89], v[98:99], v[102:103] op_sel:[0,0,1] op_sel_hi:[1,0,0]
	v_mov_b32_e32 v105, v89
	v_pk_mul_f32 v[88:89], v[90:91], v[100:101] op_sel:[0,1]
	s_delay_alu instid0(VALU_DEP_2) | instskip(NEXT) | instid1(VALU_DEP_2)
	v_pk_add_f32 v[22:23], v[22:23], v[104:105] neg_lo:[0,1] neg_hi:[0,1]
	v_pk_fma_f32 v[102:103], v[90:91], v[98:99], v[88:89] op_sel:[0,0,1] op_sel_hi:[1,1,0] neg_lo:[0,0,1] neg_hi:[0,0,1]
	v_pk_fma_f32 v[88:89], v[90:91], v[98:99], v[88:89] op_sel:[0,0,1] op_sel_hi:[1,0,0]
	s_delay_alu instid0(VALU_DEP_1) | instskip(SKIP_4) | instid1(VALU_DEP_1)
	v_mov_b32_e32 v103, v89
	ds_load_b64 v[88:89], v92 offset:320
	v_pk_add_f32 v[16:17], v[16:17], v[102:103] neg_lo:[0,1] neg_hi:[0,1]
	s_wait_dscnt 0x0
	v_pk_mul_f32 v[90:91], v[88:89], v[100:101] op_sel:[0,1]
	v_pk_fma_f32 v[100:101], v[88:89], v[98:99], v[90:91] op_sel:[0,0,1] op_sel_hi:[1,1,0] neg_lo:[0,0,1] neg_hi:[0,0,1]
	v_pk_fma_f32 v[88:89], v[88:89], v[98:99], v[90:91] op_sel:[0,0,1] op_sel_hi:[1,0,0]
	s_delay_alu instid0(VALU_DEP_1) | instskip(NEXT) | instid1(VALU_DEP_1)
	v_mov_b32_e32 v101, v89
	v_pk_add_f32 v[86:87], v[86:87], v[100:101] neg_lo:[0,1] neg_hi:[0,1]
.LBB80_587:
	s_or_b32 exec_lo, exec_lo, s0
	v_lshl_add_u32 v88, v96, 3, v92
	s_barrier_signal -1
	s_barrier_wait -1
	ds_store_b64 v88, v[42:43]
	s_wait_dscnt 0x0
	s_barrier_signal -1
	s_barrier_wait -1
	ds_load_b64 v[88:89], v92 offset:224
	v_mov_b32_e32 v90, 28
	s_cmp_lt_i32 s18, 30
	s_cbranch_scc1 .LBB80_590
; %bb.588:
	v_add3_u32 v91, v93, 0, 0xe8
	v_mov_b32_e32 v90, 28
	s_mov_b32 s0, 29
.LBB80_589:                             ; =>This Inner Loop Header: Depth=1
	ds_load_b64 v[98:99], v91
	s_wait_dscnt 0x1
	v_cmp_gt_f32_e32 vcc_lo, 0, v88
	v_cndmask_b32_e64 v100, v88, -v88, vcc_lo
	v_cmp_gt_f32_e32 vcc_lo, 0, v89
	v_cndmask_b32_e64 v102, v89, -v89, vcc_lo
	s_wait_dscnt 0x0
	v_cmp_gt_f32_e32 vcc_lo, 0, v98
	v_cndmask_b32_e64 v101, v98, -v98, vcc_lo
	v_cmp_gt_f32_e32 vcc_lo, 0, v99
	v_cndmask_b32_e64 v103, v99, -v99, vcc_lo
	s_delay_alu instid0(VALU_DEP_1) | instskip(NEXT) | instid1(VALU_DEP_1)
	v_pk_add_f32 v[100:101], v[100:101], v[102:103]
	v_cmp_lt_f32_e32 vcc_lo, v100, v101
	v_dual_cndmask_b32 v88, v88, v98 :: v_dual_add_nc_u32 v91, 8, v91
	v_cndmask_b32_e32 v89, v89, v99, vcc_lo
	v_cndmask_b32_e64 v90, v90, s0, vcc_lo
	s_add_co_i32 s0, s0, 1
	s_delay_alu instid0(SALU_CYCLE_1)
	s_cmp_lg_u32 s18, s0
	s_cbranch_scc1 .LBB80_589
.LBB80_590:
	s_wait_dscnt 0x0
	v_cmp_eq_f32_e32 vcc_lo, 0, v88
	v_cmp_eq_f32_e64 s0, 0, v89
	s_and_b32 s0, vcc_lo, s0
	s_delay_alu instid0(SALU_CYCLE_1) | instskip(NEXT) | instid1(SALU_CYCLE_1)
	s_and_saveexec_b32 s1, s0
	s_xor_b32 s0, exec_lo, s1
; %bb.591:
	v_cmp_ne_u32_e32 vcc_lo, 0, v94
	v_cndmask_b32_e32 v94, 29, v94, vcc_lo
; %bb.592:
	s_and_not1_saveexec_b32 s0, s0
	s_cbranch_execz .LBB80_598
; %bb.593:
	v_cmp_ngt_f32_e64 s1, |v88|, |v89|
	s_and_saveexec_b32 s12, s1
	s_delay_alu instid0(SALU_CYCLE_1)
	s_xor_b32 s1, exec_lo, s12
	s_cbranch_execz .LBB80_595
; %bb.594:
	v_div_scale_f32 v91, null, v89, v89, v88
	v_div_scale_f32 v99, vcc_lo, v88, v89, v88
	s_delay_alu instid0(VALU_DEP_2) | instskip(SKIP_1) | instid1(TRANS32_DEP_1)
	v_rcp_f32_e32 v97, v91
	v_nop
	v_fma_f32 v98, -v91, v97, 1.0
	s_delay_alu instid0(VALU_DEP_1) | instskip(NEXT) | instid1(VALU_DEP_1)
	v_fmac_f32_e32 v97, v98, v97
	v_mul_f32_e32 v98, v99, v97
	s_delay_alu instid0(VALU_DEP_1) | instskip(NEXT) | instid1(VALU_DEP_1)
	v_fma_f32 v100, -v91, v98, v99
	v_fmac_f32_e32 v98, v100, v97
	s_delay_alu instid0(VALU_DEP_1) | instskip(NEXT) | instid1(VALU_DEP_1)
	v_fma_f32 v91, -v91, v98, v99
	v_div_fmas_f32 v91, v91, v97, v98
	s_delay_alu instid0(VALU_DEP_1) | instskip(NEXT) | instid1(VALU_DEP_1)
	v_div_fixup_f32 v91, v91, v89, v88
	v_fmac_f32_e32 v89, v88, v91
	s_delay_alu instid0(VALU_DEP_1) | instskip(SKIP_1) | instid1(VALU_DEP_2)
	v_div_scale_f32 v88, null, v89, v89, 1.0
	v_div_scale_f32 v99, vcc_lo, 1.0, v89, 1.0
	v_rcp_f32_e32 v97, v88
	v_nop
	s_delay_alu instid0(TRANS32_DEP_1) | instskip(NEXT) | instid1(VALU_DEP_1)
	v_fma_f32 v98, -v88, v97, 1.0
	v_fmac_f32_e32 v97, v98, v97
	s_delay_alu instid0(VALU_DEP_1) | instskip(NEXT) | instid1(VALU_DEP_1)
	v_mul_f32_e32 v98, v99, v97
	v_fma_f32 v100, -v88, v98, v99
	s_delay_alu instid0(VALU_DEP_1) | instskip(NEXT) | instid1(VALU_DEP_1)
	v_fmac_f32_e32 v98, v100, v97
	v_fma_f32 v88, -v88, v98, v99
	s_delay_alu instid0(VALU_DEP_1) | instskip(NEXT) | instid1(VALU_DEP_1)
	v_div_fmas_f32 v88, v88, v97, v98
	v_div_fixup_f32 v89, v88, v89, 1.0
	s_delay_alu instid0(VALU_DEP_1)
	v_mul_f32_e32 v88, v91, v89
	v_xor_b32_e32 v89, 0x80000000, v89
.LBB80_595:
	s_and_not1_saveexec_b32 s1, s1
	s_cbranch_execz .LBB80_597
; %bb.596:
	s_delay_alu instid0(VALU_DEP_1) | instskip(SKIP_1) | instid1(VALU_DEP_2)
	v_div_scale_f32 v91, null, v88, v88, v89
	v_div_scale_f32 v99, vcc_lo, v89, v88, v89
	v_rcp_f32_e32 v97, v91
	v_nop
	s_delay_alu instid0(TRANS32_DEP_1) | instskip(NEXT) | instid1(VALU_DEP_1)
	v_fma_f32 v98, -v91, v97, 1.0
	v_fmac_f32_e32 v97, v98, v97
	s_delay_alu instid0(VALU_DEP_1) | instskip(NEXT) | instid1(VALU_DEP_1)
	v_mul_f32_e32 v98, v99, v97
	v_fma_f32 v100, -v91, v98, v99
	s_delay_alu instid0(VALU_DEP_1) | instskip(NEXT) | instid1(VALU_DEP_1)
	v_fmac_f32_e32 v98, v100, v97
	v_fma_f32 v91, -v91, v98, v99
	s_delay_alu instid0(VALU_DEP_1) | instskip(NEXT) | instid1(VALU_DEP_1)
	v_div_fmas_f32 v91, v91, v97, v98
	v_div_fixup_f32 v91, v91, v88, v89
	s_delay_alu instid0(VALU_DEP_1) | instskip(NEXT) | instid1(VALU_DEP_1)
	v_fmac_f32_e32 v88, v89, v91
	v_div_scale_f32 v89, null, v88, v88, 1.0
	s_delay_alu instid0(VALU_DEP_1) | instskip(SKIP_1) | instid1(TRANS32_DEP_1)
	v_rcp_f32_e32 v97, v89
	v_nop
	v_fma_f32 v98, -v89, v97, 1.0
	s_delay_alu instid0(VALU_DEP_1) | instskip(SKIP_1) | instid1(VALU_DEP_1)
	v_fmac_f32_e32 v97, v98, v97
	v_div_scale_f32 v98, vcc_lo, 1.0, v88, 1.0
	v_mul_f32_e32 v99, v98, v97
	s_delay_alu instid0(VALU_DEP_1) | instskip(NEXT) | instid1(VALU_DEP_1)
	v_fma_f32 v100, -v89, v99, v98
	v_fmac_f32_e32 v99, v100, v97
	s_delay_alu instid0(VALU_DEP_1) | instskip(NEXT) | instid1(VALU_DEP_1)
	v_fma_f32 v89, -v89, v99, v98
	v_div_fmas_f32 v89, v89, v97, v99
	s_delay_alu instid0(VALU_DEP_1) | instskip(NEXT) | instid1(VALU_DEP_1)
	v_div_fixup_f32 v88, v89, v88, 1.0
	v_mul_f32_e64 v89, v91, -v88
.LBB80_597:
	s_or_b32 exec_lo, exec_lo, s1
.LBB80_598:
	s_delay_alu instid0(SALU_CYCLE_1) | instskip(NEXT) | instid1(SALU_CYCLE_1)
	s_or_b32 exec_lo, exec_lo, s0
	s_mov_b32 s0, exec_lo
	v_cmpx_ne_u32_e64 v96, v90
	s_xor_b32 s0, exec_lo, s0
	s_cbranch_execz .LBB80_604
; %bb.599:
	s_mov_b32 s1, exec_lo
	v_cmpx_eq_u32_e32 28, v96
	s_cbranch_execz .LBB80_603
; %bb.600:
	v_cmp_ne_u32_e32 vcc_lo, 28, v90
	s_xor_b32 s12, s16, -1
	s_delay_alu instid0(SALU_CYCLE_1) | instskip(NEXT) | instid1(SALU_CYCLE_1)
	s_and_b32 s13, s12, vcc_lo
	s_and_saveexec_b32 s12, s13
	s_cbranch_execz .LBB80_602
; %bb.601:
	v_ashrrev_i32_e32 v91, 31, v90
	s_delay_alu instid0(VALU_DEP_1)
	v_lshl_add_u64 v[96:97], v[90:91], 2, v[4:5]
	s_clause 0x1
	global_load_b32 v91, v[96:97], off
	global_load_b32 v95, v[4:5], off offset:112
	s_wait_loadcnt 0x1
	global_store_b32 v[4:5], v91, off offset:112
	s_wait_loadcnt 0x0
	global_store_b32 v[96:97], v95, off
.LBB80_602:
	s_wait_xcnt 0x0
	s_or_b32 exec_lo, exec_lo, s12
	v_dual_mov_b32 v96, v90 :: v_dual_mov_b32 v95, v90
.LBB80_603:
	s_or_b32 exec_lo, exec_lo, s1
.LBB80_604:
	s_and_not1_saveexec_b32 s0, s0
	s_cbranch_execz .LBB80_606
; %bb.605:
	v_mov_b32_e32 v96, 28
	ds_store_2addr_b64 v92, v[38:39], v[40:41] offset0:29 offset1:30
	ds_store_2addr_b64 v92, v[36:37], v[14:15] offset0:31 offset1:32
	ds_store_2addr_b64 v92, v[10:11], v[12:13] offset0:33 offset1:34
	ds_store_2addr_b64 v92, v[8:9], v[6:7] offset0:35 offset1:36
	ds_store_2addr_b64 v92, v[44:45], v[22:23] offset0:37 offset1:38
	ds_store_2addr_b64 v92, v[16:17], v[86:87] offset0:39 offset1:40
.LBB80_606:
	s_or_b32 exec_lo, exec_lo, s0
	s_delay_alu instid0(SALU_CYCLE_1)
	s_mov_b32 s0, exec_lo
	s_wait_storecnt_dscnt 0x0
	s_barrier_signal -1
	s_barrier_wait -1
	v_cmpx_lt_i32_e32 28, v96
	s_cbranch_execz .LBB80_608
; %bb.607:
	v_pk_mul_f32 v[90:91], v[88:89], v[42:43] op_sel:[1,1] op_sel_hi:[0,1]
	s_delay_alu instid0(VALU_DEP_1)
	v_pk_fma_f32 v[98:99], v[88:89], v[42:43], v[90:91] op_sel_hi:[1,0,1] neg_lo:[0,0,1] neg_hi:[0,0,1]
	v_pk_fma_f32 v[100:101], v[88:89], v[42:43], v[90:91] op_sel_hi:[1,0,1]
	ds_load_2addr_b64 v[88:91], v92 offset0:29 offset1:30
	v_dual_mov_b32 v42, v98 :: v_dual_mov_b32 v43, v101
	s_wait_dscnt 0x0
	v_pk_mul_f32 v[102:103], v[88:89], v[100:101] op_sel:[0,1]
	s_delay_alu instid0(VALU_DEP_1) | instskip(SKIP_1) | instid1(VALU_DEP_1)
	v_pk_fma_f32 v[104:105], v[88:89], v[98:99], v[102:103] op_sel:[0,0,1] op_sel_hi:[1,1,0] neg_lo:[0,0,1] neg_hi:[0,0,1]
	v_pk_fma_f32 v[88:89], v[88:89], v[98:99], v[102:103] op_sel:[0,0,1] op_sel_hi:[1,0,0]
	v_mov_b32_e32 v105, v89
	v_pk_mul_f32 v[88:89], v[90:91], v[100:101] op_sel:[0,1]
	s_delay_alu instid0(VALU_DEP_1) | instskip(SKIP_1) | instid1(VALU_DEP_1)
	v_pk_fma_f32 v[102:103], v[90:91], v[98:99], v[88:89] op_sel:[0,0,1] op_sel_hi:[1,1,0] neg_lo:[0,0,1] neg_hi:[0,0,1]
	v_pk_fma_f32 v[88:89], v[90:91], v[98:99], v[88:89] op_sel:[0,0,1] op_sel_hi:[1,0,0]
	v_mov_b32_e32 v103, v89
	ds_load_2addr_b64 v[88:91], v92 offset0:31 offset1:32
	v_pk_add_f32 v[38:39], v[38:39], v[104:105] neg_lo:[0,1] neg_hi:[0,1]
	v_pk_add_f32 v[40:41], v[40:41], v[102:103] neg_lo:[0,1] neg_hi:[0,1]
	s_wait_dscnt 0x0
	v_pk_mul_f32 v[102:103], v[88:89], v[100:101] op_sel:[0,1]
	s_delay_alu instid0(VALU_DEP_1) | instskip(SKIP_2) | instid1(VALU_DEP_2)
	v_pk_fma_f32 v[104:105], v[88:89], v[98:99], v[102:103] op_sel:[0,0,1] op_sel_hi:[1,1,0] neg_lo:[0,0,1] neg_hi:[0,0,1]
	v_pk_fma_f32 v[88:89], v[88:89], v[98:99], v[102:103] op_sel:[0,0,1] op_sel_hi:[1,0,0]
	v_dual_mul_f32 v102, v91, v101 :: v_dual_mov_b32 v88, v91
	v_dual_mov_b32 v105, v89 :: v_dual_mov_b32 v89, v90
	s_delay_alu instid0(VALU_DEP_2) | instskip(SKIP_1) | instid1(VALU_DEP_3)
	v_pk_fma_f32 v[102:103], v[90:91], v[42:43], v[102:103] op_sel_hi:[1,1,0] neg_lo:[0,0,1] neg_hi:[0,0,1]
	v_mul_f32_e32 v90, v91, v98
	v_pk_add_f32 v[36:37], v[36:37], v[104:105] neg_lo:[0,1] neg_hi:[0,1]
	s_delay_alu instid0(VALU_DEP_2) | instskip(NEXT) | instid1(VALU_DEP_1)
	v_pk_fma_f32 v[88:89], v[88:89], v[42:43], v[90:91] op_sel_hi:[1,1,0]
	v_mov_b32_e32 v103, v89
	ds_load_2addr_b64 v[88:91], v92 offset0:33 offset1:34
	v_pk_add_f32 v[14:15], v[14:15], v[102:103] neg_lo:[0,1] neg_hi:[0,1]
	s_wait_dscnt 0x0
	v_pk_mul_f32 v[102:103], v[88:89], v[100:101] op_sel:[0,1]
	s_delay_alu instid0(VALU_DEP_1) | instskip(SKIP_1) | instid1(VALU_DEP_1)
	v_pk_fma_f32 v[104:105], v[88:89], v[98:99], v[102:103] op_sel:[0,0,1] op_sel_hi:[1,1,0] neg_lo:[0,0,1] neg_hi:[0,0,1]
	v_pk_fma_f32 v[88:89], v[88:89], v[98:99], v[102:103] op_sel:[0,0,1] op_sel_hi:[1,0,0]
	v_mov_b32_e32 v105, v89
	v_pk_mul_f32 v[88:89], v[90:91], v[100:101] op_sel:[0,1]
	s_delay_alu instid0(VALU_DEP_1) | instskip(SKIP_1) | instid1(VALU_DEP_1)
	v_pk_fma_f32 v[102:103], v[90:91], v[98:99], v[88:89] op_sel:[0,0,1] op_sel_hi:[1,1,0] neg_lo:[0,0,1] neg_hi:[0,0,1]
	v_pk_fma_f32 v[88:89], v[90:91], v[98:99], v[88:89] op_sel:[0,0,1] op_sel_hi:[1,0,0]
	v_mov_b32_e32 v103, v89
	ds_load_2addr_b64 v[88:91], v92 offset0:35 offset1:36
	v_pk_add_f32 v[10:11], v[10:11], v[104:105] neg_lo:[0,1] neg_hi:[0,1]
	v_pk_add_f32 v[12:13], v[12:13], v[102:103] neg_lo:[0,1] neg_hi:[0,1]
	s_wait_dscnt 0x0
	v_pk_mul_f32 v[102:103], v[88:89], v[100:101] op_sel:[0,1]
	s_delay_alu instid0(VALU_DEP_1) | instskip(SKIP_1) | instid1(VALU_DEP_1)
	v_pk_fma_f32 v[104:105], v[88:89], v[98:99], v[102:103] op_sel:[0,0,1] op_sel_hi:[1,1,0] neg_lo:[0,0,1] neg_hi:[0,0,1]
	v_pk_fma_f32 v[88:89], v[88:89], v[98:99], v[102:103] op_sel:[0,0,1] op_sel_hi:[1,0,0]
	v_mov_b32_e32 v105, v89
	v_pk_mul_f32 v[88:89], v[90:91], v[100:101] op_sel:[0,1]
	s_delay_alu instid0(VALU_DEP_1) | instskip(SKIP_1) | instid1(VALU_DEP_1)
	v_pk_fma_f32 v[102:103], v[90:91], v[98:99], v[88:89] op_sel:[0,0,1] op_sel_hi:[1,1,0] neg_lo:[0,0,1] neg_hi:[0,0,1]
	v_pk_fma_f32 v[88:89], v[90:91], v[98:99], v[88:89] op_sel:[0,0,1] op_sel_hi:[1,0,0]
	v_mov_b32_e32 v103, v89
	ds_load_2addr_b64 v[88:91], v92 offset0:37 offset1:38
	v_pk_add_f32 v[8:9], v[8:9], v[104:105] neg_lo:[0,1] neg_hi:[0,1]
	v_pk_add_f32 v[6:7], v[6:7], v[102:103] neg_lo:[0,1] neg_hi:[0,1]
	s_wait_dscnt 0x0
	v_dual_mul_f32 v102, v89, v101 :: v_dual_mul_f32 v104, v89, v98
	s_delay_alu instid0(VALU_DEP_1) | instskip(NEXT) | instid1(VALU_DEP_2)
	v_pk_fma_f32 v[102:103], v[88:89], v[42:43], v[102:103] op_sel_hi:[1,1,0] neg_lo:[0,0,1] neg_hi:[0,0,1]
	v_pk_fma_f32 v[88:89], v[88:89], v[42:43], v[104:105] op_sel:[1,0,0] op_sel_hi:[0,1,0]
	s_delay_alu instid0(VALU_DEP_1) | instskip(SKIP_1) | instid1(VALU_DEP_2)
	v_mov_b32_e32 v103, v89
	v_pk_mul_f32 v[88:89], v[90:91], v[100:101] op_sel:[0,1]
	v_pk_add_f32 v[44:45], v[44:45], v[102:103] neg_lo:[0,1] neg_hi:[0,1]
	s_delay_alu instid0(VALU_DEP_2) | instskip(SKIP_1) | instid1(VALU_DEP_1)
	v_pk_fma_f32 v[102:103], v[90:91], v[98:99], v[88:89] op_sel:[0,0,1] op_sel_hi:[1,1,0] neg_lo:[0,0,1] neg_hi:[0,0,1]
	v_pk_fma_f32 v[88:89], v[90:91], v[98:99], v[88:89] op_sel:[0,0,1] op_sel_hi:[1,0,0]
	v_mov_b32_e32 v103, v89
	ds_load_2addr_b64 v[88:91], v92 offset0:39 offset1:40
	v_pk_add_f32 v[22:23], v[22:23], v[102:103] neg_lo:[0,1] neg_hi:[0,1]
	s_wait_dscnt 0x0
	v_pk_mul_f32 v[102:103], v[88:89], v[100:101] op_sel:[0,1]
	v_mul_f32_e32 v100, v91, v101
	s_delay_alu instid0(VALU_DEP_2) | instskip(SKIP_2) | instid1(VALU_DEP_4)
	v_pk_fma_f32 v[104:105], v[88:89], v[98:99], v[102:103] op_sel:[0,0,1] op_sel_hi:[1,1,0] neg_lo:[0,0,1] neg_hi:[0,0,1]
	v_pk_fma_f32 v[88:89], v[88:89], v[98:99], v[102:103] op_sel:[0,0,1] op_sel_hi:[1,0,0]
	v_mov_b32_e32 v88, v91
	v_pk_fma_f32 v[100:101], v[90:91], v[42:43], v[100:101] op_sel_hi:[1,1,0] neg_lo:[0,0,1] neg_hi:[0,0,1]
	s_delay_alu instid0(VALU_DEP_3) | instskip(SKIP_1) | instid1(VALU_DEP_2)
	v_dual_mov_b32 v105, v89 :: v_dual_mov_b32 v89, v90
	v_mul_f32_e32 v90, v91, v98
	v_pk_add_f32 v[16:17], v[16:17], v[104:105] neg_lo:[0,1] neg_hi:[0,1]
	s_delay_alu instid0(VALU_DEP_2) | instskip(NEXT) | instid1(VALU_DEP_1)
	v_pk_fma_f32 v[88:89], v[88:89], v[42:43], v[90:91] op_sel_hi:[1,1,0]
	v_mov_b32_e32 v101, v89
	s_delay_alu instid0(VALU_DEP_1)
	v_pk_add_f32 v[86:87], v[86:87], v[100:101] neg_lo:[0,1] neg_hi:[0,1]
.LBB80_608:
	s_or_b32 exec_lo, exec_lo, s0
	v_lshl_add_u32 v88, v96, 3, v92
	s_barrier_signal -1
	s_barrier_wait -1
	ds_store_b64 v88, v[38:39]
	s_wait_dscnt 0x0
	s_barrier_signal -1
	s_barrier_wait -1
	ds_load_b64 v[88:89], v92 offset:232
	v_mov_b32_e32 v90, 29
	s_cmp_lt_i32 s18, 31
	s_cbranch_scc1 .LBB80_611
; %bb.609:
	v_add3_u32 v91, v93, 0, 0xf0
	v_mov_b32_e32 v90, 29
	s_mov_b32 s0, 30
.LBB80_610:                             ; =>This Inner Loop Header: Depth=1
	ds_load_b64 v[98:99], v91
	s_wait_dscnt 0x1
	v_cmp_gt_f32_e32 vcc_lo, 0, v88
	v_cndmask_b32_e64 v100, v88, -v88, vcc_lo
	v_cmp_gt_f32_e32 vcc_lo, 0, v89
	v_cndmask_b32_e64 v102, v89, -v89, vcc_lo
	s_wait_dscnt 0x0
	v_cmp_gt_f32_e32 vcc_lo, 0, v98
	v_cndmask_b32_e64 v101, v98, -v98, vcc_lo
	v_cmp_gt_f32_e32 vcc_lo, 0, v99
	v_cndmask_b32_e64 v103, v99, -v99, vcc_lo
	s_delay_alu instid0(VALU_DEP_1) | instskip(NEXT) | instid1(VALU_DEP_1)
	v_pk_add_f32 v[100:101], v[100:101], v[102:103]
	v_cmp_lt_f32_e32 vcc_lo, v100, v101
	v_dual_cndmask_b32 v88, v88, v98 :: v_dual_add_nc_u32 v91, 8, v91
	v_cndmask_b32_e32 v89, v89, v99, vcc_lo
	v_cndmask_b32_e64 v90, v90, s0, vcc_lo
	s_add_co_i32 s0, s0, 1
	s_delay_alu instid0(SALU_CYCLE_1)
	s_cmp_lg_u32 s18, s0
	s_cbranch_scc1 .LBB80_610
.LBB80_611:
	s_wait_dscnt 0x0
	v_cmp_eq_f32_e32 vcc_lo, 0, v88
	v_cmp_eq_f32_e64 s0, 0, v89
	s_and_b32 s0, vcc_lo, s0
	s_delay_alu instid0(SALU_CYCLE_1) | instskip(NEXT) | instid1(SALU_CYCLE_1)
	s_and_saveexec_b32 s1, s0
	s_xor_b32 s0, exec_lo, s1
; %bb.612:
	v_cmp_ne_u32_e32 vcc_lo, 0, v94
	v_cndmask_b32_e32 v94, 30, v94, vcc_lo
; %bb.613:
	s_and_not1_saveexec_b32 s0, s0
	s_cbranch_execz .LBB80_619
; %bb.614:
	v_cmp_ngt_f32_e64 s1, |v88|, |v89|
	s_and_saveexec_b32 s12, s1
	s_delay_alu instid0(SALU_CYCLE_1)
	s_xor_b32 s1, exec_lo, s12
	s_cbranch_execz .LBB80_616
; %bb.615:
	v_div_scale_f32 v91, null, v89, v89, v88
	v_div_scale_f32 v99, vcc_lo, v88, v89, v88
	s_delay_alu instid0(VALU_DEP_2) | instskip(SKIP_1) | instid1(TRANS32_DEP_1)
	v_rcp_f32_e32 v97, v91
	v_nop
	v_fma_f32 v98, -v91, v97, 1.0
	s_delay_alu instid0(VALU_DEP_1) | instskip(NEXT) | instid1(VALU_DEP_1)
	v_fmac_f32_e32 v97, v98, v97
	v_mul_f32_e32 v98, v99, v97
	s_delay_alu instid0(VALU_DEP_1) | instskip(NEXT) | instid1(VALU_DEP_1)
	v_fma_f32 v100, -v91, v98, v99
	v_fmac_f32_e32 v98, v100, v97
	s_delay_alu instid0(VALU_DEP_1) | instskip(NEXT) | instid1(VALU_DEP_1)
	v_fma_f32 v91, -v91, v98, v99
	v_div_fmas_f32 v91, v91, v97, v98
	s_delay_alu instid0(VALU_DEP_1) | instskip(NEXT) | instid1(VALU_DEP_1)
	v_div_fixup_f32 v91, v91, v89, v88
	v_fmac_f32_e32 v89, v88, v91
	s_delay_alu instid0(VALU_DEP_1) | instskip(SKIP_1) | instid1(VALU_DEP_2)
	v_div_scale_f32 v88, null, v89, v89, 1.0
	v_div_scale_f32 v99, vcc_lo, 1.0, v89, 1.0
	v_rcp_f32_e32 v97, v88
	v_nop
	s_delay_alu instid0(TRANS32_DEP_1) | instskip(NEXT) | instid1(VALU_DEP_1)
	v_fma_f32 v98, -v88, v97, 1.0
	v_fmac_f32_e32 v97, v98, v97
	s_delay_alu instid0(VALU_DEP_1) | instskip(NEXT) | instid1(VALU_DEP_1)
	v_mul_f32_e32 v98, v99, v97
	v_fma_f32 v100, -v88, v98, v99
	s_delay_alu instid0(VALU_DEP_1) | instskip(NEXT) | instid1(VALU_DEP_1)
	v_fmac_f32_e32 v98, v100, v97
	v_fma_f32 v88, -v88, v98, v99
	s_delay_alu instid0(VALU_DEP_1) | instskip(NEXT) | instid1(VALU_DEP_1)
	v_div_fmas_f32 v88, v88, v97, v98
	v_div_fixup_f32 v89, v88, v89, 1.0
	s_delay_alu instid0(VALU_DEP_1)
	v_mul_f32_e32 v88, v91, v89
	v_xor_b32_e32 v89, 0x80000000, v89
.LBB80_616:
	s_and_not1_saveexec_b32 s1, s1
	s_cbranch_execz .LBB80_618
; %bb.617:
	s_delay_alu instid0(VALU_DEP_1) | instskip(SKIP_1) | instid1(VALU_DEP_2)
	v_div_scale_f32 v91, null, v88, v88, v89
	v_div_scale_f32 v99, vcc_lo, v89, v88, v89
	v_rcp_f32_e32 v97, v91
	v_nop
	s_delay_alu instid0(TRANS32_DEP_1) | instskip(NEXT) | instid1(VALU_DEP_1)
	v_fma_f32 v98, -v91, v97, 1.0
	v_fmac_f32_e32 v97, v98, v97
	s_delay_alu instid0(VALU_DEP_1) | instskip(NEXT) | instid1(VALU_DEP_1)
	v_mul_f32_e32 v98, v99, v97
	v_fma_f32 v100, -v91, v98, v99
	s_delay_alu instid0(VALU_DEP_1) | instskip(NEXT) | instid1(VALU_DEP_1)
	v_fmac_f32_e32 v98, v100, v97
	v_fma_f32 v91, -v91, v98, v99
	s_delay_alu instid0(VALU_DEP_1) | instskip(NEXT) | instid1(VALU_DEP_1)
	v_div_fmas_f32 v91, v91, v97, v98
	v_div_fixup_f32 v91, v91, v88, v89
	s_delay_alu instid0(VALU_DEP_1) | instskip(NEXT) | instid1(VALU_DEP_1)
	v_fmac_f32_e32 v88, v89, v91
	v_div_scale_f32 v89, null, v88, v88, 1.0
	s_delay_alu instid0(VALU_DEP_1) | instskip(SKIP_1) | instid1(TRANS32_DEP_1)
	v_rcp_f32_e32 v97, v89
	v_nop
	v_fma_f32 v98, -v89, v97, 1.0
	s_delay_alu instid0(VALU_DEP_1) | instskip(SKIP_1) | instid1(VALU_DEP_1)
	v_fmac_f32_e32 v97, v98, v97
	v_div_scale_f32 v98, vcc_lo, 1.0, v88, 1.0
	v_mul_f32_e32 v99, v98, v97
	s_delay_alu instid0(VALU_DEP_1) | instskip(NEXT) | instid1(VALU_DEP_1)
	v_fma_f32 v100, -v89, v99, v98
	v_fmac_f32_e32 v99, v100, v97
	s_delay_alu instid0(VALU_DEP_1) | instskip(NEXT) | instid1(VALU_DEP_1)
	v_fma_f32 v89, -v89, v99, v98
	v_div_fmas_f32 v89, v89, v97, v99
	s_delay_alu instid0(VALU_DEP_1) | instskip(NEXT) | instid1(VALU_DEP_1)
	v_div_fixup_f32 v88, v89, v88, 1.0
	v_mul_f32_e64 v89, v91, -v88
.LBB80_618:
	s_or_b32 exec_lo, exec_lo, s1
.LBB80_619:
	s_delay_alu instid0(SALU_CYCLE_1) | instskip(NEXT) | instid1(SALU_CYCLE_1)
	s_or_b32 exec_lo, exec_lo, s0
	s_mov_b32 s0, exec_lo
	v_cmpx_ne_u32_e64 v96, v90
	s_xor_b32 s0, exec_lo, s0
	s_cbranch_execz .LBB80_625
; %bb.620:
	s_mov_b32 s1, exec_lo
	v_cmpx_eq_u32_e32 29, v96
	s_cbranch_execz .LBB80_624
; %bb.621:
	v_cmp_ne_u32_e32 vcc_lo, 29, v90
	s_xor_b32 s12, s16, -1
	s_delay_alu instid0(SALU_CYCLE_1) | instskip(NEXT) | instid1(SALU_CYCLE_1)
	s_and_b32 s13, s12, vcc_lo
	s_and_saveexec_b32 s12, s13
	s_cbranch_execz .LBB80_623
; %bb.622:
	v_ashrrev_i32_e32 v91, 31, v90
	s_delay_alu instid0(VALU_DEP_1)
	v_lshl_add_u64 v[96:97], v[90:91], 2, v[4:5]
	s_clause 0x1
	global_load_b32 v91, v[96:97], off
	global_load_b32 v95, v[4:5], off offset:116
	s_wait_loadcnt 0x1
	global_store_b32 v[4:5], v91, off offset:116
	s_wait_loadcnt 0x0
	global_store_b32 v[96:97], v95, off
.LBB80_623:
	s_wait_xcnt 0x0
	s_or_b32 exec_lo, exec_lo, s12
	v_dual_mov_b32 v96, v90 :: v_dual_mov_b32 v95, v90
.LBB80_624:
	s_or_b32 exec_lo, exec_lo, s1
.LBB80_625:
	s_and_not1_saveexec_b32 s0, s0
	s_cbranch_execz .LBB80_627
; %bb.626:
	v_dual_mov_b32 v90, v40 :: v_dual_mov_b32 v91, v41
	v_dual_mov_b32 v96, v36 :: v_dual_mov_b32 v97, v37
	ds_store_2addr_b64 v92, v[90:91], v[96:97] offset0:30 offset1:31
	v_dual_mov_b32 v90, v14 :: v_dual_mov_b32 v91, v15
	v_dual_mov_b32 v96, v10 :: v_dual_mov_b32 v97, v11
	ds_store_2addr_b64 v92, v[90:91], v[96:97] offset0:32 offset1:33
	;; [unrolled: 3-line block ×5, first 2 shown]
	ds_store_b64 v92, v[86:87] offset:320
	v_mov_b32_e32 v96, 29
.LBB80_627:
	s_or_b32 exec_lo, exec_lo, s0
	s_delay_alu instid0(SALU_CYCLE_1)
	s_mov_b32 s0, exec_lo
	s_wait_storecnt_dscnt 0x0
	s_barrier_signal -1
	s_barrier_wait -1
	v_cmpx_lt_i32_e32 29, v96
	s_cbranch_execz .LBB80_629
; %bb.628:
	v_pk_mul_f32 v[90:91], v[88:89], v[38:39] op_sel:[1,1] op_sel_hi:[0,1]
	s_delay_alu instid0(VALU_DEP_1)
	v_pk_fma_f32 v[98:99], v[88:89], v[38:39], v[90:91] op_sel_hi:[1,0,1] neg_lo:[0,0,1] neg_hi:[0,0,1]
	v_pk_fma_f32 v[100:101], v[88:89], v[38:39], v[90:91] op_sel_hi:[1,0,1]
	ds_load_2addr_b64 v[88:91], v92 offset0:30 offset1:31
	v_dual_mov_b32 v38, v98 :: v_dual_mov_b32 v39, v101
	s_wait_dscnt 0x0
	v_pk_mul_f32 v[102:103], v[88:89], v[100:101] op_sel:[0,1]
	s_delay_alu instid0(VALU_DEP_1) | instskip(SKIP_1) | instid1(VALU_DEP_1)
	v_pk_fma_f32 v[104:105], v[88:89], v[98:99], v[102:103] op_sel:[0,0,1] op_sel_hi:[1,1,0] neg_lo:[0,0,1] neg_hi:[0,0,1]
	v_pk_fma_f32 v[88:89], v[88:89], v[98:99], v[102:103] op_sel:[0,0,1] op_sel_hi:[1,0,0]
	v_mov_b32_e32 v105, v89
	v_pk_mul_f32 v[88:89], v[90:91], v[100:101] op_sel:[0,1]
	s_delay_alu instid0(VALU_DEP_1) | instskip(SKIP_1) | instid1(VALU_DEP_1)
	v_pk_fma_f32 v[102:103], v[90:91], v[98:99], v[88:89] op_sel:[0,0,1] op_sel_hi:[1,1,0] neg_lo:[0,0,1] neg_hi:[0,0,1]
	v_pk_fma_f32 v[88:89], v[90:91], v[98:99], v[88:89] op_sel:[0,0,1] op_sel_hi:[1,0,0]
	v_mov_b32_e32 v103, v89
	ds_load_2addr_b64 v[88:91], v92 offset0:32 offset1:33
	v_pk_add_f32 v[40:41], v[40:41], v[104:105] neg_lo:[0,1] neg_hi:[0,1]
	v_pk_add_f32 v[36:37], v[36:37], v[102:103] neg_lo:[0,1] neg_hi:[0,1]
	s_wait_dscnt 0x0
	v_pk_mul_f32 v[102:103], v[88:89], v[100:101] op_sel:[0,1]
	s_delay_alu instid0(VALU_DEP_1) | instskip(SKIP_2) | instid1(VALU_DEP_2)
	v_pk_fma_f32 v[104:105], v[88:89], v[98:99], v[102:103] op_sel:[0,0,1] op_sel_hi:[1,1,0] neg_lo:[0,0,1] neg_hi:[0,0,1]
	v_pk_fma_f32 v[88:89], v[88:89], v[98:99], v[102:103] op_sel:[0,0,1] op_sel_hi:[1,0,0]
	v_dual_mul_f32 v102, v91, v101 :: v_dual_mov_b32 v88, v91
	v_dual_mov_b32 v105, v89 :: v_dual_mov_b32 v89, v90
	s_delay_alu instid0(VALU_DEP_2) | instskip(SKIP_1) | instid1(VALU_DEP_3)
	v_pk_fma_f32 v[102:103], v[90:91], v[38:39], v[102:103] op_sel_hi:[1,1,0] neg_lo:[0,0,1] neg_hi:[0,0,1]
	v_mul_f32_e32 v90, v91, v98
	v_pk_add_f32 v[14:15], v[14:15], v[104:105] neg_lo:[0,1] neg_hi:[0,1]
	s_delay_alu instid0(VALU_DEP_2) | instskip(NEXT) | instid1(VALU_DEP_1)
	v_pk_fma_f32 v[88:89], v[88:89], v[38:39], v[90:91] op_sel_hi:[1,1,0]
	v_mov_b32_e32 v103, v89
	ds_load_2addr_b64 v[88:91], v92 offset0:34 offset1:35
	v_pk_add_f32 v[10:11], v[10:11], v[102:103] neg_lo:[0,1] neg_hi:[0,1]
	s_wait_dscnt 0x0
	v_pk_mul_f32 v[102:103], v[88:89], v[100:101] op_sel:[0,1]
	s_delay_alu instid0(VALU_DEP_1) | instskip(SKIP_1) | instid1(VALU_DEP_1)
	v_pk_fma_f32 v[104:105], v[88:89], v[98:99], v[102:103] op_sel:[0,0,1] op_sel_hi:[1,1,0] neg_lo:[0,0,1] neg_hi:[0,0,1]
	v_pk_fma_f32 v[88:89], v[88:89], v[98:99], v[102:103] op_sel:[0,0,1] op_sel_hi:[1,0,0]
	v_mov_b32_e32 v105, v89
	v_pk_mul_f32 v[88:89], v[90:91], v[100:101] op_sel:[0,1]
	s_delay_alu instid0(VALU_DEP_1) | instskip(SKIP_1) | instid1(VALU_DEP_1)
	v_pk_fma_f32 v[102:103], v[90:91], v[98:99], v[88:89] op_sel:[0,0,1] op_sel_hi:[1,1,0] neg_lo:[0,0,1] neg_hi:[0,0,1]
	v_pk_fma_f32 v[88:89], v[90:91], v[98:99], v[88:89] op_sel:[0,0,1] op_sel_hi:[1,0,0]
	v_mov_b32_e32 v103, v89
	ds_load_2addr_b64 v[88:91], v92 offset0:36 offset1:37
	v_pk_add_f32 v[12:13], v[12:13], v[104:105] neg_lo:[0,1] neg_hi:[0,1]
	v_pk_add_f32 v[8:9], v[8:9], v[102:103] neg_lo:[0,1] neg_hi:[0,1]
	s_wait_dscnt 0x0
	v_pk_mul_f32 v[102:103], v[88:89], v[100:101] op_sel:[0,1]
	s_delay_alu instid0(VALU_DEP_1) | instskip(SKIP_1) | instid1(VALU_DEP_1)
	v_pk_fma_f32 v[104:105], v[88:89], v[98:99], v[102:103] op_sel:[0,0,1] op_sel_hi:[1,1,0] neg_lo:[0,0,1] neg_hi:[0,0,1]
	v_pk_fma_f32 v[88:89], v[88:89], v[98:99], v[102:103] op_sel:[0,0,1] op_sel_hi:[1,0,0]
	v_mov_b32_e32 v105, v89
	v_pk_mul_f32 v[88:89], v[90:91], v[100:101] op_sel:[0,1]
	s_delay_alu instid0(VALU_DEP_1) | instskip(SKIP_1) | instid1(VALU_DEP_1)
	v_pk_fma_f32 v[102:103], v[90:91], v[98:99], v[88:89] op_sel:[0,0,1] op_sel_hi:[1,1,0] neg_lo:[0,0,1] neg_hi:[0,0,1]
	v_pk_fma_f32 v[88:89], v[90:91], v[98:99], v[88:89] op_sel:[0,0,1] op_sel_hi:[1,0,0]
	v_mov_b32_e32 v103, v89
	ds_load_2addr_b64 v[88:91], v92 offset0:38 offset1:39
	v_pk_add_f32 v[6:7], v[6:7], v[104:105] neg_lo:[0,1] neg_hi:[0,1]
	v_pk_add_f32 v[44:45], v[44:45], v[102:103] neg_lo:[0,1] neg_hi:[0,1]
	s_wait_dscnt 0x0
	v_dual_mul_f32 v102, v89, v101 :: v_dual_mul_f32 v104, v89, v98
	s_delay_alu instid0(VALU_DEP_1) | instskip(NEXT) | instid1(VALU_DEP_2)
	v_pk_fma_f32 v[102:103], v[88:89], v[38:39], v[102:103] op_sel_hi:[1,1,0] neg_lo:[0,0,1] neg_hi:[0,0,1]
	v_pk_fma_f32 v[88:89], v[88:89], v[38:39], v[104:105] op_sel:[1,0,0] op_sel_hi:[0,1,0]
	s_delay_alu instid0(VALU_DEP_1) | instskip(SKIP_1) | instid1(VALU_DEP_2)
	v_mov_b32_e32 v103, v89
	v_pk_mul_f32 v[88:89], v[90:91], v[100:101] op_sel:[0,1]
	v_pk_add_f32 v[22:23], v[22:23], v[102:103] neg_lo:[0,1] neg_hi:[0,1]
	s_delay_alu instid0(VALU_DEP_2) | instskip(SKIP_1) | instid1(VALU_DEP_1)
	v_pk_fma_f32 v[102:103], v[90:91], v[98:99], v[88:89] op_sel:[0,0,1] op_sel_hi:[1,1,0] neg_lo:[0,0,1] neg_hi:[0,0,1]
	v_pk_fma_f32 v[88:89], v[90:91], v[98:99], v[88:89] op_sel:[0,0,1] op_sel_hi:[1,0,0]
	v_mov_b32_e32 v103, v89
	ds_load_b64 v[88:89], v92 offset:320
	v_pk_add_f32 v[16:17], v[16:17], v[102:103] neg_lo:[0,1] neg_hi:[0,1]
	s_wait_dscnt 0x0
	v_pk_mul_f32 v[90:91], v[88:89], v[100:101] op_sel:[0,1]
	s_delay_alu instid0(VALU_DEP_1) | instskip(SKIP_1) | instid1(VALU_DEP_1)
	v_pk_fma_f32 v[100:101], v[88:89], v[98:99], v[90:91] op_sel:[0,0,1] op_sel_hi:[1,1,0] neg_lo:[0,0,1] neg_hi:[0,0,1]
	v_pk_fma_f32 v[88:89], v[88:89], v[98:99], v[90:91] op_sel:[0,0,1] op_sel_hi:[1,0,0]
	v_mov_b32_e32 v101, v89
	s_delay_alu instid0(VALU_DEP_1)
	v_pk_add_f32 v[86:87], v[86:87], v[100:101] neg_lo:[0,1] neg_hi:[0,1]
.LBB80_629:
	s_or_b32 exec_lo, exec_lo, s0
	v_lshl_add_u32 v88, v96, 3, v92
	s_barrier_signal -1
	s_barrier_wait -1
	ds_store_b64 v88, v[40:41]
	s_wait_dscnt 0x0
	s_barrier_signal -1
	s_barrier_wait -1
	ds_load_b64 v[88:89], v92 offset:240
	v_mov_b32_e32 v90, 30
	s_cmp_lt_i32 s18, 32
	s_cbranch_scc1 .LBB80_632
; %bb.630:
	v_add3_u32 v91, v93, 0, 0xf8
	v_mov_b32_e32 v90, 30
	s_mov_b32 s0, 31
.LBB80_631:                             ; =>This Inner Loop Header: Depth=1
	ds_load_b64 v[98:99], v91
	s_wait_dscnt 0x1
	v_cmp_gt_f32_e32 vcc_lo, 0, v88
	v_cndmask_b32_e64 v100, v88, -v88, vcc_lo
	v_cmp_gt_f32_e32 vcc_lo, 0, v89
	v_cndmask_b32_e64 v102, v89, -v89, vcc_lo
	s_wait_dscnt 0x0
	v_cmp_gt_f32_e32 vcc_lo, 0, v98
	v_cndmask_b32_e64 v101, v98, -v98, vcc_lo
	v_cmp_gt_f32_e32 vcc_lo, 0, v99
	v_cndmask_b32_e64 v103, v99, -v99, vcc_lo
	s_delay_alu instid0(VALU_DEP_1) | instskip(NEXT) | instid1(VALU_DEP_1)
	v_pk_add_f32 v[100:101], v[100:101], v[102:103]
	v_cmp_lt_f32_e32 vcc_lo, v100, v101
	v_dual_cndmask_b32 v88, v88, v98 :: v_dual_add_nc_u32 v91, 8, v91
	v_cndmask_b32_e32 v89, v89, v99, vcc_lo
	v_cndmask_b32_e64 v90, v90, s0, vcc_lo
	s_add_co_i32 s0, s0, 1
	s_delay_alu instid0(SALU_CYCLE_1)
	s_cmp_lg_u32 s18, s0
	s_cbranch_scc1 .LBB80_631
.LBB80_632:
	s_wait_dscnt 0x0
	v_cmp_eq_f32_e32 vcc_lo, 0, v88
	v_cmp_eq_f32_e64 s0, 0, v89
	s_and_b32 s0, vcc_lo, s0
	s_delay_alu instid0(SALU_CYCLE_1) | instskip(NEXT) | instid1(SALU_CYCLE_1)
	s_and_saveexec_b32 s1, s0
	s_xor_b32 s0, exec_lo, s1
; %bb.633:
	v_cmp_ne_u32_e32 vcc_lo, 0, v94
	v_cndmask_b32_e32 v94, 31, v94, vcc_lo
; %bb.634:
	s_and_not1_saveexec_b32 s0, s0
	s_cbranch_execz .LBB80_640
; %bb.635:
	v_cmp_ngt_f32_e64 s1, |v88|, |v89|
	s_and_saveexec_b32 s12, s1
	s_delay_alu instid0(SALU_CYCLE_1)
	s_xor_b32 s1, exec_lo, s12
	s_cbranch_execz .LBB80_637
; %bb.636:
	v_div_scale_f32 v91, null, v89, v89, v88
	v_div_scale_f32 v99, vcc_lo, v88, v89, v88
	s_delay_alu instid0(VALU_DEP_2) | instskip(SKIP_1) | instid1(TRANS32_DEP_1)
	v_rcp_f32_e32 v97, v91
	v_nop
	v_fma_f32 v98, -v91, v97, 1.0
	s_delay_alu instid0(VALU_DEP_1) | instskip(NEXT) | instid1(VALU_DEP_1)
	v_fmac_f32_e32 v97, v98, v97
	v_mul_f32_e32 v98, v99, v97
	s_delay_alu instid0(VALU_DEP_1) | instskip(NEXT) | instid1(VALU_DEP_1)
	v_fma_f32 v100, -v91, v98, v99
	v_fmac_f32_e32 v98, v100, v97
	s_delay_alu instid0(VALU_DEP_1) | instskip(NEXT) | instid1(VALU_DEP_1)
	v_fma_f32 v91, -v91, v98, v99
	v_div_fmas_f32 v91, v91, v97, v98
	s_delay_alu instid0(VALU_DEP_1) | instskip(NEXT) | instid1(VALU_DEP_1)
	v_div_fixup_f32 v91, v91, v89, v88
	v_fmac_f32_e32 v89, v88, v91
	s_delay_alu instid0(VALU_DEP_1) | instskip(SKIP_1) | instid1(VALU_DEP_2)
	v_div_scale_f32 v88, null, v89, v89, 1.0
	v_div_scale_f32 v99, vcc_lo, 1.0, v89, 1.0
	v_rcp_f32_e32 v97, v88
	v_nop
	s_delay_alu instid0(TRANS32_DEP_1) | instskip(NEXT) | instid1(VALU_DEP_1)
	v_fma_f32 v98, -v88, v97, 1.0
	v_fmac_f32_e32 v97, v98, v97
	s_delay_alu instid0(VALU_DEP_1) | instskip(NEXT) | instid1(VALU_DEP_1)
	v_mul_f32_e32 v98, v99, v97
	v_fma_f32 v100, -v88, v98, v99
	s_delay_alu instid0(VALU_DEP_1) | instskip(NEXT) | instid1(VALU_DEP_1)
	v_fmac_f32_e32 v98, v100, v97
	v_fma_f32 v88, -v88, v98, v99
	s_delay_alu instid0(VALU_DEP_1) | instskip(NEXT) | instid1(VALU_DEP_1)
	v_div_fmas_f32 v88, v88, v97, v98
	v_div_fixup_f32 v89, v88, v89, 1.0
	s_delay_alu instid0(VALU_DEP_1)
	v_mul_f32_e32 v88, v91, v89
	v_xor_b32_e32 v89, 0x80000000, v89
.LBB80_637:
	s_and_not1_saveexec_b32 s1, s1
	s_cbranch_execz .LBB80_639
; %bb.638:
	s_delay_alu instid0(VALU_DEP_1) | instskip(SKIP_1) | instid1(VALU_DEP_2)
	v_div_scale_f32 v91, null, v88, v88, v89
	v_div_scale_f32 v99, vcc_lo, v89, v88, v89
	v_rcp_f32_e32 v97, v91
	v_nop
	s_delay_alu instid0(TRANS32_DEP_1) | instskip(NEXT) | instid1(VALU_DEP_1)
	v_fma_f32 v98, -v91, v97, 1.0
	v_fmac_f32_e32 v97, v98, v97
	s_delay_alu instid0(VALU_DEP_1) | instskip(NEXT) | instid1(VALU_DEP_1)
	v_mul_f32_e32 v98, v99, v97
	v_fma_f32 v100, -v91, v98, v99
	s_delay_alu instid0(VALU_DEP_1) | instskip(NEXT) | instid1(VALU_DEP_1)
	v_fmac_f32_e32 v98, v100, v97
	v_fma_f32 v91, -v91, v98, v99
	s_delay_alu instid0(VALU_DEP_1) | instskip(NEXT) | instid1(VALU_DEP_1)
	v_div_fmas_f32 v91, v91, v97, v98
	v_div_fixup_f32 v91, v91, v88, v89
	s_delay_alu instid0(VALU_DEP_1) | instskip(NEXT) | instid1(VALU_DEP_1)
	v_fmac_f32_e32 v88, v89, v91
	v_div_scale_f32 v89, null, v88, v88, 1.0
	s_delay_alu instid0(VALU_DEP_1) | instskip(SKIP_1) | instid1(TRANS32_DEP_1)
	v_rcp_f32_e32 v97, v89
	v_nop
	v_fma_f32 v98, -v89, v97, 1.0
	s_delay_alu instid0(VALU_DEP_1) | instskip(SKIP_1) | instid1(VALU_DEP_1)
	v_fmac_f32_e32 v97, v98, v97
	v_div_scale_f32 v98, vcc_lo, 1.0, v88, 1.0
	v_mul_f32_e32 v99, v98, v97
	s_delay_alu instid0(VALU_DEP_1) | instskip(NEXT) | instid1(VALU_DEP_1)
	v_fma_f32 v100, -v89, v99, v98
	v_fmac_f32_e32 v99, v100, v97
	s_delay_alu instid0(VALU_DEP_1) | instskip(NEXT) | instid1(VALU_DEP_1)
	v_fma_f32 v89, -v89, v99, v98
	v_div_fmas_f32 v89, v89, v97, v99
	s_delay_alu instid0(VALU_DEP_1) | instskip(NEXT) | instid1(VALU_DEP_1)
	v_div_fixup_f32 v88, v89, v88, 1.0
	v_mul_f32_e64 v89, v91, -v88
.LBB80_639:
	s_or_b32 exec_lo, exec_lo, s1
.LBB80_640:
	s_delay_alu instid0(SALU_CYCLE_1) | instskip(NEXT) | instid1(SALU_CYCLE_1)
	s_or_b32 exec_lo, exec_lo, s0
	s_mov_b32 s0, exec_lo
	v_cmpx_ne_u32_e64 v96, v90
	s_xor_b32 s0, exec_lo, s0
	s_cbranch_execz .LBB80_646
; %bb.641:
	s_mov_b32 s1, exec_lo
	v_cmpx_eq_u32_e32 30, v96
	s_cbranch_execz .LBB80_645
; %bb.642:
	v_cmp_ne_u32_e32 vcc_lo, 30, v90
	s_xor_b32 s12, s16, -1
	s_delay_alu instid0(SALU_CYCLE_1) | instskip(NEXT) | instid1(SALU_CYCLE_1)
	s_and_b32 s13, s12, vcc_lo
	s_and_saveexec_b32 s12, s13
	s_cbranch_execz .LBB80_644
; %bb.643:
	v_ashrrev_i32_e32 v91, 31, v90
	s_delay_alu instid0(VALU_DEP_1)
	v_lshl_add_u64 v[96:97], v[90:91], 2, v[4:5]
	s_clause 0x1
	global_load_b32 v91, v[96:97], off
	global_load_b32 v95, v[4:5], off offset:120
	s_wait_loadcnt 0x1
	global_store_b32 v[4:5], v91, off offset:120
	s_wait_loadcnt 0x0
	global_store_b32 v[96:97], v95, off
.LBB80_644:
	s_wait_xcnt 0x0
	s_or_b32 exec_lo, exec_lo, s12
	v_dual_mov_b32 v96, v90 :: v_dual_mov_b32 v95, v90
.LBB80_645:
	s_or_b32 exec_lo, exec_lo, s1
.LBB80_646:
	s_and_not1_saveexec_b32 s0, s0
	s_cbranch_execz .LBB80_648
; %bb.647:
	v_mov_b32_e32 v96, 30
	ds_store_2addr_b64 v92, v[36:37], v[14:15] offset0:31 offset1:32
	ds_store_2addr_b64 v92, v[10:11], v[12:13] offset0:33 offset1:34
	;; [unrolled: 1-line block ×5, first 2 shown]
.LBB80_648:
	s_or_b32 exec_lo, exec_lo, s0
	s_delay_alu instid0(SALU_CYCLE_1)
	s_mov_b32 s0, exec_lo
	s_wait_storecnt_dscnt 0x0
	s_barrier_signal -1
	s_barrier_wait -1
	v_cmpx_lt_i32_e32 30, v96
	s_cbranch_execz .LBB80_650
; %bb.649:
	v_pk_mul_f32 v[90:91], v[88:89], v[40:41] op_sel:[1,1] op_sel_hi:[0,1]
	s_delay_alu instid0(VALU_DEP_1)
	v_pk_fma_f32 v[98:99], v[88:89], v[40:41], v[90:91] op_sel_hi:[1,0,1] neg_lo:[0,0,1] neg_hi:[0,0,1]
	v_pk_fma_f32 v[100:101], v[88:89], v[40:41], v[90:91] op_sel_hi:[1,0,1]
	ds_load_2addr_b64 v[88:91], v92 offset0:31 offset1:32
	v_dual_mov_b32 v40, v98 :: v_dual_mov_b32 v41, v101
	s_wait_dscnt 0x0
	v_pk_mul_f32 v[102:103], v[88:89], v[100:101] op_sel:[0,1]
	s_delay_alu instid0(VALU_DEP_1) | instskip(SKIP_1) | instid1(VALU_DEP_1)
	v_pk_fma_f32 v[104:105], v[88:89], v[98:99], v[102:103] op_sel:[0,0,1] op_sel_hi:[1,1,0] neg_lo:[0,0,1] neg_hi:[0,0,1]
	v_pk_fma_f32 v[88:89], v[88:89], v[98:99], v[102:103] op_sel:[0,0,1] op_sel_hi:[1,0,0]
	v_mov_b32_e32 v105, v89
	v_pk_mul_f32 v[88:89], v[90:91], v[100:101] op_sel:[0,1]
	s_delay_alu instid0(VALU_DEP_1) | instskip(SKIP_1) | instid1(VALU_DEP_1)
	v_pk_fma_f32 v[102:103], v[90:91], v[98:99], v[88:89] op_sel:[0,0,1] op_sel_hi:[1,1,0] neg_lo:[0,0,1] neg_hi:[0,0,1]
	v_pk_fma_f32 v[88:89], v[90:91], v[98:99], v[88:89] op_sel:[0,0,1] op_sel_hi:[1,0,0]
	v_mov_b32_e32 v103, v89
	ds_load_2addr_b64 v[88:91], v92 offset0:33 offset1:34
	v_pk_add_f32 v[36:37], v[36:37], v[104:105] neg_lo:[0,1] neg_hi:[0,1]
	v_pk_add_f32 v[14:15], v[14:15], v[102:103] neg_lo:[0,1] neg_hi:[0,1]
	s_wait_dscnt 0x0
	v_pk_mul_f32 v[102:103], v[88:89], v[100:101] op_sel:[0,1]
	s_delay_alu instid0(VALU_DEP_1) | instskip(SKIP_2) | instid1(VALU_DEP_2)
	v_pk_fma_f32 v[104:105], v[88:89], v[98:99], v[102:103] op_sel:[0,0,1] op_sel_hi:[1,1,0] neg_lo:[0,0,1] neg_hi:[0,0,1]
	v_pk_fma_f32 v[88:89], v[88:89], v[98:99], v[102:103] op_sel:[0,0,1] op_sel_hi:[1,0,0]
	v_dual_mul_f32 v102, v91, v101 :: v_dual_mov_b32 v88, v91
	v_dual_mov_b32 v105, v89 :: v_dual_mov_b32 v89, v90
	s_delay_alu instid0(VALU_DEP_2) | instskip(SKIP_1) | instid1(VALU_DEP_3)
	v_pk_fma_f32 v[102:103], v[90:91], v[40:41], v[102:103] op_sel_hi:[1,1,0] neg_lo:[0,0,1] neg_hi:[0,0,1]
	v_mul_f32_e32 v90, v91, v98
	v_pk_add_f32 v[10:11], v[10:11], v[104:105] neg_lo:[0,1] neg_hi:[0,1]
	s_delay_alu instid0(VALU_DEP_2) | instskip(NEXT) | instid1(VALU_DEP_1)
	v_pk_fma_f32 v[88:89], v[88:89], v[40:41], v[90:91] op_sel_hi:[1,1,0]
	v_mov_b32_e32 v103, v89
	ds_load_2addr_b64 v[88:91], v92 offset0:35 offset1:36
	v_pk_add_f32 v[12:13], v[12:13], v[102:103] neg_lo:[0,1] neg_hi:[0,1]
	s_wait_dscnt 0x0
	v_pk_mul_f32 v[102:103], v[88:89], v[100:101] op_sel:[0,1]
	s_delay_alu instid0(VALU_DEP_1) | instskip(SKIP_1) | instid1(VALU_DEP_1)
	v_pk_fma_f32 v[104:105], v[88:89], v[98:99], v[102:103] op_sel:[0,0,1] op_sel_hi:[1,1,0] neg_lo:[0,0,1] neg_hi:[0,0,1]
	v_pk_fma_f32 v[88:89], v[88:89], v[98:99], v[102:103] op_sel:[0,0,1] op_sel_hi:[1,0,0]
	v_mov_b32_e32 v105, v89
	v_pk_mul_f32 v[88:89], v[90:91], v[100:101] op_sel:[0,1]
	s_delay_alu instid0(VALU_DEP_1) | instskip(SKIP_1) | instid1(VALU_DEP_1)
	v_pk_fma_f32 v[102:103], v[90:91], v[98:99], v[88:89] op_sel:[0,0,1] op_sel_hi:[1,1,0] neg_lo:[0,0,1] neg_hi:[0,0,1]
	v_pk_fma_f32 v[88:89], v[90:91], v[98:99], v[88:89] op_sel:[0,0,1] op_sel_hi:[1,0,0]
	v_mov_b32_e32 v103, v89
	ds_load_2addr_b64 v[88:91], v92 offset0:37 offset1:38
	v_pk_add_f32 v[8:9], v[8:9], v[104:105] neg_lo:[0,1] neg_hi:[0,1]
	v_pk_add_f32 v[6:7], v[6:7], v[102:103] neg_lo:[0,1] neg_hi:[0,1]
	s_wait_dscnt 0x0
	v_pk_mul_f32 v[102:103], v[88:89], v[100:101] op_sel:[0,1]
	s_delay_alu instid0(VALU_DEP_1) | instskip(SKIP_1) | instid1(VALU_DEP_1)
	v_pk_fma_f32 v[104:105], v[88:89], v[98:99], v[102:103] op_sel:[0,0,1] op_sel_hi:[1,1,0] neg_lo:[0,0,1] neg_hi:[0,0,1]
	v_pk_fma_f32 v[88:89], v[88:89], v[98:99], v[102:103] op_sel:[0,0,1] op_sel_hi:[1,0,0]
	v_mov_b32_e32 v105, v89
	v_pk_mul_f32 v[88:89], v[90:91], v[100:101] op_sel:[0,1]
	s_delay_alu instid0(VALU_DEP_1) | instskip(SKIP_1) | instid1(VALU_DEP_1)
	v_pk_fma_f32 v[102:103], v[90:91], v[98:99], v[88:89] op_sel:[0,0,1] op_sel_hi:[1,1,0] neg_lo:[0,0,1] neg_hi:[0,0,1]
	v_pk_fma_f32 v[88:89], v[90:91], v[98:99], v[88:89] op_sel:[0,0,1] op_sel_hi:[1,0,0]
	v_mov_b32_e32 v103, v89
	ds_load_2addr_b64 v[88:91], v92 offset0:39 offset1:40
	v_pk_add_f32 v[44:45], v[44:45], v[104:105] neg_lo:[0,1] neg_hi:[0,1]
	v_pk_add_f32 v[22:23], v[22:23], v[102:103] neg_lo:[0,1] neg_hi:[0,1]
	s_wait_dscnt 0x0
	v_dual_mul_f32 v102, v89, v101 :: v_dual_mul_f32 v104, v89, v98
	s_delay_alu instid0(VALU_DEP_1) | instskip(NEXT) | instid1(VALU_DEP_2)
	v_pk_fma_f32 v[102:103], v[88:89], v[40:41], v[102:103] op_sel_hi:[1,1,0] neg_lo:[0,0,1] neg_hi:[0,0,1]
	v_pk_fma_f32 v[88:89], v[88:89], v[40:41], v[104:105] op_sel:[1,0,0] op_sel_hi:[0,1,0]
	s_delay_alu instid0(VALU_DEP_1) | instskip(SKIP_1) | instid1(VALU_DEP_1)
	v_mov_b32_e32 v103, v89
	v_pk_mul_f32 v[88:89], v[90:91], v[100:101] op_sel:[0,1]
	v_pk_fma_f32 v[100:101], v[90:91], v[98:99], v[88:89] op_sel:[0,0,1] op_sel_hi:[1,1,0] neg_lo:[0,0,1] neg_hi:[0,0,1]
	v_pk_fma_f32 v[88:89], v[90:91], v[98:99], v[88:89] op_sel:[0,0,1] op_sel_hi:[1,0,0]
	s_delay_alu instid0(VALU_DEP_1) | instskip(SKIP_1) | instid1(VALU_DEP_2)
	v_mov_b32_e32 v101, v89
	v_pk_add_f32 v[16:17], v[16:17], v[102:103] neg_lo:[0,1] neg_hi:[0,1]
	v_pk_add_f32 v[86:87], v[86:87], v[100:101] neg_lo:[0,1] neg_hi:[0,1]
.LBB80_650:
	s_or_b32 exec_lo, exec_lo, s0
	v_lshl_add_u32 v88, v96, 3, v92
	s_barrier_signal -1
	s_barrier_wait -1
	ds_store_b64 v88, v[36:37]
	s_wait_dscnt 0x0
	s_barrier_signal -1
	s_barrier_wait -1
	ds_load_b64 v[88:89], v92 offset:248
	v_mov_b32_e32 v90, 31
	s_cmp_lt_i32 s18, 33
	s_cbranch_scc1 .LBB80_653
; %bb.651:
	v_add3_u32 v91, v93, 0, 0x100
	v_mov_b32_e32 v90, 31
	s_mov_b32 s0, 32
.LBB80_652:                             ; =>This Inner Loop Header: Depth=1
	ds_load_b64 v[98:99], v91
	s_wait_dscnt 0x1
	v_cmp_gt_f32_e32 vcc_lo, 0, v88
	v_cndmask_b32_e64 v100, v88, -v88, vcc_lo
	v_cmp_gt_f32_e32 vcc_lo, 0, v89
	v_cndmask_b32_e64 v102, v89, -v89, vcc_lo
	s_wait_dscnt 0x0
	v_cmp_gt_f32_e32 vcc_lo, 0, v98
	v_cndmask_b32_e64 v101, v98, -v98, vcc_lo
	v_cmp_gt_f32_e32 vcc_lo, 0, v99
	v_cndmask_b32_e64 v103, v99, -v99, vcc_lo
	s_delay_alu instid0(VALU_DEP_1) | instskip(NEXT) | instid1(VALU_DEP_1)
	v_pk_add_f32 v[100:101], v[100:101], v[102:103]
	v_cmp_lt_f32_e32 vcc_lo, v100, v101
	v_dual_cndmask_b32 v88, v88, v98 :: v_dual_add_nc_u32 v91, 8, v91
	v_cndmask_b32_e32 v89, v89, v99, vcc_lo
	v_cndmask_b32_e64 v90, v90, s0, vcc_lo
	s_add_co_i32 s0, s0, 1
	s_delay_alu instid0(SALU_CYCLE_1)
	s_cmp_lg_u32 s18, s0
	s_cbranch_scc1 .LBB80_652
.LBB80_653:
	s_wait_dscnt 0x0
	v_cmp_eq_f32_e32 vcc_lo, 0, v88
	v_cmp_eq_f32_e64 s0, 0, v89
	s_and_b32 s0, vcc_lo, s0
	s_delay_alu instid0(SALU_CYCLE_1) | instskip(NEXT) | instid1(SALU_CYCLE_1)
	s_and_saveexec_b32 s1, s0
	s_xor_b32 s0, exec_lo, s1
; %bb.654:
	v_cmp_ne_u32_e32 vcc_lo, 0, v94
	v_cndmask_b32_e32 v94, 32, v94, vcc_lo
; %bb.655:
	s_and_not1_saveexec_b32 s0, s0
	s_cbranch_execz .LBB80_661
; %bb.656:
	v_cmp_ngt_f32_e64 s1, |v88|, |v89|
	s_and_saveexec_b32 s12, s1
	s_delay_alu instid0(SALU_CYCLE_1)
	s_xor_b32 s1, exec_lo, s12
	s_cbranch_execz .LBB80_658
; %bb.657:
	v_div_scale_f32 v91, null, v89, v89, v88
	v_div_scale_f32 v99, vcc_lo, v88, v89, v88
	s_delay_alu instid0(VALU_DEP_2) | instskip(SKIP_1) | instid1(TRANS32_DEP_1)
	v_rcp_f32_e32 v97, v91
	v_nop
	v_fma_f32 v98, -v91, v97, 1.0
	s_delay_alu instid0(VALU_DEP_1) | instskip(NEXT) | instid1(VALU_DEP_1)
	v_fmac_f32_e32 v97, v98, v97
	v_mul_f32_e32 v98, v99, v97
	s_delay_alu instid0(VALU_DEP_1) | instskip(NEXT) | instid1(VALU_DEP_1)
	v_fma_f32 v100, -v91, v98, v99
	v_fmac_f32_e32 v98, v100, v97
	s_delay_alu instid0(VALU_DEP_1) | instskip(NEXT) | instid1(VALU_DEP_1)
	v_fma_f32 v91, -v91, v98, v99
	v_div_fmas_f32 v91, v91, v97, v98
	s_delay_alu instid0(VALU_DEP_1) | instskip(NEXT) | instid1(VALU_DEP_1)
	v_div_fixup_f32 v91, v91, v89, v88
	v_fmac_f32_e32 v89, v88, v91
	s_delay_alu instid0(VALU_DEP_1) | instskip(SKIP_1) | instid1(VALU_DEP_2)
	v_div_scale_f32 v88, null, v89, v89, 1.0
	v_div_scale_f32 v99, vcc_lo, 1.0, v89, 1.0
	v_rcp_f32_e32 v97, v88
	v_nop
	s_delay_alu instid0(TRANS32_DEP_1) | instskip(NEXT) | instid1(VALU_DEP_1)
	v_fma_f32 v98, -v88, v97, 1.0
	v_fmac_f32_e32 v97, v98, v97
	s_delay_alu instid0(VALU_DEP_1) | instskip(NEXT) | instid1(VALU_DEP_1)
	v_mul_f32_e32 v98, v99, v97
	v_fma_f32 v100, -v88, v98, v99
	s_delay_alu instid0(VALU_DEP_1) | instskip(NEXT) | instid1(VALU_DEP_1)
	v_fmac_f32_e32 v98, v100, v97
	v_fma_f32 v88, -v88, v98, v99
	s_delay_alu instid0(VALU_DEP_1) | instskip(NEXT) | instid1(VALU_DEP_1)
	v_div_fmas_f32 v88, v88, v97, v98
	v_div_fixup_f32 v89, v88, v89, 1.0
	s_delay_alu instid0(VALU_DEP_1)
	v_mul_f32_e32 v88, v91, v89
	v_xor_b32_e32 v89, 0x80000000, v89
.LBB80_658:
	s_and_not1_saveexec_b32 s1, s1
	s_cbranch_execz .LBB80_660
; %bb.659:
	s_delay_alu instid0(VALU_DEP_1) | instskip(SKIP_1) | instid1(VALU_DEP_2)
	v_div_scale_f32 v91, null, v88, v88, v89
	v_div_scale_f32 v99, vcc_lo, v89, v88, v89
	v_rcp_f32_e32 v97, v91
	v_nop
	s_delay_alu instid0(TRANS32_DEP_1) | instskip(NEXT) | instid1(VALU_DEP_1)
	v_fma_f32 v98, -v91, v97, 1.0
	v_fmac_f32_e32 v97, v98, v97
	s_delay_alu instid0(VALU_DEP_1) | instskip(NEXT) | instid1(VALU_DEP_1)
	v_mul_f32_e32 v98, v99, v97
	v_fma_f32 v100, -v91, v98, v99
	s_delay_alu instid0(VALU_DEP_1) | instskip(NEXT) | instid1(VALU_DEP_1)
	v_fmac_f32_e32 v98, v100, v97
	v_fma_f32 v91, -v91, v98, v99
	s_delay_alu instid0(VALU_DEP_1) | instskip(NEXT) | instid1(VALU_DEP_1)
	v_div_fmas_f32 v91, v91, v97, v98
	v_div_fixup_f32 v91, v91, v88, v89
	s_delay_alu instid0(VALU_DEP_1) | instskip(NEXT) | instid1(VALU_DEP_1)
	v_fmac_f32_e32 v88, v89, v91
	v_div_scale_f32 v89, null, v88, v88, 1.0
	s_delay_alu instid0(VALU_DEP_1) | instskip(SKIP_1) | instid1(TRANS32_DEP_1)
	v_rcp_f32_e32 v97, v89
	v_nop
	v_fma_f32 v98, -v89, v97, 1.0
	s_delay_alu instid0(VALU_DEP_1) | instskip(SKIP_1) | instid1(VALU_DEP_1)
	v_fmac_f32_e32 v97, v98, v97
	v_div_scale_f32 v98, vcc_lo, 1.0, v88, 1.0
	v_mul_f32_e32 v99, v98, v97
	s_delay_alu instid0(VALU_DEP_1) | instskip(NEXT) | instid1(VALU_DEP_1)
	v_fma_f32 v100, -v89, v99, v98
	v_fmac_f32_e32 v99, v100, v97
	s_delay_alu instid0(VALU_DEP_1) | instskip(NEXT) | instid1(VALU_DEP_1)
	v_fma_f32 v89, -v89, v99, v98
	v_div_fmas_f32 v89, v89, v97, v99
	s_delay_alu instid0(VALU_DEP_1) | instskip(NEXT) | instid1(VALU_DEP_1)
	v_div_fixup_f32 v88, v89, v88, 1.0
	v_mul_f32_e64 v89, v91, -v88
.LBB80_660:
	s_or_b32 exec_lo, exec_lo, s1
.LBB80_661:
	s_delay_alu instid0(SALU_CYCLE_1) | instskip(NEXT) | instid1(SALU_CYCLE_1)
	s_or_b32 exec_lo, exec_lo, s0
	s_mov_b32 s0, exec_lo
	v_cmpx_ne_u32_e64 v96, v90
	s_xor_b32 s0, exec_lo, s0
	s_cbranch_execz .LBB80_667
; %bb.662:
	s_mov_b32 s1, exec_lo
	v_cmpx_eq_u32_e32 31, v96
	s_cbranch_execz .LBB80_666
; %bb.663:
	v_cmp_ne_u32_e32 vcc_lo, 31, v90
	s_xor_b32 s12, s16, -1
	s_delay_alu instid0(SALU_CYCLE_1) | instskip(NEXT) | instid1(SALU_CYCLE_1)
	s_and_b32 s13, s12, vcc_lo
	s_and_saveexec_b32 s12, s13
	s_cbranch_execz .LBB80_665
; %bb.664:
	v_ashrrev_i32_e32 v91, 31, v90
	s_delay_alu instid0(VALU_DEP_1)
	v_lshl_add_u64 v[96:97], v[90:91], 2, v[4:5]
	s_clause 0x1
	global_load_b32 v91, v[96:97], off
	global_load_b32 v95, v[4:5], off offset:124
	s_wait_loadcnt 0x1
	global_store_b32 v[4:5], v91, off offset:124
	s_wait_loadcnt 0x0
	global_store_b32 v[96:97], v95, off
.LBB80_665:
	s_wait_xcnt 0x0
	s_or_b32 exec_lo, exec_lo, s12
	v_dual_mov_b32 v96, v90 :: v_dual_mov_b32 v95, v90
.LBB80_666:
	s_or_b32 exec_lo, exec_lo, s1
.LBB80_667:
	s_and_not1_saveexec_b32 s0, s0
	s_cbranch_execz .LBB80_669
; %bb.668:
	v_dual_mov_b32 v90, v14 :: v_dual_mov_b32 v91, v15
	v_dual_mov_b32 v98, v10 :: v_dual_mov_b32 v99, v11
	;; [unrolled: 1-line block ×8, first 2 shown]
	v_mov_b32_e32 v111, v17
	ds_store_2addr_b64 v92, v[90:91], v[98:99] offset0:32 offset1:33
	ds_store_2addr_b64 v92, v[100:101], v[102:103] offset0:34 offset1:35
	;; [unrolled: 1-line block ×4, first 2 shown]
	ds_store_b64 v92, v[86:87] offset:320
.LBB80_669:
	s_or_b32 exec_lo, exec_lo, s0
	s_delay_alu instid0(SALU_CYCLE_1)
	s_mov_b32 s0, exec_lo
	s_wait_storecnt_dscnt 0x0
	s_barrier_signal -1
	s_barrier_wait -1
	v_cmpx_lt_i32_e32 31, v96
	s_cbranch_execz .LBB80_671
; %bb.670:
	v_pk_mul_f32 v[90:91], v[88:89], v[36:37] op_sel:[1,1] op_sel_hi:[0,1]
	s_delay_alu instid0(VALU_DEP_1)
	v_pk_fma_f32 v[98:99], v[88:89], v[36:37], v[90:91] op_sel_hi:[1,0,1] neg_lo:[0,0,1] neg_hi:[0,0,1]
	v_pk_fma_f32 v[100:101], v[88:89], v[36:37], v[90:91] op_sel_hi:[1,0,1]
	ds_load_2addr_b64 v[88:91], v92 offset0:32 offset1:33
	v_dual_mov_b32 v36, v98 :: v_dual_mov_b32 v37, v101
	s_wait_dscnt 0x0
	v_pk_mul_f32 v[102:103], v[88:89], v[100:101] op_sel:[0,1]
	s_delay_alu instid0(VALU_DEP_1) | instskip(SKIP_1) | instid1(VALU_DEP_1)
	v_pk_fma_f32 v[104:105], v[88:89], v[98:99], v[102:103] op_sel:[0,0,1] op_sel_hi:[1,1,0] neg_lo:[0,0,1] neg_hi:[0,0,1]
	v_pk_fma_f32 v[88:89], v[88:89], v[98:99], v[102:103] op_sel:[0,0,1] op_sel_hi:[1,0,0]
	v_mov_b32_e32 v105, v89
	v_pk_mul_f32 v[88:89], v[90:91], v[100:101] op_sel:[0,1]
	s_delay_alu instid0(VALU_DEP_1) | instskip(SKIP_1) | instid1(VALU_DEP_1)
	v_pk_fma_f32 v[102:103], v[90:91], v[98:99], v[88:89] op_sel:[0,0,1] op_sel_hi:[1,1,0] neg_lo:[0,0,1] neg_hi:[0,0,1]
	v_pk_fma_f32 v[88:89], v[90:91], v[98:99], v[88:89] op_sel:[0,0,1] op_sel_hi:[1,0,0]
	v_mov_b32_e32 v103, v89
	ds_load_2addr_b64 v[88:91], v92 offset0:34 offset1:35
	v_pk_add_f32 v[14:15], v[14:15], v[104:105] neg_lo:[0,1] neg_hi:[0,1]
	v_pk_add_f32 v[10:11], v[10:11], v[102:103] neg_lo:[0,1] neg_hi:[0,1]
	s_wait_dscnt 0x0
	v_pk_mul_f32 v[102:103], v[88:89], v[100:101] op_sel:[0,1]
	s_delay_alu instid0(VALU_DEP_1) | instskip(SKIP_2) | instid1(VALU_DEP_2)
	v_pk_fma_f32 v[104:105], v[88:89], v[98:99], v[102:103] op_sel:[0,0,1] op_sel_hi:[1,1,0] neg_lo:[0,0,1] neg_hi:[0,0,1]
	v_pk_fma_f32 v[88:89], v[88:89], v[98:99], v[102:103] op_sel:[0,0,1] op_sel_hi:[1,0,0]
	v_dual_mul_f32 v102, v91, v101 :: v_dual_mov_b32 v88, v91
	v_dual_mov_b32 v105, v89 :: v_dual_mov_b32 v89, v90
	s_delay_alu instid0(VALU_DEP_2) | instskip(SKIP_1) | instid1(VALU_DEP_3)
	v_pk_fma_f32 v[102:103], v[90:91], v[36:37], v[102:103] op_sel_hi:[1,1,0] neg_lo:[0,0,1] neg_hi:[0,0,1]
	v_mul_f32_e32 v90, v91, v98
	v_pk_add_f32 v[12:13], v[12:13], v[104:105] neg_lo:[0,1] neg_hi:[0,1]
	s_delay_alu instid0(VALU_DEP_2) | instskip(NEXT) | instid1(VALU_DEP_1)
	v_pk_fma_f32 v[88:89], v[88:89], v[36:37], v[90:91] op_sel_hi:[1,1,0]
	v_mov_b32_e32 v103, v89
	ds_load_2addr_b64 v[88:91], v92 offset0:36 offset1:37
	v_pk_add_f32 v[8:9], v[8:9], v[102:103] neg_lo:[0,1] neg_hi:[0,1]
	s_wait_dscnt 0x0
	v_pk_mul_f32 v[102:103], v[88:89], v[100:101] op_sel:[0,1]
	s_delay_alu instid0(VALU_DEP_1) | instskip(SKIP_1) | instid1(VALU_DEP_1)
	v_pk_fma_f32 v[104:105], v[88:89], v[98:99], v[102:103] op_sel:[0,0,1] op_sel_hi:[1,1,0] neg_lo:[0,0,1] neg_hi:[0,0,1]
	v_pk_fma_f32 v[88:89], v[88:89], v[98:99], v[102:103] op_sel:[0,0,1] op_sel_hi:[1,0,0]
	v_mov_b32_e32 v105, v89
	v_pk_mul_f32 v[88:89], v[90:91], v[100:101] op_sel:[0,1]
	s_delay_alu instid0(VALU_DEP_1) | instskip(SKIP_1) | instid1(VALU_DEP_1)
	v_pk_fma_f32 v[102:103], v[90:91], v[98:99], v[88:89] op_sel:[0,0,1] op_sel_hi:[1,1,0] neg_lo:[0,0,1] neg_hi:[0,0,1]
	v_pk_fma_f32 v[88:89], v[90:91], v[98:99], v[88:89] op_sel:[0,0,1] op_sel_hi:[1,0,0]
	v_mov_b32_e32 v103, v89
	ds_load_2addr_b64 v[88:91], v92 offset0:38 offset1:39
	v_pk_add_f32 v[6:7], v[6:7], v[104:105] neg_lo:[0,1] neg_hi:[0,1]
	v_pk_add_f32 v[44:45], v[44:45], v[102:103] neg_lo:[0,1] neg_hi:[0,1]
	s_wait_dscnt 0x0
	v_pk_mul_f32 v[102:103], v[88:89], v[100:101] op_sel:[0,1]
	s_delay_alu instid0(VALU_DEP_1) | instskip(SKIP_1) | instid1(VALU_DEP_1)
	v_pk_fma_f32 v[104:105], v[88:89], v[98:99], v[102:103] op_sel:[0,0,1] op_sel_hi:[1,1,0] neg_lo:[0,0,1] neg_hi:[0,0,1]
	v_pk_fma_f32 v[88:89], v[88:89], v[98:99], v[102:103] op_sel:[0,0,1] op_sel_hi:[1,0,0]
	v_mov_b32_e32 v105, v89
	v_pk_mul_f32 v[88:89], v[90:91], v[100:101] op_sel:[0,1]
	s_delay_alu instid0(VALU_DEP_1) | instskip(SKIP_1) | instid1(VALU_DEP_1)
	v_pk_fma_f32 v[102:103], v[90:91], v[98:99], v[88:89] op_sel:[0,0,1] op_sel_hi:[1,1,0] neg_lo:[0,0,1] neg_hi:[0,0,1]
	v_pk_fma_f32 v[88:89], v[90:91], v[98:99], v[88:89] op_sel:[0,0,1] op_sel_hi:[1,0,0]
	v_mov_b32_e32 v103, v89
	ds_load_b64 v[88:89], v92 offset:320
	v_pk_add_f32 v[22:23], v[22:23], v[104:105] neg_lo:[0,1] neg_hi:[0,1]
	v_pk_add_f32 v[16:17], v[16:17], v[102:103] neg_lo:[0,1] neg_hi:[0,1]
	s_wait_dscnt 0x0
	v_pk_mul_f32 v[90:91], v[88:89], v[100:101] op_sel:[0,1]
	s_delay_alu instid0(VALU_DEP_1) | instskip(SKIP_1) | instid1(VALU_DEP_1)
	v_pk_fma_f32 v[100:101], v[88:89], v[98:99], v[90:91] op_sel:[0,0,1] op_sel_hi:[1,1,0] neg_lo:[0,0,1] neg_hi:[0,0,1]
	v_pk_fma_f32 v[88:89], v[88:89], v[98:99], v[90:91] op_sel:[0,0,1] op_sel_hi:[1,0,0]
	v_mov_b32_e32 v101, v89
	s_delay_alu instid0(VALU_DEP_1)
	v_pk_add_f32 v[86:87], v[86:87], v[100:101] neg_lo:[0,1] neg_hi:[0,1]
.LBB80_671:
	s_or_b32 exec_lo, exec_lo, s0
	v_lshl_add_u32 v88, v96, 3, v92
	s_barrier_signal -1
	s_barrier_wait -1
	ds_store_b64 v88, v[14:15]
	s_wait_dscnt 0x0
	s_barrier_signal -1
	s_barrier_wait -1
	ds_load_b64 v[88:89], v92 offset:256
	v_mov_b32_e32 v90, 32
	s_cmp_lt_i32 s18, 34
	s_cbranch_scc1 .LBB80_674
; %bb.672:
	v_add3_u32 v91, v93, 0, 0x108
	v_mov_b32_e32 v90, 32
	s_mov_b32 s0, 33
.LBB80_673:                             ; =>This Inner Loop Header: Depth=1
	ds_load_b64 v[98:99], v91
	s_wait_dscnt 0x1
	v_cmp_gt_f32_e32 vcc_lo, 0, v88
	v_cndmask_b32_e64 v100, v88, -v88, vcc_lo
	v_cmp_gt_f32_e32 vcc_lo, 0, v89
	v_cndmask_b32_e64 v102, v89, -v89, vcc_lo
	s_wait_dscnt 0x0
	v_cmp_gt_f32_e32 vcc_lo, 0, v98
	v_cndmask_b32_e64 v101, v98, -v98, vcc_lo
	v_cmp_gt_f32_e32 vcc_lo, 0, v99
	v_cndmask_b32_e64 v103, v99, -v99, vcc_lo
	s_delay_alu instid0(VALU_DEP_1) | instskip(NEXT) | instid1(VALU_DEP_1)
	v_pk_add_f32 v[100:101], v[100:101], v[102:103]
	v_cmp_lt_f32_e32 vcc_lo, v100, v101
	v_dual_cndmask_b32 v88, v88, v98 :: v_dual_add_nc_u32 v91, 8, v91
	v_cndmask_b32_e32 v89, v89, v99, vcc_lo
	v_cndmask_b32_e64 v90, v90, s0, vcc_lo
	s_add_co_i32 s0, s0, 1
	s_delay_alu instid0(SALU_CYCLE_1)
	s_cmp_lg_u32 s18, s0
	s_cbranch_scc1 .LBB80_673
.LBB80_674:
	s_wait_dscnt 0x0
	v_cmp_eq_f32_e32 vcc_lo, 0, v88
	v_cmp_eq_f32_e64 s0, 0, v89
	s_and_b32 s0, vcc_lo, s0
	s_delay_alu instid0(SALU_CYCLE_1) | instskip(NEXT) | instid1(SALU_CYCLE_1)
	s_and_saveexec_b32 s1, s0
	s_xor_b32 s0, exec_lo, s1
; %bb.675:
	v_cmp_ne_u32_e32 vcc_lo, 0, v94
	v_cndmask_b32_e32 v94, 33, v94, vcc_lo
; %bb.676:
	s_and_not1_saveexec_b32 s0, s0
	s_cbranch_execz .LBB80_682
; %bb.677:
	v_cmp_ngt_f32_e64 s1, |v88|, |v89|
	s_and_saveexec_b32 s12, s1
	s_delay_alu instid0(SALU_CYCLE_1)
	s_xor_b32 s1, exec_lo, s12
	s_cbranch_execz .LBB80_679
; %bb.678:
	v_div_scale_f32 v91, null, v89, v89, v88
	v_div_scale_f32 v99, vcc_lo, v88, v89, v88
	s_delay_alu instid0(VALU_DEP_2) | instskip(SKIP_1) | instid1(TRANS32_DEP_1)
	v_rcp_f32_e32 v97, v91
	v_nop
	v_fma_f32 v98, -v91, v97, 1.0
	s_delay_alu instid0(VALU_DEP_1) | instskip(NEXT) | instid1(VALU_DEP_1)
	v_fmac_f32_e32 v97, v98, v97
	v_mul_f32_e32 v98, v99, v97
	s_delay_alu instid0(VALU_DEP_1) | instskip(NEXT) | instid1(VALU_DEP_1)
	v_fma_f32 v100, -v91, v98, v99
	v_fmac_f32_e32 v98, v100, v97
	s_delay_alu instid0(VALU_DEP_1) | instskip(NEXT) | instid1(VALU_DEP_1)
	v_fma_f32 v91, -v91, v98, v99
	v_div_fmas_f32 v91, v91, v97, v98
	s_delay_alu instid0(VALU_DEP_1) | instskip(NEXT) | instid1(VALU_DEP_1)
	v_div_fixup_f32 v91, v91, v89, v88
	v_fmac_f32_e32 v89, v88, v91
	s_delay_alu instid0(VALU_DEP_1) | instskip(SKIP_1) | instid1(VALU_DEP_2)
	v_div_scale_f32 v88, null, v89, v89, 1.0
	v_div_scale_f32 v99, vcc_lo, 1.0, v89, 1.0
	v_rcp_f32_e32 v97, v88
	v_nop
	s_delay_alu instid0(TRANS32_DEP_1) | instskip(NEXT) | instid1(VALU_DEP_1)
	v_fma_f32 v98, -v88, v97, 1.0
	v_fmac_f32_e32 v97, v98, v97
	s_delay_alu instid0(VALU_DEP_1) | instskip(NEXT) | instid1(VALU_DEP_1)
	v_mul_f32_e32 v98, v99, v97
	v_fma_f32 v100, -v88, v98, v99
	s_delay_alu instid0(VALU_DEP_1) | instskip(NEXT) | instid1(VALU_DEP_1)
	v_fmac_f32_e32 v98, v100, v97
	v_fma_f32 v88, -v88, v98, v99
	s_delay_alu instid0(VALU_DEP_1) | instskip(NEXT) | instid1(VALU_DEP_1)
	v_div_fmas_f32 v88, v88, v97, v98
	v_div_fixup_f32 v89, v88, v89, 1.0
	s_delay_alu instid0(VALU_DEP_1)
	v_mul_f32_e32 v88, v91, v89
	v_xor_b32_e32 v89, 0x80000000, v89
.LBB80_679:
	s_and_not1_saveexec_b32 s1, s1
	s_cbranch_execz .LBB80_681
; %bb.680:
	s_delay_alu instid0(VALU_DEP_1) | instskip(SKIP_1) | instid1(VALU_DEP_2)
	v_div_scale_f32 v91, null, v88, v88, v89
	v_div_scale_f32 v99, vcc_lo, v89, v88, v89
	v_rcp_f32_e32 v97, v91
	v_nop
	s_delay_alu instid0(TRANS32_DEP_1) | instskip(NEXT) | instid1(VALU_DEP_1)
	v_fma_f32 v98, -v91, v97, 1.0
	v_fmac_f32_e32 v97, v98, v97
	s_delay_alu instid0(VALU_DEP_1) | instskip(NEXT) | instid1(VALU_DEP_1)
	v_mul_f32_e32 v98, v99, v97
	v_fma_f32 v100, -v91, v98, v99
	s_delay_alu instid0(VALU_DEP_1) | instskip(NEXT) | instid1(VALU_DEP_1)
	v_fmac_f32_e32 v98, v100, v97
	v_fma_f32 v91, -v91, v98, v99
	s_delay_alu instid0(VALU_DEP_1) | instskip(NEXT) | instid1(VALU_DEP_1)
	v_div_fmas_f32 v91, v91, v97, v98
	v_div_fixup_f32 v91, v91, v88, v89
	s_delay_alu instid0(VALU_DEP_1) | instskip(NEXT) | instid1(VALU_DEP_1)
	v_fmac_f32_e32 v88, v89, v91
	v_div_scale_f32 v89, null, v88, v88, 1.0
	s_delay_alu instid0(VALU_DEP_1) | instskip(SKIP_1) | instid1(TRANS32_DEP_1)
	v_rcp_f32_e32 v97, v89
	v_nop
	v_fma_f32 v98, -v89, v97, 1.0
	s_delay_alu instid0(VALU_DEP_1) | instskip(SKIP_1) | instid1(VALU_DEP_1)
	v_fmac_f32_e32 v97, v98, v97
	v_div_scale_f32 v98, vcc_lo, 1.0, v88, 1.0
	v_mul_f32_e32 v99, v98, v97
	s_delay_alu instid0(VALU_DEP_1) | instskip(NEXT) | instid1(VALU_DEP_1)
	v_fma_f32 v100, -v89, v99, v98
	v_fmac_f32_e32 v99, v100, v97
	s_delay_alu instid0(VALU_DEP_1) | instskip(NEXT) | instid1(VALU_DEP_1)
	v_fma_f32 v89, -v89, v99, v98
	v_div_fmas_f32 v89, v89, v97, v99
	s_delay_alu instid0(VALU_DEP_1) | instskip(NEXT) | instid1(VALU_DEP_1)
	v_div_fixup_f32 v88, v89, v88, 1.0
	v_mul_f32_e64 v89, v91, -v88
.LBB80_681:
	s_or_b32 exec_lo, exec_lo, s1
.LBB80_682:
	s_delay_alu instid0(SALU_CYCLE_1) | instskip(NEXT) | instid1(SALU_CYCLE_1)
	s_or_b32 exec_lo, exec_lo, s0
	s_mov_b32 s0, exec_lo
	v_cmpx_ne_u32_e64 v96, v90
	s_xor_b32 s0, exec_lo, s0
	s_cbranch_execz .LBB80_688
; %bb.683:
	s_mov_b32 s1, exec_lo
	v_cmpx_eq_u32_e32 32, v96
	s_cbranch_execz .LBB80_687
; %bb.684:
	v_cmp_ne_u32_e32 vcc_lo, 32, v90
	s_xor_b32 s12, s16, -1
	s_delay_alu instid0(SALU_CYCLE_1) | instskip(NEXT) | instid1(SALU_CYCLE_1)
	s_and_b32 s13, s12, vcc_lo
	s_and_saveexec_b32 s12, s13
	s_cbranch_execz .LBB80_686
; %bb.685:
	v_ashrrev_i32_e32 v91, 31, v90
	s_delay_alu instid0(VALU_DEP_1)
	v_lshl_add_u64 v[96:97], v[90:91], 2, v[4:5]
	s_clause 0x1
	global_load_b32 v91, v[96:97], off
	global_load_b32 v95, v[4:5], off offset:128
	s_wait_loadcnt 0x1
	global_store_b32 v[4:5], v91, off offset:128
	s_wait_loadcnt 0x0
	global_store_b32 v[96:97], v95, off
.LBB80_686:
	s_wait_xcnt 0x0
	s_or_b32 exec_lo, exec_lo, s12
	v_dual_mov_b32 v96, v90 :: v_dual_mov_b32 v95, v90
.LBB80_687:
	s_or_b32 exec_lo, exec_lo, s1
.LBB80_688:
	s_and_not1_saveexec_b32 s0, s0
	s_cbranch_execz .LBB80_690
; %bb.689:
	v_mov_b32_e32 v96, 32
	ds_store_2addr_b64 v92, v[10:11], v[12:13] offset0:33 offset1:34
	ds_store_2addr_b64 v92, v[8:9], v[6:7] offset0:35 offset1:36
	;; [unrolled: 1-line block ×4, first 2 shown]
.LBB80_690:
	s_or_b32 exec_lo, exec_lo, s0
	s_delay_alu instid0(SALU_CYCLE_1)
	s_mov_b32 s0, exec_lo
	s_wait_storecnt_dscnt 0x0
	s_barrier_signal -1
	s_barrier_wait -1
	v_cmpx_lt_i32_e32 32, v96
	s_cbranch_execz .LBB80_692
; %bb.691:
	v_pk_mul_f32 v[90:91], v[88:89], v[14:15] op_sel:[1,1] op_sel_hi:[0,1]
	s_delay_alu instid0(VALU_DEP_1)
	v_pk_fma_f32 v[98:99], v[88:89], v[14:15], v[90:91] op_sel_hi:[1,0,1] neg_lo:[0,0,1] neg_hi:[0,0,1]
	v_pk_fma_f32 v[100:101], v[88:89], v[14:15], v[90:91] op_sel_hi:[1,0,1]
	ds_load_2addr_b64 v[88:91], v92 offset0:33 offset1:34
	v_dual_mov_b32 v14, v98 :: v_dual_mov_b32 v15, v101
	s_wait_dscnt 0x0
	v_pk_mul_f32 v[102:103], v[88:89], v[100:101] op_sel:[0,1]
	s_delay_alu instid0(VALU_DEP_1) | instskip(SKIP_1) | instid1(VALU_DEP_1)
	v_pk_fma_f32 v[104:105], v[88:89], v[98:99], v[102:103] op_sel:[0,0,1] op_sel_hi:[1,1,0] neg_lo:[0,0,1] neg_hi:[0,0,1]
	v_pk_fma_f32 v[88:89], v[88:89], v[98:99], v[102:103] op_sel:[0,0,1] op_sel_hi:[1,0,0]
	v_mov_b32_e32 v105, v89
	v_pk_mul_f32 v[88:89], v[90:91], v[100:101] op_sel:[0,1]
	s_delay_alu instid0(VALU_DEP_1) | instskip(SKIP_1) | instid1(VALU_DEP_1)
	v_pk_fma_f32 v[102:103], v[90:91], v[98:99], v[88:89] op_sel:[0,0,1] op_sel_hi:[1,1,0] neg_lo:[0,0,1] neg_hi:[0,0,1]
	v_pk_fma_f32 v[88:89], v[90:91], v[98:99], v[88:89] op_sel:[0,0,1] op_sel_hi:[1,0,0]
	v_mov_b32_e32 v103, v89
	ds_load_2addr_b64 v[88:91], v92 offset0:35 offset1:36
	v_pk_add_f32 v[10:11], v[10:11], v[104:105] neg_lo:[0,1] neg_hi:[0,1]
	v_pk_add_f32 v[12:13], v[12:13], v[102:103] neg_lo:[0,1] neg_hi:[0,1]
	s_wait_dscnt 0x0
	v_pk_mul_f32 v[102:103], v[88:89], v[100:101] op_sel:[0,1]
	s_delay_alu instid0(VALU_DEP_1) | instskip(SKIP_2) | instid1(VALU_DEP_2)
	v_pk_fma_f32 v[104:105], v[88:89], v[98:99], v[102:103] op_sel:[0,0,1] op_sel_hi:[1,1,0] neg_lo:[0,0,1] neg_hi:[0,0,1]
	v_pk_fma_f32 v[88:89], v[88:89], v[98:99], v[102:103] op_sel:[0,0,1] op_sel_hi:[1,0,0]
	v_dual_mul_f32 v102, v91, v101 :: v_dual_mov_b32 v88, v91
	v_dual_mov_b32 v105, v89 :: v_dual_mov_b32 v89, v90
	s_delay_alu instid0(VALU_DEP_2) | instskip(SKIP_1) | instid1(VALU_DEP_3)
	v_pk_fma_f32 v[102:103], v[90:91], v[14:15], v[102:103] op_sel_hi:[1,1,0] neg_lo:[0,0,1] neg_hi:[0,0,1]
	v_mul_f32_e32 v90, v91, v98
	v_pk_add_f32 v[8:9], v[8:9], v[104:105] neg_lo:[0,1] neg_hi:[0,1]
	s_delay_alu instid0(VALU_DEP_2) | instskip(NEXT) | instid1(VALU_DEP_1)
	v_pk_fma_f32 v[88:89], v[88:89], v[14:15], v[90:91] op_sel_hi:[1,1,0]
	v_mov_b32_e32 v103, v89
	ds_load_2addr_b64 v[88:91], v92 offset0:37 offset1:38
	v_pk_add_f32 v[6:7], v[6:7], v[102:103] neg_lo:[0,1] neg_hi:[0,1]
	s_wait_dscnt 0x0
	v_pk_mul_f32 v[102:103], v[88:89], v[100:101] op_sel:[0,1]
	s_delay_alu instid0(VALU_DEP_1) | instskip(SKIP_1) | instid1(VALU_DEP_1)
	v_pk_fma_f32 v[104:105], v[88:89], v[98:99], v[102:103] op_sel:[0,0,1] op_sel_hi:[1,1,0] neg_lo:[0,0,1] neg_hi:[0,0,1]
	v_pk_fma_f32 v[88:89], v[88:89], v[98:99], v[102:103] op_sel:[0,0,1] op_sel_hi:[1,0,0]
	v_mov_b32_e32 v105, v89
	v_pk_mul_f32 v[88:89], v[90:91], v[100:101] op_sel:[0,1]
	s_delay_alu instid0(VALU_DEP_1) | instskip(SKIP_1) | instid1(VALU_DEP_1)
	v_pk_fma_f32 v[102:103], v[90:91], v[98:99], v[88:89] op_sel:[0,0,1] op_sel_hi:[1,1,0] neg_lo:[0,0,1] neg_hi:[0,0,1]
	v_pk_fma_f32 v[88:89], v[90:91], v[98:99], v[88:89] op_sel:[0,0,1] op_sel_hi:[1,0,0]
	v_mov_b32_e32 v103, v89
	ds_load_2addr_b64 v[88:91], v92 offset0:39 offset1:40
	v_pk_add_f32 v[44:45], v[44:45], v[104:105] neg_lo:[0,1] neg_hi:[0,1]
	v_pk_add_f32 v[22:23], v[22:23], v[102:103] neg_lo:[0,1] neg_hi:[0,1]
	s_wait_dscnt 0x0
	v_pk_mul_f32 v[102:103], v[88:89], v[100:101] op_sel:[0,1]
	s_delay_alu instid0(VALU_DEP_1) | instskip(SKIP_1) | instid1(VALU_DEP_1)
	v_pk_fma_f32 v[104:105], v[88:89], v[98:99], v[102:103] op_sel:[0,0,1] op_sel_hi:[1,1,0] neg_lo:[0,0,1] neg_hi:[0,0,1]
	v_pk_fma_f32 v[88:89], v[88:89], v[98:99], v[102:103] op_sel:[0,0,1] op_sel_hi:[1,0,0]
	v_mov_b32_e32 v105, v89
	v_pk_mul_f32 v[88:89], v[90:91], v[100:101] op_sel:[0,1]
	s_delay_alu instid0(VALU_DEP_1) | instskip(SKIP_1) | instid1(VALU_DEP_1)
	v_pk_fma_f32 v[100:101], v[90:91], v[98:99], v[88:89] op_sel:[0,0,1] op_sel_hi:[1,1,0] neg_lo:[0,0,1] neg_hi:[0,0,1]
	v_pk_fma_f32 v[88:89], v[90:91], v[98:99], v[88:89] op_sel:[0,0,1] op_sel_hi:[1,0,0]
	v_mov_b32_e32 v101, v89
	v_pk_add_f32 v[16:17], v[16:17], v[104:105] neg_lo:[0,1] neg_hi:[0,1]
	s_delay_alu instid0(VALU_DEP_2)
	v_pk_add_f32 v[86:87], v[86:87], v[100:101] neg_lo:[0,1] neg_hi:[0,1]
.LBB80_692:
	s_or_b32 exec_lo, exec_lo, s0
	v_lshl_add_u32 v88, v96, 3, v92
	s_barrier_signal -1
	s_barrier_wait -1
	ds_store_b64 v88, v[10:11]
	s_wait_dscnt 0x0
	s_barrier_signal -1
	s_barrier_wait -1
	ds_load_b64 v[88:89], v92 offset:264
	v_mov_b32_e32 v90, 33
	s_cmp_lt_i32 s18, 35
	s_cbranch_scc1 .LBB80_695
; %bb.693:
	v_add3_u32 v91, v93, 0, 0x110
	v_mov_b32_e32 v90, 33
	s_mov_b32 s0, 34
.LBB80_694:                             ; =>This Inner Loop Header: Depth=1
	ds_load_b64 v[98:99], v91
	s_wait_dscnt 0x1
	v_cmp_gt_f32_e32 vcc_lo, 0, v88
	v_cndmask_b32_e64 v100, v88, -v88, vcc_lo
	v_cmp_gt_f32_e32 vcc_lo, 0, v89
	v_cndmask_b32_e64 v102, v89, -v89, vcc_lo
	s_wait_dscnt 0x0
	v_cmp_gt_f32_e32 vcc_lo, 0, v98
	v_cndmask_b32_e64 v101, v98, -v98, vcc_lo
	v_cmp_gt_f32_e32 vcc_lo, 0, v99
	v_cndmask_b32_e64 v103, v99, -v99, vcc_lo
	s_delay_alu instid0(VALU_DEP_1) | instskip(NEXT) | instid1(VALU_DEP_1)
	v_pk_add_f32 v[100:101], v[100:101], v[102:103]
	v_cmp_lt_f32_e32 vcc_lo, v100, v101
	v_dual_cndmask_b32 v88, v88, v98 :: v_dual_add_nc_u32 v91, 8, v91
	v_cndmask_b32_e32 v89, v89, v99, vcc_lo
	v_cndmask_b32_e64 v90, v90, s0, vcc_lo
	s_add_co_i32 s0, s0, 1
	s_delay_alu instid0(SALU_CYCLE_1)
	s_cmp_lg_u32 s18, s0
	s_cbranch_scc1 .LBB80_694
.LBB80_695:
	s_wait_dscnt 0x0
	v_cmp_eq_f32_e32 vcc_lo, 0, v88
	v_cmp_eq_f32_e64 s0, 0, v89
	s_and_b32 s0, vcc_lo, s0
	s_delay_alu instid0(SALU_CYCLE_1) | instskip(NEXT) | instid1(SALU_CYCLE_1)
	s_and_saveexec_b32 s1, s0
	s_xor_b32 s0, exec_lo, s1
; %bb.696:
	v_cmp_ne_u32_e32 vcc_lo, 0, v94
	v_cndmask_b32_e32 v94, 34, v94, vcc_lo
; %bb.697:
	s_and_not1_saveexec_b32 s0, s0
	s_cbranch_execz .LBB80_703
; %bb.698:
	v_cmp_ngt_f32_e64 s1, |v88|, |v89|
	s_and_saveexec_b32 s12, s1
	s_delay_alu instid0(SALU_CYCLE_1)
	s_xor_b32 s1, exec_lo, s12
	s_cbranch_execz .LBB80_700
; %bb.699:
	v_div_scale_f32 v91, null, v89, v89, v88
	v_div_scale_f32 v99, vcc_lo, v88, v89, v88
	s_delay_alu instid0(VALU_DEP_2) | instskip(SKIP_1) | instid1(TRANS32_DEP_1)
	v_rcp_f32_e32 v97, v91
	v_nop
	v_fma_f32 v98, -v91, v97, 1.0
	s_delay_alu instid0(VALU_DEP_1) | instskip(NEXT) | instid1(VALU_DEP_1)
	v_fmac_f32_e32 v97, v98, v97
	v_mul_f32_e32 v98, v99, v97
	s_delay_alu instid0(VALU_DEP_1) | instskip(NEXT) | instid1(VALU_DEP_1)
	v_fma_f32 v100, -v91, v98, v99
	v_fmac_f32_e32 v98, v100, v97
	s_delay_alu instid0(VALU_DEP_1) | instskip(NEXT) | instid1(VALU_DEP_1)
	v_fma_f32 v91, -v91, v98, v99
	v_div_fmas_f32 v91, v91, v97, v98
	s_delay_alu instid0(VALU_DEP_1) | instskip(NEXT) | instid1(VALU_DEP_1)
	v_div_fixup_f32 v91, v91, v89, v88
	v_fmac_f32_e32 v89, v88, v91
	s_delay_alu instid0(VALU_DEP_1) | instskip(SKIP_1) | instid1(VALU_DEP_2)
	v_div_scale_f32 v88, null, v89, v89, 1.0
	v_div_scale_f32 v99, vcc_lo, 1.0, v89, 1.0
	v_rcp_f32_e32 v97, v88
	v_nop
	s_delay_alu instid0(TRANS32_DEP_1) | instskip(NEXT) | instid1(VALU_DEP_1)
	v_fma_f32 v98, -v88, v97, 1.0
	v_fmac_f32_e32 v97, v98, v97
	s_delay_alu instid0(VALU_DEP_1) | instskip(NEXT) | instid1(VALU_DEP_1)
	v_mul_f32_e32 v98, v99, v97
	v_fma_f32 v100, -v88, v98, v99
	s_delay_alu instid0(VALU_DEP_1) | instskip(NEXT) | instid1(VALU_DEP_1)
	v_fmac_f32_e32 v98, v100, v97
	v_fma_f32 v88, -v88, v98, v99
	s_delay_alu instid0(VALU_DEP_1) | instskip(NEXT) | instid1(VALU_DEP_1)
	v_div_fmas_f32 v88, v88, v97, v98
	v_div_fixup_f32 v89, v88, v89, 1.0
	s_delay_alu instid0(VALU_DEP_1)
	v_mul_f32_e32 v88, v91, v89
	v_xor_b32_e32 v89, 0x80000000, v89
.LBB80_700:
	s_and_not1_saveexec_b32 s1, s1
	s_cbranch_execz .LBB80_702
; %bb.701:
	s_delay_alu instid0(VALU_DEP_1) | instskip(SKIP_1) | instid1(VALU_DEP_2)
	v_div_scale_f32 v91, null, v88, v88, v89
	v_div_scale_f32 v99, vcc_lo, v89, v88, v89
	v_rcp_f32_e32 v97, v91
	v_nop
	s_delay_alu instid0(TRANS32_DEP_1) | instskip(NEXT) | instid1(VALU_DEP_1)
	v_fma_f32 v98, -v91, v97, 1.0
	v_fmac_f32_e32 v97, v98, v97
	s_delay_alu instid0(VALU_DEP_1) | instskip(NEXT) | instid1(VALU_DEP_1)
	v_mul_f32_e32 v98, v99, v97
	v_fma_f32 v100, -v91, v98, v99
	s_delay_alu instid0(VALU_DEP_1) | instskip(NEXT) | instid1(VALU_DEP_1)
	v_fmac_f32_e32 v98, v100, v97
	v_fma_f32 v91, -v91, v98, v99
	s_delay_alu instid0(VALU_DEP_1) | instskip(NEXT) | instid1(VALU_DEP_1)
	v_div_fmas_f32 v91, v91, v97, v98
	v_div_fixup_f32 v91, v91, v88, v89
	s_delay_alu instid0(VALU_DEP_1) | instskip(NEXT) | instid1(VALU_DEP_1)
	v_fmac_f32_e32 v88, v89, v91
	v_div_scale_f32 v89, null, v88, v88, 1.0
	s_delay_alu instid0(VALU_DEP_1) | instskip(SKIP_1) | instid1(TRANS32_DEP_1)
	v_rcp_f32_e32 v97, v89
	v_nop
	v_fma_f32 v98, -v89, v97, 1.0
	s_delay_alu instid0(VALU_DEP_1) | instskip(SKIP_1) | instid1(VALU_DEP_1)
	v_fmac_f32_e32 v97, v98, v97
	v_div_scale_f32 v98, vcc_lo, 1.0, v88, 1.0
	v_mul_f32_e32 v99, v98, v97
	s_delay_alu instid0(VALU_DEP_1) | instskip(NEXT) | instid1(VALU_DEP_1)
	v_fma_f32 v100, -v89, v99, v98
	v_fmac_f32_e32 v99, v100, v97
	s_delay_alu instid0(VALU_DEP_1) | instskip(NEXT) | instid1(VALU_DEP_1)
	v_fma_f32 v89, -v89, v99, v98
	v_div_fmas_f32 v89, v89, v97, v99
	s_delay_alu instid0(VALU_DEP_1) | instskip(NEXT) | instid1(VALU_DEP_1)
	v_div_fixup_f32 v88, v89, v88, 1.0
	v_mul_f32_e64 v89, v91, -v88
.LBB80_702:
	s_or_b32 exec_lo, exec_lo, s1
.LBB80_703:
	s_delay_alu instid0(SALU_CYCLE_1) | instskip(NEXT) | instid1(SALU_CYCLE_1)
	s_or_b32 exec_lo, exec_lo, s0
	s_mov_b32 s0, exec_lo
	v_cmpx_ne_u32_e64 v96, v90
	s_xor_b32 s0, exec_lo, s0
	s_cbranch_execz .LBB80_709
; %bb.704:
	s_mov_b32 s1, exec_lo
	v_cmpx_eq_u32_e32 33, v96
	s_cbranch_execz .LBB80_708
; %bb.705:
	v_cmp_ne_u32_e32 vcc_lo, 33, v90
	s_xor_b32 s12, s16, -1
	s_delay_alu instid0(SALU_CYCLE_1) | instskip(NEXT) | instid1(SALU_CYCLE_1)
	s_and_b32 s13, s12, vcc_lo
	s_and_saveexec_b32 s12, s13
	s_cbranch_execz .LBB80_707
; %bb.706:
	v_ashrrev_i32_e32 v91, 31, v90
	s_delay_alu instid0(VALU_DEP_1)
	v_lshl_add_u64 v[96:97], v[90:91], 2, v[4:5]
	s_clause 0x1
	global_load_b32 v91, v[96:97], off
	global_load_b32 v95, v[4:5], off offset:132
	s_wait_loadcnt 0x1
	global_store_b32 v[4:5], v91, off offset:132
	s_wait_loadcnt 0x0
	global_store_b32 v[96:97], v95, off
.LBB80_707:
	s_wait_xcnt 0x0
	s_or_b32 exec_lo, exec_lo, s12
	v_dual_mov_b32 v96, v90 :: v_dual_mov_b32 v95, v90
.LBB80_708:
	s_or_b32 exec_lo, exec_lo, s1
.LBB80_709:
	s_and_not1_saveexec_b32 s0, s0
	s_cbranch_execz .LBB80_711
; %bb.710:
	v_dual_mov_b32 v90, v12 :: v_dual_mov_b32 v91, v13
	v_dual_mov_b32 v98, v8 :: v_dual_mov_b32 v99, v9
	;; [unrolled: 1-line block ×6, first 2 shown]
	v_mov_b32_e32 v107, v17
	ds_store_2addr_b64 v92, v[90:91], v[98:99] offset0:34 offset1:35
	ds_store_2addr_b64 v92, v[100:101], v[102:103] offset0:36 offset1:37
	;; [unrolled: 1-line block ×3, first 2 shown]
	ds_store_b64 v92, v[86:87] offset:320
.LBB80_711:
	s_or_b32 exec_lo, exec_lo, s0
	s_delay_alu instid0(SALU_CYCLE_1)
	s_mov_b32 s0, exec_lo
	s_wait_storecnt_dscnt 0x0
	s_barrier_signal -1
	s_barrier_wait -1
	v_cmpx_lt_i32_e32 33, v96
	s_cbranch_execz .LBB80_713
; %bb.712:
	v_pk_mul_f32 v[90:91], v[88:89], v[10:11] op_sel:[1,1] op_sel_hi:[0,1]
	s_delay_alu instid0(VALU_DEP_1)
	v_pk_fma_f32 v[98:99], v[88:89], v[10:11], v[90:91] op_sel_hi:[1,0,1] neg_lo:[0,0,1] neg_hi:[0,0,1]
	v_pk_fma_f32 v[100:101], v[88:89], v[10:11], v[90:91] op_sel_hi:[1,0,1]
	ds_load_2addr_b64 v[88:91], v92 offset0:34 offset1:35
	v_dual_mov_b32 v10, v98 :: v_dual_mov_b32 v11, v101
	s_wait_dscnt 0x0
	v_pk_mul_f32 v[102:103], v[88:89], v[100:101] op_sel:[0,1]
	s_delay_alu instid0(VALU_DEP_1) | instskip(SKIP_1) | instid1(VALU_DEP_1)
	v_pk_fma_f32 v[104:105], v[88:89], v[98:99], v[102:103] op_sel:[0,0,1] op_sel_hi:[1,1,0] neg_lo:[0,0,1] neg_hi:[0,0,1]
	v_pk_fma_f32 v[88:89], v[88:89], v[98:99], v[102:103] op_sel:[0,0,1] op_sel_hi:[1,0,0]
	v_mov_b32_e32 v105, v89
	v_pk_mul_f32 v[88:89], v[90:91], v[100:101] op_sel:[0,1]
	s_delay_alu instid0(VALU_DEP_1) | instskip(SKIP_1) | instid1(VALU_DEP_1)
	v_pk_fma_f32 v[102:103], v[90:91], v[98:99], v[88:89] op_sel:[0,0,1] op_sel_hi:[1,1,0] neg_lo:[0,0,1] neg_hi:[0,0,1]
	v_pk_fma_f32 v[88:89], v[90:91], v[98:99], v[88:89] op_sel:[0,0,1] op_sel_hi:[1,0,0]
	v_mov_b32_e32 v103, v89
	ds_load_2addr_b64 v[88:91], v92 offset0:36 offset1:37
	v_pk_add_f32 v[12:13], v[12:13], v[104:105] neg_lo:[0,1] neg_hi:[0,1]
	v_pk_add_f32 v[8:9], v[8:9], v[102:103] neg_lo:[0,1] neg_hi:[0,1]
	s_wait_dscnt 0x0
	v_pk_mul_f32 v[102:103], v[88:89], v[100:101] op_sel:[0,1]
	s_delay_alu instid0(VALU_DEP_1) | instskip(SKIP_2) | instid1(VALU_DEP_2)
	v_pk_fma_f32 v[104:105], v[88:89], v[98:99], v[102:103] op_sel:[0,0,1] op_sel_hi:[1,1,0] neg_lo:[0,0,1] neg_hi:[0,0,1]
	v_pk_fma_f32 v[88:89], v[88:89], v[98:99], v[102:103] op_sel:[0,0,1] op_sel_hi:[1,0,0]
	v_dual_mul_f32 v102, v91, v101 :: v_dual_mov_b32 v88, v91
	v_dual_mov_b32 v105, v89 :: v_dual_mov_b32 v89, v90
	s_delay_alu instid0(VALU_DEP_2) | instskip(SKIP_1) | instid1(VALU_DEP_3)
	v_pk_fma_f32 v[102:103], v[90:91], v[10:11], v[102:103] op_sel_hi:[1,1,0] neg_lo:[0,0,1] neg_hi:[0,0,1]
	v_mul_f32_e32 v90, v91, v98
	v_pk_add_f32 v[6:7], v[6:7], v[104:105] neg_lo:[0,1] neg_hi:[0,1]
	s_delay_alu instid0(VALU_DEP_2) | instskip(NEXT) | instid1(VALU_DEP_1)
	v_pk_fma_f32 v[88:89], v[88:89], v[10:11], v[90:91] op_sel_hi:[1,1,0]
	v_mov_b32_e32 v103, v89
	ds_load_2addr_b64 v[88:91], v92 offset0:38 offset1:39
	v_pk_add_f32 v[44:45], v[44:45], v[102:103] neg_lo:[0,1] neg_hi:[0,1]
	s_wait_dscnt 0x0
	v_pk_mul_f32 v[102:103], v[88:89], v[100:101] op_sel:[0,1]
	s_delay_alu instid0(VALU_DEP_1) | instskip(SKIP_1) | instid1(VALU_DEP_1)
	v_pk_fma_f32 v[104:105], v[88:89], v[98:99], v[102:103] op_sel:[0,0,1] op_sel_hi:[1,1,0] neg_lo:[0,0,1] neg_hi:[0,0,1]
	v_pk_fma_f32 v[88:89], v[88:89], v[98:99], v[102:103] op_sel:[0,0,1] op_sel_hi:[1,0,0]
	v_mov_b32_e32 v105, v89
	v_pk_mul_f32 v[88:89], v[90:91], v[100:101] op_sel:[0,1]
	s_delay_alu instid0(VALU_DEP_1) | instskip(SKIP_1) | instid1(VALU_DEP_1)
	v_pk_fma_f32 v[102:103], v[90:91], v[98:99], v[88:89] op_sel:[0,0,1] op_sel_hi:[1,1,0] neg_lo:[0,0,1] neg_hi:[0,0,1]
	v_pk_fma_f32 v[88:89], v[90:91], v[98:99], v[88:89] op_sel:[0,0,1] op_sel_hi:[1,0,0]
	v_mov_b32_e32 v103, v89
	ds_load_b64 v[88:89], v92 offset:320
	v_pk_add_f32 v[22:23], v[22:23], v[104:105] neg_lo:[0,1] neg_hi:[0,1]
	v_pk_add_f32 v[16:17], v[16:17], v[102:103] neg_lo:[0,1] neg_hi:[0,1]
	s_wait_dscnt 0x0
	v_pk_mul_f32 v[90:91], v[88:89], v[100:101] op_sel:[0,1]
	s_delay_alu instid0(VALU_DEP_1) | instskip(SKIP_1) | instid1(VALU_DEP_1)
	v_pk_fma_f32 v[100:101], v[88:89], v[98:99], v[90:91] op_sel:[0,0,1] op_sel_hi:[1,1,0] neg_lo:[0,0,1] neg_hi:[0,0,1]
	v_pk_fma_f32 v[88:89], v[88:89], v[98:99], v[90:91] op_sel:[0,0,1] op_sel_hi:[1,0,0]
	v_mov_b32_e32 v101, v89
	s_delay_alu instid0(VALU_DEP_1)
	v_pk_add_f32 v[86:87], v[86:87], v[100:101] neg_lo:[0,1] neg_hi:[0,1]
.LBB80_713:
	s_or_b32 exec_lo, exec_lo, s0
	v_lshl_add_u32 v88, v96, 3, v92
	s_barrier_signal -1
	s_barrier_wait -1
	ds_store_b64 v88, v[12:13]
	s_wait_dscnt 0x0
	s_barrier_signal -1
	s_barrier_wait -1
	ds_load_b64 v[88:89], v92 offset:272
	v_mov_b32_e32 v90, 34
	s_cmp_lt_i32 s18, 36
	s_cbranch_scc1 .LBB80_716
; %bb.714:
	v_add3_u32 v91, v93, 0, 0x118
	v_mov_b32_e32 v90, 34
	s_mov_b32 s0, 35
.LBB80_715:                             ; =>This Inner Loop Header: Depth=1
	ds_load_b64 v[98:99], v91
	s_wait_dscnt 0x1
	v_cmp_gt_f32_e32 vcc_lo, 0, v88
	v_cndmask_b32_e64 v100, v88, -v88, vcc_lo
	v_cmp_gt_f32_e32 vcc_lo, 0, v89
	v_cndmask_b32_e64 v102, v89, -v89, vcc_lo
	s_wait_dscnt 0x0
	v_cmp_gt_f32_e32 vcc_lo, 0, v98
	v_cndmask_b32_e64 v101, v98, -v98, vcc_lo
	v_cmp_gt_f32_e32 vcc_lo, 0, v99
	v_cndmask_b32_e64 v103, v99, -v99, vcc_lo
	s_delay_alu instid0(VALU_DEP_1) | instskip(NEXT) | instid1(VALU_DEP_1)
	v_pk_add_f32 v[100:101], v[100:101], v[102:103]
	v_cmp_lt_f32_e32 vcc_lo, v100, v101
	v_dual_cndmask_b32 v88, v88, v98 :: v_dual_add_nc_u32 v91, 8, v91
	v_cndmask_b32_e32 v89, v89, v99, vcc_lo
	v_cndmask_b32_e64 v90, v90, s0, vcc_lo
	s_add_co_i32 s0, s0, 1
	s_delay_alu instid0(SALU_CYCLE_1)
	s_cmp_lg_u32 s18, s0
	s_cbranch_scc1 .LBB80_715
.LBB80_716:
	s_wait_dscnt 0x0
	v_cmp_eq_f32_e32 vcc_lo, 0, v88
	v_cmp_eq_f32_e64 s0, 0, v89
	s_and_b32 s0, vcc_lo, s0
	s_delay_alu instid0(SALU_CYCLE_1) | instskip(NEXT) | instid1(SALU_CYCLE_1)
	s_and_saveexec_b32 s1, s0
	s_xor_b32 s0, exec_lo, s1
; %bb.717:
	v_cmp_ne_u32_e32 vcc_lo, 0, v94
	v_cndmask_b32_e32 v94, 35, v94, vcc_lo
; %bb.718:
	s_and_not1_saveexec_b32 s0, s0
	s_cbranch_execz .LBB80_724
; %bb.719:
	v_cmp_ngt_f32_e64 s1, |v88|, |v89|
	s_and_saveexec_b32 s12, s1
	s_delay_alu instid0(SALU_CYCLE_1)
	s_xor_b32 s1, exec_lo, s12
	s_cbranch_execz .LBB80_721
; %bb.720:
	v_div_scale_f32 v91, null, v89, v89, v88
	v_div_scale_f32 v99, vcc_lo, v88, v89, v88
	s_delay_alu instid0(VALU_DEP_2) | instskip(SKIP_1) | instid1(TRANS32_DEP_1)
	v_rcp_f32_e32 v97, v91
	v_nop
	v_fma_f32 v98, -v91, v97, 1.0
	s_delay_alu instid0(VALU_DEP_1) | instskip(NEXT) | instid1(VALU_DEP_1)
	v_fmac_f32_e32 v97, v98, v97
	v_mul_f32_e32 v98, v99, v97
	s_delay_alu instid0(VALU_DEP_1) | instskip(NEXT) | instid1(VALU_DEP_1)
	v_fma_f32 v100, -v91, v98, v99
	v_fmac_f32_e32 v98, v100, v97
	s_delay_alu instid0(VALU_DEP_1) | instskip(NEXT) | instid1(VALU_DEP_1)
	v_fma_f32 v91, -v91, v98, v99
	v_div_fmas_f32 v91, v91, v97, v98
	s_delay_alu instid0(VALU_DEP_1) | instskip(NEXT) | instid1(VALU_DEP_1)
	v_div_fixup_f32 v91, v91, v89, v88
	v_fmac_f32_e32 v89, v88, v91
	s_delay_alu instid0(VALU_DEP_1) | instskip(SKIP_1) | instid1(VALU_DEP_2)
	v_div_scale_f32 v88, null, v89, v89, 1.0
	v_div_scale_f32 v99, vcc_lo, 1.0, v89, 1.0
	v_rcp_f32_e32 v97, v88
	v_nop
	s_delay_alu instid0(TRANS32_DEP_1) | instskip(NEXT) | instid1(VALU_DEP_1)
	v_fma_f32 v98, -v88, v97, 1.0
	v_fmac_f32_e32 v97, v98, v97
	s_delay_alu instid0(VALU_DEP_1) | instskip(NEXT) | instid1(VALU_DEP_1)
	v_mul_f32_e32 v98, v99, v97
	v_fma_f32 v100, -v88, v98, v99
	s_delay_alu instid0(VALU_DEP_1) | instskip(NEXT) | instid1(VALU_DEP_1)
	v_fmac_f32_e32 v98, v100, v97
	v_fma_f32 v88, -v88, v98, v99
	s_delay_alu instid0(VALU_DEP_1) | instskip(NEXT) | instid1(VALU_DEP_1)
	v_div_fmas_f32 v88, v88, v97, v98
	v_div_fixup_f32 v89, v88, v89, 1.0
	s_delay_alu instid0(VALU_DEP_1)
	v_mul_f32_e32 v88, v91, v89
	v_xor_b32_e32 v89, 0x80000000, v89
.LBB80_721:
	s_and_not1_saveexec_b32 s1, s1
	s_cbranch_execz .LBB80_723
; %bb.722:
	s_delay_alu instid0(VALU_DEP_1) | instskip(SKIP_1) | instid1(VALU_DEP_2)
	v_div_scale_f32 v91, null, v88, v88, v89
	v_div_scale_f32 v99, vcc_lo, v89, v88, v89
	v_rcp_f32_e32 v97, v91
	v_nop
	s_delay_alu instid0(TRANS32_DEP_1) | instskip(NEXT) | instid1(VALU_DEP_1)
	v_fma_f32 v98, -v91, v97, 1.0
	v_fmac_f32_e32 v97, v98, v97
	s_delay_alu instid0(VALU_DEP_1) | instskip(NEXT) | instid1(VALU_DEP_1)
	v_mul_f32_e32 v98, v99, v97
	v_fma_f32 v100, -v91, v98, v99
	s_delay_alu instid0(VALU_DEP_1) | instskip(NEXT) | instid1(VALU_DEP_1)
	v_fmac_f32_e32 v98, v100, v97
	v_fma_f32 v91, -v91, v98, v99
	s_delay_alu instid0(VALU_DEP_1) | instskip(NEXT) | instid1(VALU_DEP_1)
	v_div_fmas_f32 v91, v91, v97, v98
	v_div_fixup_f32 v91, v91, v88, v89
	s_delay_alu instid0(VALU_DEP_1) | instskip(NEXT) | instid1(VALU_DEP_1)
	v_fmac_f32_e32 v88, v89, v91
	v_div_scale_f32 v89, null, v88, v88, 1.0
	s_delay_alu instid0(VALU_DEP_1) | instskip(SKIP_1) | instid1(TRANS32_DEP_1)
	v_rcp_f32_e32 v97, v89
	v_nop
	v_fma_f32 v98, -v89, v97, 1.0
	s_delay_alu instid0(VALU_DEP_1) | instskip(SKIP_1) | instid1(VALU_DEP_1)
	v_fmac_f32_e32 v97, v98, v97
	v_div_scale_f32 v98, vcc_lo, 1.0, v88, 1.0
	v_mul_f32_e32 v99, v98, v97
	s_delay_alu instid0(VALU_DEP_1) | instskip(NEXT) | instid1(VALU_DEP_1)
	v_fma_f32 v100, -v89, v99, v98
	v_fmac_f32_e32 v99, v100, v97
	s_delay_alu instid0(VALU_DEP_1) | instskip(NEXT) | instid1(VALU_DEP_1)
	v_fma_f32 v89, -v89, v99, v98
	v_div_fmas_f32 v89, v89, v97, v99
	s_delay_alu instid0(VALU_DEP_1) | instskip(NEXT) | instid1(VALU_DEP_1)
	v_div_fixup_f32 v88, v89, v88, 1.0
	v_mul_f32_e64 v89, v91, -v88
.LBB80_723:
	s_or_b32 exec_lo, exec_lo, s1
.LBB80_724:
	s_delay_alu instid0(SALU_CYCLE_1) | instskip(NEXT) | instid1(SALU_CYCLE_1)
	s_or_b32 exec_lo, exec_lo, s0
	s_mov_b32 s0, exec_lo
	v_cmpx_ne_u32_e64 v96, v90
	s_xor_b32 s0, exec_lo, s0
	s_cbranch_execz .LBB80_730
; %bb.725:
	s_mov_b32 s1, exec_lo
	v_cmpx_eq_u32_e32 34, v96
	s_cbranch_execz .LBB80_729
; %bb.726:
	v_cmp_ne_u32_e32 vcc_lo, 34, v90
	s_xor_b32 s12, s16, -1
	s_delay_alu instid0(SALU_CYCLE_1) | instskip(NEXT) | instid1(SALU_CYCLE_1)
	s_and_b32 s13, s12, vcc_lo
	s_and_saveexec_b32 s12, s13
	s_cbranch_execz .LBB80_728
; %bb.727:
	v_ashrrev_i32_e32 v91, 31, v90
	s_delay_alu instid0(VALU_DEP_1)
	v_lshl_add_u64 v[96:97], v[90:91], 2, v[4:5]
	s_clause 0x1
	global_load_b32 v91, v[96:97], off
	global_load_b32 v95, v[4:5], off offset:136
	s_wait_loadcnt 0x1
	global_store_b32 v[4:5], v91, off offset:136
	s_wait_loadcnt 0x0
	global_store_b32 v[96:97], v95, off
.LBB80_728:
	s_wait_xcnt 0x0
	s_or_b32 exec_lo, exec_lo, s12
	v_dual_mov_b32 v96, v90 :: v_dual_mov_b32 v95, v90
.LBB80_729:
	s_or_b32 exec_lo, exec_lo, s1
.LBB80_730:
	s_and_not1_saveexec_b32 s0, s0
	s_cbranch_execz .LBB80_732
; %bb.731:
	v_mov_b32_e32 v96, 34
	ds_store_2addr_b64 v92, v[8:9], v[6:7] offset0:35 offset1:36
	ds_store_2addr_b64 v92, v[44:45], v[22:23] offset0:37 offset1:38
	;; [unrolled: 1-line block ×3, first 2 shown]
.LBB80_732:
	s_or_b32 exec_lo, exec_lo, s0
	s_delay_alu instid0(SALU_CYCLE_1)
	s_mov_b32 s0, exec_lo
	s_wait_storecnt_dscnt 0x0
	s_barrier_signal -1
	s_barrier_wait -1
	v_cmpx_lt_i32_e32 34, v96
	s_cbranch_execz .LBB80_734
; %bb.733:
	v_pk_mul_f32 v[90:91], v[88:89], v[12:13] op_sel:[1,1] op_sel_hi:[0,1]
	s_delay_alu instid0(VALU_DEP_1)
	v_pk_fma_f32 v[98:99], v[88:89], v[12:13], v[90:91] op_sel_hi:[1,0,1] neg_lo:[0,0,1] neg_hi:[0,0,1]
	v_pk_fma_f32 v[100:101], v[88:89], v[12:13], v[90:91] op_sel_hi:[1,0,1]
	ds_load_2addr_b64 v[88:91], v92 offset0:35 offset1:36
	v_dual_mov_b32 v12, v98 :: v_dual_mov_b32 v13, v101
	s_wait_dscnt 0x0
	v_pk_mul_f32 v[102:103], v[88:89], v[100:101] op_sel:[0,1]
	s_delay_alu instid0(VALU_DEP_1) | instskip(SKIP_1) | instid1(VALU_DEP_1)
	v_pk_fma_f32 v[104:105], v[88:89], v[98:99], v[102:103] op_sel:[0,0,1] op_sel_hi:[1,1,0] neg_lo:[0,0,1] neg_hi:[0,0,1]
	v_pk_fma_f32 v[88:89], v[88:89], v[98:99], v[102:103] op_sel:[0,0,1] op_sel_hi:[1,0,0]
	v_mov_b32_e32 v105, v89
	v_pk_mul_f32 v[88:89], v[90:91], v[100:101] op_sel:[0,1]
	s_delay_alu instid0(VALU_DEP_1) | instskip(SKIP_1) | instid1(VALU_DEP_1)
	v_pk_fma_f32 v[102:103], v[90:91], v[98:99], v[88:89] op_sel:[0,0,1] op_sel_hi:[1,1,0] neg_lo:[0,0,1] neg_hi:[0,0,1]
	v_pk_fma_f32 v[88:89], v[90:91], v[98:99], v[88:89] op_sel:[0,0,1] op_sel_hi:[1,0,0]
	v_mov_b32_e32 v103, v89
	ds_load_2addr_b64 v[88:91], v92 offset0:37 offset1:38
	v_pk_add_f32 v[8:9], v[8:9], v[104:105] neg_lo:[0,1] neg_hi:[0,1]
	v_pk_add_f32 v[6:7], v[6:7], v[102:103] neg_lo:[0,1] neg_hi:[0,1]
	s_wait_dscnt 0x0
	v_pk_mul_f32 v[102:103], v[88:89], v[100:101] op_sel:[0,1]
	s_delay_alu instid0(VALU_DEP_1) | instskip(SKIP_2) | instid1(VALU_DEP_2)
	v_pk_fma_f32 v[104:105], v[88:89], v[98:99], v[102:103] op_sel:[0,0,1] op_sel_hi:[1,1,0] neg_lo:[0,0,1] neg_hi:[0,0,1]
	v_pk_fma_f32 v[88:89], v[88:89], v[98:99], v[102:103] op_sel:[0,0,1] op_sel_hi:[1,0,0]
	v_dual_mul_f32 v102, v91, v101 :: v_dual_mov_b32 v88, v91
	v_dual_mov_b32 v105, v89 :: v_dual_mov_b32 v89, v90
	s_delay_alu instid0(VALU_DEP_2) | instskip(SKIP_1) | instid1(VALU_DEP_3)
	v_pk_fma_f32 v[102:103], v[90:91], v[12:13], v[102:103] op_sel_hi:[1,1,0] neg_lo:[0,0,1] neg_hi:[0,0,1]
	v_mul_f32_e32 v90, v91, v98
	v_pk_add_f32 v[44:45], v[44:45], v[104:105] neg_lo:[0,1] neg_hi:[0,1]
	s_delay_alu instid0(VALU_DEP_2) | instskip(NEXT) | instid1(VALU_DEP_1)
	v_pk_fma_f32 v[88:89], v[88:89], v[12:13], v[90:91] op_sel_hi:[1,1,0]
	v_mov_b32_e32 v103, v89
	ds_load_2addr_b64 v[88:91], v92 offset0:39 offset1:40
	v_pk_add_f32 v[22:23], v[22:23], v[102:103] neg_lo:[0,1] neg_hi:[0,1]
	s_wait_dscnt 0x0
	v_pk_mul_f32 v[102:103], v[88:89], v[100:101] op_sel:[0,1]
	v_mul_f32_e32 v100, v91, v101
	s_delay_alu instid0(VALU_DEP_2) | instskip(SKIP_2) | instid1(VALU_DEP_4)
	v_pk_fma_f32 v[104:105], v[88:89], v[98:99], v[102:103] op_sel:[0,0,1] op_sel_hi:[1,1,0] neg_lo:[0,0,1] neg_hi:[0,0,1]
	v_pk_fma_f32 v[88:89], v[88:89], v[98:99], v[102:103] op_sel:[0,0,1] op_sel_hi:[1,0,0]
	v_mov_b32_e32 v88, v91
	v_pk_fma_f32 v[100:101], v[90:91], v[12:13], v[100:101] op_sel_hi:[1,1,0] neg_lo:[0,0,1] neg_hi:[0,0,1]
	s_delay_alu instid0(VALU_DEP_3) | instskip(SKIP_1) | instid1(VALU_DEP_2)
	v_dual_mov_b32 v105, v89 :: v_dual_mov_b32 v89, v90
	v_mul_f32_e32 v90, v91, v98
	v_pk_add_f32 v[16:17], v[16:17], v[104:105] neg_lo:[0,1] neg_hi:[0,1]
	s_delay_alu instid0(VALU_DEP_2) | instskip(NEXT) | instid1(VALU_DEP_1)
	v_pk_fma_f32 v[88:89], v[88:89], v[12:13], v[90:91] op_sel_hi:[1,1,0]
	v_mov_b32_e32 v101, v89
	s_delay_alu instid0(VALU_DEP_1)
	v_pk_add_f32 v[86:87], v[86:87], v[100:101] neg_lo:[0,1] neg_hi:[0,1]
.LBB80_734:
	s_or_b32 exec_lo, exec_lo, s0
	v_lshl_add_u32 v88, v96, 3, v92
	s_barrier_signal -1
	s_barrier_wait -1
	ds_store_b64 v88, v[8:9]
	s_wait_dscnt 0x0
	s_barrier_signal -1
	s_barrier_wait -1
	ds_load_b64 v[88:89], v92 offset:280
	v_mov_b32_e32 v90, 35
	s_cmp_lt_i32 s18, 37
	s_cbranch_scc1 .LBB80_737
; %bb.735:
	v_add3_u32 v91, v93, 0, 0x120
	v_mov_b32_e32 v90, 35
	s_mov_b32 s0, 36
.LBB80_736:                             ; =>This Inner Loop Header: Depth=1
	ds_load_b64 v[98:99], v91
	s_wait_dscnt 0x1
	v_cmp_gt_f32_e32 vcc_lo, 0, v88
	v_cndmask_b32_e64 v100, v88, -v88, vcc_lo
	v_cmp_gt_f32_e32 vcc_lo, 0, v89
	v_cndmask_b32_e64 v102, v89, -v89, vcc_lo
	s_wait_dscnt 0x0
	v_cmp_gt_f32_e32 vcc_lo, 0, v98
	v_cndmask_b32_e64 v101, v98, -v98, vcc_lo
	v_cmp_gt_f32_e32 vcc_lo, 0, v99
	v_cndmask_b32_e64 v103, v99, -v99, vcc_lo
	s_delay_alu instid0(VALU_DEP_1) | instskip(NEXT) | instid1(VALU_DEP_1)
	v_pk_add_f32 v[100:101], v[100:101], v[102:103]
	v_cmp_lt_f32_e32 vcc_lo, v100, v101
	v_dual_cndmask_b32 v88, v88, v98 :: v_dual_add_nc_u32 v91, 8, v91
	v_cndmask_b32_e32 v89, v89, v99, vcc_lo
	v_cndmask_b32_e64 v90, v90, s0, vcc_lo
	s_add_co_i32 s0, s0, 1
	s_delay_alu instid0(SALU_CYCLE_1)
	s_cmp_lg_u32 s18, s0
	s_cbranch_scc1 .LBB80_736
.LBB80_737:
	s_wait_dscnt 0x0
	v_cmp_eq_f32_e32 vcc_lo, 0, v88
	v_cmp_eq_f32_e64 s0, 0, v89
	s_and_b32 s0, vcc_lo, s0
	s_delay_alu instid0(SALU_CYCLE_1) | instskip(NEXT) | instid1(SALU_CYCLE_1)
	s_and_saveexec_b32 s1, s0
	s_xor_b32 s0, exec_lo, s1
; %bb.738:
	v_cmp_ne_u32_e32 vcc_lo, 0, v94
	v_cndmask_b32_e32 v94, 36, v94, vcc_lo
; %bb.739:
	s_and_not1_saveexec_b32 s0, s0
	s_cbranch_execz .LBB80_745
; %bb.740:
	v_cmp_ngt_f32_e64 s1, |v88|, |v89|
	s_and_saveexec_b32 s12, s1
	s_delay_alu instid0(SALU_CYCLE_1)
	s_xor_b32 s1, exec_lo, s12
	s_cbranch_execz .LBB80_742
; %bb.741:
	v_div_scale_f32 v91, null, v89, v89, v88
	v_div_scale_f32 v99, vcc_lo, v88, v89, v88
	s_delay_alu instid0(VALU_DEP_2) | instskip(SKIP_1) | instid1(TRANS32_DEP_1)
	v_rcp_f32_e32 v97, v91
	v_nop
	v_fma_f32 v98, -v91, v97, 1.0
	s_delay_alu instid0(VALU_DEP_1) | instskip(NEXT) | instid1(VALU_DEP_1)
	v_fmac_f32_e32 v97, v98, v97
	v_mul_f32_e32 v98, v99, v97
	s_delay_alu instid0(VALU_DEP_1) | instskip(NEXT) | instid1(VALU_DEP_1)
	v_fma_f32 v100, -v91, v98, v99
	v_fmac_f32_e32 v98, v100, v97
	s_delay_alu instid0(VALU_DEP_1) | instskip(NEXT) | instid1(VALU_DEP_1)
	v_fma_f32 v91, -v91, v98, v99
	v_div_fmas_f32 v91, v91, v97, v98
	s_delay_alu instid0(VALU_DEP_1) | instskip(NEXT) | instid1(VALU_DEP_1)
	v_div_fixup_f32 v91, v91, v89, v88
	v_fmac_f32_e32 v89, v88, v91
	s_delay_alu instid0(VALU_DEP_1) | instskip(SKIP_1) | instid1(VALU_DEP_2)
	v_div_scale_f32 v88, null, v89, v89, 1.0
	v_div_scale_f32 v99, vcc_lo, 1.0, v89, 1.0
	v_rcp_f32_e32 v97, v88
	v_nop
	s_delay_alu instid0(TRANS32_DEP_1) | instskip(NEXT) | instid1(VALU_DEP_1)
	v_fma_f32 v98, -v88, v97, 1.0
	v_fmac_f32_e32 v97, v98, v97
	s_delay_alu instid0(VALU_DEP_1) | instskip(NEXT) | instid1(VALU_DEP_1)
	v_mul_f32_e32 v98, v99, v97
	v_fma_f32 v100, -v88, v98, v99
	s_delay_alu instid0(VALU_DEP_1) | instskip(NEXT) | instid1(VALU_DEP_1)
	v_fmac_f32_e32 v98, v100, v97
	v_fma_f32 v88, -v88, v98, v99
	s_delay_alu instid0(VALU_DEP_1) | instskip(NEXT) | instid1(VALU_DEP_1)
	v_div_fmas_f32 v88, v88, v97, v98
	v_div_fixup_f32 v89, v88, v89, 1.0
	s_delay_alu instid0(VALU_DEP_1)
	v_mul_f32_e32 v88, v91, v89
	v_xor_b32_e32 v89, 0x80000000, v89
.LBB80_742:
	s_and_not1_saveexec_b32 s1, s1
	s_cbranch_execz .LBB80_744
; %bb.743:
	s_delay_alu instid0(VALU_DEP_1) | instskip(SKIP_1) | instid1(VALU_DEP_2)
	v_div_scale_f32 v91, null, v88, v88, v89
	v_div_scale_f32 v99, vcc_lo, v89, v88, v89
	v_rcp_f32_e32 v97, v91
	v_nop
	s_delay_alu instid0(TRANS32_DEP_1) | instskip(NEXT) | instid1(VALU_DEP_1)
	v_fma_f32 v98, -v91, v97, 1.0
	v_fmac_f32_e32 v97, v98, v97
	s_delay_alu instid0(VALU_DEP_1) | instskip(NEXT) | instid1(VALU_DEP_1)
	v_mul_f32_e32 v98, v99, v97
	v_fma_f32 v100, -v91, v98, v99
	s_delay_alu instid0(VALU_DEP_1) | instskip(NEXT) | instid1(VALU_DEP_1)
	v_fmac_f32_e32 v98, v100, v97
	v_fma_f32 v91, -v91, v98, v99
	s_delay_alu instid0(VALU_DEP_1) | instskip(NEXT) | instid1(VALU_DEP_1)
	v_div_fmas_f32 v91, v91, v97, v98
	v_div_fixup_f32 v91, v91, v88, v89
	s_delay_alu instid0(VALU_DEP_1) | instskip(NEXT) | instid1(VALU_DEP_1)
	v_fmac_f32_e32 v88, v89, v91
	v_div_scale_f32 v89, null, v88, v88, 1.0
	s_delay_alu instid0(VALU_DEP_1) | instskip(SKIP_1) | instid1(TRANS32_DEP_1)
	v_rcp_f32_e32 v97, v89
	v_nop
	v_fma_f32 v98, -v89, v97, 1.0
	s_delay_alu instid0(VALU_DEP_1) | instskip(SKIP_1) | instid1(VALU_DEP_1)
	v_fmac_f32_e32 v97, v98, v97
	v_div_scale_f32 v98, vcc_lo, 1.0, v88, 1.0
	v_mul_f32_e32 v99, v98, v97
	s_delay_alu instid0(VALU_DEP_1) | instskip(NEXT) | instid1(VALU_DEP_1)
	v_fma_f32 v100, -v89, v99, v98
	v_fmac_f32_e32 v99, v100, v97
	s_delay_alu instid0(VALU_DEP_1) | instskip(NEXT) | instid1(VALU_DEP_1)
	v_fma_f32 v89, -v89, v99, v98
	v_div_fmas_f32 v89, v89, v97, v99
	s_delay_alu instid0(VALU_DEP_1) | instskip(NEXT) | instid1(VALU_DEP_1)
	v_div_fixup_f32 v88, v89, v88, 1.0
	v_mul_f32_e64 v89, v91, -v88
.LBB80_744:
	s_or_b32 exec_lo, exec_lo, s1
.LBB80_745:
	s_delay_alu instid0(SALU_CYCLE_1) | instskip(NEXT) | instid1(SALU_CYCLE_1)
	s_or_b32 exec_lo, exec_lo, s0
	s_mov_b32 s0, exec_lo
	v_cmpx_ne_u32_e64 v96, v90
	s_xor_b32 s0, exec_lo, s0
	s_cbranch_execz .LBB80_751
; %bb.746:
	s_mov_b32 s1, exec_lo
	v_cmpx_eq_u32_e32 35, v96
	s_cbranch_execz .LBB80_750
; %bb.747:
	v_cmp_ne_u32_e32 vcc_lo, 35, v90
	s_xor_b32 s12, s16, -1
	s_delay_alu instid0(SALU_CYCLE_1) | instskip(NEXT) | instid1(SALU_CYCLE_1)
	s_and_b32 s13, s12, vcc_lo
	s_and_saveexec_b32 s12, s13
	s_cbranch_execz .LBB80_749
; %bb.748:
	v_ashrrev_i32_e32 v91, 31, v90
	s_delay_alu instid0(VALU_DEP_1)
	v_lshl_add_u64 v[96:97], v[90:91], 2, v[4:5]
	s_clause 0x1
	global_load_b32 v91, v[96:97], off
	global_load_b32 v95, v[4:5], off offset:140
	s_wait_loadcnt 0x1
	global_store_b32 v[4:5], v91, off offset:140
	s_wait_loadcnt 0x0
	global_store_b32 v[96:97], v95, off
.LBB80_749:
	s_wait_xcnt 0x0
	s_or_b32 exec_lo, exec_lo, s12
	v_dual_mov_b32 v96, v90 :: v_dual_mov_b32 v95, v90
.LBB80_750:
	s_or_b32 exec_lo, exec_lo, s1
.LBB80_751:
	s_and_not1_saveexec_b32 s0, s0
	s_cbranch_execz .LBB80_753
; %bb.752:
	v_dual_mov_b32 v90, v6 :: v_dual_mov_b32 v91, v7
	v_dual_mov_b32 v98, v44 :: v_dual_mov_b32 v99, v45
	;; [unrolled: 1-line block ×4, first 2 shown]
	v_mov_b32_e32 v103, v17
	ds_store_2addr_b64 v92, v[90:91], v[98:99] offset0:36 offset1:37
	ds_store_2addr_b64 v92, v[100:101], v[102:103] offset0:38 offset1:39
	ds_store_b64 v92, v[86:87] offset:320
.LBB80_753:
	s_or_b32 exec_lo, exec_lo, s0
	s_delay_alu instid0(SALU_CYCLE_1)
	s_mov_b32 s0, exec_lo
	s_wait_storecnt_dscnt 0x0
	s_barrier_signal -1
	s_barrier_wait -1
	v_cmpx_lt_i32_e32 35, v96
	s_cbranch_execz .LBB80_755
; %bb.754:
	v_pk_mul_f32 v[90:91], v[88:89], v[8:9] op_sel:[1,1] op_sel_hi:[0,1]
	s_delay_alu instid0(VALU_DEP_1)
	v_pk_fma_f32 v[98:99], v[88:89], v[8:9], v[90:91] op_sel_hi:[1,0,1] neg_lo:[0,0,1] neg_hi:[0,0,1]
	v_pk_fma_f32 v[100:101], v[88:89], v[8:9], v[90:91] op_sel_hi:[1,0,1]
	ds_load_2addr_b64 v[88:91], v92 offset0:36 offset1:37
	v_dual_mov_b32 v8, v98 :: v_dual_mov_b32 v9, v101
	s_wait_dscnt 0x0
	v_pk_mul_f32 v[102:103], v[88:89], v[100:101] op_sel:[0,1]
	s_delay_alu instid0(VALU_DEP_1) | instskip(SKIP_1) | instid1(VALU_DEP_1)
	v_pk_fma_f32 v[104:105], v[88:89], v[98:99], v[102:103] op_sel:[0,0,1] op_sel_hi:[1,1,0] neg_lo:[0,0,1] neg_hi:[0,0,1]
	v_pk_fma_f32 v[88:89], v[88:89], v[98:99], v[102:103] op_sel:[0,0,1] op_sel_hi:[1,0,0]
	v_mov_b32_e32 v105, v89
	v_pk_mul_f32 v[88:89], v[90:91], v[100:101] op_sel:[0,1]
	s_delay_alu instid0(VALU_DEP_1) | instskip(SKIP_1) | instid1(VALU_DEP_1)
	v_pk_fma_f32 v[102:103], v[90:91], v[98:99], v[88:89] op_sel:[0,0,1] op_sel_hi:[1,1,0] neg_lo:[0,0,1] neg_hi:[0,0,1]
	v_pk_fma_f32 v[88:89], v[90:91], v[98:99], v[88:89] op_sel:[0,0,1] op_sel_hi:[1,0,0]
	v_mov_b32_e32 v103, v89
	ds_load_2addr_b64 v[88:91], v92 offset0:38 offset1:39
	v_pk_add_f32 v[6:7], v[6:7], v[104:105] neg_lo:[0,1] neg_hi:[0,1]
	v_pk_add_f32 v[44:45], v[44:45], v[102:103] neg_lo:[0,1] neg_hi:[0,1]
	s_wait_dscnt 0x0
	v_pk_mul_f32 v[102:103], v[88:89], v[100:101] op_sel:[0,1]
	s_delay_alu instid0(VALU_DEP_1) | instskip(SKIP_2) | instid1(VALU_DEP_2)
	v_pk_fma_f32 v[104:105], v[88:89], v[98:99], v[102:103] op_sel:[0,0,1] op_sel_hi:[1,1,0] neg_lo:[0,0,1] neg_hi:[0,0,1]
	v_pk_fma_f32 v[88:89], v[88:89], v[98:99], v[102:103] op_sel:[0,0,1] op_sel_hi:[1,0,0]
	v_dual_mul_f32 v102, v91, v101 :: v_dual_mov_b32 v88, v91
	v_dual_mov_b32 v105, v89 :: v_dual_mov_b32 v89, v90
	s_delay_alu instid0(VALU_DEP_2) | instskip(SKIP_1) | instid1(VALU_DEP_3)
	v_pk_fma_f32 v[102:103], v[90:91], v[8:9], v[102:103] op_sel_hi:[1,1,0] neg_lo:[0,0,1] neg_hi:[0,0,1]
	v_mul_f32_e32 v90, v91, v98
	v_pk_add_f32 v[22:23], v[22:23], v[104:105] neg_lo:[0,1] neg_hi:[0,1]
	s_delay_alu instid0(VALU_DEP_2) | instskip(NEXT) | instid1(VALU_DEP_1)
	v_pk_fma_f32 v[88:89], v[88:89], v[8:9], v[90:91] op_sel_hi:[1,1,0]
	v_mov_b32_e32 v103, v89
	ds_load_b64 v[88:89], v92 offset:320
	v_pk_add_f32 v[16:17], v[16:17], v[102:103] neg_lo:[0,1] neg_hi:[0,1]
	s_wait_dscnt 0x0
	v_pk_mul_f32 v[90:91], v[88:89], v[100:101] op_sel:[0,1]
	s_delay_alu instid0(VALU_DEP_1) | instskip(SKIP_1) | instid1(VALU_DEP_1)
	v_pk_fma_f32 v[100:101], v[88:89], v[98:99], v[90:91] op_sel:[0,0,1] op_sel_hi:[1,1,0] neg_lo:[0,0,1] neg_hi:[0,0,1]
	v_pk_fma_f32 v[88:89], v[88:89], v[98:99], v[90:91] op_sel:[0,0,1] op_sel_hi:[1,0,0]
	v_mov_b32_e32 v101, v89
	s_delay_alu instid0(VALU_DEP_1)
	v_pk_add_f32 v[86:87], v[86:87], v[100:101] neg_lo:[0,1] neg_hi:[0,1]
.LBB80_755:
	s_or_b32 exec_lo, exec_lo, s0
	v_lshl_add_u32 v88, v96, 3, v92
	s_barrier_signal -1
	s_barrier_wait -1
	ds_store_b64 v88, v[6:7]
	s_wait_dscnt 0x0
	s_barrier_signal -1
	s_barrier_wait -1
	ds_load_b64 v[88:89], v92 offset:288
	v_mov_b32_e32 v90, 36
	s_cmp_lt_i32 s18, 38
	s_cbranch_scc1 .LBB80_758
; %bb.756:
	v_add3_u32 v91, v93, 0, 0x128
	v_mov_b32_e32 v90, 36
	s_mov_b32 s0, 37
.LBB80_757:                             ; =>This Inner Loop Header: Depth=1
	ds_load_b64 v[98:99], v91
	s_wait_dscnt 0x1
	v_cmp_gt_f32_e32 vcc_lo, 0, v88
	v_cndmask_b32_e64 v100, v88, -v88, vcc_lo
	v_cmp_gt_f32_e32 vcc_lo, 0, v89
	v_cndmask_b32_e64 v102, v89, -v89, vcc_lo
	s_wait_dscnt 0x0
	v_cmp_gt_f32_e32 vcc_lo, 0, v98
	v_cndmask_b32_e64 v101, v98, -v98, vcc_lo
	v_cmp_gt_f32_e32 vcc_lo, 0, v99
	v_cndmask_b32_e64 v103, v99, -v99, vcc_lo
	s_delay_alu instid0(VALU_DEP_1) | instskip(NEXT) | instid1(VALU_DEP_1)
	v_pk_add_f32 v[100:101], v[100:101], v[102:103]
	v_cmp_lt_f32_e32 vcc_lo, v100, v101
	v_dual_cndmask_b32 v88, v88, v98 :: v_dual_add_nc_u32 v91, 8, v91
	v_cndmask_b32_e32 v89, v89, v99, vcc_lo
	v_cndmask_b32_e64 v90, v90, s0, vcc_lo
	s_add_co_i32 s0, s0, 1
	s_delay_alu instid0(SALU_CYCLE_1)
	s_cmp_lg_u32 s18, s0
	s_cbranch_scc1 .LBB80_757
.LBB80_758:
	s_wait_dscnt 0x0
	v_cmp_eq_f32_e32 vcc_lo, 0, v88
	v_cmp_eq_f32_e64 s0, 0, v89
	s_and_b32 s0, vcc_lo, s0
	s_delay_alu instid0(SALU_CYCLE_1) | instskip(NEXT) | instid1(SALU_CYCLE_1)
	s_and_saveexec_b32 s1, s0
	s_xor_b32 s0, exec_lo, s1
; %bb.759:
	v_cmp_ne_u32_e32 vcc_lo, 0, v94
	v_cndmask_b32_e32 v94, 37, v94, vcc_lo
; %bb.760:
	s_and_not1_saveexec_b32 s0, s0
	s_cbranch_execz .LBB80_766
; %bb.761:
	v_cmp_ngt_f32_e64 s1, |v88|, |v89|
	s_and_saveexec_b32 s12, s1
	s_delay_alu instid0(SALU_CYCLE_1)
	s_xor_b32 s1, exec_lo, s12
	s_cbranch_execz .LBB80_763
; %bb.762:
	v_div_scale_f32 v91, null, v89, v89, v88
	v_div_scale_f32 v99, vcc_lo, v88, v89, v88
	s_delay_alu instid0(VALU_DEP_2) | instskip(SKIP_1) | instid1(TRANS32_DEP_1)
	v_rcp_f32_e32 v97, v91
	v_nop
	v_fma_f32 v98, -v91, v97, 1.0
	s_delay_alu instid0(VALU_DEP_1) | instskip(NEXT) | instid1(VALU_DEP_1)
	v_fmac_f32_e32 v97, v98, v97
	v_mul_f32_e32 v98, v99, v97
	s_delay_alu instid0(VALU_DEP_1) | instskip(NEXT) | instid1(VALU_DEP_1)
	v_fma_f32 v100, -v91, v98, v99
	v_fmac_f32_e32 v98, v100, v97
	s_delay_alu instid0(VALU_DEP_1) | instskip(NEXT) | instid1(VALU_DEP_1)
	v_fma_f32 v91, -v91, v98, v99
	v_div_fmas_f32 v91, v91, v97, v98
	s_delay_alu instid0(VALU_DEP_1) | instskip(NEXT) | instid1(VALU_DEP_1)
	v_div_fixup_f32 v91, v91, v89, v88
	v_fmac_f32_e32 v89, v88, v91
	s_delay_alu instid0(VALU_DEP_1) | instskip(SKIP_1) | instid1(VALU_DEP_2)
	v_div_scale_f32 v88, null, v89, v89, 1.0
	v_div_scale_f32 v99, vcc_lo, 1.0, v89, 1.0
	v_rcp_f32_e32 v97, v88
	v_nop
	s_delay_alu instid0(TRANS32_DEP_1) | instskip(NEXT) | instid1(VALU_DEP_1)
	v_fma_f32 v98, -v88, v97, 1.0
	v_fmac_f32_e32 v97, v98, v97
	s_delay_alu instid0(VALU_DEP_1) | instskip(NEXT) | instid1(VALU_DEP_1)
	v_mul_f32_e32 v98, v99, v97
	v_fma_f32 v100, -v88, v98, v99
	s_delay_alu instid0(VALU_DEP_1) | instskip(NEXT) | instid1(VALU_DEP_1)
	v_fmac_f32_e32 v98, v100, v97
	v_fma_f32 v88, -v88, v98, v99
	s_delay_alu instid0(VALU_DEP_1) | instskip(NEXT) | instid1(VALU_DEP_1)
	v_div_fmas_f32 v88, v88, v97, v98
	v_div_fixup_f32 v89, v88, v89, 1.0
	s_delay_alu instid0(VALU_DEP_1)
	v_mul_f32_e32 v88, v91, v89
	v_xor_b32_e32 v89, 0x80000000, v89
.LBB80_763:
	s_and_not1_saveexec_b32 s1, s1
	s_cbranch_execz .LBB80_765
; %bb.764:
	s_delay_alu instid0(VALU_DEP_1) | instskip(SKIP_1) | instid1(VALU_DEP_2)
	v_div_scale_f32 v91, null, v88, v88, v89
	v_div_scale_f32 v99, vcc_lo, v89, v88, v89
	v_rcp_f32_e32 v97, v91
	v_nop
	s_delay_alu instid0(TRANS32_DEP_1) | instskip(NEXT) | instid1(VALU_DEP_1)
	v_fma_f32 v98, -v91, v97, 1.0
	v_fmac_f32_e32 v97, v98, v97
	s_delay_alu instid0(VALU_DEP_1) | instskip(NEXT) | instid1(VALU_DEP_1)
	v_mul_f32_e32 v98, v99, v97
	v_fma_f32 v100, -v91, v98, v99
	s_delay_alu instid0(VALU_DEP_1) | instskip(NEXT) | instid1(VALU_DEP_1)
	v_fmac_f32_e32 v98, v100, v97
	v_fma_f32 v91, -v91, v98, v99
	s_delay_alu instid0(VALU_DEP_1) | instskip(NEXT) | instid1(VALU_DEP_1)
	v_div_fmas_f32 v91, v91, v97, v98
	v_div_fixup_f32 v91, v91, v88, v89
	s_delay_alu instid0(VALU_DEP_1) | instskip(NEXT) | instid1(VALU_DEP_1)
	v_fmac_f32_e32 v88, v89, v91
	v_div_scale_f32 v89, null, v88, v88, 1.0
	s_delay_alu instid0(VALU_DEP_1) | instskip(SKIP_1) | instid1(TRANS32_DEP_1)
	v_rcp_f32_e32 v97, v89
	v_nop
	v_fma_f32 v98, -v89, v97, 1.0
	s_delay_alu instid0(VALU_DEP_1) | instskip(SKIP_1) | instid1(VALU_DEP_1)
	v_fmac_f32_e32 v97, v98, v97
	v_div_scale_f32 v98, vcc_lo, 1.0, v88, 1.0
	v_mul_f32_e32 v99, v98, v97
	s_delay_alu instid0(VALU_DEP_1) | instskip(NEXT) | instid1(VALU_DEP_1)
	v_fma_f32 v100, -v89, v99, v98
	v_fmac_f32_e32 v99, v100, v97
	s_delay_alu instid0(VALU_DEP_1) | instskip(NEXT) | instid1(VALU_DEP_1)
	v_fma_f32 v89, -v89, v99, v98
	v_div_fmas_f32 v89, v89, v97, v99
	s_delay_alu instid0(VALU_DEP_1) | instskip(NEXT) | instid1(VALU_DEP_1)
	v_div_fixup_f32 v88, v89, v88, 1.0
	v_mul_f32_e64 v89, v91, -v88
.LBB80_765:
	s_or_b32 exec_lo, exec_lo, s1
.LBB80_766:
	s_delay_alu instid0(SALU_CYCLE_1) | instskip(NEXT) | instid1(SALU_CYCLE_1)
	s_or_b32 exec_lo, exec_lo, s0
	s_mov_b32 s0, exec_lo
	v_cmpx_ne_u32_e64 v96, v90
	s_xor_b32 s0, exec_lo, s0
	s_cbranch_execz .LBB80_772
; %bb.767:
	s_mov_b32 s1, exec_lo
	v_cmpx_eq_u32_e32 36, v96
	s_cbranch_execz .LBB80_771
; %bb.768:
	v_cmp_ne_u32_e32 vcc_lo, 36, v90
	s_xor_b32 s12, s16, -1
	s_delay_alu instid0(SALU_CYCLE_1) | instskip(NEXT) | instid1(SALU_CYCLE_1)
	s_and_b32 s13, s12, vcc_lo
	s_and_saveexec_b32 s12, s13
	s_cbranch_execz .LBB80_770
; %bb.769:
	v_ashrrev_i32_e32 v91, 31, v90
	s_delay_alu instid0(VALU_DEP_1)
	v_lshl_add_u64 v[96:97], v[90:91], 2, v[4:5]
	s_clause 0x1
	global_load_b32 v91, v[96:97], off
	global_load_b32 v95, v[4:5], off offset:144
	s_wait_loadcnt 0x1
	global_store_b32 v[4:5], v91, off offset:144
	s_wait_loadcnt 0x0
	global_store_b32 v[96:97], v95, off
.LBB80_770:
	s_wait_xcnt 0x0
	s_or_b32 exec_lo, exec_lo, s12
	v_dual_mov_b32 v96, v90 :: v_dual_mov_b32 v95, v90
.LBB80_771:
	s_or_b32 exec_lo, exec_lo, s1
.LBB80_772:
	s_and_not1_saveexec_b32 s0, s0
	s_cbranch_execz .LBB80_774
; %bb.773:
	v_mov_b32_e32 v96, 36
	ds_store_2addr_b64 v92, v[44:45], v[22:23] offset0:37 offset1:38
	ds_store_2addr_b64 v92, v[16:17], v[86:87] offset0:39 offset1:40
.LBB80_774:
	s_or_b32 exec_lo, exec_lo, s0
	s_delay_alu instid0(SALU_CYCLE_1)
	s_mov_b32 s0, exec_lo
	s_wait_storecnt_dscnt 0x0
	s_barrier_signal -1
	s_barrier_wait -1
	v_cmpx_lt_i32_e32 36, v96
	s_cbranch_execz .LBB80_776
; %bb.775:
	v_pk_mul_f32 v[90:91], v[88:89], v[6:7] op_sel:[1,1] op_sel_hi:[0,1]
	s_delay_alu instid0(VALU_DEP_1)
	v_pk_fma_f32 v[98:99], v[88:89], v[6:7], v[90:91] op_sel_hi:[1,0,1] neg_lo:[0,0,1] neg_hi:[0,0,1]
	v_pk_fma_f32 v[100:101], v[88:89], v[6:7], v[90:91] op_sel_hi:[1,0,1]
	ds_load_2addr_b64 v[88:91], v92 offset0:37 offset1:38
	v_dual_mov_b32 v6, v98 :: v_dual_mov_b32 v7, v101
	s_wait_dscnt 0x0
	v_pk_mul_f32 v[102:103], v[88:89], v[100:101] op_sel:[0,1]
	s_delay_alu instid0(VALU_DEP_1) | instskip(SKIP_1) | instid1(VALU_DEP_1)
	v_pk_fma_f32 v[104:105], v[88:89], v[98:99], v[102:103] op_sel:[0,0,1] op_sel_hi:[1,1,0] neg_lo:[0,0,1] neg_hi:[0,0,1]
	v_pk_fma_f32 v[88:89], v[88:89], v[98:99], v[102:103] op_sel:[0,0,1] op_sel_hi:[1,0,0]
	v_mov_b32_e32 v105, v89
	v_pk_mul_f32 v[88:89], v[90:91], v[100:101] op_sel:[0,1]
	s_delay_alu instid0(VALU_DEP_1) | instskip(SKIP_1) | instid1(VALU_DEP_1)
	v_pk_fma_f32 v[102:103], v[90:91], v[98:99], v[88:89] op_sel:[0,0,1] op_sel_hi:[1,1,0] neg_lo:[0,0,1] neg_hi:[0,0,1]
	v_pk_fma_f32 v[88:89], v[90:91], v[98:99], v[88:89] op_sel:[0,0,1] op_sel_hi:[1,0,0]
	v_mov_b32_e32 v103, v89
	ds_load_2addr_b64 v[88:91], v92 offset0:39 offset1:40
	v_pk_add_f32 v[44:45], v[44:45], v[104:105] neg_lo:[0,1] neg_hi:[0,1]
	v_pk_add_f32 v[22:23], v[22:23], v[102:103] neg_lo:[0,1] neg_hi:[0,1]
	s_wait_dscnt 0x0
	v_pk_mul_f32 v[102:103], v[88:89], v[100:101] op_sel:[0,1]
	s_delay_alu instid0(VALU_DEP_1) | instskip(SKIP_1) | instid1(VALU_DEP_1)
	v_pk_fma_f32 v[104:105], v[88:89], v[98:99], v[102:103] op_sel:[0,0,1] op_sel_hi:[1,1,0] neg_lo:[0,0,1] neg_hi:[0,0,1]
	v_pk_fma_f32 v[88:89], v[88:89], v[98:99], v[102:103] op_sel:[0,0,1] op_sel_hi:[1,0,0]
	v_dual_mov_b32 v88, v91 :: v_dual_mov_b32 v105, v89
	v_mov_b32_e32 v89, v90
	s_delay_alu instid0(VALU_DEP_2) | instskip(NEXT) | instid1(VALU_DEP_2)
	v_pk_add_f32 v[16:17], v[16:17], v[104:105] neg_lo:[0,1] neg_hi:[0,1]
	v_pk_mul_f32 v[88:89], v[88:89], v[100:101] op_sel:[0,1]
	s_delay_alu instid0(VALU_DEP_1) | instskip(SKIP_1) | instid1(VALU_DEP_1)
	v_pk_fma_f32 v[100:101], v[90:91], v[98:99], v[88:89] neg_lo:[0,0,1] neg_hi:[0,0,1]
	v_pk_fma_f32 v[88:89], v[90:91], v[98:99], v[88:89] op_sel_hi:[1,0,1]
	v_mov_b32_e32 v101, v89
	s_delay_alu instid0(VALU_DEP_1)
	v_pk_add_f32 v[86:87], v[86:87], v[100:101] neg_lo:[0,1] neg_hi:[0,1]
.LBB80_776:
	s_or_b32 exec_lo, exec_lo, s0
	v_lshl_add_u32 v88, v96, 3, v92
	s_barrier_signal -1
	s_barrier_wait -1
	ds_store_b64 v88, v[44:45]
	s_wait_dscnt 0x0
	s_barrier_signal -1
	s_barrier_wait -1
	ds_load_b64 v[88:89], v92 offset:296
	v_mov_b32_e32 v90, 37
	s_cmp_lt_i32 s18, 39
	s_cbranch_scc1 .LBB80_779
; %bb.777:
	v_add3_u32 v91, v93, 0, 0x130
	v_mov_b32_e32 v90, 37
	s_mov_b32 s0, 38
.LBB80_778:                             ; =>This Inner Loop Header: Depth=1
	ds_load_b64 v[98:99], v91
	s_wait_dscnt 0x1
	v_cmp_gt_f32_e32 vcc_lo, 0, v88
	v_cndmask_b32_e64 v100, v88, -v88, vcc_lo
	v_cmp_gt_f32_e32 vcc_lo, 0, v89
	v_cndmask_b32_e64 v102, v89, -v89, vcc_lo
	s_wait_dscnt 0x0
	v_cmp_gt_f32_e32 vcc_lo, 0, v98
	v_cndmask_b32_e64 v101, v98, -v98, vcc_lo
	v_cmp_gt_f32_e32 vcc_lo, 0, v99
	v_cndmask_b32_e64 v103, v99, -v99, vcc_lo
	s_delay_alu instid0(VALU_DEP_1) | instskip(NEXT) | instid1(VALU_DEP_1)
	v_pk_add_f32 v[100:101], v[100:101], v[102:103]
	v_cmp_lt_f32_e32 vcc_lo, v100, v101
	v_dual_cndmask_b32 v88, v88, v98 :: v_dual_add_nc_u32 v91, 8, v91
	v_cndmask_b32_e32 v89, v89, v99, vcc_lo
	v_cndmask_b32_e64 v90, v90, s0, vcc_lo
	s_add_co_i32 s0, s0, 1
	s_delay_alu instid0(SALU_CYCLE_1)
	s_cmp_lg_u32 s18, s0
	s_cbranch_scc1 .LBB80_778
.LBB80_779:
	s_wait_dscnt 0x0
	v_cmp_eq_f32_e32 vcc_lo, 0, v88
	v_cmp_eq_f32_e64 s0, 0, v89
	s_and_b32 s0, vcc_lo, s0
	s_delay_alu instid0(SALU_CYCLE_1) | instskip(NEXT) | instid1(SALU_CYCLE_1)
	s_and_saveexec_b32 s1, s0
	s_xor_b32 s0, exec_lo, s1
; %bb.780:
	v_cmp_ne_u32_e32 vcc_lo, 0, v94
	v_cndmask_b32_e32 v94, 38, v94, vcc_lo
; %bb.781:
	s_and_not1_saveexec_b32 s0, s0
	s_cbranch_execz .LBB80_787
; %bb.782:
	v_cmp_ngt_f32_e64 s1, |v88|, |v89|
	s_and_saveexec_b32 s12, s1
	s_delay_alu instid0(SALU_CYCLE_1)
	s_xor_b32 s1, exec_lo, s12
	s_cbranch_execz .LBB80_784
; %bb.783:
	v_div_scale_f32 v91, null, v89, v89, v88
	v_div_scale_f32 v99, vcc_lo, v88, v89, v88
	s_delay_alu instid0(VALU_DEP_2) | instskip(SKIP_1) | instid1(TRANS32_DEP_1)
	v_rcp_f32_e32 v97, v91
	v_nop
	v_fma_f32 v98, -v91, v97, 1.0
	s_delay_alu instid0(VALU_DEP_1) | instskip(NEXT) | instid1(VALU_DEP_1)
	v_fmac_f32_e32 v97, v98, v97
	v_mul_f32_e32 v98, v99, v97
	s_delay_alu instid0(VALU_DEP_1) | instskip(NEXT) | instid1(VALU_DEP_1)
	v_fma_f32 v100, -v91, v98, v99
	v_fmac_f32_e32 v98, v100, v97
	s_delay_alu instid0(VALU_DEP_1) | instskip(NEXT) | instid1(VALU_DEP_1)
	v_fma_f32 v91, -v91, v98, v99
	v_div_fmas_f32 v91, v91, v97, v98
	s_delay_alu instid0(VALU_DEP_1) | instskip(NEXT) | instid1(VALU_DEP_1)
	v_div_fixup_f32 v91, v91, v89, v88
	v_fmac_f32_e32 v89, v88, v91
	s_delay_alu instid0(VALU_DEP_1) | instskip(SKIP_1) | instid1(VALU_DEP_2)
	v_div_scale_f32 v88, null, v89, v89, 1.0
	v_div_scale_f32 v99, vcc_lo, 1.0, v89, 1.0
	v_rcp_f32_e32 v97, v88
	v_nop
	s_delay_alu instid0(TRANS32_DEP_1) | instskip(NEXT) | instid1(VALU_DEP_1)
	v_fma_f32 v98, -v88, v97, 1.0
	v_fmac_f32_e32 v97, v98, v97
	s_delay_alu instid0(VALU_DEP_1) | instskip(NEXT) | instid1(VALU_DEP_1)
	v_mul_f32_e32 v98, v99, v97
	v_fma_f32 v100, -v88, v98, v99
	s_delay_alu instid0(VALU_DEP_1) | instskip(NEXT) | instid1(VALU_DEP_1)
	v_fmac_f32_e32 v98, v100, v97
	v_fma_f32 v88, -v88, v98, v99
	s_delay_alu instid0(VALU_DEP_1) | instskip(NEXT) | instid1(VALU_DEP_1)
	v_div_fmas_f32 v88, v88, v97, v98
	v_div_fixup_f32 v89, v88, v89, 1.0
	s_delay_alu instid0(VALU_DEP_1)
	v_mul_f32_e32 v88, v91, v89
	v_xor_b32_e32 v89, 0x80000000, v89
.LBB80_784:
	s_and_not1_saveexec_b32 s1, s1
	s_cbranch_execz .LBB80_786
; %bb.785:
	s_delay_alu instid0(VALU_DEP_1) | instskip(SKIP_1) | instid1(VALU_DEP_2)
	v_div_scale_f32 v91, null, v88, v88, v89
	v_div_scale_f32 v99, vcc_lo, v89, v88, v89
	v_rcp_f32_e32 v97, v91
	v_nop
	s_delay_alu instid0(TRANS32_DEP_1) | instskip(NEXT) | instid1(VALU_DEP_1)
	v_fma_f32 v98, -v91, v97, 1.0
	v_fmac_f32_e32 v97, v98, v97
	s_delay_alu instid0(VALU_DEP_1) | instskip(NEXT) | instid1(VALU_DEP_1)
	v_mul_f32_e32 v98, v99, v97
	v_fma_f32 v100, -v91, v98, v99
	s_delay_alu instid0(VALU_DEP_1) | instskip(NEXT) | instid1(VALU_DEP_1)
	v_fmac_f32_e32 v98, v100, v97
	v_fma_f32 v91, -v91, v98, v99
	s_delay_alu instid0(VALU_DEP_1) | instskip(NEXT) | instid1(VALU_DEP_1)
	v_div_fmas_f32 v91, v91, v97, v98
	v_div_fixup_f32 v91, v91, v88, v89
	s_delay_alu instid0(VALU_DEP_1) | instskip(NEXT) | instid1(VALU_DEP_1)
	v_fmac_f32_e32 v88, v89, v91
	v_div_scale_f32 v89, null, v88, v88, 1.0
	s_delay_alu instid0(VALU_DEP_1) | instskip(SKIP_1) | instid1(TRANS32_DEP_1)
	v_rcp_f32_e32 v97, v89
	v_nop
	v_fma_f32 v98, -v89, v97, 1.0
	s_delay_alu instid0(VALU_DEP_1) | instskip(SKIP_1) | instid1(VALU_DEP_1)
	v_fmac_f32_e32 v97, v98, v97
	v_div_scale_f32 v98, vcc_lo, 1.0, v88, 1.0
	v_mul_f32_e32 v99, v98, v97
	s_delay_alu instid0(VALU_DEP_1) | instskip(NEXT) | instid1(VALU_DEP_1)
	v_fma_f32 v100, -v89, v99, v98
	v_fmac_f32_e32 v99, v100, v97
	s_delay_alu instid0(VALU_DEP_1) | instskip(NEXT) | instid1(VALU_DEP_1)
	v_fma_f32 v89, -v89, v99, v98
	v_div_fmas_f32 v89, v89, v97, v99
	s_delay_alu instid0(VALU_DEP_1) | instskip(NEXT) | instid1(VALU_DEP_1)
	v_div_fixup_f32 v88, v89, v88, 1.0
	v_mul_f32_e64 v89, v91, -v88
.LBB80_786:
	s_or_b32 exec_lo, exec_lo, s1
.LBB80_787:
	s_delay_alu instid0(SALU_CYCLE_1) | instskip(NEXT) | instid1(SALU_CYCLE_1)
	s_or_b32 exec_lo, exec_lo, s0
	s_mov_b32 s0, exec_lo
	v_cmpx_ne_u32_e64 v96, v90
	s_xor_b32 s0, exec_lo, s0
	s_cbranch_execz .LBB80_793
; %bb.788:
	s_mov_b32 s1, exec_lo
	v_cmpx_eq_u32_e32 37, v96
	s_cbranch_execz .LBB80_792
; %bb.789:
	v_cmp_ne_u32_e32 vcc_lo, 37, v90
	s_xor_b32 s12, s16, -1
	s_delay_alu instid0(SALU_CYCLE_1) | instskip(NEXT) | instid1(SALU_CYCLE_1)
	s_and_b32 s13, s12, vcc_lo
	s_and_saveexec_b32 s12, s13
	s_cbranch_execz .LBB80_791
; %bb.790:
	v_ashrrev_i32_e32 v91, 31, v90
	s_delay_alu instid0(VALU_DEP_1)
	v_lshl_add_u64 v[96:97], v[90:91], 2, v[4:5]
	s_clause 0x1
	global_load_b32 v91, v[96:97], off
	global_load_b32 v95, v[4:5], off offset:148
	s_wait_loadcnt 0x1
	global_store_b32 v[4:5], v91, off offset:148
	s_wait_loadcnt 0x0
	global_store_b32 v[96:97], v95, off
.LBB80_791:
	s_wait_xcnt 0x0
	s_or_b32 exec_lo, exec_lo, s12
	v_dual_mov_b32 v96, v90 :: v_dual_mov_b32 v95, v90
.LBB80_792:
	s_or_b32 exec_lo, exec_lo, s1
.LBB80_793:
	s_and_not1_saveexec_b32 s0, s0
	s_cbranch_execz .LBB80_795
; %bb.794:
	v_dual_mov_b32 v90, v22 :: v_dual_mov_b32 v91, v23
	v_dual_mov_b32 v98, v16 :: v_dual_mov_b32 v99, v17
	v_mov_b32_e32 v96, 37
	ds_store_2addr_b64 v92, v[90:91], v[98:99] offset0:38 offset1:39
	ds_store_b64 v92, v[86:87] offset:320
.LBB80_795:
	s_or_b32 exec_lo, exec_lo, s0
	s_delay_alu instid0(SALU_CYCLE_1)
	s_mov_b32 s0, exec_lo
	s_wait_storecnt_dscnt 0x0
	s_barrier_signal -1
	s_barrier_wait -1
	v_cmpx_lt_i32_e32 37, v96
	s_cbranch_execz .LBB80_797
; %bb.796:
	ds_load_2addr_b64 v[98:101], v92 offset0:38 offset1:39
	ds_load_b64 v[90:91], v92 offset:320
	v_pk_mul_f32 v[102:103], v[88:89], v[44:45] op_sel:[1,1] op_sel_hi:[0,1]
	s_delay_alu instid0(VALU_DEP_1) | instskip(SKIP_2) | instid1(VALU_DEP_2)
	v_pk_fma_f32 v[104:105], v[88:89], v[44:45], v[102:103] op_sel_hi:[1,0,1]
	v_pk_fma_f32 v[44:45], v[88:89], v[44:45], v[102:103] op_sel_hi:[1,0,1] neg_lo:[0,0,1] neg_hi:[0,0,1]
	s_wait_dscnt 0x1
	v_pk_mul_f32 v[88:89], v[98:99], v[104:105] op_sel:[0,1]
	v_pk_mul_f32 v[102:103], v[100:101], v[104:105] op_sel:[0,1]
	s_wait_dscnt 0x0
	v_pk_mul_f32 v[106:107], v[90:91], v[104:105] op_sel:[1,1] op_sel_hi:[0,1]
	s_delay_alu instid0(VALU_DEP_3) | instskip(SKIP_2) | instid1(VALU_DEP_4)
	v_pk_fma_f32 v[108:109], v[98:99], v[44:45], v[88:89] op_sel:[0,0,1] op_sel_hi:[1,1,0] neg_lo:[0,0,1] neg_hi:[0,0,1]
	v_pk_fma_f32 v[88:89], v[98:99], v[44:45], v[88:89] op_sel:[0,0,1] op_sel_hi:[1,0,0]
	v_pk_fma_f32 v[98:99], v[100:101], v[44:45], v[102:103] op_sel:[0,0,1] op_sel_hi:[1,0,0]
	v_pk_fma_f32 v[110:111], v[90:91], v[44:45], v[106:107] op_sel_hi:[1,0,1]
	v_pk_fma_f32 v[100:101], v[100:101], v[44:45], v[102:103] op_sel:[0,0,1] op_sel_hi:[1,1,0] neg_lo:[0,0,1] neg_hi:[0,0,1]
	v_pk_fma_f32 v[90:91], v[90:91], v[44:45], v[106:107] neg_lo:[0,0,1] neg_hi:[0,0,1]
	s_delay_alu instid0(VALU_DEP_4) | instskip(NEXT) | instid1(VALU_DEP_4)
	v_dual_mov_b32 v109, v89 :: v_dual_mov_b32 v101, v99
	v_dual_mov_b32 v91, v111 :: v_dual_mov_b32 v45, v105
	s_delay_alu instid0(VALU_DEP_2) | instskip(NEXT) | instid1(VALU_DEP_3)
	v_pk_add_f32 v[22:23], v[22:23], v[108:109] neg_lo:[0,1] neg_hi:[0,1]
	v_pk_add_f32 v[16:17], v[16:17], v[100:101] neg_lo:[0,1] neg_hi:[0,1]
	s_delay_alu instid0(VALU_DEP_3)
	v_pk_add_f32 v[86:87], v[86:87], v[90:91] neg_lo:[0,1] neg_hi:[0,1]
.LBB80_797:
	s_or_b32 exec_lo, exec_lo, s0
	v_lshl_add_u32 v88, v96, 3, v92
	s_barrier_signal -1
	s_barrier_wait -1
	ds_store_b64 v88, v[22:23]
	s_wait_dscnt 0x0
	s_barrier_signal -1
	s_barrier_wait -1
	ds_load_b64 v[88:89], v92 offset:304
	v_mov_b32_e32 v90, 38
	s_cmp_lt_i32 s18, 40
	s_cbranch_scc1 .LBB80_800
; %bb.798:
	v_add3_u32 v91, v93, 0, 0x138
	v_mov_b32_e32 v90, 38
	s_mov_b32 s0, 39
.LBB80_799:                             ; =>This Inner Loop Header: Depth=1
	ds_load_b64 v[98:99], v91
	s_wait_dscnt 0x1
	v_cmp_gt_f32_e32 vcc_lo, 0, v88
	v_cndmask_b32_e64 v100, v88, -v88, vcc_lo
	v_cmp_gt_f32_e32 vcc_lo, 0, v89
	v_cndmask_b32_e64 v102, v89, -v89, vcc_lo
	s_wait_dscnt 0x0
	v_cmp_gt_f32_e32 vcc_lo, 0, v98
	v_cndmask_b32_e64 v101, v98, -v98, vcc_lo
	v_cmp_gt_f32_e32 vcc_lo, 0, v99
	v_cndmask_b32_e64 v103, v99, -v99, vcc_lo
	s_delay_alu instid0(VALU_DEP_1) | instskip(NEXT) | instid1(VALU_DEP_1)
	v_pk_add_f32 v[100:101], v[100:101], v[102:103]
	v_cmp_lt_f32_e32 vcc_lo, v100, v101
	v_dual_cndmask_b32 v88, v88, v98 :: v_dual_add_nc_u32 v91, 8, v91
	v_cndmask_b32_e32 v89, v89, v99, vcc_lo
	v_cndmask_b32_e64 v90, v90, s0, vcc_lo
	s_add_co_i32 s0, s0, 1
	s_delay_alu instid0(SALU_CYCLE_1)
	s_cmp_lg_u32 s18, s0
	s_cbranch_scc1 .LBB80_799
.LBB80_800:
	s_wait_dscnt 0x0
	v_cmp_eq_f32_e32 vcc_lo, 0, v88
	v_cmp_eq_f32_e64 s0, 0, v89
	s_and_b32 s0, vcc_lo, s0
	s_delay_alu instid0(SALU_CYCLE_1) | instskip(NEXT) | instid1(SALU_CYCLE_1)
	s_and_saveexec_b32 s1, s0
	s_xor_b32 s0, exec_lo, s1
; %bb.801:
	v_cmp_ne_u32_e32 vcc_lo, 0, v94
	v_cndmask_b32_e32 v94, 39, v94, vcc_lo
; %bb.802:
	s_and_not1_saveexec_b32 s0, s0
	s_cbranch_execz .LBB80_808
; %bb.803:
	v_cmp_ngt_f32_e64 s1, |v88|, |v89|
	s_and_saveexec_b32 s12, s1
	s_delay_alu instid0(SALU_CYCLE_1)
	s_xor_b32 s1, exec_lo, s12
	s_cbranch_execz .LBB80_805
; %bb.804:
	v_div_scale_f32 v91, null, v89, v89, v88
	v_div_scale_f32 v99, vcc_lo, v88, v89, v88
	s_delay_alu instid0(VALU_DEP_2) | instskip(SKIP_1) | instid1(TRANS32_DEP_1)
	v_rcp_f32_e32 v97, v91
	v_nop
	v_fma_f32 v98, -v91, v97, 1.0
	s_delay_alu instid0(VALU_DEP_1) | instskip(NEXT) | instid1(VALU_DEP_1)
	v_fmac_f32_e32 v97, v98, v97
	v_mul_f32_e32 v98, v99, v97
	s_delay_alu instid0(VALU_DEP_1) | instskip(NEXT) | instid1(VALU_DEP_1)
	v_fma_f32 v100, -v91, v98, v99
	v_fmac_f32_e32 v98, v100, v97
	s_delay_alu instid0(VALU_DEP_1) | instskip(NEXT) | instid1(VALU_DEP_1)
	v_fma_f32 v91, -v91, v98, v99
	v_div_fmas_f32 v91, v91, v97, v98
	s_delay_alu instid0(VALU_DEP_1) | instskip(NEXT) | instid1(VALU_DEP_1)
	v_div_fixup_f32 v91, v91, v89, v88
	v_fmac_f32_e32 v89, v88, v91
	s_delay_alu instid0(VALU_DEP_1) | instskip(SKIP_1) | instid1(VALU_DEP_2)
	v_div_scale_f32 v88, null, v89, v89, 1.0
	v_div_scale_f32 v99, vcc_lo, 1.0, v89, 1.0
	v_rcp_f32_e32 v97, v88
	v_nop
	s_delay_alu instid0(TRANS32_DEP_1) | instskip(NEXT) | instid1(VALU_DEP_1)
	v_fma_f32 v98, -v88, v97, 1.0
	v_fmac_f32_e32 v97, v98, v97
	s_delay_alu instid0(VALU_DEP_1) | instskip(NEXT) | instid1(VALU_DEP_1)
	v_mul_f32_e32 v98, v99, v97
	v_fma_f32 v100, -v88, v98, v99
	s_delay_alu instid0(VALU_DEP_1) | instskip(NEXT) | instid1(VALU_DEP_1)
	v_fmac_f32_e32 v98, v100, v97
	v_fma_f32 v88, -v88, v98, v99
	s_delay_alu instid0(VALU_DEP_1) | instskip(NEXT) | instid1(VALU_DEP_1)
	v_div_fmas_f32 v88, v88, v97, v98
	v_div_fixup_f32 v89, v88, v89, 1.0
	s_delay_alu instid0(VALU_DEP_1)
	v_mul_f32_e32 v88, v91, v89
	v_xor_b32_e32 v89, 0x80000000, v89
.LBB80_805:
	s_and_not1_saveexec_b32 s1, s1
	s_cbranch_execz .LBB80_807
; %bb.806:
	s_delay_alu instid0(VALU_DEP_1) | instskip(SKIP_1) | instid1(VALU_DEP_2)
	v_div_scale_f32 v91, null, v88, v88, v89
	v_div_scale_f32 v99, vcc_lo, v89, v88, v89
	v_rcp_f32_e32 v97, v91
	v_nop
	s_delay_alu instid0(TRANS32_DEP_1) | instskip(NEXT) | instid1(VALU_DEP_1)
	v_fma_f32 v98, -v91, v97, 1.0
	v_fmac_f32_e32 v97, v98, v97
	s_delay_alu instid0(VALU_DEP_1) | instskip(NEXT) | instid1(VALU_DEP_1)
	v_mul_f32_e32 v98, v99, v97
	v_fma_f32 v100, -v91, v98, v99
	s_delay_alu instid0(VALU_DEP_1) | instskip(NEXT) | instid1(VALU_DEP_1)
	v_fmac_f32_e32 v98, v100, v97
	v_fma_f32 v91, -v91, v98, v99
	s_delay_alu instid0(VALU_DEP_1) | instskip(NEXT) | instid1(VALU_DEP_1)
	v_div_fmas_f32 v91, v91, v97, v98
	v_div_fixup_f32 v91, v91, v88, v89
	s_delay_alu instid0(VALU_DEP_1) | instskip(NEXT) | instid1(VALU_DEP_1)
	v_fmac_f32_e32 v88, v89, v91
	v_div_scale_f32 v89, null, v88, v88, 1.0
	s_delay_alu instid0(VALU_DEP_1) | instskip(SKIP_1) | instid1(TRANS32_DEP_1)
	v_rcp_f32_e32 v97, v89
	v_nop
	v_fma_f32 v98, -v89, v97, 1.0
	s_delay_alu instid0(VALU_DEP_1) | instskip(SKIP_1) | instid1(VALU_DEP_1)
	v_fmac_f32_e32 v97, v98, v97
	v_div_scale_f32 v98, vcc_lo, 1.0, v88, 1.0
	v_mul_f32_e32 v99, v98, v97
	s_delay_alu instid0(VALU_DEP_1) | instskip(NEXT) | instid1(VALU_DEP_1)
	v_fma_f32 v100, -v89, v99, v98
	v_fmac_f32_e32 v99, v100, v97
	s_delay_alu instid0(VALU_DEP_1) | instskip(NEXT) | instid1(VALU_DEP_1)
	v_fma_f32 v89, -v89, v99, v98
	v_div_fmas_f32 v89, v89, v97, v99
	s_delay_alu instid0(VALU_DEP_1) | instskip(NEXT) | instid1(VALU_DEP_1)
	v_div_fixup_f32 v88, v89, v88, 1.0
	v_mul_f32_e64 v89, v91, -v88
.LBB80_807:
	s_or_b32 exec_lo, exec_lo, s1
.LBB80_808:
	s_delay_alu instid0(SALU_CYCLE_1) | instskip(NEXT) | instid1(SALU_CYCLE_1)
	s_or_b32 exec_lo, exec_lo, s0
	s_mov_b32 s0, exec_lo
	v_cmpx_ne_u32_e64 v96, v90
	s_xor_b32 s0, exec_lo, s0
	s_cbranch_execz .LBB80_814
; %bb.809:
	s_mov_b32 s1, exec_lo
	v_cmpx_eq_u32_e32 38, v96
	s_cbranch_execz .LBB80_813
; %bb.810:
	v_cmp_ne_u32_e32 vcc_lo, 38, v90
	s_xor_b32 s12, s16, -1
	s_delay_alu instid0(SALU_CYCLE_1) | instskip(NEXT) | instid1(SALU_CYCLE_1)
	s_and_b32 s13, s12, vcc_lo
	s_and_saveexec_b32 s12, s13
	s_cbranch_execz .LBB80_812
; %bb.811:
	v_ashrrev_i32_e32 v91, 31, v90
	s_delay_alu instid0(VALU_DEP_1)
	v_lshl_add_u64 v[96:97], v[90:91], 2, v[4:5]
	s_clause 0x1
	global_load_b32 v91, v[96:97], off
	global_load_b32 v95, v[4:5], off offset:152
	s_wait_loadcnt 0x1
	global_store_b32 v[4:5], v91, off offset:152
	s_wait_loadcnt 0x0
	global_store_b32 v[96:97], v95, off
.LBB80_812:
	s_wait_xcnt 0x0
	s_or_b32 exec_lo, exec_lo, s12
	v_dual_mov_b32 v96, v90 :: v_dual_mov_b32 v95, v90
.LBB80_813:
	s_or_b32 exec_lo, exec_lo, s1
.LBB80_814:
	s_and_not1_saveexec_b32 s0, s0
; %bb.815:
	v_mov_b32_e32 v96, 38
	ds_store_2addr_b64 v92, v[16:17], v[86:87] offset0:39 offset1:40
; %bb.816:
	s_or_b32 exec_lo, exec_lo, s0
	s_delay_alu instid0(SALU_CYCLE_1)
	s_mov_b32 s0, exec_lo
	s_wait_storecnt_dscnt 0x0
	s_barrier_signal -1
	s_barrier_wait -1
	v_cmpx_lt_i32_e32 38, v96
	s_cbranch_execz .LBB80_818
; %bb.817:
	ds_load_2addr_b64 v[98:101], v92 offset0:39 offset1:40
	v_pk_mul_f32 v[90:91], v[88:89], v[22:23] op_sel:[1,1] op_sel_hi:[0,1]
	s_delay_alu instid0(VALU_DEP_1) | instskip(SKIP_3) | instid1(VALU_DEP_3)
	v_pk_fma_f32 v[102:103], v[88:89], v[22:23], v[90:91] op_sel_hi:[1,0,1]
	v_pk_fma_f32 v[22:23], v[88:89], v[22:23], v[90:91] op_sel_hi:[1,0,1] neg_lo:[0,0,1] neg_hi:[0,0,1]
	s_wait_dscnt 0x0
	v_dual_mov_b32 v104, v101 :: v_dual_mov_b32 v105, v100
	v_pk_mul_f32 v[88:89], v[98:99], v[102:103] op_sel:[0,1]
	s_delay_alu instid0(VALU_DEP_2) | instskip(NEXT) | instid1(VALU_DEP_2)
	v_pk_mul_f32 v[90:91], v[104:105], v[102:103] op_sel:[0,1]
	v_pk_fma_f32 v[104:105], v[98:99], v[22:23], v[88:89] op_sel:[0,0,1] op_sel_hi:[1,0,0]
	v_pk_fma_f32 v[88:89], v[98:99], v[22:23], v[88:89] op_sel:[0,0,1] op_sel_hi:[1,1,0] neg_lo:[0,0,1] neg_hi:[0,0,1]
	s_delay_alu instid0(VALU_DEP_3) | instskip(SKIP_1) | instid1(VALU_DEP_4)
	v_pk_fma_f32 v[106:107], v[100:101], v[22:23], v[90:91] op_sel_hi:[1,0,1]
	v_pk_fma_f32 v[90:91], v[100:101], v[22:23], v[90:91] neg_lo:[0,0,1] neg_hi:[0,0,1]
	v_dual_mov_b32 v89, v105 :: v_dual_mov_b32 v23, v103
	s_delay_alu instid0(VALU_DEP_3) | instskip(NEXT) | instid1(VALU_DEP_2)
	v_mov_b32_e32 v91, v107
	v_pk_add_f32 v[16:17], v[16:17], v[88:89] neg_lo:[0,1] neg_hi:[0,1]
	s_delay_alu instid0(VALU_DEP_2)
	v_pk_add_f32 v[86:87], v[86:87], v[90:91] neg_lo:[0,1] neg_hi:[0,1]
.LBB80_818:
	s_or_b32 exec_lo, exec_lo, s0
	v_lshl_add_u32 v88, v96, 3, v92
	s_barrier_signal -1
	s_barrier_wait -1
	ds_store_b64 v88, v[16:17]
	s_wait_dscnt 0x0
	s_barrier_signal -1
	s_barrier_wait -1
	ds_load_b64 v[88:89], v92 offset:312
	v_mov_b32_e32 v90, 39
	s_cmp_lt_i32 s18, 41
	s_cbranch_scc1 .LBB80_821
; %bb.819:
	v_add3_u32 v91, v93, 0, 0x140
	v_mov_b32_e32 v90, 39
	s_mov_b32 s0, 40
.LBB80_820:                             ; =>This Inner Loop Header: Depth=1
	ds_load_b64 v[98:99], v91
	s_wait_dscnt 0x1
	v_cmp_gt_f32_e32 vcc_lo, 0, v88
	v_cndmask_b32_e64 v100, v88, -v88, vcc_lo
	v_cmp_gt_f32_e32 vcc_lo, 0, v89
	v_cndmask_b32_e64 v102, v89, -v89, vcc_lo
	s_wait_dscnt 0x0
	v_cmp_gt_f32_e32 vcc_lo, 0, v98
	v_cndmask_b32_e64 v101, v98, -v98, vcc_lo
	v_cmp_gt_f32_e32 vcc_lo, 0, v99
	v_cndmask_b32_e64 v103, v99, -v99, vcc_lo
	s_delay_alu instid0(VALU_DEP_1) | instskip(NEXT) | instid1(VALU_DEP_1)
	v_pk_add_f32 v[100:101], v[100:101], v[102:103]
	v_cmp_lt_f32_e32 vcc_lo, v100, v101
	v_dual_cndmask_b32 v88, v88, v98 :: v_dual_add_nc_u32 v91, 8, v91
	v_cndmask_b32_e32 v89, v89, v99, vcc_lo
	v_cndmask_b32_e64 v90, v90, s0, vcc_lo
	s_add_co_i32 s0, s0, 1
	s_delay_alu instid0(SALU_CYCLE_1)
	s_cmp_lg_u32 s18, s0
	s_cbranch_scc1 .LBB80_820
.LBB80_821:
	s_wait_dscnt 0x0
	v_cmp_eq_f32_e32 vcc_lo, 0, v88
	v_cmp_eq_f32_e64 s0, 0, v89
	s_and_b32 s0, vcc_lo, s0
	s_delay_alu instid0(SALU_CYCLE_1) | instskip(NEXT) | instid1(SALU_CYCLE_1)
	s_and_saveexec_b32 s1, s0
	s_xor_b32 s0, exec_lo, s1
; %bb.822:
	v_cmp_ne_u32_e32 vcc_lo, 0, v94
	v_cndmask_b32_e32 v94, 40, v94, vcc_lo
; %bb.823:
	s_and_not1_saveexec_b32 s0, s0
	s_cbranch_execz .LBB80_829
; %bb.824:
	v_cmp_ngt_f32_e64 s1, |v88|, |v89|
	s_and_saveexec_b32 s12, s1
	s_delay_alu instid0(SALU_CYCLE_1)
	s_xor_b32 s1, exec_lo, s12
	s_cbranch_execz .LBB80_826
; %bb.825:
	v_div_scale_f32 v91, null, v89, v89, v88
	v_div_scale_f32 v99, vcc_lo, v88, v89, v88
	s_delay_alu instid0(VALU_DEP_2) | instskip(SKIP_1) | instid1(TRANS32_DEP_1)
	v_rcp_f32_e32 v97, v91
	v_nop
	v_fma_f32 v98, -v91, v97, 1.0
	s_delay_alu instid0(VALU_DEP_1) | instskip(NEXT) | instid1(VALU_DEP_1)
	v_fmac_f32_e32 v97, v98, v97
	v_mul_f32_e32 v98, v99, v97
	s_delay_alu instid0(VALU_DEP_1) | instskip(NEXT) | instid1(VALU_DEP_1)
	v_fma_f32 v100, -v91, v98, v99
	v_fmac_f32_e32 v98, v100, v97
	s_delay_alu instid0(VALU_DEP_1) | instskip(NEXT) | instid1(VALU_DEP_1)
	v_fma_f32 v91, -v91, v98, v99
	v_div_fmas_f32 v91, v91, v97, v98
	s_delay_alu instid0(VALU_DEP_1) | instskip(NEXT) | instid1(VALU_DEP_1)
	v_div_fixup_f32 v91, v91, v89, v88
	v_fmac_f32_e32 v89, v88, v91
	s_delay_alu instid0(VALU_DEP_1) | instskip(SKIP_1) | instid1(VALU_DEP_2)
	v_div_scale_f32 v88, null, v89, v89, 1.0
	v_div_scale_f32 v99, vcc_lo, 1.0, v89, 1.0
	v_rcp_f32_e32 v97, v88
	v_nop
	s_delay_alu instid0(TRANS32_DEP_1) | instskip(NEXT) | instid1(VALU_DEP_1)
	v_fma_f32 v98, -v88, v97, 1.0
	v_fmac_f32_e32 v97, v98, v97
	s_delay_alu instid0(VALU_DEP_1) | instskip(NEXT) | instid1(VALU_DEP_1)
	v_mul_f32_e32 v98, v99, v97
	v_fma_f32 v100, -v88, v98, v99
	s_delay_alu instid0(VALU_DEP_1) | instskip(NEXT) | instid1(VALU_DEP_1)
	v_fmac_f32_e32 v98, v100, v97
	v_fma_f32 v88, -v88, v98, v99
	s_delay_alu instid0(VALU_DEP_1) | instskip(NEXT) | instid1(VALU_DEP_1)
	v_div_fmas_f32 v88, v88, v97, v98
	v_div_fixup_f32 v89, v88, v89, 1.0
	s_delay_alu instid0(VALU_DEP_1)
	v_mul_f32_e32 v88, v91, v89
	v_xor_b32_e32 v89, 0x80000000, v89
.LBB80_826:
	s_and_not1_saveexec_b32 s1, s1
	s_cbranch_execz .LBB80_828
; %bb.827:
	s_delay_alu instid0(VALU_DEP_1) | instskip(SKIP_1) | instid1(VALU_DEP_2)
	v_div_scale_f32 v91, null, v88, v88, v89
	v_div_scale_f32 v99, vcc_lo, v89, v88, v89
	v_rcp_f32_e32 v97, v91
	v_nop
	s_delay_alu instid0(TRANS32_DEP_1) | instskip(NEXT) | instid1(VALU_DEP_1)
	v_fma_f32 v98, -v91, v97, 1.0
	v_fmac_f32_e32 v97, v98, v97
	s_delay_alu instid0(VALU_DEP_1) | instskip(NEXT) | instid1(VALU_DEP_1)
	v_mul_f32_e32 v98, v99, v97
	v_fma_f32 v100, -v91, v98, v99
	s_delay_alu instid0(VALU_DEP_1) | instskip(NEXT) | instid1(VALU_DEP_1)
	v_fmac_f32_e32 v98, v100, v97
	v_fma_f32 v91, -v91, v98, v99
	s_delay_alu instid0(VALU_DEP_1) | instskip(NEXT) | instid1(VALU_DEP_1)
	v_div_fmas_f32 v91, v91, v97, v98
	v_div_fixup_f32 v91, v91, v88, v89
	s_delay_alu instid0(VALU_DEP_1) | instskip(NEXT) | instid1(VALU_DEP_1)
	v_fmac_f32_e32 v88, v89, v91
	v_div_scale_f32 v89, null, v88, v88, 1.0
	s_delay_alu instid0(VALU_DEP_1) | instskip(SKIP_1) | instid1(TRANS32_DEP_1)
	v_rcp_f32_e32 v97, v89
	v_nop
	v_fma_f32 v98, -v89, v97, 1.0
	s_delay_alu instid0(VALU_DEP_1) | instskip(SKIP_1) | instid1(VALU_DEP_1)
	v_fmac_f32_e32 v97, v98, v97
	v_div_scale_f32 v98, vcc_lo, 1.0, v88, 1.0
	v_mul_f32_e32 v99, v98, v97
	s_delay_alu instid0(VALU_DEP_1) | instskip(NEXT) | instid1(VALU_DEP_1)
	v_fma_f32 v100, -v89, v99, v98
	v_fmac_f32_e32 v99, v100, v97
	s_delay_alu instid0(VALU_DEP_1) | instskip(NEXT) | instid1(VALU_DEP_1)
	v_fma_f32 v89, -v89, v99, v98
	v_div_fmas_f32 v89, v89, v97, v99
	s_delay_alu instid0(VALU_DEP_1) | instskip(NEXT) | instid1(VALU_DEP_1)
	v_div_fixup_f32 v88, v89, v88, 1.0
	v_mul_f32_e64 v89, v91, -v88
.LBB80_828:
	s_or_b32 exec_lo, exec_lo, s1
.LBB80_829:
	s_delay_alu instid0(SALU_CYCLE_1) | instskip(NEXT) | instid1(SALU_CYCLE_1)
	s_or_b32 exec_lo, exec_lo, s0
	s_mov_b32 s0, exec_lo
	v_cmpx_ne_u32_e64 v96, v90
	s_xor_b32 s0, exec_lo, s0
	s_cbranch_execz .LBB80_835
; %bb.830:
	s_mov_b32 s1, exec_lo
	v_cmpx_eq_u32_e32 39, v96
	s_cbranch_execz .LBB80_834
; %bb.831:
	v_cmp_ne_u32_e32 vcc_lo, 39, v90
	s_xor_b32 s12, s16, -1
	s_delay_alu instid0(SALU_CYCLE_1) | instskip(NEXT) | instid1(SALU_CYCLE_1)
	s_and_b32 s13, s12, vcc_lo
	s_and_saveexec_b32 s12, s13
	s_cbranch_execz .LBB80_833
; %bb.832:
	v_ashrrev_i32_e32 v91, 31, v90
	s_delay_alu instid0(VALU_DEP_1)
	v_lshl_add_u64 v[96:97], v[90:91], 2, v[4:5]
	s_clause 0x1
	global_load_b32 v91, v[96:97], off
	global_load_b32 v95, v[4:5], off offset:156
	s_wait_loadcnt 0x1
	global_store_b32 v[4:5], v91, off offset:156
	s_wait_loadcnt 0x0
	global_store_b32 v[96:97], v95, off
.LBB80_833:
	s_wait_xcnt 0x0
	s_or_b32 exec_lo, exec_lo, s12
	v_dual_mov_b32 v96, v90 :: v_dual_mov_b32 v95, v90
.LBB80_834:
	s_or_b32 exec_lo, exec_lo, s1
.LBB80_835:
	s_and_not1_saveexec_b32 s0, s0
; %bb.836:
	v_mov_b32_e32 v96, 39
	ds_store_b64 v92, v[86:87] offset:320
; %bb.837:
	s_or_b32 exec_lo, exec_lo, s0
	s_delay_alu instid0(SALU_CYCLE_1)
	s_mov_b32 s0, exec_lo
	s_wait_storecnt_dscnt 0x0
	s_barrier_signal -1
	s_barrier_wait -1
	v_cmpx_lt_i32_e32 39, v96
	s_cbranch_execz .LBB80_839
; %bb.838:
	ds_load_b64 v[90:91], v92 offset:320
	v_pk_mul_f32 v[98:99], v[88:89], v[16:17] op_sel:[1,1] op_sel_hi:[0,1]
	s_delay_alu instid0(VALU_DEP_1) | instskip(SKIP_2) | instid1(VALU_DEP_2)
	v_pk_fma_f32 v[100:101], v[88:89], v[16:17], v[98:99] op_sel_hi:[1,0,1]
	v_pk_fma_f32 v[16:17], v[88:89], v[16:17], v[98:99] op_sel_hi:[1,0,1] neg_lo:[0,0,1] neg_hi:[0,0,1]
	s_wait_dscnt 0x0
	v_pk_mul_f32 v[88:89], v[90:91], v[100:101] op_sel:[1,1] op_sel_hi:[0,1]
	s_delay_alu instid0(VALU_DEP_1) | instskip(SKIP_1) | instid1(VALU_DEP_2)
	v_pk_fma_f32 v[98:99], v[90:91], v[16:17], v[88:89] op_sel_hi:[1,0,1]
	v_pk_fma_f32 v[88:89], v[90:91], v[16:17], v[88:89] neg_lo:[0,0,1] neg_hi:[0,0,1]
	v_dual_mov_b32 v17, v101 :: v_dual_mov_b32 v89, v99
	s_delay_alu instid0(VALU_DEP_1)
	v_pk_add_f32 v[86:87], v[86:87], v[88:89] neg_lo:[0,1] neg_hi:[0,1]
.LBB80_839:
	s_or_b32 exec_lo, exec_lo, s0
	v_lshl_add_u32 v88, v96, 3, v92
	s_barrier_signal -1
	s_barrier_wait -1
	ds_store_b64 v88, v[86:87]
	s_wait_dscnt 0x0
	s_barrier_signal -1
	s_barrier_wait -1
	ds_load_b64 v[88:89], v92 offset:320
	v_mov_b32_e32 v90, 40
	s_cmp_lt_i32 s18, 42
	s_cbranch_scc1 .LBB80_842
; %bb.840:
	v_add3_u32 v91, v93, 0, 0x148
	v_mov_b32_e32 v90, 40
	s_mov_b32 s0, 41
.LBB80_841:                             ; =>This Inner Loop Header: Depth=1
	ds_load_b64 v[92:93], v91
	s_wait_dscnt 0x1
	v_cmp_gt_f32_e32 vcc_lo, 0, v88
	v_cndmask_b32_e64 v98, v88, -v88, vcc_lo
	v_cmp_gt_f32_e32 vcc_lo, 0, v89
	v_cndmask_b32_e64 v100, v89, -v89, vcc_lo
	s_wait_dscnt 0x0
	v_cmp_gt_f32_e32 vcc_lo, 0, v92
	v_cndmask_b32_e64 v99, v92, -v92, vcc_lo
	v_cmp_gt_f32_e32 vcc_lo, 0, v93
	v_cndmask_b32_e64 v101, v93, -v93, vcc_lo
	s_delay_alu instid0(VALU_DEP_1) | instskip(NEXT) | instid1(VALU_DEP_1)
	v_pk_add_f32 v[98:99], v[98:99], v[100:101]
	v_cmp_lt_f32_e32 vcc_lo, v98, v99
	v_dual_add_nc_u32 v91, 8, v91 :: v_dual_cndmask_b32 v89, v89, v93, vcc_lo
	v_cndmask_b32_e32 v88, v88, v92, vcc_lo
	v_cndmask_b32_e64 v90, v90, s0, vcc_lo
	s_add_co_i32 s0, s0, 1
	s_delay_alu instid0(SALU_CYCLE_1)
	s_cmp_lg_u32 s18, s0
	s_cbranch_scc1 .LBB80_841
.LBB80_842:
	s_wait_dscnt 0x0
	v_cmp_eq_f32_e32 vcc_lo, 0, v88
	v_cmp_eq_f32_e64 s0, 0, v89
	s_and_b32 s0, vcc_lo, s0
	s_delay_alu instid0(SALU_CYCLE_1) | instskip(NEXT) | instid1(SALU_CYCLE_1)
	s_and_saveexec_b32 s1, s0
	s_xor_b32 s0, exec_lo, s1
; %bb.843:
	v_cmp_ne_u32_e32 vcc_lo, 0, v94
	v_cndmask_b32_e32 v94, 41, v94, vcc_lo
; %bb.844:
	s_and_not1_saveexec_b32 s0, s0
	s_cbranch_execz .LBB80_850
; %bb.845:
	v_cmp_ngt_f32_e64 s1, |v88|, |v89|
	s_and_saveexec_b32 s12, s1
	s_delay_alu instid0(SALU_CYCLE_1)
	s_xor_b32 s1, exec_lo, s12
	s_cbranch_execz .LBB80_847
; %bb.846:
	v_div_scale_f32 v91, null, v89, v89, v88
	v_div_scale_f32 v97, vcc_lo, v88, v89, v88
	s_delay_alu instid0(VALU_DEP_2) | instskip(SKIP_1) | instid1(TRANS32_DEP_1)
	v_rcp_f32_e32 v92, v91
	v_nop
	v_fma_f32 v93, -v91, v92, 1.0
	s_delay_alu instid0(VALU_DEP_1) | instskip(NEXT) | instid1(VALU_DEP_1)
	v_fmac_f32_e32 v92, v93, v92
	v_mul_f32_e32 v93, v97, v92
	s_delay_alu instid0(VALU_DEP_1) | instskip(NEXT) | instid1(VALU_DEP_1)
	v_fma_f32 v98, -v91, v93, v97
	v_fmac_f32_e32 v93, v98, v92
	s_delay_alu instid0(VALU_DEP_1) | instskip(NEXT) | instid1(VALU_DEP_1)
	v_fma_f32 v91, -v91, v93, v97
	v_div_fmas_f32 v91, v91, v92, v93
	s_delay_alu instid0(VALU_DEP_1) | instskip(NEXT) | instid1(VALU_DEP_1)
	v_div_fixup_f32 v91, v91, v89, v88
	v_fmac_f32_e32 v89, v88, v91
	s_delay_alu instid0(VALU_DEP_1) | instskip(SKIP_1) | instid1(VALU_DEP_2)
	v_div_scale_f32 v88, null, v89, v89, 1.0
	v_div_scale_f32 v97, vcc_lo, 1.0, v89, 1.0
	v_rcp_f32_e32 v92, v88
	v_nop
	s_delay_alu instid0(TRANS32_DEP_1) | instskip(NEXT) | instid1(VALU_DEP_1)
	v_fma_f32 v93, -v88, v92, 1.0
	v_fmac_f32_e32 v92, v93, v92
	s_delay_alu instid0(VALU_DEP_1) | instskip(NEXT) | instid1(VALU_DEP_1)
	v_mul_f32_e32 v93, v97, v92
	v_fma_f32 v98, -v88, v93, v97
	s_delay_alu instid0(VALU_DEP_1) | instskip(NEXT) | instid1(VALU_DEP_1)
	v_fmac_f32_e32 v93, v98, v92
	v_fma_f32 v88, -v88, v93, v97
	s_delay_alu instid0(VALU_DEP_1) | instskip(NEXT) | instid1(VALU_DEP_1)
	v_div_fmas_f32 v88, v88, v92, v93
	v_div_fixup_f32 v89, v88, v89, 1.0
	s_delay_alu instid0(VALU_DEP_1)
	v_mul_f32_e32 v88, v91, v89
	v_xor_b32_e32 v89, 0x80000000, v89
.LBB80_847:
	s_and_not1_saveexec_b32 s1, s1
	s_cbranch_execz .LBB80_849
; %bb.848:
	s_delay_alu instid0(VALU_DEP_1) | instskip(SKIP_1) | instid1(VALU_DEP_2)
	v_div_scale_f32 v91, null, v88, v88, v89
	v_div_scale_f32 v97, vcc_lo, v89, v88, v89
	v_rcp_f32_e32 v92, v91
	v_nop
	s_delay_alu instid0(TRANS32_DEP_1) | instskip(NEXT) | instid1(VALU_DEP_1)
	v_fma_f32 v93, -v91, v92, 1.0
	v_fmac_f32_e32 v92, v93, v92
	s_delay_alu instid0(VALU_DEP_1) | instskip(NEXT) | instid1(VALU_DEP_1)
	v_mul_f32_e32 v93, v97, v92
	v_fma_f32 v98, -v91, v93, v97
	s_delay_alu instid0(VALU_DEP_1) | instskip(NEXT) | instid1(VALU_DEP_1)
	v_fmac_f32_e32 v93, v98, v92
	v_fma_f32 v91, -v91, v93, v97
	s_delay_alu instid0(VALU_DEP_1) | instskip(NEXT) | instid1(VALU_DEP_1)
	v_div_fmas_f32 v91, v91, v92, v93
	v_div_fixup_f32 v91, v91, v88, v89
	s_delay_alu instid0(VALU_DEP_1) | instskip(NEXT) | instid1(VALU_DEP_1)
	v_fmac_f32_e32 v88, v89, v91
	v_div_scale_f32 v89, null, v88, v88, 1.0
	s_delay_alu instid0(VALU_DEP_1) | instskip(SKIP_1) | instid1(TRANS32_DEP_1)
	v_rcp_f32_e32 v92, v89
	v_nop
	v_fma_f32 v93, -v89, v92, 1.0
	s_delay_alu instid0(VALU_DEP_1) | instskip(SKIP_1) | instid1(VALU_DEP_1)
	v_fmac_f32_e32 v92, v93, v92
	v_div_scale_f32 v93, vcc_lo, 1.0, v88, 1.0
	v_mul_f32_e32 v97, v93, v92
	s_delay_alu instid0(VALU_DEP_1) | instskip(NEXT) | instid1(VALU_DEP_1)
	v_fma_f32 v98, -v89, v97, v93
	v_fmac_f32_e32 v97, v98, v92
	s_delay_alu instid0(VALU_DEP_1) | instskip(NEXT) | instid1(VALU_DEP_1)
	v_fma_f32 v89, -v89, v97, v93
	v_div_fmas_f32 v89, v89, v92, v97
	s_delay_alu instid0(VALU_DEP_1) | instskip(NEXT) | instid1(VALU_DEP_1)
	v_div_fixup_f32 v88, v89, v88, 1.0
	v_mul_f32_e64 v89, v91, -v88
.LBB80_849:
	s_or_b32 exec_lo, exec_lo, s1
.LBB80_850:
	s_delay_alu instid0(SALU_CYCLE_1)
	s_or_b32 exec_lo, exec_lo, s0
	v_mov_b32_e32 v92, 40
	s_mov_b32 s0, exec_lo
	v_cmpx_ne_u32_e64 v96, v90
	s_cbranch_execz .LBB80_856
; %bb.851:
	s_mov_b32 s1, exec_lo
	v_cmpx_eq_u32_e32 40, v96
	s_cbranch_execz .LBB80_855
; %bb.852:
	v_cmp_ne_u32_e32 vcc_lo, 40, v90
	s_xor_b32 s12, s16, -1
	s_delay_alu instid0(SALU_CYCLE_1) | instskip(NEXT) | instid1(SALU_CYCLE_1)
	s_and_b32 s13, s12, vcc_lo
	s_and_saveexec_b32 s12, s13
	s_cbranch_execz .LBB80_854
; %bb.853:
	v_ashrrev_i32_e32 v91, 31, v90
	s_delay_alu instid0(VALU_DEP_1)
	v_lshl_add_u64 v[92:93], v[90:91], 2, v[4:5]
	s_clause 0x1
	global_load_b32 v91, v[92:93], off
	global_load_b32 v95, v[4:5], off offset:160
	s_wait_loadcnt 0x1
	global_store_b32 v[4:5], v91, off offset:160
	s_wait_loadcnt 0x0
	global_store_b32 v[92:93], v95, off
.LBB80_854:
	s_wait_xcnt 0x0
	s_or_b32 exec_lo, exec_lo, s12
	v_dual_mov_b32 v96, v90 :: v_dual_mov_b32 v95, v90
.LBB80_855:
	s_or_b32 exec_lo, exec_lo, s1
	s_delay_alu instid0(VALU_DEP_1)
	v_mov_b32_e32 v92, v96
.LBB80_856:
	s_or_b32 exec_lo, exec_lo, s0
	s_delay_alu instid0(VALU_DEP_1)
	v_ashrrev_i32_e32 v93, 31, v92
	s_mov_b32 s0, exec_lo
	s_wait_storecnt 0x0
	s_barrier_signal -1
	s_barrier_wait -1
	s_barrier_signal -1
	s_barrier_wait -1
	v_cmpx_gt_i32_e32 41, v92
	s_cbranch_execz .LBB80_858
; %bb.857:
	v_mul_u64_e32 v[4:5], s[10:11], v[2:3]
	v_add3_u32 v90, v95, s17, 1
	s_delay_alu instid0(VALU_DEP_2) | instskip(NEXT) | instid1(VALU_DEP_1)
	v_lshl_add_u64 v[4:5], v[4:5], 2, s[6:7]
	v_lshl_add_u64 v[4:5], s[8:9], 2, v[4:5]
	s_delay_alu instid0(VALU_DEP_1)
	v_lshl_add_u64 v[4:5], v[92:93], 2, v[4:5]
	global_store_b32 v[4:5], v90, off
.LBB80_858:
	s_wait_xcnt 0x0
	s_or_b32 exec_lo, exec_lo, s0
	s_delay_alu instid0(SALU_CYCLE_1)
	s_mov_b32 s1, exec_lo
	v_cmpx_eq_u32_e32 0, v92
	s_cbranch_execz .LBB80_861
; %bb.859:
	s_wait_kmcnt 0x0
	v_lshl_add_u64 v[2:3], v[2:3], 2, s[4:5]
	v_cmp_ne_u32_e64 s0, 0, v94
	global_load_b32 v4, v[2:3], off
	s_wait_loadcnt 0x0
	v_cmp_eq_u32_e32 vcc_lo, 0, v4
	s_and_b32 s0, vcc_lo, s0
	s_wait_xcnt 0x0
	s_and_b32 exec_lo, exec_lo, s0
	s_cbranch_execz .LBB80_861
; %bb.860:
	v_add_nc_u32_e32 v4, s17, v94
	global_store_b32 v[2:3], v4, off
.LBB80_861:
	s_wait_xcnt 0x0
	s_or_b32 exec_lo, exec_lo, s1
	v_add3_u32 v4, s2, s2, v92
	v_pk_mul_f32 v[2:3], v[88:89], v[86:87] op_sel:[1,1] op_sel_hi:[0,1]
	v_cmp_lt_i32_e32 vcc_lo, 40, v92
	v_lshl_add_u64 v[92:93], v[92:93], 3, v[0:1]
	s_delay_alu instid0(VALU_DEP_4) | instskip(NEXT) | instid1(VALU_DEP_4)
	v_add_nc_u32_e32 v90, s2, v4
	v_pk_fma_f32 v[106:107], v[88:89], v[86:87], v[2:3] op_sel_hi:[1,0,1]
	v_pk_fma_f32 v[2:3], v[88:89], v[86:87], v[2:3] neg_lo:[0,0,1] neg_hi:[0,0,1]
	global_store_b64 v[92:93], v[84:85], off
	s_wait_xcnt 0x0
	v_lshl_add_u64 v[84:85], s[2:3], 3, v[92:93]
	v_dual_add_nc_u32 v94, s2, v90 :: v_dual_ashrrev_i32 v5, 31, v4
	v_dual_cndmask_b32 v2, v86, v2 :: v_dual_cndmask_b32 v3, v87, v107
	global_store_b64 v[84:85], v[82:83], off
	v_add_nc_u32_e32 v96, s2, v94
	v_ashrrev_i32_e32 v91, 31, v90
	v_lshl_add_u64 v[4:5], v[4:5], 3, v[0:1]
	s_delay_alu instid0(VALU_DEP_3) | instskip(SKIP_1) | instid1(VALU_DEP_3)
	v_add_nc_u32_e32 v98, s2, v96
	s_wait_xcnt 0x0
	v_lshl_add_u64 v[84:85], v[90:91], 3, v[0:1]
	s_clause 0x1
	global_store_b64 v[4:5], v[80:81], off
	global_store_b64 v[84:85], v[78:79], off
	v_dual_add_nc_u32 v100, s2, v98 :: v_dual_ashrrev_i32 v99, 31, v98
	v_ashrrev_i32_e32 v97, 31, v96
	s_delay_alu instid0(VALU_DEP_2) | instskip(SKIP_1) | instid1(VALU_DEP_2)
	v_add_nc_u32_e32 v102, s2, v100
	s_wait_xcnt 0x0
	v_lshl_add_u64 v[84:85], v[96:97], 3, v[0:1]
	s_delay_alu instid0(VALU_DEP_2) | instskip(NEXT) | instid1(VALU_DEP_1)
	v_add_nc_u32_e32 v104, s2, v102
	v_dual_add_nc_u32 v88, s2, v104 :: v_dual_ashrrev_i32 v103, 31, v102
	v_ashrrev_i32_e32 v101, 31, v100
	s_delay_alu instid0(VALU_DEP_2) | instskip(NEXT) | instid1(VALU_DEP_2)
	v_dual_add_nc_u32 v86, s2, v88 :: v_dual_ashrrev_i32 v89, 31, v88
	v_lshl_add_u64 v[96:97], v[100:101], 3, v[0:1]
	s_delay_alu instid0(VALU_DEP_2) | instskip(NEXT) | instid1(VALU_DEP_1)
	v_dual_ashrrev_i32 v105, 31, v104 :: v_dual_add_nc_u32 v106, s2, v86
	v_add_nc_u32_e32 v92, s2, v106
	s_delay_alu instid0(VALU_DEP_1) | instskip(NEXT) | instid1(VALU_DEP_1)
	v_dual_add_nc_u32 v82, s2, v92 :: v_dual_ashrrev_i32 v93, 31, v92
	v_add_nc_u32_e32 v90, s2, v82
	s_delay_alu instid0(VALU_DEP_1) | instskip(SKIP_2) | instid1(VALU_DEP_3)
	v_add_nc_u32_e32 v4, s2, v90
	v_ashrrev_i32_e32 v95, 31, v94
	v_ashrrev_i32_e32 v83, 31, v82
	v_dual_ashrrev_i32 v91, 31, v90 :: v_dual_add_nc_u32 v78, s2, v4
	s_delay_alu instid0(VALU_DEP_3)
	v_lshl_add_u64 v[80:81], v[94:95], 3, v[0:1]
	v_lshl_add_u64 v[94:95], v[98:99], 3, v[0:1]
	s_clause 0x3
	global_store_b64 v[80:81], v[26:27], off
	global_store_b64 v[84:85], v[20:21], off
	;; [unrolled: 1-line block ×4, first 2 shown]
	v_add_nc_u32_e32 v98, s2, v78
	s_wait_xcnt 0x1
	v_lshl_add_u64 v[24:25], v[102:103], 3, v[0:1]
	v_lshl_add_u64 v[26:27], v[104:105], 3, v[0:1]
	;; [unrolled: 1-line block ×3, first 2 shown]
	s_wait_xcnt 0x0
	v_dual_ashrrev_i32 v5, 31, v4 :: v_dual_add_nc_u32 v18, s2, v98
	v_ashrrev_i32_e32 v99, 31, v98
	s_delay_alu instid0(VALU_DEP_2) | instskip(NEXT) | instid1(VALU_DEP_3)
	v_lshl_add_u64 v[4:5], v[4:5], 3, v[0:1]
	v_add_nc_u32_e32 v20, s2, v18
	v_ashrrev_i32_e32 v87, 31, v86
	s_delay_alu instid0(VALU_DEP_2) | instskip(NEXT) | instid1(VALU_DEP_2)
	v_dual_ashrrev_i32 v19, 31, v18 :: v_dual_ashrrev_i32 v21, 31, v20
	v_lshl_add_u64 v[84:85], v[86:87], 3, v[0:1]
	v_add_nc_u32_e32 v86, s2, v20
	s_clause 0x3
	global_store_b64 v[24:25], v[34:35], off
	global_store_b64 v[26:27], v[30:31], off
	;; [unrolled: 1-line block ×4, first 2 shown]
	s_wait_xcnt 0x2
	v_lshl_add_u64 v[30:31], v[92:93], 3, v[0:1]
	s_wait_xcnt 0x1
	v_lshl_add_u64 v[32:33], v[82:83], 3, v[0:1]
	v_lshl_add_u64 v[34:35], v[90:91], 3, v[0:1]
	v_add_nc_u32_e32 v24, s2, v86
	v_ashrrev_i32_e32 v107, 31, v106
	v_lshl_add_u64 v[18:19], v[18:19], 3, v[0:1]
	v_ashrrev_i32_e32 v87, 31, v86
	v_lshl_add_u64 v[20:21], v[20:21], 3, v[0:1]
	v_add_nc_u32_e32 v26, s2, v24
	s_wait_xcnt 0x0
	v_lshl_add_u64 v[28:29], v[106:107], 3, v[0:1]
	s_clause 0x3
	global_store_b64 v[28:29], v[76:77], off
	global_store_b64 v[30:31], v[72:73], off
	;; [unrolled: 1-line block ×4, first 2 shown]
	v_add_nc_u32_e32 v80, s2, v26
	s_wait_xcnt 0x0
	v_lshl_add_u64 v[34:35], v[98:99], 3, v[0:1]
	s_delay_alu instid0(VALU_DEP_2) | instskip(SKIP_2) | instid1(VALU_DEP_3)
	v_dual_ashrrev_i32 v27, 31, v26 :: v_dual_add_nc_u32 v28, s2, v80
	v_dual_ashrrev_i32 v79, 31, v78 :: v_dual_ashrrev_i32 v25, 31, v24
	v_ashrrev_i32_e32 v81, 31, v80
	v_lshl_add_u64 v[26:27], v[26:27], 3, v[0:1]
	s_delay_alu instid0(VALU_DEP_4) | instskip(NEXT) | instid1(VALU_DEP_4)
	v_add_nc_u32_e32 v30, s2, v28
	v_lshl_add_u64 v[32:33], v[78:79], 3, v[0:1]
	s_clause 0x3
	global_store_b64 v[4:5], v[68:69], off
	global_store_b64 v[32:33], v[64:65], off
	;; [unrolled: 1-line block ×4, first 2 shown]
	v_dual_add_nc_u32 v70, s2, v30 :: v_dual_ashrrev_i32 v29, 31, v28
	s_wait_xcnt 0x2
	v_lshl_add_u64 v[32:33], v[86:87], 3, v[0:1]
	v_lshl_add_u64 v[24:25], v[24:25], 3, v[0:1]
	s_clause 0x3
	global_store_b64 v[20:21], v[60:61], off
	global_store_b64 v[32:33], v[56:57], off
	;; [unrolled: 1-line block ×4, first 2 shown]
	v_dual_add_nc_u32 v4, s2, v70 :: v_dual_ashrrev_i32 v71, 31, v70
	s_wait_xcnt 0x0
	v_lshl_add_u64 v[26:27], v[80:81], 3, v[0:1]
	v_lshl_add_u64 v[28:29], v[28:29], 3, v[0:1]
	s_delay_alu instid0(VALU_DEP_3) | instskip(SKIP_1) | instid1(VALU_DEP_2)
	v_dual_add_nc_u32 v18, s2, v4 :: v_dual_ashrrev_i32 v5, 31, v4
	v_lshl_add_u64 v[32:33], v[70:71], 3, v[0:1]
	v_add_nc_u32_e32 v34, s2, v18
	s_delay_alu instid0(VALU_DEP_3) | instskip(NEXT) | instid1(VALU_DEP_2)
	v_lshl_add_u64 v[4:5], v[4:5], 3, v[0:1]
	v_add_nc_u32_e32 v20, s2, v34
	s_delay_alu instid0(VALU_DEP_1) | instskip(SKIP_1) | instid1(VALU_DEP_2)
	v_dual_ashrrev_i32 v31, 31, v30 :: v_dual_ashrrev_i32 v21, 31, v20
	v_add_nc_u32_e32 v24, s2, v20
	v_lshl_add_u64 v[30:31], v[30:31], 3, v[0:1]
	s_clause 0x3
	global_store_b64 v[26:27], v[52:53], off
	global_store_b64 v[28:29], v[48:49], off
	;; [unrolled: 1-line block ×4, first 2 shown]
	v_dual_add_nc_u32 v54, s2, v24 :: v_dual_ashrrev_i32 v19, 31, v18
	v_ashrrev_i32_e32 v25, 31, v24
	v_lshl_add_u64 v[20:21], v[20:21], 3, v[0:1]
	s_wait_xcnt 0x3
	s_delay_alu instid0(VALU_DEP_3) | instskip(SKIP_2) | instid1(VALU_DEP_2)
	v_add_nc_u32_e32 v26, s2, v54
	v_lshl_add_u64 v[18:19], v[18:19], 3, v[0:1]
	s_wait_xcnt 0x2
	v_add_nc_u32_e32 v28, s2, v26
	s_delay_alu instid0(VALU_DEP_1) | instskip(SKIP_2) | instid1(VALU_DEP_2)
	v_dual_ashrrev_i32 v35, 31, v34 :: v_dual_ashrrev_i32 v29, 31, v28
	s_wait_xcnt 0x0
	v_add_nc_u32_e32 v32, s2, v28
	v_lshl_add_u64 v[30:31], v[34:35], 3, v[0:1]
	s_clause 0x3
	global_store_b64 v[4:5], v[42:43], off
	global_store_b64 v[18:19], v[38:39], off
	;; [unrolled: 1-line block ×4, first 2 shown]
	s_wait_xcnt 0x3
	v_dual_add_nc_u32 v4, s2, v32 :: v_dual_ashrrev_i32 v55, 31, v54
	v_ashrrev_i32_e32 v27, 31, v26
	s_wait_xcnt 0x0
	v_lshl_add_u64 v[20:21], v[24:25], 3, v[0:1]
	v_lshl_add_u64 v[28:29], v[28:29], 3, v[0:1]
	v_add_nc_u32_e32 v18, s2, v4
	v_lshl_add_u64 v[24:25], v[54:55], 3, v[0:1]
	v_lshl_add_u64 v[26:27], v[26:27], 3, v[0:1]
	s_clause 0x3
	global_store_b64 v[20:21], v[14:15], off
	global_store_b64 v[24:25], v[10:11], off
	;; [unrolled: 1-line block ×4, first 2 shown]
	v_dual_add_nc_u32 v30, s2, v18 :: v_dual_ashrrev_i32 v33, 31, v32
	s_wait_xcnt 0x0
	s_delay_alu instid0(VALU_DEP_1) | instskip(SKIP_3) | instid1(VALU_DEP_4)
	v_dual_ashrrev_i32 v5, 31, v4 :: v_dual_add_nc_u32 v8, s2, v30
	v_ashrrev_i32_e32 v19, 31, v18
	v_ashrrev_i32_e32 v31, 31, v30
	v_lshl_add_u64 v[10:11], v[32:33], 3, v[0:1]
	v_lshl_add_u64 v[4:5], v[4:5], 3, v[0:1]
	v_ashrrev_i32_e32 v9, 31, v8
	v_lshl_add_u64 v[12:13], v[18:19], 3, v[0:1]
	v_lshl_add_u64 v[14:15], v[30:31], 3, v[0:1]
	s_delay_alu instid0(VALU_DEP_3)
	v_lshl_add_u64 v[0:1], v[8:9], 3, v[0:1]
	s_clause 0x4
	global_store_b64 v[10:11], v[6:7], off
	global_store_b64 v[4:5], v[44:45], off
	;; [unrolled: 1-line block ×5, first 2 shown]
.LBB80_862:
	s_sendmsg sendmsg(MSG_DEALLOC_VGPRS)
	s_endpgm
	.section	.rodata,"a",@progbits
	.p2align	6, 0x0
	.amdhsa_kernel _ZN9rocsolver6v33100L18getf2_small_kernelILi41E19rocblas_complex_numIfEiiPS3_EEvT1_T3_lS5_lPS5_llPT2_S5_S5_S7_l
		.amdhsa_group_segment_fixed_size 0
		.amdhsa_private_segment_fixed_size 0
		.amdhsa_kernarg_size 352
		.amdhsa_user_sgpr_count 2
		.amdhsa_user_sgpr_dispatch_ptr 0
		.amdhsa_user_sgpr_queue_ptr 0
		.amdhsa_user_sgpr_kernarg_segment_ptr 1
		.amdhsa_user_sgpr_dispatch_id 0
		.amdhsa_user_sgpr_kernarg_preload_length 0
		.amdhsa_user_sgpr_kernarg_preload_offset 0
		.amdhsa_user_sgpr_private_segment_size 0
		.amdhsa_wavefront_size32 1
		.amdhsa_uses_dynamic_stack 0
		.amdhsa_enable_private_segment 0
		.amdhsa_system_sgpr_workgroup_id_x 1
		.amdhsa_system_sgpr_workgroup_id_y 1
		.amdhsa_system_sgpr_workgroup_id_z 0
		.amdhsa_system_sgpr_workgroup_info 0
		.amdhsa_system_vgpr_workitem_id 1
		.amdhsa_next_free_vgpr 112
		.amdhsa_next_free_sgpr 19
		.amdhsa_named_barrier_count 0
		.amdhsa_reserve_vcc 1
		.amdhsa_float_round_mode_32 0
		.amdhsa_float_round_mode_16_64 0
		.amdhsa_float_denorm_mode_32 3
		.amdhsa_float_denorm_mode_16_64 3
		.amdhsa_fp16_overflow 0
		.amdhsa_memory_ordered 1
		.amdhsa_forward_progress 1
		.amdhsa_inst_pref_size 255
		.amdhsa_round_robin_scheduling 0
		.amdhsa_exception_fp_ieee_invalid_op 0
		.amdhsa_exception_fp_denorm_src 0
		.amdhsa_exception_fp_ieee_div_zero 0
		.amdhsa_exception_fp_ieee_overflow 0
		.amdhsa_exception_fp_ieee_underflow 0
		.amdhsa_exception_fp_ieee_inexact 0
		.amdhsa_exception_int_div_zero 0
	.end_amdhsa_kernel
	.section	.text._ZN9rocsolver6v33100L18getf2_small_kernelILi41E19rocblas_complex_numIfEiiPS3_EEvT1_T3_lS5_lPS5_llPT2_S5_S5_S7_l,"axG",@progbits,_ZN9rocsolver6v33100L18getf2_small_kernelILi41E19rocblas_complex_numIfEiiPS3_EEvT1_T3_lS5_lPS5_llPT2_S5_S5_S7_l,comdat
.Lfunc_end80:
	.size	_ZN9rocsolver6v33100L18getf2_small_kernelILi41E19rocblas_complex_numIfEiiPS3_EEvT1_T3_lS5_lPS5_llPT2_S5_S5_S7_l, .Lfunc_end80-_ZN9rocsolver6v33100L18getf2_small_kernelILi41E19rocblas_complex_numIfEiiPS3_EEvT1_T3_lS5_lPS5_llPT2_S5_S5_S7_l
                                        ; -- End function
	.set _ZN9rocsolver6v33100L18getf2_small_kernelILi41E19rocblas_complex_numIfEiiPS3_EEvT1_T3_lS5_lPS5_llPT2_S5_S5_S7_l.num_vgpr, 112
	.set _ZN9rocsolver6v33100L18getf2_small_kernelILi41E19rocblas_complex_numIfEiiPS3_EEvT1_T3_lS5_lPS5_llPT2_S5_S5_S7_l.num_agpr, 0
	.set _ZN9rocsolver6v33100L18getf2_small_kernelILi41E19rocblas_complex_numIfEiiPS3_EEvT1_T3_lS5_lPS5_llPT2_S5_S5_S7_l.numbered_sgpr, 19
	.set _ZN9rocsolver6v33100L18getf2_small_kernelILi41E19rocblas_complex_numIfEiiPS3_EEvT1_T3_lS5_lPS5_llPT2_S5_S5_S7_l.num_named_barrier, 0
	.set _ZN9rocsolver6v33100L18getf2_small_kernelILi41E19rocblas_complex_numIfEiiPS3_EEvT1_T3_lS5_lPS5_llPT2_S5_S5_S7_l.private_seg_size, 0
	.set _ZN9rocsolver6v33100L18getf2_small_kernelILi41E19rocblas_complex_numIfEiiPS3_EEvT1_T3_lS5_lPS5_llPT2_S5_S5_S7_l.uses_vcc, 1
	.set _ZN9rocsolver6v33100L18getf2_small_kernelILi41E19rocblas_complex_numIfEiiPS3_EEvT1_T3_lS5_lPS5_llPT2_S5_S5_S7_l.uses_flat_scratch, 0
	.set _ZN9rocsolver6v33100L18getf2_small_kernelILi41E19rocblas_complex_numIfEiiPS3_EEvT1_T3_lS5_lPS5_llPT2_S5_S5_S7_l.has_dyn_sized_stack, 0
	.set _ZN9rocsolver6v33100L18getf2_small_kernelILi41E19rocblas_complex_numIfEiiPS3_EEvT1_T3_lS5_lPS5_llPT2_S5_S5_S7_l.has_recursion, 0
	.set _ZN9rocsolver6v33100L18getf2_small_kernelILi41E19rocblas_complex_numIfEiiPS3_EEvT1_T3_lS5_lPS5_llPT2_S5_S5_S7_l.has_indirect_call, 0
	.section	.AMDGPU.csdata,"",@progbits
; Kernel info:
; codeLenInByte = 88788
; TotalNumSgprs: 21
; NumVgprs: 112
; ScratchSize: 0
; MemoryBound: 0
; FloatMode: 240
; IeeeMode: 1
; LDSByteSize: 0 bytes/workgroup (compile time only)
; SGPRBlocks: 0
; VGPRBlocks: 6
; NumSGPRsForWavesPerEU: 21
; NumVGPRsForWavesPerEU: 112
; NamedBarCnt: 0
; Occupancy: 9
; WaveLimiterHint : 0
; COMPUTE_PGM_RSRC2:SCRATCH_EN: 0
; COMPUTE_PGM_RSRC2:USER_SGPR: 2
; COMPUTE_PGM_RSRC2:TRAP_HANDLER: 0
; COMPUTE_PGM_RSRC2:TGID_X_EN: 1
; COMPUTE_PGM_RSRC2:TGID_Y_EN: 1
; COMPUTE_PGM_RSRC2:TGID_Z_EN: 0
; COMPUTE_PGM_RSRC2:TIDIG_COMP_CNT: 1
	.section	.text._ZN9rocsolver6v33100L23getf2_npvt_small_kernelILi41E19rocblas_complex_numIfEiiPS3_EEvT1_T3_lS5_lPT2_S5_S5_,"axG",@progbits,_ZN9rocsolver6v33100L23getf2_npvt_small_kernelILi41E19rocblas_complex_numIfEiiPS3_EEvT1_T3_lS5_lPT2_S5_S5_,comdat
	.globl	_ZN9rocsolver6v33100L23getf2_npvt_small_kernelILi41E19rocblas_complex_numIfEiiPS3_EEvT1_T3_lS5_lPT2_S5_S5_ ; -- Begin function _ZN9rocsolver6v33100L23getf2_npvt_small_kernelILi41E19rocblas_complex_numIfEiiPS3_EEvT1_T3_lS5_lPT2_S5_S5_
	.p2align	8
	.type	_ZN9rocsolver6v33100L23getf2_npvt_small_kernelILi41E19rocblas_complex_numIfEiiPS3_EEvT1_T3_lS5_lPT2_S5_S5_,@function
_ZN9rocsolver6v33100L23getf2_npvt_small_kernelILi41E19rocblas_complex_numIfEiiPS3_EEvT1_T3_lS5_lPT2_S5_S5_: ; @_ZN9rocsolver6v33100L23getf2_npvt_small_kernelILi41E19rocblas_complex_numIfEiiPS3_EEvT1_T3_lS5_lPT2_S5_S5_
; %bb.0:
	s_clause 0x1
	s_load_u16 s14, s[0:1], 0x46
	s_load_b64 s[2:3], s[0:1], 0x30
	s_bfe_u32 s4, ttmp6, 0x40010
	s_bfe_u32 s5, ttmp6, 0x40004
	s_add_co_i32 s4, s4, 1
	s_getreg_b32 s6, hwreg(HW_REG_IB_STS2, 6, 4)
	s_mul_i32 s4, ttmp7, s4
	v_bfe_u32 v166, v0, 10, 10
	s_add_co_i32 s5, s5, s4
	s_cmp_eq_u32 s6, 0
	s_cselect_b32 s4, ttmp7, s5
	s_wait_kmcnt 0x0
	v_mad_u32 v2, s4, s14, v166
	s_delay_alu instid0(VALU_DEP_1)
	v_cmp_gt_i32_e32 vcc_lo, s2, v2
	s_and_saveexec_b32 s2, vcc_lo
	s_cbranch_execz .LBB81_372
; %bb.1:
	s_clause 0x1
	s_load_b32 s12, s[0:1], 0x18
	s_load_b128 s[8:11], s[0:1], 0x8
	v_and_b32_e32 v248, 0x3ff, v0
	s_load_b128 s[4:7], s[0:1], 0x20
	s_mulk_i32 s14, 0x148
	v_mad_u32_u24 v250, 0x148, v166, 0
	v_ashrrev_i32_e32 v3, 31, v2
	s_wait_xcnt 0x0
	v_cmp_ne_u32_e64 s1, 0, v248
	v_cmp_eq_u32_e64 s0, 0, v248
	v_mov_b32_e32 v15, 0
	s_wait_kmcnt 0x0
	v_add3_u32 v6, s12, s12, v248
	s_ashr_i32 s13, s12, 31
	v_mul_u64_e32 v[12:13], s[4:5], v[2:3]
	s_delay_alu instid0(VALU_DEP_2) | instskip(NEXT) | instid1(VALU_DEP_1)
	v_dual_add_nc_u32 v0, s12, v6 :: v_dual_ashrrev_i32 v7, 31, v6
	v_add_nc_u32_e32 v4, s12, v0
	s_delay_alu instid0(VALU_DEP_1) | instskip(NEXT) | instid1(VALU_DEP_1)
	v_add_nc_u32_e32 v8, s12, v4
	v_add_nc_u32_e32 v10, s12, v8
	s_delay_alu instid0(VALU_DEP_1) | instskip(NEXT) | instid1(VALU_DEP_1)
	v_dual_add_nc_u32 v22, s12, v10 :: v_dual_ashrrev_i32 v5, 31, v4
	v_dual_ashrrev_i32 v23, 31, v22 :: v_dual_add_nc_u32 v28, s12, v22
	v_dual_ashrrev_i32 v1, 31, v0 :: v_dual_ashrrev_i32 v11, 31, v10
	v_lshl_add_u64 v[12:13], v[12:13], 3, s[8:9]
	s_delay_alu instid0(VALU_DEP_3) | instskip(NEXT) | instid1(VALU_DEP_2)
	v_add_nc_u32_e32 v16, s12, v28
	v_lshl_add_u64 v[134:135], s[10:11], 3, v[12:13]
	s_delay_alu instid0(VALU_DEP_2) | instskip(NEXT) | instid1(VALU_DEP_2)
	v_add_nc_u32_e32 v20, s12, v16
	v_lshl_add_u64 v[12:13], v[0:1], 3, v[134:135]
	s_delay_alu instid0(VALU_DEP_2) | instskip(SKIP_1) | instid1(VALU_DEP_2)
	v_add_nc_u32_e32 v24, s12, v20
	v_lshl_add_u64 v[6:7], v[6:7], 3, v[134:135]
	v_add_nc_u32_e32 v26, s12, v24
	s_delay_alu instid0(VALU_DEP_1) | instskip(SKIP_1) | instid1(VALU_DEP_2)
	v_dual_ashrrev_i32 v17, 31, v16 :: v_dual_ashrrev_i32 v27, 31, v26
	v_add_nc_u32_e32 v30, s12, v26
	v_lshl_add_u64 v[16:17], v[16:17], 3, v[134:135]
	s_delay_alu instid0(VALU_DEP_3) | instskip(NEXT) | instid1(VALU_DEP_3)
	v_lshl_add_u64 v[26:27], v[26:27], 3, v[134:135]
	v_dual_add_nc_u32 v36, s12, v30 :: v_dual_ashrrev_i32 v31, 31, v30
	s_delay_alu instid0(VALU_DEP_1) | instskip(SKIP_1) | instid1(VALU_DEP_3)
	v_add_nc_u32_e32 v38, s12, v36
	v_lshlrev_b32_e32 v14, 3, v248
	v_lshl_add_u64 v[30:31], v[30:31], 3, v[134:135]
	s_delay_alu instid0(VALU_DEP_3) | instskip(NEXT) | instid1(VALU_DEP_3)
	v_add_nc_u32_e32 v40, s12, v38
	v_add_nc_u64_e32 v[18:19], v[134:135], v[14:15]
	v_lshl_add_u64 v[14:15], v[4:5], 3, v[134:135]
	v_lshl_add_u64 v[4:5], v[10:11], 3, v[134:135]
	s_delay_alu instid0(VALU_DEP_4)
	v_dual_ashrrev_i32 v39, 31, v38 :: v_dual_add_nc_u32 v46, s12, v40
	v_ashrrev_i32_e32 v9, 31, v8
	scratch_store_b64 off, v[4:5], off offset:8 ; 8-byte Folded Spill
	v_lshl_add_u64 v[38:39], v[38:39], 3, v[134:135]
	v_add_nc_u32_e32 v48, s12, v46
	v_lshl_add_u64 v[0:1], v[8:9], 3, v[134:135]
	v_lshl_add_u64 v[8:9], v[22:23], 3, v[134:135]
	global_load_b64 v[22:23], v[14:15], off
	v_add_nc_u32_e32 v50, s12, v48
	v_ashrrev_i32_e32 v37, 31, v36
	scratch_store_b64 off, v[0:1], off      ; 8-byte Folded Spill
	s_clause 0x2
	global_load_b64 v[58:59], v[0:1], off
	global_load_b64 v[60:61], v[4:5], off
	;; [unrolled: 1-line block ×3, first 2 shown]
	v_dual_add_nc_u32 v52, s12, v50 :: v_dual_ashrrev_i32 v51, 31, v50
	v_lshl_add_u64 v[36:37], v[36:37], 3, v[134:135]
	s_wait_xcnt 0x2
	v_lshlrev_b32_e32 v0, 3, v166
	s_delay_alu instid0(VALU_DEP_3)
	v_dual_ashrrev_i32 v47, 31, v46 :: v_dual_add_nc_u32 v62, s12, v52
	v_ashrrev_i32_e32 v29, 31, v28
	v_ashrrev_i32_e32 v41, 31, v40
	v_lshl_add_u64 v[50:51], v[50:51], 3, v[134:135]
	v_add3_u32 v249, 0, s14, v0
	v_dual_add_nc_u32 v64, s12, v62 :: v_dual_ashrrev_i32 v63, 31, v62
	v_lshl_add_u64 v[10:11], v[28:29], 3, v[134:135]
	v_lshl_add_u64 v[40:41], v[40:41], 3, v[134:135]
	;; [unrolled: 1-line block ×3, first 2 shown]
	s_delay_alu instid0(VALU_DEP_4)
	v_add_nc_u32_e32 v66, s12, v64
	v_ashrrev_i32_e32 v21, 31, v20
	v_ashrrev_i32_e32 v49, 31, v48
	v_lshl_add_u64 v[46:47], v[46:47], 3, v[134:135]
	v_lshl_add_u64 v[62:63], v[62:63], 3, v[134:135]
	v_dual_add_nc_u32 v68, s12, v66 :: v_dual_ashrrev_i32 v67, 31, v66
	v_lshl_add_u64 v[20:21], v[20:21], 3, v[134:135]
	v_lshl_add_u64 v[48:49], v[48:49], 3, v[134:135]
	s_clause 0x3
	global_load_b64 v[42:43], v[18:19], off
	global_load_b64 v[44:45], v[28:29], off
	;; [unrolled: 1-line block ×4, first 2 shown]
	v_add_nc_u32_e32 v78, s12, v68
	v_ashrrev_i32_e32 v25, 31, v24
	v_lshl_add_u64 v[66:67], v[66:67], 3, v[134:135]
	s_delay_alu instid0(VALU_DEP_3) | instskip(NEXT) | instid1(VALU_DEP_3)
	v_add_nc_u32_e32 v80, s12, v78
	v_lshl_add_u64 v[24:25], v[24:25], 3, v[134:135]
	s_clause 0x7
	global_load_b64 v[74:75], v[10:11], off
	global_load_b64 v[72:73], v[16:17], off
	;; [unrolled: 1-line block ×8, first 2 shown]
	v_add_nc_u32_e32 v82, s12, v80
	s_clause 0x3
	global_load_b64 v[118:119], v[40:41], off
	global_load_b64 v[86:87], v[46:47], off
	global_load_b64 v[116:117], v[48:49], off
	global_load_b64 v[114:115], v[50:51], off
	v_dual_add_nc_u32 v84, s12, v82 :: v_dual_ashrrev_i32 v53, 31, v52
	s_delay_alu instid0(VALU_DEP_1) | instskip(NEXT) | instid1(VALU_DEP_2)
	v_dual_ashrrev_i32 v79, 31, v78 :: v_dual_add_nc_u32 v104, s12, v84
	v_lshl_add_u64 v[52:53], v[52:53], 3, v[134:135]
	s_delay_alu instid0(VALU_DEP_2) | instskip(NEXT) | instid1(VALU_DEP_3)
	v_lshl_add_u64 v[78:79], v[78:79], 3, v[134:135]
	v_add_nc_u32_e32 v106, s12, v104
	s_delay_alu instid0(VALU_DEP_1) | instskip(SKIP_1) | instid1(VALU_DEP_2)
	v_add_nc_u32_e32 v108, s12, v106
	v_dual_ashrrev_i32 v83, 31, v82 :: v_dual_ashrrev_i32 v69, 31, v68
	v_dual_ashrrev_i32 v107, 31, v106 :: v_dual_add_nc_u32 v110, s12, v108
	v_ashrrev_i32_e32 v109, 31, v108
	s_delay_alu instid0(VALU_DEP_3) | instskip(NEXT) | instid1(VALU_DEP_3)
	v_lshl_add_u64 v[68:69], v[68:69], 3, v[134:135]
	v_lshl_add_u64 v[106:107], v[106:107], 3, v[134:135]
	;; [unrolled: 1-line block ×3, first 2 shown]
	v_add_nc_u32_e32 v120, s12, v110
	v_lshl_add_u64 v[108:109], v[108:109], 3, v[134:135]
	s_delay_alu instid0(VALU_DEP_2) | instskip(SKIP_2) | instid1(VALU_DEP_3)
	v_dual_ashrrev_i32 v111, 31, v110 :: v_dual_add_nc_u32 v122, s12, v120
	v_ashrrev_i32_e32 v65, 31, v64
	v_ashrrev_i32_e32 v85, 31, v84
	v_lshl_add_u64 v[110:111], v[110:111], 3, v[134:135]
	s_delay_alu instid0(VALU_DEP_4) | instskip(NEXT) | instid1(VALU_DEP_3)
	v_dual_add_nc_u32 v124, s12, v122 :: v_dual_ashrrev_i32 v123, 31, v122
	v_lshl_add_u64 v[84:85], v[84:85], 3, v[134:135]
	v_lshl_add_u64 v[64:65], v[64:65], 3, v[134:135]
	s_clause 0x3
	global_load_b64 v[146:147], v[52:53], off
	global_load_b64 v[112:113], v[62:63], off
	;; [unrolled: 1-line block ×4, first 2 shown]
	v_dual_add_nc_u32 v136, s12, v124 :: v_dual_ashrrev_i32 v125, 31, v124
	v_lshl_add_u64 v[122:123], v[122:123], 3, v[134:135]
	s_delay_alu instid0(VALU_DEP_2) | instskip(SKIP_3) | instid1(VALU_DEP_4)
	v_dual_add_nc_u32 v138, s12, v136 :: v_dual_ashrrev_i32 v137, 31, v136
	v_ashrrev_i32_e32 v81, 31, v80
	v_ashrrev_i32_e32 v121, 31, v120
	v_lshl_add_u64 v[124:125], v[124:125], 3, v[134:135]
	v_dual_add_nc_u32 v140, s12, v138 :: v_dual_ashrrev_i32 v139, 31, v138
	s_delay_alu instid0(VALU_DEP_4) | instskip(NEXT) | instid1(VALU_DEP_4)
	v_lshl_add_u64 v[80:81], v[80:81], 3, v[134:135]
	v_lshl_add_u64 v[120:121], v[120:121], 3, v[134:135]
	;; [unrolled: 1-line block ×3, first 2 shown]
	s_delay_alu instid0(VALU_DEP_4)
	v_dual_add_nc_u32 v142, s12, v140 :: v_dual_ashrrev_i32 v141, 31, v140
	v_ashrrev_i32_e32 v105, 31, v104
	s_clause 0x3
	global_load_b64 v[102:103], v[68:69], off
	global_load_b64 v[98:99], v[78:79], off
	;; [unrolled: 1-line block ×4, first 2 shown]
	v_lshl_add_u64 v[138:139], v[138:139], 3, v[134:135]
	v_dual_add_nc_u32 v148, s12, v142 :: v_dual_ashrrev_i32 v143, 31, v142
	v_lshl_add_u64 v[104:105], v[104:105], 3, v[134:135]
	s_clause 0x3
	global_load_b64 v[132:133], v[84:85], off
	global_load_b64 v[128:129], v[104:105], off
	;; [unrolled: 1-line block ×4, first 2 shown]
	v_ashrrev_i32_e32 v149, 31, v148
	v_lshl_add_u64 v[140:141], v[140:141], 3, v[134:135]
	v_lshl_add_u64 v[142:143], v[142:143], 3, v[134:135]
	s_delay_alu instid0(VALU_DEP_3)
	v_lshl_add_u64 v[134:135], v[148:149], 3, v[134:135]
	s_clause 0x8
	global_load_b64 v[160:161], v[110:111], off
	global_load_b64 v[152:153], v[120:121], off
	;; [unrolled: 1-line block ×9, first 2 shown]
	s_wait_xcnt 0x0
	s_and_saveexec_b32 s4, s0
	s_cbranch_execz .LBB81_8
; %bb.2:
	s_wait_loadcnt 0x24
	ds_store_b64 v249, v[42:43]
	s_wait_loadcnt 0x22
	ds_store_2addr_b64 v250, v[44:45], v[34:35] offset0:1 offset1:2
	s_wait_loadcnt 0x21
	ds_store_2addr_b64 v250, v[32:33], v[22:23] offset0:3 offset1:4
	ds_store_2addr_b64 v250, v[58:59], v[60:61] offset0:5 offset1:6
	s_wait_loadcnt 0x20
	ds_store_2addr_b64 v250, v[56:57], v[74:75] offset0:7 offset1:8
	s_wait_loadcnt 0x1e
	;; [unrolled: 2-line block ×17, first 2 shown]
	ds_store_2addr_b64 v250, v[162:163], v[164:165] offset0:39 offset1:40
	ds_load_b64 v[166:167], v249
	s_wait_dscnt 0x0
	v_cmp_neq_f32_e32 vcc_lo, 0, v166
	v_cmp_neq_f32_e64 s2, 0, v167
	s_or_b32 s2, vcc_lo, s2
	s_delay_alu instid0(SALU_CYCLE_1)
	s_and_b32 exec_lo, exec_lo, s2
	s_cbranch_execz .LBB81_8
; %bb.3:
	v_cmp_ngt_f32_e64 s2, |v166|, |v167|
                                        ; implicit-def: $vgpr168_vgpr169
	s_and_saveexec_b32 s5, s2
	s_delay_alu instid0(SALU_CYCLE_1)
	s_xor_b32 s2, exec_lo, s5
	s_cbranch_execz .LBB81_5
; %bb.4:
	v_div_scale_f32 v0, null, v167, v167, v166
	v_div_scale_f32 v5, vcc_lo, v166, v167, v166
	s_delay_alu instid0(VALU_DEP_2) | instskip(SKIP_1) | instid1(TRANS32_DEP_1)
	v_rcp_f32_e32 v1, v0
	v_nop
	v_fma_f32 v4, -v0, v1, 1.0
	s_delay_alu instid0(VALU_DEP_1) | instskip(NEXT) | instid1(VALU_DEP_1)
	v_fmac_f32_e32 v1, v4, v1
	v_mul_f32_e32 v4, v5, v1
	s_delay_alu instid0(VALU_DEP_1) | instskip(NEXT) | instid1(VALU_DEP_1)
	v_fma_f32 v168, -v0, v4, v5
	v_fmac_f32_e32 v4, v168, v1
	s_delay_alu instid0(VALU_DEP_1) | instskip(NEXT) | instid1(VALU_DEP_1)
	v_fma_f32 v0, -v0, v4, v5
	v_div_fmas_f32 v0, v0, v1, v4
	s_delay_alu instid0(VALU_DEP_1) | instskip(NEXT) | instid1(VALU_DEP_1)
	v_div_fixup_f32 v0, v0, v167, v166
	v_fmac_f32_e32 v167, v166, v0
	s_delay_alu instid0(VALU_DEP_1) | instskip(SKIP_1) | instid1(VALU_DEP_2)
	v_div_scale_f32 v1, null, v167, v167, 1.0
	v_div_scale_f32 v166, vcc_lo, 1.0, v167, 1.0
	v_rcp_f32_e32 v4, v1
	v_nop
	s_delay_alu instid0(TRANS32_DEP_1) | instskip(NEXT) | instid1(VALU_DEP_1)
	v_fma_f32 v5, -v1, v4, 1.0
	v_fmac_f32_e32 v4, v5, v4
	s_delay_alu instid0(VALU_DEP_1) | instskip(NEXT) | instid1(VALU_DEP_1)
	v_mul_f32_e32 v5, v166, v4
	v_fma_f32 v168, -v1, v5, v166
	s_delay_alu instid0(VALU_DEP_1) | instskip(NEXT) | instid1(VALU_DEP_1)
	v_fmac_f32_e32 v5, v168, v4
	v_fma_f32 v1, -v1, v5, v166
	s_delay_alu instid0(VALU_DEP_1) | instskip(NEXT) | instid1(VALU_DEP_1)
	v_div_fmas_f32 v1, v1, v4, v5
	v_div_fixup_f32 v1, v1, v167, 1.0
                                        ; implicit-def: $vgpr166_vgpr167
	s_delay_alu instid0(VALU_DEP_1)
	v_mul_f32_e32 v168, v0, v1
	v_xor_b32_e32 v169, 0x80000000, v1
.LBB81_5:
	s_and_not1_saveexec_b32 s2, s2
	s_cbranch_execz .LBB81_7
; %bb.6:
	v_div_scale_f32 v0, null, v166, v166, v167
	v_div_scale_f32 v5, vcc_lo, v167, v166, v167
	s_delay_alu instid0(VALU_DEP_2) | instskip(SKIP_1) | instid1(TRANS32_DEP_1)
	v_rcp_f32_e32 v1, v0
	v_nop
	v_fma_f32 v4, -v0, v1, 1.0
	s_delay_alu instid0(VALU_DEP_1) | instskip(NEXT) | instid1(VALU_DEP_1)
	v_fmac_f32_e32 v1, v4, v1
	v_mul_f32_e32 v4, v5, v1
	s_delay_alu instid0(VALU_DEP_1) | instskip(NEXT) | instid1(VALU_DEP_1)
	v_fma_f32 v168, -v0, v4, v5
	v_fmac_f32_e32 v4, v168, v1
	s_delay_alu instid0(VALU_DEP_1) | instskip(NEXT) | instid1(VALU_DEP_1)
	v_fma_f32 v0, -v0, v4, v5
	v_div_fmas_f32 v0, v0, v1, v4
	s_delay_alu instid0(VALU_DEP_1) | instskip(NEXT) | instid1(VALU_DEP_1)
	v_div_fixup_f32 v0, v0, v166, v167
	v_fmac_f32_e32 v166, v167, v0
	s_delay_alu instid0(VALU_DEP_1) | instskip(NEXT) | instid1(VALU_DEP_1)
	v_div_scale_f32 v1, null, v166, v166, 1.0
	v_rcp_f32_e32 v4, v1
	v_nop
	s_delay_alu instid0(TRANS32_DEP_1) | instskip(NEXT) | instid1(VALU_DEP_1)
	v_fma_f32 v5, -v1, v4, 1.0
	v_fmac_f32_e32 v4, v5, v4
	v_div_scale_f32 v5, vcc_lo, 1.0, v166, 1.0
	s_delay_alu instid0(VALU_DEP_1) | instskip(NEXT) | instid1(VALU_DEP_1)
	v_mul_f32_e32 v167, v5, v4
	v_fma_f32 v168, -v1, v167, v5
	s_delay_alu instid0(VALU_DEP_1) | instskip(NEXT) | instid1(VALU_DEP_1)
	v_fmac_f32_e32 v167, v168, v4
	v_fma_f32 v1, -v1, v167, v5
	s_delay_alu instid0(VALU_DEP_1) | instskip(NEXT) | instid1(VALU_DEP_1)
	v_div_fmas_f32 v1, v1, v4, v167
	v_div_fixup_f32 v168, v1, v166, 1.0
	s_delay_alu instid0(VALU_DEP_1)
	v_mul_f32_e64 v169, v0, -v168
.LBB81_7:
	s_or_b32 exec_lo, exec_lo, s2
	ds_store_b64 v249, v[168:169]
.LBB81_8:
	s_or_b32 exec_lo, exec_lo, s4
	s_wait_storecnt 0x0
	s_wait_loadcnt_dscnt 0x0
	s_barrier_signal -1
	s_barrier_wait -1
	ds_load_b64 v[166:167], v249
	s_and_saveexec_b32 s2, s1
	s_cbranch_execz .LBB81_10
; %bb.9:
	ds_load_2addr_b64 v[172:175], v250 offset0:1 offset1:2
	s_wait_dscnt 0x1
	v_pk_mul_f32 v[170:171], v[166:167], v[42:43] op_sel:[1,1] op_sel_hi:[0,1]
	s_delay_alu instid0(VALU_DEP_1) | instskip(SKIP_1) | instid1(VALU_DEP_1)
	v_pk_fma_f32 v[168:169], v[166:167], v[42:43], v[170:171] op_sel_hi:[1,0,1] neg_lo:[0,0,1] neg_hi:[0,0,1]
	v_pk_fma_f32 v[170:171], v[166:167], v[42:43], v[170:171] op_sel_hi:[1,0,1]
	v_dual_mov_b32 v42, v168 :: v_dual_mov_b32 v43, v171
	s_wait_dscnt 0x0
	s_delay_alu instid0(VALU_DEP_2) | instskip(NEXT) | instid1(VALU_DEP_1)
	v_pk_mul_f32 v[176:177], v[172:173], v[170:171] op_sel:[0,1]
	v_pk_fma_f32 v[178:179], v[172:173], v[168:169], v[176:177] op_sel:[0,0,1] op_sel_hi:[1,1,0] neg_lo:[0,0,1] neg_hi:[0,0,1]
	v_pk_fma_f32 v[172:173], v[172:173], v[168:169], v[176:177] op_sel:[0,0,1] op_sel_hi:[1,0,0]
	s_delay_alu instid0(VALU_DEP_1) | instskip(SKIP_1) | instid1(VALU_DEP_1)
	v_mov_b32_e32 v179, v173
	v_pk_mul_f32 v[172:173], v[174:175], v[170:171] op_sel:[0,1]
	v_pk_fma_f32 v[176:177], v[174:175], v[168:169], v[172:173] op_sel:[0,0,1] op_sel_hi:[1,1,0] neg_lo:[0,0,1] neg_hi:[0,0,1]
	v_pk_fma_f32 v[172:173], v[174:175], v[168:169], v[172:173] op_sel:[0,0,1] op_sel_hi:[1,0,0]
	s_delay_alu instid0(VALU_DEP_1)
	v_mov_b32_e32 v177, v173
	ds_load_2addr_b64 v[172:175], v250 offset0:3 offset1:4
	v_pk_add_f32 v[44:45], v[44:45], v[178:179] neg_lo:[0,1] neg_hi:[0,1]
	v_pk_add_f32 v[34:35], v[34:35], v[176:177] neg_lo:[0,1] neg_hi:[0,1]
	s_wait_dscnt 0x0
	v_pk_mul_f32 v[176:177], v[172:173], v[170:171] op_sel:[0,1]
	s_delay_alu instid0(VALU_DEP_1) | instskip(SKIP_2) | instid1(VALU_DEP_2)
	v_pk_fma_f32 v[178:179], v[172:173], v[168:169], v[176:177] op_sel:[0,0,1] op_sel_hi:[1,1,0] neg_lo:[0,0,1] neg_hi:[0,0,1]
	v_pk_fma_f32 v[172:173], v[172:173], v[168:169], v[176:177] op_sel:[0,0,1] op_sel_hi:[1,0,0]
	v_dual_mul_f32 v176, v175, v171 :: v_dual_mov_b32 v172, v175
	v_dual_mov_b32 v179, v173 :: v_dual_mov_b32 v173, v174
	s_delay_alu instid0(VALU_DEP_2) | instskip(SKIP_1) | instid1(VALU_DEP_3)
	v_pk_fma_f32 v[176:177], v[174:175], v[42:43], v[176:177] op_sel_hi:[1,1,0] neg_lo:[0,0,1] neg_hi:[0,0,1]
	v_mul_f32_e32 v174, v175, v168
	v_pk_add_f32 v[32:33], v[32:33], v[178:179] neg_lo:[0,1] neg_hi:[0,1]
	s_delay_alu instid0(VALU_DEP_2) | instskip(NEXT) | instid1(VALU_DEP_1)
	v_pk_fma_f32 v[172:173], v[172:173], v[42:43], v[174:175] op_sel_hi:[1,1,0]
	v_mov_b32_e32 v177, v173
	ds_load_2addr_b64 v[172:175], v250 offset0:5 offset1:6
	v_pk_add_f32 v[22:23], v[22:23], v[176:177] neg_lo:[0,1] neg_hi:[0,1]
	s_wait_dscnt 0x0
	v_pk_mul_f32 v[176:177], v[172:173], v[170:171] op_sel:[0,1]
	s_delay_alu instid0(VALU_DEP_1) | instskip(SKIP_1) | instid1(VALU_DEP_1)
	v_pk_fma_f32 v[178:179], v[172:173], v[168:169], v[176:177] op_sel:[0,0,1] op_sel_hi:[1,1,0] neg_lo:[0,0,1] neg_hi:[0,0,1]
	v_pk_fma_f32 v[172:173], v[172:173], v[168:169], v[176:177] op_sel:[0,0,1] op_sel_hi:[1,0,0]
	v_mov_b32_e32 v179, v173
	v_pk_mul_f32 v[172:173], v[174:175], v[170:171] op_sel:[0,1]
	s_delay_alu instid0(VALU_DEP_1) | instskip(SKIP_1) | instid1(VALU_DEP_1)
	v_pk_fma_f32 v[176:177], v[174:175], v[168:169], v[172:173] op_sel:[0,0,1] op_sel_hi:[1,1,0] neg_lo:[0,0,1] neg_hi:[0,0,1]
	v_pk_fma_f32 v[172:173], v[174:175], v[168:169], v[172:173] op_sel:[0,0,1] op_sel_hi:[1,0,0]
	v_mov_b32_e32 v177, v173
	ds_load_2addr_b64 v[172:175], v250 offset0:7 offset1:8
	v_pk_add_f32 v[58:59], v[58:59], v[178:179] neg_lo:[0,1] neg_hi:[0,1]
	v_pk_add_f32 v[60:61], v[60:61], v[176:177] neg_lo:[0,1] neg_hi:[0,1]
	s_wait_dscnt 0x0
	v_pk_mul_f32 v[176:177], v[172:173], v[170:171] op_sel:[0,1]
	s_delay_alu instid0(VALU_DEP_1) | instskip(SKIP_1) | instid1(VALU_DEP_1)
	v_pk_fma_f32 v[178:179], v[172:173], v[168:169], v[176:177] op_sel:[0,0,1] op_sel_hi:[1,1,0] neg_lo:[0,0,1] neg_hi:[0,0,1]
	v_pk_fma_f32 v[172:173], v[172:173], v[168:169], v[176:177] op_sel:[0,0,1] op_sel_hi:[1,0,0]
	v_mov_b32_e32 v179, v173
	v_pk_mul_f32 v[172:173], v[174:175], v[170:171] op_sel:[0,1]
	s_delay_alu instid0(VALU_DEP_1) | instskip(SKIP_1) | instid1(VALU_DEP_1)
	v_pk_fma_f32 v[176:177], v[174:175], v[168:169], v[172:173] op_sel:[0,0,1] op_sel_hi:[1,1,0] neg_lo:[0,0,1] neg_hi:[0,0,1]
	v_pk_fma_f32 v[172:173], v[174:175], v[168:169], v[172:173] op_sel:[0,0,1] op_sel_hi:[1,0,0]
	v_mov_b32_e32 v177, v173
	ds_load_2addr_b64 v[172:175], v250 offset0:9 offset1:10
	v_pk_add_f32 v[56:57], v[56:57], v[178:179] neg_lo:[0,1] neg_hi:[0,1]
	v_pk_add_f32 v[74:75], v[74:75], v[176:177] neg_lo:[0,1] neg_hi:[0,1]
	s_wait_dscnt 0x0
	v_dual_mul_f32 v176, v173, v171 :: v_dual_mul_f32 v178, v173, v168
	s_delay_alu instid0(VALU_DEP_1) | instskip(NEXT) | instid1(VALU_DEP_2)
	v_pk_fma_f32 v[176:177], v[172:173], v[42:43], v[176:177] op_sel_hi:[1,1,0] neg_lo:[0,0,1] neg_hi:[0,0,1]
	v_pk_fma_f32 v[172:173], v[172:173], v[42:43], v[178:179] op_sel:[1,0,0] op_sel_hi:[0,1,0]
	s_delay_alu instid0(VALU_DEP_1) | instskip(SKIP_1) | instid1(VALU_DEP_2)
	v_mov_b32_e32 v177, v173
	v_pk_mul_f32 v[172:173], v[174:175], v[170:171] op_sel:[0,1]
	v_pk_add_f32 v[72:73], v[72:73], v[176:177] neg_lo:[0,1] neg_hi:[0,1]
	s_delay_alu instid0(VALU_DEP_2) | instskip(SKIP_1) | instid1(VALU_DEP_1)
	v_pk_fma_f32 v[176:177], v[174:175], v[168:169], v[172:173] op_sel:[0,0,1] op_sel_hi:[1,1,0] neg_lo:[0,0,1] neg_hi:[0,0,1]
	v_pk_fma_f32 v[172:173], v[174:175], v[168:169], v[172:173] op_sel:[0,0,1] op_sel_hi:[1,0,0]
	v_mov_b32_e32 v177, v173
	ds_load_2addr_b64 v[172:175], v250 offset0:11 offset1:12
	v_pk_add_f32 v[54:55], v[54:55], v[176:177] neg_lo:[0,1] neg_hi:[0,1]
	s_wait_dscnt 0x0
	v_pk_mul_f32 v[176:177], v[172:173], v[170:171] op_sel:[0,1]
	s_delay_alu instid0(VALU_DEP_1) | instskip(SKIP_1) | instid1(VALU_DEP_1)
	v_pk_fma_f32 v[178:179], v[172:173], v[168:169], v[176:177] op_sel:[0,0,1] op_sel_hi:[1,1,0] neg_lo:[0,0,1] neg_hi:[0,0,1]
	v_pk_fma_f32 v[172:173], v[172:173], v[168:169], v[176:177] op_sel:[0,0,1] op_sel_hi:[1,0,0]
	v_mov_b32_e32 v179, v173
	v_pk_mul_f32 v[172:173], v[174:175], v[170:171] op_sel:[0,1]
	s_delay_alu instid0(VALU_DEP_2) | instskip(NEXT) | instid1(VALU_DEP_2)
	v_pk_add_f32 v[70:71], v[70:71], v[178:179] neg_lo:[0,1] neg_hi:[0,1]
	v_pk_fma_f32 v[176:177], v[174:175], v[168:169], v[172:173] op_sel:[0,0,1] op_sel_hi:[1,1,0] neg_lo:[0,0,1] neg_hi:[0,0,1]
	v_pk_fma_f32 v[172:173], v[174:175], v[168:169], v[172:173] op_sel:[0,0,1] op_sel_hi:[1,0,0]
	s_delay_alu instid0(VALU_DEP_1) | instskip(SKIP_4) | instid1(VALU_DEP_1)
	v_mov_b32_e32 v177, v173
	ds_load_2addr_b64 v[172:175], v250 offset0:13 offset1:14
	v_pk_add_f32 v[94:95], v[94:95], v[176:177] neg_lo:[0,1] neg_hi:[0,1]
	s_wait_dscnt 0x0
	v_pk_mul_f32 v[176:177], v[172:173], v[170:171] op_sel:[0,1]
	v_pk_fma_f32 v[178:179], v[172:173], v[168:169], v[176:177] op_sel:[0,0,1] op_sel_hi:[1,1,0] neg_lo:[0,0,1] neg_hi:[0,0,1]
	v_pk_fma_f32 v[172:173], v[172:173], v[168:169], v[176:177] op_sel:[0,0,1] op_sel_hi:[1,0,0]
	v_dual_mul_f32 v176, v175, v171 :: v_dual_mov_b32 v172, v175
	s_delay_alu instid0(VALU_DEP_2) | instskip(NEXT) | instid1(VALU_DEP_2)
	v_dual_mov_b32 v179, v173 :: v_dual_mov_b32 v173, v174
	v_pk_fma_f32 v[176:177], v[174:175], v[42:43], v[176:177] op_sel_hi:[1,1,0] neg_lo:[0,0,1] neg_hi:[0,0,1]
	v_mul_f32_e32 v174, v175, v168
	s_delay_alu instid0(VALU_DEP_3) | instskip(NEXT) | instid1(VALU_DEP_2)
	v_pk_add_f32 v[90:91], v[90:91], v[178:179] neg_lo:[0,1] neg_hi:[0,1]
	v_pk_fma_f32 v[172:173], v[172:173], v[42:43], v[174:175] op_sel_hi:[1,1,0]
	s_delay_alu instid0(VALU_DEP_1) | instskip(SKIP_4) | instid1(VALU_DEP_1)
	v_mov_b32_e32 v177, v173
	ds_load_2addr_b64 v[172:175], v250 offset0:15 offset1:16
	v_pk_add_f32 v[92:93], v[92:93], v[176:177] neg_lo:[0,1] neg_hi:[0,1]
	s_wait_dscnt 0x0
	v_pk_mul_f32 v[176:177], v[172:173], v[170:171] op_sel:[0,1]
	v_pk_fma_f32 v[178:179], v[172:173], v[168:169], v[176:177] op_sel:[0,0,1] op_sel_hi:[1,1,0] neg_lo:[0,0,1] neg_hi:[0,0,1]
	v_pk_fma_f32 v[172:173], v[172:173], v[168:169], v[176:177] op_sel:[0,0,1] op_sel_hi:[1,0,0]
	s_delay_alu instid0(VALU_DEP_1) | instskip(SKIP_1) | instid1(VALU_DEP_1)
	v_mov_b32_e32 v179, v173
	v_pk_mul_f32 v[172:173], v[174:175], v[170:171] op_sel:[0,1]
	v_pk_fma_f32 v[176:177], v[174:175], v[168:169], v[172:173] op_sel:[0,0,1] op_sel_hi:[1,1,0] neg_lo:[0,0,1] neg_hi:[0,0,1]
	v_pk_fma_f32 v[172:173], v[174:175], v[168:169], v[172:173] op_sel:[0,0,1] op_sel_hi:[1,0,0]
	s_delay_alu instid0(VALU_DEP_1)
	v_mov_b32_e32 v177, v173
	ds_load_2addr_b64 v[172:175], v250 offset0:17 offset1:18
	v_pk_add_f32 v[88:89], v[88:89], v[178:179] neg_lo:[0,1] neg_hi:[0,1]
	v_pk_add_f32 v[118:119], v[118:119], v[176:177] neg_lo:[0,1] neg_hi:[0,1]
	s_wait_dscnt 0x0
	v_pk_mul_f32 v[176:177], v[172:173], v[170:171] op_sel:[0,1]
	s_delay_alu instid0(VALU_DEP_1) | instskip(SKIP_1) | instid1(VALU_DEP_1)
	v_pk_fma_f32 v[178:179], v[172:173], v[168:169], v[176:177] op_sel:[0,0,1] op_sel_hi:[1,1,0] neg_lo:[0,0,1] neg_hi:[0,0,1]
	v_pk_fma_f32 v[172:173], v[172:173], v[168:169], v[176:177] op_sel:[0,0,1] op_sel_hi:[1,0,0]
	v_mov_b32_e32 v179, v173
	v_pk_mul_f32 v[172:173], v[174:175], v[170:171] op_sel:[0,1]
	s_delay_alu instid0(VALU_DEP_1) | instskip(SKIP_1) | instid1(VALU_DEP_1)
	v_pk_fma_f32 v[176:177], v[174:175], v[168:169], v[172:173] op_sel:[0,0,1] op_sel_hi:[1,1,0] neg_lo:[0,0,1] neg_hi:[0,0,1]
	v_pk_fma_f32 v[172:173], v[174:175], v[168:169], v[172:173] op_sel:[0,0,1] op_sel_hi:[1,0,0]
	v_mov_b32_e32 v177, v173
	ds_load_2addr_b64 v[172:175], v250 offset0:19 offset1:20
	v_pk_add_f32 v[86:87], v[86:87], v[178:179] neg_lo:[0,1] neg_hi:[0,1]
	v_pk_add_f32 v[116:117], v[116:117], v[176:177] neg_lo:[0,1] neg_hi:[0,1]
	s_wait_dscnt 0x0
	v_dual_mul_f32 v176, v173, v171 :: v_dual_mul_f32 v178, v173, v168
	s_delay_alu instid0(VALU_DEP_1) | instskip(NEXT) | instid1(VALU_DEP_2)
	v_pk_fma_f32 v[176:177], v[172:173], v[42:43], v[176:177] op_sel_hi:[1,1,0] neg_lo:[0,0,1] neg_hi:[0,0,1]
	v_pk_fma_f32 v[172:173], v[172:173], v[42:43], v[178:179] op_sel:[1,0,0] op_sel_hi:[0,1,0]
	s_delay_alu instid0(VALU_DEP_1) | instskip(SKIP_1) | instid1(VALU_DEP_2)
	v_mov_b32_e32 v177, v173
	v_pk_mul_f32 v[172:173], v[174:175], v[170:171] op_sel:[0,1]
	v_pk_add_f32 v[114:115], v[114:115], v[176:177] neg_lo:[0,1] neg_hi:[0,1]
	s_delay_alu instid0(VALU_DEP_2) | instskip(SKIP_1) | instid1(VALU_DEP_1)
	v_pk_fma_f32 v[176:177], v[174:175], v[168:169], v[172:173] op_sel:[0,0,1] op_sel_hi:[1,1,0] neg_lo:[0,0,1] neg_hi:[0,0,1]
	v_pk_fma_f32 v[172:173], v[174:175], v[168:169], v[172:173] op_sel:[0,0,1] op_sel_hi:[1,0,0]
	v_mov_b32_e32 v177, v173
	ds_load_2addr_b64 v[172:175], v250 offset0:21 offset1:22
	v_pk_add_f32 v[146:147], v[146:147], v[176:177] neg_lo:[0,1] neg_hi:[0,1]
	s_wait_dscnt 0x0
	v_pk_mul_f32 v[176:177], v[172:173], v[170:171] op_sel:[0,1]
	s_delay_alu instid0(VALU_DEP_1) | instskip(SKIP_1) | instid1(VALU_DEP_1)
	v_pk_fma_f32 v[178:179], v[172:173], v[168:169], v[176:177] op_sel:[0,0,1] op_sel_hi:[1,1,0] neg_lo:[0,0,1] neg_hi:[0,0,1]
	v_pk_fma_f32 v[172:173], v[172:173], v[168:169], v[176:177] op_sel:[0,0,1] op_sel_hi:[1,0,0]
	v_mov_b32_e32 v179, v173
	v_pk_mul_f32 v[172:173], v[174:175], v[170:171] op_sel:[0,1]
	s_delay_alu instid0(VALU_DEP_2) | instskip(NEXT) | instid1(VALU_DEP_2)
	v_pk_add_f32 v[112:113], v[112:113], v[178:179] neg_lo:[0,1] neg_hi:[0,1]
	v_pk_fma_f32 v[176:177], v[174:175], v[168:169], v[172:173] op_sel:[0,0,1] op_sel_hi:[1,1,0] neg_lo:[0,0,1] neg_hi:[0,0,1]
	v_pk_fma_f32 v[172:173], v[174:175], v[168:169], v[172:173] op_sel:[0,0,1] op_sel_hi:[1,0,0]
	s_delay_alu instid0(VALU_DEP_1) | instskip(SKIP_4) | instid1(VALU_DEP_1)
	v_mov_b32_e32 v177, v173
	ds_load_2addr_b64 v[172:175], v250 offset0:23 offset1:24
	v_pk_add_f32 v[144:145], v[144:145], v[176:177] neg_lo:[0,1] neg_hi:[0,1]
	s_wait_dscnt 0x0
	v_pk_mul_f32 v[176:177], v[172:173], v[170:171] op_sel:[0,1]
	v_pk_fma_f32 v[178:179], v[172:173], v[168:169], v[176:177] op_sel:[0,0,1] op_sel_hi:[1,1,0] neg_lo:[0,0,1] neg_hi:[0,0,1]
	v_pk_fma_f32 v[172:173], v[172:173], v[168:169], v[176:177] op_sel:[0,0,1] op_sel_hi:[1,0,0]
	v_dual_mul_f32 v176, v175, v171 :: v_dual_mov_b32 v172, v175
	s_delay_alu instid0(VALU_DEP_2) | instskip(NEXT) | instid1(VALU_DEP_2)
	v_dual_mov_b32 v179, v173 :: v_dual_mov_b32 v173, v174
	v_pk_fma_f32 v[176:177], v[174:175], v[42:43], v[176:177] op_sel_hi:[1,1,0] neg_lo:[0,0,1] neg_hi:[0,0,1]
	v_mul_f32_e32 v174, v175, v168
	s_delay_alu instid0(VALU_DEP_3) | instskip(NEXT) | instid1(VALU_DEP_2)
	v_pk_add_f32 v[76:77], v[76:77], v[178:179] neg_lo:[0,1] neg_hi:[0,1]
	v_pk_fma_f32 v[172:173], v[172:173], v[42:43], v[174:175] op_sel_hi:[1,1,0]
	s_delay_alu instid0(VALU_DEP_1) | instskip(SKIP_4) | instid1(VALU_DEP_1)
	v_mov_b32_e32 v177, v173
	ds_load_2addr_b64 v[172:175], v250 offset0:25 offset1:26
	v_pk_add_f32 v[102:103], v[102:103], v[176:177] neg_lo:[0,1] neg_hi:[0,1]
	s_wait_dscnt 0x0
	v_pk_mul_f32 v[176:177], v[172:173], v[170:171] op_sel:[0,1]
	v_pk_fma_f32 v[178:179], v[172:173], v[168:169], v[176:177] op_sel:[0,0,1] op_sel_hi:[1,1,0] neg_lo:[0,0,1] neg_hi:[0,0,1]
	v_pk_fma_f32 v[172:173], v[172:173], v[168:169], v[176:177] op_sel:[0,0,1] op_sel_hi:[1,0,0]
	s_delay_alu instid0(VALU_DEP_1) | instskip(SKIP_1) | instid1(VALU_DEP_1)
	v_mov_b32_e32 v179, v173
	v_pk_mul_f32 v[172:173], v[174:175], v[170:171] op_sel:[0,1]
	v_pk_fma_f32 v[176:177], v[174:175], v[168:169], v[172:173] op_sel:[0,0,1] op_sel_hi:[1,1,0] neg_lo:[0,0,1] neg_hi:[0,0,1]
	v_pk_fma_f32 v[172:173], v[174:175], v[168:169], v[172:173] op_sel:[0,0,1] op_sel_hi:[1,0,0]
	s_delay_alu instid0(VALU_DEP_1)
	v_mov_b32_e32 v177, v173
	ds_load_2addr_b64 v[172:175], v250 offset0:27 offset1:28
	v_pk_add_f32 v[98:99], v[98:99], v[178:179] neg_lo:[0,1] neg_hi:[0,1]
	v_pk_add_f32 v[100:101], v[100:101], v[176:177] neg_lo:[0,1] neg_hi:[0,1]
	s_wait_dscnt 0x0
	v_pk_mul_f32 v[176:177], v[172:173], v[170:171] op_sel:[0,1]
	s_delay_alu instid0(VALU_DEP_1) | instskip(SKIP_1) | instid1(VALU_DEP_1)
	v_pk_fma_f32 v[178:179], v[172:173], v[168:169], v[176:177] op_sel:[0,0,1] op_sel_hi:[1,1,0] neg_lo:[0,0,1] neg_hi:[0,0,1]
	v_pk_fma_f32 v[172:173], v[172:173], v[168:169], v[176:177] op_sel:[0,0,1] op_sel_hi:[1,0,0]
	v_mov_b32_e32 v179, v173
	v_pk_mul_f32 v[172:173], v[174:175], v[170:171] op_sel:[0,1]
	s_delay_alu instid0(VALU_DEP_1) | instskip(SKIP_1) | instid1(VALU_DEP_1)
	v_pk_fma_f32 v[176:177], v[174:175], v[168:169], v[172:173] op_sel:[0,0,1] op_sel_hi:[1,1,0] neg_lo:[0,0,1] neg_hi:[0,0,1]
	v_pk_fma_f32 v[172:173], v[174:175], v[168:169], v[172:173] op_sel:[0,0,1] op_sel_hi:[1,0,0]
	v_mov_b32_e32 v177, v173
	ds_load_2addr_b64 v[172:175], v250 offset0:29 offset1:30
	v_pk_add_f32 v[96:97], v[96:97], v[178:179] neg_lo:[0,1] neg_hi:[0,1]
	v_pk_add_f32 v[132:133], v[132:133], v[176:177] neg_lo:[0,1] neg_hi:[0,1]
	s_wait_dscnt 0x0
	v_dual_mul_f32 v176, v173, v171 :: v_dual_mul_f32 v178, v173, v168
	s_delay_alu instid0(VALU_DEP_1) | instskip(NEXT) | instid1(VALU_DEP_2)
	v_pk_fma_f32 v[176:177], v[172:173], v[42:43], v[176:177] op_sel_hi:[1,1,0] neg_lo:[0,0,1] neg_hi:[0,0,1]
	v_pk_fma_f32 v[172:173], v[172:173], v[42:43], v[178:179] op_sel:[1,0,0] op_sel_hi:[0,1,0]
	s_delay_alu instid0(VALU_DEP_1) | instskip(SKIP_1) | instid1(VALU_DEP_2)
	v_mov_b32_e32 v177, v173
	v_pk_mul_f32 v[172:173], v[174:175], v[170:171] op_sel:[0,1]
	v_pk_add_f32 v[128:129], v[128:129], v[176:177] neg_lo:[0,1] neg_hi:[0,1]
	s_delay_alu instid0(VALU_DEP_2) | instskip(SKIP_1) | instid1(VALU_DEP_1)
	v_pk_fma_f32 v[176:177], v[174:175], v[168:169], v[172:173] op_sel:[0,0,1] op_sel_hi:[1,1,0] neg_lo:[0,0,1] neg_hi:[0,0,1]
	v_pk_fma_f32 v[172:173], v[174:175], v[168:169], v[172:173] op_sel:[0,0,1] op_sel_hi:[1,0,0]
	v_mov_b32_e32 v177, v173
	ds_load_2addr_b64 v[172:175], v250 offset0:31 offset1:32
	v_pk_add_f32 v[130:131], v[130:131], v[176:177] neg_lo:[0,1] neg_hi:[0,1]
	s_wait_dscnt 0x0
	v_pk_mul_f32 v[176:177], v[172:173], v[170:171] op_sel:[0,1]
	s_delay_alu instid0(VALU_DEP_1) | instskip(SKIP_1) | instid1(VALU_DEP_1)
	v_pk_fma_f32 v[178:179], v[172:173], v[168:169], v[176:177] op_sel:[0,0,1] op_sel_hi:[1,1,0] neg_lo:[0,0,1] neg_hi:[0,0,1]
	v_pk_fma_f32 v[172:173], v[172:173], v[168:169], v[176:177] op_sel:[0,0,1] op_sel_hi:[1,0,0]
	v_mov_b32_e32 v179, v173
	v_pk_mul_f32 v[172:173], v[174:175], v[170:171] op_sel:[0,1]
	s_delay_alu instid0(VALU_DEP_2) | instskip(NEXT) | instid1(VALU_DEP_2)
	v_pk_add_f32 v[126:127], v[126:127], v[178:179] neg_lo:[0,1] neg_hi:[0,1]
	v_pk_fma_f32 v[176:177], v[174:175], v[168:169], v[172:173] op_sel:[0,0,1] op_sel_hi:[1,1,0] neg_lo:[0,0,1] neg_hi:[0,0,1]
	v_pk_fma_f32 v[172:173], v[174:175], v[168:169], v[172:173] op_sel:[0,0,1] op_sel_hi:[1,0,0]
	s_delay_alu instid0(VALU_DEP_1) | instskip(SKIP_4) | instid1(VALU_DEP_1)
	v_mov_b32_e32 v177, v173
	ds_load_2addr_b64 v[172:175], v250 offset0:33 offset1:34
	v_pk_add_f32 v[160:161], v[160:161], v[176:177] neg_lo:[0,1] neg_hi:[0,1]
	s_wait_dscnt 0x0
	v_pk_mul_f32 v[176:177], v[172:173], v[170:171] op_sel:[0,1]
	v_pk_fma_f32 v[178:179], v[172:173], v[168:169], v[176:177] op_sel:[0,0,1] op_sel_hi:[1,1,0] neg_lo:[0,0,1] neg_hi:[0,0,1]
	v_pk_fma_f32 v[172:173], v[172:173], v[168:169], v[176:177] op_sel:[0,0,1] op_sel_hi:[1,0,0]
	v_dual_mul_f32 v176, v175, v171 :: v_dual_mov_b32 v172, v175
	s_delay_alu instid0(VALU_DEP_2) | instskip(NEXT) | instid1(VALU_DEP_2)
	v_dual_mov_b32 v179, v173 :: v_dual_mov_b32 v173, v174
	v_pk_fma_f32 v[176:177], v[174:175], v[42:43], v[176:177] op_sel_hi:[1,1,0] neg_lo:[0,0,1] neg_hi:[0,0,1]
	v_mul_f32_e32 v174, v175, v168
	s_delay_alu instid0(VALU_DEP_3) | instskip(NEXT) | instid1(VALU_DEP_2)
	v_pk_add_f32 v[152:153], v[152:153], v[178:179] neg_lo:[0,1] neg_hi:[0,1]
	v_pk_fma_f32 v[172:173], v[172:173], v[42:43], v[174:175] op_sel_hi:[1,1,0]
	s_delay_alu instid0(VALU_DEP_1) | instskip(SKIP_4) | instid1(VALU_DEP_1)
	v_mov_b32_e32 v177, v173
	ds_load_2addr_b64 v[172:175], v250 offset0:35 offset1:36
	v_pk_add_f32 v[158:159], v[158:159], v[176:177] neg_lo:[0,1] neg_hi:[0,1]
	s_wait_dscnt 0x0
	v_pk_mul_f32 v[176:177], v[172:173], v[170:171] op_sel:[0,1]
	v_pk_fma_f32 v[178:179], v[172:173], v[168:169], v[176:177] op_sel:[0,0,1] op_sel_hi:[1,1,0] neg_lo:[0,0,1] neg_hi:[0,0,1]
	v_pk_fma_f32 v[172:173], v[172:173], v[168:169], v[176:177] op_sel:[0,0,1] op_sel_hi:[1,0,0]
	s_delay_alu instid0(VALU_DEP_1) | instskip(SKIP_1) | instid1(VALU_DEP_1)
	v_mov_b32_e32 v179, v173
	v_pk_mul_f32 v[172:173], v[174:175], v[170:171] op_sel:[0,1]
	v_pk_fma_f32 v[176:177], v[174:175], v[168:169], v[172:173] op_sel:[0,0,1] op_sel_hi:[1,1,0] neg_lo:[0,0,1] neg_hi:[0,0,1]
	v_pk_fma_f32 v[172:173], v[174:175], v[168:169], v[172:173] op_sel:[0,0,1] op_sel_hi:[1,0,0]
	s_delay_alu instid0(VALU_DEP_1)
	v_mov_b32_e32 v177, v173
	ds_load_2addr_b64 v[172:175], v250 offset0:37 offset1:38
	v_pk_add_f32 v[150:151], v[150:151], v[178:179] neg_lo:[0,1] neg_hi:[0,1]
	v_pk_add_f32 v[156:157], v[156:157], v[176:177] neg_lo:[0,1] neg_hi:[0,1]
	s_wait_dscnt 0x0
	v_pk_mul_f32 v[176:177], v[172:173], v[170:171] op_sel:[0,1]
	s_delay_alu instid0(VALU_DEP_1) | instskip(SKIP_1) | instid1(VALU_DEP_1)
	v_pk_fma_f32 v[178:179], v[172:173], v[168:169], v[176:177] op_sel:[0,0,1] op_sel_hi:[1,1,0] neg_lo:[0,0,1] neg_hi:[0,0,1]
	v_pk_fma_f32 v[172:173], v[172:173], v[168:169], v[176:177] op_sel:[0,0,1] op_sel_hi:[1,0,0]
	v_mov_b32_e32 v179, v173
	v_pk_mul_f32 v[172:173], v[174:175], v[170:171] op_sel:[0,1]
	s_delay_alu instid0(VALU_DEP_1) | instskip(SKIP_1) | instid1(VALU_DEP_1)
	v_pk_fma_f32 v[176:177], v[174:175], v[168:169], v[172:173] op_sel:[0,0,1] op_sel_hi:[1,1,0] neg_lo:[0,0,1] neg_hi:[0,0,1]
	v_pk_fma_f32 v[172:173], v[174:175], v[168:169], v[172:173] op_sel:[0,0,1] op_sel_hi:[1,0,0]
	v_mov_b32_e32 v177, v173
	ds_load_2addr_b64 v[172:175], v250 offset0:39 offset1:40
	v_pk_add_f32 v[148:149], v[148:149], v[178:179] neg_lo:[0,1] neg_hi:[0,1]
	v_pk_add_f32 v[154:155], v[154:155], v[176:177] neg_lo:[0,1] neg_hi:[0,1]
	s_wait_dscnt 0x0
	v_dual_mul_f32 v176, v173, v171 :: v_dual_mul_f32 v178, v173, v168
	v_pk_mul_f32 v[170:171], v[174:175], v[170:171] op_sel:[0,1]
	s_delay_alu instid0(VALU_DEP_2) | instskip(NEXT) | instid1(VALU_DEP_3)
	v_pk_fma_f32 v[176:177], v[172:173], v[42:43], v[176:177] op_sel_hi:[1,1,0] neg_lo:[0,0,1] neg_hi:[0,0,1]
	v_pk_fma_f32 v[172:173], v[172:173], v[42:43], v[178:179] op_sel:[1,0,0] op_sel_hi:[0,1,0]
	s_delay_alu instid0(VALU_DEP_1) | instskip(NEXT) | instid1(VALU_DEP_4)
	v_mov_b32_e32 v177, v173
	v_pk_fma_f32 v[172:173], v[174:175], v[168:169], v[170:171] op_sel:[0,0,1] op_sel_hi:[1,1,0] neg_lo:[0,0,1] neg_hi:[0,0,1]
	v_pk_fma_f32 v[168:169], v[174:175], v[168:169], v[170:171] op_sel:[0,0,1] op_sel_hi:[1,0,0]
	s_delay_alu instid0(VALU_DEP_1) | instskip(NEXT) | instid1(VALU_DEP_4)
	v_mov_b32_e32 v173, v169
	v_pk_add_f32 v[162:163], v[162:163], v[176:177] neg_lo:[0,1] neg_hi:[0,1]
	s_delay_alu instid0(VALU_DEP_2)
	v_pk_add_f32 v[164:165], v[164:165], v[172:173] neg_lo:[0,1] neg_hi:[0,1]
.LBB81_10:
	s_or_b32 exec_lo, exec_lo, s2
	s_delay_alu instid0(SALU_CYCLE_1)
	s_mov_b32 s2, exec_lo
	s_wait_dscnt 0x0
	s_barrier_signal -1
	s_barrier_wait -1
	v_cmpx_eq_u32_e32 1, v248
	s_cbranch_execz .LBB81_17
; %bb.11:
	v_dual_mov_b32 v168, v34 :: v_dual_mov_b32 v169, v35
	v_dual_mov_b32 v170, v32 :: v_dual_mov_b32 v171, v33
	ds_store_b64 v249, v[44:45]
	ds_store_2addr_b64 v250, v[168:169], v[170:171] offset0:2 offset1:3
	v_dual_mov_b32 v168, v22 :: v_dual_mov_b32 v169, v23
	v_dual_mov_b32 v170, v58 :: v_dual_mov_b32 v171, v59
	ds_store_2addr_b64 v250, v[168:169], v[170:171] offset0:4 offset1:5
	v_dual_mov_b32 v168, v60 :: v_dual_mov_b32 v169, v61
	v_dual_mov_b32 v170, v56 :: v_dual_mov_b32 v171, v57
	ds_store_2addr_b64 v250, v[168:169], v[170:171] offset0:6 offset1:7
	v_dual_mov_b32 v168, v74 :: v_dual_mov_b32 v169, v75
	v_dual_mov_b32 v170, v72 :: v_dual_mov_b32 v171, v73
	ds_store_2addr_b64 v250, v[168:169], v[170:171] offset0:8 offset1:9
	v_dual_mov_b32 v168, v54 :: v_dual_mov_b32 v169, v55
	v_dual_mov_b32 v170, v70 :: v_dual_mov_b32 v171, v71
	ds_store_2addr_b64 v250, v[168:169], v[170:171] offset0:10 offset1:11
	v_dual_mov_b32 v168, v94 :: v_dual_mov_b32 v169, v95
	v_dual_mov_b32 v170, v90 :: v_dual_mov_b32 v171, v91
	ds_store_2addr_b64 v250, v[168:169], v[170:171] offset0:12 offset1:13
	v_dual_mov_b32 v168, v92 :: v_dual_mov_b32 v169, v93
	v_dual_mov_b32 v170, v88 :: v_dual_mov_b32 v171, v89
	ds_store_2addr_b64 v250, v[168:169], v[170:171] offset0:14 offset1:15
	v_dual_mov_b32 v168, v118 :: v_dual_mov_b32 v169, v119
	v_dual_mov_b32 v170, v86 :: v_dual_mov_b32 v171, v87
	ds_store_2addr_b64 v250, v[168:169], v[170:171] offset0:16 offset1:17
	v_dual_mov_b32 v168, v116 :: v_dual_mov_b32 v169, v117
	v_dual_mov_b32 v170, v114 :: v_dual_mov_b32 v171, v115
	ds_store_2addr_b64 v250, v[168:169], v[170:171] offset0:18 offset1:19
	v_dual_mov_b32 v168, v146 :: v_dual_mov_b32 v169, v147
	v_dual_mov_b32 v170, v112 :: v_dual_mov_b32 v171, v113
	ds_store_2addr_b64 v250, v[168:169], v[170:171] offset0:20 offset1:21
	v_dual_mov_b32 v168, v144 :: v_dual_mov_b32 v169, v145
	v_dual_mov_b32 v170, v76 :: v_dual_mov_b32 v171, v77
	ds_store_2addr_b64 v250, v[168:169], v[170:171] offset0:22 offset1:23
	v_dual_mov_b32 v168, v102 :: v_dual_mov_b32 v169, v103
	v_dual_mov_b32 v170, v98 :: v_dual_mov_b32 v171, v99
	ds_store_2addr_b64 v250, v[168:169], v[170:171] offset0:24 offset1:25
	v_dual_mov_b32 v168, v100 :: v_dual_mov_b32 v169, v101
	v_dual_mov_b32 v170, v96 :: v_dual_mov_b32 v171, v97
	ds_store_2addr_b64 v250, v[168:169], v[170:171] offset0:26 offset1:27
	v_dual_mov_b32 v168, v132 :: v_dual_mov_b32 v169, v133
	v_dual_mov_b32 v170, v128 :: v_dual_mov_b32 v171, v129
	ds_store_2addr_b64 v250, v[168:169], v[170:171] offset0:28 offset1:29
	v_dual_mov_b32 v168, v130 :: v_dual_mov_b32 v169, v131
	v_dual_mov_b32 v170, v126 :: v_dual_mov_b32 v171, v127
	ds_store_2addr_b64 v250, v[168:169], v[170:171] offset0:30 offset1:31
	v_dual_mov_b32 v168, v160 :: v_dual_mov_b32 v169, v161
	v_dual_mov_b32 v170, v152 :: v_dual_mov_b32 v171, v153
	ds_store_2addr_b64 v250, v[168:169], v[170:171] offset0:32 offset1:33
	v_dual_mov_b32 v168, v158 :: v_dual_mov_b32 v169, v159
	v_dual_mov_b32 v170, v150 :: v_dual_mov_b32 v171, v151
	ds_store_2addr_b64 v250, v[168:169], v[170:171] offset0:34 offset1:35
	v_dual_mov_b32 v168, v156 :: v_dual_mov_b32 v169, v157
	v_dual_mov_b32 v170, v148 :: v_dual_mov_b32 v171, v149
	ds_store_2addr_b64 v250, v[168:169], v[170:171] offset0:36 offset1:37
	v_dual_mov_b32 v168, v154 :: v_dual_mov_b32 v169, v155
	v_dual_mov_b32 v170, v162 :: v_dual_mov_b32 v171, v163
	ds_store_2addr_b64 v250, v[168:169], v[170:171] offset0:38 offset1:39
	ds_store_b64 v250, v[164:165] offset:320
	ds_load_b64 v[168:169], v249
	s_wait_dscnt 0x0
	v_cmp_neq_f32_e32 vcc_lo, 0, v168
	v_cmp_neq_f32_e64 s1, 0, v169
	s_or_b32 s1, vcc_lo, s1
	s_delay_alu instid0(SALU_CYCLE_1)
	s_and_b32 exec_lo, exec_lo, s1
	s_cbranch_execz .LBB81_17
; %bb.12:
	v_cmp_ngt_f32_e64 s1, |v168|, |v169|
                                        ; implicit-def: $vgpr170_vgpr171
	s_and_saveexec_b32 s4, s1
	s_delay_alu instid0(SALU_CYCLE_1)
	s_xor_b32 s1, exec_lo, s4
	s_cbranch_execz .LBB81_14
; %bb.13:
	v_div_scale_f32 v0, null, v169, v169, v168
	v_div_scale_f32 v5, vcc_lo, v168, v169, v168
	s_delay_alu instid0(VALU_DEP_2) | instskip(SKIP_1) | instid1(TRANS32_DEP_1)
	v_rcp_f32_e32 v1, v0
	v_nop
	v_fma_f32 v4, -v0, v1, 1.0
	s_delay_alu instid0(VALU_DEP_1) | instskip(NEXT) | instid1(VALU_DEP_1)
	v_fmac_f32_e32 v1, v4, v1
	v_mul_f32_e32 v4, v5, v1
	s_delay_alu instid0(VALU_DEP_1) | instskip(NEXT) | instid1(VALU_DEP_1)
	v_fma_f32 v170, -v0, v4, v5
	v_fmac_f32_e32 v4, v170, v1
	s_delay_alu instid0(VALU_DEP_1) | instskip(NEXT) | instid1(VALU_DEP_1)
	v_fma_f32 v0, -v0, v4, v5
	v_div_fmas_f32 v0, v0, v1, v4
	s_delay_alu instid0(VALU_DEP_1) | instskip(NEXT) | instid1(VALU_DEP_1)
	v_div_fixup_f32 v0, v0, v169, v168
	v_fmac_f32_e32 v169, v168, v0
	s_delay_alu instid0(VALU_DEP_1) | instskip(SKIP_1) | instid1(VALU_DEP_2)
	v_div_scale_f32 v1, null, v169, v169, 1.0
	v_div_scale_f32 v168, vcc_lo, 1.0, v169, 1.0
	v_rcp_f32_e32 v4, v1
	v_nop
	s_delay_alu instid0(TRANS32_DEP_1) | instskip(NEXT) | instid1(VALU_DEP_1)
	v_fma_f32 v5, -v1, v4, 1.0
	v_fmac_f32_e32 v4, v5, v4
	s_delay_alu instid0(VALU_DEP_1) | instskip(NEXT) | instid1(VALU_DEP_1)
	v_mul_f32_e32 v5, v168, v4
	v_fma_f32 v170, -v1, v5, v168
	s_delay_alu instid0(VALU_DEP_1) | instskip(NEXT) | instid1(VALU_DEP_1)
	v_fmac_f32_e32 v5, v170, v4
	v_fma_f32 v1, -v1, v5, v168
	s_delay_alu instid0(VALU_DEP_1) | instskip(NEXT) | instid1(VALU_DEP_1)
	v_div_fmas_f32 v1, v1, v4, v5
	v_div_fixup_f32 v1, v1, v169, 1.0
                                        ; implicit-def: $vgpr168_vgpr169
	s_delay_alu instid0(VALU_DEP_1)
	v_mul_f32_e32 v170, v0, v1
	v_xor_b32_e32 v171, 0x80000000, v1
.LBB81_14:
	s_and_not1_saveexec_b32 s1, s1
	s_cbranch_execz .LBB81_16
; %bb.15:
	v_div_scale_f32 v0, null, v168, v168, v169
	v_div_scale_f32 v5, vcc_lo, v169, v168, v169
	s_delay_alu instid0(VALU_DEP_2) | instskip(SKIP_1) | instid1(TRANS32_DEP_1)
	v_rcp_f32_e32 v1, v0
	v_nop
	v_fma_f32 v4, -v0, v1, 1.0
	s_delay_alu instid0(VALU_DEP_1) | instskip(NEXT) | instid1(VALU_DEP_1)
	v_fmac_f32_e32 v1, v4, v1
	v_mul_f32_e32 v4, v5, v1
	s_delay_alu instid0(VALU_DEP_1) | instskip(NEXT) | instid1(VALU_DEP_1)
	v_fma_f32 v170, -v0, v4, v5
	v_fmac_f32_e32 v4, v170, v1
	s_delay_alu instid0(VALU_DEP_1) | instskip(NEXT) | instid1(VALU_DEP_1)
	v_fma_f32 v0, -v0, v4, v5
	v_div_fmas_f32 v0, v0, v1, v4
	s_delay_alu instid0(VALU_DEP_1) | instskip(NEXT) | instid1(VALU_DEP_1)
	v_div_fixup_f32 v0, v0, v168, v169
	v_fmac_f32_e32 v168, v169, v0
	s_delay_alu instid0(VALU_DEP_1) | instskip(NEXT) | instid1(VALU_DEP_1)
	v_div_scale_f32 v1, null, v168, v168, 1.0
	v_rcp_f32_e32 v4, v1
	v_nop
	s_delay_alu instid0(TRANS32_DEP_1) | instskip(NEXT) | instid1(VALU_DEP_1)
	v_fma_f32 v5, -v1, v4, 1.0
	v_fmac_f32_e32 v4, v5, v4
	v_div_scale_f32 v5, vcc_lo, 1.0, v168, 1.0
	s_delay_alu instid0(VALU_DEP_1) | instskip(NEXT) | instid1(VALU_DEP_1)
	v_mul_f32_e32 v169, v5, v4
	v_fma_f32 v170, -v1, v169, v5
	s_delay_alu instid0(VALU_DEP_1) | instskip(NEXT) | instid1(VALU_DEP_1)
	v_fmac_f32_e32 v169, v170, v4
	v_fma_f32 v1, -v1, v169, v5
	s_delay_alu instid0(VALU_DEP_1) | instskip(NEXT) | instid1(VALU_DEP_1)
	v_div_fmas_f32 v1, v1, v4, v169
	v_div_fixup_f32 v170, v1, v168, 1.0
	s_delay_alu instid0(VALU_DEP_1)
	v_mul_f32_e64 v171, v0, -v170
.LBB81_16:
	s_or_b32 exec_lo, exec_lo, s1
	ds_store_b64 v249, v[170:171]
.LBB81_17:
	s_or_b32 exec_lo, exec_lo, s2
	s_wait_dscnt 0x0
	s_barrier_signal -1
	s_barrier_wait -1
	ds_load_b64 v[168:169], v249
	s_mov_b32 s1, exec_lo
	v_cmpx_lt_u32_e32 1, v248
	s_cbranch_execz .LBB81_19
; %bb.18:
	ds_load_2addr_b64 v[174:177], v250 offset0:2 offset1:3
	s_wait_dscnt 0x1
	v_pk_mul_f32 v[172:173], v[168:169], v[44:45] op_sel:[1,1] op_sel_hi:[0,1]
	s_delay_alu instid0(VALU_DEP_1) | instskip(SKIP_1) | instid1(VALU_DEP_1)
	v_pk_fma_f32 v[170:171], v[168:169], v[44:45], v[172:173] op_sel_hi:[1,0,1] neg_lo:[0,0,1] neg_hi:[0,0,1]
	v_pk_fma_f32 v[172:173], v[168:169], v[44:45], v[172:173] op_sel_hi:[1,0,1]
	v_dual_mov_b32 v44, v170 :: v_dual_mov_b32 v45, v173
	s_wait_dscnt 0x0
	s_delay_alu instid0(VALU_DEP_2) | instskip(NEXT) | instid1(VALU_DEP_1)
	v_pk_mul_f32 v[178:179], v[174:175], v[172:173] op_sel:[0,1]
	v_pk_fma_f32 v[180:181], v[174:175], v[170:171], v[178:179] op_sel:[0,0,1] op_sel_hi:[1,1,0] neg_lo:[0,0,1] neg_hi:[0,0,1]
	v_pk_fma_f32 v[174:175], v[174:175], v[170:171], v[178:179] op_sel:[0,0,1] op_sel_hi:[1,0,0]
	s_delay_alu instid0(VALU_DEP_1) | instskip(SKIP_1) | instid1(VALU_DEP_1)
	v_mov_b32_e32 v181, v175
	v_pk_mul_f32 v[174:175], v[176:177], v[172:173] op_sel:[0,1]
	v_pk_fma_f32 v[178:179], v[176:177], v[170:171], v[174:175] op_sel:[0,0,1] op_sel_hi:[1,1,0] neg_lo:[0,0,1] neg_hi:[0,0,1]
	v_pk_fma_f32 v[174:175], v[176:177], v[170:171], v[174:175] op_sel:[0,0,1] op_sel_hi:[1,0,0]
	s_delay_alu instid0(VALU_DEP_1)
	v_mov_b32_e32 v179, v175
	ds_load_2addr_b64 v[174:177], v250 offset0:4 offset1:5
	v_pk_add_f32 v[34:35], v[34:35], v[180:181] neg_lo:[0,1] neg_hi:[0,1]
	v_pk_add_f32 v[32:33], v[32:33], v[178:179] neg_lo:[0,1] neg_hi:[0,1]
	s_wait_dscnt 0x0
	v_pk_mul_f32 v[178:179], v[174:175], v[172:173] op_sel:[0,1]
	s_delay_alu instid0(VALU_DEP_1) | instskip(SKIP_2) | instid1(VALU_DEP_2)
	v_pk_fma_f32 v[180:181], v[174:175], v[170:171], v[178:179] op_sel:[0,0,1] op_sel_hi:[1,1,0] neg_lo:[0,0,1] neg_hi:[0,0,1]
	v_pk_fma_f32 v[174:175], v[174:175], v[170:171], v[178:179] op_sel:[0,0,1] op_sel_hi:[1,0,0]
	v_dual_mul_f32 v178, v177, v173 :: v_dual_mov_b32 v174, v177
	v_dual_mov_b32 v181, v175 :: v_dual_mov_b32 v175, v176
	s_delay_alu instid0(VALU_DEP_2) | instskip(SKIP_1) | instid1(VALU_DEP_3)
	v_pk_fma_f32 v[178:179], v[176:177], v[44:45], v[178:179] op_sel_hi:[1,1,0] neg_lo:[0,0,1] neg_hi:[0,0,1]
	v_mul_f32_e32 v176, v177, v170
	v_pk_add_f32 v[22:23], v[22:23], v[180:181] neg_lo:[0,1] neg_hi:[0,1]
	s_delay_alu instid0(VALU_DEP_2) | instskip(NEXT) | instid1(VALU_DEP_1)
	v_pk_fma_f32 v[174:175], v[174:175], v[44:45], v[176:177] op_sel_hi:[1,1,0]
	v_mov_b32_e32 v179, v175
	ds_load_2addr_b64 v[174:177], v250 offset0:6 offset1:7
	v_pk_add_f32 v[58:59], v[58:59], v[178:179] neg_lo:[0,1] neg_hi:[0,1]
	s_wait_dscnt 0x0
	v_pk_mul_f32 v[178:179], v[174:175], v[172:173] op_sel:[0,1]
	s_delay_alu instid0(VALU_DEP_1) | instskip(SKIP_1) | instid1(VALU_DEP_1)
	v_pk_fma_f32 v[180:181], v[174:175], v[170:171], v[178:179] op_sel:[0,0,1] op_sel_hi:[1,1,0] neg_lo:[0,0,1] neg_hi:[0,0,1]
	v_pk_fma_f32 v[174:175], v[174:175], v[170:171], v[178:179] op_sel:[0,0,1] op_sel_hi:[1,0,0]
	v_mov_b32_e32 v181, v175
	v_pk_mul_f32 v[174:175], v[176:177], v[172:173] op_sel:[0,1]
	s_delay_alu instid0(VALU_DEP_1) | instskip(SKIP_1) | instid1(VALU_DEP_1)
	v_pk_fma_f32 v[178:179], v[176:177], v[170:171], v[174:175] op_sel:[0,0,1] op_sel_hi:[1,1,0] neg_lo:[0,0,1] neg_hi:[0,0,1]
	v_pk_fma_f32 v[174:175], v[176:177], v[170:171], v[174:175] op_sel:[0,0,1] op_sel_hi:[1,0,0]
	v_mov_b32_e32 v179, v175
	ds_load_2addr_b64 v[174:177], v250 offset0:8 offset1:9
	v_pk_add_f32 v[60:61], v[60:61], v[180:181] neg_lo:[0,1] neg_hi:[0,1]
	v_pk_add_f32 v[56:57], v[56:57], v[178:179] neg_lo:[0,1] neg_hi:[0,1]
	s_wait_dscnt 0x0
	v_pk_mul_f32 v[178:179], v[174:175], v[172:173] op_sel:[0,1]
	s_delay_alu instid0(VALU_DEP_1) | instskip(SKIP_1) | instid1(VALU_DEP_1)
	v_pk_fma_f32 v[180:181], v[174:175], v[170:171], v[178:179] op_sel:[0,0,1] op_sel_hi:[1,1,0] neg_lo:[0,0,1] neg_hi:[0,0,1]
	v_pk_fma_f32 v[174:175], v[174:175], v[170:171], v[178:179] op_sel:[0,0,1] op_sel_hi:[1,0,0]
	v_mov_b32_e32 v181, v175
	v_pk_mul_f32 v[174:175], v[176:177], v[172:173] op_sel:[0,1]
	s_delay_alu instid0(VALU_DEP_1) | instskip(SKIP_1) | instid1(VALU_DEP_1)
	v_pk_fma_f32 v[178:179], v[176:177], v[170:171], v[174:175] op_sel:[0,0,1] op_sel_hi:[1,1,0] neg_lo:[0,0,1] neg_hi:[0,0,1]
	v_pk_fma_f32 v[174:175], v[176:177], v[170:171], v[174:175] op_sel:[0,0,1] op_sel_hi:[1,0,0]
	v_mov_b32_e32 v179, v175
	ds_load_2addr_b64 v[174:177], v250 offset0:10 offset1:11
	v_pk_add_f32 v[74:75], v[74:75], v[180:181] neg_lo:[0,1] neg_hi:[0,1]
	v_pk_add_f32 v[72:73], v[72:73], v[178:179] neg_lo:[0,1] neg_hi:[0,1]
	s_wait_dscnt 0x0
	v_dual_mul_f32 v178, v175, v173 :: v_dual_mul_f32 v180, v175, v170
	s_delay_alu instid0(VALU_DEP_1) | instskip(NEXT) | instid1(VALU_DEP_2)
	v_pk_fma_f32 v[178:179], v[174:175], v[44:45], v[178:179] op_sel_hi:[1,1,0] neg_lo:[0,0,1] neg_hi:[0,0,1]
	v_pk_fma_f32 v[174:175], v[174:175], v[44:45], v[180:181] op_sel:[1,0,0] op_sel_hi:[0,1,0]
	s_delay_alu instid0(VALU_DEP_1) | instskip(SKIP_1) | instid1(VALU_DEP_2)
	v_mov_b32_e32 v179, v175
	v_pk_mul_f32 v[174:175], v[176:177], v[172:173] op_sel:[0,1]
	v_pk_add_f32 v[54:55], v[54:55], v[178:179] neg_lo:[0,1] neg_hi:[0,1]
	s_delay_alu instid0(VALU_DEP_2) | instskip(SKIP_1) | instid1(VALU_DEP_1)
	v_pk_fma_f32 v[178:179], v[176:177], v[170:171], v[174:175] op_sel:[0,0,1] op_sel_hi:[1,1,0] neg_lo:[0,0,1] neg_hi:[0,0,1]
	v_pk_fma_f32 v[174:175], v[176:177], v[170:171], v[174:175] op_sel:[0,0,1] op_sel_hi:[1,0,0]
	v_mov_b32_e32 v179, v175
	ds_load_2addr_b64 v[174:177], v250 offset0:12 offset1:13
	v_pk_add_f32 v[70:71], v[70:71], v[178:179] neg_lo:[0,1] neg_hi:[0,1]
	s_wait_dscnt 0x0
	v_pk_mul_f32 v[178:179], v[174:175], v[172:173] op_sel:[0,1]
	s_delay_alu instid0(VALU_DEP_1) | instskip(SKIP_1) | instid1(VALU_DEP_1)
	v_pk_fma_f32 v[180:181], v[174:175], v[170:171], v[178:179] op_sel:[0,0,1] op_sel_hi:[1,1,0] neg_lo:[0,0,1] neg_hi:[0,0,1]
	v_pk_fma_f32 v[174:175], v[174:175], v[170:171], v[178:179] op_sel:[0,0,1] op_sel_hi:[1,0,0]
	v_mov_b32_e32 v181, v175
	v_pk_mul_f32 v[174:175], v[176:177], v[172:173] op_sel:[0,1]
	s_delay_alu instid0(VALU_DEP_2) | instskip(NEXT) | instid1(VALU_DEP_2)
	v_pk_add_f32 v[94:95], v[94:95], v[180:181] neg_lo:[0,1] neg_hi:[0,1]
	v_pk_fma_f32 v[178:179], v[176:177], v[170:171], v[174:175] op_sel:[0,0,1] op_sel_hi:[1,1,0] neg_lo:[0,0,1] neg_hi:[0,0,1]
	v_pk_fma_f32 v[174:175], v[176:177], v[170:171], v[174:175] op_sel:[0,0,1] op_sel_hi:[1,0,0]
	s_delay_alu instid0(VALU_DEP_1) | instskip(SKIP_4) | instid1(VALU_DEP_1)
	v_mov_b32_e32 v179, v175
	ds_load_2addr_b64 v[174:177], v250 offset0:14 offset1:15
	v_pk_add_f32 v[90:91], v[90:91], v[178:179] neg_lo:[0,1] neg_hi:[0,1]
	s_wait_dscnt 0x0
	v_pk_mul_f32 v[178:179], v[174:175], v[172:173] op_sel:[0,1]
	v_pk_fma_f32 v[180:181], v[174:175], v[170:171], v[178:179] op_sel:[0,0,1] op_sel_hi:[1,1,0] neg_lo:[0,0,1] neg_hi:[0,0,1]
	v_pk_fma_f32 v[174:175], v[174:175], v[170:171], v[178:179] op_sel:[0,0,1] op_sel_hi:[1,0,0]
	v_dual_mul_f32 v178, v177, v173 :: v_dual_mov_b32 v174, v177
	s_delay_alu instid0(VALU_DEP_2) | instskip(NEXT) | instid1(VALU_DEP_2)
	v_dual_mov_b32 v181, v175 :: v_dual_mov_b32 v175, v176
	v_pk_fma_f32 v[178:179], v[176:177], v[44:45], v[178:179] op_sel_hi:[1,1,0] neg_lo:[0,0,1] neg_hi:[0,0,1]
	v_mul_f32_e32 v176, v177, v170
	s_delay_alu instid0(VALU_DEP_3) | instskip(NEXT) | instid1(VALU_DEP_2)
	v_pk_add_f32 v[92:93], v[92:93], v[180:181] neg_lo:[0,1] neg_hi:[0,1]
	v_pk_fma_f32 v[174:175], v[174:175], v[44:45], v[176:177] op_sel_hi:[1,1,0]
	s_delay_alu instid0(VALU_DEP_1) | instskip(SKIP_4) | instid1(VALU_DEP_1)
	v_mov_b32_e32 v179, v175
	ds_load_2addr_b64 v[174:177], v250 offset0:16 offset1:17
	v_pk_add_f32 v[88:89], v[88:89], v[178:179] neg_lo:[0,1] neg_hi:[0,1]
	s_wait_dscnt 0x0
	v_pk_mul_f32 v[178:179], v[174:175], v[172:173] op_sel:[0,1]
	v_pk_fma_f32 v[180:181], v[174:175], v[170:171], v[178:179] op_sel:[0,0,1] op_sel_hi:[1,1,0] neg_lo:[0,0,1] neg_hi:[0,0,1]
	v_pk_fma_f32 v[174:175], v[174:175], v[170:171], v[178:179] op_sel:[0,0,1] op_sel_hi:[1,0,0]
	s_delay_alu instid0(VALU_DEP_1) | instskip(SKIP_1) | instid1(VALU_DEP_1)
	v_mov_b32_e32 v181, v175
	v_pk_mul_f32 v[174:175], v[176:177], v[172:173] op_sel:[0,1]
	v_pk_fma_f32 v[178:179], v[176:177], v[170:171], v[174:175] op_sel:[0,0,1] op_sel_hi:[1,1,0] neg_lo:[0,0,1] neg_hi:[0,0,1]
	v_pk_fma_f32 v[174:175], v[176:177], v[170:171], v[174:175] op_sel:[0,0,1] op_sel_hi:[1,0,0]
	s_delay_alu instid0(VALU_DEP_1)
	v_mov_b32_e32 v179, v175
	ds_load_2addr_b64 v[174:177], v250 offset0:18 offset1:19
	v_pk_add_f32 v[118:119], v[118:119], v[180:181] neg_lo:[0,1] neg_hi:[0,1]
	v_pk_add_f32 v[86:87], v[86:87], v[178:179] neg_lo:[0,1] neg_hi:[0,1]
	s_wait_dscnt 0x0
	v_pk_mul_f32 v[178:179], v[174:175], v[172:173] op_sel:[0,1]
	s_delay_alu instid0(VALU_DEP_1) | instskip(SKIP_1) | instid1(VALU_DEP_1)
	v_pk_fma_f32 v[180:181], v[174:175], v[170:171], v[178:179] op_sel:[0,0,1] op_sel_hi:[1,1,0] neg_lo:[0,0,1] neg_hi:[0,0,1]
	v_pk_fma_f32 v[174:175], v[174:175], v[170:171], v[178:179] op_sel:[0,0,1] op_sel_hi:[1,0,0]
	v_mov_b32_e32 v181, v175
	v_pk_mul_f32 v[174:175], v[176:177], v[172:173] op_sel:[0,1]
	s_delay_alu instid0(VALU_DEP_1) | instskip(SKIP_1) | instid1(VALU_DEP_1)
	v_pk_fma_f32 v[178:179], v[176:177], v[170:171], v[174:175] op_sel:[0,0,1] op_sel_hi:[1,1,0] neg_lo:[0,0,1] neg_hi:[0,0,1]
	v_pk_fma_f32 v[174:175], v[176:177], v[170:171], v[174:175] op_sel:[0,0,1] op_sel_hi:[1,0,0]
	v_mov_b32_e32 v179, v175
	ds_load_2addr_b64 v[174:177], v250 offset0:20 offset1:21
	v_pk_add_f32 v[116:117], v[116:117], v[180:181] neg_lo:[0,1] neg_hi:[0,1]
	v_pk_add_f32 v[114:115], v[114:115], v[178:179] neg_lo:[0,1] neg_hi:[0,1]
	s_wait_dscnt 0x0
	v_dual_mul_f32 v178, v175, v173 :: v_dual_mul_f32 v180, v175, v170
	s_delay_alu instid0(VALU_DEP_1) | instskip(NEXT) | instid1(VALU_DEP_2)
	v_pk_fma_f32 v[178:179], v[174:175], v[44:45], v[178:179] op_sel_hi:[1,1,0] neg_lo:[0,0,1] neg_hi:[0,0,1]
	v_pk_fma_f32 v[174:175], v[174:175], v[44:45], v[180:181] op_sel:[1,0,0] op_sel_hi:[0,1,0]
	s_delay_alu instid0(VALU_DEP_1) | instskip(SKIP_1) | instid1(VALU_DEP_2)
	v_mov_b32_e32 v179, v175
	v_pk_mul_f32 v[174:175], v[176:177], v[172:173] op_sel:[0,1]
	v_pk_add_f32 v[146:147], v[146:147], v[178:179] neg_lo:[0,1] neg_hi:[0,1]
	s_delay_alu instid0(VALU_DEP_2) | instskip(SKIP_1) | instid1(VALU_DEP_1)
	v_pk_fma_f32 v[178:179], v[176:177], v[170:171], v[174:175] op_sel:[0,0,1] op_sel_hi:[1,1,0] neg_lo:[0,0,1] neg_hi:[0,0,1]
	v_pk_fma_f32 v[174:175], v[176:177], v[170:171], v[174:175] op_sel:[0,0,1] op_sel_hi:[1,0,0]
	v_mov_b32_e32 v179, v175
	ds_load_2addr_b64 v[174:177], v250 offset0:22 offset1:23
	v_pk_add_f32 v[112:113], v[112:113], v[178:179] neg_lo:[0,1] neg_hi:[0,1]
	s_wait_dscnt 0x0
	v_pk_mul_f32 v[178:179], v[174:175], v[172:173] op_sel:[0,1]
	s_delay_alu instid0(VALU_DEP_1) | instskip(SKIP_1) | instid1(VALU_DEP_1)
	v_pk_fma_f32 v[180:181], v[174:175], v[170:171], v[178:179] op_sel:[0,0,1] op_sel_hi:[1,1,0] neg_lo:[0,0,1] neg_hi:[0,0,1]
	v_pk_fma_f32 v[174:175], v[174:175], v[170:171], v[178:179] op_sel:[0,0,1] op_sel_hi:[1,0,0]
	v_mov_b32_e32 v181, v175
	v_pk_mul_f32 v[174:175], v[176:177], v[172:173] op_sel:[0,1]
	s_delay_alu instid0(VALU_DEP_2) | instskip(NEXT) | instid1(VALU_DEP_2)
	v_pk_add_f32 v[144:145], v[144:145], v[180:181] neg_lo:[0,1] neg_hi:[0,1]
	v_pk_fma_f32 v[178:179], v[176:177], v[170:171], v[174:175] op_sel:[0,0,1] op_sel_hi:[1,1,0] neg_lo:[0,0,1] neg_hi:[0,0,1]
	v_pk_fma_f32 v[174:175], v[176:177], v[170:171], v[174:175] op_sel:[0,0,1] op_sel_hi:[1,0,0]
	s_delay_alu instid0(VALU_DEP_1) | instskip(SKIP_4) | instid1(VALU_DEP_1)
	v_mov_b32_e32 v179, v175
	ds_load_2addr_b64 v[174:177], v250 offset0:24 offset1:25
	v_pk_add_f32 v[76:77], v[76:77], v[178:179] neg_lo:[0,1] neg_hi:[0,1]
	s_wait_dscnt 0x0
	v_pk_mul_f32 v[178:179], v[174:175], v[172:173] op_sel:[0,1]
	v_pk_fma_f32 v[180:181], v[174:175], v[170:171], v[178:179] op_sel:[0,0,1] op_sel_hi:[1,1,0] neg_lo:[0,0,1] neg_hi:[0,0,1]
	v_pk_fma_f32 v[174:175], v[174:175], v[170:171], v[178:179] op_sel:[0,0,1] op_sel_hi:[1,0,0]
	v_dual_mul_f32 v178, v177, v173 :: v_dual_mov_b32 v174, v177
	s_delay_alu instid0(VALU_DEP_2) | instskip(NEXT) | instid1(VALU_DEP_2)
	v_dual_mov_b32 v181, v175 :: v_dual_mov_b32 v175, v176
	v_pk_fma_f32 v[178:179], v[176:177], v[44:45], v[178:179] op_sel_hi:[1,1,0] neg_lo:[0,0,1] neg_hi:[0,0,1]
	v_mul_f32_e32 v176, v177, v170
	s_delay_alu instid0(VALU_DEP_3) | instskip(NEXT) | instid1(VALU_DEP_2)
	v_pk_add_f32 v[102:103], v[102:103], v[180:181] neg_lo:[0,1] neg_hi:[0,1]
	v_pk_fma_f32 v[174:175], v[174:175], v[44:45], v[176:177] op_sel_hi:[1,1,0]
	s_delay_alu instid0(VALU_DEP_1) | instskip(SKIP_4) | instid1(VALU_DEP_1)
	v_mov_b32_e32 v179, v175
	ds_load_2addr_b64 v[174:177], v250 offset0:26 offset1:27
	v_pk_add_f32 v[98:99], v[98:99], v[178:179] neg_lo:[0,1] neg_hi:[0,1]
	s_wait_dscnt 0x0
	v_pk_mul_f32 v[178:179], v[174:175], v[172:173] op_sel:[0,1]
	v_pk_fma_f32 v[180:181], v[174:175], v[170:171], v[178:179] op_sel:[0,0,1] op_sel_hi:[1,1,0] neg_lo:[0,0,1] neg_hi:[0,0,1]
	v_pk_fma_f32 v[174:175], v[174:175], v[170:171], v[178:179] op_sel:[0,0,1] op_sel_hi:[1,0,0]
	s_delay_alu instid0(VALU_DEP_1) | instskip(SKIP_1) | instid1(VALU_DEP_1)
	v_mov_b32_e32 v181, v175
	v_pk_mul_f32 v[174:175], v[176:177], v[172:173] op_sel:[0,1]
	v_pk_fma_f32 v[178:179], v[176:177], v[170:171], v[174:175] op_sel:[0,0,1] op_sel_hi:[1,1,0] neg_lo:[0,0,1] neg_hi:[0,0,1]
	v_pk_fma_f32 v[174:175], v[176:177], v[170:171], v[174:175] op_sel:[0,0,1] op_sel_hi:[1,0,0]
	s_delay_alu instid0(VALU_DEP_1)
	v_mov_b32_e32 v179, v175
	ds_load_2addr_b64 v[174:177], v250 offset0:28 offset1:29
	v_pk_add_f32 v[100:101], v[100:101], v[180:181] neg_lo:[0,1] neg_hi:[0,1]
	v_pk_add_f32 v[96:97], v[96:97], v[178:179] neg_lo:[0,1] neg_hi:[0,1]
	s_wait_dscnt 0x0
	v_pk_mul_f32 v[178:179], v[174:175], v[172:173] op_sel:[0,1]
	s_delay_alu instid0(VALU_DEP_1) | instskip(SKIP_1) | instid1(VALU_DEP_1)
	v_pk_fma_f32 v[180:181], v[174:175], v[170:171], v[178:179] op_sel:[0,0,1] op_sel_hi:[1,1,0] neg_lo:[0,0,1] neg_hi:[0,0,1]
	v_pk_fma_f32 v[174:175], v[174:175], v[170:171], v[178:179] op_sel:[0,0,1] op_sel_hi:[1,0,0]
	v_mov_b32_e32 v181, v175
	v_pk_mul_f32 v[174:175], v[176:177], v[172:173] op_sel:[0,1]
	s_delay_alu instid0(VALU_DEP_1) | instskip(SKIP_1) | instid1(VALU_DEP_1)
	v_pk_fma_f32 v[178:179], v[176:177], v[170:171], v[174:175] op_sel:[0,0,1] op_sel_hi:[1,1,0] neg_lo:[0,0,1] neg_hi:[0,0,1]
	v_pk_fma_f32 v[174:175], v[176:177], v[170:171], v[174:175] op_sel:[0,0,1] op_sel_hi:[1,0,0]
	v_mov_b32_e32 v179, v175
	ds_load_2addr_b64 v[174:177], v250 offset0:30 offset1:31
	v_pk_add_f32 v[132:133], v[132:133], v[180:181] neg_lo:[0,1] neg_hi:[0,1]
	v_pk_add_f32 v[128:129], v[128:129], v[178:179] neg_lo:[0,1] neg_hi:[0,1]
	s_wait_dscnt 0x0
	v_dual_mul_f32 v178, v175, v173 :: v_dual_mul_f32 v180, v175, v170
	s_delay_alu instid0(VALU_DEP_1) | instskip(NEXT) | instid1(VALU_DEP_2)
	v_pk_fma_f32 v[178:179], v[174:175], v[44:45], v[178:179] op_sel_hi:[1,1,0] neg_lo:[0,0,1] neg_hi:[0,0,1]
	v_pk_fma_f32 v[174:175], v[174:175], v[44:45], v[180:181] op_sel:[1,0,0] op_sel_hi:[0,1,0]
	s_delay_alu instid0(VALU_DEP_1) | instskip(SKIP_1) | instid1(VALU_DEP_2)
	v_mov_b32_e32 v179, v175
	v_pk_mul_f32 v[174:175], v[176:177], v[172:173] op_sel:[0,1]
	v_pk_add_f32 v[130:131], v[130:131], v[178:179] neg_lo:[0,1] neg_hi:[0,1]
	s_delay_alu instid0(VALU_DEP_2) | instskip(SKIP_1) | instid1(VALU_DEP_1)
	v_pk_fma_f32 v[178:179], v[176:177], v[170:171], v[174:175] op_sel:[0,0,1] op_sel_hi:[1,1,0] neg_lo:[0,0,1] neg_hi:[0,0,1]
	v_pk_fma_f32 v[174:175], v[176:177], v[170:171], v[174:175] op_sel:[0,0,1] op_sel_hi:[1,0,0]
	v_mov_b32_e32 v179, v175
	ds_load_2addr_b64 v[174:177], v250 offset0:32 offset1:33
	v_pk_add_f32 v[126:127], v[126:127], v[178:179] neg_lo:[0,1] neg_hi:[0,1]
	s_wait_dscnt 0x0
	v_pk_mul_f32 v[178:179], v[174:175], v[172:173] op_sel:[0,1]
	s_delay_alu instid0(VALU_DEP_1) | instskip(SKIP_1) | instid1(VALU_DEP_1)
	v_pk_fma_f32 v[180:181], v[174:175], v[170:171], v[178:179] op_sel:[0,0,1] op_sel_hi:[1,1,0] neg_lo:[0,0,1] neg_hi:[0,0,1]
	v_pk_fma_f32 v[174:175], v[174:175], v[170:171], v[178:179] op_sel:[0,0,1] op_sel_hi:[1,0,0]
	v_mov_b32_e32 v181, v175
	v_pk_mul_f32 v[174:175], v[176:177], v[172:173] op_sel:[0,1]
	s_delay_alu instid0(VALU_DEP_2) | instskip(NEXT) | instid1(VALU_DEP_2)
	v_pk_add_f32 v[160:161], v[160:161], v[180:181] neg_lo:[0,1] neg_hi:[0,1]
	v_pk_fma_f32 v[178:179], v[176:177], v[170:171], v[174:175] op_sel:[0,0,1] op_sel_hi:[1,1,0] neg_lo:[0,0,1] neg_hi:[0,0,1]
	v_pk_fma_f32 v[174:175], v[176:177], v[170:171], v[174:175] op_sel:[0,0,1] op_sel_hi:[1,0,0]
	s_delay_alu instid0(VALU_DEP_1) | instskip(SKIP_4) | instid1(VALU_DEP_1)
	v_mov_b32_e32 v179, v175
	ds_load_2addr_b64 v[174:177], v250 offset0:34 offset1:35
	v_pk_add_f32 v[152:153], v[152:153], v[178:179] neg_lo:[0,1] neg_hi:[0,1]
	s_wait_dscnt 0x0
	v_pk_mul_f32 v[178:179], v[174:175], v[172:173] op_sel:[0,1]
	v_pk_fma_f32 v[180:181], v[174:175], v[170:171], v[178:179] op_sel:[0,0,1] op_sel_hi:[1,1,0] neg_lo:[0,0,1] neg_hi:[0,0,1]
	v_pk_fma_f32 v[174:175], v[174:175], v[170:171], v[178:179] op_sel:[0,0,1] op_sel_hi:[1,0,0]
	v_dual_mul_f32 v178, v177, v173 :: v_dual_mov_b32 v174, v177
	s_delay_alu instid0(VALU_DEP_2) | instskip(NEXT) | instid1(VALU_DEP_2)
	v_dual_mov_b32 v181, v175 :: v_dual_mov_b32 v175, v176
	v_pk_fma_f32 v[178:179], v[176:177], v[44:45], v[178:179] op_sel_hi:[1,1,0] neg_lo:[0,0,1] neg_hi:[0,0,1]
	v_mul_f32_e32 v176, v177, v170
	s_delay_alu instid0(VALU_DEP_3) | instskip(NEXT) | instid1(VALU_DEP_2)
	v_pk_add_f32 v[158:159], v[158:159], v[180:181] neg_lo:[0,1] neg_hi:[0,1]
	v_pk_fma_f32 v[174:175], v[174:175], v[44:45], v[176:177] op_sel_hi:[1,1,0]
	s_delay_alu instid0(VALU_DEP_1) | instskip(SKIP_4) | instid1(VALU_DEP_1)
	v_mov_b32_e32 v179, v175
	ds_load_2addr_b64 v[174:177], v250 offset0:36 offset1:37
	v_pk_add_f32 v[150:151], v[150:151], v[178:179] neg_lo:[0,1] neg_hi:[0,1]
	s_wait_dscnt 0x0
	v_pk_mul_f32 v[178:179], v[174:175], v[172:173] op_sel:[0,1]
	v_pk_fma_f32 v[180:181], v[174:175], v[170:171], v[178:179] op_sel:[0,0,1] op_sel_hi:[1,1,0] neg_lo:[0,0,1] neg_hi:[0,0,1]
	v_pk_fma_f32 v[174:175], v[174:175], v[170:171], v[178:179] op_sel:[0,0,1] op_sel_hi:[1,0,0]
	s_delay_alu instid0(VALU_DEP_1) | instskip(SKIP_1) | instid1(VALU_DEP_1)
	v_mov_b32_e32 v181, v175
	v_pk_mul_f32 v[174:175], v[176:177], v[172:173] op_sel:[0,1]
	v_pk_fma_f32 v[178:179], v[176:177], v[170:171], v[174:175] op_sel:[0,0,1] op_sel_hi:[1,1,0] neg_lo:[0,0,1] neg_hi:[0,0,1]
	v_pk_fma_f32 v[174:175], v[176:177], v[170:171], v[174:175] op_sel:[0,0,1] op_sel_hi:[1,0,0]
	s_delay_alu instid0(VALU_DEP_1)
	v_mov_b32_e32 v179, v175
	ds_load_2addr_b64 v[174:177], v250 offset0:38 offset1:39
	v_pk_add_f32 v[156:157], v[156:157], v[180:181] neg_lo:[0,1] neg_hi:[0,1]
	v_pk_add_f32 v[148:149], v[148:149], v[178:179] neg_lo:[0,1] neg_hi:[0,1]
	s_wait_dscnt 0x0
	v_pk_mul_f32 v[178:179], v[174:175], v[172:173] op_sel:[0,1]
	s_delay_alu instid0(VALU_DEP_1) | instskip(SKIP_1) | instid1(VALU_DEP_1)
	v_pk_fma_f32 v[180:181], v[174:175], v[170:171], v[178:179] op_sel:[0,0,1] op_sel_hi:[1,1,0] neg_lo:[0,0,1] neg_hi:[0,0,1]
	v_pk_fma_f32 v[174:175], v[174:175], v[170:171], v[178:179] op_sel:[0,0,1] op_sel_hi:[1,0,0]
	v_mov_b32_e32 v181, v175
	v_pk_mul_f32 v[174:175], v[176:177], v[172:173] op_sel:[0,1]
	s_delay_alu instid0(VALU_DEP_1) | instskip(SKIP_1) | instid1(VALU_DEP_1)
	v_pk_fma_f32 v[178:179], v[176:177], v[170:171], v[174:175] op_sel:[0,0,1] op_sel_hi:[1,1,0] neg_lo:[0,0,1] neg_hi:[0,0,1]
	v_pk_fma_f32 v[174:175], v[176:177], v[170:171], v[174:175] op_sel:[0,0,1] op_sel_hi:[1,0,0]
	v_mov_b32_e32 v179, v175
	ds_load_b64 v[174:175], v250 offset:320
	v_pk_add_f32 v[154:155], v[154:155], v[180:181] neg_lo:[0,1] neg_hi:[0,1]
	v_pk_add_f32 v[162:163], v[162:163], v[178:179] neg_lo:[0,1] neg_hi:[0,1]
	s_wait_dscnt 0x0
	v_pk_mul_f32 v[172:173], v[174:175], v[172:173] op_sel:[0,1]
	s_delay_alu instid0(VALU_DEP_1) | instskip(SKIP_1) | instid1(VALU_DEP_1)
	v_pk_fma_f32 v[176:177], v[174:175], v[170:171], v[172:173] op_sel:[0,0,1] op_sel_hi:[1,1,0] neg_lo:[0,0,1] neg_hi:[0,0,1]
	v_pk_fma_f32 v[170:171], v[174:175], v[170:171], v[172:173] op_sel:[0,0,1] op_sel_hi:[1,0,0]
	v_mov_b32_e32 v177, v171
	s_delay_alu instid0(VALU_DEP_1)
	v_pk_add_f32 v[164:165], v[164:165], v[176:177] neg_lo:[0,1] neg_hi:[0,1]
.LBB81_19:
	s_or_b32 exec_lo, exec_lo, s1
	s_delay_alu instid0(SALU_CYCLE_1)
	s_mov_b32 s2, exec_lo
	s_wait_dscnt 0x0
	s_barrier_signal -1
	s_barrier_wait -1
	v_cmpx_eq_u32_e32 2, v248
	s_cbranch_execz .LBB81_26
; %bb.20:
	ds_store_b64 v249, v[34:35]
	ds_store_2addr_b64 v250, v[32:33], v[22:23] offset0:3 offset1:4
	ds_store_2addr_b64 v250, v[58:59], v[60:61] offset0:5 offset1:6
	;; [unrolled: 1-line block ×19, first 2 shown]
	ds_load_b64 v[170:171], v249
	s_wait_dscnt 0x0
	v_cmp_neq_f32_e32 vcc_lo, 0, v170
	v_cmp_neq_f32_e64 s1, 0, v171
	s_or_b32 s1, vcc_lo, s1
	s_delay_alu instid0(SALU_CYCLE_1)
	s_and_b32 exec_lo, exec_lo, s1
	s_cbranch_execz .LBB81_26
; %bb.21:
	v_cmp_ngt_f32_e64 s1, |v170|, |v171|
                                        ; implicit-def: $vgpr172_vgpr173
	s_and_saveexec_b32 s4, s1
	s_delay_alu instid0(SALU_CYCLE_1)
	s_xor_b32 s1, exec_lo, s4
	s_cbranch_execz .LBB81_23
; %bb.22:
	v_div_scale_f32 v0, null, v171, v171, v170
	v_div_scale_f32 v5, vcc_lo, v170, v171, v170
	s_delay_alu instid0(VALU_DEP_2) | instskip(SKIP_1) | instid1(TRANS32_DEP_1)
	v_rcp_f32_e32 v1, v0
	v_nop
	v_fma_f32 v4, -v0, v1, 1.0
	s_delay_alu instid0(VALU_DEP_1) | instskip(NEXT) | instid1(VALU_DEP_1)
	v_fmac_f32_e32 v1, v4, v1
	v_mul_f32_e32 v4, v5, v1
	s_delay_alu instid0(VALU_DEP_1) | instskip(NEXT) | instid1(VALU_DEP_1)
	v_fma_f32 v172, -v0, v4, v5
	v_fmac_f32_e32 v4, v172, v1
	s_delay_alu instid0(VALU_DEP_1) | instskip(NEXT) | instid1(VALU_DEP_1)
	v_fma_f32 v0, -v0, v4, v5
	v_div_fmas_f32 v0, v0, v1, v4
	s_delay_alu instid0(VALU_DEP_1) | instskip(NEXT) | instid1(VALU_DEP_1)
	v_div_fixup_f32 v0, v0, v171, v170
	v_fmac_f32_e32 v171, v170, v0
	s_delay_alu instid0(VALU_DEP_1) | instskip(SKIP_1) | instid1(VALU_DEP_2)
	v_div_scale_f32 v1, null, v171, v171, 1.0
	v_div_scale_f32 v170, vcc_lo, 1.0, v171, 1.0
	v_rcp_f32_e32 v4, v1
	v_nop
	s_delay_alu instid0(TRANS32_DEP_1) | instskip(NEXT) | instid1(VALU_DEP_1)
	v_fma_f32 v5, -v1, v4, 1.0
	v_fmac_f32_e32 v4, v5, v4
	s_delay_alu instid0(VALU_DEP_1) | instskip(NEXT) | instid1(VALU_DEP_1)
	v_mul_f32_e32 v5, v170, v4
	v_fma_f32 v172, -v1, v5, v170
	s_delay_alu instid0(VALU_DEP_1) | instskip(NEXT) | instid1(VALU_DEP_1)
	v_fmac_f32_e32 v5, v172, v4
	v_fma_f32 v1, -v1, v5, v170
	s_delay_alu instid0(VALU_DEP_1) | instskip(NEXT) | instid1(VALU_DEP_1)
	v_div_fmas_f32 v1, v1, v4, v5
	v_div_fixup_f32 v1, v1, v171, 1.0
                                        ; implicit-def: $vgpr170_vgpr171
	s_delay_alu instid0(VALU_DEP_1)
	v_mul_f32_e32 v172, v0, v1
	v_xor_b32_e32 v173, 0x80000000, v1
.LBB81_23:
	s_and_not1_saveexec_b32 s1, s1
	s_cbranch_execz .LBB81_25
; %bb.24:
	v_div_scale_f32 v0, null, v170, v170, v171
	v_div_scale_f32 v5, vcc_lo, v171, v170, v171
	s_delay_alu instid0(VALU_DEP_2) | instskip(SKIP_1) | instid1(TRANS32_DEP_1)
	v_rcp_f32_e32 v1, v0
	v_nop
	v_fma_f32 v4, -v0, v1, 1.0
	s_delay_alu instid0(VALU_DEP_1) | instskip(NEXT) | instid1(VALU_DEP_1)
	v_fmac_f32_e32 v1, v4, v1
	v_mul_f32_e32 v4, v5, v1
	s_delay_alu instid0(VALU_DEP_1) | instskip(NEXT) | instid1(VALU_DEP_1)
	v_fma_f32 v172, -v0, v4, v5
	v_fmac_f32_e32 v4, v172, v1
	s_delay_alu instid0(VALU_DEP_1) | instskip(NEXT) | instid1(VALU_DEP_1)
	v_fma_f32 v0, -v0, v4, v5
	v_div_fmas_f32 v0, v0, v1, v4
	s_delay_alu instid0(VALU_DEP_1) | instskip(NEXT) | instid1(VALU_DEP_1)
	v_div_fixup_f32 v0, v0, v170, v171
	v_fmac_f32_e32 v170, v171, v0
	s_delay_alu instid0(VALU_DEP_1) | instskip(NEXT) | instid1(VALU_DEP_1)
	v_div_scale_f32 v1, null, v170, v170, 1.0
	v_rcp_f32_e32 v4, v1
	v_nop
	s_delay_alu instid0(TRANS32_DEP_1) | instskip(NEXT) | instid1(VALU_DEP_1)
	v_fma_f32 v5, -v1, v4, 1.0
	v_fmac_f32_e32 v4, v5, v4
	v_div_scale_f32 v5, vcc_lo, 1.0, v170, 1.0
	s_delay_alu instid0(VALU_DEP_1) | instskip(NEXT) | instid1(VALU_DEP_1)
	v_mul_f32_e32 v171, v5, v4
	v_fma_f32 v172, -v1, v171, v5
	s_delay_alu instid0(VALU_DEP_1) | instskip(NEXT) | instid1(VALU_DEP_1)
	v_fmac_f32_e32 v171, v172, v4
	v_fma_f32 v1, -v1, v171, v5
	s_delay_alu instid0(VALU_DEP_1) | instskip(NEXT) | instid1(VALU_DEP_1)
	v_div_fmas_f32 v1, v1, v4, v171
	v_div_fixup_f32 v172, v1, v170, 1.0
	s_delay_alu instid0(VALU_DEP_1)
	v_mul_f32_e64 v173, v0, -v172
.LBB81_25:
	s_or_b32 exec_lo, exec_lo, s1
	ds_store_b64 v249, v[172:173]
.LBB81_26:
	s_or_b32 exec_lo, exec_lo, s2
	s_wait_dscnt 0x0
	s_barrier_signal -1
	s_barrier_wait -1
	ds_load_b64 v[170:171], v249
	s_mov_b32 s1, exec_lo
	v_cmpx_lt_u32_e32 2, v248
	s_cbranch_execz .LBB81_28
; %bb.27:
	ds_load_2addr_b64 v[176:179], v250 offset0:3 offset1:4
	s_wait_dscnt 0x1
	v_pk_mul_f32 v[174:175], v[170:171], v[34:35] op_sel:[1,1] op_sel_hi:[0,1]
	s_delay_alu instid0(VALU_DEP_1) | instskip(SKIP_1) | instid1(VALU_DEP_1)
	v_pk_fma_f32 v[172:173], v[170:171], v[34:35], v[174:175] op_sel_hi:[1,0,1] neg_lo:[0,0,1] neg_hi:[0,0,1]
	v_pk_fma_f32 v[174:175], v[170:171], v[34:35], v[174:175] op_sel_hi:[1,0,1]
	v_dual_mov_b32 v34, v172 :: v_dual_mov_b32 v35, v175
	s_wait_dscnt 0x0
	s_delay_alu instid0(VALU_DEP_2) | instskip(NEXT) | instid1(VALU_DEP_1)
	v_pk_mul_f32 v[180:181], v[176:177], v[174:175] op_sel:[0,1]
	v_pk_fma_f32 v[182:183], v[176:177], v[172:173], v[180:181] op_sel:[0,0,1] op_sel_hi:[1,1,0] neg_lo:[0,0,1] neg_hi:[0,0,1]
	v_pk_fma_f32 v[176:177], v[176:177], v[172:173], v[180:181] op_sel:[0,0,1] op_sel_hi:[1,0,0]
	s_delay_alu instid0(VALU_DEP_1) | instskip(SKIP_1) | instid1(VALU_DEP_1)
	v_mov_b32_e32 v183, v177
	v_pk_mul_f32 v[176:177], v[178:179], v[174:175] op_sel:[0,1]
	v_pk_fma_f32 v[180:181], v[178:179], v[172:173], v[176:177] op_sel:[0,0,1] op_sel_hi:[1,1,0] neg_lo:[0,0,1] neg_hi:[0,0,1]
	v_pk_fma_f32 v[176:177], v[178:179], v[172:173], v[176:177] op_sel:[0,0,1] op_sel_hi:[1,0,0]
	s_delay_alu instid0(VALU_DEP_1)
	v_mov_b32_e32 v181, v177
	ds_load_2addr_b64 v[176:179], v250 offset0:5 offset1:6
	v_pk_add_f32 v[32:33], v[32:33], v[182:183] neg_lo:[0,1] neg_hi:[0,1]
	v_pk_add_f32 v[22:23], v[22:23], v[180:181] neg_lo:[0,1] neg_hi:[0,1]
	s_wait_dscnt 0x0
	v_pk_mul_f32 v[180:181], v[176:177], v[174:175] op_sel:[0,1]
	s_delay_alu instid0(VALU_DEP_1) | instskip(SKIP_2) | instid1(VALU_DEP_2)
	v_pk_fma_f32 v[182:183], v[176:177], v[172:173], v[180:181] op_sel:[0,0,1] op_sel_hi:[1,1,0] neg_lo:[0,0,1] neg_hi:[0,0,1]
	v_pk_fma_f32 v[176:177], v[176:177], v[172:173], v[180:181] op_sel:[0,0,1] op_sel_hi:[1,0,0]
	v_dual_mul_f32 v180, v179, v175 :: v_dual_mov_b32 v176, v179
	v_dual_mov_b32 v183, v177 :: v_dual_mov_b32 v177, v178
	s_delay_alu instid0(VALU_DEP_2) | instskip(SKIP_1) | instid1(VALU_DEP_3)
	v_pk_fma_f32 v[180:181], v[178:179], v[34:35], v[180:181] op_sel_hi:[1,1,0] neg_lo:[0,0,1] neg_hi:[0,0,1]
	v_mul_f32_e32 v178, v179, v172
	v_pk_add_f32 v[58:59], v[58:59], v[182:183] neg_lo:[0,1] neg_hi:[0,1]
	s_delay_alu instid0(VALU_DEP_2) | instskip(NEXT) | instid1(VALU_DEP_1)
	v_pk_fma_f32 v[176:177], v[176:177], v[34:35], v[178:179] op_sel_hi:[1,1,0]
	v_mov_b32_e32 v181, v177
	ds_load_2addr_b64 v[176:179], v250 offset0:7 offset1:8
	v_pk_add_f32 v[60:61], v[60:61], v[180:181] neg_lo:[0,1] neg_hi:[0,1]
	s_wait_dscnt 0x0
	v_pk_mul_f32 v[180:181], v[176:177], v[174:175] op_sel:[0,1]
	s_delay_alu instid0(VALU_DEP_1) | instskip(SKIP_1) | instid1(VALU_DEP_1)
	v_pk_fma_f32 v[182:183], v[176:177], v[172:173], v[180:181] op_sel:[0,0,1] op_sel_hi:[1,1,0] neg_lo:[0,0,1] neg_hi:[0,0,1]
	v_pk_fma_f32 v[176:177], v[176:177], v[172:173], v[180:181] op_sel:[0,0,1] op_sel_hi:[1,0,0]
	v_mov_b32_e32 v183, v177
	v_pk_mul_f32 v[176:177], v[178:179], v[174:175] op_sel:[0,1]
	s_delay_alu instid0(VALU_DEP_1) | instskip(SKIP_1) | instid1(VALU_DEP_1)
	v_pk_fma_f32 v[180:181], v[178:179], v[172:173], v[176:177] op_sel:[0,0,1] op_sel_hi:[1,1,0] neg_lo:[0,0,1] neg_hi:[0,0,1]
	v_pk_fma_f32 v[176:177], v[178:179], v[172:173], v[176:177] op_sel:[0,0,1] op_sel_hi:[1,0,0]
	v_mov_b32_e32 v181, v177
	ds_load_2addr_b64 v[176:179], v250 offset0:9 offset1:10
	v_pk_add_f32 v[56:57], v[56:57], v[182:183] neg_lo:[0,1] neg_hi:[0,1]
	v_pk_add_f32 v[74:75], v[74:75], v[180:181] neg_lo:[0,1] neg_hi:[0,1]
	s_wait_dscnt 0x0
	v_pk_mul_f32 v[180:181], v[176:177], v[174:175] op_sel:[0,1]
	s_delay_alu instid0(VALU_DEP_1) | instskip(SKIP_1) | instid1(VALU_DEP_1)
	v_pk_fma_f32 v[182:183], v[176:177], v[172:173], v[180:181] op_sel:[0,0,1] op_sel_hi:[1,1,0] neg_lo:[0,0,1] neg_hi:[0,0,1]
	v_pk_fma_f32 v[176:177], v[176:177], v[172:173], v[180:181] op_sel:[0,0,1] op_sel_hi:[1,0,0]
	v_mov_b32_e32 v183, v177
	v_pk_mul_f32 v[176:177], v[178:179], v[174:175] op_sel:[0,1]
	s_delay_alu instid0(VALU_DEP_1) | instskip(SKIP_1) | instid1(VALU_DEP_1)
	v_pk_fma_f32 v[180:181], v[178:179], v[172:173], v[176:177] op_sel:[0,0,1] op_sel_hi:[1,1,0] neg_lo:[0,0,1] neg_hi:[0,0,1]
	v_pk_fma_f32 v[176:177], v[178:179], v[172:173], v[176:177] op_sel:[0,0,1] op_sel_hi:[1,0,0]
	v_mov_b32_e32 v181, v177
	ds_load_2addr_b64 v[176:179], v250 offset0:11 offset1:12
	v_pk_add_f32 v[72:73], v[72:73], v[182:183] neg_lo:[0,1] neg_hi:[0,1]
	v_pk_add_f32 v[54:55], v[54:55], v[180:181] neg_lo:[0,1] neg_hi:[0,1]
	s_wait_dscnt 0x0
	v_dual_mul_f32 v180, v177, v175 :: v_dual_mul_f32 v182, v177, v172
	s_delay_alu instid0(VALU_DEP_1) | instskip(NEXT) | instid1(VALU_DEP_2)
	v_pk_fma_f32 v[180:181], v[176:177], v[34:35], v[180:181] op_sel_hi:[1,1,0] neg_lo:[0,0,1] neg_hi:[0,0,1]
	v_pk_fma_f32 v[176:177], v[176:177], v[34:35], v[182:183] op_sel:[1,0,0] op_sel_hi:[0,1,0]
	s_delay_alu instid0(VALU_DEP_1) | instskip(SKIP_1) | instid1(VALU_DEP_2)
	v_mov_b32_e32 v181, v177
	v_pk_mul_f32 v[176:177], v[178:179], v[174:175] op_sel:[0,1]
	v_pk_add_f32 v[70:71], v[70:71], v[180:181] neg_lo:[0,1] neg_hi:[0,1]
	s_delay_alu instid0(VALU_DEP_2) | instskip(SKIP_1) | instid1(VALU_DEP_1)
	v_pk_fma_f32 v[180:181], v[178:179], v[172:173], v[176:177] op_sel:[0,0,1] op_sel_hi:[1,1,0] neg_lo:[0,0,1] neg_hi:[0,0,1]
	v_pk_fma_f32 v[176:177], v[178:179], v[172:173], v[176:177] op_sel:[0,0,1] op_sel_hi:[1,0,0]
	v_mov_b32_e32 v181, v177
	ds_load_2addr_b64 v[176:179], v250 offset0:13 offset1:14
	v_pk_add_f32 v[94:95], v[94:95], v[180:181] neg_lo:[0,1] neg_hi:[0,1]
	s_wait_dscnt 0x0
	v_pk_mul_f32 v[180:181], v[176:177], v[174:175] op_sel:[0,1]
	s_delay_alu instid0(VALU_DEP_1) | instskip(SKIP_1) | instid1(VALU_DEP_1)
	v_pk_fma_f32 v[182:183], v[176:177], v[172:173], v[180:181] op_sel:[0,0,1] op_sel_hi:[1,1,0] neg_lo:[0,0,1] neg_hi:[0,0,1]
	v_pk_fma_f32 v[176:177], v[176:177], v[172:173], v[180:181] op_sel:[0,0,1] op_sel_hi:[1,0,0]
	v_mov_b32_e32 v183, v177
	v_pk_mul_f32 v[176:177], v[178:179], v[174:175] op_sel:[0,1]
	s_delay_alu instid0(VALU_DEP_2) | instskip(NEXT) | instid1(VALU_DEP_2)
	v_pk_add_f32 v[90:91], v[90:91], v[182:183] neg_lo:[0,1] neg_hi:[0,1]
	v_pk_fma_f32 v[180:181], v[178:179], v[172:173], v[176:177] op_sel:[0,0,1] op_sel_hi:[1,1,0] neg_lo:[0,0,1] neg_hi:[0,0,1]
	v_pk_fma_f32 v[176:177], v[178:179], v[172:173], v[176:177] op_sel:[0,0,1] op_sel_hi:[1,0,0]
	s_delay_alu instid0(VALU_DEP_1) | instskip(SKIP_4) | instid1(VALU_DEP_1)
	v_mov_b32_e32 v181, v177
	ds_load_2addr_b64 v[176:179], v250 offset0:15 offset1:16
	v_pk_add_f32 v[92:93], v[92:93], v[180:181] neg_lo:[0,1] neg_hi:[0,1]
	s_wait_dscnt 0x0
	v_pk_mul_f32 v[180:181], v[176:177], v[174:175] op_sel:[0,1]
	v_pk_fma_f32 v[182:183], v[176:177], v[172:173], v[180:181] op_sel:[0,0,1] op_sel_hi:[1,1,0] neg_lo:[0,0,1] neg_hi:[0,0,1]
	v_pk_fma_f32 v[176:177], v[176:177], v[172:173], v[180:181] op_sel:[0,0,1] op_sel_hi:[1,0,0]
	v_dual_mul_f32 v180, v179, v175 :: v_dual_mov_b32 v176, v179
	s_delay_alu instid0(VALU_DEP_2) | instskip(NEXT) | instid1(VALU_DEP_2)
	v_dual_mov_b32 v183, v177 :: v_dual_mov_b32 v177, v178
	v_pk_fma_f32 v[180:181], v[178:179], v[34:35], v[180:181] op_sel_hi:[1,1,0] neg_lo:[0,0,1] neg_hi:[0,0,1]
	v_mul_f32_e32 v178, v179, v172
	s_delay_alu instid0(VALU_DEP_3) | instskip(NEXT) | instid1(VALU_DEP_2)
	v_pk_add_f32 v[88:89], v[88:89], v[182:183] neg_lo:[0,1] neg_hi:[0,1]
	v_pk_fma_f32 v[176:177], v[176:177], v[34:35], v[178:179] op_sel_hi:[1,1,0]
	s_delay_alu instid0(VALU_DEP_1) | instskip(SKIP_4) | instid1(VALU_DEP_1)
	v_mov_b32_e32 v181, v177
	ds_load_2addr_b64 v[176:179], v250 offset0:17 offset1:18
	v_pk_add_f32 v[118:119], v[118:119], v[180:181] neg_lo:[0,1] neg_hi:[0,1]
	s_wait_dscnt 0x0
	v_pk_mul_f32 v[180:181], v[176:177], v[174:175] op_sel:[0,1]
	v_pk_fma_f32 v[182:183], v[176:177], v[172:173], v[180:181] op_sel:[0,0,1] op_sel_hi:[1,1,0] neg_lo:[0,0,1] neg_hi:[0,0,1]
	v_pk_fma_f32 v[176:177], v[176:177], v[172:173], v[180:181] op_sel:[0,0,1] op_sel_hi:[1,0,0]
	s_delay_alu instid0(VALU_DEP_1) | instskip(SKIP_1) | instid1(VALU_DEP_1)
	v_mov_b32_e32 v183, v177
	v_pk_mul_f32 v[176:177], v[178:179], v[174:175] op_sel:[0,1]
	v_pk_fma_f32 v[180:181], v[178:179], v[172:173], v[176:177] op_sel:[0,0,1] op_sel_hi:[1,1,0] neg_lo:[0,0,1] neg_hi:[0,0,1]
	v_pk_fma_f32 v[176:177], v[178:179], v[172:173], v[176:177] op_sel:[0,0,1] op_sel_hi:[1,0,0]
	s_delay_alu instid0(VALU_DEP_1)
	v_mov_b32_e32 v181, v177
	ds_load_2addr_b64 v[176:179], v250 offset0:19 offset1:20
	v_pk_add_f32 v[86:87], v[86:87], v[182:183] neg_lo:[0,1] neg_hi:[0,1]
	v_pk_add_f32 v[116:117], v[116:117], v[180:181] neg_lo:[0,1] neg_hi:[0,1]
	s_wait_dscnt 0x0
	v_pk_mul_f32 v[180:181], v[176:177], v[174:175] op_sel:[0,1]
	s_delay_alu instid0(VALU_DEP_1) | instskip(SKIP_1) | instid1(VALU_DEP_1)
	v_pk_fma_f32 v[182:183], v[176:177], v[172:173], v[180:181] op_sel:[0,0,1] op_sel_hi:[1,1,0] neg_lo:[0,0,1] neg_hi:[0,0,1]
	v_pk_fma_f32 v[176:177], v[176:177], v[172:173], v[180:181] op_sel:[0,0,1] op_sel_hi:[1,0,0]
	v_mov_b32_e32 v183, v177
	v_pk_mul_f32 v[176:177], v[178:179], v[174:175] op_sel:[0,1]
	s_delay_alu instid0(VALU_DEP_1) | instskip(SKIP_1) | instid1(VALU_DEP_1)
	v_pk_fma_f32 v[180:181], v[178:179], v[172:173], v[176:177] op_sel:[0,0,1] op_sel_hi:[1,1,0] neg_lo:[0,0,1] neg_hi:[0,0,1]
	v_pk_fma_f32 v[176:177], v[178:179], v[172:173], v[176:177] op_sel:[0,0,1] op_sel_hi:[1,0,0]
	v_mov_b32_e32 v181, v177
	ds_load_2addr_b64 v[176:179], v250 offset0:21 offset1:22
	v_pk_add_f32 v[114:115], v[114:115], v[182:183] neg_lo:[0,1] neg_hi:[0,1]
	v_pk_add_f32 v[146:147], v[146:147], v[180:181] neg_lo:[0,1] neg_hi:[0,1]
	s_wait_dscnt 0x0
	v_dual_mul_f32 v180, v177, v175 :: v_dual_mul_f32 v182, v177, v172
	s_delay_alu instid0(VALU_DEP_1) | instskip(NEXT) | instid1(VALU_DEP_2)
	v_pk_fma_f32 v[180:181], v[176:177], v[34:35], v[180:181] op_sel_hi:[1,1,0] neg_lo:[0,0,1] neg_hi:[0,0,1]
	v_pk_fma_f32 v[176:177], v[176:177], v[34:35], v[182:183] op_sel:[1,0,0] op_sel_hi:[0,1,0]
	s_delay_alu instid0(VALU_DEP_1) | instskip(SKIP_1) | instid1(VALU_DEP_2)
	v_mov_b32_e32 v181, v177
	v_pk_mul_f32 v[176:177], v[178:179], v[174:175] op_sel:[0,1]
	v_pk_add_f32 v[112:113], v[112:113], v[180:181] neg_lo:[0,1] neg_hi:[0,1]
	s_delay_alu instid0(VALU_DEP_2) | instskip(SKIP_1) | instid1(VALU_DEP_1)
	v_pk_fma_f32 v[180:181], v[178:179], v[172:173], v[176:177] op_sel:[0,0,1] op_sel_hi:[1,1,0] neg_lo:[0,0,1] neg_hi:[0,0,1]
	v_pk_fma_f32 v[176:177], v[178:179], v[172:173], v[176:177] op_sel:[0,0,1] op_sel_hi:[1,0,0]
	v_mov_b32_e32 v181, v177
	ds_load_2addr_b64 v[176:179], v250 offset0:23 offset1:24
	v_pk_add_f32 v[144:145], v[144:145], v[180:181] neg_lo:[0,1] neg_hi:[0,1]
	s_wait_dscnt 0x0
	v_pk_mul_f32 v[180:181], v[176:177], v[174:175] op_sel:[0,1]
	s_delay_alu instid0(VALU_DEP_1) | instskip(SKIP_1) | instid1(VALU_DEP_1)
	v_pk_fma_f32 v[182:183], v[176:177], v[172:173], v[180:181] op_sel:[0,0,1] op_sel_hi:[1,1,0] neg_lo:[0,0,1] neg_hi:[0,0,1]
	v_pk_fma_f32 v[176:177], v[176:177], v[172:173], v[180:181] op_sel:[0,0,1] op_sel_hi:[1,0,0]
	v_mov_b32_e32 v183, v177
	v_pk_mul_f32 v[176:177], v[178:179], v[174:175] op_sel:[0,1]
	s_delay_alu instid0(VALU_DEP_2) | instskip(NEXT) | instid1(VALU_DEP_2)
	v_pk_add_f32 v[76:77], v[76:77], v[182:183] neg_lo:[0,1] neg_hi:[0,1]
	v_pk_fma_f32 v[180:181], v[178:179], v[172:173], v[176:177] op_sel:[0,0,1] op_sel_hi:[1,1,0] neg_lo:[0,0,1] neg_hi:[0,0,1]
	v_pk_fma_f32 v[176:177], v[178:179], v[172:173], v[176:177] op_sel:[0,0,1] op_sel_hi:[1,0,0]
	s_delay_alu instid0(VALU_DEP_1) | instskip(SKIP_4) | instid1(VALU_DEP_1)
	v_mov_b32_e32 v181, v177
	ds_load_2addr_b64 v[176:179], v250 offset0:25 offset1:26
	v_pk_add_f32 v[102:103], v[102:103], v[180:181] neg_lo:[0,1] neg_hi:[0,1]
	s_wait_dscnt 0x0
	v_pk_mul_f32 v[180:181], v[176:177], v[174:175] op_sel:[0,1]
	v_pk_fma_f32 v[182:183], v[176:177], v[172:173], v[180:181] op_sel:[0,0,1] op_sel_hi:[1,1,0] neg_lo:[0,0,1] neg_hi:[0,0,1]
	v_pk_fma_f32 v[176:177], v[176:177], v[172:173], v[180:181] op_sel:[0,0,1] op_sel_hi:[1,0,0]
	v_dual_mul_f32 v180, v179, v175 :: v_dual_mov_b32 v176, v179
	s_delay_alu instid0(VALU_DEP_2) | instskip(NEXT) | instid1(VALU_DEP_2)
	v_dual_mov_b32 v183, v177 :: v_dual_mov_b32 v177, v178
	v_pk_fma_f32 v[180:181], v[178:179], v[34:35], v[180:181] op_sel_hi:[1,1,0] neg_lo:[0,0,1] neg_hi:[0,0,1]
	v_mul_f32_e32 v178, v179, v172
	s_delay_alu instid0(VALU_DEP_3) | instskip(NEXT) | instid1(VALU_DEP_2)
	v_pk_add_f32 v[98:99], v[98:99], v[182:183] neg_lo:[0,1] neg_hi:[0,1]
	v_pk_fma_f32 v[176:177], v[176:177], v[34:35], v[178:179] op_sel_hi:[1,1,0]
	s_delay_alu instid0(VALU_DEP_1) | instskip(SKIP_4) | instid1(VALU_DEP_1)
	v_mov_b32_e32 v181, v177
	ds_load_2addr_b64 v[176:179], v250 offset0:27 offset1:28
	v_pk_add_f32 v[100:101], v[100:101], v[180:181] neg_lo:[0,1] neg_hi:[0,1]
	s_wait_dscnt 0x0
	v_pk_mul_f32 v[180:181], v[176:177], v[174:175] op_sel:[0,1]
	v_pk_fma_f32 v[182:183], v[176:177], v[172:173], v[180:181] op_sel:[0,0,1] op_sel_hi:[1,1,0] neg_lo:[0,0,1] neg_hi:[0,0,1]
	v_pk_fma_f32 v[176:177], v[176:177], v[172:173], v[180:181] op_sel:[0,0,1] op_sel_hi:[1,0,0]
	s_delay_alu instid0(VALU_DEP_1) | instskip(SKIP_1) | instid1(VALU_DEP_1)
	v_mov_b32_e32 v183, v177
	v_pk_mul_f32 v[176:177], v[178:179], v[174:175] op_sel:[0,1]
	v_pk_fma_f32 v[180:181], v[178:179], v[172:173], v[176:177] op_sel:[0,0,1] op_sel_hi:[1,1,0] neg_lo:[0,0,1] neg_hi:[0,0,1]
	v_pk_fma_f32 v[176:177], v[178:179], v[172:173], v[176:177] op_sel:[0,0,1] op_sel_hi:[1,0,0]
	s_delay_alu instid0(VALU_DEP_1)
	v_mov_b32_e32 v181, v177
	ds_load_2addr_b64 v[176:179], v250 offset0:29 offset1:30
	v_pk_add_f32 v[96:97], v[96:97], v[182:183] neg_lo:[0,1] neg_hi:[0,1]
	v_pk_add_f32 v[132:133], v[132:133], v[180:181] neg_lo:[0,1] neg_hi:[0,1]
	s_wait_dscnt 0x0
	v_pk_mul_f32 v[180:181], v[176:177], v[174:175] op_sel:[0,1]
	s_delay_alu instid0(VALU_DEP_1) | instskip(SKIP_1) | instid1(VALU_DEP_1)
	v_pk_fma_f32 v[182:183], v[176:177], v[172:173], v[180:181] op_sel:[0,0,1] op_sel_hi:[1,1,0] neg_lo:[0,0,1] neg_hi:[0,0,1]
	v_pk_fma_f32 v[176:177], v[176:177], v[172:173], v[180:181] op_sel:[0,0,1] op_sel_hi:[1,0,0]
	v_mov_b32_e32 v183, v177
	v_pk_mul_f32 v[176:177], v[178:179], v[174:175] op_sel:[0,1]
	s_delay_alu instid0(VALU_DEP_1) | instskip(SKIP_1) | instid1(VALU_DEP_1)
	v_pk_fma_f32 v[180:181], v[178:179], v[172:173], v[176:177] op_sel:[0,0,1] op_sel_hi:[1,1,0] neg_lo:[0,0,1] neg_hi:[0,0,1]
	v_pk_fma_f32 v[176:177], v[178:179], v[172:173], v[176:177] op_sel:[0,0,1] op_sel_hi:[1,0,0]
	v_mov_b32_e32 v181, v177
	ds_load_2addr_b64 v[176:179], v250 offset0:31 offset1:32
	v_pk_add_f32 v[128:129], v[128:129], v[182:183] neg_lo:[0,1] neg_hi:[0,1]
	v_pk_add_f32 v[130:131], v[130:131], v[180:181] neg_lo:[0,1] neg_hi:[0,1]
	s_wait_dscnt 0x0
	v_dual_mul_f32 v180, v177, v175 :: v_dual_mul_f32 v182, v177, v172
	s_delay_alu instid0(VALU_DEP_1) | instskip(NEXT) | instid1(VALU_DEP_2)
	v_pk_fma_f32 v[180:181], v[176:177], v[34:35], v[180:181] op_sel_hi:[1,1,0] neg_lo:[0,0,1] neg_hi:[0,0,1]
	v_pk_fma_f32 v[176:177], v[176:177], v[34:35], v[182:183] op_sel:[1,0,0] op_sel_hi:[0,1,0]
	s_delay_alu instid0(VALU_DEP_1) | instskip(SKIP_1) | instid1(VALU_DEP_2)
	v_mov_b32_e32 v181, v177
	v_pk_mul_f32 v[176:177], v[178:179], v[174:175] op_sel:[0,1]
	v_pk_add_f32 v[126:127], v[126:127], v[180:181] neg_lo:[0,1] neg_hi:[0,1]
	s_delay_alu instid0(VALU_DEP_2) | instskip(SKIP_1) | instid1(VALU_DEP_1)
	v_pk_fma_f32 v[180:181], v[178:179], v[172:173], v[176:177] op_sel:[0,0,1] op_sel_hi:[1,1,0] neg_lo:[0,0,1] neg_hi:[0,0,1]
	v_pk_fma_f32 v[176:177], v[178:179], v[172:173], v[176:177] op_sel:[0,0,1] op_sel_hi:[1,0,0]
	v_mov_b32_e32 v181, v177
	ds_load_2addr_b64 v[176:179], v250 offset0:33 offset1:34
	v_pk_add_f32 v[160:161], v[160:161], v[180:181] neg_lo:[0,1] neg_hi:[0,1]
	s_wait_dscnt 0x0
	v_pk_mul_f32 v[180:181], v[176:177], v[174:175] op_sel:[0,1]
	s_delay_alu instid0(VALU_DEP_1) | instskip(SKIP_1) | instid1(VALU_DEP_1)
	v_pk_fma_f32 v[182:183], v[176:177], v[172:173], v[180:181] op_sel:[0,0,1] op_sel_hi:[1,1,0] neg_lo:[0,0,1] neg_hi:[0,0,1]
	v_pk_fma_f32 v[176:177], v[176:177], v[172:173], v[180:181] op_sel:[0,0,1] op_sel_hi:[1,0,0]
	v_mov_b32_e32 v183, v177
	v_pk_mul_f32 v[176:177], v[178:179], v[174:175] op_sel:[0,1]
	s_delay_alu instid0(VALU_DEP_2) | instskip(NEXT) | instid1(VALU_DEP_2)
	v_pk_add_f32 v[152:153], v[152:153], v[182:183] neg_lo:[0,1] neg_hi:[0,1]
	v_pk_fma_f32 v[180:181], v[178:179], v[172:173], v[176:177] op_sel:[0,0,1] op_sel_hi:[1,1,0] neg_lo:[0,0,1] neg_hi:[0,0,1]
	v_pk_fma_f32 v[176:177], v[178:179], v[172:173], v[176:177] op_sel:[0,0,1] op_sel_hi:[1,0,0]
	s_delay_alu instid0(VALU_DEP_1) | instskip(SKIP_4) | instid1(VALU_DEP_1)
	v_mov_b32_e32 v181, v177
	ds_load_2addr_b64 v[176:179], v250 offset0:35 offset1:36
	v_pk_add_f32 v[158:159], v[158:159], v[180:181] neg_lo:[0,1] neg_hi:[0,1]
	s_wait_dscnt 0x0
	v_pk_mul_f32 v[180:181], v[176:177], v[174:175] op_sel:[0,1]
	v_pk_fma_f32 v[182:183], v[176:177], v[172:173], v[180:181] op_sel:[0,0,1] op_sel_hi:[1,1,0] neg_lo:[0,0,1] neg_hi:[0,0,1]
	v_pk_fma_f32 v[176:177], v[176:177], v[172:173], v[180:181] op_sel:[0,0,1] op_sel_hi:[1,0,0]
	v_dual_mul_f32 v180, v179, v175 :: v_dual_mov_b32 v176, v179
	s_delay_alu instid0(VALU_DEP_2) | instskip(NEXT) | instid1(VALU_DEP_2)
	v_dual_mov_b32 v183, v177 :: v_dual_mov_b32 v177, v178
	v_pk_fma_f32 v[180:181], v[178:179], v[34:35], v[180:181] op_sel_hi:[1,1,0] neg_lo:[0,0,1] neg_hi:[0,0,1]
	v_mul_f32_e32 v178, v179, v172
	s_delay_alu instid0(VALU_DEP_3) | instskip(NEXT) | instid1(VALU_DEP_2)
	v_pk_add_f32 v[150:151], v[150:151], v[182:183] neg_lo:[0,1] neg_hi:[0,1]
	v_pk_fma_f32 v[176:177], v[176:177], v[34:35], v[178:179] op_sel_hi:[1,1,0]
	s_delay_alu instid0(VALU_DEP_1) | instskip(SKIP_4) | instid1(VALU_DEP_1)
	v_mov_b32_e32 v181, v177
	ds_load_2addr_b64 v[176:179], v250 offset0:37 offset1:38
	v_pk_add_f32 v[156:157], v[156:157], v[180:181] neg_lo:[0,1] neg_hi:[0,1]
	s_wait_dscnt 0x0
	v_pk_mul_f32 v[180:181], v[176:177], v[174:175] op_sel:[0,1]
	v_pk_fma_f32 v[182:183], v[176:177], v[172:173], v[180:181] op_sel:[0,0,1] op_sel_hi:[1,1,0] neg_lo:[0,0,1] neg_hi:[0,0,1]
	v_pk_fma_f32 v[176:177], v[176:177], v[172:173], v[180:181] op_sel:[0,0,1] op_sel_hi:[1,0,0]
	s_delay_alu instid0(VALU_DEP_1) | instskip(SKIP_1) | instid1(VALU_DEP_1)
	v_mov_b32_e32 v183, v177
	v_pk_mul_f32 v[176:177], v[178:179], v[174:175] op_sel:[0,1]
	v_pk_fma_f32 v[180:181], v[178:179], v[172:173], v[176:177] op_sel:[0,0,1] op_sel_hi:[1,1,0] neg_lo:[0,0,1] neg_hi:[0,0,1]
	v_pk_fma_f32 v[176:177], v[178:179], v[172:173], v[176:177] op_sel:[0,0,1] op_sel_hi:[1,0,0]
	s_delay_alu instid0(VALU_DEP_1)
	v_mov_b32_e32 v181, v177
	ds_load_2addr_b64 v[176:179], v250 offset0:39 offset1:40
	v_pk_add_f32 v[148:149], v[148:149], v[182:183] neg_lo:[0,1] neg_hi:[0,1]
	v_pk_add_f32 v[154:155], v[154:155], v[180:181] neg_lo:[0,1] neg_hi:[0,1]
	s_wait_dscnt 0x0
	v_pk_mul_f32 v[180:181], v[176:177], v[174:175] op_sel:[0,1]
	v_pk_mul_f32 v[174:175], v[178:179], v[174:175] op_sel:[0,1]
	s_delay_alu instid0(VALU_DEP_2) | instskip(SKIP_1) | instid1(VALU_DEP_1)
	v_pk_fma_f32 v[182:183], v[176:177], v[172:173], v[180:181] op_sel:[0,0,1] op_sel_hi:[1,1,0] neg_lo:[0,0,1] neg_hi:[0,0,1]
	v_pk_fma_f32 v[176:177], v[176:177], v[172:173], v[180:181] op_sel:[0,0,1] op_sel_hi:[1,0,0]
	v_mov_b32_e32 v183, v177
	s_delay_alu instid0(VALU_DEP_4) | instskip(SKIP_1) | instid1(VALU_DEP_1)
	v_pk_fma_f32 v[176:177], v[178:179], v[172:173], v[174:175] op_sel:[0,0,1] op_sel_hi:[1,1,0] neg_lo:[0,0,1] neg_hi:[0,0,1]
	v_pk_fma_f32 v[172:173], v[178:179], v[172:173], v[174:175] op_sel:[0,0,1] op_sel_hi:[1,0,0]
	v_mov_b32_e32 v177, v173
	s_delay_alu instid0(VALU_DEP_4) | instskip(NEXT) | instid1(VALU_DEP_2)
	v_pk_add_f32 v[162:163], v[162:163], v[182:183] neg_lo:[0,1] neg_hi:[0,1]
	v_pk_add_f32 v[164:165], v[164:165], v[176:177] neg_lo:[0,1] neg_hi:[0,1]
.LBB81_28:
	s_or_b32 exec_lo, exec_lo, s1
	s_delay_alu instid0(SALU_CYCLE_1)
	s_mov_b32 s2, exec_lo
	s_wait_dscnt 0x0
	s_barrier_signal -1
	s_barrier_wait -1
	v_cmpx_eq_u32_e32 3, v248
	s_cbranch_execz .LBB81_35
; %bb.29:
	v_dual_mov_b32 v172, v22 :: v_dual_mov_b32 v173, v23
	v_dual_mov_b32 v174, v58 :: v_dual_mov_b32 v175, v59
	ds_store_b64 v249, v[32:33]
	ds_store_2addr_b64 v250, v[172:173], v[174:175] offset0:4 offset1:5
	v_dual_mov_b32 v172, v60 :: v_dual_mov_b32 v173, v61
	v_dual_mov_b32 v174, v56 :: v_dual_mov_b32 v175, v57
	ds_store_2addr_b64 v250, v[172:173], v[174:175] offset0:6 offset1:7
	v_dual_mov_b32 v172, v74 :: v_dual_mov_b32 v173, v75
	v_dual_mov_b32 v174, v72 :: v_dual_mov_b32 v175, v73
	;; [unrolled: 3-line block ×17, first 2 shown]
	ds_store_2addr_b64 v250, v[172:173], v[174:175] offset0:38 offset1:39
	ds_store_b64 v250, v[164:165] offset:320
	ds_load_b64 v[172:173], v249
	s_wait_dscnt 0x0
	v_cmp_neq_f32_e32 vcc_lo, 0, v172
	v_cmp_neq_f32_e64 s1, 0, v173
	s_or_b32 s1, vcc_lo, s1
	s_delay_alu instid0(SALU_CYCLE_1)
	s_and_b32 exec_lo, exec_lo, s1
	s_cbranch_execz .LBB81_35
; %bb.30:
	v_cmp_ngt_f32_e64 s1, |v172|, |v173|
                                        ; implicit-def: $vgpr174_vgpr175
	s_and_saveexec_b32 s4, s1
	s_delay_alu instid0(SALU_CYCLE_1)
	s_xor_b32 s1, exec_lo, s4
	s_cbranch_execz .LBB81_32
; %bb.31:
	v_div_scale_f32 v0, null, v173, v173, v172
	v_div_scale_f32 v5, vcc_lo, v172, v173, v172
	s_delay_alu instid0(VALU_DEP_2) | instskip(SKIP_1) | instid1(TRANS32_DEP_1)
	v_rcp_f32_e32 v1, v0
	v_nop
	v_fma_f32 v4, -v0, v1, 1.0
	s_delay_alu instid0(VALU_DEP_1) | instskip(NEXT) | instid1(VALU_DEP_1)
	v_fmac_f32_e32 v1, v4, v1
	v_mul_f32_e32 v4, v5, v1
	s_delay_alu instid0(VALU_DEP_1) | instskip(NEXT) | instid1(VALU_DEP_1)
	v_fma_f32 v174, -v0, v4, v5
	v_fmac_f32_e32 v4, v174, v1
	s_delay_alu instid0(VALU_DEP_1) | instskip(NEXT) | instid1(VALU_DEP_1)
	v_fma_f32 v0, -v0, v4, v5
	v_div_fmas_f32 v0, v0, v1, v4
	s_delay_alu instid0(VALU_DEP_1) | instskip(NEXT) | instid1(VALU_DEP_1)
	v_div_fixup_f32 v0, v0, v173, v172
	v_fmac_f32_e32 v173, v172, v0
	s_delay_alu instid0(VALU_DEP_1) | instskip(SKIP_1) | instid1(VALU_DEP_2)
	v_div_scale_f32 v1, null, v173, v173, 1.0
	v_div_scale_f32 v172, vcc_lo, 1.0, v173, 1.0
	v_rcp_f32_e32 v4, v1
	v_nop
	s_delay_alu instid0(TRANS32_DEP_1) | instskip(NEXT) | instid1(VALU_DEP_1)
	v_fma_f32 v5, -v1, v4, 1.0
	v_fmac_f32_e32 v4, v5, v4
	s_delay_alu instid0(VALU_DEP_1) | instskip(NEXT) | instid1(VALU_DEP_1)
	v_mul_f32_e32 v5, v172, v4
	v_fma_f32 v174, -v1, v5, v172
	s_delay_alu instid0(VALU_DEP_1) | instskip(NEXT) | instid1(VALU_DEP_1)
	v_fmac_f32_e32 v5, v174, v4
	v_fma_f32 v1, -v1, v5, v172
	s_delay_alu instid0(VALU_DEP_1) | instskip(NEXT) | instid1(VALU_DEP_1)
	v_div_fmas_f32 v1, v1, v4, v5
	v_div_fixup_f32 v1, v1, v173, 1.0
                                        ; implicit-def: $vgpr172_vgpr173
	s_delay_alu instid0(VALU_DEP_1)
	v_mul_f32_e32 v174, v0, v1
	v_xor_b32_e32 v175, 0x80000000, v1
.LBB81_32:
	s_and_not1_saveexec_b32 s1, s1
	s_cbranch_execz .LBB81_34
; %bb.33:
	v_div_scale_f32 v0, null, v172, v172, v173
	v_div_scale_f32 v5, vcc_lo, v173, v172, v173
	s_delay_alu instid0(VALU_DEP_2) | instskip(SKIP_1) | instid1(TRANS32_DEP_1)
	v_rcp_f32_e32 v1, v0
	v_nop
	v_fma_f32 v4, -v0, v1, 1.0
	s_delay_alu instid0(VALU_DEP_1) | instskip(NEXT) | instid1(VALU_DEP_1)
	v_fmac_f32_e32 v1, v4, v1
	v_mul_f32_e32 v4, v5, v1
	s_delay_alu instid0(VALU_DEP_1) | instskip(NEXT) | instid1(VALU_DEP_1)
	v_fma_f32 v174, -v0, v4, v5
	v_fmac_f32_e32 v4, v174, v1
	s_delay_alu instid0(VALU_DEP_1) | instskip(NEXT) | instid1(VALU_DEP_1)
	v_fma_f32 v0, -v0, v4, v5
	v_div_fmas_f32 v0, v0, v1, v4
	s_delay_alu instid0(VALU_DEP_1) | instskip(NEXT) | instid1(VALU_DEP_1)
	v_div_fixup_f32 v0, v0, v172, v173
	v_fmac_f32_e32 v172, v173, v0
	s_delay_alu instid0(VALU_DEP_1) | instskip(NEXT) | instid1(VALU_DEP_1)
	v_div_scale_f32 v1, null, v172, v172, 1.0
	v_rcp_f32_e32 v4, v1
	v_nop
	s_delay_alu instid0(TRANS32_DEP_1) | instskip(NEXT) | instid1(VALU_DEP_1)
	v_fma_f32 v5, -v1, v4, 1.0
	v_fmac_f32_e32 v4, v5, v4
	v_div_scale_f32 v5, vcc_lo, 1.0, v172, 1.0
	s_delay_alu instid0(VALU_DEP_1) | instskip(NEXT) | instid1(VALU_DEP_1)
	v_mul_f32_e32 v173, v5, v4
	v_fma_f32 v174, -v1, v173, v5
	s_delay_alu instid0(VALU_DEP_1) | instskip(NEXT) | instid1(VALU_DEP_1)
	v_fmac_f32_e32 v173, v174, v4
	v_fma_f32 v1, -v1, v173, v5
	s_delay_alu instid0(VALU_DEP_1) | instskip(NEXT) | instid1(VALU_DEP_1)
	v_div_fmas_f32 v1, v1, v4, v173
	v_div_fixup_f32 v174, v1, v172, 1.0
	s_delay_alu instid0(VALU_DEP_1)
	v_mul_f32_e64 v175, v0, -v174
.LBB81_34:
	s_or_b32 exec_lo, exec_lo, s1
	ds_store_b64 v249, v[174:175]
.LBB81_35:
	s_or_b32 exec_lo, exec_lo, s2
	s_wait_dscnt 0x0
	s_barrier_signal -1
	s_barrier_wait -1
	ds_load_b64 v[172:173], v249
	s_mov_b32 s1, exec_lo
	v_cmpx_lt_u32_e32 3, v248
	s_cbranch_execz .LBB81_37
; %bb.36:
	ds_load_2addr_b64 v[178:181], v250 offset0:4 offset1:5
	s_wait_dscnt 0x1
	v_pk_mul_f32 v[176:177], v[172:173], v[32:33] op_sel:[1,1] op_sel_hi:[0,1]
	s_delay_alu instid0(VALU_DEP_1) | instskip(SKIP_1) | instid1(VALU_DEP_1)
	v_pk_fma_f32 v[174:175], v[172:173], v[32:33], v[176:177] op_sel_hi:[1,0,1] neg_lo:[0,0,1] neg_hi:[0,0,1]
	v_pk_fma_f32 v[176:177], v[172:173], v[32:33], v[176:177] op_sel_hi:[1,0,1]
	v_dual_mov_b32 v32, v174 :: v_dual_mov_b32 v33, v177
	s_wait_dscnt 0x0
	s_delay_alu instid0(VALU_DEP_2) | instskip(NEXT) | instid1(VALU_DEP_1)
	v_pk_mul_f32 v[182:183], v[178:179], v[176:177] op_sel:[0,1]
	v_pk_fma_f32 v[184:185], v[178:179], v[174:175], v[182:183] op_sel:[0,0,1] op_sel_hi:[1,1,0] neg_lo:[0,0,1] neg_hi:[0,0,1]
	v_pk_fma_f32 v[178:179], v[178:179], v[174:175], v[182:183] op_sel:[0,0,1] op_sel_hi:[1,0,0]
	s_delay_alu instid0(VALU_DEP_1) | instskip(SKIP_1) | instid1(VALU_DEP_1)
	v_mov_b32_e32 v185, v179
	v_pk_mul_f32 v[178:179], v[180:181], v[176:177] op_sel:[0,1]
	v_pk_fma_f32 v[182:183], v[180:181], v[174:175], v[178:179] op_sel:[0,0,1] op_sel_hi:[1,1,0] neg_lo:[0,0,1] neg_hi:[0,0,1]
	v_pk_fma_f32 v[178:179], v[180:181], v[174:175], v[178:179] op_sel:[0,0,1] op_sel_hi:[1,0,0]
	s_delay_alu instid0(VALU_DEP_1)
	v_mov_b32_e32 v183, v179
	ds_load_2addr_b64 v[178:181], v250 offset0:6 offset1:7
	v_pk_add_f32 v[22:23], v[22:23], v[184:185] neg_lo:[0,1] neg_hi:[0,1]
	v_pk_add_f32 v[58:59], v[58:59], v[182:183] neg_lo:[0,1] neg_hi:[0,1]
	s_wait_dscnt 0x0
	v_pk_mul_f32 v[182:183], v[178:179], v[176:177] op_sel:[0,1]
	s_delay_alu instid0(VALU_DEP_1) | instskip(SKIP_2) | instid1(VALU_DEP_2)
	v_pk_fma_f32 v[184:185], v[178:179], v[174:175], v[182:183] op_sel:[0,0,1] op_sel_hi:[1,1,0] neg_lo:[0,0,1] neg_hi:[0,0,1]
	v_pk_fma_f32 v[178:179], v[178:179], v[174:175], v[182:183] op_sel:[0,0,1] op_sel_hi:[1,0,0]
	v_dual_mul_f32 v182, v181, v177 :: v_dual_mov_b32 v178, v181
	v_dual_mov_b32 v185, v179 :: v_dual_mov_b32 v179, v180
	s_delay_alu instid0(VALU_DEP_2) | instskip(SKIP_1) | instid1(VALU_DEP_3)
	v_pk_fma_f32 v[182:183], v[180:181], v[32:33], v[182:183] op_sel_hi:[1,1,0] neg_lo:[0,0,1] neg_hi:[0,0,1]
	v_mul_f32_e32 v180, v181, v174
	v_pk_add_f32 v[60:61], v[60:61], v[184:185] neg_lo:[0,1] neg_hi:[0,1]
	s_delay_alu instid0(VALU_DEP_2) | instskip(NEXT) | instid1(VALU_DEP_1)
	v_pk_fma_f32 v[178:179], v[178:179], v[32:33], v[180:181] op_sel_hi:[1,1,0]
	v_mov_b32_e32 v183, v179
	ds_load_2addr_b64 v[178:181], v250 offset0:8 offset1:9
	v_pk_add_f32 v[56:57], v[56:57], v[182:183] neg_lo:[0,1] neg_hi:[0,1]
	s_wait_dscnt 0x0
	v_pk_mul_f32 v[182:183], v[178:179], v[176:177] op_sel:[0,1]
	s_delay_alu instid0(VALU_DEP_1) | instskip(SKIP_1) | instid1(VALU_DEP_1)
	v_pk_fma_f32 v[184:185], v[178:179], v[174:175], v[182:183] op_sel:[0,0,1] op_sel_hi:[1,1,0] neg_lo:[0,0,1] neg_hi:[0,0,1]
	v_pk_fma_f32 v[178:179], v[178:179], v[174:175], v[182:183] op_sel:[0,0,1] op_sel_hi:[1,0,0]
	v_mov_b32_e32 v185, v179
	v_pk_mul_f32 v[178:179], v[180:181], v[176:177] op_sel:[0,1]
	s_delay_alu instid0(VALU_DEP_1) | instskip(SKIP_1) | instid1(VALU_DEP_1)
	v_pk_fma_f32 v[182:183], v[180:181], v[174:175], v[178:179] op_sel:[0,0,1] op_sel_hi:[1,1,0] neg_lo:[0,0,1] neg_hi:[0,0,1]
	v_pk_fma_f32 v[178:179], v[180:181], v[174:175], v[178:179] op_sel:[0,0,1] op_sel_hi:[1,0,0]
	v_mov_b32_e32 v183, v179
	ds_load_2addr_b64 v[178:181], v250 offset0:10 offset1:11
	v_pk_add_f32 v[74:75], v[74:75], v[184:185] neg_lo:[0,1] neg_hi:[0,1]
	v_pk_add_f32 v[72:73], v[72:73], v[182:183] neg_lo:[0,1] neg_hi:[0,1]
	s_wait_dscnt 0x0
	v_pk_mul_f32 v[182:183], v[178:179], v[176:177] op_sel:[0,1]
	s_delay_alu instid0(VALU_DEP_1) | instskip(SKIP_1) | instid1(VALU_DEP_1)
	v_pk_fma_f32 v[184:185], v[178:179], v[174:175], v[182:183] op_sel:[0,0,1] op_sel_hi:[1,1,0] neg_lo:[0,0,1] neg_hi:[0,0,1]
	v_pk_fma_f32 v[178:179], v[178:179], v[174:175], v[182:183] op_sel:[0,0,1] op_sel_hi:[1,0,0]
	v_mov_b32_e32 v185, v179
	v_pk_mul_f32 v[178:179], v[180:181], v[176:177] op_sel:[0,1]
	s_delay_alu instid0(VALU_DEP_1) | instskip(SKIP_1) | instid1(VALU_DEP_1)
	v_pk_fma_f32 v[182:183], v[180:181], v[174:175], v[178:179] op_sel:[0,0,1] op_sel_hi:[1,1,0] neg_lo:[0,0,1] neg_hi:[0,0,1]
	v_pk_fma_f32 v[178:179], v[180:181], v[174:175], v[178:179] op_sel:[0,0,1] op_sel_hi:[1,0,0]
	v_mov_b32_e32 v183, v179
	ds_load_2addr_b64 v[178:181], v250 offset0:12 offset1:13
	v_pk_add_f32 v[54:55], v[54:55], v[184:185] neg_lo:[0,1] neg_hi:[0,1]
	v_pk_add_f32 v[70:71], v[70:71], v[182:183] neg_lo:[0,1] neg_hi:[0,1]
	s_wait_dscnt 0x0
	v_dual_mul_f32 v182, v179, v177 :: v_dual_mul_f32 v184, v179, v174
	s_delay_alu instid0(VALU_DEP_1) | instskip(NEXT) | instid1(VALU_DEP_2)
	v_pk_fma_f32 v[182:183], v[178:179], v[32:33], v[182:183] op_sel_hi:[1,1,0] neg_lo:[0,0,1] neg_hi:[0,0,1]
	v_pk_fma_f32 v[178:179], v[178:179], v[32:33], v[184:185] op_sel:[1,0,0] op_sel_hi:[0,1,0]
	s_delay_alu instid0(VALU_DEP_1) | instskip(SKIP_1) | instid1(VALU_DEP_2)
	v_mov_b32_e32 v183, v179
	v_pk_mul_f32 v[178:179], v[180:181], v[176:177] op_sel:[0,1]
	v_pk_add_f32 v[94:95], v[94:95], v[182:183] neg_lo:[0,1] neg_hi:[0,1]
	s_delay_alu instid0(VALU_DEP_2) | instskip(SKIP_1) | instid1(VALU_DEP_1)
	v_pk_fma_f32 v[182:183], v[180:181], v[174:175], v[178:179] op_sel:[0,0,1] op_sel_hi:[1,1,0] neg_lo:[0,0,1] neg_hi:[0,0,1]
	v_pk_fma_f32 v[178:179], v[180:181], v[174:175], v[178:179] op_sel:[0,0,1] op_sel_hi:[1,0,0]
	v_mov_b32_e32 v183, v179
	ds_load_2addr_b64 v[178:181], v250 offset0:14 offset1:15
	v_pk_add_f32 v[90:91], v[90:91], v[182:183] neg_lo:[0,1] neg_hi:[0,1]
	s_wait_dscnt 0x0
	v_pk_mul_f32 v[182:183], v[178:179], v[176:177] op_sel:[0,1]
	s_delay_alu instid0(VALU_DEP_1) | instskip(SKIP_1) | instid1(VALU_DEP_1)
	v_pk_fma_f32 v[184:185], v[178:179], v[174:175], v[182:183] op_sel:[0,0,1] op_sel_hi:[1,1,0] neg_lo:[0,0,1] neg_hi:[0,0,1]
	v_pk_fma_f32 v[178:179], v[178:179], v[174:175], v[182:183] op_sel:[0,0,1] op_sel_hi:[1,0,0]
	v_mov_b32_e32 v185, v179
	v_pk_mul_f32 v[178:179], v[180:181], v[176:177] op_sel:[0,1]
	s_delay_alu instid0(VALU_DEP_2) | instskip(NEXT) | instid1(VALU_DEP_2)
	v_pk_add_f32 v[92:93], v[92:93], v[184:185] neg_lo:[0,1] neg_hi:[0,1]
	v_pk_fma_f32 v[182:183], v[180:181], v[174:175], v[178:179] op_sel:[0,0,1] op_sel_hi:[1,1,0] neg_lo:[0,0,1] neg_hi:[0,0,1]
	v_pk_fma_f32 v[178:179], v[180:181], v[174:175], v[178:179] op_sel:[0,0,1] op_sel_hi:[1,0,0]
	s_delay_alu instid0(VALU_DEP_1) | instskip(SKIP_4) | instid1(VALU_DEP_1)
	v_mov_b32_e32 v183, v179
	ds_load_2addr_b64 v[178:181], v250 offset0:16 offset1:17
	v_pk_add_f32 v[88:89], v[88:89], v[182:183] neg_lo:[0,1] neg_hi:[0,1]
	s_wait_dscnt 0x0
	v_pk_mul_f32 v[182:183], v[178:179], v[176:177] op_sel:[0,1]
	v_pk_fma_f32 v[184:185], v[178:179], v[174:175], v[182:183] op_sel:[0,0,1] op_sel_hi:[1,1,0] neg_lo:[0,0,1] neg_hi:[0,0,1]
	v_pk_fma_f32 v[178:179], v[178:179], v[174:175], v[182:183] op_sel:[0,0,1] op_sel_hi:[1,0,0]
	v_dual_mul_f32 v182, v181, v177 :: v_dual_mov_b32 v178, v181
	s_delay_alu instid0(VALU_DEP_2) | instskip(NEXT) | instid1(VALU_DEP_2)
	v_dual_mov_b32 v185, v179 :: v_dual_mov_b32 v179, v180
	v_pk_fma_f32 v[182:183], v[180:181], v[32:33], v[182:183] op_sel_hi:[1,1,0] neg_lo:[0,0,1] neg_hi:[0,0,1]
	v_mul_f32_e32 v180, v181, v174
	s_delay_alu instid0(VALU_DEP_3) | instskip(NEXT) | instid1(VALU_DEP_2)
	v_pk_add_f32 v[118:119], v[118:119], v[184:185] neg_lo:[0,1] neg_hi:[0,1]
	v_pk_fma_f32 v[178:179], v[178:179], v[32:33], v[180:181] op_sel_hi:[1,1,0]
	s_delay_alu instid0(VALU_DEP_1) | instskip(SKIP_4) | instid1(VALU_DEP_1)
	v_mov_b32_e32 v183, v179
	ds_load_2addr_b64 v[178:181], v250 offset0:18 offset1:19
	v_pk_add_f32 v[86:87], v[86:87], v[182:183] neg_lo:[0,1] neg_hi:[0,1]
	s_wait_dscnt 0x0
	v_pk_mul_f32 v[182:183], v[178:179], v[176:177] op_sel:[0,1]
	v_pk_fma_f32 v[184:185], v[178:179], v[174:175], v[182:183] op_sel:[0,0,1] op_sel_hi:[1,1,0] neg_lo:[0,0,1] neg_hi:[0,0,1]
	v_pk_fma_f32 v[178:179], v[178:179], v[174:175], v[182:183] op_sel:[0,0,1] op_sel_hi:[1,0,0]
	s_delay_alu instid0(VALU_DEP_1) | instskip(SKIP_1) | instid1(VALU_DEP_1)
	v_mov_b32_e32 v185, v179
	v_pk_mul_f32 v[178:179], v[180:181], v[176:177] op_sel:[0,1]
	v_pk_fma_f32 v[182:183], v[180:181], v[174:175], v[178:179] op_sel:[0,0,1] op_sel_hi:[1,1,0] neg_lo:[0,0,1] neg_hi:[0,0,1]
	v_pk_fma_f32 v[178:179], v[180:181], v[174:175], v[178:179] op_sel:[0,0,1] op_sel_hi:[1,0,0]
	s_delay_alu instid0(VALU_DEP_1)
	v_mov_b32_e32 v183, v179
	ds_load_2addr_b64 v[178:181], v250 offset0:20 offset1:21
	v_pk_add_f32 v[116:117], v[116:117], v[184:185] neg_lo:[0,1] neg_hi:[0,1]
	v_pk_add_f32 v[114:115], v[114:115], v[182:183] neg_lo:[0,1] neg_hi:[0,1]
	s_wait_dscnt 0x0
	v_pk_mul_f32 v[182:183], v[178:179], v[176:177] op_sel:[0,1]
	s_delay_alu instid0(VALU_DEP_1) | instskip(SKIP_1) | instid1(VALU_DEP_1)
	v_pk_fma_f32 v[184:185], v[178:179], v[174:175], v[182:183] op_sel:[0,0,1] op_sel_hi:[1,1,0] neg_lo:[0,0,1] neg_hi:[0,0,1]
	v_pk_fma_f32 v[178:179], v[178:179], v[174:175], v[182:183] op_sel:[0,0,1] op_sel_hi:[1,0,0]
	v_mov_b32_e32 v185, v179
	v_pk_mul_f32 v[178:179], v[180:181], v[176:177] op_sel:[0,1]
	s_delay_alu instid0(VALU_DEP_1) | instskip(SKIP_1) | instid1(VALU_DEP_1)
	v_pk_fma_f32 v[182:183], v[180:181], v[174:175], v[178:179] op_sel:[0,0,1] op_sel_hi:[1,1,0] neg_lo:[0,0,1] neg_hi:[0,0,1]
	v_pk_fma_f32 v[178:179], v[180:181], v[174:175], v[178:179] op_sel:[0,0,1] op_sel_hi:[1,0,0]
	v_mov_b32_e32 v183, v179
	ds_load_2addr_b64 v[178:181], v250 offset0:22 offset1:23
	v_pk_add_f32 v[146:147], v[146:147], v[184:185] neg_lo:[0,1] neg_hi:[0,1]
	v_pk_add_f32 v[112:113], v[112:113], v[182:183] neg_lo:[0,1] neg_hi:[0,1]
	s_wait_dscnt 0x0
	v_dual_mul_f32 v182, v179, v177 :: v_dual_mul_f32 v184, v179, v174
	s_delay_alu instid0(VALU_DEP_1) | instskip(NEXT) | instid1(VALU_DEP_2)
	v_pk_fma_f32 v[182:183], v[178:179], v[32:33], v[182:183] op_sel_hi:[1,1,0] neg_lo:[0,0,1] neg_hi:[0,0,1]
	v_pk_fma_f32 v[178:179], v[178:179], v[32:33], v[184:185] op_sel:[1,0,0] op_sel_hi:[0,1,0]
	s_delay_alu instid0(VALU_DEP_1) | instskip(SKIP_1) | instid1(VALU_DEP_2)
	v_mov_b32_e32 v183, v179
	v_pk_mul_f32 v[178:179], v[180:181], v[176:177] op_sel:[0,1]
	v_pk_add_f32 v[144:145], v[144:145], v[182:183] neg_lo:[0,1] neg_hi:[0,1]
	s_delay_alu instid0(VALU_DEP_2) | instskip(SKIP_1) | instid1(VALU_DEP_1)
	v_pk_fma_f32 v[182:183], v[180:181], v[174:175], v[178:179] op_sel:[0,0,1] op_sel_hi:[1,1,0] neg_lo:[0,0,1] neg_hi:[0,0,1]
	v_pk_fma_f32 v[178:179], v[180:181], v[174:175], v[178:179] op_sel:[0,0,1] op_sel_hi:[1,0,0]
	v_mov_b32_e32 v183, v179
	ds_load_2addr_b64 v[178:181], v250 offset0:24 offset1:25
	v_pk_add_f32 v[76:77], v[76:77], v[182:183] neg_lo:[0,1] neg_hi:[0,1]
	s_wait_dscnt 0x0
	v_pk_mul_f32 v[182:183], v[178:179], v[176:177] op_sel:[0,1]
	s_delay_alu instid0(VALU_DEP_1) | instskip(SKIP_1) | instid1(VALU_DEP_1)
	v_pk_fma_f32 v[184:185], v[178:179], v[174:175], v[182:183] op_sel:[0,0,1] op_sel_hi:[1,1,0] neg_lo:[0,0,1] neg_hi:[0,0,1]
	v_pk_fma_f32 v[178:179], v[178:179], v[174:175], v[182:183] op_sel:[0,0,1] op_sel_hi:[1,0,0]
	v_mov_b32_e32 v185, v179
	v_pk_mul_f32 v[178:179], v[180:181], v[176:177] op_sel:[0,1]
	s_delay_alu instid0(VALU_DEP_2) | instskip(NEXT) | instid1(VALU_DEP_2)
	v_pk_add_f32 v[102:103], v[102:103], v[184:185] neg_lo:[0,1] neg_hi:[0,1]
	v_pk_fma_f32 v[182:183], v[180:181], v[174:175], v[178:179] op_sel:[0,0,1] op_sel_hi:[1,1,0] neg_lo:[0,0,1] neg_hi:[0,0,1]
	v_pk_fma_f32 v[178:179], v[180:181], v[174:175], v[178:179] op_sel:[0,0,1] op_sel_hi:[1,0,0]
	s_delay_alu instid0(VALU_DEP_1) | instskip(SKIP_4) | instid1(VALU_DEP_1)
	v_mov_b32_e32 v183, v179
	ds_load_2addr_b64 v[178:181], v250 offset0:26 offset1:27
	v_pk_add_f32 v[98:99], v[98:99], v[182:183] neg_lo:[0,1] neg_hi:[0,1]
	s_wait_dscnt 0x0
	v_pk_mul_f32 v[182:183], v[178:179], v[176:177] op_sel:[0,1]
	v_pk_fma_f32 v[184:185], v[178:179], v[174:175], v[182:183] op_sel:[0,0,1] op_sel_hi:[1,1,0] neg_lo:[0,0,1] neg_hi:[0,0,1]
	v_pk_fma_f32 v[178:179], v[178:179], v[174:175], v[182:183] op_sel:[0,0,1] op_sel_hi:[1,0,0]
	v_dual_mul_f32 v182, v181, v177 :: v_dual_mov_b32 v178, v181
	s_delay_alu instid0(VALU_DEP_2) | instskip(NEXT) | instid1(VALU_DEP_2)
	v_dual_mov_b32 v185, v179 :: v_dual_mov_b32 v179, v180
	v_pk_fma_f32 v[182:183], v[180:181], v[32:33], v[182:183] op_sel_hi:[1,1,0] neg_lo:[0,0,1] neg_hi:[0,0,1]
	v_mul_f32_e32 v180, v181, v174
	s_delay_alu instid0(VALU_DEP_3) | instskip(NEXT) | instid1(VALU_DEP_2)
	v_pk_add_f32 v[100:101], v[100:101], v[184:185] neg_lo:[0,1] neg_hi:[0,1]
	v_pk_fma_f32 v[178:179], v[178:179], v[32:33], v[180:181] op_sel_hi:[1,1,0]
	s_delay_alu instid0(VALU_DEP_1) | instskip(SKIP_4) | instid1(VALU_DEP_1)
	v_mov_b32_e32 v183, v179
	ds_load_2addr_b64 v[178:181], v250 offset0:28 offset1:29
	v_pk_add_f32 v[96:97], v[96:97], v[182:183] neg_lo:[0,1] neg_hi:[0,1]
	s_wait_dscnt 0x0
	v_pk_mul_f32 v[182:183], v[178:179], v[176:177] op_sel:[0,1]
	v_pk_fma_f32 v[184:185], v[178:179], v[174:175], v[182:183] op_sel:[0,0,1] op_sel_hi:[1,1,0] neg_lo:[0,0,1] neg_hi:[0,0,1]
	v_pk_fma_f32 v[178:179], v[178:179], v[174:175], v[182:183] op_sel:[0,0,1] op_sel_hi:[1,0,0]
	s_delay_alu instid0(VALU_DEP_1) | instskip(SKIP_1) | instid1(VALU_DEP_1)
	v_mov_b32_e32 v185, v179
	v_pk_mul_f32 v[178:179], v[180:181], v[176:177] op_sel:[0,1]
	v_pk_fma_f32 v[182:183], v[180:181], v[174:175], v[178:179] op_sel:[0,0,1] op_sel_hi:[1,1,0] neg_lo:[0,0,1] neg_hi:[0,0,1]
	v_pk_fma_f32 v[178:179], v[180:181], v[174:175], v[178:179] op_sel:[0,0,1] op_sel_hi:[1,0,0]
	s_delay_alu instid0(VALU_DEP_1)
	v_mov_b32_e32 v183, v179
	ds_load_2addr_b64 v[178:181], v250 offset0:30 offset1:31
	v_pk_add_f32 v[132:133], v[132:133], v[184:185] neg_lo:[0,1] neg_hi:[0,1]
	v_pk_add_f32 v[128:129], v[128:129], v[182:183] neg_lo:[0,1] neg_hi:[0,1]
	s_wait_dscnt 0x0
	v_pk_mul_f32 v[182:183], v[178:179], v[176:177] op_sel:[0,1]
	s_delay_alu instid0(VALU_DEP_1) | instskip(SKIP_1) | instid1(VALU_DEP_1)
	v_pk_fma_f32 v[184:185], v[178:179], v[174:175], v[182:183] op_sel:[0,0,1] op_sel_hi:[1,1,0] neg_lo:[0,0,1] neg_hi:[0,0,1]
	v_pk_fma_f32 v[178:179], v[178:179], v[174:175], v[182:183] op_sel:[0,0,1] op_sel_hi:[1,0,0]
	v_mov_b32_e32 v185, v179
	v_pk_mul_f32 v[178:179], v[180:181], v[176:177] op_sel:[0,1]
	s_delay_alu instid0(VALU_DEP_1) | instskip(SKIP_1) | instid1(VALU_DEP_1)
	v_pk_fma_f32 v[182:183], v[180:181], v[174:175], v[178:179] op_sel:[0,0,1] op_sel_hi:[1,1,0] neg_lo:[0,0,1] neg_hi:[0,0,1]
	v_pk_fma_f32 v[178:179], v[180:181], v[174:175], v[178:179] op_sel:[0,0,1] op_sel_hi:[1,0,0]
	v_mov_b32_e32 v183, v179
	ds_load_2addr_b64 v[178:181], v250 offset0:32 offset1:33
	v_pk_add_f32 v[130:131], v[130:131], v[184:185] neg_lo:[0,1] neg_hi:[0,1]
	v_pk_add_f32 v[126:127], v[126:127], v[182:183] neg_lo:[0,1] neg_hi:[0,1]
	s_wait_dscnt 0x0
	v_dual_mul_f32 v182, v179, v177 :: v_dual_mul_f32 v184, v179, v174
	s_delay_alu instid0(VALU_DEP_1) | instskip(NEXT) | instid1(VALU_DEP_2)
	v_pk_fma_f32 v[182:183], v[178:179], v[32:33], v[182:183] op_sel_hi:[1,1,0] neg_lo:[0,0,1] neg_hi:[0,0,1]
	v_pk_fma_f32 v[178:179], v[178:179], v[32:33], v[184:185] op_sel:[1,0,0] op_sel_hi:[0,1,0]
	s_delay_alu instid0(VALU_DEP_1) | instskip(SKIP_1) | instid1(VALU_DEP_2)
	v_mov_b32_e32 v183, v179
	v_pk_mul_f32 v[178:179], v[180:181], v[176:177] op_sel:[0,1]
	v_pk_add_f32 v[160:161], v[160:161], v[182:183] neg_lo:[0,1] neg_hi:[0,1]
	s_delay_alu instid0(VALU_DEP_2) | instskip(SKIP_1) | instid1(VALU_DEP_1)
	v_pk_fma_f32 v[182:183], v[180:181], v[174:175], v[178:179] op_sel:[0,0,1] op_sel_hi:[1,1,0] neg_lo:[0,0,1] neg_hi:[0,0,1]
	v_pk_fma_f32 v[178:179], v[180:181], v[174:175], v[178:179] op_sel:[0,0,1] op_sel_hi:[1,0,0]
	v_mov_b32_e32 v183, v179
	ds_load_2addr_b64 v[178:181], v250 offset0:34 offset1:35
	v_pk_add_f32 v[152:153], v[152:153], v[182:183] neg_lo:[0,1] neg_hi:[0,1]
	s_wait_dscnt 0x0
	v_pk_mul_f32 v[182:183], v[178:179], v[176:177] op_sel:[0,1]
	s_delay_alu instid0(VALU_DEP_1) | instskip(SKIP_1) | instid1(VALU_DEP_1)
	v_pk_fma_f32 v[184:185], v[178:179], v[174:175], v[182:183] op_sel:[0,0,1] op_sel_hi:[1,1,0] neg_lo:[0,0,1] neg_hi:[0,0,1]
	v_pk_fma_f32 v[178:179], v[178:179], v[174:175], v[182:183] op_sel:[0,0,1] op_sel_hi:[1,0,0]
	v_mov_b32_e32 v185, v179
	v_pk_mul_f32 v[178:179], v[180:181], v[176:177] op_sel:[0,1]
	s_delay_alu instid0(VALU_DEP_2) | instskip(NEXT) | instid1(VALU_DEP_2)
	v_pk_add_f32 v[158:159], v[158:159], v[184:185] neg_lo:[0,1] neg_hi:[0,1]
	v_pk_fma_f32 v[182:183], v[180:181], v[174:175], v[178:179] op_sel:[0,0,1] op_sel_hi:[1,1,0] neg_lo:[0,0,1] neg_hi:[0,0,1]
	v_pk_fma_f32 v[178:179], v[180:181], v[174:175], v[178:179] op_sel:[0,0,1] op_sel_hi:[1,0,0]
	s_delay_alu instid0(VALU_DEP_1) | instskip(SKIP_4) | instid1(VALU_DEP_1)
	v_mov_b32_e32 v183, v179
	ds_load_2addr_b64 v[178:181], v250 offset0:36 offset1:37
	v_pk_add_f32 v[150:151], v[150:151], v[182:183] neg_lo:[0,1] neg_hi:[0,1]
	s_wait_dscnt 0x0
	v_pk_mul_f32 v[182:183], v[178:179], v[176:177] op_sel:[0,1]
	v_pk_fma_f32 v[184:185], v[178:179], v[174:175], v[182:183] op_sel:[0,0,1] op_sel_hi:[1,1,0] neg_lo:[0,0,1] neg_hi:[0,0,1]
	v_pk_fma_f32 v[178:179], v[178:179], v[174:175], v[182:183] op_sel:[0,0,1] op_sel_hi:[1,0,0]
	v_dual_mul_f32 v182, v181, v177 :: v_dual_mov_b32 v178, v181
	s_delay_alu instid0(VALU_DEP_2) | instskip(NEXT) | instid1(VALU_DEP_2)
	v_dual_mov_b32 v185, v179 :: v_dual_mov_b32 v179, v180
	v_pk_fma_f32 v[182:183], v[180:181], v[32:33], v[182:183] op_sel_hi:[1,1,0] neg_lo:[0,0,1] neg_hi:[0,0,1]
	v_mul_f32_e32 v180, v181, v174
	s_delay_alu instid0(VALU_DEP_3) | instskip(NEXT) | instid1(VALU_DEP_2)
	v_pk_add_f32 v[156:157], v[156:157], v[184:185] neg_lo:[0,1] neg_hi:[0,1]
	v_pk_fma_f32 v[178:179], v[178:179], v[32:33], v[180:181] op_sel_hi:[1,1,0]
	s_delay_alu instid0(VALU_DEP_1) | instskip(SKIP_4) | instid1(VALU_DEP_1)
	v_mov_b32_e32 v183, v179
	ds_load_2addr_b64 v[178:181], v250 offset0:38 offset1:39
	v_pk_add_f32 v[148:149], v[148:149], v[182:183] neg_lo:[0,1] neg_hi:[0,1]
	s_wait_dscnt 0x0
	v_pk_mul_f32 v[182:183], v[178:179], v[176:177] op_sel:[0,1]
	v_pk_fma_f32 v[184:185], v[178:179], v[174:175], v[182:183] op_sel:[0,0,1] op_sel_hi:[1,1,0] neg_lo:[0,0,1] neg_hi:[0,0,1]
	v_pk_fma_f32 v[178:179], v[178:179], v[174:175], v[182:183] op_sel:[0,0,1] op_sel_hi:[1,0,0]
	s_delay_alu instid0(VALU_DEP_1) | instskip(SKIP_1) | instid1(VALU_DEP_1)
	v_mov_b32_e32 v185, v179
	v_pk_mul_f32 v[178:179], v[180:181], v[176:177] op_sel:[0,1]
	v_pk_fma_f32 v[182:183], v[180:181], v[174:175], v[178:179] op_sel:[0,0,1] op_sel_hi:[1,1,0] neg_lo:[0,0,1] neg_hi:[0,0,1]
	v_pk_fma_f32 v[178:179], v[180:181], v[174:175], v[178:179] op_sel:[0,0,1] op_sel_hi:[1,0,0]
	s_delay_alu instid0(VALU_DEP_1)
	v_mov_b32_e32 v183, v179
	ds_load_b64 v[178:179], v250 offset:320
	v_pk_add_f32 v[154:155], v[154:155], v[184:185] neg_lo:[0,1] neg_hi:[0,1]
	v_pk_add_f32 v[162:163], v[162:163], v[182:183] neg_lo:[0,1] neg_hi:[0,1]
	s_wait_dscnt 0x0
	v_pk_mul_f32 v[176:177], v[178:179], v[176:177] op_sel:[0,1]
	s_delay_alu instid0(VALU_DEP_1) | instskip(SKIP_1) | instid1(VALU_DEP_1)
	v_pk_fma_f32 v[180:181], v[178:179], v[174:175], v[176:177] op_sel:[0,0,1] op_sel_hi:[1,1,0] neg_lo:[0,0,1] neg_hi:[0,0,1]
	v_pk_fma_f32 v[174:175], v[178:179], v[174:175], v[176:177] op_sel:[0,0,1] op_sel_hi:[1,0,0]
	v_mov_b32_e32 v181, v175
	s_delay_alu instid0(VALU_DEP_1)
	v_pk_add_f32 v[164:165], v[164:165], v[180:181] neg_lo:[0,1] neg_hi:[0,1]
.LBB81_37:
	s_or_b32 exec_lo, exec_lo, s1
	s_delay_alu instid0(SALU_CYCLE_1)
	s_mov_b32 s2, exec_lo
	s_wait_dscnt 0x0
	s_barrier_signal -1
	s_barrier_wait -1
	v_cmpx_eq_u32_e32 4, v248
	s_cbranch_execz .LBB81_44
; %bb.38:
	ds_store_b64 v249, v[22:23]
	ds_store_2addr_b64 v250, v[58:59], v[60:61] offset0:5 offset1:6
	ds_store_2addr_b64 v250, v[56:57], v[74:75] offset0:7 offset1:8
	;; [unrolled: 1-line block ×18, first 2 shown]
	ds_load_b64 v[174:175], v249
	s_wait_dscnt 0x0
	v_cmp_neq_f32_e32 vcc_lo, 0, v174
	v_cmp_neq_f32_e64 s1, 0, v175
	s_or_b32 s1, vcc_lo, s1
	s_delay_alu instid0(SALU_CYCLE_1)
	s_and_b32 exec_lo, exec_lo, s1
	s_cbranch_execz .LBB81_44
; %bb.39:
	v_cmp_ngt_f32_e64 s1, |v174|, |v175|
                                        ; implicit-def: $vgpr176_vgpr177
	s_and_saveexec_b32 s4, s1
	s_delay_alu instid0(SALU_CYCLE_1)
	s_xor_b32 s1, exec_lo, s4
	s_cbranch_execz .LBB81_41
; %bb.40:
	v_div_scale_f32 v0, null, v175, v175, v174
	v_div_scale_f32 v5, vcc_lo, v174, v175, v174
	s_delay_alu instid0(VALU_DEP_2) | instskip(SKIP_1) | instid1(TRANS32_DEP_1)
	v_rcp_f32_e32 v1, v0
	v_nop
	v_fma_f32 v4, -v0, v1, 1.0
	s_delay_alu instid0(VALU_DEP_1) | instskip(NEXT) | instid1(VALU_DEP_1)
	v_fmac_f32_e32 v1, v4, v1
	v_mul_f32_e32 v4, v5, v1
	s_delay_alu instid0(VALU_DEP_1) | instskip(NEXT) | instid1(VALU_DEP_1)
	v_fma_f32 v176, -v0, v4, v5
	v_fmac_f32_e32 v4, v176, v1
	s_delay_alu instid0(VALU_DEP_1) | instskip(NEXT) | instid1(VALU_DEP_1)
	v_fma_f32 v0, -v0, v4, v5
	v_div_fmas_f32 v0, v0, v1, v4
	s_delay_alu instid0(VALU_DEP_1) | instskip(NEXT) | instid1(VALU_DEP_1)
	v_div_fixup_f32 v0, v0, v175, v174
	v_fmac_f32_e32 v175, v174, v0
	s_delay_alu instid0(VALU_DEP_1) | instskip(SKIP_1) | instid1(VALU_DEP_2)
	v_div_scale_f32 v1, null, v175, v175, 1.0
	v_div_scale_f32 v174, vcc_lo, 1.0, v175, 1.0
	v_rcp_f32_e32 v4, v1
	v_nop
	s_delay_alu instid0(TRANS32_DEP_1) | instskip(NEXT) | instid1(VALU_DEP_1)
	v_fma_f32 v5, -v1, v4, 1.0
	v_fmac_f32_e32 v4, v5, v4
	s_delay_alu instid0(VALU_DEP_1) | instskip(NEXT) | instid1(VALU_DEP_1)
	v_mul_f32_e32 v5, v174, v4
	v_fma_f32 v176, -v1, v5, v174
	s_delay_alu instid0(VALU_DEP_1) | instskip(NEXT) | instid1(VALU_DEP_1)
	v_fmac_f32_e32 v5, v176, v4
	v_fma_f32 v1, -v1, v5, v174
	s_delay_alu instid0(VALU_DEP_1) | instskip(NEXT) | instid1(VALU_DEP_1)
	v_div_fmas_f32 v1, v1, v4, v5
	v_div_fixup_f32 v1, v1, v175, 1.0
                                        ; implicit-def: $vgpr174_vgpr175
	s_delay_alu instid0(VALU_DEP_1)
	v_mul_f32_e32 v176, v0, v1
	v_xor_b32_e32 v177, 0x80000000, v1
.LBB81_41:
	s_and_not1_saveexec_b32 s1, s1
	s_cbranch_execz .LBB81_43
; %bb.42:
	v_div_scale_f32 v0, null, v174, v174, v175
	v_div_scale_f32 v5, vcc_lo, v175, v174, v175
	s_delay_alu instid0(VALU_DEP_2) | instskip(SKIP_1) | instid1(TRANS32_DEP_1)
	v_rcp_f32_e32 v1, v0
	v_nop
	v_fma_f32 v4, -v0, v1, 1.0
	s_delay_alu instid0(VALU_DEP_1) | instskip(NEXT) | instid1(VALU_DEP_1)
	v_fmac_f32_e32 v1, v4, v1
	v_mul_f32_e32 v4, v5, v1
	s_delay_alu instid0(VALU_DEP_1) | instskip(NEXT) | instid1(VALU_DEP_1)
	v_fma_f32 v176, -v0, v4, v5
	v_fmac_f32_e32 v4, v176, v1
	s_delay_alu instid0(VALU_DEP_1) | instskip(NEXT) | instid1(VALU_DEP_1)
	v_fma_f32 v0, -v0, v4, v5
	v_div_fmas_f32 v0, v0, v1, v4
	s_delay_alu instid0(VALU_DEP_1) | instskip(NEXT) | instid1(VALU_DEP_1)
	v_div_fixup_f32 v0, v0, v174, v175
	v_fmac_f32_e32 v174, v175, v0
	s_delay_alu instid0(VALU_DEP_1) | instskip(NEXT) | instid1(VALU_DEP_1)
	v_div_scale_f32 v1, null, v174, v174, 1.0
	v_rcp_f32_e32 v4, v1
	v_nop
	s_delay_alu instid0(TRANS32_DEP_1) | instskip(NEXT) | instid1(VALU_DEP_1)
	v_fma_f32 v5, -v1, v4, 1.0
	v_fmac_f32_e32 v4, v5, v4
	v_div_scale_f32 v5, vcc_lo, 1.0, v174, 1.0
	s_delay_alu instid0(VALU_DEP_1) | instskip(NEXT) | instid1(VALU_DEP_1)
	v_mul_f32_e32 v175, v5, v4
	v_fma_f32 v176, -v1, v175, v5
	s_delay_alu instid0(VALU_DEP_1) | instskip(NEXT) | instid1(VALU_DEP_1)
	v_fmac_f32_e32 v175, v176, v4
	v_fma_f32 v1, -v1, v175, v5
	s_delay_alu instid0(VALU_DEP_1) | instskip(NEXT) | instid1(VALU_DEP_1)
	v_div_fmas_f32 v1, v1, v4, v175
	v_div_fixup_f32 v176, v1, v174, 1.0
	s_delay_alu instid0(VALU_DEP_1)
	v_mul_f32_e64 v177, v0, -v176
.LBB81_43:
	s_or_b32 exec_lo, exec_lo, s1
	ds_store_b64 v249, v[176:177]
.LBB81_44:
	s_or_b32 exec_lo, exec_lo, s2
	s_wait_dscnt 0x0
	s_barrier_signal -1
	s_barrier_wait -1
	ds_load_b64 v[174:175], v249
	s_mov_b32 s1, exec_lo
	v_cmpx_lt_u32_e32 4, v248
	s_cbranch_execz .LBB81_46
; %bb.45:
	ds_load_2addr_b64 v[180:183], v250 offset0:5 offset1:6
	s_wait_dscnt 0x1
	v_pk_mul_f32 v[178:179], v[174:175], v[22:23] op_sel:[1,1] op_sel_hi:[0,1]
	s_delay_alu instid0(VALU_DEP_1) | instskip(SKIP_1) | instid1(VALU_DEP_1)
	v_pk_fma_f32 v[176:177], v[174:175], v[22:23], v[178:179] op_sel_hi:[1,0,1] neg_lo:[0,0,1] neg_hi:[0,0,1]
	v_pk_fma_f32 v[178:179], v[174:175], v[22:23], v[178:179] op_sel_hi:[1,0,1]
	v_dual_mov_b32 v22, v176 :: v_dual_mov_b32 v23, v179
	s_wait_dscnt 0x0
	s_delay_alu instid0(VALU_DEP_2) | instskip(NEXT) | instid1(VALU_DEP_1)
	v_pk_mul_f32 v[184:185], v[180:181], v[178:179] op_sel:[0,1]
	v_pk_fma_f32 v[186:187], v[180:181], v[176:177], v[184:185] op_sel:[0,0,1] op_sel_hi:[1,1,0] neg_lo:[0,0,1] neg_hi:[0,0,1]
	v_pk_fma_f32 v[180:181], v[180:181], v[176:177], v[184:185] op_sel:[0,0,1] op_sel_hi:[1,0,0]
	s_delay_alu instid0(VALU_DEP_1) | instskip(SKIP_1) | instid1(VALU_DEP_1)
	v_mov_b32_e32 v187, v181
	v_pk_mul_f32 v[180:181], v[182:183], v[178:179] op_sel:[0,1]
	v_pk_fma_f32 v[184:185], v[182:183], v[176:177], v[180:181] op_sel:[0,0,1] op_sel_hi:[1,1,0] neg_lo:[0,0,1] neg_hi:[0,0,1]
	v_pk_fma_f32 v[180:181], v[182:183], v[176:177], v[180:181] op_sel:[0,0,1] op_sel_hi:[1,0,0]
	s_delay_alu instid0(VALU_DEP_1)
	v_mov_b32_e32 v185, v181
	ds_load_2addr_b64 v[180:183], v250 offset0:7 offset1:8
	v_pk_add_f32 v[58:59], v[58:59], v[186:187] neg_lo:[0,1] neg_hi:[0,1]
	v_pk_add_f32 v[60:61], v[60:61], v[184:185] neg_lo:[0,1] neg_hi:[0,1]
	s_wait_dscnt 0x0
	v_pk_mul_f32 v[184:185], v[180:181], v[178:179] op_sel:[0,1]
	s_delay_alu instid0(VALU_DEP_1) | instskip(SKIP_2) | instid1(VALU_DEP_2)
	v_pk_fma_f32 v[186:187], v[180:181], v[176:177], v[184:185] op_sel:[0,0,1] op_sel_hi:[1,1,0] neg_lo:[0,0,1] neg_hi:[0,0,1]
	v_pk_fma_f32 v[180:181], v[180:181], v[176:177], v[184:185] op_sel:[0,0,1] op_sel_hi:[1,0,0]
	v_dual_mul_f32 v184, v183, v179 :: v_dual_mov_b32 v180, v183
	v_dual_mov_b32 v187, v181 :: v_dual_mov_b32 v181, v182
	s_delay_alu instid0(VALU_DEP_2) | instskip(SKIP_1) | instid1(VALU_DEP_3)
	v_pk_fma_f32 v[184:185], v[182:183], v[22:23], v[184:185] op_sel_hi:[1,1,0] neg_lo:[0,0,1] neg_hi:[0,0,1]
	v_mul_f32_e32 v182, v183, v176
	v_pk_add_f32 v[56:57], v[56:57], v[186:187] neg_lo:[0,1] neg_hi:[0,1]
	s_delay_alu instid0(VALU_DEP_2) | instskip(NEXT) | instid1(VALU_DEP_1)
	v_pk_fma_f32 v[180:181], v[180:181], v[22:23], v[182:183] op_sel_hi:[1,1,0]
	v_mov_b32_e32 v185, v181
	ds_load_2addr_b64 v[180:183], v250 offset0:9 offset1:10
	v_pk_add_f32 v[74:75], v[74:75], v[184:185] neg_lo:[0,1] neg_hi:[0,1]
	s_wait_dscnt 0x0
	v_pk_mul_f32 v[184:185], v[180:181], v[178:179] op_sel:[0,1]
	s_delay_alu instid0(VALU_DEP_1) | instskip(SKIP_1) | instid1(VALU_DEP_1)
	v_pk_fma_f32 v[186:187], v[180:181], v[176:177], v[184:185] op_sel:[0,0,1] op_sel_hi:[1,1,0] neg_lo:[0,0,1] neg_hi:[0,0,1]
	v_pk_fma_f32 v[180:181], v[180:181], v[176:177], v[184:185] op_sel:[0,0,1] op_sel_hi:[1,0,0]
	v_mov_b32_e32 v187, v181
	v_pk_mul_f32 v[180:181], v[182:183], v[178:179] op_sel:[0,1]
	s_delay_alu instid0(VALU_DEP_1) | instskip(SKIP_1) | instid1(VALU_DEP_1)
	v_pk_fma_f32 v[184:185], v[182:183], v[176:177], v[180:181] op_sel:[0,0,1] op_sel_hi:[1,1,0] neg_lo:[0,0,1] neg_hi:[0,0,1]
	v_pk_fma_f32 v[180:181], v[182:183], v[176:177], v[180:181] op_sel:[0,0,1] op_sel_hi:[1,0,0]
	v_mov_b32_e32 v185, v181
	ds_load_2addr_b64 v[180:183], v250 offset0:11 offset1:12
	v_pk_add_f32 v[72:73], v[72:73], v[186:187] neg_lo:[0,1] neg_hi:[0,1]
	v_pk_add_f32 v[54:55], v[54:55], v[184:185] neg_lo:[0,1] neg_hi:[0,1]
	s_wait_dscnt 0x0
	v_pk_mul_f32 v[184:185], v[180:181], v[178:179] op_sel:[0,1]
	s_delay_alu instid0(VALU_DEP_1) | instskip(SKIP_1) | instid1(VALU_DEP_1)
	v_pk_fma_f32 v[186:187], v[180:181], v[176:177], v[184:185] op_sel:[0,0,1] op_sel_hi:[1,1,0] neg_lo:[0,0,1] neg_hi:[0,0,1]
	v_pk_fma_f32 v[180:181], v[180:181], v[176:177], v[184:185] op_sel:[0,0,1] op_sel_hi:[1,0,0]
	v_mov_b32_e32 v187, v181
	v_pk_mul_f32 v[180:181], v[182:183], v[178:179] op_sel:[0,1]
	s_delay_alu instid0(VALU_DEP_1) | instskip(SKIP_1) | instid1(VALU_DEP_1)
	v_pk_fma_f32 v[184:185], v[182:183], v[176:177], v[180:181] op_sel:[0,0,1] op_sel_hi:[1,1,0] neg_lo:[0,0,1] neg_hi:[0,0,1]
	v_pk_fma_f32 v[180:181], v[182:183], v[176:177], v[180:181] op_sel:[0,0,1] op_sel_hi:[1,0,0]
	v_mov_b32_e32 v185, v181
	ds_load_2addr_b64 v[180:183], v250 offset0:13 offset1:14
	v_pk_add_f32 v[70:71], v[70:71], v[186:187] neg_lo:[0,1] neg_hi:[0,1]
	v_pk_add_f32 v[94:95], v[94:95], v[184:185] neg_lo:[0,1] neg_hi:[0,1]
	s_wait_dscnt 0x0
	v_dual_mul_f32 v184, v181, v179 :: v_dual_mul_f32 v186, v181, v176
	s_delay_alu instid0(VALU_DEP_1) | instskip(NEXT) | instid1(VALU_DEP_2)
	v_pk_fma_f32 v[184:185], v[180:181], v[22:23], v[184:185] op_sel_hi:[1,1,0] neg_lo:[0,0,1] neg_hi:[0,0,1]
	v_pk_fma_f32 v[180:181], v[180:181], v[22:23], v[186:187] op_sel:[1,0,0] op_sel_hi:[0,1,0]
	s_delay_alu instid0(VALU_DEP_1) | instskip(SKIP_1) | instid1(VALU_DEP_2)
	v_mov_b32_e32 v185, v181
	v_pk_mul_f32 v[180:181], v[182:183], v[178:179] op_sel:[0,1]
	v_pk_add_f32 v[90:91], v[90:91], v[184:185] neg_lo:[0,1] neg_hi:[0,1]
	s_delay_alu instid0(VALU_DEP_2) | instskip(SKIP_1) | instid1(VALU_DEP_1)
	v_pk_fma_f32 v[184:185], v[182:183], v[176:177], v[180:181] op_sel:[0,0,1] op_sel_hi:[1,1,0] neg_lo:[0,0,1] neg_hi:[0,0,1]
	v_pk_fma_f32 v[180:181], v[182:183], v[176:177], v[180:181] op_sel:[0,0,1] op_sel_hi:[1,0,0]
	v_mov_b32_e32 v185, v181
	ds_load_2addr_b64 v[180:183], v250 offset0:15 offset1:16
	v_pk_add_f32 v[92:93], v[92:93], v[184:185] neg_lo:[0,1] neg_hi:[0,1]
	s_wait_dscnt 0x0
	v_pk_mul_f32 v[184:185], v[180:181], v[178:179] op_sel:[0,1]
	s_delay_alu instid0(VALU_DEP_1) | instskip(SKIP_1) | instid1(VALU_DEP_1)
	v_pk_fma_f32 v[186:187], v[180:181], v[176:177], v[184:185] op_sel:[0,0,1] op_sel_hi:[1,1,0] neg_lo:[0,0,1] neg_hi:[0,0,1]
	v_pk_fma_f32 v[180:181], v[180:181], v[176:177], v[184:185] op_sel:[0,0,1] op_sel_hi:[1,0,0]
	v_mov_b32_e32 v187, v181
	v_pk_mul_f32 v[180:181], v[182:183], v[178:179] op_sel:[0,1]
	s_delay_alu instid0(VALU_DEP_2) | instskip(NEXT) | instid1(VALU_DEP_2)
	v_pk_add_f32 v[88:89], v[88:89], v[186:187] neg_lo:[0,1] neg_hi:[0,1]
	v_pk_fma_f32 v[184:185], v[182:183], v[176:177], v[180:181] op_sel:[0,0,1] op_sel_hi:[1,1,0] neg_lo:[0,0,1] neg_hi:[0,0,1]
	v_pk_fma_f32 v[180:181], v[182:183], v[176:177], v[180:181] op_sel:[0,0,1] op_sel_hi:[1,0,0]
	s_delay_alu instid0(VALU_DEP_1) | instskip(SKIP_4) | instid1(VALU_DEP_1)
	v_mov_b32_e32 v185, v181
	ds_load_2addr_b64 v[180:183], v250 offset0:17 offset1:18
	v_pk_add_f32 v[118:119], v[118:119], v[184:185] neg_lo:[0,1] neg_hi:[0,1]
	s_wait_dscnt 0x0
	v_pk_mul_f32 v[184:185], v[180:181], v[178:179] op_sel:[0,1]
	v_pk_fma_f32 v[186:187], v[180:181], v[176:177], v[184:185] op_sel:[0,0,1] op_sel_hi:[1,1,0] neg_lo:[0,0,1] neg_hi:[0,0,1]
	v_pk_fma_f32 v[180:181], v[180:181], v[176:177], v[184:185] op_sel:[0,0,1] op_sel_hi:[1,0,0]
	v_dual_mul_f32 v184, v183, v179 :: v_dual_mov_b32 v180, v183
	s_delay_alu instid0(VALU_DEP_2) | instskip(NEXT) | instid1(VALU_DEP_2)
	v_dual_mov_b32 v187, v181 :: v_dual_mov_b32 v181, v182
	v_pk_fma_f32 v[184:185], v[182:183], v[22:23], v[184:185] op_sel_hi:[1,1,0] neg_lo:[0,0,1] neg_hi:[0,0,1]
	v_mul_f32_e32 v182, v183, v176
	s_delay_alu instid0(VALU_DEP_3) | instskip(NEXT) | instid1(VALU_DEP_2)
	v_pk_add_f32 v[86:87], v[86:87], v[186:187] neg_lo:[0,1] neg_hi:[0,1]
	v_pk_fma_f32 v[180:181], v[180:181], v[22:23], v[182:183] op_sel_hi:[1,1,0]
	s_delay_alu instid0(VALU_DEP_1) | instskip(SKIP_4) | instid1(VALU_DEP_1)
	v_mov_b32_e32 v185, v181
	ds_load_2addr_b64 v[180:183], v250 offset0:19 offset1:20
	v_pk_add_f32 v[116:117], v[116:117], v[184:185] neg_lo:[0,1] neg_hi:[0,1]
	s_wait_dscnt 0x0
	v_pk_mul_f32 v[184:185], v[180:181], v[178:179] op_sel:[0,1]
	v_pk_fma_f32 v[186:187], v[180:181], v[176:177], v[184:185] op_sel:[0,0,1] op_sel_hi:[1,1,0] neg_lo:[0,0,1] neg_hi:[0,0,1]
	v_pk_fma_f32 v[180:181], v[180:181], v[176:177], v[184:185] op_sel:[0,0,1] op_sel_hi:[1,0,0]
	s_delay_alu instid0(VALU_DEP_1) | instskip(SKIP_1) | instid1(VALU_DEP_1)
	v_mov_b32_e32 v187, v181
	v_pk_mul_f32 v[180:181], v[182:183], v[178:179] op_sel:[0,1]
	v_pk_fma_f32 v[184:185], v[182:183], v[176:177], v[180:181] op_sel:[0,0,1] op_sel_hi:[1,1,0] neg_lo:[0,0,1] neg_hi:[0,0,1]
	v_pk_fma_f32 v[180:181], v[182:183], v[176:177], v[180:181] op_sel:[0,0,1] op_sel_hi:[1,0,0]
	s_delay_alu instid0(VALU_DEP_1)
	v_mov_b32_e32 v185, v181
	ds_load_2addr_b64 v[180:183], v250 offset0:21 offset1:22
	v_pk_add_f32 v[114:115], v[114:115], v[186:187] neg_lo:[0,1] neg_hi:[0,1]
	v_pk_add_f32 v[146:147], v[146:147], v[184:185] neg_lo:[0,1] neg_hi:[0,1]
	s_wait_dscnt 0x0
	v_pk_mul_f32 v[184:185], v[180:181], v[178:179] op_sel:[0,1]
	s_delay_alu instid0(VALU_DEP_1) | instskip(SKIP_1) | instid1(VALU_DEP_1)
	v_pk_fma_f32 v[186:187], v[180:181], v[176:177], v[184:185] op_sel:[0,0,1] op_sel_hi:[1,1,0] neg_lo:[0,0,1] neg_hi:[0,0,1]
	v_pk_fma_f32 v[180:181], v[180:181], v[176:177], v[184:185] op_sel:[0,0,1] op_sel_hi:[1,0,0]
	v_mov_b32_e32 v187, v181
	v_pk_mul_f32 v[180:181], v[182:183], v[178:179] op_sel:[0,1]
	s_delay_alu instid0(VALU_DEP_1) | instskip(SKIP_1) | instid1(VALU_DEP_1)
	v_pk_fma_f32 v[184:185], v[182:183], v[176:177], v[180:181] op_sel:[0,0,1] op_sel_hi:[1,1,0] neg_lo:[0,0,1] neg_hi:[0,0,1]
	v_pk_fma_f32 v[180:181], v[182:183], v[176:177], v[180:181] op_sel:[0,0,1] op_sel_hi:[1,0,0]
	v_mov_b32_e32 v185, v181
	ds_load_2addr_b64 v[180:183], v250 offset0:23 offset1:24
	v_pk_add_f32 v[112:113], v[112:113], v[186:187] neg_lo:[0,1] neg_hi:[0,1]
	v_pk_add_f32 v[144:145], v[144:145], v[184:185] neg_lo:[0,1] neg_hi:[0,1]
	s_wait_dscnt 0x0
	v_dual_mul_f32 v184, v181, v179 :: v_dual_mul_f32 v186, v181, v176
	s_delay_alu instid0(VALU_DEP_1) | instskip(NEXT) | instid1(VALU_DEP_2)
	v_pk_fma_f32 v[184:185], v[180:181], v[22:23], v[184:185] op_sel_hi:[1,1,0] neg_lo:[0,0,1] neg_hi:[0,0,1]
	v_pk_fma_f32 v[180:181], v[180:181], v[22:23], v[186:187] op_sel:[1,0,0] op_sel_hi:[0,1,0]
	s_delay_alu instid0(VALU_DEP_1) | instskip(SKIP_1) | instid1(VALU_DEP_2)
	v_mov_b32_e32 v185, v181
	v_pk_mul_f32 v[180:181], v[182:183], v[178:179] op_sel:[0,1]
	v_pk_add_f32 v[76:77], v[76:77], v[184:185] neg_lo:[0,1] neg_hi:[0,1]
	s_delay_alu instid0(VALU_DEP_2) | instskip(SKIP_1) | instid1(VALU_DEP_1)
	v_pk_fma_f32 v[184:185], v[182:183], v[176:177], v[180:181] op_sel:[0,0,1] op_sel_hi:[1,1,0] neg_lo:[0,0,1] neg_hi:[0,0,1]
	v_pk_fma_f32 v[180:181], v[182:183], v[176:177], v[180:181] op_sel:[0,0,1] op_sel_hi:[1,0,0]
	v_mov_b32_e32 v185, v181
	ds_load_2addr_b64 v[180:183], v250 offset0:25 offset1:26
	v_pk_add_f32 v[102:103], v[102:103], v[184:185] neg_lo:[0,1] neg_hi:[0,1]
	s_wait_dscnt 0x0
	v_pk_mul_f32 v[184:185], v[180:181], v[178:179] op_sel:[0,1]
	s_delay_alu instid0(VALU_DEP_1) | instskip(SKIP_1) | instid1(VALU_DEP_1)
	v_pk_fma_f32 v[186:187], v[180:181], v[176:177], v[184:185] op_sel:[0,0,1] op_sel_hi:[1,1,0] neg_lo:[0,0,1] neg_hi:[0,0,1]
	v_pk_fma_f32 v[180:181], v[180:181], v[176:177], v[184:185] op_sel:[0,0,1] op_sel_hi:[1,0,0]
	v_mov_b32_e32 v187, v181
	v_pk_mul_f32 v[180:181], v[182:183], v[178:179] op_sel:[0,1]
	s_delay_alu instid0(VALU_DEP_2) | instskip(NEXT) | instid1(VALU_DEP_2)
	v_pk_add_f32 v[98:99], v[98:99], v[186:187] neg_lo:[0,1] neg_hi:[0,1]
	v_pk_fma_f32 v[184:185], v[182:183], v[176:177], v[180:181] op_sel:[0,0,1] op_sel_hi:[1,1,0] neg_lo:[0,0,1] neg_hi:[0,0,1]
	v_pk_fma_f32 v[180:181], v[182:183], v[176:177], v[180:181] op_sel:[0,0,1] op_sel_hi:[1,0,0]
	s_delay_alu instid0(VALU_DEP_1) | instskip(SKIP_4) | instid1(VALU_DEP_1)
	v_mov_b32_e32 v185, v181
	ds_load_2addr_b64 v[180:183], v250 offset0:27 offset1:28
	v_pk_add_f32 v[100:101], v[100:101], v[184:185] neg_lo:[0,1] neg_hi:[0,1]
	s_wait_dscnt 0x0
	v_pk_mul_f32 v[184:185], v[180:181], v[178:179] op_sel:[0,1]
	v_pk_fma_f32 v[186:187], v[180:181], v[176:177], v[184:185] op_sel:[0,0,1] op_sel_hi:[1,1,0] neg_lo:[0,0,1] neg_hi:[0,0,1]
	v_pk_fma_f32 v[180:181], v[180:181], v[176:177], v[184:185] op_sel:[0,0,1] op_sel_hi:[1,0,0]
	v_dual_mul_f32 v184, v183, v179 :: v_dual_mov_b32 v180, v183
	s_delay_alu instid0(VALU_DEP_2) | instskip(NEXT) | instid1(VALU_DEP_2)
	v_dual_mov_b32 v187, v181 :: v_dual_mov_b32 v181, v182
	v_pk_fma_f32 v[184:185], v[182:183], v[22:23], v[184:185] op_sel_hi:[1,1,0] neg_lo:[0,0,1] neg_hi:[0,0,1]
	v_mul_f32_e32 v182, v183, v176
	s_delay_alu instid0(VALU_DEP_3) | instskip(NEXT) | instid1(VALU_DEP_2)
	v_pk_add_f32 v[96:97], v[96:97], v[186:187] neg_lo:[0,1] neg_hi:[0,1]
	v_pk_fma_f32 v[180:181], v[180:181], v[22:23], v[182:183] op_sel_hi:[1,1,0]
	s_delay_alu instid0(VALU_DEP_1) | instskip(SKIP_4) | instid1(VALU_DEP_1)
	v_mov_b32_e32 v185, v181
	ds_load_2addr_b64 v[180:183], v250 offset0:29 offset1:30
	v_pk_add_f32 v[132:133], v[132:133], v[184:185] neg_lo:[0,1] neg_hi:[0,1]
	s_wait_dscnt 0x0
	v_pk_mul_f32 v[184:185], v[180:181], v[178:179] op_sel:[0,1]
	v_pk_fma_f32 v[186:187], v[180:181], v[176:177], v[184:185] op_sel:[0,0,1] op_sel_hi:[1,1,0] neg_lo:[0,0,1] neg_hi:[0,0,1]
	v_pk_fma_f32 v[180:181], v[180:181], v[176:177], v[184:185] op_sel:[0,0,1] op_sel_hi:[1,0,0]
	s_delay_alu instid0(VALU_DEP_1) | instskip(SKIP_1) | instid1(VALU_DEP_1)
	v_mov_b32_e32 v187, v181
	v_pk_mul_f32 v[180:181], v[182:183], v[178:179] op_sel:[0,1]
	v_pk_fma_f32 v[184:185], v[182:183], v[176:177], v[180:181] op_sel:[0,0,1] op_sel_hi:[1,1,0] neg_lo:[0,0,1] neg_hi:[0,0,1]
	v_pk_fma_f32 v[180:181], v[182:183], v[176:177], v[180:181] op_sel:[0,0,1] op_sel_hi:[1,0,0]
	s_delay_alu instid0(VALU_DEP_1)
	v_mov_b32_e32 v185, v181
	ds_load_2addr_b64 v[180:183], v250 offset0:31 offset1:32
	v_pk_add_f32 v[128:129], v[128:129], v[186:187] neg_lo:[0,1] neg_hi:[0,1]
	v_pk_add_f32 v[130:131], v[130:131], v[184:185] neg_lo:[0,1] neg_hi:[0,1]
	s_wait_dscnt 0x0
	v_pk_mul_f32 v[184:185], v[180:181], v[178:179] op_sel:[0,1]
	s_delay_alu instid0(VALU_DEP_1) | instskip(SKIP_1) | instid1(VALU_DEP_1)
	v_pk_fma_f32 v[186:187], v[180:181], v[176:177], v[184:185] op_sel:[0,0,1] op_sel_hi:[1,1,0] neg_lo:[0,0,1] neg_hi:[0,0,1]
	v_pk_fma_f32 v[180:181], v[180:181], v[176:177], v[184:185] op_sel:[0,0,1] op_sel_hi:[1,0,0]
	v_mov_b32_e32 v187, v181
	v_pk_mul_f32 v[180:181], v[182:183], v[178:179] op_sel:[0,1]
	s_delay_alu instid0(VALU_DEP_1) | instskip(SKIP_1) | instid1(VALU_DEP_1)
	v_pk_fma_f32 v[184:185], v[182:183], v[176:177], v[180:181] op_sel:[0,0,1] op_sel_hi:[1,1,0] neg_lo:[0,0,1] neg_hi:[0,0,1]
	v_pk_fma_f32 v[180:181], v[182:183], v[176:177], v[180:181] op_sel:[0,0,1] op_sel_hi:[1,0,0]
	v_mov_b32_e32 v185, v181
	ds_load_2addr_b64 v[180:183], v250 offset0:33 offset1:34
	v_pk_add_f32 v[126:127], v[126:127], v[186:187] neg_lo:[0,1] neg_hi:[0,1]
	v_pk_add_f32 v[160:161], v[160:161], v[184:185] neg_lo:[0,1] neg_hi:[0,1]
	s_wait_dscnt 0x0
	v_dual_mul_f32 v184, v181, v179 :: v_dual_mul_f32 v186, v181, v176
	s_delay_alu instid0(VALU_DEP_1) | instskip(NEXT) | instid1(VALU_DEP_2)
	v_pk_fma_f32 v[184:185], v[180:181], v[22:23], v[184:185] op_sel_hi:[1,1,0] neg_lo:[0,0,1] neg_hi:[0,0,1]
	v_pk_fma_f32 v[180:181], v[180:181], v[22:23], v[186:187] op_sel:[1,0,0] op_sel_hi:[0,1,0]
	s_delay_alu instid0(VALU_DEP_1) | instskip(SKIP_1) | instid1(VALU_DEP_2)
	v_mov_b32_e32 v185, v181
	v_pk_mul_f32 v[180:181], v[182:183], v[178:179] op_sel:[0,1]
	v_pk_add_f32 v[152:153], v[152:153], v[184:185] neg_lo:[0,1] neg_hi:[0,1]
	s_delay_alu instid0(VALU_DEP_2) | instskip(SKIP_1) | instid1(VALU_DEP_1)
	v_pk_fma_f32 v[184:185], v[182:183], v[176:177], v[180:181] op_sel:[0,0,1] op_sel_hi:[1,1,0] neg_lo:[0,0,1] neg_hi:[0,0,1]
	v_pk_fma_f32 v[180:181], v[182:183], v[176:177], v[180:181] op_sel:[0,0,1] op_sel_hi:[1,0,0]
	v_mov_b32_e32 v185, v181
	ds_load_2addr_b64 v[180:183], v250 offset0:35 offset1:36
	v_pk_add_f32 v[158:159], v[158:159], v[184:185] neg_lo:[0,1] neg_hi:[0,1]
	s_wait_dscnt 0x0
	v_pk_mul_f32 v[184:185], v[180:181], v[178:179] op_sel:[0,1]
	s_delay_alu instid0(VALU_DEP_1) | instskip(SKIP_1) | instid1(VALU_DEP_1)
	v_pk_fma_f32 v[186:187], v[180:181], v[176:177], v[184:185] op_sel:[0,0,1] op_sel_hi:[1,1,0] neg_lo:[0,0,1] neg_hi:[0,0,1]
	v_pk_fma_f32 v[180:181], v[180:181], v[176:177], v[184:185] op_sel:[0,0,1] op_sel_hi:[1,0,0]
	v_mov_b32_e32 v187, v181
	v_pk_mul_f32 v[180:181], v[182:183], v[178:179] op_sel:[0,1]
	s_delay_alu instid0(VALU_DEP_2) | instskip(NEXT) | instid1(VALU_DEP_2)
	v_pk_add_f32 v[150:151], v[150:151], v[186:187] neg_lo:[0,1] neg_hi:[0,1]
	v_pk_fma_f32 v[184:185], v[182:183], v[176:177], v[180:181] op_sel:[0,0,1] op_sel_hi:[1,1,0] neg_lo:[0,0,1] neg_hi:[0,0,1]
	v_pk_fma_f32 v[180:181], v[182:183], v[176:177], v[180:181] op_sel:[0,0,1] op_sel_hi:[1,0,0]
	s_delay_alu instid0(VALU_DEP_1) | instskip(SKIP_4) | instid1(VALU_DEP_1)
	v_mov_b32_e32 v185, v181
	ds_load_2addr_b64 v[180:183], v250 offset0:37 offset1:38
	v_pk_add_f32 v[156:157], v[156:157], v[184:185] neg_lo:[0,1] neg_hi:[0,1]
	s_wait_dscnt 0x0
	v_pk_mul_f32 v[184:185], v[180:181], v[178:179] op_sel:[0,1]
	v_pk_fma_f32 v[186:187], v[180:181], v[176:177], v[184:185] op_sel:[0,0,1] op_sel_hi:[1,1,0] neg_lo:[0,0,1] neg_hi:[0,0,1]
	v_pk_fma_f32 v[180:181], v[180:181], v[176:177], v[184:185] op_sel:[0,0,1] op_sel_hi:[1,0,0]
	v_dual_mul_f32 v184, v183, v179 :: v_dual_mov_b32 v180, v183
	s_delay_alu instid0(VALU_DEP_2) | instskip(NEXT) | instid1(VALU_DEP_2)
	v_dual_mov_b32 v187, v181 :: v_dual_mov_b32 v181, v182
	v_pk_fma_f32 v[184:185], v[182:183], v[22:23], v[184:185] op_sel_hi:[1,1,0] neg_lo:[0,0,1] neg_hi:[0,0,1]
	v_mul_f32_e32 v182, v183, v176
	s_delay_alu instid0(VALU_DEP_3) | instskip(NEXT) | instid1(VALU_DEP_2)
	v_pk_add_f32 v[148:149], v[148:149], v[186:187] neg_lo:[0,1] neg_hi:[0,1]
	v_pk_fma_f32 v[180:181], v[180:181], v[22:23], v[182:183] op_sel_hi:[1,1,0]
	s_delay_alu instid0(VALU_DEP_1)
	v_mov_b32_e32 v185, v181
	ds_load_2addr_b64 v[180:183], v250 offset0:39 offset1:40
	v_pk_add_f32 v[154:155], v[154:155], v[184:185] neg_lo:[0,1] neg_hi:[0,1]
	s_wait_dscnt 0x0
	v_pk_mul_f32 v[184:185], v[180:181], v[178:179] op_sel:[0,1]
	v_mul_f32_e32 v178, v183, v179
	s_delay_alu instid0(VALU_DEP_2) | instskip(SKIP_2) | instid1(VALU_DEP_4)
	v_pk_fma_f32 v[186:187], v[180:181], v[176:177], v[184:185] op_sel:[0,0,1] op_sel_hi:[1,1,0] neg_lo:[0,0,1] neg_hi:[0,0,1]
	v_pk_fma_f32 v[180:181], v[180:181], v[176:177], v[184:185] op_sel:[0,0,1] op_sel_hi:[1,0,0]
	v_dual_mov_b32 v180, v183 :: v_dual_mul_f32 v176, v183, v176
	v_pk_fma_f32 v[178:179], v[182:183], v[22:23], v[178:179] op_sel_hi:[1,1,0] neg_lo:[0,0,1] neg_hi:[0,0,1]
	s_delay_alu instid0(VALU_DEP_3) | instskip(NEXT) | instid1(VALU_DEP_1)
	v_dual_mov_b32 v187, v181 :: v_dual_mov_b32 v181, v182
	v_pk_add_f32 v[162:163], v[162:163], v[186:187] neg_lo:[0,1] neg_hi:[0,1]
	s_delay_alu instid0(VALU_DEP_2) | instskip(NEXT) | instid1(VALU_DEP_1)
	v_pk_fma_f32 v[176:177], v[180:181], v[22:23], v[176:177] op_sel_hi:[1,1,0]
	v_mov_b32_e32 v179, v177
	s_delay_alu instid0(VALU_DEP_1)
	v_pk_add_f32 v[164:165], v[164:165], v[178:179] neg_lo:[0,1] neg_hi:[0,1]
.LBB81_46:
	s_or_b32 exec_lo, exec_lo, s1
	s_delay_alu instid0(SALU_CYCLE_1)
	s_mov_b32 s2, exec_lo
	s_wait_dscnt 0x0
	s_barrier_signal -1
	s_barrier_wait -1
	v_cmpx_eq_u32_e32 5, v248
	s_cbranch_execz .LBB81_53
; %bb.47:
	v_dual_mov_b32 v176, v60 :: v_dual_mov_b32 v177, v61
	v_dual_mov_b32 v178, v56 :: v_dual_mov_b32 v179, v57
	ds_store_b64 v249, v[58:59]
	ds_store_2addr_b64 v250, v[176:177], v[178:179] offset0:6 offset1:7
	v_dual_mov_b32 v176, v74 :: v_dual_mov_b32 v177, v75
	v_dual_mov_b32 v178, v72 :: v_dual_mov_b32 v179, v73
	ds_store_2addr_b64 v250, v[176:177], v[178:179] offset0:8 offset1:9
	v_dual_mov_b32 v176, v54 :: v_dual_mov_b32 v177, v55
	v_dual_mov_b32 v178, v70 :: v_dual_mov_b32 v179, v71
	;; [unrolled: 3-line block ×16, first 2 shown]
	ds_store_2addr_b64 v250, v[176:177], v[178:179] offset0:38 offset1:39
	ds_store_b64 v250, v[164:165] offset:320
	ds_load_b64 v[176:177], v249
	s_wait_dscnt 0x0
	v_cmp_neq_f32_e32 vcc_lo, 0, v176
	v_cmp_neq_f32_e64 s1, 0, v177
	s_or_b32 s1, vcc_lo, s1
	s_delay_alu instid0(SALU_CYCLE_1)
	s_and_b32 exec_lo, exec_lo, s1
	s_cbranch_execz .LBB81_53
; %bb.48:
	v_cmp_ngt_f32_e64 s1, |v176|, |v177|
                                        ; implicit-def: $vgpr178_vgpr179
	s_and_saveexec_b32 s4, s1
	s_delay_alu instid0(SALU_CYCLE_1)
	s_xor_b32 s1, exec_lo, s4
	s_cbranch_execz .LBB81_50
; %bb.49:
	v_div_scale_f32 v0, null, v177, v177, v176
	v_div_scale_f32 v5, vcc_lo, v176, v177, v176
	s_delay_alu instid0(VALU_DEP_2) | instskip(SKIP_1) | instid1(TRANS32_DEP_1)
	v_rcp_f32_e32 v1, v0
	v_nop
	v_fma_f32 v4, -v0, v1, 1.0
	s_delay_alu instid0(VALU_DEP_1) | instskip(NEXT) | instid1(VALU_DEP_1)
	v_fmac_f32_e32 v1, v4, v1
	v_mul_f32_e32 v4, v5, v1
	s_delay_alu instid0(VALU_DEP_1) | instskip(NEXT) | instid1(VALU_DEP_1)
	v_fma_f32 v178, -v0, v4, v5
	v_fmac_f32_e32 v4, v178, v1
	s_delay_alu instid0(VALU_DEP_1) | instskip(NEXT) | instid1(VALU_DEP_1)
	v_fma_f32 v0, -v0, v4, v5
	v_div_fmas_f32 v0, v0, v1, v4
	s_delay_alu instid0(VALU_DEP_1) | instskip(NEXT) | instid1(VALU_DEP_1)
	v_div_fixup_f32 v0, v0, v177, v176
	v_fmac_f32_e32 v177, v176, v0
	s_delay_alu instid0(VALU_DEP_1) | instskip(SKIP_1) | instid1(VALU_DEP_2)
	v_div_scale_f32 v1, null, v177, v177, 1.0
	v_div_scale_f32 v176, vcc_lo, 1.0, v177, 1.0
	v_rcp_f32_e32 v4, v1
	v_nop
	s_delay_alu instid0(TRANS32_DEP_1) | instskip(NEXT) | instid1(VALU_DEP_1)
	v_fma_f32 v5, -v1, v4, 1.0
	v_fmac_f32_e32 v4, v5, v4
	s_delay_alu instid0(VALU_DEP_1) | instskip(NEXT) | instid1(VALU_DEP_1)
	v_mul_f32_e32 v5, v176, v4
	v_fma_f32 v178, -v1, v5, v176
	s_delay_alu instid0(VALU_DEP_1) | instskip(NEXT) | instid1(VALU_DEP_1)
	v_fmac_f32_e32 v5, v178, v4
	v_fma_f32 v1, -v1, v5, v176
	s_delay_alu instid0(VALU_DEP_1) | instskip(NEXT) | instid1(VALU_DEP_1)
	v_div_fmas_f32 v1, v1, v4, v5
	v_div_fixup_f32 v1, v1, v177, 1.0
                                        ; implicit-def: $vgpr176_vgpr177
	s_delay_alu instid0(VALU_DEP_1)
	v_mul_f32_e32 v178, v0, v1
	v_xor_b32_e32 v179, 0x80000000, v1
.LBB81_50:
	s_and_not1_saveexec_b32 s1, s1
	s_cbranch_execz .LBB81_52
; %bb.51:
	v_div_scale_f32 v0, null, v176, v176, v177
	v_div_scale_f32 v5, vcc_lo, v177, v176, v177
	s_delay_alu instid0(VALU_DEP_2) | instskip(SKIP_1) | instid1(TRANS32_DEP_1)
	v_rcp_f32_e32 v1, v0
	v_nop
	v_fma_f32 v4, -v0, v1, 1.0
	s_delay_alu instid0(VALU_DEP_1) | instskip(NEXT) | instid1(VALU_DEP_1)
	v_fmac_f32_e32 v1, v4, v1
	v_mul_f32_e32 v4, v5, v1
	s_delay_alu instid0(VALU_DEP_1) | instskip(NEXT) | instid1(VALU_DEP_1)
	v_fma_f32 v178, -v0, v4, v5
	v_fmac_f32_e32 v4, v178, v1
	s_delay_alu instid0(VALU_DEP_1) | instskip(NEXT) | instid1(VALU_DEP_1)
	v_fma_f32 v0, -v0, v4, v5
	v_div_fmas_f32 v0, v0, v1, v4
	s_delay_alu instid0(VALU_DEP_1) | instskip(NEXT) | instid1(VALU_DEP_1)
	v_div_fixup_f32 v0, v0, v176, v177
	v_fmac_f32_e32 v176, v177, v0
	s_delay_alu instid0(VALU_DEP_1) | instskip(NEXT) | instid1(VALU_DEP_1)
	v_div_scale_f32 v1, null, v176, v176, 1.0
	v_rcp_f32_e32 v4, v1
	v_nop
	s_delay_alu instid0(TRANS32_DEP_1) | instskip(NEXT) | instid1(VALU_DEP_1)
	v_fma_f32 v5, -v1, v4, 1.0
	v_fmac_f32_e32 v4, v5, v4
	v_div_scale_f32 v5, vcc_lo, 1.0, v176, 1.0
	s_delay_alu instid0(VALU_DEP_1) | instskip(NEXT) | instid1(VALU_DEP_1)
	v_mul_f32_e32 v177, v5, v4
	v_fma_f32 v178, -v1, v177, v5
	s_delay_alu instid0(VALU_DEP_1) | instskip(NEXT) | instid1(VALU_DEP_1)
	v_fmac_f32_e32 v177, v178, v4
	v_fma_f32 v1, -v1, v177, v5
	s_delay_alu instid0(VALU_DEP_1) | instskip(NEXT) | instid1(VALU_DEP_1)
	v_div_fmas_f32 v1, v1, v4, v177
	v_div_fixup_f32 v178, v1, v176, 1.0
	s_delay_alu instid0(VALU_DEP_1)
	v_mul_f32_e64 v179, v0, -v178
.LBB81_52:
	s_or_b32 exec_lo, exec_lo, s1
	ds_store_b64 v249, v[178:179]
.LBB81_53:
	s_or_b32 exec_lo, exec_lo, s2
	s_wait_dscnt 0x0
	s_barrier_signal -1
	s_barrier_wait -1
	ds_load_b64 v[176:177], v249
	s_mov_b32 s1, exec_lo
	v_cmpx_lt_u32_e32 5, v248
	s_cbranch_execz .LBB81_55
; %bb.54:
	ds_load_2addr_b64 v[182:185], v250 offset0:6 offset1:7
	ds_load_2addr_b64 v[186:189], v250 offset0:8 offset1:9
	ds_load_2addr_b64 v[190:193], v250 offset0:10 offset1:11
	s_wait_dscnt 0x3
	v_pk_mul_f32 v[180:181], v[176:177], v[58:59] op_sel:[1,1] op_sel_hi:[0,1]
	ds_load_2addr_b64 v[194:197], v250 offset0:12 offset1:13
	ds_load_2addr_b64 v[198:201], v250 offset0:14 offset1:15
	v_pk_fma_f32 v[178:179], v[176:177], v[58:59], v[180:181] op_sel_hi:[1,0,1] neg_lo:[0,0,1] neg_hi:[0,0,1]
	v_pk_fma_f32 v[180:181], v[176:177], v[58:59], v[180:181] op_sel_hi:[1,0,1]
	s_delay_alu instid0(VALU_DEP_1) | instskip(SKIP_1) | instid1(VALU_DEP_2)
	v_dual_mov_b32 v58, v178 :: v_dual_mov_b32 v59, v181
	s_wait_dscnt 0x4
	v_pk_mul_f32 v[202:203], v[182:183], v[180:181] op_sel:[0,1]
	v_pk_mul_f32 v[204:205], v[184:185], v[180:181] op_sel:[0,1]
	s_wait_dscnt 0x3
	v_pk_mul_f32 v[206:207], v[186:187], v[180:181] op_sel:[0,1]
	s_wait_dscnt 0x2
	v_pk_mul_f32 v[214:215], v[190:191], v[180:181] op_sel:[0,1]
	v_dual_mov_b32 v208, v189 :: v_dual_mov_b32 v209, v188
	v_pk_fma_f32 v[218:219], v[182:183], v[178:179], v[202:203] op_sel:[0,0,1] op_sel_hi:[1,1,0] neg_lo:[0,0,1] neg_hi:[0,0,1]
	v_pk_fma_f32 v[182:183], v[182:183], v[178:179], v[202:203] op_sel:[0,0,1] op_sel_hi:[1,0,0]
	v_dual_mul_f32 v210, v189, v181 :: v_dual_mul_f32 v212, v189, v178
	v_pk_mul_f32 v[216:217], v[192:193], v[180:181] op_sel:[0,1]
	v_pk_fma_f32 v[202:203], v[184:185], v[178:179], v[204:205] op_sel:[0,0,1] op_sel_hi:[1,1,0] neg_lo:[0,0,1] neg_hi:[0,0,1]
	v_pk_fma_f32 v[184:185], v[184:185], v[178:179], v[204:205] op_sel:[0,0,1] op_sel_hi:[1,0,0]
	v_pk_fma_f32 v[204:205], v[186:187], v[178:179], v[206:207] op_sel:[0,0,1] op_sel_hi:[1,1,0] neg_lo:[0,0,1] neg_hi:[0,0,1]
	v_pk_fma_f32 v[186:187], v[186:187], v[178:179], v[206:207] op_sel:[0,0,1] op_sel_hi:[1,0,0]
	v_mov_b32_e32 v219, v183
	v_pk_fma_f32 v[182:183], v[190:191], v[178:179], v[214:215] op_sel:[0,0,1] op_sel_hi:[1,0,0]
	v_pk_fma_f32 v[206:207], v[208:209], v[58:59], v[212:213] op_sel_hi:[1,1,0]
	v_pk_fma_f32 v[208:209], v[190:191], v[178:179], v[214:215] op_sel:[0,0,1] op_sel_hi:[1,1,0] neg_lo:[0,0,1] neg_hi:[0,0,1]
	v_dual_mov_b32 v203, v185 :: v_dual_mov_b32 v205, v187
	v_pk_fma_f32 v[186:187], v[192:193], v[178:179], v[216:217] op_sel:[0,0,1] op_sel_hi:[1,0,0]
	s_wait_dscnt 0x1
	v_pk_mul_f32 v[190:191], v[194:195], v[180:181] op_sel:[0,1]
	v_pk_fma_f32 v[188:189], v[188:189], v[58:59], v[210:211] op_sel_hi:[1,1,0] neg_lo:[0,0,1] neg_hi:[0,0,1]
	v_mov_b32_e32 v209, v183
	ds_load_2addr_b64 v[182:185], v250 offset0:16 offset1:17
	v_pk_fma_f32 v[192:193], v[192:193], v[178:179], v[216:217] op_sel:[0,0,1] op_sel_hi:[1,1,0] neg_lo:[0,0,1] neg_hi:[0,0,1]
	v_mov_b32_e32 v189, v207
	v_pk_add_f32 v[56:57], v[56:57], v[202:203] neg_lo:[0,1] neg_hi:[0,1]
	v_mov_b32_e32 v193, v187
	v_pk_mul_f32 v[202:203], v[196:197], v[180:181] op_sel:[0,1]
	v_pk_fma_f32 v[186:187], v[194:195], v[178:179], v[190:191] op_sel:[0,0,1] op_sel_hi:[1,0,0]
	v_pk_fma_f32 v[190:191], v[194:195], v[178:179], v[190:191] op_sel:[0,0,1] op_sel_hi:[1,1,0] neg_lo:[0,0,1] neg_hi:[0,0,1]
	v_pk_add_f32 v[72:73], v[72:73], v[188:189] neg_lo:[0,1] neg_hi:[0,1]
	v_pk_add_f32 v[70:71], v[70:71], v[192:193] neg_lo:[0,1] neg_hi:[0,1]
	v_pk_fma_f32 v[192:193], v[196:197], v[178:179], v[202:203] op_sel:[0,0,1] op_sel_hi:[1,0,0]
	v_mov_b32_e32 v191, v187
	ds_load_2addr_b64 v[186:189], v250 offset0:18 offset1:19
	s_wait_dscnt 0x2
	v_mul_f32_e32 v192, v199, v178
	v_pk_fma_f32 v[194:195], v[196:197], v[178:179], v[202:203] op_sel:[0,0,1] op_sel_hi:[1,1,0] neg_lo:[0,0,1] neg_hi:[0,0,1]
	v_mov_b32_e32 v195, v193
	v_pk_add_f32 v[94:95], v[94:95], v[190:191] neg_lo:[0,1] neg_hi:[0,1]
	v_mul_f32_e32 v190, v199, v181
	v_pk_fma_f32 v[192:193], v[198:199], v[58:59], v[192:193] op_sel:[1,0,0] op_sel_hi:[0,1,0]
	v_pk_mul_f32 v[196:197], v[200:201], v[180:181] op_sel:[0,1]
	v_pk_add_f32 v[74:75], v[74:75], v[204:205] neg_lo:[0,1] neg_hi:[0,1]
	v_pk_add_f32 v[90:91], v[90:91], v[194:195] neg_lo:[0,1] neg_hi:[0,1]
	s_wait_dscnt 0x1
	v_pk_mul_f32 v[194:195], v[182:183], v[180:181] op_sel:[0,1]
	v_pk_fma_f32 v[198:199], v[198:199], v[58:59], v[190:191] op_sel_hi:[1,1,0] neg_lo:[0,0,1] neg_hi:[0,0,1]
	v_pk_mul_f32 v[204:205], v[184:185], v[180:181] op_sel:[0,1]
	v_pk_fma_f32 v[202:203], v[200:201], v[178:179], v[196:197] op_sel:[0,0,1] op_sel_hi:[1,0,0]
	v_mov_b32_e32 v199, v193
	ds_load_2addr_b64 v[190:193], v250 offset0:20 offset1:21
	v_pk_fma_f32 v[206:207], v[182:183], v[178:179], v[194:195] op_sel:[0,0,1] op_sel_hi:[1,0,0]
	v_pk_fma_f32 v[196:197], v[200:201], v[178:179], v[196:197] op_sel:[0,0,1] op_sel_hi:[1,1,0] neg_lo:[0,0,1] neg_hi:[0,0,1]
	v_pk_fma_f32 v[200:201], v[184:185], v[178:179], v[204:205] op_sel:[0,0,1] op_sel_hi:[1,0,0]
	v_mov_b32_e32 v197, v203
	v_pk_fma_f32 v[182:183], v[182:183], v[178:179], v[194:195] op_sel:[0,0,1] op_sel_hi:[1,1,0] neg_lo:[0,0,1] neg_hi:[0,0,1]
	s_wait_dscnt 0x1
	v_pk_mul_f32 v[194:195], v[186:187], v[180:181] op_sel:[0,1]
	v_pk_fma_f32 v[184:185], v[184:185], v[178:179], v[204:205] op_sel:[0,0,1] op_sel_hi:[1,1,0] neg_lo:[0,0,1] neg_hi:[0,0,1]
	v_dual_mov_b32 v183, v207 :: v_dual_mov_b32 v185, v201
	v_pk_add_f32 v[88:89], v[88:89], v[196:197] neg_lo:[0,1] neg_hi:[0,1]
	s_delay_alu instid0(VALU_DEP_4) | instskip(SKIP_1) | instid1(VALU_DEP_4)
	v_pk_fma_f32 v[196:197], v[186:187], v[178:179], v[194:195] op_sel:[0,0,1] op_sel_hi:[1,0,0]
	v_pk_fma_f32 v[186:187], v[186:187], v[178:179], v[194:195] op_sel:[0,0,1] op_sel_hi:[1,1,0] neg_lo:[0,0,1] neg_hi:[0,0,1]
	v_pk_add_f32 v[118:119], v[118:119], v[182:183] neg_lo:[0,1] neg_hi:[0,1]
	v_pk_add_f32 v[86:87], v[86:87], v[184:185] neg_lo:[0,1] neg_hi:[0,1]
	ds_load_2addr_b64 v[182:185], v250 offset0:22 offset1:23
	v_pk_add_f32 v[92:93], v[92:93], v[198:199] neg_lo:[0,1] neg_hi:[0,1]
	v_dual_mov_b32 v187, v197 :: v_dual_mov_b32 v198, v189
	v_dual_mov_b32 v199, v188 :: v_dual_mul_f32 v200, v189, v178
	s_wait_dscnt 0x1
	v_pk_mul_f32 v[202:203], v[190:191], v[180:181] op_sel:[0,1]
	ds_load_2addr_b64 v[194:197], v250 offset0:24 offset1:25
	v_pk_mul_f32 v[206:207], v[192:193], v[180:181] op_sel:[0,1]
	v_pk_add_f32 v[116:117], v[116:117], v[186:187] neg_lo:[0,1] neg_hi:[0,1]
	v_pk_fma_f32 v[198:199], v[198:199], v[58:59], v[200:201] op_sel_hi:[1,1,0]
	v_mul_f32_e32 v204, v189, v181
	v_pk_fma_f32 v[186:187], v[190:191], v[178:179], v[202:203] op_sel:[0,0,1] op_sel_hi:[1,0,0]
	v_pk_fma_f32 v[190:191], v[190:191], v[178:179], v[202:203] op_sel:[0,0,1] op_sel_hi:[1,1,0] neg_lo:[0,0,1] neg_hi:[0,0,1]
	v_pk_add_f32 v[60:61], v[60:61], v[218:219] neg_lo:[0,1] neg_hi:[0,1]
	v_pk_add_f32 v[54:55], v[54:55], v[208:209] neg_lo:[0,1] neg_hi:[0,1]
	v_pk_fma_f32 v[200:201], v[188:189], v[58:59], v[204:205] op_sel_hi:[1,1,0] neg_lo:[0,0,1] neg_hi:[0,0,1]
	v_pk_fma_f32 v[188:189], v[192:193], v[178:179], v[206:207] op_sel:[0,0,1] op_sel_hi:[1,0,0]
	v_pk_fma_f32 v[192:193], v[192:193], v[178:179], v[206:207] op_sel:[0,0,1] op_sel_hi:[1,1,0] neg_lo:[0,0,1] neg_hi:[0,0,1]
	v_dual_mov_b32 v191, v187 :: v_dual_mov_b32 v201, v199
	s_wait_dscnt 0x1
	v_pk_mul_f32 v[198:199], v[182:183], v[180:181] op_sel:[0,1]
	v_mov_b32_e32 v193, v189
	ds_load_2addr_b64 v[186:189], v250 offset0:26 offset1:27
	v_pk_add_f32 v[146:147], v[146:147], v[190:191] neg_lo:[0,1] neg_hi:[0,1]
	v_pk_add_f32 v[114:115], v[114:115], v[200:201] neg_lo:[0,1] neg_hi:[0,1]
	v_pk_fma_f32 v[202:203], v[182:183], v[178:179], v[198:199] op_sel:[0,0,1] op_sel_hi:[1,1,0] neg_lo:[0,0,1] neg_hi:[0,0,1]
	v_pk_add_f32 v[112:113], v[112:113], v[192:193] neg_lo:[0,1] neg_hi:[0,1]
	ds_load_2addr_b64 v[190:193], v250 offset0:28 offset1:29
	v_pk_fma_f32 v[182:183], v[182:183], v[178:179], v[198:199] op_sel:[0,0,1] op_sel_hi:[1,0,0]
	v_pk_mul_f32 v[200:201], v[184:185], v[180:181] op_sel:[0,1]
	s_wait_dscnt 0x2
	v_dual_mul_f32 v204, v195, v178 :: v_dual_mul_f32 v182, v195, v181
	s_delay_alu instid0(VALU_DEP_2) | instskip(NEXT) | instid1(VALU_DEP_2)
	v_pk_fma_f32 v[198:199], v[184:185], v[178:179], v[200:201] op_sel:[0,0,1] op_sel_hi:[1,0,0]
	v_pk_fma_f32 v[204:205], v[194:195], v[58:59], v[204:205] op_sel:[1,0,0] op_sel_hi:[0,1,0]
	v_mov_b32_e32 v203, v183
	s_delay_alu instid0(VALU_DEP_4)
	v_pk_fma_f32 v[182:183], v[194:195], v[58:59], v[182:183] op_sel_hi:[1,1,0] neg_lo:[0,0,1] neg_hi:[0,0,1]
	v_pk_mul_f32 v[194:195], v[196:197], v[180:181] op_sel:[0,1]
	v_pk_fma_f32 v[184:185], v[184:185], v[178:179], v[200:201] op_sel:[0,0,1] op_sel_hi:[1,1,0] neg_lo:[0,0,1] neg_hi:[0,0,1]
	v_mov_b32_e32 v185, v199
	v_pk_add_f32 v[144:145], v[144:145], v[202:203] neg_lo:[0,1] neg_hi:[0,1]
	s_wait_dscnt 0x1
	v_pk_mul_f32 v[198:199], v[186:187], v[180:181] op_sel:[0,1]
	v_pk_fma_f32 v[200:201], v[196:197], v[178:179], v[194:195] op_sel:[0,0,1] op_sel_hi:[1,0,0]
	v_mov_b32_e32 v183, v205
	v_pk_fma_f32 v[202:203], v[196:197], v[178:179], v[194:195] op_sel:[0,0,1] op_sel_hi:[1,1,0] neg_lo:[0,0,1] neg_hi:[0,0,1]
	v_pk_add_f32 v[76:77], v[76:77], v[184:185] neg_lo:[0,1] neg_hi:[0,1]
	v_pk_fma_f32 v[194:195], v[186:187], v[178:179], v[198:199] op_sel:[0,0,1] op_sel_hi:[1,0,0]
	v_mov_b32_e32 v203, v201
	v_pk_add_f32 v[102:103], v[102:103], v[182:183] neg_lo:[0,1] neg_hi:[0,1]
	ds_load_2addr_b64 v[182:185], v250 offset0:30 offset1:31
	v_pk_fma_f32 v[186:187], v[186:187], v[178:179], v[198:199] op_sel:[0,0,1] op_sel_hi:[1,1,0] neg_lo:[0,0,1] neg_hi:[0,0,1]
	s_wait_dscnt 0x1
	v_pk_mul_f32 v[198:199], v[190:191], v[180:181] op_sel:[0,1]
	v_pk_add_f32 v[98:99], v[98:99], v[202:203] neg_lo:[0,1] neg_hi:[0,1]
	v_pk_mul_f32 v[204:205], v[188:189], v[180:181] op_sel:[0,1]
	s_delay_alu instid0(VALU_DEP_3)
	v_pk_fma_f32 v[202:203], v[190:191], v[178:179], v[198:199] op_sel:[0,0,1] op_sel_hi:[1,0,0]
	v_mov_b32_e32 v187, v195
	ds_load_2addr_b64 v[194:197], v250 offset0:32 offset1:33
	v_pk_fma_f32 v[200:201], v[188:189], v[178:179], v[204:205] op_sel:[0,0,1] op_sel_hi:[1,0,0]
	v_mul_f32_e32 v200, v193, v178
	v_pk_add_f32 v[100:101], v[100:101], v[186:187] neg_lo:[0,1] neg_hi:[0,1]
	v_pk_fma_f32 v[186:187], v[188:189], v[178:179], v[204:205] op_sel:[0,0,1] op_sel_hi:[1,1,0] neg_lo:[0,0,1] neg_hi:[0,0,1]
	v_pk_fma_f32 v[188:189], v[190:191], v[178:179], v[198:199] op_sel:[0,0,1] op_sel_hi:[1,1,0] neg_lo:[0,0,1] neg_hi:[0,0,1]
	v_dual_mov_b32 v187, v201 :: v_dual_mov_b32 v190, v193
	v_dual_mov_b32 v189, v203 :: v_dual_mov_b32 v191, v192
	v_mul_f32_e32 v198, v193, v181
	s_wait_dscnt 0x1
	v_pk_mul_f32 v[202:203], v[182:183], v[180:181] op_sel:[0,1]
	v_pk_add_f32 v[96:97], v[96:97], v[186:187] neg_lo:[0,1] neg_hi:[0,1]
	v_pk_add_f32 v[132:133], v[132:133], v[188:189] neg_lo:[0,1] neg_hi:[0,1]
	ds_load_2addr_b64 v[186:189], v250 offset0:34 offset1:35
	v_pk_fma_f32 v[192:193], v[192:193], v[58:59], v[198:199] op_sel_hi:[1,1,0] neg_lo:[0,0,1] neg_hi:[0,0,1]
	v_pk_fma_f32 v[190:191], v[190:191], v[58:59], v[200:201] op_sel_hi:[1,1,0]
	v_pk_mul_f32 v[198:199], v[184:185], v[180:181] op_sel:[0,1]
	v_pk_fma_f32 v[200:201], v[182:183], v[178:179], v[202:203] op_sel:[0,0,1] op_sel_hi:[1,0,0]
	s_wait_dscnt 0x1
	v_pk_mul_f32 v[204:205], v[194:195], v[180:181] op_sel:[0,1]
	v_mov_b32_e32 v193, v191
	v_pk_fma_f32 v[190:191], v[182:183], v[178:179], v[202:203] op_sel:[0,0,1] op_sel_hi:[1,1,0] neg_lo:[0,0,1] neg_hi:[0,0,1]
	v_pk_fma_f32 v[202:203], v[184:185], v[178:179], v[198:199] op_sel:[0,0,1] op_sel_hi:[1,0,0]
	v_pk_fma_f32 v[198:199], v[184:185], v[178:179], v[198:199] op_sel:[0,0,1] op_sel_hi:[1,1,0] neg_lo:[0,0,1] neg_hi:[0,0,1]
	ds_load_2addr_b64 v[182:185], v250 offset0:36 offset1:37
	v_mov_b32_e32 v191, v201
	v_pk_fma_f32 v[200:201], v[194:195], v[178:179], v[204:205] op_sel:[0,0,1] op_sel_hi:[1,0,0]
	v_pk_fma_f32 v[194:195], v[194:195], v[178:179], v[204:205] op_sel:[0,0,1] op_sel_hi:[1,1,0] neg_lo:[0,0,1] neg_hi:[0,0,1]
	v_mov_b32_e32 v199, v203
	v_pk_add_f32 v[128:129], v[128:129], v[192:193] neg_lo:[0,1] neg_hi:[0,1]
	v_pk_add_f32 v[130:131], v[130:131], v[190:191] neg_lo:[0,1] neg_hi:[0,1]
	v_mov_b32_e32 v195, v201
	v_pk_mul_f32 v[200:201], v[196:197], v[180:181] op_sel:[0,1]
	ds_load_2addr_b64 v[190:193], v250 offset0:38 offset1:39
	ds_load_b64 v[204:205], v250 offset:320
	v_pk_add_f32 v[126:127], v[126:127], v[198:199] neg_lo:[0,1] neg_hi:[0,1]
	v_pk_add_f32 v[160:161], v[160:161], v[194:195] neg_lo:[0,1] neg_hi:[0,1]
	v_pk_fma_f32 v[194:195], v[196:197], v[178:179], v[200:201] op_sel:[0,0,1] op_sel_hi:[1,1,0] neg_lo:[0,0,1] neg_hi:[0,0,1]
	v_pk_fma_f32 v[196:197], v[196:197], v[178:179], v[200:201] op_sel:[0,0,1] op_sel_hi:[1,0,0]
	s_wait_dscnt 0x3
	v_mul_f32_e32 v196, v187, v178
	v_pk_mul_f32 v[198:199], v[188:189], v[180:181] op_sel:[0,1]
	s_delay_alu instid0(VALU_DEP_3) | instskip(NEXT) | instid1(VALU_DEP_3)
	v_dual_mul_f32 v200, v187, v181 :: v_dual_mov_b32 v195, v197
	v_pk_fma_f32 v[196:197], v[186:187], v[58:59], v[196:197] op_sel:[1,0,0] op_sel_hi:[0,1,0]
	s_delay_alu instid0(VALU_DEP_3) | instskip(NEXT) | instid1(VALU_DEP_3)
	v_pk_fma_f32 v[202:203], v[188:189], v[178:179], v[198:199] op_sel:[0,0,1] op_sel_hi:[1,0,0]
	v_pk_fma_f32 v[186:187], v[186:187], v[58:59], v[200:201] op_sel_hi:[1,1,0] neg_lo:[0,0,1] neg_hi:[0,0,1]
	s_wait_dscnt 0x2
	v_pk_mul_f32 v[200:201], v[182:183], v[180:181] op_sel:[0,1]
	v_pk_fma_f32 v[188:189], v[188:189], v[178:179], v[198:199] op_sel:[0,0,1] op_sel_hi:[1,1,0] neg_lo:[0,0,1] neg_hi:[0,0,1]
	v_dual_mov_b32 v187, v197 :: v_dual_mov_b32 v189, v203
	v_pk_mul_f32 v[196:197], v[184:185], v[180:181] op_sel:[0,1]
	v_pk_add_f32 v[152:153], v[152:153], v[194:195] neg_lo:[0,1] neg_hi:[0,1]
	v_pk_fma_f32 v[194:195], v[182:183], v[178:179], v[200:201] op_sel:[0,0,1] op_sel_hi:[1,0,0]
	s_delay_alu instid0(VALU_DEP_4)
	v_pk_add_f32 v[158:159], v[158:159], v[186:187] neg_lo:[0,1] neg_hi:[0,1]
	v_pk_add_f32 v[150:151], v[150:151], v[188:189] neg_lo:[0,1] neg_hi:[0,1]
	v_pk_fma_f32 v[182:183], v[182:183], v[178:179], v[200:201] op_sel:[0,0,1] op_sel_hi:[1,1,0] neg_lo:[0,0,1] neg_hi:[0,0,1]
	v_pk_fma_f32 v[186:187], v[184:185], v[178:179], v[196:197] op_sel:[0,0,1] op_sel_hi:[1,1,0] neg_lo:[0,0,1] neg_hi:[0,0,1]
	v_pk_fma_f32 v[184:185], v[184:185], v[178:179], v[196:197] op_sel:[0,0,1] op_sel_hi:[1,0,0]
	s_wait_dscnt 0x1
	v_pk_mul_f32 v[188:189], v[190:191], v[180:181] op_sel:[0,1]
	s_wait_dscnt 0x0
	v_pk_mul_f32 v[196:197], v[204:205], v[180:181] op_sel:[0,1]
	v_dual_mov_b32 v183, v195 :: v_dual_mov_b32 v194, v193
	v_dual_mov_b32 v195, v192 :: v_dual_mul_f32 v184, v193, v178
	v_pk_fma_f32 v[198:199], v[190:191], v[178:179], v[188:189] op_sel:[0,0,1] op_sel_hi:[1,0,0]
	v_pk_fma_f32 v[188:189], v[190:191], v[178:179], v[188:189] op_sel:[0,0,1] op_sel_hi:[1,1,0] neg_lo:[0,0,1] neg_hi:[0,0,1]
	v_pk_fma_f32 v[190:191], v[204:205], v[178:179], v[196:197] op_sel:[0,0,1] op_sel_hi:[1,0,0]
	v_mul_f32_e32 v180, v193, v181
	s_delay_alu instid0(VALU_DEP_4)
	v_dual_mov_b32 v187, v185 :: v_dual_mov_b32 v189, v199
	v_pk_fma_f32 v[184:185], v[194:195], v[58:59], v[184:185] op_sel_hi:[1,1,0]
	v_pk_fma_f32 v[178:179], v[204:205], v[178:179], v[196:197] op_sel:[0,0,1] op_sel_hi:[1,1,0] neg_lo:[0,0,1] neg_hi:[0,0,1]
	v_mov_b32_e32 v179, v191
	v_pk_fma_f32 v[180:181], v[192:193], v[58:59], v[180:181] op_sel_hi:[1,1,0] neg_lo:[0,0,1] neg_hi:[0,0,1]
	v_pk_add_f32 v[156:157], v[156:157], v[182:183] neg_lo:[0,1] neg_hi:[0,1]
	v_mov_b32_e32 v181, v185
	v_pk_add_f32 v[148:149], v[148:149], v[186:187] neg_lo:[0,1] neg_hi:[0,1]
	v_pk_add_f32 v[154:155], v[154:155], v[188:189] neg_lo:[0,1] neg_hi:[0,1]
	;; [unrolled: 1-line block ×3, first 2 shown]
	s_delay_alu instid0(VALU_DEP_4)
	v_pk_add_f32 v[162:163], v[162:163], v[180:181] neg_lo:[0,1] neg_hi:[0,1]
.LBB81_55:
	s_or_b32 exec_lo, exec_lo, s1
	s_delay_alu instid0(SALU_CYCLE_1)
	s_mov_b32 s2, exec_lo
	s_wait_dscnt 0x0
	s_barrier_signal -1
	s_barrier_wait -1
	v_cmpx_eq_u32_e32 6, v248
	s_cbranch_execz .LBB81_62
; %bb.56:
	ds_store_b64 v249, v[60:61]
	ds_store_2addr_b64 v250, v[56:57], v[74:75] offset0:7 offset1:8
	ds_store_2addr_b64 v250, v[72:73], v[54:55] offset0:9 offset1:10
	;; [unrolled: 1-line block ×17, first 2 shown]
	ds_load_b64 v[178:179], v249
	s_wait_dscnt 0x0
	v_cmp_neq_f32_e32 vcc_lo, 0, v178
	v_cmp_neq_f32_e64 s1, 0, v179
	s_or_b32 s1, vcc_lo, s1
	s_delay_alu instid0(SALU_CYCLE_1)
	s_and_b32 exec_lo, exec_lo, s1
	s_cbranch_execz .LBB81_62
; %bb.57:
	v_cmp_ngt_f32_e64 s1, |v178|, |v179|
                                        ; implicit-def: $vgpr180_vgpr181
	s_and_saveexec_b32 s4, s1
	s_delay_alu instid0(SALU_CYCLE_1)
	s_xor_b32 s1, exec_lo, s4
	s_cbranch_execz .LBB81_59
; %bb.58:
	v_div_scale_f32 v0, null, v179, v179, v178
	v_div_scale_f32 v5, vcc_lo, v178, v179, v178
	s_delay_alu instid0(VALU_DEP_2) | instskip(SKIP_1) | instid1(TRANS32_DEP_1)
	v_rcp_f32_e32 v1, v0
	v_nop
	v_fma_f32 v4, -v0, v1, 1.0
	s_delay_alu instid0(VALU_DEP_1) | instskip(NEXT) | instid1(VALU_DEP_1)
	v_fmac_f32_e32 v1, v4, v1
	v_mul_f32_e32 v4, v5, v1
	s_delay_alu instid0(VALU_DEP_1) | instskip(NEXT) | instid1(VALU_DEP_1)
	v_fma_f32 v180, -v0, v4, v5
	v_fmac_f32_e32 v4, v180, v1
	s_delay_alu instid0(VALU_DEP_1) | instskip(NEXT) | instid1(VALU_DEP_1)
	v_fma_f32 v0, -v0, v4, v5
	v_div_fmas_f32 v0, v0, v1, v4
	s_delay_alu instid0(VALU_DEP_1) | instskip(NEXT) | instid1(VALU_DEP_1)
	v_div_fixup_f32 v0, v0, v179, v178
	v_fmac_f32_e32 v179, v178, v0
	s_delay_alu instid0(VALU_DEP_1) | instskip(SKIP_1) | instid1(VALU_DEP_2)
	v_div_scale_f32 v1, null, v179, v179, 1.0
	v_div_scale_f32 v178, vcc_lo, 1.0, v179, 1.0
	v_rcp_f32_e32 v4, v1
	v_nop
	s_delay_alu instid0(TRANS32_DEP_1) | instskip(NEXT) | instid1(VALU_DEP_1)
	v_fma_f32 v5, -v1, v4, 1.0
	v_fmac_f32_e32 v4, v5, v4
	s_delay_alu instid0(VALU_DEP_1) | instskip(NEXT) | instid1(VALU_DEP_1)
	v_mul_f32_e32 v5, v178, v4
	v_fma_f32 v180, -v1, v5, v178
	s_delay_alu instid0(VALU_DEP_1) | instskip(NEXT) | instid1(VALU_DEP_1)
	v_fmac_f32_e32 v5, v180, v4
	v_fma_f32 v1, -v1, v5, v178
	s_delay_alu instid0(VALU_DEP_1) | instskip(NEXT) | instid1(VALU_DEP_1)
	v_div_fmas_f32 v1, v1, v4, v5
	v_div_fixup_f32 v1, v1, v179, 1.0
                                        ; implicit-def: $vgpr178_vgpr179
	s_delay_alu instid0(VALU_DEP_1)
	v_mul_f32_e32 v180, v0, v1
	v_xor_b32_e32 v181, 0x80000000, v1
.LBB81_59:
	s_and_not1_saveexec_b32 s1, s1
	s_cbranch_execz .LBB81_61
; %bb.60:
	v_div_scale_f32 v0, null, v178, v178, v179
	v_div_scale_f32 v5, vcc_lo, v179, v178, v179
	s_delay_alu instid0(VALU_DEP_2) | instskip(SKIP_1) | instid1(TRANS32_DEP_1)
	v_rcp_f32_e32 v1, v0
	v_nop
	v_fma_f32 v4, -v0, v1, 1.0
	s_delay_alu instid0(VALU_DEP_1) | instskip(NEXT) | instid1(VALU_DEP_1)
	v_fmac_f32_e32 v1, v4, v1
	v_mul_f32_e32 v4, v5, v1
	s_delay_alu instid0(VALU_DEP_1) | instskip(NEXT) | instid1(VALU_DEP_1)
	v_fma_f32 v180, -v0, v4, v5
	v_fmac_f32_e32 v4, v180, v1
	s_delay_alu instid0(VALU_DEP_1) | instskip(NEXT) | instid1(VALU_DEP_1)
	v_fma_f32 v0, -v0, v4, v5
	v_div_fmas_f32 v0, v0, v1, v4
	s_delay_alu instid0(VALU_DEP_1) | instskip(NEXT) | instid1(VALU_DEP_1)
	v_div_fixup_f32 v0, v0, v178, v179
	v_fmac_f32_e32 v178, v179, v0
	s_delay_alu instid0(VALU_DEP_1) | instskip(NEXT) | instid1(VALU_DEP_1)
	v_div_scale_f32 v1, null, v178, v178, 1.0
	v_rcp_f32_e32 v4, v1
	v_nop
	s_delay_alu instid0(TRANS32_DEP_1) | instskip(NEXT) | instid1(VALU_DEP_1)
	v_fma_f32 v5, -v1, v4, 1.0
	v_fmac_f32_e32 v4, v5, v4
	v_div_scale_f32 v5, vcc_lo, 1.0, v178, 1.0
	s_delay_alu instid0(VALU_DEP_1) | instskip(NEXT) | instid1(VALU_DEP_1)
	v_mul_f32_e32 v179, v5, v4
	v_fma_f32 v180, -v1, v179, v5
	s_delay_alu instid0(VALU_DEP_1) | instskip(NEXT) | instid1(VALU_DEP_1)
	v_fmac_f32_e32 v179, v180, v4
	v_fma_f32 v1, -v1, v179, v5
	s_delay_alu instid0(VALU_DEP_1) | instskip(NEXT) | instid1(VALU_DEP_1)
	v_div_fmas_f32 v1, v1, v4, v179
	v_div_fixup_f32 v180, v1, v178, 1.0
	s_delay_alu instid0(VALU_DEP_1)
	v_mul_f32_e64 v181, v0, -v180
.LBB81_61:
	s_or_b32 exec_lo, exec_lo, s1
	ds_store_b64 v249, v[180:181]
.LBB81_62:
	s_or_b32 exec_lo, exec_lo, s2
	s_wait_dscnt 0x0
	s_barrier_signal -1
	s_barrier_wait -1
	ds_load_b64 v[178:179], v249
	s_mov_b32 s1, exec_lo
	v_cmpx_lt_u32_e32 6, v248
	s_cbranch_execz .LBB81_64
; %bb.63:
	ds_load_2addr_b64 v[184:187], v250 offset0:7 offset1:8
	ds_load_2addr_b64 v[188:191], v250 offset0:9 offset1:10
	;; [unrolled: 1-line block ×3, first 2 shown]
	s_wait_dscnt 0x3
	v_pk_mul_f32 v[182:183], v[178:179], v[60:61] op_sel:[1,1] op_sel_hi:[0,1]
	ds_load_2addr_b64 v[196:199], v250 offset0:13 offset1:14
	ds_load_2addr_b64 v[200:203], v250 offset0:15 offset1:16
	v_pk_fma_f32 v[180:181], v[178:179], v[60:61], v[182:183] op_sel_hi:[1,0,1] neg_lo:[0,0,1] neg_hi:[0,0,1]
	v_pk_fma_f32 v[182:183], v[178:179], v[60:61], v[182:183] op_sel_hi:[1,0,1]
	s_delay_alu instid0(VALU_DEP_1) | instskip(SKIP_1) | instid1(VALU_DEP_2)
	v_dual_mov_b32 v60, v180 :: v_dual_mov_b32 v61, v183
	s_wait_dscnt 0x4
	v_pk_mul_f32 v[204:205], v[184:185], v[182:183] op_sel:[0,1]
	v_pk_mul_f32 v[206:207], v[186:187], v[182:183] op_sel:[0,1]
	s_wait_dscnt 0x3
	v_pk_mul_f32 v[208:209], v[188:189], v[182:183] op_sel:[0,1]
	s_wait_dscnt 0x2
	v_pk_mul_f32 v[216:217], v[192:193], v[182:183] op_sel:[0,1]
	v_dual_mov_b32 v210, v191 :: v_dual_mov_b32 v211, v190
	v_pk_fma_f32 v[220:221], v[184:185], v[180:181], v[204:205] op_sel:[0,0,1] op_sel_hi:[1,1,0] neg_lo:[0,0,1] neg_hi:[0,0,1]
	v_pk_fma_f32 v[184:185], v[184:185], v[180:181], v[204:205] op_sel:[0,0,1] op_sel_hi:[1,0,0]
	v_dual_mul_f32 v212, v191, v183 :: v_dual_mul_f32 v214, v191, v180
	v_pk_mul_f32 v[218:219], v[194:195], v[182:183] op_sel:[0,1]
	v_pk_fma_f32 v[204:205], v[186:187], v[180:181], v[206:207] op_sel:[0,0,1] op_sel_hi:[1,1,0] neg_lo:[0,0,1] neg_hi:[0,0,1]
	v_pk_fma_f32 v[186:187], v[186:187], v[180:181], v[206:207] op_sel:[0,0,1] op_sel_hi:[1,0,0]
	v_pk_fma_f32 v[206:207], v[188:189], v[180:181], v[208:209] op_sel:[0,0,1] op_sel_hi:[1,1,0] neg_lo:[0,0,1] neg_hi:[0,0,1]
	v_pk_fma_f32 v[188:189], v[188:189], v[180:181], v[208:209] op_sel:[0,0,1] op_sel_hi:[1,0,0]
	v_mov_b32_e32 v221, v185
	v_pk_fma_f32 v[184:185], v[192:193], v[180:181], v[216:217] op_sel:[0,0,1] op_sel_hi:[1,0,0]
	v_pk_fma_f32 v[208:209], v[210:211], v[60:61], v[214:215] op_sel_hi:[1,1,0]
	v_pk_fma_f32 v[210:211], v[192:193], v[180:181], v[216:217] op_sel:[0,0,1] op_sel_hi:[1,1,0] neg_lo:[0,0,1] neg_hi:[0,0,1]
	v_dual_mov_b32 v205, v187 :: v_dual_mov_b32 v207, v189
	v_pk_fma_f32 v[188:189], v[194:195], v[180:181], v[218:219] op_sel:[0,0,1] op_sel_hi:[1,0,0]
	v_mov_b32_e32 v211, v185
	s_wait_dscnt 0x1
	v_pk_mul_f32 v[192:193], v[196:197], v[182:183] op_sel:[0,1]
	ds_load_2addr_b64 v[184:187], v250 offset0:17 offset1:18
	v_pk_fma_f32 v[190:191], v[190:191], v[60:61], v[212:213] op_sel_hi:[1,1,0] neg_lo:[0,0,1] neg_hi:[0,0,1]
	v_pk_fma_f32 v[194:195], v[194:195], v[180:181], v[218:219] op_sel:[0,0,1] op_sel_hi:[1,1,0] neg_lo:[0,0,1] neg_hi:[0,0,1]
	v_mov_b32_e32 v191, v209
	v_pk_add_f32 v[74:75], v[74:75], v[204:205] neg_lo:[0,1] neg_hi:[0,1]
	v_mov_b32_e32 v195, v189
	v_pk_mul_f32 v[204:205], v[198:199], v[182:183] op_sel:[0,1]
	v_pk_fma_f32 v[188:189], v[196:197], v[180:181], v[192:193] op_sel:[0,0,1] op_sel_hi:[1,0,0]
	v_pk_fma_f32 v[192:193], v[196:197], v[180:181], v[192:193] op_sel:[0,0,1] op_sel_hi:[1,1,0] neg_lo:[0,0,1] neg_hi:[0,0,1]
	v_pk_add_f32 v[54:55], v[54:55], v[190:191] neg_lo:[0,1] neg_hi:[0,1]
	v_pk_add_f32 v[94:95], v[94:95], v[194:195] neg_lo:[0,1] neg_hi:[0,1]
	v_pk_fma_f32 v[194:195], v[198:199], v[180:181], v[204:205] op_sel:[0,0,1] op_sel_hi:[1,0,0]
	v_mov_b32_e32 v193, v189
	ds_load_2addr_b64 v[188:191], v250 offset0:19 offset1:20
	v_pk_fma_f32 v[196:197], v[198:199], v[180:181], v[204:205] op_sel:[0,0,1] op_sel_hi:[1,1,0] neg_lo:[0,0,1] neg_hi:[0,0,1]
	s_wait_dscnt 0x2
	v_dual_mul_f32 v194, v201, v180 :: v_dual_mul_f32 v198, v201, v183
	v_mov_b32_e32 v197, v195
	v_pk_add_f32 v[90:91], v[90:91], v[192:193] neg_lo:[0,1] neg_hi:[0,1]
	v_pk_mul_f32 v[192:193], v[202:203], v[182:183] op_sel:[0,1]
	s_delay_alu instid0(VALU_DEP_4)
	v_pk_fma_f32 v[194:195], v[200:201], v[60:61], v[194:195] op_sel:[1,0,0] op_sel_hi:[0,1,0]
	v_pk_fma_f32 v[198:199], v[200:201], v[60:61], v[198:199] op_sel_hi:[1,1,0] neg_lo:[0,0,1] neg_hi:[0,0,1]
	v_pk_add_f32 v[92:93], v[92:93], v[196:197] neg_lo:[0,1] neg_hi:[0,1]
	s_wait_dscnt 0x1
	v_pk_mul_f32 v[196:197], v[184:185], v[182:183] op_sel:[0,1]
	v_pk_fma_f32 v[204:205], v[202:203], v[180:181], v[192:193] op_sel:[0,0,1] op_sel_hi:[1,0,0]
	v_mov_b32_e32 v199, v195
	v_pk_fma_f32 v[200:201], v[202:203], v[180:181], v[192:193] op_sel:[0,0,1] op_sel_hi:[1,1,0] neg_lo:[0,0,1] neg_hi:[0,0,1]
	ds_load_2addr_b64 v[192:195], v250 offset0:21 offset1:22
	v_pk_fma_f32 v[202:203], v[184:185], v[180:181], v[196:197] op_sel:[0,0,1] op_sel_hi:[1,0,0]
	v_pk_fma_f32 v[184:185], v[184:185], v[180:181], v[196:197] op_sel:[0,0,1] op_sel_hi:[1,1,0] neg_lo:[0,0,1] neg_hi:[0,0,1]
	v_pk_mul_f32 v[196:197], v[186:187], v[182:183] op_sel:[0,1]
	v_mov_b32_e32 v201, v205
	v_pk_add_f32 v[88:89], v[88:89], v[198:199] neg_lo:[0,1] neg_hi:[0,1]
	v_pk_add_f32 v[72:73], v[72:73], v[206:207] neg_lo:[0,1] neg_hi:[0,1]
	;; [unrolled: 1-line block ×3, first 2 shown]
	v_pk_fma_f32 v[198:199], v[186:187], v[180:181], v[196:197] op_sel:[0,0,1] op_sel_hi:[1,0,0]
	v_mov_b32_e32 v185, v203
	s_wait_dscnt 0x1
	v_pk_mul_f32 v[202:203], v[188:189], v[182:183] op_sel:[0,1]
	v_pk_fma_f32 v[196:197], v[186:187], v[180:181], v[196:197] op_sel:[0,0,1] op_sel_hi:[1,1,0] neg_lo:[0,0,1] neg_hi:[0,0,1]
	v_pk_add_f32 v[118:119], v[118:119], v[200:201] neg_lo:[0,1] neg_hi:[0,1]
	v_mov_b32_e32 v197, v199
	v_pk_add_f32 v[86:87], v[86:87], v[184:185] neg_lo:[0,1] neg_hi:[0,1]
	v_pk_fma_f32 v[200:201], v[188:189], v[180:181], v[202:203] op_sel:[0,0,1] op_sel_hi:[1,0,0]
	ds_load_2addr_b64 v[184:187], v250 offset0:23 offset1:24
	v_pk_fma_f32 v[188:189], v[188:189], v[180:181], v[202:203] op_sel:[0,0,1] op_sel_hi:[1,1,0] neg_lo:[0,0,1] neg_hi:[0,0,1]
	v_dual_mov_b32 v198, v191 :: v_dual_mov_b32 v199, v190
	v_dual_mul_f32 v200, v191, v180 :: v_dual_mov_b32 v189, v201
	v_pk_add_f32 v[116:117], v[116:117], v[196:197] neg_lo:[0,1] neg_hi:[0,1]
	s_wait_dscnt 0x1
	v_pk_mul_f32 v[204:205], v[194:195], v[182:183] op_sel:[0,1]
	v_pk_add_f32 v[70:71], v[70:71], v[210:211] neg_lo:[0,1] neg_hi:[0,1]
	v_pk_fma_f32 v[200:201], v[198:199], v[60:61], v[200:201] op_sel_hi:[1,1,0]
	v_pk_add_f32 v[114:115], v[114:115], v[188:189] neg_lo:[0,1] neg_hi:[0,1]
	v_pk_mul_f32 v[188:189], v[192:193], v[182:183] op_sel:[0,1]
	ds_load_2addr_b64 v[196:199], v250 offset0:25 offset1:26
	v_mul_f32_e32 v202, v191, v183
	v_pk_fma_f32 v[206:207], v[192:193], v[180:181], v[188:189] op_sel:[0,0,1] op_sel_hi:[1,0,0]
	v_pk_fma_f32 v[192:193], v[192:193], v[180:181], v[188:189] op_sel:[0,0,1] op_sel_hi:[1,1,0] neg_lo:[0,0,1] neg_hi:[0,0,1]
	s_delay_alu instid0(VALU_DEP_3)
	v_pk_fma_f32 v[202:203], v[190:191], v[60:61], v[202:203] op_sel_hi:[1,1,0] neg_lo:[0,0,1] neg_hi:[0,0,1]
	v_mov_b32_e32 v203, v201
	v_pk_fma_f32 v[200:201], v[194:195], v[180:181], v[204:205] op_sel:[0,0,1] op_sel_hi:[1,0,0]
	v_mov_b32_e32 v193, v207
	s_wait_dscnt 0x1
	v_pk_mul_f32 v[206:207], v[184:185], v[182:183] op_sel:[0,1]
	ds_load_2addr_b64 v[188:191], v250 offset0:27 offset1:28
	v_pk_add_f32 v[146:147], v[146:147], v[202:203] neg_lo:[0,1] neg_hi:[0,1]
	v_pk_fma_f32 v[194:195], v[194:195], v[180:181], v[204:205] op_sel:[0,0,1] op_sel_hi:[1,1,0] neg_lo:[0,0,1] neg_hi:[0,0,1]
	v_mov_b32_e32 v195, v201
	v_pk_fma_f32 v[202:203], v[184:185], v[180:181], v[206:207] op_sel:[0,0,1] op_sel_hi:[1,0,0]
	v_pk_mul_f32 v[200:201], v[186:187], v[182:183] op_sel:[0,1]
	v_pk_fma_f32 v[184:185], v[184:185], v[180:181], v[206:207] op_sel:[0,0,1] op_sel_hi:[1,1,0] neg_lo:[0,0,1] neg_hi:[0,0,1]
	v_pk_add_f32 v[112:113], v[112:113], v[192:193] neg_lo:[0,1] neg_hi:[0,1]
	v_pk_add_f32 v[144:145], v[144:145], v[194:195] neg_lo:[0,1] neg_hi:[0,1]
	s_wait_dscnt 0x1
	v_dual_mov_b32 v185, v203 :: v_dual_mul_f32 v202, v197, v180
	ds_load_2addr_b64 v[192:195], v250 offset0:29 offset1:30
	v_pk_fma_f32 v[204:205], v[186:187], v[180:181], v[200:201] op_sel:[0,0,1] op_sel_hi:[1,0,0]
	v_pk_fma_f32 v[186:187], v[186:187], v[180:181], v[200:201] op_sel:[0,0,1] op_sel_hi:[1,1,0] neg_lo:[0,0,1] neg_hi:[0,0,1]
	v_pk_add_f32 v[76:77], v[76:77], v[184:185] neg_lo:[0,1] neg_hi:[0,1]
	v_mul_f32_e32 v184, v197, v183
	v_pk_fma_f32 v[200:201], v[196:197], v[60:61], v[202:203] op_sel:[1,0,0] op_sel_hi:[0,1,0]
	v_pk_mul_f32 v[202:203], v[198:199], v[182:183] op_sel:[0,1]
	v_mov_b32_e32 v187, v205
	s_delay_alu instid0(VALU_DEP_4)
	v_pk_fma_f32 v[196:197], v[196:197], v[60:61], v[184:185] op_sel_hi:[1,1,0] neg_lo:[0,0,1] neg_hi:[0,0,1]
	s_wait_dscnt 0x1
	v_pk_mul_f32 v[204:205], v[188:189], v[182:183] op_sel:[0,1]
	v_mov_b32_e32 v197, v201
	v_pk_fma_f32 v[200:201], v[198:199], v[180:181], v[202:203] op_sel:[0,0,1] op_sel_hi:[1,0,0]
	v_pk_mul_f32 v[206:207], v[190:191], v[182:183] op_sel:[0,1]
	v_pk_add_f32 v[102:103], v[102:103], v[186:187] neg_lo:[0,1] neg_hi:[0,1]
	ds_load_2addr_b64 v[184:187], v250 offset0:31 offset1:32
	v_pk_fma_f32 v[198:199], v[198:199], v[180:181], v[202:203] op_sel:[0,0,1] op_sel_hi:[1,1,0] neg_lo:[0,0,1] neg_hi:[0,0,1]
	v_pk_fma_f32 v[208:209], v[188:189], v[180:181], v[204:205] op_sel:[0,0,1] op_sel_hi:[1,0,0]
	v_mov_b32_e32 v199, v201
	v_pk_fma_f32 v[200:201], v[190:191], v[180:181], v[206:207] op_sel:[0,0,1] op_sel_hi:[1,0,0]
	v_pk_fma_f32 v[188:189], v[188:189], v[180:181], v[204:205] op_sel:[0,0,1] op_sel_hi:[1,1,0] neg_lo:[0,0,1] neg_hi:[0,0,1]
	v_pk_fma_f32 v[190:191], v[190:191], v[180:181], v[206:207] op_sel:[0,0,1] op_sel_hi:[1,1,0] neg_lo:[0,0,1] neg_hi:[0,0,1]
	v_mov_b32_e32 v189, v209
	s_wait_dscnt 0x1
	v_pk_mul_f32 v[202:203], v[192:193], v[182:183] op_sel:[0,1]
	v_dual_mov_b32 v191, v201 :: v_dual_mov_b32 v200, v195
	v_pk_add_f32 v[98:99], v[98:99], v[196:197] neg_lo:[0,1] neg_hi:[0,1]
	v_pk_add_f32 v[96:97], v[96:97], v[188:189] neg_lo:[0,1] neg_hi:[0,1]
	s_delay_alu instid0(VALU_DEP_4) | instskip(NEXT) | instid1(VALU_DEP_4)
	v_pk_fma_f32 v[196:197], v[192:193], v[180:181], v[202:203] op_sel:[0,0,1] op_sel_hi:[1,0,0]
	v_pk_add_f32 v[132:133], v[132:133], v[190:191] neg_lo:[0,1] neg_hi:[0,1]
	ds_load_2addr_b64 v[188:191], v250 offset0:33 offset1:34
	v_pk_fma_f32 v[192:193], v[192:193], v[180:181], v[202:203] op_sel:[0,0,1] op_sel_hi:[1,1,0] neg_lo:[0,0,1] neg_hi:[0,0,1]
	v_dual_mov_b32 v201, v194 :: v_dual_mul_f32 v202, v195, v180
	v_pk_add_f32 v[100:101], v[100:101], v[198:199] neg_lo:[0,1] neg_hi:[0,1]
	v_mov_b32_e32 v193, v197
	ds_load_2addr_b64 v[196:199], v250 offset0:35 offset1:36
	s_wait_dscnt 0x2
	v_pk_mul_f32 v[204:205], v[184:185], v[182:183] op_sel:[0,1]
	v_pk_mul_f32 v[208:209], v[186:187], v[182:183] op_sel:[0,1]
	v_pk_fma_f32 v[200:201], v[200:201], v[60:61], v[202:203] op_sel_hi:[1,1,0]
	v_mul_f32_e32 v206, v195, v183
	v_pk_add_f32 v[128:129], v[128:129], v[192:193] neg_lo:[0,1] neg_hi:[0,1]
	v_pk_fma_f32 v[192:193], v[184:185], v[180:181], v[204:205] op_sel:[0,0,1] op_sel_hi:[1,0,0]
	v_pk_fma_f32 v[202:203], v[186:187], v[180:181], v[208:209] op_sel:[0,0,1] op_sel_hi:[1,0,0]
	s_delay_alu instid0(VALU_DEP_4)
	v_pk_fma_f32 v[194:195], v[194:195], v[60:61], v[206:207] op_sel_hi:[1,1,0] neg_lo:[0,0,1] neg_hi:[0,0,1]
	v_mov_b32_e32 v195, v201
	v_pk_fma_f32 v[200:201], v[184:185], v[180:181], v[204:205] op_sel:[0,0,1] op_sel_hi:[1,1,0] neg_lo:[0,0,1] neg_hi:[0,0,1]
	v_mov_b32_e32 v201, v193
	v_pk_fma_f32 v[192:193], v[186:187], v[180:181], v[208:209] op_sel:[0,0,1] op_sel_hi:[1,1,0] neg_lo:[0,0,1] neg_hi:[0,0,1]
	v_mov_b32_e32 v193, v203
	ds_load_2addr_b64 v[184:187], v250 offset0:37 offset1:38
	s_wait_dscnt 0x2
	v_pk_mul_f32 v[202:203], v[188:189], v[182:183] op_sel:[0,1]
	v_pk_add_f32 v[130:131], v[130:131], v[194:195] neg_lo:[0,1] neg_hi:[0,1]
	v_pk_mul_f32 v[204:205], v[190:191], v[182:183] op_sel:[0,1]
	v_pk_add_f32 v[160:161], v[160:161], v[192:193] neg_lo:[0,1] neg_hi:[0,1]
	ds_load_2addr_b64 v[192:195], v250 offset0:39 offset1:40
	v_pk_add_f32 v[126:127], v[126:127], v[200:201] neg_lo:[0,1] neg_hi:[0,1]
	v_pk_fma_f32 v[200:201], v[188:189], v[180:181], v[202:203] op_sel:[0,0,1] op_sel_hi:[1,0,0]
	s_wait_dscnt 0x2
	v_mul_f32_e32 v200, v197, v180
	v_pk_fma_f32 v[188:189], v[188:189], v[180:181], v[202:203] op_sel:[0,0,1] op_sel_hi:[1,1,0] neg_lo:[0,0,1] neg_hi:[0,0,1]
	v_pk_fma_f32 v[202:203], v[190:191], v[180:181], v[204:205] op_sel:[0,0,1] op_sel_hi:[1,0,0]
	v_mul_f32_e32 v202, v197, v183
	v_mov_b32_e32 v189, v201
	v_pk_fma_f32 v[200:201], v[196:197], v[60:61], v[200:201] op_sel:[1,0,0] op_sel_hi:[0,1,0]
	v_pk_fma_f32 v[190:191], v[190:191], v[180:181], v[204:205] op_sel:[0,0,1] op_sel_hi:[1,1,0] neg_lo:[0,0,1] neg_hi:[0,0,1]
	v_pk_mul_f32 v[204:205], v[198:199], v[182:183] op_sel:[0,1]
	v_mov_b32_e32 v191, v203
	v_pk_fma_f32 v[196:197], v[196:197], v[60:61], v[202:203] op_sel_hi:[1,1,0] neg_lo:[0,0,1] neg_hi:[0,0,1]
	v_mov_b32_e32 v197, v201
	v_pk_add_f32 v[152:153], v[152:153], v[188:189] neg_lo:[0,1] neg_hi:[0,1]
	v_pk_fma_f32 v[188:189], v[198:199], v[180:181], v[204:205] op_sel:[0,0,1] op_sel_hi:[1,0,0]
	v_pk_add_f32 v[158:159], v[158:159], v[190:191] neg_lo:[0,1] neg_hi:[0,1]
	s_wait_dscnt 0x1
	v_pk_mul_f32 v[190:191], v[184:185], v[182:183] op_sel:[0,1]
	v_pk_add_f32 v[150:151], v[150:151], v[196:197] neg_lo:[0,1] neg_hi:[0,1]
	v_pk_fma_f32 v[196:197], v[198:199], v[180:181], v[204:205] op_sel:[0,0,1] op_sel_hi:[1,1,0] neg_lo:[0,0,1] neg_hi:[0,0,1]
	v_mov_b32_e32 v197, v189
	v_pk_mul_f32 v[188:189], v[186:187], v[182:183] op_sel:[0,1]
	v_pk_fma_f32 v[198:199], v[184:185], v[180:181], v[190:191] op_sel:[0,0,1] op_sel_hi:[1,0,0]
	s_wait_dscnt 0x0
	v_pk_mul_f32 v[200:201], v[192:193], v[182:183] op_sel:[0,1]
	v_pk_mul_f32 v[182:183], v[194:195], v[182:183] op_sel:[0,1]
	v_pk_fma_f32 v[184:185], v[184:185], v[180:181], v[190:191] op_sel:[0,0,1] op_sel_hi:[1,1,0] neg_lo:[0,0,1] neg_hi:[0,0,1]
	v_pk_fma_f32 v[190:191], v[186:187], v[180:181], v[188:189] op_sel:[0,0,1] op_sel_hi:[1,0,0]
	v_mov_b32_e32 v185, v199
	v_pk_fma_f32 v[198:199], v[192:193], v[180:181], v[200:201] op_sel:[0,0,1] op_sel_hi:[1,0,0]
	v_pk_fma_f32 v[186:187], v[186:187], v[180:181], v[188:189] op_sel:[0,0,1] op_sel_hi:[1,1,0] neg_lo:[0,0,1] neg_hi:[0,0,1]
	v_pk_fma_f32 v[188:189], v[194:195], v[180:181], v[182:183] op_sel:[0,0,1] op_sel_hi:[1,0,0]
	v_mov_b32_e32 v187, v191
	v_pk_fma_f32 v[190:191], v[192:193], v[180:181], v[200:201] op_sel:[0,0,1] op_sel_hi:[1,1,0] neg_lo:[0,0,1] neg_hi:[0,0,1]
	v_pk_fma_f32 v[180:181], v[194:195], v[180:181], v[182:183] op_sel:[0,0,1] op_sel_hi:[1,1,0] neg_lo:[0,0,1] neg_hi:[0,0,1]
	s_delay_alu instid0(VALU_DEP_4) | instskip(SKIP_3) | instid1(VALU_DEP_4)
	v_dual_mov_b32 v191, v199 :: v_dual_mov_b32 v181, v189
	v_pk_add_f32 v[156:157], v[156:157], v[196:197] neg_lo:[0,1] neg_hi:[0,1]
	v_pk_add_f32 v[148:149], v[148:149], v[184:185] neg_lo:[0,1] neg_hi:[0,1]
	;; [unrolled: 1-line block ×5, first 2 shown]
.LBB81_64:
	s_or_b32 exec_lo, exec_lo, s1
	s_delay_alu instid0(SALU_CYCLE_1)
	s_mov_b32 s2, exec_lo
	s_wait_dscnt 0x0
	s_barrier_signal -1
	s_barrier_wait -1
	v_cmpx_eq_u32_e32 7, v248
	s_cbranch_execz .LBB81_71
; %bb.65:
	v_dual_mov_b32 v180, v74 :: v_dual_mov_b32 v181, v75
	v_dual_mov_b32 v182, v72 :: v_dual_mov_b32 v183, v73
	;; [unrolled: 1-line block ×8, first 2 shown]
	ds_store_b64 v249, v[56:57]
	ds_store_2addr_b64 v250, v[180:181], v[182:183] offset0:8 offset1:9
	ds_store_2addr_b64 v250, v[184:185], v[186:187] offset0:10 offset1:11
	;; [unrolled: 1-line block ×4, first 2 shown]
	v_dual_mov_b32 v180, v118 :: v_dual_mov_b32 v181, v119
	v_dual_mov_b32 v182, v86 :: v_dual_mov_b32 v183, v87
	;; [unrolled: 1-line block ×12, first 2 shown]
	ds_store_2addr_b64 v250, v[180:181], v[182:183] offset0:16 offset1:17
	ds_store_2addr_b64 v250, v[184:185], v[186:187] offset0:18 offset1:19
	ds_store_2addr_b64 v250, v[188:189], v[190:191] offset0:20 offset1:21
	ds_store_2addr_b64 v250, v[192:193], v[194:195] offset0:22 offset1:23
	ds_store_2addr_b64 v250, v[196:197], v[198:199] offset0:24 offset1:25
	ds_store_2addr_b64 v250, v[200:201], v[202:203] offset0:26 offset1:27
	v_dual_mov_b32 v180, v132 :: v_dual_mov_b32 v181, v133
	v_dual_mov_b32 v182, v128 :: v_dual_mov_b32 v183, v129
	v_dual_mov_b32 v184, v130 :: v_dual_mov_b32 v185, v131
	v_dual_mov_b32 v186, v126 :: v_dual_mov_b32 v187, v127
	v_dual_mov_b32 v188, v160 :: v_dual_mov_b32 v189, v161
	v_dual_mov_b32 v190, v152 :: v_dual_mov_b32 v191, v153
	v_dual_mov_b32 v192, v158 :: v_dual_mov_b32 v193, v159
	v_dual_mov_b32 v194, v150 :: v_dual_mov_b32 v195, v151
	v_dual_mov_b32 v196, v156 :: v_dual_mov_b32 v197, v157
	v_dual_mov_b32 v198, v148 :: v_dual_mov_b32 v199, v149
	v_dual_mov_b32 v200, v154 :: v_dual_mov_b32 v201, v155
	v_dual_mov_b32 v202, v162 :: v_dual_mov_b32 v203, v163
	ds_store_2addr_b64 v250, v[180:181], v[182:183] offset0:28 offset1:29
	ds_store_2addr_b64 v250, v[184:185], v[186:187] offset0:30 offset1:31
	;; [unrolled: 1-line block ×6, first 2 shown]
	ds_store_b64 v250, v[164:165] offset:320
	ds_load_b64 v[180:181], v249
	s_wait_dscnt 0x0
	v_cmp_neq_f32_e32 vcc_lo, 0, v180
	v_cmp_neq_f32_e64 s1, 0, v181
	s_or_b32 s1, vcc_lo, s1
	s_delay_alu instid0(SALU_CYCLE_1)
	s_and_b32 exec_lo, exec_lo, s1
	s_cbranch_execz .LBB81_71
; %bb.66:
	v_cmp_ngt_f32_e64 s1, |v180|, |v181|
                                        ; implicit-def: $vgpr182_vgpr183
	s_and_saveexec_b32 s4, s1
	s_delay_alu instid0(SALU_CYCLE_1)
	s_xor_b32 s1, exec_lo, s4
	s_cbranch_execz .LBB81_68
; %bb.67:
	v_div_scale_f32 v0, null, v181, v181, v180
	v_div_scale_f32 v5, vcc_lo, v180, v181, v180
	s_delay_alu instid0(VALU_DEP_2) | instskip(SKIP_1) | instid1(TRANS32_DEP_1)
	v_rcp_f32_e32 v1, v0
	v_nop
	v_fma_f32 v4, -v0, v1, 1.0
	s_delay_alu instid0(VALU_DEP_1) | instskip(NEXT) | instid1(VALU_DEP_1)
	v_fmac_f32_e32 v1, v4, v1
	v_mul_f32_e32 v4, v5, v1
	s_delay_alu instid0(VALU_DEP_1) | instskip(NEXT) | instid1(VALU_DEP_1)
	v_fma_f32 v182, -v0, v4, v5
	v_fmac_f32_e32 v4, v182, v1
	s_delay_alu instid0(VALU_DEP_1) | instskip(NEXT) | instid1(VALU_DEP_1)
	v_fma_f32 v0, -v0, v4, v5
	v_div_fmas_f32 v0, v0, v1, v4
	s_delay_alu instid0(VALU_DEP_1) | instskip(NEXT) | instid1(VALU_DEP_1)
	v_div_fixup_f32 v0, v0, v181, v180
	v_fmac_f32_e32 v181, v180, v0
	s_delay_alu instid0(VALU_DEP_1) | instskip(SKIP_1) | instid1(VALU_DEP_2)
	v_div_scale_f32 v1, null, v181, v181, 1.0
	v_div_scale_f32 v180, vcc_lo, 1.0, v181, 1.0
	v_rcp_f32_e32 v4, v1
	v_nop
	s_delay_alu instid0(TRANS32_DEP_1) | instskip(NEXT) | instid1(VALU_DEP_1)
	v_fma_f32 v5, -v1, v4, 1.0
	v_fmac_f32_e32 v4, v5, v4
	s_delay_alu instid0(VALU_DEP_1) | instskip(NEXT) | instid1(VALU_DEP_1)
	v_mul_f32_e32 v5, v180, v4
	v_fma_f32 v182, -v1, v5, v180
	s_delay_alu instid0(VALU_DEP_1) | instskip(NEXT) | instid1(VALU_DEP_1)
	v_fmac_f32_e32 v5, v182, v4
	v_fma_f32 v1, -v1, v5, v180
	s_delay_alu instid0(VALU_DEP_1) | instskip(NEXT) | instid1(VALU_DEP_1)
	v_div_fmas_f32 v1, v1, v4, v5
	v_div_fixup_f32 v1, v1, v181, 1.0
                                        ; implicit-def: $vgpr180_vgpr181
	s_delay_alu instid0(VALU_DEP_1)
	v_mul_f32_e32 v182, v0, v1
	v_xor_b32_e32 v183, 0x80000000, v1
.LBB81_68:
	s_and_not1_saveexec_b32 s1, s1
	s_cbranch_execz .LBB81_70
; %bb.69:
	v_div_scale_f32 v0, null, v180, v180, v181
	v_div_scale_f32 v5, vcc_lo, v181, v180, v181
	s_delay_alu instid0(VALU_DEP_2) | instskip(SKIP_1) | instid1(TRANS32_DEP_1)
	v_rcp_f32_e32 v1, v0
	v_nop
	v_fma_f32 v4, -v0, v1, 1.0
	s_delay_alu instid0(VALU_DEP_1) | instskip(NEXT) | instid1(VALU_DEP_1)
	v_fmac_f32_e32 v1, v4, v1
	v_mul_f32_e32 v4, v5, v1
	s_delay_alu instid0(VALU_DEP_1) | instskip(NEXT) | instid1(VALU_DEP_1)
	v_fma_f32 v182, -v0, v4, v5
	v_fmac_f32_e32 v4, v182, v1
	s_delay_alu instid0(VALU_DEP_1) | instskip(NEXT) | instid1(VALU_DEP_1)
	v_fma_f32 v0, -v0, v4, v5
	v_div_fmas_f32 v0, v0, v1, v4
	s_delay_alu instid0(VALU_DEP_1) | instskip(NEXT) | instid1(VALU_DEP_1)
	v_div_fixup_f32 v0, v0, v180, v181
	v_fmac_f32_e32 v180, v181, v0
	s_delay_alu instid0(VALU_DEP_1) | instskip(NEXT) | instid1(VALU_DEP_1)
	v_div_scale_f32 v1, null, v180, v180, 1.0
	v_rcp_f32_e32 v4, v1
	v_nop
	s_delay_alu instid0(TRANS32_DEP_1) | instskip(NEXT) | instid1(VALU_DEP_1)
	v_fma_f32 v5, -v1, v4, 1.0
	v_fmac_f32_e32 v4, v5, v4
	v_div_scale_f32 v5, vcc_lo, 1.0, v180, 1.0
	s_delay_alu instid0(VALU_DEP_1) | instskip(NEXT) | instid1(VALU_DEP_1)
	v_mul_f32_e32 v181, v5, v4
	v_fma_f32 v182, -v1, v181, v5
	s_delay_alu instid0(VALU_DEP_1) | instskip(NEXT) | instid1(VALU_DEP_1)
	v_fmac_f32_e32 v181, v182, v4
	v_fma_f32 v1, -v1, v181, v5
	s_delay_alu instid0(VALU_DEP_1) | instskip(NEXT) | instid1(VALU_DEP_1)
	v_div_fmas_f32 v1, v1, v4, v181
	v_div_fixup_f32 v182, v1, v180, 1.0
	s_delay_alu instid0(VALU_DEP_1)
	v_mul_f32_e64 v183, v0, -v182
.LBB81_70:
	s_or_b32 exec_lo, exec_lo, s1
	ds_store_b64 v249, v[182:183]
.LBB81_71:
	s_or_b32 exec_lo, exec_lo, s2
	s_wait_dscnt 0x0
	s_barrier_signal -1
	s_barrier_wait -1
	ds_load_b64 v[180:181], v249
	s_mov_b32 s1, exec_lo
	v_cmpx_lt_u32_e32 7, v248
	s_cbranch_execz .LBB81_73
; %bb.72:
	ds_load_2addr_b64 v[186:189], v250 offset0:8 offset1:9
	ds_load_2addr_b64 v[190:193], v250 offset0:10 offset1:11
	ds_load_2addr_b64 v[194:197], v250 offset0:12 offset1:13
	s_wait_dscnt 0x3
	v_pk_mul_f32 v[184:185], v[180:181], v[56:57] op_sel:[1,1] op_sel_hi:[0,1]
	ds_load_2addr_b64 v[198:201], v250 offset0:14 offset1:15
	ds_load_2addr_b64 v[202:205], v250 offset0:16 offset1:17
	v_pk_fma_f32 v[182:183], v[180:181], v[56:57], v[184:185] op_sel_hi:[1,0,1] neg_lo:[0,0,1] neg_hi:[0,0,1]
	v_pk_fma_f32 v[184:185], v[180:181], v[56:57], v[184:185] op_sel_hi:[1,0,1]
	s_delay_alu instid0(VALU_DEP_1) | instskip(SKIP_1) | instid1(VALU_DEP_2)
	v_dual_mov_b32 v56, v182 :: v_dual_mov_b32 v57, v185
	s_wait_dscnt 0x4
	v_pk_mul_f32 v[206:207], v[186:187], v[184:185] op_sel:[0,1]
	v_pk_mul_f32 v[208:209], v[188:189], v[184:185] op_sel:[0,1]
	s_wait_dscnt 0x3
	v_pk_mul_f32 v[210:211], v[190:191], v[184:185] op_sel:[0,1]
	v_dual_mov_b32 v212, v193 :: v_dual_mov_b32 v213, v192
	v_dual_mul_f32 v214, v193, v185 :: v_dual_mul_f32 v216, v193, v182
	s_wait_dscnt 0x2
	v_pk_mul_f32 v[218:219], v[194:195], v[184:185] op_sel:[0,1]
	v_pk_mul_f32 v[220:221], v[196:197], v[184:185] op_sel:[0,1]
	v_pk_fma_f32 v[222:223], v[186:187], v[182:183], v[206:207] op_sel:[0,0,1] op_sel_hi:[1,1,0] neg_lo:[0,0,1] neg_hi:[0,0,1]
	v_pk_fma_f32 v[186:187], v[186:187], v[182:183], v[206:207] op_sel:[0,0,1] op_sel_hi:[1,0,0]
	v_pk_fma_f32 v[206:207], v[188:189], v[182:183], v[208:209] op_sel:[0,0,1] op_sel_hi:[1,1,0] neg_lo:[0,0,1] neg_hi:[0,0,1]
	v_pk_fma_f32 v[188:189], v[188:189], v[182:183], v[208:209] op_sel:[0,0,1] op_sel_hi:[1,0,0]
	;; [unrolled: 2-line block ×3, first 2 shown]
	v_pk_fma_f32 v[210:211], v[212:213], v[56:57], v[216:217] op_sel_hi:[1,1,0]
	v_pk_fma_f32 v[212:213], v[194:195], v[182:183], v[218:219] op_sel:[0,0,1] op_sel_hi:[1,1,0] neg_lo:[0,0,1] neg_hi:[0,0,1]
	v_pk_fma_f32 v[194:195], v[194:195], v[182:183], v[218:219] op_sel:[0,0,1] op_sel_hi:[1,0,0]
	v_dual_mov_b32 v223, v187 :: v_dual_mov_b32 v207, v189
	v_pk_fma_f32 v[186:187], v[196:197], v[182:183], v[220:221] op_sel:[0,0,1] op_sel_hi:[1,0,0]
	v_pk_fma_f32 v[192:193], v[192:193], v[56:57], v[214:215] op_sel_hi:[1,1,0] neg_lo:[0,0,1] neg_hi:[0,0,1]
	v_pk_fma_f32 v[188:189], v[196:197], v[182:183], v[220:221] op_sel:[0,0,1] op_sel_hi:[1,1,0] neg_lo:[0,0,1] neg_hi:[0,0,1]
	v_dual_mov_b32 v209, v191 :: v_dual_mov_b32 v193, v211
	s_delay_alu instid0(VALU_DEP_4)
	v_dual_mov_b32 v213, v195 :: v_dual_mov_b32 v189, v187
	s_wait_dscnt 0x1
	v_pk_mul_f32 v[190:191], v[198:199], v[184:185] op_sel:[0,1]
	v_pk_add_f32 v[72:73], v[72:73], v[206:207] neg_lo:[0,1] neg_hi:[0,1]
	v_pk_add_f32 v[70:71], v[70:71], v[192:193] neg_lo:[0,1] neg_hi:[0,1]
	;; [unrolled: 1-line block ×4, first 2 shown]
	v_pk_fma_f32 v[194:195], v[198:199], v[182:183], v[190:191] op_sel:[0,0,1] op_sel_hi:[1,0,0]
	ds_load_2addr_b64 v[186:189], v250 offset0:18 offset1:19
	v_pk_fma_f32 v[196:197], v[198:199], v[182:183], v[190:191] op_sel:[0,0,1] op_sel_hi:[1,1,0] neg_lo:[0,0,1] neg_hi:[0,0,1]
	ds_load_2addr_b64 v[190:193], v250 offset0:20 offset1:21
	v_pk_mul_f32 v[198:199], v[200:201], v[184:185] op_sel:[0,1]
	s_wait_dscnt 0x2
	v_mul_f32_e32 v194, v203, v182
	v_pk_mul_f32 v[206:207], v[204:205], v[184:185] op_sel:[0,1]
	v_pk_add_f32 v[94:95], v[94:95], v[212:213] neg_lo:[0,1] neg_hi:[0,1]
	v_pk_add_f32 v[74:75], v[74:75], v[222:223] neg_lo:[0,1] neg_hi:[0,1]
	v_pk_fma_f32 v[208:209], v[200:201], v[182:183], v[198:199] op_sel:[0,0,1] op_sel_hi:[1,0,0]
	v_mul_f32_e32 v208, v203, v185
	v_mov_b32_e32 v197, v195
	v_pk_fma_f32 v[194:195], v[202:203], v[56:57], v[194:195] op_sel:[1,0,0] op_sel_hi:[0,1,0]
	v_pk_fma_f32 v[198:199], v[200:201], v[182:183], v[198:199] op_sel:[0,0,1] op_sel_hi:[1,1,0] neg_lo:[0,0,1] neg_hi:[0,0,1]
	v_pk_fma_f32 v[200:201], v[204:205], v[182:183], v[206:207] op_sel:[0,0,1] op_sel_hi:[1,0,0]
	v_mov_b32_e32 v199, v209
	v_pk_fma_f32 v[202:203], v[202:203], v[56:57], v[208:209] op_sel_hi:[1,1,0] neg_lo:[0,0,1] neg_hi:[0,0,1]
	v_mov_b32_e32 v203, v195
	v_pk_fma_f32 v[194:195], v[204:205], v[182:183], v[206:207] op_sel:[0,0,1] op_sel_hi:[1,1,0] neg_lo:[0,0,1] neg_hi:[0,0,1]
	v_mov_b32_e32 v195, v201
	v_pk_add_f32 v[88:89], v[88:89], v[198:199] neg_lo:[0,1] neg_hi:[0,1]
	s_wait_dscnt 0x1
	v_pk_mul_f32 v[198:199], v[186:187], v[184:185] op_sel:[0,1]
	v_pk_add_f32 v[92:93], v[92:93], v[196:197] neg_lo:[0,1] neg_hi:[0,1]
	s_wait_dscnt 0x0
	v_pk_mul_f32 v[204:205], v[190:191], v[184:185] op_sel:[0,1]
	v_pk_add_f32 v[118:119], v[118:119], v[202:203] neg_lo:[0,1] neg_hi:[0,1]
	v_pk_add_f32 v[86:87], v[86:87], v[194:195] neg_lo:[0,1] neg_hi:[0,1]
	v_pk_mul_f32 v[202:203], v[188:189], v[184:185] op_sel:[0,1]
	ds_load_2addr_b64 v[194:197], v250 offset0:22 offset1:23
	v_pk_fma_f32 v[206:207], v[186:187], v[182:183], v[198:199] op_sel:[0,0,1] op_sel_hi:[1,0,0]
	v_pk_fma_f32 v[186:187], v[186:187], v[182:183], v[198:199] op_sel:[0,0,1] op_sel_hi:[1,1,0] neg_lo:[0,0,1] neg_hi:[0,0,1]
	ds_load_2addr_b64 v[198:201], v250 offset0:24 offset1:25
	v_pk_fma_f32 v[210:211], v[190:191], v[182:183], v[204:205] op_sel:[0,0,1] op_sel_hi:[1,0,0]
	v_pk_fma_f32 v[190:191], v[190:191], v[182:183], v[204:205] op_sel:[0,0,1] op_sel_hi:[1,1,0] neg_lo:[0,0,1] neg_hi:[0,0,1]
	v_pk_fma_f32 v[208:209], v[188:189], v[182:183], v[202:203] op_sel:[0,0,1] op_sel_hi:[1,0,0]
	v_pk_fma_f32 v[188:189], v[188:189], v[182:183], v[202:203] op_sel:[0,0,1] op_sel_hi:[1,1,0] neg_lo:[0,0,1] neg_hi:[0,0,1]
	s_delay_alu instid0(VALU_DEP_4) | instskip(SKIP_1) | instid1(VALU_DEP_4)
	v_dual_mov_b32 v202, v193 :: v_dual_mov_b32 v191, v211
	v_dual_mov_b32 v203, v192 :: v_dual_mul_f32 v204, v193, v182
	v_dual_mov_b32 v187, v207 :: v_dual_mov_b32 v189, v209
	s_delay_alu instid0(VALU_DEP_3) | instskip(NEXT) | instid1(VALU_DEP_3)
	v_pk_add_f32 v[146:147], v[146:147], v[190:191] neg_lo:[0,1] neg_hi:[0,1]
	v_pk_fma_f32 v[190:191], v[202:203], v[56:57], v[204:205] op_sel_hi:[1,1,0]
	v_mul_f32_e32 v206, v193, v185
	s_delay_alu instid0(VALU_DEP_4)
	v_pk_add_f32 v[116:117], v[116:117], v[186:187] neg_lo:[0,1] neg_hi:[0,1]
	v_pk_add_f32 v[114:115], v[114:115], v[188:189] neg_lo:[0,1] neg_hi:[0,1]
	ds_load_2addr_b64 v[186:189], v250 offset0:26 offset1:27
	s_wait_dscnt 0x2
	v_pk_mul_f32 v[204:205], v[194:195], v[184:185] op_sel:[0,1]
	v_pk_fma_f32 v[202:203], v[192:193], v[56:57], v[206:207] op_sel_hi:[1,1,0] neg_lo:[0,0,1] neg_hi:[0,0,1]
	v_mov_b32_e32 v203, v191
	ds_load_2addr_b64 v[190:193], v250 offset0:28 offset1:29
	v_pk_mul_f32 v[206:207], v[196:197], v[184:185] op_sel:[0,1]
	s_wait_dscnt 0x2
	v_pk_mul_f32 v[208:209], v[198:199], v[184:185] op_sel:[0,1]
	v_pk_fma_f32 v[210:211], v[194:195], v[182:183], v[204:205] op_sel:[0,0,1] op_sel_hi:[1,0,0]
	v_pk_fma_f32 v[194:195], v[194:195], v[182:183], v[204:205] op_sel:[0,0,1] op_sel_hi:[1,1,0] neg_lo:[0,0,1] neg_hi:[0,0,1]
	v_pk_add_f32 v[112:113], v[112:113], v[202:203] neg_lo:[0,1] neg_hi:[0,1]
	v_pk_fma_f32 v[212:213], v[196:197], v[182:183], v[206:207] op_sel:[0,0,1] op_sel_hi:[1,0,0]
	v_pk_fma_f32 v[204:205], v[198:199], v[182:183], v[208:209] op_sel:[0,0,1] op_sel_hi:[1,0,0]
	v_pk_fma_f32 v[196:197], v[196:197], v[182:183], v[206:207] op_sel:[0,0,1] op_sel_hi:[1,1,0] neg_lo:[0,0,1] neg_hi:[0,0,1]
	v_pk_fma_f32 v[198:199], v[198:199], v[182:183], v[208:209] op_sel:[0,0,1] op_sel_hi:[1,1,0] neg_lo:[0,0,1] neg_hi:[0,0,1]
	s_delay_alu instid0(VALU_DEP_4) | instskip(NEXT) | instid1(VALU_DEP_4)
	v_dual_mov_b32 v195, v211 :: v_dual_mov_b32 v197, v213
	v_mov_b32_e32 v199, v205
	v_pk_mul_f32 v[204:205], v[200:201], v[184:185] op_sel:[0,1]
	s_delay_alu instid0(VALU_DEP_3) | instskip(NEXT) | instid1(VALU_DEP_4)
	v_pk_add_f32 v[144:145], v[144:145], v[194:195] neg_lo:[0,1] neg_hi:[0,1]
	v_pk_add_f32 v[76:77], v[76:77], v[196:197] neg_lo:[0,1] neg_hi:[0,1]
	s_delay_alu instid0(VALU_DEP_4) | instskip(NEXT) | instid1(VALU_DEP_4)
	v_pk_add_f32 v[102:103], v[102:103], v[198:199] neg_lo:[0,1] neg_hi:[0,1]
	v_pk_fma_f32 v[198:199], v[200:201], v[182:183], v[204:205] op_sel:[0,0,1] op_sel_hi:[1,1,0] neg_lo:[0,0,1] neg_hi:[0,0,1]
	v_pk_fma_f32 v[200:201], v[200:201], v[182:183], v[204:205] op_sel:[0,0,1] op_sel_hi:[1,0,0]
	ds_load_2addr_b64 v[194:197], v250 offset0:30 offset1:31
	s_wait_dscnt 0x2
	v_dual_mul_f32 v200, v187, v182 :: v_dual_mul_f32 v202, v187, v185
	s_wait_dscnt 0x1
	v_pk_mul_f32 v[206:207], v[190:191], v[184:185] op_sel:[0,1]
	v_pk_mul_f32 v[204:205], v[188:189], v[184:185] op_sel:[0,1]
	v_mov_b32_e32 v199, v201
	v_pk_fma_f32 v[208:209], v[186:187], v[56:57], v[200:201] op_sel:[1,0,0] op_sel_hi:[0,1,0]
	v_pk_fma_f32 v[202:203], v[186:187], v[56:57], v[202:203] op_sel_hi:[1,1,0] neg_lo:[0,0,1] neg_hi:[0,0,1]
	v_pk_fma_f32 v[186:187], v[190:191], v[182:183], v[206:207] op_sel:[0,0,1] op_sel_hi:[1,0,0]
	v_pk_fma_f32 v[190:191], v[190:191], v[182:183], v[206:207] op_sel:[0,0,1] op_sel_hi:[1,1,0] neg_lo:[0,0,1] neg_hi:[0,0,1]
	v_pk_fma_f32 v[200:201], v[188:189], v[182:183], v[204:205] op_sel:[0,0,1] op_sel_hi:[1,0,0]
	v_pk_fma_f32 v[204:205], v[188:189], v[182:183], v[204:205] op_sel:[0,0,1] op_sel_hi:[1,1,0] neg_lo:[0,0,1] neg_hi:[0,0,1]
	s_delay_alu instid0(VALU_DEP_4)
	v_dual_mov_b32 v203, v209 :: v_dual_mov_b32 v191, v187
	ds_load_2addr_b64 v[186:189], v250 offset0:32 offset1:33
	v_mov_b32_e32 v205, v201
	v_pk_mul_f32 v[200:201], v[192:193], v[184:185] op_sel:[0,1]
	v_pk_add_f32 v[100:101], v[100:101], v[202:203] neg_lo:[0,1] neg_hi:[0,1]
	v_pk_add_f32 v[98:99], v[98:99], v[198:199] neg_lo:[0,1] neg_hi:[0,1]
	s_wait_dscnt 0x1
	v_pk_mul_f32 v[202:203], v[194:195], v[184:185] op_sel:[0,1]
	v_pk_fma_f32 v[198:199], v[192:193], v[182:183], v[200:201] op_sel:[0,0,1] op_sel_hi:[1,1,0] neg_lo:[0,0,1] neg_hi:[0,0,1]
	v_pk_fma_f32 v[200:201], v[192:193], v[182:183], v[200:201] op_sel:[0,0,1] op_sel_hi:[1,0,0]
	v_pk_add_f32 v[96:97], v[96:97], v[204:205] neg_lo:[0,1] neg_hi:[0,1]
	v_mov_b32_e32 v204, v197
	v_pk_fma_f32 v[206:207], v[194:195], v[182:183], v[202:203] op_sel:[0,0,1] op_sel_hi:[1,0,0]
	v_pk_add_f32 v[132:133], v[132:133], v[190:191] neg_lo:[0,1] neg_hi:[0,1]
	v_dual_mov_b32 v205, v196 :: v_dual_mul_f32 v200, v197, v182
	ds_load_2addr_b64 v[190:193], v250 offset0:34 offset1:35
	v_mul_f32_e32 v206, v197, v185
	v_pk_fma_f32 v[202:203], v[194:195], v[182:183], v[202:203] op_sel:[0,0,1] op_sel_hi:[1,1,0] neg_lo:[0,0,1] neg_hi:[0,0,1]
	v_mov_b32_e32 v199, v201
	v_pk_fma_f32 v[200:201], v[204:205], v[56:57], v[200:201] op_sel_hi:[1,1,0]
	v_mov_b32_e32 v203, v207
	v_pk_fma_f32 v[204:205], v[196:197], v[56:57], v[206:207] op_sel_hi:[1,1,0] neg_lo:[0,0,1] neg_hi:[0,0,1]
	s_wait_dscnt 0x1
	v_pk_mul_f32 v[206:207], v[186:187], v[184:185] op_sel:[0,1]
	ds_load_2addr_b64 v[194:197], v250 offset0:36 offset1:37
	v_mov_b32_e32 v205, v201
	v_pk_add_f32 v[128:129], v[128:129], v[198:199] neg_lo:[0,1] neg_hi:[0,1]
	v_pk_mul_f32 v[198:199], v[188:189], v[184:185] op_sel:[0,1]
	v_pk_fma_f32 v[200:201], v[186:187], v[182:183], v[206:207] op_sel:[0,0,1] op_sel_hi:[1,0,0]
	v_pk_add_f32 v[130:131], v[130:131], v[202:203] neg_lo:[0,1] neg_hi:[0,1]
	v_pk_fma_f32 v[202:203], v[186:187], v[182:183], v[206:207] op_sel:[0,0,1] op_sel_hi:[1,1,0] neg_lo:[0,0,1] neg_hi:[0,0,1]
	v_pk_add_f32 v[126:127], v[126:127], v[204:205] neg_lo:[0,1] neg_hi:[0,1]
	v_pk_fma_f32 v[204:205], v[188:189], v[182:183], v[198:199] op_sel:[0,0,1] op_sel_hi:[1,0,0]
	v_mov_b32_e32 v203, v201
	v_pk_fma_f32 v[198:199], v[188:189], v[182:183], v[198:199] op_sel:[0,0,1] op_sel_hi:[1,1,0] neg_lo:[0,0,1] neg_hi:[0,0,1]
	ds_load_2addr_b64 v[186:189], v250 offset0:38 offset1:39
	s_wait_dscnt 0x2
	v_pk_mul_f32 v[200:201], v[190:191], v[184:185] op_sel:[0,1]
	v_mov_b32_e32 v199, v205
	v_pk_add_f32 v[160:161], v[160:161], v[202:203] neg_lo:[0,1] neg_hi:[0,1]
	ds_load_b64 v[202:203], v250 offset:320
	v_pk_mul_f32 v[204:205], v[192:193], v[184:185] op_sel:[0,1]
	v_pk_fma_f32 v[206:207], v[190:191], v[182:183], v[200:201] op_sel:[0,0,1] op_sel_hi:[1,0,0]
	v_pk_add_f32 v[152:153], v[152:153], v[198:199] neg_lo:[0,1] neg_hi:[0,1]
	v_pk_fma_f32 v[190:191], v[190:191], v[182:183], v[200:201] op_sel:[0,0,1] op_sel_hi:[1,1,0] neg_lo:[0,0,1] neg_hi:[0,0,1]
	s_wait_dscnt 0x2
	v_mul_f32_e32 v200, v195, v185
	v_pk_fma_f32 v[198:199], v[192:193], v[182:183], v[204:205] op_sel:[0,0,1] op_sel_hi:[1,0,0]
	v_mul_f32_e32 v198, v195, v182
	v_mov_b32_e32 v191, v207
	v_pk_fma_f32 v[192:193], v[192:193], v[182:183], v[204:205] op_sel:[0,0,1] op_sel_hi:[1,1,0] neg_lo:[0,0,1] neg_hi:[0,0,1]
	s_delay_alu instid0(VALU_DEP_4) | instskip(NEXT) | instid1(VALU_DEP_4)
	v_mov_b32_e32 v193, v199
	v_pk_fma_f32 v[198:199], v[194:195], v[56:57], v[198:199] op_sel:[1,0,0] op_sel_hi:[0,1,0]
	s_delay_alu instid0(VALU_DEP_4) | instskip(SKIP_1) | instid1(VALU_DEP_4)
	v_pk_add_f32 v[158:159], v[158:159], v[190:191] neg_lo:[0,1] neg_hi:[0,1]
	v_pk_mul_f32 v[190:191], v[196:197], v[184:185] op_sel:[0,1]
	v_pk_add_f32 v[150:151], v[150:151], v[192:193] neg_lo:[0,1] neg_hi:[0,1]
	v_pk_fma_f32 v[192:193], v[194:195], v[56:57], v[200:201] op_sel_hi:[1,1,0] neg_lo:[0,0,1] neg_hi:[0,0,1]
	v_mov_b32_e32 v193, v199
	s_wait_dscnt 0x1
	v_pk_mul_f32 v[194:195], v[186:187], v[184:185] op_sel:[0,1]
	v_pk_fma_f32 v[198:199], v[196:197], v[182:183], v[190:191] op_sel:[0,0,1] op_sel_hi:[1,0,0]
	v_pk_mul_f32 v[200:201], v[188:189], v[184:185] op_sel:[0,1]
	s_wait_dscnt 0x0
	v_pk_mul_f32 v[184:185], v[202:203], v[184:185] op_sel:[0,1]
	v_pk_fma_f32 v[190:191], v[196:197], v[182:183], v[190:191] op_sel:[0,0,1] op_sel_hi:[1,1,0] neg_lo:[0,0,1] neg_hi:[0,0,1]
	v_pk_fma_f32 v[196:197], v[186:187], v[182:183], v[194:195] op_sel:[0,0,1] op_sel_hi:[1,0,0]
	v_mov_b32_e32 v191, v199
	v_pk_fma_f32 v[198:199], v[188:189], v[182:183], v[200:201] op_sel:[0,0,1] op_sel_hi:[1,0,0]
	v_pk_fma_f32 v[186:187], v[186:187], v[182:183], v[194:195] op_sel:[0,0,1] op_sel_hi:[1,1,0] neg_lo:[0,0,1] neg_hi:[0,0,1]
	v_pk_fma_f32 v[194:195], v[202:203], v[182:183], v[184:185] op_sel:[0,0,1] op_sel_hi:[1,0,0]
	v_pk_fma_f32 v[188:189], v[188:189], v[182:183], v[200:201] op_sel:[0,0,1] op_sel_hi:[1,1,0] neg_lo:[0,0,1] neg_hi:[0,0,1]
	v_pk_fma_f32 v[182:183], v[202:203], v[182:183], v[184:185] op_sel:[0,0,1] op_sel_hi:[1,1,0] neg_lo:[0,0,1] neg_hi:[0,0,1]
	v_dual_mov_b32 v187, v197 :: v_dual_mov_b32 v189, v199
	s_delay_alu instid0(VALU_DEP_4) | instskip(SKIP_2) | instid1(VALU_DEP_4)
	v_mov_b32_e32 v183, v195
	v_pk_add_f32 v[156:157], v[156:157], v[192:193] neg_lo:[0,1] neg_hi:[0,1]
	v_pk_add_f32 v[148:149], v[148:149], v[190:191] neg_lo:[0,1] neg_hi:[0,1]
	;; [unrolled: 1-line block ×5, first 2 shown]
.LBB81_73:
	s_or_b32 exec_lo, exec_lo, s1
	s_delay_alu instid0(SALU_CYCLE_1)
	s_mov_b32 s2, exec_lo
	s_wait_dscnt 0x0
	s_barrier_signal -1
	s_barrier_wait -1
	v_cmpx_eq_u32_e32 8, v248
	s_cbranch_execz .LBB81_80
; %bb.74:
	ds_store_b64 v249, v[74:75]
	ds_store_2addr_b64 v250, v[72:73], v[54:55] offset0:9 offset1:10
	ds_store_2addr_b64 v250, v[70:71], v[94:95] offset0:11 offset1:12
	;; [unrolled: 1-line block ×16, first 2 shown]
	ds_load_b64 v[182:183], v249
	s_wait_dscnt 0x0
	v_cmp_neq_f32_e32 vcc_lo, 0, v182
	v_cmp_neq_f32_e64 s1, 0, v183
	s_or_b32 s1, vcc_lo, s1
	s_delay_alu instid0(SALU_CYCLE_1)
	s_and_b32 exec_lo, exec_lo, s1
	s_cbranch_execz .LBB81_80
; %bb.75:
	v_cmp_ngt_f32_e64 s1, |v182|, |v183|
                                        ; implicit-def: $vgpr184_vgpr185
	s_and_saveexec_b32 s4, s1
	s_delay_alu instid0(SALU_CYCLE_1)
	s_xor_b32 s1, exec_lo, s4
	s_cbranch_execz .LBB81_77
; %bb.76:
	v_div_scale_f32 v0, null, v183, v183, v182
	v_div_scale_f32 v5, vcc_lo, v182, v183, v182
	s_delay_alu instid0(VALU_DEP_2) | instskip(SKIP_1) | instid1(TRANS32_DEP_1)
	v_rcp_f32_e32 v1, v0
	v_nop
	v_fma_f32 v4, -v0, v1, 1.0
	s_delay_alu instid0(VALU_DEP_1) | instskip(NEXT) | instid1(VALU_DEP_1)
	v_fmac_f32_e32 v1, v4, v1
	v_mul_f32_e32 v4, v5, v1
	s_delay_alu instid0(VALU_DEP_1) | instskip(NEXT) | instid1(VALU_DEP_1)
	v_fma_f32 v184, -v0, v4, v5
	v_fmac_f32_e32 v4, v184, v1
	s_delay_alu instid0(VALU_DEP_1) | instskip(NEXT) | instid1(VALU_DEP_1)
	v_fma_f32 v0, -v0, v4, v5
	v_div_fmas_f32 v0, v0, v1, v4
	s_delay_alu instid0(VALU_DEP_1) | instskip(NEXT) | instid1(VALU_DEP_1)
	v_div_fixup_f32 v0, v0, v183, v182
	v_fmac_f32_e32 v183, v182, v0
	s_delay_alu instid0(VALU_DEP_1) | instskip(SKIP_1) | instid1(VALU_DEP_2)
	v_div_scale_f32 v1, null, v183, v183, 1.0
	v_div_scale_f32 v182, vcc_lo, 1.0, v183, 1.0
	v_rcp_f32_e32 v4, v1
	v_nop
	s_delay_alu instid0(TRANS32_DEP_1) | instskip(NEXT) | instid1(VALU_DEP_1)
	v_fma_f32 v5, -v1, v4, 1.0
	v_fmac_f32_e32 v4, v5, v4
	s_delay_alu instid0(VALU_DEP_1) | instskip(NEXT) | instid1(VALU_DEP_1)
	v_mul_f32_e32 v5, v182, v4
	v_fma_f32 v184, -v1, v5, v182
	s_delay_alu instid0(VALU_DEP_1) | instskip(NEXT) | instid1(VALU_DEP_1)
	v_fmac_f32_e32 v5, v184, v4
	v_fma_f32 v1, -v1, v5, v182
	s_delay_alu instid0(VALU_DEP_1) | instskip(NEXT) | instid1(VALU_DEP_1)
	v_div_fmas_f32 v1, v1, v4, v5
	v_div_fixup_f32 v1, v1, v183, 1.0
                                        ; implicit-def: $vgpr182_vgpr183
	s_delay_alu instid0(VALU_DEP_1)
	v_mul_f32_e32 v184, v0, v1
	v_xor_b32_e32 v185, 0x80000000, v1
.LBB81_77:
	s_and_not1_saveexec_b32 s1, s1
	s_cbranch_execz .LBB81_79
; %bb.78:
	v_div_scale_f32 v0, null, v182, v182, v183
	v_div_scale_f32 v5, vcc_lo, v183, v182, v183
	s_delay_alu instid0(VALU_DEP_2) | instskip(SKIP_1) | instid1(TRANS32_DEP_1)
	v_rcp_f32_e32 v1, v0
	v_nop
	v_fma_f32 v4, -v0, v1, 1.0
	s_delay_alu instid0(VALU_DEP_1) | instskip(NEXT) | instid1(VALU_DEP_1)
	v_fmac_f32_e32 v1, v4, v1
	v_mul_f32_e32 v4, v5, v1
	s_delay_alu instid0(VALU_DEP_1) | instskip(NEXT) | instid1(VALU_DEP_1)
	v_fma_f32 v184, -v0, v4, v5
	v_fmac_f32_e32 v4, v184, v1
	s_delay_alu instid0(VALU_DEP_1) | instskip(NEXT) | instid1(VALU_DEP_1)
	v_fma_f32 v0, -v0, v4, v5
	v_div_fmas_f32 v0, v0, v1, v4
	s_delay_alu instid0(VALU_DEP_1) | instskip(NEXT) | instid1(VALU_DEP_1)
	v_div_fixup_f32 v0, v0, v182, v183
	v_fmac_f32_e32 v182, v183, v0
	s_delay_alu instid0(VALU_DEP_1) | instskip(NEXT) | instid1(VALU_DEP_1)
	v_div_scale_f32 v1, null, v182, v182, 1.0
	v_rcp_f32_e32 v4, v1
	v_nop
	s_delay_alu instid0(TRANS32_DEP_1) | instskip(NEXT) | instid1(VALU_DEP_1)
	v_fma_f32 v5, -v1, v4, 1.0
	v_fmac_f32_e32 v4, v5, v4
	v_div_scale_f32 v5, vcc_lo, 1.0, v182, 1.0
	s_delay_alu instid0(VALU_DEP_1) | instskip(NEXT) | instid1(VALU_DEP_1)
	v_mul_f32_e32 v183, v5, v4
	v_fma_f32 v184, -v1, v183, v5
	s_delay_alu instid0(VALU_DEP_1) | instskip(NEXT) | instid1(VALU_DEP_1)
	v_fmac_f32_e32 v183, v184, v4
	v_fma_f32 v1, -v1, v183, v5
	s_delay_alu instid0(VALU_DEP_1) | instskip(NEXT) | instid1(VALU_DEP_1)
	v_div_fmas_f32 v1, v1, v4, v183
	v_div_fixup_f32 v184, v1, v182, 1.0
	s_delay_alu instid0(VALU_DEP_1)
	v_mul_f32_e64 v185, v0, -v184
.LBB81_79:
	s_or_b32 exec_lo, exec_lo, s1
	ds_store_b64 v249, v[184:185]
.LBB81_80:
	s_or_b32 exec_lo, exec_lo, s2
	s_wait_dscnt 0x0
	s_barrier_signal -1
	s_barrier_wait -1
	ds_load_b64 v[182:183], v249
	s_mov_b32 s1, exec_lo
	v_cmpx_lt_u32_e32 8, v248
	s_cbranch_execz .LBB81_82
; %bb.81:
	ds_load_2addr_b64 v[188:191], v250 offset0:9 offset1:10
	ds_load_2addr_b64 v[192:195], v250 offset0:11 offset1:12
	ds_load_2addr_b64 v[196:199], v250 offset0:13 offset1:14
	s_wait_dscnt 0x3
	v_pk_mul_f32 v[186:187], v[182:183], v[74:75] op_sel:[1,1] op_sel_hi:[0,1]
	ds_load_2addr_b64 v[200:203], v250 offset0:15 offset1:16
	ds_load_2addr_b64 v[204:207], v250 offset0:17 offset1:18
	v_pk_fma_f32 v[184:185], v[182:183], v[74:75], v[186:187] op_sel_hi:[1,0,1] neg_lo:[0,0,1] neg_hi:[0,0,1]
	v_pk_fma_f32 v[186:187], v[182:183], v[74:75], v[186:187] op_sel_hi:[1,0,1]
	s_delay_alu instid0(VALU_DEP_1) | instskip(SKIP_1) | instid1(VALU_DEP_2)
	v_dual_mov_b32 v74, v184 :: v_dual_mov_b32 v75, v187
	s_wait_dscnt 0x4
	v_pk_mul_f32 v[208:209], v[188:189], v[186:187] op_sel:[0,1]
	v_pk_mul_f32 v[210:211], v[190:191], v[186:187] op_sel:[0,1]
	s_wait_dscnt 0x3
	v_pk_mul_f32 v[212:213], v[192:193], v[186:187] op_sel:[0,1]
	v_dual_mov_b32 v214, v195 :: v_dual_mov_b32 v215, v194
	v_dual_mul_f32 v216, v195, v187 :: v_dual_mul_f32 v218, v195, v184
	s_wait_dscnt 0x2
	v_pk_mul_f32 v[220:221], v[196:197], v[186:187] op_sel:[0,1]
	v_pk_mul_f32 v[222:223], v[198:199], v[186:187] op_sel:[0,1]
	v_pk_fma_f32 v[224:225], v[188:189], v[184:185], v[208:209] op_sel:[0,0,1] op_sel_hi:[1,1,0] neg_lo:[0,0,1] neg_hi:[0,0,1]
	v_pk_fma_f32 v[188:189], v[188:189], v[184:185], v[208:209] op_sel:[0,0,1] op_sel_hi:[1,0,0]
	v_pk_fma_f32 v[208:209], v[190:191], v[184:185], v[210:211] op_sel:[0,0,1] op_sel_hi:[1,1,0] neg_lo:[0,0,1] neg_hi:[0,0,1]
	v_pk_fma_f32 v[190:191], v[190:191], v[184:185], v[210:211] op_sel:[0,0,1] op_sel_hi:[1,0,0]
	v_pk_fma_f32 v[210:211], v[192:193], v[184:185], v[212:213] op_sel:[0,0,1] op_sel_hi:[1,1,0] neg_lo:[0,0,1] neg_hi:[0,0,1]
	v_pk_fma_f32 v[192:193], v[192:193], v[184:185], v[212:213] op_sel:[0,0,1] op_sel_hi:[1,0,0]
	v_pk_fma_f32 v[212:213], v[214:215], v[74:75], v[218:219] op_sel_hi:[1,1,0]
	v_pk_fma_f32 v[214:215], v[196:197], v[184:185], v[220:221] op_sel:[0,0,1] op_sel_hi:[1,0,0]
	v_dual_mov_b32 v225, v189 :: v_dual_mov_b32 v209, v191
	v_pk_fma_f32 v[188:189], v[198:199], v[184:185], v[222:223] op_sel:[0,0,1] op_sel_hi:[1,0,0]
	v_pk_fma_f32 v[194:195], v[194:195], v[74:75], v[216:217] op_sel_hi:[1,1,0] neg_lo:[0,0,1] neg_hi:[0,0,1]
	v_dual_mov_b32 v211, v193 :: v_dual_mov_b32 v195, v213
	v_pk_fma_f32 v[192:193], v[196:197], v[184:185], v[220:221] op_sel:[0,0,1] op_sel_hi:[1,1,0] neg_lo:[0,0,1] neg_hi:[0,0,1]
	v_pk_fma_f32 v[196:197], v[198:199], v[184:185], v[222:223] op_sel:[0,0,1] op_sel_hi:[1,1,0] neg_lo:[0,0,1] neg_hi:[0,0,1]
	s_wait_dscnt 0x1
	v_pk_mul_f32 v[198:199], v[200:201], v[186:187] op_sel:[0,1]
	v_dual_mov_b32 v193, v215 :: v_dual_mov_b32 v197, v189
	ds_load_2addr_b64 v[188:191], v250 offset0:19 offset1:20
	v_pk_add_f32 v[54:55], v[54:55], v[208:209] neg_lo:[0,1] neg_hi:[0,1]
	v_pk_mul_f32 v[208:209], v[202:203], v[186:187] op_sel:[0,1]
	v_pk_add_f32 v[94:95], v[94:95], v[194:195] neg_lo:[0,1] neg_hi:[0,1]
	v_pk_fma_f32 v[194:195], v[200:201], v[184:185], v[198:199] op_sel:[0,0,1] op_sel_hi:[1,0,0]
	v_pk_add_f32 v[92:93], v[92:93], v[196:197] neg_lo:[0,1] neg_hi:[0,1]
	v_pk_fma_f32 v[196:197], v[200:201], v[184:185], v[198:199] op_sel:[0,0,1] op_sel_hi:[1,1,0] neg_lo:[0,0,1] neg_hi:[0,0,1]
	v_pk_add_f32 v[90:91], v[90:91], v[192:193] neg_lo:[0,1] neg_hi:[0,1]
	v_pk_fma_f32 v[192:193], v[202:203], v[184:185], v[208:209] op_sel:[0,0,1] op_sel_hi:[1,0,0]
	s_wait_dscnt 0x1
	v_dual_mov_b32 v197, v195 :: v_dual_mul_f32 v198, v205, v184
	v_pk_fma_f32 v[200:201], v[202:203], v[184:185], v[208:209] op_sel:[0,0,1] op_sel_hi:[1,1,0] neg_lo:[0,0,1] neg_hi:[0,0,1]
	v_pk_add_f32 v[70:71], v[70:71], v[210:211] neg_lo:[0,1] neg_hi:[0,1]
	v_mov_b32_e32 v201, v193
	ds_load_2addr_b64 v[192:195], v250 offset0:21 offset1:22
	v_pk_fma_f32 v[198:199], v[204:205], v[74:75], v[198:199] op_sel:[1,0,0] op_sel_hi:[0,1,0]
	v_mul_f32_e32 v202, v205, v187
	v_pk_mul_f32 v[208:209], v[206:207], v[186:187] op_sel:[0,1]
	v_pk_add_f32 v[118:119], v[118:119], v[200:201] neg_lo:[0,1] neg_hi:[0,1]
	v_pk_add_f32 v[88:89], v[88:89], v[196:197] neg_lo:[0,1] neg_hi:[0,1]
	s_wait_dscnt 0x1
	v_pk_mul_f32 v[210:211], v[190:191], v[186:187] op_sel:[0,1]
	v_pk_fma_f32 v[200:201], v[204:205], v[74:75], v[202:203] op_sel_hi:[1,1,0] neg_lo:[0,0,1] neg_hi:[0,0,1]
	v_mov_b32_e32 v201, v199
	v_pk_mul_f32 v[202:203], v[188:189], v[186:187] op_sel:[0,1]
	ds_load_2addr_b64 v[196:199], v250 offset0:23 offset1:24
	v_pk_fma_f32 v[204:205], v[206:207], v[184:185], v[208:209] op_sel:[0,0,1] op_sel_hi:[1,0,0]
	v_pk_fma_f32 v[206:207], v[206:207], v[184:185], v[208:209] op_sel:[0,0,1] op_sel_hi:[1,1,0] neg_lo:[0,0,1] neg_hi:[0,0,1]
	v_pk_add_f32 v[86:87], v[86:87], v[200:201] neg_lo:[0,1] neg_hi:[0,1]
	v_pk_fma_f32 v[200:201], v[188:189], v[184:185], v[202:203] op_sel:[0,0,1] op_sel_hi:[1,0,0]
	v_pk_fma_f32 v[188:189], v[188:189], v[184:185], v[202:203] op_sel:[0,0,1] op_sel_hi:[1,1,0] neg_lo:[0,0,1] neg_hi:[0,0,1]
	v_pk_fma_f32 v[208:209], v[190:191], v[184:185], v[210:211] op_sel:[0,0,1] op_sel_hi:[1,0,0]
	v_mov_b32_e32 v207, v205
	v_pk_add_f32 v[72:73], v[72:73], v[224:225] neg_lo:[0,1] neg_hi:[0,1]
	v_mov_b32_e32 v189, v201
	v_pk_fma_f32 v[200:201], v[190:191], v[184:185], v[210:211] op_sel:[0,0,1] op_sel_hi:[1,1,0] neg_lo:[0,0,1] neg_hi:[0,0,1]
	v_mov_b32_e32 v201, v209
	s_wait_dscnt 0x1
	v_pk_mul_f32 v[204:205], v[192:193], v[186:187] op_sel:[0,1]
	v_pk_add_f32 v[116:117], v[116:117], v[206:207] neg_lo:[0,1] neg_hi:[0,1]
	v_pk_add_f32 v[114:115], v[114:115], v[188:189] neg_lo:[0,1] neg_hi:[0,1]
	ds_load_2addr_b64 v[188:191], v250 offset0:25 offset1:26
	v_pk_add_f32 v[146:147], v[146:147], v[200:201] neg_lo:[0,1] neg_hi:[0,1]
	v_pk_fma_f32 v[206:207], v[192:193], v[184:185], v[204:205] op_sel:[0,0,1] op_sel_hi:[1,0,0]
	ds_load_2addr_b64 v[200:203], v250 offset0:27 offset1:28
	v_dual_mov_b32 v208, v195 :: v_dual_mov_b32 v209, v194
	v_dual_mul_f32 v206, v195, v184 :: v_dual_mul_f32 v210, v195, v187
	s_wait_dscnt 0x2
	v_pk_mul_f32 v[212:213], v[196:197], v[186:187] op_sel:[0,1]
	v_pk_fma_f32 v[192:193], v[192:193], v[184:185], v[204:205] op_sel:[0,0,1] op_sel_hi:[1,1,0] neg_lo:[0,0,1] neg_hi:[0,0,1]
	s_delay_alu instid0(VALU_DEP_3)
	v_pk_fma_f32 v[204:205], v[208:209], v[74:75], v[206:207] op_sel_hi:[1,1,0]
	v_mov_b32_e32 v193, v207
	v_pk_mul_f32 v[208:209], v[198:199], v[186:187] op_sel:[0,1]
	v_pk_fma_f32 v[206:207], v[196:197], v[184:185], v[212:213] op_sel:[0,0,1] op_sel_hi:[1,0,0]
	v_pk_fma_f32 v[194:195], v[194:195], v[74:75], v[210:211] op_sel_hi:[1,1,0] neg_lo:[0,0,1] neg_hi:[0,0,1]
	v_mov_b32_e32 v195, v205
	v_pk_add_f32 v[112:113], v[112:113], v[192:193] neg_lo:[0,1] neg_hi:[0,1]
	v_pk_fma_f32 v[192:193], v[198:199], v[184:185], v[208:209] op_sel:[0,0,1] op_sel_hi:[1,0,0]
	v_pk_fma_f32 v[196:197], v[196:197], v[184:185], v[212:213] op_sel:[0,0,1] op_sel_hi:[1,1,0] neg_lo:[0,0,1] neg_hi:[0,0,1]
	s_wait_dscnt 0x1
	v_pk_mul_f32 v[204:205], v[188:189], v[186:187] op_sel:[0,1]
	v_mov_b32_e32 v197, v207
	v_pk_fma_f32 v[206:207], v[198:199], v[184:185], v[208:209] op_sel:[0,0,1] op_sel_hi:[1,1,0] neg_lo:[0,0,1] neg_hi:[0,0,1]
	v_pk_add_f32 v[144:145], v[144:145], v[194:195] neg_lo:[0,1] neg_hi:[0,1]
	v_mov_b32_e32 v207, v193
	ds_load_2addr_b64 v[192:195], v250 offset0:29 offset1:30
	v_pk_mul_f32 v[210:211], v[190:191], v[186:187] op_sel:[0,1]
	v_pk_fma_f32 v[208:209], v[188:189], v[184:185], v[204:205] op_sel:[0,0,1] op_sel_hi:[1,0,0]
	s_wait_dscnt 0x1
	v_mul_f32_e32 v208, v201, v184
	v_pk_add_f32 v[76:77], v[76:77], v[196:197] neg_lo:[0,1] neg_hi:[0,1]
	ds_load_2addr_b64 v[196:199], v250 offset0:31 offset1:32
	v_pk_fma_f32 v[188:189], v[188:189], v[184:185], v[204:205] op_sel:[0,0,1] op_sel_hi:[1,1,0] neg_lo:[0,0,1] neg_hi:[0,0,1]
	v_pk_fma_f32 v[204:205], v[190:191], v[184:185], v[210:211] op_sel:[0,0,1] op_sel_hi:[1,0,0]
	v_mul_f32_e32 v204, v201, v187
	v_mov_b32_e32 v189, v209
	v_pk_fma_f32 v[208:209], v[200:201], v[74:75], v[208:209] op_sel:[1,0,0] op_sel_hi:[0,1,0]
	v_pk_fma_f32 v[190:191], v[190:191], v[184:185], v[210:211] op_sel:[0,0,1] op_sel_hi:[1,1,0] neg_lo:[0,0,1] neg_hi:[0,0,1]
	v_pk_mul_f32 v[210:211], v[202:203], v[186:187] op_sel:[0,1]
	v_pk_fma_f32 v[200:201], v[200:201], v[74:75], v[204:205] op_sel_hi:[1,1,0] neg_lo:[0,0,1] neg_hi:[0,0,1]
	s_delay_alu instid0(VALU_DEP_4) | instskip(SKIP_1) | instid1(VALU_DEP_4)
	v_dual_mov_b32 v191, v205 :: v_dual_mov_b32 v201, v209
	v_pk_add_f32 v[98:99], v[98:99], v[188:189] neg_lo:[0,1] neg_hi:[0,1]
	v_pk_fma_f32 v[204:205], v[202:203], v[184:185], v[210:211] op_sel:[0,0,1] op_sel_hi:[1,0,0]
	v_pk_add_f32 v[102:103], v[102:103], v[206:207] neg_lo:[0,1] neg_hi:[0,1]
	s_delay_alu instid0(VALU_DEP_4)
	v_pk_add_f32 v[100:101], v[100:101], v[190:191] neg_lo:[0,1] neg_hi:[0,1]
	v_pk_add_f32 v[96:97], v[96:97], v[200:201] neg_lo:[0,1] neg_hi:[0,1]
	v_pk_fma_f32 v[200:201], v[202:203], v[184:185], v[210:211] op_sel:[0,0,1] op_sel_hi:[1,1,0] neg_lo:[0,0,1] neg_hi:[0,0,1]
	v_mov_b32_e32 v201, v205
	s_wait_dscnt 0x1
	v_pk_mul_f32 v[204:205], v[194:195], v[186:187] op_sel:[0,1]
	v_pk_mul_f32 v[202:203], v[192:193], v[186:187] op_sel:[0,1]
	ds_load_2addr_b64 v[188:191], v250 offset0:33 offset1:34
	s_wait_dscnt 0x1
	v_pk_mul_f32 v[206:207], v[196:197], v[186:187] op_sel:[0,1]
	v_pk_fma_f32 v[210:211], v[194:195], v[184:185], v[204:205] op_sel:[0,0,1] op_sel_hi:[1,0,0]
	v_pk_fma_f32 v[194:195], v[194:195], v[184:185], v[204:205] op_sel:[0,0,1] op_sel_hi:[1,1,0] neg_lo:[0,0,1] neg_hi:[0,0,1]
	v_pk_fma_f32 v[208:209], v[192:193], v[184:185], v[202:203] op_sel:[0,0,1] op_sel_hi:[1,0,0]
	v_pk_fma_f32 v[192:193], v[192:193], v[184:185], v[202:203] op_sel:[0,0,1] op_sel_hi:[1,1,0] neg_lo:[0,0,1] neg_hi:[0,0,1]
	v_pk_fma_f32 v[212:213], v[196:197], v[184:185], v[206:207] op_sel:[0,0,1] op_sel_hi:[1,0,0]
	v_mov_b32_e32 v195, v211
	v_pk_add_f32 v[132:133], v[132:133], v[200:201] neg_lo:[0,1] neg_hi:[0,1]
	ds_load_2addr_b64 v[200:203], v250 offset0:35 offset1:36
	v_pk_fma_f32 v[196:197], v[196:197], v[184:185], v[206:207] op_sel:[0,0,1] op_sel_hi:[1,1,0] neg_lo:[0,0,1] neg_hi:[0,0,1]
	v_dual_mov_b32 v193, v209 :: v_dual_mov_b32 v197, v213
	v_dual_mov_b32 v204, v199 :: v_dual_mov_b32 v205, v198
	v_mul_f32_e32 v206, v199, v184
	s_delay_alu instid0(VALU_DEP_3)
	v_pk_add_f32 v[128:129], v[128:129], v[192:193] neg_lo:[0,1] neg_hi:[0,1]
	v_pk_add_f32 v[130:131], v[130:131], v[194:195] neg_lo:[0,1] neg_hi:[0,1]
	;; [unrolled: 1-line block ×3, first 2 shown]
	ds_load_2addr_b64 v[192:195], v250 offset0:37 offset1:38
	v_pk_fma_f32 v[204:205], v[204:205], v[74:75], v[206:207] op_sel_hi:[1,1,0]
	v_mul_f32_e32 v196, v199, v187
	s_wait_dscnt 0x2
	v_pk_mul_f32 v[206:207], v[188:189], v[186:187] op_sel:[0,1]
	v_pk_mul_f32 v[208:209], v[190:191], v[186:187] op_sel:[0,1]
	s_delay_alu instid0(VALU_DEP_3)
	v_pk_fma_f32 v[210:211], v[198:199], v[74:75], v[196:197] op_sel_hi:[1,1,0] neg_lo:[0,0,1] neg_hi:[0,0,1]
	ds_load_2addr_b64 v[196:199], v250 offset0:39 offset1:40
	v_mov_b32_e32 v211, v205
	v_pk_fma_f32 v[204:205], v[188:189], v[184:185], v[206:207] op_sel:[0,0,1] op_sel_hi:[1,0,0]
	s_wait_dscnt 0x2
	v_pk_mul_f32 v[212:213], v[200:201], v[186:187] op_sel:[0,1]
	v_pk_fma_f32 v[214:215], v[190:191], v[184:185], v[208:209] op_sel:[0,0,1] op_sel_hi:[1,0,0]
	v_pk_fma_f32 v[188:189], v[188:189], v[184:185], v[206:207] op_sel:[0,0,1] op_sel_hi:[1,1,0] neg_lo:[0,0,1] neg_hi:[0,0,1]
	v_pk_mul_f32 v[206:207], v[202:203], v[186:187] op_sel:[0,1]
	v_mov_b32_e32 v189, v205
	v_pk_fma_f32 v[204:205], v[200:201], v[184:185], v[212:213] op_sel:[0,0,1] op_sel_hi:[1,0,0]
	v_pk_fma_f32 v[190:191], v[190:191], v[184:185], v[208:209] op_sel:[0,0,1] op_sel_hi:[1,1,0] neg_lo:[0,0,1] neg_hi:[0,0,1]
	v_mov_b32_e32 v191, v215
	v_pk_fma_f32 v[200:201], v[200:201], v[184:185], v[212:213] op_sel:[0,0,1] op_sel_hi:[1,1,0] neg_lo:[0,0,1] neg_hi:[0,0,1]
	v_pk_add_f32 v[152:153], v[152:153], v[188:189] neg_lo:[0,1] neg_hi:[0,1]
	v_pk_fma_f32 v[188:189], v[202:203], v[184:185], v[206:207] op_sel:[0,0,1] op_sel_hi:[1,0,0]
	v_mov_b32_e32 v201, v205
	s_wait_dscnt 0x1
	v_mul_f32_e32 v188, v193, v184
	v_pk_add_f32 v[158:159], v[158:159], v[190:191] neg_lo:[0,1] neg_hi:[0,1]
	v_pk_fma_f32 v[190:191], v[202:203], v[184:185], v[206:207] op_sel:[0,0,1] op_sel_hi:[1,1,0] neg_lo:[0,0,1] neg_hi:[0,0,1]
	v_mov_b32_e32 v191, v189
	v_pk_add_f32 v[150:151], v[150:151], v[200:201] neg_lo:[0,1] neg_hi:[0,1]
	v_mul_f32_e32 v200, v193, v187
	v_pk_mul_f32 v[202:203], v[194:195], v[186:187] op_sel:[0,1]
	v_pk_fma_f32 v[188:189], v[192:193], v[74:75], v[188:189] op_sel:[1,0,0] op_sel_hi:[0,1,0]
	s_wait_dscnt 0x0
	v_pk_mul_f32 v[204:205], v[196:197], v[186:187] op_sel:[0,1]
	v_pk_mul_f32 v[186:187], v[198:199], v[186:187] op_sel:[0,1]
	v_pk_fma_f32 v[192:193], v[192:193], v[74:75], v[200:201] op_sel_hi:[1,1,0] neg_lo:[0,0,1] neg_hi:[0,0,1]
	v_pk_fma_f32 v[200:201], v[194:195], v[184:185], v[202:203] op_sel:[0,0,1] op_sel_hi:[1,0,0]
	v_mov_b32_e32 v193, v189
	v_pk_fma_f32 v[188:189], v[196:197], v[184:185], v[204:205] op_sel:[0,0,1] op_sel_hi:[1,0,0]
	v_pk_fma_f32 v[194:195], v[194:195], v[184:185], v[202:203] op_sel:[0,0,1] op_sel_hi:[1,1,0] neg_lo:[0,0,1] neg_hi:[0,0,1]
	v_pk_fma_f32 v[202:203], v[198:199], v[184:185], v[186:187] op_sel:[0,0,1] op_sel_hi:[1,0,0]
	v_pk_fma_f32 v[196:197], v[196:197], v[184:185], v[204:205] op_sel:[0,0,1] op_sel_hi:[1,1,0] neg_lo:[0,0,1] neg_hi:[0,0,1]
	v_pk_fma_f32 v[184:185], v[198:199], v[184:185], v[186:187] op_sel:[0,0,1] op_sel_hi:[1,1,0] neg_lo:[0,0,1] neg_hi:[0,0,1]
	v_dual_mov_b32 v195, v201 :: v_dual_mov_b32 v197, v189
	s_delay_alu instid0(VALU_DEP_4)
	v_mov_b32_e32 v185, v203
	v_pk_add_f32 v[160:161], v[160:161], v[210:211] neg_lo:[0,1] neg_hi:[0,1]
	v_pk_add_f32 v[156:157], v[156:157], v[190:191] neg_lo:[0,1] neg_hi:[0,1]
	;; [unrolled: 1-line block ×6, first 2 shown]
.LBB81_82:
	s_or_b32 exec_lo, exec_lo, s1
	s_delay_alu instid0(SALU_CYCLE_1)
	s_mov_b32 s2, exec_lo
	s_wait_dscnt 0x0
	s_barrier_signal -1
	s_barrier_wait -1
	v_cmpx_eq_u32_e32 9, v248
	s_cbranch_execz .LBB81_89
; %bb.83:
	v_dual_mov_b32 v184, v54 :: v_dual_mov_b32 v185, v55
	v_dual_mov_b32 v186, v70 :: v_dual_mov_b32 v187, v71
	;; [unrolled: 1-line block ×8, first 2 shown]
	ds_store_b64 v249, v[72:73]
	ds_store_2addr_b64 v250, v[184:185], v[186:187] offset0:10 offset1:11
	ds_store_2addr_b64 v250, v[188:189], v[190:191] offset0:12 offset1:13
	;; [unrolled: 1-line block ×4, first 2 shown]
	v_dual_mov_b32 v184, v116 :: v_dual_mov_b32 v185, v117
	v_dual_mov_b32 v186, v114 :: v_dual_mov_b32 v187, v115
	;; [unrolled: 1-line block ×12, first 2 shown]
	ds_store_2addr_b64 v250, v[184:185], v[186:187] offset0:18 offset1:19
	ds_store_2addr_b64 v250, v[188:189], v[190:191] offset0:20 offset1:21
	;; [unrolled: 1-line block ×6, first 2 shown]
	v_dual_mov_b32 v184, v130 :: v_dual_mov_b32 v185, v131
	v_dual_mov_b32 v186, v126 :: v_dual_mov_b32 v187, v127
	;; [unrolled: 1-line block ×10, first 2 shown]
	ds_store_2addr_b64 v250, v[184:185], v[186:187] offset0:30 offset1:31
	ds_store_2addr_b64 v250, v[188:189], v[190:191] offset0:32 offset1:33
	;; [unrolled: 1-line block ×5, first 2 shown]
	ds_store_b64 v250, v[164:165] offset:320
	ds_load_b64 v[184:185], v249
	s_wait_dscnt 0x0
	v_cmp_neq_f32_e32 vcc_lo, 0, v184
	v_cmp_neq_f32_e64 s1, 0, v185
	s_or_b32 s1, vcc_lo, s1
	s_delay_alu instid0(SALU_CYCLE_1)
	s_and_b32 exec_lo, exec_lo, s1
	s_cbranch_execz .LBB81_89
; %bb.84:
	v_cmp_ngt_f32_e64 s1, |v184|, |v185|
                                        ; implicit-def: $vgpr186_vgpr187
	s_and_saveexec_b32 s4, s1
	s_delay_alu instid0(SALU_CYCLE_1)
	s_xor_b32 s1, exec_lo, s4
	s_cbranch_execz .LBB81_86
; %bb.85:
	v_div_scale_f32 v0, null, v185, v185, v184
	v_div_scale_f32 v5, vcc_lo, v184, v185, v184
	s_delay_alu instid0(VALU_DEP_2) | instskip(SKIP_1) | instid1(TRANS32_DEP_1)
	v_rcp_f32_e32 v1, v0
	v_nop
	v_fma_f32 v4, -v0, v1, 1.0
	s_delay_alu instid0(VALU_DEP_1) | instskip(NEXT) | instid1(VALU_DEP_1)
	v_fmac_f32_e32 v1, v4, v1
	v_mul_f32_e32 v4, v5, v1
	s_delay_alu instid0(VALU_DEP_1) | instskip(NEXT) | instid1(VALU_DEP_1)
	v_fma_f32 v186, -v0, v4, v5
	v_fmac_f32_e32 v4, v186, v1
	s_delay_alu instid0(VALU_DEP_1) | instskip(NEXT) | instid1(VALU_DEP_1)
	v_fma_f32 v0, -v0, v4, v5
	v_div_fmas_f32 v0, v0, v1, v4
	s_delay_alu instid0(VALU_DEP_1) | instskip(NEXT) | instid1(VALU_DEP_1)
	v_div_fixup_f32 v0, v0, v185, v184
	v_fmac_f32_e32 v185, v184, v0
	s_delay_alu instid0(VALU_DEP_1) | instskip(SKIP_1) | instid1(VALU_DEP_2)
	v_div_scale_f32 v1, null, v185, v185, 1.0
	v_div_scale_f32 v184, vcc_lo, 1.0, v185, 1.0
	v_rcp_f32_e32 v4, v1
	v_nop
	s_delay_alu instid0(TRANS32_DEP_1) | instskip(NEXT) | instid1(VALU_DEP_1)
	v_fma_f32 v5, -v1, v4, 1.0
	v_fmac_f32_e32 v4, v5, v4
	s_delay_alu instid0(VALU_DEP_1) | instskip(NEXT) | instid1(VALU_DEP_1)
	v_mul_f32_e32 v5, v184, v4
	v_fma_f32 v186, -v1, v5, v184
	s_delay_alu instid0(VALU_DEP_1) | instskip(NEXT) | instid1(VALU_DEP_1)
	v_fmac_f32_e32 v5, v186, v4
	v_fma_f32 v1, -v1, v5, v184
	s_delay_alu instid0(VALU_DEP_1) | instskip(NEXT) | instid1(VALU_DEP_1)
	v_div_fmas_f32 v1, v1, v4, v5
	v_div_fixup_f32 v1, v1, v185, 1.0
                                        ; implicit-def: $vgpr184_vgpr185
	s_delay_alu instid0(VALU_DEP_1)
	v_mul_f32_e32 v186, v0, v1
	v_xor_b32_e32 v187, 0x80000000, v1
.LBB81_86:
	s_and_not1_saveexec_b32 s1, s1
	s_cbranch_execz .LBB81_88
; %bb.87:
	v_div_scale_f32 v0, null, v184, v184, v185
	v_div_scale_f32 v5, vcc_lo, v185, v184, v185
	s_delay_alu instid0(VALU_DEP_2) | instskip(SKIP_1) | instid1(TRANS32_DEP_1)
	v_rcp_f32_e32 v1, v0
	v_nop
	v_fma_f32 v4, -v0, v1, 1.0
	s_delay_alu instid0(VALU_DEP_1) | instskip(NEXT) | instid1(VALU_DEP_1)
	v_fmac_f32_e32 v1, v4, v1
	v_mul_f32_e32 v4, v5, v1
	s_delay_alu instid0(VALU_DEP_1) | instskip(NEXT) | instid1(VALU_DEP_1)
	v_fma_f32 v186, -v0, v4, v5
	v_fmac_f32_e32 v4, v186, v1
	s_delay_alu instid0(VALU_DEP_1) | instskip(NEXT) | instid1(VALU_DEP_1)
	v_fma_f32 v0, -v0, v4, v5
	v_div_fmas_f32 v0, v0, v1, v4
	s_delay_alu instid0(VALU_DEP_1) | instskip(NEXT) | instid1(VALU_DEP_1)
	v_div_fixup_f32 v0, v0, v184, v185
	v_fmac_f32_e32 v184, v185, v0
	s_delay_alu instid0(VALU_DEP_1) | instskip(NEXT) | instid1(VALU_DEP_1)
	v_div_scale_f32 v1, null, v184, v184, 1.0
	v_rcp_f32_e32 v4, v1
	v_nop
	s_delay_alu instid0(TRANS32_DEP_1) | instskip(NEXT) | instid1(VALU_DEP_1)
	v_fma_f32 v5, -v1, v4, 1.0
	v_fmac_f32_e32 v4, v5, v4
	v_div_scale_f32 v5, vcc_lo, 1.0, v184, 1.0
	s_delay_alu instid0(VALU_DEP_1) | instskip(NEXT) | instid1(VALU_DEP_1)
	v_mul_f32_e32 v185, v5, v4
	v_fma_f32 v186, -v1, v185, v5
	s_delay_alu instid0(VALU_DEP_1) | instskip(NEXT) | instid1(VALU_DEP_1)
	v_fmac_f32_e32 v185, v186, v4
	v_fma_f32 v1, -v1, v185, v5
	s_delay_alu instid0(VALU_DEP_1) | instskip(NEXT) | instid1(VALU_DEP_1)
	v_div_fmas_f32 v1, v1, v4, v185
	v_div_fixup_f32 v186, v1, v184, 1.0
	s_delay_alu instid0(VALU_DEP_1)
	v_mul_f32_e64 v187, v0, -v186
.LBB81_88:
	s_or_b32 exec_lo, exec_lo, s1
	ds_store_b64 v249, v[186:187]
.LBB81_89:
	s_or_b32 exec_lo, exec_lo, s2
	s_wait_dscnt 0x0
	s_barrier_signal -1
	s_barrier_wait -1
	ds_load_b64 v[184:185], v249
	s_mov_b32 s1, exec_lo
	v_cmpx_lt_u32_e32 9, v248
	s_cbranch_execz .LBB81_91
; %bb.90:
	ds_load_2addr_b64 v[190:193], v250 offset0:10 offset1:11
	ds_load_2addr_b64 v[194:197], v250 offset0:12 offset1:13
	;; [unrolled: 1-line block ×3, first 2 shown]
	s_wait_dscnt 0x3
	v_pk_mul_f32 v[188:189], v[184:185], v[72:73] op_sel:[1,1] op_sel_hi:[0,1]
	ds_load_2addr_b64 v[202:205], v250 offset0:16 offset1:17
	ds_load_2addr_b64 v[206:209], v250 offset0:18 offset1:19
	v_pk_fma_f32 v[186:187], v[184:185], v[72:73], v[188:189] op_sel_hi:[1,0,1] neg_lo:[0,0,1] neg_hi:[0,0,1]
	v_pk_fma_f32 v[188:189], v[184:185], v[72:73], v[188:189] op_sel_hi:[1,0,1]
	s_delay_alu instid0(VALU_DEP_1) | instskip(SKIP_1) | instid1(VALU_DEP_2)
	v_dual_mov_b32 v72, v186 :: v_dual_mov_b32 v73, v189
	s_wait_dscnt 0x4
	v_pk_mul_f32 v[210:211], v[190:191], v[188:189] op_sel:[0,1]
	v_pk_mul_f32 v[212:213], v[192:193], v[188:189] op_sel:[0,1]
	s_wait_dscnt 0x3
	v_pk_mul_f32 v[214:215], v[194:195], v[188:189] op_sel:[0,1]
	v_dual_mov_b32 v216, v197 :: v_dual_mov_b32 v217, v196
	v_dual_mul_f32 v218, v197, v189 :: v_dual_mul_f32 v220, v197, v186
	v_pk_fma_f32 v[226:227], v[190:191], v[186:187], v[210:211] op_sel:[0,0,1] op_sel_hi:[1,1,0] neg_lo:[0,0,1] neg_hi:[0,0,1]
	v_pk_fma_f32 v[190:191], v[190:191], v[186:187], v[210:211] op_sel:[0,0,1] op_sel_hi:[1,0,0]
	v_pk_fma_f32 v[210:211], v[192:193], v[186:187], v[212:213] op_sel:[0,0,1] op_sel_hi:[1,1,0] neg_lo:[0,0,1] neg_hi:[0,0,1]
	v_pk_fma_f32 v[192:193], v[192:193], v[186:187], v[212:213] op_sel:[0,0,1] op_sel_hi:[1,0,0]
	v_pk_fma_f32 v[212:213], v[194:195], v[186:187], v[214:215] op_sel:[0,0,1] op_sel_hi:[1,1,0] neg_lo:[0,0,1] neg_hi:[0,0,1]
	v_pk_fma_f32 v[194:195], v[194:195], v[186:187], v[214:215] op_sel:[0,0,1] op_sel_hi:[1,0,0]
	v_pk_fma_f32 v[214:215], v[216:217], v[72:73], v[220:221] op_sel_hi:[1,1,0]
	v_pk_fma_f32 v[196:197], v[196:197], v[72:73], v[218:219] op_sel_hi:[1,1,0] neg_lo:[0,0,1] neg_hi:[0,0,1]
	s_wait_dscnt 0x2
	v_pk_mul_f32 v[222:223], v[198:199], v[188:189] op_sel:[0,1]
	v_pk_mul_f32 v[224:225], v[200:201], v[188:189] op_sel:[0,1]
	v_dual_mov_b32 v227, v191 :: v_dual_mov_b32 v211, v193
	v_dual_mov_b32 v213, v195 :: v_dual_mov_b32 v197, v215
	s_delay_alu instid0(VALU_DEP_4)
	v_pk_fma_f32 v[194:195], v[198:199], v[186:187], v[222:223] op_sel:[0,0,1] op_sel_hi:[1,0,0]
	ds_load_2addr_b64 v[190:193], v250 offset0:20 offset1:21
	v_pk_add_f32 v[70:71], v[70:71], v[210:211] neg_lo:[0,1] neg_hi:[0,1]
	v_pk_fma_f32 v[210:211], v[200:201], v[186:187], v[224:225] op_sel:[0,0,1] op_sel_hi:[1,0,0]
	v_pk_add_f32 v[90:91], v[90:91], v[196:197] neg_lo:[0,1] neg_hi:[0,1]
	s_wait_dscnt 0x2
	v_pk_mul_f32 v[196:197], v[202:203], v[188:189] op_sel:[0,1]
	v_pk_fma_f32 v[198:199], v[198:199], v[186:187], v[222:223] op_sel:[0,0,1] op_sel_hi:[1,1,0] neg_lo:[0,0,1] neg_hi:[0,0,1]
	v_pk_fma_f32 v[200:201], v[200:201], v[186:187], v[224:225] op_sel:[0,0,1] op_sel_hi:[1,1,0] neg_lo:[0,0,1] neg_hi:[0,0,1]
	v_dual_mov_b32 v199, v195 :: v_dual_mov_b32 v201, v211
	s_delay_alu instid0(VALU_DEP_4) | instskip(SKIP_2) | instid1(VALU_DEP_4)
	v_pk_fma_f32 v[194:195], v[202:203], v[186:187], v[196:197] op_sel:[0,0,1] op_sel_hi:[1,0,0]
	v_pk_mul_f32 v[210:211], v[204:205], v[188:189] op_sel:[0,1]
	v_pk_fma_f32 v[202:203], v[202:203], v[186:187], v[196:197] op_sel:[0,0,1] op_sel_hi:[1,1,0] neg_lo:[0,0,1] neg_hi:[0,0,1]
	v_pk_add_f32 v[92:93], v[92:93], v[198:199] neg_lo:[0,1] neg_hi:[0,1]
	v_pk_add_f32 v[88:89], v[88:89], v[200:201] neg_lo:[0,1] neg_hi:[0,1]
	;; [unrolled: 1-line block ×3, first 2 shown]
	v_pk_fma_f32 v[198:199], v[204:205], v[186:187], v[210:211] op_sel:[0,0,1] op_sel_hi:[1,0,0]
	v_mov_b32_e32 v203, v195
	ds_load_2addr_b64 v[194:197], v250 offset0:22 offset1:23
	v_pk_fma_f32 v[200:201], v[204:205], v[186:187], v[210:211] op_sel:[0,0,1] op_sel_hi:[1,1,0] neg_lo:[0,0,1] neg_hi:[0,0,1]
	s_wait_dscnt 0x2
	v_mul_f32_e32 v198, v207, v186
	v_mov_b32_e32 v201, v199
	v_pk_add_f32 v[118:119], v[118:119], v[202:203] neg_lo:[0,1] neg_hi:[0,1]
	v_mul_f32_e32 v202, v207, v189
	v_pk_mul_f32 v[204:205], v[208:209], v[188:189] op_sel:[0,1]
	v_pk_fma_f32 v[198:199], v[206:207], v[72:73], v[198:199] op_sel:[1,0,0] op_sel_hi:[0,1,0]
	s_wait_dscnt 0x1
	v_pk_mul_f32 v[210:211], v[190:191], v[188:189] op_sel:[0,1]
	v_pk_add_f32 v[86:87], v[86:87], v[200:201] neg_lo:[0,1] neg_hi:[0,1]
	v_pk_fma_f32 v[202:203], v[206:207], v[72:73], v[202:203] op_sel_hi:[1,1,0] neg_lo:[0,0,1] neg_hi:[0,0,1]
	v_pk_fma_f32 v[206:207], v[208:209], v[186:187], v[204:205] op_sel:[0,0,1] op_sel_hi:[1,0,0]
	v_pk_fma_f32 v[204:205], v[208:209], v[186:187], v[204:205] op_sel:[0,0,1] op_sel_hi:[1,1,0] neg_lo:[0,0,1] neg_hi:[0,0,1]
	v_mov_b32_e32 v203, v199
	v_pk_fma_f32 v[212:213], v[190:191], v[186:187], v[210:211] op_sel:[0,0,1] op_sel_hi:[1,0,0]
	ds_load_2addr_b64 v[198:201], v250 offset0:24 offset1:25
	v_mov_b32_e32 v205, v207
	v_pk_mul_f32 v[206:207], v[192:193], v[188:189] op_sel:[0,1]
	v_pk_fma_f32 v[190:191], v[190:191], v[186:187], v[210:211] op_sel:[0,0,1] op_sel_hi:[1,1,0] neg_lo:[0,0,1] neg_hi:[0,0,1]
	v_pk_add_f32 v[116:117], v[116:117], v[202:203] neg_lo:[0,1] neg_hi:[0,1]
	s_wait_dscnt 0x1
	v_pk_mul_f32 v[208:209], v[194:195], v[188:189] op_sel:[0,1]
	v_pk_add_f32 v[114:115], v[114:115], v[204:205] neg_lo:[0,1] neg_hi:[0,1]
	v_pk_fma_f32 v[202:203], v[192:193], v[186:187], v[206:207] op_sel:[0,0,1] op_sel_hi:[1,0,0]
	v_mov_b32_e32 v191, v213
	v_pk_fma_f32 v[206:207], v[192:193], v[186:187], v[206:207] op_sel:[0,0,1] op_sel_hi:[1,1,0] neg_lo:[0,0,1] neg_hi:[0,0,1]
	v_pk_fma_f32 v[204:205], v[194:195], v[186:187], v[208:209] op_sel:[0,0,1] op_sel_hi:[1,0,0]
	v_pk_fma_f32 v[194:195], v[194:195], v[186:187], v[208:209] op_sel:[0,0,1] op_sel_hi:[1,1,0] neg_lo:[0,0,1] neg_hi:[0,0,1]
	v_mov_b32_e32 v207, v203
	v_pk_add_f32 v[146:147], v[146:147], v[190:191] neg_lo:[0,1] neg_hi:[0,1]
	ds_load_2addr_b64 v[190:193], v250 offset0:26 offset1:27
	v_dual_mov_b32 v195, v205 :: v_dual_mov_b32 v202, v197
	v_dual_mov_b32 v203, v196 :: v_dual_mul_f32 v204, v197, v186
	v_pk_add_f32 v[112:113], v[112:113], v[206:207] neg_lo:[0,1] neg_hi:[0,1]
	s_delay_alu instid0(VALU_DEP_3)
	v_pk_add_f32 v[144:145], v[144:145], v[194:195] neg_lo:[0,1] neg_hi:[0,1]
	s_wait_dscnt 0x1
	v_pk_mul_f32 v[208:209], v[198:199], v[188:189] op_sel:[0,1]
	v_pk_mul_f32 v[212:213], v[200:201], v[188:189] op_sel:[0,1]
	v_pk_fma_f32 v[206:207], v[202:203], v[72:73], v[204:205] op_sel_hi:[1,1,0]
	v_mul_f32_e32 v194, v197, v189
	ds_load_2addr_b64 v[202:205], v250 offset0:28 offset1:29
	v_pk_fma_f32 v[210:211], v[198:199], v[186:187], v[208:209] op_sel:[0,0,1] op_sel_hi:[1,0,0]
	v_pk_fma_f32 v[198:199], v[198:199], v[186:187], v[208:209] op_sel:[0,0,1] op_sel_hi:[1,1,0] neg_lo:[0,0,1] neg_hi:[0,0,1]
	v_pk_add_f32 v[54:55], v[54:55], v[226:227] neg_lo:[0,1] neg_hi:[0,1]
	v_pk_fma_f32 v[214:215], v[196:197], v[72:73], v[194:195] op_sel_hi:[1,1,0] neg_lo:[0,0,1] neg_hi:[0,0,1]
	v_mov_b32_e32 v215, v207
	v_pk_fma_f32 v[206:207], v[200:201], v[186:187], v[212:213] op_sel:[0,0,1] op_sel_hi:[1,0,0]
	ds_load_2addr_b64 v[194:197], v250 offset0:30 offset1:31
	v_pk_fma_f32 v[200:201], v[200:201], v[186:187], v[212:213] op_sel:[0,0,1] op_sel_hi:[1,1,0] neg_lo:[0,0,1] neg_hi:[0,0,1]
	v_mov_b32_e32 v199, v211
	s_wait_dscnt 0x2
	v_pk_mul_f32 v[208:209], v[190:191], v[188:189] op_sel:[0,1]
	v_mov_b32_e32 v201, v207
	v_pk_mul_f32 v[206:207], v[192:193], v[188:189] op_sel:[0,1]
	ds_load_b64 v[212:213], v250 offset:320
	v_pk_add_f32 v[102:103], v[102:103], v[198:199] neg_lo:[0,1] neg_hi:[0,1]
	v_pk_fma_f32 v[210:211], v[190:191], v[186:187], v[208:209] op_sel:[0,0,1] op_sel_hi:[1,0,0]
	v_pk_add_f32 v[98:99], v[98:99], v[200:201] neg_lo:[0,1] neg_hi:[0,1]
	v_pk_fma_f32 v[190:191], v[190:191], v[186:187], v[208:209] op_sel:[0,0,1] op_sel_hi:[1,1,0] neg_lo:[0,0,1] neg_hi:[0,0,1]
	v_pk_fma_f32 v[208:209], v[192:193], v[186:187], v[206:207] op_sel:[0,0,1] op_sel_hi:[1,0,0]
	ds_load_2addr_b64 v[198:201], v250 offset0:32 offset1:33
	v_pk_fma_f32 v[192:193], v[192:193], v[186:187], v[206:207] op_sel:[0,0,1] op_sel_hi:[1,1,0] neg_lo:[0,0,1] neg_hi:[0,0,1]
	v_mov_b32_e32 v191, v211
	s_wait_dscnt 0x3
	v_dual_mul_f32 v206, v203, v186 :: v_dual_mul_f32 v208, v203, v189
	v_mov_b32_e32 v193, v209
	v_pk_add_f32 v[76:77], v[76:77], v[214:215] neg_lo:[0,1] neg_hi:[0,1]
	v_pk_add_f32 v[100:101], v[100:101], v[190:191] neg_lo:[0,1] neg_hi:[0,1]
	v_pk_mul_f32 v[190:191], v[204:205], v[188:189] op_sel:[0,1]
	v_pk_fma_f32 v[206:207], v[202:203], v[72:73], v[206:207] op_sel:[1,0,0] op_sel_hi:[0,1,0]
	v_pk_add_f32 v[96:97], v[96:97], v[192:193] neg_lo:[0,1] neg_hi:[0,1]
	s_wait_dscnt 0x2
	v_pk_mul_f32 v[192:193], v[194:195], v[188:189] op_sel:[0,1]
	v_pk_fma_f32 v[202:203], v[202:203], v[72:73], v[208:209] op_sel_hi:[1,1,0] neg_lo:[0,0,1] neg_hi:[0,0,1]
	v_pk_fma_f32 v[210:211], v[204:205], v[186:187], v[190:191] op_sel:[0,0,1] op_sel_hi:[1,0,0]
	v_mov_b32_e32 v203, v207
	v_pk_mul_f32 v[208:209], v[196:197], v[188:189] op_sel:[0,1]
	v_pk_fma_f32 v[206:207], v[194:195], v[186:187], v[192:193] op_sel:[0,0,1] op_sel_hi:[1,0,0]
	v_pk_fma_f32 v[204:205], v[204:205], v[186:187], v[190:191] op_sel:[0,0,1] op_sel_hi:[1,1,0] neg_lo:[0,0,1] neg_hi:[0,0,1]
	v_pk_fma_f32 v[194:195], v[194:195], v[186:187], v[192:193] op_sel:[0,0,1] op_sel_hi:[1,1,0] neg_lo:[0,0,1] neg_hi:[0,0,1]
	v_mov_b32_e32 v205, v211
	ds_load_2addr_b64 v[190:193], v250 offset0:34 offset1:35
	v_pk_add_f32 v[132:133], v[132:133], v[202:203] neg_lo:[0,1] neg_hi:[0,1]
	v_pk_fma_f32 v[202:203], v[196:197], v[186:187], v[208:209] op_sel:[0,0,1] op_sel_hi:[1,0,0]
	v_mov_b32_e32 v195, v207
	s_wait_dscnt 0x1
	v_pk_mul_f32 v[206:207], v[198:199], v[188:189] op_sel:[0,1]
	v_pk_add_f32 v[128:129], v[128:129], v[204:205] neg_lo:[0,1] neg_hi:[0,1]
	v_pk_fma_f32 v[208:209], v[196:197], v[186:187], v[208:209] op_sel:[0,0,1] op_sel_hi:[1,1,0] neg_lo:[0,0,1] neg_hi:[0,0,1]
	v_mov_b32_e32 v209, v203
	v_pk_add_f32 v[130:131], v[130:131], v[194:195] neg_lo:[0,1] neg_hi:[0,1]
	v_pk_fma_f32 v[204:205], v[198:199], v[186:187], v[206:207] op_sel:[0,0,1] op_sel_hi:[1,0,0]
	ds_load_2addr_b64 v[194:197], v250 offset0:36 offset1:37
	v_pk_fma_f32 v[198:199], v[198:199], v[186:187], v[206:207] op_sel:[0,0,1] op_sel_hi:[1,1,0] neg_lo:[0,0,1] neg_hi:[0,0,1]
	v_dual_mov_b32 v202, v201 :: v_dual_mov_b32 v203, v200
	v_mul_f32_e32 v204, v201, v186
	v_mov_b32_e32 v199, v205
	v_pk_add_f32 v[126:127], v[126:127], v[208:209] neg_lo:[0,1] neg_hi:[0,1]
	s_delay_alu instid0(VALU_DEP_3)
	v_pk_fma_f32 v[208:209], v[202:203], v[72:73], v[204:205] op_sel_hi:[1,1,0]
	ds_load_2addr_b64 v[202:205], v250 offset0:38 offset1:39
	v_pk_add_f32 v[160:161], v[160:161], v[198:199] neg_lo:[0,1] neg_hi:[0,1]
	v_mul_f32_e32 v198, v201, v189
	s_wait_dscnt 0x2
	v_pk_mul_f32 v[206:207], v[190:191], v[188:189] op_sel:[0,1]
	v_pk_mul_f32 v[210:211], v[192:193], v[188:189] op_sel:[0,1]
	s_delay_alu instid0(VALU_DEP_3) | instskip(NEXT) | instid1(VALU_DEP_3)
	v_pk_fma_f32 v[198:199], v[200:201], v[72:73], v[198:199] op_sel_hi:[1,1,0] neg_lo:[0,0,1] neg_hi:[0,0,1]
	v_pk_fma_f32 v[200:201], v[190:191], v[186:187], v[206:207] op_sel:[0,0,1] op_sel_hi:[1,0,0]
	v_mov_b32_e32 v199, v209
	s_delay_alu instid0(VALU_DEP_4)
	v_pk_fma_f32 v[208:209], v[192:193], v[186:187], v[210:211] op_sel:[0,0,1] op_sel_hi:[1,0,0]
	v_pk_fma_f32 v[190:191], v[190:191], v[186:187], v[206:207] op_sel:[0,0,1] op_sel_hi:[1,1,0] neg_lo:[0,0,1] neg_hi:[0,0,1]
	s_wait_dscnt 0x1
	v_pk_mul_f32 v[206:207], v[194:195], v[188:189] op_sel:[0,1]
	v_pk_fma_f32 v[192:193], v[192:193], v[186:187], v[210:211] op_sel:[0,0,1] op_sel_hi:[1,1,0] neg_lo:[0,0,1] neg_hi:[0,0,1]
	v_dual_mov_b32 v191, v201 :: v_dual_mov_b32 v193, v209
	v_pk_mul_f32 v[200:201], v[196:197], v[188:189] op_sel:[0,1]
	v_pk_add_f32 v[152:153], v[152:153], v[198:199] neg_lo:[0,1] neg_hi:[0,1]
	v_pk_fma_f32 v[198:199], v[194:195], v[186:187], v[206:207] op_sel:[0,0,1] op_sel_hi:[1,0,0]
	s_delay_alu instid0(VALU_DEP_4)
	v_pk_add_f32 v[158:159], v[158:159], v[190:191] neg_lo:[0,1] neg_hi:[0,1]
	v_pk_add_f32 v[150:151], v[150:151], v[192:193] neg_lo:[0,1] neg_hi:[0,1]
	v_pk_fma_f32 v[190:191], v[194:195], v[186:187], v[206:207] op_sel:[0,0,1] op_sel_hi:[1,1,0] neg_lo:[0,0,1] neg_hi:[0,0,1]
	v_pk_fma_f32 v[192:193], v[196:197], v[186:187], v[200:201] op_sel:[0,0,1] op_sel_hi:[1,1,0] neg_lo:[0,0,1] neg_hi:[0,0,1]
	s_wait_dscnt 0x0
	v_mul_f32_e32 v194, v203, v186
	v_pk_fma_f32 v[196:197], v[196:197], v[186:187], v[200:201] op_sel:[0,0,1] op_sel_hi:[1,0,0]
	v_mov_b32_e32 v191, v199
	v_pk_mul_f32 v[198:199], v[204:205], v[188:189] op_sel:[0,1]
	v_mul_f32_e32 v196, v203, v189
	v_pk_mul_f32 v[188:189], v[212:213], v[188:189] op_sel:[0,1]
	v_pk_fma_f32 v[194:195], v[202:203], v[72:73], v[194:195] op_sel:[1,0,0] op_sel_hi:[0,1,0]
	v_mov_b32_e32 v193, v197
	v_pk_fma_f32 v[200:201], v[204:205], v[186:187], v[198:199] op_sel:[0,0,1] op_sel_hi:[1,0,0]
	v_pk_fma_f32 v[196:197], v[202:203], v[72:73], v[196:197] op_sel_hi:[1,1,0] neg_lo:[0,0,1] neg_hi:[0,0,1]
	v_pk_fma_f32 v[202:203], v[212:213], v[186:187], v[188:189] op_sel:[0,0,1] op_sel_hi:[1,0,0]
	v_mov_b32_e32 v197, v195
	v_pk_fma_f32 v[194:195], v[204:205], v[186:187], v[198:199] op_sel:[0,0,1] op_sel_hi:[1,1,0] neg_lo:[0,0,1] neg_hi:[0,0,1]
	v_pk_fma_f32 v[186:187], v[212:213], v[186:187], v[188:189] op_sel:[0,0,1] op_sel_hi:[1,1,0] neg_lo:[0,0,1] neg_hi:[0,0,1]
	s_delay_alu instid0(VALU_DEP_4) | instskip(SKIP_3) | instid1(VALU_DEP_4)
	v_dual_mov_b32 v195, v201 :: v_dual_mov_b32 v187, v203
	v_pk_add_f32 v[156:157], v[156:157], v[190:191] neg_lo:[0,1] neg_hi:[0,1]
	v_pk_add_f32 v[148:149], v[148:149], v[192:193] neg_lo:[0,1] neg_hi:[0,1]
	;; [unrolled: 1-line block ×5, first 2 shown]
.LBB81_91:
	s_or_b32 exec_lo, exec_lo, s1
	s_delay_alu instid0(SALU_CYCLE_1)
	s_mov_b32 s2, exec_lo
	s_wait_dscnt 0x0
	s_barrier_signal -1
	s_barrier_wait -1
	v_cmpx_eq_u32_e32 10, v248
	s_cbranch_execz .LBB81_98
; %bb.92:
	ds_store_b64 v249, v[54:55]
	ds_store_2addr_b64 v250, v[70:71], v[94:95] offset0:11 offset1:12
	ds_store_2addr_b64 v250, v[90:91], v[92:93] offset0:13 offset1:14
	;; [unrolled: 1-line block ×15, first 2 shown]
	ds_load_b64 v[186:187], v249
	s_wait_dscnt 0x0
	v_cmp_neq_f32_e32 vcc_lo, 0, v186
	v_cmp_neq_f32_e64 s1, 0, v187
	s_or_b32 s1, vcc_lo, s1
	s_delay_alu instid0(SALU_CYCLE_1)
	s_and_b32 exec_lo, exec_lo, s1
	s_cbranch_execz .LBB81_98
; %bb.93:
	v_cmp_ngt_f32_e64 s1, |v186|, |v187|
                                        ; implicit-def: $vgpr188_vgpr189
	s_and_saveexec_b32 s4, s1
	s_delay_alu instid0(SALU_CYCLE_1)
	s_xor_b32 s1, exec_lo, s4
	s_cbranch_execz .LBB81_95
; %bb.94:
	v_div_scale_f32 v0, null, v187, v187, v186
	v_div_scale_f32 v5, vcc_lo, v186, v187, v186
	s_delay_alu instid0(VALU_DEP_2) | instskip(SKIP_1) | instid1(TRANS32_DEP_1)
	v_rcp_f32_e32 v1, v0
	v_nop
	v_fma_f32 v4, -v0, v1, 1.0
	s_delay_alu instid0(VALU_DEP_1) | instskip(NEXT) | instid1(VALU_DEP_1)
	v_fmac_f32_e32 v1, v4, v1
	v_mul_f32_e32 v4, v5, v1
	s_delay_alu instid0(VALU_DEP_1) | instskip(NEXT) | instid1(VALU_DEP_1)
	v_fma_f32 v188, -v0, v4, v5
	v_fmac_f32_e32 v4, v188, v1
	s_delay_alu instid0(VALU_DEP_1) | instskip(NEXT) | instid1(VALU_DEP_1)
	v_fma_f32 v0, -v0, v4, v5
	v_div_fmas_f32 v0, v0, v1, v4
	s_delay_alu instid0(VALU_DEP_1) | instskip(NEXT) | instid1(VALU_DEP_1)
	v_div_fixup_f32 v0, v0, v187, v186
	v_fmac_f32_e32 v187, v186, v0
	s_delay_alu instid0(VALU_DEP_1) | instskip(SKIP_1) | instid1(VALU_DEP_2)
	v_div_scale_f32 v1, null, v187, v187, 1.0
	v_div_scale_f32 v186, vcc_lo, 1.0, v187, 1.0
	v_rcp_f32_e32 v4, v1
	v_nop
	s_delay_alu instid0(TRANS32_DEP_1) | instskip(NEXT) | instid1(VALU_DEP_1)
	v_fma_f32 v5, -v1, v4, 1.0
	v_fmac_f32_e32 v4, v5, v4
	s_delay_alu instid0(VALU_DEP_1) | instskip(NEXT) | instid1(VALU_DEP_1)
	v_mul_f32_e32 v5, v186, v4
	v_fma_f32 v188, -v1, v5, v186
	s_delay_alu instid0(VALU_DEP_1) | instskip(NEXT) | instid1(VALU_DEP_1)
	v_fmac_f32_e32 v5, v188, v4
	v_fma_f32 v1, -v1, v5, v186
	s_delay_alu instid0(VALU_DEP_1) | instskip(NEXT) | instid1(VALU_DEP_1)
	v_div_fmas_f32 v1, v1, v4, v5
	v_div_fixup_f32 v1, v1, v187, 1.0
                                        ; implicit-def: $vgpr186_vgpr187
	s_delay_alu instid0(VALU_DEP_1)
	v_mul_f32_e32 v188, v0, v1
	v_xor_b32_e32 v189, 0x80000000, v1
.LBB81_95:
	s_and_not1_saveexec_b32 s1, s1
	s_cbranch_execz .LBB81_97
; %bb.96:
	v_div_scale_f32 v0, null, v186, v186, v187
	v_div_scale_f32 v5, vcc_lo, v187, v186, v187
	s_delay_alu instid0(VALU_DEP_2) | instskip(SKIP_1) | instid1(TRANS32_DEP_1)
	v_rcp_f32_e32 v1, v0
	v_nop
	v_fma_f32 v4, -v0, v1, 1.0
	s_delay_alu instid0(VALU_DEP_1) | instskip(NEXT) | instid1(VALU_DEP_1)
	v_fmac_f32_e32 v1, v4, v1
	v_mul_f32_e32 v4, v5, v1
	s_delay_alu instid0(VALU_DEP_1) | instskip(NEXT) | instid1(VALU_DEP_1)
	v_fma_f32 v188, -v0, v4, v5
	v_fmac_f32_e32 v4, v188, v1
	s_delay_alu instid0(VALU_DEP_1) | instskip(NEXT) | instid1(VALU_DEP_1)
	v_fma_f32 v0, -v0, v4, v5
	v_div_fmas_f32 v0, v0, v1, v4
	s_delay_alu instid0(VALU_DEP_1) | instskip(NEXT) | instid1(VALU_DEP_1)
	v_div_fixup_f32 v0, v0, v186, v187
	v_fmac_f32_e32 v186, v187, v0
	s_delay_alu instid0(VALU_DEP_1) | instskip(NEXT) | instid1(VALU_DEP_1)
	v_div_scale_f32 v1, null, v186, v186, 1.0
	v_rcp_f32_e32 v4, v1
	v_nop
	s_delay_alu instid0(TRANS32_DEP_1) | instskip(NEXT) | instid1(VALU_DEP_1)
	v_fma_f32 v5, -v1, v4, 1.0
	v_fmac_f32_e32 v4, v5, v4
	v_div_scale_f32 v5, vcc_lo, 1.0, v186, 1.0
	s_delay_alu instid0(VALU_DEP_1) | instskip(NEXT) | instid1(VALU_DEP_1)
	v_mul_f32_e32 v187, v5, v4
	v_fma_f32 v188, -v1, v187, v5
	s_delay_alu instid0(VALU_DEP_1) | instskip(NEXT) | instid1(VALU_DEP_1)
	v_fmac_f32_e32 v187, v188, v4
	v_fma_f32 v1, -v1, v187, v5
	s_delay_alu instid0(VALU_DEP_1) | instskip(NEXT) | instid1(VALU_DEP_1)
	v_div_fmas_f32 v1, v1, v4, v187
	v_div_fixup_f32 v188, v1, v186, 1.0
	s_delay_alu instid0(VALU_DEP_1)
	v_mul_f32_e64 v189, v0, -v188
.LBB81_97:
	s_or_b32 exec_lo, exec_lo, s1
	ds_store_b64 v249, v[188:189]
.LBB81_98:
	s_or_b32 exec_lo, exec_lo, s2
	s_wait_dscnt 0x0
	s_barrier_signal -1
	s_barrier_wait -1
	ds_load_b64 v[186:187], v249
	s_mov_b32 s1, exec_lo
	v_cmpx_lt_u32_e32 10, v248
	s_cbranch_execz .LBB81_100
; %bb.99:
	ds_load_2addr_b64 v[192:195], v250 offset0:11 offset1:12
	ds_load_2addr_b64 v[196:199], v250 offset0:13 offset1:14
	;; [unrolled: 1-line block ×3, first 2 shown]
	s_wait_dscnt 0x3
	v_pk_mul_f32 v[188:189], v[186:187], v[54:55] op_sel:[1,1] op_sel_hi:[0,1]
	ds_load_2addr_b64 v[204:207], v250 offset0:17 offset1:18
	ds_load_2addr_b64 v[208:211], v250 offset0:19 offset1:20
	v_pk_fma_f32 v[190:191], v[186:187], v[54:55], v[188:189] op_sel_hi:[1,0,1] neg_lo:[0,0,1] neg_hi:[0,0,1]
	v_pk_fma_f32 v[188:189], v[186:187], v[54:55], v[188:189] op_sel_hi:[1,0,1]
	s_delay_alu instid0(VALU_DEP_1) | instskip(SKIP_1) | instid1(VALU_DEP_2)
	v_dual_mov_b32 v54, v190 :: v_dual_mov_b32 v55, v189
	s_wait_dscnt 0x4
	v_pk_mul_f32 v[212:213], v[192:193], v[188:189] op_sel:[0,1]
	v_pk_mul_f32 v[214:215], v[194:195], v[188:189] op_sel:[0,1]
	s_wait_dscnt 0x3
	v_pk_mul_f32 v[216:217], v[196:197], v[188:189] op_sel:[0,1]
	v_dual_mov_b32 v218, v199 :: v_dual_mov_b32 v219, v198
	v_pk_fma_f32 v[230:231], v[192:193], v[190:191], v[212:213] op_sel:[0,0,1] op_sel_hi:[1,1,0] neg_lo:[0,0,1] neg_hi:[0,0,1]
	v_pk_fma_f32 v[192:193], v[192:193], v[190:191], v[212:213] op_sel:[0,0,1] op_sel_hi:[1,0,0]
	v_pk_fma_f32 v[212:213], v[194:195], v[190:191], v[214:215] op_sel:[0,0,1] op_sel_hi:[1,1,0] neg_lo:[0,0,1] neg_hi:[0,0,1]
	v_pk_fma_f32 v[194:195], v[194:195], v[190:191], v[214:215] op_sel:[0,0,1] op_sel_hi:[1,0,0]
	v_dual_mul_f32 v220, v199, v189 :: v_dual_mul_f32 v222, v199, v190
	s_wait_dscnt 0x2
	v_pk_mul_f32 v[224:225], v[200:201], v[188:189] op_sel:[0,1]
	v_pk_fma_f32 v[214:215], v[196:197], v[190:191], v[216:217] op_sel:[0,0,1] op_sel_hi:[1,1,0] neg_lo:[0,0,1] neg_hi:[0,0,1]
	v_pk_fma_f32 v[196:197], v[196:197], v[190:191], v[216:217] op_sel:[0,0,1] op_sel_hi:[1,0,0]
	v_pk_mul_f32 v[226:227], v[202:203], v[188:189] op_sel:[0,1]
	v_dual_mov_b32 v231, v193 :: v_dual_mov_b32 v213, v195
	v_pk_fma_f32 v[216:217], v[218:219], v[54:55], v[222:223] op_sel_hi:[1,1,0]
	s_delay_alu instid0(VALU_DEP_4)
	v_mov_b32_e32 v215, v197
	v_pk_fma_f32 v[196:197], v[200:201], v[190:191], v[224:225] op_sel:[0,0,1] op_sel_hi:[1,0,0]
	s_wait_dscnt 0x1
	v_pk_mul_f32 v[228:229], v[204:205], v[188:189] op_sel:[0,1]
	v_pk_add_f32 v[94:95], v[94:95], v[212:213] neg_lo:[0,1] neg_hi:[0,1]
	v_pk_fma_f32 v[212:213], v[202:203], v[190:191], v[226:227] op_sel:[0,0,1] op_sel_hi:[1,0,0]
	ds_load_2addr_b64 v[192:195], v250 offset0:21 offset1:22
	v_pk_fma_f32 v[200:201], v[200:201], v[190:191], v[224:225] op_sel:[0,0,1] op_sel_hi:[1,1,0] neg_lo:[0,0,1] neg_hi:[0,0,1]
	v_pk_fma_f32 v[198:199], v[198:199], v[54:55], v[220:221] op_sel_hi:[1,1,0] neg_lo:[0,0,1] neg_hi:[0,0,1]
	v_mov_b32_e32 v201, v197
	v_pk_fma_f32 v[196:197], v[202:203], v[190:191], v[226:227] op_sel:[0,0,1] op_sel_hi:[1,1,0] neg_lo:[0,0,1] neg_hi:[0,0,1]
	v_mov_b32_e32 v199, v217
	v_pk_add_f32 v[90:91], v[90:91], v[214:215] neg_lo:[0,1] neg_hi:[0,1]
	v_pk_fma_f32 v[214:215], v[204:205], v[190:191], v[228:229] op_sel:[0,0,1] op_sel_hi:[1,0,0]
	v_mov_b32_e32 v197, v213
	v_pk_fma_f32 v[202:203], v[204:205], v[190:191], v[228:229] op_sel:[0,0,1] op_sel_hi:[1,1,0] neg_lo:[0,0,1] neg_hi:[0,0,1]
	v_pk_add_f32 v[92:93], v[92:93], v[198:199] neg_lo:[0,1] neg_hi:[0,1]
	v_pk_mul_f32 v[198:199], v[206:207], v[188:189] op_sel:[0,1]
	v_mov_b32_e32 v203, v215
	v_pk_add_f32 v[118:119], v[118:119], v[196:197] neg_lo:[0,1] neg_hi:[0,1]
	s_wait_dscnt 0x1
	v_mul_f32_e32 v196, v209, v190
	v_pk_add_f32 v[88:89], v[88:89], v[200:201] neg_lo:[0,1] neg_hi:[0,1]
	v_pk_fma_f32 v[204:205], v[206:207], v[190:191], v[198:199] op_sel:[0,0,1] op_sel_hi:[1,1,0] neg_lo:[0,0,1] neg_hi:[0,0,1]
	v_pk_fma_f32 v[200:201], v[206:207], v[190:191], v[198:199] op_sel:[0,0,1] op_sel_hi:[1,0,0]
	v_pk_add_f32 v[86:87], v[86:87], v[202:203] neg_lo:[0,1] neg_hi:[0,1]
	v_pk_fma_f32 v[206:207], v[208:209], v[54:55], v[196:197] op_sel:[1,0,0] op_sel_hi:[0,1,0]
	ds_load_2addr_b64 v[196:199], v250 offset0:23 offset1:24
	v_mul_f32_e32 v200, v209, v189
	v_pk_mul_f32 v[202:203], v[210:211], v[188:189] op_sel:[0,1]
	s_wait_dscnt 0x1
	v_pk_mul_f32 v[212:213], v[192:193], v[188:189] op_sel:[0,1]
	v_pk_add_f32 v[70:71], v[70:71], v[230:231] neg_lo:[0,1] neg_hi:[0,1]
	v_pk_fma_f32 v[208:209], v[208:209], v[54:55], v[200:201] op_sel_hi:[1,1,0] neg_lo:[0,0,1] neg_hi:[0,0,1]
	v_pk_fma_f32 v[214:215], v[210:211], v[190:191], v[202:203] op_sel:[0,0,1] op_sel_hi:[1,0,0]
	v_mov_b32_e32 v209, v207
	v_pk_fma_f32 v[206:207], v[210:211], v[190:191], v[202:203] op_sel:[0,0,1] op_sel_hi:[1,1,0] neg_lo:[0,0,1] neg_hi:[0,0,1]
	v_pk_fma_f32 v[210:211], v[192:193], v[190:191], v[212:213] op_sel:[0,0,1] op_sel_hi:[1,0,0]
	s_delay_alu instid0(VALU_DEP_4)
	v_dual_mov_b32 v205, v201 :: v_dual_mov_b32 v207, v215
	v_pk_fma_f32 v[192:193], v[192:193], v[190:191], v[212:213] op_sel:[0,0,1] op_sel_hi:[1,1,0] neg_lo:[0,0,1] neg_hi:[0,0,1]
	v_pk_mul_f32 v[212:213], v[194:195], v[188:189] op_sel:[0,1]
	ds_load_2addr_b64 v[200:203], v250 offset0:25 offset1:26
	v_mov_b32_e32 v193, v211
	v_pk_add_f32 v[114:115], v[114:115], v[208:209] neg_lo:[0,1] neg_hi:[0,1]
	v_pk_add_f32 v[116:117], v[116:117], v[204:205] neg_lo:[0,1] neg_hi:[0,1]
	v_pk_fma_f32 v[208:209], v[194:195], v[190:191], v[212:213] op_sel:[0,0,1] op_sel_hi:[1,0,0]
	v_pk_add_f32 v[146:147], v[146:147], v[206:207] neg_lo:[0,1] neg_hi:[0,1]
	ds_load_2addr_b64 v[204:207], v250 offset0:27 offset1:28
	s_wait_dscnt 0x2
	v_mov_b32_e32 v208, v199
	v_pk_add_f32 v[112:113], v[112:113], v[192:193] neg_lo:[0,1] neg_hi:[0,1]
	v_pk_fma_f32 v[192:193], v[194:195], v[190:191], v[212:213] op_sel:[0,0,1] op_sel_hi:[1,1,0] neg_lo:[0,0,1] neg_hi:[0,0,1]
	v_pk_mul_f32 v[194:195], v[196:197], v[188:189] op_sel:[0,1]
	v_dual_mov_b32 v193, v209 :: v_dual_mov_b32 v209, v198
	v_mul_f32_e32 v210, v199, v190
	s_delay_alu instid0(VALU_DEP_3) | instskip(NEXT) | instid1(VALU_DEP_3)
	v_pk_fma_f32 v[212:213], v[196:197], v[190:191], v[194:195] op_sel:[0,0,1] op_sel_hi:[1,0,0]
	v_pk_add_f32 v[144:145], v[144:145], v[192:193] neg_lo:[0,1] neg_hi:[0,1]
	v_mul_f32_e32 v192, v199, v189
	v_pk_fma_f32 v[196:197], v[196:197], v[190:191], v[194:195] op_sel:[0,0,1] op_sel_hi:[1,1,0] neg_lo:[0,0,1] neg_hi:[0,0,1]
	v_pk_fma_f32 v[208:209], v[208:209], v[54:55], v[210:211] op_sel_hi:[1,1,0]
	v_mov_b32_e32 v197, v213
	s_wait_dscnt 0x1
	v_pk_mul_f32 v[210:211], v[200:201], v[188:189] op_sel:[0,1]
	v_pk_fma_f32 v[198:199], v[198:199], v[54:55], v[192:193] op_sel_hi:[1,1,0] neg_lo:[0,0,1] neg_hi:[0,0,1]
	ds_load_2addr_b64 v[192:195], v250 offset0:29 offset1:30
	v_mov_b32_e32 v199, v209
	v_pk_add_f32 v[76:77], v[76:77], v[196:197] neg_lo:[0,1] neg_hi:[0,1]
	v_pk_fma_f32 v[196:197], v[200:201], v[190:191], v[210:211] op_sel:[0,0,1] op_sel_hi:[1,0,0]
	v_pk_mul_f32 v[208:209], v[202:203], v[188:189] op_sel:[0,1]
	s_wait_dscnt 0x1
	v_pk_mul_f32 v[212:213], v[204:205], v[188:189] op_sel:[0,1]
	v_pk_fma_f32 v[200:201], v[200:201], v[190:191], v[210:211] op_sel:[0,0,1] op_sel_hi:[1,1,0] neg_lo:[0,0,1] neg_hi:[0,0,1]
	v_pk_add_f32 v[102:103], v[102:103], v[198:199] neg_lo:[0,1] neg_hi:[0,1]
	v_pk_fma_f32 v[210:211], v[202:203], v[190:191], v[208:209] op_sel:[0,0,1] op_sel_hi:[1,0,0]
	v_mov_b32_e32 v201, v197
	ds_load_2addr_b64 v[196:199], v250 offset0:31 offset1:32
	v_pk_fma_f32 v[214:215], v[204:205], v[190:191], v[212:213] op_sel:[0,0,1] op_sel_hi:[1,0,0]
	v_pk_fma_f32 v[202:203], v[202:203], v[190:191], v[208:209] op_sel:[0,0,1] op_sel_hi:[1,1,0] neg_lo:[0,0,1] neg_hi:[0,0,1]
	v_pk_mul_f32 v[208:209], v[206:207], v[188:189] op_sel:[0,1]
	v_pk_fma_f32 v[204:205], v[204:205], v[190:191], v[212:213] op_sel:[0,0,1] op_sel_hi:[1,1,0] neg_lo:[0,0,1] neg_hi:[0,0,1]
	s_delay_alu instid0(VALU_DEP_4) | instskip(SKIP_1) | instid1(VALU_DEP_4)
	v_dual_mov_b32 v203, v211 :: v_dual_mov_b32 v205, v215
	v_pk_add_f32 v[98:99], v[98:99], v[200:201] neg_lo:[0,1] neg_hi:[0,1]
	v_pk_fma_f32 v[200:201], v[206:207], v[190:191], v[208:209] op_sel:[0,0,1] op_sel_hi:[1,0,0]
	s_wait_dscnt 0x1
	v_mul_f32_e32 v200, v193, v190
	v_pk_add_f32 v[100:101], v[100:101], v[202:203] neg_lo:[0,1] neg_hi:[0,1]
	v_pk_add_f32 v[96:97], v[96:97], v[204:205] neg_lo:[0,1] neg_hi:[0,1]
	v_pk_fma_f32 v[204:205], v[206:207], v[190:191], v[208:209] op_sel:[0,0,1] op_sel_hi:[1,1,0] neg_lo:[0,0,1] neg_hi:[0,0,1]
	v_mul_f32_e32 v206, v193, v189
	v_pk_fma_f32 v[208:209], v[192:193], v[54:55], v[200:201] op_sel:[1,0,0] op_sel_hi:[0,1,0]
	v_mov_b32_e32 v205, v201
	ds_load_2addr_b64 v[200:203], v250 offset0:33 offset1:34
	v_pk_mul_f32 v[210:211], v[194:195], v[188:189] op_sel:[0,1]
	v_pk_fma_f32 v[192:193], v[192:193], v[54:55], v[206:207] op_sel_hi:[1,1,0] neg_lo:[0,0,1] neg_hi:[0,0,1]
	v_mov_b32_e32 v193, v209
	s_wait_dscnt 0x1
	v_pk_mul_f32 v[208:209], v[196:197], v[188:189] op_sel:[0,1]
	v_pk_add_f32 v[132:133], v[132:133], v[204:205] neg_lo:[0,1] neg_hi:[0,1]
	v_pk_fma_f32 v[212:213], v[194:195], v[190:191], v[210:211] op_sel:[0,0,1] op_sel_hi:[1,0,0]
	v_pk_mul_f32 v[214:215], v[198:199], v[188:189] op_sel:[0,1]
	ds_load_2addr_b64 v[204:207], v250 offset0:35 offset1:36
	v_pk_add_f32 v[128:129], v[128:129], v[192:193] neg_lo:[0,1] neg_hi:[0,1]
	v_pk_fma_f32 v[192:193], v[196:197], v[190:191], v[208:209] op_sel:[0,0,1] op_sel_hi:[1,0,0]
	v_pk_fma_f32 v[194:195], v[194:195], v[190:191], v[210:211] op_sel:[0,0,1] op_sel_hi:[1,1,0] neg_lo:[0,0,1] neg_hi:[0,0,1]
	v_pk_fma_f32 v[210:211], v[198:199], v[190:191], v[214:215] op_sel:[0,0,1] op_sel_hi:[1,0,0]
	v_mov_b32_e32 v195, v213
	v_pk_fma_f32 v[196:197], v[196:197], v[190:191], v[208:209] op_sel:[0,0,1] op_sel_hi:[1,1,0] neg_lo:[0,0,1] neg_hi:[0,0,1]
	v_mov_b32_e32 v197, v193
	v_pk_fma_f32 v[198:199], v[198:199], v[190:191], v[214:215] op_sel:[0,0,1] op_sel_hi:[1,1,0] neg_lo:[0,0,1] neg_hi:[0,0,1]
	v_mov_b32_e32 v199, v211
	v_pk_add_f32 v[130:131], v[130:131], v[194:195] neg_lo:[0,1] neg_hi:[0,1]
	ds_load_2addr_b64 v[192:195], v250 offset0:37 offset1:38
	v_pk_add_f32 v[126:127], v[126:127], v[196:197] neg_lo:[0,1] neg_hi:[0,1]
	s_wait_dscnt 0x2
	v_pk_mul_f32 v[196:197], v[200:201], v[188:189] op_sel:[0,1]
	v_pk_add_f32 v[160:161], v[160:161], v[198:199] neg_lo:[0,1] neg_hi:[0,1]
	v_dual_mov_b32 v198, v203 :: v_dual_mov_b32 v199, v202
	v_mul_f32_e32 v208, v203, v190
	s_delay_alu instid0(VALU_DEP_4)
	v_pk_fma_f32 v[210:211], v[200:201], v[190:191], v[196:197] op_sel:[0,0,1] op_sel_hi:[1,1,0] neg_lo:[0,0,1] neg_hi:[0,0,1]
	v_pk_fma_f32 v[200:201], v[200:201], v[190:191], v[196:197] op_sel:[0,0,1] op_sel_hi:[1,0,0]
	v_mul_f32_e32 v200, v203, v189
	s_wait_dscnt 0x1
	v_pk_mul_f32 v[212:213], v[204:205], v[188:189] op_sel:[0,1]
	v_pk_fma_f32 v[208:209], v[198:199], v[54:55], v[208:209] op_sel_hi:[1,1,0]
	ds_load_2addr_b64 v[196:199], v250 offset0:39 offset1:40
	v_mov_b32_e32 v211, v201
	v_pk_fma_f32 v[200:201], v[202:203], v[54:55], v[200:201] op_sel_hi:[1,1,0] neg_lo:[0,0,1] neg_hi:[0,0,1]
	v_pk_fma_f32 v[214:215], v[204:205], v[190:191], v[212:213] op_sel:[0,0,1] op_sel_hi:[1,0,0]
	v_mov_b32_e32 v201, v209
	v_pk_fma_f32 v[202:203], v[204:205], v[190:191], v[212:213] op_sel:[0,0,1] op_sel_hi:[1,1,0] neg_lo:[0,0,1] neg_hi:[0,0,1]
	v_pk_mul_f32 v[204:205], v[206:207], v[188:189] op_sel:[0,1]
	v_pk_add_f32 v[152:153], v[152:153], v[210:211] neg_lo:[0,1] neg_hi:[0,1]
	s_wait_dscnt 0x1
	v_pk_mul_f32 v[208:209], v[192:193], v[188:189] op_sel:[0,1]
	v_pk_add_f32 v[158:159], v[158:159], v[200:201] neg_lo:[0,1] neg_hi:[0,1]
	v_pk_mul_f32 v[210:211], v[194:195], v[188:189] op_sel:[0,1]
	v_pk_fma_f32 v[200:201], v[206:207], v[190:191], v[204:205] op_sel:[0,0,1] op_sel_hi:[1,0,0]
	v_mov_b32_e32 v203, v215
	v_pk_fma_f32 v[204:205], v[206:207], v[190:191], v[204:205] op_sel:[0,0,1] op_sel_hi:[1,1,0] neg_lo:[0,0,1] neg_hi:[0,0,1]
	s_delay_alu instid0(VALU_DEP_3) | instskip(NEXT) | instid1(VALU_DEP_3)
	v_mov_b32_e32 v205, v201
	v_pk_add_f32 v[150:151], v[150:151], v[202:203] neg_lo:[0,1] neg_hi:[0,1]
	v_pk_fma_f32 v[202:203], v[192:193], v[190:191], v[208:209] op_sel:[0,0,1] op_sel_hi:[1,0,0]
	v_pk_fma_f32 v[192:193], v[192:193], v[190:191], v[208:209] op_sel:[0,0,1] op_sel_hi:[1,1,0] neg_lo:[0,0,1] neg_hi:[0,0,1]
	s_wait_dscnt 0x0
	v_dual_mul_f32 v188, v197, v190 :: v_dual_mov_b32 v202, v199
	v_mul_f32_e32 v206, v199, v190
	v_dual_mov_b32 v193, v203 :: v_dual_mov_b32 v203, v198
	v_pk_fma_f32 v[200:201], v[194:195], v[190:191], v[210:211] op_sel:[0,0,1] op_sel_hi:[1,1,0] neg_lo:[0,0,1] neg_hi:[0,0,1]
	v_pk_fma_f32 v[190:191], v[194:195], v[190:191], v[210:211] op_sel:[0,0,1] op_sel_hi:[1,0,0]
	v_mul_f32_e32 v190, v197, v189
	v_pk_fma_f32 v[194:195], v[196:197], v[54:55], v[188:189] op_sel:[1,0,0] op_sel_hi:[0,1,0]
	v_mul_f32_e32 v188, v199, v189
	v_pk_fma_f32 v[202:203], v[202:203], v[54:55], v[206:207] op_sel_hi:[1,1,0]
	v_mov_b32_e32 v201, v191
	v_pk_fma_f32 v[190:191], v[196:197], v[54:55], v[190:191] op_sel_hi:[1,1,0] neg_lo:[0,0,1] neg_hi:[0,0,1]
	v_mov_b32_e32 v191, v195
	v_pk_fma_f32 v[188:189], v[198:199], v[54:55], v[188:189] op_sel_hi:[1,1,0] neg_lo:[0,0,1] neg_hi:[0,0,1]
	v_mov_b32_e32 v189, v203
	v_pk_add_f32 v[156:157], v[156:157], v[204:205] neg_lo:[0,1] neg_hi:[0,1]
	v_pk_add_f32 v[148:149], v[148:149], v[192:193] neg_lo:[0,1] neg_hi:[0,1]
	;; [unrolled: 1-line block ×5, first 2 shown]
.LBB81_100:
	s_or_b32 exec_lo, exec_lo, s1
	s_delay_alu instid0(SALU_CYCLE_1)
	s_mov_b32 s2, exec_lo
	s_wait_dscnt 0x0
	s_barrier_signal -1
	s_barrier_wait -1
	v_cmpx_eq_u32_e32 11, v248
	s_cbranch_execz .LBB81_107
; %bb.101:
	v_dual_mov_b32 v188, v94 :: v_dual_mov_b32 v189, v95
	v_dual_mov_b32 v190, v90 :: v_dual_mov_b32 v191, v91
	;; [unrolled: 1-line block ×4, first 2 shown]
	ds_store_b64 v249, v[70:71]
	ds_store_2addr_b64 v250, v[188:189], v[190:191] offset0:12 offset1:13
	ds_store_2addr_b64 v250, v[192:193], v[194:195] offset0:14 offset1:15
	v_dual_mov_b32 v188, v118 :: v_dual_mov_b32 v189, v119
	v_dual_mov_b32 v190, v86 :: v_dual_mov_b32 v191, v87
	v_dual_mov_b32 v192, v116 :: v_dual_mov_b32 v193, v117
	v_dual_mov_b32 v194, v114 :: v_dual_mov_b32 v195, v115
	v_dual_mov_b32 v196, v146 :: v_dual_mov_b32 v197, v147
	v_dual_mov_b32 v198, v112 :: v_dual_mov_b32 v199, v113
	v_dual_mov_b32 v200, v144 :: v_dual_mov_b32 v201, v145
	v_dual_mov_b32 v202, v76 :: v_dual_mov_b32 v203, v77
	v_dual_mov_b32 v204, v102 :: v_dual_mov_b32 v205, v103
	v_dual_mov_b32 v206, v98 :: v_dual_mov_b32 v207, v99
	v_dual_mov_b32 v208, v100 :: v_dual_mov_b32 v209, v101
	v_dual_mov_b32 v210, v96 :: v_dual_mov_b32 v211, v97
	ds_store_2addr_b64 v250, v[188:189], v[190:191] offset0:16 offset1:17
	ds_store_2addr_b64 v250, v[192:193], v[194:195] offset0:18 offset1:19
	;; [unrolled: 1-line block ×6, first 2 shown]
	v_dual_mov_b32 v188, v132 :: v_dual_mov_b32 v189, v133
	v_dual_mov_b32 v190, v128 :: v_dual_mov_b32 v191, v129
	;; [unrolled: 1-line block ×12, first 2 shown]
	ds_store_2addr_b64 v250, v[188:189], v[190:191] offset0:28 offset1:29
	ds_store_2addr_b64 v250, v[192:193], v[194:195] offset0:30 offset1:31
	;; [unrolled: 1-line block ×6, first 2 shown]
	ds_store_b64 v250, v[164:165] offset:320
	ds_load_b64 v[188:189], v249
	s_wait_dscnt 0x0
	v_cmp_neq_f32_e32 vcc_lo, 0, v188
	v_cmp_neq_f32_e64 s1, 0, v189
	s_or_b32 s1, vcc_lo, s1
	s_delay_alu instid0(SALU_CYCLE_1)
	s_and_b32 exec_lo, exec_lo, s1
	s_cbranch_execz .LBB81_107
; %bb.102:
	v_cmp_ngt_f32_e64 s1, |v188|, |v189|
                                        ; implicit-def: $vgpr190_vgpr191
	s_and_saveexec_b32 s4, s1
	s_delay_alu instid0(SALU_CYCLE_1)
	s_xor_b32 s1, exec_lo, s4
	s_cbranch_execz .LBB81_104
; %bb.103:
	v_div_scale_f32 v0, null, v189, v189, v188
	v_div_scale_f32 v5, vcc_lo, v188, v189, v188
	s_delay_alu instid0(VALU_DEP_2) | instskip(SKIP_1) | instid1(TRANS32_DEP_1)
	v_rcp_f32_e32 v1, v0
	v_nop
	v_fma_f32 v4, -v0, v1, 1.0
	s_delay_alu instid0(VALU_DEP_1) | instskip(NEXT) | instid1(VALU_DEP_1)
	v_fmac_f32_e32 v1, v4, v1
	v_mul_f32_e32 v4, v5, v1
	s_delay_alu instid0(VALU_DEP_1) | instskip(NEXT) | instid1(VALU_DEP_1)
	v_fma_f32 v190, -v0, v4, v5
	v_fmac_f32_e32 v4, v190, v1
	s_delay_alu instid0(VALU_DEP_1) | instskip(NEXT) | instid1(VALU_DEP_1)
	v_fma_f32 v0, -v0, v4, v5
	v_div_fmas_f32 v0, v0, v1, v4
	s_delay_alu instid0(VALU_DEP_1) | instskip(NEXT) | instid1(VALU_DEP_1)
	v_div_fixup_f32 v0, v0, v189, v188
	v_fmac_f32_e32 v189, v188, v0
	s_delay_alu instid0(VALU_DEP_1) | instskip(SKIP_1) | instid1(VALU_DEP_2)
	v_div_scale_f32 v1, null, v189, v189, 1.0
	v_div_scale_f32 v188, vcc_lo, 1.0, v189, 1.0
	v_rcp_f32_e32 v4, v1
	v_nop
	s_delay_alu instid0(TRANS32_DEP_1) | instskip(NEXT) | instid1(VALU_DEP_1)
	v_fma_f32 v5, -v1, v4, 1.0
	v_fmac_f32_e32 v4, v5, v4
	s_delay_alu instid0(VALU_DEP_1) | instskip(NEXT) | instid1(VALU_DEP_1)
	v_mul_f32_e32 v5, v188, v4
	v_fma_f32 v190, -v1, v5, v188
	s_delay_alu instid0(VALU_DEP_1) | instskip(NEXT) | instid1(VALU_DEP_1)
	v_fmac_f32_e32 v5, v190, v4
	v_fma_f32 v1, -v1, v5, v188
	s_delay_alu instid0(VALU_DEP_1) | instskip(NEXT) | instid1(VALU_DEP_1)
	v_div_fmas_f32 v1, v1, v4, v5
	v_div_fixup_f32 v1, v1, v189, 1.0
                                        ; implicit-def: $vgpr188_vgpr189
	s_delay_alu instid0(VALU_DEP_1)
	v_mul_f32_e32 v190, v0, v1
	v_xor_b32_e32 v191, 0x80000000, v1
.LBB81_104:
	s_and_not1_saveexec_b32 s1, s1
	s_cbranch_execz .LBB81_106
; %bb.105:
	v_div_scale_f32 v0, null, v188, v188, v189
	v_div_scale_f32 v5, vcc_lo, v189, v188, v189
	s_delay_alu instid0(VALU_DEP_2) | instskip(SKIP_1) | instid1(TRANS32_DEP_1)
	v_rcp_f32_e32 v1, v0
	v_nop
	v_fma_f32 v4, -v0, v1, 1.0
	s_delay_alu instid0(VALU_DEP_1) | instskip(NEXT) | instid1(VALU_DEP_1)
	v_fmac_f32_e32 v1, v4, v1
	v_mul_f32_e32 v4, v5, v1
	s_delay_alu instid0(VALU_DEP_1) | instskip(NEXT) | instid1(VALU_DEP_1)
	v_fma_f32 v190, -v0, v4, v5
	v_fmac_f32_e32 v4, v190, v1
	s_delay_alu instid0(VALU_DEP_1) | instskip(NEXT) | instid1(VALU_DEP_1)
	v_fma_f32 v0, -v0, v4, v5
	v_div_fmas_f32 v0, v0, v1, v4
	s_delay_alu instid0(VALU_DEP_1) | instskip(NEXT) | instid1(VALU_DEP_1)
	v_div_fixup_f32 v0, v0, v188, v189
	v_fmac_f32_e32 v188, v189, v0
	s_delay_alu instid0(VALU_DEP_1) | instskip(NEXT) | instid1(VALU_DEP_1)
	v_div_scale_f32 v1, null, v188, v188, 1.0
	v_rcp_f32_e32 v4, v1
	v_nop
	s_delay_alu instid0(TRANS32_DEP_1) | instskip(NEXT) | instid1(VALU_DEP_1)
	v_fma_f32 v5, -v1, v4, 1.0
	v_fmac_f32_e32 v4, v5, v4
	v_div_scale_f32 v5, vcc_lo, 1.0, v188, 1.0
	s_delay_alu instid0(VALU_DEP_1) | instskip(NEXT) | instid1(VALU_DEP_1)
	v_mul_f32_e32 v189, v5, v4
	v_fma_f32 v190, -v1, v189, v5
	s_delay_alu instid0(VALU_DEP_1) | instskip(NEXT) | instid1(VALU_DEP_1)
	v_fmac_f32_e32 v189, v190, v4
	v_fma_f32 v1, -v1, v189, v5
	s_delay_alu instid0(VALU_DEP_1) | instskip(NEXT) | instid1(VALU_DEP_1)
	v_div_fmas_f32 v1, v1, v4, v189
	v_div_fixup_f32 v190, v1, v188, 1.0
	s_delay_alu instid0(VALU_DEP_1)
	v_mul_f32_e64 v191, v0, -v190
.LBB81_106:
	s_or_b32 exec_lo, exec_lo, s1
	ds_store_b64 v249, v[190:191]
.LBB81_107:
	s_or_b32 exec_lo, exec_lo, s2
	s_wait_dscnt 0x0
	s_barrier_signal -1
	s_barrier_wait -1
	ds_load_b64 v[188:189], v249
	s_mov_b32 s1, exec_lo
	v_cmpx_lt_u32_e32 11, v248
	s_cbranch_execz .LBB81_109
; %bb.108:
	ds_load_2addr_b64 v[194:197], v250 offset0:12 offset1:13
	ds_load_2addr_b64 v[198:201], v250 offset0:14 offset1:15
	;; [unrolled: 1-line block ×3, first 2 shown]
	s_wait_dscnt 0x3
	v_pk_mul_f32 v[192:193], v[188:189], v[70:71] op_sel:[1,1] op_sel_hi:[0,1]
	ds_load_2addr_b64 v[206:209], v250 offset0:18 offset1:19
	ds_load_2addr_b64 v[210:213], v250 offset0:20 offset1:21
	v_pk_fma_f32 v[190:191], v[188:189], v[70:71], v[192:193] op_sel_hi:[1,0,1] neg_lo:[0,0,1] neg_hi:[0,0,1]
	v_pk_fma_f32 v[192:193], v[188:189], v[70:71], v[192:193] op_sel_hi:[1,0,1]
	s_delay_alu instid0(VALU_DEP_1) | instskip(SKIP_1) | instid1(VALU_DEP_2)
	v_dual_mov_b32 v70, v190 :: v_dual_mov_b32 v71, v193
	s_wait_dscnt 0x4
	v_pk_mul_f32 v[214:215], v[194:195], v[192:193] op_sel:[0,1]
	v_pk_mul_f32 v[216:217], v[196:197], v[192:193] op_sel:[0,1]
	s_wait_dscnt 0x3
	v_pk_mul_f32 v[218:219], v[198:199], v[192:193] op_sel:[0,1]
	v_dual_mov_b32 v220, v201 :: v_dual_mov_b32 v221, v200
	v_dual_mul_f32 v222, v201, v193 :: v_dual_mul_f32 v224, v201, v190
	s_wait_dscnt 0x2
	v_pk_mul_f32 v[226:227], v[202:203], v[192:193] op_sel:[0,1]
	v_pk_mul_f32 v[228:229], v[204:205], v[192:193] op_sel:[0,1]
	v_pk_fma_f32 v[230:231], v[194:195], v[190:191], v[214:215] op_sel:[0,0,1] op_sel_hi:[1,1,0] neg_lo:[0,0,1] neg_hi:[0,0,1]
	v_pk_fma_f32 v[194:195], v[194:195], v[190:191], v[214:215] op_sel:[0,0,1] op_sel_hi:[1,0,0]
	v_pk_fma_f32 v[214:215], v[196:197], v[190:191], v[216:217] op_sel:[0,0,1] op_sel_hi:[1,1,0] neg_lo:[0,0,1] neg_hi:[0,0,1]
	v_pk_fma_f32 v[196:197], v[196:197], v[190:191], v[216:217] op_sel:[0,0,1] op_sel_hi:[1,0,0]
	;; [unrolled: 2-line block ×3, first 2 shown]
	v_pk_fma_f32 v[218:219], v[220:221], v[70:71], v[224:225] op_sel_hi:[1,1,0]
	v_pk_fma_f32 v[220:221], v[202:203], v[190:191], v[226:227] op_sel:[0,0,1] op_sel_hi:[1,1,0] neg_lo:[0,0,1] neg_hi:[0,0,1]
	v_pk_fma_f32 v[202:203], v[202:203], v[190:191], v[226:227] op_sel:[0,0,1] op_sel_hi:[1,0,0]
	v_dual_mov_b32 v231, v195 :: v_dual_mov_b32 v215, v197
	v_pk_fma_f32 v[194:195], v[204:205], v[190:191], v[228:229] op_sel:[0,0,1] op_sel_hi:[1,0,0]
	v_pk_fma_f32 v[196:197], v[204:205], v[190:191], v[228:229] op_sel:[0,0,1] op_sel_hi:[1,1,0] neg_lo:[0,0,1] neg_hi:[0,0,1]
	s_delay_alu instid0(VALU_DEP_4)
	v_mov_b32_e32 v221, v203
	v_pk_fma_f32 v[200:201], v[200:201], v[70:71], v[222:223] op_sel_hi:[1,1,0] neg_lo:[0,0,1] neg_hi:[0,0,1]
	v_dual_mov_b32 v217, v199 :: v_dual_mov_b32 v201, v219
	v_mov_b32_e32 v197, v195
	s_wait_dscnt 0x1
	v_pk_mul_f32 v[198:199], v[206:207], v[192:193] op_sel:[0,1]
	v_pk_add_f32 v[90:91], v[90:91], v[214:215] neg_lo:[0,1] neg_hi:[0,1]
	s_wait_dscnt 0x0
	v_pk_mul_f32 v[214:215], v[212:213], v[192:193] op_sel:[0,1]
	v_pk_add_f32 v[88:89], v[88:89], v[200:201] neg_lo:[0,1] neg_hi:[0,1]
	v_pk_add_f32 v[86:87], v[86:87], v[196:197] neg_lo:[0,1] neg_hi:[0,1]
	ds_load_2addr_b64 v[194:197], v250 offset0:22 offset1:23
	v_pk_fma_f32 v[202:203], v[206:207], v[190:191], v[198:199] op_sel:[0,0,1] op_sel_hi:[1,0,0]
	v_pk_fma_f32 v[204:205], v[206:207], v[190:191], v[198:199] op_sel:[0,0,1] op_sel_hi:[1,1,0] neg_lo:[0,0,1] neg_hi:[0,0,1]
	v_pk_mul_f32 v[206:207], v[208:209], v[192:193] op_sel:[0,1]
	ds_load_2addr_b64 v[198:201], v250 offset0:24 offset1:25
	v_mul_f32_e32 v202, v211, v190
	v_pk_add_f32 v[92:93], v[92:93], v[216:217] neg_lo:[0,1] neg_hi:[0,1]
	v_pk_add_f32 v[118:119], v[118:119], v[220:221] neg_lo:[0,1] neg_hi:[0,1]
	v_pk_fma_f32 v[216:217], v[208:209], v[190:191], v[206:207] op_sel:[0,0,1] op_sel_hi:[1,0,0]
	v_mul_f32_e32 v216, v211, v193
	v_mov_b32_e32 v205, v203
	v_pk_fma_f32 v[202:203], v[210:211], v[70:71], v[202:203] op_sel:[1,0,0] op_sel_hi:[0,1,0]
	v_pk_fma_f32 v[206:207], v[208:209], v[190:191], v[206:207] op_sel:[0,0,1] op_sel_hi:[1,1,0] neg_lo:[0,0,1] neg_hi:[0,0,1]
	v_pk_fma_f32 v[208:209], v[212:213], v[190:191], v[214:215] op_sel:[0,0,1] op_sel_hi:[1,0,0]
	v_mov_b32_e32 v207, v217
	v_pk_fma_f32 v[210:211], v[210:211], v[70:71], v[216:217] op_sel_hi:[1,1,0] neg_lo:[0,0,1] neg_hi:[0,0,1]
	v_mov_b32_e32 v211, v203
	v_pk_fma_f32 v[202:203], v[212:213], v[190:191], v[214:215] op_sel:[0,0,1] op_sel_hi:[1,1,0] neg_lo:[0,0,1] neg_hi:[0,0,1]
	v_mov_b32_e32 v203, v209
	v_pk_add_f32 v[114:115], v[114:115], v[206:207] neg_lo:[0,1] neg_hi:[0,1]
	s_wait_dscnt 0x1
	v_pk_mul_f32 v[206:207], v[194:195], v[192:193] op_sel:[0,1]
	v_pk_add_f32 v[116:117], v[116:117], v[204:205] neg_lo:[0,1] neg_hi:[0,1]
	v_pk_add_f32 v[146:147], v[146:147], v[210:211] neg_lo:[0,1] neg_hi:[0,1]
	;; [unrolled: 1-line block ×3, first 2 shown]
	ds_load_2addr_b64 v[202:205], v250 offset0:26 offset1:27
	s_wait_dscnt 0x1
	v_pk_mul_f32 v[212:213], v[198:199], v[192:193] op_sel:[0,1]
	v_pk_mul_f32 v[210:211], v[196:197], v[192:193] op_sel:[0,1]
	v_pk_fma_f32 v[214:215], v[194:195], v[190:191], v[206:207] op_sel:[0,0,1] op_sel_hi:[1,0,0]
	v_pk_fma_f32 v[194:195], v[194:195], v[190:191], v[206:207] op_sel:[0,0,1] op_sel_hi:[1,1,0] neg_lo:[0,0,1] neg_hi:[0,0,1]
	ds_load_2addr_b64 v[206:209], v250 offset0:28 offset1:29
	v_pk_fma_f32 v[218:219], v[198:199], v[190:191], v[212:213] op_sel:[0,0,1] op_sel_hi:[1,0,0]
	v_pk_fma_f32 v[216:217], v[196:197], v[190:191], v[210:211] op_sel:[0,0,1] op_sel_hi:[1,0,0]
	v_pk_fma_f32 v[198:199], v[198:199], v[190:191], v[212:213] op_sel:[0,0,1] op_sel_hi:[1,1,0] neg_lo:[0,0,1] neg_hi:[0,0,1]
	v_pk_fma_f32 v[196:197], v[196:197], v[190:191], v[210:211] op_sel:[0,0,1] op_sel_hi:[1,1,0] neg_lo:[0,0,1] neg_hi:[0,0,1]
	s_delay_alu instid0(VALU_DEP_4) | instskip(SKIP_2) | instid1(VALU_DEP_3)
	v_dual_mov_b32 v210, v201 :: v_dual_mov_b32 v199, v219
	v_dual_mov_b32 v211, v200 :: v_dual_mul_f32 v212, v201, v190
	v_dual_mov_b32 v195, v215 :: v_dual_mov_b32 v197, v217
	v_pk_add_f32 v[102:103], v[102:103], v[198:199] neg_lo:[0,1] neg_hi:[0,1]
	v_pk_add_f32 v[94:95], v[94:95], v[230:231] neg_lo:[0,1] neg_hi:[0,1]
	s_delay_alu instid0(VALU_DEP_4)
	v_pk_fma_f32 v[210:211], v[210:211], v[70:71], v[212:213] op_sel_hi:[1,1,0]
	v_mul_f32_e32 v198, v201, v193
	v_pk_add_f32 v[144:145], v[144:145], v[194:195] neg_lo:[0,1] neg_hi:[0,1]
	v_pk_add_f32 v[76:77], v[76:77], v[196:197] neg_lo:[0,1] neg_hi:[0,1]
	ds_load_2addr_b64 v[194:197], v250 offset0:30 offset1:31
	s_wait_dscnt 0x2
	v_pk_mul_f32 v[212:213], v[202:203], v[192:193] op_sel:[0,1]
	v_pk_mul_f32 v[214:215], v[204:205], v[192:193] op_sel:[0,1]
	v_pk_fma_f32 v[216:217], v[200:201], v[70:71], v[198:199] op_sel_hi:[1,1,0] neg_lo:[0,0,1] neg_hi:[0,0,1]
	v_mov_b32_e32 v217, v211
	s_wait_dscnt 0x1
	v_pk_mul_f32 v[210:211], v[206:207], v[192:193] op_sel:[0,1]
	ds_load_2addr_b64 v[198:201], v250 offset0:32 offset1:33
	v_pk_fma_f32 v[218:219], v[202:203], v[190:191], v[212:213] op_sel:[0,0,1] op_sel_hi:[1,0,0]
	v_pk_fma_f32 v[220:221], v[204:205], v[190:191], v[214:215] op_sel:[0,0,1] op_sel_hi:[1,0,0]
	v_pk_fma_f32 v[202:203], v[202:203], v[190:191], v[212:213] op_sel:[0,0,1] op_sel_hi:[1,1,0] neg_lo:[0,0,1] neg_hi:[0,0,1]
	v_pk_fma_f32 v[212:213], v[206:207], v[190:191], v[210:211] op_sel:[0,0,1] op_sel_hi:[1,0,0]
	v_pk_fma_f32 v[204:205], v[204:205], v[190:191], v[214:215] op_sel:[0,0,1] op_sel_hi:[1,1,0] neg_lo:[0,0,1] neg_hi:[0,0,1]
	s_delay_alu instid0(VALU_DEP_4) | instskip(SKIP_1) | instid1(VALU_DEP_4)
	v_dual_mov_b32 v203, v219 :: v_dual_mov_b32 v205, v221
	v_pk_fma_f32 v[206:207], v[206:207], v[190:191], v[210:211] op_sel:[0,0,1] op_sel_hi:[1,1,0] neg_lo:[0,0,1] neg_hi:[0,0,1]
	v_mov_b32_e32 v207, v213
	v_pk_mul_f32 v[210:211], v[208:209], v[192:193] op_sel:[0,1]
	s_delay_alu instid0(VALU_DEP_4)
	v_pk_add_f32 v[100:101], v[100:101], v[202:203] neg_lo:[0,1] neg_hi:[0,1]
	v_pk_add_f32 v[96:97], v[96:97], v[204:205] neg_lo:[0,1] neg_hi:[0,1]
	ds_load_2addr_b64 v[202:205], v250 offset0:34 offset1:35
	s_wait_dscnt 0x2
	v_mul_f32_e32 v212, v195, v190
	v_pk_add_f32 v[132:133], v[132:133], v[206:207] neg_lo:[0,1] neg_hi:[0,1]
	v_pk_fma_f32 v[206:207], v[208:209], v[190:191], v[210:211] op_sel:[0,0,1] op_sel_hi:[1,1,0] neg_lo:[0,0,1] neg_hi:[0,0,1]
	v_pk_fma_f32 v[208:209], v[208:209], v[190:191], v[210:211] op_sel:[0,0,1] op_sel_hi:[1,0,0]
	v_mul_f32_e32 v208, v195, v193
	v_pk_mul_f32 v[210:211], v[196:197], v[192:193] op_sel:[0,1]
	v_pk_add_f32 v[98:99], v[98:99], v[216:217] neg_lo:[0,1] neg_hi:[0,1]
	v_pk_fma_f32 v[212:213], v[194:195], v[70:71], v[212:213] op_sel:[1,0,0] op_sel_hi:[0,1,0]
	s_wait_dscnt 0x1
	v_pk_mul_f32 v[214:215], v[198:199], v[192:193] op_sel:[0,1]
	v_mov_b32_e32 v207, v209
	v_pk_fma_f32 v[216:217], v[196:197], v[190:191], v[210:211] op_sel:[0,0,1] op_sel_hi:[1,0,0]
	v_pk_fma_f32 v[208:209], v[194:195], v[70:71], v[208:209] op_sel_hi:[1,1,0] neg_lo:[0,0,1] neg_hi:[0,0,1]
	v_pk_fma_f32 v[210:211], v[196:197], v[190:191], v[210:211] op_sel:[0,0,1] op_sel_hi:[1,1,0] neg_lo:[0,0,1] neg_hi:[0,0,1]
	ds_load_2addr_b64 v[194:197], v250 offset0:36 offset1:37
	v_dual_mov_b32 v209, v213 :: v_dual_mov_b32 v211, v217
	v_pk_fma_f32 v[212:213], v[198:199], v[190:191], v[214:215] op_sel:[0,0,1] op_sel_hi:[1,0,0]
	v_pk_fma_f32 v[198:199], v[198:199], v[190:191], v[214:215] op_sel:[0,0,1] op_sel_hi:[1,1,0] neg_lo:[0,0,1] neg_hi:[0,0,1]
	v_pk_add_f32 v[128:129], v[128:129], v[206:207] neg_lo:[0,1] neg_hi:[0,1]
	s_delay_alu instid0(VALU_DEP_4)
	v_pk_add_f32 v[130:131], v[130:131], v[208:209] neg_lo:[0,1] neg_hi:[0,1]
	v_pk_add_f32 v[126:127], v[126:127], v[210:211] neg_lo:[0,1] neg_hi:[0,1]
	v_mov_b32_e32 v199, v213
	v_pk_mul_f32 v[212:213], v[200:201], v[192:193] op_sel:[0,1]
	s_wait_dscnt 0x1
	v_pk_mul_f32 v[210:211], v[202:203], v[192:193] op_sel:[0,1]
	ds_load_b64 v[214:215], v250 offset:320
	v_pk_fma_f32 v[208:209], v[200:201], v[190:191], v[212:213] op_sel:[0,0,1] op_sel_hi:[1,0,0]
	v_pk_fma_f32 v[206:207], v[200:201], v[190:191], v[212:213] op_sel:[0,0,1] op_sel_hi:[1,1,0] neg_lo:[0,0,1] neg_hi:[0,0,1]
	v_mov_b32_e32 v212, v205
	v_pk_add_f32 v[160:161], v[160:161], v[198:199] neg_lo:[0,1] neg_hi:[0,1]
	ds_load_2addr_b64 v[198:201], v250 offset0:38 offset1:39
	v_pk_fma_f32 v[216:217], v[202:203], v[190:191], v[210:211] op_sel:[0,0,1] op_sel_hi:[1,0,0]
	v_mov_b32_e32 v207, v209
	v_pk_fma_f32 v[202:203], v[202:203], v[190:191], v[210:211] op_sel:[0,0,1] op_sel_hi:[1,1,0] neg_lo:[0,0,1] neg_hi:[0,0,1]
	s_wait_dscnt 0x2
	v_pk_mul_f32 v[210:211], v[194:195], v[192:193] op_sel:[0,1]
	v_dual_mov_b32 v213, v204 :: v_dual_mul_f32 v208, v205, v190
	v_mov_b32_e32 v203, v217
	v_pk_add_f32 v[152:153], v[152:153], v[206:207] neg_lo:[0,1] neg_hi:[0,1]
	s_delay_alu instid0(VALU_DEP_4)
	v_pk_fma_f32 v[206:207], v[194:195], v[190:191], v[210:211] op_sel:[0,0,1] op_sel_hi:[1,0,0]
	v_mul_f32_e32 v216, v205, v193
	v_pk_fma_f32 v[208:209], v[212:213], v[70:71], v[208:209] op_sel_hi:[1,1,0]
	v_pk_add_f32 v[158:159], v[158:159], v[202:203] neg_lo:[0,1] neg_hi:[0,1]
	v_pk_mul_f32 v[202:203], v[196:197], v[192:193] op_sel:[0,1]
	v_pk_fma_f32 v[194:195], v[194:195], v[190:191], v[210:211] op_sel:[0,0,1] op_sel_hi:[1,1,0] neg_lo:[0,0,1] neg_hi:[0,0,1]
	v_mov_b32_e32 v195, v207
	v_pk_fma_f32 v[204:205], v[204:205], v[70:71], v[216:217] op_sel_hi:[1,1,0] neg_lo:[0,0,1] neg_hi:[0,0,1]
	s_delay_alu instid0(VALU_DEP_4)
	v_pk_fma_f32 v[206:207], v[196:197], v[190:191], v[202:203] op_sel:[0,0,1] op_sel_hi:[1,0,0]
	v_mov_b32_e32 v205, v209
	v_pk_fma_f32 v[196:197], v[196:197], v[190:191], v[202:203] op_sel:[0,0,1] op_sel_hi:[1,1,0] neg_lo:[0,0,1] neg_hi:[0,0,1]
	s_wait_dscnt 0x0
	v_pk_mul_f32 v[208:209], v[200:201], v[192:193] op_sel:[0,1]
	v_pk_add_f32 v[156:157], v[156:157], v[194:195] neg_lo:[0,1] neg_hi:[0,1]
	v_mov_b32_e32 v197, v207
	v_pk_add_f32 v[150:151], v[150:151], v[204:205] neg_lo:[0,1] neg_hi:[0,1]
	v_pk_mul_f32 v[204:205], v[198:199], v[192:193] op_sel:[0,1]
	v_pk_mul_f32 v[192:193], v[214:215], v[192:193] op_sel:[0,1]
	v_pk_fma_f32 v[206:207], v[200:201], v[190:191], v[208:209] op_sel:[0,0,1] op_sel_hi:[1,0,0]
	v_pk_fma_f32 v[200:201], v[200:201], v[190:191], v[208:209] op_sel:[0,0,1] op_sel_hi:[1,1,0] neg_lo:[0,0,1] neg_hi:[0,0,1]
	v_pk_add_f32 v[148:149], v[148:149], v[196:197] neg_lo:[0,1] neg_hi:[0,1]
	v_pk_fma_f32 v[202:203], v[198:199], v[190:191], v[204:205] op_sel:[0,0,1] op_sel_hi:[1,0,0]
	v_pk_fma_f32 v[198:199], v[198:199], v[190:191], v[204:205] op_sel:[0,0,1] op_sel_hi:[1,1,0] neg_lo:[0,0,1] neg_hi:[0,0,1]
	v_pk_fma_f32 v[204:205], v[214:215], v[190:191], v[192:193] op_sel:[0,0,1] op_sel_hi:[1,0,0]
	v_pk_fma_f32 v[190:191], v[214:215], v[190:191], v[192:193] op_sel:[0,0,1] op_sel_hi:[1,1,0] neg_lo:[0,0,1] neg_hi:[0,0,1]
	s_delay_alu instid0(VALU_DEP_4) | instskip(NEXT) | instid1(VALU_DEP_3)
	v_dual_mov_b32 v201, v207 :: v_dual_mov_b32 v199, v203
	v_mov_b32_e32 v191, v205
	s_delay_alu instid0(VALU_DEP_2) | instskip(NEXT) | instid1(VALU_DEP_3)
	v_pk_add_f32 v[162:163], v[162:163], v[200:201] neg_lo:[0,1] neg_hi:[0,1]
	v_pk_add_f32 v[154:155], v[154:155], v[198:199] neg_lo:[0,1] neg_hi:[0,1]
	s_delay_alu instid0(VALU_DEP_3)
	v_pk_add_f32 v[164:165], v[164:165], v[190:191] neg_lo:[0,1] neg_hi:[0,1]
.LBB81_109:
	s_or_b32 exec_lo, exec_lo, s1
	s_delay_alu instid0(SALU_CYCLE_1)
	s_mov_b32 s2, exec_lo
	s_wait_dscnt 0x0
	s_barrier_signal -1
	s_barrier_wait -1
	v_cmpx_eq_u32_e32 12, v248
	s_cbranch_execz .LBB81_116
; %bb.110:
	ds_store_b64 v249, v[94:95]
	ds_store_2addr_b64 v250, v[90:91], v[92:93] offset0:13 offset1:14
	ds_store_2addr_b64 v250, v[88:89], v[118:119] offset0:15 offset1:16
	;; [unrolled: 1-line block ×14, first 2 shown]
	ds_load_b64 v[190:191], v249
	s_wait_dscnt 0x0
	v_cmp_neq_f32_e32 vcc_lo, 0, v190
	v_cmp_neq_f32_e64 s1, 0, v191
	s_or_b32 s1, vcc_lo, s1
	s_delay_alu instid0(SALU_CYCLE_1)
	s_and_b32 exec_lo, exec_lo, s1
	s_cbranch_execz .LBB81_116
; %bb.111:
	v_cmp_ngt_f32_e64 s1, |v190|, |v191|
                                        ; implicit-def: $vgpr192_vgpr193
	s_and_saveexec_b32 s4, s1
	s_delay_alu instid0(SALU_CYCLE_1)
	s_xor_b32 s1, exec_lo, s4
	s_cbranch_execz .LBB81_113
; %bb.112:
	v_div_scale_f32 v0, null, v191, v191, v190
	v_div_scale_f32 v5, vcc_lo, v190, v191, v190
	s_delay_alu instid0(VALU_DEP_2) | instskip(SKIP_1) | instid1(TRANS32_DEP_1)
	v_rcp_f32_e32 v1, v0
	v_nop
	v_fma_f32 v4, -v0, v1, 1.0
	s_delay_alu instid0(VALU_DEP_1) | instskip(NEXT) | instid1(VALU_DEP_1)
	v_fmac_f32_e32 v1, v4, v1
	v_mul_f32_e32 v4, v5, v1
	s_delay_alu instid0(VALU_DEP_1) | instskip(NEXT) | instid1(VALU_DEP_1)
	v_fma_f32 v192, -v0, v4, v5
	v_fmac_f32_e32 v4, v192, v1
	s_delay_alu instid0(VALU_DEP_1) | instskip(NEXT) | instid1(VALU_DEP_1)
	v_fma_f32 v0, -v0, v4, v5
	v_div_fmas_f32 v0, v0, v1, v4
	s_delay_alu instid0(VALU_DEP_1) | instskip(NEXT) | instid1(VALU_DEP_1)
	v_div_fixup_f32 v0, v0, v191, v190
	v_fmac_f32_e32 v191, v190, v0
	s_delay_alu instid0(VALU_DEP_1) | instskip(SKIP_1) | instid1(VALU_DEP_2)
	v_div_scale_f32 v1, null, v191, v191, 1.0
	v_div_scale_f32 v190, vcc_lo, 1.0, v191, 1.0
	v_rcp_f32_e32 v4, v1
	v_nop
	s_delay_alu instid0(TRANS32_DEP_1) | instskip(NEXT) | instid1(VALU_DEP_1)
	v_fma_f32 v5, -v1, v4, 1.0
	v_fmac_f32_e32 v4, v5, v4
	s_delay_alu instid0(VALU_DEP_1) | instskip(NEXT) | instid1(VALU_DEP_1)
	v_mul_f32_e32 v5, v190, v4
	v_fma_f32 v192, -v1, v5, v190
	s_delay_alu instid0(VALU_DEP_1) | instskip(NEXT) | instid1(VALU_DEP_1)
	v_fmac_f32_e32 v5, v192, v4
	v_fma_f32 v1, -v1, v5, v190
	s_delay_alu instid0(VALU_DEP_1) | instskip(NEXT) | instid1(VALU_DEP_1)
	v_div_fmas_f32 v1, v1, v4, v5
	v_div_fixup_f32 v1, v1, v191, 1.0
                                        ; implicit-def: $vgpr190_vgpr191
	s_delay_alu instid0(VALU_DEP_1)
	v_mul_f32_e32 v192, v0, v1
	v_xor_b32_e32 v193, 0x80000000, v1
.LBB81_113:
	s_and_not1_saveexec_b32 s1, s1
	s_cbranch_execz .LBB81_115
; %bb.114:
	v_div_scale_f32 v0, null, v190, v190, v191
	v_div_scale_f32 v5, vcc_lo, v191, v190, v191
	s_delay_alu instid0(VALU_DEP_2) | instskip(SKIP_1) | instid1(TRANS32_DEP_1)
	v_rcp_f32_e32 v1, v0
	v_nop
	v_fma_f32 v4, -v0, v1, 1.0
	s_delay_alu instid0(VALU_DEP_1) | instskip(NEXT) | instid1(VALU_DEP_1)
	v_fmac_f32_e32 v1, v4, v1
	v_mul_f32_e32 v4, v5, v1
	s_delay_alu instid0(VALU_DEP_1) | instskip(NEXT) | instid1(VALU_DEP_1)
	v_fma_f32 v192, -v0, v4, v5
	v_fmac_f32_e32 v4, v192, v1
	s_delay_alu instid0(VALU_DEP_1) | instskip(NEXT) | instid1(VALU_DEP_1)
	v_fma_f32 v0, -v0, v4, v5
	v_div_fmas_f32 v0, v0, v1, v4
	s_delay_alu instid0(VALU_DEP_1) | instskip(NEXT) | instid1(VALU_DEP_1)
	v_div_fixup_f32 v0, v0, v190, v191
	v_fmac_f32_e32 v190, v191, v0
	s_delay_alu instid0(VALU_DEP_1) | instskip(NEXT) | instid1(VALU_DEP_1)
	v_div_scale_f32 v1, null, v190, v190, 1.0
	v_rcp_f32_e32 v4, v1
	v_nop
	s_delay_alu instid0(TRANS32_DEP_1) | instskip(NEXT) | instid1(VALU_DEP_1)
	v_fma_f32 v5, -v1, v4, 1.0
	v_fmac_f32_e32 v4, v5, v4
	v_div_scale_f32 v5, vcc_lo, 1.0, v190, 1.0
	s_delay_alu instid0(VALU_DEP_1) | instskip(NEXT) | instid1(VALU_DEP_1)
	v_mul_f32_e32 v191, v5, v4
	v_fma_f32 v192, -v1, v191, v5
	s_delay_alu instid0(VALU_DEP_1) | instskip(NEXT) | instid1(VALU_DEP_1)
	v_fmac_f32_e32 v191, v192, v4
	v_fma_f32 v1, -v1, v191, v5
	s_delay_alu instid0(VALU_DEP_1) | instskip(NEXT) | instid1(VALU_DEP_1)
	v_div_fmas_f32 v1, v1, v4, v191
	v_div_fixup_f32 v192, v1, v190, 1.0
	s_delay_alu instid0(VALU_DEP_1)
	v_mul_f32_e64 v193, v0, -v192
.LBB81_115:
	s_or_b32 exec_lo, exec_lo, s1
	ds_store_b64 v249, v[192:193]
.LBB81_116:
	s_or_b32 exec_lo, exec_lo, s2
	s_wait_dscnt 0x0
	s_barrier_signal -1
	s_barrier_wait -1
	ds_load_b64 v[190:191], v249
	s_mov_b32 s1, exec_lo
	v_cmpx_lt_u32_e32 12, v248
	s_cbranch_execz .LBB81_118
; %bb.117:
	ds_load_2addr_b64 v[196:199], v250 offset0:13 offset1:14
	ds_load_2addr_b64 v[200:203], v250 offset0:15 offset1:16
	;; [unrolled: 1-line block ×3, first 2 shown]
	s_wait_dscnt 0x3
	v_pk_mul_f32 v[194:195], v[190:191], v[94:95] op_sel:[1,1] op_sel_hi:[0,1]
	ds_load_2addr_b64 v[208:211], v250 offset0:19 offset1:20
	ds_load_2addr_b64 v[212:215], v250 offset0:21 offset1:22
	v_pk_fma_f32 v[192:193], v[190:191], v[94:95], v[194:195] op_sel_hi:[1,0,1] neg_lo:[0,0,1] neg_hi:[0,0,1]
	v_pk_fma_f32 v[194:195], v[190:191], v[94:95], v[194:195] op_sel_hi:[1,0,1]
	s_delay_alu instid0(VALU_DEP_1) | instskip(SKIP_1) | instid1(VALU_DEP_2)
	v_dual_mov_b32 v94, v192 :: v_dual_mov_b32 v95, v195
	s_wait_dscnt 0x4
	v_pk_mul_f32 v[216:217], v[196:197], v[194:195] op_sel:[0,1]
	v_pk_mul_f32 v[218:219], v[198:199], v[194:195] op_sel:[0,1]
	s_wait_dscnt 0x3
	v_pk_mul_f32 v[220:221], v[200:201], v[194:195] op_sel:[0,1]
	v_dual_mov_b32 v222, v203 :: v_dual_mov_b32 v223, v202
	v_dual_mul_f32 v224, v203, v195 :: v_dual_mul_f32 v226, v203, v192
	s_wait_dscnt 0x2
	v_pk_mul_f32 v[228:229], v[204:205], v[194:195] op_sel:[0,1]
	v_pk_mul_f32 v[230:231], v[206:207], v[194:195] op_sel:[0,1]
	v_pk_fma_f32 v[232:233], v[196:197], v[192:193], v[216:217] op_sel:[0,0,1] op_sel_hi:[1,1,0] neg_lo:[0,0,1] neg_hi:[0,0,1]
	v_pk_fma_f32 v[196:197], v[196:197], v[192:193], v[216:217] op_sel:[0,0,1] op_sel_hi:[1,0,0]
	v_pk_fma_f32 v[216:217], v[198:199], v[192:193], v[218:219] op_sel:[0,0,1] op_sel_hi:[1,1,0] neg_lo:[0,0,1] neg_hi:[0,0,1]
	v_pk_fma_f32 v[198:199], v[198:199], v[192:193], v[218:219] op_sel:[0,0,1] op_sel_hi:[1,0,0]
	;; [unrolled: 2-line block ×3, first 2 shown]
	v_pk_fma_f32 v[220:221], v[222:223], v[94:95], v[226:227] op_sel_hi:[1,1,0]
	v_pk_fma_f32 v[202:203], v[202:203], v[94:95], v[224:225] op_sel_hi:[1,1,0] neg_lo:[0,0,1] neg_hi:[0,0,1]
	v_dual_mov_b32 v233, v197 :: v_dual_mov_b32 v217, v199
	s_delay_alu instid0(VALU_DEP_3)
	v_dual_mov_b32 v219, v201 :: v_dual_mov_b32 v203, v221
	v_pk_fma_f32 v[196:197], v[204:205], v[192:193], v[228:229] op_sel:[0,0,1] op_sel_hi:[1,0,0]
	v_pk_fma_f32 v[200:201], v[206:207], v[192:193], v[230:231] op_sel:[0,0,1] op_sel_hi:[1,0,0]
	v_pk_fma_f32 v[222:223], v[204:205], v[192:193], v[228:229] op_sel:[0,0,1] op_sel_hi:[1,1,0] neg_lo:[0,0,1] neg_hi:[0,0,1]
	v_pk_fma_f32 v[204:205], v[206:207], v[192:193], v[230:231] op_sel:[0,0,1] op_sel_hi:[1,1,0] neg_lo:[0,0,1] neg_hi:[0,0,1]
	s_wait_dscnt 0x1
	v_pk_mul_f32 v[206:207], v[208:209], v[194:195] op_sel:[0,1]
	v_dual_mov_b32 v223, v197 :: v_dual_mov_b32 v205, v201
	ds_load_2addr_b64 v[196:199], v250 offset0:23 offset1:24
	v_pk_add_f32 v[118:119], v[118:119], v[202:203] neg_lo:[0,1] neg_hi:[0,1]
	v_pk_mul_f32 v[202:203], v[210:211], v[194:195] op_sel:[0,1]
	v_pk_fma_f32 v[200:201], v[208:209], v[192:193], v[206:207] op_sel:[0,0,1] op_sel_hi:[1,0,0]
	s_wait_dscnt 0x1
	v_mul_f32_e32 v200, v213, v192
	v_pk_add_f32 v[116:117], v[116:117], v[204:205] neg_lo:[0,1] neg_hi:[0,1]
	v_pk_fma_f32 v[204:205], v[208:209], v[192:193], v[206:207] op_sel:[0,0,1] op_sel_hi:[1,1,0] neg_lo:[0,0,1] neg_hi:[0,0,1]
	v_pk_fma_f32 v[206:207], v[210:211], v[192:193], v[202:203] op_sel:[0,0,1] op_sel_hi:[1,0,0]
	v_mul_f32_e32 v206, v213, v195
	v_pk_fma_f32 v[208:209], v[212:213], v[94:95], v[200:201] op_sel:[1,0,0] op_sel_hi:[0,1,0]
	v_pk_fma_f32 v[210:211], v[210:211], v[192:193], v[202:203] op_sel:[0,0,1] op_sel_hi:[1,1,0] neg_lo:[0,0,1] neg_hi:[0,0,1]
	s_delay_alu instid0(VALU_DEP_4) | instskip(NEXT) | instid1(VALU_DEP_4)
	v_dual_mov_b32 v205, v201 :: v_dual_mov_b32 v211, v207
	v_pk_fma_f32 v[206:207], v[212:213], v[94:95], v[206:207] op_sel_hi:[1,1,0] neg_lo:[0,0,1] neg_hi:[0,0,1]
	ds_load_2addr_b64 v[200:203], v250 offset0:25 offset1:26
	v_mov_b32_e32 v207, v209
	v_pk_mul_f32 v[208:209], v[214:215], v[194:195] op_sel:[0,1]
	v_pk_add_f32 v[92:93], v[92:93], v[216:217] neg_lo:[0,1] neg_hi:[0,1]
	v_pk_add_f32 v[114:115], v[114:115], v[204:205] neg_lo:[0,1] neg_hi:[0,1]
	;; [unrolled: 1-line block ×3, first 2 shown]
	s_wait_dscnt 0x1
	v_pk_mul_f32 v[212:213], v[196:197], v[194:195] op_sel:[0,1]
	v_pk_fma_f32 v[216:217], v[214:215], v[192:193], v[208:209] op_sel:[0,0,1] op_sel_hi:[1,0,0]
	v_pk_fma_f32 v[208:209], v[214:215], v[192:193], v[208:209] op_sel:[0,0,1] op_sel_hi:[1,1,0] neg_lo:[0,0,1] neg_hi:[0,0,1]
	v_pk_add_f32 v[146:147], v[146:147], v[210:211] neg_lo:[0,1] neg_hi:[0,1]
	v_pk_mul_f32 v[210:211], v[198:199], v[194:195] op_sel:[0,1]
	v_pk_fma_f32 v[218:219], v[196:197], v[192:193], v[212:213] op_sel:[0,0,1] op_sel_hi:[1,0,0]
	v_mov_b32_e32 v209, v217
	v_pk_add_f32 v[112:113], v[112:113], v[206:207] neg_lo:[0,1] neg_hi:[0,1]
	ds_load_2addr_b64 v[204:207], v250 offset0:27 offset1:28
	v_pk_fma_f32 v[196:197], v[196:197], v[192:193], v[212:213] op_sel:[0,0,1] op_sel_hi:[1,1,0] neg_lo:[0,0,1] neg_hi:[0,0,1]
	v_pk_fma_f32 v[214:215], v[198:199], v[192:193], v[210:211] op_sel:[0,0,1] op_sel_hi:[1,0,0]
	v_mov_b32_e32 v197, v219
	v_pk_fma_f32 v[210:211], v[198:199], v[192:193], v[210:211] op_sel:[0,0,1] op_sel_hi:[1,1,0] neg_lo:[0,0,1] neg_hi:[0,0,1]
	v_pk_add_f32 v[144:145], v[144:145], v[208:209] neg_lo:[0,1] neg_hi:[0,1]
	s_wait_dscnt 0x1
	v_pk_mul_f32 v[212:213], v[200:201], v[194:195] op_sel:[0,1]
	v_mov_b32_e32 v211, v215
	v_pk_add_f32 v[76:77], v[76:77], v[196:197] neg_lo:[0,1] neg_hi:[0,1]
	ds_load_2addr_b64 v[196:199], v250 offset0:29 offset1:30
	v_pk_add_f32 v[90:91], v[90:91], v[232:233] neg_lo:[0,1] neg_hi:[0,1]
	v_pk_fma_f32 v[208:209], v[200:201], v[192:193], v[212:213] op_sel:[0,0,1] op_sel_hi:[1,0,0]
	v_pk_fma_f32 v[200:201], v[200:201], v[192:193], v[212:213] op_sel:[0,0,1] op_sel_hi:[1,1,0] neg_lo:[0,0,1] neg_hi:[0,0,1]
	v_dual_mov_b32 v212, v203 :: v_dual_mov_b32 v213, v202
	s_delay_alu instid0(VALU_DEP_3)
	v_dual_mul_f32 v214, v203, v192 :: v_dual_mov_b32 v201, v209
	v_pk_add_f32 v[102:103], v[102:103], v[210:211] neg_lo:[0,1] neg_hi:[0,1]
	ds_load_2addr_b64 v[208:211], v250 offset0:31 offset1:32
	v_pk_add_f32 v[86:87], v[86:87], v[222:223] neg_lo:[0,1] neg_hi:[0,1]
	s_wait_dscnt 0x2
	v_pk_mul_f32 v[218:219], v[204:205], v[194:195] op_sel:[0,1]
	v_pk_fma_f32 v[212:213], v[212:213], v[94:95], v[214:215] op_sel_hi:[1,1,0]
	v_mul_f32_e32 v216, v203, v195
	v_pk_add_f32 v[98:99], v[98:99], v[200:201] neg_lo:[0,1] neg_hi:[0,1]
	v_pk_mul_f32 v[214:215], v[206:207], v[194:195] op_sel:[0,1]
	v_pk_fma_f32 v[200:201], v[204:205], v[192:193], v[218:219] op_sel:[0,0,1] op_sel_hi:[1,0,0]
	v_pk_fma_f32 v[204:205], v[204:205], v[192:193], v[218:219] op_sel:[0,0,1] op_sel_hi:[1,1,0] neg_lo:[0,0,1] neg_hi:[0,0,1]
	v_pk_fma_f32 v[216:217], v[202:203], v[94:95], v[216:217] op_sel_hi:[1,1,0] neg_lo:[0,0,1] neg_hi:[0,0,1]
	v_mov_b32_e32 v217, v213
	v_pk_fma_f32 v[212:213], v[206:207], v[192:193], v[214:215] op_sel:[0,0,1] op_sel_hi:[1,0,0]
	v_mov_b32_e32 v205, v201
	ds_load_2addr_b64 v[200:203], v250 offset0:33 offset1:34
	s_wait_dscnt 0x2
	v_pk_mul_f32 v[218:219], v[196:197], v[194:195] op_sel:[0,1]
	v_pk_fma_f32 v[206:207], v[206:207], v[192:193], v[214:215] op_sel:[0,0,1] op_sel_hi:[1,1,0] neg_lo:[0,0,1] neg_hi:[0,0,1]
	v_mov_b32_e32 v207, v213
	v_pk_add_f32 v[96:97], v[96:97], v[204:205] neg_lo:[0,1] neg_hi:[0,1]
	v_pk_mul_f32 v[212:213], v[198:199], v[194:195] op_sel:[0,1]
	v_pk_fma_f32 v[204:205], v[196:197], v[192:193], v[218:219] op_sel:[0,0,1] op_sel_hi:[1,0,0]
	s_wait_dscnt 0x1
	v_mul_f32_e32 v214, v209, v192
	v_pk_fma_f32 v[196:197], v[196:197], v[192:193], v[218:219] op_sel:[0,0,1] op_sel_hi:[1,1,0] neg_lo:[0,0,1] neg_hi:[0,0,1]
	v_pk_add_f32 v[100:101], v[100:101], v[216:217] neg_lo:[0,1] neg_hi:[0,1]
	v_pk_add_f32 v[132:133], v[132:133], v[206:207] neg_lo:[0,1] neg_hi:[0,1]
	v_pk_fma_f32 v[216:217], v[198:199], v[192:193], v[212:213] op_sel:[0,0,1] op_sel_hi:[1,0,0]
	v_mov_b32_e32 v197, v205
	ds_load_2addr_b64 v[204:207], v250 offset0:35 offset1:36
	v_mul_f32_e32 v216, v209, v195
	v_pk_fma_f32 v[214:215], v[208:209], v[94:95], v[214:215] op_sel:[1,0,0] op_sel_hi:[0,1,0]
	v_pk_fma_f32 v[198:199], v[198:199], v[192:193], v[212:213] op_sel:[0,0,1] op_sel_hi:[1,1,0] neg_lo:[0,0,1] neg_hi:[0,0,1]
	v_pk_mul_f32 v[212:213], v[210:211], v[194:195] op_sel:[0,1]
	v_mov_b32_e32 v199, v217
	v_pk_fma_f32 v[208:209], v[208:209], v[94:95], v[216:217] op_sel_hi:[1,1,0] neg_lo:[0,0,1] neg_hi:[0,0,1]
	v_pk_add_f32 v[128:129], v[128:129], v[196:197] neg_lo:[0,1] neg_hi:[0,1]
	s_delay_alu instid0(VALU_DEP_4)
	v_pk_fma_f32 v[196:197], v[210:211], v[192:193], v[212:213] op_sel:[0,0,1] op_sel_hi:[1,0,0]
	v_mov_b32_e32 v209, v215
	s_wait_dscnt 0x1
	v_pk_mul_f32 v[214:215], v[200:201], v[194:195] op_sel:[0,1]
	v_pk_fma_f32 v[210:211], v[210:211], v[192:193], v[212:213] op_sel:[0,0,1] op_sel_hi:[1,1,0] neg_lo:[0,0,1] neg_hi:[0,0,1]
	v_pk_add_f32 v[130:131], v[130:131], v[198:199] neg_lo:[0,1] neg_hi:[0,1]
	v_mov_b32_e32 v211, v197
	v_pk_add_f32 v[126:127], v[126:127], v[208:209] neg_lo:[0,1] neg_hi:[0,1]
	v_pk_fma_f32 v[208:209], v[200:201], v[192:193], v[214:215] op_sel:[0,0,1] op_sel_hi:[1,0,0]
	ds_load_2addr_b64 v[196:199], v250 offset0:37 offset1:38
	v_pk_fma_f32 v[200:201], v[200:201], v[192:193], v[214:215] op_sel:[0,0,1] op_sel_hi:[1,1,0] neg_lo:[0,0,1] neg_hi:[0,0,1]
	v_pk_mul_f32 v[212:213], v[202:203], v[194:195] op_sel:[0,1]
	v_pk_add_f32 v[160:161], v[160:161], v[210:211] neg_lo:[0,1] neg_hi:[0,1]
	s_wait_dscnt 0x1
	v_dual_mov_b32 v201, v209 :: v_dual_mov_b32 v216, v207
	ds_load_2addr_b64 v[208:211], v250 offset0:39 offset1:40
	v_pk_mul_f32 v[214:215], v[204:205], v[194:195] op_sel:[0,1]
	v_mov_b32_e32 v217, v206
	v_pk_add_f32 v[152:153], v[152:153], v[200:201] neg_lo:[0,1] neg_hi:[0,1]
	v_pk_fma_f32 v[200:201], v[202:203], v[192:193], v[212:213] op_sel:[0,0,1] op_sel_hi:[1,1,0] neg_lo:[0,0,1] neg_hi:[0,0,1]
	v_pk_fma_f32 v[202:203], v[202:203], v[192:193], v[212:213] op_sel:[0,0,1] op_sel_hi:[1,0,0]
	v_pk_fma_f32 v[212:213], v[204:205], v[192:193], v[214:215] op_sel:[0,0,1] op_sel_hi:[1,0,0]
	v_mul_f32_e32 v202, v207, v192
	v_pk_fma_f32 v[204:205], v[204:205], v[192:193], v[214:215] op_sel:[0,0,1] op_sel_hi:[1,1,0] neg_lo:[0,0,1] neg_hi:[0,0,1]
	v_mul_f32_e32 v212, v207, v195
	s_delay_alu instid0(VALU_DEP_4) | instskip(NEXT) | instid1(VALU_DEP_4)
	v_dual_mov_b32 v201, v203 :: v_dual_mov_b32 v205, v213
	v_pk_fma_f32 v[202:203], v[216:217], v[94:95], v[202:203] op_sel_hi:[1,1,0]
	s_delay_alu instid0(VALU_DEP_2)
	v_pk_add_f32 v[158:159], v[158:159], v[200:201] neg_lo:[0,1] neg_hi:[0,1]
	s_wait_dscnt 0x1
	v_pk_mul_f32 v[200:201], v[196:197], v[194:195] op_sel:[0,1]
	v_pk_add_f32 v[150:151], v[150:151], v[204:205] neg_lo:[0,1] neg_hi:[0,1]
	v_pk_fma_f32 v[204:205], v[206:207], v[94:95], v[212:213] op_sel_hi:[1,1,0] neg_lo:[0,0,1] neg_hi:[0,0,1]
	v_mov_b32_e32 v205, v203
	v_pk_mul_f32 v[202:203], v[198:199], v[194:195] op_sel:[0,1]
	v_pk_fma_f32 v[206:207], v[196:197], v[192:193], v[200:201] op_sel:[0,0,1] op_sel_hi:[1,0,0]
	s_wait_dscnt 0x0
	v_pk_mul_f32 v[212:213], v[208:209], v[194:195] op_sel:[0,1]
	v_pk_mul_f32 v[194:195], v[210:211], v[194:195] op_sel:[0,1]
	v_pk_fma_f32 v[196:197], v[196:197], v[192:193], v[200:201] op_sel:[0,0,1] op_sel_hi:[1,1,0] neg_lo:[0,0,1] neg_hi:[0,0,1]
	v_pk_fma_f32 v[200:201], v[198:199], v[192:193], v[202:203] op_sel:[0,0,1] op_sel_hi:[1,0,0]
	v_mov_b32_e32 v197, v207
	v_pk_fma_f32 v[206:207], v[208:209], v[192:193], v[212:213] op_sel:[0,0,1] op_sel_hi:[1,0,0]
	v_pk_fma_f32 v[198:199], v[198:199], v[192:193], v[202:203] op_sel:[0,0,1] op_sel_hi:[1,1,0] neg_lo:[0,0,1] neg_hi:[0,0,1]
	v_pk_fma_f32 v[202:203], v[210:211], v[192:193], v[194:195] op_sel:[0,0,1] op_sel_hi:[1,0,0]
	v_mov_b32_e32 v199, v201
	v_pk_fma_f32 v[200:201], v[208:209], v[192:193], v[212:213] op_sel:[0,0,1] op_sel_hi:[1,1,0] neg_lo:[0,0,1] neg_hi:[0,0,1]
	v_pk_fma_f32 v[192:193], v[210:211], v[192:193], v[194:195] op_sel:[0,0,1] op_sel_hi:[1,1,0] neg_lo:[0,0,1] neg_hi:[0,0,1]
	s_delay_alu instid0(VALU_DEP_4) | instskip(SKIP_3) | instid1(VALU_DEP_4)
	v_dual_mov_b32 v201, v207 :: v_dual_mov_b32 v193, v203
	v_pk_add_f32 v[156:157], v[156:157], v[204:205] neg_lo:[0,1] neg_hi:[0,1]
	v_pk_add_f32 v[148:149], v[148:149], v[196:197] neg_lo:[0,1] neg_hi:[0,1]
	;; [unrolled: 1-line block ×5, first 2 shown]
.LBB81_118:
	s_or_b32 exec_lo, exec_lo, s1
	s_delay_alu instid0(SALU_CYCLE_1)
	s_mov_b32 s2, exec_lo
	s_wait_dscnt 0x0
	s_barrier_signal -1
	s_barrier_wait -1
	v_cmpx_eq_u32_e32 13, v248
	s_cbranch_execz .LBB81_125
; %bb.119:
	v_dual_mov_b32 v192, v92 :: v_dual_mov_b32 v193, v93
	v_dual_mov_b32 v194, v88 :: v_dual_mov_b32 v195, v89
	;; [unrolled: 1-line block ×4, first 2 shown]
	ds_store_b64 v249, v[90:91]
	ds_store_2addr_b64 v250, v[192:193], v[194:195] offset0:14 offset1:15
	ds_store_2addr_b64 v250, v[196:197], v[198:199] offset0:16 offset1:17
	v_dual_mov_b32 v192, v116 :: v_dual_mov_b32 v193, v117
	v_dual_mov_b32 v194, v114 :: v_dual_mov_b32 v195, v115
	;; [unrolled: 1-line block ×12, first 2 shown]
	ds_store_2addr_b64 v250, v[192:193], v[194:195] offset0:18 offset1:19
	ds_store_2addr_b64 v250, v[196:197], v[198:199] offset0:20 offset1:21
	;; [unrolled: 1-line block ×6, first 2 shown]
	v_dual_mov_b32 v192, v130 :: v_dual_mov_b32 v193, v131
	v_dual_mov_b32 v194, v126 :: v_dual_mov_b32 v195, v127
	;; [unrolled: 1-line block ×10, first 2 shown]
	ds_store_2addr_b64 v250, v[192:193], v[194:195] offset0:30 offset1:31
	ds_store_2addr_b64 v250, v[196:197], v[198:199] offset0:32 offset1:33
	;; [unrolled: 1-line block ×5, first 2 shown]
	ds_store_b64 v250, v[164:165] offset:320
	ds_load_b64 v[192:193], v249
	s_wait_dscnt 0x0
	v_cmp_neq_f32_e32 vcc_lo, 0, v192
	v_cmp_neq_f32_e64 s1, 0, v193
	s_or_b32 s1, vcc_lo, s1
	s_delay_alu instid0(SALU_CYCLE_1)
	s_and_b32 exec_lo, exec_lo, s1
	s_cbranch_execz .LBB81_125
; %bb.120:
	v_cmp_ngt_f32_e64 s1, |v192|, |v193|
                                        ; implicit-def: $vgpr194_vgpr195
	s_and_saveexec_b32 s4, s1
	s_delay_alu instid0(SALU_CYCLE_1)
	s_xor_b32 s1, exec_lo, s4
	s_cbranch_execz .LBB81_122
; %bb.121:
	v_div_scale_f32 v0, null, v193, v193, v192
	v_div_scale_f32 v5, vcc_lo, v192, v193, v192
	s_delay_alu instid0(VALU_DEP_2) | instskip(SKIP_1) | instid1(TRANS32_DEP_1)
	v_rcp_f32_e32 v1, v0
	v_nop
	v_fma_f32 v4, -v0, v1, 1.0
	s_delay_alu instid0(VALU_DEP_1) | instskip(NEXT) | instid1(VALU_DEP_1)
	v_fmac_f32_e32 v1, v4, v1
	v_mul_f32_e32 v4, v5, v1
	s_delay_alu instid0(VALU_DEP_1) | instskip(NEXT) | instid1(VALU_DEP_1)
	v_fma_f32 v194, -v0, v4, v5
	v_fmac_f32_e32 v4, v194, v1
	s_delay_alu instid0(VALU_DEP_1) | instskip(NEXT) | instid1(VALU_DEP_1)
	v_fma_f32 v0, -v0, v4, v5
	v_div_fmas_f32 v0, v0, v1, v4
	s_delay_alu instid0(VALU_DEP_1) | instskip(NEXT) | instid1(VALU_DEP_1)
	v_div_fixup_f32 v0, v0, v193, v192
	v_fmac_f32_e32 v193, v192, v0
	s_delay_alu instid0(VALU_DEP_1) | instskip(SKIP_1) | instid1(VALU_DEP_2)
	v_div_scale_f32 v1, null, v193, v193, 1.0
	v_div_scale_f32 v192, vcc_lo, 1.0, v193, 1.0
	v_rcp_f32_e32 v4, v1
	v_nop
	s_delay_alu instid0(TRANS32_DEP_1) | instskip(NEXT) | instid1(VALU_DEP_1)
	v_fma_f32 v5, -v1, v4, 1.0
	v_fmac_f32_e32 v4, v5, v4
	s_delay_alu instid0(VALU_DEP_1) | instskip(NEXT) | instid1(VALU_DEP_1)
	v_mul_f32_e32 v5, v192, v4
	v_fma_f32 v194, -v1, v5, v192
	s_delay_alu instid0(VALU_DEP_1) | instskip(NEXT) | instid1(VALU_DEP_1)
	v_fmac_f32_e32 v5, v194, v4
	v_fma_f32 v1, -v1, v5, v192
	s_delay_alu instid0(VALU_DEP_1) | instskip(NEXT) | instid1(VALU_DEP_1)
	v_div_fmas_f32 v1, v1, v4, v5
	v_div_fixup_f32 v1, v1, v193, 1.0
                                        ; implicit-def: $vgpr192_vgpr193
	s_delay_alu instid0(VALU_DEP_1)
	v_mul_f32_e32 v194, v0, v1
	v_xor_b32_e32 v195, 0x80000000, v1
.LBB81_122:
	s_and_not1_saveexec_b32 s1, s1
	s_cbranch_execz .LBB81_124
; %bb.123:
	v_div_scale_f32 v0, null, v192, v192, v193
	v_div_scale_f32 v5, vcc_lo, v193, v192, v193
	s_delay_alu instid0(VALU_DEP_2) | instskip(SKIP_1) | instid1(TRANS32_DEP_1)
	v_rcp_f32_e32 v1, v0
	v_nop
	v_fma_f32 v4, -v0, v1, 1.0
	s_delay_alu instid0(VALU_DEP_1) | instskip(NEXT) | instid1(VALU_DEP_1)
	v_fmac_f32_e32 v1, v4, v1
	v_mul_f32_e32 v4, v5, v1
	s_delay_alu instid0(VALU_DEP_1) | instskip(NEXT) | instid1(VALU_DEP_1)
	v_fma_f32 v194, -v0, v4, v5
	v_fmac_f32_e32 v4, v194, v1
	s_delay_alu instid0(VALU_DEP_1) | instskip(NEXT) | instid1(VALU_DEP_1)
	v_fma_f32 v0, -v0, v4, v5
	v_div_fmas_f32 v0, v0, v1, v4
	s_delay_alu instid0(VALU_DEP_1) | instskip(NEXT) | instid1(VALU_DEP_1)
	v_div_fixup_f32 v0, v0, v192, v193
	v_fmac_f32_e32 v192, v193, v0
	s_delay_alu instid0(VALU_DEP_1) | instskip(NEXT) | instid1(VALU_DEP_1)
	v_div_scale_f32 v1, null, v192, v192, 1.0
	v_rcp_f32_e32 v4, v1
	v_nop
	s_delay_alu instid0(TRANS32_DEP_1) | instskip(NEXT) | instid1(VALU_DEP_1)
	v_fma_f32 v5, -v1, v4, 1.0
	v_fmac_f32_e32 v4, v5, v4
	v_div_scale_f32 v5, vcc_lo, 1.0, v192, 1.0
	s_delay_alu instid0(VALU_DEP_1) | instskip(NEXT) | instid1(VALU_DEP_1)
	v_mul_f32_e32 v193, v5, v4
	v_fma_f32 v194, -v1, v193, v5
	s_delay_alu instid0(VALU_DEP_1) | instskip(NEXT) | instid1(VALU_DEP_1)
	v_fmac_f32_e32 v193, v194, v4
	v_fma_f32 v1, -v1, v193, v5
	s_delay_alu instid0(VALU_DEP_1) | instskip(NEXT) | instid1(VALU_DEP_1)
	v_div_fmas_f32 v1, v1, v4, v193
	v_div_fixup_f32 v194, v1, v192, 1.0
	s_delay_alu instid0(VALU_DEP_1)
	v_mul_f32_e64 v195, v0, -v194
.LBB81_124:
	s_or_b32 exec_lo, exec_lo, s1
	ds_store_b64 v249, v[194:195]
.LBB81_125:
	s_or_b32 exec_lo, exec_lo, s2
	s_wait_dscnt 0x0
	s_barrier_signal -1
	s_barrier_wait -1
	ds_load_b64 v[192:193], v249
	s_mov_b32 s1, exec_lo
	v_cmpx_lt_u32_e32 13, v248
	s_cbranch_execz .LBB81_127
; %bb.126:
	ds_load_2addr_b64 v[198:201], v250 offset0:14 offset1:15
	ds_load_2addr_b64 v[202:205], v250 offset0:16 offset1:17
	;; [unrolled: 1-line block ×3, first 2 shown]
	s_wait_dscnt 0x3
	v_pk_mul_f32 v[196:197], v[192:193], v[90:91] op_sel:[1,1] op_sel_hi:[0,1]
	ds_load_2addr_b64 v[210:213], v250 offset0:20 offset1:21
	ds_load_2addr_b64 v[214:217], v250 offset0:22 offset1:23
	v_pk_fma_f32 v[194:195], v[192:193], v[90:91], v[196:197] op_sel_hi:[1,0,1] neg_lo:[0,0,1] neg_hi:[0,0,1]
	v_pk_fma_f32 v[196:197], v[192:193], v[90:91], v[196:197] op_sel_hi:[1,0,1]
	s_delay_alu instid0(VALU_DEP_1) | instskip(SKIP_1) | instid1(VALU_DEP_2)
	v_dual_mov_b32 v90, v194 :: v_dual_mov_b32 v91, v197
	s_wait_dscnt 0x4
	v_pk_mul_f32 v[218:219], v[198:199], v[196:197] op_sel:[0,1]
	v_pk_mul_f32 v[220:221], v[200:201], v[196:197] op_sel:[0,1]
	s_wait_dscnt 0x3
	v_pk_mul_f32 v[222:223], v[202:203], v[196:197] op_sel:[0,1]
	s_wait_dscnt 0x2
	v_pk_mul_f32 v[230:231], v[206:207], v[196:197] op_sel:[0,1]
	v_dual_mov_b32 v224, v205 :: v_dual_mov_b32 v225, v204
	v_pk_fma_f32 v[234:235], v[198:199], v[194:195], v[218:219] op_sel:[0,0,1] op_sel_hi:[1,1,0] neg_lo:[0,0,1] neg_hi:[0,0,1]
	v_pk_fma_f32 v[198:199], v[198:199], v[194:195], v[218:219] op_sel:[0,0,1] op_sel_hi:[1,0,0]
	v_dual_mul_f32 v226, v205, v197 :: v_dual_mul_f32 v228, v205, v194
	v_pk_mul_f32 v[232:233], v[208:209], v[196:197] op_sel:[0,1]
	v_pk_fma_f32 v[218:219], v[200:201], v[194:195], v[220:221] op_sel:[0,0,1] op_sel_hi:[1,1,0] neg_lo:[0,0,1] neg_hi:[0,0,1]
	v_pk_fma_f32 v[200:201], v[200:201], v[194:195], v[220:221] op_sel:[0,0,1] op_sel_hi:[1,0,0]
	v_pk_fma_f32 v[220:221], v[202:203], v[194:195], v[222:223] op_sel:[0,0,1] op_sel_hi:[1,1,0] neg_lo:[0,0,1] neg_hi:[0,0,1]
	v_pk_fma_f32 v[202:203], v[202:203], v[194:195], v[222:223] op_sel:[0,0,1] op_sel_hi:[1,0,0]
	v_mov_b32_e32 v235, v199
	v_pk_fma_f32 v[198:199], v[206:207], v[194:195], v[230:231] op_sel:[0,0,1] op_sel_hi:[1,0,0]
	v_pk_fma_f32 v[222:223], v[224:225], v[90:91], v[228:229] op_sel_hi:[1,1,0]
	v_pk_fma_f32 v[224:225], v[206:207], v[194:195], v[230:231] op_sel:[0,0,1] op_sel_hi:[1,1,0] neg_lo:[0,0,1] neg_hi:[0,0,1]
	v_dual_mov_b32 v219, v201 :: v_dual_mov_b32 v221, v203
	v_pk_fma_f32 v[202:203], v[208:209], v[194:195], v[232:233] op_sel:[0,0,1] op_sel_hi:[1,0,0]
	s_wait_dscnt 0x1
	v_pk_mul_f32 v[206:207], v[210:211], v[196:197] op_sel:[0,1]
	v_pk_fma_f32 v[204:205], v[204:205], v[90:91], v[226:227] op_sel_hi:[1,1,0] neg_lo:[0,0,1] neg_hi:[0,0,1]
	v_mov_b32_e32 v225, v199
	ds_load_2addr_b64 v[198:201], v250 offset0:24 offset1:25
	v_pk_fma_f32 v[208:209], v[208:209], v[194:195], v[232:233] op_sel:[0,0,1] op_sel_hi:[1,1,0] neg_lo:[0,0,1] neg_hi:[0,0,1]
	v_mov_b32_e32 v205, v223
	v_pk_add_f32 v[88:89], v[88:89], v[218:219] neg_lo:[0,1] neg_hi:[0,1]
	v_mov_b32_e32 v209, v203
	v_pk_mul_f32 v[218:219], v[212:213], v[196:197] op_sel:[0,1]
	v_pk_fma_f32 v[202:203], v[210:211], v[194:195], v[206:207] op_sel:[0,0,1] op_sel_hi:[1,0,0]
	v_pk_fma_f32 v[206:207], v[210:211], v[194:195], v[206:207] op_sel:[0,0,1] op_sel_hi:[1,1,0] neg_lo:[0,0,1] neg_hi:[0,0,1]
	v_pk_add_f32 v[86:87], v[86:87], v[204:205] neg_lo:[0,1] neg_hi:[0,1]
	v_pk_add_f32 v[114:115], v[114:115], v[208:209] neg_lo:[0,1] neg_hi:[0,1]
	v_pk_fma_f32 v[208:209], v[212:213], v[194:195], v[218:219] op_sel:[0,0,1] op_sel_hi:[1,0,0]
	v_mov_b32_e32 v207, v203
	ds_load_2addr_b64 v[202:205], v250 offset0:26 offset1:27
	v_pk_fma_f32 v[210:211], v[212:213], v[194:195], v[218:219] op_sel:[0,0,1] op_sel_hi:[1,1,0] neg_lo:[0,0,1] neg_hi:[0,0,1]
	s_wait_dscnt 0x2
	v_dual_mul_f32 v208, v215, v194 :: v_dual_mul_f32 v212, v215, v197
	v_mov_b32_e32 v211, v209
	v_pk_add_f32 v[146:147], v[146:147], v[206:207] neg_lo:[0,1] neg_hi:[0,1]
	v_pk_mul_f32 v[206:207], v[216:217], v[196:197] op_sel:[0,1]
	s_delay_alu instid0(VALU_DEP_4)
	v_pk_fma_f32 v[208:209], v[214:215], v[90:91], v[208:209] op_sel:[1,0,0] op_sel_hi:[0,1,0]
	v_pk_fma_f32 v[212:213], v[214:215], v[90:91], v[212:213] op_sel_hi:[1,1,0] neg_lo:[0,0,1] neg_hi:[0,0,1]
	v_pk_add_f32 v[112:113], v[112:113], v[210:211] neg_lo:[0,1] neg_hi:[0,1]
	s_wait_dscnt 0x1
	v_pk_mul_f32 v[210:211], v[198:199], v[196:197] op_sel:[0,1]
	v_pk_fma_f32 v[218:219], v[216:217], v[194:195], v[206:207] op_sel:[0,0,1] op_sel_hi:[1,0,0]
	v_pk_fma_f32 v[214:215], v[216:217], v[194:195], v[206:207] op_sel:[0,0,1] op_sel_hi:[1,1,0] neg_lo:[0,0,1] neg_hi:[0,0,1]
	v_mov_b32_e32 v213, v209
	ds_load_2addr_b64 v[206:209], v250 offset0:28 offset1:29
	v_pk_fma_f32 v[216:217], v[198:199], v[194:195], v[210:211] op_sel:[0,0,1] op_sel_hi:[1,0,0]
	v_mov_b32_e32 v215, v219
	v_pk_mul_f32 v[218:219], v[200:201], v[196:197] op_sel:[0,1]
	v_pk_fma_f32 v[198:199], v[198:199], v[194:195], v[210:211] op_sel:[0,0,1] op_sel_hi:[1,1,0] neg_lo:[0,0,1] neg_hi:[0,0,1]
	v_pk_add_f32 v[144:145], v[144:145], v[212:213] neg_lo:[0,1] neg_hi:[0,1]
	s_wait_dscnt 0x1
	v_pk_mul_f32 v[210:211], v[202:203], v[196:197] op_sel:[0,1]
	v_pk_add_f32 v[76:77], v[76:77], v[214:215] neg_lo:[0,1] neg_hi:[0,1]
	v_pk_fma_f32 v[212:213], v[200:201], v[194:195], v[218:219] op_sel:[0,0,1] op_sel_hi:[1,0,0]
	v_mov_b32_e32 v199, v217
	v_pk_fma_f32 v[216:217], v[200:201], v[194:195], v[218:219] op_sel:[0,0,1] op_sel_hi:[1,1,0] neg_lo:[0,0,1] neg_hi:[0,0,1]
	v_pk_fma_f32 v[214:215], v[202:203], v[194:195], v[210:211] op_sel:[0,0,1] op_sel_hi:[1,0,0]
	v_pk_fma_f32 v[202:203], v[202:203], v[194:195], v[210:211] op_sel:[0,0,1] op_sel_hi:[1,1,0] neg_lo:[0,0,1] neg_hi:[0,0,1]
	v_mov_b32_e32 v217, v213
	v_pk_add_f32 v[102:103], v[102:103], v[198:199] neg_lo:[0,1] neg_hi:[0,1]
	ds_load_2addr_b64 v[198:201], v250 offset0:30 offset1:31
	v_dual_mov_b32 v203, v215 :: v_dual_mov_b32 v210, v205
	v_dual_mov_b32 v211, v204 :: v_dual_mul_f32 v212, v205, v194
	v_pk_add_f32 v[98:99], v[98:99], v[216:217] neg_lo:[0,1] neg_hi:[0,1]
	v_mul_f32_e32 v214, v205, v197
	s_delay_alu instid0(VALU_DEP_4)
	v_pk_add_f32 v[100:101], v[100:101], v[202:203] neg_lo:[0,1] neg_hi:[0,1]
	s_wait_dscnt 0x1
	v_pk_mul_f32 v[202:203], v[206:207], v[196:197] op_sel:[0,1]
	v_pk_fma_f32 v[216:217], v[210:211], v[90:91], v[212:213] op_sel_hi:[1,1,0]
	ds_load_2addr_b64 v[210:213], v250 offset0:32 offset1:33
	v_pk_mul_f32 v[218:219], v[208:209], v[196:197] op_sel:[0,1]
	v_pk_fma_f32 v[214:215], v[204:205], v[90:91], v[214:215] op_sel_hi:[1,1,0] neg_lo:[0,0,1] neg_hi:[0,0,1]
	v_pk_add_f32 v[118:119], v[118:119], v[220:221] neg_lo:[0,1] neg_hi:[0,1]
	v_pk_fma_f32 v[220:221], v[206:207], v[194:195], v[202:203] op_sel:[0,0,1] op_sel_hi:[1,0,0]
	v_mov_b32_e32 v215, v217
	v_pk_fma_f32 v[216:217], v[208:209], v[194:195], v[218:219] op_sel:[0,0,1] op_sel_hi:[1,0,0]
	v_pk_fma_f32 v[206:207], v[206:207], v[194:195], v[202:203] op_sel:[0,0,1] op_sel_hi:[1,1,0] neg_lo:[0,0,1] neg_hi:[0,0,1]
	ds_load_2addr_b64 v[202:205], v250 offset0:34 offset1:35
	v_pk_fma_f32 v[208:209], v[208:209], v[194:195], v[218:219] op_sel:[0,0,1] op_sel_hi:[1,1,0] neg_lo:[0,0,1] neg_hi:[0,0,1]
	v_mov_b32_e32 v207, v221
	s_wait_dscnt 0x2
	v_pk_mul_f32 v[218:219], v[198:199], v[196:197] op_sel:[0,1]
	v_mov_b32_e32 v209, v217
	v_pk_mul_f32 v[216:217], v[200:201], v[196:197] op_sel:[0,1]
	v_pk_add_f32 v[96:97], v[96:97], v[214:215] neg_lo:[0,1] neg_hi:[0,1]
	v_pk_add_f32 v[132:133], v[132:133], v[206:207] neg_lo:[0,1] neg_hi:[0,1]
	v_pk_fma_f32 v[214:215], v[198:199], v[194:195], v[218:219] op_sel:[0,0,1] op_sel_hi:[1,0,0]
	v_pk_add_f32 v[92:93], v[92:93], v[234:235] neg_lo:[0,1] neg_hi:[0,1]
	v_pk_fma_f32 v[206:207], v[200:201], v[194:195], v[216:217] op_sel:[0,0,1] op_sel_hi:[1,0,0]
	v_pk_add_f32 v[116:117], v[116:117], v[224:225] neg_lo:[0,1] neg_hi:[0,1]
	s_wait_dscnt 0x1
	v_mul_f32_e32 v206, v211, v194
	v_pk_add_f32 v[128:129], v[128:129], v[208:209] neg_lo:[0,1] neg_hi:[0,1]
	v_pk_fma_f32 v[208:209], v[198:199], v[194:195], v[218:219] op_sel:[0,0,1] op_sel_hi:[1,1,0] neg_lo:[0,0,1] neg_hi:[0,0,1]
	v_mov_b32_e32 v209, v215
	v_pk_fma_f32 v[214:215], v[200:201], v[194:195], v[216:217] op_sel:[0,0,1] op_sel_hi:[1,1,0] neg_lo:[0,0,1] neg_hi:[0,0,1]
	v_mul_f32_e32 v216, v211, v197
	ds_load_2addr_b64 v[198:201], v250 offset0:36 offset1:37
	v_mov_b32_e32 v215, v207
	v_pk_fma_f32 v[206:207], v[210:211], v[90:91], v[206:207] op_sel:[1,0,0] op_sel_hi:[0,1,0]
	v_pk_add_f32 v[130:131], v[130:131], v[208:209] neg_lo:[0,1] neg_hi:[0,1]
	v_pk_mul_f32 v[208:209], v[212:213], v[196:197] op_sel:[0,1]
	v_pk_fma_f32 v[210:211], v[210:211], v[90:91], v[216:217] op_sel_hi:[1,1,0] neg_lo:[0,0,1] neg_hi:[0,0,1]
	s_wait_dscnt 0x1
	v_pk_mul_f32 v[218:219], v[204:205], v[196:197] op_sel:[0,1]
	v_mov_b32_e32 v211, v207
	v_pk_add_f32 v[126:127], v[126:127], v[214:215] neg_lo:[0,1] neg_hi:[0,1]
	v_pk_mul_f32 v[214:215], v[202:203], v[196:197] op_sel:[0,1]
	v_pk_fma_f32 v[216:217], v[212:213], v[194:195], v[208:209] op_sel:[0,0,1] op_sel_hi:[1,0,0]
	v_pk_fma_f32 v[212:213], v[212:213], v[194:195], v[208:209] op_sel:[0,0,1] op_sel_hi:[1,1,0] neg_lo:[0,0,1] neg_hi:[0,0,1]
	ds_load_2addr_b64 v[206:209], v250 offset0:38 offset1:39
	v_pk_add_f32 v[160:161], v[160:161], v[210:211] neg_lo:[0,1] neg_hi:[0,1]
	v_pk_fma_f32 v[220:221], v[202:203], v[194:195], v[214:215] op_sel:[0,0,1] op_sel_hi:[1,0,0]
	v_pk_fma_f32 v[202:203], v[202:203], v[194:195], v[214:215] op_sel:[0,0,1] op_sel_hi:[1,1,0] neg_lo:[0,0,1] neg_hi:[0,0,1]
	ds_load_b64 v[214:215], v250 offset:320
	v_mov_b32_e32 v213, v217
	v_pk_fma_f32 v[216:217], v[204:205], v[194:195], v[218:219] op_sel:[0,0,1] op_sel_hi:[1,0,0]
	v_pk_fma_f32 v[204:205], v[204:205], v[194:195], v[218:219] op_sel:[0,0,1] op_sel_hi:[1,1,0] neg_lo:[0,0,1] neg_hi:[0,0,1]
	v_mov_b32_e32 v203, v221
	s_wait_dscnt 0x2
	v_mul_f32_e32 v210, v201, v197
	v_pk_add_f32 v[152:153], v[152:153], v[212:213] neg_lo:[0,1] neg_hi:[0,1]
	v_mov_b32_e32 v205, v217
	v_pk_mul_f32 v[216:217], v[198:199], v[196:197] op_sel:[0,1]
	v_pk_add_f32 v[158:159], v[158:159], v[202:203] neg_lo:[0,1] neg_hi:[0,1]
	s_delay_alu instid0(VALU_DEP_3) | instskip(NEXT) | instid1(VALU_DEP_3)
	v_pk_add_f32 v[150:151], v[150:151], v[204:205] neg_lo:[0,1] neg_hi:[0,1]
	v_pk_fma_f32 v[202:203], v[198:199], v[194:195], v[216:217] op_sel:[0,0,1] op_sel_hi:[1,0,0]
	v_dual_mov_b32 v204, v201 :: v_dual_mov_b32 v205, v200
	v_mul_f32_e32 v202, v201, v194
	v_pk_fma_f32 v[198:199], v[198:199], v[194:195], v[216:217] op_sel:[0,0,1] op_sel_hi:[1,1,0] neg_lo:[0,0,1] neg_hi:[0,0,1]
	s_delay_alu instid0(VALU_DEP_4)
	v_mov_b32_e32 v199, v203
	s_wait_dscnt 0x1
	v_pk_mul_f32 v[212:213], v[206:207], v[196:197] op_sel:[0,1]
	v_pk_fma_f32 v[200:201], v[200:201], v[90:91], v[210:211] op_sel_hi:[1,1,0] neg_lo:[0,0,1] neg_hi:[0,0,1]
	v_pk_fma_f32 v[202:203], v[204:205], v[90:91], v[202:203] op_sel_hi:[1,1,0]
	v_pk_mul_f32 v[204:205], v[208:209], v[196:197] op_sel:[0,1]
	s_wait_dscnt 0x0
	v_pk_mul_f32 v[196:197], v[214:215], v[196:197] op_sel:[0,1]
	v_pk_fma_f32 v[210:211], v[206:207], v[194:195], v[212:213] op_sel:[0,0,1] op_sel_hi:[1,0,0]
	v_pk_fma_f32 v[206:207], v[206:207], v[194:195], v[212:213] op_sel:[0,0,1] op_sel_hi:[1,1,0] neg_lo:[0,0,1] neg_hi:[0,0,1]
	v_mov_b32_e32 v201, v203
	v_pk_fma_f32 v[202:203], v[208:209], v[194:195], v[204:205] op_sel:[0,0,1] op_sel_hi:[1,0,0]
	v_pk_fma_f32 v[212:213], v[214:215], v[194:195], v[196:197] op_sel:[0,0,1] op_sel_hi:[1,0,0]
	v_pk_fma_f32 v[204:205], v[208:209], v[194:195], v[204:205] op_sel:[0,0,1] op_sel_hi:[1,1,0] neg_lo:[0,0,1] neg_hi:[0,0,1]
	v_pk_fma_f32 v[194:195], v[214:215], v[194:195], v[196:197] op_sel:[0,0,1] op_sel_hi:[1,1,0] neg_lo:[0,0,1] neg_hi:[0,0,1]
	s_delay_alu instid0(VALU_DEP_4) | instskip(NEXT) | instid1(VALU_DEP_4)
	v_dual_mov_b32 v207, v211 :: v_dual_mov_b32 v205, v203
	v_mov_b32_e32 v195, v213
	v_pk_add_f32 v[156:157], v[156:157], v[198:199] neg_lo:[0,1] neg_hi:[0,1]
	v_pk_add_f32 v[148:149], v[148:149], v[200:201] neg_lo:[0,1] neg_hi:[0,1]
	s_delay_alu instid0(VALU_DEP_4)
	v_pk_add_f32 v[154:155], v[154:155], v[206:207] neg_lo:[0,1] neg_hi:[0,1]
	v_pk_add_f32 v[162:163], v[162:163], v[204:205] neg_lo:[0,1] neg_hi:[0,1]
	v_pk_add_f32 v[164:165], v[164:165], v[194:195] neg_lo:[0,1] neg_hi:[0,1]
.LBB81_127:
	s_or_b32 exec_lo, exec_lo, s1
	s_delay_alu instid0(SALU_CYCLE_1)
	s_mov_b32 s2, exec_lo
	s_wait_dscnt 0x0
	s_barrier_signal -1
	s_barrier_wait -1
	v_cmpx_eq_u32_e32 14, v248
	s_cbranch_execz .LBB81_134
; %bb.128:
	ds_store_b64 v249, v[92:93]
	ds_store_2addr_b64 v250, v[88:89], v[118:119] offset0:15 offset1:16
	ds_store_2addr_b64 v250, v[86:87], v[116:117] offset0:17 offset1:18
	;; [unrolled: 1-line block ×13, first 2 shown]
	ds_load_b64 v[194:195], v249
	s_wait_dscnt 0x0
	v_cmp_neq_f32_e32 vcc_lo, 0, v194
	v_cmp_neq_f32_e64 s1, 0, v195
	s_or_b32 s1, vcc_lo, s1
	s_delay_alu instid0(SALU_CYCLE_1)
	s_and_b32 exec_lo, exec_lo, s1
	s_cbranch_execz .LBB81_134
; %bb.129:
	v_cmp_ngt_f32_e64 s1, |v194|, |v195|
                                        ; implicit-def: $vgpr196_vgpr197
	s_and_saveexec_b32 s4, s1
	s_delay_alu instid0(SALU_CYCLE_1)
	s_xor_b32 s1, exec_lo, s4
	s_cbranch_execz .LBB81_131
; %bb.130:
	v_div_scale_f32 v0, null, v195, v195, v194
	v_div_scale_f32 v5, vcc_lo, v194, v195, v194
	s_delay_alu instid0(VALU_DEP_2) | instskip(SKIP_1) | instid1(TRANS32_DEP_1)
	v_rcp_f32_e32 v1, v0
	v_nop
	v_fma_f32 v4, -v0, v1, 1.0
	s_delay_alu instid0(VALU_DEP_1) | instskip(NEXT) | instid1(VALU_DEP_1)
	v_fmac_f32_e32 v1, v4, v1
	v_mul_f32_e32 v4, v5, v1
	s_delay_alu instid0(VALU_DEP_1) | instskip(NEXT) | instid1(VALU_DEP_1)
	v_fma_f32 v196, -v0, v4, v5
	v_fmac_f32_e32 v4, v196, v1
	s_delay_alu instid0(VALU_DEP_1) | instskip(NEXT) | instid1(VALU_DEP_1)
	v_fma_f32 v0, -v0, v4, v5
	v_div_fmas_f32 v0, v0, v1, v4
	s_delay_alu instid0(VALU_DEP_1) | instskip(NEXT) | instid1(VALU_DEP_1)
	v_div_fixup_f32 v0, v0, v195, v194
	v_fmac_f32_e32 v195, v194, v0
	s_delay_alu instid0(VALU_DEP_1) | instskip(SKIP_1) | instid1(VALU_DEP_2)
	v_div_scale_f32 v1, null, v195, v195, 1.0
	v_div_scale_f32 v194, vcc_lo, 1.0, v195, 1.0
	v_rcp_f32_e32 v4, v1
	v_nop
	s_delay_alu instid0(TRANS32_DEP_1) | instskip(NEXT) | instid1(VALU_DEP_1)
	v_fma_f32 v5, -v1, v4, 1.0
	v_fmac_f32_e32 v4, v5, v4
	s_delay_alu instid0(VALU_DEP_1) | instskip(NEXT) | instid1(VALU_DEP_1)
	v_mul_f32_e32 v5, v194, v4
	v_fma_f32 v196, -v1, v5, v194
	s_delay_alu instid0(VALU_DEP_1) | instskip(NEXT) | instid1(VALU_DEP_1)
	v_fmac_f32_e32 v5, v196, v4
	v_fma_f32 v1, -v1, v5, v194
	s_delay_alu instid0(VALU_DEP_1) | instskip(NEXT) | instid1(VALU_DEP_1)
	v_div_fmas_f32 v1, v1, v4, v5
	v_div_fixup_f32 v1, v1, v195, 1.0
                                        ; implicit-def: $vgpr194_vgpr195
	s_delay_alu instid0(VALU_DEP_1)
	v_mul_f32_e32 v196, v0, v1
	v_xor_b32_e32 v197, 0x80000000, v1
.LBB81_131:
	s_and_not1_saveexec_b32 s1, s1
	s_cbranch_execz .LBB81_133
; %bb.132:
	v_div_scale_f32 v0, null, v194, v194, v195
	v_div_scale_f32 v5, vcc_lo, v195, v194, v195
	s_delay_alu instid0(VALU_DEP_2) | instskip(SKIP_1) | instid1(TRANS32_DEP_1)
	v_rcp_f32_e32 v1, v0
	v_nop
	v_fma_f32 v4, -v0, v1, 1.0
	s_delay_alu instid0(VALU_DEP_1) | instskip(NEXT) | instid1(VALU_DEP_1)
	v_fmac_f32_e32 v1, v4, v1
	v_mul_f32_e32 v4, v5, v1
	s_delay_alu instid0(VALU_DEP_1) | instskip(NEXT) | instid1(VALU_DEP_1)
	v_fma_f32 v196, -v0, v4, v5
	v_fmac_f32_e32 v4, v196, v1
	s_delay_alu instid0(VALU_DEP_1) | instskip(NEXT) | instid1(VALU_DEP_1)
	v_fma_f32 v0, -v0, v4, v5
	v_div_fmas_f32 v0, v0, v1, v4
	s_delay_alu instid0(VALU_DEP_1) | instskip(NEXT) | instid1(VALU_DEP_1)
	v_div_fixup_f32 v0, v0, v194, v195
	v_fmac_f32_e32 v194, v195, v0
	s_delay_alu instid0(VALU_DEP_1) | instskip(NEXT) | instid1(VALU_DEP_1)
	v_div_scale_f32 v1, null, v194, v194, 1.0
	v_rcp_f32_e32 v4, v1
	v_nop
	s_delay_alu instid0(TRANS32_DEP_1) | instskip(NEXT) | instid1(VALU_DEP_1)
	v_fma_f32 v5, -v1, v4, 1.0
	v_fmac_f32_e32 v4, v5, v4
	v_div_scale_f32 v5, vcc_lo, 1.0, v194, 1.0
	s_delay_alu instid0(VALU_DEP_1) | instskip(NEXT) | instid1(VALU_DEP_1)
	v_mul_f32_e32 v195, v5, v4
	v_fma_f32 v196, -v1, v195, v5
	s_delay_alu instid0(VALU_DEP_1) | instskip(NEXT) | instid1(VALU_DEP_1)
	v_fmac_f32_e32 v195, v196, v4
	v_fma_f32 v1, -v1, v195, v5
	s_delay_alu instid0(VALU_DEP_1) | instskip(NEXT) | instid1(VALU_DEP_1)
	v_div_fmas_f32 v1, v1, v4, v195
	v_div_fixup_f32 v196, v1, v194, 1.0
	s_delay_alu instid0(VALU_DEP_1)
	v_mul_f32_e64 v197, v0, -v196
.LBB81_133:
	s_or_b32 exec_lo, exec_lo, s1
	ds_store_b64 v249, v[196:197]
.LBB81_134:
	s_or_b32 exec_lo, exec_lo, s2
	s_wait_dscnt 0x0
	s_barrier_signal -1
	s_barrier_wait -1
	ds_load_b64 v[194:195], v249
	s_mov_b32 s1, exec_lo
	v_cmpx_lt_u32_e32 14, v248
	s_cbranch_execz .LBB81_136
; %bb.135:
	ds_load_2addr_b64 v[200:203], v250 offset0:15 offset1:16
	ds_load_2addr_b64 v[204:207], v250 offset0:17 offset1:18
	;; [unrolled: 1-line block ×3, first 2 shown]
	s_wait_dscnt 0x3
	v_pk_mul_f32 v[198:199], v[194:195], v[92:93] op_sel:[1,1] op_sel_hi:[0,1]
	ds_load_2addr_b64 v[212:215], v250 offset0:21 offset1:22
	ds_load_2addr_b64 v[216:219], v250 offset0:23 offset1:24
	v_pk_fma_f32 v[196:197], v[194:195], v[92:93], v[198:199] op_sel_hi:[1,0,1] neg_lo:[0,0,1] neg_hi:[0,0,1]
	v_pk_fma_f32 v[198:199], v[194:195], v[92:93], v[198:199] op_sel_hi:[1,0,1]
	s_delay_alu instid0(VALU_DEP_1) | instskip(SKIP_1) | instid1(VALU_DEP_2)
	v_dual_mov_b32 v92, v196 :: v_dual_mov_b32 v93, v199
	s_wait_dscnt 0x4
	v_pk_mul_f32 v[220:221], v[200:201], v[198:199] op_sel:[0,1]
	v_pk_mul_f32 v[222:223], v[202:203], v[198:199] op_sel:[0,1]
	s_wait_dscnt 0x3
	v_pk_mul_f32 v[224:225], v[204:205], v[198:199] op_sel:[0,1]
	s_wait_dscnt 0x2
	v_pk_mul_f32 v[232:233], v[208:209], v[198:199] op_sel:[0,1]
	v_dual_mov_b32 v226, v207 :: v_dual_mov_b32 v227, v206
	v_pk_fma_f32 v[236:237], v[200:201], v[196:197], v[220:221] op_sel:[0,0,1] op_sel_hi:[1,1,0] neg_lo:[0,0,1] neg_hi:[0,0,1]
	v_pk_fma_f32 v[200:201], v[200:201], v[196:197], v[220:221] op_sel:[0,0,1] op_sel_hi:[1,0,0]
	v_dual_mul_f32 v228, v207, v199 :: v_dual_mul_f32 v230, v207, v196
	v_pk_mul_f32 v[234:235], v[210:211], v[198:199] op_sel:[0,1]
	v_pk_fma_f32 v[220:221], v[202:203], v[196:197], v[222:223] op_sel:[0,0,1] op_sel_hi:[1,1,0] neg_lo:[0,0,1] neg_hi:[0,0,1]
	v_pk_fma_f32 v[202:203], v[202:203], v[196:197], v[222:223] op_sel:[0,0,1] op_sel_hi:[1,0,0]
	v_pk_fma_f32 v[222:223], v[204:205], v[196:197], v[224:225] op_sel:[0,0,1] op_sel_hi:[1,1,0] neg_lo:[0,0,1] neg_hi:[0,0,1]
	v_pk_fma_f32 v[204:205], v[204:205], v[196:197], v[224:225] op_sel:[0,0,1] op_sel_hi:[1,0,0]
	v_mov_b32_e32 v237, v201
	v_pk_fma_f32 v[200:201], v[208:209], v[196:197], v[232:233] op_sel:[0,0,1] op_sel_hi:[1,0,0]
	v_pk_fma_f32 v[224:225], v[226:227], v[92:93], v[230:231] op_sel_hi:[1,1,0]
	v_pk_fma_f32 v[226:227], v[208:209], v[196:197], v[232:233] op_sel:[0,0,1] op_sel_hi:[1,1,0] neg_lo:[0,0,1] neg_hi:[0,0,1]
	v_dual_mov_b32 v221, v203 :: v_dual_mov_b32 v223, v205
	v_pk_fma_f32 v[204:205], v[210:211], v[196:197], v[234:235] op_sel:[0,0,1] op_sel_hi:[1,0,0]
	v_mov_b32_e32 v227, v201
	s_wait_dscnt 0x1
	v_pk_mul_f32 v[208:209], v[212:213], v[198:199] op_sel:[0,1]
	ds_load_2addr_b64 v[200:203], v250 offset0:25 offset1:26
	v_pk_fma_f32 v[206:207], v[206:207], v[92:93], v[228:229] op_sel_hi:[1,1,0] neg_lo:[0,0,1] neg_hi:[0,0,1]
	v_pk_fma_f32 v[210:211], v[210:211], v[196:197], v[234:235] op_sel:[0,0,1] op_sel_hi:[1,1,0] neg_lo:[0,0,1] neg_hi:[0,0,1]
	v_mov_b32_e32 v207, v225
	v_pk_add_f32 v[118:119], v[118:119], v[220:221] neg_lo:[0,1] neg_hi:[0,1]
	v_mov_b32_e32 v211, v205
	v_pk_mul_f32 v[220:221], v[214:215], v[198:199] op_sel:[0,1]
	v_pk_fma_f32 v[204:205], v[212:213], v[196:197], v[208:209] op_sel:[0,0,1] op_sel_hi:[1,0,0]
	v_pk_fma_f32 v[208:209], v[212:213], v[196:197], v[208:209] op_sel:[0,0,1] op_sel_hi:[1,1,0] neg_lo:[0,0,1] neg_hi:[0,0,1]
	v_pk_add_f32 v[116:117], v[116:117], v[206:207] neg_lo:[0,1] neg_hi:[0,1]
	v_pk_add_f32 v[146:147], v[146:147], v[210:211] neg_lo:[0,1] neg_hi:[0,1]
	v_pk_fma_f32 v[210:211], v[214:215], v[196:197], v[220:221] op_sel:[0,0,1] op_sel_hi:[1,0,0]
	v_mov_b32_e32 v209, v205
	ds_load_2addr_b64 v[204:207], v250 offset0:27 offset1:28
	v_pk_fma_f32 v[212:213], v[214:215], v[196:197], v[220:221] op_sel:[0,0,1] op_sel_hi:[1,1,0] neg_lo:[0,0,1] neg_hi:[0,0,1]
	s_wait_dscnt 0x2
	v_dual_mul_f32 v210, v217, v196 :: v_dual_mov_b32 v213, v211
	v_pk_mul_f32 v[214:215], v[218:219], v[198:199] op_sel:[0,1]
	v_pk_add_f32 v[112:113], v[112:113], v[208:209] neg_lo:[0,1] neg_hi:[0,1]
	v_mul_f32_e32 v208, v217, v199
	s_delay_alu instid0(VALU_DEP_4)
	v_pk_fma_f32 v[210:211], v[216:217], v[92:93], v[210:211] op_sel:[1,0,0] op_sel_hi:[0,1,0]
	v_pk_add_f32 v[144:145], v[144:145], v[212:213] neg_lo:[0,1] neg_hi:[0,1]
	s_wait_dscnt 0x1
	v_pk_mul_f32 v[212:213], v[200:201], v[198:199] op_sel:[0,1]
	v_pk_fma_f32 v[220:221], v[218:219], v[196:197], v[214:215] op_sel:[0,0,1] op_sel_hi:[1,0,0]
	v_pk_fma_f32 v[216:217], v[216:217], v[92:93], v[208:209] op_sel_hi:[1,1,0] neg_lo:[0,0,1] neg_hi:[0,0,1]
	v_pk_fma_f32 v[214:215], v[218:219], v[196:197], v[214:215] op_sel:[0,0,1] op_sel_hi:[1,1,0] neg_lo:[0,0,1] neg_hi:[0,0,1]
	v_mov_b32_e32 v217, v211
	v_pk_fma_f32 v[218:219], v[200:201], v[196:197], v[212:213] op_sel:[0,0,1] op_sel_hi:[1,0,0]
	v_mov_b32_e32 v215, v221
	v_pk_fma_f32 v[200:201], v[200:201], v[196:197], v[212:213] op_sel:[0,0,1] op_sel_hi:[1,1,0] neg_lo:[0,0,1] neg_hi:[0,0,1]
	v_pk_mul_f32 v[212:213], v[202:203], v[198:199] op_sel:[0,1]
	ds_load_2addr_b64 v[208:211], v250 offset0:29 offset1:30
	v_pk_add_f32 v[76:77], v[76:77], v[216:217] neg_lo:[0,1] neg_hi:[0,1]
	v_pk_add_f32 v[102:103], v[102:103], v[214:215] neg_lo:[0,1] neg_hi:[0,1]
	;; [unrolled: 1-line block ×3, first 2 shown]
	v_pk_fma_f32 v[214:215], v[202:203], v[196:197], v[212:213] op_sel:[0,0,1] op_sel_hi:[1,0,0]
	v_mov_b32_e32 v201, v219
	s_wait_dscnt 0x1
	v_pk_mul_f32 v[218:219], v[204:205], v[198:199] op_sel:[0,1]
	v_pk_fma_f32 v[212:213], v[202:203], v[196:197], v[212:213] op_sel:[0,0,1] op_sel_hi:[1,1,0] neg_lo:[0,0,1] neg_hi:[0,0,1]
	v_dual_mov_b32 v214, v207 :: v_dual_mov_b32 v213, v215
	v_pk_add_f32 v[98:99], v[98:99], v[200:201] neg_lo:[0,1] neg_hi:[0,1]
	s_delay_alu instid0(VALU_DEP_4)
	v_pk_fma_f32 v[216:217], v[204:205], v[196:197], v[218:219] op_sel:[0,0,1] op_sel_hi:[1,0,0]
	ds_load_2addr_b64 v[200:203], v250 offset0:31 offset1:32
	v_pk_fma_f32 v[204:205], v[204:205], v[196:197], v[218:219] op_sel:[0,0,1] op_sel_hi:[1,1,0] neg_lo:[0,0,1] neg_hi:[0,0,1]
	v_dual_mov_b32 v215, v206 :: v_dual_mul_f32 v216, v207, v196
	v_mov_b32_e32 v205, v217
	v_pk_add_f32 v[100:101], v[100:101], v[212:213] neg_lo:[0,1] neg_hi:[0,1]
	v_pk_add_f32 v[88:89], v[88:89], v[236:237] neg_lo:[0,1] neg_hi:[0,1]
	;; [unrolled: 1-line block ×3, first 2 shown]
	v_pk_fma_f32 v[212:213], v[214:215], v[92:93], v[216:217] op_sel_hi:[1,1,0]
	v_mul_f32_e32 v218, v207, v199
	s_wait_dscnt 0x1
	v_pk_mul_f32 v[220:221], v[208:209], v[198:199] op_sel:[0,1]
	v_pk_add_f32 v[96:97], v[96:97], v[204:205] neg_lo:[0,1] neg_hi:[0,1]
	s_delay_alu instid0(VALU_DEP_3)
	v_pk_fma_f32 v[216:217], v[206:207], v[92:93], v[218:219] op_sel_hi:[1,1,0] neg_lo:[0,0,1] neg_hi:[0,0,1]
	v_pk_mul_f32 v[218:219], v[210:211], v[198:199] op_sel:[0,1]
	ds_load_2addr_b64 v[204:207], v250 offset0:33 offset1:34
	v_pk_fma_f32 v[214:215], v[208:209], v[196:197], v[220:221] op_sel:[0,0,1] op_sel_hi:[1,0,0]
	v_pk_fma_f32 v[208:209], v[208:209], v[196:197], v[220:221] op_sel:[0,0,1] op_sel_hi:[1,1,0] neg_lo:[0,0,1] neg_hi:[0,0,1]
	v_mov_b32_e32 v217, v213
	v_pk_fma_f32 v[220:221], v[210:211], v[196:197], v[218:219] op_sel:[0,0,1] op_sel_hi:[1,0,0]
	s_wait_dscnt 0x1
	v_pk_mul_f32 v[222:223], v[200:201], v[198:199] op_sel:[0,1]
	v_pk_fma_f32 v[210:211], v[210:211], v[196:197], v[218:219] op_sel:[0,0,1] op_sel_hi:[1,1,0] neg_lo:[0,0,1] neg_hi:[0,0,1]
	v_mov_b32_e32 v209, v215
	ds_load_2addr_b64 v[212:215], v250 offset0:35 offset1:36
	v_mov_b32_e32 v211, v221
	v_pk_mul_f32 v[218:219], v[202:203], v[198:199] op_sel:[0,1]
	v_pk_add_f32 v[132:133], v[132:133], v[216:217] neg_lo:[0,1] neg_hi:[0,1]
	v_pk_fma_f32 v[216:217], v[200:201], v[196:197], v[222:223] op_sel:[0,0,1] op_sel_hi:[1,0,0]
	v_pk_add_f32 v[128:129], v[128:129], v[208:209] neg_lo:[0,1] neg_hi:[0,1]
	v_pk_add_f32 v[130:131], v[130:131], v[210:211] neg_lo:[0,1] neg_hi:[0,1]
	v_pk_fma_f32 v[210:211], v[200:201], v[196:197], v[222:223] op_sel:[0,0,1] op_sel_hi:[1,1,0] neg_lo:[0,0,1] neg_hi:[0,0,1]
	v_pk_fma_f32 v[208:209], v[202:203], v[196:197], v[218:219] op_sel:[0,0,1] op_sel_hi:[1,0,0]
	v_mov_b32_e32 v211, v217
	v_pk_fma_f32 v[216:217], v[202:203], v[196:197], v[218:219] op_sel:[0,0,1] op_sel_hi:[1,1,0] neg_lo:[0,0,1] neg_hi:[0,0,1]
	ds_load_2addr_b64 v[200:203], v250 offset0:37 offset1:38
	s_wait_dscnt 0x2
	v_mul_f32_e32 v208, v205, v196
	v_mov_b32_e32 v217, v209
	v_pk_add_f32 v[126:127], v[126:127], v[210:211] neg_lo:[0,1] neg_hi:[0,1]
	v_mul_f32_e32 v210, v205, v199
	v_pk_mul_f32 v[218:219], v[206:207], v[198:199] op_sel:[0,1]
	s_delay_alu instid0(VALU_DEP_4) | instskip(SKIP_1) | instid1(VALU_DEP_4)
	v_pk_add_f32 v[160:161], v[160:161], v[216:217] neg_lo:[0,1] neg_hi:[0,1]
	v_pk_fma_f32 v[216:217], v[204:205], v[92:93], v[208:209] op_sel:[1,0,0] op_sel_hi:[0,1,0]
	v_pk_fma_f32 v[204:205], v[204:205], v[92:93], v[210:211] op_sel_hi:[1,1,0] neg_lo:[0,0,1] neg_hi:[0,0,1]
	ds_load_2addr_b64 v[208:211], v250 offset0:39 offset1:40
	s_wait_dscnt 0x2
	v_pk_mul_f32 v[220:221], v[212:213], v[198:199] op_sel:[0,1]
	v_pk_fma_f32 v[222:223], v[206:207], v[196:197], v[218:219] op_sel:[0,0,1] op_sel_hi:[1,0,0]
	v_mov_b32_e32 v205, v217
	v_pk_fma_f32 v[206:207], v[206:207], v[196:197], v[218:219] op_sel:[0,0,1] op_sel_hi:[1,1,0] neg_lo:[0,0,1] neg_hi:[0,0,1]
	v_pk_mul_f32 v[218:219], v[214:215], v[198:199] op_sel:[0,1]
	v_pk_fma_f32 v[216:217], v[212:213], v[196:197], v[220:221] op_sel:[0,0,1] op_sel_hi:[1,0,0]
	v_mov_b32_e32 v207, v223
	v_pk_fma_f32 v[212:213], v[212:213], v[196:197], v[220:221] op_sel:[0,0,1] op_sel_hi:[1,1,0] neg_lo:[0,0,1] neg_hi:[0,0,1]
	v_pk_add_f32 v[152:153], v[152:153], v[204:205] neg_lo:[0,1] neg_hi:[0,1]
	v_pk_fma_f32 v[204:205], v[214:215], v[196:197], v[218:219] op_sel:[0,0,1] op_sel_hi:[1,0,0]
	v_mov_b32_e32 v213, v217
	s_wait_dscnt 0x1
	v_pk_mul_f32 v[216:217], v[200:201], v[198:199] op_sel:[0,1]
	v_pk_add_f32 v[158:159], v[158:159], v[206:207] neg_lo:[0,1] neg_hi:[0,1]
	v_pk_fma_f32 v[206:207], v[214:215], v[196:197], v[218:219] op_sel:[0,0,1] op_sel_hi:[1,1,0] neg_lo:[0,0,1] neg_hi:[0,0,1]
	v_mov_b32_e32 v207, v205
	v_pk_add_f32 v[150:151], v[150:151], v[212:213] neg_lo:[0,1] neg_hi:[0,1]
	v_pk_fma_f32 v[204:205], v[200:201], v[196:197], v[216:217] op_sel:[0,0,1] op_sel_hi:[1,1,0] neg_lo:[0,0,1] neg_hi:[0,0,1]
	v_pk_fma_f32 v[200:201], v[200:201], v[196:197], v[216:217] op_sel:[0,0,1] op_sel_hi:[1,0,0]
	v_dual_mov_b32 v212, v203 :: v_dual_mov_b32 v213, v202
	v_dual_mul_f32 v214, v203, v196 :: v_dual_mul_f32 v200, v203, v199
	s_wait_dscnt 0x0
	v_pk_mul_f32 v[216:217], v[208:209], v[198:199] op_sel:[0,1]
	v_pk_mul_f32 v[198:199], v[210:211], v[198:199] op_sel:[0,1]
	v_pk_add_f32 v[156:157], v[156:157], v[206:207] neg_lo:[0,1] neg_hi:[0,1]
	v_pk_fma_f32 v[212:213], v[212:213], v[92:93], v[214:215] op_sel_hi:[1,1,0]
	v_mov_b32_e32 v205, v201
	v_pk_fma_f32 v[214:215], v[208:209], v[196:197], v[216:217] op_sel:[0,0,1] op_sel_hi:[1,0,0]
	v_pk_fma_f32 v[200:201], v[202:203], v[92:93], v[200:201] op_sel_hi:[1,1,0] neg_lo:[0,0,1] neg_hi:[0,0,1]
	v_pk_fma_f32 v[202:203], v[210:211], v[196:197], v[198:199] op_sel:[0,0,1] op_sel_hi:[1,0,0]
	v_pk_fma_f32 v[208:209], v[208:209], v[196:197], v[216:217] op_sel:[0,0,1] op_sel_hi:[1,1,0] neg_lo:[0,0,1] neg_hi:[0,0,1]
	v_pk_fma_f32 v[196:197], v[210:211], v[196:197], v[198:199] op_sel:[0,0,1] op_sel_hi:[1,1,0] neg_lo:[0,0,1] neg_hi:[0,0,1]
	v_dual_mov_b32 v201, v213 :: v_dual_mov_b32 v209, v215
	s_delay_alu instid0(VALU_DEP_4) | instskip(SKIP_1) | instid1(VALU_DEP_3)
	v_mov_b32_e32 v197, v203
	v_pk_add_f32 v[148:149], v[148:149], v[204:205] neg_lo:[0,1] neg_hi:[0,1]
	v_pk_add_f32 v[154:155], v[154:155], v[200:201] neg_lo:[0,1] neg_hi:[0,1]
	s_delay_alu instid0(VALU_DEP_4) | instskip(NEXT) | instid1(VALU_DEP_4)
	v_pk_add_f32 v[162:163], v[162:163], v[208:209] neg_lo:[0,1] neg_hi:[0,1]
	v_pk_add_f32 v[164:165], v[164:165], v[196:197] neg_lo:[0,1] neg_hi:[0,1]
.LBB81_136:
	s_or_b32 exec_lo, exec_lo, s1
	s_delay_alu instid0(SALU_CYCLE_1)
	s_mov_b32 s2, exec_lo
	s_wait_dscnt 0x0
	s_barrier_signal -1
	s_barrier_wait -1
	v_cmpx_eq_u32_e32 15, v248
	s_cbranch_execz .LBB81_143
; %bb.137:
	v_dual_mov_b32 v196, v118 :: v_dual_mov_b32 v197, v119
	v_dual_mov_b32 v198, v86 :: v_dual_mov_b32 v199, v87
	;; [unrolled: 1-line block ×10, first 2 shown]
	ds_store_b64 v249, v[88:89]
	v_dual_mov_b32 v216, v100 :: v_dual_mov_b32 v217, v101
	v_dual_mov_b32 v218, v96 :: v_dual_mov_b32 v219, v97
	ds_store_2addr_b64 v250, v[196:197], v[198:199] offset0:16 offset1:17
	ds_store_2addr_b64 v250, v[200:201], v[202:203] offset0:18 offset1:19
	;; [unrolled: 1-line block ×6, first 2 shown]
	v_dual_mov_b32 v196, v132 :: v_dual_mov_b32 v197, v133
	v_dual_mov_b32 v198, v128 :: v_dual_mov_b32 v199, v129
	;; [unrolled: 1-line block ×12, first 2 shown]
	ds_store_2addr_b64 v250, v[196:197], v[198:199] offset0:28 offset1:29
	ds_store_2addr_b64 v250, v[200:201], v[202:203] offset0:30 offset1:31
	;; [unrolled: 1-line block ×6, first 2 shown]
	ds_store_b64 v250, v[164:165] offset:320
	ds_load_b64 v[196:197], v249
	s_wait_dscnt 0x0
	v_cmp_neq_f32_e32 vcc_lo, 0, v196
	v_cmp_neq_f32_e64 s1, 0, v197
	s_or_b32 s1, vcc_lo, s1
	s_delay_alu instid0(SALU_CYCLE_1)
	s_and_b32 exec_lo, exec_lo, s1
	s_cbranch_execz .LBB81_143
; %bb.138:
	v_cmp_ngt_f32_e64 s1, |v196|, |v197|
                                        ; implicit-def: $vgpr198_vgpr199
	s_and_saveexec_b32 s4, s1
	s_delay_alu instid0(SALU_CYCLE_1)
	s_xor_b32 s1, exec_lo, s4
	s_cbranch_execz .LBB81_140
; %bb.139:
	v_div_scale_f32 v0, null, v197, v197, v196
	v_div_scale_f32 v5, vcc_lo, v196, v197, v196
	s_delay_alu instid0(VALU_DEP_2) | instskip(SKIP_1) | instid1(TRANS32_DEP_1)
	v_rcp_f32_e32 v1, v0
	v_nop
	v_fma_f32 v4, -v0, v1, 1.0
	s_delay_alu instid0(VALU_DEP_1) | instskip(NEXT) | instid1(VALU_DEP_1)
	v_fmac_f32_e32 v1, v4, v1
	v_mul_f32_e32 v4, v5, v1
	s_delay_alu instid0(VALU_DEP_1) | instskip(NEXT) | instid1(VALU_DEP_1)
	v_fma_f32 v198, -v0, v4, v5
	v_fmac_f32_e32 v4, v198, v1
	s_delay_alu instid0(VALU_DEP_1) | instskip(NEXT) | instid1(VALU_DEP_1)
	v_fma_f32 v0, -v0, v4, v5
	v_div_fmas_f32 v0, v0, v1, v4
	s_delay_alu instid0(VALU_DEP_1) | instskip(NEXT) | instid1(VALU_DEP_1)
	v_div_fixup_f32 v0, v0, v197, v196
	v_fmac_f32_e32 v197, v196, v0
	s_delay_alu instid0(VALU_DEP_1) | instskip(SKIP_1) | instid1(VALU_DEP_2)
	v_div_scale_f32 v1, null, v197, v197, 1.0
	v_div_scale_f32 v196, vcc_lo, 1.0, v197, 1.0
	v_rcp_f32_e32 v4, v1
	v_nop
	s_delay_alu instid0(TRANS32_DEP_1) | instskip(NEXT) | instid1(VALU_DEP_1)
	v_fma_f32 v5, -v1, v4, 1.0
	v_fmac_f32_e32 v4, v5, v4
	s_delay_alu instid0(VALU_DEP_1) | instskip(NEXT) | instid1(VALU_DEP_1)
	v_mul_f32_e32 v5, v196, v4
	v_fma_f32 v198, -v1, v5, v196
	s_delay_alu instid0(VALU_DEP_1) | instskip(NEXT) | instid1(VALU_DEP_1)
	v_fmac_f32_e32 v5, v198, v4
	v_fma_f32 v1, -v1, v5, v196
	s_delay_alu instid0(VALU_DEP_1) | instskip(NEXT) | instid1(VALU_DEP_1)
	v_div_fmas_f32 v1, v1, v4, v5
	v_div_fixup_f32 v1, v1, v197, 1.0
                                        ; implicit-def: $vgpr196_vgpr197
	s_delay_alu instid0(VALU_DEP_1)
	v_mul_f32_e32 v198, v0, v1
	v_xor_b32_e32 v199, 0x80000000, v1
.LBB81_140:
	s_and_not1_saveexec_b32 s1, s1
	s_cbranch_execz .LBB81_142
; %bb.141:
	v_div_scale_f32 v0, null, v196, v196, v197
	v_div_scale_f32 v5, vcc_lo, v197, v196, v197
	s_delay_alu instid0(VALU_DEP_2) | instskip(SKIP_1) | instid1(TRANS32_DEP_1)
	v_rcp_f32_e32 v1, v0
	v_nop
	v_fma_f32 v4, -v0, v1, 1.0
	s_delay_alu instid0(VALU_DEP_1) | instskip(NEXT) | instid1(VALU_DEP_1)
	v_fmac_f32_e32 v1, v4, v1
	v_mul_f32_e32 v4, v5, v1
	s_delay_alu instid0(VALU_DEP_1) | instskip(NEXT) | instid1(VALU_DEP_1)
	v_fma_f32 v198, -v0, v4, v5
	v_fmac_f32_e32 v4, v198, v1
	s_delay_alu instid0(VALU_DEP_1) | instskip(NEXT) | instid1(VALU_DEP_1)
	v_fma_f32 v0, -v0, v4, v5
	v_div_fmas_f32 v0, v0, v1, v4
	s_delay_alu instid0(VALU_DEP_1) | instskip(NEXT) | instid1(VALU_DEP_1)
	v_div_fixup_f32 v0, v0, v196, v197
	v_fmac_f32_e32 v196, v197, v0
	s_delay_alu instid0(VALU_DEP_1) | instskip(NEXT) | instid1(VALU_DEP_1)
	v_div_scale_f32 v1, null, v196, v196, 1.0
	v_rcp_f32_e32 v4, v1
	v_nop
	s_delay_alu instid0(TRANS32_DEP_1) | instskip(NEXT) | instid1(VALU_DEP_1)
	v_fma_f32 v5, -v1, v4, 1.0
	v_fmac_f32_e32 v4, v5, v4
	v_div_scale_f32 v5, vcc_lo, 1.0, v196, 1.0
	s_delay_alu instid0(VALU_DEP_1) | instskip(NEXT) | instid1(VALU_DEP_1)
	v_mul_f32_e32 v197, v5, v4
	v_fma_f32 v198, -v1, v197, v5
	s_delay_alu instid0(VALU_DEP_1) | instskip(NEXT) | instid1(VALU_DEP_1)
	v_fmac_f32_e32 v197, v198, v4
	v_fma_f32 v1, -v1, v197, v5
	s_delay_alu instid0(VALU_DEP_1) | instskip(NEXT) | instid1(VALU_DEP_1)
	v_div_fmas_f32 v1, v1, v4, v197
	v_div_fixup_f32 v198, v1, v196, 1.0
	s_delay_alu instid0(VALU_DEP_1)
	v_mul_f32_e64 v199, v0, -v198
.LBB81_142:
	s_or_b32 exec_lo, exec_lo, s1
	ds_store_b64 v249, v[198:199]
.LBB81_143:
	s_or_b32 exec_lo, exec_lo, s2
	s_wait_dscnt 0x0
	s_barrier_signal -1
	s_barrier_wait -1
	ds_load_b64 v[196:197], v249
	s_mov_b32 s1, exec_lo
	v_cmpx_lt_u32_e32 15, v248
	s_cbranch_execz .LBB81_145
; %bb.144:
	ds_load_2addr_b64 v[202:205], v250 offset0:16 offset1:17
	ds_load_2addr_b64 v[206:209], v250 offset0:18 offset1:19
	;; [unrolled: 1-line block ×3, first 2 shown]
	s_wait_dscnt 0x3
	v_pk_mul_f32 v[200:201], v[196:197], v[88:89] op_sel:[1,1] op_sel_hi:[0,1]
	ds_load_2addr_b64 v[214:217], v250 offset0:22 offset1:23
	ds_load_2addr_b64 v[218:221], v250 offset0:24 offset1:25
	v_pk_fma_f32 v[198:199], v[196:197], v[88:89], v[200:201] op_sel_hi:[1,0,1] neg_lo:[0,0,1] neg_hi:[0,0,1]
	v_pk_fma_f32 v[200:201], v[196:197], v[88:89], v[200:201] op_sel_hi:[1,0,1]
	s_delay_alu instid0(VALU_DEP_1) | instskip(SKIP_1) | instid1(VALU_DEP_2)
	v_dual_mov_b32 v88, v198 :: v_dual_mov_b32 v89, v201
	s_wait_dscnt 0x4
	v_pk_mul_f32 v[222:223], v[202:203], v[200:201] op_sel:[0,1]
	v_pk_mul_f32 v[224:225], v[204:205], v[200:201] op_sel:[0,1]
	s_wait_dscnt 0x3
	v_pk_mul_f32 v[226:227], v[206:207], v[200:201] op_sel:[0,1]
	v_dual_mov_b32 v228, v209 :: v_dual_mov_b32 v229, v208
	v_dual_mul_f32 v230, v209, v201 :: v_dual_mul_f32 v232, v209, v198
	s_wait_dscnt 0x2
	v_pk_mul_f32 v[234:235], v[210:211], v[200:201] op_sel:[0,1]
	v_pk_mul_f32 v[236:237], v[212:213], v[200:201] op_sel:[0,1]
	v_pk_fma_f32 v[238:239], v[202:203], v[198:199], v[222:223] op_sel:[0,0,1] op_sel_hi:[1,1,0] neg_lo:[0,0,1] neg_hi:[0,0,1]
	v_pk_fma_f32 v[202:203], v[202:203], v[198:199], v[222:223] op_sel:[0,0,1] op_sel_hi:[1,0,0]
	v_pk_fma_f32 v[222:223], v[204:205], v[198:199], v[224:225] op_sel:[0,0,1] op_sel_hi:[1,1,0] neg_lo:[0,0,1] neg_hi:[0,0,1]
	v_pk_fma_f32 v[204:205], v[204:205], v[198:199], v[224:225] op_sel:[0,0,1] op_sel_hi:[1,0,0]
	;; [unrolled: 2-line block ×3, first 2 shown]
	v_pk_fma_f32 v[226:227], v[228:229], v[88:89], v[232:233] op_sel_hi:[1,1,0]
	v_pk_fma_f32 v[228:229], v[210:211], v[198:199], v[234:235] op_sel:[0,0,1] op_sel_hi:[1,0,0]
	v_dual_mov_b32 v239, v203 :: v_dual_mov_b32 v223, v205
	v_pk_fma_f32 v[202:203], v[212:213], v[198:199], v[236:237] op_sel:[0,0,1] op_sel_hi:[1,0,0]
	v_pk_fma_f32 v[208:209], v[208:209], v[88:89], v[230:231] op_sel_hi:[1,1,0] neg_lo:[0,0,1] neg_hi:[0,0,1]
	v_dual_mov_b32 v225, v207 :: v_dual_mov_b32 v209, v227
	v_pk_fma_f32 v[206:207], v[210:211], v[198:199], v[234:235] op_sel:[0,0,1] op_sel_hi:[1,1,0] neg_lo:[0,0,1] neg_hi:[0,0,1]
	v_pk_fma_f32 v[210:211], v[212:213], v[198:199], v[236:237] op_sel:[0,0,1] op_sel_hi:[1,1,0] neg_lo:[0,0,1] neg_hi:[0,0,1]
	v_dual_mov_b32 v207, v229 :: v_dual_mov_b32 v211, v203
	ds_load_2addr_b64 v[202:205], v250 offset0:26 offset1:27
	v_pk_add_f32 v[86:87], v[86:87], v[222:223] neg_lo:[0,1] neg_hi:[0,1]
	s_wait_dscnt 0x2
	v_pk_mul_f32 v[212:213], v[214:215], v[200:201] op_sel:[0,1]
	v_pk_add_f32 v[114:115], v[114:115], v[208:209] neg_lo:[0,1] neg_hi:[0,1]
	v_pk_add_f32 v[146:147], v[146:147], v[206:207] neg_lo:[0,1] neg_hi:[0,1]
	v_pk_mul_f32 v[222:223], v[216:217], v[200:201] op_sel:[0,1]
	ds_load_2addr_b64 v[206:209], v250 offset0:28 offset1:29
	v_pk_add_f32 v[116:117], v[116:117], v[224:225] neg_lo:[0,1] neg_hi:[0,1]
	v_pk_add_f32 v[112:113], v[112:113], v[210:211] neg_lo:[0,1] neg_hi:[0,1]
	v_pk_fma_f32 v[210:211], v[214:215], v[198:199], v[212:213] op_sel:[0,0,1] op_sel_hi:[1,1,0] neg_lo:[0,0,1] neg_hi:[0,0,1]
	s_wait_dscnt 0x2
	v_mul_f32_e32 v224, v219, v198
	v_pk_fma_f32 v[212:213], v[214:215], v[198:199], v[212:213] op_sel:[0,0,1] op_sel_hi:[1,0,0]
	v_pk_fma_f32 v[214:215], v[216:217], v[198:199], v[222:223] op_sel:[0,0,1] op_sel_hi:[1,0,0]
	v_mul_f32_e32 v212, v219, v201
	v_pk_fma_f32 v[216:217], v[216:217], v[198:199], v[222:223] op_sel:[0,0,1] op_sel_hi:[1,1,0] neg_lo:[0,0,1] neg_hi:[0,0,1]
	v_pk_fma_f32 v[224:225], v[218:219], v[88:89], v[224:225] op_sel:[1,0,0] op_sel_hi:[0,1,0]
	s_delay_alu instid0(VALU_DEP_4)
	v_dual_mov_b32 v211, v213 :: v_dual_mov_b32 v217, v215
	v_pk_mul_f32 v[214:215], v[220:221], v[200:201] op_sel:[0,1]
	v_pk_fma_f32 v[212:213], v[218:219], v[88:89], v[212:213] op_sel_hi:[1,1,0] neg_lo:[0,0,1] neg_hi:[0,0,1]
	s_wait_dscnt 0x1
	v_pk_mul_f32 v[218:219], v[202:203], v[200:201] op_sel:[0,1]
	v_pk_add_f32 v[144:145], v[144:145], v[210:211] neg_lo:[0,1] neg_hi:[0,1]
	v_pk_add_f32 v[76:77], v[76:77], v[216:217] neg_lo:[0,1] neg_hi:[0,1]
	v_pk_fma_f32 v[216:217], v[220:221], v[198:199], v[214:215] op_sel:[0,0,1] op_sel_hi:[1,0,0]
	v_mov_b32_e32 v213, v225
	v_pk_fma_f32 v[220:221], v[220:221], v[198:199], v[214:215] op_sel:[0,0,1] op_sel_hi:[1,1,0] neg_lo:[0,0,1] neg_hi:[0,0,1]
	v_pk_fma_f32 v[214:215], v[202:203], v[198:199], v[218:219] op_sel:[0,0,1] op_sel_hi:[1,0,0]
	v_pk_fma_f32 v[202:203], v[202:203], v[198:199], v[218:219] op_sel:[0,0,1] op_sel_hi:[1,1,0] neg_lo:[0,0,1] neg_hi:[0,0,1]
	v_mov_b32_e32 v221, v217
	v_pk_add_f32 v[102:103], v[102:103], v[212:213] neg_lo:[0,1] neg_hi:[0,1]
	ds_load_2addr_b64 v[210:213], v250 offset0:30 offset1:31
	s_wait_dscnt 0x1
	v_pk_mul_f32 v[218:219], v[206:207], v[200:201] op_sel:[0,1]
	v_pk_mul_f32 v[222:223], v[204:205], v[200:201] op_sel:[0,1]
	v_pk_add_f32 v[98:99], v[98:99], v[220:221] neg_lo:[0,1] neg_hi:[0,1]
	v_pk_add_f32 v[118:119], v[118:119], v[238:239] neg_lo:[0,1] neg_hi:[0,1]
	s_delay_alu instid0(VALU_DEP_4)
	v_pk_fma_f32 v[220:221], v[206:207], v[198:199], v[218:219] op_sel:[0,0,1] op_sel_hi:[1,0,0]
	v_mov_b32_e32 v203, v215
	ds_load_2addr_b64 v[214:217], v250 offset0:32 offset1:33
	v_pk_fma_f32 v[224:225], v[204:205], v[198:199], v[222:223] op_sel:[0,0,1] op_sel_hi:[1,0,0]
	v_mul_f32_e32 v220, v209, v198
	v_pk_add_f32 v[100:101], v[100:101], v[202:203] neg_lo:[0,1] neg_hi:[0,1]
	v_pk_fma_f32 v[202:203], v[204:205], v[198:199], v[222:223] op_sel:[0,0,1] op_sel_hi:[1,1,0] neg_lo:[0,0,1] neg_hi:[0,0,1]
	v_pk_fma_f32 v[204:205], v[206:207], v[198:199], v[218:219] op_sel:[0,0,1] op_sel_hi:[1,1,0] neg_lo:[0,0,1] neg_hi:[0,0,1]
	v_dual_mov_b32 v203, v225 :: v_dual_mov_b32 v206, v209
	v_dual_mov_b32 v205, v221 :: v_dual_mov_b32 v207, v208
	v_mul_f32_e32 v218, v209, v201
	s_wait_dscnt 0x1
	v_pk_mul_f32 v[222:223], v[210:211], v[200:201] op_sel:[0,1]
	v_pk_add_f32 v[96:97], v[96:97], v[202:203] neg_lo:[0,1] neg_hi:[0,1]
	v_pk_add_f32 v[132:133], v[132:133], v[204:205] neg_lo:[0,1] neg_hi:[0,1]
	ds_load_2addr_b64 v[202:205], v250 offset0:34 offset1:35
	v_pk_fma_f32 v[218:219], v[208:209], v[88:89], v[218:219] op_sel_hi:[1,1,0] neg_lo:[0,0,1] neg_hi:[0,0,1]
	v_pk_fma_f32 v[206:207], v[206:207], v[88:89], v[220:221] op_sel_hi:[1,1,0]
	v_pk_mul_f32 v[208:209], v[212:213], v[200:201] op_sel:[0,1]
	v_pk_fma_f32 v[220:221], v[210:211], v[198:199], v[222:223] op_sel:[0,0,1] op_sel_hi:[1,0,0]
	s_wait_dscnt 0x1
	v_pk_mul_f32 v[224:225], v[214:215], v[200:201] op_sel:[0,1]
	v_pk_fma_f32 v[210:211], v[210:211], v[198:199], v[222:223] op_sel:[0,0,1] op_sel_hi:[1,1,0] neg_lo:[0,0,1] neg_hi:[0,0,1]
	v_mov_b32_e32 v219, v207
	v_pk_fma_f32 v[222:223], v[212:213], v[198:199], v[208:209] op_sel:[0,0,1] op_sel_hi:[1,0,0]
	v_pk_fma_f32 v[212:213], v[212:213], v[198:199], v[208:209] op_sel:[0,0,1] op_sel_hi:[1,1,0] neg_lo:[0,0,1] neg_hi:[0,0,1]
	ds_load_2addr_b64 v[206:209], v250 offset0:36 offset1:37
	v_mov_b32_e32 v211, v221
	v_pk_fma_f32 v[220:221], v[214:215], v[198:199], v[224:225] op_sel:[0,0,1] op_sel_hi:[1,0,0]
	v_mov_b32_e32 v213, v223
	v_pk_fma_f32 v[214:215], v[214:215], v[198:199], v[224:225] op_sel:[0,0,1] op_sel_hi:[1,1,0] neg_lo:[0,0,1] neg_hi:[0,0,1]
	ds_load_b64 v[224:225], v250 offset:320
	v_pk_add_f32 v[130:131], v[130:131], v[210:211] neg_lo:[0,1] neg_hi:[0,1]
	v_mov_b32_e32 v215, v221
	v_pk_mul_f32 v[220:221], v[216:217], v[200:201] op_sel:[0,1]
	v_pk_add_f32 v[126:127], v[126:127], v[212:213] neg_lo:[0,1] neg_hi:[0,1]
	ds_load_2addr_b64 v[210:213], v250 offset0:38 offset1:39
	v_pk_add_f32 v[128:129], v[128:129], v[218:219] neg_lo:[0,1] neg_hi:[0,1]
	v_pk_add_f32 v[160:161], v[160:161], v[214:215] neg_lo:[0,1] neg_hi:[0,1]
	v_pk_fma_f32 v[214:215], v[216:217], v[198:199], v[220:221] op_sel:[0,0,1] op_sel_hi:[1,1,0] neg_lo:[0,0,1] neg_hi:[0,0,1]
	v_pk_fma_f32 v[216:217], v[216:217], v[198:199], v[220:221] op_sel:[0,0,1] op_sel_hi:[1,0,0]
	s_wait_dscnt 0x3
	v_mul_f32_e32 v216, v203, v198
	v_pk_mul_f32 v[218:219], v[204:205], v[200:201] op_sel:[0,1]
	s_delay_alu instid0(VALU_DEP_3) | instskip(NEXT) | instid1(VALU_DEP_3)
	v_dual_mul_f32 v220, v203, v201 :: v_dual_mov_b32 v215, v217
	v_pk_fma_f32 v[216:217], v[202:203], v[88:89], v[216:217] op_sel:[1,0,0] op_sel_hi:[0,1,0]
	s_delay_alu instid0(VALU_DEP_3) | instskip(NEXT) | instid1(VALU_DEP_3)
	v_pk_fma_f32 v[222:223], v[204:205], v[198:199], v[218:219] op_sel:[0,0,1] op_sel_hi:[1,0,0]
	v_pk_fma_f32 v[202:203], v[202:203], v[88:89], v[220:221] op_sel_hi:[1,1,0] neg_lo:[0,0,1] neg_hi:[0,0,1]
	s_wait_dscnt 0x2
	v_pk_mul_f32 v[220:221], v[206:207], v[200:201] op_sel:[0,1]
	v_pk_fma_f32 v[204:205], v[204:205], v[198:199], v[218:219] op_sel:[0,0,1] op_sel_hi:[1,1,0] neg_lo:[0,0,1] neg_hi:[0,0,1]
	v_dual_mov_b32 v203, v217 :: v_dual_mov_b32 v205, v223
	v_pk_mul_f32 v[216:217], v[208:209], v[200:201] op_sel:[0,1]
	v_pk_add_f32 v[152:153], v[152:153], v[214:215] neg_lo:[0,1] neg_hi:[0,1]
	v_pk_fma_f32 v[214:215], v[206:207], v[198:199], v[220:221] op_sel:[0,0,1] op_sel_hi:[1,0,0]
	s_delay_alu instid0(VALU_DEP_4)
	v_pk_add_f32 v[158:159], v[158:159], v[202:203] neg_lo:[0,1] neg_hi:[0,1]
	v_pk_fma_f32 v[202:203], v[206:207], v[198:199], v[220:221] op_sel:[0,0,1] op_sel_hi:[1,1,0] neg_lo:[0,0,1] neg_hi:[0,0,1]
	v_pk_fma_f32 v[206:207], v[208:209], v[198:199], v[216:217] op_sel:[0,0,1] op_sel_hi:[1,0,0]
	v_pk_add_f32 v[150:151], v[150:151], v[204:205] neg_lo:[0,1] neg_hi:[0,1]
	s_wait_dscnt 0x0
	v_dual_mov_b32 v203, v215 :: v_dual_mov_b32 v214, v213
	v_pk_fma_f32 v[204:205], v[208:209], v[198:199], v[216:217] op_sel:[0,0,1] op_sel_hi:[1,1,0] neg_lo:[0,0,1] neg_hi:[0,0,1]
	v_pk_mul_f32 v[208:209], v[210:211], v[200:201] op_sel:[0,1]
	v_dual_mov_b32 v215, v212 :: v_dual_mul_f32 v206, v213, v198
	v_pk_mul_f32 v[216:217], v[224:225], v[200:201] op_sel:[0,1]
	v_dual_mov_b32 v205, v207 :: v_dual_mul_f32 v200, v213, v201
	s_delay_alu instid0(VALU_DEP_4) | instskip(NEXT) | instid1(VALU_DEP_4)
	v_pk_fma_f32 v[218:219], v[210:211], v[198:199], v[208:209] op_sel:[0,0,1] op_sel_hi:[1,0,0]
	v_pk_fma_f32 v[206:207], v[214:215], v[88:89], v[206:207] op_sel_hi:[1,1,0]
	v_pk_fma_f32 v[208:209], v[210:211], v[198:199], v[208:209] op_sel:[0,0,1] op_sel_hi:[1,1,0] neg_lo:[0,0,1] neg_hi:[0,0,1]
	v_pk_fma_f32 v[210:211], v[224:225], v[198:199], v[216:217] op_sel:[0,0,1] op_sel_hi:[1,0,0]
	v_pk_fma_f32 v[200:201], v[212:213], v[88:89], v[200:201] op_sel_hi:[1,1,0] neg_lo:[0,0,1] neg_hi:[0,0,1]
	v_pk_fma_f32 v[198:199], v[224:225], v[198:199], v[216:217] op_sel:[0,0,1] op_sel_hi:[1,1,0] neg_lo:[0,0,1] neg_hi:[0,0,1]
	v_dual_mov_b32 v209, v219 :: v_dual_mov_b32 v201, v207
	s_delay_alu instid0(VALU_DEP_4) | instskip(SKIP_2) | instid1(VALU_DEP_4)
	v_mov_b32_e32 v199, v211
	v_pk_add_f32 v[156:157], v[156:157], v[202:203] neg_lo:[0,1] neg_hi:[0,1]
	v_pk_add_f32 v[148:149], v[148:149], v[204:205] neg_lo:[0,1] neg_hi:[0,1]
	v_pk_add_f32 v[154:155], v[154:155], v[208:209] neg_lo:[0,1] neg_hi:[0,1]
	v_pk_add_f32 v[162:163], v[162:163], v[200:201] neg_lo:[0,1] neg_hi:[0,1]
	v_pk_add_f32 v[164:165], v[164:165], v[198:199] neg_lo:[0,1] neg_hi:[0,1]
.LBB81_145:
	s_or_b32 exec_lo, exec_lo, s1
	s_delay_alu instid0(SALU_CYCLE_1)
	s_mov_b32 s2, exec_lo
	s_wait_dscnt 0x0
	s_barrier_signal -1
	s_barrier_wait -1
	v_cmpx_eq_u32_e32 16, v248
	s_cbranch_execz .LBB81_152
; %bb.146:
	ds_store_b64 v249, v[118:119]
	ds_store_2addr_b64 v250, v[86:87], v[116:117] offset0:17 offset1:18
	ds_store_2addr_b64 v250, v[114:115], v[146:147] offset0:19 offset1:20
	;; [unrolled: 1-line block ×12, first 2 shown]
	ds_load_b64 v[198:199], v249
	s_wait_dscnt 0x0
	v_cmp_neq_f32_e32 vcc_lo, 0, v198
	v_cmp_neq_f32_e64 s1, 0, v199
	s_or_b32 s1, vcc_lo, s1
	s_delay_alu instid0(SALU_CYCLE_1)
	s_and_b32 exec_lo, exec_lo, s1
	s_cbranch_execz .LBB81_152
; %bb.147:
	v_cmp_ngt_f32_e64 s1, |v198|, |v199|
                                        ; implicit-def: $vgpr200_vgpr201
	s_and_saveexec_b32 s4, s1
	s_delay_alu instid0(SALU_CYCLE_1)
	s_xor_b32 s1, exec_lo, s4
	s_cbranch_execz .LBB81_149
; %bb.148:
	v_div_scale_f32 v0, null, v199, v199, v198
	v_div_scale_f32 v5, vcc_lo, v198, v199, v198
	s_delay_alu instid0(VALU_DEP_2) | instskip(SKIP_1) | instid1(TRANS32_DEP_1)
	v_rcp_f32_e32 v1, v0
	v_nop
	v_fma_f32 v4, -v0, v1, 1.0
	s_delay_alu instid0(VALU_DEP_1) | instskip(NEXT) | instid1(VALU_DEP_1)
	v_fmac_f32_e32 v1, v4, v1
	v_mul_f32_e32 v4, v5, v1
	s_delay_alu instid0(VALU_DEP_1) | instskip(NEXT) | instid1(VALU_DEP_1)
	v_fma_f32 v200, -v0, v4, v5
	v_fmac_f32_e32 v4, v200, v1
	s_delay_alu instid0(VALU_DEP_1) | instskip(NEXT) | instid1(VALU_DEP_1)
	v_fma_f32 v0, -v0, v4, v5
	v_div_fmas_f32 v0, v0, v1, v4
	s_delay_alu instid0(VALU_DEP_1) | instskip(NEXT) | instid1(VALU_DEP_1)
	v_div_fixup_f32 v0, v0, v199, v198
	v_fmac_f32_e32 v199, v198, v0
	s_delay_alu instid0(VALU_DEP_1) | instskip(SKIP_1) | instid1(VALU_DEP_2)
	v_div_scale_f32 v1, null, v199, v199, 1.0
	v_div_scale_f32 v198, vcc_lo, 1.0, v199, 1.0
	v_rcp_f32_e32 v4, v1
	v_nop
	s_delay_alu instid0(TRANS32_DEP_1) | instskip(NEXT) | instid1(VALU_DEP_1)
	v_fma_f32 v5, -v1, v4, 1.0
	v_fmac_f32_e32 v4, v5, v4
	s_delay_alu instid0(VALU_DEP_1) | instskip(NEXT) | instid1(VALU_DEP_1)
	v_mul_f32_e32 v5, v198, v4
	v_fma_f32 v200, -v1, v5, v198
	s_delay_alu instid0(VALU_DEP_1) | instskip(NEXT) | instid1(VALU_DEP_1)
	v_fmac_f32_e32 v5, v200, v4
	v_fma_f32 v1, -v1, v5, v198
	s_delay_alu instid0(VALU_DEP_1) | instskip(NEXT) | instid1(VALU_DEP_1)
	v_div_fmas_f32 v1, v1, v4, v5
	v_div_fixup_f32 v1, v1, v199, 1.0
                                        ; implicit-def: $vgpr198_vgpr199
	s_delay_alu instid0(VALU_DEP_1)
	v_mul_f32_e32 v200, v0, v1
	v_xor_b32_e32 v201, 0x80000000, v1
.LBB81_149:
	s_and_not1_saveexec_b32 s1, s1
	s_cbranch_execz .LBB81_151
; %bb.150:
	v_div_scale_f32 v0, null, v198, v198, v199
	v_div_scale_f32 v5, vcc_lo, v199, v198, v199
	s_delay_alu instid0(VALU_DEP_2) | instskip(SKIP_1) | instid1(TRANS32_DEP_1)
	v_rcp_f32_e32 v1, v0
	v_nop
	v_fma_f32 v4, -v0, v1, 1.0
	s_delay_alu instid0(VALU_DEP_1) | instskip(NEXT) | instid1(VALU_DEP_1)
	v_fmac_f32_e32 v1, v4, v1
	v_mul_f32_e32 v4, v5, v1
	s_delay_alu instid0(VALU_DEP_1) | instskip(NEXT) | instid1(VALU_DEP_1)
	v_fma_f32 v200, -v0, v4, v5
	v_fmac_f32_e32 v4, v200, v1
	s_delay_alu instid0(VALU_DEP_1) | instskip(NEXT) | instid1(VALU_DEP_1)
	v_fma_f32 v0, -v0, v4, v5
	v_div_fmas_f32 v0, v0, v1, v4
	s_delay_alu instid0(VALU_DEP_1) | instskip(NEXT) | instid1(VALU_DEP_1)
	v_div_fixup_f32 v0, v0, v198, v199
	v_fmac_f32_e32 v198, v199, v0
	s_delay_alu instid0(VALU_DEP_1) | instskip(NEXT) | instid1(VALU_DEP_1)
	v_div_scale_f32 v1, null, v198, v198, 1.0
	v_rcp_f32_e32 v4, v1
	v_nop
	s_delay_alu instid0(TRANS32_DEP_1) | instskip(NEXT) | instid1(VALU_DEP_1)
	v_fma_f32 v5, -v1, v4, 1.0
	v_fmac_f32_e32 v4, v5, v4
	v_div_scale_f32 v5, vcc_lo, 1.0, v198, 1.0
	s_delay_alu instid0(VALU_DEP_1) | instskip(NEXT) | instid1(VALU_DEP_1)
	v_mul_f32_e32 v199, v5, v4
	v_fma_f32 v200, -v1, v199, v5
	s_delay_alu instid0(VALU_DEP_1) | instskip(NEXT) | instid1(VALU_DEP_1)
	v_fmac_f32_e32 v199, v200, v4
	v_fma_f32 v1, -v1, v199, v5
	s_delay_alu instid0(VALU_DEP_1) | instskip(NEXT) | instid1(VALU_DEP_1)
	v_div_fmas_f32 v1, v1, v4, v199
	v_div_fixup_f32 v200, v1, v198, 1.0
	s_delay_alu instid0(VALU_DEP_1)
	v_mul_f32_e64 v201, v0, -v200
.LBB81_151:
	s_or_b32 exec_lo, exec_lo, s1
	ds_store_b64 v249, v[200:201]
.LBB81_152:
	s_or_b32 exec_lo, exec_lo, s2
	s_wait_dscnt 0x0
	s_barrier_signal -1
	s_barrier_wait -1
	ds_load_b64 v[198:199], v249
	s_mov_b32 s1, exec_lo
	v_cmpx_lt_u32_e32 16, v248
	s_cbranch_execz .LBB81_154
; %bb.153:
	ds_load_2addr_b64 v[204:207], v250 offset0:17 offset1:18
	ds_load_2addr_b64 v[208:211], v250 offset0:19 offset1:20
	;; [unrolled: 1-line block ×3, first 2 shown]
	s_wait_dscnt 0x3
	v_pk_mul_f32 v[202:203], v[198:199], v[118:119] op_sel:[1,1] op_sel_hi:[0,1]
	ds_load_2addr_b64 v[216:219], v250 offset0:23 offset1:24
	ds_load_2addr_b64 v[220:223], v250 offset0:25 offset1:26
	v_pk_fma_f32 v[200:201], v[198:199], v[118:119], v[202:203] op_sel_hi:[1,0,1] neg_lo:[0,0,1] neg_hi:[0,0,1]
	v_pk_fma_f32 v[202:203], v[198:199], v[118:119], v[202:203] op_sel_hi:[1,0,1]
	s_delay_alu instid0(VALU_DEP_1) | instskip(SKIP_1) | instid1(VALU_DEP_2)
	v_dual_mov_b32 v118, v200 :: v_dual_mov_b32 v119, v203
	s_wait_dscnt 0x4
	v_pk_mul_f32 v[224:225], v[204:205], v[202:203] op_sel:[0,1]
	v_pk_mul_f32 v[226:227], v[206:207], v[202:203] op_sel:[0,1]
	s_wait_dscnt 0x3
	v_pk_mul_f32 v[228:229], v[208:209], v[202:203] op_sel:[0,1]
	v_dual_mov_b32 v230, v211 :: v_dual_mov_b32 v231, v210
	v_dual_mul_f32 v232, v211, v203 :: v_dual_mul_f32 v234, v211, v200
	s_wait_dscnt 0x2
	v_pk_mul_f32 v[236:237], v[212:213], v[202:203] op_sel:[0,1]
	v_pk_mul_f32 v[238:239], v[214:215], v[202:203] op_sel:[0,1]
	v_pk_fma_f32 v[240:241], v[204:205], v[200:201], v[224:225] op_sel:[0,0,1] op_sel_hi:[1,1,0] neg_lo:[0,0,1] neg_hi:[0,0,1]
	v_pk_fma_f32 v[204:205], v[204:205], v[200:201], v[224:225] op_sel:[0,0,1] op_sel_hi:[1,0,0]
	v_pk_fma_f32 v[224:225], v[206:207], v[200:201], v[226:227] op_sel:[0,0,1] op_sel_hi:[1,1,0] neg_lo:[0,0,1] neg_hi:[0,0,1]
	v_pk_fma_f32 v[206:207], v[206:207], v[200:201], v[226:227] op_sel:[0,0,1] op_sel_hi:[1,0,0]
	;; [unrolled: 2-line block ×3, first 2 shown]
	v_pk_fma_f32 v[228:229], v[230:231], v[118:119], v[234:235] op_sel_hi:[1,1,0]
	v_pk_fma_f32 v[210:211], v[210:211], v[118:119], v[232:233] op_sel_hi:[1,1,0] neg_lo:[0,0,1] neg_hi:[0,0,1]
	v_pk_fma_f32 v[230:231], v[212:213], v[200:201], v[236:237] op_sel:[0,0,1] op_sel_hi:[1,1,0] neg_lo:[0,0,1] neg_hi:[0,0,1]
	v_dual_mov_b32 v241, v205 :: v_dual_mov_b32 v225, v207
	s_delay_alu instid0(VALU_DEP_4)
	v_dual_mov_b32 v227, v209 :: v_dual_mov_b32 v211, v229
	v_pk_fma_f32 v[204:205], v[212:213], v[200:201], v[236:237] op_sel:[0,0,1] op_sel_hi:[1,0,0]
	v_pk_fma_f32 v[208:209], v[214:215], v[200:201], v[238:239] op_sel:[0,0,1] op_sel_hi:[1,0,0]
	v_pk_fma_f32 v[212:213], v[214:215], v[200:201], v[238:239] op_sel:[0,0,1] op_sel_hi:[1,1,0] neg_lo:[0,0,1] neg_hi:[0,0,1]
	s_wait_dscnt 0x1
	v_pk_mul_f32 v[214:215], v[216:217], v[202:203] op_sel:[0,1]
	v_pk_add_f32 v[146:147], v[146:147], v[210:211] neg_lo:[0,1] neg_hi:[0,1]
	v_dual_mov_b32 v231, v205 :: v_dual_mov_b32 v213, v209
	ds_load_2addr_b64 v[204:207], v250 offset0:27 offset1:28
	v_pk_fma_f32 v[210:211], v[216:217], v[200:201], v[214:215] op_sel:[0,0,1] op_sel_hi:[1,0,0]
	v_pk_mul_f32 v[208:209], v[218:219], v[202:203] op_sel:[0,1]
	v_pk_fma_f32 v[214:215], v[216:217], v[200:201], v[214:215] op_sel:[0,0,1] op_sel_hi:[1,1,0] neg_lo:[0,0,1] neg_hi:[0,0,1]
	v_pk_add_f32 v[144:145], v[144:145], v[212:213] neg_lo:[0,1] neg_hi:[0,1]
	v_pk_add_f32 v[116:117], v[116:117], v[224:225] neg_lo:[0,1] neg_hi:[0,1]
	v_mov_b32_e32 v215, v211
	v_pk_fma_f32 v[212:213], v[218:219], v[200:201], v[208:209] op_sel:[0,0,1] op_sel_hi:[1,0,0]
	s_wait_dscnt 0x1
	v_mul_f32_e32 v212, v221, v200
	v_pk_fma_f32 v[216:217], v[218:219], v[200:201], v[208:209] op_sel:[0,0,1] op_sel_hi:[1,1,0] neg_lo:[0,0,1] neg_hi:[0,0,1]
	ds_load_2addr_b64 v[208:211], v250 offset0:29 offset1:30
	v_pk_add_f32 v[76:77], v[76:77], v[214:215] neg_lo:[0,1] neg_hi:[0,1]
	v_pk_mul_f32 v[214:215], v[222:223], v[202:203] op_sel:[0,1]
	v_mul_f32_e32 v218, v221, v203
	v_pk_add_f32 v[114:115], v[114:115], v[226:227] neg_lo:[0,1] neg_hi:[0,1]
	v_pk_add_f32 v[86:87], v[86:87], v[240:241] neg_lo:[0,1] neg_hi:[0,1]
	;; [unrolled: 1-line block ×3, first 2 shown]
	v_pk_fma_f32 v[224:225], v[222:223], v[200:201], v[214:215] op_sel:[0,0,1] op_sel_hi:[1,0,0]
	v_mov_b32_e32 v217, v213
	v_pk_fma_f32 v[222:223], v[222:223], v[200:201], v[214:215] op_sel:[0,0,1] op_sel_hi:[1,1,0] neg_lo:[0,0,1] neg_hi:[0,0,1]
	v_pk_fma_f32 v[212:213], v[220:221], v[118:119], v[212:213] op_sel:[1,0,0] op_sel_hi:[0,1,0]
	s_delay_alu instid0(VALU_DEP_4) | instskip(NEXT) | instid1(VALU_DEP_4)
	v_mov_b32_e32 v223, v225
	v_pk_add_f32 v[102:103], v[102:103], v[216:217] neg_lo:[0,1] neg_hi:[0,1]
	v_pk_fma_f32 v[216:217], v[220:221], v[118:119], v[218:219] op_sel_hi:[1,1,0] neg_lo:[0,0,1] neg_hi:[0,0,1]
	s_wait_dscnt 0x1
	v_pk_mul_f32 v[220:221], v[206:207], v[202:203] op_sel:[0,1]
	v_pk_mul_f32 v[218:219], v[204:205], v[202:203] op_sel:[0,1]
	v_pk_add_f32 v[100:101], v[100:101], v[222:223] neg_lo:[0,1] neg_hi:[0,1]
	s_delay_alu instid0(VALU_DEP_3)
	v_pk_fma_f32 v[228:229], v[206:207], v[200:201], v[220:221] op_sel:[0,0,1] op_sel_hi:[1,0,0]
	v_mov_b32_e32 v217, v213
	ds_load_2addr_b64 v[212:215], v250 offset0:31 offset1:32
	v_pk_fma_f32 v[226:227], v[204:205], v[200:201], v[218:219] op_sel:[0,0,1] op_sel_hi:[1,0,0]
	v_pk_fma_f32 v[204:205], v[204:205], v[200:201], v[218:219] op_sel:[0,0,1] op_sel_hi:[1,1,0] neg_lo:[0,0,1] neg_hi:[0,0,1]
	s_wait_dscnt 0x1
	v_pk_mul_f32 v[218:219], v[208:209], v[202:203] op_sel:[0,1]
	v_pk_fma_f32 v[206:207], v[206:207], v[200:201], v[220:221] op_sel:[0,0,1] op_sel_hi:[1,1,0] neg_lo:[0,0,1] neg_hi:[0,0,1]
	v_dual_mov_b32 v207, v229 :: v_dual_mov_b32 v205, v227
	v_pk_add_f32 v[98:99], v[98:99], v[216:217] neg_lo:[0,1] neg_hi:[0,1]
	s_delay_alu instid0(VALU_DEP_4) | instskip(SKIP_1) | instid1(VALU_DEP_4)
	v_pk_fma_f32 v[216:217], v[208:209], v[200:201], v[218:219] op_sel:[0,0,1] op_sel_hi:[1,0,0]
	v_dual_mov_b32 v220, v211 :: v_dual_mov_b32 v221, v210
	v_pk_add_f32 v[96:97], v[96:97], v[204:205] neg_lo:[0,1] neg_hi:[0,1]
	v_pk_add_f32 v[132:133], v[132:133], v[206:207] neg_lo:[0,1] neg_hi:[0,1]
	ds_load_2addr_b64 v[204:207], v250 offset0:33 offset1:34
	v_mul_f32_e32 v216, v211, v200
	v_pk_fma_f32 v[208:209], v[208:209], v[200:201], v[218:219] op_sel:[0,0,1] op_sel_hi:[1,1,0] neg_lo:[0,0,1] neg_hi:[0,0,1]
	v_mov_b32_e32 v209, v217
	s_delay_alu instid0(VALU_DEP_3)
	v_pk_fma_f32 v[220:221], v[220:221], v[118:119], v[216:217] op_sel_hi:[1,1,0]
	s_wait_dscnt 0x1
	v_pk_mul_f32 v[224:225], v[212:213], v[202:203] op_sel:[0,1]
	v_mul_f32_e32 v222, v211, v203
	ds_load_2addr_b64 v[216:219], v250 offset0:35 offset1:36
	v_pk_mul_f32 v[226:227], v[214:215], v[202:203] op_sel:[0,1]
	v_pk_add_f32 v[128:129], v[128:129], v[208:209] neg_lo:[0,1] neg_hi:[0,1]
	v_pk_fma_f32 v[208:209], v[212:213], v[200:201], v[224:225] op_sel:[0,0,1] op_sel_hi:[1,0,0]
	v_pk_fma_f32 v[222:223], v[210:211], v[118:119], v[222:223] op_sel_hi:[1,1,0] neg_lo:[0,0,1] neg_hi:[0,0,1]
	v_pk_fma_f32 v[212:213], v[212:213], v[200:201], v[224:225] op_sel:[0,0,1] op_sel_hi:[1,1,0] neg_lo:[0,0,1] neg_hi:[0,0,1]
	v_mov_b32_e32 v223, v221
	v_pk_fma_f32 v[220:221], v[214:215], v[200:201], v[226:227] op_sel:[0,0,1] op_sel_hi:[1,0,0]
	v_mov_b32_e32 v213, v209
	ds_load_2addr_b64 v[208:211], v250 offset0:37 offset1:38
	v_pk_fma_f32 v[214:215], v[214:215], v[200:201], v[226:227] op_sel:[0,0,1] op_sel_hi:[1,1,0] neg_lo:[0,0,1] neg_hi:[0,0,1]
	v_pk_add_f32 v[130:131], v[130:131], v[222:223] neg_lo:[0,1] neg_hi:[0,1]
	v_mov_b32_e32 v215, v221
	s_wait_dscnt 0x2
	v_pk_mul_f32 v[220:221], v[204:205], v[202:203] op_sel:[0,1]
	v_pk_mul_f32 v[222:223], v[206:207], v[202:203] op_sel:[0,1]
	v_pk_add_f32 v[126:127], v[126:127], v[212:213] neg_lo:[0,1] neg_hi:[0,1]
	v_pk_add_f32 v[160:161], v[160:161], v[214:215] neg_lo:[0,1] neg_hi:[0,1]
	ds_load_2addr_b64 v[212:215], v250 offset0:39 offset1:40
	v_pk_fma_f32 v[224:225], v[204:205], v[200:201], v[220:221] op_sel:[0,0,1] op_sel_hi:[1,0,0]
	v_pk_fma_f32 v[204:205], v[204:205], v[200:201], v[220:221] op_sel:[0,0,1] op_sel_hi:[1,1,0] neg_lo:[0,0,1] neg_hi:[0,0,1]
	v_pk_fma_f32 v[220:221], v[206:207], v[200:201], v[222:223] op_sel:[0,0,1] op_sel_hi:[1,0,0]
	s_wait_dscnt 0x2
	v_dual_mul_f32 v220, v217, v200 :: v_dual_mul_f32 v224, v217, v203
	v_pk_fma_f32 v[206:207], v[206:207], v[200:201], v[222:223] op_sel:[0,0,1] op_sel_hi:[1,1,0] neg_lo:[0,0,1] neg_hi:[0,0,1]
	s_delay_alu instid0(VALU_DEP_3) | instskip(NEXT) | instid1(VALU_DEP_3)
	v_dual_mov_b32 v205, v225 :: v_dual_mov_b32 v207, v221
	v_pk_fma_f32 v[222:223], v[216:217], v[118:119], v[220:221] op_sel:[1,0,0] op_sel_hi:[0,1,0]
	s_delay_alu instid0(VALU_DEP_4)
	v_pk_fma_f32 v[216:217], v[216:217], v[118:119], v[224:225] op_sel_hi:[1,1,0] neg_lo:[0,0,1] neg_hi:[0,0,1]
	s_wait_dscnt 0x1
	v_pk_mul_f32 v[224:225], v[208:209], v[202:203] op_sel:[0,1]
	v_pk_mul_f32 v[220:221], v[218:219], v[202:203] op_sel:[0,1]
	v_pk_add_f32 v[158:159], v[158:159], v[206:207] neg_lo:[0,1] neg_hi:[0,1]
	v_pk_add_f32 v[152:153], v[152:153], v[204:205] neg_lo:[0,1] neg_hi:[0,1]
	s_delay_alu instid0(VALU_DEP_4) | instskip(SKIP_2) | instid1(VALU_DEP_2)
	v_pk_fma_f32 v[206:207], v[208:209], v[200:201], v[224:225] op_sel:[0,0,1] op_sel_hi:[1,0,0]
	v_mov_b32_e32 v217, v223
	v_pk_fma_f32 v[204:205], v[218:219], v[200:201], v[220:221] op_sel:[0,0,1] op_sel_hi:[1,0,0]
	v_pk_add_f32 v[150:151], v[150:151], v[216:217] neg_lo:[0,1] neg_hi:[0,1]
	v_pk_fma_f32 v[216:217], v[218:219], v[200:201], v[220:221] op_sel:[0,0,1] op_sel_hi:[1,1,0] neg_lo:[0,0,1] neg_hi:[0,0,1]
	s_wait_dscnt 0x0
	s_delay_alu instid0(VALU_DEP_3)
	v_dual_mov_b32 v217, v205 :: v_dual_mov_b32 v218, v215
	v_pk_fma_f32 v[204:205], v[208:209], v[200:201], v[224:225] op_sel:[0,0,1] op_sel_hi:[1,1,0] neg_lo:[0,0,1] neg_hi:[0,0,1]
	v_mov_b32_e32 v205, v207
	v_pk_mul_f32 v[206:207], v[210:211], v[202:203] op_sel:[0,1]
	v_pk_mul_f32 v[208:209], v[212:213], v[202:203] op_sel:[0,1]
	v_dual_mov_b32 v219, v214 :: v_dual_mul_f32 v202, v215, v200
	v_pk_add_f32 v[156:157], v[156:157], v[216:217] neg_lo:[0,1] neg_hi:[0,1]
	s_delay_alu instid0(VALU_DEP_4)
	v_pk_fma_f32 v[220:221], v[210:211], v[200:201], v[206:207] op_sel:[0,0,1] op_sel_hi:[1,0,0]
	v_pk_fma_f32 v[206:207], v[210:211], v[200:201], v[206:207] op_sel:[0,0,1] op_sel_hi:[1,1,0] neg_lo:[0,0,1] neg_hi:[0,0,1]
	v_pk_fma_f32 v[210:211], v[212:213], v[200:201], v[208:209] op_sel:[0,0,1] op_sel_hi:[1,0,0]
	v_mul_f32_e32 v210, v215, v203
	v_pk_fma_f32 v[202:203], v[218:219], v[118:119], v[202:203] op_sel_hi:[1,1,0]
	v_mov_b32_e32 v207, v221
	v_pk_fma_f32 v[200:201], v[212:213], v[200:201], v[208:209] op_sel:[0,0,1] op_sel_hi:[1,1,0] neg_lo:[0,0,1] neg_hi:[0,0,1]
	v_mov_b32_e32 v201, v211
	v_pk_fma_f32 v[208:209], v[214:215], v[118:119], v[210:211] op_sel_hi:[1,1,0] neg_lo:[0,0,1] neg_hi:[0,0,1]
	v_mov_b32_e32 v209, v203
	v_pk_add_f32 v[148:149], v[148:149], v[204:205] neg_lo:[0,1] neg_hi:[0,1]
	v_pk_add_f32 v[154:155], v[154:155], v[206:207] neg_lo:[0,1] neg_hi:[0,1]
	v_pk_add_f32 v[162:163], v[162:163], v[200:201] neg_lo:[0,1] neg_hi:[0,1]
	s_delay_alu instid0(VALU_DEP_4)
	v_pk_add_f32 v[164:165], v[164:165], v[208:209] neg_lo:[0,1] neg_hi:[0,1]
.LBB81_154:
	s_or_b32 exec_lo, exec_lo, s1
	s_delay_alu instid0(SALU_CYCLE_1)
	s_mov_b32 s2, exec_lo
	s_wait_dscnt 0x0
	s_barrier_signal -1
	s_barrier_wait -1
	v_cmpx_eq_u32_e32 17, v248
	s_cbranch_execz .LBB81_161
; %bb.155:
	v_dual_mov_b32 v200, v116 :: v_dual_mov_b32 v201, v117
	v_dual_mov_b32 v202, v114 :: v_dual_mov_b32 v203, v115
	;; [unrolled: 1-line block ×10, first 2 shown]
	ds_store_b64 v249, v[86:87]
	v_dual_mov_b32 v220, v132 :: v_dual_mov_b32 v221, v133
	v_dual_mov_b32 v222, v128 :: v_dual_mov_b32 v223, v129
	ds_store_2addr_b64 v250, v[200:201], v[202:203] offset0:18 offset1:19
	ds_store_2addr_b64 v250, v[204:205], v[206:207] offset0:20 offset1:21
	;; [unrolled: 1-line block ×6, first 2 shown]
	v_dual_mov_b32 v200, v130 :: v_dual_mov_b32 v201, v131
	v_dual_mov_b32 v202, v126 :: v_dual_mov_b32 v203, v127
	;; [unrolled: 1-line block ×10, first 2 shown]
	ds_store_2addr_b64 v250, v[200:201], v[202:203] offset0:30 offset1:31
	ds_store_2addr_b64 v250, v[204:205], v[206:207] offset0:32 offset1:33
	ds_store_2addr_b64 v250, v[208:209], v[210:211] offset0:34 offset1:35
	ds_store_2addr_b64 v250, v[212:213], v[214:215] offset0:36 offset1:37
	ds_store_2addr_b64 v250, v[216:217], v[218:219] offset0:38 offset1:39
	ds_store_b64 v250, v[164:165] offset:320
	ds_load_b64 v[200:201], v249
	s_wait_dscnt 0x0
	v_cmp_neq_f32_e32 vcc_lo, 0, v200
	v_cmp_neq_f32_e64 s1, 0, v201
	s_or_b32 s1, vcc_lo, s1
	s_delay_alu instid0(SALU_CYCLE_1)
	s_and_b32 exec_lo, exec_lo, s1
	s_cbranch_execz .LBB81_161
; %bb.156:
	v_cmp_ngt_f32_e64 s1, |v200|, |v201|
                                        ; implicit-def: $vgpr202_vgpr203
	s_and_saveexec_b32 s4, s1
	s_delay_alu instid0(SALU_CYCLE_1)
	s_xor_b32 s1, exec_lo, s4
	s_cbranch_execz .LBB81_158
; %bb.157:
	v_div_scale_f32 v0, null, v201, v201, v200
	v_div_scale_f32 v5, vcc_lo, v200, v201, v200
	s_delay_alu instid0(VALU_DEP_2) | instskip(SKIP_1) | instid1(TRANS32_DEP_1)
	v_rcp_f32_e32 v1, v0
	v_nop
	v_fma_f32 v4, -v0, v1, 1.0
	s_delay_alu instid0(VALU_DEP_1) | instskip(NEXT) | instid1(VALU_DEP_1)
	v_fmac_f32_e32 v1, v4, v1
	v_mul_f32_e32 v4, v5, v1
	s_delay_alu instid0(VALU_DEP_1) | instskip(NEXT) | instid1(VALU_DEP_1)
	v_fma_f32 v202, -v0, v4, v5
	v_fmac_f32_e32 v4, v202, v1
	s_delay_alu instid0(VALU_DEP_1) | instskip(NEXT) | instid1(VALU_DEP_1)
	v_fma_f32 v0, -v0, v4, v5
	v_div_fmas_f32 v0, v0, v1, v4
	s_delay_alu instid0(VALU_DEP_1) | instskip(NEXT) | instid1(VALU_DEP_1)
	v_div_fixup_f32 v0, v0, v201, v200
	v_fmac_f32_e32 v201, v200, v0
	s_delay_alu instid0(VALU_DEP_1) | instskip(SKIP_1) | instid1(VALU_DEP_2)
	v_div_scale_f32 v1, null, v201, v201, 1.0
	v_div_scale_f32 v200, vcc_lo, 1.0, v201, 1.0
	v_rcp_f32_e32 v4, v1
	v_nop
	s_delay_alu instid0(TRANS32_DEP_1) | instskip(NEXT) | instid1(VALU_DEP_1)
	v_fma_f32 v5, -v1, v4, 1.0
	v_fmac_f32_e32 v4, v5, v4
	s_delay_alu instid0(VALU_DEP_1) | instskip(NEXT) | instid1(VALU_DEP_1)
	v_mul_f32_e32 v5, v200, v4
	v_fma_f32 v202, -v1, v5, v200
	s_delay_alu instid0(VALU_DEP_1) | instskip(NEXT) | instid1(VALU_DEP_1)
	v_fmac_f32_e32 v5, v202, v4
	v_fma_f32 v1, -v1, v5, v200
	s_delay_alu instid0(VALU_DEP_1) | instskip(NEXT) | instid1(VALU_DEP_1)
	v_div_fmas_f32 v1, v1, v4, v5
	v_div_fixup_f32 v1, v1, v201, 1.0
                                        ; implicit-def: $vgpr200_vgpr201
	s_delay_alu instid0(VALU_DEP_1)
	v_mul_f32_e32 v202, v0, v1
	v_xor_b32_e32 v203, 0x80000000, v1
.LBB81_158:
	s_and_not1_saveexec_b32 s1, s1
	s_cbranch_execz .LBB81_160
; %bb.159:
	v_div_scale_f32 v0, null, v200, v200, v201
	v_div_scale_f32 v5, vcc_lo, v201, v200, v201
	s_delay_alu instid0(VALU_DEP_2) | instskip(SKIP_1) | instid1(TRANS32_DEP_1)
	v_rcp_f32_e32 v1, v0
	v_nop
	v_fma_f32 v4, -v0, v1, 1.0
	s_delay_alu instid0(VALU_DEP_1) | instskip(NEXT) | instid1(VALU_DEP_1)
	v_fmac_f32_e32 v1, v4, v1
	v_mul_f32_e32 v4, v5, v1
	s_delay_alu instid0(VALU_DEP_1) | instskip(NEXT) | instid1(VALU_DEP_1)
	v_fma_f32 v202, -v0, v4, v5
	v_fmac_f32_e32 v4, v202, v1
	s_delay_alu instid0(VALU_DEP_1) | instskip(NEXT) | instid1(VALU_DEP_1)
	v_fma_f32 v0, -v0, v4, v5
	v_div_fmas_f32 v0, v0, v1, v4
	s_delay_alu instid0(VALU_DEP_1) | instskip(NEXT) | instid1(VALU_DEP_1)
	v_div_fixup_f32 v0, v0, v200, v201
	v_fmac_f32_e32 v200, v201, v0
	s_delay_alu instid0(VALU_DEP_1) | instskip(NEXT) | instid1(VALU_DEP_1)
	v_div_scale_f32 v1, null, v200, v200, 1.0
	v_rcp_f32_e32 v4, v1
	v_nop
	s_delay_alu instid0(TRANS32_DEP_1) | instskip(NEXT) | instid1(VALU_DEP_1)
	v_fma_f32 v5, -v1, v4, 1.0
	v_fmac_f32_e32 v4, v5, v4
	v_div_scale_f32 v5, vcc_lo, 1.0, v200, 1.0
	s_delay_alu instid0(VALU_DEP_1) | instskip(NEXT) | instid1(VALU_DEP_1)
	v_mul_f32_e32 v201, v5, v4
	v_fma_f32 v202, -v1, v201, v5
	s_delay_alu instid0(VALU_DEP_1) | instskip(NEXT) | instid1(VALU_DEP_1)
	v_fmac_f32_e32 v201, v202, v4
	v_fma_f32 v1, -v1, v201, v5
	s_delay_alu instid0(VALU_DEP_1) | instskip(NEXT) | instid1(VALU_DEP_1)
	v_div_fmas_f32 v1, v1, v4, v201
	v_div_fixup_f32 v202, v1, v200, 1.0
	s_delay_alu instid0(VALU_DEP_1)
	v_mul_f32_e64 v203, v0, -v202
.LBB81_160:
	s_or_b32 exec_lo, exec_lo, s1
	ds_store_b64 v249, v[202:203]
.LBB81_161:
	s_or_b32 exec_lo, exec_lo, s2
	s_wait_dscnt 0x0
	s_barrier_signal -1
	s_barrier_wait -1
	ds_load_b64 v[200:201], v249
	s_mov_b32 s1, exec_lo
	v_cmpx_lt_u32_e32 17, v248
	s_cbranch_execz .LBB81_163
; %bb.162:
	ds_load_2addr_b64 v[202:205], v250 offset0:18 offset1:19
	ds_load_2addr_b64 v[206:209], v250 offset0:20 offset1:21
	;; [unrolled: 1-line block ×3, first 2 shown]
	s_wait_dscnt 0x3
	v_pk_mul_f32 v[218:219], v[200:201], v[86:87] op_sel:[1,1] op_sel_hi:[0,1]
	ds_load_2addr_b64 v[214:217], v250 offset0:24 offset1:25
	v_pk_fma_f32 v[224:225], v[200:201], v[86:87], v[218:219] op_sel_hi:[1,0,1]
	v_pk_fma_f32 v[222:223], v[200:201], v[86:87], v[218:219] op_sel_hi:[1,0,1] neg_lo:[0,0,1] neg_hi:[0,0,1]
	ds_load_2addr_b64 v[218:221], v250 offset0:26 offset1:27
	v_dual_mov_b32 v87, v225 :: v_dual_mov_b32 v86, v222
	s_wait_dscnt 0x4
	v_pk_mul_f32 v[226:227], v[202:203], v[224:225] op_sel:[0,1]
	v_pk_mul_f32 v[228:229], v[204:205], v[224:225] op_sel:[0,1]
	s_wait_dscnt 0x3
	v_pk_mul_f32 v[230:231], v[206:207], v[224:225] op_sel:[0,1]
	v_dual_mov_b32 v232, v209 :: v_dual_mov_b32 v233, v208
	v_pk_fma_f32 v[244:245], v[202:203], v[222:223], v[226:227] op_sel:[0,0,1] op_sel_hi:[1,1,0] neg_lo:[0,0,1] neg_hi:[0,0,1]
	v_pk_fma_f32 v[202:203], v[202:203], v[222:223], v[226:227] op_sel:[0,0,1] op_sel_hi:[1,0,0]
	v_pk_fma_f32 v[226:227], v[204:205], v[222:223], v[228:229] op_sel:[0,0,1] op_sel_hi:[1,1,0] neg_lo:[0,0,1] neg_hi:[0,0,1]
	v_pk_fma_f32 v[204:205], v[204:205], v[222:223], v[228:229] op_sel:[0,0,1] op_sel_hi:[1,0,0]
	v_dual_mul_f32 v234, v209, v225 :: v_dual_mul_f32 v236, v209, v222
	s_wait_dscnt 0x2
	v_pk_mul_f32 v[238:239], v[210:211], v[224:225] op_sel:[0,1]
	v_pk_fma_f32 v[228:229], v[206:207], v[222:223], v[230:231] op_sel:[0,0,1] op_sel_hi:[1,1,0] neg_lo:[0,0,1] neg_hi:[0,0,1]
	v_pk_fma_f32 v[206:207], v[206:207], v[222:223], v[230:231] op_sel:[0,0,1] op_sel_hi:[1,0,0]
	v_dual_mov_b32 v245, v203 :: v_dual_mov_b32 v227, v205
	ds_load_2addr_b64 v[202:205], v250 offset0:28 offset1:29
	v_pk_mul_f32 v[240:241], v[212:213], v[224:225] op_sel:[0,1]
	s_wait_dscnt 0x2
	v_pk_mul_f32 v[242:243], v[214:215], v[224:225] op_sel:[0,1]
	v_pk_fma_f32 v[230:231], v[232:233], v[86:87], v[236:237] op_sel_hi:[1,1,0]
	v_mov_b32_e32 v229, v207
	v_pk_fma_f32 v[206:207], v[210:211], v[222:223], v[238:239] op_sel:[0,0,1] op_sel_hi:[1,0,0]
	v_pk_fma_f32 v[208:209], v[208:209], v[86:87], v[234:235] op_sel_hi:[1,1,0] neg_lo:[0,0,1] neg_hi:[0,0,1]
	v_pk_fma_f32 v[210:211], v[210:211], v[222:223], v[238:239] op_sel:[0,0,1] op_sel_hi:[1,1,0] neg_lo:[0,0,1] neg_hi:[0,0,1]
	v_mov_b32_e32 v209, v231
	v_pk_add_f32 v[114:115], v[114:115], v[226:227] neg_lo:[0,1] neg_hi:[0,1]
	v_pk_add_f32 v[146:147], v[146:147], v[228:229] neg_lo:[0,1] neg_hi:[0,1]
	v_pk_fma_f32 v[226:227], v[212:213], v[222:223], v[240:241] op_sel:[0,0,1] op_sel_hi:[1,0,0]
	v_pk_fma_f32 v[228:229], v[214:215], v[222:223], v[242:243] op_sel:[0,0,1] op_sel_hi:[1,0,0]
	v_mov_b32_e32 v211, v207
	v_pk_fma_f32 v[206:207], v[212:213], v[222:223], v[240:241] op_sel:[0,0,1] op_sel_hi:[1,1,0] neg_lo:[0,0,1] neg_hi:[0,0,1]
	v_pk_fma_f32 v[212:213], v[214:215], v[222:223], v[242:243] op_sel:[0,0,1] op_sel_hi:[1,1,0] neg_lo:[0,0,1] neg_hi:[0,0,1]
	v_pk_mul_f32 v[214:215], v[216:217], v[224:225] op_sel:[0,1]
	v_mov_b32_e32 v207, v227
	v_pk_add_f32 v[144:145], v[144:145], v[210:211] neg_lo:[0,1] neg_hi:[0,1]
	v_mov_b32_e32 v213, v229
	v_pk_add_f32 v[112:113], v[112:113], v[208:209] neg_lo:[0,1] neg_hi:[0,1]
	v_pk_fma_f32 v[210:211], v[216:217], v[222:223], v[214:215] op_sel:[0,0,1] op_sel_hi:[1,0,0]
	s_wait_dscnt 0x1
	v_mul_f32_e32 v210, v219, v222
	v_pk_add_f32 v[76:77], v[76:77], v[206:207] neg_lo:[0,1] neg_hi:[0,1]
	ds_load_2addr_b64 v[206:209], v250 offset0:30 offset1:31
	v_pk_add_f32 v[102:103], v[102:103], v[212:213] neg_lo:[0,1] neg_hi:[0,1]
	v_pk_fma_f32 v[226:227], v[216:217], v[222:223], v[214:215] op_sel:[0,0,1] op_sel_hi:[1,1,0] neg_lo:[0,0,1] neg_hi:[0,0,1]
	v_pk_mul_f32 v[214:215], v[220:221], v[224:225] op_sel:[0,1]
	s_wait_dscnt 0x1
	v_pk_mul_f32 v[216:217], v[202:203], v[224:225] op_sel:[0,1]
	v_pk_fma_f32 v[228:229], v[218:219], v[86:87], v[210:211] op_sel:[1,0,0] op_sel_hi:[0,1,0]
	v_mul_f32_e32 v212, v219, v225
	v_mov_b32_e32 v227, v211
	v_pk_fma_f32 v[210:211], v[220:221], v[222:223], v[214:215] op_sel:[0,0,1] op_sel_hi:[1,0,0]
	v_pk_fma_f32 v[214:215], v[220:221], v[222:223], v[214:215] op_sel:[0,0,1] op_sel_hi:[1,1,0] neg_lo:[0,0,1] neg_hi:[0,0,1]
	v_pk_add_f32 v[116:117], v[116:117], v[244:245] neg_lo:[0,1] neg_hi:[0,1]
	v_pk_fma_f32 v[218:219], v[218:219], v[86:87], v[212:213] op_sel_hi:[1,1,0] neg_lo:[0,0,1] neg_hi:[0,0,1]
	v_pk_fma_f32 v[212:213], v[202:203], v[222:223], v[216:217] op_sel:[0,0,1] op_sel_hi:[1,0,0]
	v_pk_fma_f32 v[202:203], v[202:203], v[222:223], v[216:217] op_sel:[0,0,1] op_sel_hi:[1,1,0] neg_lo:[0,0,1] neg_hi:[0,0,1]
	v_dual_mov_b32 v215, v211 :: v_dual_mov_b32 v219, v229
	v_pk_mul_f32 v[216:217], v[204:205], v[224:225] op_sel:[0,1]
	s_delay_alu instid0(VALU_DEP_4)
	v_mov_b32_e32 v203, v213
	ds_load_2addr_b64 v[210:213], v250 offset0:32 offset1:33
	v_pk_add_f32 v[98:99], v[98:99], v[226:227] neg_lo:[0,1] neg_hi:[0,1]
	v_pk_add_f32 v[100:101], v[100:101], v[218:219] neg_lo:[0,1] neg_hi:[0,1]
	s_wait_dscnt 0x1
	v_pk_mul_f32 v[218:219], v[206:207], v[224:225] op_sel:[0,1]
	v_pk_add_f32 v[96:97], v[96:97], v[214:215] neg_lo:[0,1] neg_hi:[0,1]
	v_pk_fma_f32 v[214:215], v[204:205], v[222:223], v[216:217] op_sel:[0,0,1] op_sel_hi:[1,1,0] neg_lo:[0,0,1] neg_hi:[0,0,1]
	v_pk_fma_f32 v[216:217], v[204:205], v[222:223], v[216:217] op_sel:[0,0,1] op_sel_hi:[1,0,0]
	v_mov_b32_e32 v220, v209
	v_pk_fma_f32 v[226:227], v[206:207], v[222:223], v[218:219] op_sel:[0,0,1] op_sel_hi:[1,0,0]
	v_pk_add_f32 v[132:133], v[132:133], v[202:203] neg_lo:[0,1] neg_hi:[0,1]
	v_dual_mov_b32 v221, v208 :: v_dual_mul_f32 v216, v209, v222
	ds_load_2addr_b64 v[202:205], v250 offset0:34 offset1:35
	v_mul_f32_e32 v226, v209, v225
	v_pk_fma_f32 v[218:219], v[206:207], v[222:223], v[218:219] op_sel:[0,0,1] op_sel_hi:[1,1,0] neg_lo:[0,0,1] neg_hi:[0,0,1]
	v_mov_b32_e32 v215, v217
	v_pk_fma_f32 v[216:217], v[220:221], v[86:87], v[216:217] op_sel_hi:[1,1,0]
	v_mov_b32_e32 v219, v227
	v_pk_fma_f32 v[220:221], v[208:209], v[86:87], v[226:227] op_sel_hi:[1,1,0] neg_lo:[0,0,1] neg_hi:[0,0,1]
	ds_load_2addr_b64 v[206:209], v250 offset0:36 offset1:37
	s_wait_dscnt 0x2
	v_pk_mul_f32 v[226:227], v[210:211], v[224:225] op_sel:[0,1]
	v_mov_b32_e32 v221, v217
	v_pk_add_f32 v[128:129], v[128:129], v[214:215] neg_lo:[0,1] neg_hi:[0,1]
	v_pk_mul_f32 v[214:215], v[212:213], v[224:225] op_sel:[0,1]
	v_pk_add_f32 v[130:131], v[130:131], v[218:219] neg_lo:[0,1] neg_hi:[0,1]
	v_pk_fma_f32 v[216:217], v[210:211], v[222:223], v[226:227] op_sel:[0,0,1] op_sel_hi:[1,0,0]
	v_pk_fma_f32 v[218:219], v[210:211], v[222:223], v[226:227] op_sel:[0,0,1] op_sel_hi:[1,1,0] neg_lo:[0,0,1] neg_hi:[0,0,1]
	v_pk_add_f32 v[126:127], v[126:127], v[220:221] neg_lo:[0,1] neg_hi:[0,1]
	v_pk_fma_f32 v[220:221], v[212:213], v[222:223], v[214:215] op_sel:[0,0,1] op_sel_hi:[1,0,0]
	v_pk_fma_f32 v[214:215], v[212:213], v[222:223], v[214:215] op_sel:[0,0,1] op_sel_hi:[1,1,0] neg_lo:[0,0,1] neg_hi:[0,0,1]
	v_mov_b32_e32 v219, v217
	ds_load_2addr_b64 v[210:213], v250 offset0:38 offset1:39
	s_wait_dscnt 0x2
	v_pk_mul_f32 v[216:217], v[202:203], v[224:225] op_sel:[0,1]
	v_mov_b32_e32 v215, v221
	v_pk_mul_f32 v[220:221], v[204:205], v[224:225] op_sel:[0,1]
	v_pk_add_f32 v[160:161], v[160:161], v[218:219] neg_lo:[0,1] neg_hi:[0,1]
	ds_load_b64 v[218:219], v250 offset:320
	v_pk_fma_f32 v[226:227], v[202:203], v[222:223], v[216:217] op_sel:[0,0,1] op_sel_hi:[1,0,0]
	v_pk_add_f32 v[152:153], v[152:153], v[214:215] neg_lo:[0,1] neg_hi:[0,1]
	v_pk_fma_f32 v[214:215], v[204:205], v[222:223], v[220:221] op_sel:[0,0,1] op_sel_hi:[1,0,0]
	v_pk_fma_f32 v[202:203], v[202:203], v[222:223], v[216:217] op_sel:[0,0,1] op_sel_hi:[1,1,0] neg_lo:[0,0,1] neg_hi:[0,0,1]
	s_wait_dscnt 0x2
	v_dual_mul_f32 v214, v207, v222 :: v_dual_mul_f32 v216, v207, v225
	v_mov_b32_e32 v203, v227
	v_pk_fma_f32 v[204:205], v[204:205], v[222:223], v[220:221] op_sel:[0,0,1] op_sel_hi:[1,1,0] neg_lo:[0,0,1] neg_hi:[0,0,1]
	v_mov_b32_e32 v205, v215
	s_delay_alu instid0(VALU_DEP_4) | instskip(NEXT) | instid1(VALU_DEP_4)
	v_pk_fma_f32 v[214:215], v[206:207], v[86:87], v[214:215] op_sel:[1,0,0] op_sel_hi:[0,1,0]
	v_pk_add_f32 v[158:159], v[158:159], v[202:203] neg_lo:[0,1] neg_hi:[0,1]
	v_pk_mul_f32 v[202:203], v[208:209], v[224:225] op_sel:[0,1]
	s_delay_alu instid0(VALU_DEP_4)
	v_pk_add_f32 v[150:151], v[150:151], v[204:205] neg_lo:[0,1] neg_hi:[0,1]
	v_pk_fma_f32 v[204:205], v[206:207], v[86:87], v[216:217] op_sel_hi:[1,1,0] neg_lo:[0,0,1] neg_hi:[0,0,1]
	v_mov_b32_e32 v205, v215
	s_wait_dscnt 0x1
	v_pk_mul_f32 v[206:207], v[210:211], v[224:225] op_sel:[0,1]
	v_pk_fma_f32 v[214:215], v[208:209], v[222:223], v[202:203] op_sel:[0,0,1] op_sel_hi:[1,0,0]
	v_pk_mul_f32 v[216:217], v[212:213], v[224:225] op_sel:[0,1]
	v_pk_fma_f32 v[202:203], v[208:209], v[222:223], v[202:203] op_sel:[0,0,1] op_sel_hi:[1,1,0] neg_lo:[0,0,1] neg_hi:[0,0,1]
	s_wait_dscnt 0x0
	v_pk_mul_f32 v[208:209], v[218:219], v[224:225] op_sel:[0,1]
	v_pk_fma_f32 v[220:221], v[210:211], v[222:223], v[206:207] op_sel:[0,0,1] op_sel_hi:[1,0,0]
	v_mov_b32_e32 v203, v215
	v_pk_fma_f32 v[214:215], v[212:213], v[222:223], v[216:217] op_sel:[0,0,1] op_sel_hi:[1,0,0]
	v_pk_fma_f32 v[206:207], v[210:211], v[222:223], v[206:207] op_sel:[0,0,1] op_sel_hi:[1,1,0] neg_lo:[0,0,1] neg_hi:[0,0,1]
	v_pk_fma_f32 v[210:211], v[218:219], v[222:223], v[208:209] op_sel:[0,0,1] op_sel_hi:[1,0,0]
	v_pk_fma_f32 v[212:213], v[212:213], v[222:223], v[216:217] op_sel:[0,0,1] op_sel_hi:[1,1,0] neg_lo:[0,0,1] neg_hi:[0,0,1]
	v_pk_fma_f32 v[208:209], v[218:219], v[222:223], v[208:209] op_sel:[0,0,1] op_sel_hi:[1,1,0] neg_lo:[0,0,1] neg_hi:[0,0,1]
	v_dual_mov_b32 v207, v221 :: v_dual_mov_b32 v213, v215
	s_delay_alu instid0(VALU_DEP_4) | instskip(SKIP_2) | instid1(VALU_DEP_4)
	v_mov_b32_e32 v209, v211
	v_pk_add_f32 v[156:157], v[156:157], v[204:205] neg_lo:[0,1] neg_hi:[0,1]
	v_pk_add_f32 v[148:149], v[148:149], v[202:203] neg_lo:[0,1] neg_hi:[0,1]
	;; [unrolled: 1-line block ×5, first 2 shown]
.LBB81_163:
	s_or_b32 exec_lo, exec_lo, s1
	s_delay_alu instid0(SALU_CYCLE_1)
	s_mov_b32 s2, exec_lo
	s_wait_dscnt 0x0
	s_barrier_signal -1
	s_barrier_wait -1
	v_cmpx_eq_u32_e32 18, v248
	s_cbranch_execz .LBB81_170
; %bb.164:
	ds_store_b64 v249, v[116:117]
	ds_store_2addr_b64 v250, v[114:115], v[146:147] offset0:19 offset1:20
	ds_store_2addr_b64 v250, v[112:113], v[144:145] offset0:21 offset1:22
	;; [unrolled: 1-line block ×11, first 2 shown]
	ds_load_b64 v[202:203], v249
	s_wait_dscnt 0x0
	v_cmp_neq_f32_e32 vcc_lo, 0, v202
	v_cmp_neq_f32_e64 s1, 0, v203
	s_or_b32 s1, vcc_lo, s1
	s_delay_alu instid0(SALU_CYCLE_1)
	s_and_b32 exec_lo, exec_lo, s1
	s_cbranch_execz .LBB81_170
; %bb.165:
	v_cmp_ngt_f32_e64 s1, |v202|, |v203|
                                        ; implicit-def: $vgpr204_vgpr205
	s_and_saveexec_b32 s4, s1
	s_delay_alu instid0(SALU_CYCLE_1)
	s_xor_b32 s1, exec_lo, s4
	s_cbranch_execz .LBB81_167
; %bb.166:
	v_div_scale_f32 v0, null, v203, v203, v202
	v_div_scale_f32 v5, vcc_lo, v202, v203, v202
	s_delay_alu instid0(VALU_DEP_2) | instskip(SKIP_1) | instid1(TRANS32_DEP_1)
	v_rcp_f32_e32 v1, v0
	v_nop
	v_fma_f32 v4, -v0, v1, 1.0
	s_delay_alu instid0(VALU_DEP_1) | instskip(NEXT) | instid1(VALU_DEP_1)
	v_fmac_f32_e32 v1, v4, v1
	v_mul_f32_e32 v4, v5, v1
	s_delay_alu instid0(VALU_DEP_1) | instskip(NEXT) | instid1(VALU_DEP_1)
	v_fma_f32 v204, -v0, v4, v5
	v_fmac_f32_e32 v4, v204, v1
	s_delay_alu instid0(VALU_DEP_1) | instskip(NEXT) | instid1(VALU_DEP_1)
	v_fma_f32 v0, -v0, v4, v5
	v_div_fmas_f32 v0, v0, v1, v4
	s_delay_alu instid0(VALU_DEP_1) | instskip(NEXT) | instid1(VALU_DEP_1)
	v_div_fixup_f32 v0, v0, v203, v202
	v_fmac_f32_e32 v203, v202, v0
	s_delay_alu instid0(VALU_DEP_1) | instskip(SKIP_1) | instid1(VALU_DEP_2)
	v_div_scale_f32 v1, null, v203, v203, 1.0
	v_div_scale_f32 v202, vcc_lo, 1.0, v203, 1.0
	v_rcp_f32_e32 v4, v1
	v_nop
	s_delay_alu instid0(TRANS32_DEP_1) | instskip(NEXT) | instid1(VALU_DEP_1)
	v_fma_f32 v5, -v1, v4, 1.0
	v_fmac_f32_e32 v4, v5, v4
	s_delay_alu instid0(VALU_DEP_1) | instskip(NEXT) | instid1(VALU_DEP_1)
	v_mul_f32_e32 v5, v202, v4
	v_fma_f32 v204, -v1, v5, v202
	s_delay_alu instid0(VALU_DEP_1) | instskip(NEXT) | instid1(VALU_DEP_1)
	v_fmac_f32_e32 v5, v204, v4
	v_fma_f32 v1, -v1, v5, v202
	s_delay_alu instid0(VALU_DEP_1) | instskip(NEXT) | instid1(VALU_DEP_1)
	v_div_fmas_f32 v1, v1, v4, v5
	v_div_fixup_f32 v1, v1, v203, 1.0
                                        ; implicit-def: $vgpr202_vgpr203
	s_delay_alu instid0(VALU_DEP_1)
	v_mul_f32_e32 v204, v0, v1
	v_xor_b32_e32 v205, 0x80000000, v1
.LBB81_167:
	s_and_not1_saveexec_b32 s1, s1
	s_cbranch_execz .LBB81_169
; %bb.168:
	v_div_scale_f32 v0, null, v202, v202, v203
	v_div_scale_f32 v5, vcc_lo, v203, v202, v203
	s_delay_alu instid0(VALU_DEP_2) | instskip(SKIP_1) | instid1(TRANS32_DEP_1)
	v_rcp_f32_e32 v1, v0
	v_nop
	v_fma_f32 v4, -v0, v1, 1.0
	s_delay_alu instid0(VALU_DEP_1) | instskip(NEXT) | instid1(VALU_DEP_1)
	v_fmac_f32_e32 v1, v4, v1
	v_mul_f32_e32 v4, v5, v1
	s_delay_alu instid0(VALU_DEP_1) | instskip(NEXT) | instid1(VALU_DEP_1)
	v_fma_f32 v204, -v0, v4, v5
	v_fmac_f32_e32 v4, v204, v1
	s_delay_alu instid0(VALU_DEP_1) | instskip(NEXT) | instid1(VALU_DEP_1)
	v_fma_f32 v0, -v0, v4, v5
	v_div_fmas_f32 v0, v0, v1, v4
	s_delay_alu instid0(VALU_DEP_1) | instskip(NEXT) | instid1(VALU_DEP_1)
	v_div_fixup_f32 v0, v0, v202, v203
	v_fmac_f32_e32 v202, v203, v0
	s_delay_alu instid0(VALU_DEP_1) | instskip(NEXT) | instid1(VALU_DEP_1)
	v_div_scale_f32 v1, null, v202, v202, 1.0
	v_rcp_f32_e32 v4, v1
	v_nop
	s_delay_alu instid0(TRANS32_DEP_1) | instskip(NEXT) | instid1(VALU_DEP_1)
	v_fma_f32 v5, -v1, v4, 1.0
	v_fmac_f32_e32 v4, v5, v4
	v_div_scale_f32 v5, vcc_lo, 1.0, v202, 1.0
	s_delay_alu instid0(VALU_DEP_1) | instskip(NEXT) | instid1(VALU_DEP_1)
	v_mul_f32_e32 v203, v5, v4
	v_fma_f32 v204, -v1, v203, v5
	s_delay_alu instid0(VALU_DEP_1) | instskip(NEXT) | instid1(VALU_DEP_1)
	v_fmac_f32_e32 v203, v204, v4
	v_fma_f32 v1, -v1, v203, v5
	s_delay_alu instid0(VALU_DEP_1) | instskip(NEXT) | instid1(VALU_DEP_1)
	v_div_fmas_f32 v1, v1, v4, v203
	v_div_fixup_f32 v204, v1, v202, 1.0
	s_delay_alu instid0(VALU_DEP_1)
	v_mul_f32_e64 v205, v0, -v204
.LBB81_169:
	s_or_b32 exec_lo, exec_lo, s1
	ds_store_b64 v249, v[204:205]
.LBB81_170:
	s_or_b32 exec_lo, exec_lo, s2
	s_wait_dscnt 0x0
	s_barrier_signal -1
	s_barrier_wait -1
	ds_load_b64 v[202:203], v249
	s_mov_b32 s1, exec_lo
	v_cmpx_lt_u32_e32 18, v248
	s_cbranch_execz .LBB81_172
; %bb.171:
	ds_load_2addr_b64 v[204:207], v250 offset0:19 offset1:20
	ds_load_2addr_b64 v[208:211], v250 offset0:21 offset1:22
	ds_load_2addr_b64 v[212:215], v250 offset0:23 offset1:24
	s_wait_dscnt 0x3
	v_pk_mul_f32 v[216:217], v[202:203], v[116:117] op_sel:[1,1] op_sel_hi:[0,1]
	s_delay_alu instid0(VALU_DEP_1)
	v_pk_fma_f32 v[224:225], v[202:203], v[116:117], v[216:217] op_sel_hi:[1,0,1] neg_lo:[0,0,1] neg_hi:[0,0,1]
	v_pk_fma_f32 v[226:227], v[202:203], v[116:117], v[216:217] op_sel_hi:[1,0,1]
	ds_load_2addr_b64 v[216:219], v250 offset0:25 offset1:26
	ds_load_2addr_b64 v[220:223], v250 offset0:27 offset1:28
	v_dual_mov_b32 v116, v224 :: v_dual_mov_b32 v117, v227
	s_wait_dscnt 0x4
	v_pk_mul_f32 v[228:229], v[204:205], v[226:227] op_sel:[0,1]
	v_pk_mul_f32 v[230:231], v[206:207], v[226:227] op_sel:[0,1]
	s_wait_dscnt 0x3
	v_pk_mul_f32 v[232:233], v[208:209], v[226:227] op_sel:[0,1]
	v_dual_mov_b32 v234, v211 :: v_dual_mov_b32 v235, v210
	v_dual_mul_f32 v236, v211, v227 :: v_dual_mul_f32 v238, v211, v224
	s_wait_dscnt 0x2
	v_pk_mul_f32 v[240:241], v[212:213], v[226:227] op_sel:[0,1]
	v_pk_mul_f32 v[242:243], v[214:215], v[226:227] op_sel:[0,1]
	v_pk_fma_f32 v[244:245], v[204:205], v[224:225], v[228:229] op_sel:[0,0,1] op_sel_hi:[1,1,0] neg_lo:[0,0,1] neg_hi:[0,0,1]
	v_pk_fma_f32 v[204:205], v[204:205], v[224:225], v[228:229] op_sel:[0,0,1] op_sel_hi:[1,0,0]
	v_pk_fma_f32 v[228:229], v[206:207], v[224:225], v[230:231] op_sel:[0,0,1] op_sel_hi:[1,1,0] neg_lo:[0,0,1] neg_hi:[0,0,1]
	v_pk_fma_f32 v[206:207], v[206:207], v[224:225], v[230:231] op_sel:[0,0,1] op_sel_hi:[1,0,0]
	;; [unrolled: 2-line block ×3, first 2 shown]
	v_pk_fma_f32 v[232:233], v[234:235], v[116:117], v[238:239] op_sel_hi:[1,1,0]
	v_pk_fma_f32 v[234:235], v[212:213], v[224:225], v[240:241] op_sel:[0,0,1] op_sel_hi:[1,1,0] neg_lo:[0,0,1] neg_hi:[0,0,1]
	v_pk_fma_f32 v[212:213], v[212:213], v[224:225], v[240:241] op_sel:[0,0,1] op_sel_hi:[1,0,0]
	v_dual_mov_b32 v245, v205 :: v_dual_mov_b32 v229, v207
	v_pk_fma_f32 v[204:205], v[214:215], v[224:225], v[242:243] op_sel:[0,0,1] op_sel_hi:[1,0,0]
	v_pk_fma_f32 v[210:211], v[210:211], v[116:117], v[236:237] op_sel_hi:[1,1,0] neg_lo:[0,0,1] neg_hi:[0,0,1]
	v_dual_mov_b32 v231, v209 :: v_dual_mov_b32 v211, v233
	v_mov_b32_e32 v235, v213
	s_wait_dscnt 0x1
	v_pk_mul_f32 v[208:209], v[216:217], v[226:227] op_sel:[0,1]
	v_pk_fma_f32 v[212:213], v[214:215], v[224:225], v[242:243] op_sel:[0,0,1] op_sel_hi:[1,1,0] neg_lo:[0,0,1] neg_hi:[0,0,1]
	v_mov_b32_e32 v213, v205
	ds_load_2addr_b64 v[204:207], v250 offset0:29 offset1:30
	v_pk_add_f32 v[144:145], v[144:145], v[210:211] neg_lo:[0,1] neg_hi:[0,1]
	v_pk_fma_f32 v[214:215], v[216:217], v[224:225], v[208:209] op_sel:[0,0,1] op_sel_hi:[1,0,0]
	v_pk_fma_f32 v[216:217], v[216:217], v[224:225], v[208:209] op_sel:[0,0,1] op_sel_hi:[1,1,0] neg_lo:[0,0,1] neg_hi:[0,0,1]
	ds_load_2addr_b64 v[208:211], v250 offset0:31 offset1:32
	v_pk_add_f32 v[146:147], v[146:147], v[228:229] neg_lo:[0,1] neg_hi:[0,1]
	v_pk_mul_f32 v[228:229], v[218:219], v[226:227] op_sel:[0,1]
	v_pk_add_f32 v[112:113], v[112:113], v[230:231] neg_lo:[0,1] neg_hi:[0,1]
	s_wait_dscnt 0x2
	v_dual_mul_f32 v214, v221, v224 :: v_dual_mov_b32 v217, v215
	v_pk_add_f32 v[102:103], v[102:103], v[212:213] neg_lo:[0,1] neg_hi:[0,1]
	v_pk_fma_f32 v[230:231], v[218:219], v[224:225], v[228:229] op_sel:[0,0,1] op_sel_hi:[1,0,0]
	v_pk_fma_f32 v[218:219], v[218:219], v[224:225], v[228:229] op_sel:[0,0,1] op_sel_hi:[1,1,0] neg_lo:[0,0,1] neg_hi:[0,0,1]
	v_pk_mul_f32 v[228:229], v[222:223], v[226:227] op_sel:[0,1]
	v_mul_f32_e32 v230, v221, v227
	v_pk_fma_f32 v[214:215], v[220:221], v[116:117], v[214:215] op_sel:[1,0,0] op_sel_hi:[0,1,0]
	v_mov_b32_e32 v219, v231
	v_pk_add_f32 v[98:99], v[98:99], v[216:217] neg_lo:[0,1] neg_hi:[0,1]
	v_pk_fma_f32 v[212:213], v[222:223], v[224:225], v[228:229] op_sel:[0,0,1] op_sel_hi:[1,0,0]
	v_pk_fma_f32 v[220:221], v[220:221], v[116:117], v[230:231] op_sel_hi:[1,1,0] neg_lo:[0,0,1] neg_hi:[0,0,1]
	v_pk_fma_f32 v[216:217], v[222:223], v[224:225], v[228:229] op_sel:[0,0,1] op_sel_hi:[1,1,0] neg_lo:[0,0,1] neg_hi:[0,0,1]
	v_mov_b32_e32 v221, v215
	v_pk_add_f32 v[100:101], v[100:101], v[218:219] neg_lo:[0,1] neg_hi:[0,1]
	v_mov_b32_e32 v217, v213
	s_wait_dscnt 0x1
	v_pk_mul_f32 v[218:219], v[204:205], v[226:227] op_sel:[0,1]
	ds_load_2addr_b64 v[212:215], v250 offset0:33 offset1:34
	s_wait_dscnt 0x1
	v_pk_mul_f32 v[222:223], v[208:209], v[226:227] op_sel:[0,1]
	v_pk_add_f32 v[96:97], v[96:97], v[220:221] neg_lo:[0,1] neg_hi:[0,1]
	v_pk_mul_f32 v[220:221], v[206:207], v[226:227] op_sel:[0,1]
	v_pk_add_f32 v[132:133], v[132:133], v[216:217] neg_lo:[0,1] neg_hi:[0,1]
	v_pk_fma_f32 v[228:229], v[204:205], v[224:225], v[218:219] op_sel:[0,0,1] op_sel_hi:[1,0,0]
	v_pk_fma_f32 v[204:205], v[204:205], v[224:225], v[218:219] op_sel:[0,0,1] op_sel_hi:[1,1,0] neg_lo:[0,0,1] neg_hi:[0,0,1]
	ds_load_2addr_b64 v[216:219], v250 offset0:35 offset1:36
	v_pk_fma_f32 v[232:233], v[208:209], v[224:225], v[222:223] op_sel:[0,0,1] op_sel_hi:[1,0,0]
	v_pk_fma_f32 v[230:231], v[206:207], v[224:225], v[220:221] op_sel:[0,0,1] op_sel_hi:[1,0,0]
	v_pk_fma_f32 v[208:209], v[208:209], v[224:225], v[222:223] op_sel:[0,0,1] op_sel_hi:[1,1,0] neg_lo:[0,0,1] neg_hi:[0,0,1]
	v_pk_fma_f32 v[206:207], v[206:207], v[224:225], v[220:221] op_sel:[0,0,1] op_sel_hi:[1,1,0] neg_lo:[0,0,1] neg_hi:[0,0,1]
	s_delay_alu instid0(VALU_DEP_4) | instskip(SKIP_2) | instid1(VALU_DEP_3)
	v_dual_mov_b32 v220, v211 :: v_dual_mov_b32 v209, v233
	v_dual_mov_b32 v221, v210 :: v_dual_mul_f32 v222, v211, v224
	v_dual_mov_b32 v205, v229 :: v_dual_mov_b32 v207, v231
	v_pk_add_f32 v[126:127], v[126:127], v[208:209] neg_lo:[0,1] neg_hi:[0,1]
	v_pk_add_f32 v[76:77], v[76:77], v[234:235] neg_lo:[0,1] neg_hi:[0,1]
	s_delay_alu instid0(VALU_DEP_4)
	v_pk_fma_f32 v[220:221], v[220:221], v[116:117], v[222:223] op_sel_hi:[1,1,0]
	v_mul_f32_e32 v208, v211, v227
	v_pk_add_f32 v[128:129], v[128:129], v[204:205] neg_lo:[0,1] neg_hi:[0,1]
	v_pk_add_f32 v[130:131], v[130:131], v[206:207] neg_lo:[0,1] neg_hi:[0,1]
	s_wait_dscnt 0x1
	v_pk_mul_f32 v[222:223], v[212:213], v[226:227] op_sel:[0,1]
	ds_load_2addr_b64 v[204:207], v250 offset0:37 offset1:38
	v_pk_mul_f32 v[228:229], v[214:215], v[226:227] op_sel:[0,1]
	v_pk_fma_f32 v[230:231], v[210:211], v[116:117], v[208:209] op_sel_hi:[1,1,0] neg_lo:[0,0,1] neg_hi:[0,0,1]
	v_mov_b32_e32 v231, v221
	v_pk_fma_f32 v[220:221], v[212:213], v[224:225], v[222:223] op_sel:[0,0,1] op_sel_hi:[1,0,0]
	s_wait_dscnt 0x1
	v_pk_mul_f32 v[232:233], v[216:217], v[226:227] op_sel:[0,1]
	ds_load_2addr_b64 v[208:211], v250 offset0:39 offset1:40
	v_pk_fma_f32 v[234:235], v[214:215], v[224:225], v[228:229] op_sel:[0,0,1] op_sel_hi:[1,0,0]
	v_pk_fma_f32 v[212:213], v[212:213], v[224:225], v[222:223] op_sel:[0,0,1] op_sel_hi:[1,1,0] neg_lo:[0,0,1] neg_hi:[0,0,1]
	v_mov_b32_e32 v213, v221
	v_pk_fma_f32 v[220:221], v[216:217], v[224:225], v[232:233] op_sel:[0,0,1] op_sel_hi:[1,0,0]
	v_pk_mul_f32 v[222:223], v[218:219], v[226:227] op_sel:[0,1]
	v_pk_fma_f32 v[214:215], v[214:215], v[224:225], v[228:229] op_sel:[0,0,1] op_sel_hi:[1,1,0] neg_lo:[0,0,1] neg_hi:[0,0,1]
	v_mov_b32_e32 v215, v235
	v_pk_fma_f32 v[216:217], v[216:217], v[224:225], v[232:233] op_sel:[0,0,1] op_sel_hi:[1,1,0] neg_lo:[0,0,1] neg_hi:[0,0,1]
	v_pk_add_f32 v[152:153], v[152:153], v[212:213] neg_lo:[0,1] neg_hi:[0,1]
	v_pk_fma_f32 v[212:213], v[218:219], v[224:225], v[222:223] op_sel:[0,0,1] op_sel_hi:[1,0,0]
	v_mov_b32_e32 v217, v221
	v_pk_add_f32 v[158:159], v[158:159], v[214:215] neg_lo:[0,1] neg_hi:[0,1]
	v_pk_fma_f32 v[214:215], v[218:219], v[224:225], v[222:223] op_sel:[0,0,1] op_sel_hi:[1,1,0] neg_lo:[0,0,1] neg_hi:[0,0,1]
	s_wait_dscnt 0x1
	v_mul_f32_e32 v212, v205, v224
	v_mov_b32_e32 v215, v213
	v_pk_add_f32 v[150:151], v[150:151], v[216:217] neg_lo:[0,1] neg_hi:[0,1]
	v_mul_f32_e32 v216, v205, v227
	v_pk_mul_f32 v[218:219], v[206:207], v[226:227] op_sel:[0,1]
	v_pk_fma_f32 v[212:213], v[204:205], v[116:117], v[212:213] op_sel:[1,0,0] op_sel_hi:[0,1,0]
	s_wait_dscnt 0x0
	v_pk_mul_f32 v[220:221], v[208:209], v[226:227] op_sel:[0,1]
	v_pk_add_f32 v[114:115], v[114:115], v[244:245] neg_lo:[0,1] neg_hi:[0,1]
	v_pk_fma_f32 v[204:205], v[204:205], v[116:117], v[216:217] op_sel_hi:[1,1,0] neg_lo:[0,0,1] neg_hi:[0,0,1]
	v_pk_mul_f32 v[216:217], v[210:211], v[226:227] op_sel:[0,1]
	v_pk_fma_f32 v[222:223], v[206:207], v[224:225], v[218:219] op_sel:[0,0,1] op_sel_hi:[1,0,0]
	v_mov_b32_e32 v205, v213
	v_pk_fma_f32 v[212:213], v[208:209], v[224:225], v[220:221] op_sel:[0,0,1] op_sel_hi:[1,0,0]
	v_pk_fma_f32 v[206:207], v[206:207], v[224:225], v[218:219] op_sel:[0,0,1] op_sel_hi:[1,1,0] neg_lo:[0,0,1] neg_hi:[0,0,1]
	v_pk_fma_f32 v[218:219], v[210:211], v[224:225], v[216:217] op_sel:[0,0,1] op_sel_hi:[1,0,0]
	v_pk_fma_f32 v[208:209], v[208:209], v[224:225], v[220:221] op_sel:[0,0,1] op_sel_hi:[1,1,0] neg_lo:[0,0,1] neg_hi:[0,0,1]
	v_pk_fma_f32 v[210:211], v[210:211], v[224:225], v[216:217] op_sel:[0,0,1] op_sel_hi:[1,1,0] neg_lo:[0,0,1] neg_hi:[0,0,1]
	v_dual_mov_b32 v207, v223 :: v_dual_mov_b32 v209, v213
	s_delay_alu instid0(VALU_DEP_4)
	v_mov_b32_e32 v211, v219
	v_pk_add_f32 v[160:161], v[160:161], v[230:231] neg_lo:[0,1] neg_hi:[0,1]
	v_pk_add_f32 v[156:157], v[156:157], v[214:215] neg_lo:[0,1] neg_hi:[0,1]
	;; [unrolled: 1-line block ×6, first 2 shown]
.LBB81_172:
	s_or_b32 exec_lo, exec_lo, s1
	s_delay_alu instid0(SALU_CYCLE_1)
	s_mov_b32 s2, exec_lo
	s_wait_dscnt 0x0
	s_barrier_signal -1
	s_barrier_wait -1
	v_cmpx_eq_u32_e32 19, v248
	s_cbranch_execz .LBB81_179
; %bb.173:
	v_dual_mov_b32 v204, v146 :: v_dual_mov_b32 v205, v147
	v_dual_mov_b32 v206, v112 :: v_dual_mov_b32 v207, v113
	;; [unrolled: 1-line block ×8, first 2 shown]
	ds_store_b64 v249, v[114:115]
	ds_store_2addr_b64 v250, v[204:205], v[206:207] offset0:20 offset1:21
	ds_store_2addr_b64 v250, v[208:209], v[210:211] offset0:22 offset1:23
	;; [unrolled: 1-line block ×4, first 2 shown]
	v_dual_mov_b32 v204, v132 :: v_dual_mov_b32 v205, v133
	v_dual_mov_b32 v206, v128 :: v_dual_mov_b32 v207, v129
	;; [unrolled: 1-line block ×12, first 2 shown]
	ds_store_2addr_b64 v250, v[204:205], v[206:207] offset0:28 offset1:29
	ds_store_2addr_b64 v250, v[208:209], v[210:211] offset0:30 offset1:31
	;; [unrolled: 1-line block ×6, first 2 shown]
	ds_store_b64 v250, v[164:165] offset:320
	ds_load_b64 v[204:205], v249
	s_wait_dscnt 0x0
	v_cmp_neq_f32_e32 vcc_lo, 0, v204
	v_cmp_neq_f32_e64 s1, 0, v205
	s_or_b32 s1, vcc_lo, s1
	s_delay_alu instid0(SALU_CYCLE_1)
	s_and_b32 exec_lo, exec_lo, s1
	s_cbranch_execz .LBB81_179
; %bb.174:
	v_cmp_ngt_f32_e64 s1, |v204|, |v205|
                                        ; implicit-def: $vgpr206_vgpr207
	s_and_saveexec_b32 s4, s1
	s_delay_alu instid0(SALU_CYCLE_1)
	s_xor_b32 s1, exec_lo, s4
	s_cbranch_execz .LBB81_176
; %bb.175:
	v_div_scale_f32 v0, null, v205, v205, v204
	v_div_scale_f32 v5, vcc_lo, v204, v205, v204
	s_delay_alu instid0(VALU_DEP_2) | instskip(SKIP_1) | instid1(TRANS32_DEP_1)
	v_rcp_f32_e32 v1, v0
	v_nop
	v_fma_f32 v4, -v0, v1, 1.0
	s_delay_alu instid0(VALU_DEP_1) | instskip(NEXT) | instid1(VALU_DEP_1)
	v_fmac_f32_e32 v1, v4, v1
	v_mul_f32_e32 v4, v5, v1
	s_delay_alu instid0(VALU_DEP_1) | instskip(NEXT) | instid1(VALU_DEP_1)
	v_fma_f32 v206, -v0, v4, v5
	v_fmac_f32_e32 v4, v206, v1
	s_delay_alu instid0(VALU_DEP_1) | instskip(NEXT) | instid1(VALU_DEP_1)
	v_fma_f32 v0, -v0, v4, v5
	v_div_fmas_f32 v0, v0, v1, v4
	s_delay_alu instid0(VALU_DEP_1) | instskip(NEXT) | instid1(VALU_DEP_1)
	v_div_fixup_f32 v0, v0, v205, v204
	v_fmac_f32_e32 v205, v204, v0
	s_delay_alu instid0(VALU_DEP_1) | instskip(SKIP_1) | instid1(VALU_DEP_2)
	v_div_scale_f32 v1, null, v205, v205, 1.0
	v_div_scale_f32 v204, vcc_lo, 1.0, v205, 1.0
	v_rcp_f32_e32 v4, v1
	v_nop
	s_delay_alu instid0(TRANS32_DEP_1) | instskip(NEXT) | instid1(VALU_DEP_1)
	v_fma_f32 v5, -v1, v4, 1.0
	v_fmac_f32_e32 v4, v5, v4
	s_delay_alu instid0(VALU_DEP_1) | instskip(NEXT) | instid1(VALU_DEP_1)
	v_mul_f32_e32 v5, v204, v4
	v_fma_f32 v206, -v1, v5, v204
	s_delay_alu instid0(VALU_DEP_1) | instskip(NEXT) | instid1(VALU_DEP_1)
	v_fmac_f32_e32 v5, v206, v4
	v_fma_f32 v1, -v1, v5, v204
	s_delay_alu instid0(VALU_DEP_1) | instskip(NEXT) | instid1(VALU_DEP_1)
	v_div_fmas_f32 v1, v1, v4, v5
	v_div_fixup_f32 v1, v1, v205, 1.0
                                        ; implicit-def: $vgpr204_vgpr205
	s_delay_alu instid0(VALU_DEP_1)
	v_mul_f32_e32 v206, v0, v1
	v_xor_b32_e32 v207, 0x80000000, v1
.LBB81_176:
	s_and_not1_saveexec_b32 s1, s1
	s_cbranch_execz .LBB81_178
; %bb.177:
	v_div_scale_f32 v0, null, v204, v204, v205
	v_div_scale_f32 v5, vcc_lo, v205, v204, v205
	s_delay_alu instid0(VALU_DEP_2) | instskip(SKIP_1) | instid1(TRANS32_DEP_1)
	v_rcp_f32_e32 v1, v0
	v_nop
	v_fma_f32 v4, -v0, v1, 1.0
	s_delay_alu instid0(VALU_DEP_1) | instskip(NEXT) | instid1(VALU_DEP_1)
	v_fmac_f32_e32 v1, v4, v1
	v_mul_f32_e32 v4, v5, v1
	s_delay_alu instid0(VALU_DEP_1) | instskip(NEXT) | instid1(VALU_DEP_1)
	v_fma_f32 v206, -v0, v4, v5
	v_fmac_f32_e32 v4, v206, v1
	s_delay_alu instid0(VALU_DEP_1) | instskip(NEXT) | instid1(VALU_DEP_1)
	v_fma_f32 v0, -v0, v4, v5
	v_div_fmas_f32 v0, v0, v1, v4
	s_delay_alu instid0(VALU_DEP_1) | instskip(NEXT) | instid1(VALU_DEP_1)
	v_div_fixup_f32 v0, v0, v204, v205
	v_fmac_f32_e32 v204, v205, v0
	s_delay_alu instid0(VALU_DEP_1) | instskip(NEXT) | instid1(VALU_DEP_1)
	v_div_scale_f32 v1, null, v204, v204, 1.0
	v_rcp_f32_e32 v4, v1
	v_nop
	s_delay_alu instid0(TRANS32_DEP_1) | instskip(NEXT) | instid1(VALU_DEP_1)
	v_fma_f32 v5, -v1, v4, 1.0
	v_fmac_f32_e32 v4, v5, v4
	v_div_scale_f32 v5, vcc_lo, 1.0, v204, 1.0
	s_delay_alu instid0(VALU_DEP_1) | instskip(NEXT) | instid1(VALU_DEP_1)
	v_mul_f32_e32 v205, v5, v4
	v_fma_f32 v206, -v1, v205, v5
	s_delay_alu instid0(VALU_DEP_1) | instskip(NEXT) | instid1(VALU_DEP_1)
	v_fmac_f32_e32 v205, v206, v4
	v_fma_f32 v1, -v1, v205, v5
	s_delay_alu instid0(VALU_DEP_1) | instskip(NEXT) | instid1(VALU_DEP_1)
	v_div_fmas_f32 v1, v1, v4, v205
	v_div_fixup_f32 v206, v1, v204, 1.0
	s_delay_alu instid0(VALU_DEP_1)
	v_mul_f32_e64 v207, v0, -v206
.LBB81_178:
	s_or_b32 exec_lo, exec_lo, s1
	ds_store_b64 v249, v[206:207]
.LBB81_179:
	s_or_b32 exec_lo, exec_lo, s2
	s_wait_dscnt 0x0
	s_barrier_signal -1
	s_barrier_wait -1
	ds_load_b64 v[204:205], v249
	s_mov_b32 s1, exec_lo
	v_cmpx_lt_u32_e32 19, v248
	s_cbranch_execz .LBB81_181
; %bb.180:
	ds_load_2addr_b64 v[206:209], v250 offset0:20 offset1:21
	ds_load_2addr_b64 v[210:213], v250 offset0:22 offset1:23
	;; [unrolled: 1-line block ×3, first 2 shown]
	s_wait_dscnt 0x3
	v_pk_mul_f32 v[218:219], v[204:205], v[114:115] op_sel:[1,1] op_sel_hi:[0,1]
	s_delay_alu instid0(VALU_DEP_1)
	v_pk_fma_f32 v[228:229], v[204:205], v[114:115], v[218:219] op_sel_hi:[1,0,1]
	v_pk_fma_f32 v[226:227], v[204:205], v[114:115], v[218:219] op_sel_hi:[1,0,1] neg_lo:[0,0,1] neg_hi:[0,0,1]
	ds_load_2addr_b64 v[218:221], v250 offset0:26 offset1:27
	ds_load_2addr_b64 v[222:225], v250 offset0:28 offset1:29
	v_dual_mov_b32 v115, v229 :: v_dual_mov_b32 v114, v226
	s_wait_dscnt 0x4
	v_pk_mul_f32 v[230:231], v[206:207], v[228:229] op_sel:[0,1]
	v_pk_mul_f32 v[232:233], v[208:209], v[228:229] op_sel:[0,1]
	s_wait_dscnt 0x3
	v_pk_mul_f32 v[234:235], v[210:211], v[228:229] op_sel:[0,1]
	s_wait_dscnt 0x2
	v_pk_mul_f32 v[242:243], v[214:215], v[228:229] op_sel:[0,1]
	v_dual_mov_b32 v236, v213 :: v_dual_mov_b32 v237, v212
	v_pk_fma_f32 v[246:247], v[206:207], v[226:227], v[230:231] op_sel:[0,0,1] op_sel_hi:[1,1,0] neg_lo:[0,0,1] neg_hi:[0,0,1]
	v_pk_fma_f32 v[206:207], v[206:207], v[226:227], v[230:231] op_sel:[0,0,1] op_sel_hi:[1,0,0]
	v_dual_mul_f32 v238, v213, v229 :: v_dual_mul_f32 v240, v213, v226
	v_pk_mul_f32 v[244:245], v[216:217], v[228:229] op_sel:[0,1]
	v_pk_fma_f32 v[230:231], v[208:209], v[226:227], v[232:233] op_sel:[0,0,1] op_sel_hi:[1,1,0] neg_lo:[0,0,1] neg_hi:[0,0,1]
	v_pk_fma_f32 v[208:209], v[208:209], v[226:227], v[232:233] op_sel:[0,0,1] op_sel_hi:[1,0,0]
	v_pk_fma_f32 v[232:233], v[210:211], v[226:227], v[234:235] op_sel:[0,0,1] op_sel_hi:[1,1,0] neg_lo:[0,0,1] neg_hi:[0,0,1]
	v_pk_fma_f32 v[210:211], v[210:211], v[226:227], v[234:235] op_sel:[0,0,1] op_sel_hi:[1,0,0]
	v_mov_b32_e32 v247, v207
	v_pk_fma_f32 v[206:207], v[214:215], v[226:227], v[242:243] op_sel:[0,0,1] op_sel_hi:[1,0,0]
	v_pk_fma_f32 v[234:235], v[236:237], v[114:115], v[240:241] op_sel_hi:[1,1,0]
	v_pk_fma_f32 v[236:237], v[214:215], v[226:227], v[242:243] op_sel:[0,0,1] op_sel_hi:[1,1,0] neg_lo:[0,0,1] neg_hi:[0,0,1]
	v_dual_mov_b32 v231, v209 :: v_dual_mov_b32 v233, v211
	v_pk_fma_f32 v[210:211], v[216:217], v[226:227], v[244:245] op_sel:[0,0,1] op_sel_hi:[1,0,0]
	v_mov_b32_e32 v237, v207
	s_wait_dscnt 0x1
	v_pk_mul_f32 v[214:215], v[218:219], v[228:229] op_sel:[0,1]
	ds_load_2addr_b64 v[206:209], v250 offset0:30 offset1:31
	v_pk_fma_f32 v[212:213], v[212:213], v[114:115], v[238:239] op_sel_hi:[1,1,0] neg_lo:[0,0,1] neg_hi:[0,0,1]
	v_pk_fma_f32 v[216:217], v[216:217], v[226:227], v[244:245] op_sel:[0,0,1] op_sel_hi:[1,1,0] neg_lo:[0,0,1] neg_hi:[0,0,1]
	v_mov_b32_e32 v213, v235
	v_pk_add_f32 v[112:113], v[112:113], v[230:231] neg_lo:[0,1] neg_hi:[0,1]
	v_mov_b32_e32 v217, v211
	v_pk_mul_f32 v[230:231], v[220:221], v[228:229] op_sel:[0,1]
	v_pk_fma_f32 v[210:211], v[218:219], v[226:227], v[214:215] op_sel:[0,0,1] op_sel_hi:[1,0,0]
	v_pk_fma_f32 v[214:215], v[218:219], v[226:227], v[214:215] op_sel:[0,0,1] op_sel_hi:[1,1,0] neg_lo:[0,0,1] neg_hi:[0,0,1]
	v_pk_add_f32 v[76:77], v[76:77], v[212:213] neg_lo:[0,1] neg_hi:[0,1]
	v_pk_add_f32 v[98:99], v[98:99], v[216:217] neg_lo:[0,1] neg_hi:[0,1]
	v_pk_fma_f32 v[216:217], v[220:221], v[226:227], v[230:231] op_sel:[0,0,1] op_sel_hi:[1,0,0]
	v_mov_b32_e32 v215, v211
	ds_load_2addr_b64 v[210:213], v250 offset0:32 offset1:33
	v_pk_fma_f32 v[218:219], v[220:221], v[226:227], v[230:231] op_sel:[0,0,1] op_sel_hi:[1,1,0] neg_lo:[0,0,1] neg_hi:[0,0,1]
	s_wait_dscnt 0x2
	v_dual_mul_f32 v216, v223, v226 :: v_dual_mul_f32 v220, v223, v229
	v_mov_b32_e32 v219, v217
	v_pk_add_f32 v[100:101], v[100:101], v[214:215] neg_lo:[0,1] neg_hi:[0,1]
	v_pk_mul_f32 v[214:215], v[224:225], v[228:229] op_sel:[0,1]
	s_delay_alu instid0(VALU_DEP_4)
	v_pk_fma_f32 v[216:217], v[222:223], v[114:115], v[216:217] op_sel:[1,0,0] op_sel_hi:[0,1,0]
	v_pk_fma_f32 v[220:221], v[222:223], v[114:115], v[220:221] op_sel_hi:[1,1,0] neg_lo:[0,0,1] neg_hi:[0,0,1]
	v_pk_add_f32 v[96:97], v[96:97], v[218:219] neg_lo:[0,1] neg_hi:[0,1]
	s_wait_dscnt 0x1
	v_pk_mul_f32 v[218:219], v[206:207], v[228:229] op_sel:[0,1]
	v_pk_fma_f32 v[230:231], v[224:225], v[226:227], v[214:215] op_sel:[0,0,1] op_sel_hi:[1,0,0]
	v_mov_b32_e32 v221, v217
	v_pk_fma_f32 v[222:223], v[224:225], v[226:227], v[214:215] op_sel:[0,0,1] op_sel_hi:[1,1,0] neg_lo:[0,0,1] neg_hi:[0,0,1]
	ds_load_2addr_b64 v[214:217], v250 offset0:34 offset1:35
	v_pk_fma_f32 v[224:225], v[206:207], v[226:227], v[218:219] op_sel:[0,0,1] op_sel_hi:[1,0,0]
	v_pk_fma_f32 v[206:207], v[206:207], v[226:227], v[218:219] op_sel:[0,0,1] op_sel_hi:[1,1,0] neg_lo:[0,0,1] neg_hi:[0,0,1]
	v_pk_mul_f32 v[218:219], v[208:209], v[228:229] op_sel:[0,1]
	v_mov_b32_e32 v223, v231
	v_pk_add_f32 v[132:133], v[132:133], v[220:221] neg_lo:[0,1] neg_hi:[0,1]
	v_pk_add_f32 v[144:145], v[144:145], v[232:233] neg_lo:[0,1] neg_hi:[0,1]
	;; [unrolled: 1-line block ×3, first 2 shown]
	v_pk_fma_f32 v[220:221], v[208:209], v[226:227], v[218:219] op_sel:[0,0,1] op_sel_hi:[1,0,0]
	v_mov_b32_e32 v207, v225
	s_wait_dscnt 0x1
	v_pk_mul_f32 v[224:225], v[210:211], v[228:229] op_sel:[0,1]
	v_pk_fma_f32 v[218:219], v[208:209], v[226:227], v[218:219] op_sel:[0,0,1] op_sel_hi:[1,1,0] neg_lo:[0,0,1] neg_hi:[0,0,1]
	v_pk_add_f32 v[128:129], v[128:129], v[222:223] neg_lo:[0,1] neg_hi:[0,1]
	v_mov_b32_e32 v219, v221
	v_pk_add_f32 v[130:131], v[130:131], v[206:207] neg_lo:[0,1] neg_hi:[0,1]
	v_pk_fma_f32 v[222:223], v[210:211], v[226:227], v[224:225] op_sel:[0,0,1] op_sel_hi:[1,0,0]
	ds_load_2addr_b64 v[206:209], v250 offset0:36 offset1:37
	v_pk_fma_f32 v[210:211], v[210:211], v[226:227], v[224:225] op_sel:[0,0,1] op_sel_hi:[1,1,0] neg_lo:[0,0,1] neg_hi:[0,0,1]
	v_dual_mov_b32 v220, v213 :: v_dual_mov_b32 v221, v212
	v_dual_mul_f32 v222, v213, v226 :: v_dual_mov_b32 v211, v223
	v_pk_add_f32 v[126:127], v[126:127], v[218:219] neg_lo:[0,1] neg_hi:[0,1]
	ds_load_b64 v[232:233], v250 offset:320
	s_wait_dscnt 0x2
	v_pk_mul_f32 v[224:225], v[214:215], v[228:229] op_sel:[0,1]
	v_pk_fma_f32 v[222:223], v[220:221], v[114:115], v[222:223] op_sel_hi:[1,1,0]
	ds_load_2addr_b64 v[218:221], v250 offset0:38 offset1:39
	v_pk_add_f32 v[160:161], v[160:161], v[210:211] neg_lo:[0,1] neg_hi:[0,1]
	v_mul_f32_e32 v210, v213, v229
	v_pk_mul_f32 v[230:231], v[216:217], v[228:229] op_sel:[0,1]
	v_pk_add_f32 v[102:103], v[102:103], v[236:237] neg_lo:[0,1] neg_hi:[0,1]
	s_delay_alu instid0(VALU_DEP_3)
	v_pk_fma_f32 v[210:211], v[212:213], v[114:115], v[210:211] op_sel_hi:[1,1,0] neg_lo:[0,0,1] neg_hi:[0,0,1]
	v_pk_fma_f32 v[212:213], v[214:215], v[226:227], v[224:225] op_sel:[0,0,1] op_sel_hi:[1,0,0]
	v_mov_b32_e32 v211, v223
	v_pk_fma_f32 v[222:223], v[216:217], v[226:227], v[230:231] op_sel:[0,0,1] op_sel_hi:[1,0,0]
	v_pk_fma_f32 v[214:215], v[214:215], v[226:227], v[224:225] op_sel:[0,0,1] op_sel_hi:[1,1,0] neg_lo:[0,0,1] neg_hi:[0,0,1]
	s_wait_dscnt 0x2
	v_pk_mul_f32 v[224:225], v[206:207], v[228:229] op_sel:[0,1]
	v_mov_b32_e32 v215, v213
	v_pk_fma_f32 v[212:213], v[216:217], v[226:227], v[230:231] op_sel:[0,0,1] op_sel_hi:[1,1,0] neg_lo:[0,0,1] neg_hi:[0,0,1]
	v_mov_b32_e32 v213, v223
	v_pk_add_f32 v[152:153], v[152:153], v[210:211] neg_lo:[0,1] neg_hi:[0,1]
	v_pk_fma_f32 v[210:211], v[206:207], v[226:227], v[224:225] op_sel:[0,0,1] op_sel_hi:[1,0,0]
	v_pk_mul_f32 v[216:217], v[208:209], v[228:229] op_sel:[0,1]
	v_pk_fma_f32 v[206:207], v[206:207], v[226:227], v[224:225] op_sel:[0,0,1] op_sel_hi:[1,1,0] neg_lo:[0,0,1] neg_hi:[0,0,1]
	v_pk_add_f32 v[150:151], v[150:151], v[212:213] neg_lo:[0,1] neg_hi:[0,1]
	s_wait_dscnt 0x0
	v_mul_f32_e32 v212, v219, v226
	v_mov_b32_e32 v207, v211
	v_pk_fma_f32 v[210:211], v[208:209], v[226:227], v[216:217] op_sel:[0,0,1] op_sel_hi:[1,1,0] neg_lo:[0,0,1] neg_hi:[0,0,1]
	v_pk_fma_f32 v[208:209], v[208:209], v[226:227], v[216:217] op_sel:[0,0,1] op_sel_hi:[1,0,0]
	v_pk_add_f32 v[158:159], v[158:159], v[214:215] neg_lo:[0,1] neg_hi:[0,1]
	v_pk_mul_f32 v[214:215], v[220:221], v[228:229] op_sel:[0,1]
	v_mul_f32_e32 v208, v219, v229
	v_pk_mul_f32 v[216:217], v[232:233], v[228:229] op_sel:[0,1]
	v_pk_fma_f32 v[212:213], v[218:219], v[114:115], v[212:213] op_sel:[1,0,0] op_sel_hi:[0,1,0]
	v_mov_b32_e32 v211, v209
	v_pk_fma_f32 v[222:223], v[220:221], v[226:227], v[214:215] op_sel:[0,0,1] op_sel_hi:[1,0,0]
	v_pk_fma_f32 v[208:209], v[218:219], v[114:115], v[208:209] op_sel_hi:[1,1,0] neg_lo:[0,0,1] neg_hi:[0,0,1]
	v_pk_fma_f32 v[218:219], v[232:233], v[226:227], v[216:217] op_sel:[0,0,1] op_sel_hi:[1,0,0]
	v_mov_b32_e32 v209, v213
	v_pk_fma_f32 v[212:213], v[220:221], v[226:227], v[214:215] op_sel:[0,0,1] op_sel_hi:[1,1,0] neg_lo:[0,0,1] neg_hi:[0,0,1]
	v_pk_fma_f32 v[214:215], v[232:233], v[226:227], v[216:217] op_sel:[0,0,1] op_sel_hi:[1,1,0] neg_lo:[0,0,1] neg_hi:[0,0,1]
	s_delay_alu instid0(VALU_DEP_4) | instskip(SKIP_3) | instid1(VALU_DEP_4)
	v_dual_mov_b32 v213, v223 :: v_dual_mov_b32 v215, v219
	v_pk_add_f32 v[156:157], v[156:157], v[206:207] neg_lo:[0,1] neg_hi:[0,1]
	v_pk_add_f32 v[148:149], v[148:149], v[210:211] neg_lo:[0,1] neg_hi:[0,1]
	;; [unrolled: 1-line block ×5, first 2 shown]
.LBB81_181:
	s_or_b32 exec_lo, exec_lo, s1
	s_delay_alu instid0(SALU_CYCLE_1)
	s_mov_b32 s2, exec_lo
	s_wait_dscnt 0x0
	s_barrier_signal -1
	s_barrier_wait -1
	v_cmpx_eq_u32_e32 20, v248
	s_cbranch_execz .LBB81_188
; %bb.182:
	ds_store_b64 v249, v[146:147]
	ds_store_2addr_b64 v250, v[112:113], v[144:145] offset0:21 offset1:22
	ds_store_2addr_b64 v250, v[76:77], v[102:103] offset0:23 offset1:24
	;; [unrolled: 1-line block ×10, first 2 shown]
	ds_load_b64 v[206:207], v249
	s_wait_dscnt 0x0
	v_cmp_neq_f32_e32 vcc_lo, 0, v206
	v_cmp_neq_f32_e64 s1, 0, v207
	s_or_b32 s1, vcc_lo, s1
	s_delay_alu instid0(SALU_CYCLE_1)
	s_and_b32 exec_lo, exec_lo, s1
	s_cbranch_execz .LBB81_188
; %bb.183:
	v_cmp_ngt_f32_e64 s1, |v206|, |v207|
                                        ; implicit-def: $vgpr208_vgpr209
	s_and_saveexec_b32 s4, s1
	s_delay_alu instid0(SALU_CYCLE_1)
	s_xor_b32 s1, exec_lo, s4
	s_cbranch_execz .LBB81_185
; %bb.184:
	v_div_scale_f32 v0, null, v207, v207, v206
	v_div_scale_f32 v5, vcc_lo, v206, v207, v206
	s_delay_alu instid0(VALU_DEP_2) | instskip(SKIP_1) | instid1(TRANS32_DEP_1)
	v_rcp_f32_e32 v1, v0
	v_nop
	v_fma_f32 v4, -v0, v1, 1.0
	s_delay_alu instid0(VALU_DEP_1) | instskip(NEXT) | instid1(VALU_DEP_1)
	v_fmac_f32_e32 v1, v4, v1
	v_mul_f32_e32 v4, v5, v1
	s_delay_alu instid0(VALU_DEP_1) | instskip(NEXT) | instid1(VALU_DEP_1)
	v_fma_f32 v208, -v0, v4, v5
	v_fmac_f32_e32 v4, v208, v1
	s_delay_alu instid0(VALU_DEP_1) | instskip(NEXT) | instid1(VALU_DEP_1)
	v_fma_f32 v0, -v0, v4, v5
	v_div_fmas_f32 v0, v0, v1, v4
	s_delay_alu instid0(VALU_DEP_1) | instskip(NEXT) | instid1(VALU_DEP_1)
	v_div_fixup_f32 v0, v0, v207, v206
	v_fmac_f32_e32 v207, v206, v0
	s_delay_alu instid0(VALU_DEP_1) | instskip(SKIP_1) | instid1(VALU_DEP_2)
	v_div_scale_f32 v1, null, v207, v207, 1.0
	v_div_scale_f32 v206, vcc_lo, 1.0, v207, 1.0
	v_rcp_f32_e32 v4, v1
	v_nop
	s_delay_alu instid0(TRANS32_DEP_1) | instskip(NEXT) | instid1(VALU_DEP_1)
	v_fma_f32 v5, -v1, v4, 1.0
	v_fmac_f32_e32 v4, v5, v4
	s_delay_alu instid0(VALU_DEP_1) | instskip(NEXT) | instid1(VALU_DEP_1)
	v_mul_f32_e32 v5, v206, v4
	v_fma_f32 v208, -v1, v5, v206
	s_delay_alu instid0(VALU_DEP_1) | instskip(NEXT) | instid1(VALU_DEP_1)
	v_fmac_f32_e32 v5, v208, v4
	v_fma_f32 v1, -v1, v5, v206
	s_delay_alu instid0(VALU_DEP_1) | instskip(NEXT) | instid1(VALU_DEP_1)
	v_div_fmas_f32 v1, v1, v4, v5
	v_div_fixup_f32 v1, v1, v207, 1.0
                                        ; implicit-def: $vgpr206_vgpr207
	s_delay_alu instid0(VALU_DEP_1)
	v_mul_f32_e32 v208, v0, v1
	v_xor_b32_e32 v209, 0x80000000, v1
.LBB81_185:
	s_and_not1_saveexec_b32 s1, s1
	s_cbranch_execz .LBB81_187
; %bb.186:
	v_div_scale_f32 v0, null, v206, v206, v207
	v_div_scale_f32 v5, vcc_lo, v207, v206, v207
	s_delay_alu instid0(VALU_DEP_2) | instskip(SKIP_1) | instid1(TRANS32_DEP_1)
	v_rcp_f32_e32 v1, v0
	v_nop
	v_fma_f32 v4, -v0, v1, 1.0
	s_delay_alu instid0(VALU_DEP_1) | instskip(NEXT) | instid1(VALU_DEP_1)
	v_fmac_f32_e32 v1, v4, v1
	v_mul_f32_e32 v4, v5, v1
	s_delay_alu instid0(VALU_DEP_1) | instskip(NEXT) | instid1(VALU_DEP_1)
	v_fma_f32 v208, -v0, v4, v5
	v_fmac_f32_e32 v4, v208, v1
	s_delay_alu instid0(VALU_DEP_1) | instskip(NEXT) | instid1(VALU_DEP_1)
	v_fma_f32 v0, -v0, v4, v5
	v_div_fmas_f32 v0, v0, v1, v4
	s_delay_alu instid0(VALU_DEP_1) | instskip(NEXT) | instid1(VALU_DEP_1)
	v_div_fixup_f32 v0, v0, v206, v207
	v_fmac_f32_e32 v206, v207, v0
	s_delay_alu instid0(VALU_DEP_1) | instskip(NEXT) | instid1(VALU_DEP_1)
	v_div_scale_f32 v1, null, v206, v206, 1.0
	v_rcp_f32_e32 v4, v1
	v_nop
	s_delay_alu instid0(TRANS32_DEP_1) | instskip(NEXT) | instid1(VALU_DEP_1)
	v_fma_f32 v5, -v1, v4, 1.0
	v_fmac_f32_e32 v4, v5, v4
	v_div_scale_f32 v5, vcc_lo, 1.0, v206, 1.0
	s_delay_alu instid0(VALU_DEP_1) | instskip(NEXT) | instid1(VALU_DEP_1)
	v_mul_f32_e32 v207, v5, v4
	v_fma_f32 v208, -v1, v207, v5
	s_delay_alu instid0(VALU_DEP_1) | instskip(NEXT) | instid1(VALU_DEP_1)
	v_fmac_f32_e32 v207, v208, v4
	v_fma_f32 v1, -v1, v207, v5
	s_delay_alu instid0(VALU_DEP_1) | instskip(NEXT) | instid1(VALU_DEP_1)
	v_div_fmas_f32 v1, v1, v4, v207
	v_div_fixup_f32 v208, v1, v206, 1.0
	s_delay_alu instid0(VALU_DEP_1)
	v_mul_f32_e64 v209, v0, -v208
.LBB81_187:
	s_or_b32 exec_lo, exec_lo, s1
	ds_store_b64 v249, v[208:209]
.LBB81_188:
	s_or_b32 exec_lo, exec_lo, s2
	s_wait_dscnt 0x0
	s_barrier_signal -1
	s_barrier_wait -1
	ds_load_b64 v[206:207], v249
	s_mov_b32 s1, exec_lo
	v_cmpx_lt_u32_e32 20, v248
	s_cbranch_execz .LBB81_190
; %bb.189:
	ds_load_2addr_b64 v[208:211], v250 offset0:21 offset1:22
	ds_load_2addr_b64 v[212:215], v250 offset0:23 offset1:24
	;; [unrolled: 1-line block ×3, first 2 shown]
	s_wait_dscnt 0x3
	v_pk_mul_f32 v[220:221], v[206:207], v[146:147] op_sel:[1,1] op_sel_hi:[0,1]
	s_delay_alu instid0(VALU_DEP_1)
	v_pk_fma_f32 v[228:229], v[206:207], v[146:147], v[220:221] op_sel_hi:[1,0,1] neg_lo:[0,0,1] neg_hi:[0,0,1]
	v_pk_fma_f32 v[230:231], v[206:207], v[146:147], v[220:221] op_sel_hi:[1,0,1]
	ds_load_2addr_b64 v[220:223], v250 offset0:27 offset1:28
	ds_load_2addr_b64 v[224:227], v250 offset0:29 offset1:30
	v_dual_mov_b32 v146, v228 :: v_dual_mov_b32 v147, v231
	s_wait_dscnt 0x4
	v_pk_mul_f32 v[232:233], v[208:209], v[230:231] op_sel:[0,1]
	v_pk_mul_f32 v[234:235], v[210:211], v[230:231] op_sel:[0,1]
	s_wait_dscnt 0x3
	v_pk_mul_f32 v[236:237], v[212:213], v[230:231] op_sel:[0,1]
	v_dual_mov_b32 v238, v215 :: v_dual_mov_b32 v239, v214
	v_dual_mul_f32 v240, v215, v231 :: v_dual_mul_f32 v242, v215, v228
	v_pk_fma_f32 v[252:253], v[208:209], v[228:229], v[232:233] op_sel:[0,0,1] op_sel_hi:[1,1,0] neg_lo:[0,0,1] neg_hi:[0,0,1]
	v_pk_fma_f32 v[208:209], v[208:209], v[228:229], v[232:233] op_sel:[0,0,1] op_sel_hi:[1,0,0]
	v_pk_fma_f32 v[232:233], v[210:211], v[228:229], v[234:235] op_sel:[0,0,1] op_sel_hi:[1,1,0] neg_lo:[0,0,1] neg_hi:[0,0,1]
	v_pk_fma_f32 v[210:211], v[210:211], v[228:229], v[234:235] op_sel:[0,0,1] op_sel_hi:[1,0,0]
	;; [unrolled: 2-line block ×3, first 2 shown]
	v_pk_fma_f32 v[236:237], v[238:239], v[146:147], v[242:243] op_sel_hi:[1,1,0]
	s_wait_dscnt 0x2
	v_pk_mul_f32 v[244:245], v[216:217], v[230:231] op_sel:[0,1]
	v_pk_fma_f32 v[214:215], v[214:215], v[146:147], v[240:241] op_sel_hi:[1,1,0] neg_lo:[0,0,1] neg_hi:[0,0,1]
	v_pk_mul_f32 v[246:247], v[218:219], v[230:231] op_sel:[0,1]
	v_dual_mov_b32 v235, v213 :: v_dual_mov_b32 v215, v237
	v_dual_mov_b32 v253, v209 :: v_dual_mov_b32 v233, v211
	v_pk_fma_f32 v[208:209], v[216:217], v[228:229], v[244:245] op_sel:[0,0,1] op_sel_hi:[1,0,0]
	s_wait_dscnt 0x1
	v_pk_mul_f32 v[212:213], v[220:221], v[230:231] op_sel:[0,1]
	v_pk_add_f32 v[102:103], v[102:103], v[214:215] neg_lo:[0,1] neg_hi:[0,1]
	v_pk_fma_f32 v[214:215], v[216:217], v[228:229], v[244:245] op_sel:[0,0,1] op_sel_hi:[1,1,0] neg_lo:[0,0,1] neg_hi:[0,0,1]
	v_pk_fma_f32 v[216:217], v[218:219], v[228:229], v[246:247] op_sel:[0,0,1] op_sel_hi:[1,0,0]
	v_mov_b32_e32 v215, v209
	ds_load_2addr_b64 v[208:211], v250 offset0:31 offset1:32
	v_pk_add_f32 v[76:77], v[76:77], v[234:235] neg_lo:[0,1] neg_hi:[0,1]
	v_pk_mul_f32 v[234:235], v[222:223], v[230:231] op_sel:[0,1]
	v_pk_add_f32 v[144:145], v[144:145], v[232:233] neg_lo:[0,1] neg_hi:[0,1]
	v_pk_fma_f32 v[232:233], v[220:221], v[228:229], v[212:213] op_sel:[0,0,1] op_sel_hi:[1,0,0]
	v_pk_fma_f32 v[218:219], v[218:219], v[228:229], v[246:247] op_sel:[0,0,1] op_sel_hi:[1,1,0] neg_lo:[0,0,1] neg_hi:[0,0,1]
	v_mov_b32_e32 v219, v217
	v_pk_fma_f32 v[212:213], v[220:221], v[228:229], v[212:213] op_sel:[0,0,1] op_sel_hi:[1,1,0] neg_lo:[0,0,1] neg_hi:[0,0,1]
	v_pk_add_f32 v[98:99], v[98:99], v[214:215] neg_lo:[0,1] neg_hi:[0,1]
	v_pk_fma_f32 v[214:215], v[222:223], v[228:229], v[234:235] op_sel:[0,0,1] op_sel_hi:[1,0,0]
	v_mov_b32_e32 v213, v233
	s_wait_dscnt 0x1
	v_mul_f32_e32 v214, v225, v228
	v_pk_fma_f32 v[216:217], v[222:223], v[228:229], v[234:235] op_sel:[0,0,1] op_sel_hi:[1,1,0] neg_lo:[0,0,1] neg_hi:[0,0,1]
	v_pk_add_f32 v[100:101], v[100:101], v[218:219] neg_lo:[0,1] neg_hi:[0,1]
	v_mov_b32_e32 v217, v215
	v_pk_add_f32 v[96:97], v[96:97], v[212:213] neg_lo:[0,1] neg_hi:[0,1]
	v_mul_f32_e32 v218, v225, v231
	v_pk_fma_f32 v[220:221], v[224:225], v[146:147], v[214:215] op_sel:[1,0,0] op_sel_hi:[0,1,0]
	ds_load_2addr_b64 v[212:215], v250 offset0:33 offset1:34
	v_pk_mul_f32 v[222:223], v[226:227], v[230:231] op_sel:[0,1]
	s_wait_dscnt 0x1
	v_pk_mul_f32 v[232:233], v[208:209], v[230:231] op_sel:[0,1]
	v_pk_fma_f32 v[224:225], v[224:225], v[146:147], v[218:219] op_sel_hi:[1,1,0] neg_lo:[0,0,1] neg_hi:[0,0,1]
	v_pk_add_f32 v[132:133], v[132:133], v[216:217] neg_lo:[0,1] neg_hi:[0,1]
	v_mov_b32_e32 v225, v221
	v_pk_fma_f32 v[220:221], v[226:227], v[228:229], v[222:223] op_sel:[0,0,1] op_sel_hi:[1,0,0]
	v_pk_mul_f32 v[234:235], v[210:211], v[230:231] op_sel:[0,1]
	ds_load_2addr_b64 v[216:219], v250 offset0:35 offset1:36
	v_pk_fma_f32 v[236:237], v[208:209], v[228:229], v[232:233] op_sel:[0,0,1] op_sel_hi:[1,0,0]
	v_pk_fma_f32 v[222:223], v[226:227], v[228:229], v[222:223] op_sel:[0,0,1] op_sel_hi:[1,1,0] neg_lo:[0,0,1] neg_hi:[0,0,1]
	v_pk_fma_f32 v[208:209], v[208:209], v[228:229], v[232:233] op_sel:[0,0,1] op_sel_hi:[1,1,0] neg_lo:[0,0,1] neg_hi:[0,0,1]
	v_mov_b32_e32 v223, v221
	v_pk_fma_f32 v[220:221], v[210:211], v[228:229], v[234:235] op_sel:[0,0,1] op_sel_hi:[1,0,0]
	v_mov_b32_e32 v209, v237
	v_pk_add_f32 v[128:129], v[128:129], v[224:225] neg_lo:[0,1] neg_hi:[0,1]
	v_pk_fma_f32 v[224:225], v[210:211], v[228:229], v[234:235] op_sel:[0,0,1] op_sel_hi:[1,1,0] neg_lo:[0,0,1] neg_hi:[0,0,1]
	v_pk_add_f32 v[130:131], v[130:131], v[222:223] neg_lo:[0,1] neg_hi:[0,1]
	v_mov_b32_e32 v225, v221
	v_pk_add_f32 v[126:127], v[126:127], v[208:209] neg_lo:[0,1] neg_hi:[0,1]
	ds_load_2addr_b64 v[208:211], v250 offset0:37 offset1:38
	s_wait_dscnt 0x2
	v_pk_mul_f32 v[226:227], v[212:213], v[230:231] op_sel:[0,1]
	v_mul_f32_e32 v232, v215, v228
	v_pk_add_f32 v[160:161], v[160:161], v[224:225] neg_lo:[0,1] neg_hi:[0,1]
	v_dual_mov_b32 v224, v215 :: v_dual_mov_b32 v225, v214
	s_delay_alu instid0(VALU_DEP_4)
	v_pk_fma_f32 v[234:235], v[212:213], v[228:229], v[226:227] op_sel:[0,0,1] op_sel_hi:[1,0,0]
	v_mul_f32_e32 v234, v215, v231
	ds_load_2addr_b64 v[220:223], v250 offset0:39 offset1:40
	s_wait_dscnt 0x2
	v_pk_mul_f32 v[236:237], v[216:217], v[230:231] op_sel:[0,1]
	v_pk_fma_f32 v[224:225], v[224:225], v[146:147], v[232:233] op_sel_hi:[1,1,0]
	v_pk_fma_f32 v[212:213], v[212:213], v[228:229], v[226:227] op_sel:[0,0,1] op_sel_hi:[1,1,0] neg_lo:[0,0,1] neg_hi:[0,0,1]
	v_pk_fma_f32 v[214:215], v[214:215], v[146:147], v[234:235] op_sel_hi:[1,1,0] neg_lo:[0,0,1] neg_hi:[0,0,1]
	v_mov_b32_e32 v213, v235
	v_pk_fma_f32 v[226:227], v[216:217], v[228:229], v[236:237] op_sel:[0,0,1] op_sel_hi:[1,0,0]
	v_mov_b32_e32 v215, v225
	v_pk_mul_f32 v[224:225], v[218:219], v[230:231] op_sel:[0,1]
	v_pk_fma_f32 v[216:217], v[216:217], v[228:229], v[236:237] op_sel:[0,0,1] op_sel_hi:[1,1,0] neg_lo:[0,0,1] neg_hi:[0,0,1]
	v_pk_add_f32 v[152:153], v[152:153], v[212:213] neg_lo:[0,1] neg_hi:[0,1]
	v_mov_b32_e32 v217, v227
	s_wait_dscnt 0x1
	v_pk_mul_f32 v[212:213], v[208:209], v[230:231] op_sel:[0,1]
	v_pk_fma_f32 v[226:227], v[218:219], v[228:229], v[224:225] op_sel:[0,0,1] op_sel_hi:[1,0,0]
	v_pk_add_f32 v[158:159], v[158:159], v[214:215] neg_lo:[0,1] neg_hi:[0,1]
	v_pk_fma_f32 v[214:215], v[218:219], v[228:229], v[224:225] op_sel:[0,0,1] op_sel_hi:[1,1,0] neg_lo:[0,0,1] neg_hi:[0,0,1]
	v_pk_mul_f32 v[218:219], v[210:211], v[230:231] op_sel:[0,1]
	v_pk_add_f32 v[112:113], v[112:113], v[252:253] neg_lo:[0,1] neg_hi:[0,1]
	v_mov_b32_e32 v215, v227
	v_pk_add_f32 v[150:151], v[150:151], v[216:217] neg_lo:[0,1] neg_hi:[0,1]
	v_pk_fma_f32 v[216:217], v[208:209], v[228:229], v[212:213] op_sel:[0,0,1] op_sel_hi:[1,0,0]
	v_pk_fma_f32 v[208:209], v[208:209], v[228:229], v[212:213] op_sel:[0,0,1] op_sel_hi:[1,1,0] neg_lo:[0,0,1] neg_hi:[0,0,1]
	s_wait_dscnt 0x0
	v_mul_f32_e32 v212, v221, v228
	v_pk_fma_f32 v[224:225], v[210:211], v[228:229], v[218:219] op_sel:[0,0,1] op_sel_hi:[1,0,0]
	v_mul_f32_e32 v224, v221, v231
	v_mov_b32_e32 v209, v217
	v_pk_mul_f32 v[216:217], v[222:223], v[230:231] op_sel:[0,1]
	v_pk_fma_f32 v[212:213], v[220:221], v[146:147], v[212:213] op_sel:[1,0,0] op_sel_hi:[0,1,0]
	v_pk_fma_f32 v[210:211], v[210:211], v[228:229], v[218:219] op_sel:[0,0,1] op_sel_hi:[1,1,0] neg_lo:[0,0,1] neg_hi:[0,0,1]
	v_pk_fma_f32 v[220:221], v[220:221], v[146:147], v[224:225] op_sel_hi:[1,1,0] neg_lo:[0,0,1] neg_hi:[0,0,1]
	v_mov_b32_e32 v211, v225
	v_pk_fma_f32 v[218:219], v[222:223], v[228:229], v[216:217] op_sel:[0,0,1] op_sel_hi:[1,0,0]
	v_mov_b32_e32 v221, v213
	v_pk_fma_f32 v[212:213], v[222:223], v[228:229], v[216:217] op_sel:[0,0,1] op_sel_hi:[1,1,0] neg_lo:[0,0,1] neg_hi:[0,0,1]
	v_pk_add_f32 v[156:157], v[156:157], v[214:215] neg_lo:[0,1] neg_hi:[0,1]
	v_pk_add_f32 v[148:149], v[148:149], v[208:209] neg_lo:[0,1] neg_hi:[0,1]
	v_mov_b32_e32 v213, v219
	v_pk_add_f32 v[154:155], v[154:155], v[210:211] neg_lo:[0,1] neg_hi:[0,1]
	v_pk_add_f32 v[162:163], v[162:163], v[220:221] neg_lo:[0,1] neg_hi:[0,1]
	s_delay_alu instid0(VALU_DEP_3)
	v_pk_add_f32 v[164:165], v[164:165], v[212:213] neg_lo:[0,1] neg_hi:[0,1]
.LBB81_190:
	s_or_b32 exec_lo, exec_lo, s1
	s_delay_alu instid0(SALU_CYCLE_1)
	s_mov_b32 s2, exec_lo
	s_wait_dscnt 0x0
	s_barrier_signal -1
	s_barrier_wait -1
	v_cmpx_eq_u32_e32 21, v248
	s_cbranch_execz .LBB81_197
; %bb.191:
	v_dual_mov_b32 v208, v144 :: v_dual_mov_b32 v209, v145
	v_dual_mov_b32 v210, v76 :: v_dual_mov_b32 v211, v77
	;; [unrolled: 1-line block ×8, first 2 shown]
	ds_store_b64 v249, v[112:113]
	ds_store_2addr_b64 v250, v[208:209], v[210:211] offset0:22 offset1:23
	ds_store_2addr_b64 v250, v[212:213], v[214:215] offset0:24 offset1:25
	;; [unrolled: 1-line block ×4, first 2 shown]
	v_dual_mov_b32 v208, v130 :: v_dual_mov_b32 v209, v131
	v_dual_mov_b32 v210, v126 :: v_dual_mov_b32 v211, v127
	;; [unrolled: 1-line block ×10, first 2 shown]
	ds_store_2addr_b64 v250, v[208:209], v[210:211] offset0:30 offset1:31
	ds_store_2addr_b64 v250, v[212:213], v[214:215] offset0:32 offset1:33
	;; [unrolled: 1-line block ×5, first 2 shown]
	ds_store_b64 v250, v[164:165] offset:320
	ds_load_b64 v[208:209], v249
	s_wait_dscnt 0x0
	v_cmp_neq_f32_e32 vcc_lo, 0, v208
	v_cmp_neq_f32_e64 s1, 0, v209
	s_or_b32 s1, vcc_lo, s1
	s_delay_alu instid0(SALU_CYCLE_1)
	s_and_b32 exec_lo, exec_lo, s1
	s_cbranch_execz .LBB81_197
; %bb.192:
	v_cmp_ngt_f32_e64 s1, |v208|, |v209|
                                        ; implicit-def: $vgpr210_vgpr211
	s_and_saveexec_b32 s4, s1
	s_delay_alu instid0(SALU_CYCLE_1)
	s_xor_b32 s1, exec_lo, s4
	s_cbranch_execz .LBB81_194
; %bb.193:
	v_div_scale_f32 v0, null, v209, v209, v208
	v_div_scale_f32 v5, vcc_lo, v208, v209, v208
	s_delay_alu instid0(VALU_DEP_2) | instskip(SKIP_1) | instid1(TRANS32_DEP_1)
	v_rcp_f32_e32 v1, v0
	v_nop
	v_fma_f32 v4, -v0, v1, 1.0
	s_delay_alu instid0(VALU_DEP_1) | instskip(NEXT) | instid1(VALU_DEP_1)
	v_fmac_f32_e32 v1, v4, v1
	v_mul_f32_e32 v4, v5, v1
	s_delay_alu instid0(VALU_DEP_1) | instskip(NEXT) | instid1(VALU_DEP_1)
	v_fma_f32 v210, -v0, v4, v5
	v_fmac_f32_e32 v4, v210, v1
	s_delay_alu instid0(VALU_DEP_1) | instskip(NEXT) | instid1(VALU_DEP_1)
	v_fma_f32 v0, -v0, v4, v5
	v_div_fmas_f32 v0, v0, v1, v4
	s_delay_alu instid0(VALU_DEP_1) | instskip(NEXT) | instid1(VALU_DEP_1)
	v_div_fixup_f32 v0, v0, v209, v208
	v_fmac_f32_e32 v209, v208, v0
	s_delay_alu instid0(VALU_DEP_1) | instskip(SKIP_1) | instid1(VALU_DEP_2)
	v_div_scale_f32 v1, null, v209, v209, 1.0
	v_div_scale_f32 v208, vcc_lo, 1.0, v209, 1.0
	v_rcp_f32_e32 v4, v1
	v_nop
	s_delay_alu instid0(TRANS32_DEP_1) | instskip(NEXT) | instid1(VALU_DEP_1)
	v_fma_f32 v5, -v1, v4, 1.0
	v_fmac_f32_e32 v4, v5, v4
	s_delay_alu instid0(VALU_DEP_1) | instskip(NEXT) | instid1(VALU_DEP_1)
	v_mul_f32_e32 v5, v208, v4
	v_fma_f32 v210, -v1, v5, v208
	s_delay_alu instid0(VALU_DEP_1) | instskip(NEXT) | instid1(VALU_DEP_1)
	v_fmac_f32_e32 v5, v210, v4
	v_fma_f32 v1, -v1, v5, v208
	s_delay_alu instid0(VALU_DEP_1) | instskip(NEXT) | instid1(VALU_DEP_1)
	v_div_fmas_f32 v1, v1, v4, v5
	v_div_fixup_f32 v1, v1, v209, 1.0
                                        ; implicit-def: $vgpr208_vgpr209
	s_delay_alu instid0(VALU_DEP_1)
	v_mul_f32_e32 v210, v0, v1
	v_xor_b32_e32 v211, 0x80000000, v1
.LBB81_194:
	s_and_not1_saveexec_b32 s1, s1
	s_cbranch_execz .LBB81_196
; %bb.195:
	v_div_scale_f32 v0, null, v208, v208, v209
	v_div_scale_f32 v5, vcc_lo, v209, v208, v209
	s_delay_alu instid0(VALU_DEP_2) | instskip(SKIP_1) | instid1(TRANS32_DEP_1)
	v_rcp_f32_e32 v1, v0
	v_nop
	v_fma_f32 v4, -v0, v1, 1.0
	s_delay_alu instid0(VALU_DEP_1) | instskip(NEXT) | instid1(VALU_DEP_1)
	v_fmac_f32_e32 v1, v4, v1
	v_mul_f32_e32 v4, v5, v1
	s_delay_alu instid0(VALU_DEP_1) | instskip(NEXT) | instid1(VALU_DEP_1)
	v_fma_f32 v210, -v0, v4, v5
	v_fmac_f32_e32 v4, v210, v1
	s_delay_alu instid0(VALU_DEP_1) | instskip(NEXT) | instid1(VALU_DEP_1)
	v_fma_f32 v0, -v0, v4, v5
	v_div_fmas_f32 v0, v0, v1, v4
	s_delay_alu instid0(VALU_DEP_1) | instskip(NEXT) | instid1(VALU_DEP_1)
	v_div_fixup_f32 v0, v0, v208, v209
	v_fmac_f32_e32 v208, v209, v0
	s_delay_alu instid0(VALU_DEP_1) | instskip(NEXT) | instid1(VALU_DEP_1)
	v_div_scale_f32 v1, null, v208, v208, 1.0
	v_rcp_f32_e32 v4, v1
	v_nop
	s_delay_alu instid0(TRANS32_DEP_1) | instskip(NEXT) | instid1(VALU_DEP_1)
	v_fma_f32 v5, -v1, v4, 1.0
	v_fmac_f32_e32 v4, v5, v4
	v_div_scale_f32 v5, vcc_lo, 1.0, v208, 1.0
	s_delay_alu instid0(VALU_DEP_1) | instskip(NEXT) | instid1(VALU_DEP_1)
	v_mul_f32_e32 v209, v5, v4
	v_fma_f32 v210, -v1, v209, v5
	s_delay_alu instid0(VALU_DEP_1) | instskip(NEXT) | instid1(VALU_DEP_1)
	v_fmac_f32_e32 v209, v210, v4
	v_fma_f32 v1, -v1, v209, v5
	s_delay_alu instid0(VALU_DEP_1) | instskip(NEXT) | instid1(VALU_DEP_1)
	v_div_fmas_f32 v1, v1, v4, v209
	v_div_fixup_f32 v210, v1, v208, 1.0
	s_delay_alu instid0(VALU_DEP_1)
	v_mul_f32_e64 v211, v0, -v210
.LBB81_196:
	s_or_b32 exec_lo, exec_lo, s1
	ds_store_b64 v249, v[210:211]
.LBB81_197:
	s_or_b32 exec_lo, exec_lo, s2
	s_wait_dscnt 0x0
	s_barrier_signal -1
	s_barrier_wait -1
	ds_load_b64 v[208:209], v249
	s_mov_b32 s1, exec_lo
	v_cmpx_lt_u32_e32 21, v248
	s_cbranch_execz .LBB81_199
; %bb.198:
	ds_load_2addr_b64 v[210:213], v250 offset0:22 offset1:23
	ds_load_2addr_b64 v[214:217], v250 offset0:24 offset1:25
	;; [unrolled: 1-line block ×3, first 2 shown]
	s_wait_dscnt 0x3
	v_pk_mul_f32 v[226:227], v[208:209], v[112:113] op_sel:[1,1] op_sel_hi:[0,1]
	ds_load_2addr_b64 v[222:225], v250 offset0:28 offset1:29
	v_pk_fma_f32 v[232:233], v[208:209], v[112:113], v[226:227] op_sel_hi:[1,0,1]
	v_pk_fma_f32 v[230:231], v[208:209], v[112:113], v[226:227] op_sel_hi:[1,0,1] neg_lo:[0,0,1] neg_hi:[0,0,1]
	ds_load_2addr_b64 v[226:229], v250 offset0:30 offset1:31
	v_dual_mov_b32 v113, v233 :: v_dual_mov_b32 v112, v230
	s_wait_dscnt 0x4
	v_pk_mul_f32 v[234:235], v[210:211], v[232:233] op_sel:[0,1]
	v_pk_mul_f32 v[236:237], v[212:213], v[232:233] op_sel:[0,1]
	s_wait_dscnt 0x3
	v_pk_mul_f32 v[238:239], v[214:215], v[232:233] op_sel:[0,1]
	v_dual_mov_b32 v240, v217 :: v_dual_mov_b32 v241, v216
	v_dual_mul_f32 v242, v217, v233 :: v_dual_mul_f32 v244, v217, v230
	s_wait_dscnt 0x2
	v_pk_mul_f32 v[246:247], v[218:219], v[232:233] op_sel:[0,1]
	v_pk_fma_f32 v[0:1], v[210:211], v[230:231], v[234:235] op_sel:[0,0,1] op_sel_hi:[1,1,0] neg_lo:[0,0,1] neg_hi:[0,0,1]
	v_pk_fma_f32 v[210:211], v[210:211], v[230:231], v[234:235] op_sel:[0,0,1] op_sel_hi:[1,0,0]
	v_pk_fma_f32 v[234:235], v[212:213], v[230:231], v[236:237] op_sel:[0,0,1] op_sel_hi:[1,1,0] neg_lo:[0,0,1] neg_hi:[0,0,1]
	v_pk_fma_f32 v[212:213], v[212:213], v[230:231], v[236:237] op_sel:[0,0,1] op_sel_hi:[1,0,0]
	;; [unrolled: 2-line block ×3, first 2 shown]
	v_pk_mul_f32 v[252:253], v[220:221], v[232:233] op_sel:[0,1]
	v_pk_fma_f32 v[238:239], v[240:241], v[112:113], v[244:245] op_sel_hi:[1,1,0]
	v_dual_mov_b32 v1, v211 :: v_dual_mov_b32 v235, v213
	s_delay_alu instid0(VALU_DEP_4)
	v_mov_b32_e32 v237, v215
	v_pk_fma_f32 v[214:215], v[218:219], v[230:231], v[246:247] op_sel:[0,0,1] op_sel_hi:[1,0,0]
	ds_load_2addr_b64 v[210:213], v250 offset0:32 offset1:33
	v_pk_fma_f32 v[218:219], v[218:219], v[230:231], v[246:247] op_sel:[0,0,1] op_sel_hi:[1,1,0] neg_lo:[0,0,1] neg_hi:[0,0,1]
	s_wait_dscnt 0x2
	v_pk_mul_f32 v[254:255], v[222:223], v[232:233] op_sel:[0,1]
	v_pk_add_f32 v[144:145], v[144:145], v[0:1] neg_lo:[0,1] neg_hi:[0,1]
	v_pk_fma_f32 v[0:1], v[220:221], v[230:231], v[252:253] op_sel:[0,0,1] op_sel_hi:[1,0,0]
	v_mov_b32_e32 v219, v215
	v_pk_fma_f32 v[214:215], v[220:221], v[230:231], v[252:253] op_sel:[0,0,1] op_sel_hi:[1,1,0] neg_lo:[0,0,1] neg_hi:[0,0,1]
	v_pk_add_f32 v[76:77], v[76:77], v[234:235] neg_lo:[0,1] neg_hi:[0,1]
	v_pk_fma_f32 v[234:235], v[222:223], v[230:231], v[254:255] op_sel:[0,0,1] op_sel_hi:[1,0,0]
	v_mov_b32_e32 v215, v1
	v_pk_add_f32 v[100:101], v[100:101], v[218:219] neg_lo:[0,1] neg_hi:[0,1]
	s_wait_dscnt 0x1
	v_mul_f32_e32 v218, v227, v230
	v_pk_fma_f32 v[216:217], v[216:217], v[112:113], v[242:243] op_sel_hi:[1,1,0] neg_lo:[0,0,1] neg_hi:[0,0,1]
	v_mov_b32_e32 v217, v239
	v_pk_fma_f32 v[0:1], v[222:223], v[230:231], v[254:255] op_sel:[0,0,1] op_sel_hi:[1,1,0] neg_lo:[0,0,1] neg_hi:[0,0,1]
	v_pk_mul_f32 v[220:221], v[224:225], v[232:233] op_sel:[0,1]
	v_pk_fma_f32 v[218:219], v[226:227], v[112:113], v[218:219] op_sel:[1,0,0] op_sel_hi:[0,1,0]
	v_mov_b32_e32 v1, v235
	v_pk_add_f32 v[98:99], v[98:99], v[216:217] neg_lo:[0,1] neg_hi:[0,1]
	v_pk_add_f32 v[96:97], v[96:97], v[214:215] neg_lo:[0,1] neg_hi:[0,1]
	ds_load_2addr_b64 v[214:217], v250 offset0:34 offset1:35
	v_pk_mul_f32 v[222:223], v[228:229], v[232:233] op_sel:[0,1]
	v_pk_add_f32 v[132:133], v[132:133], v[0:1] neg_lo:[0,1] neg_hi:[0,1]
	v_pk_fma_f32 v[0:1], v[224:225], v[230:231], v[220:221] op_sel:[0,0,1] op_sel_hi:[1,1,0] neg_lo:[0,0,1] neg_hi:[0,0,1]
	v_pk_fma_f32 v[220:221], v[224:225], v[230:231], v[220:221] op_sel:[0,0,1] op_sel_hi:[1,0,0]
	v_mul_f32_e32 v220, v227, v233
	s_wait_dscnt 0x1
	v_pk_mul_f32 v[224:225], v[210:211], v[232:233] op_sel:[0,1]
	v_pk_add_f32 v[102:103], v[102:103], v[236:237] neg_lo:[0,1] neg_hi:[0,1]
	v_pk_fma_f32 v[234:235], v[228:229], v[230:231], v[222:223] op_sel:[0,0,1] op_sel_hi:[1,0,0]
	v_mov_b32_e32 v1, v221
	v_pk_fma_f32 v[226:227], v[226:227], v[112:113], v[220:221] op_sel_hi:[1,1,0] neg_lo:[0,0,1] neg_hi:[0,0,1]
	v_mov_b32_e32 v227, v219
	v_pk_fma_f32 v[236:237], v[210:211], v[230:231], v[224:225] op_sel:[0,0,1] op_sel_hi:[1,0,0]
	ds_load_2addr_b64 v[218:221], v250 offset0:36 offset1:37
	v_pk_fma_f32 v[222:223], v[228:229], v[230:231], v[222:223] op_sel:[0,0,1] op_sel_hi:[1,1,0] neg_lo:[0,0,1] neg_hi:[0,0,1]
	v_pk_fma_f32 v[210:211], v[210:211], v[230:231], v[224:225] op_sel:[0,0,1] op_sel_hi:[1,1,0] neg_lo:[0,0,1] neg_hi:[0,0,1]
	v_dual_mov_b32 v223, v235 :: v_dual_mov_b32 v211, v237
	v_pk_mul_f32 v[224:225], v[212:213], v[232:233] op_sel:[0,1]
	v_pk_add_f32 v[128:129], v[128:129], v[0:1] neg_lo:[0,1] neg_hi:[0,1]
	v_pk_add_f32 v[130:131], v[130:131], v[226:227] neg_lo:[0,1] neg_hi:[0,1]
	s_delay_alu instid0(VALU_DEP_4)
	v_pk_add_f32 v[126:127], v[126:127], v[222:223] neg_lo:[0,1] neg_hi:[0,1]
	s_wait_dscnt 0x1
	v_mov_b32_e32 v226, v217
	v_pk_add_f32 v[160:161], v[160:161], v[210:211] neg_lo:[0,1] neg_hi:[0,1]
	v_pk_fma_f32 v[0:1], v[212:213], v[230:231], v[224:225] op_sel:[0,0,1] op_sel_hi:[1,1,0] neg_lo:[0,0,1] neg_hi:[0,0,1]
	v_pk_fma_f32 v[222:223], v[212:213], v[230:231], v[224:225] op_sel:[0,0,1] op_sel_hi:[1,0,0]
	v_pk_mul_f32 v[224:225], v[214:215], v[232:233] op_sel:[0,1]
	ds_load_2addr_b64 v[210:213], v250 offset0:38 offset1:39
	ds_load_b64 v[228:229], v250 offset:320
	v_dual_mov_b32 v227, v216 :: v_dual_mul_f32 v222, v217, v230
	v_pk_fma_f32 v[234:235], v[214:215], v[230:231], v[224:225] op_sel:[0,0,1] op_sel_hi:[1,0,0]
	v_dual_mov_b32 v1, v223 :: v_dual_mul_f32 v234, v217, v233
	v_pk_fma_f32 v[214:215], v[214:215], v[230:231], v[224:225] op_sel:[0,0,1] op_sel_hi:[1,1,0] neg_lo:[0,0,1] neg_hi:[0,0,1]
	s_delay_alu instid0(VALU_DEP_4)
	v_pk_fma_f32 v[222:223], v[226:227], v[112:113], v[222:223] op_sel_hi:[1,1,0]
	s_wait_dscnt 0x2
	v_pk_mul_f32 v[224:225], v[218:219], v[232:233] op_sel:[0,1]
	v_mov_b32_e32 v215, v235
	v_pk_fma_f32 v[216:217], v[216:217], v[112:113], v[234:235] op_sel_hi:[1,1,0] neg_lo:[0,0,1] neg_hi:[0,0,1]
	v_pk_add_f32 v[152:153], v[152:153], v[0:1] neg_lo:[0,1] neg_hi:[0,1]
	v_mov_b32_e32 v217, v223
	v_pk_fma_f32 v[0:1], v[218:219], v[230:231], v[224:225] op_sel:[0,0,1] op_sel_hi:[1,0,0]
	v_pk_add_f32 v[158:159], v[158:159], v[214:215] neg_lo:[0,1] neg_hi:[0,1]
	v_pk_mul_f32 v[214:215], v[220:221], v[232:233] op_sel:[0,1]
	s_delay_alu instid0(VALU_DEP_4)
	v_pk_add_f32 v[150:151], v[150:151], v[216:217] neg_lo:[0,1] neg_hi:[0,1]
	v_pk_fma_f32 v[216:217], v[218:219], v[230:231], v[224:225] op_sel:[0,0,1] op_sel_hi:[1,1,0] neg_lo:[0,0,1] neg_hi:[0,0,1]
	s_wait_dscnt 0x1
	v_pk_mul_f32 v[222:223], v[212:213], v[232:233] op_sel:[0,1]
	v_pk_fma_f32 v[218:219], v[220:221], v[230:231], v[214:215] op_sel:[0,0,1] op_sel_hi:[1,0,0]
	v_mov_b32_e32 v217, v1
	v_pk_mul_f32 v[0:1], v[210:211], v[232:233] op_sel:[0,1]
	v_pk_fma_f32 v[214:215], v[220:221], v[230:231], v[214:215] op_sel:[0,0,1] op_sel_hi:[1,1,0] neg_lo:[0,0,1] neg_hi:[0,0,1]
	s_wait_dscnt 0x0
	v_pk_mul_f32 v[220:221], v[228:229], v[232:233] op_sel:[0,1]
	v_mov_b32_e32 v215, v219
	v_pk_fma_f32 v[218:219], v[212:213], v[230:231], v[222:223] op_sel:[0,0,1] op_sel_hi:[1,0,0]
	v_pk_fma_f32 v[224:225], v[210:211], v[230:231], v[0:1] op_sel:[0,0,1] op_sel_hi:[1,0,0]
	v_pk_fma_f32 v[0:1], v[210:211], v[230:231], v[0:1] op_sel:[0,0,1] op_sel_hi:[1,1,0] neg_lo:[0,0,1] neg_hi:[0,0,1]
	v_pk_fma_f32 v[210:211], v[228:229], v[230:231], v[220:221] op_sel:[0,0,1] op_sel_hi:[1,0,0]
	v_pk_fma_f32 v[212:213], v[212:213], v[230:231], v[222:223] op_sel:[0,0,1] op_sel_hi:[1,1,0] neg_lo:[0,0,1] neg_hi:[0,0,1]
	s_delay_alu instid0(VALU_DEP_4) | instskip(SKIP_1) | instid1(VALU_DEP_4)
	v_dual_mov_b32 v213, v219 :: v_dual_mov_b32 v1, v225
	v_pk_fma_f32 v[218:219], v[228:229], v[230:231], v[220:221] op_sel:[0,0,1] op_sel_hi:[1,1,0] neg_lo:[0,0,1] neg_hi:[0,0,1]
	v_mov_b32_e32 v219, v211
	v_pk_add_f32 v[156:157], v[156:157], v[216:217] neg_lo:[0,1] neg_hi:[0,1]
	v_pk_add_f32 v[148:149], v[148:149], v[214:215] neg_lo:[0,1] neg_hi:[0,1]
	;; [unrolled: 1-line block ×5, first 2 shown]
.LBB81_199:
	s_or_b32 exec_lo, exec_lo, s1
	s_delay_alu instid0(SALU_CYCLE_1)
	s_mov_b32 s2, exec_lo
	s_wait_dscnt 0x0
	s_barrier_signal -1
	s_barrier_wait -1
	v_cmpx_eq_u32_e32 22, v248
	s_cbranch_execz .LBB81_206
; %bb.200:
	ds_store_b64 v249, v[144:145]
	ds_store_2addr_b64 v250, v[76:77], v[102:103] offset0:23 offset1:24
	ds_store_2addr_b64 v250, v[98:99], v[100:101] offset0:25 offset1:26
	;; [unrolled: 1-line block ×9, first 2 shown]
	ds_load_b64 v[210:211], v249
	s_wait_dscnt 0x0
	v_cmp_neq_f32_e32 vcc_lo, 0, v210
	v_cmp_neq_f32_e64 s1, 0, v211
	s_or_b32 s1, vcc_lo, s1
	s_delay_alu instid0(SALU_CYCLE_1)
	s_and_b32 exec_lo, exec_lo, s1
	s_cbranch_execz .LBB81_206
; %bb.201:
	v_cmp_ngt_f32_e64 s1, |v210|, |v211|
                                        ; implicit-def: $vgpr212_vgpr213
	s_and_saveexec_b32 s4, s1
	s_delay_alu instid0(SALU_CYCLE_1)
	s_xor_b32 s1, exec_lo, s4
	s_cbranch_execz .LBB81_203
; %bb.202:
	v_div_scale_f32 v0, null, v211, v211, v210
	v_div_scale_f32 v5, vcc_lo, v210, v211, v210
	s_delay_alu instid0(VALU_DEP_2) | instskip(SKIP_1) | instid1(TRANS32_DEP_1)
	v_rcp_f32_e32 v1, v0
	v_nop
	v_fma_f32 v4, -v0, v1, 1.0
	s_delay_alu instid0(VALU_DEP_1) | instskip(NEXT) | instid1(VALU_DEP_1)
	v_fmac_f32_e32 v1, v4, v1
	v_mul_f32_e32 v4, v5, v1
	s_delay_alu instid0(VALU_DEP_1) | instskip(NEXT) | instid1(VALU_DEP_1)
	v_fma_f32 v212, -v0, v4, v5
	v_fmac_f32_e32 v4, v212, v1
	s_delay_alu instid0(VALU_DEP_1) | instskip(NEXT) | instid1(VALU_DEP_1)
	v_fma_f32 v0, -v0, v4, v5
	v_div_fmas_f32 v0, v0, v1, v4
	s_delay_alu instid0(VALU_DEP_1) | instskip(NEXT) | instid1(VALU_DEP_1)
	v_div_fixup_f32 v0, v0, v211, v210
	v_fmac_f32_e32 v211, v210, v0
	s_delay_alu instid0(VALU_DEP_1) | instskip(SKIP_1) | instid1(VALU_DEP_2)
	v_div_scale_f32 v1, null, v211, v211, 1.0
	v_div_scale_f32 v210, vcc_lo, 1.0, v211, 1.0
	v_rcp_f32_e32 v4, v1
	v_nop
	s_delay_alu instid0(TRANS32_DEP_1) | instskip(NEXT) | instid1(VALU_DEP_1)
	v_fma_f32 v5, -v1, v4, 1.0
	v_fmac_f32_e32 v4, v5, v4
	s_delay_alu instid0(VALU_DEP_1) | instskip(NEXT) | instid1(VALU_DEP_1)
	v_mul_f32_e32 v5, v210, v4
	v_fma_f32 v212, -v1, v5, v210
	s_delay_alu instid0(VALU_DEP_1) | instskip(NEXT) | instid1(VALU_DEP_1)
	v_fmac_f32_e32 v5, v212, v4
	v_fma_f32 v1, -v1, v5, v210
	s_delay_alu instid0(VALU_DEP_1) | instskip(NEXT) | instid1(VALU_DEP_1)
	v_div_fmas_f32 v1, v1, v4, v5
	v_div_fixup_f32 v1, v1, v211, 1.0
                                        ; implicit-def: $vgpr210_vgpr211
	s_delay_alu instid0(VALU_DEP_1)
	v_mul_f32_e32 v212, v0, v1
	v_xor_b32_e32 v213, 0x80000000, v1
.LBB81_203:
	s_and_not1_saveexec_b32 s1, s1
	s_cbranch_execz .LBB81_205
; %bb.204:
	v_div_scale_f32 v0, null, v210, v210, v211
	v_div_scale_f32 v5, vcc_lo, v211, v210, v211
	s_delay_alu instid0(VALU_DEP_2) | instskip(SKIP_1) | instid1(TRANS32_DEP_1)
	v_rcp_f32_e32 v1, v0
	v_nop
	v_fma_f32 v4, -v0, v1, 1.0
	s_delay_alu instid0(VALU_DEP_1) | instskip(NEXT) | instid1(VALU_DEP_1)
	v_fmac_f32_e32 v1, v4, v1
	v_mul_f32_e32 v4, v5, v1
	s_delay_alu instid0(VALU_DEP_1) | instskip(NEXT) | instid1(VALU_DEP_1)
	v_fma_f32 v212, -v0, v4, v5
	v_fmac_f32_e32 v4, v212, v1
	s_delay_alu instid0(VALU_DEP_1) | instskip(NEXT) | instid1(VALU_DEP_1)
	v_fma_f32 v0, -v0, v4, v5
	v_div_fmas_f32 v0, v0, v1, v4
	s_delay_alu instid0(VALU_DEP_1) | instskip(NEXT) | instid1(VALU_DEP_1)
	v_div_fixup_f32 v0, v0, v210, v211
	v_fmac_f32_e32 v210, v211, v0
	s_delay_alu instid0(VALU_DEP_1) | instskip(NEXT) | instid1(VALU_DEP_1)
	v_div_scale_f32 v1, null, v210, v210, 1.0
	v_rcp_f32_e32 v4, v1
	v_nop
	s_delay_alu instid0(TRANS32_DEP_1) | instskip(NEXT) | instid1(VALU_DEP_1)
	v_fma_f32 v5, -v1, v4, 1.0
	v_fmac_f32_e32 v4, v5, v4
	v_div_scale_f32 v5, vcc_lo, 1.0, v210, 1.0
	s_delay_alu instid0(VALU_DEP_1) | instskip(NEXT) | instid1(VALU_DEP_1)
	v_mul_f32_e32 v211, v5, v4
	v_fma_f32 v212, -v1, v211, v5
	s_delay_alu instid0(VALU_DEP_1) | instskip(NEXT) | instid1(VALU_DEP_1)
	v_fmac_f32_e32 v211, v212, v4
	v_fma_f32 v1, -v1, v211, v5
	s_delay_alu instid0(VALU_DEP_1) | instskip(NEXT) | instid1(VALU_DEP_1)
	v_div_fmas_f32 v1, v1, v4, v211
	v_div_fixup_f32 v212, v1, v210, 1.0
	s_delay_alu instid0(VALU_DEP_1)
	v_mul_f32_e64 v213, v0, -v212
.LBB81_205:
	s_or_b32 exec_lo, exec_lo, s1
	ds_store_b64 v249, v[212:213]
.LBB81_206:
	s_or_b32 exec_lo, exec_lo, s2
	s_wait_dscnt 0x0
	s_barrier_signal -1
	s_barrier_wait -1
	ds_load_b64 v[210:211], v249
	s_mov_b32 s1, exec_lo
	v_cmpx_lt_u32_e32 22, v248
	s_cbranch_execz .LBB81_208
; %bb.207:
	ds_load_2addr_b64 v[212:215], v250 offset0:23 offset1:24
	ds_load_2addr_b64 v[216:219], v250 offset0:25 offset1:26
	;; [unrolled: 1-line block ×3, first 2 shown]
	s_wait_dscnt 0x3
	v_pk_mul_f32 v[0:1], v[210:211], v[144:145] op_sel:[1,1] op_sel_hi:[0,1]
	ds_load_2addr_b64 v[224:227], v250 offset0:29 offset1:30
	ds_load_2addr_b64 v[228:231], v250 offset0:31 offset1:32
	v_pk_fma_f32 v[232:233], v[210:211], v[144:145], v[0:1] op_sel_hi:[1,0,1] neg_lo:[0,0,1] neg_hi:[0,0,1]
	v_pk_fma_f32 v[0:1], v[210:211], v[144:145], v[0:1] op_sel_hi:[1,0,1]
	s_delay_alu instid0(VALU_DEP_1) | instskip(SKIP_1) | instid1(VALU_DEP_2)
	v_dual_mov_b32 v144, v232 :: v_dual_mov_b32 v145, v1
	s_wait_dscnt 0x4
	v_pk_mul_f32 v[234:235], v[212:213], v[0:1] op_sel:[0,1]
	v_pk_mul_f32 v[236:237], v[214:215], v[0:1] op_sel:[0,1]
	s_wait_dscnt 0x3
	v_pk_mul_f32 v[238:239], v[216:217], v[0:1] op_sel:[0,1]
	s_wait_dscnt 0x2
	v_pk_mul_f32 v[246:247], v[220:221], v[0:1] op_sel:[0,1]
	v_dual_mov_b32 v240, v219 :: v_dual_mov_b32 v241, v218
	v_pk_fma_f32 v[254:255], v[212:213], v[232:233], v[234:235] op_sel:[0,0,1] op_sel_hi:[1,1,0] neg_lo:[0,0,1] neg_hi:[0,0,1]
	v_pk_fma_f32 v[212:213], v[212:213], v[232:233], v[234:235] op_sel:[0,0,1] op_sel_hi:[1,0,0]
	v_dual_mul_f32 v242, v219, v1 :: v_dual_mul_f32 v244, v219, v232
	v_pk_mul_f32 v[252:253], v[222:223], v[0:1] op_sel:[0,1]
	v_pk_fma_f32 v[234:235], v[214:215], v[232:233], v[236:237] op_sel:[0,0,1] op_sel_hi:[1,1,0] neg_lo:[0,0,1] neg_hi:[0,0,1]
	v_pk_fma_f32 v[214:215], v[214:215], v[232:233], v[236:237] op_sel:[0,0,1] op_sel_hi:[1,0,0]
	v_pk_fma_f32 v[236:237], v[216:217], v[232:233], v[238:239] op_sel:[0,0,1] op_sel_hi:[1,1,0] neg_lo:[0,0,1] neg_hi:[0,0,1]
	v_pk_fma_f32 v[216:217], v[216:217], v[232:233], v[238:239] op_sel:[0,0,1] op_sel_hi:[1,0,0]
	v_mov_b32_e32 v255, v213
	v_pk_fma_f32 v[212:213], v[220:221], v[232:233], v[246:247] op_sel:[0,0,1] op_sel_hi:[1,0,0]
	v_pk_fma_f32 v[238:239], v[240:241], v[144:145], v[244:245] op_sel_hi:[1,1,0]
	v_pk_fma_f32 v[240:241], v[220:221], v[232:233], v[246:247] op_sel:[0,0,1] op_sel_hi:[1,1,0] neg_lo:[0,0,1] neg_hi:[0,0,1]
	v_dual_mov_b32 v235, v215 :: v_dual_mov_b32 v237, v217
	v_pk_fma_f32 v[216:217], v[222:223], v[232:233], v[252:253] op_sel:[0,0,1] op_sel_hi:[1,0,0]
	s_wait_dscnt 0x1
	v_pk_mul_f32 v[220:221], v[224:225], v[0:1] op_sel:[0,1]
	v_mov_b32_e32 v241, v213
	ds_load_2addr_b64 v[212:215], v250 offset0:33 offset1:34
	v_pk_fma_f32 v[218:219], v[218:219], v[144:145], v[242:243] op_sel_hi:[1,1,0] neg_lo:[0,0,1] neg_hi:[0,0,1]
	v_pk_fma_f32 v[222:223], v[222:223], v[232:233], v[252:253] op_sel:[0,0,1] op_sel_hi:[1,1,0] neg_lo:[0,0,1] neg_hi:[0,0,1]
	v_mov_b32_e32 v219, v239
	v_pk_add_f32 v[102:103], v[102:103], v[234:235] neg_lo:[0,1] neg_hi:[0,1]
	v_pk_mul_f32 v[234:235], v[226:227], v[0:1] op_sel:[0,1]
	v_mov_b32_e32 v223, v217
	v_pk_fma_f32 v[216:217], v[224:225], v[232:233], v[220:221] op_sel:[0,0,1] op_sel_hi:[1,0,0]
	v_pk_fma_f32 v[220:221], v[224:225], v[232:233], v[220:221] op_sel:[0,0,1] op_sel_hi:[1,1,0] neg_lo:[0,0,1] neg_hi:[0,0,1]
	v_pk_add_f32 v[100:101], v[100:101], v[218:219] neg_lo:[0,1] neg_hi:[0,1]
	v_pk_fma_f32 v[218:219], v[226:227], v[232:233], v[234:235] op_sel:[0,0,1] op_sel_hi:[1,0,0]
	v_pk_add_f32 v[132:133], v[132:133], v[222:223] neg_lo:[0,1] neg_hi:[0,1]
	v_mov_b32_e32 v221, v217
	v_pk_fma_f32 v[222:223], v[226:227], v[232:233], v[234:235] op_sel:[0,0,1] op_sel_hi:[1,1,0] neg_lo:[0,0,1] neg_hi:[0,0,1]
	s_wait_dscnt 0x1
	v_dual_mul_f32 v224, v229, v232 :: v_dual_mov_b32 v223, v219
	ds_load_2addr_b64 v[216:219], v250 offset0:35 offset1:36
	v_pk_add_f32 v[128:129], v[128:129], v[220:221] neg_lo:[0,1] neg_hi:[0,1]
	v_mul_f32_e32 v220, v229, v1
	v_pk_mul_f32 v[226:227], v[230:231], v[0:1] op_sel:[0,1]
	v_pk_fma_f32 v[224:225], v[228:229], v[144:145], v[224:225] op_sel:[1,0,0] op_sel_hi:[0,1,0]
	v_pk_add_f32 v[130:131], v[130:131], v[222:223] neg_lo:[0,1] neg_hi:[0,1]
	v_pk_add_f32 v[98:99], v[98:99], v[236:237] neg_lo:[0,1] neg_hi:[0,1]
	v_pk_fma_f32 v[228:229], v[228:229], v[144:145], v[220:221] op_sel_hi:[1,1,0] neg_lo:[0,0,1] neg_hi:[0,0,1]
	ds_load_2addr_b64 v[220:223], v250 offset0:37 offset1:38
	s_wait_dscnt 0x2
	v_pk_mul_f32 v[234:235], v[212:213], v[0:1] op_sel:[0,1]
	v_pk_fma_f32 v[236:237], v[230:231], v[232:233], v[226:227] op_sel:[0,0,1] op_sel_hi:[1,0,0]
	v_pk_fma_f32 v[226:227], v[230:231], v[232:233], v[226:227] op_sel:[0,0,1] op_sel_hi:[1,1,0] neg_lo:[0,0,1] neg_hi:[0,0,1]
	v_mov_b32_e32 v229, v225
	v_pk_mul_f32 v[230:231], v[214:215], v[0:1] op_sel:[0,1]
	v_pk_fma_f32 v[224:225], v[212:213], v[232:233], v[234:235] op_sel:[0,0,1] op_sel_hi:[1,0,0]
	v_mov_b32_e32 v227, v237
	v_pk_fma_f32 v[212:213], v[212:213], v[232:233], v[234:235] op_sel:[0,0,1] op_sel_hi:[1,1,0] neg_lo:[0,0,1] neg_hi:[0,0,1]
	v_pk_add_f32 v[126:127], v[126:127], v[228:229] neg_lo:[0,1] neg_hi:[0,1]
	v_pk_fma_f32 v[228:229], v[214:215], v[232:233], v[230:231] op_sel:[0,0,1] op_sel_hi:[1,0,0]
	s_wait_dscnt 0x1
	v_dual_mov_b32 v213, v225 :: v_dual_mov_b32 v228, v219
	v_pk_add_f32 v[160:161], v[160:161], v[226:227] neg_lo:[0,1] neg_hi:[0,1]
	ds_load_2addr_b64 v[224:227], v250 offset0:39 offset1:40
	v_pk_mul_f32 v[234:235], v[216:217], v[0:1] op_sel:[0,1]
	v_pk_add_f32 v[152:153], v[152:153], v[212:213] neg_lo:[0,1] neg_hi:[0,1]
	v_pk_fma_f32 v[212:213], v[214:215], v[232:233], v[230:231] op_sel:[0,0,1] op_sel_hi:[1,1,0] neg_lo:[0,0,1] neg_hi:[0,0,1]
	v_dual_mov_b32 v213, v229 :: v_dual_mov_b32 v229, v218
	s_delay_alu instid0(VALU_DEP_4)
	v_pk_fma_f32 v[214:215], v[216:217], v[232:233], v[234:235] op_sel:[0,0,1] op_sel_hi:[1,0,0]
	s_wait_dscnt 0x1
	v_pk_mul_f32 v[230:231], v[220:221], v[0:1] op_sel:[0,1]
	v_mul_f32_e32 v214, v219, v232
	v_pk_fma_f32 v[216:217], v[216:217], v[232:233], v[234:235] op_sel:[0,0,1] op_sel_hi:[1,1,0] neg_lo:[0,0,1] neg_hi:[0,0,1]
	v_mul_f32_e32 v234, v219, v1
	v_pk_add_f32 v[158:159], v[158:159], v[212:213] neg_lo:[0,1] neg_hi:[0,1]
	v_pk_fma_f32 v[212:213], v[220:221], v[232:233], v[230:231] op_sel:[0,0,1] op_sel_hi:[1,0,0]
	v_mov_b32_e32 v217, v215
	v_pk_fma_f32 v[214:215], v[228:229], v[144:145], v[214:215] op_sel_hi:[1,1,0]
	v_pk_add_f32 v[76:77], v[76:77], v[254:255] neg_lo:[0,1] neg_hi:[0,1]
	v_pk_add_f32 v[96:97], v[96:97], v[240:241] neg_lo:[0,1] neg_hi:[0,1]
	s_delay_alu instid0(VALU_DEP_4)
	v_pk_add_f32 v[150:151], v[150:151], v[216:217] neg_lo:[0,1] neg_hi:[0,1]
	v_pk_fma_f32 v[216:217], v[218:219], v[144:145], v[234:235] op_sel_hi:[1,1,0] neg_lo:[0,0,1] neg_hi:[0,0,1]
	v_mov_b32_e32 v217, v215
	v_pk_fma_f32 v[214:215], v[220:221], v[232:233], v[230:231] op_sel:[0,0,1] op_sel_hi:[1,1,0] neg_lo:[0,0,1] neg_hi:[0,0,1]
	v_mov_b32_e32 v215, v213
	v_pk_mul_f32 v[212:213], v[222:223], v[0:1] op_sel:[0,1]
	s_wait_dscnt 0x0
	v_pk_mul_f32 v[218:219], v[224:225], v[0:1] op_sel:[0,1]
	v_dual_mov_b32 v220, v227 :: v_dual_mov_b32 v221, v226
	v_mul_f32_e32 v0, v227, v232
	v_pk_fma_f32 v[228:229], v[222:223], v[232:233], v[212:213] op_sel:[0,0,1] op_sel_hi:[1,0,0]
	v_pk_fma_f32 v[212:213], v[222:223], v[232:233], v[212:213] op_sel:[0,0,1] op_sel_hi:[1,1,0] neg_lo:[0,0,1] neg_hi:[0,0,1]
	v_pk_fma_f32 v[222:223], v[224:225], v[232:233], v[218:219] op_sel:[0,0,1] op_sel_hi:[1,0,0]
	v_mul_f32_e32 v222, v227, v1
	v_pk_fma_f32 v[0:1], v[220:221], v[144:145], v[0:1] op_sel_hi:[1,1,0]
	v_mov_b32_e32 v213, v229
	v_pk_fma_f32 v[218:219], v[224:225], v[232:233], v[218:219] op_sel:[0,0,1] op_sel_hi:[1,1,0] neg_lo:[0,0,1] neg_hi:[0,0,1]
	v_mov_b32_e32 v219, v223
	v_pk_fma_f32 v[220:221], v[226:227], v[144:145], v[222:223] op_sel_hi:[1,1,0] neg_lo:[0,0,1] neg_hi:[0,0,1]
	v_mov_b32_e32 v221, v1
	v_pk_add_f32 v[156:157], v[156:157], v[216:217] neg_lo:[0,1] neg_hi:[0,1]
	v_pk_add_f32 v[148:149], v[148:149], v[214:215] neg_lo:[0,1] neg_hi:[0,1]
	;; [unrolled: 1-line block ×5, first 2 shown]
.LBB81_208:
	s_or_b32 exec_lo, exec_lo, s1
	s_delay_alu instid0(SALU_CYCLE_1)
	s_mov_b32 s2, exec_lo
	s_wait_dscnt 0x0
	s_barrier_signal -1
	s_barrier_wait -1
	v_cmpx_eq_u32_e32 23, v248
	s_cbranch_execz .LBB81_215
; %bb.209:
	v_dual_mov_b32 v0, v102 :: v_dual_mov_b32 v1, v103
	v_dual_mov_b32 v212, v98 :: v_dual_mov_b32 v213, v99
	;; [unrolled: 1-line block ×4, first 2 shown]
	ds_store_b64 v249, v[76:77]
	ds_store_2addr_b64 v250, v[0:1], v[212:213] offset0:24 offset1:25
	ds_store_2addr_b64 v250, v[214:215], v[216:217] offset0:26 offset1:27
	v_dual_mov_b32 v0, v132 :: v_dual_mov_b32 v1, v133
	v_dual_mov_b32 v212, v128 :: v_dual_mov_b32 v213, v129
	;; [unrolled: 1-line block ×12, first 2 shown]
	ds_store_2addr_b64 v250, v[0:1], v[212:213] offset0:28 offset1:29
	ds_store_2addr_b64 v250, v[214:215], v[216:217] offset0:30 offset1:31
	;; [unrolled: 1-line block ×6, first 2 shown]
	ds_store_b64 v250, v[164:165] offset:320
	ds_load_b64 v[212:213], v249
	s_wait_dscnt 0x0
	v_cmp_neq_f32_e32 vcc_lo, 0, v212
	v_cmp_neq_f32_e64 s1, 0, v213
	s_or_b32 s1, vcc_lo, s1
	s_delay_alu instid0(SALU_CYCLE_1)
	s_and_b32 exec_lo, exec_lo, s1
	s_cbranch_execz .LBB81_215
; %bb.210:
	v_cmp_ngt_f32_e64 s1, |v212|, |v213|
                                        ; implicit-def: $vgpr214_vgpr215
	s_and_saveexec_b32 s4, s1
	s_delay_alu instid0(SALU_CYCLE_1)
	s_xor_b32 s1, exec_lo, s4
	s_cbranch_execz .LBB81_212
; %bb.211:
	v_div_scale_f32 v0, null, v213, v213, v212
	v_div_scale_f32 v5, vcc_lo, v212, v213, v212
	s_delay_alu instid0(VALU_DEP_2) | instskip(SKIP_1) | instid1(TRANS32_DEP_1)
	v_rcp_f32_e32 v1, v0
	v_nop
	v_fma_f32 v4, -v0, v1, 1.0
	s_delay_alu instid0(VALU_DEP_1) | instskip(NEXT) | instid1(VALU_DEP_1)
	v_fmac_f32_e32 v1, v4, v1
	v_mul_f32_e32 v4, v5, v1
	s_delay_alu instid0(VALU_DEP_1) | instskip(NEXT) | instid1(VALU_DEP_1)
	v_fma_f32 v214, -v0, v4, v5
	v_fmac_f32_e32 v4, v214, v1
	s_delay_alu instid0(VALU_DEP_1) | instskip(NEXT) | instid1(VALU_DEP_1)
	v_fma_f32 v0, -v0, v4, v5
	v_div_fmas_f32 v0, v0, v1, v4
	s_delay_alu instid0(VALU_DEP_1) | instskip(NEXT) | instid1(VALU_DEP_1)
	v_div_fixup_f32 v0, v0, v213, v212
	v_fmac_f32_e32 v213, v212, v0
	s_delay_alu instid0(VALU_DEP_1) | instskip(SKIP_1) | instid1(VALU_DEP_2)
	v_div_scale_f32 v1, null, v213, v213, 1.0
	v_div_scale_f32 v212, vcc_lo, 1.0, v213, 1.0
	v_rcp_f32_e32 v4, v1
	v_nop
	s_delay_alu instid0(TRANS32_DEP_1) | instskip(NEXT) | instid1(VALU_DEP_1)
	v_fma_f32 v5, -v1, v4, 1.0
	v_fmac_f32_e32 v4, v5, v4
	s_delay_alu instid0(VALU_DEP_1) | instskip(NEXT) | instid1(VALU_DEP_1)
	v_mul_f32_e32 v5, v212, v4
	v_fma_f32 v214, -v1, v5, v212
	s_delay_alu instid0(VALU_DEP_1) | instskip(NEXT) | instid1(VALU_DEP_1)
	v_fmac_f32_e32 v5, v214, v4
	v_fma_f32 v1, -v1, v5, v212
	s_delay_alu instid0(VALU_DEP_1) | instskip(NEXT) | instid1(VALU_DEP_1)
	v_div_fmas_f32 v1, v1, v4, v5
	v_div_fixup_f32 v1, v1, v213, 1.0
                                        ; implicit-def: $vgpr212_vgpr213
	s_delay_alu instid0(VALU_DEP_1)
	v_mul_f32_e32 v214, v0, v1
	v_xor_b32_e32 v215, 0x80000000, v1
.LBB81_212:
	s_and_not1_saveexec_b32 s1, s1
	s_cbranch_execz .LBB81_214
; %bb.213:
	v_div_scale_f32 v0, null, v212, v212, v213
	v_div_scale_f32 v5, vcc_lo, v213, v212, v213
	s_delay_alu instid0(VALU_DEP_2) | instskip(SKIP_1) | instid1(TRANS32_DEP_1)
	v_rcp_f32_e32 v1, v0
	v_nop
	v_fma_f32 v4, -v0, v1, 1.0
	s_delay_alu instid0(VALU_DEP_1) | instskip(NEXT) | instid1(VALU_DEP_1)
	v_fmac_f32_e32 v1, v4, v1
	v_mul_f32_e32 v4, v5, v1
	s_delay_alu instid0(VALU_DEP_1) | instskip(NEXT) | instid1(VALU_DEP_1)
	v_fma_f32 v214, -v0, v4, v5
	v_fmac_f32_e32 v4, v214, v1
	s_delay_alu instid0(VALU_DEP_1) | instskip(NEXT) | instid1(VALU_DEP_1)
	v_fma_f32 v0, -v0, v4, v5
	v_div_fmas_f32 v0, v0, v1, v4
	s_delay_alu instid0(VALU_DEP_1) | instskip(NEXT) | instid1(VALU_DEP_1)
	v_div_fixup_f32 v0, v0, v212, v213
	v_fmac_f32_e32 v212, v213, v0
	s_delay_alu instid0(VALU_DEP_1) | instskip(NEXT) | instid1(VALU_DEP_1)
	v_div_scale_f32 v1, null, v212, v212, 1.0
	v_rcp_f32_e32 v4, v1
	v_nop
	s_delay_alu instid0(TRANS32_DEP_1) | instskip(NEXT) | instid1(VALU_DEP_1)
	v_fma_f32 v5, -v1, v4, 1.0
	v_fmac_f32_e32 v4, v5, v4
	v_div_scale_f32 v5, vcc_lo, 1.0, v212, 1.0
	s_delay_alu instid0(VALU_DEP_1) | instskip(NEXT) | instid1(VALU_DEP_1)
	v_mul_f32_e32 v213, v5, v4
	v_fma_f32 v214, -v1, v213, v5
	s_delay_alu instid0(VALU_DEP_1) | instskip(NEXT) | instid1(VALU_DEP_1)
	v_fmac_f32_e32 v213, v214, v4
	v_fma_f32 v1, -v1, v213, v5
	s_delay_alu instid0(VALU_DEP_1) | instskip(NEXT) | instid1(VALU_DEP_1)
	v_div_fmas_f32 v1, v1, v4, v213
	v_div_fixup_f32 v214, v1, v212, 1.0
	s_delay_alu instid0(VALU_DEP_1)
	v_mul_f32_e64 v215, v0, -v214
.LBB81_214:
	s_or_b32 exec_lo, exec_lo, s1
	ds_store_b64 v249, v[214:215]
.LBB81_215:
	s_or_b32 exec_lo, exec_lo, s2
	s_wait_dscnt 0x0
	s_barrier_signal -1
	s_barrier_wait -1
	ds_load_b64 v[212:213], v249
	s_mov_b32 s1, exec_lo
	v_cmpx_lt_u32_e32 23, v248
	s_cbranch_execz .LBB81_217
; %bb.216:
	ds_load_2addr_b64 v[218:221], v250 offset0:24 offset1:25
	s_wait_dscnt 0x1
	v_pk_mul_f32 v[0:1], v[212:213], v[76:77] op_sel:[1,1] op_sel_hi:[0,1]
	s_delay_alu instid0(VALU_DEP_1) | instskip(SKIP_1) | instid1(VALU_DEP_1)
	v_pk_fma_f32 v[216:217], v[212:213], v[76:77], v[0:1] op_sel_hi:[1,0,1]
	v_pk_fma_f32 v[214:215], v[212:213], v[76:77], v[0:1] op_sel_hi:[1,0,1] neg_lo:[0,0,1] neg_hi:[0,0,1]
	v_dual_mov_b32 v77, v217 :: v_dual_mov_b32 v76, v214
	s_wait_dscnt 0x0
	s_delay_alu instid0(VALU_DEP_3) | instskip(NEXT) | instid1(VALU_DEP_1)
	v_pk_mul_f32 v[0:1], v[218:219], v[216:217] op_sel:[0,1]
	v_pk_fma_f32 v[222:223], v[218:219], v[214:215], v[0:1] op_sel:[0,0,1] op_sel_hi:[1,1,0] neg_lo:[0,0,1] neg_hi:[0,0,1]
	v_pk_fma_f32 v[0:1], v[218:219], v[214:215], v[0:1] op_sel:[0,0,1] op_sel_hi:[1,0,0]
	s_delay_alu instid0(VALU_DEP_1) | instskip(SKIP_1) | instid1(VALU_DEP_1)
	v_mov_b32_e32 v223, v1
	v_pk_mul_f32 v[0:1], v[220:221], v[216:217] op_sel:[0,1]
	v_pk_fma_f32 v[218:219], v[220:221], v[214:215], v[0:1] op_sel:[0,0,1] op_sel_hi:[1,1,0] neg_lo:[0,0,1] neg_hi:[0,0,1]
	v_pk_fma_f32 v[0:1], v[220:221], v[214:215], v[0:1] op_sel:[0,0,1] op_sel_hi:[1,0,0]
	s_delay_alu instid0(VALU_DEP_1) | instskip(SKIP_1) | instid1(VALU_DEP_2)
	v_mov_b32_e32 v219, v1
	v_pk_add_f32 v[102:103], v[102:103], v[222:223] neg_lo:[0,1] neg_hi:[0,1]
	v_pk_add_f32 v[98:99], v[98:99], v[218:219] neg_lo:[0,1] neg_hi:[0,1]
	ds_load_2addr_b64 v[218:221], v250 offset0:26 offset1:27
	s_wait_dscnt 0x0
	v_pk_mul_f32 v[0:1], v[218:219], v[216:217] op_sel:[0,1]
	s_delay_alu instid0(VALU_DEP_1) | instskip(SKIP_2) | instid1(VALU_DEP_2)
	v_pk_fma_f32 v[222:223], v[218:219], v[214:215], v[0:1] op_sel:[0,0,1] op_sel_hi:[1,1,0] neg_lo:[0,0,1] neg_hi:[0,0,1]
	v_pk_fma_f32 v[0:1], v[218:219], v[214:215], v[0:1] op_sel:[0,0,1] op_sel_hi:[1,0,0]
	v_dual_mul_f32 v218, v221, v217 :: v_dual_mov_b32 v0, v221
	v_dual_mov_b32 v223, v1 :: v_dual_mov_b32 v1, v220
	s_delay_alu instid0(VALU_DEP_2) | instskip(SKIP_1) | instid1(VALU_DEP_3)
	v_pk_fma_f32 v[218:219], v[220:221], v[76:77], v[218:219] op_sel_hi:[1,1,0] neg_lo:[0,0,1] neg_hi:[0,0,1]
	v_mul_f32_e32 v220, v221, v214
	v_pk_add_f32 v[100:101], v[100:101], v[222:223] neg_lo:[0,1] neg_hi:[0,1]
	s_delay_alu instid0(VALU_DEP_2) | instskip(NEXT) | instid1(VALU_DEP_1)
	v_pk_fma_f32 v[0:1], v[0:1], v[76:77], v[220:221] op_sel_hi:[1,1,0]
	v_mov_b32_e32 v219, v1
	s_delay_alu instid0(VALU_DEP_1) | instskip(SKIP_3) | instid1(VALU_DEP_1)
	v_pk_add_f32 v[96:97], v[96:97], v[218:219] neg_lo:[0,1] neg_hi:[0,1]
	ds_load_2addr_b64 v[218:221], v250 offset0:28 offset1:29
	s_wait_dscnt 0x0
	v_pk_mul_f32 v[0:1], v[218:219], v[216:217] op_sel:[0,1]
	v_pk_fma_f32 v[222:223], v[218:219], v[214:215], v[0:1] op_sel:[0,0,1] op_sel_hi:[1,1,0] neg_lo:[0,0,1] neg_hi:[0,0,1]
	v_pk_fma_f32 v[0:1], v[218:219], v[214:215], v[0:1] op_sel:[0,0,1] op_sel_hi:[1,0,0]
	s_delay_alu instid0(VALU_DEP_1) | instskip(SKIP_1) | instid1(VALU_DEP_2)
	v_mov_b32_e32 v223, v1
	v_pk_mul_f32 v[0:1], v[220:221], v[216:217] op_sel:[0,1]
	v_pk_add_f32 v[132:133], v[132:133], v[222:223] neg_lo:[0,1] neg_hi:[0,1]
	s_delay_alu instid0(VALU_DEP_2) | instskip(SKIP_1) | instid1(VALU_DEP_1)
	v_pk_fma_f32 v[218:219], v[220:221], v[214:215], v[0:1] op_sel:[0,0,1] op_sel_hi:[1,1,0] neg_lo:[0,0,1] neg_hi:[0,0,1]
	v_pk_fma_f32 v[0:1], v[220:221], v[214:215], v[0:1] op_sel:[0,0,1] op_sel_hi:[1,0,0]
	v_mov_b32_e32 v219, v1
	s_delay_alu instid0(VALU_DEP_1) | instskip(SKIP_3) | instid1(VALU_DEP_1)
	v_pk_add_f32 v[128:129], v[128:129], v[218:219] neg_lo:[0,1] neg_hi:[0,1]
	ds_load_2addr_b64 v[218:221], v250 offset0:30 offset1:31
	s_wait_dscnt 0x0
	v_pk_mul_f32 v[0:1], v[218:219], v[216:217] op_sel:[0,1]
	v_pk_fma_f32 v[222:223], v[218:219], v[214:215], v[0:1] op_sel:[0,0,1] op_sel_hi:[1,1,0] neg_lo:[0,0,1] neg_hi:[0,0,1]
	v_pk_fma_f32 v[0:1], v[218:219], v[214:215], v[0:1] op_sel:[0,0,1] op_sel_hi:[1,0,0]
	s_delay_alu instid0(VALU_DEP_1) | instskip(SKIP_1) | instid1(VALU_DEP_2)
	v_mov_b32_e32 v223, v1
	v_pk_mul_f32 v[0:1], v[220:221], v[216:217] op_sel:[0,1]
	v_pk_add_f32 v[130:131], v[130:131], v[222:223] neg_lo:[0,1] neg_hi:[0,1]
	s_delay_alu instid0(VALU_DEP_2) | instskip(SKIP_1) | instid1(VALU_DEP_1)
	v_pk_fma_f32 v[218:219], v[220:221], v[214:215], v[0:1] op_sel:[0,0,1] op_sel_hi:[1,1,0] neg_lo:[0,0,1] neg_hi:[0,0,1]
	v_pk_fma_f32 v[0:1], v[220:221], v[214:215], v[0:1] op_sel:[0,0,1] op_sel_hi:[1,0,0]
	v_mov_b32_e32 v219, v1
	s_delay_alu instid0(VALU_DEP_1) | instskip(SKIP_3) | instid1(VALU_DEP_1)
	v_pk_add_f32 v[126:127], v[126:127], v[218:219] neg_lo:[0,1] neg_hi:[0,1]
	ds_load_2addr_b64 v[218:221], v250 offset0:32 offset1:33
	s_wait_dscnt 0x0
	v_dual_mul_f32 v0, v219, v217 :: v_dual_mul_f32 v222, v219, v214
	v_pk_fma_f32 v[0:1], v[218:219], v[76:77], v[0:1] op_sel_hi:[1,1,0] neg_lo:[0,0,1] neg_hi:[0,0,1]
	s_delay_alu instid0(VALU_DEP_2) | instskip(NEXT) | instid1(VALU_DEP_1)
	v_pk_fma_f32 v[218:219], v[218:219], v[76:77], v[222:223] op_sel:[1,0,0] op_sel_hi:[0,1,0]
	v_mov_b32_e32 v1, v219
	s_delay_alu instid0(VALU_DEP_1) | instskip(SKIP_1) | instid1(VALU_DEP_1)
	v_pk_add_f32 v[160:161], v[160:161], v[0:1] neg_lo:[0,1] neg_hi:[0,1]
	v_pk_mul_f32 v[0:1], v[220:221], v[216:217] op_sel:[0,1]
	v_pk_fma_f32 v[218:219], v[220:221], v[214:215], v[0:1] op_sel:[0,0,1] op_sel_hi:[1,1,0] neg_lo:[0,0,1] neg_hi:[0,0,1]
	v_pk_fma_f32 v[0:1], v[220:221], v[214:215], v[0:1] op_sel:[0,0,1] op_sel_hi:[1,0,0]
	s_delay_alu instid0(VALU_DEP_1) | instskip(NEXT) | instid1(VALU_DEP_1)
	v_mov_b32_e32 v219, v1
	v_pk_add_f32 v[152:153], v[152:153], v[218:219] neg_lo:[0,1] neg_hi:[0,1]
	ds_load_2addr_b64 v[218:221], v250 offset0:34 offset1:35
	s_wait_dscnt 0x0
	v_pk_mul_f32 v[0:1], v[218:219], v[216:217] op_sel:[0,1]
	s_delay_alu instid0(VALU_DEP_1) | instskip(SKIP_1) | instid1(VALU_DEP_1)
	v_pk_fma_f32 v[222:223], v[218:219], v[214:215], v[0:1] op_sel:[0,0,1] op_sel_hi:[1,1,0] neg_lo:[0,0,1] neg_hi:[0,0,1]
	v_pk_fma_f32 v[0:1], v[218:219], v[214:215], v[0:1] op_sel:[0,0,1] op_sel_hi:[1,0,0]
	v_mov_b32_e32 v223, v1
	v_pk_mul_f32 v[0:1], v[220:221], v[216:217] op_sel:[0,1]
	s_delay_alu instid0(VALU_DEP_2) | instskip(NEXT) | instid1(VALU_DEP_2)
	v_pk_add_f32 v[158:159], v[158:159], v[222:223] neg_lo:[0,1] neg_hi:[0,1]
	v_pk_fma_f32 v[218:219], v[220:221], v[214:215], v[0:1] op_sel:[0,0,1] op_sel_hi:[1,1,0] neg_lo:[0,0,1] neg_hi:[0,0,1]
	v_pk_fma_f32 v[0:1], v[220:221], v[214:215], v[0:1] op_sel:[0,0,1] op_sel_hi:[1,0,0]
	s_delay_alu instid0(VALU_DEP_1) | instskip(NEXT) | instid1(VALU_DEP_1)
	v_mov_b32_e32 v219, v1
	v_pk_add_f32 v[150:151], v[150:151], v[218:219] neg_lo:[0,1] neg_hi:[0,1]
	ds_load_2addr_b64 v[218:221], v250 offset0:36 offset1:37
	s_wait_dscnt 0x0
	v_pk_mul_f32 v[0:1], v[218:219], v[216:217] op_sel:[0,1]
	s_delay_alu instid0(VALU_DEP_1) | instskip(SKIP_2) | instid1(VALU_DEP_2)
	v_pk_fma_f32 v[222:223], v[218:219], v[214:215], v[0:1] op_sel:[0,0,1] op_sel_hi:[1,1,0] neg_lo:[0,0,1] neg_hi:[0,0,1]
	v_pk_fma_f32 v[0:1], v[218:219], v[214:215], v[0:1] op_sel:[0,0,1] op_sel_hi:[1,0,0]
	v_dual_mul_f32 v218, v221, v217 :: v_dual_mov_b32 v0, v221
	v_dual_mov_b32 v223, v1 :: v_dual_mov_b32 v1, v220
	s_delay_alu instid0(VALU_DEP_2) | instskip(SKIP_1) | instid1(VALU_DEP_3)
	v_pk_fma_f32 v[218:219], v[220:221], v[76:77], v[218:219] op_sel_hi:[1,1,0] neg_lo:[0,0,1] neg_hi:[0,0,1]
	v_mul_f32_e32 v220, v221, v214
	v_pk_add_f32 v[156:157], v[156:157], v[222:223] neg_lo:[0,1] neg_hi:[0,1]
	s_delay_alu instid0(VALU_DEP_2) | instskip(NEXT) | instid1(VALU_DEP_1)
	v_pk_fma_f32 v[0:1], v[0:1], v[76:77], v[220:221] op_sel_hi:[1,1,0]
	v_mov_b32_e32 v219, v1
	s_delay_alu instid0(VALU_DEP_1) | instskip(SKIP_3) | instid1(VALU_DEP_1)
	v_pk_add_f32 v[148:149], v[148:149], v[218:219] neg_lo:[0,1] neg_hi:[0,1]
	ds_load_2addr_b64 v[218:221], v250 offset0:38 offset1:39
	s_wait_dscnt 0x0
	v_pk_mul_f32 v[0:1], v[218:219], v[216:217] op_sel:[0,1]
	v_pk_fma_f32 v[222:223], v[218:219], v[214:215], v[0:1] op_sel:[0,0,1] op_sel_hi:[1,1,0] neg_lo:[0,0,1] neg_hi:[0,0,1]
	v_pk_fma_f32 v[0:1], v[218:219], v[214:215], v[0:1] op_sel:[0,0,1] op_sel_hi:[1,0,0]
	s_delay_alu instid0(VALU_DEP_1) | instskip(SKIP_1) | instid1(VALU_DEP_2)
	v_mov_b32_e32 v223, v1
	v_pk_mul_f32 v[0:1], v[220:221], v[216:217] op_sel:[0,1]
	v_pk_add_f32 v[154:155], v[154:155], v[222:223] neg_lo:[0,1] neg_hi:[0,1]
	s_delay_alu instid0(VALU_DEP_2) | instskip(SKIP_1) | instid1(VALU_DEP_1)
	v_pk_fma_f32 v[218:219], v[220:221], v[214:215], v[0:1] op_sel:[0,0,1] op_sel_hi:[1,1,0] neg_lo:[0,0,1] neg_hi:[0,0,1]
	v_pk_fma_f32 v[0:1], v[220:221], v[214:215], v[0:1] op_sel:[0,0,1] op_sel_hi:[1,0,0]
	v_mov_b32_e32 v219, v1
	ds_load_b64 v[0:1], v250 offset:320
	v_pk_add_f32 v[162:163], v[162:163], v[218:219] neg_lo:[0,1] neg_hi:[0,1]
	s_wait_dscnt 0x0
	v_pk_mul_f32 v[216:217], v[0:1], v[216:217] op_sel:[0,1]
	s_delay_alu instid0(VALU_DEP_1) | instskip(SKIP_1) | instid1(VALU_DEP_1)
	v_pk_fma_f32 v[218:219], v[0:1], v[214:215], v[216:217] op_sel:[0,0,1] op_sel_hi:[1,1,0] neg_lo:[0,0,1] neg_hi:[0,0,1]
	v_pk_fma_f32 v[0:1], v[0:1], v[214:215], v[216:217] op_sel:[0,0,1] op_sel_hi:[1,0,0]
	v_mov_b32_e32 v219, v1
	s_delay_alu instid0(VALU_DEP_1)
	v_pk_add_f32 v[164:165], v[164:165], v[218:219] neg_lo:[0,1] neg_hi:[0,1]
.LBB81_217:
	s_or_b32 exec_lo, exec_lo, s1
	s_delay_alu instid0(SALU_CYCLE_1)
	s_mov_b32 s2, exec_lo
	s_wait_dscnt 0x0
	s_barrier_signal -1
	s_barrier_wait -1
	v_cmpx_eq_u32_e32 24, v248
	s_cbranch_execz .LBB81_224
; %bb.218:
	ds_store_b64 v249, v[102:103]
	ds_store_2addr_b64 v250, v[98:99], v[100:101] offset0:25 offset1:26
	ds_store_2addr_b64 v250, v[96:97], v[132:133] offset0:27 offset1:28
	ds_store_2addr_b64 v250, v[128:129], v[130:131] offset0:29 offset1:30
	ds_store_2addr_b64 v250, v[126:127], v[160:161] offset0:31 offset1:32
	ds_store_2addr_b64 v250, v[152:153], v[158:159] offset0:33 offset1:34
	ds_store_2addr_b64 v250, v[150:151], v[156:157] offset0:35 offset1:36
	ds_store_2addr_b64 v250, v[148:149], v[154:155] offset0:37 offset1:38
	ds_store_2addr_b64 v250, v[162:163], v[164:165] offset0:39 offset1:40
	ds_load_b64 v[214:215], v249
	s_wait_dscnt 0x0
	v_cmp_neq_f32_e32 vcc_lo, 0, v214
	v_cmp_neq_f32_e64 s1, 0, v215
	s_or_b32 s1, vcc_lo, s1
	s_delay_alu instid0(SALU_CYCLE_1)
	s_and_b32 exec_lo, exec_lo, s1
	s_cbranch_execz .LBB81_224
; %bb.219:
	v_cmp_ngt_f32_e64 s1, |v214|, |v215|
                                        ; implicit-def: $vgpr216_vgpr217
	s_and_saveexec_b32 s4, s1
	s_delay_alu instid0(SALU_CYCLE_1)
	s_xor_b32 s1, exec_lo, s4
	s_cbranch_execz .LBB81_221
; %bb.220:
	v_div_scale_f32 v0, null, v215, v215, v214
	v_div_scale_f32 v5, vcc_lo, v214, v215, v214
	s_delay_alu instid0(VALU_DEP_2) | instskip(SKIP_1) | instid1(TRANS32_DEP_1)
	v_rcp_f32_e32 v1, v0
	v_nop
	v_fma_f32 v4, -v0, v1, 1.0
	s_delay_alu instid0(VALU_DEP_1) | instskip(NEXT) | instid1(VALU_DEP_1)
	v_fmac_f32_e32 v1, v4, v1
	v_mul_f32_e32 v4, v5, v1
	s_delay_alu instid0(VALU_DEP_1) | instskip(NEXT) | instid1(VALU_DEP_1)
	v_fma_f32 v216, -v0, v4, v5
	v_fmac_f32_e32 v4, v216, v1
	s_delay_alu instid0(VALU_DEP_1) | instskip(NEXT) | instid1(VALU_DEP_1)
	v_fma_f32 v0, -v0, v4, v5
	v_div_fmas_f32 v0, v0, v1, v4
	s_delay_alu instid0(VALU_DEP_1) | instskip(NEXT) | instid1(VALU_DEP_1)
	v_div_fixup_f32 v0, v0, v215, v214
	v_fmac_f32_e32 v215, v214, v0
	s_delay_alu instid0(VALU_DEP_1) | instskip(SKIP_1) | instid1(VALU_DEP_2)
	v_div_scale_f32 v1, null, v215, v215, 1.0
	v_div_scale_f32 v214, vcc_lo, 1.0, v215, 1.0
	v_rcp_f32_e32 v4, v1
	v_nop
	s_delay_alu instid0(TRANS32_DEP_1) | instskip(NEXT) | instid1(VALU_DEP_1)
	v_fma_f32 v5, -v1, v4, 1.0
	v_fmac_f32_e32 v4, v5, v4
	s_delay_alu instid0(VALU_DEP_1) | instskip(NEXT) | instid1(VALU_DEP_1)
	v_mul_f32_e32 v5, v214, v4
	v_fma_f32 v216, -v1, v5, v214
	s_delay_alu instid0(VALU_DEP_1) | instskip(NEXT) | instid1(VALU_DEP_1)
	v_fmac_f32_e32 v5, v216, v4
	v_fma_f32 v1, -v1, v5, v214
	s_delay_alu instid0(VALU_DEP_1) | instskip(NEXT) | instid1(VALU_DEP_1)
	v_div_fmas_f32 v1, v1, v4, v5
	v_div_fixup_f32 v1, v1, v215, 1.0
                                        ; implicit-def: $vgpr214_vgpr215
	s_delay_alu instid0(VALU_DEP_1)
	v_mul_f32_e32 v216, v0, v1
	v_xor_b32_e32 v217, 0x80000000, v1
.LBB81_221:
	s_and_not1_saveexec_b32 s1, s1
	s_cbranch_execz .LBB81_223
; %bb.222:
	v_div_scale_f32 v0, null, v214, v214, v215
	v_div_scale_f32 v5, vcc_lo, v215, v214, v215
	s_delay_alu instid0(VALU_DEP_2) | instskip(SKIP_1) | instid1(TRANS32_DEP_1)
	v_rcp_f32_e32 v1, v0
	v_nop
	v_fma_f32 v4, -v0, v1, 1.0
	s_delay_alu instid0(VALU_DEP_1) | instskip(NEXT) | instid1(VALU_DEP_1)
	v_fmac_f32_e32 v1, v4, v1
	v_mul_f32_e32 v4, v5, v1
	s_delay_alu instid0(VALU_DEP_1) | instskip(NEXT) | instid1(VALU_DEP_1)
	v_fma_f32 v216, -v0, v4, v5
	v_fmac_f32_e32 v4, v216, v1
	s_delay_alu instid0(VALU_DEP_1) | instskip(NEXT) | instid1(VALU_DEP_1)
	v_fma_f32 v0, -v0, v4, v5
	v_div_fmas_f32 v0, v0, v1, v4
	s_delay_alu instid0(VALU_DEP_1) | instskip(NEXT) | instid1(VALU_DEP_1)
	v_div_fixup_f32 v0, v0, v214, v215
	v_fmac_f32_e32 v214, v215, v0
	s_delay_alu instid0(VALU_DEP_1) | instskip(NEXT) | instid1(VALU_DEP_1)
	v_div_scale_f32 v1, null, v214, v214, 1.0
	v_rcp_f32_e32 v4, v1
	v_nop
	s_delay_alu instid0(TRANS32_DEP_1) | instskip(NEXT) | instid1(VALU_DEP_1)
	v_fma_f32 v5, -v1, v4, 1.0
	v_fmac_f32_e32 v4, v5, v4
	v_div_scale_f32 v5, vcc_lo, 1.0, v214, 1.0
	s_delay_alu instid0(VALU_DEP_1) | instskip(NEXT) | instid1(VALU_DEP_1)
	v_mul_f32_e32 v215, v5, v4
	v_fma_f32 v216, -v1, v215, v5
	s_delay_alu instid0(VALU_DEP_1) | instskip(NEXT) | instid1(VALU_DEP_1)
	v_fmac_f32_e32 v215, v216, v4
	v_fma_f32 v1, -v1, v215, v5
	s_delay_alu instid0(VALU_DEP_1) | instskip(NEXT) | instid1(VALU_DEP_1)
	v_div_fmas_f32 v1, v1, v4, v215
	v_div_fixup_f32 v216, v1, v214, 1.0
	s_delay_alu instid0(VALU_DEP_1)
	v_mul_f32_e64 v217, v0, -v216
.LBB81_223:
	s_or_b32 exec_lo, exec_lo, s1
	ds_store_b64 v249, v[216:217]
.LBB81_224:
	s_or_b32 exec_lo, exec_lo, s2
	s_wait_dscnt 0x0
	s_barrier_signal -1
	s_barrier_wait -1
	ds_load_b64 v[214:215], v249
	s_mov_b32 s1, exec_lo
	v_cmpx_lt_u32_e32 24, v248
	s_cbranch_execz .LBB81_226
; %bb.225:
	ds_load_2addr_b64 v[220:223], v250 offset0:25 offset1:26
	s_wait_dscnt 0x1
	v_pk_mul_f32 v[0:1], v[214:215], v[102:103] op_sel:[1,1] op_sel_hi:[0,1]
	s_delay_alu instid0(VALU_DEP_1) | instskip(SKIP_1) | instid1(VALU_DEP_1)
	v_pk_fma_f32 v[218:219], v[214:215], v[102:103], v[0:1] op_sel_hi:[1,0,1]
	v_pk_fma_f32 v[216:217], v[214:215], v[102:103], v[0:1] op_sel_hi:[1,0,1] neg_lo:[0,0,1] neg_hi:[0,0,1]
	v_dual_mov_b32 v103, v219 :: v_dual_mov_b32 v102, v216
	s_wait_dscnt 0x0
	s_delay_alu instid0(VALU_DEP_3) | instskip(NEXT) | instid1(VALU_DEP_1)
	v_pk_mul_f32 v[0:1], v[220:221], v[218:219] op_sel:[0,1]
	v_pk_fma_f32 v[224:225], v[220:221], v[216:217], v[0:1] op_sel:[0,0,1] op_sel_hi:[1,1,0] neg_lo:[0,0,1] neg_hi:[0,0,1]
	v_pk_fma_f32 v[0:1], v[220:221], v[216:217], v[0:1] op_sel:[0,0,1] op_sel_hi:[1,0,0]
	s_delay_alu instid0(VALU_DEP_1) | instskip(SKIP_1) | instid1(VALU_DEP_1)
	v_mov_b32_e32 v225, v1
	v_pk_mul_f32 v[0:1], v[222:223], v[218:219] op_sel:[0,1]
	v_pk_fma_f32 v[220:221], v[222:223], v[216:217], v[0:1] op_sel:[0,0,1] op_sel_hi:[1,1,0] neg_lo:[0,0,1] neg_hi:[0,0,1]
	v_pk_fma_f32 v[0:1], v[222:223], v[216:217], v[0:1] op_sel:[0,0,1] op_sel_hi:[1,0,0]
	s_delay_alu instid0(VALU_DEP_1) | instskip(SKIP_1) | instid1(VALU_DEP_2)
	v_mov_b32_e32 v221, v1
	v_pk_add_f32 v[98:99], v[98:99], v[224:225] neg_lo:[0,1] neg_hi:[0,1]
	v_pk_add_f32 v[100:101], v[100:101], v[220:221] neg_lo:[0,1] neg_hi:[0,1]
	ds_load_2addr_b64 v[220:223], v250 offset0:27 offset1:28
	s_wait_dscnt 0x0
	v_pk_mul_f32 v[0:1], v[220:221], v[218:219] op_sel:[0,1]
	s_delay_alu instid0(VALU_DEP_1) | instskip(SKIP_2) | instid1(VALU_DEP_2)
	v_pk_fma_f32 v[224:225], v[220:221], v[216:217], v[0:1] op_sel:[0,0,1] op_sel_hi:[1,1,0] neg_lo:[0,0,1] neg_hi:[0,0,1]
	v_pk_fma_f32 v[0:1], v[220:221], v[216:217], v[0:1] op_sel:[0,0,1] op_sel_hi:[1,0,0]
	v_dual_mul_f32 v220, v223, v219 :: v_dual_mov_b32 v0, v223
	v_dual_mov_b32 v225, v1 :: v_dual_mov_b32 v1, v222
	s_delay_alu instid0(VALU_DEP_2) | instskip(SKIP_1) | instid1(VALU_DEP_3)
	v_pk_fma_f32 v[220:221], v[222:223], v[102:103], v[220:221] op_sel_hi:[1,1,0] neg_lo:[0,0,1] neg_hi:[0,0,1]
	v_mul_f32_e32 v222, v223, v216
	v_pk_add_f32 v[96:97], v[96:97], v[224:225] neg_lo:[0,1] neg_hi:[0,1]
	s_delay_alu instid0(VALU_DEP_2) | instskip(NEXT) | instid1(VALU_DEP_1)
	v_pk_fma_f32 v[0:1], v[0:1], v[102:103], v[222:223] op_sel_hi:[1,1,0]
	v_mov_b32_e32 v221, v1
	s_delay_alu instid0(VALU_DEP_1) | instskip(SKIP_3) | instid1(VALU_DEP_1)
	v_pk_add_f32 v[132:133], v[132:133], v[220:221] neg_lo:[0,1] neg_hi:[0,1]
	ds_load_2addr_b64 v[220:223], v250 offset0:29 offset1:30
	s_wait_dscnt 0x0
	v_pk_mul_f32 v[0:1], v[220:221], v[218:219] op_sel:[0,1]
	v_pk_fma_f32 v[224:225], v[220:221], v[216:217], v[0:1] op_sel:[0,0,1] op_sel_hi:[1,1,0] neg_lo:[0,0,1] neg_hi:[0,0,1]
	v_pk_fma_f32 v[0:1], v[220:221], v[216:217], v[0:1] op_sel:[0,0,1] op_sel_hi:[1,0,0]
	s_delay_alu instid0(VALU_DEP_1) | instskip(SKIP_1) | instid1(VALU_DEP_1)
	v_mov_b32_e32 v225, v1
	v_pk_mul_f32 v[0:1], v[222:223], v[218:219] op_sel:[0,1]
	v_pk_fma_f32 v[220:221], v[222:223], v[216:217], v[0:1] op_sel:[0,0,1] op_sel_hi:[1,1,0] neg_lo:[0,0,1] neg_hi:[0,0,1]
	v_pk_fma_f32 v[0:1], v[222:223], v[216:217], v[0:1] op_sel:[0,0,1] op_sel_hi:[1,0,0]
	s_delay_alu instid0(VALU_DEP_1) | instskip(SKIP_1) | instid1(VALU_DEP_2)
	v_mov_b32_e32 v221, v1
	v_pk_add_f32 v[128:129], v[128:129], v[224:225] neg_lo:[0,1] neg_hi:[0,1]
	v_pk_add_f32 v[130:131], v[130:131], v[220:221] neg_lo:[0,1] neg_hi:[0,1]
	ds_load_2addr_b64 v[220:223], v250 offset0:31 offset1:32
	s_wait_dscnt 0x0
	v_pk_mul_f32 v[0:1], v[220:221], v[218:219] op_sel:[0,1]
	s_delay_alu instid0(VALU_DEP_1) | instskip(SKIP_1) | instid1(VALU_DEP_1)
	v_pk_fma_f32 v[224:225], v[220:221], v[216:217], v[0:1] op_sel:[0,0,1] op_sel_hi:[1,1,0] neg_lo:[0,0,1] neg_hi:[0,0,1]
	v_pk_fma_f32 v[0:1], v[220:221], v[216:217], v[0:1] op_sel:[0,0,1] op_sel_hi:[1,0,0]
	v_mov_b32_e32 v225, v1
	v_pk_mul_f32 v[0:1], v[222:223], v[218:219] op_sel:[0,1]
	s_delay_alu instid0(VALU_DEP_1) | instskip(SKIP_1) | instid1(VALU_DEP_1)
	v_pk_fma_f32 v[220:221], v[222:223], v[216:217], v[0:1] op_sel:[0,0,1] op_sel_hi:[1,1,0] neg_lo:[0,0,1] neg_hi:[0,0,1]
	v_pk_fma_f32 v[0:1], v[222:223], v[216:217], v[0:1] op_sel:[0,0,1] op_sel_hi:[1,0,0]
	v_mov_b32_e32 v221, v1
	v_pk_add_f32 v[126:127], v[126:127], v[224:225] neg_lo:[0,1] neg_hi:[0,1]
	s_delay_alu instid0(VALU_DEP_2) | instskip(SKIP_3) | instid1(VALU_DEP_1)
	v_pk_add_f32 v[160:161], v[160:161], v[220:221] neg_lo:[0,1] neg_hi:[0,1]
	ds_load_2addr_b64 v[220:223], v250 offset0:33 offset1:34
	s_wait_dscnt 0x0
	v_dual_mul_f32 v0, v221, v219 :: v_dual_mul_f32 v224, v221, v216
	v_pk_fma_f32 v[0:1], v[220:221], v[102:103], v[0:1] op_sel_hi:[1,1,0] neg_lo:[0,0,1] neg_hi:[0,0,1]
	s_delay_alu instid0(VALU_DEP_2) | instskip(NEXT) | instid1(VALU_DEP_1)
	v_pk_fma_f32 v[220:221], v[220:221], v[102:103], v[224:225] op_sel:[1,0,0] op_sel_hi:[0,1,0]
	v_mov_b32_e32 v1, v221
	s_delay_alu instid0(VALU_DEP_1) | instskip(SKIP_1) | instid1(VALU_DEP_1)
	v_pk_add_f32 v[152:153], v[152:153], v[0:1] neg_lo:[0,1] neg_hi:[0,1]
	v_pk_mul_f32 v[0:1], v[222:223], v[218:219] op_sel:[0,1]
	v_pk_fma_f32 v[220:221], v[222:223], v[216:217], v[0:1] op_sel:[0,0,1] op_sel_hi:[1,1,0] neg_lo:[0,0,1] neg_hi:[0,0,1]
	v_pk_fma_f32 v[0:1], v[222:223], v[216:217], v[0:1] op_sel:[0,0,1] op_sel_hi:[1,0,0]
	s_delay_alu instid0(VALU_DEP_1) | instskip(NEXT) | instid1(VALU_DEP_1)
	v_mov_b32_e32 v221, v1
	v_pk_add_f32 v[158:159], v[158:159], v[220:221] neg_lo:[0,1] neg_hi:[0,1]
	ds_load_2addr_b64 v[220:223], v250 offset0:35 offset1:36
	s_wait_dscnt 0x0
	v_pk_mul_f32 v[0:1], v[220:221], v[218:219] op_sel:[0,1]
	s_delay_alu instid0(VALU_DEP_1) | instskip(SKIP_1) | instid1(VALU_DEP_1)
	v_pk_fma_f32 v[224:225], v[220:221], v[216:217], v[0:1] op_sel:[0,0,1] op_sel_hi:[1,1,0] neg_lo:[0,0,1] neg_hi:[0,0,1]
	v_pk_fma_f32 v[0:1], v[220:221], v[216:217], v[0:1] op_sel:[0,0,1] op_sel_hi:[1,0,0]
	v_mov_b32_e32 v225, v1
	v_pk_mul_f32 v[0:1], v[222:223], v[218:219] op_sel:[0,1]
	s_delay_alu instid0(VALU_DEP_2) | instskip(NEXT) | instid1(VALU_DEP_2)
	v_pk_add_f32 v[150:151], v[150:151], v[224:225] neg_lo:[0,1] neg_hi:[0,1]
	v_pk_fma_f32 v[220:221], v[222:223], v[216:217], v[0:1] op_sel:[0,0,1] op_sel_hi:[1,1,0] neg_lo:[0,0,1] neg_hi:[0,0,1]
	v_pk_fma_f32 v[0:1], v[222:223], v[216:217], v[0:1] op_sel:[0,0,1] op_sel_hi:[1,0,0]
	s_delay_alu instid0(VALU_DEP_1) | instskip(NEXT) | instid1(VALU_DEP_1)
	v_mov_b32_e32 v221, v1
	v_pk_add_f32 v[156:157], v[156:157], v[220:221] neg_lo:[0,1] neg_hi:[0,1]
	ds_load_2addr_b64 v[220:223], v250 offset0:37 offset1:38
	s_wait_dscnt 0x0
	v_pk_mul_f32 v[0:1], v[220:221], v[218:219] op_sel:[0,1]
	s_delay_alu instid0(VALU_DEP_1) | instskip(SKIP_2) | instid1(VALU_DEP_2)
	v_pk_fma_f32 v[224:225], v[220:221], v[216:217], v[0:1] op_sel:[0,0,1] op_sel_hi:[1,1,0] neg_lo:[0,0,1] neg_hi:[0,0,1]
	v_pk_fma_f32 v[0:1], v[220:221], v[216:217], v[0:1] op_sel:[0,0,1] op_sel_hi:[1,0,0]
	v_dual_mul_f32 v220, v223, v219 :: v_dual_mov_b32 v0, v223
	v_dual_mov_b32 v225, v1 :: v_dual_mov_b32 v1, v222
	s_delay_alu instid0(VALU_DEP_2) | instskip(SKIP_1) | instid1(VALU_DEP_3)
	v_pk_fma_f32 v[220:221], v[222:223], v[102:103], v[220:221] op_sel_hi:[1,1,0] neg_lo:[0,0,1] neg_hi:[0,0,1]
	v_mul_f32_e32 v222, v223, v216
	v_pk_add_f32 v[148:149], v[148:149], v[224:225] neg_lo:[0,1] neg_hi:[0,1]
	s_delay_alu instid0(VALU_DEP_2) | instskip(NEXT) | instid1(VALU_DEP_1)
	v_pk_fma_f32 v[0:1], v[0:1], v[102:103], v[222:223] op_sel_hi:[1,1,0]
	v_mov_b32_e32 v221, v1
	s_delay_alu instid0(VALU_DEP_1) | instskip(SKIP_3) | instid1(VALU_DEP_1)
	v_pk_add_f32 v[154:155], v[154:155], v[220:221] neg_lo:[0,1] neg_hi:[0,1]
	ds_load_2addr_b64 v[220:223], v250 offset0:39 offset1:40
	s_wait_dscnt 0x0
	v_pk_mul_f32 v[0:1], v[220:221], v[218:219] op_sel:[0,1]
	v_pk_fma_f32 v[224:225], v[220:221], v[216:217], v[0:1] op_sel:[0,0,1] op_sel_hi:[1,1,0] neg_lo:[0,0,1] neg_hi:[0,0,1]
	v_pk_fma_f32 v[0:1], v[220:221], v[216:217], v[0:1] op_sel:[0,0,1] op_sel_hi:[1,0,0]
	s_delay_alu instid0(VALU_DEP_1) | instskip(SKIP_1) | instid1(VALU_DEP_1)
	v_mov_b32_e32 v225, v1
	v_pk_mul_f32 v[0:1], v[222:223], v[218:219] op_sel:[0,1]
	v_pk_fma_f32 v[218:219], v[222:223], v[216:217], v[0:1] op_sel:[0,0,1] op_sel_hi:[1,1,0] neg_lo:[0,0,1] neg_hi:[0,0,1]
	v_pk_fma_f32 v[0:1], v[222:223], v[216:217], v[0:1] op_sel:[0,0,1] op_sel_hi:[1,0,0]
	s_delay_alu instid0(VALU_DEP_1) | instskip(SKIP_1) | instid1(VALU_DEP_2)
	v_mov_b32_e32 v219, v1
	v_pk_add_f32 v[162:163], v[162:163], v[224:225] neg_lo:[0,1] neg_hi:[0,1]
	v_pk_add_f32 v[164:165], v[164:165], v[218:219] neg_lo:[0,1] neg_hi:[0,1]
.LBB81_226:
	s_or_b32 exec_lo, exec_lo, s1
	s_delay_alu instid0(SALU_CYCLE_1)
	s_mov_b32 s2, exec_lo
	s_wait_dscnt 0x0
	s_barrier_signal -1
	s_barrier_wait -1
	v_cmpx_eq_u32_e32 25, v248
	s_cbranch_execz .LBB81_233
; %bb.227:
	v_dual_mov_b32 v0, v100 :: v_dual_mov_b32 v1, v101
	v_dual_mov_b32 v216, v96 :: v_dual_mov_b32 v217, v97
	;; [unrolled: 1-line block ×4, first 2 shown]
	ds_store_b64 v249, v[98:99]
	ds_store_2addr_b64 v250, v[0:1], v[216:217] offset0:26 offset1:27
	ds_store_2addr_b64 v250, v[218:219], v[220:221] offset0:28 offset1:29
	v_dual_mov_b32 v0, v130 :: v_dual_mov_b32 v1, v131
	v_dual_mov_b32 v216, v126 :: v_dual_mov_b32 v217, v127
	;; [unrolled: 1-line block ×10, first 2 shown]
	ds_store_2addr_b64 v250, v[0:1], v[216:217] offset0:30 offset1:31
	ds_store_2addr_b64 v250, v[218:219], v[220:221] offset0:32 offset1:33
	;; [unrolled: 1-line block ×5, first 2 shown]
	ds_store_b64 v250, v[164:165] offset:320
	ds_load_b64 v[216:217], v249
	s_wait_dscnt 0x0
	v_cmp_neq_f32_e32 vcc_lo, 0, v216
	v_cmp_neq_f32_e64 s1, 0, v217
	s_or_b32 s1, vcc_lo, s1
	s_delay_alu instid0(SALU_CYCLE_1)
	s_and_b32 exec_lo, exec_lo, s1
	s_cbranch_execz .LBB81_233
; %bb.228:
	v_cmp_ngt_f32_e64 s1, |v216|, |v217|
                                        ; implicit-def: $vgpr218_vgpr219
	s_and_saveexec_b32 s4, s1
	s_delay_alu instid0(SALU_CYCLE_1)
	s_xor_b32 s1, exec_lo, s4
	s_cbranch_execz .LBB81_230
; %bb.229:
	v_div_scale_f32 v0, null, v217, v217, v216
	v_div_scale_f32 v5, vcc_lo, v216, v217, v216
	s_delay_alu instid0(VALU_DEP_2) | instskip(SKIP_1) | instid1(TRANS32_DEP_1)
	v_rcp_f32_e32 v1, v0
	v_nop
	v_fma_f32 v4, -v0, v1, 1.0
	s_delay_alu instid0(VALU_DEP_1) | instskip(NEXT) | instid1(VALU_DEP_1)
	v_fmac_f32_e32 v1, v4, v1
	v_mul_f32_e32 v4, v5, v1
	s_delay_alu instid0(VALU_DEP_1) | instskip(NEXT) | instid1(VALU_DEP_1)
	v_fma_f32 v218, -v0, v4, v5
	v_fmac_f32_e32 v4, v218, v1
	s_delay_alu instid0(VALU_DEP_1) | instskip(NEXT) | instid1(VALU_DEP_1)
	v_fma_f32 v0, -v0, v4, v5
	v_div_fmas_f32 v0, v0, v1, v4
	s_delay_alu instid0(VALU_DEP_1) | instskip(NEXT) | instid1(VALU_DEP_1)
	v_div_fixup_f32 v0, v0, v217, v216
	v_fmac_f32_e32 v217, v216, v0
	s_delay_alu instid0(VALU_DEP_1) | instskip(SKIP_1) | instid1(VALU_DEP_2)
	v_div_scale_f32 v1, null, v217, v217, 1.0
	v_div_scale_f32 v216, vcc_lo, 1.0, v217, 1.0
	v_rcp_f32_e32 v4, v1
	v_nop
	s_delay_alu instid0(TRANS32_DEP_1) | instskip(NEXT) | instid1(VALU_DEP_1)
	v_fma_f32 v5, -v1, v4, 1.0
	v_fmac_f32_e32 v4, v5, v4
	s_delay_alu instid0(VALU_DEP_1) | instskip(NEXT) | instid1(VALU_DEP_1)
	v_mul_f32_e32 v5, v216, v4
	v_fma_f32 v218, -v1, v5, v216
	s_delay_alu instid0(VALU_DEP_1) | instskip(NEXT) | instid1(VALU_DEP_1)
	v_fmac_f32_e32 v5, v218, v4
	v_fma_f32 v1, -v1, v5, v216
	s_delay_alu instid0(VALU_DEP_1) | instskip(NEXT) | instid1(VALU_DEP_1)
	v_div_fmas_f32 v1, v1, v4, v5
	v_div_fixup_f32 v1, v1, v217, 1.0
                                        ; implicit-def: $vgpr216_vgpr217
	s_delay_alu instid0(VALU_DEP_1)
	v_mul_f32_e32 v218, v0, v1
	v_xor_b32_e32 v219, 0x80000000, v1
.LBB81_230:
	s_and_not1_saveexec_b32 s1, s1
	s_cbranch_execz .LBB81_232
; %bb.231:
	v_div_scale_f32 v0, null, v216, v216, v217
	v_div_scale_f32 v5, vcc_lo, v217, v216, v217
	s_delay_alu instid0(VALU_DEP_2) | instskip(SKIP_1) | instid1(TRANS32_DEP_1)
	v_rcp_f32_e32 v1, v0
	v_nop
	v_fma_f32 v4, -v0, v1, 1.0
	s_delay_alu instid0(VALU_DEP_1) | instskip(NEXT) | instid1(VALU_DEP_1)
	v_fmac_f32_e32 v1, v4, v1
	v_mul_f32_e32 v4, v5, v1
	s_delay_alu instid0(VALU_DEP_1) | instskip(NEXT) | instid1(VALU_DEP_1)
	v_fma_f32 v218, -v0, v4, v5
	v_fmac_f32_e32 v4, v218, v1
	s_delay_alu instid0(VALU_DEP_1) | instskip(NEXT) | instid1(VALU_DEP_1)
	v_fma_f32 v0, -v0, v4, v5
	v_div_fmas_f32 v0, v0, v1, v4
	s_delay_alu instid0(VALU_DEP_1) | instskip(NEXT) | instid1(VALU_DEP_1)
	v_div_fixup_f32 v0, v0, v216, v217
	v_fmac_f32_e32 v216, v217, v0
	s_delay_alu instid0(VALU_DEP_1) | instskip(NEXT) | instid1(VALU_DEP_1)
	v_div_scale_f32 v1, null, v216, v216, 1.0
	v_rcp_f32_e32 v4, v1
	v_nop
	s_delay_alu instid0(TRANS32_DEP_1) | instskip(NEXT) | instid1(VALU_DEP_1)
	v_fma_f32 v5, -v1, v4, 1.0
	v_fmac_f32_e32 v4, v5, v4
	v_div_scale_f32 v5, vcc_lo, 1.0, v216, 1.0
	s_delay_alu instid0(VALU_DEP_1) | instskip(NEXT) | instid1(VALU_DEP_1)
	v_mul_f32_e32 v217, v5, v4
	v_fma_f32 v218, -v1, v217, v5
	s_delay_alu instid0(VALU_DEP_1) | instskip(NEXT) | instid1(VALU_DEP_1)
	v_fmac_f32_e32 v217, v218, v4
	v_fma_f32 v1, -v1, v217, v5
	s_delay_alu instid0(VALU_DEP_1) | instskip(NEXT) | instid1(VALU_DEP_1)
	v_div_fmas_f32 v1, v1, v4, v217
	v_div_fixup_f32 v218, v1, v216, 1.0
	s_delay_alu instid0(VALU_DEP_1)
	v_mul_f32_e64 v219, v0, -v218
.LBB81_232:
	s_or_b32 exec_lo, exec_lo, s1
	ds_store_b64 v249, v[218:219]
.LBB81_233:
	s_or_b32 exec_lo, exec_lo, s2
	s_wait_dscnt 0x0
	s_barrier_signal -1
	s_barrier_wait -1
	ds_load_b64 v[216:217], v249
	s_mov_b32 s1, exec_lo
	v_cmpx_lt_u32_e32 25, v248
	s_cbranch_execz .LBB81_235
; %bb.234:
	ds_load_2addr_b64 v[222:225], v250 offset0:26 offset1:27
	s_wait_dscnt 0x1
	v_pk_mul_f32 v[0:1], v[216:217], v[98:99] op_sel:[1,1] op_sel_hi:[0,1]
	s_delay_alu instid0(VALU_DEP_1) | instskip(SKIP_1) | instid1(VALU_DEP_1)
	v_pk_fma_f32 v[220:221], v[216:217], v[98:99], v[0:1] op_sel_hi:[1,0,1]
	v_pk_fma_f32 v[218:219], v[216:217], v[98:99], v[0:1] op_sel_hi:[1,0,1] neg_lo:[0,0,1] neg_hi:[0,0,1]
	v_dual_mov_b32 v99, v221 :: v_dual_mov_b32 v98, v218
	s_wait_dscnt 0x0
	s_delay_alu instid0(VALU_DEP_3) | instskip(NEXT) | instid1(VALU_DEP_1)
	v_pk_mul_f32 v[0:1], v[222:223], v[220:221] op_sel:[0,1]
	v_pk_fma_f32 v[226:227], v[222:223], v[218:219], v[0:1] op_sel:[0,0,1] op_sel_hi:[1,1,0] neg_lo:[0,0,1] neg_hi:[0,0,1]
	v_pk_fma_f32 v[0:1], v[222:223], v[218:219], v[0:1] op_sel:[0,0,1] op_sel_hi:[1,0,0]
	s_delay_alu instid0(VALU_DEP_1) | instskip(SKIP_1) | instid1(VALU_DEP_1)
	v_mov_b32_e32 v227, v1
	v_pk_mul_f32 v[0:1], v[224:225], v[220:221] op_sel:[0,1]
	v_pk_fma_f32 v[222:223], v[224:225], v[218:219], v[0:1] op_sel:[0,0,1] op_sel_hi:[1,1,0] neg_lo:[0,0,1] neg_hi:[0,0,1]
	v_pk_fma_f32 v[0:1], v[224:225], v[218:219], v[0:1] op_sel:[0,0,1] op_sel_hi:[1,0,0]
	s_delay_alu instid0(VALU_DEP_1) | instskip(SKIP_1) | instid1(VALU_DEP_2)
	v_mov_b32_e32 v223, v1
	v_pk_add_f32 v[100:101], v[100:101], v[226:227] neg_lo:[0,1] neg_hi:[0,1]
	v_pk_add_f32 v[96:97], v[96:97], v[222:223] neg_lo:[0,1] neg_hi:[0,1]
	ds_load_2addr_b64 v[222:225], v250 offset0:28 offset1:29
	s_wait_dscnt 0x0
	v_pk_mul_f32 v[0:1], v[222:223], v[220:221] op_sel:[0,1]
	s_delay_alu instid0(VALU_DEP_1) | instskip(SKIP_2) | instid1(VALU_DEP_2)
	v_pk_fma_f32 v[226:227], v[222:223], v[218:219], v[0:1] op_sel:[0,0,1] op_sel_hi:[1,1,0] neg_lo:[0,0,1] neg_hi:[0,0,1]
	v_pk_fma_f32 v[0:1], v[222:223], v[218:219], v[0:1] op_sel:[0,0,1] op_sel_hi:[1,0,0]
	v_dual_mul_f32 v222, v225, v221 :: v_dual_mov_b32 v0, v225
	v_dual_mov_b32 v227, v1 :: v_dual_mov_b32 v1, v224
	s_delay_alu instid0(VALU_DEP_2) | instskip(SKIP_1) | instid1(VALU_DEP_3)
	v_pk_fma_f32 v[222:223], v[224:225], v[98:99], v[222:223] op_sel_hi:[1,1,0] neg_lo:[0,0,1] neg_hi:[0,0,1]
	v_mul_f32_e32 v224, v225, v218
	v_pk_add_f32 v[132:133], v[132:133], v[226:227] neg_lo:[0,1] neg_hi:[0,1]
	s_delay_alu instid0(VALU_DEP_2) | instskip(NEXT) | instid1(VALU_DEP_1)
	v_pk_fma_f32 v[0:1], v[0:1], v[98:99], v[224:225] op_sel_hi:[1,1,0]
	v_mov_b32_e32 v223, v1
	s_delay_alu instid0(VALU_DEP_1) | instskip(SKIP_3) | instid1(VALU_DEP_1)
	v_pk_add_f32 v[128:129], v[128:129], v[222:223] neg_lo:[0,1] neg_hi:[0,1]
	ds_load_2addr_b64 v[222:225], v250 offset0:30 offset1:31
	s_wait_dscnt 0x0
	v_pk_mul_f32 v[0:1], v[222:223], v[220:221] op_sel:[0,1]
	v_pk_fma_f32 v[226:227], v[222:223], v[218:219], v[0:1] op_sel:[0,0,1] op_sel_hi:[1,1,0] neg_lo:[0,0,1] neg_hi:[0,0,1]
	v_pk_fma_f32 v[0:1], v[222:223], v[218:219], v[0:1] op_sel:[0,0,1] op_sel_hi:[1,0,0]
	s_delay_alu instid0(VALU_DEP_1) | instskip(SKIP_1) | instid1(VALU_DEP_2)
	v_mov_b32_e32 v227, v1
	v_pk_mul_f32 v[0:1], v[224:225], v[220:221] op_sel:[0,1]
	v_pk_add_f32 v[130:131], v[130:131], v[226:227] neg_lo:[0,1] neg_hi:[0,1]
	s_delay_alu instid0(VALU_DEP_2) | instskip(SKIP_1) | instid1(VALU_DEP_1)
	v_pk_fma_f32 v[222:223], v[224:225], v[218:219], v[0:1] op_sel:[0,0,1] op_sel_hi:[1,1,0] neg_lo:[0,0,1] neg_hi:[0,0,1]
	v_pk_fma_f32 v[0:1], v[224:225], v[218:219], v[0:1] op_sel:[0,0,1] op_sel_hi:[1,0,0]
	v_mov_b32_e32 v223, v1
	s_delay_alu instid0(VALU_DEP_1) | instskip(SKIP_3) | instid1(VALU_DEP_1)
	v_pk_add_f32 v[126:127], v[126:127], v[222:223] neg_lo:[0,1] neg_hi:[0,1]
	ds_load_2addr_b64 v[222:225], v250 offset0:32 offset1:33
	s_wait_dscnt 0x0
	v_pk_mul_f32 v[0:1], v[222:223], v[220:221] op_sel:[0,1]
	v_pk_fma_f32 v[226:227], v[222:223], v[218:219], v[0:1] op_sel:[0,0,1] op_sel_hi:[1,1,0] neg_lo:[0,0,1] neg_hi:[0,0,1]
	v_pk_fma_f32 v[0:1], v[222:223], v[218:219], v[0:1] op_sel:[0,0,1] op_sel_hi:[1,0,0]
	s_delay_alu instid0(VALU_DEP_1) | instskip(SKIP_1) | instid1(VALU_DEP_2)
	v_mov_b32_e32 v227, v1
	v_pk_mul_f32 v[0:1], v[224:225], v[220:221] op_sel:[0,1]
	v_pk_add_f32 v[160:161], v[160:161], v[226:227] neg_lo:[0,1] neg_hi:[0,1]
	s_delay_alu instid0(VALU_DEP_2) | instskip(SKIP_1) | instid1(VALU_DEP_1)
	v_pk_fma_f32 v[222:223], v[224:225], v[218:219], v[0:1] op_sel:[0,0,1] op_sel_hi:[1,1,0] neg_lo:[0,0,1] neg_hi:[0,0,1]
	v_pk_fma_f32 v[0:1], v[224:225], v[218:219], v[0:1] op_sel:[0,0,1] op_sel_hi:[1,0,0]
	v_mov_b32_e32 v223, v1
	s_delay_alu instid0(VALU_DEP_1) | instskip(SKIP_3) | instid1(VALU_DEP_1)
	v_pk_add_f32 v[152:153], v[152:153], v[222:223] neg_lo:[0,1] neg_hi:[0,1]
	ds_load_2addr_b64 v[222:225], v250 offset0:34 offset1:35
	s_wait_dscnt 0x0
	v_dual_mul_f32 v0, v223, v221 :: v_dual_mul_f32 v226, v223, v218
	v_pk_fma_f32 v[0:1], v[222:223], v[98:99], v[0:1] op_sel_hi:[1,1,0] neg_lo:[0,0,1] neg_hi:[0,0,1]
	s_delay_alu instid0(VALU_DEP_2) | instskip(NEXT) | instid1(VALU_DEP_1)
	v_pk_fma_f32 v[222:223], v[222:223], v[98:99], v[226:227] op_sel:[1,0,0] op_sel_hi:[0,1,0]
	v_mov_b32_e32 v1, v223
	s_delay_alu instid0(VALU_DEP_1) | instskip(SKIP_1) | instid1(VALU_DEP_1)
	v_pk_add_f32 v[158:159], v[158:159], v[0:1] neg_lo:[0,1] neg_hi:[0,1]
	v_pk_mul_f32 v[0:1], v[224:225], v[220:221] op_sel:[0,1]
	v_pk_fma_f32 v[222:223], v[224:225], v[218:219], v[0:1] op_sel:[0,0,1] op_sel_hi:[1,1,0] neg_lo:[0,0,1] neg_hi:[0,0,1]
	v_pk_fma_f32 v[0:1], v[224:225], v[218:219], v[0:1] op_sel:[0,0,1] op_sel_hi:[1,0,0]
	s_delay_alu instid0(VALU_DEP_1) | instskip(NEXT) | instid1(VALU_DEP_1)
	v_mov_b32_e32 v223, v1
	v_pk_add_f32 v[150:151], v[150:151], v[222:223] neg_lo:[0,1] neg_hi:[0,1]
	ds_load_2addr_b64 v[222:225], v250 offset0:36 offset1:37
	s_wait_dscnt 0x0
	v_pk_mul_f32 v[0:1], v[222:223], v[220:221] op_sel:[0,1]
	s_delay_alu instid0(VALU_DEP_1) | instskip(SKIP_1) | instid1(VALU_DEP_1)
	v_pk_fma_f32 v[226:227], v[222:223], v[218:219], v[0:1] op_sel:[0,0,1] op_sel_hi:[1,1,0] neg_lo:[0,0,1] neg_hi:[0,0,1]
	v_pk_fma_f32 v[0:1], v[222:223], v[218:219], v[0:1] op_sel:[0,0,1] op_sel_hi:[1,0,0]
	v_mov_b32_e32 v227, v1
	v_pk_mul_f32 v[0:1], v[224:225], v[220:221] op_sel:[0,1]
	s_delay_alu instid0(VALU_DEP_2) | instskip(NEXT) | instid1(VALU_DEP_2)
	v_pk_add_f32 v[156:157], v[156:157], v[226:227] neg_lo:[0,1] neg_hi:[0,1]
	v_pk_fma_f32 v[222:223], v[224:225], v[218:219], v[0:1] op_sel:[0,0,1] op_sel_hi:[1,1,0] neg_lo:[0,0,1] neg_hi:[0,0,1]
	v_pk_fma_f32 v[0:1], v[224:225], v[218:219], v[0:1] op_sel:[0,0,1] op_sel_hi:[1,0,0]
	s_delay_alu instid0(VALU_DEP_1) | instskip(NEXT) | instid1(VALU_DEP_1)
	v_mov_b32_e32 v223, v1
	v_pk_add_f32 v[148:149], v[148:149], v[222:223] neg_lo:[0,1] neg_hi:[0,1]
	ds_load_2addr_b64 v[222:225], v250 offset0:38 offset1:39
	s_wait_dscnt 0x0
	v_pk_mul_f32 v[0:1], v[222:223], v[220:221] op_sel:[0,1]
	s_delay_alu instid0(VALU_DEP_1) | instskip(SKIP_2) | instid1(VALU_DEP_2)
	v_pk_fma_f32 v[226:227], v[222:223], v[218:219], v[0:1] op_sel:[0,0,1] op_sel_hi:[1,1,0] neg_lo:[0,0,1] neg_hi:[0,0,1]
	v_pk_fma_f32 v[0:1], v[222:223], v[218:219], v[0:1] op_sel:[0,0,1] op_sel_hi:[1,0,0]
	v_dual_mul_f32 v222, v225, v221 :: v_dual_mov_b32 v0, v225
	v_dual_mov_b32 v227, v1 :: v_dual_mov_b32 v1, v224
	s_delay_alu instid0(VALU_DEP_2) | instskip(SKIP_1) | instid1(VALU_DEP_3)
	v_pk_fma_f32 v[222:223], v[224:225], v[98:99], v[222:223] op_sel_hi:[1,1,0] neg_lo:[0,0,1] neg_hi:[0,0,1]
	v_mul_f32_e32 v224, v225, v218
	v_pk_add_f32 v[154:155], v[154:155], v[226:227] neg_lo:[0,1] neg_hi:[0,1]
	s_delay_alu instid0(VALU_DEP_2) | instskip(NEXT) | instid1(VALU_DEP_1)
	v_pk_fma_f32 v[0:1], v[0:1], v[98:99], v[224:225] op_sel_hi:[1,1,0]
	v_mov_b32_e32 v223, v1
	ds_load_b64 v[0:1], v250 offset:320
	v_pk_add_f32 v[162:163], v[162:163], v[222:223] neg_lo:[0,1] neg_hi:[0,1]
	s_wait_dscnt 0x0
	v_pk_mul_f32 v[220:221], v[0:1], v[220:221] op_sel:[0,1]
	s_delay_alu instid0(VALU_DEP_1) | instskip(SKIP_1) | instid1(VALU_DEP_1)
	v_pk_fma_f32 v[222:223], v[0:1], v[218:219], v[220:221] op_sel:[0,0,1] op_sel_hi:[1,1,0] neg_lo:[0,0,1] neg_hi:[0,0,1]
	v_pk_fma_f32 v[0:1], v[0:1], v[218:219], v[220:221] op_sel:[0,0,1] op_sel_hi:[1,0,0]
	v_mov_b32_e32 v223, v1
	s_delay_alu instid0(VALU_DEP_1)
	v_pk_add_f32 v[164:165], v[164:165], v[222:223] neg_lo:[0,1] neg_hi:[0,1]
.LBB81_235:
	s_or_b32 exec_lo, exec_lo, s1
	s_delay_alu instid0(SALU_CYCLE_1)
	s_mov_b32 s2, exec_lo
	s_wait_dscnt 0x0
	s_barrier_signal -1
	s_barrier_wait -1
	v_cmpx_eq_u32_e32 26, v248
	s_cbranch_execz .LBB81_242
; %bb.236:
	ds_store_b64 v249, v[100:101]
	ds_store_2addr_b64 v250, v[96:97], v[132:133] offset0:27 offset1:28
	ds_store_2addr_b64 v250, v[128:129], v[130:131] offset0:29 offset1:30
	;; [unrolled: 1-line block ×7, first 2 shown]
	ds_load_b64 v[218:219], v249
	s_wait_dscnt 0x0
	v_cmp_neq_f32_e32 vcc_lo, 0, v218
	v_cmp_neq_f32_e64 s1, 0, v219
	s_or_b32 s1, vcc_lo, s1
	s_delay_alu instid0(SALU_CYCLE_1)
	s_and_b32 exec_lo, exec_lo, s1
	s_cbranch_execz .LBB81_242
; %bb.237:
	v_cmp_ngt_f32_e64 s1, |v218|, |v219|
                                        ; implicit-def: $vgpr220_vgpr221
	s_and_saveexec_b32 s4, s1
	s_delay_alu instid0(SALU_CYCLE_1)
	s_xor_b32 s1, exec_lo, s4
	s_cbranch_execz .LBB81_239
; %bb.238:
	v_div_scale_f32 v0, null, v219, v219, v218
	v_div_scale_f32 v5, vcc_lo, v218, v219, v218
	s_delay_alu instid0(VALU_DEP_2) | instskip(SKIP_1) | instid1(TRANS32_DEP_1)
	v_rcp_f32_e32 v1, v0
	v_nop
	v_fma_f32 v4, -v0, v1, 1.0
	s_delay_alu instid0(VALU_DEP_1) | instskip(NEXT) | instid1(VALU_DEP_1)
	v_fmac_f32_e32 v1, v4, v1
	v_mul_f32_e32 v4, v5, v1
	s_delay_alu instid0(VALU_DEP_1) | instskip(NEXT) | instid1(VALU_DEP_1)
	v_fma_f32 v220, -v0, v4, v5
	v_fmac_f32_e32 v4, v220, v1
	s_delay_alu instid0(VALU_DEP_1) | instskip(NEXT) | instid1(VALU_DEP_1)
	v_fma_f32 v0, -v0, v4, v5
	v_div_fmas_f32 v0, v0, v1, v4
	s_delay_alu instid0(VALU_DEP_1) | instskip(NEXT) | instid1(VALU_DEP_1)
	v_div_fixup_f32 v0, v0, v219, v218
	v_fmac_f32_e32 v219, v218, v0
	s_delay_alu instid0(VALU_DEP_1) | instskip(SKIP_1) | instid1(VALU_DEP_2)
	v_div_scale_f32 v1, null, v219, v219, 1.0
	v_div_scale_f32 v218, vcc_lo, 1.0, v219, 1.0
	v_rcp_f32_e32 v4, v1
	v_nop
	s_delay_alu instid0(TRANS32_DEP_1) | instskip(NEXT) | instid1(VALU_DEP_1)
	v_fma_f32 v5, -v1, v4, 1.0
	v_fmac_f32_e32 v4, v5, v4
	s_delay_alu instid0(VALU_DEP_1) | instskip(NEXT) | instid1(VALU_DEP_1)
	v_mul_f32_e32 v5, v218, v4
	v_fma_f32 v220, -v1, v5, v218
	s_delay_alu instid0(VALU_DEP_1) | instskip(NEXT) | instid1(VALU_DEP_1)
	v_fmac_f32_e32 v5, v220, v4
	v_fma_f32 v1, -v1, v5, v218
	s_delay_alu instid0(VALU_DEP_1) | instskip(NEXT) | instid1(VALU_DEP_1)
	v_div_fmas_f32 v1, v1, v4, v5
	v_div_fixup_f32 v1, v1, v219, 1.0
                                        ; implicit-def: $vgpr218_vgpr219
	s_delay_alu instid0(VALU_DEP_1)
	v_mul_f32_e32 v220, v0, v1
	v_xor_b32_e32 v221, 0x80000000, v1
.LBB81_239:
	s_and_not1_saveexec_b32 s1, s1
	s_cbranch_execz .LBB81_241
; %bb.240:
	v_div_scale_f32 v0, null, v218, v218, v219
	v_div_scale_f32 v5, vcc_lo, v219, v218, v219
	s_delay_alu instid0(VALU_DEP_2) | instskip(SKIP_1) | instid1(TRANS32_DEP_1)
	v_rcp_f32_e32 v1, v0
	v_nop
	v_fma_f32 v4, -v0, v1, 1.0
	s_delay_alu instid0(VALU_DEP_1) | instskip(NEXT) | instid1(VALU_DEP_1)
	v_fmac_f32_e32 v1, v4, v1
	v_mul_f32_e32 v4, v5, v1
	s_delay_alu instid0(VALU_DEP_1) | instskip(NEXT) | instid1(VALU_DEP_1)
	v_fma_f32 v220, -v0, v4, v5
	v_fmac_f32_e32 v4, v220, v1
	s_delay_alu instid0(VALU_DEP_1) | instskip(NEXT) | instid1(VALU_DEP_1)
	v_fma_f32 v0, -v0, v4, v5
	v_div_fmas_f32 v0, v0, v1, v4
	s_delay_alu instid0(VALU_DEP_1) | instskip(NEXT) | instid1(VALU_DEP_1)
	v_div_fixup_f32 v0, v0, v218, v219
	v_fmac_f32_e32 v218, v219, v0
	s_delay_alu instid0(VALU_DEP_1) | instskip(NEXT) | instid1(VALU_DEP_1)
	v_div_scale_f32 v1, null, v218, v218, 1.0
	v_rcp_f32_e32 v4, v1
	v_nop
	s_delay_alu instid0(TRANS32_DEP_1) | instskip(NEXT) | instid1(VALU_DEP_1)
	v_fma_f32 v5, -v1, v4, 1.0
	v_fmac_f32_e32 v4, v5, v4
	v_div_scale_f32 v5, vcc_lo, 1.0, v218, 1.0
	s_delay_alu instid0(VALU_DEP_1) | instskip(NEXT) | instid1(VALU_DEP_1)
	v_mul_f32_e32 v219, v5, v4
	v_fma_f32 v220, -v1, v219, v5
	s_delay_alu instid0(VALU_DEP_1) | instskip(NEXT) | instid1(VALU_DEP_1)
	v_fmac_f32_e32 v219, v220, v4
	v_fma_f32 v1, -v1, v219, v5
	s_delay_alu instid0(VALU_DEP_1) | instskip(NEXT) | instid1(VALU_DEP_1)
	v_div_fmas_f32 v1, v1, v4, v219
	v_div_fixup_f32 v220, v1, v218, 1.0
	s_delay_alu instid0(VALU_DEP_1)
	v_mul_f32_e64 v221, v0, -v220
.LBB81_241:
	s_or_b32 exec_lo, exec_lo, s1
	ds_store_b64 v249, v[220:221]
.LBB81_242:
	s_or_b32 exec_lo, exec_lo, s2
	s_wait_dscnt 0x0
	s_barrier_signal -1
	s_barrier_wait -1
	ds_load_b64 v[218:219], v249
	s_mov_b32 s1, exec_lo
	v_cmpx_lt_u32_e32 26, v248
	s_cbranch_execz .LBB81_244
; %bb.243:
	ds_load_2addr_b64 v[224:227], v250 offset0:27 offset1:28
	s_wait_dscnt 0x1
	v_pk_mul_f32 v[0:1], v[218:219], v[100:101] op_sel:[1,1] op_sel_hi:[0,1]
	s_delay_alu instid0(VALU_DEP_1) | instskip(SKIP_1) | instid1(VALU_DEP_1)
	v_pk_fma_f32 v[222:223], v[218:219], v[100:101], v[0:1] op_sel_hi:[1,0,1]
	v_pk_fma_f32 v[220:221], v[218:219], v[100:101], v[0:1] op_sel_hi:[1,0,1] neg_lo:[0,0,1] neg_hi:[0,0,1]
	v_dual_mov_b32 v101, v223 :: v_dual_mov_b32 v100, v220
	s_wait_dscnt 0x0
	s_delay_alu instid0(VALU_DEP_3) | instskip(NEXT) | instid1(VALU_DEP_1)
	v_pk_mul_f32 v[0:1], v[224:225], v[222:223] op_sel:[0,1]
	v_pk_fma_f32 v[228:229], v[224:225], v[220:221], v[0:1] op_sel:[0,0,1] op_sel_hi:[1,1,0] neg_lo:[0,0,1] neg_hi:[0,0,1]
	v_pk_fma_f32 v[0:1], v[224:225], v[220:221], v[0:1] op_sel:[0,0,1] op_sel_hi:[1,0,0]
	s_delay_alu instid0(VALU_DEP_1) | instskip(SKIP_1) | instid1(VALU_DEP_1)
	v_mov_b32_e32 v229, v1
	v_pk_mul_f32 v[0:1], v[226:227], v[222:223] op_sel:[0,1]
	v_pk_fma_f32 v[224:225], v[226:227], v[220:221], v[0:1] op_sel:[0,0,1] op_sel_hi:[1,1,0] neg_lo:[0,0,1] neg_hi:[0,0,1]
	v_pk_fma_f32 v[0:1], v[226:227], v[220:221], v[0:1] op_sel:[0,0,1] op_sel_hi:[1,0,0]
	s_delay_alu instid0(VALU_DEP_1) | instskip(SKIP_1) | instid1(VALU_DEP_2)
	v_mov_b32_e32 v225, v1
	v_pk_add_f32 v[96:97], v[96:97], v[228:229] neg_lo:[0,1] neg_hi:[0,1]
	v_pk_add_f32 v[132:133], v[132:133], v[224:225] neg_lo:[0,1] neg_hi:[0,1]
	ds_load_2addr_b64 v[224:227], v250 offset0:29 offset1:30
	s_wait_dscnt 0x0
	v_pk_mul_f32 v[0:1], v[224:225], v[222:223] op_sel:[0,1]
	s_delay_alu instid0(VALU_DEP_1) | instskip(SKIP_2) | instid1(VALU_DEP_2)
	v_pk_fma_f32 v[228:229], v[224:225], v[220:221], v[0:1] op_sel:[0,0,1] op_sel_hi:[1,1,0] neg_lo:[0,0,1] neg_hi:[0,0,1]
	v_pk_fma_f32 v[0:1], v[224:225], v[220:221], v[0:1] op_sel:[0,0,1] op_sel_hi:[1,0,0]
	v_dual_mul_f32 v224, v227, v223 :: v_dual_mov_b32 v0, v227
	v_dual_mov_b32 v229, v1 :: v_dual_mov_b32 v1, v226
	s_delay_alu instid0(VALU_DEP_2) | instskip(SKIP_1) | instid1(VALU_DEP_3)
	v_pk_fma_f32 v[224:225], v[226:227], v[100:101], v[224:225] op_sel_hi:[1,1,0] neg_lo:[0,0,1] neg_hi:[0,0,1]
	v_mul_f32_e32 v226, v227, v220
	v_pk_add_f32 v[128:129], v[128:129], v[228:229] neg_lo:[0,1] neg_hi:[0,1]
	s_delay_alu instid0(VALU_DEP_2) | instskip(NEXT) | instid1(VALU_DEP_1)
	v_pk_fma_f32 v[0:1], v[0:1], v[100:101], v[226:227] op_sel_hi:[1,1,0]
	v_mov_b32_e32 v225, v1
	s_delay_alu instid0(VALU_DEP_1) | instskip(SKIP_3) | instid1(VALU_DEP_1)
	v_pk_add_f32 v[130:131], v[130:131], v[224:225] neg_lo:[0,1] neg_hi:[0,1]
	ds_load_2addr_b64 v[224:227], v250 offset0:31 offset1:32
	s_wait_dscnt 0x0
	v_pk_mul_f32 v[0:1], v[224:225], v[222:223] op_sel:[0,1]
	v_pk_fma_f32 v[228:229], v[224:225], v[220:221], v[0:1] op_sel:[0,0,1] op_sel_hi:[1,1,0] neg_lo:[0,0,1] neg_hi:[0,0,1]
	v_pk_fma_f32 v[0:1], v[224:225], v[220:221], v[0:1] op_sel:[0,0,1] op_sel_hi:[1,0,0]
	s_delay_alu instid0(VALU_DEP_1) | instskip(SKIP_1) | instid1(VALU_DEP_1)
	v_mov_b32_e32 v229, v1
	v_pk_mul_f32 v[0:1], v[226:227], v[222:223] op_sel:[0,1]
	v_pk_fma_f32 v[224:225], v[226:227], v[220:221], v[0:1] op_sel:[0,0,1] op_sel_hi:[1,1,0] neg_lo:[0,0,1] neg_hi:[0,0,1]
	v_pk_fma_f32 v[0:1], v[226:227], v[220:221], v[0:1] op_sel:[0,0,1] op_sel_hi:[1,0,0]
	s_delay_alu instid0(VALU_DEP_1) | instskip(SKIP_1) | instid1(VALU_DEP_2)
	v_mov_b32_e32 v225, v1
	v_pk_add_f32 v[126:127], v[126:127], v[228:229] neg_lo:[0,1] neg_hi:[0,1]
	v_pk_add_f32 v[160:161], v[160:161], v[224:225] neg_lo:[0,1] neg_hi:[0,1]
	ds_load_2addr_b64 v[224:227], v250 offset0:33 offset1:34
	s_wait_dscnt 0x0
	v_pk_mul_f32 v[0:1], v[224:225], v[222:223] op_sel:[0,1]
	s_delay_alu instid0(VALU_DEP_1) | instskip(SKIP_1) | instid1(VALU_DEP_1)
	v_pk_fma_f32 v[228:229], v[224:225], v[220:221], v[0:1] op_sel:[0,0,1] op_sel_hi:[1,1,0] neg_lo:[0,0,1] neg_hi:[0,0,1]
	v_pk_fma_f32 v[0:1], v[224:225], v[220:221], v[0:1] op_sel:[0,0,1] op_sel_hi:[1,0,0]
	v_mov_b32_e32 v229, v1
	v_pk_mul_f32 v[0:1], v[226:227], v[222:223] op_sel:[0,1]
	s_delay_alu instid0(VALU_DEP_1) | instskip(SKIP_1) | instid1(VALU_DEP_1)
	v_pk_fma_f32 v[224:225], v[226:227], v[220:221], v[0:1] op_sel:[0,0,1] op_sel_hi:[1,1,0] neg_lo:[0,0,1] neg_hi:[0,0,1]
	v_pk_fma_f32 v[0:1], v[226:227], v[220:221], v[0:1] op_sel:[0,0,1] op_sel_hi:[1,0,0]
	v_mov_b32_e32 v225, v1
	v_pk_add_f32 v[152:153], v[152:153], v[228:229] neg_lo:[0,1] neg_hi:[0,1]
	s_delay_alu instid0(VALU_DEP_2) | instskip(SKIP_3) | instid1(VALU_DEP_1)
	v_pk_add_f32 v[158:159], v[158:159], v[224:225] neg_lo:[0,1] neg_hi:[0,1]
	ds_load_2addr_b64 v[224:227], v250 offset0:35 offset1:36
	s_wait_dscnt 0x0
	v_dual_mul_f32 v0, v225, v223 :: v_dual_mul_f32 v228, v225, v220
	v_pk_fma_f32 v[0:1], v[224:225], v[100:101], v[0:1] op_sel_hi:[1,1,0] neg_lo:[0,0,1] neg_hi:[0,0,1]
	s_delay_alu instid0(VALU_DEP_2) | instskip(NEXT) | instid1(VALU_DEP_1)
	v_pk_fma_f32 v[224:225], v[224:225], v[100:101], v[228:229] op_sel:[1,0,0] op_sel_hi:[0,1,0]
	v_mov_b32_e32 v1, v225
	s_delay_alu instid0(VALU_DEP_1) | instskip(SKIP_1) | instid1(VALU_DEP_1)
	v_pk_add_f32 v[150:151], v[150:151], v[0:1] neg_lo:[0,1] neg_hi:[0,1]
	v_pk_mul_f32 v[0:1], v[226:227], v[222:223] op_sel:[0,1]
	v_pk_fma_f32 v[224:225], v[226:227], v[220:221], v[0:1] op_sel:[0,0,1] op_sel_hi:[1,1,0] neg_lo:[0,0,1] neg_hi:[0,0,1]
	v_pk_fma_f32 v[0:1], v[226:227], v[220:221], v[0:1] op_sel:[0,0,1] op_sel_hi:[1,0,0]
	s_delay_alu instid0(VALU_DEP_1) | instskip(NEXT) | instid1(VALU_DEP_1)
	v_mov_b32_e32 v225, v1
	v_pk_add_f32 v[156:157], v[156:157], v[224:225] neg_lo:[0,1] neg_hi:[0,1]
	ds_load_2addr_b64 v[224:227], v250 offset0:37 offset1:38
	s_wait_dscnt 0x0
	v_pk_mul_f32 v[0:1], v[224:225], v[222:223] op_sel:[0,1]
	s_delay_alu instid0(VALU_DEP_1) | instskip(SKIP_1) | instid1(VALU_DEP_1)
	v_pk_fma_f32 v[228:229], v[224:225], v[220:221], v[0:1] op_sel:[0,0,1] op_sel_hi:[1,1,0] neg_lo:[0,0,1] neg_hi:[0,0,1]
	v_pk_fma_f32 v[0:1], v[224:225], v[220:221], v[0:1] op_sel:[0,0,1] op_sel_hi:[1,0,0]
	v_mov_b32_e32 v229, v1
	v_pk_mul_f32 v[0:1], v[226:227], v[222:223] op_sel:[0,1]
	s_delay_alu instid0(VALU_DEP_2) | instskip(NEXT) | instid1(VALU_DEP_2)
	v_pk_add_f32 v[148:149], v[148:149], v[228:229] neg_lo:[0,1] neg_hi:[0,1]
	v_pk_fma_f32 v[224:225], v[226:227], v[220:221], v[0:1] op_sel:[0,0,1] op_sel_hi:[1,1,0] neg_lo:[0,0,1] neg_hi:[0,0,1]
	v_pk_fma_f32 v[0:1], v[226:227], v[220:221], v[0:1] op_sel:[0,0,1] op_sel_hi:[1,0,0]
	s_delay_alu instid0(VALU_DEP_1) | instskip(NEXT) | instid1(VALU_DEP_1)
	v_mov_b32_e32 v225, v1
	v_pk_add_f32 v[154:155], v[154:155], v[224:225] neg_lo:[0,1] neg_hi:[0,1]
	ds_load_2addr_b64 v[224:227], v250 offset0:39 offset1:40
	s_wait_dscnt 0x0
	v_pk_mul_f32 v[0:1], v[224:225], v[222:223] op_sel:[0,1]
	s_delay_alu instid0(VALU_DEP_1) | instskip(SKIP_1) | instid1(VALU_DEP_1)
	v_pk_fma_f32 v[228:229], v[224:225], v[220:221], v[0:1] op_sel:[0,0,1] op_sel_hi:[1,1,0] neg_lo:[0,0,1] neg_hi:[0,0,1]
	v_pk_fma_f32 v[0:1], v[224:225], v[220:221], v[0:1] op_sel:[0,0,1] op_sel_hi:[1,0,0]
	v_mov_b32_e32 v229, v1
	v_pk_mul_f32 v[0:1], v[226:227], v[222:223] op_sel:[0,1]
	s_delay_alu instid0(VALU_DEP_2) | instskip(NEXT) | instid1(VALU_DEP_2)
	v_pk_add_f32 v[162:163], v[162:163], v[228:229] neg_lo:[0,1] neg_hi:[0,1]
	v_pk_fma_f32 v[222:223], v[226:227], v[220:221], v[0:1] op_sel:[0,0,1] op_sel_hi:[1,1,0] neg_lo:[0,0,1] neg_hi:[0,0,1]
	v_pk_fma_f32 v[0:1], v[226:227], v[220:221], v[0:1] op_sel:[0,0,1] op_sel_hi:[1,0,0]
	s_delay_alu instid0(VALU_DEP_1) | instskip(NEXT) | instid1(VALU_DEP_1)
	v_mov_b32_e32 v223, v1
	v_pk_add_f32 v[164:165], v[164:165], v[222:223] neg_lo:[0,1] neg_hi:[0,1]
.LBB81_244:
	s_or_b32 exec_lo, exec_lo, s1
	s_delay_alu instid0(SALU_CYCLE_1)
	s_mov_b32 s2, exec_lo
	s_wait_dscnt 0x0
	s_barrier_signal -1
	s_barrier_wait -1
	v_cmpx_eq_u32_e32 27, v248
	s_cbranch_execz .LBB81_251
; %bb.245:
	v_dual_mov_b32 v0, v132 :: v_dual_mov_b32 v1, v133
	v_dual_mov_b32 v220, v128 :: v_dual_mov_b32 v221, v129
	;; [unrolled: 1-line block ×10, first 2 shown]
	ds_store_b64 v249, v[96:97]
	v_dual_mov_b32 v238, v154 :: v_dual_mov_b32 v239, v155
	v_dual_mov_b32 v240, v162 :: v_dual_mov_b32 v241, v163
	ds_store_2addr_b64 v250, v[0:1], v[220:221] offset0:28 offset1:29
	ds_store_2addr_b64 v250, v[222:223], v[224:225] offset0:30 offset1:31
	;; [unrolled: 1-line block ×6, first 2 shown]
	ds_store_b64 v250, v[164:165] offset:320
	ds_load_b64 v[220:221], v249
	s_wait_dscnt 0x0
	v_cmp_neq_f32_e32 vcc_lo, 0, v220
	v_cmp_neq_f32_e64 s1, 0, v221
	s_or_b32 s1, vcc_lo, s1
	s_delay_alu instid0(SALU_CYCLE_1)
	s_and_b32 exec_lo, exec_lo, s1
	s_cbranch_execz .LBB81_251
; %bb.246:
	v_cmp_ngt_f32_e64 s1, |v220|, |v221|
                                        ; implicit-def: $vgpr222_vgpr223
	s_and_saveexec_b32 s4, s1
	s_delay_alu instid0(SALU_CYCLE_1)
	s_xor_b32 s1, exec_lo, s4
	s_cbranch_execz .LBB81_248
; %bb.247:
	v_div_scale_f32 v0, null, v221, v221, v220
	v_div_scale_f32 v5, vcc_lo, v220, v221, v220
	s_delay_alu instid0(VALU_DEP_2) | instskip(SKIP_1) | instid1(TRANS32_DEP_1)
	v_rcp_f32_e32 v1, v0
	v_nop
	v_fma_f32 v4, -v0, v1, 1.0
	s_delay_alu instid0(VALU_DEP_1) | instskip(NEXT) | instid1(VALU_DEP_1)
	v_fmac_f32_e32 v1, v4, v1
	v_mul_f32_e32 v4, v5, v1
	s_delay_alu instid0(VALU_DEP_1) | instskip(NEXT) | instid1(VALU_DEP_1)
	v_fma_f32 v222, -v0, v4, v5
	v_fmac_f32_e32 v4, v222, v1
	s_delay_alu instid0(VALU_DEP_1) | instskip(NEXT) | instid1(VALU_DEP_1)
	v_fma_f32 v0, -v0, v4, v5
	v_div_fmas_f32 v0, v0, v1, v4
	s_delay_alu instid0(VALU_DEP_1) | instskip(NEXT) | instid1(VALU_DEP_1)
	v_div_fixup_f32 v0, v0, v221, v220
	v_fmac_f32_e32 v221, v220, v0
	s_delay_alu instid0(VALU_DEP_1) | instskip(SKIP_1) | instid1(VALU_DEP_2)
	v_div_scale_f32 v1, null, v221, v221, 1.0
	v_div_scale_f32 v220, vcc_lo, 1.0, v221, 1.0
	v_rcp_f32_e32 v4, v1
	v_nop
	s_delay_alu instid0(TRANS32_DEP_1) | instskip(NEXT) | instid1(VALU_DEP_1)
	v_fma_f32 v5, -v1, v4, 1.0
	v_fmac_f32_e32 v4, v5, v4
	s_delay_alu instid0(VALU_DEP_1) | instskip(NEXT) | instid1(VALU_DEP_1)
	v_mul_f32_e32 v5, v220, v4
	v_fma_f32 v222, -v1, v5, v220
	s_delay_alu instid0(VALU_DEP_1) | instskip(NEXT) | instid1(VALU_DEP_1)
	v_fmac_f32_e32 v5, v222, v4
	v_fma_f32 v1, -v1, v5, v220
	s_delay_alu instid0(VALU_DEP_1) | instskip(NEXT) | instid1(VALU_DEP_1)
	v_div_fmas_f32 v1, v1, v4, v5
	v_div_fixup_f32 v1, v1, v221, 1.0
                                        ; implicit-def: $vgpr220_vgpr221
	s_delay_alu instid0(VALU_DEP_1)
	v_mul_f32_e32 v222, v0, v1
	v_xor_b32_e32 v223, 0x80000000, v1
.LBB81_248:
	s_and_not1_saveexec_b32 s1, s1
	s_cbranch_execz .LBB81_250
; %bb.249:
	v_div_scale_f32 v0, null, v220, v220, v221
	v_div_scale_f32 v5, vcc_lo, v221, v220, v221
	s_delay_alu instid0(VALU_DEP_2) | instskip(SKIP_1) | instid1(TRANS32_DEP_1)
	v_rcp_f32_e32 v1, v0
	v_nop
	v_fma_f32 v4, -v0, v1, 1.0
	s_delay_alu instid0(VALU_DEP_1) | instskip(NEXT) | instid1(VALU_DEP_1)
	v_fmac_f32_e32 v1, v4, v1
	v_mul_f32_e32 v4, v5, v1
	s_delay_alu instid0(VALU_DEP_1) | instskip(NEXT) | instid1(VALU_DEP_1)
	v_fma_f32 v222, -v0, v4, v5
	v_fmac_f32_e32 v4, v222, v1
	s_delay_alu instid0(VALU_DEP_1) | instskip(NEXT) | instid1(VALU_DEP_1)
	v_fma_f32 v0, -v0, v4, v5
	v_div_fmas_f32 v0, v0, v1, v4
	s_delay_alu instid0(VALU_DEP_1) | instskip(NEXT) | instid1(VALU_DEP_1)
	v_div_fixup_f32 v0, v0, v220, v221
	v_fmac_f32_e32 v220, v221, v0
	s_delay_alu instid0(VALU_DEP_1) | instskip(NEXT) | instid1(VALU_DEP_1)
	v_div_scale_f32 v1, null, v220, v220, 1.0
	v_rcp_f32_e32 v4, v1
	v_nop
	s_delay_alu instid0(TRANS32_DEP_1) | instskip(NEXT) | instid1(VALU_DEP_1)
	v_fma_f32 v5, -v1, v4, 1.0
	v_fmac_f32_e32 v4, v5, v4
	v_div_scale_f32 v5, vcc_lo, 1.0, v220, 1.0
	s_delay_alu instid0(VALU_DEP_1) | instskip(NEXT) | instid1(VALU_DEP_1)
	v_mul_f32_e32 v221, v5, v4
	v_fma_f32 v222, -v1, v221, v5
	s_delay_alu instid0(VALU_DEP_1) | instskip(NEXT) | instid1(VALU_DEP_1)
	v_fmac_f32_e32 v221, v222, v4
	v_fma_f32 v1, -v1, v221, v5
	s_delay_alu instid0(VALU_DEP_1) | instskip(NEXT) | instid1(VALU_DEP_1)
	v_div_fmas_f32 v1, v1, v4, v221
	v_div_fixup_f32 v222, v1, v220, 1.0
	s_delay_alu instid0(VALU_DEP_1)
	v_mul_f32_e64 v223, v0, -v222
.LBB81_250:
	s_or_b32 exec_lo, exec_lo, s1
	ds_store_b64 v249, v[222:223]
.LBB81_251:
	s_or_b32 exec_lo, exec_lo, s2
	s_wait_dscnt 0x0
	s_barrier_signal -1
	s_barrier_wait -1
	ds_load_b64 v[220:221], v249
	s_mov_b32 s1, exec_lo
	v_cmpx_lt_u32_e32 27, v248
	s_cbranch_execz .LBB81_253
; %bb.252:
	ds_load_2addr_b64 v[226:229], v250 offset0:28 offset1:29
	s_wait_dscnt 0x1
	v_pk_mul_f32 v[0:1], v[220:221], v[96:97] op_sel:[1,1] op_sel_hi:[0,1]
	s_delay_alu instid0(VALU_DEP_1) | instskip(SKIP_1) | instid1(VALU_DEP_1)
	v_pk_fma_f32 v[224:225], v[220:221], v[96:97], v[0:1] op_sel_hi:[1,0,1]
	v_pk_fma_f32 v[222:223], v[220:221], v[96:97], v[0:1] op_sel_hi:[1,0,1] neg_lo:[0,0,1] neg_hi:[0,0,1]
	v_dual_mov_b32 v97, v225 :: v_dual_mov_b32 v96, v222
	s_wait_dscnt 0x0
	s_delay_alu instid0(VALU_DEP_3) | instskip(NEXT) | instid1(VALU_DEP_1)
	v_pk_mul_f32 v[0:1], v[226:227], v[224:225] op_sel:[0,1]
	v_pk_fma_f32 v[230:231], v[226:227], v[222:223], v[0:1] op_sel:[0,0,1] op_sel_hi:[1,1,0] neg_lo:[0,0,1] neg_hi:[0,0,1]
	v_pk_fma_f32 v[0:1], v[226:227], v[222:223], v[0:1] op_sel:[0,0,1] op_sel_hi:[1,0,0]
	s_delay_alu instid0(VALU_DEP_1) | instskip(SKIP_1) | instid1(VALU_DEP_1)
	v_mov_b32_e32 v231, v1
	v_pk_mul_f32 v[0:1], v[228:229], v[224:225] op_sel:[0,1]
	v_pk_fma_f32 v[226:227], v[228:229], v[222:223], v[0:1] op_sel:[0,0,1] op_sel_hi:[1,1,0] neg_lo:[0,0,1] neg_hi:[0,0,1]
	v_pk_fma_f32 v[0:1], v[228:229], v[222:223], v[0:1] op_sel:[0,0,1] op_sel_hi:[1,0,0]
	s_delay_alu instid0(VALU_DEP_1) | instskip(SKIP_1) | instid1(VALU_DEP_2)
	v_mov_b32_e32 v227, v1
	v_pk_add_f32 v[132:133], v[132:133], v[230:231] neg_lo:[0,1] neg_hi:[0,1]
	v_pk_add_f32 v[128:129], v[128:129], v[226:227] neg_lo:[0,1] neg_hi:[0,1]
	ds_load_2addr_b64 v[226:229], v250 offset0:30 offset1:31
	s_wait_dscnt 0x0
	v_pk_mul_f32 v[0:1], v[226:227], v[224:225] op_sel:[0,1]
	s_delay_alu instid0(VALU_DEP_1) | instskip(SKIP_2) | instid1(VALU_DEP_2)
	v_pk_fma_f32 v[230:231], v[226:227], v[222:223], v[0:1] op_sel:[0,0,1] op_sel_hi:[1,1,0] neg_lo:[0,0,1] neg_hi:[0,0,1]
	v_pk_fma_f32 v[0:1], v[226:227], v[222:223], v[0:1] op_sel:[0,0,1] op_sel_hi:[1,0,0]
	v_dual_mul_f32 v226, v229, v225 :: v_dual_mov_b32 v0, v229
	v_dual_mov_b32 v231, v1 :: v_dual_mov_b32 v1, v228
	s_delay_alu instid0(VALU_DEP_2) | instskip(SKIP_1) | instid1(VALU_DEP_3)
	v_pk_fma_f32 v[226:227], v[228:229], v[96:97], v[226:227] op_sel_hi:[1,1,0] neg_lo:[0,0,1] neg_hi:[0,0,1]
	v_mul_f32_e32 v228, v229, v222
	v_pk_add_f32 v[130:131], v[130:131], v[230:231] neg_lo:[0,1] neg_hi:[0,1]
	s_delay_alu instid0(VALU_DEP_2) | instskip(NEXT) | instid1(VALU_DEP_1)
	v_pk_fma_f32 v[0:1], v[0:1], v[96:97], v[228:229] op_sel_hi:[1,1,0]
	v_mov_b32_e32 v227, v1
	s_delay_alu instid0(VALU_DEP_1) | instskip(SKIP_3) | instid1(VALU_DEP_1)
	v_pk_add_f32 v[126:127], v[126:127], v[226:227] neg_lo:[0,1] neg_hi:[0,1]
	ds_load_2addr_b64 v[226:229], v250 offset0:32 offset1:33
	s_wait_dscnt 0x0
	v_pk_mul_f32 v[0:1], v[226:227], v[224:225] op_sel:[0,1]
	v_pk_fma_f32 v[230:231], v[226:227], v[222:223], v[0:1] op_sel:[0,0,1] op_sel_hi:[1,1,0] neg_lo:[0,0,1] neg_hi:[0,0,1]
	v_pk_fma_f32 v[0:1], v[226:227], v[222:223], v[0:1] op_sel:[0,0,1] op_sel_hi:[1,0,0]
	s_delay_alu instid0(VALU_DEP_1) | instskip(SKIP_1) | instid1(VALU_DEP_2)
	v_mov_b32_e32 v231, v1
	v_pk_mul_f32 v[0:1], v[228:229], v[224:225] op_sel:[0,1]
	v_pk_add_f32 v[160:161], v[160:161], v[230:231] neg_lo:[0,1] neg_hi:[0,1]
	s_delay_alu instid0(VALU_DEP_2) | instskip(SKIP_1) | instid1(VALU_DEP_1)
	v_pk_fma_f32 v[226:227], v[228:229], v[222:223], v[0:1] op_sel:[0,0,1] op_sel_hi:[1,1,0] neg_lo:[0,0,1] neg_hi:[0,0,1]
	v_pk_fma_f32 v[0:1], v[228:229], v[222:223], v[0:1] op_sel:[0,0,1] op_sel_hi:[1,0,0]
	v_mov_b32_e32 v227, v1
	s_delay_alu instid0(VALU_DEP_1) | instskip(SKIP_3) | instid1(VALU_DEP_1)
	v_pk_add_f32 v[152:153], v[152:153], v[226:227] neg_lo:[0,1] neg_hi:[0,1]
	ds_load_2addr_b64 v[226:229], v250 offset0:34 offset1:35
	s_wait_dscnt 0x0
	v_pk_mul_f32 v[0:1], v[226:227], v[224:225] op_sel:[0,1]
	v_pk_fma_f32 v[230:231], v[226:227], v[222:223], v[0:1] op_sel:[0,0,1] op_sel_hi:[1,1,0] neg_lo:[0,0,1] neg_hi:[0,0,1]
	v_pk_fma_f32 v[0:1], v[226:227], v[222:223], v[0:1] op_sel:[0,0,1] op_sel_hi:[1,0,0]
	s_delay_alu instid0(VALU_DEP_1) | instskip(SKIP_1) | instid1(VALU_DEP_2)
	v_mov_b32_e32 v231, v1
	v_pk_mul_f32 v[0:1], v[228:229], v[224:225] op_sel:[0,1]
	v_pk_add_f32 v[158:159], v[158:159], v[230:231] neg_lo:[0,1] neg_hi:[0,1]
	s_delay_alu instid0(VALU_DEP_2) | instskip(SKIP_1) | instid1(VALU_DEP_1)
	v_pk_fma_f32 v[226:227], v[228:229], v[222:223], v[0:1] op_sel:[0,0,1] op_sel_hi:[1,1,0] neg_lo:[0,0,1] neg_hi:[0,0,1]
	v_pk_fma_f32 v[0:1], v[228:229], v[222:223], v[0:1] op_sel:[0,0,1] op_sel_hi:[1,0,0]
	v_mov_b32_e32 v227, v1
	s_delay_alu instid0(VALU_DEP_1) | instskip(SKIP_3) | instid1(VALU_DEP_1)
	v_pk_add_f32 v[150:151], v[150:151], v[226:227] neg_lo:[0,1] neg_hi:[0,1]
	ds_load_2addr_b64 v[226:229], v250 offset0:36 offset1:37
	s_wait_dscnt 0x0
	v_dual_mul_f32 v0, v227, v225 :: v_dual_mul_f32 v230, v227, v222
	v_pk_fma_f32 v[0:1], v[226:227], v[96:97], v[0:1] op_sel_hi:[1,1,0] neg_lo:[0,0,1] neg_hi:[0,0,1]
	s_delay_alu instid0(VALU_DEP_2) | instskip(NEXT) | instid1(VALU_DEP_1)
	v_pk_fma_f32 v[226:227], v[226:227], v[96:97], v[230:231] op_sel:[1,0,0] op_sel_hi:[0,1,0]
	v_mov_b32_e32 v1, v227
	s_delay_alu instid0(VALU_DEP_1) | instskip(SKIP_1) | instid1(VALU_DEP_1)
	v_pk_add_f32 v[156:157], v[156:157], v[0:1] neg_lo:[0,1] neg_hi:[0,1]
	v_pk_mul_f32 v[0:1], v[228:229], v[224:225] op_sel:[0,1]
	v_pk_fma_f32 v[226:227], v[228:229], v[222:223], v[0:1] op_sel:[0,0,1] op_sel_hi:[1,1,0] neg_lo:[0,0,1] neg_hi:[0,0,1]
	v_pk_fma_f32 v[0:1], v[228:229], v[222:223], v[0:1] op_sel:[0,0,1] op_sel_hi:[1,0,0]
	s_delay_alu instid0(VALU_DEP_1) | instskip(NEXT) | instid1(VALU_DEP_1)
	v_mov_b32_e32 v227, v1
	v_pk_add_f32 v[148:149], v[148:149], v[226:227] neg_lo:[0,1] neg_hi:[0,1]
	ds_load_2addr_b64 v[226:229], v250 offset0:38 offset1:39
	s_wait_dscnt 0x0
	v_pk_mul_f32 v[0:1], v[226:227], v[224:225] op_sel:[0,1]
	s_delay_alu instid0(VALU_DEP_1) | instskip(SKIP_1) | instid1(VALU_DEP_1)
	v_pk_fma_f32 v[230:231], v[226:227], v[222:223], v[0:1] op_sel:[0,0,1] op_sel_hi:[1,1,0] neg_lo:[0,0,1] neg_hi:[0,0,1]
	v_pk_fma_f32 v[0:1], v[226:227], v[222:223], v[0:1] op_sel:[0,0,1] op_sel_hi:[1,0,0]
	v_mov_b32_e32 v231, v1
	v_pk_mul_f32 v[0:1], v[228:229], v[224:225] op_sel:[0,1]
	s_delay_alu instid0(VALU_DEP_2) | instskip(NEXT) | instid1(VALU_DEP_2)
	v_pk_add_f32 v[154:155], v[154:155], v[230:231] neg_lo:[0,1] neg_hi:[0,1]
	v_pk_fma_f32 v[226:227], v[228:229], v[222:223], v[0:1] op_sel:[0,0,1] op_sel_hi:[1,1,0] neg_lo:[0,0,1] neg_hi:[0,0,1]
	v_pk_fma_f32 v[0:1], v[228:229], v[222:223], v[0:1] op_sel:[0,0,1] op_sel_hi:[1,0,0]
	s_delay_alu instid0(VALU_DEP_1) | instskip(SKIP_4) | instid1(VALU_DEP_1)
	v_mov_b32_e32 v227, v1
	ds_load_b64 v[0:1], v250 offset:320
	v_pk_add_f32 v[162:163], v[162:163], v[226:227] neg_lo:[0,1] neg_hi:[0,1]
	s_wait_dscnt 0x0
	v_pk_mul_f32 v[224:225], v[0:1], v[224:225] op_sel:[0,1]
	v_pk_fma_f32 v[226:227], v[0:1], v[222:223], v[224:225] op_sel:[0,0,1] op_sel_hi:[1,1,0] neg_lo:[0,0,1] neg_hi:[0,0,1]
	v_pk_fma_f32 v[0:1], v[0:1], v[222:223], v[224:225] op_sel:[0,0,1] op_sel_hi:[1,0,0]
	s_delay_alu instid0(VALU_DEP_1) | instskip(NEXT) | instid1(VALU_DEP_1)
	v_mov_b32_e32 v227, v1
	v_pk_add_f32 v[164:165], v[164:165], v[226:227] neg_lo:[0,1] neg_hi:[0,1]
.LBB81_253:
	s_or_b32 exec_lo, exec_lo, s1
	s_delay_alu instid0(SALU_CYCLE_1)
	s_mov_b32 s2, exec_lo
	s_wait_dscnt 0x0
	s_barrier_signal -1
	s_barrier_wait -1
	v_cmpx_eq_u32_e32 28, v248
	s_cbranch_execz .LBB81_260
; %bb.254:
	ds_store_b64 v249, v[132:133]
	ds_store_2addr_b64 v250, v[128:129], v[130:131] offset0:29 offset1:30
	ds_store_2addr_b64 v250, v[126:127], v[160:161] offset0:31 offset1:32
	;; [unrolled: 1-line block ×6, first 2 shown]
	ds_load_b64 v[222:223], v249
	s_wait_dscnt 0x0
	v_cmp_neq_f32_e32 vcc_lo, 0, v222
	v_cmp_neq_f32_e64 s1, 0, v223
	s_or_b32 s1, vcc_lo, s1
	s_delay_alu instid0(SALU_CYCLE_1)
	s_and_b32 exec_lo, exec_lo, s1
	s_cbranch_execz .LBB81_260
; %bb.255:
	v_cmp_ngt_f32_e64 s1, |v222|, |v223|
                                        ; implicit-def: $vgpr224_vgpr225
	s_and_saveexec_b32 s4, s1
	s_delay_alu instid0(SALU_CYCLE_1)
	s_xor_b32 s1, exec_lo, s4
	s_cbranch_execz .LBB81_257
; %bb.256:
	v_div_scale_f32 v0, null, v223, v223, v222
	v_div_scale_f32 v5, vcc_lo, v222, v223, v222
	s_delay_alu instid0(VALU_DEP_2) | instskip(SKIP_1) | instid1(TRANS32_DEP_1)
	v_rcp_f32_e32 v1, v0
	v_nop
	v_fma_f32 v4, -v0, v1, 1.0
	s_delay_alu instid0(VALU_DEP_1) | instskip(NEXT) | instid1(VALU_DEP_1)
	v_fmac_f32_e32 v1, v4, v1
	v_mul_f32_e32 v4, v5, v1
	s_delay_alu instid0(VALU_DEP_1) | instskip(NEXT) | instid1(VALU_DEP_1)
	v_fma_f32 v224, -v0, v4, v5
	v_fmac_f32_e32 v4, v224, v1
	s_delay_alu instid0(VALU_DEP_1) | instskip(NEXT) | instid1(VALU_DEP_1)
	v_fma_f32 v0, -v0, v4, v5
	v_div_fmas_f32 v0, v0, v1, v4
	s_delay_alu instid0(VALU_DEP_1) | instskip(NEXT) | instid1(VALU_DEP_1)
	v_div_fixup_f32 v0, v0, v223, v222
	v_fmac_f32_e32 v223, v222, v0
	s_delay_alu instid0(VALU_DEP_1) | instskip(SKIP_1) | instid1(VALU_DEP_2)
	v_div_scale_f32 v1, null, v223, v223, 1.0
	v_div_scale_f32 v222, vcc_lo, 1.0, v223, 1.0
	v_rcp_f32_e32 v4, v1
	v_nop
	s_delay_alu instid0(TRANS32_DEP_1) | instskip(NEXT) | instid1(VALU_DEP_1)
	v_fma_f32 v5, -v1, v4, 1.0
	v_fmac_f32_e32 v4, v5, v4
	s_delay_alu instid0(VALU_DEP_1) | instskip(NEXT) | instid1(VALU_DEP_1)
	v_mul_f32_e32 v5, v222, v4
	v_fma_f32 v224, -v1, v5, v222
	s_delay_alu instid0(VALU_DEP_1) | instskip(NEXT) | instid1(VALU_DEP_1)
	v_fmac_f32_e32 v5, v224, v4
	v_fma_f32 v1, -v1, v5, v222
	s_delay_alu instid0(VALU_DEP_1) | instskip(NEXT) | instid1(VALU_DEP_1)
	v_div_fmas_f32 v1, v1, v4, v5
	v_div_fixup_f32 v1, v1, v223, 1.0
                                        ; implicit-def: $vgpr222_vgpr223
	s_delay_alu instid0(VALU_DEP_1)
	v_mul_f32_e32 v224, v0, v1
	v_xor_b32_e32 v225, 0x80000000, v1
.LBB81_257:
	s_and_not1_saveexec_b32 s1, s1
	s_cbranch_execz .LBB81_259
; %bb.258:
	v_div_scale_f32 v0, null, v222, v222, v223
	v_div_scale_f32 v5, vcc_lo, v223, v222, v223
	s_delay_alu instid0(VALU_DEP_2) | instskip(SKIP_1) | instid1(TRANS32_DEP_1)
	v_rcp_f32_e32 v1, v0
	v_nop
	v_fma_f32 v4, -v0, v1, 1.0
	s_delay_alu instid0(VALU_DEP_1) | instskip(NEXT) | instid1(VALU_DEP_1)
	v_fmac_f32_e32 v1, v4, v1
	v_mul_f32_e32 v4, v5, v1
	s_delay_alu instid0(VALU_DEP_1) | instskip(NEXT) | instid1(VALU_DEP_1)
	v_fma_f32 v224, -v0, v4, v5
	v_fmac_f32_e32 v4, v224, v1
	s_delay_alu instid0(VALU_DEP_1) | instskip(NEXT) | instid1(VALU_DEP_1)
	v_fma_f32 v0, -v0, v4, v5
	v_div_fmas_f32 v0, v0, v1, v4
	s_delay_alu instid0(VALU_DEP_1) | instskip(NEXT) | instid1(VALU_DEP_1)
	v_div_fixup_f32 v0, v0, v222, v223
	v_fmac_f32_e32 v222, v223, v0
	s_delay_alu instid0(VALU_DEP_1) | instskip(NEXT) | instid1(VALU_DEP_1)
	v_div_scale_f32 v1, null, v222, v222, 1.0
	v_rcp_f32_e32 v4, v1
	v_nop
	s_delay_alu instid0(TRANS32_DEP_1) | instskip(NEXT) | instid1(VALU_DEP_1)
	v_fma_f32 v5, -v1, v4, 1.0
	v_fmac_f32_e32 v4, v5, v4
	v_div_scale_f32 v5, vcc_lo, 1.0, v222, 1.0
	s_delay_alu instid0(VALU_DEP_1) | instskip(NEXT) | instid1(VALU_DEP_1)
	v_mul_f32_e32 v223, v5, v4
	v_fma_f32 v224, -v1, v223, v5
	s_delay_alu instid0(VALU_DEP_1) | instskip(NEXT) | instid1(VALU_DEP_1)
	v_fmac_f32_e32 v223, v224, v4
	v_fma_f32 v1, -v1, v223, v5
	s_delay_alu instid0(VALU_DEP_1) | instskip(NEXT) | instid1(VALU_DEP_1)
	v_div_fmas_f32 v1, v1, v4, v223
	v_div_fixup_f32 v224, v1, v222, 1.0
	s_delay_alu instid0(VALU_DEP_1)
	v_mul_f32_e64 v225, v0, -v224
.LBB81_259:
	s_or_b32 exec_lo, exec_lo, s1
	ds_store_b64 v249, v[224:225]
.LBB81_260:
	s_or_b32 exec_lo, exec_lo, s2
	s_wait_dscnt 0x0
	s_barrier_signal -1
	s_barrier_wait -1
	ds_load_b64 v[222:223], v249
	s_mov_b32 s1, exec_lo
	v_cmpx_lt_u32_e32 28, v248
	s_cbranch_execz .LBB81_262
; %bb.261:
	ds_load_2addr_b64 v[228:231], v250 offset0:29 offset1:30
	s_wait_dscnt 0x1
	v_pk_mul_f32 v[0:1], v[222:223], v[132:133] op_sel:[1,1] op_sel_hi:[0,1]
	s_delay_alu instid0(VALU_DEP_1) | instskip(SKIP_1) | instid1(VALU_DEP_1)
	v_pk_fma_f32 v[226:227], v[222:223], v[132:133], v[0:1] op_sel_hi:[1,0,1]
	v_pk_fma_f32 v[224:225], v[222:223], v[132:133], v[0:1] op_sel_hi:[1,0,1] neg_lo:[0,0,1] neg_hi:[0,0,1]
	v_dual_mov_b32 v133, v227 :: v_dual_mov_b32 v132, v224
	s_wait_dscnt 0x0
	s_delay_alu instid0(VALU_DEP_3) | instskip(NEXT) | instid1(VALU_DEP_1)
	v_pk_mul_f32 v[0:1], v[228:229], v[226:227] op_sel:[0,1]
	v_pk_fma_f32 v[232:233], v[228:229], v[224:225], v[0:1] op_sel:[0,0,1] op_sel_hi:[1,1,0] neg_lo:[0,0,1] neg_hi:[0,0,1]
	v_pk_fma_f32 v[0:1], v[228:229], v[224:225], v[0:1] op_sel:[0,0,1] op_sel_hi:[1,0,0]
	s_delay_alu instid0(VALU_DEP_1) | instskip(SKIP_1) | instid1(VALU_DEP_1)
	v_mov_b32_e32 v233, v1
	v_pk_mul_f32 v[0:1], v[230:231], v[226:227] op_sel:[0,1]
	v_pk_fma_f32 v[228:229], v[230:231], v[224:225], v[0:1] op_sel:[0,0,1] op_sel_hi:[1,1,0] neg_lo:[0,0,1] neg_hi:[0,0,1]
	v_pk_fma_f32 v[0:1], v[230:231], v[224:225], v[0:1] op_sel:[0,0,1] op_sel_hi:[1,0,0]
	s_delay_alu instid0(VALU_DEP_1) | instskip(SKIP_1) | instid1(VALU_DEP_2)
	v_mov_b32_e32 v229, v1
	v_pk_add_f32 v[128:129], v[128:129], v[232:233] neg_lo:[0,1] neg_hi:[0,1]
	v_pk_add_f32 v[130:131], v[130:131], v[228:229] neg_lo:[0,1] neg_hi:[0,1]
	ds_load_2addr_b64 v[228:231], v250 offset0:31 offset1:32
	s_wait_dscnt 0x0
	v_pk_mul_f32 v[0:1], v[228:229], v[226:227] op_sel:[0,1]
	s_delay_alu instid0(VALU_DEP_1) | instskip(SKIP_2) | instid1(VALU_DEP_2)
	v_pk_fma_f32 v[232:233], v[228:229], v[224:225], v[0:1] op_sel:[0,0,1] op_sel_hi:[1,1,0] neg_lo:[0,0,1] neg_hi:[0,0,1]
	v_pk_fma_f32 v[0:1], v[228:229], v[224:225], v[0:1] op_sel:[0,0,1] op_sel_hi:[1,0,0]
	v_dual_mul_f32 v228, v231, v227 :: v_dual_mov_b32 v0, v231
	v_dual_mov_b32 v233, v1 :: v_dual_mov_b32 v1, v230
	s_delay_alu instid0(VALU_DEP_2) | instskip(SKIP_1) | instid1(VALU_DEP_3)
	v_pk_fma_f32 v[228:229], v[230:231], v[132:133], v[228:229] op_sel_hi:[1,1,0] neg_lo:[0,0,1] neg_hi:[0,0,1]
	v_mul_f32_e32 v230, v231, v224
	v_pk_add_f32 v[126:127], v[126:127], v[232:233] neg_lo:[0,1] neg_hi:[0,1]
	s_delay_alu instid0(VALU_DEP_2) | instskip(NEXT) | instid1(VALU_DEP_1)
	v_pk_fma_f32 v[0:1], v[0:1], v[132:133], v[230:231] op_sel_hi:[1,1,0]
	v_mov_b32_e32 v229, v1
	s_delay_alu instid0(VALU_DEP_1) | instskip(SKIP_3) | instid1(VALU_DEP_1)
	v_pk_add_f32 v[160:161], v[160:161], v[228:229] neg_lo:[0,1] neg_hi:[0,1]
	ds_load_2addr_b64 v[228:231], v250 offset0:33 offset1:34
	s_wait_dscnt 0x0
	v_pk_mul_f32 v[0:1], v[228:229], v[226:227] op_sel:[0,1]
	v_pk_fma_f32 v[232:233], v[228:229], v[224:225], v[0:1] op_sel:[0,0,1] op_sel_hi:[1,1,0] neg_lo:[0,0,1] neg_hi:[0,0,1]
	v_pk_fma_f32 v[0:1], v[228:229], v[224:225], v[0:1] op_sel:[0,0,1] op_sel_hi:[1,0,0]
	s_delay_alu instid0(VALU_DEP_1) | instskip(SKIP_1) | instid1(VALU_DEP_1)
	v_mov_b32_e32 v233, v1
	v_pk_mul_f32 v[0:1], v[230:231], v[226:227] op_sel:[0,1]
	v_pk_fma_f32 v[228:229], v[230:231], v[224:225], v[0:1] op_sel:[0,0,1] op_sel_hi:[1,1,0] neg_lo:[0,0,1] neg_hi:[0,0,1]
	v_pk_fma_f32 v[0:1], v[230:231], v[224:225], v[0:1] op_sel:[0,0,1] op_sel_hi:[1,0,0]
	s_delay_alu instid0(VALU_DEP_1) | instskip(SKIP_1) | instid1(VALU_DEP_2)
	v_mov_b32_e32 v229, v1
	v_pk_add_f32 v[152:153], v[152:153], v[232:233] neg_lo:[0,1] neg_hi:[0,1]
	v_pk_add_f32 v[158:159], v[158:159], v[228:229] neg_lo:[0,1] neg_hi:[0,1]
	ds_load_2addr_b64 v[228:231], v250 offset0:35 offset1:36
	s_wait_dscnt 0x0
	v_pk_mul_f32 v[0:1], v[228:229], v[226:227] op_sel:[0,1]
	s_delay_alu instid0(VALU_DEP_1) | instskip(SKIP_1) | instid1(VALU_DEP_1)
	v_pk_fma_f32 v[232:233], v[228:229], v[224:225], v[0:1] op_sel:[0,0,1] op_sel_hi:[1,1,0] neg_lo:[0,0,1] neg_hi:[0,0,1]
	v_pk_fma_f32 v[0:1], v[228:229], v[224:225], v[0:1] op_sel:[0,0,1] op_sel_hi:[1,0,0]
	v_mov_b32_e32 v233, v1
	v_pk_mul_f32 v[0:1], v[230:231], v[226:227] op_sel:[0,1]
	s_delay_alu instid0(VALU_DEP_1) | instskip(SKIP_1) | instid1(VALU_DEP_1)
	v_pk_fma_f32 v[228:229], v[230:231], v[224:225], v[0:1] op_sel:[0,0,1] op_sel_hi:[1,1,0] neg_lo:[0,0,1] neg_hi:[0,0,1]
	v_pk_fma_f32 v[0:1], v[230:231], v[224:225], v[0:1] op_sel:[0,0,1] op_sel_hi:[1,0,0]
	v_mov_b32_e32 v229, v1
	v_pk_add_f32 v[150:151], v[150:151], v[232:233] neg_lo:[0,1] neg_hi:[0,1]
	s_delay_alu instid0(VALU_DEP_2) | instskip(SKIP_3) | instid1(VALU_DEP_1)
	v_pk_add_f32 v[156:157], v[156:157], v[228:229] neg_lo:[0,1] neg_hi:[0,1]
	ds_load_2addr_b64 v[228:231], v250 offset0:37 offset1:38
	s_wait_dscnt 0x0
	v_dual_mul_f32 v0, v229, v227 :: v_dual_mul_f32 v232, v229, v224
	v_pk_fma_f32 v[0:1], v[228:229], v[132:133], v[0:1] op_sel_hi:[1,1,0] neg_lo:[0,0,1] neg_hi:[0,0,1]
	s_delay_alu instid0(VALU_DEP_2) | instskip(NEXT) | instid1(VALU_DEP_1)
	v_pk_fma_f32 v[228:229], v[228:229], v[132:133], v[232:233] op_sel:[1,0,0] op_sel_hi:[0,1,0]
	v_mov_b32_e32 v1, v229
	s_delay_alu instid0(VALU_DEP_1) | instskip(SKIP_1) | instid1(VALU_DEP_1)
	v_pk_add_f32 v[148:149], v[148:149], v[0:1] neg_lo:[0,1] neg_hi:[0,1]
	v_pk_mul_f32 v[0:1], v[230:231], v[226:227] op_sel:[0,1]
	v_pk_fma_f32 v[228:229], v[230:231], v[224:225], v[0:1] op_sel:[0,0,1] op_sel_hi:[1,1,0] neg_lo:[0,0,1] neg_hi:[0,0,1]
	v_pk_fma_f32 v[0:1], v[230:231], v[224:225], v[0:1] op_sel:[0,0,1] op_sel_hi:[1,0,0]
	s_delay_alu instid0(VALU_DEP_1) | instskip(NEXT) | instid1(VALU_DEP_1)
	v_mov_b32_e32 v229, v1
	v_pk_add_f32 v[154:155], v[154:155], v[228:229] neg_lo:[0,1] neg_hi:[0,1]
	ds_load_2addr_b64 v[228:231], v250 offset0:39 offset1:40
	s_wait_dscnt 0x0
	v_pk_mul_f32 v[0:1], v[228:229], v[226:227] op_sel:[0,1]
	v_mul_f32_e32 v226, v231, v227
	s_delay_alu instid0(VALU_DEP_2) | instskip(SKIP_2) | instid1(VALU_DEP_4)
	v_pk_fma_f32 v[232:233], v[228:229], v[224:225], v[0:1] op_sel:[0,0,1] op_sel_hi:[1,1,0] neg_lo:[0,0,1] neg_hi:[0,0,1]
	v_pk_fma_f32 v[0:1], v[228:229], v[224:225], v[0:1] op_sel:[0,0,1] op_sel_hi:[1,0,0]
	v_dual_mov_b32 v0, v231 :: v_dual_mul_f32 v224, v231, v224
	v_pk_fma_f32 v[226:227], v[230:231], v[132:133], v[226:227] op_sel_hi:[1,1,0] neg_lo:[0,0,1] neg_hi:[0,0,1]
	s_delay_alu instid0(VALU_DEP_3) | instskip(NEXT) | instid1(VALU_DEP_1)
	v_dual_mov_b32 v233, v1 :: v_dual_mov_b32 v1, v230
	v_pk_add_f32 v[162:163], v[162:163], v[232:233] neg_lo:[0,1] neg_hi:[0,1]
	s_delay_alu instid0(VALU_DEP_2) | instskip(NEXT) | instid1(VALU_DEP_1)
	v_pk_fma_f32 v[0:1], v[0:1], v[132:133], v[224:225] op_sel_hi:[1,1,0]
	v_mov_b32_e32 v227, v1
	s_delay_alu instid0(VALU_DEP_1)
	v_pk_add_f32 v[164:165], v[164:165], v[226:227] neg_lo:[0,1] neg_hi:[0,1]
.LBB81_262:
	s_or_b32 exec_lo, exec_lo, s1
	s_delay_alu instid0(SALU_CYCLE_1)
	s_mov_b32 s2, exec_lo
	s_wait_dscnt 0x0
	s_barrier_signal -1
	s_barrier_wait -1
	v_cmpx_eq_u32_e32 29, v248
	s_cbranch_execz .LBB81_269
; %bb.263:
	v_dual_mov_b32 v0, v130 :: v_dual_mov_b32 v1, v131
	v_dual_mov_b32 v224, v126 :: v_dual_mov_b32 v225, v127
	;; [unrolled: 1-line block ×10, first 2 shown]
	ds_store_b64 v249, v[128:129]
	ds_store_2addr_b64 v250, v[0:1], v[224:225] offset0:30 offset1:31
	ds_store_2addr_b64 v250, v[226:227], v[228:229] offset0:32 offset1:33
	;; [unrolled: 1-line block ×5, first 2 shown]
	ds_store_b64 v250, v[164:165] offset:320
	ds_load_b64 v[224:225], v249
	s_wait_dscnt 0x0
	v_cmp_neq_f32_e32 vcc_lo, 0, v224
	v_cmp_neq_f32_e64 s1, 0, v225
	s_or_b32 s1, vcc_lo, s1
	s_delay_alu instid0(SALU_CYCLE_1)
	s_and_b32 exec_lo, exec_lo, s1
	s_cbranch_execz .LBB81_269
; %bb.264:
	v_cmp_ngt_f32_e64 s1, |v224|, |v225|
                                        ; implicit-def: $vgpr226_vgpr227
	s_and_saveexec_b32 s4, s1
	s_delay_alu instid0(SALU_CYCLE_1)
	s_xor_b32 s1, exec_lo, s4
	s_cbranch_execz .LBB81_266
; %bb.265:
	v_div_scale_f32 v0, null, v225, v225, v224
	v_div_scale_f32 v5, vcc_lo, v224, v225, v224
	s_delay_alu instid0(VALU_DEP_2) | instskip(SKIP_1) | instid1(TRANS32_DEP_1)
	v_rcp_f32_e32 v1, v0
	v_nop
	v_fma_f32 v4, -v0, v1, 1.0
	s_delay_alu instid0(VALU_DEP_1) | instskip(NEXT) | instid1(VALU_DEP_1)
	v_fmac_f32_e32 v1, v4, v1
	v_mul_f32_e32 v4, v5, v1
	s_delay_alu instid0(VALU_DEP_1) | instskip(NEXT) | instid1(VALU_DEP_1)
	v_fma_f32 v226, -v0, v4, v5
	v_fmac_f32_e32 v4, v226, v1
	s_delay_alu instid0(VALU_DEP_1) | instskip(NEXT) | instid1(VALU_DEP_1)
	v_fma_f32 v0, -v0, v4, v5
	v_div_fmas_f32 v0, v0, v1, v4
	s_delay_alu instid0(VALU_DEP_1) | instskip(NEXT) | instid1(VALU_DEP_1)
	v_div_fixup_f32 v0, v0, v225, v224
	v_fmac_f32_e32 v225, v224, v0
	s_delay_alu instid0(VALU_DEP_1) | instskip(SKIP_1) | instid1(VALU_DEP_2)
	v_div_scale_f32 v1, null, v225, v225, 1.0
	v_div_scale_f32 v224, vcc_lo, 1.0, v225, 1.0
	v_rcp_f32_e32 v4, v1
	v_nop
	s_delay_alu instid0(TRANS32_DEP_1) | instskip(NEXT) | instid1(VALU_DEP_1)
	v_fma_f32 v5, -v1, v4, 1.0
	v_fmac_f32_e32 v4, v5, v4
	s_delay_alu instid0(VALU_DEP_1) | instskip(NEXT) | instid1(VALU_DEP_1)
	v_mul_f32_e32 v5, v224, v4
	v_fma_f32 v226, -v1, v5, v224
	s_delay_alu instid0(VALU_DEP_1) | instskip(NEXT) | instid1(VALU_DEP_1)
	v_fmac_f32_e32 v5, v226, v4
	v_fma_f32 v1, -v1, v5, v224
	s_delay_alu instid0(VALU_DEP_1) | instskip(NEXT) | instid1(VALU_DEP_1)
	v_div_fmas_f32 v1, v1, v4, v5
	v_div_fixup_f32 v1, v1, v225, 1.0
                                        ; implicit-def: $vgpr224_vgpr225
	s_delay_alu instid0(VALU_DEP_1)
	v_mul_f32_e32 v226, v0, v1
	v_xor_b32_e32 v227, 0x80000000, v1
.LBB81_266:
	s_and_not1_saveexec_b32 s1, s1
	s_cbranch_execz .LBB81_268
; %bb.267:
	v_div_scale_f32 v0, null, v224, v224, v225
	v_div_scale_f32 v5, vcc_lo, v225, v224, v225
	s_delay_alu instid0(VALU_DEP_2) | instskip(SKIP_1) | instid1(TRANS32_DEP_1)
	v_rcp_f32_e32 v1, v0
	v_nop
	v_fma_f32 v4, -v0, v1, 1.0
	s_delay_alu instid0(VALU_DEP_1) | instskip(NEXT) | instid1(VALU_DEP_1)
	v_fmac_f32_e32 v1, v4, v1
	v_mul_f32_e32 v4, v5, v1
	s_delay_alu instid0(VALU_DEP_1) | instskip(NEXT) | instid1(VALU_DEP_1)
	v_fma_f32 v226, -v0, v4, v5
	v_fmac_f32_e32 v4, v226, v1
	s_delay_alu instid0(VALU_DEP_1) | instskip(NEXT) | instid1(VALU_DEP_1)
	v_fma_f32 v0, -v0, v4, v5
	v_div_fmas_f32 v0, v0, v1, v4
	s_delay_alu instid0(VALU_DEP_1) | instskip(NEXT) | instid1(VALU_DEP_1)
	v_div_fixup_f32 v0, v0, v224, v225
	v_fmac_f32_e32 v224, v225, v0
	s_delay_alu instid0(VALU_DEP_1) | instskip(NEXT) | instid1(VALU_DEP_1)
	v_div_scale_f32 v1, null, v224, v224, 1.0
	v_rcp_f32_e32 v4, v1
	v_nop
	s_delay_alu instid0(TRANS32_DEP_1) | instskip(NEXT) | instid1(VALU_DEP_1)
	v_fma_f32 v5, -v1, v4, 1.0
	v_fmac_f32_e32 v4, v5, v4
	v_div_scale_f32 v5, vcc_lo, 1.0, v224, 1.0
	s_delay_alu instid0(VALU_DEP_1) | instskip(NEXT) | instid1(VALU_DEP_1)
	v_mul_f32_e32 v225, v5, v4
	v_fma_f32 v226, -v1, v225, v5
	s_delay_alu instid0(VALU_DEP_1) | instskip(NEXT) | instid1(VALU_DEP_1)
	v_fmac_f32_e32 v225, v226, v4
	v_fma_f32 v1, -v1, v225, v5
	s_delay_alu instid0(VALU_DEP_1) | instskip(NEXT) | instid1(VALU_DEP_1)
	v_div_fmas_f32 v1, v1, v4, v225
	v_div_fixup_f32 v226, v1, v224, 1.0
	s_delay_alu instid0(VALU_DEP_1)
	v_mul_f32_e64 v227, v0, -v226
.LBB81_268:
	s_or_b32 exec_lo, exec_lo, s1
	ds_store_b64 v249, v[226:227]
.LBB81_269:
	s_or_b32 exec_lo, exec_lo, s2
	s_wait_dscnt 0x0
	s_barrier_signal -1
	s_barrier_wait -1
	ds_load_b64 v[224:225], v249
	s_mov_b32 s1, exec_lo
	v_cmpx_lt_u32_e32 29, v248
	s_cbranch_execz .LBB81_271
; %bb.270:
	ds_load_2addr_b64 v[230:233], v250 offset0:30 offset1:31
	s_wait_dscnt 0x1
	v_pk_mul_f32 v[0:1], v[224:225], v[128:129] op_sel:[1,1] op_sel_hi:[0,1]
	s_delay_alu instid0(VALU_DEP_1) | instskip(SKIP_1) | instid1(VALU_DEP_1)
	v_pk_fma_f32 v[228:229], v[224:225], v[128:129], v[0:1] op_sel_hi:[1,0,1]
	v_pk_fma_f32 v[226:227], v[224:225], v[128:129], v[0:1] op_sel_hi:[1,0,1] neg_lo:[0,0,1] neg_hi:[0,0,1]
	v_dual_mov_b32 v129, v229 :: v_dual_mov_b32 v128, v226
	s_wait_dscnt 0x0
	s_delay_alu instid0(VALU_DEP_3) | instskip(NEXT) | instid1(VALU_DEP_1)
	v_pk_mul_f32 v[0:1], v[230:231], v[228:229] op_sel:[0,1]
	v_pk_fma_f32 v[234:235], v[230:231], v[226:227], v[0:1] op_sel:[0,0,1] op_sel_hi:[1,1,0] neg_lo:[0,0,1] neg_hi:[0,0,1]
	v_pk_fma_f32 v[0:1], v[230:231], v[226:227], v[0:1] op_sel:[0,0,1] op_sel_hi:[1,0,0]
	s_delay_alu instid0(VALU_DEP_1) | instskip(SKIP_1) | instid1(VALU_DEP_1)
	v_mov_b32_e32 v235, v1
	v_pk_mul_f32 v[0:1], v[232:233], v[228:229] op_sel:[0,1]
	v_pk_fma_f32 v[230:231], v[232:233], v[226:227], v[0:1] op_sel:[0,0,1] op_sel_hi:[1,1,0] neg_lo:[0,0,1] neg_hi:[0,0,1]
	v_pk_fma_f32 v[0:1], v[232:233], v[226:227], v[0:1] op_sel:[0,0,1] op_sel_hi:[1,0,0]
	s_delay_alu instid0(VALU_DEP_1) | instskip(SKIP_1) | instid1(VALU_DEP_2)
	v_mov_b32_e32 v231, v1
	v_pk_add_f32 v[130:131], v[130:131], v[234:235] neg_lo:[0,1] neg_hi:[0,1]
	v_pk_add_f32 v[126:127], v[126:127], v[230:231] neg_lo:[0,1] neg_hi:[0,1]
	ds_load_2addr_b64 v[230:233], v250 offset0:32 offset1:33
	s_wait_dscnt 0x0
	v_pk_mul_f32 v[0:1], v[230:231], v[228:229] op_sel:[0,1]
	s_delay_alu instid0(VALU_DEP_1) | instskip(SKIP_2) | instid1(VALU_DEP_2)
	v_pk_fma_f32 v[234:235], v[230:231], v[226:227], v[0:1] op_sel:[0,0,1] op_sel_hi:[1,1,0] neg_lo:[0,0,1] neg_hi:[0,0,1]
	v_pk_fma_f32 v[0:1], v[230:231], v[226:227], v[0:1] op_sel:[0,0,1] op_sel_hi:[1,0,0]
	v_dual_mul_f32 v230, v233, v229 :: v_dual_mov_b32 v0, v233
	v_dual_mov_b32 v235, v1 :: v_dual_mov_b32 v1, v232
	s_delay_alu instid0(VALU_DEP_2) | instskip(SKIP_1) | instid1(VALU_DEP_3)
	v_pk_fma_f32 v[230:231], v[232:233], v[128:129], v[230:231] op_sel_hi:[1,1,0] neg_lo:[0,0,1] neg_hi:[0,0,1]
	v_mul_f32_e32 v232, v233, v226
	v_pk_add_f32 v[160:161], v[160:161], v[234:235] neg_lo:[0,1] neg_hi:[0,1]
	s_delay_alu instid0(VALU_DEP_2) | instskip(NEXT) | instid1(VALU_DEP_1)
	v_pk_fma_f32 v[0:1], v[0:1], v[128:129], v[232:233] op_sel_hi:[1,1,0]
	v_mov_b32_e32 v231, v1
	s_delay_alu instid0(VALU_DEP_1) | instskip(SKIP_3) | instid1(VALU_DEP_1)
	v_pk_add_f32 v[152:153], v[152:153], v[230:231] neg_lo:[0,1] neg_hi:[0,1]
	ds_load_2addr_b64 v[230:233], v250 offset0:34 offset1:35
	s_wait_dscnt 0x0
	v_pk_mul_f32 v[0:1], v[230:231], v[228:229] op_sel:[0,1]
	v_pk_fma_f32 v[234:235], v[230:231], v[226:227], v[0:1] op_sel:[0,0,1] op_sel_hi:[1,1,0] neg_lo:[0,0,1] neg_hi:[0,0,1]
	v_pk_fma_f32 v[0:1], v[230:231], v[226:227], v[0:1] op_sel:[0,0,1] op_sel_hi:[1,0,0]
	s_delay_alu instid0(VALU_DEP_1) | instskip(SKIP_1) | instid1(VALU_DEP_2)
	v_mov_b32_e32 v235, v1
	v_pk_mul_f32 v[0:1], v[232:233], v[228:229] op_sel:[0,1]
	v_pk_add_f32 v[158:159], v[158:159], v[234:235] neg_lo:[0,1] neg_hi:[0,1]
	s_delay_alu instid0(VALU_DEP_2) | instskip(SKIP_1) | instid1(VALU_DEP_1)
	v_pk_fma_f32 v[230:231], v[232:233], v[226:227], v[0:1] op_sel:[0,0,1] op_sel_hi:[1,1,0] neg_lo:[0,0,1] neg_hi:[0,0,1]
	v_pk_fma_f32 v[0:1], v[232:233], v[226:227], v[0:1] op_sel:[0,0,1] op_sel_hi:[1,0,0]
	v_mov_b32_e32 v231, v1
	s_delay_alu instid0(VALU_DEP_1) | instskip(SKIP_3) | instid1(VALU_DEP_1)
	v_pk_add_f32 v[150:151], v[150:151], v[230:231] neg_lo:[0,1] neg_hi:[0,1]
	ds_load_2addr_b64 v[230:233], v250 offset0:36 offset1:37
	s_wait_dscnt 0x0
	v_pk_mul_f32 v[0:1], v[230:231], v[228:229] op_sel:[0,1]
	v_pk_fma_f32 v[234:235], v[230:231], v[226:227], v[0:1] op_sel:[0,0,1] op_sel_hi:[1,1,0] neg_lo:[0,0,1] neg_hi:[0,0,1]
	v_pk_fma_f32 v[0:1], v[230:231], v[226:227], v[0:1] op_sel:[0,0,1] op_sel_hi:[1,0,0]
	s_delay_alu instid0(VALU_DEP_1) | instskip(SKIP_1) | instid1(VALU_DEP_2)
	v_mov_b32_e32 v235, v1
	v_pk_mul_f32 v[0:1], v[232:233], v[228:229] op_sel:[0,1]
	v_pk_add_f32 v[156:157], v[156:157], v[234:235] neg_lo:[0,1] neg_hi:[0,1]
	s_delay_alu instid0(VALU_DEP_2) | instskip(SKIP_1) | instid1(VALU_DEP_1)
	v_pk_fma_f32 v[230:231], v[232:233], v[226:227], v[0:1] op_sel:[0,0,1] op_sel_hi:[1,1,0] neg_lo:[0,0,1] neg_hi:[0,0,1]
	v_pk_fma_f32 v[0:1], v[232:233], v[226:227], v[0:1] op_sel:[0,0,1] op_sel_hi:[1,0,0]
	v_mov_b32_e32 v231, v1
	s_delay_alu instid0(VALU_DEP_1) | instskip(SKIP_3) | instid1(VALU_DEP_1)
	v_pk_add_f32 v[148:149], v[148:149], v[230:231] neg_lo:[0,1] neg_hi:[0,1]
	ds_load_2addr_b64 v[230:233], v250 offset0:38 offset1:39
	s_wait_dscnt 0x0
	v_dual_mul_f32 v0, v231, v229 :: v_dual_mul_f32 v234, v231, v226
	v_pk_fma_f32 v[0:1], v[230:231], v[128:129], v[0:1] op_sel_hi:[1,1,0] neg_lo:[0,0,1] neg_hi:[0,0,1]
	s_delay_alu instid0(VALU_DEP_2) | instskip(NEXT) | instid1(VALU_DEP_1)
	v_pk_fma_f32 v[230:231], v[230:231], v[128:129], v[234:235] op_sel:[1,0,0] op_sel_hi:[0,1,0]
	v_mov_b32_e32 v1, v231
	s_delay_alu instid0(VALU_DEP_1) | instskip(SKIP_1) | instid1(VALU_DEP_1)
	v_pk_add_f32 v[154:155], v[154:155], v[0:1] neg_lo:[0,1] neg_hi:[0,1]
	v_pk_mul_f32 v[0:1], v[232:233], v[228:229] op_sel:[0,1]
	v_pk_fma_f32 v[230:231], v[232:233], v[226:227], v[0:1] op_sel:[0,0,1] op_sel_hi:[1,1,0] neg_lo:[0,0,1] neg_hi:[0,0,1]
	v_pk_fma_f32 v[0:1], v[232:233], v[226:227], v[0:1] op_sel:[0,0,1] op_sel_hi:[1,0,0]
	s_delay_alu instid0(VALU_DEP_1) | instskip(SKIP_4) | instid1(VALU_DEP_1)
	v_mov_b32_e32 v231, v1
	ds_load_b64 v[0:1], v250 offset:320
	v_pk_add_f32 v[162:163], v[162:163], v[230:231] neg_lo:[0,1] neg_hi:[0,1]
	s_wait_dscnt 0x0
	v_pk_mul_f32 v[228:229], v[0:1], v[228:229] op_sel:[0,1]
	v_pk_fma_f32 v[230:231], v[0:1], v[226:227], v[228:229] op_sel:[0,0,1] op_sel_hi:[1,1,0] neg_lo:[0,0,1] neg_hi:[0,0,1]
	v_pk_fma_f32 v[0:1], v[0:1], v[226:227], v[228:229] op_sel:[0,0,1] op_sel_hi:[1,0,0]
	s_delay_alu instid0(VALU_DEP_1) | instskip(NEXT) | instid1(VALU_DEP_1)
	v_mov_b32_e32 v231, v1
	v_pk_add_f32 v[164:165], v[164:165], v[230:231] neg_lo:[0,1] neg_hi:[0,1]
.LBB81_271:
	s_or_b32 exec_lo, exec_lo, s1
	s_delay_alu instid0(SALU_CYCLE_1)
	s_mov_b32 s2, exec_lo
	s_wait_dscnt 0x0
	s_barrier_signal -1
	s_barrier_wait -1
	v_cmpx_eq_u32_e32 30, v248
	s_cbranch_execz .LBB81_278
; %bb.272:
	ds_store_b64 v249, v[130:131]
	ds_store_2addr_b64 v250, v[126:127], v[160:161] offset0:31 offset1:32
	ds_store_2addr_b64 v250, v[152:153], v[158:159] offset0:33 offset1:34
	ds_store_2addr_b64 v250, v[150:151], v[156:157] offset0:35 offset1:36
	ds_store_2addr_b64 v250, v[148:149], v[154:155] offset0:37 offset1:38
	ds_store_2addr_b64 v250, v[162:163], v[164:165] offset0:39 offset1:40
	ds_load_b64 v[226:227], v249
	s_wait_dscnt 0x0
	v_cmp_neq_f32_e32 vcc_lo, 0, v226
	v_cmp_neq_f32_e64 s1, 0, v227
	s_or_b32 s1, vcc_lo, s1
	s_delay_alu instid0(SALU_CYCLE_1)
	s_and_b32 exec_lo, exec_lo, s1
	s_cbranch_execz .LBB81_278
; %bb.273:
	v_cmp_ngt_f32_e64 s1, |v226|, |v227|
                                        ; implicit-def: $vgpr228_vgpr229
	s_and_saveexec_b32 s4, s1
	s_delay_alu instid0(SALU_CYCLE_1)
	s_xor_b32 s1, exec_lo, s4
	s_cbranch_execz .LBB81_275
; %bb.274:
	v_div_scale_f32 v0, null, v227, v227, v226
	v_div_scale_f32 v5, vcc_lo, v226, v227, v226
	s_delay_alu instid0(VALU_DEP_2) | instskip(SKIP_1) | instid1(TRANS32_DEP_1)
	v_rcp_f32_e32 v1, v0
	v_nop
	v_fma_f32 v4, -v0, v1, 1.0
	s_delay_alu instid0(VALU_DEP_1) | instskip(NEXT) | instid1(VALU_DEP_1)
	v_fmac_f32_e32 v1, v4, v1
	v_mul_f32_e32 v4, v5, v1
	s_delay_alu instid0(VALU_DEP_1) | instskip(NEXT) | instid1(VALU_DEP_1)
	v_fma_f32 v228, -v0, v4, v5
	v_fmac_f32_e32 v4, v228, v1
	s_delay_alu instid0(VALU_DEP_1) | instskip(NEXT) | instid1(VALU_DEP_1)
	v_fma_f32 v0, -v0, v4, v5
	v_div_fmas_f32 v0, v0, v1, v4
	s_delay_alu instid0(VALU_DEP_1) | instskip(NEXT) | instid1(VALU_DEP_1)
	v_div_fixup_f32 v0, v0, v227, v226
	v_fmac_f32_e32 v227, v226, v0
	s_delay_alu instid0(VALU_DEP_1) | instskip(SKIP_1) | instid1(VALU_DEP_2)
	v_div_scale_f32 v1, null, v227, v227, 1.0
	v_div_scale_f32 v226, vcc_lo, 1.0, v227, 1.0
	v_rcp_f32_e32 v4, v1
	v_nop
	s_delay_alu instid0(TRANS32_DEP_1) | instskip(NEXT) | instid1(VALU_DEP_1)
	v_fma_f32 v5, -v1, v4, 1.0
	v_fmac_f32_e32 v4, v5, v4
	s_delay_alu instid0(VALU_DEP_1) | instskip(NEXT) | instid1(VALU_DEP_1)
	v_mul_f32_e32 v5, v226, v4
	v_fma_f32 v228, -v1, v5, v226
	s_delay_alu instid0(VALU_DEP_1) | instskip(NEXT) | instid1(VALU_DEP_1)
	v_fmac_f32_e32 v5, v228, v4
	v_fma_f32 v1, -v1, v5, v226
	s_delay_alu instid0(VALU_DEP_1) | instskip(NEXT) | instid1(VALU_DEP_1)
	v_div_fmas_f32 v1, v1, v4, v5
	v_div_fixup_f32 v1, v1, v227, 1.0
                                        ; implicit-def: $vgpr226_vgpr227
	s_delay_alu instid0(VALU_DEP_1)
	v_mul_f32_e32 v228, v0, v1
	v_xor_b32_e32 v229, 0x80000000, v1
.LBB81_275:
	s_and_not1_saveexec_b32 s1, s1
	s_cbranch_execz .LBB81_277
; %bb.276:
	v_div_scale_f32 v0, null, v226, v226, v227
	v_div_scale_f32 v5, vcc_lo, v227, v226, v227
	s_delay_alu instid0(VALU_DEP_2) | instskip(SKIP_1) | instid1(TRANS32_DEP_1)
	v_rcp_f32_e32 v1, v0
	v_nop
	v_fma_f32 v4, -v0, v1, 1.0
	s_delay_alu instid0(VALU_DEP_1) | instskip(NEXT) | instid1(VALU_DEP_1)
	v_fmac_f32_e32 v1, v4, v1
	v_mul_f32_e32 v4, v5, v1
	s_delay_alu instid0(VALU_DEP_1) | instskip(NEXT) | instid1(VALU_DEP_1)
	v_fma_f32 v228, -v0, v4, v5
	v_fmac_f32_e32 v4, v228, v1
	s_delay_alu instid0(VALU_DEP_1) | instskip(NEXT) | instid1(VALU_DEP_1)
	v_fma_f32 v0, -v0, v4, v5
	v_div_fmas_f32 v0, v0, v1, v4
	s_delay_alu instid0(VALU_DEP_1) | instskip(NEXT) | instid1(VALU_DEP_1)
	v_div_fixup_f32 v0, v0, v226, v227
	v_fmac_f32_e32 v226, v227, v0
	s_delay_alu instid0(VALU_DEP_1) | instskip(NEXT) | instid1(VALU_DEP_1)
	v_div_scale_f32 v1, null, v226, v226, 1.0
	v_rcp_f32_e32 v4, v1
	v_nop
	s_delay_alu instid0(TRANS32_DEP_1) | instskip(NEXT) | instid1(VALU_DEP_1)
	v_fma_f32 v5, -v1, v4, 1.0
	v_fmac_f32_e32 v4, v5, v4
	v_div_scale_f32 v5, vcc_lo, 1.0, v226, 1.0
	s_delay_alu instid0(VALU_DEP_1) | instskip(NEXT) | instid1(VALU_DEP_1)
	v_mul_f32_e32 v227, v5, v4
	v_fma_f32 v228, -v1, v227, v5
	s_delay_alu instid0(VALU_DEP_1) | instskip(NEXT) | instid1(VALU_DEP_1)
	v_fmac_f32_e32 v227, v228, v4
	v_fma_f32 v1, -v1, v227, v5
	s_delay_alu instid0(VALU_DEP_1) | instskip(NEXT) | instid1(VALU_DEP_1)
	v_div_fmas_f32 v1, v1, v4, v227
	v_div_fixup_f32 v228, v1, v226, 1.0
	s_delay_alu instid0(VALU_DEP_1)
	v_mul_f32_e64 v229, v0, -v228
.LBB81_277:
	s_or_b32 exec_lo, exec_lo, s1
	ds_store_b64 v249, v[228:229]
.LBB81_278:
	s_or_b32 exec_lo, exec_lo, s2
	s_wait_dscnt 0x0
	s_barrier_signal -1
	s_barrier_wait -1
	ds_load_b64 v[226:227], v249
	s_mov_b32 s1, exec_lo
	v_cmpx_lt_u32_e32 30, v248
	s_cbranch_execz .LBB81_280
; %bb.279:
	ds_load_2addr_b64 v[232:235], v250 offset0:31 offset1:32
	s_wait_dscnt 0x1
	v_pk_mul_f32 v[0:1], v[226:227], v[130:131] op_sel:[1,1] op_sel_hi:[0,1]
	s_delay_alu instid0(VALU_DEP_1) | instskip(SKIP_1) | instid1(VALU_DEP_1)
	v_pk_fma_f32 v[230:231], v[226:227], v[130:131], v[0:1] op_sel_hi:[1,0,1]
	v_pk_fma_f32 v[228:229], v[226:227], v[130:131], v[0:1] op_sel_hi:[1,0,1] neg_lo:[0,0,1] neg_hi:[0,0,1]
	v_dual_mov_b32 v131, v231 :: v_dual_mov_b32 v130, v228
	s_wait_dscnt 0x0
	s_delay_alu instid0(VALU_DEP_3) | instskip(NEXT) | instid1(VALU_DEP_1)
	v_pk_mul_f32 v[0:1], v[232:233], v[230:231] op_sel:[0,1]
	v_pk_fma_f32 v[236:237], v[232:233], v[228:229], v[0:1] op_sel:[0,0,1] op_sel_hi:[1,1,0] neg_lo:[0,0,1] neg_hi:[0,0,1]
	v_pk_fma_f32 v[0:1], v[232:233], v[228:229], v[0:1] op_sel:[0,0,1] op_sel_hi:[1,0,0]
	s_delay_alu instid0(VALU_DEP_1) | instskip(SKIP_1) | instid1(VALU_DEP_1)
	v_mov_b32_e32 v237, v1
	v_pk_mul_f32 v[0:1], v[234:235], v[230:231] op_sel:[0,1]
	v_pk_fma_f32 v[232:233], v[234:235], v[228:229], v[0:1] op_sel:[0,0,1] op_sel_hi:[1,1,0] neg_lo:[0,0,1] neg_hi:[0,0,1]
	v_pk_fma_f32 v[0:1], v[234:235], v[228:229], v[0:1] op_sel:[0,0,1] op_sel_hi:[1,0,0]
	s_delay_alu instid0(VALU_DEP_1) | instskip(SKIP_1) | instid1(VALU_DEP_2)
	v_mov_b32_e32 v233, v1
	v_pk_add_f32 v[126:127], v[126:127], v[236:237] neg_lo:[0,1] neg_hi:[0,1]
	v_pk_add_f32 v[160:161], v[160:161], v[232:233] neg_lo:[0,1] neg_hi:[0,1]
	ds_load_2addr_b64 v[232:235], v250 offset0:33 offset1:34
	s_wait_dscnt 0x0
	v_pk_mul_f32 v[0:1], v[232:233], v[230:231] op_sel:[0,1]
	s_delay_alu instid0(VALU_DEP_1) | instskip(SKIP_2) | instid1(VALU_DEP_2)
	v_pk_fma_f32 v[236:237], v[232:233], v[228:229], v[0:1] op_sel:[0,0,1] op_sel_hi:[1,1,0] neg_lo:[0,0,1] neg_hi:[0,0,1]
	v_pk_fma_f32 v[0:1], v[232:233], v[228:229], v[0:1] op_sel:[0,0,1] op_sel_hi:[1,0,0]
	v_dual_mul_f32 v232, v235, v231 :: v_dual_mov_b32 v0, v235
	v_dual_mov_b32 v237, v1 :: v_dual_mov_b32 v1, v234
	s_delay_alu instid0(VALU_DEP_2) | instskip(SKIP_1) | instid1(VALU_DEP_3)
	v_pk_fma_f32 v[232:233], v[234:235], v[130:131], v[232:233] op_sel_hi:[1,1,0] neg_lo:[0,0,1] neg_hi:[0,0,1]
	v_mul_f32_e32 v234, v235, v228
	v_pk_add_f32 v[152:153], v[152:153], v[236:237] neg_lo:[0,1] neg_hi:[0,1]
	s_delay_alu instid0(VALU_DEP_2) | instskip(NEXT) | instid1(VALU_DEP_1)
	v_pk_fma_f32 v[0:1], v[0:1], v[130:131], v[234:235] op_sel_hi:[1,1,0]
	v_mov_b32_e32 v233, v1
	s_delay_alu instid0(VALU_DEP_1) | instskip(SKIP_3) | instid1(VALU_DEP_1)
	v_pk_add_f32 v[158:159], v[158:159], v[232:233] neg_lo:[0,1] neg_hi:[0,1]
	ds_load_2addr_b64 v[232:235], v250 offset0:35 offset1:36
	s_wait_dscnt 0x0
	v_pk_mul_f32 v[0:1], v[232:233], v[230:231] op_sel:[0,1]
	v_pk_fma_f32 v[236:237], v[232:233], v[228:229], v[0:1] op_sel:[0,0,1] op_sel_hi:[1,1,0] neg_lo:[0,0,1] neg_hi:[0,0,1]
	v_pk_fma_f32 v[0:1], v[232:233], v[228:229], v[0:1] op_sel:[0,0,1] op_sel_hi:[1,0,0]
	s_delay_alu instid0(VALU_DEP_1) | instskip(SKIP_1) | instid1(VALU_DEP_1)
	v_mov_b32_e32 v237, v1
	v_pk_mul_f32 v[0:1], v[234:235], v[230:231] op_sel:[0,1]
	v_pk_fma_f32 v[232:233], v[234:235], v[228:229], v[0:1] op_sel:[0,0,1] op_sel_hi:[1,1,0] neg_lo:[0,0,1] neg_hi:[0,0,1]
	v_pk_fma_f32 v[0:1], v[234:235], v[228:229], v[0:1] op_sel:[0,0,1] op_sel_hi:[1,0,0]
	s_delay_alu instid0(VALU_DEP_1) | instskip(SKIP_1) | instid1(VALU_DEP_2)
	v_mov_b32_e32 v233, v1
	v_pk_add_f32 v[150:151], v[150:151], v[236:237] neg_lo:[0,1] neg_hi:[0,1]
	v_pk_add_f32 v[156:157], v[156:157], v[232:233] neg_lo:[0,1] neg_hi:[0,1]
	ds_load_2addr_b64 v[232:235], v250 offset0:37 offset1:38
	s_wait_dscnt 0x0
	v_pk_mul_f32 v[0:1], v[232:233], v[230:231] op_sel:[0,1]
	s_delay_alu instid0(VALU_DEP_1) | instskip(SKIP_1) | instid1(VALU_DEP_1)
	v_pk_fma_f32 v[236:237], v[232:233], v[228:229], v[0:1] op_sel:[0,0,1] op_sel_hi:[1,1,0] neg_lo:[0,0,1] neg_hi:[0,0,1]
	v_pk_fma_f32 v[0:1], v[232:233], v[228:229], v[0:1] op_sel:[0,0,1] op_sel_hi:[1,0,0]
	v_mov_b32_e32 v237, v1
	v_pk_mul_f32 v[0:1], v[234:235], v[230:231] op_sel:[0,1]
	s_delay_alu instid0(VALU_DEP_1) | instskip(SKIP_1) | instid1(VALU_DEP_1)
	v_pk_fma_f32 v[232:233], v[234:235], v[228:229], v[0:1] op_sel:[0,0,1] op_sel_hi:[1,1,0] neg_lo:[0,0,1] neg_hi:[0,0,1]
	v_pk_fma_f32 v[0:1], v[234:235], v[228:229], v[0:1] op_sel:[0,0,1] op_sel_hi:[1,0,0]
	v_mov_b32_e32 v233, v1
	v_pk_add_f32 v[148:149], v[148:149], v[236:237] neg_lo:[0,1] neg_hi:[0,1]
	s_delay_alu instid0(VALU_DEP_2) | instskip(SKIP_3) | instid1(VALU_DEP_1)
	v_pk_add_f32 v[154:155], v[154:155], v[232:233] neg_lo:[0,1] neg_hi:[0,1]
	ds_load_2addr_b64 v[232:235], v250 offset0:39 offset1:40
	s_wait_dscnt 0x0
	v_dual_mul_f32 v0, v233, v231 :: v_dual_mul_f32 v236, v233, v228
	v_pk_fma_f32 v[0:1], v[232:233], v[130:131], v[0:1] op_sel_hi:[1,1,0] neg_lo:[0,0,1] neg_hi:[0,0,1]
	s_delay_alu instid0(VALU_DEP_2) | instskip(NEXT) | instid1(VALU_DEP_1)
	v_pk_fma_f32 v[232:233], v[232:233], v[130:131], v[236:237] op_sel:[1,0,0] op_sel_hi:[0,1,0]
	v_mov_b32_e32 v1, v233
	s_delay_alu instid0(VALU_DEP_1) | instskip(SKIP_1) | instid1(VALU_DEP_1)
	v_pk_add_f32 v[162:163], v[162:163], v[0:1] neg_lo:[0,1] neg_hi:[0,1]
	v_pk_mul_f32 v[0:1], v[234:235], v[230:231] op_sel:[0,1]
	v_pk_fma_f32 v[230:231], v[234:235], v[228:229], v[0:1] op_sel:[0,0,1] op_sel_hi:[1,1,0] neg_lo:[0,0,1] neg_hi:[0,0,1]
	v_pk_fma_f32 v[0:1], v[234:235], v[228:229], v[0:1] op_sel:[0,0,1] op_sel_hi:[1,0,0]
	s_delay_alu instid0(VALU_DEP_1) | instskip(NEXT) | instid1(VALU_DEP_1)
	v_mov_b32_e32 v231, v1
	v_pk_add_f32 v[164:165], v[164:165], v[230:231] neg_lo:[0,1] neg_hi:[0,1]
.LBB81_280:
	s_or_b32 exec_lo, exec_lo, s1
	s_delay_alu instid0(SALU_CYCLE_1)
	s_mov_b32 s2, exec_lo
	s_wait_dscnt 0x0
	s_barrier_signal -1
	s_barrier_wait -1
	v_cmpx_eq_u32_e32 31, v248
	s_cbranch_execz .LBB81_287
; %bb.281:
	v_dual_mov_b32 v0, v160 :: v_dual_mov_b32 v1, v161
	v_dual_mov_b32 v228, v152 :: v_dual_mov_b32 v229, v153
	v_dual_mov_b32 v230, v158 :: v_dual_mov_b32 v231, v159
	v_dual_mov_b32 v232, v150 :: v_dual_mov_b32 v233, v151
	v_dual_mov_b32 v234, v156 :: v_dual_mov_b32 v235, v157
	v_dual_mov_b32 v236, v148 :: v_dual_mov_b32 v237, v149
	v_dual_mov_b32 v238, v154 :: v_dual_mov_b32 v239, v155
	v_dual_mov_b32 v240, v162 :: v_dual_mov_b32 v241, v163
	ds_store_b64 v249, v[126:127]
	ds_store_2addr_b64 v250, v[0:1], v[228:229] offset0:32 offset1:33
	ds_store_2addr_b64 v250, v[230:231], v[232:233] offset0:34 offset1:35
	;; [unrolled: 1-line block ×4, first 2 shown]
	ds_store_b64 v250, v[164:165] offset:320
	ds_load_b64 v[228:229], v249
	s_wait_dscnt 0x0
	v_cmp_neq_f32_e32 vcc_lo, 0, v228
	v_cmp_neq_f32_e64 s1, 0, v229
	s_or_b32 s1, vcc_lo, s1
	s_delay_alu instid0(SALU_CYCLE_1)
	s_and_b32 exec_lo, exec_lo, s1
	s_cbranch_execz .LBB81_287
; %bb.282:
	v_cmp_ngt_f32_e64 s1, |v228|, |v229|
                                        ; implicit-def: $vgpr230_vgpr231
	s_and_saveexec_b32 s4, s1
	s_delay_alu instid0(SALU_CYCLE_1)
	s_xor_b32 s1, exec_lo, s4
	s_cbranch_execz .LBB81_284
; %bb.283:
	v_div_scale_f32 v0, null, v229, v229, v228
	v_div_scale_f32 v5, vcc_lo, v228, v229, v228
	s_delay_alu instid0(VALU_DEP_2) | instskip(SKIP_1) | instid1(TRANS32_DEP_1)
	v_rcp_f32_e32 v1, v0
	v_nop
	v_fma_f32 v4, -v0, v1, 1.0
	s_delay_alu instid0(VALU_DEP_1) | instskip(NEXT) | instid1(VALU_DEP_1)
	v_fmac_f32_e32 v1, v4, v1
	v_mul_f32_e32 v4, v5, v1
	s_delay_alu instid0(VALU_DEP_1) | instskip(NEXT) | instid1(VALU_DEP_1)
	v_fma_f32 v230, -v0, v4, v5
	v_fmac_f32_e32 v4, v230, v1
	s_delay_alu instid0(VALU_DEP_1) | instskip(NEXT) | instid1(VALU_DEP_1)
	v_fma_f32 v0, -v0, v4, v5
	v_div_fmas_f32 v0, v0, v1, v4
	s_delay_alu instid0(VALU_DEP_1) | instskip(NEXT) | instid1(VALU_DEP_1)
	v_div_fixup_f32 v0, v0, v229, v228
	v_fmac_f32_e32 v229, v228, v0
	s_delay_alu instid0(VALU_DEP_1) | instskip(SKIP_1) | instid1(VALU_DEP_2)
	v_div_scale_f32 v1, null, v229, v229, 1.0
	v_div_scale_f32 v228, vcc_lo, 1.0, v229, 1.0
	v_rcp_f32_e32 v4, v1
	v_nop
	s_delay_alu instid0(TRANS32_DEP_1) | instskip(NEXT) | instid1(VALU_DEP_1)
	v_fma_f32 v5, -v1, v4, 1.0
	v_fmac_f32_e32 v4, v5, v4
	s_delay_alu instid0(VALU_DEP_1) | instskip(NEXT) | instid1(VALU_DEP_1)
	v_mul_f32_e32 v5, v228, v4
	v_fma_f32 v230, -v1, v5, v228
	s_delay_alu instid0(VALU_DEP_1) | instskip(NEXT) | instid1(VALU_DEP_1)
	v_fmac_f32_e32 v5, v230, v4
	v_fma_f32 v1, -v1, v5, v228
	s_delay_alu instid0(VALU_DEP_1) | instskip(NEXT) | instid1(VALU_DEP_1)
	v_div_fmas_f32 v1, v1, v4, v5
	v_div_fixup_f32 v1, v1, v229, 1.0
                                        ; implicit-def: $vgpr228_vgpr229
	s_delay_alu instid0(VALU_DEP_1)
	v_mul_f32_e32 v230, v0, v1
	v_xor_b32_e32 v231, 0x80000000, v1
.LBB81_284:
	s_and_not1_saveexec_b32 s1, s1
	s_cbranch_execz .LBB81_286
; %bb.285:
	v_div_scale_f32 v0, null, v228, v228, v229
	v_div_scale_f32 v5, vcc_lo, v229, v228, v229
	s_delay_alu instid0(VALU_DEP_2) | instskip(SKIP_1) | instid1(TRANS32_DEP_1)
	v_rcp_f32_e32 v1, v0
	v_nop
	v_fma_f32 v4, -v0, v1, 1.0
	s_delay_alu instid0(VALU_DEP_1) | instskip(NEXT) | instid1(VALU_DEP_1)
	v_fmac_f32_e32 v1, v4, v1
	v_mul_f32_e32 v4, v5, v1
	s_delay_alu instid0(VALU_DEP_1) | instskip(NEXT) | instid1(VALU_DEP_1)
	v_fma_f32 v230, -v0, v4, v5
	v_fmac_f32_e32 v4, v230, v1
	s_delay_alu instid0(VALU_DEP_1) | instskip(NEXT) | instid1(VALU_DEP_1)
	v_fma_f32 v0, -v0, v4, v5
	v_div_fmas_f32 v0, v0, v1, v4
	s_delay_alu instid0(VALU_DEP_1) | instskip(NEXT) | instid1(VALU_DEP_1)
	v_div_fixup_f32 v0, v0, v228, v229
	v_fmac_f32_e32 v228, v229, v0
	s_delay_alu instid0(VALU_DEP_1) | instskip(NEXT) | instid1(VALU_DEP_1)
	v_div_scale_f32 v1, null, v228, v228, 1.0
	v_rcp_f32_e32 v4, v1
	v_nop
	s_delay_alu instid0(TRANS32_DEP_1) | instskip(NEXT) | instid1(VALU_DEP_1)
	v_fma_f32 v5, -v1, v4, 1.0
	v_fmac_f32_e32 v4, v5, v4
	v_div_scale_f32 v5, vcc_lo, 1.0, v228, 1.0
	s_delay_alu instid0(VALU_DEP_1) | instskip(NEXT) | instid1(VALU_DEP_1)
	v_mul_f32_e32 v229, v5, v4
	v_fma_f32 v230, -v1, v229, v5
	s_delay_alu instid0(VALU_DEP_1) | instskip(NEXT) | instid1(VALU_DEP_1)
	v_fmac_f32_e32 v229, v230, v4
	v_fma_f32 v1, -v1, v229, v5
	s_delay_alu instid0(VALU_DEP_1) | instskip(NEXT) | instid1(VALU_DEP_1)
	v_div_fmas_f32 v1, v1, v4, v229
	v_div_fixup_f32 v230, v1, v228, 1.0
	s_delay_alu instid0(VALU_DEP_1)
	v_mul_f32_e64 v231, v0, -v230
.LBB81_286:
	s_or_b32 exec_lo, exec_lo, s1
	ds_store_b64 v249, v[230:231]
.LBB81_287:
	s_or_b32 exec_lo, exec_lo, s2
	s_wait_dscnt 0x0
	s_barrier_signal -1
	s_barrier_wait -1
	ds_load_b64 v[228:229], v249
	s_mov_b32 s1, exec_lo
	v_cmpx_lt_u32_e32 31, v248
	s_cbranch_execz .LBB81_289
; %bb.288:
	ds_load_2addr_b64 v[234:237], v250 offset0:32 offset1:33
	s_wait_dscnt 0x1
	v_pk_mul_f32 v[0:1], v[228:229], v[126:127] op_sel:[1,1] op_sel_hi:[0,1]
	s_delay_alu instid0(VALU_DEP_1) | instskip(SKIP_1) | instid1(VALU_DEP_1)
	v_pk_fma_f32 v[232:233], v[228:229], v[126:127], v[0:1] op_sel_hi:[1,0,1]
	v_pk_fma_f32 v[230:231], v[228:229], v[126:127], v[0:1] op_sel_hi:[1,0,1] neg_lo:[0,0,1] neg_hi:[0,0,1]
	v_dual_mov_b32 v127, v233 :: v_dual_mov_b32 v126, v230
	s_wait_dscnt 0x0
	s_delay_alu instid0(VALU_DEP_3) | instskip(NEXT) | instid1(VALU_DEP_1)
	v_pk_mul_f32 v[0:1], v[234:235], v[232:233] op_sel:[0,1]
	v_pk_fma_f32 v[238:239], v[234:235], v[230:231], v[0:1] op_sel:[0,0,1] op_sel_hi:[1,1,0] neg_lo:[0,0,1] neg_hi:[0,0,1]
	v_pk_fma_f32 v[0:1], v[234:235], v[230:231], v[0:1] op_sel:[0,0,1] op_sel_hi:[1,0,0]
	s_delay_alu instid0(VALU_DEP_1) | instskip(SKIP_1) | instid1(VALU_DEP_1)
	v_mov_b32_e32 v239, v1
	v_pk_mul_f32 v[0:1], v[236:237], v[232:233] op_sel:[0,1]
	v_pk_fma_f32 v[234:235], v[236:237], v[230:231], v[0:1] op_sel:[0,0,1] op_sel_hi:[1,1,0] neg_lo:[0,0,1] neg_hi:[0,0,1]
	v_pk_fma_f32 v[0:1], v[236:237], v[230:231], v[0:1] op_sel:[0,0,1] op_sel_hi:[1,0,0]
	s_delay_alu instid0(VALU_DEP_1) | instskip(SKIP_1) | instid1(VALU_DEP_2)
	v_mov_b32_e32 v235, v1
	v_pk_add_f32 v[160:161], v[160:161], v[238:239] neg_lo:[0,1] neg_hi:[0,1]
	v_pk_add_f32 v[152:153], v[152:153], v[234:235] neg_lo:[0,1] neg_hi:[0,1]
	ds_load_2addr_b64 v[234:237], v250 offset0:34 offset1:35
	s_wait_dscnt 0x0
	v_pk_mul_f32 v[0:1], v[234:235], v[232:233] op_sel:[0,1]
	s_delay_alu instid0(VALU_DEP_1) | instskip(SKIP_2) | instid1(VALU_DEP_2)
	v_pk_fma_f32 v[238:239], v[234:235], v[230:231], v[0:1] op_sel:[0,0,1] op_sel_hi:[1,1,0] neg_lo:[0,0,1] neg_hi:[0,0,1]
	v_pk_fma_f32 v[0:1], v[234:235], v[230:231], v[0:1] op_sel:[0,0,1] op_sel_hi:[1,0,0]
	v_dual_mul_f32 v234, v237, v233 :: v_dual_mov_b32 v0, v237
	v_dual_mov_b32 v239, v1 :: v_dual_mov_b32 v1, v236
	s_delay_alu instid0(VALU_DEP_2) | instskip(SKIP_1) | instid1(VALU_DEP_3)
	v_pk_fma_f32 v[234:235], v[236:237], v[126:127], v[234:235] op_sel_hi:[1,1,0] neg_lo:[0,0,1] neg_hi:[0,0,1]
	v_mul_f32_e32 v236, v237, v230
	v_pk_add_f32 v[158:159], v[158:159], v[238:239] neg_lo:[0,1] neg_hi:[0,1]
	s_delay_alu instid0(VALU_DEP_2) | instskip(NEXT) | instid1(VALU_DEP_1)
	v_pk_fma_f32 v[0:1], v[0:1], v[126:127], v[236:237] op_sel_hi:[1,1,0]
	v_mov_b32_e32 v235, v1
	s_delay_alu instid0(VALU_DEP_1) | instskip(SKIP_3) | instid1(VALU_DEP_1)
	v_pk_add_f32 v[150:151], v[150:151], v[234:235] neg_lo:[0,1] neg_hi:[0,1]
	ds_load_2addr_b64 v[234:237], v250 offset0:36 offset1:37
	s_wait_dscnt 0x0
	v_pk_mul_f32 v[0:1], v[234:235], v[232:233] op_sel:[0,1]
	v_pk_fma_f32 v[238:239], v[234:235], v[230:231], v[0:1] op_sel:[0,0,1] op_sel_hi:[1,1,0] neg_lo:[0,0,1] neg_hi:[0,0,1]
	v_pk_fma_f32 v[0:1], v[234:235], v[230:231], v[0:1] op_sel:[0,0,1] op_sel_hi:[1,0,0]
	s_delay_alu instid0(VALU_DEP_1) | instskip(SKIP_1) | instid1(VALU_DEP_2)
	v_mov_b32_e32 v239, v1
	v_pk_mul_f32 v[0:1], v[236:237], v[232:233] op_sel:[0,1]
	v_pk_add_f32 v[156:157], v[156:157], v[238:239] neg_lo:[0,1] neg_hi:[0,1]
	s_delay_alu instid0(VALU_DEP_2) | instskip(SKIP_1) | instid1(VALU_DEP_1)
	v_pk_fma_f32 v[234:235], v[236:237], v[230:231], v[0:1] op_sel:[0,0,1] op_sel_hi:[1,1,0] neg_lo:[0,0,1] neg_hi:[0,0,1]
	v_pk_fma_f32 v[0:1], v[236:237], v[230:231], v[0:1] op_sel:[0,0,1] op_sel_hi:[1,0,0]
	v_mov_b32_e32 v235, v1
	s_delay_alu instid0(VALU_DEP_1) | instskip(SKIP_3) | instid1(VALU_DEP_1)
	v_pk_add_f32 v[148:149], v[148:149], v[234:235] neg_lo:[0,1] neg_hi:[0,1]
	ds_load_2addr_b64 v[234:237], v250 offset0:38 offset1:39
	s_wait_dscnt 0x0
	v_pk_mul_f32 v[0:1], v[234:235], v[232:233] op_sel:[0,1]
	v_pk_fma_f32 v[238:239], v[234:235], v[230:231], v[0:1] op_sel:[0,0,1] op_sel_hi:[1,1,0] neg_lo:[0,0,1] neg_hi:[0,0,1]
	v_pk_fma_f32 v[0:1], v[234:235], v[230:231], v[0:1] op_sel:[0,0,1] op_sel_hi:[1,0,0]
	s_delay_alu instid0(VALU_DEP_1) | instskip(SKIP_1) | instid1(VALU_DEP_2)
	v_mov_b32_e32 v239, v1
	v_pk_mul_f32 v[0:1], v[236:237], v[232:233] op_sel:[0,1]
	v_pk_add_f32 v[154:155], v[154:155], v[238:239] neg_lo:[0,1] neg_hi:[0,1]
	s_delay_alu instid0(VALU_DEP_2) | instskip(SKIP_1) | instid1(VALU_DEP_1)
	v_pk_fma_f32 v[234:235], v[236:237], v[230:231], v[0:1] op_sel:[0,0,1] op_sel_hi:[1,1,0] neg_lo:[0,0,1] neg_hi:[0,0,1]
	v_pk_fma_f32 v[0:1], v[236:237], v[230:231], v[0:1] op_sel:[0,0,1] op_sel_hi:[1,0,0]
	v_mov_b32_e32 v235, v1
	ds_load_b64 v[0:1], v250 offset:320
	v_pk_add_f32 v[162:163], v[162:163], v[234:235] neg_lo:[0,1] neg_hi:[0,1]
	s_wait_dscnt 0x0
	v_pk_mul_f32 v[232:233], v[0:1], v[232:233] op_sel:[0,1]
	s_delay_alu instid0(VALU_DEP_1) | instskip(SKIP_1) | instid1(VALU_DEP_1)
	v_pk_fma_f32 v[234:235], v[0:1], v[230:231], v[232:233] op_sel:[0,0,1] op_sel_hi:[1,1,0] neg_lo:[0,0,1] neg_hi:[0,0,1]
	v_pk_fma_f32 v[0:1], v[0:1], v[230:231], v[232:233] op_sel:[0,0,1] op_sel_hi:[1,0,0]
	v_mov_b32_e32 v235, v1
	s_delay_alu instid0(VALU_DEP_1)
	v_pk_add_f32 v[164:165], v[164:165], v[234:235] neg_lo:[0,1] neg_hi:[0,1]
.LBB81_289:
	s_or_b32 exec_lo, exec_lo, s1
	s_delay_alu instid0(SALU_CYCLE_1)
	s_mov_b32 s2, exec_lo
	s_wait_dscnt 0x0
	s_barrier_signal -1
	s_barrier_wait -1
	v_cmpx_eq_u32_e32 32, v248
	s_cbranch_execz .LBB81_296
; %bb.290:
	ds_store_b64 v249, v[160:161]
	ds_store_2addr_b64 v250, v[152:153], v[158:159] offset0:33 offset1:34
	ds_store_2addr_b64 v250, v[150:151], v[156:157] offset0:35 offset1:36
	;; [unrolled: 1-line block ×4, first 2 shown]
	ds_load_b64 v[230:231], v249
	s_wait_dscnt 0x0
	v_cmp_neq_f32_e32 vcc_lo, 0, v230
	v_cmp_neq_f32_e64 s1, 0, v231
	s_or_b32 s1, vcc_lo, s1
	s_delay_alu instid0(SALU_CYCLE_1)
	s_and_b32 exec_lo, exec_lo, s1
	s_cbranch_execz .LBB81_296
; %bb.291:
	v_cmp_ngt_f32_e64 s1, |v230|, |v231|
                                        ; implicit-def: $vgpr232_vgpr233
	s_and_saveexec_b32 s4, s1
	s_delay_alu instid0(SALU_CYCLE_1)
	s_xor_b32 s1, exec_lo, s4
	s_cbranch_execz .LBB81_293
; %bb.292:
	v_div_scale_f32 v0, null, v231, v231, v230
	v_div_scale_f32 v5, vcc_lo, v230, v231, v230
	s_delay_alu instid0(VALU_DEP_2) | instskip(SKIP_1) | instid1(TRANS32_DEP_1)
	v_rcp_f32_e32 v1, v0
	v_nop
	v_fma_f32 v4, -v0, v1, 1.0
	s_delay_alu instid0(VALU_DEP_1) | instskip(NEXT) | instid1(VALU_DEP_1)
	v_fmac_f32_e32 v1, v4, v1
	v_mul_f32_e32 v4, v5, v1
	s_delay_alu instid0(VALU_DEP_1) | instskip(NEXT) | instid1(VALU_DEP_1)
	v_fma_f32 v232, -v0, v4, v5
	v_fmac_f32_e32 v4, v232, v1
	s_delay_alu instid0(VALU_DEP_1) | instskip(NEXT) | instid1(VALU_DEP_1)
	v_fma_f32 v0, -v0, v4, v5
	v_div_fmas_f32 v0, v0, v1, v4
	s_delay_alu instid0(VALU_DEP_1) | instskip(NEXT) | instid1(VALU_DEP_1)
	v_div_fixup_f32 v0, v0, v231, v230
	v_fmac_f32_e32 v231, v230, v0
	s_delay_alu instid0(VALU_DEP_1) | instskip(SKIP_1) | instid1(VALU_DEP_2)
	v_div_scale_f32 v1, null, v231, v231, 1.0
	v_div_scale_f32 v230, vcc_lo, 1.0, v231, 1.0
	v_rcp_f32_e32 v4, v1
	v_nop
	s_delay_alu instid0(TRANS32_DEP_1) | instskip(NEXT) | instid1(VALU_DEP_1)
	v_fma_f32 v5, -v1, v4, 1.0
	v_fmac_f32_e32 v4, v5, v4
	s_delay_alu instid0(VALU_DEP_1) | instskip(NEXT) | instid1(VALU_DEP_1)
	v_mul_f32_e32 v5, v230, v4
	v_fma_f32 v232, -v1, v5, v230
	s_delay_alu instid0(VALU_DEP_1) | instskip(NEXT) | instid1(VALU_DEP_1)
	v_fmac_f32_e32 v5, v232, v4
	v_fma_f32 v1, -v1, v5, v230
	s_delay_alu instid0(VALU_DEP_1) | instskip(NEXT) | instid1(VALU_DEP_1)
	v_div_fmas_f32 v1, v1, v4, v5
	v_div_fixup_f32 v1, v1, v231, 1.0
                                        ; implicit-def: $vgpr230_vgpr231
	s_delay_alu instid0(VALU_DEP_1)
	v_mul_f32_e32 v232, v0, v1
	v_xor_b32_e32 v233, 0x80000000, v1
.LBB81_293:
	s_and_not1_saveexec_b32 s1, s1
	s_cbranch_execz .LBB81_295
; %bb.294:
	v_div_scale_f32 v0, null, v230, v230, v231
	v_div_scale_f32 v5, vcc_lo, v231, v230, v231
	s_delay_alu instid0(VALU_DEP_2) | instskip(SKIP_1) | instid1(TRANS32_DEP_1)
	v_rcp_f32_e32 v1, v0
	v_nop
	v_fma_f32 v4, -v0, v1, 1.0
	s_delay_alu instid0(VALU_DEP_1) | instskip(NEXT) | instid1(VALU_DEP_1)
	v_fmac_f32_e32 v1, v4, v1
	v_mul_f32_e32 v4, v5, v1
	s_delay_alu instid0(VALU_DEP_1) | instskip(NEXT) | instid1(VALU_DEP_1)
	v_fma_f32 v232, -v0, v4, v5
	v_fmac_f32_e32 v4, v232, v1
	s_delay_alu instid0(VALU_DEP_1) | instskip(NEXT) | instid1(VALU_DEP_1)
	v_fma_f32 v0, -v0, v4, v5
	v_div_fmas_f32 v0, v0, v1, v4
	s_delay_alu instid0(VALU_DEP_1) | instskip(NEXT) | instid1(VALU_DEP_1)
	v_div_fixup_f32 v0, v0, v230, v231
	v_fmac_f32_e32 v230, v231, v0
	s_delay_alu instid0(VALU_DEP_1) | instskip(NEXT) | instid1(VALU_DEP_1)
	v_div_scale_f32 v1, null, v230, v230, 1.0
	v_rcp_f32_e32 v4, v1
	v_nop
	s_delay_alu instid0(TRANS32_DEP_1) | instskip(NEXT) | instid1(VALU_DEP_1)
	v_fma_f32 v5, -v1, v4, 1.0
	v_fmac_f32_e32 v4, v5, v4
	v_div_scale_f32 v5, vcc_lo, 1.0, v230, 1.0
	s_delay_alu instid0(VALU_DEP_1) | instskip(NEXT) | instid1(VALU_DEP_1)
	v_mul_f32_e32 v231, v5, v4
	v_fma_f32 v232, -v1, v231, v5
	s_delay_alu instid0(VALU_DEP_1) | instskip(NEXT) | instid1(VALU_DEP_1)
	v_fmac_f32_e32 v231, v232, v4
	v_fma_f32 v1, -v1, v231, v5
	s_delay_alu instid0(VALU_DEP_1) | instskip(NEXT) | instid1(VALU_DEP_1)
	v_div_fmas_f32 v1, v1, v4, v231
	v_div_fixup_f32 v232, v1, v230, 1.0
	s_delay_alu instid0(VALU_DEP_1)
	v_mul_f32_e64 v233, v0, -v232
.LBB81_295:
	s_or_b32 exec_lo, exec_lo, s1
	ds_store_b64 v249, v[232:233]
.LBB81_296:
	s_or_b32 exec_lo, exec_lo, s2
	s_wait_dscnt 0x0
	s_barrier_signal -1
	s_barrier_wait -1
	ds_load_b64 v[230:231], v249
	s_mov_b32 s1, exec_lo
	v_cmpx_lt_u32_e32 32, v248
	s_cbranch_execz .LBB81_298
; %bb.297:
	ds_load_2addr_b64 v[236:239], v250 offset0:33 offset1:34
	s_wait_dscnt 0x1
	v_pk_mul_f32 v[0:1], v[230:231], v[160:161] op_sel:[1,1] op_sel_hi:[0,1]
	s_delay_alu instid0(VALU_DEP_1) | instskip(SKIP_1) | instid1(VALU_DEP_1)
	v_pk_fma_f32 v[234:235], v[230:231], v[160:161], v[0:1] op_sel_hi:[1,0,1]
	v_pk_fma_f32 v[232:233], v[230:231], v[160:161], v[0:1] op_sel_hi:[1,0,1] neg_lo:[0,0,1] neg_hi:[0,0,1]
	v_dual_mov_b32 v161, v235 :: v_dual_mov_b32 v160, v232
	s_wait_dscnt 0x0
	s_delay_alu instid0(VALU_DEP_3) | instskip(NEXT) | instid1(VALU_DEP_1)
	v_pk_mul_f32 v[0:1], v[236:237], v[234:235] op_sel:[0,1]
	v_pk_fma_f32 v[240:241], v[236:237], v[232:233], v[0:1] op_sel:[0,0,1] op_sel_hi:[1,1,0] neg_lo:[0,0,1] neg_hi:[0,0,1]
	v_pk_fma_f32 v[0:1], v[236:237], v[232:233], v[0:1] op_sel:[0,0,1] op_sel_hi:[1,0,0]
	s_delay_alu instid0(VALU_DEP_1) | instskip(SKIP_1) | instid1(VALU_DEP_1)
	v_mov_b32_e32 v241, v1
	v_pk_mul_f32 v[0:1], v[238:239], v[234:235] op_sel:[0,1]
	v_pk_fma_f32 v[236:237], v[238:239], v[232:233], v[0:1] op_sel:[0,0,1] op_sel_hi:[1,1,0] neg_lo:[0,0,1] neg_hi:[0,0,1]
	v_pk_fma_f32 v[0:1], v[238:239], v[232:233], v[0:1] op_sel:[0,0,1] op_sel_hi:[1,0,0]
	s_delay_alu instid0(VALU_DEP_1) | instskip(SKIP_1) | instid1(VALU_DEP_2)
	v_mov_b32_e32 v237, v1
	v_pk_add_f32 v[152:153], v[152:153], v[240:241] neg_lo:[0,1] neg_hi:[0,1]
	v_pk_add_f32 v[158:159], v[158:159], v[236:237] neg_lo:[0,1] neg_hi:[0,1]
	ds_load_2addr_b64 v[236:239], v250 offset0:35 offset1:36
	s_wait_dscnt 0x0
	v_pk_mul_f32 v[0:1], v[236:237], v[234:235] op_sel:[0,1]
	s_delay_alu instid0(VALU_DEP_1) | instskip(SKIP_2) | instid1(VALU_DEP_2)
	v_pk_fma_f32 v[240:241], v[236:237], v[232:233], v[0:1] op_sel:[0,0,1] op_sel_hi:[1,1,0] neg_lo:[0,0,1] neg_hi:[0,0,1]
	v_pk_fma_f32 v[0:1], v[236:237], v[232:233], v[0:1] op_sel:[0,0,1] op_sel_hi:[1,0,0]
	v_dual_mul_f32 v236, v239, v235 :: v_dual_mov_b32 v0, v239
	v_dual_mov_b32 v241, v1 :: v_dual_mov_b32 v1, v238
	s_delay_alu instid0(VALU_DEP_2) | instskip(SKIP_1) | instid1(VALU_DEP_3)
	v_pk_fma_f32 v[236:237], v[238:239], v[160:161], v[236:237] op_sel_hi:[1,1,0] neg_lo:[0,0,1] neg_hi:[0,0,1]
	v_mul_f32_e32 v238, v239, v232
	v_pk_add_f32 v[150:151], v[150:151], v[240:241] neg_lo:[0,1] neg_hi:[0,1]
	s_delay_alu instid0(VALU_DEP_2) | instskip(NEXT) | instid1(VALU_DEP_1)
	v_pk_fma_f32 v[0:1], v[0:1], v[160:161], v[238:239] op_sel_hi:[1,1,0]
	v_mov_b32_e32 v237, v1
	s_delay_alu instid0(VALU_DEP_1) | instskip(SKIP_3) | instid1(VALU_DEP_1)
	v_pk_add_f32 v[156:157], v[156:157], v[236:237] neg_lo:[0,1] neg_hi:[0,1]
	ds_load_2addr_b64 v[236:239], v250 offset0:37 offset1:38
	s_wait_dscnt 0x0
	v_pk_mul_f32 v[0:1], v[236:237], v[234:235] op_sel:[0,1]
	v_pk_fma_f32 v[240:241], v[236:237], v[232:233], v[0:1] op_sel:[0,0,1] op_sel_hi:[1,1,0] neg_lo:[0,0,1] neg_hi:[0,0,1]
	v_pk_fma_f32 v[0:1], v[236:237], v[232:233], v[0:1] op_sel:[0,0,1] op_sel_hi:[1,0,0]
	s_delay_alu instid0(VALU_DEP_1) | instskip(SKIP_1) | instid1(VALU_DEP_1)
	v_mov_b32_e32 v241, v1
	v_pk_mul_f32 v[0:1], v[238:239], v[234:235] op_sel:[0,1]
	v_pk_fma_f32 v[236:237], v[238:239], v[232:233], v[0:1] op_sel:[0,0,1] op_sel_hi:[1,1,0] neg_lo:[0,0,1] neg_hi:[0,0,1]
	v_pk_fma_f32 v[0:1], v[238:239], v[232:233], v[0:1] op_sel:[0,0,1] op_sel_hi:[1,0,0]
	s_delay_alu instid0(VALU_DEP_1) | instskip(SKIP_1) | instid1(VALU_DEP_2)
	v_mov_b32_e32 v237, v1
	v_pk_add_f32 v[148:149], v[148:149], v[240:241] neg_lo:[0,1] neg_hi:[0,1]
	v_pk_add_f32 v[154:155], v[154:155], v[236:237] neg_lo:[0,1] neg_hi:[0,1]
	ds_load_2addr_b64 v[236:239], v250 offset0:39 offset1:40
	s_wait_dscnt 0x0
	v_pk_mul_f32 v[0:1], v[236:237], v[234:235] op_sel:[0,1]
	s_delay_alu instid0(VALU_DEP_1) | instskip(SKIP_1) | instid1(VALU_DEP_1)
	v_pk_fma_f32 v[240:241], v[236:237], v[232:233], v[0:1] op_sel:[0,0,1] op_sel_hi:[1,1,0] neg_lo:[0,0,1] neg_hi:[0,0,1]
	v_pk_fma_f32 v[0:1], v[236:237], v[232:233], v[0:1] op_sel:[0,0,1] op_sel_hi:[1,0,0]
	v_mov_b32_e32 v241, v1
	v_pk_mul_f32 v[0:1], v[238:239], v[234:235] op_sel:[0,1]
	s_delay_alu instid0(VALU_DEP_1) | instskip(SKIP_1) | instid1(VALU_DEP_1)
	v_pk_fma_f32 v[234:235], v[238:239], v[232:233], v[0:1] op_sel:[0,0,1] op_sel_hi:[1,1,0] neg_lo:[0,0,1] neg_hi:[0,0,1]
	v_pk_fma_f32 v[0:1], v[238:239], v[232:233], v[0:1] op_sel:[0,0,1] op_sel_hi:[1,0,0]
	v_mov_b32_e32 v235, v1
	v_pk_add_f32 v[162:163], v[162:163], v[240:241] neg_lo:[0,1] neg_hi:[0,1]
	s_delay_alu instid0(VALU_DEP_2)
	v_pk_add_f32 v[164:165], v[164:165], v[234:235] neg_lo:[0,1] neg_hi:[0,1]
.LBB81_298:
	s_or_b32 exec_lo, exec_lo, s1
	s_delay_alu instid0(SALU_CYCLE_1)
	s_mov_b32 s2, exec_lo
	s_wait_dscnt 0x0
	s_barrier_signal -1
	s_barrier_wait -1
	v_cmpx_eq_u32_e32 33, v248
	s_cbranch_execz .LBB81_305
; %bb.299:
	v_dual_mov_b32 v0, v158 :: v_dual_mov_b32 v1, v159
	v_dual_mov_b32 v232, v150 :: v_dual_mov_b32 v233, v151
	v_dual_mov_b32 v234, v156 :: v_dual_mov_b32 v235, v157
	v_dual_mov_b32 v236, v148 :: v_dual_mov_b32 v237, v149
	v_dual_mov_b32 v238, v154 :: v_dual_mov_b32 v239, v155
	v_dual_mov_b32 v240, v162 :: v_dual_mov_b32 v241, v163
	ds_store_b64 v249, v[152:153]
	ds_store_2addr_b64 v250, v[0:1], v[232:233] offset0:34 offset1:35
	ds_store_2addr_b64 v250, v[234:235], v[236:237] offset0:36 offset1:37
	;; [unrolled: 1-line block ×3, first 2 shown]
	ds_store_b64 v250, v[164:165] offset:320
	ds_load_b64 v[232:233], v249
	s_wait_dscnt 0x0
	v_cmp_neq_f32_e32 vcc_lo, 0, v232
	v_cmp_neq_f32_e64 s1, 0, v233
	s_or_b32 s1, vcc_lo, s1
	s_delay_alu instid0(SALU_CYCLE_1)
	s_and_b32 exec_lo, exec_lo, s1
	s_cbranch_execz .LBB81_305
; %bb.300:
	v_cmp_ngt_f32_e64 s1, |v232|, |v233|
                                        ; implicit-def: $vgpr234_vgpr235
	s_and_saveexec_b32 s4, s1
	s_delay_alu instid0(SALU_CYCLE_1)
	s_xor_b32 s1, exec_lo, s4
	s_cbranch_execz .LBB81_302
; %bb.301:
	v_div_scale_f32 v0, null, v233, v233, v232
	v_div_scale_f32 v5, vcc_lo, v232, v233, v232
	s_delay_alu instid0(VALU_DEP_2) | instskip(SKIP_1) | instid1(TRANS32_DEP_1)
	v_rcp_f32_e32 v1, v0
	v_nop
	v_fma_f32 v4, -v0, v1, 1.0
	s_delay_alu instid0(VALU_DEP_1) | instskip(NEXT) | instid1(VALU_DEP_1)
	v_fmac_f32_e32 v1, v4, v1
	v_mul_f32_e32 v4, v5, v1
	s_delay_alu instid0(VALU_DEP_1) | instskip(NEXT) | instid1(VALU_DEP_1)
	v_fma_f32 v234, -v0, v4, v5
	v_fmac_f32_e32 v4, v234, v1
	s_delay_alu instid0(VALU_DEP_1) | instskip(NEXT) | instid1(VALU_DEP_1)
	v_fma_f32 v0, -v0, v4, v5
	v_div_fmas_f32 v0, v0, v1, v4
	s_delay_alu instid0(VALU_DEP_1) | instskip(NEXT) | instid1(VALU_DEP_1)
	v_div_fixup_f32 v0, v0, v233, v232
	v_fmac_f32_e32 v233, v232, v0
	s_delay_alu instid0(VALU_DEP_1) | instskip(SKIP_1) | instid1(VALU_DEP_2)
	v_div_scale_f32 v1, null, v233, v233, 1.0
	v_div_scale_f32 v232, vcc_lo, 1.0, v233, 1.0
	v_rcp_f32_e32 v4, v1
	v_nop
	s_delay_alu instid0(TRANS32_DEP_1) | instskip(NEXT) | instid1(VALU_DEP_1)
	v_fma_f32 v5, -v1, v4, 1.0
	v_fmac_f32_e32 v4, v5, v4
	s_delay_alu instid0(VALU_DEP_1) | instskip(NEXT) | instid1(VALU_DEP_1)
	v_mul_f32_e32 v5, v232, v4
	v_fma_f32 v234, -v1, v5, v232
	s_delay_alu instid0(VALU_DEP_1) | instskip(NEXT) | instid1(VALU_DEP_1)
	v_fmac_f32_e32 v5, v234, v4
	v_fma_f32 v1, -v1, v5, v232
	s_delay_alu instid0(VALU_DEP_1) | instskip(NEXT) | instid1(VALU_DEP_1)
	v_div_fmas_f32 v1, v1, v4, v5
	v_div_fixup_f32 v1, v1, v233, 1.0
                                        ; implicit-def: $vgpr232_vgpr233
	s_delay_alu instid0(VALU_DEP_1)
	v_mul_f32_e32 v234, v0, v1
	v_xor_b32_e32 v235, 0x80000000, v1
.LBB81_302:
	s_and_not1_saveexec_b32 s1, s1
	s_cbranch_execz .LBB81_304
; %bb.303:
	v_div_scale_f32 v0, null, v232, v232, v233
	v_div_scale_f32 v5, vcc_lo, v233, v232, v233
	s_delay_alu instid0(VALU_DEP_2) | instskip(SKIP_1) | instid1(TRANS32_DEP_1)
	v_rcp_f32_e32 v1, v0
	v_nop
	v_fma_f32 v4, -v0, v1, 1.0
	s_delay_alu instid0(VALU_DEP_1) | instskip(NEXT) | instid1(VALU_DEP_1)
	v_fmac_f32_e32 v1, v4, v1
	v_mul_f32_e32 v4, v5, v1
	s_delay_alu instid0(VALU_DEP_1) | instskip(NEXT) | instid1(VALU_DEP_1)
	v_fma_f32 v234, -v0, v4, v5
	v_fmac_f32_e32 v4, v234, v1
	s_delay_alu instid0(VALU_DEP_1) | instskip(NEXT) | instid1(VALU_DEP_1)
	v_fma_f32 v0, -v0, v4, v5
	v_div_fmas_f32 v0, v0, v1, v4
	s_delay_alu instid0(VALU_DEP_1) | instskip(NEXT) | instid1(VALU_DEP_1)
	v_div_fixup_f32 v0, v0, v232, v233
	v_fmac_f32_e32 v232, v233, v0
	s_delay_alu instid0(VALU_DEP_1) | instskip(NEXT) | instid1(VALU_DEP_1)
	v_div_scale_f32 v1, null, v232, v232, 1.0
	v_rcp_f32_e32 v4, v1
	v_nop
	s_delay_alu instid0(TRANS32_DEP_1) | instskip(NEXT) | instid1(VALU_DEP_1)
	v_fma_f32 v5, -v1, v4, 1.0
	v_fmac_f32_e32 v4, v5, v4
	v_div_scale_f32 v5, vcc_lo, 1.0, v232, 1.0
	s_delay_alu instid0(VALU_DEP_1) | instskip(NEXT) | instid1(VALU_DEP_1)
	v_mul_f32_e32 v233, v5, v4
	v_fma_f32 v234, -v1, v233, v5
	s_delay_alu instid0(VALU_DEP_1) | instskip(NEXT) | instid1(VALU_DEP_1)
	v_fmac_f32_e32 v233, v234, v4
	v_fma_f32 v1, -v1, v233, v5
	s_delay_alu instid0(VALU_DEP_1) | instskip(NEXT) | instid1(VALU_DEP_1)
	v_div_fmas_f32 v1, v1, v4, v233
	v_div_fixup_f32 v234, v1, v232, 1.0
	s_delay_alu instid0(VALU_DEP_1)
	v_mul_f32_e64 v235, v0, -v234
.LBB81_304:
	s_or_b32 exec_lo, exec_lo, s1
	ds_store_b64 v249, v[234:235]
.LBB81_305:
	s_or_b32 exec_lo, exec_lo, s2
	s_wait_dscnt 0x0
	s_barrier_signal -1
	s_barrier_wait -1
	ds_load_b64 v[232:233], v249
	s_mov_b32 s1, exec_lo
	v_cmpx_lt_u32_e32 33, v248
	s_cbranch_execz .LBB81_307
; %bb.306:
	ds_load_2addr_b64 v[236:239], v250 offset0:34 offset1:35
	s_wait_dscnt 0x1
	v_pk_mul_f32 v[0:1], v[232:233], v[152:153] op_sel:[1,1] op_sel_hi:[0,1]
	s_delay_alu instid0(VALU_DEP_1) | instskip(SKIP_1) | instid1(VALU_DEP_1)
	v_pk_fma_f32 v[234:235], v[232:233], v[152:153], v[0:1] op_sel_hi:[1,0,1] neg_lo:[0,0,1] neg_hi:[0,0,1]
	v_pk_fma_f32 v[0:1], v[232:233], v[152:153], v[0:1] op_sel_hi:[1,0,1]
	v_dual_mov_b32 v152, v234 :: v_dual_mov_b32 v153, v1
	s_wait_dscnt 0x0
	s_delay_alu instid0(VALU_DEP_2) | instskip(NEXT) | instid1(VALU_DEP_1)
	v_pk_mul_f32 v[240:241], v[236:237], v[0:1] op_sel:[0,1]
	v_pk_fma_f32 v[242:243], v[236:237], v[234:235], v[240:241] op_sel:[0,0,1] op_sel_hi:[1,1,0] neg_lo:[0,0,1] neg_hi:[0,0,1]
	v_pk_fma_f32 v[236:237], v[236:237], v[234:235], v[240:241] op_sel:[0,0,1] op_sel_hi:[1,0,0]
	s_delay_alu instid0(VALU_DEP_1) | instskip(SKIP_1) | instid1(VALU_DEP_1)
	v_mov_b32_e32 v243, v237
	v_pk_mul_f32 v[236:237], v[238:239], v[0:1] op_sel:[0,1]
	v_pk_fma_f32 v[240:241], v[238:239], v[234:235], v[236:237] op_sel:[0,0,1] op_sel_hi:[1,1,0] neg_lo:[0,0,1] neg_hi:[0,0,1]
	v_pk_fma_f32 v[236:237], v[238:239], v[234:235], v[236:237] op_sel:[0,0,1] op_sel_hi:[1,0,0]
	s_delay_alu instid0(VALU_DEP_1)
	v_mov_b32_e32 v241, v237
	ds_load_2addr_b64 v[236:239], v250 offset0:36 offset1:37
	v_pk_add_f32 v[158:159], v[158:159], v[242:243] neg_lo:[0,1] neg_hi:[0,1]
	v_pk_add_f32 v[150:151], v[150:151], v[240:241] neg_lo:[0,1] neg_hi:[0,1]
	s_wait_dscnt 0x0
	v_pk_mul_f32 v[240:241], v[236:237], v[0:1] op_sel:[0,1]
	s_delay_alu instid0(VALU_DEP_1) | instskip(SKIP_2) | instid1(VALU_DEP_2)
	v_pk_fma_f32 v[242:243], v[236:237], v[234:235], v[240:241] op_sel:[0,0,1] op_sel_hi:[1,1,0] neg_lo:[0,0,1] neg_hi:[0,0,1]
	v_pk_fma_f32 v[236:237], v[236:237], v[234:235], v[240:241] op_sel:[0,0,1] op_sel_hi:[1,0,0]
	v_dual_mul_f32 v240, v239, v1 :: v_dual_mov_b32 v236, v239
	v_dual_mov_b32 v243, v237 :: v_dual_mov_b32 v237, v238
	s_delay_alu instid0(VALU_DEP_2) | instskip(SKIP_1) | instid1(VALU_DEP_3)
	v_pk_fma_f32 v[240:241], v[238:239], v[152:153], v[240:241] op_sel_hi:[1,1,0] neg_lo:[0,0,1] neg_hi:[0,0,1]
	v_mul_f32_e32 v238, v239, v234
	v_pk_add_f32 v[156:157], v[156:157], v[242:243] neg_lo:[0,1] neg_hi:[0,1]
	s_delay_alu instid0(VALU_DEP_2) | instskip(NEXT) | instid1(VALU_DEP_1)
	v_pk_fma_f32 v[236:237], v[236:237], v[152:153], v[238:239] op_sel_hi:[1,1,0]
	v_mov_b32_e32 v241, v237
	ds_load_2addr_b64 v[236:239], v250 offset0:38 offset1:39
	v_pk_add_f32 v[148:149], v[148:149], v[240:241] neg_lo:[0,1] neg_hi:[0,1]
	s_wait_dscnt 0x0
	v_pk_mul_f32 v[240:241], v[236:237], v[0:1] op_sel:[0,1]
	s_delay_alu instid0(VALU_DEP_1) | instskip(SKIP_1) | instid1(VALU_DEP_1)
	v_pk_fma_f32 v[242:243], v[236:237], v[234:235], v[240:241] op_sel:[0,0,1] op_sel_hi:[1,1,0] neg_lo:[0,0,1] neg_hi:[0,0,1]
	v_pk_fma_f32 v[236:237], v[236:237], v[234:235], v[240:241] op_sel:[0,0,1] op_sel_hi:[1,0,0]
	v_mov_b32_e32 v243, v237
	v_pk_mul_f32 v[236:237], v[238:239], v[0:1] op_sel:[0,1]
	s_delay_alu instid0(VALU_DEP_1) | instskip(SKIP_1) | instid1(VALU_DEP_1)
	v_pk_fma_f32 v[240:241], v[238:239], v[234:235], v[236:237] op_sel:[0,0,1] op_sel_hi:[1,1,0] neg_lo:[0,0,1] neg_hi:[0,0,1]
	v_pk_fma_f32 v[236:237], v[238:239], v[234:235], v[236:237] op_sel:[0,0,1] op_sel_hi:[1,0,0]
	v_mov_b32_e32 v241, v237
	ds_load_b64 v[236:237], v250 offset:320
	v_pk_add_f32 v[154:155], v[154:155], v[242:243] neg_lo:[0,1] neg_hi:[0,1]
	v_pk_add_f32 v[162:163], v[162:163], v[240:241] neg_lo:[0,1] neg_hi:[0,1]
	s_wait_dscnt 0x0
	v_pk_mul_f32 v[0:1], v[236:237], v[0:1] op_sel:[0,1]
	s_delay_alu instid0(VALU_DEP_1) | instskip(SKIP_1) | instid1(VALU_DEP_1)
	v_pk_fma_f32 v[238:239], v[236:237], v[234:235], v[0:1] op_sel:[0,0,1] op_sel_hi:[1,1,0] neg_lo:[0,0,1] neg_hi:[0,0,1]
	v_pk_fma_f32 v[0:1], v[236:237], v[234:235], v[0:1] op_sel:[0,0,1] op_sel_hi:[1,0,0]
	v_mov_b32_e32 v239, v1
	s_delay_alu instid0(VALU_DEP_1)
	v_pk_add_f32 v[164:165], v[164:165], v[238:239] neg_lo:[0,1] neg_hi:[0,1]
.LBB81_307:
	s_or_b32 exec_lo, exec_lo, s1
	s_delay_alu instid0(SALU_CYCLE_1)
	s_mov_b32 s2, exec_lo
	s_wait_dscnt 0x0
	s_barrier_signal -1
	s_barrier_wait -1
	v_cmpx_eq_u32_e32 34, v248
	s_cbranch_execz .LBB81_314
; %bb.308:
	ds_store_b64 v249, v[158:159]
	ds_store_2addr_b64 v250, v[150:151], v[156:157] offset0:35 offset1:36
	ds_store_2addr_b64 v250, v[148:149], v[154:155] offset0:37 offset1:38
	;; [unrolled: 1-line block ×3, first 2 shown]
	ds_load_b64 v[234:235], v249
	s_wait_dscnt 0x0
	v_cmp_neq_f32_e32 vcc_lo, 0, v234
	v_cmp_neq_f32_e64 s1, 0, v235
	s_or_b32 s1, vcc_lo, s1
	s_delay_alu instid0(SALU_CYCLE_1)
	s_and_b32 exec_lo, exec_lo, s1
	s_cbranch_execz .LBB81_314
; %bb.309:
	v_cmp_ngt_f32_e64 s1, |v234|, |v235|
                                        ; implicit-def: $vgpr236_vgpr237
	s_and_saveexec_b32 s4, s1
	s_delay_alu instid0(SALU_CYCLE_1)
	s_xor_b32 s1, exec_lo, s4
	s_cbranch_execz .LBB81_311
; %bb.310:
	v_div_scale_f32 v0, null, v235, v235, v234
	v_div_scale_f32 v5, vcc_lo, v234, v235, v234
	s_delay_alu instid0(VALU_DEP_2) | instskip(SKIP_1) | instid1(TRANS32_DEP_1)
	v_rcp_f32_e32 v1, v0
	v_nop
	v_fma_f32 v4, -v0, v1, 1.0
	s_delay_alu instid0(VALU_DEP_1) | instskip(NEXT) | instid1(VALU_DEP_1)
	v_fmac_f32_e32 v1, v4, v1
	v_mul_f32_e32 v4, v5, v1
	s_delay_alu instid0(VALU_DEP_1) | instskip(NEXT) | instid1(VALU_DEP_1)
	v_fma_f32 v236, -v0, v4, v5
	v_fmac_f32_e32 v4, v236, v1
	s_delay_alu instid0(VALU_DEP_1) | instskip(NEXT) | instid1(VALU_DEP_1)
	v_fma_f32 v0, -v0, v4, v5
	v_div_fmas_f32 v0, v0, v1, v4
	s_delay_alu instid0(VALU_DEP_1) | instskip(NEXT) | instid1(VALU_DEP_1)
	v_div_fixup_f32 v0, v0, v235, v234
	v_fmac_f32_e32 v235, v234, v0
	s_delay_alu instid0(VALU_DEP_1) | instskip(SKIP_1) | instid1(VALU_DEP_2)
	v_div_scale_f32 v1, null, v235, v235, 1.0
	v_div_scale_f32 v234, vcc_lo, 1.0, v235, 1.0
	v_rcp_f32_e32 v4, v1
	v_nop
	s_delay_alu instid0(TRANS32_DEP_1) | instskip(NEXT) | instid1(VALU_DEP_1)
	v_fma_f32 v5, -v1, v4, 1.0
	v_fmac_f32_e32 v4, v5, v4
	s_delay_alu instid0(VALU_DEP_1) | instskip(NEXT) | instid1(VALU_DEP_1)
	v_mul_f32_e32 v5, v234, v4
	v_fma_f32 v236, -v1, v5, v234
	s_delay_alu instid0(VALU_DEP_1) | instskip(NEXT) | instid1(VALU_DEP_1)
	v_fmac_f32_e32 v5, v236, v4
	v_fma_f32 v1, -v1, v5, v234
	s_delay_alu instid0(VALU_DEP_1) | instskip(NEXT) | instid1(VALU_DEP_1)
	v_div_fmas_f32 v1, v1, v4, v5
	v_div_fixup_f32 v1, v1, v235, 1.0
                                        ; implicit-def: $vgpr234_vgpr235
	s_delay_alu instid0(VALU_DEP_1)
	v_mul_f32_e32 v236, v0, v1
	v_xor_b32_e32 v237, 0x80000000, v1
.LBB81_311:
	s_and_not1_saveexec_b32 s1, s1
	s_cbranch_execz .LBB81_313
; %bb.312:
	v_div_scale_f32 v0, null, v234, v234, v235
	v_div_scale_f32 v5, vcc_lo, v235, v234, v235
	s_delay_alu instid0(VALU_DEP_2) | instskip(SKIP_1) | instid1(TRANS32_DEP_1)
	v_rcp_f32_e32 v1, v0
	v_nop
	v_fma_f32 v4, -v0, v1, 1.0
	s_delay_alu instid0(VALU_DEP_1) | instskip(NEXT) | instid1(VALU_DEP_1)
	v_fmac_f32_e32 v1, v4, v1
	v_mul_f32_e32 v4, v5, v1
	s_delay_alu instid0(VALU_DEP_1) | instskip(NEXT) | instid1(VALU_DEP_1)
	v_fma_f32 v236, -v0, v4, v5
	v_fmac_f32_e32 v4, v236, v1
	s_delay_alu instid0(VALU_DEP_1) | instskip(NEXT) | instid1(VALU_DEP_1)
	v_fma_f32 v0, -v0, v4, v5
	v_div_fmas_f32 v0, v0, v1, v4
	s_delay_alu instid0(VALU_DEP_1) | instskip(NEXT) | instid1(VALU_DEP_1)
	v_div_fixup_f32 v0, v0, v234, v235
	v_fmac_f32_e32 v234, v235, v0
	s_delay_alu instid0(VALU_DEP_1) | instskip(NEXT) | instid1(VALU_DEP_1)
	v_div_scale_f32 v1, null, v234, v234, 1.0
	v_rcp_f32_e32 v4, v1
	v_nop
	s_delay_alu instid0(TRANS32_DEP_1) | instskip(NEXT) | instid1(VALU_DEP_1)
	v_fma_f32 v5, -v1, v4, 1.0
	v_fmac_f32_e32 v4, v5, v4
	v_div_scale_f32 v5, vcc_lo, 1.0, v234, 1.0
	s_delay_alu instid0(VALU_DEP_1) | instskip(NEXT) | instid1(VALU_DEP_1)
	v_mul_f32_e32 v235, v5, v4
	v_fma_f32 v236, -v1, v235, v5
	s_delay_alu instid0(VALU_DEP_1) | instskip(NEXT) | instid1(VALU_DEP_1)
	v_fmac_f32_e32 v235, v236, v4
	v_fma_f32 v1, -v1, v235, v5
	s_delay_alu instid0(VALU_DEP_1) | instskip(NEXT) | instid1(VALU_DEP_1)
	v_div_fmas_f32 v1, v1, v4, v235
	v_div_fixup_f32 v236, v1, v234, 1.0
	s_delay_alu instid0(VALU_DEP_1)
	v_mul_f32_e64 v237, v0, -v236
.LBB81_313:
	s_or_b32 exec_lo, exec_lo, s1
	ds_store_b64 v249, v[236:237]
.LBB81_314:
	s_or_b32 exec_lo, exec_lo, s2
	s_wait_dscnt 0x0
	s_barrier_signal -1
	s_barrier_wait -1
	ds_load_b64 v[234:235], v249
	s_mov_b32 s1, exec_lo
	v_cmpx_lt_u32_e32 34, v248
	s_cbranch_execz .LBB81_316
; %bb.315:
	ds_load_2addr_b64 v[236:239], v250 offset0:35 offset1:36
	s_wait_dscnt 0x1
	v_pk_mul_f32 v[0:1], v[234:235], v[158:159] op_sel:[1,1] op_sel_hi:[0,1]
	s_delay_alu instid0(VALU_DEP_1) | instskip(SKIP_1) | instid1(VALU_DEP_1)
	v_pk_fma_f32 v[240:241], v[234:235], v[158:159], v[0:1] op_sel_hi:[1,0,1] neg_lo:[0,0,1] neg_hi:[0,0,1]
	v_pk_fma_f32 v[0:1], v[234:235], v[158:159], v[0:1] op_sel_hi:[1,0,1]
	v_dual_mov_b32 v158, v240 :: v_dual_mov_b32 v159, v1
	s_wait_dscnt 0x0
	s_delay_alu instid0(VALU_DEP_2) | instskip(NEXT) | instid1(VALU_DEP_1)
	v_pk_mul_f32 v[242:243], v[236:237], v[0:1] op_sel:[0,1]
	v_pk_fma_f32 v[244:245], v[236:237], v[240:241], v[242:243] op_sel:[0,0,1] op_sel_hi:[1,1,0] neg_lo:[0,0,1] neg_hi:[0,0,1]
	v_pk_fma_f32 v[236:237], v[236:237], v[240:241], v[242:243] op_sel:[0,0,1] op_sel_hi:[1,0,0]
	s_delay_alu instid0(VALU_DEP_1) | instskip(SKIP_1) | instid1(VALU_DEP_1)
	v_mov_b32_e32 v245, v237
	v_pk_mul_f32 v[236:237], v[238:239], v[0:1] op_sel:[0,1]
	v_pk_fma_f32 v[242:243], v[238:239], v[240:241], v[236:237] op_sel:[0,0,1] op_sel_hi:[1,1,0] neg_lo:[0,0,1] neg_hi:[0,0,1]
	v_pk_fma_f32 v[236:237], v[238:239], v[240:241], v[236:237] op_sel:[0,0,1] op_sel_hi:[1,0,0]
	s_delay_alu instid0(VALU_DEP_1)
	v_mov_b32_e32 v243, v237
	ds_load_2addr_b64 v[236:239], v250 offset0:37 offset1:38
	v_pk_add_f32 v[150:151], v[150:151], v[244:245] neg_lo:[0,1] neg_hi:[0,1]
	v_pk_add_f32 v[156:157], v[156:157], v[242:243] neg_lo:[0,1] neg_hi:[0,1]
	s_wait_dscnt 0x0
	v_pk_mul_f32 v[242:243], v[236:237], v[0:1] op_sel:[0,1]
	s_delay_alu instid0(VALU_DEP_1) | instskip(SKIP_2) | instid1(VALU_DEP_2)
	v_pk_fma_f32 v[244:245], v[236:237], v[240:241], v[242:243] op_sel:[0,0,1] op_sel_hi:[1,1,0] neg_lo:[0,0,1] neg_hi:[0,0,1]
	v_pk_fma_f32 v[236:237], v[236:237], v[240:241], v[242:243] op_sel:[0,0,1] op_sel_hi:[1,0,0]
	v_dual_mul_f32 v242, v239, v1 :: v_dual_mov_b32 v236, v239
	v_dual_mov_b32 v245, v237 :: v_dual_mov_b32 v237, v238
	s_delay_alu instid0(VALU_DEP_2) | instskip(SKIP_1) | instid1(VALU_DEP_3)
	v_pk_fma_f32 v[242:243], v[238:239], v[158:159], v[242:243] op_sel_hi:[1,1,0] neg_lo:[0,0,1] neg_hi:[0,0,1]
	v_mul_f32_e32 v238, v239, v240
	v_pk_add_f32 v[148:149], v[148:149], v[244:245] neg_lo:[0,1] neg_hi:[0,1]
	s_delay_alu instid0(VALU_DEP_2) | instskip(NEXT) | instid1(VALU_DEP_1)
	v_pk_fma_f32 v[236:237], v[236:237], v[158:159], v[238:239] op_sel_hi:[1,1,0]
	v_mov_b32_e32 v243, v237
	ds_load_2addr_b64 v[236:239], v250 offset0:39 offset1:40
	v_pk_add_f32 v[154:155], v[154:155], v[242:243] neg_lo:[0,1] neg_hi:[0,1]
	s_wait_dscnt 0x0
	v_pk_mul_f32 v[242:243], v[236:237], v[0:1] op_sel:[0,1]
	v_mul_f32_e32 v0, v239, v1
	s_delay_alu instid0(VALU_DEP_2) | instskip(SKIP_2) | instid1(VALU_DEP_4)
	v_pk_fma_f32 v[244:245], v[236:237], v[240:241], v[242:243] op_sel:[0,0,1] op_sel_hi:[1,1,0] neg_lo:[0,0,1] neg_hi:[0,0,1]
	v_pk_fma_f32 v[236:237], v[236:237], v[240:241], v[242:243] op_sel:[0,0,1] op_sel_hi:[1,0,0]
	v_mov_b32_e32 v236, v239
	v_pk_fma_f32 v[0:1], v[238:239], v[158:159], v[0:1] op_sel_hi:[1,1,0] neg_lo:[0,0,1] neg_hi:[0,0,1]
	s_delay_alu instid0(VALU_DEP_3) | instskip(SKIP_1) | instid1(VALU_DEP_2)
	v_dual_mov_b32 v245, v237 :: v_dual_mov_b32 v237, v238
	v_mul_f32_e32 v238, v239, v240
	v_pk_add_f32 v[162:163], v[162:163], v[244:245] neg_lo:[0,1] neg_hi:[0,1]
	s_delay_alu instid0(VALU_DEP_2) | instskip(NEXT) | instid1(VALU_DEP_1)
	v_pk_fma_f32 v[236:237], v[236:237], v[158:159], v[238:239] op_sel_hi:[1,1,0]
	v_mov_b32_e32 v1, v237
	s_delay_alu instid0(VALU_DEP_1)
	v_pk_add_f32 v[164:165], v[164:165], v[0:1] neg_lo:[0,1] neg_hi:[0,1]
.LBB81_316:
	s_or_b32 exec_lo, exec_lo, s1
	s_delay_alu instid0(SALU_CYCLE_1)
	s_mov_b32 s2, exec_lo
	s_wait_dscnt 0x0
	s_barrier_signal -1
	s_barrier_wait -1
	v_cmpx_eq_u32_e32 35, v248
	s_cbranch_execz .LBB81_323
; %bb.317:
	v_dual_mov_b32 v0, v156 :: v_dual_mov_b32 v1, v157
	v_dual_mov_b32 v236, v148 :: v_dual_mov_b32 v237, v149
	;; [unrolled: 1-line block ×4, first 2 shown]
	ds_store_b64 v249, v[150:151]
	ds_store_2addr_b64 v250, v[0:1], v[236:237] offset0:36 offset1:37
	ds_store_2addr_b64 v250, v[238:239], v[240:241] offset0:38 offset1:39
	ds_store_b64 v250, v[164:165] offset:320
	ds_load_b64 v[236:237], v249
	s_wait_dscnt 0x0
	v_cmp_neq_f32_e32 vcc_lo, 0, v236
	v_cmp_neq_f32_e64 s1, 0, v237
	s_or_b32 s1, vcc_lo, s1
	s_delay_alu instid0(SALU_CYCLE_1)
	s_and_b32 exec_lo, exec_lo, s1
	s_cbranch_execz .LBB81_323
; %bb.318:
	v_cmp_ngt_f32_e64 s1, |v236|, |v237|
                                        ; implicit-def: $vgpr238_vgpr239
	s_and_saveexec_b32 s4, s1
	s_delay_alu instid0(SALU_CYCLE_1)
	s_xor_b32 s1, exec_lo, s4
	s_cbranch_execz .LBB81_320
; %bb.319:
	v_div_scale_f32 v0, null, v237, v237, v236
	v_div_scale_f32 v5, vcc_lo, v236, v237, v236
	s_delay_alu instid0(VALU_DEP_2) | instskip(SKIP_1) | instid1(TRANS32_DEP_1)
	v_rcp_f32_e32 v1, v0
	v_nop
	v_fma_f32 v4, -v0, v1, 1.0
	s_delay_alu instid0(VALU_DEP_1) | instskip(NEXT) | instid1(VALU_DEP_1)
	v_fmac_f32_e32 v1, v4, v1
	v_mul_f32_e32 v4, v5, v1
	s_delay_alu instid0(VALU_DEP_1) | instskip(NEXT) | instid1(VALU_DEP_1)
	v_fma_f32 v238, -v0, v4, v5
	v_fmac_f32_e32 v4, v238, v1
	s_delay_alu instid0(VALU_DEP_1) | instskip(NEXT) | instid1(VALU_DEP_1)
	v_fma_f32 v0, -v0, v4, v5
	v_div_fmas_f32 v0, v0, v1, v4
	s_delay_alu instid0(VALU_DEP_1) | instskip(NEXT) | instid1(VALU_DEP_1)
	v_div_fixup_f32 v0, v0, v237, v236
	v_fmac_f32_e32 v237, v236, v0
	s_delay_alu instid0(VALU_DEP_1) | instskip(SKIP_1) | instid1(VALU_DEP_2)
	v_div_scale_f32 v1, null, v237, v237, 1.0
	v_div_scale_f32 v236, vcc_lo, 1.0, v237, 1.0
	v_rcp_f32_e32 v4, v1
	v_nop
	s_delay_alu instid0(TRANS32_DEP_1) | instskip(NEXT) | instid1(VALU_DEP_1)
	v_fma_f32 v5, -v1, v4, 1.0
	v_fmac_f32_e32 v4, v5, v4
	s_delay_alu instid0(VALU_DEP_1) | instskip(NEXT) | instid1(VALU_DEP_1)
	v_mul_f32_e32 v5, v236, v4
	v_fma_f32 v238, -v1, v5, v236
	s_delay_alu instid0(VALU_DEP_1) | instskip(NEXT) | instid1(VALU_DEP_1)
	v_fmac_f32_e32 v5, v238, v4
	v_fma_f32 v1, -v1, v5, v236
	s_delay_alu instid0(VALU_DEP_1) | instskip(NEXT) | instid1(VALU_DEP_1)
	v_div_fmas_f32 v1, v1, v4, v5
	v_div_fixup_f32 v1, v1, v237, 1.0
                                        ; implicit-def: $vgpr236_vgpr237
	s_delay_alu instid0(VALU_DEP_1)
	v_mul_f32_e32 v238, v0, v1
	v_xor_b32_e32 v239, 0x80000000, v1
.LBB81_320:
	s_and_not1_saveexec_b32 s1, s1
	s_cbranch_execz .LBB81_322
; %bb.321:
	v_div_scale_f32 v0, null, v236, v236, v237
	v_div_scale_f32 v5, vcc_lo, v237, v236, v237
	s_delay_alu instid0(VALU_DEP_2) | instskip(SKIP_1) | instid1(TRANS32_DEP_1)
	v_rcp_f32_e32 v1, v0
	v_nop
	v_fma_f32 v4, -v0, v1, 1.0
	s_delay_alu instid0(VALU_DEP_1) | instskip(NEXT) | instid1(VALU_DEP_1)
	v_fmac_f32_e32 v1, v4, v1
	v_mul_f32_e32 v4, v5, v1
	s_delay_alu instid0(VALU_DEP_1) | instskip(NEXT) | instid1(VALU_DEP_1)
	v_fma_f32 v238, -v0, v4, v5
	v_fmac_f32_e32 v4, v238, v1
	s_delay_alu instid0(VALU_DEP_1) | instskip(NEXT) | instid1(VALU_DEP_1)
	v_fma_f32 v0, -v0, v4, v5
	v_div_fmas_f32 v0, v0, v1, v4
	s_delay_alu instid0(VALU_DEP_1) | instskip(NEXT) | instid1(VALU_DEP_1)
	v_div_fixup_f32 v0, v0, v236, v237
	v_fmac_f32_e32 v236, v237, v0
	s_delay_alu instid0(VALU_DEP_1) | instskip(NEXT) | instid1(VALU_DEP_1)
	v_div_scale_f32 v1, null, v236, v236, 1.0
	v_rcp_f32_e32 v4, v1
	v_nop
	s_delay_alu instid0(TRANS32_DEP_1) | instskip(NEXT) | instid1(VALU_DEP_1)
	v_fma_f32 v5, -v1, v4, 1.0
	v_fmac_f32_e32 v4, v5, v4
	v_div_scale_f32 v5, vcc_lo, 1.0, v236, 1.0
	s_delay_alu instid0(VALU_DEP_1) | instskip(NEXT) | instid1(VALU_DEP_1)
	v_mul_f32_e32 v237, v5, v4
	v_fma_f32 v238, -v1, v237, v5
	s_delay_alu instid0(VALU_DEP_1) | instskip(NEXT) | instid1(VALU_DEP_1)
	v_fmac_f32_e32 v237, v238, v4
	v_fma_f32 v1, -v1, v237, v5
	s_delay_alu instid0(VALU_DEP_1) | instskip(NEXT) | instid1(VALU_DEP_1)
	v_div_fmas_f32 v1, v1, v4, v237
	v_div_fixup_f32 v238, v1, v236, 1.0
	s_delay_alu instid0(VALU_DEP_1)
	v_mul_f32_e64 v239, v0, -v238
.LBB81_322:
	s_or_b32 exec_lo, exec_lo, s1
	ds_store_b64 v249, v[238:239]
.LBB81_323:
	s_or_b32 exec_lo, exec_lo, s2
	s_wait_dscnt 0x0
	s_barrier_signal -1
	s_barrier_wait -1
	ds_load_b64 v[236:237], v249
	s_mov_b32 s1, exec_lo
	v_cmpx_lt_u32_e32 35, v248
	s_cbranch_execz .LBB81_325
; %bb.324:
	ds_load_2addr_b64 v[238:241], v250 offset0:36 offset1:37
	s_wait_dscnt 0x1
	v_pk_mul_f32 v[0:1], v[236:237], v[150:151] op_sel:[1,1] op_sel_hi:[0,1]
	s_delay_alu instid0(VALU_DEP_1) | instskip(SKIP_1) | instid1(VALU_DEP_1)
	v_pk_fma_f32 v[242:243], v[236:237], v[150:151], v[0:1] op_sel_hi:[1,0,1] neg_lo:[0,0,1] neg_hi:[0,0,1]
	v_pk_fma_f32 v[0:1], v[236:237], v[150:151], v[0:1] op_sel_hi:[1,0,1]
	v_dual_mov_b32 v150, v242 :: v_dual_mov_b32 v151, v1
	s_wait_dscnt 0x0
	s_delay_alu instid0(VALU_DEP_2) | instskip(NEXT) | instid1(VALU_DEP_1)
	v_pk_mul_f32 v[244:245], v[238:239], v[0:1] op_sel:[0,1]
	v_pk_fma_f32 v[246:247], v[238:239], v[242:243], v[244:245] op_sel:[0,0,1] op_sel_hi:[1,1,0] neg_lo:[0,0,1] neg_hi:[0,0,1]
	v_pk_fma_f32 v[238:239], v[238:239], v[242:243], v[244:245] op_sel:[0,0,1] op_sel_hi:[1,0,0]
	s_delay_alu instid0(VALU_DEP_1) | instskip(SKIP_1) | instid1(VALU_DEP_1)
	v_mov_b32_e32 v247, v239
	v_pk_mul_f32 v[238:239], v[240:241], v[0:1] op_sel:[0,1]
	v_pk_fma_f32 v[244:245], v[240:241], v[242:243], v[238:239] op_sel:[0,0,1] op_sel_hi:[1,1,0] neg_lo:[0,0,1] neg_hi:[0,0,1]
	v_pk_fma_f32 v[238:239], v[240:241], v[242:243], v[238:239] op_sel:[0,0,1] op_sel_hi:[1,0,0]
	s_delay_alu instid0(VALU_DEP_1)
	v_mov_b32_e32 v245, v239
	ds_load_2addr_b64 v[238:241], v250 offset0:38 offset1:39
	v_pk_add_f32 v[156:157], v[156:157], v[246:247] neg_lo:[0,1] neg_hi:[0,1]
	v_pk_add_f32 v[148:149], v[148:149], v[244:245] neg_lo:[0,1] neg_hi:[0,1]
	s_wait_dscnt 0x0
	v_pk_mul_f32 v[244:245], v[238:239], v[0:1] op_sel:[0,1]
	s_delay_alu instid0(VALU_DEP_1) | instskip(SKIP_2) | instid1(VALU_DEP_2)
	v_pk_fma_f32 v[246:247], v[238:239], v[242:243], v[244:245] op_sel:[0,0,1] op_sel_hi:[1,1,0] neg_lo:[0,0,1] neg_hi:[0,0,1]
	v_pk_fma_f32 v[238:239], v[238:239], v[242:243], v[244:245] op_sel:[0,0,1] op_sel_hi:[1,0,0]
	v_dual_mul_f32 v244, v241, v1 :: v_dual_mov_b32 v238, v241
	v_dual_mov_b32 v247, v239 :: v_dual_mov_b32 v239, v240
	s_delay_alu instid0(VALU_DEP_2) | instskip(SKIP_1) | instid1(VALU_DEP_3)
	v_pk_fma_f32 v[244:245], v[240:241], v[150:151], v[244:245] op_sel_hi:[1,1,0] neg_lo:[0,0,1] neg_hi:[0,0,1]
	v_mul_f32_e32 v240, v241, v242
	v_pk_add_f32 v[154:155], v[154:155], v[246:247] neg_lo:[0,1] neg_hi:[0,1]
	s_delay_alu instid0(VALU_DEP_2) | instskip(NEXT) | instid1(VALU_DEP_1)
	v_pk_fma_f32 v[238:239], v[238:239], v[150:151], v[240:241] op_sel_hi:[1,1,0]
	v_mov_b32_e32 v245, v239
	ds_load_b64 v[238:239], v250 offset:320
	v_pk_add_f32 v[162:163], v[162:163], v[244:245] neg_lo:[0,1] neg_hi:[0,1]
	s_wait_dscnt 0x0
	v_pk_mul_f32 v[0:1], v[238:239], v[0:1] op_sel:[0,1]
	s_delay_alu instid0(VALU_DEP_1) | instskip(SKIP_1) | instid1(VALU_DEP_1)
	v_pk_fma_f32 v[240:241], v[238:239], v[242:243], v[0:1] op_sel:[0,0,1] op_sel_hi:[1,1,0] neg_lo:[0,0,1] neg_hi:[0,0,1]
	v_pk_fma_f32 v[0:1], v[238:239], v[242:243], v[0:1] op_sel:[0,0,1] op_sel_hi:[1,0,0]
	v_mov_b32_e32 v241, v1
	s_delay_alu instid0(VALU_DEP_1)
	v_pk_add_f32 v[164:165], v[164:165], v[240:241] neg_lo:[0,1] neg_hi:[0,1]
.LBB81_325:
	s_or_b32 exec_lo, exec_lo, s1
	s_delay_alu instid0(SALU_CYCLE_1)
	s_mov_b32 s2, exec_lo
	s_wait_dscnt 0x0
	s_barrier_signal -1
	s_barrier_wait -1
	v_cmpx_eq_u32_e32 36, v248
	s_cbranch_execz .LBB81_332
; %bb.326:
	ds_store_b64 v249, v[156:157]
	ds_store_2addr_b64 v250, v[148:149], v[154:155] offset0:37 offset1:38
	ds_store_2addr_b64 v250, v[162:163], v[164:165] offset0:39 offset1:40
	ds_load_b64 v[238:239], v249
	s_wait_dscnt 0x0
	v_cmp_neq_f32_e32 vcc_lo, 0, v238
	v_cmp_neq_f32_e64 s1, 0, v239
	s_or_b32 s1, vcc_lo, s1
	s_delay_alu instid0(SALU_CYCLE_1)
	s_and_b32 exec_lo, exec_lo, s1
	s_cbranch_execz .LBB81_332
; %bb.327:
	v_cmp_ngt_f32_e64 s1, |v238|, |v239|
                                        ; implicit-def: $vgpr240_vgpr241
	s_and_saveexec_b32 s4, s1
	s_delay_alu instid0(SALU_CYCLE_1)
	s_xor_b32 s1, exec_lo, s4
	s_cbranch_execz .LBB81_329
; %bb.328:
	v_div_scale_f32 v0, null, v239, v239, v238
	v_div_scale_f32 v5, vcc_lo, v238, v239, v238
	s_delay_alu instid0(VALU_DEP_2) | instskip(SKIP_1) | instid1(TRANS32_DEP_1)
	v_rcp_f32_e32 v1, v0
	v_nop
	v_fma_f32 v4, -v0, v1, 1.0
	s_delay_alu instid0(VALU_DEP_1) | instskip(NEXT) | instid1(VALU_DEP_1)
	v_fmac_f32_e32 v1, v4, v1
	v_mul_f32_e32 v4, v5, v1
	s_delay_alu instid0(VALU_DEP_1) | instskip(NEXT) | instid1(VALU_DEP_1)
	v_fma_f32 v240, -v0, v4, v5
	v_fmac_f32_e32 v4, v240, v1
	s_delay_alu instid0(VALU_DEP_1) | instskip(NEXT) | instid1(VALU_DEP_1)
	v_fma_f32 v0, -v0, v4, v5
	v_div_fmas_f32 v0, v0, v1, v4
	s_delay_alu instid0(VALU_DEP_1) | instskip(NEXT) | instid1(VALU_DEP_1)
	v_div_fixup_f32 v0, v0, v239, v238
	v_fmac_f32_e32 v239, v238, v0
	s_delay_alu instid0(VALU_DEP_1) | instskip(SKIP_1) | instid1(VALU_DEP_2)
	v_div_scale_f32 v1, null, v239, v239, 1.0
	v_div_scale_f32 v238, vcc_lo, 1.0, v239, 1.0
	v_rcp_f32_e32 v4, v1
	v_nop
	s_delay_alu instid0(TRANS32_DEP_1) | instskip(NEXT) | instid1(VALU_DEP_1)
	v_fma_f32 v5, -v1, v4, 1.0
	v_fmac_f32_e32 v4, v5, v4
	s_delay_alu instid0(VALU_DEP_1) | instskip(NEXT) | instid1(VALU_DEP_1)
	v_mul_f32_e32 v5, v238, v4
	v_fma_f32 v240, -v1, v5, v238
	s_delay_alu instid0(VALU_DEP_1) | instskip(NEXT) | instid1(VALU_DEP_1)
	v_fmac_f32_e32 v5, v240, v4
	v_fma_f32 v1, -v1, v5, v238
	s_delay_alu instid0(VALU_DEP_1) | instskip(NEXT) | instid1(VALU_DEP_1)
	v_div_fmas_f32 v1, v1, v4, v5
	v_div_fixup_f32 v1, v1, v239, 1.0
                                        ; implicit-def: $vgpr238_vgpr239
	s_delay_alu instid0(VALU_DEP_1)
	v_mul_f32_e32 v240, v0, v1
	v_xor_b32_e32 v241, 0x80000000, v1
.LBB81_329:
	s_and_not1_saveexec_b32 s1, s1
	s_cbranch_execz .LBB81_331
; %bb.330:
	v_div_scale_f32 v0, null, v238, v238, v239
	v_div_scale_f32 v5, vcc_lo, v239, v238, v239
	s_delay_alu instid0(VALU_DEP_2) | instskip(SKIP_1) | instid1(TRANS32_DEP_1)
	v_rcp_f32_e32 v1, v0
	v_nop
	v_fma_f32 v4, -v0, v1, 1.0
	s_delay_alu instid0(VALU_DEP_1) | instskip(NEXT) | instid1(VALU_DEP_1)
	v_fmac_f32_e32 v1, v4, v1
	v_mul_f32_e32 v4, v5, v1
	s_delay_alu instid0(VALU_DEP_1) | instskip(NEXT) | instid1(VALU_DEP_1)
	v_fma_f32 v240, -v0, v4, v5
	v_fmac_f32_e32 v4, v240, v1
	s_delay_alu instid0(VALU_DEP_1) | instskip(NEXT) | instid1(VALU_DEP_1)
	v_fma_f32 v0, -v0, v4, v5
	v_div_fmas_f32 v0, v0, v1, v4
	s_delay_alu instid0(VALU_DEP_1) | instskip(NEXT) | instid1(VALU_DEP_1)
	v_div_fixup_f32 v0, v0, v238, v239
	v_fmac_f32_e32 v238, v239, v0
	s_delay_alu instid0(VALU_DEP_1) | instskip(NEXT) | instid1(VALU_DEP_1)
	v_div_scale_f32 v1, null, v238, v238, 1.0
	v_rcp_f32_e32 v4, v1
	v_nop
	s_delay_alu instid0(TRANS32_DEP_1) | instskip(NEXT) | instid1(VALU_DEP_1)
	v_fma_f32 v5, -v1, v4, 1.0
	v_fmac_f32_e32 v4, v5, v4
	v_div_scale_f32 v5, vcc_lo, 1.0, v238, 1.0
	s_delay_alu instid0(VALU_DEP_1) | instskip(NEXT) | instid1(VALU_DEP_1)
	v_mul_f32_e32 v239, v5, v4
	v_fma_f32 v240, -v1, v239, v5
	s_delay_alu instid0(VALU_DEP_1) | instskip(NEXT) | instid1(VALU_DEP_1)
	v_fmac_f32_e32 v239, v240, v4
	v_fma_f32 v1, -v1, v239, v5
	s_delay_alu instid0(VALU_DEP_1) | instskip(NEXT) | instid1(VALU_DEP_1)
	v_div_fmas_f32 v1, v1, v4, v239
	v_div_fixup_f32 v240, v1, v238, 1.0
	s_delay_alu instid0(VALU_DEP_1)
	v_mul_f32_e64 v241, v0, -v240
.LBB81_331:
	s_or_b32 exec_lo, exec_lo, s1
	ds_store_b64 v249, v[240:241]
.LBB81_332:
	s_or_b32 exec_lo, exec_lo, s2
	s_wait_dscnt 0x0
	s_barrier_signal -1
	s_barrier_wait -1
	ds_load_b64 v[238:239], v249
	s_mov_b32 s1, exec_lo
	v_cmpx_lt_u32_e32 36, v248
	s_cbranch_execz .LBB81_334
; %bb.333:
	ds_load_2addr_b64 v[240:243], v250 offset0:37 offset1:38
	s_wait_dscnt 0x1
	v_pk_mul_f32 v[0:1], v[238:239], v[156:157] op_sel:[1,1] op_sel_hi:[0,1]
	s_delay_alu instid0(VALU_DEP_1) | instskip(SKIP_1) | instid1(VALU_DEP_1)
	v_pk_fma_f32 v[244:245], v[238:239], v[156:157], v[0:1] op_sel_hi:[1,0,1] neg_lo:[0,0,1] neg_hi:[0,0,1]
	v_pk_fma_f32 v[0:1], v[238:239], v[156:157], v[0:1] op_sel_hi:[1,0,1]
	v_dual_mov_b32 v156, v244 :: v_dual_mov_b32 v157, v1
	s_wait_dscnt 0x0
	s_delay_alu instid0(VALU_DEP_2) | instskip(NEXT) | instid1(VALU_DEP_1)
	v_pk_mul_f32 v[246:247], v[240:241], v[0:1] op_sel:[0,1]
	v_pk_fma_f32 v[252:253], v[240:241], v[244:245], v[246:247] op_sel:[0,0,1] op_sel_hi:[1,1,0] neg_lo:[0,0,1] neg_hi:[0,0,1]
	v_pk_fma_f32 v[240:241], v[240:241], v[244:245], v[246:247] op_sel:[0,0,1] op_sel_hi:[1,0,0]
	s_delay_alu instid0(VALU_DEP_1) | instskip(SKIP_1) | instid1(VALU_DEP_1)
	v_mov_b32_e32 v253, v241
	v_pk_mul_f32 v[240:241], v[242:243], v[0:1] op_sel:[0,1]
	v_pk_fma_f32 v[246:247], v[242:243], v[244:245], v[240:241] op_sel:[0,0,1] op_sel_hi:[1,1,0] neg_lo:[0,0,1] neg_hi:[0,0,1]
	v_pk_fma_f32 v[240:241], v[242:243], v[244:245], v[240:241] op_sel:[0,0,1] op_sel_hi:[1,0,0]
	s_delay_alu instid0(VALU_DEP_1)
	v_mov_b32_e32 v247, v241
	ds_load_2addr_b64 v[240:243], v250 offset0:39 offset1:40
	v_pk_add_f32 v[148:149], v[148:149], v[252:253] neg_lo:[0,1] neg_hi:[0,1]
	v_pk_add_f32 v[154:155], v[154:155], v[246:247] neg_lo:[0,1] neg_hi:[0,1]
	s_wait_dscnt 0x0
	v_pk_mul_f32 v[246:247], v[240:241], v[0:1] op_sel:[0,1]
	s_delay_alu instid0(VALU_DEP_1) | instskip(SKIP_1) | instid1(VALU_DEP_1)
	v_pk_fma_f32 v[252:253], v[240:241], v[244:245], v[246:247] op_sel:[0,0,1] op_sel_hi:[1,1,0] neg_lo:[0,0,1] neg_hi:[0,0,1]
	v_pk_fma_f32 v[240:241], v[240:241], v[244:245], v[246:247] op_sel:[0,0,1] op_sel_hi:[1,0,0]
	v_dual_mov_b32 v240, v243 :: v_dual_mov_b32 v253, v241
	v_mov_b32_e32 v241, v242
	s_delay_alu instid0(VALU_DEP_2) | instskip(NEXT) | instid1(VALU_DEP_2)
	v_pk_add_f32 v[162:163], v[162:163], v[252:253] neg_lo:[0,1] neg_hi:[0,1]
	v_pk_mul_f32 v[0:1], v[240:241], v[0:1] op_sel:[0,1]
	s_delay_alu instid0(VALU_DEP_1) | instskip(SKIP_1) | instid1(VALU_DEP_1)
	v_pk_fma_f32 v[240:241], v[242:243], v[244:245], v[0:1] neg_lo:[0,0,1] neg_hi:[0,0,1]
	v_pk_fma_f32 v[0:1], v[242:243], v[244:245], v[0:1] op_sel_hi:[1,0,1]
	v_mov_b32_e32 v241, v1
	s_delay_alu instid0(VALU_DEP_1)
	v_pk_add_f32 v[164:165], v[164:165], v[240:241] neg_lo:[0,1] neg_hi:[0,1]
.LBB81_334:
	s_or_b32 exec_lo, exec_lo, s1
	s_delay_alu instid0(SALU_CYCLE_1)
	s_mov_b32 s2, exec_lo
	s_wait_dscnt 0x0
	s_barrier_signal -1
	s_barrier_wait -1
	v_cmpx_eq_u32_e32 37, v248
	s_cbranch_execz .LBB81_341
; %bb.335:
	v_dual_mov_b32 v0, v154 :: v_dual_mov_b32 v1, v155
	v_dual_mov_b32 v240, v162 :: v_dual_mov_b32 v241, v163
	ds_store_b64 v249, v[148:149]
	ds_store_2addr_b64 v250, v[0:1], v[240:241] offset0:38 offset1:39
	ds_store_b64 v250, v[164:165] offset:320
	ds_load_b64 v[240:241], v249
	s_wait_dscnt 0x0
	v_cmp_neq_f32_e32 vcc_lo, 0, v240
	v_cmp_neq_f32_e64 s1, 0, v241
	s_or_b32 s1, vcc_lo, s1
	s_delay_alu instid0(SALU_CYCLE_1)
	s_and_b32 exec_lo, exec_lo, s1
	s_cbranch_execz .LBB81_341
; %bb.336:
	v_cmp_ngt_f32_e64 s1, |v240|, |v241|
                                        ; implicit-def: $vgpr242_vgpr243
	s_and_saveexec_b32 s4, s1
	s_delay_alu instid0(SALU_CYCLE_1)
	s_xor_b32 s1, exec_lo, s4
	s_cbranch_execz .LBB81_338
; %bb.337:
	v_div_scale_f32 v0, null, v241, v241, v240
	v_div_scale_f32 v5, vcc_lo, v240, v241, v240
	s_delay_alu instid0(VALU_DEP_2) | instskip(SKIP_1) | instid1(TRANS32_DEP_1)
	v_rcp_f32_e32 v1, v0
	v_nop
	v_fma_f32 v4, -v0, v1, 1.0
	s_delay_alu instid0(VALU_DEP_1) | instskip(NEXT) | instid1(VALU_DEP_1)
	v_fmac_f32_e32 v1, v4, v1
	v_mul_f32_e32 v4, v5, v1
	s_delay_alu instid0(VALU_DEP_1) | instskip(NEXT) | instid1(VALU_DEP_1)
	v_fma_f32 v242, -v0, v4, v5
	v_fmac_f32_e32 v4, v242, v1
	s_delay_alu instid0(VALU_DEP_1) | instskip(NEXT) | instid1(VALU_DEP_1)
	v_fma_f32 v0, -v0, v4, v5
	v_div_fmas_f32 v0, v0, v1, v4
	s_delay_alu instid0(VALU_DEP_1) | instskip(NEXT) | instid1(VALU_DEP_1)
	v_div_fixup_f32 v0, v0, v241, v240
	v_fmac_f32_e32 v241, v240, v0
	s_delay_alu instid0(VALU_DEP_1) | instskip(SKIP_1) | instid1(VALU_DEP_2)
	v_div_scale_f32 v1, null, v241, v241, 1.0
	v_div_scale_f32 v240, vcc_lo, 1.0, v241, 1.0
	v_rcp_f32_e32 v4, v1
	v_nop
	s_delay_alu instid0(TRANS32_DEP_1) | instskip(NEXT) | instid1(VALU_DEP_1)
	v_fma_f32 v5, -v1, v4, 1.0
	v_fmac_f32_e32 v4, v5, v4
	s_delay_alu instid0(VALU_DEP_1) | instskip(NEXT) | instid1(VALU_DEP_1)
	v_mul_f32_e32 v5, v240, v4
	v_fma_f32 v242, -v1, v5, v240
	s_delay_alu instid0(VALU_DEP_1) | instskip(NEXT) | instid1(VALU_DEP_1)
	v_fmac_f32_e32 v5, v242, v4
	v_fma_f32 v1, -v1, v5, v240
	s_delay_alu instid0(VALU_DEP_1) | instskip(NEXT) | instid1(VALU_DEP_1)
	v_div_fmas_f32 v1, v1, v4, v5
	v_div_fixup_f32 v1, v1, v241, 1.0
                                        ; implicit-def: $vgpr240_vgpr241
	s_delay_alu instid0(VALU_DEP_1)
	v_mul_f32_e32 v242, v0, v1
	v_xor_b32_e32 v243, 0x80000000, v1
.LBB81_338:
	s_and_not1_saveexec_b32 s1, s1
	s_cbranch_execz .LBB81_340
; %bb.339:
	v_div_scale_f32 v0, null, v240, v240, v241
	v_div_scale_f32 v5, vcc_lo, v241, v240, v241
	s_delay_alu instid0(VALU_DEP_2) | instskip(SKIP_1) | instid1(TRANS32_DEP_1)
	v_rcp_f32_e32 v1, v0
	v_nop
	v_fma_f32 v4, -v0, v1, 1.0
	s_delay_alu instid0(VALU_DEP_1) | instskip(NEXT) | instid1(VALU_DEP_1)
	v_fmac_f32_e32 v1, v4, v1
	v_mul_f32_e32 v4, v5, v1
	s_delay_alu instid0(VALU_DEP_1) | instskip(NEXT) | instid1(VALU_DEP_1)
	v_fma_f32 v242, -v0, v4, v5
	v_fmac_f32_e32 v4, v242, v1
	s_delay_alu instid0(VALU_DEP_1) | instskip(NEXT) | instid1(VALU_DEP_1)
	v_fma_f32 v0, -v0, v4, v5
	v_div_fmas_f32 v0, v0, v1, v4
	s_delay_alu instid0(VALU_DEP_1) | instskip(NEXT) | instid1(VALU_DEP_1)
	v_div_fixup_f32 v0, v0, v240, v241
	v_fmac_f32_e32 v240, v241, v0
	s_delay_alu instid0(VALU_DEP_1) | instskip(NEXT) | instid1(VALU_DEP_1)
	v_div_scale_f32 v1, null, v240, v240, 1.0
	v_rcp_f32_e32 v4, v1
	v_nop
	s_delay_alu instid0(TRANS32_DEP_1) | instskip(NEXT) | instid1(VALU_DEP_1)
	v_fma_f32 v5, -v1, v4, 1.0
	v_fmac_f32_e32 v4, v5, v4
	v_div_scale_f32 v5, vcc_lo, 1.0, v240, 1.0
	s_delay_alu instid0(VALU_DEP_1) | instskip(NEXT) | instid1(VALU_DEP_1)
	v_mul_f32_e32 v241, v5, v4
	v_fma_f32 v242, -v1, v241, v5
	s_delay_alu instid0(VALU_DEP_1) | instskip(NEXT) | instid1(VALU_DEP_1)
	v_fmac_f32_e32 v241, v242, v4
	v_fma_f32 v1, -v1, v241, v5
	s_delay_alu instid0(VALU_DEP_1) | instskip(NEXT) | instid1(VALU_DEP_1)
	v_div_fmas_f32 v1, v1, v4, v241
	v_div_fixup_f32 v242, v1, v240, 1.0
	s_delay_alu instid0(VALU_DEP_1)
	v_mul_f32_e64 v243, v0, -v242
.LBB81_340:
	s_or_b32 exec_lo, exec_lo, s1
	ds_store_b64 v249, v[242:243]
.LBB81_341:
	s_or_b32 exec_lo, exec_lo, s2
	s_wait_dscnt 0x0
	s_barrier_signal -1
	s_barrier_wait -1
	ds_load_b64 v[240:241], v249
	s_mov_b32 s1, exec_lo
	v_cmpx_lt_u32_e32 37, v248
	s_cbranch_execz .LBB81_343
; %bb.342:
	ds_load_2addr_b64 v[242:245], v250 offset0:38 offset1:39
	s_wait_dscnt 0x1
	v_pk_mul_f32 v[0:1], v[240:241], v[148:149] op_sel:[1,1] op_sel_hi:[0,1]
	s_delay_alu instid0(VALU_DEP_1) | instskip(SKIP_1) | instid1(VALU_DEP_1)
	v_pk_fma_f32 v[246:247], v[240:241], v[148:149], v[0:1] op_sel_hi:[1,0,1] neg_lo:[0,0,1] neg_hi:[0,0,1]
	v_pk_fma_f32 v[0:1], v[240:241], v[148:149], v[0:1] op_sel_hi:[1,0,1]
	v_dual_mov_b32 v148, v246 :: v_dual_mov_b32 v149, v1
	s_wait_dscnt 0x0
	s_delay_alu instid0(VALU_DEP_2) | instskip(NEXT) | instid1(VALU_DEP_1)
	v_pk_mul_f32 v[252:253], v[242:243], v[0:1] op_sel:[0,1]
	v_pk_fma_f32 v[254:255], v[242:243], v[246:247], v[252:253] op_sel:[0,0,1] op_sel_hi:[1,1,0] neg_lo:[0,0,1] neg_hi:[0,0,1]
	v_pk_fma_f32 v[242:243], v[242:243], v[246:247], v[252:253] op_sel:[0,0,1] op_sel_hi:[1,0,0]
	s_delay_alu instid0(VALU_DEP_1) | instskip(SKIP_1) | instid1(VALU_DEP_1)
	v_mov_b32_e32 v255, v243
	v_pk_mul_f32 v[242:243], v[244:245], v[0:1] op_sel:[0,1]
	v_pk_fma_f32 v[252:253], v[244:245], v[246:247], v[242:243] op_sel:[0,0,1] op_sel_hi:[1,1,0] neg_lo:[0,0,1] neg_hi:[0,0,1]
	v_pk_fma_f32 v[242:243], v[244:245], v[246:247], v[242:243] op_sel:[0,0,1] op_sel_hi:[1,0,0]
	s_delay_alu instid0(VALU_DEP_1)
	v_mov_b32_e32 v253, v243
	ds_load_b64 v[242:243], v250 offset:320
	v_pk_add_f32 v[154:155], v[154:155], v[254:255] neg_lo:[0,1] neg_hi:[0,1]
	v_pk_add_f32 v[162:163], v[162:163], v[252:253] neg_lo:[0,1] neg_hi:[0,1]
	s_wait_dscnt 0x0
	v_pk_mul_f32 v[0:1], v[242:243], v[0:1] op_sel:[1,1] op_sel_hi:[0,1]
	s_delay_alu instid0(VALU_DEP_1) | instskip(SKIP_1) | instid1(VALU_DEP_1)
	v_pk_fma_f32 v[244:245], v[242:243], v[246:247], v[0:1] neg_lo:[0,0,1] neg_hi:[0,0,1]
	v_pk_fma_f32 v[0:1], v[242:243], v[246:247], v[0:1] op_sel_hi:[1,0,1]
	v_mov_b32_e32 v245, v1
	s_delay_alu instid0(VALU_DEP_1)
	v_pk_add_f32 v[164:165], v[164:165], v[244:245] neg_lo:[0,1] neg_hi:[0,1]
.LBB81_343:
	s_or_b32 exec_lo, exec_lo, s1
	s_delay_alu instid0(SALU_CYCLE_1)
	s_mov_b32 s2, exec_lo
	s_wait_dscnt 0x0
	s_barrier_signal -1
	s_barrier_wait -1
	v_cmpx_eq_u32_e32 38, v248
	s_cbranch_execz .LBB81_350
; %bb.344:
	ds_store_b64 v249, v[154:155]
	ds_store_2addr_b64 v250, v[162:163], v[164:165] offset0:39 offset1:40
	ds_load_b64 v[242:243], v249
	s_wait_dscnt 0x0
	v_cmp_neq_f32_e32 vcc_lo, 0, v242
	v_cmp_neq_f32_e64 s1, 0, v243
	s_or_b32 s1, vcc_lo, s1
	s_delay_alu instid0(SALU_CYCLE_1)
	s_and_b32 exec_lo, exec_lo, s1
	s_cbranch_execz .LBB81_350
; %bb.345:
	v_cmp_ngt_f32_e64 s1, |v242|, |v243|
                                        ; implicit-def: $vgpr244_vgpr245
	s_and_saveexec_b32 s4, s1
	s_delay_alu instid0(SALU_CYCLE_1)
	s_xor_b32 s1, exec_lo, s4
	s_cbranch_execz .LBB81_347
; %bb.346:
	v_div_scale_f32 v0, null, v243, v243, v242
	v_div_scale_f32 v5, vcc_lo, v242, v243, v242
	s_delay_alu instid0(VALU_DEP_2) | instskip(SKIP_1) | instid1(TRANS32_DEP_1)
	v_rcp_f32_e32 v1, v0
	v_nop
	v_fma_f32 v4, -v0, v1, 1.0
	s_delay_alu instid0(VALU_DEP_1) | instskip(NEXT) | instid1(VALU_DEP_1)
	v_fmac_f32_e32 v1, v4, v1
	v_mul_f32_e32 v4, v5, v1
	s_delay_alu instid0(VALU_DEP_1) | instskip(NEXT) | instid1(VALU_DEP_1)
	v_fma_f32 v244, -v0, v4, v5
	v_fmac_f32_e32 v4, v244, v1
	s_delay_alu instid0(VALU_DEP_1) | instskip(NEXT) | instid1(VALU_DEP_1)
	v_fma_f32 v0, -v0, v4, v5
	v_div_fmas_f32 v0, v0, v1, v4
	s_delay_alu instid0(VALU_DEP_1) | instskip(NEXT) | instid1(VALU_DEP_1)
	v_div_fixup_f32 v0, v0, v243, v242
	v_fmac_f32_e32 v243, v242, v0
	s_delay_alu instid0(VALU_DEP_1) | instskip(SKIP_1) | instid1(VALU_DEP_2)
	v_div_scale_f32 v1, null, v243, v243, 1.0
	v_div_scale_f32 v242, vcc_lo, 1.0, v243, 1.0
	v_rcp_f32_e32 v4, v1
	v_nop
	s_delay_alu instid0(TRANS32_DEP_1) | instskip(NEXT) | instid1(VALU_DEP_1)
	v_fma_f32 v5, -v1, v4, 1.0
	v_fmac_f32_e32 v4, v5, v4
	s_delay_alu instid0(VALU_DEP_1) | instskip(NEXT) | instid1(VALU_DEP_1)
	v_mul_f32_e32 v5, v242, v4
	v_fma_f32 v244, -v1, v5, v242
	s_delay_alu instid0(VALU_DEP_1) | instskip(NEXT) | instid1(VALU_DEP_1)
	v_fmac_f32_e32 v5, v244, v4
	v_fma_f32 v1, -v1, v5, v242
	s_delay_alu instid0(VALU_DEP_1) | instskip(NEXT) | instid1(VALU_DEP_1)
	v_div_fmas_f32 v1, v1, v4, v5
	v_div_fixup_f32 v1, v1, v243, 1.0
                                        ; implicit-def: $vgpr242_vgpr243
	s_delay_alu instid0(VALU_DEP_1)
	v_mul_f32_e32 v244, v0, v1
	v_xor_b32_e32 v245, 0x80000000, v1
.LBB81_347:
	s_and_not1_saveexec_b32 s1, s1
	s_cbranch_execz .LBB81_349
; %bb.348:
	v_div_scale_f32 v0, null, v242, v242, v243
	v_div_scale_f32 v5, vcc_lo, v243, v242, v243
	s_delay_alu instid0(VALU_DEP_2) | instskip(SKIP_1) | instid1(TRANS32_DEP_1)
	v_rcp_f32_e32 v1, v0
	v_nop
	v_fma_f32 v4, -v0, v1, 1.0
	s_delay_alu instid0(VALU_DEP_1) | instskip(NEXT) | instid1(VALU_DEP_1)
	v_fmac_f32_e32 v1, v4, v1
	v_mul_f32_e32 v4, v5, v1
	s_delay_alu instid0(VALU_DEP_1) | instskip(NEXT) | instid1(VALU_DEP_1)
	v_fma_f32 v244, -v0, v4, v5
	v_fmac_f32_e32 v4, v244, v1
	s_delay_alu instid0(VALU_DEP_1) | instskip(NEXT) | instid1(VALU_DEP_1)
	v_fma_f32 v0, -v0, v4, v5
	v_div_fmas_f32 v0, v0, v1, v4
	s_delay_alu instid0(VALU_DEP_1) | instskip(NEXT) | instid1(VALU_DEP_1)
	v_div_fixup_f32 v0, v0, v242, v243
	v_fmac_f32_e32 v242, v243, v0
	s_delay_alu instid0(VALU_DEP_1) | instskip(NEXT) | instid1(VALU_DEP_1)
	v_div_scale_f32 v1, null, v242, v242, 1.0
	v_rcp_f32_e32 v4, v1
	v_nop
	s_delay_alu instid0(TRANS32_DEP_1) | instskip(NEXT) | instid1(VALU_DEP_1)
	v_fma_f32 v5, -v1, v4, 1.0
	v_fmac_f32_e32 v4, v5, v4
	v_div_scale_f32 v5, vcc_lo, 1.0, v242, 1.0
	s_delay_alu instid0(VALU_DEP_1) | instskip(NEXT) | instid1(VALU_DEP_1)
	v_mul_f32_e32 v243, v5, v4
	v_fma_f32 v244, -v1, v243, v5
	s_delay_alu instid0(VALU_DEP_1) | instskip(NEXT) | instid1(VALU_DEP_1)
	v_fmac_f32_e32 v243, v244, v4
	v_fma_f32 v1, -v1, v243, v5
	s_delay_alu instid0(VALU_DEP_1) | instskip(NEXT) | instid1(VALU_DEP_1)
	v_div_fmas_f32 v1, v1, v4, v243
	v_div_fixup_f32 v244, v1, v242, 1.0
	s_delay_alu instid0(VALU_DEP_1)
	v_mul_f32_e64 v245, v0, -v244
.LBB81_349:
	s_or_b32 exec_lo, exec_lo, s1
	ds_store_b64 v249, v[244:245]
.LBB81_350:
	s_or_b32 exec_lo, exec_lo, s2
	s_wait_dscnt 0x0
	s_barrier_signal -1
	s_barrier_wait -1
	ds_load_b64 v[242:243], v249
	s_mov_b32 s1, exec_lo
	v_cmpx_lt_u32_e32 38, v248
	s_cbranch_execz .LBB81_352
; %bb.351:
	ds_load_2addr_b64 v[244:247], v250 offset0:39 offset1:40
	s_wait_dscnt 0x1
	v_pk_mul_f32 v[0:1], v[242:243], v[154:155] op_sel:[1,1] op_sel_hi:[0,1]
	s_delay_alu instid0(VALU_DEP_1) | instskip(SKIP_1) | instid1(VALU_DEP_1)
	v_pk_fma_f32 v[252:253], v[242:243], v[154:155], v[0:1] op_sel_hi:[1,0,1] neg_lo:[0,0,1] neg_hi:[0,0,1]
	v_pk_fma_f32 v[0:1], v[242:243], v[154:155], v[0:1] op_sel_hi:[1,0,1]
	v_dual_mov_b32 v154, v252 :: v_dual_mov_b32 v155, v1
	s_wait_dscnt 0x0
	s_delay_alu instid0(VALU_DEP_2) | instskip(NEXT) | instid1(VALU_DEP_1)
	v_pk_mul_f32 v[254:255], v[244:245], v[0:1] op_sel:[0,1]
	v_pk_fma_f32 v[4:5], v[244:245], v[252:253], v[254:255] op_sel:[0,0,1] op_sel_hi:[1,1,0] neg_lo:[0,0,1] neg_hi:[0,0,1]
	v_pk_fma_f32 v[244:245], v[244:245], v[252:253], v[254:255] op_sel:[0,0,1] op_sel_hi:[1,0,0]
	s_delay_alu instid0(VALU_DEP_1) | instskip(NEXT) | instid1(VALU_DEP_1)
	v_mov_b32_e32 v5, v245
	v_pk_add_f32 v[162:163], v[162:163], v[4:5] neg_lo:[0,1] neg_hi:[0,1]
	v_dual_mov_b32 v4, v247 :: v_dual_mov_b32 v5, v246
	s_delay_alu instid0(VALU_DEP_1) | instskip(NEXT) | instid1(VALU_DEP_1)
	v_pk_mul_f32 v[0:1], v[4:5], v[0:1] op_sel:[0,1]
	v_pk_fma_f32 v[4:5], v[246:247], v[252:253], v[0:1] neg_lo:[0,0,1] neg_hi:[0,0,1]
	v_pk_fma_f32 v[0:1], v[246:247], v[252:253], v[0:1] op_sel_hi:[1,0,1]
	s_delay_alu instid0(VALU_DEP_1) | instskip(NEXT) | instid1(VALU_DEP_1)
	v_mov_b32_e32 v5, v1
	v_pk_add_f32 v[164:165], v[164:165], v[4:5] neg_lo:[0,1] neg_hi:[0,1]
.LBB81_352:
	s_or_b32 exec_lo, exec_lo, s1
	s_delay_alu instid0(SALU_CYCLE_1)
	s_mov_b32 s2, exec_lo
	s_wait_dscnt 0x0
	s_barrier_signal -1
	s_barrier_wait -1
	v_cmpx_eq_u32_e32 39, v248
	s_cbranch_execz .LBB81_359
; %bb.353:
	ds_store_b64 v249, v[162:163]
	ds_store_b64 v250, v[164:165] offset:320
	ds_load_b64 v[244:245], v249
	s_wait_dscnt 0x0
	v_cmp_neq_f32_e32 vcc_lo, 0, v244
	v_cmp_neq_f32_e64 s1, 0, v245
	s_or_b32 s1, vcc_lo, s1
	s_delay_alu instid0(SALU_CYCLE_1)
	s_and_b32 exec_lo, exec_lo, s1
	s_cbranch_execz .LBB81_359
; %bb.354:
	v_cmp_ngt_f32_e64 s1, |v244|, |v245|
                                        ; implicit-def: $vgpr246_vgpr247
	s_and_saveexec_b32 s4, s1
	s_delay_alu instid0(SALU_CYCLE_1)
	s_xor_b32 s1, exec_lo, s4
	s_cbranch_execz .LBB81_356
; %bb.355:
	v_div_scale_f32 v0, null, v245, v245, v244
	v_div_scale_f32 v5, vcc_lo, v244, v245, v244
	s_delay_alu instid0(VALU_DEP_2) | instskip(SKIP_1) | instid1(TRANS32_DEP_1)
	v_rcp_f32_e32 v1, v0
	v_nop
	v_fma_f32 v4, -v0, v1, 1.0
	s_delay_alu instid0(VALU_DEP_1) | instskip(NEXT) | instid1(VALU_DEP_1)
	v_fmac_f32_e32 v1, v4, v1
	v_mul_f32_e32 v4, v5, v1
	s_delay_alu instid0(VALU_DEP_1) | instskip(NEXT) | instid1(VALU_DEP_1)
	v_fma_f32 v246, -v0, v4, v5
	v_fmac_f32_e32 v4, v246, v1
	s_delay_alu instid0(VALU_DEP_1) | instskip(NEXT) | instid1(VALU_DEP_1)
	v_fma_f32 v0, -v0, v4, v5
	v_div_fmas_f32 v0, v0, v1, v4
	s_delay_alu instid0(VALU_DEP_1) | instskip(NEXT) | instid1(VALU_DEP_1)
	v_div_fixup_f32 v0, v0, v245, v244
	v_fmac_f32_e32 v245, v244, v0
	s_delay_alu instid0(VALU_DEP_1) | instskip(SKIP_1) | instid1(VALU_DEP_2)
	v_div_scale_f32 v1, null, v245, v245, 1.0
	v_div_scale_f32 v244, vcc_lo, 1.0, v245, 1.0
	v_rcp_f32_e32 v4, v1
	v_nop
	s_delay_alu instid0(TRANS32_DEP_1) | instskip(NEXT) | instid1(VALU_DEP_1)
	v_fma_f32 v5, -v1, v4, 1.0
	v_fmac_f32_e32 v4, v5, v4
	s_delay_alu instid0(VALU_DEP_1) | instskip(NEXT) | instid1(VALU_DEP_1)
	v_mul_f32_e32 v5, v244, v4
	v_fma_f32 v246, -v1, v5, v244
	s_delay_alu instid0(VALU_DEP_1) | instskip(NEXT) | instid1(VALU_DEP_1)
	v_fmac_f32_e32 v5, v246, v4
	v_fma_f32 v1, -v1, v5, v244
	s_delay_alu instid0(VALU_DEP_1) | instskip(NEXT) | instid1(VALU_DEP_1)
	v_div_fmas_f32 v1, v1, v4, v5
	v_div_fixup_f32 v1, v1, v245, 1.0
                                        ; implicit-def: $vgpr244_vgpr245
	s_delay_alu instid0(VALU_DEP_1)
	v_mul_f32_e32 v246, v0, v1
	v_xor_b32_e32 v247, 0x80000000, v1
.LBB81_356:
	s_and_not1_saveexec_b32 s1, s1
	s_cbranch_execz .LBB81_358
; %bb.357:
	v_div_scale_f32 v0, null, v244, v244, v245
	v_div_scale_f32 v5, vcc_lo, v245, v244, v245
	s_delay_alu instid0(VALU_DEP_2) | instskip(SKIP_1) | instid1(TRANS32_DEP_1)
	v_rcp_f32_e32 v1, v0
	v_nop
	v_fma_f32 v4, -v0, v1, 1.0
	s_delay_alu instid0(VALU_DEP_1) | instskip(NEXT) | instid1(VALU_DEP_1)
	v_fmac_f32_e32 v1, v4, v1
	v_mul_f32_e32 v4, v5, v1
	s_delay_alu instid0(VALU_DEP_1) | instskip(NEXT) | instid1(VALU_DEP_1)
	v_fma_f32 v246, -v0, v4, v5
	v_fmac_f32_e32 v4, v246, v1
	s_delay_alu instid0(VALU_DEP_1) | instskip(NEXT) | instid1(VALU_DEP_1)
	v_fma_f32 v0, -v0, v4, v5
	v_div_fmas_f32 v0, v0, v1, v4
	s_delay_alu instid0(VALU_DEP_1) | instskip(NEXT) | instid1(VALU_DEP_1)
	v_div_fixup_f32 v0, v0, v244, v245
	v_fmac_f32_e32 v244, v245, v0
	s_delay_alu instid0(VALU_DEP_1) | instskip(NEXT) | instid1(VALU_DEP_1)
	v_div_scale_f32 v1, null, v244, v244, 1.0
	v_rcp_f32_e32 v4, v1
	v_nop
	s_delay_alu instid0(TRANS32_DEP_1) | instskip(NEXT) | instid1(VALU_DEP_1)
	v_fma_f32 v5, -v1, v4, 1.0
	v_fmac_f32_e32 v4, v5, v4
	v_div_scale_f32 v5, vcc_lo, 1.0, v244, 1.0
	s_delay_alu instid0(VALU_DEP_1) | instskip(NEXT) | instid1(VALU_DEP_1)
	v_mul_f32_e32 v245, v5, v4
	v_fma_f32 v246, -v1, v245, v5
	s_delay_alu instid0(VALU_DEP_1) | instskip(NEXT) | instid1(VALU_DEP_1)
	v_fmac_f32_e32 v245, v246, v4
	v_fma_f32 v1, -v1, v245, v5
	s_delay_alu instid0(VALU_DEP_1) | instskip(NEXT) | instid1(VALU_DEP_1)
	v_div_fmas_f32 v1, v1, v4, v245
	v_div_fixup_f32 v246, v1, v244, 1.0
	s_delay_alu instid0(VALU_DEP_1)
	v_mul_f32_e64 v247, v0, -v246
.LBB81_358:
	s_or_b32 exec_lo, exec_lo, s1
	ds_store_b64 v249, v[246:247]
.LBB81_359:
	s_or_b32 exec_lo, exec_lo, s2
	s_wait_dscnt 0x0
	s_barrier_signal -1
	s_barrier_wait -1
	ds_load_b64 v[244:245], v249
	s_mov_b32 s1, exec_lo
	v_cmpx_lt_u32_e32 39, v248
	s_cbranch_execz .LBB81_361
; %bb.360:
	ds_load_b64 v[0:1], v250 offset:320
	s_wait_dscnt 0x1
	v_pk_mul_f32 v[4:5], v[244:245], v[162:163] op_sel:[1,1] op_sel_hi:[0,1]
	s_delay_alu instid0(VALU_DEP_1) | instskip(SKIP_2) | instid1(VALU_DEP_2)
	v_pk_fma_f32 v[246:247], v[244:245], v[162:163], v[4:5] op_sel_hi:[1,0,1]
	v_pk_fma_f32 v[162:163], v[244:245], v[162:163], v[4:5] op_sel_hi:[1,0,1] neg_lo:[0,0,1] neg_hi:[0,0,1]
	s_wait_dscnt 0x0
	v_pk_mul_f32 v[4:5], v[0:1], v[246:247] op_sel:[1,1] op_sel_hi:[0,1]
	s_delay_alu instid0(VALU_DEP_1) | instskip(SKIP_1) | instid1(VALU_DEP_2)
	v_pk_fma_f32 v[250:251], v[0:1], v[162:163], v[4:5] op_sel_hi:[1,0,1]
	v_pk_fma_f32 v[0:1], v[0:1], v[162:163], v[4:5] neg_lo:[0,0,1] neg_hi:[0,0,1]
	v_dual_mov_b32 v163, v247 :: v_dual_mov_b32 v1, v251
	s_delay_alu instid0(VALU_DEP_1)
	v_pk_add_f32 v[164:165], v[164:165], v[0:1] neg_lo:[0,1] neg_hi:[0,1]
.LBB81_361:
	s_or_b32 exec_lo, exec_lo, s1
	s_delay_alu instid0(SALU_CYCLE_1)
	s_mov_b32 s2, exec_lo
	s_wait_dscnt 0x0
	s_barrier_signal -1
	s_barrier_wait -1
	v_cmpx_eq_u32_e32 40, v248
	s_cbranch_execz .LBB81_368
; %bb.362:
	v_cmp_neq_f32_e32 vcc_lo, 0, v164
	v_cmp_neq_f32_e64 s1, 0, v165
	ds_store_b64 v249, v[164:165]
	s_or_b32 s1, vcc_lo, s1
	s_delay_alu instid0(SALU_CYCLE_1)
	s_and_b32 exec_lo, exec_lo, s1
	s_cbranch_execz .LBB81_368
; %bb.363:
	v_cmp_ngt_f32_e64 s1, |v164|, |v165|
                                        ; implicit-def: $vgpr246_vgpr247
	s_and_saveexec_b32 s4, s1
	s_delay_alu instid0(SALU_CYCLE_1)
	s_xor_b32 s1, exec_lo, s4
	s_cbranch_execz .LBB81_365
; %bb.364:
	v_div_scale_f32 v0, null, v165, v165, v164
	v_div_scale_f32 v5, vcc_lo, v164, v165, v164
	s_delay_alu instid0(VALU_DEP_2) | instskip(SKIP_1) | instid1(TRANS32_DEP_1)
	v_rcp_f32_e32 v1, v0
	v_nop
	v_fma_f32 v4, -v0, v1, 1.0
	s_delay_alu instid0(VALU_DEP_1) | instskip(NEXT) | instid1(VALU_DEP_1)
	v_fmac_f32_e32 v1, v4, v1
	v_mul_f32_e32 v4, v5, v1
	s_delay_alu instid0(VALU_DEP_1) | instskip(NEXT) | instid1(VALU_DEP_1)
	v_fma_f32 v246, -v0, v4, v5
	v_fmac_f32_e32 v4, v246, v1
	s_delay_alu instid0(VALU_DEP_1) | instskip(NEXT) | instid1(VALU_DEP_1)
	v_fma_f32 v0, -v0, v4, v5
	v_div_fmas_f32 v0, v0, v1, v4
	s_delay_alu instid0(VALU_DEP_1) | instskip(NEXT) | instid1(VALU_DEP_1)
	v_div_fixup_f32 v0, v0, v165, v164
	v_fma_f32 v1, v164, v0, v165
	s_delay_alu instid0(VALU_DEP_1) | instskip(SKIP_1) | instid1(VALU_DEP_2)
	v_div_scale_f32 v4, null, v1, v1, 1.0
	v_div_scale_f32 v247, vcc_lo, 1.0, v1, 1.0
	v_rcp_f32_e32 v5, v4
	v_nop
	s_delay_alu instid0(TRANS32_DEP_1) | instskip(NEXT) | instid1(VALU_DEP_1)
	v_fma_f32 v246, -v4, v5, 1.0
	v_fmac_f32_e32 v5, v246, v5
	s_delay_alu instid0(VALU_DEP_1) | instskip(NEXT) | instid1(VALU_DEP_1)
	v_mul_f32_e32 v246, v247, v5
	v_fma_f32 v250, -v4, v246, v247
	s_delay_alu instid0(VALU_DEP_1) | instskip(NEXT) | instid1(VALU_DEP_1)
	v_fmac_f32_e32 v246, v250, v5
	v_fma_f32 v4, -v4, v246, v247
	s_delay_alu instid0(VALU_DEP_1) | instskip(NEXT) | instid1(VALU_DEP_1)
	v_div_fmas_f32 v4, v4, v5, v246
	v_div_fixup_f32 v1, v4, v1, 1.0
	s_delay_alu instid0(VALU_DEP_1)
	v_mul_f32_e32 v246, v0, v1
	v_xor_b32_e32 v247, 0x80000000, v1
.LBB81_365:
	s_and_not1_saveexec_b32 s1, s1
	s_cbranch_execz .LBB81_367
; %bb.366:
	v_div_scale_f32 v0, null, v164, v164, v165
	v_div_scale_f32 v5, vcc_lo, v165, v164, v165
	s_delay_alu instid0(VALU_DEP_2) | instskip(SKIP_1) | instid1(TRANS32_DEP_1)
	v_rcp_f32_e32 v1, v0
	v_nop
	v_fma_f32 v4, -v0, v1, 1.0
	s_delay_alu instid0(VALU_DEP_1) | instskip(NEXT) | instid1(VALU_DEP_1)
	v_fmac_f32_e32 v1, v4, v1
	v_mul_f32_e32 v4, v5, v1
	s_delay_alu instid0(VALU_DEP_1) | instskip(NEXT) | instid1(VALU_DEP_1)
	v_fma_f32 v246, -v0, v4, v5
	v_fmac_f32_e32 v4, v246, v1
	s_delay_alu instid0(VALU_DEP_1) | instskip(NEXT) | instid1(VALU_DEP_1)
	v_fma_f32 v0, -v0, v4, v5
	v_div_fmas_f32 v0, v0, v1, v4
	s_delay_alu instid0(VALU_DEP_1) | instskip(NEXT) | instid1(VALU_DEP_1)
	v_div_fixup_f32 v0, v0, v164, v165
	v_fma_f32 v1, v165, v0, v164
	s_delay_alu instid0(VALU_DEP_1) | instskip(NEXT) | instid1(VALU_DEP_1)
	v_div_scale_f32 v4, null, v1, v1, 1.0
	v_rcp_f32_e32 v5, v4
	v_nop
	s_delay_alu instid0(TRANS32_DEP_1) | instskip(NEXT) | instid1(VALU_DEP_1)
	v_fma_f32 v246, -v4, v5, 1.0
	v_fmac_f32_e32 v5, v246, v5
	v_div_scale_f32 v246, vcc_lo, 1.0, v1, 1.0
	s_delay_alu instid0(VALU_DEP_1) | instskip(NEXT) | instid1(VALU_DEP_1)
	v_mul_f32_e32 v247, v246, v5
	v_fma_f32 v250, -v4, v247, v246
	s_delay_alu instid0(VALU_DEP_1) | instskip(NEXT) | instid1(VALU_DEP_1)
	v_fmac_f32_e32 v247, v250, v5
	v_fma_f32 v4, -v4, v247, v246
	s_delay_alu instid0(VALU_DEP_1) | instskip(NEXT) | instid1(VALU_DEP_1)
	v_div_fmas_f32 v4, v4, v5, v247
	v_div_fixup_f32 v246, v4, v1, 1.0
	s_delay_alu instid0(VALU_DEP_1)
	v_mul_f32_e64 v247, v0, -v246
.LBB81_367:
	s_or_b32 exec_lo, exec_lo, s1
	ds_store_b64 v249, v[246:247]
.LBB81_368:
	s_or_b32 exec_lo, exec_lo, s2
	s_wait_dscnt 0x0
	s_barrier_signal -1
	s_barrier_wait -1
	ds_load_b64 v[246:247], v249
	s_wait_dscnt 0x0
	s_barrier_signal -1
	s_barrier_wait -1
	s_and_saveexec_b32 s4, s0
	s_cbranch_execz .LBB81_371
; %bb.369:
	v_cmp_eq_f32_e32 vcc_lo, 0, v166
	v_cmp_eq_f32_e64 s0, 0, v167
	v_cmp_neq_f32_e64 s1, 0, v168
	v_cmp_neq_f32_e64 s2, 0, v169
	v_lshl_add_u64 v[2:3], v[2:3], 2, s[6:7]
	s_and_b32 s0, vcc_lo, s0
	s_delay_alu instid0(SALU_CYCLE_1)
	v_cndmask_b32_e64 v0, 0, 1, s0
	s_or_b32 s1, s1, s2
	global_load_b32 v1, v[2:3], off
	s_or_b32 vcc_lo, s1, s0
	v_cmp_eq_f32_e64 s0, 0, v171
	v_cndmask_b32_e32 v0, 2, v0, vcc_lo
	v_cmp_eq_f32_e32 vcc_lo, 0, v170
	s_delay_alu instid0(VALU_DEP_2) | instskip(SKIP_3) | instid1(SALU_CYCLE_1)
	v_cmp_eq_u32_e64 s1, 0, v0
	s_and_b32 s0, vcc_lo, s0
	v_cmp_eq_f32_e32 vcc_lo, 0, v172
	s_and_b32 s0, s0, s1
	v_cndmask_b32_e64 v0, v0, 3, s0
	v_cmp_eq_f32_e64 s0, 0, v173
	s_delay_alu instid0(VALU_DEP_2) | instskip(SKIP_3) | instid1(SALU_CYCLE_1)
	v_cmp_eq_u32_e64 s1, 0, v0
	s_and_b32 s0, vcc_lo, s0
	v_cmp_eq_f32_e32 vcc_lo, 0, v174
	s_and_b32 s0, s0, s1
	v_cndmask_b32_e64 v0, v0, 4, s0
	v_cmp_eq_f32_e64 s0, 0, v175
	;; [unrolled: 7-line block ×38, first 2 shown]
	s_delay_alu instid0(VALU_DEP_2) | instskip(SKIP_4) | instid1(SALU_CYCLE_1)
	v_cmp_eq_u32_e64 s1, 0, v0
	s_and_b32 s0, vcc_lo, s0
	s_wait_loadcnt 0x0
	v_cmp_eq_u32_e32 vcc_lo, 0, v1
	s_and_b32 s0, s0, s1
	v_cndmask_b32_e64 v166, v0, 41, s0
	s_delay_alu instid0(VALU_DEP_1) | instskip(SKIP_1) | instid1(SALU_CYCLE_1)
	v_cmp_ne_u32_e64 s0, 0, v166
	s_and_b32 s0, vcc_lo, s0
	s_and_b32 exec_lo, exec_lo, s0
	s_cbranch_execz .LBB81_371
; %bb.370:
	v_add_nc_u32_e32 v0, s3, v166
	global_store_b32 v[2:3], v0, off
.LBB81_371:
	s_wait_xcnt 0x0
	s_or_b32 exec_lo, exec_lo, s4
	v_pk_mul_f32 v[0:1], v[246:247], v[164:165] op_sel:[1,1] op_sel_hi:[0,1]
	v_cmp_lt_u32_e32 vcc_lo, 40, v248
	s_clause 0x4
	global_store_b64 v[18:19], v[42:43], off
	global_store_b64 v[28:29], v[44:45], off
	;; [unrolled: 1-line block ×5, first 2 shown]
	v_pk_fma_f32 v[2:3], v[246:247], v[164:165], v[0:1] op_sel_hi:[1,0,1]
	v_pk_fma_f32 v[0:1], v[246:247], v[164:165], v[0:1] neg_lo:[0,0,1] neg_hi:[0,0,1]
	s_delay_alu instid0(VALU_DEP_1)
	v_dual_cndmask_b32 v1, v165, v3 :: v_dual_cndmask_b32 v0, v164, v0
	scratch_load_b64 v[2:3], off, off th:TH_LOAD_LU ; 8-byte Folded Reload
	s_wait_loadcnt 0x0
	global_store_b64 v[2:3], v[58:59], off
	scratch_load_b64 v[2:3], off, off offset:8 th:TH_LOAD_LU ; 8-byte Folded Reload
	s_wait_loadcnt 0x0
	s_clause 0x22
	global_store_b64 v[2:3], v[60:61], off
	global_store_b64 v[8:9], v[56:57], off
	global_store_b64 v[10:11], v[74:75], off
	global_store_b64 v[16:17], v[72:73], off
	global_store_b64 v[20:21], v[54:55], off
	global_store_b64 v[24:25], v[70:71], off
	global_store_b64 v[26:27], v[94:95], off
	global_store_b64 v[30:31], v[90:91], off
	global_store_b64 v[36:37], v[92:93], off
	global_store_b64 v[38:39], v[88:89], off
	global_store_b64 v[40:41], v[118:119], off
	global_store_b64 v[46:47], v[86:87], off
	global_store_b64 v[48:49], v[116:117], off
	global_store_b64 v[50:51], v[114:115], off
	global_store_b64 v[52:53], v[146:147], off
	global_store_b64 v[62:63], v[112:113], off
	global_store_b64 v[64:65], v[144:145], off
	global_store_b64 v[66:67], v[76:77], off
	global_store_b64 v[68:69], v[102:103], off
	global_store_b64 v[78:79], v[98:99], off
	global_store_b64 v[80:81], v[100:101], off
	global_store_b64 v[82:83], v[96:97], off
	global_store_b64 v[84:85], v[132:133], off
	global_store_b64 v[104:105], v[128:129], off
	global_store_b64 v[106:107], v[130:131], off
	global_store_b64 v[108:109], v[126:127], off
	global_store_b64 v[110:111], v[160:161], off
	global_store_b64 v[120:121], v[152:153], off
	global_store_b64 v[122:123], v[158:159], off
	global_store_b64 v[124:125], v[150:151], off
	global_store_b64 v[136:137], v[156:157], off
	global_store_b64 v[138:139], v[148:149], off
	global_store_b64 v[140:141], v[154:155], off
	global_store_b64 v[142:143], v[162:163], off
	global_store_b64 v[134:135], v[0:1], off
.LBB81_372:
	s_sendmsg sendmsg(MSG_DEALLOC_VGPRS)
	s_endpgm
	.section	.rodata,"a",@progbits
	.p2align	6, 0x0
	.amdhsa_kernel _ZN9rocsolver6v33100L23getf2_npvt_small_kernelILi41E19rocblas_complex_numIfEiiPS3_EEvT1_T3_lS5_lPT2_S5_S5_
		.amdhsa_group_segment_fixed_size 0
		.amdhsa_private_segment_fixed_size 20
		.amdhsa_kernarg_size 312
		.amdhsa_user_sgpr_count 2
		.amdhsa_user_sgpr_dispatch_ptr 0
		.amdhsa_user_sgpr_queue_ptr 0
		.amdhsa_user_sgpr_kernarg_segment_ptr 1
		.amdhsa_user_sgpr_dispatch_id 0
		.amdhsa_user_sgpr_kernarg_preload_length 0
		.amdhsa_user_sgpr_kernarg_preload_offset 0
		.amdhsa_user_sgpr_private_segment_size 0
		.amdhsa_wavefront_size32 1
		.amdhsa_uses_dynamic_stack 0
		.amdhsa_enable_private_segment 1
		.amdhsa_system_sgpr_workgroup_id_x 1
		.amdhsa_system_sgpr_workgroup_id_y 1
		.amdhsa_system_sgpr_workgroup_id_z 0
		.amdhsa_system_sgpr_workgroup_info 0
		.amdhsa_system_vgpr_workitem_id 1
		.amdhsa_next_free_vgpr 256
		.amdhsa_next_free_sgpr 15
		.amdhsa_named_barrier_count 0
		.amdhsa_reserve_vcc 1
		.amdhsa_float_round_mode_32 0
		.amdhsa_float_round_mode_16_64 0
		.amdhsa_float_denorm_mode_32 3
		.amdhsa_float_denorm_mode_16_64 3
		.amdhsa_fp16_overflow 0
		.amdhsa_memory_ordered 1
		.amdhsa_forward_progress 1
		.amdhsa_inst_pref_size 255
		.amdhsa_round_robin_scheduling 0
		.amdhsa_exception_fp_ieee_invalid_op 0
		.amdhsa_exception_fp_denorm_src 0
		.amdhsa_exception_fp_ieee_div_zero 0
		.amdhsa_exception_fp_ieee_overflow 0
		.amdhsa_exception_fp_ieee_underflow 0
		.amdhsa_exception_fp_ieee_inexact 0
		.amdhsa_exception_int_div_zero 0
	.end_amdhsa_kernel
	.section	.text._ZN9rocsolver6v33100L23getf2_npvt_small_kernelILi41E19rocblas_complex_numIfEiiPS3_EEvT1_T3_lS5_lPT2_S5_S5_,"axG",@progbits,_ZN9rocsolver6v33100L23getf2_npvt_small_kernelILi41E19rocblas_complex_numIfEiiPS3_EEvT1_T3_lS5_lPT2_S5_S5_,comdat
.Lfunc_end81:
	.size	_ZN9rocsolver6v33100L23getf2_npvt_small_kernelILi41E19rocblas_complex_numIfEiiPS3_EEvT1_T3_lS5_lPT2_S5_S5_, .Lfunc_end81-_ZN9rocsolver6v33100L23getf2_npvt_small_kernelILi41E19rocblas_complex_numIfEiiPS3_EEvT1_T3_lS5_lPT2_S5_S5_
                                        ; -- End function
	.set _ZN9rocsolver6v33100L23getf2_npvt_small_kernelILi41E19rocblas_complex_numIfEiiPS3_EEvT1_T3_lS5_lPT2_S5_S5_.num_vgpr, 256
	.set _ZN9rocsolver6v33100L23getf2_npvt_small_kernelILi41E19rocblas_complex_numIfEiiPS3_EEvT1_T3_lS5_lPT2_S5_S5_.num_agpr, 0
	.set _ZN9rocsolver6v33100L23getf2_npvt_small_kernelILi41E19rocblas_complex_numIfEiiPS3_EEvT1_T3_lS5_lPT2_S5_S5_.numbered_sgpr, 15
	.set _ZN9rocsolver6v33100L23getf2_npvt_small_kernelILi41E19rocblas_complex_numIfEiiPS3_EEvT1_T3_lS5_lPT2_S5_S5_.num_named_barrier, 0
	.set _ZN9rocsolver6v33100L23getf2_npvt_small_kernelILi41E19rocblas_complex_numIfEiiPS3_EEvT1_T3_lS5_lPT2_S5_S5_.private_seg_size, 20
	.set _ZN9rocsolver6v33100L23getf2_npvt_small_kernelILi41E19rocblas_complex_numIfEiiPS3_EEvT1_T3_lS5_lPT2_S5_S5_.uses_vcc, 1
	.set _ZN9rocsolver6v33100L23getf2_npvt_small_kernelILi41E19rocblas_complex_numIfEiiPS3_EEvT1_T3_lS5_lPT2_S5_S5_.uses_flat_scratch, 0
	.set _ZN9rocsolver6v33100L23getf2_npvt_small_kernelILi41E19rocblas_complex_numIfEiiPS3_EEvT1_T3_lS5_lPT2_S5_S5_.has_dyn_sized_stack, 0
	.set _ZN9rocsolver6v33100L23getf2_npvt_small_kernelILi41E19rocblas_complex_numIfEiiPS3_EEvT1_T3_lS5_lPT2_S5_S5_.has_recursion, 0
	.set _ZN9rocsolver6v33100L23getf2_npvt_small_kernelILi41E19rocblas_complex_numIfEiiPS3_EEvT1_T3_lS5_lPT2_S5_S5_.has_indirect_call, 0
	.section	.AMDGPU.csdata,"",@progbits
; Kernel info:
; codeLenInByte = 74220
; TotalNumSgprs: 17
; NumVgprs: 256
; ScratchSize: 20
; MemoryBound: 0
; FloatMode: 240
; IeeeMode: 1
; LDSByteSize: 0 bytes/workgroup (compile time only)
; SGPRBlocks: 0
; VGPRBlocks: 15
; NumSGPRsForWavesPerEU: 17
; NumVGPRsForWavesPerEU: 256
; NamedBarCnt: 0
; Occupancy: 4
; WaveLimiterHint : 0
; COMPUTE_PGM_RSRC2:SCRATCH_EN: 1
; COMPUTE_PGM_RSRC2:USER_SGPR: 2
; COMPUTE_PGM_RSRC2:TRAP_HANDLER: 0
; COMPUTE_PGM_RSRC2:TGID_X_EN: 1
; COMPUTE_PGM_RSRC2:TGID_Y_EN: 1
; COMPUTE_PGM_RSRC2:TGID_Z_EN: 0
; COMPUTE_PGM_RSRC2:TIDIG_COMP_CNT: 1
	.section	.text._ZN9rocsolver6v33100L18getf2_small_kernelILi42E19rocblas_complex_numIfEiiPS3_EEvT1_T3_lS5_lPS5_llPT2_S5_S5_S7_l,"axG",@progbits,_ZN9rocsolver6v33100L18getf2_small_kernelILi42E19rocblas_complex_numIfEiiPS3_EEvT1_T3_lS5_lPS5_llPT2_S5_S5_S7_l,comdat
	.globl	_ZN9rocsolver6v33100L18getf2_small_kernelILi42E19rocblas_complex_numIfEiiPS3_EEvT1_T3_lS5_lPS5_llPT2_S5_S5_S7_l ; -- Begin function _ZN9rocsolver6v33100L18getf2_small_kernelILi42E19rocblas_complex_numIfEiiPS3_EEvT1_T3_lS5_lPS5_llPT2_S5_S5_S7_l
	.p2align	8
	.type	_ZN9rocsolver6v33100L18getf2_small_kernelILi42E19rocblas_complex_numIfEiiPS3_EEvT1_T3_lS5_lPS5_llPT2_S5_S5_S7_l,@function
_ZN9rocsolver6v33100L18getf2_small_kernelILi42E19rocblas_complex_numIfEiiPS3_EEvT1_T3_lS5_lPS5_llPT2_S5_S5_S7_l: ; @_ZN9rocsolver6v33100L18getf2_small_kernelILi42E19rocblas_complex_numIfEiiPS3_EEvT1_T3_lS5_lPS5_llPT2_S5_S5_S7_l
; %bb.0:
	s_clause 0x1
	s_load_u16 s2, s[0:1], 0x6e
	s_load_b64 s[16:17], s[0:1], 0x48
	s_bfe_u32 s3, ttmp6, 0x40010
	s_bfe_u32 s4, ttmp6, 0x40004
	s_add_co_i32 s3, s3, 1
	s_getreg_b32 s5, hwreg(HW_REG_IB_STS2, 6, 4)
	s_mul_i32 s3, ttmp7, s3
	v_bfe_u32 v92, v0, 10, 10
	s_add_co_i32 s4, s4, s3
	s_cmp_eq_u32 s5, 0
	s_cselect_b32 s3, ttmp7, s4
	s_wait_kmcnt 0x0
	v_mad_u32 v2, s3, s2, v92
	s_mov_b32 s2, exec_lo
	s_delay_alu instid0(VALU_DEP_1)
	v_cmpx_gt_i32_e64 s16, v2
	s_cbranch_execz .LBB82_883
; %bb.1:
	s_load_b128 s[4:7], s[0:1], 0x50
	v_mov_b64_e32 v[4:5], 0
	v_ashrrev_i32_e32 v3, 31, v2
	s_wait_kmcnt 0x0
	s_cmp_eq_u64 s[4:5], 0
	s_cselect_b32 s16, -1, 0
	s_delay_alu instid0(SALU_CYCLE_1)
	s_and_b32 vcc_lo, exec_lo, s16
	s_cbranch_vccnz .LBB82_3
; %bb.2:
	v_mul_u64_e32 v[4:5], s[6:7], v[2:3]
	s_delay_alu instid0(VALU_DEP_1)
	v_lshl_add_u64 v[4:5], v[4:5], 2, s[4:5]
.LBB82_3:
	s_clause 0x2
	s_load_b32 s2, s[0:1], 0x18
	s_load_b128 s[12:15], s[0:1], 0x8
	s_load_b32 s18, s[0:1], 0x0
	v_and_b32_e32 v97, 0x3ff, v0
	s_load_b256 s[4:11], s[0:1], 0x20
	s_delay_alu instid0(VALU_DEP_1) | instskip(SKIP_4) | instid1(VALU_DEP_2)
	v_dual_mov_b32 v91, 0 :: v_dual_lshlrev_b32 v90, 3, v97
	s_wait_kmcnt 0x0
	v_add3_u32 v6, s2, s2, v97
	s_ashr_i32 s3, s2, 31
	v_mul_u64_e32 v[0:1], s[4:5], v[2:3]
	v_add_nc_u32_e32 v8, s2, v6
	s_max_i32 s4, s18, 42
	s_cmp_lt_i32 s18, 2
	s_delay_alu instid0(VALU_DEP_1) | instskip(NEXT) | instid1(VALU_DEP_1)
	v_dual_ashrrev_i32 v7, 31, v6 :: v_dual_add_nc_u32 v10, s2, v8
	v_add_nc_u32_e32 v12, s2, v10
	s_delay_alu instid0(VALU_DEP_1) | instskip(NEXT) | instid1(VALU_DEP_1)
	v_add_nc_u32_e32 v14, s2, v12
	v_dual_add_nc_u32 v16, s2, v14 :: v_dual_ashrrev_i32 v9, 31, v8
	v_ashrrev_i32_e32 v11, 31, v10
	s_delay_alu instid0(VALU_DEP_2) | instskip(SKIP_1) | instid1(VALU_DEP_1)
	v_dual_ashrrev_i32 v15, 31, v14 :: v_dual_ashrrev_i32 v17, 31, v16
	v_add_nc_u32_e32 v18, s2, v16
	v_dual_ashrrev_i32 v13, 31, v12 :: v_dual_add_nc_u32 v20, s2, v18
	v_lshl_add_u64 v[0:1], v[0:1], 3, s[12:13]
	s_delay_alu instid0(VALU_DEP_2) | instskip(NEXT) | instid1(VALU_DEP_2)
	v_dual_ashrrev_i32 v19, 31, v18 :: v_dual_add_nc_u32 v22, s2, v20
	v_lshl_add_u64 v[0:1], s[14:15], 3, v[0:1]
	s_delay_alu instid0(VALU_DEP_2) | instskip(NEXT) | instid1(VALU_DEP_2)
	v_add_nc_u32_e32 v24, s2, v22
	v_lshl_add_u64 v[10:11], v[10:11], 3, v[0:1]
	v_add_nc_u64_e32 v[26:27], v[0:1], v[90:91]
	v_lshl_add_u64 v[12:13], v[12:13], 3, v[0:1]
	v_lshl_add_u64 v[42:43], v[14:15], 3, v[0:1]
	v_add_nc_u32_e32 v28, s2, v24
	v_lshl_add_u64 v[46:47], v[16:17], 3, v[0:1]
	v_lshl_add_u64 v[6:7], v[6:7], 3, v[0:1]
	;; [unrolled: 1-line block ×4, first 2 shown]
	v_add_nc_u32_e32 v30, s2, v28
	s_clause 0x3
	global_load_b64 v[66:67], v[10:11], off
	global_load_b64 v[16:17], v[12:13], off
	;; [unrolled: 1-line block ×4, first 2 shown]
	s_wait_xcnt 0x3
	v_lshl_add_u64 v[10:11], s[2:3], 3, v[26:27]
	v_ashrrev_i32_e32 v29, 31, v28
	s_clause 0x3
	global_load_b64 v[82:83], v[6:7], off
	global_load_b64 v[80:81], v[8:9], off
	;; [unrolled: 1-line block ×4, first 2 shown]
	v_dual_add_nc_u32 v32, s2, v30 :: v_dual_ashrrev_i32 v31, 31, v30
	v_ashrrev_i32_e32 v23, 31, v22
	s_wait_xcnt 0x0
	v_lshl_add_u64 v[10:11], v[28:29], 3, v[0:1]
	s_delay_alu instid0(VALU_DEP_3) | instskip(NEXT) | instid1(VALU_DEP_3)
	v_add_nc_u32_e32 v34, s2, v32
	v_lshl_add_u64 v[12:13], v[22:23], 3, v[0:1]
	s_delay_alu instid0(VALU_DEP_2) | instskip(NEXT) | instid1(VALU_DEP_1)
	v_dual_add_nc_u32 v36, s2, v34 :: v_dual_ashrrev_i32 v35, 31, v34
	v_add_nc_u32_e32 v38, s2, v36
	v_ashrrev_i32_e32 v21, 31, v20
	s_delay_alu instid0(VALU_DEP_2) | instskip(SKIP_1) | instid1(VALU_DEP_3)
	v_dual_ashrrev_i32 v37, 31, v36 :: v_dual_ashrrev_i32 v39, 31, v38
	v_add_nc_u32_e32 v40, s2, v38
	v_lshl_add_u64 v[50:51], v[20:21], 3, v[0:1]
	s_delay_alu instid0(VALU_DEP_2) | instskip(NEXT) | instid1(VALU_DEP_1)
	v_dual_add_nc_u32 v44, s2, v40 :: v_dual_ashrrev_i32 v41, 31, v40
	v_add_nc_u32_e32 v54, s2, v44
	s_delay_alu instid0(VALU_DEP_1) | instskip(NEXT) | instid1(VALU_DEP_1)
	v_dual_ashrrev_i32 v25, 31, v24 :: v_dual_add_nc_u32 v42, s2, v54
	v_lshl_add_u64 v[6:7], v[24:25], 3, v[0:1]
	s_clause 0x3
	global_load_b64 v[68:69], v[48:49], off
	global_load_b64 v[22:23], v[50:51], off
	;; [unrolled: 1-line block ×4, first 2 shown]
	v_lshl_add_u64 v[24:25], v[30:31], 3, v[0:1]
	v_dual_add_nc_u32 v8, s2, v42 :: v_dual_ashrrev_i32 v45, 31, v44
	v_ashrrev_i32_e32 v43, 31, v42
	v_lshl_add_u64 v[30:31], v[34:35], 3, v[0:1]
	v_lshl_add_u64 v[34:35], v[40:41], 3, v[0:1]
	s_wait_xcnt 0x0
	v_add_nc_u32_e32 v6, s2, v8
	v_dual_ashrrev_i32 v33, 31, v32 :: v_dual_ashrrev_i32 v55, 31, v54
	s_delay_alu instid0(VALU_DEP_2) | instskip(NEXT) | instid1(VALU_DEP_2)
	v_add_nc_u32_e32 v12, s2, v6
	v_lshl_add_u64 v[28:29], v[32:33], 3, v[0:1]
	s_clause 0x3
	global_load_b64 v[78:79], v[10:11], off
	global_load_b64 v[58:59], v[24:25], off
	;; [unrolled: 1-line block ×4, first 2 shown]
	v_add_nc_u32_e32 v32, s2, v12
	s_wait_xcnt 0x2
	v_lshl_add_u64 v[24:25], v[36:37], 3, v[0:1]
	s_wait_xcnt 0x0
	v_lshl_add_u64 v[30:31], v[38:39], 3, v[0:1]
	v_lshl_add_u64 v[36:37], v[44:45], 3, v[0:1]
	s_clause 0x3
	global_load_b64 v[76:77], v[24:25], off
	global_load_b64 v[50:51], v[30:31], off
	;; [unrolled: 1-line block ×4, first 2 shown]
	v_add_nc_u32_e32 v10, s2, v32
	s_wait_xcnt 0x2
	v_lshl_add_u64 v[30:31], v[54:55], 3, v[0:1]
	s_wait_xcnt 0x1
	v_lshl_add_u64 v[34:35], v[42:43], 3, v[0:1]
	v_dual_ashrrev_i32 v13, 31, v12 :: v_dual_ashrrev_i32 v7, 31, v6
	v_dual_add_nc_u32 v28, s2, v10 :: v_dual_ashrrev_i32 v11, 31, v10
	s_delay_alu instid0(VALU_DEP_2) | instskip(NEXT) | instid1(VALU_DEP_2)
	v_lshl_add_u64 v[6:7], v[6:7], 3, v[0:1]
	v_add_nc_u32_e32 v40, s2, v28
	s_delay_alu instid0(VALU_DEP_3) | instskip(NEXT) | instid1(VALU_DEP_2)
	v_lshl_add_u64 v[10:11], v[10:11], 3, v[0:1]
	v_add_nc_u32_e32 v24, s2, v40
	s_delay_alu instid0(VALU_DEP_1) | instskip(SKIP_1) | instid1(VALU_DEP_2)
	v_add_nc_u32_e32 v54, s2, v24
	v_ashrrev_i32_e32 v9, 31, v8
	v_dual_ashrrev_i32 v25, 31, v24 :: v_dual_add_nc_u32 v62, s2, v54
	s_delay_alu instid0(VALU_DEP_2)
	v_lshl_add_u64 v[8:9], v[8:9], 3, v[0:1]
	s_clause 0x3
	global_load_b64 v[74:75], v[30:31], off
	global_load_b64 v[44:45], v[34:35], off
	;; [unrolled: 1-line block ×4, first 2 shown]
	s_wait_xcnt 0x0
	v_dual_add_nc_u32 v6, s2, v62 :: v_dual_ashrrev_i32 v33, 31, v32
	v_lshl_add_u64 v[8:9], v[12:13], 3, v[0:1]
	v_dual_ashrrev_i32 v29, 31, v28 :: v_dual_ashrrev_i32 v55, 31, v54
	s_delay_alu instid0(VALU_DEP_3) | instskip(NEXT) | instid1(VALU_DEP_4)
	v_add_nc_u32_e32 v12, s2, v6
	v_lshl_add_u64 v[30:31], v[32:33], 3, v[0:1]
	v_dual_ashrrev_i32 v41, 31, v40 :: v_dual_ashrrev_i32 v63, 31, v62
	s_delay_alu instid0(VALU_DEP_4) | instskip(NEXT) | instid1(VALU_DEP_4)
	v_lshl_add_u64 v[28:29], v[28:29], 3, v[0:1]
	v_dual_add_nc_u32 v64, s2, v12 :: v_dual_ashrrev_i32 v7, 31, v6
	s_clause 0x3
	global_load_b64 v[72:73], v[8:9], off
	global_load_b64 v[36:37], v[30:31], off
	;; [unrolled: 1-line block ×4, first 2 shown]
	s_wait_xcnt 0x1
	v_lshl_add_u64 v[10:11], v[40:41], 3, v[0:1]
	v_lshl_add_u64 v[24:25], v[24:25], 3, v[0:1]
	v_dual_add_nc_u32 v8, s2, v64 :: v_dual_ashrrev_i32 v65, 31, v64
	v_lshl_add_u64 v[54:55], v[54:55], 3, v[0:1]
	v_lshl_add_u64 v[62:63], v[62:63], 3, v[0:1]
	s_clause 0x3
	global_load_b64 v[70:71], v[10:11], off
	global_load_b64 v[30:31], v[24:25], off
	;; [unrolled: 1-line block ×4, first 2 shown]
	v_dual_add_nc_u32 v40, s2, v8 :: v_dual_ashrrev_i32 v9, 31, v8
	v_lshl_add_u64 v[6:7], v[6:7], 3, v[0:1]
	v_lshl_add_u64 v[94:95], v[64:65], 3, v[0:1]
	s_delay_alu instid0(VALU_DEP_3) | instskip(NEXT) | instid1(VALU_DEP_4)
	v_dual_add_nc_u32 v88, s2, v40 :: v_dual_ashrrev_i32 v41, 31, v40
	v_lshl_add_u64 v[98:99], v[8:9], 3, v[0:1]
	s_wait_xcnt 0x2
	s_delay_alu instid0(VALU_DEP_2) | instskip(SKIP_1) | instid1(VALU_DEP_1)
	v_add_nc_u32_e32 v24, s2, v88
	s_wait_xcnt 0x1
	v_add_nc_u32_e32 v54, s2, v24
	s_delay_alu instid0(VALU_DEP_1) | instskip(SKIP_2) | instid1(VALU_DEP_2)
	v_dual_ashrrev_i32 v13, 31, v12 :: v_dual_ashrrev_i32 v55, 31, v54
	v_add_nc_u32_e32 v100, s2, v54
	s_wait_xcnt 0x0
	v_lshl_add_u64 v[62:63], v[12:13], 3, v[0:1]
	s_clause 0x3
	global_load_b64 v[64:65], v[6:7], off
	global_load_b64 v[10:11], v[62:63], off
	;; [unrolled: 1-line block ×4, first 2 shown]
	s_wait_xcnt 0x3
	v_dual_add_nc_u32 v6, s2, v100 :: v_dual_ashrrev_i32 v101, 31, v100
	v_ashrrev_i32_e32 v89, 31, v88
	v_ashrrev_i32_e32 v25, 31, v24
	s_wait_xcnt 0x1
	v_lshl_add_u64 v[94:95], v[40:41], 3, v[0:1]
	v_ashrrev_i32_e32 v7, 31, v6
	v_lshl_add_u64 v[104:105], v[54:55], 3, v[0:1]
	s_wait_xcnt 0x0
	v_lshl_add_u64 v[98:99], v[88:89], 3, v[0:1]
	v_lshl_add_u64 v[102:103], v[24:25], 3, v[0:1]
	v_lshl_add_u64 v[100:101], v[100:101], 3, v[0:1]
	v_lshl_add_u64 v[106:107], v[6:7], 3, v[0:1]
	s_clause 0x5
	global_load_b64 v[62:63], v[94:95], off
	global_load_b64 v[6:7], v[98:99], off
	;; [unrolled: 1-line block ×6, first 2 shown]
	s_wait_xcnt 0x5
	v_mul_lo_u32 v95, s4, v92
	s_load_b64 s[4:5], s[0:1], 0x40
	s_delay_alu instid0(VALU_DEP_1) | instskip(NEXT) | instid1(VALU_DEP_1)
	v_lshl_add_u32 v94, v95, 3, 0
	v_dual_lshlrev_b32 v95, 3, v95 :: v_dual_add_nc_u32 v90, v94, v90
	s_wait_loadcnt 0x23
	ds_store_b64 v90, v[86:87]
	s_wait_loadcnt_dscnt 0x0
	s_barrier_signal -1
	s_barrier_wait -1
	ds_load_b64 v[92:93], v94
	s_cbranch_scc1 .LBB82_6
; %bb.4:
	v_add3_u32 v90, v95, 0, 8
	v_mov_b32_e32 v91, 0
	s_wait_xcnt 0x0
	s_mov_b32 s0, 1
.LBB82_5:                               ; =>This Inner Loop Header: Depth=1
	ds_load_b64 v[98:99], v90
	s_wait_dscnt 0x1
	v_cmp_gt_f32_e32 vcc_lo, 0, v92
	v_cndmask_b32_e64 v100, v92, -v92, vcc_lo
	v_cmp_gt_f32_e32 vcc_lo, 0, v93
	v_cndmask_b32_e64 v102, v93, -v93, vcc_lo
	s_wait_dscnt 0x0
	v_cmp_gt_f32_e32 vcc_lo, 0, v98
	v_cndmask_b32_e64 v101, v98, -v98, vcc_lo
	v_cmp_gt_f32_e32 vcc_lo, 0, v99
	v_cndmask_b32_e64 v103, v99, -v99, vcc_lo
	s_delay_alu instid0(VALU_DEP_1) | instskip(NEXT) | instid1(VALU_DEP_1)
	v_pk_add_f32 v[100:101], v[100:101], v[102:103]
	v_cmp_lt_f32_e32 vcc_lo, v100, v101
	v_dual_cndmask_b32 v93, v93, v99 :: v_dual_add_nc_u32 v90, 8, v90
	v_cndmask_b32_e32 v92, v92, v98, vcc_lo
	v_cndmask_b32_e64 v91, v91, s0, vcc_lo
	s_add_co_i32 s0, s0, 1
	s_delay_alu instid0(SALU_CYCLE_1)
	s_cmp_eq_u32 s18, s0
	s_cbranch_scc0 .LBB82_5
.LBB82_6:
	s_wait_dscnt 0x0
	v_cmp_neq_f32_e32 vcc_lo, 0, v92
	s_wait_xcnt 0x0
	v_cmp_neq_f32_e64 s0, 0, v93
	v_dual_mov_b32 v96, 1 :: v_dual_mov_b32 v99, 1
	s_or_b32 s1, vcc_lo, s0
	s_delay_alu instid0(SALU_CYCLE_1)
	s_and_saveexec_b32 s0, s1
	s_cbranch_execz .LBB82_12
; %bb.7:
	v_cmp_ngt_f32_e64 s1, |v92|, |v93|
	s_and_saveexec_b32 s12, s1
	s_delay_alu instid0(SALU_CYCLE_1)
	s_xor_b32 s1, exec_lo, s12
	s_cbranch_execz .LBB82_9
; %bb.8:
	v_div_scale_f32 v90, null, v93, v93, v92
	v_div_scale_f32 v99, vcc_lo, v92, v93, v92
	s_delay_alu instid0(VALU_DEP_2) | instskip(SKIP_1) | instid1(TRANS32_DEP_1)
	v_rcp_f32_e32 v96, v90
	v_nop
	v_fma_f32 v98, -v90, v96, 1.0
	s_delay_alu instid0(VALU_DEP_1) | instskip(NEXT) | instid1(VALU_DEP_1)
	v_fmac_f32_e32 v96, v98, v96
	v_mul_f32_e32 v98, v99, v96
	s_delay_alu instid0(VALU_DEP_1) | instskip(NEXT) | instid1(VALU_DEP_1)
	v_fma_f32 v100, -v90, v98, v99
	v_fmac_f32_e32 v98, v100, v96
	s_delay_alu instid0(VALU_DEP_1) | instskip(NEXT) | instid1(VALU_DEP_1)
	v_fma_f32 v90, -v90, v98, v99
	v_div_fmas_f32 v90, v90, v96, v98
	s_delay_alu instid0(VALU_DEP_1) | instskip(NEXT) | instid1(VALU_DEP_1)
	v_div_fixup_f32 v90, v90, v93, v92
	v_fmac_f32_e32 v93, v92, v90
	s_delay_alu instid0(VALU_DEP_1) | instskip(SKIP_1) | instid1(VALU_DEP_2)
	v_div_scale_f32 v92, null, v93, v93, 1.0
	v_div_scale_f32 v99, vcc_lo, 1.0, v93, 1.0
	v_rcp_f32_e32 v96, v92
	v_nop
	s_delay_alu instid0(TRANS32_DEP_1) | instskip(NEXT) | instid1(VALU_DEP_1)
	v_fma_f32 v98, -v92, v96, 1.0
	v_fmac_f32_e32 v96, v98, v96
	s_delay_alu instid0(VALU_DEP_1) | instskip(NEXT) | instid1(VALU_DEP_1)
	v_mul_f32_e32 v98, v99, v96
	v_fma_f32 v100, -v92, v98, v99
	s_delay_alu instid0(VALU_DEP_1) | instskip(NEXT) | instid1(VALU_DEP_1)
	v_fmac_f32_e32 v98, v100, v96
	v_fma_f32 v92, -v92, v98, v99
	s_delay_alu instid0(VALU_DEP_1) | instskip(NEXT) | instid1(VALU_DEP_1)
	v_div_fmas_f32 v92, v92, v96, v98
	v_div_fixup_f32 v93, v92, v93, 1.0
	s_delay_alu instid0(VALU_DEP_1)
	v_mul_f32_e32 v92, v90, v93
	v_xor_b32_e32 v93, 0x80000000, v93
.LBB82_9:
	s_and_not1_saveexec_b32 s1, s1
	s_cbranch_execz .LBB82_11
; %bb.10:
	s_delay_alu instid0(VALU_DEP_1) | instskip(SKIP_1) | instid1(VALU_DEP_2)
	v_div_scale_f32 v90, null, v92, v92, v93
	v_div_scale_f32 v99, vcc_lo, v93, v92, v93
	v_rcp_f32_e32 v96, v90
	v_nop
	s_delay_alu instid0(TRANS32_DEP_1) | instskip(NEXT) | instid1(VALU_DEP_1)
	v_fma_f32 v98, -v90, v96, 1.0
	v_fmac_f32_e32 v96, v98, v96
	s_delay_alu instid0(VALU_DEP_1) | instskip(NEXT) | instid1(VALU_DEP_1)
	v_mul_f32_e32 v98, v99, v96
	v_fma_f32 v100, -v90, v98, v99
	s_delay_alu instid0(VALU_DEP_1) | instskip(NEXT) | instid1(VALU_DEP_1)
	v_fmac_f32_e32 v98, v100, v96
	v_fma_f32 v90, -v90, v98, v99
	s_delay_alu instid0(VALU_DEP_1) | instskip(NEXT) | instid1(VALU_DEP_1)
	v_div_fmas_f32 v90, v90, v96, v98
	v_div_fixup_f32 v90, v90, v92, v93
	s_delay_alu instid0(VALU_DEP_1) | instskip(NEXT) | instid1(VALU_DEP_1)
	v_fmac_f32_e32 v92, v93, v90
	v_div_scale_f32 v93, null, v92, v92, 1.0
	s_delay_alu instid0(VALU_DEP_1) | instskip(SKIP_1) | instid1(TRANS32_DEP_1)
	v_rcp_f32_e32 v96, v93
	v_nop
	v_fma_f32 v98, -v93, v96, 1.0
	s_delay_alu instid0(VALU_DEP_1) | instskip(SKIP_1) | instid1(VALU_DEP_1)
	v_fmac_f32_e32 v96, v98, v96
	v_div_scale_f32 v98, vcc_lo, 1.0, v92, 1.0
	v_mul_f32_e32 v99, v98, v96
	s_delay_alu instid0(VALU_DEP_1) | instskip(NEXT) | instid1(VALU_DEP_1)
	v_fma_f32 v100, -v93, v99, v98
	v_fmac_f32_e32 v99, v100, v96
	s_delay_alu instid0(VALU_DEP_1) | instskip(NEXT) | instid1(VALU_DEP_1)
	v_fma_f32 v93, -v93, v99, v98
	v_div_fmas_f32 v93, v93, v96, v99
	s_delay_alu instid0(VALU_DEP_1) | instskip(NEXT) | instid1(VALU_DEP_1)
	v_div_fixup_f32 v92, v93, v92, 1.0
	v_mul_f32_e64 v93, v90, -v92
.LBB82_11:
	s_or_b32 exec_lo, exec_lo, s1
	v_dual_mov_b32 v99, 0 :: v_dual_mov_b32 v96, 2
.LBB82_12:
	s_or_b32 exec_lo, exec_lo, s0
	s_delay_alu instid0(SALU_CYCLE_1)
	s_mov_b32 s0, exec_lo
	v_cmpx_ne_u32_e64 v97, v91
	s_xor_b32 s0, exec_lo, s0
	s_cbranch_execz .LBB82_18
; %bb.13:
	s_mov_b32 s1, exec_lo
	v_cmpx_eq_u32_e32 0, v97
	s_cbranch_execz .LBB82_17
; %bb.14:
	v_cmp_ne_u32_e32 vcc_lo, 0, v91
	s_xor_b32 s12, s16, -1
	s_delay_alu instid0(SALU_CYCLE_1) | instskip(NEXT) | instid1(SALU_CYCLE_1)
	s_and_b32 s13, s12, vcc_lo
	s_and_saveexec_b32 s12, s13
	s_cbranch_execz .LBB82_16
; %bb.15:
	v_dual_mov_b32 v100, v91 :: v_dual_ashrrev_i32 v101, 31, v91
	s_delay_alu instid0(VALU_DEP_1)
	v_lshl_add_u64 v[100:101], v[100:101], 2, v[4:5]
	s_clause 0x1
	global_load_b32 v90, v[100:101], off
	global_load_b32 v97, v[4:5], off
	s_wait_loadcnt 0x1
	global_store_b32 v[4:5], v90, off
	s_wait_loadcnt 0x0
	global_store_b32 v[100:101], v97, off
.LBB82_16:
	s_wait_xcnt 0x0
	s_or_b32 exec_lo, exec_lo, s12
	v_mov_b32_e32 v97, v91
.LBB82_17:
	s_or_b32 exec_lo, exec_lo, s1
.LBB82_18:
	s_or_saveexec_b32 s0, s0
	s_delay_alu instid0(VALU_DEP_1)
	v_mov_b32_e32 v98, v97
	s_xor_b32 exec_lo, exec_lo, s0
	s_cbranch_execz .LBB82_20
; %bb.19:
	v_mov_b32_e32 v98, 0
	ds_store_2addr_b64 v94, v[84:85], v[82:83] offset0:1 offset1:2
	ds_store_2addr_b64 v94, v[80:81], v[66:67] offset0:3 offset1:4
	;; [unrolled: 1-line block ×20, first 2 shown]
	ds_store_b64 v94, v[88:89] offset:328
.LBB82_20:
	s_or_b32 exec_lo, exec_lo, s0
	s_delay_alu instid0(SALU_CYCLE_1)
	s_mov_b32 s0, exec_lo
	s_wait_storecnt_dscnt 0x0
	s_barrier_signal -1
	s_barrier_wait -1
	v_cmpx_lt_i32_e32 0, v98
	s_cbranch_execz .LBB82_22
; %bb.21:
	v_pk_mul_f32 v[100:101], v[92:93], v[86:87] op_sel:[1,1] op_sel_hi:[0,1]
	s_delay_alu instid0(VALU_DEP_1)
	v_pk_fma_f32 v[90:91], v[92:93], v[86:87], v[100:101] op_sel_hi:[1,0,1] neg_lo:[0,0,1] neg_hi:[0,0,1]
	v_pk_fma_f32 v[92:93], v[92:93], v[86:87], v[100:101] op_sel_hi:[1,0,1]
	ds_load_2addr_b64 v[100:103], v94 offset0:1 offset1:2
	v_dual_mov_b32 v86, v90 :: v_dual_mov_b32 v87, v93
	s_wait_dscnt 0x0
	v_pk_mul_f32 v[104:105], v[100:101], v[92:93] op_sel:[0,1]
	s_delay_alu instid0(VALU_DEP_1) | instskip(SKIP_1) | instid1(VALU_DEP_1)
	v_pk_fma_f32 v[106:107], v[100:101], v[90:91], v[104:105] op_sel:[0,0,1] op_sel_hi:[1,1,0] neg_lo:[0,0,1] neg_hi:[0,0,1]
	v_pk_fma_f32 v[100:101], v[100:101], v[90:91], v[104:105] op_sel:[0,0,1] op_sel_hi:[1,0,0]
	v_mov_b32_e32 v107, v101
	v_pk_mul_f32 v[100:101], v[102:103], v[92:93] op_sel:[0,1]
	s_delay_alu instid0(VALU_DEP_1) | instskip(SKIP_1) | instid1(VALU_DEP_1)
	v_pk_fma_f32 v[104:105], v[102:103], v[90:91], v[100:101] op_sel:[0,0,1] op_sel_hi:[1,1,0] neg_lo:[0,0,1] neg_hi:[0,0,1]
	v_pk_fma_f32 v[100:101], v[102:103], v[90:91], v[100:101] op_sel:[0,0,1] op_sel_hi:[1,0,0]
	v_mov_b32_e32 v105, v101
	ds_load_2addr_b64 v[100:103], v94 offset0:3 offset1:4
	v_pk_add_f32 v[84:85], v[84:85], v[106:107] neg_lo:[0,1] neg_hi:[0,1]
	v_pk_add_f32 v[82:83], v[82:83], v[104:105] neg_lo:[0,1] neg_hi:[0,1]
	s_wait_dscnt 0x0
	v_pk_mul_f32 v[104:105], v[100:101], v[92:93] op_sel:[0,1]
	s_delay_alu instid0(VALU_DEP_1) | instskip(SKIP_2) | instid1(VALU_DEP_2)
	v_pk_fma_f32 v[106:107], v[100:101], v[90:91], v[104:105] op_sel:[0,0,1] op_sel_hi:[1,1,0] neg_lo:[0,0,1] neg_hi:[0,0,1]
	v_pk_fma_f32 v[100:101], v[100:101], v[90:91], v[104:105] op_sel:[0,0,1] op_sel_hi:[1,0,0]
	v_dual_mul_f32 v104, v103, v93 :: v_dual_mov_b32 v100, v103
	v_dual_mov_b32 v107, v101 :: v_dual_mov_b32 v101, v102
	s_delay_alu instid0(VALU_DEP_2) | instskip(SKIP_1) | instid1(VALU_DEP_3)
	v_pk_fma_f32 v[104:105], v[102:103], v[86:87], v[104:105] op_sel_hi:[1,1,0] neg_lo:[0,0,1] neg_hi:[0,0,1]
	v_mul_f32_e32 v102, v103, v90
	v_pk_add_f32 v[80:81], v[80:81], v[106:107] neg_lo:[0,1] neg_hi:[0,1]
	s_delay_alu instid0(VALU_DEP_2) | instskip(NEXT) | instid1(VALU_DEP_1)
	v_pk_fma_f32 v[100:101], v[100:101], v[86:87], v[102:103] op_sel_hi:[1,1,0]
	v_mov_b32_e32 v105, v101
	ds_load_2addr_b64 v[100:103], v94 offset0:5 offset1:6
	v_pk_add_f32 v[66:67], v[66:67], v[104:105] neg_lo:[0,1] neg_hi:[0,1]
	s_wait_dscnt 0x0
	v_pk_mul_f32 v[104:105], v[100:101], v[92:93] op_sel:[0,1]
	s_delay_alu instid0(VALU_DEP_1) | instskip(SKIP_1) | instid1(VALU_DEP_1)
	v_pk_fma_f32 v[106:107], v[100:101], v[90:91], v[104:105] op_sel:[0,0,1] op_sel_hi:[1,1,0] neg_lo:[0,0,1] neg_hi:[0,0,1]
	v_pk_fma_f32 v[100:101], v[100:101], v[90:91], v[104:105] op_sel:[0,0,1] op_sel_hi:[1,0,0]
	v_mov_b32_e32 v107, v101
	v_pk_mul_f32 v[100:101], v[102:103], v[92:93] op_sel:[0,1]
	s_delay_alu instid0(VALU_DEP_1) | instskip(SKIP_1) | instid1(VALU_DEP_1)
	v_pk_fma_f32 v[104:105], v[102:103], v[90:91], v[100:101] op_sel:[0,0,1] op_sel_hi:[1,1,0] neg_lo:[0,0,1] neg_hi:[0,0,1]
	v_pk_fma_f32 v[100:101], v[102:103], v[90:91], v[100:101] op_sel:[0,0,1] op_sel_hi:[1,0,0]
	v_mov_b32_e32 v105, v101
	ds_load_2addr_b64 v[100:103], v94 offset0:7 offset1:8
	v_pk_add_f32 v[16:17], v[16:17], v[106:107] neg_lo:[0,1] neg_hi:[0,1]
	v_pk_add_f32 v[18:19], v[18:19], v[104:105] neg_lo:[0,1] neg_hi:[0,1]
	s_wait_dscnt 0x0
	v_pk_mul_f32 v[104:105], v[100:101], v[92:93] op_sel:[0,1]
	s_delay_alu instid0(VALU_DEP_1) | instskip(SKIP_1) | instid1(VALU_DEP_1)
	v_pk_fma_f32 v[106:107], v[100:101], v[90:91], v[104:105] op_sel:[0,0,1] op_sel_hi:[1,1,0] neg_lo:[0,0,1] neg_hi:[0,0,1]
	v_pk_fma_f32 v[100:101], v[100:101], v[90:91], v[104:105] op_sel:[0,0,1] op_sel_hi:[1,0,0]
	v_mov_b32_e32 v107, v101
	v_pk_mul_f32 v[100:101], v[102:103], v[92:93] op_sel:[0,1]
	s_delay_alu instid0(VALU_DEP_1) | instskip(SKIP_1) | instid1(VALU_DEP_1)
	v_pk_fma_f32 v[104:105], v[102:103], v[90:91], v[100:101] op_sel:[0,0,1] op_sel_hi:[1,1,0] neg_lo:[0,0,1] neg_hi:[0,0,1]
	v_pk_fma_f32 v[100:101], v[102:103], v[90:91], v[100:101] op_sel:[0,0,1] op_sel_hi:[1,0,0]
	v_mov_b32_e32 v105, v101
	ds_load_2addr_b64 v[100:103], v94 offset0:9 offset1:10
	v_pk_add_f32 v[14:15], v[14:15], v[106:107] neg_lo:[0,1] neg_hi:[0,1]
	v_pk_add_f32 v[68:69], v[68:69], v[104:105] neg_lo:[0,1] neg_hi:[0,1]
	s_wait_dscnt 0x0
	v_dual_mul_f32 v104, v101, v93 :: v_dual_mul_f32 v106, v101, v90
	s_delay_alu instid0(VALU_DEP_1) | instskip(NEXT) | instid1(VALU_DEP_2)
	v_pk_fma_f32 v[104:105], v[100:101], v[86:87], v[104:105] op_sel_hi:[1,1,0] neg_lo:[0,0,1] neg_hi:[0,0,1]
	v_pk_fma_f32 v[100:101], v[100:101], v[86:87], v[106:107] op_sel:[1,0,0] op_sel_hi:[0,1,0]
	s_delay_alu instid0(VALU_DEP_1) | instskip(SKIP_1) | instid1(VALU_DEP_2)
	v_mov_b32_e32 v105, v101
	v_pk_mul_f32 v[100:101], v[102:103], v[92:93] op_sel:[0,1]
	v_pk_add_f32 v[22:23], v[22:23], v[104:105] neg_lo:[0,1] neg_hi:[0,1]
	s_delay_alu instid0(VALU_DEP_2) | instskip(SKIP_1) | instid1(VALU_DEP_1)
	v_pk_fma_f32 v[104:105], v[102:103], v[90:91], v[100:101] op_sel:[0,0,1] op_sel_hi:[1,1,0] neg_lo:[0,0,1] neg_hi:[0,0,1]
	v_pk_fma_f32 v[100:101], v[102:103], v[90:91], v[100:101] op_sel:[0,0,1] op_sel_hi:[1,0,0]
	v_mov_b32_e32 v105, v101
	ds_load_2addr_b64 v[100:103], v94 offset0:11 offset1:12
	v_pk_add_f32 v[26:27], v[26:27], v[104:105] neg_lo:[0,1] neg_hi:[0,1]
	s_wait_dscnt 0x0
	v_pk_mul_f32 v[104:105], v[100:101], v[92:93] op_sel:[0,1]
	s_delay_alu instid0(VALU_DEP_1) | instskip(SKIP_1) | instid1(VALU_DEP_1)
	v_pk_fma_f32 v[106:107], v[100:101], v[90:91], v[104:105] op_sel:[0,0,1] op_sel_hi:[1,1,0] neg_lo:[0,0,1] neg_hi:[0,0,1]
	v_pk_fma_f32 v[100:101], v[100:101], v[90:91], v[104:105] op_sel:[0,0,1] op_sel_hi:[1,0,0]
	v_mov_b32_e32 v107, v101
	v_pk_mul_f32 v[100:101], v[102:103], v[92:93] op_sel:[0,1]
	s_delay_alu instid0(VALU_DEP_2) | instskip(NEXT) | instid1(VALU_DEP_2)
	v_pk_add_f32 v[20:21], v[20:21], v[106:107] neg_lo:[0,1] neg_hi:[0,1]
	v_pk_fma_f32 v[104:105], v[102:103], v[90:91], v[100:101] op_sel:[0,0,1] op_sel_hi:[1,1,0] neg_lo:[0,0,1] neg_hi:[0,0,1]
	v_pk_fma_f32 v[100:101], v[102:103], v[90:91], v[100:101] op_sel:[0,0,1] op_sel_hi:[1,0,0]
	s_delay_alu instid0(VALU_DEP_1) | instskip(SKIP_4) | instid1(VALU_DEP_1)
	v_mov_b32_e32 v105, v101
	ds_load_2addr_b64 v[100:103], v94 offset0:13 offset1:14
	v_pk_add_f32 v[78:79], v[78:79], v[104:105] neg_lo:[0,1] neg_hi:[0,1]
	s_wait_dscnt 0x0
	v_pk_mul_f32 v[104:105], v[100:101], v[92:93] op_sel:[0,1]
	v_pk_fma_f32 v[106:107], v[100:101], v[90:91], v[104:105] op_sel:[0,0,1] op_sel_hi:[1,1,0] neg_lo:[0,0,1] neg_hi:[0,0,1]
	v_pk_fma_f32 v[100:101], v[100:101], v[90:91], v[104:105] op_sel:[0,0,1] op_sel_hi:[1,0,0]
	v_dual_mul_f32 v104, v103, v93 :: v_dual_mov_b32 v100, v103
	s_delay_alu instid0(VALU_DEP_2) | instskip(NEXT) | instid1(VALU_DEP_2)
	v_dual_mov_b32 v107, v101 :: v_dual_mov_b32 v101, v102
	v_pk_fma_f32 v[104:105], v[102:103], v[86:87], v[104:105] op_sel_hi:[1,1,0] neg_lo:[0,0,1] neg_hi:[0,0,1]
	v_mul_f32_e32 v102, v103, v90
	s_delay_alu instid0(VALU_DEP_3) | instskip(NEXT) | instid1(VALU_DEP_2)
	v_pk_add_f32 v[58:59], v[58:59], v[106:107] neg_lo:[0,1] neg_hi:[0,1]
	v_pk_fma_f32 v[100:101], v[100:101], v[86:87], v[102:103] op_sel_hi:[1,1,0]
	s_delay_alu instid0(VALU_DEP_1) | instskip(SKIP_4) | instid1(VALU_DEP_1)
	v_mov_b32_e32 v105, v101
	ds_load_2addr_b64 v[100:103], v94 offset0:15 offset1:16
	v_pk_add_f32 v[60:61], v[60:61], v[104:105] neg_lo:[0,1] neg_hi:[0,1]
	s_wait_dscnt 0x0
	v_pk_mul_f32 v[104:105], v[100:101], v[92:93] op_sel:[0,1]
	v_pk_fma_f32 v[106:107], v[100:101], v[90:91], v[104:105] op_sel:[0,0,1] op_sel_hi:[1,1,0] neg_lo:[0,0,1] neg_hi:[0,0,1]
	v_pk_fma_f32 v[100:101], v[100:101], v[90:91], v[104:105] op_sel:[0,0,1] op_sel_hi:[1,0,0]
	s_delay_alu instid0(VALU_DEP_1) | instskip(SKIP_1) | instid1(VALU_DEP_1)
	v_mov_b32_e32 v107, v101
	v_pk_mul_f32 v[100:101], v[102:103], v[92:93] op_sel:[0,1]
	v_pk_fma_f32 v[104:105], v[102:103], v[90:91], v[100:101] op_sel:[0,0,1] op_sel_hi:[1,1,0] neg_lo:[0,0,1] neg_hi:[0,0,1]
	v_pk_fma_f32 v[100:101], v[102:103], v[90:91], v[100:101] op_sel:[0,0,1] op_sel_hi:[1,0,0]
	s_delay_alu instid0(VALU_DEP_1)
	v_mov_b32_e32 v105, v101
	ds_load_2addr_b64 v[100:103], v94 offset0:17 offset1:18
	v_pk_add_f32 v[56:57], v[56:57], v[106:107] neg_lo:[0,1] neg_hi:[0,1]
	v_pk_add_f32 v[76:77], v[76:77], v[104:105] neg_lo:[0,1] neg_hi:[0,1]
	s_wait_dscnt 0x0
	v_pk_mul_f32 v[104:105], v[100:101], v[92:93] op_sel:[0,1]
	s_delay_alu instid0(VALU_DEP_1) | instskip(SKIP_1) | instid1(VALU_DEP_1)
	v_pk_fma_f32 v[106:107], v[100:101], v[90:91], v[104:105] op_sel:[0,0,1] op_sel_hi:[1,1,0] neg_lo:[0,0,1] neg_hi:[0,0,1]
	v_pk_fma_f32 v[100:101], v[100:101], v[90:91], v[104:105] op_sel:[0,0,1] op_sel_hi:[1,0,0]
	v_mov_b32_e32 v107, v101
	v_pk_mul_f32 v[100:101], v[102:103], v[92:93] op_sel:[0,1]
	s_delay_alu instid0(VALU_DEP_1) | instskip(SKIP_1) | instid1(VALU_DEP_1)
	v_pk_fma_f32 v[104:105], v[102:103], v[90:91], v[100:101] op_sel:[0,0,1] op_sel_hi:[1,1,0] neg_lo:[0,0,1] neg_hi:[0,0,1]
	v_pk_fma_f32 v[100:101], v[102:103], v[90:91], v[100:101] op_sel:[0,0,1] op_sel_hi:[1,0,0]
	v_mov_b32_e32 v105, v101
	ds_load_2addr_b64 v[100:103], v94 offset0:19 offset1:20
	v_pk_add_f32 v[50:51], v[50:51], v[106:107] neg_lo:[0,1] neg_hi:[0,1]
	v_pk_add_f32 v[52:53], v[52:53], v[104:105] neg_lo:[0,1] neg_hi:[0,1]
	s_wait_dscnt 0x0
	v_dual_mul_f32 v104, v101, v93 :: v_dual_mul_f32 v106, v101, v90
	s_delay_alu instid0(VALU_DEP_1) | instskip(NEXT) | instid1(VALU_DEP_2)
	v_pk_fma_f32 v[104:105], v[100:101], v[86:87], v[104:105] op_sel_hi:[1,1,0] neg_lo:[0,0,1] neg_hi:[0,0,1]
	v_pk_fma_f32 v[100:101], v[100:101], v[86:87], v[106:107] op_sel:[1,0,0] op_sel_hi:[0,1,0]
	s_delay_alu instid0(VALU_DEP_1) | instskip(SKIP_1) | instid1(VALU_DEP_2)
	v_mov_b32_e32 v105, v101
	v_pk_mul_f32 v[100:101], v[102:103], v[92:93] op_sel:[0,1]
	v_pk_add_f32 v[48:49], v[48:49], v[104:105] neg_lo:[0,1] neg_hi:[0,1]
	s_delay_alu instid0(VALU_DEP_2) | instskip(SKIP_1) | instid1(VALU_DEP_1)
	v_pk_fma_f32 v[104:105], v[102:103], v[90:91], v[100:101] op_sel:[0,0,1] op_sel_hi:[1,1,0] neg_lo:[0,0,1] neg_hi:[0,0,1]
	v_pk_fma_f32 v[100:101], v[102:103], v[90:91], v[100:101] op_sel:[0,0,1] op_sel_hi:[1,0,0]
	v_mov_b32_e32 v105, v101
	ds_load_2addr_b64 v[100:103], v94 offset0:21 offset1:22
	v_pk_add_f32 v[74:75], v[74:75], v[104:105] neg_lo:[0,1] neg_hi:[0,1]
	s_wait_dscnt 0x0
	v_pk_mul_f32 v[104:105], v[100:101], v[92:93] op_sel:[0,1]
	s_delay_alu instid0(VALU_DEP_1) | instskip(SKIP_1) | instid1(VALU_DEP_1)
	v_pk_fma_f32 v[106:107], v[100:101], v[90:91], v[104:105] op_sel:[0,0,1] op_sel_hi:[1,1,0] neg_lo:[0,0,1] neg_hi:[0,0,1]
	v_pk_fma_f32 v[100:101], v[100:101], v[90:91], v[104:105] op_sel:[0,0,1] op_sel_hi:[1,0,0]
	v_mov_b32_e32 v107, v101
	v_pk_mul_f32 v[100:101], v[102:103], v[92:93] op_sel:[0,1]
	s_delay_alu instid0(VALU_DEP_2) | instskip(NEXT) | instid1(VALU_DEP_2)
	v_pk_add_f32 v[44:45], v[44:45], v[106:107] neg_lo:[0,1] neg_hi:[0,1]
	v_pk_fma_f32 v[104:105], v[102:103], v[90:91], v[100:101] op_sel:[0,0,1] op_sel_hi:[1,1,0] neg_lo:[0,0,1] neg_hi:[0,0,1]
	v_pk_fma_f32 v[100:101], v[102:103], v[90:91], v[100:101] op_sel:[0,0,1] op_sel_hi:[1,0,0]
	s_delay_alu instid0(VALU_DEP_1) | instskip(SKIP_4) | instid1(VALU_DEP_1)
	v_mov_b32_e32 v105, v101
	ds_load_2addr_b64 v[100:103], v94 offset0:23 offset1:24
	v_pk_add_f32 v[46:47], v[46:47], v[104:105] neg_lo:[0,1] neg_hi:[0,1]
	s_wait_dscnt 0x0
	v_pk_mul_f32 v[104:105], v[100:101], v[92:93] op_sel:[0,1]
	v_pk_fma_f32 v[106:107], v[100:101], v[90:91], v[104:105] op_sel:[0,0,1] op_sel_hi:[1,1,0] neg_lo:[0,0,1] neg_hi:[0,0,1]
	v_pk_fma_f32 v[100:101], v[100:101], v[90:91], v[104:105] op_sel:[0,0,1] op_sel_hi:[1,0,0]
	v_dual_mul_f32 v104, v103, v93 :: v_dual_mov_b32 v100, v103
	s_delay_alu instid0(VALU_DEP_2) | instskip(NEXT) | instid1(VALU_DEP_2)
	v_dual_mov_b32 v107, v101 :: v_dual_mov_b32 v101, v102
	v_pk_fma_f32 v[104:105], v[102:103], v[86:87], v[104:105] op_sel_hi:[1,1,0] neg_lo:[0,0,1] neg_hi:[0,0,1]
	v_mul_f32_e32 v102, v103, v90
	s_delay_alu instid0(VALU_DEP_3) | instskip(NEXT) | instid1(VALU_DEP_2)
	v_pk_add_f32 v[42:43], v[42:43], v[106:107] neg_lo:[0,1] neg_hi:[0,1]
	v_pk_fma_f32 v[100:101], v[100:101], v[86:87], v[102:103] op_sel_hi:[1,1,0]
	s_delay_alu instid0(VALU_DEP_1) | instskip(SKIP_4) | instid1(VALU_DEP_1)
	v_mov_b32_e32 v105, v101
	ds_load_2addr_b64 v[100:103], v94 offset0:25 offset1:26
	v_pk_add_f32 v[72:73], v[72:73], v[104:105] neg_lo:[0,1] neg_hi:[0,1]
	s_wait_dscnt 0x0
	v_pk_mul_f32 v[104:105], v[100:101], v[92:93] op_sel:[0,1]
	v_pk_fma_f32 v[106:107], v[100:101], v[90:91], v[104:105] op_sel:[0,0,1] op_sel_hi:[1,1,0] neg_lo:[0,0,1] neg_hi:[0,0,1]
	v_pk_fma_f32 v[100:101], v[100:101], v[90:91], v[104:105] op_sel:[0,0,1] op_sel_hi:[1,0,0]
	s_delay_alu instid0(VALU_DEP_1) | instskip(SKIP_1) | instid1(VALU_DEP_1)
	v_mov_b32_e32 v107, v101
	v_pk_mul_f32 v[100:101], v[102:103], v[92:93] op_sel:[0,1]
	v_pk_fma_f32 v[104:105], v[102:103], v[90:91], v[100:101] op_sel:[0,0,1] op_sel_hi:[1,1,0] neg_lo:[0,0,1] neg_hi:[0,0,1]
	v_pk_fma_f32 v[100:101], v[102:103], v[90:91], v[100:101] op_sel:[0,0,1] op_sel_hi:[1,0,0]
	s_delay_alu instid0(VALU_DEP_1)
	v_mov_b32_e32 v105, v101
	ds_load_2addr_b64 v[100:103], v94 offset0:27 offset1:28
	v_pk_add_f32 v[36:37], v[36:37], v[106:107] neg_lo:[0,1] neg_hi:[0,1]
	v_pk_add_f32 v[38:39], v[38:39], v[104:105] neg_lo:[0,1] neg_hi:[0,1]
	s_wait_dscnt 0x0
	v_pk_mul_f32 v[104:105], v[100:101], v[92:93] op_sel:[0,1]
	s_delay_alu instid0(VALU_DEP_1) | instskip(SKIP_1) | instid1(VALU_DEP_1)
	v_pk_fma_f32 v[106:107], v[100:101], v[90:91], v[104:105] op_sel:[0,0,1] op_sel_hi:[1,1,0] neg_lo:[0,0,1] neg_hi:[0,0,1]
	v_pk_fma_f32 v[100:101], v[100:101], v[90:91], v[104:105] op_sel:[0,0,1] op_sel_hi:[1,0,0]
	v_mov_b32_e32 v107, v101
	v_pk_mul_f32 v[100:101], v[102:103], v[92:93] op_sel:[0,1]
	s_delay_alu instid0(VALU_DEP_1) | instskip(SKIP_1) | instid1(VALU_DEP_1)
	v_pk_fma_f32 v[104:105], v[102:103], v[90:91], v[100:101] op_sel:[0,0,1] op_sel_hi:[1,1,0] neg_lo:[0,0,1] neg_hi:[0,0,1]
	v_pk_fma_f32 v[100:101], v[102:103], v[90:91], v[100:101] op_sel:[0,0,1] op_sel_hi:[1,0,0]
	v_mov_b32_e32 v105, v101
	ds_load_2addr_b64 v[100:103], v94 offset0:29 offset1:30
	v_pk_add_f32 v[34:35], v[34:35], v[106:107] neg_lo:[0,1] neg_hi:[0,1]
	v_pk_add_f32 v[70:71], v[70:71], v[104:105] neg_lo:[0,1] neg_hi:[0,1]
	s_wait_dscnt 0x0
	v_dual_mul_f32 v104, v101, v93 :: v_dual_mul_f32 v106, v101, v90
	s_delay_alu instid0(VALU_DEP_1) | instskip(NEXT) | instid1(VALU_DEP_2)
	v_pk_fma_f32 v[104:105], v[100:101], v[86:87], v[104:105] op_sel_hi:[1,1,0] neg_lo:[0,0,1] neg_hi:[0,0,1]
	v_pk_fma_f32 v[100:101], v[100:101], v[86:87], v[106:107] op_sel:[1,0,0] op_sel_hi:[0,1,0]
	s_delay_alu instid0(VALU_DEP_1) | instskip(SKIP_1) | instid1(VALU_DEP_2)
	v_mov_b32_e32 v105, v101
	v_pk_mul_f32 v[100:101], v[102:103], v[92:93] op_sel:[0,1]
	v_pk_add_f32 v[30:31], v[30:31], v[104:105] neg_lo:[0,1] neg_hi:[0,1]
	s_delay_alu instid0(VALU_DEP_2) | instskip(SKIP_1) | instid1(VALU_DEP_1)
	v_pk_fma_f32 v[104:105], v[102:103], v[90:91], v[100:101] op_sel:[0,0,1] op_sel_hi:[1,1,0] neg_lo:[0,0,1] neg_hi:[0,0,1]
	v_pk_fma_f32 v[100:101], v[102:103], v[90:91], v[100:101] op_sel:[0,0,1] op_sel_hi:[1,0,0]
	v_mov_b32_e32 v105, v101
	ds_load_2addr_b64 v[100:103], v94 offset0:31 offset1:32
	v_pk_add_f32 v[32:33], v[32:33], v[104:105] neg_lo:[0,1] neg_hi:[0,1]
	s_wait_dscnt 0x0
	v_pk_mul_f32 v[104:105], v[100:101], v[92:93] op_sel:[0,1]
	s_delay_alu instid0(VALU_DEP_1) | instskip(SKIP_1) | instid1(VALU_DEP_1)
	v_pk_fma_f32 v[106:107], v[100:101], v[90:91], v[104:105] op_sel:[0,0,1] op_sel_hi:[1,1,0] neg_lo:[0,0,1] neg_hi:[0,0,1]
	v_pk_fma_f32 v[100:101], v[100:101], v[90:91], v[104:105] op_sel:[0,0,1] op_sel_hi:[1,0,0]
	v_mov_b32_e32 v107, v101
	v_pk_mul_f32 v[100:101], v[102:103], v[92:93] op_sel:[0,1]
	s_delay_alu instid0(VALU_DEP_2) | instskip(NEXT) | instid1(VALU_DEP_2)
	v_pk_add_f32 v[28:29], v[28:29], v[106:107] neg_lo:[0,1] neg_hi:[0,1]
	v_pk_fma_f32 v[104:105], v[102:103], v[90:91], v[100:101] op_sel:[0,0,1] op_sel_hi:[1,1,0] neg_lo:[0,0,1] neg_hi:[0,0,1]
	v_pk_fma_f32 v[100:101], v[102:103], v[90:91], v[100:101] op_sel:[0,0,1] op_sel_hi:[1,0,0]
	s_delay_alu instid0(VALU_DEP_1) | instskip(SKIP_4) | instid1(VALU_DEP_1)
	v_mov_b32_e32 v105, v101
	ds_load_2addr_b64 v[100:103], v94 offset0:33 offset1:34
	v_pk_add_f32 v[64:65], v[64:65], v[104:105] neg_lo:[0,1] neg_hi:[0,1]
	s_wait_dscnt 0x0
	v_pk_mul_f32 v[104:105], v[100:101], v[92:93] op_sel:[0,1]
	v_pk_fma_f32 v[106:107], v[100:101], v[90:91], v[104:105] op_sel:[0,0,1] op_sel_hi:[1,1,0] neg_lo:[0,0,1] neg_hi:[0,0,1]
	v_pk_fma_f32 v[100:101], v[100:101], v[90:91], v[104:105] op_sel:[0,0,1] op_sel_hi:[1,0,0]
	v_dual_mul_f32 v104, v103, v93 :: v_dual_mov_b32 v100, v103
	s_delay_alu instid0(VALU_DEP_2) | instskip(NEXT) | instid1(VALU_DEP_2)
	v_dual_mov_b32 v107, v101 :: v_dual_mov_b32 v101, v102
	v_pk_fma_f32 v[104:105], v[102:103], v[86:87], v[104:105] op_sel_hi:[1,1,0] neg_lo:[0,0,1] neg_hi:[0,0,1]
	v_mul_f32_e32 v102, v103, v90
	s_delay_alu instid0(VALU_DEP_3) | instskip(NEXT) | instid1(VALU_DEP_2)
	v_pk_add_f32 v[10:11], v[10:11], v[106:107] neg_lo:[0,1] neg_hi:[0,1]
	v_pk_fma_f32 v[100:101], v[100:101], v[86:87], v[102:103] op_sel_hi:[1,1,0]
	s_delay_alu instid0(VALU_DEP_1) | instskip(SKIP_4) | instid1(VALU_DEP_1)
	v_mov_b32_e32 v105, v101
	ds_load_2addr_b64 v[100:103], v94 offset0:35 offset1:36
	v_pk_add_f32 v[12:13], v[12:13], v[104:105] neg_lo:[0,1] neg_hi:[0,1]
	s_wait_dscnt 0x0
	v_pk_mul_f32 v[104:105], v[100:101], v[92:93] op_sel:[0,1]
	v_pk_fma_f32 v[106:107], v[100:101], v[90:91], v[104:105] op_sel:[0,0,1] op_sel_hi:[1,1,0] neg_lo:[0,0,1] neg_hi:[0,0,1]
	v_pk_fma_f32 v[100:101], v[100:101], v[90:91], v[104:105] op_sel:[0,0,1] op_sel_hi:[1,0,0]
	s_delay_alu instid0(VALU_DEP_1) | instskip(SKIP_1) | instid1(VALU_DEP_1)
	v_mov_b32_e32 v107, v101
	v_pk_mul_f32 v[100:101], v[102:103], v[92:93] op_sel:[0,1]
	v_pk_fma_f32 v[104:105], v[102:103], v[90:91], v[100:101] op_sel:[0,0,1] op_sel_hi:[1,1,0] neg_lo:[0,0,1] neg_hi:[0,0,1]
	v_pk_fma_f32 v[100:101], v[102:103], v[90:91], v[100:101] op_sel:[0,0,1] op_sel_hi:[1,0,0]
	s_delay_alu instid0(VALU_DEP_1)
	v_mov_b32_e32 v105, v101
	ds_load_2addr_b64 v[100:103], v94 offset0:37 offset1:38
	v_pk_add_f32 v[8:9], v[8:9], v[106:107] neg_lo:[0,1] neg_hi:[0,1]
	v_pk_add_f32 v[62:63], v[62:63], v[104:105] neg_lo:[0,1] neg_hi:[0,1]
	s_wait_dscnt 0x0
	v_pk_mul_f32 v[104:105], v[100:101], v[92:93] op_sel:[0,1]
	s_delay_alu instid0(VALU_DEP_1) | instskip(SKIP_1) | instid1(VALU_DEP_1)
	v_pk_fma_f32 v[106:107], v[100:101], v[90:91], v[104:105] op_sel:[0,0,1] op_sel_hi:[1,1,0] neg_lo:[0,0,1] neg_hi:[0,0,1]
	v_pk_fma_f32 v[100:101], v[100:101], v[90:91], v[104:105] op_sel:[0,0,1] op_sel_hi:[1,0,0]
	v_mov_b32_e32 v107, v101
	v_pk_mul_f32 v[100:101], v[102:103], v[92:93] op_sel:[0,1]
	s_delay_alu instid0(VALU_DEP_1) | instskip(SKIP_1) | instid1(VALU_DEP_1)
	v_pk_fma_f32 v[104:105], v[102:103], v[90:91], v[100:101] op_sel:[0,0,1] op_sel_hi:[1,1,0] neg_lo:[0,0,1] neg_hi:[0,0,1]
	v_pk_fma_f32 v[100:101], v[102:103], v[90:91], v[100:101] op_sel:[0,0,1] op_sel_hi:[1,0,0]
	v_mov_b32_e32 v105, v101
	ds_load_2addr_b64 v[100:103], v94 offset0:39 offset1:40
	v_pk_add_f32 v[6:7], v[6:7], v[106:107] neg_lo:[0,1] neg_hi:[0,1]
	v_pk_add_f32 v[54:55], v[54:55], v[104:105] neg_lo:[0,1] neg_hi:[0,1]
	s_wait_dscnt 0x0
	v_dual_mul_f32 v104, v101, v93 :: v_dual_mul_f32 v106, v101, v90
	s_delay_alu instid0(VALU_DEP_1) | instskip(NEXT) | instid1(VALU_DEP_2)
	v_pk_fma_f32 v[104:105], v[100:101], v[86:87], v[104:105] op_sel_hi:[1,1,0] neg_lo:[0,0,1] neg_hi:[0,0,1]
	v_pk_fma_f32 v[100:101], v[100:101], v[86:87], v[106:107] op_sel:[1,0,0] op_sel_hi:[0,1,0]
	s_delay_alu instid0(VALU_DEP_1) | instskip(SKIP_1) | instid1(VALU_DEP_2)
	v_mov_b32_e32 v105, v101
	v_pk_mul_f32 v[100:101], v[102:103], v[92:93] op_sel:[0,1]
	v_pk_add_f32 v[40:41], v[40:41], v[104:105] neg_lo:[0,1] neg_hi:[0,1]
	s_delay_alu instid0(VALU_DEP_2) | instskip(SKIP_1) | instid1(VALU_DEP_1)
	v_pk_fma_f32 v[104:105], v[102:103], v[90:91], v[100:101] op_sel:[0,0,1] op_sel_hi:[1,1,0] neg_lo:[0,0,1] neg_hi:[0,0,1]
	v_pk_fma_f32 v[100:101], v[102:103], v[90:91], v[100:101] op_sel:[0,0,1] op_sel_hi:[1,0,0]
	v_mov_b32_e32 v105, v101
	ds_load_b64 v[100:101], v94 offset:328
	v_pk_add_f32 v[24:25], v[24:25], v[104:105] neg_lo:[0,1] neg_hi:[0,1]
	s_wait_dscnt 0x0
	v_pk_mul_f32 v[92:93], v[100:101], v[92:93] op_sel:[0,1]
	s_delay_alu instid0(VALU_DEP_1) | instskip(SKIP_1) | instid1(VALU_DEP_1)
	v_pk_fma_f32 v[102:103], v[100:101], v[90:91], v[92:93] op_sel:[0,0,1] op_sel_hi:[1,1,0] neg_lo:[0,0,1] neg_hi:[0,0,1]
	v_pk_fma_f32 v[90:91], v[100:101], v[90:91], v[92:93] op_sel:[0,0,1] op_sel_hi:[1,0,0]
	v_mov_b32_e32 v103, v91
	s_delay_alu instid0(VALU_DEP_1)
	v_pk_add_f32 v[88:89], v[88:89], v[102:103] neg_lo:[0,1] neg_hi:[0,1]
.LBB82_22:
	s_or_b32 exec_lo, exec_lo, s0
	v_lshl_add_u32 v90, v98, 3, v94
	s_barrier_signal -1
	s_barrier_wait -1
	ds_store_b64 v90, v[84:85]
	s_wait_dscnt 0x0
	s_barrier_signal -1
	s_barrier_wait -1
	ds_load_b64 v[92:93], v94 offset:8
	v_mov_b32_e32 v90, 1
	s_cmp_lt_i32 s18, 3
	s_cbranch_scc1 .LBB82_25
; %bb.23:
	v_add3_u32 v91, v95, 0, 16
	v_mov_b32_e32 v90, 1
	s_mov_b32 s0, 2
.LBB82_24:                              ; =>This Inner Loop Header: Depth=1
	ds_load_b64 v[100:101], v91
	s_wait_dscnt 0x1
	v_cmp_gt_f32_e32 vcc_lo, 0, v92
	v_cndmask_b32_e64 v102, v92, -v92, vcc_lo
	v_cmp_gt_f32_e32 vcc_lo, 0, v93
	v_cndmask_b32_e64 v104, v93, -v93, vcc_lo
	s_wait_dscnt 0x0
	v_cmp_gt_f32_e32 vcc_lo, 0, v100
	v_cndmask_b32_e64 v103, v100, -v100, vcc_lo
	v_cmp_gt_f32_e32 vcc_lo, 0, v101
	v_cndmask_b32_e64 v105, v101, -v101, vcc_lo
	s_delay_alu instid0(VALU_DEP_1) | instskip(NEXT) | instid1(VALU_DEP_1)
	v_pk_add_f32 v[102:103], v[102:103], v[104:105]
	v_cmp_lt_f32_e32 vcc_lo, v102, v103
	v_dual_add_nc_u32 v91, 8, v91 :: v_dual_cndmask_b32 v93, v93, v101, vcc_lo
	v_cndmask_b32_e32 v92, v92, v100, vcc_lo
	v_cndmask_b32_e64 v90, v90, s0, vcc_lo
	s_add_co_i32 s0, s0, 1
	s_delay_alu instid0(SALU_CYCLE_1)
	s_cmp_lg_u32 s18, s0
	s_cbranch_scc1 .LBB82_24
.LBB82_25:
	s_wait_dscnt 0x0
	v_cmp_neq_f32_e32 vcc_lo, 0, v92
	v_cmp_neq_f32_e64 s0, 0, v93
	s_or_b32 s1, vcc_lo, s0
	s_delay_alu instid0(SALU_CYCLE_1)
	s_and_saveexec_b32 s0, s1
	s_cbranch_execz .LBB82_31
; %bb.26:
	v_cmp_ngt_f32_e64 s1, |v92|, |v93|
	s_and_saveexec_b32 s12, s1
	s_delay_alu instid0(SALU_CYCLE_1)
	s_xor_b32 s1, exec_lo, s12
	s_cbranch_execz .LBB82_28
; %bb.27:
	v_div_scale_f32 v91, null, v93, v93, v92
	v_div_scale_f32 v101, vcc_lo, v92, v93, v92
	s_delay_alu instid0(VALU_DEP_2) | instskip(SKIP_1) | instid1(TRANS32_DEP_1)
	v_rcp_f32_e32 v96, v91
	v_nop
	v_fma_f32 v100, -v91, v96, 1.0
	s_delay_alu instid0(VALU_DEP_1) | instskip(NEXT) | instid1(VALU_DEP_1)
	v_fmac_f32_e32 v96, v100, v96
	v_mul_f32_e32 v100, v101, v96
	s_delay_alu instid0(VALU_DEP_1) | instskip(NEXT) | instid1(VALU_DEP_1)
	v_fma_f32 v102, -v91, v100, v101
	v_fmac_f32_e32 v100, v102, v96
	s_delay_alu instid0(VALU_DEP_1) | instskip(NEXT) | instid1(VALU_DEP_1)
	v_fma_f32 v91, -v91, v100, v101
	v_div_fmas_f32 v91, v91, v96, v100
	s_delay_alu instid0(VALU_DEP_1) | instskip(NEXT) | instid1(VALU_DEP_1)
	v_div_fixup_f32 v91, v91, v93, v92
	v_fmac_f32_e32 v93, v92, v91
	s_delay_alu instid0(VALU_DEP_1) | instskip(SKIP_1) | instid1(VALU_DEP_2)
	v_div_scale_f32 v92, null, v93, v93, 1.0
	v_div_scale_f32 v101, vcc_lo, 1.0, v93, 1.0
	v_rcp_f32_e32 v96, v92
	v_nop
	s_delay_alu instid0(TRANS32_DEP_1) | instskip(NEXT) | instid1(VALU_DEP_1)
	v_fma_f32 v100, -v92, v96, 1.0
	v_fmac_f32_e32 v96, v100, v96
	s_delay_alu instid0(VALU_DEP_1) | instskip(NEXT) | instid1(VALU_DEP_1)
	v_mul_f32_e32 v100, v101, v96
	v_fma_f32 v102, -v92, v100, v101
	s_delay_alu instid0(VALU_DEP_1) | instskip(NEXT) | instid1(VALU_DEP_1)
	v_fmac_f32_e32 v100, v102, v96
	v_fma_f32 v92, -v92, v100, v101
	s_delay_alu instid0(VALU_DEP_1) | instskip(NEXT) | instid1(VALU_DEP_1)
	v_div_fmas_f32 v92, v92, v96, v100
	v_div_fixup_f32 v93, v92, v93, 1.0
	s_delay_alu instid0(VALU_DEP_1)
	v_mul_f32_e32 v92, v91, v93
	v_xor_b32_e32 v93, 0x80000000, v93
.LBB82_28:
	s_and_not1_saveexec_b32 s1, s1
	s_cbranch_execz .LBB82_30
; %bb.29:
	s_delay_alu instid0(VALU_DEP_1) | instskip(SKIP_1) | instid1(VALU_DEP_2)
	v_div_scale_f32 v91, null, v92, v92, v93
	v_div_scale_f32 v101, vcc_lo, v93, v92, v93
	v_rcp_f32_e32 v96, v91
	v_nop
	s_delay_alu instid0(TRANS32_DEP_1) | instskip(NEXT) | instid1(VALU_DEP_1)
	v_fma_f32 v100, -v91, v96, 1.0
	v_fmac_f32_e32 v96, v100, v96
	s_delay_alu instid0(VALU_DEP_1) | instskip(NEXT) | instid1(VALU_DEP_1)
	v_mul_f32_e32 v100, v101, v96
	v_fma_f32 v102, -v91, v100, v101
	s_delay_alu instid0(VALU_DEP_1) | instskip(NEXT) | instid1(VALU_DEP_1)
	v_fmac_f32_e32 v100, v102, v96
	v_fma_f32 v91, -v91, v100, v101
	s_delay_alu instid0(VALU_DEP_1) | instskip(NEXT) | instid1(VALU_DEP_1)
	v_div_fmas_f32 v91, v91, v96, v100
	v_div_fixup_f32 v91, v91, v92, v93
	s_delay_alu instid0(VALU_DEP_1) | instskip(NEXT) | instid1(VALU_DEP_1)
	v_fmac_f32_e32 v92, v93, v91
	v_div_scale_f32 v93, null, v92, v92, 1.0
	s_delay_alu instid0(VALU_DEP_1) | instskip(SKIP_1) | instid1(TRANS32_DEP_1)
	v_rcp_f32_e32 v96, v93
	v_nop
	v_fma_f32 v100, -v93, v96, 1.0
	s_delay_alu instid0(VALU_DEP_1) | instskip(SKIP_1) | instid1(VALU_DEP_1)
	v_fmac_f32_e32 v96, v100, v96
	v_div_scale_f32 v100, vcc_lo, 1.0, v92, 1.0
	v_mul_f32_e32 v101, v100, v96
	s_delay_alu instid0(VALU_DEP_1) | instskip(NEXT) | instid1(VALU_DEP_1)
	v_fma_f32 v102, -v93, v101, v100
	v_fmac_f32_e32 v101, v102, v96
	s_delay_alu instid0(VALU_DEP_1) | instskip(NEXT) | instid1(VALU_DEP_1)
	v_fma_f32 v93, -v93, v101, v100
	v_div_fmas_f32 v93, v93, v96, v101
	s_delay_alu instid0(VALU_DEP_1) | instskip(NEXT) | instid1(VALU_DEP_1)
	v_div_fixup_f32 v92, v93, v92, 1.0
	v_mul_f32_e64 v93, v91, -v92
.LBB82_30:
	s_or_b32 exec_lo, exec_lo, s1
	v_mov_b32_e32 v96, v99
.LBB82_31:
	s_or_b32 exec_lo, exec_lo, s0
	s_delay_alu instid0(SALU_CYCLE_1)
	s_mov_b32 s0, exec_lo
	v_cmpx_ne_u32_e64 v98, v90
	s_xor_b32 s0, exec_lo, s0
	s_cbranch_execz .LBB82_37
; %bb.32:
	s_mov_b32 s1, exec_lo
	v_cmpx_eq_u32_e32 1, v98
	s_cbranch_execz .LBB82_36
; %bb.33:
	v_cmp_ne_u32_e32 vcc_lo, 1, v90
	s_xor_b32 s12, s16, -1
	s_delay_alu instid0(SALU_CYCLE_1) | instskip(NEXT) | instid1(SALU_CYCLE_1)
	s_and_b32 s13, s12, vcc_lo
	s_and_saveexec_b32 s12, s13
	s_cbranch_execz .LBB82_35
; %bb.34:
	v_ashrrev_i32_e32 v91, 31, v90
	s_delay_alu instid0(VALU_DEP_1)
	v_lshl_add_u64 v[98:99], v[90:91], 2, v[4:5]
	s_clause 0x1
	global_load_b32 v91, v[98:99], off
	global_load_b32 v97, v[4:5], off offset:4
	s_wait_loadcnt 0x1
	global_store_b32 v[4:5], v91, off offset:4
	s_wait_loadcnt 0x0
	global_store_b32 v[98:99], v97, off
.LBB82_35:
	s_wait_xcnt 0x0
	s_or_b32 exec_lo, exec_lo, s12
	v_dual_mov_b32 v98, v90 :: v_dual_mov_b32 v97, v90
.LBB82_36:
	s_or_b32 exec_lo, exec_lo, s1
.LBB82_37:
	s_and_not1_saveexec_b32 s0, s0
	s_cbranch_execz .LBB82_39
; %bb.38:
	v_dual_mov_b32 v90, v82 :: v_dual_mov_b32 v91, v83
	v_dual_mov_b32 v98, v80 :: v_dual_mov_b32 v99, v81
	ds_store_2addr_b64 v94, v[90:91], v[98:99] offset0:2 offset1:3
	v_dual_mov_b32 v90, v66 :: v_dual_mov_b32 v91, v67
	v_dual_mov_b32 v98, v16 :: v_dual_mov_b32 v99, v17
	ds_store_2addr_b64 v94, v[90:91], v[98:99] offset0:4 offset1:5
	;; [unrolled: 3-line block ×19, first 2 shown]
	v_dual_mov_b32 v90, v24 :: v_dual_mov_b32 v91, v25
	v_mov_b32_e32 v98, 1
	ds_store_2addr_b64 v94, v[90:91], v[88:89] offset0:40 offset1:41
.LBB82_39:
	s_or_b32 exec_lo, exec_lo, s0
	s_delay_alu instid0(SALU_CYCLE_1)
	s_mov_b32 s0, exec_lo
	s_wait_storecnt_dscnt 0x0
	s_barrier_signal -1
	s_barrier_wait -1
	v_cmpx_lt_i32_e32 1, v98
	s_cbranch_execz .LBB82_41
; %bb.40:
	v_pk_mul_f32 v[100:101], v[92:93], v[84:85] op_sel:[1,1] op_sel_hi:[0,1]
	s_delay_alu instid0(VALU_DEP_1)
	v_pk_fma_f32 v[90:91], v[92:93], v[84:85], v[100:101] op_sel_hi:[1,0,1] neg_lo:[0,0,1] neg_hi:[0,0,1]
	v_pk_fma_f32 v[92:93], v[92:93], v[84:85], v[100:101] op_sel_hi:[1,0,1]
	ds_load_2addr_b64 v[100:103], v94 offset0:2 offset1:3
	v_dual_mov_b32 v84, v90 :: v_dual_mov_b32 v85, v93
	s_wait_dscnt 0x0
	v_pk_mul_f32 v[104:105], v[100:101], v[92:93] op_sel:[0,1]
	s_delay_alu instid0(VALU_DEP_1) | instskip(SKIP_1) | instid1(VALU_DEP_1)
	v_pk_fma_f32 v[106:107], v[100:101], v[90:91], v[104:105] op_sel:[0,0,1] op_sel_hi:[1,1,0] neg_lo:[0,0,1] neg_hi:[0,0,1]
	v_pk_fma_f32 v[100:101], v[100:101], v[90:91], v[104:105] op_sel:[0,0,1] op_sel_hi:[1,0,0]
	v_mov_b32_e32 v107, v101
	v_pk_mul_f32 v[100:101], v[102:103], v[92:93] op_sel:[0,1]
	s_delay_alu instid0(VALU_DEP_1) | instskip(SKIP_1) | instid1(VALU_DEP_1)
	v_pk_fma_f32 v[104:105], v[102:103], v[90:91], v[100:101] op_sel:[0,0,1] op_sel_hi:[1,1,0] neg_lo:[0,0,1] neg_hi:[0,0,1]
	v_pk_fma_f32 v[100:101], v[102:103], v[90:91], v[100:101] op_sel:[0,0,1] op_sel_hi:[1,0,0]
	v_mov_b32_e32 v105, v101
	ds_load_2addr_b64 v[100:103], v94 offset0:4 offset1:5
	v_pk_add_f32 v[82:83], v[82:83], v[106:107] neg_lo:[0,1] neg_hi:[0,1]
	v_pk_add_f32 v[80:81], v[80:81], v[104:105] neg_lo:[0,1] neg_hi:[0,1]
	s_wait_dscnt 0x0
	v_pk_mul_f32 v[104:105], v[100:101], v[92:93] op_sel:[0,1]
	s_delay_alu instid0(VALU_DEP_1) | instskip(SKIP_2) | instid1(VALU_DEP_2)
	v_pk_fma_f32 v[106:107], v[100:101], v[90:91], v[104:105] op_sel:[0,0,1] op_sel_hi:[1,1,0] neg_lo:[0,0,1] neg_hi:[0,0,1]
	v_pk_fma_f32 v[100:101], v[100:101], v[90:91], v[104:105] op_sel:[0,0,1] op_sel_hi:[1,0,0]
	v_dual_mul_f32 v104, v103, v93 :: v_dual_mov_b32 v100, v103
	v_dual_mov_b32 v107, v101 :: v_dual_mov_b32 v101, v102
	s_delay_alu instid0(VALU_DEP_2) | instskip(SKIP_1) | instid1(VALU_DEP_3)
	v_pk_fma_f32 v[104:105], v[102:103], v[84:85], v[104:105] op_sel_hi:[1,1,0] neg_lo:[0,0,1] neg_hi:[0,0,1]
	v_mul_f32_e32 v102, v103, v90
	v_pk_add_f32 v[66:67], v[66:67], v[106:107] neg_lo:[0,1] neg_hi:[0,1]
	s_delay_alu instid0(VALU_DEP_2) | instskip(NEXT) | instid1(VALU_DEP_1)
	v_pk_fma_f32 v[100:101], v[100:101], v[84:85], v[102:103] op_sel_hi:[1,1,0]
	v_mov_b32_e32 v105, v101
	ds_load_2addr_b64 v[100:103], v94 offset0:6 offset1:7
	v_pk_add_f32 v[16:17], v[16:17], v[104:105] neg_lo:[0,1] neg_hi:[0,1]
	s_wait_dscnt 0x0
	v_pk_mul_f32 v[104:105], v[100:101], v[92:93] op_sel:[0,1]
	s_delay_alu instid0(VALU_DEP_1) | instskip(SKIP_1) | instid1(VALU_DEP_1)
	v_pk_fma_f32 v[106:107], v[100:101], v[90:91], v[104:105] op_sel:[0,0,1] op_sel_hi:[1,1,0] neg_lo:[0,0,1] neg_hi:[0,0,1]
	v_pk_fma_f32 v[100:101], v[100:101], v[90:91], v[104:105] op_sel:[0,0,1] op_sel_hi:[1,0,0]
	v_mov_b32_e32 v107, v101
	v_pk_mul_f32 v[100:101], v[102:103], v[92:93] op_sel:[0,1]
	s_delay_alu instid0(VALU_DEP_1) | instskip(SKIP_1) | instid1(VALU_DEP_1)
	v_pk_fma_f32 v[104:105], v[102:103], v[90:91], v[100:101] op_sel:[0,0,1] op_sel_hi:[1,1,0] neg_lo:[0,0,1] neg_hi:[0,0,1]
	v_pk_fma_f32 v[100:101], v[102:103], v[90:91], v[100:101] op_sel:[0,0,1] op_sel_hi:[1,0,0]
	v_mov_b32_e32 v105, v101
	ds_load_2addr_b64 v[100:103], v94 offset0:8 offset1:9
	v_pk_add_f32 v[18:19], v[18:19], v[106:107] neg_lo:[0,1] neg_hi:[0,1]
	v_pk_add_f32 v[14:15], v[14:15], v[104:105] neg_lo:[0,1] neg_hi:[0,1]
	s_wait_dscnt 0x0
	v_pk_mul_f32 v[104:105], v[100:101], v[92:93] op_sel:[0,1]
	s_delay_alu instid0(VALU_DEP_1) | instskip(SKIP_1) | instid1(VALU_DEP_1)
	v_pk_fma_f32 v[106:107], v[100:101], v[90:91], v[104:105] op_sel:[0,0,1] op_sel_hi:[1,1,0] neg_lo:[0,0,1] neg_hi:[0,0,1]
	v_pk_fma_f32 v[100:101], v[100:101], v[90:91], v[104:105] op_sel:[0,0,1] op_sel_hi:[1,0,0]
	v_mov_b32_e32 v107, v101
	v_pk_mul_f32 v[100:101], v[102:103], v[92:93] op_sel:[0,1]
	s_delay_alu instid0(VALU_DEP_1) | instskip(SKIP_1) | instid1(VALU_DEP_1)
	v_pk_fma_f32 v[104:105], v[102:103], v[90:91], v[100:101] op_sel:[0,0,1] op_sel_hi:[1,1,0] neg_lo:[0,0,1] neg_hi:[0,0,1]
	v_pk_fma_f32 v[100:101], v[102:103], v[90:91], v[100:101] op_sel:[0,0,1] op_sel_hi:[1,0,0]
	v_mov_b32_e32 v105, v101
	ds_load_2addr_b64 v[100:103], v94 offset0:10 offset1:11
	v_pk_add_f32 v[68:69], v[68:69], v[106:107] neg_lo:[0,1] neg_hi:[0,1]
	v_pk_add_f32 v[22:23], v[22:23], v[104:105] neg_lo:[0,1] neg_hi:[0,1]
	s_wait_dscnt 0x0
	v_dual_mul_f32 v104, v101, v93 :: v_dual_mul_f32 v106, v101, v90
	s_delay_alu instid0(VALU_DEP_1) | instskip(NEXT) | instid1(VALU_DEP_2)
	v_pk_fma_f32 v[104:105], v[100:101], v[84:85], v[104:105] op_sel_hi:[1,1,0] neg_lo:[0,0,1] neg_hi:[0,0,1]
	v_pk_fma_f32 v[100:101], v[100:101], v[84:85], v[106:107] op_sel:[1,0,0] op_sel_hi:[0,1,0]
	s_delay_alu instid0(VALU_DEP_1) | instskip(SKIP_1) | instid1(VALU_DEP_2)
	v_mov_b32_e32 v105, v101
	v_pk_mul_f32 v[100:101], v[102:103], v[92:93] op_sel:[0,1]
	v_pk_add_f32 v[26:27], v[26:27], v[104:105] neg_lo:[0,1] neg_hi:[0,1]
	s_delay_alu instid0(VALU_DEP_2) | instskip(SKIP_1) | instid1(VALU_DEP_1)
	v_pk_fma_f32 v[104:105], v[102:103], v[90:91], v[100:101] op_sel:[0,0,1] op_sel_hi:[1,1,0] neg_lo:[0,0,1] neg_hi:[0,0,1]
	v_pk_fma_f32 v[100:101], v[102:103], v[90:91], v[100:101] op_sel:[0,0,1] op_sel_hi:[1,0,0]
	v_mov_b32_e32 v105, v101
	ds_load_2addr_b64 v[100:103], v94 offset0:12 offset1:13
	v_pk_add_f32 v[20:21], v[20:21], v[104:105] neg_lo:[0,1] neg_hi:[0,1]
	s_wait_dscnt 0x0
	v_pk_mul_f32 v[104:105], v[100:101], v[92:93] op_sel:[0,1]
	s_delay_alu instid0(VALU_DEP_1) | instskip(SKIP_1) | instid1(VALU_DEP_1)
	v_pk_fma_f32 v[106:107], v[100:101], v[90:91], v[104:105] op_sel:[0,0,1] op_sel_hi:[1,1,0] neg_lo:[0,0,1] neg_hi:[0,0,1]
	v_pk_fma_f32 v[100:101], v[100:101], v[90:91], v[104:105] op_sel:[0,0,1] op_sel_hi:[1,0,0]
	v_mov_b32_e32 v107, v101
	v_pk_mul_f32 v[100:101], v[102:103], v[92:93] op_sel:[0,1]
	s_delay_alu instid0(VALU_DEP_2) | instskip(NEXT) | instid1(VALU_DEP_2)
	v_pk_add_f32 v[78:79], v[78:79], v[106:107] neg_lo:[0,1] neg_hi:[0,1]
	v_pk_fma_f32 v[104:105], v[102:103], v[90:91], v[100:101] op_sel:[0,0,1] op_sel_hi:[1,1,0] neg_lo:[0,0,1] neg_hi:[0,0,1]
	v_pk_fma_f32 v[100:101], v[102:103], v[90:91], v[100:101] op_sel:[0,0,1] op_sel_hi:[1,0,0]
	s_delay_alu instid0(VALU_DEP_1) | instskip(SKIP_4) | instid1(VALU_DEP_1)
	v_mov_b32_e32 v105, v101
	ds_load_2addr_b64 v[100:103], v94 offset0:14 offset1:15
	v_pk_add_f32 v[58:59], v[58:59], v[104:105] neg_lo:[0,1] neg_hi:[0,1]
	s_wait_dscnt 0x0
	v_pk_mul_f32 v[104:105], v[100:101], v[92:93] op_sel:[0,1]
	v_pk_fma_f32 v[106:107], v[100:101], v[90:91], v[104:105] op_sel:[0,0,1] op_sel_hi:[1,1,0] neg_lo:[0,0,1] neg_hi:[0,0,1]
	v_pk_fma_f32 v[100:101], v[100:101], v[90:91], v[104:105] op_sel:[0,0,1] op_sel_hi:[1,0,0]
	v_dual_mul_f32 v104, v103, v93 :: v_dual_mov_b32 v100, v103
	s_delay_alu instid0(VALU_DEP_2) | instskip(NEXT) | instid1(VALU_DEP_2)
	v_dual_mov_b32 v107, v101 :: v_dual_mov_b32 v101, v102
	v_pk_fma_f32 v[104:105], v[102:103], v[84:85], v[104:105] op_sel_hi:[1,1,0] neg_lo:[0,0,1] neg_hi:[0,0,1]
	v_mul_f32_e32 v102, v103, v90
	s_delay_alu instid0(VALU_DEP_3) | instskip(NEXT) | instid1(VALU_DEP_2)
	v_pk_add_f32 v[60:61], v[60:61], v[106:107] neg_lo:[0,1] neg_hi:[0,1]
	v_pk_fma_f32 v[100:101], v[100:101], v[84:85], v[102:103] op_sel_hi:[1,1,0]
	s_delay_alu instid0(VALU_DEP_1) | instskip(SKIP_4) | instid1(VALU_DEP_1)
	v_mov_b32_e32 v105, v101
	ds_load_2addr_b64 v[100:103], v94 offset0:16 offset1:17
	v_pk_add_f32 v[56:57], v[56:57], v[104:105] neg_lo:[0,1] neg_hi:[0,1]
	s_wait_dscnt 0x0
	v_pk_mul_f32 v[104:105], v[100:101], v[92:93] op_sel:[0,1]
	v_pk_fma_f32 v[106:107], v[100:101], v[90:91], v[104:105] op_sel:[0,0,1] op_sel_hi:[1,1,0] neg_lo:[0,0,1] neg_hi:[0,0,1]
	v_pk_fma_f32 v[100:101], v[100:101], v[90:91], v[104:105] op_sel:[0,0,1] op_sel_hi:[1,0,0]
	s_delay_alu instid0(VALU_DEP_1) | instskip(SKIP_1) | instid1(VALU_DEP_1)
	v_mov_b32_e32 v107, v101
	v_pk_mul_f32 v[100:101], v[102:103], v[92:93] op_sel:[0,1]
	v_pk_fma_f32 v[104:105], v[102:103], v[90:91], v[100:101] op_sel:[0,0,1] op_sel_hi:[1,1,0] neg_lo:[0,0,1] neg_hi:[0,0,1]
	v_pk_fma_f32 v[100:101], v[102:103], v[90:91], v[100:101] op_sel:[0,0,1] op_sel_hi:[1,0,0]
	s_delay_alu instid0(VALU_DEP_1)
	v_mov_b32_e32 v105, v101
	ds_load_2addr_b64 v[100:103], v94 offset0:18 offset1:19
	v_pk_add_f32 v[76:77], v[76:77], v[106:107] neg_lo:[0,1] neg_hi:[0,1]
	v_pk_add_f32 v[50:51], v[50:51], v[104:105] neg_lo:[0,1] neg_hi:[0,1]
	s_wait_dscnt 0x0
	v_pk_mul_f32 v[104:105], v[100:101], v[92:93] op_sel:[0,1]
	s_delay_alu instid0(VALU_DEP_1) | instskip(SKIP_1) | instid1(VALU_DEP_1)
	v_pk_fma_f32 v[106:107], v[100:101], v[90:91], v[104:105] op_sel:[0,0,1] op_sel_hi:[1,1,0] neg_lo:[0,0,1] neg_hi:[0,0,1]
	v_pk_fma_f32 v[100:101], v[100:101], v[90:91], v[104:105] op_sel:[0,0,1] op_sel_hi:[1,0,0]
	v_mov_b32_e32 v107, v101
	v_pk_mul_f32 v[100:101], v[102:103], v[92:93] op_sel:[0,1]
	s_delay_alu instid0(VALU_DEP_1) | instskip(SKIP_1) | instid1(VALU_DEP_1)
	v_pk_fma_f32 v[104:105], v[102:103], v[90:91], v[100:101] op_sel:[0,0,1] op_sel_hi:[1,1,0] neg_lo:[0,0,1] neg_hi:[0,0,1]
	v_pk_fma_f32 v[100:101], v[102:103], v[90:91], v[100:101] op_sel:[0,0,1] op_sel_hi:[1,0,0]
	v_mov_b32_e32 v105, v101
	ds_load_2addr_b64 v[100:103], v94 offset0:20 offset1:21
	v_pk_add_f32 v[52:53], v[52:53], v[106:107] neg_lo:[0,1] neg_hi:[0,1]
	v_pk_add_f32 v[48:49], v[48:49], v[104:105] neg_lo:[0,1] neg_hi:[0,1]
	s_wait_dscnt 0x0
	v_dual_mul_f32 v104, v101, v93 :: v_dual_mul_f32 v106, v101, v90
	s_delay_alu instid0(VALU_DEP_1) | instskip(NEXT) | instid1(VALU_DEP_2)
	v_pk_fma_f32 v[104:105], v[100:101], v[84:85], v[104:105] op_sel_hi:[1,1,0] neg_lo:[0,0,1] neg_hi:[0,0,1]
	v_pk_fma_f32 v[100:101], v[100:101], v[84:85], v[106:107] op_sel:[1,0,0] op_sel_hi:[0,1,0]
	s_delay_alu instid0(VALU_DEP_1) | instskip(SKIP_1) | instid1(VALU_DEP_2)
	v_mov_b32_e32 v105, v101
	v_pk_mul_f32 v[100:101], v[102:103], v[92:93] op_sel:[0,1]
	v_pk_add_f32 v[74:75], v[74:75], v[104:105] neg_lo:[0,1] neg_hi:[0,1]
	s_delay_alu instid0(VALU_DEP_2) | instskip(SKIP_1) | instid1(VALU_DEP_1)
	v_pk_fma_f32 v[104:105], v[102:103], v[90:91], v[100:101] op_sel:[0,0,1] op_sel_hi:[1,1,0] neg_lo:[0,0,1] neg_hi:[0,0,1]
	v_pk_fma_f32 v[100:101], v[102:103], v[90:91], v[100:101] op_sel:[0,0,1] op_sel_hi:[1,0,0]
	v_mov_b32_e32 v105, v101
	ds_load_2addr_b64 v[100:103], v94 offset0:22 offset1:23
	v_pk_add_f32 v[44:45], v[44:45], v[104:105] neg_lo:[0,1] neg_hi:[0,1]
	s_wait_dscnt 0x0
	v_pk_mul_f32 v[104:105], v[100:101], v[92:93] op_sel:[0,1]
	s_delay_alu instid0(VALU_DEP_1) | instskip(SKIP_1) | instid1(VALU_DEP_1)
	v_pk_fma_f32 v[106:107], v[100:101], v[90:91], v[104:105] op_sel:[0,0,1] op_sel_hi:[1,1,0] neg_lo:[0,0,1] neg_hi:[0,0,1]
	v_pk_fma_f32 v[100:101], v[100:101], v[90:91], v[104:105] op_sel:[0,0,1] op_sel_hi:[1,0,0]
	v_mov_b32_e32 v107, v101
	v_pk_mul_f32 v[100:101], v[102:103], v[92:93] op_sel:[0,1]
	s_delay_alu instid0(VALU_DEP_2) | instskip(NEXT) | instid1(VALU_DEP_2)
	v_pk_add_f32 v[46:47], v[46:47], v[106:107] neg_lo:[0,1] neg_hi:[0,1]
	v_pk_fma_f32 v[104:105], v[102:103], v[90:91], v[100:101] op_sel:[0,0,1] op_sel_hi:[1,1,0] neg_lo:[0,0,1] neg_hi:[0,0,1]
	v_pk_fma_f32 v[100:101], v[102:103], v[90:91], v[100:101] op_sel:[0,0,1] op_sel_hi:[1,0,0]
	s_delay_alu instid0(VALU_DEP_1) | instskip(SKIP_4) | instid1(VALU_DEP_1)
	v_mov_b32_e32 v105, v101
	ds_load_2addr_b64 v[100:103], v94 offset0:24 offset1:25
	v_pk_add_f32 v[42:43], v[42:43], v[104:105] neg_lo:[0,1] neg_hi:[0,1]
	s_wait_dscnt 0x0
	v_pk_mul_f32 v[104:105], v[100:101], v[92:93] op_sel:[0,1]
	v_pk_fma_f32 v[106:107], v[100:101], v[90:91], v[104:105] op_sel:[0,0,1] op_sel_hi:[1,1,0] neg_lo:[0,0,1] neg_hi:[0,0,1]
	v_pk_fma_f32 v[100:101], v[100:101], v[90:91], v[104:105] op_sel:[0,0,1] op_sel_hi:[1,0,0]
	v_dual_mul_f32 v104, v103, v93 :: v_dual_mov_b32 v100, v103
	s_delay_alu instid0(VALU_DEP_2) | instskip(NEXT) | instid1(VALU_DEP_2)
	v_dual_mov_b32 v107, v101 :: v_dual_mov_b32 v101, v102
	v_pk_fma_f32 v[104:105], v[102:103], v[84:85], v[104:105] op_sel_hi:[1,1,0] neg_lo:[0,0,1] neg_hi:[0,0,1]
	v_mul_f32_e32 v102, v103, v90
	s_delay_alu instid0(VALU_DEP_3) | instskip(NEXT) | instid1(VALU_DEP_2)
	v_pk_add_f32 v[72:73], v[72:73], v[106:107] neg_lo:[0,1] neg_hi:[0,1]
	v_pk_fma_f32 v[100:101], v[100:101], v[84:85], v[102:103] op_sel_hi:[1,1,0]
	s_delay_alu instid0(VALU_DEP_1) | instskip(SKIP_4) | instid1(VALU_DEP_1)
	v_mov_b32_e32 v105, v101
	ds_load_2addr_b64 v[100:103], v94 offset0:26 offset1:27
	v_pk_add_f32 v[36:37], v[36:37], v[104:105] neg_lo:[0,1] neg_hi:[0,1]
	s_wait_dscnt 0x0
	v_pk_mul_f32 v[104:105], v[100:101], v[92:93] op_sel:[0,1]
	v_pk_fma_f32 v[106:107], v[100:101], v[90:91], v[104:105] op_sel:[0,0,1] op_sel_hi:[1,1,0] neg_lo:[0,0,1] neg_hi:[0,0,1]
	v_pk_fma_f32 v[100:101], v[100:101], v[90:91], v[104:105] op_sel:[0,0,1] op_sel_hi:[1,0,0]
	s_delay_alu instid0(VALU_DEP_1) | instskip(SKIP_1) | instid1(VALU_DEP_1)
	v_mov_b32_e32 v107, v101
	v_pk_mul_f32 v[100:101], v[102:103], v[92:93] op_sel:[0,1]
	v_pk_fma_f32 v[104:105], v[102:103], v[90:91], v[100:101] op_sel:[0,0,1] op_sel_hi:[1,1,0] neg_lo:[0,0,1] neg_hi:[0,0,1]
	v_pk_fma_f32 v[100:101], v[102:103], v[90:91], v[100:101] op_sel:[0,0,1] op_sel_hi:[1,0,0]
	s_delay_alu instid0(VALU_DEP_1)
	v_mov_b32_e32 v105, v101
	ds_load_2addr_b64 v[100:103], v94 offset0:28 offset1:29
	v_pk_add_f32 v[38:39], v[38:39], v[106:107] neg_lo:[0,1] neg_hi:[0,1]
	v_pk_add_f32 v[34:35], v[34:35], v[104:105] neg_lo:[0,1] neg_hi:[0,1]
	s_wait_dscnt 0x0
	v_pk_mul_f32 v[104:105], v[100:101], v[92:93] op_sel:[0,1]
	s_delay_alu instid0(VALU_DEP_1) | instskip(SKIP_1) | instid1(VALU_DEP_1)
	v_pk_fma_f32 v[106:107], v[100:101], v[90:91], v[104:105] op_sel:[0,0,1] op_sel_hi:[1,1,0] neg_lo:[0,0,1] neg_hi:[0,0,1]
	v_pk_fma_f32 v[100:101], v[100:101], v[90:91], v[104:105] op_sel:[0,0,1] op_sel_hi:[1,0,0]
	v_mov_b32_e32 v107, v101
	v_pk_mul_f32 v[100:101], v[102:103], v[92:93] op_sel:[0,1]
	s_delay_alu instid0(VALU_DEP_1) | instskip(SKIP_1) | instid1(VALU_DEP_1)
	v_pk_fma_f32 v[104:105], v[102:103], v[90:91], v[100:101] op_sel:[0,0,1] op_sel_hi:[1,1,0] neg_lo:[0,0,1] neg_hi:[0,0,1]
	v_pk_fma_f32 v[100:101], v[102:103], v[90:91], v[100:101] op_sel:[0,0,1] op_sel_hi:[1,0,0]
	v_mov_b32_e32 v105, v101
	ds_load_2addr_b64 v[100:103], v94 offset0:30 offset1:31
	v_pk_add_f32 v[70:71], v[70:71], v[106:107] neg_lo:[0,1] neg_hi:[0,1]
	v_pk_add_f32 v[30:31], v[30:31], v[104:105] neg_lo:[0,1] neg_hi:[0,1]
	s_wait_dscnt 0x0
	v_dual_mul_f32 v104, v101, v93 :: v_dual_mul_f32 v106, v101, v90
	s_delay_alu instid0(VALU_DEP_1) | instskip(NEXT) | instid1(VALU_DEP_2)
	v_pk_fma_f32 v[104:105], v[100:101], v[84:85], v[104:105] op_sel_hi:[1,1,0] neg_lo:[0,0,1] neg_hi:[0,0,1]
	v_pk_fma_f32 v[100:101], v[100:101], v[84:85], v[106:107] op_sel:[1,0,0] op_sel_hi:[0,1,0]
	s_delay_alu instid0(VALU_DEP_1) | instskip(SKIP_1) | instid1(VALU_DEP_2)
	v_mov_b32_e32 v105, v101
	v_pk_mul_f32 v[100:101], v[102:103], v[92:93] op_sel:[0,1]
	v_pk_add_f32 v[32:33], v[32:33], v[104:105] neg_lo:[0,1] neg_hi:[0,1]
	s_delay_alu instid0(VALU_DEP_2) | instskip(SKIP_1) | instid1(VALU_DEP_1)
	v_pk_fma_f32 v[104:105], v[102:103], v[90:91], v[100:101] op_sel:[0,0,1] op_sel_hi:[1,1,0] neg_lo:[0,0,1] neg_hi:[0,0,1]
	v_pk_fma_f32 v[100:101], v[102:103], v[90:91], v[100:101] op_sel:[0,0,1] op_sel_hi:[1,0,0]
	v_mov_b32_e32 v105, v101
	ds_load_2addr_b64 v[100:103], v94 offset0:32 offset1:33
	v_pk_add_f32 v[28:29], v[28:29], v[104:105] neg_lo:[0,1] neg_hi:[0,1]
	s_wait_dscnt 0x0
	v_pk_mul_f32 v[104:105], v[100:101], v[92:93] op_sel:[0,1]
	s_delay_alu instid0(VALU_DEP_1) | instskip(SKIP_1) | instid1(VALU_DEP_1)
	v_pk_fma_f32 v[106:107], v[100:101], v[90:91], v[104:105] op_sel:[0,0,1] op_sel_hi:[1,1,0] neg_lo:[0,0,1] neg_hi:[0,0,1]
	v_pk_fma_f32 v[100:101], v[100:101], v[90:91], v[104:105] op_sel:[0,0,1] op_sel_hi:[1,0,0]
	v_mov_b32_e32 v107, v101
	v_pk_mul_f32 v[100:101], v[102:103], v[92:93] op_sel:[0,1]
	s_delay_alu instid0(VALU_DEP_2) | instskip(NEXT) | instid1(VALU_DEP_2)
	v_pk_add_f32 v[64:65], v[64:65], v[106:107] neg_lo:[0,1] neg_hi:[0,1]
	v_pk_fma_f32 v[104:105], v[102:103], v[90:91], v[100:101] op_sel:[0,0,1] op_sel_hi:[1,1,0] neg_lo:[0,0,1] neg_hi:[0,0,1]
	v_pk_fma_f32 v[100:101], v[102:103], v[90:91], v[100:101] op_sel:[0,0,1] op_sel_hi:[1,0,0]
	s_delay_alu instid0(VALU_DEP_1) | instskip(SKIP_4) | instid1(VALU_DEP_1)
	v_mov_b32_e32 v105, v101
	ds_load_2addr_b64 v[100:103], v94 offset0:34 offset1:35
	v_pk_add_f32 v[10:11], v[10:11], v[104:105] neg_lo:[0,1] neg_hi:[0,1]
	s_wait_dscnt 0x0
	v_pk_mul_f32 v[104:105], v[100:101], v[92:93] op_sel:[0,1]
	v_pk_fma_f32 v[106:107], v[100:101], v[90:91], v[104:105] op_sel:[0,0,1] op_sel_hi:[1,1,0] neg_lo:[0,0,1] neg_hi:[0,0,1]
	v_pk_fma_f32 v[100:101], v[100:101], v[90:91], v[104:105] op_sel:[0,0,1] op_sel_hi:[1,0,0]
	v_dual_mul_f32 v104, v103, v93 :: v_dual_mov_b32 v100, v103
	s_delay_alu instid0(VALU_DEP_2) | instskip(NEXT) | instid1(VALU_DEP_2)
	v_dual_mov_b32 v107, v101 :: v_dual_mov_b32 v101, v102
	v_pk_fma_f32 v[104:105], v[102:103], v[84:85], v[104:105] op_sel_hi:[1,1,0] neg_lo:[0,0,1] neg_hi:[0,0,1]
	v_mul_f32_e32 v102, v103, v90
	s_delay_alu instid0(VALU_DEP_3) | instskip(NEXT) | instid1(VALU_DEP_2)
	v_pk_add_f32 v[12:13], v[12:13], v[106:107] neg_lo:[0,1] neg_hi:[0,1]
	v_pk_fma_f32 v[100:101], v[100:101], v[84:85], v[102:103] op_sel_hi:[1,1,0]
	s_delay_alu instid0(VALU_DEP_1) | instskip(SKIP_4) | instid1(VALU_DEP_1)
	v_mov_b32_e32 v105, v101
	ds_load_2addr_b64 v[100:103], v94 offset0:36 offset1:37
	v_pk_add_f32 v[8:9], v[8:9], v[104:105] neg_lo:[0,1] neg_hi:[0,1]
	s_wait_dscnt 0x0
	v_pk_mul_f32 v[104:105], v[100:101], v[92:93] op_sel:[0,1]
	v_pk_fma_f32 v[106:107], v[100:101], v[90:91], v[104:105] op_sel:[0,0,1] op_sel_hi:[1,1,0] neg_lo:[0,0,1] neg_hi:[0,0,1]
	v_pk_fma_f32 v[100:101], v[100:101], v[90:91], v[104:105] op_sel:[0,0,1] op_sel_hi:[1,0,0]
	s_delay_alu instid0(VALU_DEP_1) | instskip(SKIP_1) | instid1(VALU_DEP_1)
	v_mov_b32_e32 v107, v101
	v_pk_mul_f32 v[100:101], v[102:103], v[92:93] op_sel:[0,1]
	v_pk_fma_f32 v[104:105], v[102:103], v[90:91], v[100:101] op_sel:[0,0,1] op_sel_hi:[1,1,0] neg_lo:[0,0,1] neg_hi:[0,0,1]
	v_pk_fma_f32 v[100:101], v[102:103], v[90:91], v[100:101] op_sel:[0,0,1] op_sel_hi:[1,0,0]
	s_delay_alu instid0(VALU_DEP_1)
	v_mov_b32_e32 v105, v101
	ds_load_2addr_b64 v[100:103], v94 offset0:38 offset1:39
	v_pk_add_f32 v[62:63], v[62:63], v[106:107] neg_lo:[0,1] neg_hi:[0,1]
	v_pk_add_f32 v[6:7], v[6:7], v[104:105] neg_lo:[0,1] neg_hi:[0,1]
	s_wait_dscnt 0x0
	v_pk_mul_f32 v[104:105], v[100:101], v[92:93] op_sel:[0,1]
	s_delay_alu instid0(VALU_DEP_1) | instskip(SKIP_1) | instid1(VALU_DEP_1)
	v_pk_fma_f32 v[106:107], v[100:101], v[90:91], v[104:105] op_sel:[0,0,1] op_sel_hi:[1,1,0] neg_lo:[0,0,1] neg_hi:[0,0,1]
	v_pk_fma_f32 v[100:101], v[100:101], v[90:91], v[104:105] op_sel:[0,0,1] op_sel_hi:[1,0,0]
	v_mov_b32_e32 v107, v101
	v_pk_mul_f32 v[100:101], v[102:103], v[92:93] op_sel:[0,1]
	s_delay_alu instid0(VALU_DEP_1) | instskip(SKIP_1) | instid1(VALU_DEP_1)
	v_pk_fma_f32 v[104:105], v[102:103], v[90:91], v[100:101] op_sel:[0,0,1] op_sel_hi:[1,1,0] neg_lo:[0,0,1] neg_hi:[0,0,1]
	v_pk_fma_f32 v[100:101], v[102:103], v[90:91], v[100:101] op_sel:[0,0,1] op_sel_hi:[1,0,0]
	v_mov_b32_e32 v105, v101
	ds_load_2addr_b64 v[100:103], v94 offset0:40 offset1:41
	v_pk_add_f32 v[54:55], v[54:55], v[106:107] neg_lo:[0,1] neg_hi:[0,1]
	v_pk_add_f32 v[40:41], v[40:41], v[104:105] neg_lo:[0,1] neg_hi:[0,1]
	s_wait_dscnt 0x0
	v_dual_mul_f32 v104, v101, v93 :: v_dual_mul_f32 v106, v101, v90
	v_pk_mul_f32 v[92:93], v[102:103], v[92:93] op_sel:[0,1]
	s_delay_alu instid0(VALU_DEP_2) | instskip(NEXT) | instid1(VALU_DEP_3)
	v_pk_fma_f32 v[104:105], v[100:101], v[84:85], v[104:105] op_sel_hi:[1,1,0] neg_lo:[0,0,1] neg_hi:[0,0,1]
	v_pk_fma_f32 v[100:101], v[100:101], v[84:85], v[106:107] op_sel:[1,0,0] op_sel_hi:[0,1,0]
	s_delay_alu instid0(VALU_DEP_1) | instskip(NEXT) | instid1(VALU_DEP_4)
	v_mov_b32_e32 v105, v101
	v_pk_fma_f32 v[100:101], v[102:103], v[90:91], v[92:93] op_sel:[0,0,1] op_sel_hi:[1,1,0] neg_lo:[0,0,1] neg_hi:[0,0,1]
	v_pk_fma_f32 v[90:91], v[102:103], v[90:91], v[92:93] op_sel:[0,0,1] op_sel_hi:[1,0,0]
	s_delay_alu instid0(VALU_DEP_1) | instskip(NEXT) | instid1(VALU_DEP_4)
	v_mov_b32_e32 v101, v91
	v_pk_add_f32 v[24:25], v[24:25], v[104:105] neg_lo:[0,1] neg_hi:[0,1]
	s_delay_alu instid0(VALU_DEP_2)
	v_pk_add_f32 v[88:89], v[88:89], v[100:101] neg_lo:[0,1] neg_hi:[0,1]
.LBB82_41:
	s_or_b32 exec_lo, exec_lo, s0
	v_lshl_add_u32 v90, v98, 3, v94
	s_barrier_signal -1
	s_barrier_wait -1
	ds_store_b64 v90, v[82:83]
	s_wait_dscnt 0x0
	s_barrier_signal -1
	s_barrier_wait -1
	ds_load_b64 v[92:93], v94 offset:16
	v_mov_b32_e32 v90, 2
	s_cmp_lt_i32 s18, 4
	s_mov_b32 s0, 3
	s_cbranch_scc1 .LBB82_44
; %bb.42:
	v_add3_u32 v91, v95, 0, 24
	v_mov_b32_e32 v90, 2
.LBB82_43:                              ; =>This Inner Loop Header: Depth=1
	ds_load_b64 v[100:101], v91
	s_wait_dscnt 0x1
	v_cmp_gt_f32_e32 vcc_lo, 0, v92
	v_cndmask_b32_e64 v102, v92, -v92, vcc_lo
	v_cmp_gt_f32_e32 vcc_lo, 0, v93
	v_cndmask_b32_e64 v104, v93, -v93, vcc_lo
	s_wait_dscnt 0x0
	v_cmp_gt_f32_e32 vcc_lo, 0, v100
	v_cndmask_b32_e64 v103, v100, -v100, vcc_lo
	v_cmp_gt_f32_e32 vcc_lo, 0, v101
	v_cndmask_b32_e64 v105, v101, -v101, vcc_lo
	s_delay_alu instid0(VALU_DEP_1) | instskip(NEXT) | instid1(VALU_DEP_1)
	v_pk_add_f32 v[102:103], v[102:103], v[104:105]
	v_cmp_lt_f32_e32 vcc_lo, v102, v103
	v_dual_add_nc_u32 v91, 8, v91 :: v_dual_cndmask_b32 v93, v93, v101, vcc_lo
	v_cndmask_b32_e32 v92, v92, v100, vcc_lo
	v_cndmask_b32_e64 v90, v90, s0, vcc_lo
	s_add_co_i32 s0, s0, 1
	s_delay_alu instid0(SALU_CYCLE_1)
	s_cmp_lg_u32 s18, s0
	s_cbranch_scc1 .LBB82_43
.LBB82_44:
	s_wait_dscnt 0x0
	v_cmp_eq_f32_e32 vcc_lo, 0, v92
	v_cmp_eq_f32_e64 s0, 0, v93
	s_and_b32 s0, vcc_lo, s0
	s_delay_alu instid0(SALU_CYCLE_1) | instskip(NEXT) | instid1(SALU_CYCLE_1)
	s_and_saveexec_b32 s1, s0
	s_xor_b32 s0, exec_lo, s1
; %bb.45:
	v_cmp_ne_u32_e32 vcc_lo, 0, v96
	v_cndmask_b32_e32 v96, 3, v96, vcc_lo
; %bb.46:
	s_and_not1_saveexec_b32 s0, s0
	s_cbranch_execz .LBB82_52
; %bb.47:
	v_cmp_ngt_f32_e64 s1, |v92|, |v93|
	s_and_saveexec_b32 s12, s1
	s_delay_alu instid0(SALU_CYCLE_1)
	s_xor_b32 s1, exec_lo, s12
	s_cbranch_execz .LBB82_49
; %bb.48:
	v_div_scale_f32 v91, null, v93, v93, v92
	v_div_scale_f32 v101, vcc_lo, v92, v93, v92
	s_delay_alu instid0(VALU_DEP_2) | instskip(SKIP_1) | instid1(TRANS32_DEP_1)
	v_rcp_f32_e32 v99, v91
	v_nop
	v_fma_f32 v100, -v91, v99, 1.0
	s_delay_alu instid0(VALU_DEP_1) | instskip(NEXT) | instid1(VALU_DEP_1)
	v_fmac_f32_e32 v99, v100, v99
	v_mul_f32_e32 v100, v101, v99
	s_delay_alu instid0(VALU_DEP_1) | instskip(NEXT) | instid1(VALU_DEP_1)
	v_fma_f32 v102, -v91, v100, v101
	v_fmac_f32_e32 v100, v102, v99
	s_delay_alu instid0(VALU_DEP_1) | instskip(NEXT) | instid1(VALU_DEP_1)
	v_fma_f32 v91, -v91, v100, v101
	v_div_fmas_f32 v91, v91, v99, v100
	s_delay_alu instid0(VALU_DEP_1) | instskip(NEXT) | instid1(VALU_DEP_1)
	v_div_fixup_f32 v91, v91, v93, v92
	v_fmac_f32_e32 v93, v92, v91
	s_delay_alu instid0(VALU_DEP_1) | instskip(SKIP_1) | instid1(VALU_DEP_2)
	v_div_scale_f32 v92, null, v93, v93, 1.0
	v_div_scale_f32 v101, vcc_lo, 1.0, v93, 1.0
	v_rcp_f32_e32 v99, v92
	v_nop
	s_delay_alu instid0(TRANS32_DEP_1) | instskip(NEXT) | instid1(VALU_DEP_1)
	v_fma_f32 v100, -v92, v99, 1.0
	v_fmac_f32_e32 v99, v100, v99
	s_delay_alu instid0(VALU_DEP_1) | instskip(NEXT) | instid1(VALU_DEP_1)
	v_mul_f32_e32 v100, v101, v99
	v_fma_f32 v102, -v92, v100, v101
	s_delay_alu instid0(VALU_DEP_1) | instskip(NEXT) | instid1(VALU_DEP_1)
	v_fmac_f32_e32 v100, v102, v99
	v_fma_f32 v92, -v92, v100, v101
	s_delay_alu instid0(VALU_DEP_1) | instskip(NEXT) | instid1(VALU_DEP_1)
	v_div_fmas_f32 v92, v92, v99, v100
	v_div_fixup_f32 v93, v92, v93, 1.0
	s_delay_alu instid0(VALU_DEP_1)
	v_mul_f32_e32 v92, v91, v93
	v_xor_b32_e32 v93, 0x80000000, v93
.LBB82_49:
	s_and_not1_saveexec_b32 s1, s1
	s_cbranch_execz .LBB82_51
; %bb.50:
	s_delay_alu instid0(VALU_DEP_1) | instskip(SKIP_1) | instid1(VALU_DEP_2)
	v_div_scale_f32 v91, null, v92, v92, v93
	v_div_scale_f32 v101, vcc_lo, v93, v92, v93
	v_rcp_f32_e32 v99, v91
	v_nop
	s_delay_alu instid0(TRANS32_DEP_1) | instskip(NEXT) | instid1(VALU_DEP_1)
	v_fma_f32 v100, -v91, v99, 1.0
	v_fmac_f32_e32 v99, v100, v99
	s_delay_alu instid0(VALU_DEP_1) | instskip(NEXT) | instid1(VALU_DEP_1)
	v_mul_f32_e32 v100, v101, v99
	v_fma_f32 v102, -v91, v100, v101
	s_delay_alu instid0(VALU_DEP_1) | instskip(NEXT) | instid1(VALU_DEP_1)
	v_fmac_f32_e32 v100, v102, v99
	v_fma_f32 v91, -v91, v100, v101
	s_delay_alu instid0(VALU_DEP_1) | instskip(NEXT) | instid1(VALU_DEP_1)
	v_div_fmas_f32 v91, v91, v99, v100
	v_div_fixup_f32 v91, v91, v92, v93
	s_delay_alu instid0(VALU_DEP_1) | instskip(NEXT) | instid1(VALU_DEP_1)
	v_fmac_f32_e32 v92, v93, v91
	v_div_scale_f32 v93, null, v92, v92, 1.0
	s_delay_alu instid0(VALU_DEP_1) | instskip(SKIP_1) | instid1(TRANS32_DEP_1)
	v_rcp_f32_e32 v99, v93
	v_nop
	v_fma_f32 v100, -v93, v99, 1.0
	s_delay_alu instid0(VALU_DEP_1) | instskip(SKIP_1) | instid1(VALU_DEP_1)
	v_fmac_f32_e32 v99, v100, v99
	v_div_scale_f32 v100, vcc_lo, 1.0, v92, 1.0
	v_mul_f32_e32 v101, v100, v99
	s_delay_alu instid0(VALU_DEP_1) | instskip(NEXT) | instid1(VALU_DEP_1)
	v_fma_f32 v102, -v93, v101, v100
	v_fmac_f32_e32 v101, v102, v99
	s_delay_alu instid0(VALU_DEP_1) | instskip(NEXT) | instid1(VALU_DEP_1)
	v_fma_f32 v93, -v93, v101, v100
	v_div_fmas_f32 v93, v93, v99, v101
	s_delay_alu instid0(VALU_DEP_1) | instskip(NEXT) | instid1(VALU_DEP_1)
	v_div_fixup_f32 v92, v93, v92, 1.0
	v_mul_f32_e64 v93, v91, -v92
.LBB82_51:
	s_or_b32 exec_lo, exec_lo, s1
.LBB82_52:
	s_delay_alu instid0(SALU_CYCLE_1) | instskip(NEXT) | instid1(SALU_CYCLE_1)
	s_or_b32 exec_lo, exec_lo, s0
	s_mov_b32 s0, exec_lo
	v_cmpx_ne_u32_e64 v98, v90
	s_xor_b32 s0, exec_lo, s0
	s_cbranch_execz .LBB82_58
; %bb.53:
	s_mov_b32 s1, exec_lo
	v_cmpx_eq_u32_e32 2, v98
	s_cbranch_execz .LBB82_57
; %bb.54:
	v_cmp_ne_u32_e32 vcc_lo, 2, v90
	s_xor_b32 s12, s16, -1
	s_delay_alu instid0(SALU_CYCLE_1) | instskip(NEXT) | instid1(SALU_CYCLE_1)
	s_and_b32 s13, s12, vcc_lo
	s_and_saveexec_b32 s12, s13
	s_cbranch_execz .LBB82_56
; %bb.55:
	v_ashrrev_i32_e32 v91, 31, v90
	s_delay_alu instid0(VALU_DEP_1)
	v_lshl_add_u64 v[98:99], v[90:91], 2, v[4:5]
	s_clause 0x1
	global_load_b32 v91, v[98:99], off
	global_load_b32 v97, v[4:5], off offset:8
	s_wait_loadcnt 0x1
	global_store_b32 v[4:5], v91, off offset:8
	s_wait_loadcnt 0x0
	global_store_b32 v[98:99], v97, off
.LBB82_56:
	s_wait_xcnt 0x0
	s_or_b32 exec_lo, exec_lo, s12
	v_dual_mov_b32 v98, v90 :: v_dual_mov_b32 v97, v90
.LBB82_57:
	s_or_b32 exec_lo, exec_lo, s1
.LBB82_58:
	s_and_not1_saveexec_b32 s0, s0
	s_cbranch_execz .LBB82_60
; %bb.59:
	v_mov_b32_e32 v98, 2
	ds_store_2addr_b64 v94, v[80:81], v[66:67] offset0:3 offset1:4
	ds_store_2addr_b64 v94, v[16:17], v[18:19] offset0:5 offset1:6
	;; [unrolled: 1-line block ×19, first 2 shown]
	ds_store_b64 v94, v[88:89] offset:328
.LBB82_60:
	s_or_b32 exec_lo, exec_lo, s0
	s_delay_alu instid0(SALU_CYCLE_1)
	s_mov_b32 s0, exec_lo
	s_wait_storecnt_dscnt 0x0
	s_barrier_signal -1
	s_barrier_wait -1
	v_cmpx_lt_i32_e32 2, v98
	s_cbranch_execz .LBB82_62
; %bb.61:
	v_pk_mul_f32 v[100:101], v[92:93], v[82:83] op_sel:[1,1] op_sel_hi:[0,1]
	s_delay_alu instid0(VALU_DEP_1)
	v_pk_fma_f32 v[90:91], v[92:93], v[82:83], v[100:101] op_sel_hi:[1,0,1] neg_lo:[0,0,1] neg_hi:[0,0,1]
	v_pk_fma_f32 v[92:93], v[92:93], v[82:83], v[100:101] op_sel_hi:[1,0,1]
	ds_load_2addr_b64 v[100:103], v94 offset0:3 offset1:4
	v_dual_mov_b32 v82, v90 :: v_dual_mov_b32 v83, v93
	s_wait_dscnt 0x0
	v_pk_mul_f32 v[104:105], v[100:101], v[92:93] op_sel:[0,1]
	s_delay_alu instid0(VALU_DEP_1) | instskip(SKIP_1) | instid1(VALU_DEP_1)
	v_pk_fma_f32 v[106:107], v[100:101], v[90:91], v[104:105] op_sel:[0,0,1] op_sel_hi:[1,1,0] neg_lo:[0,0,1] neg_hi:[0,0,1]
	v_pk_fma_f32 v[100:101], v[100:101], v[90:91], v[104:105] op_sel:[0,0,1] op_sel_hi:[1,0,0]
	v_mov_b32_e32 v107, v101
	v_pk_mul_f32 v[100:101], v[102:103], v[92:93] op_sel:[0,1]
	s_delay_alu instid0(VALU_DEP_1) | instskip(SKIP_1) | instid1(VALU_DEP_1)
	v_pk_fma_f32 v[104:105], v[102:103], v[90:91], v[100:101] op_sel:[0,0,1] op_sel_hi:[1,1,0] neg_lo:[0,0,1] neg_hi:[0,0,1]
	v_pk_fma_f32 v[100:101], v[102:103], v[90:91], v[100:101] op_sel:[0,0,1] op_sel_hi:[1,0,0]
	v_mov_b32_e32 v105, v101
	ds_load_2addr_b64 v[100:103], v94 offset0:5 offset1:6
	v_pk_add_f32 v[80:81], v[80:81], v[106:107] neg_lo:[0,1] neg_hi:[0,1]
	v_pk_add_f32 v[66:67], v[66:67], v[104:105] neg_lo:[0,1] neg_hi:[0,1]
	s_wait_dscnt 0x0
	v_pk_mul_f32 v[104:105], v[100:101], v[92:93] op_sel:[0,1]
	s_delay_alu instid0(VALU_DEP_1) | instskip(SKIP_2) | instid1(VALU_DEP_2)
	v_pk_fma_f32 v[106:107], v[100:101], v[90:91], v[104:105] op_sel:[0,0,1] op_sel_hi:[1,1,0] neg_lo:[0,0,1] neg_hi:[0,0,1]
	v_pk_fma_f32 v[100:101], v[100:101], v[90:91], v[104:105] op_sel:[0,0,1] op_sel_hi:[1,0,0]
	v_dual_mul_f32 v104, v103, v93 :: v_dual_mov_b32 v100, v103
	v_dual_mov_b32 v107, v101 :: v_dual_mov_b32 v101, v102
	s_delay_alu instid0(VALU_DEP_2) | instskip(SKIP_1) | instid1(VALU_DEP_3)
	v_pk_fma_f32 v[104:105], v[102:103], v[82:83], v[104:105] op_sel_hi:[1,1,0] neg_lo:[0,0,1] neg_hi:[0,0,1]
	v_mul_f32_e32 v102, v103, v90
	v_pk_add_f32 v[16:17], v[16:17], v[106:107] neg_lo:[0,1] neg_hi:[0,1]
	s_delay_alu instid0(VALU_DEP_2) | instskip(NEXT) | instid1(VALU_DEP_1)
	v_pk_fma_f32 v[100:101], v[100:101], v[82:83], v[102:103] op_sel_hi:[1,1,0]
	v_mov_b32_e32 v105, v101
	ds_load_2addr_b64 v[100:103], v94 offset0:7 offset1:8
	v_pk_add_f32 v[18:19], v[18:19], v[104:105] neg_lo:[0,1] neg_hi:[0,1]
	s_wait_dscnt 0x0
	v_pk_mul_f32 v[104:105], v[100:101], v[92:93] op_sel:[0,1]
	s_delay_alu instid0(VALU_DEP_1) | instskip(SKIP_1) | instid1(VALU_DEP_1)
	v_pk_fma_f32 v[106:107], v[100:101], v[90:91], v[104:105] op_sel:[0,0,1] op_sel_hi:[1,1,0] neg_lo:[0,0,1] neg_hi:[0,0,1]
	v_pk_fma_f32 v[100:101], v[100:101], v[90:91], v[104:105] op_sel:[0,0,1] op_sel_hi:[1,0,0]
	v_mov_b32_e32 v107, v101
	v_pk_mul_f32 v[100:101], v[102:103], v[92:93] op_sel:[0,1]
	s_delay_alu instid0(VALU_DEP_1) | instskip(SKIP_1) | instid1(VALU_DEP_1)
	v_pk_fma_f32 v[104:105], v[102:103], v[90:91], v[100:101] op_sel:[0,0,1] op_sel_hi:[1,1,0] neg_lo:[0,0,1] neg_hi:[0,0,1]
	v_pk_fma_f32 v[100:101], v[102:103], v[90:91], v[100:101] op_sel:[0,0,1] op_sel_hi:[1,0,0]
	v_mov_b32_e32 v105, v101
	ds_load_2addr_b64 v[100:103], v94 offset0:9 offset1:10
	v_pk_add_f32 v[14:15], v[14:15], v[106:107] neg_lo:[0,1] neg_hi:[0,1]
	v_pk_add_f32 v[68:69], v[68:69], v[104:105] neg_lo:[0,1] neg_hi:[0,1]
	s_wait_dscnt 0x0
	v_pk_mul_f32 v[104:105], v[100:101], v[92:93] op_sel:[0,1]
	s_delay_alu instid0(VALU_DEP_1) | instskip(SKIP_1) | instid1(VALU_DEP_1)
	v_pk_fma_f32 v[106:107], v[100:101], v[90:91], v[104:105] op_sel:[0,0,1] op_sel_hi:[1,1,0] neg_lo:[0,0,1] neg_hi:[0,0,1]
	v_pk_fma_f32 v[100:101], v[100:101], v[90:91], v[104:105] op_sel:[0,0,1] op_sel_hi:[1,0,0]
	v_mov_b32_e32 v107, v101
	v_pk_mul_f32 v[100:101], v[102:103], v[92:93] op_sel:[0,1]
	s_delay_alu instid0(VALU_DEP_1) | instskip(SKIP_1) | instid1(VALU_DEP_1)
	v_pk_fma_f32 v[104:105], v[102:103], v[90:91], v[100:101] op_sel:[0,0,1] op_sel_hi:[1,1,0] neg_lo:[0,0,1] neg_hi:[0,0,1]
	v_pk_fma_f32 v[100:101], v[102:103], v[90:91], v[100:101] op_sel:[0,0,1] op_sel_hi:[1,0,0]
	v_mov_b32_e32 v105, v101
	ds_load_2addr_b64 v[100:103], v94 offset0:11 offset1:12
	v_pk_add_f32 v[22:23], v[22:23], v[106:107] neg_lo:[0,1] neg_hi:[0,1]
	v_pk_add_f32 v[26:27], v[26:27], v[104:105] neg_lo:[0,1] neg_hi:[0,1]
	s_wait_dscnt 0x0
	v_dual_mul_f32 v104, v101, v93 :: v_dual_mul_f32 v106, v101, v90
	s_delay_alu instid0(VALU_DEP_1) | instskip(NEXT) | instid1(VALU_DEP_2)
	v_pk_fma_f32 v[104:105], v[100:101], v[82:83], v[104:105] op_sel_hi:[1,1,0] neg_lo:[0,0,1] neg_hi:[0,0,1]
	v_pk_fma_f32 v[100:101], v[100:101], v[82:83], v[106:107] op_sel:[1,0,0] op_sel_hi:[0,1,0]
	s_delay_alu instid0(VALU_DEP_1) | instskip(SKIP_1) | instid1(VALU_DEP_2)
	v_mov_b32_e32 v105, v101
	v_pk_mul_f32 v[100:101], v[102:103], v[92:93] op_sel:[0,1]
	v_pk_add_f32 v[20:21], v[20:21], v[104:105] neg_lo:[0,1] neg_hi:[0,1]
	s_delay_alu instid0(VALU_DEP_2) | instskip(SKIP_1) | instid1(VALU_DEP_1)
	v_pk_fma_f32 v[104:105], v[102:103], v[90:91], v[100:101] op_sel:[0,0,1] op_sel_hi:[1,1,0] neg_lo:[0,0,1] neg_hi:[0,0,1]
	v_pk_fma_f32 v[100:101], v[102:103], v[90:91], v[100:101] op_sel:[0,0,1] op_sel_hi:[1,0,0]
	v_mov_b32_e32 v105, v101
	ds_load_2addr_b64 v[100:103], v94 offset0:13 offset1:14
	v_pk_add_f32 v[78:79], v[78:79], v[104:105] neg_lo:[0,1] neg_hi:[0,1]
	s_wait_dscnt 0x0
	v_pk_mul_f32 v[104:105], v[100:101], v[92:93] op_sel:[0,1]
	s_delay_alu instid0(VALU_DEP_1) | instskip(SKIP_1) | instid1(VALU_DEP_1)
	v_pk_fma_f32 v[106:107], v[100:101], v[90:91], v[104:105] op_sel:[0,0,1] op_sel_hi:[1,1,0] neg_lo:[0,0,1] neg_hi:[0,0,1]
	v_pk_fma_f32 v[100:101], v[100:101], v[90:91], v[104:105] op_sel:[0,0,1] op_sel_hi:[1,0,0]
	v_mov_b32_e32 v107, v101
	v_pk_mul_f32 v[100:101], v[102:103], v[92:93] op_sel:[0,1]
	s_delay_alu instid0(VALU_DEP_2) | instskip(NEXT) | instid1(VALU_DEP_2)
	v_pk_add_f32 v[58:59], v[58:59], v[106:107] neg_lo:[0,1] neg_hi:[0,1]
	v_pk_fma_f32 v[104:105], v[102:103], v[90:91], v[100:101] op_sel:[0,0,1] op_sel_hi:[1,1,0] neg_lo:[0,0,1] neg_hi:[0,0,1]
	v_pk_fma_f32 v[100:101], v[102:103], v[90:91], v[100:101] op_sel:[0,0,1] op_sel_hi:[1,0,0]
	s_delay_alu instid0(VALU_DEP_1) | instskip(SKIP_4) | instid1(VALU_DEP_1)
	v_mov_b32_e32 v105, v101
	ds_load_2addr_b64 v[100:103], v94 offset0:15 offset1:16
	v_pk_add_f32 v[60:61], v[60:61], v[104:105] neg_lo:[0,1] neg_hi:[0,1]
	s_wait_dscnt 0x0
	v_pk_mul_f32 v[104:105], v[100:101], v[92:93] op_sel:[0,1]
	v_pk_fma_f32 v[106:107], v[100:101], v[90:91], v[104:105] op_sel:[0,0,1] op_sel_hi:[1,1,0] neg_lo:[0,0,1] neg_hi:[0,0,1]
	v_pk_fma_f32 v[100:101], v[100:101], v[90:91], v[104:105] op_sel:[0,0,1] op_sel_hi:[1,0,0]
	v_dual_mul_f32 v104, v103, v93 :: v_dual_mov_b32 v100, v103
	s_delay_alu instid0(VALU_DEP_2) | instskip(NEXT) | instid1(VALU_DEP_2)
	v_dual_mov_b32 v107, v101 :: v_dual_mov_b32 v101, v102
	v_pk_fma_f32 v[104:105], v[102:103], v[82:83], v[104:105] op_sel_hi:[1,1,0] neg_lo:[0,0,1] neg_hi:[0,0,1]
	v_mul_f32_e32 v102, v103, v90
	s_delay_alu instid0(VALU_DEP_3) | instskip(NEXT) | instid1(VALU_DEP_2)
	v_pk_add_f32 v[56:57], v[56:57], v[106:107] neg_lo:[0,1] neg_hi:[0,1]
	v_pk_fma_f32 v[100:101], v[100:101], v[82:83], v[102:103] op_sel_hi:[1,1,0]
	s_delay_alu instid0(VALU_DEP_1) | instskip(SKIP_4) | instid1(VALU_DEP_1)
	v_mov_b32_e32 v105, v101
	ds_load_2addr_b64 v[100:103], v94 offset0:17 offset1:18
	v_pk_add_f32 v[76:77], v[76:77], v[104:105] neg_lo:[0,1] neg_hi:[0,1]
	s_wait_dscnt 0x0
	v_pk_mul_f32 v[104:105], v[100:101], v[92:93] op_sel:[0,1]
	v_pk_fma_f32 v[106:107], v[100:101], v[90:91], v[104:105] op_sel:[0,0,1] op_sel_hi:[1,1,0] neg_lo:[0,0,1] neg_hi:[0,0,1]
	v_pk_fma_f32 v[100:101], v[100:101], v[90:91], v[104:105] op_sel:[0,0,1] op_sel_hi:[1,0,0]
	s_delay_alu instid0(VALU_DEP_1) | instskip(SKIP_1) | instid1(VALU_DEP_1)
	v_mov_b32_e32 v107, v101
	v_pk_mul_f32 v[100:101], v[102:103], v[92:93] op_sel:[0,1]
	v_pk_fma_f32 v[104:105], v[102:103], v[90:91], v[100:101] op_sel:[0,0,1] op_sel_hi:[1,1,0] neg_lo:[0,0,1] neg_hi:[0,0,1]
	v_pk_fma_f32 v[100:101], v[102:103], v[90:91], v[100:101] op_sel:[0,0,1] op_sel_hi:[1,0,0]
	s_delay_alu instid0(VALU_DEP_1)
	v_mov_b32_e32 v105, v101
	ds_load_2addr_b64 v[100:103], v94 offset0:19 offset1:20
	v_pk_add_f32 v[50:51], v[50:51], v[106:107] neg_lo:[0,1] neg_hi:[0,1]
	v_pk_add_f32 v[52:53], v[52:53], v[104:105] neg_lo:[0,1] neg_hi:[0,1]
	s_wait_dscnt 0x0
	v_pk_mul_f32 v[104:105], v[100:101], v[92:93] op_sel:[0,1]
	s_delay_alu instid0(VALU_DEP_1) | instskip(SKIP_1) | instid1(VALU_DEP_1)
	v_pk_fma_f32 v[106:107], v[100:101], v[90:91], v[104:105] op_sel:[0,0,1] op_sel_hi:[1,1,0] neg_lo:[0,0,1] neg_hi:[0,0,1]
	v_pk_fma_f32 v[100:101], v[100:101], v[90:91], v[104:105] op_sel:[0,0,1] op_sel_hi:[1,0,0]
	v_mov_b32_e32 v107, v101
	v_pk_mul_f32 v[100:101], v[102:103], v[92:93] op_sel:[0,1]
	s_delay_alu instid0(VALU_DEP_1) | instskip(SKIP_1) | instid1(VALU_DEP_1)
	v_pk_fma_f32 v[104:105], v[102:103], v[90:91], v[100:101] op_sel:[0,0,1] op_sel_hi:[1,1,0] neg_lo:[0,0,1] neg_hi:[0,0,1]
	v_pk_fma_f32 v[100:101], v[102:103], v[90:91], v[100:101] op_sel:[0,0,1] op_sel_hi:[1,0,0]
	v_mov_b32_e32 v105, v101
	ds_load_2addr_b64 v[100:103], v94 offset0:21 offset1:22
	v_pk_add_f32 v[48:49], v[48:49], v[106:107] neg_lo:[0,1] neg_hi:[0,1]
	v_pk_add_f32 v[74:75], v[74:75], v[104:105] neg_lo:[0,1] neg_hi:[0,1]
	s_wait_dscnt 0x0
	v_dual_mul_f32 v104, v101, v93 :: v_dual_mul_f32 v106, v101, v90
	s_delay_alu instid0(VALU_DEP_1) | instskip(NEXT) | instid1(VALU_DEP_2)
	v_pk_fma_f32 v[104:105], v[100:101], v[82:83], v[104:105] op_sel_hi:[1,1,0] neg_lo:[0,0,1] neg_hi:[0,0,1]
	v_pk_fma_f32 v[100:101], v[100:101], v[82:83], v[106:107] op_sel:[1,0,0] op_sel_hi:[0,1,0]
	s_delay_alu instid0(VALU_DEP_1) | instskip(SKIP_1) | instid1(VALU_DEP_2)
	v_mov_b32_e32 v105, v101
	v_pk_mul_f32 v[100:101], v[102:103], v[92:93] op_sel:[0,1]
	v_pk_add_f32 v[44:45], v[44:45], v[104:105] neg_lo:[0,1] neg_hi:[0,1]
	s_delay_alu instid0(VALU_DEP_2) | instskip(SKIP_1) | instid1(VALU_DEP_1)
	v_pk_fma_f32 v[104:105], v[102:103], v[90:91], v[100:101] op_sel:[0,0,1] op_sel_hi:[1,1,0] neg_lo:[0,0,1] neg_hi:[0,0,1]
	v_pk_fma_f32 v[100:101], v[102:103], v[90:91], v[100:101] op_sel:[0,0,1] op_sel_hi:[1,0,0]
	v_mov_b32_e32 v105, v101
	ds_load_2addr_b64 v[100:103], v94 offset0:23 offset1:24
	v_pk_add_f32 v[46:47], v[46:47], v[104:105] neg_lo:[0,1] neg_hi:[0,1]
	s_wait_dscnt 0x0
	v_pk_mul_f32 v[104:105], v[100:101], v[92:93] op_sel:[0,1]
	s_delay_alu instid0(VALU_DEP_1) | instskip(SKIP_1) | instid1(VALU_DEP_1)
	v_pk_fma_f32 v[106:107], v[100:101], v[90:91], v[104:105] op_sel:[0,0,1] op_sel_hi:[1,1,0] neg_lo:[0,0,1] neg_hi:[0,0,1]
	v_pk_fma_f32 v[100:101], v[100:101], v[90:91], v[104:105] op_sel:[0,0,1] op_sel_hi:[1,0,0]
	v_mov_b32_e32 v107, v101
	v_pk_mul_f32 v[100:101], v[102:103], v[92:93] op_sel:[0,1]
	s_delay_alu instid0(VALU_DEP_2) | instskip(NEXT) | instid1(VALU_DEP_2)
	v_pk_add_f32 v[42:43], v[42:43], v[106:107] neg_lo:[0,1] neg_hi:[0,1]
	v_pk_fma_f32 v[104:105], v[102:103], v[90:91], v[100:101] op_sel:[0,0,1] op_sel_hi:[1,1,0] neg_lo:[0,0,1] neg_hi:[0,0,1]
	v_pk_fma_f32 v[100:101], v[102:103], v[90:91], v[100:101] op_sel:[0,0,1] op_sel_hi:[1,0,0]
	s_delay_alu instid0(VALU_DEP_1) | instskip(SKIP_4) | instid1(VALU_DEP_1)
	v_mov_b32_e32 v105, v101
	ds_load_2addr_b64 v[100:103], v94 offset0:25 offset1:26
	v_pk_add_f32 v[72:73], v[72:73], v[104:105] neg_lo:[0,1] neg_hi:[0,1]
	s_wait_dscnt 0x0
	v_pk_mul_f32 v[104:105], v[100:101], v[92:93] op_sel:[0,1]
	v_pk_fma_f32 v[106:107], v[100:101], v[90:91], v[104:105] op_sel:[0,0,1] op_sel_hi:[1,1,0] neg_lo:[0,0,1] neg_hi:[0,0,1]
	v_pk_fma_f32 v[100:101], v[100:101], v[90:91], v[104:105] op_sel:[0,0,1] op_sel_hi:[1,0,0]
	v_dual_mul_f32 v104, v103, v93 :: v_dual_mov_b32 v100, v103
	s_delay_alu instid0(VALU_DEP_2) | instskip(NEXT) | instid1(VALU_DEP_2)
	v_dual_mov_b32 v107, v101 :: v_dual_mov_b32 v101, v102
	v_pk_fma_f32 v[104:105], v[102:103], v[82:83], v[104:105] op_sel_hi:[1,1,0] neg_lo:[0,0,1] neg_hi:[0,0,1]
	v_mul_f32_e32 v102, v103, v90
	s_delay_alu instid0(VALU_DEP_3) | instskip(NEXT) | instid1(VALU_DEP_2)
	v_pk_add_f32 v[36:37], v[36:37], v[106:107] neg_lo:[0,1] neg_hi:[0,1]
	v_pk_fma_f32 v[100:101], v[100:101], v[82:83], v[102:103] op_sel_hi:[1,1,0]
	s_delay_alu instid0(VALU_DEP_1) | instskip(SKIP_4) | instid1(VALU_DEP_1)
	v_mov_b32_e32 v105, v101
	ds_load_2addr_b64 v[100:103], v94 offset0:27 offset1:28
	v_pk_add_f32 v[38:39], v[38:39], v[104:105] neg_lo:[0,1] neg_hi:[0,1]
	s_wait_dscnt 0x0
	v_pk_mul_f32 v[104:105], v[100:101], v[92:93] op_sel:[0,1]
	v_pk_fma_f32 v[106:107], v[100:101], v[90:91], v[104:105] op_sel:[0,0,1] op_sel_hi:[1,1,0] neg_lo:[0,0,1] neg_hi:[0,0,1]
	v_pk_fma_f32 v[100:101], v[100:101], v[90:91], v[104:105] op_sel:[0,0,1] op_sel_hi:[1,0,0]
	s_delay_alu instid0(VALU_DEP_1) | instskip(SKIP_1) | instid1(VALU_DEP_1)
	v_mov_b32_e32 v107, v101
	v_pk_mul_f32 v[100:101], v[102:103], v[92:93] op_sel:[0,1]
	v_pk_fma_f32 v[104:105], v[102:103], v[90:91], v[100:101] op_sel:[0,0,1] op_sel_hi:[1,1,0] neg_lo:[0,0,1] neg_hi:[0,0,1]
	v_pk_fma_f32 v[100:101], v[102:103], v[90:91], v[100:101] op_sel:[0,0,1] op_sel_hi:[1,0,0]
	s_delay_alu instid0(VALU_DEP_1)
	v_mov_b32_e32 v105, v101
	ds_load_2addr_b64 v[100:103], v94 offset0:29 offset1:30
	v_pk_add_f32 v[34:35], v[34:35], v[106:107] neg_lo:[0,1] neg_hi:[0,1]
	v_pk_add_f32 v[70:71], v[70:71], v[104:105] neg_lo:[0,1] neg_hi:[0,1]
	s_wait_dscnt 0x0
	v_pk_mul_f32 v[104:105], v[100:101], v[92:93] op_sel:[0,1]
	s_delay_alu instid0(VALU_DEP_1) | instskip(SKIP_1) | instid1(VALU_DEP_1)
	v_pk_fma_f32 v[106:107], v[100:101], v[90:91], v[104:105] op_sel:[0,0,1] op_sel_hi:[1,1,0] neg_lo:[0,0,1] neg_hi:[0,0,1]
	v_pk_fma_f32 v[100:101], v[100:101], v[90:91], v[104:105] op_sel:[0,0,1] op_sel_hi:[1,0,0]
	v_mov_b32_e32 v107, v101
	v_pk_mul_f32 v[100:101], v[102:103], v[92:93] op_sel:[0,1]
	s_delay_alu instid0(VALU_DEP_1) | instskip(SKIP_1) | instid1(VALU_DEP_1)
	v_pk_fma_f32 v[104:105], v[102:103], v[90:91], v[100:101] op_sel:[0,0,1] op_sel_hi:[1,1,0] neg_lo:[0,0,1] neg_hi:[0,0,1]
	v_pk_fma_f32 v[100:101], v[102:103], v[90:91], v[100:101] op_sel:[0,0,1] op_sel_hi:[1,0,0]
	v_mov_b32_e32 v105, v101
	ds_load_2addr_b64 v[100:103], v94 offset0:31 offset1:32
	v_pk_add_f32 v[30:31], v[30:31], v[106:107] neg_lo:[0,1] neg_hi:[0,1]
	v_pk_add_f32 v[32:33], v[32:33], v[104:105] neg_lo:[0,1] neg_hi:[0,1]
	s_wait_dscnt 0x0
	v_dual_mul_f32 v104, v101, v93 :: v_dual_mul_f32 v106, v101, v90
	s_delay_alu instid0(VALU_DEP_1) | instskip(NEXT) | instid1(VALU_DEP_2)
	v_pk_fma_f32 v[104:105], v[100:101], v[82:83], v[104:105] op_sel_hi:[1,1,0] neg_lo:[0,0,1] neg_hi:[0,0,1]
	v_pk_fma_f32 v[100:101], v[100:101], v[82:83], v[106:107] op_sel:[1,0,0] op_sel_hi:[0,1,0]
	s_delay_alu instid0(VALU_DEP_1) | instskip(SKIP_1) | instid1(VALU_DEP_2)
	v_mov_b32_e32 v105, v101
	v_pk_mul_f32 v[100:101], v[102:103], v[92:93] op_sel:[0,1]
	v_pk_add_f32 v[28:29], v[28:29], v[104:105] neg_lo:[0,1] neg_hi:[0,1]
	s_delay_alu instid0(VALU_DEP_2) | instskip(SKIP_1) | instid1(VALU_DEP_1)
	v_pk_fma_f32 v[104:105], v[102:103], v[90:91], v[100:101] op_sel:[0,0,1] op_sel_hi:[1,1,0] neg_lo:[0,0,1] neg_hi:[0,0,1]
	v_pk_fma_f32 v[100:101], v[102:103], v[90:91], v[100:101] op_sel:[0,0,1] op_sel_hi:[1,0,0]
	v_mov_b32_e32 v105, v101
	ds_load_2addr_b64 v[100:103], v94 offset0:33 offset1:34
	v_pk_add_f32 v[64:65], v[64:65], v[104:105] neg_lo:[0,1] neg_hi:[0,1]
	s_wait_dscnt 0x0
	v_pk_mul_f32 v[104:105], v[100:101], v[92:93] op_sel:[0,1]
	s_delay_alu instid0(VALU_DEP_1) | instskip(SKIP_1) | instid1(VALU_DEP_1)
	v_pk_fma_f32 v[106:107], v[100:101], v[90:91], v[104:105] op_sel:[0,0,1] op_sel_hi:[1,1,0] neg_lo:[0,0,1] neg_hi:[0,0,1]
	v_pk_fma_f32 v[100:101], v[100:101], v[90:91], v[104:105] op_sel:[0,0,1] op_sel_hi:[1,0,0]
	v_mov_b32_e32 v107, v101
	v_pk_mul_f32 v[100:101], v[102:103], v[92:93] op_sel:[0,1]
	s_delay_alu instid0(VALU_DEP_2) | instskip(NEXT) | instid1(VALU_DEP_2)
	v_pk_add_f32 v[10:11], v[10:11], v[106:107] neg_lo:[0,1] neg_hi:[0,1]
	v_pk_fma_f32 v[104:105], v[102:103], v[90:91], v[100:101] op_sel:[0,0,1] op_sel_hi:[1,1,0] neg_lo:[0,0,1] neg_hi:[0,0,1]
	v_pk_fma_f32 v[100:101], v[102:103], v[90:91], v[100:101] op_sel:[0,0,1] op_sel_hi:[1,0,0]
	s_delay_alu instid0(VALU_DEP_1) | instskip(SKIP_4) | instid1(VALU_DEP_1)
	v_mov_b32_e32 v105, v101
	ds_load_2addr_b64 v[100:103], v94 offset0:35 offset1:36
	v_pk_add_f32 v[12:13], v[12:13], v[104:105] neg_lo:[0,1] neg_hi:[0,1]
	s_wait_dscnt 0x0
	v_pk_mul_f32 v[104:105], v[100:101], v[92:93] op_sel:[0,1]
	v_pk_fma_f32 v[106:107], v[100:101], v[90:91], v[104:105] op_sel:[0,0,1] op_sel_hi:[1,1,0] neg_lo:[0,0,1] neg_hi:[0,0,1]
	v_pk_fma_f32 v[100:101], v[100:101], v[90:91], v[104:105] op_sel:[0,0,1] op_sel_hi:[1,0,0]
	v_dual_mul_f32 v104, v103, v93 :: v_dual_mov_b32 v100, v103
	s_delay_alu instid0(VALU_DEP_2) | instskip(NEXT) | instid1(VALU_DEP_2)
	v_dual_mov_b32 v107, v101 :: v_dual_mov_b32 v101, v102
	v_pk_fma_f32 v[104:105], v[102:103], v[82:83], v[104:105] op_sel_hi:[1,1,0] neg_lo:[0,0,1] neg_hi:[0,0,1]
	v_mul_f32_e32 v102, v103, v90
	s_delay_alu instid0(VALU_DEP_3) | instskip(NEXT) | instid1(VALU_DEP_2)
	v_pk_add_f32 v[8:9], v[8:9], v[106:107] neg_lo:[0,1] neg_hi:[0,1]
	v_pk_fma_f32 v[100:101], v[100:101], v[82:83], v[102:103] op_sel_hi:[1,1,0]
	s_delay_alu instid0(VALU_DEP_1) | instskip(SKIP_4) | instid1(VALU_DEP_1)
	v_mov_b32_e32 v105, v101
	ds_load_2addr_b64 v[100:103], v94 offset0:37 offset1:38
	v_pk_add_f32 v[62:63], v[62:63], v[104:105] neg_lo:[0,1] neg_hi:[0,1]
	s_wait_dscnt 0x0
	v_pk_mul_f32 v[104:105], v[100:101], v[92:93] op_sel:[0,1]
	v_pk_fma_f32 v[106:107], v[100:101], v[90:91], v[104:105] op_sel:[0,0,1] op_sel_hi:[1,1,0] neg_lo:[0,0,1] neg_hi:[0,0,1]
	v_pk_fma_f32 v[100:101], v[100:101], v[90:91], v[104:105] op_sel:[0,0,1] op_sel_hi:[1,0,0]
	s_delay_alu instid0(VALU_DEP_1) | instskip(SKIP_1) | instid1(VALU_DEP_1)
	v_mov_b32_e32 v107, v101
	v_pk_mul_f32 v[100:101], v[102:103], v[92:93] op_sel:[0,1]
	v_pk_fma_f32 v[104:105], v[102:103], v[90:91], v[100:101] op_sel:[0,0,1] op_sel_hi:[1,1,0] neg_lo:[0,0,1] neg_hi:[0,0,1]
	v_pk_fma_f32 v[100:101], v[102:103], v[90:91], v[100:101] op_sel:[0,0,1] op_sel_hi:[1,0,0]
	s_delay_alu instid0(VALU_DEP_1)
	v_mov_b32_e32 v105, v101
	ds_load_2addr_b64 v[100:103], v94 offset0:39 offset1:40
	v_pk_add_f32 v[6:7], v[6:7], v[106:107] neg_lo:[0,1] neg_hi:[0,1]
	v_pk_add_f32 v[54:55], v[54:55], v[104:105] neg_lo:[0,1] neg_hi:[0,1]
	s_wait_dscnt 0x0
	v_pk_mul_f32 v[104:105], v[100:101], v[92:93] op_sel:[0,1]
	s_delay_alu instid0(VALU_DEP_1) | instskip(SKIP_1) | instid1(VALU_DEP_1)
	v_pk_fma_f32 v[106:107], v[100:101], v[90:91], v[104:105] op_sel:[0,0,1] op_sel_hi:[1,1,0] neg_lo:[0,0,1] neg_hi:[0,0,1]
	v_pk_fma_f32 v[100:101], v[100:101], v[90:91], v[104:105] op_sel:[0,0,1] op_sel_hi:[1,0,0]
	v_mov_b32_e32 v107, v101
	v_pk_mul_f32 v[100:101], v[102:103], v[92:93] op_sel:[0,1]
	s_delay_alu instid0(VALU_DEP_1) | instskip(SKIP_1) | instid1(VALU_DEP_1)
	v_pk_fma_f32 v[104:105], v[102:103], v[90:91], v[100:101] op_sel:[0,0,1] op_sel_hi:[1,1,0] neg_lo:[0,0,1] neg_hi:[0,0,1]
	v_pk_fma_f32 v[100:101], v[102:103], v[90:91], v[100:101] op_sel:[0,0,1] op_sel_hi:[1,0,0]
	v_mov_b32_e32 v105, v101
	ds_load_b64 v[100:101], v94 offset:328
	v_pk_add_f32 v[40:41], v[40:41], v[106:107] neg_lo:[0,1] neg_hi:[0,1]
	v_pk_add_f32 v[24:25], v[24:25], v[104:105] neg_lo:[0,1] neg_hi:[0,1]
	s_wait_dscnt 0x0
	v_pk_mul_f32 v[92:93], v[100:101], v[92:93] op_sel:[0,1]
	s_delay_alu instid0(VALU_DEP_1) | instskip(SKIP_1) | instid1(VALU_DEP_1)
	v_pk_fma_f32 v[102:103], v[100:101], v[90:91], v[92:93] op_sel:[0,0,1] op_sel_hi:[1,1,0] neg_lo:[0,0,1] neg_hi:[0,0,1]
	v_pk_fma_f32 v[90:91], v[100:101], v[90:91], v[92:93] op_sel:[0,0,1] op_sel_hi:[1,0,0]
	v_mov_b32_e32 v103, v91
	s_delay_alu instid0(VALU_DEP_1)
	v_pk_add_f32 v[88:89], v[88:89], v[102:103] neg_lo:[0,1] neg_hi:[0,1]
.LBB82_62:
	s_or_b32 exec_lo, exec_lo, s0
	v_lshl_add_u32 v90, v98, 3, v94
	s_barrier_signal -1
	s_barrier_wait -1
	ds_store_b64 v90, v[80:81]
	s_wait_dscnt 0x0
	s_barrier_signal -1
	s_barrier_wait -1
	ds_load_b64 v[92:93], v94 offset:24
	v_mov_b32_e32 v90, 3
	s_cmp_lt_i32 s18, 5
	s_cbranch_scc1 .LBB82_65
; %bb.63:
	v_mov_b32_e32 v90, 3
	v_add3_u32 v91, v95, 0, 32
	s_mov_b32 s0, 4
.LBB82_64:                              ; =>This Inner Loop Header: Depth=1
	ds_load_b64 v[100:101], v91
	s_wait_dscnt 0x1
	v_cmp_gt_f32_e32 vcc_lo, 0, v92
	v_cndmask_b32_e64 v102, v92, -v92, vcc_lo
	v_cmp_gt_f32_e32 vcc_lo, 0, v93
	v_cndmask_b32_e64 v104, v93, -v93, vcc_lo
	s_wait_dscnt 0x0
	v_cmp_gt_f32_e32 vcc_lo, 0, v100
	v_cndmask_b32_e64 v103, v100, -v100, vcc_lo
	v_cmp_gt_f32_e32 vcc_lo, 0, v101
	v_cndmask_b32_e64 v105, v101, -v101, vcc_lo
	s_delay_alu instid0(VALU_DEP_1) | instskip(NEXT) | instid1(VALU_DEP_1)
	v_pk_add_f32 v[102:103], v[102:103], v[104:105]
	v_cmp_lt_f32_e32 vcc_lo, v102, v103
	v_dual_add_nc_u32 v91, 8, v91 :: v_dual_cndmask_b32 v93, v93, v101, vcc_lo
	v_cndmask_b32_e32 v92, v92, v100, vcc_lo
	v_cndmask_b32_e64 v90, v90, s0, vcc_lo
	s_add_co_i32 s0, s0, 1
	s_delay_alu instid0(SALU_CYCLE_1)
	s_cmp_lg_u32 s18, s0
	s_cbranch_scc1 .LBB82_64
.LBB82_65:
	s_wait_dscnt 0x0
	v_cmp_eq_f32_e32 vcc_lo, 0, v92
	v_cmp_eq_f32_e64 s0, 0, v93
	s_and_b32 s0, vcc_lo, s0
	s_delay_alu instid0(SALU_CYCLE_1) | instskip(NEXT) | instid1(SALU_CYCLE_1)
	s_and_saveexec_b32 s1, s0
	s_xor_b32 s0, exec_lo, s1
; %bb.66:
	v_cmp_ne_u32_e32 vcc_lo, 0, v96
	v_cndmask_b32_e32 v96, 4, v96, vcc_lo
; %bb.67:
	s_and_not1_saveexec_b32 s0, s0
	s_cbranch_execz .LBB82_73
; %bb.68:
	v_cmp_ngt_f32_e64 s1, |v92|, |v93|
	s_and_saveexec_b32 s12, s1
	s_delay_alu instid0(SALU_CYCLE_1)
	s_xor_b32 s1, exec_lo, s12
	s_cbranch_execz .LBB82_70
; %bb.69:
	v_div_scale_f32 v91, null, v93, v93, v92
	v_div_scale_f32 v101, vcc_lo, v92, v93, v92
	s_delay_alu instid0(VALU_DEP_2) | instskip(SKIP_1) | instid1(TRANS32_DEP_1)
	v_rcp_f32_e32 v99, v91
	v_nop
	v_fma_f32 v100, -v91, v99, 1.0
	s_delay_alu instid0(VALU_DEP_1) | instskip(NEXT) | instid1(VALU_DEP_1)
	v_fmac_f32_e32 v99, v100, v99
	v_mul_f32_e32 v100, v101, v99
	s_delay_alu instid0(VALU_DEP_1) | instskip(NEXT) | instid1(VALU_DEP_1)
	v_fma_f32 v102, -v91, v100, v101
	v_fmac_f32_e32 v100, v102, v99
	s_delay_alu instid0(VALU_DEP_1) | instskip(NEXT) | instid1(VALU_DEP_1)
	v_fma_f32 v91, -v91, v100, v101
	v_div_fmas_f32 v91, v91, v99, v100
	s_delay_alu instid0(VALU_DEP_1) | instskip(NEXT) | instid1(VALU_DEP_1)
	v_div_fixup_f32 v91, v91, v93, v92
	v_fmac_f32_e32 v93, v92, v91
	s_delay_alu instid0(VALU_DEP_1) | instskip(SKIP_1) | instid1(VALU_DEP_2)
	v_div_scale_f32 v92, null, v93, v93, 1.0
	v_div_scale_f32 v101, vcc_lo, 1.0, v93, 1.0
	v_rcp_f32_e32 v99, v92
	v_nop
	s_delay_alu instid0(TRANS32_DEP_1) | instskip(NEXT) | instid1(VALU_DEP_1)
	v_fma_f32 v100, -v92, v99, 1.0
	v_fmac_f32_e32 v99, v100, v99
	s_delay_alu instid0(VALU_DEP_1) | instskip(NEXT) | instid1(VALU_DEP_1)
	v_mul_f32_e32 v100, v101, v99
	v_fma_f32 v102, -v92, v100, v101
	s_delay_alu instid0(VALU_DEP_1) | instskip(NEXT) | instid1(VALU_DEP_1)
	v_fmac_f32_e32 v100, v102, v99
	v_fma_f32 v92, -v92, v100, v101
	s_delay_alu instid0(VALU_DEP_1) | instskip(NEXT) | instid1(VALU_DEP_1)
	v_div_fmas_f32 v92, v92, v99, v100
	v_div_fixup_f32 v93, v92, v93, 1.0
	s_delay_alu instid0(VALU_DEP_1)
	v_mul_f32_e32 v92, v91, v93
	v_xor_b32_e32 v93, 0x80000000, v93
.LBB82_70:
	s_and_not1_saveexec_b32 s1, s1
	s_cbranch_execz .LBB82_72
; %bb.71:
	s_delay_alu instid0(VALU_DEP_1) | instskip(SKIP_1) | instid1(VALU_DEP_2)
	v_div_scale_f32 v91, null, v92, v92, v93
	v_div_scale_f32 v101, vcc_lo, v93, v92, v93
	v_rcp_f32_e32 v99, v91
	v_nop
	s_delay_alu instid0(TRANS32_DEP_1) | instskip(NEXT) | instid1(VALU_DEP_1)
	v_fma_f32 v100, -v91, v99, 1.0
	v_fmac_f32_e32 v99, v100, v99
	s_delay_alu instid0(VALU_DEP_1) | instskip(NEXT) | instid1(VALU_DEP_1)
	v_mul_f32_e32 v100, v101, v99
	v_fma_f32 v102, -v91, v100, v101
	s_delay_alu instid0(VALU_DEP_1) | instskip(NEXT) | instid1(VALU_DEP_1)
	v_fmac_f32_e32 v100, v102, v99
	v_fma_f32 v91, -v91, v100, v101
	s_delay_alu instid0(VALU_DEP_1) | instskip(NEXT) | instid1(VALU_DEP_1)
	v_div_fmas_f32 v91, v91, v99, v100
	v_div_fixup_f32 v91, v91, v92, v93
	s_delay_alu instid0(VALU_DEP_1) | instskip(NEXT) | instid1(VALU_DEP_1)
	v_fmac_f32_e32 v92, v93, v91
	v_div_scale_f32 v93, null, v92, v92, 1.0
	s_delay_alu instid0(VALU_DEP_1) | instskip(SKIP_1) | instid1(TRANS32_DEP_1)
	v_rcp_f32_e32 v99, v93
	v_nop
	v_fma_f32 v100, -v93, v99, 1.0
	s_delay_alu instid0(VALU_DEP_1) | instskip(SKIP_1) | instid1(VALU_DEP_1)
	v_fmac_f32_e32 v99, v100, v99
	v_div_scale_f32 v100, vcc_lo, 1.0, v92, 1.0
	v_mul_f32_e32 v101, v100, v99
	s_delay_alu instid0(VALU_DEP_1) | instskip(NEXT) | instid1(VALU_DEP_1)
	v_fma_f32 v102, -v93, v101, v100
	v_fmac_f32_e32 v101, v102, v99
	s_delay_alu instid0(VALU_DEP_1) | instskip(NEXT) | instid1(VALU_DEP_1)
	v_fma_f32 v93, -v93, v101, v100
	v_div_fmas_f32 v93, v93, v99, v101
	s_delay_alu instid0(VALU_DEP_1) | instskip(NEXT) | instid1(VALU_DEP_1)
	v_div_fixup_f32 v92, v93, v92, 1.0
	v_mul_f32_e64 v93, v91, -v92
.LBB82_72:
	s_or_b32 exec_lo, exec_lo, s1
.LBB82_73:
	s_delay_alu instid0(SALU_CYCLE_1) | instskip(NEXT) | instid1(SALU_CYCLE_1)
	s_or_b32 exec_lo, exec_lo, s0
	s_mov_b32 s0, exec_lo
	v_cmpx_ne_u32_e64 v98, v90
	s_xor_b32 s0, exec_lo, s0
	s_cbranch_execz .LBB82_79
; %bb.74:
	s_mov_b32 s1, exec_lo
	v_cmpx_eq_u32_e32 3, v98
	s_cbranch_execz .LBB82_78
; %bb.75:
	v_cmp_ne_u32_e32 vcc_lo, 3, v90
	s_xor_b32 s12, s16, -1
	s_delay_alu instid0(SALU_CYCLE_1) | instskip(NEXT) | instid1(SALU_CYCLE_1)
	s_and_b32 s13, s12, vcc_lo
	s_and_saveexec_b32 s12, s13
	s_cbranch_execz .LBB82_77
; %bb.76:
	v_ashrrev_i32_e32 v91, 31, v90
	s_delay_alu instid0(VALU_DEP_1)
	v_lshl_add_u64 v[98:99], v[90:91], 2, v[4:5]
	s_clause 0x1
	global_load_b32 v91, v[98:99], off
	global_load_b32 v97, v[4:5], off offset:12
	s_wait_loadcnt 0x1
	global_store_b32 v[4:5], v91, off offset:12
	s_wait_loadcnt 0x0
	global_store_b32 v[98:99], v97, off
.LBB82_77:
	s_wait_xcnt 0x0
	s_or_b32 exec_lo, exec_lo, s12
	v_dual_mov_b32 v98, v90 :: v_dual_mov_b32 v97, v90
.LBB82_78:
	s_or_b32 exec_lo, exec_lo, s1
.LBB82_79:
	s_and_not1_saveexec_b32 s0, s0
	s_cbranch_execz .LBB82_81
; %bb.80:
	v_dual_mov_b32 v90, v66 :: v_dual_mov_b32 v91, v67
	v_dual_mov_b32 v98, v16 :: v_dual_mov_b32 v99, v17
	ds_store_2addr_b64 v94, v[90:91], v[98:99] offset0:4 offset1:5
	v_dual_mov_b32 v90, v18 :: v_dual_mov_b32 v91, v19
	v_dual_mov_b32 v98, v14 :: v_dual_mov_b32 v99, v15
	ds_store_2addr_b64 v94, v[90:91], v[98:99] offset0:6 offset1:7
	;; [unrolled: 3-line block ×18, first 2 shown]
	v_dual_mov_b32 v90, v24 :: v_dual_mov_b32 v91, v25
	v_mov_b32_e32 v98, 3
	ds_store_2addr_b64 v94, v[90:91], v[88:89] offset0:40 offset1:41
.LBB82_81:
	s_or_b32 exec_lo, exec_lo, s0
	s_delay_alu instid0(SALU_CYCLE_1)
	s_mov_b32 s0, exec_lo
	s_wait_storecnt_dscnt 0x0
	s_barrier_signal -1
	s_barrier_wait -1
	v_cmpx_lt_i32_e32 3, v98
	s_cbranch_execz .LBB82_83
; %bb.82:
	v_pk_mul_f32 v[100:101], v[92:93], v[80:81] op_sel:[1,1] op_sel_hi:[0,1]
	s_delay_alu instid0(VALU_DEP_1)
	v_pk_fma_f32 v[90:91], v[92:93], v[80:81], v[100:101] op_sel_hi:[1,0,1] neg_lo:[0,0,1] neg_hi:[0,0,1]
	v_pk_fma_f32 v[92:93], v[92:93], v[80:81], v[100:101] op_sel_hi:[1,0,1]
	ds_load_2addr_b64 v[100:103], v94 offset0:4 offset1:5
	v_dual_mov_b32 v80, v90 :: v_dual_mov_b32 v81, v93
	s_wait_dscnt 0x0
	v_pk_mul_f32 v[104:105], v[100:101], v[92:93] op_sel:[0,1]
	s_delay_alu instid0(VALU_DEP_1) | instskip(SKIP_1) | instid1(VALU_DEP_1)
	v_pk_fma_f32 v[106:107], v[100:101], v[90:91], v[104:105] op_sel:[0,0,1] op_sel_hi:[1,1,0] neg_lo:[0,0,1] neg_hi:[0,0,1]
	v_pk_fma_f32 v[100:101], v[100:101], v[90:91], v[104:105] op_sel:[0,0,1] op_sel_hi:[1,0,0]
	v_mov_b32_e32 v107, v101
	v_pk_mul_f32 v[100:101], v[102:103], v[92:93] op_sel:[0,1]
	s_delay_alu instid0(VALU_DEP_1) | instskip(SKIP_1) | instid1(VALU_DEP_1)
	v_pk_fma_f32 v[104:105], v[102:103], v[90:91], v[100:101] op_sel:[0,0,1] op_sel_hi:[1,1,0] neg_lo:[0,0,1] neg_hi:[0,0,1]
	v_pk_fma_f32 v[100:101], v[102:103], v[90:91], v[100:101] op_sel:[0,0,1] op_sel_hi:[1,0,0]
	v_mov_b32_e32 v105, v101
	ds_load_2addr_b64 v[100:103], v94 offset0:6 offset1:7
	v_pk_add_f32 v[66:67], v[66:67], v[106:107] neg_lo:[0,1] neg_hi:[0,1]
	v_pk_add_f32 v[16:17], v[16:17], v[104:105] neg_lo:[0,1] neg_hi:[0,1]
	s_wait_dscnt 0x0
	v_pk_mul_f32 v[104:105], v[100:101], v[92:93] op_sel:[0,1]
	s_delay_alu instid0(VALU_DEP_1) | instskip(SKIP_2) | instid1(VALU_DEP_2)
	v_pk_fma_f32 v[106:107], v[100:101], v[90:91], v[104:105] op_sel:[0,0,1] op_sel_hi:[1,1,0] neg_lo:[0,0,1] neg_hi:[0,0,1]
	v_pk_fma_f32 v[100:101], v[100:101], v[90:91], v[104:105] op_sel:[0,0,1] op_sel_hi:[1,0,0]
	v_dual_mul_f32 v104, v103, v93 :: v_dual_mov_b32 v100, v103
	v_dual_mov_b32 v107, v101 :: v_dual_mov_b32 v101, v102
	s_delay_alu instid0(VALU_DEP_2) | instskip(SKIP_1) | instid1(VALU_DEP_3)
	v_pk_fma_f32 v[104:105], v[102:103], v[80:81], v[104:105] op_sel_hi:[1,1,0] neg_lo:[0,0,1] neg_hi:[0,0,1]
	v_mul_f32_e32 v102, v103, v90
	v_pk_add_f32 v[18:19], v[18:19], v[106:107] neg_lo:[0,1] neg_hi:[0,1]
	s_delay_alu instid0(VALU_DEP_2) | instskip(NEXT) | instid1(VALU_DEP_1)
	v_pk_fma_f32 v[100:101], v[100:101], v[80:81], v[102:103] op_sel_hi:[1,1,0]
	v_mov_b32_e32 v105, v101
	ds_load_2addr_b64 v[100:103], v94 offset0:8 offset1:9
	v_pk_add_f32 v[14:15], v[14:15], v[104:105] neg_lo:[0,1] neg_hi:[0,1]
	s_wait_dscnt 0x0
	v_pk_mul_f32 v[104:105], v[100:101], v[92:93] op_sel:[0,1]
	s_delay_alu instid0(VALU_DEP_1) | instskip(SKIP_1) | instid1(VALU_DEP_1)
	v_pk_fma_f32 v[106:107], v[100:101], v[90:91], v[104:105] op_sel:[0,0,1] op_sel_hi:[1,1,0] neg_lo:[0,0,1] neg_hi:[0,0,1]
	v_pk_fma_f32 v[100:101], v[100:101], v[90:91], v[104:105] op_sel:[0,0,1] op_sel_hi:[1,0,0]
	v_mov_b32_e32 v107, v101
	v_pk_mul_f32 v[100:101], v[102:103], v[92:93] op_sel:[0,1]
	s_delay_alu instid0(VALU_DEP_1) | instskip(SKIP_1) | instid1(VALU_DEP_1)
	v_pk_fma_f32 v[104:105], v[102:103], v[90:91], v[100:101] op_sel:[0,0,1] op_sel_hi:[1,1,0] neg_lo:[0,0,1] neg_hi:[0,0,1]
	v_pk_fma_f32 v[100:101], v[102:103], v[90:91], v[100:101] op_sel:[0,0,1] op_sel_hi:[1,0,0]
	v_mov_b32_e32 v105, v101
	ds_load_2addr_b64 v[100:103], v94 offset0:10 offset1:11
	v_pk_add_f32 v[68:69], v[68:69], v[106:107] neg_lo:[0,1] neg_hi:[0,1]
	v_pk_add_f32 v[22:23], v[22:23], v[104:105] neg_lo:[0,1] neg_hi:[0,1]
	s_wait_dscnt 0x0
	v_pk_mul_f32 v[104:105], v[100:101], v[92:93] op_sel:[0,1]
	s_delay_alu instid0(VALU_DEP_1) | instskip(SKIP_1) | instid1(VALU_DEP_1)
	v_pk_fma_f32 v[106:107], v[100:101], v[90:91], v[104:105] op_sel:[0,0,1] op_sel_hi:[1,1,0] neg_lo:[0,0,1] neg_hi:[0,0,1]
	v_pk_fma_f32 v[100:101], v[100:101], v[90:91], v[104:105] op_sel:[0,0,1] op_sel_hi:[1,0,0]
	v_mov_b32_e32 v107, v101
	v_pk_mul_f32 v[100:101], v[102:103], v[92:93] op_sel:[0,1]
	s_delay_alu instid0(VALU_DEP_1) | instskip(SKIP_1) | instid1(VALU_DEP_1)
	v_pk_fma_f32 v[104:105], v[102:103], v[90:91], v[100:101] op_sel:[0,0,1] op_sel_hi:[1,1,0] neg_lo:[0,0,1] neg_hi:[0,0,1]
	v_pk_fma_f32 v[100:101], v[102:103], v[90:91], v[100:101] op_sel:[0,0,1] op_sel_hi:[1,0,0]
	v_mov_b32_e32 v105, v101
	ds_load_2addr_b64 v[100:103], v94 offset0:12 offset1:13
	v_pk_add_f32 v[26:27], v[26:27], v[106:107] neg_lo:[0,1] neg_hi:[0,1]
	v_pk_add_f32 v[20:21], v[20:21], v[104:105] neg_lo:[0,1] neg_hi:[0,1]
	s_wait_dscnt 0x0
	v_dual_mul_f32 v104, v101, v93 :: v_dual_mul_f32 v106, v101, v90
	s_delay_alu instid0(VALU_DEP_1) | instskip(NEXT) | instid1(VALU_DEP_2)
	v_pk_fma_f32 v[104:105], v[100:101], v[80:81], v[104:105] op_sel_hi:[1,1,0] neg_lo:[0,0,1] neg_hi:[0,0,1]
	v_pk_fma_f32 v[100:101], v[100:101], v[80:81], v[106:107] op_sel:[1,0,0] op_sel_hi:[0,1,0]
	s_delay_alu instid0(VALU_DEP_1) | instskip(SKIP_1) | instid1(VALU_DEP_2)
	v_mov_b32_e32 v105, v101
	v_pk_mul_f32 v[100:101], v[102:103], v[92:93] op_sel:[0,1]
	v_pk_add_f32 v[78:79], v[78:79], v[104:105] neg_lo:[0,1] neg_hi:[0,1]
	s_delay_alu instid0(VALU_DEP_2) | instskip(SKIP_1) | instid1(VALU_DEP_1)
	v_pk_fma_f32 v[104:105], v[102:103], v[90:91], v[100:101] op_sel:[0,0,1] op_sel_hi:[1,1,0] neg_lo:[0,0,1] neg_hi:[0,0,1]
	v_pk_fma_f32 v[100:101], v[102:103], v[90:91], v[100:101] op_sel:[0,0,1] op_sel_hi:[1,0,0]
	v_mov_b32_e32 v105, v101
	ds_load_2addr_b64 v[100:103], v94 offset0:14 offset1:15
	v_pk_add_f32 v[58:59], v[58:59], v[104:105] neg_lo:[0,1] neg_hi:[0,1]
	s_wait_dscnt 0x0
	v_pk_mul_f32 v[104:105], v[100:101], v[92:93] op_sel:[0,1]
	s_delay_alu instid0(VALU_DEP_1) | instskip(SKIP_1) | instid1(VALU_DEP_1)
	v_pk_fma_f32 v[106:107], v[100:101], v[90:91], v[104:105] op_sel:[0,0,1] op_sel_hi:[1,1,0] neg_lo:[0,0,1] neg_hi:[0,0,1]
	v_pk_fma_f32 v[100:101], v[100:101], v[90:91], v[104:105] op_sel:[0,0,1] op_sel_hi:[1,0,0]
	v_mov_b32_e32 v107, v101
	v_pk_mul_f32 v[100:101], v[102:103], v[92:93] op_sel:[0,1]
	s_delay_alu instid0(VALU_DEP_2) | instskip(NEXT) | instid1(VALU_DEP_2)
	v_pk_add_f32 v[60:61], v[60:61], v[106:107] neg_lo:[0,1] neg_hi:[0,1]
	v_pk_fma_f32 v[104:105], v[102:103], v[90:91], v[100:101] op_sel:[0,0,1] op_sel_hi:[1,1,0] neg_lo:[0,0,1] neg_hi:[0,0,1]
	v_pk_fma_f32 v[100:101], v[102:103], v[90:91], v[100:101] op_sel:[0,0,1] op_sel_hi:[1,0,0]
	s_delay_alu instid0(VALU_DEP_1) | instskip(SKIP_4) | instid1(VALU_DEP_1)
	v_mov_b32_e32 v105, v101
	ds_load_2addr_b64 v[100:103], v94 offset0:16 offset1:17
	v_pk_add_f32 v[56:57], v[56:57], v[104:105] neg_lo:[0,1] neg_hi:[0,1]
	s_wait_dscnt 0x0
	v_pk_mul_f32 v[104:105], v[100:101], v[92:93] op_sel:[0,1]
	v_pk_fma_f32 v[106:107], v[100:101], v[90:91], v[104:105] op_sel:[0,0,1] op_sel_hi:[1,1,0] neg_lo:[0,0,1] neg_hi:[0,0,1]
	v_pk_fma_f32 v[100:101], v[100:101], v[90:91], v[104:105] op_sel:[0,0,1] op_sel_hi:[1,0,0]
	v_dual_mul_f32 v104, v103, v93 :: v_dual_mov_b32 v100, v103
	s_delay_alu instid0(VALU_DEP_2) | instskip(NEXT) | instid1(VALU_DEP_2)
	v_dual_mov_b32 v107, v101 :: v_dual_mov_b32 v101, v102
	v_pk_fma_f32 v[104:105], v[102:103], v[80:81], v[104:105] op_sel_hi:[1,1,0] neg_lo:[0,0,1] neg_hi:[0,0,1]
	v_mul_f32_e32 v102, v103, v90
	s_delay_alu instid0(VALU_DEP_3) | instskip(NEXT) | instid1(VALU_DEP_2)
	v_pk_add_f32 v[76:77], v[76:77], v[106:107] neg_lo:[0,1] neg_hi:[0,1]
	v_pk_fma_f32 v[100:101], v[100:101], v[80:81], v[102:103] op_sel_hi:[1,1,0]
	s_delay_alu instid0(VALU_DEP_1) | instskip(SKIP_4) | instid1(VALU_DEP_1)
	v_mov_b32_e32 v105, v101
	ds_load_2addr_b64 v[100:103], v94 offset0:18 offset1:19
	v_pk_add_f32 v[50:51], v[50:51], v[104:105] neg_lo:[0,1] neg_hi:[0,1]
	s_wait_dscnt 0x0
	v_pk_mul_f32 v[104:105], v[100:101], v[92:93] op_sel:[0,1]
	v_pk_fma_f32 v[106:107], v[100:101], v[90:91], v[104:105] op_sel:[0,0,1] op_sel_hi:[1,1,0] neg_lo:[0,0,1] neg_hi:[0,0,1]
	v_pk_fma_f32 v[100:101], v[100:101], v[90:91], v[104:105] op_sel:[0,0,1] op_sel_hi:[1,0,0]
	s_delay_alu instid0(VALU_DEP_1) | instskip(SKIP_1) | instid1(VALU_DEP_1)
	v_mov_b32_e32 v107, v101
	v_pk_mul_f32 v[100:101], v[102:103], v[92:93] op_sel:[0,1]
	v_pk_fma_f32 v[104:105], v[102:103], v[90:91], v[100:101] op_sel:[0,0,1] op_sel_hi:[1,1,0] neg_lo:[0,0,1] neg_hi:[0,0,1]
	v_pk_fma_f32 v[100:101], v[102:103], v[90:91], v[100:101] op_sel:[0,0,1] op_sel_hi:[1,0,0]
	s_delay_alu instid0(VALU_DEP_1)
	v_mov_b32_e32 v105, v101
	ds_load_2addr_b64 v[100:103], v94 offset0:20 offset1:21
	v_pk_add_f32 v[52:53], v[52:53], v[106:107] neg_lo:[0,1] neg_hi:[0,1]
	v_pk_add_f32 v[48:49], v[48:49], v[104:105] neg_lo:[0,1] neg_hi:[0,1]
	s_wait_dscnt 0x0
	v_pk_mul_f32 v[104:105], v[100:101], v[92:93] op_sel:[0,1]
	s_delay_alu instid0(VALU_DEP_1) | instskip(SKIP_1) | instid1(VALU_DEP_1)
	v_pk_fma_f32 v[106:107], v[100:101], v[90:91], v[104:105] op_sel:[0,0,1] op_sel_hi:[1,1,0] neg_lo:[0,0,1] neg_hi:[0,0,1]
	v_pk_fma_f32 v[100:101], v[100:101], v[90:91], v[104:105] op_sel:[0,0,1] op_sel_hi:[1,0,0]
	v_mov_b32_e32 v107, v101
	v_pk_mul_f32 v[100:101], v[102:103], v[92:93] op_sel:[0,1]
	s_delay_alu instid0(VALU_DEP_1) | instskip(SKIP_1) | instid1(VALU_DEP_1)
	v_pk_fma_f32 v[104:105], v[102:103], v[90:91], v[100:101] op_sel:[0,0,1] op_sel_hi:[1,1,0] neg_lo:[0,0,1] neg_hi:[0,0,1]
	v_pk_fma_f32 v[100:101], v[102:103], v[90:91], v[100:101] op_sel:[0,0,1] op_sel_hi:[1,0,0]
	v_mov_b32_e32 v105, v101
	ds_load_2addr_b64 v[100:103], v94 offset0:22 offset1:23
	v_pk_add_f32 v[74:75], v[74:75], v[106:107] neg_lo:[0,1] neg_hi:[0,1]
	v_pk_add_f32 v[44:45], v[44:45], v[104:105] neg_lo:[0,1] neg_hi:[0,1]
	s_wait_dscnt 0x0
	v_dual_mul_f32 v104, v101, v93 :: v_dual_mul_f32 v106, v101, v90
	s_delay_alu instid0(VALU_DEP_1) | instskip(NEXT) | instid1(VALU_DEP_2)
	v_pk_fma_f32 v[104:105], v[100:101], v[80:81], v[104:105] op_sel_hi:[1,1,0] neg_lo:[0,0,1] neg_hi:[0,0,1]
	v_pk_fma_f32 v[100:101], v[100:101], v[80:81], v[106:107] op_sel:[1,0,0] op_sel_hi:[0,1,0]
	s_delay_alu instid0(VALU_DEP_1) | instskip(SKIP_1) | instid1(VALU_DEP_2)
	v_mov_b32_e32 v105, v101
	v_pk_mul_f32 v[100:101], v[102:103], v[92:93] op_sel:[0,1]
	v_pk_add_f32 v[46:47], v[46:47], v[104:105] neg_lo:[0,1] neg_hi:[0,1]
	s_delay_alu instid0(VALU_DEP_2) | instskip(SKIP_1) | instid1(VALU_DEP_1)
	v_pk_fma_f32 v[104:105], v[102:103], v[90:91], v[100:101] op_sel:[0,0,1] op_sel_hi:[1,1,0] neg_lo:[0,0,1] neg_hi:[0,0,1]
	v_pk_fma_f32 v[100:101], v[102:103], v[90:91], v[100:101] op_sel:[0,0,1] op_sel_hi:[1,0,0]
	v_mov_b32_e32 v105, v101
	ds_load_2addr_b64 v[100:103], v94 offset0:24 offset1:25
	v_pk_add_f32 v[42:43], v[42:43], v[104:105] neg_lo:[0,1] neg_hi:[0,1]
	s_wait_dscnt 0x0
	v_pk_mul_f32 v[104:105], v[100:101], v[92:93] op_sel:[0,1]
	s_delay_alu instid0(VALU_DEP_1) | instskip(SKIP_1) | instid1(VALU_DEP_1)
	v_pk_fma_f32 v[106:107], v[100:101], v[90:91], v[104:105] op_sel:[0,0,1] op_sel_hi:[1,1,0] neg_lo:[0,0,1] neg_hi:[0,0,1]
	v_pk_fma_f32 v[100:101], v[100:101], v[90:91], v[104:105] op_sel:[0,0,1] op_sel_hi:[1,0,0]
	v_mov_b32_e32 v107, v101
	v_pk_mul_f32 v[100:101], v[102:103], v[92:93] op_sel:[0,1]
	s_delay_alu instid0(VALU_DEP_2) | instskip(NEXT) | instid1(VALU_DEP_2)
	v_pk_add_f32 v[72:73], v[72:73], v[106:107] neg_lo:[0,1] neg_hi:[0,1]
	v_pk_fma_f32 v[104:105], v[102:103], v[90:91], v[100:101] op_sel:[0,0,1] op_sel_hi:[1,1,0] neg_lo:[0,0,1] neg_hi:[0,0,1]
	v_pk_fma_f32 v[100:101], v[102:103], v[90:91], v[100:101] op_sel:[0,0,1] op_sel_hi:[1,0,0]
	s_delay_alu instid0(VALU_DEP_1) | instskip(SKIP_4) | instid1(VALU_DEP_1)
	v_mov_b32_e32 v105, v101
	ds_load_2addr_b64 v[100:103], v94 offset0:26 offset1:27
	v_pk_add_f32 v[36:37], v[36:37], v[104:105] neg_lo:[0,1] neg_hi:[0,1]
	s_wait_dscnt 0x0
	v_pk_mul_f32 v[104:105], v[100:101], v[92:93] op_sel:[0,1]
	v_pk_fma_f32 v[106:107], v[100:101], v[90:91], v[104:105] op_sel:[0,0,1] op_sel_hi:[1,1,0] neg_lo:[0,0,1] neg_hi:[0,0,1]
	v_pk_fma_f32 v[100:101], v[100:101], v[90:91], v[104:105] op_sel:[0,0,1] op_sel_hi:[1,0,0]
	v_dual_mul_f32 v104, v103, v93 :: v_dual_mov_b32 v100, v103
	s_delay_alu instid0(VALU_DEP_2) | instskip(NEXT) | instid1(VALU_DEP_2)
	v_dual_mov_b32 v107, v101 :: v_dual_mov_b32 v101, v102
	v_pk_fma_f32 v[104:105], v[102:103], v[80:81], v[104:105] op_sel_hi:[1,1,0] neg_lo:[0,0,1] neg_hi:[0,0,1]
	v_mul_f32_e32 v102, v103, v90
	s_delay_alu instid0(VALU_DEP_3) | instskip(NEXT) | instid1(VALU_DEP_2)
	v_pk_add_f32 v[38:39], v[38:39], v[106:107] neg_lo:[0,1] neg_hi:[0,1]
	v_pk_fma_f32 v[100:101], v[100:101], v[80:81], v[102:103] op_sel_hi:[1,1,0]
	s_delay_alu instid0(VALU_DEP_1) | instskip(SKIP_4) | instid1(VALU_DEP_1)
	v_mov_b32_e32 v105, v101
	ds_load_2addr_b64 v[100:103], v94 offset0:28 offset1:29
	v_pk_add_f32 v[34:35], v[34:35], v[104:105] neg_lo:[0,1] neg_hi:[0,1]
	s_wait_dscnt 0x0
	v_pk_mul_f32 v[104:105], v[100:101], v[92:93] op_sel:[0,1]
	v_pk_fma_f32 v[106:107], v[100:101], v[90:91], v[104:105] op_sel:[0,0,1] op_sel_hi:[1,1,0] neg_lo:[0,0,1] neg_hi:[0,0,1]
	v_pk_fma_f32 v[100:101], v[100:101], v[90:91], v[104:105] op_sel:[0,0,1] op_sel_hi:[1,0,0]
	s_delay_alu instid0(VALU_DEP_1) | instskip(SKIP_1) | instid1(VALU_DEP_1)
	v_mov_b32_e32 v107, v101
	v_pk_mul_f32 v[100:101], v[102:103], v[92:93] op_sel:[0,1]
	v_pk_fma_f32 v[104:105], v[102:103], v[90:91], v[100:101] op_sel:[0,0,1] op_sel_hi:[1,1,0] neg_lo:[0,0,1] neg_hi:[0,0,1]
	v_pk_fma_f32 v[100:101], v[102:103], v[90:91], v[100:101] op_sel:[0,0,1] op_sel_hi:[1,0,0]
	s_delay_alu instid0(VALU_DEP_1)
	v_mov_b32_e32 v105, v101
	ds_load_2addr_b64 v[100:103], v94 offset0:30 offset1:31
	v_pk_add_f32 v[70:71], v[70:71], v[106:107] neg_lo:[0,1] neg_hi:[0,1]
	v_pk_add_f32 v[30:31], v[30:31], v[104:105] neg_lo:[0,1] neg_hi:[0,1]
	s_wait_dscnt 0x0
	v_pk_mul_f32 v[104:105], v[100:101], v[92:93] op_sel:[0,1]
	s_delay_alu instid0(VALU_DEP_1) | instskip(SKIP_1) | instid1(VALU_DEP_1)
	v_pk_fma_f32 v[106:107], v[100:101], v[90:91], v[104:105] op_sel:[0,0,1] op_sel_hi:[1,1,0] neg_lo:[0,0,1] neg_hi:[0,0,1]
	v_pk_fma_f32 v[100:101], v[100:101], v[90:91], v[104:105] op_sel:[0,0,1] op_sel_hi:[1,0,0]
	v_mov_b32_e32 v107, v101
	v_pk_mul_f32 v[100:101], v[102:103], v[92:93] op_sel:[0,1]
	s_delay_alu instid0(VALU_DEP_1) | instskip(SKIP_1) | instid1(VALU_DEP_1)
	v_pk_fma_f32 v[104:105], v[102:103], v[90:91], v[100:101] op_sel:[0,0,1] op_sel_hi:[1,1,0] neg_lo:[0,0,1] neg_hi:[0,0,1]
	v_pk_fma_f32 v[100:101], v[102:103], v[90:91], v[100:101] op_sel:[0,0,1] op_sel_hi:[1,0,0]
	v_mov_b32_e32 v105, v101
	ds_load_2addr_b64 v[100:103], v94 offset0:32 offset1:33
	v_pk_add_f32 v[32:33], v[32:33], v[106:107] neg_lo:[0,1] neg_hi:[0,1]
	v_pk_add_f32 v[28:29], v[28:29], v[104:105] neg_lo:[0,1] neg_hi:[0,1]
	s_wait_dscnt 0x0
	v_dual_mul_f32 v104, v101, v93 :: v_dual_mul_f32 v106, v101, v90
	s_delay_alu instid0(VALU_DEP_1) | instskip(NEXT) | instid1(VALU_DEP_2)
	v_pk_fma_f32 v[104:105], v[100:101], v[80:81], v[104:105] op_sel_hi:[1,1,0] neg_lo:[0,0,1] neg_hi:[0,0,1]
	v_pk_fma_f32 v[100:101], v[100:101], v[80:81], v[106:107] op_sel:[1,0,0] op_sel_hi:[0,1,0]
	s_delay_alu instid0(VALU_DEP_1) | instskip(SKIP_1) | instid1(VALU_DEP_2)
	v_mov_b32_e32 v105, v101
	v_pk_mul_f32 v[100:101], v[102:103], v[92:93] op_sel:[0,1]
	v_pk_add_f32 v[64:65], v[64:65], v[104:105] neg_lo:[0,1] neg_hi:[0,1]
	s_delay_alu instid0(VALU_DEP_2) | instskip(SKIP_1) | instid1(VALU_DEP_1)
	v_pk_fma_f32 v[104:105], v[102:103], v[90:91], v[100:101] op_sel:[0,0,1] op_sel_hi:[1,1,0] neg_lo:[0,0,1] neg_hi:[0,0,1]
	v_pk_fma_f32 v[100:101], v[102:103], v[90:91], v[100:101] op_sel:[0,0,1] op_sel_hi:[1,0,0]
	v_mov_b32_e32 v105, v101
	ds_load_2addr_b64 v[100:103], v94 offset0:34 offset1:35
	v_pk_add_f32 v[10:11], v[10:11], v[104:105] neg_lo:[0,1] neg_hi:[0,1]
	s_wait_dscnt 0x0
	v_pk_mul_f32 v[104:105], v[100:101], v[92:93] op_sel:[0,1]
	s_delay_alu instid0(VALU_DEP_1) | instskip(SKIP_1) | instid1(VALU_DEP_1)
	v_pk_fma_f32 v[106:107], v[100:101], v[90:91], v[104:105] op_sel:[0,0,1] op_sel_hi:[1,1,0] neg_lo:[0,0,1] neg_hi:[0,0,1]
	v_pk_fma_f32 v[100:101], v[100:101], v[90:91], v[104:105] op_sel:[0,0,1] op_sel_hi:[1,0,0]
	v_mov_b32_e32 v107, v101
	v_pk_mul_f32 v[100:101], v[102:103], v[92:93] op_sel:[0,1]
	s_delay_alu instid0(VALU_DEP_2) | instskip(NEXT) | instid1(VALU_DEP_2)
	v_pk_add_f32 v[12:13], v[12:13], v[106:107] neg_lo:[0,1] neg_hi:[0,1]
	v_pk_fma_f32 v[104:105], v[102:103], v[90:91], v[100:101] op_sel:[0,0,1] op_sel_hi:[1,1,0] neg_lo:[0,0,1] neg_hi:[0,0,1]
	v_pk_fma_f32 v[100:101], v[102:103], v[90:91], v[100:101] op_sel:[0,0,1] op_sel_hi:[1,0,0]
	s_delay_alu instid0(VALU_DEP_1) | instskip(SKIP_4) | instid1(VALU_DEP_1)
	v_mov_b32_e32 v105, v101
	ds_load_2addr_b64 v[100:103], v94 offset0:36 offset1:37
	v_pk_add_f32 v[8:9], v[8:9], v[104:105] neg_lo:[0,1] neg_hi:[0,1]
	s_wait_dscnt 0x0
	v_pk_mul_f32 v[104:105], v[100:101], v[92:93] op_sel:[0,1]
	v_pk_fma_f32 v[106:107], v[100:101], v[90:91], v[104:105] op_sel:[0,0,1] op_sel_hi:[1,1,0] neg_lo:[0,0,1] neg_hi:[0,0,1]
	v_pk_fma_f32 v[100:101], v[100:101], v[90:91], v[104:105] op_sel:[0,0,1] op_sel_hi:[1,0,0]
	v_dual_mul_f32 v104, v103, v93 :: v_dual_mov_b32 v100, v103
	s_delay_alu instid0(VALU_DEP_2) | instskip(NEXT) | instid1(VALU_DEP_2)
	v_dual_mov_b32 v107, v101 :: v_dual_mov_b32 v101, v102
	v_pk_fma_f32 v[104:105], v[102:103], v[80:81], v[104:105] op_sel_hi:[1,1,0] neg_lo:[0,0,1] neg_hi:[0,0,1]
	v_mul_f32_e32 v102, v103, v90
	s_delay_alu instid0(VALU_DEP_3) | instskip(NEXT) | instid1(VALU_DEP_2)
	v_pk_add_f32 v[62:63], v[62:63], v[106:107] neg_lo:[0,1] neg_hi:[0,1]
	v_pk_fma_f32 v[100:101], v[100:101], v[80:81], v[102:103] op_sel_hi:[1,1,0]
	s_delay_alu instid0(VALU_DEP_1) | instskip(SKIP_4) | instid1(VALU_DEP_1)
	v_mov_b32_e32 v105, v101
	ds_load_2addr_b64 v[100:103], v94 offset0:38 offset1:39
	v_pk_add_f32 v[6:7], v[6:7], v[104:105] neg_lo:[0,1] neg_hi:[0,1]
	s_wait_dscnt 0x0
	v_pk_mul_f32 v[104:105], v[100:101], v[92:93] op_sel:[0,1]
	v_pk_fma_f32 v[106:107], v[100:101], v[90:91], v[104:105] op_sel:[0,0,1] op_sel_hi:[1,1,0] neg_lo:[0,0,1] neg_hi:[0,0,1]
	v_pk_fma_f32 v[100:101], v[100:101], v[90:91], v[104:105] op_sel:[0,0,1] op_sel_hi:[1,0,0]
	s_delay_alu instid0(VALU_DEP_1) | instskip(SKIP_1) | instid1(VALU_DEP_1)
	v_mov_b32_e32 v107, v101
	v_pk_mul_f32 v[100:101], v[102:103], v[92:93] op_sel:[0,1]
	v_pk_fma_f32 v[104:105], v[102:103], v[90:91], v[100:101] op_sel:[0,0,1] op_sel_hi:[1,1,0] neg_lo:[0,0,1] neg_hi:[0,0,1]
	v_pk_fma_f32 v[100:101], v[102:103], v[90:91], v[100:101] op_sel:[0,0,1] op_sel_hi:[1,0,0]
	s_delay_alu instid0(VALU_DEP_1)
	v_mov_b32_e32 v105, v101
	ds_load_2addr_b64 v[100:103], v94 offset0:40 offset1:41
	v_pk_add_f32 v[54:55], v[54:55], v[106:107] neg_lo:[0,1] neg_hi:[0,1]
	v_pk_add_f32 v[40:41], v[40:41], v[104:105] neg_lo:[0,1] neg_hi:[0,1]
	s_wait_dscnt 0x0
	v_pk_mul_f32 v[104:105], v[100:101], v[92:93] op_sel:[0,1]
	v_pk_mul_f32 v[92:93], v[102:103], v[92:93] op_sel:[0,1]
	s_delay_alu instid0(VALU_DEP_2) | instskip(SKIP_1) | instid1(VALU_DEP_1)
	v_pk_fma_f32 v[106:107], v[100:101], v[90:91], v[104:105] op_sel:[0,0,1] op_sel_hi:[1,1,0] neg_lo:[0,0,1] neg_hi:[0,0,1]
	v_pk_fma_f32 v[100:101], v[100:101], v[90:91], v[104:105] op_sel:[0,0,1] op_sel_hi:[1,0,0]
	v_mov_b32_e32 v107, v101
	s_delay_alu instid0(VALU_DEP_4) | instskip(SKIP_1) | instid1(VALU_DEP_1)
	v_pk_fma_f32 v[100:101], v[102:103], v[90:91], v[92:93] op_sel:[0,0,1] op_sel_hi:[1,1,0] neg_lo:[0,0,1] neg_hi:[0,0,1]
	v_pk_fma_f32 v[90:91], v[102:103], v[90:91], v[92:93] op_sel:[0,0,1] op_sel_hi:[1,0,0]
	v_mov_b32_e32 v101, v91
	s_delay_alu instid0(VALU_DEP_4) | instskip(NEXT) | instid1(VALU_DEP_2)
	v_pk_add_f32 v[24:25], v[24:25], v[106:107] neg_lo:[0,1] neg_hi:[0,1]
	v_pk_add_f32 v[88:89], v[88:89], v[100:101] neg_lo:[0,1] neg_hi:[0,1]
.LBB82_83:
	s_or_b32 exec_lo, exec_lo, s0
	v_lshl_add_u32 v90, v98, 3, v94
	s_barrier_signal -1
	s_barrier_wait -1
	ds_store_b64 v90, v[66:67]
	s_wait_dscnt 0x0
	s_barrier_signal -1
	s_barrier_wait -1
	ds_load_b64 v[92:93], v94 offset:32
	v_mov_b32_e32 v90, 4
	s_cmp_lt_i32 s18, 6
	s_cbranch_scc1 .LBB82_86
; %bb.84:
	v_add3_u32 v91, v95, 0, 40
	v_mov_b32_e32 v90, 4
	s_mov_b32 s0, 5
.LBB82_85:                              ; =>This Inner Loop Header: Depth=1
	ds_load_b64 v[100:101], v91
	s_wait_dscnt 0x1
	v_cmp_gt_f32_e32 vcc_lo, 0, v92
	v_cndmask_b32_e64 v102, v92, -v92, vcc_lo
	v_cmp_gt_f32_e32 vcc_lo, 0, v93
	v_cndmask_b32_e64 v104, v93, -v93, vcc_lo
	s_wait_dscnt 0x0
	v_cmp_gt_f32_e32 vcc_lo, 0, v100
	v_cndmask_b32_e64 v103, v100, -v100, vcc_lo
	v_cmp_gt_f32_e32 vcc_lo, 0, v101
	v_cndmask_b32_e64 v105, v101, -v101, vcc_lo
	s_delay_alu instid0(VALU_DEP_1) | instskip(NEXT) | instid1(VALU_DEP_1)
	v_pk_add_f32 v[102:103], v[102:103], v[104:105]
	v_cmp_lt_f32_e32 vcc_lo, v102, v103
	v_dual_add_nc_u32 v91, 8, v91 :: v_dual_cndmask_b32 v93, v93, v101, vcc_lo
	v_cndmask_b32_e32 v92, v92, v100, vcc_lo
	v_cndmask_b32_e64 v90, v90, s0, vcc_lo
	s_add_co_i32 s0, s0, 1
	s_delay_alu instid0(SALU_CYCLE_1)
	s_cmp_lg_u32 s18, s0
	s_cbranch_scc1 .LBB82_85
.LBB82_86:
	s_wait_dscnt 0x0
	v_cmp_eq_f32_e32 vcc_lo, 0, v92
	v_cmp_eq_f32_e64 s0, 0, v93
	s_and_b32 s0, vcc_lo, s0
	s_delay_alu instid0(SALU_CYCLE_1) | instskip(NEXT) | instid1(SALU_CYCLE_1)
	s_and_saveexec_b32 s1, s0
	s_xor_b32 s0, exec_lo, s1
; %bb.87:
	v_cmp_ne_u32_e32 vcc_lo, 0, v96
	v_cndmask_b32_e32 v96, 5, v96, vcc_lo
; %bb.88:
	s_and_not1_saveexec_b32 s0, s0
	s_cbranch_execz .LBB82_94
; %bb.89:
	v_cmp_ngt_f32_e64 s1, |v92|, |v93|
	s_and_saveexec_b32 s12, s1
	s_delay_alu instid0(SALU_CYCLE_1)
	s_xor_b32 s1, exec_lo, s12
	s_cbranch_execz .LBB82_91
; %bb.90:
	v_div_scale_f32 v91, null, v93, v93, v92
	v_div_scale_f32 v101, vcc_lo, v92, v93, v92
	s_delay_alu instid0(VALU_DEP_2) | instskip(SKIP_1) | instid1(TRANS32_DEP_1)
	v_rcp_f32_e32 v99, v91
	v_nop
	v_fma_f32 v100, -v91, v99, 1.0
	s_delay_alu instid0(VALU_DEP_1) | instskip(NEXT) | instid1(VALU_DEP_1)
	v_fmac_f32_e32 v99, v100, v99
	v_mul_f32_e32 v100, v101, v99
	s_delay_alu instid0(VALU_DEP_1) | instskip(NEXT) | instid1(VALU_DEP_1)
	v_fma_f32 v102, -v91, v100, v101
	v_fmac_f32_e32 v100, v102, v99
	s_delay_alu instid0(VALU_DEP_1) | instskip(NEXT) | instid1(VALU_DEP_1)
	v_fma_f32 v91, -v91, v100, v101
	v_div_fmas_f32 v91, v91, v99, v100
	s_delay_alu instid0(VALU_DEP_1) | instskip(NEXT) | instid1(VALU_DEP_1)
	v_div_fixup_f32 v91, v91, v93, v92
	v_fmac_f32_e32 v93, v92, v91
	s_delay_alu instid0(VALU_DEP_1) | instskip(SKIP_1) | instid1(VALU_DEP_2)
	v_div_scale_f32 v92, null, v93, v93, 1.0
	v_div_scale_f32 v101, vcc_lo, 1.0, v93, 1.0
	v_rcp_f32_e32 v99, v92
	v_nop
	s_delay_alu instid0(TRANS32_DEP_1) | instskip(NEXT) | instid1(VALU_DEP_1)
	v_fma_f32 v100, -v92, v99, 1.0
	v_fmac_f32_e32 v99, v100, v99
	s_delay_alu instid0(VALU_DEP_1) | instskip(NEXT) | instid1(VALU_DEP_1)
	v_mul_f32_e32 v100, v101, v99
	v_fma_f32 v102, -v92, v100, v101
	s_delay_alu instid0(VALU_DEP_1) | instskip(NEXT) | instid1(VALU_DEP_1)
	v_fmac_f32_e32 v100, v102, v99
	v_fma_f32 v92, -v92, v100, v101
	s_delay_alu instid0(VALU_DEP_1) | instskip(NEXT) | instid1(VALU_DEP_1)
	v_div_fmas_f32 v92, v92, v99, v100
	v_div_fixup_f32 v93, v92, v93, 1.0
	s_delay_alu instid0(VALU_DEP_1)
	v_mul_f32_e32 v92, v91, v93
	v_xor_b32_e32 v93, 0x80000000, v93
.LBB82_91:
	s_and_not1_saveexec_b32 s1, s1
	s_cbranch_execz .LBB82_93
; %bb.92:
	s_delay_alu instid0(VALU_DEP_1) | instskip(SKIP_1) | instid1(VALU_DEP_2)
	v_div_scale_f32 v91, null, v92, v92, v93
	v_div_scale_f32 v101, vcc_lo, v93, v92, v93
	v_rcp_f32_e32 v99, v91
	v_nop
	s_delay_alu instid0(TRANS32_DEP_1) | instskip(NEXT) | instid1(VALU_DEP_1)
	v_fma_f32 v100, -v91, v99, 1.0
	v_fmac_f32_e32 v99, v100, v99
	s_delay_alu instid0(VALU_DEP_1) | instskip(NEXT) | instid1(VALU_DEP_1)
	v_mul_f32_e32 v100, v101, v99
	v_fma_f32 v102, -v91, v100, v101
	s_delay_alu instid0(VALU_DEP_1) | instskip(NEXT) | instid1(VALU_DEP_1)
	v_fmac_f32_e32 v100, v102, v99
	v_fma_f32 v91, -v91, v100, v101
	s_delay_alu instid0(VALU_DEP_1) | instskip(NEXT) | instid1(VALU_DEP_1)
	v_div_fmas_f32 v91, v91, v99, v100
	v_div_fixup_f32 v91, v91, v92, v93
	s_delay_alu instid0(VALU_DEP_1) | instskip(NEXT) | instid1(VALU_DEP_1)
	v_fmac_f32_e32 v92, v93, v91
	v_div_scale_f32 v93, null, v92, v92, 1.0
	s_delay_alu instid0(VALU_DEP_1) | instskip(SKIP_1) | instid1(TRANS32_DEP_1)
	v_rcp_f32_e32 v99, v93
	v_nop
	v_fma_f32 v100, -v93, v99, 1.0
	s_delay_alu instid0(VALU_DEP_1) | instskip(SKIP_1) | instid1(VALU_DEP_1)
	v_fmac_f32_e32 v99, v100, v99
	v_div_scale_f32 v100, vcc_lo, 1.0, v92, 1.0
	v_mul_f32_e32 v101, v100, v99
	s_delay_alu instid0(VALU_DEP_1) | instskip(NEXT) | instid1(VALU_DEP_1)
	v_fma_f32 v102, -v93, v101, v100
	v_fmac_f32_e32 v101, v102, v99
	s_delay_alu instid0(VALU_DEP_1) | instskip(NEXT) | instid1(VALU_DEP_1)
	v_fma_f32 v93, -v93, v101, v100
	v_div_fmas_f32 v93, v93, v99, v101
	s_delay_alu instid0(VALU_DEP_1) | instskip(NEXT) | instid1(VALU_DEP_1)
	v_div_fixup_f32 v92, v93, v92, 1.0
	v_mul_f32_e64 v93, v91, -v92
.LBB82_93:
	s_or_b32 exec_lo, exec_lo, s1
.LBB82_94:
	s_delay_alu instid0(SALU_CYCLE_1) | instskip(NEXT) | instid1(SALU_CYCLE_1)
	s_or_b32 exec_lo, exec_lo, s0
	s_mov_b32 s0, exec_lo
	v_cmpx_ne_u32_e64 v98, v90
	s_xor_b32 s0, exec_lo, s0
	s_cbranch_execz .LBB82_100
; %bb.95:
	s_mov_b32 s1, exec_lo
	v_cmpx_eq_u32_e32 4, v98
	s_cbranch_execz .LBB82_99
; %bb.96:
	v_cmp_ne_u32_e32 vcc_lo, 4, v90
	s_xor_b32 s12, s16, -1
	s_delay_alu instid0(SALU_CYCLE_1) | instskip(NEXT) | instid1(SALU_CYCLE_1)
	s_and_b32 s13, s12, vcc_lo
	s_and_saveexec_b32 s12, s13
	s_cbranch_execz .LBB82_98
; %bb.97:
	v_ashrrev_i32_e32 v91, 31, v90
	s_delay_alu instid0(VALU_DEP_1)
	v_lshl_add_u64 v[98:99], v[90:91], 2, v[4:5]
	s_clause 0x1
	global_load_b32 v91, v[98:99], off
	global_load_b32 v97, v[4:5], off offset:16
	s_wait_loadcnt 0x1
	global_store_b32 v[4:5], v91, off offset:16
	s_wait_loadcnt 0x0
	global_store_b32 v[98:99], v97, off
.LBB82_98:
	s_wait_xcnt 0x0
	s_or_b32 exec_lo, exec_lo, s12
	v_dual_mov_b32 v98, v90 :: v_dual_mov_b32 v97, v90
.LBB82_99:
	s_or_b32 exec_lo, exec_lo, s1
.LBB82_100:
	s_and_not1_saveexec_b32 s0, s0
	s_cbranch_execz .LBB82_102
; %bb.101:
	v_mov_b32_e32 v98, 4
	ds_store_2addr_b64 v94, v[16:17], v[18:19] offset0:5 offset1:6
	ds_store_2addr_b64 v94, v[14:15], v[68:69] offset0:7 offset1:8
	;; [unrolled: 1-line block ×18, first 2 shown]
	ds_store_b64 v94, v[88:89] offset:328
.LBB82_102:
	s_or_b32 exec_lo, exec_lo, s0
	s_delay_alu instid0(SALU_CYCLE_1)
	s_mov_b32 s0, exec_lo
	s_wait_storecnt_dscnt 0x0
	s_barrier_signal -1
	s_barrier_wait -1
	v_cmpx_lt_i32_e32 4, v98
	s_cbranch_execz .LBB82_104
; %bb.103:
	v_pk_mul_f32 v[100:101], v[92:93], v[66:67] op_sel:[1,1] op_sel_hi:[0,1]
	s_delay_alu instid0(VALU_DEP_1)
	v_pk_fma_f32 v[90:91], v[92:93], v[66:67], v[100:101] op_sel_hi:[1,0,1] neg_lo:[0,0,1] neg_hi:[0,0,1]
	v_pk_fma_f32 v[92:93], v[92:93], v[66:67], v[100:101] op_sel_hi:[1,0,1]
	ds_load_2addr_b64 v[100:103], v94 offset0:5 offset1:6
	v_dual_mov_b32 v66, v90 :: v_dual_mov_b32 v67, v93
	s_wait_dscnt 0x0
	v_pk_mul_f32 v[104:105], v[100:101], v[92:93] op_sel:[0,1]
	s_delay_alu instid0(VALU_DEP_1) | instskip(SKIP_1) | instid1(VALU_DEP_1)
	v_pk_fma_f32 v[106:107], v[100:101], v[90:91], v[104:105] op_sel:[0,0,1] op_sel_hi:[1,1,0] neg_lo:[0,0,1] neg_hi:[0,0,1]
	v_pk_fma_f32 v[100:101], v[100:101], v[90:91], v[104:105] op_sel:[0,0,1] op_sel_hi:[1,0,0]
	v_mov_b32_e32 v107, v101
	v_pk_mul_f32 v[100:101], v[102:103], v[92:93] op_sel:[0,1]
	s_delay_alu instid0(VALU_DEP_1) | instskip(SKIP_1) | instid1(VALU_DEP_1)
	v_pk_fma_f32 v[104:105], v[102:103], v[90:91], v[100:101] op_sel:[0,0,1] op_sel_hi:[1,1,0] neg_lo:[0,0,1] neg_hi:[0,0,1]
	v_pk_fma_f32 v[100:101], v[102:103], v[90:91], v[100:101] op_sel:[0,0,1] op_sel_hi:[1,0,0]
	v_mov_b32_e32 v105, v101
	ds_load_2addr_b64 v[100:103], v94 offset0:7 offset1:8
	v_pk_add_f32 v[16:17], v[16:17], v[106:107] neg_lo:[0,1] neg_hi:[0,1]
	v_pk_add_f32 v[18:19], v[18:19], v[104:105] neg_lo:[0,1] neg_hi:[0,1]
	s_wait_dscnt 0x0
	v_pk_mul_f32 v[104:105], v[100:101], v[92:93] op_sel:[0,1]
	s_delay_alu instid0(VALU_DEP_1) | instskip(SKIP_2) | instid1(VALU_DEP_2)
	v_pk_fma_f32 v[106:107], v[100:101], v[90:91], v[104:105] op_sel:[0,0,1] op_sel_hi:[1,1,0] neg_lo:[0,0,1] neg_hi:[0,0,1]
	v_pk_fma_f32 v[100:101], v[100:101], v[90:91], v[104:105] op_sel:[0,0,1] op_sel_hi:[1,0,0]
	v_dual_mul_f32 v104, v103, v93 :: v_dual_mov_b32 v100, v103
	v_dual_mov_b32 v107, v101 :: v_dual_mov_b32 v101, v102
	s_delay_alu instid0(VALU_DEP_2) | instskip(SKIP_1) | instid1(VALU_DEP_3)
	v_pk_fma_f32 v[104:105], v[102:103], v[66:67], v[104:105] op_sel_hi:[1,1,0] neg_lo:[0,0,1] neg_hi:[0,0,1]
	v_mul_f32_e32 v102, v103, v90
	v_pk_add_f32 v[14:15], v[14:15], v[106:107] neg_lo:[0,1] neg_hi:[0,1]
	s_delay_alu instid0(VALU_DEP_2) | instskip(NEXT) | instid1(VALU_DEP_1)
	v_pk_fma_f32 v[100:101], v[100:101], v[66:67], v[102:103] op_sel_hi:[1,1,0]
	v_mov_b32_e32 v105, v101
	ds_load_2addr_b64 v[100:103], v94 offset0:9 offset1:10
	v_pk_add_f32 v[68:69], v[68:69], v[104:105] neg_lo:[0,1] neg_hi:[0,1]
	s_wait_dscnt 0x0
	v_pk_mul_f32 v[104:105], v[100:101], v[92:93] op_sel:[0,1]
	s_delay_alu instid0(VALU_DEP_1) | instskip(SKIP_1) | instid1(VALU_DEP_1)
	v_pk_fma_f32 v[106:107], v[100:101], v[90:91], v[104:105] op_sel:[0,0,1] op_sel_hi:[1,1,0] neg_lo:[0,0,1] neg_hi:[0,0,1]
	v_pk_fma_f32 v[100:101], v[100:101], v[90:91], v[104:105] op_sel:[0,0,1] op_sel_hi:[1,0,0]
	v_mov_b32_e32 v107, v101
	v_pk_mul_f32 v[100:101], v[102:103], v[92:93] op_sel:[0,1]
	s_delay_alu instid0(VALU_DEP_1) | instskip(SKIP_1) | instid1(VALU_DEP_1)
	v_pk_fma_f32 v[104:105], v[102:103], v[90:91], v[100:101] op_sel:[0,0,1] op_sel_hi:[1,1,0] neg_lo:[0,0,1] neg_hi:[0,0,1]
	v_pk_fma_f32 v[100:101], v[102:103], v[90:91], v[100:101] op_sel:[0,0,1] op_sel_hi:[1,0,0]
	v_mov_b32_e32 v105, v101
	ds_load_2addr_b64 v[100:103], v94 offset0:11 offset1:12
	v_pk_add_f32 v[22:23], v[22:23], v[106:107] neg_lo:[0,1] neg_hi:[0,1]
	v_pk_add_f32 v[26:27], v[26:27], v[104:105] neg_lo:[0,1] neg_hi:[0,1]
	s_wait_dscnt 0x0
	v_pk_mul_f32 v[104:105], v[100:101], v[92:93] op_sel:[0,1]
	s_delay_alu instid0(VALU_DEP_1) | instskip(SKIP_1) | instid1(VALU_DEP_1)
	v_pk_fma_f32 v[106:107], v[100:101], v[90:91], v[104:105] op_sel:[0,0,1] op_sel_hi:[1,1,0] neg_lo:[0,0,1] neg_hi:[0,0,1]
	v_pk_fma_f32 v[100:101], v[100:101], v[90:91], v[104:105] op_sel:[0,0,1] op_sel_hi:[1,0,0]
	v_mov_b32_e32 v107, v101
	v_pk_mul_f32 v[100:101], v[102:103], v[92:93] op_sel:[0,1]
	s_delay_alu instid0(VALU_DEP_1) | instskip(SKIP_1) | instid1(VALU_DEP_1)
	v_pk_fma_f32 v[104:105], v[102:103], v[90:91], v[100:101] op_sel:[0,0,1] op_sel_hi:[1,1,0] neg_lo:[0,0,1] neg_hi:[0,0,1]
	v_pk_fma_f32 v[100:101], v[102:103], v[90:91], v[100:101] op_sel:[0,0,1] op_sel_hi:[1,0,0]
	v_mov_b32_e32 v105, v101
	ds_load_2addr_b64 v[100:103], v94 offset0:13 offset1:14
	v_pk_add_f32 v[20:21], v[20:21], v[106:107] neg_lo:[0,1] neg_hi:[0,1]
	v_pk_add_f32 v[78:79], v[78:79], v[104:105] neg_lo:[0,1] neg_hi:[0,1]
	s_wait_dscnt 0x0
	v_dual_mul_f32 v104, v101, v93 :: v_dual_mul_f32 v106, v101, v90
	s_delay_alu instid0(VALU_DEP_1) | instskip(NEXT) | instid1(VALU_DEP_2)
	v_pk_fma_f32 v[104:105], v[100:101], v[66:67], v[104:105] op_sel_hi:[1,1,0] neg_lo:[0,0,1] neg_hi:[0,0,1]
	v_pk_fma_f32 v[100:101], v[100:101], v[66:67], v[106:107] op_sel:[1,0,0] op_sel_hi:[0,1,0]
	s_delay_alu instid0(VALU_DEP_1) | instskip(SKIP_1) | instid1(VALU_DEP_2)
	v_mov_b32_e32 v105, v101
	v_pk_mul_f32 v[100:101], v[102:103], v[92:93] op_sel:[0,1]
	v_pk_add_f32 v[58:59], v[58:59], v[104:105] neg_lo:[0,1] neg_hi:[0,1]
	s_delay_alu instid0(VALU_DEP_2) | instskip(SKIP_1) | instid1(VALU_DEP_1)
	v_pk_fma_f32 v[104:105], v[102:103], v[90:91], v[100:101] op_sel:[0,0,1] op_sel_hi:[1,1,0] neg_lo:[0,0,1] neg_hi:[0,0,1]
	v_pk_fma_f32 v[100:101], v[102:103], v[90:91], v[100:101] op_sel:[0,0,1] op_sel_hi:[1,0,0]
	v_mov_b32_e32 v105, v101
	ds_load_2addr_b64 v[100:103], v94 offset0:15 offset1:16
	v_pk_add_f32 v[60:61], v[60:61], v[104:105] neg_lo:[0,1] neg_hi:[0,1]
	s_wait_dscnt 0x0
	v_pk_mul_f32 v[104:105], v[100:101], v[92:93] op_sel:[0,1]
	s_delay_alu instid0(VALU_DEP_1) | instskip(SKIP_1) | instid1(VALU_DEP_1)
	v_pk_fma_f32 v[106:107], v[100:101], v[90:91], v[104:105] op_sel:[0,0,1] op_sel_hi:[1,1,0] neg_lo:[0,0,1] neg_hi:[0,0,1]
	v_pk_fma_f32 v[100:101], v[100:101], v[90:91], v[104:105] op_sel:[0,0,1] op_sel_hi:[1,0,0]
	v_mov_b32_e32 v107, v101
	v_pk_mul_f32 v[100:101], v[102:103], v[92:93] op_sel:[0,1]
	s_delay_alu instid0(VALU_DEP_2) | instskip(NEXT) | instid1(VALU_DEP_2)
	v_pk_add_f32 v[56:57], v[56:57], v[106:107] neg_lo:[0,1] neg_hi:[0,1]
	v_pk_fma_f32 v[104:105], v[102:103], v[90:91], v[100:101] op_sel:[0,0,1] op_sel_hi:[1,1,0] neg_lo:[0,0,1] neg_hi:[0,0,1]
	v_pk_fma_f32 v[100:101], v[102:103], v[90:91], v[100:101] op_sel:[0,0,1] op_sel_hi:[1,0,0]
	s_delay_alu instid0(VALU_DEP_1) | instskip(SKIP_4) | instid1(VALU_DEP_1)
	v_mov_b32_e32 v105, v101
	ds_load_2addr_b64 v[100:103], v94 offset0:17 offset1:18
	v_pk_add_f32 v[76:77], v[76:77], v[104:105] neg_lo:[0,1] neg_hi:[0,1]
	s_wait_dscnt 0x0
	v_pk_mul_f32 v[104:105], v[100:101], v[92:93] op_sel:[0,1]
	v_pk_fma_f32 v[106:107], v[100:101], v[90:91], v[104:105] op_sel:[0,0,1] op_sel_hi:[1,1,0] neg_lo:[0,0,1] neg_hi:[0,0,1]
	v_pk_fma_f32 v[100:101], v[100:101], v[90:91], v[104:105] op_sel:[0,0,1] op_sel_hi:[1,0,0]
	v_dual_mul_f32 v104, v103, v93 :: v_dual_mov_b32 v100, v103
	s_delay_alu instid0(VALU_DEP_2) | instskip(NEXT) | instid1(VALU_DEP_2)
	v_dual_mov_b32 v107, v101 :: v_dual_mov_b32 v101, v102
	v_pk_fma_f32 v[104:105], v[102:103], v[66:67], v[104:105] op_sel_hi:[1,1,0] neg_lo:[0,0,1] neg_hi:[0,0,1]
	v_mul_f32_e32 v102, v103, v90
	s_delay_alu instid0(VALU_DEP_3) | instskip(NEXT) | instid1(VALU_DEP_2)
	v_pk_add_f32 v[50:51], v[50:51], v[106:107] neg_lo:[0,1] neg_hi:[0,1]
	v_pk_fma_f32 v[100:101], v[100:101], v[66:67], v[102:103] op_sel_hi:[1,1,0]
	s_delay_alu instid0(VALU_DEP_1) | instskip(SKIP_4) | instid1(VALU_DEP_1)
	v_mov_b32_e32 v105, v101
	ds_load_2addr_b64 v[100:103], v94 offset0:19 offset1:20
	v_pk_add_f32 v[52:53], v[52:53], v[104:105] neg_lo:[0,1] neg_hi:[0,1]
	s_wait_dscnt 0x0
	v_pk_mul_f32 v[104:105], v[100:101], v[92:93] op_sel:[0,1]
	v_pk_fma_f32 v[106:107], v[100:101], v[90:91], v[104:105] op_sel:[0,0,1] op_sel_hi:[1,1,0] neg_lo:[0,0,1] neg_hi:[0,0,1]
	v_pk_fma_f32 v[100:101], v[100:101], v[90:91], v[104:105] op_sel:[0,0,1] op_sel_hi:[1,0,0]
	s_delay_alu instid0(VALU_DEP_1) | instskip(SKIP_1) | instid1(VALU_DEP_1)
	v_mov_b32_e32 v107, v101
	v_pk_mul_f32 v[100:101], v[102:103], v[92:93] op_sel:[0,1]
	v_pk_fma_f32 v[104:105], v[102:103], v[90:91], v[100:101] op_sel:[0,0,1] op_sel_hi:[1,1,0] neg_lo:[0,0,1] neg_hi:[0,0,1]
	v_pk_fma_f32 v[100:101], v[102:103], v[90:91], v[100:101] op_sel:[0,0,1] op_sel_hi:[1,0,0]
	s_delay_alu instid0(VALU_DEP_1)
	v_mov_b32_e32 v105, v101
	ds_load_2addr_b64 v[100:103], v94 offset0:21 offset1:22
	v_pk_add_f32 v[48:49], v[48:49], v[106:107] neg_lo:[0,1] neg_hi:[0,1]
	v_pk_add_f32 v[74:75], v[74:75], v[104:105] neg_lo:[0,1] neg_hi:[0,1]
	s_wait_dscnt 0x0
	v_pk_mul_f32 v[104:105], v[100:101], v[92:93] op_sel:[0,1]
	s_delay_alu instid0(VALU_DEP_1) | instskip(SKIP_1) | instid1(VALU_DEP_1)
	v_pk_fma_f32 v[106:107], v[100:101], v[90:91], v[104:105] op_sel:[0,0,1] op_sel_hi:[1,1,0] neg_lo:[0,0,1] neg_hi:[0,0,1]
	v_pk_fma_f32 v[100:101], v[100:101], v[90:91], v[104:105] op_sel:[0,0,1] op_sel_hi:[1,0,0]
	v_mov_b32_e32 v107, v101
	v_pk_mul_f32 v[100:101], v[102:103], v[92:93] op_sel:[0,1]
	s_delay_alu instid0(VALU_DEP_1) | instskip(SKIP_1) | instid1(VALU_DEP_1)
	v_pk_fma_f32 v[104:105], v[102:103], v[90:91], v[100:101] op_sel:[0,0,1] op_sel_hi:[1,1,0] neg_lo:[0,0,1] neg_hi:[0,0,1]
	v_pk_fma_f32 v[100:101], v[102:103], v[90:91], v[100:101] op_sel:[0,0,1] op_sel_hi:[1,0,0]
	v_mov_b32_e32 v105, v101
	ds_load_2addr_b64 v[100:103], v94 offset0:23 offset1:24
	v_pk_add_f32 v[44:45], v[44:45], v[106:107] neg_lo:[0,1] neg_hi:[0,1]
	v_pk_add_f32 v[46:47], v[46:47], v[104:105] neg_lo:[0,1] neg_hi:[0,1]
	s_wait_dscnt 0x0
	v_dual_mul_f32 v104, v101, v93 :: v_dual_mul_f32 v106, v101, v90
	s_delay_alu instid0(VALU_DEP_1) | instskip(NEXT) | instid1(VALU_DEP_2)
	v_pk_fma_f32 v[104:105], v[100:101], v[66:67], v[104:105] op_sel_hi:[1,1,0] neg_lo:[0,0,1] neg_hi:[0,0,1]
	v_pk_fma_f32 v[100:101], v[100:101], v[66:67], v[106:107] op_sel:[1,0,0] op_sel_hi:[0,1,0]
	s_delay_alu instid0(VALU_DEP_1) | instskip(SKIP_1) | instid1(VALU_DEP_2)
	v_mov_b32_e32 v105, v101
	v_pk_mul_f32 v[100:101], v[102:103], v[92:93] op_sel:[0,1]
	v_pk_add_f32 v[42:43], v[42:43], v[104:105] neg_lo:[0,1] neg_hi:[0,1]
	s_delay_alu instid0(VALU_DEP_2) | instskip(SKIP_1) | instid1(VALU_DEP_1)
	v_pk_fma_f32 v[104:105], v[102:103], v[90:91], v[100:101] op_sel:[0,0,1] op_sel_hi:[1,1,0] neg_lo:[0,0,1] neg_hi:[0,0,1]
	v_pk_fma_f32 v[100:101], v[102:103], v[90:91], v[100:101] op_sel:[0,0,1] op_sel_hi:[1,0,0]
	v_mov_b32_e32 v105, v101
	ds_load_2addr_b64 v[100:103], v94 offset0:25 offset1:26
	v_pk_add_f32 v[72:73], v[72:73], v[104:105] neg_lo:[0,1] neg_hi:[0,1]
	s_wait_dscnt 0x0
	v_pk_mul_f32 v[104:105], v[100:101], v[92:93] op_sel:[0,1]
	s_delay_alu instid0(VALU_DEP_1) | instskip(SKIP_1) | instid1(VALU_DEP_1)
	v_pk_fma_f32 v[106:107], v[100:101], v[90:91], v[104:105] op_sel:[0,0,1] op_sel_hi:[1,1,0] neg_lo:[0,0,1] neg_hi:[0,0,1]
	v_pk_fma_f32 v[100:101], v[100:101], v[90:91], v[104:105] op_sel:[0,0,1] op_sel_hi:[1,0,0]
	v_mov_b32_e32 v107, v101
	v_pk_mul_f32 v[100:101], v[102:103], v[92:93] op_sel:[0,1]
	s_delay_alu instid0(VALU_DEP_2) | instskip(NEXT) | instid1(VALU_DEP_2)
	v_pk_add_f32 v[36:37], v[36:37], v[106:107] neg_lo:[0,1] neg_hi:[0,1]
	v_pk_fma_f32 v[104:105], v[102:103], v[90:91], v[100:101] op_sel:[0,0,1] op_sel_hi:[1,1,0] neg_lo:[0,0,1] neg_hi:[0,0,1]
	v_pk_fma_f32 v[100:101], v[102:103], v[90:91], v[100:101] op_sel:[0,0,1] op_sel_hi:[1,0,0]
	s_delay_alu instid0(VALU_DEP_1) | instskip(SKIP_4) | instid1(VALU_DEP_1)
	v_mov_b32_e32 v105, v101
	ds_load_2addr_b64 v[100:103], v94 offset0:27 offset1:28
	v_pk_add_f32 v[38:39], v[38:39], v[104:105] neg_lo:[0,1] neg_hi:[0,1]
	s_wait_dscnt 0x0
	v_pk_mul_f32 v[104:105], v[100:101], v[92:93] op_sel:[0,1]
	v_pk_fma_f32 v[106:107], v[100:101], v[90:91], v[104:105] op_sel:[0,0,1] op_sel_hi:[1,1,0] neg_lo:[0,0,1] neg_hi:[0,0,1]
	v_pk_fma_f32 v[100:101], v[100:101], v[90:91], v[104:105] op_sel:[0,0,1] op_sel_hi:[1,0,0]
	v_dual_mul_f32 v104, v103, v93 :: v_dual_mov_b32 v100, v103
	s_delay_alu instid0(VALU_DEP_2) | instskip(NEXT) | instid1(VALU_DEP_2)
	v_dual_mov_b32 v107, v101 :: v_dual_mov_b32 v101, v102
	v_pk_fma_f32 v[104:105], v[102:103], v[66:67], v[104:105] op_sel_hi:[1,1,0] neg_lo:[0,0,1] neg_hi:[0,0,1]
	v_mul_f32_e32 v102, v103, v90
	s_delay_alu instid0(VALU_DEP_3) | instskip(NEXT) | instid1(VALU_DEP_2)
	v_pk_add_f32 v[34:35], v[34:35], v[106:107] neg_lo:[0,1] neg_hi:[0,1]
	v_pk_fma_f32 v[100:101], v[100:101], v[66:67], v[102:103] op_sel_hi:[1,1,0]
	s_delay_alu instid0(VALU_DEP_1) | instskip(SKIP_4) | instid1(VALU_DEP_1)
	v_mov_b32_e32 v105, v101
	ds_load_2addr_b64 v[100:103], v94 offset0:29 offset1:30
	v_pk_add_f32 v[70:71], v[70:71], v[104:105] neg_lo:[0,1] neg_hi:[0,1]
	s_wait_dscnt 0x0
	v_pk_mul_f32 v[104:105], v[100:101], v[92:93] op_sel:[0,1]
	v_pk_fma_f32 v[106:107], v[100:101], v[90:91], v[104:105] op_sel:[0,0,1] op_sel_hi:[1,1,0] neg_lo:[0,0,1] neg_hi:[0,0,1]
	v_pk_fma_f32 v[100:101], v[100:101], v[90:91], v[104:105] op_sel:[0,0,1] op_sel_hi:[1,0,0]
	s_delay_alu instid0(VALU_DEP_1) | instskip(SKIP_1) | instid1(VALU_DEP_1)
	v_mov_b32_e32 v107, v101
	v_pk_mul_f32 v[100:101], v[102:103], v[92:93] op_sel:[0,1]
	v_pk_fma_f32 v[104:105], v[102:103], v[90:91], v[100:101] op_sel:[0,0,1] op_sel_hi:[1,1,0] neg_lo:[0,0,1] neg_hi:[0,0,1]
	v_pk_fma_f32 v[100:101], v[102:103], v[90:91], v[100:101] op_sel:[0,0,1] op_sel_hi:[1,0,0]
	s_delay_alu instid0(VALU_DEP_1)
	v_mov_b32_e32 v105, v101
	ds_load_2addr_b64 v[100:103], v94 offset0:31 offset1:32
	v_pk_add_f32 v[30:31], v[30:31], v[106:107] neg_lo:[0,1] neg_hi:[0,1]
	v_pk_add_f32 v[32:33], v[32:33], v[104:105] neg_lo:[0,1] neg_hi:[0,1]
	s_wait_dscnt 0x0
	v_pk_mul_f32 v[104:105], v[100:101], v[92:93] op_sel:[0,1]
	s_delay_alu instid0(VALU_DEP_1) | instskip(SKIP_1) | instid1(VALU_DEP_1)
	v_pk_fma_f32 v[106:107], v[100:101], v[90:91], v[104:105] op_sel:[0,0,1] op_sel_hi:[1,1,0] neg_lo:[0,0,1] neg_hi:[0,0,1]
	v_pk_fma_f32 v[100:101], v[100:101], v[90:91], v[104:105] op_sel:[0,0,1] op_sel_hi:[1,0,0]
	v_mov_b32_e32 v107, v101
	v_pk_mul_f32 v[100:101], v[102:103], v[92:93] op_sel:[0,1]
	s_delay_alu instid0(VALU_DEP_1) | instskip(SKIP_1) | instid1(VALU_DEP_1)
	v_pk_fma_f32 v[104:105], v[102:103], v[90:91], v[100:101] op_sel:[0,0,1] op_sel_hi:[1,1,0] neg_lo:[0,0,1] neg_hi:[0,0,1]
	v_pk_fma_f32 v[100:101], v[102:103], v[90:91], v[100:101] op_sel:[0,0,1] op_sel_hi:[1,0,0]
	v_mov_b32_e32 v105, v101
	ds_load_2addr_b64 v[100:103], v94 offset0:33 offset1:34
	v_pk_add_f32 v[28:29], v[28:29], v[106:107] neg_lo:[0,1] neg_hi:[0,1]
	v_pk_add_f32 v[64:65], v[64:65], v[104:105] neg_lo:[0,1] neg_hi:[0,1]
	s_wait_dscnt 0x0
	v_dual_mul_f32 v104, v101, v93 :: v_dual_mul_f32 v106, v101, v90
	s_delay_alu instid0(VALU_DEP_1) | instskip(NEXT) | instid1(VALU_DEP_2)
	v_pk_fma_f32 v[104:105], v[100:101], v[66:67], v[104:105] op_sel_hi:[1,1,0] neg_lo:[0,0,1] neg_hi:[0,0,1]
	v_pk_fma_f32 v[100:101], v[100:101], v[66:67], v[106:107] op_sel:[1,0,0] op_sel_hi:[0,1,0]
	s_delay_alu instid0(VALU_DEP_1) | instskip(SKIP_1) | instid1(VALU_DEP_2)
	v_mov_b32_e32 v105, v101
	v_pk_mul_f32 v[100:101], v[102:103], v[92:93] op_sel:[0,1]
	v_pk_add_f32 v[10:11], v[10:11], v[104:105] neg_lo:[0,1] neg_hi:[0,1]
	s_delay_alu instid0(VALU_DEP_2) | instskip(SKIP_1) | instid1(VALU_DEP_1)
	v_pk_fma_f32 v[104:105], v[102:103], v[90:91], v[100:101] op_sel:[0,0,1] op_sel_hi:[1,1,0] neg_lo:[0,0,1] neg_hi:[0,0,1]
	v_pk_fma_f32 v[100:101], v[102:103], v[90:91], v[100:101] op_sel:[0,0,1] op_sel_hi:[1,0,0]
	v_mov_b32_e32 v105, v101
	ds_load_2addr_b64 v[100:103], v94 offset0:35 offset1:36
	v_pk_add_f32 v[12:13], v[12:13], v[104:105] neg_lo:[0,1] neg_hi:[0,1]
	s_wait_dscnt 0x0
	v_pk_mul_f32 v[104:105], v[100:101], v[92:93] op_sel:[0,1]
	s_delay_alu instid0(VALU_DEP_1) | instskip(SKIP_1) | instid1(VALU_DEP_1)
	v_pk_fma_f32 v[106:107], v[100:101], v[90:91], v[104:105] op_sel:[0,0,1] op_sel_hi:[1,1,0] neg_lo:[0,0,1] neg_hi:[0,0,1]
	v_pk_fma_f32 v[100:101], v[100:101], v[90:91], v[104:105] op_sel:[0,0,1] op_sel_hi:[1,0,0]
	v_mov_b32_e32 v107, v101
	v_pk_mul_f32 v[100:101], v[102:103], v[92:93] op_sel:[0,1]
	s_delay_alu instid0(VALU_DEP_2) | instskip(NEXT) | instid1(VALU_DEP_2)
	v_pk_add_f32 v[8:9], v[8:9], v[106:107] neg_lo:[0,1] neg_hi:[0,1]
	v_pk_fma_f32 v[104:105], v[102:103], v[90:91], v[100:101] op_sel:[0,0,1] op_sel_hi:[1,1,0] neg_lo:[0,0,1] neg_hi:[0,0,1]
	v_pk_fma_f32 v[100:101], v[102:103], v[90:91], v[100:101] op_sel:[0,0,1] op_sel_hi:[1,0,0]
	s_delay_alu instid0(VALU_DEP_1) | instskip(SKIP_4) | instid1(VALU_DEP_1)
	v_mov_b32_e32 v105, v101
	ds_load_2addr_b64 v[100:103], v94 offset0:37 offset1:38
	v_pk_add_f32 v[62:63], v[62:63], v[104:105] neg_lo:[0,1] neg_hi:[0,1]
	s_wait_dscnt 0x0
	v_pk_mul_f32 v[104:105], v[100:101], v[92:93] op_sel:[0,1]
	v_pk_fma_f32 v[106:107], v[100:101], v[90:91], v[104:105] op_sel:[0,0,1] op_sel_hi:[1,1,0] neg_lo:[0,0,1] neg_hi:[0,0,1]
	v_pk_fma_f32 v[100:101], v[100:101], v[90:91], v[104:105] op_sel:[0,0,1] op_sel_hi:[1,0,0]
	v_dual_mul_f32 v104, v103, v93 :: v_dual_mov_b32 v100, v103
	s_delay_alu instid0(VALU_DEP_2) | instskip(NEXT) | instid1(VALU_DEP_2)
	v_dual_mov_b32 v107, v101 :: v_dual_mov_b32 v101, v102
	v_pk_fma_f32 v[104:105], v[102:103], v[66:67], v[104:105] op_sel_hi:[1,1,0] neg_lo:[0,0,1] neg_hi:[0,0,1]
	v_mul_f32_e32 v102, v103, v90
	s_delay_alu instid0(VALU_DEP_3) | instskip(NEXT) | instid1(VALU_DEP_2)
	v_pk_add_f32 v[6:7], v[6:7], v[106:107] neg_lo:[0,1] neg_hi:[0,1]
	v_pk_fma_f32 v[100:101], v[100:101], v[66:67], v[102:103] op_sel_hi:[1,1,0]
	s_delay_alu instid0(VALU_DEP_1) | instskip(SKIP_4) | instid1(VALU_DEP_1)
	v_mov_b32_e32 v105, v101
	ds_load_2addr_b64 v[100:103], v94 offset0:39 offset1:40
	v_pk_add_f32 v[54:55], v[54:55], v[104:105] neg_lo:[0,1] neg_hi:[0,1]
	s_wait_dscnt 0x0
	v_pk_mul_f32 v[104:105], v[100:101], v[92:93] op_sel:[0,1]
	v_pk_fma_f32 v[106:107], v[100:101], v[90:91], v[104:105] op_sel:[0,0,1] op_sel_hi:[1,1,0] neg_lo:[0,0,1] neg_hi:[0,0,1]
	v_pk_fma_f32 v[100:101], v[100:101], v[90:91], v[104:105] op_sel:[0,0,1] op_sel_hi:[1,0,0]
	s_delay_alu instid0(VALU_DEP_1) | instskip(SKIP_1) | instid1(VALU_DEP_1)
	v_mov_b32_e32 v107, v101
	v_pk_mul_f32 v[100:101], v[102:103], v[92:93] op_sel:[0,1]
	v_pk_fma_f32 v[104:105], v[102:103], v[90:91], v[100:101] op_sel:[0,0,1] op_sel_hi:[1,1,0] neg_lo:[0,0,1] neg_hi:[0,0,1]
	v_pk_fma_f32 v[100:101], v[102:103], v[90:91], v[100:101] op_sel:[0,0,1] op_sel_hi:[1,0,0]
	s_delay_alu instid0(VALU_DEP_1)
	v_mov_b32_e32 v105, v101
	ds_load_b64 v[100:101], v94 offset:328
	v_pk_add_f32 v[40:41], v[40:41], v[106:107] neg_lo:[0,1] neg_hi:[0,1]
	v_pk_add_f32 v[24:25], v[24:25], v[104:105] neg_lo:[0,1] neg_hi:[0,1]
	s_wait_dscnt 0x0
	v_pk_mul_f32 v[92:93], v[100:101], v[92:93] op_sel:[0,1]
	s_delay_alu instid0(VALU_DEP_1) | instskip(SKIP_1) | instid1(VALU_DEP_1)
	v_pk_fma_f32 v[102:103], v[100:101], v[90:91], v[92:93] op_sel:[0,0,1] op_sel_hi:[1,1,0] neg_lo:[0,0,1] neg_hi:[0,0,1]
	v_pk_fma_f32 v[90:91], v[100:101], v[90:91], v[92:93] op_sel:[0,0,1] op_sel_hi:[1,0,0]
	v_mov_b32_e32 v103, v91
	s_delay_alu instid0(VALU_DEP_1)
	v_pk_add_f32 v[88:89], v[88:89], v[102:103] neg_lo:[0,1] neg_hi:[0,1]
.LBB82_104:
	s_or_b32 exec_lo, exec_lo, s0
	v_lshl_add_u32 v90, v98, 3, v94
	s_barrier_signal -1
	s_barrier_wait -1
	ds_store_b64 v90, v[16:17]
	s_wait_dscnt 0x0
	s_barrier_signal -1
	s_barrier_wait -1
	ds_load_b64 v[92:93], v94 offset:40
	v_mov_b32_e32 v90, 5
	s_cmp_lt_i32 s18, 7
	s_cbranch_scc1 .LBB82_107
; %bb.105:
	v_add3_u32 v91, v95, 0, 48
	v_mov_b32_e32 v90, 5
	s_mov_b32 s0, 6
.LBB82_106:                             ; =>This Inner Loop Header: Depth=1
	ds_load_b64 v[100:101], v91
	s_wait_dscnt 0x1
	v_cmp_gt_f32_e32 vcc_lo, 0, v92
	v_cndmask_b32_e64 v102, v92, -v92, vcc_lo
	v_cmp_gt_f32_e32 vcc_lo, 0, v93
	v_cndmask_b32_e64 v104, v93, -v93, vcc_lo
	s_wait_dscnt 0x0
	v_cmp_gt_f32_e32 vcc_lo, 0, v100
	v_cndmask_b32_e64 v103, v100, -v100, vcc_lo
	v_cmp_gt_f32_e32 vcc_lo, 0, v101
	v_cndmask_b32_e64 v105, v101, -v101, vcc_lo
	s_delay_alu instid0(VALU_DEP_1) | instskip(NEXT) | instid1(VALU_DEP_1)
	v_pk_add_f32 v[102:103], v[102:103], v[104:105]
	v_cmp_lt_f32_e32 vcc_lo, v102, v103
	v_dual_add_nc_u32 v91, 8, v91 :: v_dual_cndmask_b32 v93, v93, v101, vcc_lo
	v_cndmask_b32_e32 v92, v92, v100, vcc_lo
	v_cndmask_b32_e64 v90, v90, s0, vcc_lo
	s_add_co_i32 s0, s0, 1
	s_delay_alu instid0(SALU_CYCLE_1)
	s_cmp_lg_u32 s18, s0
	s_cbranch_scc1 .LBB82_106
.LBB82_107:
	s_wait_dscnt 0x0
	v_cmp_eq_f32_e32 vcc_lo, 0, v92
	v_cmp_eq_f32_e64 s0, 0, v93
	s_and_b32 s0, vcc_lo, s0
	s_delay_alu instid0(SALU_CYCLE_1) | instskip(NEXT) | instid1(SALU_CYCLE_1)
	s_and_saveexec_b32 s1, s0
	s_xor_b32 s0, exec_lo, s1
; %bb.108:
	v_cmp_ne_u32_e32 vcc_lo, 0, v96
	v_cndmask_b32_e32 v96, 6, v96, vcc_lo
; %bb.109:
	s_and_not1_saveexec_b32 s0, s0
	s_cbranch_execz .LBB82_115
; %bb.110:
	v_cmp_ngt_f32_e64 s1, |v92|, |v93|
	s_and_saveexec_b32 s12, s1
	s_delay_alu instid0(SALU_CYCLE_1)
	s_xor_b32 s1, exec_lo, s12
	s_cbranch_execz .LBB82_112
; %bb.111:
	v_div_scale_f32 v91, null, v93, v93, v92
	v_div_scale_f32 v101, vcc_lo, v92, v93, v92
	s_delay_alu instid0(VALU_DEP_2) | instskip(SKIP_1) | instid1(TRANS32_DEP_1)
	v_rcp_f32_e32 v99, v91
	v_nop
	v_fma_f32 v100, -v91, v99, 1.0
	s_delay_alu instid0(VALU_DEP_1) | instskip(NEXT) | instid1(VALU_DEP_1)
	v_fmac_f32_e32 v99, v100, v99
	v_mul_f32_e32 v100, v101, v99
	s_delay_alu instid0(VALU_DEP_1) | instskip(NEXT) | instid1(VALU_DEP_1)
	v_fma_f32 v102, -v91, v100, v101
	v_fmac_f32_e32 v100, v102, v99
	s_delay_alu instid0(VALU_DEP_1) | instskip(NEXT) | instid1(VALU_DEP_1)
	v_fma_f32 v91, -v91, v100, v101
	v_div_fmas_f32 v91, v91, v99, v100
	s_delay_alu instid0(VALU_DEP_1) | instskip(NEXT) | instid1(VALU_DEP_1)
	v_div_fixup_f32 v91, v91, v93, v92
	v_fmac_f32_e32 v93, v92, v91
	s_delay_alu instid0(VALU_DEP_1) | instskip(SKIP_1) | instid1(VALU_DEP_2)
	v_div_scale_f32 v92, null, v93, v93, 1.0
	v_div_scale_f32 v101, vcc_lo, 1.0, v93, 1.0
	v_rcp_f32_e32 v99, v92
	v_nop
	s_delay_alu instid0(TRANS32_DEP_1) | instskip(NEXT) | instid1(VALU_DEP_1)
	v_fma_f32 v100, -v92, v99, 1.0
	v_fmac_f32_e32 v99, v100, v99
	s_delay_alu instid0(VALU_DEP_1) | instskip(NEXT) | instid1(VALU_DEP_1)
	v_mul_f32_e32 v100, v101, v99
	v_fma_f32 v102, -v92, v100, v101
	s_delay_alu instid0(VALU_DEP_1) | instskip(NEXT) | instid1(VALU_DEP_1)
	v_fmac_f32_e32 v100, v102, v99
	v_fma_f32 v92, -v92, v100, v101
	s_delay_alu instid0(VALU_DEP_1) | instskip(NEXT) | instid1(VALU_DEP_1)
	v_div_fmas_f32 v92, v92, v99, v100
	v_div_fixup_f32 v93, v92, v93, 1.0
	s_delay_alu instid0(VALU_DEP_1)
	v_mul_f32_e32 v92, v91, v93
	v_xor_b32_e32 v93, 0x80000000, v93
.LBB82_112:
	s_and_not1_saveexec_b32 s1, s1
	s_cbranch_execz .LBB82_114
; %bb.113:
	s_delay_alu instid0(VALU_DEP_1) | instskip(SKIP_1) | instid1(VALU_DEP_2)
	v_div_scale_f32 v91, null, v92, v92, v93
	v_div_scale_f32 v101, vcc_lo, v93, v92, v93
	v_rcp_f32_e32 v99, v91
	v_nop
	s_delay_alu instid0(TRANS32_DEP_1) | instskip(NEXT) | instid1(VALU_DEP_1)
	v_fma_f32 v100, -v91, v99, 1.0
	v_fmac_f32_e32 v99, v100, v99
	s_delay_alu instid0(VALU_DEP_1) | instskip(NEXT) | instid1(VALU_DEP_1)
	v_mul_f32_e32 v100, v101, v99
	v_fma_f32 v102, -v91, v100, v101
	s_delay_alu instid0(VALU_DEP_1) | instskip(NEXT) | instid1(VALU_DEP_1)
	v_fmac_f32_e32 v100, v102, v99
	v_fma_f32 v91, -v91, v100, v101
	s_delay_alu instid0(VALU_DEP_1) | instskip(NEXT) | instid1(VALU_DEP_1)
	v_div_fmas_f32 v91, v91, v99, v100
	v_div_fixup_f32 v91, v91, v92, v93
	s_delay_alu instid0(VALU_DEP_1) | instskip(NEXT) | instid1(VALU_DEP_1)
	v_fmac_f32_e32 v92, v93, v91
	v_div_scale_f32 v93, null, v92, v92, 1.0
	s_delay_alu instid0(VALU_DEP_1) | instskip(SKIP_1) | instid1(TRANS32_DEP_1)
	v_rcp_f32_e32 v99, v93
	v_nop
	v_fma_f32 v100, -v93, v99, 1.0
	s_delay_alu instid0(VALU_DEP_1) | instskip(SKIP_1) | instid1(VALU_DEP_1)
	v_fmac_f32_e32 v99, v100, v99
	v_div_scale_f32 v100, vcc_lo, 1.0, v92, 1.0
	v_mul_f32_e32 v101, v100, v99
	s_delay_alu instid0(VALU_DEP_1) | instskip(NEXT) | instid1(VALU_DEP_1)
	v_fma_f32 v102, -v93, v101, v100
	v_fmac_f32_e32 v101, v102, v99
	s_delay_alu instid0(VALU_DEP_1) | instskip(NEXT) | instid1(VALU_DEP_1)
	v_fma_f32 v93, -v93, v101, v100
	v_div_fmas_f32 v93, v93, v99, v101
	s_delay_alu instid0(VALU_DEP_1) | instskip(NEXT) | instid1(VALU_DEP_1)
	v_div_fixup_f32 v92, v93, v92, 1.0
	v_mul_f32_e64 v93, v91, -v92
.LBB82_114:
	s_or_b32 exec_lo, exec_lo, s1
.LBB82_115:
	s_delay_alu instid0(SALU_CYCLE_1) | instskip(NEXT) | instid1(SALU_CYCLE_1)
	s_or_b32 exec_lo, exec_lo, s0
	s_mov_b32 s0, exec_lo
	v_cmpx_ne_u32_e64 v98, v90
	s_xor_b32 s0, exec_lo, s0
	s_cbranch_execz .LBB82_121
; %bb.116:
	s_mov_b32 s1, exec_lo
	v_cmpx_eq_u32_e32 5, v98
	s_cbranch_execz .LBB82_120
; %bb.117:
	v_cmp_ne_u32_e32 vcc_lo, 5, v90
	s_xor_b32 s12, s16, -1
	s_delay_alu instid0(SALU_CYCLE_1) | instskip(NEXT) | instid1(SALU_CYCLE_1)
	s_and_b32 s13, s12, vcc_lo
	s_and_saveexec_b32 s12, s13
	s_cbranch_execz .LBB82_119
; %bb.118:
	v_ashrrev_i32_e32 v91, 31, v90
	s_delay_alu instid0(VALU_DEP_1)
	v_lshl_add_u64 v[98:99], v[90:91], 2, v[4:5]
	s_clause 0x1
	global_load_b32 v91, v[98:99], off
	global_load_b32 v97, v[4:5], off offset:20
	s_wait_loadcnt 0x1
	global_store_b32 v[4:5], v91, off offset:20
	s_wait_loadcnt 0x0
	global_store_b32 v[98:99], v97, off
.LBB82_119:
	s_wait_xcnt 0x0
	s_or_b32 exec_lo, exec_lo, s12
	v_dual_mov_b32 v98, v90 :: v_dual_mov_b32 v97, v90
.LBB82_120:
	s_or_b32 exec_lo, exec_lo, s1
.LBB82_121:
	s_and_not1_saveexec_b32 s0, s0
	s_cbranch_execz .LBB82_123
; %bb.122:
	v_dual_mov_b32 v90, v18 :: v_dual_mov_b32 v91, v19
	v_dual_mov_b32 v98, v14 :: v_dual_mov_b32 v99, v15
	ds_store_2addr_b64 v94, v[90:91], v[98:99] offset0:6 offset1:7
	v_dual_mov_b32 v90, v68 :: v_dual_mov_b32 v91, v69
	v_dual_mov_b32 v98, v22 :: v_dual_mov_b32 v99, v23
	ds_store_2addr_b64 v94, v[90:91], v[98:99] offset0:8 offset1:9
	;; [unrolled: 3-line block ×17, first 2 shown]
	v_dual_mov_b32 v90, v24 :: v_dual_mov_b32 v91, v25
	v_mov_b32_e32 v98, 5
	ds_store_2addr_b64 v94, v[90:91], v[88:89] offset0:40 offset1:41
.LBB82_123:
	s_or_b32 exec_lo, exec_lo, s0
	s_delay_alu instid0(SALU_CYCLE_1)
	s_mov_b32 s0, exec_lo
	s_wait_storecnt_dscnt 0x0
	s_barrier_signal -1
	s_barrier_wait -1
	v_cmpx_lt_i32_e32 5, v98
	s_cbranch_execz .LBB82_125
; %bb.124:
	v_pk_mul_f32 v[100:101], v[92:93], v[16:17] op_sel:[1,1] op_sel_hi:[0,1]
	s_delay_alu instid0(VALU_DEP_1)
	v_pk_fma_f32 v[90:91], v[92:93], v[16:17], v[100:101] op_sel_hi:[1,0,1] neg_lo:[0,0,1] neg_hi:[0,0,1]
	v_pk_fma_f32 v[92:93], v[92:93], v[16:17], v[100:101] op_sel_hi:[1,0,1]
	ds_load_2addr_b64 v[100:103], v94 offset0:6 offset1:7
	v_dual_mov_b32 v16, v90 :: v_dual_mov_b32 v17, v93
	s_wait_dscnt 0x0
	v_pk_mul_f32 v[104:105], v[100:101], v[92:93] op_sel:[0,1]
	s_delay_alu instid0(VALU_DEP_1) | instskip(SKIP_1) | instid1(VALU_DEP_1)
	v_pk_fma_f32 v[106:107], v[100:101], v[90:91], v[104:105] op_sel:[0,0,1] op_sel_hi:[1,1,0] neg_lo:[0,0,1] neg_hi:[0,0,1]
	v_pk_fma_f32 v[100:101], v[100:101], v[90:91], v[104:105] op_sel:[0,0,1] op_sel_hi:[1,0,0]
	v_mov_b32_e32 v107, v101
	v_pk_mul_f32 v[100:101], v[102:103], v[92:93] op_sel:[0,1]
	s_delay_alu instid0(VALU_DEP_1) | instskip(SKIP_1) | instid1(VALU_DEP_1)
	v_pk_fma_f32 v[104:105], v[102:103], v[90:91], v[100:101] op_sel:[0,0,1] op_sel_hi:[1,1,0] neg_lo:[0,0,1] neg_hi:[0,0,1]
	v_pk_fma_f32 v[100:101], v[102:103], v[90:91], v[100:101] op_sel:[0,0,1] op_sel_hi:[1,0,0]
	v_mov_b32_e32 v105, v101
	ds_load_2addr_b64 v[100:103], v94 offset0:8 offset1:9
	v_pk_add_f32 v[18:19], v[18:19], v[106:107] neg_lo:[0,1] neg_hi:[0,1]
	v_pk_add_f32 v[14:15], v[14:15], v[104:105] neg_lo:[0,1] neg_hi:[0,1]
	s_wait_dscnt 0x0
	v_pk_mul_f32 v[104:105], v[100:101], v[92:93] op_sel:[0,1]
	s_delay_alu instid0(VALU_DEP_1) | instskip(SKIP_2) | instid1(VALU_DEP_2)
	v_pk_fma_f32 v[106:107], v[100:101], v[90:91], v[104:105] op_sel:[0,0,1] op_sel_hi:[1,1,0] neg_lo:[0,0,1] neg_hi:[0,0,1]
	v_pk_fma_f32 v[100:101], v[100:101], v[90:91], v[104:105] op_sel:[0,0,1] op_sel_hi:[1,0,0]
	v_dual_mul_f32 v104, v103, v93 :: v_dual_mov_b32 v100, v103
	v_dual_mov_b32 v107, v101 :: v_dual_mov_b32 v101, v102
	s_delay_alu instid0(VALU_DEP_2) | instskip(SKIP_1) | instid1(VALU_DEP_3)
	v_pk_fma_f32 v[104:105], v[102:103], v[16:17], v[104:105] op_sel_hi:[1,1,0] neg_lo:[0,0,1] neg_hi:[0,0,1]
	v_mul_f32_e32 v102, v103, v90
	v_pk_add_f32 v[68:69], v[68:69], v[106:107] neg_lo:[0,1] neg_hi:[0,1]
	s_delay_alu instid0(VALU_DEP_2) | instskip(NEXT) | instid1(VALU_DEP_1)
	v_pk_fma_f32 v[100:101], v[100:101], v[16:17], v[102:103] op_sel_hi:[1,1,0]
	v_mov_b32_e32 v105, v101
	ds_load_2addr_b64 v[100:103], v94 offset0:10 offset1:11
	v_pk_add_f32 v[22:23], v[22:23], v[104:105] neg_lo:[0,1] neg_hi:[0,1]
	s_wait_dscnt 0x0
	v_pk_mul_f32 v[104:105], v[100:101], v[92:93] op_sel:[0,1]
	s_delay_alu instid0(VALU_DEP_1) | instskip(SKIP_1) | instid1(VALU_DEP_1)
	v_pk_fma_f32 v[106:107], v[100:101], v[90:91], v[104:105] op_sel:[0,0,1] op_sel_hi:[1,1,0] neg_lo:[0,0,1] neg_hi:[0,0,1]
	v_pk_fma_f32 v[100:101], v[100:101], v[90:91], v[104:105] op_sel:[0,0,1] op_sel_hi:[1,0,0]
	v_mov_b32_e32 v107, v101
	v_pk_mul_f32 v[100:101], v[102:103], v[92:93] op_sel:[0,1]
	s_delay_alu instid0(VALU_DEP_1) | instskip(SKIP_1) | instid1(VALU_DEP_1)
	v_pk_fma_f32 v[104:105], v[102:103], v[90:91], v[100:101] op_sel:[0,0,1] op_sel_hi:[1,1,0] neg_lo:[0,0,1] neg_hi:[0,0,1]
	v_pk_fma_f32 v[100:101], v[102:103], v[90:91], v[100:101] op_sel:[0,0,1] op_sel_hi:[1,0,0]
	v_mov_b32_e32 v105, v101
	ds_load_2addr_b64 v[100:103], v94 offset0:12 offset1:13
	v_pk_add_f32 v[26:27], v[26:27], v[106:107] neg_lo:[0,1] neg_hi:[0,1]
	v_pk_add_f32 v[20:21], v[20:21], v[104:105] neg_lo:[0,1] neg_hi:[0,1]
	s_wait_dscnt 0x0
	v_pk_mul_f32 v[104:105], v[100:101], v[92:93] op_sel:[0,1]
	s_delay_alu instid0(VALU_DEP_1) | instskip(SKIP_1) | instid1(VALU_DEP_1)
	v_pk_fma_f32 v[106:107], v[100:101], v[90:91], v[104:105] op_sel:[0,0,1] op_sel_hi:[1,1,0] neg_lo:[0,0,1] neg_hi:[0,0,1]
	v_pk_fma_f32 v[100:101], v[100:101], v[90:91], v[104:105] op_sel:[0,0,1] op_sel_hi:[1,0,0]
	v_mov_b32_e32 v107, v101
	v_pk_mul_f32 v[100:101], v[102:103], v[92:93] op_sel:[0,1]
	s_delay_alu instid0(VALU_DEP_1) | instskip(SKIP_1) | instid1(VALU_DEP_1)
	v_pk_fma_f32 v[104:105], v[102:103], v[90:91], v[100:101] op_sel:[0,0,1] op_sel_hi:[1,1,0] neg_lo:[0,0,1] neg_hi:[0,0,1]
	v_pk_fma_f32 v[100:101], v[102:103], v[90:91], v[100:101] op_sel:[0,0,1] op_sel_hi:[1,0,0]
	v_mov_b32_e32 v105, v101
	ds_load_2addr_b64 v[100:103], v94 offset0:14 offset1:15
	v_pk_add_f32 v[78:79], v[78:79], v[106:107] neg_lo:[0,1] neg_hi:[0,1]
	v_pk_add_f32 v[58:59], v[58:59], v[104:105] neg_lo:[0,1] neg_hi:[0,1]
	s_wait_dscnt 0x0
	v_dual_mul_f32 v104, v101, v93 :: v_dual_mul_f32 v106, v101, v90
	s_delay_alu instid0(VALU_DEP_1) | instskip(NEXT) | instid1(VALU_DEP_2)
	v_pk_fma_f32 v[104:105], v[100:101], v[16:17], v[104:105] op_sel_hi:[1,1,0] neg_lo:[0,0,1] neg_hi:[0,0,1]
	v_pk_fma_f32 v[100:101], v[100:101], v[16:17], v[106:107] op_sel:[1,0,0] op_sel_hi:[0,1,0]
	s_delay_alu instid0(VALU_DEP_1) | instskip(SKIP_1) | instid1(VALU_DEP_2)
	v_mov_b32_e32 v105, v101
	v_pk_mul_f32 v[100:101], v[102:103], v[92:93] op_sel:[0,1]
	v_pk_add_f32 v[60:61], v[60:61], v[104:105] neg_lo:[0,1] neg_hi:[0,1]
	s_delay_alu instid0(VALU_DEP_2) | instskip(SKIP_1) | instid1(VALU_DEP_1)
	v_pk_fma_f32 v[104:105], v[102:103], v[90:91], v[100:101] op_sel:[0,0,1] op_sel_hi:[1,1,0] neg_lo:[0,0,1] neg_hi:[0,0,1]
	v_pk_fma_f32 v[100:101], v[102:103], v[90:91], v[100:101] op_sel:[0,0,1] op_sel_hi:[1,0,0]
	v_mov_b32_e32 v105, v101
	ds_load_2addr_b64 v[100:103], v94 offset0:16 offset1:17
	v_pk_add_f32 v[56:57], v[56:57], v[104:105] neg_lo:[0,1] neg_hi:[0,1]
	s_wait_dscnt 0x0
	v_pk_mul_f32 v[104:105], v[100:101], v[92:93] op_sel:[0,1]
	s_delay_alu instid0(VALU_DEP_1) | instskip(SKIP_1) | instid1(VALU_DEP_1)
	v_pk_fma_f32 v[106:107], v[100:101], v[90:91], v[104:105] op_sel:[0,0,1] op_sel_hi:[1,1,0] neg_lo:[0,0,1] neg_hi:[0,0,1]
	v_pk_fma_f32 v[100:101], v[100:101], v[90:91], v[104:105] op_sel:[0,0,1] op_sel_hi:[1,0,0]
	v_mov_b32_e32 v107, v101
	v_pk_mul_f32 v[100:101], v[102:103], v[92:93] op_sel:[0,1]
	s_delay_alu instid0(VALU_DEP_2) | instskip(NEXT) | instid1(VALU_DEP_2)
	v_pk_add_f32 v[76:77], v[76:77], v[106:107] neg_lo:[0,1] neg_hi:[0,1]
	v_pk_fma_f32 v[104:105], v[102:103], v[90:91], v[100:101] op_sel:[0,0,1] op_sel_hi:[1,1,0] neg_lo:[0,0,1] neg_hi:[0,0,1]
	v_pk_fma_f32 v[100:101], v[102:103], v[90:91], v[100:101] op_sel:[0,0,1] op_sel_hi:[1,0,0]
	s_delay_alu instid0(VALU_DEP_1) | instskip(SKIP_4) | instid1(VALU_DEP_1)
	v_mov_b32_e32 v105, v101
	ds_load_2addr_b64 v[100:103], v94 offset0:18 offset1:19
	v_pk_add_f32 v[50:51], v[50:51], v[104:105] neg_lo:[0,1] neg_hi:[0,1]
	s_wait_dscnt 0x0
	v_pk_mul_f32 v[104:105], v[100:101], v[92:93] op_sel:[0,1]
	v_pk_fma_f32 v[106:107], v[100:101], v[90:91], v[104:105] op_sel:[0,0,1] op_sel_hi:[1,1,0] neg_lo:[0,0,1] neg_hi:[0,0,1]
	v_pk_fma_f32 v[100:101], v[100:101], v[90:91], v[104:105] op_sel:[0,0,1] op_sel_hi:[1,0,0]
	v_dual_mul_f32 v104, v103, v93 :: v_dual_mov_b32 v100, v103
	s_delay_alu instid0(VALU_DEP_2) | instskip(NEXT) | instid1(VALU_DEP_2)
	v_dual_mov_b32 v107, v101 :: v_dual_mov_b32 v101, v102
	v_pk_fma_f32 v[104:105], v[102:103], v[16:17], v[104:105] op_sel_hi:[1,1,0] neg_lo:[0,0,1] neg_hi:[0,0,1]
	v_mul_f32_e32 v102, v103, v90
	s_delay_alu instid0(VALU_DEP_3) | instskip(NEXT) | instid1(VALU_DEP_2)
	v_pk_add_f32 v[52:53], v[52:53], v[106:107] neg_lo:[0,1] neg_hi:[0,1]
	v_pk_fma_f32 v[100:101], v[100:101], v[16:17], v[102:103] op_sel_hi:[1,1,0]
	s_delay_alu instid0(VALU_DEP_1) | instskip(SKIP_4) | instid1(VALU_DEP_1)
	v_mov_b32_e32 v105, v101
	ds_load_2addr_b64 v[100:103], v94 offset0:20 offset1:21
	v_pk_add_f32 v[48:49], v[48:49], v[104:105] neg_lo:[0,1] neg_hi:[0,1]
	s_wait_dscnt 0x0
	v_pk_mul_f32 v[104:105], v[100:101], v[92:93] op_sel:[0,1]
	v_pk_fma_f32 v[106:107], v[100:101], v[90:91], v[104:105] op_sel:[0,0,1] op_sel_hi:[1,1,0] neg_lo:[0,0,1] neg_hi:[0,0,1]
	v_pk_fma_f32 v[100:101], v[100:101], v[90:91], v[104:105] op_sel:[0,0,1] op_sel_hi:[1,0,0]
	s_delay_alu instid0(VALU_DEP_1) | instskip(SKIP_1) | instid1(VALU_DEP_1)
	v_mov_b32_e32 v107, v101
	v_pk_mul_f32 v[100:101], v[102:103], v[92:93] op_sel:[0,1]
	v_pk_fma_f32 v[104:105], v[102:103], v[90:91], v[100:101] op_sel:[0,0,1] op_sel_hi:[1,1,0] neg_lo:[0,0,1] neg_hi:[0,0,1]
	v_pk_fma_f32 v[100:101], v[102:103], v[90:91], v[100:101] op_sel:[0,0,1] op_sel_hi:[1,0,0]
	s_delay_alu instid0(VALU_DEP_1)
	v_mov_b32_e32 v105, v101
	ds_load_2addr_b64 v[100:103], v94 offset0:22 offset1:23
	v_pk_add_f32 v[74:75], v[74:75], v[106:107] neg_lo:[0,1] neg_hi:[0,1]
	v_pk_add_f32 v[44:45], v[44:45], v[104:105] neg_lo:[0,1] neg_hi:[0,1]
	s_wait_dscnt 0x0
	v_pk_mul_f32 v[104:105], v[100:101], v[92:93] op_sel:[0,1]
	s_delay_alu instid0(VALU_DEP_1) | instskip(SKIP_1) | instid1(VALU_DEP_1)
	v_pk_fma_f32 v[106:107], v[100:101], v[90:91], v[104:105] op_sel:[0,0,1] op_sel_hi:[1,1,0] neg_lo:[0,0,1] neg_hi:[0,0,1]
	v_pk_fma_f32 v[100:101], v[100:101], v[90:91], v[104:105] op_sel:[0,0,1] op_sel_hi:[1,0,0]
	v_mov_b32_e32 v107, v101
	v_pk_mul_f32 v[100:101], v[102:103], v[92:93] op_sel:[0,1]
	s_delay_alu instid0(VALU_DEP_1) | instskip(SKIP_1) | instid1(VALU_DEP_1)
	v_pk_fma_f32 v[104:105], v[102:103], v[90:91], v[100:101] op_sel:[0,0,1] op_sel_hi:[1,1,0] neg_lo:[0,0,1] neg_hi:[0,0,1]
	v_pk_fma_f32 v[100:101], v[102:103], v[90:91], v[100:101] op_sel:[0,0,1] op_sel_hi:[1,0,0]
	v_mov_b32_e32 v105, v101
	ds_load_2addr_b64 v[100:103], v94 offset0:24 offset1:25
	v_pk_add_f32 v[46:47], v[46:47], v[106:107] neg_lo:[0,1] neg_hi:[0,1]
	v_pk_add_f32 v[42:43], v[42:43], v[104:105] neg_lo:[0,1] neg_hi:[0,1]
	s_wait_dscnt 0x0
	v_dual_mul_f32 v104, v101, v93 :: v_dual_mul_f32 v106, v101, v90
	s_delay_alu instid0(VALU_DEP_1) | instskip(NEXT) | instid1(VALU_DEP_2)
	v_pk_fma_f32 v[104:105], v[100:101], v[16:17], v[104:105] op_sel_hi:[1,1,0] neg_lo:[0,0,1] neg_hi:[0,0,1]
	v_pk_fma_f32 v[100:101], v[100:101], v[16:17], v[106:107] op_sel:[1,0,0] op_sel_hi:[0,1,0]
	s_delay_alu instid0(VALU_DEP_1) | instskip(SKIP_1) | instid1(VALU_DEP_2)
	v_mov_b32_e32 v105, v101
	v_pk_mul_f32 v[100:101], v[102:103], v[92:93] op_sel:[0,1]
	v_pk_add_f32 v[72:73], v[72:73], v[104:105] neg_lo:[0,1] neg_hi:[0,1]
	s_delay_alu instid0(VALU_DEP_2) | instskip(SKIP_1) | instid1(VALU_DEP_1)
	v_pk_fma_f32 v[104:105], v[102:103], v[90:91], v[100:101] op_sel:[0,0,1] op_sel_hi:[1,1,0] neg_lo:[0,0,1] neg_hi:[0,0,1]
	v_pk_fma_f32 v[100:101], v[102:103], v[90:91], v[100:101] op_sel:[0,0,1] op_sel_hi:[1,0,0]
	v_mov_b32_e32 v105, v101
	ds_load_2addr_b64 v[100:103], v94 offset0:26 offset1:27
	v_pk_add_f32 v[36:37], v[36:37], v[104:105] neg_lo:[0,1] neg_hi:[0,1]
	s_wait_dscnt 0x0
	v_pk_mul_f32 v[104:105], v[100:101], v[92:93] op_sel:[0,1]
	s_delay_alu instid0(VALU_DEP_1) | instskip(SKIP_1) | instid1(VALU_DEP_1)
	v_pk_fma_f32 v[106:107], v[100:101], v[90:91], v[104:105] op_sel:[0,0,1] op_sel_hi:[1,1,0] neg_lo:[0,0,1] neg_hi:[0,0,1]
	v_pk_fma_f32 v[100:101], v[100:101], v[90:91], v[104:105] op_sel:[0,0,1] op_sel_hi:[1,0,0]
	v_mov_b32_e32 v107, v101
	v_pk_mul_f32 v[100:101], v[102:103], v[92:93] op_sel:[0,1]
	s_delay_alu instid0(VALU_DEP_2) | instskip(NEXT) | instid1(VALU_DEP_2)
	v_pk_add_f32 v[38:39], v[38:39], v[106:107] neg_lo:[0,1] neg_hi:[0,1]
	v_pk_fma_f32 v[104:105], v[102:103], v[90:91], v[100:101] op_sel:[0,0,1] op_sel_hi:[1,1,0] neg_lo:[0,0,1] neg_hi:[0,0,1]
	v_pk_fma_f32 v[100:101], v[102:103], v[90:91], v[100:101] op_sel:[0,0,1] op_sel_hi:[1,0,0]
	s_delay_alu instid0(VALU_DEP_1) | instskip(SKIP_4) | instid1(VALU_DEP_1)
	v_mov_b32_e32 v105, v101
	ds_load_2addr_b64 v[100:103], v94 offset0:28 offset1:29
	v_pk_add_f32 v[34:35], v[34:35], v[104:105] neg_lo:[0,1] neg_hi:[0,1]
	s_wait_dscnt 0x0
	v_pk_mul_f32 v[104:105], v[100:101], v[92:93] op_sel:[0,1]
	v_pk_fma_f32 v[106:107], v[100:101], v[90:91], v[104:105] op_sel:[0,0,1] op_sel_hi:[1,1,0] neg_lo:[0,0,1] neg_hi:[0,0,1]
	v_pk_fma_f32 v[100:101], v[100:101], v[90:91], v[104:105] op_sel:[0,0,1] op_sel_hi:[1,0,0]
	v_dual_mul_f32 v104, v103, v93 :: v_dual_mov_b32 v100, v103
	s_delay_alu instid0(VALU_DEP_2) | instskip(NEXT) | instid1(VALU_DEP_2)
	v_dual_mov_b32 v107, v101 :: v_dual_mov_b32 v101, v102
	v_pk_fma_f32 v[104:105], v[102:103], v[16:17], v[104:105] op_sel_hi:[1,1,0] neg_lo:[0,0,1] neg_hi:[0,0,1]
	v_mul_f32_e32 v102, v103, v90
	s_delay_alu instid0(VALU_DEP_3) | instskip(NEXT) | instid1(VALU_DEP_2)
	v_pk_add_f32 v[70:71], v[70:71], v[106:107] neg_lo:[0,1] neg_hi:[0,1]
	v_pk_fma_f32 v[100:101], v[100:101], v[16:17], v[102:103] op_sel_hi:[1,1,0]
	s_delay_alu instid0(VALU_DEP_1) | instskip(SKIP_4) | instid1(VALU_DEP_1)
	v_mov_b32_e32 v105, v101
	ds_load_2addr_b64 v[100:103], v94 offset0:30 offset1:31
	v_pk_add_f32 v[30:31], v[30:31], v[104:105] neg_lo:[0,1] neg_hi:[0,1]
	s_wait_dscnt 0x0
	v_pk_mul_f32 v[104:105], v[100:101], v[92:93] op_sel:[0,1]
	v_pk_fma_f32 v[106:107], v[100:101], v[90:91], v[104:105] op_sel:[0,0,1] op_sel_hi:[1,1,0] neg_lo:[0,0,1] neg_hi:[0,0,1]
	v_pk_fma_f32 v[100:101], v[100:101], v[90:91], v[104:105] op_sel:[0,0,1] op_sel_hi:[1,0,0]
	s_delay_alu instid0(VALU_DEP_1) | instskip(SKIP_1) | instid1(VALU_DEP_1)
	v_mov_b32_e32 v107, v101
	v_pk_mul_f32 v[100:101], v[102:103], v[92:93] op_sel:[0,1]
	v_pk_fma_f32 v[104:105], v[102:103], v[90:91], v[100:101] op_sel:[0,0,1] op_sel_hi:[1,1,0] neg_lo:[0,0,1] neg_hi:[0,0,1]
	v_pk_fma_f32 v[100:101], v[102:103], v[90:91], v[100:101] op_sel:[0,0,1] op_sel_hi:[1,0,0]
	s_delay_alu instid0(VALU_DEP_1)
	v_mov_b32_e32 v105, v101
	ds_load_2addr_b64 v[100:103], v94 offset0:32 offset1:33
	v_pk_add_f32 v[32:33], v[32:33], v[106:107] neg_lo:[0,1] neg_hi:[0,1]
	v_pk_add_f32 v[28:29], v[28:29], v[104:105] neg_lo:[0,1] neg_hi:[0,1]
	s_wait_dscnt 0x0
	v_pk_mul_f32 v[104:105], v[100:101], v[92:93] op_sel:[0,1]
	s_delay_alu instid0(VALU_DEP_1) | instskip(SKIP_1) | instid1(VALU_DEP_1)
	v_pk_fma_f32 v[106:107], v[100:101], v[90:91], v[104:105] op_sel:[0,0,1] op_sel_hi:[1,1,0] neg_lo:[0,0,1] neg_hi:[0,0,1]
	v_pk_fma_f32 v[100:101], v[100:101], v[90:91], v[104:105] op_sel:[0,0,1] op_sel_hi:[1,0,0]
	v_mov_b32_e32 v107, v101
	v_pk_mul_f32 v[100:101], v[102:103], v[92:93] op_sel:[0,1]
	s_delay_alu instid0(VALU_DEP_1) | instskip(SKIP_1) | instid1(VALU_DEP_1)
	v_pk_fma_f32 v[104:105], v[102:103], v[90:91], v[100:101] op_sel:[0,0,1] op_sel_hi:[1,1,0] neg_lo:[0,0,1] neg_hi:[0,0,1]
	v_pk_fma_f32 v[100:101], v[102:103], v[90:91], v[100:101] op_sel:[0,0,1] op_sel_hi:[1,0,0]
	v_mov_b32_e32 v105, v101
	ds_load_2addr_b64 v[100:103], v94 offset0:34 offset1:35
	v_pk_add_f32 v[64:65], v[64:65], v[106:107] neg_lo:[0,1] neg_hi:[0,1]
	v_pk_add_f32 v[10:11], v[10:11], v[104:105] neg_lo:[0,1] neg_hi:[0,1]
	s_wait_dscnt 0x0
	v_dual_mul_f32 v104, v101, v93 :: v_dual_mul_f32 v106, v101, v90
	s_delay_alu instid0(VALU_DEP_1) | instskip(NEXT) | instid1(VALU_DEP_2)
	v_pk_fma_f32 v[104:105], v[100:101], v[16:17], v[104:105] op_sel_hi:[1,1,0] neg_lo:[0,0,1] neg_hi:[0,0,1]
	v_pk_fma_f32 v[100:101], v[100:101], v[16:17], v[106:107] op_sel:[1,0,0] op_sel_hi:[0,1,0]
	s_delay_alu instid0(VALU_DEP_1) | instskip(SKIP_1) | instid1(VALU_DEP_2)
	v_mov_b32_e32 v105, v101
	v_pk_mul_f32 v[100:101], v[102:103], v[92:93] op_sel:[0,1]
	v_pk_add_f32 v[12:13], v[12:13], v[104:105] neg_lo:[0,1] neg_hi:[0,1]
	s_delay_alu instid0(VALU_DEP_2) | instskip(SKIP_1) | instid1(VALU_DEP_1)
	v_pk_fma_f32 v[104:105], v[102:103], v[90:91], v[100:101] op_sel:[0,0,1] op_sel_hi:[1,1,0] neg_lo:[0,0,1] neg_hi:[0,0,1]
	v_pk_fma_f32 v[100:101], v[102:103], v[90:91], v[100:101] op_sel:[0,0,1] op_sel_hi:[1,0,0]
	v_mov_b32_e32 v105, v101
	ds_load_2addr_b64 v[100:103], v94 offset0:36 offset1:37
	v_pk_add_f32 v[8:9], v[8:9], v[104:105] neg_lo:[0,1] neg_hi:[0,1]
	s_wait_dscnt 0x0
	v_pk_mul_f32 v[104:105], v[100:101], v[92:93] op_sel:[0,1]
	s_delay_alu instid0(VALU_DEP_1) | instskip(SKIP_1) | instid1(VALU_DEP_1)
	v_pk_fma_f32 v[106:107], v[100:101], v[90:91], v[104:105] op_sel:[0,0,1] op_sel_hi:[1,1,0] neg_lo:[0,0,1] neg_hi:[0,0,1]
	v_pk_fma_f32 v[100:101], v[100:101], v[90:91], v[104:105] op_sel:[0,0,1] op_sel_hi:[1,0,0]
	v_mov_b32_e32 v107, v101
	v_pk_mul_f32 v[100:101], v[102:103], v[92:93] op_sel:[0,1]
	s_delay_alu instid0(VALU_DEP_2) | instskip(NEXT) | instid1(VALU_DEP_2)
	v_pk_add_f32 v[62:63], v[62:63], v[106:107] neg_lo:[0,1] neg_hi:[0,1]
	v_pk_fma_f32 v[104:105], v[102:103], v[90:91], v[100:101] op_sel:[0,0,1] op_sel_hi:[1,1,0] neg_lo:[0,0,1] neg_hi:[0,0,1]
	v_pk_fma_f32 v[100:101], v[102:103], v[90:91], v[100:101] op_sel:[0,0,1] op_sel_hi:[1,0,0]
	s_delay_alu instid0(VALU_DEP_1) | instskip(SKIP_4) | instid1(VALU_DEP_1)
	v_mov_b32_e32 v105, v101
	ds_load_2addr_b64 v[100:103], v94 offset0:38 offset1:39
	v_pk_add_f32 v[6:7], v[6:7], v[104:105] neg_lo:[0,1] neg_hi:[0,1]
	s_wait_dscnt 0x0
	v_pk_mul_f32 v[104:105], v[100:101], v[92:93] op_sel:[0,1]
	v_pk_fma_f32 v[106:107], v[100:101], v[90:91], v[104:105] op_sel:[0,0,1] op_sel_hi:[1,1,0] neg_lo:[0,0,1] neg_hi:[0,0,1]
	v_pk_fma_f32 v[100:101], v[100:101], v[90:91], v[104:105] op_sel:[0,0,1] op_sel_hi:[1,0,0]
	v_dual_mul_f32 v104, v103, v93 :: v_dual_mov_b32 v100, v103
	s_delay_alu instid0(VALU_DEP_2) | instskip(NEXT) | instid1(VALU_DEP_2)
	v_dual_mov_b32 v107, v101 :: v_dual_mov_b32 v101, v102
	v_pk_fma_f32 v[104:105], v[102:103], v[16:17], v[104:105] op_sel_hi:[1,1,0] neg_lo:[0,0,1] neg_hi:[0,0,1]
	v_mul_f32_e32 v102, v103, v90
	s_delay_alu instid0(VALU_DEP_3) | instskip(NEXT) | instid1(VALU_DEP_2)
	v_pk_add_f32 v[54:55], v[54:55], v[106:107] neg_lo:[0,1] neg_hi:[0,1]
	v_pk_fma_f32 v[100:101], v[100:101], v[16:17], v[102:103] op_sel_hi:[1,1,0]
	s_delay_alu instid0(VALU_DEP_1)
	v_mov_b32_e32 v105, v101
	ds_load_2addr_b64 v[100:103], v94 offset0:40 offset1:41
	v_pk_add_f32 v[40:41], v[40:41], v[104:105] neg_lo:[0,1] neg_hi:[0,1]
	s_wait_dscnt 0x0
	v_pk_mul_f32 v[104:105], v[100:101], v[92:93] op_sel:[0,1]
	v_mul_f32_e32 v92, v103, v93
	s_delay_alu instid0(VALU_DEP_2) | instskip(SKIP_2) | instid1(VALU_DEP_4)
	v_pk_fma_f32 v[106:107], v[100:101], v[90:91], v[104:105] op_sel:[0,0,1] op_sel_hi:[1,1,0] neg_lo:[0,0,1] neg_hi:[0,0,1]
	v_pk_fma_f32 v[100:101], v[100:101], v[90:91], v[104:105] op_sel:[0,0,1] op_sel_hi:[1,0,0]
	v_dual_mov_b32 v100, v103 :: v_dual_mul_f32 v90, v103, v90
	v_pk_fma_f32 v[92:93], v[102:103], v[16:17], v[92:93] op_sel_hi:[1,1,0] neg_lo:[0,0,1] neg_hi:[0,0,1]
	s_delay_alu instid0(VALU_DEP_3) | instskip(NEXT) | instid1(VALU_DEP_1)
	v_dual_mov_b32 v107, v101 :: v_dual_mov_b32 v101, v102
	v_pk_add_f32 v[24:25], v[24:25], v[106:107] neg_lo:[0,1] neg_hi:[0,1]
	s_delay_alu instid0(VALU_DEP_2) | instskip(NEXT) | instid1(VALU_DEP_1)
	v_pk_fma_f32 v[90:91], v[100:101], v[16:17], v[90:91] op_sel_hi:[1,1,0]
	v_mov_b32_e32 v93, v91
	s_delay_alu instid0(VALU_DEP_1)
	v_pk_add_f32 v[88:89], v[88:89], v[92:93] neg_lo:[0,1] neg_hi:[0,1]
.LBB82_125:
	s_or_b32 exec_lo, exec_lo, s0
	v_lshl_add_u32 v90, v98, 3, v94
	s_barrier_signal -1
	s_barrier_wait -1
	ds_store_b64 v90, v[18:19]
	s_wait_dscnt 0x0
	s_barrier_signal -1
	s_barrier_wait -1
	ds_load_b64 v[92:93], v94 offset:48
	v_mov_b32_e32 v90, 6
	s_cmp_lt_i32 s18, 8
	s_cbranch_scc1 .LBB82_128
; %bb.126:
	v_add3_u32 v91, v95, 0, 56
	v_mov_b32_e32 v90, 6
	s_mov_b32 s0, 7
.LBB82_127:                             ; =>This Inner Loop Header: Depth=1
	ds_load_b64 v[100:101], v91
	s_wait_dscnt 0x1
	v_cmp_gt_f32_e32 vcc_lo, 0, v92
	v_cndmask_b32_e64 v102, v92, -v92, vcc_lo
	v_cmp_gt_f32_e32 vcc_lo, 0, v93
	v_cndmask_b32_e64 v104, v93, -v93, vcc_lo
	s_wait_dscnt 0x0
	v_cmp_gt_f32_e32 vcc_lo, 0, v100
	v_cndmask_b32_e64 v103, v100, -v100, vcc_lo
	v_cmp_gt_f32_e32 vcc_lo, 0, v101
	v_cndmask_b32_e64 v105, v101, -v101, vcc_lo
	s_delay_alu instid0(VALU_DEP_1) | instskip(NEXT) | instid1(VALU_DEP_1)
	v_pk_add_f32 v[102:103], v[102:103], v[104:105]
	v_cmp_lt_f32_e32 vcc_lo, v102, v103
	v_dual_add_nc_u32 v91, 8, v91 :: v_dual_cndmask_b32 v93, v93, v101, vcc_lo
	v_cndmask_b32_e32 v92, v92, v100, vcc_lo
	v_cndmask_b32_e64 v90, v90, s0, vcc_lo
	s_add_co_i32 s0, s0, 1
	s_delay_alu instid0(SALU_CYCLE_1)
	s_cmp_lg_u32 s18, s0
	s_cbranch_scc1 .LBB82_127
.LBB82_128:
	s_wait_dscnt 0x0
	v_cmp_eq_f32_e32 vcc_lo, 0, v92
	v_cmp_eq_f32_e64 s0, 0, v93
	s_and_b32 s0, vcc_lo, s0
	s_delay_alu instid0(SALU_CYCLE_1) | instskip(NEXT) | instid1(SALU_CYCLE_1)
	s_and_saveexec_b32 s1, s0
	s_xor_b32 s0, exec_lo, s1
; %bb.129:
	v_cmp_ne_u32_e32 vcc_lo, 0, v96
	v_cndmask_b32_e32 v96, 7, v96, vcc_lo
; %bb.130:
	s_and_not1_saveexec_b32 s0, s0
	s_cbranch_execz .LBB82_136
; %bb.131:
	v_cmp_ngt_f32_e64 s1, |v92|, |v93|
	s_and_saveexec_b32 s12, s1
	s_delay_alu instid0(SALU_CYCLE_1)
	s_xor_b32 s1, exec_lo, s12
	s_cbranch_execz .LBB82_133
; %bb.132:
	v_div_scale_f32 v91, null, v93, v93, v92
	v_div_scale_f32 v101, vcc_lo, v92, v93, v92
	s_delay_alu instid0(VALU_DEP_2) | instskip(SKIP_1) | instid1(TRANS32_DEP_1)
	v_rcp_f32_e32 v99, v91
	v_nop
	v_fma_f32 v100, -v91, v99, 1.0
	s_delay_alu instid0(VALU_DEP_1) | instskip(NEXT) | instid1(VALU_DEP_1)
	v_fmac_f32_e32 v99, v100, v99
	v_mul_f32_e32 v100, v101, v99
	s_delay_alu instid0(VALU_DEP_1) | instskip(NEXT) | instid1(VALU_DEP_1)
	v_fma_f32 v102, -v91, v100, v101
	v_fmac_f32_e32 v100, v102, v99
	s_delay_alu instid0(VALU_DEP_1) | instskip(NEXT) | instid1(VALU_DEP_1)
	v_fma_f32 v91, -v91, v100, v101
	v_div_fmas_f32 v91, v91, v99, v100
	s_delay_alu instid0(VALU_DEP_1) | instskip(NEXT) | instid1(VALU_DEP_1)
	v_div_fixup_f32 v91, v91, v93, v92
	v_fmac_f32_e32 v93, v92, v91
	s_delay_alu instid0(VALU_DEP_1) | instskip(SKIP_1) | instid1(VALU_DEP_2)
	v_div_scale_f32 v92, null, v93, v93, 1.0
	v_div_scale_f32 v101, vcc_lo, 1.0, v93, 1.0
	v_rcp_f32_e32 v99, v92
	v_nop
	s_delay_alu instid0(TRANS32_DEP_1) | instskip(NEXT) | instid1(VALU_DEP_1)
	v_fma_f32 v100, -v92, v99, 1.0
	v_fmac_f32_e32 v99, v100, v99
	s_delay_alu instid0(VALU_DEP_1) | instskip(NEXT) | instid1(VALU_DEP_1)
	v_mul_f32_e32 v100, v101, v99
	v_fma_f32 v102, -v92, v100, v101
	s_delay_alu instid0(VALU_DEP_1) | instskip(NEXT) | instid1(VALU_DEP_1)
	v_fmac_f32_e32 v100, v102, v99
	v_fma_f32 v92, -v92, v100, v101
	s_delay_alu instid0(VALU_DEP_1) | instskip(NEXT) | instid1(VALU_DEP_1)
	v_div_fmas_f32 v92, v92, v99, v100
	v_div_fixup_f32 v93, v92, v93, 1.0
	s_delay_alu instid0(VALU_DEP_1)
	v_mul_f32_e32 v92, v91, v93
	v_xor_b32_e32 v93, 0x80000000, v93
.LBB82_133:
	s_and_not1_saveexec_b32 s1, s1
	s_cbranch_execz .LBB82_135
; %bb.134:
	s_delay_alu instid0(VALU_DEP_1) | instskip(SKIP_1) | instid1(VALU_DEP_2)
	v_div_scale_f32 v91, null, v92, v92, v93
	v_div_scale_f32 v101, vcc_lo, v93, v92, v93
	v_rcp_f32_e32 v99, v91
	v_nop
	s_delay_alu instid0(TRANS32_DEP_1) | instskip(NEXT) | instid1(VALU_DEP_1)
	v_fma_f32 v100, -v91, v99, 1.0
	v_fmac_f32_e32 v99, v100, v99
	s_delay_alu instid0(VALU_DEP_1) | instskip(NEXT) | instid1(VALU_DEP_1)
	v_mul_f32_e32 v100, v101, v99
	v_fma_f32 v102, -v91, v100, v101
	s_delay_alu instid0(VALU_DEP_1) | instskip(NEXT) | instid1(VALU_DEP_1)
	v_fmac_f32_e32 v100, v102, v99
	v_fma_f32 v91, -v91, v100, v101
	s_delay_alu instid0(VALU_DEP_1) | instskip(NEXT) | instid1(VALU_DEP_1)
	v_div_fmas_f32 v91, v91, v99, v100
	v_div_fixup_f32 v91, v91, v92, v93
	s_delay_alu instid0(VALU_DEP_1) | instskip(NEXT) | instid1(VALU_DEP_1)
	v_fmac_f32_e32 v92, v93, v91
	v_div_scale_f32 v93, null, v92, v92, 1.0
	s_delay_alu instid0(VALU_DEP_1) | instskip(SKIP_1) | instid1(TRANS32_DEP_1)
	v_rcp_f32_e32 v99, v93
	v_nop
	v_fma_f32 v100, -v93, v99, 1.0
	s_delay_alu instid0(VALU_DEP_1) | instskip(SKIP_1) | instid1(VALU_DEP_1)
	v_fmac_f32_e32 v99, v100, v99
	v_div_scale_f32 v100, vcc_lo, 1.0, v92, 1.0
	v_mul_f32_e32 v101, v100, v99
	s_delay_alu instid0(VALU_DEP_1) | instskip(NEXT) | instid1(VALU_DEP_1)
	v_fma_f32 v102, -v93, v101, v100
	v_fmac_f32_e32 v101, v102, v99
	s_delay_alu instid0(VALU_DEP_1) | instskip(NEXT) | instid1(VALU_DEP_1)
	v_fma_f32 v93, -v93, v101, v100
	v_div_fmas_f32 v93, v93, v99, v101
	s_delay_alu instid0(VALU_DEP_1) | instskip(NEXT) | instid1(VALU_DEP_1)
	v_div_fixup_f32 v92, v93, v92, 1.0
	v_mul_f32_e64 v93, v91, -v92
.LBB82_135:
	s_or_b32 exec_lo, exec_lo, s1
.LBB82_136:
	s_delay_alu instid0(SALU_CYCLE_1) | instskip(NEXT) | instid1(SALU_CYCLE_1)
	s_or_b32 exec_lo, exec_lo, s0
	s_mov_b32 s0, exec_lo
	v_cmpx_ne_u32_e64 v98, v90
	s_xor_b32 s0, exec_lo, s0
	s_cbranch_execz .LBB82_142
; %bb.137:
	s_mov_b32 s1, exec_lo
	v_cmpx_eq_u32_e32 6, v98
	s_cbranch_execz .LBB82_141
; %bb.138:
	v_cmp_ne_u32_e32 vcc_lo, 6, v90
	s_xor_b32 s12, s16, -1
	s_delay_alu instid0(SALU_CYCLE_1) | instskip(NEXT) | instid1(SALU_CYCLE_1)
	s_and_b32 s13, s12, vcc_lo
	s_and_saveexec_b32 s12, s13
	s_cbranch_execz .LBB82_140
; %bb.139:
	v_ashrrev_i32_e32 v91, 31, v90
	s_delay_alu instid0(VALU_DEP_1)
	v_lshl_add_u64 v[98:99], v[90:91], 2, v[4:5]
	s_clause 0x1
	global_load_b32 v91, v[98:99], off
	global_load_b32 v97, v[4:5], off offset:24
	s_wait_loadcnt 0x1
	global_store_b32 v[4:5], v91, off offset:24
	s_wait_loadcnt 0x0
	global_store_b32 v[98:99], v97, off
.LBB82_140:
	s_wait_xcnt 0x0
	s_or_b32 exec_lo, exec_lo, s12
	v_dual_mov_b32 v98, v90 :: v_dual_mov_b32 v97, v90
.LBB82_141:
	s_or_b32 exec_lo, exec_lo, s1
.LBB82_142:
	s_and_not1_saveexec_b32 s0, s0
	s_cbranch_execz .LBB82_144
; %bb.143:
	v_mov_b32_e32 v98, 6
	ds_store_2addr_b64 v94, v[14:15], v[68:69] offset0:7 offset1:8
	ds_store_2addr_b64 v94, v[22:23], v[26:27] offset0:9 offset1:10
	;; [unrolled: 1-line block ×17, first 2 shown]
	ds_store_b64 v94, v[88:89] offset:328
.LBB82_144:
	s_or_b32 exec_lo, exec_lo, s0
	s_delay_alu instid0(SALU_CYCLE_1)
	s_mov_b32 s0, exec_lo
	s_wait_storecnt_dscnt 0x0
	s_barrier_signal -1
	s_barrier_wait -1
	v_cmpx_lt_i32_e32 6, v98
	s_cbranch_execz .LBB82_146
; %bb.145:
	v_pk_mul_f32 v[100:101], v[92:93], v[18:19] op_sel:[1,1] op_sel_hi:[0,1]
	s_delay_alu instid0(VALU_DEP_1)
	v_pk_fma_f32 v[90:91], v[92:93], v[18:19], v[100:101] op_sel_hi:[1,0,1] neg_lo:[0,0,1] neg_hi:[0,0,1]
	v_pk_fma_f32 v[92:93], v[92:93], v[18:19], v[100:101] op_sel_hi:[1,0,1]
	ds_load_2addr_b64 v[100:103], v94 offset0:7 offset1:8
	v_dual_mov_b32 v18, v90 :: v_dual_mov_b32 v19, v93
	s_wait_dscnt 0x0
	v_pk_mul_f32 v[104:105], v[100:101], v[92:93] op_sel:[0,1]
	s_delay_alu instid0(VALU_DEP_1) | instskip(SKIP_1) | instid1(VALU_DEP_1)
	v_pk_fma_f32 v[106:107], v[100:101], v[90:91], v[104:105] op_sel:[0,0,1] op_sel_hi:[1,1,0] neg_lo:[0,0,1] neg_hi:[0,0,1]
	v_pk_fma_f32 v[100:101], v[100:101], v[90:91], v[104:105] op_sel:[0,0,1] op_sel_hi:[1,0,0]
	v_mov_b32_e32 v107, v101
	v_pk_mul_f32 v[100:101], v[102:103], v[92:93] op_sel:[0,1]
	s_delay_alu instid0(VALU_DEP_1) | instskip(SKIP_1) | instid1(VALU_DEP_1)
	v_pk_fma_f32 v[104:105], v[102:103], v[90:91], v[100:101] op_sel:[0,0,1] op_sel_hi:[1,1,0] neg_lo:[0,0,1] neg_hi:[0,0,1]
	v_pk_fma_f32 v[100:101], v[102:103], v[90:91], v[100:101] op_sel:[0,0,1] op_sel_hi:[1,0,0]
	v_mov_b32_e32 v105, v101
	ds_load_2addr_b64 v[100:103], v94 offset0:9 offset1:10
	v_pk_add_f32 v[14:15], v[14:15], v[106:107] neg_lo:[0,1] neg_hi:[0,1]
	v_pk_add_f32 v[68:69], v[68:69], v[104:105] neg_lo:[0,1] neg_hi:[0,1]
	s_wait_dscnt 0x0
	v_pk_mul_f32 v[104:105], v[100:101], v[92:93] op_sel:[0,1]
	s_delay_alu instid0(VALU_DEP_1) | instskip(SKIP_2) | instid1(VALU_DEP_2)
	v_pk_fma_f32 v[106:107], v[100:101], v[90:91], v[104:105] op_sel:[0,0,1] op_sel_hi:[1,1,0] neg_lo:[0,0,1] neg_hi:[0,0,1]
	v_pk_fma_f32 v[100:101], v[100:101], v[90:91], v[104:105] op_sel:[0,0,1] op_sel_hi:[1,0,0]
	v_dual_mul_f32 v104, v103, v93 :: v_dual_mov_b32 v100, v103
	v_dual_mov_b32 v107, v101 :: v_dual_mov_b32 v101, v102
	s_delay_alu instid0(VALU_DEP_2) | instskip(SKIP_1) | instid1(VALU_DEP_3)
	v_pk_fma_f32 v[104:105], v[102:103], v[18:19], v[104:105] op_sel_hi:[1,1,0] neg_lo:[0,0,1] neg_hi:[0,0,1]
	v_mul_f32_e32 v102, v103, v90
	v_pk_add_f32 v[22:23], v[22:23], v[106:107] neg_lo:[0,1] neg_hi:[0,1]
	s_delay_alu instid0(VALU_DEP_2) | instskip(NEXT) | instid1(VALU_DEP_1)
	v_pk_fma_f32 v[100:101], v[100:101], v[18:19], v[102:103] op_sel_hi:[1,1,0]
	v_mov_b32_e32 v105, v101
	ds_load_2addr_b64 v[100:103], v94 offset0:11 offset1:12
	v_pk_add_f32 v[26:27], v[26:27], v[104:105] neg_lo:[0,1] neg_hi:[0,1]
	s_wait_dscnt 0x0
	v_pk_mul_f32 v[104:105], v[100:101], v[92:93] op_sel:[0,1]
	s_delay_alu instid0(VALU_DEP_1) | instskip(SKIP_1) | instid1(VALU_DEP_1)
	v_pk_fma_f32 v[106:107], v[100:101], v[90:91], v[104:105] op_sel:[0,0,1] op_sel_hi:[1,1,0] neg_lo:[0,0,1] neg_hi:[0,0,1]
	v_pk_fma_f32 v[100:101], v[100:101], v[90:91], v[104:105] op_sel:[0,0,1] op_sel_hi:[1,0,0]
	v_mov_b32_e32 v107, v101
	v_pk_mul_f32 v[100:101], v[102:103], v[92:93] op_sel:[0,1]
	s_delay_alu instid0(VALU_DEP_1) | instskip(SKIP_1) | instid1(VALU_DEP_1)
	v_pk_fma_f32 v[104:105], v[102:103], v[90:91], v[100:101] op_sel:[0,0,1] op_sel_hi:[1,1,0] neg_lo:[0,0,1] neg_hi:[0,0,1]
	v_pk_fma_f32 v[100:101], v[102:103], v[90:91], v[100:101] op_sel:[0,0,1] op_sel_hi:[1,0,0]
	v_mov_b32_e32 v105, v101
	ds_load_2addr_b64 v[100:103], v94 offset0:13 offset1:14
	v_pk_add_f32 v[20:21], v[20:21], v[106:107] neg_lo:[0,1] neg_hi:[0,1]
	v_pk_add_f32 v[78:79], v[78:79], v[104:105] neg_lo:[0,1] neg_hi:[0,1]
	s_wait_dscnt 0x0
	v_pk_mul_f32 v[104:105], v[100:101], v[92:93] op_sel:[0,1]
	s_delay_alu instid0(VALU_DEP_1) | instskip(SKIP_1) | instid1(VALU_DEP_1)
	v_pk_fma_f32 v[106:107], v[100:101], v[90:91], v[104:105] op_sel:[0,0,1] op_sel_hi:[1,1,0] neg_lo:[0,0,1] neg_hi:[0,0,1]
	v_pk_fma_f32 v[100:101], v[100:101], v[90:91], v[104:105] op_sel:[0,0,1] op_sel_hi:[1,0,0]
	v_mov_b32_e32 v107, v101
	v_pk_mul_f32 v[100:101], v[102:103], v[92:93] op_sel:[0,1]
	s_delay_alu instid0(VALU_DEP_1) | instskip(SKIP_1) | instid1(VALU_DEP_1)
	v_pk_fma_f32 v[104:105], v[102:103], v[90:91], v[100:101] op_sel:[0,0,1] op_sel_hi:[1,1,0] neg_lo:[0,0,1] neg_hi:[0,0,1]
	v_pk_fma_f32 v[100:101], v[102:103], v[90:91], v[100:101] op_sel:[0,0,1] op_sel_hi:[1,0,0]
	v_mov_b32_e32 v105, v101
	ds_load_2addr_b64 v[100:103], v94 offset0:15 offset1:16
	v_pk_add_f32 v[58:59], v[58:59], v[106:107] neg_lo:[0,1] neg_hi:[0,1]
	v_pk_add_f32 v[60:61], v[60:61], v[104:105] neg_lo:[0,1] neg_hi:[0,1]
	s_wait_dscnt 0x0
	v_dual_mul_f32 v104, v101, v93 :: v_dual_mul_f32 v106, v101, v90
	s_delay_alu instid0(VALU_DEP_1) | instskip(NEXT) | instid1(VALU_DEP_2)
	v_pk_fma_f32 v[104:105], v[100:101], v[18:19], v[104:105] op_sel_hi:[1,1,0] neg_lo:[0,0,1] neg_hi:[0,0,1]
	v_pk_fma_f32 v[100:101], v[100:101], v[18:19], v[106:107] op_sel:[1,0,0] op_sel_hi:[0,1,0]
	s_delay_alu instid0(VALU_DEP_1) | instskip(SKIP_1) | instid1(VALU_DEP_2)
	v_mov_b32_e32 v105, v101
	v_pk_mul_f32 v[100:101], v[102:103], v[92:93] op_sel:[0,1]
	v_pk_add_f32 v[56:57], v[56:57], v[104:105] neg_lo:[0,1] neg_hi:[0,1]
	s_delay_alu instid0(VALU_DEP_2) | instskip(SKIP_1) | instid1(VALU_DEP_1)
	v_pk_fma_f32 v[104:105], v[102:103], v[90:91], v[100:101] op_sel:[0,0,1] op_sel_hi:[1,1,0] neg_lo:[0,0,1] neg_hi:[0,0,1]
	v_pk_fma_f32 v[100:101], v[102:103], v[90:91], v[100:101] op_sel:[0,0,1] op_sel_hi:[1,0,0]
	v_mov_b32_e32 v105, v101
	ds_load_2addr_b64 v[100:103], v94 offset0:17 offset1:18
	v_pk_add_f32 v[76:77], v[76:77], v[104:105] neg_lo:[0,1] neg_hi:[0,1]
	s_wait_dscnt 0x0
	v_pk_mul_f32 v[104:105], v[100:101], v[92:93] op_sel:[0,1]
	s_delay_alu instid0(VALU_DEP_1) | instskip(SKIP_1) | instid1(VALU_DEP_1)
	v_pk_fma_f32 v[106:107], v[100:101], v[90:91], v[104:105] op_sel:[0,0,1] op_sel_hi:[1,1,0] neg_lo:[0,0,1] neg_hi:[0,0,1]
	v_pk_fma_f32 v[100:101], v[100:101], v[90:91], v[104:105] op_sel:[0,0,1] op_sel_hi:[1,0,0]
	v_mov_b32_e32 v107, v101
	v_pk_mul_f32 v[100:101], v[102:103], v[92:93] op_sel:[0,1]
	s_delay_alu instid0(VALU_DEP_2) | instskip(NEXT) | instid1(VALU_DEP_2)
	v_pk_add_f32 v[50:51], v[50:51], v[106:107] neg_lo:[0,1] neg_hi:[0,1]
	v_pk_fma_f32 v[104:105], v[102:103], v[90:91], v[100:101] op_sel:[0,0,1] op_sel_hi:[1,1,0] neg_lo:[0,0,1] neg_hi:[0,0,1]
	v_pk_fma_f32 v[100:101], v[102:103], v[90:91], v[100:101] op_sel:[0,0,1] op_sel_hi:[1,0,0]
	s_delay_alu instid0(VALU_DEP_1) | instskip(SKIP_4) | instid1(VALU_DEP_1)
	v_mov_b32_e32 v105, v101
	ds_load_2addr_b64 v[100:103], v94 offset0:19 offset1:20
	v_pk_add_f32 v[52:53], v[52:53], v[104:105] neg_lo:[0,1] neg_hi:[0,1]
	s_wait_dscnt 0x0
	v_pk_mul_f32 v[104:105], v[100:101], v[92:93] op_sel:[0,1]
	v_pk_fma_f32 v[106:107], v[100:101], v[90:91], v[104:105] op_sel:[0,0,1] op_sel_hi:[1,1,0] neg_lo:[0,0,1] neg_hi:[0,0,1]
	v_pk_fma_f32 v[100:101], v[100:101], v[90:91], v[104:105] op_sel:[0,0,1] op_sel_hi:[1,0,0]
	v_dual_mul_f32 v104, v103, v93 :: v_dual_mov_b32 v100, v103
	s_delay_alu instid0(VALU_DEP_2) | instskip(NEXT) | instid1(VALU_DEP_2)
	v_dual_mov_b32 v107, v101 :: v_dual_mov_b32 v101, v102
	v_pk_fma_f32 v[104:105], v[102:103], v[18:19], v[104:105] op_sel_hi:[1,1,0] neg_lo:[0,0,1] neg_hi:[0,0,1]
	v_mul_f32_e32 v102, v103, v90
	s_delay_alu instid0(VALU_DEP_3) | instskip(NEXT) | instid1(VALU_DEP_2)
	v_pk_add_f32 v[48:49], v[48:49], v[106:107] neg_lo:[0,1] neg_hi:[0,1]
	v_pk_fma_f32 v[100:101], v[100:101], v[18:19], v[102:103] op_sel_hi:[1,1,0]
	s_delay_alu instid0(VALU_DEP_1) | instskip(SKIP_4) | instid1(VALU_DEP_1)
	v_mov_b32_e32 v105, v101
	ds_load_2addr_b64 v[100:103], v94 offset0:21 offset1:22
	v_pk_add_f32 v[74:75], v[74:75], v[104:105] neg_lo:[0,1] neg_hi:[0,1]
	s_wait_dscnt 0x0
	v_pk_mul_f32 v[104:105], v[100:101], v[92:93] op_sel:[0,1]
	v_pk_fma_f32 v[106:107], v[100:101], v[90:91], v[104:105] op_sel:[0,0,1] op_sel_hi:[1,1,0] neg_lo:[0,0,1] neg_hi:[0,0,1]
	v_pk_fma_f32 v[100:101], v[100:101], v[90:91], v[104:105] op_sel:[0,0,1] op_sel_hi:[1,0,0]
	s_delay_alu instid0(VALU_DEP_1) | instskip(SKIP_1) | instid1(VALU_DEP_1)
	v_mov_b32_e32 v107, v101
	v_pk_mul_f32 v[100:101], v[102:103], v[92:93] op_sel:[0,1]
	v_pk_fma_f32 v[104:105], v[102:103], v[90:91], v[100:101] op_sel:[0,0,1] op_sel_hi:[1,1,0] neg_lo:[0,0,1] neg_hi:[0,0,1]
	v_pk_fma_f32 v[100:101], v[102:103], v[90:91], v[100:101] op_sel:[0,0,1] op_sel_hi:[1,0,0]
	s_delay_alu instid0(VALU_DEP_1)
	v_mov_b32_e32 v105, v101
	ds_load_2addr_b64 v[100:103], v94 offset0:23 offset1:24
	v_pk_add_f32 v[44:45], v[44:45], v[106:107] neg_lo:[0,1] neg_hi:[0,1]
	v_pk_add_f32 v[46:47], v[46:47], v[104:105] neg_lo:[0,1] neg_hi:[0,1]
	s_wait_dscnt 0x0
	v_pk_mul_f32 v[104:105], v[100:101], v[92:93] op_sel:[0,1]
	s_delay_alu instid0(VALU_DEP_1) | instskip(SKIP_1) | instid1(VALU_DEP_1)
	v_pk_fma_f32 v[106:107], v[100:101], v[90:91], v[104:105] op_sel:[0,0,1] op_sel_hi:[1,1,0] neg_lo:[0,0,1] neg_hi:[0,0,1]
	v_pk_fma_f32 v[100:101], v[100:101], v[90:91], v[104:105] op_sel:[0,0,1] op_sel_hi:[1,0,0]
	v_mov_b32_e32 v107, v101
	v_pk_mul_f32 v[100:101], v[102:103], v[92:93] op_sel:[0,1]
	s_delay_alu instid0(VALU_DEP_1) | instskip(SKIP_1) | instid1(VALU_DEP_1)
	v_pk_fma_f32 v[104:105], v[102:103], v[90:91], v[100:101] op_sel:[0,0,1] op_sel_hi:[1,1,0] neg_lo:[0,0,1] neg_hi:[0,0,1]
	v_pk_fma_f32 v[100:101], v[102:103], v[90:91], v[100:101] op_sel:[0,0,1] op_sel_hi:[1,0,0]
	v_mov_b32_e32 v105, v101
	ds_load_2addr_b64 v[100:103], v94 offset0:25 offset1:26
	v_pk_add_f32 v[42:43], v[42:43], v[106:107] neg_lo:[0,1] neg_hi:[0,1]
	v_pk_add_f32 v[72:73], v[72:73], v[104:105] neg_lo:[0,1] neg_hi:[0,1]
	s_wait_dscnt 0x0
	v_dual_mul_f32 v104, v101, v93 :: v_dual_mul_f32 v106, v101, v90
	s_delay_alu instid0(VALU_DEP_1) | instskip(NEXT) | instid1(VALU_DEP_2)
	v_pk_fma_f32 v[104:105], v[100:101], v[18:19], v[104:105] op_sel_hi:[1,1,0] neg_lo:[0,0,1] neg_hi:[0,0,1]
	v_pk_fma_f32 v[100:101], v[100:101], v[18:19], v[106:107] op_sel:[1,0,0] op_sel_hi:[0,1,0]
	s_delay_alu instid0(VALU_DEP_1) | instskip(SKIP_1) | instid1(VALU_DEP_2)
	v_mov_b32_e32 v105, v101
	v_pk_mul_f32 v[100:101], v[102:103], v[92:93] op_sel:[0,1]
	v_pk_add_f32 v[36:37], v[36:37], v[104:105] neg_lo:[0,1] neg_hi:[0,1]
	s_delay_alu instid0(VALU_DEP_2) | instskip(SKIP_1) | instid1(VALU_DEP_1)
	v_pk_fma_f32 v[104:105], v[102:103], v[90:91], v[100:101] op_sel:[0,0,1] op_sel_hi:[1,1,0] neg_lo:[0,0,1] neg_hi:[0,0,1]
	v_pk_fma_f32 v[100:101], v[102:103], v[90:91], v[100:101] op_sel:[0,0,1] op_sel_hi:[1,0,0]
	v_mov_b32_e32 v105, v101
	ds_load_2addr_b64 v[100:103], v94 offset0:27 offset1:28
	v_pk_add_f32 v[38:39], v[38:39], v[104:105] neg_lo:[0,1] neg_hi:[0,1]
	s_wait_dscnt 0x0
	v_pk_mul_f32 v[104:105], v[100:101], v[92:93] op_sel:[0,1]
	s_delay_alu instid0(VALU_DEP_1) | instskip(SKIP_1) | instid1(VALU_DEP_1)
	v_pk_fma_f32 v[106:107], v[100:101], v[90:91], v[104:105] op_sel:[0,0,1] op_sel_hi:[1,1,0] neg_lo:[0,0,1] neg_hi:[0,0,1]
	v_pk_fma_f32 v[100:101], v[100:101], v[90:91], v[104:105] op_sel:[0,0,1] op_sel_hi:[1,0,0]
	v_mov_b32_e32 v107, v101
	v_pk_mul_f32 v[100:101], v[102:103], v[92:93] op_sel:[0,1]
	s_delay_alu instid0(VALU_DEP_2) | instskip(NEXT) | instid1(VALU_DEP_2)
	v_pk_add_f32 v[34:35], v[34:35], v[106:107] neg_lo:[0,1] neg_hi:[0,1]
	v_pk_fma_f32 v[104:105], v[102:103], v[90:91], v[100:101] op_sel:[0,0,1] op_sel_hi:[1,1,0] neg_lo:[0,0,1] neg_hi:[0,0,1]
	v_pk_fma_f32 v[100:101], v[102:103], v[90:91], v[100:101] op_sel:[0,0,1] op_sel_hi:[1,0,0]
	s_delay_alu instid0(VALU_DEP_1) | instskip(SKIP_4) | instid1(VALU_DEP_1)
	v_mov_b32_e32 v105, v101
	ds_load_2addr_b64 v[100:103], v94 offset0:29 offset1:30
	v_pk_add_f32 v[70:71], v[70:71], v[104:105] neg_lo:[0,1] neg_hi:[0,1]
	s_wait_dscnt 0x0
	v_pk_mul_f32 v[104:105], v[100:101], v[92:93] op_sel:[0,1]
	v_pk_fma_f32 v[106:107], v[100:101], v[90:91], v[104:105] op_sel:[0,0,1] op_sel_hi:[1,1,0] neg_lo:[0,0,1] neg_hi:[0,0,1]
	v_pk_fma_f32 v[100:101], v[100:101], v[90:91], v[104:105] op_sel:[0,0,1] op_sel_hi:[1,0,0]
	v_dual_mul_f32 v104, v103, v93 :: v_dual_mov_b32 v100, v103
	s_delay_alu instid0(VALU_DEP_2) | instskip(NEXT) | instid1(VALU_DEP_2)
	v_dual_mov_b32 v107, v101 :: v_dual_mov_b32 v101, v102
	v_pk_fma_f32 v[104:105], v[102:103], v[18:19], v[104:105] op_sel_hi:[1,1,0] neg_lo:[0,0,1] neg_hi:[0,0,1]
	v_mul_f32_e32 v102, v103, v90
	s_delay_alu instid0(VALU_DEP_3) | instskip(NEXT) | instid1(VALU_DEP_2)
	v_pk_add_f32 v[30:31], v[30:31], v[106:107] neg_lo:[0,1] neg_hi:[0,1]
	v_pk_fma_f32 v[100:101], v[100:101], v[18:19], v[102:103] op_sel_hi:[1,1,0]
	s_delay_alu instid0(VALU_DEP_1) | instskip(SKIP_4) | instid1(VALU_DEP_1)
	v_mov_b32_e32 v105, v101
	ds_load_2addr_b64 v[100:103], v94 offset0:31 offset1:32
	v_pk_add_f32 v[32:33], v[32:33], v[104:105] neg_lo:[0,1] neg_hi:[0,1]
	s_wait_dscnt 0x0
	v_pk_mul_f32 v[104:105], v[100:101], v[92:93] op_sel:[0,1]
	v_pk_fma_f32 v[106:107], v[100:101], v[90:91], v[104:105] op_sel:[0,0,1] op_sel_hi:[1,1,0] neg_lo:[0,0,1] neg_hi:[0,0,1]
	v_pk_fma_f32 v[100:101], v[100:101], v[90:91], v[104:105] op_sel:[0,0,1] op_sel_hi:[1,0,0]
	s_delay_alu instid0(VALU_DEP_1) | instskip(SKIP_1) | instid1(VALU_DEP_1)
	v_mov_b32_e32 v107, v101
	v_pk_mul_f32 v[100:101], v[102:103], v[92:93] op_sel:[0,1]
	v_pk_fma_f32 v[104:105], v[102:103], v[90:91], v[100:101] op_sel:[0,0,1] op_sel_hi:[1,1,0] neg_lo:[0,0,1] neg_hi:[0,0,1]
	v_pk_fma_f32 v[100:101], v[102:103], v[90:91], v[100:101] op_sel:[0,0,1] op_sel_hi:[1,0,0]
	s_delay_alu instid0(VALU_DEP_1)
	v_mov_b32_e32 v105, v101
	ds_load_2addr_b64 v[100:103], v94 offset0:33 offset1:34
	v_pk_add_f32 v[28:29], v[28:29], v[106:107] neg_lo:[0,1] neg_hi:[0,1]
	v_pk_add_f32 v[64:65], v[64:65], v[104:105] neg_lo:[0,1] neg_hi:[0,1]
	s_wait_dscnt 0x0
	v_pk_mul_f32 v[104:105], v[100:101], v[92:93] op_sel:[0,1]
	s_delay_alu instid0(VALU_DEP_1) | instskip(SKIP_1) | instid1(VALU_DEP_1)
	v_pk_fma_f32 v[106:107], v[100:101], v[90:91], v[104:105] op_sel:[0,0,1] op_sel_hi:[1,1,0] neg_lo:[0,0,1] neg_hi:[0,0,1]
	v_pk_fma_f32 v[100:101], v[100:101], v[90:91], v[104:105] op_sel:[0,0,1] op_sel_hi:[1,0,0]
	v_mov_b32_e32 v107, v101
	v_pk_mul_f32 v[100:101], v[102:103], v[92:93] op_sel:[0,1]
	s_delay_alu instid0(VALU_DEP_1) | instskip(SKIP_1) | instid1(VALU_DEP_1)
	v_pk_fma_f32 v[104:105], v[102:103], v[90:91], v[100:101] op_sel:[0,0,1] op_sel_hi:[1,1,0] neg_lo:[0,0,1] neg_hi:[0,0,1]
	v_pk_fma_f32 v[100:101], v[102:103], v[90:91], v[100:101] op_sel:[0,0,1] op_sel_hi:[1,0,0]
	v_mov_b32_e32 v105, v101
	ds_load_2addr_b64 v[100:103], v94 offset0:35 offset1:36
	v_pk_add_f32 v[10:11], v[10:11], v[106:107] neg_lo:[0,1] neg_hi:[0,1]
	v_pk_add_f32 v[12:13], v[12:13], v[104:105] neg_lo:[0,1] neg_hi:[0,1]
	s_wait_dscnt 0x0
	v_dual_mul_f32 v104, v101, v93 :: v_dual_mul_f32 v106, v101, v90
	s_delay_alu instid0(VALU_DEP_1) | instskip(NEXT) | instid1(VALU_DEP_2)
	v_pk_fma_f32 v[104:105], v[100:101], v[18:19], v[104:105] op_sel_hi:[1,1,0] neg_lo:[0,0,1] neg_hi:[0,0,1]
	v_pk_fma_f32 v[100:101], v[100:101], v[18:19], v[106:107] op_sel:[1,0,0] op_sel_hi:[0,1,0]
	s_delay_alu instid0(VALU_DEP_1) | instskip(SKIP_1) | instid1(VALU_DEP_2)
	v_mov_b32_e32 v105, v101
	v_pk_mul_f32 v[100:101], v[102:103], v[92:93] op_sel:[0,1]
	v_pk_add_f32 v[8:9], v[8:9], v[104:105] neg_lo:[0,1] neg_hi:[0,1]
	s_delay_alu instid0(VALU_DEP_2) | instskip(SKIP_1) | instid1(VALU_DEP_1)
	v_pk_fma_f32 v[104:105], v[102:103], v[90:91], v[100:101] op_sel:[0,0,1] op_sel_hi:[1,1,0] neg_lo:[0,0,1] neg_hi:[0,0,1]
	v_pk_fma_f32 v[100:101], v[102:103], v[90:91], v[100:101] op_sel:[0,0,1] op_sel_hi:[1,0,0]
	v_mov_b32_e32 v105, v101
	ds_load_2addr_b64 v[100:103], v94 offset0:37 offset1:38
	v_pk_add_f32 v[62:63], v[62:63], v[104:105] neg_lo:[0,1] neg_hi:[0,1]
	s_wait_dscnt 0x0
	v_pk_mul_f32 v[104:105], v[100:101], v[92:93] op_sel:[0,1]
	s_delay_alu instid0(VALU_DEP_1) | instskip(SKIP_1) | instid1(VALU_DEP_1)
	v_pk_fma_f32 v[106:107], v[100:101], v[90:91], v[104:105] op_sel:[0,0,1] op_sel_hi:[1,1,0] neg_lo:[0,0,1] neg_hi:[0,0,1]
	v_pk_fma_f32 v[100:101], v[100:101], v[90:91], v[104:105] op_sel:[0,0,1] op_sel_hi:[1,0,0]
	v_mov_b32_e32 v107, v101
	v_pk_mul_f32 v[100:101], v[102:103], v[92:93] op_sel:[0,1]
	s_delay_alu instid0(VALU_DEP_2) | instskip(NEXT) | instid1(VALU_DEP_2)
	v_pk_add_f32 v[6:7], v[6:7], v[106:107] neg_lo:[0,1] neg_hi:[0,1]
	v_pk_fma_f32 v[104:105], v[102:103], v[90:91], v[100:101] op_sel:[0,0,1] op_sel_hi:[1,1,0] neg_lo:[0,0,1] neg_hi:[0,0,1]
	v_pk_fma_f32 v[100:101], v[102:103], v[90:91], v[100:101] op_sel:[0,0,1] op_sel_hi:[1,0,0]
	s_delay_alu instid0(VALU_DEP_1) | instskip(SKIP_4) | instid1(VALU_DEP_1)
	v_mov_b32_e32 v105, v101
	ds_load_2addr_b64 v[100:103], v94 offset0:39 offset1:40
	v_pk_add_f32 v[54:55], v[54:55], v[104:105] neg_lo:[0,1] neg_hi:[0,1]
	s_wait_dscnt 0x0
	v_pk_mul_f32 v[104:105], v[100:101], v[92:93] op_sel:[0,1]
	v_pk_fma_f32 v[106:107], v[100:101], v[90:91], v[104:105] op_sel:[0,0,1] op_sel_hi:[1,1,0] neg_lo:[0,0,1] neg_hi:[0,0,1]
	v_pk_fma_f32 v[100:101], v[100:101], v[90:91], v[104:105] op_sel:[0,0,1] op_sel_hi:[1,0,0]
	v_dual_mul_f32 v104, v103, v93 :: v_dual_mov_b32 v100, v103
	s_delay_alu instid0(VALU_DEP_2) | instskip(NEXT) | instid1(VALU_DEP_2)
	v_dual_mov_b32 v107, v101 :: v_dual_mov_b32 v101, v102
	v_pk_fma_f32 v[104:105], v[102:103], v[18:19], v[104:105] op_sel_hi:[1,1,0] neg_lo:[0,0,1] neg_hi:[0,0,1]
	v_mul_f32_e32 v102, v103, v90
	s_delay_alu instid0(VALU_DEP_3) | instskip(NEXT) | instid1(VALU_DEP_2)
	v_pk_add_f32 v[40:41], v[40:41], v[106:107] neg_lo:[0,1] neg_hi:[0,1]
	v_pk_fma_f32 v[100:101], v[100:101], v[18:19], v[102:103] op_sel_hi:[1,1,0]
	s_delay_alu instid0(VALU_DEP_1) | instskip(SKIP_4) | instid1(VALU_DEP_1)
	v_mov_b32_e32 v105, v101
	ds_load_b64 v[100:101], v94 offset:328
	v_pk_add_f32 v[24:25], v[24:25], v[104:105] neg_lo:[0,1] neg_hi:[0,1]
	s_wait_dscnt 0x0
	v_pk_mul_f32 v[92:93], v[100:101], v[92:93] op_sel:[0,1]
	v_pk_fma_f32 v[102:103], v[100:101], v[90:91], v[92:93] op_sel:[0,0,1] op_sel_hi:[1,1,0] neg_lo:[0,0,1] neg_hi:[0,0,1]
	v_pk_fma_f32 v[90:91], v[100:101], v[90:91], v[92:93] op_sel:[0,0,1] op_sel_hi:[1,0,0]
	s_delay_alu instid0(VALU_DEP_1) | instskip(NEXT) | instid1(VALU_DEP_1)
	v_mov_b32_e32 v103, v91
	v_pk_add_f32 v[88:89], v[88:89], v[102:103] neg_lo:[0,1] neg_hi:[0,1]
.LBB82_146:
	s_or_b32 exec_lo, exec_lo, s0
	v_lshl_add_u32 v90, v98, 3, v94
	s_barrier_signal -1
	s_barrier_wait -1
	ds_store_b64 v90, v[14:15]
	s_wait_dscnt 0x0
	s_barrier_signal -1
	s_barrier_wait -1
	ds_load_b64 v[92:93], v94 offset:56
	v_mov_b32_e32 v90, 7
	s_cmp_lt_i32 s18, 9
	s_cbranch_scc1 .LBB82_149
; %bb.147:
	v_add3_u32 v91, v95, 0, 64
	v_mov_b32_e32 v90, 7
	s_mov_b32 s0, 8
.LBB82_148:                             ; =>This Inner Loop Header: Depth=1
	ds_load_b64 v[100:101], v91
	s_wait_dscnt 0x1
	v_cmp_gt_f32_e32 vcc_lo, 0, v92
	v_cndmask_b32_e64 v102, v92, -v92, vcc_lo
	v_cmp_gt_f32_e32 vcc_lo, 0, v93
	v_cndmask_b32_e64 v104, v93, -v93, vcc_lo
	s_wait_dscnt 0x0
	v_cmp_gt_f32_e32 vcc_lo, 0, v100
	v_cndmask_b32_e64 v103, v100, -v100, vcc_lo
	v_cmp_gt_f32_e32 vcc_lo, 0, v101
	v_cndmask_b32_e64 v105, v101, -v101, vcc_lo
	s_delay_alu instid0(VALU_DEP_1) | instskip(NEXT) | instid1(VALU_DEP_1)
	v_pk_add_f32 v[102:103], v[102:103], v[104:105]
	v_cmp_lt_f32_e32 vcc_lo, v102, v103
	v_dual_add_nc_u32 v91, 8, v91 :: v_dual_cndmask_b32 v93, v93, v101, vcc_lo
	v_cndmask_b32_e32 v92, v92, v100, vcc_lo
	v_cndmask_b32_e64 v90, v90, s0, vcc_lo
	s_add_co_i32 s0, s0, 1
	s_delay_alu instid0(SALU_CYCLE_1)
	s_cmp_lg_u32 s18, s0
	s_cbranch_scc1 .LBB82_148
.LBB82_149:
	s_wait_dscnt 0x0
	v_cmp_eq_f32_e32 vcc_lo, 0, v92
	v_cmp_eq_f32_e64 s0, 0, v93
	s_and_b32 s0, vcc_lo, s0
	s_delay_alu instid0(SALU_CYCLE_1) | instskip(NEXT) | instid1(SALU_CYCLE_1)
	s_and_saveexec_b32 s1, s0
	s_xor_b32 s0, exec_lo, s1
; %bb.150:
	v_cmp_ne_u32_e32 vcc_lo, 0, v96
	v_cndmask_b32_e32 v96, 8, v96, vcc_lo
; %bb.151:
	s_and_not1_saveexec_b32 s0, s0
	s_cbranch_execz .LBB82_157
; %bb.152:
	v_cmp_ngt_f32_e64 s1, |v92|, |v93|
	s_and_saveexec_b32 s12, s1
	s_delay_alu instid0(SALU_CYCLE_1)
	s_xor_b32 s1, exec_lo, s12
	s_cbranch_execz .LBB82_154
; %bb.153:
	v_div_scale_f32 v91, null, v93, v93, v92
	v_div_scale_f32 v101, vcc_lo, v92, v93, v92
	s_delay_alu instid0(VALU_DEP_2) | instskip(SKIP_1) | instid1(TRANS32_DEP_1)
	v_rcp_f32_e32 v99, v91
	v_nop
	v_fma_f32 v100, -v91, v99, 1.0
	s_delay_alu instid0(VALU_DEP_1) | instskip(NEXT) | instid1(VALU_DEP_1)
	v_fmac_f32_e32 v99, v100, v99
	v_mul_f32_e32 v100, v101, v99
	s_delay_alu instid0(VALU_DEP_1) | instskip(NEXT) | instid1(VALU_DEP_1)
	v_fma_f32 v102, -v91, v100, v101
	v_fmac_f32_e32 v100, v102, v99
	s_delay_alu instid0(VALU_DEP_1) | instskip(NEXT) | instid1(VALU_DEP_1)
	v_fma_f32 v91, -v91, v100, v101
	v_div_fmas_f32 v91, v91, v99, v100
	s_delay_alu instid0(VALU_DEP_1) | instskip(NEXT) | instid1(VALU_DEP_1)
	v_div_fixup_f32 v91, v91, v93, v92
	v_fmac_f32_e32 v93, v92, v91
	s_delay_alu instid0(VALU_DEP_1) | instskip(SKIP_1) | instid1(VALU_DEP_2)
	v_div_scale_f32 v92, null, v93, v93, 1.0
	v_div_scale_f32 v101, vcc_lo, 1.0, v93, 1.0
	v_rcp_f32_e32 v99, v92
	v_nop
	s_delay_alu instid0(TRANS32_DEP_1) | instskip(NEXT) | instid1(VALU_DEP_1)
	v_fma_f32 v100, -v92, v99, 1.0
	v_fmac_f32_e32 v99, v100, v99
	s_delay_alu instid0(VALU_DEP_1) | instskip(NEXT) | instid1(VALU_DEP_1)
	v_mul_f32_e32 v100, v101, v99
	v_fma_f32 v102, -v92, v100, v101
	s_delay_alu instid0(VALU_DEP_1) | instskip(NEXT) | instid1(VALU_DEP_1)
	v_fmac_f32_e32 v100, v102, v99
	v_fma_f32 v92, -v92, v100, v101
	s_delay_alu instid0(VALU_DEP_1) | instskip(NEXT) | instid1(VALU_DEP_1)
	v_div_fmas_f32 v92, v92, v99, v100
	v_div_fixup_f32 v93, v92, v93, 1.0
	s_delay_alu instid0(VALU_DEP_1)
	v_mul_f32_e32 v92, v91, v93
	v_xor_b32_e32 v93, 0x80000000, v93
.LBB82_154:
	s_and_not1_saveexec_b32 s1, s1
	s_cbranch_execz .LBB82_156
; %bb.155:
	s_delay_alu instid0(VALU_DEP_1) | instskip(SKIP_1) | instid1(VALU_DEP_2)
	v_div_scale_f32 v91, null, v92, v92, v93
	v_div_scale_f32 v101, vcc_lo, v93, v92, v93
	v_rcp_f32_e32 v99, v91
	v_nop
	s_delay_alu instid0(TRANS32_DEP_1) | instskip(NEXT) | instid1(VALU_DEP_1)
	v_fma_f32 v100, -v91, v99, 1.0
	v_fmac_f32_e32 v99, v100, v99
	s_delay_alu instid0(VALU_DEP_1) | instskip(NEXT) | instid1(VALU_DEP_1)
	v_mul_f32_e32 v100, v101, v99
	v_fma_f32 v102, -v91, v100, v101
	s_delay_alu instid0(VALU_DEP_1) | instskip(NEXT) | instid1(VALU_DEP_1)
	v_fmac_f32_e32 v100, v102, v99
	v_fma_f32 v91, -v91, v100, v101
	s_delay_alu instid0(VALU_DEP_1) | instskip(NEXT) | instid1(VALU_DEP_1)
	v_div_fmas_f32 v91, v91, v99, v100
	v_div_fixup_f32 v91, v91, v92, v93
	s_delay_alu instid0(VALU_DEP_1) | instskip(NEXT) | instid1(VALU_DEP_1)
	v_fmac_f32_e32 v92, v93, v91
	v_div_scale_f32 v93, null, v92, v92, 1.0
	s_delay_alu instid0(VALU_DEP_1) | instskip(SKIP_1) | instid1(TRANS32_DEP_1)
	v_rcp_f32_e32 v99, v93
	v_nop
	v_fma_f32 v100, -v93, v99, 1.0
	s_delay_alu instid0(VALU_DEP_1) | instskip(SKIP_1) | instid1(VALU_DEP_1)
	v_fmac_f32_e32 v99, v100, v99
	v_div_scale_f32 v100, vcc_lo, 1.0, v92, 1.0
	v_mul_f32_e32 v101, v100, v99
	s_delay_alu instid0(VALU_DEP_1) | instskip(NEXT) | instid1(VALU_DEP_1)
	v_fma_f32 v102, -v93, v101, v100
	v_fmac_f32_e32 v101, v102, v99
	s_delay_alu instid0(VALU_DEP_1) | instskip(NEXT) | instid1(VALU_DEP_1)
	v_fma_f32 v93, -v93, v101, v100
	v_div_fmas_f32 v93, v93, v99, v101
	s_delay_alu instid0(VALU_DEP_1) | instskip(NEXT) | instid1(VALU_DEP_1)
	v_div_fixup_f32 v92, v93, v92, 1.0
	v_mul_f32_e64 v93, v91, -v92
.LBB82_156:
	s_or_b32 exec_lo, exec_lo, s1
.LBB82_157:
	s_delay_alu instid0(SALU_CYCLE_1) | instskip(NEXT) | instid1(SALU_CYCLE_1)
	s_or_b32 exec_lo, exec_lo, s0
	s_mov_b32 s0, exec_lo
	v_cmpx_ne_u32_e64 v98, v90
	s_xor_b32 s0, exec_lo, s0
	s_cbranch_execz .LBB82_163
; %bb.158:
	s_mov_b32 s1, exec_lo
	v_cmpx_eq_u32_e32 7, v98
	s_cbranch_execz .LBB82_162
; %bb.159:
	v_cmp_ne_u32_e32 vcc_lo, 7, v90
	s_xor_b32 s12, s16, -1
	s_delay_alu instid0(SALU_CYCLE_1) | instskip(NEXT) | instid1(SALU_CYCLE_1)
	s_and_b32 s13, s12, vcc_lo
	s_and_saveexec_b32 s12, s13
	s_cbranch_execz .LBB82_161
; %bb.160:
	v_ashrrev_i32_e32 v91, 31, v90
	s_delay_alu instid0(VALU_DEP_1)
	v_lshl_add_u64 v[98:99], v[90:91], 2, v[4:5]
	s_clause 0x1
	global_load_b32 v91, v[98:99], off
	global_load_b32 v97, v[4:5], off offset:28
	s_wait_loadcnt 0x1
	global_store_b32 v[4:5], v91, off offset:28
	s_wait_loadcnt 0x0
	global_store_b32 v[98:99], v97, off
.LBB82_161:
	s_wait_xcnt 0x0
	s_or_b32 exec_lo, exec_lo, s12
	v_dual_mov_b32 v98, v90 :: v_dual_mov_b32 v97, v90
.LBB82_162:
	s_or_b32 exec_lo, exec_lo, s1
.LBB82_163:
	s_and_not1_saveexec_b32 s0, s0
	s_cbranch_execz .LBB82_165
; %bb.164:
	v_dual_mov_b32 v90, v68 :: v_dual_mov_b32 v91, v69
	v_dual_mov_b32 v98, v22 :: v_dual_mov_b32 v99, v23
	ds_store_2addr_b64 v94, v[90:91], v[98:99] offset0:8 offset1:9
	v_dual_mov_b32 v90, v26 :: v_dual_mov_b32 v91, v27
	v_dual_mov_b32 v98, v20 :: v_dual_mov_b32 v99, v21
	ds_store_2addr_b64 v94, v[90:91], v[98:99] offset0:10 offset1:11
	;; [unrolled: 3-line block ×16, first 2 shown]
	v_dual_mov_b32 v90, v24 :: v_dual_mov_b32 v91, v25
	v_mov_b32_e32 v98, 7
	ds_store_2addr_b64 v94, v[90:91], v[88:89] offset0:40 offset1:41
.LBB82_165:
	s_or_b32 exec_lo, exec_lo, s0
	s_delay_alu instid0(SALU_CYCLE_1)
	s_mov_b32 s0, exec_lo
	s_wait_storecnt_dscnt 0x0
	s_barrier_signal -1
	s_barrier_wait -1
	v_cmpx_lt_i32_e32 7, v98
	s_cbranch_execz .LBB82_167
; %bb.166:
	v_pk_mul_f32 v[100:101], v[92:93], v[14:15] op_sel:[1,1] op_sel_hi:[0,1]
	s_delay_alu instid0(VALU_DEP_1)
	v_pk_fma_f32 v[90:91], v[92:93], v[14:15], v[100:101] op_sel_hi:[1,0,1] neg_lo:[0,0,1] neg_hi:[0,0,1]
	v_pk_fma_f32 v[92:93], v[92:93], v[14:15], v[100:101] op_sel_hi:[1,0,1]
	ds_load_2addr_b64 v[100:103], v94 offset0:8 offset1:9
	v_dual_mov_b32 v14, v90 :: v_dual_mov_b32 v15, v93
	s_wait_dscnt 0x0
	v_pk_mul_f32 v[104:105], v[100:101], v[92:93] op_sel:[0,1]
	s_delay_alu instid0(VALU_DEP_1) | instskip(SKIP_1) | instid1(VALU_DEP_1)
	v_pk_fma_f32 v[106:107], v[100:101], v[90:91], v[104:105] op_sel:[0,0,1] op_sel_hi:[1,1,0] neg_lo:[0,0,1] neg_hi:[0,0,1]
	v_pk_fma_f32 v[100:101], v[100:101], v[90:91], v[104:105] op_sel:[0,0,1] op_sel_hi:[1,0,0]
	v_mov_b32_e32 v107, v101
	v_pk_mul_f32 v[100:101], v[102:103], v[92:93] op_sel:[0,1]
	s_delay_alu instid0(VALU_DEP_1) | instskip(SKIP_1) | instid1(VALU_DEP_1)
	v_pk_fma_f32 v[104:105], v[102:103], v[90:91], v[100:101] op_sel:[0,0,1] op_sel_hi:[1,1,0] neg_lo:[0,0,1] neg_hi:[0,0,1]
	v_pk_fma_f32 v[100:101], v[102:103], v[90:91], v[100:101] op_sel:[0,0,1] op_sel_hi:[1,0,0]
	v_mov_b32_e32 v105, v101
	ds_load_2addr_b64 v[100:103], v94 offset0:10 offset1:11
	v_pk_add_f32 v[68:69], v[68:69], v[106:107] neg_lo:[0,1] neg_hi:[0,1]
	v_pk_add_f32 v[22:23], v[22:23], v[104:105] neg_lo:[0,1] neg_hi:[0,1]
	s_wait_dscnt 0x0
	v_pk_mul_f32 v[104:105], v[100:101], v[92:93] op_sel:[0,1]
	s_delay_alu instid0(VALU_DEP_1) | instskip(SKIP_2) | instid1(VALU_DEP_2)
	v_pk_fma_f32 v[106:107], v[100:101], v[90:91], v[104:105] op_sel:[0,0,1] op_sel_hi:[1,1,0] neg_lo:[0,0,1] neg_hi:[0,0,1]
	v_pk_fma_f32 v[100:101], v[100:101], v[90:91], v[104:105] op_sel:[0,0,1] op_sel_hi:[1,0,0]
	v_dual_mul_f32 v104, v103, v93 :: v_dual_mov_b32 v100, v103
	v_dual_mov_b32 v107, v101 :: v_dual_mov_b32 v101, v102
	s_delay_alu instid0(VALU_DEP_2) | instskip(SKIP_1) | instid1(VALU_DEP_3)
	v_pk_fma_f32 v[104:105], v[102:103], v[14:15], v[104:105] op_sel_hi:[1,1,0] neg_lo:[0,0,1] neg_hi:[0,0,1]
	v_mul_f32_e32 v102, v103, v90
	v_pk_add_f32 v[26:27], v[26:27], v[106:107] neg_lo:[0,1] neg_hi:[0,1]
	s_delay_alu instid0(VALU_DEP_2) | instskip(NEXT) | instid1(VALU_DEP_1)
	v_pk_fma_f32 v[100:101], v[100:101], v[14:15], v[102:103] op_sel_hi:[1,1,0]
	v_mov_b32_e32 v105, v101
	ds_load_2addr_b64 v[100:103], v94 offset0:12 offset1:13
	v_pk_add_f32 v[20:21], v[20:21], v[104:105] neg_lo:[0,1] neg_hi:[0,1]
	s_wait_dscnt 0x0
	v_pk_mul_f32 v[104:105], v[100:101], v[92:93] op_sel:[0,1]
	s_delay_alu instid0(VALU_DEP_1) | instskip(SKIP_1) | instid1(VALU_DEP_1)
	v_pk_fma_f32 v[106:107], v[100:101], v[90:91], v[104:105] op_sel:[0,0,1] op_sel_hi:[1,1,0] neg_lo:[0,0,1] neg_hi:[0,0,1]
	v_pk_fma_f32 v[100:101], v[100:101], v[90:91], v[104:105] op_sel:[0,0,1] op_sel_hi:[1,0,0]
	v_mov_b32_e32 v107, v101
	v_pk_mul_f32 v[100:101], v[102:103], v[92:93] op_sel:[0,1]
	s_delay_alu instid0(VALU_DEP_1) | instskip(SKIP_1) | instid1(VALU_DEP_1)
	v_pk_fma_f32 v[104:105], v[102:103], v[90:91], v[100:101] op_sel:[0,0,1] op_sel_hi:[1,1,0] neg_lo:[0,0,1] neg_hi:[0,0,1]
	v_pk_fma_f32 v[100:101], v[102:103], v[90:91], v[100:101] op_sel:[0,0,1] op_sel_hi:[1,0,0]
	v_mov_b32_e32 v105, v101
	ds_load_2addr_b64 v[100:103], v94 offset0:14 offset1:15
	v_pk_add_f32 v[78:79], v[78:79], v[106:107] neg_lo:[0,1] neg_hi:[0,1]
	v_pk_add_f32 v[58:59], v[58:59], v[104:105] neg_lo:[0,1] neg_hi:[0,1]
	s_wait_dscnt 0x0
	v_pk_mul_f32 v[104:105], v[100:101], v[92:93] op_sel:[0,1]
	s_delay_alu instid0(VALU_DEP_1) | instskip(SKIP_1) | instid1(VALU_DEP_1)
	v_pk_fma_f32 v[106:107], v[100:101], v[90:91], v[104:105] op_sel:[0,0,1] op_sel_hi:[1,1,0] neg_lo:[0,0,1] neg_hi:[0,0,1]
	v_pk_fma_f32 v[100:101], v[100:101], v[90:91], v[104:105] op_sel:[0,0,1] op_sel_hi:[1,0,0]
	v_mov_b32_e32 v107, v101
	v_pk_mul_f32 v[100:101], v[102:103], v[92:93] op_sel:[0,1]
	s_delay_alu instid0(VALU_DEP_1) | instskip(SKIP_1) | instid1(VALU_DEP_1)
	v_pk_fma_f32 v[104:105], v[102:103], v[90:91], v[100:101] op_sel:[0,0,1] op_sel_hi:[1,1,0] neg_lo:[0,0,1] neg_hi:[0,0,1]
	v_pk_fma_f32 v[100:101], v[102:103], v[90:91], v[100:101] op_sel:[0,0,1] op_sel_hi:[1,0,0]
	v_mov_b32_e32 v105, v101
	ds_load_2addr_b64 v[100:103], v94 offset0:16 offset1:17
	v_pk_add_f32 v[60:61], v[60:61], v[106:107] neg_lo:[0,1] neg_hi:[0,1]
	v_pk_add_f32 v[56:57], v[56:57], v[104:105] neg_lo:[0,1] neg_hi:[0,1]
	s_wait_dscnt 0x0
	v_dual_mul_f32 v104, v101, v93 :: v_dual_mul_f32 v106, v101, v90
	s_delay_alu instid0(VALU_DEP_1) | instskip(NEXT) | instid1(VALU_DEP_2)
	v_pk_fma_f32 v[104:105], v[100:101], v[14:15], v[104:105] op_sel_hi:[1,1,0] neg_lo:[0,0,1] neg_hi:[0,0,1]
	v_pk_fma_f32 v[100:101], v[100:101], v[14:15], v[106:107] op_sel:[1,0,0] op_sel_hi:[0,1,0]
	s_delay_alu instid0(VALU_DEP_1) | instskip(SKIP_1) | instid1(VALU_DEP_2)
	v_mov_b32_e32 v105, v101
	v_pk_mul_f32 v[100:101], v[102:103], v[92:93] op_sel:[0,1]
	v_pk_add_f32 v[76:77], v[76:77], v[104:105] neg_lo:[0,1] neg_hi:[0,1]
	s_delay_alu instid0(VALU_DEP_2) | instskip(SKIP_1) | instid1(VALU_DEP_1)
	v_pk_fma_f32 v[104:105], v[102:103], v[90:91], v[100:101] op_sel:[0,0,1] op_sel_hi:[1,1,0] neg_lo:[0,0,1] neg_hi:[0,0,1]
	v_pk_fma_f32 v[100:101], v[102:103], v[90:91], v[100:101] op_sel:[0,0,1] op_sel_hi:[1,0,0]
	v_mov_b32_e32 v105, v101
	ds_load_2addr_b64 v[100:103], v94 offset0:18 offset1:19
	v_pk_add_f32 v[50:51], v[50:51], v[104:105] neg_lo:[0,1] neg_hi:[0,1]
	s_wait_dscnt 0x0
	v_pk_mul_f32 v[104:105], v[100:101], v[92:93] op_sel:[0,1]
	s_delay_alu instid0(VALU_DEP_1) | instskip(SKIP_1) | instid1(VALU_DEP_1)
	v_pk_fma_f32 v[106:107], v[100:101], v[90:91], v[104:105] op_sel:[0,0,1] op_sel_hi:[1,1,0] neg_lo:[0,0,1] neg_hi:[0,0,1]
	v_pk_fma_f32 v[100:101], v[100:101], v[90:91], v[104:105] op_sel:[0,0,1] op_sel_hi:[1,0,0]
	v_mov_b32_e32 v107, v101
	v_pk_mul_f32 v[100:101], v[102:103], v[92:93] op_sel:[0,1]
	s_delay_alu instid0(VALU_DEP_2) | instskip(NEXT) | instid1(VALU_DEP_2)
	v_pk_add_f32 v[52:53], v[52:53], v[106:107] neg_lo:[0,1] neg_hi:[0,1]
	v_pk_fma_f32 v[104:105], v[102:103], v[90:91], v[100:101] op_sel:[0,0,1] op_sel_hi:[1,1,0] neg_lo:[0,0,1] neg_hi:[0,0,1]
	v_pk_fma_f32 v[100:101], v[102:103], v[90:91], v[100:101] op_sel:[0,0,1] op_sel_hi:[1,0,0]
	s_delay_alu instid0(VALU_DEP_1) | instskip(SKIP_4) | instid1(VALU_DEP_1)
	v_mov_b32_e32 v105, v101
	ds_load_2addr_b64 v[100:103], v94 offset0:20 offset1:21
	v_pk_add_f32 v[48:49], v[48:49], v[104:105] neg_lo:[0,1] neg_hi:[0,1]
	s_wait_dscnt 0x0
	v_pk_mul_f32 v[104:105], v[100:101], v[92:93] op_sel:[0,1]
	v_pk_fma_f32 v[106:107], v[100:101], v[90:91], v[104:105] op_sel:[0,0,1] op_sel_hi:[1,1,0] neg_lo:[0,0,1] neg_hi:[0,0,1]
	v_pk_fma_f32 v[100:101], v[100:101], v[90:91], v[104:105] op_sel:[0,0,1] op_sel_hi:[1,0,0]
	v_dual_mul_f32 v104, v103, v93 :: v_dual_mov_b32 v100, v103
	s_delay_alu instid0(VALU_DEP_2) | instskip(NEXT) | instid1(VALU_DEP_2)
	v_dual_mov_b32 v107, v101 :: v_dual_mov_b32 v101, v102
	v_pk_fma_f32 v[104:105], v[102:103], v[14:15], v[104:105] op_sel_hi:[1,1,0] neg_lo:[0,0,1] neg_hi:[0,0,1]
	v_mul_f32_e32 v102, v103, v90
	s_delay_alu instid0(VALU_DEP_3) | instskip(NEXT) | instid1(VALU_DEP_2)
	v_pk_add_f32 v[74:75], v[74:75], v[106:107] neg_lo:[0,1] neg_hi:[0,1]
	v_pk_fma_f32 v[100:101], v[100:101], v[14:15], v[102:103] op_sel_hi:[1,1,0]
	s_delay_alu instid0(VALU_DEP_1) | instskip(SKIP_4) | instid1(VALU_DEP_1)
	v_mov_b32_e32 v105, v101
	ds_load_2addr_b64 v[100:103], v94 offset0:22 offset1:23
	v_pk_add_f32 v[44:45], v[44:45], v[104:105] neg_lo:[0,1] neg_hi:[0,1]
	s_wait_dscnt 0x0
	v_pk_mul_f32 v[104:105], v[100:101], v[92:93] op_sel:[0,1]
	v_pk_fma_f32 v[106:107], v[100:101], v[90:91], v[104:105] op_sel:[0,0,1] op_sel_hi:[1,1,0] neg_lo:[0,0,1] neg_hi:[0,0,1]
	v_pk_fma_f32 v[100:101], v[100:101], v[90:91], v[104:105] op_sel:[0,0,1] op_sel_hi:[1,0,0]
	s_delay_alu instid0(VALU_DEP_1) | instskip(SKIP_1) | instid1(VALU_DEP_1)
	v_mov_b32_e32 v107, v101
	v_pk_mul_f32 v[100:101], v[102:103], v[92:93] op_sel:[0,1]
	v_pk_fma_f32 v[104:105], v[102:103], v[90:91], v[100:101] op_sel:[0,0,1] op_sel_hi:[1,1,0] neg_lo:[0,0,1] neg_hi:[0,0,1]
	v_pk_fma_f32 v[100:101], v[102:103], v[90:91], v[100:101] op_sel:[0,0,1] op_sel_hi:[1,0,0]
	s_delay_alu instid0(VALU_DEP_1)
	v_mov_b32_e32 v105, v101
	ds_load_2addr_b64 v[100:103], v94 offset0:24 offset1:25
	v_pk_add_f32 v[46:47], v[46:47], v[106:107] neg_lo:[0,1] neg_hi:[0,1]
	v_pk_add_f32 v[42:43], v[42:43], v[104:105] neg_lo:[0,1] neg_hi:[0,1]
	s_wait_dscnt 0x0
	v_pk_mul_f32 v[104:105], v[100:101], v[92:93] op_sel:[0,1]
	s_delay_alu instid0(VALU_DEP_1) | instskip(SKIP_1) | instid1(VALU_DEP_1)
	v_pk_fma_f32 v[106:107], v[100:101], v[90:91], v[104:105] op_sel:[0,0,1] op_sel_hi:[1,1,0] neg_lo:[0,0,1] neg_hi:[0,0,1]
	v_pk_fma_f32 v[100:101], v[100:101], v[90:91], v[104:105] op_sel:[0,0,1] op_sel_hi:[1,0,0]
	v_mov_b32_e32 v107, v101
	v_pk_mul_f32 v[100:101], v[102:103], v[92:93] op_sel:[0,1]
	s_delay_alu instid0(VALU_DEP_1) | instskip(SKIP_1) | instid1(VALU_DEP_1)
	v_pk_fma_f32 v[104:105], v[102:103], v[90:91], v[100:101] op_sel:[0,0,1] op_sel_hi:[1,1,0] neg_lo:[0,0,1] neg_hi:[0,0,1]
	v_pk_fma_f32 v[100:101], v[102:103], v[90:91], v[100:101] op_sel:[0,0,1] op_sel_hi:[1,0,0]
	v_mov_b32_e32 v105, v101
	ds_load_2addr_b64 v[100:103], v94 offset0:26 offset1:27
	v_pk_add_f32 v[72:73], v[72:73], v[106:107] neg_lo:[0,1] neg_hi:[0,1]
	v_pk_add_f32 v[36:37], v[36:37], v[104:105] neg_lo:[0,1] neg_hi:[0,1]
	s_wait_dscnt 0x0
	v_dual_mul_f32 v104, v101, v93 :: v_dual_mul_f32 v106, v101, v90
	s_delay_alu instid0(VALU_DEP_1) | instskip(NEXT) | instid1(VALU_DEP_2)
	v_pk_fma_f32 v[104:105], v[100:101], v[14:15], v[104:105] op_sel_hi:[1,1,0] neg_lo:[0,0,1] neg_hi:[0,0,1]
	v_pk_fma_f32 v[100:101], v[100:101], v[14:15], v[106:107] op_sel:[1,0,0] op_sel_hi:[0,1,0]
	s_delay_alu instid0(VALU_DEP_1) | instskip(SKIP_1) | instid1(VALU_DEP_2)
	v_mov_b32_e32 v105, v101
	v_pk_mul_f32 v[100:101], v[102:103], v[92:93] op_sel:[0,1]
	v_pk_add_f32 v[38:39], v[38:39], v[104:105] neg_lo:[0,1] neg_hi:[0,1]
	s_delay_alu instid0(VALU_DEP_2) | instskip(SKIP_1) | instid1(VALU_DEP_1)
	v_pk_fma_f32 v[104:105], v[102:103], v[90:91], v[100:101] op_sel:[0,0,1] op_sel_hi:[1,1,0] neg_lo:[0,0,1] neg_hi:[0,0,1]
	v_pk_fma_f32 v[100:101], v[102:103], v[90:91], v[100:101] op_sel:[0,0,1] op_sel_hi:[1,0,0]
	v_mov_b32_e32 v105, v101
	ds_load_2addr_b64 v[100:103], v94 offset0:28 offset1:29
	v_pk_add_f32 v[34:35], v[34:35], v[104:105] neg_lo:[0,1] neg_hi:[0,1]
	s_wait_dscnt 0x0
	v_pk_mul_f32 v[104:105], v[100:101], v[92:93] op_sel:[0,1]
	s_delay_alu instid0(VALU_DEP_1) | instskip(SKIP_1) | instid1(VALU_DEP_1)
	v_pk_fma_f32 v[106:107], v[100:101], v[90:91], v[104:105] op_sel:[0,0,1] op_sel_hi:[1,1,0] neg_lo:[0,0,1] neg_hi:[0,0,1]
	v_pk_fma_f32 v[100:101], v[100:101], v[90:91], v[104:105] op_sel:[0,0,1] op_sel_hi:[1,0,0]
	v_mov_b32_e32 v107, v101
	v_pk_mul_f32 v[100:101], v[102:103], v[92:93] op_sel:[0,1]
	s_delay_alu instid0(VALU_DEP_2) | instskip(NEXT) | instid1(VALU_DEP_2)
	v_pk_add_f32 v[70:71], v[70:71], v[106:107] neg_lo:[0,1] neg_hi:[0,1]
	v_pk_fma_f32 v[104:105], v[102:103], v[90:91], v[100:101] op_sel:[0,0,1] op_sel_hi:[1,1,0] neg_lo:[0,0,1] neg_hi:[0,0,1]
	v_pk_fma_f32 v[100:101], v[102:103], v[90:91], v[100:101] op_sel:[0,0,1] op_sel_hi:[1,0,0]
	s_delay_alu instid0(VALU_DEP_1) | instskip(SKIP_4) | instid1(VALU_DEP_1)
	v_mov_b32_e32 v105, v101
	ds_load_2addr_b64 v[100:103], v94 offset0:30 offset1:31
	v_pk_add_f32 v[30:31], v[30:31], v[104:105] neg_lo:[0,1] neg_hi:[0,1]
	s_wait_dscnt 0x0
	v_pk_mul_f32 v[104:105], v[100:101], v[92:93] op_sel:[0,1]
	v_pk_fma_f32 v[106:107], v[100:101], v[90:91], v[104:105] op_sel:[0,0,1] op_sel_hi:[1,1,0] neg_lo:[0,0,1] neg_hi:[0,0,1]
	v_pk_fma_f32 v[100:101], v[100:101], v[90:91], v[104:105] op_sel:[0,0,1] op_sel_hi:[1,0,0]
	v_dual_mul_f32 v104, v103, v93 :: v_dual_mov_b32 v100, v103
	s_delay_alu instid0(VALU_DEP_2) | instskip(NEXT) | instid1(VALU_DEP_2)
	v_dual_mov_b32 v107, v101 :: v_dual_mov_b32 v101, v102
	v_pk_fma_f32 v[104:105], v[102:103], v[14:15], v[104:105] op_sel_hi:[1,1,0] neg_lo:[0,0,1] neg_hi:[0,0,1]
	v_mul_f32_e32 v102, v103, v90
	s_delay_alu instid0(VALU_DEP_3) | instskip(NEXT) | instid1(VALU_DEP_2)
	v_pk_add_f32 v[32:33], v[32:33], v[106:107] neg_lo:[0,1] neg_hi:[0,1]
	v_pk_fma_f32 v[100:101], v[100:101], v[14:15], v[102:103] op_sel_hi:[1,1,0]
	s_delay_alu instid0(VALU_DEP_1) | instskip(SKIP_4) | instid1(VALU_DEP_1)
	v_mov_b32_e32 v105, v101
	ds_load_2addr_b64 v[100:103], v94 offset0:32 offset1:33
	v_pk_add_f32 v[28:29], v[28:29], v[104:105] neg_lo:[0,1] neg_hi:[0,1]
	s_wait_dscnt 0x0
	v_pk_mul_f32 v[104:105], v[100:101], v[92:93] op_sel:[0,1]
	v_pk_fma_f32 v[106:107], v[100:101], v[90:91], v[104:105] op_sel:[0,0,1] op_sel_hi:[1,1,0] neg_lo:[0,0,1] neg_hi:[0,0,1]
	v_pk_fma_f32 v[100:101], v[100:101], v[90:91], v[104:105] op_sel:[0,0,1] op_sel_hi:[1,0,0]
	s_delay_alu instid0(VALU_DEP_1) | instskip(SKIP_1) | instid1(VALU_DEP_1)
	v_mov_b32_e32 v107, v101
	v_pk_mul_f32 v[100:101], v[102:103], v[92:93] op_sel:[0,1]
	v_pk_fma_f32 v[104:105], v[102:103], v[90:91], v[100:101] op_sel:[0,0,1] op_sel_hi:[1,1,0] neg_lo:[0,0,1] neg_hi:[0,0,1]
	v_pk_fma_f32 v[100:101], v[102:103], v[90:91], v[100:101] op_sel:[0,0,1] op_sel_hi:[1,0,0]
	s_delay_alu instid0(VALU_DEP_1)
	v_mov_b32_e32 v105, v101
	ds_load_2addr_b64 v[100:103], v94 offset0:34 offset1:35
	v_pk_add_f32 v[64:65], v[64:65], v[106:107] neg_lo:[0,1] neg_hi:[0,1]
	v_pk_add_f32 v[10:11], v[10:11], v[104:105] neg_lo:[0,1] neg_hi:[0,1]
	s_wait_dscnt 0x0
	v_pk_mul_f32 v[104:105], v[100:101], v[92:93] op_sel:[0,1]
	s_delay_alu instid0(VALU_DEP_1) | instskip(SKIP_1) | instid1(VALU_DEP_1)
	v_pk_fma_f32 v[106:107], v[100:101], v[90:91], v[104:105] op_sel:[0,0,1] op_sel_hi:[1,1,0] neg_lo:[0,0,1] neg_hi:[0,0,1]
	v_pk_fma_f32 v[100:101], v[100:101], v[90:91], v[104:105] op_sel:[0,0,1] op_sel_hi:[1,0,0]
	v_mov_b32_e32 v107, v101
	v_pk_mul_f32 v[100:101], v[102:103], v[92:93] op_sel:[0,1]
	s_delay_alu instid0(VALU_DEP_1) | instskip(SKIP_1) | instid1(VALU_DEP_1)
	v_pk_fma_f32 v[104:105], v[102:103], v[90:91], v[100:101] op_sel:[0,0,1] op_sel_hi:[1,1,0] neg_lo:[0,0,1] neg_hi:[0,0,1]
	v_pk_fma_f32 v[100:101], v[102:103], v[90:91], v[100:101] op_sel:[0,0,1] op_sel_hi:[1,0,0]
	v_mov_b32_e32 v105, v101
	ds_load_2addr_b64 v[100:103], v94 offset0:36 offset1:37
	v_pk_add_f32 v[12:13], v[12:13], v[106:107] neg_lo:[0,1] neg_hi:[0,1]
	v_pk_add_f32 v[8:9], v[8:9], v[104:105] neg_lo:[0,1] neg_hi:[0,1]
	s_wait_dscnt 0x0
	v_dual_mul_f32 v104, v101, v93 :: v_dual_mul_f32 v106, v101, v90
	s_delay_alu instid0(VALU_DEP_1) | instskip(NEXT) | instid1(VALU_DEP_2)
	v_pk_fma_f32 v[104:105], v[100:101], v[14:15], v[104:105] op_sel_hi:[1,1,0] neg_lo:[0,0,1] neg_hi:[0,0,1]
	v_pk_fma_f32 v[100:101], v[100:101], v[14:15], v[106:107] op_sel:[1,0,0] op_sel_hi:[0,1,0]
	s_delay_alu instid0(VALU_DEP_1) | instskip(SKIP_1) | instid1(VALU_DEP_2)
	v_mov_b32_e32 v105, v101
	v_pk_mul_f32 v[100:101], v[102:103], v[92:93] op_sel:[0,1]
	v_pk_add_f32 v[62:63], v[62:63], v[104:105] neg_lo:[0,1] neg_hi:[0,1]
	s_delay_alu instid0(VALU_DEP_2) | instskip(SKIP_1) | instid1(VALU_DEP_1)
	v_pk_fma_f32 v[104:105], v[102:103], v[90:91], v[100:101] op_sel:[0,0,1] op_sel_hi:[1,1,0] neg_lo:[0,0,1] neg_hi:[0,0,1]
	v_pk_fma_f32 v[100:101], v[102:103], v[90:91], v[100:101] op_sel:[0,0,1] op_sel_hi:[1,0,0]
	v_mov_b32_e32 v105, v101
	ds_load_2addr_b64 v[100:103], v94 offset0:38 offset1:39
	v_pk_add_f32 v[6:7], v[6:7], v[104:105] neg_lo:[0,1] neg_hi:[0,1]
	s_wait_dscnt 0x0
	v_pk_mul_f32 v[104:105], v[100:101], v[92:93] op_sel:[0,1]
	s_delay_alu instid0(VALU_DEP_1) | instskip(SKIP_1) | instid1(VALU_DEP_1)
	v_pk_fma_f32 v[106:107], v[100:101], v[90:91], v[104:105] op_sel:[0,0,1] op_sel_hi:[1,1,0] neg_lo:[0,0,1] neg_hi:[0,0,1]
	v_pk_fma_f32 v[100:101], v[100:101], v[90:91], v[104:105] op_sel:[0,0,1] op_sel_hi:[1,0,0]
	v_mov_b32_e32 v107, v101
	v_pk_mul_f32 v[100:101], v[102:103], v[92:93] op_sel:[0,1]
	s_delay_alu instid0(VALU_DEP_2) | instskip(NEXT) | instid1(VALU_DEP_2)
	v_pk_add_f32 v[54:55], v[54:55], v[106:107] neg_lo:[0,1] neg_hi:[0,1]
	v_pk_fma_f32 v[104:105], v[102:103], v[90:91], v[100:101] op_sel:[0,0,1] op_sel_hi:[1,1,0] neg_lo:[0,0,1] neg_hi:[0,0,1]
	v_pk_fma_f32 v[100:101], v[102:103], v[90:91], v[100:101] op_sel:[0,0,1] op_sel_hi:[1,0,0]
	s_delay_alu instid0(VALU_DEP_1)
	v_mov_b32_e32 v105, v101
	ds_load_2addr_b64 v[100:103], v94 offset0:40 offset1:41
	v_pk_add_f32 v[40:41], v[40:41], v[104:105] neg_lo:[0,1] neg_hi:[0,1]
	s_wait_dscnt 0x0
	v_pk_mul_f32 v[104:105], v[100:101], v[92:93] op_sel:[0,1]
	v_pk_mul_f32 v[92:93], v[102:103], v[92:93] op_sel:[0,1]
	s_delay_alu instid0(VALU_DEP_2) | instskip(SKIP_1) | instid1(VALU_DEP_1)
	v_pk_fma_f32 v[106:107], v[100:101], v[90:91], v[104:105] op_sel:[0,0,1] op_sel_hi:[1,1,0] neg_lo:[0,0,1] neg_hi:[0,0,1]
	v_pk_fma_f32 v[100:101], v[100:101], v[90:91], v[104:105] op_sel:[0,0,1] op_sel_hi:[1,0,0]
	v_mov_b32_e32 v107, v101
	s_delay_alu instid0(VALU_DEP_4) | instskip(SKIP_1) | instid1(VALU_DEP_3)
	v_pk_fma_f32 v[100:101], v[102:103], v[90:91], v[92:93] op_sel:[0,0,1] op_sel_hi:[1,1,0] neg_lo:[0,0,1] neg_hi:[0,0,1]
	v_pk_fma_f32 v[90:91], v[102:103], v[90:91], v[92:93] op_sel:[0,0,1] op_sel_hi:[1,0,0]
	v_pk_add_f32 v[24:25], v[24:25], v[106:107] neg_lo:[0,1] neg_hi:[0,1]
	s_delay_alu instid0(VALU_DEP_2) | instskip(NEXT) | instid1(VALU_DEP_1)
	v_mov_b32_e32 v101, v91
	v_pk_add_f32 v[88:89], v[88:89], v[100:101] neg_lo:[0,1] neg_hi:[0,1]
.LBB82_167:
	s_or_b32 exec_lo, exec_lo, s0
	v_lshl_add_u32 v90, v98, 3, v94
	s_barrier_signal -1
	s_barrier_wait -1
	ds_store_b64 v90, v[68:69]
	s_wait_dscnt 0x0
	s_barrier_signal -1
	s_barrier_wait -1
	ds_load_b64 v[92:93], v94 offset:64
	v_mov_b32_e32 v90, 8
	s_cmp_lt_i32 s18, 10
	s_cbranch_scc1 .LBB82_170
; %bb.168:
	v_add3_u32 v91, v95, 0, 0x48
	v_mov_b32_e32 v90, 8
	s_mov_b32 s0, 9
.LBB82_169:                             ; =>This Inner Loop Header: Depth=1
	ds_load_b64 v[100:101], v91
	s_wait_dscnt 0x1
	v_cmp_gt_f32_e32 vcc_lo, 0, v92
	v_cndmask_b32_e64 v102, v92, -v92, vcc_lo
	v_cmp_gt_f32_e32 vcc_lo, 0, v93
	v_cndmask_b32_e64 v104, v93, -v93, vcc_lo
	s_wait_dscnt 0x0
	v_cmp_gt_f32_e32 vcc_lo, 0, v100
	v_cndmask_b32_e64 v103, v100, -v100, vcc_lo
	v_cmp_gt_f32_e32 vcc_lo, 0, v101
	v_cndmask_b32_e64 v105, v101, -v101, vcc_lo
	s_delay_alu instid0(VALU_DEP_1) | instskip(NEXT) | instid1(VALU_DEP_1)
	v_pk_add_f32 v[102:103], v[102:103], v[104:105]
	v_cmp_lt_f32_e32 vcc_lo, v102, v103
	v_dual_add_nc_u32 v91, 8, v91 :: v_dual_cndmask_b32 v93, v93, v101, vcc_lo
	v_cndmask_b32_e32 v92, v92, v100, vcc_lo
	v_cndmask_b32_e64 v90, v90, s0, vcc_lo
	s_add_co_i32 s0, s0, 1
	s_delay_alu instid0(SALU_CYCLE_1)
	s_cmp_lg_u32 s18, s0
	s_cbranch_scc1 .LBB82_169
.LBB82_170:
	s_wait_dscnt 0x0
	v_cmp_eq_f32_e32 vcc_lo, 0, v92
	v_cmp_eq_f32_e64 s0, 0, v93
	s_and_b32 s0, vcc_lo, s0
	s_delay_alu instid0(SALU_CYCLE_1) | instskip(NEXT) | instid1(SALU_CYCLE_1)
	s_and_saveexec_b32 s1, s0
	s_xor_b32 s0, exec_lo, s1
; %bb.171:
	v_cmp_ne_u32_e32 vcc_lo, 0, v96
	v_cndmask_b32_e32 v96, 9, v96, vcc_lo
; %bb.172:
	s_and_not1_saveexec_b32 s0, s0
	s_cbranch_execz .LBB82_178
; %bb.173:
	v_cmp_ngt_f32_e64 s1, |v92|, |v93|
	s_and_saveexec_b32 s12, s1
	s_delay_alu instid0(SALU_CYCLE_1)
	s_xor_b32 s1, exec_lo, s12
	s_cbranch_execz .LBB82_175
; %bb.174:
	v_div_scale_f32 v91, null, v93, v93, v92
	v_div_scale_f32 v101, vcc_lo, v92, v93, v92
	s_delay_alu instid0(VALU_DEP_2) | instskip(SKIP_1) | instid1(TRANS32_DEP_1)
	v_rcp_f32_e32 v99, v91
	v_nop
	v_fma_f32 v100, -v91, v99, 1.0
	s_delay_alu instid0(VALU_DEP_1) | instskip(NEXT) | instid1(VALU_DEP_1)
	v_fmac_f32_e32 v99, v100, v99
	v_mul_f32_e32 v100, v101, v99
	s_delay_alu instid0(VALU_DEP_1) | instskip(NEXT) | instid1(VALU_DEP_1)
	v_fma_f32 v102, -v91, v100, v101
	v_fmac_f32_e32 v100, v102, v99
	s_delay_alu instid0(VALU_DEP_1) | instskip(NEXT) | instid1(VALU_DEP_1)
	v_fma_f32 v91, -v91, v100, v101
	v_div_fmas_f32 v91, v91, v99, v100
	s_delay_alu instid0(VALU_DEP_1) | instskip(NEXT) | instid1(VALU_DEP_1)
	v_div_fixup_f32 v91, v91, v93, v92
	v_fmac_f32_e32 v93, v92, v91
	s_delay_alu instid0(VALU_DEP_1) | instskip(SKIP_1) | instid1(VALU_DEP_2)
	v_div_scale_f32 v92, null, v93, v93, 1.0
	v_div_scale_f32 v101, vcc_lo, 1.0, v93, 1.0
	v_rcp_f32_e32 v99, v92
	v_nop
	s_delay_alu instid0(TRANS32_DEP_1) | instskip(NEXT) | instid1(VALU_DEP_1)
	v_fma_f32 v100, -v92, v99, 1.0
	v_fmac_f32_e32 v99, v100, v99
	s_delay_alu instid0(VALU_DEP_1) | instskip(NEXT) | instid1(VALU_DEP_1)
	v_mul_f32_e32 v100, v101, v99
	v_fma_f32 v102, -v92, v100, v101
	s_delay_alu instid0(VALU_DEP_1) | instskip(NEXT) | instid1(VALU_DEP_1)
	v_fmac_f32_e32 v100, v102, v99
	v_fma_f32 v92, -v92, v100, v101
	s_delay_alu instid0(VALU_DEP_1) | instskip(NEXT) | instid1(VALU_DEP_1)
	v_div_fmas_f32 v92, v92, v99, v100
	v_div_fixup_f32 v93, v92, v93, 1.0
	s_delay_alu instid0(VALU_DEP_1)
	v_mul_f32_e32 v92, v91, v93
	v_xor_b32_e32 v93, 0x80000000, v93
.LBB82_175:
	s_and_not1_saveexec_b32 s1, s1
	s_cbranch_execz .LBB82_177
; %bb.176:
	s_delay_alu instid0(VALU_DEP_1) | instskip(SKIP_1) | instid1(VALU_DEP_2)
	v_div_scale_f32 v91, null, v92, v92, v93
	v_div_scale_f32 v101, vcc_lo, v93, v92, v93
	v_rcp_f32_e32 v99, v91
	v_nop
	s_delay_alu instid0(TRANS32_DEP_1) | instskip(NEXT) | instid1(VALU_DEP_1)
	v_fma_f32 v100, -v91, v99, 1.0
	v_fmac_f32_e32 v99, v100, v99
	s_delay_alu instid0(VALU_DEP_1) | instskip(NEXT) | instid1(VALU_DEP_1)
	v_mul_f32_e32 v100, v101, v99
	v_fma_f32 v102, -v91, v100, v101
	s_delay_alu instid0(VALU_DEP_1) | instskip(NEXT) | instid1(VALU_DEP_1)
	v_fmac_f32_e32 v100, v102, v99
	v_fma_f32 v91, -v91, v100, v101
	s_delay_alu instid0(VALU_DEP_1) | instskip(NEXT) | instid1(VALU_DEP_1)
	v_div_fmas_f32 v91, v91, v99, v100
	v_div_fixup_f32 v91, v91, v92, v93
	s_delay_alu instid0(VALU_DEP_1) | instskip(NEXT) | instid1(VALU_DEP_1)
	v_fmac_f32_e32 v92, v93, v91
	v_div_scale_f32 v93, null, v92, v92, 1.0
	s_delay_alu instid0(VALU_DEP_1) | instskip(SKIP_1) | instid1(TRANS32_DEP_1)
	v_rcp_f32_e32 v99, v93
	v_nop
	v_fma_f32 v100, -v93, v99, 1.0
	s_delay_alu instid0(VALU_DEP_1) | instskip(SKIP_1) | instid1(VALU_DEP_1)
	v_fmac_f32_e32 v99, v100, v99
	v_div_scale_f32 v100, vcc_lo, 1.0, v92, 1.0
	v_mul_f32_e32 v101, v100, v99
	s_delay_alu instid0(VALU_DEP_1) | instskip(NEXT) | instid1(VALU_DEP_1)
	v_fma_f32 v102, -v93, v101, v100
	v_fmac_f32_e32 v101, v102, v99
	s_delay_alu instid0(VALU_DEP_1) | instskip(NEXT) | instid1(VALU_DEP_1)
	v_fma_f32 v93, -v93, v101, v100
	v_div_fmas_f32 v93, v93, v99, v101
	s_delay_alu instid0(VALU_DEP_1) | instskip(NEXT) | instid1(VALU_DEP_1)
	v_div_fixup_f32 v92, v93, v92, 1.0
	v_mul_f32_e64 v93, v91, -v92
.LBB82_177:
	s_or_b32 exec_lo, exec_lo, s1
.LBB82_178:
	s_delay_alu instid0(SALU_CYCLE_1) | instskip(NEXT) | instid1(SALU_CYCLE_1)
	s_or_b32 exec_lo, exec_lo, s0
	s_mov_b32 s0, exec_lo
	v_cmpx_ne_u32_e64 v98, v90
	s_xor_b32 s0, exec_lo, s0
	s_cbranch_execz .LBB82_184
; %bb.179:
	s_mov_b32 s1, exec_lo
	v_cmpx_eq_u32_e32 8, v98
	s_cbranch_execz .LBB82_183
; %bb.180:
	v_cmp_ne_u32_e32 vcc_lo, 8, v90
	s_xor_b32 s12, s16, -1
	s_delay_alu instid0(SALU_CYCLE_1) | instskip(NEXT) | instid1(SALU_CYCLE_1)
	s_and_b32 s13, s12, vcc_lo
	s_and_saveexec_b32 s12, s13
	s_cbranch_execz .LBB82_182
; %bb.181:
	v_ashrrev_i32_e32 v91, 31, v90
	s_delay_alu instid0(VALU_DEP_1)
	v_lshl_add_u64 v[98:99], v[90:91], 2, v[4:5]
	s_clause 0x1
	global_load_b32 v91, v[98:99], off
	global_load_b32 v97, v[4:5], off offset:32
	s_wait_loadcnt 0x1
	global_store_b32 v[4:5], v91, off offset:32
	s_wait_loadcnt 0x0
	global_store_b32 v[98:99], v97, off
.LBB82_182:
	s_wait_xcnt 0x0
	s_or_b32 exec_lo, exec_lo, s12
	v_dual_mov_b32 v98, v90 :: v_dual_mov_b32 v97, v90
.LBB82_183:
	s_or_b32 exec_lo, exec_lo, s1
.LBB82_184:
	s_and_not1_saveexec_b32 s0, s0
	s_cbranch_execz .LBB82_186
; %bb.185:
	v_mov_b32_e32 v98, 8
	ds_store_2addr_b64 v94, v[22:23], v[26:27] offset0:9 offset1:10
	ds_store_2addr_b64 v94, v[20:21], v[78:79] offset0:11 offset1:12
	ds_store_2addr_b64 v94, v[58:59], v[60:61] offset0:13 offset1:14
	ds_store_2addr_b64 v94, v[56:57], v[76:77] offset0:15 offset1:16
	ds_store_2addr_b64 v94, v[50:51], v[52:53] offset0:17 offset1:18
	ds_store_2addr_b64 v94, v[48:49], v[74:75] offset0:19 offset1:20
	ds_store_2addr_b64 v94, v[44:45], v[46:47] offset0:21 offset1:22
	ds_store_2addr_b64 v94, v[42:43], v[72:73] offset0:23 offset1:24
	ds_store_2addr_b64 v94, v[36:37], v[38:39] offset0:25 offset1:26
	ds_store_2addr_b64 v94, v[34:35], v[70:71] offset0:27 offset1:28
	ds_store_2addr_b64 v94, v[30:31], v[32:33] offset0:29 offset1:30
	ds_store_2addr_b64 v94, v[28:29], v[64:65] offset0:31 offset1:32
	ds_store_2addr_b64 v94, v[10:11], v[12:13] offset0:33 offset1:34
	ds_store_2addr_b64 v94, v[8:9], v[62:63] offset0:35 offset1:36
	ds_store_2addr_b64 v94, v[6:7], v[54:55] offset0:37 offset1:38
	ds_store_2addr_b64 v94, v[40:41], v[24:25] offset0:39 offset1:40
	ds_store_b64 v94, v[88:89] offset:328
.LBB82_186:
	s_or_b32 exec_lo, exec_lo, s0
	s_delay_alu instid0(SALU_CYCLE_1)
	s_mov_b32 s0, exec_lo
	s_wait_storecnt_dscnt 0x0
	s_barrier_signal -1
	s_barrier_wait -1
	v_cmpx_lt_i32_e32 8, v98
	s_cbranch_execz .LBB82_188
; %bb.187:
	v_pk_mul_f32 v[100:101], v[92:93], v[68:69] op_sel:[1,1] op_sel_hi:[0,1]
	s_delay_alu instid0(VALU_DEP_1)
	v_pk_fma_f32 v[90:91], v[92:93], v[68:69], v[100:101] op_sel_hi:[1,0,1] neg_lo:[0,0,1] neg_hi:[0,0,1]
	v_pk_fma_f32 v[92:93], v[92:93], v[68:69], v[100:101] op_sel_hi:[1,0,1]
	ds_load_2addr_b64 v[100:103], v94 offset0:9 offset1:10
	v_dual_mov_b32 v68, v90 :: v_dual_mov_b32 v69, v93
	s_wait_dscnt 0x0
	v_pk_mul_f32 v[104:105], v[100:101], v[92:93] op_sel:[0,1]
	s_delay_alu instid0(VALU_DEP_1) | instskip(SKIP_1) | instid1(VALU_DEP_1)
	v_pk_fma_f32 v[106:107], v[100:101], v[90:91], v[104:105] op_sel:[0,0,1] op_sel_hi:[1,1,0] neg_lo:[0,0,1] neg_hi:[0,0,1]
	v_pk_fma_f32 v[100:101], v[100:101], v[90:91], v[104:105] op_sel:[0,0,1] op_sel_hi:[1,0,0]
	v_mov_b32_e32 v107, v101
	v_pk_mul_f32 v[100:101], v[102:103], v[92:93] op_sel:[0,1]
	s_delay_alu instid0(VALU_DEP_1) | instskip(SKIP_1) | instid1(VALU_DEP_1)
	v_pk_fma_f32 v[104:105], v[102:103], v[90:91], v[100:101] op_sel:[0,0,1] op_sel_hi:[1,1,0] neg_lo:[0,0,1] neg_hi:[0,0,1]
	v_pk_fma_f32 v[100:101], v[102:103], v[90:91], v[100:101] op_sel:[0,0,1] op_sel_hi:[1,0,0]
	v_mov_b32_e32 v105, v101
	ds_load_2addr_b64 v[100:103], v94 offset0:11 offset1:12
	v_pk_add_f32 v[22:23], v[22:23], v[106:107] neg_lo:[0,1] neg_hi:[0,1]
	v_pk_add_f32 v[26:27], v[26:27], v[104:105] neg_lo:[0,1] neg_hi:[0,1]
	s_wait_dscnt 0x0
	v_pk_mul_f32 v[104:105], v[100:101], v[92:93] op_sel:[0,1]
	s_delay_alu instid0(VALU_DEP_1) | instskip(SKIP_2) | instid1(VALU_DEP_2)
	v_pk_fma_f32 v[106:107], v[100:101], v[90:91], v[104:105] op_sel:[0,0,1] op_sel_hi:[1,1,0] neg_lo:[0,0,1] neg_hi:[0,0,1]
	v_pk_fma_f32 v[100:101], v[100:101], v[90:91], v[104:105] op_sel:[0,0,1] op_sel_hi:[1,0,0]
	v_dual_mul_f32 v104, v103, v93 :: v_dual_mov_b32 v100, v103
	v_dual_mov_b32 v107, v101 :: v_dual_mov_b32 v101, v102
	s_delay_alu instid0(VALU_DEP_2) | instskip(SKIP_1) | instid1(VALU_DEP_3)
	v_pk_fma_f32 v[104:105], v[102:103], v[68:69], v[104:105] op_sel_hi:[1,1,0] neg_lo:[0,0,1] neg_hi:[0,0,1]
	v_mul_f32_e32 v102, v103, v90
	v_pk_add_f32 v[20:21], v[20:21], v[106:107] neg_lo:[0,1] neg_hi:[0,1]
	s_delay_alu instid0(VALU_DEP_2) | instskip(NEXT) | instid1(VALU_DEP_1)
	v_pk_fma_f32 v[100:101], v[100:101], v[68:69], v[102:103] op_sel_hi:[1,1,0]
	v_mov_b32_e32 v105, v101
	ds_load_2addr_b64 v[100:103], v94 offset0:13 offset1:14
	v_pk_add_f32 v[78:79], v[78:79], v[104:105] neg_lo:[0,1] neg_hi:[0,1]
	s_wait_dscnt 0x0
	v_pk_mul_f32 v[104:105], v[100:101], v[92:93] op_sel:[0,1]
	s_delay_alu instid0(VALU_DEP_1) | instskip(SKIP_1) | instid1(VALU_DEP_1)
	v_pk_fma_f32 v[106:107], v[100:101], v[90:91], v[104:105] op_sel:[0,0,1] op_sel_hi:[1,1,0] neg_lo:[0,0,1] neg_hi:[0,0,1]
	v_pk_fma_f32 v[100:101], v[100:101], v[90:91], v[104:105] op_sel:[0,0,1] op_sel_hi:[1,0,0]
	v_mov_b32_e32 v107, v101
	v_pk_mul_f32 v[100:101], v[102:103], v[92:93] op_sel:[0,1]
	s_delay_alu instid0(VALU_DEP_1) | instskip(SKIP_1) | instid1(VALU_DEP_1)
	v_pk_fma_f32 v[104:105], v[102:103], v[90:91], v[100:101] op_sel:[0,0,1] op_sel_hi:[1,1,0] neg_lo:[0,0,1] neg_hi:[0,0,1]
	v_pk_fma_f32 v[100:101], v[102:103], v[90:91], v[100:101] op_sel:[0,0,1] op_sel_hi:[1,0,0]
	v_mov_b32_e32 v105, v101
	ds_load_2addr_b64 v[100:103], v94 offset0:15 offset1:16
	v_pk_add_f32 v[58:59], v[58:59], v[106:107] neg_lo:[0,1] neg_hi:[0,1]
	v_pk_add_f32 v[60:61], v[60:61], v[104:105] neg_lo:[0,1] neg_hi:[0,1]
	s_wait_dscnt 0x0
	v_pk_mul_f32 v[104:105], v[100:101], v[92:93] op_sel:[0,1]
	s_delay_alu instid0(VALU_DEP_1) | instskip(SKIP_1) | instid1(VALU_DEP_1)
	v_pk_fma_f32 v[106:107], v[100:101], v[90:91], v[104:105] op_sel:[0,0,1] op_sel_hi:[1,1,0] neg_lo:[0,0,1] neg_hi:[0,0,1]
	v_pk_fma_f32 v[100:101], v[100:101], v[90:91], v[104:105] op_sel:[0,0,1] op_sel_hi:[1,0,0]
	v_mov_b32_e32 v107, v101
	v_pk_mul_f32 v[100:101], v[102:103], v[92:93] op_sel:[0,1]
	s_delay_alu instid0(VALU_DEP_1) | instskip(SKIP_1) | instid1(VALU_DEP_1)
	v_pk_fma_f32 v[104:105], v[102:103], v[90:91], v[100:101] op_sel:[0,0,1] op_sel_hi:[1,1,0] neg_lo:[0,0,1] neg_hi:[0,0,1]
	v_pk_fma_f32 v[100:101], v[102:103], v[90:91], v[100:101] op_sel:[0,0,1] op_sel_hi:[1,0,0]
	v_mov_b32_e32 v105, v101
	ds_load_2addr_b64 v[100:103], v94 offset0:17 offset1:18
	v_pk_add_f32 v[56:57], v[56:57], v[106:107] neg_lo:[0,1] neg_hi:[0,1]
	v_pk_add_f32 v[76:77], v[76:77], v[104:105] neg_lo:[0,1] neg_hi:[0,1]
	s_wait_dscnt 0x0
	v_dual_mul_f32 v104, v101, v93 :: v_dual_mul_f32 v106, v101, v90
	s_delay_alu instid0(VALU_DEP_1) | instskip(NEXT) | instid1(VALU_DEP_2)
	v_pk_fma_f32 v[104:105], v[100:101], v[68:69], v[104:105] op_sel_hi:[1,1,0] neg_lo:[0,0,1] neg_hi:[0,0,1]
	v_pk_fma_f32 v[100:101], v[100:101], v[68:69], v[106:107] op_sel:[1,0,0] op_sel_hi:[0,1,0]
	s_delay_alu instid0(VALU_DEP_1) | instskip(SKIP_1) | instid1(VALU_DEP_2)
	v_mov_b32_e32 v105, v101
	v_pk_mul_f32 v[100:101], v[102:103], v[92:93] op_sel:[0,1]
	v_pk_add_f32 v[50:51], v[50:51], v[104:105] neg_lo:[0,1] neg_hi:[0,1]
	s_delay_alu instid0(VALU_DEP_2) | instskip(SKIP_1) | instid1(VALU_DEP_1)
	v_pk_fma_f32 v[104:105], v[102:103], v[90:91], v[100:101] op_sel:[0,0,1] op_sel_hi:[1,1,0] neg_lo:[0,0,1] neg_hi:[0,0,1]
	v_pk_fma_f32 v[100:101], v[102:103], v[90:91], v[100:101] op_sel:[0,0,1] op_sel_hi:[1,0,0]
	v_mov_b32_e32 v105, v101
	ds_load_2addr_b64 v[100:103], v94 offset0:19 offset1:20
	v_pk_add_f32 v[52:53], v[52:53], v[104:105] neg_lo:[0,1] neg_hi:[0,1]
	s_wait_dscnt 0x0
	v_pk_mul_f32 v[104:105], v[100:101], v[92:93] op_sel:[0,1]
	s_delay_alu instid0(VALU_DEP_1) | instskip(SKIP_1) | instid1(VALU_DEP_1)
	v_pk_fma_f32 v[106:107], v[100:101], v[90:91], v[104:105] op_sel:[0,0,1] op_sel_hi:[1,1,0] neg_lo:[0,0,1] neg_hi:[0,0,1]
	v_pk_fma_f32 v[100:101], v[100:101], v[90:91], v[104:105] op_sel:[0,0,1] op_sel_hi:[1,0,0]
	v_mov_b32_e32 v107, v101
	v_pk_mul_f32 v[100:101], v[102:103], v[92:93] op_sel:[0,1]
	s_delay_alu instid0(VALU_DEP_2) | instskip(NEXT) | instid1(VALU_DEP_2)
	v_pk_add_f32 v[48:49], v[48:49], v[106:107] neg_lo:[0,1] neg_hi:[0,1]
	v_pk_fma_f32 v[104:105], v[102:103], v[90:91], v[100:101] op_sel:[0,0,1] op_sel_hi:[1,1,0] neg_lo:[0,0,1] neg_hi:[0,0,1]
	v_pk_fma_f32 v[100:101], v[102:103], v[90:91], v[100:101] op_sel:[0,0,1] op_sel_hi:[1,0,0]
	s_delay_alu instid0(VALU_DEP_1) | instskip(SKIP_4) | instid1(VALU_DEP_1)
	v_mov_b32_e32 v105, v101
	ds_load_2addr_b64 v[100:103], v94 offset0:21 offset1:22
	v_pk_add_f32 v[74:75], v[74:75], v[104:105] neg_lo:[0,1] neg_hi:[0,1]
	s_wait_dscnt 0x0
	v_pk_mul_f32 v[104:105], v[100:101], v[92:93] op_sel:[0,1]
	v_pk_fma_f32 v[106:107], v[100:101], v[90:91], v[104:105] op_sel:[0,0,1] op_sel_hi:[1,1,0] neg_lo:[0,0,1] neg_hi:[0,0,1]
	v_pk_fma_f32 v[100:101], v[100:101], v[90:91], v[104:105] op_sel:[0,0,1] op_sel_hi:[1,0,0]
	v_dual_mul_f32 v104, v103, v93 :: v_dual_mov_b32 v100, v103
	s_delay_alu instid0(VALU_DEP_2) | instskip(NEXT) | instid1(VALU_DEP_2)
	v_dual_mov_b32 v107, v101 :: v_dual_mov_b32 v101, v102
	v_pk_fma_f32 v[104:105], v[102:103], v[68:69], v[104:105] op_sel_hi:[1,1,0] neg_lo:[0,0,1] neg_hi:[0,0,1]
	v_mul_f32_e32 v102, v103, v90
	s_delay_alu instid0(VALU_DEP_3) | instskip(NEXT) | instid1(VALU_DEP_2)
	v_pk_add_f32 v[44:45], v[44:45], v[106:107] neg_lo:[0,1] neg_hi:[0,1]
	v_pk_fma_f32 v[100:101], v[100:101], v[68:69], v[102:103] op_sel_hi:[1,1,0]
	s_delay_alu instid0(VALU_DEP_1) | instskip(SKIP_4) | instid1(VALU_DEP_1)
	v_mov_b32_e32 v105, v101
	ds_load_2addr_b64 v[100:103], v94 offset0:23 offset1:24
	v_pk_add_f32 v[46:47], v[46:47], v[104:105] neg_lo:[0,1] neg_hi:[0,1]
	s_wait_dscnt 0x0
	v_pk_mul_f32 v[104:105], v[100:101], v[92:93] op_sel:[0,1]
	v_pk_fma_f32 v[106:107], v[100:101], v[90:91], v[104:105] op_sel:[0,0,1] op_sel_hi:[1,1,0] neg_lo:[0,0,1] neg_hi:[0,0,1]
	v_pk_fma_f32 v[100:101], v[100:101], v[90:91], v[104:105] op_sel:[0,0,1] op_sel_hi:[1,0,0]
	s_delay_alu instid0(VALU_DEP_1) | instskip(SKIP_1) | instid1(VALU_DEP_1)
	v_mov_b32_e32 v107, v101
	v_pk_mul_f32 v[100:101], v[102:103], v[92:93] op_sel:[0,1]
	v_pk_fma_f32 v[104:105], v[102:103], v[90:91], v[100:101] op_sel:[0,0,1] op_sel_hi:[1,1,0] neg_lo:[0,0,1] neg_hi:[0,0,1]
	v_pk_fma_f32 v[100:101], v[102:103], v[90:91], v[100:101] op_sel:[0,0,1] op_sel_hi:[1,0,0]
	s_delay_alu instid0(VALU_DEP_1)
	v_mov_b32_e32 v105, v101
	ds_load_2addr_b64 v[100:103], v94 offset0:25 offset1:26
	v_pk_add_f32 v[42:43], v[42:43], v[106:107] neg_lo:[0,1] neg_hi:[0,1]
	v_pk_add_f32 v[72:73], v[72:73], v[104:105] neg_lo:[0,1] neg_hi:[0,1]
	s_wait_dscnt 0x0
	v_pk_mul_f32 v[104:105], v[100:101], v[92:93] op_sel:[0,1]
	s_delay_alu instid0(VALU_DEP_1) | instskip(SKIP_1) | instid1(VALU_DEP_1)
	v_pk_fma_f32 v[106:107], v[100:101], v[90:91], v[104:105] op_sel:[0,0,1] op_sel_hi:[1,1,0] neg_lo:[0,0,1] neg_hi:[0,0,1]
	v_pk_fma_f32 v[100:101], v[100:101], v[90:91], v[104:105] op_sel:[0,0,1] op_sel_hi:[1,0,0]
	v_mov_b32_e32 v107, v101
	v_pk_mul_f32 v[100:101], v[102:103], v[92:93] op_sel:[0,1]
	s_delay_alu instid0(VALU_DEP_1) | instskip(SKIP_1) | instid1(VALU_DEP_1)
	v_pk_fma_f32 v[104:105], v[102:103], v[90:91], v[100:101] op_sel:[0,0,1] op_sel_hi:[1,1,0] neg_lo:[0,0,1] neg_hi:[0,0,1]
	v_pk_fma_f32 v[100:101], v[102:103], v[90:91], v[100:101] op_sel:[0,0,1] op_sel_hi:[1,0,0]
	v_mov_b32_e32 v105, v101
	ds_load_2addr_b64 v[100:103], v94 offset0:27 offset1:28
	v_pk_add_f32 v[36:37], v[36:37], v[106:107] neg_lo:[0,1] neg_hi:[0,1]
	v_pk_add_f32 v[38:39], v[38:39], v[104:105] neg_lo:[0,1] neg_hi:[0,1]
	s_wait_dscnt 0x0
	v_dual_mul_f32 v104, v101, v93 :: v_dual_mul_f32 v106, v101, v90
	s_delay_alu instid0(VALU_DEP_1) | instskip(NEXT) | instid1(VALU_DEP_2)
	v_pk_fma_f32 v[104:105], v[100:101], v[68:69], v[104:105] op_sel_hi:[1,1,0] neg_lo:[0,0,1] neg_hi:[0,0,1]
	v_pk_fma_f32 v[100:101], v[100:101], v[68:69], v[106:107] op_sel:[1,0,0] op_sel_hi:[0,1,0]
	s_delay_alu instid0(VALU_DEP_1) | instskip(SKIP_1) | instid1(VALU_DEP_2)
	v_mov_b32_e32 v105, v101
	v_pk_mul_f32 v[100:101], v[102:103], v[92:93] op_sel:[0,1]
	v_pk_add_f32 v[34:35], v[34:35], v[104:105] neg_lo:[0,1] neg_hi:[0,1]
	s_delay_alu instid0(VALU_DEP_2) | instskip(SKIP_1) | instid1(VALU_DEP_1)
	v_pk_fma_f32 v[104:105], v[102:103], v[90:91], v[100:101] op_sel:[0,0,1] op_sel_hi:[1,1,0] neg_lo:[0,0,1] neg_hi:[0,0,1]
	v_pk_fma_f32 v[100:101], v[102:103], v[90:91], v[100:101] op_sel:[0,0,1] op_sel_hi:[1,0,0]
	v_mov_b32_e32 v105, v101
	ds_load_2addr_b64 v[100:103], v94 offset0:29 offset1:30
	v_pk_add_f32 v[70:71], v[70:71], v[104:105] neg_lo:[0,1] neg_hi:[0,1]
	s_wait_dscnt 0x0
	v_pk_mul_f32 v[104:105], v[100:101], v[92:93] op_sel:[0,1]
	s_delay_alu instid0(VALU_DEP_1) | instskip(SKIP_1) | instid1(VALU_DEP_1)
	v_pk_fma_f32 v[106:107], v[100:101], v[90:91], v[104:105] op_sel:[0,0,1] op_sel_hi:[1,1,0] neg_lo:[0,0,1] neg_hi:[0,0,1]
	v_pk_fma_f32 v[100:101], v[100:101], v[90:91], v[104:105] op_sel:[0,0,1] op_sel_hi:[1,0,0]
	v_mov_b32_e32 v107, v101
	v_pk_mul_f32 v[100:101], v[102:103], v[92:93] op_sel:[0,1]
	s_delay_alu instid0(VALU_DEP_2) | instskip(NEXT) | instid1(VALU_DEP_2)
	v_pk_add_f32 v[30:31], v[30:31], v[106:107] neg_lo:[0,1] neg_hi:[0,1]
	v_pk_fma_f32 v[104:105], v[102:103], v[90:91], v[100:101] op_sel:[0,0,1] op_sel_hi:[1,1,0] neg_lo:[0,0,1] neg_hi:[0,0,1]
	v_pk_fma_f32 v[100:101], v[102:103], v[90:91], v[100:101] op_sel:[0,0,1] op_sel_hi:[1,0,0]
	s_delay_alu instid0(VALU_DEP_1) | instskip(SKIP_4) | instid1(VALU_DEP_1)
	v_mov_b32_e32 v105, v101
	ds_load_2addr_b64 v[100:103], v94 offset0:31 offset1:32
	v_pk_add_f32 v[32:33], v[32:33], v[104:105] neg_lo:[0,1] neg_hi:[0,1]
	s_wait_dscnt 0x0
	v_pk_mul_f32 v[104:105], v[100:101], v[92:93] op_sel:[0,1]
	v_pk_fma_f32 v[106:107], v[100:101], v[90:91], v[104:105] op_sel:[0,0,1] op_sel_hi:[1,1,0] neg_lo:[0,0,1] neg_hi:[0,0,1]
	v_pk_fma_f32 v[100:101], v[100:101], v[90:91], v[104:105] op_sel:[0,0,1] op_sel_hi:[1,0,0]
	v_dual_mul_f32 v104, v103, v93 :: v_dual_mov_b32 v100, v103
	s_delay_alu instid0(VALU_DEP_2) | instskip(NEXT) | instid1(VALU_DEP_2)
	v_dual_mov_b32 v107, v101 :: v_dual_mov_b32 v101, v102
	v_pk_fma_f32 v[104:105], v[102:103], v[68:69], v[104:105] op_sel_hi:[1,1,0] neg_lo:[0,0,1] neg_hi:[0,0,1]
	v_mul_f32_e32 v102, v103, v90
	s_delay_alu instid0(VALU_DEP_3) | instskip(NEXT) | instid1(VALU_DEP_2)
	v_pk_add_f32 v[28:29], v[28:29], v[106:107] neg_lo:[0,1] neg_hi:[0,1]
	v_pk_fma_f32 v[100:101], v[100:101], v[68:69], v[102:103] op_sel_hi:[1,1,0]
	s_delay_alu instid0(VALU_DEP_1) | instskip(SKIP_4) | instid1(VALU_DEP_1)
	v_mov_b32_e32 v105, v101
	ds_load_2addr_b64 v[100:103], v94 offset0:33 offset1:34
	v_pk_add_f32 v[64:65], v[64:65], v[104:105] neg_lo:[0,1] neg_hi:[0,1]
	s_wait_dscnt 0x0
	v_pk_mul_f32 v[104:105], v[100:101], v[92:93] op_sel:[0,1]
	v_pk_fma_f32 v[106:107], v[100:101], v[90:91], v[104:105] op_sel:[0,0,1] op_sel_hi:[1,1,0] neg_lo:[0,0,1] neg_hi:[0,0,1]
	v_pk_fma_f32 v[100:101], v[100:101], v[90:91], v[104:105] op_sel:[0,0,1] op_sel_hi:[1,0,0]
	s_delay_alu instid0(VALU_DEP_1) | instskip(SKIP_1) | instid1(VALU_DEP_1)
	v_mov_b32_e32 v107, v101
	v_pk_mul_f32 v[100:101], v[102:103], v[92:93] op_sel:[0,1]
	v_pk_fma_f32 v[104:105], v[102:103], v[90:91], v[100:101] op_sel:[0,0,1] op_sel_hi:[1,1,0] neg_lo:[0,0,1] neg_hi:[0,0,1]
	v_pk_fma_f32 v[100:101], v[102:103], v[90:91], v[100:101] op_sel:[0,0,1] op_sel_hi:[1,0,0]
	s_delay_alu instid0(VALU_DEP_1)
	v_mov_b32_e32 v105, v101
	ds_load_2addr_b64 v[100:103], v94 offset0:35 offset1:36
	v_pk_add_f32 v[10:11], v[10:11], v[106:107] neg_lo:[0,1] neg_hi:[0,1]
	v_pk_add_f32 v[12:13], v[12:13], v[104:105] neg_lo:[0,1] neg_hi:[0,1]
	s_wait_dscnt 0x0
	v_pk_mul_f32 v[104:105], v[100:101], v[92:93] op_sel:[0,1]
	s_delay_alu instid0(VALU_DEP_1) | instskip(SKIP_1) | instid1(VALU_DEP_1)
	v_pk_fma_f32 v[106:107], v[100:101], v[90:91], v[104:105] op_sel:[0,0,1] op_sel_hi:[1,1,0] neg_lo:[0,0,1] neg_hi:[0,0,1]
	v_pk_fma_f32 v[100:101], v[100:101], v[90:91], v[104:105] op_sel:[0,0,1] op_sel_hi:[1,0,0]
	v_mov_b32_e32 v107, v101
	v_pk_mul_f32 v[100:101], v[102:103], v[92:93] op_sel:[0,1]
	s_delay_alu instid0(VALU_DEP_1) | instskip(SKIP_1) | instid1(VALU_DEP_1)
	v_pk_fma_f32 v[104:105], v[102:103], v[90:91], v[100:101] op_sel:[0,0,1] op_sel_hi:[1,1,0] neg_lo:[0,0,1] neg_hi:[0,0,1]
	v_pk_fma_f32 v[100:101], v[102:103], v[90:91], v[100:101] op_sel:[0,0,1] op_sel_hi:[1,0,0]
	v_mov_b32_e32 v105, v101
	ds_load_2addr_b64 v[100:103], v94 offset0:37 offset1:38
	v_pk_add_f32 v[8:9], v[8:9], v[106:107] neg_lo:[0,1] neg_hi:[0,1]
	v_pk_add_f32 v[62:63], v[62:63], v[104:105] neg_lo:[0,1] neg_hi:[0,1]
	s_wait_dscnt 0x0
	v_dual_mul_f32 v104, v101, v93 :: v_dual_mul_f32 v106, v101, v90
	s_delay_alu instid0(VALU_DEP_1) | instskip(NEXT) | instid1(VALU_DEP_2)
	v_pk_fma_f32 v[104:105], v[100:101], v[68:69], v[104:105] op_sel_hi:[1,1,0] neg_lo:[0,0,1] neg_hi:[0,0,1]
	v_pk_fma_f32 v[100:101], v[100:101], v[68:69], v[106:107] op_sel:[1,0,0] op_sel_hi:[0,1,0]
	s_delay_alu instid0(VALU_DEP_1) | instskip(SKIP_1) | instid1(VALU_DEP_2)
	v_mov_b32_e32 v105, v101
	v_pk_mul_f32 v[100:101], v[102:103], v[92:93] op_sel:[0,1]
	v_pk_add_f32 v[6:7], v[6:7], v[104:105] neg_lo:[0,1] neg_hi:[0,1]
	s_delay_alu instid0(VALU_DEP_2) | instskip(SKIP_1) | instid1(VALU_DEP_1)
	v_pk_fma_f32 v[104:105], v[102:103], v[90:91], v[100:101] op_sel:[0,0,1] op_sel_hi:[1,1,0] neg_lo:[0,0,1] neg_hi:[0,0,1]
	v_pk_fma_f32 v[100:101], v[102:103], v[90:91], v[100:101] op_sel:[0,0,1] op_sel_hi:[1,0,0]
	v_mov_b32_e32 v105, v101
	ds_load_2addr_b64 v[100:103], v94 offset0:39 offset1:40
	v_pk_add_f32 v[54:55], v[54:55], v[104:105] neg_lo:[0,1] neg_hi:[0,1]
	s_wait_dscnt 0x0
	v_pk_mul_f32 v[104:105], v[100:101], v[92:93] op_sel:[0,1]
	s_delay_alu instid0(VALU_DEP_1) | instskip(SKIP_1) | instid1(VALU_DEP_1)
	v_pk_fma_f32 v[106:107], v[100:101], v[90:91], v[104:105] op_sel:[0,0,1] op_sel_hi:[1,1,0] neg_lo:[0,0,1] neg_hi:[0,0,1]
	v_pk_fma_f32 v[100:101], v[100:101], v[90:91], v[104:105] op_sel:[0,0,1] op_sel_hi:[1,0,0]
	v_mov_b32_e32 v107, v101
	v_pk_mul_f32 v[100:101], v[102:103], v[92:93] op_sel:[0,1]
	s_delay_alu instid0(VALU_DEP_2) | instskip(NEXT) | instid1(VALU_DEP_2)
	v_pk_add_f32 v[40:41], v[40:41], v[106:107] neg_lo:[0,1] neg_hi:[0,1]
	v_pk_fma_f32 v[104:105], v[102:103], v[90:91], v[100:101] op_sel:[0,0,1] op_sel_hi:[1,1,0] neg_lo:[0,0,1] neg_hi:[0,0,1]
	v_pk_fma_f32 v[100:101], v[102:103], v[90:91], v[100:101] op_sel:[0,0,1] op_sel_hi:[1,0,0]
	s_delay_alu instid0(VALU_DEP_1) | instskip(SKIP_4) | instid1(VALU_DEP_1)
	v_mov_b32_e32 v105, v101
	ds_load_b64 v[100:101], v94 offset:328
	v_pk_add_f32 v[24:25], v[24:25], v[104:105] neg_lo:[0,1] neg_hi:[0,1]
	s_wait_dscnt 0x0
	v_pk_mul_f32 v[92:93], v[100:101], v[92:93] op_sel:[0,1]
	v_pk_fma_f32 v[102:103], v[100:101], v[90:91], v[92:93] op_sel:[0,0,1] op_sel_hi:[1,1,0] neg_lo:[0,0,1] neg_hi:[0,0,1]
	v_pk_fma_f32 v[90:91], v[100:101], v[90:91], v[92:93] op_sel:[0,0,1] op_sel_hi:[1,0,0]
	s_delay_alu instid0(VALU_DEP_1) | instskip(NEXT) | instid1(VALU_DEP_1)
	v_mov_b32_e32 v103, v91
	v_pk_add_f32 v[88:89], v[88:89], v[102:103] neg_lo:[0,1] neg_hi:[0,1]
.LBB82_188:
	s_or_b32 exec_lo, exec_lo, s0
	v_lshl_add_u32 v90, v98, 3, v94
	s_barrier_signal -1
	s_barrier_wait -1
	ds_store_b64 v90, v[22:23]
	s_wait_dscnt 0x0
	s_barrier_signal -1
	s_barrier_wait -1
	ds_load_b64 v[92:93], v94 offset:72
	v_mov_b32_e32 v90, 9
	s_cmp_lt_i32 s18, 11
	s_cbranch_scc1 .LBB82_191
; %bb.189:
	v_add3_u32 v91, v95, 0, 0x50
	v_mov_b32_e32 v90, 9
	s_mov_b32 s0, 10
.LBB82_190:                             ; =>This Inner Loop Header: Depth=1
	ds_load_b64 v[100:101], v91
	s_wait_dscnt 0x1
	v_cmp_gt_f32_e32 vcc_lo, 0, v92
	v_cndmask_b32_e64 v102, v92, -v92, vcc_lo
	v_cmp_gt_f32_e32 vcc_lo, 0, v93
	v_cndmask_b32_e64 v104, v93, -v93, vcc_lo
	s_wait_dscnt 0x0
	v_cmp_gt_f32_e32 vcc_lo, 0, v100
	v_cndmask_b32_e64 v103, v100, -v100, vcc_lo
	v_cmp_gt_f32_e32 vcc_lo, 0, v101
	v_cndmask_b32_e64 v105, v101, -v101, vcc_lo
	s_delay_alu instid0(VALU_DEP_1) | instskip(NEXT) | instid1(VALU_DEP_1)
	v_pk_add_f32 v[102:103], v[102:103], v[104:105]
	v_cmp_lt_f32_e32 vcc_lo, v102, v103
	v_dual_add_nc_u32 v91, 8, v91 :: v_dual_cndmask_b32 v93, v93, v101, vcc_lo
	v_cndmask_b32_e32 v92, v92, v100, vcc_lo
	v_cndmask_b32_e64 v90, v90, s0, vcc_lo
	s_add_co_i32 s0, s0, 1
	s_delay_alu instid0(SALU_CYCLE_1)
	s_cmp_lg_u32 s18, s0
	s_cbranch_scc1 .LBB82_190
.LBB82_191:
	s_wait_dscnt 0x0
	v_cmp_eq_f32_e32 vcc_lo, 0, v92
	v_cmp_eq_f32_e64 s0, 0, v93
	s_and_b32 s0, vcc_lo, s0
	s_delay_alu instid0(SALU_CYCLE_1) | instskip(NEXT) | instid1(SALU_CYCLE_1)
	s_and_saveexec_b32 s1, s0
	s_xor_b32 s0, exec_lo, s1
; %bb.192:
	v_cmp_ne_u32_e32 vcc_lo, 0, v96
	v_cndmask_b32_e32 v96, 10, v96, vcc_lo
; %bb.193:
	s_and_not1_saveexec_b32 s0, s0
	s_cbranch_execz .LBB82_199
; %bb.194:
	v_cmp_ngt_f32_e64 s1, |v92|, |v93|
	s_and_saveexec_b32 s12, s1
	s_delay_alu instid0(SALU_CYCLE_1)
	s_xor_b32 s1, exec_lo, s12
	s_cbranch_execz .LBB82_196
; %bb.195:
	v_div_scale_f32 v91, null, v93, v93, v92
	v_div_scale_f32 v101, vcc_lo, v92, v93, v92
	s_delay_alu instid0(VALU_DEP_2) | instskip(SKIP_1) | instid1(TRANS32_DEP_1)
	v_rcp_f32_e32 v99, v91
	v_nop
	v_fma_f32 v100, -v91, v99, 1.0
	s_delay_alu instid0(VALU_DEP_1) | instskip(NEXT) | instid1(VALU_DEP_1)
	v_fmac_f32_e32 v99, v100, v99
	v_mul_f32_e32 v100, v101, v99
	s_delay_alu instid0(VALU_DEP_1) | instskip(NEXT) | instid1(VALU_DEP_1)
	v_fma_f32 v102, -v91, v100, v101
	v_fmac_f32_e32 v100, v102, v99
	s_delay_alu instid0(VALU_DEP_1) | instskip(NEXT) | instid1(VALU_DEP_1)
	v_fma_f32 v91, -v91, v100, v101
	v_div_fmas_f32 v91, v91, v99, v100
	s_delay_alu instid0(VALU_DEP_1) | instskip(NEXT) | instid1(VALU_DEP_1)
	v_div_fixup_f32 v91, v91, v93, v92
	v_fmac_f32_e32 v93, v92, v91
	s_delay_alu instid0(VALU_DEP_1) | instskip(SKIP_1) | instid1(VALU_DEP_2)
	v_div_scale_f32 v92, null, v93, v93, 1.0
	v_div_scale_f32 v101, vcc_lo, 1.0, v93, 1.0
	v_rcp_f32_e32 v99, v92
	v_nop
	s_delay_alu instid0(TRANS32_DEP_1) | instskip(NEXT) | instid1(VALU_DEP_1)
	v_fma_f32 v100, -v92, v99, 1.0
	v_fmac_f32_e32 v99, v100, v99
	s_delay_alu instid0(VALU_DEP_1) | instskip(NEXT) | instid1(VALU_DEP_1)
	v_mul_f32_e32 v100, v101, v99
	v_fma_f32 v102, -v92, v100, v101
	s_delay_alu instid0(VALU_DEP_1) | instskip(NEXT) | instid1(VALU_DEP_1)
	v_fmac_f32_e32 v100, v102, v99
	v_fma_f32 v92, -v92, v100, v101
	s_delay_alu instid0(VALU_DEP_1) | instskip(NEXT) | instid1(VALU_DEP_1)
	v_div_fmas_f32 v92, v92, v99, v100
	v_div_fixup_f32 v93, v92, v93, 1.0
	s_delay_alu instid0(VALU_DEP_1)
	v_mul_f32_e32 v92, v91, v93
	v_xor_b32_e32 v93, 0x80000000, v93
.LBB82_196:
	s_and_not1_saveexec_b32 s1, s1
	s_cbranch_execz .LBB82_198
; %bb.197:
	s_delay_alu instid0(VALU_DEP_1) | instskip(SKIP_1) | instid1(VALU_DEP_2)
	v_div_scale_f32 v91, null, v92, v92, v93
	v_div_scale_f32 v101, vcc_lo, v93, v92, v93
	v_rcp_f32_e32 v99, v91
	v_nop
	s_delay_alu instid0(TRANS32_DEP_1) | instskip(NEXT) | instid1(VALU_DEP_1)
	v_fma_f32 v100, -v91, v99, 1.0
	v_fmac_f32_e32 v99, v100, v99
	s_delay_alu instid0(VALU_DEP_1) | instskip(NEXT) | instid1(VALU_DEP_1)
	v_mul_f32_e32 v100, v101, v99
	v_fma_f32 v102, -v91, v100, v101
	s_delay_alu instid0(VALU_DEP_1) | instskip(NEXT) | instid1(VALU_DEP_1)
	v_fmac_f32_e32 v100, v102, v99
	v_fma_f32 v91, -v91, v100, v101
	s_delay_alu instid0(VALU_DEP_1) | instskip(NEXT) | instid1(VALU_DEP_1)
	v_div_fmas_f32 v91, v91, v99, v100
	v_div_fixup_f32 v91, v91, v92, v93
	s_delay_alu instid0(VALU_DEP_1) | instskip(NEXT) | instid1(VALU_DEP_1)
	v_fmac_f32_e32 v92, v93, v91
	v_div_scale_f32 v93, null, v92, v92, 1.0
	s_delay_alu instid0(VALU_DEP_1) | instskip(SKIP_1) | instid1(TRANS32_DEP_1)
	v_rcp_f32_e32 v99, v93
	v_nop
	v_fma_f32 v100, -v93, v99, 1.0
	s_delay_alu instid0(VALU_DEP_1) | instskip(SKIP_1) | instid1(VALU_DEP_1)
	v_fmac_f32_e32 v99, v100, v99
	v_div_scale_f32 v100, vcc_lo, 1.0, v92, 1.0
	v_mul_f32_e32 v101, v100, v99
	s_delay_alu instid0(VALU_DEP_1) | instskip(NEXT) | instid1(VALU_DEP_1)
	v_fma_f32 v102, -v93, v101, v100
	v_fmac_f32_e32 v101, v102, v99
	s_delay_alu instid0(VALU_DEP_1) | instskip(NEXT) | instid1(VALU_DEP_1)
	v_fma_f32 v93, -v93, v101, v100
	v_div_fmas_f32 v93, v93, v99, v101
	s_delay_alu instid0(VALU_DEP_1) | instskip(NEXT) | instid1(VALU_DEP_1)
	v_div_fixup_f32 v92, v93, v92, 1.0
	v_mul_f32_e64 v93, v91, -v92
.LBB82_198:
	s_or_b32 exec_lo, exec_lo, s1
.LBB82_199:
	s_delay_alu instid0(SALU_CYCLE_1) | instskip(NEXT) | instid1(SALU_CYCLE_1)
	s_or_b32 exec_lo, exec_lo, s0
	s_mov_b32 s0, exec_lo
	v_cmpx_ne_u32_e64 v98, v90
	s_xor_b32 s0, exec_lo, s0
	s_cbranch_execz .LBB82_205
; %bb.200:
	s_mov_b32 s1, exec_lo
	v_cmpx_eq_u32_e32 9, v98
	s_cbranch_execz .LBB82_204
; %bb.201:
	v_cmp_ne_u32_e32 vcc_lo, 9, v90
	s_xor_b32 s12, s16, -1
	s_delay_alu instid0(SALU_CYCLE_1) | instskip(NEXT) | instid1(SALU_CYCLE_1)
	s_and_b32 s13, s12, vcc_lo
	s_and_saveexec_b32 s12, s13
	s_cbranch_execz .LBB82_203
; %bb.202:
	v_ashrrev_i32_e32 v91, 31, v90
	s_delay_alu instid0(VALU_DEP_1)
	v_lshl_add_u64 v[98:99], v[90:91], 2, v[4:5]
	s_clause 0x1
	global_load_b32 v91, v[98:99], off
	global_load_b32 v97, v[4:5], off offset:36
	s_wait_loadcnt 0x1
	global_store_b32 v[4:5], v91, off offset:36
	s_wait_loadcnt 0x0
	global_store_b32 v[98:99], v97, off
.LBB82_203:
	s_wait_xcnt 0x0
	s_or_b32 exec_lo, exec_lo, s12
	v_dual_mov_b32 v98, v90 :: v_dual_mov_b32 v97, v90
.LBB82_204:
	s_or_b32 exec_lo, exec_lo, s1
.LBB82_205:
	s_and_not1_saveexec_b32 s0, s0
	s_cbranch_execz .LBB82_207
; %bb.206:
	v_dual_mov_b32 v90, v26 :: v_dual_mov_b32 v91, v27
	v_dual_mov_b32 v98, v20 :: v_dual_mov_b32 v99, v21
	ds_store_2addr_b64 v94, v[90:91], v[98:99] offset0:10 offset1:11
	v_dual_mov_b32 v90, v78 :: v_dual_mov_b32 v91, v79
	v_dual_mov_b32 v98, v58 :: v_dual_mov_b32 v99, v59
	ds_store_2addr_b64 v94, v[90:91], v[98:99] offset0:12 offset1:13
	;; [unrolled: 3-line block ×15, first 2 shown]
	v_dual_mov_b32 v90, v24 :: v_dual_mov_b32 v91, v25
	v_mov_b32_e32 v98, 9
	ds_store_2addr_b64 v94, v[90:91], v[88:89] offset0:40 offset1:41
.LBB82_207:
	s_or_b32 exec_lo, exec_lo, s0
	s_delay_alu instid0(SALU_CYCLE_1)
	s_mov_b32 s0, exec_lo
	s_wait_storecnt_dscnt 0x0
	s_barrier_signal -1
	s_barrier_wait -1
	v_cmpx_lt_i32_e32 9, v98
	s_cbranch_execz .LBB82_209
; %bb.208:
	v_pk_mul_f32 v[100:101], v[92:93], v[22:23] op_sel:[1,1] op_sel_hi:[0,1]
	s_delay_alu instid0(VALU_DEP_1)
	v_pk_fma_f32 v[90:91], v[92:93], v[22:23], v[100:101] op_sel_hi:[1,0,1] neg_lo:[0,0,1] neg_hi:[0,0,1]
	v_pk_fma_f32 v[92:93], v[92:93], v[22:23], v[100:101] op_sel_hi:[1,0,1]
	ds_load_2addr_b64 v[100:103], v94 offset0:10 offset1:11
	v_dual_mov_b32 v22, v90 :: v_dual_mov_b32 v23, v93
	s_wait_dscnt 0x0
	v_pk_mul_f32 v[104:105], v[100:101], v[92:93] op_sel:[0,1]
	s_delay_alu instid0(VALU_DEP_1) | instskip(SKIP_1) | instid1(VALU_DEP_1)
	v_pk_fma_f32 v[106:107], v[100:101], v[90:91], v[104:105] op_sel:[0,0,1] op_sel_hi:[1,1,0] neg_lo:[0,0,1] neg_hi:[0,0,1]
	v_pk_fma_f32 v[100:101], v[100:101], v[90:91], v[104:105] op_sel:[0,0,1] op_sel_hi:[1,0,0]
	v_mov_b32_e32 v107, v101
	v_pk_mul_f32 v[100:101], v[102:103], v[92:93] op_sel:[0,1]
	s_delay_alu instid0(VALU_DEP_1) | instskip(SKIP_1) | instid1(VALU_DEP_1)
	v_pk_fma_f32 v[104:105], v[102:103], v[90:91], v[100:101] op_sel:[0,0,1] op_sel_hi:[1,1,0] neg_lo:[0,0,1] neg_hi:[0,0,1]
	v_pk_fma_f32 v[100:101], v[102:103], v[90:91], v[100:101] op_sel:[0,0,1] op_sel_hi:[1,0,0]
	v_mov_b32_e32 v105, v101
	ds_load_2addr_b64 v[100:103], v94 offset0:12 offset1:13
	v_pk_add_f32 v[26:27], v[26:27], v[106:107] neg_lo:[0,1] neg_hi:[0,1]
	v_pk_add_f32 v[20:21], v[20:21], v[104:105] neg_lo:[0,1] neg_hi:[0,1]
	s_wait_dscnt 0x0
	v_pk_mul_f32 v[104:105], v[100:101], v[92:93] op_sel:[0,1]
	s_delay_alu instid0(VALU_DEP_1) | instskip(SKIP_2) | instid1(VALU_DEP_2)
	v_pk_fma_f32 v[106:107], v[100:101], v[90:91], v[104:105] op_sel:[0,0,1] op_sel_hi:[1,1,0] neg_lo:[0,0,1] neg_hi:[0,0,1]
	v_pk_fma_f32 v[100:101], v[100:101], v[90:91], v[104:105] op_sel:[0,0,1] op_sel_hi:[1,0,0]
	v_dual_mul_f32 v104, v103, v93 :: v_dual_mov_b32 v100, v103
	v_dual_mov_b32 v107, v101 :: v_dual_mov_b32 v101, v102
	s_delay_alu instid0(VALU_DEP_2) | instskip(SKIP_1) | instid1(VALU_DEP_3)
	v_pk_fma_f32 v[104:105], v[102:103], v[22:23], v[104:105] op_sel_hi:[1,1,0] neg_lo:[0,0,1] neg_hi:[0,0,1]
	v_mul_f32_e32 v102, v103, v90
	v_pk_add_f32 v[78:79], v[78:79], v[106:107] neg_lo:[0,1] neg_hi:[0,1]
	s_delay_alu instid0(VALU_DEP_2) | instskip(NEXT) | instid1(VALU_DEP_1)
	v_pk_fma_f32 v[100:101], v[100:101], v[22:23], v[102:103] op_sel_hi:[1,1,0]
	v_mov_b32_e32 v105, v101
	ds_load_2addr_b64 v[100:103], v94 offset0:14 offset1:15
	v_pk_add_f32 v[58:59], v[58:59], v[104:105] neg_lo:[0,1] neg_hi:[0,1]
	s_wait_dscnt 0x0
	v_pk_mul_f32 v[104:105], v[100:101], v[92:93] op_sel:[0,1]
	s_delay_alu instid0(VALU_DEP_1) | instskip(SKIP_1) | instid1(VALU_DEP_1)
	v_pk_fma_f32 v[106:107], v[100:101], v[90:91], v[104:105] op_sel:[0,0,1] op_sel_hi:[1,1,0] neg_lo:[0,0,1] neg_hi:[0,0,1]
	v_pk_fma_f32 v[100:101], v[100:101], v[90:91], v[104:105] op_sel:[0,0,1] op_sel_hi:[1,0,0]
	v_mov_b32_e32 v107, v101
	v_pk_mul_f32 v[100:101], v[102:103], v[92:93] op_sel:[0,1]
	s_delay_alu instid0(VALU_DEP_1) | instskip(SKIP_1) | instid1(VALU_DEP_1)
	v_pk_fma_f32 v[104:105], v[102:103], v[90:91], v[100:101] op_sel:[0,0,1] op_sel_hi:[1,1,0] neg_lo:[0,0,1] neg_hi:[0,0,1]
	v_pk_fma_f32 v[100:101], v[102:103], v[90:91], v[100:101] op_sel:[0,0,1] op_sel_hi:[1,0,0]
	v_mov_b32_e32 v105, v101
	ds_load_2addr_b64 v[100:103], v94 offset0:16 offset1:17
	v_pk_add_f32 v[60:61], v[60:61], v[106:107] neg_lo:[0,1] neg_hi:[0,1]
	v_pk_add_f32 v[56:57], v[56:57], v[104:105] neg_lo:[0,1] neg_hi:[0,1]
	s_wait_dscnt 0x0
	v_pk_mul_f32 v[104:105], v[100:101], v[92:93] op_sel:[0,1]
	s_delay_alu instid0(VALU_DEP_1) | instskip(SKIP_1) | instid1(VALU_DEP_1)
	v_pk_fma_f32 v[106:107], v[100:101], v[90:91], v[104:105] op_sel:[0,0,1] op_sel_hi:[1,1,0] neg_lo:[0,0,1] neg_hi:[0,0,1]
	v_pk_fma_f32 v[100:101], v[100:101], v[90:91], v[104:105] op_sel:[0,0,1] op_sel_hi:[1,0,0]
	v_mov_b32_e32 v107, v101
	v_pk_mul_f32 v[100:101], v[102:103], v[92:93] op_sel:[0,1]
	s_delay_alu instid0(VALU_DEP_1) | instskip(SKIP_1) | instid1(VALU_DEP_1)
	v_pk_fma_f32 v[104:105], v[102:103], v[90:91], v[100:101] op_sel:[0,0,1] op_sel_hi:[1,1,0] neg_lo:[0,0,1] neg_hi:[0,0,1]
	v_pk_fma_f32 v[100:101], v[102:103], v[90:91], v[100:101] op_sel:[0,0,1] op_sel_hi:[1,0,0]
	v_mov_b32_e32 v105, v101
	ds_load_2addr_b64 v[100:103], v94 offset0:18 offset1:19
	v_pk_add_f32 v[76:77], v[76:77], v[106:107] neg_lo:[0,1] neg_hi:[0,1]
	v_pk_add_f32 v[50:51], v[50:51], v[104:105] neg_lo:[0,1] neg_hi:[0,1]
	s_wait_dscnt 0x0
	v_dual_mul_f32 v104, v101, v93 :: v_dual_mul_f32 v106, v101, v90
	s_delay_alu instid0(VALU_DEP_1) | instskip(NEXT) | instid1(VALU_DEP_2)
	v_pk_fma_f32 v[104:105], v[100:101], v[22:23], v[104:105] op_sel_hi:[1,1,0] neg_lo:[0,0,1] neg_hi:[0,0,1]
	v_pk_fma_f32 v[100:101], v[100:101], v[22:23], v[106:107] op_sel:[1,0,0] op_sel_hi:[0,1,0]
	s_delay_alu instid0(VALU_DEP_1) | instskip(SKIP_1) | instid1(VALU_DEP_2)
	v_mov_b32_e32 v105, v101
	v_pk_mul_f32 v[100:101], v[102:103], v[92:93] op_sel:[0,1]
	v_pk_add_f32 v[52:53], v[52:53], v[104:105] neg_lo:[0,1] neg_hi:[0,1]
	s_delay_alu instid0(VALU_DEP_2) | instskip(SKIP_1) | instid1(VALU_DEP_1)
	v_pk_fma_f32 v[104:105], v[102:103], v[90:91], v[100:101] op_sel:[0,0,1] op_sel_hi:[1,1,0] neg_lo:[0,0,1] neg_hi:[0,0,1]
	v_pk_fma_f32 v[100:101], v[102:103], v[90:91], v[100:101] op_sel:[0,0,1] op_sel_hi:[1,0,0]
	v_mov_b32_e32 v105, v101
	ds_load_2addr_b64 v[100:103], v94 offset0:20 offset1:21
	v_pk_add_f32 v[48:49], v[48:49], v[104:105] neg_lo:[0,1] neg_hi:[0,1]
	s_wait_dscnt 0x0
	v_pk_mul_f32 v[104:105], v[100:101], v[92:93] op_sel:[0,1]
	s_delay_alu instid0(VALU_DEP_1) | instskip(SKIP_1) | instid1(VALU_DEP_1)
	v_pk_fma_f32 v[106:107], v[100:101], v[90:91], v[104:105] op_sel:[0,0,1] op_sel_hi:[1,1,0] neg_lo:[0,0,1] neg_hi:[0,0,1]
	v_pk_fma_f32 v[100:101], v[100:101], v[90:91], v[104:105] op_sel:[0,0,1] op_sel_hi:[1,0,0]
	v_mov_b32_e32 v107, v101
	v_pk_mul_f32 v[100:101], v[102:103], v[92:93] op_sel:[0,1]
	s_delay_alu instid0(VALU_DEP_2) | instskip(NEXT) | instid1(VALU_DEP_2)
	v_pk_add_f32 v[74:75], v[74:75], v[106:107] neg_lo:[0,1] neg_hi:[0,1]
	v_pk_fma_f32 v[104:105], v[102:103], v[90:91], v[100:101] op_sel:[0,0,1] op_sel_hi:[1,1,0] neg_lo:[0,0,1] neg_hi:[0,0,1]
	v_pk_fma_f32 v[100:101], v[102:103], v[90:91], v[100:101] op_sel:[0,0,1] op_sel_hi:[1,0,0]
	s_delay_alu instid0(VALU_DEP_1) | instskip(SKIP_4) | instid1(VALU_DEP_1)
	v_mov_b32_e32 v105, v101
	ds_load_2addr_b64 v[100:103], v94 offset0:22 offset1:23
	v_pk_add_f32 v[44:45], v[44:45], v[104:105] neg_lo:[0,1] neg_hi:[0,1]
	s_wait_dscnt 0x0
	v_pk_mul_f32 v[104:105], v[100:101], v[92:93] op_sel:[0,1]
	v_pk_fma_f32 v[106:107], v[100:101], v[90:91], v[104:105] op_sel:[0,0,1] op_sel_hi:[1,1,0] neg_lo:[0,0,1] neg_hi:[0,0,1]
	v_pk_fma_f32 v[100:101], v[100:101], v[90:91], v[104:105] op_sel:[0,0,1] op_sel_hi:[1,0,0]
	v_dual_mul_f32 v104, v103, v93 :: v_dual_mov_b32 v100, v103
	s_delay_alu instid0(VALU_DEP_2) | instskip(NEXT) | instid1(VALU_DEP_2)
	v_dual_mov_b32 v107, v101 :: v_dual_mov_b32 v101, v102
	v_pk_fma_f32 v[104:105], v[102:103], v[22:23], v[104:105] op_sel_hi:[1,1,0] neg_lo:[0,0,1] neg_hi:[0,0,1]
	v_mul_f32_e32 v102, v103, v90
	s_delay_alu instid0(VALU_DEP_3) | instskip(NEXT) | instid1(VALU_DEP_2)
	v_pk_add_f32 v[46:47], v[46:47], v[106:107] neg_lo:[0,1] neg_hi:[0,1]
	v_pk_fma_f32 v[100:101], v[100:101], v[22:23], v[102:103] op_sel_hi:[1,1,0]
	s_delay_alu instid0(VALU_DEP_1) | instskip(SKIP_4) | instid1(VALU_DEP_1)
	v_mov_b32_e32 v105, v101
	ds_load_2addr_b64 v[100:103], v94 offset0:24 offset1:25
	v_pk_add_f32 v[42:43], v[42:43], v[104:105] neg_lo:[0,1] neg_hi:[0,1]
	s_wait_dscnt 0x0
	v_pk_mul_f32 v[104:105], v[100:101], v[92:93] op_sel:[0,1]
	v_pk_fma_f32 v[106:107], v[100:101], v[90:91], v[104:105] op_sel:[0,0,1] op_sel_hi:[1,1,0] neg_lo:[0,0,1] neg_hi:[0,0,1]
	v_pk_fma_f32 v[100:101], v[100:101], v[90:91], v[104:105] op_sel:[0,0,1] op_sel_hi:[1,0,0]
	s_delay_alu instid0(VALU_DEP_1) | instskip(SKIP_1) | instid1(VALU_DEP_1)
	v_mov_b32_e32 v107, v101
	v_pk_mul_f32 v[100:101], v[102:103], v[92:93] op_sel:[0,1]
	v_pk_fma_f32 v[104:105], v[102:103], v[90:91], v[100:101] op_sel:[0,0,1] op_sel_hi:[1,1,0] neg_lo:[0,0,1] neg_hi:[0,0,1]
	v_pk_fma_f32 v[100:101], v[102:103], v[90:91], v[100:101] op_sel:[0,0,1] op_sel_hi:[1,0,0]
	s_delay_alu instid0(VALU_DEP_1)
	v_mov_b32_e32 v105, v101
	ds_load_2addr_b64 v[100:103], v94 offset0:26 offset1:27
	v_pk_add_f32 v[72:73], v[72:73], v[106:107] neg_lo:[0,1] neg_hi:[0,1]
	v_pk_add_f32 v[36:37], v[36:37], v[104:105] neg_lo:[0,1] neg_hi:[0,1]
	s_wait_dscnt 0x0
	v_pk_mul_f32 v[104:105], v[100:101], v[92:93] op_sel:[0,1]
	s_delay_alu instid0(VALU_DEP_1) | instskip(SKIP_1) | instid1(VALU_DEP_1)
	v_pk_fma_f32 v[106:107], v[100:101], v[90:91], v[104:105] op_sel:[0,0,1] op_sel_hi:[1,1,0] neg_lo:[0,0,1] neg_hi:[0,0,1]
	v_pk_fma_f32 v[100:101], v[100:101], v[90:91], v[104:105] op_sel:[0,0,1] op_sel_hi:[1,0,0]
	v_mov_b32_e32 v107, v101
	v_pk_mul_f32 v[100:101], v[102:103], v[92:93] op_sel:[0,1]
	s_delay_alu instid0(VALU_DEP_1) | instskip(SKIP_1) | instid1(VALU_DEP_1)
	v_pk_fma_f32 v[104:105], v[102:103], v[90:91], v[100:101] op_sel:[0,0,1] op_sel_hi:[1,1,0] neg_lo:[0,0,1] neg_hi:[0,0,1]
	v_pk_fma_f32 v[100:101], v[102:103], v[90:91], v[100:101] op_sel:[0,0,1] op_sel_hi:[1,0,0]
	v_mov_b32_e32 v105, v101
	ds_load_2addr_b64 v[100:103], v94 offset0:28 offset1:29
	v_pk_add_f32 v[38:39], v[38:39], v[106:107] neg_lo:[0,1] neg_hi:[0,1]
	v_pk_add_f32 v[34:35], v[34:35], v[104:105] neg_lo:[0,1] neg_hi:[0,1]
	s_wait_dscnt 0x0
	v_dual_mul_f32 v104, v101, v93 :: v_dual_mul_f32 v106, v101, v90
	s_delay_alu instid0(VALU_DEP_1) | instskip(NEXT) | instid1(VALU_DEP_2)
	v_pk_fma_f32 v[104:105], v[100:101], v[22:23], v[104:105] op_sel_hi:[1,1,0] neg_lo:[0,0,1] neg_hi:[0,0,1]
	v_pk_fma_f32 v[100:101], v[100:101], v[22:23], v[106:107] op_sel:[1,0,0] op_sel_hi:[0,1,0]
	s_delay_alu instid0(VALU_DEP_1) | instskip(SKIP_1) | instid1(VALU_DEP_2)
	v_mov_b32_e32 v105, v101
	v_pk_mul_f32 v[100:101], v[102:103], v[92:93] op_sel:[0,1]
	v_pk_add_f32 v[70:71], v[70:71], v[104:105] neg_lo:[0,1] neg_hi:[0,1]
	s_delay_alu instid0(VALU_DEP_2) | instskip(SKIP_1) | instid1(VALU_DEP_1)
	v_pk_fma_f32 v[104:105], v[102:103], v[90:91], v[100:101] op_sel:[0,0,1] op_sel_hi:[1,1,0] neg_lo:[0,0,1] neg_hi:[0,0,1]
	v_pk_fma_f32 v[100:101], v[102:103], v[90:91], v[100:101] op_sel:[0,0,1] op_sel_hi:[1,0,0]
	v_mov_b32_e32 v105, v101
	ds_load_2addr_b64 v[100:103], v94 offset0:30 offset1:31
	v_pk_add_f32 v[30:31], v[30:31], v[104:105] neg_lo:[0,1] neg_hi:[0,1]
	s_wait_dscnt 0x0
	v_pk_mul_f32 v[104:105], v[100:101], v[92:93] op_sel:[0,1]
	s_delay_alu instid0(VALU_DEP_1) | instskip(SKIP_1) | instid1(VALU_DEP_1)
	v_pk_fma_f32 v[106:107], v[100:101], v[90:91], v[104:105] op_sel:[0,0,1] op_sel_hi:[1,1,0] neg_lo:[0,0,1] neg_hi:[0,0,1]
	v_pk_fma_f32 v[100:101], v[100:101], v[90:91], v[104:105] op_sel:[0,0,1] op_sel_hi:[1,0,0]
	v_mov_b32_e32 v107, v101
	v_pk_mul_f32 v[100:101], v[102:103], v[92:93] op_sel:[0,1]
	s_delay_alu instid0(VALU_DEP_2) | instskip(NEXT) | instid1(VALU_DEP_2)
	v_pk_add_f32 v[32:33], v[32:33], v[106:107] neg_lo:[0,1] neg_hi:[0,1]
	v_pk_fma_f32 v[104:105], v[102:103], v[90:91], v[100:101] op_sel:[0,0,1] op_sel_hi:[1,1,0] neg_lo:[0,0,1] neg_hi:[0,0,1]
	v_pk_fma_f32 v[100:101], v[102:103], v[90:91], v[100:101] op_sel:[0,0,1] op_sel_hi:[1,0,0]
	s_delay_alu instid0(VALU_DEP_1) | instskip(SKIP_4) | instid1(VALU_DEP_1)
	v_mov_b32_e32 v105, v101
	ds_load_2addr_b64 v[100:103], v94 offset0:32 offset1:33
	v_pk_add_f32 v[28:29], v[28:29], v[104:105] neg_lo:[0,1] neg_hi:[0,1]
	s_wait_dscnt 0x0
	v_pk_mul_f32 v[104:105], v[100:101], v[92:93] op_sel:[0,1]
	v_pk_fma_f32 v[106:107], v[100:101], v[90:91], v[104:105] op_sel:[0,0,1] op_sel_hi:[1,1,0] neg_lo:[0,0,1] neg_hi:[0,0,1]
	v_pk_fma_f32 v[100:101], v[100:101], v[90:91], v[104:105] op_sel:[0,0,1] op_sel_hi:[1,0,0]
	v_dual_mul_f32 v104, v103, v93 :: v_dual_mov_b32 v100, v103
	s_delay_alu instid0(VALU_DEP_2) | instskip(NEXT) | instid1(VALU_DEP_2)
	v_dual_mov_b32 v107, v101 :: v_dual_mov_b32 v101, v102
	v_pk_fma_f32 v[104:105], v[102:103], v[22:23], v[104:105] op_sel_hi:[1,1,0] neg_lo:[0,0,1] neg_hi:[0,0,1]
	v_mul_f32_e32 v102, v103, v90
	s_delay_alu instid0(VALU_DEP_3) | instskip(NEXT) | instid1(VALU_DEP_2)
	v_pk_add_f32 v[64:65], v[64:65], v[106:107] neg_lo:[0,1] neg_hi:[0,1]
	v_pk_fma_f32 v[100:101], v[100:101], v[22:23], v[102:103] op_sel_hi:[1,1,0]
	s_delay_alu instid0(VALU_DEP_1) | instskip(SKIP_4) | instid1(VALU_DEP_1)
	v_mov_b32_e32 v105, v101
	ds_load_2addr_b64 v[100:103], v94 offset0:34 offset1:35
	v_pk_add_f32 v[10:11], v[10:11], v[104:105] neg_lo:[0,1] neg_hi:[0,1]
	s_wait_dscnt 0x0
	v_pk_mul_f32 v[104:105], v[100:101], v[92:93] op_sel:[0,1]
	v_pk_fma_f32 v[106:107], v[100:101], v[90:91], v[104:105] op_sel:[0,0,1] op_sel_hi:[1,1,0] neg_lo:[0,0,1] neg_hi:[0,0,1]
	v_pk_fma_f32 v[100:101], v[100:101], v[90:91], v[104:105] op_sel:[0,0,1] op_sel_hi:[1,0,0]
	s_delay_alu instid0(VALU_DEP_1) | instskip(SKIP_1) | instid1(VALU_DEP_1)
	v_mov_b32_e32 v107, v101
	v_pk_mul_f32 v[100:101], v[102:103], v[92:93] op_sel:[0,1]
	v_pk_fma_f32 v[104:105], v[102:103], v[90:91], v[100:101] op_sel:[0,0,1] op_sel_hi:[1,1,0] neg_lo:[0,0,1] neg_hi:[0,0,1]
	v_pk_fma_f32 v[100:101], v[102:103], v[90:91], v[100:101] op_sel:[0,0,1] op_sel_hi:[1,0,0]
	s_delay_alu instid0(VALU_DEP_1)
	v_mov_b32_e32 v105, v101
	ds_load_2addr_b64 v[100:103], v94 offset0:36 offset1:37
	v_pk_add_f32 v[12:13], v[12:13], v[106:107] neg_lo:[0,1] neg_hi:[0,1]
	v_pk_add_f32 v[8:9], v[8:9], v[104:105] neg_lo:[0,1] neg_hi:[0,1]
	s_wait_dscnt 0x0
	v_pk_mul_f32 v[104:105], v[100:101], v[92:93] op_sel:[0,1]
	s_delay_alu instid0(VALU_DEP_1) | instskip(SKIP_1) | instid1(VALU_DEP_1)
	v_pk_fma_f32 v[106:107], v[100:101], v[90:91], v[104:105] op_sel:[0,0,1] op_sel_hi:[1,1,0] neg_lo:[0,0,1] neg_hi:[0,0,1]
	v_pk_fma_f32 v[100:101], v[100:101], v[90:91], v[104:105] op_sel:[0,0,1] op_sel_hi:[1,0,0]
	v_mov_b32_e32 v107, v101
	v_pk_mul_f32 v[100:101], v[102:103], v[92:93] op_sel:[0,1]
	s_delay_alu instid0(VALU_DEP_1) | instskip(SKIP_1) | instid1(VALU_DEP_1)
	v_pk_fma_f32 v[104:105], v[102:103], v[90:91], v[100:101] op_sel:[0,0,1] op_sel_hi:[1,1,0] neg_lo:[0,0,1] neg_hi:[0,0,1]
	v_pk_fma_f32 v[100:101], v[102:103], v[90:91], v[100:101] op_sel:[0,0,1] op_sel_hi:[1,0,0]
	v_mov_b32_e32 v105, v101
	ds_load_2addr_b64 v[100:103], v94 offset0:38 offset1:39
	v_pk_add_f32 v[62:63], v[62:63], v[106:107] neg_lo:[0,1] neg_hi:[0,1]
	v_pk_add_f32 v[6:7], v[6:7], v[104:105] neg_lo:[0,1] neg_hi:[0,1]
	s_wait_dscnt 0x0
	v_dual_mul_f32 v104, v101, v93 :: v_dual_mul_f32 v106, v101, v90
	s_delay_alu instid0(VALU_DEP_1) | instskip(NEXT) | instid1(VALU_DEP_2)
	v_pk_fma_f32 v[104:105], v[100:101], v[22:23], v[104:105] op_sel_hi:[1,1,0] neg_lo:[0,0,1] neg_hi:[0,0,1]
	v_pk_fma_f32 v[100:101], v[100:101], v[22:23], v[106:107] op_sel:[1,0,0] op_sel_hi:[0,1,0]
	s_delay_alu instid0(VALU_DEP_1) | instskip(SKIP_1) | instid1(VALU_DEP_2)
	v_mov_b32_e32 v105, v101
	v_pk_mul_f32 v[100:101], v[102:103], v[92:93] op_sel:[0,1]
	v_pk_add_f32 v[54:55], v[54:55], v[104:105] neg_lo:[0,1] neg_hi:[0,1]
	s_delay_alu instid0(VALU_DEP_2) | instskip(SKIP_1) | instid1(VALU_DEP_1)
	v_pk_fma_f32 v[104:105], v[102:103], v[90:91], v[100:101] op_sel:[0,0,1] op_sel_hi:[1,1,0] neg_lo:[0,0,1] neg_hi:[0,0,1]
	v_pk_fma_f32 v[100:101], v[102:103], v[90:91], v[100:101] op_sel:[0,0,1] op_sel_hi:[1,0,0]
	v_mov_b32_e32 v105, v101
	ds_load_2addr_b64 v[100:103], v94 offset0:40 offset1:41
	v_pk_add_f32 v[40:41], v[40:41], v[104:105] neg_lo:[0,1] neg_hi:[0,1]
	s_wait_dscnt 0x0
	v_pk_mul_f32 v[104:105], v[100:101], v[92:93] op_sel:[0,1]
	v_pk_mul_f32 v[92:93], v[102:103], v[92:93] op_sel:[0,1]
	s_delay_alu instid0(VALU_DEP_2) | instskip(SKIP_1) | instid1(VALU_DEP_1)
	v_pk_fma_f32 v[106:107], v[100:101], v[90:91], v[104:105] op_sel:[0,0,1] op_sel_hi:[1,1,0] neg_lo:[0,0,1] neg_hi:[0,0,1]
	v_pk_fma_f32 v[100:101], v[100:101], v[90:91], v[104:105] op_sel:[0,0,1] op_sel_hi:[1,0,0]
	v_mov_b32_e32 v107, v101
	s_delay_alu instid0(VALU_DEP_4) | instskip(SKIP_1) | instid1(VALU_DEP_3)
	v_pk_fma_f32 v[100:101], v[102:103], v[90:91], v[92:93] op_sel:[0,0,1] op_sel_hi:[1,1,0] neg_lo:[0,0,1] neg_hi:[0,0,1]
	v_pk_fma_f32 v[90:91], v[102:103], v[90:91], v[92:93] op_sel:[0,0,1] op_sel_hi:[1,0,0]
	v_pk_add_f32 v[24:25], v[24:25], v[106:107] neg_lo:[0,1] neg_hi:[0,1]
	s_delay_alu instid0(VALU_DEP_2) | instskip(NEXT) | instid1(VALU_DEP_1)
	v_mov_b32_e32 v101, v91
	v_pk_add_f32 v[88:89], v[88:89], v[100:101] neg_lo:[0,1] neg_hi:[0,1]
.LBB82_209:
	s_or_b32 exec_lo, exec_lo, s0
	v_lshl_add_u32 v90, v98, 3, v94
	s_barrier_signal -1
	s_barrier_wait -1
	ds_store_b64 v90, v[26:27]
	s_wait_dscnt 0x0
	s_barrier_signal -1
	s_barrier_wait -1
	ds_load_b64 v[92:93], v94 offset:80
	v_mov_b32_e32 v90, 10
	s_cmp_lt_i32 s18, 12
	s_cbranch_scc1 .LBB82_212
; %bb.210:
	v_add3_u32 v91, v95, 0, 0x58
	v_mov_b32_e32 v90, 10
	s_mov_b32 s0, 11
.LBB82_211:                             ; =>This Inner Loop Header: Depth=1
	ds_load_b64 v[100:101], v91
	s_wait_dscnt 0x1
	v_cmp_gt_f32_e32 vcc_lo, 0, v92
	v_cndmask_b32_e64 v102, v92, -v92, vcc_lo
	v_cmp_gt_f32_e32 vcc_lo, 0, v93
	v_cndmask_b32_e64 v104, v93, -v93, vcc_lo
	s_wait_dscnt 0x0
	v_cmp_gt_f32_e32 vcc_lo, 0, v100
	v_cndmask_b32_e64 v103, v100, -v100, vcc_lo
	v_cmp_gt_f32_e32 vcc_lo, 0, v101
	v_cndmask_b32_e64 v105, v101, -v101, vcc_lo
	s_delay_alu instid0(VALU_DEP_1) | instskip(NEXT) | instid1(VALU_DEP_1)
	v_pk_add_f32 v[102:103], v[102:103], v[104:105]
	v_cmp_lt_f32_e32 vcc_lo, v102, v103
	v_dual_add_nc_u32 v91, 8, v91 :: v_dual_cndmask_b32 v93, v93, v101, vcc_lo
	v_cndmask_b32_e32 v92, v92, v100, vcc_lo
	v_cndmask_b32_e64 v90, v90, s0, vcc_lo
	s_add_co_i32 s0, s0, 1
	s_delay_alu instid0(SALU_CYCLE_1)
	s_cmp_lg_u32 s18, s0
	s_cbranch_scc1 .LBB82_211
.LBB82_212:
	s_wait_dscnt 0x0
	v_cmp_eq_f32_e32 vcc_lo, 0, v92
	v_cmp_eq_f32_e64 s0, 0, v93
	s_and_b32 s0, vcc_lo, s0
	s_delay_alu instid0(SALU_CYCLE_1) | instskip(NEXT) | instid1(SALU_CYCLE_1)
	s_and_saveexec_b32 s1, s0
	s_xor_b32 s0, exec_lo, s1
; %bb.213:
	v_cmp_ne_u32_e32 vcc_lo, 0, v96
	v_cndmask_b32_e32 v96, 11, v96, vcc_lo
; %bb.214:
	s_and_not1_saveexec_b32 s0, s0
	s_cbranch_execz .LBB82_220
; %bb.215:
	v_cmp_ngt_f32_e64 s1, |v92|, |v93|
	s_and_saveexec_b32 s12, s1
	s_delay_alu instid0(SALU_CYCLE_1)
	s_xor_b32 s1, exec_lo, s12
	s_cbranch_execz .LBB82_217
; %bb.216:
	v_div_scale_f32 v91, null, v93, v93, v92
	v_div_scale_f32 v101, vcc_lo, v92, v93, v92
	s_delay_alu instid0(VALU_DEP_2) | instskip(SKIP_1) | instid1(TRANS32_DEP_1)
	v_rcp_f32_e32 v99, v91
	v_nop
	v_fma_f32 v100, -v91, v99, 1.0
	s_delay_alu instid0(VALU_DEP_1) | instskip(NEXT) | instid1(VALU_DEP_1)
	v_fmac_f32_e32 v99, v100, v99
	v_mul_f32_e32 v100, v101, v99
	s_delay_alu instid0(VALU_DEP_1) | instskip(NEXT) | instid1(VALU_DEP_1)
	v_fma_f32 v102, -v91, v100, v101
	v_fmac_f32_e32 v100, v102, v99
	s_delay_alu instid0(VALU_DEP_1) | instskip(NEXT) | instid1(VALU_DEP_1)
	v_fma_f32 v91, -v91, v100, v101
	v_div_fmas_f32 v91, v91, v99, v100
	s_delay_alu instid0(VALU_DEP_1) | instskip(NEXT) | instid1(VALU_DEP_1)
	v_div_fixup_f32 v91, v91, v93, v92
	v_fmac_f32_e32 v93, v92, v91
	s_delay_alu instid0(VALU_DEP_1) | instskip(SKIP_1) | instid1(VALU_DEP_2)
	v_div_scale_f32 v92, null, v93, v93, 1.0
	v_div_scale_f32 v101, vcc_lo, 1.0, v93, 1.0
	v_rcp_f32_e32 v99, v92
	v_nop
	s_delay_alu instid0(TRANS32_DEP_1) | instskip(NEXT) | instid1(VALU_DEP_1)
	v_fma_f32 v100, -v92, v99, 1.0
	v_fmac_f32_e32 v99, v100, v99
	s_delay_alu instid0(VALU_DEP_1) | instskip(NEXT) | instid1(VALU_DEP_1)
	v_mul_f32_e32 v100, v101, v99
	v_fma_f32 v102, -v92, v100, v101
	s_delay_alu instid0(VALU_DEP_1) | instskip(NEXT) | instid1(VALU_DEP_1)
	v_fmac_f32_e32 v100, v102, v99
	v_fma_f32 v92, -v92, v100, v101
	s_delay_alu instid0(VALU_DEP_1) | instskip(NEXT) | instid1(VALU_DEP_1)
	v_div_fmas_f32 v92, v92, v99, v100
	v_div_fixup_f32 v93, v92, v93, 1.0
	s_delay_alu instid0(VALU_DEP_1)
	v_mul_f32_e32 v92, v91, v93
	v_xor_b32_e32 v93, 0x80000000, v93
.LBB82_217:
	s_and_not1_saveexec_b32 s1, s1
	s_cbranch_execz .LBB82_219
; %bb.218:
	s_delay_alu instid0(VALU_DEP_1) | instskip(SKIP_1) | instid1(VALU_DEP_2)
	v_div_scale_f32 v91, null, v92, v92, v93
	v_div_scale_f32 v101, vcc_lo, v93, v92, v93
	v_rcp_f32_e32 v99, v91
	v_nop
	s_delay_alu instid0(TRANS32_DEP_1) | instskip(NEXT) | instid1(VALU_DEP_1)
	v_fma_f32 v100, -v91, v99, 1.0
	v_fmac_f32_e32 v99, v100, v99
	s_delay_alu instid0(VALU_DEP_1) | instskip(NEXT) | instid1(VALU_DEP_1)
	v_mul_f32_e32 v100, v101, v99
	v_fma_f32 v102, -v91, v100, v101
	s_delay_alu instid0(VALU_DEP_1) | instskip(NEXT) | instid1(VALU_DEP_1)
	v_fmac_f32_e32 v100, v102, v99
	v_fma_f32 v91, -v91, v100, v101
	s_delay_alu instid0(VALU_DEP_1) | instskip(NEXT) | instid1(VALU_DEP_1)
	v_div_fmas_f32 v91, v91, v99, v100
	v_div_fixup_f32 v91, v91, v92, v93
	s_delay_alu instid0(VALU_DEP_1) | instskip(NEXT) | instid1(VALU_DEP_1)
	v_fmac_f32_e32 v92, v93, v91
	v_div_scale_f32 v93, null, v92, v92, 1.0
	s_delay_alu instid0(VALU_DEP_1) | instskip(SKIP_1) | instid1(TRANS32_DEP_1)
	v_rcp_f32_e32 v99, v93
	v_nop
	v_fma_f32 v100, -v93, v99, 1.0
	s_delay_alu instid0(VALU_DEP_1) | instskip(SKIP_1) | instid1(VALU_DEP_1)
	v_fmac_f32_e32 v99, v100, v99
	v_div_scale_f32 v100, vcc_lo, 1.0, v92, 1.0
	v_mul_f32_e32 v101, v100, v99
	s_delay_alu instid0(VALU_DEP_1) | instskip(NEXT) | instid1(VALU_DEP_1)
	v_fma_f32 v102, -v93, v101, v100
	v_fmac_f32_e32 v101, v102, v99
	s_delay_alu instid0(VALU_DEP_1) | instskip(NEXT) | instid1(VALU_DEP_1)
	v_fma_f32 v93, -v93, v101, v100
	v_div_fmas_f32 v93, v93, v99, v101
	s_delay_alu instid0(VALU_DEP_1) | instskip(NEXT) | instid1(VALU_DEP_1)
	v_div_fixup_f32 v92, v93, v92, 1.0
	v_mul_f32_e64 v93, v91, -v92
.LBB82_219:
	s_or_b32 exec_lo, exec_lo, s1
.LBB82_220:
	s_delay_alu instid0(SALU_CYCLE_1) | instskip(NEXT) | instid1(SALU_CYCLE_1)
	s_or_b32 exec_lo, exec_lo, s0
	s_mov_b32 s0, exec_lo
	v_cmpx_ne_u32_e64 v98, v90
	s_xor_b32 s0, exec_lo, s0
	s_cbranch_execz .LBB82_226
; %bb.221:
	s_mov_b32 s1, exec_lo
	v_cmpx_eq_u32_e32 10, v98
	s_cbranch_execz .LBB82_225
; %bb.222:
	v_cmp_ne_u32_e32 vcc_lo, 10, v90
	s_xor_b32 s12, s16, -1
	s_delay_alu instid0(SALU_CYCLE_1) | instskip(NEXT) | instid1(SALU_CYCLE_1)
	s_and_b32 s13, s12, vcc_lo
	s_and_saveexec_b32 s12, s13
	s_cbranch_execz .LBB82_224
; %bb.223:
	v_ashrrev_i32_e32 v91, 31, v90
	s_delay_alu instid0(VALU_DEP_1)
	v_lshl_add_u64 v[98:99], v[90:91], 2, v[4:5]
	s_clause 0x1
	global_load_b32 v91, v[98:99], off
	global_load_b32 v97, v[4:5], off offset:40
	s_wait_loadcnt 0x1
	global_store_b32 v[4:5], v91, off offset:40
	s_wait_loadcnt 0x0
	global_store_b32 v[98:99], v97, off
.LBB82_224:
	s_wait_xcnt 0x0
	s_or_b32 exec_lo, exec_lo, s12
	v_dual_mov_b32 v98, v90 :: v_dual_mov_b32 v97, v90
.LBB82_225:
	s_or_b32 exec_lo, exec_lo, s1
.LBB82_226:
	s_and_not1_saveexec_b32 s0, s0
	s_cbranch_execz .LBB82_228
; %bb.227:
	v_mov_b32_e32 v98, 10
	ds_store_2addr_b64 v94, v[20:21], v[78:79] offset0:11 offset1:12
	ds_store_2addr_b64 v94, v[58:59], v[60:61] offset0:13 offset1:14
	;; [unrolled: 1-line block ×15, first 2 shown]
	ds_store_b64 v94, v[88:89] offset:328
.LBB82_228:
	s_or_b32 exec_lo, exec_lo, s0
	s_delay_alu instid0(SALU_CYCLE_1)
	s_mov_b32 s0, exec_lo
	s_wait_storecnt_dscnt 0x0
	s_barrier_signal -1
	s_barrier_wait -1
	v_cmpx_lt_i32_e32 10, v98
	s_cbranch_execz .LBB82_230
; %bb.229:
	v_pk_mul_f32 v[100:101], v[92:93], v[26:27] op_sel:[1,1] op_sel_hi:[0,1]
	s_delay_alu instid0(VALU_DEP_1)
	v_pk_fma_f32 v[90:91], v[92:93], v[26:27], v[100:101] op_sel_hi:[1,0,1] neg_lo:[0,0,1] neg_hi:[0,0,1]
	v_pk_fma_f32 v[92:93], v[92:93], v[26:27], v[100:101] op_sel_hi:[1,0,1]
	ds_load_2addr_b64 v[100:103], v94 offset0:11 offset1:12
	v_dual_mov_b32 v26, v90 :: v_dual_mov_b32 v27, v93
	s_wait_dscnt 0x0
	v_pk_mul_f32 v[104:105], v[100:101], v[92:93] op_sel:[0,1]
	s_delay_alu instid0(VALU_DEP_1) | instskip(SKIP_1) | instid1(VALU_DEP_1)
	v_pk_fma_f32 v[106:107], v[100:101], v[90:91], v[104:105] op_sel:[0,0,1] op_sel_hi:[1,1,0] neg_lo:[0,0,1] neg_hi:[0,0,1]
	v_pk_fma_f32 v[100:101], v[100:101], v[90:91], v[104:105] op_sel:[0,0,1] op_sel_hi:[1,0,0]
	v_mov_b32_e32 v107, v101
	v_pk_mul_f32 v[100:101], v[102:103], v[92:93] op_sel:[0,1]
	s_delay_alu instid0(VALU_DEP_1) | instskip(SKIP_1) | instid1(VALU_DEP_1)
	v_pk_fma_f32 v[104:105], v[102:103], v[90:91], v[100:101] op_sel:[0,0,1] op_sel_hi:[1,1,0] neg_lo:[0,0,1] neg_hi:[0,0,1]
	v_pk_fma_f32 v[100:101], v[102:103], v[90:91], v[100:101] op_sel:[0,0,1] op_sel_hi:[1,0,0]
	v_mov_b32_e32 v105, v101
	ds_load_2addr_b64 v[100:103], v94 offset0:13 offset1:14
	v_pk_add_f32 v[20:21], v[20:21], v[106:107] neg_lo:[0,1] neg_hi:[0,1]
	v_pk_add_f32 v[78:79], v[78:79], v[104:105] neg_lo:[0,1] neg_hi:[0,1]
	s_wait_dscnt 0x0
	v_pk_mul_f32 v[104:105], v[100:101], v[92:93] op_sel:[0,1]
	s_delay_alu instid0(VALU_DEP_1) | instskip(SKIP_2) | instid1(VALU_DEP_2)
	v_pk_fma_f32 v[106:107], v[100:101], v[90:91], v[104:105] op_sel:[0,0,1] op_sel_hi:[1,1,0] neg_lo:[0,0,1] neg_hi:[0,0,1]
	v_pk_fma_f32 v[100:101], v[100:101], v[90:91], v[104:105] op_sel:[0,0,1] op_sel_hi:[1,0,0]
	v_dual_mul_f32 v104, v103, v93 :: v_dual_mov_b32 v100, v103
	v_dual_mov_b32 v107, v101 :: v_dual_mov_b32 v101, v102
	s_delay_alu instid0(VALU_DEP_2) | instskip(SKIP_1) | instid1(VALU_DEP_3)
	v_pk_fma_f32 v[104:105], v[102:103], v[26:27], v[104:105] op_sel_hi:[1,1,0] neg_lo:[0,0,1] neg_hi:[0,0,1]
	v_mul_f32_e32 v102, v103, v90
	v_pk_add_f32 v[58:59], v[58:59], v[106:107] neg_lo:[0,1] neg_hi:[0,1]
	s_delay_alu instid0(VALU_DEP_2) | instskip(NEXT) | instid1(VALU_DEP_1)
	v_pk_fma_f32 v[100:101], v[100:101], v[26:27], v[102:103] op_sel_hi:[1,1,0]
	v_mov_b32_e32 v105, v101
	ds_load_2addr_b64 v[100:103], v94 offset0:15 offset1:16
	v_pk_add_f32 v[60:61], v[60:61], v[104:105] neg_lo:[0,1] neg_hi:[0,1]
	s_wait_dscnt 0x0
	v_pk_mul_f32 v[104:105], v[100:101], v[92:93] op_sel:[0,1]
	s_delay_alu instid0(VALU_DEP_1) | instskip(SKIP_1) | instid1(VALU_DEP_1)
	v_pk_fma_f32 v[106:107], v[100:101], v[90:91], v[104:105] op_sel:[0,0,1] op_sel_hi:[1,1,0] neg_lo:[0,0,1] neg_hi:[0,0,1]
	v_pk_fma_f32 v[100:101], v[100:101], v[90:91], v[104:105] op_sel:[0,0,1] op_sel_hi:[1,0,0]
	v_mov_b32_e32 v107, v101
	v_pk_mul_f32 v[100:101], v[102:103], v[92:93] op_sel:[0,1]
	s_delay_alu instid0(VALU_DEP_1) | instskip(SKIP_1) | instid1(VALU_DEP_1)
	v_pk_fma_f32 v[104:105], v[102:103], v[90:91], v[100:101] op_sel:[0,0,1] op_sel_hi:[1,1,0] neg_lo:[0,0,1] neg_hi:[0,0,1]
	v_pk_fma_f32 v[100:101], v[102:103], v[90:91], v[100:101] op_sel:[0,0,1] op_sel_hi:[1,0,0]
	v_mov_b32_e32 v105, v101
	ds_load_2addr_b64 v[100:103], v94 offset0:17 offset1:18
	v_pk_add_f32 v[56:57], v[56:57], v[106:107] neg_lo:[0,1] neg_hi:[0,1]
	v_pk_add_f32 v[76:77], v[76:77], v[104:105] neg_lo:[0,1] neg_hi:[0,1]
	s_wait_dscnt 0x0
	v_pk_mul_f32 v[104:105], v[100:101], v[92:93] op_sel:[0,1]
	s_delay_alu instid0(VALU_DEP_1) | instskip(SKIP_1) | instid1(VALU_DEP_1)
	v_pk_fma_f32 v[106:107], v[100:101], v[90:91], v[104:105] op_sel:[0,0,1] op_sel_hi:[1,1,0] neg_lo:[0,0,1] neg_hi:[0,0,1]
	v_pk_fma_f32 v[100:101], v[100:101], v[90:91], v[104:105] op_sel:[0,0,1] op_sel_hi:[1,0,0]
	v_mov_b32_e32 v107, v101
	v_pk_mul_f32 v[100:101], v[102:103], v[92:93] op_sel:[0,1]
	s_delay_alu instid0(VALU_DEP_1) | instskip(SKIP_1) | instid1(VALU_DEP_1)
	v_pk_fma_f32 v[104:105], v[102:103], v[90:91], v[100:101] op_sel:[0,0,1] op_sel_hi:[1,1,0] neg_lo:[0,0,1] neg_hi:[0,0,1]
	v_pk_fma_f32 v[100:101], v[102:103], v[90:91], v[100:101] op_sel:[0,0,1] op_sel_hi:[1,0,0]
	v_mov_b32_e32 v105, v101
	ds_load_2addr_b64 v[100:103], v94 offset0:19 offset1:20
	v_pk_add_f32 v[50:51], v[50:51], v[106:107] neg_lo:[0,1] neg_hi:[0,1]
	v_pk_add_f32 v[52:53], v[52:53], v[104:105] neg_lo:[0,1] neg_hi:[0,1]
	s_wait_dscnt 0x0
	v_dual_mul_f32 v104, v101, v93 :: v_dual_mul_f32 v106, v101, v90
	s_delay_alu instid0(VALU_DEP_1) | instskip(NEXT) | instid1(VALU_DEP_2)
	v_pk_fma_f32 v[104:105], v[100:101], v[26:27], v[104:105] op_sel_hi:[1,1,0] neg_lo:[0,0,1] neg_hi:[0,0,1]
	v_pk_fma_f32 v[100:101], v[100:101], v[26:27], v[106:107] op_sel:[1,0,0] op_sel_hi:[0,1,0]
	s_delay_alu instid0(VALU_DEP_1) | instskip(SKIP_1) | instid1(VALU_DEP_2)
	v_mov_b32_e32 v105, v101
	v_pk_mul_f32 v[100:101], v[102:103], v[92:93] op_sel:[0,1]
	v_pk_add_f32 v[48:49], v[48:49], v[104:105] neg_lo:[0,1] neg_hi:[0,1]
	s_delay_alu instid0(VALU_DEP_2) | instskip(SKIP_1) | instid1(VALU_DEP_1)
	v_pk_fma_f32 v[104:105], v[102:103], v[90:91], v[100:101] op_sel:[0,0,1] op_sel_hi:[1,1,0] neg_lo:[0,0,1] neg_hi:[0,0,1]
	v_pk_fma_f32 v[100:101], v[102:103], v[90:91], v[100:101] op_sel:[0,0,1] op_sel_hi:[1,0,0]
	v_mov_b32_e32 v105, v101
	ds_load_2addr_b64 v[100:103], v94 offset0:21 offset1:22
	v_pk_add_f32 v[74:75], v[74:75], v[104:105] neg_lo:[0,1] neg_hi:[0,1]
	s_wait_dscnt 0x0
	v_pk_mul_f32 v[104:105], v[100:101], v[92:93] op_sel:[0,1]
	s_delay_alu instid0(VALU_DEP_1) | instskip(SKIP_1) | instid1(VALU_DEP_1)
	v_pk_fma_f32 v[106:107], v[100:101], v[90:91], v[104:105] op_sel:[0,0,1] op_sel_hi:[1,1,0] neg_lo:[0,0,1] neg_hi:[0,0,1]
	v_pk_fma_f32 v[100:101], v[100:101], v[90:91], v[104:105] op_sel:[0,0,1] op_sel_hi:[1,0,0]
	v_mov_b32_e32 v107, v101
	v_pk_mul_f32 v[100:101], v[102:103], v[92:93] op_sel:[0,1]
	s_delay_alu instid0(VALU_DEP_2) | instskip(NEXT) | instid1(VALU_DEP_2)
	v_pk_add_f32 v[44:45], v[44:45], v[106:107] neg_lo:[0,1] neg_hi:[0,1]
	v_pk_fma_f32 v[104:105], v[102:103], v[90:91], v[100:101] op_sel:[0,0,1] op_sel_hi:[1,1,0] neg_lo:[0,0,1] neg_hi:[0,0,1]
	v_pk_fma_f32 v[100:101], v[102:103], v[90:91], v[100:101] op_sel:[0,0,1] op_sel_hi:[1,0,0]
	s_delay_alu instid0(VALU_DEP_1) | instskip(SKIP_4) | instid1(VALU_DEP_1)
	v_mov_b32_e32 v105, v101
	ds_load_2addr_b64 v[100:103], v94 offset0:23 offset1:24
	v_pk_add_f32 v[46:47], v[46:47], v[104:105] neg_lo:[0,1] neg_hi:[0,1]
	s_wait_dscnt 0x0
	v_pk_mul_f32 v[104:105], v[100:101], v[92:93] op_sel:[0,1]
	v_pk_fma_f32 v[106:107], v[100:101], v[90:91], v[104:105] op_sel:[0,0,1] op_sel_hi:[1,1,0] neg_lo:[0,0,1] neg_hi:[0,0,1]
	v_pk_fma_f32 v[100:101], v[100:101], v[90:91], v[104:105] op_sel:[0,0,1] op_sel_hi:[1,0,0]
	v_dual_mul_f32 v104, v103, v93 :: v_dual_mov_b32 v100, v103
	s_delay_alu instid0(VALU_DEP_2) | instskip(NEXT) | instid1(VALU_DEP_2)
	v_dual_mov_b32 v107, v101 :: v_dual_mov_b32 v101, v102
	v_pk_fma_f32 v[104:105], v[102:103], v[26:27], v[104:105] op_sel_hi:[1,1,0] neg_lo:[0,0,1] neg_hi:[0,0,1]
	v_mul_f32_e32 v102, v103, v90
	s_delay_alu instid0(VALU_DEP_3) | instskip(NEXT) | instid1(VALU_DEP_2)
	v_pk_add_f32 v[42:43], v[42:43], v[106:107] neg_lo:[0,1] neg_hi:[0,1]
	v_pk_fma_f32 v[100:101], v[100:101], v[26:27], v[102:103] op_sel_hi:[1,1,0]
	s_delay_alu instid0(VALU_DEP_1) | instskip(SKIP_4) | instid1(VALU_DEP_1)
	v_mov_b32_e32 v105, v101
	ds_load_2addr_b64 v[100:103], v94 offset0:25 offset1:26
	v_pk_add_f32 v[72:73], v[72:73], v[104:105] neg_lo:[0,1] neg_hi:[0,1]
	s_wait_dscnt 0x0
	v_pk_mul_f32 v[104:105], v[100:101], v[92:93] op_sel:[0,1]
	v_pk_fma_f32 v[106:107], v[100:101], v[90:91], v[104:105] op_sel:[0,0,1] op_sel_hi:[1,1,0] neg_lo:[0,0,1] neg_hi:[0,0,1]
	v_pk_fma_f32 v[100:101], v[100:101], v[90:91], v[104:105] op_sel:[0,0,1] op_sel_hi:[1,0,0]
	s_delay_alu instid0(VALU_DEP_1) | instskip(SKIP_1) | instid1(VALU_DEP_1)
	v_mov_b32_e32 v107, v101
	v_pk_mul_f32 v[100:101], v[102:103], v[92:93] op_sel:[0,1]
	v_pk_fma_f32 v[104:105], v[102:103], v[90:91], v[100:101] op_sel:[0,0,1] op_sel_hi:[1,1,0] neg_lo:[0,0,1] neg_hi:[0,0,1]
	v_pk_fma_f32 v[100:101], v[102:103], v[90:91], v[100:101] op_sel:[0,0,1] op_sel_hi:[1,0,0]
	s_delay_alu instid0(VALU_DEP_1)
	v_mov_b32_e32 v105, v101
	ds_load_2addr_b64 v[100:103], v94 offset0:27 offset1:28
	v_pk_add_f32 v[36:37], v[36:37], v[106:107] neg_lo:[0,1] neg_hi:[0,1]
	v_pk_add_f32 v[38:39], v[38:39], v[104:105] neg_lo:[0,1] neg_hi:[0,1]
	s_wait_dscnt 0x0
	v_pk_mul_f32 v[104:105], v[100:101], v[92:93] op_sel:[0,1]
	s_delay_alu instid0(VALU_DEP_1) | instskip(SKIP_1) | instid1(VALU_DEP_1)
	v_pk_fma_f32 v[106:107], v[100:101], v[90:91], v[104:105] op_sel:[0,0,1] op_sel_hi:[1,1,0] neg_lo:[0,0,1] neg_hi:[0,0,1]
	v_pk_fma_f32 v[100:101], v[100:101], v[90:91], v[104:105] op_sel:[0,0,1] op_sel_hi:[1,0,0]
	v_mov_b32_e32 v107, v101
	v_pk_mul_f32 v[100:101], v[102:103], v[92:93] op_sel:[0,1]
	s_delay_alu instid0(VALU_DEP_1) | instskip(SKIP_1) | instid1(VALU_DEP_1)
	v_pk_fma_f32 v[104:105], v[102:103], v[90:91], v[100:101] op_sel:[0,0,1] op_sel_hi:[1,1,0] neg_lo:[0,0,1] neg_hi:[0,0,1]
	v_pk_fma_f32 v[100:101], v[102:103], v[90:91], v[100:101] op_sel:[0,0,1] op_sel_hi:[1,0,0]
	v_mov_b32_e32 v105, v101
	ds_load_2addr_b64 v[100:103], v94 offset0:29 offset1:30
	v_pk_add_f32 v[34:35], v[34:35], v[106:107] neg_lo:[0,1] neg_hi:[0,1]
	v_pk_add_f32 v[70:71], v[70:71], v[104:105] neg_lo:[0,1] neg_hi:[0,1]
	s_wait_dscnt 0x0
	v_dual_mul_f32 v104, v101, v93 :: v_dual_mul_f32 v106, v101, v90
	s_delay_alu instid0(VALU_DEP_1) | instskip(NEXT) | instid1(VALU_DEP_2)
	v_pk_fma_f32 v[104:105], v[100:101], v[26:27], v[104:105] op_sel_hi:[1,1,0] neg_lo:[0,0,1] neg_hi:[0,0,1]
	v_pk_fma_f32 v[100:101], v[100:101], v[26:27], v[106:107] op_sel:[1,0,0] op_sel_hi:[0,1,0]
	s_delay_alu instid0(VALU_DEP_1) | instskip(SKIP_1) | instid1(VALU_DEP_2)
	v_mov_b32_e32 v105, v101
	v_pk_mul_f32 v[100:101], v[102:103], v[92:93] op_sel:[0,1]
	v_pk_add_f32 v[30:31], v[30:31], v[104:105] neg_lo:[0,1] neg_hi:[0,1]
	s_delay_alu instid0(VALU_DEP_2) | instskip(SKIP_1) | instid1(VALU_DEP_1)
	v_pk_fma_f32 v[104:105], v[102:103], v[90:91], v[100:101] op_sel:[0,0,1] op_sel_hi:[1,1,0] neg_lo:[0,0,1] neg_hi:[0,0,1]
	v_pk_fma_f32 v[100:101], v[102:103], v[90:91], v[100:101] op_sel:[0,0,1] op_sel_hi:[1,0,0]
	v_mov_b32_e32 v105, v101
	ds_load_2addr_b64 v[100:103], v94 offset0:31 offset1:32
	v_pk_add_f32 v[32:33], v[32:33], v[104:105] neg_lo:[0,1] neg_hi:[0,1]
	s_wait_dscnt 0x0
	v_pk_mul_f32 v[104:105], v[100:101], v[92:93] op_sel:[0,1]
	s_delay_alu instid0(VALU_DEP_1) | instskip(SKIP_1) | instid1(VALU_DEP_1)
	v_pk_fma_f32 v[106:107], v[100:101], v[90:91], v[104:105] op_sel:[0,0,1] op_sel_hi:[1,1,0] neg_lo:[0,0,1] neg_hi:[0,0,1]
	v_pk_fma_f32 v[100:101], v[100:101], v[90:91], v[104:105] op_sel:[0,0,1] op_sel_hi:[1,0,0]
	v_mov_b32_e32 v107, v101
	v_pk_mul_f32 v[100:101], v[102:103], v[92:93] op_sel:[0,1]
	s_delay_alu instid0(VALU_DEP_2) | instskip(NEXT) | instid1(VALU_DEP_2)
	v_pk_add_f32 v[28:29], v[28:29], v[106:107] neg_lo:[0,1] neg_hi:[0,1]
	v_pk_fma_f32 v[104:105], v[102:103], v[90:91], v[100:101] op_sel:[0,0,1] op_sel_hi:[1,1,0] neg_lo:[0,0,1] neg_hi:[0,0,1]
	v_pk_fma_f32 v[100:101], v[102:103], v[90:91], v[100:101] op_sel:[0,0,1] op_sel_hi:[1,0,0]
	s_delay_alu instid0(VALU_DEP_1) | instskip(SKIP_4) | instid1(VALU_DEP_1)
	v_mov_b32_e32 v105, v101
	ds_load_2addr_b64 v[100:103], v94 offset0:33 offset1:34
	v_pk_add_f32 v[64:65], v[64:65], v[104:105] neg_lo:[0,1] neg_hi:[0,1]
	s_wait_dscnt 0x0
	v_pk_mul_f32 v[104:105], v[100:101], v[92:93] op_sel:[0,1]
	v_pk_fma_f32 v[106:107], v[100:101], v[90:91], v[104:105] op_sel:[0,0,1] op_sel_hi:[1,1,0] neg_lo:[0,0,1] neg_hi:[0,0,1]
	v_pk_fma_f32 v[100:101], v[100:101], v[90:91], v[104:105] op_sel:[0,0,1] op_sel_hi:[1,0,0]
	v_dual_mul_f32 v104, v103, v93 :: v_dual_mov_b32 v100, v103
	s_delay_alu instid0(VALU_DEP_2) | instskip(NEXT) | instid1(VALU_DEP_2)
	v_dual_mov_b32 v107, v101 :: v_dual_mov_b32 v101, v102
	v_pk_fma_f32 v[104:105], v[102:103], v[26:27], v[104:105] op_sel_hi:[1,1,0] neg_lo:[0,0,1] neg_hi:[0,0,1]
	v_mul_f32_e32 v102, v103, v90
	s_delay_alu instid0(VALU_DEP_3) | instskip(NEXT) | instid1(VALU_DEP_2)
	v_pk_add_f32 v[10:11], v[10:11], v[106:107] neg_lo:[0,1] neg_hi:[0,1]
	v_pk_fma_f32 v[100:101], v[100:101], v[26:27], v[102:103] op_sel_hi:[1,1,0]
	s_delay_alu instid0(VALU_DEP_1) | instskip(SKIP_4) | instid1(VALU_DEP_1)
	v_mov_b32_e32 v105, v101
	ds_load_2addr_b64 v[100:103], v94 offset0:35 offset1:36
	v_pk_add_f32 v[12:13], v[12:13], v[104:105] neg_lo:[0,1] neg_hi:[0,1]
	s_wait_dscnt 0x0
	v_pk_mul_f32 v[104:105], v[100:101], v[92:93] op_sel:[0,1]
	v_pk_fma_f32 v[106:107], v[100:101], v[90:91], v[104:105] op_sel:[0,0,1] op_sel_hi:[1,1,0] neg_lo:[0,0,1] neg_hi:[0,0,1]
	v_pk_fma_f32 v[100:101], v[100:101], v[90:91], v[104:105] op_sel:[0,0,1] op_sel_hi:[1,0,0]
	s_delay_alu instid0(VALU_DEP_1) | instskip(SKIP_1) | instid1(VALU_DEP_1)
	v_mov_b32_e32 v107, v101
	v_pk_mul_f32 v[100:101], v[102:103], v[92:93] op_sel:[0,1]
	v_pk_fma_f32 v[104:105], v[102:103], v[90:91], v[100:101] op_sel:[0,0,1] op_sel_hi:[1,1,0] neg_lo:[0,0,1] neg_hi:[0,0,1]
	v_pk_fma_f32 v[100:101], v[102:103], v[90:91], v[100:101] op_sel:[0,0,1] op_sel_hi:[1,0,0]
	s_delay_alu instid0(VALU_DEP_1)
	v_mov_b32_e32 v105, v101
	ds_load_2addr_b64 v[100:103], v94 offset0:37 offset1:38
	v_pk_add_f32 v[8:9], v[8:9], v[106:107] neg_lo:[0,1] neg_hi:[0,1]
	v_pk_add_f32 v[62:63], v[62:63], v[104:105] neg_lo:[0,1] neg_hi:[0,1]
	s_wait_dscnt 0x0
	v_pk_mul_f32 v[104:105], v[100:101], v[92:93] op_sel:[0,1]
	s_delay_alu instid0(VALU_DEP_1) | instskip(SKIP_1) | instid1(VALU_DEP_1)
	v_pk_fma_f32 v[106:107], v[100:101], v[90:91], v[104:105] op_sel:[0,0,1] op_sel_hi:[1,1,0] neg_lo:[0,0,1] neg_hi:[0,0,1]
	v_pk_fma_f32 v[100:101], v[100:101], v[90:91], v[104:105] op_sel:[0,0,1] op_sel_hi:[1,0,0]
	v_mov_b32_e32 v107, v101
	v_pk_mul_f32 v[100:101], v[102:103], v[92:93] op_sel:[0,1]
	s_delay_alu instid0(VALU_DEP_1) | instskip(SKIP_1) | instid1(VALU_DEP_1)
	v_pk_fma_f32 v[104:105], v[102:103], v[90:91], v[100:101] op_sel:[0,0,1] op_sel_hi:[1,1,0] neg_lo:[0,0,1] neg_hi:[0,0,1]
	v_pk_fma_f32 v[100:101], v[102:103], v[90:91], v[100:101] op_sel:[0,0,1] op_sel_hi:[1,0,0]
	v_mov_b32_e32 v105, v101
	ds_load_2addr_b64 v[100:103], v94 offset0:39 offset1:40
	v_pk_add_f32 v[6:7], v[6:7], v[106:107] neg_lo:[0,1] neg_hi:[0,1]
	v_pk_add_f32 v[54:55], v[54:55], v[104:105] neg_lo:[0,1] neg_hi:[0,1]
	s_wait_dscnt 0x0
	v_dual_mul_f32 v104, v101, v93 :: v_dual_mul_f32 v106, v101, v90
	s_delay_alu instid0(VALU_DEP_1) | instskip(NEXT) | instid1(VALU_DEP_2)
	v_pk_fma_f32 v[104:105], v[100:101], v[26:27], v[104:105] op_sel_hi:[1,1,0] neg_lo:[0,0,1] neg_hi:[0,0,1]
	v_pk_fma_f32 v[100:101], v[100:101], v[26:27], v[106:107] op_sel:[1,0,0] op_sel_hi:[0,1,0]
	s_delay_alu instid0(VALU_DEP_1) | instskip(SKIP_1) | instid1(VALU_DEP_2)
	v_mov_b32_e32 v105, v101
	v_pk_mul_f32 v[100:101], v[102:103], v[92:93] op_sel:[0,1]
	v_pk_add_f32 v[40:41], v[40:41], v[104:105] neg_lo:[0,1] neg_hi:[0,1]
	s_delay_alu instid0(VALU_DEP_2) | instskip(SKIP_1) | instid1(VALU_DEP_1)
	v_pk_fma_f32 v[104:105], v[102:103], v[90:91], v[100:101] op_sel:[0,0,1] op_sel_hi:[1,1,0] neg_lo:[0,0,1] neg_hi:[0,0,1]
	v_pk_fma_f32 v[100:101], v[102:103], v[90:91], v[100:101] op_sel:[0,0,1] op_sel_hi:[1,0,0]
	v_mov_b32_e32 v105, v101
	ds_load_b64 v[100:101], v94 offset:328
	v_pk_add_f32 v[24:25], v[24:25], v[104:105] neg_lo:[0,1] neg_hi:[0,1]
	s_wait_dscnt 0x0
	v_pk_mul_f32 v[92:93], v[100:101], v[92:93] op_sel:[0,1]
	s_delay_alu instid0(VALU_DEP_1) | instskip(SKIP_1) | instid1(VALU_DEP_1)
	v_pk_fma_f32 v[102:103], v[100:101], v[90:91], v[92:93] op_sel:[0,0,1] op_sel_hi:[1,1,0] neg_lo:[0,0,1] neg_hi:[0,0,1]
	v_pk_fma_f32 v[90:91], v[100:101], v[90:91], v[92:93] op_sel:[0,0,1] op_sel_hi:[1,0,0]
	v_mov_b32_e32 v103, v91
	s_delay_alu instid0(VALU_DEP_1)
	v_pk_add_f32 v[88:89], v[88:89], v[102:103] neg_lo:[0,1] neg_hi:[0,1]
.LBB82_230:
	s_or_b32 exec_lo, exec_lo, s0
	v_lshl_add_u32 v90, v98, 3, v94
	s_barrier_signal -1
	s_barrier_wait -1
	ds_store_b64 v90, v[20:21]
	s_wait_dscnt 0x0
	s_barrier_signal -1
	s_barrier_wait -1
	ds_load_b64 v[92:93], v94 offset:88
	v_mov_b32_e32 v90, 11
	s_cmp_lt_i32 s18, 13
	s_cbranch_scc1 .LBB82_233
; %bb.231:
	v_add3_u32 v91, v95, 0, 0x60
	v_mov_b32_e32 v90, 11
	s_mov_b32 s0, 12
.LBB82_232:                             ; =>This Inner Loop Header: Depth=1
	ds_load_b64 v[100:101], v91
	s_wait_dscnt 0x1
	v_cmp_gt_f32_e32 vcc_lo, 0, v92
	v_cndmask_b32_e64 v102, v92, -v92, vcc_lo
	v_cmp_gt_f32_e32 vcc_lo, 0, v93
	v_cndmask_b32_e64 v104, v93, -v93, vcc_lo
	s_wait_dscnt 0x0
	v_cmp_gt_f32_e32 vcc_lo, 0, v100
	v_cndmask_b32_e64 v103, v100, -v100, vcc_lo
	v_cmp_gt_f32_e32 vcc_lo, 0, v101
	v_cndmask_b32_e64 v105, v101, -v101, vcc_lo
	s_delay_alu instid0(VALU_DEP_1) | instskip(NEXT) | instid1(VALU_DEP_1)
	v_pk_add_f32 v[102:103], v[102:103], v[104:105]
	v_cmp_lt_f32_e32 vcc_lo, v102, v103
	v_dual_add_nc_u32 v91, 8, v91 :: v_dual_cndmask_b32 v93, v93, v101, vcc_lo
	v_cndmask_b32_e32 v92, v92, v100, vcc_lo
	v_cndmask_b32_e64 v90, v90, s0, vcc_lo
	s_add_co_i32 s0, s0, 1
	s_delay_alu instid0(SALU_CYCLE_1)
	s_cmp_lg_u32 s18, s0
	s_cbranch_scc1 .LBB82_232
.LBB82_233:
	s_wait_dscnt 0x0
	v_cmp_eq_f32_e32 vcc_lo, 0, v92
	v_cmp_eq_f32_e64 s0, 0, v93
	s_and_b32 s0, vcc_lo, s0
	s_delay_alu instid0(SALU_CYCLE_1) | instskip(NEXT) | instid1(SALU_CYCLE_1)
	s_and_saveexec_b32 s1, s0
	s_xor_b32 s0, exec_lo, s1
; %bb.234:
	v_cmp_ne_u32_e32 vcc_lo, 0, v96
	v_cndmask_b32_e32 v96, 12, v96, vcc_lo
; %bb.235:
	s_and_not1_saveexec_b32 s0, s0
	s_cbranch_execz .LBB82_241
; %bb.236:
	v_cmp_ngt_f32_e64 s1, |v92|, |v93|
	s_and_saveexec_b32 s12, s1
	s_delay_alu instid0(SALU_CYCLE_1)
	s_xor_b32 s1, exec_lo, s12
	s_cbranch_execz .LBB82_238
; %bb.237:
	v_div_scale_f32 v91, null, v93, v93, v92
	v_div_scale_f32 v101, vcc_lo, v92, v93, v92
	s_delay_alu instid0(VALU_DEP_2) | instskip(SKIP_1) | instid1(TRANS32_DEP_1)
	v_rcp_f32_e32 v99, v91
	v_nop
	v_fma_f32 v100, -v91, v99, 1.0
	s_delay_alu instid0(VALU_DEP_1) | instskip(NEXT) | instid1(VALU_DEP_1)
	v_fmac_f32_e32 v99, v100, v99
	v_mul_f32_e32 v100, v101, v99
	s_delay_alu instid0(VALU_DEP_1) | instskip(NEXT) | instid1(VALU_DEP_1)
	v_fma_f32 v102, -v91, v100, v101
	v_fmac_f32_e32 v100, v102, v99
	s_delay_alu instid0(VALU_DEP_1) | instskip(NEXT) | instid1(VALU_DEP_1)
	v_fma_f32 v91, -v91, v100, v101
	v_div_fmas_f32 v91, v91, v99, v100
	s_delay_alu instid0(VALU_DEP_1) | instskip(NEXT) | instid1(VALU_DEP_1)
	v_div_fixup_f32 v91, v91, v93, v92
	v_fmac_f32_e32 v93, v92, v91
	s_delay_alu instid0(VALU_DEP_1) | instskip(SKIP_1) | instid1(VALU_DEP_2)
	v_div_scale_f32 v92, null, v93, v93, 1.0
	v_div_scale_f32 v101, vcc_lo, 1.0, v93, 1.0
	v_rcp_f32_e32 v99, v92
	v_nop
	s_delay_alu instid0(TRANS32_DEP_1) | instskip(NEXT) | instid1(VALU_DEP_1)
	v_fma_f32 v100, -v92, v99, 1.0
	v_fmac_f32_e32 v99, v100, v99
	s_delay_alu instid0(VALU_DEP_1) | instskip(NEXT) | instid1(VALU_DEP_1)
	v_mul_f32_e32 v100, v101, v99
	v_fma_f32 v102, -v92, v100, v101
	s_delay_alu instid0(VALU_DEP_1) | instskip(NEXT) | instid1(VALU_DEP_1)
	v_fmac_f32_e32 v100, v102, v99
	v_fma_f32 v92, -v92, v100, v101
	s_delay_alu instid0(VALU_DEP_1) | instskip(NEXT) | instid1(VALU_DEP_1)
	v_div_fmas_f32 v92, v92, v99, v100
	v_div_fixup_f32 v93, v92, v93, 1.0
	s_delay_alu instid0(VALU_DEP_1)
	v_mul_f32_e32 v92, v91, v93
	v_xor_b32_e32 v93, 0x80000000, v93
.LBB82_238:
	s_and_not1_saveexec_b32 s1, s1
	s_cbranch_execz .LBB82_240
; %bb.239:
	s_delay_alu instid0(VALU_DEP_1) | instskip(SKIP_1) | instid1(VALU_DEP_2)
	v_div_scale_f32 v91, null, v92, v92, v93
	v_div_scale_f32 v101, vcc_lo, v93, v92, v93
	v_rcp_f32_e32 v99, v91
	v_nop
	s_delay_alu instid0(TRANS32_DEP_1) | instskip(NEXT) | instid1(VALU_DEP_1)
	v_fma_f32 v100, -v91, v99, 1.0
	v_fmac_f32_e32 v99, v100, v99
	s_delay_alu instid0(VALU_DEP_1) | instskip(NEXT) | instid1(VALU_DEP_1)
	v_mul_f32_e32 v100, v101, v99
	v_fma_f32 v102, -v91, v100, v101
	s_delay_alu instid0(VALU_DEP_1) | instskip(NEXT) | instid1(VALU_DEP_1)
	v_fmac_f32_e32 v100, v102, v99
	v_fma_f32 v91, -v91, v100, v101
	s_delay_alu instid0(VALU_DEP_1) | instskip(NEXT) | instid1(VALU_DEP_1)
	v_div_fmas_f32 v91, v91, v99, v100
	v_div_fixup_f32 v91, v91, v92, v93
	s_delay_alu instid0(VALU_DEP_1) | instskip(NEXT) | instid1(VALU_DEP_1)
	v_fmac_f32_e32 v92, v93, v91
	v_div_scale_f32 v93, null, v92, v92, 1.0
	s_delay_alu instid0(VALU_DEP_1) | instskip(SKIP_1) | instid1(TRANS32_DEP_1)
	v_rcp_f32_e32 v99, v93
	v_nop
	v_fma_f32 v100, -v93, v99, 1.0
	s_delay_alu instid0(VALU_DEP_1) | instskip(SKIP_1) | instid1(VALU_DEP_1)
	v_fmac_f32_e32 v99, v100, v99
	v_div_scale_f32 v100, vcc_lo, 1.0, v92, 1.0
	v_mul_f32_e32 v101, v100, v99
	s_delay_alu instid0(VALU_DEP_1) | instskip(NEXT) | instid1(VALU_DEP_1)
	v_fma_f32 v102, -v93, v101, v100
	v_fmac_f32_e32 v101, v102, v99
	s_delay_alu instid0(VALU_DEP_1) | instskip(NEXT) | instid1(VALU_DEP_1)
	v_fma_f32 v93, -v93, v101, v100
	v_div_fmas_f32 v93, v93, v99, v101
	s_delay_alu instid0(VALU_DEP_1) | instskip(NEXT) | instid1(VALU_DEP_1)
	v_div_fixup_f32 v92, v93, v92, 1.0
	v_mul_f32_e64 v93, v91, -v92
.LBB82_240:
	s_or_b32 exec_lo, exec_lo, s1
.LBB82_241:
	s_delay_alu instid0(SALU_CYCLE_1) | instskip(NEXT) | instid1(SALU_CYCLE_1)
	s_or_b32 exec_lo, exec_lo, s0
	s_mov_b32 s0, exec_lo
	v_cmpx_ne_u32_e64 v98, v90
	s_xor_b32 s0, exec_lo, s0
	s_cbranch_execz .LBB82_247
; %bb.242:
	s_mov_b32 s1, exec_lo
	v_cmpx_eq_u32_e32 11, v98
	s_cbranch_execz .LBB82_246
; %bb.243:
	v_cmp_ne_u32_e32 vcc_lo, 11, v90
	s_xor_b32 s12, s16, -1
	s_delay_alu instid0(SALU_CYCLE_1) | instskip(NEXT) | instid1(SALU_CYCLE_1)
	s_and_b32 s13, s12, vcc_lo
	s_and_saveexec_b32 s12, s13
	s_cbranch_execz .LBB82_245
; %bb.244:
	v_ashrrev_i32_e32 v91, 31, v90
	s_delay_alu instid0(VALU_DEP_1)
	v_lshl_add_u64 v[98:99], v[90:91], 2, v[4:5]
	s_clause 0x1
	global_load_b32 v91, v[98:99], off
	global_load_b32 v97, v[4:5], off offset:44
	s_wait_loadcnt 0x1
	global_store_b32 v[4:5], v91, off offset:44
	s_wait_loadcnt 0x0
	global_store_b32 v[98:99], v97, off
.LBB82_245:
	s_wait_xcnt 0x0
	s_or_b32 exec_lo, exec_lo, s12
	v_dual_mov_b32 v98, v90 :: v_dual_mov_b32 v97, v90
.LBB82_246:
	s_or_b32 exec_lo, exec_lo, s1
.LBB82_247:
	s_and_not1_saveexec_b32 s0, s0
	s_cbranch_execz .LBB82_249
; %bb.248:
	v_dual_mov_b32 v90, v78 :: v_dual_mov_b32 v91, v79
	v_dual_mov_b32 v98, v58 :: v_dual_mov_b32 v99, v59
	ds_store_2addr_b64 v94, v[90:91], v[98:99] offset0:12 offset1:13
	v_dual_mov_b32 v90, v60 :: v_dual_mov_b32 v91, v61
	v_dual_mov_b32 v98, v56 :: v_dual_mov_b32 v99, v57
	ds_store_2addr_b64 v94, v[90:91], v[98:99] offset0:14 offset1:15
	;; [unrolled: 3-line block ×14, first 2 shown]
	v_dual_mov_b32 v90, v24 :: v_dual_mov_b32 v91, v25
	v_mov_b32_e32 v98, 11
	ds_store_2addr_b64 v94, v[90:91], v[88:89] offset0:40 offset1:41
.LBB82_249:
	s_or_b32 exec_lo, exec_lo, s0
	s_delay_alu instid0(SALU_CYCLE_1)
	s_mov_b32 s0, exec_lo
	s_wait_storecnt_dscnt 0x0
	s_barrier_signal -1
	s_barrier_wait -1
	v_cmpx_lt_i32_e32 11, v98
	s_cbranch_execz .LBB82_251
; %bb.250:
	v_pk_mul_f32 v[100:101], v[92:93], v[20:21] op_sel:[1,1] op_sel_hi:[0,1]
	s_delay_alu instid0(VALU_DEP_1)
	v_pk_fma_f32 v[90:91], v[92:93], v[20:21], v[100:101] op_sel_hi:[1,0,1] neg_lo:[0,0,1] neg_hi:[0,0,1]
	v_pk_fma_f32 v[92:93], v[92:93], v[20:21], v[100:101] op_sel_hi:[1,0,1]
	ds_load_2addr_b64 v[100:103], v94 offset0:12 offset1:13
	v_dual_mov_b32 v20, v90 :: v_dual_mov_b32 v21, v93
	s_wait_dscnt 0x0
	v_pk_mul_f32 v[104:105], v[100:101], v[92:93] op_sel:[0,1]
	s_delay_alu instid0(VALU_DEP_1) | instskip(SKIP_1) | instid1(VALU_DEP_1)
	v_pk_fma_f32 v[106:107], v[100:101], v[90:91], v[104:105] op_sel:[0,0,1] op_sel_hi:[1,1,0] neg_lo:[0,0,1] neg_hi:[0,0,1]
	v_pk_fma_f32 v[100:101], v[100:101], v[90:91], v[104:105] op_sel:[0,0,1] op_sel_hi:[1,0,0]
	v_mov_b32_e32 v107, v101
	v_pk_mul_f32 v[100:101], v[102:103], v[92:93] op_sel:[0,1]
	s_delay_alu instid0(VALU_DEP_1) | instskip(SKIP_1) | instid1(VALU_DEP_1)
	v_pk_fma_f32 v[104:105], v[102:103], v[90:91], v[100:101] op_sel:[0,0,1] op_sel_hi:[1,1,0] neg_lo:[0,0,1] neg_hi:[0,0,1]
	v_pk_fma_f32 v[100:101], v[102:103], v[90:91], v[100:101] op_sel:[0,0,1] op_sel_hi:[1,0,0]
	v_mov_b32_e32 v105, v101
	ds_load_2addr_b64 v[100:103], v94 offset0:14 offset1:15
	v_pk_add_f32 v[78:79], v[78:79], v[106:107] neg_lo:[0,1] neg_hi:[0,1]
	v_pk_add_f32 v[58:59], v[58:59], v[104:105] neg_lo:[0,1] neg_hi:[0,1]
	s_wait_dscnt 0x0
	v_pk_mul_f32 v[104:105], v[100:101], v[92:93] op_sel:[0,1]
	s_delay_alu instid0(VALU_DEP_1) | instskip(SKIP_2) | instid1(VALU_DEP_2)
	v_pk_fma_f32 v[106:107], v[100:101], v[90:91], v[104:105] op_sel:[0,0,1] op_sel_hi:[1,1,0] neg_lo:[0,0,1] neg_hi:[0,0,1]
	v_pk_fma_f32 v[100:101], v[100:101], v[90:91], v[104:105] op_sel:[0,0,1] op_sel_hi:[1,0,0]
	v_dual_mul_f32 v104, v103, v93 :: v_dual_mov_b32 v100, v103
	v_dual_mov_b32 v107, v101 :: v_dual_mov_b32 v101, v102
	s_delay_alu instid0(VALU_DEP_2) | instskip(SKIP_1) | instid1(VALU_DEP_3)
	v_pk_fma_f32 v[104:105], v[102:103], v[20:21], v[104:105] op_sel_hi:[1,1,0] neg_lo:[0,0,1] neg_hi:[0,0,1]
	v_mul_f32_e32 v102, v103, v90
	v_pk_add_f32 v[60:61], v[60:61], v[106:107] neg_lo:[0,1] neg_hi:[0,1]
	s_delay_alu instid0(VALU_DEP_2) | instskip(NEXT) | instid1(VALU_DEP_1)
	v_pk_fma_f32 v[100:101], v[100:101], v[20:21], v[102:103] op_sel_hi:[1,1,0]
	v_mov_b32_e32 v105, v101
	ds_load_2addr_b64 v[100:103], v94 offset0:16 offset1:17
	v_pk_add_f32 v[56:57], v[56:57], v[104:105] neg_lo:[0,1] neg_hi:[0,1]
	s_wait_dscnt 0x0
	v_pk_mul_f32 v[104:105], v[100:101], v[92:93] op_sel:[0,1]
	s_delay_alu instid0(VALU_DEP_1) | instskip(SKIP_1) | instid1(VALU_DEP_1)
	v_pk_fma_f32 v[106:107], v[100:101], v[90:91], v[104:105] op_sel:[0,0,1] op_sel_hi:[1,1,0] neg_lo:[0,0,1] neg_hi:[0,0,1]
	v_pk_fma_f32 v[100:101], v[100:101], v[90:91], v[104:105] op_sel:[0,0,1] op_sel_hi:[1,0,0]
	v_mov_b32_e32 v107, v101
	v_pk_mul_f32 v[100:101], v[102:103], v[92:93] op_sel:[0,1]
	s_delay_alu instid0(VALU_DEP_1) | instskip(SKIP_1) | instid1(VALU_DEP_1)
	v_pk_fma_f32 v[104:105], v[102:103], v[90:91], v[100:101] op_sel:[0,0,1] op_sel_hi:[1,1,0] neg_lo:[0,0,1] neg_hi:[0,0,1]
	v_pk_fma_f32 v[100:101], v[102:103], v[90:91], v[100:101] op_sel:[0,0,1] op_sel_hi:[1,0,0]
	v_mov_b32_e32 v105, v101
	ds_load_2addr_b64 v[100:103], v94 offset0:18 offset1:19
	v_pk_add_f32 v[76:77], v[76:77], v[106:107] neg_lo:[0,1] neg_hi:[0,1]
	v_pk_add_f32 v[50:51], v[50:51], v[104:105] neg_lo:[0,1] neg_hi:[0,1]
	s_wait_dscnt 0x0
	v_pk_mul_f32 v[104:105], v[100:101], v[92:93] op_sel:[0,1]
	s_delay_alu instid0(VALU_DEP_1) | instskip(SKIP_1) | instid1(VALU_DEP_1)
	v_pk_fma_f32 v[106:107], v[100:101], v[90:91], v[104:105] op_sel:[0,0,1] op_sel_hi:[1,1,0] neg_lo:[0,0,1] neg_hi:[0,0,1]
	v_pk_fma_f32 v[100:101], v[100:101], v[90:91], v[104:105] op_sel:[0,0,1] op_sel_hi:[1,0,0]
	v_mov_b32_e32 v107, v101
	v_pk_mul_f32 v[100:101], v[102:103], v[92:93] op_sel:[0,1]
	s_delay_alu instid0(VALU_DEP_1) | instskip(SKIP_1) | instid1(VALU_DEP_1)
	v_pk_fma_f32 v[104:105], v[102:103], v[90:91], v[100:101] op_sel:[0,0,1] op_sel_hi:[1,1,0] neg_lo:[0,0,1] neg_hi:[0,0,1]
	v_pk_fma_f32 v[100:101], v[102:103], v[90:91], v[100:101] op_sel:[0,0,1] op_sel_hi:[1,0,0]
	v_mov_b32_e32 v105, v101
	ds_load_2addr_b64 v[100:103], v94 offset0:20 offset1:21
	v_pk_add_f32 v[52:53], v[52:53], v[106:107] neg_lo:[0,1] neg_hi:[0,1]
	v_pk_add_f32 v[48:49], v[48:49], v[104:105] neg_lo:[0,1] neg_hi:[0,1]
	s_wait_dscnt 0x0
	v_dual_mul_f32 v104, v101, v93 :: v_dual_mul_f32 v106, v101, v90
	s_delay_alu instid0(VALU_DEP_1) | instskip(NEXT) | instid1(VALU_DEP_2)
	v_pk_fma_f32 v[104:105], v[100:101], v[20:21], v[104:105] op_sel_hi:[1,1,0] neg_lo:[0,0,1] neg_hi:[0,0,1]
	v_pk_fma_f32 v[100:101], v[100:101], v[20:21], v[106:107] op_sel:[1,0,0] op_sel_hi:[0,1,0]
	s_delay_alu instid0(VALU_DEP_1) | instskip(SKIP_1) | instid1(VALU_DEP_2)
	v_mov_b32_e32 v105, v101
	v_pk_mul_f32 v[100:101], v[102:103], v[92:93] op_sel:[0,1]
	v_pk_add_f32 v[74:75], v[74:75], v[104:105] neg_lo:[0,1] neg_hi:[0,1]
	s_delay_alu instid0(VALU_DEP_2) | instskip(SKIP_1) | instid1(VALU_DEP_1)
	v_pk_fma_f32 v[104:105], v[102:103], v[90:91], v[100:101] op_sel:[0,0,1] op_sel_hi:[1,1,0] neg_lo:[0,0,1] neg_hi:[0,0,1]
	v_pk_fma_f32 v[100:101], v[102:103], v[90:91], v[100:101] op_sel:[0,0,1] op_sel_hi:[1,0,0]
	v_mov_b32_e32 v105, v101
	ds_load_2addr_b64 v[100:103], v94 offset0:22 offset1:23
	v_pk_add_f32 v[44:45], v[44:45], v[104:105] neg_lo:[0,1] neg_hi:[0,1]
	s_wait_dscnt 0x0
	v_pk_mul_f32 v[104:105], v[100:101], v[92:93] op_sel:[0,1]
	s_delay_alu instid0(VALU_DEP_1) | instskip(SKIP_1) | instid1(VALU_DEP_1)
	v_pk_fma_f32 v[106:107], v[100:101], v[90:91], v[104:105] op_sel:[0,0,1] op_sel_hi:[1,1,0] neg_lo:[0,0,1] neg_hi:[0,0,1]
	v_pk_fma_f32 v[100:101], v[100:101], v[90:91], v[104:105] op_sel:[0,0,1] op_sel_hi:[1,0,0]
	v_mov_b32_e32 v107, v101
	v_pk_mul_f32 v[100:101], v[102:103], v[92:93] op_sel:[0,1]
	s_delay_alu instid0(VALU_DEP_2) | instskip(NEXT) | instid1(VALU_DEP_2)
	v_pk_add_f32 v[46:47], v[46:47], v[106:107] neg_lo:[0,1] neg_hi:[0,1]
	v_pk_fma_f32 v[104:105], v[102:103], v[90:91], v[100:101] op_sel:[0,0,1] op_sel_hi:[1,1,0] neg_lo:[0,0,1] neg_hi:[0,0,1]
	v_pk_fma_f32 v[100:101], v[102:103], v[90:91], v[100:101] op_sel:[0,0,1] op_sel_hi:[1,0,0]
	s_delay_alu instid0(VALU_DEP_1) | instskip(SKIP_4) | instid1(VALU_DEP_1)
	v_mov_b32_e32 v105, v101
	ds_load_2addr_b64 v[100:103], v94 offset0:24 offset1:25
	v_pk_add_f32 v[42:43], v[42:43], v[104:105] neg_lo:[0,1] neg_hi:[0,1]
	s_wait_dscnt 0x0
	v_pk_mul_f32 v[104:105], v[100:101], v[92:93] op_sel:[0,1]
	v_pk_fma_f32 v[106:107], v[100:101], v[90:91], v[104:105] op_sel:[0,0,1] op_sel_hi:[1,1,0] neg_lo:[0,0,1] neg_hi:[0,0,1]
	v_pk_fma_f32 v[100:101], v[100:101], v[90:91], v[104:105] op_sel:[0,0,1] op_sel_hi:[1,0,0]
	v_dual_mul_f32 v104, v103, v93 :: v_dual_mov_b32 v100, v103
	s_delay_alu instid0(VALU_DEP_2) | instskip(NEXT) | instid1(VALU_DEP_2)
	v_dual_mov_b32 v107, v101 :: v_dual_mov_b32 v101, v102
	v_pk_fma_f32 v[104:105], v[102:103], v[20:21], v[104:105] op_sel_hi:[1,1,0] neg_lo:[0,0,1] neg_hi:[0,0,1]
	v_mul_f32_e32 v102, v103, v90
	s_delay_alu instid0(VALU_DEP_3) | instskip(NEXT) | instid1(VALU_DEP_2)
	v_pk_add_f32 v[72:73], v[72:73], v[106:107] neg_lo:[0,1] neg_hi:[0,1]
	v_pk_fma_f32 v[100:101], v[100:101], v[20:21], v[102:103] op_sel_hi:[1,1,0]
	s_delay_alu instid0(VALU_DEP_1) | instskip(SKIP_4) | instid1(VALU_DEP_1)
	v_mov_b32_e32 v105, v101
	ds_load_2addr_b64 v[100:103], v94 offset0:26 offset1:27
	v_pk_add_f32 v[36:37], v[36:37], v[104:105] neg_lo:[0,1] neg_hi:[0,1]
	s_wait_dscnt 0x0
	v_pk_mul_f32 v[104:105], v[100:101], v[92:93] op_sel:[0,1]
	v_pk_fma_f32 v[106:107], v[100:101], v[90:91], v[104:105] op_sel:[0,0,1] op_sel_hi:[1,1,0] neg_lo:[0,0,1] neg_hi:[0,0,1]
	v_pk_fma_f32 v[100:101], v[100:101], v[90:91], v[104:105] op_sel:[0,0,1] op_sel_hi:[1,0,0]
	s_delay_alu instid0(VALU_DEP_1) | instskip(SKIP_1) | instid1(VALU_DEP_1)
	v_mov_b32_e32 v107, v101
	v_pk_mul_f32 v[100:101], v[102:103], v[92:93] op_sel:[0,1]
	v_pk_fma_f32 v[104:105], v[102:103], v[90:91], v[100:101] op_sel:[0,0,1] op_sel_hi:[1,1,0] neg_lo:[0,0,1] neg_hi:[0,0,1]
	v_pk_fma_f32 v[100:101], v[102:103], v[90:91], v[100:101] op_sel:[0,0,1] op_sel_hi:[1,0,0]
	s_delay_alu instid0(VALU_DEP_1)
	v_mov_b32_e32 v105, v101
	ds_load_2addr_b64 v[100:103], v94 offset0:28 offset1:29
	v_pk_add_f32 v[38:39], v[38:39], v[106:107] neg_lo:[0,1] neg_hi:[0,1]
	v_pk_add_f32 v[34:35], v[34:35], v[104:105] neg_lo:[0,1] neg_hi:[0,1]
	s_wait_dscnt 0x0
	v_pk_mul_f32 v[104:105], v[100:101], v[92:93] op_sel:[0,1]
	s_delay_alu instid0(VALU_DEP_1) | instskip(SKIP_1) | instid1(VALU_DEP_1)
	v_pk_fma_f32 v[106:107], v[100:101], v[90:91], v[104:105] op_sel:[0,0,1] op_sel_hi:[1,1,0] neg_lo:[0,0,1] neg_hi:[0,0,1]
	v_pk_fma_f32 v[100:101], v[100:101], v[90:91], v[104:105] op_sel:[0,0,1] op_sel_hi:[1,0,0]
	v_mov_b32_e32 v107, v101
	v_pk_mul_f32 v[100:101], v[102:103], v[92:93] op_sel:[0,1]
	s_delay_alu instid0(VALU_DEP_1) | instskip(SKIP_1) | instid1(VALU_DEP_1)
	v_pk_fma_f32 v[104:105], v[102:103], v[90:91], v[100:101] op_sel:[0,0,1] op_sel_hi:[1,1,0] neg_lo:[0,0,1] neg_hi:[0,0,1]
	v_pk_fma_f32 v[100:101], v[102:103], v[90:91], v[100:101] op_sel:[0,0,1] op_sel_hi:[1,0,0]
	v_mov_b32_e32 v105, v101
	ds_load_2addr_b64 v[100:103], v94 offset0:30 offset1:31
	v_pk_add_f32 v[70:71], v[70:71], v[106:107] neg_lo:[0,1] neg_hi:[0,1]
	v_pk_add_f32 v[30:31], v[30:31], v[104:105] neg_lo:[0,1] neg_hi:[0,1]
	s_wait_dscnt 0x0
	v_dual_mul_f32 v104, v101, v93 :: v_dual_mul_f32 v106, v101, v90
	s_delay_alu instid0(VALU_DEP_1) | instskip(NEXT) | instid1(VALU_DEP_2)
	v_pk_fma_f32 v[104:105], v[100:101], v[20:21], v[104:105] op_sel_hi:[1,1,0] neg_lo:[0,0,1] neg_hi:[0,0,1]
	v_pk_fma_f32 v[100:101], v[100:101], v[20:21], v[106:107] op_sel:[1,0,0] op_sel_hi:[0,1,0]
	s_delay_alu instid0(VALU_DEP_1) | instskip(SKIP_1) | instid1(VALU_DEP_2)
	v_mov_b32_e32 v105, v101
	v_pk_mul_f32 v[100:101], v[102:103], v[92:93] op_sel:[0,1]
	v_pk_add_f32 v[32:33], v[32:33], v[104:105] neg_lo:[0,1] neg_hi:[0,1]
	s_delay_alu instid0(VALU_DEP_2) | instskip(SKIP_1) | instid1(VALU_DEP_1)
	v_pk_fma_f32 v[104:105], v[102:103], v[90:91], v[100:101] op_sel:[0,0,1] op_sel_hi:[1,1,0] neg_lo:[0,0,1] neg_hi:[0,0,1]
	v_pk_fma_f32 v[100:101], v[102:103], v[90:91], v[100:101] op_sel:[0,0,1] op_sel_hi:[1,0,0]
	v_mov_b32_e32 v105, v101
	ds_load_2addr_b64 v[100:103], v94 offset0:32 offset1:33
	v_pk_add_f32 v[28:29], v[28:29], v[104:105] neg_lo:[0,1] neg_hi:[0,1]
	s_wait_dscnt 0x0
	v_pk_mul_f32 v[104:105], v[100:101], v[92:93] op_sel:[0,1]
	s_delay_alu instid0(VALU_DEP_1) | instskip(SKIP_1) | instid1(VALU_DEP_1)
	v_pk_fma_f32 v[106:107], v[100:101], v[90:91], v[104:105] op_sel:[0,0,1] op_sel_hi:[1,1,0] neg_lo:[0,0,1] neg_hi:[0,0,1]
	v_pk_fma_f32 v[100:101], v[100:101], v[90:91], v[104:105] op_sel:[0,0,1] op_sel_hi:[1,0,0]
	v_mov_b32_e32 v107, v101
	v_pk_mul_f32 v[100:101], v[102:103], v[92:93] op_sel:[0,1]
	s_delay_alu instid0(VALU_DEP_2) | instskip(NEXT) | instid1(VALU_DEP_2)
	v_pk_add_f32 v[64:65], v[64:65], v[106:107] neg_lo:[0,1] neg_hi:[0,1]
	v_pk_fma_f32 v[104:105], v[102:103], v[90:91], v[100:101] op_sel:[0,0,1] op_sel_hi:[1,1,0] neg_lo:[0,0,1] neg_hi:[0,0,1]
	v_pk_fma_f32 v[100:101], v[102:103], v[90:91], v[100:101] op_sel:[0,0,1] op_sel_hi:[1,0,0]
	s_delay_alu instid0(VALU_DEP_1) | instskip(SKIP_4) | instid1(VALU_DEP_1)
	v_mov_b32_e32 v105, v101
	ds_load_2addr_b64 v[100:103], v94 offset0:34 offset1:35
	v_pk_add_f32 v[10:11], v[10:11], v[104:105] neg_lo:[0,1] neg_hi:[0,1]
	s_wait_dscnt 0x0
	v_pk_mul_f32 v[104:105], v[100:101], v[92:93] op_sel:[0,1]
	v_pk_fma_f32 v[106:107], v[100:101], v[90:91], v[104:105] op_sel:[0,0,1] op_sel_hi:[1,1,0] neg_lo:[0,0,1] neg_hi:[0,0,1]
	v_pk_fma_f32 v[100:101], v[100:101], v[90:91], v[104:105] op_sel:[0,0,1] op_sel_hi:[1,0,0]
	v_dual_mul_f32 v104, v103, v93 :: v_dual_mov_b32 v100, v103
	s_delay_alu instid0(VALU_DEP_2) | instskip(NEXT) | instid1(VALU_DEP_2)
	v_dual_mov_b32 v107, v101 :: v_dual_mov_b32 v101, v102
	v_pk_fma_f32 v[104:105], v[102:103], v[20:21], v[104:105] op_sel_hi:[1,1,0] neg_lo:[0,0,1] neg_hi:[0,0,1]
	v_mul_f32_e32 v102, v103, v90
	s_delay_alu instid0(VALU_DEP_3) | instskip(NEXT) | instid1(VALU_DEP_2)
	v_pk_add_f32 v[12:13], v[12:13], v[106:107] neg_lo:[0,1] neg_hi:[0,1]
	v_pk_fma_f32 v[100:101], v[100:101], v[20:21], v[102:103] op_sel_hi:[1,1,0]
	s_delay_alu instid0(VALU_DEP_1) | instskip(SKIP_4) | instid1(VALU_DEP_1)
	v_mov_b32_e32 v105, v101
	ds_load_2addr_b64 v[100:103], v94 offset0:36 offset1:37
	v_pk_add_f32 v[8:9], v[8:9], v[104:105] neg_lo:[0,1] neg_hi:[0,1]
	s_wait_dscnt 0x0
	v_pk_mul_f32 v[104:105], v[100:101], v[92:93] op_sel:[0,1]
	v_pk_fma_f32 v[106:107], v[100:101], v[90:91], v[104:105] op_sel:[0,0,1] op_sel_hi:[1,1,0] neg_lo:[0,0,1] neg_hi:[0,0,1]
	v_pk_fma_f32 v[100:101], v[100:101], v[90:91], v[104:105] op_sel:[0,0,1] op_sel_hi:[1,0,0]
	s_delay_alu instid0(VALU_DEP_1) | instskip(SKIP_1) | instid1(VALU_DEP_1)
	v_mov_b32_e32 v107, v101
	v_pk_mul_f32 v[100:101], v[102:103], v[92:93] op_sel:[0,1]
	v_pk_fma_f32 v[104:105], v[102:103], v[90:91], v[100:101] op_sel:[0,0,1] op_sel_hi:[1,1,0] neg_lo:[0,0,1] neg_hi:[0,0,1]
	v_pk_fma_f32 v[100:101], v[102:103], v[90:91], v[100:101] op_sel:[0,0,1] op_sel_hi:[1,0,0]
	s_delay_alu instid0(VALU_DEP_1)
	v_mov_b32_e32 v105, v101
	ds_load_2addr_b64 v[100:103], v94 offset0:38 offset1:39
	v_pk_add_f32 v[62:63], v[62:63], v[106:107] neg_lo:[0,1] neg_hi:[0,1]
	v_pk_add_f32 v[6:7], v[6:7], v[104:105] neg_lo:[0,1] neg_hi:[0,1]
	s_wait_dscnt 0x0
	v_pk_mul_f32 v[104:105], v[100:101], v[92:93] op_sel:[0,1]
	s_delay_alu instid0(VALU_DEP_1) | instskip(SKIP_1) | instid1(VALU_DEP_1)
	v_pk_fma_f32 v[106:107], v[100:101], v[90:91], v[104:105] op_sel:[0,0,1] op_sel_hi:[1,1,0] neg_lo:[0,0,1] neg_hi:[0,0,1]
	v_pk_fma_f32 v[100:101], v[100:101], v[90:91], v[104:105] op_sel:[0,0,1] op_sel_hi:[1,0,0]
	v_mov_b32_e32 v107, v101
	v_pk_mul_f32 v[100:101], v[102:103], v[92:93] op_sel:[0,1]
	s_delay_alu instid0(VALU_DEP_1) | instskip(SKIP_1) | instid1(VALU_DEP_1)
	v_pk_fma_f32 v[104:105], v[102:103], v[90:91], v[100:101] op_sel:[0,0,1] op_sel_hi:[1,1,0] neg_lo:[0,0,1] neg_hi:[0,0,1]
	v_pk_fma_f32 v[100:101], v[102:103], v[90:91], v[100:101] op_sel:[0,0,1] op_sel_hi:[1,0,0]
	v_mov_b32_e32 v105, v101
	ds_load_2addr_b64 v[100:103], v94 offset0:40 offset1:41
	v_pk_add_f32 v[54:55], v[54:55], v[106:107] neg_lo:[0,1] neg_hi:[0,1]
	v_pk_add_f32 v[40:41], v[40:41], v[104:105] neg_lo:[0,1] neg_hi:[0,1]
	s_wait_dscnt 0x0
	v_mul_f32_e32 v92, v101, v93
	s_delay_alu instid0(VALU_DEP_1) | instskip(SKIP_1) | instid1(VALU_DEP_1)
	v_pk_fma_f32 v[104:105], v[100:101], v[20:21], v[92:93] op_sel_hi:[1,1,0] neg_lo:[0,0,1] neg_hi:[0,0,1]
	v_dual_mul_f32 v92, v101, v90 :: v_dual_mul_f32 v90, v103, v90
	v_pk_fma_f32 v[100:101], v[100:101], v[20:21], v[92:93] op_sel:[1,0,0] op_sel_hi:[0,1,0]
	v_dual_mov_b32 v100, v103 :: v_dual_mul_f32 v92, v103, v93
	s_delay_alu instid0(VALU_DEP_2) | instskip(NEXT) | instid1(VALU_DEP_2)
	v_dual_mov_b32 v105, v101 :: v_dual_mov_b32 v101, v102
	v_pk_fma_f32 v[92:93], v[102:103], v[20:21], v[92:93] op_sel_hi:[1,1,0] neg_lo:[0,0,1] neg_hi:[0,0,1]
	s_delay_alu instid0(VALU_DEP_2) | instskip(NEXT) | instid1(VALU_DEP_3)
	v_pk_add_f32 v[24:25], v[24:25], v[104:105] neg_lo:[0,1] neg_hi:[0,1]
	v_pk_fma_f32 v[90:91], v[100:101], v[20:21], v[90:91] op_sel_hi:[1,1,0]
	s_delay_alu instid0(VALU_DEP_1) | instskip(NEXT) | instid1(VALU_DEP_1)
	v_mov_b32_e32 v93, v91
	v_pk_add_f32 v[88:89], v[88:89], v[92:93] neg_lo:[0,1] neg_hi:[0,1]
.LBB82_251:
	s_or_b32 exec_lo, exec_lo, s0
	v_lshl_add_u32 v90, v98, 3, v94
	s_barrier_signal -1
	s_barrier_wait -1
	ds_store_b64 v90, v[78:79]
	s_wait_dscnt 0x0
	s_barrier_signal -1
	s_barrier_wait -1
	ds_load_b64 v[92:93], v94 offset:96
	v_mov_b32_e32 v90, 12
	s_cmp_lt_i32 s18, 14
	s_cbranch_scc1 .LBB82_254
; %bb.252:
	v_add3_u32 v91, v95, 0, 0x68
	v_mov_b32_e32 v90, 12
	s_mov_b32 s0, 13
.LBB82_253:                             ; =>This Inner Loop Header: Depth=1
	ds_load_b64 v[100:101], v91
	s_wait_dscnt 0x1
	v_cmp_gt_f32_e32 vcc_lo, 0, v92
	v_cndmask_b32_e64 v102, v92, -v92, vcc_lo
	v_cmp_gt_f32_e32 vcc_lo, 0, v93
	v_cndmask_b32_e64 v104, v93, -v93, vcc_lo
	s_wait_dscnt 0x0
	v_cmp_gt_f32_e32 vcc_lo, 0, v100
	v_cndmask_b32_e64 v103, v100, -v100, vcc_lo
	v_cmp_gt_f32_e32 vcc_lo, 0, v101
	v_cndmask_b32_e64 v105, v101, -v101, vcc_lo
	s_delay_alu instid0(VALU_DEP_1) | instskip(NEXT) | instid1(VALU_DEP_1)
	v_pk_add_f32 v[102:103], v[102:103], v[104:105]
	v_cmp_lt_f32_e32 vcc_lo, v102, v103
	v_dual_add_nc_u32 v91, 8, v91 :: v_dual_cndmask_b32 v93, v93, v101, vcc_lo
	v_cndmask_b32_e32 v92, v92, v100, vcc_lo
	v_cndmask_b32_e64 v90, v90, s0, vcc_lo
	s_add_co_i32 s0, s0, 1
	s_delay_alu instid0(SALU_CYCLE_1)
	s_cmp_lg_u32 s18, s0
	s_cbranch_scc1 .LBB82_253
.LBB82_254:
	s_wait_dscnt 0x0
	v_cmp_eq_f32_e32 vcc_lo, 0, v92
	v_cmp_eq_f32_e64 s0, 0, v93
	s_and_b32 s0, vcc_lo, s0
	s_delay_alu instid0(SALU_CYCLE_1) | instskip(NEXT) | instid1(SALU_CYCLE_1)
	s_and_saveexec_b32 s1, s0
	s_xor_b32 s0, exec_lo, s1
; %bb.255:
	v_cmp_ne_u32_e32 vcc_lo, 0, v96
	v_cndmask_b32_e32 v96, 13, v96, vcc_lo
; %bb.256:
	s_and_not1_saveexec_b32 s0, s0
	s_cbranch_execz .LBB82_262
; %bb.257:
	v_cmp_ngt_f32_e64 s1, |v92|, |v93|
	s_and_saveexec_b32 s12, s1
	s_delay_alu instid0(SALU_CYCLE_1)
	s_xor_b32 s1, exec_lo, s12
	s_cbranch_execz .LBB82_259
; %bb.258:
	v_div_scale_f32 v91, null, v93, v93, v92
	v_div_scale_f32 v101, vcc_lo, v92, v93, v92
	s_delay_alu instid0(VALU_DEP_2) | instskip(SKIP_1) | instid1(TRANS32_DEP_1)
	v_rcp_f32_e32 v99, v91
	v_nop
	v_fma_f32 v100, -v91, v99, 1.0
	s_delay_alu instid0(VALU_DEP_1) | instskip(NEXT) | instid1(VALU_DEP_1)
	v_fmac_f32_e32 v99, v100, v99
	v_mul_f32_e32 v100, v101, v99
	s_delay_alu instid0(VALU_DEP_1) | instskip(NEXT) | instid1(VALU_DEP_1)
	v_fma_f32 v102, -v91, v100, v101
	v_fmac_f32_e32 v100, v102, v99
	s_delay_alu instid0(VALU_DEP_1) | instskip(NEXT) | instid1(VALU_DEP_1)
	v_fma_f32 v91, -v91, v100, v101
	v_div_fmas_f32 v91, v91, v99, v100
	s_delay_alu instid0(VALU_DEP_1) | instskip(NEXT) | instid1(VALU_DEP_1)
	v_div_fixup_f32 v91, v91, v93, v92
	v_fmac_f32_e32 v93, v92, v91
	s_delay_alu instid0(VALU_DEP_1) | instskip(SKIP_1) | instid1(VALU_DEP_2)
	v_div_scale_f32 v92, null, v93, v93, 1.0
	v_div_scale_f32 v101, vcc_lo, 1.0, v93, 1.0
	v_rcp_f32_e32 v99, v92
	v_nop
	s_delay_alu instid0(TRANS32_DEP_1) | instskip(NEXT) | instid1(VALU_DEP_1)
	v_fma_f32 v100, -v92, v99, 1.0
	v_fmac_f32_e32 v99, v100, v99
	s_delay_alu instid0(VALU_DEP_1) | instskip(NEXT) | instid1(VALU_DEP_1)
	v_mul_f32_e32 v100, v101, v99
	v_fma_f32 v102, -v92, v100, v101
	s_delay_alu instid0(VALU_DEP_1) | instskip(NEXT) | instid1(VALU_DEP_1)
	v_fmac_f32_e32 v100, v102, v99
	v_fma_f32 v92, -v92, v100, v101
	s_delay_alu instid0(VALU_DEP_1) | instskip(NEXT) | instid1(VALU_DEP_1)
	v_div_fmas_f32 v92, v92, v99, v100
	v_div_fixup_f32 v93, v92, v93, 1.0
	s_delay_alu instid0(VALU_DEP_1)
	v_mul_f32_e32 v92, v91, v93
	v_xor_b32_e32 v93, 0x80000000, v93
.LBB82_259:
	s_and_not1_saveexec_b32 s1, s1
	s_cbranch_execz .LBB82_261
; %bb.260:
	s_delay_alu instid0(VALU_DEP_1) | instskip(SKIP_1) | instid1(VALU_DEP_2)
	v_div_scale_f32 v91, null, v92, v92, v93
	v_div_scale_f32 v101, vcc_lo, v93, v92, v93
	v_rcp_f32_e32 v99, v91
	v_nop
	s_delay_alu instid0(TRANS32_DEP_1) | instskip(NEXT) | instid1(VALU_DEP_1)
	v_fma_f32 v100, -v91, v99, 1.0
	v_fmac_f32_e32 v99, v100, v99
	s_delay_alu instid0(VALU_DEP_1) | instskip(NEXT) | instid1(VALU_DEP_1)
	v_mul_f32_e32 v100, v101, v99
	v_fma_f32 v102, -v91, v100, v101
	s_delay_alu instid0(VALU_DEP_1) | instskip(NEXT) | instid1(VALU_DEP_1)
	v_fmac_f32_e32 v100, v102, v99
	v_fma_f32 v91, -v91, v100, v101
	s_delay_alu instid0(VALU_DEP_1) | instskip(NEXT) | instid1(VALU_DEP_1)
	v_div_fmas_f32 v91, v91, v99, v100
	v_div_fixup_f32 v91, v91, v92, v93
	s_delay_alu instid0(VALU_DEP_1) | instskip(NEXT) | instid1(VALU_DEP_1)
	v_fmac_f32_e32 v92, v93, v91
	v_div_scale_f32 v93, null, v92, v92, 1.0
	s_delay_alu instid0(VALU_DEP_1) | instskip(SKIP_1) | instid1(TRANS32_DEP_1)
	v_rcp_f32_e32 v99, v93
	v_nop
	v_fma_f32 v100, -v93, v99, 1.0
	s_delay_alu instid0(VALU_DEP_1) | instskip(SKIP_1) | instid1(VALU_DEP_1)
	v_fmac_f32_e32 v99, v100, v99
	v_div_scale_f32 v100, vcc_lo, 1.0, v92, 1.0
	v_mul_f32_e32 v101, v100, v99
	s_delay_alu instid0(VALU_DEP_1) | instskip(NEXT) | instid1(VALU_DEP_1)
	v_fma_f32 v102, -v93, v101, v100
	v_fmac_f32_e32 v101, v102, v99
	s_delay_alu instid0(VALU_DEP_1) | instskip(NEXT) | instid1(VALU_DEP_1)
	v_fma_f32 v93, -v93, v101, v100
	v_div_fmas_f32 v93, v93, v99, v101
	s_delay_alu instid0(VALU_DEP_1) | instskip(NEXT) | instid1(VALU_DEP_1)
	v_div_fixup_f32 v92, v93, v92, 1.0
	v_mul_f32_e64 v93, v91, -v92
.LBB82_261:
	s_or_b32 exec_lo, exec_lo, s1
.LBB82_262:
	s_delay_alu instid0(SALU_CYCLE_1) | instskip(NEXT) | instid1(SALU_CYCLE_1)
	s_or_b32 exec_lo, exec_lo, s0
	s_mov_b32 s0, exec_lo
	v_cmpx_ne_u32_e64 v98, v90
	s_xor_b32 s0, exec_lo, s0
	s_cbranch_execz .LBB82_268
; %bb.263:
	s_mov_b32 s1, exec_lo
	v_cmpx_eq_u32_e32 12, v98
	s_cbranch_execz .LBB82_267
; %bb.264:
	v_cmp_ne_u32_e32 vcc_lo, 12, v90
	s_xor_b32 s12, s16, -1
	s_delay_alu instid0(SALU_CYCLE_1) | instskip(NEXT) | instid1(SALU_CYCLE_1)
	s_and_b32 s13, s12, vcc_lo
	s_and_saveexec_b32 s12, s13
	s_cbranch_execz .LBB82_266
; %bb.265:
	v_ashrrev_i32_e32 v91, 31, v90
	s_delay_alu instid0(VALU_DEP_1)
	v_lshl_add_u64 v[98:99], v[90:91], 2, v[4:5]
	s_clause 0x1
	global_load_b32 v91, v[98:99], off
	global_load_b32 v97, v[4:5], off offset:48
	s_wait_loadcnt 0x1
	global_store_b32 v[4:5], v91, off offset:48
	s_wait_loadcnt 0x0
	global_store_b32 v[98:99], v97, off
.LBB82_266:
	s_wait_xcnt 0x0
	s_or_b32 exec_lo, exec_lo, s12
	v_dual_mov_b32 v98, v90 :: v_dual_mov_b32 v97, v90
.LBB82_267:
	s_or_b32 exec_lo, exec_lo, s1
.LBB82_268:
	s_and_not1_saveexec_b32 s0, s0
	s_cbranch_execz .LBB82_270
; %bb.269:
	v_mov_b32_e32 v98, 12
	ds_store_2addr_b64 v94, v[58:59], v[60:61] offset0:13 offset1:14
	ds_store_2addr_b64 v94, v[56:57], v[76:77] offset0:15 offset1:16
	;; [unrolled: 1-line block ×14, first 2 shown]
	ds_store_b64 v94, v[88:89] offset:328
.LBB82_270:
	s_or_b32 exec_lo, exec_lo, s0
	s_delay_alu instid0(SALU_CYCLE_1)
	s_mov_b32 s0, exec_lo
	s_wait_storecnt_dscnt 0x0
	s_barrier_signal -1
	s_barrier_wait -1
	v_cmpx_lt_i32_e32 12, v98
	s_cbranch_execz .LBB82_272
; %bb.271:
	v_pk_mul_f32 v[100:101], v[92:93], v[78:79] op_sel:[1,1] op_sel_hi:[0,1]
	s_delay_alu instid0(VALU_DEP_1)
	v_pk_fma_f32 v[90:91], v[92:93], v[78:79], v[100:101] op_sel_hi:[1,0,1] neg_lo:[0,0,1] neg_hi:[0,0,1]
	v_pk_fma_f32 v[92:93], v[92:93], v[78:79], v[100:101] op_sel_hi:[1,0,1]
	ds_load_2addr_b64 v[100:103], v94 offset0:13 offset1:14
	v_dual_mov_b32 v78, v90 :: v_dual_mov_b32 v79, v93
	s_wait_dscnt 0x0
	v_pk_mul_f32 v[104:105], v[100:101], v[92:93] op_sel:[0,1]
	s_delay_alu instid0(VALU_DEP_1) | instskip(SKIP_1) | instid1(VALU_DEP_1)
	v_pk_fma_f32 v[106:107], v[100:101], v[90:91], v[104:105] op_sel:[0,0,1] op_sel_hi:[1,1,0] neg_lo:[0,0,1] neg_hi:[0,0,1]
	v_pk_fma_f32 v[100:101], v[100:101], v[90:91], v[104:105] op_sel:[0,0,1] op_sel_hi:[1,0,0]
	v_mov_b32_e32 v107, v101
	v_pk_mul_f32 v[100:101], v[102:103], v[92:93] op_sel:[0,1]
	s_delay_alu instid0(VALU_DEP_1) | instskip(SKIP_1) | instid1(VALU_DEP_1)
	v_pk_fma_f32 v[104:105], v[102:103], v[90:91], v[100:101] op_sel:[0,0,1] op_sel_hi:[1,1,0] neg_lo:[0,0,1] neg_hi:[0,0,1]
	v_pk_fma_f32 v[100:101], v[102:103], v[90:91], v[100:101] op_sel:[0,0,1] op_sel_hi:[1,0,0]
	v_mov_b32_e32 v105, v101
	ds_load_2addr_b64 v[100:103], v94 offset0:15 offset1:16
	v_pk_add_f32 v[58:59], v[58:59], v[106:107] neg_lo:[0,1] neg_hi:[0,1]
	v_pk_add_f32 v[60:61], v[60:61], v[104:105] neg_lo:[0,1] neg_hi:[0,1]
	s_wait_dscnt 0x0
	v_pk_mul_f32 v[104:105], v[100:101], v[92:93] op_sel:[0,1]
	s_delay_alu instid0(VALU_DEP_1) | instskip(SKIP_2) | instid1(VALU_DEP_2)
	v_pk_fma_f32 v[106:107], v[100:101], v[90:91], v[104:105] op_sel:[0,0,1] op_sel_hi:[1,1,0] neg_lo:[0,0,1] neg_hi:[0,0,1]
	v_pk_fma_f32 v[100:101], v[100:101], v[90:91], v[104:105] op_sel:[0,0,1] op_sel_hi:[1,0,0]
	v_dual_mul_f32 v104, v103, v93 :: v_dual_mov_b32 v100, v103
	v_dual_mov_b32 v107, v101 :: v_dual_mov_b32 v101, v102
	s_delay_alu instid0(VALU_DEP_2) | instskip(SKIP_1) | instid1(VALU_DEP_3)
	v_pk_fma_f32 v[104:105], v[102:103], v[78:79], v[104:105] op_sel_hi:[1,1,0] neg_lo:[0,0,1] neg_hi:[0,0,1]
	v_mul_f32_e32 v102, v103, v90
	v_pk_add_f32 v[56:57], v[56:57], v[106:107] neg_lo:[0,1] neg_hi:[0,1]
	s_delay_alu instid0(VALU_DEP_2) | instskip(NEXT) | instid1(VALU_DEP_1)
	v_pk_fma_f32 v[100:101], v[100:101], v[78:79], v[102:103] op_sel_hi:[1,1,0]
	v_mov_b32_e32 v105, v101
	ds_load_2addr_b64 v[100:103], v94 offset0:17 offset1:18
	v_pk_add_f32 v[76:77], v[76:77], v[104:105] neg_lo:[0,1] neg_hi:[0,1]
	s_wait_dscnt 0x0
	v_pk_mul_f32 v[104:105], v[100:101], v[92:93] op_sel:[0,1]
	s_delay_alu instid0(VALU_DEP_1) | instskip(SKIP_1) | instid1(VALU_DEP_1)
	v_pk_fma_f32 v[106:107], v[100:101], v[90:91], v[104:105] op_sel:[0,0,1] op_sel_hi:[1,1,0] neg_lo:[0,0,1] neg_hi:[0,0,1]
	v_pk_fma_f32 v[100:101], v[100:101], v[90:91], v[104:105] op_sel:[0,0,1] op_sel_hi:[1,0,0]
	v_mov_b32_e32 v107, v101
	v_pk_mul_f32 v[100:101], v[102:103], v[92:93] op_sel:[0,1]
	s_delay_alu instid0(VALU_DEP_1) | instskip(SKIP_1) | instid1(VALU_DEP_1)
	v_pk_fma_f32 v[104:105], v[102:103], v[90:91], v[100:101] op_sel:[0,0,1] op_sel_hi:[1,1,0] neg_lo:[0,0,1] neg_hi:[0,0,1]
	v_pk_fma_f32 v[100:101], v[102:103], v[90:91], v[100:101] op_sel:[0,0,1] op_sel_hi:[1,0,0]
	v_mov_b32_e32 v105, v101
	ds_load_2addr_b64 v[100:103], v94 offset0:19 offset1:20
	v_pk_add_f32 v[50:51], v[50:51], v[106:107] neg_lo:[0,1] neg_hi:[0,1]
	v_pk_add_f32 v[52:53], v[52:53], v[104:105] neg_lo:[0,1] neg_hi:[0,1]
	s_wait_dscnt 0x0
	v_pk_mul_f32 v[104:105], v[100:101], v[92:93] op_sel:[0,1]
	s_delay_alu instid0(VALU_DEP_1) | instskip(SKIP_1) | instid1(VALU_DEP_1)
	v_pk_fma_f32 v[106:107], v[100:101], v[90:91], v[104:105] op_sel:[0,0,1] op_sel_hi:[1,1,0] neg_lo:[0,0,1] neg_hi:[0,0,1]
	v_pk_fma_f32 v[100:101], v[100:101], v[90:91], v[104:105] op_sel:[0,0,1] op_sel_hi:[1,0,0]
	v_mov_b32_e32 v107, v101
	v_pk_mul_f32 v[100:101], v[102:103], v[92:93] op_sel:[0,1]
	s_delay_alu instid0(VALU_DEP_1) | instskip(SKIP_1) | instid1(VALU_DEP_1)
	v_pk_fma_f32 v[104:105], v[102:103], v[90:91], v[100:101] op_sel:[0,0,1] op_sel_hi:[1,1,0] neg_lo:[0,0,1] neg_hi:[0,0,1]
	v_pk_fma_f32 v[100:101], v[102:103], v[90:91], v[100:101] op_sel:[0,0,1] op_sel_hi:[1,0,0]
	v_mov_b32_e32 v105, v101
	ds_load_2addr_b64 v[100:103], v94 offset0:21 offset1:22
	v_pk_add_f32 v[48:49], v[48:49], v[106:107] neg_lo:[0,1] neg_hi:[0,1]
	v_pk_add_f32 v[74:75], v[74:75], v[104:105] neg_lo:[0,1] neg_hi:[0,1]
	s_wait_dscnt 0x0
	v_dual_mul_f32 v104, v101, v93 :: v_dual_mul_f32 v106, v101, v90
	s_delay_alu instid0(VALU_DEP_1) | instskip(NEXT) | instid1(VALU_DEP_2)
	v_pk_fma_f32 v[104:105], v[100:101], v[78:79], v[104:105] op_sel_hi:[1,1,0] neg_lo:[0,0,1] neg_hi:[0,0,1]
	v_pk_fma_f32 v[100:101], v[100:101], v[78:79], v[106:107] op_sel:[1,0,0] op_sel_hi:[0,1,0]
	s_delay_alu instid0(VALU_DEP_1) | instskip(SKIP_1) | instid1(VALU_DEP_2)
	v_mov_b32_e32 v105, v101
	v_pk_mul_f32 v[100:101], v[102:103], v[92:93] op_sel:[0,1]
	v_pk_add_f32 v[44:45], v[44:45], v[104:105] neg_lo:[0,1] neg_hi:[0,1]
	s_delay_alu instid0(VALU_DEP_2) | instskip(SKIP_1) | instid1(VALU_DEP_1)
	v_pk_fma_f32 v[104:105], v[102:103], v[90:91], v[100:101] op_sel:[0,0,1] op_sel_hi:[1,1,0] neg_lo:[0,0,1] neg_hi:[0,0,1]
	v_pk_fma_f32 v[100:101], v[102:103], v[90:91], v[100:101] op_sel:[0,0,1] op_sel_hi:[1,0,0]
	v_mov_b32_e32 v105, v101
	ds_load_2addr_b64 v[100:103], v94 offset0:23 offset1:24
	v_pk_add_f32 v[46:47], v[46:47], v[104:105] neg_lo:[0,1] neg_hi:[0,1]
	s_wait_dscnt 0x0
	v_pk_mul_f32 v[104:105], v[100:101], v[92:93] op_sel:[0,1]
	s_delay_alu instid0(VALU_DEP_1) | instskip(SKIP_1) | instid1(VALU_DEP_1)
	v_pk_fma_f32 v[106:107], v[100:101], v[90:91], v[104:105] op_sel:[0,0,1] op_sel_hi:[1,1,0] neg_lo:[0,0,1] neg_hi:[0,0,1]
	v_pk_fma_f32 v[100:101], v[100:101], v[90:91], v[104:105] op_sel:[0,0,1] op_sel_hi:[1,0,0]
	v_mov_b32_e32 v107, v101
	v_pk_mul_f32 v[100:101], v[102:103], v[92:93] op_sel:[0,1]
	s_delay_alu instid0(VALU_DEP_2) | instskip(NEXT) | instid1(VALU_DEP_2)
	v_pk_add_f32 v[42:43], v[42:43], v[106:107] neg_lo:[0,1] neg_hi:[0,1]
	v_pk_fma_f32 v[104:105], v[102:103], v[90:91], v[100:101] op_sel:[0,0,1] op_sel_hi:[1,1,0] neg_lo:[0,0,1] neg_hi:[0,0,1]
	v_pk_fma_f32 v[100:101], v[102:103], v[90:91], v[100:101] op_sel:[0,0,1] op_sel_hi:[1,0,0]
	s_delay_alu instid0(VALU_DEP_1) | instskip(SKIP_4) | instid1(VALU_DEP_1)
	v_mov_b32_e32 v105, v101
	ds_load_2addr_b64 v[100:103], v94 offset0:25 offset1:26
	v_pk_add_f32 v[72:73], v[72:73], v[104:105] neg_lo:[0,1] neg_hi:[0,1]
	s_wait_dscnt 0x0
	v_pk_mul_f32 v[104:105], v[100:101], v[92:93] op_sel:[0,1]
	v_pk_fma_f32 v[106:107], v[100:101], v[90:91], v[104:105] op_sel:[0,0,1] op_sel_hi:[1,1,0] neg_lo:[0,0,1] neg_hi:[0,0,1]
	v_pk_fma_f32 v[100:101], v[100:101], v[90:91], v[104:105] op_sel:[0,0,1] op_sel_hi:[1,0,0]
	v_dual_mul_f32 v104, v103, v93 :: v_dual_mov_b32 v100, v103
	s_delay_alu instid0(VALU_DEP_2) | instskip(NEXT) | instid1(VALU_DEP_2)
	v_dual_mov_b32 v107, v101 :: v_dual_mov_b32 v101, v102
	v_pk_fma_f32 v[104:105], v[102:103], v[78:79], v[104:105] op_sel_hi:[1,1,0] neg_lo:[0,0,1] neg_hi:[0,0,1]
	v_mul_f32_e32 v102, v103, v90
	s_delay_alu instid0(VALU_DEP_3) | instskip(NEXT) | instid1(VALU_DEP_2)
	v_pk_add_f32 v[36:37], v[36:37], v[106:107] neg_lo:[0,1] neg_hi:[0,1]
	v_pk_fma_f32 v[100:101], v[100:101], v[78:79], v[102:103] op_sel_hi:[1,1,0]
	s_delay_alu instid0(VALU_DEP_1) | instskip(SKIP_4) | instid1(VALU_DEP_1)
	v_mov_b32_e32 v105, v101
	ds_load_2addr_b64 v[100:103], v94 offset0:27 offset1:28
	v_pk_add_f32 v[38:39], v[38:39], v[104:105] neg_lo:[0,1] neg_hi:[0,1]
	s_wait_dscnt 0x0
	v_pk_mul_f32 v[104:105], v[100:101], v[92:93] op_sel:[0,1]
	v_pk_fma_f32 v[106:107], v[100:101], v[90:91], v[104:105] op_sel:[0,0,1] op_sel_hi:[1,1,0] neg_lo:[0,0,1] neg_hi:[0,0,1]
	v_pk_fma_f32 v[100:101], v[100:101], v[90:91], v[104:105] op_sel:[0,0,1] op_sel_hi:[1,0,0]
	s_delay_alu instid0(VALU_DEP_1) | instskip(SKIP_1) | instid1(VALU_DEP_1)
	v_mov_b32_e32 v107, v101
	v_pk_mul_f32 v[100:101], v[102:103], v[92:93] op_sel:[0,1]
	v_pk_fma_f32 v[104:105], v[102:103], v[90:91], v[100:101] op_sel:[0,0,1] op_sel_hi:[1,1,0] neg_lo:[0,0,1] neg_hi:[0,0,1]
	v_pk_fma_f32 v[100:101], v[102:103], v[90:91], v[100:101] op_sel:[0,0,1] op_sel_hi:[1,0,0]
	s_delay_alu instid0(VALU_DEP_1)
	v_mov_b32_e32 v105, v101
	ds_load_2addr_b64 v[100:103], v94 offset0:29 offset1:30
	v_pk_add_f32 v[34:35], v[34:35], v[106:107] neg_lo:[0,1] neg_hi:[0,1]
	v_pk_add_f32 v[70:71], v[70:71], v[104:105] neg_lo:[0,1] neg_hi:[0,1]
	s_wait_dscnt 0x0
	v_pk_mul_f32 v[104:105], v[100:101], v[92:93] op_sel:[0,1]
	s_delay_alu instid0(VALU_DEP_1) | instskip(SKIP_1) | instid1(VALU_DEP_1)
	v_pk_fma_f32 v[106:107], v[100:101], v[90:91], v[104:105] op_sel:[0,0,1] op_sel_hi:[1,1,0] neg_lo:[0,0,1] neg_hi:[0,0,1]
	v_pk_fma_f32 v[100:101], v[100:101], v[90:91], v[104:105] op_sel:[0,0,1] op_sel_hi:[1,0,0]
	v_mov_b32_e32 v107, v101
	v_pk_mul_f32 v[100:101], v[102:103], v[92:93] op_sel:[0,1]
	s_delay_alu instid0(VALU_DEP_1) | instskip(SKIP_1) | instid1(VALU_DEP_1)
	v_pk_fma_f32 v[104:105], v[102:103], v[90:91], v[100:101] op_sel:[0,0,1] op_sel_hi:[1,1,0] neg_lo:[0,0,1] neg_hi:[0,0,1]
	v_pk_fma_f32 v[100:101], v[102:103], v[90:91], v[100:101] op_sel:[0,0,1] op_sel_hi:[1,0,0]
	v_mov_b32_e32 v105, v101
	ds_load_2addr_b64 v[100:103], v94 offset0:31 offset1:32
	v_pk_add_f32 v[30:31], v[30:31], v[106:107] neg_lo:[0,1] neg_hi:[0,1]
	v_pk_add_f32 v[32:33], v[32:33], v[104:105] neg_lo:[0,1] neg_hi:[0,1]
	s_wait_dscnt 0x0
	v_dual_mul_f32 v104, v101, v93 :: v_dual_mul_f32 v106, v101, v90
	s_delay_alu instid0(VALU_DEP_1) | instskip(NEXT) | instid1(VALU_DEP_2)
	v_pk_fma_f32 v[104:105], v[100:101], v[78:79], v[104:105] op_sel_hi:[1,1,0] neg_lo:[0,0,1] neg_hi:[0,0,1]
	v_pk_fma_f32 v[100:101], v[100:101], v[78:79], v[106:107] op_sel:[1,0,0] op_sel_hi:[0,1,0]
	s_delay_alu instid0(VALU_DEP_1) | instskip(SKIP_1) | instid1(VALU_DEP_2)
	v_mov_b32_e32 v105, v101
	v_pk_mul_f32 v[100:101], v[102:103], v[92:93] op_sel:[0,1]
	v_pk_add_f32 v[28:29], v[28:29], v[104:105] neg_lo:[0,1] neg_hi:[0,1]
	s_delay_alu instid0(VALU_DEP_2) | instskip(SKIP_1) | instid1(VALU_DEP_1)
	v_pk_fma_f32 v[104:105], v[102:103], v[90:91], v[100:101] op_sel:[0,0,1] op_sel_hi:[1,1,0] neg_lo:[0,0,1] neg_hi:[0,0,1]
	v_pk_fma_f32 v[100:101], v[102:103], v[90:91], v[100:101] op_sel:[0,0,1] op_sel_hi:[1,0,0]
	v_mov_b32_e32 v105, v101
	ds_load_2addr_b64 v[100:103], v94 offset0:33 offset1:34
	v_pk_add_f32 v[64:65], v[64:65], v[104:105] neg_lo:[0,1] neg_hi:[0,1]
	s_wait_dscnt 0x0
	v_pk_mul_f32 v[104:105], v[100:101], v[92:93] op_sel:[0,1]
	s_delay_alu instid0(VALU_DEP_1) | instskip(SKIP_1) | instid1(VALU_DEP_1)
	v_pk_fma_f32 v[106:107], v[100:101], v[90:91], v[104:105] op_sel:[0,0,1] op_sel_hi:[1,1,0] neg_lo:[0,0,1] neg_hi:[0,0,1]
	v_pk_fma_f32 v[100:101], v[100:101], v[90:91], v[104:105] op_sel:[0,0,1] op_sel_hi:[1,0,0]
	v_mov_b32_e32 v107, v101
	v_pk_mul_f32 v[100:101], v[102:103], v[92:93] op_sel:[0,1]
	s_delay_alu instid0(VALU_DEP_2) | instskip(NEXT) | instid1(VALU_DEP_2)
	v_pk_add_f32 v[10:11], v[10:11], v[106:107] neg_lo:[0,1] neg_hi:[0,1]
	v_pk_fma_f32 v[104:105], v[102:103], v[90:91], v[100:101] op_sel:[0,0,1] op_sel_hi:[1,1,0] neg_lo:[0,0,1] neg_hi:[0,0,1]
	v_pk_fma_f32 v[100:101], v[102:103], v[90:91], v[100:101] op_sel:[0,0,1] op_sel_hi:[1,0,0]
	s_delay_alu instid0(VALU_DEP_1) | instskip(SKIP_4) | instid1(VALU_DEP_1)
	v_mov_b32_e32 v105, v101
	ds_load_2addr_b64 v[100:103], v94 offset0:35 offset1:36
	v_pk_add_f32 v[12:13], v[12:13], v[104:105] neg_lo:[0,1] neg_hi:[0,1]
	s_wait_dscnt 0x0
	v_pk_mul_f32 v[104:105], v[100:101], v[92:93] op_sel:[0,1]
	v_pk_fma_f32 v[106:107], v[100:101], v[90:91], v[104:105] op_sel:[0,0,1] op_sel_hi:[1,1,0] neg_lo:[0,0,1] neg_hi:[0,0,1]
	v_pk_fma_f32 v[100:101], v[100:101], v[90:91], v[104:105] op_sel:[0,0,1] op_sel_hi:[1,0,0]
	v_dual_mul_f32 v104, v103, v93 :: v_dual_mov_b32 v100, v103
	s_delay_alu instid0(VALU_DEP_2) | instskip(NEXT) | instid1(VALU_DEP_2)
	v_dual_mov_b32 v107, v101 :: v_dual_mov_b32 v101, v102
	v_pk_fma_f32 v[104:105], v[102:103], v[78:79], v[104:105] op_sel_hi:[1,1,0] neg_lo:[0,0,1] neg_hi:[0,0,1]
	v_mul_f32_e32 v102, v103, v90
	s_delay_alu instid0(VALU_DEP_3) | instskip(NEXT) | instid1(VALU_DEP_2)
	v_pk_add_f32 v[8:9], v[8:9], v[106:107] neg_lo:[0,1] neg_hi:[0,1]
	v_pk_fma_f32 v[100:101], v[100:101], v[78:79], v[102:103] op_sel_hi:[1,1,0]
	s_delay_alu instid0(VALU_DEP_1) | instskip(SKIP_4) | instid1(VALU_DEP_1)
	v_mov_b32_e32 v105, v101
	ds_load_2addr_b64 v[100:103], v94 offset0:37 offset1:38
	v_pk_add_f32 v[62:63], v[62:63], v[104:105] neg_lo:[0,1] neg_hi:[0,1]
	s_wait_dscnt 0x0
	v_pk_mul_f32 v[104:105], v[100:101], v[92:93] op_sel:[0,1]
	v_pk_fma_f32 v[106:107], v[100:101], v[90:91], v[104:105] op_sel:[0,0,1] op_sel_hi:[1,1,0] neg_lo:[0,0,1] neg_hi:[0,0,1]
	v_pk_fma_f32 v[100:101], v[100:101], v[90:91], v[104:105] op_sel:[0,0,1] op_sel_hi:[1,0,0]
	s_delay_alu instid0(VALU_DEP_1) | instskip(SKIP_1) | instid1(VALU_DEP_1)
	v_mov_b32_e32 v107, v101
	v_pk_mul_f32 v[100:101], v[102:103], v[92:93] op_sel:[0,1]
	v_pk_fma_f32 v[104:105], v[102:103], v[90:91], v[100:101] op_sel:[0,0,1] op_sel_hi:[1,1,0] neg_lo:[0,0,1] neg_hi:[0,0,1]
	v_pk_fma_f32 v[100:101], v[102:103], v[90:91], v[100:101] op_sel:[0,0,1] op_sel_hi:[1,0,0]
	s_delay_alu instid0(VALU_DEP_1)
	v_mov_b32_e32 v105, v101
	ds_load_2addr_b64 v[100:103], v94 offset0:39 offset1:40
	v_pk_add_f32 v[6:7], v[6:7], v[106:107] neg_lo:[0,1] neg_hi:[0,1]
	v_pk_add_f32 v[54:55], v[54:55], v[104:105] neg_lo:[0,1] neg_hi:[0,1]
	s_wait_dscnt 0x0
	v_pk_mul_f32 v[104:105], v[100:101], v[92:93] op_sel:[0,1]
	s_delay_alu instid0(VALU_DEP_1) | instskip(SKIP_1) | instid1(VALU_DEP_1)
	v_pk_fma_f32 v[106:107], v[100:101], v[90:91], v[104:105] op_sel:[0,0,1] op_sel_hi:[1,1,0] neg_lo:[0,0,1] neg_hi:[0,0,1]
	v_pk_fma_f32 v[100:101], v[100:101], v[90:91], v[104:105] op_sel:[0,0,1] op_sel_hi:[1,0,0]
	v_mov_b32_e32 v107, v101
	v_pk_mul_f32 v[100:101], v[102:103], v[92:93] op_sel:[0,1]
	s_delay_alu instid0(VALU_DEP_1) | instskip(SKIP_1) | instid1(VALU_DEP_1)
	v_pk_fma_f32 v[104:105], v[102:103], v[90:91], v[100:101] op_sel:[0,0,1] op_sel_hi:[1,1,0] neg_lo:[0,0,1] neg_hi:[0,0,1]
	v_pk_fma_f32 v[100:101], v[102:103], v[90:91], v[100:101] op_sel:[0,0,1] op_sel_hi:[1,0,0]
	v_mov_b32_e32 v105, v101
	ds_load_b64 v[100:101], v94 offset:328
	v_pk_add_f32 v[40:41], v[40:41], v[106:107] neg_lo:[0,1] neg_hi:[0,1]
	v_pk_add_f32 v[24:25], v[24:25], v[104:105] neg_lo:[0,1] neg_hi:[0,1]
	s_wait_dscnt 0x0
	v_pk_mul_f32 v[92:93], v[100:101], v[92:93] op_sel:[0,1]
	s_delay_alu instid0(VALU_DEP_1) | instskip(SKIP_1) | instid1(VALU_DEP_1)
	v_pk_fma_f32 v[102:103], v[100:101], v[90:91], v[92:93] op_sel:[0,0,1] op_sel_hi:[1,1,0] neg_lo:[0,0,1] neg_hi:[0,0,1]
	v_pk_fma_f32 v[90:91], v[100:101], v[90:91], v[92:93] op_sel:[0,0,1] op_sel_hi:[1,0,0]
	v_mov_b32_e32 v103, v91
	s_delay_alu instid0(VALU_DEP_1)
	v_pk_add_f32 v[88:89], v[88:89], v[102:103] neg_lo:[0,1] neg_hi:[0,1]
.LBB82_272:
	s_or_b32 exec_lo, exec_lo, s0
	v_lshl_add_u32 v90, v98, 3, v94
	s_barrier_signal -1
	s_barrier_wait -1
	ds_store_b64 v90, v[58:59]
	s_wait_dscnt 0x0
	s_barrier_signal -1
	s_barrier_wait -1
	ds_load_b64 v[92:93], v94 offset:104
	v_mov_b32_e32 v90, 13
	s_cmp_lt_i32 s18, 15
	s_cbranch_scc1 .LBB82_275
; %bb.273:
	v_add3_u32 v91, v95, 0, 0x70
	v_mov_b32_e32 v90, 13
	s_mov_b32 s0, 14
.LBB82_274:                             ; =>This Inner Loop Header: Depth=1
	ds_load_b64 v[100:101], v91
	s_wait_dscnt 0x1
	v_cmp_gt_f32_e32 vcc_lo, 0, v92
	v_cndmask_b32_e64 v102, v92, -v92, vcc_lo
	v_cmp_gt_f32_e32 vcc_lo, 0, v93
	v_cndmask_b32_e64 v104, v93, -v93, vcc_lo
	s_wait_dscnt 0x0
	v_cmp_gt_f32_e32 vcc_lo, 0, v100
	v_cndmask_b32_e64 v103, v100, -v100, vcc_lo
	v_cmp_gt_f32_e32 vcc_lo, 0, v101
	v_cndmask_b32_e64 v105, v101, -v101, vcc_lo
	s_delay_alu instid0(VALU_DEP_1) | instskip(NEXT) | instid1(VALU_DEP_1)
	v_pk_add_f32 v[102:103], v[102:103], v[104:105]
	v_cmp_lt_f32_e32 vcc_lo, v102, v103
	v_dual_add_nc_u32 v91, 8, v91 :: v_dual_cndmask_b32 v93, v93, v101, vcc_lo
	v_cndmask_b32_e32 v92, v92, v100, vcc_lo
	v_cndmask_b32_e64 v90, v90, s0, vcc_lo
	s_add_co_i32 s0, s0, 1
	s_delay_alu instid0(SALU_CYCLE_1)
	s_cmp_lg_u32 s18, s0
	s_cbranch_scc1 .LBB82_274
.LBB82_275:
	s_wait_dscnt 0x0
	v_cmp_eq_f32_e32 vcc_lo, 0, v92
	v_cmp_eq_f32_e64 s0, 0, v93
	s_and_b32 s0, vcc_lo, s0
	s_delay_alu instid0(SALU_CYCLE_1) | instskip(NEXT) | instid1(SALU_CYCLE_1)
	s_and_saveexec_b32 s1, s0
	s_xor_b32 s0, exec_lo, s1
; %bb.276:
	v_cmp_ne_u32_e32 vcc_lo, 0, v96
	v_cndmask_b32_e32 v96, 14, v96, vcc_lo
; %bb.277:
	s_and_not1_saveexec_b32 s0, s0
	s_cbranch_execz .LBB82_283
; %bb.278:
	v_cmp_ngt_f32_e64 s1, |v92|, |v93|
	s_and_saveexec_b32 s12, s1
	s_delay_alu instid0(SALU_CYCLE_1)
	s_xor_b32 s1, exec_lo, s12
	s_cbranch_execz .LBB82_280
; %bb.279:
	v_div_scale_f32 v91, null, v93, v93, v92
	v_div_scale_f32 v101, vcc_lo, v92, v93, v92
	s_delay_alu instid0(VALU_DEP_2) | instskip(SKIP_1) | instid1(TRANS32_DEP_1)
	v_rcp_f32_e32 v99, v91
	v_nop
	v_fma_f32 v100, -v91, v99, 1.0
	s_delay_alu instid0(VALU_DEP_1) | instskip(NEXT) | instid1(VALU_DEP_1)
	v_fmac_f32_e32 v99, v100, v99
	v_mul_f32_e32 v100, v101, v99
	s_delay_alu instid0(VALU_DEP_1) | instskip(NEXT) | instid1(VALU_DEP_1)
	v_fma_f32 v102, -v91, v100, v101
	v_fmac_f32_e32 v100, v102, v99
	s_delay_alu instid0(VALU_DEP_1) | instskip(NEXT) | instid1(VALU_DEP_1)
	v_fma_f32 v91, -v91, v100, v101
	v_div_fmas_f32 v91, v91, v99, v100
	s_delay_alu instid0(VALU_DEP_1) | instskip(NEXT) | instid1(VALU_DEP_1)
	v_div_fixup_f32 v91, v91, v93, v92
	v_fmac_f32_e32 v93, v92, v91
	s_delay_alu instid0(VALU_DEP_1) | instskip(SKIP_1) | instid1(VALU_DEP_2)
	v_div_scale_f32 v92, null, v93, v93, 1.0
	v_div_scale_f32 v101, vcc_lo, 1.0, v93, 1.0
	v_rcp_f32_e32 v99, v92
	v_nop
	s_delay_alu instid0(TRANS32_DEP_1) | instskip(NEXT) | instid1(VALU_DEP_1)
	v_fma_f32 v100, -v92, v99, 1.0
	v_fmac_f32_e32 v99, v100, v99
	s_delay_alu instid0(VALU_DEP_1) | instskip(NEXT) | instid1(VALU_DEP_1)
	v_mul_f32_e32 v100, v101, v99
	v_fma_f32 v102, -v92, v100, v101
	s_delay_alu instid0(VALU_DEP_1) | instskip(NEXT) | instid1(VALU_DEP_1)
	v_fmac_f32_e32 v100, v102, v99
	v_fma_f32 v92, -v92, v100, v101
	s_delay_alu instid0(VALU_DEP_1) | instskip(NEXT) | instid1(VALU_DEP_1)
	v_div_fmas_f32 v92, v92, v99, v100
	v_div_fixup_f32 v93, v92, v93, 1.0
	s_delay_alu instid0(VALU_DEP_1)
	v_mul_f32_e32 v92, v91, v93
	v_xor_b32_e32 v93, 0x80000000, v93
.LBB82_280:
	s_and_not1_saveexec_b32 s1, s1
	s_cbranch_execz .LBB82_282
; %bb.281:
	s_delay_alu instid0(VALU_DEP_1) | instskip(SKIP_1) | instid1(VALU_DEP_2)
	v_div_scale_f32 v91, null, v92, v92, v93
	v_div_scale_f32 v101, vcc_lo, v93, v92, v93
	v_rcp_f32_e32 v99, v91
	v_nop
	s_delay_alu instid0(TRANS32_DEP_1) | instskip(NEXT) | instid1(VALU_DEP_1)
	v_fma_f32 v100, -v91, v99, 1.0
	v_fmac_f32_e32 v99, v100, v99
	s_delay_alu instid0(VALU_DEP_1) | instskip(NEXT) | instid1(VALU_DEP_1)
	v_mul_f32_e32 v100, v101, v99
	v_fma_f32 v102, -v91, v100, v101
	s_delay_alu instid0(VALU_DEP_1) | instskip(NEXT) | instid1(VALU_DEP_1)
	v_fmac_f32_e32 v100, v102, v99
	v_fma_f32 v91, -v91, v100, v101
	s_delay_alu instid0(VALU_DEP_1) | instskip(NEXT) | instid1(VALU_DEP_1)
	v_div_fmas_f32 v91, v91, v99, v100
	v_div_fixup_f32 v91, v91, v92, v93
	s_delay_alu instid0(VALU_DEP_1) | instskip(NEXT) | instid1(VALU_DEP_1)
	v_fmac_f32_e32 v92, v93, v91
	v_div_scale_f32 v93, null, v92, v92, 1.0
	s_delay_alu instid0(VALU_DEP_1) | instskip(SKIP_1) | instid1(TRANS32_DEP_1)
	v_rcp_f32_e32 v99, v93
	v_nop
	v_fma_f32 v100, -v93, v99, 1.0
	s_delay_alu instid0(VALU_DEP_1) | instskip(SKIP_1) | instid1(VALU_DEP_1)
	v_fmac_f32_e32 v99, v100, v99
	v_div_scale_f32 v100, vcc_lo, 1.0, v92, 1.0
	v_mul_f32_e32 v101, v100, v99
	s_delay_alu instid0(VALU_DEP_1) | instskip(NEXT) | instid1(VALU_DEP_1)
	v_fma_f32 v102, -v93, v101, v100
	v_fmac_f32_e32 v101, v102, v99
	s_delay_alu instid0(VALU_DEP_1) | instskip(NEXT) | instid1(VALU_DEP_1)
	v_fma_f32 v93, -v93, v101, v100
	v_div_fmas_f32 v93, v93, v99, v101
	s_delay_alu instid0(VALU_DEP_1) | instskip(NEXT) | instid1(VALU_DEP_1)
	v_div_fixup_f32 v92, v93, v92, 1.0
	v_mul_f32_e64 v93, v91, -v92
.LBB82_282:
	s_or_b32 exec_lo, exec_lo, s1
.LBB82_283:
	s_delay_alu instid0(SALU_CYCLE_1) | instskip(NEXT) | instid1(SALU_CYCLE_1)
	s_or_b32 exec_lo, exec_lo, s0
	s_mov_b32 s0, exec_lo
	v_cmpx_ne_u32_e64 v98, v90
	s_xor_b32 s0, exec_lo, s0
	s_cbranch_execz .LBB82_289
; %bb.284:
	s_mov_b32 s1, exec_lo
	v_cmpx_eq_u32_e32 13, v98
	s_cbranch_execz .LBB82_288
; %bb.285:
	v_cmp_ne_u32_e32 vcc_lo, 13, v90
	s_xor_b32 s12, s16, -1
	s_delay_alu instid0(SALU_CYCLE_1) | instskip(NEXT) | instid1(SALU_CYCLE_1)
	s_and_b32 s13, s12, vcc_lo
	s_and_saveexec_b32 s12, s13
	s_cbranch_execz .LBB82_287
; %bb.286:
	v_ashrrev_i32_e32 v91, 31, v90
	s_delay_alu instid0(VALU_DEP_1)
	v_lshl_add_u64 v[98:99], v[90:91], 2, v[4:5]
	s_clause 0x1
	global_load_b32 v91, v[98:99], off
	global_load_b32 v97, v[4:5], off offset:52
	s_wait_loadcnt 0x1
	global_store_b32 v[4:5], v91, off offset:52
	s_wait_loadcnt 0x0
	global_store_b32 v[98:99], v97, off
.LBB82_287:
	s_wait_xcnt 0x0
	s_or_b32 exec_lo, exec_lo, s12
	v_dual_mov_b32 v98, v90 :: v_dual_mov_b32 v97, v90
.LBB82_288:
	s_or_b32 exec_lo, exec_lo, s1
.LBB82_289:
	s_and_not1_saveexec_b32 s0, s0
	s_cbranch_execz .LBB82_291
; %bb.290:
	v_dual_mov_b32 v90, v60 :: v_dual_mov_b32 v91, v61
	v_dual_mov_b32 v98, v56 :: v_dual_mov_b32 v99, v57
	ds_store_2addr_b64 v94, v[90:91], v[98:99] offset0:14 offset1:15
	v_dual_mov_b32 v90, v76 :: v_dual_mov_b32 v91, v77
	v_dual_mov_b32 v98, v50 :: v_dual_mov_b32 v99, v51
	ds_store_2addr_b64 v94, v[90:91], v[98:99] offset0:16 offset1:17
	;; [unrolled: 3-line block ×13, first 2 shown]
	v_dual_mov_b32 v90, v24 :: v_dual_mov_b32 v91, v25
	v_mov_b32_e32 v98, 13
	ds_store_2addr_b64 v94, v[90:91], v[88:89] offset0:40 offset1:41
.LBB82_291:
	s_or_b32 exec_lo, exec_lo, s0
	s_delay_alu instid0(SALU_CYCLE_1)
	s_mov_b32 s0, exec_lo
	s_wait_storecnt_dscnt 0x0
	s_barrier_signal -1
	s_barrier_wait -1
	v_cmpx_lt_i32_e32 13, v98
	s_cbranch_execz .LBB82_293
; %bb.292:
	v_pk_mul_f32 v[100:101], v[92:93], v[58:59] op_sel:[1,1] op_sel_hi:[0,1]
	s_delay_alu instid0(VALU_DEP_1)
	v_pk_fma_f32 v[90:91], v[92:93], v[58:59], v[100:101] op_sel_hi:[1,0,1] neg_lo:[0,0,1] neg_hi:[0,0,1]
	v_pk_fma_f32 v[92:93], v[92:93], v[58:59], v[100:101] op_sel_hi:[1,0,1]
	ds_load_2addr_b64 v[100:103], v94 offset0:14 offset1:15
	v_dual_mov_b32 v58, v90 :: v_dual_mov_b32 v59, v93
	s_wait_dscnt 0x0
	v_pk_mul_f32 v[104:105], v[100:101], v[92:93] op_sel:[0,1]
	s_delay_alu instid0(VALU_DEP_1) | instskip(SKIP_1) | instid1(VALU_DEP_1)
	v_pk_fma_f32 v[106:107], v[100:101], v[90:91], v[104:105] op_sel:[0,0,1] op_sel_hi:[1,1,0] neg_lo:[0,0,1] neg_hi:[0,0,1]
	v_pk_fma_f32 v[100:101], v[100:101], v[90:91], v[104:105] op_sel:[0,0,1] op_sel_hi:[1,0,0]
	v_mov_b32_e32 v107, v101
	v_pk_mul_f32 v[100:101], v[102:103], v[92:93] op_sel:[0,1]
	s_delay_alu instid0(VALU_DEP_1) | instskip(SKIP_1) | instid1(VALU_DEP_1)
	v_pk_fma_f32 v[104:105], v[102:103], v[90:91], v[100:101] op_sel:[0,0,1] op_sel_hi:[1,1,0] neg_lo:[0,0,1] neg_hi:[0,0,1]
	v_pk_fma_f32 v[100:101], v[102:103], v[90:91], v[100:101] op_sel:[0,0,1] op_sel_hi:[1,0,0]
	v_mov_b32_e32 v105, v101
	ds_load_2addr_b64 v[100:103], v94 offset0:16 offset1:17
	v_pk_add_f32 v[60:61], v[60:61], v[106:107] neg_lo:[0,1] neg_hi:[0,1]
	v_pk_add_f32 v[56:57], v[56:57], v[104:105] neg_lo:[0,1] neg_hi:[0,1]
	s_wait_dscnt 0x0
	v_pk_mul_f32 v[104:105], v[100:101], v[92:93] op_sel:[0,1]
	s_delay_alu instid0(VALU_DEP_1) | instskip(SKIP_2) | instid1(VALU_DEP_2)
	v_pk_fma_f32 v[106:107], v[100:101], v[90:91], v[104:105] op_sel:[0,0,1] op_sel_hi:[1,1,0] neg_lo:[0,0,1] neg_hi:[0,0,1]
	v_pk_fma_f32 v[100:101], v[100:101], v[90:91], v[104:105] op_sel:[0,0,1] op_sel_hi:[1,0,0]
	v_dual_mul_f32 v104, v103, v93 :: v_dual_mov_b32 v100, v103
	v_dual_mov_b32 v107, v101 :: v_dual_mov_b32 v101, v102
	s_delay_alu instid0(VALU_DEP_2) | instskip(SKIP_1) | instid1(VALU_DEP_3)
	v_pk_fma_f32 v[104:105], v[102:103], v[58:59], v[104:105] op_sel_hi:[1,1,0] neg_lo:[0,0,1] neg_hi:[0,0,1]
	v_mul_f32_e32 v102, v103, v90
	v_pk_add_f32 v[76:77], v[76:77], v[106:107] neg_lo:[0,1] neg_hi:[0,1]
	s_delay_alu instid0(VALU_DEP_2) | instskip(NEXT) | instid1(VALU_DEP_1)
	v_pk_fma_f32 v[100:101], v[100:101], v[58:59], v[102:103] op_sel_hi:[1,1,0]
	v_mov_b32_e32 v105, v101
	ds_load_2addr_b64 v[100:103], v94 offset0:18 offset1:19
	v_pk_add_f32 v[50:51], v[50:51], v[104:105] neg_lo:[0,1] neg_hi:[0,1]
	s_wait_dscnt 0x0
	v_pk_mul_f32 v[104:105], v[100:101], v[92:93] op_sel:[0,1]
	s_delay_alu instid0(VALU_DEP_1) | instskip(SKIP_1) | instid1(VALU_DEP_1)
	v_pk_fma_f32 v[106:107], v[100:101], v[90:91], v[104:105] op_sel:[0,0,1] op_sel_hi:[1,1,0] neg_lo:[0,0,1] neg_hi:[0,0,1]
	v_pk_fma_f32 v[100:101], v[100:101], v[90:91], v[104:105] op_sel:[0,0,1] op_sel_hi:[1,0,0]
	v_mov_b32_e32 v107, v101
	v_pk_mul_f32 v[100:101], v[102:103], v[92:93] op_sel:[0,1]
	s_delay_alu instid0(VALU_DEP_1) | instskip(SKIP_1) | instid1(VALU_DEP_1)
	v_pk_fma_f32 v[104:105], v[102:103], v[90:91], v[100:101] op_sel:[0,0,1] op_sel_hi:[1,1,0] neg_lo:[0,0,1] neg_hi:[0,0,1]
	v_pk_fma_f32 v[100:101], v[102:103], v[90:91], v[100:101] op_sel:[0,0,1] op_sel_hi:[1,0,0]
	v_mov_b32_e32 v105, v101
	ds_load_2addr_b64 v[100:103], v94 offset0:20 offset1:21
	v_pk_add_f32 v[52:53], v[52:53], v[106:107] neg_lo:[0,1] neg_hi:[0,1]
	v_pk_add_f32 v[48:49], v[48:49], v[104:105] neg_lo:[0,1] neg_hi:[0,1]
	s_wait_dscnt 0x0
	v_pk_mul_f32 v[104:105], v[100:101], v[92:93] op_sel:[0,1]
	s_delay_alu instid0(VALU_DEP_1) | instskip(SKIP_1) | instid1(VALU_DEP_1)
	v_pk_fma_f32 v[106:107], v[100:101], v[90:91], v[104:105] op_sel:[0,0,1] op_sel_hi:[1,1,0] neg_lo:[0,0,1] neg_hi:[0,0,1]
	v_pk_fma_f32 v[100:101], v[100:101], v[90:91], v[104:105] op_sel:[0,0,1] op_sel_hi:[1,0,0]
	v_mov_b32_e32 v107, v101
	v_pk_mul_f32 v[100:101], v[102:103], v[92:93] op_sel:[0,1]
	s_delay_alu instid0(VALU_DEP_1) | instskip(SKIP_1) | instid1(VALU_DEP_1)
	v_pk_fma_f32 v[104:105], v[102:103], v[90:91], v[100:101] op_sel:[0,0,1] op_sel_hi:[1,1,0] neg_lo:[0,0,1] neg_hi:[0,0,1]
	v_pk_fma_f32 v[100:101], v[102:103], v[90:91], v[100:101] op_sel:[0,0,1] op_sel_hi:[1,0,0]
	v_mov_b32_e32 v105, v101
	ds_load_2addr_b64 v[100:103], v94 offset0:22 offset1:23
	v_pk_add_f32 v[74:75], v[74:75], v[106:107] neg_lo:[0,1] neg_hi:[0,1]
	v_pk_add_f32 v[44:45], v[44:45], v[104:105] neg_lo:[0,1] neg_hi:[0,1]
	s_wait_dscnt 0x0
	v_dual_mul_f32 v104, v101, v93 :: v_dual_mul_f32 v106, v101, v90
	s_delay_alu instid0(VALU_DEP_1) | instskip(NEXT) | instid1(VALU_DEP_2)
	v_pk_fma_f32 v[104:105], v[100:101], v[58:59], v[104:105] op_sel_hi:[1,1,0] neg_lo:[0,0,1] neg_hi:[0,0,1]
	v_pk_fma_f32 v[100:101], v[100:101], v[58:59], v[106:107] op_sel:[1,0,0] op_sel_hi:[0,1,0]
	s_delay_alu instid0(VALU_DEP_1) | instskip(SKIP_1) | instid1(VALU_DEP_2)
	v_mov_b32_e32 v105, v101
	v_pk_mul_f32 v[100:101], v[102:103], v[92:93] op_sel:[0,1]
	v_pk_add_f32 v[46:47], v[46:47], v[104:105] neg_lo:[0,1] neg_hi:[0,1]
	s_delay_alu instid0(VALU_DEP_2) | instskip(SKIP_1) | instid1(VALU_DEP_1)
	v_pk_fma_f32 v[104:105], v[102:103], v[90:91], v[100:101] op_sel:[0,0,1] op_sel_hi:[1,1,0] neg_lo:[0,0,1] neg_hi:[0,0,1]
	v_pk_fma_f32 v[100:101], v[102:103], v[90:91], v[100:101] op_sel:[0,0,1] op_sel_hi:[1,0,0]
	v_mov_b32_e32 v105, v101
	ds_load_2addr_b64 v[100:103], v94 offset0:24 offset1:25
	v_pk_add_f32 v[42:43], v[42:43], v[104:105] neg_lo:[0,1] neg_hi:[0,1]
	s_wait_dscnt 0x0
	v_pk_mul_f32 v[104:105], v[100:101], v[92:93] op_sel:[0,1]
	s_delay_alu instid0(VALU_DEP_1) | instskip(SKIP_1) | instid1(VALU_DEP_1)
	v_pk_fma_f32 v[106:107], v[100:101], v[90:91], v[104:105] op_sel:[0,0,1] op_sel_hi:[1,1,0] neg_lo:[0,0,1] neg_hi:[0,0,1]
	v_pk_fma_f32 v[100:101], v[100:101], v[90:91], v[104:105] op_sel:[0,0,1] op_sel_hi:[1,0,0]
	v_mov_b32_e32 v107, v101
	v_pk_mul_f32 v[100:101], v[102:103], v[92:93] op_sel:[0,1]
	s_delay_alu instid0(VALU_DEP_2) | instskip(NEXT) | instid1(VALU_DEP_2)
	v_pk_add_f32 v[72:73], v[72:73], v[106:107] neg_lo:[0,1] neg_hi:[0,1]
	v_pk_fma_f32 v[104:105], v[102:103], v[90:91], v[100:101] op_sel:[0,0,1] op_sel_hi:[1,1,0] neg_lo:[0,0,1] neg_hi:[0,0,1]
	v_pk_fma_f32 v[100:101], v[102:103], v[90:91], v[100:101] op_sel:[0,0,1] op_sel_hi:[1,0,0]
	s_delay_alu instid0(VALU_DEP_1) | instskip(SKIP_4) | instid1(VALU_DEP_1)
	v_mov_b32_e32 v105, v101
	ds_load_2addr_b64 v[100:103], v94 offset0:26 offset1:27
	v_pk_add_f32 v[36:37], v[36:37], v[104:105] neg_lo:[0,1] neg_hi:[0,1]
	s_wait_dscnt 0x0
	v_pk_mul_f32 v[104:105], v[100:101], v[92:93] op_sel:[0,1]
	v_pk_fma_f32 v[106:107], v[100:101], v[90:91], v[104:105] op_sel:[0,0,1] op_sel_hi:[1,1,0] neg_lo:[0,0,1] neg_hi:[0,0,1]
	v_pk_fma_f32 v[100:101], v[100:101], v[90:91], v[104:105] op_sel:[0,0,1] op_sel_hi:[1,0,0]
	v_dual_mul_f32 v104, v103, v93 :: v_dual_mov_b32 v100, v103
	s_delay_alu instid0(VALU_DEP_2) | instskip(NEXT) | instid1(VALU_DEP_2)
	v_dual_mov_b32 v107, v101 :: v_dual_mov_b32 v101, v102
	v_pk_fma_f32 v[104:105], v[102:103], v[58:59], v[104:105] op_sel_hi:[1,1,0] neg_lo:[0,0,1] neg_hi:[0,0,1]
	v_mul_f32_e32 v102, v103, v90
	s_delay_alu instid0(VALU_DEP_3) | instskip(NEXT) | instid1(VALU_DEP_2)
	v_pk_add_f32 v[38:39], v[38:39], v[106:107] neg_lo:[0,1] neg_hi:[0,1]
	v_pk_fma_f32 v[100:101], v[100:101], v[58:59], v[102:103] op_sel_hi:[1,1,0]
	s_delay_alu instid0(VALU_DEP_1) | instskip(SKIP_4) | instid1(VALU_DEP_1)
	v_mov_b32_e32 v105, v101
	ds_load_2addr_b64 v[100:103], v94 offset0:28 offset1:29
	v_pk_add_f32 v[34:35], v[34:35], v[104:105] neg_lo:[0,1] neg_hi:[0,1]
	s_wait_dscnt 0x0
	v_pk_mul_f32 v[104:105], v[100:101], v[92:93] op_sel:[0,1]
	v_pk_fma_f32 v[106:107], v[100:101], v[90:91], v[104:105] op_sel:[0,0,1] op_sel_hi:[1,1,0] neg_lo:[0,0,1] neg_hi:[0,0,1]
	v_pk_fma_f32 v[100:101], v[100:101], v[90:91], v[104:105] op_sel:[0,0,1] op_sel_hi:[1,0,0]
	s_delay_alu instid0(VALU_DEP_1) | instskip(SKIP_1) | instid1(VALU_DEP_1)
	v_mov_b32_e32 v107, v101
	v_pk_mul_f32 v[100:101], v[102:103], v[92:93] op_sel:[0,1]
	v_pk_fma_f32 v[104:105], v[102:103], v[90:91], v[100:101] op_sel:[0,0,1] op_sel_hi:[1,1,0] neg_lo:[0,0,1] neg_hi:[0,0,1]
	v_pk_fma_f32 v[100:101], v[102:103], v[90:91], v[100:101] op_sel:[0,0,1] op_sel_hi:[1,0,0]
	s_delay_alu instid0(VALU_DEP_1)
	v_mov_b32_e32 v105, v101
	ds_load_2addr_b64 v[100:103], v94 offset0:30 offset1:31
	v_pk_add_f32 v[70:71], v[70:71], v[106:107] neg_lo:[0,1] neg_hi:[0,1]
	v_pk_add_f32 v[30:31], v[30:31], v[104:105] neg_lo:[0,1] neg_hi:[0,1]
	s_wait_dscnt 0x0
	v_pk_mul_f32 v[104:105], v[100:101], v[92:93] op_sel:[0,1]
	s_delay_alu instid0(VALU_DEP_1) | instskip(SKIP_1) | instid1(VALU_DEP_1)
	v_pk_fma_f32 v[106:107], v[100:101], v[90:91], v[104:105] op_sel:[0,0,1] op_sel_hi:[1,1,0] neg_lo:[0,0,1] neg_hi:[0,0,1]
	v_pk_fma_f32 v[100:101], v[100:101], v[90:91], v[104:105] op_sel:[0,0,1] op_sel_hi:[1,0,0]
	v_mov_b32_e32 v107, v101
	v_pk_mul_f32 v[100:101], v[102:103], v[92:93] op_sel:[0,1]
	s_delay_alu instid0(VALU_DEP_1) | instskip(SKIP_1) | instid1(VALU_DEP_1)
	v_pk_fma_f32 v[104:105], v[102:103], v[90:91], v[100:101] op_sel:[0,0,1] op_sel_hi:[1,1,0] neg_lo:[0,0,1] neg_hi:[0,0,1]
	v_pk_fma_f32 v[100:101], v[102:103], v[90:91], v[100:101] op_sel:[0,0,1] op_sel_hi:[1,0,0]
	v_mov_b32_e32 v105, v101
	ds_load_2addr_b64 v[100:103], v94 offset0:32 offset1:33
	v_pk_add_f32 v[32:33], v[32:33], v[106:107] neg_lo:[0,1] neg_hi:[0,1]
	v_pk_add_f32 v[28:29], v[28:29], v[104:105] neg_lo:[0,1] neg_hi:[0,1]
	s_wait_dscnt 0x0
	v_dual_mul_f32 v104, v101, v93 :: v_dual_mul_f32 v106, v101, v90
	s_delay_alu instid0(VALU_DEP_1) | instskip(NEXT) | instid1(VALU_DEP_2)
	v_pk_fma_f32 v[104:105], v[100:101], v[58:59], v[104:105] op_sel_hi:[1,1,0] neg_lo:[0,0,1] neg_hi:[0,0,1]
	v_pk_fma_f32 v[100:101], v[100:101], v[58:59], v[106:107] op_sel:[1,0,0] op_sel_hi:[0,1,0]
	s_delay_alu instid0(VALU_DEP_1) | instskip(SKIP_1) | instid1(VALU_DEP_2)
	v_mov_b32_e32 v105, v101
	v_pk_mul_f32 v[100:101], v[102:103], v[92:93] op_sel:[0,1]
	v_pk_add_f32 v[64:65], v[64:65], v[104:105] neg_lo:[0,1] neg_hi:[0,1]
	s_delay_alu instid0(VALU_DEP_2) | instskip(SKIP_1) | instid1(VALU_DEP_1)
	v_pk_fma_f32 v[104:105], v[102:103], v[90:91], v[100:101] op_sel:[0,0,1] op_sel_hi:[1,1,0] neg_lo:[0,0,1] neg_hi:[0,0,1]
	v_pk_fma_f32 v[100:101], v[102:103], v[90:91], v[100:101] op_sel:[0,0,1] op_sel_hi:[1,0,0]
	v_mov_b32_e32 v105, v101
	ds_load_2addr_b64 v[100:103], v94 offset0:34 offset1:35
	v_pk_add_f32 v[10:11], v[10:11], v[104:105] neg_lo:[0,1] neg_hi:[0,1]
	s_wait_dscnt 0x0
	v_pk_mul_f32 v[104:105], v[100:101], v[92:93] op_sel:[0,1]
	s_delay_alu instid0(VALU_DEP_1) | instskip(SKIP_1) | instid1(VALU_DEP_1)
	v_pk_fma_f32 v[106:107], v[100:101], v[90:91], v[104:105] op_sel:[0,0,1] op_sel_hi:[1,1,0] neg_lo:[0,0,1] neg_hi:[0,0,1]
	v_pk_fma_f32 v[100:101], v[100:101], v[90:91], v[104:105] op_sel:[0,0,1] op_sel_hi:[1,0,0]
	v_mov_b32_e32 v107, v101
	v_pk_mul_f32 v[100:101], v[102:103], v[92:93] op_sel:[0,1]
	s_delay_alu instid0(VALU_DEP_2) | instskip(NEXT) | instid1(VALU_DEP_2)
	v_pk_add_f32 v[12:13], v[12:13], v[106:107] neg_lo:[0,1] neg_hi:[0,1]
	v_pk_fma_f32 v[104:105], v[102:103], v[90:91], v[100:101] op_sel:[0,0,1] op_sel_hi:[1,1,0] neg_lo:[0,0,1] neg_hi:[0,0,1]
	v_pk_fma_f32 v[100:101], v[102:103], v[90:91], v[100:101] op_sel:[0,0,1] op_sel_hi:[1,0,0]
	s_delay_alu instid0(VALU_DEP_1) | instskip(SKIP_4) | instid1(VALU_DEP_1)
	v_mov_b32_e32 v105, v101
	ds_load_2addr_b64 v[100:103], v94 offset0:36 offset1:37
	v_pk_add_f32 v[8:9], v[8:9], v[104:105] neg_lo:[0,1] neg_hi:[0,1]
	s_wait_dscnt 0x0
	v_pk_mul_f32 v[104:105], v[100:101], v[92:93] op_sel:[0,1]
	v_pk_fma_f32 v[106:107], v[100:101], v[90:91], v[104:105] op_sel:[0,0,1] op_sel_hi:[1,1,0] neg_lo:[0,0,1] neg_hi:[0,0,1]
	v_pk_fma_f32 v[100:101], v[100:101], v[90:91], v[104:105] op_sel:[0,0,1] op_sel_hi:[1,0,0]
	v_dual_mul_f32 v104, v103, v93 :: v_dual_mov_b32 v100, v103
	s_delay_alu instid0(VALU_DEP_2) | instskip(NEXT) | instid1(VALU_DEP_2)
	v_dual_mov_b32 v107, v101 :: v_dual_mov_b32 v101, v102
	v_pk_fma_f32 v[104:105], v[102:103], v[58:59], v[104:105] op_sel_hi:[1,1,0] neg_lo:[0,0,1] neg_hi:[0,0,1]
	v_mul_f32_e32 v102, v103, v90
	s_delay_alu instid0(VALU_DEP_3) | instskip(NEXT) | instid1(VALU_DEP_2)
	v_pk_add_f32 v[62:63], v[62:63], v[106:107] neg_lo:[0,1] neg_hi:[0,1]
	v_pk_fma_f32 v[100:101], v[100:101], v[58:59], v[102:103] op_sel_hi:[1,1,0]
	s_delay_alu instid0(VALU_DEP_1) | instskip(SKIP_4) | instid1(VALU_DEP_1)
	v_mov_b32_e32 v105, v101
	ds_load_2addr_b64 v[100:103], v94 offset0:38 offset1:39
	v_pk_add_f32 v[6:7], v[6:7], v[104:105] neg_lo:[0,1] neg_hi:[0,1]
	s_wait_dscnt 0x0
	v_pk_mul_f32 v[104:105], v[100:101], v[92:93] op_sel:[0,1]
	v_pk_fma_f32 v[106:107], v[100:101], v[90:91], v[104:105] op_sel:[0,0,1] op_sel_hi:[1,1,0] neg_lo:[0,0,1] neg_hi:[0,0,1]
	v_pk_fma_f32 v[100:101], v[100:101], v[90:91], v[104:105] op_sel:[0,0,1] op_sel_hi:[1,0,0]
	s_delay_alu instid0(VALU_DEP_1) | instskip(SKIP_1) | instid1(VALU_DEP_1)
	v_mov_b32_e32 v107, v101
	v_pk_mul_f32 v[100:101], v[102:103], v[92:93] op_sel:[0,1]
	v_pk_fma_f32 v[104:105], v[102:103], v[90:91], v[100:101] op_sel:[0,0,1] op_sel_hi:[1,1,0] neg_lo:[0,0,1] neg_hi:[0,0,1]
	v_pk_fma_f32 v[100:101], v[102:103], v[90:91], v[100:101] op_sel:[0,0,1] op_sel_hi:[1,0,0]
	s_delay_alu instid0(VALU_DEP_1)
	v_mov_b32_e32 v105, v101
	ds_load_2addr_b64 v[100:103], v94 offset0:40 offset1:41
	v_pk_add_f32 v[54:55], v[54:55], v[106:107] neg_lo:[0,1] neg_hi:[0,1]
	v_pk_add_f32 v[40:41], v[40:41], v[104:105] neg_lo:[0,1] neg_hi:[0,1]
	s_wait_dscnt 0x0
	v_pk_mul_f32 v[104:105], v[100:101], v[92:93] op_sel:[0,1]
	v_pk_mul_f32 v[92:93], v[102:103], v[92:93] op_sel:[0,1]
	s_delay_alu instid0(VALU_DEP_2) | instskip(SKIP_1) | instid1(VALU_DEP_1)
	v_pk_fma_f32 v[106:107], v[100:101], v[90:91], v[104:105] op_sel:[0,0,1] op_sel_hi:[1,1,0] neg_lo:[0,0,1] neg_hi:[0,0,1]
	v_pk_fma_f32 v[100:101], v[100:101], v[90:91], v[104:105] op_sel:[0,0,1] op_sel_hi:[1,0,0]
	v_mov_b32_e32 v107, v101
	s_delay_alu instid0(VALU_DEP_4) | instskip(SKIP_1) | instid1(VALU_DEP_1)
	v_pk_fma_f32 v[100:101], v[102:103], v[90:91], v[92:93] op_sel:[0,0,1] op_sel_hi:[1,1,0] neg_lo:[0,0,1] neg_hi:[0,0,1]
	v_pk_fma_f32 v[90:91], v[102:103], v[90:91], v[92:93] op_sel:[0,0,1] op_sel_hi:[1,0,0]
	v_mov_b32_e32 v101, v91
	s_delay_alu instid0(VALU_DEP_4) | instskip(NEXT) | instid1(VALU_DEP_2)
	v_pk_add_f32 v[24:25], v[24:25], v[106:107] neg_lo:[0,1] neg_hi:[0,1]
	v_pk_add_f32 v[88:89], v[88:89], v[100:101] neg_lo:[0,1] neg_hi:[0,1]
.LBB82_293:
	s_or_b32 exec_lo, exec_lo, s0
	v_lshl_add_u32 v90, v98, 3, v94
	s_barrier_signal -1
	s_barrier_wait -1
	ds_store_b64 v90, v[60:61]
	s_wait_dscnt 0x0
	s_barrier_signal -1
	s_barrier_wait -1
	ds_load_b64 v[92:93], v94 offset:112
	v_mov_b32_e32 v90, 14
	s_cmp_lt_i32 s18, 16
	s_cbranch_scc1 .LBB82_296
; %bb.294:
	v_add3_u32 v91, v95, 0, 0x78
	v_mov_b32_e32 v90, 14
	s_mov_b32 s0, 15
.LBB82_295:                             ; =>This Inner Loop Header: Depth=1
	ds_load_b64 v[100:101], v91
	s_wait_dscnt 0x1
	v_cmp_gt_f32_e32 vcc_lo, 0, v92
	v_cndmask_b32_e64 v102, v92, -v92, vcc_lo
	v_cmp_gt_f32_e32 vcc_lo, 0, v93
	v_cndmask_b32_e64 v104, v93, -v93, vcc_lo
	s_wait_dscnt 0x0
	v_cmp_gt_f32_e32 vcc_lo, 0, v100
	v_cndmask_b32_e64 v103, v100, -v100, vcc_lo
	v_cmp_gt_f32_e32 vcc_lo, 0, v101
	v_cndmask_b32_e64 v105, v101, -v101, vcc_lo
	s_delay_alu instid0(VALU_DEP_1) | instskip(NEXT) | instid1(VALU_DEP_1)
	v_pk_add_f32 v[102:103], v[102:103], v[104:105]
	v_cmp_lt_f32_e32 vcc_lo, v102, v103
	v_dual_add_nc_u32 v91, 8, v91 :: v_dual_cndmask_b32 v93, v93, v101, vcc_lo
	v_cndmask_b32_e32 v92, v92, v100, vcc_lo
	v_cndmask_b32_e64 v90, v90, s0, vcc_lo
	s_add_co_i32 s0, s0, 1
	s_delay_alu instid0(SALU_CYCLE_1)
	s_cmp_lg_u32 s18, s0
	s_cbranch_scc1 .LBB82_295
.LBB82_296:
	s_wait_dscnt 0x0
	v_cmp_eq_f32_e32 vcc_lo, 0, v92
	v_cmp_eq_f32_e64 s0, 0, v93
	s_and_b32 s0, vcc_lo, s0
	s_delay_alu instid0(SALU_CYCLE_1) | instskip(NEXT) | instid1(SALU_CYCLE_1)
	s_and_saveexec_b32 s1, s0
	s_xor_b32 s0, exec_lo, s1
; %bb.297:
	v_cmp_ne_u32_e32 vcc_lo, 0, v96
	v_cndmask_b32_e32 v96, 15, v96, vcc_lo
; %bb.298:
	s_and_not1_saveexec_b32 s0, s0
	s_cbranch_execz .LBB82_304
; %bb.299:
	v_cmp_ngt_f32_e64 s1, |v92|, |v93|
	s_and_saveexec_b32 s12, s1
	s_delay_alu instid0(SALU_CYCLE_1)
	s_xor_b32 s1, exec_lo, s12
	s_cbranch_execz .LBB82_301
; %bb.300:
	v_div_scale_f32 v91, null, v93, v93, v92
	v_div_scale_f32 v101, vcc_lo, v92, v93, v92
	s_delay_alu instid0(VALU_DEP_2) | instskip(SKIP_1) | instid1(TRANS32_DEP_1)
	v_rcp_f32_e32 v99, v91
	v_nop
	v_fma_f32 v100, -v91, v99, 1.0
	s_delay_alu instid0(VALU_DEP_1) | instskip(NEXT) | instid1(VALU_DEP_1)
	v_fmac_f32_e32 v99, v100, v99
	v_mul_f32_e32 v100, v101, v99
	s_delay_alu instid0(VALU_DEP_1) | instskip(NEXT) | instid1(VALU_DEP_1)
	v_fma_f32 v102, -v91, v100, v101
	v_fmac_f32_e32 v100, v102, v99
	s_delay_alu instid0(VALU_DEP_1) | instskip(NEXT) | instid1(VALU_DEP_1)
	v_fma_f32 v91, -v91, v100, v101
	v_div_fmas_f32 v91, v91, v99, v100
	s_delay_alu instid0(VALU_DEP_1) | instskip(NEXT) | instid1(VALU_DEP_1)
	v_div_fixup_f32 v91, v91, v93, v92
	v_fmac_f32_e32 v93, v92, v91
	s_delay_alu instid0(VALU_DEP_1) | instskip(SKIP_1) | instid1(VALU_DEP_2)
	v_div_scale_f32 v92, null, v93, v93, 1.0
	v_div_scale_f32 v101, vcc_lo, 1.0, v93, 1.0
	v_rcp_f32_e32 v99, v92
	v_nop
	s_delay_alu instid0(TRANS32_DEP_1) | instskip(NEXT) | instid1(VALU_DEP_1)
	v_fma_f32 v100, -v92, v99, 1.0
	v_fmac_f32_e32 v99, v100, v99
	s_delay_alu instid0(VALU_DEP_1) | instskip(NEXT) | instid1(VALU_DEP_1)
	v_mul_f32_e32 v100, v101, v99
	v_fma_f32 v102, -v92, v100, v101
	s_delay_alu instid0(VALU_DEP_1) | instskip(NEXT) | instid1(VALU_DEP_1)
	v_fmac_f32_e32 v100, v102, v99
	v_fma_f32 v92, -v92, v100, v101
	s_delay_alu instid0(VALU_DEP_1) | instskip(NEXT) | instid1(VALU_DEP_1)
	v_div_fmas_f32 v92, v92, v99, v100
	v_div_fixup_f32 v93, v92, v93, 1.0
	s_delay_alu instid0(VALU_DEP_1)
	v_mul_f32_e32 v92, v91, v93
	v_xor_b32_e32 v93, 0x80000000, v93
.LBB82_301:
	s_and_not1_saveexec_b32 s1, s1
	s_cbranch_execz .LBB82_303
; %bb.302:
	s_delay_alu instid0(VALU_DEP_1) | instskip(SKIP_1) | instid1(VALU_DEP_2)
	v_div_scale_f32 v91, null, v92, v92, v93
	v_div_scale_f32 v101, vcc_lo, v93, v92, v93
	v_rcp_f32_e32 v99, v91
	v_nop
	s_delay_alu instid0(TRANS32_DEP_1) | instskip(NEXT) | instid1(VALU_DEP_1)
	v_fma_f32 v100, -v91, v99, 1.0
	v_fmac_f32_e32 v99, v100, v99
	s_delay_alu instid0(VALU_DEP_1) | instskip(NEXT) | instid1(VALU_DEP_1)
	v_mul_f32_e32 v100, v101, v99
	v_fma_f32 v102, -v91, v100, v101
	s_delay_alu instid0(VALU_DEP_1) | instskip(NEXT) | instid1(VALU_DEP_1)
	v_fmac_f32_e32 v100, v102, v99
	v_fma_f32 v91, -v91, v100, v101
	s_delay_alu instid0(VALU_DEP_1) | instskip(NEXT) | instid1(VALU_DEP_1)
	v_div_fmas_f32 v91, v91, v99, v100
	v_div_fixup_f32 v91, v91, v92, v93
	s_delay_alu instid0(VALU_DEP_1) | instskip(NEXT) | instid1(VALU_DEP_1)
	v_fmac_f32_e32 v92, v93, v91
	v_div_scale_f32 v93, null, v92, v92, 1.0
	s_delay_alu instid0(VALU_DEP_1) | instskip(SKIP_1) | instid1(TRANS32_DEP_1)
	v_rcp_f32_e32 v99, v93
	v_nop
	v_fma_f32 v100, -v93, v99, 1.0
	s_delay_alu instid0(VALU_DEP_1) | instskip(SKIP_1) | instid1(VALU_DEP_1)
	v_fmac_f32_e32 v99, v100, v99
	v_div_scale_f32 v100, vcc_lo, 1.0, v92, 1.0
	v_mul_f32_e32 v101, v100, v99
	s_delay_alu instid0(VALU_DEP_1) | instskip(NEXT) | instid1(VALU_DEP_1)
	v_fma_f32 v102, -v93, v101, v100
	v_fmac_f32_e32 v101, v102, v99
	s_delay_alu instid0(VALU_DEP_1) | instskip(NEXT) | instid1(VALU_DEP_1)
	v_fma_f32 v93, -v93, v101, v100
	v_div_fmas_f32 v93, v93, v99, v101
	s_delay_alu instid0(VALU_DEP_1) | instskip(NEXT) | instid1(VALU_DEP_1)
	v_div_fixup_f32 v92, v93, v92, 1.0
	v_mul_f32_e64 v93, v91, -v92
.LBB82_303:
	s_or_b32 exec_lo, exec_lo, s1
.LBB82_304:
	s_delay_alu instid0(SALU_CYCLE_1) | instskip(NEXT) | instid1(SALU_CYCLE_1)
	s_or_b32 exec_lo, exec_lo, s0
	s_mov_b32 s0, exec_lo
	v_cmpx_ne_u32_e64 v98, v90
	s_xor_b32 s0, exec_lo, s0
	s_cbranch_execz .LBB82_310
; %bb.305:
	s_mov_b32 s1, exec_lo
	v_cmpx_eq_u32_e32 14, v98
	s_cbranch_execz .LBB82_309
; %bb.306:
	v_cmp_ne_u32_e32 vcc_lo, 14, v90
	s_xor_b32 s12, s16, -1
	s_delay_alu instid0(SALU_CYCLE_1) | instskip(NEXT) | instid1(SALU_CYCLE_1)
	s_and_b32 s13, s12, vcc_lo
	s_and_saveexec_b32 s12, s13
	s_cbranch_execz .LBB82_308
; %bb.307:
	v_ashrrev_i32_e32 v91, 31, v90
	s_delay_alu instid0(VALU_DEP_1)
	v_lshl_add_u64 v[98:99], v[90:91], 2, v[4:5]
	s_clause 0x1
	global_load_b32 v91, v[98:99], off
	global_load_b32 v97, v[4:5], off offset:56
	s_wait_loadcnt 0x1
	global_store_b32 v[4:5], v91, off offset:56
	s_wait_loadcnt 0x0
	global_store_b32 v[98:99], v97, off
.LBB82_308:
	s_wait_xcnt 0x0
	s_or_b32 exec_lo, exec_lo, s12
	v_dual_mov_b32 v98, v90 :: v_dual_mov_b32 v97, v90
.LBB82_309:
	s_or_b32 exec_lo, exec_lo, s1
.LBB82_310:
	s_and_not1_saveexec_b32 s0, s0
	s_cbranch_execz .LBB82_312
; %bb.311:
	v_mov_b32_e32 v98, 14
	ds_store_2addr_b64 v94, v[56:57], v[76:77] offset0:15 offset1:16
	ds_store_2addr_b64 v94, v[50:51], v[52:53] offset0:17 offset1:18
	;; [unrolled: 1-line block ×13, first 2 shown]
	ds_store_b64 v94, v[88:89] offset:328
.LBB82_312:
	s_or_b32 exec_lo, exec_lo, s0
	s_delay_alu instid0(SALU_CYCLE_1)
	s_mov_b32 s0, exec_lo
	s_wait_storecnt_dscnt 0x0
	s_barrier_signal -1
	s_barrier_wait -1
	v_cmpx_lt_i32_e32 14, v98
	s_cbranch_execz .LBB82_314
; %bb.313:
	v_pk_mul_f32 v[100:101], v[92:93], v[60:61] op_sel:[1,1] op_sel_hi:[0,1]
	s_delay_alu instid0(VALU_DEP_1)
	v_pk_fma_f32 v[90:91], v[92:93], v[60:61], v[100:101] op_sel_hi:[1,0,1] neg_lo:[0,0,1] neg_hi:[0,0,1]
	v_pk_fma_f32 v[92:93], v[92:93], v[60:61], v[100:101] op_sel_hi:[1,0,1]
	ds_load_2addr_b64 v[100:103], v94 offset0:15 offset1:16
	v_dual_mov_b32 v60, v90 :: v_dual_mov_b32 v61, v93
	s_wait_dscnt 0x0
	v_pk_mul_f32 v[104:105], v[100:101], v[92:93] op_sel:[0,1]
	s_delay_alu instid0(VALU_DEP_1) | instskip(SKIP_1) | instid1(VALU_DEP_1)
	v_pk_fma_f32 v[106:107], v[100:101], v[90:91], v[104:105] op_sel:[0,0,1] op_sel_hi:[1,1,0] neg_lo:[0,0,1] neg_hi:[0,0,1]
	v_pk_fma_f32 v[100:101], v[100:101], v[90:91], v[104:105] op_sel:[0,0,1] op_sel_hi:[1,0,0]
	v_mov_b32_e32 v107, v101
	v_pk_mul_f32 v[100:101], v[102:103], v[92:93] op_sel:[0,1]
	s_delay_alu instid0(VALU_DEP_1) | instskip(SKIP_1) | instid1(VALU_DEP_1)
	v_pk_fma_f32 v[104:105], v[102:103], v[90:91], v[100:101] op_sel:[0,0,1] op_sel_hi:[1,1,0] neg_lo:[0,0,1] neg_hi:[0,0,1]
	v_pk_fma_f32 v[100:101], v[102:103], v[90:91], v[100:101] op_sel:[0,0,1] op_sel_hi:[1,0,0]
	v_mov_b32_e32 v105, v101
	ds_load_2addr_b64 v[100:103], v94 offset0:17 offset1:18
	v_pk_add_f32 v[56:57], v[56:57], v[106:107] neg_lo:[0,1] neg_hi:[0,1]
	v_pk_add_f32 v[76:77], v[76:77], v[104:105] neg_lo:[0,1] neg_hi:[0,1]
	s_wait_dscnt 0x0
	v_pk_mul_f32 v[104:105], v[100:101], v[92:93] op_sel:[0,1]
	s_delay_alu instid0(VALU_DEP_1) | instskip(SKIP_2) | instid1(VALU_DEP_2)
	v_pk_fma_f32 v[106:107], v[100:101], v[90:91], v[104:105] op_sel:[0,0,1] op_sel_hi:[1,1,0] neg_lo:[0,0,1] neg_hi:[0,0,1]
	v_pk_fma_f32 v[100:101], v[100:101], v[90:91], v[104:105] op_sel:[0,0,1] op_sel_hi:[1,0,0]
	v_dual_mul_f32 v104, v103, v93 :: v_dual_mov_b32 v100, v103
	v_dual_mov_b32 v107, v101 :: v_dual_mov_b32 v101, v102
	s_delay_alu instid0(VALU_DEP_2) | instskip(SKIP_1) | instid1(VALU_DEP_3)
	v_pk_fma_f32 v[104:105], v[102:103], v[60:61], v[104:105] op_sel_hi:[1,1,0] neg_lo:[0,0,1] neg_hi:[0,0,1]
	v_mul_f32_e32 v102, v103, v90
	v_pk_add_f32 v[50:51], v[50:51], v[106:107] neg_lo:[0,1] neg_hi:[0,1]
	s_delay_alu instid0(VALU_DEP_2) | instskip(NEXT) | instid1(VALU_DEP_1)
	v_pk_fma_f32 v[100:101], v[100:101], v[60:61], v[102:103] op_sel_hi:[1,1,0]
	v_mov_b32_e32 v105, v101
	ds_load_2addr_b64 v[100:103], v94 offset0:19 offset1:20
	v_pk_add_f32 v[52:53], v[52:53], v[104:105] neg_lo:[0,1] neg_hi:[0,1]
	s_wait_dscnt 0x0
	v_pk_mul_f32 v[104:105], v[100:101], v[92:93] op_sel:[0,1]
	s_delay_alu instid0(VALU_DEP_1) | instskip(SKIP_1) | instid1(VALU_DEP_1)
	v_pk_fma_f32 v[106:107], v[100:101], v[90:91], v[104:105] op_sel:[0,0,1] op_sel_hi:[1,1,0] neg_lo:[0,0,1] neg_hi:[0,0,1]
	v_pk_fma_f32 v[100:101], v[100:101], v[90:91], v[104:105] op_sel:[0,0,1] op_sel_hi:[1,0,0]
	v_mov_b32_e32 v107, v101
	v_pk_mul_f32 v[100:101], v[102:103], v[92:93] op_sel:[0,1]
	s_delay_alu instid0(VALU_DEP_1) | instskip(SKIP_1) | instid1(VALU_DEP_1)
	v_pk_fma_f32 v[104:105], v[102:103], v[90:91], v[100:101] op_sel:[0,0,1] op_sel_hi:[1,1,0] neg_lo:[0,0,1] neg_hi:[0,0,1]
	v_pk_fma_f32 v[100:101], v[102:103], v[90:91], v[100:101] op_sel:[0,0,1] op_sel_hi:[1,0,0]
	v_mov_b32_e32 v105, v101
	ds_load_2addr_b64 v[100:103], v94 offset0:21 offset1:22
	v_pk_add_f32 v[48:49], v[48:49], v[106:107] neg_lo:[0,1] neg_hi:[0,1]
	v_pk_add_f32 v[74:75], v[74:75], v[104:105] neg_lo:[0,1] neg_hi:[0,1]
	s_wait_dscnt 0x0
	v_pk_mul_f32 v[104:105], v[100:101], v[92:93] op_sel:[0,1]
	s_delay_alu instid0(VALU_DEP_1) | instskip(SKIP_1) | instid1(VALU_DEP_1)
	v_pk_fma_f32 v[106:107], v[100:101], v[90:91], v[104:105] op_sel:[0,0,1] op_sel_hi:[1,1,0] neg_lo:[0,0,1] neg_hi:[0,0,1]
	v_pk_fma_f32 v[100:101], v[100:101], v[90:91], v[104:105] op_sel:[0,0,1] op_sel_hi:[1,0,0]
	v_mov_b32_e32 v107, v101
	v_pk_mul_f32 v[100:101], v[102:103], v[92:93] op_sel:[0,1]
	s_delay_alu instid0(VALU_DEP_1) | instskip(SKIP_1) | instid1(VALU_DEP_1)
	v_pk_fma_f32 v[104:105], v[102:103], v[90:91], v[100:101] op_sel:[0,0,1] op_sel_hi:[1,1,0] neg_lo:[0,0,1] neg_hi:[0,0,1]
	v_pk_fma_f32 v[100:101], v[102:103], v[90:91], v[100:101] op_sel:[0,0,1] op_sel_hi:[1,0,0]
	v_mov_b32_e32 v105, v101
	ds_load_2addr_b64 v[100:103], v94 offset0:23 offset1:24
	v_pk_add_f32 v[44:45], v[44:45], v[106:107] neg_lo:[0,1] neg_hi:[0,1]
	v_pk_add_f32 v[46:47], v[46:47], v[104:105] neg_lo:[0,1] neg_hi:[0,1]
	s_wait_dscnt 0x0
	v_dual_mul_f32 v104, v101, v93 :: v_dual_mul_f32 v106, v101, v90
	s_delay_alu instid0(VALU_DEP_1) | instskip(NEXT) | instid1(VALU_DEP_2)
	v_pk_fma_f32 v[104:105], v[100:101], v[60:61], v[104:105] op_sel_hi:[1,1,0] neg_lo:[0,0,1] neg_hi:[0,0,1]
	v_pk_fma_f32 v[100:101], v[100:101], v[60:61], v[106:107] op_sel:[1,0,0] op_sel_hi:[0,1,0]
	s_delay_alu instid0(VALU_DEP_1) | instskip(SKIP_1) | instid1(VALU_DEP_2)
	v_mov_b32_e32 v105, v101
	v_pk_mul_f32 v[100:101], v[102:103], v[92:93] op_sel:[0,1]
	v_pk_add_f32 v[42:43], v[42:43], v[104:105] neg_lo:[0,1] neg_hi:[0,1]
	s_delay_alu instid0(VALU_DEP_2) | instskip(SKIP_1) | instid1(VALU_DEP_1)
	v_pk_fma_f32 v[104:105], v[102:103], v[90:91], v[100:101] op_sel:[0,0,1] op_sel_hi:[1,1,0] neg_lo:[0,0,1] neg_hi:[0,0,1]
	v_pk_fma_f32 v[100:101], v[102:103], v[90:91], v[100:101] op_sel:[0,0,1] op_sel_hi:[1,0,0]
	v_mov_b32_e32 v105, v101
	ds_load_2addr_b64 v[100:103], v94 offset0:25 offset1:26
	v_pk_add_f32 v[72:73], v[72:73], v[104:105] neg_lo:[0,1] neg_hi:[0,1]
	s_wait_dscnt 0x0
	v_pk_mul_f32 v[104:105], v[100:101], v[92:93] op_sel:[0,1]
	s_delay_alu instid0(VALU_DEP_1) | instskip(SKIP_1) | instid1(VALU_DEP_1)
	v_pk_fma_f32 v[106:107], v[100:101], v[90:91], v[104:105] op_sel:[0,0,1] op_sel_hi:[1,1,0] neg_lo:[0,0,1] neg_hi:[0,0,1]
	v_pk_fma_f32 v[100:101], v[100:101], v[90:91], v[104:105] op_sel:[0,0,1] op_sel_hi:[1,0,0]
	v_mov_b32_e32 v107, v101
	v_pk_mul_f32 v[100:101], v[102:103], v[92:93] op_sel:[0,1]
	s_delay_alu instid0(VALU_DEP_2) | instskip(NEXT) | instid1(VALU_DEP_2)
	v_pk_add_f32 v[36:37], v[36:37], v[106:107] neg_lo:[0,1] neg_hi:[0,1]
	v_pk_fma_f32 v[104:105], v[102:103], v[90:91], v[100:101] op_sel:[0,0,1] op_sel_hi:[1,1,0] neg_lo:[0,0,1] neg_hi:[0,0,1]
	v_pk_fma_f32 v[100:101], v[102:103], v[90:91], v[100:101] op_sel:[0,0,1] op_sel_hi:[1,0,0]
	s_delay_alu instid0(VALU_DEP_1) | instskip(SKIP_4) | instid1(VALU_DEP_1)
	v_mov_b32_e32 v105, v101
	ds_load_2addr_b64 v[100:103], v94 offset0:27 offset1:28
	v_pk_add_f32 v[38:39], v[38:39], v[104:105] neg_lo:[0,1] neg_hi:[0,1]
	s_wait_dscnt 0x0
	v_pk_mul_f32 v[104:105], v[100:101], v[92:93] op_sel:[0,1]
	v_pk_fma_f32 v[106:107], v[100:101], v[90:91], v[104:105] op_sel:[0,0,1] op_sel_hi:[1,1,0] neg_lo:[0,0,1] neg_hi:[0,0,1]
	v_pk_fma_f32 v[100:101], v[100:101], v[90:91], v[104:105] op_sel:[0,0,1] op_sel_hi:[1,0,0]
	v_dual_mul_f32 v104, v103, v93 :: v_dual_mov_b32 v100, v103
	s_delay_alu instid0(VALU_DEP_2) | instskip(NEXT) | instid1(VALU_DEP_2)
	v_dual_mov_b32 v107, v101 :: v_dual_mov_b32 v101, v102
	v_pk_fma_f32 v[104:105], v[102:103], v[60:61], v[104:105] op_sel_hi:[1,1,0] neg_lo:[0,0,1] neg_hi:[0,0,1]
	v_mul_f32_e32 v102, v103, v90
	s_delay_alu instid0(VALU_DEP_3) | instskip(NEXT) | instid1(VALU_DEP_2)
	v_pk_add_f32 v[34:35], v[34:35], v[106:107] neg_lo:[0,1] neg_hi:[0,1]
	v_pk_fma_f32 v[100:101], v[100:101], v[60:61], v[102:103] op_sel_hi:[1,1,0]
	s_delay_alu instid0(VALU_DEP_1) | instskip(SKIP_4) | instid1(VALU_DEP_1)
	v_mov_b32_e32 v105, v101
	ds_load_2addr_b64 v[100:103], v94 offset0:29 offset1:30
	v_pk_add_f32 v[70:71], v[70:71], v[104:105] neg_lo:[0,1] neg_hi:[0,1]
	s_wait_dscnt 0x0
	v_pk_mul_f32 v[104:105], v[100:101], v[92:93] op_sel:[0,1]
	v_pk_fma_f32 v[106:107], v[100:101], v[90:91], v[104:105] op_sel:[0,0,1] op_sel_hi:[1,1,0] neg_lo:[0,0,1] neg_hi:[0,0,1]
	v_pk_fma_f32 v[100:101], v[100:101], v[90:91], v[104:105] op_sel:[0,0,1] op_sel_hi:[1,0,0]
	s_delay_alu instid0(VALU_DEP_1) | instskip(SKIP_1) | instid1(VALU_DEP_1)
	v_mov_b32_e32 v107, v101
	v_pk_mul_f32 v[100:101], v[102:103], v[92:93] op_sel:[0,1]
	v_pk_fma_f32 v[104:105], v[102:103], v[90:91], v[100:101] op_sel:[0,0,1] op_sel_hi:[1,1,0] neg_lo:[0,0,1] neg_hi:[0,0,1]
	v_pk_fma_f32 v[100:101], v[102:103], v[90:91], v[100:101] op_sel:[0,0,1] op_sel_hi:[1,0,0]
	s_delay_alu instid0(VALU_DEP_1)
	v_mov_b32_e32 v105, v101
	ds_load_2addr_b64 v[100:103], v94 offset0:31 offset1:32
	v_pk_add_f32 v[30:31], v[30:31], v[106:107] neg_lo:[0,1] neg_hi:[0,1]
	v_pk_add_f32 v[32:33], v[32:33], v[104:105] neg_lo:[0,1] neg_hi:[0,1]
	s_wait_dscnt 0x0
	v_pk_mul_f32 v[104:105], v[100:101], v[92:93] op_sel:[0,1]
	s_delay_alu instid0(VALU_DEP_1) | instskip(SKIP_1) | instid1(VALU_DEP_1)
	v_pk_fma_f32 v[106:107], v[100:101], v[90:91], v[104:105] op_sel:[0,0,1] op_sel_hi:[1,1,0] neg_lo:[0,0,1] neg_hi:[0,0,1]
	v_pk_fma_f32 v[100:101], v[100:101], v[90:91], v[104:105] op_sel:[0,0,1] op_sel_hi:[1,0,0]
	v_mov_b32_e32 v107, v101
	v_pk_mul_f32 v[100:101], v[102:103], v[92:93] op_sel:[0,1]
	s_delay_alu instid0(VALU_DEP_1) | instskip(SKIP_1) | instid1(VALU_DEP_1)
	v_pk_fma_f32 v[104:105], v[102:103], v[90:91], v[100:101] op_sel:[0,0,1] op_sel_hi:[1,1,0] neg_lo:[0,0,1] neg_hi:[0,0,1]
	v_pk_fma_f32 v[100:101], v[102:103], v[90:91], v[100:101] op_sel:[0,0,1] op_sel_hi:[1,0,0]
	v_mov_b32_e32 v105, v101
	ds_load_2addr_b64 v[100:103], v94 offset0:33 offset1:34
	v_pk_add_f32 v[28:29], v[28:29], v[106:107] neg_lo:[0,1] neg_hi:[0,1]
	v_pk_add_f32 v[64:65], v[64:65], v[104:105] neg_lo:[0,1] neg_hi:[0,1]
	s_wait_dscnt 0x0
	v_dual_mul_f32 v104, v101, v93 :: v_dual_mul_f32 v106, v101, v90
	s_delay_alu instid0(VALU_DEP_1) | instskip(NEXT) | instid1(VALU_DEP_2)
	v_pk_fma_f32 v[104:105], v[100:101], v[60:61], v[104:105] op_sel_hi:[1,1,0] neg_lo:[0,0,1] neg_hi:[0,0,1]
	v_pk_fma_f32 v[100:101], v[100:101], v[60:61], v[106:107] op_sel:[1,0,0] op_sel_hi:[0,1,0]
	s_delay_alu instid0(VALU_DEP_1) | instskip(SKIP_1) | instid1(VALU_DEP_2)
	v_mov_b32_e32 v105, v101
	v_pk_mul_f32 v[100:101], v[102:103], v[92:93] op_sel:[0,1]
	v_pk_add_f32 v[10:11], v[10:11], v[104:105] neg_lo:[0,1] neg_hi:[0,1]
	s_delay_alu instid0(VALU_DEP_2) | instskip(SKIP_1) | instid1(VALU_DEP_1)
	v_pk_fma_f32 v[104:105], v[102:103], v[90:91], v[100:101] op_sel:[0,0,1] op_sel_hi:[1,1,0] neg_lo:[0,0,1] neg_hi:[0,0,1]
	v_pk_fma_f32 v[100:101], v[102:103], v[90:91], v[100:101] op_sel:[0,0,1] op_sel_hi:[1,0,0]
	v_mov_b32_e32 v105, v101
	ds_load_2addr_b64 v[100:103], v94 offset0:35 offset1:36
	v_pk_add_f32 v[12:13], v[12:13], v[104:105] neg_lo:[0,1] neg_hi:[0,1]
	s_wait_dscnt 0x0
	v_pk_mul_f32 v[104:105], v[100:101], v[92:93] op_sel:[0,1]
	s_delay_alu instid0(VALU_DEP_1) | instskip(SKIP_1) | instid1(VALU_DEP_1)
	v_pk_fma_f32 v[106:107], v[100:101], v[90:91], v[104:105] op_sel:[0,0,1] op_sel_hi:[1,1,0] neg_lo:[0,0,1] neg_hi:[0,0,1]
	v_pk_fma_f32 v[100:101], v[100:101], v[90:91], v[104:105] op_sel:[0,0,1] op_sel_hi:[1,0,0]
	v_mov_b32_e32 v107, v101
	v_pk_mul_f32 v[100:101], v[102:103], v[92:93] op_sel:[0,1]
	s_delay_alu instid0(VALU_DEP_2) | instskip(NEXT) | instid1(VALU_DEP_2)
	v_pk_add_f32 v[8:9], v[8:9], v[106:107] neg_lo:[0,1] neg_hi:[0,1]
	v_pk_fma_f32 v[104:105], v[102:103], v[90:91], v[100:101] op_sel:[0,0,1] op_sel_hi:[1,1,0] neg_lo:[0,0,1] neg_hi:[0,0,1]
	v_pk_fma_f32 v[100:101], v[102:103], v[90:91], v[100:101] op_sel:[0,0,1] op_sel_hi:[1,0,0]
	s_delay_alu instid0(VALU_DEP_1) | instskip(SKIP_4) | instid1(VALU_DEP_1)
	v_mov_b32_e32 v105, v101
	ds_load_2addr_b64 v[100:103], v94 offset0:37 offset1:38
	v_pk_add_f32 v[62:63], v[62:63], v[104:105] neg_lo:[0,1] neg_hi:[0,1]
	s_wait_dscnt 0x0
	v_pk_mul_f32 v[104:105], v[100:101], v[92:93] op_sel:[0,1]
	v_pk_fma_f32 v[106:107], v[100:101], v[90:91], v[104:105] op_sel:[0,0,1] op_sel_hi:[1,1,0] neg_lo:[0,0,1] neg_hi:[0,0,1]
	v_pk_fma_f32 v[100:101], v[100:101], v[90:91], v[104:105] op_sel:[0,0,1] op_sel_hi:[1,0,0]
	v_dual_mul_f32 v104, v103, v93 :: v_dual_mov_b32 v100, v103
	s_delay_alu instid0(VALU_DEP_2) | instskip(NEXT) | instid1(VALU_DEP_2)
	v_dual_mov_b32 v107, v101 :: v_dual_mov_b32 v101, v102
	v_pk_fma_f32 v[104:105], v[102:103], v[60:61], v[104:105] op_sel_hi:[1,1,0] neg_lo:[0,0,1] neg_hi:[0,0,1]
	v_mul_f32_e32 v102, v103, v90
	s_delay_alu instid0(VALU_DEP_3) | instskip(NEXT) | instid1(VALU_DEP_2)
	v_pk_add_f32 v[6:7], v[6:7], v[106:107] neg_lo:[0,1] neg_hi:[0,1]
	v_pk_fma_f32 v[100:101], v[100:101], v[60:61], v[102:103] op_sel_hi:[1,1,0]
	s_delay_alu instid0(VALU_DEP_1) | instskip(SKIP_4) | instid1(VALU_DEP_1)
	v_mov_b32_e32 v105, v101
	ds_load_2addr_b64 v[100:103], v94 offset0:39 offset1:40
	v_pk_add_f32 v[54:55], v[54:55], v[104:105] neg_lo:[0,1] neg_hi:[0,1]
	s_wait_dscnt 0x0
	v_pk_mul_f32 v[104:105], v[100:101], v[92:93] op_sel:[0,1]
	v_pk_fma_f32 v[106:107], v[100:101], v[90:91], v[104:105] op_sel:[0,0,1] op_sel_hi:[1,1,0] neg_lo:[0,0,1] neg_hi:[0,0,1]
	v_pk_fma_f32 v[100:101], v[100:101], v[90:91], v[104:105] op_sel:[0,0,1] op_sel_hi:[1,0,0]
	s_delay_alu instid0(VALU_DEP_1) | instskip(SKIP_1) | instid1(VALU_DEP_1)
	v_mov_b32_e32 v107, v101
	v_pk_mul_f32 v[100:101], v[102:103], v[92:93] op_sel:[0,1]
	v_pk_fma_f32 v[104:105], v[102:103], v[90:91], v[100:101] op_sel:[0,0,1] op_sel_hi:[1,1,0] neg_lo:[0,0,1] neg_hi:[0,0,1]
	v_pk_fma_f32 v[100:101], v[102:103], v[90:91], v[100:101] op_sel:[0,0,1] op_sel_hi:[1,0,0]
	s_delay_alu instid0(VALU_DEP_1)
	v_mov_b32_e32 v105, v101
	ds_load_b64 v[100:101], v94 offset:328
	v_pk_add_f32 v[40:41], v[40:41], v[106:107] neg_lo:[0,1] neg_hi:[0,1]
	v_pk_add_f32 v[24:25], v[24:25], v[104:105] neg_lo:[0,1] neg_hi:[0,1]
	s_wait_dscnt 0x0
	v_pk_mul_f32 v[92:93], v[100:101], v[92:93] op_sel:[0,1]
	s_delay_alu instid0(VALU_DEP_1) | instskip(SKIP_1) | instid1(VALU_DEP_1)
	v_pk_fma_f32 v[102:103], v[100:101], v[90:91], v[92:93] op_sel:[0,0,1] op_sel_hi:[1,1,0] neg_lo:[0,0,1] neg_hi:[0,0,1]
	v_pk_fma_f32 v[90:91], v[100:101], v[90:91], v[92:93] op_sel:[0,0,1] op_sel_hi:[1,0,0]
	v_mov_b32_e32 v103, v91
	s_delay_alu instid0(VALU_DEP_1)
	v_pk_add_f32 v[88:89], v[88:89], v[102:103] neg_lo:[0,1] neg_hi:[0,1]
.LBB82_314:
	s_or_b32 exec_lo, exec_lo, s0
	v_lshl_add_u32 v90, v98, 3, v94
	s_barrier_signal -1
	s_barrier_wait -1
	ds_store_b64 v90, v[56:57]
	s_wait_dscnt 0x0
	s_barrier_signal -1
	s_barrier_wait -1
	ds_load_b64 v[92:93], v94 offset:120
	v_mov_b32_e32 v90, 15
	s_cmp_lt_i32 s18, 17
	s_cbranch_scc1 .LBB82_317
; %bb.315:
	v_add3_u32 v91, v95, 0, 0x80
	v_mov_b32_e32 v90, 15
	s_mov_b32 s0, 16
.LBB82_316:                             ; =>This Inner Loop Header: Depth=1
	ds_load_b64 v[100:101], v91
	s_wait_dscnt 0x1
	v_cmp_gt_f32_e32 vcc_lo, 0, v92
	v_cndmask_b32_e64 v102, v92, -v92, vcc_lo
	v_cmp_gt_f32_e32 vcc_lo, 0, v93
	v_cndmask_b32_e64 v104, v93, -v93, vcc_lo
	s_wait_dscnt 0x0
	v_cmp_gt_f32_e32 vcc_lo, 0, v100
	v_cndmask_b32_e64 v103, v100, -v100, vcc_lo
	v_cmp_gt_f32_e32 vcc_lo, 0, v101
	v_cndmask_b32_e64 v105, v101, -v101, vcc_lo
	s_delay_alu instid0(VALU_DEP_1) | instskip(NEXT) | instid1(VALU_DEP_1)
	v_pk_add_f32 v[102:103], v[102:103], v[104:105]
	v_cmp_lt_f32_e32 vcc_lo, v102, v103
	v_dual_add_nc_u32 v91, 8, v91 :: v_dual_cndmask_b32 v93, v93, v101, vcc_lo
	v_cndmask_b32_e32 v92, v92, v100, vcc_lo
	v_cndmask_b32_e64 v90, v90, s0, vcc_lo
	s_add_co_i32 s0, s0, 1
	s_delay_alu instid0(SALU_CYCLE_1)
	s_cmp_lg_u32 s18, s0
	s_cbranch_scc1 .LBB82_316
.LBB82_317:
	s_wait_dscnt 0x0
	v_cmp_eq_f32_e32 vcc_lo, 0, v92
	v_cmp_eq_f32_e64 s0, 0, v93
	s_and_b32 s0, vcc_lo, s0
	s_delay_alu instid0(SALU_CYCLE_1) | instskip(NEXT) | instid1(SALU_CYCLE_1)
	s_and_saveexec_b32 s1, s0
	s_xor_b32 s0, exec_lo, s1
; %bb.318:
	v_cmp_ne_u32_e32 vcc_lo, 0, v96
	v_cndmask_b32_e32 v96, 16, v96, vcc_lo
; %bb.319:
	s_and_not1_saveexec_b32 s0, s0
	s_cbranch_execz .LBB82_325
; %bb.320:
	v_cmp_ngt_f32_e64 s1, |v92|, |v93|
	s_and_saveexec_b32 s12, s1
	s_delay_alu instid0(SALU_CYCLE_1)
	s_xor_b32 s1, exec_lo, s12
	s_cbranch_execz .LBB82_322
; %bb.321:
	v_div_scale_f32 v91, null, v93, v93, v92
	v_div_scale_f32 v101, vcc_lo, v92, v93, v92
	s_delay_alu instid0(VALU_DEP_2) | instskip(SKIP_1) | instid1(TRANS32_DEP_1)
	v_rcp_f32_e32 v99, v91
	v_nop
	v_fma_f32 v100, -v91, v99, 1.0
	s_delay_alu instid0(VALU_DEP_1) | instskip(NEXT) | instid1(VALU_DEP_1)
	v_fmac_f32_e32 v99, v100, v99
	v_mul_f32_e32 v100, v101, v99
	s_delay_alu instid0(VALU_DEP_1) | instskip(NEXT) | instid1(VALU_DEP_1)
	v_fma_f32 v102, -v91, v100, v101
	v_fmac_f32_e32 v100, v102, v99
	s_delay_alu instid0(VALU_DEP_1) | instskip(NEXT) | instid1(VALU_DEP_1)
	v_fma_f32 v91, -v91, v100, v101
	v_div_fmas_f32 v91, v91, v99, v100
	s_delay_alu instid0(VALU_DEP_1) | instskip(NEXT) | instid1(VALU_DEP_1)
	v_div_fixup_f32 v91, v91, v93, v92
	v_fmac_f32_e32 v93, v92, v91
	s_delay_alu instid0(VALU_DEP_1) | instskip(SKIP_1) | instid1(VALU_DEP_2)
	v_div_scale_f32 v92, null, v93, v93, 1.0
	v_div_scale_f32 v101, vcc_lo, 1.0, v93, 1.0
	v_rcp_f32_e32 v99, v92
	v_nop
	s_delay_alu instid0(TRANS32_DEP_1) | instskip(NEXT) | instid1(VALU_DEP_1)
	v_fma_f32 v100, -v92, v99, 1.0
	v_fmac_f32_e32 v99, v100, v99
	s_delay_alu instid0(VALU_DEP_1) | instskip(NEXT) | instid1(VALU_DEP_1)
	v_mul_f32_e32 v100, v101, v99
	v_fma_f32 v102, -v92, v100, v101
	s_delay_alu instid0(VALU_DEP_1) | instskip(NEXT) | instid1(VALU_DEP_1)
	v_fmac_f32_e32 v100, v102, v99
	v_fma_f32 v92, -v92, v100, v101
	s_delay_alu instid0(VALU_DEP_1) | instskip(NEXT) | instid1(VALU_DEP_1)
	v_div_fmas_f32 v92, v92, v99, v100
	v_div_fixup_f32 v93, v92, v93, 1.0
	s_delay_alu instid0(VALU_DEP_1)
	v_mul_f32_e32 v92, v91, v93
	v_xor_b32_e32 v93, 0x80000000, v93
.LBB82_322:
	s_and_not1_saveexec_b32 s1, s1
	s_cbranch_execz .LBB82_324
; %bb.323:
	s_delay_alu instid0(VALU_DEP_1) | instskip(SKIP_1) | instid1(VALU_DEP_2)
	v_div_scale_f32 v91, null, v92, v92, v93
	v_div_scale_f32 v101, vcc_lo, v93, v92, v93
	v_rcp_f32_e32 v99, v91
	v_nop
	s_delay_alu instid0(TRANS32_DEP_1) | instskip(NEXT) | instid1(VALU_DEP_1)
	v_fma_f32 v100, -v91, v99, 1.0
	v_fmac_f32_e32 v99, v100, v99
	s_delay_alu instid0(VALU_DEP_1) | instskip(NEXT) | instid1(VALU_DEP_1)
	v_mul_f32_e32 v100, v101, v99
	v_fma_f32 v102, -v91, v100, v101
	s_delay_alu instid0(VALU_DEP_1) | instskip(NEXT) | instid1(VALU_DEP_1)
	v_fmac_f32_e32 v100, v102, v99
	v_fma_f32 v91, -v91, v100, v101
	s_delay_alu instid0(VALU_DEP_1) | instskip(NEXT) | instid1(VALU_DEP_1)
	v_div_fmas_f32 v91, v91, v99, v100
	v_div_fixup_f32 v91, v91, v92, v93
	s_delay_alu instid0(VALU_DEP_1) | instskip(NEXT) | instid1(VALU_DEP_1)
	v_fmac_f32_e32 v92, v93, v91
	v_div_scale_f32 v93, null, v92, v92, 1.0
	s_delay_alu instid0(VALU_DEP_1) | instskip(SKIP_1) | instid1(TRANS32_DEP_1)
	v_rcp_f32_e32 v99, v93
	v_nop
	v_fma_f32 v100, -v93, v99, 1.0
	s_delay_alu instid0(VALU_DEP_1) | instskip(SKIP_1) | instid1(VALU_DEP_1)
	v_fmac_f32_e32 v99, v100, v99
	v_div_scale_f32 v100, vcc_lo, 1.0, v92, 1.0
	v_mul_f32_e32 v101, v100, v99
	s_delay_alu instid0(VALU_DEP_1) | instskip(NEXT) | instid1(VALU_DEP_1)
	v_fma_f32 v102, -v93, v101, v100
	v_fmac_f32_e32 v101, v102, v99
	s_delay_alu instid0(VALU_DEP_1) | instskip(NEXT) | instid1(VALU_DEP_1)
	v_fma_f32 v93, -v93, v101, v100
	v_div_fmas_f32 v93, v93, v99, v101
	s_delay_alu instid0(VALU_DEP_1) | instskip(NEXT) | instid1(VALU_DEP_1)
	v_div_fixup_f32 v92, v93, v92, 1.0
	v_mul_f32_e64 v93, v91, -v92
.LBB82_324:
	s_or_b32 exec_lo, exec_lo, s1
.LBB82_325:
	s_delay_alu instid0(SALU_CYCLE_1) | instskip(NEXT) | instid1(SALU_CYCLE_1)
	s_or_b32 exec_lo, exec_lo, s0
	s_mov_b32 s0, exec_lo
	v_cmpx_ne_u32_e64 v98, v90
	s_xor_b32 s0, exec_lo, s0
	s_cbranch_execz .LBB82_331
; %bb.326:
	s_mov_b32 s1, exec_lo
	v_cmpx_eq_u32_e32 15, v98
	s_cbranch_execz .LBB82_330
; %bb.327:
	v_cmp_ne_u32_e32 vcc_lo, 15, v90
	s_xor_b32 s12, s16, -1
	s_delay_alu instid0(SALU_CYCLE_1) | instskip(NEXT) | instid1(SALU_CYCLE_1)
	s_and_b32 s13, s12, vcc_lo
	s_and_saveexec_b32 s12, s13
	s_cbranch_execz .LBB82_329
; %bb.328:
	v_ashrrev_i32_e32 v91, 31, v90
	s_delay_alu instid0(VALU_DEP_1)
	v_lshl_add_u64 v[98:99], v[90:91], 2, v[4:5]
	s_clause 0x1
	global_load_b32 v91, v[98:99], off
	global_load_b32 v97, v[4:5], off offset:60
	s_wait_loadcnt 0x1
	global_store_b32 v[4:5], v91, off offset:60
	s_wait_loadcnt 0x0
	global_store_b32 v[98:99], v97, off
.LBB82_329:
	s_wait_xcnt 0x0
	s_or_b32 exec_lo, exec_lo, s12
	v_dual_mov_b32 v98, v90 :: v_dual_mov_b32 v97, v90
.LBB82_330:
	s_or_b32 exec_lo, exec_lo, s1
.LBB82_331:
	s_and_not1_saveexec_b32 s0, s0
	s_cbranch_execz .LBB82_333
; %bb.332:
	v_dual_mov_b32 v90, v76 :: v_dual_mov_b32 v91, v77
	v_dual_mov_b32 v98, v50 :: v_dual_mov_b32 v99, v51
	ds_store_2addr_b64 v94, v[90:91], v[98:99] offset0:16 offset1:17
	v_dual_mov_b32 v90, v52 :: v_dual_mov_b32 v91, v53
	v_dual_mov_b32 v98, v48 :: v_dual_mov_b32 v99, v49
	ds_store_2addr_b64 v94, v[90:91], v[98:99] offset0:18 offset1:19
	;; [unrolled: 3-line block ×12, first 2 shown]
	v_dual_mov_b32 v90, v24 :: v_dual_mov_b32 v91, v25
	v_mov_b32_e32 v98, 15
	ds_store_2addr_b64 v94, v[90:91], v[88:89] offset0:40 offset1:41
.LBB82_333:
	s_or_b32 exec_lo, exec_lo, s0
	s_delay_alu instid0(SALU_CYCLE_1)
	s_mov_b32 s0, exec_lo
	s_wait_storecnt_dscnt 0x0
	s_barrier_signal -1
	s_barrier_wait -1
	v_cmpx_lt_i32_e32 15, v98
	s_cbranch_execz .LBB82_335
; %bb.334:
	v_pk_mul_f32 v[100:101], v[92:93], v[56:57] op_sel:[1,1] op_sel_hi:[0,1]
	s_delay_alu instid0(VALU_DEP_1)
	v_pk_fma_f32 v[90:91], v[92:93], v[56:57], v[100:101] op_sel_hi:[1,0,1] neg_lo:[0,0,1] neg_hi:[0,0,1]
	v_pk_fma_f32 v[92:93], v[92:93], v[56:57], v[100:101] op_sel_hi:[1,0,1]
	ds_load_2addr_b64 v[100:103], v94 offset0:16 offset1:17
	v_dual_mov_b32 v56, v90 :: v_dual_mov_b32 v57, v93
	s_wait_dscnt 0x0
	v_pk_mul_f32 v[104:105], v[100:101], v[92:93] op_sel:[0,1]
	s_delay_alu instid0(VALU_DEP_1) | instskip(SKIP_1) | instid1(VALU_DEP_1)
	v_pk_fma_f32 v[106:107], v[100:101], v[90:91], v[104:105] op_sel:[0,0,1] op_sel_hi:[1,1,0] neg_lo:[0,0,1] neg_hi:[0,0,1]
	v_pk_fma_f32 v[100:101], v[100:101], v[90:91], v[104:105] op_sel:[0,0,1] op_sel_hi:[1,0,0]
	v_mov_b32_e32 v107, v101
	v_pk_mul_f32 v[100:101], v[102:103], v[92:93] op_sel:[0,1]
	s_delay_alu instid0(VALU_DEP_1) | instskip(SKIP_1) | instid1(VALU_DEP_1)
	v_pk_fma_f32 v[104:105], v[102:103], v[90:91], v[100:101] op_sel:[0,0,1] op_sel_hi:[1,1,0] neg_lo:[0,0,1] neg_hi:[0,0,1]
	v_pk_fma_f32 v[100:101], v[102:103], v[90:91], v[100:101] op_sel:[0,0,1] op_sel_hi:[1,0,0]
	v_mov_b32_e32 v105, v101
	ds_load_2addr_b64 v[100:103], v94 offset0:18 offset1:19
	v_pk_add_f32 v[76:77], v[76:77], v[106:107] neg_lo:[0,1] neg_hi:[0,1]
	v_pk_add_f32 v[50:51], v[50:51], v[104:105] neg_lo:[0,1] neg_hi:[0,1]
	s_wait_dscnt 0x0
	v_pk_mul_f32 v[104:105], v[100:101], v[92:93] op_sel:[0,1]
	s_delay_alu instid0(VALU_DEP_1) | instskip(SKIP_2) | instid1(VALU_DEP_2)
	v_pk_fma_f32 v[106:107], v[100:101], v[90:91], v[104:105] op_sel:[0,0,1] op_sel_hi:[1,1,0] neg_lo:[0,0,1] neg_hi:[0,0,1]
	v_pk_fma_f32 v[100:101], v[100:101], v[90:91], v[104:105] op_sel:[0,0,1] op_sel_hi:[1,0,0]
	v_dual_mul_f32 v104, v103, v93 :: v_dual_mov_b32 v100, v103
	v_dual_mov_b32 v107, v101 :: v_dual_mov_b32 v101, v102
	s_delay_alu instid0(VALU_DEP_2) | instskip(SKIP_1) | instid1(VALU_DEP_3)
	v_pk_fma_f32 v[104:105], v[102:103], v[56:57], v[104:105] op_sel_hi:[1,1,0] neg_lo:[0,0,1] neg_hi:[0,0,1]
	v_mul_f32_e32 v102, v103, v90
	v_pk_add_f32 v[52:53], v[52:53], v[106:107] neg_lo:[0,1] neg_hi:[0,1]
	s_delay_alu instid0(VALU_DEP_2) | instskip(NEXT) | instid1(VALU_DEP_1)
	v_pk_fma_f32 v[100:101], v[100:101], v[56:57], v[102:103] op_sel_hi:[1,1,0]
	v_mov_b32_e32 v105, v101
	ds_load_2addr_b64 v[100:103], v94 offset0:20 offset1:21
	v_pk_add_f32 v[48:49], v[48:49], v[104:105] neg_lo:[0,1] neg_hi:[0,1]
	s_wait_dscnt 0x0
	v_pk_mul_f32 v[104:105], v[100:101], v[92:93] op_sel:[0,1]
	s_delay_alu instid0(VALU_DEP_1) | instskip(SKIP_1) | instid1(VALU_DEP_1)
	v_pk_fma_f32 v[106:107], v[100:101], v[90:91], v[104:105] op_sel:[0,0,1] op_sel_hi:[1,1,0] neg_lo:[0,0,1] neg_hi:[0,0,1]
	v_pk_fma_f32 v[100:101], v[100:101], v[90:91], v[104:105] op_sel:[0,0,1] op_sel_hi:[1,0,0]
	v_mov_b32_e32 v107, v101
	v_pk_mul_f32 v[100:101], v[102:103], v[92:93] op_sel:[0,1]
	s_delay_alu instid0(VALU_DEP_1) | instskip(SKIP_1) | instid1(VALU_DEP_1)
	v_pk_fma_f32 v[104:105], v[102:103], v[90:91], v[100:101] op_sel:[0,0,1] op_sel_hi:[1,1,0] neg_lo:[0,0,1] neg_hi:[0,0,1]
	v_pk_fma_f32 v[100:101], v[102:103], v[90:91], v[100:101] op_sel:[0,0,1] op_sel_hi:[1,0,0]
	v_mov_b32_e32 v105, v101
	ds_load_2addr_b64 v[100:103], v94 offset0:22 offset1:23
	v_pk_add_f32 v[74:75], v[74:75], v[106:107] neg_lo:[0,1] neg_hi:[0,1]
	v_pk_add_f32 v[44:45], v[44:45], v[104:105] neg_lo:[0,1] neg_hi:[0,1]
	s_wait_dscnt 0x0
	v_pk_mul_f32 v[104:105], v[100:101], v[92:93] op_sel:[0,1]
	s_delay_alu instid0(VALU_DEP_1) | instskip(SKIP_1) | instid1(VALU_DEP_1)
	v_pk_fma_f32 v[106:107], v[100:101], v[90:91], v[104:105] op_sel:[0,0,1] op_sel_hi:[1,1,0] neg_lo:[0,0,1] neg_hi:[0,0,1]
	v_pk_fma_f32 v[100:101], v[100:101], v[90:91], v[104:105] op_sel:[0,0,1] op_sel_hi:[1,0,0]
	v_mov_b32_e32 v107, v101
	v_pk_mul_f32 v[100:101], v[102:103], v[92:93] op_sel:[0,1]
	s_delay_alu instid0(VALU_DEP_1) | instskip(SKIP_1) | instid1(VALU_DEP_1)
	v_pk_fma_f32 v[104:105], v[102:103], v[90:91], v[100:101] op_sel:[0,0,1] op_sel_hi:[1,1,0] neg_lo:[0,0,1] neg_hi:[0,0,1]
	v_pk_fma_f32 v[100:101], v[102:103], v[90:91], v[100:101] op_sel:[0,0,1] op_sel_hi:[1,0,0]
	v_mov_b32_e32 v105, v101
	ds_load_2addr_b64 v[100:103], v94 offset0:24 offset1:25
	v_pk_add_f32 v[46:47], v[46:47], v[106:107] neg_lo:[0,1] neg_hi:[0,1]
	v_pk_add_f32 v[42:43], v[42:43], v[104:105] neg_lo:[0,1] neg_hi:[0,1]
	s_wait_dscnt 0x0
	v_dual_mul_f32 v104, v101, v93 :: v_dual_mul_f32 v106, v101, v90
	s_delay_alu instid0(VALU_DEP_1) | instskip(NEXT) | instid1(VALU_DEP_2)
	v_pk_fma_f32 v[104:105], v[100:101], v[56:57], v[104:105] op_sel_hi:[1,1,0] neg_lo:[0,0,1] neg_hi:[0,0,1]
	v_pk_fma_f32 v[100:101], v[100:101], v[56:57], v[106:107] op_sel:[1,0,0] op_sel_hi:[0,1,0]
	s_delay_alu instid0(VALU_DEP_1) | instskip(SKIP_1) | instid1(VALU_DEP_2)
	v_mov_b32_e32 v105, v101
	v_pk_mul_f32 v[100:101], v[102:103], v[92:93] op_sel:[0,1]
	v_pk_add_f32 v[72:73], v[72:73], v[104:105] neg_lo:[0,1] neg_hi:[0,1]
	s_delay_alu instid0(VALU_DEP_2) | instskip(SKIP_1) | instid1(VALU_DEP_1)
	v_pk_fma_f32 v[104:105], v[102:103], v[90:91], v[100:101] op_sel:[0,0,1] op_sel_hi:[1,1,0] neg_lo:[0,0,1] neg_hi:[0,0,1]
	v_pk_fma_f32 v[100:101], v[102:103], v[90:91], v[100:101] op_sel:[0,0,1] op_sel_hi:[1,0,0]
	v_mov_b32_e32 v105, v101
	ds_load_2addr_b64 v[100:103], v94 offset0:26 offset1:27
	v_pk_add_f32 v[36:37], v[36:37], v[104:105] neg_lo:[0,1] neg_hi:[0,1]
	s_wait_dscnt 0x0
	v_pk_mul_f32 v[104:105], v[100:101], v[92:93] op_sel:[0,1]
	s_delay_alu instid0(VALU_DEP_1) | instskip(SKIP_1) | instid1(VALU_DEP_1)
	v_pk_fma_f32 v[106:107], v[100:101], v[90:91], v[104:105] op_sel:[0,0,1] op_sel_hi:[1,1,0] neg_lo:[0,0,1] neg_hi:[0,0,1]
	v_pk_fma_f32 v[100:101], v[100:101], v[90:91], v[104:105] op_sel:[0,0,1] op_sel_hi:[1,0,0]
	v_mov_b32_e32 v107, v101
	v_pk_mul_f32 v[100:101], v[102:103], v[92:93] op_sel:[0,1]
	s_delay_alu instid0(VALU_DEP_2) | instskip(NEXT) | instid1(VALU_DEP_2)
	v_pk_add_f32 v[38:39], v[38:39], v[106:107] neg_lo:[0,1] neg_hi:[0,1]
	v_pk_fma_f32 v[104:105], v[102:103], v[90:91], v[100:101] op_sel:[0,0,1] op_sel_hi:[1,1,0] neg_lo:[0,0,1] neg_hi:[0,0,1]
	v_pk_fma_f32 v[100:101], v[102:103], v[90:91], v[100:101] op_sel:[0,0,1] op_sel_hi:[1,0,0]
	s_delay_alu instid0(VALU_DEP_1) | instskip(SKIP_4) | instid1(VALU_DEP_1)
	v_mov_b32_e32 v105, v101
	ds_load_2addr_b64 v[100:103], v94 offset0:28 offset1:29
	v_pk_add_f32 v[34:35], v[34:35], v[104:105] neg_lo:[0,1] neg_hi:[0,1]
	s_wait_dscnt 0x0
	v_pk_mul_f32 v[104:105], v[100:101], v[92:93] op_sel:[0,1]
	v_pk_fma_f32 v[106:107], v[100:101], v[90:91], v[104:105] op_sel:[0,0,1] op_sel_hi:[1,1,0] neg_lo:[0,0,1] neg_hi:[0,0,1]
	v_pk_fma_f32 v[100:101], v[100:101], v[90:91], v[104:105] op_sel:[0,0,1] op_sel_hi:[1,0,0]
	v_dual_mul_f32 v104, v103, v93 :: v_dual_mov_b32 v100, v103
	s_delay_alu instid0(VALU_DEP_2) | instskip(NEXT) | instid1(VALU_DEP_2)
	v_dual_mov_b32 v107, v101 :: v_dual_mov_b32 v101, v102
	v_pk_fma_f32 v[104:105], v[102:103], v[56:57], v[104:105] op_sel_hi:[1,1,0] neg_lo:[0,0,1] neg_hi:[0,0,1]
	v_mul_f32_e32 v102, v103, v90
	s_delay_alu instid0(VALU_DEP_3) | instskip(NEXT) | instid1(VALU_DEP_2)
	v_pk_add_f32 v[70:71], v[70:71], v[106:107] neg_lo:[0,1] neg_hi:[0,1]
	v_pk_fma_f32 v[100:101], v[100:101], v[56:57], v[102:103] op_sel_hi:[1,1,0]
	s_delay_alu instid0(VALU_DEP_1) | instskip(SKIP_4) | instid1(VALU_DEP_1)
	v_mov_b32_e32 v105, v101
	ds_load_2addr_b64 v[100:103], v94 offset0:30 offset1:31
	v_pk_add_f32 v[30:31], v[30:31], v[104:105] neg_lo:[0,1] neg_hi:[0,1]
	s_wait_dscnt 0x0
	v_pk_mul_f32 v[104:105], v[100:101], v[92:93] op_sel:[0,1]
	v_pk_fma_f32 v[106:107], v[100:101], v[90:91], v[104:105] op_sel:[0,0,1] op_sel_hi:[1,1,0] neg_lo:[0,0,1] neg_hi:[0,0,1]
	v_pk_fma_f32 v[100:101], v[100:101], v[90:91], v[104:105] op_sel:[0,0,1] op_sel_hi:[1,0,0]
	s_delay_alu instid0(VALU_DEP_1) | instskip(SKIP_1) | instid1(VALU_DEP_1)
	v_mov_b32_e32 v107, v101
	v_pk_mul_f32 v[100:101], v[102:103], v[92:93] op_sel:[0,1]
	v_pk_fma_f32 v[104:105], v[102:103], v[90:91], v[100:101] op_sel:[0,0,1] op_sel_hi:[1,1,0] neg_lo:[0,0,1] neg_hi:[0,0,1]
	v_pk_fma_f32 v[100:101], v[102:103], v[90:91], v[100:101] op_sel:[0,0,1] op_sel_hi:[1,0,0]
	s_delay_alu instid0(VALU_DEP_1)
	v_mov_b32_e32 v105, v101
	ds_load_2addr_b64 v[100:103], v94 offset0:32 offset1:33
	v_pk_add_f32 v[32:33], v[32:33], v[106:107] neg_lo:[0,1] neg_hi:[0,1]
	v_pk_add_f32 v[28:29], v[28:29], v[104:105] neg_lo:[0,1] neg_hi:[0,1]
	s_wait_dscnt 0x0
	v_pk_mul_f32 v[104:105], v[100:101], v[92:93] op_sel:[0,1]
	s_delay_alu instid0(VALU_DEP_1) | instskip(SKIP_1) | instid1(VALU_DEP_1)
	v_pk_fma_f32 v[106:107], v[100:101], v[90:91], v[104:105] op_sel:[0,0,1] op_sel_hi:[1,1,0] neg_lo:[0,0,1] neg_hi:[0,0,1]
	v_pk_fma_f32 v[100:101], v[100:101], v[90:91], v[104:105] op_sel:[0,0,1] op_sel_hi:[1,0,0]
	v_mov_b32_e32 v107, v101
	v_pk_mul_f32 v[100:101], v[102:103], v[92:93] op_sel:[0,1]
	s_delay_alu instid0(VALU_DEP_1) | instskip(SKIP_1) | instid1(VALU_DEP_1)
	v_pk_fma_f32 v[104:105], v[102:103], v[90:91], v[100:101] op_sel:[0,0,1] op_sel_hi:[1,1,0] neg_lo:[0,0,1] neg_hi:[0,0,1]
	v_pk_fma_f32 v[100:101], v[102:103], v[90:91], v[100:101] op_sel:[0,0,1] op_sel_hi:[1,0,0]
	v_mov_b32_e32 v105, v101
	ds_load_2addr_b64 v[100:103], v94 offset0:34 offset1:35
	v_pk_add_f32 v[64:65], v[64:65], v[106:107] neg_lo:[0,1] neg_hi:[0,1]
	v_pk_add_f32 v[10:11], v[10:11], v[104:105] neg_lo:[0,1] neg_hi:[0,1]
	s_wait_dscnt 0x0
	v_dual_mul_f32 v104, v101, v93 :: v_dual_mul_f32 v106, v101, v90
	s_delay_alu instid0(VALU_DEP_1) | instskip(NEXT) | instid1(VALU_DEP_2)
	v_pk_fma_f32 v[104:105], v[100:101], v[56:57], v[104:105] op_sel_hi:[1,1,0] neg_lo:[0,0,1] neg_hi:[0,0,1]
	v_pk_fma_f32 v[100:101], v[100:101], v[56:57], v[106:107] op_sel:[1,0,0] op_sel_hi:[0,1,0]
	s_delay_alu instid0(VALU_DEP_1) | instskip(SKIP_1) | instid1(VALU_DEP_2)
	v_mov_b32_e32 v105, v101
	v_pk_mul_f32 v[100:101], v[102:103], v[92:93] op_sel:[0,1]
	v_pk_add_f32 v[12:13], v[12:13], v[104:105] neg_lo:[0,1] neg_hi:[0,1]
	s_delay_alu instid0(VALU_DEP_2) | instskip(SKIP_1) | instid1(VALU_DEP_1)
	v_pk_fma_f32 v[104:105], v[102:103], v[90:91], v[100:101] op_sel:[0,0,1] op_sel_hi:[1,1,0] neg_lo:[0,0,1] neg_hi:[0,0,1]
	v_pk_fma_f32 v[100:101], v[102:103], v[90:91], v[100:101] op_sel:[0,0,1] op_sel_hi:[1,0,0]
	v_mov_b32_e32 v105, v101
	ds_load_2addr_b64 v[100:103], v94 offset0:36 offset1:37
	v_pk_add_f32 v[8:9], v[8:9], v[104:105] neg_lo:[0,1] neg_hi:[0,1]
	s_wait_dscnt 0x0
	v_pk_mul_f32 v[104:105], v[100:101], v[92:93] op_sel:[0,1]
	s_delay_alu instid0(VALU_DEP_1) | instskip(SKIP_1) | instid1(VALU_DEP_1)
	v_pk_fma_f32 v[106:107], v[100:101], v[90:91], v[104:105] op_sel:[0,0,1] op_sel_hi:[1,1,0] neg_lo:[0,0,1] neg_hi:[0,0,1]
	v_pk_fma_f32 v[100:101], v[100:101], v[90:91], v[104:105] op_sel:[0,0,1] op_sel_hi:[1,0,0]
	v_mov_b32_e32 v107, v101
	v_pk_mul_f32 v[100:101], v[102:103], v[92:93] op_sel:[0,1]
	s_delay_alu instid0(VALU_DEP_2) | instskip(NEXT) | instid1(VALU_DEP_2)
	v_pk_add_f32 v[62:63], v[62:63], v[106:107] neg_lo:[0,1] neg_hi:[0,1]
	v_pk_fma_f32 v[104:105], v[102:103], v[90:91], v[100:101] op_sel:[0,0,1] op_sel_hi:[1,1,0] neg_lo:[0,0,1] neg_hi:[0,0,1]
	v_pk_fma_f32 v[100:101], v[102:103], v[90:91], v[100:101] op_sel:[0,0,1] op_sel_hi:[1,0,0]
	s_delay_alu instid0(VALU_DEP_1) | instskip(SKIP_4) | instid1(VALU_DEP_1)
	v_mov_b32_e32 v105, v101
	ds_load_2addr_b64 v[100:103], v94 offset0:38 offset1:39
	v_pk_add_f32 v[6:7], v[6:7], v[104:105] neg_lo:[0,1] neg_hi:[0,1]
	s_wait_dscnt 0x0
	v_pk_mul_f32 v[104:105], v[100:101], v[92:93] op_sel:[0,1]
	v_pk_fma_f32 v[106:107], v[100:101], v[90:91], v[104:105] op_sel:[0,0,1] op_sel_hi:[1,1,0] neg_lo:[0,0,1] neg_hi:[0,0,1]
	v_pk_fma_f32 v[100:101], v[100:101], v[90:91], v[104:105] op_sel:[0,0,1] op_sel_hi:[1,0,0]
	v_dual_mul_f32 v104, v103, v93 :: v_dual_mov_b32 v100, v103
	s_delay_alu instid0(VALU_DEP_2) | instskip(NEXT) | instid1(VALU_DEP_2)
	v_dual_mov_b32 v107, v101 :: v_dual_mov_b32 v101, v102
	v_pk_fma_f32 v[104:105], v[102:103], v[56:57], v[104:105] op_sel_hi:[1,1,0] neg_lo:[0,0,1] neg_hi:[0,0,1]
	v_mul_f32_e32 v102, v103, v90
	s_delay_alu instid0(VALU_DEP_3) | instskip(NEXT) | instid1(VALU_DEP_2)
	v_pk_add_f32 v[54:55], v[54:55], v[106:107] neg_lo:[0,1] neg_hi:[0,1]
	v_pk_fma_f32 v[100:101], v[100:101], v[56:57], v[102:103] op_sel_hi:[1,1,0]
	s_delay_alu instid0(VALU_DEP_1)
	v_mov_b32_e32 v105, v101
	ds_load_2addr_b64 v[100:103], v94 offset0:40 offset1:41
	v_pk_add_f32 v[40:41], v[40:41], v[104:105] neg_lo:[0,1] neg_hi:[0,1]
	s_wait_dscnt 0x0
	v_pk_mul_f32 v[104:105], v[100:101], v[92:93] op_sel:[0,1]
	v_pk_mul_f32 v[92:93], v[102:103], v[92:93] op_sel:[0,1]
	s_delay_alu instid0(VALU_DEP_2) | instskip(SKIP_1) | instid1(VALU_DEP_1)
	v_pk_fma_f32 v[106:107], v[100:101], v[90:91], v[104:105] op_sel:[0,0,1] op_sel_hi:[1,1,0] neg_lo:[0,0,1] neg_hi:[0,0,1]
	v_pk_fma_f32 v[100:101], v[100:101], v[90:91], v[104:105] op_sel:[0,0,1] op_sel_hi:[1,0,0]
	v_mov_b32_e32 v107, v101
	s_delay_alu instid0(VALU_DEP_4) | instskip(SKIP_1) | instid1(VALU_DEP_1)
	v_pk_fma_f32 v[100:101], v[102:103], v[90:91], v[92:93] op_sel:[0,0,1] op_sel_hi:[1,1,0] neg_lo:[0,0,1] neg_hi:[0,0,1]
	v_pk_fma_f32 v[90:91], v[102:103], v[90:91], v[92:93] op_sel:[0,0,1] op_sel_hi:[1,0,0]
	v_mov_b32_e32 v101, v91
	s_delay_alu instid0(VALU_DEP_4) | instskip(NEXT) | instid1(VALU_DEP_2)
	v_pk_add_f32 v[24:25], v[24:25], v[106:107] neg_lo:[0,1] neg_hi:[0,1]
	v_pk_add_f32 v[88:89], v[88:89], v[100:101] neg_lo:[0,1] neg_hi:[0,1]
.LBB82_335:
	s_or_b32 exec_lo, exec_lo, s0
	v_lshl_add_u32 v90, v98, 3, v94
	s_barrier_signal -1
	s_barrier_wait -1
	ds_store_b64 v90, v[76:77]
	s_wait_dscnt 0x0
	s_barrier_signal -1
	s_barrier_wait -1
	ds_load_b64 v[92:93], v94 offset:128
	v_mov_b32_e32 v90, 16
	s_cmp_lt_i32 s18, 18
	s_cbranch_scc1 .LBB82_338
; %bb.336:
	v_add3_u32 v91, v95, 0, 0x88
	v_mov_b32_e32 v90, 16
	s_mov_b32 s0, 17
.LBB82_337:                             ; =>This Inner Loop Header: Depth=1
	ds_load_b64 v[100:101], v91
	s_wait_dscnt 0x1
	v_cmp_gt_f32_e32 vcc_lo, 0, v92
	v_cndmask_b32_e64 v102, v92, -v92, vcc_lo
	v_cmp_gt_f32_e32 vcc_lo, 0, v93
	v_cndmask_b32_e64 v104, v93, -v93, vcc_lo
	s_wait_dscnt 0x0
	v_cmp_gt_f32_e32 vcc_lo, 0, v100
	v_cndmask_b32_e64 v103, v100, -v100, vcc_lo
	v_cmp_gt_f32_e32 vcc_lo, 0, v101
	v_cndmask_b32_e64 v105, v101, -v101, vcc_lo
	s_delay_alu instid0(VALU_DEP_1) | instskip(NEXT) | instid1(VALU_DEP_1)
	v_pk_add_f32 v[102:103], v[102:103], v[104:105]
	v_cmp_lt_f32_e32 vcc_lo, v102, v103
	v_dual_add_nc_u32 v91, 8, v91 :: v_dual_cndmask_b32 v93, v93, v101, vcc_lo
	v_cndmask_b32_e32 v92, v92, v100, vcc_lo
	v_cndmask_b32_e64 v90, v90, s0, vcc_lo
	s_add_co_i32 s0, s0, 1
	s_delay_alu instid0(SALU_CYCLE_1)
	s_cmp_lg_u32 s18, s0
	s_cbranch_scc1 .LBB82_337
.LBB82_338:
	s_wait_dscnt 0x0
	v_cmp_eq_f32_e32 vcc_lo, 0, v92
	v_cmp_eq_f32_e64 s0, 0, v93
	s_and_b32 s0, vcc_lo, s0
	s_delay_alu instid0(SALU_CYCLE_1) | instskip(NEXT) | instid1(SALU_CYCLE_1)
	s_and_saveexec_b32 s1, s0
	s_xor_b32 s0, exec_lo, s1
; %bb.339:
	v_cmp_ne_u32_e32 vcc_lo, 0, v96
	v_cndmask_b32_e32 v96, 17, v96, vcc_lo
; %bb.340:
	s_and_not1_saveexec_b32 s0, s0
	s_cbranch_execz .LBB82_346
; %bb.341:
	v_cmp_ngt_f32_e64 s1, |v92|, |v93|
	s_and_saveexec_b32 s12, s1
	s_delay_alu instid0(SALU_CYCLE_1)
	s_xor_b32 s1, exec_lo, s12
	s_cbranch_execz .LBB82_343
; %bb.342:
	v_div_scale_f32 v91, null, v93, v93, v92
	v_div_scale_f32 v101, vcc_lo, v92, v93, v92
	s_delay_alu instid0(VALU_DEP_2) | instskip(SKIP_1) | instid1(TRANS32_DEP_1)
	v_rcp_f32_e32 v99, v91
	v_nop
	v_fma_f32 v100, -v91, v99, 1.0
	s_delay_alu instid0(VALU_DEP_1) | instskip(NEXT) | instid1(VALU_DEP_1)
	v_fmac_f32_e32 v99, v100, v99
	v_mul_f32_e32 v100, v101, v99
	s_delay_alu instid0(VALU_DEP_1) | instskip(NEXT) | instid1(VALU_DEP_1)
	v_fma_f32 v102, -v91, v100, v101
	v_fmac_f32_e32 v100, v102, v99
	s_delay_alu instid0(VALU_DEP_1) | instskip(NEXT) | instid1(VALU_DEP_1)
	v_fma_f32 v91, -v91, v100, v101
	v_div_fmas_f32 v91, v91, v99, v100
	s_delay_alu instid0(VALU_DEP_1) | instskip(NEXT) | instid1(VALU_DEP_1)
	v_div_fixup_f32 v91, v91, v93, v92
	v_fmac_f32_e32 v93, v92, v91
	s_delay_alu instid0(VALU_DEP_1) | instskip(SKIP_1) | instid1(VALU_DEP_2)
	v_div_scale_f32 v92, null, v93, v93, 1.0
	v_div_scale_f32 v101, vcc_lo, 1.0, v93, 1.0
	v_rcp_f32_e32 v99, v92
	v_nop
	s_delay_alu instid0(TRANS32_DEP_1) | instskip(NEXT) | instid1(VALU_DEP_1)
	v_fma_f32 v100, -v92, v99, 1.0
	v_fmac_f32_e32 v99, v100, v99
	s_delay_alu instid0(VALU_DEP_1) | instskip(NEXT) | instid1(VALU_DEP_1)
	v_mul_f32_e32 v100, v101, v99
	v_fma_f32 v102, -v92, v100, v101
	s_delay_alu instid0(VALU_DEP_1) | instskip(NEXT) | instid1(VALU_DEP_1)
	v_fmac_f32_e32 v100, v102, v99
	v_fma_f32 v92, -v92, v100, v101
	s_delay_alu instid0(VALU_DEP_1) | instskip(NEXT) | instid1(VALU_DEP_1)
	v_div_fmas_f32 v92, v92, v99, v100
	v_div_fixup_f32 v93, v92, v93, 1.0
	s_delay_alu instid0(VALU_DEP_1)
	v_mul_f32_e32 v92, v91, v93
	v_xor_b32_e32 v93, 0x80000000, v93
.LBB82_343:
	s_and_not1_saveexec_b32 s1, s1
	s_cbranch_execz .LBB82_345
; %bb.344:
	s_delay_alu instid0(VALU_DEP_1) | instskip(SKIP_1) | instid1(VALU_DEP_2)
	v_div_scale_f32 v91, null, v92, v92, v93
	v_div_scale_f32 v101, vcc_lo, v93, v92, v93
	v_rcp_f32_e32 v99, v91
	v_nop
	s_delay_alu instid0(TRANS32_DEP_1) | instskip(NEXT) | instid1(VALU_DEP_1)
	v_fma_f32 v100, -v91, v99, 1.0
	v_fmac_f32_e32 v99, v100, v99
	s_delay_alu instid0(VALU_DEP_1) | instskip(NEXT) | instid1(VALU_DEP_1)
	v_mul_f32_e32 v100, v101, v99
	v_fma_f32 v102, -v91, v100, v101
	s_delay_alu instid0(VALU_DEP_1) | instskip(NEXT) | instid1(VALU_DEP_1)
	v_fmac_f32_e32 v100, v102, v99
	v_fma_f32 v91, -v91, v100, v101
	s_delay_alu instid0(VALU_DEP_1) | instskip(NEXT) | instid1(VALU_DEP_1)
	v_div_fmas_f32 v91, v91, v99, v100
	v_div_fixup_f32 v91, v91, v92, v93
	s_delay_alu instid0(VALU_DEP_1) | instskip(NEXT) | instid1(VALU_DEP_1)
	v_fmac_f32_e32 v92, v93, v91
	v_div_scale_f32 v93, null, v92, v92, 1.0
	s_delay_alu instid0(VALU_DEP_1) | instskip(SKIP_1) | instid1(TRANS32_DEP_1)
	v_rcp_f32_e32 v99, v93
	v_nop
	v_fma_f32 v100, -v93, v99, 1.0
	s_delay_alu instid0(VALU_DEP_1) | instskip(SKIP_1) | instid1(VALU_DEP_1)
	v_fmac_f32_e32 v99, v100, v99
	v_div_scale_f32 v100, vcc_lo, 1.0, v92, 1.0
	v_mul_f32_e32 v101, v100, v99
	s_delay_alu instid0(VALU_DEP_1) | instskip(NEXT) | instid1(VALU_DEP_1)
	v_fma_f32 v102, -v93, v101, v100
	v_fmac_f32_e32 v101, v102, v99
	s_delay_alu instid0(VALU_DEP_1) | instskip(NEXT) | instid1(VALU_DEP_1)
	v_fma_f32 v93, -v93, v101, v100
	v_div_fmas_f32 v93, v93, v99, v101
	s_delay_alu instid0(VALU_DEP_1) | instskip(NEXT) | instid1(VALU_DEP_1)
	v_div_fixup_f32 v92, v93, v92, 1.0
	v_mul_f32_e64 v93, v91, -v92
.LBB82_345:
	s_or_b32 exec_lo, exec_lo, s1
.LBB82_346:
	s_delay_alu instid0(SALU_CYCLE_1) | instskip(NEXT) | instid1(SALU_CYCLE_1)
	s_or_b32 exec_lo, exec_lo, s0
	s_mov_b32 s0, exec_lo
	v_cmpx_ne_u32_e64 v98, v90
	s_xor_b32 s0, exec_lo, s0
	s_cbranch_execz .LBB82_352
; %bb.347:
	s_mov_b32 s1, exec_lo
	v_cmpx_eq_u32_e32 16, v98
	s_cbranch_execz .LBB82_351
; %bb.348:
	v_cmp_ne_u32_e32 vcc_lo, 16, v90
	s_xor_b32 s12, s16, -1
	s_delay_alu instid0(SALU_CYCLE_1) | instskip(NEXT) | instid1(SALU_CYCLE_1)
	s_and_b32 s13, s12, vcc_lo
	s_and_saveexec_b32 s12, s13
	s_cbranch_execz .LBB82_350
; %bb.349:
	v_ashrrev_i32_e32 v91, 31, v90
	s_delay_alu instid0(VALU_DEP_1)
	v_lshl_add_u64 v[98:99], v[90:91], 2, v[4:5]
	s_clause 0x1
	global_load_b32 v91, v[98:99], off
	global_load_b32 v97, v[4:5], off offset:64
	s_wait_loadcnt 0x1
	global_store_b32 v[4:5], v91, off offset:64
	s_wait_loadcnt 0x0
	global_store_b32 v[98:99], v97, off
.LBB82_350:
	s_wait_xcnt 0x0
	s_or_b32 exec_lo, exec_lo, s12
	v_dual_mov_b32 v98, v90 :: v_dual_mov_b32 v97, v90
.LBB82_351:
	s_or_b32 exec_lo, exec_lo, s1
.LBB82_352:
	s_and_not1_saveexec_b32 s0, s0
	s_cbranch_execz .LBB82_354
; %bb.353:
	v_mov_b32_e32 v98, 16
	ds_store_2addr_b64 v94, v[50:51], v[52:53] offset0:17 offset1:18
	ds_store_2addr_b64 v94, v[48:49], v[74:75] offset0:19 offset1:20
	;; [unrolled: 1-line block ×12, first 2 shown]
	ds_store_b64 v94, v[88:89] offset:328
.LBB82_354:
	s_or_b32 exec_lo, exec_lo, s0
	s_delay_alu instid0(SALU_CYCLE_1)
	s_mov_b32 s0, exec_lo
	s_wait_storecnt_dscnt 0x0
	s_barrier_signal -1
	s_barrier_wait -1
	v_cmpx_lt_i32_e32 16, v98
	s_cbranch_execz .LBB82_356
; %bb.355:
	v_pk_mul_f32 v[100:101], v[92:93], v[76:77] op_sel:[1,1] op_sel_hi:[0,1]
	s_delay_alu instid0(VALU_DEP_1)
	v_pk_fma_f32 v[90:91], v[92:93], v[76:77], v[100:101] op_sel_hi:[1,0,1] neg_lo:[0,0,1] neg_hi:[0,0,1]
	v_pk_fma_f32 v[92:93], v[92:93], v[76:77], v[100:101] op_sel_hi:[1,0,1]
	ds_load_2addr_b64 v[100:103], v94 offset0:17 offset1:18
	v_dual_mov_b32 v76, v90 :: v_dual_mov_b32 v77, v93
	s_wait_dscnt 0x0
	v_pk_mul_f32 v[104:105], v[100:101], v[92:93] op_sel:[0,1]
	s_delay_alu instid0(VALU_DEP_1) | instskip(SKIP_1) | instid1(VALU_DEP_1)
	v_pk_fma_f32 v[106:107], v[100:101], v[90:91], v[104:105] op_sel:[0,0,1] op_sel_hi:[1,1,0] neg_lo:[0,0,1] neg_hi:[0,0,1]
	v_pk_fma_f32 v[100:101], v[100:101], v[90:91], v[104:105] op_sel:[0,0,1] op_sel_hi:[1,0,0]
	v_mov_b32_e32 v107, v101
	v_pk_mul_f32 v[100:101], v[102:103], v[92:93] op_sel:[0,1]
	s_delay_alu instid0(VALU_DEP_1) | instskip(SKIP_1) | instid1(VALU_DEP_1)
	v_pk_fma_f32 v[104:105], v[102:103], v[90:91], v[100:101] op_sel:[0,0,1] op_sel_hi:[1,1,0] neg_lo:[0,0,1] neg_hi:[0,0,1]
	v_pk_fma_f32 v[100:101], v[102:103], v[90:91], v[100:101] op_sel:[0,0,1] op_sel_hi:[1,0,0]
	v_mov_b32_e32 v105, v101
	ds_load_2addr_b64 v[100:103], v94 offset0:19 offset1:20
	v_pk_add_f32 v[50:51], v[50:51], v[106:107] neg_lo:[0,1] neg_hi:[0,1]
	v_pk_add_f32 v[52:53], v[52:53], v[104:105] neg_lo:[0,1] neg_hi:[0,1]
	s_wait_dscnt 0x0
	v_pk_mul_f32 v[104:105], v[100:101], v[92:93] op_sel:[0,1]
	s_delay_alu instid0(VALU_DEP_1) | instskip(SKIP_2) | instid1(VALU_DEP_2)
	v_pk_fma_f32 v[106:107], v[100:101], v[90:91], v[104:105] op_sel:[0,0,1] op_sel_hi:[1,1,0] neg_lo:[0,0,1] neg_hi:[0,0,1]
	v_pk_fma_f32 v[100:101], v[100:101], v[90:91], v[104:105] op_sel:[0,0,1] op_sel_hi:[1,0,0]
	v_dual_mul_f32 v104, v103, v93 :: v_dual_mov_b32 v100, v103
	v_dual_mov_b32 v107, v101 :: v_dual_mov_b32 v101, v102
	s_delay_alu instid0(VALU_DEP_2) | instskip(SKIP_1) | instid1(VALU_DEP_3)
	v_pk_fma_f32 v[104:105], v[102:103], v[76:77], v[104:105] op_sel_hi:[1,1,0] neg_lo:[0,0,1] neg_hi:[0,0,1]
	v_mul_f32_e32 v102, v103, v90
	v_pk_add_f32 v[48:49], v[48:49], v[106:107] neg_lo:[0,1] neg_hi:[0,1]
	s_delay_alu instid0(VALU_DEP_2) | instskip(NEXT) | instid1(VALU_DEP_1)
	v_pk_fma_f32 v[100:101], v[100:101], v[76:77], v[102:103] op_sel_hi:[1,1,0]
	v_mov_b32_e32 v105, v101
	ds_load_2addr_b64 v[100:103], v94 offset0:21 offset1:22
	v_pk_add_f32 v[74:75], v[74:75], v[104:105] neg_lo:[0,1] neg_hi:[0,1]
	s_wait_dscnt 0x0
	v_pk_mul_f32 v[104:105], v[100:101], v[92:93] op_sel:[0,1]
	s_delay_alu instid0(VALU_DEP_1) | instskip(SKIP_1) | instid1(VALU_DEP_1)
	v_pk_fma_f32 v[106:107], v[100:101], v[90:91], v[104:105] op_sel:[0,0,1] op_sel_hi:[1,1,0] neg_lo:[0,0,1] neg_hi:[0,0,1]
	v_pk_fma_f32 v[100:101], v[100:101], v[90:91], v[104:105] op_sel:[0,0,1] op_sel_hi:[1,0,0]
	v_mov_b32_e32 v107, v101
	v_pk_mul_f32 v[100:101], v[102:103], v[92:93] op_sel:[0,1]
	s_delay_alu instid0(VALU_DEP_1) | instskip(SKIP_1) | instid1(VALU_DEP_1)
	v_pk_fma_f32 v[104:105], v[102:103], v[90:91], v[100:101] op_sel:[0,0,1] op_sel_hi:[1,1,0] neg_lo:[0,0,1] neg_hi:[0,0,1]
	v_pk_fma_f32 v[100:101], v[102:103], v[90:91], v[100:101] op_sel:[0,0,1] op_sel_hi:[1,0,0]
	v_mov_b32_e32 v105, v101
	ds_load_2addr_b64 v[100:103], v94 offset0:23 offset1:24
	v_pk_add_f32 v[44:45], v[44:45], v[106:107] neg_lo:[0,1] neg_hi:[0,1]
	v_pk_add_f32 v[46:47], v[46:47], v[104:105] neg_lo:[0,1] neg_hi:[0,1]
	s_wait_dscnt 0x0
	v_pk_mul_f32 v[104:105], v[100:101], v[92:93] op_sel:[0,1]
	s_delay_alu instid0(VALU_DEP_1) | instskip(SKIP_1) | instid1(VALU_DEP_1)
	v_pk_fma_f32 v[106:107], v[100:101], v[90:91], v[104:105] op_sel:[0,0,1] op_sel_hi:[1,1,0] neg_lo:[0,0,1] neg_hi:[0,0,1]
	v_pk_fma_f32 v[100:101], v[100:101], v[90:91], v[104:105] op_sel:[0,0,1] op_sel_hi:[1,0,0]
	v_mov_b32_e32 v107, v101
	v_pk_mul_f32 v[100:101], v[102:103], v[92:93] op_sel:[0,1]
	s_delay_alu instid0(VALU_DEP_1) | instskip(SKIP_1) | instid1(VALU_DEP_1)
	v_pk_fma_f32 v[104:105], v[102:103], v[90:91], v[100:101] op_sel:[0,0,1] op_sel_hi:[1,1,0] neg_lo:[0,0,1] neg_hi:[0,0,1]
	v_pk_fma_f32 v[100:101], v[102:103], v[90:91], v[100:101] op_sel:[0,0,1] op_sel_hi:[1,0,0]
	v_mov_b32_e32 v105, v101
	ds_load_2addr_b64 v[100:103], v94 offset0:25 offset1:26
	v_pk_add_f32 v[42:43], v[42:43], v[106:107] neg_lo:[0,1] neg_hi:[0,1]
	v_pk_add_f32 v[72:73], v[72:73], v[104:105] neg_lo:[0,1] neg_hi:[0,1]
	s_wait_dscnt 0x0
	v_dual_mul_f32 v104, v101, v93 :: v_dual_mul_f32 v106, v101, v90
	s_delay_alu instid0(VALU_DEP_1) | instskip(NEXT) | instid1(VALU_DEP_2)
	v_pk_fma_f32 v[104:105], v[100:101], v[76:77], v[104:105] op_sel_hi:[1,1,0] neg_lo:[0,0,1] neg_hi:[0,0,1]
	v_pk_fma_f32 v[100:101], v[100:101], v[76:77], v[106:107] op_sel:[1,0,0] op_sel_hi:[0,1,0]
	s_delay_alu instid0(VALU_DEP_1) | instskip(SKIP_1) | instid1(VALU_DEP_2)
	v_mov_b32_e32 v105, v101
	v_pk_mul_f32 v[100:101], v[102:103], v[92:93] op_sel:[0,1]
	v_pk_add_f32 v[36:37], v[36:37], v[104:105] neg_lo:[0,1] neg_hi:[0,1]
	s_delay_alu instid0(VALU_DEP_2) | instskip(SKIP_1) | instid1(VALU_DEP_1)
	v_pk_fma_f32 v[104:105], v[102:103], v[90:91], v[100:101] op_sel:[0,0,1] op_sel_hi:[1,1,0] neg_lo:[0,0,1] neg_hi:[0,0,1]
	v_pk_fma_f32 v[100:101], v[102:103], v[90:91], v[100:101] op_sel:[0,0,1] op_sel_hi:[1,0,0]
	v_mov_b32_e32 v105, v101
	ds_load_2addr_b64 v[100:103], v94 offset0:27 offset1:28
	v_pk_add_f32 v[38:39], v[38:39], v[104:105] neg_lo:[0,1] neg_hi:[0,1]
	s_wait_dscnt 0x0
	v_pk_mul_f32 v[104:105], v[100:101], v[92:93] op_sel:[0,1]
	s_delay_alu instid0(VALU_DEP_1) | instskip(SKIP_1) | instid1(VALU_DEP_1)
	v_pk_fma_f32 v[106:107], v[100:101], v[90:91], v[104:105] op_sel:[0,0,1] op_sel_hi:[1,1,0] neg_lo:[0,0,1] neg_hi:[0,0,1]
	v_pk_fma_f32 v[100:101], v[100:101], v[90:91], v[104:105] op_sel:[0,0,1] op_sel_hi:[1,0,0]
	v_mov_b32_e32 v107, v101
	v_pk_mul_f32 v[100:101], v[102:103], v[92:93] op_sel:[0,1]
	s_delay_alu instid0(VALU_DEP_2) | instskip(NEXT) | instid1(VALU_DEP_2)
	v_pk_add_f32 v[34:35], v[34:35], v[106:107] neg_lo:[0,1] neg_hi:[0,1]
	v_pk_fma_f32 v[104:105], v[102:103], v[90:91], v[100:101] op_sel:[0,0,1] op_sel_hi:[1,1,0] neg_lo:[0,0,1] neg_hi:[0,0,1]
	v_pk_fma_f32 v[100:101], v[102:103], v[90:91], v[100:101] op_sel:[0,0,1] op_sel_hi:[1,0,0]
	s_delay_alu instid0(VALU_DEP_1) | instskip(SKIP_4) | instid1(VALU_DEP_1)
	v_mov_b32_e32 v105, v101
	ds_load_2addr_b64 v[100:103], v94 offset0:29 offset1:30
	v_pk_add_f32 v[70:71], v[70:71], v[104:105] neg_lo:[0,1] neg_hi:[0,1]
	s_wait_dscnt 0x0
	v_pk_mul_f32 v[104:105], v[100:101], v[92:93] op_sel:[0,1]
	v_pk_fma_f32 v[106:107], v[100:101], v[90:91], v[104:105] op_sel:[0,0,1] op_sel_hi:[1,1,0] neg_lo:[0,0,1] neg_hi:[0,0,1]
	v_pk_fma_f32 v[100:101], v[100:101], v[90:91], v[104:105] op_sel:[0,0,1] op_sel_hi:[1,0,0]
	v_dual_mul_f32 v104, v103, v93 :: v_dual_mov_b32 v100, v103
	s_delay_alu instid0(VALU_DEP_2) | instskip(NEXT) | instid1(VALU_DEP_2)
	v_dual_mov_b32 v107, v101 :: v_dual_mov_b32 v101, v102
	v_pk_fma_f32 v[104:105], v[102:103], v[76:77], v[104:105] op_sel_hi:[1,1,0] neg_lo:[0,0,1] neg_hi:[0,0,1]
	v_mul_f32_e32 v102, v103, v90
	s_delay_alu instid0(VALU_DEP_3) | instskip(NEXT) | instid1(VALU_DEP_2)
	v_pk_add_f32 v[30:31], v[30:31], v[106:107] neg_lo:[0,1] neg_hi:[0,1]
	v_pk_fma_f32 v[100:101], v[100:101], v[76:77], v[102:103] op_sel_hi:[1,1,0]
	s_delay_alu instid0(VALU_DEP_1) | instskip(SKIP_4) | instid1(VALU_DEP_1)
	v_mov_b32_e32 v105, v101
	ds_load_2addr_b64 v[100:103], v94 offset0:31 offset1:32
	v_pk_add_f32 v[32:33], v[32:33], v[104:105] neg_lo:[0,1] neg_hi:[0,1]
	s_wait_dscnt 0x0
	v_pk_mul_f32 v[104:105], v[100:101], v[92:93] op_sel:[0,1]
	v_pk_fma_f32 v[106:107], v[100:101], v[90:91], v[104:105] op_sel:[0,0,1] op_sel_hi:[1,1,0] neg_lo:[0,0,1] neg_hi:[0,0,1]
	v_pk_fma_f32 v[100:101], v[100:101], v[90:91], v[104:105] op_sel:[0,0,1] op_sel_hi:[1,0,0]
	s_delay_alu instid0(VALU_DEP_1) | instskip(SKIP_1) | instid1(VALU_DEP_1)
	v_mov_b32_e32 v107, v101
	v_pk_mul_f32 v[100:101], v[102:103], v[92:93] op_sel:[0,1]
	v_pk_fma_f32 v[104:105], v[102:103], v[90:91], v[100:101] op_sel:[0,0,1] op_sel_hi:[1,1,0] neg_lo:[0,0,1] neg_hi:[0,0,1]
	v_pk_fma_f32 v[100:101], v[102:103], v[90:91], v[100:101] op_sel:[0,0,1] op_sel_hi:[1,0,0]
	s_delay_alu instid0(VALU_DEP_1)
	v_mov_b32_e32 v105, v101
	ds_load_2addr_b64 v[100:103], v94 offset0:33 offset1:34
	v_pk_add_f32 v[28:29], v[28:29], v[106:107] neg_lo:[0,1] neg_hi:[0,1]
	v_pk_add_f32 v[64:65], v[64:65], v[104:105] neg_lo:[0,1] neg_hi:[0,1]
	s_wait_dscnt 0x0
	v_pk_mul_f32 v[104:105], v[100:101], v[92:93] op_sel:[0,1]
	s_delay_alu instid0(VALU_DEP_1) | instskip(SKIP_1) | instid1(VALU_DEP_1)
	v_pk_fma_f32 v[106:107], v[100:101], v[90:91], v[104:105] op_sel:[0,0,1] op_sel_hi:[1,1,0] neg_lo:[0,0,1] neg_hi:[0,0,1]
	v_pk_fma_f32 v[100:101], v[100:101], v[90:91], v[104:105] op_sel:[0,0,1] op_sel_hi:[1,0,0]
	v_mov_b32_e32 v107, v101
	v_pk_mul_f32 v[100:101], v[102:103], v[92:93] op_sel:[0,1]
	s_delay_alu instid0(VALU_DEP_1) | instskip(SKIP_1) | instid1(VALU_DEP_1)
	v_pk_fma_f32 v[104:105], v[102:103], v[90:91], v[100:101] op_sel:[0,0,1] op_sel_hi:[1,1,0] neg_lo:[0,0,1] neg_hi:[0,0,1]
	v_pk_fma_f32 v[100:101], v[102:103], v[90:91], v[100:101] op_sel:[0,0,1] op_sel_hi:[1,0,0]
	v_mov_b32_e32 v105, v101
	ds_load_2addr_b64 v[100:103], v94 offset0:35 offset1:36
	v_pk_add_f32 v[10:11], v[10:11], v[106:107] neg_lo:[0,1] neg_hi:[0,1]
	v_pk_add_f32 v[12:13], v[12:13], v[104:105] neg_lo:[0,1] neg_hi:[0,1]
	s_wait_dscnt 0x0
	v_dual_mul_f32 v104, v101, v93 :: v_dual_mul_f32 v106, v101, v90
	s_delay_alu instid0(VALU_DEP_1) | instskip(NEXT) | instid1(VALU_DEP_2)
	v_pk_fma_f32 v[104:105], v[100:101], v[76:77], v[104:105] op_sel_hi:[1,1,0] neg_lo:[0,0,1] neg_hi:[0,0,1]
	v_pk_fma_f32 v[100:101], v[100:101], v[76:77], v[106:107] op_sel:[1,0,0] op_sel_hi:[0,1,0]
	s_delay_alu instid0(VALU_DEP_1) | instskip(SKIP_1) | instid1(VALU_DEP_2)
	v_mov_b32_e32 v105, v101
	v_pk_mul_f32 v[100:101], v[102:103], v[92:93] op_sel:[0,1]
	v_pk_add_f32 v[8:9], v[8:9], v[104:105] neg_lo:[0,1] neg_hi:[0,1]
	s_delay_alu instid0(VALU_DEP_2) | instskip(SKIP_1) | instid1(VALU_DEP_1)
	v_pk_fma_f32 v[104:105], v[102:103], v[90:91], v[100:101] op_sel:[0,0,1] op_sel_hi:[1,1,0] neg_lo:[0,0,1] neg_hi:[0,0,1]
	v_pk_fma_f32 v[100:101], v[102:103], v[90:91], v[100:101] op_sel:[0,0,1] op_sel_hi:[1,0,0]
	v_mov_b32_e32 v105, v101
	ds_load_2addr_b64 v[100:103], v94 offset0:37 offset1:38
	v_pk_add_f32 v[62:63], v[62:63], v[104:105] neg_lo:[0,1] neg_hi:[0,1]
	s_wait_dscnt 0x0
	v_pk_mul_f32 v[104:105], v[100:101], v[92:93] op_sel:[0,1]
	s_delay_alu instid0(VALU_DEP_1) | instskip(SKIP_1) | instid1(VALU_DEP_1)
	v_pk_fma_f32 v[106:107], v[100:101], v[90:91], v[104:105] op_sel:[0,0,1] op_sel_hi:[1,1,0] neg_lo:[0,0,1] neg_hi:[0,0,1]
	v_pk_fma_f32 v[100:101], v[100:101], v[90:91], v[104:105] op_sel:[0,0,1] op_sel_hi:[1,0,0]
	v_mov_b32_e32 v107, v101
	v_pk_mul_f32 v[100:101], v[102:103], v[92:93] op_sel:[0,1]
	s_delay_alu instid0(VALU_DEP_2) | instskip(NEXT) | instid1(VALU_DEP_2)
	v_pk_add_f32 v[6:7], v[6:7], v[106:107] neg_lo:[0,1] neg_hi:[0,1]
	v_pk_fma_f32 v[104:105], v[102:103], v[90:91], v[100:101] op_sel:[0,0,1] op_sel_hi:[1,1,0] neg_lo:[0,0,1] neg_hi:[0,0,1]
	v_pk_fma_f32 v[100:101], v[102:103], v[90:91], v[100:101] op_sel:[0,0,1] op_sel_hi:[1,0,0]
	s_delay_alu instid0(VALU_DEP_1) | instskip(SKIP_4) | instid1(VALU_DEP_1)
	v_mov_b32_e32 v105, v101
	ds_load_2addr_b64 v[100:103], v94 offset0:39 offset1:40
	v_pk_add_f32 v[54:55], v[54:55], v[104:105] neg_lo:[0,1] neg_hi:[0,1]
	s_wait_dscnt 0x0
	v_pk_mul_f32 v[104:105], v[100:101], v[92:93] op_sel:[0,1]
	v_pk_fma_f32 v[106:107], v[100:101], v[90:91], v[104:105] op_sel:[0,0,1] op_sel_hi:[1,1,0] neg_lo:[0,0,1] neg_hi:[0,0,1]
	v_pk_fma_f32 v[100:101], v[100:101], v[90:91], v[104:105] op_sel:[0,0,1] op_sel_hi:[1,0,0]
	v_dual_mul_f32 v104, v103, v93 :: v_dual_mov_b32 v100, v103
	s_delay_alu instid0(VALU_DEP_2) | instskip(NEXT) | instid1(VALU_DEP_2)
	v_dual_mov_b32 v107, v101 :: v_dual_mov_b32 v101, v102
	v_pk_fma_f32 v[104:105], v[102:103], v[76:77], v[104:105] op_sel_hi:[1,1,0] neg_lo:[0,0,1] neg_hi:[0,0,1]
	v_mul_f32_e32 v102, v103, v90
	s_delay_alu instid0(VALU_DEP_3) | instskip(NEXT) | instid1(VALU_DEP_2)
	v_pk_add_f32 v[40:41], v[40:41], v[106:107] neg_lo:[0,1] neg_hi:[0,1]
	v_pk_fma_f32 v[100:101], v[100:101], v[76:77], v[102:103] op_sel_hi:[1,1,0]
	s_delay_alu instid0(VALU_DEP_1) | instskip(SKIP_4) | instid1(VALU_DEP_1)
	v_mov_b32_e32 v105, v101
	ds_load_b64 v[100:101], v94 offset:328
	v_pk_add_f32 v[24:25], v[24:25], v[104:105] neg_lo:[0,1] neg_hi:[0,1]
	s_wait_dscnt 0x0
	v_pk_mul_f32 v[92:93], v[100:101], v[92:93] op_sel:[0,1]
	v_pk_fma_f32 v[102:103], v[100:101], v[90:91], v[92:93] op_sel:[0,0,1] op_sel_hi:[1,1,0] neg_lo:[0,0,1] neg_hi:[0,0,1]
	v_pk_fma_f32 v[90:91], v[100:101], v[90:91], v[92:93] op_sel:[0,0,1] op_sel_hi:[1,0,0]
	s_delay_alu instid0(VALU_DEP_1) | instskip(NEXT) | instid1(VALU_DEP_1)
	v_mov_b32_e32 v103, v91
	v_pk_add_f32 v[88:89], v[88:89], v[102:103] neg_lo:[0,1] neg_hi:[0,1]
.LBB82_356:
	s_or_b32 exec_lo, exec_lo, s0
	v_lshl_add_u32 v90, v98, 3, v94
	s_barrier_signal -1
	s_barrier_wait -1
	ds_store_b64 v90, v[50:51]
	s_wait_dscnt 0x0
	s_barrier_signal -1
	s_barrier_wait -1
	ds_load_b64 v[92:93], v94 offset:136
	v_mov_b32_e32 v90, 17
	s_cmp_lt_i32 s18, 19
	s_cbranch_scc1 .LBB82_359
; %bb.357:
	v_add3_u32 v91, v95, 0, 0x90
	v_mov_b32_e32 v90, 17
	s_mov_b32 s0, 18
.LBB82_358:                             ; =>This Inner Loop Header: Depth=1
	ds_load_b64 v[100:101], v91
	s_wait_dscnt 0x1
	v_cmp_gt_f32_e32 vcc_lo, 0, v92
	v_cndmask_b32_e64 v102, v92, -v92, vcc_lo
	v_cmp_gt_f32_e32 vcc_lo, 0, v93
	v_cndmask_b32_e64 v104, v93, -v93, vcc_lo
	s_wait_dscnt 0x0
	v_cmp_gt_f32_e32 vcc_lo, 0, v100
	v_cndmask_b32_e64 v103, v100, -v100, vcc_lo
	v_cmp_gt_f32_e32 vcc_lo, 0, v101
	v_cndmask_b32_e64 v105, v101, -v101, vcc_lo
	s_delay_alu instid0(VALU_DEP_1) | instskip(NEXT) | instid1(VALU_DEP_1)
	v_pk_add_f32 v[102:103], v[102:103], v[104:105]
	v_cmp_lt_f32_e32 vcc_lo, v102, v103
	v_dual_add_nc_u32 v91, 8, v91 :: v_dual_cndmask_b32 v93, v93, v101, vcc_lo
	v_cndmask_b32_e32 v92, v92, v100, vcc_lo
	v_cndmask_b32_e64 v90, v90, s0, vcc_lo
	s_add_co_i32 s0, s0, 1
	s_delay_alu instid0(SALU_CYCLE_1)
	s_cmp_lg_u32 s18, s0
	s_cbranch_scc1 .LBB82_358
.LBB82_359:
	s_wait_dscnt 0x0
	v_cmp_eq_f32_e32 vcc_lo, 0, v92
	v_cmp_eq_f32_e64 s0, 0, v93
	s_and_b32 s0, vcc_lo, s0
	s_delay_alu instid0(SALU_CYCLE_1) | instskip(NEXT) | instid1(SALU_CYCLE_1)
	s_and_saveexec_b32 s1, s0
	s_xor_b32 s0, exec_lo, s1
; %bb.360:
	v_cmp_ne_u32_e32 vcc_lo, 0, v96
	v_cndmask_b32_e32 v96, 18, v96, vcc_lo
; %bb.361:
	s_and_not1_saveexec_b32 s0, s0
	s_cbranch_execz .LBB82_367
; %bb.362:
	v_cmp_ngt_f32_e64 s1, |v92|, |v93|
	s_and_saveexec_b32 s12, s1
	s_delay_alu instid0(SALU_CYCLE_1)
	s_xor_b32 s1, exec_lo, s12
	s_cbranch_execz .LBB82_364
; %bb.363:
	v_div_scale_f32 v91, null, v93, v93, v92
	v_div_scale_f32 v101, vcc_lo, v92, v93, v92
	s_delay_alu instid0(VALU_DEP_2) | instskip(SKIP_1) | instid1(TRANS32_DEP_1)
	v_rcp_f32_e32 v99, v91
	v_nop
	v_fma_f32 v100, -v91, v99, 1.0
	s_delay_alu instid0(VALU_DEP_1) | instskip(NEXT) | instid1(VALU_DEP_1)
	v_fmac_f32_e32 v99, v100, v99
	v_mul_f32_e32 v100, v101, v99
	s_delay_alu instid0(VALU_DEP_1) | instskip(NEXT) | instid1(VALU_DEP_1)
	v_fma_f32 v102, -v91, v100, v101
	v_fmac_f32_e32 v100, v102, v99
	s_delay_alu instid0(VALU_DEP_1) | instskip(NEXT) | instid1(VALU_DEP_1)
	v_fma_f32 v91, -v91, v100, v101
	v_div_fmas_f32 v91, v91, v99, v100
	s_delay_alu instid0(VALU_DEP_1) | instskip(NEXT) | instid1(VALU_DEP_1)
	v_div_fixup_f32 v91, v91, v93, v92
	v_fmac_f32_e32 v93, v92, v91
	s_delay_alu instid0(VALU_DEP_1) | instskip(SKIP_1) | instid1(VALU_DEP_2)
	v_div_scale_f32 v92, null, v93, v93, 1.0
	v_div_scale_f32 v101, vcc_lo, 1.0, v93, 1.0
	v_rcp_f32_e32 v99, v92
	v_nop
	s_delay_alu instid0(TRANS32_DEP_1) | instskip(NEXT) | instid1(VALU_DEP_1)
	v_fma_f32 v100, -v92, v99, 1.0
	v_fmac_f32_e32 v99, v100, v99
	s_delay_alu instid0(VALU_DEP_1) | instskip(NEXT) | instid1(VALU_DEP_1)
	v_mul_f32_e32 v100, v101, v99
	v_fma_f32 v102, -v92, v100, v101
	s_delay_alu instid0(VALU_DEP_1) | instskip(NEXT) | instid1(VALU_DEP_1)
	v_fmac_f32_e32 v100, v102, v99
	v_fma_f32 v92, -v92, v100, v101
	s_delay_alu instid0(VALU_DEP_1) | instskip(NEXT) | instid1(VALU_DEP_1)
	v_div_fmas_f32 v92, v92, v99, v100
	v_div_fixup_f32 v93, v92, v93, 1.0
	s_delay_alu instid0(VALU_DEP_1)
	v_mul_f32_e32 v92, v91, v93
	v_xor_b32_e32 v93, 0x80000000, v93
.LBB82_364:
	s_and_not1_saveexec_b32 s1, s1
	s_cbranch_execz .LBB82_366
; %bb.365:
	s_delay_alu instid0(VALU_DEP_1) | instskip(SKIP_1) | instid1(VALU_DEP_2)
	v_div_scale_f32 v91, null, v92, v92, v93
	v_div_scale_f32 v101, vcc_lo, v93, v92, v93
	v_rcp_f32_e32 v99, v91
	v_nop
	s_delay_alu instid0(TRANS32_DEP_1) | instskip(NEXT) | instid1(VALU_DEP_1)
	v_fma_f32 v100, -v91, v99, 1.0
	v_fmac_f32_e32 v99, v100, v99
	s_delay_alu instid0(VALU_DEP_1) | instskip(NEXT) | instid1(VALU_DEP_1)
	v_mul_f32_e32 v100, v101, v99
	v_fma_f32 v102, -v91, v100, v101
	s_delay_alu instid0(VALU_DEP_1) | instskip(NEXT) | instid1(VALU_DEP_1)
	v_fmac_f32_e32 v100, v102, v99
	v_fma_f32 v91, -v91, v100, v101
	s_delay_alu instid0(VALU_DEP_1) | instskip(NEXT) | instid1(VALU_DEP_1)
	v_div_fmas_f32 v91, v91, v99, v100
	v_div_fixup_f32 v91, v91, v92, v93
	s_delay_alu instid0(VALU_DEP_1) | instskip(NEXT) | instid1(VALU_DEP_1)
	v_fmac_f32_e32 v92, v93, v91
	v_div_scale_f32 v93, null, v92, v92, 1.0
	s_delay_alu instid0(VALU_DEP_1) | instskip(SKIP_1) | instid1(TRANS32_DEP_1)
	v_rcp_f32_e32 v99, v93
	v_nop
	v_fma_f32 v100, -v93, v99, 1.0
	s_delay_alu instid0(VALU_DEP_1) | instskip(SKIP_1) | instid1(VALU_DEP_1)
	v_fmac_f32_e32 v99, v100, v99
	v_div_scale_f32 v100, vcc_lo, 1.0, v92, 1.0
	v_mul_f32_e32 v101, v100, v99
	s_delay_alu instid0(VALU_DEP_1) | instskip(NEXT) | instid1(VALU_DEP_1)
	v_fma_f32 v102, -v93, v101, v100
	v_fmac_f32_e32 v101, v102, v99
	s_delay_alu instid0(VALU_DEP_1) | instskip(NEXT) | instid1(VALU_DEP_1)
	v_fma_f32 v93, -v93, v101, v100
	v_div_fmas_f32 v93, v93, v99, v101
	s_delay_alu instid0(VALU_DEP_1) | instskip(NEXT) | instid1(VALU_DEP_1)
	v_div_fixup_f32 v92, v93, v92, 1.0
	v_mul_f32_e64 v93, v91, -v92
.LBB82_366:
	s_or_b32 exec_lo, exec_lo, s1
.LBB82_367:
	s_delay_alu instid0(SALU_CYCLE_1) | instskip(NEXT) | instid1(SALU_CYCLE_1)
	s_or_b32 exec_lo, exec_lo, s0
	s_mov_b32 s0, exec_lo
	v_cmpx_ne_u32_e64 v98, v90
	s_xor_b32 s0, exec_lo, s0
	s_cbranch_execz .LBB82_373
; %bb.368:
	s_mov_b32 s1, exec_lo
	v_cmpx_eq_u32_e32 17, v98
	s_cbranch_execz .LBB82_372
; %bb.369:
	v_cmp_ne_u32_e32 vcc_lo, 17, v90
	s_xor_b32 s12, s16, -1
	s_delay_alu instid0(SALU_CYCLE_1) | instskip(NEXT) | instid1(SALU_CYCLE_1)
	s_and_b32 s13, s12, vcc_lo
	s_and_saveexec_b32 s12, s13
	s_cbranch_execz .LBB82_371
; %bb.370:
	v_ashrrev_i32_e32 v91, 31, v90
	s_delay_alu instid0(VALU_DEP_1)
	v_lshl_add_u64 v[98:99], v[90:91], 2, v[4:5]
	s_clause 0x1
	global_load_b32 v91, v[98:99], off
	global_load_b32 v97, v[4:5], off offset:68
	s_wait_loadcnt 0x1
	global_store_b32 v[4:5], v91, off offset:68
	s_wait_loadcnt 0x0
	global_store_b32 v[98:99], v97, off
.LBB82_371:
	s_wait_xcnt 0x0
	s_or_b32 exec_lo, exec_lo, s12
	v_dual_mov_b32 v98, v90 :: v_dual_mov_b32 v97, v90
.LBB82_372:
	s_or_b32 exec_lo, exec_lo, s1
.LBB82_373:
	s_and_not1_saveexec_b32 s0, s0
	s_cbranch_execz .LBB82_375
; %bb.374:
	v_dual_mov_b32 v90, v52 :: v_dual_mov_b32 v91, v53
	v_dual_mov_b32 v98, v48 :: v_dual_mov_b32 v99, v49
	ds_store_2addr_b64 v94, v[90:91], v[98:99] offset0:18 offset1:19
	v_dual_mov_b32 v90, v74 :: v_dual_mov_b32 v91, v75
	v_dual_mov_b32 v98, v44 :: v_dual_mov_b32 v99, v45
	ds_store_2addr_b64 v94, v[90:91], v[98:99] offset0:20 offset1:21
	v_dual_mov_b32 v90, v46 :: v_dual_mov_b32 v91, v47
	v_dual_mov_b32 v98, v42 :: v_dual_mov_b32 v99, v43
	ds_store_2addr_b64 v94, v[90:91], v[98:99] offset0:22 offset1:23
	v_dual_mov_b32 v90, v72 :: v_dual_mov_b32 v91, v73
	v_dual_mov_b32 v98, v36 :: v_dual_mov_b32 v99, v37
	ds_store_2addr_b64 v94, v[90:91], v[98:99] offset0:24 offset1:25
	v_dual_mov_b32 v90, v38 :: v_dual_mov_b32 v91, v39
	v_dual_mov_b32 v98, v34 :: v_dual_mov_b32 v99, v35
	ds_store_2addr_b64 v94, v[90:91], v[98:99] offset0:26 offset1:27
	v_dual_mov_b32 v90, v70 :: v_dual_mov_b32 v91, v71
	v_dual_mov_b32 v98, v30 :: v_dual_mov_b32 v99, v31
	ds_store_2addr_b64 v94, v[90:91], v[98:99] offset0:28 offset1:29
	v_dual_mov_b32 v90, v32 :: v_dual_mov_b32 v91, v33
	v_dual_mov_b32 v98, v28 :: v_dual_mov_b32 v99, v29
	ds_store_2addr_b64 v94, v[90:91], v[98:99] offset0:30 offset1:31
	v_dual_mov_b32 v90, v64 :: v_dual_mov_b32 v91, v65
	v_dual_mov_b32 v98, v10 :: v_dual_mov_b32 v99, v11
	ds_store_2addr_b64 v94, v[90:91], v[98:99] offset0:32 offset1:33
	v_dual_mov_b32 v90, v12 :: v_dual_mov_b32 v91, v13
	v_dual_mov_b32 v98, v8 :: v_dual_mov_b32 v99, v9
	ds_store_2addr_b64 v94, v[90:91], v[98:99] offset0:34 offset1:35
	v_dual_mov_b32 v90, v62 :: v_dual_mov_b32 v91, v63
	v_dual_mov_b32 v98, v6 :: v_dual_mov_b32 v99, v7
	ds_store_2addr_b64 v94, v[90:91], v[98:99] offset0:36 offset1:37
	v_dual_mov_b32 v90, v54 :: v_dual_mov_b32 v91, v55
	v_dual_mov_b32 v98, v40 :: v_dual_mov_b32 v99, v41
	ds_store_2addr_b64 v94, v[90:91], v[98:99] offset0:38 offset1:39
	v_dual_mov_b32 v90, v24 :: v_dual_mov_b32 v91, v25
	v_mov_b32_e32 v98, 17
	ds_store_2addr_b64 v94, v[90:91], v[88:89] offset0:40 offset1:41
.LBB82_375:
	s_or_b32 exec_lo, exec_lo, s0
	s_delay_alu instid0(SALU_CYCLE_1)
	s_mov_b32 s0, exec_lo
	s_wait_storecnt_dscnt 0x0
	s_barrier_signal -1
	s_barrier_wait -1
	v_cmpx_lt_i32_e32 17, v98
	s_cbranch_execz .LBB82_377
; %bb.376:
	v_pk_mul_f32 v[100:101], v[92:93], v[50:51] op_sel:[1,1] op_sel_hi:[0,1]
	s_delay_alu instid0(VALU_DEP_1)
	v_pk_fma_f32 v[90:91], v[92:93], v[50:51], v[100:101] op_sel_hi:[1,0,1] neg_lo:[0,0,1] neg_hi:[0,0,1]
	v_pk_fma_f32 v[92:93], v[92:93], v[50:51], v[100:101] op_sel_hi:[1,0,1]
	ds_load_2addr_b64 v[100:103], v94 offset0:18 offset1:19
	v_dual_mov_b32 v50, v90 :: v_dual_mov_b32 v51, v93
	s_wait_dscnt 0x0
	v_pk_mul_f32 v[104:105], v[100:101], v[92:93] op_sel:[0,1]
	s_delay_alu instid0(VALU_DEP_1) | instskip(SKIP_1) | instid1(VALU_DEP_1)
	v_pk_fma_f32 v[106:107], v[100:101], v[90:91], v[104:105] op_sel:[0,0,1] op_sel_hi:[1,1,0] neg_lo:[0,0,1] neg_hi:[0,0,1]
	v_pk_fma_f32 v[100:101], v[100:101], v[90:91], v[104:105] op_sel:[0,0,1] op_sel_hi:[1,0,0]
	v_mov_b32_e32 v107, v101
	v_pk_mul_f32 v[100:101], v[102:103], v[92:93] op_sel:[0,1]
	s_delay_alu instid0(VALU_DEP_1) | instskip(SKIP_1) | instid1(VALU_DEP_1)
	v_pk_fma_f32 v[104:105], v[102:103], v[90:91], v[100:101] op_sel:[0,0,1] op_sel_hi:[1,1,0] neg_lo:[0,0,1] neg_hi:[0,0,1]
	v_pk_fma_f32 v[100:101], v[102:103], v[90:91], v[100:101] op_sel:[0,0,1] op_sel_hi:[1,0,0]
	v_mov_b32_e32 v105, v101
	ds_load_2addr_b64 v[100:103], v94 offset0:20 offset1:21
	v_pk_add_f32 v[52:53], v[52:53], v[106:107] neg_lo:[0,1] neg_hi:[0,1]
	v_pk_add_f32 v[48:49], v[48:49], v[104:105] neg_lo:[0,1] neg_hi:[0,1]
	s_wait_dscnt 0x0
	v_pk_mul_f32 v[104:105], v[100:101], v[92:93] op_sel:[0,1]
	s_delay_alu instid0(VALU_DEP_1) | instskip(SKIP_2) | instid1(VALU_DEP_2)
	v_pk_fma_f32 v[106:107], v[100:101], v[90:91], v[104:105] op_sel:[0,0,1] op_sel_hi:[1,1,0] neg_lo:[0,0,1] neg_hi:[0,0,1]
	v_pk_fma_f32 v[100:101], v[100:101], v[90:91], v[104:105] op_sel:[0,0,1] op_sel_hi:[1,0,0]
	v_dual_mul_f32 v104, v103, v93 :: v_dual_mov_b32 v100, v103
	v_dual_mov_b32 v107, v101 :: v_dual_mov_b32 v101, v102
	s_delay_alu instid0(VALU_DEP_2) | instskip(SKIP_1) | instid1(VALU_DEP_3)
	v_pk_fma_f32 v[104:105], v[102:103], v[50:51], v[104:105] op_sel_hi:[1,1,0] neg_lo:[0,0,1] neg_hi:[0,0,1]
	v_mul_f32_e32 v102, v103, v90
	v_pk_add_f32 v[74:75], v[74:75], v[106:107] neg_lo:[0,1] neg_hi:[0,1]
	s_delay_alu instid0(VALU_DEP_2) | instskip(NEXT) | instid1(VALU_DEP_1)
	v_pk_fma_f32 v[100:101], v[100:101], v[50:51], v[102:103] op_sel_hi:[1,1,0]
	v_mov_b32_e32 v105, v101
	ds_load_2addr_b64 v[100:103], v94 offset0:22 offset1:23
	v_pk_add_f32 v[44:45], v[44:45], v[104:105] neg_lo:[0,1] neg_hi:[0,1]
	s_wait_dscnt 0x0
	v_pk_mul_f32 v[104:105], v[100:101], v[92:93] op_sel:[0,1]
	s_delay_alu instid0(VALU_DEP_1) | instskip(SKIP_1) | instid1(VALU_DEP_1)
	v_pk_fma_f32 v[106:107], v[100:101], v[90:91], v[104:105] op_sel:[0,0,1] op_sel_hi:[1,1,0] neg_lo:[0,0,1] neg_hi:[0,0,1]
	v_pk_fma_f32 v[100:101], v[100:101], v[90:91], v[104:105] op_sel:[0,0,1] op_sel_hi:[1,0,0]
	v_mov_b32_e32 v107, v101
	v_pk_mul_f32 v[100:101], v[102:103], v[92:93] op_sel:[0,1]
	s_delay_alu instid0(VALU_DEP_1) | instskip(SKIP_1) | instid1(VALU_DEP_1)
	v_pk_fma_f32 v[104:105], v[102:103], v[90:91], v[100:101] op_sel:[0,0,1] op_sel_hi:[1,1,0] neg_lo:[0,0,1] neg_hi:[0,0,1]
	v_pk_fma_f32 v[100:101], v[102:103], v[90:91], v[100:101] op_sel:[0,0,1] op_sel_hi:[1,0,0]
	v_mov_b32_e32 v105, v101
	ds_load_2addr_b64 v[100:103], v94 offset0:24 offset1:25
	v_pk_add_f32 v[46:47], v[46:47], v[106:107] neg_lo:[0,1] neg_hi:[0,1]
	v_pk_add_f32 v[42:43], v[42:43], v[104:105] neg_lo:[0,1] neg_hi:[0,1]
	s_wait_dscnt 0x0
	v_pk_mul_f32 v[104:105], v[100:101], v[92:93] op_sel:[0,1]
	s_delay_alu instid0(VALU_DEP_1) | instskip(SKIP_1) | instid1(VALU_DEP_1)
	v_pk_fma_f32 v[106:107], v[100:101], v[90:91], v[104:105] op_sel:[0,0,1] op_sel_hi:[1,1,0] neg_lo:[0,0,1] neg_hi:[0,0,1]
	v_pk_fma_f32 v[100:101], v[100:101], v[90:91], v[104:105] op_sel:[0,0,1] op_sel_hi:[1,0,0]
	v_mov_b32_e32 v107, v101
	v_pk_mul_f32 v[100:101], v[102:103], v[92:93] op_sel:[0,1]
	s_delay_alu instid0(VALU_DEP_1) | instskip(SKIP_1) | instid1(VALU_DEP_1)
	v_pk_fma_f32 v[104:105], v[102:103], v[90:91], v[100:101] op_sel:[0,0,1] op_sel_hi:[1,1,0] neg_lo:[0,0,1] neg_hi:[0,0,1]
	v_pk_fma_f32 v[100:101], v[102:103], v[90:91], v[100:101] op_sel:[0,0,1] op_sel_hi:[1,0,0]
	v_mov_b32_e32 v105, v101
	ds_load_2addr_b64 v[100:103], v94 offset0:26 offset1:27
	v_pk_add_f32 v[72:73], v[72:73], v[106:107] neg_lo:[0,1] neg_hi:[0,1]
	v_pk_add_f32 v[36:37], v[36:37], v[104:105] neg_lo:[0,1] neg_hi:[0,1]
	s_wait_dscnt 0x0
	v_dual_mul_f32 v104, v101, v93 :: v_dual_mul_f32 v106, v101, v90
	s_delay_alu instid0(VALU_DEP_1) | instskip(NEXT) | instid1(VALU_DEP_2)
	v_pk_fma_f32 v[104:105], v[100:101], v[50:51], v[104:105] op_sel_hi:[1,1,0] neg_lo:[0,0,1] neg_hi:[0,0,1]
	v_pk_fma_f32 v[100:101], v[100:101], v[50:51], v[106:107] op_sel:[1,0,0] op_sel_hi:[0,1,0]
	s_delay_alu instid0(VALU_DEP_1) | instskip(SKIP_1) | instid1(VALU_DEP_2)
	v_mov_b32_e32 v105, v101
	v_pk_mul_f32 v[100:101], v[102:103], v[92:93] op_sel:[0,1]
	v_pk_add_f32 v[38:39], v[38:39], v[104:105] neg_lo:[0,1] neg_hi:[0,1]
	s_delay_alu instid0(VALU_DEP_2) | instskip(SKIP_1) | instid1(VALU_DEP_1)
	v_pk_fma_f32 v[104:105], v[102:103], v[90:91], v[100:101] op_sel:[0,0,1] op_sel_hi:[1,1,0] neg_lo:[0,0,1] neg_hi:[0,0,1]
	v_pk_fma_f32 v[100:101], v[102:103], v[90:91], v[100:101] op_sel:[0,0,1] op_sel_hi:[1,0,0]
	v_mov_b32_e32 v105, v101
	ds_load_2addr_b64 v[100:103], v94 offset0:28 offset1:29
	v_pk_add_f32 v[34:35], v[34:35], v[104:105] neg_lo:[0,1] neg_hi:[0,1]
	s_wait_dscnt 0x0
	v_pk_mul_f32 v[104:105], v[100:101], v[92:93] op_sel:[0,1]
	s_delay_alu instid0(VALU_DEP_1) | instskip(SKIP_1) | instid1(VALU_DEP_1)
	v_pk_fma_f32 v[106:107], v[100:101], v[90:91], v[104:105] op_sel:[0,0,1] op_sel_hi:[1,1,0] neg_lo:[0,0,1] neg_hi:[0,0,1]
	v_pk_fma_f32 v[100:101], v[100:101], v[90:91], v[104:105] op_sel:[0,0,1] op_sel_hi:[1,0,0]
	v_mov_b32_e32 v107, v101
	v_pk_mul_f32 v[100:101], v[102:103], v[92:93] op_sel:[0,1]
	s_delay_alu instid0(VALU_DEP_2) | instskip(NEXT) | instid1(VALU_DEP_2)
	v_pk_add_f32 v[70:71], v[70:71], v[106:107] neg_lo:[0,1] neg_hi:[0,1]
	v_pk_fma_f32 v[104:105], v[102:103], v[90:91], v[100:101] op_sel:[0,0,1] op_sel_hi:[1,1,0] neg_lo:[0,0,1] neg_hi:[0,0,1]
	v_pk_fma_f32 v[100:101], v[102:103], v[90:91], v[100:101] op_sel:[0,0,1] op_sel_hi:[1,0,0]
	s_delay_alu instid0(VALU_DEP_1) | instskip(SKIP_4) | instid1(VALU_DEP_1)
	v_mov_b32_e32 v105, v101
	ds_load_2addr_b64 v[100:103], v94 offset0:30 offset1:31
	v_pk_add_f32 v[30:31], v[30:31], v[104:105] neg_lo:[0,1] neg_hi:[0,1]
	s_wait_dscnt 0x0
	v_pk_mul_f32 v[104:105], v[100:101], v[92:93] op_sel:[0,1]
	v_pk_fma_f32 v[106:107], v[100:101], v[90:91], v[104:105] op_sel:[0,0,1] op_sel_hi:[1,1,0] neg_lo:[0,0,1] neg_hi:[0,0,1]
	v_pk_fma_f32 v[100:101], v[100:101], v[90:91], v[104:105] op_sel:[0,0,1] op_sel_hi:[1,0,0]
	v_dual_mul_f32 v104, v103, v93 :: v_dual_mov_b32 v100, v103
	s_delay_alu instid0(VALU_DEP_2) | instskip(NEXT) | instid1(VALU_DEP_2)
	v_dual_mov_b32 v107, v101 :: v_dual_mov_b32 v101, v102
	v_pk_fma_f32 v[104:105], v[102:103], v[50:51], v[104:105] op_sel_hi:[1,1,0] neg_lo:[0,0,1] neg_hi:[0,0,1]
	v_mul_f32_e32 v102, v103, v90
	s_delay_alu instid0(VALU_DEP_3) | instskip(NEXT) | instid1(VALU_DEP_2)
	v_pk_add_f32 v[32:33], v[32:33], v[106:107] neg_lo:[0,1] neg_hi:[0,1]
	v_pk_fma_f32 v[100:101], v[100:101], v[50:51], v[102:103] op_sel_hi:[1,1,0]
	s_delay_alu instid0(VALU_DEP_1) | instskip(SKIP_4) | instid1(VALU_DEP_1)
	v_mov_b32_e32 v105, v101
	ds_load_2addr_b64 v[100:103], v94 offset0:32 offset1:33
	v_pk_add_f32 v[28:29], v[28:29], v[104:105] neg_lo:[0,1] neg_hi:[0,1]
	s_wait_dscnt 0x0
	v_pk_mul_f32 v[104:105], v[100:101], v[92:93] op_sel:[0,1]
	v_pk_fma_f32 v[106:107], v[100:101], v[90:91], v[104:105] op_sel:[0,0,1] op_sel_hi:[1,1,0] neg_lo:[0,0,1] neg_hi:[0,0,1]
	v_pk_fma_f32 v[100:101], v[100:101], v[90:91], v[104:105] op_sel:[0,0,1] op_sel_hi:[1,0,0]
	s_delay_alu instid0(VALU_DEP_1) | instskip(SKIP_1) | instid1(VALU_DEP_1)
	v_mov_b32_e32 v107, v101
	v_pk_mul_f32 v[100:101], v[102:103], v[92:93] op_sel:[0,1]
	v_pk_fma_f32 v[104:105], v[102:103], v[90:91], v[100:101] op_sel:[0,0,1] op_sel_hi:[1,1,0] neg_lo:[0,0,1] neg_hi:[0,0,1]
	v_pk_fma_f32 v[100:101], v[102:103], v[90:91], v[100:101] op_sel:[0,0,1] op_sel_hi:[1,0,0]
	s_delay_alu instid0(VALU_DEP_1)
	v_mov_b32_e32 v105, v101
	ds_load_2addr_b64 v[100:103], v94 offset0:34 offset1:35
	v_pk_add_f32 v[64:65], v[64:65], v[106:107] neg_lo:[0,1] neg_hi:[0,1]
	v_pk_add_f32 v[10:11], v[10:11], v[104:105] neg_lo:[0,1] neg_hi:[0,1]
	s_wait_dscnt 0x0
	v_pk_mul_f32 v[104:105], v[100:101], v[92:93] op_sel:[0,1]
	s_delay_alu instid0(VALU_DEP_1) | instskip(SKIP_1) | instid1(VALU_DEP_1)
	v_pk_fma_f32 v[106:107], v[100:101], v[90:91], v[104:105] op_sel:[0,0,1] op_sel_hi:[1,1,0] neg_lo:[0,0,1] neg_hi:[0,0,1]
	v_pk_fma_f32 v[100:101], v[100:101], v[90:91], v[104:105] op_sel:[0,0,1] op_sel_hi:[1,0,0]
	v_mov_b32_e32 v107, v101
	v_pk_mul_f32 v[100:101], v[102:103], v[92:93] op_sel:[0,1]
	s_delay_alu instid0(VALU_DEP_1) | instskip(SKIP_1) | instid1(VALU_DEP_1)
	v_pk_fma_f32 v[104:105], v[102:103], v[90:91], v[100:101] op_sel:[0,0,1] op_sel_hi:[1,1,0] neg_lo:[0,0,1] neg_hi:[0,0,1]
	v_pk_fma_f32 v[100:101], v[102:103], v[90:91], v[100:101] op_sel:[0,0,1] op_sel_hi:[1,0,0]
	v_mov_b32_e32 v105, v101
	ds_load_2addr_b64 v[100:103], v94 offset0:36 offset1:37
	v_pk_add_f32 v[12:13], v[12:13], v[106:107] neg_lo:[0,1] neg_hi:[0,1]
	v_pk_add_f32 v[8:9], v[8:9], v[104:105] neg_lo:[0,1] neg_hi:[0,1]
	s_wait_dscnt 0x0
	v_dual_mul_f32 v104, v101, v93 :: v_dual_mul_f32 v106, v101, v90
	s_delay_alu instid0(VALU_DEP_1) | instskip(NEXT) | instid1(VALU_DEP_2)
	v_pk_fma_f32 v[104:105], v[100:101], v[50:51], v[104:105] op_sel_hi:[1,1,0] neg_lo:[0,0,1] neg_hi:[0,0,1]
	v_pk_fma_f32 v[100:101], v[100:101], v[50:51], v[106:107] op_sel:[1,0,0] op_sel_hi:[0,1,0]
	s_delay_alu instid0(VALU_DEP_1) | instskip(SKIP_1) | instid1(VALU_DEP_2)
	v_mov_b32_e32 v105, v101
	v_pk_mul_f32 v[100:101], v[102:103], v[92:93] op_sel:[0,1]
	v_pk_add_f32 v[62:63], v[62:63], v[104:105] neg_lo:[0,1] neg_hi:[0,1]
	s_delay_alu instid0(VALU_DEP_2) | instskip(SKIP_1) | instid1(VALU_DEP_1)
	v_pk_fma_f32 v[104:105], v[102:103], v[90:91], v[100:101] op_sel:[0,0,1] op_sel_hi:[1,1,0] neg_lo:[0,0,1] neg_hi:[0,0,1]
	v_pk_fma_f32 v[100:101], v[102:103], v[90:91], v[100:101] op_sel:[0,0,1] op_sel_hi:[1,0,0]
	v_mov_b32_e32 v105, v101
	ds_load_2addr_b64 v[100:103], v94 offset0:38 offset1:39
	v_pk_add_f32 v[6:7], v[6:7], v[104:105] neg_lo:[0,1] neg_hi:[0,1]
	s_wait_dscnt 0x0
	v_pk_mul_f32 v[104:105], v[100:101], v[92:93] op_sel:[0,1]
	s_delay_alu instid0(VALU_DEP_1) | instskip(SKIP_1) | instid1(VALU_DEP_1)
	v_pk_fma_f32 v[106:107], v[100:101], v[90:91], v[104:105] op_sel:[0,0,1] op_sel_hi:[1,1,0] neg_lo:[0,0,1] neg_hi:[0,0,1]
	v_pk_fma_f32 v[100:101], v[100:101], v[90:91], v[104:105] op_sel:[0,0,1] op_sel_hi:[1,0,0]
	v_mov_b32_e32 v107, v101
	v_pk_mul_f32 v[100:101], v[102:103], v[92:93] op_sel:[0,1]
	s_delay_alu instid0(VALU_DEP_2) | instskip(NEXT) | instid1(VALU_DEP_2)
	v_pk_add_f32 v[54:55], v[54:55], v[106:107] neg_lo:[0,1] neg_hi:[0,1]
	v_pk_fma_f32 v[104:105], v[102:103], v[90:91], v[100:101] op_sel:[0,0,1] op_sel_hi:[1,1,0] neg_lo:[0,0,1] neg_hi:[0,0,1]
	v_pk_fma_f32 v[100:101], v[102:103], v[90:91], v[100:101] op_sel:[0,0,1] op_sel_hi:[1,0,0]
	s_delay_alu instid0(VALU_DEP_1)
	v_mov_b32_e32 v105, v101
	ds_load_2addr_b64 v[100:103], v94 offset0:40 offset1:41
	v_pk_add_f32 v[40:41], v[40:41], v[104:105] neg_lo:[0,1] neg_hi:[0,1]
	s_wait_dscnt 0x0
	v_pk_mul_f32 v[104:105], v[100:101], v[92:93] op_sel:[0,1]
	v_mul_f32_e32 v92, v103, v93
	s_delay_alu instid0(VALU_DEP_2) | instskip(SKIP_2) | instid1(VALU_DEP_4)
	v_pk_fma_f32 v[106:107], v[100:101], v[90:91], v[104:105] op_sel:[0,0,1] op_sel_hi:[1,1,0] neg_lo:[0,0,1] neg_hi:[0,0,1]
	v_pk_fma_f32 v[100:101], v[100:101], v[90:91], v[104:105] op_sel:[0,0,1] op_sel_hi:[1,0,0]
	v_dual_mov_b32 v100, v103 :: v_dual_mul_f32 v90, v103, v90
	v_pk_fma_f32 v[92:93], v[102:103], v[50:51], v[92:93] op_sel_hi:[1,1,0] neg_lo:[0,0,1] neg_hi:[0,0,1]
	s_delay_alu instid0(VALU_DEP_3) | instskip(NEXT) | instid1(VALU_DEP_1)
	v_dual_mov_b32 v107, v101 :: v_dual_mov_b32 v101, v102
	v_pk_add_f32 v[24:25], v[24:25], v[106:107] neg_lo:[0,1] neg_hi:[0,1]
	s_delay_alu instid0(VALU_DEP_2) | instskip(NEXT) | instid1(VALU_DEP_1)
	v_pk_fma_f32 v[90:91], v[100:101], v[50:51], v[90:91] op_sel_hi:[1,1,0]
	v_mov_b32_e32 v93, v91
	s_delay_alu instid0(VALU_DEP_1)
	v_pk_add_f32 v[88:89], v[88:89], v[92:93] neg_lo:[0,1] neg_hi:[0,1]
.LBB82_377:
	s_or_b32 exec_lo, exec_lo, s0
	v_lshl_add_u32 v90, v98, 3, v94
	s_barrier_signal -1
	s_barrier_wait -1
	ds_store_b64 v90, v[52:53]
	s_wait_dscnt 0x0
	s_barrier_signal -1
	s_barrier_wait -1
	ds_load_b64 v[92:93], v94 offset:144
	v_mov_b32_e32 v90, 18
	s_cmp_lt_i32 s18, 20
	s_cbranch_scc1 .LBB82_380
; %bb.378:
	v_add3_u32 v91, v95, 0, 0x98
	v_mov_b32_e32 v90, 18
	s_mov_b32 s0, 19
.LBB82_379:                             ; =>This Inner Loop Header: Depth=1
	ds_load_b64 v[100:101], v91
	s_wait_dscnt 0x1
	v_cmp_gt_f32_e32 vcc_lo, 0, v92
	v_cndmask_b32_e64 v102, v92, -v92, vcc_lo
	v_cmp_gt_f32_e32 vcc_lo, 0, v93
	v_cndmask_b32_e64 v104, v93, -v93, vcc_lo
	s_wait_dscnt 0x0
	v_cmp_gt_f32_e32 vcc_lo, 0, v100
	v_cndmask_b32_e64 v103, v100, -v100, vcc_lo
	v_cmp_gt_f32_e32 vcc_lo, 0, v101
	v_cndmask_b32_e64 v105, v101, -v101, vcc_lo
	s_delay_alu instid0(VALU_DEP_1) | instskip(NEXT) | instid1(VALU_DEP_1)
	v_pk_add_f32 v[102:103], v[102:103], v[104:105]
	v_cmp_lt_f32_e32 vcc_lo, v102, v103
	v_dual_add_nc_u32 v91, 8, v91 :: v_dual_cndmask_b32 v93, v93, v101, vcc_lo
	v_cndmask_b32_e32 v92, v92, v100, vcc_lo
	v_cndmask_b32_e64 v90, v90, s0, vcc_lo
	s_add_co_i32 s0, s0, 1
	s_delay_alu instid0(SALU_CYCLE_1)
	s_cmp_lg_u32 s18, s0
	s_cbranch_scc1 .LBB82_379
.LBB82_380:
	s_wait_dscnt 0x0
	v_cmp_eq_f32_e32 vcc_lo, 0, v92
	v_cmp_eq_f32_e64 s0, 0, v93
	s_and_b32 s0, vcc_lo, s0
	s_delay_alu instid0(SALU_CYCLE_1) | instskip(NEXT) | instid1(SALU_CYCLE_1)
	s_and_saveexec_b32 s1, s0
	s_xor_b32 s0, exec_lo, s1
; %bb.381:
	v_cmp_ne_u32_e32 vcc_lo, 0, v96
	v_cndmask_b32_e32 v96, 19, v96, vcc_lo
; %bb.382:
	s_and_not1_saveexec_b32 s0, s0
	s_cbranch_execz .LBB82_388
; %bb.383:
	v_cmp_ngt_f32_e64 s1, |v92|, |v93|
	s_and_saveexec_b32 s12, s1
	s_delay_alu instid0(SALU_CYCLE_1)
	s_xor_b32 s1, exec_lo, s12
	s_cbranch_execz .LBB82_385
; %bb.384:
	v_div_scale_f32 v91, null, v93, v93, v92
	v_div_scale_f32 v101, vcc_lo, v92, v93, v92
	s_delay_alu instid0(VALU_DEP_2) | instskip(SKIP_1) | instid1(TRANS32_DEP_1)
	v_rcp_f32_e32 v99, v91
	v_nop
	v_fma_f32 v100, -v91, v99, 1.0
	s_delay_alu instid0(VALU_DEP_1) | instskip(NEXT) | instid1(VALU_DEP_1)
	v_fmac_f32_e32 v99, v100, v99
	v_mul_f32_e32 v100, v101, v99
	s_delay_alu instid0(VALU_DEP_1) | instskip(NEXT) | instid1(VALU_DEP_1)
	v_fma_f32 v102, -v91, v100, v101
	v_fmac_f32_e32 v100, v102, v99
	s_delay_alu instid0(VALU_DEP_1) | instskip(NEXT) | instid1(VALU_DEP_1)
	v_fma_f32 v91, -v91, v100, v101
	v_div_fmas_f32 v91, v91, v99, v100
	s_delay_alu instid0(VALU_DEP_1) | instskip(NEXT) | instid1(VALU_DEP_1)
	v_div_fixup_f32 v91, v91, v93, v92
	v_fmac_f32_e32 v93, v92, v91
	s_delay_alu instid0(VALU_DEP_1) | instskip(SKIP_1) | instid1(VALU_DEP_2)
	v_div_scale_f32 v92, null, v93, v93, 1.0
	v_div_scale_f32 v101, vcc_lo, 1.0, v93, 1.0
	v_rcp_f32_e32 v99, v92
	v_nop
	s_delay_alu instid0(TRANS32_DEP_1) | instskip(NEXT) | instid1(VALU_DEP_1)
	v_fma_f32 v100, -v92, v99, 1.0
	v_fmac_f32_e32 v99, v100, v99
	s_delay_alu instid0(VALU_DEP_1) | instskip(NEXT) | instid1(VALU_DEP_1)
	v_mul_f32_e32 v100, v101, v99
	v_fma_f32 v102, -v92, v100, v101
	s_delay_alu instid0(VALU_DEP_1) | instskip(NEXT) | instid1(VALU_DEP_1)
	v_fmac_f32_e32 v100, v102, v99
	v_fma_f32 v92, -v92, v100, v101
	s_delay_alu instid0(VALU_DEP_1) | instskip(NEXT) | instid1(VALU_DEP_1)
	v_div_fmas_f32 v92, v92, v99, v100
	v_div_fixup_f32 v93, v92, v93, 1.0
	s_delay_alu instid0(VALU_DEP_1)
	v_mul_f32_e32 v92, v91, v93
	v_xor_b32_e32 v93, 0x80000000, v93
.LBB82_385:
	s_and_not1_saveexec_b32 s1, s1
	s_cbranch_execz .LBB82_387
; %bb.386:
	s_delay_alu instid0(VALU_DEP_1) | instskip(SKIP_1) | instid1(VALU_DEP_2)
	v_div_scale_f32 v91, null, v92, v92, v93
	v_div_scale_f32 v101, vcc_lo, v93, v92, v93
	v_rcp_f32_e32 v99, v91
	v_nop
	s_delay_alu instid0(TRANS32_DEP_1) | instskip(NEXT) | instid1(VALU_DEP_1)
	v_fma_f32 v100, -v91, v99, 1.0
	v_fmac_f32_e32 v99, v100, v99
	s_delay_alu instid0(VALU_DEP_1) | instskip(NEXT) | instid1(VALU_DEP_1)
	v_mul_f32_e32 v100, v101, v99
	v_fma_f32 v102, -v91, v100, v101
	s_delay_alu instid0(VALU_DEP_1) | instskip(NEXT) | instid1(VALU_DEP_1)
	v_fmac_f32_e32 v100, v102, v99
	v_fma_f32 v91, -v91, v100, v101
	s_delay_alu instid0(VALU_DEP_1) | instskip(NEXT) | instid1(VALU_DEP_1)
	v_div_fmas_f32 v91, v91, v99, v100
	v_div_fixup_f32 v91, v91, v92, v93
	s_delay_alu instid0(VALU_DEP_1) | instskip(NEXT) | instid1(VALU_DEP_1)
	v_fmac_f32_e32 v92, v93, v91
	v_div_scale_f32 v93, null, v92, v92, 1.0
	s_delay_alu instid0(VALU_DEP_1) | instskip(SKIP_1) | instid1(TRANS32_DEP_1)
	v_rcp_f32_e32 v99, v93
	v_nop
	v_fma_f32 v100, -v93, v99, 1.0
	s_delay_alu instid0(VALU_DEP_1) | instskip(SKIP_1) | instid1(VALU_DEP_1)
	v_fmac_f32_e32 v99, v100, v99
	v_div_scale_f32 v100, vcc_lo, 1.0, v92, 1.0
	v_mul_f32_e32 v101, v100, v99
	s_delay_alu instid0(VALU_DEP_1) | instskip(NEXT) | instid1(VALU_DEP_1)
	v_fma_f32 v102, -v93, v101, v100
	v_fmac_f32_e32 v101, v102, v99
	s_delay_alu instid0(VALU_DEP_1) | instskip(NEXT) | instid1(VALU_DEP_1)
	v_fma_f32 v93, -v93, v101, v100
	v_div_fmas_f32 v93, v93, v99, v101
	s_delay_alu instid0(VALU_DEP_1) | instskip(NEXT) | instid1(VALU_DEP_1)
	v_div_fixup_f32 v92, v93, v92, 1.0
	v_mul_f32_e64 v93, v91, -v92
.LBB82_387:
	s_or_b32 exec_lo, exec_lo, s1
.LBB82_388:
	s_delay_alu instid0(SALU_CYCLE_1) | instskip(NEXT) | instid1(SALU_CYCLE_1)
	s_or_b32 exec_lo, exec_lo, s0
	s_mov_b32 s0, exec_lo
	v_cmpx_ne_u32_e64 v98, v90
	s_xor_b32 s0, exec_lo, s0
	s_cbranch_execz .LBB82_394
; %bb.389:
	s_mov_b32 s1, exec_lo
	v_cmpx_eq_u32_e32 18, v98
	s_cbranch_execz .LBB82_393
; %bb.390:
	v_cmp_ne_u32_e32 vcc_lo, 18, v90
	s_xor_b32 s12, s16, -1
	s_delay_alu instid0(SALU_CYCLE_1) | instskip(NEXT) | instid1(SALU_CYCLE_1)
	s_and_b32 s13, s12, vcc_lo
	s_and_saveexec_b32 s12, s13
	s_cbranch_execz .LBB82_392
; %bb.391:
	v_ashrrev_i32_e32 v91, 31, v90
	s_delay_alu instid0(VALU_DEP_1)
	v_lshl_add_u64 v[98:99], v[90:91], 2, v[4:5]
	s_clause 0x1
	global_load_b32 v91, v[98:99], off
	global_load_b32 v97, v[4:5], off offset:72
	s_wait_loadcnt 0x1
	global_store_b32 v[4:5], v91, off offset:72
	s_wait_loadcnt 0x0
	global_store_b32 v[98:99], v97, off
.LBB82_392:
	s_wait_xcnt 0x0
	s_or_b32 exec_lo, exec_lo, s12
	v_dual_mov_b32 v98, v90 :: v_dual_mov_b32 v97, v90
.LBB82_393:
	s_or_b32 exec_lo, exec_lo, s1
.LBB82_394:
	s_and_not1_saveexec_b32 s0, s0
	s_cbranch_execz .LBB82_396
; %bb.395:
	v_mov_b32_e32 v98, 18
	ds_store_2addr_b64 v94, v[48:49], v[74:75] offset0:19 offset1:20
	ds_store_2addr_b64 v94, v[44:45], v[46:47] offset0:21 offset1:22
	;; [unrolled: 1-line block ×11, first 2 shown]
	ds_store_b64 v94, v[88:89] offset:328
.LBB82_396:
	s_or_b32 exec_lo, exec_lo, s0
	s_delay_alu instid0(SALU_CYCLE_1)
	s_mov_b32 s0, exec_lo
	s_wait_storecnt_dscnt 0x0
	s_barrier_signal -1
	s_barrier_wait -1
	v_cmpx_lt_i32_e32 18, v98
	s_cbranch_execz .LBB82_398
; %bb.397:
	v_pk_mul_f32 v[100:101], v[92:93], v[52:53] op_sel:[1,1] op_sel_hi:[0,1]
	s_delay_alu instid0(VALU_DEP_1)
	v_pk_fma_f32 v[90:91], v[92:93], v[52:53], v[100:101] op_sel_hi:[1,0,1] neg_lo:[0,0,1] neg_hi:[0,0,1]
	v_pk_fma_f32 v[92:93], v[92:93], v[52:53], v[100:101] op_sel_hi:[1,0,1]
	ds_load_2addr_b64 v[100:103], v94 offset0:19 offset1:20
	v_dual_mov_b32 v52, v90 :: v_dual_mov_b32 v53, v93
	s_wait_dscnt 0x0
	v_pk_mul_f32 v[104:105], v[100:101], v[92:93] op_sel:[0,1]
	s_delay_alu instid0(VALU_DEP_1) | instskip(SKIP_1) | instid1(VALU_DEP_1)
	v_pk_fma_f32 v[106:107], v[100:101], v[90:91], v[104:105] op_sel:[0,0,1] op_sel_hi:[1,1,0] neg_lo:[0,0,1] neg_hi:[0,0,1]
	v_pk_fma_f32 v[100:101], v[100:101], v[90:91], v[104:105] op_sel:[0,0,1] op_sel_hi:[1,0,0]
	v_mov_b32_e32 v107, v101
	v_pk_mul_f32 v[100:101], v[102:103], v[92:93] op_sel:[0,1]
	s_delay_alu instid0(VALU_DEP_1) | instskip(SKIP_1) | instid1(VALU_DEP_1)
	v_pk_fma_f32 v[104:105], v[102:103], v[90:91], v[100:101] op_sel:[0,0,1] op_sel_hi:[1,1,0] neg_lo:[0,0,1] neg_hi:[0,0,1]
	v_pk_fma_f32 v[100:101], v[102:103], v[90:91], v[100:101] op_sel:[0,0,1] op_sel_hi:[1,0,0]
	v_mov_b32_e32 v105, v101
	ds_load_2addr_b64 v[100:103], v94 offset0:21 offset1:22
	v_pk_add_f32 v[48:49], v[48:49], v[106:107] neg_lo:[0,1] neg_hi:[0,1]
	v_pk_add_f32 v[74:75], v[74:75], v[104:105] neg_lo:[0,1] neg_hi:[0,1]
	s_wait_dscnt 0x0
	v_pk_mul_f32 v[104:105], v[100:101], v[92:93] op_sel:[0,1]
	s_delay_alu instid0(VALU_DEP_1) | instskip(SKIP_2) | instid1(VALU_DEP_2)
	v_pk_fma_f32 v[106:107], v[100:101], v[90:91], v[104:105] op_sel:[0,0,1] op_sel_hi:[1,1,0] neg_lo:[0,0,1] neg_hi:[0,0,1]
	v_pk_fma_f32 v[100:101], v[100:101], v[90:91], v[104:105] op_sel:[0,0,1] op_sel_hi:[1,0,0]
	v_dual_mul_f32 v104, v103, v93 :: v_dual_mov_b32 v100, v103
	v_dual_mov_b32 v107, v101 :: v_dual_mov_b32 v101, v102
	s_delay_alu instid0(VALU_DEP_2) | instskip(SKIP_1) | instid1(VALU_DEP_3)
	v_pk_fma_f32 v[104:105], v[102:103], v[52:53], v[104:105] op_sel_hi:[1,1,0] neg_lo:[0,0,1] neg_hi:[0,0,1]
	v_mul_f32_e32 v102, v103, v90
	v_pk_add_f32 v[44:45], v[44:45], v[106:107] neg_lo:[0,1] neg_hi:[0,1]
	s_delay_alu instid0(VALU_DEP_2) | instskip(NEXT) | instid1(VALU_DEP_1)
	v_pk_fma_f32 v[100:101], v[100:101], v[52:53], v[102:103] op_sel_hi:[1,1,0]
	v_mov_b32_e32 v105, v101
	ds_load_2addr_b64 v[100:103], v94 offset0:23 offset1:24
	v_pk_add_f32 v[46:47], v[46:47], v[104:105] neg_lo:[0,1] neg_hi:[0,1]
	s_wait_dscnt 0x0
	v_pk_mul_f32 v[104:105], v[100:101], v[92:93] op_sel:[0,1]
	s_delay_alu instid0(VALU_DEP_1) | instskip(SKIP_1) | instid1(VALU_DEP_1)
	v_pk_fma_f32 v[106:107], v[100:101], v[90:91], v[104:105] op_sel:[0,0,1] op_sel_hi:[1,1,0] neg_lo:[0,0,1] neg_hi:[0,0,1]
	v_pk_fma_f32 v[100:101], v[100:101], v[90:91], v[104:105] op_sel:[0,0,1] op_sel_hi:[1,0,0]
	v_mov_b32_e32 v107, v101
	v_pk_mul_f32 v[100:101], v[102:103], v[92:93] op_sel:[0,1]
	s_delay_alu instid0(VALU_DEP_1) | instskip(SKIP_1) | instid1(VALU_DEP_1)
	v_pk_fma_f32 v[104:105], v[102:103], v[90:91], v[100:101] op_sel:[0,0,1] op_sel_hi:[1,1,0] neg_lo:[0,0,1] neg_hi:[0,0,1]
	v_pk_fma_f32 v[100:101], v[102:103], v[90:91], v[100:101] op_sel:[0,0,1] op_sel_hi:[1,0,0]
	v_mov_b32_e32 v105, v101
	ds_load_2addr_b64 v[100:103], v94 offset0:25 offset1:26
	v_pk_add_f32 v[42:43], v[42:43], v[106:107] neg_lo:[0,1] neg_hi:[0,1]
	v_pk_add_f32 v[72:73], v[72:73], v[104:105] neg_lo:[0,1] neg_hi:[0,1]
	s_wait_dscnt 0x0
	v_pk_mul_f32 v[104:105], v[100:101], v[92:93] op_sel:[0,1]
	s_delay_alu instid0(VALU_DEP_1) | instskip(SKIP_1) | instid1(VALU_DEP_1)
	v_pk_fma_f32 v[106:107], v[100:101], v[90:91], v[104:105] op_sel:[0,0,1] op_sel_hi:[1,1,0] neg_lo:[0,0,1] neg_hi:[0,0,1]
	v_pk_fma_f32 v[100:101], v[100:101], v[90:91], v[104:105] op_sel:[0,0,1] op_sel_hi:[1,0,0]
	v_mov_b32_e32 v107, v101
	v_pk_mul_f32 v[100:101], v[102:103], v[92:93] op_sel:[0,1]
	s_delay_alu instid0(VALU_DEP_1) | instskip(SKIP_1) | instid1(VALU_DEP_1)
	v_pk_fma_f32 v[104:105], v[102:103], v[90:91], v[100:101] op_sel:[0,0,1] op_sel_hi:[1,1,0] neg_lo:[0,0,1] neg_hi:[0,0,1]
	v_pk_fma_f32 v[100:101], v[102:103], v[90:91], v[100:101] op_sel:[0,0,1] op_sel_hi:[1,0,0]
	v_mov_b32_e32 v105, v101
	ds_load_2addr_b64 v[100:103], v94 offset0:27 offset1:28
	v_pk_add_f32 v[36:37], v[36:37], v[106:107] neg_lo:[0,1] neg_hi:[0,1]
	v_pk_add_f32 v[38:39], v[38:39], v[104:105] neg_lo:[0,1] neg_hi:[0,1]
	s_wait_dscnt 0x0
	v_dual_mul_f32 v104, v101, v93 :: v_dual_mul_f32 v106, v101, v90
	s_delay_alu instid0(VALU_DEP_1) | instskip(NEXT) | instid1(VALU_DEP_2)
	v_pk_fma_f32 v[104:105], v[100:101], v[52:53], v[104:105] op_sel_hi:[1,1,0] neg_lo:[0,0,1] neg_hi:[0,0,1]
	v_pk_fma_f32 v[100:101], v[100:101], v[52:53], v[106:107] op_sel:[1,0,0] op_sel_hi:[0,1,0]
	s_delay_alu instid0(VALU_DEP_1) | instskip(SKIP_1) | instid1(VALU_DEP_2)
	v_mov_b32_e32 v105, v101
	v_pk_mul_f32 v[100:101], v[102:103], v[92:93] op_sel:[0,1]
	v_pk_add_f32 v[34:35], v[34:35], v[104:105] neg_lo:[0,1] neg_hi:[0,1]
	s_delay_alu instid0(VALU_DEP_2) | instskip(SKIP_1) | instid1(VALU_DEP_1)
	v_pk_fma_f32 v[104:105], v[102:103], v[90:91], v[100:101] op_sel:[0,0,1] op_sel_hi:[1,1,0] neg_lo:[0,0,1] neg_hi:[0,0,1]
	v_pk_fma_f32 v[100:101], v[102:103], v[90:91], v[100:101] op_sel:[0,0,1] op_sel_hi:[1,0,0]
	v_mov_b32_e32 v105, v101
	ds_load_2addr_b64 v[100:103], v94 offset0:29 offset1:30
	v_pk_add_f32 v[70:71], v[70:71], v[104:105] neg_lo:[0,1] neg_hi:[0,1]
	s_wait_dscnt 0x0
	v_pk_mul_f32 v[104:105], v[100:101], v[92:93] op_sel:[0,1]
	s_delay_alu instid0(VALU_DEP_1) | instskip(SKIP_1) | instid1(VALU_DEP_1)
	v_pk_fma_f32 v[106:107], v[100:101], v[90:91], v[104:105] op_sel:[0,0,1] op_sel_hi:[1,1,0] neg_lo:[0,0,1] neg_hi:[0,0,1]
	v_pk_fma_f32 v[100:101], v[100:101], v[90:91], v[104:105] op_sel:[0,0,1] op_sel_hi:[1,0,0]
	v_mov_b32_e32 v107, v101
	v_pk_mul_f32 v[100:101], v[102:103], v[92:93] op_sel:[0,1]
	s_delay_alu instid0(VALU_DEP_2) | instskip(NEXT) | instid1(VALU_DEP_2)
	v_pk_add_f32 v[30:31], v[30:31], v[106:107] neg_lo:[0,1] neg_hi:[0,1]
	v_pk_fma_f32 v[104:105], v[102:103], v[90:91], v[100:101] op_sel:[0,0,1] op_sel_hi:[1,1,0] neg_lo:[0,0,1] neg_hi:[0,0,1]
	v_pk_fma_f32 v[100:101], v[102:103], v[90:91], v[100:101] op_sel:[0,0,1] op_sel_hi:[1,0,0]
	s_delay_alu instid0(VALU_DEP_1) | instskip(SKIP_4) | instid1(VALU_DEP_1)
	v_mov_b32_e32 v105, v101
	ds_load_2addr_b64 v[100:103], v94 offset0:31 offset1:32
	v_pk_add_f32 v[32:33], v[32:33], v[104:105] neg_lo:[0,1] neg_hi:[0,1]
	s_wait_dscnt 0x0
	v_pk_mul_f32 v[104:105], v[100:101], v[92:93] op_sel:[0,1]
	v_pk_fma_f32 v[106:107], v[100:101], v[90:91], v[104:105] op_sel:[0,0,1] op_sel_hi:[1,1,0] neg_lo:[0,0,1] neg_hi:[0,0,1]
	v_pk_fma_f32 v[100:101], v[100:101], v[90:91], v[104:105] op_sel:[0,0,1] op_sel_hi:[1,0,0]
	v_dual_mul_f32 v104, v103, v93 :: v_dual_mov_b32 v100, v103
	s_delay_alu instid0(VALU_DEP_2) | instskip(NEXT) | instid1(VALU_DEP_2)
	v_dual_mov_b32 v107, v101 :: v_dual_mov_b32 v101, v102
	v_pk_fma_f32 v[104:105], v[102:103], v[52:53], v[104:105] op_sel_hi:[1,1,0] neg_lo:[0,0,1] neg_hi:[0,0,1]
	v_mul_f32_e32 v102, v103, v90
	s_delay_alu instid0(VALU_DEP_3) | instskip(NEXT) | instid1(VALU_DEP_2)
	v_pk_add_f32 v[28:29], v[28:29], v[106:107] neg_lo:[0,1] neg_hi:[0,1]
	v_pk_fma_f32 v[100:101], v[100:101], v[52:53], v[102:103] op_sel_hi:[1,1,0]
	s_delay_alu instid0(VALU_DEP_1) | instskip(SKIP_4) | instid1(VALU_DEP_1)
	v_mov_b32_e32 v105, v101
	ds_load_2addr_b64 v[100:103], v94 offset0:33 offset1:34
	v_pk_add_f32 v[64:65], v[64:65], v[104:105] neg_lo:[0,1] neg_hi:[0,1]
	s_wait_dscnt 0x0
	v_pk_mul_f32 v[104:105], v[100:101], v[92:93] op_sel:[0,1]
	v_pk_fma_f32 v[106:107], v[100:101], v[90:91], v[104:105] op_sel:[0,0,1] op_sel_hi:[1,1,0] neg_lo:[0,0,1] neg_hi:[0,0,1]
	v_pk_fma_f32 v[100:101], v[100:101], v[90:91], v[104:105] op_sel:[0,0,1] op_sel_hi:[1,0,0]
	s_delay_alu instid0(VALU_DEP_1) | instskip(SKIP_1) | instid1(VALU_DEP_1)
	v_mov_b32_e32 v107, v101
	v_pk_mul_f32 v[100:101], v[102:103], v[92:93] op_sel:[0,1]
	v_pk_fma_f32 v[104:105], v[102:103], v[90:91], v[100:101] op_sel:[0,0,1] op_sel_hi:[1,1,0] neg_lo:[0,0,1] neg_hi:[0,0,1]
	v_pk_fma_f32 v[100:101], v[102:103], v[90:91], v[100:101] op_sel:[0,0,1] op_sel_hi:[1,0,0]
	s_delay_alu instid0(VALU_DEP_1)
	v_mov_b32_e32 v105, v101
	ds_load_2addr_b64 v[100:103], v94 offset0:35 offset1:36
	v_pk_add_f32 v[10:11], v[10:11], v[106:107] neg_lo:[0,1] neg_hi:[0,1]
	v_pk_add_f32 v[12:13], v[12:13], v[104:105] neg_lo:[0,1] neg_hi:[0,1]
	s_wait_dscnt 0x0
	v_pk_mul_f32 v[104:105], v[100:101], v[92:93] op_sel:[0,1]
	s_delay_alu instid0(VALU_DEP_1) | instskip(SKIP_1) | instid1(VALU_DEP_1)
	v_pk_fma_f32 v[106:107], v[100:101], v[90:91], v[104:105] op_sel:[0,0,1] op_sel_hi:[1,1,0] neg_lo:[0,0,1] neg_hi:[0,0,1]
	v_pk_fma_f32 v[100:101], v[100:101], v[90:91], v[104:105] op_sel:[0,0,1] op_sel_hi:[1,0,0]
	v_mov_b32_e32 v107, v101
	v_pk_mul_f32 v[100:101], v[102:103], v[92:93] op_sel:[0,1]
	s_delay_alu instid0(VALU_DEP_1) | instskip(SKIP_1) | instid1(VALU_DEP_1)
	v_pk_fma_f32 v[104:105], v[102:103], v[90:91], v[100:101] op_sel:[0,0,1] op_sel_hi:[1,1,0] neg_lo:[0,0,1] neg_hi:[0,0,1]
	v_pk_fma_f32 v[100:101], v[102:103], v[90:91], v[100:101] op_sel:[0,0,1] op_sel_hi:[1,0,0]
	v_mov_b32_e32 v105, v101
	ds_load_2addr_b64 v[100:103], v94 offset0:37 offset1:38
	v_pk_add_f32 v[8:9], v[8:9], v[106:107] neg_lo:[0,1] neg_hi:[0,1]
	v_pk_add_f32 v[62:63], v[62:63], v[104:105] neg_lo:[0,1] neg_hi:[0,1]
	s_wait_dscnt 0x0
	v_dual_mul_f32 v104, v101, v93 :: v_dual_mul_f32 v106, v101, v90
	s_delay_alu instid0(VALU_DEP_1) | instskip(NEXT) | instid1(VALU_DEP_2)
	v_pk_fma_f32 v[104:105], v[100:101], v[52:53], v[104:105] op_sel_hi:[1,1,0] neg_lo:[0,0,1] neg_hi:[0,0,1]
	v_pk_fma_f32 v[100:101], v[100:101], v[52:53], v[106:107] op_sel:[1,0,0] op_sel_hi:[0,1,0]
	s_delay_alu instid0(VALU_DEP_1) | instskip(SKIP_1) | instid1(VALU_DEP_2)
	v_mov_b32_e32 v105, v101
	v_pk_mul_f32 v[100:101], v[102:103], v[92:93] op_sel:[0,1]
	v_pk_add_f32 v[6:7], v[6:7], v[104:105] neg_lo:[0,1] neg_hi:[0,1]
	s_delay_alu instid0(VALU_DEP_2) | instskip(SKIP_1) | instid1(VALU_DEP_1)
	v_pk_fma_f32 v[104:105], v[102:103], v[90:91], v[100:101] op_sel:[0,0,1] op_sel_hi:[1,1,0] neg_lo:[0,0,1] neg_hi:[0,0,1]
	v_pk_fma_f32 v[100:101], v[102:103], v[90:91], v[100:101] op_sel:[0,0,1] op_sel_hi:[1,0,0]
	v_mov_b32_e32 v105, v101
	ds_load_2addr_b64 v[100:103], v94 offset0:39 offset1:40
	v_pk_add_f32 v[54:55], v[54:55], v[104:105] neg_lo:[0,1] neg_hi:[0,1]
	s_wait_dscnt 0x0
	v_pk_mul_f32 v[104:105], v[100:101], v[92:93] op_sel:[0,1]
	s_delay_alu instid0(VALU_DEP_1) | instskip(SKIP_1) | instid1(VALU_DEP_1)
	v_pk_fma_f32 v[106:107], v[100:101], v[90:91], v[104:105] op_sel:[0,0,1] op_sel_hi:[1,1,0] neg_lo:[0,0,1] neg_hi:[0,0,1]
	v_pk_fma_f32 v[100:101], v[100:101], v[90:91], v[104:105] op_sel:[0,0,1] op_sel_hi:[1,0,0]
	v_mov_b32_e32 v107, v101
	v_pk_mul_f32 v[100:101], v[102:103], v[92:93] op_sel:[0,1]
	s_delay_alu instid0(VALU_DEP_2) | instskip(NEXT) | instid1(VALU_DEP_2)
	v_pk_add_f32 v[40:41], v[40:41], v[106:107] neg_lo:[0,1] neg_hi:[0,1]
	v_pk_fma_f32 v[104:105], v[102:103], v[90:91], v[100:101] op_sel:[0,0,1] op_sel_hi:[1,1,0] neg_lo:[0,0,1] neg_hi:[0,0,1]
	v_pk_fma_f32 v[100:101], v[102:103], v[90:91], v[100:101] op_sel:[0,0,1] op_sel_hi:[1,0,0]
	s_delay_alu instid0(VALU_DEP_1) | instskip(SKIP_4) | instid1(VALU_DEP_1)
	v_mov_b32_e32 v105, v101
	ds_load_b64 v[100:101], v94 offset:328
	v_pk_add_f32 v[24:25], v[24:25], v[104:105] neg_lo:[0,1] neg_hi:[0,1]
	s_wait_dscnt 0x0
	v_pk_mul_f32 v[92:93], v[100:101], v[92:93] op_sel:[0,1]
	v_pk_fma_f32 v[102:103], v[100:101], v[90:91], v[92:93] op_sel:[0,0,1] op_sel_hi:[1,1,0] neg_lo:[0,0,1] neg_hi:[0,0,1]
	v_pk_fma_f32 v[90:91], v[100:101], v[90:91], v[92:93] op_sel:[0,0,1] op_sel_hi:[1,0,0]
	s_delay_alu instid0(VALU_DEP_1) | instskip(NEXT) | instid1(VALU_DEP_1)
	v_mov_b32_e32 v103, v91
	v_pk_add_f32 v[88:89], v[88:89], v[102:103] neg_lo:[0,1] neg_hi:[0,1]
.LBB82_398:
	s_or_b32 exec_lo, exec_lo, s0
	v_lshl_add_u32 v90, v98, 3, v94
	s_barrier_signal -1
	s_barrier_wait -1
	ds_store_b64 v90, v[48:49]
	s_wait_dscnt 0x0
	s_barrier_signal -1
	s_barrier_wait -1
	ds_load_b64 v[92:93], v94 offset:152
	v_mov_b32_e32 v90, 19
	s_cmp_lt_i32 s18, 21
	s_cbranch_scc1 .LBB82_401
; %bb.399:
	v_add3_u32 v91, v95, 0, 0xa0
	v_mov_b32_e32 v90, 19
	s_mov_b32 s0, 20
.LBB82_400:                             ; =>This Inner Loop Header: Depth=1
	ds_load_b64 v[100:101], v91
	s_wait_dscnt 0x1
	v_cmp_gt_f32_e32 vcc_lo, 0, v92
	v_cndmask_b32_e64 v102, v92, -v92, vcc_lo
	v_cmp_gt_f32_e32 vcc_lo, 0, v93
	v_cndmask_b32_e64 v104, v93, -v93, vcc_lo
	s_wait_dscnt 0x0
	v_cmp_gt_f32_e32 vcc_lo, 0, v100
	v_cndmask_b32_e64 v103, v100, -v100, vcc_lo
	v_cmp_gt_f32_e32 vcc_lo, 0, v101
	v_cndmask_b32_e64 v105, v101, -v101, vcc_lo
	s_delay_alu instid0(VALU_DEP_1) | instskip(NEXT) | instid1(VALU_DEP_1)
	v_pk_add_f32 v[102:103], v[102:103], v[104:105]
	v_cmp_lt_f32_e32 vcc_lo, v102, v103
	v_dual_add_nc_u32 v91, 8, v91 :: v_dual_cndmask_b32 v93, v93, v101, vcc_lo
	v_cndmask_b32_e32 v92, v92, v100, vcc_lo
	v_cndmask_b32_e64 v90, v90, s0, vcc_lo
	s_add_co_i32 s0, s0, 1
	s_delay_alu instid0(SALU_CYCLE_1)
	s_cmp_lg_u32 s18, s0
	s_cbranch_scc1 .LBB82_400
.LBB82_401:
	s_wait_dscnt 0x0
	v_cmp_eq_f32_e32 vcc_lo, 0, v92
	v_cmp_eq_f32_e64 s0, 0, v93
	s_and_b32 s0, vcc_lo, s0
	s_delay_alu instid0(SALU_CYCLE_1) | instskip(NEXT) | instid1(SALU_CYCLE_1)
	s_and_saveexec_b32 s1, s0
	s_xor_b32 s0, exec_lo, s1
; %bb.402:
	v_cmp_ne_u32_e32 vcc_lo, 0, v96
	v_cndmask_b32_e32 v96, 20, v96, vcc_lo
; %bb.403:
	s_and_not1_saveexec_b32 s0, s0
	s_cbranch_execz .LBB82_409
; %bb.404:
	v_cmp_ngt_f32_e64 s1, |v92|, |v93|
	s_and_saveexec_b32 s12, s1
	s_delay_alu instid0(SALU_CYCLE_1)
	s_xor_b32 s1, exec_lo, s12
	s_cbranch_execz .LBB82_406
; %bb.405:
	v_div_scale_f32 v91, null, v93, v93, v92
	v_div_scale_f32 v101, vcc_lo, v92, v93, v92
	s_delay_alu instid0(VALU_DEP_2) | instskip(SKIP_1) | instid1(TRANS32_DEP_1)
	v_rcp_f32_e32 v99, v91
	v_nop
	v_fma_f32 v100, -v91, v99, 1.0
	s_delay_alu instid0(VALU_DEP_1) | instskip(NEXT) | instid1(VALU_DEP_1)
	v_fmac_f32_e32 v99, v100, v99
	v_mul_f32_e32 v100, v101, v99
	s_delay_alu instid0(VALU_DEP_1) | instskip(NEXT) | instid1(VALU_DEP_1)
	v_fma_f32 v102, -v91, v100, v101
	v_fmac_f32_e32 v100, v102, v99
	s_delay_alu instid0(VALU_DEP_1) | instskip(NEXT) | instid1(VALU_DEP_1)
	v_fma_f32 v91, -v91, v100, v101
	v_div_fmas_f32 v91, v91, v99, v100
	s_delay_alu instid0(VALU_DEP_1) | instskip(NEXT) | instid1(VALU_DEP_1)
	v_div_fixup_f32 v91, v91, v93, v92
	v_fmac_f32_e32 v93, v92, v91
	s_delay_alu instid0(VALU_DEP_1) | instskip(SKIP_1) | instid1(VALU_DEP_2)
	v_div_scale_f32 v92, null, v93, v93, 1.0
	v_div_scale_f32 v101, vcc_lo, 1.0, v93, 1.0
	v_rcp_f32_e32 v99, v92
	v_nop
	s_delay_alu instid0(TRANS32_DEP_1) | instskip(NEXT) | instid1(VALU_DEP_1)
	v_fma_f32 v100, -v92, v99, 1.0
	v_fmac_f32_e32 v99, v100, v99
	s_delay_alu instid0(VALU_DEP_1) | instskip(NEXT) | instid1(VALU_DEP_1)
	v_mul_f32_e32 v100, v101, v99
	v_fma_f32 v102, -v92, v100, v101
	s_delay_alu instid0(VALU_DEP_1) | instskip(NEXT) | instid1(VALU_DEP_1)
	v_fmac_f32_e32 v100, v102, v99
	v_fma_f32 v92, -v92, v100, v101
	s_delay_alu instid0(VALU_DEP_1) | instskip(NEXT) | instid1(VALU_DEP_1)
	v_div_fmas_f32 v92, v92, v99, v100
	v_div_fixup_f32 v93, v92, v93, 1.0
	s_delay_alu instid0(VALU_DEP_1)
	v_mul_f32_e32 v92, v91, v93
	v_xor_b32_e32 v93, 0x80000000, v93
.LBB82_406:
	s_and_not1_saveexec_b32 s1, s1
	s_cbranch_execz .LBB82_408
; %bb.407:
	s_delay_alu instid0(VALU_DEP_1) | instskip(SKIP_1) | instid1(VALU_DEP_2)
	v_div_scale_f32 v91, null, v92, v92, v93
	v_div_scale_f32 v101, vcc_lo, v93, v92, v93
	v_rcp_f32_e32 v99, v91
	v_nop
	s_delay_alu instid0(TRANS32_DEP_1) | instskip(NEXT) | instid1(VALU_DEP_1)
	v_fma_f32 v100, -v91, v99, 1.0
	v_fmac_f32_e32 v99, v100, v99
	s_delay_alu instid0(VALU_DEP_1) | instskip(NEXT) | instid1(VALU_DEP_1)
	v_mul_f32_e32 v100, v101, v99
	v_fma_f32 v102, -v91, v100, v101
	s_delay_alu instid0(VALU_DEP_1) | instskip(NEXT) | instid1(VALU_DEP_1)
	v_fmac_f32_e32 v100, v102, v99
	v_fma_f32 v91, -v91, v100, v101
	s_delay_alu instid0(VALU_DEP_1) | instskip(NEXT) | instid1(VALU_DEP_1)
	v_div_fmas_f32 v91, v91, v99, v100
	v_div_fixup_f32 v91, v91, v92, v93
	s_delay_alu instid0(VALU_DEP_1) | instskip(NEXT) | instid1(VALU_DEP_1)
	v_fmac_f32_e32 v92, v93, v91
	v_div_scale_f32 v93, null, v92, v92, 1.0
	s_delay_alu instid0(VALU_DEP_1) | instskip(SKIP_1) | instid1(TRANS32_DEP_1)
	v_rcp_f32_e32 v99, v93
	v_nop
	v_fma_f32 v100, -v93, v99, 1.0
	s_delay_alu instid0(VALU_DEP_1) | instskip(SKIP_1) | instid1(VALU_DEP_1)
	v_fmac_f32_e32 v99, v100, v99
	v_div_scale_f32 v100, vcc_lo, 1.0, v92, 1.0
	v_mul_f32_e32 v101, v100, v99
	s_delay_alu instid0(VALU_DEP_1) | instskip(NEXT) | instid1(VALU_DEP_1)
	v_fma_f32 v102, -v93, v101, v100
	v_fmac_f32_e32 v101, v102, v99
	s_delay_alu instid0(VALU_DEP_1) | instskip(NEXT) | instid1(VALU_DEP_1)
	v_fma_f32 v93, -v93, v101, v100
	v_div_fmas_f32 v93, v93, v99, v101
	s_delay_alu instid0(VALU_DEP_1) | instskip(NEXT) | instid1(VALU_DEP_1)
	v_div_fixup_f32 v92, v93, v92, 1.0
	v_mul_f32_e64 v93, v91, -v92
.LBB82_408:
	s_or_b32 exec_lo, exec_lo, s1
.LBB82_409:
	s_delay_alu instid0(SALU_CYCLE_1) | instskip(NEXT) | instid1(SALU_CYCLE_1)
	s_or_b32 exec_lo, exec_lo, s0
	s_mov_b32 s0, exec_lo
	v_cmpx_ne_u32_e64 v98, v90
	s_xor_b32 s0, exec_lo, s0
	s_cbranch_execz .LBB82_415
; %bb.410:
	s_mov_b32 s1, exec_lo
	v_cmpx_eq_u32_e32 19, v98
	s_cbranch_execz .LBB82_414
; %bb.411:
	v_cmp_ne_u32_e32 vcc_lo, 19, v90
	s_xor_b32 s12, s16, -1
	s_delay_alu instid0(SALU_CYCLE_1) | instskip(NEXT) | instid1(SALU_CYCLE_1)
	s_and_b32 s13, s12, vcc_lo
	s_and_saveexec_b32 s12, s13
	s_cbranch_execz .LBB82_413
; %bb.412:
	v_ashrrev_i32_e32 v91, 31, v90
	s_delay_alu instid0(VALU_DEP_1)
	v_lshl_add_u64 v[98:99], v[90:91], 2, v[4:5]
	s_clause 0x1
	global_load_b32 v91, v[98:99], off
	global_load_b32 v97, v[4:5], off offset:76
	s_wait_loadcnt 0x1
	global_store_b32 v[4:5], v91, off offset:76
	s_wait_loadcnt 0x0
	global_store_b32 v[98:99], v97, off
.LBB82_413:
	s_wait_xcnt 0x0
	s_or_b32 exec_lo, exec_lo, s12
	v_dual_mov_b32 v98, v90 :: v_dual_mov_b32 v97, v90
.LBB82_414:
	s_or_b32 exec_lo, exec_lo, s1
.LBB82_415:
	s_and_not1_saveexec_b32 s0, s0
	s_cbranch_execz .LBB82_417
; %bb.416:
	v_dual_mov_b32 v90, v74 :: v_dual_mov_b32 v91, v75
	v_dual_mov_b32 v98, v44 :: v_dual_mov_b32 v99, v45
	ds_store_2addr_b64 v94, v[90:91], v[98:99] offset0:20 offset1:21
	v_dual_mov_b32 v90, v46 :: v_dual_mov_b32 v91, v47
	v_dual_mov_b32 v98, v42 :: v_dual_mov_b32 v99, v43
	ds_store_2addr_b64 v94, v[90:91], v[98:99] offset0:22 offset1:23
	;; [unrolled: 3-line block ×10, first 2 shown]
	v_dual_mov_b32 v90, v24 :: v_dual_mov_b32 v91, v25
	v_mov_b32_e32 v98, 19
	ds_store_2addr_b64 v94, v[90:91], v[88:89] offset0:40 offset1:41
.LBB82_417:
	s_or_b32 exec_lo, exec_lo, s0
	s_delay_alu instid0(SALU_CYCLE_1)
	s_mov_b32 s0, exec_lo
	s_wait_storecnt_dscnt 0x0
	s_barrier_signal -1
	s_barrier_wait -1
	v_cmpx_lt_i32_e32 19, v98
	s_cbranch_execz .LBB82_419
; %bb.418:
	v_pk_mul_f32 v[100:101], v[92:93], v[48:49] op_sel:[1,1] op_sel_hi:[0,1]
	s_delay_alu instid0(VALU_DEP_1)
	v_pk_fma_f32 v[90:91], v[92:93], v[48:49], v[100:101] op_sel_hi:[1,0,1] neg_lo:[0,0,1] neg_hi:[0,0,1]
	v_pk_fma_f32 v[92:93], v[92:93], v[48:49], v[100:101] op_sel_hi:[1,0,1]
	ds_load_2addr_b64 v[100:103], v94 offset0:20 offset1:21
	v_dual_mov_b32 v48, v90 :: v_dual_mov_b32 v49, v93
	s_wait_dscnt 0x0
	v_pk_mul_f32 v[104:105], v[100:101], v[92:93] op_sel:[0,1]
	s_delay_alu instid0(VALU_DEP_1) | instskip(SKIP_1) | instid1(VALU_DEP_1)
	v_pk_fma_f32 v[106:107], v[100:101], v[90:91], v[104:105] op_sel:[0,0,1] op_sel_hi:[1,1,0] neg_lo:[0,0,1] neg_hi:[0,0,1]
	v_pk_fma_f32 v[100:101], v[100:101], v[90:91], v[104:105] op_sel:[0,0,1] op_sel_hi:[1,0,0]
	v_mov_b32_e32 v107, v101
	v_pk_mul_f32 v[100:101], v[102:103], v[92:93] op_sel:[0,1]
	s_delay_alu instid0(VALU_DEP_1) | instskip(SKIP_1) | instid1(VALU_DEP_1)
	v_pk_fma_f32 v[104:105], v[102:103], v[90:91], v[100:101] op_sel:[0,0,1] op_sel_hi:[1,1,0] neg_lo:[0,0,1] neg_hi:[0,0,1]
	v_pk_fma_f32 v[100:101], v[102:103], v[90:91], v[100:101] op_sel:[0,0,1] op_sel_hi:[1,0,0]
	v_mov_b32_e32 v105, v101
	ds_load_2addr_b64 v[100:103], v94 offset0:22 offset1:23
	v_pk_add_f32 v[74:75], v[74:75], v[106:107] neg_lo:[0,1] neg_hi:[0,1]
	v_pk_add_f32 v[44:45], v[44:45], v[104:105] neg_lo:[0,1] neg_hi:[0,1]
	s_wait_dscnt 0x0
	v_pk_mul_f32 v[104:105], v[100:101], v[92:93] op_sel:[0,1]
	s_delay_alu instid0(VALU_DEP_1) | instskip(SKIP_2) | instid1(VALU_DEP_2)
	v_pk_fma_f32 v[106:107], v[100:101], v[90:91], v[104:105] op_sel:[0,0,1] op_sel_hi:[1,1,0] neg_lo:[0,0,1] neg_hi:[0,0,1]
	v_pk_fma_f32 v[100:101], v[100:101], v[90:91], v[104:105] op_sel:[0,0,1] op_sel_hi:[1,0,0]
	v_dual_mul_f32 v104, v103, v93 :: v_dual_mov_b32 v100, v103
	v_dual_mov_b32 v107, v101 :: v_dual_mov_b32 v101, v102
	s_delay_alu instid0(VALU_DEP_2) | instskip(SKIP_1) | instid1(VALU_DEP_3)
	v_pk_fma_f32 v[104:105], v[102:103], v[48:49], v[104:105] op_sel_hi:[1,1,0] neg_lo:[0,0,1] neg_hi:[0,0,1]
	v_mul_f32_e32 v102, v103, v90
	v_pk_add_f32 v[46:47], v[46:47], v[106:107] neg_lo:[0,1] neg_hi:[0,1]
	s_delay_alu instid0(VALU_DEP_2) | instskip(NEXT) | instid1(VALU_DEP_1)
	v_pk_fma_f32 v[100:101], v[100:101], v[48:49], v[102:103] op_sel_hi:[1,1,0]
	v_mov_b32_e32 v105, v101
	ds_load_2addr_b64 v[100:103], v94 offset0:24 offset1:25
	v_pk_add_f32 v[42:43], v[42:43], v[104:105] neg_lo:[0,1] neg_hi:[0,1]
	s_wait_dscnt 0x0
	v_pk_mul_f32 v[104:105], v[100:101], v[92:93] op_sel:[0,1]
	s_delay_alu instid0(VALU_DEP_1) | instskip(SKIP_1) | instid1(VALU_DEP_1)
	v_pk_fma_f32 v[106:107], v[100:101], v[90:91], v[104:105] op_sel:[0,0,1] op_sel_hi:[1,1,0] neg_lo:[0,0,1] neg_hi:[0,0,1]
	v_pk_fma_f32 v[100:101], v[100:101], v[90:91], v[104:105] op_sel:[0,0,1] op_sel_hi:[1,0,0]
	v_mov_b32_e32 v107, v101
	v_pk_mul_f32 v[100:101], v[102:103], v[92:93] op_sel:[0,1]
	s_delay_alu instid0(VALU_DEP_1) | instskip(SKIP_1) | instid1(VALU_DEP_1)
	v_pk_fma_f32 v[104:105], v[102:103], v[90:91], v[100:101] op_sel:[0,0,1] op_sel_hi:[1,1,0] neg_lo:[0,0,1] neg_hi:[0,0,1]
	v_pk_fma_f32 v[100:101], v[102:103], v[90:91], v[100:101] op_sel:[0,0,1] op_sel_hi:[1,0,0]
	v_mov_b32_e32 v105, v101
	ds_load_2addr_b64 v[100:103], v94 offset0:26 offset1:27
	v_pk_add_f32 v[72:73], v[72:73], v[106:107] neg_lo:[0,1] neg_hi:[0,1]
	v_pk_add_f32 v[36:37], v[36:37], v[104:105] neg_lo:[0,1] neg_hi:[0,1]
	s_wait_dscnt 0x0
	v_pk_mul_f32 v[104:105], v[100:101], v[92:93] op_sel:[0,1]
	s_delay_alu instid0(VALU_DEP_1) | instskip(SKIP_1) | instid1(VALU_DEP_1)
	v_pk_fma_f32 v[106:107], v[100:101], v[90:91], v[104:105] op_sel:[0,0,1] op_sel_hi:[1,1,0] neg_lo:[0,0,1] neg_hi:[0,0,1]
	v_pk_fma_f32 v[100:101], v[100:101], v[90:91], v[104:105] op_sel:[0,0,1] op_sel_hi:[1,0,0]
	v_mov_b32_e32 v107, v101
	v_pk_mul_f32 v[100:101], v[102:103], v[92:93] op_sel:[0,1]
	s_delay_alu instid0(VALU_DEP_1) | instskip(SKIP_1) | instid1(VALU_DEP_1)
	v_pk_fma_f32 v[104:105], v[102:103], v[90:91], v[100:101] op_sel:[0,0,1] op_sel_hi:[1,1,0] neg_lo:[0,0,1] neg_hi:[0,0,1]
	v_pk_fma_f32 v[100:101], v[102:103], v[90:91], v[100:101] op_sel:[0,0,1] op_sel_hi:[1,0,0]
	v_mov_b32_e32 v105, v101
	ds_load_2addr_b64 v[100:103], v94 offset0:28 offset1:29
	v_pk_add_f32 v[38:39], v[38:39], v[106:107] neg_lo:[0,1] neg_hi:[0,1]
	v_pk_add_f32 v[34:35], v[34:35], v[104:105] neg_lo:[0,1] neg_hi:[0,1]
	s_wait_dscnt 0x0
	v_dual_mul_f32 v104, v101, v93 :: v_dual_mul_f32 v106, v101, v90
	s_delay_alu instid0(VALU_DEP_1) | instskip(NEXT) | instid1(VALU_DEP_2)
	v_pk_fma_f32 v[104:105], v[100:101], v[48:49], v[104:105] op_sel_hi:[1,1,0] neg_lo:[0,0,1] neg_hi:[0,0,1]
	v_pk_fma_f32 v[100:101], v[100:101], v[48:49], v[106:107] op_sel:[1,0,0] op_sel_hi:[0,1,0]
	s_delay_alu instid0(VALU_DEP_1) | instskip(SKIP_1) | instid1(VALU_DEP_2)
	v_mov_b32_e32 v105, v101
	v_pk_mul_f32 v[100:101], v[102:103], v[92:93] op_sel:[0,1]
	v_pk_add_f32 v[70:71], v[70:71], v[104:105] neg_lo:[0,1] neg_hi:[0,1]
	s_delay_alu instid0(VALU_DEP_2) | instskip(SKIP_1) | instid1(VALU_DEP_1)
	v_pk_fma_f32 v[104:105], v[102:103], v[90:91], v[100:101] op_sel:[0,0,1] op_sel_hi:[1,1,0] neg_lo:[0,0,1] neg_hi:[0,0,1]
	v_pk_fma_f32 v[100:101], v[102:103], v[90:91], v[100:101] op_sel:[0,0,1] op_sel_hi:[1,0,0]
	v_mov_b32_e32 v105, v101
	ds_load_2addr_b64 v[100:103], v94 offset0:30 offset1:31
	v_pk_add_f32 v[30:31], v[30:31], v[104:105] neg_lo:[0,1] neg_hi:[0,1]
	s_wait_dscnt 0x0
	v_pk_mul_f32 v[104:105], v[100:101], v[92:93] op_sel:[0,1]
	s_delay_alu instid0(VALU_DEP_1) | instskip(SKIP_1) | instid1(VALU_DEP_1)
	v_pk_fma_f32 v[106:107], v[100:101], v[90:91], v[104:105] op_sel:[0,0,1] op_sel_hi:[1,1,0] neg_lo:[0,0,1] neg_hi:[0,0,1]
	v_pk_fma_f32 v[100:101], v[100:101], v[90:91], v[104:105] op_sel:[0,0,1] op_sel_hi:[1,0,0]
	v_mov_b32_e32 v107, v101
	v_pk_mul_f32 v[100:101], v[102:103], v[92:93] op_sel:[0,1]
	s_delay_alu instid0(VALU_DEP_2) | instskip(NEXT) | instid1(VALU_DEP_2)
	v_pk_add_f32 v[32:33], v[32:33], v[106:107] neg_lo:[0,1] neg_hi:[0,1]
	v_pk_fma_f32 v[104:105], v[102:103], v[90:91], v[100:101] op_sel:[0,0,1] op_sel_hi:[1,1,0] neg_lo:[0,0,1] neg_hi:[0,0,1]
	v_pk_fma_f32 v[100:101], v[102:103], v[90:91], v[100:101] op_sel:[0,0,1] op_sel_hi:[1,0,0]
	s_delay_alu instid0(VALU_DEP_1) | instskip(SKIP_4) | instid1(VALU_DEP_1)
	v_mov_b32_e32 v105, v101
	ds_load_2addr_b64 v[100:103], v94 offset0:32 offset1:33
	v_pk_add_f32 v[28:29], v[28:29], v[104:105] neg_lo:[0,1] neg_hi:[0,1]
	s_wait_dscnt 0x0
	v_pk_mul_f32 v[104:105], v[100:101], v[92:93] op_sel:[0,1]
	v_pk_fma_f32 v[106:107], v[100:101], v[90:91], v[104:105] op_sel:[0,0,1] op_sel_hi:[1,1,0] neg_lo:[0,0,1] neg_hi:[0,0,1]
	v_pk_fma_f32 v[100:101], v[100:101], v[90:91], v[104:105] op_sel:[0,0,1] op_sel_hi:[1,0,0]
	v_dual_mul_f32 v104, v103, v93 :: v_dual_mov_b32 v100, v103
	s_delay_alu instid0(VALU_DEP_2) | instskip(NEXT) | instid1(VALU_DEP_2)
	v_dual_mov_b32 v107, v101 :: v_dual_mov_b32 v101, v102
	v_pk_fma_f32 v[104:105], v[102:103], v[48:49], v[104:105] op_sel_hi:[1,1,0] neg_lo:[0,0,1] neg_hi:[0,0,1]
	v_mul_f32_e32 v102, v103, v90
	s_delay_alu instid0(VALU_DEP_3) | instskip(NEXT) | instid1(VALU_DEP_2)
	v_pk_add_f32 v[64:65], v[64:65], v[106:107] neg_lo:[0,1] neg_hi:[0,1]
	v_pk_fma_f32 v[100:101], v[100:101], v[48:49], v[102:103] op_sel_hi:[1,1,0]
	s_delay_alu instid0(VALU_DEP_1) | instskip(SKIP_4) | instid1(VALU_DEP_1)
	v_mov_b32_e32 v105, v101
	ds_load_2addr_b64 v[100:103], v94 offset0:34 offset1:35
	v_pk_add_f32 v[10:11], v[10:11], v[104:105] neg_lo:[0,1] neg_hi:[0,1]
	s_wait_dscnt 0x0
	v_pk_mul_f32 v[104:105], v[100:101], v[92:93] op_sel:[0,1]
	v_pk_fma_f32 v[106:107], v[100:101], v[90:91], v[104:105] op_sel:[0,0,1] op_sel_hi:[1,1,0] neg_lo:[0,0,1] neg_hi:[0,0,1]
	v_pk_fma_f32 v[100:101], v[100:101], v[90:91], v[104:105] op_sel:[0,0,1] op_sel_hi:[1,0,0]
	s_delay_alu instid0(VALU_DEP_1) | instskip(SKIP_1) | instid1(VALU_DEP_1)
	v_mov_b32_e32 v107, v101
	v_pk_mul_f32 v[100:101], v[102:103], v[92:93] op_sel:[0,1]
	v_pk_fma_f32 v[104:105], v[102:103], v[90:91], v[100:101] op_sel:[0,0,1] op_sel_hi:[1,1,0] neg_lo:[0,0,1] neg_hi:[0,0,1]
	v_pk_fma_f32 v[100:101], v[102:103], v[90:91], v[100:101] op_sel:[0,0,1] op_sel_hi:[1,0,0]
	s_delay_alu instid0(VALU_DEP_1)
	v_mov_b32_e32 v105, v101
	ds_load_2addr_b64 v[100:103], v94 offset0:36 offset1:37
	v_pk_add_f32 v[12:13], v[12:13], v[106:107] neg_lo:[0,1] neg_hi:[0,1]
	v_pk_add_f32 v[8:9], v[8:9], v[104:105] neg_lo:[0,1] neg_hi:[0,1]
	s_wait_dscnt 0x0
	v_pk_mul_f32 v[104:105], v[100:101], v[92:93] op_sel:[0,1]
	s_delay_alu instid0(VALU_DEP_1) | instskip(SKIP_1) | instid1(VALU_DEP_1)
	v_pk_fma_f32 v[106:107], v[100:101], v[90:91], v[104:105] op_sel:[0,0,1] op_sel_hi:[1,1,0] neg_lo:[0,0,1] neg_hi:[0,0,1]
	v_pk_fma_f32 v[100:101], v[100:101], v[90:91], v[104:105] op_sel:[0,0,1] op_sel_hi:[1,0,0]
	v_mov_b32_e32 v107, v101
	v_pk_mul_f32 v[100:101], v[102:103], v[92:93] op_sel:[0,1]
	s_delay_alu instid0(VALU_DEP_1) | instskip(SKIP_1) | instid1(VALU_DEP_1)
	v_pk_fma_f32 v[104:105], v[102:103], v[90:91], v[100:101] op_sel:[0,0,1] op_sel_hi:[1,1,0] neg_lo:[0,0,1] neg_hi:[0,0,1]
	v_pk_fma_f32 v[100:101], v[102:103], v[90:91], v[100:101] op_sel:[0,0,1] op_sel_hi:[1,0,0]
	v_mov_b32_e32 v105, v101
	ds_load_2addr_b64 v[100:103], v94 offset0:38 offset1:39
	v_pk_add_f32 v[62:63], v[62:63], v[106:107] neg_lo:[0,1] neg_hi:[0,1]
	v_pk_add_f32 v[6:7], v[6:7], v[104:105] neg_lo:[0,1] neg_hi:[0,1]
	s_wait_dscnt 0x0
	v_dual_mul_f32 v104, v101, v93 :: v_dual_mul_f32 v106, v101, v90
	s_delay_alu instid0(VALU_DEP_1) | instskip(NEXT) | instid1(VALU_DEP_2)
	v_pk_fma_f32 v[104:105], v[100:101], v[48:49], v[104:105] op_sel_hi:[1,1,0] neg_lo:[0,0,1] neg_hi:[0,0,1]
	v_pk_fma_f32 v[100:101], v[100:101], v[48:49], v[106:107] op_sel:[1,0,0] op_sel_hi:[0,1,0]
	s_delay_alu instid0(VALU_DEP_1) | instskip(SKIP_1) | instid1(VALU_DEP_2)
	v_mov_b32_e32 v105, v101
	v_pk_mul_f32 v[100:101], v[102:103], v[92:93] op_sel:[0,1]
	v_pk_add_f32 v[54:55], v[54:55], v[104:105] neg_lo:[0,1] neg_hi:[0,1]
	s_delay_alu instid0(VALU_DEP_2) | instskip(SKIP_1) | instid1(VALU_DEP_1)
	v_pk_fma_f32 v[104:105], v[102:103], v[90:91], v[100:101] op_sel:[0,0,1] op_sel_hi:[1,1,0] neg_lo:[0,0,1] neg_hi:[0,0,1]
	v_pk_fma_f32 v[100:101], v[102:103], v[90:91], v[100:101] op_sel:[0,0,1] op_sel_hi:[1,0,0]
	v_mov_b32_e32 v105, v101
	ds_load_2addr_b64 v[100:103], v94 offset0:40 offset1:41
	v_pk_add_f32 v[40:41], v[40:41], v[104:105] neg_lo:[0,1] neg_hi:[0,1]
	s_wait_dscnt 0x0
	v_pk_mul_f32 v[104:105], v[100:101], v[92:93] op_sel:[0,1]
	v_pk_mul_f32 v[92:93], v[102:103], v[92:93] op_sel:[0,1]
	s_delay_alu instid0(VALU_DEP_2) | instskip(SKIP_1) | instid1(VALU_DEP_1)
	v_pk_fma_f32 v[106:107], v[100:101], v[90:91], v[104:105] op_sel:[0,0,1] op_sel_hi:[1,1,0] neg_lo:[0,0,1] neg_hi:[0,0,1]
	v_pk_fma_f32 v[100:101], v[100:101], v[90:91], v[104:105] op_sel:[0,0,1] op_sel_hi:[1,0,0]
	v_mov_b32_e32 v107, v101
	s_delay_alu instid0(VALU_DEP_4) | instskip(SKIP_1) | instid1(VALU_DEP_3)
	v_pk_fma_f32 v[100:101], v[102:103], v[90:91], v[92:93] op_sel:[0,0,1] op_sel_hi:[1,1,0] neg_lo:[0,0,1] neg_hi:[0,0,1]
	v_pk_fma_f32 v[90:91], v[102:103], v[90:91], v[92:93] op_sel:[0,0,1] op_sel_hi:[1,0,0]
	v_pk_add_f32 v[24:25], v[24:25], v[106:107] neg_lo:[0,1] neg_hi:[0,1]
	s_delay_alu instid0(VALU_DEP_2) | instskip(NEXT) | instid1(VALU_DEP_1)
	v_mov_b32_e32 v101, v91
	v_pk_add_f32 v[88:89], v[88:89], v[100:101] neg_lo:[0,1] neg_hi:[0,1]
.LBB82_419:
	s_or_b32 exec_lo, exec_lo, s0
	v_lshl_add_u32 v90, v98, 3, v94
	s_barrier_signal -1
	s_barrier_wait -1
	ds_store_b64 v90, v[74:75]
	s_wait_dscnt 0x0
	s_barrier_signal -1
	s_barrier_wait -1
	ds_load_b64 v[92:93], v94 offset:160
	v_mov_b32_e32 v90, 20
	s_cmp_lt_i32 s18, 22
	s_cbranch_scc1 .LBB82_422
; %bb.420:
	v_add3_u32 v91, v95, 0, 0xa8
	v_mov_b32_e32 v90, 20
	s_mov_b32 s0, 21
.LBB82_421:                             ; =>This Inner Loop Header: Depth=1
	ds_load_b64 v[100:101], v91
	s_wait_dscnt 0x1
	v_cmp_gt_f32_e32 vcc_lo, 0, v92
	v_cndmask_b32_e64 v102, v92, -v92, vcc_lo
	v_cmp_gt_f32_e32 vcc_lo, 0, v93
	v_cndmask_b32_e64 v104, v93, -v93, vcc_lo
	s_wait_dscnt 0x0
	v_cmp_gt_f32_e32 vcc_lo, 0, v100
	v_cndmask_b32_e64 v103, v100, -v100, vcc_lo
	v_cmp_gt_f32_e32 vcc_lo, 0, v101
	v_cndmask_b32_e64 v105, v101, -v101, vcc_lo
	s_delay_alu instid0(VALU_DEP_1) | instskip(NEXT) | instid1(VALU_DEP_1)
	v_pk_add_f32 v[102:103], v[102:103], v[104:105]
	v_cmp_lt_f32_e32 vcc_lo, v102, v103
	v_dual_add_nc_u32 v91, 8, v91 :: v_dual_cndmask_b32 v93, v93, v101, vcc_lo
	v_cndmask_b32_e32 v92, v92, v100, vcc_lo
	v_cndmask_b32_e64 v90, v90, s0, vcc_lo
	s_add_co_i32 s0, s0, 1
	s_delay_alu instid0(SALU_CYCLE_1)
	s_cmp_lg_u32 s18, s0
	s_cbranch_scc1 .LBB82_421
.LBB82_422:
	s_wait_dscnt 0x0
	v_cmp_eq_f32_e32 vcc_lo, 0, v92
	v_cmp_eq_f32_e64 s0, 0, v93
	s_and_b32 s0, vcc_lo, s0
	s_delay_alu instid0(SALU_CYCLE_1) | instskip(NEXT) | instid1(SALU_CYCLE_1)
	s_and_saveexec_b32 s1, s0
	s_xor_b32 s0, exec_lo, s1
; %bb.423:
	v_cmp_ne_u32_e32 vcc_lo, 0, v96
	v_cndmask_b32_e32 v96, 21, v96, vcc_lo
; %bb.424:
	s_and_not1_saveexec_b32 s0, s0
	s_cbranch_execz .LBB82_430
; %bb.425:
	v_cmp_ngt_f32_e64 s1, |v92|, |v93|
	s_and_saveexec_b32 s12, s1
	s_delay_alu instid0(SALU_CYCLE_1)
	s_xor_b32 s1, exec_lo, s12
	s_cbranch_execz .LBB82_427
; %bb.426:
	v_div_scale_f32 v91, null, v93, v93, v92
	v_div_scale_f32 v101, vcc_lo, v92, v93, v92
	s_delay_alu instid0(VALU_DEP_2) | instskip(SKIP_1) | instid1(TRANS32_DEP_1)
	v_rcp_f32_e32 v99, v91
	v_nop
	v_fma_f32 v100, -v91, v99, 1.0
	s_delay_alu instid0(VALU_DEP_1) | instskip(NEXT) | instid1(VALU_DEP_1)
	v_fmac_f32_e32 v99, v100, v99
	v_mul_f32_e32 v100, v101, v99
	s_delay_alu instid0(VALU_DEP_1) | instskip(NEXT) | instid1(VALU_DEP_1)
	v_fma_f32 v102, -v91, v100, v101
	v_fmac_f32_e32 v100, v102, v99
	s_delay_alu instid0(VALU_DEP_1) | instskip(NEXT) | instid1(VALU_DEP_1)
	v_fma_f32 v91, -v91, v100, v101
	v_div_fmas_f32 v91, v91, v99, v100
	s_delay_alu instid0(VALU_DEP_1) | instskip(NEXT) | instid1(VALU_DEP_1)
	v_div_fixup_f32 v91, v91, v93, v92
	v_fmac_f32_e32 v93, v92, v91
	s_delay_alu instid0(VALU_DEP_1) | instskip(SKIP_1) | instid1(VALU_DEP_2)
	v_div_scale_f32 v92, null, v93, v93, 1.0
	v_div_scale_f32 v101, vcc_lo, 1.0, v93, 1.0
	v_rcp_f32_e32 v99, v92
	v_nop
	s_delay_alu instid0(TRANS32_DEP_1) | instskip(NEXT) | instid1(VALU_DEP_1)
	v_fma_f32 v100, -v92, v99, 1.0
	v_fmac_f32_e32 v99, v100, v99
	s_delay_alu instid0(VALU_DEP_1) | instskip(NEXT) | instid1(VALU_DEP_1)
	v_mul_f32_e32 v100, v101, v99
	v_fma_f32 v102, -v92, v100, v101
	s_delay_alu instid0(VALU_DEP_1) | instskip(NEXT) | instid1(VALU_DEP_1)
	v_fmac_f32_e32 v100, v102, v99
	v_fma_f32 v92, -v92, v100, v101
	s_delay_alu instid0(VALU_DEP_1) | instskip(NEXT) | instid1(VALU_DEP_1)
	v_div_fmas_f32 v92, v92, v99, v100
	v_div_fixup_f32 v93, v92, v93, 1.0
	s_delay_alu instid0(VALU_DEP_1)
	v_mul_f32_e32 v92, v91, v93
	v_xor_b32_e32 v93, 0x80000000, v93
.LBB82_427:
	s_and_not1_saveexec_b32 s1, s1
	s_cbranch_execz .LBB82_429
; %bb.428:
	s_delay_alu instid0(VALU_DEP_1) | instskip(SKIP_1) | instid1(VALU_DEP_2)
	v_div_scale_f32 v91, null, v92, v92, v93
	v_div_scale_f32 v101, vcc_lo, v93, v92, v93
	v_rcp_f32_e32 v99, v91
	v_nop
	s_delay_alu instid0(TRANS32_DEP_1) | instskip(NEXT) | instid1(VALU_DEP_1)
	v_fma_f32 v100, -v91, v99, 1.0
	v_fmac_f32_e32 v99, v100, v99
	s_delay_alu instid0(VALU_DEP_1) | instskip(NEXT) | instid1(VALU_DEP_1)
	v_mul_f32_e32 v100, v101, v99
	v_fma_f32 v102, -v91, v100, v101
	s_delay_alu instid0(VALU_DEP_1) | instskip(NEXT) | instid1(VALU_DEP_1)
	v_fmac_f32_e32 v100, v102, v99
	v_fma_f32 v91, -v91, v100, v101
	s_delay_alu instid0(VALU_DEP_1) | instskip(NEXT) | instid1(VALU_DEP_1)
	v_div_fmas_f32 v91, v91, v99, v100
	v_div_fixup_f32 v91, v91, v92, v93
	s_delay_alu instid0(VALU_DEP_1) | instskip(NEXT) | instid1(VALU_DEP_1)
	v_fmac_f32_e32 v92, v93, v91
	v_div_scale_f32 v93, null, v92, v92, 1.0
	s_delay_alu instid0(VALU_DEP_1) | instskip(SKIP_1) | instid1(TRANS32_DEP_1)
	v_rcp_f32_e32 v99, v93
	v_nop
	v_fma_f32 v100, -v93, v99, 1.0
	s_delay_alu instid0(VALU_DEP_1) | instskip(SKIP_1) | instid1(VALU_DEP_1)
	v_fmac_f32_e32 v99, v100, v99
	v_div_scale_f32 v100, vcc_lo, 1.0, v92, 1.0
	v_mul_f32_e32 v101, v100, v99
	s_delay_alu instid0(VALU_DEP_1) | instskip(NEXT) | instid1(VALU_DEP_1)
	v_fma_f32 v102, -v93, v101, v100
	v_fmac_f32_e32 v101, v102, v99
	s_delay_alu instid0(VALU_DEP_1) | instskip(NEXT) | instid1(VALU_DEP_1)
	v_fma_f32 v93, -v93, v101, v100
	v_div_fmas_f32 v93, v93, v99, v101
	s_delay_alu instid0(VALU_DEP_1) | instskip(NEXT) | instid1(VALU_DEP_1)
	v_div_fixup_f32 v92, v93, v92, 1.0
	v_mul_f32_e64 v93, v91, -v92
.LBB82_429:
	s_or_b32 exec_lo, exec_lo, s1
.LBB82_430:
	s_delay_alu instid0(SALU_CYCLE_1) | instskip(NEXT) | instid1(SALU_CYCLE_1)
	s_or_b32 exec_lo, exec_lo, s0
	s_mov_b32 s0, exec_lo
	v_cmpx_ne_u32_e64 v98, v90
	s_xor_b32 s0, exec_lo, s0
	s_cbranch_execz .LBB82_436
; %bb.431:
	s_mov_b32 s1, exec_lo
	v_cmpx_eq_u32_e32 20, v98
	s_cbranch_execz .LBB82_435
; %bb.432:
	v_cmp_ne_u32_e32 vcc_lo, 20, v90
	s_xor_b32 s12, s16, -1
	s_delay_alu instid0(SALU_CYCLE_1) | instskip(NEXT) | instid1(SALU_CYCLE_1)
	s_and_b32 s13, s12, vcc_lo
	s_and_saveexec_b32 s12, s13
	s_cbranch_execz .LBB82_434
; %bb.433:
	v_ashrrev_i32_e32 v91, 31, v90
	s_delay_alu instid0(VALU_DEP_1)
	v_lshl_add_u64 v[98:99], v[90:91], 2, v[4:5]
	s_clause 0x1
	global_load_b32 v91, v[98:99], off
	global_load_b32 v97, v[4:5], off offset:80
	s_wait_loadcnt 0x1
	global_store_b32 v[4:5], v91, off offset:80
	s_wait_loadcnt 0x0
	global_store_b32 v[98:99], v97, off
.LBB82_434:
	s_wait_xcnt 0x0
	s_or_b32 exec_lo, exec_lo, s12
	v_dual_mov_b32 v98, v90 :: v_dual_mov_b32 v97, v90
.LBB82_435:
	s_or_b32 exec_lo, exec_lo, s1
.LBB82_436:
	s_and_not1_saveexec_b32 s0, s0
	s_cbranch_execz .LBB82_438
; %bb.437:
	v_mov_b32_e32 v98, 20
	ds_store_2addr_b64 v94, v[44:45], v[46:47] offset0:21 offset1:22
	ds_store_2addr_b64 v94, v[42:43], v[72:73] offset0:23 offset1:24
	;; [unrolled: 1-line block ×10, first 2 shown]
	ds_store_b64 v94, v[88:89] offset:328
.LBB82_438:
	s_or_b32 exec_lo, exec_lo, s0
	s_delay_alu instid0(SALU_CYCLE_1)
	s_mov_b32 s0, exec_lo
	s_wait_storecnt_dscnt 0x0
	s_barrier_signal -1
	s_barrier_wait -1
	v_cmpx_lt_i32_e32 20, v98
	s_cbranch_execz .LBB82_440
; %bb.439:
	v_pk_mul_f32 v[100:101], v[92:93], v[74:75] op_sel:[1,1] op_sel_hi:[0,1]
	s_delay_alu instid0(VALU_DEP_1)
	v_pk_fma_f32 v[90:91], v[92:93], v[74:75], v[100:101] op_sel_hi:[1,0,1] neg_lo:[0,0,1] neg_hi:[0,0,1]
	v_pk_fma_f32 v[92:93], v[92:93], v[74:75], v[100:101] op_sel_hi:[1,0,1]
	ds_load_2addr_b64 v[100:103], v94 offset0:21 offset1:22
	v_dual_mov_b32 v74, v90 :: v_dual_mov_b32 v75, v93
	s_wait_dscnt 0x0
	v_pk_mul_f32 v[104:105], v[100:101], v[92:93] op_sel:[0,1]
	s_delay_alu instid0(VALU_DEP_1) | instskip(SKIP_1) | instid1(VALU_DEP_1)
	v_pk_fma_f32 v[106:107], v[100:101], v[90:91], v[104:105] op_sel:[0,0,1] op_sel_hi:[1,1,0] neg_lo:[0,0,1] neg_hi:[0,0,1]
	v_pk_fma_f32 v[100:101], v[100:101], v[90:91], v[104:105] op_sel:[0,0,1] op_sel_hi:[1,0,0]
	v_mov_b32_e32 v107, v101
	v_pk_mul_f32 v[100:101], v[102:103], v[92:93] op_sel:[0,1]
	s_delay_alu instid0(VALU_DEP_1) | instskip(SKIP_1) | instid1(VALU_DEP_1)
	v_pk_fma_f32 v[104:105], v[102:103], v[90:91], v[100:101] op_sel:[0,0,1] op_sel_hi:[1,1,0] neg_lo:[0,0,1] neg_hi:[0,0,1]
	v_pk_fma_f32 v[100:101], v[102:103], v[90:91], v[100:101] op_sel:[0,0,1] op_sel_hi:[1,0,0]
	v_mov_b32_e32 v105, v101
	ds_load_2addr_b64 v[100:103], v94 offset0:23 offset1:24
	v_pk_add_f32 v[44:45], v[44:45], v[106:107] neg_lo:[0,1] neg_hi:[0,1]
	v_pk_add_f32 v[46:47], v[46:47], v[104:105] neg_lo:[0,1] neg_hi:[0,1]
	s_wait_dscnt 0x0
	v_pk_mul_f32 v[104:105], v[100:101], v[92:93] op_sel:[0,1]
	s_delay_alu instid0(VALU_DEP_1) | instskip(SKIP_2) | instid1(VALU_DEP_2)
	v_pk_fma_f32 v[106:107], v[100:101], v[90:91], v[104:105] op_sel:[0,0,1] op_sel_hi:[1,1,0] neg_lo:[0,0,1] neg_hi:[0,0,1]
	v_pk_fma_f32 v[100:101], v[100:101], v[90:91], v[104:105] op_sel:[0,0,1] op_sel_hi:[1,0,0]
	v_dual_mul_f32 v104, v103, v93 :: v_dual_mov_b32 v100, v103
	v_dual_mov_b32 v107, v101 :: v_dual_mov_b32 v101, v102
	s_delay_alu instid0(VALU_DEP_2) | instskip(SKIP_1) | instid1(VALU_DEP_3)
	v_pk_fma_f32 v[104:105], v[102:103], v[74:75], v[104:105] op_sel_hi:[1,1,0] neg_lo:[0,0,1] neg_hi:[0,0,1]
	v_mul_f32_e32 v102, v103, v90
	v_pk_add_f32 v[42:43], v[42:43], v[106:107] neg_lo:[0,1] neg_hi:[0,1]
	s_delay_alu instid0(VALU_DEP_2) | instskip(NEXT) | instid1(VALU_DEP_1)
	v_pk_fma_f32 v[100:101], v[100:101], v[74:75], v[102:103] op_sel_hi:[1,1,0]
	v_mov_b32_e32 v105, v101
	ds_load_2addr_b64 v[100:103], v94 offset0:25 offset1:26
	v_pk_add_f32 v[72:73], v[72:73], v[104:105] neg_lo:[0,1] neg_hi:[0,1]
	s_wait_dscnt 0x0
	v_pk_mul_f32 v[104:105], v[100:101], v[92:93] op_sel:[0,1]
	s_delay_alu instid0(VALU_DEP_1) | instskip(SKIP_1) | instid1(VALU_DEP_1)
	v_pk_fma_f32 v[106:107], v[100:101], v[90:91], v[104:105] op_sel:[0,0,1] op_sel_hi:[1,1,0] neg_lo:[0,0,1] neg_hi:[0,0,1]
	v_pk_fma_f32 v[100:101], v[100:101], v[90:91], v[104:105] op_sel:[0,0,1] op_sel_hi:[1,0,0]
	v_mov_b32_e32 v107, v101
	v_pk_mul_f32 v[100:101], v[102:103], v[92:93] op_sel:[0,1]
	s_delay_alu instid0(VALU_DEP_1) | instskip(SKIP_1) | instid1(VALU_DEP_1)
	v_pk_fma_f32 v[104:105], v[102:103], v[90:91], v[100:101] op_sel:[0,0,1] op_sel_hi:[1,1,0] neg_lo:[0,0,1] neg_hi:[0,0,1]
	v_pk_fma_f32 v[100:101], v[102:103], v[90:91], v[100:101] op_sel:[0,0,1] op_sel_hi:[1,0,0]
	v_mov_b32_e32 v105, v101
	ds_load_2addr_b64 v[100:103], v94 offset0:27 offset1:28
	v_pk_add_f32 v[36:37], v[36:37], v[106:107] neg_lo:[0,1] neg_hi:[0,1]
	v_pk_add_f32 v[38:39], v[38:39], v[104:105] neg_lo:[0,1] neg_hi:[0,1]
	s_wait_dscnt 0x0
	v_pk_mul_f32 v[104:105], v[100:101], v[92:93] op_sel:[0,1]
	s_delay_alu instid0(VALU_DEP_1) | instskip(SKIP_1) | instid1(VALU_DEP_1)
	v_pk_fma_f32 v[106:107], v[100:101], v[90:91], v[104:105] op_sel:[0,0,1] op_sel_hi:[1,1,0] neg_lo:[0,0,1] neg_hi:[0,0,1]
	v_pk_fma_f32 v[100:101], v[100:101], v[90:91], v[104:105] op_sel:[0,0,1] op_sel_hi:[1,0,0]
	v_mov_b32_e32 v107, v101
	v_pk_mul_f32 v[100:101], v[102:103], v[92:93] op_sel:[0,1]
	s_delay_alu instid0(VALU_DEP_1) | instskip(SKIP_1) | instid1(VALU_DEP_1)
	v_pk_fma_f32 v[104:105], v[102:103], v[90:91], v[100:101] op_sel:[0,0,1] op_sel_hi:[1,1,0] neg_lo:[0,0,1] neg_hi:[0,0,1]
	v_pk_fma_f32 v[100:101], v[102:103], v[90:91], v[100:101] op_sel:[0,0,1] op_sel_hi:[1,0,0]
	v_mov_b32_e32 v105, v101
	ds_load_2addr_b64 v[100:103], v94 offset0:29 offset1:30
	v_pk_add_f32 v[34:35], v[34:35], v[106:107] neg_lo:[0,1] neg_hi:[0,1]
	v_pk_add_f32 v[70:71], v[70:71], v[104:105] neg_lo:[0,1] neg_hi:[0,1]
	s_wait_dscnt 0x0
	v_dual_mul_f32 v104, v101, v93 :: v_dual_mul_f32 v106, v101, v90
	s_delay_alu instid0(VALU_DEP_1) | instskip(NEXT) | instid1(VALU_DEP_2)
	v_pk_fma_f32 v[104:105], v[100:101], v[74:75], v[104:105] op_sel_hi:[1,1,0] neg_lo:[0,0,1] neg_hi:[0,0,1]
	v_pk_fma_f32 v[100:101], v[100:101], v[74:75], v[106:107] op_sel:[1,0,0] op_sel_hi:[0,1,0]
	s_delay_alu instid0(VALU_DEP_1) | instskip(SKIP_1) | instid1(VALU_DEP_2)
	v_mov_b32_e32 v105, v101
	v_pk_mul_f32 v[100:101], v[102:103], v[92:93] op_sel:[0,1]
	v_pk_add_f32 v[30:31], v[30:31], v[104:105] neg_lo:[0,1] neg_hi:[0,1]
	s_delay_alu instid0(VALU_DEP_2) | instskip(SKIP_1) | instid1(VALU_DEP_1)
	v_pk_fma_f32 v[104:105], v[102:103], v[90:91], v[100:101] op_sel:[0,0,1] op_sel_hi:[1,1,0] neg_lo:[0,0,1] neg_hi:[0,0,1]
	v_pk_fma_f32 v[100:101], v[102:103], v[90:91], v[100:101] op_sel:[0,0,1] op_sel_hi:[1,0,0]
	v_mov_b32_e32 v105, v101
	ds_load_2addr_b64 v[100:103], v94 offset0:31 offset1:32
	v_pk_add_f32 v[32:33], v[32:33], v[104:105] neg_lo:[0,1] neg_hi:[0,1]
	s_wait_dscnt 0x0
	v_pk_mul_f32 v[104:105], v[100:101], v[92:93] op_sel:[0,1]
	s_delay_alu instid0(VALU_DEP_1) | instskip(SKIP_1) | instid1(VALU_DEP_1)
	v_pk_fma_f32 v[106:107], v[100:101], v[90:91], v[104:105] op_sel:[0,0,1] op_sel_hi:[1,1,0] neg_lo:[0,0,1] neg_hi:[0,0,1]
	v_pk_fma_f32 v[100:101], v[100:101], v[90:91], v[104:105] op_sel:[0,0,1] op_sel_hi:[1,0,0]
	v_mov_b32_e32 v107, v101
	v_pk_mul_f32 v[100:101], v[102:103], v[92:93] op_sel:[0,1]
	s_delay_alu instid0(VALU_DEP_2) | instskip(NEXT) | instid1(VALU_DEP_2)
	v_pk_add_f32 v[28:29], v[28:29], v[106:107] neg_lo:[0,1] neg_hi:[0,1]
	v_pk_fma_f32 v[104:105], v[102:103], v[90:91], v[100:101] op_sel:[0,0,1] op_sel_hi:[1,1,0] neg_lo:[0,0,1] neg_hi:[0,0,1]
	v_pk_fma_f32 v[100:101], v[102:103], v[90:91], v[100:101] op_sel:[0,0,1] op_sel_hi:[1,0,0]
	s_delay_alu instid0(VALU_DEP_1) | instskip(SKIP_4) | instid1(VALU_DEP_1)
	v_mov_b32_e32 v105, v101
	ds_load_2addr_b64 v[100:103], v94 offset0:33 offset1:34
	v_pk_add_f32 v[64:65], v[64:65], v[104:105] neg_lo:[0,1] neg_hi:[0,1]
	s_wait_dscnt 0x0
	v_pk_mul_f32 v[104:105], v[100:101], v[92:93] op_sel:[0,1]
	v_pk_fma_f32 v[106:107], v[100:101], v[90:91], v[104:105] op_sel:[0,0,1] op_sel_hi:[1,1,0] neg_lo:[0,0,1] neg_hi:[0,0,1]
	v_pk_fma_f32 v[100:101], v[100:101], v[90:91], v[104:105] op_sel:[0,0,1] op_sel_hi:[1,0,0]
	v_dual_mul_f32 v104, v103, v93 :: v_dual_mov_b32 v100, v103
	s_delay_alu instid0(VALU_DEP_2) | instskip(NEXT) | instid1(VALU_DEP_2)
	v_dual_mov_b32 v107, v101 :: v_dual_mov_b32 v101, v102
	v_pk_fma_f32 v[104:105], v[102:103], v[74:75], v[104:105] op_sel_hi:[1,1,0] neg_lo:[0,0,1] neg_hi:[0,0,1]
	v_mul_f32_e32 v102, v103, v90
	s_delay_alu instid0(VALU_DEP_3) | instskip(NEXT) | instid1(VALU_DEP_2)
	v_pk_add_f32 v[10:11], v[10:11], v[106:107] neg_lo:[0,1] neg_hi:[0,1]
	v_pk_fma_f32 v[100:101], v[100:101], v[74:75], v[102:103] op_sel_hi:[1,1,0]
	s_delay_alu instid0(VALU_DEP_1) | instskip(SKIP_4) | instid1(VALU_DEP_1)
	v_mov_b32_e32 v105, v101
	ds_load_2addr_b64 v[100:103], v94 offset0:35 offset1:36
	v_pk_add_f32 v[12:13], v[12:13], v[104:105] neg_lo:[0,1] neg_hi:[0,1]
	s_wait_dscnt 0x0
	v_pk_mul_f32 v[104:105], v[100:101], v[92:93] op_sel:[0,1]
	v_pk_fma_f32 v[106:107], v[100:101], v[90:91], v[104:105] op_sel:[0,0,1] op_sel_hi:[1,1,0] neg_lo:[0,0,1] neg_hi:[0,0,1]
	v_pk_fma_f32 v[100:101], v[100:101], v[90:91], v[104:105] op_sel:[0,0,1] op_sel_hi:[1,0,0]
	s_delay_alu instid0(VALU_DEP_1) | instskip(SKIP_1) | instid1(VALU_DEP_1)
	v_mov_b32_e32 v107, v101
	v_pk_mul_f32 v[100:101], v[102:103], v[92:93] op_sel:[0,1]
	v_pk_fma_f32 v[104:105], v[102:103], v[90:91], v[100:101] op_sel:[0,0,1] op_sel_hi:[1,1,0] neg_lo:[0,0,1] neg_hi:[0,0,1]
	v_pk_fma_f32 v[100:101], v[102:103], v[90:91], v[100:101] op_sel:[0,0,1] op_sel_hi:[1,0,0]
	s_delay_alu instid0(VALU_DEP_1)
	v_mov_b32_e32 v105, v101
	ds_load_2addr_b64 v[100:103], v94 offset0:37 offset1:38
	v_pk_add_f32 v[8:9], v[8:9], v[106:107] neg_lo:[0,1] neg_hi:[0,1]
	v_pk_add_f32 v[62:63], v[62:63], v[104:105] neg_lo:[0,1] neg_hi:[0,1]
	s_wait_dscnt 0x0
	v_pk_mul_f32 v[104:105], v[100:101], v[92:93] op_sel:[0,1]
	s_delay_alu instid0(VALU_DEP_1) | instskip(SKIP_1) | instid1(VALU_DEP_1)
	v_pk_fma_f32 v[106:107], v[100:101], v[90:91], v[104:105] op_sel:[0,0,1] op_sel_hi:[1,1,0] neg_lo:[0,0,1] neg_hi:[0,0,1]
	v_pk_fma_f32 v[100:101], v[100:101], v[90:91], v[104:105] op_sel:[0,0,1] op_sel_hi:[1,0,0]
	v_mov_b32_e32 v107, v101
	v_pk_mul_f32 v[100:101], v[102:103], v[92:93] op_sel:[0,1]
	s_delay_alu instid0(VALU_DEP_1) | instskip(SKIP_1) | instid1(VALU_DEP_1)
	v_pk_fma_f32 v[104:105], v[102:103], v[90:91], v[100:101] op_sel:[0,0,1] op_sel_hi:[1,1,0] neg_lo:[0,0,1] neg_hi:[0,0,1]
	v_pk_fma_f32 v[100:101], v[102:103], v[90:91], v[100:101] op_sel:[0,0,1] op_sel_hi:[1,0,0]
	v_mov_b32_e32 v105, v101
	ds_load_2addr_b64 v[100:103], v94 offset0:39 offset1:40
	v_pk_add_f32 v[6:7], v[6:7], v[106:107] neg_lo:[0,1] neg_hi:[0,1]
	v_pk_add_f32 v[54:55], v[54:55], v[104:105] neg_lo:[0,1] neg_hi:[0,1]
	s_wait_dscnt 0x0
	v_dual_mul_f32 v104, v101, v93 :: v_dual_mul_f32 v106, v101, v90
	s_delay_alu instid0(VALU_DEP_1) | instskip(NEXT) | instid1(VALU_DEP_2)
	v_pk_fma_f32 v[104:105], v[100:101], v[74:75], v[104:105] op_sel_hi:[1,1,0] neg_lo:[0,0,1] neg_hi:[0,0,1]
	v_pk_fma_f32 v[100:101], v[100:101], v[74:75], v[106:107] op_sel:[1,0,0] op_sel_hi:[0,1,0]
	s_delay_alu instid0(VALU_DEP_1) | instskip(SKIP_1) | instid1(VALU_DEP_2)
	v_mov_b32_e32 v105, v101
	v_pk_mul_f32 v[100:101], v[102:103], v[92:93] op_sel:[0,1]
	v_pk_add_f32 v[40:41], v[40:41], v[104:105] neg_lo:[0,1] neg_hi:[0,1]
	s_delay_alu instid0(VALU_DEP_2) | instskip(SKIP_1) | instid1(VALU_DEP_1)
	v_pk_fma_f32 v[104:105], v[102:103], v[90:91], v[100:101] op_sel:[0,0,1] op_sel_hi:[1,1,0] neg_lo:[0,0,1] neg_hi:[0,0,1]
	v_pk_fma_f32 v[100:101], v[102:103], v[90:91], v[100:101] op_sel:[0,0,1] op_sel_hi:[1,0,0]
	v_mov_b32_e32 v105, v101
	ds_load_b64 v[100:101], v94 offset:328
	v_pk_add_f32 v[24:25], v[24:25], v[104:105] neg_lo:[0,1] neg_hi:[0,1]
	s_wait_dscnt 0x0
	v_pk_mul_f32 v[92:93], v[100:101], v[92:93] op_sel:[0,1]
	s_delay_alu instid0(VALU_DEP_1) | instskip(SKIP_1) | instid1(VALU_DEP_1)
	v_pk_fma_f32 v[102:103], v[100:101], v[90:91], v[92:93] op_sel:[0,0,1] op_sel_hi:[1,1,0] neg_lo:[0,0,1] neg_hi:[0,0,1]
	v_pk_fma_f32 v[90:91], v[100:101], v[90:91], v[92:93] op_sel:[0,0,1] op_sel_hi:[1,0,0]
	v_mov_b32_e32 v103, v91
	s_delay_alu instid0(VALU_DEP_1)
	v_pk_add_f32 v[88:89], v[88:89], v[102:103] neg_lo:[0,1] neg_hi:[0,1]
.LBB82_440:
	s_or_b32 exec_lo, exec_lo, s0
	v_lshl_add_u32 v90, v98, 3, v94
	s_barrier_signal -1
	s_barrier_wait -1
	ds_store_b64 v90, v[44:45]
	s_wait_dscnt 0x0
	s_barrier_signal -1
	s_barrier_wait -1
	ds_load_b64 v[92:93], v94 offset:168
	v_mov_b32_e32 v90, 21
	s_cmp_lt_i32 s18, 23
	s_cbranch_scc1 .LBB82_443
; %bb.441:
	v_add3_u32 v91, v95, 0, 0xb0
	v_mov_b32_e32 v90, 21
	s_mov_b32 s0, 22
.LBB82_442:                             ; =>This Inner Loop Header: Depth=1
	ds_load_b64 v[100:101], v91
	s_wait_dscnt 0x1
	v_cmp_gt_f32_e32 vcc_lo, 0, v92
	v_cndmask_b32_e64 v102, v92, -v92, vcc_lo
	v_cmp_gt_f32_e32 vcc_lo, 0, v93
	v_cndmask_b32_e64 v104, v93, -v93, vcc_lo
	s_wait_dscnt 0x0
	v_cmp_gt_f32_e32 vcc_lo, 0, v100
	v_cndmask_b32_e64 v103, v100, -v100, vcc_lo
	v_cmp_gt_f32_e32 vcc_lo, 0, v101
	v_cndmask_b32_e64 v105, v101, -v101, vcc_lo
	s_delay_alu instid0(VALU_DEP_1) | instskip(NEXT) | instid1(VALU_DEP_1)
	v_pk_add_f32 v[102:103], v[102:103], v[104:105]
	v_cmp_lt_f32_e32 vcc_lo, v102, v103
	v_dual_add_nc_u32 v91, 8, v91 :: v_dual_cndmask_b32 v93, v93, v101, vcc_lo
	v_cndmask_b32_e32 v92, v92, v100, vcc_lo
	v_cndmask_b32_e64 v90, v90, s0, vcc_lo
	s_add_co_i32 s0, s0, 1
	s_delay_alu instid0(SALU_CYCLE_1)
	s_cmp_lg_u32 s18, s0
	s_cbranch_scc1 .LBB82_442
.LBB82_443:
	s_wait_dscnt 0x0
	v_cmp_eq_f32_e32 vcc_lo, 0, v92
	v_cmp_eq_f32_e64 s0, 0, v93
	s_and_b32 s0, vcc_lo, s0
	s_delay_alu instid0(SALU_CYCLE_1) | instskip(NEXT) | instid1(SALU_CYCLE_1)
	s_and_saveexec_b32 s1, s0
	s_xor_b32 s0, exec_lo, s1
; %bb.444:
	v_cmp_ne_u32_e32 vcc_lo, 0, v96
	v_cndmask_b32_e32 v96, 22, v96, vcc_lo
; %bb.445:
	s_and_not1_saveexec_b32 s0, s0
	s_cbranch_execz .LBB82_451
; %bb.446:
	v_cmp_ngt_f32_e64 s1, |v92|, |v93|
	s_and_saveexec_b32 s12, s1
	s_delay_alu instid0(SALU_CYCLE_1)
	s_xor_b32 s1, exec_lo, s12
	s_cbranch_execz .LBB82_448
; %bb.447:
	v_div_scale_f32 v91, null, v93, v93, v92
	v_div_scale_f32 v101, vcc_lo, v92, v93, v92
	s_delay_alu instid0(VALU_DEP_2) | instskip(SKIP_1) | instid1(TRANS32_DEP_1)
	v_rcp_f32_e32 v99, v91
	v_nop
	v_fma_f32 v100, -v91, v99, 1.0
	s_delay_alu instid0(VALU_DEP_1) | instskip(NEXT) | instid1(VALU_DEP_1)
	v_fmac_f32_e32 v99, v100, v99
	v_mul_f32_e32 v100, v101, v99
	s_delay_alu instid0(VALU_DEP_1) | instskip(NEXT) | instid1(VALU_DEP_1)
	v_fma_f32 v102, -v91, v100, v101
	v_fmac_f32_e32 v100, v102, v99
	s_delay_alu instid0(VALU_DEP_1) | instskip(NEXT) | instid1(VALU_DEP_1)
	v_fma_f32 v91, -v91, v100, v101
	v_div_fmas_f32 v91, v91, v99, v100
	s_delay_alu instid0(VALU_DEP_1) | instskip(NEXT) | instid1(VALU_DEP_1)
	v_div_fixup_f32 v91, v91, v93, v92
	v_fmac_f32_e32 v93, v92, v91
	s_delay_alu instid0(VALU_DEP_1) | instskip(SKIP_1) | instid1(VALU_DEP_2)
	v_div_scale_f32 v92, null, v93, v93, 1.0
	v_div_scale_f32 v101, vcc_lo, 1.0, v93, 1.0
	v_rcp_f32_e32 v99, v92
	v_nop
	s_delay_alu instid0(TRANS32_DEP_1) | instskip(NEXT) | instid1(VALU_DEP_1)
	v_fma_f32 v100, -v92, v99, 1.0
	v_fmac_f32_e32 v99, v100, v99
	s_delay_alu instid0(VALU_DEP_1) | instskip(NEXT) | instid1(VALU_DEP_1)
	v_mul_f32_e32 v100, v101, v99
	v_fma_f32 v102, -v92, v100, v101
	s_delay_alu instid0(VALU_DEP_1) | instskip(NEXT) | instid1(VALU_DEP_1)
	v_fmac_f32_e32 v100, v102, v99
	v_fma_f32 v92, -v92, v100, v101
	s_delay_alu instid0(VALU_DEP_1) | instskip(NEXT) | instid1(VALU_DEP_1)
	v_div_fmas_f32 v92, v92, v99, v100
	v_div_fixup_f32 v93, v92, v93, 1.0
	s_delay_alu instid0(VALU_DEP_1)
	v_mul_f32_e32 v92, v91, v93
	v_xor_b32_e32 v93, 0x80000000, v93
.LBB82_448:
	s_and_not1_saveexec_b32 s1, s1
	s_cbranch_execz .LBB82_450
; %bb.449:
	s_delay_alu instid0(VALU_DEP_1) | instskip(SKIP_1) | instid1(VALU_DEP_2)
	v_div_scale_f32 v91, null, v92, v92, v93
	v_div_scale_f32 v101, vcc_lo, v93, v92, v93
	v_rcp_f32_e32 v99, v91
	v_nop
	s_delay_alu instid0(TRANS32_DEP_1) | instskip(NEXT) | instid1(VALU_DEP_1)
	v_fma_f32 v100, -v91, v99, 1.0
	v_fmac_f32_e32 v99, v100, v99
	s_delay_alu instid0(VALU_DEP_1) | instskip(NEXT) | instid1(VALU_DEP_1)
	v_mul_f32_e32 v100, v101, v99
	v_fma_f32 v102, -v91, v100, v101
	s_delay_alu instid0(VALU_DEP_1) | instskip(NEXT) | instid1(VALU_DEP_1)
	v_fmac_f32_e32 v100, v102, v99
	v_fma_f32 v91, -v91, v100, v101
	s_delay_alu instid0(VALU_DEP_1) | instskip(NEXT) | instid1(VALU_DEP_1)
	v_div_fmas_f32 v91, v91, v99, v100
	v_div_fixup_f32 v91, v91, v92, v93
	s_delay_alu instid0(VALU_DEP_1) | instskip(NEXT) | instid1(VALU_DEP_1)
	v_fmac_f32_e32 v92, v93, v91
	v_div_scale_f32 v93, null, v92, v92, 1.0
	s_delay_alu instid0(VALU_DEP_1) | instskip(SKIP_1) | instid1(TRANS32_DEP_1)
	v_rcp_f32_e32 v99, v93
	v_nop
	v_fma_f32 v100, -v93, v99, 1.0
	s_delay_alu instid0(VALU_DEP_1) | instskip(SKIP_1) | instid1(VALU_DEP_1)
	v_fmac_f32_e32 v99, v100, v99
	v_div_scale_f32 v100, vcc_lo, 1.0, v92, 1.0
	v_mul_f32_e32 v101, v100, v99
	s_delay_alu instid0(VALU_DEP_1) | instskip(NEXT) | instid1(VALU_DEP_1)
	v_fma_f32 v102, -v93, v101, v100
	v_fmac_f32_e32 v101, v102, v99
	s_delay_alu instid0(VALU_DEP_1) | instskip(NEXT) | instid1(VALU_DEP_1)
	v_fma_f32 v93, -v93, v101, v100
	v_div_fmas_f32 v93, v93, v99, v101
	s_delay_alu instid0(VALU_DEP_1) | instskip(NEXT) | instid1(VALU_DEP_1)
	v_div_fixup_f32 v92, v93, v92, 1.0
	v_mul_f32_e64 v93, v91, -v92
.LBB82_450:
	s_or_b32 exec_lo, exec_lo, s1
.LBB82_451:
	s_delay_alu instid0(SALU_CYCLE_1) | instskip(NEXT) | instid1(SALU_CYCLE_1)
	s_or_b32 exec_lo, exec_lo, s0
	s_mov_b32 s0, exec_lo
	v_cmpx_ne_u32_e64 v98, v90
	s_xor_b32 s0, exec_lo, s0
	s_cbranch_execz .LBB82_457
; %bb.452:
	s_mov_b32 s1, exec_lo
	v_cmpx_eq_u32_e32 21, v98
	s_cbranch_execz .LBB82_456
; %bb.453:
	v_cmp_ne_u32_e32 vcc_lo, 21, v90
	s_xor_b32 s12, s16, -1
	s_delay_alu instid0(SALU_CYCLE_1) | instskip(NEXT) | instid1(SALU_CYCLE_1)
	s_and_b32 s13, s12, vcc_lo
	s_and_saveexec_b32 s12, s13
	s_cbranch_execz .LBB82_455
; %bb.454:
	v_ashrrev_i32_e32 v91, 31, v90
	s_delay_alu instid0(VALU_DEP_1)
	v_lshl_add_u64 v[98:99], v[90:91], 2, v[4:5]
	s_clause 0x1
	global_load_b32 v91, v[98:99], off
	global_load_b32 v97, v[4:5], off offset:84
	s_wait_loadcnt 0x1
	global_store_b32 v[4:5], v91, off offset:84
	s_wait_loadcnt 0x0
	global_store_b32 v[98:99], v97, off
.LBB82_455:
	s_wait_xcnt 0x0
	s_or_b32 exec_lo, exec_lo, s12
	v_dual_mov_b32 v98, v90 :: v_dual_mov_b32 v97, v90
.LBB82_456:
	s_or_b32 exec_lo, exec_lo, s1
.LBB82_457:
	s_and_not1_saveexec_b32 s0, s0
	s_cbranch_execz .LBB82_459
; %bb.458:
	v_dual_mov_b32 v90, v46 :: v_dual_mov_b32 v91, v47
	v_dual_mov_b32 v98, v42 :: v_dual_mov_b32 v99, v43
	ds_store_2addr_b64 v94, v[90:91], v[98:99] offset0:22 offset1:23
	v_dual_mov_b32 v90, v72 :: v_dual_mov_b32 v91, v73
	v_dual_mov_b32 v98, v36 :: v_dual_mov_b32 v99, v37
	ds_store_2addr_b64 v94, v[90:91], v[98:99] offset0:24 offset1:25
	;; [unrolled: 3-line block ×9, first 2 shown]
	v_dual_mov_b32 v90, v24 :: v_dual_mov_b32 v91, v25
	v_mov_b32_e32 v98, 21
	ds_store_2addr_b64 v94, v[90:91], v[88:89] offset0:40 offset1:41
.LBB82_459:
	s_or_b32 exec_lo, exec_lo, s0
	s_delay_alu instid0(SALU_CYCLE_1)
	s_mov_b32 s0, exec_lo
	s_wait_storecnt_dscnt 0x0
	s_barrier_signal -1
	s_barrier_wait -1
	v_cmpx_lt_i32_e32 21, v98
	s_cbranch_execz .LBB82_461
; %bb.460:
	v_pk_mul_f32 v[100:101], v[92:93], v[44:45] op_sel:[1,1] op_sel_hi:[0,1]
	s_delay_alu instid0(VALU_DEP_1)
	v_pk_fma_f32 v[90:91], v[92:93], v[44:45], v[100:101] op_sel_hi:[1,0,1] neg_lo:[0,0,1] neg_hi:[0,0,1]
	v_pk_fma_f32 v[92:93], v[92:93], v[44:45], v[100:101] op_sel_hi:[1,0,1]
	ds_load_2addr_b64 v[100:103], v94 offset0:22 offset1:23
	v_dual_mov_b32 v44, v90 :: v_dual_mov_b32 v45, v93
	s_wait_dscnt 0x0
	v_pk_mul_f32 v[104:105], v[100:101], v[92:93] op_sel:[0,1]
	s_delay_alu instid0(VALU_DEP_1) | instskip(SKIP_1) | instid1(VALU_DEP_1)
	v_pk_fma_f32 v[106:107], v[100:101], v[90:91], v[104:105] op_sel:[0,0,1] op_sel_hi:[1,1,0] neg_lo:[0,0,1] neg_hi:[0,0,1]
	v_pk_fma_f32 v[100:101], v[100:101], v[90:91], v[104:105] op_sel:[0,0,1] op_sel_hi:[1,0,0]
	v_mov_b32_e32 v107, v101
	v_pk_mul_f32 v[100:101], v[102:103], v[92:93] op_sel:[0,1]
	s_delay_alu instid0(VALU_DEP_1) | instskip(SKIP_1) | instid1(VALU_DEP_1)
	v_pk_fma_f32 v[104:105], v[102:103], v[90:91], v[100:101] op_sel:[0,0,1] op_sel_hi:[1,1,0] neg_lo:[0,0,1] neg_hi:[0,0,1]
	v_pk_fma_f32 v[100:101], v[102:103], v[90:91], v[100:101] op_sel:[0,0,1] op_sel_hi:[1,0,0]
	v_mov_b32_e32 v105, v101
	ds_load_2addr_b64 v[100:103], v94 offset0:24 offset1:25
	v_pk_add_f32 v[46:47], v[46:47], v[106:107] neg_lo:[0,1] neg_hi:[0,1]
	v_pk_add_f32 v[42:43], v[42:43], v[104:105] neg_lo:[0,1] neg_hi:[0,1]
	s_wait_dscnt 0x0
	v_pk_mul_f32 v[104:105], v[100:101], v[92:93] op_sel:[0,1]
	s_delay_alu instid0(VALU_DEP_1) | instskip(SKIP_2) | instid1(VALU_DEP_2)
	v_pk_fma_f32 v[106:107], v[100:101], v[90:91], v[104:105] op_sel:[0,0,1] op_sel_hi:[1,1,0] neg_lo:[0,0,1] neg_hi:[0,0,1]
	v_pk_fma_f32 v[100:101], v[100:101], v[90:91], v[104:105] op_sel:[0,0,1] op_sel_hi:[1,0,0]
	v_dual_mul_f32 v104, v103, v93 :: v_dual_mov_b32 v100, v103
	v_dual_mov_b32 v107, v101 :: v_dual_mov_b32 v101, v102
	s_delay_alu instid0(VALU_DEP_2) | instskip(SKIP_1) | instid1(VALU_DEP_3)
	v_pk_fma_f32 v[104:105], v[102:103], v[44:45], v[104:105] op_sel_hi:[1,1,0] neg_lo:[0,0,1] neg_hi:[0,0,1]
	v_mul_f32_e32 v102, v103, v90
	v_pk_add_f32 v[72:73], v[72:73], v[106:107] neg_lo:[0,1] neg_hi:[0,1]
	s_delay_alu instid0(VALU_DEP_2) | instskip(NEXT) | instid1(VALU_DEP_1)
	v_pk_fma_f32 v[100:101], v[100:101], v[44:45], v[102:103] op_sel_hi:[1,1,0]
	v_mov_b32_e32 v105, v101
	ds_load_2addr_b64 v[100:103], v94 offset0:26 offset1:27
	v_pk_add_f32 v[36:37], v[36:37], v[104:105] neg_lo:[0,1] neg_hi:[0,1]
	s_wait_dscnt 0x0
	v_pk_mul_f32 v[104:105], v[100:101], v[92:93] op_sel:[0,1]
	s_delay_alu instid0(VALU_DEP_1) | instskip(SKIP_1) | instid1(VALU_DEP_1)
	v_pk_fma_f32 v[106:107], v[100:101], v[90:91], v[104:105] op_sel:[0,0,1] op_sel_hi:[1,1,0] neg_lo:[0,0,1] neg_hi:[0,0,1]
	v_pk_fma_f32 v[100:101], v[100:101], v[90:91], v[104:105] op_sel:[0,0,1] op_sel_hi:[1,0,0]
	v_mov_b32_e32 v107, v101
	v_pk_mul_f32 v[100:101], v[102:103], v[92:93] op_sel:[0,1]
	s_delay_alu instid0(VALU_DEP_1) | instskip(SKIP_1) | instid1(VALU_DEP_1)
	v_pk_fma_f32 v[104:105], v[102:103], v[90:91], v[100:101] op_sel:[0,0,1] op_sel_hi:[1,1,0] neg_lo:[0,0,1] neg_hi:[0,0,1]
	v_pk_fma_f32 v[100:101], v[102:103], v[90:91], v[100:101] op_sel:[0,0,1] op_sel_hi:[1,0,0]
	v_mov_b32_e32 v105, v101
	ds_load_2addr_b64 v[100:103], v94 offset0:28 offset1:29
	v_pk_add_f32 v[38:39], v[38:39], v[106:107] neg_lo:[0,1] neg_hi:[0,1]
	v_pk_add_f32 v[34:35], v[34:35], v[104:105] neg_lo:[0,1] neg_hi:[0,1]
	s_wait_dscnt 0x0
	v_pk_mul_f32 v[104:105], v[100:101], v[92:93] op_sel:[0,1]
	s_delay_alu instid0(VALU_DEP_1) | instskip(SKIP_1) | instid1(VALU_DEP_1)
	v_pk_fma_f32 v[106:107], v[100:101], v[90:91], v[104:105] op_sel:[0,0,1] op_sel_hi:[1,1,0] neg_lo:[0,0,1] neg_hi:[0,0,1]
	v_pk_fma_f32 v[100:101], v[100:101], v[90:91], v[104:105] op_sel:[0,0,1] op_sel_hi:[1,0,0]
	v_mov_b32_e32 v107, v101
	v_pk_mul_f32 v[100:101], v[102:103], v[92:93] op_sel:[0,1]
	s_delay_alu instid0(VALU_DEP_1) | instskip(SKIP_1) | instid1(VALU_DEP_1)
	v_pk_fma_f32 v[104:105], v[102:103], v[90:91], v[100:101] op_sel:[0,0,1] op_sel_hi:[1,1,0] neg_lo:[0,0,1] neg_hi:[0,0,1]
	v_pk_fma_f32 v[100:101], v[102:103], v[90:91], v[100:101] op_sel:[0,0,1] op_sel_hi:[1,0,0]
	v_mov_b32_e32 v105, v101
	ds_load_2addr_b64 v[100:103], v94 offset0:30 offset1:31
	v_pk_add_f32 v[70:71], v[70:71], v[106:107] neg_lo:[0,1] neg_hi:[0,1]
	v_pk_add_f32 v[30:31], v[30:31], v[104:105] neg_lo:[0,1] neg_hi:[0,1]
	s_wait_dscnt 0x0
	v_dual_mul_f32 v104, v101, v93 :: v_dual_mul_f32 v106, v101, v90
	s_delay_alu instid0(VALU_DEP_1) | instskip(NEXT) | instid1(VALU_DEP_2)
	v_pk_fma_f32 v[104:105], v[100:101], v[44:45], v[104:105] op_sel_hi:[1,1,0] neg_lo:[0,0,1] neg_hi:[0,0,1]
	v_pk_fma_f32 v[100:101], v[100:101], v[44:45], v[106:107] op_sel:[1,0,0] op_sel_hi:[0,1,0]
	s_delay_alu instid0(VALU_DEP_1) | instskip(SKIP_1) | instid1(VALU_DEP_2)
	v_mov_b32_e32 v105, v101
	v_pk_mul_f32 v[100:101], v[102:103], v[92:93] op_sel:[0,1]
	v_pk_add_f32 v[32:33], v[32:33], v[104:105] neg_lo:[0,1] neg_hi:[0,1]
	s_delay_alu instid0(VALU_DEP_2) | instskip(SKIP_1) | instid1(VALU_DEP_1)
	v_pk_fma_f32 v[104:105], v[102:103], v[90:91], v[100:101] op_sel:[0,0,1] op_sel_hi:[1,1,0] neg_lo:[0,0,1] neg_hi:[0,0,1]
	v_pk_fma_f32 v[100:101], v[102:103], v[90:91], v[100:101] op_sel:[0,0,1] op_sel_hi:[1,0,0]
	v_mov_b32_e32 v105, v101
	ds_load_2addr_b64 v[100:103], v94 offset0:32 offset1:33
	v_pk_add_f32 v[28:29], v[28:29], v[104:105] neg_lo:[0,1] neg_hi:[0,1]
	s_wait_dscnt 0x0
	v_pk_mul_f32 v[104:105], v[100:101], v[92:93] op_sel:[0,1]
	s_delay_alu instid0(VALU_DEP_1) | instskip(SKIP_1) | instid1(VALU_DEP_1)
	v_pk_fma_f32 v[106:107], v[100:101], v[90:91], v[104:105] op_sel:[0,0,1] op_sel_hi:[1,1,0] neg_lo:[0,0,1] neg_hi:[0,0,1]
	v_pk_fma_f32 v[100:101], v[100:101], v[90:91], v[104:105] op_sel:[0,0,1] op_sel_hi:[1,0,0]
	v_mov_b32_e32 v107, v101
	v_pk_mul_f32 v[100:101], v[102:103], v[92:93] op_sel:[0,1]
	s_delay_alu instid0(VALU_DEP_2) | instskip(NEXT) | instid1(VALU_DEP_2)
	v_pk_add_f32 v[64:65], v[64:65], v[106:107] neg_lo:[0,1] neg_hi:[0,1]
	v_pk_fma_f32 v[104:105], v[102:103], v[90:91], v[100:101] op_sel:[0,0,1] op_sel_hi:[1,1,0] neg_lo:[0,0,1] neg_hi:[0,0,1]
	v_pk_fma_f32 v[100:101], v[102:103], v[90:91], v[100:101] op_sel:[0,0,1] op_sel_hi:[1,0,0]
	s_delay_alu instid0(VALU_DEP_1) | instskip(SKIP_4) | instid1(VALU_DEP_1)
	v_mov_b32_e32 v105, v101
	ds_load_2addr_b64 v[100:103], v94 offset0:34 offset1:35
	v_pk_add_f32 v[10:11], v[10:11], v[104:105] neg_lo:[0,1] neg_hi:[0,1]
	s_wait_dscnt 0x0
	v_pk_mul_f32 v[104:105], v[100:101], v[92:93] op_sel:[0,1]
	v_pk_fma_f32 v[106:107], v[100:101], v[90:91], v[104:105] op_sel:[0,0,1] op_sel_hi:[1,1,0] neg_lo:[0,0,1] neg_hi:[0,0,1]
	v_pk_fma_f32 v[100:101], v[100:101], v[90:91], v[104:105] op_sel:[0,0,1] op_sel_hi:[1,0,0]
	v_dual_mul_f32 v104, v103, v93 :: v_dual_mov_b32 v100, v103
	s_delay_alu instid0(VALU_DEP_2) | instskip(NEXT) | instid1(VALU_DEP_2)
	v_dual_mov_b32 v107, v101 :: v_dual_mov_b32 v101, v102
	v_pk_fma_f32 v[104:105], v[102:103], v[44:45], v[104:105] op_sel_hi:[1,1,0] neg_lo:[0,0,1] neg_hi:[0,0,1]
	v_mul_f32_e32 v102, v103, v90
	s_delay_alu instid0(VALU_DEP_3) | instskip(NEXT) | instid1(VALU_DEP_2)
	v_pk_add_f32 v[12:13], v[12:13], v[106:107] neg_lo:[0,1] neg_hi:[0,1]
	v_pk_fma_f32 v[100:101], v[100:101], v[44:45], v[102:103] op_sel_hi:[1,1,0]
	s_delay_alu instid0(VALU_DEP_1) | instskip(SKIP_4) | instid1(VALU_DEP_1)
	v_mov_b32_e32 v105, v101
	ds_load_2addr_b64 v[100:103], v94 offset0:36 offset1:37
	v_pk_add_f32 v[8:9], v[8:9], v[104:105] neg_lo:[0,1] neg_hi:[0,1]
	s_wait_dscnt 0x0
	v_pk_mul_f32 v[104:105], v[100:101], v[92:93] op_sel:[0,1]
	v_pk_fma_f32 v[106:107], v[100:101], v[90:91], v[104:105] op_sel:[0,0,1] op_sel_hi:[1,1,0] neg_lo:[0,0,1] neg_hi:[0,0,1]
	v_pk_fma_f32 v[100:101], v[100:101], v[90:91], v[104:105] op_sel:[0,0,1] op_sel_hi:[1,0,0]
	s_delay_alu instid0(VALU_DEP_1) | instskip(SKIP_1) | instid1(VALU_DEP_1)
	v_mov_b32_e32 v107, v101
	v_pk_mul_f32 v[100:101], v[102:103], v[92:93] op_sel:[0,1]
	v_pk_fma_f32 v[104:105], v[102:103], v[90:91], v[100:101] op_sel:[0,0,1] op_sel_hi:[1,1,0] neg_lo:[0,0,1] neg_hi:[0,0,1]
	v_pk_fma_f32 v[100:101], v[102:103], v[90:91], v[100:101] op_sel:[0,0,1] op_sel_hi:[1,0,0]
	s_delay_alu instid0(VALU_DEP_1)
	v_mov_b32_e32 v105, v101
	ds_load_2addr_b64 v[100:103], v94 offset0:38 offset1:39
	v_pk_add_f32 v[62:63], v[62:63], v[106:107] neg_lo:[0,1] neg_hi:[0,1]
	v_pk_add_f32 v[6:7], v[6:7], v[104:105] neg_lo:[0,1] neg_hi:[0,1]
	s_wait_dscnt 0x0
	v_pk_mul_f32 v[104:105], v[100:101], v[92:93] op_sel:[0,1]
	s_delay_alu instid0(VALU_DEP_1) | instskip(SKIP_1) | instid1(VALU_DEP_1)
	v_pk_fma_f32 v[106:107], v[100:101], v[90:91], v[104:105] op_sel:[0,0,1] op_sel_hi:[1,1,0] neg_lo:[0,0,1] neg_hi:[0,0,1]
	v_pk_fma_f32 v[100:101], v[100:101], v[90:91], v[104:105] op_sel:[0,0,1] op_sel_hi:[1,0,0]
	v_mov_b32_e32 v107, v101
	v_pk_mul_f32 v[100:101], v[102:103], v[92:93] op_sel:[0,1]
	s_delay_alu instid0(VALU_DEP_1) | instskip(SKIP_1) | instid1(VALU_DEP_1)
	v_pk_fma_f32 v[104:105], v[102:103], v[90:91], v[100:101] op_sel:[0,0,1] op_sel_hi:[1,1,0] neg_lo:[0,0,1] neg_hi:[0,0,1]
	v_pk_fma_f32 v[100:101], v[102:103], v[90:91], v[100:101] op_sel:[0,0,1] op_sel_hi:[1,0,0]
	v_mov_b32_e32 v105, v101
	ds_load_2addr_b64 v[100:103], v94 offset0:40 offset1:41
	v_pk_add_f32 v[54:55], v[54:55], v[106:107] neg_lo:[0,1] neg_hi:[0,1]
	v_pk_add_f32 v[40:41], v[40:41], v[104:105] neg_lo:[0,1] neg_hi:[0,1]
	s_wait_dscnt 0x0
	v_dual_mul_f32 v104, v101, v93 :: v_dual_mul_f32 v106, v101, v90
	v_pk_mul_f32 v[92:93], v[102:103], v[92:93] op_sel:[0,1]
	s_delay_alu instid0(VALU_DEP_2) | instskip(NEXT) | instid1(VALU_DEP_3)
	v_pk_fma_f32 v[104:105], v[100:101], v[44:45], v[104:105] op_sel_hi:[1,1,0] neg_lo:[0,0,1] neg_hi:[0,0,1]
	v_pk_fma_f32 v[100:101], v[100:101], v[44:45], v[106:107] op_sel:[1,0,0] op_sel_hi:[0,1,0]
	s_delay_alu instid0(VALU_DEP_1) | instskip(NEXT) | instid1(VALU_DEP_4)
	v_mov_b32_e32 v105, v101
	v_pk_fma_f32 v[100:101], v[102:103], v[90:91], v[92:93] op_sel:[0,0,1] op_sel_hi:[1,1,0] neg_lo:[0,0,1] neg_hi:[0,0,1]
	v_pk_fma_f32 v[90:91], v[102:103], v[90:91], v[92:93] op_sel:[0,0,1] op_sel_hi:[1,0,0]
	s_delay_alu instid0(VALU_DEP_1) | instskip(NEXT) | instid1(VALU_DEP_4)
	v_mov_b32_e32 v101, v91
	v_pk_add_f32 v[24:25], v[24:25], v[104:105] neg_lo:[0,1] neg_hi:[0,1]
	s_delay_alu instid0(VALU_DEP_2)
	v_pk_add_f32 v[88:89], v[88:89], v[100:101] neg_lo:[0,1] neg_hi:[0,1]
.LBB82_461:
	s_or_b32 exec_lo, exec_lo, s0
	v_lshl_add_u32 v90, v98, 3, v94
	s_barrier_signal -1
	s_barrier_wait -1
	ds_store_b64 v90, v[46:47]
	s_wait_dscnt 0x0
	s_barrier_signal -1
	s_barrier_wait -1
	ds_load_b64 v[92:93], v94 offset:176
	v_mov_b32_e32 v90, 22
	s_cmp_lt_i32 s18, 24
	s_cbranch_scc1 .LBB82_464
; %bb.462:
	v_add3_u32 v91, v95, 0, 0xb8
	v_mov_b32_e32 v90, 22
	s_mov_b32 s0, 23
.LBB82_463:                             ; =>This Inner Loop Header: Depth=1
	ds_load_b64 v[100:101], v91
	s_wait_dscnt 0x1
	v_cmp_gt_f32_e32 vcc_lo, 0, v92
	v_cndmask_b32_e64 v102, v92, -v92, vcc_lo
	v_cmp_gt_f32_e32 vcc_lo, 0, v93
	v_cndmask_b32_e64 v104, v93, -v93, vcc_lo
	s_wait_dscnt 0x0
	v_cmp_gt_f32_e32 vcc_lo, 0, v100
	v_cndmask_b32_e64 v103, v100, -v100, vcc_lo
	v_cmp_gt_f32_e32 vcc_lo, 0, v101
	v_cndmask_b32_e64 v105, v101, -v101, vcc_lo
	s_delay_alu instid0(VALU_DEP_1) | instskip(NEXT) | instid1(VALU_DEP_1)
	v_pk_add_f32 v[102:103], v[102:103], v[104:105]
	v_cmp_lt_f32_e32 vcc_lo, v102, v103
	v_dual_add_nc_u32 v91, 8, v91 :: v_dual_cndmask_b32 v93, v93, v101, vcc_lo
	v_cndmask_b32_e32 v92, v92, v100, vcc_lo
	v_cndmask_b32_e64 v90, v90, s0, vcc_lo
	s_add_co_i32 s0, s0, 1
	s_delay_alu instid0(SALU_CYCLE_1)
	s_cmp_lg_u32 s18, s0
	s_cbranch_scc1 .LBB82_463
.LBB82_464:
	s_wait_dscnt 0x0
	v_cmp_eq_f32_e32 vcc_lo, 0, v92
	v_cmp_eq_f32_e64 s0, 0, v93
	s_and_b32 s0, vcc_lo, s0
	s_delay_alu instid0(SALU_CYCLE_1) | instskip(NEXT) | instid1(SALU_CYCLE_1)
	s_and_saveexec_b32 s1, s0
	s_xor_b32 s0, exec_lo, s1
; %bb.465:
	v_cmp_ne_u32_e32 vcc_lo, 0, v96
	v_cndmask_b32_e32 v96, 23, v96, vcc_lo
; %bb.466:
	s_and_not1_saveexec_b32 s0, s0
	s_cbranch_execz .LBB82_472
; %bb.467:
	v_cmp_ngt_f32_e64 s1, |v92|, |v93|
	s_and_saveexec_b32 s12, s1
	s_delay_alu instid0(SALU_CYCLE_1)
	s_xor_b32 s1, exec_lo, s12
	s_cbranch_execz .LBB82_469
; %bb.468:
	v_div_scale_f32 v91, null, v93, v93, v92
	v_div_scale_f32 v101, vcc_lo, v92, v93, v92
	s_delay_alu instid0(VALU_DEP_2) | instskip(SKIP_1) | instid1(TRANS32_DEP_1)
	v_rcp_f32_e32 v99, v91
	v_nop
	v_fma_f32 v100, -v91, v99, 1.0
	s_delay_alu instid0(VALU_DEP_1) | instskip(NEXT) | instid1(VALU_DEP_1)
	v_fmac_f32_e32 v99, v100, v99
	v_mul_f32_e32 v100, v101, v99
	s_delay_alu instid0(VALU_DEP_1) | instskip(NEXT) | instid1(VALU_DEP_1)
	v_fma_f32 v102, -v91, v100, v101
	v_fmac_f32_e32 v100, v102, v99
	s_delay_alu instid0(VALU_DEP_1) | instskip(NEXT) | instid1(VALU_DEP_1)
	v_fma_f32 v91, -v91, v100, v101
	v_div_fmas_f32 v91, v91, v99, v100
	s_delay_alu instid0(VALU_DEP_1) | instskip(NEXT) | instid1(VALU_DEP_1)
	v_div_fixup_f32 v91, v91, v93, v92
	v_fmac_f32_e32 v93, v92, v91
	s_delay_alu instid0(VALU_DEP_1) | instskip(SKIP_1) | instid1(VALU_DEP_2)
	v_div_scale_f32 v92, null, v93, v93, 1.0
	v_div_scale_f32 v101, vcc_lo, 1.0, v93, 1.0
	v_rcp_f32_e32 v99, v92
	v_nop
	s_delay_alu instid0(TRANS32_DEP_1) | instskip(NEXT) | instid1(VALU_DEP_1)
	v_fma_f32 v100, -v92, v99, 1.0
	v_fmac_f32_e32 v99, v100, v99
	s_delay_alu instid0(VALU_DEP_1) | instskip(NEXT) | instid1(VALU_DEP_1)
	v_mul_f32_e32 v100, v101, v99
	v_fma_f32 v102, -v92, v100, v101
	s_delay_alu instid0(VALU_DEP_1) | instskip(NEXT) | instid1(VALU_DEP_1)
	v_fmac_f32_e32 v100, v102, v99
	v_fma_f32 v92, -v92, v100, v101
	s_delay_alu instid0(VALU_DEP_1) | instskip(NEXT) | instid1(VALU_DEP_1)
	v_div_fmas_f32 v92, v92, v99, v100
	v_div_fixup_f32 v93, v92, v93, 1.0
	s_delay_alu instid0(VALU_DEP_1)
	v_mul_f32_e32 v92, v91, v93
	v_xor_b32_e32 v93, 0x80000000, v93
.LBB82_469:
	s_and_not1_saveexec_b32 s1, s1
	s_cbranch_execz .LBB82_471
; %bb.470:
	s_delay_alu instid0(VALU_DEP_1) | instskip(SKIP_1) | instid1(VALU_DEP_2)
	v_div_scale_f32 v91, null, v92, v92, v93
	v_div_scale_f32 v101, vcc_lo, v93, v92, v93
	v_rcp_f32_e32 v99, v91
	v_nop
	s_delay_alu instid0(TRANS32_DEP_1) | instskip(NEXT) | instid1(VALU_DEP_1)
	v_fma_f32 v100, -v91, v99, 1.0
	v_fmac_f32_e32 v99, v100, v99
	s_delay_alu instid0(VALU_DEP_1) | instskip(NEXT) | instid1(VALU_DEP_1)
	v_mul_f32_e32 v100, v101, v99
	v_fma_f32 v102, -v91, v100, v101
	s_delay_alu instid0(VALU_DEP_1) | instskip(NEXT) | instid1(VALU_DEP_1)
	v_fmac_f32_e32 v100, v102, v99
	v_fma_f32 v91, -v91, v100, v101
	s_delay_alu instid0(VALU_DEP_1) | instskip(NEXT) | instid1(VALU_DEP_1)
	v_div_fmas_f32 v91, v91, v99, v100
	v_div_fixup_f32 v91, v91, v92, v93
	s_delay_alu instid0(VALU_DEP_1) | instskip(NEXT) | instid1(VALU_DEP_1)
	v_fmac_f32_e32 v92, v93, v91
	v_div_scale_f32 v93, null, v92, v92, 1.0
	s_delay_alu instid0(VALU_DEP_1) | instskip(SKIP_1) | instid1(TRANS32_DEP_1)
	v_rcp_f32_e32 v99, v93
	v_nop
	v_fma_f32 v100, -v93, v99, 1.0
	s_delay_alu instid0(VALU_DEP_1) | instskip(SKIP_1) | instid1(VALU_DEP_1)
	v_fmac_f32_e32 v99, v100, v99
	v_div_scale_f32 v100, vcc_lo, 1.0, v92, 1.0
	v_mul_f32_e32 v101, v100, v99
	s_delay_alu instid0(VALU_DEP_1) | instskip(NEXT) | instid1(VALU_DEP_1)
	v_fma_f32 v102, -v93, v101, v100
	v_fmac_f32_e32 v101, v102, v99
	s_delay_alu instid0(VALU_DEP_1) | instskip(NEXT) | instid1(VALU_DEP_1)
	v_fma_f32 v93, -v93, v101, v100
	v_div_fmas_f32 v93, v93, v99, v101
	s_delay_alu instid0(VALU_DEP_1) | instskip(NEXT) | instid1(VALU_DEP_1)
	v_div_fixup_f32 v92, v93, v92, 1.0
	v_mul_f32_e64 v93, v91, -v92
.LBB82_471:
	s_or_b32 exec_lo, exec_lo, s1
.LBB82_472:
	s_delay_alu instid0(SALU_CYCLE_1) | instskip(NEXT) | instid1(SALU_CYCLE_1)
	s_or_b32 exec_lo, exec_lo, s0
	s_mov_b32 s0, exec_lo
	v_cmpx_ne_u32_e64 v98, v90
	s_xor_b32 s0, exec_lo, s0
	s_cbranch_execz .LBB82_478
; %bb.473:
	s_mov_b32 s1, exec_lo
	v_cmpx_eq_u32_e32 22, v98
	s_cbranch_execz .LBB82_477
; %bb.474:
	v_cmp_ne_u32_e32 vcc_lo, 22, v90
	s_xor_b32 s12, s16, -1
	s_delay_alu instid0(SALU_CYCLE_1) | instskip(NEXT) | instid1(SALU_CYCLE_1)
	s_and_b32 s13, s12, vcc_lo
	s_and_saveexec_b32 s12, s13
	s_cbranch_execz .LBB82_476
; %bb.475:
	v_ashrrev_i32_e32 v91, 31, v90
	s_delay_alu instid0(VALU_DEP_1)
	v_lshl_add_u64 v[98:99], v[90:91], 2, v[4:5]
	s_clause 0x1
	global_load_b32 v91, v[98:99], off
	global_load_b32 v97, v[4:5], off offset:88
	s_wait_loadcnt 0x1
	global_store_b32 v[4:5], v91, off offset:88
	s_wait_loadcnt 0x0
	global_store_b32 v[98:99], v97, off
.LBB82_476:
	s_wait_xcnt 0x0
	s_or_b32 exec_lo, exec_lo, s12
	v_dual_mov_b32 v98, v90 :: v_dual_mov_b32 v97, v90
.LBB82_477:
	s_or_b32 exec_lo, exec_lo, s1
.LBB82_478:
	s_and_not1_saveexec_b32 s0, s0
	s_cbranch_execz .LBB82_480
; %bb.479:
	v_mov_b32_e32 v98, 22
	ds_store_2addr_b64 v94, v[42:43], v[72:73] offset0:23 offset1:24
	ds_store_2addr_b64 v94, v[36:37], v[38:39] offset0:25 offset1:26
	ds_store_2addr_b64 v94, v[34:35], v[70:71] offset0:27 offset1:28
	ds_store_2addr_b64 v94, v[30:31], v[32:33] offset0:29 offset1:30
	ds_store_2addr_b64 v94, v[28:29], v[64:65] offset0:31 offset1:32
	ds_store_2addr_b64 v94, v[10:11], v[12:13] offset0:33 offset1:34
	ds_store_2addr_b64 v94, v[8:9], v[62:63] offset0:35 offset1:36
	ds_store_2addr_b64 v94, v[6:7], v[54:55] offset0:37 offset1:38
	ds_store_2addr_b64 v94, v[40:41], v[24:25] offset0:39 offset1:40
	ds_store_b64 v94, v[88:89] offset:328
.LBB82_480:
	s_or_b32 exec_lo, exec_lo, s0
	s_delay_alu instid0(SALU_CYCLE_1)
	s_mov_b32 s0, exec_lo
	s_wait_storecnt_dscnt 0x0
	s_barrier_signal -1
	s_barrier_wait -1
	v_cmpx_lt_i32_e32 22, v98
	s_cbranch_execz .LBB82_482
; %bb.481:
	v_pk_mul_f32 v[100:101], v[92:93], v[46:47] op_sel:[1,1] op_sel_hi:[0,1]
	s_delay_alu instid0(VALU_DEP_1)
	v_pk_fma_f32 v[90:91], v[92:93], v[46:47], v[100:101] op_sel_hi:[1,0,1] neg_lo:[0,0,1] neg_hi:[0,0,1]
	v_pk_fma_f32 v[92:93], v[92:93], v[46:47], v[100:101] op_sel_hi:[1,0,1]
	ds_load_2addr_b64 v[100:103], v94 offset0:23 offset1:24
	v_dual_mov_b32 v46, v90 :: v_dual_mov_b32 v47, v93
	s_wait_dscnt 0x0
	v_pk_mul_f32 v[104:105], v[100:101], v[92:93] op_sel:[0,1]
	s_delay_alu instid0(VALU_DEP_1) | instskip(SKIP_1) | instid1(VALU_DEP_1)
	v_pk_fma_f32 v[106:107], v[100:101], v[90:91], v[104:105] op_sel:[0,0,1] op_sel_hi:[1,1,0] neg_lo:[0,0,1] neg_hi:[0,0,1]
	v_pk_fma_f32 v[100:101], v[100:101], v[90:91], v[104:105] op_sel:[0,0,1] op_sel_hi:[1,0,0]
	v_mov_b32_e32 v107, v101
	v_pk_mul_f32 v[100:101], v[102:103], v[92:93] op_sel:[0,1]
	s_delay_alu instid0(VALU_DEP_1) | instskip(SKIP_1) | instid1(VALU_DEP_1)
	v_pk_fma_f32 v[104:105], v[102:103], v[90:91], v[100:101] op_sel:[0,0,1] op_sel_hi:[1,1,0] neg_lo:[0,0,1] neg_hi:[0,0,1]
	v_pk_fma_f32 v[100:101], v[102:103], v[90:91], v[100:101] op_sel:[0,0,1] op_sel_hi:[1,0,0]
	v_mov_b32_e32 v105, v101
	ds_load_2addr_b64 v[100:103], v94 offset0:25 offset1:26
	v_pk_add_f32 v[42:43], v[42:43], v[106:107] neg_lo:[0,1] neg_hi:[0,1]
	v_pk_add_f32 v[72:73], v[72:73], v[104:105] neg_lo:[0,1] neg_hi:[0,1]
	s_wait_dscnt 0x0
	v_pk_mul_f32 v[104:105], v[100:101], v[92:93] op_sel:[0,1]
	s_delay_alu instid0(VALU_DEP_1) | instskip(SKIP_2) | instid1(VALU_DEP_2)
	v_pk_fma_f32 v[106:107], v[100:101], v[90:91], v[104:105] op_sel:[0,0,1] op_sel_hi:[1,1,0] neg_lo:[0,0,1] neg_hi:[0,0,1]
	v_pk_fma_f32 v[100:101], v[100:101], v[90:91], v[104:105] op_sel:[0,0,1] op_sel_hi:[1,0,0]
	v_dual_mul_f32 v104, v103, v93 :: v_dual_mov_b32 v100, v103
	v_dual_mov_b32 v107, v101 :: v_dual_mov_b32 v101, v102
	s_delay_alu instid0(VALU_DEP_2) | instskip(SKIP_1) | instid1(VALU_DEP_3)
	v_pk_fma_f32 v[104:105], v[102:103], v[46:47], v[104:105] op_sel_hi:[1,1,0] neg_lo:[0,0,1] neg_hi:[0,0,1]
	v_mul_f32_e32 v102, v103, v90
	v_pk_add_f32 v[36:37], v[36:37], v[106:107] neg_lo:[0,1] neg_hi:[0,1]
	s_delay_alu instid0(VALU_DEP_2) | instskip(NEXT) | instid1(VALU_DEP_1)
	v_pk_fma_f32 v[100:101], v[100:101], v[46:47], v[102:103] op_sel_hi:[1,1,0]
	v_mov_b32_e32 v105, v101
	ds_load_2addr_b64 v[100:103], v94 offset0:27 offset1:28
	v_pk_add_f32 v[38:39], v[38:39], v[104:105] neg_lo:[0,1] neg_hi:[0,1]
	s_wait_dscnt 0x0
	v_pk_mul_f32 v[104:105], v[100:101], v[92:93] op_sel:[0,1]
	s_delay_alu instid0(VALU_DEP_1) | instskip(SKIP_1) | instid1(VALU_DEP_1)
	v_pk_fma_f32 v[106:107], v[100:101], v[90:91], v[104:105] op_sel:[0,0,1] op_sel_hi:[1,1,0] neg_lo:[0,0,1] neg_hi:[0,0,1]
	v_pk_fma_f32 v[100:101], v[100:101], v[90:91], v[104:105] op_sel:[0,0,1] op_sel_hi:[1,0,0]
	v_mov_b32_e32 v107, v101
	v_pk_mul_f32 v[100:101], v[102:103], v[92:93] op_sel:[0,1]
	s_delay_alu instid0(VALU_DEP_1) | instskip(SKIP_1) | instid1(VALU_DEP_1)
	v_pk_fma_f32 v[104:105], v[102:103], v[90:91], v[100:101] op_sel:[0,0,1] op_sel_hi:[1,1,0] neg_lo:[0,0,1] neg_hi:[0,0,1]
	v_pk_fma_f32 v[100:101], v[102:103], v[90:91], v[100:101] op_sel:[0,0,1] op_sel_hi:[1,0,0]
	v_mov_b32_e32 v105, v101
	ds_load_2addr_b64 v[100:103], v94 offset0:29 offset1:30
	v_pk_add_f32 v[34:35], v[34:35], v[106:107] neg_lo:[0,1] neg_hi:[0,1]
	v_pk_add_f32 v[70:71], v[70:71], v[104:105] neg_lo:[0,1] neg_hi:[0,1]
	s_wait_dscnt 0x0
	v_pk_mul_f32 v[104:105], v[100:101], v[92:93] op_sel:[0,1]
	s_delay_alu instid0(VALU_DEP_1) | instskip(SKIP_1) | instid1(VALU_DEP_1)
	v_pk_fma_f32 v[106:107], v[100:101], v[90:91], v[104:105] op_sel:[0,0,1] op_sel_hi:[1,1,0] neg_lo:[0,0,1] neg_hi:[0,0,1]
	v_pk_fma_f32 v[100:101], v[100:101], v[90:91], v[104:105] op_sel:[0,0,1] op_sel_hi:[1,0,0]
	v_mov_b32_e32 v107, v101
	v_pk_mul_f32 v[100:101], v[102:103], v[92:93] op_sel:[0,1]
	s_delay_alu instid0(VALU_DEP_1) | instskip(SKIP_1) | instid1(VALU_DEP_1)
	v_pk_fma_f32 v[104:105], v[102:103], v[90:91], v[100:101] op_sel:[0,0,1] op_sel_hi:[1,1,0] neg_lo:[0,0,1] neg_hi:[0,0,1]
	v_pk_fma_f32 v[100:101], v[102:103], v[90:91], v[100:101] op_sel:[0,0,1] op_sel_hi:[1,0,0]
	v_mov_b32_e32 v105, v101
	ds_load_2addr_b64 v[100:103], v94 offset0:31 offset1:32
	v_pk_add_f32 v[30:31], v[30:31], v[106:107] neg_lo:[0,1] neg_hi:[0,1]
	v_pk_add_f32 v[32:33], v[32:33], v[104:105] neg_lo:[0,1] neg_hi:[0,1]
	s_wait_dscnt 0x0
	v_dual_mul_f32 v104, v101, v93 :: v_dual_mul_f32 v106, v101, v90
	s_delay_alu instid0(VALU_DEP_1) | instskip(NEXT) | instid1(VALU_DEP_2)
	v_pk_fma_f32 v[104:105], v[100:101], v[46:47], v[104:105] op_sel_hi:[1,1,0] neg_lo:[0,0,1] neg_hi:[0,0,1]
	v_pk_fma_f32 v[100:101], v[100:101], v[46:47], v[106:107] op_sel:[1,0,0] op_sel_hi:[0,1,0]
	s_delay_alu instid0(VALU_DEP_1) | instskip(SKIP_1) | instid1(VALU_DEP_2)
	v_mov_b32_e32 v105, v101
	v_pk_mul_f32 v[100:101], v[102:103], v[92:93] op_sel:[0,1]
	v_pk_add_f32 v[28:29], v[28:29], v[104:105] neg_lo:[0,1] neg_hi:[0,1]
	s_delay_alu instid0(VALU_DEP_2) | instskip(SKIP_1) | instid1(VALU_DEP_1)
	v_pk_fma_f32 v[104:105], v[102:103], v[90:91], v[100:101] op_sel:[0,0,1] op_sel_hi:[1,1,0] neg_lo:[0,0,1] neg_hi:[0,0,1]
	v_pk_fma_f32 v[100:101], v[102:103], v[90:91], v[100:101] op_sel:[0,0,1] op_sel_hi:[1,0,0]
	v_mov_b32_e32 v105, v101
	ds_load_2addr_b64 v[100:103], v94 offset0:33 offset1:34
	v_pk_add_f32 v[64:65], v[64:65], v[104:105] neg_lo:[0,1] neg_hi:[0,1]
	s_wait_dscnt 0x0
	v_pk_mul_f32 v[104:105], v[100:101], v[92:93] op_sel:[0,1]
	s_delay_alu instid0(VALU_DEP_1) | instskip(SKIP_1) | instid1(VALU_DEP_1)
	v_pk_fma_f32 v[106:107], v[100:101], v[90:91], v[104:105] op_sel:[0,0,1] op_sel_hi:[1,1,0] neg_lo:[0,0,1] neg_hi:[0,0,1]
	v_pk_fma_f32 v[100:101], v[100:101], v[90:91], v[104:105] op_sel:[0,0,1] op_sel_hi:[1,0,0]
	v_mov_b32_e32 v107, v101
	v_pk_mul_f32 v[100:101], v[102:103], v[92:93] op_sel:[0,1]
	s_delay_alu instid0(VALU_DEP_2) | instskip(NEXT) | instid1(VALU_DEP_2)
	v_pk_add_f32 v[10:11], v[10:11], v[106:107] neg_lo:[0,1] neg_hi:[0,1]
	v_pk_fma_f32 v[104:105], v[102:103], v[90:91], v[100:101] op_sel:[0,0,1] op_sel_hi:[1,1,0] neg_lo:[0,0,1] neg_hi:[0,0,1]
	v_pk_fma_f32 v[100:101], v[102:103], v[90:91], v[100:101] op_sel:[0,0,1] op_sel_hi:[1,0,0]
	s_delay_alu instid0(VALU_DEP_1) | instskip(SKIP_4) | instid1(VALU_DEP_1)
	v_mov_b32_e32 v105, v101
	ds_load_2addr_b64 v[100:103], v94 offset0:35 offset1:36
	v_pk_add_f32 v[12:13], v[12:13], v[104:105] neg_lo:[0,1] neg_hi:[0,1]
	s_wait_dscnt 0x0
	v_pk_mul_f32 v[104:105], v[100:101], v[92:93] op_sel:[0,1]
	v_pk_fma_f32 v[106:107], v[100:101], v[90:91], v[104:105] op_sel:[0,0,1] op_sel_hi:[1,1,0] neg_lo:[0,0,1] neg_hi:[0,0,1]
	v_pk_fma_f32 v[100:101], v[100:101], v[90:91], v[104:105] op_sel:[0,0,1] op_sel_hi:[1,0,0]
	v_dual_mul_f32 v104, v103, v93 :: v_dual_mov_b32 v100, v103
	s_delay_alu instid0(VALU_DEP_2) | instskip(NEXT) | instid1(VALU_DEP_2)
	v_dual_mov_b32 v107, v101 :: v_dual_mov_b32 v101, v102
	v_pk_fma_f32 v[104:105], v[102:103], v[46:47], v[104:105] op_sel_hi:[1,1,0] neg_lo:[0,0,1] neg_hi:[0,0,1]
	v_mul_f32_e32 v102, v103, v90
	s_delay_alu instid0(VALU_DEP_3) | instskip(NEXT) | instid1(VALU_DEP_2)
	v_pk_add_f32 v[8:9], v[8:9], v[106:107] neg_lo:[0,1] neg_hi:[0,1]
	v_pk_fma_f32 v[100:101], v[100:101], v[46:47], v[102:103] op_sel_hi:[1,1,0]
	s_delay_alu instid0(VALU_DEP_1) | instskip(SKIP_4) | instid1(VALU_DEP_1)
	v_mov_b32_e32 v105, v101
	ds_load_2addr_b64 v[100:103], v94 offset0:37 offset1:38
	v_pk_add_f32 v[62:63], v[62:63], v[104:105] neg_lo:[0,1] neg_hi:[0,1]
	s_wait_dscnt 0x0
	v_pk_mul_f32 v[104:105], v[100:101], v[92:93] op_sel:[0,1]
	v_pk_fma_f32 v[106:107], v[100:101], v[90:91], v[104:105] op_sel:[0,0,1] op_sel_hi:[1,1,0] neg_lo:[0,0,1] neg_hi:[0,0,1]
	v_pk_fma_f32 v[100:101], v[100:101], v[90:91], v[104:105] op_sel:[0,0,1] op_sel_hi:[1,0,0]
	s_delay_alu instid0(VALU_DEP_1) | instskip(SKIP_1) | instid1(VALU_DEP_1)
	v_mov_b32_e32 v107, v101
	v_pk_mul_f32 v[100:101], v[102:103], v[92:93] op_sel:[0,1]
	v_pk_fma_f32 v[104:105], v[102:103], v[90:91], v[100:101] op_sel:[0,0,1] op_sel_hi:[1,1,0] neg_lo:[0,0,1] neg_hi:[0,0,1]
	v_pk_fma_f32 v[100:101], v[102:103], v[90:91], v[100:101] op_sel:[0,0,1] op_sel_hi:[1,0,0]
	s_delay_alu instid0(VALU_DEP_1)
	v_mov_b32_e32 v105, v101
	ds_load_2addr_b64 v[100:103], v94 offset0:39 offset1:40
	v_pk_add_f32 v[6:7], v[6:7], v[106:107] neg_lo:[0,1] neg_hi:[0,1]
	v_pk_add_f32 v[54:55], v[54:55], v[104:105] neg_lo:[0,1] neg_hi:[0,1]
	s_wait_dscnt 0x0
	v_pk_mul_f32 v[104:105], v[100:101], v[92:93] op_sel:[0,1]
	s_delay_alu instid0(VALU_DEP_1) | instskip(SKIP_1) | instid1(VALU_DEP_1)
	v_pk_fma_f32 v[106:107], v[100:101], v[90:91], v[104:105] op_sel:[0,0,1] op_sel_hi:[1,1,0] neg_lo:[0,0,1] neg_hi:[0,0,1]
	v_pk_fma_f32 v[100:101], v[100:101], v[90:91], v[104:105] op_sel:[0,0,1] op_sel_hi:[1,0,0]
	v_mov_b32_e32 v107, v101
	v_pk_mul_f32 v[100:101], v[102:103], v[92:93] op_sel:[0,1]
	s_delay_alu instid0(VALU_DEP_1) | instskip(SKIP_1) | instid1(VALU_DEP_1)
	v_pk_fma_f32 v[104:105], v[102:103], v[90:91], v[100:101] op_sel:[0,0,1] op_sel_hi:[1,1,0] neg_lo:[0,0,1] neg_hi:[0,0,1]
	v_pk_fma_f32 v[100:101], v[102:103], v[90:91], v[100:101] op_sel:[0,0,1] op_sel_hi:[1,0,0]
	v_mov_b32_e32 v105, v101
	ds_load_b64 v[100:101], v94 offset:328
	v_pk_add_f32 v[40:41], v[40:41], v[106:107] neg_lo:[0,1] neg_hi:[0,1]
	v_pk_add_f32 v[24:25], v[24:25], v[104:105] neg_lo:[0,1] neg_hi:[0,1]
	s_wait_dscnt 0x0
	v_pk_mul_f32 v[92:93], v[100:101], v[92:93] op_sel:[0,1]
	s_delay_alu instid0(VALU_DEP_1) | instskip(SKIP_1) | instid1(VALU_DEP_1)
	v_pk_fma_f32 v[102:103], v[100:101], v[90:91], v[92:93] op_sel:[0,0,1] op_sel_hi:[1,1,0] neg_lo:[0,0,1] neg_hi:[0,0,1]
	v_pk_fma_f32 v[90:91], v[100:101], v[90:91], v[92:93] op_sel:[0,0,1] op_sel_hi:[1,0,0]
	v_mov_b32_e32 v103, v91
	s_delay_alu instid0(VALU_DEP_1)
	v_pk_add_f32 v[88:89], v[88:89], v[102:103] neg_lo:[0,1] neg_hi:[0,1]
.LBB82_482:
	s_or_b32 exec_lo, exec_lo, s0
	v_lshl_add_u32 v90, v98, 3, v94
	s_barrier_signal -1
	s_barrier_wait -1
	ds_store_b64 v90, v[42:43]
	s_wait_dscnt 0x0
	s_barrier_signal -1
	s_barrier_wait -1
	ds_load_b64 v[90:91], v94 offset:184
	v_mov_b32_e32 v92, 23
	s_cmp_lt_i32 s18, 25
	s_cbranch_scc1 .LBB82_485
; %bb.483:
	v_add3_u32 v93, v95, 0, 0xc0
	v_mov_b32_e32 v92, 23
	s_mov_b32 s0, 24
.LBB82_484:                             ; =>This Inner Loop Header: Depth=1
	ds_load_b64 v[100:101], v93
	s_wait_dscnt 0x1
	v_cmp_gt_f32_e32 vcc_lo, 0, v90
	v_cndmask_b32_e64 v102, v90, -v90, vcc_lo
	v_cmp_gt_f32_e32 vcc_lo, 0, v91
	v_cndmask_b32_e64 v104, v91, -v91, vcc_lo
	s_wait_dscnt 0x0
	v_cmp_gt_f32_e32 vcc_lo, 0, v100
	v_cndmask_b32_e64 v103, v100, -v100, vcc_lo
	v_cmp_gt_f32_e32 vcc_lo, 0, v101
	v_cndmask_b32_e64 v105, v101, -v101, vcc_lo
	s_delay_alu instid0(VALU_DEP_1) | instskip(NEXT) | instid1(VALU_DEP_1)
	v_pk_add_f32 v[102:103], v[102:103], v[104:105]
	v_cmp_lt_f32_e32 vcc_lo, v102, v103
	v_dual_cndmask_b32 v90, v90, v100 :: v_dual_add_nc_u32 v93, 8, v93
	v_cndmask_b32_e32 v91, v91, v101, vcc_lo
	v_cndmask_b32_e64 v92, v92, s0, vcc_lo
	s_add_co_i32 s0, s0, 1
	s_delay_alu instid0(SALU_CYCLE_1)
	s_cmp_lg_u32 s18, s0
	s_cbranch_scc1 .LBB82_484
.LBB82_485:
	s_wait_dscnt 0x0
	v_cmp_eq_f32_e32 vcc_lo, 0, v90
	v_cmp_eq_f32_e64 s0, 0, v91
	s_and_b32 s0, vcc_lo, s0
	s_delay_alu instid0(SALU_CYCLE_1) | instskip(NEXT) | instid1(SALU_CYCLE_1)
	s_and_saveexec_b32 s1, s0
	s_xor_b32 s0, exec_lo, s1
; %bb.486:
	v_cmp_ne_u32_e32 vcc_lo, 0, v96
	v_cndmask_b32_e32 v96, 24, v96, vcc_lo
; %bb.487:
	s_and_not1_saveexec_b32 s0, s0
	s_cbranch_execz .LBB82_493
; %bb.488:
	v_cmp_ngt_f32_e64 s1, |v90|, |v91|
	s_and_saveexec_b32 s12, s1
	s_delay_alu instid0(SALU_CYCLE_1)
	s_xor_b32 s1, exec_lo, s12
	s_cbranch_execz .LBB82_490
; %bb.489:
	v_div_scale_f32 v93, null, v91, v91, v90
	v_div_scale_f32 v101, vcc_lo, v90, v91, v90
	s_delay_alu instid0(VALU_DEP_2) | instskip(SKIP_1) | instid1(TRANS32_DEP_1)
	v_rcp_f32_e32 v99, v93
	v_nop
	v_fma_f32 v100, -v93, v99, 1.0
	s_delay_alu instid0(VALU_DEP_1) | instskip(NEXT) | instid1(VALU_DEP_1)
	v_fmac_f32_e32 v99, v100, v99
	v_mul_f32_e32 v100, v101, v99
	s_delay_alu instid0(VALU_DEP_1) | instskip(NEXT) | instid1(VALU_DEP_1)
	v_fma_f32 v102, -v93, v100, v101
	v_fmac_f32_e32 v100, v102, v99
	s_delay_alu instid0(VALU_DEP_1) | instskip(NEXT) | instid1(VALU_DEP_1)
	v_fma_f32 v93, -v93, v100, v101
	v_div_fmas_f32 v93, v93, v99, v100
	s_delay_alu instid0(VALU_DEP_1) | instskip(NEXT) | instid1(VALU_DEP_1)
	v_div_fixup_f32 v93, v93, v91, v90
	v_fmac_f32_e32 v91, v90, v93
	s_delay_alu instid0(VALU_DEP_1) | instskip(SKIP_1) | instid1(VALU_DEP_2)
	v_div_scale_f32 v90, null, v91, v91, 1.0
	v_div_scale_f32 v101, vcc_lo, 1.0, v91, 1.0
	v_rcp_f32_e32 v99, v90
	v_nop
	s_delay_alu instid0(TRANS32_DEP_1) | instskip(NEXT) | instid1(VALU_DEP_1)
	v_fma_f32 v100, -v90, v99, 1.0
	v_fmac_f32_e32 v99, v100, v99
	s_delay_alu instid0(VALU_DEP_1) | instskip(NEXT) | instid1(VALU_DEP_1)
	v_mul_f32_e32 v100, v101, v99
	v_fma_f32 v102, -v90, v100, v101
	s_delay_alu instid0(VALU_DEP_1) | instskip(NEXT) | instid1(VALU_DEP_1)
	v_fmac_f32_e32 v100, v102, v99
	v_fma_f32 v90, -v90, v100, v101
	s_delay_alu instid0(VALU_DEP_1) | instskip(NEXT) | instid1(VALU_DEP_1)
	v_div_fmas_f32 v90, v90, v99, v100
	v_div_fixup_f32 v91, v90, v91, 1.0
	s_delay_alu instid0(VALU_DEP_1)
	v_mul_f32_e32 v90, v93, v91
	v_xor_b32_e32 v91, 0x80000000, v91
.LBB82_490:
	s_and_not1_saveexec_b32 s1, s1
	s_cbranch_execz .LBB82_492
; %bb.491:
	s_delay_alu instid0(VALU_DEP_1) | instskip(SKIP_1) | instid1(VALU_DEP_2)
	v_div_scale_f32 v93, null, v90, v90, v91
	v_div_scale_f32 v101, vcc_lo, v91, v90, v91
	v_rcp_f32_e32 v99, v93
	v_nop
	s_delay_alu instid0(TRANS32_DEP_1) | instskip(NEXT) | instid1(VALU_DEP_1)
	v_fma_f32 v100, -v93, v99, 1.0
	v_fmac_f32_e32 v99, v100, v99
	s_delay_alu instid0(VALU_DEP_1) | instskip(NEXT) | instid1(VALU_DEP_1)
	v_mul_f32_e32 v100, v101, v99
	v_fma_f32 v102, -v93, v100, v101
	s_delay_alu instid0(VALU_DEP_1) | instskip(NEXT) | instid1(VALU_DEP_1)
	v_fmac_f32_e32 v100, v102, v99
	v_fma_f32 v93, -v93, v100, v101
	s_delay_alu instid0(VALU_DEP_1) | instskip(NEXT) | instid1(VALU_DEP_1)
	v_div_fmas_f32 v93, v93, v99, v100
	v_div_fixup_f32 v93, v93, v90, v91
	s_delay_alu instid0(VALU_DEP_1) | instskip(NEXT) | instid1(VALU_DEP_1)
	v_fmac_f32_e32 v90, v91, v93
	v_div_scale_f32 v91, null, v90, v90, 1.0
	s_delay_alu instid0(VALU_DEP_1) | instskip(SKIP_1) | instid1(TRANS32_DEP_1)
	v_rcp_f32_e32 v99, v91
	v_nop
	v_fma_f32 v100, -v91, v99, 1.0
	s_delay_alu instid0(VALU_DEP_1) | instskip(SKIP_1) | instid1(VALU_DEP_1)
	v_fmac_f32_e32 v99, v100, v99
	v_div_scale_f32 v100, vcc_lo, 1.0, v90, 1.0
	v_mul_f32_e32 v101, v100, v99
	s_delay_alu instid0(VALU_DEP_1) | instskip(NEXT) | instid1(VALU_DEP_1)
	v_fma_f32 v102, -v91, v101, v100
	v_fmac_f32_e32 v101, v102, v99
	s_delay_alu instid0(VALU_DEP_1) | instskip(NEXT) | instid1(VALU_DEP_1)
	v_fma_f32 v91, -v91, v101, v100
	v_div_fmas_f32 v91, v91, v99, v101
	s_delay_alu instid0(VALU_DEP_1) | instskip(NEXT) | instid1(VALU_DEP_1)
	v_div_fixup_f32 v90, v91, v90, 1.0
	v_mul_f32_e64 v91, v93, -v90
.LBB82_492:
	s_or_b32 exec_lo, exec_lo, s1
.LBB82_493:
	s_delay_alu instid0(SALU_CYCLE_1) | instskip(NEXT) | instid1(SALU_CYCLE_1)
	s_or_b32 exec_lo, exec_lo, s0
	s_mov_b32 s0, exec_lo
	v_cmpx_ne_u32_e64 v98, v92
	s_xor_b32 s0, exec_lo, s0
	s_cbranch_execz .LBB82_499
; %bb.494:
	s_mov_b32 s1, exec_lo
	v_cmpx_eq_u32_e32 23, v98
	s_cbranch_execz .LBB82_498
; %bb.495:
	v_cmp_ne_u32_e32 vcc_lo, 23, v92
	s_xor_b32 s12, s16, -1
	s_delay_alu instid0(SALU_CYCLE_1) | instskip(NEXT) | instid1(SALU_CYCLE_1)
	s_and_b32 s13, s12, vcc_lo
	s_and_saveexec_b32 s12, s13
	s_cbranch_execz .LBB82_497
; %bb.496:
	v_ashrrev_i32_e32 v93, 31, v92
	s_delay_alu instid0(VALU_DEP_1)
	v_lshl_add_u64 v[98:99], v[92:93], 2, v[4:5]
	s_clause 0x1
	global_load_b32 v93, v[98:99], off
	global_load_b32 v97, v[4:5], off offset:92
	s_wait_loadcnt 0x1
	global_store_b32 v[4:5], v93, off offset:92
	s_wait_loadcnt 0x0
	global_store_b32 v[98:99], v97, off
.LBB82_497:
	s_wait_xcnt 0x0
	s_or_b32 exec_lo, exec_lo, s12
	v_dual_mov_b32 v98, v92 :: v_dual_mov_b32 v97, v92
.LBB82_498:
	s_or_b32 exec_lo, exec_lo, s1
.LBB82_499:
	s_and_not1_saveexec_b32 s0, s0
	s_cbranch_execz .LBB82_501
; %bb.500:
	v_dual_mov_b32 v92, v72 :: v_dual_mov_b32 v93, v73
	v_dual_mov_b32 v98, v36 :: v_dual_mov_b32 v99, v37
	ds_store_2addr_b64 v94, v[92:93], v[98:99] offset0:24 offset1:25
	v_dual_mov_b32 v92, v38 :: v_dual_mov_b32 v93, v39
	v_dual_mov_b32 v98, v34 :: v_dual_mov_b32 v99, v35
	ds_store_2addr_b64 v94, v[92:93], v[98:99] offset0:26 offset1:27
	;; [unrolled: 3-line block ×8, first 2 shown]
	v_dual_mov_b32 v92, v24 :: v_dual_mov_b32 v93, v25
	v_mov_b32_e32 v98, 23
	ds_store_2addr_b64 v94, v[92:93], v[88:89] offset0:40 offset1:41
.LBB82_501:
	s_or_b32 exec_lo, exec_lo, s0
	s_delay_alu instid0(SALU_CYCLE_1)
	s_mov_b32 s0, exec_lo
	s_wait_storecnt_dscnt 0x0
	s_barrier_signal -1
	s_barrier_wait -1
	v_cmpx_lt_i32_e32 23, v98
	s_cbranch_execz .LBB82_503
; %bb.502:
	v_pk_mul_f32 v[100:101], v[90:91], v[42:43] op_sel:[1,1] op_sel_hi:[0,1]
	s_delay_alu instid0(VALU_DEP_1)
	v_pk_fma_f32 v[92:93], v[90:91], v[42:43], v[100:101] op_sel_hi:[1,0,1] neg_lo:[0,0,1] neg_hi:[0,0,1]
	v_pk_fma_f32 v[90:91], v[90:91], v[42:43], v[100:101] op_sel_hi:[1,0,1]
	ds_load_2addr_b64 v[100:103], v94 offset0:24 offset1:25
	v_dual_mov_b32 v42, v92 :: v_dual_mov_b32 v43, v91
	s_wait_dscnt 0x0
	v_pk_mul_f32 v[104:105], v[100:101], v[90:91] op_sel:[0,1]
	s_delay_alu instid0(VALU_DEP_1) | instskip(SKIP_1) | instid1(VALU_DEP_1)
	v_pk_fma_f32 v[106:107], v[100:101], v[92:93], v[104:105] op_sel:[0,0,1] op_sel_hi:[1,1,0] neg_lo:[0,0,1] neg_hi:[0,0,1]
	v_pk_fma_f32 v[100:101], v[100:101], v[92:93], v[104:105] op_sel:[0,0,1] op_sel_hi:[1,0,0]
	v_mov_b32_e32 v107, v101
	v_pk_mul_f32 v[100:101], v[102:103], v[90:91] op_sel:[0,1]
	s_delay_alu instid0(VALU_DEP_1) | instskip(SKIP_1) | instid1(VALU_DEP_1)
	v_pk_fma_f32 v[104:105], v[102:103], v[92:93], v[100:101] op_sel:[0,0,1] op_sel_hi:[1,1,0] neg_lo:[0,0,1] neg_hi:[0,0,1]
	v_pk_fma_f32 v[100:101], v[102:103], v[92:93], v[100:101] op_sel:[0,0,1] op_sel_hi:[1,0,0]
	v_mov_b32_e32 v105, v101
	ds_load_2addr_b64 v[100:103], v94 offset0:26 offset1:27
	v_pk_add_f32 v[72:73], v[72:73], v[106:107] neg_lo:[0,1] neg_hi:[0,1]
	v_pk_add_f32 v[36:37], v[36:37], v[104:105] neg_lo:[0,1] neg_hi:[0,1]
	s_wait_dscnt 0x0
	v_pk_mul_f32 v[104:105], v[100:101], v[90:91] op_sel:[0,1]
	s_delay_alu instid0(VALU_DEP_1) | instskip(SKIP_2) | instid1(VALU_DEP_2)
	v_pk_fma_f32 v[106:107], v[100:101], v[92:93], v[104:105] op_sel:[0,0,1] op_sel_hi:[1,1,0] neg_lo:[0,0,1] neg_hi:[0,0,1]
	v_pk_fma_f32 v[100:101], v[100:101], v[92:93], v[104:105] op_sel:[0,0,1] op_sel_hi:[1,0,0]
	v_dual_mul_f32 v104, v103, v91 :: v_dual_mov_b32 v100, v103
	v_dual_mov_b32 v107, v101 :: v_dual_mov_b32 v101, v102
	s_delay_alu instid0(VALU_DEP_2) | instskip(SKIP_1) | instid1(VALU_DEP_3)
	v_pk_fma_f32 v[104:105], v[102:103], v[42:43], v[104:105] op_sel_hi:[1,1,0] neg_lo:[0,0,1] neg_hi:[0,0,1]
	v_mul_f32_e32 v102, v103, v92
	v_pk_add_f32 v[38:39], v[38:39], v[106:107] neg_lo:[0,1] neg_hi:[0,1]
	s_delay_alu instid0(VALU_DEP_2) | instskip(NEXT) | instid1(VALU_DEP_1)
	v_pk_fma_f32 v[100:101], v[100:101], v[42:43], v[102:103] op_sel_hi:[1,1,0]
	v_mov_b32_e32 v105, v101
	ds_load_2addr_b64 v[100:103], v94 offset0:28 offset1:29
	v_pk_add_f32 v[34:35], v[34:35], v[104:105] neg_lo:[0,1] neg_hi:[0,1]
	s_wait_dscnt 0x0
	v_pk_mul_f32 v[104:105], v[100:101], v[90:91] op_sel:[0,1]
	s_delay_alu instid0(VALU_DEP_1) | instskip(SKIP_1) | instid1(VALU_DEP_1)
	v_pk_fma_f32 v[106:107], v[100:101], v[92:93], v[104:105] op_sel:[0,0,1] op_sel_hi:[1,1,0] neg_lo:[0,0,1] neg_hi:[0,0,1]
	v_pk_fma_f32 v[100:101], v[100:101], v[92:93], v[104:105] op_sel:[0,0,1] op_sel_hi:[1,0,0]
	v_mov_b32_e32 v107, v101
	v_pk_mul_f32 v[100:101], v[102:103], v[90:91] op_sel:[0,1]
	s_delay_alu instid0(VALU_DEP_1) | instskip(SKIP_1) | instid1(VALU_DEP_1)
	v_pk_fma_f32 v[104:105], v[102:103], v[92:93], v[100:101] op_sel:[0,0,1] op_sel_hi:[1,1,0] neg_lo:[0,0,1] neg_hi:[0,0,1]
	v_pk_fma_f32 v[100:101], v[102:103], v[92:93], v[100:101] op_sel:[0,0,1] op_sel_hi:[1,0,0]
	v_mov_b32_e32 v105, v101
	ds_load_2addr_b64 v[100:103], v94 offset0:30 offset1:31
	v_pk_add_f32 v[70:71], v[70:71], v[106:107] neg_lo:[0,1] neg_hi:[0,1]
	v_pk_add_f32 v[30:31], v[30:31], v[104:105] neg_lo:[0,1] neg_hi:[0,1]
	s_wait_dscnt 0x0
	v_pk_mul_f32 v[104:105], v[100:101], v[90:91] op_sel:[0,1]
	s_delay_alu instid0(VALU_DEP_1) | instskip(SKIP_1) | instid1(VALU_DEP_1)
	v_pk_fma_f32 v[106:107], v[100:101], v[92:93], v[104:105] op_sel:[0,0,1] op_sel_hi:[1,1,0] neg_lo:[0,0,1] neg_hi:[0,0,1]
	v_pk_fma_f32 v[100:101], v[100:101], v[92:93], v[104:105] op_sel:[0,0,1] op_sel_hi:[1,0,0]
	v_mov_b32_e32 v107, v101
	v_pk_mul_f32 v[100:101], v[102:103], v[90:91] op_sel:[0,1]
	s_delay_alu instid0(VALU_DEP_1) | instskip(SKIP_1) | instid1(VALU_DEP_1)
	v_pk_fma_f32 v[104:105], v[102:103], v[92:93], v[100:101] op_sel:[0,0,1] op_sel_hi:[1,1,0] neg_lo:[0,0,1] neg_hi:[0,0,1]
	v_pk_fma_f32 v[100:101], v[102:103], v[92:93], v[100:101] op_sel:[0,0,1] op_sel_hi:[1,0,0]
	v_mov_b32_e32 v105, v101
	ds_load_2addr_b64 v[100:103], v94 offset0:32 offset1:33
	v_pk_add_f32 v[32:33], v[32:33], v[106:107] neg_lo:[0,1] neg_hi:[0,1]
	v_pk_add_f32 v[28:29], v[28:29], v[104:105] neg_lo:[0,1] neg_hi:[0,1]
	s_wait_dscnt 0x0
	v_dual_mul_f32 v104, v101, v91 :: v_dual_mul_f32 v106, v101, v92
	s_delay_alu instid0(VALU_DEP_1) | instskip(NEXT) | instid1(VALU_DEP_2)
	v_pk_fma_f32 v[104:105], v[100:101], v[42:43], v[104:105] op_sel_hi:[1,1,0] neg_lo:[0,0,1] neg_hi:[0,0,1]
	v_pk_fma_f32 v[100:101], v[100:101], v[42:43], v[106:107] op_sel:[1,0,0] op_sel_hi:[0,1,0]
	s_delay_alu instid0(VALU_DEP_1) | instskip(SKIP_1) | instid1(VALU_DEP_2)
	v_mov_b32_e32 v105, v101
	v_pk_mul_f32 v[100:101], v[102:103], v[90:91] op_sel:[0,1]
	v_pk_add_f32 v[64:65], v[64:65], v[104:105] neg_lo:[0,1] neg_hi:[0,1]
	s_delay_alu instid0(VALU_DEP_2) | instskip(SKIP_1) | instid1(VALU_DEP_1)
	v_pk_fma_f32 v[104:105], v[102:103], v[92:93], v[100:101] op_sel:[0,0,1] op_sel_hi:[1,1,0] neg_lo:[0,0,1] neg_hi:[0,0,1]
	v_pk_fma_f32 v[100:101], v[102:103], v[92:93], v[100:101] op_sel:[0,0,1] op_sel_hi:[1,0,0]
	v_mov_b32_e32 v105, v101
	ds_load_2addr_b64 v[100:103], v94 offset0:34 offset1:35
	v_pk_add_f32 v[10:11], v[10:11], v[104:105] neg_lo:[0,1] neg_hi:[0,1]
	s_wait_dscnt 0x0
	v_pk_mul_f32 v[104:105], v[100:101], v[90:91] op_sel:[0,1]
	s_delay_alu instid0(VALU_DEP_1) | instskip(SKIP_1) | instid1(VALU_DEP_1)
	v_pk_fma_f32 v[106:107], v[100:101], v[92:93], v[104:105] op_sel:[0,0,1] op_sel_hi:[1,1,0] neg_lo:[0,0,1] neg_hi:[0,0,1]
	v_pk_fma_f32 v[100:101], v[100:101], v[92:93], v[104:105] op_sel:[0,0,1] op_sel_hi:[1,0,0]
	v_mov_b32_e32 v107, v101
	v_pk_mul_f32 v[100:101], v[102:103], v[90:91] op_sel:[0,1]
	s_delay_alu instid0(VALU_DEP_2) | instskip(NEXT) | instid1(VALU_DEP_2)
	v_pk_add_f32 v[12:13], v[12:13], v[106:107] neg_lo:[0,1] neg_hi:[0,1]
	v_pk_fma_f32 v[104:105], v[102:103], v[92:93], v[100:101] op_sel:[0,0,1] op_sel_hi:[1,1,0] neg_lo:[0,0,1] neg_hi:[0,0,1]
	v_pk_fma_f32 v[100:101], v[102:103], v[92:93], v[100:101] op_sel:[0,0,1] op_sel_hi:[1,0,0]
	s_delay_alu instid0(VALU_DEP_1) | instskip(SKIP_4) | instid1(VALU_DEP_1)
	v_mov_b32_e32 v105, v101
	ds_load_2addr_b64 v[100:103], v94 offset0:36 offset1:37
	v_pk_add_f32 v[8:9], v[8:9], v[104:105] neg_lo:[0,1] neg_hi:[0,1]
	s_wait_dscnt 0x0
	v_pk_mul_f32 v[104:105], v[100:101], v[90:91] op_sel:[0,1]
	v_pk_fma_f32 v[106:107], v[100:101], v[92:93], v[104:105] op_sel:[0,0,1] op_sel_hi:[1,1,0] neg_lo:[0,0,1] neg_hi:[0,0,1]
	v_pk_fma_f32 v[100:101], v[100:101], v[92:93], v[104:105] op_sel:[0,0,1] op_sel_hi:[1,0,0]
	v_dual_mul_f32 v104, v103, v91 :: v_dual_mov_b32 v100, v103
	s_delay_alu instid0(VALU_DEP_2) | instskip(NEXT) | instid1(VALU_DEP_2)
	v_dual_mov_b32 v107, v101 :: v_dual_mov_b32 v101, v102
	v_pk_fma_f32 v[104:105], v[102:103], v[42:43], v[104:105] op_sel_hi:[1,1,0] neg_lo:[0,0,1] neg_hi:[0,0,1]
	v_mul_f32_e32 v102, v103, v92
	s_delay_alu instid0(VALU_DEP_3) | instskip(NEXT) | instid1(VALU_DEP_2)
	v_pk_add_f32 v[62:63], v[62:63], v[106:107] neg_lo:[0,1] neg_hi:[0,1]
	v_pk_fma_f32 v[100:101], v[100:101], v[42:43], v[102:103] op_sel_hi:[1,1,0]
	s_delay_alu instid0(VALU_DEP_1) | instskip(SKIP_4) | instid1(VALU_DEP_1)
	v_mov_b32_e32 v105, v101
	ds_load_2addr_b64 v[100:103], v94 offset0:38 offset1:39
	v_pk_add_f32 v[6:7], v[6:7], v[104:105] neg_lo:[0,1] neg_hi:[0,1]
	s_wait_dscnt 0x0
	v_pk_mul_f32 v[104:105], v[100:101], v[90:91] op_sel:[0,1]
	v_pk_fma_f32 v[106:107], v[100:101], v[92:93], v[104:105] op_sel:[0,0,1] op_sel_hi:[1,1,0] neg_lo:[0,0,1] neg_hi:[0,0,1]
	v_pk_fma_f32 v[100:101], v[100:101], v[92:93], v[104:105] op_sel:[0,0,1] op_sel_hi:[1,0,0]
	s_delay_alu instid0(VALU_DEP_1) | instskip(SKIP_1) | instid1(VALU_DEP_1)
	v_mov_b32_e32 v107, v101
	v_pk_mul_f32 v[100:101], v[102:103], v[90:91] op_sel:[0,1]
	v_pk_fma_f32 v[104:105], v[102:103], v[92:93], v[100:101] op_sel:[0,0,1] op_sel_hi:[1,1,0] neg_lo:[0,0,1] neg_hi:[0,0,1]
	v_pk_fma_f32 v[100:101], v[102:103], v[92:93], v[100:101] op_sel:[0,0,1] op_sel_hi:[1,0,0]
	s_delay_alu instid0(VALU_DEP_1)
	v_mov_b32_e32 v105, v101
	ds_load_2addr_b64 v[100:103], v94 offset0:40 offset1:41
	v_pk_add_f32 v[54:55], v[54:55], v[106:107] neg_lo:[0,1] neg_hi:[0,1]
	v_pk_add_f32 v[40:41], v[40:41], v[104:105] neg_lo:[0,1] neg_hi:[0,1]
	s_wait_dscnt 0x0
	v_pk_mul_f32 v[104:105], v[100:101], v[90:91] op_sel:[0,1]
	v_mul_f32_e32 v90, v103, v91
	s_delay_alu instid0(VALU_DEP_2) | instskip(SKIP_2) | instid1(VALU_DEP_4)
	v_pk_fma_f32 v[106:107], v[100:101], v[92:93], v[104:105] op_sel:[0,0,1] op_sel_hi:[1,1,0] neg_lo:[0,0,1] neg_hi:[0,0,1]
	v_pk_fma_f32 v[100:101], v[100:101], v[92:93], v[104:105] op_sel:[0,0,1] op_sel_hi:[1,0,0]
	v_dual_mov_b32 v100, v103 :: v_dual_mul_f32 v92, v103, v92
	v_pk_fma_f32 v[90:91], v[102:103], v[42:43], v[90:91] op_sel_hi:[1,1,0] neg_lo:[0,0,1] neg_hi:[0,0,1]
	s_delay_alu instid0(VALU_DEP_3) | instskip(NEXT) | instid1(VALU_DEP_1)
	v_dual_mov_b32 v107, v101 :: v_dual_mov_b32 v101, v102
	v_pk_add_f32 v[24:25], v[24:25], v[106:107] neg_lo:[0,1] neg_hi:[0,1]
	s_delay_alu instid0(VALU_DEP_2) | instskip(NEXT) | instid1(VALU_DEP_1)
	v_pk_fma_f32 v[92:93], v[100:101], v[42:43], v[92:93] op_sel_hi:[1,1,0]
	v_mov_b32_e32 v91, v93
	s_delay_alu instid0(VALU_DEP_1)
	v_pk_add_f32 v[88:89], v[88:89], v[90:91] neg_lo:[0,1] neg_hi:[0,1]
.LBB82_503:
	s_or_b32 exec_lo, exec_lo, s0
	v_lshl_add_u32 v90, v98, 3, v94
	s_barrier_signal -1
	s_barrier_wait -1
	ds_store_b64 v90, v[72:73]
	s_wait_dscnt 0x0
	s_barrier_signal -1
	s_barrier_wait -1
	ds_load_b64 v[90:91], v94 offset:192
	v_mov_b32_e32 v92, 24
	s_cmp_lt_i32 s18, 26
	s_cbranch_scc1 .LBB82_506
; %bb.504:
	v_add3_u32 v93, v95, 0, 0xc8
	v_mov_b32_e32 v92, 24
	s_mov_b32 s0, 25
.LBB82_505:                             ; =>This Inner Loop Header: Depth=1
	ds_load_b64 v[100:101], v93
	s_wait_dscnt 0x1
	v_cmp_gt_f32_e32 vcc_lo, 0, v90
	v_cndmask_b32_e64 v102, v90, -v90, vcc_lo
	v_cmp_gt_f32_e32 vcc_lo, 0, v91
	v_cndmask_b32_e64 v104, v91, -v91, vcc_lo
	s_wait_dscnt 0x0
	v_cmp_gt_f32_e32 vcc_lo, 0, v100
	v_cndmask_b32_e64 v103, v100, -v100, vcc_lo
	v_cmp_gt_f32_e32 vcc_lo, 0, v101
	v_cndmask_b32_e64 v105, v101, -v101, vcc_lo
	s_delay_alu instid0(VALU_DEP_1) | instskip(NEXT) | instid1(VALU_DEP_1)
	v_pk_add_f32 v[102:103], v[102:103], v[104:105]
	v_cmp_lt_f32_e32 vcc_lo, v102, v103
	v_dual_cndmask_b32 v90, v90, v100 :: v_dual_add_nc_u32 v93, 8, v93
	v_cndmask_b32_e32 v91, v91, v101, vcc_lo
	v_cndmask_b32_e64 v92, v92, s0, vcc_lo
	s_add_co_i32 s0, s0, 1
	s_delay_alu instid0(SALU_CYCLE_1)
	s_cmp_lg_u32 s18, s0
	s_cbranch_scc1 .LBB82_505
.LBB82_506:
	s_wait_dscnt 0x0
	v_cmp_eq_f32_e32 vcc_lo, 0, v90
	v_cmp_eq_f32_e64 s0, 0, v91
	s_and_b32 s0, vcc_lo, s0
	s_delay_alu instid0(SALU_CYCLE_1) | instskip(NEXT) | instid1(SALU_CYCLE_1)
	s_and_saveexec_b32 s1, s0
	s_xor_b32 s0, exec_lo, s1
; %bb.507:
	v_cmp_ne_u32_e32 vcc_lo, 0, v96
	v_cndmask_b32_e32 v96, 25, v96, vcc_lo
; %bb.508:
	s_and_not1_saveexec_b32 s0, s0
	s_cbranch_execz .LBB82_514
; %bb.509:
	v_cmp_ngt_f32_e64 s1, |v90|, |v91|
	s_and_saveexec_b32 s12, s1
	s_delay_alu instid0(SALU_CYCLE_1)
	s_xor_b32 s1, exec_lo, s12
	s_cbranch_execz .LBB82_511
; %bb.510:
	v_div_scale_f32 v93, null, v91, v91, v90
	v_div_scale_f32 v101, vcc_lo, v90, v91, v90
	s_delay_alu instid0(VALU_DEP_2) | instskip(SKIP_1) | instid1(TRANS32_DEP_1)
	v_rcp_f32_e32 v99, v93
	v_nop
	v_fma_f32 v100, -v93, v99, 1.0
	s_delay_alu instid0(VALU_DEP_1) | instskip(NEXT) | instid1(VALU_DEP_1)
	v_fmac_f32_e32 v99, v100, v99
	v_mul_f32_e32 v100, v101, v99
	s_delay_alu instid0(VALU_DEP_1) | instskip(NEXT) | instid1(VALU_DEP_1)
	v_fma_f32 v102, -v93, v100, v101
	v_fmac_f32_e32 v100, v102, v99
	s_delay_alu instid0(VALU_DEP_1) | instskip(NEXT) | instid1(VALU_DEP_1)
	v_fma_f32 v93, -v93, v100, v101
	v_div_fmas_f32 v93, v93, v99, v100
	s_delay_alu instid0(VALU_DEP_1) | instskip(NEXT) | instid1(VALU_DEP_1)
	v_div_fixup_f32 v93, v93, v91, v90
	v_fmac_f32_e32 v91, v90, v93
	s_delay_alu instid0(VALU_DEP_1) | instskip(SKIP_1) | instid1(VALU_DEP_2)
	v_div_scale_f32 v90, null, v91, v91, 1.0
	v_div_scale_f32 v101, vcc_lo, 1.0, v91, 1.0
	v_rcp_f32_e32 v99, v90
	v_nop
	s_delay_alu instid0(TRANS32_DEP_1) | instskip(NEXT) | instid1(VALU_DEP_1)
	v_fma_f32 v100, -v90, v99, 1.0
	v_fmac_f32_e32 v99, v100, v99
	s_delay_alu instid0(VALU_DEP_1) | instskip(NEXT) | instid1(VALU_DEP_1)
	v_mul_f32_e32 v100, v101, v99
	v_fma_f32 v102, -v90, v100, v101
	s_delay_alu instid0(VALU_DEP_1) | instskip(NEXT) | instid1(VALU_DEP_1)
	v_fmac_f32_e32 v100, v102, v99
	v_fma_f32 v90, -v90, v100, v101
	s_delay_alu instid0(VALU_DEP_1) | instskip(NEXT) | instid1(VALU_DEP_1)
	v_div_fmas_f32 v90, v90, v99, v100
	v_div_fixup_f32 v91, v90, v91, 1.0
	s_delay_alu instid0(VALU_DEP_1)
	v_mul_f32_e32 v90, v93, v91
	v_xor_b32_e32 v91, 0x80000000, v91
.LBB82_511:
	s_and_not1_saveexec_b32 s1, s1
	s_cbranch_execz .LBB82_513
; %bb.512:
	s_delay_alu instid0(VALU_DEP_1) | instskip(SKIP_1) | instid1(VALU_DEP_2)
	v_div_scale_f32 v93, null, v90, v90, v91
	v_div_scale_f32 v101, vcc_lo, v91, v90, v91
	v_rcp_f32_e32 v99, v93
	v_nop
	s_delay_alu instid0(TRANS32_DEP_1) | instskip(NEXT) | instid1(VALU_DEP_1)
	v_fma_f32 v100, -v93, v99, 1.0
	v_fmac_f32_e32 v99, v100, v99
	s_delay_alu instid0(VALU_DEP_1) | instskip(NEXT) | instid1(VALU_DEP_1)
	v_mul_f32_e32 v100, v101, v99
	v_fma_f32 v102, -v93, v100, v101
	s_delay_alu instid0(VALU_DEP_1) | instskip(NEXT) | instid1(VALU_DEP_1)
	v_fmac_f32_e32 v100, v102, v99
	v_fma_f32 v93, -v93, v100, v101
	s_delay_alu instid0(VALU_DEP_1) | instskip(NEXT) | instid1(VALU_DEP_1)
	v_div_fmas_f32 v93, v93, v99, v100
	v_div_fixup_f32 v93, v93, v90, v91
	s_delay_alu instid0(VALU_DEP_1) | instskip(NEXT) | instid1(VALU_DEP_1)
	v_fmac_f32_e32 v90, v91, v93
	v_div_scale_f32 v91, null, v90, v90, 1.0
	s_delay_alu instid0(VALU_DEP_1) | instskip(SKIP_1) | instid1(TRANS32_DEP_1)
	v_rcp_f32_e32 v99, v91
	v_nop
	v_fma_f32 v100, -v91, v99, 1.0
	s_delay_alu instid0(VALU_DEP_1) | instskip(SKIP_1) | instid1(VALU_DEP_1)
	v_fmac_f32_e32 v99, v100, v99
	v_div_scale_f32 v100, vcc_lo, 1.0, v90, 1.0
	v_mul_f32_e32 v101, v100, v99
	s_delay_alu instid0(VALU_DEP_1) | instskip(NEXT) | instid1(VALU_DEP_1)
	v_fma_f32 v102, -v91, v101, v100
	v_fmac_f32_e32 v101, v102, v99
	s_delay_alu instid0(VALU_DEP_1) | instskip(NEXT) | instid1(VALU_DEP_1)
	v_fma_f32 v91, -v91, v101, v100
	v_div_fmas_f32 v91, v91, v99, v101
	s_delay_alu instid0(VALU_DEP_1) | instskip(NEXT) | instid1(VALU_DEP_1)
	v_div_fixup_f32 v90, v91, v90, 1.0
	v_mul_f32_e64 v91, v93, -v90
.LBB82_513:
	s_or_b32 exec_lo, exec_lo, s1
.LBB82_514:
	s_delay_alu instid0(SALU_CYCLE_1) | instskip(NEXT) | instid1(SALU_CYCLE_1)
	s_or_b32 exec_lo, exec_lo, s0
	s_mov_b32 s0, exec_lo
	v_cmpx_ne_u32_e64 v98, v92
	s_xor_b32 s0, exec_lo, s0
	s_cbranch_execz .LBB82_520
; %bb.515:
	s_mov_b32 s1, exec_lo
	v_cmpx_eq_u32_e32 24, v98
	s_cbranch_execz .LBB82_519
; %bb.516:
	v_cmp_ne_u32_e32 vcc_lo, 24, v92
	s_xor_b32 s12, s16, -1
	s_delay_alu instid0(SALU_CYCLE_1) | instskip(NEXT) | instid1(SALU_CYCLE_1)
	s_and_b32 s13, s12, vcc_lo
	s_and_saveexec_b32 s12, s13
	s_cbranch_execz .LBB82_518
; %bb.517:
	v_ashrrev_i32_e32 v93, 31, v92
	s_delay_alu instid0(VALU_DEP_1)
	v_lshl_add_u64 v[98:99], v[92:93], 2, v[4:5]
	s_clause 0x1
	global_load_b32 v93, v[98:99], off
	global_load_b32 v97, v[4:5], off offset:96
	s_wait_loadcnt 0x1
	global_store_b32 v[4:5], v93, off offset:96
	s_wait_loadcnt 0x0
	global_store_b32 v[98:99], v97, off
.LBB82_518:
	s_wait_xcnt 0x0
	s_or_b32 exec_lo, exec_lo, s12
	v_dual_mov_b32 v98, v92 :: v_dual_mov_b32 v97, v92
.LBB82_519:
	s_or_b32 exec_lo, exec_lo, s1
.LBB82_520:
	s_and_not1_saveexec_b32 s0, s0
	s_cbranch_execz .LBB82_522
; %bb.521:
	v_mov_b32_e32 v98, 24
	ds_store_2addr_b64 v94, v[36:37], v[38:39] offset0:25 offset1:26
	ds_store_2addr_b64 v94, v[34:35], v[70:71] offset0:27 offset1:28
	;; [unrolled: 1-line block ×8, first 2 shown]
	ds_store_b64 v94, v[88:89] offset:328
.LBB82_522:
	s_or_b32 exec_lo, exec_lo, s0
	s_delay_alu instid0(SALU_CYCLE_1)
	s_mov_b32 s0, exec_lo
	s_wait_storecnt_dscnt 0x0
	s_barrier_signal -1
	s_barrier_wait -1
	v_cmpx_lt_i32_e32 24, v98
	s_cbranch_execz .LBB82_524
; %bb.523:
	v_pk_mul_f32 v[100:101], v[90:91], v[72:73] op_sel:[1,1] op_sel_hi:[0,1]
	s_delay_alu instid0(VALU_DEP_1)
	v_pk_fma_f32 v[92:93], v[90:91], v[72:73], v[100:101] op_sel_hi:[1,0,1] neg_lo:[0,0,1] neg_hi:[0,0,1]
	v_pk_fma_f32 v[90:91], v[90:91], v[72:73], v[100:101] op_sel_hi:[1,0,1]
	ds_load_2addr_b64 v[100:103], v94 offset0:25 offset1:26
	v_dual_mov_b32 v72, v92 :: v_dual_mov_b32 v73, v91
	s_wait_dscnt 0x0
	v_pk_mul_f32 v[104:105], v[100:101], v[90:91] op_sel:[0,1]
	s_delay_alu instid0(VALU_DEP_1) | instskip(SKIP_1) | instid1(VALU_DEP_1)
	v_pk_fma_f32 v[106:107], v[100:101], v[92:93], v[104:105] op_sel:[0,0,1] op_sel_hi:[1,1,0] neg_lo:[0,0,1] neg_hi:[0,0,1]
	v_pk_fma_f32 v[100:101], v[100:101], v[92:93], v[104:105] op_sel:[0,0,1] op_sel_hi:[1,0,0]
	v_mov_b32_e32 v107, v101
	v_pk_mul_f32 v[100:101], v[102:103], v[90:91] op_sel:[0,1]
	s_delay_alu instid0(VALU_DEP_1) | instskip(SKIP_1) | instid1(VALU_DEP_1)
	v_pk_fma_f32 v[104:105], v[102:103], v[92:93], v[100:101] op_sel:[0,0,1] op_sel_hi:[1,1,0] neg_lo:[0,0,1] neg_hi:[0,0,1]
	v_pk_fma_f32 v[100:101], v[102:103], v[92:93], v[100:101] op_sel:[0,0,1] op_sel_hi:[1,0,0]
	v_mov_b32_e32 v105, v101
	ds_load_2addr_b64 v[100:103], v94 offset0:27 offset1:28
	v_pk_add_f32 v[36:37], v[36:37], v[106:107] neg_lo:[0,1] neg_hi:[0,1]
	v_pk_add_f32 v[38:39], v[38:39], v[104:105] neg_lo:[0,1] neg_hi:[0,1]
	s_wait_dscnt 0x0
	v_pk_mul_f32 v[104:105], v[100:101], v[90:91] op_sel:[0,1]
	s_delay_alu instid0(VALU_DEP_1) | instskip(SKIP_2) | instid1(VALU_DEP_2)
	v_pk_fma_f32 v[106:107], v[100:101], v[92:93], v[104:105] op_sel:[0,0,1] op_sel_hi:[1,1,0] neg_lo:[0,0,1] neg_hi:[0,0,1]
	v_pk_fma_f32 v[100:101], v[100:101], v[92:93], v[104:105] op_sel:[0,0,1] op_sel_hi:[1,0,0]
	v_dual_mul_f32 v104, v103, v91 :: v_dual_mov_b32 v100, v103
	v_dual_mov_b32 v107, v101 :: v_dual_mov_b32 v101, v102
	s_delay_alu instid0(VALU_DEP_2) | instskip(SKIP_1) | instid1(VALU_DEP_3)
	v_pk_fma_f32 v[104:105], v[102:103], v[72:73], v[104:105] op_sel_hi:[1,1,0] neg_lo:[0,0,1] neg_hi:[0,0,1]
	v_mul_f32_e32 v102, v103, v92
	v_pk_add_f32 v[34:35], v[34:35], v[106:107] neg_lo:[0,1] neg_hi:[0,1]
	s_delay_alu instid0(VALU_DEP_2) | instskip(NEXT) | instid1(VALU_DEP_1)
	v_pk_fma_f32 v[100:101], v[100:101], v[72:73], v[102:103] op_sel_hi:[1,1,0]
	v_mov_b32_e32 v105, v101
	ds_load_2addr_b64 v[100:103], v94 offset0:29 offset1:30
	v_pk_add_f32 v[70:71], v[70:71], v[104:105] neg_lo:[0,1] neg_hi:[0,1]
	s_wait_dscnt 0x0
	v_pk_mul_f32 v[104:105], v[100:101], v[90:91] op_sel:[0,1]
	s_delay_alu instid0(VALU_DEP_1) | instskip(SKIP_1) | instid1(VALU_DEP_1)
	v_pk_fma_f32 v[106:107], v[100:101], v[92:93], v[104:105] op_sel:[0,0,1] op_sel_hi:[1,1,0] neg_lo:[0,0,1] neg_hi:[0,0,1]
	v_pk_fma_f32 v[100:101], v[100:101], v[92:93], v[104:105] op_sel:[0,0,1] op_sel_hi:[1,0,0]
	v_mov_b32_e32 v107, v101
	v_pk_mul_f32 v[100:101], v[102:103], v[90:91] op_sel:[0,1]
	s_delay_alu instid0(VALU_DEP_1) | instskip(SKIP_1) | instid1(VALU_DEP_1)
	v_pk_fma_f32 v[104:105], v[102:103], v[92:93], v[100:101] op_sel:[0,0,1] op_sel_hi:[1,1,0] neg_lo:[0,0,1] neg_hi:[0,0,1]
	v_pk_fma_f32 v[100:101], v[102:103], v[92:93], v[100:101] op_sel:[0,0,1] op_sel_hi:[1,0,0]
	v_mov_b32_e32 v105, v101
	ds_load_2addr_b64 v[100:103], v94 offset0:31 offset1:32
	v_pk_add_f32 v[30:31], v[30:31], v[106:107] neg_lo:[0,1] neg_hi:[0,1]
	v_pk_add_f32 v[32:33], v[32:33], v[104:105] neg_lo:[0,1] neg_hi:[0,1]
	s_wait_dscnt 0x0
	v_pk_mul_f32 v[104:105], v[100:101], v[90:91] op_sel:[0,1]
	s_delay_alu instid0(VALU_DEP_1) | instskip(SKIP_1) | instid1(VALU_DEP_1)
	v_pk_fma_f32 v[106:107], v[100:101], v[92:93], v[104:105] op_sel:[0,0,1] op_sel_hi:[1,1,0] neg_lo:[0,0,1] neg_hi:[0,0,1]
	v_pk_fma_f32 v[100:101], v[100:101], v[92:93], v[104:105] op_sel:[0,0,1] op_sel_hi:[1,0,0]
	v_mov_b32_e32 v107, v101
	v_pk_mul_f32 v[100:101], v[102:103], v[90:91] op_sel:[0,1]
	s_delay_alu instid0(VALU_DEP_1) | instskip(SKIP_1) | instid1(VALU_DEP_1)
	v_pk_fma_f32 v[104:105], v[102:103], v[92:93], v[100:101] op_sel:[0,0,1] op_sel_hi:[1,1,0] neg_lo:[0,0,1] neg_hi:[0,0,1]
	v_pk_fma_f32 v[100:101], v[102:103], v[92:93], v[100:101] op_sel:[0,0,1] op_sel_hi:[1,0,0]
	v_mov_b32_e32 v105, v101
	ds_load_2addr_b64 v[100:103], v94 offset0:33 offset1:34
	v_pk_add_f32 v[28:29], v[28:29], v[106:107] neg_lo:[0,1] neg_hi:[0,1]
	v_pk_add_f32 v[64:65], v[64:65], v[104:105] neg_lo:[0,1] neg_hi:[0,1]
	s_wait_dscnt 0x0
	v_dual_mul_f32 v104, v101, v91 :: v_dual_mul_f32 v106, v101, v92
	s_delay_alu instid0(VALU_DEP_1) | instskip(NEXT) | instid1(VALU_DEP_2)
	v_pk_fma_f32 v[104:105], v[100:101], v[72:73], v[104:105] op_sel_hi:[1,1,0] neg_lo:[0,0,1] neg_hi:[0,0,1]
	v_pk_fma_f32 v[100:101], v[100:101], v[72:73], v[106:107] op_sel:[1,0,0] op_sel_hi:[0,1,0]
	s_delay_alu instid0(VALU_DEP_1) | instskip(SKIP_1) | instid1(VALU_DEP_2)
	v_mov_b32_e32 v105, v101
	v_pk_mul_f32 v[100:101], v[102:103], v[90:91] op_sel:[0,1]
	v_pk_add_f32 v[10:11], v[10:11], v[104:105] neg_lo:[0,1] neg_hi:[0,1]
	s_delay_alu instid0(VALU_DEP_2) | instskip(SKIP_1) | instid1(VALU_DEP_1)
	v_pk_fma_f32 v[104:105], v[102:103], v[92:93], v[100:101] op_sel:[0,0,1] op_sel_hi:[1,1,0] neg_lo:[0,0,1] neg_hi:[0,0,1]
	v_pk_fma_f32 v[100:101], v[102:103], v[92:93], v[100:101] op_sel:[0,0,1] op_sel_hi:[1,0,0]
	v_mov_b32_e32 v105, v101
	ds_load_2addr_b64 v[100:103], v94 offset0:35 offset1:36
	v_pk_add_f32 v[12:13], v[12:13], v[104:105] neg_lo:[0,1] neg_hi:[0,1]
	s_wait_dscnt 0x0
	v_pk_mul_f32 v[104:105], v[100:101], v[90:91] op_sel:[0,1]
	s_delay_alu instid0(VALU_DEP_1) | instskip(SKIP_1) | instid1(VALU_DEP_1)
	v_pk_fma_f32 v[106:107], v[100:101], v[92:93], v[104:105] op_sel:[0,0,1] op_sel_hi:[1,1,0] neg_lo:[0,0,1] neg_hi:[0,0,1]
	v_pk_fma_f32 v[100:101], v[100:101], v[92:93], v[104:105] op_sel:[0,0,1] op_sel_hi:[1,0,0]
	v_mov_b32_e32 v107, v101
	v_pk_mul_f32 v[100:101], v[102:103], v[90:91] op_sel:[0,1]
	s_delay_alu instid0(VALU_DEP_2) | instskip(NEXT) | instid1(VALU_DEP_2)
	v_pk_add_f32 v[8:9], v[8:9], v[106:107] neg_lo:[0,1] neg_hi:[0,1]
	v_pk_fma_f32 v[104:105], v[102:103], v[92:93], v[100:101] op_sel:[0,0,1] op_sel_hi:[1,1,0] neg_lo:[0,0,1] neg_hi:[0,0,1]
	v_pk_fma_f32 v[100:101], v[102:103], v[92:93], v[100:101] op_sel:[0,0,1] op_sel_hi:[1,0,0]
	s_delay_alu instid0(VALU_DEP_1) | instskip(SKIP_4) | instid1(VALU_DEP_1)
	v_mov_b32_e32 v105, v101
	ds_load_2addr_b64 v[100:103], v94 offset0:37 offset1:38
	v_pk_add_f32 v[62:63], v[62:63], v[104:105] neg_lo:[0,1] neg_hi:[0,1]
	s_wait_dscnt 0x0
	v_pk_mul_f32 v[104:105], v[100:101], v[90:91] op_sel:[0,1]
	v_pk_fma_f32 v[106:107], v[100:101], v[92:93], v[104:105] op_sel:[0,0,1] op_sel_hi:[1,1,0] neg_lo:[0,0,1] neg_hi:[0,0,1]
	v_pk_fma_f32 v[100:101], v[100:101], v[92:93], v[104:105] op_sel:[0,0,1] op_sel_hi:[1,0,0]
	v_dual_mul_f32 v104, v103, v91 :: v_dual_mov_b32 v100, v103
	s_delay_alu instid0(VALU_DEP_2) | instskip(NEXT) | instid1(VALU_DEP_2)
	v_dual_mov_b32 v107, v101 :: v_dual_mov_b32 v101, v102
	v_pk_fma_f32 v[104:105], v[102:103], v[72:73], v[104:105] op_sel_hi:[1,1,0] neg_lo:[0,0,1] neg_hi:[0,0,1]
	v_mul_f32_e32 v102, v103, v92
	s_delay_alu instid0(VALU_DEP_3) | instskip(NEXT) | instid1(VALU_DEP_2)
	v_pk_add_f32 v[6:7], v[6:7], v[106:107] neg_lo:[0,1] neg_hi:[0,1]
	v_pk_fma_f32 v[100:101], v[100:101], v[72:73], v[102:103] op_sel_hi:[1,1,0]
	s_delay_alu instid0(VALU_DEP_1) | instskip(SKIP_4) | instid1(VALU_DEP_1)
	v_mov_b32_e32 v105, v101
	ds_load_2addr_b64 v[100:103], v94 offset0:39 offset1:40
	v_pk_add_f32 v[54:55], v[54:55], v[104:105] neg_lo:[0,1] neg_hi:[0,1]
	s_wait_dscnt 0x0
	v_pk_mul_f32 v[104:105], v[100:101], v[90:91] op_sel:[0,1]
	v_pk_fma_f32 v[106:107], v[100:101], v[92:93], v[104:105] op_sel:[0,0,1] op_sel_hi:[1,1,0] neg_lo:[0,0,1] neg_hi:[0,0,1]
	v_pk_fma_f32 v[100:101], v[100:101], v[92:93], v[104:105] op_sel:[0,0,1] op_sel_hi:[1,0,0]
	s_delay_alu instid0(VALU_DEP_1) | instskip(SKIP_1) | instid1(VALU_DEP_1)
	v_mov_b32_e32 v107, v101
	v_pk_mul_f32 v[100:101], v[102:103], v[90:91] op_sel:[0,1]
	v_pk_fma_f32 v[104:105], v[102:103], v[92:93], v[100:101] op_sel:[0,0,1] op_sel_hi:[1,1,0] neg_lo:[0,0,1] neg_hi:[0,0,1]
	v_pk_fma_f32 v[100:101], v[102:103], v[92:93], v[100:101] op_sel:[0,0,1] op_sel_hi:[1,0,0]
	s_delay_alu instid0(VALU_DEP_1)
	v_mov_b32_e32 v105, v101
	ds_load_b64 v[100:101], v94 offset:328
	v_pk_add_f32 v[40:41], v[40:41], v[106:107] neg_lo:[0,1] neg_hi:[0,1]
	v_pk_add_f32 v[24:25], v[24:25], v[104:105] neg_lo:[0,1] neg_hi:[0,1]
	s_wait_dscnt 0x0
	v_pk_mul_f32 v[90:91], v[100:101], v[90:91] op_sel:[0,1]
	s_delay_alu instid0(VALU_DEP_1) | instskip(SKIP_1) | instid1(VALU_DEP_1)
	v_pk_fma_f32 v[102:103], v[100:101], v[92:93], v[90:91] op_sel:[0,0,1] op_sel_hi:[1,1,0] neg_lo:[0,0,1] neg_hi:[0,0,1]
	v_pk_fma_f32 v[90:91], v[100:101], v[92:93], v[90:91] op_sel:[0,0,1] op_sel_hi:[1,0,0]
	v_mov_b32_e32 v103, v91
	s_delay_alu instid0(VALU_DEP_1)
	v_pk_add_f32 v[88:89], v[88:89], v[102:103] neg_lo:[0,1] neg_hi:[0,1]
.LBB82_524:
	s_or_b32 exec_lo, exec_lo, s0
	v_lshl_add_u32 v90, v98, 3, v94
	s_barrier_signal -1
	s_barrier_wait -1
	ds_store_b64 v90, v[36:37]
	s_wait_dscnt 0x0
	s_barrier_signal -1
	s_barrier_wait -1
	ds_load_b64 v[90:91], v94 offset:200
	v_mov_b32_e32 v92, 25
	s_cmp_lt_i32 s18, 27
	s_cbranch_scc1 .LBB82_527
; %bb.525:
	v_add3_u32 v93, v95, 0, 0xd0
	v_mov_b32_e32 v92, 25
	s_mov_b32 s0, 26
.LBB82_526:                             ; =>This Inner Loop Header: Depth=1
	ds_load_b64 v[100:101], v93
	s_wait_dscnt 0x1
	v_cmp_gt_f32_e32 vcc_lo, 0, v90
	v_cndmask_b32_e64 v102, v90, -v90, vcc_lo
	v_cmp_gt_f32_e32 vcc_lo, 0, v91
	v_cndmask_b32_e64 v104, v91, -v91, vcc_lo
	s_wait_dscnt 0x0
	v_cmp_gt_f32_e32 vcc_lo, 0, v100
	v_cndmask_b32_e64 v103, v100, -v100, vcc_lo
	v_cmp_gt_f32_e32 vcc_lo, 0, v101
	v_cndmask_b32_e64 v105, v101, -v101, vcc_lo
	s_delay_alu instid0(VALU_DEP_1) | instskip(NEXT) | instid1(VALU_DEP_1)
	v_pk_add_f32 v[102:103], v[102:103], v[104:105]
	v_cmp_lt_f32_e32 vcc_lo, v102, v103
	v_dual_cndmask_b32 v90, v90, v100 :: v_dual_add_nc_u32 v93, 8, v93
	v_cndmask_b32_e32 v91, v91, v101, vcc_lo
	v_cndmask_b32_e64 v92, v92, s0, vcc_lo
	s_add_co_i32 s0, s0, 1
	s_delay_alu instid0(SALU_CYCLE_1)
	s_cmp_lg_u32 s18, s0
	s_cbranch_scc1 .LBB82_526
.LBB82_527:
	s_wait_dscnt 0x0
	v_cmp_eq_f32_e32 vcc_lo, 0, v90
	v_cmp_eq_f32_e64 s0, 0, v91
	s_and_b32 s0, vcc_lo, s0
	s_delay_alu instid0(SALU_CYCLE_1) | instskip(NEXT) | instid1(SALU_CYCLE_1)
	s_and_saveexec_b32 s1, s0
	s_xor_b32 s0, exec_lo, s1
; %bb.528:
	v_cmp_ne_u32_e32 vcc_lo, 0, v96
	v_cndmask_b32_e32 v96, 26, v96, vcc_lo
; %bb.529:
	s_and_not1_saveexec_b32 s0, s0
	s_cbranch_execz .LBB82_535
; %bb.530:
	v_cmp_ngt_f32_e64 s1, |v90|, |v91|
	s_and_saveexec_b32 s12, s1
	s_delay_alu instid0(SALU_CYCLE_1)
	s_xor_b32 s1, exec_lo, s12
	s_cbranch_execz .LBB82_532
; %bb.531:
	v_div_scale_f32 v93, null, v91, v91, v90
	v_div_scale_f32 v101, vcc_lo, v90, v91, v90
	s_delay_alu instid0(VALU_DEP_2) | instskip(SKIP_1) | instid1(TRANS32_DEP_1)
	v_rcp_f32_e32 v99, v93
	v_nop
	v_fma_f32 v100, -v93, v99, 1.0
	s_delay_alu instid0(VALU_DEP_1) | instskip(NEXT) | instid1(VALU_DEP_1)
	v_fmac_f32_e32 v99, v100, v99
	v_mul_f32_e32 v100, v101, v99
	s_delay_alu instid0(VALU_DEP_1) | instskip(NEXT) | instid1(VALU_DEP_1)
	v_fma_f32 v102, -v93, v100, v101
	v_fmac_f32_e32 v100, v102, v99
	s_delay_alu instid0(VALU_DEP_1) | instskip(NEXT) | instid1(VALU_DEP_1)
	v_fma_f32 v93, -v93, v100, v101
	v_div_fmas_f32 v93, v93, v99, v100
	s_delay_alu instid0(VALU_DEP_1) | instskip(NEXT) | instid1(VALU_DEP_1)
	v_div_fixup_f32 v93, v93, v91, v90
	v_fmac_f32_e32 v91, v90, v93
	s_delay_alu instid0(VALU_DEP_1) | instskip(SKIP_1) | instid1(VALU_DEP_2)
	v_div_scale_f32 v90, null, v91, v91, 1.0
	v_div_scale_f32 v101, vcc_lo, 1.0, v91, 1.0
	v_rcp_f32_e32 v99, v90
	v_nop
	s_delay_alu instid0(TRANS32_DEP_1) | instskip(NEXT) | instid1(VALU_DEP_1)
	v_fma_f32 v100, -v90, v99, 1.0
	v_fmac_f32_e32 v99, v100, v99
	s_delay_alu instid0(VALU_DEP_1) | instskip(NEXT) | instid1(VALU_DEP_1)
	v_mul_f32_e32 v100, v101, v99
	v_fma_f32 v102, -v90, v100, v101
	s_delay_alu instid0(VALU_DEP_1) | instskip(NEXT) | instid1(VALU_DEP_1)
	v_fmac_f32_e32 v100, v102, v99
	v_fma_f32 v90, -v90, v100, v101
	s_delay_alu instid0(VALU_DEP_1) | instskip(NEXT) | instid1(VALU_DEP_1)
	v_div_fmas_f32 v90, v90, v99, v100
	v_div_fixup_f32 v91, v90, v91, 1.0
	s_delay_alu instid0(VALU_DEP_1)
	v_mul_f32_e32 v90, v93, v91
	v_xor_b32_e32 v91, 0x80000000, v91
.LBB82_532:
	s_and_not1_saveexec_b32 s1, s1
	s_cbranch_execz .LBB82_534
; %bb.533:
	s_delay_alu instid0(VALU_DEP_1) | instskip(SKIP_1) | instid1(VALU_DEP_2)
	v_div_scale_f32 v93, null, v90, v90, v91
	v_div_scale_f32 v101, vcc_lo, v91, v90, v91
	v_rcp_f32_e32 v99, v93
	v_nop
	s_delay_alu instid0(TRANS32_DEP_1) | instskip(NEXT) | instid1(VALU_DEP_1)
	v_fma_f32 v100, -v93, v99, 1.0
	v_fmac_f32_e32 v99, v100, v99
	s_delay_alu instid0(VALU_DEP_1) | instskip(NEXT) | instid1(VALU_DEP_1)
	v_mul_f32_e32 v100, v101, v99
	v_fma_f32 v102, -v93, v100, v101
	s_delay_alu instid0(VALU_DEP_1) | instskip(NEXT) | instid1(VALU_DEP_1)
	v_fmac_f32_e32 v100, v102, v99
	v_fma_f32 v93, -v93, v100, v101
	s_delay_alu instid0(VALU_DEP_1) | instskip(NEXT) | instid1(VALU_DEP_1)
	v_div_fmas_f32 v93, v93, v99, v100
	v_div_fixup_f32 v93, v93, v90, v91
	s_delay_alu instid0(VALU_DEP_1) | instskip(NEXT) | instid1(VALU_DEP_1)
	v_fmac_f32_e32 v90, v91, v93
	v_div_scale_f32 v91, null, v90, v90, 1.0
	s_delay_alu instid0(VALU_DEP_1) | instskip(SKIP_1) | instid1(TRANS32_DEP_1)
	v_rcp_f32_e32 v99, v91
	v_nop
	v_fma_f32 v100, -v91, v99, 1.0
	s_delay_alu instid0(VALU_DEP_1) | instskip(SKIP_1) | instid1(VALU_DEP_1)
	v_fmac_f32_e32 v99, v100, v99
	v_div_scale_f32 v100, vcc_lo, 1.0, v90, 1.0
	v_mul_f32_e32 v101, v100, v99
	s_delay_alu instid0(VALU_DEP_1) | instskip(NEXT) | instid1(VALU_DEP_1)
	v_fma_f32 v102, -v91, v101, v100
	v_fmac_f32_e32 v101, v102, v99
	s_delay_alu instid0(VALU_DEP_1) | instskip(NEXT) | instid1(VALU_DEP_1)
	v_fma_f32 v91, -v91, v101, v100
	v_div_fmas_f32 v91, v91, v99, v101
	s_delay_alu instid0(VALU_DEP_1) | instskip(NEXT) | instid1(VALU_DEP_1)
	v_div_fixup_f32 v90, v91, v90, 1.0
	v_mul_f32_e64 v91, v93, -v90
.LBB82_534:
	s_or_b32 exec_lo, exec_lo, s1
.LBB82_535:
	s_delay_alu instid0(SALU_CYCLE_1) | instskip(NEXT) | instid1(SALU_CYCLE_1)
	s_or_b32 exec_lo, exec_lo, s0
	s_mov_b32 s0, exec_lo
	v_cmpx_ne_u32_e64 v98, v92
	s_xor_b32 s0, exec_lo, s0
	s_cbranch_execz .LBB82_541
; %bb.536:
	s_mov_b32 s1, exec_lo
	v_cmpx_eq_u32_e32 25, v98
	s_cbranch_execz .LBB82_540
; %bb.537:
	v_cmp_ne_u32_e32 vcc_lo, 25, v92
	s_xor_b32 s12, s16, -1
	s_delay_alu instid0(SALU_CYCLE_1) | instskip(NEXT) | instid1(SALU_CYCLE_1)
	s_and_b32 s13, s12, vcc_lo
	s_and_saveexec_b32 s12, s13
	s_cbranch_execz .LBB82_539
; %bb.538:
	v_ashrrev_i32_e32 v93, 31, v92
	s_delay_alu instid0(VALU_DEP_1)
	v_lshl_add_u64 v[98:99], v[92:93], 2, v[4:5]
	s_clause 0x1
	global_load_b32 v93, v[98:99], off
	global_load_b32 v97, v[4:5], off offset:100
	s_wait_loadcnt 0x1
	global_store_b32 v[4:5], v93, off offset:100
	s_wait_loadcnt 0x0
	global_store_b32 v[98:99], v97, off
.LBB82_539:
	s_wait_xcnt 0x0
	s_or_b32 exec_lo, exec_lo, s12
	v_dual_mov_b32 v98, v92 :: v_dual_mov_b32 v97, v92
.LBB82_540:
	s_or_b32 exec_lo, exec_lo, s1
.LBB82_541:
	s_and_not1_saveexec_b32 s0, s0
	s_cbranch_execz .LBB82_543
; %bb.542:
	v_dual_mov_b32 v92, v38 :: v_dual_mov_b32 v93, v39
	v_dual_mov_b32 v98, v34 :: v_dual_mov_b32 v99, v35
	;; [unrolled: 1-line block ×8, first 2 shown]
	ds_store_2addr_b64 v94, v[92:93], v[98:99] offset0:26 offset1:27
	ds_store_2addr_b64 v94, v[100:101], v[102:103] offset0:28 offset1:29
	;; [unrolled: 1-line block ×4, first 2 shown]
	v_dual_mov_b32 v92, v12 :: v_dual_mov_b32 v93, v13
	v_dual_mov_b32 v100, v8 :: v_dual_mov_b32 v101, v9
	;; [unrolled: 1-line block ×7, first 2 shown]
	v_mov_b32_e32 v111, v25
	ds_store_2addr_b64 v94, v[92:93], v[100:101] offset0:34 offset1:35
	ds_store_2addr_b64 v94, v[102:103], v[104:105] offset0:36 offset1:37
	;; [unrolled: 1-line block ×4, first 2 shown]
.LBB82_543:
	s_or_b32 exec_lo, exec_lo, s0
	s_delay_alu instid0(SALU_CYCLE_1)
	s_mov_b32 s0, exec_lo
	s_wait_storecnt_dscnt 0x0
	s_barrier_signal -1
	s_barrier_wait -1
	v_cmpx_lt_i32_e32 25, v98
	s_cbranch_execz .LBB82_545
; %bb.544:
	v_pk_mul_f32 v[100:101], v[90:91], v[36:37] op_sel:[1,1] op_sel_hi:[0,1]
	s_delay_alu instid0(VALU_DEP_1)
	v_pk_fma_f32 v[92:93], v[90:91], v[36:37], v[100:101] op_sel_hi:[1,0,1] neg_lo:[0,0,1] neg_hi:[0,0,1]
	v_pk_fma_f32 v[90:91], v[90:91], v[36:37], v[100:101] op_sel_hi:[1,0,1]
	ds_load_2addr_b64 v[100:103], v94 offset0:26 offset1:27
	v_dual_mov_b32 v36, v92 :: v_dual_mov_b32 v37, v91
	s_wait_dscnt 0x0
	v_pk_mul_f32 v[104:105], v[100:101], v[90:91] op_sel:[0,1]
	s_delay_alu instid0(VALU_DEP_1) | instskip(SKIP_1) | instid1(VALU_DEP_1)
	v_pk_fma_f32 v[106:107], v[100:101], v[92:93], v[104:105] op_sel:[0,0,1] op_sel_hi:[1,1,0] neg_lo:[0,0,1] neg_hi:[0,0,1]
	v_pk_fma_f32 v[100:101], v[100:101], v[92:93], v[104:105] op_sel:[0,0,1] op_sel_hi:[1,0,0]
	v_mov_b32_e32 v107, v101
	v_pk_mul_f32 v[100:101], v[102:103], v[90:91] op_sel:[0,1]
	s_delay_alu instid0(VALU_DEP_1) | instskip(SKIP_1) | instid1(VALU_DEP_1)
	v_pk_fma_f32 v[104:105], v[102:103], v[92:93], v[100:101] op_sel:[0,0,1] op_sel_hi:[1,1,0] neg_lo:[0,0,1] neg_hi:[0,0,1]
	v_pk_fma_f32 v[100:101], v[102:103], v[92:93], v[100:101] op_sel:[0,0,1] op_sel_hi:[1,0,0]
	v_mov_b32_e32 v105, v101
	ds_load_2addr_b64 v[100:103], v94 offset0:28 offset1:29
	v_pk_add_f32 v[38:39], v[38:39], v[106:107] neg_lo:[0,1] neg_hi:[0,1]
	v_pk_add_f32 v[34:35], v[34:35], v[104:105] neg_lo:[0,1] neg_hi:[0,1]
	s_wait_dscnt 0x0
	v_pk_mul_f32 v[104:105], v[100:101], v[90:91] op_sel:[0,1]
	s_delay_alu instid0(VALU_DEP_1) | instskip(SKIP_2) | instid1(VALU_DEP_2)
	v_pk_fma_f32 v[106:107], v[100:101], v[92:93], v[104:105] op_sel:[0,0,1] op_sel_hi:[1,1,0] neg_lo:[0,0,1] neg_hi:[0,0,1]
	v_pk_fma_f32 v[100:101], v[100:101], v[92:93], v[104:105] op_sel:[0,0,1] op_sel_hi:[1,0,0]
	v_dual_mul_f32 v104, v103, v91 :: v_dual_mov_b32 v100, v103
	v_dual_mov_b32 v107, v101 :: v_dual_mov_b32 v101, v102
	s_delay_alu instid0(VALU_DEP_2) | instskip(SKIP_1) | instid1(VALU_DEP_3)
	v_pk_fma_f32 v[104:105], v[102:103], v[36:37], v[104:105] op_sel_hi:[1,1,0] neg_lo:[0,0,1] neg_hi:[0,0,1]
	v_mul_f32_e32 v102, v103, v92
	v_pk_add_f32 v[70:71], v[70:71], v[106:107] neg_lo:[0,1] neg_hi:[0,1]
	s_delay_alu instid0(VALU_DEP_2) | instskip(NEXT) | instid1(VALU_DEP_1)
	v_pk_fma_f32 v[100:101], v[100:101], v[36:37], v[102:103] op_sel_hi:[1,1,0]
	v_mov_b32_e32 v105, v101
	ds_load_2addr_b64 v[100:103], v94 offset0:30 offset1:31
	v_pk_add_f32 v[30:31], v[30:31], v[104:105] neg_lo:[0,1] neg_hi:[0,1]
	s_wait_dscnt 0x0
	v_pk_mul_f32 v[104:105], v[100:101], v[90:91] op_sel:[0,1]
	s_delay_alu instid0(VALU_DEP_1) | instskip(SKIP_1) | instid1(VALU_DEP_1)
	v_pk_fma_f32 v[106:107], v[100:101], v[92:93], v[104:105] op_sel:[0,0,1] op_sel_hi:[1,1,0] neg_lo:[0,0,1] neg_hi:[0,0,1]
	v_pk_fma_f32 v[100:101], v[100:101], v[92:93], v[104:105] op_sel:[0,0,1] op_sel_hi:[1,0,0]
	v_mov_b32_e32 v107, v101
	v_pk_mul_f32 v[100:101], v[102:103], v[90:91] op_sel:[0,1]
	s_delay_alu instid0(VALU_DEP_1) | instskip(SKIP_1) | instid1(VALU_DEP_1)
	v_pk_fma_f32 v[104:105], v[102:103], v[92:93], v[100:101] op_sel:[0,0,1] op_sel_hi:[1,1,0] neg_lo:[0,0,1] neg_hi:[0,0,1]
	v_pk_fma_f32 v[100:101], v[102:103], v[92:93], v[100:101] op_sel:[0,0,1] op_sel_hi:[1,0,0]
	v_mov_b32_e32 v105, v101
	ds_load_2addr_b64 v[100:103], v94 offset0:32 offset1:33
	v_pk_add_f32 v[32:33], v[32:33], v[106:107] neg_lo:[0,1] neg_hi:[0,1]
	v_pk_add_f32 v[28:29], v[28:29], v[104:105] neg_lo:[0,1] neg_hi:[0,1]
	s_wait_dscnt 0x0
	v_pk_mul_f32 v[104:105], v[100:101], v[90:91] op_sel:[0,1]
	s_delay_alu instid0(VALU_DEP_1) | instskip(SKIP_1) | instid1(VALU_DEP_1)
	v_pk_fma_f32 v[106:107], v[100:101], v[92:93], v[104:105] op_sel:[0,0,1] op_sel_hi:[1,1,0] neg_lo:[0,0,1] neg_hi:[0,0,1]
	v_pk_fma_f32 v[100:101], v[100:101], v[92:93], v[104:105] op_sel:[0,0,1] op_sel_hi:[1,0,0]
	v_mov_b32_e32 v107, v101
	v_pk_mul_f32 v[100:101], v[102:103], v[90:91] op_sel:[0,1]
	s_delay_alu instid0(VALU_DEP_1) | instskip(SKIP_1) | instid1(VALU_DEP_1)
	v_pk_fma_f32 v[104:105], v[102:103], v[92:93], v[100:101] op_sel:[0,0,1] op_sel_hi:[1,1,0] neg_lo:[0,0,1] neg_hi:[0,0,1]
	v_pk_fma_f32 v[100:101], v[102:103], v[92:93], v[100:101] op_sel:[0,0,1] op_sel_hi:[1,0,0]
	v_mov_b32_e32 v105, v101
	ds_load_2addr_b64 v[100:103], v94 offset0:34 offset1:35
	v_pk_add_f32 v[64:65], v[64:65], v[106:107] neg_lo:[0,1] neg_hi:[0,1]
	v_pk_add_f32 v[10:11], v[10:11], v[104:105] neg_lo:[0,1] neg_hi:[0,1]
	s_wait_dscnt 0x0
	v_dual_mul_f32 v104, v101, v91 :: v_dual_mul_f32 v106, v101, v92
	s_delay_alu instid0(VALU_DEP_1) | instskip(NEXT) | instid1(VALU_DEP_2)
	v_pk_fma_f32 v[104:105], v[100:101], v[36:37], v[104:105] op_sel_hi:[1,1,0] neg_lo:[0,0,1] neg_hi:[0,0,1]
	v_pk_fma_f32 v[100:101], v[100:101], v[36:37], v[106:107] op_sel:[1,0,0] op_sel_hi:[0,1,0]
	s_delay_alu instid0(VALU_DEP_1) | instskip(SKIP_1) | instid1(VALU_DEP_2)
	v_mov_b32_e32 v105, v101
	v_pk_mul_f32 v[100:101], v[102:103], v[90:91] op_sel:[0,1]
	v_pk_add_f32 v[12:13], v[12:13], v[104:105] neg_lo:[0,1] neg_hi:[0,1]
	s_delay_alu instid0(VALU_DEP_2) | instskip(SKIP_1) | instid1(VALU_DEP_1)
	v_pk_fma_f32 v[104:105], v[102:103], v[92:93], v[100:101] op_sel:[0,0,1] op_sel_hi:[1,1,0] neg_lo:[0,0,1] neg_hi:[0,0,1]
	v_pk_fma_f32 v[100:101], v[102:103], v[92:93], v[100:101] op_sel:[0,0,1] op_sel_hi:[1,0,0]
	v_mov_b32_e32 v105, v101
	ds_load_2addr_b64 v[100:103], v94 offset0:36 offset1:37
	v_pk_add_f32 v[8:9], v[8:9], v[104:105] neg_lo:[0,1] neg_hi:[0,1]
	s_wait_dscnt 0x0
	v_pk_mul_f32 v[104:105], v[100:101], v[90:91] op_sel:[0,1]
	s_delay_alu instid0(VALU_DEP_1) | instskip(SKIP_1) | instid1(VALU_DEP_1)
	v_pk_fma_f32 v[106:107], v[100:101], v[92:93], v[104:105] op_sel:[0,0,1] op_sel_hi:[1,1,0] neg_lo:[0,0,1] neg_hi:[0,0,1]
	v_pk_fma_f32 v[100:101], v[100:101], v[92:93], v[104:105] op_sel:[0,0,1] op_sel_hi:[1,0,0]
	v_mov_b32_e32 v107, v101
	v_pk_mul_f32 v[100:101], v[102:103], v[90:91] op_sel:[0,1]
	s_delay_alu instid0(VALU_DEP_2) | instskip(NEXT) | instid1(VALU_DEP_2)
	v_pk_add_f32 v[62:63], v[62:63], v[106:107] neg_lo:[0,1] neg_hi:[0,1]
	v_pk_fma_f32 v[104:105], v[102:103], v[92:93], v[100:101] op_sel:[0,0,1] op_sel_hi:[1,1,0] neg_lo:[0,0,1] neg_hi:[0,0,1]
	v_pk_fma_f32 v[100:101], v[102:103], v[92:93], v[100:101] op_sel:[0,0,1] op_sel_hi:[1,0,0]
	s_delay_alu instid0(VALU_DEP_1) | instskip(SKIP_4) | instid1(VALU_DEP_1)
	v_mov_b32_e32 v105, v101
	ds_load_2addr_b64 v[100:103], v94 offset0:38 offset1:39
	v_pk_add_f32 v[6:7], v[6:7], v[104:105] neg_lo:[0,1] neg_hi:[0,1]
	s_wait_dscnt 0x0
	v_pk_mul_f32 v[104:105], v[100:101], v[90:91] op_sel:[0,1]
	v_pk_fma_f32 v[106:107], v[100:101], v[92:93], v[104:105] op_sel:[0,0,1] op_sel_hi:[1,1,0] neg_lo:[0,0,1] neg_hi:[0,0,1]
	v_pk_fma_f32 v[100:101], v[100:101], v[92:93], v[104:105] op_sel:[0,0,1] op_sel_hi:[1,0,0]
	v_dual_mul_f32 v104, v103, v91 :: v_dual_mov_b32 v100, v103
	s_delay_alu instid0(VALU_DEP_2) | instskip(NEXT) | instid1(VALU_DEP_2)
	v_dual_mov_b32 v107, v101 :: v_dual_mov_b32 v101, v102
	v_pk_fma_f32 v[104:105], v[102:103], v[36:37], v[104:105] op_sel_hi:[1,1,0] neg_lo:[0,0,1] neg_hi:[0,0,1]
	v_mul_f32_e32 v102, v103, v92
	s_delay_alu instid0(VALU_DEP_3) | instskip(NEXT) | instid1(VALU_DEP_2)
	v_pk_add_f32 v[54:55], v[54:55], v[106:107] neg_lo:[0,1] neg_hi:[0,1]
	v_pk_fma_f32 v[100:101], v[100:101], v[36:37], v[102:103] op_sel_hi:[1,1,0]
	s_delay_alu instid0(VALU_DEP_1)
	v_mov_b32_e32 v105, v101
	ds_load_2addr_b64 v[100:103], v94 offset0:40 offset1:41
	v_pk_add_f32 v[40:41], v[40:41], v[104:105] neg_lo:[0,1] neg_hi:[0,1]
	s_wait_dscnt 0x0
	v_pk_mul_f32 v[104:105], v[100:101], v[90:91] op_sel:[0,1]
	v_pk_mul_f32 v[90:91], v[102:103], v[90:91] op_sel:[0,1]
	s_delay_alu instid0(VALU_DEP_2) | instskip(SKIP_1) | instid1(VALU_DEP_1)
	v_pk_fma_f32 v[106:107], v[100:101], v[92:93], v[104:105] op_sel:[0,0,1] op_sel_hi:[1,1,0] neg_lo:[0,0,1] neg_hi:[0,0,1]
	v_pk_fma_f32 v[100:101], v[100:101], v[92:93], v[104:105] op_sel:[0,0,1] op_sel_hi:[1,0,0]
	v_mov_b32_e32 v107, v101
	s_delay_alu instid0(VALU_DEP_4) | instskip(SKIP_1) | instid1(VALU_DEP_1)
	v_pk_fma_f32 v[100:101], v[102:103], v[92:93], v[90:91] op_sel:[0,0,1] op_sel_hi:[1,1,0] neg_lo:[0,0,1] neg_hi:[0,0,1]
	v_pk_fma_f32 v[90:91], v[102:103], v[92:93], v[90:91] op_sel:[0,0,1] op_sel_hi:[1,0,0]
	v_mov_b32_e32 v101, v91
	s_delay_alu instid0(VALU_DEP_4) | instskip(NEXT) | instid1(VALU_DEP_2)
	v_pk_add_f32 v[24:25], v[24:25], v[106:107] neg_lo:[0,1] neg_hi:[0,1]
	v_pk_add_f32 v[88:89], v[88:89], v[100:101] neg_lo:[0,1] neg_hi:[0,1]
.LBB82_545:
	s_or_b32 exec_lo, exec_lo, s0
	v_lshl_add_u32 v90, v98, 3, v94
	s_barrier_signal -1
	s_barrier_wait -1
	ds_store_b64 v90, v[38:39]
	s_wait_dscnt 0x0
	s_barrier_signal -1
	s_barrier_wait -1
	ds_load_b64 v[90:91], v94 offset:208
	v_mov_b32_e32 v92, 26
	s_cmp_lt_i32 s18, 28
	s_cbranch_scc1 .LBB82_548
; %bb.546:
	v_add3_u32 v93, v95, 0, 0xd8
	v_mov_b32_e32 v92, 26
	s_mov_b32 s0, 27
.LBB82_547:                             ; =>This Inner Loop Header: Depth=1
	ds_load_b64 v[100:101], v93
	s_wait_dscnt 0x1
	v_cmp_gt_f32_e32 vcc_lo, 0, v90
	v_cndmask_b32_e64 v102, v90, -v90, vcc_lo
	v_cmp_gt_f32_e32 vcc_lo, 0, v91
	v_cndmask_b32_e64 v104, v91, -v91, vcc_lo
	s_wait_dscnt 0x0
	v_cmp_gt_f32_e32 vcc_lo, 0, v100
	v_cndmask_b32_e64 v103, v100, -v100, vcc_lo
	v_cmp_gt_f32_e32 vcc_lo, 0, v101
	v_cndmask_b32_e64 v105, v101, -v101, vcc_lo
	s_delay_alu instid0(VALU_DEP_1) | instskip(NEXT) | instid1(VALU_DEP_1)
	v_pk_add_f32 v[102:103], v[102:103], v[104:105]
	v_cmp_lt_f32_e32 vcc_lo, v102, v103
	v_dual_cndmask_b32 v90, v90, v100 :: v_dual_add_nc_u32 v93, 8, v93
	v_cndmask_b32_e32 v91, v91, v101, vcc_lo
	v_cndmask_b32_e64 v92, v92, s0, vcc_lo
	s_add_co_i32 s0, s0, 1
	s_delay_alu instid0(SALU_CYCLE_1)
	s_cmp_lg_u32 s18, s0
	s_cbranch_scc1 .LBB82_547
.LBB82_548:
	s_wait_dscnt 0x0
	v_cmp_eq_f32_e32 vcc_lo, 0, v90
	v_cmp_eq_f32_e64 s0, 0, v91
	s_and_b32 s0, vcc_lo, s0
	s_delay_alu instid0(SALU_CYCLE_1) | instskip(NEXT) | instid1(SALU_CYCLE_1)
	s_and_saveexec_b32 s1, s0
	s_xor_b32 s0, exec_lo, s1
; %bb.549:
	v_cmp_ne_u32_e32 vcc_lo, 0, v96
	v_cndmask_b32_e32 v96, 27, v96, vcc_lo
; %bb.550:
	s_and_not1_saveexec_b32 s0, s0
	s_cbranch_execz .LBB82_556
; %bb.551:
	v_cmp_ngt_f32_e64 s1, |v90|, |v91|
	s_and_saveexec_b32 s12, s1
	s_delay_alu instid0(SALU_CYCLE_1)
	s_xor_b32 s1, exec_lo, s12
	s_cbranch_execz .LBB82_553
; %bb.552:
	v_div_scale_f32 v93, null, v91, v91, v90
	v_div_scale_f32 v101, vcc_lo, v90, v91, v90
	s_delay_alu instid0(VALU_DEP_2) | instskip(SKIP_1) | instid1(TRANS32_DEP_1)
	v_rcp_f32_e32 v99, v93
	v_nop
	v_fma_f32 v100, -v93, v99, 1.0
	s_delay_alu instid0(VALU_DEP_1) | instskip(NEXT) | instid1(VALU_DEP_1)
	v_fmac_f32_e32 v99, v100, v99
	v_mul_f32_e32 v100, v101, v99
	s_delay_alu instid0(VALU_DEP_1) | instskip(NEXT) | instid1(VALU_DEP_1)
	v_fma_f32 v102, -v93, v100, v101
	v_fmac_f32_e32 v100, v102, v99
	s_delay_alu instid0(VALU_DEP_1) | instskip(NEXT) | instid1(VALU_DEP_1)
	v_fma_f32 v93, -v93, v100, v101
	v_div_fmas_f32 v93, v93, v99, v100
	s_delay_alu instid0(VALU_DEP_1) | instskip(NEXT) | instid1(VALU_DEP_1)
	v_div_fixup_f32 v93, v93, v91, v90
	v_fmac_f32_e32 v91, v90, v93
	s_delay_alu instid0(VALU_DEP_1) | instskip(SKIP_1) | instid1(VALU_DEP_2)
	v_div_scale_f32 v90, null, v91, v91, 1.0
	v_div_scale_f32 v101, vcc_lo, 1.0, v91, 1.0
	v_rcp_f32_e32 v99, v90
	v_nop
	s_delay_alu instid0(TRANS32_DEP_1) | instskip(NEXT) | instid1(VALU_DEP_1)
	v_fma_f32 v100, -v90, v99, 1.0
	v_fmac_f32_e32 v99, v100, v99
	s_delay_alu instid0(VALU_DEP_1) | instskip(NEXT) | instid1(VALU_DEP_1)
	v_mul_f32_e32 v100, v101, v99
	v_fma_f32 v102, -v90, v100, v101
	s_delay_alu instid0(VALU_DEP_1) | instskip(NEXT) | instid1(VALU_DEP_1)
	v_fmac_f32_e32 v100, v102, v99
	v_fma_f32 v90, -v90, v100, v101
	s_delay_alu instid0(VALU_DEP_1) | instskip(NEXT) | instid1(VALU_DEP_1)
	v_div_fmas_f32 v90, v90, v99, v100
	v_div_fixup_f32 v91, v90, v91, 1.0
	s_delay_alu instid0(VALU_DEP_1)
	v_mul_f32_e32 v90, v93, v91
	v_xor_b32_e32 v91, 0x80000000, v91
.LBB82_553:
	s_and_not1_saveexec_b32 s1, s1
	s_cbranch_execz .LBB82_555
; %bb.554:
	s_delay_alu instid0(VALU_DEP_1) | instskip(SKIP_1) | instid1(VALU_DEP_2)
	v_div_scale_f32 v93, null, v90, v90, v91
	v_div_scale_f32 v101, vcc_lo, v91, v90, v91
	v_rcp_f32_e32 v99, v93
	v_nop
	s_delay_alu instid0(TRANS32_DEP_1) | instskip(NEXT) | instid1(VALU_DEP_1)
	v_fma_f32 v100, -v93, v99, 1.0
	v_fmac_f32_e32 v99, v100, v99
	s_delay_alu instid0(VALU_DEP_1) | instskip(NEXT) | instid1(VALU_DEP_1)
	v_mul_f32_e32 v100, v101, v99
	v_fma_f32 v102, -v93, v100, v101
	s_delay_alu instid0(VALU_DEP_1) | instskip(NEXT) | instid1(VALU_DEP_1)
	v_fmac_f32_e32 v100, v102, v99
	v_fma_f32 v93, -v93, v100, v101
	s_delay_alu instid0(VALU_DEP_1) | instskip(NEXT) | instid1(VALU_DEP_1)
	v_div_fmas_f32 v93, v93, v99, v100
	v_div_fixup_f32 v93, v93, v90, v91
	s_delay_alu instid0(VALU_DEP_1) | instskip(NEXT) | instid1(VALU_DEP_1)
	v_fmac_f32_e32 v90, v91, v93
	v_div_scale_f32 v91, null, v90, v90, 1.0
	s_delay_alu instid0(VALU_DEP_1) | instskip(SKIP_1) | instid1(TRANS32_DEP_1)
	v_rcp_f32_e32 v99, v91
	v_nop
	v_fma_f32 v100, -v91, v99, 1.0
	s_delay_alu instid0(VALU_DEP_1) | instskip(SKIP_1) | instid1(VALU_DEP_1)
	v_fmac_f32_e32 v99, v100, v99
	v_div_scale_f32 v100, vcc_lo, 1.0, v90, 1.0
	v_mul_f32_e32 v101, v100, v99
	s_delay_alu instid0(VALU_DEP_1) | instskip(NEXT) | instid1(VALU_DEP_1)
	v_fma_f32 v102, -v91, v101, v100
	v_fmac_f32_e32 v101, v102, v99
	s_delay_alu instid0(VALU_DEP_1) | instskip(NEXT) | instid1(VALU_DEP_1)
	v_fma_f32 v91, -v91, v101, v100
	v_div_fmas_f32 v91, v91, v99, v101
	s_delay_alu instid0(VALU_DEP_1) | instskip(NEXT) | instid1(VALU_DEP_1)
	v_div_fixup_f32 v90, v91, v90, 1.0
	v_mul_f32_e64 v91, v93, -v90
.LBB82_555:
	s_or_b32 exec_lo, exec_lo, s1
.LBB82_556:
	s_delay_alu instid0(SALU_CYCLE_1) | instskip(NEXT) | instid1(SALU_CYCLE_1)
	s_or_b32 exec_lo, exec_lo, s0
	s_mov_b32 s0, exec_lo
	v_cmpx_ne_u32_e64 v98, v92
	s_xor_b32 s0, exec_lo, s0
	s_cbranch_execz .LBB82_562
; %bb.557:
	s_mov_b32 s1, exec_lo
	v_cmpx_eq_u32_e32 26, v98
	s_cbranch_execz .LBB82_561
; %bb.558:
	v_cmp_ne_u32_e32 vcc_lo, 26, v92
	s_xor_b32 s12, s16, -1
	s_delay_alu instid0(SALU_CYCLE_1) | instskip(NEXT) | instid1(SALU_CYCLE_1)
	s_and_b32 s13, s12, vcc_lo
	s_and_saveexec_b32 s12, s13
	s_cbranch_execz .LBB82_560
; %bb.559:
	v_ashrrev_i32_e32 v93, 31, v92
	s_delay_alu instid0(VALU_DEP_1)
	v_lshl_add_u64 v[98:99], v[92:93], 2, v[4:5]
	s_clause 0x1
	global_load_b32 v93, v[98:99], off
	global_load_b32 v97, v[4:5], off offset:104
	s_wait_loadcnt 0x1
	global_store_b32 v[4:5], v93, off offset:104
	s_wait_loadcnt 0x0
	global_store_b32 v[98:99], v97, off
.LBB82_560:
	s_wait_xcnt 0x0
	s_or_b32 exec_lo, exec_lo, s12
	v_dual_mov_b32 v98, v92 :: v_dual_mov_b32 v97, v92
.LBB82_561:
	s_or_b32 exec_lo, exec_lo, s1
.LBB82_562:
	s_and_not1_saveexec_b32 s0, s0
	s_cbranch_execz .LBB82_564
; %bb.563:
	v_mov_b32_e32 v98, 26
	ds_store_2addr_b64 v94, v[34:35], v[70:71] offset0:27 offset1:28
	ds_store_2addr_b64 v94, v[30:31], v[32:33] offset0:29 offset1:30
	;; [unrolled: 1-line block ×7, first 2 shown]
	ds_store_b64 v94, v[88:89] offset:328
.LBB82_564:
	s_or_b32 exec_lo, exec_lo, s0
	s_delay_alu instid0(SALU_CYCLE_1)
	s_mov_b32 s0, exec_lo
	s_wait_storecnt_dscnt 0x0
	s_barrier_signal -1
	s_barrier_wait -1
	v_cmpx_lt_i32_e32 26, v98
	s_cbranch_execz .LBB82_566
; %bb.565:
	v_pk_mul_f32 v[100:101], v[90:91], v[38:39] op_sel:[1,1] op_sel_hi:[0,1]
	s_delay_alu instid0(VALU_DEP_1)
	v_pk_fma_f32 v[92:93], v[90:91], v[38:39], v[100:101] op_sel_hi:[1,0,1] neg_lo:[0,0,1] neg_hi:[0,0,1]
	v_pk_fma_f32 v[90:91], v[90:91], v[38:39], v[100:101] op_sel_hi:[1,0,1]
	ds_load_2addr_b64 v[100:103], v94 offset0:27 offset1:28
	v_dual_mov_b32 v38, v92 :: v_dual_mov_b32 v39, v91
	s_wait_dscnt 0x0
	v_pk_mul_f32 v[104:105], v[100:101], v[90:91] op_sel:[0,1]
	s_delay_alu instid0(VALU_DEP_1) | instskip(SKIP_1) | instid1(VALU_DEP_1)
	v_pk_fma_f32 v[106:107], v[100:101], v[92:93], v[104:105] op_sel:[0,0,1] op_sel_hi:[1,1,0] neg_lo:[0,0,1] neg_hi:[0,0,1]
	v_pk_fma_f32 v[100:101], v[100:101], v[92:93], v[104:105] op_sel:[0,0,1] op_sel_hi:[1,0,0]
	v_mov_b32_e32 v107, v101
	v_pk_mul_f32 v[100:101], v[102:103], v[90:91] op_sel:[0,1]
	s_delay_alu instid0(VALU_DEP_1) | instskip(SKIP_1) | instid1(VALU_DEP_1)
	v_pk_fma_f32 v[104:105], v[102:103], v[92:93], v[100:101] op_sel:[0,0,1] op_sel_hi:[1,1,0] neg_lo:[0,0,1] neg_hi:[0,0,1]
	v_pk_fma_f32 v[100:101], v[102:103], v[92:93], v[100:101] op_sel:[0,0,1] op_sel_hi:[1,0,0]
	v_mov_b32_e32 v105, v101
	ds_load_2addr_b64 v[100:103], v94 offset0:29 offset1:30
	v_pk_add_f32 v[34:35], v[34:35], v[106:107] neg_lo:[0,1] neg_hi:[0,1]
	v_pk_add_f32 v[70:71], v[70:71], v[104:105] neg_lo:[0,1] neg_hi:[0,1]
	s_wait_dscnt 0x0
	v_pk_mul_f32 v[104:105], v[100:101], v[90:91] op_sel:[0,1]
	s_delay_alu instid0(VALU_DEP_1) | instskip(SKIP_2) | instid1(VALU_DEP_2)
	v_pk_fma_f32 v[106:107], v[100:101], v[92:93], v[104:105] op_sel:[0,0,1] op_sel_hi:[1,1,0] neg_lo:[0,0,1] neg_hi:[0,0,1]
	v_pk_fma_f32 v[100:101], v[100:101], v[92:93], v[104:105] op_sel:[0,0,1] op_sel_hi:[1,0,0]
	v_dual_mul_f32 v104, v103, v91 :: v_dual_mov_b32 v100, v103
	v_dual_mov_b32 v107, v101 :: v_dual_mov_b32 v101, v102
	s_delay_alu instid0(VALU_DEP_2) | instskip(SKIP_1) | instid1(VALU_DEP_3)
	v_pk_fma_f32 v[104:105], v[102:103], v[38:39], v[104:105] op_sel_hi:[1,1,0] neg_lo:[0,0,1] neg_hi:[0,0,1]
	v_mul_f32_e32 v102, v103, v92
	v_pk_add_f32 v[30:31], v[30:31], v[106:107] neg_lo:[0,1] neg_hi:[0,1]
	s_delay_alu instid0(VALU_DEP_2) | instskip(NEXT) | instid1(VALU_DEP_1)
	v_pk_fma_f32 v[100:101], v[100:101], v[38:39], v[102:103] op_sel_hi:[1,1,0]
	v_mov_b32_e32 v105, v101
	ds_load_2addr_b64 v[100:103], v94 offset0:31 offset1:32
	v_pk_add_f32 v[32:33], v[32:33], v[104:105] neg_lo:[0,1] neg_hi:[0,1]
	s_wait_dscnt 0x0
	v_pk_mul_f32 v[104:105], v[100:101], v[90:91] op_sel:[0,1]
	s_delay_alu instid0(VALU_DEP_1) | instskip(SKIP_1) | instid1(VALU_DEP_1)
	v_pk_fma_f32 v[106:107], v[100:101], v[92:93], v[104:105] op_sel:[0,0,1] op_sel_hi:[1,1,0] neg_lo:[0,0,1] neg_hi:[0,0,1]
	v_pk_fma_f32 v[100:101], v[100:101], v[92:93], v[104:105] op_sel:[0,0,1] op_sel_hi:[1,0,0]
	v_mov_b32_e32 v107, v101
	v_pk_mul_f32 v[100:101], v[102:103], v[90:91] op_sel:[0,1]
	s_delay_alu instid0(VALU_DEP_1) | instskip(SKIP_1) | instid1(VALU_DEP_1)
	v_pk_fma_f32 v[104:105], v[102:103], v[92:93], v[100:101] op_sel:[0,0,1] op_sel_hi:[1,1,0] neg_lo:[0,0,1] neg_hi:[0,0,1]
	v_pk_fma_f32 v[100:101], v[102:103], v[92:93], v[100:101] op_sel:[0,0,1] op_sel_hi:[1,0,0]
	v_mov_b32_e32 v105, v101
	ds_load_2addr_b64 v[100:103], v94 offset0:33 offset1:34
	v_pk_add_f32 v[28:29], v[28:29], v[106:107] neg_lo:[0,1] neg_hi:[0,1]
	v_pk_add_f32 v[64:65], v[64:65], v[104:105] neg_lo:[0,1] neg_hi:[0,1]
	s_wait_dscnt 0x0
	v_pk_mul_f32 v[104:105], v[100:101], v[90:91] op_sel:[0,1]
	s_delay_alu instid0(VALU_DEP_1) | instskip(SKIP_1) | instid1(VALU_DEP_1)
	v_pk_fma_f32 v[106:107], v[100:101], v[92:93], v[104:105] op_sel:[0,0,1] op_sel_hi:[1,1,0] neg_lo:[0,0,1] neg_hi:[0,0,1]
	v_pk_fma_f32 v[100:101], v[100:101], v[92:93], v[104:105] op_sel:[0,0,1] op_sel_hi:[1,0,0]
	v_mov_b32_e32 v107, v101
	v_pk_mul_f32 v[100:101], v[102:103], v[90:91] op_sel:[0,1]
	s_delay_alu instid0(VALU_DEP_1) | instskip(SKIP_1) | instid1(VALU_DEP_1)
	v_pk_fma_f32 v[104:105], v[102:103], v[92:93], v[100:101] op_sel:[0,0,1] op_sel_hi:[1,1,0] neg_lo:[0,0,1] neg_hi:[0,0,1]
	v_pk_fma_f32 v[100:101], v[102:103], v[92:93], v[100:101] op_sel:[0,0,1] op_sel_hi:[1,0,0]
	v_mov_b32_e32 v105, v101
	ds_load_2addr_b64 v[100:103], v94 offset0:35 offset1:36
	v_pk_add_f32 v[10:11], v[10:11], v[106:107] neg_lo:[0,1] neg_hi:[0,1]
	v_pk_add_f32 v[12:13], v[12:13], v[104:105] neg_lo:[0,1] neg_hi:[0,1]
	s_wait_dscnt 0x0
	v_dual_mul_f32 v104, v101, v91 :: v_dual_mul_f32 v106, v101, v92
	s_delay_alu instid0(VALU_DEP_1) | instskip(NEXT) | instid1(VALU_DEP_2)
	v_pk_fma_f32 v[104:105], v[100:101], v[38:39], v[104:105] op_sel_hi:[1,1,0] neg_lo:[0,0,1] neg_hi:[0,0,1]
	v_pk_fma_f32 v[100:101], v[100:101], v[38:39], v[106:107] op_sel:[1,0,0] op_sel_hi:[0,1,0]
	s_delay_alu instid0(VALU_DEP_1) | instskip(SKIP_1) | instid1(VALU_DEP_2)
	v_mov_b32_e32 v105, v101
	v_pk_mul_f32 v[100:101], v[102:103], v[90:91] op_sel:[0,1]
	v_pk_add_f32 v[8:9], v[8:9], v[104:105] neg_lo:[0,1] neg_hi:[0,1]
	s_delay_alu instid0(VALU_DEP_2) | instskip(SKIP_1) | instid1(VALU_DEP_1)
	v_pk_fma_f32 v[104:105], v[102:103], v[92:93], v[100:101] op_sel:[0,0,1] op_sel_hi:[1,1,0] neg_lo:[0,0,1] neg_hi:[0,0,1]
	v_pk_fma_f32 v[100:101], v[102:103], v[92:93], v[100:101] op_sel:[0,0,1] op_sel_hi:[1,0,0]
	v_mov_b32_e32 v105, v101
	ds_load_2addr_b64 v[100:103], v94 offset0:37 offset1:38
	v_pk_add_f32 v[62:63], v[62:63], v[104:105] neg_lo:[0,1] neg_hi:[0,1]
	s_wait_dscnt 0x0
	v_pk_mul_f32 v[104:105], v[100:101], v[90:91] op_sel:[0,1]
	s_delay_alu instid0(VALU_DEP_1) | instskip(SKIP_1) | instid1(VALU_DEP_1)
	v_pk_fma_f32 v[106:107], v[100:101], v[92:93], v[104:105] op_sel:[0,0,1] op_sel_hi:[1,1,0] neg_lo:[0,0,1] neg_hi:[0,0,1]
	v_pk_fma_f32 v[100:101], v[100:101], v[92:93], v[104:105] op_sel:[0,0,1] op_sel_hi:[1,0,0]
	v_mov_b32_e32 v107, v101
	v_pk_mul_f32 v[100:101], v[102:103], v[90:91] op_sel:[0,1]
	s_delay_alu instid0(VALU_DEP_2) | instskip(NEXT) | instid1(VALU_DEP_2)
	v_pk_add_f32 v[6:7], v[6:7], v[106:107] neg_lo:[0,1] neg_hi:[0,1]
	v_pk_fma_f32 v[104:105], v[102:103], v[92:93], v[100:101] op_sel:[0,0,1] op_sel_hi:[1,1,0] neg_lo:[0,0,1] neg_hi:[0,0,1]
	v_pk_fma_f32 v[100:101], v[102:103], v[92:93], v[100:101] op_sel:[0,0,1] op_sel_hi:[1,0,0]
	s_delay_alu instid0(VALU_DEP_1) | instskip(SKIP_4) | instid1(VALU_DEP_1)
	v_mov_b32_e32 v105, v101
	ds_load_2addr_b64 v[100:103], v94 offset0:39 offset1:40
	v_pk_add_f32 v[54:55], v[54:55], v[104:105] neg_lo:[0,1] neg_hi:[0,1]
	s_wait_dscnt 0x0
	v_pk_mul_f32 v[104:105], v[100:101], v[90:91] op_sel:[0,1]
	v_pk_fma_f32 v[106:107], v[100:101], v[92:93], v[104:105] op_sel:[0,0,1] op_sel_hi:[1,1,0] neg_lo:[0,0,1] neg_hi:[0,0,1]
	v_pk_fma_f32 v[100:101], v[100:101], v[92:93], v[104:105] op_sel:[0,0,1] op_sel_hi:[1,0,0]
	v_dual_mul_f32 v104, v103, v91 :: v_dual_mov_b32 v100, v103
	s_delay_alu instid0(VALU_DEP_2) | instskip(NEXT) | instid1(VALU_DEP_2)
	v_dual_mov_b32 v107, v101 :: v_dual_mov_b32 v101, v102
	v_pk_fma_f32 v[104:105], v[102:103], v[38:39], v[104:105] op_sel_hi:[1,1,0] neg_lo:[0,0,1] neg_hi:[0,0,1]
	v_mul_f32_e32 v102, v103, v92
	s_delay_alu instid0(VALU_DEP_3) | instskip(NEXT) | instid1(VALU_DEP_2)
	v_pk_add_f32 v[40:41], v[40:41], v[106:107] neg_lo:[0,1] neg_hi:[0,1]
	v_pk_fma_f32 v[100:101], v[100:101], v[38:39], v[102:103] op_sel_hi:[1,1,0]
	s_delay_alu instid0(VALU_DEP_1) | instskip(SKIP_4) | instid1(VALU_DEP_1)
	v_mov_b32_e32 v105, v101
	ds_load_b64 v[100:101], v94 offset:328
	v_pk_add_f32 v[24:25], v[24:25], v[104:105] neg_lo:[0,1] neg_hi:[0,1]
	s_wait_dscnt 0x0
	v_pk_mul_f32 v[90:91], v[100:101], v[90:91] op_sel:[0,1]
	v_pk_fma_f32 v[102:103], v[100:101], v[92:93], v[90:91] op_sel:[0,0,1] op_sel_hi:[1,1,0] neg_lo:[0,0,1] neg_hi:[0,0,1]
	v_pk_fma_f32 v[90:91], v[100:101], v[92:93], v[90:91] op_sel:[0,0,1] op_sel_hi:[1,0,0]
	s_delay_alu instid0(VALU_DEP_1) | instskip(NEXT) | instid1(VALU_DEP_1)
	v_mov_b32_e32 v103, v91
	v_pk_add_f32 v[88:89], v[88:89], v[102:103] neg_lo:[0,1] neg_hi:[0,1]
.LBB82_566:
	s_or_b32 exec_lo, exec_lo, s0
	v_lshl_add_u32 v90, v98, 3, v94
	s_barrier_signal -1
	s_barrier_wait -1
	ds_store_b64 v90, v[34:35]
	s_wait_dscnt 0x0
	s_barrier_signal -1
	s_barrier_wait -1
	ds_load_b64 v[90:91], v94 offset:216
	v_mov_b32_e32 v92, 27
	s_cmp_lt_i32 s18, 29
	s_cbranch_scc1 .LBB82_569
; %bb.567:
	v_add3_u32 v93, v95, 0, 0xe0
	v_mov_b32_e32 v92, 27
	s_mov_b32 s0, 28
.LBB82_568:                             ; =>This Inner Loop Header: Depth=1
	ds_load_b64 v[100:101], v93
	s_wait_dscnt 0x1
	v_cmp_gt_f32_e32 vcc_lo, 0, v90
	v_cndmask_b32_e64 v102, v90, -v90, vcc_lo
	v_cmp_gt_f32_e32 vcc_lo, 0, v91
	v_cndmask_b32_e64 v104, v91, -v91, vcc_lo
	s_wait_dscnt 0x0
	v_cmp_gt_f32_e32 vcc_lo, 0, v100
	v_cndmask_b32_e64 v103, v100, -v100, vcc_lo
	v_cmp_gt_f32_e32 vcc_lo, 0, v101
	v_cndmask_b32_e64 v105, v101, -v101, vcc_lo
	s_delay_alu instid0(VALU_DEP_1) | instskip(NEXT) | instid1(VALU_DEP_1)
	v_pk_add_f32 v[102:103], v[102:103], v[104:105]
	v_cmp_lt_f32_e32 vcc_lo, v102, v103
	v_dual_cndmask_b32 v90, v90, v100 :: v_dual_add_nc_u32 v93, 8, v93
	v_cndmask_b32_e32 v91, v91, v101, vcc_lo
	v_cndmask_b32_e64 v92, v92, s0, vcc_lo
	s_add_co_i32 s0, s0, 1
	s_delay_alu instid0(SALU_CYCLE_1)
	s_cmp_lg_u32 s18, s0
	s_cbranch_scc1 .LBB82_568
.LBB82_569:
	s_wait_dscnt 0x0
	v_cmp_eq_f32_e32 vcc_lo, 0, v90
	v_cmp_eq_f32_e64 s0, 0, v91
	s_and_b32 s0, vcc_lo, s0
	s_delay_alu instid0(SALU_CYCLE_1) | instskip(NEXT) | instid1(SALU_CYCLE_1)
	s_and_saveexec_b32 s1, s0
	s_xor_b32 s0, exec_lo, s1
; %bb.570:
	v_cmp_ne_u32_e32 vcc_lo, 0, v96
	v_cndmask_b32_e32 v96, 28, v96, vcc_lo
; %bb.571:
	s_and_not1_saveexec_b32 s0, s0
	s_cbranch_execz .LBB82_577
; %bb.572:
	v_cmp_ngt_f32_e64 s1, |v90|, |v91|
	s_and_saveexec_b32 s12, s1
	s_delay_alu instid0(SALU_CYCLE_1)
	s_xor_b32 s1, exec_lo, s12
	s_cbranch_execz .LBB82_574
; %bb.573:
	v_div_scale_f32 v93, null, v91, v91, v90
	v_div_scale_f32 v101, vcc_lo, v90, v91, v90
	s_delay_alu instid0(VALU_DEP_2) | instskip(SKIP_1) | instid1(TRANS32_DEP_1)
	v_rcp_f32_e32 v99, v93
	v_nop
	v_fma_f32 v100, -v93, v99, 1.0
	s_delay_alu instid0(VALU_DEP_1) | instskip(NEXT) | instid1(VALU_DEP_1)
	v_fmac_f32_e32 v99, v100, v99
	v_mul_f32_e32 v100, v101, v99
	s_delay_alu instid0(VALU_DEP_1) | instskip(NEXT) | instid1(VALU_DEP_1)
	v_fma_f32 v102, -v93, v100, v101
	v_fmac_f32_e32 v100, v102, v99
	s_delay_alu instid0(VALU_DEP_1) | instskip(NEXT) | instid1(VALU_DEP_1)
	v_fma_f32 v93, -v93, v100, v101
	v_div_fmas_f32 v93, v93, v99, v100
	s_delay_alu instid0(VALU_DEP_1) | instskip(NEXT) | instid1(VALU_DEP_1)
	v_div_fixup_f32 v93, v93, v91, v90
	v_fmac_f32_e32 v91, v90, v93
	s_delay_alu instid0(VALU_DEP_1) | instskip(SKIP_1) | instid1(VALU_DEP_2)
	v_div_scale_f32 v90, null, v91, v91, 1.0
	v_div_scale_f32 v101, vcc_lo, 1.0, v91, 1.0
	v_rcp_f32_e32 v99, v90
	v_nop
	s_delay_alu instid0(TRANS32_DEP_1) | instskip(NEXT) | instid1(VALU_DEP_1)
	v_fma_f32 v100, -v90, v99, 1.0
	v_fmac_f32_e32 v99, v100, v99
	s_delay_alu instid0(VALU_DEP_1) | instskip(NEXT) | instid1(VALU_DEP_1)
	v_mul_f32_e32 v100, v101, v99
	v_fma_f32 v102, -v90, v100, v101
	s_delay_alu instid0(VALU_DEP_1) | instskip(NEXT) | instid1(VALU_DEP_1)
	v_fmac_f32_e32 v100, v102, v99
	v_fma_f32 v90, -v90, v100, v101
	s_delay_alu instid0(VALU_DEP_1) | instskip(NEXT) | instid1(VALU_DEP_1)
	v_div_fmas_f32 v90, v90, v99, v100
	v_div_fixup_f32 v91, v90, v91, 1.0
	s_delay_alu instid0(VALU_DEP_1)
	v_mul_f32_e32 v90, v93, v91
	v_xor_b32_e32 v91, 0x80000000, v91
.LBB82_574:
	s_and_not1_saveexec_b32 s1, s1
	s_cbranch_execz .LBB82_576
; %bb.575:
	s_delay_alu instid0(VALU_DEP_1) | instskip(SKIP_1) | instid1(VALU_DEP_2)
	v_div_scale_f32 v93, null, v90, v90, v91
	v_div_scale_f32 v101, vcc_lo, v91, v90, v91
	v_rcp_f32_e32 v99, v93
	v_nop
	s_delay_alu instid0(TRANS32_DEP_1) | instskip(NEXT) | instid1(VALU_DEP_1)
	v_fma_f32 v100, -v93, v99, 1.0
	v_fmac_f32_e32 v99, v100, v99
	s_delay_alu instid0(VALU_DEP_1) | instskip(NEXT) | instid1(VALU_DEP_1)
	v_mul_f32_e32 v100, v101, v99
	v_fma_f32 v102, -v93, v100, v101
	s_delay_alu instid0(VALU_DEP_1) | instskip(NEXT) | instid1(VALU_DEP_1)
	v_fmac_f32_e32 v100, v102, v99
	v_fma_f32 v93, -v93, v100, v101
	s_delay_alu instid0(VALU_DEP_1) | instskip(NEXT) | instid1(VALU_DEP_1)
	v_div_fmas_f32 v93, v93, v99, v100
	v_div_fixup_f32 v93, v93, v90, v91
	s_delay_alu instid0(VALU_DEP_1) | instskip(NEXT) | instid1(VALU_DEP_1)
	v_fmac_f32_e32 v90, v91, v93
	v_div_scale_f32 v91, null, v90, v90, 1.0
	s_delay_alu instid0(VALU_DEP_1) | instskip(SKIP_1) | instid1(TRANS32_DEP_1)
	v_rcp_f32_e32 v99, v91
	v_nop
	v_fma_f32 v100, -v91, v99, 1.0
	s_delay_alu instid0(VALU_DEP_1) | instskip(SKIP_1) | instid1(VALU_DEP_1)
	v_fmac_f32_e32 v99, v100, v99
	v_div_scale_f32 v100, vcc_lo, 1.0, v90, 1.0
	v_mul_f32_e32 v101, v100, v99
	s_delay_alu instid0(VALU_DEP_1) | instskip(NEXT) | instid1(VALU_DEP_1)
	v_fma_f32 v102, -v91, v101, v100
	v_fmac_f32_e32 v101, v102, v99
	s_delay_alu instid0(VALU_DEP_1) | instskip(NEXT) | instid1(VALU_DEP_1)
	v_fma_f32 v91, -v91, v101, v100
	v_div_fmas_f32 v91, v91, v99, v101
	s_delay_alu instid0(VALU_DEP_1) | instskip(NEXT) | instid1(VALU_DEP_1)
	v_div_fixup_f32 v90, v91, v90, 1.0
	v_mul_f32_e64 v91, v93, -v90
.LBB82_576:
	s_or_b32 exec_lo, exec_lo, s1
.LBB82_577:
	s_delay_alu instid0(SALU_CYCLE_1) | instskip(NEXT) | instid1(SALU_CYCLE_1)
	s_or_b32 exec_lo, exec_lo, s0
	s_mov_b32 s0, exec_lo
	v_cmpx_ne_u32_e64 v98, v92
	s_xor_b32 s0, exec_lo, s0
	s_cbranch_execz .LBB82_583
; %bb.578:
	s_mov_b32 s1, exec_lo
	v_cmpx_eq_u32_e32 27, v98
	s_cbranch_execz .LBB82_582
; %bb.579:
	v_cmp_ne_u32_e32 vcc_lo, 27, v92
	s_xor_b32 s12, s16, -1
	s_delay_alu instid0(SALU_CYCLE_1) | instskip(NEXT) | instid1(SALU_CYCLE_1)
	s_and_b32 s13, s12, vcc_lo
	s_and_saveexec_b32 s12, s13
	s_cbranch_execz .LBB82_581
; %bb.580:
	v_ashrrev_i32_e32 v93, 31, v92
	s_delay_alu instid0(VALU_DEP_1)
	v_lshl_add_u64 v[98:99], v[92:93], 2, v[4:5]
	s_clause 0x1
	global_load_b32 v93, v[98:99], off
	global_load_b32 v97, v[4:5], off offset:108
	s_wait_loadcnt 0x1
	global_store_b32 v[4:5], v93, off offset:108
	s_wait_loadcnt 0x0
	global_store_b32 v[98:99], v97, off
.LBB82_581:
	s_wait_xcnt 0x0
	s_or_b32 exec_lo, exec_lo, s12
	v_dual_mov_b32 v98, v92 :: v_dual_mov_b32 v97, v92
.LBB82_582:
	s_or_b32 exec_lo, exec_lo, s1
.LBB82_583:
	s_and_not1_saveexec_b32 s0, s0
	s_cbranch_execz .LBB82_585
; %bb.584:
	v_dual_mov_b32 v92, v70 :: v_dual_mov_b32 v93, v71
	v_dual_mov_b32 v98, v30 :: v_dual_mov_b32 v99, v31
	ds_store_2addr_b64 v94, v[92:93], v[98:99] offset0:28 offset1:29
	v_dual_mov_b32 v92, v32 :: v_dual_mov_b32 v93, v33
	v_dual_mov_b32 v98, v28 :: v_dual_mov_b32 v99, v29
	ds_store_2addr_b64 v94, v[92:93], v[98:99] offset0:30 offset1:31
	;; [unrolled: 3-line block ×6, first 2 shown]
	v_dual_mov_b32 v92, v24 :: v_dual_mov_b32 v93, v25
	v_mov_b32_e32 v98, 27
	ds_store_2addr_b64 v94, v[92:93], v[88:89] offset0:40 offset1:41
.LBB82_585:
	s_or_b32 exec_lo, exec_lo, s0
	s_delay_alu instid0(SALU_CYCLE_1)
	s_mov_b32 s0, exec_lo
	s_wait_storecnt_dscnt 0x0
	s_barrier_signal -1
	s_barrier_wait -1
	v_cmpx_lt_i32_e32 27, v98
	s_cbranch_execz .LBB82_587
; %bb.586:
	v_pk_mul_f32 v[92:93], v[90:91], v[34:35] op_sel:[1,1] op_sel_hi:[0,1]
	s_delay_alu instid0(VALU_DEP_1)
	v_pk_fma_f32 v[100:101], v[90:91], v[34:35], v[92:93] op_sel_hi:[1,0,1] neg_lo:[0,0,1] neg_hi:[0,0,1]
	v_pk_fma_f32 v[102:103], v[90:91], v[34:35], v[92:93] op_sel_hi:[1,0,1]
	ds_load_2addr_b64 v[90:93], v94 offset0:28 offset1:29
	v_dual_mov_b32 v34, v100 :: v_dual_mov_b32 v35, v103
	s_wait_dscnt 0x0
	v_pk_mul_f32 v[104:105], v[90:91], v[102:103] op_sel:[0,1]
	s_delay_alu instid0(VALU_DEP_1) | instskip(SKIP_1) | instid1(VALU_DEP_1)
	v_pk_fma_f32 v[106:107], v[90:91], v[100:101], v[104:105] op_sel:[0,0,1] op_sel_hi:[1,1,0] neg_lo:[0,0,1] neg_hi:[0,0,1]
	v_pk_fma_f32 v[90:91], v[90:91], v[100:101], v[104:105] op_sel:[0,0,1] op_sel_hi:[1,0,0]
	v_mov_b32_e32 v107, v91
	v_pk_mul_f32 v[90:91], v[92:93], v[102:103] op_sel:[0,1]
	s_delay_alu instid0(VALU_DEP_1) | instskip(SKIP_1) | instid1(VALU_DEP_1)
	v_pk_fma_f32 v[104:105], v[92:93], v[100:101], v[90:91] op_sel:[0,0,1] op_sel_hi:[1,1,0] neg_lo:[0,0,1] neg_hi:[0,0,1]
	v_pk_fma_f32 v[90:91], v[92:93], v[100:101], v[90:91] op_sel:[0,0,1] op_sel_hi:[1,0,0]
	v_mov_b32_e32 v105, v91
	ds_load_2addr_b64 v[90:93], v94 offset0:30 offset1:31
	v_pk_add_f32 v[70:71], v[70:71], v[106:107] neg_lo:[0,1] neg_hi:[0,1]
	v_pk_add_f32 v[30:31], v[30:31], v[104:105] neg_lo:[0,1] neg_hi:[0,1]
	s_wait_dscnt 0x0
	v_pk_mul_f32 v[104:105], v[90:91], v[102:103] op_sel:[0,1]
	s_delay_alu instid0(VALU_DEP_1) | instskip(SKIP_2) | instid1(VALU_DEP_2)
	v_pk_fma_f32 v[106:107], v[90:91], v[100:101], v[104:105] op_sel:[0,0,1] op_sel_hi:[1,1,0] neg_lo:[0,0,1] neg_hi:[0,0,1]
	v_pk_fma_f32 v[90:91], v[90:91], v[100:101], v[104:105] op_sel:[0,0,1] op_sel_hi:[1,0,0]
	v_dual_mul_f32 v104, v93, v103 :: v_dual_mov_b32 v90, v93
	v_dual_mov_b32 v107, v91 :: v_dual_mov_b32 v91, v92
	s_delay_alu instid0(VALU_DEP_2) | instskip(SKIP_1) | instid1(VALU_DEP_3)
	v_pk_fma_f32 v[104:105], v[92:93], v[34:35], v[104:105] op_sel_hi:[1,1,0] neg_lo:[0,0,1] neg_hi:[0,0,1]
	v_mul_f32_e32 v92, v93, v100
	v_pk_add_f32 v[32:33], v[32:33], v[106:107] neg_lo:[0,1] neg_hi:[0,1]
	s_delay_alu instid0(VALU_DEP_2) | instskip(NEXT) | instid1(VALU_DEP_1)
	v_pk_fma_f32 v[90:91], v[90:91], v[34:35], v[92:93] op_sel_hi:[1,1,0]
	v_mov_b32_e32 v105, v91
	ds_load_2addr_b64 v[90:93], v94 offset0:32 offset1:33
	v_pk_add_f32 v[28:29], v[28:29], v[104:105] neg_lo:[0,1] neg_hi:[0,1]
	s_wait_dscnt 0x0
	v_pk_mul_f32 v[104:105], v[90:91], v[102:103] op_sel:[0,1]
	s_delay_alu instid0(VALU_DEP_1) | instskip(SKIP_1) | instid1(VALU_DEP_1)
	v_pk_fma_f32 v[106:107], v[90:91], v[100:101], v[104:105] op_sel:[0,0,1] op_sel_hi:[1,1,0] neg_lo:[0,0,1] neg_hi:[0,0,1]
	v_pk_fma_f32 v[90:91], v[90:91], v[100:101], v[104:105] op_sel:[0,0,1] op_sel_hi:[1,0,0]
	v_mov_b32_e32 v107, v91
	v_pk_mul_f32 v[90:91], v[92:93], v[102:103] op_sel:[0,1]
	s_delay_alu instid0(VALU_DEP_1) | instskip(SKIP_1) | instid1(VALU_DEP_1)
	v_pk_fma_f32 v[104:105], v[92:93], v[100:101], v[90:91] op_sel:[0,0,1] op_sel_hi:[1,1,0] neg_lo:[0,0,1] neg_hi:[0,0,1]
	v_pk_fma_f32 v[90:91], v[92:93], v[100:101], v[90:91] op_sel:[0,0,1] op_sel_hi:[1,0,0]
	v_mov_b32_e32 v105, v91
	ds_load_2addr_b64 v[90:93], v94 offset0:34 offset1:35
	v_pk_add_f32 v[64:65], v[64:65], v[106:107] neg_lo:[0,1] neg_hi:[0,1]
	v_pk_add_f32 v[10:11], v[10:11], v[104:105] neg_lo:[0,1] neg_hi:[0,1]
	s_wait_dscnt 0x0
	v_pk_mul_f32 v[104:105], v[90:91], v[102:103] op_sel:[0,1]
	s_delay_alu instid0(VALU_DEP_1) | instskip(SKIP_1) | instid1(VALU_DEP_1)
	v_pk_fma_f32 v[106:107], v[90:91], v[100:101], v[104:105] op_sel:[0,0,1] op_sel_hi:[1,1,0] neg_lo:[0,0,1] neg_hi:[0,0,1]
	v_pk_fma_f32 v[90:91], v[90:91], v[100:101], v[104:105] op_sel:[0,0,1] op_sel_hi:[1,0,0]
	v_mov_b32_e32 v107, v91
	v_pk_mul_f32 v[90:91], v[92:93], v[102:103] op_sel:[0,1]
	s_delay_alu instid0(VALU_DEP_1) | instskip(SKIP_1) | instid1(VALU_DEP_1)
	v_pk_fma_f32 v[104:105], v[92:93], v[100:101], v[90:91] op_sel:[0,0,1] op_sel_hi:[1,1,0] neg_lo:[0,0,1] neg_hi:[0,0,1]
	v_pk_fma_f32 v[90:91], v[92:93], v[100:101], v[90:91] op_sel:[0,0,1] op_sel_hi:[1,0,0]
	v_mov_b32_e32 v105, v91
	ds_load_2addr_b64 v[90:93], v94 offset0:36 offset1:37
	v_pk_add_f32 v[12:13], v[12:13], v[106:107] neg_lo:[0,1] neg_hi:[0,1]
	v_pk_add_f32 v[8:9], v[8:9], v[104:105] neg_lo:[0,1] neg_hi:[0,1]
	s_wait_dscnt 0x0
	v_dual_mul_f32 v104, v91, v103 :: v_dual_mul_f32 v106, v91, v100
	s_delay_alu instid0(VALU_DEP_1) | instskip(NEXT) | instid1(VALU_DEP_2)
	v_pk_fma_f32 v[104:105], v[90:91], v[34:35], v[104:105] op_sel_hi:[1,1,0] neg_lo:[0,0,1] neg_hi:[0,0,1]
	v_pk_fma_f32 v[90:91], v[90:91], v[34:35], v[106:107] op_sel:[1,0,0] op_sel_hi:[0,1,0]
	s_delay_alu instid0(VALU_DEP_1) | instskip(SKIP_1) | instid1(VALU_DEP_2)
	v_mov_b32_e32 v105, v91
	v_pk_mul_f32 v[90:91], v[92:93], v[102:103] op_sel:[0,1]
	v_pk_add_f32 v[62:63], v[62:63], v[104:105] neg_lo:[0,1] neg_hi:[0,1]
	s_delay_alu instid0(VALU_DEP_2) | instskip(SKIP_1) | instid1(VALU_DEP_1)
	v_pk_fma_f32 v[104:105], v[92:93], v[100:101], v[90:91] op_sel:[0,0,1] op_sel_hi:[1,1,0] neg_lo:[0,0,1] neg_hi:[0,0,1]
	v_pk_fma_f32 v[90:91], v[92:93], v[100:101], v[90:91] op_sel:[0,0,1] op_sel_hi:[1,0,0]
	v_mov_b32_e32 v105, v91
	ds_load_2addr_b64 v[90:93], v94 offset0:38 offset1:39
	v_pk_add_f32 v[6:7], v[6:7], v[104:105] neg_lo:[0,1] neg_hi:[0,1]
	s_wait_dscnt 0x0
	v_pk_mul_f32 v[104:105], v[90:91], v[102:103] op_sel:[0,1]
	s_delay_alu instid0(VALU_DEP_1) | instskip(SKIP_1) | instid1(VALU_DEP_1)
	v_pk_fma_f32 v[106:107], v[90:91], v[100:101], v[104:105] op_sel:[0,0,1] op_sel_hi:[1,1,0] neg_lo:[0,0,1] neg_hi:[0,0,1]
	v_pk_fma_f32 v[90:91], v[90:91], v[100:101], v[104:105] op_sel:[0,0,1] op_sel_hi:[1,0,0]
	v_mov_b32_e32 v107, v91
	v_pk_mul_f32 v[90:91], v[92:93], v[102:103] op_sel:[0,1]
	s_delay_alu instid0(VALU_DEP_2) | instskip(NEXT) | instid1(VALU_DEP_2)
	v_pk_add_f32 v[54:55], v[54:55], v[106:107] neg_lo:[0,1] neg_hi:[0,1]
	v_pk_fma_f32 v[104:105], v[92:93], v[100:101], v[90:91] op_sel:[0,0,1] op_sel_hi:[1,1,0] neg_lo:[0,0,1] neg_hi:[0,0,1]
	v_pk_fma_f32 v[90:91], v[92:93], v[100:101], v[90:91] op_sel:[0,0,1] op_sel_hi:[1,0,0]
	s_delay_alu instid0(VALU_DEP_1) | instskip(SKIP_4) | instid1(VALU_DEP_1)
	v_mov_b32_e32 v105, v91
	ds_load_2addr_b64 v[90:93], v94 offset0:40 offset1:41
	v_pk_add_f32 v[40:41], v[40:41], v[104:105] neg_lo:[0,1] neg_hi:[0,1]
	s_wait_dscnt 0x0
	v_pk_mul_f32 v[104:105], v[90:91], v[102:103] op_sel:[0,1]
	v_pk_fma_f32 v[106:107], v[90:91], v[100:101], v[104:105] op_sel:[0,0,1] op_sel_hi:[1,1,0] neg_lo:[0,0,1] neg_hi:[0,0,1]
	v_pk_fma_f32 v[90:91], v[90:91], v[100:101], v[104:105] op_sel:[0,0,1] op_sel_hi:[1,0,0]
	s_delay_alu instid0(VALU_DEP_1) | instskip(SKIP_1) | instid1(VALU_DEP_2)
	v_mov_b32_e32 v107, v91
	v_pk_mul_f32 v[90:91], v[92:93], v[102:103] op_sel:[0,1]
	v_pk_add_f32 v[24:25], v[24:25], v[106:107] neg_lo:[0,1] neg_hi:[0,1]
	s_delay_alu instid0(VALU_DEP_2) | instskip(SKIP_1) | instid1(VALU_DEP_1)
	v_pk_fma_f32 v[102:103], v[92:93], v[100:101], v[90:91] op_sel:[0,0,1] op_sel_hi:[1,1,0] neg_lo:[0,0,1] neg_hi:[0,0,1]
	v_pk_fma_f32 v[90:91], v[92:93], v[100:101], v[90:91] op_sel:[0,0,1] op_sel_hi:[1,0,0]
	v_mov_b32_e32 v103, v91
	s_delay_alu instid0(VALU_DEP_1)
	v_pk_add_f32 v[88:89], v[88:89], v[102:103] neg_lo:[0,1] neg_hi:[0,1]
.LBB82_587:
	s_or_b32 exec_lo, exec_lo, s0
	v_lshl_add_u32 v90, v98, 3, v94
	s_barrier_signal -1
	s_barrier_wait -1
	ds_store_b64 v90, v[70:71]
	s_wait_dscnt 0x0
	s_barrier_signal -1
	s_barrier_wait -1
	ds_load_b64 v[90:91], v94 offset:224
	v_mov_b32_e32 v92, 28
	s_cmp_lt_i32 s18, 30
	s_cbranch_scc1 .LBB82_590
; %bb.588:
	v_add3_u32 v93, v95, 0, 0xe8
	v_mov_b32_e32 v92, 28
	s_mov_b32 s0, 29
.LBB82_589:                             ; =>This Inner Loop Header: Depth=1
	ds_load_b64 v[100:101], v93
	s_wait_dscnt 0x1
	v_cmp_gt_f32_e32 vcc_lo, 0, v90
	v_cndmask_b32_e64 v102, v90, -v90, vcc_lo
	v_cmp_gt_f32_e32 vcc_lo, 0, v91
	v_cndmask_b32_e64 v104, v91, -v91, vcc_lo
	s_wait_dscnt 0x0
	v_cmp_gt_f32_e32 vcc_lo, 0, v100
	v_cndmask_b32_e64 v103, v100, -v100, vcc_lo
	v_cmp_gt_f32_e32 vcc_lo, 0, v101
	v_cndmask_b32_e64 v105, v101, -v101, vcc_lo
	s_delay_alu instid0(VALU_DEP_1) | instskip(NEXT) | instid1(VALU_DEP_1)
	v_pk_add_f32 v[102:103], v[102:103], v[104:105]
	v_cmp_lt_f32_e32 vcc_lo, v102, v103
	v_dual_cndmask_b32 v90, v90, v100 :: v_dual_add_nc_u32 v93, 8, v93
	v_cndmask_b32_e32 v91, v91, v101, vcc_lo
	v_cndmask_b32_e64 v92, v92, s0, vcc_lo
	s_add_co_i32 s0, s0, 1
	s_delay_alu instid0(SALU_CYCLE_1)
	s_cmp_lg_u32 s18, s0
	s_cbranch_scc1 .LBB82_589
.LBB82_590:
	s_wait_dscnt 0x0
	v_cmp_eq_f32_e32 vcc_lo, 0, v90
	v_cmp_eq_f32_e64 s0, 0, v91
	s_and_b32 s0, vcc_lo, s0
	s_delay_alu instid0(SALU_CYCLE_1) | instskip(NEXT) | instid1(SALU_CYCLE_1)
	s_and_saveexec_b32 s1, s0
	s_xor_b32 s0, exec_lo, s1
; %bb.591:
	v_cmp_ne_u32_e32 vcc_lo, 0, v96
	v_cndmask_b32_e32 v96, 29, v96, vcc_lo
; %bb.592:
	s_and_not1_saveexec_b32 s0, s0
	s_cbranch_execz .LBB82_598
; %bb.593:
	v_cmp_ngt_f32_e64 s1, |v90|, |v91|
	s_and_saveexec_b32 s12, s1
	s_delay_alu instid0(SALU_CYCLE_1)
	s_xor_b32 s1, exec_lo, s12
	s_cbranch_execz .LBB82_595
; %bb.594:
	v_div_scale_f32 v93, null, v91, v91, v90
	v_div_scale_f32 v101, vcc_lo, v90, v91, v90
	s_delay_alu instid0(VALU_DEP_2) | instskip(SKIP_1) | instid1(TRANS32_DEP_1)
	v_rcp_f32_e32 v99, v93
	v_nop
	v_fma_f32 v100, -v93, v99, 1.0
	s_delay_alu instid0(VALU_DEP_1) | instskip(NEXT) | instid1(VALU_DEP_1)
	v_fmac_f32_e32 v99, v100, v99
	v_mul_f32_e32 v100, v101, v99
	s_delay_alu instid0(VALU_DEP_1) | instskip(NEXT) | instid1(VALU_DEP_1)
	v_fma_f32 v102, -v93, v100, v101
	v_fmac_f32_e32 v100, v102, v99
	s_delay_alu instid0(VALU_DEP_1) | instskip(NEXT) | instid1(VALU_DEP_1)
	v_fma_f32 v93, -v93, v100, v101
	v_div_fmas_f32 v93, v93, v99, v100
	s_delay_alu instid0(VALU_DEP_1) | instskip(NEXT) | instid1(VALU_DEP_1)
	v_div_fixup_f32 v93, v93, v91, v90
	v_fmac_f32_e32 v91, v90, v93
	s_delay_alu instid0(VALU_DEP_1) | instskip(SKIP_1) | instid1(VALU_DEP_2)
	v_div_scale_f32 v90, null, v91, v91, 1.0
	v_div_scale_f32 v101, vcc_lo, 1.0, v91, 1.0
	v_rcp_f32_e32 v99, v90
	v_nop
	s_delay_alu instid0(TRANS32_DEP_1) | instskip(NEXT) | instid1(VALU_DEP_1)
	v_fma_f32 v100, -v90, v99, 1.0
	v_fmac_f32_e32 v99, v100, v99
	s_delay_alu instid0(VALU_DEP_1) | instskip(NEXT) | instid1(VALU_DEP_1)
	v_mul_f32_e32 v100, v101, v99
	v_fma_f32 v102, -v90, v100, v101
	s_delay_alu instid0(VALU_DEP_1) | instskip(NEXT) | instid1(VALU_DEP_1)
	v_fmac_f32_e32 v100, v102, v99
	v_fma_f32 v90, -v90, v100, v101
	s_delay_alu instid0(VALU_DEP_1) | instskip(NEXT) | instid1(VALU_DEP_1)
	v_div_fmas_f32 v90, v90, v99, v100
	v_div_fixup_f32 v91, v90, v91, 1.0
	s_delay_alu instid0(VALU_DEP_1)
	v_mul_f32_e32 v90, v93, v91
	v_xor_b32_e32 v91, 0x80000000, v91
.LBB82_595:
	s_and_not1_saveexec_b32 s1, s1
	s_cbranch_execz .LBB82_597
; %bb.596:
	s_delay_alu instid0(VALU_DEP_1) | instskip(SKIP_1) | instid1(VALU_DEP_2)
	v_div_scale_f32 v93, null, v90, v90, v91
	v_div_scale_f32 v101, vcc_lo, v91, v90, v91
	v_rcp_f32_e32 v99, v93
	v_nop
	s_delay_alu instid0(TRANS32_DEP_1) | instskip(NEXT) | instid1(VALU_DEP_1)
	v_fma_f32 v100, -v93, v99, 1.0
	v_fmac_f32_e32 v99, v100, v99
	s_delay_alu instid0(VALU_DEP_1) | instskip(NEXT) | instid1(VALU_DEP_1)
	v_mul_f32_e32 v100, v101, v99
	v_fma_f32 v102, -v93, v100, v101
	s_delay_alu instid0(VALU_DEP_1) | instskip(NEXT) | instid1(VALU_DEP_1)
	v_fmac_f32_e32 v100, v102, v99
	v_fma_f32 v93, -v93, v100, v101
	s_delay_alu instid0(VALU_DEP_1) | instskip(NEXT) | instid1(VALU_DEP_1)
	v_div_fmas_f32 v93, v93, v99, v100
	v_div_fixup_f32 v93, v93, v90, v91
	s_delay_alu instid0(VALU_DEP_1) | instskip(NEXT) | instid1(VALU_DEP_1)
	v_fmac_f32_e32 v90, v91, v93
	v_div_scale_f32 v91, null, v90, v90, 1.0
	s_delay_alu instid0(VALU_DEP_1) | instskip(SKIP_1) | instid1(TRANS32_DEP_1)
	v_rcp_f32_e32 v99, v91
	v_nop
	v_fma_f32 v100, -v91, v99, 1.0
	s_delay_alu instid0(VALU_DEP_1) | instskip(SKIP_1) | instid1(VALU_DEP_1)
	v_fmac_f32_e32 v99, v100, v99
	v_div_scale_f32 v100, vcc_lo, 1.0, v90, 1.0
	v_mul_f32_e32 v101, v100, v99
	s_delay_alu instid0(VALU_DEP_1) | instskip(NEXT) | instid1(VALU_DEP_1)
	v_fma_f32 v102, -v91, v101, v100
	v_fmac_f32_e32 v101, v102, v99
	s_delay_alu instid0(VALU_DEP_1) | instskip(NEXT) | instid1(VALU_DEP_1)
	v_fma_f32 v91, -v91, v101, v100
	v_div_fmas_f32 v91, v91, v99, v101
	s_delay_alu instid0(VALU_DEP_1) | instskip(NEXT) | instid1(VALU_DEP_1)
	v_div_fixup_f32 v90, v91, v90, 1.0
	v_mul_f32_e64 v91, v93, -v90
.LBB82_597:
	s_or_b32 exec_lo, exec_lo, s1
.LBB82_598:
	s_delay_alu instid0(SALU_CYCLE_1) | instskip(NEXT) | instid1(SALU_CYCLE_1)
	s_or_b32 exec_lo, exec_lo, s0
	s_mov_b32 s0, exec_lo
	v_cmpx_ne_u32_e64 v98, v92
	s_xor_b32 s0, exec_lo, s0
	s_cbranch_execz .LBB82_604
; %bb.599:
	s_mov_b32 s1, exec_lo
	v_cmpx_eq_u32_e32 28, v98
	s_cbranch_execz .LBB82_603
; %bb.600:
	v_cmp_ne_u32_e32 vcc_lo, 28, v92
	s_xor_b32 s12, s16, -1
	s_delay_alu instid0(SALU_CYCLE_1) | instskip(NEXT) | instid1(SALU_CYCLE_1)
	s_and_b32 s13, s12, vcc_lo
	s_and_saveexec_b32 s12, s13
	s_cbranch_execz .LBB82_602
; %bb.601:
	v_ashrrev_i32_e32 v93, 31, v92
	s_delay_alu instid0(VALU_DEP_1)
	v_lshl_add_u64 v[98:99], v[92:93], 2, v[4:5]
	s_clause 0x1
	global_load_b32 v93, v[98:99], off
	global_load_b32 v97, v[4:5], off offset:112
	s_wait_loadcnt 0x1
	global_store_b32 v[4:5], v93, off offset:112
	s_wait_loadcnt 0x0
	global_store_b32 v[98:99], v97, off
.LBB82_602:
	s_wait_xcnt 0x0
	s_or_b32 exec_lo, exec_lo, s12
	v_dual_mov_b32 v98, v92 :: v_dual_mov_b32 v97, v92
.LBB82_603:
	s_or_b32 exec_lo, exec_lo, s1
.LBB82_604:
	s_and_not1_saveexec_b32 s0, s0
	s_cbranch_execz .LBB82_606
; %bb.605:
	v_mov_b32_e32 v98, 28
	ds_store_2addr_b64 v94, v[30:31], v[32:33] offset0:29 offset1:30
	ds_store_2addr_b64 v94, v[28:29], v[64:65] offset0:31 offset1:32
	;; [unrolled: 1-line block ×6, first 2 shown]
	ds_store_b64 v94, v[88:89] offset:328
.LBB82_606:
	s_or_b32 exec_lo, exec_lo, s0
	s_delay_alu instid0(SALU_CYCLE_1)
	s_mov_b32 s0, exec_lo
	s_wait_storecnt_dscnt 0x0
	s_barrier_signal -1
	s_barrier_wait -1
	v_cmpx_lt_i32_e32 28, v98
	s_cbranch_execz .LBB82_608
; %bb.607:
	v_pk_mul_f32 v[92:93], v[90:91], v[70:71] op_sel:[1,1] op_sel_hi:[0,1]
	s_delay_alu instid0(VALU_DEP_1)
	v_pk_fma_f32 v[100:101], v[90:91], v[70:71], v[92:93] op_sel_hi:[1,0,1] neg_lo:[0,0,1] neg_hi:[0,0,1]
	v_pk_fma_f32 v[102:103], v[90:91], v[70:71], v[92:93] op_sel_hi:[1,0,1]
	ds_load_2addr_b64 v[90:93], v94 offset0:29 offset1:30
	v_dual_mov_b32 v70, v100 :: v_dual_mov_b32 v71, v103
	s_wait_dscnt 0x0
	v_pk_mul_f32 v[104:105], v[90:91], v[102:103] op_sel:[0,1]
	s_delay_alu instid0(VALU_DEP_1) | instskip(SKIP_1) | instid1(VALU_DEP_1)
	v_pk_fma_f32 v[106:107], v[90:91], v[100:101], v[104:105] op_sel:[0,0,1] op_sel_hi:[1,1,0] neg_lo:[0,0,1] neg_hi:[0,0,1]
	v_pk_fma_f32 v[90:91], v[90:91], v[100:101], v[104:105] op_sel:[0,0,1] op_sel_hi:[1,0,0]
	v_mov_b32_e32 v107, v91
	v_pk_mul_f32 v[90:91], v[92:93], v[102:103] op_sel:[0,1]
	s_delay_alu instid0(VALU_DEP_1) | instskip(SKIP_1) | instid1(VALU_DEP_1)
	v_pk_fma_f32 v[104:105], v[92:93], v[100:101], v[90:91] op_sel:[0,0,1] op_sel_hi:[1,1,0] neg_lo:[0,0,1] neg_hi:[0,0,1]
	v_pk_fma_f32 v[90:91], v[92:93], v[100:101], v[90:91] op_sel:[0,0,1] op_sel_hi:[1,0,0]
	v_mov_b32_e32 v105, v91
	ds_load_2addr_b64 v[90:93], v94 offset0:31 offset1:32
	v_pk_add_f32 v[30:31], v[30:31], v[106:107] neg_lo:[0,1] neg_hi:[0,1]
	v_pk_add_f32 v[32:33], v[32:33], v[104:105] neg_lo:[0,1] neg_hi:[0,1]
	s_wait_dscnt 0x0
	v_pk_mul_f32 v[104:105], v[90:91], v[102:103] op_sel:[0,1]
	s_delay_alu instid0(VALU_DEP_1) | instskip(SKIP_2) | instid1(VALU_DEP_2)
	v_pk_fma_f32 v[106:107], v[90:91], v[100:101], v[104:105] op_sel:[0,0,1] op_sel_hi:[1,1,0] neg_lo:[0,0,1] neg_hi:[0,0,1]
	v_pk_fma_f32 v[90:91], v[90:91], v[100:101], v[104:105] op_sel:[0,0,1] op_sel_hi:[1,0,0]
	v_dual_mul_f32 v104, v93, v103 :: v_dual_mov_b32 v90, v93
	v_dual_mov_b32 v107, v91 :: v_dual_mov_b32 v91, v92
	s_delay_alu instid0(VALU_DEP_2) | instskip(SKIP_1) | instid1(VALU_DEP_3)
	v_pk_fma_f32 v[104:105], v[92:93], v[70:71], v[104:105] op_sel_hi:[1,1,0] neg_lo:[0,0,1] neg_hi:[0,0,1]
	v_mul_f32_e32 v92, v93, v100
	v_pk_add_f32 v[28:29], v[28:29], v[106:107] neg_lo:[0,1] neg_hi:[0,1]
	s_delay_alu instid0(VALU_DEP_2) | instskip(NEXT) | instid1(VALU_DEP_1)
	v_pk_fma_f32 v[90:91], v[90:91], v[70:71], v[92:93] op_sel_hi:[1,1,0]
	v_mov_b32_e32 v105, v91
	ds_load_2addr_b64 v[90:93], v94 offset0:33 offset1:34
	v_pk_add_f32 v[64:65], v[64:65], v[104:105] neg_lo:[0,1] neg_hi:[0,1]
	s_wait_dscnt 0x0
	v_pk_mul_f32 v[104:105], v[90:91], v[102:103] op_sel:[0,1]
	s_delay_alu instid0(VALU_DEP_1) | instskip(SKIP_1) | instid1(VALU_DEP_1)
	v_pk_fma_f32 v[106:107], v[90:91], v[100:101], v[104:105] op_sel:[0,0,1] op_sel_hi:[1,1,0] neg_lo:[0,0,1] neg_hi:[0,0,1]
	v_pk_fma_f32 v[90:91], v[90:91], v[100:101], v[104:105] op_sel:[0,0,1] op_sel_hi:[1,0,0]
	v_mov_b32_e32 v107, v91
	v_pk_mul_f32 v[90:91], v[92:93], v[102:103] op_sel:[0,1]
	s_delay_alu instid0(VALU_DEP_1) | instskip(SKIP_1) | instid1(VALU_DEP_1)
	v_pk_fma_f32 v[104:105], v[92:93], v[100:101], v[90:91] op_sel:[0,0,1] op_sel_hi:[1,1,0] neg_lo:[0,0,1] neg_hi:[0,0,1]
	v_pk_fma_f32 v[90:91], v[92:93], v[100:101], v[90:91] op_sel:[0,0,1] op_sel_hi:[1,0,0]
	v_mov_b32_e32 v105, v91
	ds_load_2addr_b64 v[90:93], v94 offset0:35 offset1:36
	v_pk_add_f32 v[10:11], v[10:11], v[106:107] neg_lo:[0,1] neg_hi:[0,1]
	v_pk_add_f32 v[12:13], v[12:13], v[104:105] neg_lo:[0,1] neg_hi:[0,1]
	s_wait_dscnt 0x0
	v_pk_mul_f32 v[104:105], v[90:91], v[102:103] op_sel:[0,1]
	s_delay_alu instid0(VALU_DEP_1) | instskip(SKIP_1) | instid1(VALU_DEP_1)
	v_pk_fma_f32 v[106:107], v[90:91], v[100:101], v[104:105] op_sel:[0,0,1] op_sel_hi:[1,1,0] neg_lo:[0,0,1] neg_hi:[0,0,1]
	v_pk_fma_f32 v[90:91], v[90:91], v[100:101], v[104:105] op_sel:[0,0,1] op_sel_hi:[1,0,0]
	v_mov_b32_e32 v107, v91
	v_pk_mul_f32 v[90:91], v[92:93], v[102:103] op_sel:[0,1]
	s_delay_alu instid0(VALU_DEP_1) | instskip(SKIP_1) | instid1(VALU_DEP_1)
	v_pk_fma_f32 v[104:105], v[92:93], v[100:101], v[90:91] op_sel:[0,0,1] op_sel_hi:[1,1,0] neg_lo:[0,0,1] neg_hi:[0,0,1]
	v_pk_fma_f32 v[90:91], v[92:93], v[100:101], v[90:91] op_sel:[0,0,1] op_sel_hi:[1,0,0]
	v_mov_b32_e32 v105, v91
	ds_load_2addr_b64 v[90:93], v94 offset0:37 offset1:38
	v_pk_add_f32 v[8:9], v[8:9], v[106:107] neg_lo:[0,1] neg_hi:[0,1]
	v_pk_add_f32 v[62:63], v[62:63], v[104:105] neg_lo:[0,1] neg_hi:[0,1]
	s_wait_dscnt 0x0
	v_dual_mul_f32 v104, v91, v103 :: v_dual_mul_f32 v106, v91, v100
	s_delay_alu instid0(VALU_DEP_1) | instskip(NEXT) | instid1(VALU_DEP_2)
	v_pk_fma_f32 v[104:105], v[90:91], v[70:71], v[104:105] op_sel_hi:[1,1,0] neg_lo:[0,0,1] neg_hi:[0,0,1]
	v_pk_fma_f32 v[90:91], v[90:91], v[70:71], v[106:107] op_sel:[1,0,0] op_sel_hi:[0,1,0]
	s_delay_alu instid0(VALU_DEP_1) | instskip(SKIP_1) | instid1(VALU_DEP_2)
	v_mov_b32_e32 v105, v91
	v_pk_mul_f32 v[90:91], v[92:93], v[102:103] op_sel:[0,1]
	v_pk_add_f32 v[6:7], v[6:7], v[104:105] neg_lo:[0,1] neg_hi:[0,1]
	s_delay_alu instid0(VALU_DEP_2) | instskip(SKIP_1) | instid1(VALU_DEP_1)
	v_pk_fma_f32 v[104:105], v[92:93], v[100:101], v[90:91] op_sel:[0,0,1] op_sel_hi:[1,1,0] neg_lo:[0,0,1] neg_hi:[0,0,1]
	v_pk_fma_f32 v[90:91], v[92:93], v[100:101], v[90:91] op_sel:[0,0,1] op_sel_hi:[1,0,0]
	v_mov_b32_e32 v105, v91
	ds_load_2addr_b64 v[90:93], v94 offset0:39 offset1:40
	v_pk_add_f32 v[54:55], v[54:55], v[104:105] neg_lo:[0,1] neg_hi:[0,1]
	s_wait_dscnt 0x0
	v_pk_mul_f32 v[104:105], v[90:91], v[102:103] op_sel:[0,1]
	s_delay_alu instid0(VALU_DEP_1) | instskip(SKIP_1) | instid1(VALU_DEP_1)
	v_pk_fma_f32 v[106:107], v[90:91], v[100:101], v[104:105] op_sel:[0,0,1] op_sel_hi:[1,1,0] neg_lo:[0,0,1] neg_hi:[0,0,1]
	v_pk_fma_f32 v[90:91], v[90:91], v[100:101], v[104:105] op_sel:[0,0,1] op_sel_hi:[1,0,0]
	v_mov_b32_e32 v107, v91
	v_pk_mul_f32 v[90:91], v[92:93], v[102:103] op_sel:[0,1]
	s_delay_alu instid0(VALU_DEP_2) | instskip(NEXT) | instid1(VALU_DEP_2)
	v_pk_add_f32 v[40:41], v[40:41], v[106:107] neg_lo:[0,1] neg_hi:[0,1]
	v_pk_fma_f32 v[104:105], v[92:93], v[100:101], v[90:91] op_sel:[0,0,1] op_sel_hi:[1,1,0] neg_lo:[0,0,1] neg_hi:[0,0,1]
	v_pk_fma_f32 v[90:91], v[92:93], v[100:101], v[90:91] op_sel:[0,0,1] op_sel_hi:[1,0,0]
	s_delay_alu instid0(VALU_DEP_1) | instskip(SKIP_4) | instid1(VALU_DEP_1)
	v_mov_b32_e32 v105, v91
	ds_load_b64 v[90:91], v94 offset:328
	v_pk_add_f32 v[24:25], v[24:25], v[104:105] neg_lo:[0,1] neg_hi:[0,1]
	s_wait_dscnt 0x0
	v_pk_mul_f32 v[92:93], v[90:91], v[102:103] op_sel:[0,1]
	v_pk_fma_f32 v[102:103], v[90:91], v[100:101], v[92:93] op_sel:[0,0,1] op_sel_hi:[1,1,0] neg_lo:[0,0,1] neg_hi:[0,0,1]
	v_pk_fma_f32 v[90:91], v[90:91], v[100:101], v[92:93] op_sel:[0,0,1] op_sel_hi:[1,0,0]
	s_delay_alu instid0(VALU_DEP_1) | instskip(NEXT) | instid1(VALU_DEP_1)
	v_mov_b32_e32 v103, v91
	v_pk_add_f32 v[88:89], v[88:89], v[102:103] neg_lo:[0,1] neg_hi:[0,1]
.LBB82_608:
	s_or_b32 exec_lo, exec_lo, s0
	v_lshl_add_u32 v90, v98, 3, v94
	s_barrier_signal -1
	s_barrier_wait -1
	ds_store_b64 v90, v[30:31]
	s_wait_dscnt 0x0
	s_barrier_signal -1
	s_barrier_wait -1
	ds_load_b64 v[90:91], v94 offset:232
	v_mov_b32_e32 v92, 29
	s_cmp_lt_i32 s18, 31
	s_cbranch_scc1 .LBB82_611
; %bb.609:
	v_add3_u32 v93, v95, 0, 0xf0
	v_mov_b32_e32 v92, 29
	s_mov_b32 s0, 30
.LBB82_610:                             ; =>This Inner Loop Header: Depth=1
	ds_load_b64 v[100:101], v93
	s_wait_dscnt 0x1
	v_cmp_gt_f32_e32 vcc_lo, 0, v90
	v_cndmask_b32_e64 v102, v90, -v90, vcc_lo
	v_cmp_gt_f32_e32 vcc_lo, 0, v91
	v_cndmask_b32_e64 v104, v91, -v91, vcc_lo
	s_wait_dscnt 0x0
	v_cmp_gt_f32_e32 vcc_lo, 0, v100
	v_cndmask_b32_e64 v103, v100, -v100, vcc_lo
	v_cmp_gt_f32_e32 vcc_lo, 0, v101
	v_cndmask_b32_e64 v105, v101, -v101, vcc_lo
	s_delay_alu instid0(VALU_DEP_1) | instskip(NEXT) | instid1(VALU_DEP_1)
	v_pk_add_f32 v[102:103], v[102:103], v[104:105]
	v_cmp_lt_f32_e32 vcc_lo, v102, v103
	v_dual_cndmask_b32 v90, v90, v100 :: v_dual_add_nc_u32 v93, 8, v93
	v_cndmask_b32_e32 v91, v91, v101, vcc_lo
	v_cndmask_b32_e64 v92, v92, s0, vcc_lo
	s_add_co_i32 s0, s0, 1
	s_delay_alu instid0(SALU_CYCLE_1)
	s_cmp_lg_u32 s18, s0
	s_cbranch_scc1 .LBB82_610
.LBB82_611:
	s_wait_dscnt 0x0
	v_cmp_eq_f32_e32 vcc_lo, 0, v90
	v_cmp_eq_f32_e64 s0, 0, v91
	s_and_b32 s0, vcc_lo, s0
	s_delay_alu instid0(SALU_CYCLE_1) | instskip(NEXT) | instid1(SALU_CYCLE_1)
	s_and_saveexec_b32 s1, s0
	s_xor_b32 s0, exec_lo, s1
; %bb.612:
	v_cmp_ne_u32_e32 vcc_lo, 0, v96
	v_cndmask_b32_e32 v96, 30, v96, vcc_lo
; %bb.613:
	s_and_not1_saveexec_b32 s0, s0
	s_cbranch_execz .LBB82_619
; %bb.614:
	v_cmp_ngt_f32_e64 s1, |v90|, |v91|
	s_and_saveexec_b32 s12, s1
	s_delay_alu instid0(SALU_CYCLE_1)
	s_xor_b32 s1, exec_lo, s12
	s_cbranch_execz .LBB82_616
; %bb.615:
	v_div_scale_f32 v93, null, v91, v91, v90
	v_div_scale_f32 v101, vcc_lo, v90, v91, v90
	s_delay_alu instid0(VALU_DEP_2) | instskip(SKIP_1) | instid1(TRANS32_DEP_1)
	v_rcp_f32_e32 v99, v93
	v_nop
	v_fma_f32 v100, -v93, v99, 1.0
	s_delay_alu instid0(VALU_DEP_1) | instskip(NEXT) | instid1(VALU_DEP_1)
	v_fmac_f32_e32 v99, v100, v99
	v_mul_f32_e32 v100, v101, v99
	s_delay_alu instid0(VALU_DEP_1) | instskip(NEXT) | instid1(VALU_DEP_1)
	v_fma_f32 v102, -v93, v100, v101
	v_fmac_f32_e32 v100, v102, v99
	s_delay_alu instid0(VALU_DEP_1) | instskip(NEXT) | instid1(VALU_DEP_1)
	v_fma_f32 v93, -v93, v100, v101
	v_div_fmas_f32 v93, v93, v99, v100
	s_delay_alu instid0(VALU_DEP_1) | instskip(NEXT) | instid1(VALU_DEP_1)
	v_div_fixup_f32 v93, v93, v91, v90
	v_fmac_f32_e32 v91, v90, v93
	s_delay_alu instid0(VALU_DEP_1) | instskip(SKIP_1) | instid1(VALU_DEP_2)
	v_div_scale_f32 v90, null, v91, v91, 1.0
	v_div_scale_f32 v101, vcc_lo, 1.0, v91, 1.0
	v_rcp_f32_e32 v99, v90
	v_nop
	s_delay_alu instid0(TRANS32_DEP_1) | instskip(NEXT) | instid1(VALU_DEP_1)
	v_fma_f32 v100, -v90, v99, 1.0
	v_fmac_f32_e32 v99, v100, v99
	s_delay_alu instid0(VALU_DEP_1) | instskip(NEXT) | instid1(VALU_DEP_1)
	v_mul_f32_e32 v100, v101, v99
	v_fma_f32 v102, -v90, v100, v101
	s_delay_alu instid0(VALU_DEP_1) | instskip(NEXT) | instid1(VALU_DEP_1)
	v_fmac_f32_e32 v100, v102, v99
	v_fma_f32 v90, -v90, v100, v101
	s_delay_alu instid0(VALU_DEP_1) | instskip(NEXT) | instid1(VALU_DEP_1)
	v_div_fmas_f32 v90, v90, v99, v100
	v_div_fixup_f32 v91, v90, v91, 1.0
	s_delay_alu instid0(VALU_DEP_1)
	v_mul_f32_e32 v90, v93, v91
	v_xor_b32_e32 v91, 0x80000000, v91
.LBB82_616:
	s_and_not1_saveexec_b32 s1, s1
	s_cbranch_execz .LBB82_618
; %bb.617:
	s_delay_alu instid0(VALU_DEP_1) | instskip(SKIP_1) | instid1(VALU_DEP_2)
	v_div_scale_f32 v93, null, v90, v90, v91
	v_div_scale_f32 v101, vcc_lo, v91, v90, v91
	v_rcp_f32_e32 v99, v93
	v_nop
	s_delay_alu instid0(TRANS32_DEP_1) | instskip(NEXT) | instid1(VALU_DEP_1)
	v_fma_f32 v100, -v93, v99, 1.0
	v_fmac_f32_e32 v99, v100, v99
	s_delay_alu instid0(VALU_DEP_1) | instskip(NEXT) | instid1(VALU_DEP_1)
	v_mul_f32_e32 v100, v101, v99
	v_fma_f32 v102, -v93, v100, v101
	s_delay_alu instid0(VALU_DEP_1) | instskip(NEXT) | instid1(VALU_DEP_1)
	v_fmac_f32_e32 v100, v102, v99
	v_fma_f32 v93, -v93, v100, v101
	s_delay_alu instid0(VALU_DEP_1) | instskip(NEXT) | instid1(VALU_DEP_1)
	v_div_fmas_f32 v93, v93, v99, v100
	v_div_fixup_f32 v93, v93, v90, v91
	s_delay_alu instid0(VALU_DEP_1) | instskip(NEXT) | instid1(VALU_DEP_1)
	v_fmac_f32_e32 v90, v91, v93
	v_div_scale_f32 v91, null, v90, v90, 1.0
	s_delay_alu instid0(VALU_DEP_1) | instskip(SKIP_1) | instid1(TRANS32_DEP_1)
	v_rcp_f32_e32 v99, v91
	v_nop
	v_fma_f32 v100, -v91, v99, 1.0
	s_delay_alu instid0(VALU_DEP_1) | instskip(SKIP_1) | instid1(VALU_DEP_1)
	v_fmac_f32_e32 v99, v100, v99
	v_div_scale_f32 v100, vcc_lo, 1.0, v90, 1.0
	v_mul_f32_e32 v101, v100, v99
	s_delay_alu instid0(VALU_DEP_1) | instskip(NEXT) | instid1(VALU_DEP_1)
	v_fma_f32 v102, -v91, v101, v100
	v_fmac_f32_e32 v101, v102, v99
	s_delay_alu instid0(VALU_DEP_1) | instskip(NEXT) | instid1(VALU_DEP_1)
	v_fma_f32 v91, -v91, v101, v100
	v_div_fmas_f32 v91, v91, v99, v101
	s_delay_alu instid0(VALU_DEP_1) | instskip(NEXT) | instid1(VALU_DEP_1)
	v_div_fixup_f32 v90, v91, v90, 1.0
	v_mul_f32_e64 v91, v93, -v90
.LBB82_618:
	s_or_b32 exec_lo, exec_lo, s1
.LBB82_619:
	s_delay_alu instid0(SALU_CYCLE_1) | instskip(NEXT) | instid1(SALU_CYCLE_1)
	s_or_b32 exec_lo, exec_lo, s0
	s_mov_b32 s0, exec_lo
	v_cmpx_ne_u32_e64 v98, v92
	s_xor_b32 s0, exec_lo, s0
	s_cbranch_execz .LBB82_625
; %bb.620:
	s_mov_b32 s1, exec_lo
	v_cmpx_eq_u32_e32 29, v98
	s_cbranch_execz .LBB82_624
; %bb.621:
	v_cmp_ne_u32_e32 vcc_lo, 29, v92
	s_xor_b32 s12, s16, -1
	s_delay_alu instid0(SALU_CYCLE_1) | instskip(NEXT) | instid1(SALU_CYCLE_1)
	s_and_b32 s13, s12, vcc_lo
	s_and_saveexec_b32 s12, s13
	s_cbranch_execz .LBB82_623
; %bb.622:
	v_ashrrev_i32_e32 v93, 31, v92
	s_delay_alu instid0(VALU_DEP_1)
	v_lshl_add_u64 v[98:99], v[92:93], 2, v[4:5]
	s_clause 0x1
	global_load_b32 v93, v[98:99], off
	global_load_b32 v97, v[4:5], off offset:116
	s_wait_loadcnt 0x1
	global_store_b32 v[4:5], v93, off offset:116
	s_wait_loadcnt 0x0
	global_store_b32 v[98:99], v97, off
.LBB82_623:
	s_wait_xcnt 0x0
	s_or_b32 exec_lo, exec_lo, s12
	v_dual_mov_b32 v98, v92 :: v_dual_mov_b32 v97, v92
.LBB82_624:
	s_or_b32 exec_lo, exec_lo, s1
.LBB82_625:
	s_and_not1_saveexec_b32 s0, s0
	s_cbranch_execz .LBB82_627
; %bb.626:
	v_dual_mov_b32 v92, v32 :: v_dual_mov_b32 v93, v33
	v_dual_mov_b32 v98, v28 :: v_dual_mov_b32 v99, v29
	;; [unrolled: 1-line block ×4, first 2 shown]
	ds_store_2addr_b64 v94, v[92:93], v[98:99] offset0:30 offset1:31
	ds_store_2addr_b64 v94, v[100:101], v[102:103] offset0:32 offset1:33
	v_dual_mov_b32 v92, v12 :: v_dual_mov_b32 v93, v13
	v_dual_mov_b32 v100, v8 :: v_dual_mov_b32 v101, v9
	v_dual_mov_b32 v98, 29 :: v_dual_mov_b32 v102, v62
	v_dual_mov_b32 v103, v63 :: v_dual_mov_b32 v104, v6
	v_dual_mov_b32 v105, v7 :: v_dual_mov_b32 v106, v54
	v_dual_mov_b32 v107, v55 :: v_dual_mov_b32 v108, v40
	v_dual_mov_b32 v109, v41 :: v_dual_mov_b32 v110, v24
	v_mov_b32_e32 v111, v25
	ds_store_2addr_b64 v94, v[92:93], v[100:101] offset0:34 offset1:35
	ds_store_2addr_b64 v94, v[102:103], v[104:105] offset0:36 offset1:37
	;; [unrolled: 1-line block ×4, first 2 shown]
.LBB82_627:
	s_or_b32 exec_lo, exec_lo, s0
	s_delay_alu instid0(SALU_CYCLE_1)
	s_mov_b32 s0, exec_lo
	s_wait_storecnt_dscnt 0x0
	s_barrier_signal -1
	s_barrier_wait -1
	v_cmpx_lt_i32_e32 29, v98
	s_cbranch_execz .LBB82_629
; %bb.628:
	v_pk_mul_f32 v[92:93], v[90:91], v[30:31] op_sel:[1,1] op_sel_hi:[0,1]
	s_delay_alu instid0(VALU_DEP_1)
	v_pk_fma_f32 v[100:101], v[90:91], v[30:31], v[92:93] op_sel_hi:[1,0,1] neg_lo:[0,0,1] neg_hi:[0,0,1]
	v_pk_fma_f32 v[102:103], v[90:91], v[30:31], v[92:93] op_sel_hi:[1,0,1]
	ds_load_2addr_b64 v[90:93], v94 offset0:30 offset1:31
	v_dual_mov_b32 v30, v100 :: v_dual_mov_b32 v31, v103
	s_wait_dscnt 0x0
	v_pk_mul_f32 v[104:105], v[90:91], v[102:103] op_sel:[0,1]
	s_delay_alu instid0(VALU_DEP_1) | instskip(SKIP_1) | instid1(VALU_DEP_1)
	v_pk_fma_f32 v[106:107], v[90:91], v[100:101], v[104:105] op_sel:[0,0,1] op_sel_hi:[1,1,0] neg_lo:[0,0,1] neg_hi:[0,0,1]
	v_pk_fma_f32 v[90:91], v[90:91], v[100:101], v[104:105] op_sel:[0,0,1] op_sel_hi:[1,0,0]
	v_mov_b32_e32 v107, v91
	v_pk_mul_f32 v[90:91], v[92:93], v[102:103] op_sel:[0,1]
	s_delay_alu instid0(VALU_DEP_1) | instskip(SKIP_1) | instid1(VALU_DEP_1)
	v_pk_fma_f32 v[104:105], v[92:93], v[100:101], v[90:91] op_sel:[0,0,1] op_sel_hi:[1,1,0] neg_lo:[0,0,1] neg_hi:[0,0,1]
	v_pk_fma_f32 v[90:91], v[92:93], v[100:101], v[90:91] op_sel:[0,0,1] op_sel_hi:[1,0,0]
	v_mov_b32_e32 v105, v91
	ds_load_2addr_b64 v[90:93], v94 offset0:32 offset1:33
	v_pk_add_f32 v[32:33], v[32:33], v[106:107] neg_lo:[0,1] neg_hi:[0,1]
	v_pk_add_f32 v[28:29], v[28:29], v[104:105] neg_lo:[0,1] neg_hi:[0,1]
	s_wait_dscnt 0x0
	v_pk_mul_f32 v[104:105], v[90:91], v[102:103] op_sel:[0,1]
	s_delay_alu instid0(VALU_DEP_1) | instskip(SKIP_2) | instid1(VALU_DEP_2)
	v_pk_fma_f32 v[106:107], v[90:91], v[100:101], v[104:105] op_sel:[0,0,1] op_sel_hi:[1,1,0] neg_lo:[0,0,1] neg_hi:[0,0,1]
	v_pk_fma_f32 v[90:91], v[90:91], v[100:101], v[104:105] op_sel:[0,0,1] op_sel_hi:[1,0,0]
	v_dual_mul_f32 v104, v93, v103 :: v_dual_mov_b32 v90, v93
	v_dual_mov_b32 v107, v91 :: v_dual_mov_b32 v91, v92
	s_delay_alu instid0(VALU_DEP_2) | instskip(SKIP_1) | instid1(VALU_DEP_3)
	v_pk_fma_f32 v[104:105], v[92:93], v[30:31], v[104:105] op_sel_hi:[1,1,0] neg_lo:[0,0,1] neg_hi:[0,0,1]
	v_mul_f32_e32 v92, v93, v100
	v_pk_add_f32 v[64:65], v[64:65], v[106:107] neg_lo:[0,1] neg_hi:[0,1]
	s_delay_alu instid0(VALU_DEP_2) | instskip(NEXT) | instid1(VALU_DEP_1)
	v_pk_fma_f32 v[90:91], v[90:91], v[30:31], v[92:93] op_sel_hi:[1,1,0]
	v_mov_b32_e32 v105, v91
	ds_load_2addr_b64 v[90:93], v94 offset0:34 offset1:35
	v_pk_add_f32 v[10:11], v[10:11], v[104:105] neg_lo:[0,1] neg_hi:[0,1]
	s_wait_dscnt 0x0
	v_pk_mul_f32 v[104:105], v[90:91], v[102:103] op_sel:[0,1]
	s_delay_alu instid0(VALU_DEP_1) | instskip(SKIP_1) | instid1(VALU_DEP_1)
	v_pk_fma_f32 v[106:107], v[90:91], v[100:101], v[104:105] op_sel:[0,0,1] op_sel_hi:[1,1,0] neg_lo:[0,0,1] neg_hi:[0,0,1]
	v_pk_fma_f32 v[90:91], v[90:91], v[100:101], v[104:105] op_sel:[0,0,1] op_sel_hi:[1,0,0]
	v_mov_b32_e32 v107, v91
	v_pk_mul_f32 v[90:91], v[92:93], v[102:103] op_sel:[0,1]
	s_delay_alu instid0(VALU_DEP_1) | instskip(SKIP_1) | instid1(VALU_DEP_1)
	v_pk_fma_f32 v[104:105], v[92:93], v[100:101], v[90:91] op_sel:[0,0,1] op_sel_hi:[1,1,0] neg_lo:[0,0,1] neg_hi:[0,0,1]
	v_pk_fma_f32 v[90:91], v[92:93], v[100:101], v[90:91] op_sel:[0,0,1] op_sel_hi:[1,0,0]
	v_mov_b32_e32 v105, v91
	ds_load_2addr_b64 v[90:93], v94 offset0:36 offset1:37
	v_pk_add_f32 v[12:13], v[12:13], v[106:107] neg_lo:[0,1] neg_hi:[0,1]
	v_pk_add_f32 v[8:9], v[8:9], v[104:105] neg_lo:[0,1] neg_hi:[0,1]
	s_wait_dscnt 0x0
	v_pk_mul_f32 v[104:105], v[90:91], v[102:103] op_sel:[0,1]
	s_delay_alu instid0(VALU_DEP_1) | instskip(SKIP_1) | instid1(VALU_DEP_1)
	v_pk_fma_f32 v[106:107], v[90:91], v[100:101], v[104:105] op_sel:[0,0,1] op_sel_hi:[1,1,0] neg_lo:[0,0,1] neg_hi:[0,0,1]
	v_pk_fma_f32 v[90:91], v[90:91], v[100:101], v[104:105] op_sel:[0,0,1] op_sel_hi:[1,0,0]
	v_mov_b32_e32 v107, v91
	v_pk_mul_f32 v[90:91], v[92:93], v[102:103] op_sel:[0,1]
	s_delay_alu instid0(VALU_DEP_1) | instskip(SKIP_1) | instid1(VALU_DEP_1)
	v_pk_fma_f32 v[104:105], v[92:93], v[100:101], v[90:91] op_sel:[0,0,1] op_sel_hi:[1,1,0] neg_lo:[0,0,1] neg_hi:[0,0,1]
	v_pk_fma_f32 v[90:91], v[92:93], v[100:101], v[90:91] op_sel:[0,0,1] op_sel_hi:[1,0,0]
	v_mov_b32_e32 v105, v91
	ds_load_2addr_b64 v[90:93], v94 offset0:38 offset1:39
	v_pk_add_f32 v[62:63], v[62:63], v[106:107] neg_lo:[0,1] neg_hi:[0,1]
	v_pk_add_f32 v[6:7], v[6:7], v[104:105] neg_lo:[0,1] neg_hi:[0,1]
	s_wait_dscnt 0x0
	v_dual_mul_f32 v104, v91, v103 :: v_dual_mul_f32 v106, v91, v100
	s_delay_alu instid0(VALU_DEP_1) | instskip(NEXT) | instid1(VALU_DEP_2)
	v_pk_fma_f32 v[104:105], v[90:91], v[30:31], v[104:105] op_sel_hi:[1,1,0] neg_lo:[0,0,1] neg_hi:[0,0,1]
	v_pk_fma_f32 v[90:91], v[90:91], v[30:31], v[106:107] op_sel:[1,0,0] op_sel_hi:[0,1,0]
	s_delay_alu instid0(VALU_DEP_1) | instskip(SKIP_1) | instid1(VALU_DEP_2)
	v_mov_b32_e32 v105, v91
	v_pk_mul_f32 v[90:91], v[92:93], v[102:103] op_sel:[0,1]
	v_pk_add_f32 v[54:55], v[54:55], v[104:105] neg_lo:[0,1] neg_hi:[0,1]
	s_delay_alu instid0(VALU_DEP_2) | instskip(SKIP_1) | instid1(VALU_DEP_1)
	v_pk_fma_f32 v[104:105], v[92:93], v[100:101], v[90:91] op_sel:[0,0,1] op_sel_hi:[1,1,0] neg_lo:[0,0,1] neg_hi:[0,0,1]
	v_pk_fma_f32 v[90:91], v[92:93], v[100:101], v[90:91] op_sel:[0,0,1] op_sel_hi:[1,0,0]
	v_mov_b32_e32 v105, v91
	ds_load_2addr_b64 v[90:93], v94 offset0:40 offset1:41
	v_pk_add_f32 v[40:41], v[40:41], v[104:105] neg_lo:[0,1] neg_hi:[0,1]
	s_wait_dscnt 0x0
	v_pk_mul_f32 v[104:105], v[90:91], v[102:103] op_sel:[0,1]
	v_mul_f32_e32 v102, v93, v103
	s_delay_alu instid0(VALU_DEP_2) | instskip(SKIP_2) | instid1(VALU_DEP_4)
	v_pk_fma_f32 v[106:107], v[90:91], v[100:101], v[104:105] op_sel:[0,0,1] op_sel_hi:[1,1,0] neg_lo:[0,0,1] neg_hi:[0,0,1]
	v_pk_fma_f32 v[90:91], v[90:91], v[100:101], v[104:105] op_sel:[0,0,1] op_sel_hi:[1,0,0]
	v_mov_b32_e32 v90, v93
	v_pk_fma_f32 v[102:103], v[92:93], v[30:31], v[102:103] op_sel_hi:[1,1,0] neg_lo:[0,0,1] neg_hi:[0,0,1]
	s_delay_alu instid0(VALU_DEP_3) | instskip(SKIP_1) | instid1(VALU_DEP_2)
	v_dual_mov_b32 v107, v91 :: v_dual_mov_b32 v91, v92
	v_mul_f32_e32 v92, v93, v100
	v_pk_add_f32 v[24:25], v[24:25], v[106:107] neg_lo:[0,1] neg_hi:[0,1]
	s_delay_alu instid0(VALU_DEP_2) | instskip(NEXT) | instid1(VALU_DEP_1)
	v_pk_fma_f32 v[90:91], v[90:91], v[30:31], v[92:93] op_sel_hi:[1,1,0]
	v_mov_b32_e32 v103, v91
	s_delay_alu instid0(VALU_DEP_1)
	v_pk_add_f32 v[88:89], v[88:89], v[102:103] neg_lo:[0,1] neg_hi:[0,1]
.LBB82_629:
	s_or_b32 exec_lo, exec_lo, s0
	v_lshl_add_u32 v90, v98, 3, v94
	s_barrier_signal -1
	s_barrier_wait -1
	ds_store_b64 v90, v[32:33]
	s_wait_dscnt 0x0
	s_barrier_signal -1
	s_barrier_wait -1
	ds_load_b64 v[90:91], v94 offset:240
	v_mov_b32_e32 v92, 30
	s_cmp_lt_i32 s18, 32
	s_cbranch_scc1 .LBB82_632
; %bb.630:
	v_add3_u32 v93, v95, 0, 0xf8
	v_mov_b32_e32 v92, 30
	s_mov_b32 s0, 31
.LBB82_631:                             ; =>This Inner Loop Header: Depth=1
	ds_load_b64 v[100:101], v93
	s_wait_dscnt 0x1
	v_cmp_gt_f32_e32 vcc_lo, 0, v90
	v_cndmask_b32_e64 v102, v90, -v90, vcc_lo
	v_cmp_gt_f32_e32 vcc_lo, 0, v91
	v_cndmask_b32_e64 v104, v91, -v91, vcc_lo
	s_wait_dscnt 0x0
	v_cmp_gt_f32_e32 vcc_lo, 0, v100
	v_cndmask_b32_e64 v103, v100, -v100, vcc_lo
	v_cmp_gt_f32_e32 vcc_lo, 0, v101
	v_cndmask_b32_e64 v105, v101, -v101, vcc_lo
	s_delay_alu instid0(VALU_DEP_1) | instskip(NEXT) | instid1(VALU_DEP_1)
	v_pk_add_f32 v[102:103], v[102:103], v[104:105]
	v_cmp_lt_f32_e32 vcc_lo, v102, v103
	v_dual_cndmask_b32 v90, v90, v100 :: v_dual_add_nc_u32 v93, 8, v93
	v_cndmask_b32_e32 v91, v91, v101, vcc_lo
	v_cndmask_b32_e64 v92, v92, s0, vcc_lo
	s_add_co_i32 s0, s0, 1
	s_delay_alu instid0(SALU_CYCLE_1)
	s_cmp_lg_u32 s18, s0
	s_cbranch_scc1 .LBB82_631
.LBB82_632:
	s_wait_dscnt 0x0
	v_cmp_eq_f32_e32 vcc_lo, 0, v90
	v_cmp_eq_f32_e64 s0, 0, v91
	s_and_b32 s0, vcc_lo, s0
	s_delay_alu instid0(SALU_CYCLE_1) | instskip(NEXT) | instid1(SALU_CYCLE_1)
	s_and_saveexec_b32 s1, s0
	s_xor_b32 s0, exec_lo, s1
; %bb.633:
	v_cmp_ne_u32_e32 vcc_lo, 0, v96
	v_cndmask_b32_e32 v96, 31, v96, vcc_lo
; %bb.634:
	s_and_not1_saveexec_b32 s0, s0
	s_cbranch_execz .LBB82_640
; %bb.635:
	v_cmp_ngt_f32_e64 s1, |v90|, |v91|
	s_and_saveexec_b32 s12, s1
	s_delay_alu instid0(SALU_CYCLE_1)
	s_xor_b32 s1, exec_lo, s12
	s_cbranch_execz .LBB82_637
; %bb.636:
	v_div_scale_f32 v93, null, v91, v91, v90
	v_div_scale_f32 v101, vcc_lo, v90, v91, v90
	s_delay_alu instid0(VALU_DEP_2) | instskip(SKIP_1) | instid1(TRANS32_DEP_1)
	v_rcp_f32_e32 v99, v93
	v_nop
	v_fma_f32 v100, -v93, v99, 1.0
	s_delay_alu instid0(VALU_DEP_1) | instskip(NEXT) | instid1(VALU_DEP_1)
	v_fmac_f32_e32 v99, v100, v99
	v_mul_f32_e32 v100, v101, v99
	s_delay_alu instid0(VALU_DEP_1) | instskip(NEXT) | instid1(VALU_DEP_1)
	v_fma_f32 v102, -v93, v100, v101
	v_fmac_f32_e32 v100, v102, v99
	s_delay_alu instid0(VALU_DEP_1) | instskip(NEXT) | instid1(VALU_DEP_1)
	v_fma_f32 v93, -v93, v100, v101
	v_div_fmas_f32 v93, v93, v99, v100
	s_delay_alu instid0(VALU_DEP_1) | instskip(NEXT) | instid1(VALU_DEP_1)
	v_div_fixup_f32 v93, v93, v91, v90
	v_fmac_f32_e32 v91, v90, v93
	s_delay_alu instid0(VALU_DEP_1) | instskip(SKIP_1) | instid1(VALU_DEP_2)
	v_div_scale_f32 v90, null, v91, v91, 1.0
	v_div_scale_f32 v101, vcc_lo, 1.0, v91, 1.0
	v_rcp_f32_e32 v99, v90
	v_nop
	s_delay_alu instid0(TRANS32_DEP_1) | instskip(NEXT) | instid1(VALU_DEP_1)
	v_fma_f32 v100, -v90, v99, 1.0
	v_fmac_f32_e32 v99, v100, v99
	s_delay_alu instid0(VALU_DEP_1) | instskip(NEXT) | instid1(VALU_DEP_1)
	v_mul_f32_e32 v100, v101, v99
	v_fma_f32 v102, -v90, v100, v101
	s_delay_alu instid0(VALU_DEP_1) | instskip(NEXT) | instid1(VALU_DEP_1)
	v_fmac_f32_e32 v100, v102, v99
	v_fma_f32 v90, -v90, v100, v101
	s_delay_alu instid0(VALU_DEP_1) | instskip(NEXT) | instid1(VALU_DEP_1)
	v_div_fmas_f32 v90, v90, v99, v100
	v_div_fixup_f32 v91, v90, v91, 1.0
	s_delay_alu instid0(VALU_DEP_1)
	v_mul_f32_e32 v90, v93, v91
	v_xor_b32_e32 v91, 0x80000000, v91
.LBB82_637:
	s_and_not1_saveexec_b32 s1, s1
	s_cbranch_execz .LBB82_639
; %bb.638:
	s_delay_alu instid0(VALU_DEP_1) | instskip(SKIP_1) | instid1(VALU_DEP_2)
	v_div_scale_f32 v93, null, v90, v90, v91
	v_div_scale_f32 v101, vcc_lo, v91, v90, v91
	v_rcp_f32_e32 v99, v93
	v_nop
	s_delay_alu instid0(TRANS32_DEP_1) | instskip(NEXT) | instid1(VALU_DEP_1)
	v_fma_f32 v100, -v93, v99, 1.0
	v_fmac_f32_e32 v99, v100, v99
	s_delay_alu instid0(VALU_DEP_1) | instskip(NEXT) | instid1(VALU_DEP_1)
	v_mul_f32_e32 v100, v101, v99
	v_fma_f32 v102, -v93, v100, v101
	s_delay_alu instid0(VALU_DEP_1) | instskip(NEXT) | instid1(VALU_DEP_1)
	v_fmac_f32_e32 v100, v102, v99
	v_fma_f32 v93, -v93, v100, v101
	s_delay_alu instid0(VALU_DEP_1) | instskip(NEXT) | instid1(VALU_DEP_1)
	v_div_fmas_f32 v93, v93, v99, v100
	v_div_fixup_f32 v93, v93, v90, v91
	s_delay_alu instid0(VALU_DEP_1) | instskip(NEXT) | instid1(VALU_DEP_1)
	v_fmac_f32_e32 v90, v91, v93
	v_div_scale_f32 v91, null, v90, v90, 1.0
	s_delay_alu instid0(VALU_DEP_1) | instskip(SKIP_1) | instid1(TRANS32_DEP_1)
	v_rcp_f32_e32 v99, v91
	v_nop
	v_fma_f32 v100, -v91, v99, 1.0
	s_delay_alu instid0(VALU_DEP_1) | instskip(SKIP_1) | instid1(VALU_DEP_1)
	v_fmac_f32_e32 v99, v100, v99
	v_div_scale_f32 v100, vcc_lo, 1.0, v90, 1.0
	v_mul_f32_e32 v101, v100, v99
	s_delay_alu instid0(VALU_DEP_1) | instskip(NEXT) | instid1(VALU_DEP_1)
	v_fma_f32 v102, -v91, v101, v100
	v_fmac_f32_e32 v101, v102, v99
	s_delay_alu instid0(VALU_DEP_1) | instskip(NEXT) | instid1(VALU_DEP_1)
	v_fma_f32 v91, -v91, v101, v100
	v_div_fmas_f32 v91, v91, v99, v101
	s_delay_alu instid0(VALU_DEP_1) | instskip(NEXT) | instid1(VALU_DEP_1)
	v_div_fixup_f32 v90, v91, v90, 1.0
	v_mul_f32_e64 v91, v93, -v90
.LBB82_639:
	s_or_b32 exec_lo, exec_lo, s1
.LBB82_640:
	s_delay_alu instid0(SALU_CYCLE_1) | instskip(NEXT) | instid1(SALU_CYCLE_1)
	s_or_b32 exec_lo, exec_lo, s0
	s_mov_b32 s0, exec_lo
	v_cmpx_ne_u32_e64 v98, v92
	s_xor_b32 s0, exec_lo, s0
	s_cbranch_execz .LBB82_646
; %bb.641:
	s_mov_b32 s1, exec_lo
	v_cmpx_eq_u32_e32 30, v98
	s_cbranch_execz .LBB82_645
; %bb.642:
	v_cmp_ne_u32_e32 vcc_lo, 30, v92
	s_xor_b32 s12, s16, -1
	s_delay_alu instid0(SALU_CYCLE_1) | instskip(NEXT) | instid1(SALU_CYCLE_1)
	s_and_b32 s13, s12, vcc_lo
	s_and_saveexec_b32 s12, s13
	s_cbranch_execz .LBB82_644
; %bb.643:
	v_ashrrev_i32_e32 v93, 31, v92
	s_delay_alu instid0(VALU_DEP_1)
	v_lshl_add_u64 v[98:99], v[92:93], 2, v[4:5]
	s_clause 0x1
	global_load_b32 v93, v[98:99], off
	global_load_b32 v97, v[4:5], off offset:120
	s_wait_loadcnt 0x1
	global_store_b32 v[4:5], v93, off offset:120
	s_wait_loadcnt 0x0
	global_store_b32 v[98:99], v97, off
.LBB82_644:
	s_wait_xcnt 0x0
	s_or_b32 exec_lo, exec_lo, s12
	v_dual_mov_b32 v98, v92 :: v_dual_mov_b32 v97, v92
.LBB82_645:
	s_or_b32 exec_lo, exec_lo, s1
.LBB82_646:
	s_and_not1_saveexec_b32 s0, s0
	s_cbranch_execz .LBB82_648
; %bb.647:
	v_mov_b32_e32 v98, 30
	ds_store_2addr_b64 v94, v[28:29], v[64:65] offset0:31 offset1:32
	ds_store_2addr_b64 v94, v[10:11], v[12:13] offset0:33 offset1:34
	;; [unrolled: 1-line block ×5, first 2 shown]
	ds_store_b64 v94, v[88:89] offset:328
.LBB82_648:
	s_or_b32 exec_lo, exec_lo, s0
	s_delay_alu instid0(SALU_CYCLE_1)
	s_mov_b32 s0, exec_lo
	s_wait_storecnt_dscnt 0x0
	s_barrier_signal -1
	s_barrier_wait -1
	v_cmpx_lt_i32_e32 30, v98
	s_cbranch_execz .LBB82_650
; %bb.649:
	v_pk_mul_f32 v[92:93], v[90:91], v[32:33] op_sel:[1,1] op_sel_hi:[0,1]
	s_delay_alu instid0(VALU_DEP_1)
	v_pk_fma_f32 v[100:101], v[90:91], v[32:33], v[92:93] op_sel_hi:[1,0,1] neg_lo:[0,0,1] neg_hi:[0,0,1]
	v_pk_fma_f32 v[102:103], v[90:91], v[32:33], v[92:93] op_sel_hi:[1,0,1]
	ds_load_2addr_b64 v[90:93], v94 offset0:31 offset1:32
	v_dual_mov_b32 v32, v100 :: v_dual_mov_b32 v33, v103
	s_wait_dscnt 0x0
	v_pk_mul_f32 v[104:105], v[90:91], v[102:103] op_sel:[0,1]
	s_delay_alu instid0(VALU_DEP_1) | instskip(SKIP_1) | instid1(VALU_DEP_1)
	v_pk_fma_f32 v[106:107], v[90:91], v[100:101], v[104:105] op_sel:[0,0,1] op_sel_hi:[1,1,0] neg_lo:[0,0,1] neg_hi:[0,0,1]
	v_pk_fma_f32 v[90:91], v[90:91], v[100:101], v[104:105] op_sel:[0,0,1] op_sel_hi:[1,0,0]
	v_mov_b32_e32 v107, v91
	v_pk_mul_f32 v[90:91], v[92:93], v[102:103] op_sel:[0,1]
	s_delay_alu instid0(VALU_DEP_1) | instskip(SKIP_1) | instid1(VALU_DEP_1)
	v_pk_fma_f32 v[104:105], v[92:93], v[100:101], v[90:91] op_sel:[0,0,1] op_sel_hi:[1,1,0] neg_lo:[0,0,1] neg_hi:[0,0,1]
	v_pk_fma_f32 v[90:91], v[92:93], v[100:101], v[90:91] op_sel:[0,0,1] op_sel_hi:[1,0,0]
	v_mov_b32_e32 v105, v91
	ds_load_2addr_b64 v[90:93], v94 offset0:33 offset1:34
	v_pk_add_f32 v[28:29], v[28:29], v[106:107] neg_lo:[0,1] neg_hi:[0,1]
	v_pk_add_f32 v[64:65], v[64:65], v[104:105] neg_lo:[0,1] neg_hi:[0,1]
	s_wait_dscnt 0x0
	v_pk_mul_f32 v[104:105], v[90:91], v[102:103] op_sel:[0,1]
	s_delay_alu instid0(VALU_DEP_1) | instskip(SKIP_2) | instid1(VALU_DEP_2)
	v_pk_fma_f32 v[106:107], v[90:91], v[100:101], v[104:105] op_sel:[0,0,1] op_sel_hi:[1,1,0] neg_lo:[0,0,1] neg_hi:[0,0,1]
	v_pk_fma_f32 v[90:91], v[90:91], v[100:101], v[104:105] op_sel:[0,0,1] op_sel_hi:[1,0,0]
	v_dual_mul_f32 v104, v93, v103 :: v_dual_mov_b32 v90, v93
	v_dual_mov_b32 v107, v91 :: v_dual_mov_b32 v91, v92
	s_delay_alu instid0(VALU_DEP_2) | instskip(SKIP_1) | instid1(VALU_DEP_3)
	v_pk_fma_f32 v[104:105], v[92:93], v[32:33], v[104:105] op_sel_hi:[1,1,0] neg_lo:[0,0,1] neg_hi:[0,0,1]
	v_mul_f32_e32 v92, v93, v100
	v_pk_add_f32 v[10:11], v[10:11], v[106:107] neg_lo:[0,1] neg_hi:[0,1]
	s_delay_alu instid0(VALU_DEP_2) | instskip(NEXT) | instid1(VALU_DEP_1)
	v_pk_fma_f32 v[90:91], v[90:91], v[32:33], v[92:93] op_sel_hi:[1,1,0]
	v_mov_b32_e32 v105, v91
	ds_load_2addr_b64 v[90:93], v94 offset0:35 offset1:36
	v_pk_add_f32 v[12:13], v[12:13], v[104:105] neg_lo:[0,1] neg_hi:[0,1]
	s_wait_dscnt 0x0
	v_pk_mul_f32 v[104:105], v[90:91], v[102:103] op_sel:[0,1]
	s_delay_alu instid0(VALU_DEP_1) | instskip(SKIP_1) | instid1(VALU_DEP_1)
	v_pk_fma_f32 v[106:107], v[90:91], v[100:101], v[104:105] op_sel:[0,0,1] op_sel_hi:[1,1,0] neg_lo:[0,0,1] neg_hi:[0,0,1]
	v_pk_fma_f32 v[90:91], v[90:91], v[100:101], v[104:105] op_sel:[0,0,1] op_sel_hi:[1,0,0]
	v_mov_b32_e32 v107, v91
	v_pk_mul_f32 v[90:91], v[92:93], v[102:103] op_sel:[0,1]
	s_delay_alu instid0(VALU_DEP_1) | instskip(SKIP_1) | instid1(VALU_DEP_1)
	v_pk_fma_f32 v[104:105], v[92:93], v[100:101], v[90:91] op_sel:[0,0,1] op_sel_hi:[1,1,0] neg_lo:[0,0,1] neg_hi:[0,0,1]
	v_pk_fma_f32 v[90:91], v[92:93], v[100:101], v[90:91] op_sel:[0,0,1] op_sel_hi:[1,0,0]
	v_mov_b32_e32 v105, v91
	ds_load_2addr_b64 v[90:93], v94 offset0:37 offset1:38
	v_pk_add_f32 v[8:9], v[8:9], v[106:107] neg_lo:[0,1] neg_hi:[0,1]
	v_pk_add_f32 v[62:63], v[62:63], v[104:105] neg_lo:[0,1] neg_hi:[0,1]
	s_wait_dscnt 0x0
	v_pk_mul_f32 v[104:105], v[90:91], v[102:103] op_sel:[0,1]
	s_delay_alu instid0(VALU_DEP_1) | instskip(SKIP_1) | instid1(VALU_DEP_1)
	v_pk_fma_f32 v[106:107], v[90:91], v[100:101], v[104:105] op_sel:[0,0,1] op_sel_hi:[1,1,0] neg_lo:[0,0,1] neg_hi:[0,0,1]
	v_pk_fma_f32 v[90:91], v[90:91], v[100:101], v[104:105] op_sel:[0,0,1] op_sel_hi:[1,0,0]
	v_mov_b32_e32 v107, v91
	v_pk_mul_f32 v[90:91], v[92:93], v[102:103] op_sel:[0,1]
	s_delay_alu instid0(VALU_DEP_1) | instskip(SKIP_1) | instid1(VALU_DEP_1)
	v_pk_fma_f32 v[104:105], v[92:93], v[100:101], v[90:91] op_sel:[0,0,1] op_sel_hi:[1,1,0] neg_lo:[0,0,1] neg_hi:[0,0,1]
	v_pk_fma_f32 v[90:91], v[92:93], v[100:101], v[90:91] op_sel:[0,0,1] op_sel_hi:[1,0,0]
	v_mov_b32_e32 v105, v91
	ds_load_2addr_b64 v[90:93], v94 offset0:39 offset1:40
	v_pk_add_f32 v[6:7], v[6:7], v[106:107] neg_lo:[0,1] neg_hi:[0,1]
	v_pk_add_f32 v[54:55], v[54:55], v[104:105] neg_lo:[0,1] neg_hi:[0,1]
	s_wait_dscnt 0x0
	v_dual_mul_f32 v104, v91, v103 :: v_dual_mul_f32 v106, v91, v100
	s_delay_alu instid0(VALU_DEP_1) | instskip(NEXT) | instid1(VALU_DEP_2)
	v_pk_fma_f32 v[104:105], v[90:91], v[32:33], v[104:105] op_sel_hi:[1,1,0] neg_lo:[0,0,1] neg_hi:[0,0,1]
	v_pk_fma_f32 v[90:91], v[90:91], v[32:33], v[106:107] op_sel:[1,0,0] op_sel_hi:[0,1,0]
	s_delay_alu instid0(VALU_DEP_1) | instskip(SKIP_1) | instid1(VALU_DEP_2)
	v_mov_b32_e32 v105, v91
	v_pk_mul_f32 v[90:91], v[92:93], v[102:103] op_sel:[0,1]
	v_pk_add_f32 v[40:41], v[40:41], v[104:105] neg_lo:[0,1] neg_hi:[0,1]
	s_delay_alu instid0(VALU_DEP_2) | instskip(SKIP_1) | instid1(VALU_DEP_1)
	v_pk_fma_f32 v[104:105], v[92:93], v[100:101], v[90:91] op_sel:[0,0,1] op_sel_hi:[1,1,0] neg_lo:[0,0,1] neg_hi:[0,0,1]
	v_pk_fma_f32 v[90:91], v[92:93], v[100:101], v[90:91] op_sel:[0,0,1] op_sel_hi:[1,0,0]
	v_mov_b32_e32 v105, v91
	ds_load_b64 v[90:91], v94 offset:328
	v_pk_add_f32 v[24:25], v[24:25], v[104:105] neg_lo:[0,1] neg_hi:[0,1]
	s_wait_dscnt 0x0
	v_pk_mul_f32 v[92:93], v[90:91], v[102:103] op_sel:[0,1]
	s_delay_alu instid0(VALU_DEP_1) | instskip(SKIP_1) | instid1(VALU_DEP_1)
	v_pk_fma_f32 v[102:103], v[90:91], v[100:101], v[92:93] op_sel:[0,0,1] op_sel_hi:[1,1,0] neg_lo:[0,0,1] neg_hi:[0,0,1]
	v_pk_fma_f32 v[90:91], v[90:91], v[100:101], v[92:93] op_sel:[0,0,1] op_sel_hi:[1,0,0]
	v_mov_b32_e32 v103, v91
	s_delay_alu instid0(VALU_DEP_1)
	v_pk_add_f32 v[88:89], v[88:89], v[102:103] neg_lo:[0,1] neg_hi:[0,1]
.LBB82_650:
	s_or_b32 exec_lo, exec_lo, s0
	v_lshl_add_u32 v90, v98, 3, v94
	s_barrier_signal -1
	s_barrier_wait -1
	ds_store_b64 v90, v[28:29]
	s_wait_dscnt 0x0
	s_barrier_signal -1
	s_barrier_wait -1
	ds_load_b64 v[90:91], v94 offset:248
	v_mov_b32_e32 v92, 31
	s_cmp_lt_i32 s18, 33
	s_cbranch_scc1 .LBB82_653
; %bb.651:
	v_add3_u32 v93, v95, 0, 0x100
	v_mov_b32_e32 v92, 31
	s_mov_b32 s0, 32
.LBB82_652:                             ; =>This Inner Loop Header: Depth=1
	ds_load_b64 v[100:101], v93
	s_wait_dscnt 0x1
	v_cmp_gt_f32_e32 vcc_lo, 0, v90
	v_cndmask_b32_e64 v102, v90, -v90, vcc_lo
	v_cmp_gt_f32_e32 vcc_lo, 0, v91
	v_cndmask_b32_e64 v104, v91, -v91, vcc_lo
	s_wait_dscnt 0x0
	v_cmp_gt_f32_e32 vcc_lo, 0, v100
	v_cndmask_b32_e64 v103, v100, -v100, vcc_lo
	v_cmp_gt_f32_e32 vcc_lo, 0, v101
	v_cndmask_b32_e64 v105, v101, -v101, vcc_lo
	s_delay_alu instid0(VALU_DEP_1) | instskip(NEXT) | instid1(VALU_DEP_1)
	v_pk_add_f32 v[102:103], v[102:103], v[104:105]
	v_cmp_lt_f32_e32 vcc_lo, v102, v103
	v_dual_cndmask_b32 v90, v90, v100 :: v_dual_add_nc_u32 v93, 8, v93
	v_cndmask_b32_e32 v91, v91, v101, vcc_lo
	v_cndmask_b32_e64 v92, v92, s0, vcc_lo
	s_add_co_i32 s0, s0, 1
	s_delay_alu instid0(SALU_CYCLE_1)
	s_cmp_lg_u32 s18, s0
	s_cbranch_scc1 .LBB82_652
.LBB82_653:
	s_wait_dscnt 0x0
	v_cmp_eq_f32_e32 vcc_lo, 0, v90
	v_cmp_eq_f32_e64 s0, 0, v91
	s_and_b32 s0, vcc_lo, s0
	s_delay_alu instid0(SALU_CYCLE_1) | instskip(NEXT) | instid1(SALU_CYCLE_1)
	s_and_saveexec_b32 s1, s0
	s_xor_b32 s0, exec_lo, s1
; %bb.654:
	v_cmp_ne_u32_e32 vcc_lo, 0, v96
	v_cndmask_b32_e32 v96, 32, v96, vcc_lo
; %bb.655:
	s_and_not1_saveexec_b32 s0, s0
	s_cbranch_execz .LBB82_661
; %bb.656:
	v_cmp_ngt_f32_e64 s1, |v90|, |v91|
	s_and_saveexec_b32 s12, s1
	s_delay_alu instid0(SALU_CYCLE_1)
	s_xor_b32 s1, exec_lo, s12
	s_cbranch_execz .LBB82_658
; %bb.657:
	v_div_scale_f32 v93, null, v91, v91, v90
	v_div_scale_f32 v101, vcc_lo, v90, v91, v90
	s_delay_alu instid0(VALU_DEP_2) | instskip(SKIP_1) | instid1(TRANS32_DEP_1)
	v_rcp_f32_e32 v99, v93
	v_nop
	v_fma_f32 v100, -v93, v99, 1.0
	s_delay_alu instid0(VALU_DEP_1) | instskip(NEXT) | instid1(VALU_DEP_1)
	v_fmac_f32_e32 v99, v100, v99
	v_mul_f32_e32 v100, v101, v99
	s_delay_alu instid0(VALU_DEP_1) | instskip(NEXT) | instid1(VALU_DEP_1)
	v_fma_f32 v102, -v93, v100, v101
	v_fmac_f32_e32 v100, v102, v99
	s_delay_alu instid0(VALU_DEP_1) | instskip(NEXT) | instid1(VALU_DEP_1)
	v_fma_f32 v93, -v93, v100, v101
	v_div_fmas_f32 v93, v93, v99, v100
	s_delay_alu instid0(VALU_DEP_1) | instskip(NEXT) | instid1(VALU_DEP_1)
	v_div_fixup_f32 v93, v93, v91, v90
	v_fmac_f32_e32 v91, v90, v93
	s_delay_alu instid0(VALU_DEP_1) | instskip(SKIP_1) | instid1(VALU_DEP_2)
	v_div_scale_f32 v90, null, v91, v91, 1.0
	v_div_scale_f32 v101, vcc_lo, 1.0, v91, 1.0
	v_rcp_f32_e32 v99, v90
	v_nop
	s_delay_alu instid0(TRANS32_DEP_1) | instskip(NEXT) | instid1(VALU_DEP_1)
	v_fma_f32 v100, -v90, v99, 1.0
	v_fmac_f32_e32 v99, v100, v99
	s_delay_alu instid0(VALU_DEP_1) | instskip(NEXT) | instid1(VALU_DEP_1)
	v_mul_f32_e32 v100, v101, v99
	v_fma_f32 v102, -v90, v100, v101
	s_delay_alu instid0(VALU_DEP_1) | instskip(NEXT) | instid1(VALU_DEP_1)
	v_fmac_f32_e32 v100, v102, v99
	v_fma_f32 v90, -v90, v100, v101
	s_delay_alu instid0(VALU_DEP_1) | instskip(NEXT) | instid1(VALU_DEP_1)
	v_div_fmas_f32 v90, v90, v99, v100
	v_div_fixup_f32 v91, v90, v91, 1.0
	s_delay_alu instid0(VALU_DEP_1)
	v_mul_f32_e32 v90, v93, v91
	v_xor_b32_e32 v91, 0x80000000, v91
.LBB82_658:
	s_and_not1_saveexec_b32 s1, s1
	s_cbranch_execz .LBB82_660
; %bb.659:
	s_delay_alu instid0(VALU_DEP_1) | instskip(SKIP_1) | instid1(VALU_DEP_2)
	v_div_scale_f32 v93, null, v90, v90, v91
	v_div_scale_f32 v101, vcc_lo, v91, v90, v91
	v_rcp_f32_e32 v99, v93
	v_nop
	s_delay_alu instid0(TRANS32_DEP_1) | instskip(NEXT) | instid1(VALU_DEP_1)
	v_fma_f32 v100, -v93, v99, 1.0
	v_fmac_f32_e32 v99, v100, v99
	s_delay_alu instid0(VALU_DEP_1) | instskip(NEXT) | instid1(VALU_DEP_1)
	v_mul_f32_e32 v100, v101, v99
	v_fma_f32 v102, -v93, v100, v101
	s_delay_alu instid0(VALU_DEP_1) | instskip(NEXT) | instid1(VALU_DEP_1)
	v_fmac_f32_e32 v100, v102, v99
	v_fma_f32 v93, -v93, v100, v101
	s_delay_alu instid0(VALU_DEP_1) | instskip(NEXT) | instid1(VALU_DEP_1)
	v_div_fmas_f32 v93, v93, v99, v100
	v_div_fixup_f32 v93, v93, v90, v91
	s_delay_alu instid0(VALU_DEP_1) | instskip(NEXT) | instid1(VALU_DEP_1)
	v_fmac_f32_e32 v90, v91, v93
	v_div_scale_f32 v91, null, v90, v90, 1.0
	s_delay_alu instid0(VALU_DEP_1) | instskip(SKIP_1) | instid1(TRANS32_DEP_1)
	v_rcp_f32_e32 v99, v91
	v_nop
	v_fma_f32 v100, -v91, v99, 1.0
	s_delay_alu instid0(VALU_DEP_1) | instskip(SKIP_1) | instid1(VALU_DEP_1)
	v_fmac_f32_e32 v99, v100, v99
	v_div_scale_f32 v100, vcc_lo, 1.0, v90, 1.0
	v_mul_f32_e32 v101, v100, v99
	s_delay_alu instid0(VALU_DEP_1) | instskip(NEXT) | instid1(VALU_DEP_1)
	v_fma_f32 v102, -v91, v101, v100
	v_fmac_f32_e32 v101, v102, v99
	s_delay_alu instid0(VALU_DEP_1) | instskip(NEXT) | instid1(VALU_DEP_1)
	v_fma_f32 v91, -v91, v101, v100
	v_div_fmas_f32 v91, v91, v99, v101
	s_delay_alu instid0(VALU_DEP_1) | instskip(NEXT) | instid1(VALU_DEP_1)
	v_div_fixup_f32 v90, v91, v90, 1.0
	v_mul_f32_e64 v91, v93, -v90
.LBB82_660:
	s_or_b32 exec_lo, exec_lo, s1
.LBB82_661:
	s_delay_alu instid0(SALU_CYCLE_1) | instskip(NEXT) | instid1(SALU_CYCLE_1)
	s_or_b32 exec_lo, exec_lo, s0
	s_mov_b32 s0, exec_lo
	v_cmpx_ne_u32_e64 v98, v92
	s_xor_b32 s0, exec_lo, s0
	s_cbranch_execz .LBB82_667
; %bb.662:
	s_mov_b32 s1, exec_lo
	v_cmpx_eq_u32_e32 31, v98
	s_cbranch_execz .LBB82_666
; %bb.663:
	v_cmp_ne_u32_e32 vcc_lo, 31, v92
	s_xor_b32 s12, s16, -1
	s_delay_alu instid0(SALU_CYCLE_1) | instskip(NEXT) | instid1(SALU_CYCLE_1)
	s_and_b32 s13, s12, vcc_lo
	s_and_saveexec_b32 s12, s13
	s_cbranch_execz .LBB82_665
; %bb.664:
	v_ashrrev_i32_e32 v93, 31, v92
	s_delay_alu instid0(VALU_DEP_1)
	v_lshl_add_u64 v[98:99], v[92:93], 2, v[4:5]
	s_clause 0x1
	global_load_b32 v93, v[98:99], off
	global_load_b32 v97, v[4:5], off offset:124
	s_wait_loadcnt 0x1
	global_store_b32 v[4:5], v93, off offset:124
	s_wait_loadcnt 0x0
	global_store_b32 v[98:99], v97, off
.LBB82_665:
	s_wait_xcnt 0x0
	s_or_b32 exec_lo, exec_lo, s12
	v_dual_mov_b32 v98, v92 :: v_dual_mov_b32 v97, v92
.LBB82_666:
	s_or_b32 exec_lo, exec_lo, s1
.LBB82_667:
	s_and_not1_saveexec_b32 s0, s0
	s_cbranch_execz .LBB82_669
; %bb.668:
	v_dual_mov_b32 v92, v64 :: v_dual_mov_b32 v93, v65
	v_dual_mov_b32 v98, v10 :: v_dual_mov_b32 v99, v11
	ds_store_2addr_b64 v94, v[92:93], v[98:99] offset0:32 offset1:33
	v_dual_mov_b32 v92, v12 :: v_dual_mov_b32 v93, v13
	v_dual_mov_b32 v98, v8 :: v_dual_mov_b32 v99, v9
	ds_store_2addr_b64 v94, v[92:93], v[98:99] offset0:34 offset1:35
	;; [unrolled: 3-line block ×4, first 2 shown]
	v_dual_mov_b32 v92, v24 :: v_dual_mov_b32 v93, v25
	v_mov_b32_e32 v98, 31
	ds_store_2addr_b64 v94, v[92:93], v[88:89] offset0:40 offset1:41
.LBB82_669:
	s_or_b32 exec_lo, exec_lo, s0
	s_delay_alu instid0(SALU_CYCLE_1)
	s_mov_b32 s0, exec_lo
	s_wait_storecnt_dscnt 0x0
	s_barrier_signal -1
	s_barrier_wait -1
	v_cmpx_lt_i32_e32 31, v98
	s_cbranch_execz .LBB82_671
; %bb.670:
	v_pk_mul_f32 v[92:93], v[90:91], v[28:29] op_sel:[1,1] op_sel_hi:[0,1]
	s_delay_alu instid0(VALU_DEP_1)
	v_pk_fma_f32 v[100:101], v[90:91], v[28:29], v[92:93] op_sel_hi:[1,0,1] neg_lo:[0,0,1] neg_hi:[0,0,1]
	v_pk_fma_f32 v[102:103], v[90:91], v[28:29], v[92:93] op_sel_hi:[1,0,1]
	ds_load_2addr_b64 v[90:93], v94 offset0:32 offset1:33
	v_dual_mov_b32 v28, v100 :: v_dual_mov_b32 v29, v103
	s_wait_dscnt 0x0
	v_pk_mul_f32 v[104:105], v[90:91], v[102:103] op_sel:[0,1]
	s_delay_alu instid0(VALU_DEP_1) | instskip(SKIP_1) | instid1(VALU_DEP_1)
	v_pk_fma_f32 v[106:107], v[90:91], v[100:101], v[104:105] op_sel:[0,0,1] op_sel_hi:[1,1,0] neg_lo:[0,0,1] neg_hi:[0,0,1]
	v_pk_fma_f32 v[90:91], v[90:91], v[100:101], v[104:105] op_sel:[0,0,1] op_sel_hi:[1,0,0]
	v_mov_b32_e32 v107, v91
	v_pk_mul_f32 v[90:91], v[92:93], v[102:103] op_sel:[0,1]
	s_delay_alu instid0(VALU_DEP_1) | instskip(SKIP_1) | instid1(VALU_DEP_1)
	v_pk_fma_f32 v[104:105], v[92:93], v[100:101], v[90:91] op_sel:[0,0,1] op_sel_hi:[1,1,0] neg_lo:[0,0,1] neg_hi:[0,0,1]
	v_pk_fma_f32 v[90:91], v[92:93], v[100:101], v[90:91] op_sel:[0,0,1] op_sel_hi:[1,0,0]
	v_mov_b32_e32 v105, v91
	ds_load_2addr_b64 v[90:93], v94 offset0:34 offset1:35
	v_pk_add_f32 v[64:65], v[64:65], v[106:107] neg_lo:[0,1] neg_hi:[0,1]
	v_pk_add_f32 v[10:11], v[10:11], v[104:105] neg_lo:[0,1] neg_hi:[0,1]
	s_wait_dscnt 0x0
	v_pk_mul_f32 v[104:105], v[90:91], v[102:103] op_sel:[0,1]
	s_delay_alu instid0(VALU_DEP_1) | instskip(SKIP_2) | instid1(VALU_DEP_2)
	v_pk_fma_f32 v[106:107], v[90:91], v[100:101], v[104:105] op_sel:[0,0,1] op_sel_hi:[1,1,0] neg_lo:[0,0,1] neg_hi:[0,0,1]
	v_pk_fma_f32 v[90:91], v[90:91], v[100:101], v[104:105] op_sel:[0,0,1] op_sel_hi:[1,0,0]
	v_dual_mul_f32 v104, v93, v103 :: v_dual_mov_b32 v90, v93
	v_dual_mov_b32 v107, v91 :: v_dual_mov_b32 v91, v92
	s_delay_alu instid0(VALU_DEP_2) | instskip(SKIP_1) | instid1(VALU_DEP_3)
	v_pk_fma_f32 v[104:105], v[92:93], v[28:29], v[104:105] op_sel_hi:[1,1,0] neg_lo:[0,0,1] neg_hi:[0,0,1]
	v_mul_f32_e32 v92, v93, v100
	v_pk_add_f32 v[12:13], v[12:13], v[106:107] neg_lo:[0,1] neg_hi:[0,1]
	s_delay_alu instid0(VALU_DEP_2) | instskip(NEXT) | instid1(VALU_DEP_1)
	v_pk_fma_f32 v[90:91], v[90:91], v[28:29], v[92:93] op_sel_hi:[1,1,0]
	v_mov_b32_e32 v105, v91
	ds_load_2addr_b64 v[90:93], v94 offset0:36 offset1:37
	v_pk_add_f32 v[8:9], v[8:9], v[104:105] neg_lo:[0,1] neg_hi:[0,1]
	s_wait_dscnt 0x0
	v_pk_mul_f32 v[104:105], v[90:91], v[102:103] op_sel:[0,1]
	s_delay_alu instid0(VALU_DEP_1) | instskip(SKIP_1) | instid1(VALU_DEP_1)
	v_pk_fma_f32 v[106:107], v[90:91], v[100:101], v[104:105] op_sel:[0,0,1] op_sel_hi:[1,1,0] neg_lo:[0,0,1] neg_hi:[0,0,1]
	v_pk_fma_f32 v[90:91], v[90:91], v[100:101], v[104:105] op_sel:[0,0,1] op_sel_hi:[1,0,0]
	v_mov_b32_e32 v107, v91
	v_pk_mul_f32 v[90:91], v[92:93], v[102:103] op_sel:[0,1]
	s_delay_alu instid0(VALU_DEP_1) | instskip(SKIP_1) | instid1(VALU_DEP_1)
	v_pk_fma_f32 v[104:105], v[92:93], v[100:101], v[90:91] op_sel:[0,0,1] op_sel_hi:[1,1,0] neg_lo:[0,0,1] neg_hi:[0,0,1]
	v_pk_fma_f32 v[90:91], v[92:93], v[100:101], v[90:91] op_sel:[0,0,1] op_sel_hi:[1,0,0]
	v_mov_b32_e32 v105, v91
	ds_load_2addr_b64 v[90:93], v94 offset0:38 offset1:39
	v_pk_add_f32 v[62:63], v[62:63], v[106:107] neg_lo:[0,1] neg_hi:[0,1]
	v_pk_add_f32 v[6:7], v[6:7], v[104:105] neg_lo:[0,1] neg_hi:[0,1]
	s_wait_dscnt 0x0
	v_pk_mul_f32 v[104:105], v[90:91], v[102:103] op_sel:[0,1]
	s_delay_alu instid0(VALU_DEP_1) | instskip(SKIP_1) | instid1(VALU_DEP_1)
	v_pk_fma_f32 v[106:107], v[90:91], v[100:101], v[104:105] op_sel:[0,0,1] op_sel_hi:[1,1,0] neg_lo:[0,0,1] neg_hi:[0,0,1]
	v_pk_fma_f32 v[90:91], v[90:91], v[100:101], v[104:105] op_sel:[0,0,1] op_sel_hi:[1,0,0]
	v_mov_b32_e32 v107, v91
	v_pk_mul_f32 v[90:91], v[92:93], v[102:103] op_sel:[0,1]
	s_delay_alu instid0(VALU_DEP_1) | instskip(SKIP_1) | instid1(VALU_DEP_1)
	v_pk_fma_f32 v[104:105], v[92:93], v[100:101], v[90:91] op_sel:[0,0,1] op_sel_hi:[1,1,0] neg_lo:[0,0,1] neg_hi:[0,0,1]
	v_pk_fma_f32 v[90:91], v[92:93], v[100:101], v[90:91] op_sel:[0,0,1] op_sel_hi:[1,0,0]
	v_mov_b32_e32 v105, v91
	ds_load_2addr_b64 v[90:93], v94 offset0:40 offset1:41
	v_pk_add_f32 v[54:55], v[54:55], v[106:107] neg_lo:[0,1] neg_hi:[0,1]
	v_pk_add_f32 v[40:41], v[40:41], v[104:105] neg_lo:[0,1] neg_hi:[0,1]
	s_wait_dscnt 0x0
	v_dual_mul_f32 v104, v91, v103 :: v_dual_mul_f32 v106, v91, v100
	s_delay_alu instid0(VALU_DEP_1) | instskip(NEXT) | instid1(VALU_DEP_2)
	v_pk_fma_f32 v[104:105], v[90:91], v[28:29], v[104:105] op_sel_hi:[1,1,0] neg_lo:[0,0,1] neg_hi:[0,0,1]
	v_pk_fma_f32 v[90:91], v[90:91], v[28:29], v[106:107] op_sel:[1,0,0] op_sel_hi:[0,1,0]
	s_delay_alu instid0(VALU_DEP_1) | instskip(SKIP_1) | instid1(VALU_DEP_1)
	v_mov_b32_e32 v105, v91
	v_pk_mul_f32 v[90:91], v[92:93], v[102:103] op_sel:[0,1]
	v_pk_fma_f32 v[102:103], v[92:93], v[100:101], v[90:91] op_sel:[0,0,1] op_sel_hi:[1,1,0] neg_lo:[0,0,1] neg_hi:[0,0,1]
	v_pk_fma_f32 v[90:91], v[92:93], v[100:101], v[90:91] op_sel:[0,0,1] op_sel_hi:[1,0,0]
	s_delay_alu instid0(VALU_DEP_1) | instskip(SKIP_1) | instid1(VALU_DEP_2)
	v_mov_b32_e32 v103, v91
	v_pk_add_f32 v[24:25], v[24:25], v[104:105] neg_lo:[0,1] neg_hi:[0,1]
	v_pk_add_f32 v[88:89], v[88:89], v[102:103] neg_lo:[0,1] neg_hi:[0,1]
.LBB82_671:
	s_or_b32 exec_lo, exec_lo, s0
	v_lshl_add_u32 v90, v98, 3, v94
	s_barrier_signal -1
	s_barrier_wait -1
	ds_store_b64 v90, v[64:65]
	s_wait_dscnt 0x0
	s_barrier_signal -1
	s_barrier_wait -1
	ds_load_b64 v[90:91], v94 offset:256
	v_mov_b32_e32 v92, 32
	s_cmp_lt_i32 s18, 34
	s_cbranch_scc1 .LBB82_674
; %bb.672:
	v_add3_u32 v93, v95, 0, 0x108
	v_mov_b32_e32 v92, 32
	s_mov_b32 s0, 33
.LBB82_673:                             ; =>This Inner Loop Header: Depth=1
	ds_load_b64 v[100:101], v93
	s_wait_dscnt 0x1
	v_cmp_gt_f32_e32 vcc_lo, 0, v90
	v_cndmask_b32_e64 v102, v90, -v90, vcc_lo
	v_cmp_gt_f32_e32 vcc_lo, 0, v91
	v_cndmask_b32_e64 v104, v91, -v91, vcc_lo
	s_wait_dscnt 0x0
	v_cmp_gt_f32_e32 vcc_lo, 0, v100
	v_cndmask_b32_e64 v103, v100, -v100, vcc_lo
	v_cmp_gt_f32_e32 vcc_lo, 0, v101
	v_cndmask_b32_e64 v105, v101, -v101, vcc_lo
	s_delay_alu instid0(VALU_DEP_1) | instskip(NEXT) | instid1(VALU_DEP_1)
	v_pk_add_f32 v[102:103], v[102:103], v[104:105]
	v_cmp_lt_f32_e32 vcc_lo, v102, v103
	v_dual_cndmask_b32 v90, v90, v100 :: v_dual_add_nc_u32 v93, 8, v93
	v_cndmask_b32_e32 v91, v91, v101, vcc_lo
	v_cndmask_b32_e64 v92, v92, s0, vcc_lo
	s_add_co_i32 s0, s0, 1
	s_delay_alu instid0(SALU_CYCLE_1)
	s_cmp_lg_u32 s18, s0
	s_cbranch_scc1 .LBB82_673
.LBB82_674:
	s_wait_dscnt 0x0
	v_cmp_eq_f32_e32 vcc_lo, 0, v90
	v_cmp_eq_f32_e64 s0, 0, v91
	s_and_b32 s0, vcc_lo, s0
	s_delay_alu instid0(SALU_CYCLE_1) | instskip(NEXT) | instid1(SALU_CYCLE_1)
	s_and_saveexec_b32 s1, s0
	s_xor_b32 s0, exec_lo, s1
; %bb.675:
	v_cmp_ne_u32_e32 vcc_lo, 0, v96
	v_cndmask_b32_e32 v96, 33, v96, vcc_lo
; %bb.676:
	s_and_not1_saveexec_b32 s0, s0
	s_cbranch_execz .LBB82_682
; %bb.677:
	v_cmp_ngt_f32_e64 s1, |v90|, |v91|
	s_and_saveexec_b32 s12, s1
	s_delay_alu instid0(SALU_CYCLE_1)
	s_xor_b32 s1, exec_lo, s12
	s_cbranch_execz .LBB82_679
; %bb.678:
	v_div_scale_f32 v93, null, v91, v91, v90
	v_div_scale_f32 v101, vcc_lo, v90, v91, v90
	s_delay_alu instid0(VALU_DEP_2) | instskip(SKIP_1) | instid1(TRANS32_DEP_1)
	v_rcp_f32_e32 v99, v93
	v_nop
	v_fma_f32 v100, -v93, v99, 1.0
	s_delay_alu instid0(VALU_DEP_1) | instskip(NEXT) | instid1(VALU_DEP_1)
	v_fmac_f32_e32 v99, v100, v99
	v_mul_f32_e32 v100, v101, v99
	s_delay_alu instid0(VALU_DEP_1) | instskip(NEXT) | instid1(VALU_DEP_1)
	v_fma_f32 v102, -v93, v100, v101
	v_fmac_f32_e32 v100, v102, v99
	s_delay_alu instid0(VALU_DEP_1) | instskip(NEXT) | instid1(VALU_DEP_1)
	v_fma_f32 v93, -v93, v100, v101
	v_div_fmas_f32 v93, v93, v99, v100
	s_delay_alu instid0(VALU_DEP_1) | instskip(NEXT) | instid1(VALU_DEP_1)
	v_div_fixup_f32 v93, v93, v91, v90
	v_fmac_f32_e32 v91, v90, v93
	s_delay_alu instid0(VALU_DEP_1) | instskip(SKIP_1) | instid1(VALU_DEP_2)
	v_div_scale_f32 v90, null, v91, v91, 1.0
	v_div_scale_f32 v101, vcc_lo, 1.0, v91, 1.0
	v_rcp_f32_e32 v99, v90
	v_nop
	s_delay_alu instid0(TRANS32_DEP_1) | instskip(NEXT) | instid1(VALU_DEP_1)
	v_fma_f32 v100, -v90, v99, 1.0
	v_fmac_f32_e32 v99, v100, v99
	s_delay_alu instid0(VALU_DEP_1) | instskip(NEXT) | instid1(VALU_DEP_1)
	v_mul_f32_e32 v100, v101, v99
	v_fma_f32 v102, -v90, v100, v101
	s_delay_alu instid0(VALU_DEP_1) | instskip(NEXT) | instid1(VALU_DEP_1)
	v_fmac_f32_e32 v100, v102, v99
	v_fma_f32 v90, -v90, v100, v101
	s_delay_alu instid0(VALU_DEP_1) | instskip(NEXT) | instid1(VALU_DEP_1)
	v_div_fmas_f32 v90, v90, v99, v100
	v_div_fixup_f32 v91, v90, v91, 1.0
	s_delay_alu instid0(VALU_DEP_1)
	v_mul_f32_e32 v90, v93, v91
	v_xor_b32_e32 v91, 0x80000000, v91
.LBB82_679:
	s_and_not1_saveexec_b32 s1, s1
	s_cbranch_execz .LBB82_681
; %bb.680:
	s_delay_alu instid0(VALU_DEP_1) | instskip(SKIP_1) | instid1(VALU_DEP_2)
	v_div_scale_f32 v93, null, v90, v90, v91
	v_div_scale_f32 v101, vcc_lo, v91, v90, v91
	v_rcp_f32_e32 v99, v93
	v_nop
	s_delay_alu instid0(TRANS32_DEP_1) | instskip(NEXT) | instid1(VALU_DEP_1)
	v_fma_f32 v100, -v93, v99, 1.0
	v_fmac_f32_e32 v99, v100, v99
	s_delay_alu instid0(VALU_DEP_1) | instskip(NEXT) | instid1(VALU_DEP_1)
	v_mul_f32_e32 v100, v101, v99
	v_fma_f32 v102, -v93, v100, v101
	s_delay_alu instid0(VALU_DEP_1) | instskip(NEXT) | instid1(VALU_DEP_1)
	v_fmac_f32_e32 v100, v102, v99
	v_fma_f32 v93, -v93, v100, v101
	s_delay_alu instid0(VALU_DEP_1) | instskip(NEXT) | instid1(VALU_DEP_1)
	v_div_fmas_f32 v93, v93, v99, v100
	v_div_fixup_f32 v93, v93, v90, v91
	s_delay_alu instid0(VALU_DEP_1) | instskip(NEXT) | instid1(VALU_DEP_1)
	v_fmac_f32_e32 v90, v91, v93
	v_div_scale_f32 v91, null, v90, v90, 1.0
	s_delay_alu instid0(VALU_DEP_1) | instskip(SKIP_1) | instid1(TRANS32_DEP_1)
	v_rcp_f32_e32 v99, v91
	v_nop
	v_fma_f32 v100, -v91, v99, 1.0
	s_delay_alu instid0(VALU_DEP_1) | instskip(SKIP_1) | instid1(VALU_DEP_1)
	v_fmac_f32_e32 v99, v100, v99
	v_div_scale_f32 v100, vcc_lo, 1.0, v90, 1.0
	v_mul_f32_e32 v101, v100, v99
	s_delay_alu instid0(VALU_DEP_1) | instskip(NEXT) | instid1(VALU_DEP_1)
	v_fma_f32 v102, -v91, v101, v100
	v_fmac_f32_e32 v101, v102, v99
	s_delay_alu instid0(VALU_DEP_1) | instskip(NEXT) | instid1(VALU_DEP_1)
	v_fma_f32 v91, -v91, v101, v100
	v_div_fmas_f32 v91, v91, v99, v101
	s_delay_alu instid0(VALU_DEP_1) | instskip(NEXT) | instid1(VALU_DEP_1)
	v_div_fixup_f32 v90, v91, v90, 1.0
	v_mul_f32_e64 v91, v93, -v90
.LBB82_681:
	s_or_b32 exec_lo, exec_lo, s1
.LBB82_682:
	s_delay_alu instid0(SALU_CYCLE_1) | instskip(NEXT) | instid1(SALU_CYCLE_1)
	s_or_b32 exec_lo, exec_lo, s0
	s_mov_b32 s0, exec_lo
	v_cmpx_ne_u32_e64 v98, v92
	s_xor_b32 s0, exec_lo, s0
	s_cbranch_execz .LBB82_688
; %bb.683:
	s_mov_b32 s1, exec_lo
	v_cmpx_eq_u32_e32 32, v98
	s_cbranch_execz .LBB82_687
; %bb.684:
	v_cmp_ne_u32_e32 vcc_lo, 32, v92
	s_xor_b32 s12, s16, -1
	s_delay_alu instid0(SALU_CYCLE_1) | instskip(NEXT) | instid1(SALU_CYCLE_1)
	s_and_b32 s13, s12, vcc_lo
	s_and_saveexec_b32 s12, s13
	s_cbranch_execz .LBB82_686
; %bb.685:
	v_ashrrev_i32_e32 v93, 31, v92
	s_delay_alu instid0(VALU_DEP_1)
	v_lshl_add_u64 v[98:99], v[92:93], 2, v[4:5]
	s_clause 0x1
	global_load_b32 v93, v[98:99], off
	global_load_b32 v97, v[4:5], off offset:128
	s_wait_loadcnt 0x1
	global_store_b32 v[4:5], v93, off offset:128
	s_wait_loadcnt 0x0
	global_store_b32 v[98:99], v97, off
.LBB82_686:
	s_wait_xcnt 0x0
	s_or_b32 exec_lo, exec_lo, s12
	v_dual_mov_b32 v98, v92 :: v_dual_mov_b32 v97, v92
.LBB82_687:
	s_or_b32 exec_lo, exec_lo, s1
.LBB82_688:
	s_and_not1_saveexec_b32 s0, s0
	s_cbranch_execz .LBB82_690
; %bb.689:
	v_mov_b32_e32 v98, 32
	ds_store_2addr_b64 v94, v[10:11], v[12:13] offset0:33 offset1:34
	ds_store_2addr_b64 v94, v[8:9], v[62:63] offset0:35 offset1:36
	;; [unrolled: 1-line block ×4, first 2 shown]
	ds_store_b64 v94, v[88:89] offset:328
.LBB82_690:
	s_or_b32 exec_lo, exec_lo, s0
	s_delay_alu instid0(SALU_CYCLE_1)
	s_mov_b32 s0, exec_lo
	s_wait_storecnt_dscnt 0x0
	s_barrier_signal -1
	s_barrier_wait -1
	v_cmpx_lt_i32_e32 32, v98
	s_cbranch_execz .LBB82_692
; %bb.691:
	v_pk_mul_f32 v[92:93], v[90:91], v[64:65] op_sel:[1,1] op_sel_hi:[0,1]
	s_delay_alu instid0(VALU_DEP_1)
	v_pk_fma_f32 v[100:101], v[90:91], v[64:65], v[92:93] op_sel_hi:[1,0,1] neg_lo:[0,0,1] neg_hi:[0,0,1]
	v_pk_fma_f32 v[102:103], v[90:91], v[64:65], v[92:93] op_sel_hi:[1,0,1]
	ds_load_2addr_b64 v[90:93], v94 offset0:33 offset1:34
	v_dual_mov_b32 v64, v100 :: v_dual_mov_b32 v65, v103
	s_wait_dscnt 0x0
	v_pk_mul_f32 v[104:105], v[90:91], v[102:103] op_sel:[0,1]
	s_delay_alu instid0(VALU_DEP_1) | instskip(SKIP_1) | instid1(VALU_DEP_1)
	v_pk_fma_f32 v[106:107], v[90:91], v[100:101], v[104:105] op_sel:[0,0,1] op_sel_hi:[1,1,0] neg_lo:[0,0,1] neg_hi:[0,0,1]
	v_pk_fma_f32 v[90:91], v[90:91], v[100:101], v[104:105] op_sel:[0,0,1] op_sel_hi:[1,0,0]
	v_mov_b32_e32 v107, v91
	v_pk_mul_f32 v[90:91], v[92:93], v[102:103] op_sel:[0,1]
	s_delay_alu instid0(VALU_DEP_1) | instskip(SKIP_1) | instid1(VALU_DEP_1)
	v_pk_fma_f32 v[104:105], v[92:93], v[100:101], v[90:91] op_sel:[0,0,1] op_sel_hi:[1,1,0] neg_lo:[0,0,1] neg_hi:[0,0,1]
	v_pk_fma_f32 v[90:91], v[92:93], v[100:101], v[90:91] op_sel:[0,0,1] op_sel_hi:[1,0,0]
	v_mov_b32_e32 v105, v91
	ds_load_2addr_b64 v[90:93], v94 offset0:35 offset1:36
	v_pk_add_f32 v[10:11], v[10:11], v[106:107] neg_lo:[0,1] neg_hi:[0,1]
	v_pk_add_f32 v[12:13], v[12:13], v[104:105] neg_lo:[0,1] neg_hi:[0,1]
	s_wait_dscnt 0x0
	v_pk_mul_f32 v[104:105], v[90:91], v[102:103] op_sel:[0,1]
	s_delay_alu instid0(VALU_DEP_1) | instskip(SKIP_2) | instid1(VALU_DEP_2)
	v_pk_fma_f32 v[106:107], v[90:91], v[100:101], v[104:105] op_sel:[0,0,1] op_sel_hi:[1,1,0] neg_lo:[0,0,1] neg_hi:[0,0,1]
	v_pk_fma_f32 v[90:91], v[90:91], v[100:101], v[104:105] op_sel:[0,0,1] op_sel_hi:[1,0,0]
	v_dual_mul_f32 v104, v93, v103 :: v_dual_mov_b32 v90, v93
	v_dual_mov_b32 v107, v91 :: v_dual_mov_b32 v91, v92
	s_delay_alu instid0(VALU_DEP_2) | instskip(SKIP_1) | instid1(VALU_DEP_3)
	v_pk_fma_f32 v[104:105], v[92:93], v[64:65], v[104:105] op_sel_hi:[1,1,0] neg_lo:[0,0,1] neg_hi:[0,0,1]
	v_mul_f32_e32 v92, v93, v100
	v_pk_add_f32 v[8:9], v[8:9], v[106:107] neg_lo:[0,1] neg_hi:[0,1]
	s_delay_alu instid0(VALU_DEP_2) | instskip(NEXT) | instid1(VALU_DEP_1)
	v_pk_fma_f32 v[90:91], v[90:91], v[64:65], v[92:93] op_sel_hi:[1,1,0]
	v_mov_b32_e32 v105, v91
	ds_load_2addr_b64 v[90:93], v94 offset0:37 offset1:38
	v_pk_add_f32 v[62:63], v[62:63], v[104:105] neg_lo:[0,1] neg_hi:[0,1]
	s_wait_dscnt 0x0
	v_pk_mul_f32 v[104:105], v[90:91], v[102:103] op_sel:[0,1]
	s_delay_alu instid0(VALU_DEP_1) | instskip(SKIP_1) | instid1(VALU_DEP_1)
	v_pk_fma_f32 v[106:107], v[90:91], v[100:101], v[104:105] op_sel:[0,0,1] op_sel_hi:[1,1,0] neg_lo:[0,0,1] neg_hi:[0,0,1]
	v_pk_fma_f32 v[90:91], v[90:91], v[100:101], v[104:105] op_sel:[0,0,1] op_sel_hi:[1,0,0]
	v_mov_b32_e32 v107, v91
	v_pk_mul_f32 v[90:91], v[92:93], v[102:103] op_sel:[0,1]
	s_delay_alu instid0(VALU_DEP_1) | instskip(SKIP_1) | instid1(VALU_DEP_1)
	v_pk_fma_f32 v[104:105], v[92:93], v[100:101], v[90:91] op_sel:[0,0,1] op_sel_hi:[1,1,0] neg_lo:[0,0,1] neg_hi:[0,0,1]
	v_pk_fma_f32 v[90:91], v[92:93], v[100:101], v[90:91] op_sel:[0,0,1] op_sel_hi:[1,0,0]
	v_mov_b32_e32 v105, v91
	ds_load_2addr_b64 v[90:93], v94 offset0:39 offset1:40
	v_pk_add_f32 v[6:7], v[6:7], v[106:107] neg_lo:[0,1] neg_hi:[0,1]
	v_pk_add_f32 v[54:55], v[54:55], v[104:105] neg_lo:[0,1] neg_hi:[0,1]
	s_wait_dscnt 0x0
	v_pk_mul_f32 v[104:105], v[90:91], v[102:103] op_sel:[0,1]
	s_delay_alu instid0(VALU_DEP_1) | instskip(SKIP_1) | instid1(VALU_DEP_1)
	v_pk_fma_f32 v[106:107], v[90:91], v[100:101], v[104:105] op_sel:[0,0,1] op_sel_hi:[1,1,0] neg_lo:[0,0,1] neg_hi:[0,0,1]
	v_pk_fma_f32 v[90:91], v[90:91], v[100:101], v[104:105] op_sel:[0,0,1] op_sel_hi:[1,0,0]
	v_mov_b32_e32 v107, v91
	v_pk_mul_f32 v[90:91], v[92:93], v[102:103] op_sel:[0,1]
	s_delay_alu instid0(VALU_DEP_1) | instskip(SKIP_1) | instid1(VALU_DEP_1)
	v_pk_fma_f32 v[104:105], v[92:93], v[100:101], v[90:91] op_sel:[0,0,1] op_sel_hi:[1,1,0] neg_lo:[0,0,1] neg_hi:[0,0,1]
	v_pk_fma_f32 v[90:91], v[92:93], v[100:101], v[90:91] op_sel:[0,0,1] op_sel_hi:[1,0,0]
	v_mov_b32_e32 v105, v91
	ds_load_b64 v[90:91], v94 offset:328
	v_pk_add_f32 v[40:41], v[40:41], v[106:107] neg_lo:[0,1] neg_hi:[0,1]
	v_pk_add_f32 v[24:25], v[24:25], v[104:105] neg_lo:[0,1] neg_hi:[0,1]
	s_wait_dscnt 0x0
	v_pk_mul_f32 v[92:93], v[90:91], v[102:103] op_sel:[0,1]
	s_delay_alu instid0(VALU_DEP_1) | instskip(SKIP_1) | instid1(VALU_DEP_1)
	v_pk_fma_f32 v[102:103], v[90:91], v[100:101], v[92:93] op_sel:[0,0,1] op_sel_hi:[1,1,0] neg_lo:[0,0,1] neg_hi:[0,0,1]
	v_pk_fma_f32 v[90:91], v[90:91], v[100:101], v[92:93] op_sel:[0,0,1] op_sel_hi:[1,0,0]
	v_mov_b32_e32 v103, v91
	s_delay_alu instid0(VALU_DEP_1)
	v_pk_add_f32 v[88:89], v[88:89], v[102:103] neg_lo:[0,1] neg_hi:[0,1]
.LBB82_692:
	s_or_b32 exec_lo, exec_lo, s0
	v_lshl_add_u32 v90, v98, 3, v94
	s_barrier_signal -1
	s_barrier_wait -1
	ds_store_b64 v90, v[10:11]
	s_wait_dscnt 0x0
	s_barrier_signal -1
	s_barrier_wait -1
	ds_load_b64 v[90:91], v94 offset:264
	v_mov_b32_e32 v92, 33
	s_cmp_lt_i32 s18, 35
	s_cbranch_scc1 .LBB82_695
; %bb.693:
	v_add3_u32 v93, v95, 0, 0x110
	v_mov_b32_e32 v92, 33
	s_mov_b32 s0, 34
.LBB82_694:                             ; =>This Inner Loop Header: Depth=1
	ds_load_b64 v[100:101], v93
	s_wait_dscnt 0x1
	v_cmp_gt_f32_e32 vcc_lo, 0, v90
	v_cndmask_b32_e64 v102, v90, -v90, vcc_lo
	v_cmp_gt_f32_e32 vcc_lo, 0, v91
	v_cndmask_b32_e64 v104, v91, -v91, vcc_lo
	s_wait_dscnt 0x0
	v_cmp_gt_f32_e32 vcc_lo, 0, v100
	v_cndmask_b32_e64 v103, v100, -v100, vcc_lo
	v_cmp_gt_f32_e32 vcc_lo, 0, v101
	v_cndmask_b32_e64 v105, v101, -v101, vcc_lo
	s_delay_alu instid0(VALU_DEP_1) | instskip(NEXT) | instid1(VALU_DEP_1)
	v_pk_add_f32 v[102:103], v[102:103], v[104:105]
	v_cmp_lt_f32_e32 vcc_lo, v102, v103
	v_dual_cndmask_b32 v90, v90, v100 :: v_dual_add_nc_u32 v93, 8, v93
	v_cndmask_b32_e32 v91, v91, v101, vcc_lo
	v_cndmask_b32_e64 v92, v92, s0, vcc_lo
	s_add_co_i32 s0, s0, 1
	s_delay_alu instid0(SALU_CYCLE_1)
	s_cmp_lg_u32 s18, s0
	s_cbranch_scc1 .LBB82_694
.LBB82_695:
	s_wait_dscnt 0x0
	v_cmp_eq_f32_e32 vcc_lo, 0, v90
	v_cmp_eq_f32_e64 s0, 0, v91
	s_and_b32 s0, vcc_lo, s0
	s_delay_alu instid0(SALU_CYCLE_1) | instskip(NEXT) | instid1(SALU_CYCLE_1)
	s_and_saveexec_b32 s1, s0
	s_xor_b32 s0, exec_lo, s1
; %bb.696:
	v_cmp_ne_u32_e32 vcc_lo, 0, v96
	v_cndmask_b32_e32 v96, 34, v96, vcc_lo
; %bb.697:
	s_and_not1_saveexec_b32 s0, s0
	s_cbranch_execz .LBB82_703
; %bb.698:
	v_cmp_ngt_f32_e64 s1, |v90|, |v91|
	s_and_saveexec_b32 s12, s1
	s_delay_alu instid0(SALU_CYCLE_1)
	s_xor_b32 s1, exec_lo, s12
	s_cbranch_execz .LBB82_700
; %bb.699:
	v_div_scale_f32 v93, null, v91, v91, v90
	v_div_scale_f32 v101, vcc_lo, v90, v91, v90
	s_delay_alu instid0(VALU_DEP_2) | instskip(SKIP_1) | instid1(TRANS32_DEP_1)
	v_rcp_f32_e32 v99, v93
	v_nop
	v_fma_f32 v100, -v93, v99, 1.0
	s_delay_alu instid0(VALU_DEP_1) | instskip(NEXT) | instid1(VALU_DEP_1)
	v_fmac_f32_e32 v99, v100, v99
	v_mul_f32_e32 v100, v101, v99
	s_delay_alu instid0(VALU_DEP_1) | instskip(NEXT) | instid1(VALU_DEP_1)
	v_fma_f32 v102, -v93, v100, v101
	v_fmac_f32_e32 v100, v102, v99
	s_delay_alu instid0(VALU_DEP_1) | instskip(NEXT) | instid1(VALU_DEP_1)
	v_fma_f32 v93, -v93, v100, v101
	v_div_fmas_f32 v93, v93, v99, v100
	s_delay_alu instid0(VALU_DEP_1) | instskip(NEXT) | instid1(VALU_DEP_1)
	v_div_fixup_f32 v93, v93, v91, v90
	v_fmac_f32_e32 v91, v90, v93
	s_delay_alu instid0(VALU_DEP_1) | instskip(SKIP_1) | instid1(VALU_DEP_2)
	v_div_scale_f32 v90, null, v91, v91, 1.0
	v_div_scale_f32 v101, vcc_lo, 1.0, v91, 1.0
	v_rcp_f32_e32 v99, v90
	v_nop
	s_delay_alu instid0(TRANS32_DEP_1) | instskip(NEXT) | instid1(VALU_DEP_1)
	v_fma_f32 v100, -v90, v99, 1.0
	v_fmac_f32_e32 v99, v100, v99
	s_delay_alu instid0(VALU_DEP_1) | instskip(NEXT) | instid1(VALU_DEP_1)
	v_mul_f32_e32 v100, v101, v99
	v_fma_f32 v102, -v90, v100, v101
	s_delay_alu instid0(VALU_DEP_1) | instskip(NEXT) | instid1(VALU_DEP_1)
	v_fmac_f32_e32 v100, v102, v99
	v_fma_f32 v90, -v90, v100, v101
	s_delay_alu instid0(VALU_DEP_1) | instskip(NEXT) | instid1(VALU_DEP_1)
	v_div_fmas_f32 v90, v90, v99, v100
	v_div_fixup_f32 v91, v90, v91, 1.0
	s_delay_alu instid0(VALU_DEP_1)
	v_mul_f32_e32 v90, v93, v91
	v_xor_b32_e32 v91, 0x80000000, v91
.LBB82_700:
	s_and_not1_saveexec_b32 s1, s1
	s_cbranch_execz .LBB82_702
; %bb.701:
	s_delay_alu instid0(VALU_DEP_1) | instskip(SKIP_1) | instid1(VALU_DEP_2)
	v_div_scale_f32 v93, null, v90, v90, v91
	v_div_scale_f32 v101, vcc_lo, v91, v90, v91
	v_rcp_f32_e32 v99, v93
	v_nop
	s_delay_alu instid0(TRANS32_DEP_1) | instskip(NEXT) | instid1(VALU_DEP_1)
	v_fma_f32 v100, -v93, v99, 1.0
	v_fmac_f32_e32 v99, v100, v99
	s_delay_alu instid0(VALU_DEP_1) | instskip(NEXT) | instid1(VALU_DEP_1)
	v_mul_f32_e32 v100, v101, v99
	v_fma_f32 v102, -v93, v100, v101
	s_delay_alu instid0(VALU_DEP_1) | instskip(NEXT) | instid1(VALU_DEP_1)
	v_fmac_f32_e32 v100, v102, v99
	v_fma_f32 v93, -v93, v100, v101
	s_delay_alu instid0(VALU_DEP_1) | instskip(NEXT) | instid1(VALU_DEP_1)
	v_div_fmas_f32 v93, v93, v99, v100
	v_div_fixup_f32 v93, v93, v90, v91
	s_delay_alu instid0(VALU_DEP_1) | instskip(NEXT) | instid1(VALU_DEP_1)
	v_fmac_f32_e32 v90, v91, v93
	v_div_scale_f32 v91, null, v90, v90, 1.0
	s_delay_alu instid0(VALU_DEP_1) | instskip(SKIP_1) | instid1(TRANS32_DEP_1)
	v_rcp_f32_e32 v99, v91
	v_nop
	v_fma_f32 v100, -v91, v99, 1.0
	s_delay_alu instid0(VALU_DEP_1) | instskip(SKIP_1) | instid1(VALU_DEP_1)
	v_fmac_f32_e32 v99, v100, v99
	v_div_scale_f32 v100, vcc_lo, 1.0, v90, 1.0
	v_mul_f32_e32 v101, v100, v99
	s_delay_alu instid0(VALU_DEP_1) | instskip(NEXT) | instid1(VALU_DEP_1)
	v_fma_f32 v102, -v91, v101, v100
	v_fmac_f32_e32 v101, v102, v99
	s_delay_alu instid0(VALU_DEP_1) | instskip(NEXT) | instid1(VALU_DEP_1)
	v_fma_f32 v91, -v91, v101, v100
	v_div_fmas_f32 v91, v91, v99, v101
	s_delay_alu instid0(VALU_DEP_1) | instskip(NEXT) | instid1(VALU_DEP_1)
	v_div_fixup_f32 v90, v91, v90, 1.0
	v_mul_f32_e64 v91, v93, -v90
.LBB82_702:
	s_or_b32 exec_lo, exec_lo, s1
.LBB82_703:
	s_delay_alu instid0(SALU_CYCLE_1) | instskip(NEXT) | instid1(SALU_CYCLE_1)
	s_or_b32 exec_lo, exec_lo, s0
	s_mov_b32 s0, exec_lo
	v_cmpx_ne_u32_e64 v98, v92
	s_xor_b32 s0, exec_lo, s0
	s_cbranch_execz .LBB82_709
; %bb.704:
	s_mov_b32 s1, exec_lo
	v_cmpx_eq_u32_e32 33, v98
	s_cbranch_execz .LBB82_708
; %bb.705:
	v_cmp_ne_u32_e32 vcc_lo, 33, v92
	s_xor_b32 s12, s16, -1
	s_delay_alu instid0(SALU_CYCLE_1) | instskip(NEXT) | instid1(SALU_CYCLE_1)
	s_and_b32 s13, s12, vcc_lo
	s_and_saveexec_b32 s12, s13
	s_cbranch_execz .LBB82_707
; %bb.706:
	v_ashrrev_i32_e32 v93, 31, v92
	s_delay_alu instid0(VALU_DEP_1)
	v_lshl_add_u64 v[98:99], v[92:93], 2, v[4:5]
	s_clause 0x1
	global_load_b32 v93, v[98:99], off
	global_load_b32 v97, v[4:5], off offset:132
	s_wait_loadcnt 0x1
	global_store_b32 v[4:5], v93, off offset:132
	s_wait_loadcnt 0x0
	global_store_b32 v[98:99], v97, off
.LBB82_707:
	s_wait_xcnt 0x0
	s_or_b32 exec_lo, exec_lo, s12
	v_dual_mov_b32 v98, v92 :: v_dual_mov_b32 v97, v92
.LBB82_708:
	s_or_b32 exec_lo, exec_lo, s1
.LBB82_709:
	s_and_not1_saveexec_b32 s0, s0
	s_cbranch_execz .LBB82_711
; %bb.710:
	v_dual_mov_b32 v92, v12 :: v_dual_mov_b32 v93, v13
	v_dual_mov_b32 v100, v8 :: v_dual_mov_b32 v101, v9
	;; [unrolled: 1-line block ×7, first 2 shown]
	v_mov_b32_e32 v111, v25
	ds_store_2addr_b64 v94, v[92:93], v[100:101] offset0:34 offset1:35
	ds_store_2addr_b64 v94, v[102:103], v[104:105] offset0:36 offset1:37
	;; [unrolled: 1-line block ×4, first 2 shown]
.LBB82_711:
	s_or_b32 exec_lo, exec_lo, s0
	s_delay_alu instid0(SALU_CYCLE_1)
	s_mov_b32 s0, exec_lo
	s_wait_storecnt_dscnt 0x0
	s_barrier_signal -1
	s_barrier_wait -1
	v_cmpx_lt_i32_e32 33, v98
	s_cbranch_execz .LBB82_713
; %bb.712:
	v_pk_mul_f32 v[92:93], v[90:91], v[10:11] op_sel:[1,1] op_sel_hi:[0,1]
	s_delay_alu instid0(VALU_DEP_1)
	v_pk_fma_f32 v[100:101], v[90:91], v[10:11], v[92:93] op_sel_hi:[1,0,1] neg_lo:[0,0,1] neg_hi:[0,0,1]
	v_pk_fma_f32 v[102:103], v[90:91], v[10:11], v[92:93] op_sel_hi:[1,0,1]
	ds_load_2addr_b64 v[90:93], v94 offset0:34 offset1:35
	v_dual_mov_b32 v10, v100 :: v_dual_mov_b32 v11, v103
	s_wait_dscnt 0x0
	v_pk_mul_f32 v[104:105], v[90:91], v[102:103] op_sel:[0,1]
	s_delay_alu instid0(VALU_DEP_1) | instskip(SKIP_1) | instid1(VALU_DEP_1)
	v_pk_fma_f32 v[106:107], v[90:91], v[100:101], v[104:105] op_sel:[0,0,1] op_sel_hi:[1,1,0] neg_lo:[0,0,1] neg_hi:[0,0,1]
	v_pk_fma_f32 v[90:91], v[90:91], v[100:101], v[104:105] op_sel:[0,0,1] op_sel_hi:[1,0,0]
	v_mov_b32_e32 v107, v91
	v_pk_mul_f32 v[90:91], v[92:93], v[102:103] op_sel:[0,1]
	s_delay_alu instid0(VALU_DEP_1) | instskip(SKIP_1) | instid1(VALU_DEP_1)
	v_pk_fma_f32 v[104:105], v[92:93], v[100:101], v[90:91] op_sel:[0,0,1] op_sel_hi:[1,1,0] neg_lo:[0,0,1] neg_hi:[0,0,1]
	v_pk_fma_f32 v[90:91], v[92:93], v[100:101], v[90:91] op_sel:[0,0,1] op_sel_hi:[1,0,0]
	v_mov_b32_e32 v105, v91
	ds_load_2addr_b64 v[90:93], v94 offset0:36 offset1:37
	v_pk_add_f32 v[12:13], v[12:13], v[106:107] neg_lo:[0,1] neg_hi:[0,1]
	v_pk_add_f32 v[8:9], v[8:9], v[104:105] neg_lo:[0,1] neg_hi:[0,1]
	s_wait_dscnt 0x0
	v_pk_mul_f32 v[104:105], v[90:91], v[102:103] op_sel:[0,1]
	s_delay_alu instid0(VALU_DEP_1) | instskip(SKIP_2) | instid1(VALU_DEP_2)
	v_pk_fma_f32 v[106:107], v[90:91], v[100:101], v[104:105] op_sel:[0,0,1] op_sel_hi:[1,1,0] neg_lo:[0,0,1] neg_hi:[0,0,1]
	v_pk_fma_f32 v[90:91], v[90:91], v[100:101], v[104:105] op_sel:[0,0,1] op_sel_hi:[1,0,0]
	v_dual_mul_f32 v104, v93, v103 :: v_dual_mov_b32 v90, v93
	v_dual_mov_b32 v107, v91 :: v_dual_mov_b32 v91, v92
	s_delay_alu instid0(VALU_DEP_2) | instskip(SKIP_1) | instid1(VALU_DEP_3)
	v_pk_fma_f32 v[104:105], v[92:93], v[10:11], v[104:105] op_sel_hi:[1,1,0] neg_lo:[0,0,1] neg_hi:[0,0,1]
	v_mul_f32_e32 v92, v93, v100
	v_pk_add_f32 v[62:63], v[62:63], v[106:107] neg_lo:[0,1] neg_hi:[0,1]
	s_delay_alu instid0(VALU_DEP_2) | instskip(NEXT) | instid1(VALU_DEP_1)
	v_pk_fma_f32 v[90:91], v[90:91], v[10:11], v[92:93] op_sel_hi:[1,1,0]
	v_mov_b32_e32 v105, v91
	ds_load_2addr_b64 v[90:93], v94 offset0:38 offset1:39
	v_pk_add_f32 v[6:7], v[6:7], v[104:105] neg_lo:[0,1] neg_hi:[0,1]
	s_wait_dscnt 0x0
	v_pk_mul_f32 v[104:105], v[90:91], v[102:103] op_sel:[0,1]
	s_delay_alu instid0(VALU_DEP_1) | instskip(SKIP_1) | instid1(VALU_DEP_1)
	v_pk_fma_f32 v[106:107], v[90:91], v[100:101], v[104:105] op_sel:[0,0,1] op_sel_hi:[1,1,0] neg_lo:[0,0,1] neg_hi:[0,0,1]
	v_pk_fma_f32 v[90:91], v[90:91], v[100:101], v[104:105] op_sel:[0,0,1] op_sel_hi:[1,0,0]
	v_mov_b32_e32 v107, v91
	v_pk_mul_f32 v[90:91], v[92:93], v[102:103] op_sel:[0,1]
	s_delay_alu instid0(VALU_DEP_1) | instskip(SKIP_1) | instid1(VALU_DEP_1)
	v_pk_fma_f32 v[104:105], v[92:93], v[100:101], v[90:91] op_sel:[0,0,1] op_sel_hi:[1,1,0] neg_lo:[0,0,1] neg_hi:[0,0,1]
	v_pk_fma_f32 v[90:91], v[92:93], v[100:101], v[90:91] op_sel:[0,0,1] op_sel_hi:[1,0,0]
	v_mov_b32_e32 v105, v91
	ds_load_2addr_b64 v[90:93], v94 offset0:40 offset1:41
	v_pk_add_f32 v[54:55], v[54:55], v[106:107] neg_lo:[0,1] neg_hi:[0,1]
	v_pk_add_f32 v[40:41], v[40:41], v[104:105] neg_lo:[0,1] neg_hi:[0,1]
	s_wait_dscnt 0x0
	v_pk_mul_f32 v[104:105], v[90:91], v[102:103] op_sel:[0,1]
	s_delay_alu instid0(VALU_DEP_1) | instskip(SKIP_1) | instid1(VALU_DEP_1)
	v_pk_fma_f32 v[106:107], v[90:91], v[100:101], v[104:105] op_sel:[0,0,1] op_sel_hi:[1,1,0] neg_lo:[0,0,1] neg_hi:[0,0,1]
	v_pk_fma_f32 v[90:91], v[90:91], v[100:101], v[104:105] op_sel:[0,0,1] op_sel_hi:[1,0,0]
	v_mov_b32_e32 v107, v91
	v_pk_mul_f32 v[90:91], v[92:93], v[102:103] op_sel:[0,1]
	s_delay_alu instid0(VALU_DEP_1) | instskip(SKIP_1) | instid1(VALU_DEP_1)
	v_pk_fma_f32 v[102:103], v[92:93], v[100:101], v[90:91] op_sel:[0,0,1] op_sel_hi:[1,1,0] neg_lo:[0,0,1] neg_hi:[0,0,1]
	v_pk_fma_f32 v[90:91], v[92:93], v[100:101], v[90:91] op_sel:[0,0,1] op_sel_hi:[1,0,0]
	v_mov_b32_e32 v103, v91
	v_pk_add_f32 v[24:25], v[24:25], v[106:107] neg_lo:[0,1] neg_hi:[0,1]
	s_delay_alu instid0(VALU_DEP_2)
	v_pk_add_f32 v[88:89], v[88:89], v[102:103] neg_lo:[0,1] neg_hi:[0,1]
.LBB82_713:
	s_or_b32 exec_lo, exec_lo, s0
	v_lshl_add_u32 v90, v98, 3, v94
	s_barrier_signal -1
	s_barrier_wait -1
	ds_store_b64 v90, v[12:13]
	s_wait_dscnt 0x0
	s_barrier_signal -1
	s_barrier_wait -1
	ds_load_b64 v[90:91], v94 offset:272
	v_mov_b32_e32 v92, 34
	s_cmp_lt_i32 s18, 36
	s_cbranch_scc1 .LBB82_716
; %bb.714:
	v_add3_u32 v93, v95, 0, 0x118
	v_mov_b32_e32 v92, 34
	s_mov_b32 s0, 35
.LBB82_715:                             ; =>This Inner Loop Header: Depth=1
	ds_load_b64 v[100:101], v93
	s_wait_dscnt 0x1
	v_cmp_gt_f32_e32 vcc_lo, 0, v90
	v_cndmask_b32_e64 v102, v90, -v90, vcc_lo
	v_cmp_gt_f32_e32 vcc_lo, 0, v91
	v_cndmask_b32_e64 v104, v91, -v91, vcc_lo
	s_wait_dscnt 0x0
	v_cmp_gt_f32_e32 vcc_lo, 0, v100
	v_cndmask_b32_e64 v103, v100, -v100, vcc_lo
	v_cmp_gt_f32_e32 vcc_lo, 0, v101
	v_cndmask_b32_e64 v105, v101, -v101, vcc_lo
	s_delay_alu instid0(VALU_DEP_1) | instskip(NEXT) | instid1(VALU_DEP_1)
	v_pk_add_f32 v[102:103], v[102:103], v[104:105]
	v_cmp_lt_f32_e32 vcc_lo, v102, v103
	v_dual_cndmask_b32 v90, v90, v100 :: v_dual_add_nc_u32 v93, 8, v93
	v_cndmask_b32_e32 v91, v91, v101, vcc_lo
	v_cndmask_b32_e64 v92, v92, s0, vcc_lo
	s_add_co_i32 s0, s0, 1
	s_delay_alu instid0(SALU_CYCLE_1)
	s_cmp_lg_u32 s18, s0
	s_cbranch_scc1 .LBB82_715
.LBB82_716:
	s_wait_dscnt 0x0
	v_cmp_eq_f32_e32 vcc_lo, 0, v90
	v_cmp_eq_f32_e64 s0, 0, v91
	s_and_b32 s0, vcc_lo, s0
	s_delay_alu instid0(SALU_CYCLE_1) | instskip(NEXT) | instid1(SALU_CYCLE_1)
	s_and_saveexec_b32 s1, s0
	s_xor_b32 s0, exec_lo, s1
; %bb.717:
	v_cmp_ne_u32_e32 vcc_lo, 0, v96
	v_cndmask_b32_e32 v96, 35, v96, vcc_lo
; %bb.718:
	s_and_not1_saveexec_b32 s0, s0
	s_cbranch_execz .LBB82_724
; %bb.719:
	v_cmp_ngt_f32_e64 s1, |v90|, |v91|
	s_and_saveexec_b32 s12, s1
	s_delay_alu instid0(SALU_CYCLE_1)
	s_xor_b32 s1, exec_lo, s12
	s_cbranch_execz .LBB82_721
; %bb.720:
	v_div_scale_f32 v93, null, v91, v91, v90
	v_div_scale_f32 v101, vcc_lo, v90, v91, v90
	s_delay_alu instid0(VALU_DEP_2) | instskip(SKIP_1) | instid1(TRANS32_DEP_1)
	v_rcp_f32_e32 v99, v93
	v_nop
	v_fma_f32 v100, -v93, v99, 1.0
	s_delay_alu instid0(VALU_DEP_1) | instskip(NEXT) | instid1(VALU_DEP_1)
	v_fmac_f32_e32 v99, v100, v99
	v_mul_f32_e32 v100, v101, v99
	s_delay_alu instid0(VALU_DEP_1) | instskip(NEXT) | instid1(VALU_DEP_1)
	v_fma_f32 v102, -v93, v100, v101
	v_fmac_f32_e32 v100, v102, v99
	s_delay_alu instid0(VALU_DEP_1) | instskip(NEXT) | instid1(VALU_DEP_1)
	v_fma_f32 v93, -v93, v100, v101
	v_div_fmas_f32 v93, v93, v99, v100
	s_delay_alu instid0(VALU_DEP_1) | instskip(NEXT) | instid1(VALU_DEP_1)
	v_div_fixup_f32 v93, v93, v91, v90
	v_fmac_f32_e32 v91, v90, v93
	s_delay_alu instid0(VALU_DEP_1) | instskip(SKIP_1) | instid1(VALU_DEP_2)
	v_div_scale_f32 v90, null, v91, v91, 1.0
	v_div_scale_f32 v101, vcc_lo, 1.0, v91, 1.0
	v_rcp_f32_e32 v99, v90
	v_nop
	s_delay_alu instid0(TRANS32_DEP_1) | instskip(NEXT) | instid1(VALU_DEP_1)
	v_fma_f32 v100, -v90, v99, 1.0
	v_fmac_f32_e32 v99, v100, v99
	s_delay_alu instid0(VALU_DEP_1) | instskip(NEXT) | instid1(VALU_DEP_1)
	v_mul_f32_e32 v100, v101, v99
	v_fma_f32 v102, -v90, v100, v101
	s_delay_alu instid0(VALU_DEP_1) | instskip(NEXT) | instid1(VALU_DEP_1)
	v_fmac_f32_e32 v100, v102, v99
	v_fma_f32 v90, -v90, v100, v101
	s_delay_alu instid0(VALU_DEP_1) | instskip(NEXT) | instid1(VALU_DEP_1)
	v_div_fmas_f32 v90, v90, v99, v100
	v_div_fixup_f32 v91, v90, v91, 1.0
	s_delay_alu instid0(VALU_DEP_1)
	v_mul_f32_e32 v90, v93, v91
	v_xor_b32_e32 v91, 0x80000000, v91
.LBB82_721:
	s_and_not1_saveexec_b32 s1, s1
	s_cbranch_execz .LBB82_723
; %bb.722:
	s_delay_alu instid0(VALU_DEP_1) | instskip(SKIP_1) | instid1(VALU_DEP_2)
	v_div_scale_f32 v93, null, v90, v90, v91
	v_div_scale_f32 v101, vcc_lo, v91, v90, v91
	v_rcp_f32_e32 v99, v93
	v_nop
	s_delay_alu instid0(TRANS32_DEP_1) | instskip(NEXT) | instid1(VALU_DEP_1)
	v_fma_f32 v100, -v93, v99, 1.0
	v_fmac_f32_e32 v99, v100, v99
	s_delay_alu instid0(VALU_DEP_1) | instskip(NEXT) | instid1(VALU_DEP_1)
	v_mul_f32_e32 v100, v101, v99
	v_fma_f32 v102, -v93, v100, v101
	s_delay_alu instid0(VALU_DEP_1) | instskip(NEXT) | instid1(VALU_DEP_1)
	v_fmac_f32_e32 v100, v102, v99
	v_fma_f32 v93, -v93, v100, v101
	s_delay_alu instid0(VALU_DEP_1) | instskip(NEXT) | instid1(VALU_DEP_1)
	v_div_fmas_f32 v93, v93, v99, v100
	v_div_fixup_f32 v93, v93, v90, v91
	s_delay_alu instid0(VALU_DEP_1) | instskip(NEXT) | instid1(VALU_DEP_1)
	v_fmac_f32_e32 v90, v91, v93
	v_div_scale_f32 v91, null, v90, v90, 1.0
	s_delay_alu instid0(VALU_DEP_1) | instskip(SKIP_1) | instid1(TRANS32_DEP_1)
	v_rcp_f32_e32 v99, v91
	v_nop
	v_fma_f32 v100, -v91, v99, 1.0
	s_delay_alu instid0(VALU_DEP_1) | instskip(SKIP_1) | instid1(VALU_DEP_1)
	v_fmac_f32_e32 v99, v100, v99
	v_div_scale_f32 v100, vcc_lo, 1.0, v90, 1.0
	v_mul_f32_e32 v101, v100, v99
	s_delay_alu instid0(VALU_DEP_1) | instskip(NEXT) | instid1(VALU_DEP_1)
	v_fma_f32 v102, -v91, v101, v100
	v_fmac_f32_e32 v101, v102, v99
	s_delay_alu instid0(VALU_DEP_1) | instskip(NEXT) | instid1(VALU_DEP_1)
	v_fma_f32 v91, -v91, v101, v100
	v_div_fmas_f32 v91, v91, v99, v101
	s_delay_alu instid0(VALU_DEP_1) | instskip(NEXT) | instid1(VALU_DEP_1)
	v_div_fixup_f32 v90, v91, v90, 1.0
	v_mul_f32_e64 v91, v93, -v90
.LBB82_723:
	s_or_b32 exec_lo, exec_lo, s1
.LBB82_724:
	s_delay_alu instid0(SALU_CYCLE_1) | instskip(NEXT) | instid1(SALU_CYCLE_1)
	s_or_b32 exec_lo, exec_lo, s0
	s_mov_b32 s0, exec_lo
	v_cmpx_ne_u32_e64 v98, v92
	s_xor_b32 s0, exec_lo, s0
	s_cbranch_execz .LBB82_730
; %bb.725:
	s_mov_b32 s1, exec_lo
	v_cmpx_eq_u32_e32 34, v98
	s_cbranch_execz .LBB82_729
; %bb.726:
	v_cmp_ne_u32_e32 vcc_lo, 34, v92
	s_xor_b32 s12, s16, -1
	s_delay_alu instid0(SALU_CYCLE_1) | instskip(NEXT) | instid1(SALU_CYCLE_1)
	s_and_b32 s13, s12, vcc_lo
	s_and_saveexec_b32 s12, s13
	s_cbranch_execz .LBB82_728
; %bb.727:
	v_ashrrev_i32_e32 v93, 31, v92
	s_delay_alu instid0(VALU_DEP_1)
	v_lshl_add_u64 v[98:99], v[92:93], 2, v[4:5]
	s_clause 0x1
	global_load_b32 v93, v[98:99], off
	global_load_b32 v97, v[4:5], off offset:136
	s_wait_loadcnt 0x1
	global_store_b32 v[4:5], v93, off offset:136
	s_wait_loadcnt 0x0
	global_store_b32 v[98:99], v97, off
.LBB82_728:
	s_wait_xcnt 0x0
	s_or_b32 exec_lo, exec_lo, s12
	v_dual_mov_b32 v98, v92 :: v_dual_mov_b32 v97, v92
.LBB82_729:
	s_or_b32 exec_lo, exec_lo, s1
.LBB82_730:
	s_and_not1_saveexec_b32 s0, s0
	s_cbranch_execz .LBB82_732
; %bb.731:
	v_mov_b32_e32 v98, 34
	ds_store_2addr_b64 v94, v[8:9], v[62:63] offset0:35 offset1:36
	ds_store_2addr_b64 v94, v[6:7], v[54:55] offset0:37 offset1:38
	ds_store_2addr_b64 v94, v[40:41], v[24:25] offset0:39 offset1:40
	ds_store_b64 v94, v[88:89] offset:328
.LBB82_732:
	s_or_b32 exec_lo, exec_lo, s0
	s_delay_alu instid0(SALU_CYCLE_1)
	s_mov_b32 s0, exec_lo
	s_wait_storecnt_dscnt 0x0
	s_barrier_signal -1
	s_barrier_wait -1
	v_cmpx_lt_i32_e32 34, v98
	s_cbranch_execz .LBB82_734
; %bb.733:
	v_pk_mul_f32 v[92:93], v[90:91], v[12:13] op_sel:[1,1] op_sel_hi:[0,1]
	s_delay_alu instid0(VALU_DEP_1)
	v_pk_fma_f32 v[100:101], v[90:91], v[12:13], v[92:93] op_sel_hi:[1,0,1] neg_lo:[0,0,1] neg_hi:[0,0,1]
	v_pk_fma_f32 v[102:103], v[90:91], v[12:13], v[92:93] op_sel_hi:[1,0,1]
	ds_load_2addr_b64 v[90:93], v94 offset0:35 offset1:36
	v_dual_mov_b32 v12, v100 :: v_dual_mov_b32 v13, v103
	s_wait_dscnt 0x0
	v_pk_mul_f32 v[104:105], v[90:91], v[102:103] op_sel:[0,1]
	s_delay_alu instid0(VALU_DEP_1) | instskip(SKIP_1) | instid1(VALU_DEP_1)
	v_pk_fma_f32 v[106:107], v[90:91], v[100:101], v[104:105] op_sel:[0,0,1] op_sel_hi:[1,1,0] neg_lo:[0,0,1] neg_hi:[0,0,1]
	v_pk_fma_f32 v[90:91], v[90:91], v[100:101], v[104:105] op_sel:[0,0,1] op_sel_hi:[1,0,0]
	v_mov_b32_e32 v107, v91
	v_pk_mul_f32 v[90:91], v[92:93], v[102:103] op_sel:[0,1]
	s_delay_alu instid0(VALU_DEP_1) | instskip(SKIP_1) | instid1(VALU_DEP_1)
	v_pk_fma_f32 v[104:105], v[92:93], v[100:101], v[90:91] op_sel:[0,0,1] op_sel_hi:[1,1,0] neg_lo:[0,0,1] neg_hi:[0,0,1]
	v_pk_fma_f32 v[90:91], v[92:93], v[100:101], v[90:91] op_sel:[0,0,1] op_sel_hi:[1,0,0]
	v_mov_b32_e32 v105, v91
	ds_load_2addr_b64 v[90:93], v94 offset0:37 offset1:38
	v_pk_add_f32 v[8:9], v[8:9], v[106:107] neg_lo:[0,1] neg_hi:[0,1]
	v_pk_add_f32 v[62:63], v[62:63], v[104:105] neg_lo:[0,1] neg_hi:[0,1]
	s_wait_dscnt 0x0
	v_pk_mul_f32 v[104:105], v[90:91], v[102:103] op_sel:[0,1]
	s_delay_alu instid0(VALU_DEP_1) | instskip(SKIP_2) | instid1(VALU_DEP_2)
	v_pk_fma_f32 v[106:107], v[90:91], v[100:101], v[104:105] op_sel:[0,0,1] op_sel_hi:[1,1,0] neg_lo:[0,0,1] neg_hi:[0,0,1]
	v_pk_fma_f32 v[90:91], v[90:91], v[100:101], v[104:105] op_sel:[0,0,1] op_sel_hi:[1,0,0]
	v_dual_mul_f32 v104, v93, v103 :: v_dual_mov_b32 v90, v93
	v_dual_mov_b32 v107, v91 :: v_dual_mov_b32 v91, v92
	s_delay_alu instid0(VALU_DEP_2) | instskip(SKIP_1) | instid1(VALU_DEP_3)
	v_pk_fma_f32 v[104:105], v[92:93], v[12:13], v[104:105] op_sel_hi:[1,1,0] neg_lo:[0,0,1] neg_hi:[0,0,1]
	v_mul_f32_e32 v92, v93, v100
	v_pk_add_f32 v[6:7], v[6:7], v[106:107] neg_lo:[0,1] neg_hi:[0,1]
	s_delay_alu instid0(VALU_DEP_2) | instskip(NEXT) | instid1(VALU_DEP_1)
	v_pk_fma_f32 v[90:91], v[90:91], v[12:13], v[92:93] op_sel_hi:[1,1,0]
	v_mov_b32_e32 v105, v91
	ds_load_2addr_b64 v[90:93], v94 offset0:39 offset1:40
	v_pk_add_f32 v[54:55], v[54:55], v[104:105] neg_lo:[0,1] neg_hi:[0,1]
	s_wait_dscnt 0x0
	v_pk_mul_f32 v[104:105], v[90:91], v[102:103] op_sel:[0,1]
	s_delay_alu instid0(VALU_DEP_1) | instskip(SKIP_1) | instid1(VALU_DEP_1)
	v_pk_fma_f32 v[106:107], v[90:91], v[100:101], v[104:105] op_sel:[0,0,1] op_sel_hi:[1,1,0] neg_lo:[0,0,1] neg_hi:[0,0,1]
	v_pk_fma_f32 v[90:91], v[90:91], v[100:101], v[104:105] op_sel:[0,0,1] op_sel_hi:[1,0,0]
	v_mov_b32_e32 v107, v91
	v_pk_mul_f32 v[90:91], v[92:93], v[102:103] op_sel:[0,1]
	s_delay_alu instid0(VALU_DEP_1) | instskip(SKIP_1) | instid1(VALU_DEP_1)
	v_pk_fma_f32 v[104:105], v[92:93], v[100:101], v[90:91] op_sel:[0,0,1] op_sel_hi:[1,1,0] neg_lo:[0,0,1] neg_hi:[0,0,1]
	v_pk_fma_f32 v[90:91], v[92:93], v[100:101], v[90:91] op_sel:[0,0,1] op_sel_hi:[1,0,0]
	v_mov_b32_e32 v105, v91
	ds_load_b64 v[90:91], v94 offset:328
	v_pk_add_f32 v[40:41], v[40:41], v[106:107] neg_lo:[0,1] neg_hi:[0,1]
	v_pk_add_f32 v[24:25], v[24:25], v[104:105] neg_lo:[0,1] neg_hi:[0,1]
	s_wait_dscnt 0x0
	v_pk_mul_f32 v[92:93], v[90:91], v[102:103] op_sel:[0,1]
	s_delay_alu instid0(VALU_DEP_1) | instskip(SKIP_1) | instid1(VALU_DEP_1)
	v_pk_fma_f32 v[102:103], v[90:91], v[100:101], v[92:93] op_sel:[0,0,1] op_sel_hi:[1,1,0] neg_lo:[0,0,1] neg_hi:[0,0,1]
	v_pk_fma_f32 v[90:91], v[90:91], v[100:101], v[92:93] op_sel:[0,0,1] op_sel_hi:[1,0,0]
	v_mov_b32_e32 v103, v91
	s_delay_alu instid0(VALU_DEP_1)
	v_pk_add_f32 v[88:89], v[88:89], v[102:103] neg_lo:[0,1] neg_hi:[0,1]
.LBB82_734:
	s_or_b32 exec_lo, exec_lo, s0
	v_lshl_add_u32 v90, v98, 3, v94
	s_barrier_signal -1
	s_barrier_wait -1
	ds_store_b64 v90, v[8:9]
	s_wait_dscnt 0x0
	s_barrier_signal -1
	s_barrier_wait -1
	ds_load_b64 v[90:91], v94 offset:280
	v_mov_b32_e32 v92, 35
	s_cmp_lt_i32 s18, 37
	s_cbranch_scc1 .LBB82_737
; %bb.735:
	v_add3_u32 v93, v95, 0, 0x120
	v_mov_b32_e32 v92, 35
	s_mov_b32 s0, 36
.LBB82_736:                             ; =>This Inner Loop Header: Depth=1
	ds_load_b64 v[100:101], v93
	s_wait_dscnt 0x1
	v_cmp_gt_f32_e32 vcc_lo, 0, v90
	v_cndmask_b32_e64 v102, v90, -v90, vcc_lo
	v_cmp_gt_f32_e32 vcc_lo, 0, v91
	v_cndmask_b32_e64 v104, v91, -v91, vcc_lo
	s_wait_dscnt 0x0
	v_cmp_gt_f32_e32 vcc_lo, 0, v100
	v_cndmask_b32_e64 v103, v100, -v100, vcc_lo
	v_cmp_gt_f32_e32 vcc_lo, 0, v101
	v_cndmask_b32_e64 v105, v101, -v101, vcc_lo
	s_delay_alu instid0(VALU_DEP_1) | instskip(NEXT) | instid1(VALU_DEP_1)
	v_pk_add_f32 v[102:103], v[102:103], v[104:105]
	v_cmp_lt_f32_e32 vcc_lo, v102, v103
	v_dual_cndmask_b32 v90, v90, v100 :: v_dual_add_nc_u32 v93, 8, v93
	v_cndmask_b32_e32 v91, v91, v101, vcc_lo
	v_cndmask_b32_e64 v92, v92, s0, vcc_lo
	s_add_co_i32 s0, s0, 1
	s_delay_alu instid0(SALU_CYCLE_1)
	s_cmp_lg_u32 s18, s0
	s_cbranch_scc1 .LBB82_736
.LBB82_737:
	s_wait_dscnt 0x0
	v_cmp_eq_f32_e32 vcc_lo, 0, v90
	v_cmp_eq_f32_e64 s0, 0, v91
	s_and_b32 s0, vcc_lo, s0
	s_delay_alu instid0(SALU_CYCLE_1) | instskip(NEXT) | instid1(SALU_CYCLE_1)
	s_and_saveexec_b32 s1, s0
	s_xor_b32 s0, exec_lo, s1
; %bb.738:
	v_cmp_ne_u32_e32 vcc_lo, 0, v96
	v_cndmask_b32_e32 v96, 36, v96, vcc_lo
; %bb.739:
	s_and_not1_saveexec_b32 s0, s0
	s_cbranch_execz .LBB82_745
; %bb.740:
	v_cmp_ngt_f32_e64 s1, |v90|, |v91|
	s_and_saveexec_b32 s12, s1
	s_delay_alu instid0(SALU_CYCLE_1)
	s_xor_b32 s1, exec_lo, s12
	s_cbranch_execz .LBB82_742
; %bb.741:
	v_div_scale_f32 v93, null, v91, v91, v90
	v_div_scale_f32 v101, vcc_lo, v90, v91, v90
	s_delay_alu instid0(VALU_DEP_2) | instskip(SKIP_1) | instid1(TRANS32_DEP_1)
	v_rcp_f32_e32 v99, v93
	v_nop
	v_fma_f32 v100, -v93, v99, 1.0
	s_delay_alu instid0(VALU_DEP_1) | instskip(NEXT) | instid1(VALU_DEP_1)
	v_fmac_f32_e32 v99, v100, v99
	v_mul_f32_e32 v100, v101, v99
	s_delay_alu instid0(VALU_DEP_1) | instskip(NEXT) | instid1(VALU_DEP_1)
	v_fma_f32 v102, -v93, v100, v101
	v_fmac_f32_e32 v100, v102, v99
	s_delay_alu instid0(VALU_DEP_1) | instskip(NEXT) | instid1(VALU_DEP_1)
	v_fma_f32 v93, -v93, v100, v101
	v_div_fmas_f32 v93, v93, v99, v100
	s_delay_alu instid0(VALU_DEP_1) | instskip(NEXT) | instid1(VALU_DEP_1)
	v_div_fixup_f32 v93, v93, v91, v90
	v_fmac_f32_e32 v91, v90, v93
	s_delay_alu instid0(VALU_DEP_1) | instskip(SKIP_1) | instid1(VALU_DEP_2)
	v_div_scale_f32 v90, null, v91, v91, 1.0
	v_div_scale_f32 v101, vcc_lo, 1.0, v91, 1.0
	v_rcp_f32_e32 v99, v90
	v_nop
	s_delay_alu instid0(TRANS32_DEP_1) | instskip(NEXT) | instid1(VALU_DEP_1)
	v_fma_f32 v100, -v90, v99, 1.0
	v_fmac_f32_e32 v99, v100, v99
	s_delay_alu instid0(VALU_DEP_1) | instskip(NEXT) | instid1(VALU_DEP_1)
	v_mul_f32_e32 v100, v101, v99
	v_fma_f32 v102, -v90, v100, v101
	s_delay_alu instid0(VALU_DEP_1) | instskip(NEXT) | instid1(VALU_DEP_1)
	v_fmac_f32_e32 v100, v102, v99
	v_fma_f32 v90, -v90, v100, v101
	s_delay_alu instid0(VALU_DEP_1) | instskip(NEXT) | instid1(VALU_DEP_1)
	v_div_fmas_f32 v90, v90, v99, v100
	v_div_fixup_f32 v91, v90, v91, 1.0
	s_delay_alu instid0(VALU_DEP_1)
	v_mul_f32_e32 v90, v93, v91
	v_xor_b32_e32 v91, 0x80000000, v91
.LBB82_742:
	s_and_not1_saveexec_b32 s1, s1
	s_cbranch_execz .LBB82_744
; %bb.743:
	s_delay_alu instid0(VALU_DEP_1) | instskip(SKIP_1) | instid1(VALU_DEP_2)
	v_div_scale_f32 v93, null, v90, v90, v91
	v_div_scale_f32 v101, vcc_lo, v91, v90, v91
	v_rcp_f32_e32 v99, v93
	v_nop
	s_delay_alu instid0(TRANS32_DEP_1) | instskip(NEXT) | instid1(VALU_DEP_1)
	v_fma_f32 v100, -v93, v99, 1.0
	v_fmac_f32_e32 v99, v100, v99
	s_delay_alu instid0(VALU_DEP_1) | instskip(NEXT) | instid1(VALU_DEP_1)
	v_mul_f32_e32 v100, v101, v99
	v_fma_f32 v102, -v93, v100, v101
	s_delay_alu instid0(VALU_DEP_1) | instskip(NEXT) | instid1(VALU_DEP_1)
	v_fmac_f32_e32 v100, v102, v99
	v_fma_f32 v93, -v93, v100, v101
	s_delay_alu instid0(VALU_DEP_1) | instskip(NEXT) | instid1(VALU_DEP_1)
	v_div_fmas_f32 v93, v93, v99, v100
	v_div_fixup_f32 v93, v93, v90, v91
	s_delay_alu instid0(VALU_DEP_1) | instskip(NEXT) | instid1(VALU_DEP_1)
	v_fmac_f32_e32 v90, v91, v93
	v_div_scale_f32 v91, null, v90, v90, 1.0
	s_delay_alu instid0(VALU_DEP_1) | instskip(SKIP_1) | instid1(TRANS32_DEP_1)
	v_rcp_f32_e32 v99, v91
	v_nop
	v_fma_f32 v100, -v91, v99, 1.0
	s_delay_alu instid0(VALU_DEP_1) | instskip(SKIP_1) | instid1(VALU_DEP_1)
	v_fmac_f32_e32 v99, v100, v99
	v_div_scale_f32 v100, vcc_lo, 1.0, v90, 1.0
	v_mul_f32_e32 v101, v100, v99
	s_delay_alu instid0(VALU_DEP_1) | instskip(NEXT) | instid1(VALU_DEP_1)
	v_fma_f32 v102, -v91, v101, v100
	v_fmac_f32_e32 v101, v102, v99
	s_delay_alu instid0(VALU_DEP_1) | instskip(NEXT) | instid1(VALU_DEP_1)
	v_fma_f32 v91, -v91, v101, v100
	v_div_fmas_f32 v91, v91, v99, v101
	s_delay_alu instid0(VALU_DEP_1) | instskip(NEXT) | instid1(VALU_DEP_1)
	v_div_fixup_f32 v90, v91, v90, 1.0
	v_mul_f32_e64 v91, v93, -v90
.LBB82_744:
	s_or_b32 exec_lo, exec_lo, s1
.LBB82_745:
	s_delay_alu instid0(SALU_CYCLE_1) | instskip(NEXT) | instid1(SALU_CYCLE_1)
	s_or_b32 exec_lo, exec_lo, s0
	s_mov_b32 s0, exec_lo
	v_cmpx_ne_u32_e64 v98, v92
	s_xor_b32 s0, exec_lo, s0
	s_cbranch_execz .LBB82_751
; %bb.746:
	s_mov_b32 s1, exec_lo
	v_cmpx_eq_u32_e32 35, v98
	s_cbranch_execz .LBB82_750
; %bb.747:
	v_cmp_ne_u32_e32 vcc_lo, 35, v92
	s_xor_b32 s12, s16, -1
	s_delay_alu instid0(SALU_CYCLE_1) | instskip(NEXT) | instid1(SALU_CYCLE_1)
	s_and_b32 s13, s12, vcc_lo
	s_and_saveexec_b32 s12, s13
	s_cbranch_execz .LBB82_749
; %bb.748:
	v_ashrrev_i32_e32 v93, 31, v92
	s_delay_alu instid0(VALU_DEP_1)
	v_lshl_add_u64 v[98:99], v[92:93], 2, v[4:5]
	s_clause 0x1
	global_load_b32 v93, v[98:99], off
	global_load_b32 v97, v[4:5], off offset:140
	s_wait_loadcnt 0x1
	global_store_b32 v[4:5], v93, off offset:140
	s_wait_loadcnt 0x0
	global_store_b32 v[98:99], v97, off
.LBB82_749:
	s_wait_xcnt 0x0
	s_or_b32 exec_lo, exec_lo, s12
	v_dual_mov_b32 v98, v92 :: v_dual_mov_b32 v97, v92
.LBB82_750:
	s_or_b32 exec_lo, exec_lo, s1
.LBB82_751:
	s_and_not1_saveexec_b32 s0, s0
	s_cbranch_execz .LBB82_753
; %bb.752:
	v_dual_mov_b32 v92, v62 :: v_dual_mov_b32 v93, v63
	v_dual_mov_b32 v100, v6 :: v_dual_mov_b32 v101, v7
	;; [unrolled: 1-line block ×5, first 2 shown]
	v_mov_b32_e32 v107, v25
	ds_store_2addr_b64 v94, v[92:93], v[100:101] offset0:36 offset1:37
	ds_store_2addr_b64 v94, v[102:103], v[104:105] offset0:38 offset1:39
	;; [unrolled: 1-line block ×3, first 2 shown]
.LBB82_753:
	s_or_b32 exec_lo, exec_lo, s0
	s_delay_alu instid0(SALU_CYCLE_1)
	s_mov_b32 s0, exec_lo
	s_wait_storecnt_dscnt 0x0
	s_barrier_signal -1
	s_barrier_wait -1
	v_cmpx_lt_i32_e32 35, v98
	s_cbranch_execz .LBB82_755
; %bb.754:
	v_pk_mul_f32 v[92:93], v[90:91], v[8:9] op_sel:[1,1] op_sel_hi:[0,1]
	s_delay_alu instid0(VALU_DEP_1)
	v_pk_fma_f32 v[100:101], v[90:91], v[8:9], v[92:93] op_sel_hi:[1,0,1] neg_lo:[0,0,1] neg_hi:[0,0,1]
	v_pk_fma_f32 v[102:103], v[90:91], v[8:9], v[92:93] op_sel_hi:[1,0,1]
	ds_load_2addr_b64 v[90:93], v94 offset0:36 offset1:37
	v_dual_mov_b32 v8, v100 :: v_dual_mov_b32 v9, v103
	s_wait_dscnt 0x0
	v_pk_mul_f32 v[104:105], v[90:91], v[102:103] op_sel:[0,1]
	s_delay_alu instid0(VALU_DEP_1) | instskip(SKIP_1) | instid1(VALU_DEP_1)
	v_pk_fma_f32 v[106:107], v[90:91], v[100:101], v[104:105] op_sel:[0,0,1] op_sel_hi:[1,1,0] neg_lo:[0,0,1] neg_hi:[0,0,1]
	v_pk_fma_f32 v[90:91], v[90:91], v[100:101], v[104:105] op_sel:[0,0,1] op_sel_hi:[1,0,0]
	v_mov_b32_e32 v107, v91
	v_pk_mul_f32 v[90:91], v[92:93], v[102:103] op_sel:[0,1]
	s_delay_alu instid0(VALU_DEP_1) | instskip(SKIP_1) | instid1(VALU_DEP_1)
	v_pk_fma_f32 v[104:105], v[92:93], v[100:101], v[90:91] op_sel:[0,0,1] op_sel_hi:[1,1,0] neg_lo:[0,0,1] neg_hi:[0,0,1]
	v_pk_fma_f32 v[90:91], v[92:93], v[100:101], v[90:91] op_sel:[0,0,1] op_sel_hi:[1,0,0]
	v_mov_b32_e32 v105, v91
	ds_load_2addr_b64 v[90:93], v94 offset0:38 offset1:39
	v_pk_add_f32 v[62:63], v[62:63], v[106:107] neg_lo:[0,1] neg_hi:[0,1]
	v_pk_add_f32 v[6:7], v[6:7], v[104:105] neg_lo:[0,1] neg_hi:[0,1]
	s_wait_dscnt 0x0
	v_pk_mul_f32 v[104:105], v[90:91], v[102:103] op_sel:[0,1]
	s_delay_alu instid0(VALU_DEP_1) | instskip(SKIP_2) | instid1(VALU_DEP_2)
	v_pk_fma_f32 v[106:107], v[90:91], v[100:101], v[104:105] op_sel:[0,0,1] op_sel_hi:[1,1,0] neg_lo:[0,0,1] neg_hi:[0,0,1]
	v_pk_fma_f32 v[90:91], v[90:91], v[100:101], v[104:105] op_sel:[0,0,1] op_sel_hi:[1,0,0]
	v_dual_mul_f32 v104, v93, v103 :: v_dual_mov_b32 v90, v93
	v_dual_mov_b32 v107, v91 :: v_dual_mov_b32 v91, v92
	s_delay_alu instid0(VALU_DEP_2) | instskip(SKIP_1) | instid1(VALU_DEP_3)
	v_pk_fma_f32 v[104:105], v[92:93], v[8:9], v[104:105] op_sel_hi:[1,1,0] neg_lo:[0,0,1] neg_hi:[0,0,1]
	v_mul_f32_e32 v92, v93, v100
	v_pk_add_f32 v[54:55], v[54:55], v[106:107] neg_lo:[0,1] neg_hi:[0,1]
	s_delay_alu instid0(VALU_DEP_2) | instskip(NEXT) | instid1(VALU_DEP_1)
	v_pk_fma_f32 v[90:91], v[90:91], v[8:9], v[92:93] op_sel_hi:[1,1,0]
	v_mov_b32_e32 v105, v91
	ds_load_2addr_b64 v[90:93], v94 offset0:40 offset1:41
	v_pk_add_f32 v[40:41], v[40:41], v[104:105] neg_lo:[0,1] neg_hi:[0,1]
	s_wait_dscnt 0x0
	v_pk_mul_f32 v[104:105], v[90:91], v[102:103] op_sel:[0,1]
	v_mul_f32_e32 v102, v93, v103
	s_delay_alu instid0(VALU_DEP_2) | instskip(SKIP_2) | instid1(VALU_DEP_4)
	v_pk_fma_f32 v[106:107], v[90:91], v[100:101], v[104:105] op_sel:[0,0,1] op_sel_hi:[1,1,0] neg_lo:[0,0,1] neg_hi:[0,0,1]
	v_pk_fma_f32 v[90:91], v[90:91], v[100:101], v[104:105] op_sel:[0,0,1] op_sel_hi:[1,0,0]
	v_mov_b32_e32 v90, v93
	v_pk_fma_f32 v[102:103], v[92:93], v[8:9], v[102:103] op_sel_hi:[1,1,0] neg_lo:[0,0,1] neg_hi:[0,0,1]
	s_delay_alu instid0(VALU_DEP_3) | instskip(SKIP_1) | instid1(VALU_DEP_2)
	v_dual_mov_b32 v107, v91 :: v_dual_mov_b32 v91, v92
	v_mul_f32_e32 v92, v93, v100
	v_pk_add_f32 v[24:25], v[24:25], v[106:107] neg_lo:[0,1] neg_hi:[0,1]
	s_delay_alu instid0(VALU_DEP_2) | instskip(NEXT) | instid1(VALU_DEP_1)
	v_pk_fma_f32 v[90:91], v[90:91], v[8:9], v[92:93] op_sel_hi:[1,1,0]
	v_mov_b32_e32 v103, v91
	s_delay_alu instid0(VALU_DEP_1)
	v_pk_add_f32 v[88:89], v[88:89], v[102:103] neg_lo:[0,1] neg_hi:[0,1]
.LBB82_755:
	s_or_b32 exec_lo, exec_lo, s0
	v_lshl_add_u32 v90, v98, 3, v94
	s_barrier_signal -1
	s_barrier_wait -1
	ds_store_b64 v90, v[62:63]
	s_wait_dscnt 0x0
	s_barrier_signal -1
	s_barrier_wait -1
	ds_load_b64 v[90:91], v94 offset:288
	v_mov_b32_e32 v92, 36
	s_cmp_lt_i32 s18, 38
	s_cbranch_scc1 .LBB82_758
; %bb.756:
	v_add3_u32 v93, v95, 0, 0x128
	v_mov_b32_e32 v92, 36
	s_mov_b32 s0, 37
.LBB82_757:                             ; =>This Inner Loop Header: Depth=1
	ds_load_b64 v[100:101], v93
	s_wait_dscnt 0x1
	v_cmp_gt_f32_e32 vcc_lo, 0, v90
	v_cndmask_b32_e64 v102, v90, -v90, vcc_lo
	v_cmp_gt_f32_e32 vcc_lo, 0, v91
	v_cndmask_b32_e64 v104, v91, -v91, vcc_lo
	s_wait_dscnt 0x0
	v_cmp_gt_f32_e32 vcc_lo, 0, v100
	v_cndmask_b32_e64 v103, v100, -v100, vcc_lo
	v_cmp_gt_f32_e32 vcc_lo, 0, v101
	v_cndmask_b32_e64 v105, v101, -v101, vcc_lo
	s_delay_alu instid0(VALU_DEP_1) | instskip(NEXT) | instid1(VALU_DEP_1)
	v_pk_add_f32 v[102:103], v[102:103], v[104:105]
	v_cmp_lt_f32_e32 vcc_lo, v102, v103
	v_dual_cndmask_b32 v90, v90, v100 :: v_dual_add_nc_u32 v93, 8, v93
	v_cndmask_b32_e32 v91, v91, v101, vcc_lo
	v_cndmask_b32_e64 v92, v92, s0, vcc_lo
	s_add_co_i32 s0, s0, 1
	s_delay_alu instid0(SALU_CYCLE_1)
	s_cmp_lg_u32 s18, s0
	s_cbranch_scc1 .LBB82_757
.LBB82_758:
	s_wait_dscnt 0x0
	v_cmp_eq_f32_e32 vcc_lo, 0, v90
	v_cmp_eq_f32_e64 s0, 0, v91
	s_and_b32 s0, vcc_lo, s0
	s_delay_alu instid0(SALU_CYCLE_1) | instskip(NEXT) | instid1(SALU_CYCLE_1)
	s_and_saveexec_b32 s1, s0
	s_xor_b32 s0, exec_lo, s1
; %bb.759:
	v_cmp_ne_u32_e32 vcc_lo, 0, v96
	v_cndmask_b32_e32 v96, 37, v96, vcc_lo
; %bb.760:
	s_and_not1_saveexec_b32 s0, s0
	s_cbranch_execz .LBB82_766
; %bb.761:
	v_cmp_ngt_f32_e64 s1, |v90|, |v91|
	s_and_saveexec_b32 s12, s1
	s_delay_alu instid0(SALU_CYCLE_1)
	s_xor_b32 s1, exec_lo, s12
	s_cbranch_execz .LBB82_763
; %bb.762:
	v_div_scale_f32 v93, null, v91, v91, v90
	v_div_scale_f32 v101, vcc_lo, v90, v91, v90
	s_delay_alu instid0(VALU_DEP_2) | instskip(SKIP_1) | instid1(TRANS32_DEP_1)
	v_rcp_f32_e32 v99, v93
	v_nop
	v_fma_f32 v100, -v93, v99, 1.0
	s_delay_alu instid0(VALU_DEP_1) | instskip(NEXT) | instid1(VALU_DEP_1)
	v_fmac_f32_e32 v99, v100, v99
	v_mul_f32_e32 v100, v101, v99
	s_delay_alu instid0(VALU_DEP_1) | instskip(NEXT) | instid1(VALU_DEP_1)
	v_fma_f32 v102, -v93, v100, v101
	v_fmac_f32_e32 v100, v102, v99
	s_delay_alu instid0(VALU_DEP_1) | instskip(NEXT) | instid1(VALU_DEP_1)
	v_fma_f32 v93, -v93, v100, v101
	v_div_fmas_f32 v93, v93, v99, v100
	s_delay_alu instid0(VALU_DEP_1) | instskip(NEXT) | instid1(VALU_DEP_1)
	v_div_fixup_f32 v93, v93, v91, v90
	v_fmac_f32_e32 v91, v90, v93
	s_delay_alu instid0(VALU_DEP_1) | instskip(SKIP_1) | instid1(VALU_DEP_2)
	v_div_scale_f32 v90, null, v91, v91, 1.0
	v_div_scale_f32 v101, vcc_lo, 1.0, v91, 1.0
	v_rcp_f32_e32 v99, v90
	v_nop
	s_delay_alu instid0(TRANS32_DEP_1) | instskip(NEXT) | instid1(VALU_DEP_1)
	v_fma_f32 v100, -v90, v99, 1.0
	v_fmac_f32_e32 v99, v100, v99
	s_delay_alu instid0(VALU_DEP_1) | instskip(NEXT) | instid1(VALU_DEP_1)
	v_mul_f32_e32 v100, v101, v99
	v_fma_f32 v102, -v90, v100, v101
	s_delay_alu instid0(VALU_DEP_1) | instskip(NEXT) | instid1(VALU_DEP_1)
	v_fmac_f32_e32 v100, v102, v99
	v_fma_f32 v90, -v90, v100, v101
	s_delay_alu instid0(VALU_DEP_1) | instskip(NEXT) | instid1(VALU_DEP_1)
	v_div_fmas_f32 v90, v90, v99, v100
	v_div_fixup_f32 v91, v90, v91, 1.0
	s_delay_alu instid0(VALU_DEP_1)
	v_mul_f32_e32 v90, v93, v91
	v_xor_b32_e32 v91, 0x80000000, v91
.LBB82_763:
	s_and_not1_saveexec_b32 s1, s1
	s_cbranch_execz .LBB82_765
; %bb.764:
	s_delay_alu instid0(VALU_DEP_1) | instskip(SKIP_1) | instid1(VALU_DEP_2)
	v_div_scale_f32 v93, null, v90, v90, v91
	v_div_scale_f32 v101, vcc_lo, v91, v90, v91
	v_rcp_f32_e32 v99, v93
	v_nop
	s_delay_alu instid0(TRANS32_DEP_1) | instskip(NEXT) | instid1(VALU_DEP_1)
	v_fma_f32 v100, -v93, v99, 1.0
	v_fmac_f32_e32 v99, v100, v99
	s_delay_alu instid0(VALU_DEP_1) | instskip(NEXT) | instid1(VALU_DEP_1)
	v_mul_f32_e32 v100, v101, v99
	v_fma_f32 v102, -v93, v100, v101
	s_delay_alu instid0(VALU_DEP_1) | instskip(NEXT) | instid1(VALU_DEP_1)
	v_fmac_f32_e32 v100, v102, v99
	v_fma_f32 v93, -v93, v100, v101
	s_delay_alu instid0(VALU_DEP_1) | instskip(NEXT) | instid1(VALU_DEP_1)
	v_div_fmas_f32 v93, v93, v99, v100
	v_div_fixup_f32 v93, v93, v90, v91
	s_delay_alu instid0(VALU_DEP_1) | instskip(NEXT) | instid1(VALU_DEP_1)
	v_fmac_f32_e32 v90, v91, v93
	v_div_scale_f32 v91, null, v90, v90, 1.0
	s_delay_alu instid0(VALU_DEP_1) | instskip(SKIP_1) | instid1(TRANS32_DEP_1)
	v_rcp_f32_e32 v99, v91
	v_nop
	v_fma_f32 v100, -v91, v99, 1.0
	s_delay_alu instid0(VALU_DEP_1) | instskip(SKIP_1) | instid1(VALU_DEP_1)
	v_fmac_f32_e32 v99, v100, v99
	v_div_scale_f32 v100, vcc_lo, 1.0, v90, 1.0
	v_mul_f32_e32 v101, v100, v99
	s_delay_alu instid0(VALU_DEP_1) | instskip(NEXT) | instid1(VALU_DEP_1)
	v_fma_f32 v102, -v91, v101, v100
	v_fmac_f32_e32 v101, v102, v99
	s_delay_alu instid0(VALU_DEP_1) | instskip(NEXT) | instid1(VALU_DEP_1)
	v_fma_f32 v91, -v91, v101, v100
	v_div_fmas_f32 v91, v91, v99, v101
	s_delay_alu instid0(VALU_DEP_1) | instskip(NEXT) | instid1(VALU_DEP_1)
	v_div_fixup_f32 v90, v91, v90, 1.0
	v_mul_f32_e64 v91, v93, -v90
.LBB82_765:
	s_or_b32 exec_lo, exec_lo, s1
.LBB82_766:
	s_delay_alu instid0(SALU_CYCLE_1) | instskip(NEXT) | instid1(SALU_CYCLE_1)
	s_or_b32 exec_lo, exec_lo, s0
	s_mov_b32 s0, exec_lo
	v_cmpx_ne_u32_e64 v98, v92
	s_xor_b32 s0, exec_lo, s0
	s_cbranch_execz .LBB82_772
; %bb.767:
	s_mov_b32 s1, exec_lo
	v_cmpx_eq_u32_e32 36, v98
	s_cbranch_execz .LBB82_771
; %bb.768:
	v_cmp_ne_u32_e32 vcc_lo, 36, v92
	s_xor_b32 s12, s16, -1
	s_delay_alu instid0(SALU_CYCLE_1) | instskip(NEXT) | instid1(SALU_CYCLE_1)
	s_and_b32 s13, s12, vcc_lo
	s_and_saveexec_b32 s12, s13
	s_cbranch_execz .LBB82_770
; %bb.769:
	v_ashrrev_i32_e32 v93, 31, v92
	s_delay_alu instid0(VALU_DEP_1)
	v_lshl_add_u64 v[98:99], v[92:93], 2, v[4:5]
	s_clause 0x1
	global_load_b32 v93, v[98:99], off
	global_load_b32 v97, v[4:5], off offset:144
	s_wait_loadcnt 0x1
	global_store_b32 v[4:5], v93, off offset:144
	s_wait_loadcnt 0x0
	global_store_b32 v[98:99], v97, off
.LBB82_770:
	s_wait_xcnt 0x0
	s_or_b32 exec_lo, exec_lo, s12
	v_dual_mov_b32 v98, v92 :: v_dual_mov_b32 v97, v92
.LBB82_771:
	s_or_b32 exec_lo, exec_lo, s1
.LBB82_772:
	s_and_not1_saveexec_b32 s0, s0
	s_cbranch_execz .LBB82_774
; %bb.773:
	v_mov_b32_e32 v98, 36
	ds_store_2addr_b64 v94, v[6:7], v[54:55] offset0:37 offset1:38
	ds_store_2addr_b64 v94, v[40:41], v[24:25] offset0:39 offset1:40
	ds_store_b64 v94, v[88:89] offset:328
.LBB82_774:
	s_or_b32 exec_lo, exec_lo, s0
	s_delay_alu instid0(SALU_CYCLE_1)
	s_mov_b32 s0, exec_lo
	s_wait_storecnt_dscnt 0x0
	s_barrier_signal -1
	s_barrier_wait -1
	v_cmpx_lt_i32_e32 36, v98
	s_cbranch_execz .LBB82_776
; %bb.775:
	v_pk_mul_f32 v[92:93], v[90:91], v[62:63] op_sel:[1,1] op_sel_hi:[0,1]
	s_delay_alu instid0(VALU_DEP_1)
	v_pk_fma_f32 v[100:101], v[90:91], v[62:63], v[92:93] op_sel_hi:[1,0,1] neg_lo:[0,0,1] neg_hi:[0,0,1]
	v_pk_fma_f32 v[102:103], v[90:91], v[62:63], v[92:93] op_sel_hi:[1,0,1]
	ds_load_2addr_b64 v[90:93], v94 offset0:37 offset1:38
	v_dual_mov_b32 v62, v100 :: v_dual_mov_b32 v63, v103
	s_wait_dscnt 0x0
	v_pk_mul_f32 v[104:105], v[90:91], v[102:103] op_sel:[0,1]
	s_delay_alu instid0(VALU_DEP_1) | instskip(SKIP_1) | instid1(VALU_DEP_1)
	v_pk_fma_f32 v[106:107], v[90:91], v[100:101], v[104:105] op_sel:[0,0,1] op_sel_hi:[1,1,0] neg_lo:[0,0,1] neg_hi:[0,0,1]
	v_pk_fma_f32 v[90:91], v[90:91], v[100:101], v[104:105] op_sel:[0,0,1] op_sel_hi:[1,0,0]
	v_mov_b32_e32 v107, v91
	v_pk_mul_f32 v[90:91], v[92:93], v[102:103] op_sel:[0,1]
	s_delay_alu instid0(VALU_DEP_1) | instskip(SKIP_1) | instid1(VALU_DEP_1)
	v_pk_fma_f32 v[104:105], v[92:93], v[100:101], v[90:91] op_sel:[0,0,1] op_sel_hi:[1,1,0] neg_lo:[0,0,1] neg_hi:[0,0,1]
	v_pk_fma_f32 v[90:91], v[92:93], v[100:101], v[90:91] op_sel:[0,0,1] op_sel_hi:[1,0,0]
	v_mov_b32_e32 v105, v91
	ds_load_2addr_b64 v[90:93], v94 offset0:39 offset1:40
	v_pk_add_f32 v[6:7], v[6:7], v[106:107] neg_lo:[0,1] neg_hi:[0,1]
	v_pk_add_f32 v[54:55], v[54:55], v[104:105] neg_lo:[0,1] neg_hi:[0,1]
	s_wait_dscnt 0x0
	v_pk_mul_f32 v[104:105], v[90:91], v[102:103] op_sel:[0,1]
	s_delay_alu instid0(VALU_DEP_1) | instskip(SKIP_2) | instid1(VALU_DEP_2)
	v_pk_fma_f32 v[106:107], v[90:91], v[100:101], v[104:105] op_sel:[0,0,1] op_sel_hi:[1,1,0] neg_lo:[0,0,1] neg_hi:[0,0,1]
	v_pk_fma_f32 v[90:91], v[90:91], v[100:101], v[104:105] op_sel:[0,0,1] op_sel_hi:[1,0,0]
	v_dual_mul_f32 v104, v93, v103 :: v_dual_mov_b32 v90, v93
	v_dual_mov_b32 v107, v91 :: v_dual_mov_b32 v91, v92
	s_delay_alu instid0(VALU_DEP_2) | instskip(SKIP_1) | instid1(VALU_DEP_3)
	v_pk_fma_f32 v[104:105], v[92:93], v[62:63], v[104:105] op_sel_hi:[1,1,0] neg_lo:[0,0,1] neg_hi:[0,0,1]
	v_mul_f32_e32 v92, v93, v100
	v_pk_add_f32 v[40:41], v[40:41], v[106:107] neg_lo:[0,1] neg_hi:[0,1]
	s_delay_alu instid0(VALU_DEP_2) | instskip(NEXT) | instid1(VALU_DEP_1)
	v_pk_fma_f32 v[90:91], v[90:91], v[62:63], v[92:93] op_sel_hi:[1,1,0]
	v_mov_b32_e32 v105, v91
	ds_load_b64 v[90:91], v94 offset:328
	v_pk_add_f32 v[24:25], v[24:25], v[104:105] neg_lo:[0,1] neg_hi:[0,1]
	s_wait_dscnt 0x0
	v_pk_mul_f32 v[92:93], v[90:91], v[102:103] op_sel:[0,1]
	s_delay_alu instid0(VALU_DEP_1) | instskip(SKIP_1) | instid1(VALU_DEP_1)
	v_pk_fma_f32 v[102:103], v[90:91], v[100:101], v[92:93] op_sel:[0,0,1] op_sel_hi:[1,1,0] neg_lo:[0,0,1] neg_hi:[0,0,1]
	v_pk_fma_f32 v[90:91], v[90:91], v[100:101], v[92:93] op_sel:[0,0,1] op_sel_hi:[1,0,0]
	v_mov_b32_e32 v103, v91
	s_delay_alu instid0(VALU_DEP_1)
	v_pk_add_f32 v[88:89], v[88:89], v[102:103] neg_lo:[0,1] neg_hi:[0,1]
.LBB82_776:
	s_or_b32 exec_lo, exec_lo, s0
	v_lshl_add_u32 v90, v98, 3, v94
	s_barrier_signal -1
	s_barrier_wait -1
	ds_store_b64 v90, v[6:7]
	s_wait_dscnt 0x0
	s_barrier_signal -1
	s_barrier_wait -1
	ds_load_b64 v[90:91], v94 offset:296
	v_mov_b32_e32 v92, 37
	s_cmp_lt_i32 s18, 39
	s_cbranch_scc1 .LBB82_779
; %bb.777:
	v_add3_u32 v93, v95, 0, 0x130
	v_mov_b32_e32 v92, 37
	s_mov_b32 s0, 38
.LBB82_778:                             ; =>This Inner Loop Header: Depth=1
	ds_load_b64 v[100:101], v93
	s_wait_dscnt 0x1
	v_cmp_gt_f32_e32 vcc_lo, 0, v90
	v_cndmask_b32_e64 v102, v90, -v90, vcc_lo
	v_cmp_gt_f32_e32 vcc_lo, 0, v91
	v_cndmask_b32_e64 v104, v91, -v91, vcc_lo
	s_wait_dscnt 0x0
	v_cmp_gt_f32_e32 vcc_lo, 0, v100
	v_cndmask_b32_e64 v103, v100, -v100, vcc_lo
	v_cmp_gt_f32_e32 vcc_lo, 0, v101
	v_cndmask_b32_e64 v105, v101, -v101, vcc_lo
	s_delay_alu instid0(VALU_DEP_1) | instskip(NEXT) | instid1(VALU_DEP_1)
	v_pk_add_f32 v[102:103], v[102:103], v[104:105]
	v_cmp_lt_f32_e32 vcc_lo, v102, v103
	v_dual_cndmask_b32 v90, v90, v100 :: v_dual_add_nc_u32 v93, 8, v93
	v_cndmask_b32_e32 v91, v91, v101, vcc_lo
	v_cndmask_b32_e64 v92, v92, s0, vcc_lo
	s_add_co_i32 s0, s0, 1
	s_delay_alu instid0(SALU_CYCLE_1)
	s_cmp_lg_u32 s18, s0
	s_cbranch_scc1 .LBB82_778
.LBB82_779:
	s_wait_dscnt 0x0
	v_cmp_eq_f32_e32 vcc_lo, 0, v90
	v_cmp_eq_f32_e64 s0, 0, v91
	s_and_b32 s0, vcc_lo, s0
	s_delay_alu instid0(SALU_CYCLE_1) | instskip(NEXT) | instid1(SALU_CYCLE_1)
	s_and_saveexec_b32 s1, s0
	s_xor_b32 s0, exec_lo, s1
; %bb.780:
	v_cmp_ne_u32_e32 vcc_lo, 0, v96
	v_cndmask_b32_e32 v96, 38, v96, vcc_lo
; %bb.781:
	s_and_not1_saveexec_b32 s0, s0
	s_cbranch_execz .LBB82_787
; %bb.782:
	v_cmp_ngt_f32_e64 s1, |v90|, |v91|
	s_and_saveexec_b32 s12, s1
	s_delay_alu instid0(SALU_CYCLE_1)
	s_xor_b32 s1, exec_lo, s12
	s_cbranch_execz .LBB82_784
; %bb.783:
	v_div_scale_f32 v93, null, v91, v91, v90
	v_div_scale_f32 v101, vcc_lo, v90, v91, v90
	s_delay_alu instid0(VALU_DEP_2) | instskip(SKIP_1) | instid1(TRANS32_DEP_1)
	v_rcp_f32_e32 v99, v93
	v_nop
	v_fma_f32 v100, -v93, v99, 1.0
	s_delay_alu instid0(VALU_DEP_1) | instskip(NEXT) | instid1(VALU_DEP_1)
	v_fmac_f32_e32 v99, v100, v99
	v_mul_f32_e32 v100, v101, v99
	s_delay_alu instid0(VALU_DEP_1) | instskip(NEXT) | instid1(VALU_DEP_1)
	v_fma_f32 v102, -v93, v100, v101
	v_fmac_f32_e32 v100, v102, v99
	s_delay_alu instid0(VALU_DEP_1) | instskip(NEXT) | instid1(VALU_DEP_1)
	v_fma_f32 v93, -v93, v100, v101
	v_div_fmas_f32 v93, v93, v99, v100
	s_delay_alu instid0(VALU_DEP_1) | instskip(NEXT) | instid1(VALU_DEP_1)
	v_div_fixup_f32 v93, v93, v91, v90
	v_fmac_f32_e32 v91, v90, v93
	s_delay_alu instid0(VALU_DEP_1) | instskip(SKIP_1) | instid1(VALU_DEP_2)
	v_div_scale_f32 v90, null, v91, v91, 1.0
	v_div_scale_f32 v101, vcc_lo, 1.0, v91, 1.0
	v_rcp_f32_e32 v99, v90
	v_nop
	s_delay_alu instid0(TRANS32_DEP_1) | instskip(NEXT) | instid1(VALU_DEP_1)
	v_fma_f32 v100, -v90, v99, 1.0
	v_fmac_f32_e32 v99, v100, v99
	s_delay_alu instid0(VALU_DEP_1) | instskip(NEXT) | instid1(VALU_DEP_1)
	v_mul_f32_e32 v100, v101, v99
	v_fma_f32 v102, -v90, v100, v101
	s_delay_alu instid0(VALU_DEP_1) | instskip(NEXT) | instid1(VALU_DEP_1)
	v_fmac_f32_e32 v100, v102, v99
	v_fma_f32 v90, -v90, v100, v101
	s_delay_alu instid0(VALU_DEP_1) | instskip(NEXT) | instid1(VALU_DEP_1)
	v_div_fmas_f32 v90, v90, v99, v100
	v_div_fixup_f32 v91, v90, v91, 1.0
	s_delay_alu instid0(VALU_DEP_1)
	v_mul_f32_e32 v90, v93, v91
	v_xor_b32_e32 v91, 0x80000000, v91
.LBB82_784:
	s_and_not1_saveexec_b32 s1, s1
	s_cbranch_execz .LBB82_786
; %bb.785:
	s_delay_alu instid0(VALU_DEP_1) | instskip(SKIP_1) | instid1(VALU_DEP_2)
	v_div_scale_f32 v93, null, v90, v90, v91
	v_div_scale_f32 v101, vcc_lo, v91, v90, v91
	v_rcp_f32_e32 v99, v93
	v_nop
	s_delay_alu instid0(TRANS32_DEP_1) | instskip(NEXT) | instid1(VALU_DEP_1)
	v_fma_f32 v100, -v93, v99, 1.0
	v_fmac_f32_e32 v99, v100, v99
	s_delay_alu instid0(VALU_DEP_1) | instskip(NEXT) | instid1(VALU_DEP_1)
	v_mul_f32_e32 v100, v101, v99
	v_fma_f32 v102, -v93, v100, v101
	s_delay_alu instid0(VALU_DEP_1) | instskip(NEXT) | instid1(VALU_DEP_1)
	v_fmac_f32_e32 v100, v102, v99
	v_fma_f32 v93, -v93, v100, v101
	s_delay_alu instid0(VALU_DEP_1) | instskip(NEXT) | instid1(VALU_DEP_1)
	v_div_fmas_f32 v93, v93, v99, v100
	v_div_fixup_f32 v93, v93, v90, v91
	s_delay_alu instid0(VALU_DEP_1) | instskip(NEXT) | instid1(VALU_DEP_1)
	v_fmac_f32_e32 v90, v91, v93
	v_div_scale_f32 v91, null, v90, v90, 1.0
	s_delay_alu instid0(VALU_DEP_1) | instskip(SKIP_1) | instid1(TRANS32_DEP_1)
	v_rcp_f32_e32 v99, v91
	v_nop
	v_fma_f32 v100, -v91, v99, 1.0
	s_delay_alu instid0(VALU_DEP_1) | instskip(SKIP_1) | instid1(VALU_DEP_1)
	v_fmac_f32_e32 v99, v100, v99
	v_div_scale_f32 v100, vcc_lo, 1.0, v90, 1.0
	v_mul_f32_e32 v101, v100, v99
	s_delay_alu instid0(VALU_DEP_1) | instskip(NEXT) | instid1(VALU_DEP_1)
	v_fma_f32 v102, -v91, v101, v100
	v_fmac_f32_e32 v101, v102, v99
	s_delay_alu instid0(VALU_DEP_1) | instskip(NEXT) | instid1(VALU_DEP_1)
	v_fma_f32 v91, -v91, v101, v100
	v_div_fmas_f32 v91, v91, v99, v101
	s_delay_alu instid0(VALU_DEP_1) | instskip(NEXT) | instid1(VALU_DEP_1)
	v_div_fixup_f32 v90, v91, v90, 1.0
	v_mul_f32_e64 v91, v93, -v90
.LBB82_786:
	s_or_b32 exec_lo, exec_lo, s1
.LBB82_787:
	s_delay_alu instid0(SALU_CYCLE_1) | instskip(NEXT) | instid1(SALU_CYCLE_1)
	s_or_b32 exec_lo, exec_lo, s0
	s_mov_b32 s0, exec_lo
	v_cmpx_ne_u32_e64 v98, v92
	s_xor_b32 s0, exec_lo, s0
	s_cbranch_execz .LBB82_793
; %bb.788:
	s_mov_b32 s1, exec_lo
	v_cmpx_eq_u32_e32 37, v98
	s_cbranch_execz .LBB82_792
; %bb.789:
	v_cmp_ne_u32_e32 vcc_lo, 37, v92
	s_xor_b32 s12, s16, -1
	s_delay_alu instid0(SALU_CYCLE_1) | instskip(NEXT) | instid1(SALU_CYCLE_1)
	s_and_b32 s13, s12, vcc_lo
	s_and_saveexec_b32 s12, s13
	s_cbranch_execz .LBB82_791
; %bb.790:
	v_ashrrev_i32_e32 v93, 31, v92
	s_delay_alu instid0(VALU_DEP_1)
	v_lshl_add_u64 v[98:99], v[92:93], 2, v[4:5]
	s_clause 0x1
	global_load_b32 v93, v[98:99], off
	global_load_b32 v97, v[4:5], off offset:148
	s_wait_loadcnt 0x1
	global_store_b32 v[4:5], v93, off offset:148
	s_wait_loadcnt 0x0
	global_store_b32 v[98:99], v97, off
.LBB82_791:
	s_wait_xcnt 0x0
	s_or_b32 exec_lo, exec_lo, s12
	v_dual_mov_b32 v98, v92 :: v_dual_mov_b32 v97, v92
.LBB82_792:
	s_or_b32 exec_lo, exec_lo, s1
.LBB82_793:
	s_and_not1_saveexec_b32 s0, s0
	s_cbranch_execz .LBB82_795
; %bb.794:
	v_dual_mov_b32 v92, v54 :: v_dual_mov_b32 v93, v55
	v_dual_mov_b32 v100, v40 :: v_dual_mov_b32 v101, v41
	;; [unrolled: 1-line block ×3, first 2 shown]
	v_mov_b32_e32 v103, v25
	ds_store_2addr_b64 v94, v[92:93], v[100:101] offset0:38 offset1:39
	ds_store_2addr_b64 v94, v[102:103], v[88:89] offset0:40 offset1:41
.LBB82_795:
	s_or_b32 exec_lo, exec_lo, s0
	s_delay_alu instid0(SALU_CYCLE_1)
	s_mov_b32 s0, exec_lo
	s_wait_storecnt_dscnt 0x0
	s_barrier_signal -1
	s_barrier_wait -1
	v_cmpx_lt_i32_e32 37, v98
	s_cbranch_execz .LBB82_797
; %bb.796:
	v_pk_mul_f32 v[92:93], v[90:91], v[6:7] op_sel:[1,1] op_sel_hi:[0,1]
	s_delay_alu instid0(VALU_DEP_1)
	v_pk_fma_f32 v[100:101], v[90:91], v[6:7], v[92:93] op_sel_hi:[1,0,1] neg_lo:[0,0,1] neg_hi:[0,0,1]
	v_pk_fma_f32 v[102:103], v[90:91], v[6:7], v[92:93] op_sel_hi:[1,0,1]
	ds_load_2addr_b64 v[90:93], v94 offset0:38 offset1:39
	v_dual_mov_b32 v6, v100 :: v_dual_mov_b32 v7, v103
	s_wait_dscnt 0x0
	v_pk_mul_f32 v[104:105], v[90:91], v[102:103] op_sel:[0,1]
	s_delay_alu instid0(VALU_DEP_1) | instskip(SKIP_1) | instid1(VALU_DEP_1)
	v_pk_fma_f32 v[106:107], v[90:91], v[100:101], v[104:105] op_sel:[0,0,1] op_sel_hi:[1,1,0] neg_lo:[0,0,1] neg_hi:[0,0,1]
	v_pk_fma_f32 v[90:91], v[90:91], v[100:101], v[104:105] op_sel:[0,0,1] op_sel_hi:[1,0,0]
	v_mov_b32_e32 v107, v91
	v_pk_mul_f32 v[90:91], v[92:93], v[102:103] op_sel:[0,1]
	s_delay_alu instid0(VALU_DEP_1) | instskip(SKIP_1) | instid1(VALU_DEP_1)
	v_pk_fma_f32 v[104:105], v[92:93], v[100:101], v[90:91] op_sel:[0,0,1] op_sel_hi:[1,1,0] neg_lo:[0,0,1] neg_hi:[0,0,1]
	v_pk_fma_f32 v[90:91], v[92:93], v[100:101], v[90:91] op_sel:[0,0,1] op_sel_hi:[1,0,0]
	v_mov_b32_e32 v105, v91
	ds_load_2addr_b64 v[90:93], v94 offset0:40 offset1:41
	v_pk_add_f32 v[54:55], v[54:55], v[106:107] neg_lo:[0,1] neg_hi:[0,1]
	v_pk_add_f32 v[40:41], v[40:41], v[104:105] neg_lo:[0,1] neg_hi:[0,1]
	s_wait_dscnt 0x0
	v_pk_mul_f32 v[104:105], v[90:91], v[102:103] op_sel:[0,1]
	s_delay_alu instid0(VALU_DEP_1) | instskip(SKIP_1) | instid1(VALU_DEP_1)
	v_pk_fma_f32 v[106:107], v[90:91], v[100:101], v[104:105] op_sel:[0,0,1] op_sel_hi:[1,1,0] neg_lo:[0,0,1] neg_hi:[0,0,1]
	v_pk_fma_f32 v[90:91], v[90:91], v[100:101], v[104:105] op_sel:[0,0,1] op_sel_hi:[1,0,0]
	v_dual_mov_b32 v90, v93 :: v_dual_mov_b32 v107, v91
	v_mov_b32_e32 v91, v92
	s_delay_alu instid0(VALU_DEP_2) | instskip(NEXT) | instid1(VALU_DEP_2)
	v_pk_add_f32 v[24:25], v[24:25], v[106:107] neg_lo:[0,1] neg_hi:[0,1]
	v_pk_mul_f32 v[90:91], v[90:91], v[102:103] op_sel:[0,1]
	s_delay_alu instid0(VALU_DEP_1) | instskip(SKIP_1) | instid1(VALU_DEP_1)
	v_pk_fma_f32 v[102:103], v[92:93], v[100:101], v[90:91] neg_lo:[0,0,1] neg_hi:[0,0,1]
	v_pk_fma_f32 v[90:91], v[92:93], v[100:101], v[90:91] op_sel_hi:[1,0,1]
	v_mov_b32_e32 v103, v91
	s_delay_alu instid0(VALU_DEP_1)
	v_pk_add_f32 v[88:89], v[88:89], v[102:103] neg_lo:[0,1] neg_hi:[0,1]
.LBB82_797:
	s_or_b32 exec_lo, exec_lo, s0
	v_lshl_add_u32 v90, v98, 3, v94
	s_barrier_signal -1
	s_barrier_wait -1
	ds_store_b64 v90, v[54:55]
	s_wait_dscnt 0x0
	s_barrier_signal -1
	s_barrier_wait -1
	ds_load_b64 v[90:91], v94 offset:304
	v_mov_b32_e32 v92, 38
	s_cmp_lt_i32 s18, 40
	s_cbranch_scc1 .LBB82_800
; %bb.798:
	v_add3_u32 v93, v95, 0, 0x138
	v_mov_b32_e32 v92, 38
	s_mov_b32 s0, 39
.LBB82_799:                             ; =>This Inner Loop Header: Depth=1
	ds_load_b64 v[100:101], v93
	s_wait_dscnt 0x1
	v_cmp_gt_f32_e32 vcc_lo, 0, v90
	v_cndmask_b32_e64 v102, v90, -v90, vcc_lo
	v_cmp_gt_f32_e32 vcc_lo, 0, v91
	v_cndmask_b32_e64 v104, v91, -v91, vcc_lo
	s_wait_dscnt 0x0
	v_cmp_gt_f32_e32 vcc_lo, 0, v100
	v_cndmask_b32_e64 v103, v100, -v100, vcc_lo
	v_cmp_gt_f32_e32 vcc_lo, 0, v101
	v_cndmask_b32_e64 v105, v101, -v101, vcc_lo
	s_delay_alu instid0(VALU_DEP_1) | instskip(NEXT) | instid1(VALU_DEP_1)
	v_pk_add_f32 v[102:103], v[102:103], v[104:105]
	v_cmp_lt_f32_e32 vcc_lo, v102, v103
	v_dual_cndmask_b32 v90, v90, v100 :: v_dual_add_nc_u32 v93, 8, v93
	v_cndmask_b32_e32 v91, v91, v101, vcc_lo
	v_cndmask_b32_e64 v92, v92, s0, vcc_lo
	s_add_co_i32 s0, s0, 1
	s_delay_alu instid0(SALU_CYCLE_1)
	s_cmp_lg_u32 s18, s0
	s_cbranch_scc1 .LBB82_799
.LBB82_800:
	s_wait_dscnt 0x0
	v_cmp_eq_f32_e32 vcc_lo, 0, v90
	v_cmp_eq_f32_e64 s0, 0, v91
	s_and_b32 s0, vcc_lo, s0
	s_delay_alu instid0(SALU_CYCLE_1) | instskip(NEXT) | instid1(SALU_CYCLE_1)
	s_and_saveexec_b32 s1, s0
	s_xor_b32 s0, exec_lo, s1
; %bb.801:
	v_cmp_ne_u32_e32 vcc_lo, 0, v96
	v_cndmask_b32_e32 v96, 39, v96, vcc_lo
; %bb.802:
	s_and_not1_saveexec_b32 s0, s0
	s_cbranch_execz .LBB82_808
; %bb.803:
	v_cmp_ngt_f32_e64 s1, |v90|, |v91|
	s_and_saveexec_b32 s12, s1
	s_delay_alu instid0(SALU_CYCLE_1)
	s_xor_b32 s1, exec_lo, s12
	s_cbranch_execz .LBB82_805
; %bb.804:
	v_div_scale_f32 v93, null, v91, v91, v90
	v_div_scale_f32 v101, vcc_lo, v90, v91, v90
	s_delay_alu instid0(VALU_DEP_2) | instskip(SKIP_1) | instid1(TRANS32_DEP_1)
	v_rcp_f32_e32 v99, v93
	v_nop
	v_fma_f32 v100, -v93, v99, 1.0
	s_delay_alu instid0(VALU_DEP_1) | instskip(NEXT) | instid1(VALU_DEP_1)
	v_fmac_f32_e32 v99, v100, v99
	v_mul_f32_e32 v100, v101, v99
	s_delay_alu instid0(VALU_DEP_1) | instskip(NEXT) | instid1(VALU_DEP_1)
	v_fma_f32 v102, -v93, v100, v101
	v_fmac_f32_e32 v100, v102, v99
	s_delay_alu instid0(VALU_DEP_1) | instskip(NEXT) | instid1(VALU_DEP_1)
	v_fma_f32 v93, -v93, v100, v101
	v_div_fmas_f32 v93, v93, v99, v100
	s_delay_alu instid0(VALU_DEP_1) | instskip(NEXT) | instid1(VALU_DEP_1)
	v_div_fixup_f32 v93, v93, v91, v90
	v_fmac_f32_e32 v91, v90, v93
	s_delay_alu instid0(VALU_DEP_1) | instskip(SKIP_1) | instid1(VALU_DEP_2)
	v_div_scale_f32 v90, null, v91, v91, 1.0
	v_div_scale_f32 v101, vcc_lo, 1.0, v91, 1.0
	v_rcp_f32_e32 v99, v90
	v_nop
	s_delay_alu instid0(TRANS32_DEP_1) | instskip(NEXT) | instid1(VALU_DEP_1)
	v_fma_f32 v100, -v90, v99, 1.0
	v_fmac_f32_e32 v99, v100, v99
	s_delay_alu instid0(VALU_DEP_1) | instskip(NEXT) | instid1(VALU_DEP_1)
	v_mul_f32_e32 v100, v101, v99
	v_fma_f32 v102, -v90, v100, v101
	s_delay_alu instid0(VALU_DEP_1) | instskip(NEXT) | instid1(VALU_DEP_1)
	v_fmac_f32_e32 v100, v102, v99
	v_fma_f32 v90, -v90, v100, v101
	s_delay_alu instid0(VALU_DEP_1) | instskip(NEXT) | instid1(VALU_DEP_1)
	v_div_fmas_f32 v90, v90, v99, v100
	v_div_fixup_f32 v91, v90, v91, 1.0
	s_delay_alu instid0(VALU_DEP_1)
	v_mul_f32_e32 v90, v93, v91
	v_xor_b32_e32 v91, 0x80000000, v91
.LBB82_805:
	s_and_not1_saveexec_b32 s1, s1
	s_cbranch_execz .LBB82_807
; %bb.806:
	s_delay_alu instid0(VALU_DEP_1) | instskip(SKIP_1) | instid1(VALU_DEP_2)
	v_div_scale_f32 v93, null, v90, v90, v91
	v_div_scale_f32 v101, vcc_lo, v91, v90, v91
	v_rcp_f32_e32 v99, v93
	v_nop
	s_delay_alu instid0(TRANS32_DEP_1) | instskip(NEXT) | instid1(VALU_DEP_1)
	v_fma_f32 v100, -v93, v99, 1.0
	v_fmac_f32_e32 v99, v100, v99
	s_delay_alu instid0(VALU_DEP_1) | instskip(NEXT) | instid1(VALU_DEP_1)
	v_mul_f32_e32 v100, v101, v99
	v_fma_f32 v102, -v93, v100, v101
	s_delay_alu instid0(VALU_DEP_1) | instskip(NEXT) | instid1(VALU_DEP_1)
	v_fmac_f32_e32 v100, v102, v99
	v_fma_f32 v93, -v93, v100, v101
	s_delay_alu instid0(VALU_DEP_1) | instskip(NEXT) | instid1(VALU_DEP_1)
	v_div_fmas_f32 v93, v93, v99, v100
	v_div_fixup_f32 v93, v93, v90, v91
	s_delay_alu instid0(VALU_DEP_1) | instskip(NEXT) | instid1(VALU_DEP_1)
	v_fmac_f32_e32 v90, v91, v93
	v_div_scale_f32 v91, null, v90, v90, 1.0
	s_delay_alu instid0(VALU_DEP_1) | instskip(SKIP_1) | instid1(TRANS32_DEP_1)
	v_rcp_f32_e32 v99, v91
	v_nop
	v_fma_f32 v100, -v91, v99, 1.0
	s_delay_alu instid0(VALU_DEP_1) | instskip(SKIP_1) | instid1(VALU_DEP_1)
	v_fmac_f32_e32 v99, v100, v99
	v_div_scale_f32 v100, vcc_lo, 1.0, v90, 1.0
	v_mul_f32_e32 v101, v100, v99
	s_delay_alu instid0(VALU_DEP_1) | instskip(NEXT) | instid1(VALU_DEP_1)
	v_fma_f32 v102, -v91, v101, v100
	v_fmac_f32_e32 v101, v102, v99
	s_delay_alu instid0(VALU_DEP_1) | instskip(NEXT) | instid1(VALU_DEP_1)
	v_fma_f32 v91, -v91, v101, v100
	v_div_fmas_f32 v91, v91, v99, v101
	s_delay_alu instid0(VALU_DEP_1) | instskip(NEXT) | instid1(VALU_DEP_1)
	v_div_fixup_f32 v90, v91, v90, 1.0
	v_mul_f32_e64 v91, v93, -v90
.LBB82_807:
	s_or_b32 exec_lo, exec_lo, s1
.LBB82_808:
	s_delay_alu instid0(SALU_CYCLE_1) | instskip(NEXT) | instid1(SALU_CYCLE_1)
	s_or_b32 exec_lo, exec_lo, s0
	s_mov_b32 s0, exec_lo
	v_cmpx_ne_u32_e64 v98, v92
	s_xor_b32 s0, exec_lo, s0
	s_cbranch_execz .LBB82_814
; %bb.809:
	s_mov_b32 s1, exec_lo
	v_cmpx_eq_u32_e32 38, v98
	s_cbranch_execz .LBB82_813
; %bb.810:
	v_cmp_ne_u32_e32 vcc_lo, 38, v92
	s_xor_b32 s12, s16, -1
	s_delay_alu instid0(SALU_CYCLE_1) | instskip(NEXT) | instid1(SALU_CYCLE_1)
	s_and_b32 s13, s12, vcc_lo
	s_and_saveexec_b32 s12, s13
	s_cbranch_execz .LBB82_812
; %bb.811:
	v_ashrrev_i32_e32 v93, 31, v92
	s_delay_alu instid0(VALU_DEP_1)
	v_lshl_add_u64 v[98:99], v[92:93], 2, v[4:5]
	s_clause 0x1
	global_load_b32 v93, v[98:99], off
	global_load_b32 v97, v[4:5], off offset:152
	s_wait_loadcnt 0x1
	global_store_b32 v[4:5], v93, off offset:152
	s_wait_loadcnt 0x0
	global_store_b32 v[98:99], v97, off
.LBB82_812:
	s_wait_xcnt 0x0
	s_or_b32 exec_lo, exec_lo, s12
	v_dual_mov_b32 v98, v92 :: v_dual_mov_b32 v97, v92
.LBB82_813:
	s_or_b32 exec_lo, exec_lo, s1
.LBB82_814:
	s_and_not1_saveexec_b32 s0, s0
	s_cbranch_execz .LBB82_816
; %bb.815:
	v_mov_b32_e32 v98, 38
	ds_store_2addr_b64 v94, v[40:41], v[24:25] offset0:39 offset1:40
	ds_store_b64 v94, v[88:89] offset:328
.LBB82_816:
	s_or_b32 exec_lo, exec_lo, s0
	s_delay_alu instid0(SALU_CYCLE_1)
	s_mov_b32 s0, exec_lo
	s_wait_storecnt_dscnt 0x0
	s_barrier_signal -1
	s_barrier_wait -1
	v_cmpx_lt_i32_e32 38, v98
	s_cbranch_execz .LBB82_818
; %bb.817:
	ds_load_2addr_b64 v[100:103], v94 offset0:39 offset1:40
	ds_load_b64 v[92:93], v94 offset:328
	v_pk_mul_f32 v[104:105], v[90:91], v[54:55] op_sel:[1,1] op_sel_hi:[0,1]
	s_delay_alu instid0(VALU_DEP_1) | instskip(SKIP_2) | instid1(VALU_DEP_2)
	v_pk_fma_f32 v[106:107], v[90:91], v[54:55], v[104:105] op_sel_hi:[1,0,1]
	v_pk_fma_f32 v[54:55], v[90:91], v[54:55], v[104:105] op_sel_hi:[1,0,1] neg_lo:[0,0,1] neg_hi:[0,0,1]
	s_wait_dscnt 0x1
	v_pk_mul_f32 v[90:91], v[100:101], v[106:107] op_sel:[0,1]
	v_pk_mul_f32 v[104:105], v[102:103], v[106:107] op_sel:[0,1]
	s_wait_dscnt 0x0
	v_pk_mul_f32 v[108:109], v[92:93], v[106:107] op_sel:[1,1] op_sel_hi:[0,1]
	s_delay_alu instid0(VALU_DEP_3) | instskip(SKIP_2) | instid1(VALU_DEP_4)
	v_pk_fma_f32 v[110:111], v[100:101], v[54:55], v[90:91] op_sel:[0,0,1] op_sel_hi:[1,1,0] neg_lo:[0,0,1] neg_hi:[0,0,1]
	v_pk_fma_f32 v[90:91], v[100:101], v[54:55], v[90:91] op_sel:[0,0,1] op_sel_hi:[1,0,0]
	v_pk_fma_f32 v[100:101], v[102:103], v[54:55], v[104:105] op_sel:[0,0,1] op_sel_hi:[1,0,0]
	v_pk_fma_f32 v[112:113], v[92:93], v[54:55], v[108:109] op_sel_hi:[1,0,1]
	v_pk_fma_f32 v[102:103], v[102:103], v[54:55], v[104:105] op_sel:[0,0,1] op_sel_hi:[1,1,0] neg_lo:[0,0,1] neg_hi:[0,0,1]
	v_pk_fma_f32 v[92:93], v[92:93], v[54:55], v[108:109] neg_lo:[0,0,1] neg_hi:[0,0,1]
	s_delay_alu instid0(VALU_DEP_4) | instskip(NEXT) | instid1(VALU_DEP_4)
	v_dual_mov_b32 v111, v91 :: v_dual_mov_b32 v103, v101
	v_dual_mov_b32 v93, v113 :: v_dual_mov_b32 v55, v107
	s_delay_alu instid0(VALU_DEP_2) | instskip(NEXT) | instid1(VALU_DEP_3)
	v_pk_add_f32 v[40:41], v[40:41], v[110:111] neg_lo:[0,1] neg_hi:[0,1]
	v_pk_add_f32 v[24:25], v[24:25], v[102:103] neg_lo:[0,1] neg_hi:[0,1]
	s_delay_alu instid0(VALU_DEP_3)
	v_pk_add_f32 v[88:89], v[88:89], v[92:93] neg_lo:[0,1] neg_hi:[0,1]
.LBB82_818:
	s_or_b32 exec_lo, exec_lo, s0
	v_lshl_add_u32 v90, v98, 3, v94
	s_barrier_signal -1
	s_barrier_wait -1
	ds_store_b64 v90, v[40:41]
	s_wait_dscnt 0x0
	s_barrier_signal -1
	s_barrier_wait -1
	ds_load_b64 v[90:91], v94 offset:312
	v_mov_b32_e32 v92, 39
	s_cmp_lt_i32 s18, 41
	s_cbranch_scc1 .LBB82_821
; %bb.819:
	v_add3_u32 v93, v95, 0, 0x140
	v_mov_b32_e32 v92, 39
	s_mov_b32 s0, 40
.LBB82_820:                             ; =>This Inner Loop Header: Depth=1
	ds_load_b64 v[100:101], v93
	s_wait_dscnt 0x1
	v_cmp_gt_f32_e32 vcc_lo, 0, v90
	v_cndmask_b32_e64 v102, v90, -v90, vcc_lo
	v_cmp_gt_f32_e32 vcc_lo, 0, v91
	v_cndmask_b32_e64 v104, v91, -v91, vcc_lo
	s_wait_dscnt 0x0
	v_cmp_gt_f32_e32 vcc_lo, 0, v100
	v_cndmask_b32_e64 v103, v100, -v100, vcc_lo
	v_cmp_gt_f32_e32 vcc_lo, 0, v101
	v_cndmask_b32_e64 v105, v101, -v101, vcc_lo
	s_delay_alu instid0(VALU_DEP_1) | instskip(NEXT) | instid1(VALU_DEP_1)
	v_pk_add_f32 v[102:103], v[102:103], v[104:105]
	v_cmp_lt_f32_e32 vcc_lo, v102, v103
	v_dual_cndmask_b32 v90, v90, v100 :: v_dual_add_nc_u32 v93, 8, v93
	v_cndmask_b32_e32 v91, v91, v101, vcc_lo
	v_cndmask_b32_e64 v92, v92, s0, vcc_lo
	s_add_co_i32 s0, s0, 1
	s_delay_alu instid0(SALU_CYCLE_1)
	s_cmp_lg_u32 s18, s0
	s_cbranch_scc1 .LBB82_820
.LBB82_821:
	s_wait_dscnt 0x0
	v_cmp_eq_f32_e32 vcc_lo, 0, v90
	v_cmp_eq_f32_e64 s0, 0, v91
	s_and_b32 s0, vcc_lo, s0
	s_delay_alu instid0(SALU_CYCLE_1) | instskip(NEXT) | instid1(SALU_CYCLE_1)
	s_and_saveexec_b32 s1, s0
	s_xor_b32 s0, exec_lo, s1
; %bb.822:
	v_cmp_ne_u32_e32 vcc_lo, 0, v96
	v_cndmask_b32_e32 v96, 40, v96, vcc_lo
; %bb.823:
	s_and_not1_saveexec_b32 s0, s0
	s_cbranch_execz .LBB82_829
; %bb.824:
	v_cmp_ngt_f32_e64 s1, |v90|, |v91|
	s_and_saveexec_b32 s12, s1
	s_delay_alu instid0(SALU_CYCLE_1)
	s_xor_b32 s1, exec_lo, s12
	s_cbranch_execz .LBB82_826
; %bb.825:
	v_div_scale_f32 v93, null, v91, v91, v90
	v_div_scale_f32 v101, vcc_lo, v90, v91, v90
	s_delay_alu instid0(VALU_DEP_2) | instskip(SKIP_1) | instid1(TRANS32_DEP_1)
	v_rcp_f32_e32 v99, v93
	v_nop
	v_fma_f32 v100, -v93, v99, 1.0
	s_delay_alu instid0(VALU_DEP_1) | instskip(NEXT) | instid1(VALU_DEP_1)
	v_fmac_f32_e32 v99, v100, v99
	v_mul_f32_e32 v100, v101, v99
	s_delay_alu instid0(VALU_DEP_1) | instskip(NEXT) | instid1(VALU_DEP_1)
	v_fma_f32 v102, -v93, v100, v101
	v_fmac_f32_e32 v100, v102, v99
	s_delay_alu instid0(VALU_DEP_1) | instskip(NEXT) | instid1(VALU_DEP_1)
	v_fma_f32 v93, -v93, v100, v101
	v_div_fmas_f32 v93, v93, v99, v100
	s_delay_alu instid0(VALU_DEP_1) | instskip(NEXT) | instid1(VALU_DEP_1)
	v_div_fixup_f32 v93, v93, v91, v90
	v_fmac_f32_e32 v91, v90, v93
	s_delay_alu instid0(VALU_DEP_1) | instskip(SKIP_1) | instid1(VALU_DEP_2)
	v_div_scale_f32 v90, null, v91, v91, 1.0
	v_div_scale_f32 v101, vcc_lo, 1.0, v91, 1.0
	v_rcp_f32_e32 v99, v90
	v_nop
	s_delay_alu instid0(TRANS32_DEP_1) | instskip(NEXT) | instid1(VALU_DEP_1)
	v_fma_f32 v100, -v90, v99, 1.0
	v_fmac_f32_e32 v99, v100, v99
	s_delay_alu instid0(VALU_DEP_1) | instskip(NEXT) | instid1(VALU_DEP_1)
	v_mul_f32_e32 v100, v101, v99
	v_fma_f32 v102, -v90, v100, v101
	s_delay_alu instid0(VALU_DEP_1) | instskip(NEXT) | instid1(VALU_DEP_1)
	v_fmac_f32_e32 v100, v102, v99
	v_fma_f32 v90, -v90, v100, v101
	s_delay_alu instid0(VALU_DEP_1) | instskip(NEXT) | instid1(VALU_DEP_1)
	v_div_fmas_f32 v90, v90, v99, v100
	v_div_fixup_f32 v91, v90, v91, 1.0
	s_delay_alu instid0(VALU_DEP_1)
	v_mul_f32_e32 v90, v93, v91
	v_xor_b32_e32 v91, 0x80000000, v91
.LBB82_826:
	s_and_not1_saveexec_b32 s1, s1
	s_cbranch_execz .LBB82_828
; %bb.827:
	s_delay_alu instid0(VALU_DEP_1) | instskip(SKIP_1) | instid1(VALU_DEP_2)
	v_div_scale_f32 v93, null, v90, v90, v91
	v_div_scale_f32 v101, vcc_lo, v91, v90, v91
	v_rcp_f32_e32 v99, v93
	v_nop
	s_delay_alu instid0(TRANS32_DEP_1) | instskip(NEXT) | instid1(VALU_DEP_1)
	v_fma_f32 v100, -v93, v99, 1.0
	v_fmac_f32_e32 v99, v100, v99
	s_delay_alu instid0(VALU_DEP_1) | instskip(NEXT) | instid1(VALU_DEP_1)
	v_mul_f32_e32 v100, v101, v99
	v_fma_f32 v102, -v93, v100, v101
	s_delay_alu instid0(VALU_DEP_1) | instskip(NEXT) | instid1(VALU_DEP_1)
	v_fmac_f32_e32 v100, v102, v99
	v_fma_f32 v93, -v93, v100, v101
	s_delay_alu instid0(VALU_DEP_1) | instskip(NEXT) | instid1(VALU_DEP_1)
	v_div_fmas_f32 v93, v93, v99, v100
	v_div_fixup_f32 v93, v93, v90, v91
	s_delay_alu instid0(VALU_DEP_1) | instskip(NEXT) | instid1(VALU_DEP_1)
	v_fmac_f32_e32 v90, v91, v93
	v_div_scale_f32 v91, null, v90, v90, 1.0
	s_delay_alu instid0(VALU_DEP_1) | instskip(SKIP_1) | instid1(TRANS32_DEP_1)
	v_rcp_f32_e32 v99, v91
	v_nop
	v_fma_f32 v100, -v91, v99, 1.0
	s_delay_alu instid0(VALU_DEP_1) | instskip(SKIP_1) | instid1(VALU_DEP_1)
	v_fmac_f32_e32 v99, v100, v99
	v_div_scale_f32 v100, vcc_lo, 1.0, v90, 1.0
	v_mul_f32_e32 v101, v100, v99
	s_delay_alu instid0(VALU_DEP_1) | instskip(NEXT) | instid1(VALU_DEP_1)
	v_fma_f32 v102, -v91, v101, v100
	v_fmac_f32_e32 v101, v102, v99
	s_delay_alu instid0(VALU_DEP_1) | instskip(NEXT) | instid1(VALU_DEP_1)
	v_fma_f32 v91, -v91, v101, v100
	v_div_fmas_f32 v91, v91, v99, v101
	s_delay_alu instid0(VALU_DEP_1) | instskip(NEXT) | instid1(VALU_DEP_1)
	v_div_fixup_f32 v90, v91, v90, 1.0
	v_mul_f32_e64 v91, v93, -v90
.LBB82_828:
	s_or_b32 exec_lo, exec_lo, s1
.LBB82_829:
	s_delay_alu instid0(SALU_CYCLE_1) | instskip(NEXT) | instid1(SALU_CYCLE_1)
	s_or_b32 exec_lo, exec_lo, s0
	s_mov_b32 s0, exec_lo
	v_cmpx_ne_u32_e64 v98, v92
	s_xor_b32 s0, exec_lo, s0
	s_cbranch_execz .LBB82_835
; %bb.830:
	s_mov_b32 s1, exec_lo
	v_cmpx_eq_u32_e32 39, v98
	s_cbranch_execz .LBB82_834
; %bb.831:
	v_cmp_ne_u32_e32 vcc_lo, 39, v92
	s_xor_b32 s12, s16, -1
	s_delay_alu instid0(SALU_CYCLE_1) | instskip(NEXT) | instid1(SALU_CYCLE_1)
	s_and_b32 s13, s12, vcc_lo
	s_and_saveexec_b32 s12, s13
	s_cbranch_execz .LBB82_833
; %bb.832:
	v_ashrrev_i32_e32 v93, 31, v92
	s_delay_alu instid0(VALU_DEP_1)
	v_lshl_add_u64 v[98:99], v[92:93], 2, v[4:5]
	s_clause 0x1
	global_load_b32 v93, v[98:99], off
	global_load_b32 v97, v[4:5], off offset:156
	s_wait_loadcnt 0x1
	global_store_b32 v[4:5], v93, off offset:156
	s_wait_loadcnt 0x0
	global_store_b32 v[98:99], v97, off
.LBB82_833:
	s_wait_xcnt 0x0
	s_or_b32 exec_lo, exec_lo, s12
	v_dual_mov_b32 v98, v92 :: v_dual_mov_b32 v97, v92
.LBB82_834:
	s_or_b32 exec_lo, exec_lo, s1
.LBB82_835:
	s_and_not1_saveexec_b32 s0, s0
; %bb.836:
	v_dual_mov_b32 v92, v24 :: v_dual_mov_b32 v93, v25
	v_mov_b32_e32 v98, 39
	ds_store_2addr_b64 v94, v[92:93], v[88:89] offset0:40 offset1:41
; %bb.837:
	s_or_b32 exec_lo, exec_lo, s0
	s_delay_alu instid0(SALU_CYCLE_1)
	s_mov_b32 s0, exec_lo
	s_wait_storecnt_dscnt 0x0
	s_barrier_signal -1
	s_barrier_wait -1
	v_cmpx_lt_i32_e32 39, v98
	s_cbranch_execz .LBB82_839
; %bb.838:
	ds_load_2addr_b64 v[100:103], v94 offset0:40 offset1:41
	v_pk_mul_f32 v[92:93], v[90:91], v[40:41] op_sel:[1,1] op_sel_hi:[0,1]
	s_delay_alu instid0(VALU_DEP_1) | instskip(SKIP_3) | instid1(VALU_DEP_3)
	v_pk_fma_f32 v[104:105], v[90:91], v[40:41], v[92:93] op_sel_hi:[1,0,1]
	v_pk_fma_f32 v[40:41], v[90:91], v[40:41], v[92:93] op_sel_hi:[1,0,1] neg_lo:[0,0,1] neg_hi:[0,0,1]
	s_wait_dscnt 0x0
	v_dual_mov_b32 v106, v103 :: v_dual_mov_b32 v107, v102
	v_pk_mul_f32 v[90:91], v[100:101], v[104:105] op_sel:[0,1]
	s_delay_alu instid0(VALU_DEP_2) | instskip(NEXT) | instid1(VALU_DEP_2)
	v_pk_mul_f32 v[92:93], v[106:107], v[104:105] op_sel:[0,1]
	v_pk_fma_f32 v[106:107], v[100:101], v[40:41], v[90:91] op_sel:[0,0,1] op_sel_hi:[1,0,0]
	v_pk_fma_f32 v[90:91], v[100:101], v[40:41], v[90:91] op_sel:[0,0,1] op_sel_hi:[1,1,0] neg_lo:[0,0,1] neg_hi:[0,0,1]
	s_delay_alu instid0(VALU_DEP_3) | instskip(SKIP_1) | instid1(VALU_DEP_4)
	v_pk_fma_f32 v[108:109], v[102:103], v[40:41], v[92:93] op_sel_hi:[1,0,1]
	v_pk_fma_f32 v[92:93], v[102:103], v[40:41], v[92:93] neg_lo:[0,0,1] neg_hi:[0,0,1]
	v_dual_mov_b32 v91, v107 :: v_dual_mov_b32 v41, v105
	s_delay_alu instid0(VALU_DEP_3) | instskip(NEXT) | instid1(VALU_DEP_2)
	v_mov_b32_e32 v93, v109
	v_pk_add_f32 v[24:25], v[24:25], v[90:91] neg_lo:[0,1] neg_hi:[0,1]
	s_delay_alu instid0(VALU_DEP_2)
	v_pk_add_f32 v[88:89], v[88:89], v[92:93] neg_lo:[0,1] neg_hi:[0,1]
.LBB82_839:
	s_or_b32 exec_lo, exec_lo, s0
	v_lshl_add_u32 v90, v98, 3, v94
	s_barrier_signal -1
	s_barrier_wait -1
	ds_store_b64 v90, v[24:25]
	s_wait_dscnt 0x0
	s_barrier_signal -1
	s_barrier_wait -1
	ds_load_b64 v[90:91], v94 offset:320
	v_mov_b32_e32 v92, 40
	s_cmp_lt_i32 s18, 42
	s_cbranch_scc1 .LBB82_842
; %bb.840:
	v_add3_u32 v93, v95, 0, 0x148
	v_mov_b32_e32 v92, 40
	s_mov_b32 s0, 41
.LBB82_841:                             ; =>This Inner Loop Header: Depth=1
	ds_load_b64 v[100:101], v93
	s_wait_dscnt 0x1
	v_cmp_gt_f32_e32 vcc_lo, 0, v90
	v_cndmask_b32_e64 v102, v90, -v90, vcc_lo
	v_cmp_gt_f32_e32 vcc_lo, 0, v91
	v_cndmask_b32_e64 v104, v91, -v91, vcc_lo
	s_wait_dscnt 0x0
	v_cmp_gt_f32_e32 vcc_lo, 0, v100
	v_cndmask_b32_e64 v103, v100, -v100, vcc_lo
	v_cmp_gt_f32_e32 vcc_lo, 0, v101
	v_cndmask_b32_e64 v105, v101, -v101, vcc_lo
	s_delay_alu instid0(VALU_DEP_1) | instskip(NEXT) | instid1(VALU_DEP_1)
	v_pk_add_f32 v[102:103], v[102:103], v[104:105]
	v_cmp_lt_f32_e32 vcc_lo, v102, v103
	v_dual_cndmask_b32 v90, v90, v100 :: v_dual_add_nc_u32 v93, 8, v93
	v_cndmask_b32_e32 v91, v91, v101, vcc_lo
	v_cndmask_b32_e64 v92, v92, s0, vcc_lo
	s_add_co_i32 s0, s0, 1
	s_delay_alu instid0(SALU_CYCLE_1)
	s_cmp_lg_u32 s18, s0
	s_cbranch_scc1 .LBB82_841
.LBB82_842:
	s_wait_dscnt 0x0
	v_cmp_eq_f32_e32 vcc_lo, 0, v90
	v_cmp_eq_f32_e64 s0, 0, v91
	s_and_b32 s0, vcc_lo, s0
	s_delay_alu instid0(SALU_CYCLE_1) | instskip(NEXT) | instid1(SALU_CYCLE_1)
	s_and_saveexec_b32 s1, s0
	s_xor_b32 s0, exec_lo, s1
; %bb.843:
	v_cmp_ne_u32_e32 vcc_lo, 0, v96
	v_cndmask_b32_e32 v96, 41, v96, vcc_lo
; %bb.844:
	s_and_not1_saveexec_b32 s0, s0
	s_cbranch_execz .LBB82_850
; %bb.845:
	v_cmp_ngt_f32_e64 s1, |v90|, |v91|
	s_and_saveexec_b32 s12, s1
	s_delay_alu instid0(SALU_CYCLE_1)
	s_xor_b32 s1, exec_lo, s12
	s_cbranch_execz .LBB82_847
; %bb.846:
	v_div_scale_f32 v93, null, v91, v91, v90
	v_div_scale_f32 v101, vcc_lo, v90, v91, v90
	s_delay_alu instid0(VALU_DEP_2) | instskip(SKIP_1) | instid1(TRANS32_DEP_1)
	v_rcp_f32_e32 v99, v93
	v_nop
	v_fma_f32 v100, -v93, v99, 1.0
	s_delay_alu instid0(VALU_DEP_1) | instskip(NEXT) | instid1(VALU_DEP_1)
	v_fmac_f32_e32 v99, v100, v99
	v_mul_f32_e32 v100, v101, v99
	s_delay_alu instid0(VALU_DEP_1) | instskip(NEXT) | instid1(VALU_DEP_1)
	v_fma_f32 v102, -v93, v100, v101
	v_fmac_f32_e32 v100, v102, v99
	s_delay_alu instid0(VALU_DEP_1) | instskip(NEXT) | instid1(VALU_DEP_1)
	v_fma_f32 v93, -v93, v100, v101
	v_div_fmas_f32 v93, v93, v99, v100
	s_delay_alu instid0(VALU_DEP_1) | instskip(NEXT) | instid1(VALU_DEP_1)
	v_div_fixup_f32 v93, v93, v91, v90
	v_fmac_f32_e32 v91, v90, v93
	s_delay_alu instid0(VALU_DEP_1) | instskip(SKIP_1) | instid1(VALU_DEP_2)
	v_div_scale_f32 v90, null, v91, v91, 1.0
	v_div_scale_f32 v101, vcc_lo, 1.0, v91, 1.0
	v_rcp_f32_e32 v99, v90
	v_nop
	s_delay_alu instid0(TRANS32_DEP_1) | instskip(NEXT) | instid1(VALU_DEP_1)
	v_fma_f32 v100, -v90, v99, 1.0
	v_fmac_f32_e32 v99, v100, v99
	s_delay_alu instid0(VALU_DEP_1) | instskip(NEXT) | instid1(VALU_DEP_1)
	v_mul_f32_e32 v100, v101, v99
	v_fma_f32 v102, -v90, v100, v101
	s_delay_alu instid0(VALU_DEP_1) | instskip(NEXT) | instid1(VALU_DEP_1)
	v_fmac_f32_e32 v100, v102, v99
	v_fma_f32 v90, -v90, v100, v101
	s_delay_alu instid0(VALU_DEP_1) | instskip(NEXT) | instid1(VALU_DEP_1)
	v_div_fmas_f32 v90, v90, v99, v100
	v_div_fixup_f32 v91, v90, v91, 1.0
	s_delay_alu instid0(VALU_DEP_1)
	v_mul_f32_e32 v90, v93, v91
	v_xor_b32_e32 v91, 0x80000000, v91
.LBB82_847:
	s_and_not1_saveexec_b32 s1, s1
	s_cbranch_execz .LBB82_849
; %bb.848:
	s_delay_alu instid0(VALU_DEP_1) | instskip(SKIP_1) | instid1(VALU_DEP_2)
	v_div_scale_f32 v93, null, v90, v90, v91
	v_div_scale_f32 v101, vcc_lo, v91, v90, v91
	v_rcp_f32_e32 v99, v93
	v_nop
	s_delay_alu instid0(TRANS32_DEP_1) | instskip(NEXT) | instid1(VALU_DEP_1)
	v_fma_f32 v100, -v93, v99, 1.0
	v_fmac_f32_e32 v99, v100, v99
	s_delay_alu instid0(VALU_DEP_1) | instskip(NEXT) | instid1(VALU_DEP_1)
	v_mul_f32_e32 v100, v101, v99
	v_fma_f32 v102, -v93, v100, v101
	s_delay_alu instid0(VALU_DEP_1) | instskip(NEXT) | instid1(VALU_DEP_1)
	v_fmac_f32_e32 v100, v102, v99
	v_fma_f32 v93, -v93, v100, v101
	s_delay_alu instid0(VALU_DEP_1) | instskip(NEXT) | instid1(VALU_DEP_1)
	v_div_fmas_f32 v93, v93, v99, v100
	v_div_fixup_f32 v93, v93, v90, v91
	s_delay_alu instid0(VALU_DEP_1) | instskip(NEXT) | instid1(VALU_DEP_1)
	v_fmac_f32_e32 v90, v91, v93
	v_div_scale_f32 v91, null, v90, v90, 1.0
	s_delay_alu instid0(VALU_DEP_1) | instskip(SKIP_1) | instid1(TRANS32_DEP_1)
	v_rcp_f32_e32 v99, v91
	v_nop
	v_fma_f32 v100, -v91, v99, 1.0
	s_delay_alu instid0(VALU_DEP_1) | instskip(SKIP_1) | instid1(VALU_DEP_1)
	v_fmac_f32_e32 v99, v100, v99
	v_div_scale_f32 v100, vcc_lo, 1.0, v90, 1.0
	v_mul_f32_e32 v101, v100, v99
	s_delay_alu instid0(VALU_DEP_1) | instskip(NEXT) | instid1(VALU_DEP_1)
	v_fma_f32 v102, -v91, v101, v100
	v_fmac_f32_e32 v101, v102, v99
	s_delay_alu instid0(VALU_DEP_1) | instskip(NEXT) | instid1(VALU_DEP_1)
	v_fma_f32 v91, -v91, v101, v100
	v_div_fmas_f32 v91, v91, v99, v101
	s_delay_alu instid0(VALU_DEP_1) | instskip(NEXT) | instid1(VALU_DEP_1)
	v_div_fixup_f32 v90, v91, v90, 1.0
	v_mul_f32_e64 v91, v93, -v90
.LBB82_849:
	s_or_b32 exec_lo, exec_lo, s1
.LBB82_850:
	s_delay_alu instid0(SALU_CYCLE_1) | instskip(NEXT) | instid1(SALU_CYCLE_1)
	s_or_b32 exec_lo, exec_lo, s0
	s_mov_b32 s0, exec_lo
	v_cmpx_ne_u32_e64 v98, v92
	s_xor_b32 s0, exec_lo, s0
	s_cbranch_execz .LBB82_856
; %bb.851:
	s_mov_b32 s1, exec_lo
	v_cmpx_eq_u32_e32 40, v98
	s_cbranch_execz .LBB82_855
; %bb.852:
	v_cmp_ne_u32_e32 vcc_lo, 40, v92
	s_xor_b32 s12, s16, -1
	s_delay_alu instid0(SALU_CYCLE_1) | instskip(NEXT) | instid1(SALU_CYCLE_1)
	s_and_b32 s13, s12, vcc_lo
	s_and_saveexec_b32 s12, s13
	s_cbranch_execz .LBB82_854
; %bb.853:
	v_ashrrev_i32_e32 v93, 31, v92
	s_delay_alu instid0(VALU_DEP_1)
	v_lshl_add_u64 v[98:99], v[92:93], 2, v[4:5]
	s_clause 0x1
	global_load_b32 v93, v[98:99], off
	global_load_b32 v97, v[4:5], off offset:160
	s_wait_loadcnt 0x1
	global_store_b32 v[4:5], v93, off offset:160
	s_wait_loadcnt 0x0
	global_store_b32 v[98:99], v97, off
.LBB82_854:
	s_wait_xcnt 0x0
	s_or_b32 exec_lo, exec_lo, s12
	v_dual_mov_b32 v98, v92 :: v_dual_mov_b32 v97, v92
.LBB82_855:
	s_or_b32 exec_lo, exec_lo, s1
.LBB82_856:
	s_and_not1_saveexec_b32 s0, s0
; %bb.857:
	v_mov_b32_e32 v98, 40
	ds_store_b64 v94, v[88:89] offset:328
; %bb.858:
	s_or_b32 exec_lo, exec_lo, s0
	s_delay_alu instid0(SALU_CYCLE_1)
	s_mov_b32 s0, exec_lo
	s_wait_storecnt_dscnt 0x0
	s_barrier_signal -1
	s_barrier_wait -1
	v_cmpx_lt_i32_e32 40, v98
	s_cbranch_execz .LBB82_860
; %bb.859:
	ds_load_b64 v[92:93], v94 offset:328
	v_pk_mul_f32 v[100:101], v[90:91], v[24:25] op_sel:[1,1] op_sel_hi:[0,1]
	s_delay_alu instid0(VALU_DEP_1) | instskip(SKIP_2) | instid1(VALU_DEP_2)
	v_pk_fma_f32 v[102:103], v[90:91], v[24:25], v[100:101] op_sel_hi:[1,0,1]
	v_pk_fma_f32 v[24:25], v[90:91], v[24:25], v[100:101] op_sel_hi:[1,0,1] neg_lo:[0,0,1] neg_hi:[0,0,1]
	s_wait_dscnt 0x0
	v_pk_mul_f32 v[90:91], v[92:93], v[102:103] op_sel:[1,1] op_sel_hi:[0,1]
	s_delay_alu instid0(VALU_DEP_1) | instskip(SKIP_1) | instid1(VALU_DEP_2)
	v_pk_fma_f32 v[100:101], v[92:93], v[24:25], v[90:91] op_sel_hi:[1,0,1]
	v_pk_fma_f32 v[90:91], v[92:93], v[24:25], v[90:91] neg_lo:[0,0,1] neg_hi:[0,0,1]
	v_dual_mov_b32 v25, v103 :: v_dual_mov_b32 v91, v101
	s_delay_alu instid0(VALU_DEP_1)
	v_pk_add_f32 v[88:89], v[88:89], v[90:91] neg_lo:[0,1] neg_hi:[0,1]
.LBB82_860:
	s_or_b32 exec_lo, exec_lo, s0
	v_lshl_add_u32 v90, v98, 3, v94
	s_barrier_signal -1
	s_barrier_wait -1
	ds_store_b64 v90, v[88:89]
	s_wait_dscnt 0x0
	s_barrier_signal -1
	s_barrier_wait -1
	ds_load_b64 v[90:91], v94 offset:328
	v_mov_b32_e32 v92, 41
	s_cmp_lt_i32 s18, 43
	s_cbranch_scc1 .LBB82_863
; %bb.861:
	v_add3_u32 v93, v95, 0, 0x150
	v_mov_b32_e32 v92, 41
	s_mov_b32 s0, 42
.LBB82_862:                             ; =>This Inner Loop Header: Depth=1
	ds_load_b64 v[94:95], v93
	s_wait_dscnt 0x1
	v_cmp_gt_f32_e32 vcc_lo, 0, v90
	v_cndmask_b32_e64 v100, v90, -v90, vcc_lo
	v_cmp_gt_f32_e32 vcc_lo, 0, v91
	v_cndmask_b32_e64 v102, v91, -v91, vcc_lo
	s_wait_dscnt 0x0
	v_cmp_gt_f32_e32 vcc_lo, 0, v94
	v_cndmask_b32_e64 v101, v94, -v94, vcc_lo
	v_cmp_gt_f32_e32 vcc_lo, 0, v95
	v_cndmask_b32_e64 v103, v95, -v95, vcc_lo
	s_delay_alu instid0(VALU_DEP_1) | instskip(NEXT) | instid1(VALU_DEP_1)
	v_pk_add_f32 v[100:101], v[100:101], v[102:103]
	v_cmp_lt_f32_e32 vcc_lo, v100, v101
	v_dual_add_nc_u32 v93, 8, v93 :: v_dual_cndmask_b32 v91, v91, v95, vcc_lo
	v_cndmask_b32_e32 v90, v90, v94, vcc_lo
	v_cndmask_b32_e64 v92, v92, s0, vcc_lo
	s_add_co_i32 s0, s0, 1
	s_delay_alu instid0(SALU_CYCLE_1)
	s_cmp_lg_u32 s18, s0
	s_cbranch_scc1 .LBB82_862
.LBB82_863:
	s_wait_dscnt 0x0
	v_cmp_eq_f32_e32 vcc_lo, 0, v90
	v_cmp_eq_f32_e64 s0, 0, v91
	s_and_b32 s0, vcc_lo, s0
	s_delay_alu instid0(SALU_CYCLE_1) | instskip(NEXT) | instid1(SALU_CYCLE_1)
	s_and_saveexec_b32 s1, s0
	s_xor_b32 s0, exec_lo, s1
; %bb.864:
	v_cmp_ne_u32_e32 vcc_lo, 0, v96
	v_cndmask_b32_e32 v96, 42, v96, vcc_lo
; %bb.865:
	s_and_not1_saveexec_b32 s0, s0
	s_cbranch_execz .LBB82_871
; %bb.866:
	v_cmp_ngt_f32_e64 s1, |v90|, |v91|
	s_and_saveexec_b32 s12, s1
	s_delay_alu instid0(SALU_CYCLE_1)
	s_xor_b32 s1, exec_lo, s12
	s_cbranch_execz .LBB82_868
; %bb.867:
	v_div_scale_f32 v93, null, v91, v91, v90
	v_div_scale_f32 v99, vcc_lo, v90, v91, v90
	s_delay_alu instid0(VALU_DEP_2) | instskip(SKIP_1) | instid1(TRANS32_DEP_1)
	v_rcp_f32_e32 v94, v93
	v_nop
	v_fma_f32 v95, -v93, v94, 1.0
	s_delay_alu instid0(VALU_DEP_1) | instskip(NEXT) | instid1(VALU_DEP_1)
	v_fmac_f32_e32 v94, v95, v94
	v_mul_f32_e32 v95, v99, v94
	s_delay_alu instid0(VALU_DEP_1) | instskip(NEXT) | instid1(VALU_DEP_1)
	v_fma_f32 v100, -v93, v95, v99
	v_fmac_f32_e32 v95, v100, v94
	s_delay_alu instid0(VALU_DEP_1) | instskip(NEXT) | instid1(VALU_DEP_1)
	v_fma_f32 v93, -v93, v95, v99
	v_div_fmas_f32 v93, v93, v94, v95
	s_delay_alu instid0(VALU_DEP_1) | instskip(NEXT) | instid1(VALU_DEP_1)
	v_div_fixup_f32 v93, v93, v91, v90
	v_fmac_f32_e32 v91, v90, v93
	s_delay_alu instid0(VALU_DEP_1) | instskip(SKIP_1) | instid1(VALU_DEP_2)
	v_div_scale_f32 v90, null, v91, v91, 1.0
	v_div_scale_f32 v99, vcc_lo, 1.0, v91, 1.0
	v_rcp_f32_e32 v94, v90
	v_nop
	s_delay_alu instid0(TRANS32_DEP_1) | instskip(NEXT) | instid1(VALU_DEP_1)
	v_fma_f32 v95, -v90, v94, 1.0
	v_fmac_f32_e32 v94, v95, v94
	s_delay_alu instid0(VALU_DEP_1) | instskip(NEXT) | instid1(VALU_DEP_1)
	v_mul_f32_e32 v95, v99, v94
	v_fma_f32 v100, -v90, v95, v99
	s_delay_alu instid0(VALU_DEP_1) | instskip(NEXT) | instid1(VALU_DEP_1)
	v_fmac_f32_e32 v95, v100, v94
	v_fma_f32 v90, -v90, v95, v99
	s_delay_alu instid0(VALU_DEP_1) | instskip(NEXT) | instid1(VALU_DEP_1)
	v_div_fmas_f32 v90, v90, v94, v95
	v_div_fixup_f32 v91, v90, v91, 1.0
	s_delay_alu instid0(VALU_DEP_1)
	v_mul_f32_e32 v90, v93, v91
	v_xor_b32_e32 v91, 0x80000000, v91
.LBB82_868:
	s_and_not1_saveexec_b32 s1, s1
	s_cbranch_execz .LBB82_870
; %bb.869:
	s_delay_alu instid0(VALU_DEP_1) | instskip(SKIP_1) | instid1(VALU_DEP_2)
	v_div_scale_f32 v93, null, v90, v90, v91
	v_div_scale_f32 v99, vcc_lo, v91, v90, v91
	v_rcp_f32_e32 v94, v93
	v_nop
	s_delay_alu instid0(TRANS32_DEP_1) | instskip(NEXT) | instid1(VALU_DEP_1)
	v_fma_f32 v95, -v93, v94, 1.0
	v_fmac_f32_e32 v94, v95, v94
	s_delay_alu instid0(VALU_DEP_1) | instskip(NEXT) | instid1(VALU_DEP_1)
	v_mul_f32_e32 v95, v99, v94
	v_fma_f32 v100, -v93, v95, v99
	s_delay_alu instid0(VALU_DEP_1) | instskip(NEXT) | instid1(VALU_DEP_1)
	v_fmac_f32_e32 v95, v100, v94
	v_fma_f32 v93, -v93, v95, v99
	s_delay_alu instid0(VALU_DEP_1) | instskip(NEXT) | instid1(VALU_DEP_1)
	v_div_fmas_f32 v93, v93, v94, v95
	v_div_fixup_f32 v93, v93, v90, v91
	s_delay_alu instid0(VALU_DEP_1) | instskip(NEXT) | instid1(VALU_DEP_1)
	v_fmac_f32_e32 v90, v91, v93
	v_div_scale_f32 v91, null, v90, v90, 1.0
	s_delay_alu instid0(VALU_DEP_1) | instskip(SKIP_1) | instid1(TRANS32_DEP_1)
	v_rcp_f32_e32 v94, v91
	v_nop
	v_fma_f32 v95, -v91, v94, 1.0
	s_delay_alu instid0(VALU_DEP_1) | instskip(SKIP_1) | instid1(VALU_DEP_1)
	v_fmac_f32_e32 v94, v95, v94
	v_div_scale_f32 v95, vcc_lo, 1.0, v90, 1.0
	v_mul_f32_e32 v99, v95, v94
	s_delay_alu instid0(VALU_DEP_1) | instskip(NEXT) | instid1(VALU_DEP_1)
	v_fma_f32 v100, -v91, v99, v95
	v_fmac_f32_e32 v99, v100, v94
	s_delay_alu instid0(VALU_DEP_1) | instskip(NEXT) | instid1(VALU_DEP_1)
	v_fma_f32 v91, -v91, v99, v95
	v_div_fmas_f32 v91, v91, v94, v99
	s_delay_alu instid0(VALU_DEP_1) | instskip(NEXT) | instid1(VALU_DEP_1)
	v_div_fixup_f32 v90, v91, v90, 1.0
	v_mul_f32_e64 v91, v93, -v90
.LBB82_870:
	s_or_b32 exec_lo, exec_lo, s1
.LBB82_871:
	s_delay_alu instid0(SALU_CYCLE_1)
	s_or_b32 exec_lo, exec_lo, s0
	v_mov_b32_e32 v94, 41
	s_mov_b32 s0, exec_lo
	v_cmpx_ne_u32_e64 v98, v92
	s_cbranch_execz .LBB82_877
; %bb.872:
	s_mov_b32 s1, exec_lo
	v_cmpx_eq_u32_e32 41, v98
	s_cbranch_execz .LBB82_876
; %bb.873:
	v_cmp_ne_u32_e32 vcc_lo, 41, v92
	s_xor_b32 s12, s16, -1
	s_delay_alu instid0(SALU_CYCLE_1) | instskip(NEXT) | instid1(SALU_CYCLE_1)
	s_and_b32 s13, s12, vcc_lo
	s_and_saveexec_b32 s12, s13
	s_cbranch_execz .LBB82_875
; %bb.874:
	v_ashrrev_i32_e32 v93, 31, v92
	s_delay_alu instid0(VALU_DEP_1)
	v_lshl_add_u64 v[94:95], v[92:93], 2, v[4:5]
	s_clause 0x1
	global_load_b32 v93, v[94:95], off
	global_load_b32 v97, v[4:5], off offset:164
	s_wait_loadcnt 0x1
	global_store_b32 v[4:5], v93, off offset:164
	s_wait_loadcnt 0x0
	global_store_b32 v[94:95], v97, off
.LBB82_875:
	s_wait_xcnt 0x0
	s_or_b32 exec_lo, exec_lo, s12
	v_dual_mov_b32 v98, v92 :: v_dual_mov_b32 v97, v92
.LBB82_876:
	s_or_b32 exec_lo, exec_lo, s1
	s_delay_alu instid0(VALU_DEP_1)
	v_mov_b32_e32 v94, v98
.LBB82_877:
	s_or_b32 exec_lo, exec_lo, s0
	s_delay_alu instid0(VALU_DEP_1)
	v_ashrrev_i32_e32 v95, 31, v94
	s_mov_b32 s0, exec_lo
	s_wait_storecnt 0x0
	s_barrier_signal -1
	s_barrier_wait -1
	s_barrier_signal -1
	s_barrier_wait -1
	v_cmpx_gt_i32_e32 42, v94
	s_cbranch_execz .LBB82_879
; %bb.878:
	v_mul_u64_e32 v[4:5], s[10:11], v[2:3]
	v_add3_u32 v92, v97, s17, 1
	s_delay_alu instid0(VALU_DEP_2) | instskip(NEXT) | instid1(VALU_DEP_1)
	v_lshl_add_u64 v[4:5], v[4:5], 2, s[6:7]
	v_lshl_add_u64 v[4:5], s[8:9], 2, v[4:5]
	s_delay_alu instid0(VALU_DEP_1)
	v_lshl_add_u64 v[4:5], v[94:95], 2, v[4:5]
	global_store_b32 v[4:5], v92, off
.LBB82_879:
	s_wait_xcnt 0x0
	s_or_b32 exec_lo, exec_lo, s0
	s_delay_alu instid0(SALU_CYCLE_1)
	s_mov_b32 s1, exec_lo
	v_cmpx_eq_u32_e32 0, v94
	s_cbranch_execz .LBB82_882
; %bb.880:
	s_wait_kmcnt 0x0
	v_lshl_add_u64 v[2:3], v[2:3], 2, s[4:5]
	v_cmp_ne_u32_e64 s0, 0, v96
	global_load_b32 v4, v[2:3], off
	s_wait_loadcnt 0x0
	v_cmp_eq_u32_e32 vcc_lo, 0, v4
	s_and_b32 s0, vcc_lo, s0
	s_wait_xcnt 0x0
	s_and_b32 exec_lo, exec_lo, s0
	s_cbranch_execz .LBB82_882
; %bb.881:
	v_add_nc_u32_e32 v4, s17, v96
	global_store_b32 v[2:3], v4, off
.LBB82_882:
	s_wait_xcnt 0x0
	s_or_b32 exec_lo, exec_lo, s1
	v_add3_u32 v4, s2, s2, v94
	v_pk_mul_f32 v[2:3], v[90:91], v[88:89] op_sel:[1,1] op_sel_hi:[0,1]
	v_cmp_lt_i32_e32 vcc_lo, 41, v94
	v_lshl_add_u64 v[94:95], v[94:95], 3, v[0:1]
	s_delay_alu instid0(VALU_DEP_4) | instskip(NEXT) | instid1(VALU_DEP_4)
	v_add_nc_u32_e32 v92, s2, v4
	v_pk_fma_f32 v[106:107], v[90:91], v[88:89], v[2:3] op_sel_hi:[1,0,1]
	v_pk_fma_f32 v[2:3], v[90:91], v[88:89], v[2:3] neg_lo:[0,0,1] neg_hi:[0,0,1]
	global_store_b64 v[94:95], v[86:87], off
	s_wait_xcnt 0x0
	v_lshl_add_u64 v[86:87], s[2:3], 3, v[94:95]
	v_dual_cndmask_b32 v3, v89, v107 :: v_dual_add_nc_u32 v96, s2, v92
	v_dual_cndmask_b32 v2, v88, v2 :: v_dual_ashrrev_i32 v5, 31, v4
	global_store_b64 v[86:87], v[84:85], off
	v_add_nc_u32_e32 v98, s2, v96
	v_lshl_add_u64 v[4:5], v[4:5], 3, v[0:1]
	s_delay_alu instid0(VALU_DEP_2) | instskip(SKIP_2) | instid1(VALU_DEP_1)
	v_dual_add_nc_u32 v100, s2, v98 :: v_dual_ashrrev_i32 v99, 31, v98
	global_store_b64 v[4:5], v[82:83], off
	v_add_nc_u32_e32 v102, s2, v100
	v_dual_add_nc_u32 v104, s2, v102 :: v_dual_ashrrev_i32 v97, 31, v96
	s_delay_alu instid0(VALU_DEP_1) | instskip(NEXT) | instid1(VALU_DEP_1)
	v_dual_ashrrev_i32 v103, 31, v102 :: v_dual_add_nc_u32 v90, s2, v104
	v_add_nc_u32_e32 v88, s2, v90
	s_delay_alu instid0(VALU_DEP_1) | instskip(NEXT) | instid1(VALU_DEP_1)
	v_add_nc_u32_e32 v106, s2, v88
	v_add_nc_u32_e32 v94, s2, v106
	v_ashrrev_i32_e32 v91, 31, v90
	s_wait_xcnt 0x1
	s_delay_alu instid0(VALU_DEP_2) | instskip(NEXT) | instid1(VALU_DEP_1)
	v_dual_add_nc_u32 v84, s2, v94 :: v_dual_ashrrev_i32 v89, 31, v88
	v_dual_ashrrev_i32 v107, 31, v106 :: v_dual_add_nc_u32 v86, s2, v84
	v_ashrrev_i32_e32 v93, 31, v92
	s_wait_xcnt 0x0
	s_delay_alu instid0(VALU_DEP_2) | instskip(NEXT) | instid1(VALU_DEP_2)
	v_dual_ashrrev_i32 v85, 31, v84 :: v_dual_add_nc_u32 v4, s2, v86
	v_lshl_add_u64 v[82:83], v[92:93], 3, v[0:1]
	v_lshl_add_u64 v[92:93], v[96:97], 3, v[0:1]
	s_clause 0x1
	global_store_b64 v[82:83], v[80:81], off
	global_store_b64 v[92:93], v[66:67], off
	v_add_nc_u32_e32 v96, s2, v4
	s_wait_xcnt 0x1
	v_lshl_add_u64 v[82:83], v[98:99], 3, v[0:1]
	v_lshl_add_u64 v[98:99], v[102:103], 3, v[0:1]
	v_dual_ashrrev_i32 v87, 31, v86 :: v_dual_ashrrev_i32 v5, 31, v4
	s_wait_xcnt 0x0
	v_add_nc_u32_e32 v66, s2, v96
	v_ashrrev_i32_e32 v101, 31, v100
	v_ashrrev_i32_e32 v97, 31, v96
	v_lshl_add_u64 v[4:5], v[4:5], 3, v[0:1]
	s_delay_alu instid0(VALU_DEP_4) | instskip(NEXT) | instid1(VALU_DEP_4)
	v_add_nc_u32_e32 v80, s2, v66
	v_lshl_add_u64 v[92:93], v[100:101], 3, v[0:1]
	s_delay_alu instid0(VALU_DEP_2) | instskip(SKIP_2) | instid1(VALU_DEP_2)
	v_dual_ashrrev_i32 v67, 31, v66 :: v_dual_add_nc_u32 v102, s2, v80
	v_ashrrev_i32_e32 v105, 31, v104
	v_ashrrev_i32_e32 v81, 31, v80
	v_lshl_add_u64 v[100:101], v[104:105], 3, v[0:1]
	s_clause 0x3
	global_store_b64 v[82:83], v[16:17], off
	global_store_b64 v[92:93], v[18:19], off
	;; [unrolled: 1-line block ×4, first 2 shown]
	s_wait_xcnt 0x1
	v_add_nc_u32_e32 v14, s2, v102
	v_lshl_add_u64 v[18:19], v[90:91], 3, v[0:1]
	s_wait_xcnt 0x0
	v_lshl_add_u64 v[68:69], v[88:89], 3, v[0:1]
	v_lshl_add_u64 v[82:83], v[106:107], 3, v[0:1]
	v_add_nc_u32_e32 v16, s2, v14
	v_ashrrev_i32_e32 v95, 31, v94
	s_delay_alu instid0(VALU_DEP_2) | instskip(SKIP_1) | instid1(VALU_DEP_3)
	v_dual_ashrrev_i32 v15, 31, v14 :: v_dual_ashrrev_i32 v17, 31, v16
	v_add_nc_u32_e32 v90, s2, v16
	v_lshl_add_u64 v[88:89], v[94:95], 3, v[0:1]
	s_clause 0x3
	global_store_b64 v[18:19], v[22:23], off
	global_store_b64 v[68:69], v[26:27], off
	;; [unrolled: 1-line block ×4, first 2 shown]
	s_wait_xcnt 0x3
	v_lshl_add_u64 v[22:23], v[84:85], 3, v[0:1]
	v_add_nc_u32_e32 v18, s2, v90
	s_wait_xcnt 0x2
	v_lshl_add_u64 v[26:27], v[86:87], 3, v[0:1]
	v_lshl_add_u64 v[68:69], v[96:97], 3, v[0:1]
	s_clause 0x3
	global_store_b64 v[22:23], v[58:59], off
	global_store_b64 v[26:27], v[60:61], off
	;; [unrolled: 1-line block ×4, first 2 shown]
	s_wait_xcnt 0x5
	v_add_nc_u32_e32 v20, s2, v18
	s_wait_xcnt 0x1
	v_lshl_add_u64 v[56:57], v[80:81], 3, v[0:1]
	v_lshl_add_u64 v[14:15], v[14:15], 3, v[0:1]
	;; [unrolled: 1-line block ×4, first 2 shown]
	v_dual_add_nc_u32 v78, s2, v20 :: v_dual_ashrrev_i32 v21, 31, v20
	s_delay_alu instid0(VALU_DEP_1) | instskip(SKIP_1) | instid1(VALU_DEP_3)
	v_add_nc_u32_e32 v4, s2, v78
	v_ashrrev_i32_e32 v103, 31, v102
	v_lshl_add_u64 v[20:21], v[20:21], 3, v[0:1]
	s_delay_alu instid0(VALU_DEP_3) | instskip(NEXT) | instid1(VALU_DEP_3)
	v_add_nc_u32_e32 v22, s2, v4
	v_lshl_add_u64 v[58:59], v[102:103], 3, v[0:1]
	s_clause 0x3
	global_store_b64 v[26:27], v[50:51], off
	global_store_b64 v[56:57], v[52:53], off
	;; [unrolled: 1-line block ×4, first 2 shown]
	v_add_nc_u32_e32 v60, s2, v22
	v_ashrrev_i32_e32 v19, 31, v18
	s_wait_xcnt 0x0
	s_delay_alu instid0(VALU_DEP_2) | instskip(SKIP_3) | instid1(VALU_DEP_4)
	v_dual_ashrrev_i32 v23, 31, v22 :: v_dual_add_nc_u32 v14, s2, v60
	v_dual_ashrrev_i32 v91, 31, v90 :: v_dual_ashrrev_i32 v5, 31, v4
	v_ashrrev_i32_e32 v61, 31, v60
	v_lshl_add_u64 v[18:19], v[18:19], 3, v[0:1]
	v_add_nc_u32_e32 v26, s2, v14
	s_delay_alu instid0(VALU_DEP_4)
	v_lshl_add_u64 v[48:49], v[90:91], 3, v[0:1]
	s_clause 0x3
	global_store_b64 v[16:17], v[44:45], off
	global_store_b64 v[48:49], v[46:47], off
	;; [unrolled: 1-line block ×4, first 2 shown]
	v_add_nc_u32_e32 v50, s2, v26
	v_lshl_add_u64 v[4:5], v[4:5], 3, v[0:1]
	v_lshl_add_u64 v[22:23], v[22:23], 3, v[0:1]
	s_wait_xcnt 0x1
	v_lshl_add_u64 v[42:43], v[60:61], 3, v[0:1]
	v_add_nc_u32_e32 v16, s2, v50
	s_delay_alu instid0(VALU_DEP_1) | instskip(SKIP_1) | instid1(VALU_DEP_1)
	v_dual_ashrrev_i32 v79, 31, v78 :: v_dual_add_nc_u32 v18, s2, v16
	s_wait_xcnt 0x0
	v_lshl_add_u64 v[20:21], v[78:79], 3, v[0:1]
	s_clause 0x3
	global_store_b64 v[20:21], v[36:37], off
	global_store_b64 v[4:5], v[38:39], off
	;; [unrolled: 1-line block ×4, first 2 shown]
	v_add_nc_u32_e32 v44, s2, v18
	s_wait_xcnt 0x2
	s_delay_alu instid0(VALU_DEP_1) | instskip(SKIP_1) | instid1(VALU_DEP_2)
	v_dual_add_nc_u32 v4, s2, v44 :: v_dual_ashrrev_i32 v27, 31, v26
	v_dual_ashrrev_i32 v51, 31, v50 :: v_dual_ashrrev_i32 v17, 31, v16
	v_dual_add_nc_u32 v20, s2, v4 :: v_dual_ashrrev_i32 v5, 31, v4
	s_wait_xcnt 0x1
	s_delay_alu instid0(VALU_DEP_3) | instskip(NEXT) | instid1(VALU_DEP_3)
	v_lshl_add_u64 v[22:23], v[26:27], 3, v[0:1]
	v_lshl_add_u64 v[26:27], v[50:51], 3, v[0:1]
	v_lshl_add_u64 v[16:17], v[16:17], 3, v[0:1]
	v_dual_add_nc_u32 v34, s2, v20 :: v_dual_ashrrev_i32 v15, 31, v14
	v_ashrrev_i32_e32 v45, 31, v44
	v_ashrrev_i32_e32 v21, 31, v20
	v_lshl_add_u64 v[4:5], v[4:5], 3, v[0:1]
	s_delay_alu instid0(VALU_DEP_4)
	v_lshl_add_u64 v[14:15], v[14:15], 3, v[0:1]
	s_clause 0x3
	global_store_b64 v[14:15], v[30:31], off
	global_store_b64 v[22:23], v[32:33], off
	;; [unrolled: 1-line block ×4, first 2 shown]
	s_wait_xcnt 0x3
	v_add_nc_u32_e32 v14, s2, v34
	s_wait_xcnt 0x2
	v_lshl_add_u64 v[22:23], v[44:45], 3, v[0:1]
	v_lshl_add_u64 v[20:21], v[20:21], 3, v[0:1]
	s_wait_xcnt 0x0
	v_dual_add_nc_u32 v16, s2, v14 :: v_dual_ashrrev_i32 v15, 31, v14
	s_delay_alu instid0(VALU_DEP_1) | instskip(SKIP_1) | instid1(VALU_DEP_2)
	v_dual_ashrrev_i32 v19, 31, v18 :: v_dual_add_nc_u32 v26, s2, v16
	v_ashrrev_i32_e32 v17, 31, v16
	v_lshl_add_u64 v[18:19], v[18:19], 3, v[0:1]
	s_clause 0x3
	global_store_b64 v[18:19], v[10:11], off
	global_store_b64 v[22:23], v[12:13], off
	;; [unrolled: 1-line block ×4, first 2 shown]
	s_wait_xcnt 0x1
	v_add_nc_u32_e32 v4, s2, v26
	v_ashrrev_i32_e32 v35, 31, v34
	v_ashrrev_i32_e32 v27, 31, v26
	v_lshl_add_u64 v[10:11], v[14:15], 3, v[0:1]
	v_lshl_add_u64 v[12:13], v[16:17], 3, v[0:1]
	v_ashrrev_i32_e32 v5, 31, v4
	v_lshl_add_u64 v[8:9], v[34:35], 3, v[0:1]
	v_lshl_add_u64 v[14:15], v[26:27], 3, v[0:1]
	s_delay_alu instid0(VALU_DEP_3)
	v_lshl_add_u64 v[0:1], v[4:5], 3, v[0:1]
	s_clause 0x4
	global_store_b64 v[8:9], v[6:7], off
	global_store_b64 v[10:11], v[54:55], off
	;; [unrolled: 1-line block ×5, first 2 shown]
.LBB82_883:
	s_sendmsg sendmsg(MSG_DEALLOC_VGPRS)
	s_endpgm
	.section	.rodata,"a",@progbits
	.p2align	6, 0x0
	.amdhsa_kernel _ZN9rocsolver6v33100L18getf2_small_kernelILi42E19rocblas_complex_numIfEiiPS3_EEvT1_T3_lS5_lPS5_llPT2_S5_S5_S7_l
		.amdhsa_group_segment_fixed_size 0
		.amdhsa_private_segment_fixed_size 0
		.amdhsa_kernarg_size 352
		.amdhsa_user_sgpr_count 2
		.amdhsa_user_sgpr_dispatch_ptr 0
		.amdhsa_user_sgpr_queue_ptr 0
		.amdhsa_user_sgpr_kernarg_segment_ptr 1
		.amdhsa_user_sgpr_dispatch_id 0
		.amdhsa_user_sgpr_kernarg_preload_length 0
		.amdhsa_user_sgpr_kernarg_preload_offset 0
		.amdhsa_user_sgpr_private_segment_size 0
		.amdhsa_wavefront_size32 1
		.amdhsa_uses_dynamic_stack 0
		.amdhsa_enable_private_segment 0
		.amdhsa_system_sgpr_workgroup_id_x 1
		.amdhsa_system_sgpr_workgroup_id_y 1
		.amdhsa_system_sgpr_workgroup_id_z 0
		.amdhsa_system_sgpr_workgroup_info 0
		.amdhsa_system_vgpr_workitem_id 1
		.amdhsa_next_free_vgpr 114
		.amdhsa_next_free_sgpr 19
		.amdhsa_named_barrier_count 0
		.amdhsa_reserve_vcc 1
		.amdhsa_float_round_mode_32 0
		.amdhsa_float_round_mode_16_64 0
		.amdhsa_float_denorm_mode_32 3
		.amdhsa_float_denorm_mode_16_64 3
		.amdhsa_fp16_overflow 0
		.amdhsa_memory_ordered 1
		.amdhsa_forward_progress 1
		.amdhsa_inst_pref_size 255
		.amdhsa_round_robin_scheduling 0
		.amdhsa_exception_fp_ieee_invalid_op 0
		.amdhsa_exception_fp_denorm_src 0
		.amdhsa_exception_fp_ieee_div_zero 0
		.amdhsa_exception_fp_ieee_overflow 0
		.amdhsa_exception_fp_ieee_underflow 0
		.amdhsa_exception_fp_ieee_inexact 0
		.amdhsa_exception_int_div_zero 0
	.end_amdhsa_kernel
	.section	.text._ZN9rocsolver6v33100L18getf2_small_kernelILi42E19rocblas_complex_numIfEiiPS3_EEvT1_T3_lS5_lPS5_llPT2_S5_S5_S7_l,"axG",@progbits,_ZN9rocsolver6v33100L18getf2_small_kernelILi42E19rocblas_complex_numIfEiiPS3_EEvT1_T3_lS5_lPS5_llPT2_S5_S5_S7_l,comdat
.Lfunc_end82:
	.size	_ZN9rocsolver6v33100L18getf2_small_kernelILi42E19rocblas_complex_numIfEiiPS3_EEvT1_T3_lS5_lPS5_llPT2_S5_S5_S7_l, .Lfunc_end82-_ZN9rocsolver6v33100L18getf2_small_kernelILi42E19rocblas_complex_numIfEiiPS3_EEvT1_T3_lS5_lPS5_llPT2_S5_S5_S7_l
                                        ; -- End function
	.set _ZN9rocsolver6v33100L18getf2_small_kernelILi42E19rocblas_complex_numIfEiiPS3_EEvT1_T3_lS5_lPS5_llPT2_S5_S5_S7_l.num_vgpr, 114
	.set _ZN9rocsolver6v33100L18getf2_small_kernelILi42E19rocblas_complex_numIfEiiPS3_EEvT1_T3_lS5_lPS5_llPT2_S5_S5_S7_l.num_agpr, 0
	.set _ZN9rocsolver6v33100L18getf2_small_kernelILi42E19rocblas_complex_numIfEiiPS3_EEvT1_T3_lS5_lPS5_llPT2_S5_S5_S7_l.numbered_sgpr, 19
	.set _ZN9rocsolver6v33100L18getf2_small_kernelILi42E19rocblas_complex_numIfEiiPS3_EEvT1_T3_lS5_lPS5_llPT2_S5_S5_S7_l.num_named_barrier, 0
	.set _ZN9rocsolver6v33100L18getf2_small_kernelILi42E19rocblas_complex_numIfEiiPS3_EEvT1_T3_lS5_lPS5_llPT2_S5_S5_S7_l.private_seg_size, 0
	.set _ZN9rocsolver6v33100L18getf2_small_kernelILi42E19rocblas_complex_numIfEiiPS3_EEvT1_T3_lS5_lPS5_llPT2_S5_S5_S7_l.uses_vcc, 1
	.set _ZN9rocsolver6v33100L18getf2_small_kernelILi42E19rocblas_complex_numIfEiiPS3_EEvT1_T3_lS5_lPS5_llPT2_S5_S5_S7_l.uses_flat_scratch, 0
	.set _ZN9rocsolver6v33100L18getf2_small_kernelILi42E19rocblas_complex_numIfEiiPS3_EEvT1_T3_lS5_lPS5_llPT2_S5_S5_S7_l.has_dyn_sized_stack, 0
	.set _ZN9rocsolver6v33100L18getf2_small_kernelILi42E19rocblas_complex_numIfEiiPS3_EEvT1_T3_lS5_lPS5_llPT2_S5_S5_S7_l.has_recursion, 0
	.set _ZN9rocsolver6v33100L18getf2_small_kernelILi42E19rocblas_complex_numIfEiiPS3_EEvT1_T3_lS5_lPS5_llPT2_S5_S5_S7_l.has_indirect_call, 0
	.section	.AMDGPU.csdata,"",@progbits
; Kernel info:
; codeLenInByte = 92140
; TotalNumSgprs: 21
; NumVgprs: 114
; ScratchSize: 0
; MemoryBound: 0
; FloatMode: 240
; IeeeMode: 1
; LDSByteSize: 0 bytes/workgroup (compile time only)
; SGPRBlocks: 0
; VGPRBlocks: 7
; NumSGPRsForWavesPerEU: 21
; NumVGPRsForWavesPerEU: 114
; NamedBarCnt: 0
; Occupancy: 8
; WaveLimiterHint : 0
; COMPUTE_PGM_RSRC2:SCRATCH_EN: 0
; COMPUTE_PGM_RSRC2:USER_SGPR: 2
; COMPUTE_PGM_RSRC2:TRAP_HANDLER: 0
; COMPUTE_PGM_RSRC2:TGID_X_EN: 1
; COMPUTE_PGM_RSRC2:TGID_Y_EN: 1
; COMPUTE_PGM_RSRC2:TGID_Z_EN: 0
; COMPUTE_PGM_RSRC2:TIDIG_COMP_CNT: 1
	.section	.text._ZN9rocsolver6v33100L23getf2_npvt_small_kernelILi42E19rocblas_complex_numIfEiiPS3_EEvT1_T3_lS5_lPT2_S5_S5_,"axG",@progbits,_ZN9rocsolver6v33100L23getf2_npvt_small_kernelILi42E19rocblas_complex_numIfEiiPS3_EEvT1_T3_lS5_lPT2_S5_S5_,comdat
	.globl	_ZN9rocsolver6v33100L23getf2_npvt_small_kernelILi42E19rocblas_complex_numIfEiiPS3_EEvT1_T3_lS5_lPT2_S5_S5_ ; -- Begin function _ZN9rocsolver6v33100L23getf2_npvt_small_kernelILi42E19rocblas_complex_numIfEiiPS3_EEvT1_T3_lS5_lPT2_S5_S5_
	.p2align	8
	.type	_ZN9rocsolver6v33100L23getf2_npvt_small_kernelILi42E19rocblas_complex_numIfEiiPS3_EEvT1_T3_lS5_lPT2_S5_S5_,@function
_ZN9rocsolver6v33100L23getf2_npvt_small_kernelILi42E19rocblas_complex_numIfEiiPS3_EEvT1_T3_lS5_lPT2_S5_S5_: ; @_ZN9rocsolver6v33100L23getf2_npvt_small_kernelILi42E19rocblas_complex_numIfEiiPS3_EEvT1_T3_lS5_lPT2_S5_S5_
; %bb.0:
	s_clause 0x1
	s_load_u16 s14, s[0:1], 0x46
	s_load_b64 s[2:3], s[0:1], 0x30
	s_bfe_u32 s4, ttmp6, 0x40010
	s_bfe_u32 s5, ttmp6, 0x40004
	s_add_co_i32 s4, s4, 1
	s_getreg_b32 s6, hwreg(HW_REG_IB_STS2, 6, 4)
	s_mul_i32 s4, ttmp7, s4
	v_bfe_u32 v170, v0, 10, 10
	s_add_co_i32 s5, s5, s4
	s_cmp_eq_u32 s6, 0
	s_cselect_b32 s4, ttmp7, s5
	s_wait_kmcnt 0x0
	v_mad_u32 v2, s4, s14, v170
	s_delay_alu instid0(VALU_DEP_1)
	v_cmp_gt_i32_e32 vcc_lo, s2, v2
	s_and_saveexec_b32 s2, vcc_lo
	s_cbranch_execz .LBB83_381
; %bb.1:
	s_clause 0x1
	s_load_b32 s12, s[0:1], 0x18
	s_load_b128 s[8:11], s[0:1], 0x8
	v_and_b32_e32 v254, 0x3ff, v0
	s_load_b128 s[4:7], s[0:1], 0x20
	s_mulk_i32 s14, 0x150
	v_mov_b32_e32 v15, 0
	s_wait_xcnt 0x0
	v_cmp_ne_u32_e64 s1, 0, v254
	v_cmp_eq_u32_e64 s0, 0, v254
	s_wait_kmcnt 0x0
	v_add3_u32 v6, s12, s12, v254
	s_ashr_i32 s13, s12, 31
	s_delay_alu instid0(VALU_DEP_1) | instskip(NEXT) | instid1(VALU_DEP_1)
	v_add_nc_u32_e32 v0, s12, v6
	v_add_nc_u32_e32 v4, s12, v0
	s_delay_alu instid0(VALU_DEP_1) | instskip(SKIP_1) | instid1(VALU_DEP_2)
	v_dual_add_nc_u32 v8, s12, v4 :: v_dual_lshlrev_b32 v14, 3, v254
	v_ashrrev_i32_e32 v1, 31, v0
	v_add_nc_u32_e32 v30, s12, v8
	s_delay_alu instid0(VALU_DEP_1) | instskip(NEXT) | instid1(VALU_DEP_1)
	v_dual_add_nc_u32 v10, s12, v30 :: v_dual_ashrrev_i32 v5, 31, v4
	v_add_nc_u32_e32 v16, s12, v10
	v_dual_ashrrev_i32 v3, 31, v2 :: v_dual_ashrrev_i32 v9, 31, v8
	v_ashrrev_i32_e32 v31, 31, v30
	s_delay_alu instid0(VALU_DEP_3) | instskip(SKIP_1) | instid1(VALU_DEP_4)
	v_dual_ashrrev_i32 v11, 31, v10 :: v_dual_ashrrev_i32 v17, 31, v16
	v_add_nc_u32_e32 v26, s12, v16
	v_mul_u64_e32 v[12:13], s[4:5], v[2:3]
	s_delay_alu instid0(VALU_DEP_2) | instskip(NEXT) | instid1(VALU_DEP_1)
	v_add_nc_u32_e32 v20, s12, v26
	v_add_nc_u32_e32 v22, s12, v20
	s_delay_alu instid0(VALU_DEP_1) | instskip(NEXT) | instid1(VALU_DEP_1)
	v_dual_add_nc_u32 v24, s12, v22 :: v_dual_ashrrev_i32 v23, 31, v22
	v_add_nc_u32_e32 v28, s12, v24
	v_ashrrev_i32_e32 v21, 31, v20
	s_delay_alu instid0(VALU_DEP_2) | instskip(SKIP_1) | instid1(VALU_DEP_2)
	v_add_nc_u32_e32 v34, s12, v28
	v_ashrrev_i32_e32 v25, 31, v24
	v_dual_ashrrev_i32 v29, 31, v28 :: v_dual_add_nc_u32 v36, s12, v34
	v_ashrrev_i32_e32 v7, 31, v6
	v_ashrrev_i32_e32 v35, 31, v34
	v_lshl_add_u64 v[12:13], v[12:13], 3, s[8:9]
	s_delay_alu instid0(VALU_DEP_4) | instskip(NEXT) | instid1(VALU_DEP_2)
	v_dual_add_nc_u32 v38, s12, v36 :: v_dual_ashrrev_i32 v37, 31, v36
	v_lshl_add_u64 v[140:141], s[10:11], 3, v[12:13]
	s_delay_alu instid0(VALU_DEP_2) | instskip(SKIP_2) | instid1(VALU_DEP_4)
	v_add_nc_u32_e32 v44, s12, v38
	v_ashrrev_i32_e32 v27, 31, v26
	v_ashrrev_i32_e32 v39, 31, v38
	v_add_nc_u64_e32 v[18:19], v[140:141], v[14:15]
	v_lshl_add_u64 v[14:15], v[0:1], 3, v[140:141]
	v_add_nc_u32_e32 v46, s12, v44
	v_lshl_add_u64 v[32:33], v[6:7], 3, v[140:141]
	v_lshl_add_u64 v[40:41], v[4:5], 3, v[140:141]
	v_lshl_add_u64 v[4:5], v[8:9], 3, v[140:141]
	v_lshl_add_u64 v[6:7], v[30:31], 3, v[140:141]
	v_add_nc_u32_e32 v0, s12, v46
	v_lshl_add_u64 v[10:11], v[10:11], 3, v[140:141]
	v_lshl_add_u64 v[12:13], v[16:17], 3, v[140:141]
	v_lshl_add_u64 v[16:17], v[26:27], 3, v[140:141]
	;; [unrolled: 5-line block ×3, first 2 shown]
	v_lshl_add_u64 v[34:35], v[34:35], 3, v[140:141]
	v_dual_add_nc_u32 v60, s12, v50 :: v_dual_ashrrev_i32 v51, 31, v50
	s_clause 0x2
	scratch_store_b64 off, v[4:5], off
	scratch_store_b64 off, v[40:41], off offset:24
	scratch_store_b64 off, v[6:7], off offset:8
	v_dual_add_nc_u32 v62, s12, v60 :: v_dual_ashrrev_i32 v61, 31, v60
	v_lshl_add_u64 v[50:51], v[50:51], 3, v[140:141]
	v_lshl_add_u64 v[22:23], v[22:23], 3, v[140:141]
	v_lshl_add_u64 v[36:37], v[36:37], 3, v[140:141]
	s_delay_alu instid0(VALU_DEP_4)
	v_add_nc_u32_e32 v64, s12, v62
	v_lshl_add_u64 v[60:61], v[60:61], 3, v[140:141]
	s_clause 0x3
	global_load_b64 v[58:59], v[40:41], off
	global_load_b64 v[30:31], v[4:5], off
	;; [unrolled: 1-line block ×4, first 2 shown]
	v_dual_add_nc_u32 v66, s12, v64 :: v_dual_ashrrev_i32 v65, 31, v64
	s_clause 0x1
	global_load_b64 v[40:41], v[18:19], off
	global_load_b64 v[42:43], v[26:27], off
	scratch_store_b64 off, v[32:33], off offset:16 ; 8-byte Folded Spill
	v_dual_ashrrev_i32 v45, 31, v44 :: v_dual_add_nc_u32 v82, s12, v66
	v_ashrrev_i32_e32 v67, 31, v66
	v_lshl_add_u64 v[38:39], v[38:39], 3, v[140:141]
	v_lshl_add_u64 v[64:65], v[64:65], 3, v[140:141]
	s_delay_alu instid0(VALU_DEP_4) | instskip(NEXT) | instid1(VALU_DEP_4)
	v_dual_ashrrev_i32 v1, 31, v0 :: v_dual_add_nc_u32 v84, s12, v82
	v_lshl_add_u64 v[66:67], v[66:67], 3, v[140:141]
	v_lshl_add_u64 v[44:45], v[44:45], 3, v[140:141]
	s_clause 0x1
	global_load_b64 v[32:33], v[32:33], off
	global_load_b64 v[74:75], v[14:15], off
	v_dual_ashrrev_i32 v47, 31, v46 :: v_dual_add_nc_u32 v86, s12, v84
	v_lshl_add_u64 v[48:49], v[0:1], 3, v[140:141]
	s_clause 0x7
	global_load_b64 v[72:73], v[12:13], off
	global_load_b64 v[68:69], v[16:17], off
	;; [unrolled: 1-line block ×8, first 2 shown]
	v_lshl_add_u64 v[46:47], v[46:47], 3, v[140:141]
	v_add_nc_u32_e32 v88, s12, v86
	s_clause 0x3
	global_load_b64 v[120:121], v[38:39], off
	global_load_b64 v[118:119], v[44:45], off
	;; [unrolled: 1-line block ×4, first 2 shown]
	v_dual_ashrrev_i32 v63, 31, v62 :: v_dual_ashrrev_i32 v85, 31, v84
	v_dual_add_nc_u32 v0, s12, v88 :: v_dual_ashrrev_i32 v87, 31, v86
	s_delay_alu instid0(VALU_DEP_2)
	v_lshl_add_u64 v[62:63], v[62:63], 3, v[140:141]
	s_clause 0x3
	global_load_b64 v[138:139], v[50:51], off
	global_load_b64 v[78:79], v[60:61], off
	;; [unrolled: 1-line block ×4, first 2 shown]
	v_dual_add_nc_u32 v110, s12, v0 :: v_dual_ashrrev_i32 v1, 31, v0
	v_lshl_add_u64 v[86:87], v[86:87], 3, v[140:141]
	v_lshl_add_u64 v[84:85], v[84:85], 3, v[140:141]
	s_delay_alu instid0(VALU_DEP_3) | instskip(SKIP_3) | instid1(VALU_DEP_4)
	v_dual_ashrrev_i32 v89, 31, v88 :: v_dual_add_nc_u32 v112, s12, v110
	v_ashrrev_i32_e32 v83, 31, v82
	v_lshl_add_u64 v[108:109], v[0:1], 3, v[140:141]
	v_ashrrev_i32_e32 v111, 31, v110
	v_lshl_add_u64 v[88:89], v[88:89], 3, v[140:141]
	v_dual_add_nc_u32 v114, s12, v112 :: v_dual_ashrrev_i32 v113, 31, v112
	v_lshl_add_u64 v[82:83], v[82:83], 3, v[140:141]
	s_clause 0x3
	global_load_b64 v[106:107], v[66:67], off
	global_load_b64 v[102:103], v[82:83], off
	;; [unrolled: 1-line block ×4, first 2 shown]
	v_add_nc_u32_e32 v130, s12, v114
	v_lshl_add_u64 v[112:113], v[112:113], 3, v[140:141]
	v_lshl_add_u64 v[110:111], v[110:111], 3, v[140:141]
	s_clause 0x3
	global_load_b64 v[128:129], v[88:89], off
	global_load_b64 v[124:125], v[108:109], off
	;; [unrolled: 1-line block ×4, first 2 shown]
	v_add_nc_u32_e32 v132, s12, v130
	s_delay_alu instid0(VALU_DEP_1) | instskip(NEXT) | instid1(VALU_DEP_1)
	v_dual_add_nc_u32 v134, s12, v132 :: v_dual_ashrrev_i32 v133, 31, v132
	v_dual_ashrrev_i32 v135, 31, v134 :: v_dual_add_nc_u32 v136, s12, v134
	v_ashrrev_i32_e32 v115, 31, v114
	s_delay_alu instid0(VALU_DEP_3) | instskip(NEXT) | instid1(VALU_DEP_3)
	v_lshl_add_u64 v[132:133], v[132:133], 3, v[140:141]
	v_lshl_add_u64 v[134:135], v[134:135], 3, v[140:141]
	s_delay_alu instid0(VALU_DEP_4) | instskip(NEXT) | instid1(VALU_DEP_4)
	v_add_nc_u32_e32 v0, s12, v136
	v_lshl_add_u64 v[114:115], v[114:115], 3, v[140:141]
	s_delay_alu instid0(VALU_DEP_2) | instskip(NEXT) | instid1(VALU_DEP_1)
	v_dual_add_nc_u32 v152, s12, v0 :: v_dual_ashrrev_i32 v131, 31, v130
	v_add_nc_u32_e32 v154, s12, v152
	v_ashrrev_i32_e32 v137, 31, v136
	v_ashrrev_i32_e32 v1, 31, v0
	s_delay_alu instid0(VALU_DEP_4)
	v_lshl_add_u64 v[130:131], v[130:131], 3, v[140:141]
	s_clause 0x3
	global_load_b64 v[148:149], v[114:115], off
	global_load_b64 v[144:145], v[130:131], off
	;; [unrolled: 1-line block ×4, first 2 shown]
	v_dual_add_nc_u32 v156, s12, v154 :: v_dual_ashrrev_i32 v155, 31, v154
	v_lshl_add_u64 v[136:137], v[136:137], 3, v[140:141]
	v_lshl_add_u64 v[150:151], v[0:1], 3, v[140:141]
	s_delay_alu instid0(VALU_DEP_3)
	v_dual_lshlrev_b32 v1, 3, v170 :: v_dual_add_nc_u32 v158, s12, v156
	v_ashrrev_i32_e32 v157, 31, v156
	v_ashrrev_i32_e32 v153, 31, v152
	v_lshl_add_u64 v[154:155], v[154:155], 3, v[140:141]
	v_mad_u32_u24 v0, 0x150, v170, 0
	v_ashrrev_i32_e32 v159, 31, v158
	v_lshl_add_u64 v[156:157], v[156:157], 3, v[140:141]
	v_lshl_add_u64 v[152:153], v[152:153], 3, v[140:141]
	v_add3_u32 v255, 0, s14, v1
	s_delay_alu instid0(VALU_DEP_4)
	v_lshl_add_u64 v[140:141], v[158:159], 3, v[140:141]
	s_clause 0x5
	global_load_b64 v[164:165], v[136:137], off
	global_load_b64 v[160:161], v[150:151], off
	;; [unrolled: 1-line block ×6, first 2 shown]
	s_wait_xcnt 0x0
	s_and_saveexec_b32 s4, s0
	s_cbranch_execz .LBB83_8
; %bb.2:
	s_wait_loadcnt 0x25
	ds_store_b64 v255, v[40:41]
	s_wait_loadcnt 0x23
	ds_store_2addr_b64 v0, v[42:43], v[32:33] offset0:1 offset1:2
	s_wait_loadcnt 0x22
	ds_store_2addr_b64 v0, v[74:75], v[58:59] offset0:3 offset1:4
	ds_store_2addr_b64 v0, v[30:31], v[56:57] offset0:5 offset1:6
	s_wait_loadcnt 0x21
	ds_store_2addr_b64 v0, v[54:55], v[72:73] offset0:7 offset1:8
	s_wait_loadcnt 0x1f
	;; [unrolled: 2-line block ×18, first 2 shown]
	ds_store_b64 v0, v[168:169] offset:328
	ds_load_b64 v[170:171], v255
	s_wait_dscnt 0x0
	v_cmp_neq_f32_e32 vcc_lo, 0, v170
	v_cmp_neq_f32_e64 s2, 0, v171
	s_or_b32 s2, vcc_lo, s2
	s_delay_alu instid0(SALU_CYCLE_1)
	s_and_b32 exec_lo, exec_lo, s2
	s_cbranch_execz .LBB83_8
; %bb.3:
	v_cmp_ngt_f32_e64 s2, |v170|, |v171|
                                        ; implicit-def: $vgpr172_vgpr173
	s_and_saveexec_b32 s5, s2
	s_delay_alu instid0(SALU_CYCLE_1)
	s_xor_b32 s2, exec_lo, s5
	s_cbranch_execz .LBB83_5
; %bb.4:
	v_div_scale_f32 v1, null, v171, v171, v170
	v_div_scale_f32 v6, vcc_lo, v170, v171, v170
	s_delay_alu instid0(VALU_DEP_2) | instskip(SKIP_1) | instid1(TRANS32_DEP_1)
	v_rcp_f32_e32 v4, v1
	v_nop
	v_fma_f32 v5, -v1, v4, 1.0
	s_delay_alu instid0(VALU_DEP_1) | instskip(NEXT) | instid1(VALU_DEP_1)
	v_fmac_f32_e32 v4, v5, v4
	v_mul_f32_e32 v5, v6, v4
	s_delay_alu instid0(VALU_DEP_1) | instskip(NEXT) | instid1(VALU_DEP_1)
	v_fma_f32 v7, -v1, v5, v6
	v_fmac_f32_e32 v5, v7, v4
	s_delay_alu instid0(VALU_DEP_1) | instskip(NEXT) | instid1(VALU_DEP_1)
	v_fma_f32 v1, -v1, v5, v6
	v_div_fmas_f32 v1, v1, v4, v5
	s_delay_alu instid0(VALU_DEP_1) | instskip(NEXT) | instid1(VALU_DEP_1)
	v_div_fixup_f32 v1, v1, v171, v170
	v_fmac_f32_e32 v171, v170, v1
	s_delay_alu instid0(VALU_DEP_1) | instskip(SKIP_1) | instid1(VALU_DEP_2)
	v_div_scale_f32 v4, null, v171, v171, 1.0
	v_div_scale_f32 v7, vcc_lo, 1.0, v171, 1.0
	v_rcp_f32_e32 v5, v4
	v_nop
	s_delay_alu instid0(TRANS32_DEP_1) | instskip(NEXT) | instid1(VALU_DEP_1)
	v_fma_f32 v6, -v4, v5, 1.0
	v_fmac_f32_e32 v5, v6, v5
	s_delay_alu instid0(VALU_DEP_1) | instskip(NEXT) | instid1(VALU_DEP_1)
	v_mul_f32_e32 v6, v7, v5
	v_fma_f32 v8, -v4, v6, v7
	s_delay_alu instid0(VALU_DEP_1) | instskip(NEXT) | instid1(VALU_DEP_1)
	v_fmac_f32_e32 v6, v8, v5
	v_fma_f32 v4, -v4, v6, v7
	s_delay_alu instid0(VALU_DEP_1) | instskip(NEXT) | instid1(VALU_DEP_1)
	v_div_fmas_f32 v4, v4, v5, v6
	v_div_fixup_f32 v4, v4, v171, 1.0
                                        ; implicit-def: $vgpr170_vgpr171
	s_delay_alu instid0(VALU_DEP_1)
	v_mul_f32_e32 v172, v1, v4
	v_xor_b32_e32 v173, 0x80000000, v4
.LBB83_5:
	s_and_not1_saveexec_b32 s2, s2
	s_cbranch_execz .LBB83_7
; %bb.6:
	v_div_scale_f32 v1, null, v170, v170, v171
	v_div_scale_f32 v6, vcc_lo, v171, v170, v171
	s_delay_alu instid0(VALU_DEP_2) | instskip(SKIP_1) | instid1(TRANS32_DEP_1)
	v_rcp_f32_e32 v4, v1
	v_nop
	v_fma_f32 v5, -v1, v4, 1.0
	s_delay_alu instid0(VALU_DEP_1) | instskip(NEXT) | instid1(VALU_DEP_1)
	v_fmac_f32_e32 v4, v5, v4
	v_mul_f32_e32 v5, v6, v4
	s_delay_alu instid0(VALU_DEP_1) | instskip(NEXT) | instid1(VALU_DEP_1)
	v_fma_f32 v7, -v1, v5, v6
	v_fmac_f32_e32 v5, v7, v4
	s_delay_alu instid0(VALU_DEP_1) | instskip(NEXT) | instid1(VALU_DEP_1)
	v_fma_f32 v1, -v1, v5, v6
	v_div_fmas_f32 v1, v1, v4, v5
	s_delay_alu instid0(VALU_DEP_1) | instskip(NEXT) | instid1(VALU_DEP_1)
	v_div_fixup_f32 v1, v1, v170, v171
	v_fmac_f32_e32 v170, v171, v1
	s_delay_alu instid0(VALU_DEP_1) | instskip(NEXT) | instid1(VALU_DEP_1)
	v_div_scale_f32 v4, null, v170, v170, 1.0
	v_rcp_f32_e32 v5, v4
	v_nop
	s_delay_alu instid0(TRANS32_DEP_1) | instskip(NEXT) | instid1(VALU_DEP_1)
	v_fma_f32 v6, -v4, v5, 1.0
	v_fmac_f32_e32 v5, v6, v5
	v_div_scale_f32 v6, vcc_lo, 1.0, v170, 1.0
	s_delay_alu instid0(VALU_DEP_1) | instskip(NEXT) | instid1(VALU_DEP_1)
	v_mul_f32_e32 v7, v6, v5
	v_fma_f32 v8, -v4, v7, v6
	s_delay_alu instid0(VALU_DEP_1) | instskip(NEXT) | instid1(VALU_DEP_1)
	v_fmac_f32_e32 v7, v8, v5
	v_fma_f32 v4, -v4, v7, v6
	s_delay_alu instid0(VALU_DEP_1) | instskip(NEXT) | instid1(VALU_DEP_1)
	v_div_fmas_f32 v4, v4, v5, v7
	v_div_fixup_f32 v172, v4, v170, 1.0
	s_delay_alu instid0(VALU_DEP_1)
	v_mul_f32_e64 v173, v1, -v172
.LBB83_7:
	s_or_b32 exec_lo, exec_lo, s2
	ds_store_b64 v255, v[172:173]
.LBB83_8:
	s_or_b32 exec_lo, exec_lo, s4
	s_wait_storecnt 0x0
	s_wait_loadcnt_dscnt 0x0
	s_barrier_signal -1
	s_barrier_wait -1
	ds_load_b64 v[170:171], v255
	s_and_saveexec_b32 s2, s1
	s_cbranch_execz .LBB83_10
; %bb.9:
	ds_load_2addr_b64 v[176:179], v0 offset0:1 offset1:2
	s_wait_dscnt 0x1
	v_pk_mul_f32 v[174:175], v[170:171], v[40:41] op_sel:[1,1] op_sel_hi:[0,1]
	s_delay_alu instid0(VALU_DEP_1) | instskip(SKIP_1) | instid1(VALU_DEP_1)
	v_pk_fma_f32 v[172:173], v[170:171], v[40:41], v[174:175] op_sel_hi:[1,0,1] neg_lo:[0,0,1] neg_hi:[0,0,1]
	v_pk_fma_f32 v[174:175], v[170:171], v[40:41], v[174:175] op_sel_hi:[1,0,1]
	v_dual_mov_b32 v40, v172 :: v_dual_mov_b32 v41, v175
	s_wait_dscnt 0x0
	s_delay_alu instid0(VALU_DEP_2) | instskip(NEXT) | instid1(VALU_DEP_1)
	v_pk_mul_f32 v[180:181], v[176:177], v[174:175] op_sel:[0,1]
	v_pk_fma_f32 v[182:183], v[176:177], v[172:173], v[180:181] op_sel:[0,0,1] op_sel_hi:[1,1,0] neg_lo:[0,0,1] neg_hi:[0,0,1]
	v_pk_fma_f32 v[176:177], v[176:177], v[172:173], v[180:181] op_sel:[0,0,1] op_sel_hi:[1,0,0]
	s_delay_alu instid0(VALU_DEP_1) | instskip(SKIP_1) | instid1(VALU_DEP_1)
	v_mov_b32_e32 v183, v177
	v_pk_mul_f32 v[176:177], v[178:179], v[174:175] op_sel:[0,1]
	v_pk_fma_f32 v[180:181], v[178:179], v[172:173], v[176:177] op_sel:[0,0,1] op_sel_hi:[1,1,0] neg_lo:[0,0,1] neg_hi:[0,0,1]
	v_pk_fma_f32 v[176:177], v[178:179], v[172:173], v[176:177] op_sel:[0,0,1] op_sel_hi:[1,0,0]
	s_delay_alu instid0(VALU_DEP_1)
	v_mov_b32_e32 v181, v177
	ds_load_2addr_b64 v[176:179], v0 offset0:3 offset1:4
	v_pk_add_f32 v[42:43], v[42:43], v[182:183] neg_lo:[0,1] neg_hi:[0,1]
	v_pk_add_f32 v[32:33], v[32:33], v[180:181] neg_lo:[0,1] neg_hi:[0,1]
	s_wait_dscnt 0x0
	v_pk_mul_f32 v[180:181], v[176:177], v[174:175] op_sel:[0,1]
	s_delay_alu instid0(VALU_DEP_1) | instskip(SKIP_2) | instid1(VALU_DEP_2)
	v_pk_fma_f32 v[182:183], v[176:177], v[172:173], v[180:181] op_sel:[0,0,1] op_sel_hi:[1,1,0] neg_lo:[0,0,1] neg_hi:[0,0,1]
	v_pk_fma_f32 v[176:177], v[176:177], v[172:173], v[180:181] op_sel:[0,0,1] op_sel_hi:[1,0,0]
	v_dual_mul_f32 v180, v179, v175 :: v_dual_mov_b32 v176, v179
	v_dual_mov_b32 v183, v177 :: v_dual_mov_b32 v177, v178
	s_delay_alu instid0(VALU_DEP_2) | instskip(SKIP_1) | instid1(VALU_DEP_3)
	v_pk_fma_f32 v[180:181], v[178:179], v[40:41], v[180:181] op_sel_hi:[1,1,0] neg_lo:[0,0,1] neg_hi:[0,0,1]
	v_mul_f32_e32 v178, v179, v172
	v_pk_add_f32 v[74:75], v[74:75], v[182:183] neg_lo:[0,1] neg_hi:[0,1]
	s_delay_alu instid0(VALU_DEP_2) | instskip(NEXT) | instid1(VALU_DEP_1)
	v_pk_fma_f32 v[176:177], v[176:177], v[40:41], v[178:179] op_sel_hi:[1,1,0]
	v_mov_b32_e32 v181, v177
	ds_load_2addr_b64 v[176:179], v0 offset0:5 offset1:6
	v_pk_add_f32 v[58:59], v[58:59], v[180:181] neg_lo:[0,1] neg_hi:[0,1]
	s_wait_dscnt 0x0
	v_pk_mul_f32 v[180:181], v[176:177], v[174:175] op_sel:[0,1]
	s_delay_alu instid0(VALU_DEP_1) | instskip(SKIP_1) | instid1(VALU_DEP_1)
	v_pk_fma_f32 v[182:183], v[176:177], v[172:173], v[180:181] op_sel:[0,0,1] op_sel_hi:[1,1,0] neg_lo:[0,0,1] neg_hi:[0,0,1]
	v_pk_fma_f32 v[176:177], v[176:177], v[172:173], v[180:181] op_sel:[0,0,1] op_sel_hi:[1,0,0]
	v_mov_b32_e32 v183, v177
	v_pk_mul_f32 v[176:177], v[178:179], v[174:175] op_sel:[0,1]
	s_delay_alu instid0(VALU_DEP_1) | instskip(SKIP_1) | instid1(VALU_DEP_1)
	v_pk_fma_f32 v[180:181], v[178:179], v[172:173], v[176:177] op_sel:[0,0,1] op_sel_hi:[1,1,0] neg_lo:[0,0,1] neg_hi:[0,0,1]
	v_pk_fma_f32 v[176:177], v[178:179], v[172:173], v[176:177] op_sel:[0,0,1] op_sel_hi:[1,0,0]
	v_mov_b32_e32 v181, v177
	ds_load_2addr_b64 v[176:179], v0 offset0:7 offset1:8
	v_pk_add_f32 v[30:31], v[30:31], v[182:183] neg_lo:[0,1] neg_hi:[0,1]
	v_pk_add_f32 v[56:57], v[56:57], v[180:181] neg_lo:[0,1] neg_hi:[0,1]
	s_wait_dscnt 0x0
	v_pk_mul_f32 v[180:181], v[176:177], v[174:175] op_sel:[0,1]
	s_delay_alu instid0(VALU_DEP_1) | instskip(SKIP_1) | instid1(VALU_DEP_1)
	v_pk_fma_f32 v[182:183], v[176:177], v[172:173], v[180:181] op_sel:[0,0,1] op_sel_hi:[1,1,0] neg_lo:[0,0,1] neg_hi:[0,0,1]
	v_pk_fma_f32 v[176:177], v[176:177], v[172:173], v[180:181] op_sel:[0,0,1] op_sel_hi:[1,0,0]
	v_mov_b32_e32 v183, v177
	v_pk_mul_f32 v[176:177], v[178:179], v[174:175] op_sel:[0,1]
	s_delay_alu instid0(VALU_DEP_1) | instskip(SKIP_1) | instid1(VALU_DEP_1)
	v_pk_fma_f32 v[180:181], v[178:179], v[172:173], v[176:177] op_sel:[0,0,1] op_sel_hi:[1,1,0] neg_lo:[0,0,1] neg_hi:[0,0,1]
	v_pk_fma_f32 v[176:177], v[178:179], v[172:173], v[176:177] op_sel:[0,0,1] op_sel_hi:[1,0,0]
	v_mov_b32_e32 v181, v177
	ds_load_2addr_b64 v[176:179], v0 offset0:9 offset1:10
	v_pk_add_f32 v[54:55], v[54:55], v[182:183] neg_lo:[0,1] neg_hi:[0,1]
	v_pk_add_f32 v[72:73], v[72:73], v[180:181] neg_lo:[0,1] neg_hi:[0,1]
	s_wait_dscnt 0x0
	v_dual_mul_f32 v180, v177, v175 :: v_dual_mul_f32 v182, v177, v172
	s_delay_alu instid0(VALU_DEP_1) | instskip(NEXT) | instid1(VALU_DEP_2)
	v_pk_fma_f32 v[180:181], v[176:177], v[40:41], v[180:181] op_sel_hi:[1,1,0] neg_lo:[0,0,1] neg_hi:[0,0,1]
	v_pk_fma_f32 v[176:177], v[176:177], v[40:41], v[182:183] op_sel:[1,0,0] op_sel_hi:[0,1,0]
	s_delay_alu instid0(VALU_DEP_1) | instskip(SKIP_1) | instid1(VALU_DEP_2)
	v_mov_b32_e32 v181, v177
	v_pk_mul_f32 v[176:177], v[178:179], v[174:175] op_sel:[0,1]
	v_pk_add_f32 v[68:69], v[68:69], v[180:181] neg_lo:[0,1] neg_hi:[0,1]
	s_delay_alu instid0(VALU_DEP_2) | instskip(SKIP_1) | instid1(VALU_DEP_1)
	v_pk_fma_f32 v[180:181], v[178:179], v[172:173], v[176:177] op_sel:[0,0,1] op_sel_hi:[1,1,0] neg_lo:[0,0,1] neg_hi:[0,0,1]
	v_pk_fma_f32 v[176:177], v[178:179], v[172:173], v[176:177] op_sel:[0,0,1] op_sel_hi:[1,0,0]
	v_mov_b32_e32 v181, v177
	ds_load_2addr_b64 v[176:179], v0 offset0:11 offset1:12
	v_pk_add_f32 v[70:71], v[70:71], v[180:181] neg_lo:[0,1] neg_hi:[0,1]
	s_wait_dscnt 0x0
	v_pk_mul_f32 v[180:181], v[176:177], v[174:175] op_sel:[0,1]
	s_delay_alu instid0(VALU_DEP_1) | instskip(SKIP_1) | instid1(VALU_DEP_1)
	v_pk_fma_f32 v[182:183], v[176:177], v[172:173], v[180:181] op_sel:[0,0,1] op_sel_hi:[1,1,0] neg_lo:[0,0,1] neg_hi:[0,0,1]
	v_pk_fma_f32 v[176:177], v[176:177], v[172:173], v[180:181] op_sel:[0,0,1] op_sel_hi:[1,0,0]
	v_mov_b32_e32 v183, v177
	v_pk_mul_f32 v[176:177], v[178:179], v[174:175] op_sel:[0,1]
	s_delay_alu instid0(VALU_DEP_2) | instskip(NEXT) | instid1(VALU_DEP_2)
	v_pk_add_f32 v[52:53], v[52:53], v[182:183] neg_lo:[0,1] neg_hi:[0,1]
	v_pk_fma_f32 v[180:181], v[178:179], v[172:173], v[176:177] op_sel:[0,0,1] op_sel_hi:[1,1,0] neg_lo:[0,0,1] neg_hi:[0,0,1]
	v_pk_fma_f32 v[176:177], v[178:179], v[172:173], v[176:177] op_sel:[0,0,1] op_sel_hi:[1,0,0]
	s_delay_alu instid0(VALU_DEP_1) | instskip(SKIP_4) | instid1(VALU_DEP_1)
	v_mov_b32_e32 v181, v177
	ds_load_2addr_b64 v[176:179], v0 offset0:13 offset1:14
	v_pk_add_f32 v[98:99], v[98:99], v[180:181] neg_lo:[0,1] neg_hi:[0,1]
	s_wait_dscnt 0x0
	v_pk_mul_f32 v[180:181], v[176:177], v[174:175] op_sel:[0,1]
	v_pk_fma_f32 v[182:183], v[176:177], v[172:173], v[180:181] op_sel:[0,0,1] op_sel_hi:[1,1,0] neg_lo:[0,0,1] neg_hi:[0,0,1]
	v_pk_fma_f32 v[176:177], v[176:177], v[172:173], v[180:181] op_sel:[0,0,1] op_sel_hi:[1,0,0]
	v_dual_mul_f32 v180, v179, v175 :: v_dual_mov_b32 v176, v179
	s_delay_alu instid0(VALU_DEP_2) | instskip(NEXT) | instid1(VALU_DEP_2)
	v_dual_mov_b32 v183, v177 :: v_dual_mov_b32 v177, v178
	v_pk_fma_f32 v[180:181], v[178:179], v[40:41], v[180:181] op_sel_hi:[1,1,0] neg_lo:[0,0,1] neg_hi:[0,0,1]
	v_mul_f32_e32 v178, v179, v172
	s_delay_alu instid0(VALU_DEP_3) | instskip(NEXT) | instid1(VALU_DEP_2)
	v_pk_add_f32 v[94:95], v[94:95], v[182:183] neg_lo:[0,1] neg_hi:[0,1]
	v_pk_fma_f32 v[176:177], v[176:177], v[40:41], v[178:179] op_sel_hi:[1,1,0]
	s_delay_alu instid0(VALU_DEP_1) | instskip(SKIP_4) | instid1(VALU_DEP_1)
	v_mov_b32_e32 v181, v177
	ds_load_2addr_b64 v[176:179], v0 offset0:15 offset1:16
	v_pk_add_f32 v[96:97], v[96:97], v[180:181] neg_lo:[0,1] neg_hi:[0,1]
	s_wait_dscnt 0x0
	v_pk_mul_f32 v[180:181], v[176:177], v[174:175] op_sel:[0,1]
	v_pk_fma_f32 v[182:183], v[176:177], v[172:173], v[180:181] op_sel:[0,0,1] op_sel_hi:[1,1,0] neg_lo:[0,0,1] neg_hi:[0,0,1]
	v_pk_fma_f32 v[176:177], v[176:177], v[172:173], v[180:181] op_sel:[0,0,1] op_sel_hi:[1,0,0]
	s_delay_alu instid0(VALU_DEP_1) | instskip(SKIP_1) | instid1(VALU_DEP_1)
	v_mov_b32_e32 v183, v177
	v_pk_mul_f32 v[176:177], v[178:179], v[174:175] op_sel:[0,1]
	v_pk_fma_f32 v[180:181], v[178:179], v[172:173], v[176:177] op_sel:[0,0,1] op_sel_hi:[1,1,0] neg_lo:[0,0,1] neg_hi:[0,0,1]
	v_pk_fma_f32 v[176:177], v[178:179], v[172:173], v[176:177] op_sel:[0,0,1] op_sel_hi:[1,0,0]
	s_delay_alu instid0(VALU_DEP_1)
	v_mov_b32_e32 v181, v177
	ds_load_2addr_b64 v[176:179], v0 offset0:17 offset1:18
	v_pk_add_f32 v[92:93], v[92:93], v[182:183] neg_lo:[0,1] neg_hi:[0,1]
	v_pk_add_f32 v[120:121], v[120:121], v[180:181] neg_lo:[0,1] neg_hi:[0,1]
	s_wait_dscnt 0x0
	v_pk_mul_f32 v[180:181], v[176:177], v[174:175] op_sel:[0,1]
	s_delay_alu instid0(VALU_DEP_1) | instskip(SKIP_1) | instid1(VALU_DEP_1)
	v_pk_fma_f32 v[182:183], v[176:177], v[172:173], v[180:181] op_sel:[0,0,1] op_sel_hi:[1,1,0] neg_lo:[0,0,1] neg_hi:[0,0,1]
	v_pk_fma_f32 v[176:177], v[176:177], v[172:173], v[180:181] op_sel:[0,0,1] op_sel_hi:[1,0,0]
	v_mov_b32_e32 v183, v177
	v_pk_mul_f32 v[176:177], v[178:179], v[174:175] op_sel:[0,1]
	s_delay_alu instid0(VALU_DEP_1) | instskip(SKIP_1) | instid1(VALU_DEP_1)
	v_pk_fma_f32 v[180:181], v[178:179], v[172:173], v[176:177] op_sel:[0,0,1] op_sel_hi:[1,1,0] neg_lo:[0,0,1] neg_hi:[0,0,1]
	v_pk_fma_f32 v[176:177], v[178:179], v[172:173], v[176:177] op_sel:[0,0,1] op_sel_hi:[1,0,0]
	v_mov_b32_e32 v181, v177
	ds_load_2addr_b64 v[176:179], v0 offset0:19 offset1:20
	v_pk_add_f32 v[118:119], v[118:119], v[182:183] neg_lo:[0,1] neg_hi:[0,1]
	v_pk_add_f32 v[90:91], v[90:91], v[180:181] neg_lo:[0,1] neg_hi:[0,1]
	s_wait_dscnt 0x0
	v_dual_mul_f32 v180, v177, v175 :: v_dual_mul_f32 v182, v177, v172
	s_delay_alu instid0(VALU_DEP_1) | instskip(NEXT) | instid1(VALU_DEP_2)
	v_pk_fma_f32 v[180:181], v[176:177], v[40:41], v[180:181] op_sel_hi:[1,1,0] neg_lo:[0,0,1] neg_hi:[0,0,1]
	v_pk_fma_f32 v[176:177], v[176:177], v[40:41], v[182:183] op_sel:[1,0,0] op_sel_hi:[0,1,0]
	s_delay_alu instid0(VALU_DEP_1) | instskip(SKIP_1) | instid1(VALU_DEP_2)
	v_mov_b32_e32 v181, v177
	v_pk_mul_f32 v[176:177], v[178:179], v[174:175] op_sel:[0,1]
	v_pk_add_f32 v[116:117], v[116:117], v[180:181] neg_lo:[0,1] neg_hi:[0,1]
	s_delay_alu instid0(VALU_DEP_2) | instskip(SKIP_1) | instid1(VALU_DEP_1)
	v_pk_fma_f32 v[180:181], v[178:179], v[172:173], v[176:177] op_sel:[0,0,1] op_sel_hi:[1,1,0] neg_lo:[0,0,1] neg_hi:[0,0,1]
	v_pk_fma_f32 v[176:177], v[178:179], v[172:173], v[176:177] op_sel:[0,0,1] op_sel_hi:[1,0,0]
	v_mov_b32_e32 v181, v177
	ds_load_2addr_b64 v[176:179], v0 offset0:21 offset1:22
	v_pk_add_f32 v[138:139], v[138:139], v[180:181] neg_lo:[0,1] neg_hi:[0,1]
	s_wait_dscnt 0x0
	v_pk_mul_f32 v[180:181], v[176:177], v[174:175] op_sel:[0,1]
	s_delay_alu instid0(VALU_DEP_1) | instskip(SKIP_1) | instid1(VALU_DEP_1)
	v_pk_fma_f32 v[182:183], v[176:177], v[172:173], v[180:181] op_sel:[0,0,1] op_sel_hi:[1,1,0] neg_lo:[0,0,1] neg_hi:[0,0,1]
	v_pk_fma_f32 v[176:177], v[176:177], v[172:173], v[180:181] op_sel:[0,0,1] op_sel_hi:[1,0,0]
	v_mov_b32_e32 v183, v177
	v_pk_mul_f32 v[176:177], v[178:179], v[174:175] op_sel:[0,1]
	s_delay_alu instid0(VALU_DEP_2) | instskip(NEXT) | instid1(VALU_DEP_2)
	v_pk_add_f32 v[78:79], v[78:79], v[182:183] neg_lo:[0,1] neg_hi:[0,1]
	v_pk_fma_f32 v[180:181], v[178:179], v[172:173], v[176:177] op_sel:[0,0,1] op_sel_hi:[1,1,0] neg_lo:[0,0,1] neg_hi:[0,0,1]
	v_pk_fma_f32 v[176:177], v[178:179], v[172:173], v[176:177] op_sel:[0,0,1] op_sel_hi:[1,0,0]
	s_delay_alu instid0(VALU_DEP_1) | instskip(SKIP_4) | instid1(VALU_DEP_1)
	v_mov_b32_e32 v181, v177
	ds_load_2addr_b64 v[176:179], v0 offset0:23 offset1:24
	v_pk_add_f32 v[80:81], v[80:81], v[180:181] neg_lo:[0,1] neg_hi:[0,1]
	s_wait_dscnt 0x0
	v_pk_mul_f32 v[180:181], v[176:177], v[174:175] op_sel:[0,1]
	v_pk_fma_f32 v[182:183], v[176:177], v[172:173], v[180:181] op_sel:[0,0,1] op_sel_hi:[1,1,0] neg_lo:[0,0,1] neg_hi:[0,0,1]
	v_pk_fma_f32 v[176:177], v[176:177], v[172:173], v[180:181] op_sel:[0,0,1] op_sel_hi:[1,0,0]
	v_dual_mul_f32 v180, v179, v175 :: v_dual_mov_b32 v176, v179
	s_delay_alu instid0(VALU_DEP_2) | instskip(NEXT) | instid1(VALU_DEP_2)
	v_dual_mov_b32 v183, v177 :: v_dual_mov_b32 v177, v178
	v_pk_fma_f32 v[180:181], v[178:179], v[40:41], v[180:181] op_sel_hi:[1,1,0] neg_lo:[0,0,1] neg_hi:[0,0,1]
	v_mul_f32_e32 v178, v179, v172
	s_delay_alu instid0(VALU_DEP_3) | instskip(NEXT) | instid1(VALU_DEP_2)
	v_pk_add_f32 v[76:77], v[76:77], v[182:183] neg_lo:[0,1] neg_hi:[0,1]
	v_pk_fma_f32 v[176:177], v[176:177], v[40:41], v[178:179] op_sel_hi:[1,1,0]
	s_delay_alu instid0(VALU_DEP_1) | instskip(SKIP_4) | instid1(VALU_DEP_1)
	v_mov_b32_e32 v181, v177
	ds_load_2addr_b64 v[176:179], v0 offset0:25 offset1:26
	v_pk_add_f32 v[106:107], v[106:107], v[180:181] neg_lo:[0,1] neg_hi:[0,1]
	s_wait_dscnt 0x0
	v_pk_mul_f32 v[180:181], v[176:177], v[174:175] op_sel:[0,1]
	v_pk_fma_f32 v[182:183], v[176:177], v[172:173], v[180:181] op_sel:[0,0,1] op_sel_hi:[1,1,0] neg_lo:[0,0,1] neg_hi:[0,0,1]
	v_pk_fma_f32 v[176:177], v[176:177], v[172:173], v[180:181] op_sel:[0,0,1] op_sel_hi:[1,0,0]
	s_delay_alu instid0(VALU_DEP_1) | instskip(SKIP_1) | instid1(VALU_DEP_1)
	v_mov_b32_e32 v183, v177
	v_pk_mul_f32 v[176:177], v[178:179], v[174:175] op_sel:[0,1]
	v_pk_fma_f32 v[180:181], v[178:179], v[172:173], v[176:177] op_sel:[0,0,1] op_sel_hi:[1,1,0] neg_lo:[0,0,1] neg_hi:[0,0,1]
	v_pk_fma_f32 v[176:177], v[178:179], v[172:173], v[176:177] op_sel:[0,0,1] op_sel_hi:[1,0,0]
	s_delay_alu instid0(VALU_DEP_1)
	v_mov_b32_e32 v181, v177
	ds_load_2addr_b64 v[176:179], v0 offset0:27 offset1:28
	v_pk_add_f32 v[102:103], v[102:103], v[182:183] neg_lo:[0,1] neg_hi:[0,1]
	v_pk_add_f32 v[104:105], v[104:105], v[180:181] neg_lo:[0,1] neg_hi:[0,1]
	s_wait_dscnt 0x0
	v_pk_mul_f32 v[180:181], v[176:177], v[174:175] op_sel:[0,1]
	s_delay_alu instid0(VALU_DEP_1) | instskip(SKIP_1) | instid1(VALU_DEP_1)
	v_pk_fma_f32 v[182:183], v[176:177], v[172:173], v[180:181] op_sel:[0,0,1] op_sel_hi:[1,1,0] neg_lo:[0,0,1] neg_hi:[0,0,1]
	v_pk_fma_f32 v[176:177], v[176:177], v[172:173], v[180:181] op_sel:[0,0,1] op_sel_hi:[1,0,0]
	v_mov_b32_e32 v183, v177
	v_pk_mul_f32 v[176:177], v[178:179], v[174:175] op_sel:[0,1]
	s_delay_alu instid0(VALU_DEP_1) | instskip(SKIP_1) | instid1(VALU_DEP_1)
	v_pk_fma_f32 v[180:181], v[178:179], v[172:173], v[176:177] op_sel:[0,0,1] op_sel_hi:[1,1,0] neg_lo:[0,0,1] neg_hi:[0,0,1]
	v_pk_fma_f32 v[176:177], v[178:179], v[172:173], v[176:177] op_sel:[0,0,1] op_sel_hi:[1,0,0]
	v_mov_b32_e32 v181, v177
	ds_load_2addr_b64 v[176:179], v0 offset0:29 offset1:30
	v_pk_add_f32 v[100:101], v[100:101], v[182:183] neg_lo:[0,1] neg_hi:[0,1]
	v_pk_add_f32 v[128:129], v[128:129], v[180:181] neg_lo:[0,1] neg_hi:[0,1]
	s_wait_dscnt 0x0
	v_dual_mul_f32 v180, v177, v175 :: v_dual_mul_f32 v182, v177, v172
	s_delay_alu instid0(VALU_DEP_1) | instskip(NEXT) | instid1(VALU_DEP_2)
	v_pk_fma_f32 v[180:181], v[176:177], v[40:41], v[180:181] op_sel_hi:[1,1,0] neg_lo:[0,0,1] neg_hi:[0,0,1]
	v_pk_fma_f32 v[176:177], v[176:177], v[40:41], v[182:183] op_sel:[1,0,0] op_sel_hi:[0,1,0]
	s_delay_alu instid0(VALU_DEP_1) | instskip(SKIP_1) | instid1(VALU_DEP_2)
	v_mov_b32_e32 v181, v177
	v_pk_mul_f32 v[176:177], v[178:179], v[174:175] op_sel:[0,1]
	v_pk_add_f32 v[124:125], v[124:125], v[180:181] neg_lo:[0,1] neg_hi:[0,1]
	s_delay_alu instid0(VALU_DEP_2) | instskip(SKIP_1) | instid1(VALU_DEP_1)
	v_pk_fma_f32 v[180:181], v[178:179], v[172:173], v[176:177] op_sel:[0,0,1] op_sel_hi:[1,1,0] neg_lo:[0,0,1] neg_hi:[0,0,1]
	v_pk_fma_f32 v[176:177], v[178:179], v[172:173], v[176:177] op_sel:[0,0,1] op_sel_hi:[1,0,0]
	v_mov_b32_e32 v181, v177
	ds_load_2addr_b64 v[176:179], v0 offset0:31 offset1:32
	v_pk_add_f32 v[126:127], v[126:127], v[180:181] neg_lo:[0,1] neg_hi:[0,1]
	s_wait_dscnt 0x0
	v_pk_mul_f32 v[180:181], v[176:177], v[174:175] op_sel:[0,1]
	s_delay_alu instid0(VALU_DEP_1) | instskip(SKIP_1) | instid1(VALU_DEP_1)
	v_pk_fma_f32 v[182:183], v[176:177], v[172:173], v[180:181] op_sel:[0,0,1] op_sel_hi:[1,1,0] neg_lo:[0,0,1] neg_hi:[0,0,1]
	v_pk_fma_f32 v[176:177], v[176:177], v[172:173], v[180:181] op_sel:[0,0,1] op_sel_hi:[1,0,0]
	v_mov_b32_e32 v183, v177
	v_pk_mul_f32 v[176:177], v[178:179], v[174:175] op_sel:[0,1]
	s_delay_alu instid0(VALU_DEP_2) | instskip(NEXT) | instid1(VALU_DEP_2)
	v_pk_add_f32 v[122:123], v[122:123], v[182:183] neg_lo:[0,1] neg_hi:[0,1]
	v_pk_fma_f32 v[180:181], v[178:179], v[172:173], v[176:177] op_sel:[0,0,1] op_sel_hi:[1,1,0] neg_lo:[0,0,1] neg_hi:[0,0,1]
	v_pk_fma_f32 v[176:177], v[178:179], v[172:173], v[176:177] op_sel:[0,0,1] op_sel_hi:[1,0,0]
	s_delay_alu instid0(VALU_DEP_1) | instskip(SKIP_4) | instid1(VALU_DEP_1)
	v_mov_b32_e32 v181, v177
	ds_load_2addr_b64 v[176:179], v0 offset0:33 offset1:34
	v_pk_add_f32 v[148:149], v[148:149], v[180:181] neg_lo:[0,1] neg_hi:[0,1]
	s_wait_dscnt 0x0
	v_pk_mul_f32 v[180:181], v[176:177], v[174:175] op_sel:[0,1]
	v_pk_fma_f32 v[182:183], v[176:177], v[172:173], v[180:181] op_sel:[0,0,1] op_sel_hi:[1,1,0] neg_lo:[0,0,1] neg_hi:[0,0,1]
	v_pk_fma_f32 v[176:177], v[176:177], v[172:173], v[180:181] op_sel:[0,0,1] op_sel_hi:[1,0,0]
	v_dual_mul_f32 v180, v179, v175 :: v_dual_mov_b32 v176, v179
	s_delay_alu instid0(VALU_DEP_2) | instskip(NEXT) | instid1(VALU_DEP_2)
	v_dual_mov_b32 v183, v177 :: v_dual_mov_b32 v177, v178
	v_pk_fma_f32 v[180:181], v[178:179], v[40:41], v[180:181] op_sel_hi:[1,1,0] neg_lo:[0,0,1] neg_hi:[0,0,1]
	v_mul_f32_e32 v178, v179, v172
	s_delay_alu instid0(VALU_DEP_3) | instskip(NEXT) | instid1(VALU_DEP_2)
	v_pk_add_f32 v[144:145], v[144:145], v[182:183] neg_lo:[0,1] neg_hi:[0,1]
	v_pk_fma_f32 v[176:177], v[176:177], v[40:41], v[178:179] op_sel_hi:[1,1,0]
	s_delay_alu instid0(VALU_DEP_1) | instskip(SKIP_4) | instid1(VALU_DEP_1)
	v_mov_b32_e32 v181, v177
	ds_load_2addr_b64 v[176:179], v0 offset0:35 offset1:36
	v_pk_add_f32 v[146:147], v[146:147], v[180:181] neg_lo:[0,1] neg_hi:[0,1]
	s_wait_dscnt 0x0
	v_pk_mul_f32 v[180:181], v[176:177], v[174:175] op_sel:[0,1]
	v_pk_fma_f32 v[182:183], v[176:177], v[172:173], v[180:181] op_sel:[0,0,1] op_sel_hi:[1,1,0] neg_lo:[0,0,1] neg_hi:[0,0,1]
	v_pk_fma_f32 v[176:177], v[176:177], v[172:173], v[180:181] op_sel:[0,0,1] op_sel_hi:[1,0,0]
	s_delay_alu instid0(VALU_DEP_1) | instskip(SKIP_1) | instid1(VALU_DEP_1)
	v_mov_b32_e32 v183, v177
	v_pk_mul_f32 v[176:177], v[178:179], v[174:175] op_sel:[0,1]
	v_pk_fma_f32 v[180:181], v[178:179], v[172:173], v[176:177] op_sel:[0,0,1] op_sel_hi:[1,1,0] neg_lo:[0,0,1] neg_hi:[0,0,1]
	v_pk_fma_f32 v[176:177], v[178:179], v[172:173], v[176:177] op_sel:[0,0,1] op_sel_hi:[1,0,0]
	s_delay_alu instid0(VALU_DEP_1)
	v_mov_b32_e32 v181, v177
	ds_load_2addr_b64 v[176:179], v0 offset0:37 offset1:38
	v_pk_add_f32 v[142:143], v[142:143], v[182:183] neg_lo:[0,1] neg_hi:[0,1]
	v_pk_add_f32 v[164:165], v[164:165], v[180:181] neg_lo:[0,1] neg_hi:[0,1]
	s_wait_dscnt 0x0
	v_pk_mul_f32 v[180:181], v[176:177], v[174:175] op_sel:[0,1]
	s_delay_alu instid0(VALU_DEP_1) | instskip(SKIP_1) | instid1(VALU_DEP_1)
	v_pk_fma_f32 v[182:183], v[176:177], v[172:173], v[180:181] op_sel:[0,0,1] op_sel_hi:[1,1,0] neg_lo:[0,0,1] neg_hi:[0,0,1]
	v_pk_fma_f32 v[176:177], v[176:177], v[172:173], v[180:181] op_sel:[0,0,1] op_sel_hi:[1,0,0]
	v_mov_b32_e32 v183, v177
	v_pk_mul_f32 v[176:177], v[178:179], v[174:175] op_sel:[0,1]
	s_delay_alu instid0(VALU_DEP_1) | instskip(SKIP_1) | instid1(VALU_DEP_1)
	v_pk_fma_f32 v[180:181], v[178:179], v[172:173], v[176:177] op_sel:[0,0,1] op_sel_hi:[1,1,0] neg_lo:[0,0,1] neg_hi:[0,0,1]
	v_pk_fma_f32 v[176:177], v[178:179], v[172:173], v[176:177] op_sel:[0,0,1] op_sel_hi:[1,0,0]
	v_mov_b32_e32 v181, v177
	ds_load_2addr_b64 v[176:179], v0 offset0:39 offset1:40
	v_pk_add_f32 v[160:161], v[160:161], v[182:183] neg_lo:[0,1] neg_hi:[0,1]
	v_pk_add_f32 v[162:163], v[162:163], v[180:181] neg_lo:[0,1] neg_hi:[0,1]
	s_wait_dscnt 0x0
	v_dual_mul_f32 v180, v177, v175 :: v_dual_mul_f32 v182, v177, v172
	s_delay_alu instid0(VALU_DEP_1) | instskip(NEXT) | instid1(VALU_DEP_2)
	v_pk_fma_f32 v[180:181], v[176:177], v[40:41], v[180:181] op_sel_hi:[1,1,0] neg_lo:[0,0,1] neg_hi:[0,0,1]
	v_pk_fma_f32 v[176:177], v[176:177], v[40:41], v[182:183] op_sel:[1,0,0] op_sel_hi:[0,1,0]
	s_delay_alu instid0(VALU_DEP_1) | instskip(SKIP_1) | instid1(VALU_DEP_2)
	v_mov_b32_e32 v181, v177
	v_pk_mul_f32 v[176:177], v[178:179], v[174:175] op_sel:[0,1]
	v_pk_add_f32 v[158:159], v[158:159], v[180:181] neg_lo:[0,1] neg_hi:[0,1]
	s_delay_alu instid0(VALU_DEP_2) | instskip(SKIP_1) | instid1(VALU_DEP_1)
	v_pk_fma_f32 v[180:181], v[178:179], v[172:173], v[176:177] op_sel:[0,0,1] op_sel_hi:[1,1,0] neg_lo:[0,0,1] neg_hi:[0,0,1]
	v_pk_fma_f32 v[176:177], v[178:179], v[172:173], v[176:177] op_sel:[0,0,1] op_sel_hi:[1,0,0]
	v_mov_b32_e32 v181, v177
	ds_load_b64 v[176:177], v0 offset:328
	v_pk_add_f32 v[166:167], v[166:167], v[180:181] neg_lo:[0,1] neg_hi:[0,1]
	s_wait_dscnt 0x0
	v_pk_mul_f32 v[174:175], v[176:177], v[174:175] op_sel:[0,1]
	s_delay_alu instid0(VALU_DEP_1) | instskip(SKIP_1) | instid1(VALU_DEP_1)
	v_pk_fma_f32 v[178:179], v[176:177], v[172:173], v[174:175] op_sel:[0,0,1] op_sel_hi:[1,1,0] neg_lo:[0,0,1] neg_hi:[0,0,1]
	v_pk_fma_f32 v[172:173], v[176:177], v[172:173], v[174:175] op_sel:[0,0,1] op_sel_hi:[1,0,0]
	v_mov_b32_e32 v179, v173
	s_delay_alu instid0(VALU_DEP_1)
	v_pk_add_f32 v[168:169], v[168:169], v[178:179] neg_lo:[0,1] neg_hi:[0,1]
.LBB83_10:
	s_or_b32 exec_lo, exec_lo, s2
	s_delay_alu instid0(SALU_CYCLE_1)
	s_mov_b32 s2, exec_lo
	s_wait_dscnt 0x0
	s_barrier_signal -1
	s_barrier_wait -1
	v_cmpx_eq_u32_e32 1, v254
	s_cbranch_execz .LBB83_17
; %bb.11:
	v_dual_mov_b32 v172, v32 :: v_dual_mov_b32 v173, v33
	v_dual_mov_b32 v174, v74 :: v_dual_mov_b32 v175, v75
	ds_store_b64 v255, v[42:43]
	ds_store_2addr_b64 v0, v[172:173], v[174:175] offset0:2 offset1:3
	v_dual_mov_b32 v172, v58 :: v_dual_mov_b32 v173, v59
	v_dual_mov_b32 v174, v30 :: v_dual_mov_b32 v175, v31
	ds_store_2addr_b64 v0, v[172:173], v[174:175] offset0:4 offset1:5
	v_dual_mov_b32 v172, v56 :: v_dual_mov_b32 v173, v57
	v_dual_mov_b32 v174, v54 :: v_dual_mov_b32 v175, v55
	;; [unrolled: 3-line block ×18, first 2 shown]
	ds_store_2addr_b64 v0, v[172:173], v[174:175] offset0:38 offset1:39
	v_dual_mov_b32 v172, v166 :: v_dual_mov_b32 v173, v167
	ds_store_2addr_b64 v0, v[172:173], v[168:169] offset0:40 offset1:41
	ds_load_b64 v[172:173], v255
	s_wait_dscnt 0x0
	v_cmp_neq_f32_e32 vcc_lo, 0, v172
	v_cmp_neq_f32_e64 s1, 0, v173
	s_or_b32 s1, vcc_lo, s1
	s_delay_alu instid0(SALU_CYCLE_1)
	s_and_b32 exec_lo, exec_lo, s1
	s_cbranch_execz .LBB83_17
; %bb.12:
	v_cmp_ngt_f32_e64 s1, |v172|, |v173|
                                        ; implicit-def: $vgpr174_vgpr175
	s_and_saveexec_b32 s4, s1
	s_delay_alu instid0(SALU_CYCLE_1)
	s_xor_b32 s1, exec_lo, s4
	s_cbranch_execz .LBB83_14
; %bb.13:
	v_div_scale_f32 v1, null, v173, v173, v172
	v_div_scale_f32 v6, vcc_lo, v172, v173, v172
	s_delay_alu instid0(VALU_DEP_2) | instskip(SKIP_1) | instid1(TRANS32_DEP_1)
	v_rcp_f32_e32 v4, v1
	v_nop
	v_fma_f32 v5, -v1, v4, 1.0
	s_delay_alu instid0(VALU_DEP_1) | instskip(NEXT) | instid1(VALU_DEP_1)
	v_fmac_f32_e32 v4, v5, v4
	v_mul_f32_e32 v5, v6, v4
	s_delay_alu instid0(VALU_DEP_1) | instskip(NEXT) | instid1(VALU_DEP_1)
	v_fma_f32 v7, -v1, v5, v6
	v_fmac_f32_e32 v5, v7, v4
	s_delay_alu instid0(VALU_DEP_1) | instskip(NEXT) | instid1(VALU_DEP_1)
	v_fma_f32 v1, -v1, v5, v6
	v_div_fmas_f32 v1, v1, v4, v5
	s_delay_alu instid0(VALU_DEP_1) | instskip(NEXT) | instid1(VALU_DEP_1)
	v_div_fixup_f32 v1, v1, v173, v172
	v_fmac_f32_e32 v173, v172, v1
	s_delay_alu instid0(VALU_DEP_1) | instskip(SKIP_1) | instid1(VALU_DEP_2)
	v_div_scale_f32 v4, null, v173, v173, 1.0
	v_div_scale_f32 v7, vcc_lo, 1.0, v173, 1.0
	v_rcp_f32_e32 v5, v4
	v_nop
	s_delay_alu instid0(TRANS32_DEP_1) | instskip(NEXT) | instid1(VALU_DEP_1)
	v_fma_f32 v6, -v4, v5, 1.0
	v_fmac_f32_e32 v5, v6, v5
	s_delay_alu instid0(VALU_DEP_1) | instskip(NEXT) | instid1(VALU_DEP_1)
	v_mul_f32_e32 v6, v7, v5
	v_fma_f32 v8, -v4, v6, v7
	s_delay_alu instid0(VALU_DEP_1) | instskip(NEXT) | instid1(VALU_DEP_1)
	v_fmac_f32_e32 v6, v8, v5
	v_fma_f32 v4, -v4, v6, v7
	s_delay_alu instid0(VALU_DEP_1) | instskip(NEXT) | instid1(VALU_DEP_1)
	v_div_fmas_f32 v4, v4, v5, v6
	v_div_fixup_f32 v4, v4, v173, 1.0
                                        ; implicit-def: $vgpr172_vgpr173
	s_delay_alu instid0(VALU_DEP_1)
	v_mul_f32_e32 v174, v1, v4
	v_xor_b32_e32 v175, 0x80000000, v4
.LBB83_14:
	s_and_not1_saveexec_b32 s1, s1
	s_cbranch_execz .LBB83_16
; %bb.15:
	v_div_scale_f32 v1, null, v172, v172, v173
	v_div_scale_f32 v6, vcc_lo, v173, v172, v173
	s_delay_alu instid0(VALU_DEP_2) | instskip(SKIP_1) | instid1(TRANS32_DEP_1)
	v_rcp_f32_e32 v4, v1
	v_nop
	v_fma_f32 v5, -v1, v4, 1.0
	s_delay_alu instid0(VALU_DEP_1) | instskip(NEXT) | instid1(VALU_DEP_1)
	v_fmac_f32_e32 v4, v5, v4
	v_mul_f32_e32 v5, v6, v4
	s_delay_alu instid0(VALU_DEP_1) | instskip(NEXT) | instid1(VALU_DEP_1)
	v_fma_f32 v7, -v1, v5, v6
	v_fmac_f32_e32 v5, v7, v4
	s_delay_alu instid0(VALU_DEP_1) | instskip(NEXT) | instid1(VALU_DEP_1)
	v_fma_f32 v1, -v1, v5, v6
	v_div_fmas_f32 v1, v1, v4, v5
	s_delay_alu instid0(VALU_DEP_1) | instskip(NEXT) | instid1(VALU_DEP_1)
	v_div_fixup_f32 v1, v1, v172, v173
	v_fmac_f32_e32 v172, v173, v1
	s_delay_alu instid0(VALU_DEP_1) | instskip(NEXT) | instid1(VALU_DEP_1)
	v_div_scale_f32 v4, null, v172, v172, 1.0
	v_rcp_f32_e32 v5, v4
	v_nop
	s_delay_alu instid0(TRANS32_DEP_1) | instskip(NEXT) | instid1(VALU_DEP_1)
	v_fma_f32 v6, -v4, v5, 1.0
	v_fmac_f32_e32 v5, v6, v5
	v_div_scale_f32 v6, vcc_lo, 1.0, v172, 1.0
	s_delay_alu instid0(VALU_DEP_1) | instskip(NEXT) | instid1(VALU_DEP_1)
	v_mul_f32_e32 v7, v6, v5
	v_fma_f32 v8, -v4, v7, v6
	s_delay_alu instid0(VALU_DEP_1) | instskip(NEXT) | instid1(VALU_DEP_1)
	v_fmac_f32_e32 v7, v8, v5
	v_fma_f32 v4, -v4, v7, v6
	s_delay_alu instid0(VALU_DEP_1) | instskip(NEXT) | instid1(VALU_DEP_1)
	v_div_fmas_f32 v4, v4, v5, v7
	v_div_fixup_f32 v174, v4, v172, 1.0
	s_delay_alu instid0(VALU_DEP_1)
	v_mul_f32_e64 v175, v1, -v174
.LBB83_16:
	s_or_b32 exec_lo, exec_lo, s1
	ds_store_b64 v255, v[174:175]
.LBB83_17:
	s_or_b32 exec_lo, exec_lo, s2
	s_wait_dscnt 0x0
	s_barrier_signal -1
	s_barrier_wait -1
	ds_load_b64 v[172:173], v255
	s_mov_b32 s1, exec_lo
	v_cmpx_lt_u32_e32 1, v254
	s_cbranch_execz .LBB83_19
; %bb.18:
	ds_load_2addr_b64 v[178:181], v0 offset0:2 offset1:3
	s_wait_dscnt 0x1
	v_pk_mul_f32 v[176:177], v[172:173], v[42:43] op_sel:[1,1] op_sel_hi:[0,1]
	s_delay_alu instid0(VALU_DEP_1) | instskip(SKIP_1) | instid1(VALU_DEP_1)
	v_pk_fma_f32 v[174:175], v[172:173], v[42:43], v[176:177] op_sel_hi:[1,0,1] neg_lo:[0,0,1] neg_hi:[0,0,1]
	v_pk_fma_f32 v[176:177], v[172:173], v[42:43], v[176:177] op_sel_hi:[1,0,1]
	v_dual_mov_b32 v42, v174 :: v_dual_mov_b32 v43, v177
	s_wait_dscnt 0x0
	s_delay_alu instid0(VALU_DEP_2) | instskip(NEXT) | instid1(VALU_DEP_1)
	v_pk_mul_f32 v[182:183], v[178:179], v[176:177] op_sel:[0,1]
	v_pk_fma_f32 v[184:185], v[178:179], v[174:175], v[182:183] op_sel:[0,0,1] op_sel_hi:[1,1,0] neg_lo:[0,0,1] neg_hi:[0,0,1]
	v_pk_fma_f32 v[178:179], v[178:179], v[174:175], v[182:183] op_sel:[0,0,1] op_sel_hi:[1,0,0]
	s_delay_alu instid0(VALU_DEP_1) | instskip(SKIP_1) | instid1(VALU_DEP_1)
	v_mov_b32_e32 v185, v179
	v_pk_mul_f32 v[178:179], v[180:181], v[176:177] op_sel:[0,1]
	v_pk_fma_f32 v[182:183], v[180:181], v[174:175], v[178:179] op_sel:[0,0,1] op_sel_hi:[1,1,0] neg_lo:[0,0,1] neg_hi:[0,0,1]
	v_pk_fma_f32 v[178:179], v[180:181], v[174:175], v[178:179] op_sel:[0,0,1] op_sel_hi:[1,0,0]
	s_delay_alu instid0(VALU_DEP_1)
	v_mov_b32_e32 v183, v179
	ds_load_2addr_b64 v[178:181], v0 offset0:4 offset1:5
	v_pk_add_f32 v[32:33], v[32:33], v[184:185] neg_lo:[0,1] neg_hi:[0,1]
	v_pk_add_f32 v[74:75], v[74:75], v[182:183] neg_lo:[0,1] neg_hi:[0,1]
	s_wait_dscnt 0x0
	v_pk_mul_f32 v[182:183], v[178:179], v[176:177] op_sel:[0,1]
	s_delay_alu instid0(VALU_DEP_1) | instskip(SKIP_2) | instid1(VALU_DEP_2)
	v_pk_fma_f32 v[184:185], v[178:179], v[174:175], v[182:183] op_sel:[0,0,1] op_sel_hi:[1,1,0] neg_lo:[0,0,1] neg_hi:[0,0,1]
	v_pk_fma_f32 v[178:179], v[178:179], v[174:175], v[182:183] op_sel:[0,0,1] op_sel_hi:[1,0,0]
	v_dual_mul_f32 v182, v181, v177 :: v_dual_mov_b32 v178, v181
	v_dual_mov_b32 v185, v179 :: v_dual_mov_b32 v179, v180
	s_delay_alu instid0(VALU_DEP_2) | instskip(SKIP_1) | instid1(VALU_DEP_3)
	v_pk_fma_f32 v[182:183], v[180:181], v[42:43], v[182:183] op_sel_hi:[1,1,0] neg_lo:[0,0,1] neg_hi:[0,0,1]
	v_mul_f32_e32 v180, v181, v174
	v_pk_add_f32 v[58:59], v[58:59], v[184:185] neg_lo:[0,1] neg_hi:[0,1]
	s_delay_alu instid0(VALU_DEP_2) | instskip(NEXT) | instid1(VALU_DEP_1)
	v_pk_fma_f32 v[178:179], v[178:179], v[42:43], v[180:181] op_sel_hi:[1,1,0]
	v_mov_b32_e32 v183, v179
	ds_load_2addr_b64 v[178:181], v0 offset0:6 offset1:7
	v_pk_add_f32 v[30:31], v[30:31], v[182:183] neg_lo:[0,1] neg_hi:[0,1]
	s_wait_dscnt 0x0
	v_pk_mul_f32 v[182:183], v[178:179], v[176:177] op_sel:[0,1]
	s_delay_alu instid0(VALU_DEP_1) | instskip(SKIP_1) | instid1(VALU_DEP_1)
	v_pk_fma_f32 v[184:185], v[178:179], v[174:175], v[182:183] op_sel:[0,0,1] op_sel_hi:[1,1,0] neg_lo:[0,0,1] neg_hi:[0,0,1]
	v_pk_fma_f32 v[178:179], v[178:179], v[174:175], v[182:183] op_sel:[0,0,1] op_sel_hi:[1,0,0]
	v_mov_b32_e32 v185, v179
	v_pk_mul_f32 v[178:179], v[180:181], v[176:177] op_sel:[0,1]
	s_delay_alu instid0(VALU_DEP_1) | instskip(SKIP_1) | instid1(VALU_DEP_1)
	v_pk_fma_f32 v[182:183], v[180:181], v[174:175], v[178:179] op_sel:[0,0,1] op_sel_hi:[1,1,0] neg_lo:[0,0,1] neg_hi:[0,0,1]
	v_pk_fma_f32 v[178:179], v[180:181], v[174:175], v[178:179] op_sel:[0,0,1] op_sel_hi:[1,0,0]
	v_mov_b32_e32 v183, v179
	ds_load_2addr_b64 v[178:181], v0 offset0:8 offset1:9
	v_pk_add_f32 v[56:57], v[56:57], v[184:185] neg_lo:[0,1] neg_hi:[0,1]
	v_pk_add_f32 v[54:55], v[54:55], v[182:183] neg_lo:[0,1] neg_hi:[0,1]
	s_wait_dscnt 0x0
	v_pk_mul_f32 v[182:183], v[178:179], v[176:177] op_sel:[0,1]
	s_delay_alu instid0(VALU_DEP_1) | instskip(SKIP_1) | instid1(VALU_DEP_1)
	v_pk_fma_f32 v[184:185], v[178:179], v[174:175], v[182:183] op_sel:[0,0,1] op_sel_hi:[1,1,0] neg_lo:[0,0,1] neg_hi:[0,0,1]
	v_pk_fma_f32 v[178:179], v[178:179], v[174:175], v[182:183] op_sel:[0,0,1] op_sel_hi:[1,0,0]
	v_mov_b32_e32 v185, v179
	v_pk_mul_f32 v[178:179], v[180:181], v[176:177] op_sel:[0,1]
	s_delay_alu instid0(VALU_DEP_1) | instskip(SKIP_1) | instid1(VALU_DEP_1)
	v_pk_fma_f32 v[182:183], v[180:181], v[174:175], v[178:179] op_sel:[0,0,1] op_sel_hi:[1,1,0] neg_lo:[0,0,1] neg_hi:[0,0,1]
	v_pk_fma_f32 v[178:179], v[180:181], v[174:175], v[178:179] op_sel:[0,0,1] op_sel_hi:[1,0,0]
	v_mov_b32_e32 v183, v179
	ds_load_2addr_b64 v[178:181], v0 offset0:10 offset1:11
	v_pk_add_f32 v[72:73], v[72:73], v[184:185] neg_lo:[0,1] neg_hi:[0,1]
	v_pk_add_f32 v[68:69], v[68:69], v[182:183] neg_lo:[0,1] neg_hi:[0,1]
	s_wait_dscnt 0x0
	v_dual_mul_f32 v182, v179, v177 :: v_dual_mul_f32 v184, v179, v174
	s_delay_alu instid0(VALU_DEP_1) | instskip(NEXT) | instid1(VALU_DEP_2)
	v_pk_fma_f32 v[182:183], v[178:179], v[42:43], v[182:183] op_sel_hi:[1,1,0] neg_lo:[0,0,1] neg_hi:[0,0,1]
	v_pk_fma_f32 v[178:179], v[178:179], v[42:43], v[184:185] op_sel:[1,0,0] op_sel_hi:[0,1,0]
	s_delay_alu instid0(VALU_DEP_1) | instskip(SKIP_1) | instid1(VALU_DEP_2)
	v_mov_b32_e32 v183, v179
	v_pk_mul_f32 v[178:179], v[180:181], v[176:177] op_sel:[0,1]
	v_pk_add_f32 v[70:71], v[70:71], v[182:183] neg_lo:[0,1] neg_hi:[0,1]
	s_delay_alu instid0(VALU_DEP_2) | instskip(SKIP_1) | instid1(VALU_DEP_1)
	v_pk_fma_f32 v[182:183], v[180:181], v[174:175], v[178:179] op_sel:[0,0,1] op_sel_hi:[1,1,0] neg_lo:[0,0,1] neg_hi:[0,0,1]
	v_pk_fma_f32 v[178:179], v[180:181], v[174:175], v[178:179] op_sel:[0,0,1] op_sel_hi:[1,0,0]
	v_mov_b32_e32 v183, v179
	ds_load_2addr_b64 v[178:181], v0 offset0:12 offset1:13
	v_pk_add_f32 v[52:53], v[52:53], v[182:183] neg_lo:[0,1] neg_hi:[0,1]
	s_wait_dscnt 0x0
	v_pk_mul_f32 v[182:183], v[178:179], v[176:177] op_sel:[0,1]
	s_delay_alu instid0(VALU_DEP_1) | instskip(SKIP_1) | instid1(VALU_DEP_1)
	v_pk_fma_f32 v[184:185], v[178:179], v[174:175], v[182:183] op_sel:[0,0,1] op_sel_hi:[1,1,0] neg_lo:[0,0,1] neg_hi:[0,0,1]
	v_pk_fma_f32 v[178:179], v[178:179], v[174:175], v[182:183] op_sel:[0,0,1] op_sel_hi:[1,0,0]
	v_mov_b32_e32 v185, v179
	v_pk_mul_f32 v[178:179], v[180:181], v[176:177] op_sel:[0,1]
	s_delay_alu instid0(VALU_DEP_2) | instskip(NEXT) | instid1(VALU_DEP_2)
	v_pk_add_f32 v[98:99], v[98:99], v[184:185] neg_lo:[0,1] neg_hi:[0,1]
	v_pk_fma_f32 v[182:183], v[180:181], v[174:175], v[178:179] op_sel:[0,0,1] op_sel_hi:[1,1,0] neg_lo:[0,0,1] neg_hi:[0,0,1]
	v_pk_fma_f32 v[178:179], v[180:181], v[174:175], v[178:179] op_sel:[0,0,1] op_sel_hi:[1,0,0]
	s_delay_alu instid0(VALU_DEP_1) | instskip(SKIP_4) | instid1(VALU_DEP_1)
	v_mov_b32_e32 v183, v179
	ds_load_2addr_b64 v[178:181], v0 offset0:14 offset1:15
	v_pk_add_f32 v[94:95], v[94:95], v[182:183] neg_lo:[0,1] neg_hi:[0,1]
	s_wait_dscnt 0x0
	v_pk_mul_f32 v[182:183], v[178:179], v[176:177] op_sel:[0,1]
	v_pk_fma_f32 v[184:185], v[178:179], v[174:175], v[182:183] op_sel:[0,0,1] op_sel_hi:[1,1,0] neg_lo:[0,0,1] neg_hi:[0,0,1]
	v_pk_fma_f32 v[178:179], v[178:179], v[174:175], v[182:183] op_sel:[0,0,1] op_sel_hi:[1,0,0]
	v_dual_mul_f32 v182, v181, v177 :: v_dual_mov_b32 v178, v181
	s_delay_alu instid0(VALU_DEP_2) | instskip(NEXT) | instid1(VALU_DEP_2)
	v_dual_mov_b32 v185, v179 :: v_dual_mov_b32 v179, v180
	v_pk_fma_f32 v[182:183], v[180:181], v[42:43], v[182:183] op_sel_hi:[1,1,0] neg_lo:[0,0,1] neg_hi:[0,0,1]
	v_mul_f32_e32 v180, v181, v174
	s_delay_alu instid0(VALU_DEP_3) | instskip(NEXT) | instid1(VALU_DEP_2)
	v_pk_add_f32 v[96:97], v[96:97], v[184:185] neg_lo:[0,1] neg_hi:[0,1]
	v_pk_fma_f32 v[178:179], v[178:179], v[42:43], v[180:181] op_sel_hi:[1,1,0]
	s_delay_alu instid0(VALU_DEP_1) | instskip(SKIP_4) | instid1(VALU_DEP_1)
	v_mov_b32_e32 v183, v179
	ds_load_2addr_b64 v[178:181], v0 offset0:16 offset1:17
	v_pk_add_f32 v[92:93], v[92:93], v[182:183] neg_lo:[0,1] neg_hi:[0,1]
	s_wait_dscnt 0x0
	v_pk_mul_f32 v[182:183], v[178:179], v[176:177] op_sel:[0,1]
	v_pk_fma_f32 v[184:185], v[178:179], v[174:175], v[182:183] op_sel:[0,0,1] op_sel_hi:[1,1,0] neg_lo:[0,0,1] neg_hi:[0,0,1]
	v_pk_fma_f32 v[178:179], v[178:179], v[174:175], v[182:183] op_sel:[0,0,1] op_sel_hi:[1,0,0]
	s_delay_alu instid0(VALU_DEP_1) | instskip(SKIP_1) | instid1(VALU_DEP_1)
	v_mov_b32_e32 v185, v179
	v_pk_mul_f32 v[178:179], v[180:181], v[176:177] op_sel:[0,1]
	v_pk_fma_f32 v[182:183], v[180:181], v[174:175], v[178:179] op_sel:[0,0,1] op_sel_hi:[1,1,0] neg_lo:[0,0,1] neg_hi:[0,0,1]
	v_pk_fma_f32 v[178:179], v[180:181], v[174:175], v[178:179] op_sel:[0,0,1] op_sel_hi:[1,0,0]
	s_delay_alu instid0(VALU_DEP_1)
	v_mov_b32_e32 v183, v179
	ds_load_2addr_b64 v[178:181], v0 offset0:18 offset1:19
	v_pk_add_f32 v[120:121], v[120:121], v[184:185] neg_lo:[0,1] neg_hi:[0,1]
	v_pk_add_f32 v[118:119], v[118:119], v[182:183] neg_lo:[0,1] neg_hi:[0,1]
	s_wait_dscnt 0x0
	v_pk_mul_f32 v[182:183], v[178:179], v[176:177] op_sel:[0,1]
	s_delay_alu instid0(VALU_DEP_1) | instskip(SKIP_1) | instid1(VALU_DEP_1)
	v_pk_fma_f32 v[184:185], v[178:179], v[174:175], v[182:183] op_sel:[0,0,1] op_sel_hi:[1,1,0] neg_lo:[0,0,1] neg_hi:[0,0,1]
	v_pk_fma_f32 v[178:179], v[178:179], v[174:175], v[182:183] op_sel:[0,0,1] op_sel_hi:[1,0,0]
	v_mov_b32_e32 v185, v179
	v_pk_mul_f32 v[178:179], v[180:181], v[176:177] op_sel:[0,1]
	s_delay_alu instid0(VALU_DEP_1) | instskip(SKIP_1) | instid1(VALU_DEP_1)
	v_pk_fma_f32 v[182:183], v[180:181], v[174:175], v[178:179] op_sel:[0,0,1] op_sel_hi:[1,1,0] neg_lo:[0,0,1] neg_hi:[0,0,1]
	v_pk_fma_f32 v[178:179], v[180:181], v[174:175], v[178:179] op_sel:[0,0,1] op_sel_hi:[1,0,0]
	v_mov_b32_e32 v183, v179
	ds_load_2addr_b64 v[178:181], v0 offset0:20 offset1:21
	v_pk_add_f32 v[90:91], v[90:91], v[184:185] neg_lo:[0,1] neg_hi:[0,1]
	v_pk_add_f32 v[116:117], v[116:117], v[182:183] neg_lo:[0,1] neg_hi:[0,1]
	s_wait_dscnt 0x0
	v_dual_mul_f32 v182, v179, v177 :: v_dual_mul_f32 v184, v179, v174
	s_delay_alu instid0(VALU_DEP_1) | instskip(NEXT) | instid1(VALU_DEP_2)
	v_pk_fma_f32 v[182:183], v[178:179], v[42:43], v[182:183] op_sel_hi:[1,1,0] neg_lo:[0,0,1] neg_hi:[0,0,1]
	v_pk_fma_f32 v[178:179], v[178:179], v[42:43], v[184:185] op_sel:[1,0,0] op_sel_hi:[0,1,0]
	s_delay_alu instid0(VALU_DEP_1) | instskip(SKIP_1) | instid1(VALU_DEP_2)
	v_mov_b32_e32 v183, v179
	v_pk_mul_f32 v[178:179], v[180:181], v[176:177] op_sel:[0,1]
	v_pk_add_f32 v[138:139], v[138:139], v[182:183] neg_lo:[0,1] neg_hi:[0,1]
	s_delay_alu instid0(VALU_DEP_2) | instskip(SKIP_1) | instid1(VALU_DEP_1)
	v_pk_fma_f32 v[182:183], v[180:181], v[174:175], v[178:179] op_sel:[0,0,1] op_sel_hi:[1,1,0] neg_lo:[0,0,1] neg_hi:[0,0,1]
	v_pk_fma_f32 v[178:179], v[180:181], v[174:175], v[178:179] op_sel:[0,0,1] op_sel_hi:[1,0,0]
	v_mov_b32_e32 v183, v179
	ds_load_2addr_b64 v[178:181], v0 offset0:22 offset1:23
	v_pk_add_f32 v[78:79], v[78:79], v[182:183] neg_lo:[0,1] neg_hi:[0,1]
	s_wait_dscnt 0x0
	v_pk_mul_f32 v[182:183], v[178:179], v[176:177] op_sel:[0,1]
	s_delay_alu instid0(VALU_DEP_1) | instskip(SKIP_1) | instid1(VALU_DEP_1)
	v_pk_fma_f32 v[184:185], v[178:179], v[174:175], v[182:183] op_sel:[0,0,1] op_sel_hi:[1,1,0] neg_lo:[0,0,1] neg_hi:[0,0,1]
	v_pk_fma_f32 v[178:179], v[178:179], v[174:175], v[182:183] op_sel:[0,0,1] op_sel_hi:[1,0,0]
	v_mov_b32_e32 v185, v179
	v_pk_mul_f32 v[178:179], v[180:181], v[176:177] op_sel:[0,1]
	s_delay_alu instid0(VALU_DEP_2) | instskip(NEXT) | instid1(VALU_DEP_2)
	v_pk_add_f32 v[80:81], v[80:81], v[184:185] neg_lo:[0,1] neg_hi:[0,1]
	v_pk_fma_f32 v[182:183], v[180:181], v[174:175], v[178:179] op_sel:[0,0,1] op_sel_hi:[1,1,0] neg_lo:[0,0,1] neg_hi:[0,0,1]
	v_pk_fma_f32 v[178:179], v[180:181], v[174:175], v[178:179] op_sel:[0,0,1] op_sel_hi:[1,0,0]
	s_delay_alu instid0(VALU_DEP_1) | instskip(SKIP_4) | instid1(VALU_DEP_1)
	v_mov_b32_e32 v183, v179
	ds_load_2addr_b64 v[178:181], v0 offset0:24 offset1:25
	v_pk_add_f32 v[76:77], v[76:77], v[182:183] neg_lo:[0,1] neg_hi:[0,1]
	s_wait_dscnt 0x0
	v_pk_mul_f32 v[182:183], v[178:179], v[176:177] op_sel:[0,1]
	v_pk_fma_f32 v[184:185], v[178:179], v[174:175], v[182:183] op_sel:[0,0,1] op_sel_hi:[1,1,0] neg_lo:[0,0,1] neg_hi:[0,0,1]
	v_pk_fma_f32 v[178:179], v[178:179], v[174:175], v[182:183] op_sel:[0,0,1] op_sel_hi:[1,0,0]
	v_dual_mul_f32 v182, v181, v177 :: v_dual_mov_b32 v178, v181
	s_delay_alu instid0(VALU_DEP_2) | instskip(NEXT) | instid1(VALU_DEP_2)
	v_dual_mov_b32 v185, v179 :: v_dual_mov_b32 v179, v180
	v_pk_fma_f32 v[182:183], v[180:181], v[42:43], v[182:183] op_sel_hi:[1,1,0] neg_lo:[0,0,1] neg_hi:[0,0,1]
	v_mul_f32_e32 v180, v181, v174
	s_delay_alu instid0(VALU_DEP_3) | instskip(NEXT) | instid1(VALU_DEP_2)
	v_pk_add_f32 v[106:107], v[106:107], v[184:185] neg_lo:[0,1] neg_hi:[0,1]
	v_pk_fma_f32 v[178:179], v[178:179], v[42:43], v[180:181] op_sel_hi:[1,1,0]
	s_delay_alu instid0(VALU_DEP_1) | instskip(SKIP_4) | instid1(VALU_DEP_1)
	v_mov_b32_e32 v183, v179
	ds_load_2addr_b64 v[178:181], v0 offset0:26 offset1:27
	v_pk_add_f32 v[102:103], v[102:103], v[182:183] neg_lo:[0,1] neg_hi:[0,1]
	s_wait_dscnt 0x0
	v_pk_mul_f32 v[182:183], v[178:179], v[176:177] op_sel:[0,1]
	v_pk_fma_f32 v[184:185], v[178:179], v[174:175], v[182:183] op_sel:[0,0,1] op_sel_hi:[1,1,0] neg_lo:[0,0,1] neg_hi:[0,0,1]
	v_pk_fma_f32 v[178:179], v[178:179], v[174:175], v[182:183] op_sel:[0,0,1] op_sel_hi:[1,0,0]
	s_delay_alu instid0(VALU_DEP_1) | instskip(SKIP_1) | instid1(VALU_DEP_1)
	v_mov_b32_e32 v185, v179
	v_pk_mul_f32 v[178:179], v[180:181], v[176:177] op_sel:[0,1]
	v_pk_fma_f32 v[182:183], v[180:181], v[174:175], v[178:179] op_sel:[0,0,1] op_sel_hi:[1,1,0] neg_lo:[0,0,1] neg_hi:[0,0,1]
	v_pk_fma_f32 v[178:179], v[180:181], v[174:175], v[178:179] op_sel:[0,0,1] op_sel_hi:[1,0,0]
	s_delay_alu instid0(VALU_DEP_1)
	v_mov_b32_e32 v183, v179
	ds_load_2addr_b64 v[178:181], v0 offset0:28 offset1:29
	v_pk_add_f32 v[104:105], v[104:105], v[184:185] neg_lo:[0,1] neg_hi:[0,1]
	v_pk_add_f32 v[100:101], v[100:101], v[182:183] neg_lo:[0,1] neg_hi:[0,1]
	s_wait_dscnt 0x0
	v_pk_mul_f32 v[182:183], v[178:179], v[176:177] op_sel:[0,1]
	s_delay_alu instid0(VALU_DEP_1) | instskip(SKIP_1) | instid1(VALU_DEP_1)
	v_pk_fma_f32 v[184:185], v[178:179], v[174:175], v[182:183] op_sel:[0,0,1] op_sel_hi:[1,1,0] neg_lo:[0,0,1] neg_hi:[0,0,1]
	v_pk_fma_f32 v[178:179], v[178:179], v[174:175], v[182:183] op_sel:[0,0,1] op_sel_hi:[1,0,0]
	v_mov_b32_e32 v185, v179
	v_pk_mul_f32 v[178:179], v[180:181], v[176:177] op_sel:[0,1]
	s_delay_alu instid0(VALU_DEP_1) | instskip(SKIP_1) | instid1(VALU_DEP_1)
	v_pk_fma_f32 v[182:183], v[180:181], v[174:175], v[178:179] op_sel:[0,0,1] op_sel_hi:[1,1,0] neg_lo:[0,0,1] neg_hi:[0,0,1]
	v_pk_fma_f32 v[178:179], v[180:181], v[174:175], v[178:179] op_sel:[0,0,1] op_sel_hi:[1,0,0]
	v_mov_b32_e32 v183, v179
	ds_load_2addr_b64 v[178:181], v0 offset0:30 offset1:31
	v_pk_add_f32 v[128:129], v[128:129], v[184:185] neg_lo:[0,1] neg_hi:[0,1]
	v_pk_add_f32 v[124:125], v[124:125], v[182:183] neg_lo:[0,1] neg_hi:[0,1]
	s_wait_dscnt 0x0
	v_dual_mul_f32 v182, v179, v177 :: v_dual_mul_f32 v184, v179, v174
	s_delay_alu instid0(VALU_DEP_1) | instskip(NEXT) | instid1(VALU_DEP_2)
	v_pk_fma_f32 v[182:183], v[178:179], v[42:43], v[182:183] op_sel_hi:[1,1,0] neg_lo:[0,0,1] neg_hi:[0,0,1]
	v_pk_fma_f32 v[178:179], v[178:179], v[42:43], v[184:185] op_sel:[1,0,0] op_sel_hi:[0,1,0]
	s_delay_alu instid0(VALU_DEP_1) | instskip(SKIP_1) | instid1(VALU_DEP_2)
	v_mov_b32_e32 v183, v179
	v_pk_mul_f32 v[178:179], v[180:181], v[176:177] op_sel:[0,1]
	v_pk_add_f32 v[126:127], v[126:127], v[182:183] neg_lo:[0,1] neg_hi:[0,1]
	s_delay_alu instid0(VALU_DEP_2) | instskip(SKIP_1) | instid1(VALU_DEP_1)
	v_pk_fma_f32 v[182:183], v[180:181], v[174:175], v[178:179] op_sel:[0,0,1] op_sel_hi:[1,1,0] neg_lo:[0,0,1] neg_hi:[0,0,1]
	v_pk_fma_f32 v[178:179], v[180:181], v[174:175], v[178:179] op_sel:[0,0,1] op_sel_hi:[1,0,0]
	v_mov_b32_e32 v183, v179
	ds_load_2addr_b64 v[178:181], v0 offset0:32 offset1:33
	v_pk_add_f32 v[122:123], v[122:123], v[182:183] neg_lo:[0,1] neg_hi:[0,1]
	s_wait_dscnt 0x0
	v_pk_mul_f32 v[182:183], v[178:179], v[176:177] op_sel:[0,1]
	s_delay_alu instid0(VALU_DEP_1) | instskip(SKIP_1) | instid1(VALU_DEP_1)
	v_pk_fma_f32 v[184:185], v[178:179], v[174:175], v[182:183] op_sel:[0,0,1] op_sel_hi:[1,1,0] neg_lo:[0,0,1] neg_hi:[0,0,1]
	v_pk_fma_f32 v[178:179], v[178:179], v[174:175], v[182:183] op_sel:[0,0,1] op_sel_hi:[1,0,0]
	v_mov_b32_e32 v185, v179
	v_pk_mul_f32 v[178:179], v[180:181], v[176:177] op_sel:[0,1]
	s_delay_alu instid0(VALU_DEP_2) | instskip(NEXT) | instid1(VALU_DEP_2)
	v_pk_add_f32 v[148:149], v[148:149], v[184:185] neg_lo:[0,1] neg_hi:[0,1]
	v_pk_fma_f32 v[182:183], v[180:181], v[174:175], v[178:179] op_sel:[0,0,1] op_sel_hi:[1,1,0] neg_lo:[0,0,1] neg_hi:[0,0,1]
	v_pk_fma_f32 v[178:179], v[180:181], v[174:175], v[178:179] op_sel:[0,0,1] op_sel_hi:[1,0,0]
	s_delay_alu instid0(VALU_DEP_1) | instskip(SKIP_4) | instid1(VALU_DEP_1)
	v_mov_b32_e32 v183, v179
	ds_load_2addr_b64 v[178:181], v0 offset0:34 offset1:35
	v_pk_add_f32 v[144:145], v[144:145], v[182:183] neg_lo:[0,1] neg_hi:[0,1]
	s_wait_dscnt 0x0
	v_pk_mul_f32 v[182:183], v[178:179], v[176:177] op_sel:[0,1]
	v_pk_fma_f32 v[184:185], v[178:179], v[174:175], v[182:183] op_sel:[0,0,1] op_sel_hi:[1,1,0] neg_lo:[0,0,1] neg_hi:[0,0,1]
	v_pk_fma_f32 v[178:179], v[178:179], v[174:175], v[182:183] op_sel:[0,0,1] op_sel_hi:[1,0,0]
	v_dual_mul_f32 v182, v181, v177 :: v_dual_mov_b32 v178, v181
	s_delay_alu instid0(VALU_DEP_2) | instskip(NEXT) | instid1(VALU_DEP_2)
	v_dual_mov_b32 v185, v179 :: v_dual_mov_b32 v179, v180
	v_pk_fma_f32 v[182:183], v[180:181], v[42:43], v[182:183] op_sel_hi:[1,1,0] neg_lo:[0,0,1] neg_hi:[0,0,1]
	v_mul_f32_e32 v180, v181, v174
	s_delay_alu instid0(VALU_DEP_3) | instskip(NEXT) | instid1(VALU_DEP_2)
	v_pk_add_f32 v[146:147], v[146:147], v[184:185] neg_lo:[0,1] neg_hi:[0,1]
	v_pk_fma_f32 v[178:179], v[178:179], v[42:43], v[180:181] op_sel_hi:[1,1,0]
	s_delay_alu instid0(VALU_DEP_1) | instskip(SKIP_4) | instid1(VALU_DEP_1)
	v_mov_b32_e32 v183, v179
	ds_load_2addr_b64 v[178:181], v0 offset0:36 offset1:37
	v_pk_add_f32 v[142:143], v[142:143], v[182:183] neg_lo:[0,1] neg_hi:[0,1]
	s_wait_dscnt 0x0
	v_pk_mul_f32 v[182:183], v[178:179], v[176:177] op_sel:[0,1]
	v_pk_fma_f32 v[184:185], v[178:179], v[174:175], v[182:183] op_sel:[0,0,1] op_sel_hi:[1,1,0] neg_lo:[0,0,1] neg_hi:[0,0,1]
	v_pk_fma_f32 v[178:179], v[178:179], v[174:175], v[182:183] op_sel:[0,0,1] op_sel_hi:[1,0,0]
	s_delay_alu instid0(VALU_DEP_1) | instskip(SKIP_1) | instid1(VALU_DEP_1)
	v_mov_b32_e32 v185, v179
	v_pk_mul_f32 v[178:179], v[180:181], v[176:177] op_sel:[0,1]
	v_pk_fma_f32 v[182:183], v[180:181], v[174:175], v[178:179] op_sel:[0,0,1] op_sel_hi:[1,1,0] neg_lo:[0,0,1] neg_hi:[0,0,1]
	v_pk_fma_f32 v[178:179], v[180:181], v[174:175], v[178:179] op_sel:[0,0,1] op_sel_hi:[1,0,0]
	s_delay_alu instid0(VALU_DEP_1)
	v_mov_b32_e32 v183, v179
	ds_load_2addr_b64 v[178:181], v0 offset0:38 offset1:39
	v_pk_add_f32 v[164:165], v[164:165], v[184:185] neg_lo:[0,1] neg_hi:[0,1]
	v_pk_add_f32 v[160:161], v[160:161], v[182:183] neg_lo:[0,1] neg_hi:[0,1]
	s_wait_dscnt 0x0
	v_pk_mul_f32 v[182:183], v[178:179], v[176:177] op_sel:[0,1]
	s_delay_alu instid0(VALU_DEP_1) | instskip(SKIP_1) | instid1(VALU_DEP_1)
	v_pk_fma_f32 v[184:185], v[178:179], v[174:175], v[182:183] op_sel:[0,0,1] op_sel_hi:[1,1,0] neg_lo:[0,0,1] neg_hi:[0,0,1]
	v_pk_fma_f32 v[178:179], v[178:179], v[174:175], v[182:183] op_sel:[0,0,1] op_sel_hi:[1,0,0]
	v_mov_b32_e32 v185, v179
	v_pk_mul_f32 v[178:179], v[180:181], v[176:177] op_sel:[0,1]
	s_delay_alu instid0(VALU_DEP_1) | instskip(SKIP_1) | instid1(VALU_DEP_1)
	v_pk_fma_f32 v[182:183], v[180:181], v[174:175], v[178:179] op_sel:[0,0,1] op_sel_hi:[1,1,0] neg_lo:[0,0,1] neg_hi:[0,0,1]
	v_pk_fma_f32 v[178:179], v[180:181], v[174:175], v[178:179] op_sel:[0,0,1] op_sel_hi:[1,0,0]
	v_mov_b32_e32 v183, v179
	ds_load_2addr_b64 v[178:181], v0 offset0:40 offset1:41
	v_pk_add_f32 v[162:163], v[162:163], v[184:185] neg_lo:[0,1] neg_hi:[0,1]
	v_pk_add_f32 v[158:159], v[158:159], v[182:183] neg_lo:[0,1] neg_hi:[0,1]
	s_wait_dscnt 0x0
	v_dual_mul_f32 v182, v179, v177 :: v_dual_mul_f32 v184, v179, v174
	v_pk_mul_f32 v[176:177], v[180:181], v[176:177] op_sel:[0,1]
	s_delay_alu instid0(VALU_DEP_2) | instskip(NEXT) | instid1(VALU_DEP_3)
	v_pk_fma_f32 v[182:183], v[178:179], v[42:43], v[182:183] op_sel_hi:[1,1,0] neg_lo:[0,0,1] neg_hi:[0,0,1]
	v_pk_fma_f32 v[178:179], v[178:179], v[42:43], v[184:185] op_sel:[1,0,0] op_sel_hi:[0,1,0]
	s_delay_alu instid0(VALU_DEP_1) | instskip(NEXT) | instid1(VALU_DEP_4)
	v_mov_b32_e32 v183, v179
	v_pk_fma_f32 v[178:179], v[180:181], v[174:175], v[176:177] op_sel:[0,0,1] op_sel_hi:[1,1,0] neg_lo:[0,0,1] neg_hi:[0,0,1]
	v_pk_fma_f32 v[174:175], v[180:181], v[174:175], v[176:177] op_sel:[0,0,1] op_sel_hi:[1,0,0]
	s_delay_alu instid0(VALU_DEP_1) | instskip(NEXT) | instid1(VALU_DEP_4)
	v_mov_b32_e32 v179, v175
	v_pk_add_f32 v[166:167], v[166:167], v[182:183] neg_lo:[0,1] neg_hi:[0,1]
	s_delay_alu instid0(VALU_DEP_2)
	v_pk_add_f32 v[168:169], v[168:169], v[178:179] neg_lo:[0,1] neg_hi:[0,1]
.LBB83_19:
	s_or_b32 exec_lo, exec_lo, s1
	s_delay_alu instid0(SALU_CYCLE_1)
	s_mov_b32 s2, exec_lo
	s_wait_dscnt 0x0
	s_barrier_signal -1
	s_barrier_wait -1
	v_cmpx_eq_u32_e32 2, v254
	s_cbranch_execz .LBB83_26
; %bb.20:
	ds_store_b64 v255, v[32:33]
	ds_store_2addr_b64 v0, v[74:75], v[58:59] offset0:3 offset1:4
	ds_store_2addr_b64 v0, v[30:31], v[56:57] offset0:5 offset1:6
	ds_store_2addr_b64 v0, v[54:55], v[72:73] offset0:7 offset1:8
	ds_store_2addr_b64 v0, v[68:69], v[70:71] offset0:9 offset1:10
	ds_store_2addr_b64 v0, v[52:53], v[98:99] offset0:11 offset1:12
	ds_store_2addr_b64 v0, v[94:95], v[96:97] offset0:13 offset1:14
	ds_store_2addr_b64 v0, v[92:93], v[120:121] offset0:15 offset1:16
	ds_store_2addr_b64 v0, v[118:119], v[90:91] offset0:17 offset1:18
	ds_store_2addr_b64 v0, v[116:117], v[138:139] offset0:19 offset1:20
	ds_store_2addr_b64 v0, v[78:79], v[80:81] offset0:21 offset1:22
	ds_store_2addr_b64 v0, v[76:77], v[106:107] offset0:23 offset1:24
	ds_store_2addr_b64 v0, v[102:103], v[104:105] offset0:25 offset1:26
	ds_store_2addr_b64 v0, v[100:101], v[128:129] offset0:27 offset1:28
	ds_store_2addr_b64 v0, v[124:125], v[126:127] offset0:29 offset1:30
	ds_store_2addr_b64 v0, v[122:123], v[148:149] offset0:31 offset1:32
	ds_store_2addr_b64 v0, v[144:145], v[146:147] offset0:33 offset1:34
	ds_store_2addr_b64 v0, v[142:143], v[164:165] offset0:35 offset1:36
	ds_store_2addr_b64 v0, v[160:161], v[162:163] offset0:37 offset1:38
	ds_store_2addr_b64 v0, v[158:159], v[166:167] offset0:39 offset1:40
	ds_store_b64 v0, v[168:169] offset:328
	ds_load_b64 v[174:175], v255
	s_wait_dscnt 0x0
	v_cmp_neq_f32_e32 vcc_lo, 0, v174
	v_cmp_neq_f32_e64 s1, 0, v175
	s_or_b32 s1, vcc_lo, s1
	s_delay_alu instid0(SALU_CYCLE_1)
	s_and_b32 exec_lo, exec_lo, s1
	s_cbranch_execz .LBB83_26
; %bb.21:
	v_cmp_ngt_f32_e64 s1, |v174|, |v175|
                                        ; implicit-def: $vgpr176_vgpr177
	s_and_saveexec_b32 s4, s1
	s_delay_alu instid0(SALU_CYCLE_1)
	s_xor_b32 s1, exec_lo, s4
	s_cbranch_execz .LBB83_23
; %bb.22:
	v_div_scale_f32 v1, null, v175, v175, v174
	v_div_scale_f32 v6, vcc_lo, v174, v175, v174
	s_delay_alu instid0(VALU_DEP_2) | instskip(SKIP_1) | instid1(TRANS32_DEP_1)
	v_rcp_f32_e32 v4, v1
	v_nop
	v_fma_f32 v5, -v1, v4, 1.0
	s_delay_alu instid0(VALU_DEP_1) | instskip(NEXT) | instid1(VALU_DEP_1)
	v_fmac_f32_e32 v4, v5, v4
	v_mul_f32_e32 v5, v6, v4
	s_delay_alu instid0(VALU_DEP_1) | instskip(NEXT) | instid1(VALU_DEP_1)
	v_fma_f32 v7, -v1, v5, v6
	v_fmac_f32_e32 v5, v7, v4
	s_delay_alu instid0(VALU_DEP_1) | instskip(NEXT) | instid1(VALU_DEP_1)
	v_fma_f32 v1, -v1, v5, v6
	v_div_fmas_f32 v1, v1, v4, v5
	s_delay_alu instid0(VALU_DEP_1) | instskip(NEXT) | instid1(VALU_DEP_1)
	v_div_fixup_f32 v1, v1, v175, v174
	v_fmac_f32_e32 v175, v174, v1
	s_delay_alu instid0(VALU_DEP_1) | instskip(SKIP_1) | instid1(VALU_DEP_2)
	v_div_scale_f32 v4, null, v175, v175, 1.0
	v_div_scale_f32 v7, vcc_lo, 1.0, v175, 1.0
	v_rcp_f32_e32 v5, v4
	v_nop
	s_delay_alu instid0(TRANS32_DEP_1) | instskip(NEXT) | instid1(VALU_DEP_1)
	v_fma_f32 v6, -v4, v5, 1.0
	v_fmac_f32_e32 v5, v6, v5
	s_delay_alu instid0(VALU_DEP_1) | instskip(NEXT) | instid1(VALU_DEP_1)
	v_mul_f32_e32 v6, v7, v5
	v_fma_f32 v8, -v4, v6, v7
	s_delay_alu instid0(VALU_DEP_1) | instskip(NEXT) | instid1(VALU_DEP_1)
	v_fmac_f32_e32 v6, v8, v5
	v_fma_f32 v4, -v4, v6, v7
	s_delay_alu instid0(VALU_DEP_1) | instskip(NEXT) | instid1(VALU_DEP_1)
	v_div_fmas_f32 v4, v4, v5, v6
	v_div_fixup_f32 v4, v4, v175, 1.0
                                        ; implicit-def: $vgpr174_vgpr175
	s_delay_alu instid0(VALU_DEP_1)
	v_mul_f32_e32 v176, v1, v4
	v_xor_b32_e32 v177, 0x80000000, v4
.LBB83_23:
	s_and_not1_saveexec_b32 s1, s1
	s_cbranch_execz .LBB83_25
; %bb.24:
	v_div_scale_f32 v1, null, v174, v174, v175
	v_div_scale_f32 v6, vcc_lo, v175, v174, v175
	s_delay_alu instid0(VALU_DEP_2) | instskip(SKIP_1) | instid1(TRANS32_DEP_1)
	v_rcp_f32_e32 v4, v1
	v_nop
	v_fma_f32 v5, -v1, v4, 1.0
	s_delay_alu instid0(VALU_DEP_1) | instskip(NEXT) | instid1(VALU_DEP_1)
	v_fmac_f32_e32 v4, v5, v4
	v_mul_f32_e32 v5, v6, v4
	s_delay_alu instid0(VALU_DEP_1) | instskip(NEXT) | instid1(VALU_DEP_1)
	v_fma_f32 v7, -v1, v5, v6
	v_fmac_f32_e32 v5, v7, v4
	s_delay_alu instid0(VALU_DEP_1) | instskip(NEXT) | instid1(VALU_DEP_1)
	v_fma_f32 v1, -v1, v5, v6
	v_div_fmas_f32 v1, v1, v4, v5
	s_delay_alu instid0(VALU_DEP_1) | instskip(NEXT) | instid1(VALU_DEP_1)
	v_div_fixup_f32 v1, v1, v174, v175
	v_fmac_f32_e32 v174, v175, v1
	s_delay_alu instid0(VALU_DEP_1) | instskip(NEXT) | instid1(VALU_DEP_1)
	v_div_scale_f32 v4, null, v174, v174, 1.0
	v_rcp_f32_e32 v5, v4
	v_nop
	s_delay_alu instid0(TRANS32_DEP_1) | instskip(NEXT) | instid1(VALU_DEP_1)
	v_fma_f32 v6, -v4, v5, 1.0
	v_fmac_f32_e32 v5, v6, v5
	v_div_scale_f32 v6, vcc_lo, 1.0, v174, 1.0
	s_delay_alu instid0(VALU_DEP_1) | instskip(NEXT) | instid1(VALU_DEP_1)
	v_mul_f32_e32 v7, v6, v5
	v_fma_f32 v8, -v4, v7, v6
	s_delay_alu instid0(VALU_DEP_1) | instskip(NEXT) | instid1(VALU_DEP_1)
	v_fmac_f32_e32 v7, v8, v5
	v_fma_f32 v4, -v4, v7, v6
	s_delay_alu instid0(VALU_DEP_1) | instskip(NEXT) | instid1(VALU_DEP_1)
	v_div_fmas_f32 v4, v4, v5, v7
	v_div_fixup_f32 v176, v4, v174, 1.0
	s_delay_alu instid0(VALU_DEP_1)
	v_mul_f32_e64 v177, v1, -v176
.LBB83_25:
	s_or_b32 exec_lo, exec_lo, s1
	ds_store_b64 v255, v[176:177]
.LBB83_26:
	s_or_b32 exec_lo, exec_lo, s2
	s_wait_dscnt 0x0
	s_barrier_signal -1
	s_barrier_wait -1
	ds_load_b64 v[174:175], v255
	s_mov_b32 s1, exec_lo
	v_cmpx_lt_u32_e32 2, v254
	s_cbranch_execz .LBB83_28
; %bb.27:
	ds_load_2addr_b64 v[180:183], v0 offset0:3 offset1:4
	s_wait_dscnt 0x1
	v_pk_mul_f32 v[178:179], v[174:175], v[32:33] op_sel:[1,1] op_sel_hi:[0,1]
	s_delay_alu instid0(VALU_DEP_1) | instskip(SKIP_1) | instid1(VALU_DEP_1)
	v_pk_fma_f32 v[176:177], v[174:175], v[32:33], v[178:179] op_sel_hi:[1,0,1] neg_lo:[0,0,1] neg_hi:[0,0,1]
	v_pk_fma_f32 v[178:179], v[174:175], v[32:33], v[178:179] op_sel_hi:[1,0,1]
	v_dual_mov_b32 v32, v176 :: v_dual_mov_b32 v33, v179
	s_wait_dscnt 0x0
	s_delay_alu instid0(VALU_DEP_2) | instskip(NEXT) | instid1(VALU_DEP_1)
	v_pk_mul_f32 v[184:185], v[180:181], v[178:179] op_sel:[0,1]
	v_pk_fma_f32 v[186:187], v[180:181], v[176:177], v[184:185] op_sel:[0,0,1] op_sel_hi:[1,1,0] neg_lo:[0,0,1] neg_hi:[0,0,1]
	v_pk_fma_f32 v[180:181], v[180:181], v[176:177], v[184:185] op_sel:[0,0,1] op_sel_hi:[1,0,0]
	s_delay_alu instid0(VALU_DEP_1) | instskip(SKIP_1) | instid1(VALU_DEP_1)
	v_mov_b32_e32 v187, v181
	v_pk_mul_f32 v[180:181], v[182:183], v[178:179] op_sel:[0,1]
	v_pk_fma_f32 v[184:185], v[182:183], v[176:177], v[180:181] op_sel:[0,0,1] op_sel_hi:[1,1,0] neg_lo:[0,0,1] neg_hi:[0,0,1]
	v_pk_fma_f32 v[180:181], v[182:183], v[176:177], v[180:181] op_sel:[0,0,1] op_sel_hi:[1,0,0]
	s_delay_alu instid0(VALU_DEP_1)
	v_mov_b32_e32 v185, v181
	ds_load_2addr_b64 v[180:183], v0 offset0:5 offset1:6
	v_pk_add_f32 v[74:75], v[74:75], v[186:187] neg_lo:[0,1] neg_hi:[0,1]
	v_pk_add_f32 v[58:59], v[58:59], v[184:185] neg_lo:[0,1] neg_hi:[0,1]
	s_wait_dscnt 0x0
	v_pk_mul_f32 v[184:185], v[180:181], v[178:179] op_sel:[0,1]
	s_delay_alu instid0(VALU_DEP_1) | instskip(SKIP_2) | instid1(VALU_DEP_2)
	v_pk_fma_f32 v[186:187], v[180:181], v[176:177], v[184:185] op_sel:[0,0,1] op_sel_hi:[1,1,0] neg_lo:[0,0,1] neg_hi:[0,0,1]
	v_pk_fma_f32 v[180:181], v[180:181], v[176:177], v[184:185] op_sel:[0,0,1] op_sel_hi:[1,0,0]
	v_dual_mul_f32 v184, v183, v179 :: v_dual_mov_b32 v180, v183
	v_dual_mov_b32 v187, v181 :: v_dual_mov_b32 v181, v182
	s_delay_alu instid0(VALU_DEP_2) | instskip(SKIP_1) | instid1(VALU_DEP_3)
	v_pk_fma_f32 v[184:185], v[182:183], v[32:33], v[184:185] op_sel_hi:[1,1,0] neg_lo:[0,0,1] neg_hi:[0,0,1]
	v_mul_f32_e32 v182, v183, v176
	v_pk_add_f32 v[30:31], v[30:31], v[186:187] neg_lo:[0,1] neg_hi:[0,1]
	s_delay_alu instid0(VALU_DEP_2) | instskip(NEXT) | instid1(VALU_DEP_1)
	v_pk_fma_f32 v[180:181], v[180:181], v[32:33], v[182:183] op_sel_hi:[1,1,0]
	v_mov_b32_e32 v185, v181
	ds_load_2addr_b64 v[180:183], v0 offset0:7 offset1:8
	v_pk_add_f32 v[56:57], v[56:57], v[184:185] neg_lo:[0,1] neg_hi:[0,1]
	s_wait_dscnt 0x0
	v_pk_mul_f32 v[184:185], v[180:181], v[178:179] op_sel:[0,1]
	s_delay_alu instid0(VALU_DEP_1) | instskip(SKIP_1) | instid1(VALU_DEP_1)
	v_pk_fma_f32 v[186:187], v[180:181], v[176:177], v[184:185] op_sel:[0,0,1] op_sel_hi:[1,1,0] neg_lo:[0,0,1] neg_hi:[0,0,1]
	v_pk_fma_f32 v[180:181], v[180:181], v[176:177], v[184:185] op_sel:[0,0,1] op_sel_hi:[1,0,0]
	v_mov_b32_e32 v187, v181
	v_pk_mul_f32 v[180:181], v[182:183], v[178:179] op_sel:[0,1]
	s_delay_alu instid0(VALU_DEP_1) | instskip(SKIP_1) | instid1(VALU_DEP_1)
	v_pk_fma_f32 v[184:185], v[182:183], v[176:177], v[180:181] op_sel:[0,0,1] op_sel_hi:[1,1,0] neg_lo:[0,0,1] neg_hi:[0,0,1]
	v_pk_fma_f32 v[180:181], v[182:183], v[176:177], v[180:181] op_sel:[0,0,1] op_sel_hi:[1,0,0]
	v_mov_b32_e32 v185, v181
	ds_load_2addr_b64 v[180:183], v0 offset0:9 offset1:10
	v_pk_add_f32 v[54:55], v[54:55], v[186:187] neg_lo:[0,1] neg_hi:[0,1]
	v_pk_add_f32 v[72:73], v[72:73], v[184:185] neg_lo:[0,1] neg_hi:[0,1]
	s_wait_dscnt 0x0
	v_pk_mul_f32 v[184:185], v[180:181], v[178:179] op_sel:[0,1]
	s_delay_alu instid0(VALU_DEP_1) | instskip(SKIP_1) | instid1(VALU_DEP_1)
	v_pk_fma_f32 v[186:187], v[180:181], v[176:177], v[184:185] op_sel:[0,0,1] op_sel_hi:[1,1,0] neg_lo:[0,0,1] neg_hi:[0,0,1]
	v_pk_fma_f32 v[180:181], v[180:181], v[176:177], v[184:185] op_sel:[0,0,1] op_sel_hi:[1,0,0]
	v_mov_b32_e32 v187, v181
	v_pk_mul_f32 v[180:181], v[182:183], v[178:179] op_sel:[0,1]
	s_delay_alu instid0(VALU_DEP_1) | instskip(SKIP_1) | instid1(VALU_DEP_1)
	v_pk_fma_f32 v[184:185], v[182:183], v[176:177], v[180:181] op_sel:[0,0,1] op_sel_hi:[1,1,0] neg_lo:[0,0,1] neg_hi:[0,0,1]
	v_pk_fma_f32 v[180:181], v[182:183], v[176:177], v[180:181] op_sel:[0,0,1] op_sel_hi:[1,0,0]
	v_mov_b32_e32 v185, v181
	ds_load_2addr_b64 v[180:183], v0 offset0:11 offset1:12
	v_pk_add_f32 v[68:69], v[68:69], v[186:187] neg_lo:[0,1] neg_hi:[0,1]
	v_pk_add_f32 v[70:71], v[70:71], v[184:185] neg_lo:[0,1] neg_hi:[0,1]
	s_wait_dscnt 0x0
	v_dual_mul_f32 v184, v181, v179 :: v_dual_mul_f32 v186, v181, v176
	s_delay_alu instid0(VALU_DEP_1) | instskip(NEXT) | instid1(VALU_DEP_2)
	v_pk_fma_f32 v[184:185], v[180:181], v[32:33], v[184:185] op_sel_hi:[1,1,0] neg_lo:[0,0,1] neg_hi:[0,0,1]
	v_pk_fma_f32 v[180:181], v[180:181], v[32:33], v[186:187] op_sel:[1,0,0] op_sel_hi:[0,1,0]
	s_delay_alu instid0(VALU_DEP_1) | instskip(SKIP_1) | instid1(VALU_DEP_2)
	v_mov_b32_e32 v185, v181
	v_pk_mul_f32 v[180:181], v[182:183], v[178:179] op_sel:[0,1]
	v_pk_add_f32 v[52:53], v[52:53], v[184:185] neg_lo:[0,1] neg_hi:[0,1]
	s_delay_alu instid0(VALU_DEP_2) | instskip(SKIP_1) | instid1(VALU_DEP_1)
	v_pk_fma_f32 v[184:185], v[182:183], v[176:177], v[180:181] op_sel:[0,0,1] op_sel_hi:[1,1,0] neg_lo:[0,0,1] neg_hi:[0,0,1]
	v_pk_fma_f32 v[180:181], v[182:183], v[176:177], v[180:181] op_sel:[0,0,1] op_sel_hi:[1,0,0]
	v_mov_b32_e32 v185, v181
	ds_load_2addr_b64 v[180:183], v0 offset0:13 offset1:14
	v_pk_add_f32 v[98:99], v[98:99], v[184:185] neg_lo:[0,1] neg_hi:[0,1]
	s_wait_dscnt 0x0
	v_pk_mul_f32 v[184:185], v[180:181], v[178:179] op_sel:[0,1]
	s_delay_alu instid0(VALU_DEP_1) | instskip(SKIP_1) | instid1(VALU_DEP_1)
	v_pk_fma_f32 v[186:187], v[180:181], v[176:177], v[184:185] op_sel:[0,0,1] op_sel_hi:[1,1,0] neg_lo:[0,0,1] neg_hi:[0,0,1]
	v_pk_fma_f32 v[180:181], v[180:181], v[176:177], v[184:185] op_sel:[0,0,1] op_sel_hi:[1,0,0]
	v_mov_b32_e32 v187, v181
	v_pk_mul_f32 v[180:181], v[182:183], v[178:179] op_sel:[0,1]
	s_delay_alu instid0(VALU_DEP_2) | instskip(NEXT) | instid1(VALU_DEP_2)
	v_pk_add_f32 v[94:95], v[94:95], v[186:187] neg_lo:[0,1] neg_hi:[0,1]
	v_pk_fma_f32 v[184:185], v[182:183], v[176:177], v[180:181] op_sel:[0,0,1] op_sel_hi:[1,1,0] neg_lo:[0,0,1] neg_hi:[0,0,1]
	v_pk_fma_f32 v[180:181], v[182:183], v[176:177], v[180:181] op_sel:[0,0,1] op_sel_hi:[1,0,0]
	s_delay_alu instid0(VALU_DEP_1) | instskip(SKIP_4) | instid1(VALU_DEP_1)
	v_mov_b32_e32 v185, v181
	ds_load_2addr_b64 v[180:183], v0 offset0:15 offset1:16
	v_pk_add_f32 v[96:97], v[96:97], v[184:185] neg_lo:[0,1] neg_hi:[0,1]
	s_wait_dscnt 0x0
	v_pk_mul_f32 v[184:185], v[180:181], v[178:179] op_sel:[0,1]
	v_pk_fma_f32 v[186:187], v[180:181], v[176:177], v[184:185] op_sel:[0,0,1] op_sel_hi:[1,1,0] neg_lo:[0,0,1] neg_hi:[0,0,1]
	v_pk_fma_f32 v[180:181], v[180:181], v[176:177], v[184:185] op_sel:[0,0,1] op_sel_hi:[1,0,0]
	v_dual_mul_f32 v184, v183, v179 :: v_dual_mov_b32 v180, v183
	s_delay_alu instid0(VALU_DEP_2) | instskip(NEXT) | instid1(VALU_DEP_2)
	v_dual_mov_b32 v187, v181 :: v_dual_mov_b32 v181, v182
	v_pk_fma_f32 v[184:185], v[182:183], v[32:33], v[184:185] op_sel_hi:[1,1,0] neg_lo:[0,0,1] neg_hi:[0,0,1]
	v_mul_f32_e32 v182, v183, v176
	s_delay_alu instid0(VALU_DEP_3) | instskip(NEXT) | instid1(VALU_DEP_2)
	v_pk_add_f32 v[92:93], v[92:93], v[186:187] neg_lo:[0,1] neg_hi:[0,1]
	v_pk_fma_f32 v[180:181], v[180:181], v[32:33], v[182:183] op_sel_hi:[1,1,0]
	s_delay_alu instid0(VALU_DEP_1) | instskip(SKIP_4) | instid1(VALU_DEP_1)
	v_mov_b32_e32 v185, v181
	ds_load_2addr_b64 v[180:183], v0 offset0:17 offset1:18
	v_pk_add_f32 v[120:121], v[120:121], v[184:185] neg_lo:[0,1] neg_hi:[0,1]
	s_wait_dscnt 0x0
	v_pk_mul_f32 v[184:185], v[180:181], v[178:179] op_sel:[0,1]
	v_pk_fma_f32 v[186:187], v[180:181], v[176:177], v[184:185] op_sel:[0,0,1] op_sel_hi:[1,1,0] neg_lo:[0,0,1] neg_hi:[0,0,1]
	v_pk_fma_f32 v[180:181], v[180:181], v[176:177], v[184:185] op_sel:[0,0,1] op_sel_hi:[1,0,0]
	s_delay_alu instid0(VALU_DEP_1) | instskip(SKIP_1) | instid1(VALU_DEP_1)
	v_mov_b32_e32 v187, v181
	v_pk_mul_f32 v[180:181], v[182:183], v[178:179] op_sel:[0,1]
	v_pk_fma_f32 v[184:185], v[182:183], v[176:177], v[180:181] op_sel:[0,0,1] op_sel_hi:[1,1,0] neg_lo:[0,0,1] neg_hi:[0,0,1]
	v_pk_fma_f32 v[180:181], v[182:183], v[176:177], v[180:181] op_sel:[0,0,1] op_sel_hi:[1,0,0]
	s_delay_alu instid0(VALU_DEP_1)
	v_mov_b32_e32 v185, v181
	ds_load_2addr_b64 v[180:183], v0 offset0:19 offset1:20
	v_pk_add_f32 v[118:119], v[118:119], v[186:187] neg_lo:[0,1] neg_hi:[0,1]
	v_pk_add_f32 v[90:91], v[90:91], v[184:185] neg_lo:[0,1] neg_hi:[0,1]
	s_wait_dscnt 0x0
	v_pk_mul_f32 v[184:185], v[180:181], v[178:179] op_sel:[0,1]
	s_delay_alu instid0(VALU_DEP_1) | instskip(SKIP_1) | instid1(VALU_DEP_1)
	v_pk_fma_f32 v[186:187], v[180:181], v[176:177], v[184:185] op_sel:[0,0,1] op_sel_hi:[1,1,0] neg_lo:[0,0,1] neg_hi:[0,0,1]
	v_pk_fma_f32 v[180:181], v[180:181], v[176:177], v[184:185] op_sel:[0,0,1] op_sel_hi:[1,0,0]
	v_mov_b32_e32 v187, v181
	v_pk_mul_f32 v[180:181], v[182:183], v[178:179] op_sel:[0,1]
	s_delay_alu instid0(VALU_DEP_1) | instskip(SKIP_1) | instid1(VALU_DEP_1)
	v_pk_fma_f32 v[184:185], v[182:183], v[176:177], v[180:181] op_sel:[0,0,1] op_sel_hi:[1,1,0] neg_lo:[0,0,1] neg_hi:[0,0,1]
	v_pk_fma_f32 v[180:181], v[182:183], v[176:177], v[180:181] op_sel:[0,0,1] op_sel_hi:[1,0,0]
	v_mov_b32_e32 v185, v181
	ds_load_2addr_b64 v[180:183], v0 offset0:21 offset1:22
	v_pk_add_f32 v[116:117], v[116:117], v[186:187] neg_lo:[0,1] neg_hi:[0,1]
	v_pk_add_f32 v[138:139], v[138:139], v[184:185] neg_lo:[0,1] neg_hi:[0,1]
	s_wait_dscnt 0x0
	v_dual_mul_f32 v184, v181, v179 :: v_dual_mul_f32 v186, v181, v176
	s_delay_alu instid0(VALU_DEP_1) | instskip(NEXT) | instid1(VALU_DEP_2)
	v_pk_fma_f32 v[184:185], v[180:181], v[32:33], v[184:185] op_sel_hi:[1,1,0] neg_lo:[0,0,1] neg_hi:[0,0,1]
	v_pk_fma_f32 v[180:181], v[180:181], v[32:33], v[186:187] op_sel:[1,0,0] op_sel_hi:[0,1,0]
	s_delay_alu instid0(VALU_DEP_1) | instskip(SKIP_1) | instid1(VALU_DEP_2)
	v_mov_b32_e32 v185, v181
	v_pk_mul_f32 v[180:181], v[182:183], v[178:179] op_sel:[0,1]
	v_pk_add_f32 v[78:79], v[78:79], v[184:185] neg_lo:[0,1] neg_hi:[0,1]
	s_delay_alu instid0(VALU_DEP_2) | instskip(SKIP_1) | instid1(VALU_DEP_1)
	v_pk_fma_f32 v[184:185], v[182:183], v[176:177], v[180:181] op_sel:[0,0,1] op_sel_hi:[1,1,0] neg_lo:[0,0,1] neg_hi:[0,0,1]
	v_pk_fma_f32 v[180:181], v[182:183], v[176:177], v[180:181] op_sel:[0,0,1] op_sel_hi:[1,0,0]
	v_mov_b32_e32 v185, v181
	ds_load_2addr_b64 v[180:183], v0 offset0:23 offset1:24
	v_pk_add_f32 v[80:81], v[80:81], v[184:185] neg_lo:[0,1] neg_hi:[0,1]
	s_wait_dscnt 0x0
	v_pk_mul_f32 v[184:185], v[180:181], v[178:179] op_sel:[0,1]
	s_delay_alu instid0(VALU_DEP_1) | instskip(SKIP_1) | instid1(VALU_DEP_1)
	v_pk_fma_f32 v[186:187], v[180:181], v[176:177], v[184:185] op_sel:[0,0,1] op_sel_hi:[1,1,0] neg_lo:[0,0,1] neg_hi:[0,0,1]
	v_pk_fma_f32 v[180:181], v[180:181], v[176:177], v[184:185] op_sel:[0,0,1] op_sel_hi:[1,0,0]
	v_mov_b32_e32 v187, v181
	v_pk_mul_f32 v[180:181], v[182:183], v[178:179] op_sel:[0,1]
	s_delay_alu instid0(VALU_DEP_2) | instskip(NEXT) | instid1(VALU_DEP_2)
	v_pk_add_f32 v[76:77], v[76:77], v[186:187] neg_lo:[0,1] neg_hi:[0,1]
	v_pk_fma_f32 v[184:185], v[182:183], v[176:177], v[180:181] op_sel:[0,0,1] op_sel_hi:[1,1,0] neg_lo:[0,0,1] neg_hi:[0,0,1]
	v_pk_fma_f32 v[180:181], v[182:183], v[176:177], v[180:181] op_sel:[0,0,1] op_sel_hi:[1,0,0]
	s_delay_alu instid0(VALU_DEP_1) | instskip(SKIP_4) | instid1(VALU_DEP_1)
	v_mov_b32_e32 v185, v181
	ds_load_2addr_b64 v[180:183], v0 offset0:25 offset1:26
	v_pk_add_f32 v[106:107], v[106:107], v[184:185] neg_lo:[0,1] neg_hi:[0,1]
	s_wait_dscnt 0x0
	v_pk_mul_f32 v[184:185], v[180:181], v[178:179] op_sel:[0,1]
	v_pk_fma_f32 v[186:187], v[180:181], v[176:177], v[184:185] op_sel:[0,0,1] op_sel_hi:[1,1,0] neg_lo:[0,0,1] neg_hi:[0,0,1]
	v_pk_fma_f32 v[180:181], v[180:181], v[176:177], v[184:185] op_sel:[0,0,1] op_sel_hi:[1,0,0]
	v_dual_mul_f32 v184, v183, v179 :: v_dual_mov_b32 v180, v183
	s_delay_alu instid0(VALU_DEP_2) | instskip(NEXT) | instid1(VALU_DEP_2)
	v_dual_mov_b32 v187, v181 :: v_dual_mov_b32 v181, v182
	v_pk_fma_f32 v[184:185], v[182:183], v[32:33], v[184:185] op_sel_hi:[1,1,0] neg_lo:[0,0,1] neg_hi:[0,0,1]
	v_mul_f32_e32 v182, v183, v176
	s_delay_alu instid0(VALU_DEP_3) | instskip(NEXT) | instid1(VALU_DEP_2)
	v_pk_add_f32 v[102:103], v[102:103], v[186:187] neg_lo:[0,1] neg_hi:[0,1]
	v_pk_fma_f32 v[180:181], v[180:181], v[32:33], v[182:183] op_sel_hi:[1,1,0]
	s_delay_alu instid0(VALU_DEP_1) | instskip(SKIP_4) | instid1(VALU_DEP_1)
	v_mov_b32_e32 v185, v181
	ds_load_2addr_b64 v[180:183], v0 offset0:27 offset1:28
	v_pk_add_f32 v[104:105], v[104:105], v[184:185] neg_lo:[0,1] neg_hi:[0,1]
	s_wait_dscnt 0x0
	v_pk_mul_f32 v[184:185], v[180:181], v[178:179] op_sel:[0,1]
	v_pk_fma_f32 v[186:187], v[180:181], v[176:177], v[184:185] op_sel:[0,0,1] op_sel_hi:[1,1,0] neg_lo:[0,0,1] neg_hi:[0,0,1]
	v_pk_fma_f32 v[180:181], v[180:181], v[176:177], v[184:185] op_sel:[0,0,1] op_sel_hi:[1,0,0]
	s_delay_alu instid0(VALU_DEP_1) | instskip(SKIP_1) | instid1(VALU_DEP_1)
	v_mov_b32_e32 v187, v181
	v_pk_mul_f32 v[180:181], v[182:183], v[178:179] op_sel:[0,1]
	v_pk_fma_f32 v[184:185], v[182:183], v[176:177], v[180:181] op_sel:[0,0,1] op_sel_hi:[1,1,0] neg_lo:[0,0,1] neg_hi:[0,0,1]
	v_pk_fma_f32 v[180:181], v[182:183], v[176:177], v[180:181] op_sel:[0,0,1] op_sel_hi:[1,0,0]
	s_delay_alu instid0(VALU_DEP_1)
	v_mov_b32_e32 v185, v181
	ds_load_2addr_b64 v[180:183], v0 offset0:29 offset1:30
	v_pk_add_f32 v[100:101], v[100:101], v[186:187] neg_lo:[0,1] neg_hi:[0,1]
	v_pk_add_f32 v[128:129], v[128:129], v[184:185] neg_lo:[0,1] neg_hi:[0,1]
	s_wait_dscnt 0x0
	v_pk_mul_f32 v[184:185], v[180:181], v[178:179] op_sel:[0,1]
	s_delay_alu instid0(VALU_DEP_1) | instskip(SKIP_1) | instid1(VALU_DEP_1)
	v_pk_fma_f32 v[186:187], v[180:181], v[176:177], v[184:185] op_sel:[0,0,1] op_sel_hi:[1,1,0] neg_lo:[0,0,1] neg_hi:[0,0,1]
	v_pk_fma_f32 v[180:181], v[180:181], v[176:177], v[184:185] op_sel:[0,0,1] op_sel_hi:[1,0,0]
	v_mov_b32_e32 v187, v181
	v_pk_mul_f32 v[180:181], v[182:183], v[178:179] op_sel:[0,1]
	s_delay_alu instid0(VALU_DEP_1) | instskip(SKIP_1) | instid1(VALU_DEP_1)
	v_pk_fma_f32 v[184:185], v[182:183], v[176:177], v[180:181] op_sel:[0,0,1] op_sel_hi:[1,1,0] neg_lo:[0,0,1] neg_hi:[0,0,1]
	v_pk_fma_f32 v[180:181], v[182:183], v[176:177], v[180:181] op_sel:[0,0,1] op_sel_hi:[1,0,0]
	v_mov_b32_e32 v185, v181
	ds_load_2addr_b64 v[180:183], v0 offset0:31 offset1:32
	v_pk_add_f32 v[124:125], v[124:125], v[186:187] neg_lo:[0,1] neg_hi:[0,1]
	v_pk_add_f32 v[126:127], v[126:127], v[184:185] neg_lo:[0,1] neg_hi:[0,1]
	s_wait_dscnt 0x0
	v_dual_mul_f32 v184, v181, v179 :: v_dual_mul_f32 v186, v181, v176
	s_delay_alu instid0(VALU_DEP_1) | instskip(NEXT) | instid1(VALU_DEP_2)
	v_pk_fma_f32 v[184:185], v[180:181], v[32:33], v[184:185] op_sel_hi:[1,1,0] neg_lo:[0,0,1] neg_hi:[0,0,1]
	v_pk_fma_f32 v[180:181], v[180:181], v[32:33], v[186:187] op_sel:[1,0,0] op_sel_hi:[0,1,0]
	s_delay_alu instid0(VALU_DEP_1) | instskip(SKIP_1) | instid1(VALU_DEP_2)
	v_mov_b32_e32 v185, v181
	v_pk_mul_f32 v[180:181], v[182:183], v[178:179] op_sel:[0,1]
	v_pk_add_f32 v[122:123], v[122:123], v[184:185] neg_lo:[0,1] neg_hi:[0,1]
	s_delay_alu instid0(VALU_DEP_2) | instskip(SKIP_1) | instid1(VALU_DEP_1)
	v_pk_fma_f32 v[184:185], v[182:183], v[176:177], v[180:181] op_sel:[0,0,1] op_sel_hi:[1,1,0] neg_lo:[0,0,1] neg_hi:[0,0,1]
	v_pk_fma_f32 v[180:181], v[182:183], v[176:177], v[180:181] op_sel:[0,0,1] op_sel_hi:[1,0,0]
	v_mov_b32_e32 v185, v181
	ds_load_2addr_b64 v[180:183], v0 offset0:33 offset1:34
	v_pk_add_f32 v[148:149], v[148:149], v[184:185] neg_lo:[0,1] neg_hi:[0,1]
	s_wait_dscnt 0x0
	v_pk_mul_f32 v[184:185], v[180:181], v[178:179] op_sel:[0,1]
	s_delay_alu instid0(VALU_DEP_1) | instskip(SKIP_1) | instid1(VALU_DEP_1)
	v_pk_fma_f32 v[186:187], v[180:181], v[176:177], v[184:185] op_sel:[0,0,1] op_sel_hi:[1,1,0] neg_lo:[0,0,1] neg_hi:[0,0,1]
	v_pk_fma_f32 v[180:181], v[180:181], v[176:177], v[184:185] op_sel:[0,0,1] op_sel_hi:[1,0,0]
	v_mov_b32_e32 v187, v181
	v_pk_mul_f32 v[180:181], v[182:183], v[178:179] op_sel:[0,1]
	s_delay_alu instid0(VALU_DEP_2) | instskip(NEXT) | instid1(VALU_DEP_2)
	v_pk_add_f32 v[144:145], v[144:145], v[186:187] neg_lo:[0,1] neg_hi:[0,1]
	v_pk_fma_f32 v[184:185], v[182:183], v[176:177], v[180:181] op_sel:[0,0,1] op_sel_hi:[1,1,0] neg_lo:[0,0,1] neg_hi:[0,0,1]
	v_pk_fma_f32 v[180:181], v[182:183], v[176:177], v[180:181] op_sel:[0,0,1] op_sel_hi:[1,0,0]
	s_delay_alu instid0(VALU_DEP_1) | instskip(SKIP_4) | instid1(VALU_DEP_1)
	v_mov_b32_e32 v185, v181
	ds_load_2addr_b64 v[180:183], v0 offset0:35 offset1:36
	v_pk_add_f32 v[146:147], v[146:147], v[184:185] neg_lo:[0,1] neg_hi:[0,1]
	s_wait_dscnt 0x0
	v_pk_mul_f32 v[184:185], v[180:181], v[178:179] op_sel:[0,1]
	v_pk_fma_f32 v[186:187], v[180:181], v[176:177], v[184:185] op_sel:[0,0,1] op_sel_hi:[1,1,0] neg_lo:[0,0,1] neg_hi:[0,0,1]
	v_pk_fma_f32 v[180:181], v[180:181], v[176:177], v[184:185] op_sel:[0,0,1] op_sel_hi:[1,0,0]
	v_dual_mul_f32 v184, v183, v179 :: v_dual_mov_b32 v180, v183
	s_delay_alu instid0(VALU_DEP_2) | instskip(NEXT) | instid1(VALU_DEP_2)
	v_dual_mov_b32 v187, v181 :: v_dual_mov_b32 v181, v182
	v_pk_fma_f32 v[184:185], v[182:183], v[32:33], v[184:185] op_sel_hi:[1,1,0] neg_lo:[0,0,1] neg_hi:[0,0,1]
	v_mul_f32_e32 v182, v183, v176
	s_delay_alu instid0(VALU_DEP_3) | instskip(NEXT) | instid1(VALU_DEP_2)
	v_pk_add_f32 v[142:143], v[142:143], v[186:187] neg_lo:[0,1] neg_hi:[0,1]
	v_pk_fma_f32 v[180:181], v[180:181], v[32:33], v[182:183] op_sel_hi:[1,1,0]
	s_delay_alu instid0(VALU_DEP_1) | instskip(SKIP_4) | instid1(VALU_DEP_1)
	v_mov_b32_e32 v185, v181
	ds_load_2addr_b64 v[180:183], v0 offset0:37 offset1:38
	v_pk_add_f32 v[164:165], v[164:165], v[184:185] neg_lo:[0,1] neg_hi:[0,1]
	s_wait_dscnt 0x0
	v_pk_mul_f32 v[184:185], v[180:181], v[178:179] op_sel:[0,1]
	v_pk_fma_f32 v[186:187], v[180:181], v[176:177], v[184:185] op_sel:[0,0,1] op_sel_hi:[1,1,0] neg_lo:[0,0,1] neg_hi:[0,0,1]
	v_pk_fma_f32 v[180:181], v[180:181], v[176:177], v[184:185] op_sel:[0,0,1] op_sel_hi:[1,0,0]
	s_delay_alu instid0(VALU_DEP_1) | instskip(SKIP_1) | instid1(VALU_DEP_1)
	v_mov_b32_e32 v187, v181
	v_pk_mul_f32 v[180:181], v[182:183], v[178:179] op_sel:[0,1]
	v_pk_fma_f32 v[184:185], v[182:183], v[176:177], v[180:181] op_sel:[0,0,1] op_sel_hi:[1,1,0] neg_lo:[0,0,1] neg_hi:[0,0,1]
	v_pk_fma_f32 v[180:181], v[182:183], v[176:177], v[180:181] op_sel:[0,0,1] op_sel_hi:[1,0,0]
	s_delay_alu instid0(VALU_DEP_1)
	v_mov_b32_e32 v185, v181
	ds_load_2addr_b64 v[180:183], v0 offset0:39 offset1:40
	v_pk_add_f32 v[160:161], v[160:161], v[186:187] neg_lo:[0,1] neg_hi:[0,1]
	v_pk_add_f32 v[162:163], v[162:163], v[184:185] neg_lo:[0,1] neg_hi:[0,1]
	s_wait_dscnt 0x0
	v_pk_mul_f32 v[184:185], v[180:181], v[178:179] op_sel:[0,1]
	s_delay_alu instid0(VALU_DEP_1) | instskip(SKIP_1) | instid1(VALU_DEP_1)
	v_pk_fma_f32 v[186:187], v[180:181], v[176:177], v[184:185] op_sel:[0,0,1] op_sel_hi:[1,1,0] neg_lo:[0,0,1] neg_hi:[0,0,1]
	v_pk_fma_f32 v[180:181], v[180:181], v[176:177], v[184:185] op_sel:[0,0,1] op_sel_hi:[1,0,0]
	v_mov_b32_e32 v187, v181
	v_pk_mul_f32 v[180:181], v[182:183], v[178:179] op_sel:[0,1]
	s_delay_alu instid0(VALU_DEP_1) | instskip(SKIP_1) | instid1(VALU_DEP_1)
	v_pk_fma_f32 v[184:185], v[182:183], v[176:177], v[180:181] op_sel:[0,0,1] op_sel_hi:[1,1,0] neg_lo:[0,0,1] neg_hi:[0,0,1]
	v_pk_fma_f32 v[180:181], v[182:183], v[176:177], v[180:181] op_sel:[0,0,1] op_sel_hi:[1,0,0]
	v_mov_b32_e32 v185, v181
	ds_load_b64 v[180:181], v0 offset:328
	v_pk_add_f32 v[158:159], v[158:159], v[186:187] neg_lo:[0,1] neg_hi:[0,1]
	v_pk_add_f32 v[166:167], v[166:167], v[184:185] neg_lo:[0,1] neg_hi:[0,1]
	s_wait_dscnt 0x0
	v_pk_mul_f32 v[178:179], v[180:181], v[178:179] op_sel:[0,1]
	s_delay_alu instid0(VALU_DEP_1) | instskip(SKIP_1) | instid1(VALU_DEP_1)
	v_pk_fma_f32 v[182:183], v[180:181], v[176:177], v[178:179] op_sel:[0,0,1] op_sel_hi:[1,1,0] neg_lo:[0,0,1] neg_hi:[0,0,1]
	v_pk_fma_f32 v[176:177], v[180:181], v[176:177], v[178:179] op_sel:[0,0,1] op_sel_hi:[1,0,0]
	v_mov_b32_e32 v183, v177
	s_delay_alu instid0(VALU_DEP_1)
	v_pk_add_f32 v[168:169], v[168:169], v[182:183] neg_lo:[0,1] neg_hi:[0,1]
.LBB83_28:
	s_or_b32 exec_lo, exec_lo, s1
	s_delay_alu instid0(SALU_CYCLE_1)
	s_mov_b32 s2, exec_lo
	s_wait_dscnt 0x0
	s_barrier_signal -1
	s_barrier_wait -1
	v_cmpx_eq_u32_e32 3, v254
	s_cbranch_execz .LBB83_35
; %bb.29:
	v_dual_mov_b32 v176, v58 :: v_dual_mov_b32 v177, v59
	v_dual_mov_b32 v178, v30 :: v_dual_mov_b32 v179, v31
	ds_store_b64 v255, v[74:75]
	ds_store_2addr_b64 v0, v[176:177], v[178:179] offset0:4 offset1:5
	v_dual_mov_b32 v176, v56 :: v_dual_mov_b32 v177, v57
	v_dual_mov_b32 v178, v54 :: v_dual_mov_b32 v179, v55
	ds_store_2addr_b64 v0, v[176:177], v[178:179] offset0:6 offset1:7
	v_dual_mov_b32 v176, v72 :: v_dual_mov_b32 v177, v73
	v_dual_mov_b32 v178, v68 :: v_dual_mov_b32 v179, v69
	;; [unrolled: 3-line block ×17, first 2 shown]
	ds_store_2addr_b64 v0, v[176:177], v[178:179] offset0:38 offset1:39
	v_dual_mov_b32 v176, v166 :: v_dual_mov_b32 v177, v167
	ds_store_2addr_b64 v0, v[176:177], v[168:169] offset0:40 offset1:41
	ds_load_b64 v[176:177], v255
	s_wait_dscnt 0x0
	v_cmp_neq_f32_e32 vcc_lo, 0, v176
	v_cmp_neq_f32_e64 s1, 0, v177
	s_or_b32 s1, vcc_lo, s1
	s_delay_alu instid0(SALU_CYCLE_1)
	s_and_b32 exec_lo, exec_lo, s1
	s_cbranch_execz .LBB83_35
; %bb.30:
	v_cmp_ngt_f32_e64 s1, |v176|, |v177|
                                        ; implicit-def: $vgpr178_vgpr179
	s_and_saveexec_b32 s4, s1
	s_delay_alu instid0(SALU_CYCLE_1)
	s_xor_b32 s1, exec_lo, s4
	s_cbranch_execz .LBB83_32
; %bb.31:
	v_div_scale_f32 v1, null, v177, v177, v176
	v_div_scale_f32 v6, vcc_lo, v176, v177, v176
	s_delay_alu instid0(VALU_DEP_2) | instskip(SKIP_1) | instid1(TRANS32_DEP_1)
	v_rcp_f32_e32 v4, v1
	v_nop
	v_fma_f32 v5, -v1, v4, 1.0
	s_delay_alu instid0(VALU_DEP_1) | instskip(NEXT) | instid1(VALU_DEP_1)
	v_fmac_f32_e32 v4, v5, v4
	v_mul_f32_e32 v5, v6, v4
	s_delay_alu instid0(VALU_DEP_1) | instskip(NEXT) | instid1(VALU_DEP_1)
	v_fma_f32 v7, -v1, v5, v6
	v_fmac_f32_e32 v5, v7, v4
	s_delay_alu instid0(VALU_DEP_1) | instskip(NEXT) | instid1(VALU_DEP_1)
	v_fma_f32 v1, -v1, v5, v6
	v_div_fmas_f32 v1, v1, v4, v5
	s_delay_alu instid0(VALU_DEP_1) | instskip(NEXT) | instid1(VALU_DEP_1)
	v_div_fixup_f32 v1, v1, v177, v176
	v_fmac_f32_e32 v177, v176, v1
	s_delay_alu instid0(VALU_DEP_1) | instskip(SKIP_1) | instid1(VALU_DEP_2)
	v_div_scale_f32 v4, null, v177, v177, 1.0
	v_div_scale_f32 v7, vcc_lo, 1.0, v177, 1.0
	v_rcp_f32_e32 v5, v4
	v_nop
	s_delay_alu instid0(TRANS32_DEP_1) | instskip(NEXT) | instid1(VALU_DEP_1)
	v_fma_f32 v6, -v4, v5, 1.0
	v_fmac_f32_e32 v5, v6, v5
	s_delay_alu instid0(VALU_DEP_1) | instskip(NEXT) | instid1(VALU_DEP_1)
	v_mul_f32_e32 v6, v7, v5
	v_fma_f32 v8, -v4, v6, v7
	s_delay_alu instid0(VALU_DEP_1) | instskip(NEXT) | instid1(VALU_DEP_1)
	v_fmac_f32_e32 v6, v8, v5
	v_fma_f32 v4, -v4, v6, v7
	s_delay_alu instid0(VALU_DEP_1) | instskip(NEXT) | instid1(VALU_DEP_1)
	v_div_fmas_f32 v4, v4, v5, v6
	v_div_fixup_f32 v4, v4, v177, 1.0
                                        ; implicit-def: $vgpr176_vgpr177
	s_delay_alu instid0(VALU_DEP_1)
	v_mul_f32_e32 v178, v1, v4
	v_xor_b32_e32 v179, 0x80000000, v4
.LBB83_32:
	s_and_not1_saveexec_b32 s1, s1
	s_cbranch_execz .LBB83_34
; %bb.33:
	v_div_scale_f32 v1, null, v176, v176, v177
	v_div_scale_f32 v6, vcc_lo, v177, v176, v177
	s_delay_alu instid0(VALU_DEP_2) | instskip(SKIP_1) | instid1(TRANS32_DEP_1)
	v_rcp_f32_e32 v4, v1
	v_nop
	v_fma_f32 v5, -v1, v4, 1.0
	s_delay_alu instid0(VALU_DEP_1) | instskip(NEXT) | instid1(VALU_DEP_1)
	v_fmac_f32_e32 v4, v5, v4
	v_mul_f32_e32 v5, v6, v4
	s_delay_alu instid0(VALU_DEP_1) | instskip(NEXT) | instid1(VALU_DEP_1)
	v_fma_f32 v7, -v1, v5, v6
	v_fmac_f32_e32 v5, v7, v4
	s_delay_alu instid0(VALU_DEP_1) | instskip(NEXT) | instid1(VALU_DEP_1)
	v_fma_f32 v1, -v1, v5, v6
	v_div_fmas_f32 v1, v1, v4, v5
	s_delay_alu instid0(VALU_DEP_1) | instskip(NEXT) | instid1(VALU_DEP_1)
	v_div_fixup_f32 v1, v1, v176, v177
	v_fmac_f32_e32 v176, v177, v1
	s_delay_alu instid0(VALU_DEP_1) | instskip(NEXT) | instid1(VALU_DEP_1)
	v_div_scale_f32 v4, null, v176, v176, 1.0
	v_rcp_f32_e32 v5, v4
	v_nop
	s_delay_alu instid0(TRANS32_DEP_1) | instskip(NEXT) | instid1(VALU_DEP_1)
	v_fma_f32 v6, -v4, v5, 1.0
	v_fmac_f32_e32 v5, v6, v5
	v_div_scale_f32 v6, vcc_lo, 1.0, v176, 1.0
	s_delay_alu instid0(VALU_DEP_1) | instskip(NEXT) | instid1(VALU_DEP_1)
	v_mul_f32_e32 v7, v6, v5
	v_fma_f32 v8, -v4, v7, v6
	s_delay_alu instid0(VALU_DEP_1) | instskip(NEXT) | instid1(VALU_DEP_1)
	v_fmac_f32_e32 v7, v8, v5
	v_fma_f32 v4, -v4, v7, v6
	s_delay_alu instid0(VALU_DEP_1) | instskip(NEXT) | instid1(VALU_DEP_1)
	v_div_fmas_f32 v4, v4, v5, v7
	v_div_fixup_f32 v178, v4, v176, 1.0
	s_delay_alu instid0(VALU_DEP_1)
	v_mul_f32_e64 v179, v1, -v178
.LBB83_34:
	s_or_b32 exec_lo, exec_lo, s1
	ds_store_b64 v255, v[178:179]
.LBB83_35:
	s_or_b32 exec_lo, exec_lo, s2
	s_wait_dscnt 0x0
	s_barrier_signal -1
	s_barrier_wait -1
	ds_load_b64 v[176:177], v255
	s_mov_b32 s1, exec_lo
	v_cmpx_lt_u32_e32 3, v254
	s_cbranch_execz .LBB83_37
; %bb.36:
	ds_load_2addr_b64 v[182:185], v0 offset0:4 offset1:5
	ds_load_2addr_b64 v[186:189], v0 offset0:6 offset1:7
	;; [unrolled: 1-line block ×3, first 2 shown]
	s_wait_dscnt 0x3
	v_pk_mul_f32 v[180:181], v[176:177], v[74:75] op_sel:[1,1] op_sel_hi:[0,1]
	ds_load_2addr_b64 v[194:197], v0 offset0:10 offset1:11
	ds_load_2addr_b64 v[198:201], v0 offset0:12 offset1:13
	v_pk_fma_f32 v[178:179], v[176:177], v[74:75], v[180:181] op_sel_hi:[1,0,1] neg_lo:[0,0,1] neg_hi:[0,0,1]
	v_pk_fma_f32 v[180:181], v[176:177], v[74:75], v[180:181] op_sel_hi:[1,0,1]
	s_delay_alu instid0(VALU_DEP_1) | instskip(SKIP_1) | instid1(VALU_DEP_2)
	v_dual_mov_b32 v74, v178 :: v_dual_mov_b32 v75, v181
	s_wait_dscnt 0x4
	v_pk_mul_f32 v[202:203], v[182:183], v[180:181] op_sel:[0,1]
	v_pk_mul_f32 v[204:205], v[184:185], v[180:181] op_sel:[0,1]
	s_wait_dscnt 0x3
	v_pk_mul_f32 v[206:207], v[186:187], v[180:181] op_sel:[0,1]
	v_dual_mov_b32 v208, v189 :: v_dual_mov_b32 v209, v188
	v_dual_mul_f32 v210, v189, v181 :: v_dual_mul_f32 v212, v189, v178
	v_pk_fma_f32 v[218:219], v[182:183], v[178:179], v[202:203] op_sel:[0,0,1] op_sel_hi:[1,1,0] neg_lo:[0,0,1] neg_hi:[0,0,1]
	v_pk_fma_f32 v[182:183], v[182:183], v[178:179], v[202:203] op_sel:[0,0,1] op_sel_hi:[1,0,0]
	v_pk_fma_f32 v[202:203], v[184:185], v[178:179], v[204:205] op_sel:[0,0,1] op_sel_hi:[1,1,0] neg_lo:[0,0,1] neg_hi:[0,0,1]
	v_pk_fma_f32 v[184:185], v[184:185], v[178:179], v[204:205] op_sel:[0,0,1] op_sel_hi:[1,0,0]
	;; [unrolled: 2-line block ×3, first 2 shown]
	v_pk_fma_f32 v[206:207], v[208:209], v[74:75], v[212:213] op_sel_hi:[1,1,0]
	s_wait_dscnt 0x2
	v_pk_mul_f32 v[214:215], v[190:191], v[180:181] op_sel:[0,1]
	v_dual_mov_b32 v219, v183 :: v_dual_mov_b32 v203, v185
	v_pk_fma_f32 v[188:189], v[188:189], v[74:75], v[210:211] op_sel_hi:[1,1,0] neg_lo:[0,0,1] neg_hi:[0,0,1]
	v_dual_mov_b32 v205, v187 :: v_dual_mov_b32 v189, v207
	v_pk_mul_f32 v[216:217], v[192:193], v[180:181] op_sel:[0,1]
	v_pk_fma_f32 v[186:187], v[190:191], v[178:179], v[214:215] op_sel:[0,0,1] op_sel_hi:[1,0,0]
	v_pk_add_f32 v[30:31], v[30:31], v[202:203] neg_lo:[0,1] neg_hi:[0,1]
	s_wait_dscnt 0x1
	v_pk_mul_f32 v[202:203], v[194:195], v[180:181] op_sel:[0,1]
	v_pk_add_f32 v[54:55], v[54:55], v[188:189] neg_lo:[0,1] neg_hi:[0,1]
	v_pk_fma_f32 v[188:189], v[190:191], v[178:179], v[214:215] op_sel:[0,0,1] op_sel_hi:[1,1,0] neg_lo:[0,0,1] neg_hi:[0,0,1]
	v_pk_fma_f32 v[190:191], v[192:193], v[178:179], v[216:217] op_sel:[0,0,1] op_sel_hi:[1,0,0]
	v_mov_b32_e32 v189, v187
	v_pk_add_f32 v[56:57], v[56:57], v[204:205] neg_lo:[0,1] neg_hi:[0,1]
	ds_load_2addr_b64 v[182:185], v0 offset0:14 offset1:15
	v_pk_fma_f32 v[204:205], v[194:195], v[178:179], v[202:203] op_sel:[0,0,1] op_sel_hi:[1,0,0]
	v_pk_fma_f32 v[186:187], v[192:193], v[178:179], v[216:217] op_sel:[0,0,1] op_sel_hi:[1,1,0] neg_lo:[0,0,1] neg_hi:[0,0,1]
	v_pk_mul_f32 v[192:193], v[196:197], v[180:181] op_sel:[0,1]
	v_mov_b32_e32 v187, v191
	v_pk_add_f32 v[72:73], v[72:73], v[188:189] neg_lo:[0,1] neg_hi:[0,1]
	v_pk_fma_f32 v[188:189], v[194:195], v[178:179], v[202:203] op_sel:[0,0,1] op_sel_hi:[1,1,0] neg_lo:[0,0,1] neg_hi:[0,0,1]
	v_mov_b32_e32 v189, v205
	v_pk_fma_f32 v[190:191], v[196:197], v[178:179], v[192:193] op_sel:[0,0,1] op_sel_hi:[1,0,0]
	v_pk_add_f32 v[68:69], v[68:69], v[186:187] neg_lo:[0,1] neg_hi:[0,1]
	v_pk_fma_f32 v[192:193], v[196:197], v[178:179], v[192:193] op_sel:[0,0,1] op_sel_hi:[1,1,0] neg_lo:[0,0,1] neg_hi:[0,0,1]
	s_wait_dscnt 0x1
	v_mul_f32_e32 v190, v199, v178
	v_pk_add_f32 v[70:71], v[70:71], v[188:189] neg_lo:[0,1] neg_hi:[0,1]
	ds_load_2addr_b64 v[186:189], v0 offset0:16 offset1:17
	v_pk_mul_f32 v[196:197], v[200:201], v[180:181] op_sel:[0,1]
	v_mov_b32_e32 v193, v191
	v_pk_fma_f32 v[190:191], v[198:199], v[74:75], v[190:191] op_sel:[1,0,0] op_sel_hi:[0,1,0]
	v_pk_add_f32 v[58:59], v[58:59], v[218:219] neg_lo:[0,1] neg_hi:[0,1]
	s_delay_alu instid0(VALU_DEP_4)
	v_pk_fma_f32 v[204:205], v[200:201], v[178:179], v[196:197] op_sel:[0,0,1] op_sel_hi:[1,0,0]
	v_mul_f32_e32 v194, v199, v181
	v_pk_fma_f32 v[196:197], v[200:201], v[178:179], v[196:197] op_sel:[0,0,1] op_sel_hi:[1,1,0] neg_lo:[0,0,1] neg_hi:[0,0,1]
	s_wait_dscnt 0x1
	v_pk_mul_f32 v[202:203], v[182:183], v[180:181] op_sel:[0,1]
	v_mov_b32_e32 v197, v205
	v_pk_fma_f32 v[194:195], v[198:199], v[74:75], v[194:195] op_sel_hi:[1,1,0] neg_lo:[0,0,1] neg_hi:[0,0,1]
	v_pk_mul_f32 v[198:199], v[184:185], v[180:181] op_sel:[0,1]
	v_mov_b32_e32 v195, v191
	v_pk_add_f32 v[52:53], v[52:53], v[192:193] neg_lo:[0,1] neg_hi:[0,1]
	v_pk_fma_f32 v[206:207], v[182:183], v[178:179], v[202:203] op_sel:[0,0,1] op_sel_hi:[1,0,0]
	ds_load_2addr_b64 v[190:193], v0 offset0:18 offset1:19
	v_pk_fma_f32 v[200:201], v[184:185], v[178:179], v[198:199] op_sel:[0,0,1] op_sel_hi:[1,0,0]
	v_pk_fma_f32 v[182:183], v[182:183], v[178:179], v[202:203] op_sel:[0,0,1] op_sel_hi:[1,1,0] neg_lo:[0,0,1] neg_hi:[0,0,1]
	v_pk_fma_f32 v[184:185], v[184:185], v[178:179], v[198:199] op_sel:[0,0,1] op_sel_hi:[1,1,0] neg_lo:[0,0,1] neg_hi:[0,0,1]
	v_mov_b32_e32 v183, v207
	v_pk_add_f32 v[98:99], v[98:99], v[194:195] neg_lo:[0,1] neg_hi:[0,1]
	v_mov_b32_e32 v185, v201
	s_wait_dscnt 0x1
	v_pk_mul_f32 v[194:195], v[186:187], v[180:181] op_sel:[0,1]
	v_pk_add_f32 v[94:95], v[94:95], v[196:197] neg_lo:[0,1] neg_hi:[0,1]
	v_pk_add_f32 v[96:97], v[96:97], v[182:183] neg_lo:[0,1] neg_hi:[0,1]
	v_dual_mov_b32 v198, v189 :: v_dual_mov_b32 v199, v188
	v_pk_add_f32 v[92:93], v[92:93], v[184:185] neg_lo:[0,1] neg_hi:[0,1]
	ds_load_2addr_b64 v[182:185], v0 offset0:20 offset1:21
	v_pk_fma_f32 v[196:197], v[186:187], v[178:179], v[194:195] op_sel:[0,0,1] op_sel_hi:[1,0,0]
	v_dual_mul_f32 v200, v189, v178 :: v_dual_mul_f32 v204, v189, v181
	v_pk_fma_f32 v[186:187], v[186:187], v[178:179], v[194:195] op_sel:[0,0,1] op_sel_hi:[1,1,0] neg_lo:[0,0,1] neg_hi:[0,0,1]
	s_delay_alu instid0(VALU_DEP_2) | instskip(NEXT) | instid1(VALU_DEP_4)
	v_pk_fma_f32 v[198:199], v[198:199], v[74:75], v[200:201] op_sel_hi:[1,1,0]
	v_mov_b32_e32 v187, v197
	ds_load_2addr_b64 v[194:197], v0 offset0:22 offset1:23
	v_pk_fma_f32 v[204:205], v[188:189], v[74:75], v[204:205] op_sel_hi:[1,1,0] neg_lo:[0,0,1] neg_hi:[0,0,1]
	s_wait_dscnt 0x2
	v_pk_mul_f32 v[202:203], v[190:191], v[180:181] op_sel:[0,1]
	v_mov_b32_e32 v205, v199
	v_pk_add_f32 v[120:121], v[120:121], v[186:187] neg_lo:[0,1] neg_hi:[0,1]
	v_pk_mul_f32 v[186:187], v[192:193], v[180:181] op_sel:[0,1]
	s_delay_alu instid0(VALU_DEP_4) | instskip(SKIP_2) | instid1(VALU_DEP_4)
	v_pk_fma_f32 v[200:201], v[190:191], v[178:179], v[202:203] op_sel:[0,0,1] op_sel_hi:[1,0,0]
	v_pk_fma_f32 v[190:191], v[190:191], v[178:179], v[202:203] op_sel:[0,0,1] op_sel_hi:[1,1,0] neg_lo:[0,0,1] neg_hi:[0,0,1]
	v_pk_add_f32 v[118:119], v[118:119], v[204:205] neg_lo:[0,1] neg_hi:[0,1]
	v_pk_fma_f32 v[198:199], v[192:193], v[178:179], v[186:187] op_sel:[0,0,1] op_sel_hi:[1,0,0]
	v_pk_fma_f32 v[192:193], v[192:193], v[178:179], v[186:187] op_sel:[0,0,1] op_sel_hi:[1,1,0] neg_lo:[0,0,1] neg_hi:[0,0,1]
	ds_load_2addr_b64 v[186:189], v0 offset0:24 offset1:25
	v_mov_b32_e32 v191, v201
	s_wait_dscnt 0x2
	v_pk_mul_f32 v[200:201], v[182:183], v[180:181] op_sel:[0,1]
	v_mov_b32_e32 v193, v199
	v_pk_mul_f32 v[198:199], v[184:185], v[180:181] op_sel:[0,1]
	v_pk_add_f32 v[90:91], v[90:91], v[190:191] neg_lo:[0,1] neg_hi:[0,1]
	s_delay_alu instid0(VALU_DEP_4) | instskip(NEXT) | instid1(VALU_DEP_4)
	v_pk_fma_f32 v[190:191], v[182:183], v[178:179], v[200:201] op_sel:[0,0,1] op_sel_hi:[1,0,0]
	v_pk_add_f32 v[116:117], v[116:117], v[192:193] neg_lo:[0,1] neg_hi:[0,1]
	v_pk_fma_f32 v[192:193], v[182:183], v[178:179], v[200:201] op_sel:[0,0,1] op_sel_hi:[1,1,0] neg_lo:[0,0,1] neg_hi:[0,0,1]
	v_pk_fma_f32 v[200:201], v[184:185], v[178:179], v[198:199] op_sel:[0,0,1] op_sel_hi:[1,0,0]
	s_wait_dscnt 0x1
	v_dual_mul_f32 v190, v195, v178 :: v_dual_mul_f32 v200, v195, v181
	v_pk_fma_f32 v[198:199], v[184:185], v[178:179], v[198:199] op_sel:[0,0,1] op_sel_hi:[1,1,0] neg_lo:[0,0,1] neg_hi:[0,0,1]
	s_delay_alu instid0(VALU_DEP_3) | instskip(NEXT) | instid1(VALU_DEP_3)
	v_dual_mov_b32 v193, v191 :: v_dual_mov_b32 v199, v201
	v_pk_fma_f32 v[190:191], v[194:195], v[74:75], v[190:191] op_sel:[1,0,0] op_sel_hi:[0,1,0]
	ds_load_2addr_b64 v[182:185], v0 offset0:26 offset1:27
	v_pk_fma_f32 v[194:195], v[194:195], v[74:75], v[200:201] op_sel_hi:[1,1,0] neg_lo:[0,0,1] neg_hi:[0,0,1]
	v_pk_mul_f32 v[200:201], v[196:197], v[180:181] op_sel:[0,1]
	v_pk_add_f32 v[78:79], v[78:79], v[198:199] neg_lo:[0,1] neg_hi:[0,1]
	s_wait_dscnt 0x1
	v_pk_mul_f32 v[202:203], v[186:187], v[180:181] op_sel:[0,1]
	v_pk_add_f32 v[138:139], v[138:139], v[192:193] neg_lo:[0,1] neg_hi:[0,1]
	v_pk_fma_f32 v[198:199], v[196:197], v[178:179], v[200:201] op_sel:[0,0,1] op_sel_hi:[1,0,0]
	v_mov_b32_e32 v195, v191
	v_pk_fma_f32 v[196:197], v[196:197], v[178:179], v[200:201] op_sel:[0,0,1] op_sel_hi:[1,1,0] neg_lo:[0,0,1] neg_hi:[0,0,1]
	ds_load_2addr_b64 v[190:193], v0 offset0:28 offset1:29
	v_pk_fma_f32 v[204:205], v[186:187], v[178:179], v[202:203] op_sel:[0,0,1] op_sel_hi:[1,0,0]
	v_mov_b32_e32 v197, v199
	v_pk_add_f32 v[80:81], v[80:81], v[194:195] neg_lo:[0,1] neg_hi:[0,1]
	v_pk_mul_f32 v[194:195], v[188:189], v[180:181] op_sel:[0,1]
	v_pk_fma_f32 v[186:187], v[186:187], v[178:179], v[202:203] op_sel:[0,0,1] op_sel_hi:[1,1,0] neg_lo:[0,0,1] neg_hi:[0,0,1]
	s_delay_alu instid0(VALU_DEP_4) | instskip(NEXT) | instid1(VALU_DEP_3)
	v_pk_add_f32 v[76:77], v[76:77], v[196:197] neg_lo:[0,1] neg_hi:[0,1]
	v_pk_fma_f32 v[200:201], v[188:189], v[178:179], v[194:195] op_sel:[0,0,1] op_sel_hi:[1,0,0]
	v_mov_b32_e32 v187, v205
	v_pk_fma_f32 v[194:195], v[188:189], v[178:179], v[194:195] op_sel:[0,0,1] op_sel_hi:[1,1,0] neg_lo:[0,0,1] neg_hi:[0,0,1]
	s_wait_dscnt 0x1
	v_pk_mul_f32 v[198:199], v[182:183], v[180:181] op_sel:[0,1]
	v_mov_b32_e32 v195, v201
	v_pk_add_f32 v[106:107], v[106:107], v[186:187] neg_lo:[0,1] neg_hi:[0,1]
	ds_load_2addr_b64 v[186:189], v0 offset0:30 offset1:31
	v_pk_add_f32 v[102:103], v[102:103], v[194:195] neg_lo:[0,1] neg_hi:[0,1]
	v_pk_fma_f32 v[194:195], v[182:183], v[178:179], v[198:199] op_sel:[0,0,1] op_sel_hi:[1,0,0]
	v_pk_fma_f32 v[182:183], v[182:183], v[178:179], v[198:199] op_sel:[0,0,1] op_sel_hi:[1,1,0] neg_lo:[0,0,1] neg_hi:[0,0,1]
	v_dual_mov_b32 v198, v185 :: v_dual_mov_b32 v199, v184
	s_delay_alu instid0(VALU_DEP_3)
	v_dual_mul_f32 v200, v185, v178 :: v_dual_mov_b32 v183, v195
	s_wait_dscnt 0x1
	v_pk_mul_f32 v[204:205], v[190:191], v[180:181] op_sel:[0,1]
	ds_load_2addr_b64 v[194:197], v0 offset0:32 offset1:33
	v_pk_fma_f32 v[198:199], v[198:199], v[74:75], v[200:201] op_sel_hi:[1,1,0]
	v_mul_f32_e32 v202, v185, v181
	v_pk_add_f32 v[104:105], v[104:105], v[182:183] neg_lo:[0,1] neg_hi:[0,1]
	v_pk_mul_f32 v[200:201], v[192:193], v[180:181] op_sel:[0,1]
	v_pk_fma_f32 v[182:183], v[190:191], v[178:179], v[204:205] op_sel:[0,0,1] op_sel_hi:[1,0,0]
	v_pk_fma_f32 v[190:191], v[190:191], v[178:179], v[204:205] op_sel:[0,0,1] op_sel_hi:[1,1,0] neg_lo:[0,0,1] neg_hi:[0,0,1]
	v_pk_fma_f32 v[202:203], v[184:185], v[74:75], v[202:203] op_sel_hi:[1,1,0] neg_lo:[0,0,1] neg_hi:[0,0,1]
	v_mov_b32_e32 v203, v199
	v_pk_fma_f32 v[198:199], v[192:193], v[178:179], v[200:201] op_sel:[0,0,1] op_sel_hi:[1,0,0]
	v_mov_b32_e32 v191, v183
	ds_load_2addr_b64 v[182:185], v0 offset0:34 offset1:35
	s_wait_dscnt 0x2
	v_pk_mul_f32 v[204:205], v[186:187], v[180:181] op_sel:[0,1]
	v_pk_fma_f32 v[192:193], v[192:193], v[178:179], v[200:201] op_sel:[0,0,1] op_sel_hi:[1,1,0] neg_lo:[0,0,1] neg_hi:[0,0,1]
	v_mov_b32_e32 v193, v199
	v_pk_add_f32 v[128:129], v[128:129], v[190:191] neg_lo:[0,1] neg_hi:[0,1]
	v_pk_mul_f32 v[198:199], v[188:189], v[180:181] op_sel:[0,1]
	v_pk_fma_f32 v[190:191], v[186:187], v[178:179], v[204:205] op_sel:[0,0,1] op_sel_hi:[1,0,0]
	v_pk_fma_f32 v[186:187], v[186:187], v[178:179], v[204:205] op_sel:[0,0,1] op_sel_hi:[1,1,0] neg_lo:[0,0,1] neg_hi:[0,0,1]
	s_wait_dscnt 0x1
	v_mul_f32_e32 v200, v195, v178
	v_pk_add_f32 v[100:101], v[100:101], v[202:203] neg_lo:[0,1] neg_hi:[0,1]
	v_pk_add_f32 v[124:125], v[124:125], v[192:193] neg_lo:[0,1] neg_hi:[0,1]
	v_pk_fma_f32 v[202:203], v[188:189], v[178:179], v[198:199] op_sel:[0,0,1] op_sel_hi:[1,0,0]
	v_mov_b32_e32 v187, v191
	ds_load_2addr_b64 v[190:193], v0 offset0:36 offset1:37
	v_mul_f32_e32 v202, v195, v181
	v_pk_fma_f32 v[200:201], v[194:195], v[74:75], v[200:201] op_sel:[1,0,0] op_sel_hi:[0,1,0]
	v_pk_fma_f32 v[188:189], v[188:189], v[178:179], v[198:199] op_sel:[0,0,1] op_sel_hi:[1,1,0] neg_lo:[0,0,1] neg_hi:[0,0,1]
	v_pk_mul_f32 v[198:199], v[196:197], v[180:181] op_sel:[0,1]
	v_mov_b32_e32 v189, v203
	v_pk_fma_f32 v[194:195], v[194:195], v[74:75], v[202:203] op_sel_hi:[1,1,0] neg_lo:[0,0,1] neg_hi:[0,0,1]
	v_pk_add_f32 v[126:127], v[126:127], v[186:187] neg_lo:[0,1] neg_hi:[0,1]
	s_delay_alu instid0(VALU_DEP_4)
	v_pk_fma_f32 v[186:187], v[196:197], v[178:179], v[198:199] op_sel:[0,0,1] op_sel_hi:[1,0,0]
	v_mov_b32_e32 v195, v201
	s_wait_dscnt 0x1
	v_pk_mul_f32 v[200:201], v[182:183], v[180:181] op_sel:[0,1]
	v_pk_fma_f32 v[196:197], v[196:197], v[178:179], v[198:199] op_sel:[0,0,1] op_sel_hi:[1,1,0] neg_lo:[0,0,1] neg_hi:[0,0,1]
	v_pk_add_f32 v[122:123], v[122:123], v[188:189] neg_lo:[0,1] neg_hi:[0,1]
	v_mov_b32_e32 v197, v187
	v_pk_add_f32 v[148:149], v[148:149], v[194:195] neg_lo:[0,1] neg_hi:[0,1]
	v_pk_fma_f32 v[194:195], v[182:183], v[178:179], v[200:201] op_sel:[0,0,1] op_sel_hi:[1,0,0]
	ds_load_2addr_b64 v[186:189], v0 offset0:38 offset1:39
	v_pk_fma_f32 v[182:183], v[182:183], v[178:179], v[200:201] op_sel:[0,0,1] op_sel_hi:[1,1,0] neg_lo:[0,0,1] neg_hi:[0,0,1]
	v_pk_mul_f32 v[198:199], v[184:185], v[180:181] op_sel:[0,1]
	v_pk_add_f32 v[144:145], v[144:145], v[196:197] neg_lo:[0,1] neg_hi:[0,1]
	s_wait_dscnt 0x1
	v_dual_mov_b32 v183, v195 :: v_dual_mov_b32 v202, v193
	ds_load_2addr_b64 v[194:197], v0 offset0:40 offset1:41
	v_pk_mul_f32 v[200:201], v[190:191], v[180:181] op_sel:[0,1]
	v_mov_b32_e32 v203, v192
	v_pk_add_f32 v[146:147], v[146:147], v[182:183] neg_lo:[0,1] neg_hi:[0,1]
	v_pk_fma_f32 v[182:183], v[184:185], v[178:179], v[198:199] op_sel:[0,0,1] op_sel_hi:[1,1,0] neg_lo:[0,0,1] neg_hi:[0,0,1]
	v_pk_fma_f32 v[184:185], v[184:185], v[178:179], v[198:199] op_sel:[0,0,1] op_sel_hi:[1,0,0]
	v_pk_fma_f32 v[198:199], v[190:191], v[178:179], v[200:201] op_sel:[0,0,1] op_sel_hi:[1,0,0]
	v_mul_f32_e32 v184, v193, v178
	v_pk_fma_f32 v[190:191], v[190:191], v[178:179], v[200:201] op_sel:[0,0,1] op_sel_hi:[1,1,0] neg_lo:[0,0,1] neg_hi:[0,0,1]
	v_mul_f32_e32 v198, v193, v181
	s_delay_alu instid0(VALU_DEP_4) | instskip(NEXT) | instid1(VALU_DEP_4)
	v_dual_mov_b32 v183, v185 :: v_dual_mov_b32 v191, v199
	v_pk_fma_f32 v[184:185], v[202:203], v[74:75], v[184:185] op_sel_hi:[1,1,0]
	s_delay_alu instid0(VALU_DEP_2)
	v_pk_add_f32 v[142:143], v[142:143], v[182:183] neg_lo:[0,1] neg_hi:[0,1]
	s_wait_dscnt 0x1
	v_pk_mul_f32 v[182:183], v[186:187], v[180:181] op_sel:[0,1]
	v_pk_add_f32 v[164:165], v[164:165], v[190:191] neg_lo:[0,1] neg_hi:[0,1]
	v_pk_fma_f32 v[190:191], v[192:193], v[74:75], v[198:199] op_sel_hi:[1,1,0] neg_lo:[0,0,1] neg_hi:[0,0,1]
	v_mov_b32_e32 v191, v185
	v_pk_mul_f32 v[184:185], v[188:189], v[180:181] op_sel:[0,1]
	v_pk_fma_f32 v[192:193], v[186:187], v[178:179], v[182:183] op_sel:[0,0,1] op_sel_hi:[1,0,0]
	s_wait_dscnt 0x0
	v_pk_mul_f32 v[198:199], v[194:195], v[180:181] op_sel:[0,1]
	v_pk_mul_f32 v[180:181], v[196:197], v[180:181] op_sel:[0,1]
	v_pk_fma_f32 v[182:183], v[186:187], v[178:179], v[182:183] op_sel:[0,0,1] op_sel_hi:[1,1,0] neg_lo:[0,0,1] neg_hi:[0,0,1]
	v_pk_fma_f32 v[186:187], v[188:189], v[178:179], v[184:185] op_sel:[0,0,1] op_sel_hi:[1,0,0]
	v_mov_b32_e32 v183, v193
	v_pk_fma_f32 v[192:193], v[194:195], v[178:179], v[198:199] op_sel:[0,0,1] op_sel_hi:[1,0,0]
	v_pk_fma_f32 v[184:185], v[188:189], v[178:179], v[184:185] op_sel:[0,0,1] op_sel_hi:[1,1,0] neg_lo:[0,0,1] neg_hi:[0,0,1]
	v_pk_fma_f32 v[188:189], v[196:197], v[178:179], v[180:181] op_sel:[0,0,1] op_sel_hi:[1,0,0]
	v_mov_b32_e32 v185, v187
	v_pk_fma_f32 v[186:187], v[194:195], v[178:179], v[198:199] op_sel:[0,0,1] op_sel_hi:[1,1,0] neg_lo:[0,0,1] neg_hi:[0,0,1]
	v_pk_fma_f32 v[178:179], v[196:197], v[178:179], v[180:181] op_sel:[0,0,1] op_sel_hi:[1,1,0] neg_lo:[0,0,1] neg_hi:[0,0,1]
	s_delay_alu instid0(VALU_DEP_4) | instskip(SKIP_3) | instid1(VALU_DEP_4)
	v_dual_mov_b32 v187, v193 :: v_dual_mov_b32 v179, v189
	v_pk_add_f32 v[160:161], v[160:161], v[190:191] neg_lo:[0,1] neg_hi:[0,1]
	v_pk_add_f32 v[162:163], v[162:163], v[182:183] neg_lo:[0,1] neg_hi:[0,1]
	v_pk_add_f32 v[158:159], v[158:159], v[184:185] neg_lo:[0,1] neg_hi:[0,1]
	v_pk_add_f32 v[166:167], v[166:167], v[186:187] neg_lo:[0,1] neg_hi:[0,1]
	v_pk_add_f32 v[168:169], v[168:169], v[178:179] neg_lo:[0,1] neg_hi:[0,1]
.LBB83_37:
	s_or_b32 exec_lo, exec_lo, s1
	s_delay_alu instid0(SALU_CYCLE_1)
	s_mov_b32 s2, exec_lo
	s_wait_dscnt 0x0
	s_barrier_signal -1
	s_barrier_wait -1
	v_cmpx_eq_u32_e32 4, v254
	s_cbranch_execz .LBB83_44
; %bb.38:
	ds_store_b64 v255, v[58:59]
	ds_store_2addr_b64 v0, v[30:31], v[56:57] offset0:5 offset1:6
	ds_store_2addr_b64 v0, v[54:55], v[72:73] offset0:7 offset1:8
	;; [unrolled: 1-line block ×18, first 2 shown]
	ds_store_b64 v0, v[168:169] offset:328
	ds_load_b64 v[178:179], v255
	s_wait_dscnt 0x0
	v_cmp_neq_f32_e32 vcc_lo, 0, v178
	v_cmp_neq_f32_e64 s1, 0, v179
	s_or_b32 s1, vcc_lo, s1
	s_delay_alu instid0(SALU_CYCLE_1)
	s_and_b32 exec_lo, exec_lo, s1
	s_cbranch_execz .LBB83_44
; %bb.39:
	v_cmp_ngt_f32_e64 s1, |v178|, |v179|
                                        ; implicit-def: $vgpr180_vgpr181
	s_and_saveexec_b32 s4, s1
	s_delay_alu instid0(SALU_CYCLE_1)
	s_xor_b32 s1, exec_lo, s4
	s_cbranch_execz .LBB83_41
; %bb.40:
	v_div_scale_f32 v1, null, v179, v179, v178
	v_div_scale_f32 v6, vcc_lo, v178, v179, v178
	s_delay_alu instid0(VALU_DEP_2) | instskip(SKIP_1) | instid1(TRANS32_DEP_1)
	v_rcp_f32_e32 v4, v1
	v_nop
	v_fma_f32 v5, -v1, v4, 1.0
	s_delay_alu instid0(VALU_DEP_1) | instskip(NEXT) | instid1(VALU_DEP_1)
	v_fmac_f32_e32 v4, v5, v4
	v_mul_f32_e32 v5, v6, v4
	s_delay_alu instid0(VALU_DEP_1) | instskip(NEXT) | instid1(VALU_DEP_1)
	v_fma_f32 v7, -v1, v5, v6
	v_fmac_f32_e32 v5, v7, v4
	s_delay_alu instid0(VALU_DEP_1) | instskip(NEXT) | instid1(VALU_DEP_1)
	v_fma_f32 v1, -v1, v5, v6
	v_div_fmas_f32 v1, v1, v4, v5
	s_delay_alu instid0(VALU_DEP_1) | instskip(NEXT) | instid1(VALU_DEP_1)
	v_div_fixup_f32 v1, v1, v179, v178
	v_fmac_f32_e32 v179, v178, v1
	s_delay_alu instid0(VALU_DEP_1) | instskip(SKIP_1) | instid1(VALU_DEP_2)
	v_div_scale_f32 v4, null, v179, v179, 1.0
	v_div_scale_f32 v7, vcc_lo, 1.0, v179, 1.0
	v_rcp_f32_e32 v5, v4
	v_nop
	s_delay_alu instid0(TRANS32_DEP_1) | instskip(NEXT) | instid1(VALU_DEP_1)
	v_fma_f32 v6, -v4, v5, 1.0
	v_fmac_f32_e32 v5, v6, v5
	s_delay_alu instid0(VALU_DEP_1) | instskip(NEXT) | instid1(VALU_DEP_1)
	v_mul_f32_e32 v6, v7, v5
	v_fma_f32 v8, -v4, v6, v7
	s_delay_alu instid0(VALU_DEP_1) | instskip(NEXT) | instid1(VALU_DEP_1)
	v_fmac_f32_e32 v6, v8, v5
	v_fma_f32 v4, -v4, v6, v7
	s_delay_alu instid0(VALU_DEP_1) | instskip(NEXT) | instid1(VALU_DEP_1)
	v_div_fmas_f32 v4, v4, v5, v6
	v_div_fixup_f32 v4, v4, v179, 1.0
                                        ; implicit-def: $vgpr178_vgpr179
	s_delay_alu instid0(VALU_DEP_1)
	v_mul_f32_e32 v180, v1, v4
	v_xor_b32_e32 v181, 0x80000000, v4
.LBB83_41:
	s_and_not1_saveexec_b32 s1, s1
	s_cbranch_execz .LBB83_43
; %bb.42:
	v_div_scale_f32 v1, null, v178, v178, v179
	v_div_scale_f32 v6, vcc_lo, v179, v178, v179
	s_delay_alu instid0(VALU_DEP_2) | instskip(SKIP_1) | instid1(TRANS32_DEP_1)
	v_rcp_f32_e32 v4, v1
	v_nop
	v_fma_f32 v5, -v1, v4, 1.0
	s_delay_alu instid0(VALU_DEP_1) | instskip(NEXT) | instid1(VALU_DEP_1)
	v_fmac_f32_e32 v4, v5, v4
	v_mul_f32_e32 v5, v6, v4
	s_delay_alu instid0(VALU_DEP_1) | instskip(NEXT) | instid1(VALU_DEP_1)
	v_fma_f32 v7, -v1, v5, v6
	v_fmac_f32_e32 v5, v7, v4
	s_delay_alu instid0(VALU_DEP_1) | instskip(NEXT) | instid1(VALU_DEP_1)
	v_fma_f32 v1, -v1, v5, v6
	v_div_fmas_f32 v1, v1, v4, v5
	s_delay_alu instid0(VALU_DEP_1) | instskip(NEXT) | instid1(VALU_DEP_1)
	v_div_fixup_f32 v1, v1, v178, v179
	v_fmac_f32_e32 v178, v179, v1
	s_delay_alu instid0(VALU_DEP_1) | instskip(NEXT) | instid1(VALU_DEP_1)
	v_div_scale_f32 v4, null, v178, v178, 1.0
	v_rcp_f32_e32 v5, v4
	v_nop
	s_delay_alu instid0(TRANS32_DEP_1) | instskip(NEXT) | instid1(VALU_DEP_1)
	v_fma_f32 v6, -v4, v5, 1.0
	v_fmac_f32_e32 v5, v6, v5
	v_div_scale_f32 v6, vcc_lo, 1.0, v178, 1.0
	s_delay_alu instid0(VALU_DEP_1) | instskip(NEXT) | instid1(VALU_DEP_1)
	v_mul_f32_e32 v7, v6, v5
	v_fma_f32 v8, -v4, v7, v6
	s_delay_alu instid0(VALU_DEP_1) | instskip(NEXT) | instid1(VALU_DEP_1)
	v_fmac_f32_e32 v7, v8, v5
	v_fma_f32 v4, -v4, v7, v6
	s_delay_alu instid0(VALU_DEP_1) | instskip(NEXT) | instid1(VALU_DEP_1)
	v_div_fmas_f32 v4, v4, v5, v7
	v_div_fixup_f32 v180, v4, v178, 1.0
	s_delay_alu instid0(VALU_DEP_1)
	v_mul_f32_e64 v181, v1, -v180
.LBB83_43:
	s_or_b32 exec_lo, exec_lo, s1
	ds_store_b64 v255, v[180:181]
.LBB83_44:
	s_or_b32 exec_lo, exec_lo, s2
	s_wait_dscnt 0x0
	s_barrier_signal -1
	s_barrier_wait -1
	ds_load_b64 v[178:179], v255
	s_mov_b32 s1, exec_lo
	v_cmpx_lt_u32_e32 4, v254
	s_cbranch_execz .LBB83_46
; %bb.45:
	ds_load_2addr_b64 v[184:187], v0 offset0:5 offset1:6
	ds_load_2addr_b64 v[188:191], v0 offset0:7 offset1:8
	;; [unrolled: 1-line block ×3, first 2 shown]
	s_wait_dscnt 0x3
	v_pk_mul_f32 v[182:183], v[178:179], v[58:59] op_sel:[1,1] op_sel_hi:[0,1]
	ds_load_2addr_b64 v[196:199], v0 offset0:11 offset1:12
	ds_load_2addr_b64 v[200:203], v0 offset0:13 offset1:14
	v_pk_fma_f32 v[180:181], v[178:179], v[58:59], v[182:183] op_sel_hi:[1,0,1] neg_lo:[0,0,1] neg_hi:[0,0,1]
	v_pk_fma_f32 v[182:183], v[178:179], v[58:59], v[182:183] op_sel_hi:[1,0,1]
	s_delay_alu instid0(VALU_DEP_1) | instskip(SKIP_1) | instid1(VALU_DEP_2)
	v_dual_mov_b32 v58, v180 :: v_dual_mov_b32 v59, v183
	s_wait_dscnt 0x4
	v_pk_mul_f32 v[204:205], v[184:185], v[182:183] op_sel:[0,1]
	v_pk_mul_f32 v[206:207], v[186:187], v[182:183] op_sel:[0,1]
	s_wait_dscnt 0x3
	v_pk_mul_f32 v[208:209], v[188:189], v[182:183] op_sel:[0,1]
	v_dual_mov_b32 v210, v191 :: v_dual_mov_b32 v211, v190
	v_dual_mul_f32 v212, v191, v183 :: v_dual_mul_f32 v214, v191, v180
	v_pk_fma_f32 v[220:221], v[184:185], v[180:181], v[204:205] op_sel:[0,0,1] op_sel_hi:[1,1,0] neg_lo:[0,0,1] neg_hi:[0,0,1]
	v_pk_fma_f32 v[184:185], v[184:185], v[180:181], v[204:205] op_sel:[0,0,1] op_sel_hi:[1,0,0]
	v_pk_fma_f32 v[204:205], v[186:187], v[180:181], v[206:207] op_sel:[0,0,1] op_sel_hi:[1,1,0] neg_lo:[0,0,1] neg_hi:[0,0,1]
	v_pk_fma_f32 v[186:187], v[186:187], v[180:181], v[206:207] op_sel:[0,0,1] op_sel_hi:[1,0,0]
	;; [unrolled: 2-line block ×3, first 2 shown]
	v_pk_fma_f32 v[208:209], v[210:211], v[58:59], v[214:215] op_sel_hi:[1,1,0]
	v_pk_fma_f32 v[190:191], v[190:191], v[58:59], v[212:213] op_sel_hi:[1,1,0] neg_lo:[0,0,1] neg_hi:[0,0,1]
	s_wait_dscnt 0x2
	v_pk_mul_f32 v[216:217], v[192:193], v[182:183] op_sel:[0,1]
	v_pk_mul_f32 v[218:219], v[194:195], v[182:183] op_sel:[0,1]
	v_dual_mov_b32 v221, v185 :: v_dual_mov_b32 v205, v187
	v_dual_mov_b32 v207, v189 :: v_dual_mov_b32 v191, v209
	s_delay_alu instid0(VALU_DEP_4)
	v_pk_fma_f32 v[188:189], v[192:193], v[180:181], v[216:217] op_sel:[0,0,1] op_sel_hi:[1,0,0]
	ds_load_2addr_b64 v[184:187], v0 offset0:15 offset1:16
	v_pk_add_f32 v[56:57], v[56:57], v[204:205] neg_lo:[0,1] neg_hi:[0,1]
	v_pk_fma_f32 v[204:205], v[194:195], v[180:181], v[218:219] op_sel:[0,0,1] op_sel_hi:[1,0,0]
	v_pk_add_f32 v[72:73], v[72:73], v[190:191] neg_lo:[0,1] neg_hi:[0,1]
	s_wait_dscnt 0x2
	v_pk_mul_f32 v[190:191], v[196:197], v[182:183] op_sel:[0,1]
	v_pk_fma_f32 v[192:193], v[192:193], v[180:181], v[216:217] op_sel:[0,0,1] op_sel_hi:[1,1,0] neg_lo:[0,0,1] neg_hi:[0,0,1]
	v_pk_fma_f32 v[194:195], v[194:195], v[180:181], v[218:219] op_sel:[0,0,1] op_sel_hi:[1,1,0] neg_lo:[0,0,1] neg_hi:[0,0,1]
	v_dual_mov_b32 v193, v189 :: v_dual_mov_b32 v195, v205
	s_delay_alu instid0(VALU_DEP_4) | instskip(SKIP_2) | instid1(VALU_DEP_4)
	v_pk_fma_f32 v[188:189], v[196:197], v[180:181], v[190:191] op_sel:[0,0,1] op_sel_hi:[1,0,0]
	v_pk_mul_f32 v[204:205], v[198:199], v[182:183] op_sel:[0,1]
	v_pk_fma_f32 v[196:197], v[196:197], v[180:181], v[190:191] op_sel:[0,0,1] op_sel_hi:[1,1,0] neg_lo:[0,0,1] neg_hi:[0,0,1]
	v_pk_add_f32 v[68:69], v[68:69], v[192:193] neg_lo:[0,1] neg_hi:[0,1]
	v_pk_add_f32 v[70:71], v[70:71], v[194:195] neg_lo:[0,1] neg_hi:[0,1]
	;; [unrolled: 1-line block ×3, first 2 shown]
	v_pk_fma_f32 v[192:193], v[198:199], v[180:181], v[204:205] op_sel:[0,0,1] op_sel_hi:[1,0,0]
	v_mov_b32_e32 v197, v189
	ds_load_2addr_b64 v[188:191], v0 offset0:17 offset1:18
	v_pk_fma_f32 v[194:195], v[198:199], v[180:181], v[204:205] op_sel:[0,0,1] op_sel_hi:[1,1,0] neg_lo:[0,0,1] neg_hi:[0,0,1]
	s_wait_dscnt 0x2
	v_mul_f32_e32 v192, v201, v180
	v_mov_b32_e32 v195, v193
	v_pk_add_f32 v[52:53], v[52:53], v[196:197] neg_lo:[0,1] neg_hi:[0,1]
	v_mul_f32_e32 v196, v201, v183
	v_pk_mul_f32 v[198:199], v[202:203], v[182:183] op_sel:[0,1]
	v_pk_fma_f32 v[192:193], v[200:201], v[58:59], v[192:193] op_sel:[1,0,0] op_sel_hi:[0,1,0]
	s_wait_dscnt 0x1
	v_pk_mul_f32 v[204:205], v[184:185], v[182:183] op_sel:[0,1]
	v_pk_add_f32 v[98:99], v[98:99], v[194:195] neg_lo:[0,1] neg_hi:[0,1]
	v_pk_fma_f32 v[196:197], v[200:201], v[58:59], v[196:197] op_sel_hi:[1,1,0] neg_lo:[0,0,1] neg_hi:[0,0,1]
	v_pk_fma_f32 v[200:201], v[202:203], v[180:181], v[198:199] op_sel:[0,0,1] op_sel_hi:[1,0,0]
	v_pk_fma_f32 v[198:199], v[202:203], v[180:181], v[198:199] op_sel:[0,0,1] op_sel_hi:[1,1,0] neg_lo:[0,0,1] neg_hi:[0,0,1]
	v_mov_b32_e32 v197, v193
	v_pk_fma_f32 v[206:207], v[184:185], v[180:181], v[204:205] op_sel:[0,0,1] op_sel_hi:[1,0,0]
	v_pk_fma_f32 v[184:185], v[184:185], v[180:181], v[204:205] op_sel:[0,0,1] op_sel_hi:[1,1,0] neg_lo:[0,0,1] neg_hi:[0,0,1]
	v_mov_b32_e32 v199, v201
	v_pk_mul_f32 v[200:201], v[186:187], v[182:183] op_sel:[0,1]
	ds_load_2addr_b64 v[192:195], v0 offset0:19 offset1:20
	v_pk_add_f32 v[94:95], v[94:95], v[196:197] neg_lo:[0,1] neg_hi:[0,1]
	s_wait_dscnt 0x1
	v_pk_mul_f32 v[202:203], v[188:189], v[182:183] op_sel:[0,1]
	v_pk_add_f32 v[96:97], v[96:97], v[198:199] neg_lo:[0,1] neg_hi:[0,1]
	v_pk_fma_f32 v[196:197], v[186:187], v[180:181], v[200:201] op_sel:[0,0,1] op_sel_hi:[1,0,0]
	v_mov_b32_e32 v185, v207
	v_pk_fma_f32 v[200:201], v[186:187], v[180:181], v[200:201] op_sel:[0,0,1] op_sel_hi:[1,1,0] neg_lo:[0,0,1] neg_hi:[0,0,1]
	v_pk_fma_f32 v[198:199], v[188:189], v[180:181], v[202:203] op_sel:[0,0,1] op_sel_hi:[1,0,0]
	v_pk_fma_f32 v[188:189], v[188:189], v[180:181], v[202:203] op_sel:[0,0,1] op_sel_hi:[1,1,0] neg_lo:[0,0,1] neg_hi:[0,0,1]
	v_mov_b32_e32 v201, v197
	v_pk_add_f32 v[92:93], v[92:93], v[184:185] neg_lo:[0,1] neg_hi:[0,1]
	ds_load_2addr_b64 v[184:187], v0 offset0:21 offset1:22
	v_dual_mov_b32 v189, v199 :: v_dual_mov_b32 v196, v191
	v_dual_mov_b32 v197, v190 :: v_dual_mul_f32 v198, v191, v180
	v_pk_add_f32 v[120:121], v[120:121], v[200:201] neg_lo:[0,1] neg_hi:[0,1]
	s_delay_alu instid0(VALU_DEP_3) | instskip(SKIP_1) | instid1(VALU_DEP_4)
	v_pk_add_f32 v[118:119], v[118:119], v[188:189] neg_lo:[0,1] neg_hi:[0,1]
	v_pk_add_f32 v[30:31], v[30:31], v[220:221] neg_lo:[0,1] neg_hi:[0,1]
	v_pk_fma_f32 v[200:201], v[196:197], v[58:59], v[198:199] op_sel_hi:[1,1,0]
	v_mul_f32_e32 v188, v191, v183
	ds_load_2addr_b64 v[196:199], v0 offset0:23 offset1:24
	s_wait_dscnt 0x2
	v_pk_mul_f32 v[202:203], v[192:193], v[182:183] op_sel:[0,1]
	v_pk_mul_f32 v[206:207], v[194:195], v[182:183] op_sel:[0,1]
	v_pk_fma_f32 v[208:209], v[190:191], v[58:59], v[188:189] op_sel_hi:[1,1,0] neg_lo:[0,0,1] neg_hi:[0,0,1]
	ds_load_2addr_b64 v[188:191], v0 offset0:25 offset1:26
	v_pk_fma_f32 v[204:205], v[192:193], v[180:181], v[202:203] op_sel:[0,0,1] op_sel_hi:[1,0,0]
	v_mov_b32_e32 v209, v201
	v_pk_fma_f32 v[192:193], v[192:193], v[180:181], v[202:203] op_sel:[0,0,1] op_sel_hi:[1,1,0] neg_lo:[0,0,1] neg_hi:[0,0,1]
	v_pk_fma_f32 v[200:201], v[194:195], v[180:181], v[206:207] op_sel:[0,0,1] op_sel_hi:[1,0,0]
	s_wait_dscnt 0x2
	v_pk_mul_f32 v[202:203], v[184:185], v[182:183] op_sel:[0,1]
	v_pk_fma_f32 v[194:195], v[194:195], v[180:181], v[206:207] op_sel:[0,0,1] op_sel_hi:[1,1,0] neg_lo:[0,0,1] neg_hi:[0,0,1]
	v_mov_b32_e32 v193, v205
	v_pk_add_f32 v[90:91], v[90:91], v[208:209] neg_lo:[0,1] neg_hi:[0,1]
	v_mov_b32_e32 v195, v201
	v_pk_mul_f32 v[200:201], v[186:187], v[182:183] op_sel:[0,1]
	v_pk_fma_f32 v[204:205], v[184:185], v[180:181], v[202:203] op_sel:[0,0,1] op_sel_hi:[1,0,0]
	v_pk_fma_f32 v[184:185], v[184:185], v[180:181], v[202:203] op_sel:[0,0,1] op_sel_hi:[1,1,0] neg_lo:[0,0,1] neg_hi:[0,0,1]
	v_pk_add_f32 v[116:117], v[116:117], v[192:193] neg_lo:[0,1] neg_hi:[0,1]
	v_pk_add_f32 v[138:139], v[138:139], v[194:195] neg_lo:[0,1] neg_hi:[0,1]
	v_pk_fma_f32 v[202:203], v[186:187], v[180:181], v[200:201] op_sel:[0,0,1] op_sel_hi:[1,0,0]
	v_mov_b32_e32 v185, v205
	ds_load_2addr_b64 v[192:195], v0 offset0:27 offset1:28
	v_pk_fma_f32 v[186:187], v[186:187], v[180:181], v[200:201] op_sel:[0,0,1] op_sel_hi:[1,1,0] neg_lo:[0,0,1] neg_hi:[0,0,1]
	s_wait_dscnt 0x2
	v_dual_mul_f32 v200, v197, v180 :: v_dual_mul_f32 v202, v197, v183
	v_mov_b32_e32 v187, v203
	v_pk_add_f32 v[78:79], v[78:79], v[184:185] neg_lo:[0,1] neg_hi:[0,1]
	v_pk_mul_f32 v[184:185], v[198:199], v[182:183] op_sel:[0,1]
	s_delay_alu instid0(VALU_DEP_4)
	v_pk_fma_f32 v[200:201], v[196:197], v[58:59], v[200:201] op_sel:[1,0,0] op_sel_hi:[0,1,0]
	s_wait_dscnt 0x1
	v_pk_mul_f32 v[204:205], v[188:189], v[182:183] op_sel:[0,1]
	v_pk_add_f32 v[80:81], v[80:81], v[186:187] neg_lo:[0,1] neg_hi:[0,1]
	v_pk_fma_f32 v[196:197], v[196:197], v[58:59], v[202:203] op_sel_hi:[1,1,0] neg_lo:[0,0,1] neg_hi:[0,0,1]
	v_pk_fma_f32 v[186:187], v[198:199], v[180:181], v[184:185] op_sel:[0,0,1] op_sel_hi:[1,0,0]
	v_mov_b32_e32 v197, v201
	v_pk_fma_f32 v[198:199], v[198:199], v[180:181], v[184:185] op_sel:[0,0,1] op_sel_hi:[1,1,0] neg_lo:[0,0,1] neg_hi:[0,0,1]
	v_pk_fma_f32 v[200:201], v[188:189], v[180:181], v[204:205] op_sel:[0,0,1] op_sel_hi:[1,0,0]
	v_pk_mul_f32 v[202:203], v[190:191], v[182:183] op_sel:[0,1]
	v_mov_b32_e32 v199, v187
	ds_load_2addr_b64 v[184:187], v0 offset0:29 offset1:30
	v_pk_fma_f32 v[188:189], v[188:189], v[180:181], v[204:205] op_sel:[0,0,1] op_sel_hi:[1,1,0] neg_lo:[0,0,1] neg_hi:[0,0,1]
	v_pk_add_f32 v[76:77], v[76:77], v[196:197] neg_lo:[0,1] neg_hi:[0,1]
	v_pk_fma_f32 v[196:197], v[190:191], v[180:181], v[202:203] op_sel:[0,0,1] op_sel_hi:[1,0,0]
	v_mov_b32_e32 v189, v201
	s_wait_dscnt 0x1
	v_pk_mul_f32 v[200:201], v[192:193], v[182:183] op_sel:[0,1]
	v_pk_fma_f32 v[202:203], v[190:191], v[180:181], v[202:203] op_sel:[0,0,1] op_sel_hi:[1,1,0] neg_lo:[0,0,1] neg_hi:[0,0,1]
	v_pk_add_f32 v[106:107], v[106:107], v[198:199] neg_lo:[0,1] neg_hi:[0,1]
	v_mov_b32_e32 v203, v197
	v_pk_add_f32 v[102:103], v[102:103], v[188:189] neg_lo:[0,1] neg_hi:[0,1]
	ds_load_2addr_b64 v[188:191], v0 offset0:31 offset1:32
	v_pk_fma_f32 v[198:199], v[192:193], v[180:181], v[200:201] op_sel:[0,0,1] op_sel_hi:[1,0,0]
	v_pk_fma_f32 v[192:193], v[192:193], v[180:181], v[200:201] op_sel:[0,0,1] op_sel_hi:[1,1,0] neg_lo:[0,0,1] neg_hi:[0,0,1]
	v_dual_mov_b32 v196, v195 :: v_dual_mov_b32 v197, v194
	v_mul_f32_e32 v198, v195, v180
	s_delay_alu instid0(VALU_DEP_4) | instskip(SKIP_2) | instid1(VALU_DEP_4)
	v_mov_b32_e32 v193, v199
	v_mul_f32_e32 v200, v195, v183
	v_pk_add_f32 v[104:105], v[104:105], v[202:203] neg_lo:[0,1] neg_hi:[0,1]
	v_pk_fma_f32 v[202:203], v[196:197], v[58:59], v[198:199] op_sel_hi:[1,1,0]
	s_delay_alu instid0(VALU_DEP_4)
	v_pk_add_f32 v[100:101], v[100:101], v[192:193] neg_lo:[0,1] neg_hi:[0,1]
	s_wait_dscnt 0x1
	v_pk_mul_f32 v[192:193], v[184:185], v[182:183] op_sel:[0,1]
	v_pk_mul_f32 v[204:205], v[186:187], v[182:183] op_sel:[0,1]
	ds_load_2addr_b64 v[196:199], v0 offset0:33 offset1:34
	v_pk_fma_f32 v[194:195], v[194:195], v[58:59], v[200:201] op_sel_hi:[1,1,0] neg_lo:[0,0,1] neg_hi:[0,0,1]
	v_pk_fma_f32 v[206:207], v[184:185], v[180:181], v[192:193] op_sel:[0,0,1] op_sel_hi:[1,0,0]
	v_mov_b32_e32 v195, v203
	v_pk_fma_f32 v[192:193], v[184:185], v[180:181], v[192:193] op_sel:[0,0,1] op_sel_hi:[1,1,0] neg_lo:[0,0,1] neg_hi:[0,0,1]
	v_pk_fma_f32 v[200:201], v[186:187], v[180:181], v[204:205] op_sel:[0,0,1] op_sel_hi:[1,0,0]
	v_pk_fma_f32 v[202:203], v[186:187], v[180:181], v[204:205] op_sel:[0,0,1] op_sel_hi:[1,1,0] neg_lo:[0,0,1] neg_hi:[0,0,1]
	ds_load_2addr_b64 v[184:187], v0 offset0:35 offset1:36
	s_wait_dscnt 0x2
	v_pk_mul_f32 v[204:205], v[188:189], v[182:183] op_sel:[0,1]
	v_dual_mov_b32 v193, v207 :: v_dual_mov_b32 v203, v201
	v_pk_mul_f32 v[200:201], v[190:191], v[182:183] op_sel:[0,1]
	v_pk_add_f32 v[128:129], v[128:129], v[194:195] neg_lo:[0,1] neg_hi:[0,1]
	s_delay_alu instid0(VALU_DEP_4) | instskip(NEXT) | instid1(VALU_DEP_4)
	v_pk_fma_f32 v[194:195], v[188:189], v[180:181], v[204:205] op_sel:[0,0,1] op_sel_hi:[1,0,0]
	v_pk_add_f32 v[124:125], v[124:125], v[192:193] neg_lo:[0,1] neg_hi:[0,1]
	v_pk_add_f32 v[126:127], v[126:127], v[202:203] neg_lo:[0,1] neg_hi:[0,1]
	v_pk_fma_f32 v[202:203], v[188:189], v[180:181], v[204:205] op_sel:[0,0,1] op_sel_hi:[1,1,0] neg_lo:[0,0,1] neg_hi:[0,0,1]
	v_pk_fma_f32 v[192:193], v[190:191], v[180:181], v[200:201] op_sel:[0,0,1] op_sel_hi:[1,0,0]
	s_wait_dscnt 0x1
	v_dual_mov_b32 v203, v195 :: v_dual_mul_f32 v192, v197, v180
	v_pk_fma_f32 v[194:195], v[190:191], v[180:181], v[200:201] op_sel:[0,0,1] op_sel_hi:[1,1,0] neg_lo:[0,0,1] neg_hi:[0,0,1]
	ds_load_2addr_b64 v[188:191], v0 offset0:37 offset1:38
	v_mul_f32_e32 v200, v197, v183
	v_mov_b32_e32 v195, v193
	v_pk_add_f32 v[122:123], v[122:123], v[202:203] neg_lo:[0,1] neg_hi:[0,1]
	v_pk_fma_f32 v[192:193], v[196:197], v[58:59], v[192:193] op_sel:[1,0,0] op_sel_hi:[0,1,0]
	v_pk_mul_f32 v[202:203], v[198:199], v[182:183] op_sel:[0,1]
	v_pk_fma_f32 v[196:197], v[196:197], v[58:59], v[200:201] op_sel_hi:[1,1,0] neg_lo:[0,0,1] neg_hi:[0,0,1]
	s_wait_dscnt 0x1
	v_pk_mul_f32 v[200:201], v[184:185], v[182:183] op_sel:[0,1]
	v_pk_mul_f32 v[206:207], v[186:187], v[182:183] op_sel:[0,1]
	v_mov_b32_e32 v197, v193
	v_pk_add_f32 v[148:149], v[148:149], v[194:195] neg_lo:[0,1] neg_hi:[0,1]
	v_pk_fma_f32 v[204:205], v[198:199], v[180:181], v[202:203] op_sel:[0,0,1] op_sel_hi:[1,0,0]
	v_pk_fma_f32 v[198:199], v[198:199], v[180:181], v[202:203] op_sel:[0,0,1] op_sel_hi:[1,1,0] neg_lo:[0,0,1] neg_hi:[0,0,1]
	v_pk_fma_f32 v[202:203], v[184:185], v[180:181], v[200:201] op_sel:[0,0,1] op_sel_hi:[1,0,0]
	ds_load_2addr_b64 v[192:195], v0 offset0:39 offset1:40
	v_pk_fma_f32 v[184:185], v[184:185], v[180:181], v[200:201] op_sel:[0,0,1] op_sel_hi:[1,1,0] neg_lo:[0,0,1] neg_hi:[0,0,1]
	ds_load_b64 v[200:201], v0 offset:328
	v_mov_b32_e32 v199, v205
	v_pk_fma_f32 v[204:205], v[186:187], v[180:181], v[206:207] op_sel:[0,0,1] op_sel_hi:[1,0,0]
	v_mov_b32_e32 v185, v203
	v_pk_fma_f32 v[186:187], v[186:187], v[180:181], v[206:207] op_sel:[0,0,1] op_sel_hi:[1,1,0] neg_lo:[0,0,1] neg_hi:[0,0,1]
	s_wait_dscnt 0x2
	v_pk_mul_f32 v[202:203], v[188:189], v[182:183] op_sel:[0,1]
	v_pk_add_f32 v[144:145], v[144:145], v[196:197] neg_lo:[0,1] neg_hi:[0,1]
	v_mov_b32_e32 v187, v205
	v_pk_add_f32 v[142:143], v[142:143], v[184:185] neg_lo:[0,1] neg_hi:[0,1]
	v_mul_f32_e32 v196, v191, v183
	v_pk_fma_f32 v[184:185], v[188:189], v[180:181], v[202:203] op_sel:[0,0,1] op_sel_hi:[1,0,0]
	v_mul_f32_e32 v184, v191, v180
	v_pk_add_f32 v[164:165], v[164:165], v[186:187] neg_lo:[0,1] neg_hi:[0,1]
	v_dual_mov_b32 v186, v191 :: v_dual_mov_b32 v187, v190
	v_pk_fma_f32 v[188:189], v[188:189], v[180:181], v[202:203] op_sel:[0,0,1] op_sel_hi:[1,1,0] neg_lo:[0,0,1] neg_hi:[0,0,1]
	v_pk_add_f32 v[146:147], v[146:147], v[198:199] neg_lo:[0,1] neg_hi:[0,1]
	v_mov_b32_e32 v189, v185
	s_wait_dscnt 0x1
	v_pk_mul_f32 v[198:199], v[192:193], v[182:183] op_sel:[0,1]
	v_pk_fma_f32 v[184:185], v[186:187], v[58:59], v[184:185] op_sel_hi:[1,1,0]
	v_pk_mul_f32 v[186:187], v[194:195], v[182:183] op_sel:[0,1]
	s_wait_dscnt 0x0
	v_pk_mul_f32 v[182:183], v[200:201], v[182:183] op_sel:[0,1]
	v_pk_fma_f32 v[190:191], v[190:191], v[58:59], v[196:197] op_sel_hi:[1,1,0] neg_lo:[0,0,1] neg_hi:[0,0,1]
	v_pk_fma_f32 v[196:197], v[192:193], v[180:181], v[198:199] op_sel:[0,0,1] op_sel_hi:[1,0,0]
	v_mov_b32_e32 v191, v185
	v_pk_fma_f32 v[184:185], v[194:195], v[180:181], v[186:187] op_sel:[0,0,1] op_sel_hi:[1,0,0]
	v_pk_fma_f32 v[192:193], v[192:193], v[180:181], v[198:199] op_sel:[0,0,1] op_sel_hi:[1,1,0] neg_lo:[0,0,1] neg_hi:[0,0,1]
	v_pk_fma_f32 v[198:199], v[200:201], v[180:181], v[182:183] op_sel:[0,0,1] op_sel_hi:[1,0,0]
	v_pk_fma_f32 v[186:187], v[194:195], v[180:181], v[186:187] op_sel:[0,0,1] op_sel_hi:[1,1,0] neg_lo:[0,0,1] neg_hi:[0,0,1]
	v_pk_fma_f32 v[180:181], v[200:201], v[180:181], v[182:183] op_sel:[0,0,1] op_sel_hi:[1,1,0] neg_lo:[0,0,1] neg_hi:[0,0,1]
	v_dual_mov_b32 v193, v197 :: v_dual_mov_b32 v187, v185
	s_delay_alu instid0(VALU_DEP_4) | instskip(SKIP_2) | instid1(VALU_DEP_4)
	v_mov_b32_e32 v181, v199
	v_pk_add_f32 v[160:161], v[160:161], v[188:189] neg_lo:[0,1] neg_hi:[0,1]
	v_pk_add_f32 v[162:163], v[162:163], v[190:191] neg_lo:[0,1] neg_hi:[0,1]
	;; [unrolled: 1-line block ×5, first 2 shown]
.LBB83_46:
	s_or_b32 exec_lo, exec_lo, s1
	s_delay_alu instid0(SALU_CYCLE_1)
	s_mov_b32 s2, exec_lo
	s_wait_dscnt 0x0
	s_barrier_signal -1
	s_barrier_wait -1
	v_cmpx_eq_u32_e32 5, v254
	s_cbranch_execz .LBB83_53
; %bb.47:
	v_dual_mov_b32 v180, v56 :: v_dual_mov_b32 v181, v57
	v_dual_mov_b32 v182, v54 :: v_dual_mov_b32 v183, v55
	;; [unrolled: 1-line block ×10, first 2 shown]
	ds_store_b64 v255, v[30:31]
	v_dual_mov_b32 v200, v120 :: v_dual_mov_b32 v201, v121
	v_dual_mov_b32 v202, v118 :: v_dual_mov_b32 v203, v119
	ds_store_2addr_b64 v0, v[180:181], v[182:183] offset0:6 offset1:7
	ds_store_2addr_b64 v0, v[184:185], v[186:187] offset0:8 offset1:9
	;; [unrolled: 1-line block ×6, first 2 shown]
	v_dual_mov_b32 v180, v90 :: v_dual_mov_b32 v181, v91
	v_dual_mov_b32 v182, v116 :: v_dual_mov_b32 v183, v117
	;; [unrolled: 1-line block ×12, first 2 shown]
	ds_store_2addr_b64 v0, v[180:181], v[182:183] offset0:18 offset1:19
	ds_store_2addr_b64 v0, v[184:185], v[186:187] offset0:20 offset1:21
	ds_store_2addr_b64 v0, v[188:189], v[190:191] offset0:22 offset1:23
	ds_store_2addr_b64 v0, v[192:193], v[194:195] offset0:24 offset1:25
	ds_store_2addr_b64 v0, v[196:197], v[198:199] offset0:26 offset1:27
	ds_store_2addr_b64 v0, v[200:201], v[202:203] offset0:28 offset1:29
	v_dual_mov_b32 v180, v126 :: v_dual_mov_b32 v181, v127
	v_dual_mov_b32 v182, v122 :: v_dual_mov_b32 v183, v123
	;; [unrolled: 1-line block ×11, first 2 shown]
	ds_store_2addr_b64 v0, v[180:181], v[182:183] offset0:30 offset1:31
	ds_store_2addr_b64 v0, v[184:185], v[186:187] offset0:32 offset1:33
	;; [unrolled: 1-line block ×6, first 2 shown]
	ds_load_b64 v[180:181], v255
	s_wait_dscnt 0x0
	v_cmp_neq_f32_e32 vcc_lo, 0, v180
	v_cmp_neq_f32_e64 s1, 0, v181
	s_or_b32 s1, vcc_lo, s1
	s_delay_alu instid0(SALU_CYCLE_1)
	s_and_b32 exec_lo, exec_lo, s1
	s_cbranch_execz .LBB83_53
; %bb.48:
	v_cmp_ngt_f32_e64 s1, |v180|, |v181|
                                        ; implicit-def: $vgpr182_vgpr183
	s_and_saveexec_b32 s4, s1
	s_delay_alu instid0(SALU_CYCLE_1)
	s_xor_b32 s1, exec_lo, s4
	s_cbranch_execz .LBB83_50
; %bb.49:
	v_div_scale_f32 v1, null, v181, v181, v180
	v_div_scale_f32 v6, vcc_lo, v180, v181, v180
	s_delay_alu instid0(VALU_DEP_2) | instskip(SKIP_1) | instid1(TRANS32_DEP_1)
	v_rcp_f32_e32 v4, v1
	v_nop
	v_fma_f32 v5, -v1, v4, 1.0
	s_delay_alu instid0(VALU_DEP_1) | instskip(NEXT) | instid1(VALU_DEP_1)
	v_fmac_f32_e32 v4, v5, v4
	v_mul_f32_e32 v5, v6, v4
	s_delay_alu instid0(VALU_DEP_1) | instskip(NEXT) | instid1(VALU_DEP_1)
	v_fma_f32 v7, -v1, v5, v6
	v_fmac_f32_e32 v5, v7, v4
	s_delay_alu instid0(VALU_DEP_1) | instskip(NEXT) | instid1(VALU_DEP_1)
	v_fma_f32 v1, -v1, v5, v6
	v_div_fmas_f32 v1, v1, v4, v5
	s_delay_alu instid0(VALU_DEP_1) | instskip(NEXT) | instid1(VALU_DEP_1)
	v_div_fixup_f32 v1, v1, v181, v180
	v_fmac_f32_e32 v181, v180, v1
	s_delay_alu instid0(VALU_DEP_1) | instskip(SKIP_1) | instid1(VALU_DEP_2)
	v_div_scale_f32 v4, null, v181, v181, 1.0
	v_div_scale_f32 v7, vcc_lo, 1.0, v181, 1.0
	v_rcp_f32_e32 v5, v4
	v_nop
	s_delay_alu instid0(TRANS32_DEP_1) | instskip(NEXT) | instid1(VALU_DEP_1)
	v_fma_f32 v6, -v4, v5, 1.0
	v_fmac_f32_e32 v5, v6, v5
	s_delay_alu instid0(VALU_DEP_1) | instskip(NEXT) | instid1(VALU_DEP_1)
	v_mul_f32_e32 v6, v7, v5
	v_fma_f32 v8, -v4, v6, v7
	s_delay_alu instid0(VALU_DEP_1) | instskip(NEXT) | instid1(VALU_DEP_1)
	v_fmac_f32_e32 v6, v8, v5
	v_fma_f32 v4, -v4, v6, v7
	s_delay_alu instid0(VALU_DEP_1) | instskip(NEXT) | instid1(VALU_DEP_1)
	v_div_fmas_f32 v4, v4, v5, v6
	v_div_fixup_f32 v4, v4, v181, 1.0
                                        ; implicit-def: $vgpr180_vgpr181
	s_delay_alu instid0(VALU_DEP_1)
	v_mul_f32_e32 v182, v1, v4
	v_xor_b32_e32 v183, 0x80000000, v4
.LBB83_50:
	s_and_not1_saveexec_b32 s1, s1
	s_cbranch_execz .LBB83_52
; %bb.51:
	v_div_scale_f32 v1, null, v180, v180, v181
	v_div_scale_f32 v6, vcc_lo, v181, v180, v181
	s_delay_alu instid0(VALU_DEP_2) | instskip(SKIP_1) | instid1(TRANS32_DEP_1)
	v_rcp_f32_e32 v4, v1
	v_nop
	v_fma_f32 v5, -v1, v4, 1.0
	s_delay_alu instid0(VALU_DEP_1) | instskip(NEXT) | instid1(VALU_DEP_1)
	v_fmac_f32_e32 v4, v5, v4
	v_mul_f32_e32 v5, v6, v4
	s_delay_alu instid0(VALU_DEP_1) | instskip(NEXT) | instid1(VALU_DEP_1)
	v_fma_f32 v7, -v1, v5, v6
	v_fmac_f32_e32 v5, v7, v4
	s_delay_alu instid0(VALU_DEP_1) | instskip(NEXT) | instid1(VALU_DEP_1)
	v_fma_f32 v1, -v1, v5, v6
	v_div_fmas_f32 v1, v1, v4, v5
	s_delay_alu instid0(VALU_DEP_1) | instskip(NEXT) | instid1(VALU_DEP_1)
	v_div_fixup_f32 v1, v1, v180, v181
	v_fmac_f32_e32 v180, v181, v1
	s_delay_alu instid0(VALU_DEP_1) | instskip(NEXT) | instid1(VALU_DEP_1)
	v_div_scale_f32 v4, null, v180, v180, 1.0
	v_rcp_f32_e32 v5, v4
	v_nop
	s_delay_alu instid0(TRANS32_DEP_1) | instskip(NEXT) | instid1(VALU_DEP_1)
	v_fma_f32 v6, -v4, v5, 1.0
	v_fmac_f32_e32 v5, v6, v5
	v_div_scale_f32 v6, vcc_lo, 1.0, v180, 1.0
	s_delay_alu instid0(VALU_DEP_1) | instskip(NEXT) | instid1(VALU_DEP_1)
	v_mul_f32_e32 v7, v6, v5
	v_fma_f32 v8, -v4, v7, v6
	s_delay_alu instid0(VALU_DEP_1) | instskip(NEXT) | instid1(VALU_DEP_1)
	v_fmac_f32_e32 v7, v8, v5
	v_fma_f32 v4, -v4, v7, v6
	s_delay_alu instid0(VALU_DEP_1) | instskip(NEXT) | instid1(VALU_DEP_1)
	v_div_fmas_f32 v4, v4, v5, v7
	v_div_fixup_f32 v182, v4, v180, 1.0
	s_delay_alu instid0(VALU_DEP_1)
	v_mul_f32_e64 v183, v1, -v182
.LBB83_52:
	s_or_b32 exec_lo, exec_lo, s1
	ds_store_b64 v255, v[182:183]
.LBB83_53:
	s_or_b32 exec_lo, exec_lo, s2
	s_wait_dscnt 0x0
	s_barrier_signal -1
	s_barrier_wait -1
	ds_load_b64 v[180:181], v255
	s_mov_b32 s1, exec_lo
	v_cmpx_lt_u32_e32 5, v254
	s_cbranch_execz .LBB83_55
; %bb.54:
	ds_load_2addr_b64 v[186:189], v0 offset0:6 offset1:7
	ds_load_2addr_b64 v[190:193], v0 offset0:8 offset1:9
	;; [unrolled: 1-line block ×3, first 2 shown]
	s_wait_dscnt 0x3
	v_pk_mul_f32 v[184:185], v[180:181], v[30:31] op_sel:[1,1] op_sel_hi:[0,1]
	ds_load_2addr_b64 v[198:201], v0 offset0:12 offset1:13
	ds_load_2addr_b64 v[202:205], v0 offset0:14 offset1:15
	v_pk_fma_f32 v[182:183], v[180:181], v[30:31], v[184:185] op_sel_hi:[1,0,1] neg_lo:[0,0,1] neg_hi:[0,0,1]
	v_pk_fma_f32 v[184:185], v[180:181], v[30:31], v[184:185] op_sel_hi:[1,0,1]
	s_delay_alu instid0(VALU_DEP_1) | instskip(SKIP_1) | instid1(VALU_DEP_2)
	v_dual_mov_b32 v30, v182 :: v_dual_mov_b32 v31, v185
	s_wait_dscnt 0x4
	v_pk_mul_f32 v[206:207], v[186:187], v[184:185] op_sel:[0,1]
	v_pk_mul_f32 v[208:209], v[188:189], v[184:185] op_sel:[0,1]
	s_wait_dscnt 0x3
	v_pk_mul_f32 v[210:211], v[190:191], v[184:185] op_sel:[0,1]
	v_dual_mov_b32 v212, v193 :: v_dual_mov_b32 v213, v192
	v_dual_mul_f32 v214, v193, v185 :: v_dual_mul_f32 v216, v193, v182
	s_wait_dscnt 0x2
	v_pk_mul_f32 v[218:219], v[194:195], v[184:185] op_sel:[0,1]
	v_pk_mul_f32 v[220:221], v[196:197], v[184:185] op_sel:[0,1]
	v_pk_fma_f32 v[224:225], v[186:187], v[182:183], v[206:207] op_sel:[0,0,1] op_sel_hi:[1,1,0] neg_lo:[0,0,1] neg_hi:[0,0,1]
	v_pk_fma_f32 v[186:187], v[186:187], v[182:183], v[206:207] op_sel:[0,0,1] op_sel_hi:[1,0,0]
	v_pk_fma_f32 v[206:207], v[188:189], v[182:183], v[208:209] op_sel:[0,0,1] op_sel_hi:[1,1,0] neg_lo:[0,0,1] neg_hi:[0,0,1]
	v_pk_fma_f32 v[188:189], v[188:189], v[182:183], v[208:209] op_sel:[0,0,1] op_sel_hi:[1,0,0]
	v_pk_fma_f32 v[208:209], v[190:191], v[182:183], v[210:211] op_sel:[0,0,1] op_sel_hi:[1,1,0] neg_lo:[0,0,1] neg_hi:[0,0,1]
	v_pk_fma_f32 v[190:191], v[190:191], v[182:183], v[210:211] op_sel:[0,0,1] op_sel_hi:[1,0,0]
	s_wait_dscnt 0x1
	v_pk_mul_f32 v[222:223], v[198:199], v[184:185] op_sel:[0,1]
	v_pk_fma_f32 v[210:211], v[212:213], v[30:31], v[216:217] op_sel_hi:[1,1,0]
	v_dual_mov_b32 v225, v187 :: v_dual_mov_b32 v207, v189
	v_mov_b32_e32 v209, v191
	v_pk_fma_f32 v[186:187], v[194:195], v[182:183], v[218:219] op_sel:[0,0,1] op_sel_hi:[1,0,0]
	v_pk_fma_f32 v[190:191], v[194:195], v[182:183], v[218:219] op_sel:[0,0,1] op_sel_hi:[1,1,0] neg_lo:[0,0,1] neg_hi:[0,0,1]
	v_pk_fma_f32 v[194:195], v[196:197], v[182:183], v[220:221] op_sel:[0,0,1] op_sel_hi:[1,0,0]
	v_pk_fma_f32 v[196:197], v[196:197], v[182:183], v[220:221] op_sel:[0,0,1] op_sel_hi:[1,1,0] neg_lo:[0,0,1] neg_hi:[0,0,1]
	v_pk_add_f32 v[54:55], v[54:55], v[206:207] neg_lo:[0,1] neg_hi:[0,1]
	v_mov_b32_e32 v191, v187
	v_pk_fma_f32 v[206:207], v[198:199], v[182:183], v[222:223] op_sel:[0,0,1] op_sel_hi:[1,0,0]
	v_mov_b32_e32 v197, v195
	v_pk_fma_f32 v[194:195], v[198:199], v[182:183], v[222:223] op_sel:[0,0,1] op_sel_hi:[1,1,0] neg_lo:[0,0,1] neg_hi:[0,0,1]
	v_pk_mul_f32 v[198:199], v[200:201], v[184:185] op_sel:[0,1]
	ds_load_2addr_b64 v[186:189], v0 offset0:16 offset1:17
	v_pk_fma_f32 v[192:193], v[192:193], v[30:31], v[214:215] op_sel_hi:[1,1,0] neg_lo:[0,0,1] neg_hi:[0,0,1]
	v_pk_add_f32 v[52:53], v[52:53], v[196:197] neg_lo:[0,1] neg_hi:[0,1]
	v_mov_b32_e32 v193, v211
	v_pk_fma_f32 v[196:197], v[200:201], v[182:183], v[198:199] op_sel:[0,0,1] op_sel_hi:[1,0,0]
	v_mov_b32_e32 v195, v207
	v_pk_fma_f32 v[198:199], v[200:201], v[182:183], v[198:199] op_sel:[0,0,1] op_sel_hi:[1,1,0] neg_lo:[0,0,1] neg_hi:[0,0,1]
	s_wait_dscnt 0x1
	v_pk_mul_f32 v[206:207], v[204:205], v[184:185] op_sel:[0,1]
	v_pk_add_f32 v[68:69], v[68:69], v[192:193] neg_lo:[0,1] neg_hi:[0,1]
	v_mov_b32_e32 v199, v197
	v_pk_add_f32 v[98:99], v[98:99], v[194:195] neg_lo:[0,1] neg_hi:[0,1]
	v_dual_mul_f32 v194, v203, v182 :: v_dual_mul_f32 v196, v203, v185
	v_pk_add_f32 v[70:71], v[70:71], v[190:191] neg_lo:[0,1] neg_hi:[0,1]
	ds_load_2addr_b64 v[190:193], v0 offset0:18 offset1:19
	v_pk_fma_f32 v[200:201], v[204:205], v[182:183], v[206:207] op_sel:[0,0,1] op_sel_hi:[1,0,0]
	v_pk_fma_f32 v[194:195], v[202:203], v[30:31], v[194:195] op_sel:[1,0,0] op_sel_hi:[0,1,0]
	v_pk_fma_f32 v[196:197], v[202:203], v[30:31], v[196:197] op_sel_hi:[1,1,0] neg_lo:[0,0,1] neg_hi:[0,0,1]
	v_pk_add_f32 v[94:95], v[94:95], v[198:199] neg_lo:[0,1] neg_hi:[0,1]
	v_pk_add_f32 v[72:73], v[72:73], v[208:209] neg_lo:[0,1] neg_hi:[0,1]
	s_wait_dscnt 0x1
	v_pk_mul_f32 v[202:203], v[186:187], v[184:185] op_sel:[0,1]
	v_mov_b32_e32 v197, v195
	v_pk_fma_f32 v[194:195], v[204:205], v[182:183], v[206:207] op_sel:[0,0,1] op_sel_hi:[1,1,0] neg_lo:[0,0,1] neg_hi:[0,0,1]
	v_mov_b32_e32 v195, v201
	v_pk_mul_f32 v[200:201], v[188:189], v[184:185] op_sel:[0,1]
	v_pk_fma_f32 v[198:199], v[186:187], v[182:183], v[202:203] op_sel:[0,0,1] op_sel_hi:[1,0,0]
	v_pk_add_f32 v[96:97], v[96:97], v[196:197] neg_lo:[0,1] neg_hi:[0,1]
	v_pk_fma_f32 v[202:203], v[186:187], v[182:183], v[202:203] op_sel:[0,0,1] op_sel_hi:[1,1,0] neg_lo:[0,0,1] neg_hi:[0,0,1]
	v_pk_add_f32 v[92:93], v[92:93], v[194:195] neg_lo:[0,1] neg_hi:[0,1]
	ds_load_2addr_b64 v[194:197], v0 offset0:20 offset1:21
	v_mov_b32_e32 v203, v199
	v_pk_fma_f32 v[198:199], v[188:189], v[182:183], v[200:201] op_sel:[0,0,1] op_sel_hi:[1,1,0] neg_lo:[0,0,1] neg_hi:[0,0,1]
	v_pk_fma_f32 v[200:201], v[188:189], v[182:183], v[200:201] op_sel:[0,0,1] op_sel_hi:[1,0,0]
	ds_load_2addr_b64 v[186:189], v0 offset0:22 offset1:23
	s_wait_dscnt 0x2
	v_pk_mul_f32 v[204:205], v[190:191], v[184:185] op_sel:[0,1]
	v_dual_mov_b32 v206, v193 :: v_dual_mov_b32 v207, v192
	v_mul_f32_e32 v200, v193, v182
	v_mov_b32_e32 v199, v201
	v_pk_add_f32 v[120:121], v[120:121], v[202:203] neg_lo:[0,1] neg_hi:[0,1]
	v_pk_fma_f32 v[202:203], v[190:191], v[182:183], v[204:205] op_sel:[0,0,1] op_sel_hi:[1,0,0]
	v_mul_f32_e32 v202, v193, v185
	v_pk_fma_f32 v[200:201], v[206:207], v[30:31], v[200:201] op_sel_hi:[1,1,0]
	v_pk_add_f32 v[118:119], v[118:119], v[198:199] neg_lo:[0,1] neg_hi:[0,1]
	v_pk_fma_f32 v[198:199], v[190:191], v[182:183], v[204:205] op_sel:[0,0,1] op_sel_hi:[1,1,0] neg_lo:[0,0,1] neg_hi:[0,0,1]
	v_mov_b32_e32 v199, v203
	v_pk_fma_f32 v[202:203], v[192:193], v[30:31], v[202:203] op_sel_hi:[1,1,0] neg_lo:[0,0,1] neg_hi:[0,0,1]
	v_mov_b32_e32 v203, v201
	ds_load_2addr_b64 v[190:193], v0 offset0:24 offset1:25
	s_wait_dscnt 0x2
	v_pk_mul_f32 v[204:205], v[194:195], v[184:185] op_sel:[0,1]
	v_pk_mul_f32 v[206:207], v[196:197], v[184:185] op_sel:[0,1]
	v_pk_add_f32 v[90:91], v[90:91], v[198:199] neg_lo:[0,1] neg_hi:[0,1]
	v_pk_add_f32 v[116:117], v[116:117], v[202:203] neg_lo:[0,1] neg_hi:[0,1]
	s_wait_dscnt 0x1
	v_pk_mul_f32 v[208:209], v[186:187], v[184:185] op_sel:[0,1]
	v_pk_fma_f32 v[202:203], v[194:195], v[182:183], v[204:205] op_sel:[0,0,1] op_sel_hi:[1,0,0]
	v_pk_fma_f32 v[210:211], v[196:197], v[182:183], v[206:207] op_sel:[0,0,1] op_sel_hi:[1,0,0]
	ds_load_2addr_b64 v[198:201], v0 offset0:26 offset1:27
	v_pk_fma_f32 v[194:195], v[194:195], v[182:183], v[204:205] op_sel:[0,0,1] op_sel_hi:[1,1,0] neg_lo:[0,0,1] neg_hi:[0,0,1]
	v_pk_mul_f32 v[204:205], v[188:189], v[184:185] op_sel:[0,1]
	v_mov_b32_e32 v195, v203
	v_pk_fma_f32 v[202:203], v[186:187], v[182:183], v[208:209] op_sel:[0,0,1] op_sel_hi:[1,0,0]
	v_pk_fma_f32 v[196:197], v[196:197], v[182:183], v[206:207] op_sel:[0,0,1] op_sel_hi:[1,1,0] neg_lo:[0,0,1] neg_hi:[0,0,1]
	v_mov_b32_e32 v197, v211
	v_pk_fma_f32 v[186:187], v[186:187], v[182:183], v[208:209] op_sel:[0,0,1] op_sel_hi:[1,1,0] neg_lo:[0,0,1] neg_hi:[0,0,1]
	v_pk_add_f32 v[138:139], v[138:139], v[194:195] neg_lo:[0,1] neg_hi:[0,1]
	v_mov_b32_e32 v187, v203
	v_pk_fma_f32 v[202:203], v[188:189], v[182:183], v[204:205] op_sel:[0,0,1] op_sel_hi:[1,0,0]
	v_pk_add_f32 v[78:79], v[78:79], v[196:197] neg_lo:[0,1] neg_hi:[0,1]
	ds_load_2addr_b64 v[194:197], v0 offset0:28 offset1:29
	v_pk_fma_f32 v[188:189], v[188:189], v[182:183], v[204:205] op_sel:[0,0,1] op_sel_hi:[1,1,0] neg_lo:[0,0,1] neg_hi:[0,0,1]
	s_wait_dscnt 0x2
	v_mul_f32_e32 v202, v191, v185
	v_mov_b32_e32 v189, v203
	v_pk_add_f32 v[80:81], v[80:81], v[186:187] neg_lo:[0,1] neg_hi:[0,1]
	v_mul_f32_e32 v186, v191, v182
	v_pk_mul_f32 v[204:205], v[192:193], v[184:185] op_sel:[0,1]
	v_pk_add_f32 v[56:57], v[56:57], v[224:225] neg_lo:[0,1] neg_hi:[0,1]
	s_wait_dscnt 0x1
	v_pk_mul_f32 v[206:207], v[198:199], v[184:185] op_sel:[0,1]
	v_pk_add_f32 v[76:77], v[76:77], v[188:189] neg_lo:[0,1] neg_hi:[0,1]
	v_pk_fma_f32 v[186:187], v[190:191], v[30:31], v[186:187] op_sel:[1,0,0] op_sel_hi:[0,1,0]
	v_pk_fma_f32 v[190:191], v[190:191], v[30:31], v[202:203] op_sel_hi:[1,1,0] neg_lo:[0,0,1] neg_hi:[0,0,1]
	v_pk_fma_f32 v[202:203], v[192:193], v[182:183], v[204:205] op_sel:[0,0,1] op_sel_hi:[1,0,0]
	v_pk_fma_f32 v[192:193], v[192:193], v[182:183], v[204:205] op_sel:[0,0,1] op_sel_hi:[1,1,0] neg_lo:[0,0,1] neg_hi:[0,0,1]
	v_pk_fma_f32 v[208:209], v[198:199], v[182:183], v[206:207] op_sel:[0,0,1] op_sel_hi:[1,0,0]
	v_mov_b32_e32 v191, v187
	ds_load_2addr_b64 v[186:189], v0 offset0:30 offset1:31
	v_mov_b32_e32 v193, v203
	v_pk_mul_f32 v[202:203], v[200:201], v[184:185] op_sel:[0,1]
	v_pk_fma_f32 v[198:199], v[198:199], v[182:183], v[206:207] op_sel:[0,0,1] op_sel_hi:[1,1,0] neg_lo:[0,0,1] neg_hi:[0,0,1]
	v_pk_add_f32 v[106:107], v[106:107], v[190:191] neg_lo:[0,1] neg_hi:[0,1]
	s_wait_dscnt 0x1
	v_pk_mul_f32 v[204:205], v[194:195], v[184:185] op_sel:[0,1]
	v_pk_add_f32 v[102:103], v[102:103], v[192:193] neg_lo:[0,1] neg_hi:[0,1]
	v_pk_fma_f32 v[190:191], v[200:201], v[182:183], v[202:203] op_sel:[0,0,1] op_sel_hi:[1,0,0]
	v_mov_b32_e32 v199, v209
	v_pk_fma_f32 v[200:201], v[200:201], v[182:183], v[202:203] op_sel:[0,0,1] op_sel_hi:[1,1,0] neg_lo:[0,0,1] neg_hi:[0,0,1]
	s_delay_alu instid0(VALU_DEP_3)
	v_dual_mul_f32 v202, v197, v182 :: v_dual_mov_b32 v201, v191
	ds_load_2addr_b64 v[190:193], v0 offset0:32 offset1:33
	v_pk_add_f32 v[104:105], v[104:105], v[198:199] neg_lo:[0,1] neg_hi:[0,1]
	v_pk_fma_f32 v[198:199], v[194:195], v[182:183], v[204:205] op_sel:[0,0,1] op_sel_hi:[1,0,0]
	v_pk_fma_f32 v[194:195], v[194:195], v[182:183], v[204:205] op_sel:[0,0,1] op_sel_hi:[1,1,0] neg_lo:[0,0,1] neg_hi:[0,0,1]
	v_mov_b32_e32 v198, v197
	v_pk_add_f32 v[100:101], v[100:101], v[200:201] neg_lo:[0,1] neg_hi:[0,1]
	s_delay_alu instid0(VALU_DEP_4) | instskip(SKIP_3) | instid1(VALU_DEP_3)
	v_dual_mov_b32 v195, v199 :: v_dual_mov_b32 v199, v196
	s_wait_dscnt 0x1
	v_pk_mul_f32 v[204:205], v[186:187], v[184:185] op_sel:[0,1]
	v_pk_mul_f32 v[208:209], v[188:189], v[184:185] op_sel:[0,1]
	v_pk_add_f32 v[128:129], v[128:129], v[194:195] neg_lo:[0,1] neg_hi:[0,1]
	v_pk_fma_f32 v[202:203], v[198:199], v[30:31], v[202:203] op_sel_hi:[1,1,0]
	v_mul_f32_e32 v194, v197, v185
	v_pk_fma_f32 v[206:207], v[186:187], v[182:183], v[204:205] op_sel:[0,0,1] op_sel_hi:[1,0,0]
	ds_load_2addr_b64 v[198:201], v0 offset0:34 offset1:35
	v_pk_fma_f32 v[194:195], v[196:197], v[30:31], v[194:195] op_sel_hi:[1,1,0] neg_lo:[0,0,1] neg_hi:[0,0,1]
	v_pk_fma_f32 v[196:197], v[186:187], v[182:183], v[204:205] op_sel:[0,0,1] op_sel_hi:[1,1,0] neg_lo:[0,0,1] neg_hi:[0,0,1]
	v_mov_b32_e32 v195, v203
	v_pk_fma_f32 v[202:203], v[188:189], v[182:183], v[208:209] op_sel:[0,0,1] op_sel_hi:[1,0,0]
	v_mov_b32_e32 v197, v207
	s_wait_dscnt 0x1
	v_pk_mul_f32 v[206:207], v[190:191], v[184:185] op_sel:[0,1]
	v_pk_fma_f32 v[204:205], v[188:189], v[182:183], v[208:209] op_sel:[0,0,1] op_sel_hi:[1,1,0] neg_lo:[0,0,1] neg_hi:[0,0,1]
	ds_load_2addr_b64 v[186:189], v0 offset0:36 offset1:37
	v_mov_b32_e32 v205, v203
	v_pk_mul_f32 v[202:203], v[192:193], v[184:185] op_sel:[0,1]
	v_pk_fma_f32 v[208:209], v[190:191], v[182:183], v[206:207] op_sel:[0,0,1] op_sel_hi:[1,0,0]
	v_pk_add_f32 v[124:125], v[124:125], v[194:195] neg_lo:[0,1] neg_hi:[0,1]
	v_pk_add_f32 v[126:127], v[126:127], v[196:197] neg_lo:[0,1] neg_hi:[0,1]
	ds_load_2addr_b64 v[194:197], v0 offset0:38 offset1:39
	v_pk_fma_f32 v[190:191], v[190:191], v[182:183], v[206:207] op_sel:[0,0,1] op_sel_hi:[1,1,0] neg_lo:[0,0,1] neg_hi:[0,0,1]
	v_pk_add_f32 v[122:123], v[122:123], v[204:205] neg_lo:[0,1] neg_hi:[0,1]
	v_pk_fma_f32 v[204:205], v[192:193], v[182:183], v[202:203] op_sel:[0,0,1] op_sel_hi:[1,0,0]
	v_mov_b32_e32 v191, v209
	v_pk_fma_f32 v[192:193], v[192:193], v[182:183], v[202:203] op_sel:[0,0,1] op_sel_hi:[1,1,0] neg_lo:[0,0,1] neg_hi:[0,0,1]
	s_wait_dscnt 0x2
	v_dual_mul_f32 v202, v199, v182 :: v_dual_mul_f32 v204, v199, v185
	v_mov_b32_e32 v193, v205
	v_pk_add_f32 v[148:149], v[148:149], v[190:191] neg_lo:[0,1] neg_hi:[0,1]
	v_pk_mul_f32 v[190:191], v[200:201], v[184:185] op_sel:[0,1]
	s_delay_alu instid0(VALU_DEP_4)
	v_pk_fma_f32 v[202:203], v[198:199], v[30:31], v[202:203] op_sel:[1,0,0] op_sel_hi:[0,1,0]
	v_pk_fma_f32 v[198:199], v[198:199], v[30:31], v[204:205] op_sel_hi:[1,1,0] neg_lo:[0,0,1] neg_hi:[0,0,1]
	v_pk_add_f32 v[144:145], v[144:145], v[192:193] neg_lo:[0,1] neg_hi:[0,1]
	s_wait_dscnt 0x1
	v_pk_mul_f32 v[204:205], v[186:187], v[184:185] op_sel:[0,1]
	v_pk_fma_f32 v[206:207], v[200:201], v[182:183], v[190:191] op_sel:[0,0,1] op_sel_hi:[1,0,0]
	v_pk_fma_f32 v[200:201], v[200:201], v[182:183], v[190:191] op_sel:[0,0,1] op_sel_hi:[1,1,0] neg_lo:[0,0,1] neg_hi:[0,0,1]
	ds_load_2addr_b64 v[190:193], v0 offset0:40 offset1:41
	v_mov_b32_e32 v199, v203
	v_pk_fma_f32 v[202:203], v[186:187], v[182:183], v[204:205] op_sel:[0,0,1] op_sel_hi:[1,0,0]
	v_mov_b32_e32 v201, v207
	v_pk_fma_f32 v[186:187], v[186:187], v[182:183], v[204:205] op_sel:[0,0,1] op_sel_hi:[1,1,0] neg_lo:[0,0,1] neg_hi:[0,0,1]
	s_wait_dscnt 0x1
	v_pk_mul_f32 v[204:205], v[194:195], v[184:185] op_sel:[0,1]
	v_pk_mul_f32 v[206:207], v[188:189], v[184:185] op_sel:[0,1]
	v_pk_add_f32 v[146:147], v[146:147], v[198:199] neg_lo:[0,1] neg_hi:[0,1]
	v_pk_add_f32 v[142:143], v[142:143], v[200:201] neg_lo:[0,1] neg_hi:[0,1]
	s_delay_alu instid0(VALU_DEP_4) | instskip(SKIP_3) | instid1(VALU_DEP_3)
	v_pk_fma_f32 v[200:201], v[194:195], v[182:183], v[204:205] op_sel:[0,0,1] op_sel_hi:[1,0,0]
	v_mov_b32_e32 v187, v203
	v_pk_fma_f32 v[198:199], v[188:189], v[182:183], v[206:207] op_sel:[0,0,1] op_sel_hi:[1,0,0]
	v_dual_mul_f32 v200, v197, v182 :: v_dual_mul_f32 v198, v197, v185
	v_pk_add_f32 v[164:165], v[164:165], v[186:187] neg_lo:[0,1] neg_hi:[0,1]
	v_pk_fma_f32 v[186:187], v[188:189], v[182:183], v[206:207] op_sel:[0,0,1] op_sel_hi:[1,1,0] neg_lo:[0,0,1] neg_hi:[0,0,1]
	s_delay_alu instid0(VALU_DEP_4)
	v_mov_b32_e32 v187, v199
	v_pk_fma_f32 v[188:189], v[194:195], v[182:183], v[204:205] op_sel:[0,0,1] op_sel_hi:[1,1,0] neg_lo:[0,0,1] neg_hi:[0,0,1]
	v_dual_mov_b32 v194, v197 :: v_dual_mov_b32 v195, v196
	s_wait_dscnt 0x0
	v_pk_mul_f32 v[202:203], v[190:191], v[184:185] op_sel:[0,1]
	v_dual_mov_b32 v204, v193 :: v_dual_mul_f32 v184, v193, v182
	v_mov_b32_e32 v205, v192
	v_pk_fma_f32 v[194:195], v[194:195], v[30:31], v[200:201] op_sel_hi:[1,1,0]
	v_mul_f32_e32 v194, v193, v185
	v_pk_fma_f32 v[196:197], v[196:197], v[30:31], v[198:199] op_sel_hi:[1,1,0] neg_lo:[0,0,1] neg_hi:[0,0,1]
	v_pk_fma_f32 v[198:199], v[190:191], v[182:183], v[202:203] op_sel:[0,0,1] op_sel_hi:[1,0,0]
	v_pk_fma_f32 v[184:185], v[204:205], v[30:31], v[184:185] op_sel_hi:[1,1,0]
	v_mov_b32_e32 v197, v195
	v_pk_fma_f32 v[182:183], v[190:191], v[182:183], v[202:203] op_sel:[0,0,1] op_sel_hi:[1,1,0] neg_lo:[0,0,1] neg_hi:[0,0,1]
	v_pk_fma_f32 v[190:191], v[192:193], v[30:31], v[194:195] op_sel_hi:[1,1,0] neg_lo:[0,0,1] neg_hi:[0,0,1]
	v_dual_mov_b32 v189, v201 :: v_dual_mov_b32 v183, v199
	v_mov_b32_e32 v191, v185
	v_pk_add_f32 v[160:161], v[160:161], v[186:187] neg_lo:[0,1] neg_hi:[0,1]
	v_pk_add_f32 v[158:159], v[158:159], v[196:197] neg_lo:[0,1] neg_hi:[0,1]
	s_delay_alu instid0(VALU_DEP_4)
	v_pk_add_f32 v[162:163], v[162:163], v[188:189] neg_lo:[0,1] neg_hi:[0,1]
	v_pk_add_f32 v[166:167], v[166:167], v[182:183] neg_lo:[0,1] neg_hi:[0,1]
	;; [unrolled: 1-line block ×3, first 2 shown]
.LBB83_55:
	s_or_b32 exec_lo, exec_lo, s1
	s_delay_alu instid0(SALU_CYCLE_1)
	s_mov_b32 s2, exec_lo
	s_wait_dscnt 0x0
	s_barrier_signal -1
	s_barrier_wait -1
	v_cmpx_eq_u32_e32 6, v254
	s_cbranch_execz .LBB83_62
; %bb.56:
	ds_store_b64 v255, v[56:57]
	ds_store_2addr_b64 v0, v[54:55], v[72:73] offset0:7 offset1:8
	ds_store_2addr_b64 v0, v[68:69], v[70:71] offset0:9 offset1:10
	;; [unrolled: 1-line block ×17, first 2 shown]
	ds_store_b64 v0, v[168:169] offset:328
	ds_load_b64 v[182:183], v255
	s_wait_dscnt 0x0
	v_cmp_neq_f32_e32 vcc_lo, 0, v182
	v_cmp_neq_f32_e64 s1, 0, v183
	s_or_b32 s1, vcc_lo, s1
	s_delay_alu instid0(SALU_CYCLE_1)
	s_and_b32 exec_lo, exec_lo, s1
	s_cbranch_execz .LBB83_62
; %bb.57:
	v_cmp_ngt_f32_e64 s1, |v182|, |v183|
                                        ; implicit-def: $vgpr184_vgpr185
	s_and_saveexec_b32 s4, s1
	s_delay_alu instid0(SALU_CYCLE_1)
	s_xor_b32 s1, exec_lo, s4
	s_cbranch_execz .LBB83_59
; %bb.58:
	v_div_scale_f32 v1, null, v183, v183, v182
	v_div_scale_f32 v6, vcc_lo, v182, v183, v182
	s_delay_alu instid0(VALU_DEP_2) | instskip(SKIP_1) | instid1(TRANS32_DEP_1)
	v_rcp_f32_e32 v4, v1
	v_nop
	v_fma_f32 v5, -v1, v4, 1.0
	s_delay_alu instid0(VALU_DEP_1) | instskip(NEXT) | instid1(VALU_DEP_1)
	v_fmac_f32_e32 v4, v5, v4
	v_mul_f32_e32 v5, v6, v4
	s_delay_alu instid0(VALU_DEP_1) | instskip(NEXT) | instid1(VALU_DEP_1)
	v_fma_f32 v7, -v1, v5, v6
	v_fmac_f32_e32 v5, v7, v4
	s_delay_alu instid0(VALU_DEP_1) | instskip(NEXT) | instid1(VALU_DEP_1)
	v_fma_f32 v1, -v1, v5, v6
	v_div_fmas_f32 v1, v1, v4, v5
	s_delay_alu instid0(VALU_DEP_1) | instskip(NEXT) | instid1(VALU_DEP_1)
	v_div_fixup_f32 v1, v1, v183, v182
	v_fmac_f32_e32 v183, v182, v1
	s_delay_alu instid0(VALU_DEP_1) | instskip(SKIP_1) | instid1(VALU_DEP_2)
	v_div_scale_f32 v4, null, v183, v183, 1.0
	v_div_scale_f32 v7, vcc_lo, 1.0, v183, 1.0
	v_rcp_f32_e32 v5, v4
	v_nop
	s_delay_alu instid0(TRANS32_DEP_1) | instskip(NEXT) | instid1(VALU_DEP_1)
	v_fma_f32 v6, -v4, v5, 1.0
	v_fmac_f32_e32 v5, v6, v5
	s_delay_alu instid0(VALU_DEP_1) | instskip(NEXT) | instid1(VALU_DEP_1)
	v_mul_f32_e32 v6, v7, v5
	v_fma_f32 v8, -v4, v6, v7
	s_delay_alu instid0(VALU_DEP_1) | instskip(NEXT) | instid1(VALU_DEP_1)
	v_fmac_f32_e32 v6, v8, v5
	v_fma_f32 v4, -v4, v6, v7
	s_delay_alu instid0(VALU_DEP_1) | instskip(NEXT) | instid1(VALU_DEP_1)
	v_div_fmas_f32 v4, v4, v5, v6
	v_div_fixup_f32 v4, v4, v183, 1.0
                                        ; implicit-def: $vgpr182_vgpr183
	s_delay_alu instid0(VALU_DEP_1)
	v_mul_f32_e32 v184, v1, v4
	v_xor_b32_e32 v185, 0x80000000, v4
.LBB83_59:
	s_and_not1_saveexec_b32 s1, s1
	s_cbranch_execz .LBB83_61
; %bb.60:
	v_div_scale_f32 v1, null, v182, v182, v183
	v_div_scale_f32 v6, vcc_lo, v183, v182, v183
	s_delay_alu instid0(VALU_DEP_2) | instskip(SKIP_1) | instid1(TRANS32_DEP_1)
	v_rcp_f32_e32 v4, v1
	v_nop
	v_fma_f32 v5, -v1, v4, 1.0
	s_delay_alu instid0(VALU_DEP_1) | instskip(NEXT) | instid1(VALU_DEP_1)
	v_fmac_f32_e32 v4, v5, v4
	v_mul_f32_e32 v5, v6, v4
	s_delay_alu instid0(VALU_DEP_1) | instskip(NEXT) | instid1(VALU_DEP_1)
	v_fma_f32 v7, -v1, v5, v6
	v_fmac_f32_e32 v5, v7, v4
	s_delay_alu instid0(VALU_DEP_1) | instskip(NEXT) | instid1(VALU_DEP_1)
	v_fma_f32 v1, -v1, v5, v6
	v_div_fmas_f32 v1, v1, v4, v5
	s_delay_alu instid0(VALU_DEP_1) | instskip(NEXT) | instid1(VALU_DEP_1)
	v_div_fixup_f32 v1, v1, v182, v183
	v_fmac_f32_e32 v182, v183, v1
	s_delay_alu instid0(VALU_DEP_1) | instskip(NEXT) | instid1(VALU_DEP_1)
	v_div_scale_f32 v4, null, v182, v182, 1.0
	v_rcp_f32_e32 v5, v4
	v_nop
	s_delay_alu instid0(TRANS32_DEP_1) | instskip(NEXT) | instid1(VALU_DEP_1)
	v_fma_f32 v6, -v4, v5, 1.0
	v_fmac_f32_e32 v5, v6, v5
	v_div_scale_f32 v6, vcc_lo, 1.0, v182, 1.0
	s_delay_alu instid0(VALU_DEP_1) | instskip(NEXT) | instid1(VALU_DEP_1)
	v_mul_f32_e32 v7, v6, v5
	v_fma_f32 v8, -v4, v7, v6
	s_delay_alu instid0(VALU_DEP_1) | instskip(NEXT) | instid1(VALU_DEP_1)
	v_fmac_f32_e32 v7, v8, v5
	v_fma_f32 v4, -v4, v7, v6
	s_delay_alu instid0(VALU_DEP_1) | instskip(NEXT) | instid1(VALU_DEP_1)
	v_div_fmas_f32 v4, v4, v5, v7
	v_div_fixup_f32 v184, v4, v182, 1.0
	s_delay_alu instid0(VALU_DEP_1)
	v_mul_f32_e64 v185, v1, -v184
.LBB83_61:
	s_or_b32 exec_lo, exec_lo, s1
	ds_store_b64 v255, v[184:185]
.LBB83_62:
	s_or_b32 exec_lo, exec_lo, s2
	s_wait_dscnt 0x0
	s_barrier_signal -1
	s_barrier_wait -1
	ds_load_b64 v[182:183], v255
	s_mov_b32 s1, exec_lo
	v_cmpx_lt_u32_e32 6, v254
	s_cbranch_execz .LBB83_64
; %bb.63:
	ds_load_2addr_b64 v[188:191], v0 offset0:7 offset1:8
	ds_load_2addr_b64 v[192:195], v0 offset0:9 offset1:10
	;; [unrolled: 1-line block ×3, first 2 shown]
	s_wait_dscnt 0x3
	v_pk_mul_f32 v[186:187], v[182:183], v[56:57] op_sel:[1,1] op_sel_hi:[0,1]
	ds_load_2addr_b64 v[200:203], v0 offset0:13 offset1:14
	ds_load_2addr_b64 v[204:207], v0 offset0:15 offset1:16
	v_pk_fma_f32 v[184:185], v[182:183], v[56:57], v[186:187] op_sel_hi:[1,0,1] neg_lo:[0,0,1] neg_hi:[0,0,1]
	v_pk_fma_f32 v[186:187], v[182:183], v[56:57], v[186:187] op_sel_hi:[1,0,1]
	s_delay_alu instid0(VALU_DEP_1) | instskip(SKIP_1) | instid1(VALU_DEP_2)
	v_dual_mov_b32 v56, v184 :: v_dual_mov_b32 v57, v187
	s_wait_dscnt 0x4
	v_pk_mul_f32 v[208:209], v[188:189], v[186:187] op_sel:[0,1]
	v_pk_mul_f32 v[210:211], v[190:191], v[186:187] op_sel:[0,1]
	s_wait_dscnt 0x3
	v_pk_mul_f32 v[212:213], v[192:193], v[186:187] op_sel:[0,1]
	s_wait_dscnt 0x2
	v_pk_mul_f32 v[220:221], v[196:197], v[186:187] op_sel:[0,1]
	v_dual_mov_b32 v214, v195 :: v_dual_mov_b32 v215, v194
	v_pk_fma_f32 v[224:225], v[188:189], v[184:185], v[208:209] op_sel:[0,0,1] op_sel_hi:[1,1,0] neg_lo:[0,0,1] neg_hi:[0,0,1]
	v_pk_fma_f32 v[188:189], v[188:189], v[184:185], v[208:209] op_sel:[0,0,1] op_sel_hi:[1,0,0]
	v_dual_mul_f32 v216, v195, v187 :: v_dual_mul_f32 v218, v195, v184
	v_pk_mul_f32 v[222:223], v[198:199], v[186:187] op_sel:[0,1]
	v_pk_fma_f32 v[208:209], v[190:191], v[184:185], v[210:211] op_sel:[0,0,1] op_sel_hi:[1,1,0] neg_lo:[0,0,1] neg_hi:[0,0,1]
	v_pk_fma_f32 v[190:191], v[190:191], v[184:185], v[210:211] op_sel:[0,0,1] op_sel_hi:[1,0,0]
	v_pk_fma_f32 v[210:211], v[192:193], v[184:185], v[212:213] op_sel:[0,0,1] op_sel_hi:[1,1,0] neg_lo:[0,0,1] neg_hi:[0,0,1]
	v_pk_fma_f32 v[192:193], v[192:193], v[184:185], v[212:213] op_sel:[0,0,1] op_sel_hi:[1,0,0]
	v_mov_b32_e32 v225, v189
	v_pk_fma_f32 v[188:189], v[196:197], v[184:185], v[220:221] op_sel:[0,0,1] op_sel_hi:[1,0,0]
	v_pk_fma_f32 v[212:213], v[214:215], v[56:57], v[218:219] op_sel_hi:[1,1,0]
	v_pk_fma_f32 v[214:215], v[196:197], v[184:185], v[220:221] op_sel:[0,0,1] op_sel_hi:[1,1,0] neg_lo:[0,0,1] neg_hi:[0,0,1]
	v_dual_mov_b32 v209, v191 :: v_dual_mov_b32 v211, v193
	v_pk_fma_f32 v[192:193], v[198:199], v[184:185], v[222:223] op_sel:[0,0,1] op_sel_hi:[1,0,0]
	s_wait_dscnt 0x1
	v_pk_mul_f32 v[196:197], v[200:201], v[186:187] op_sel:[0,1]
	v_pk_fma_f32 v[194:195], v[194:195], v[56:57], v[216:217] op_sel_hi:[1,1,0] neg_lo:[0,0,1] neg_hi:[0,0,1]
	v_mov_b32_e32 v215, v189
	ds_load_2addr_b64 v[188:191], v0 offset0:17 offset1:18
	v_pk_fma_f32 v[198:199], v[198:199], v[184:185], v[222:223] op_sel:[0,0,1] op_sel_hi:[1,1,0] neg_lo:[0,0,1] neg_hi:[0,0,1]
	v_mov_b32_e32 v195, v213
	v_pk_add_f32 v[72:73], v[72:73], v[208:209] neg_lo:[0,1] neg_hi:[0,1]
	v_mov_b32_e32 v199, v193
	v_pk_mul_f32 v[208:209], v[202:203], v[186:187] op_sel:[0,1]
	v_pk_fma_f32 v[192:193], v[200:201], v[184:185], v[196:197] op_sel:[0,0,1] op_sel_hi:[1,0,0]
	v_pk_fma_f32 v[196:197], v[200:201], v[184:185], v[196:197] op_sel:[0,0,1] op_sel_hi:[1,1,0] neg_lo:[0,0,1] neg_hi:[0,0,1]
	v_pk_add_f32 v[70:71], v[70:71], v[194:195] neg_lo:[0,1] neg_hi:[0,1]
	v_pk_add_f32 v[98:99], v[98:99], v[198:199] neg_lo:[0,1] neg_hi:[0,1]
	v_pk_fma_f32 v[198:199], v[202:203], v[184:185], v[208:209] op_sel:[0,0,1] op_sel_hi:[1,0,0]
	v_mov_b32_e32 v197, v193
	ds_load_2addr_b64 v[192:195], v0 offset0:19 offset1:20
	s_wait_dscnt 0x2
	v_mul_f32_e32 v198, v205, v184
	v_pk_fma_f32 v[200:201], v[202:203], v[184:185], v[208:209] op_sel:[0,0,1] op_sel_hi:[1,1,0] neg_lo:[0,0,1] neg_hi:[0,0,1]
	v_mov_b32_e32 v201, v199
	v_pk_add_f32 v[94:95], v[94:95], v[196:197] neg_lo:[0,1] neg_hi:[0,1]
	v_mul_f32_e32 v196, v205, v187
	v_pk_fma_f32 v[198:199], v[204:205], v[56:57], v[198:199] op_sel:[1,0,0] op_sel_hi:[0,1,0]
	v_pk_mul_f32 v[202:203], v[206:207], v[186:187] op_sel:[0,1]
	v_pk_add_f32 v[68:69], v[68:69], v[210:211] neg_lo:[0,1] neg_hi:[0,1]
	v_pk_add_f32 v[96:97], v[96:97], v[200:201] neg_lo:[0,1] neg_hi:[0,1]
	s_wait_dscnt 0x1
	v_pk_mul_f32 v[200:201], v[188:189], v[186:187] op_sel:[0,1]
	v_pk_fma_f32 v[204:205], v[204:205], v[56:57], v[196:197] op_sel_hi:[1,1,0] neg_lo:[0,0,1] neg_hi:[0,0,1]
	v_pk_mul_f32 v[210:211], v[190:191], v[186:187] op_sel:[0,1]
	v_pk_fma_f32 v[208:209], v[206:207], v[184:185], v[202:203] op_sel:[0,0,1] op_sel_hi:[1,0,0]
	v_mov_b32_e32 v205, v199
	ds_load_2addr_b64 v[196:199], v0 offset0:21 offset1:22
	v_pk_fma_f32 v[212:213], v[188:189], v[184:185], v[200:201] op_sel:[0,0,1] op_sel_hi:[1,0,0]
	v_pk_fma_f32 v[202:203], v[206:207], v[184:185], v[202:203] op_sel:[0,0,1] op_sel_hi:[1,1,0] neg_lo:[0,0,1] neg_hi:[0,0,1]
	v_pk_fma_f32 v[206:207], v[190:191], v[184:185], v[210:211] op_sel:[0,0,1] op_sel_hi:[1,0,0]
	v_mov_b32_e32 v203, v209
	v_pk_fma_f32 v[188:189], v[188:189], v[184:185], v[200:201] op_sel:[0,0,1] op_sel_hi:[1,1,0] neg_lo:[0,0,1] neg_hi:[0,0,1]
	s_wait_dscnt 0x1
	v_pk_mul_f32 v[200:201], v[192:193], v[186:187] op_sel:[0,1]
	v_pk_fma_f32 v[190:191], v[190:191], v[184:185], v[210:211] op_sel:[0,0,1] op_sel_hi:[1,1,0] neg_lo:[0,0,1] neg_hi:[0,0,1]
	v_dual_mov_b32 v189, v213 :: v_dual_mov_b32 v191, v207
	v_pk_add_f32 v[120:121], v[120:121], v[202:203] neg_lo:[0,1] neg_hi:[0,1]
	s_delay_alu instid0(VALU_DEP_4) | instskip(SKIP_1) | instid1(VALU_DEP_4)
	v_pk_fma_f32 v[202:203], v[192:193], v[184:185], v[200:201] op_sel:[0,0,1] op_sel_hi:[1,0,0]
	v_pk_fma_f32 v[192:193], v[192:193], v[184:185], v[200:201] op_sel:[0,0,1] op_sel_hi:[1,1,0] neg_lo:[0,0,1] neg_hi:[0,0,1]
	v_pk_add_f32 v[118:119], v[118:119], v[188:189] neg_lo:[0,1] neg_hi:[0,1]
	v_pk_add_f32 v[90:91], v[90:91], v[190:191] neg_lo:[0,1] neg_hi:[0,1]
	ds_load_2addr_b64 v[188:191], v0 offset0:23 offset1:24
	v_pk_add_f32 v[92:93], v[92:93], v[204:205] neg_lo:[0,1] neg_hi:[0,1]
	v_dual_mov_b32 v193, v203 :: v_dual_mov_b32 v204, v195
	v_dual_mov_b32 v205, v194 :: v_dual_mul_f32 v206, v195, v184
	s_wait_dscnt 0x1
	v_pk_mul_f32 v[208:209], v[196:197], v[186:187] op_sel:[0,1]
	ds_load_2addr_b64 v[200:203], v0 offset0:25 offset1:26
	v_pk_mul_f32 v[212:213], v[198:199], v[186:187] op_sel:[0,1]
	v_pk_add_f32 v[116:117], v[116:117], v[192:193] neg_lo:[0,1] neg_hi:[0,1]
	v_pk_fma_f32 v[204:205], v[204:205], v[56:57], v[206:207] op_sel_hi:[1,1,0]
	v_mul_f32_e32 v210, v195, v187
	v_pk_fma_f32 v[192:193], v[196:197], v[184:185], v[208:209] op_sel:[0,0,1] op_sel_hi:[1,0,0]
	v_pk_fma_f32 v[196:197], v[196:197], v[184:185], v[208:209] op_sel:[0,0,1] op_sel_hi:[1,1,0] neg_lo:[0,0,1] neg_hi:[0,0,1]
	v_pk_add_f32 v[54:55], v[54:55], v[224:225] neg_lo:[0,1] neg_hi:[0,1]
	v_pk_add_f32 v[52:53], v[52:53], v[214:215] neg_lo:[0,1] neg_hi:[0,1]
	v_pk_fma_f32 v[206:207], v[194:195], v[56:57], v[210:211] op_sel_hi:[1,1,0] neg_lo:[0,0,1] neg_hi:[0,0,1]
	v_pk_fma_f32 v[194:195], v[198:199], v[184:185], v[212:213] op_sel:[0,0,1] op_sel_hi:[1,0,0]
	v_pk_fma_f32 v[198:199], v[198:199], v[184:185], v[212:213] op_sel:[0,0,1] op_sel_hi:[1,1,0] neg_lo:[0,0,1] neg_hi:[0,0,1]
	v_dual_mov_b32 v197, v193 :: v_dual_mov_b32 v207, v205
	s_wait_dscnt 0x1
	v_pk_mul_f32 v[204:205], v[188:189], v[186:187] op_sel:[0,1]
	v_mov_b32_e32 v199, v195
	ds_load_2addr_b64 v[192:195], v0 offset0:27 offset1:28
	v_pk_add_f32 v[78:79], v[78:79], v[196:197] neg_lo:[0,1] neg_hi:[0,1]
	v_pk_add_f32 v[138:139], v[138:139], v[206:207] neg_lo:[0,1] neg_hi:[0,1]
	v_pk_fma_f32 v[208:209], v[188:189], v[184:185], v[204:205] op_sel:[0,0,1] op_sel_hi:[1,1,0] neg_lo:[0,0,1] neg_hi:[0,0,1]
	v_pk_add_f32 v[80:81], v[80:81], v[198:199] neg_lo:[0,1] neg_hi:[0,1]
	ds_load_2addr_b64 v[196:199], v0 offset0:29 offset1:30
	v_pk_fma_f32 v[188:189], v[188:189], v[184:185], v[204:205] op_sel:[0,0,1] op_sel_hi:[1,0,0]
	v_pk_mul_f32 v[206:207], v[190:191], v[186:187] op_sel:[0,1]
	s_wait_dscnt 0x2
	v_dual_mul_f32 v210, v201, v184 :: v_dual_mul_f32 v188, v201, v187
	s_delay_alu instid0(VALU_DEP_2) | instskip(NEXT) | instid1(VALU_DEP_2)
	v_pk_fma_f32 v[204:205], v[190:191], v[184:185], v[206:207] op_sel:[0,0,1] op_sel_hi:[1,0,0]
	v_pk_fma_f32 v[210:211], v[200:201], v[56:57], v[210:211] op_sel:[1,0,0] op_sel_hi:[0,1,0]
	v_mov_b32_e32 v209, v189
	s_delay_alu instid0(VALU_DEP_4)
	v_pk_fma_f32 v[188:189], v[200:201], v[56:57], v[188:189] op_sel_hi:[1,1,0] neg_lo:[0,0,1] neg_hi:[0,0,1]
	v_pk_mul_f32 v[200:201], v[202:203], v[186:187] op_sel:[0,1]
	v_pk_fma_f32 v[190:191], v[190:191], v[184:185], v[206:207] op_sel:[0,0,1] op_sel_hi:[1,1,0] neg_lo:[0,0,1] neg_hi:[0,0,1]
	v_mov_b32_e32 v191, v205
	v_pk_add_f32 v[76:77], v[76:77], v[208:209] neg_lo:[0,1] neg_hi:[0,1]
	s_wait_dscnt 0x1
	v_pk_mul_f32 v[204:205], v[192:193], v[186:187] op_sel:[0,1]
	v_pk_fma_f32 v[206:207], v[202:203], v[184:185], v[200:201] op_sel:[0,0,1] op_sel_hi:[1,0,0]
	v_mov_b32_e32 v189, v211
	v_pk_fma_f32 v[208:209], v[202:203], v[184:185], v[200:201] op_sel:[0,0,1] op_sel_hi:[1,1,0] neg_lo:[0,0,1] neg_hi:[0,0,1]
	v_pk_add_f32 v[106:107], v[106:107], v[190:191] neg_lo:[0,1] neg_hi:[0,1]
	v_pk_fma_f32 v[200:201], v[192:193], v[184:185], v[204:205] op_sel:[0,0,1] op_sel_hi:[1,0,0]
	v_mov_b32_e32 v209, v207
	v_pk_add_f32 v[102:103], v[102:103], v[188:189] neg_lo:[0,1] neg_hi:[0,1]
	ds_load_2addr_b64 v[188:191], v0 offset0:31 offset1:32
	v_pk_fma_f32 v[192:193], v[192:193], v[184:185], v[204:205] op_sel:[0,0,1] op_sel_hi:[1,1,0] neg_lo:[0,0,1] neg_hi:[0,0,1]
	s_wait_dscnt 0x1
	v_pk_mul_f32 v[204:205], v[196:197], v[186:187] op_sel:[0,1]
	v_pk_add_f32 v[104:105], v[104:105], v[208:209] neg_lo:[0,1] neg_hi:[0,1]
	v_pk_mul_f32 v[210:211], v[194:195], v[186:187] op_sel:[0,1]
	s_delay_alu instid0(VALU_DEP_3)
	v_pk_fma_f32 v[208:209], v[196:197], v[184:185], v[204:205] op_sel:[0,0,1] op_sel_hi:[1,0,0]
	v_mov_b32_e32 v193, v201
	ds_load_2addr_b64 v[200:203], v0 offset0:33 offset1:34
	v_pk_fma_f32 v[206:207], v[194:195], v[184:185], v[210:211] op_sel:[0,0,1] op_sel_hi:[1,0,0]
	v_mul_f32_e32 v206, v199, v184
	v_pk_add_f32 v[100:101], v[100:101], v[192:193] neg_lo:[0,1] neg_hi:[0,1]
	v_pk_fma_f32 v[192:193], v[194:195], v[184:185], v[210:211] op_sel:[0,0,1] op_sel_hi:[1,1,0] neg_lo:[0,0,1] neg_hi:[0,0,1]
	v_pk_fma_f32 v[194:195], v[196:197], v[184:185], v[204:205] op_sel:[0,0,1] op_sel_hi:[1,1,0] neg_lo:[0,0,1] neg_hi:[0,0,1]
	v_dual_mov_b32 v193, v207 :: v_dual_mov_b32 v196, v199
	v_dual_mov_b32 v195, v209 :: v_dual_mov_b32 v197, v198
	v_mul_f32_e32 v204, v199, v187
	s_wait_dscnt 0x1
	v_pk_mul_f32 v[208:209], v[188:189], v[186:187] op_sel:[0,1]
	v_pk_add_f32 v[128:129], v[128:129], v[192:193] neg_lo:[0,1] neg_hi:[0,1]
	v_pk_add_f32 v[124:125], v[124:125], v[194:195] neg_lo:[0,1] neg_hi:[0,1]
	ds_load_2addr_b64 v[192:195], v0 offset0:35 offset1:36
	v_pk_fma_f32 v[198:199], v[198:199], v[56:57], v[204:205] op_sel_hi:[1,1,0] neg_lo:[0,0,1] neg_hi:[0,0,1]
	v_pk_fma_f32 v[196:197], v[196:197], v[56:57], v[206:207] op_sel_hi:[1,1,0]
	v_pk_mul_f32 v[204:205], v[190:191], v[186:187] op_sel:[0,1]
	v_pk_fma_f32 v[206:207], v[188:189], v[184:185], v[208:209] op_sel:[0,0,1] op_sel_hi:[1,0,0]
	s_wait_dscnt 0x1
	v_pk_mul_f32 v[210:211], v[200:201], v[186:187] op_sel:[0,1]
	v_mov_b32_e32 v199, v197
	v_pk_fma_f32 v[196:197], v[188:189], v[184:185], v[208:209] op_sel:[0,0,1] op_sel_hi:[1,1,0] neg_lo:[0,0,1] neg_hi:[0,0,1]
	v_pk_fma_f32 v[208:209], v[190:191], v[184:185], v[204:205] op_sel:[0,0,1] op_sel_hi:[1,0,0]
	v_pk_fma_f32 v[204:205], v[190:191], v[184:185], v[204:205] op_sel:[0,0,1] op_sel_hi:[1,1,0] neg_lo:[0,0,1] neg_hi:[0,0,1]
	ds_load_2addr_b64 v[188:191], v0 offset0:37 offset1:38
	v_mov_b32_e32 v197, v207
	v_pk_fma_f32 v[206:207], v[200:201], v[184:185], v[210:211] op_sel:[0,0,1] op_sel_hi:[1,0,0]
	v_pk_fma_f32 v[200:201], v[200:201], v[184:185], v[210:211] op_sel:[0,0,1] op_sel_hi:[1,1,0] neg_lo:[0,0,1] neg_hi:[0,0,1]
	v_mov_b32_e32 v205, v209
	v_pk_add_f32 v[126:127], v[126:127], v[198:199] neg_lo:[0,1] neg_hi:[0,1]
	v_pk_add_f32 v[122:123], v[122:123], v[196:197] neg_lo:[0,1] neg_hi:[0,1]
	v_mov_b32_e32 v201, v207
	v_pk_mul_f32 v[206:207], v[202:203], v[186:187] op_sel:[0,1]
	ds_load_2addr_b64 v[196:199], v0 offset0:39 offset1:40
	ds_load_b64 v[210:211], v0 offset:328
	v_pk_add_f32 v[148:149], v[148:149], v[204:205] neg_lo:[0,1] neg_hi:[0,1]
	v_pk_add_f32 v[144:145], v[144:145], v[200:201] neg_lo:[0,1] neg_hi:[0,1]
	v_pk_fma_f32 v[200:201], v[202:203], v[184:185], v[206:207] op_sel:[0,0,1] op_sel_hi:[1,1,0] neg_lo:[0,0,1] neg_hi:[0,0,1]
	v_pk_fma_f32 v[202:203], v[202:203], v[184:185], v[206:207] op_sel:[0,0,1] op_sel_hi:[1,0,0]
	s_wait_dscnt 0x3
	v_mul_f32_e32 v202, v193, v184
	v_pk_mul_f32 v[204:205], v[194:195], v[186:187] op_sel:[0,1]
	s_delay_alu instid0(VALU_DEP_3) | instskip(NEXT) | instid1(VALU_DEP_3)
	v_dual_mul_f32 v206, v193, v187 :: v_dual_mov_b32 v201, v203
	v_pk_fma_f32 v[202:203], v[192:193], v[56:57], v[202:203] op_sel:[1,0,0] op_sel_hi:[0,1,0]
	s_delay_alu instid0(VALU_DEP_3) | instskip(NEXT) | instid1(VALU_DEP_3)
	v_pk_fma_f32 v[208:209], v[194:195], v[184:185], v[204:205] op_sel:[0,0,1] op_sel_hi:[1,0,0]
	v_pk_fma_f32 v[192:193], v[192:193], v[56:57], v[206:207] op_sel_hi:[1,1,0] neg_lo:[0,0,1] neg_hi:[0,0,1]
	s_wait_dscnt 0x2
	v_pk_mul_f32 v[206:207], v[188:189], v[186:187] op_sel:[0,1]
	v_pk_fma_f32 v[194:195], v[194:195], v[184:185], v[204:205] op_sel:[0,0,1] op_sel_hi:[1,1,0] neg_lo:[0,0,1] neg_hi:[0,0,1]
	v_dual_mov_b32 v193, v203 :: v_dual_mov_b32 v195, v209
	v_pk_mul_f32 v[202:203], v[190:191], v[186:187] op_sel:[0,1]
	v_pk_add_f32 v[146:147], v[146:147], v[200:201] neg_lo:[0,1] neg_hi:[0,1]
	v_pk_fma_f32 v[200:201], v[188:189], v[184:185], v[206:207] op_sel:[0,0,1] op_sel_hi:[1,0,0]
	s_delay_alu instid0(VALU_DEP_4)
	v_pk_add_f32 v[142:143], v[142:143], v[192:193] neg_lo:[0,1] neg_hi:[0,1]
	v_pk_add_f32 v[164:165], v[164:165], v[194:195] neg_lo:[0,1] neg_hi:[0,1]
	v_pk_fma_f32 v[188:189], v[188:189], v[184:185], v[206:207] op_sel:[0,0,1] op_sel_hi:[1,1,0] neg_lo:[0,0,1] neg_hi:[0,0,1]
	v_pk_fma_f32 v[192:193], v[190:191], v[184:185], v[202:203] op_sel:[0,0,1] op_sel_hi:[1,1,0] neg_lo:[0,0,1] neg_hi:[0,0,1]
	v_pk_fma_f32 v[190:191], v[190:191], v[184:185], v[202:203] op_sel:[0,0,1] op_sel_hi:[1,0,0]
	s_wait_dscnt 0x1
	v_pk_mul_f32 v[194:195], v[196:197], v[186:187] op_sel:[0,1]
	s_wait_dscnt 0x0
	v_pk_mul_f32 v[202:203], v[210:211], v[186:187] op_sel:[0,1]
	v_dual_mov_b32 v189, v201 :: v_dual_mov_b32 v200, v199
	v_dual_mov_b32 v201, v198 :: v_dual_mul_f32 v190, v199, v184
	v_pk_fma_f32 v[204:205], v[196:197], v[184:185], v[194:195] op_sel:[0,0,1] op_sel_hi:[1,0,0]
	v_pk_fma_f32 v[194:195], v[196:197], v[184:185], v[194:195] op_sel:[0,0,1] op_sel_hi:[1,1,0] neg_lo:[0,0,1] neg_hi:[0,0,1]
	v_pk_fma_f32 v[196:197], v[210:211], v[184:185], v[202:203] op_sel:[0,0,1] op_sel_hi:[1,0,0]
	v_mul_f32_e32 v186, v199, v187
	s_delay_alu instid0(VALU_DEP_4)
	v_dual_mov_b32 v193, v191 :: v_dual_mov_b32 v195, v205
	v_pk_fma_f32 v[190:191], v[200:201], v[56:57], v[190:191] op_sel_hi:[1,1,0]
	v_pk_fma_f32 v[184:185], v[210:211], v[184:185], v[202:203] op_sel:[0,0,1] op_sel_hi:[1,1,0] neg_lo:[0,0,1] neg_hi:[0,0,1]
	v_mov_b32_e32 v185, v197
	v_pk_fma_f32 v[186:187], v[198:199], v[56:57], v[186:187] op_sel_hi:[1,1,0] neg_lo:[0,0,1] neg_hi:[0,0,1]
	v_pk_add_f32 v[160:161], v[160:161], v[188:189] neg_lo:[0,1] neg_hi:[0,1]
	v_mov_b32_e32 v187, v191
	v_pk_add_f32 v[162:163], v[162:163], v[192:193] neg_lo:[0,1] neg_hi:[0,1]
	v_pk_add_f32 v[158:159], v[158:159], v[194:195] neg_lo:[0,1] neg_hi:[0,1]
	v_pk_add_f32 v[168:169], v[168:169], v[184:185] neg_lo:[0,1] neg_hi:[0,1]
	s_delay_alu instid0(VALU_DEP_4)
	v_pk_add_f32 v[166:167], v[166:167], v[186:187] neg_lo:[0,1] neg_hi:[0,1]
.LBB83_64:
	s_or_b32 exec_lo, exec_lo, s1
	s_delay_alu instid0(SALU_CYCLE_1)
	s_mov_b32 s2, exec_lo
	s_wait_dscnt 0x0
	s_barrier_signal -1
	s_barrier_wait -1
	v_cmpx_eq_u32_e32 7, v254
	s_cbranch_execz .LBB83_71
; %bb.65:
	v_dual_mov_b32 v184, v72 :: v_dual_mov_b32 v185, v73
	v_dual_mov_b32 v186, v68 :: v_dual_mov_b32 v187, v69
	;; [unrolled: 1-line block ×10, first 2 shown]
	ds_store_b64 v255, v[54:55]
	v_dual_mov_b32 v204, v90 :: v_dual_mov_b32 v205, v91
	v_dual_mov_b32 v206, v116 :: v_dual_mov_b32 v207, v117
	ds_store_2addr_b64 v0, v[184:185], v[186:187] offset0:8 offset1:9
	ds_store_2addr_b64 v0, v[188:189], v[190:191] offset0:10 offset1:11
	;; [unrolled: 1-line block ×6, first 2 shown]
	v_dual_mov_b32 v184, v138 :: v_dual_mov_b32 v185, v139
	v_dual_mov_b32 v186, v78 :: v_dual_mov_b32 v187, v79
	;; [unrolled: 1-line block ×12, first 2 shown]
	ds_store_2addr_b64 v0, v[184:185], v[186:187] offset0:20 offset1:21
	ds_store_2addr_b64 v0, v[188:189], v[190:191] offset0:22 offset1:23
	;; [unrolled: 1-line block ×6, first 2 shown]
	v_dual_mov_b32 v184, v148 :: v_dual_mov_b32 v185, v149
	v_dual_mov_b32 v186, v144 :: v_dual_mov_b32 v187, v145
	;; [unrolled: 1-line block ×9, first 2 shown]
	ds_store_2addr_b64 v0, v[184:185], v[186:187] offset0:32 offset1:33
	ds_store_2addr_b64 v0, v[188:189], v[190:191] offset0:34 offset1:35
	;; [unrolled: 1-line block ×5, first 2 shown]
	ds_load_b64 v[184:185], v255
	s_wait_dscnt 0x0
	v_cmp_neq_f32_e32 vcc_lo, 0, v184
	v_cmp_neq_f32_e64 s1, 0, v185
	s_or_b32 s1, vcc_lo, s1
	s_delay_alu instid0(SALU_CYCLE_1)
	s_and_b32 exec_lo, exec_lo, s1
	s_cbranch_execz .LBB83_71
; %bb.66:
	v_cmp_ngt_f32_e64 s1, |v184|, |v185|
                                        ; implicit-def: $vgpr186_vgpr187
	s_and_saveexec_b32 s4, s1
	s_delay_alu instid0(SALU_CYCLE_1)
	s_xor_b32 s1, exec_lo, s4
	s_cbranch_execz .LBB83_68
; %bb.67:
	v_div_scale_f32 v1, null, v185, v185, v184
	v_div_scale_f32 v6, vcc_lo, v184, v185, v184
	s_delay_alu instid0(VALU_DEP_2) | instskip(SKIP_1) | instid1(TRANS32_DEP_1)
	v_rcp_f32_e32 v4, v1
	v_nop
	v_fma_f32 v5, -v1, v4, 1.0
	s_delay_alu instid0(VALU_DEP_1) | instskip(NEXT) | instid1(VALU_DEP_1)
	v_fmac_f32_e32 v4, v5, v4
	v_mul_f32_e32 v5, v6, v4
	s_delay_alu instid0(VALU_DEP_1) | instskip(NEXT) | instid1(VALU_DEP_1)
	v_fma_f32 v7, -v1, v5, v6
	v_fmac_f32_e32 v5, v7, v4
	s_delay_alu instid0(VALU_DEP_1) | instskip(NEXT) | instid1(VALU_DEP_1)
	v_fma_f32 v1, -v1, v5, v6
	v_div_fmas_f32 v1, v1, v4, v5
	s_delay_alu instid0(VALU_DEP_1) | instskip(NEXT) | instid1(VALU_DEP_1)
	v_div_fixup_f32 v1, v1, v185, v184
	v_fmac_f32_e32 v185, v184, v1
	s_delay_alu instid0(VALU_DEP_1) | instskip(SKIP_1) | instid1(VALU_DEP_2)
	v_div_scale_f32 v4, null, v185, v185, 1.0
	v_div_scale_f32 v7, vcc_lo, 1.0, v185, 1.0
	v_rcp_f32_e32 v5, v4
	v_nop
	s_delay_alu instid0(TRANS32_DEP_1) | instskip(NEXT) | instid1(VALU_DEP_1)
	v_fma_f32 v6, -v4, v5, 1.0
	v_fmac_f32_e32 v5, v6, v5
	s_delay_alu instid0(VALU_DEP_1) | instskip(NEXT) | instid1(VALU_DEP_1)
	v_mul_f32_e32 v6, v7, v5
	v_fma_f32 v8, -v4, v6, v7
	s_delay_alu instid0(VALU_DEP_1) | instskip(NEXT) | instid1(VALU_DEP_1)
	v_fmac_f32_e32 v6, v8, v5
	v_fma_f32 v4, -v4, v6, v7
	s_delay_alu instid0(VALU_DEP_1) | instskip(NEXT) | instid1(VALU_DEP_1)
	v_div_fmas_f32 v4, v4, v5, v6
	v_div_fixup_f32 v4, v4, v185, 1.0
                                        ; implicit-def: $vgpr184_vgpr185
	s_delay_alu instid0(VALU_DEP_1)
	v_mul_f32_e32 v186, v1, v4
	v_xor_b32_e32 v187, 0x80000000, v4
.LBB83_68:
	s_and_not1_saveexec_b32 s1, s1
	s_cbranch_execz .LBB83_70
; %bb.69:
	v_div_scale_f32 v1, null, v184, v184, v185
	v_div_scale_f32 v6, vcc_lo, v185, v184, v185
	s_delay_alu instid0(VALU_DEP_2) | instskip(SKIP_1) | instid1(TRANS32_DEP_1)
	v_rcp_f32_e32 v4, v1
	v_nop
	v_fma_f32 v5, -v1, v4, 1.0
	s_delay_alu instid0(VALU_DEP_1) | instskip(NEXT) | instid1(VALU_DEP_1)
	v_fmac_f32_e32 v4, v5, v4
	v_mul_f32_e32 v5, v6, v4
	s_delay_alu instid0(VALU_DEP_1) | instskip(NEXT) | instid1(VALU_DEP_1)
	v_fma_f32 v7, -v1, v5, v6
	v_fmac_f32_e32 v5, v7, v4
	s_delay_alu instid0(VALU_DEP_1) | instskip(NEXT) | instid1(VALU_DEP_1)
	v_fma_f32 v1, -v1, v5, v6
	v_div_fmas_f32 v1, v1, v4, v5
	s_delay_alu instid0(VALU_DEP_1) | instskip(NEXT) | instid1(VALU_DEP_1)
	v_div_fixup_f32 v1, v1, v184, v185
	v_fmac_f32_e32 v184, v185, v1
	s_delay_alu instid0(VALU_DEP_1) | instskip(NEXT) | instid1(VALU_DEP_1)
	v_div_scale_f32 v4, null, v184, v184, 1.0
	v_rcp_f32_e32 v5, v4
	v_nop
	s_delay_alu instid0(TRANS32_DEP_1) | instskip(NEXT) | instid1(VALU_DEP_1)
	v_fma_f32 v6, -v4, v5, 1.0
	v_fmac_f32_e32 v5, v6, v5
	v_div_scale_f32 v6, vcc_lo, 1.0, v184, 1.0
	s_delay_alu instid0(VALU_DEP_1) | instskip(NEXT) | instid1(VALU_DEP_1)
	v_mul_f32_e32 v7, v6, v5
	v_fma_f32 v8, -v4, v7, v6
	s_delay_alu instid0(VALU_DEP_1) | instskip(NEXT) | instid1(VALU_DEP_1)
	v_fmac_f32_e32 v7, v8, v5
	v_fma_f32 v4, -v4, v7, v6
	s_delay_alu instid0(VALU_DEP_1) | instskip(NEXT) | instid1(VALU_DEP_1)
	v_div_fmas_f32 v4, v4, v5, v7
	v_div_fixup_f32 v186, v4, v184, 1.0
	s_delay_alu instid0(VALU_DEP_1)
	v_mul_f32_e64 v187, v1, -v186
.LBB83_70:
	s_or_b32 exec_lo, exec_lo, s1
	ds_store_b64 v255, v[186:187]
.LBB83_71:
	s_or_b32 exec_lo, exec_lo, s2
	s_wait_dscnt 0x0
	s_barrier_signal -1
	s_barrier_wait -1
	ds_load_b64 v[184:185], v255
	s_mov_b32 s1, exec_lo
	v_cmpx_lt_u32_e32 7, v254
	s_cbranch_execz .LBB83_73
; %bb.72:
	ds_load_2addr_b64 v[190:193], v0 offset0:8 offset1:9
	ds_load_2addr_b64 v[194:197], v0 offset0:10 offset1:11
	;; [unrolled: 1-line block ×3, first 2 shown]
	s_wait_dscnt 0x3
	v_pk_mul_f32 v[188:189], v[184:185], v[54:55] op_sel:[1,1] op_sel_hi:[0,1]
	ds_load_2addr_b64 v[202:205], v0 offset0:14 offset1:15
	ds_load_2addr_b64 v[206:209], v0 offset0:16 offset1:17
	v_pk_fma_f32 v[186:187], v[184:185], v[54:55], v[188:189] op_sel_hi:[1,0,1] neg_lo:[0,0,1] neg_hi:[0,0,1]
	v_pk_fma_f32 v[188:189], v[184:185], v[54:55], v[188:189] op_sel_hi:[1,0,1]
	s_delay_alu instid0(VALU_DEP_1) | instskip(SKIP_1) | instid1(VALU_DEP_2)
	v_dual_mov_b32 v54, v186 :: v_dual_mov_b32 v55, v189
	s_wait_dscnt 0x4
	v_pk_mul_f32 v[210:211], v[190:191], v[188:189] op_sel:[0,1]
	v_pk_mul_f32 v[212:213], v[192:193], v[188:189] op_sel:[0,1]
	s_wait_dscnt 0x3
	v_pk_mul_f32 v[214:215], v[194:195], v[188:189] op_sel:[0,1]
	s_wait_dscnt 0x2
	v_pk_mul_f32 v[222:223], v[198:199], v[188:189] op_sel:[0,1]
	v_dual_mov_b32 v216, v197 :: v_dual_mov_b32 v217, v196
	v_pk_fma_f32 v[226:227], v[190:191], v[186:187], v[210:211] op_sel:[0,0,1] op_sel_hi:[1,1,0] neg_lo:[0,0,1] neg_hi:[0,0,1]
	v_pk_fma_f32 v[190:191], v[190:191], v[186:187], v[210:211] op_sel:[0,0,1] op_sel_hi:[1,0,0]
	v_dual_mul_f32 v218, v197, v189 :: v_dual_mul_f32 v220, v197, v186
	v_pk_mul_f32 v[224:225], v[200:201], v[188:189] op_sel:[0,1]
	v_pk_fma_f32 v[210:211], v[192:193], v[186:187], v[212:213] op_sel:[0,0,1] op_sel_hi:[1,1,0] neg_lo:[0,0,1] neg_hi:[0,0,1]
	v_pk_fma_f32 v[192:193], v[192:193], v[186:187], v[212:213] op_sel:[0,0,1] op_sel_hi:[1,0,0]
	v_pk_fma_f32 v[212:213], v[194:195], v[186:187], v[214:215] op_sel:[0,0,1] op_sel_hi:[1,1,0] neg_lo:[0,0,1] neg_hi:[0,0,1]
	v_pk_fma_f32 v[194:195], v[194:195], v[186:187], v[214:215] op_sel:[0,0,1] op_sel_hi:[1,0,0]
	v_mov_b32_e32 v227, v191
	v_pk_fma_f32 v[190:191], v[198:199], v[186:187], v[222:223] op_sel:[0,0,1] op_sel_hi:[1,0,0]
	v_pk_fma_f32 v[214:215], v[216:217], v[54:55], v[220:221] op_sel_hi:[1,1,0]
	v_pk_fma_f32 v[216:217], v[198:199], v[186:187], v[222:223] op_sel:[0,0,1] op_sel_hi:[1,1,0] neg_lo:[0,0,1] neg_hi:[0,0,1]
	v_dual_mov_b32 v211, v193 :: v_dual_mov_b32 v213, v195
	v_pk_fma_f32 v[194:195], v[200:201], v[186:187], v[224:225] op_sel:[0,0,1] op_sel_hi:[1,0,0]
	v_mov_b32_e32 v217, v191
	s_wait_dscnt 0x1
	v_pk_mul_f32 v[198:199], v[202:203], v[188:189] op_sel:[0,1]
	ds_load_2addr_b64 v[190:193], v0 offset0:18 offset1:19
	v_pk_fma_f32 v[196:197], v[196:197], v[54:55], v[218:219] op_sel_hi:[1,1,0] neg_lo:[0,0,1] neg_hi:[0,0,1]
	v_pk_fma_f32 v[200:201], v[200:201], v[186:187], v[224:225] op_sel:[0,0,1] op_sel_hi:[1,1,0] neg_lo:[0,0,1] neg_hi:[0,0,1]
	v_mov_b32_e32 v197, v215
	v_pk_add_f32 v[68:69], v[68:69], v[210:211] neg_lo:[0,1] neg_hi:[0,1]
	v_mov_b32_e32 v201, v195
	v_pk_mul_f32 v[210:211], v[204:205], v[188:189] op_sel:[0,1]
	v_pk_fma_f32 v[194:195], v[202:203], v[186:187], v[198:199] op_sel:[0,0,1] op_sel_hi:[1,0,0]
	v_pk_fma_f32 v[198:199], v[202:203], v[186:187], v[198:199] op_sel:[0,0,1] op_sel_hi:[1,1,0] neg_lo:[0,0,1] neg_hi:[0,0,1]
	v_pk_add_f32 v[52:53], v[52:53], v[196:197] neg_lo:[0,1] neg_hi:[0,1]
	v_pk_add_f32 v[94:95], v[94:95], v[200:201] neg_lo:[0,1] neg_hi:[0,1]
	v_pk_fma_f32 v[200:201], v[204:205], v[186:187], v[210:211] op_sel:[0,0,1] op_sel_hi:[1,0,0]
	v_mov_b32_e32 v199, v195
	ds_load_2addr_b64 v[194:197], v0 offset0:20 offset1:21
	v_pk_fma_f32 v[202:203], v[204:205], v[186:187], v[210:211] op_sel:[0,0,1] op_sel_hi:[1,1,0] neg_lo:[0,0,1] neg_hi:[0,0,1]
	s_wait_dscnt 0x2
	v_dual_mul_f32 v200, v207, v186 :: v_dual_mul_f32 v204, v207, v189
	v_mov_b32_e32 v203, v201
	v_pk_add_f32 v[96:97], v[96:97], v[198:199] neg_lo:[0,1] neg_hi:[0,1]
	v_pk_mul_f32 v[198:199], v[208:209], v[188:189] op_sel:[0,1]
	s_delay_alu instid0(VALU_DEP_4)
	v_pk_fma_f32 v[200:201], v[206:207], v[54:55], v[200:201] op_sel:[1,0,0] op_sel_hi:[0,1,0]
	v_pk_fma_f32 v[204:205], v[206:207], v[54:55], v[204:205] op_sel_hi:[1,1,0] neg_lo:[0,0,1] neg_hi:[0,0,1]
	v_pk_add_f32 v[92:93], v[92:93], v[202:203] neg_lo:[0,1] neg_hi:[0,1]
	s_wait_dscnt 0x1
	v_pk_mul_f32 v[202:203], v[190:191], v[188:189] op_sel:[0,1]
	v_pk_fma_f32 v[210:211], v[208:209], v[186:187], v[198:199] op_sel:[0,0,1] op_sel_hi:[1,0,0]
	v_mov_b32_e32 v205, v201
	v_pk_fma_f32 v[206:207], v[208:209], v[186:187], v[198:199] op_sel:[0,0,1] op_sel_hi:[1,1,0] neg_lo:[0,0,1] neg_hi:[0,0,1]
	ds_load_2addr_b64 v[198:201], v0 offset0:22 offset1:23
	v_pk_fma_f32 v[208:209], v[190:191], v[186:187], v[202:203] op_sel:[0,0,1] op_sel_hi:[1,0,0]
	v_pk_fma_f32 v[190:191], v[190:191], v[186:187], v[202:203] op_sel:[0,0,1] op_sel_hi:[1,1,0] neg_lo:[0,0,1] neg_hi:[0,0,1]
	v_pk_mul_f32 v[202:203], v[192:193], v[188:189] op_sel:[0,1]
	v_mov_b32_e32 v207, v211
	v_pk_add_f32 v[120:121], v[120:121], v[204:205] neg_lo:[0,1] neg_hi:[0,1]
	v_pk_add_f32 v[70:71], v[70:71], v[212:213] neg_lo:[0,1] neg_hi:[0,1]
	;; [unrolled: 1-line block ×3, first 2 shown]
	v_pk_fma_f32 v[204:205], v[192:193], v[186:187], v[202:203] op_sel:[0,0,1] op_sel_hi:[1,0,0]
	v_mov_b32_e32 v191, v209
	s_wait_dscnt 0x1
	v_pk_mul_f32 v[208:209], v[194:195], v[188:189] op_sel:[0,1]
	v_pk_fma_f32 v[202:203], v[192:193], v[186:187], v[202:203] op_sel:[0,0,1] op_sel_hi:[1,1,0] neg_lo:[0,0,1] neg_hi:[0,0,1]
	v_pk_add_f32 v[118:119], v[118:119], v[206:207] neg_lo:[0,1] neg_hi:[0,1]
	v_mov_b32_e32 v203, v205
	v_pk_add_f32 v[90:91], v[90:91], v[190:191] neg_lo:[0,1] neg_hi:[0,1]
	v_pk_fma_f32 v[206:207], v[194:195], v[186:187], v[208:209] op_sel:[0,0,1] op_sel_hi:[1,0,0]
	ds_load_2addr_b64 v[190:193], v0 offset0:24 offset1:25
	v_pk_fma_f32 v[194:195], v[194:195], v[186:187], v[208:209] op_sel:[0,0,1] op_sel_hi:[1,1,0] neg_lo:[0,0,1] neg_hi:[0,0,1]
	v_dual_mov_b32 v204, v197 :: v_dual_mov_b32 v205, v196
	v_dual_mul_f32 v206, v197, v186 :: v_dual_mov_b32 v195, v207
	v_pk_add_f32 v[116:117], v[116:117], v[202:203] neg_lo:[0,1] neg_hi:[0,1]
	s_wait_dscnt 0x1
	v_pk_mul_f32 v[210:211], v[200:201], v[188:189] op_sel:[0,1]
	v_pk_add_f32 v[98:99], v[98:99], v[216:217] neg_lo:[0,1] neg_hi:[0,1]
	v_pk_fma_f32 v[206:207], v[204:205], v[54:55], v[206:207] op_sel_hi:[1,1,0]
	v_pk_add_f32 v[138:139], v[138:139], v[194:195] neg_lo:[0,1] neg_hi:[0,1]
	v_pk_mul_f32 v[194:195], v[198:199], v[188:189] op_sel:[0,1]
	ds_load_2addr_b64 v[202:205], v0 offset0:26 offset1:27
	v_mul_f32_e32 v208, v197, v189
	v_pk_fma_f32 v[212:213], v[198:199], v[186:187], v[194:195] op_sel:[0,0,1] op_sel_hi:[1,0,0]
	v_pk_fma_f32 v[198:199], v[198:199], v[186:187], v[194:195] op_sel:[0,0,1] op_sel_hi:[1,1,0] neg_lo:[0,0,1] neg_hi:[0,0,1]
	s_delay_alu instid0(VALU_DEP_3)
	v_pk_fma_f32 v[208:209], v[196:197], v[54:55], v[208:209] op_sel_hi:[1,1,0] neg_lo:[0,0,1] neg_hi:[0,0,1]
	v_mov_b32_e32 v209, v207
	v_pk_fma_f32 v[206:207], v[200:201], v[186:187], v[210:211] op_sel:[0,0,1] op_sel_hi:[1,0,0]
	v_mov_b32_e32 v199, v213
	s_wait_dscnt 0x1
	v_pk_mul_f32 v[212:213], v[190:191], v[188:189] op_sel:[0,1]
	ds_load_2addr_b64 v[194:197], v0 offset0:28 offset1:29
	v_pk_add_f32 v[78:79], v[78:79], v[208:209] neg_lo:[0,1] neg_hi:[0,1]
	v_pk_fma_f32 v[200:201], v[200:201], v[186:187], v[210:211] op_sel:[0,0,1] op_sel_hi:[1,1,0] neg_lo:[0,0,1] neg_hi:[0,0,1]
	v_mov_b32_e32 v201, v207
	v_pk_fma_f32 v[208:209], v[190:191], v[186:187], v[212:213] op_sel:[0,0,1] op_sel_hi:[1,0,0]
	v_pk_mul_f32 v[206:207], v[192:193], v[188:189] op_sel:[0,1]
	v_pk_fma_f32 v[190:191], v[190:191], v[186:187], v[212:213] op_sel:[0,0,1] op_sel_hi:[1,1,0] neg_lo:[0,0,1] neg_hi:[0,0,1]
	v_pk_add_f32 v[80:81], v[80:81], v[198:199] neg_lo:[0,1] neg_hi:[0,1]
	v_pk_add_f32 v[76:77], v[76:77], v[200:201] neg_lo:[0,1] neg_hi:[0,1]
	s_wait_dscnt 0x1
	v_dual_mov_b32 v191, v209 :: v_dual_mul_f32 v208, v203, v186
	ds_load_2addr_b64 v[198:201], v0 offset0:30 offset1:31
	v_pk_fma_f32 v[210:211], v[192:193], v[186:187], v[206:207] op_sel:[0,0,1] op_sel_hi:[1,0,0]
	v_pk_fma_f32 v[192:193], v[192:193], v[186:187], v[206:207] op_sel:[0,0,1] op_sel_hi:[1,1,0] neg_lo:[0,0,1] neg_hi:[0,0,1]
	v_pk_add_f32 v[106:107], v[106:107], v[190:191] neg_lo:[0,1] neg_hi:[0,1]
	v_mul_f32_e32 v190, v203, v189
	v_pk_fma_f32 v[206:207], v[202:203], v[54:55], v[208:209] op_sel:[1,0,0] op_sel_hi:[0,1,0]
	v_pk_mul_f32 v[208:209], v[204:205], v[188:189] op_sel:[0,1]
	v_mov_b32_e32 v193, v211
	s_delay_alu instid0(VALU_DEP_4)
	v_pk_fma_f32 v[202:203], v[202:203], v[54:55], v[190:191] op_sel_hi:[1,1,0] neg_lo:[0,0,1] neg_hi:[0,0,1]
	s_wait_dscnt 0x1
	v_pk_mul_f32 v[210:211], v[194:195], v[188:189] op_sel:[0,1]
	v_mov_b32_e32 v203, v207
	v_pk_fma_f32 v[206:207], v[204:205], v[186:187], v[208:209] op_sel:[0,0,1] op_sel_hi:[1,0,0]
	v_pk_mul_f32 v[212:213], v[196:197], v[188:189] op_sel:[0,1]
	v_pk_add_f32 v[102:103], v[102:103], v[192:193] neg_lo:[0,1] neg_hi:[0,1]
	ds_load_2addr_b64 v[190:193], v0 offset0:32 offset1:33
	v_pk_fma_f32 v[204:205], v[204:205], v[186:187], v[208:209] op_sel:[0,0,1] op_sel_hi:[1,1,0] neg_lo:[0,0,1] neg_hi:[0,0,1]
	v_pk_fma_f32 v[214:215], v[194:195], v[186:187], v[210:211] op_sel:[0,0,1] op_sel_hi:[1,0,0]
	v_mov_b32_e32 v205, v207
	v_pk_fma_f32 v[206:207], v[196:197], v[186:187], v[212:213] op_sel:[0,0,1] op_sel_hi:[1,0,0]
	v_pk_fma_f32 v[194:195], v[194:195], v[186:187], v[210:211] op_sel:[0,0,1] op_sel_hi:[1,1,0] neg_lo:[0,0,1] neg_hi:[0,0,1]
	v_pk_fma_f32 v[196:197], v[196:197], v[186:187], v[212:213] op_sel:[0,0,1] op_sel_hi:[1,1,0] neg_lo:[0,0,1] neg_hi:[0,0,1]
	v_mov_b32_e32 v195, v215
	s_wait_dscnt 0x1
	v_pk_mul_f32 v[208:209], v[198:199], v[188:189] op_sel:[0,1]
	v_dual_mov_b32 v197, v207 :: v_dual_mov_b32 v206, v201
	v_pk_add_f32 v[104:105], v[104:105], v[202:203] neg_lo:[0,1] neg_hi:[0,1]
	v_pk_add_f32 v[128:129], v[128:129], v[194:195] neg_lo:[0,1] neg_hi:[0,1]
	s_delay_alu instid0(VALU_DEP_4) | instskip(NEXT) | instid1(VALU_DEP_4)
	v_pk_fma_f32 v[202:203], v[198:199], v[186:187], v[208:209] op_sel:[0,0,1] op_sel_hi:[1,0,0]
	v_pk_add_f32 v[124:125], v[124:125], v[196:197] neg_lo:[0,1] neg_hi:[0,1]
	ds_load_2addr_b64 v[194:197], v0 offset0:34 offset1:35
	v_pk_fma_f32 v[198:199], v[198:199], v[186:187], v[208:209] op_sel:[0,0,1] op_sel_hi:[1,1,0] neg_lo:[0,0,1] neg_hi:[0,0,1]
	v_dual_mov_b32 v207, v200 :: v_dual_mul_f32 v208, v201, v186
	v_pk_add_f32 v[100:101], v[100:101], v[204:205] neg_lo:[0,1] neg_hi:[0,1]
	v_mov_b32_e32 v199, v203
	ds_load_2addr_b64 v[202:205], v0 offset0:36 offset1:37
	s_wait_dscnt 0x2
	v_pk_mul_f32 v[210:211], v[190:191], v[188:189] op_sel:[0,1]
	v_pk_mul_f32 v[214:215], v[192:193], v[188:189] op_sel:[0,1]
	v_pk_fma_f32 v[206:207], v[206:207], v[54:55], v[208:209] op_sel_hi:[1,1,0]
	v_mul_f32_e32 v212, v201, v189
	v_pk_add_f32 v[126:127], v[126:127], v[198:199] neg_lo:[0,1] neg_hi:[0,1]
	v_pk_fma_f32 v[198:199], v[190:191], v[186:187], v[210:211] op_sel:[0,0,1] op_sel_hi:[1,0,0]
	v_pk_fma_f32 v[208:209], v[192:193], v[186:187], v[214:215] op_sel:[0,0,1] op_sel_hi:[1,0,0]
	s_delay_alu instid0(VALU_DEP_4)
	v_pk_fma_f32 v[200:201], v[200:201], v[54:55], v[212:213] op_sel_hi:[1,1,0] neg_lo:[0,0,1] neg_hi:[0,0,1]
	v_mov_b32_e32 v201, v207
	v_pk_fma_f32 v[206:207], v[190:191], v[186:187], v[210:211] op_sel:[0,0,1] op_sel_hi:[1,1,0] neg_lo:[0,0,1] neg_hi:[0,0,1]
	v_mov_b32_e32 v207, v199
	v_pk_fma_f32 v[198:199], v[192:193], v[186:187], v[214:215] op_sel:[0,0,1] op_sel_hi:[1,1,0] neg_lo:[0,0,1] neg_hi:[0,0,1]
	v_mov_b32_e32 v199, v209
	ds_load_2addr_b64 v[190:193], v0 offset0:38 offset1:39
	s_wait_dscnt 0x2
	v_pk_mul_f32 v[208:209], v[194:195], v[188:189] op_sel:[0,1]
	v_pk_add_f32 v[122:123], v[122:123], v[200:201] neg_lo:[0,1] neg_hi:[0,1]
	v_pk_mul_f32 v[210:211], v[196:197], v[188:189] op_sel:[0,1]
	v_pk_add_f32 v[144:145], v[144:145], v[198:199] neg_lo:[0,1] neg_hi:[0,1]
	ds_load_2addr_b64 v[198:201], v0 offset0:40 offset1:41
	v_pk_add_f32 v[148:149], v[148:149], v[206:207] neg_lo:[0,1] neg_hi:[0,1]
	v_pk_fma_f32 v[206:207], v[194:195], v[186:187], v[208:209] op_sel:[0,0,1] op_sel_hi:[1,0,0]
	s_wait_dscnt 0x2
	v_mul_f32_e32 v206, v203, v186
	v_pk_fma_f32 v[194:195], v[194:195], v[186:187], v[208:209] op_sel:[0,0,1] op_sel_hi:[1,1,0] neg_lo:[0,0,1] neg_hi:[0,0,1]
	v_pk_fma_f32 v[208:209], v[196:197], v[186:187], v[210:211] op_sel:[0,0,1] op_sel_hi:[1,0,0]
	v_mul_f32_e32 v208, v203, v189
	v_mov_b32_e32 v195, v207
	v_pk_fma_f32 v[206:207], v[202:203], v[54:55], v[206:207] op_sel:[1,0,0] op_sel_hi:[0,1,0]
	v_pk_fma_f32 v[196:197], v[196:197], v[186:187], v[210:211] op_sel:[0,0,1] op_sel_hi:[1,1,0] neg_lo:[0,0,1] neg_hi:[0,0,1]
	v_pk_mul_f32 v[210:211], v[204:205], v[188:189] op_sel:[0,1]
	v_mov_b32_e32 v197, v209
	v_pk_fma_f32 v[202:203], v[202:203], v[54:55], v[208:209] op_sel_hi:[1,1,0] neg_lo:[0,0,1] neg_hi:[0,0,1]
	v_mov_b32_e32 v203, v207
	v_pk_add_f32 v[146:147], v[146:147], v[194:195] neg_lo:[0,1] neg_hi:[0,1]
	v_pk_fma_f32 v[194:195], v[204:205], v[186:187], v[210:211] op_sel:[0,0,1] op_sel_hi:[1,0,0]
	v_pk_add_f32 v[142:143], v[142:143], v[196:197] neg_lo:[0,1] neg_hi:[0,1]
	s_wait_dscnt 0x1
	v_pk_mul_f32 v[196:197], v[190:191], v[188:189] op_sel:[0,1]
	v_pk_add_f32 v[164:165], v[164:165], v[202:203] neg_lo:[0,1] neg_hi:[0,1]
	v_pk_fma_f32 v[202:203], v[204:205], v[186:187], v[210:211] op_sel:[0,0,1] op_sel_hi:[1,1,0] neg_lo:[0,0,1] neg_hi:[0,0,1]
	v_mov_b32_e32 v203, v195
	v_pk_mul_f32 v[194:195], v[192:193], v[188:189] op_sel:[0,1]
	v_pk_fma_f32 v[204:205], v[190:191], v[186:187], v[196:197] op_sel:[0,0,1] op_sel_hi:[1,0,0]
	s_wait_dscnt 0x0
	v_pk_mul_f32 v[206:207], v[198:199], v[188:189] op_sel:[0,1]
	v_pk_mul_f32 v[188:189], v[200:201], v[188:189] op_sel:[0,1]
	v_pk_fma_f32 v[190:191], v[190:191], v[186:187], v[196:197] op_sel:[0,0,1] op_sel_hi:[1,1,0] neg_lo:[0,0,1] neg_hi:[0,0,1]
	v_pk_fma_f32 v[196:197], v[192:193], v[186:187], v[194:195] op_sel:[0,0,1] op_sel_hi:[1,0,0]
	v_mov_b32_e32 v191, v205
	v_pk_fma_f32 v[204:205], v[198:199], v[186:187], v[206:207] op_sel:[0,0,1] op_sel_hi:[1,0,0]
	v_pk_fma_f32 v[192:193], v[192:193], v[186:187], v[194:195] op_sel:[0,0,1] op_sel_hi:[1,1,0] neg_lo:[0,0,1] neg_hi:[0,0,1]
	v_pk_fma_f32 v[194:195], v[200:201], v[186:187], v[188:189] op_sel:[0,0,1] op_sel_hi:[1,0,0]
	v_mov_b32_e32 v193, v197
	v_pk_fma_f32 v[196:197], v[198:199], v[186:187], v[206:207] op_sel:[0,0,1] op_sel_hi:[1,1,0] neg_lo:[0,0,1] neg_hi:[0,0,1]
	v_pk_fma_f32 v[186:187], v[200:201], v[186:187], v[188:189] op_sel:[0,0,1] op_sel_hi:[1,1,0] neg_lo:[0,0,1] neg_hi:[0,0,1]
	s_delay_alu instid0(VALU_DEP_4) | instskip(SKIP_3) | instid1(VALU_DEP_4)
	v_dual_mov_b32 v197, v205 :: v_dual_mov_b32 v187, v195
	v_pk_add_f32 v[160:161], v[160:161], v[202:203] neg_lo:[0,1] neg_hi:[0,1]
	v_pk_add_f32 v[162:163], v[162:163], v[190:191] neg_lo:[0,1] neg_hi:[0,1]
	v_pk_add_f32 v[158:159], v[158:159], v[192:193] neg_lo:[0,1] neg_hi:[0,1]
	v_pk_add_f32 v[166:167], v[166:167], v[196:197] neg_lo:[0,1] neg_hi:[0,1]
	v_pk_add_f32 v[168:169], v[168:169], v[186:187] neg_lo:[0,1] neg_hi:[0,1]
.LBB83_73:
	s_or_b32 exec_lo, exec_lo, s1
	s_delay_alu instid0(SALU_CYCLE_1)
	s_mov_b32 s2, exec_lo
	s_wait_dscnt 0x0
	s_barrier_signal -1
	s_barrier_wait -1
	v_cmpx_eq_u32_e32 8, v254
	s_cbranch_execz .LBB83_80
; %bb.74:
	ds_store_b64 v255, v[72:73]
	ds_store_2addr_b64 v0, v[68:69], v[70:71] offset0:9 offset1:10
	ds_store_2addr_b64 v0, v[52:53], v[98:99] offset0:11 offset1:12
	;; [unrolled: 1-line block ×16, first 2 shown]
	ds_store_b64 v0, v[168:169] offset:328
	ds_load_b64 v[186:187], v255
	s_wait_dscnt 0x0
	v_cmp_neq_f32_e32 vcc_lo, 0, v186
	v_cmp_neq_f32_e64 s1, 0, v187
	s_or_b32 s1, vcc_lo, s1
	s_delay_alu instid0(SALU_CYCLE_1)
	s_and_b32 exec_lo, exec_lo, s1
	s_cbranch_execz .LBB83_80
; %bb.75:
	v_cmp_ngt_f32_e64 s1, |v186|, |v187|
                                        ; implicit-def: $vgpr188_vgpr189
	s_and_saveexec_b32 s4, s1
	s_delay_alu instid0(SALU_CYCLE_1)
	s_xor_b32 s1, exec_lo, s4
	s_cbranch_execz .LBB83_77
; %bb.76:
	v_div_scale_f32 v1, null, v187, v187, v186
	v_div_scale_f32 v6, vcc_lo, v186, v187, v186
	s_delay_alu instid0(VALU_DEP_2) | instskip(SKIP_1) | instid1(TRANS32_DEP_1)
	v_rcp_f32_e32 v4, v1
	v_nop
	v_fma_f32 v5, -v1, v4, 1.0
	s_delay_alu instid0(VALU_DEP_1) | instskip(NEXT) | instid1(VALU_DEP_1)
	v_fmac_f32_e32 v4, v5, v4
	v_mul_f32_e32 v5, v6, v4
	s_delay_alu instid0(VALU_DEP_1) | instskip(NEXT) | instid1(VALU_DEP_1)
	v_fma_f32 v7, -v1, v5, v6
	v_fmac_f32_e32 v5, v7, v4
	s_delay_alu instid0(VALU_DEP_1) | instskip(NEXT) | instid1(VALU_DEP_1)
	v_fma_f32 v1, -v1, v5, v6
	v_div_fmas_f32 v1, v1, v4, v5
	s_delay_alu instid0(VALU_DEP_1) | instskip(NEXT) | instid1(VALU_DEP_1)
	v_div_fixup_f32 v1, v1, v187, v186
	v_fmac_f32_e32 v187, v186, v1
	s_delay_alu instid0(VALU_DEP_1) | instskip(SKIP_1) | instid1(VALU_DEP_2)
	v_div_scale_f32 v4, null, v187, v187, 1.0
	v_div_scale_f32 v7, vcc_lo, 1.0, v187, 1.0
	v_rcp_f32_e32 v5, v4
	v_nop
	s_delay_alu instid0(TRANS32_DEP_1) | instskip(NEXT) | instid1(VALU_DEP_1)
	v_fma_f32 v6, -v4, v5, 1.0
	v_fmac_f32_e32 v5, v6, v5
	s_delay_alu instid0(VALU_DEP_1) | instskip(NEXT) | instid1(VALU_DEP_1)
	v_mul_f32_e32 v6, v7, v5
	v_fma_f32 v8, -v4, v6, v7
	s_delay_alu instid0(VALU_DEP_1) | instskip(NEXT) | instid1(VALU_DEP_1)
	v_fmac_f32_e32 v6, v8, v5
	v_fma_f32 v4, -v4, v6, v7
	s_delay_alu instid0(VALU_DEP_1) | instskip(NEXT) | instid1(VALU_DEP_1)
	v_div_fmas_f32 v4, v4, v5, v6
	v_div_fixup_f32 v4, v4, v187, 1.0
                                        ; implicit-def: $vgpr186_vgpr187
	s_delay_alu instid0(VALU_DEP_1)
	v_mul_f32_e32 v188, v1, v4
	v_xor_b32_e32 v189, 0x80000000, v4
.LBB83_77:
	s_and_not1_saveexec_b32 s1, s1
	s_cbranch_execz .LBB83_79
; %bb.78:
	v_div_scale_f32 v1, null, v186, v186, v187
	v_div_scale_f32 v6, vcc_lo, v187, v186, v187
	s_delay_alu instid0(VALU_DEP_2) | instskip(SKIP_1) | instid1(TRANS32_DEP_1)
	v_rcp_f32_e32 v4, v1
	v_nop
	v_fma_f32 v5, -v1, v4, 1.0
	s_delay_alu instid0(VALU_DEP_1) | instskip(NEXT) | instid1(VALU_DEP_1)
	v_fmac_f32_e32 v4, v5, v4
	v_mul_f32_e32 v5, v6, v4
	s_delay_alu instid0(VALU_DEP_1) | instskip(NEXT) | instid1(VALU_DEP_1)
	v_fma_f32 v7, -v1, v5, v6
	v_fmac_f32_e32 v5, v7, v4
	s_delay_alu instid0(VALU_DEP_1) | instskip(NEXT) | instid1(VALU_DEP_1)
	v_fma_f32 v1, -v1, v5, v6
	v_div_fmas_f32 v1, v1, v4, v5
	s_delay_alu instid0(VALU_DEP_1) | instskip(NEXT) | instid1(VALU_DEP_1)
	v_div_fixup_f32 v1, v1, v186, v187
	v_fmac_f32_e32 v186, v187, v1
	s_delay_alu instid0(VALU_DEP_1) | instskip(NEXT) | instid1(VALU_DEP_1)
	v_div_scale_f32 v4, null, v186, v186, 1.0
	v_rcp_f32_e32 v5, v4
	v_nop
	s_delay_alu instid0(TRANS32_DEP_1) | instskip(NEXT) | instid1(VALU_DEP_1)
	v_fma_f32 v6, -v4, v5, 1.0
	v_fmac_f32_e32 v5, v6, v5
	v_div_scale_f32 v6, vcc_lo, 1.0, v186, 1.0
	s_delay_alu instid0(VALU_DEP_1) | instskip(NEXT) | instid1(VALU_DEP_1)
	v_mul_f32_e32 v7, v6, v5
	v_fma_f32 v8, -v4, v7, v6
	s_delay_alu instid0(VALU_DEP_1) | instskip(NEXT) | instid1(VALU_DEP_1)
	v_fmac_f32_e32 v7, v8, v5
	v_fma_f32 v4, -v4, v7, v6
	s_delay_alu instid0(VALU_DEP_1) | instskip(NEXT) | instid1(VALU_DEP_1)
	v_div_fmas_f32 v4, v4, v5, v7
	v_div_fixup_f32 v188, v4, v186, 1.0
	s_delay_alu instid0(VALU_DEP_1)
	v_mul_f32_e64 v189, v1, -v188
.LBB83_79:
	s_or_b32 exec_lo, exec_lo, s1
	ds_store_b64 v255, v[188:189]
.LBB83_80:
	s_or_b32 exec_lo, exec_lo, s2
	s_wait_dscnt 0x0
	s_barrier_signal -1
	s_barrier_wait -1
	ds_load_b64 v[186:187], v255
	s_mov_b32 s1, exec_lo
	v_cmpx_lt_u32_e32 8, v254
	s_cbranch_execz .LBB83_82
; %bb.81:
	ds_load_2addr_b64 v[192:195], v0 offset0:9 offset1:10
	ds_load_2addr_b64 v[196:199], v0 offset0:11 offset1:12
	;; [unrolled: 1-line block ×3, first 2 shown]
	s_wait_dscnt 0x3
	v_pk_mul_f32 v[190:191], v[186:187], v[72:73] op_sel:[1,1] op_sel_hi:[0,1]
	ds_load_2addr_b64 v[204:207], v0 offset0:15 offset1:16
	ds_load_2addr_b64 v[208:211], v0 offset0:17 offset1:18
	v_pk_fma_f32 v[188:189], v[186:187], v[72:73], v[190:191] op_sel_hi:[1,0,1] neg_lo:[0,0,1] neg_hi:[0,0,1]
	v_pk_fma_f32 v[190:191], v[186:187], v[72:73], v[190:191] op_sel_hi:[1,0,1]
	s_delay_alu instid0(VALU_DEP_1) | instskip(SKIP_1) | instid1(VALU_DEP_2)
	v_dual_mov_b32 v72, v188 :: v_dual_mov_b32 v73, v191
	s_wait_dscnt 0x4
	v_pk_mul_f32 v[212:213], v[192:193], v[190:191] op_sel:[0,1]
	v_pk_mul_f32 v[214:215], v[194:195], v[190:191] op_sel:[0,1]
	s_wait_dscnt 0x3
	v_pk_mul_f32 v[216:217], v[196:197], v[190:191] op_sel:[0,1]
	v_dual_mov_b32 v218, v199 :: v_dual_mov_b32 v219, v198
	v_dual_mul_f32 v220, v199, v191 :: v_dual_mul_f32 v222, v199, v188
	s_wait_dscnt 0x2
	v_pk_mul_f32 v[224:225], v[200:201], v[190:191] op_sel:[0,1]
	v_pk_mul_f32 v[226:227], v[202:203], v[190:191] op_sel:[0,1]
	v_pk_fma_f32 v[228:229], v[192:193], v[188:189], v[212:213] op_sel:[0,0,1] op_sel_hi:[1,1,0] neg_lo:[0,0,1] neg_hi:[0,0,1]
	v_pk_fma_f32 v[192:193], v[192:193], v[188:189], v[212:213] op_sel:[0,0,1] op_sel_hi:[1,0,0]
	v_pk_fma_f32 v[212:213], v[194:195], v[188:189], v[214:215] op_sel:[0,0,1] op_sel_hi:[1,1,0] neg_lo:[0,0,1] neg_hi:[0,0,1]
	v_pk_fma_f32 v[194:195], v[194:195], v[188:189], v[214:215] op_sel:[0,0,1] op_sel_hi:[1,0,0]
	v_pk_fma_f32 v[214:215], v[196:197], v[188:189], v[216:217] op_sel:[0,0,1] op_sel_hi:[1,1,0] neg_lo:[0,0,1] neg_hi:[0,0,1]
	v_pk_fma_f32 v[196:197], v[196:197], v[188:189], v[216:217] op_sel:[0,0,1] op_sel_hi:[1,0,0]
	v_pk_fma_f32 v[216:217], v[218:219], v[72:73], v[222:223] op_sel_hi:[1,1,0]
	v_pk_fma_f32 v[218:219], v[200:201], v[188:189], v[224:225] op_sel:[0,0,1] op_sel_hi:[1,1,0] neg_lo:[0,0,1] neg_hi:[0,0,1]
	v_pk_fma_f32 v[200:201], v[200:201], v[188:189], v[224:225] op_sel:[0,0,1] op_sel_hi:[1,0,0]
	v_dual_mov_b32 v229, v193 :: v_dual_mov_b32 v213, v195
	v_pk_fma_f32 v[192:193], v[202:203], v[188:189], v[226:227] op_sel:[0,0,1] op_sel_hi:[1,0,0]
	v_pk_fma_f32 v[198:199], v[198:199], v[72:73], v[220:221] op_sel_hi:[1,1,0] neg_lo:[0,0,1] neg_hi:[0,0,1]
	v_pk_fma_f32 v[194:195], v[202:203], v[188:189], v[226:227] op_sel:[0,0,1] op_sel_hi:[1,1,0] neg_lo:[0,0,1] neg_hi:[0,0,1]
	v_dual_mov_b32 v215, v197 :: v_dual_mov_b32 v199, v217
	s_delay_alu instid0(VALU_DEP_4)
	v_dual_mov_b32 v219, v201 :: v_dual_mov_b32 v195, v193
	s_wait_dscnt 0x1
	v_pk_mul_f32 v[196:197], v[204:205], v[190:191] op_sel:[0,1]
	v_pk_add_f32 v[70:71], v[70:71], v[212:213] neg_lo:[0,1] neg_hi:[0,1]
	v_pk_add_f32 v[98:99], v[98:99], v[198:199] neg_lo:[0,1] neg_hi:[0,1]
	;; [unrolled: 1-line block ×4, first 2 shown]
	v_pk_fma_f32 v[200:201], v[204:205], v[188:189], v[196:197] op_sel:[0,0,1] op_sel_hi:[1,0,0]
	ds_load_2addr_b64 v[192:195], v0 offset0:19 offset1:20
	v_pk_fma_f32 v[202:203], v[204:205], v[188:189], v[196:197] op_sel:[0,0,1] op_sel_hi:[1,1,0] neg_lo:[0,0,1] neg_hi:[0,0,1]
	ds_load_2addr_b64 v[196:199], v0 offset0:21 offset1:22
	v_pk_mul_f32 v[204:205], v[206:207], v[190:191] op_sel:[0,1]
	s_wait_dscnt 0x2
	v_mul_f32_e32 v200, v209, v188
	v_pk_mul_f32 v[212:213], v[210:211], v[190:191] op_sel:[0,1]
	v_pk_add_f32 v[94:95], v[94:95], v[218:219] neg_lo:[0,1] neg_hi:[0,1]
	v_pk_add_f32 v[68:69], v[68:69], v[228:229] neg_lo:[0,1] neg_hi:[0,1]
	v_pk_fma_f32 v[214:215], v[206:207], v[188:189], v[204:205] op_sel:[0,0,1] op_sel_hi:[1,0,0]
	v_mul_f32_e32 v214, v209, v191
	v_mov_b32_e32 v203, v201
	v_pk_fma_f32 v[200:201], v[208:209], v[72:73], v[200:201] op_sel:[1,0,0] op_sel_hi:[0,1,0]
	v_pk_fma_f32 v[204:205], v[206:207], v[188:189], v[204:205] op_sel:[0,0,1] op_sel_hi:[1,1,0] neg_lo:[0,0,1] neg_hi:[0,0,1]
	v_pk_fma_f32 v[206:207], v[210:211], v[188:189], v[212:213] op_sel:[0,0,1] op_sel_hi:[1,0,0]
	v_mov_b32_e32 v205, v215
	v_pk_fma_f32 v[208:209], v[208:209], v[72:73], v[214:215] op_sel_hi:[1,1,0] neg_lo:[0,0,1] neg_hi:[0,0,1]
	v_mov_b32_e32 v209, v201
	v_pk_fma_f32 v[200:201], v[210:211], v[188:189], v[212:213] op_sel:[0,0,1] op_sel_hi:[1,1,0] neg_lo:[0,0,1] neg_hi:[0,0,1]
	v_mov_b32_e32 v201, v207
	v_pk_add_f32 v[120:121], v[120:121], v[204:205] neg_lo:[0,1] neg_hi:[0,1]
	s_wait_dscnt 0x1
	v_pk_mul_f32 v[204:205], v[192:193], v[190:191] op_sel:[0,1]
	v_pk_add_f32 v[92:93], v[92:93], v[202:203] neg_lo:[0,1] neg_hi:[0,1]
	s_wait_dscnt 0x0
	v_pk_mul_f32 v[210:211], v[196:197], v[190:191] op_sel:[0,1]
	v_pk_add_f32 v[118:119], v[118:119], v[208:209] neg_lo:[0,1] neg_hi:[0,1]
	v_pk_add_f32 v[90:91], v[90:91], v[200:201] neg_lo:[0,1] neg_hi:[0,1]
	v_pk_mul_f32 v[208:209], v[194:195], v[190:191] op_sel:[0,1]
	ds_load_2addr_b64 v[200:203], v0 offset0:23 offset1:24
	v_pk_fma_f32 v[212:213], v[192:193], v[188:189], v[204:205] op_sel:[0,0,1] op_sel_hi:[1,0,0]
	v_pk_fma_f32 v[192:193], v[192:193], v[188:189], v[204:205] op_sel:[0,0,1] op_sel_hi:[1,1,0] neg_lo:[0,0,1] neg_hi:[0,0,1]
	ds_load_2addr_b64 v[204:207], v0 offset0:25 offset1:26
	v_pk_fma_f32 v[216:217], v[196:197], v[188:189], v[210:211] op_sel:[0,0,1] op_sel_hi:[1,0,0]
	v_pk_fma_f32 v[196:197], v[196:197], v[188:189], v[210:211] op_sel:[0,0,1] op_sel_hi:[1,1,0] neg_lo:[0,0,1] neg_hi:[0,0,1]
	v_pk_fma_f32 v[214:215], v[194:195], v[188:189], v[208:209] op_sel:[0,0,1] op_sel_hi:[1,0,0]
	v_pk_fma_f32 v[194:195], v[194:195], v[188:189], v[208:209] op_sel:[0,0,1] op_sel_hi:[1,1,0] neg_lo:[0,0,1] neg_hi:[0,0,1]
	s_delay_alu instid0(VALU_DEP_4) | instskip(SKIP_1) | instid1(VALU_DEP_4)
	v_dual_mov_b32 v208, v199 :: v_dual_mov_b32 v197, v217
	v_dual_mov_b32 v209, v198 :: v_dual_mul_f32 v210, v199, v188
	v_dual_mov_b32 v193, v213 :: v_dual_mov_b32 v195, v215
	s_delay_alu instid0(VALU_DEP_3) | instskip(NEXT) | instid1(VALU_DEP_3)
	v_pk_add_f32 v[78:79], v[78:79], v[196:197] neg_lo:[0,1] neg_hi:[0,1]
	v_pk_fma_f32 v[196:197], v[208:209], v[72:73], v[210:211] op_sel_hi:[1,1,0]
	v_mul_f32_e32 v212, v199, v191
	s_delay_alu instid0(VALU_DEP_4)
	v_pk_add_f32 v[116:117], v[116:117], v[192:193] neg_lo:[0,1] neg_hi:[0,1]
	v_pk_add_f32 v[138:139], v[138:139], v[194:195] neg_lo:[0,1] neg_hi:[0,1]
	ds_load_2addr_b64 v[192:195], v0 offset0:27 offset1:28
	s_wait_dscnt 0x2
	v_pk_mul_f32 v[210:211], v[200:201], v[190:191] op_sel:[0,1]
	v_pk_fma_f32 v[208:209], v[198:199], v[72:73], v[212:213] op_sel_hi:[1,1,0] neg_lo:[0,0,1] neg_hi:[0,0,1]
	v_mov_b32_e32 v209, v197
	ds_load_2addr_b64 v[196:199], v0 offset0:29 offset1:30
	v_pk_mul_f32 v[212:213], v[202:203], v[190:191] op_sel:[0,1]
	s_wait_dscnt 0x2
	v_pk_mul_f32 v[214:215], v[204:205], v[190:191] op_sel:[0,1]
	v_pk_fma_f32 v[216:217], v[200:201], v[188:189], v[210:211] op_sel:[0,0,1] op_sel_hi:[1,0,0]
	v_pk_fma_f32 v[200:201], v[200:201], v[188:189], v[210:211] op_sel:[0,0,1] op_sel_hi:[1,1,0] neg_lo:[0,0,1] neg_hi:[0,0,1]
	v_pk_add_f32 v[80:81], v[80:81], v[208:209] neg_lo:[0,1] neg_hi:[0,1]
	v_pk_fma_f32 v[218:219], v[202:203], v[188:189], v[212:213] op_sel:[0,0,1] op_sel_hi:[1,0,0]
	v_pk_fma_f32 v[210:211], v[204:205], v[188:189], v[214:215] op_sel:[0,0,1] op_sel_hi:[1,0,0]
	v_pk_fma_f32 v[202:203], v[202:203], v[188:189], v[212:213] op_sel:[0,0,1] op_sel_hi:[1,1,0] neg_lo:[0,0,1] neg_hi:[0,0,1]
	v_pk_fma_f32 v[204:205], v[204:205], v[188:189], v[214:215] op_sel:[0,0,1] op_sel_hi:[1,1,0] neg_lo:[0,0,1] neg_hi:[0,0,1]
	s_delay_alu instid0(VALU_DEP_4) | instskip(NEXT) | instid1(VALU_DEP_4)
	v_dual_mov_b32 v201, v217 :: v_dual_mov_b32 v203, v219
	v_mov_b32_e32 v205, v211
	v_pk_mul_f32 v[210:211], v[206:207], v[190:191] op_sel:[0,1]
	s_delay_alu instid0(VALU_DEP_3) | instskip(NEXT) | instid1(VALU_DEP_4)
	v_pk_add_f32 v[76:77], v[76:77], v[200:201] neg_lo:[0,1] neg_hi:[0,1]
	v_pk_add_f32 v[106:107], v[106:107], v[202:203] neg_lo:[0,1] neg_hi:[0,1]
	s_delay_alu instid0(VALU_DEP_4) | instskip(NEXT) | instid1(VALU_DEP_4)
	v_pk_add_f32 v[102:103], v[102:103], v[204:205] neg_lo:[0,1] neg_hi:[0,1]
	v_pk_fma_f32 v[204:205], v[206:207], v[188:189], v[210:211] op_sel:[0,0,1] op_sel_hi:[1,1,0] neg_lo:[0,0,1] neg_hi:[0,0,1]
	v_pk_fma_f32 v[206:207], v[206:207], v[188:189], v[210:211] op_sel:[0,0,1] op_sel_hi:[1,0,0]
	ds_load_2addr_b64 v[200:203], v0 offset0:31 offset1:32
	s_wait_dscnt 0x2
	v_dual_mul_f32 v206, v193, v188 :: v_dual_mul_f32 v208, v193, v191
	s_wait_dscnt 0x1
	v_pk_mul_f32 v[212:213], v[196:197], v[190:191] op_sel:[0,1]
	v_pk_mul_f32 v[210:211], v[194:195], v[190:191] op_sel:[0,1]
	v_mov_b32_e32 v205, v207
	v_pk_fma_f32 v[214:215], v[192:193], v[72:73], v[206:207] op_sel:[1,0,0] op_sel_hi:[0,1,0]
	v_pk_fma_f32 v[208:209], v[192:193], v[72:73], v[208:209] op_sel_hi:[1,1,0] neg_lo:[0,0,1] neg_hi:[0,0,1]
	v_pk_fma_f32 v[192:193], v[196:197], v[188:189], v[212:213] op_sel:[0,0,1] op_sel_hi:[1,0,0]
	v_pk_fma_f32 v[196:197], v[196:197], v[188:189], v[212:213] op_sel:[0,0,1] op_sel_hi:[1,1,0] neg_lo:[0,0,1] neg_hi:[0,0,1]
	v_pk_fma_f32 v[206:207], v[194:195], v[188:189], v[210:211] op_sel:[0,0,1] op_sel_hi:[1,0,0]
	v_pk_fma_f32 v[210:211], v[194:195], v[188:189], v[210:211] op_sel:[0,0,1] op_sel_hi:[1,1,0] neg_lo:[0,0,1] neg_hi:[0,0,1]
	s_delay_alu instid0(VALU_DEP_4)
	v_dual_mov_b32 v209, v215 :: v_dual_mov_b32 v197, v193
	ds_load_2addr_b64 v[192:195], v0 offset0:33 offset1:34
	v_mov_b32_e32 v211, v207
	v_pk_mul_f32 v[206:207], v[198:199], v[190:191] op_sel:[0,1]
	v_pk_add_f32 v[100:101], v[100:101], v[208:209] neg_lo:[0,1] neg_hi:[0,1]
	v_pk_add_f32 v[104:105], v[104:105], v[204:205] neg_lo:[0,1] neg_hi:[0,1]
	s_wait_dscnt 0x1
	v_pk_mul_f32 v[208:209], v[200:201], v[190:191] op_sel:[0,1]
	v_pk_fma_f32 v[204:205], v[198:199], v[188:189], v[206:207] op_sel:[0,0,1] op_sel_hi:[1,1,0] neg_lo:[0,0,1] neg_hi:[0,0,1]
	v_pk_fma_f32 v[206:207], v[198:199], v[188:189], v[206:207] op_sel:[0,0,1] op_sel_hi:[1,0,0]
	v_pk_add_f32 v[128:129], v[128:129], v[210:211] neg_lo:[0,1] neg_hi:[0,1]
	v_mov_b32_e32 v210, v203
	v_pk_fma_f32 v[212:213], v[200:201], v[188:189], v[208:209] op_sel:[0,0,1] op_sel_hi:[1,0,0]
	v_pk_add_f32 v[124:125], v[124:125], v[196:197] neg_lo:[0,1] neg_hi:[0,1]
	v_dual_mov_b32 v211, v202 :: v_dual_mul_f32 v206, v203, v188
	ds_load_2addr_b64 v[196:199], v0 offset0:35 offset1:36
	v_mul_f32_e32 v212, v203, v191
	v_pk_fma_f32 v[208:209], v[200:201], v[188:189], v[208:209] op_sel:[0,0,1] op_sel_hi:[1,1,0] neg_lo:[0,0,1] neg_hi:[0,0,1]
	v_mov_b32_e32 v205, v207
	v_pk_fma_f32 v[206:207], v[210:211], v[72:73], v[206:207] op_sel_hi:[1,1,0]
	v_mov_b32_e32 v209, v213
	v_pk_fma_f32 v[210:211], v[202:203], v[72:73], v[212:213] op_sel_hi:[1,1,0] neg_lo:[0,0,1] neg_hi:[0,0,1]
	s_wait_dscnt 0x1
	v_pk_mul_f32 v[212:213], v[192:193], v[190:191] op_sel:[0,1]
	ds_load_2addr_b64 v[200:203], v0 offset0:37 offset1:38
	v_mov_b32_e32 v211, v207
	v_pk_add_f32 v[126:127], v[126:127], v[204:205] neg_lo:[0,1] neg_hi:[0,1]
	v_pk_mul_f32 v[204:205], v[194:195], v[190:191] op_sel:[0,1]
	v_pk_fma_f32 v[206:207], v[192:193], v[188:189], v[212:213] op_sel:[0,0,1] op_sel_hi:[1,0,0]
	v_pk_add_f32 v[122:123], v[122:123], v[208:209] neg_lo:[0,1] neg_hi:[0,1]
	v_pk_fma_f32 v[208:209], v[192:193], v[188:189], v[212:213] op_sel:[0,0,1] op_sel_hi:[1,1,0] neg_lo:[0,0,1] neg_hi:[0,0,1]
	v_pk_add_f32 v[148:149], v[148:149], v[210:211] neg_lo:[0,1] neg_hi:[0,1]
	v_pk_fma_f32 v[210:211], v[194:195], v[188:189], v[204:205] op_sel:[0,0,1] op_sel_hi:[1,0,0]
	v_mov_b32_e32 v209, v207
	v_pk_fma_f32 v[204:205], v[194:195], v[188:189], v[204:205] op_sel:[0,0,1] op_sel_hi:[1,1,0] neg_lo:[0,0,1] neg_hi:[0,0,1]
	ds_load_2addr_b64 v[192:195], v0 offset0:39 offset1:40
	s_wait_dscnt 0x2
	v_pk_mul_f32 v[206:207], v[196:197], v[190:191] op_sel:[0,1]
	v_mov_b32_e32 v205, v211
	v_pk_add_f32 v[144:145], v[144:145], v[208:209] neg_lo:[0,1] neg_hi:[0,1]
	ds_load_b64 v[208:209], v0 offset:328
	v_pk_mul_f32 v[210:211], v[198:199], v[190:191] op_sel:[0,1]
	v_pk_fma_f32 v[212:213], v[196:197], v[188:189], v[206:207] op_sel:[0,0,1] op_sel_hi:[1,0,0]
	v_pk_add_f32 v[146:147], v[146:147], v[204:205] neg_lo:[0,1] neg_hi:[0,1]
	v_pk_fma_f32 v[196:197], v[196:197], v[188:189], v[206:207] op_sel:[0,0,1] op_sel_hi:[1,1,0] neg_lo:[0,0,1] neg_hi:[0,0,1]
	s_wait_dscnt 0x2
	v_mul_f32_e32 v206, v201, v191
	v_pk_fma_f32 v[204:205], v[198:199], v[188:189], v[210:211] op_sel:[0,0,1] op_sel_hi:[1,0,0]
	v_mul_f32_e32 v204, v201, v188
	v_mov_b32_e32 v197, v213
	v_pk_fma_f32 v[198:199], v[198:199], v[188:189], v[210:211] op_sel:[0,0,1] op_sel_hi:[1,1,0] neg_lo:[0,0,1] neg_hi:[0,0,1]
	s_delay_alu instid0(VALU_DEP_4) | instskip(NEXT) | instid1(VALU_DEP_4)
	v_mov_b32_e32 v199, v205
	v_pk_fma_f32 v[204:205], v[200:201], v[72:73], v[204:205] op_sel:[1,0,0] op_sel_hi:[0,1,0]
	s_delay_alu instid0(VALU_DEP_4) | instskip(SKIP_1) | instid1(VALU_DEP_4)
	v_pk_add_f32 v[142:143], v[142:143], v[196:197] neg_lo:[0,1] neg_hi:[0,1]
	v_pk_mul_f32 v[196:197], v[202:203], v[190:191] op_sel:[0,1]
	v_pk_add_f32 v[164:165], v[164:165], v[198:199] neg_lo:[0,1] neg_hi:[0,1]
	v_pk_fma_f32 v[198:199], v[200:201], v[72:73], v[206:207] op_sel_hi:[1,1,0] neg_lo:[0,0,1] neg_hi:[0,0,1]
	v_mov_b32_e32 v199, v205
	s_wait_dscnt 0x1
	v_pk_mul_f32 v[200:201], v[192:193], v[190:191] op_sel:[0,1]
	v_pk_fma_f32 v[204:205], v[202:203], v[188:189], v[196:197] op_sel:[0,0,1] op_sel_hi:[1,0,0]
	v_pk_mul_f32 v[206:207], v[194:195], v[190:191] op_sel:[0,1]
	s_wait_dscnt 0x0
	v_pk_mul_f32 v[190:191], v[208:209], v[190:191] op_sel:[0,1]
	v_pk_fma_f32 v[196:197], v[202:203], v[188:189], v[196:197] op_sel:[0,0,1] op_sel_hi:[1,1,0] neg_lo:[0,0,1] neg_hi:[0,0,1]
	v_pk_fma_f32 v[202:203], v[192:193], v[188:189], v[200:201] op_sel:[0,0,1] op_sel_hi:[1,0,0]
	v_mov_b32_e32 v197, v205
	v_pk_fma_f32 v[204:205], v[194:195], v[188:189], v[206:207] op_sel:[0,0,1] op_sel_hi:[1,0,0]
	v_pk_fma_f32 v[192:193], v[192:193], v[188:189], v[200:201] op_sel:[0,0,1] op_sel_hi:[1,1,0] neg_lo:[0,0,1] neg_hi:[0,0,1]
	v_pk_fma_f32 v[200:201], v[208:209], v[188:189], v[190:191] op_sel:[0,0,1] op_sel_hi:[1,0,0]
	v_pk_fma_f32 v[194:195], v[194:195], v[188:189], v[206:207] op_sel:[0,0,1] op_sel_hi:[1,1,0] neg_lo:[0,0,1] neg_hi:[0,0,1]
	v_pk_fma_f32 v[188:189], v[208:209], v[188:189], v[190:191] op_sel:[0,0,1] op_sel_hi:[1,1,0] neg_lo:[0,0,1] neg_hi:[0,0,1]
	v_dual_mov_b32 v193, v203 :: v_dual_mov_b32 v195, v205
	s_delay_alu instid0(VALU_DEP_4) | instskip(SKIP_2) | instid1(VALU_DEP_4)
	v_mov_b32_e32 v189, v201
	v_pk_add_f32 v[160:161], v[160:161], v[198:199] neg_lo:[0,1] neg_hi:[0,1]
	v_pk_add_f32 v[162:163], v[162:163], v[196:197] neg_lo:[0,1] neg_hi:[0,1]
	;; [unrolled: 1-line block ×5, first 2 shown]
.LBB83_82:
	s_or_b32 exec_lo, exec_lo, s1
	s_delay_alu instid0(SALU_CYCLE_1)
	s_mov_b32 s2, exec_lo
	s_wait_dscnt 0x0
	s_barrier_signal -1
	s_barrier_wait -1
	v_cmpx_eq_u32_e32 9, v254
	s_cbranch_execz .LBB83_89
; %bb.83:
	v_dual_mov_b32 v188, v70 :: v_dual_mov_b32 v189, v71
	v_dual_mov_b32 v190, v52 :: v_dual_mov_b32 v191, v53
	;; [unrolled: 1-line block ×8, first 2 shown]
	ds_store_b64 v255, v[68:69]
	ds_store_2addr_b64 v0, v[188:189], v[190:191] offset0:10 offset1:11
	ds_store_2addr_b64 v0, v[192:193], v[194:195] offset0:12 offset1:13
	;; [unrolled: 1-line block ×4, first 2 shown]
	v_dual_mov_b32 v188, v90 :: v_dual_mov_b32 v189, v91
	v_dual_mov_b32 v190, v116 :: v_dual_mov_b32 v191, v117
	;; [unrolled: 1-line block ×12, first 2 shown]
	ds_store_2addr_b64 v0, v[188:189], v[190:191] offset0:18 offset1:19
	ds_store_2addr_b64 v0, v[192:193], v[194:195] offset0:20 offset1:21
	;; [unrolled: 1-line block ×6, first 2 shown]
	v_dual_mov_b32 v188, v126 :: v_dual_mov_b32 v189, v127
	v_dual_mov_b32 v190, v122 :: v_dual_mov_b32 v191, v123
	;; [unrolled: 1-line block ×11, first 2 shown]
	ds_store_2addr_b64 v0, v[188:189], v[190:191] offset0:30 offset1:31
	ds_store_2addr_b64 v0, v[192:193], v[194:195] offset0:32 offset1:33
	;; [unrolled: 1-line block ×6, first 2 shown]
	ds_load_b64 v[188:189], v255
	s_wait_dscnt 0x0
	v_cmp_neq_f32_e32 vcc_lo, 0, v188
	v_cmp_neq_f32_e64 s1, 0, v189
	s_or_b32 s1, vcc_lo, s1
	s_delay_alu instid0(SALU_CYCLE_1)
	s_and_b32 exec_lo, exec_lo, s1
	s_cbranch_execz .LBB83_89
; %bb.84:
	v_cmp_ngt_f32_e64 s1, |v188|, |v189|
                                        ; implicit-def: $vgpr190_vgpr191
	s_and_saveexec_b32 s4, s1
	s_delay_alu instid0(SALU_CYCLE_1)
	s_xor_b32 s1, exec_lo, s4
	s_cbranch_execz .LBB83_86
; %bb.85:
	v_div_scale_f32 v1, null, v189, v189, v188
	v_div_scale_f32 v6, vcc_lo, v188, v189, v188
	s_delay_alu instid0(VALU_DEP_2) | instskip(SKIP_1) | instid1(TRANS32_DEP_1)
	v_rcp_f32_e32 v4, v1
	v_nop
	v_fma_f32 v5, -v1, v4, 1.0
	s_delay_alu instid0(VALU_DEP_1) | instskip(NEXT) | instid1(VALU_DEP_1)
	v_fmac_f32_e32 v4, v5, v4
	v_mul_f32_e32 v5, v6, v4
	s_delay_alu instid0(VALU_DEP_1) | instskip(NEXT) | instid1(VALU_DEP_1)
	v_fma_f32 v7, -v1, v5, v6
	v_fmac_f32_e32 v5, v7, v4
	s_delay_alu instid0(VALU_DEP_1) | instskip(NEXT) | instid1(VALU_DEP_1)
	v_fma_f32 v1, -v1, v5, v6
	v_div_fmas_f32 v1, v1, v4, v5
	s_delay_alu instid0(VALU_DEP_1) | instskip(NEXT) | instid1(VALU_DEP_1)
	v_div_fixup_f32 v1, v1, v189, v188
	v_fmac_f32_e32 v189, v188, v1
	s_delay_alu instid0(VALU_DEP_1) | instskip(SKIP_1) | instid1(VALU_DEP_2)
	v_div_scale_f32 v4, null, v189, v189, 1.0
	v_div_scale_f32 v7, vcc_lo, 1.0, v189, 1.0
	v_rcp_f32_e32 v5, v4
	v_nop
	s_delay_alu instid0(TRANS32_DEP_1) | instskip(NEXT) | instid1(VALU_DEP_1)
	v_fma_f32 v6, -v4, v5, 1.0
	v_fmac_f32_e32 v5, v6, v5
	s_delay_alu instid0(VALU_DEP_1) | instskip(NEXT) | instid1(VALU_DEP_1)
	v_mul_f32_e32 v6, v7, v5
	v_fma_f32 v8, -v4, v6, v7
	s_delay_alu instid0(VALU_DEP_1) | instskip(NEXT) | instid1(VALU_DEP_1)
	v_fmac_f32_e32 v6, v8, v5
	v_fma_f32 v4, -v4, v6, v7
	s_delay_alu instid0(VALU_DEP_1) | instskip(NEXT) | instid1(VALU_DEP_1)
	v_div_fmas_f32 v4, v4, v5, v6
	v_div_fixup_f32 v4, v4, v189, 1.0
                                        ; implicit-def: $vgpr188_vgpr189
	s_delay_alu instid0(VALU_DEP_1)
	v_mul_f32_e32 v190, v1, v4
	v_xor_b32_e32 v191, 0x80000000, v4
.LBB83_86:
	s_and_not1_saveexec_b32 s1, s1
	s_cbranch_execz .LBB83_88
; %bb.87:
	v_div_scale_f32 v1, null, v188, v188, v189
	v_div_scale_f32 v6, vcc_lo, v189, v188, v189
	s_delay_alu instid0(VALU_DEP_2) | instskip(SKIP_1) | instid1(TRANS32_DEP_1)
	v_rcp_f32_e32 v4, v1
	v_nop
	v_fma_f32 v5, -v1, v4, 1.0
	s_delay_alu instid0(VALU_DEP_1) | instskip(NEXT) | instid1(VALU_DEP_1)
	v_fmac_f32_e32 v4, v5, v4
	v_mul_f32_e32 v5, v6, v4
	s_delay_alu instid0(VALU_DEP_1) | instskip(NEXT) | instid1(VALU_DEP_1)
	v_fma_f32 v7, -v1, v5, v6
	v_fmac_f32_e32 v5, v7, v4
	s_delay_alu instid0(VALU_DEP_1) | instskip(NEXT) | instid1(VALU_DEP_1)
	v_fma_f32 v1, -v1, v5, v6
	v_div_fmas_f32 v1, v1, v4, v5
	s_delay_alu instid0(VALU_DEP_1) | instskip(NEXT) | instid1(VALU_DEP_1)
	v_div_fixup_f32 v1, v1, v188, v189
	v_fmac_f32_e32 v188, v189, v1
	s_delay_alu instid0(VALU_DEP_1) | instskip(NEXT) | instid1(VALU_DEP_1)
	v_div_scale_f32 v4, null, v188, v188, 1.0
	v_rcp_f32_e32 v5, v4
	v_nop
	s_delay_alu instid0(TRANS32_DEP_1) | instskip(NEXT) | instid1(VALU_DEP_1)
	v_fma_f32 v6, -v4, v5, 1.0
	v_fmac_f32_e32 v5, v6, v5
	v_div_scale_f32 v6, vcc_lo, 1.0, v188, 1.0
	s_delay_alu instid0(VALU_DEP_1) | instskip(NEXT) | instid1(VALU_DEP_1)
	v_mul_f32_e32 v7, v6, v5
	v_fma_f32 v8, -v4, v7, v6
	s_delay_alu instid0(VALU_DEP_1) | instskip(NEXT) | instid1(VALU_DEP_1)
	v_fmac_f32_e32 v7, v8, v5
	v_fma_f32 v4, -v4, v7, v6
	s_delay_alu instid0(VALU_DEP_1) | instskip(NEXT) | instid1(VALU_DEP_1)
	v_div_fmas_f32 v4, v4, v5, v7
	v_div_fixup_f32 v190, v4, v188, 1.0
	s_delay_alu instid0(VALU_DEP_1)
	v_mul_f32_e64 v191, v1, -v190
.LBB83_88:
	s_or_b32 exec_lo, exec_lo, s1
	ds_store_b64 v255, v[190:191]
.LBB83_89:
	s_or_b32 exec_lo, exec_lo, s2
	s_wait_dscnt 0x0
	s_barrier_signal -1
	s_barrier_wait -1
	ds_load_b64 v[188:189], v255
	s_mov_b32 s1, exec_lo
	v_cmpx_lt_u32_e32 9, v254
	s_cbranch_execz .LBB83_91
; %bb.90:
	ds_load_2addr_b64 v[194:197], v0 offset0:10 offset1:11
	ds_load_2addr_b64 v[198:201], v0 offset0:12 offset1:13
	;; [unrolled: 1-line block ×3, first 2 shown]
	s_wait_dscnt 0x3
	v_pk_mul_f32 v[192:193], v[188:189], v[68:69] op_sel:[1,1] op_sel_hi:[0,1]
	ds_load_2addr_b64 v[206:209], v0 offset0:16 offset1:17
	ds_load_2addr_b64 v[210:213], v0 offset0:18 offset1:19
	v_pk_fma_f32 v[190:191], v[188:189], v[68:69], v[192:193] op_sel_hi:[1,0,1] neg_lo:[0,0,1] neg_hi:[0,0,1]
	v_pk_fma_f32 v[192:193], v[188:189], v[68:69], v[192:193] op_sel_hi:[1,0,1]
	s_delay_alu instid0(VALU_DEP_1) | instskip(SKIP_1) | instid1(VALU_DEP_2)
	v_dual_mov_b32 v68, v190 :: v_dual_mov_b32 v69, v193
	s_wait_dscnt 0x4
	v_pk_mul_f32 v[214:215], v[194:195], v[192:193] op_sel:[0,1]
	v_pk_mul_f32 v[216:217], v[196:197], v[192:193] op_sel:[0,1]
	s_wait_dscnt 0x3
	v_pk_mul_f32 v[218:219], v[198:199], v[192:193] op_sel:[0,1]
	v_dual_mov_b32 v220, v201 :: v_dual_mov_b32 v221, v200
	v_dual_mul_f32 v222, v201, v193 :: v_dual_mul_f32 v224, v201, v190
	s_wait_dscnt 0x2
	v_pk_mul_f32 v[226:227], v[202:203], v[192:193] op_sel:[0,1]
	v_pk_mul_f32 v[228:229], v[204:205], v[192:193] op_sel:[0,1]
	v_pk_fma_f32 v[230:231], v[194:195], v[190:191], v[214:215] op_sel:[0,0,1] op_sel_hi:[1,1,0] neg_lo:[0,0,1] neg_hi:[0,0,1]
	v_pk_fma_f32 v[194:195], v[194:195], v[190:191], v[214:215] op_sel:[0,0,1] op_sel_hi:[1,0,0]
	v_pk_fma_f32 v[214:215], v[196:197], v[190:191], v[216:217] op_sel:[0,0,1] op_sel_hi:[1,1,0] neg_lo:[0,0,1] neg_hi:[0,0,1]
	v_pk_fma_f32 v[196:197], v[196:197], v[190:191], v[216:217] op_sel:[0,0,1] op_sel_hi:[1,0,0]
	v_pk_fma_f32 v[216:217], v[198:199], v[190:191], v[218:219] op_sel:[0,0,1] op_sel_hi:[1,1,0] neg_lo:[0,0,1] neg_hi:[0,0,1]
	v_pk_fma_f32 v[198:199], v[198:199], v[190:191], v[218:219] op_sel:[0,0,1] op_sel_hi:[1,0,0]
	v_pk_fma_f32 v[218:219], v[220:221], v[68:69], v[224:225] op_sel_hi:[1,1,0]
	v_pk_fma_f32 v[220:221], v[202:203], v[190:191], v[226:227] op_sel:[0,0,1] op_sel_hi:[1,0,0]
	v_dual_mov_b32 v231, v195 :: v_dual_mov_b32 v215, v197
	v_pk_fma_f32 v[194:195], v[204:205], v[190:191], v[228:229] op_sel:[0,0,1] op_sel_hi:[1,0,0]
	v_pk_fma_f32 v[200:201], v[200:201], v[68:69], v[222:223] op_sel_hi:[1,1,0] neg_lo:[0,0,1] neg_hi:[0,0,1]
	v_dual_mov_b32 v217, v199 :: v_dual_mov_b32 v201, v219
	v_pk_fma_f32 v[198:199], v[202:203], v[190:191], v[226:227] op_sel:[0,0,1] op_sel_hi:[1,1,0] neg_lo:[0,0,1] neg_hi:[0,0,1]
	v_pk_fma_f32 v[202:203], v[204:205], v[190:191], v[228:229] op_sel:[0,0,1] op_sel_hi:[1,1,0] neg_lo:[0,0,1] neg_hi:[0,0,1]
	s_wait_dscnt 0x1
	v_pk_mul_f32 v[204:205], v[206:207], v[192:193] op_sel:[0,1]
	v_dual_mov_b32 v199, v221 :: v_dual_mov_b32 v203, v195
	ds_load_2addr_b64 v[194:197], v0 offset0:20 offset1:21
	v_pk_add_f32 v[52:53], v[52:53], v[214:215] neg_lo:[0,1] neg_hi:[0,1]
	v_pk_mul_f32 v[214:215], v[208:209], v[192:193] op_sel:[0,1]
	v_pk_add_f32 v[94:95], v[94:95], v[200:201] neg_lo:[0,1] neg_hi:[0,1]
	v_pk_fma_f32 v[200:201], v[206:207], v[190:191], v[204:205] op_sel:[0,0,1] op_sel_hi:[1,0,0]
	v_pk_add_f32 v[92:93], v[92:93], v[202:203] neg_lo:[0,1] neg_hi:[0,1]
	v_pk_fma_f32 v[202:203], v[206:207], v[190:191], v[204:205] op_sel:[0,0,1] op_sel_hi:[1,1,0] neg_lo:[0,0,1] neg_hi:[0,0,1]
	v_pk_add_f32 v[96:97], v[96:97], v[198:199] neg_lo:[0,1] neg_hi:[0,1]
	v_pk_fma_f32 v[198:199], v[208:209], v[190:191], v[214:215] op_sel:[0,0,1] op_sel_hi:[1,0,0]
	s_wait_dscnt 0x1
	v_dual_mov_b32 v203, v201 :: v_dual_mul_f32 v204, v211, v190
	v_pk_fma_f32 v[206:207], v[208:209], v[190:191], v[214:215] op_sel:[0,0,1] op_sel_hi:[1,1,0] neg_lo:[0,0,1] neg_hi:[0,0,1]
	v_pk_add_f32 v[98:99], v[98:99], v[216:217] neg_lo:[0,1] neg_hi:[0,1]
	v_mov_b32_e32 v207, v199
	ds_load_2addr_b64 v[198:201], v0 offset0:22 offset1:23
	v_pk_fma_f32 v[204:205], v[210:211], v[68:69], v[204:205] op_sel:[1,0,0] op_sel_hi:[0,1,0]
	v_mul_f32_e32 v208, v211, v193
	v_pk_mul_f32 v[214:215], v[212:213], v[192:193] op_sel:[0,1]
	v_pk_add_f32 v[118:119], v[118:119], v[206:207] neg_lo:[0,1] neg_hi:[0,1]
	v_pk_add_f32 v[120:121], v[120:121], v[202:203] neg_lo:[0,1] neg_hi:[0,1]
	s_wait_dscnt 0x1
	v_pk_mul_f32 v[216:217], v[196:197], v[192:193] op_sel:[0,1]
	v_pk_fma_f32 v[206:207], v[210:211], v[68:69], v[208:209] op_sel_hi:[1,1,0] neg_lo:[0,0,1] neg_hi:[0,0,1]
	v_mov_b32_e32 v207, v205
	v_pk_mul_f32 v[208:209], v[194:195], v[192:193] op_sel:[0,1]
	ds_load_2addr_b64 v[202:205], v0 offset0:24 offset1:25
	v_pk_fma_f32 v[210:211], v[212:213], v[190:191], v[214:215] op_sel:[0,0,1] op_sel_hi:[1,0,0]
	v_pk_fma_f32 v[212:213], v[212:213], v[190:191], v[214:215] op_sel:[0,0,1] op_sel_hi:[1,1,0] neg_lo:[0,0,1] neg_hi:[0,0,1]
	v_pk_add_f32 v[90:91], v[90:91], v[206:207] neg_lo:[0,1] neg_hi:[0,1]
	v_pk_fma_f32 v[206:207], v[194:195], v[190:191], v[208:209] op_sel:[0,0,1] op_sel_hi:[1,0,0]
	v_pk_fma_f32 v[194:195], v[194:195], v[190:191], v[208:209] op_sel:[0,0,1] op_sel_hi:[1,1,0] neg_lo:[0,0,1] neg_hi:[0,0,1]
	v_pk_fma_f32 v[214:215], v[196:197], v[190:191], v[216:217] op_sel:[0,0,1] op_sel_hi:[1,0,0]
	v_mov_b32_e32 v213, v211
	v_pk_add_f32 v[70:71], v[70:71], v[230:231] neg_lo:[0,1] neg_hi:[0,1]
	v_mov_b32_e32 v195, v207
	v_pk_fma_f32 v[206:207], v[196:197], v[190:191], v[216:217] op_sel:[0,0,1] op_sel_hi:[1,1,0] neg_lo:[0,0,1] neg_hi:[0,0,1]
	v_mov_b32_e32 v207, v215
	s_wait_dscnt 0x1
	v_pk_mul_f32 v[210:211], v[198:199], v[192:193] op_sel:[0,1]
	v_pk_add_f32 v[116:117], v[116:117], v[212:213] neg_lo:[0,1] neg_hi:[0,1]
	v_pk_add_f32 v[138:139], v[138:139], v[194:195] neg_lo:[0,1] neg_hi:[0,1]
	ds_load_2addr_b64 v[194:197], v0 offset0:26 offset1:27
	v_pk_add_f32 v[78:79], v[78:79], v[206:207] neg_lo:[0,1] neg_hi:[0,1]
	v_pk_fma_f32 v[212:213], v[198:199], v[190:191], v[210:211] op_sel:[0,0,1] op_sel_hi:[1,0,0]
	ds_load_2addr_b64 v[206:209], v0 offset0:28 offset1:29
	v_dual_mov_b32 v214, v201 :: v_dual_mov_b32 v215, v200
	v_dual_mul_f32 v212, v201, v190 :: v_dual_mul_f32 v216, v201, v193
	s_wait_dscnt 0x2
	v_pk_mul_f32 v[218:219], v[202:203], v[192:193] op_sel:[0,1]
	v_pk_fma_f32 v[198:199], v[198:199], v[190:191], v[210:211] op_sel:[0,0,1] op_sel_hi:[1,1,0] neg_lo:[0,0,1] neg_hi:[0,0,1]
	s_delay_alu instid0(VALU_DEP_3)
	v_pk_fma_f32 v[210:211], v[214:215], v[68:69], v[212:213] op_sel_hi:[1,1,0]
	v_mov_b32_e32 v199, v213
	v_pk_mul_f32 v[214:215], v[204:205], v[192:193] op_sel:[0,1]
	v_pk_fma_f32 v[212:213], v[202:203], v[190:191], v[218:219] op_sel:[0,0,1] op_sel_hi:[1,0,0]
	v_pk_fma_f32 v[200:201], v[200:201], v[68:69], v[216:217] op_sel_hi:[1,1,0] neg_lo:[0,0,1] neg_hi:[0,0,1]
	v_mov_b32_e32 v201, v211
	v_pk_add_f32 v[80:81], v[80:81], v[198:199] neg_lo:[0,1] neg_hi:[0,1]
	v_pk_fma_f32 v[198:199], v[204:205], v[190:191], v[214:215] op_sel:[0,0,1] op_sel_hi:[1,0,0]
	v_pk_fma_f32 v[202:203], v[202:203], v[190:191], v[218:219] op_sel:[0,0,1] op_sel_hi:[1,1,0] neg_lo:[0,0,1] neg_hi:[0,0,1]
	s_wait_dscnt 0x1
	v_pk_mul_f32 v[210:211], v[194:195], v[192:193] op_sel:[0,1]
	v_mov_b32_e32 v203, v213
	v_pk_fma_f32 v[212:213], v[204:205], v[190:191], v[214:215] op_sel:[0,0,1] op_sel_hi:[1,1,0] neg_lo:[0,0,1] neg_hi:[0,0,1]
	v_pk_add_f32 v[76:77], v[76:77], v[200:201] neg_lo:[0,1] neg_hi:[0,1]
	v_mov_b32_e32 v213, v199
	ds_load_2addr_b64 v[198:201], v0 offset0:30 offset1:31
	v_pk_mul_f32 v[216:217], v[196:197], v[192:193] op_sel:[0,1]
	v_pk_fma_f32 v[214:215], v[194:195], v[190:191], v[210:211] op_sel:[0,0,1] op_sel_hi:[1,0,0]
	s_wait_dscnt 0x1
	v_mul_f32_e32 v214, v207, v190
	v_pk_add_f32 v[106:107], v[106:107], v[202:203] neg_lo:[0,1] neg_hi:[0,1]
	ds_load_2addr_b64 v[202:205], v0 offset0:32 offset1:33
	v_pk_fma_f32 v[194:195], v[194:195], v[190:191], v[210:211] op_sel:[0,0,1] op_sel_hi:[1,1,0] neg_lo:[0,0,1] neg_hi:[0,0,1]
	v_pk_fma_f32 v[210:211], v[196:197], v[190:191], v[216:217] op_sel:[0,0,1] op_sel_hi:[1,0,0]
	v_mul_f32_e32 v210, v207, v193
	v_mov_b32_e32 v195, v215
	v_pk_fma_f32 v[214:215], v[206:207], v[68:69], v[214:215] op_sel:[1,0,0] op_sel_hi:[0,1,0]
	v_pk_fma_f32 v[196:197], v[196:197], v[190:191], v[216:217] op_sel:[0,0,1] op_sel_hi:[1,1,0] neg_lo:[0,0,1] neg_hi:[0,0,1]
	v_pk_mul_f32 v[216:217], v[208:209], v[192:193] op_sel:[0,1]
	v_pk_fma_f32 v[206:207], v[206:207], v[68:69], v[210:211] op_sel_hi:[1,1,0] neg_lo:[0,0,1] neg_hi:[0,0,1]
	s_delay_alu instid0(VALU_DEP_4) | instskip(SKIP_1) | instid1(VALU_DEP_4)
	v_dual_mov_b32 v197, v211 :: v_dual_mov_b32 v207, v215
	v_pk_add_f32 v[104:105], v[104:105], v[194:195] neg_lo:[0,1] neg_hi:[0,1]
	v_pk_fma_f32 v[210:211], v[208:209], v[190:191], v[216:217] op_sel:[0,0,1] op_sel_hi:[1,0,0]
	v_pk_add_f32 v[102:103], v[102:103], v[212:213] neg_lo:[0,1] neg_hi:[0,1]
	s_delay_alu instid0(VALU_DEP_4)
	v_pk_add_f32 v[100:101], v[100:101], v[196:197] neg_lo:[0,1] neg_hi:[0,1]
	v_pk_add_f32 v[128:129], v[128:129], v[206:207] neg_lo:[0,1] neg_hi:[0,1]
	v_pk_fma_f32 v[206:207], v[208:209], v[190:191], v[216:217] op_sel:[0,0,1] op_sel_hi:[1,1,0] neg_lo:[0,0,1] neg_hi:[0,0,1]
	v_mov_b32_e32 v207, v211
	s_wait_dscnt 0x1
	v_pk_mul_f32 v[210:211], v[200:201], v[192:193] op_sel:[0,1]
	v_pk_mul_f32 v[208:209], v[198:199], v[192:193] op_sel:[0,1]
	ds_load_2addr_b64 v[194:197], v0 offset0:34 offset1:35
	s_wait_dscnt 0x1
	v_pk_mul_f32 v[212:213], v[202:203], v[192:193] op_sel:[0,1]
	v_pk_fma_f32 v[216:217], v[200:201], v[190:191], v[210:211] op_sel:[0,0,1] op_sel_hi:[1,0,0]
	v_pk_fma_f32 v[200:201], v[200:201], v[190:191], v[210:211] op_sel:[0,0,1] op_sel_hi:[1,1,0] neg_lo:[0,0,1] neg_hi:[0,0,1]
	v_pk_fma_f32 v[214:215], v[198:199], v[190:191], v[208:209] op_sel:[0,0,1] op_sel_hi:[1,0,0]
	v_pk_fma_f32 v[198:199], v[198:199], v[190:191], v[208:209] op_sel:[0,0,1] op_sel_hi:[1,1,0] neg_lo:[0,0,1] neg_hi:[0,0,1]
	v_pk_fma_f32 v[218:219], v[202:203], v[190:191], v[212:213] op_sel:[0,0,1] op_sel_hi:[1,0,0]
	v_mov_b32_e32 v201, v217
	v_pk_add_f32 v[124:125], v[124:125], v[206:207] neg_lo:[0,1] neg_hi:[0,1]
	ds_load_2addr_b64 v[206:209], v0 offset0:36 offset1:37
	v_pk_fma_f32 v[202:203], v[202:203], v[190:191], v[212:213] op_sel:[0,0,1] op_sel_hi:[1,1,0] neg_lo:[0,0,1] neg_hi:[0,0,1]
	v_dual_mov_b32 v199, v215 :: v_dual_mov_b32 v203, v219
	v_dual_mov_b32 v210, v205 :: v_dual_mov_b32 v211, v204
	v_mul_f32_e32 v212, v205, v190
	s_delay_alu instid0(VALU_DEP_3)
	v_pk_add_f32 v[126:127], v[126:127], v[198:199] neg_lo:[0,1] neg_hi:[0,1]
	v_pk_add_f32 v[122:123], v[122:123], v[200:201] neg_lo:[0,1] neg_hi:[0,1]
	;; [unrolled: 1-line block ×3, first 2 shown]
	ds_load_2addr_b64 v[198:201], v0 offset0:38 offset1:39
	v_pk_fma_f32 v[210:211], v[210:211], v[68:69], v[212:213] op_sel_hi:[1,1,0]
	v_mul_f32_e32 v202, v205, v193
	s_wait_dscnt 0x2
	v_pk_mul_f32 v[212:213], v[194:195], v[192:193] op_sel:[0,1]
	v_pk_mul_f32 v[214:215], v[196:197], v[192:193] op_sel:[0,1]
	s_delay_alu instid0(VALU_DEP_3)
	v_pk_fma_f32 v[216:217], v[204:205], v[68:69], v[202:203] op_sel_hi:[1,1,0] neg_lo:[0,0,1] neg_hi:[0,0,1]
	ds_load_2addr_b64 v[202:205], v0 offset0:40 offset1:41
	v_mov_b32_e32 v217, v211
	v_pk_fma_f32 v[210:211], v[194:195], v[190:191], v[212:213] op_sel:[0,0,1] op_sel_hi:[1,0,0]
	s_wait_dscnt 0x2
	v_pk_mul_f32 v[218:219], v[206:207], v[192:193] op_sel:[0,1]
	v_pk_fma_f32 v[220:221], v[196:197], v[190:191], v[214:215] op_sel:[0,0,1] op_sel_hi:[1,0,0]
	v_pk_fma_f32 v[194:195], v[194:195], v[190:191], v[212:213] op_sel:[0,0,1] op_sel_hi:[1,1,0] neg_lo:[0,0,1] neg_hi:[0,0,1]
	v_pk_mul_f32 v[212:213], v[208:209], v[192:193] op_sel:[0,1]
	v_mov_b32_e32 v195, v211
	v_pk_fma_f32 v[210:211], v[206:207], v[190:191], v[218:219] op_sel:[0,0,1] op_sel_hi:[1,0,0]
	v_pk_fma_f32 v[196:197], v[196:197], v[190:191], v[214:215] op_sel:[0,0,1] op_sel_hi:[1,1,0] neg_lo:[0,0,1] neg_hi:[0,0,1]
	v_mov_b32_e32 v197, v221
	v_pk_fma_f32 v[206:207], v[206:207], v[190:191], v[218:219] op_sel:[0,0,1] op_sel_hi:[1,1,0] neg_lo:[0,0,1] neg_hi:[0,0,1]
	v_pk_add_f32 v[146:147], v[146:147], v[194:195] neg_lo:[0,1] neg_hi:[0,1]
	v_pk_fma_f32 v[194:195], v[208:209], v[190:191], v[212:213] op_sel:[0,0,1] op_sel_hi:[1,0,0]
	v_mov_b32_e32 v207, v211
	s_wait_dscnt 0x1
	v_mul_f32_e32 v194, v199, v190
	v_pk_add_f32 v[142:143], v[142:143], v[196:197] neg_lo:[0,1] neg_hi:[0,1]
	v_pk_fma_f32 v[196:197], v[208:209], v[190:191], v[212:213] op_sel:[0,0,1] op_sel_hi:[1,1,0] neg_lo:[0,0,1] neg_hi:[0,0,1]
	v_mov_b32_e32 v197, v195
	v_pk_add_f32 v[164:165], v[164:165], v[206:207] neg_lo:[0,1] neg_hi:[0,1]
	v_mul_f32_e32 v206, v199, v193
	v_pk_mul_f32 v[208:209], v[200:201], v[192:193] op_sel:[0,1]
	v_pk_fma_f32 v[194:195], v[198:199], v[68:69], v[194:195] op_sel:[1,0,0] op_sel_hi:[0,1,0]
	s_wait_dscnt 0x0
	v_pk_mul_f32 v[210:211], v[202:203], v[192:193] op_sel:[0,1]
	v_pk_mul_f32 v[192:193], v[204:205], v[192:193] op_sel:[0,1]
	v_pk_fma_f32 v[198:199], v[198:199], v[68:69], v[206:207] op_sel_hi:[1,1,0] neg_lo:[0,0,1] neg_hi:[0,0,1]
	v_pk_fma_f32 v[206:207], v[200:201], v[190:191], v[208:209] op_sel:[0,0,1] op_sel_hi:[1,0,0]
	v_mov_b32_e32 v199, v195
	v_pk_fma_f32 v[194:195], v[202:203], v[190:191], v[210:211] op_sel:[0,0,1] op_sel_hi:[1,0,0]
	v_pk_fma_f32 v[200:201], v[200:201], v[190:191], v[208:209] op_sel:[0,0,1] op_sel_hi:[1,1,0] neg_lo:[0,0,1] neg_hi:[0,0,1]
	v_pk_fma_f32 v[208:209], v[204:205], v[190:191], v[192:193] op_sel:[0,0,1] op_sel_hi:[1,0,0]
	v_pk_fma_f32 v[202:203], v[202:203], v[190:191], v[210:211] op_sel:[0,0,1] op_sel_hi:[1,1,0] neg_lo:[0,0,1] neg_hi:[0,0,1]
	v_pk_fma_f32 v[190:191], v[204:205], v[190:191], v[192:193] op_sel:[0,0,1] op_sel_hi:[1,1,0] neg_lo:[0,0,1] neg_hi:[0,0,1]
	v_dual_mov_b32 v201, v207 :: v_dual_mov_b32 v203, v195
	s_delay_alu instid0(VALU_DEP_4)
	v_mov_b32_e32 v191, v209
	v_pk_add_f32 v[144:145], v[144:145], v[216:217] neg_lo:[0,1] neg_hi:[0,1]
	v_pk_add_f32 v[160:161], v[160:161], v[196:197] neg_lo:[0,1] neg_hi:[0,1]
	;; [unrolled: 1-line block ×6, first 2 shown]
.LBB83_91:
	s_or_b32 exec_lo, exec_lo, s1
	s_delay_alu instid0(SALU_CYCLE_1)
	s_mov_b32 s2, exec_lo
	s_wait_dscnt 0x0
	s_barrier_signal -1
	s_barrier_wait -1
	v_cmpx_eq_u32_e32 10, v254
	s_cbranch_execz .LBB83_98
; %bb.92:
	ds_store_b64 v255, v[70:71]
	ds_store_2addr_b64 v0, v[52:53], v[98:99] offset0:11 offset1:12
	ds_store_2addr_b64 v0, v[94:95], v[96:97] offset0:13 offset1:14
	;; [unrolled: 1-line block ×15, first 2 shown]
	ds_store_b64 v0, v[168:169] offset:328
	ds_load_b64 v[190:191], v255
	s_wait_dscnt 0x0
	v_cmp_neq_f32_e32 vcc_lo, 0, v190
	v_cmp_neq_f32_e64 s1, 0, v191
	s_or_b32 s1, vcc_lo, s1
	s_delay_alu instid0(SALU_CYCLE_1)
	s_and_b32 exec_lo, exec_lo, s1
	s_cbranch_execz .LBB83_98
; %bb.93:
	v_cmp_ngt_f32_e64 s1, |v190|, |v191|
                                        ; implicit-def: $vgpr192_vgpr193
	s_and_saveexec_b32 s4, s1
	s_delay_alu instid0(SALU_CYCLE_1)
	s_xor_b32 s1, exec_lo, s4
	s_cbranch_execz .LBB83_95
; %bb.94:
	v_div_scale_f32 v1, null, v191, v191, v190
	v_div_scale_f32 v6, vcc_lo, v190, v191, v190
	s_delay_alu instid0(VALU_DEP_2) | instskip(SKIP_1) | instid1(TRANS32_DEP_1)
	v_rcp_f32_e32 v4, v1
	v_nop
	v_fma_f32 v5, -v1, v4, 1.0
	s_delay_alu instid0(VALU_DEP_1) | instskip(NEXT) | instid1(VALU_DEP_1)
	v_fmac_f32_e32 v4, v5, v4
	v_mul_f32_e32 v5, v6, v4
	s_delay_alu instid0(VALU_DEP_1) | instskip(NEXT) | instid1(VALU_DEP_1)
	v_fma_f32 v7, -v1, v5, v6
	v_fmac_f32_e32 v5, v7, v4
	s_delay_alu instid0(VALU_DEP_1) | instskip(NEXT) | instid1(VALU_DEP_1)
	v_fma_f32 v1, -v1, v5, v6
	v_div_fmas_f32 v1, v1, v4, v5
	s_delay_alu instid0(VALU_DEP_1) | instskip(NEXT) | instid1(VALU_DEP_1)
	v_div_fixup_f32 v1, v1, v191, v190
	v_fmac_f32_e32 v191, v190, v1
	s_delay_alu instid0(VALU_DEP_1) | instskip(SKIP_1) | instid1(VALU_DEP_2)
	v_div_scale_f32 v4, null, v191, v191, 1.0
	v_div_scale_f32 v7, vcc_lo, 1.0, v191, 1.0
	v_rcp_f32_e32 v5, v4
	v_nop
	s_delay_alu instid0(TRANS32_DEP_1) | instskip(NEXT) | instid1(VALU_DEP_1)
	v_fma_f32 v6, -v4, v5, 1.0
	v_fmac_f32_e32 v5, v6, v5
	s_delay_alu instid0(VALU_DEP_1) | instskip(NEXT) | instid1(VALU_DEP_1)
	v_mul_f32_e32 v6, v7, v5
	v_fma_f32 v8, -v4, v6, v7
	s_delay_alu instid0(VALU_DEP_1) | instskip(NEXT) | instid1(VALU_DEP_1)
	v_fmac_f32_e32 v6, v8, v5
	v_fma_f32 v4, -v4, v6, v7
	s_delay_alu instid0(VALU_DEP_1) | instskip(NEXT) | instid1(VALU_DEP_1)
	v_div_fmas_f32 v4, v4, v5, v6
	v_div_fixup_f32 v4, v4, v191, 1.0
                                        ; implicit-def: $vgpr190_vgpr191
	s_delay_alu instid0(VALU_DEP_1)
	v_mul_f32_e32 v192, v1, v4
	v_xor_b32_e32 v193, 0x80000000, v4
.LBB83_95:
	s_and_not1_saveexec_b32 s1, s1
	s_cbranch_execz .LBB83_97
; %bb.96:
	v_div_scale_f32 v1, null, v190, v190, v191
	v_div_scale_f32 v6, vcc_lo, v191, v190, v191
	s_delay_alu instid0(VALU_DEP_2) | instskip(SKIP_1) | instid1(TRANS32_DEP_1)
	v_rcp_f32_e32 v4, v1
	v_nop
	v_fma_f32 v5, -v1, v4, 1.0
	s_delay_alu instid0(VALU_DEP_1) | instskip(NEXT) | instid1(VALU_DEP_1)
	v_fmac_f32_e32 v4, v5, v4
	v_mul_f32_e32 v5, v6, v4
	s_delay_alu instid0(VALU_DEP_1) | instskip(NEXT) | instid1(VALU_DEP_1)
	v_fma_f32 v7, -v1, v5, v6
	v_fmac_f32_e32 v5, v7, v4
	s_delay_alu instid0(VALU_DEP_1) | instskip(NEXT) | instid1(VALU_DEP_1)
	v_fma_f32 v1, -v1, v5, v6
	v_div_fmas_f32 v1, v1, v4, v5
	s_delay_alu instid0(VALU_DEP_1) | instskip(NEXT) | instid1(VALU_DEP_1)
	v_div_fixup_f32 v1, v1, v190, v191
	v_fmac_f32_e32 v190, v191, v1
	s_delay_alu instid0(VALU_DEP_1) | instskip(NEXT) | instid1(VALU_DEP_1)
	v_div_scale_f32 v4, null, v190, v190, 1.0
	v_rcp_f32_e32 v5, v4
	v_nop
	s_delay_alu instid0(TRANS32_DEP_1) | instskip(NEXT) | instid1(VALU_DEP_1)
	v_fma_f32 v6, -v4, v5, 1.0
	v_fmac_f32_e32 v5, v6, v5
	v_div_scale_f32 v6, vcc_lo, 1.0, v190, 1.0
	s_delay_alu instid0(VALU_DEP_1) | instskip(NEXT) | instid1(VALU_DEP_1)
	v_mul_f32_e32 v7, v6, v5
	v_fma_f32 v8, -v4, v7, v6
	s_delay_alu instid0(VALU_DEP_1) | instskip(NEXT) | instid1(VALU_DEP_1)
	v_fmac_f32_e32 v7, v8, v5
	v_fma_f32 v4, -v4, v7, v6
	s_delay_alu instid0(VALU_DEP_1) | instskip(NEXT) | instid1(VALU_DEP_1)
	v_div_fmas_f32 v4, v4, v5, v7
	v_div_fixup_f32 v192, v4, v190, 1.0
	s_delay_alu instid0(VALU_DEP_1)
	v_mul_f32_e64 v193, v1, -v192
.LBB83_97:
	s_or_b32 exec_lo, exec_lo, s1
	ds_store_b64 v255, v[192:193]
.LBB83_98:
	s_or_b32 exec_lo, exec_lo, s2
	s_wait_dscnt 0x0
	s_barrier_signal -1
	s_barrier_wait -1
	ds_load_b64 v[190:191], v255
	s_mov_b32 s1, exec_lo
	v_cmpx_lt_u32_e32 10, v254
	s_cbranch_execz .LBB83_100
; %bb.99:
	ds_load_2addr_b64 v[196:199], v0 offset0:11 offset1:12
	ds_load_2addr_b64 v[200:203], v0 offset0:13 offset1:14
	ds_load_2addr_b64 v[204:207], v0 offset0:15 offset1:16
	s_wait_dscnt 0x3
	v_pk_mul_f32 v[194:195], v[190:191], v[70:71] op_sel:[1,1] op_sel_hi:[0,1]
	ds_load_2addr_b64 v[208:211], v0 offset0:17 offset1:18
	ds_load_2addr_b64 v[212:215], v0 offset0:19 offset1:20
	v_pk_fma_f32 v[192:193], v[190:191], v[70:71], v[194:195] op_sel_hi:[1,0,1] neg_lo:[0,0,1] neg_hi:[0,0,1]
	v_pk_fma_f32 v[194:195], v[190:191], v[70:71], v[194:195] op_sel_hi:[1,0,1]
	s_delay_alu instid0(VALU_DEP_1) | instskip(SKIP_1) | instid1(VALU_DEP_2)
	v_dual_mov_b32 v70, v192 :: v_dual_mov_b32 v71, v195
	s_wait_dscnt 0x4
	v_pk_mul_f32 v[216:217], v[196:197], v[194:195] op_sel:[0,1]
	v_pk_mul_f32 v[218:219], v[198:199], v[194:195] op_sel:[0,1]
	s_wait_dscnt 0x3
	v_pk_mul_f32 v[220:221], v[200:201], v[194:195] op_sel:[0,1]
	v_dual_mov_b32 v222, v203 :: v_dual_mov_b32 v223, v202
	v_dual_mul_f32 v224, v203, v195 :: v_dual_mul_f32 v226, v203, v192
	v_pk_fma_f32 v[232:233], v[196:197], v[192:193], v[216:217] op_sel:[0,0,1] op_sel_hi:[1,1,0] neg_lo:[0,0,1] neg_hi:[0,0,1]
	v_pk_fma_f32 v[196:197], v[196:197], v[192:193], v[216:217] op_sel:[0,0,1] op_sel_hi:[1,0,0]
	v_pk_fma_f32 v[216:217], v[198:199], v[192:193], v[218:219] op_sel:[0,0,1] op_sel_hi:[1,1,0] neg_lo:[0,0,1] neg_hi:[0,0,1]
	v_pk_fma_f32 v[198:199], v[198:199], v[192:193], v[218:219] op_sel:[0,0,1] op_sel_hi:[1,0,0]
	;; [unrolled: 2-line block ×3, first 2 shown]
	v_pk_fma_f32 v[220:221], v[222:223], v[70:71], v[226:227] op_sel_hi:[1,1,0]
	v_pk_fma_f32 v[202:203], v[202:203], v[70:71], v[224:225] op_sel_hi:[1,1,0] neg_lo:[0,0,1] neg_hi:[0,0,1]
	s_wait_dscnt 0x2
	v_pk_mul_f32 v[228:229], v[204:205], v[194:195] op_sel:[0,1]
	v_pk_mul_f32 v[230:231], v[206:207], v[194:195] op_sel:[0,1]
	v_dual_mov_b32 v233, v197 :: v_dual_mov_b32 v217, v199
	v_dual_mov_b32 v219, v201 :: v_dual_mov_b32 v203, v221
	s_delay_alu instid0(VALU_DEP_4)
	v_pk_fma_f32 v[200:201], v[204:205], v[192:193], v[228:229] op_sel:[0,0,1] op_sel_hi:[1,0,0]
	ds_load_2addr_b64 v[196:199], v0 offset0:21 offset1:22
	v_pk_add_f32 v[98:99], v[98:99], v[216:217] neg_lo:[0,1] neg_hi:[0,1]
	v_pk_fma_f32 v[216:217], v[206:207], v[192:193], v[230:231] op_sel:[0,0,1] op_sel_hi:[1,0,0]
	v_pk_add_f32 v[96:97], v[96:97], v[202:203] neg_lo:[0,1] neg_hi:[0,1]
	s_wait_dscnt 0x2
	v_pk_mul_f32 v[202:203], v[208:209], v[194:195] op_sel:[0,1]
	v_pk_fma_f32 v[204:205], v[204:205], v[192:193], v[228:229] op_sel:[0,0,1] op_sel_hi:[1,1,0] neg_lo:[0,0,1] neg_hi:[0,0,1]
	v_pk_fma_f32 v[206:207], v[206:207], v[192:193], v[230:231] op_sel:[0,0,1] op_sel_hi:[1,1,0] neg_lo:[0,0,1] neg_hi:[0,0,1]
	v_dual_mov_b32 v205, v201 :: v_dual_mov_b32 v207, v217
	s_delay_alu instid0(VALU_DEP_4) | instskip(SKIP_2) | instid1(VALU_DEP_4)
	v_pk_fma_f32 v[200:201], v[208:209], v[192:193], v[202:203] op_sel:[0,0,1] op_sel_hi:[1,0,0]
	v_pk_mul_f32 v[216:217], v[210:211], v[194:195] op_sel:[0,1]
	v_pk_fma_f32 v[208:209], v[208:209], v[192:193], v[202:203] op_sel:[0,0,1] op_sel_hi:[1,1,0] neg_lo:[0,0,1] neg_hi:[0,0,1]
	v_pk_add_f32 v[92:93], v[92:93], v[204:205] neg_lo:[0,1] neg_hi:[0,1]
	v_pk_add_f32 v[120:121], v[120:121], v[206:207] neg_lo:[0,1] neg_hi:[0,1]
	;; [unrolled: 1-line block ×3, first 2 shown]
	v_pk_fma_f32 v[204:205], v[210:211], v[192:193], v[216:217] op_sel:[0,0,1] op_sel_hi:[1,0,0]
	v_mov_b32_e32 v209, v201
	ds_load_2addr_b64 v[200:203], v0 offset0:23 offset1:24
	v_pk_fma_f32 v[206:207], v[210:211], v[192:193], v[216:217] op_sel:[0,0,1] op_sel_hi:[1,1,0] neg_lo:[0,0,1] neg_hi:[0,0,1]
	s_wait_dscnt 0x2
	v_mul_f32_e32 v204, v213, v192
	v_mov_b32_e32 v207, v205
	v_pk_add_f32 v[118:119], v[118:119], v[208:209] neg_lo:[0,1] neg_hi:[0,1]
	v_mul_f32_e32 v208, v213, v195
	v_pk_mul_f32 v[210:211], v[214:215], v[194:195] op_sel:[0,1]
	v_pk_fma_f32 v[204:205], v[212:213], v[70:71], v[204:205] op_sel:[1,0,0] op_sel_hi:[0,1,0]
	s_wait_dscnt 0x1
	v_pk_mul_f32 v[216:217], v[196:197], v[194:195] op_sel:[0,1]
	v_pk_add_f32 v[90:91], v[90:91], v[206:207] neg_lo:[0,1] neg_hi:[0,1]
	v_pk_fma_f32 v[208:209], v[212:213], v[70:71], v[208:209] op_sel_hi:[1,1,0] neg_lo:[0,0,1] neg_hi:[0,0,1]
	v_pk_fma_f32 v[212:213], v[214:215], v[192:193], v[210:211] op_sel:[0,0,1] op_sel_hi:[1,0,0]
	v_pk_fma_f32 v[210:211], v[214:215], v[192:193], v[210:211] op_sel:[0,0,1] op_sel_hi:[1,1,0] neg_lo:[0,0,1] neg_hi:[0,0,1]
	v_mov_b32_e32 v209, v205
	v_pk_fma_f32 v[218:219], v[196:197], v[192:193], v[216:217] op_sel:[0,0,1] op_sel_hi:[1,0,0]
	ds_load_2addr_b64 v[204:207], v0 offset0:25 offset1:26
	v_mov_b32_e32 v211, v213
	v_pk_mul_f32 v[212:213], v[198:199], v[194:195] op_sel:[0,1]
	v_pk_fma_f32 v[196:197], v[196:197], v[192:193], v[216:217] op_sel:[0,0,1] op_sel_hi:[1,1,0] neg_lo:[0,0,1] neg_hi:[0,0,1]
	v_pk_add_f32 v[116:117], v[116:117], v[208:209] neg_lo:[0,1] neg_hi:[0,1]
	s_wait_dscnt 0x1
	v_pk_mul_f32 v[214:215], v[200:201], v[194:195] op_sel:[0,1]
	v_pk_add_f32 v[138:139], v[138:139], v[210:211] neg_lo:[0,1] neg_hi:[0,1]
	v_pk_fma_f32 v[208:209], v[198:199], v[192:193], v[212:213] op_sel:[0,0,1] op_sel_hi:[1,0,0]
	v_mov_b32_e32 v197, v219
	v_pk_fma_f32 v[212:213], v[198:199], v[192:193], v[212:213] op_sel:[0,0,1] op_sel_hi:[1,1,0] neg_lo:[0,0,1] neg_hi:[0,0,1]
	v_pk_fma_f32 v[210:211], v[200:201], v[192:193], v[214:215] op_sel:[0,0,1] op_sel_hi:[1,0,0]
	v_pk_fma_f32 v[200:201], v[200:201], v[192:193], v[214:215] op_sel:[0,0,1] op_sel_hi:[1,1,0] neg_lo:[0,0,1] neg_hi:[0,0,1]
	v_mov_b32_e32 v213, v209
	v_pk_add_f32 v[78:79], v[78:79], v[196:197] neg_lo:[0,1] neg_hi:[0,1]
	ds_load_2addr_b64 v[196:199], v0 offset0:27 offset1:28
	v_dual_mov_b32 v201, v211 :: v_dual_mov_b32 v208, v203
	v_dual_mov_b32 v209, v202 :: v_dual_mul_f32 v210, v203, v192
	v_pk_add_f32 v[80:81], v[80:81], v[212:213] neg_lo:[0,1] neg_hi:[0,1]
	s_delay_alu instid0(VALU_DEP_3)
	v_pk_add_f32 v[76:77], v[76:77], v[200:201] neg_lo:[0,1] neg_hi:[0,1]
	s_wait_dscnt 0x1
	v_pk_mul_f32 v[214:215], v[204:205], v[194:195] op_sel:[0,1]
	v_pk_mul_f32 v[218:219], v[206:207], v[194:195] op_sel:[0,1]
	v_pk_fma_f32 v[212:213], v[208:209], v[70:71], v[210:211] op_sel_hi:[1,1,0]
	v_mul_f32_e32 v200, v203, v195
	ds_load_2addr_b64 v[208:211], v0 offset0:29 offset1:30
	v_pk_fma_f32 v[216:217], v[204:205], v[192:193], v[214:215] op_sel:[0,0,1] op_sel_hi:[1,0,0]
	v_pk_fma_f32 v[204:205], v[204:205], v[192:193], v[214:215] op_sel:[0,0,1] op_sel_hi:[1,1,0] neg_lo:[0,0,1] neg_hi:[0,0,1]
	v_pk_add_f32 v[52:53], v[52:53], v[232:233] neg_lo:[0,1] neg_hi:[0,1]
	v_pk_fma_f32 v[220:221], v[202:203], v[70:71], v[200:201] op_sel_hi:[1,1,0] neg_lo:[0,0,1] neg_hi:[0,0,1]
	v_mov_b32_e32 v221, v213
	v_pk_fma_f32 v[212:213], v[206:207], v[192:193], v[218:219] op_sel:[0,0,1] op_sel_hi:[1,0,0]
	ds_load_2addr_b64 v[200:203], v0 offset0:31 offset1:32
	v_pk_fma_f32 v[206:207], v[206:207], v[192:193], v[218:219] op_sel:[0,0,1] op_sel_hi:[1,1,0] neg_lo:[0,0,1] neg_hi:[0,0,1]
	v_mov_b32_e32 v205, v217
	s_wait_dscnt 0x2
	v_pk_mul_f32 v[214:215], v[196:197], v[194:195] op_sel:[0,1]
	v_mov_b32_e32 v207, v213
	v_pk_mul_f32 v[212:213], v[198:199], v[194:195] op_sel:[0,1]
	ds_load_b64 v[218:219], v0 offset:328
	v_pk_add_f32 v[102:103], v[102:103], v[204:205] neg_lo:[0,1] neg_hi:[0,1]
	v_pk_fma_f32 v[216:217], v[196:197], v[192:193], v[214:215] op_sel:[0,0,1] op_sel_hi:[1,0,0]
	v_pk_add_f32 v[104:105], v[104:105], v[206:207] neg_lo:[0,1] neg_hi:[0,1]
	v_pk_fma_f32 v[196:197], v[196:197], v[192:193], v[214:215] op_sel:[0,0,1] op_sel_hi:[1,1,0] neg_lo:[0,0,1] neg_hi:[0,0,1]
	v_pk_fma_f32 v[214:215], v[198:199], v[192:193], v[212:213] op_sel:[0,0,1] op_sel_hi:[1,0,0]
	ds_load_2addr_b64 v[204:207], v0 offset0:33 offset1:34
	v_pk_fma_f32 v[198:199], v[198:199], v[192:193], v[212:213] op_sel:[0,0,1] op_sel_hi:[1,1,0] neg_lo:[0,0,1] neg_hi:[0,0,1]
	v_mov_b32_e32 v197, v217
	s_wait_dscnt 0x3
	v_dual_mul_f32 v212, v209, v192 :: v_dual_mul_f32 v214, v209, v195
	v_mov_b32_e32 v199, v215
	v_pk_add_f32 v[106:107], v[106:107], v[220:221] neg_lo:[0,1] neg_hi:[0,1]
	v_pk_add_f32 v[100:101], v[100:101], v[196:197] neg_lo:[0,1] neg_hi:[0,1]
	v_pk_mul_f32 v[196:197], v[210:211], v[194:195] op_sel:[0,1]
	v_pk_fma_f32 v[212:213], v[208:209], v[70:71], v[212:213] op_sel:[1,0,0] op_sel_hi:[0,1,0]
	v_pk_add_f32 v[128:129], v[128:129], v[198:199] neg_lo:[0,1] neg_hi:[0,1]
	s_wait_dscnt 0x2
	v_pk_mul_f32 v[198:199], v[200:201], v[194:195] op_sel:[0,1]
	v_pk_fma_f32 v[208:209], v[208:209], v[70:71], v[214:215] op_sel_hi:[1,1,0] neg_lo:[0,0,1] neg_hi:[0,0,1]
	v_pk_fma_f32 v[216:217], v[210:211], v[192:193], v[196:197] op_sel:[0,0,1] op_sel_hi:[1,0,0]
	v_mov_b32_e32 v209, v213
	v_pk_mul_f32 v[214:215], v[202:203], v[194:195] op_sel:[0,1]
	v_pk_fma_f32 v[212:213], v[200:201], v[192:193], v[198:199] op_sel:[0,0,1] op_sel_hi:[1,0,0]
	v_pk_fma_f32 v[210:211], v[210:211], v[192:193], v[196:197] op_sel:[0,0,1] op_sel_hi:[1,1,0] neg_lo:[0,0,1] neg_hi:[0,0,1]
	v_pk_fma_f32 v[200:201], v[200:201], v[192:193], v[198:199] op_sel:[0,0,1] op_sel_hi:[1,1,0] neg_lo:[0,0,1] neg_hi:[0,0,1]
	v_mov_b32_e32 v211, v217
	ds_load_2addr_b64 v[196:199], v0 offset0:35 offset1:36
	v_pk_add_f32 v[124:125], v[124:125], v[208:209] neg_lo:[0,1] neg_hi:[0,1]
	v_pk_fma_f32 v[208:209], v[202:203], v[192:193], v[214:215] op_sel:[0,0,1] op_sel_hi:[1,0,0]
	v_mov_b32_e32 v201, v213
	s_wait_dscnt 0x1
	v_pk_mul_f32 v[212:213], v[204:205], v[194:195] op_sel:[0,1]
	v_pk_add_f32 v[126:127], v[126:127], v[210:211] neg_lo:[0,1] neg_hi:[0,1]
	v_pk_fma_f32 v[214:215], v[202:203], v[192:193], v[214:215] op_sel:[0,0,1] op_sel_hi:[1,1,0] neg_lo:[0,0,1] neg_hi:[0,0,1]
	v_mov_b32_e32 v215, v209
	v_pk_add_f32 v[122:123], v[122:123], v[200:201] neg_lo:[0,1] neg_hi:[0,1]
	v_pk_fma_f32 v[210:211], v[204:205], v[192:193], v[212:213] op_sel:[0,0,1] op_sel_hi:[1,0,0]
	ds_load_2addr_b64 v[200:203], v0 offset0:37 offset1:38
	v_pk_fma_f32 v[204:205], v[204:205], v[192:193], v[212:213] op_sel:[0,0,1] op_sel_hi:[1,1,0] neg_lo:[0,0,1] neg_hi:[0,0,1]
	v_dual_mov_b32 v208, v207 :: v_dual_mov_b32 v209, v206
	v_mul_f32_e32 v210, v207, v192
	v_mov_b32_e32 v205, v211
	v_pk_add_f32 v[148:149], v[148:149], v[214:215] neg_lo:[0,1] neg_hi:[0,1]
	s_delay_alu instid0(VALU_DEP_3)
	v_pk_fma_f32 v[214:215], v[208:209], v[70:71], v[210:211] op_sel_hi:[1,1,0]
	ds_load_2addr_b64 v[208:211], v0 offset0:39 offset1:40
	v_pk_add_f32 v[144:145], v[144:145], v[204:205] neg_lo:[0,1] neg_hi:[0,1]
	v_mul_f32_e32 v204, v207, v195
	s_wait_dscnt 0x2
	v_pk_mul_f32 v[212:213], v[196:197], v[194:195] op_sel:[0,1]
	v_pk_mul_f32 v[216:217], v[198:199], v[194:195] op_sel:[0,1]
	s_delay_alu instid0(VALU_DEP_3) | instskip(NEXT) | instid1(VALU_DEP_3)
	v_pk_fma_f32 v[204:205], v[206:207], v[70:71], v[204:205] op_sel_hi:[1,1,0] neg_lo:[0,0,1] neg_hi:[0,0,1]
	v_pk_fma_f32 v[206:207], v[196:197], v[192:193], v[212:213] op_sel:[0,0,1] op_sel_hi:[1,0,0]
	v_mov_b32_e32 v205, v215
	s_delay_alu instid0(VALU_DEP_4)
	v_pk_fma_f32 v[214:215], v[198:199], v[192:193], v[216:217] op_sel:[0,0,1] op_sel_hi:[1,0,0]
	v_pk_fma_f32 v[196:197], v[196:197], v[192:193], v[212:213] op_sel:[0,0,1] op_sel_hi:[1,1,0] neg_lo:[0,0,1] neg_hi:[0,0,1]
	s_wait_dscnt 0x1
	v_pk_mul_f32 v[212:213], v[200:201], v[194:195] op_sel:[0,1]
	v_pk_fma_f32 v[198:199], v[198:199], v[192:193], v[216:217] op_sel:[0,0,1] op_sel_hi:[1,1,0] neg_lo:[0,0,1] neg_hi:[0,0,1]
	v_dual_mov_b32 v197, v207 :: v_dual_mov_b32 v199, v215
	v_pk_mul_f32 v[206:207], v[202:203], v[194:195] op_sel:[0,1]
	v_pk_add_f32 v[146:147], v[146:147], v[204:205] neg_lo:[0,1] neg_hi:[0,1]
	v_pk_fma_f32 v[204:205], v[200:201], v[192:193], v[212:213] op_sel:[0,0,1] op_sel_hi:[1,0,0]
	s_delay_alu instid0(VALU_DEP_4)
	v_pk_add_f32 v[142:143], v[142:143], v[196:197] neg_lo:[0,1] neg_hi:[0,1]
	v_pk_add_f32 v[164:165], v[164:165], v[198:199] neg_lo:[0,1] neg_hi:[0,1]
	v_pk_fma_f32 v[196:197], v[200:201], v[192:193], v[212:213] op_sel:[0,0,1] op_sel_hi:[1,1,0] neg_lo:[0,0,1] neg_hi:[0,0,1]
	v_pk_fma_f32 v[198:199], v[202:203], v[192:193], v[206:207] op_sel:[0,0,1] op_sel_hi:[1,1,0] neg_lo:[0,0,1] neg_hi:[0,0,1]
	s_wait_dscnt 0x0
	v_mul_f32_e32 v200, v209, v192
	v_pk_fma_f32 v[202:203], v[202:203], v[192:193], v[206:207] op_sel:[0,0,1] op_sel_hi:[1,0,0]
	v_mov_b32_e32 v197, v205
	v_pk_mul_f32 v[204:205], v[210:211], v[194:195] op_sel:[0,1]
	v_mul_f32_e32 v202, v209, v195
	v_pk_mul_f32 v[194:195], v[218:219], v[194:195] op_sel:[0,1]
	v_pk_fma_f32 v[200:201], v[208:209], v[70:71], v[200:201] op_sel:[1,0,0] op_sel_hi:[0,1,0]
	v_mov_b32_e32 v199, v203
	v_pk_fma_f32 v[206:207], v[210:211], v[192:193], v[204:205] op_sel:[0,0,1] op_sel_hi:[1,0,0]
	v_pk_fma_f32 v[202:203], v[208:209], v[70:71], v[202:203] op_sel_hi:[1,1,0] neg_lo:[0,0,1] neg_hi:[0,0,1]
	v_pk_fma_f32 v[208:209], v[218:219], v[192:193], v[194:195] op_sel:[0,0,1] op_sel_hi:[1,0,0]
	v_mov_b32_e32 v203, v201
	v_pk_fma_f32 v[200:201], v[210:211], v[192:193], v[204:205] op_sel:[0,0,1] op_sel_hi:[1,1,0] neg_lo:[0,0,1] neg_hi:[0,0,1]
	v_pk_fma_f32 v[192:193], v[218:219], v[192:193], v[194:195] op_sel:[0,0,1] op_sel_hi:[1,1,0] neg_lo:[0,0,1] neg_hi:[0,0,1]
	s_delay_alu instid0(VALU_DEP_4) | instskip(SKIP_3) | instid1(VALU_DEP_4)
	v_dual_mov_b32 v201, v207 :: v_dual_mov_b32 v193, v209
	v_pk_add_f32 v[160:161], v[160:161], v[196:197] neg_lo:[0,1] neg_hi:[0,1]
	v_pk_add_f32 v[162:163], v[162:163], v[198:199] neg_lo:[0,1] neg_hi:[0,1]
	;; [unrolled: 1-line block ×5, first 2 shown]
.LBB83_100:
	s_or_b32 exec_lo, exec_lo, s1
	s_delay_alu instid0(SALU_CYCLE_1)
	s_mov_b32 s2, exec_lo
	s_wait_dscnt 0x0
	s_barrier_signal -1
	s_barrier_wait -1
	v_cmpx_eq_u32_e32 11, v254
	s_cbranch_execz .LBB83_107
; %bb.101:
	v_dual_mov_b32 v192, v98 :: v_dual_mov_b32 v193, v99
	v_dual_mov_b32 v194, v94 :: v_dual_mov_b32 v195, v95
	;; [unrolled: 1-line block ×8, first 2 shown]
	ds_store_b64 v255, v[52:53]
	ds_store_2addr_b64 v0, v[192:193], v[194:195] offset0:12 offset1:13
	ds_store_2addr_b64 v0, v[196:197], v[198:199] offset0:14 offset1:15
	ds_store_2addr_b64 v0, v[200:201], v[202:203] offset0:16 offset1:17
	ds_store_2addr_b64 v0, v[204:205], v[206:207] offset0:18 offset1:19
	v_dual_mov_b32 v192, v138 :: v_dual_mov_b32 v193, v139
	v_dual_mov_b32 v194, v78 :: v_dual_mov_b32 v195, v79
	;; [unrolled: 1-line block ×12, first 2 shown]
	ds_store_2addr_b64 v0, v[192:193], v[194:195] offset0:20 offset1:21
	ds_store_2addr_b64 v0, v[196:197], v[198:199] offset0:22 offset1:23
	;; [unrolled: 1-line block ×6, first 2 shown]
	v_dual_mov_b32 v192, v148 :: v_dual_mov_b32 v193, v149
	v_dual_mov_b32 v194, v144 :: v_dual_mov_b32 v195, v145
	;; [unrolled: 1-line block ×9, first 2 shown]
	ds_store_2addr_b64 v0, v[192:193], v[194:195] offset0:32 offset1:33
	ds_store_2addr_b64 v0, v[196:197], v[198:199] offset0:34 offset1:35
	;; [unrolled: 1-line block ×5, first 2 shown]
	ds_load_b64 v[192:193], v255
	s_wait_dscnt 0x0
	v_cmp_neq_f32_e32 vcc_lo, 0, v192
	v_cmp_neq_f32_e64 s1, 0, v193
	s_or_b32 s1, vcc_lo, s1
	s_delay_alu instid0(SALU_CYCLE_1)
	s_and_b32 exec_lo, exec_lo, s1
	s_cbranch_execz .LBB83_107
; %bb.102:
	v_cmp_ngt_f32_e64 s1, |v192|, |v193|
                                        ; implicit-def: $vgpr194_vgpr195
	s_and_saveexec_b32 s4, s1
	s_delay_alu instid0(SALU_CYCLE_1)
	s_xor_b32 s1, exec_lo, s4
	s_cbranch_execz .LBB83_104
; %bb.103:
	v_div_scale_f32 v1, null, v193, v193, v192
	v_div_scale_f32 v6, vcc_lo, v192, v193, v192
	s_delay_alu instid0(VALU_DEP_2) | instskip(SKIP_1) | instid1(TRANS32_DEP_1)
	v_rcp_f32_e32 v4, v1
	v_nop
	v_fma_f32 v5, -v1, v4, 1.0
	s_delay_alu instid0(VALU_DEP_1) | instskip(NEXT) | instid1(VALU_DEP_1)
	v_fmac_f32_e32 v4, v5, v4
	v_mul_f32_e32 v5, v6, v4
	s_delay_alu instid0(VALU_DEP_1) | instskip(NEXT) | instid1(VALU_DEP_1)
	v_fma_f32 v7, -v1, v5, v6
	v_fmac_f32_e32 v5, v7, v4
	s_delay_alu instid0(VALU_DEP_1) | instskip(NEXT) | instid1(VALU_DEP_1)
	v_fma_f32 v1, -v1, v5, v6
	v_div_fmas_f32 v1, v1, v4, v5
	s_delay_alu instid0(VALU_DEP_1) | instskip(NEXT) | instid1(VALU_DEP_1)
	v_div_fixup_f32 v1, v1, v193, v192
	v_fmac_f32_e32 v193, v192, v1
	s_delay_alu instid0(VALU_DEP_1) | instskip(SKIP_1) | instid1(VALU_DEP_2)
	v_div_scale_f32 v4, null, v193, v193, 1.0
	v_div_scale_f32 v7, vcc_lo, 1.0, v193, 1.0
	v_rcp_f32_e32 v5, v4
	v_nop
	s_delay_alu instid0(TRANS32_DEP_1) | instskip(NEXT) | instid1(VALU_DEP_1)
	v_fma_f32 v6, -v4, v5, 1.0
	v_fmac_f32_e32 v5, v6, v5
	s_delay_alu instid0(VALU_DEP_1) | instskip(NEXT) | instid1(VALU_DEP_1)
	v_mul_f32_e32 v6, v7, v5
	v_fma_f32 v8, -v4, v6, v7
	s_delay_alu instid0(VALU_DEP_1) | instskip(NEXT) | instid1(VALU_DEP_1)
	v_fmac_f32_e32 v6, v8, v5
	v_fma_f32 v4, -v4, v6, v7
	s_delay_alu instid0(VALU_DEP_1) | instskip(NEXT) | instid1(VALU_DEP_1)
	v_div_fmas_f32 v4, v4, v5, v6
	v_div_fixup_f32 v4, v4, v193, 1.0
                                        ; implicit-def: $vgpr192_vgpr193
	s_delay_alu instid0(VALU_DEP_1)
	v_mul_f32_e32 v194, v1, v4
	v_xor_b32_e32 v195, 0x80000000, v4
.LBB83_104:
	s_and_not1_saveexec_b32 s1, s1
	s_cbranch_execz .LBB83_106
; %bb.105:
	v_div_scale_f32 v1, null, v192, v192, v193
	v_div_scale_f32 v6, vcc_lo, v193, v192, v193
	s_delay_alu instid0(VALU_DEP_2) | instskip(SKIP_1) | instid1(TRANS32_DEP_1)
	v_rcp_f32_e32 v4, v1
	v_nop
	v_fma_f32 v5, -v1, v4, 1.0
	s_delay_alu instid0(VALU_DEP_1) | instskip(NEXT) | instid1(VALU_DEP_1)
	v_fmac_f32_e32 v4, v5, v4
	v_mul_f32_e32 v5, v6, v4
	s_delay_alu instid0(VALU_DEP_1) | instskip(NEXT) | instid1(VALU_DEP_1)
	v_fma_f32 v7, -v1, v5, v6
	v_fmac_f32_e32 v5, v7, v4
	s_delay_alu instid0(VALU_DEP_1) | instskip(NEXT) | instid1(VALU_DEP_1)
	v_fma_f32 v1, -v1, v5, v6
	v_div_fmas_f32 v1, v1, v4, v5
	s_delay_alu instid0(VALU_DEP_1) | instskip(NEXT) | instid1(VALU_DEP_1)
	v_div_fixup_f32 v1, v1, v192, v193
	v_fmac_f32_e32 v192, v193, v1
	s_delay_alu instid0(VALU_DEP_1) | instskip(NEXT) | instid1(VALU_DEP_1)
	v_div_scale_f32 v4, null, v192, v192, 1.0
	v_rcp_f32_e32 v5, v4
	v_nop
	s_delay_alu instid0(TRANS32_DEP_1) | instskip(NEXT) | instid1(VALU_DEP_1)
	v_fma_f32 v6, -v4, v5, 1.0
	v_fmac_f32_e32 v5, v6, v5
	v_div_scale_f32 v6, vcc_lo, 1.0, v192, 1.0
	s_delay_alu instid0(VALU_DEP_1) | instskip(NEXT) | instid1(VALU_DEP_1)
	v_mul_f32_e32 v7, v6, v5
	v_fma_f32 v8, -v4, v7, v6
	s_delay_alu instid0(VALU_DEP_1) | instskip(NEXT) | instid1(VALU_DEP_1)
	v_fmac_f32_e32 v7, v8, v5
	v_fma_f32 v4, -v4, v7, v6
	s_delay_alu instid0(VALU_DEP_1) | instskip(NEXT) | instid1(VALU_DEP_1)
	v_div_fmas_f32 v4, v4, v5, v7
	v_div_fixup_f32 v194, v4, v192, 1.0
	s_delay_alu instid0(VALU_DEP_1)
	v_mul_f32_e64 v195, v1, -v194
.LBB83_106:
	s_or_b32 exec_lo, exec_lo, s1
	ds_store_b64 v255, v[194:195]
.LBB83_107:
	s_or_b32 exec_lo, exec_lo, s2
	s_wait_dscnt 0x0
	s_barrier_signal -1
	s_barrier_wait -1
	ds_load_b64 v[192:193], v255
	s_mov_b32 s1, exec_lo
	v_cmpx_lt_u32_e32 11, v254
	s_cbranch_execz .LBB83_109
; %bb.108:
	ds_load_2addr_b64 v[198:201], v0 offset0:12 offset1:13
	ds_load_2addr_b64 v[202:205], v0 offset0:14 offset1:15
	;; [unrolled: 1-line block ×3, first 2 shown]
	s_wait_dscnt 0x3
	v_pk_mul_f32 v[194:195], v[192:193], v[52:53] op_sel:[1,1] op_sel_hi:[0,1]
	ds_load_2addr_b64 v[210:213], v0 offset0:18 offset1:19
	ds_load_2addr_b64 v[214:217], v0 offset0:20 offset1:21
	v_pk_fma_f32 v[196:197], v[192:193], v[52:53], v[194:195] op_sel_hi:[1,0,1] neg_lo:[0,0,1] neg_hi:[0,0,1]
	v_pk_fma_f32 v[194:195], v[192:193], v[52:53], v[194:195] op_sel_hi:[1,0,1]
	s_delay_alu instid0(VALU_DEP_1) | instskip(SKIP_1) | instid1(VALU_DEP_2)
	v_dual_mov_b32 v52, v196 :: v_dual_mov_b32 v53, v195
	s_wait_dscnt 0x4
	v_pk_mul_f32 v[218:219], v[198:199], v[194:195] op_sel:[0,1]
	v_pk_mul_f32 v[220:221], v[200:201], v[194:195] op_sel:[0,1]
	s_wait_dscnt 0x3
	v_pk_mul_f32 v[222:223], v[202:203], v[194:195] op_sel:[0,1]
	v_dual_mov_b32 v224, v205 :: v_dual_mov_b32 v225, v204
	v_pk_fma_f32 v[236:237], v[198:199], v[196:197], v[218:219] op_sel:[0,0,1] op_sel_hi:[1,1,0] neg_lo:[0,0,1] neg_hi:[0,0,1]
	v_pk_fma_f32 v[198:199], v[198:199], v[196:197], v[218:219] op_sel:[0,0,1] op_sel_hi:[1,0,0]
	v_pk_fma_f32 v[218:219], v[200:201], v[196:197], v[220:221] op_sel:[0,0,1] op_sel_hi:[1,1,0] neg_lo:[0,0,1] neg_hi:[0,0,1]
	v_pk_fma_f32 v[200:201], v[200:201], v[196:197], v[220:221] op_sel:[0,0,1] op_sel_hi:[1,0,0]
	v_dual_mul_f32 v226, v205, v195 :: v_dual_mul_f32 v228, v205, v196
	s_wait_dscnt 0x2
	v_pk_mul_f32 v[230:231], v[206:207], v[194:195] op_sel:[0,1]
	v_pk_fma_f32 v[220:221], v[202:203], v[196:197], v[222:223] op_sel:[0,0,1] op_sel_hi:[1,1,0] neg_lo:[0,0,1] neg_hi:[0,0,1]
	v_pk_fma_f32 v[202:203], v[202:203], v[196:197], v[222:223] op_sel:[0,0,1] op_sel_hi:[1,0,0]
	v_pk_mul_f32 v[232:233], v[208:209], v[194:195] op_sel:[0,1]
	v_dual_mov_b32 v237, v199 :: v_dual_mov_b32 v219, v201
	v_pk_fma_f32 v[222:223], v[224:225], v[52:53], v[228:229] op_sel_hi:[1,1,0]
	s_delay_alu instid0(VALU_DEP_4)
	v_mov_b32_e32 v221, v203
	v_pk_fma_f32 v[202:203], v[206:207], v[196:197], v[230:231] op_sel:[0,0,1] op_sel_hi:[1,0,0]
	s_wait_dscnt 0x1
	v_pk_mul_f32 v[234:235], v[210:211], v[194:195] op_sel:[0,1]
	v_pk_add_f32 v[94:95], v[94:95], v[218:219] neg_lo:[0,1] neg_hi:[0,1]
	v_pk_fma_f32 v[218:219], v[208:209], v[196:197], v[232:233] op_sel:[0,0,1] op_sel_hi:[1,0,0]
	ds_load_2addr_b64 v[198:201], v0 offset0:22 offset1:23
	v_pk_fma_f32 v[206:207], v[206:207], v[196:197], v[230:231] op_sel:[0,0,1] op_sel_hi:[1,1,0] neg_lo:[0,0,1] neg_hi:[0,0,1]
	v_pk_fma_f32 v[204:205], v[204:205], v[52:53], v[226:227] op_sel_hi:[1,1,0] neg_lo:[0,0,1] neg_hi:[0,0,1]
	v_mov_b32_e32 v207, v203
	v_pk_fma_f32 v[202:203], v[208:209], v[196:197], v[232:233] op_sel:[0,0,1] op_sel_hi:[1,1,0] neg_lo:[0,0,1] neg_hi:[0,0,1]
	v_mov_b32_e32 v205, v223
	v_pk_add_f32 v[96:97], v[96:97], v[220:221] neg_lo:[0,1] neg_hi:[0,1]
	v_pk_fma_f32 v[220:221], v[210:211], v[196:197], v[234:235] op_sel:[0,0,1] op_sel_hi:[1,0,0]
	v_mov_b32_e32 v203, v219
	v_pk_fma_f32 v[208:209], v[210:211], v[196:197], v[234:235] op_sel:[0,0,1] op_sel_hi:[1,1,0] neg_lo:[0,0,1] neg_hi:[0,0,1]
	v_pk_add_f32 v[92:93], v[92:93], v[204:205] neg_lo:[0,1] neg_hi:[0,1]
	v_pk_mul_f32 v[204:205], v[212:213], v[194:195] op_sel:[0,1]
	v_mov_b32_e32 v209, v221
	v_pk_add_f32 v[118:119], v[118:119], v[202:203] neg_lo:[0,1] neg_hi:[0,1]
	s_wait_dscnt 0x1
	v_mul_f32_e32 v202, v215, v196
	v_pk_add_f32 v[120:121], v[120:121], v[206:207] neg_lo:[0,1] neg_hi:[0,1]
	v_pk_fma_f32 v[210:211], v[212:213], v[196:197], v[204:205] op_sel:[0,0,1] op_sel_hi:[1,1,0] neg_lo:[0,0,1] neg_hi:[0,0,1]
	v_pk_fma_f32 v[206:207], v[212:213], v[196:197], v[204:205] op_sel:[0,0,1] op_sel_hi:[1,0,0]
	v_pk_add_f32 v[90:91], v[90:91], v[208:209] neg_lo:[0,1] neg_hi:[0,1]
	v_pk_fma_f32 v[212:213], v[214:215], v[52:53], v[202:203] op_sel:[1,0,0] op_sel_hi:[0,1,0]
	ds_load_2addr_b64 v[202:205], v0 offset0:24 offset1:25
	v_mul_f32_e32 v206, v215, v195
	v_pk_mul_f32 v[208:209], v[216:217], v[194:195] op_sel:[0,1]
	s_wait_dscnt 0x1
	v_pk_mul_f32 v[218:219], v[198:199], v[194:195] op_sel:[0,1]
	v_pk_add_f32 v[98:99], v[98:99], v[236:237] neg_lo:[0,1] neg_hi:[0,1]
	v_pk_fma_f32 v[214:215], v[214:215], v[52:53], v[206:207] op_sel_hi:[1,1,0] neg_lo:[0,0,1] neg_hi:[0,0,1]
	v_pk_fma_f32 v[220:221], v[216:217], v[196:197], v[208:209] op_sel:[0,0,1] op_sel_hi:[1,0,0]
	v_mov_b32_e32 v215, v213
	v_pk_fma_f32 v[212:213], v[216:217], v[196:197], v[208:209] op_sel:[0,0,1] op_sel_hi:[1,1,0] neg_lo:[0,0,1] neg_hi:[0,0,1]
	v_pk_fma_f32 v[216:217], v[198:199], v[196:197], v[218:219] op_sel:[0,0,1] op_sel_hi:[1,0,0]
	s_delay_alu instid0(VALU_DEP_4)
	v_dual_mov_b32 v211, v207 :: v_dual_mov_b32 v213, v221
	v_pk_fma_f32 v[198:199], v[198:199], v[196:197], v[218:219] op_sel:[0,0,1] op_sel_hi:[1,1,0] neg_lo:[0,0,1] neg_hi:[0,0,1]
	v_pk_mul_f32 v[218:219], v[200:201], v[194:195] op_sel:[0,1]
	ds_load_2addr_b64 v[206:209], v0 offset0:26 offset1:27
	v_mov_b32_e32 v199, v217
	v_pk_add_f32 v[138:139], v[138:139], v[214:215] neg_lo:[0,1] neg_hi:[0,1]
	v_pk_add_f32 v[116:117], v[116:117], v[210:211] neg_lo:[0,1] neg_hi:[0,1]
	v_pk_fma_f32 v[214:215], v[200:201], v[196:197], v[218:219] op_sel:[0,0,1] op_sel_hi:[1,0,0]
	v_pk_add_f32 v[78:79], v[78:79], v[212:213] neg_lo:[0,1] neg_hi:[0,1]
	ds_load_2addr_b64 v[210:213], v0 offset0:28 offset1:29
	s_wait_dscnt 0x2
	v_mov_b32_e32 v214, v205
	v_pk_add_f32 v[80:81], v[80:81], v[198:199] neg_lo:[0,1] neg_hi:[0,1]
	v_pk_fma_f32 v[198:199], v[200:201], v[196:197], v[218:219] op_sel:[0,0,1] op_sel_hi:[1,1,0] neg_lo:[0,0,1] neg_hi:[0,0,1]
	v_pk_mul_f32 v[200:201], v[202:203], v[194:195] op_sel:[0,1]
	v_dual_mov_b32 v199, v215 :: v_dual_mov_b32 v215, v204
	v_mul_f32_e32 v216, v205, v196
	s_delay_alu instid0(VALU_DEP_3) | instskip(NEXT) | instid1(VALU_DEP_3)
	v_pk_fma_f32 v[218:219], v[202:203], v[196:197], v[200:201] op_sel:[0,0,1] op_sel_hi:[1,0,0]
	v_pk_add_f32 v[76:77], v[76:77], v[198:199] neg_lo:[0,1] neg_hi:[0,1]
	v_mul_f32_e32 v198, v205, v195
	v_pk_fma_f32 v[202:203], v[202:203], v[196:197], v[200:201] op_sel:[0,0,1] op_sel_hi:[1,1,0] neg_lo:[0,0,1] neg_hi:[0,0,1]
	v_pk_fma_f32 v[214:215], v[214:215], v[52:53], v[216:217] op_sel_hi:[1,1,0]
	v_mov_b32_e32 v203, v219
	s_wait_dscnt 0x1
	v_pk_mul_f32 v[216:217], v[206:207], v[194:195] op_sel:[0,1]
	v_pk_fma_f32 v[204:205], v[204:205], v[52:53], v[198:199] op_sel_hi:[1,1,0] neg_lo:[0,0,1] neg_hi:[0,0,1]
	ds_load_2addr_b64 v[198:201], v0 offset0:30 offset1:31
	v_mov_b32_e32 v205, v215
	v_pk_add_f32 v[106:107], v[106:107], v[202:203] neg_lo:[0,1] neg_hi:[0,1]
	v_pk_fma_f32 v[202:203], v[206:207], v[196:197], v[216:217] op_sel:[0,0,1] op_sel_hi:[1,0,0]
	v_pk_mul_f32 v[214:215], v[208:209], v[194:195] op_sel:[0,1]
	s_wait_dscnt 0x1
	v_pk_mul_f32 v[218:219], v[210:211], v[194:195] op_sel:[0,1]
	v_pk_fma_f32 v[206:207], v[206:207], v[196:197], v[216:217] op_sel:[0,0,1] op_sel_hi:[1,1,0] neg_lo:[0,0,1] neg_hi:[0,0,1]
	v_pk_add_f32 v[102:103], v[102:103], v[204:205] neg_lo:[0,1] neg_hi:[0,1]
	v_pk_fma_f32 v[216:217], v[208:209], v[196:197], v[214:215] op_sel:[0,0,1] op_sel_hi:[1,0,0]
	v_mov_b32_e32 v207, v203
	ds_load_2addr_b64 v[202:205], v0 offset0:32 offset1:33
	v_pk_fma_f32 v[220:221], v[210:211], v[196:197], v[218:219] op_sel:[0,0,1] op_sel_hi:[1,0,0]
	v_pk_fma_f32 v[208:209], v[208:209], v[196:197], v[214:215] op_sel:[0,0,1] op_sel_hi:[1,1,0] neg_lo:[0,0,1] neg_hi:[0,0,1]
	v_pk_mul_f32 v[214:215], v[212:213], v[194:195] op_sel:[0,1]
	v_pk_fma_f32 v[210:211], v[210:211], v[196:197], v[218:219] op_sel:[0,0,1] op_sel_hi:[1,1,0] neg_lo:[0,0,1] neg_hi:[0,0,1]
	s_delay_alu instid0(VALU_DEP_4) | instskip(SKIP_1) | instid1(VALU_DEP_4)
	v_dual_mov_b32 v209, v217 :: v_dual_mov_b32 v211, v221
	v_pk_add_f32 v[104:105], v[104:105], v[206:207] neg_lo:[0,1] neg_hi:[0,1]
	v_pk_fma_f32 v[206:207], v[212:213], v[196:197], v[214:215] op_sel:[0,0,1] op_sel_hi:[1,0,0]
	s_wait_dscnt 0x1
	v_mul_f32_e32 v206, v199, v196
	v_pk_add_f32 v[100:101], v[100:101], v[208:209] neg_lo:[0,1] neg_hi:[0,1]
	v_pk_add_f32 v[128:129], v[128:129], v[210:211] neg_lo:[0,1] neg_hi:[0,1]
	v_pk_fma_f32 v[210:211], v[212:213], v[196:197], v[214:215] op_sel:[0,0,1] op_sel_hi:[1,1,0] neg_lo:[0,0,1] neg_hi:[0,0,1]
	v_mul_f32_e32 v212, v199, v195
	v_pk_fma_f32 v[214:215], v[198:199], v[52:53], v[206:207] op_sel:[1,0,0] op_sel_hi:[0,1,0]
	v_mov_b32_e32 v211, v207
	ds_load_2addr_b64 v[206:209], v0 offset0:34 offset1:35
	v_pk_mul_f32 v[216:217], v[200:201], v[194:195] op_sel:[0,1]
	v_pk_fma_f32 v[198:199], v[198:199], v[52:53], v[212:213] op_sel_hi:[1,1,0] neg_lo:[0,0,1] neg_hi:[0,0,1]
	v_mov_b32_e32 v199, v215
	s_wait_dscnt 0x1
	v_pk_mul_f32 v[214:215], v[202:203], v[194:195] op_sel:[0,1]
	v_pk_add_f32 v[124:125], v[124:125], v[210:211] neg_lo:[0,1] neg_hi:[0,1]
	v_pk_fma_f32 v[218:219], v[200:201], v[196:197], v[216:217] op_sel:[0,0,1] op_sel_hi:[1,0,0]
	v_pk_mul_f32 v[220:221], v[204:205], v[194:195] op_sel:[0,1]
	ds_load_2addr_b64 v[210:213], v0 offset0:36 offset1:37
	v_pk_add_f32 v[126:127], v[126:127], v[198:199] neg_lo:[0,1] neg_hi:[0,1]
	v_pk_fma_f32 v[198:199], v[202:203], v[196:197], v[214:215] op_sel:[0,0,1] op_sel_hi:[1,0,0]
	v_pk_fma_f32 v[200:201], v[200:201], v[196:197], v[216:217] op_sel:[0,0,1] op_sel_hi:[1,1,0] neg_lo:[0,0,1] neg_hi:[0,0,1]
	v_pk_fma_f32 v[216:217], v[204:205], v[196:197], v[220:221] op_sel:[0,0,1] op_sel_hi:[1,0,0]
	v_mov_b32_e32 v201, v219
	v_pk_fma_f32 v[202:203], v[202:203], v[196:197], v[214:215] op_sel:[0,0,1] op_sel_hi:[1,1,0] neg_lo:[0,0,1] neg_hi:[0,0,1]
	v_mov_b32_e32 v203, v199
	v_pk_fma_f32 v[204:205], v[204:205], v[196:197], v[220:221] op_sel:[0,0,1] op_sel_hi:[1,1,0] neg_lo:[0,0,1] neg_hi:[0,0,1]
	v_mov_b32_e32 v205, v217
	v_pk_add_f32 v[122:123], v[122:123], v[200:201] neg_lo:[0,1] neg_hi:[0,1]
	ds_load_2addr_b64 v[198:201], v0 offset0:38 offset1:39
	v_pk_add_f32 v[148:149], v[148:149], v[202:203] neg_lo:[0,1] neg_hi:[0,1]
	s_wait_dscnt 0x2
	v_pk_mul_f32 v[202:203], v[206:207], v[194:195] op_sel:[0,1]
	v_pk_add_f32 v[144:145], v[144:145], v[204:205] neg_lo:[0,1] neg_hi:[0,1]
	v_dual_mov_b32 v204, v209 :: v_dual_mov_b32 v205, v208
	v_mul_f32_e32 v214, v209, v196
	s_delay_alu instid0(VALU_DEP_4)
	v_pk_fma_f32 v[216:217], v[206:207], v[196:197], v[202:203] op_sel:[0,0,1] op_sel_hi:[1,1,0] neg_lo:[0,0,1] neg_hi:[0,0,1]
	v_pk_fma_f32 v[206:207], v[206:207], v[196:197], v[202:203] op_sel:[0,0,1] op_sel_hi:[1,0,0]
	v_mul_f32_e32 v206, v209, v195
	s_wait_dscnt 0x1
	v_pk_mul_f32 v[218:219], v[210:211], v[194:195] op_sel:[0,1]
	v_pk_fma_f32 v[214:215], v[204:205], v[52:53], v[214:215] op_sel_hi:[1,1,0]
	ds_load_2addr_b64 v[202:205], v0 offset0:40 offset1:41
	v_mov_b32_e32 v217, v207
	v_pk_fma_f32 v[206:207], v[208:209], v[52:53], v[206:207] op_sel_hi:[1,1,0] neg_lo:[0,0,1] neg_hi:[0,0,1]
	v_pk_fma_f32 v[220:221], v[210:211], v[196:197], v[218:219] op_sel:[0,0,1] op_sel_hi:[1,0,0]
	v_mov_b32_e32 v207, v215
	v_pk_fma_f32 v[208:209], v[210:211], v[196:197], v[218:219] op_sel:[0,0,1] op_sel_hi:[1,1,0] neg_lo:[0,0,1] neg_hi:[0,0,1]
	v_pk_mul_f32 v[210:211], v[212:213], v[194:195] op_sel:[0,1]
	v_pk_add_f32 v[146:147], v[146:147], v[216:217] neg_lo:[0,1] neg_hi:[0,1]
	s_wait_dscnt 0x1
	v_pk_mul_f32 v[214:215], v[198:199], v[194:195] op_sel:[0,1]
	v_pk_add_f32 v[142:143], v[142:143], v[206:207] neg_lo:[0,1] neg_hi:[0,1]
	v_pk_mul_f32 v[216:217], v[200:201], v[194:195] op_sel:[0,1]
	v_pk_fma_f32 v[206:207], v[212:213], v[196:197], v[210:211] op_sel:[0,0,1] op_sel_hi:[1,0,0]
	v_mov_b32_e32 v209, v221
	v_pk_fma_f32 v[210:211], v[212:213], v[196:197], v[210:211] op_sel:[0,0,1] op_sel_hi:[1,1,0] neg_lo:[0,0,1] neg_hi:[0,0,1]
	s_delay_alu instid0(VALU_DEP_3) | instskip(NEXT) | instid1(VALU_DEP_3)
	v_mov_b32_e32 v211, v207
	v_pk_add_f32 v[164:165], v[164:165], v[208:209] neg_lo:[0,1] neg_hi:[0,1]
	v_pk_fma_f32 v[208:209], v[198:199], v[196:197], v[214:215] op_sel:[0,0,1] op_sel_hi:[1,0,0]
	v_pk_fma_f32 v[198:199], v[198:199], v[196:197], v[214:215] op_sel:[0,0,1] op_sel_hi:[1,1,0] neg_lo:[0,0,1] neg_hi:[0,0,1]
	s_wait_dscnt 0x0
	v_dual_mul_f32 v194, v203, v196 :: v_dual_mov_b32 v208, v205
	v_mul_f32_e32 v212, v205, v196
	v_dual_mov_b32 v199, v209 :: v_dual_mov_b32 v209, v204
	v_pk_fma_f32 v[206:207], v[200:201], v[196:197], v[216:217] op_sel:[0,0,1] op_sel_hi:[1,1,0] neg_lo:[0,0,1] neg_hi:[0,0,1]
	v_pk_fma_f32 v[196:197], v[200:201], v[196:197], v[216:217] op_sel:[0,0,1] op_sel_hi:[1,0,0]
	v_mul_f32_e32 v196, v203, v195
	v_pk_fma_f32 v[200:201], v[202:203], v[52:53], v[194:195] op_sel:[1,0,0] op_sel_hi:[0,1,0]
	v_mul_f32_e32 v194, v205, v195
	v_pk_fma_f32 v[208:209], v[208:209], v[52:53], v[212:213] op_sel_hi:[1,1,0]
	v_mov_b32_e32 v207, v197
	v_pk_fma_f32 v[196:197], v[202:203], v[52:53], v[196:197] op_sel_hi:[1,1,0] neg_lo:[0,0,1] neg_hi:[0,0,1]
	v_mov_b32_e32 v197, v201
	v_pk_fma_f32 v[194:195], v[204:205], v[52:53], v[194:195] op_sel_hi:[1,1,0] neg_lo:[0,0,1] neg_hi:[0,0,1]
	v_mov_b32_e32 v195, v209
	v_pk_add_f32 v[160:161], v[160:161], v[210:211] neg_lo:[0,1] neg_hi:[0,1]
	v_pk_add_f32 v[162:163], v[162:163], v[198:199] neg_lo:[0,1] neg_hi:[0,1]
	;; [unrolled: 1-line block ×5, first 2 shown]
.LBB83_109:
	s_or_b32 exec_lo, exec_lo, s1
	s_delay_alu instid0(SALU_CYCLE_1)
	s_mov_b32 s2, exec_lo
	s_wait_dscnt 0x0
	s_barrier_signal -1
	s_barrier_wait -1
	v_cmpx_eq_u32_e32 12, v254
	s_cbranch_execz .LBB83_116
; %bb.110:
	ds_store_b64 v255, v[98:99]
	ds_store_2addr_b64 v0, v[94:95], v[96:97] offset0:13 offset1:14
	ds_store_2addr_b64 v0, v[92:93], v[120:121] offset0:15 offset1:16
	;; [unrolled: 1-line block ×14, first 2 shown]
	ds_store_b64 v0, v[168:169] offset:328
	ds_load_b64 v[194:195], v255
	s_wait_dscnt 0x0
	v_cmp_neq_f32_e32 vcc_lo, 0, v194
	v_cmp_neq_f32_e64 s1, 0, v195
	s_or_b32 s1, vcc_lo, s1
	s_delay_alu instid0(SALU_CYCLE_1)
	s_and_b32 exec_lo, exec_lo, s1
	s_cbranch_execz .LBB83_116
; %bb.111:
	v_cmp_ngt_f32_e64 s1, |v194|, |v195|
                                        ; implicit-def: $vgpr196_vgpr197
	s_and_saveexec_b32 s4, s1
	s_delay_alu instid0(SALU_CYCLE_1)
	s_xor_b32 s1, exec_lo, s4
	s_cbranch_execz .LBB83_113
; %bb.112:
	v_div_scale_f32 v1, null, v195, v195, v194
	v_div_scale_f32 v6, vcc_lo, v194, v195, v194
	s_delay_alu instid0(VALU_DEP_2) | instskip(SKIP_1) | instid1(TRANS32_DEP_1)
	v_rcp_f32_e32 v4, v1
	v_nop
	v_fma_f32 v5, -v1, v4, 1.0
	s_delay_alu instid0(VALU_DEP_1) | instskip(NEXT) | instid1(VALU_DEP_1)
	v_fmac_f32_e32 v4, v5, v4
	v_mul_f32_e32 v5, v6, v4
	s_delay_alu instid0(VALU_DEP_1) | instskip(NEXT) | instid1(VALU_DEP_1)
	v_fma_f32 v7, -v1, v5, v6
	v_fmac_f32_e32 v5, v7, v4
	s_delay_alu instid0(VALU_DEP_1) | instskip(NEXT) | instid1(VALU_DEP_1)
	v_fma_f32 v1, -v1, v5, v6
	v_div_fmas_f32 v1, v1, v4, v5
	s_delay_alu instid0(VALU_DEP_1) | instskip(NEXT) | instid1(VALU_DEP_1)
	v_div_fixup_f32 v1, v1, v195, v194
	v_fmac_f32_e32 v195, v194, v1
	s_delay_alu instid0(VALU_DEP_1) | instskip(SKIP_1) | instid1(VALU_DEP_2)
	v_div_scale_f32 v4, null, v195, v195, 1.0
	v_div_scale_f32 v7, vcc_lo, 1.0, v195, 1.0
	v_rcp_f32_e32 v5, v4
	v_nop
	s_delay_alu instid0(TRANS32_DEP_1) | instskip(NEXT) | instid1(VALU_DEP_1)
	v_fma_f32 v6, -v4, v5, 1.0
	v_fmac_f32_e32 v5, v6, v5
	s_delay_alu instid0(VALU_DEP_1) | instskip(NEXT) | instid1(VALU_DEP_1)
	v_mul_f32_e32 v6, v7, v5
	v_fma_f32 v8, -v4, v6, v7
	s_delay_alu instid0(VALU_DEP_1) | instskip(NEXT) | instid1(VALU_DEP_1)
	v_fmac_f32_e32 v6, v8, v5
	v_fma_f32 v4, -v4, v6, v7
	s_delay_alu instid0(VALU_DEP_1) | instskip(NEXT) | instid1(VALU_DEP_1)
	v_div_fmas_f32 v4, v4, v5, v6
	v_div_fixup_f32 v4, v4, v195, 1.0
                                        ; implicit-def: $vgpr194_vgpr195
	s_delay_alu instid0(VALU_DEP_1)
	v_mul_f32_e32 v196, v1, v4
	v_xor_b32_e32 v197, 0x80000000, v4
.LBB83_113:
	s_and_not1_saveexec_b32 s1, s1
	s_cbranch_execz .LBB83_115
; %bb.114:
	v_div_scale_f32 v1, null, v194, v194, v195
	v_div_scale_f32 v6, vcc_lo, v195, v194, v195
	s_delay_alu instid0(VALU_DEP_2) | instskip(SKIP_1) | instid1(TRANS32_DEP_1)
	v_rcp_f32_e32 v4, v1
	v_nop
	v_fma_f32 v5, -v1, v4, 1.0
	s_delay_alu instid0(VALU_DEP_1) | instskip(NEXT) | instid1(VALU_DEP_1)
	v_fmac_f32_e32 v4, v5, v4
	v_mul_f32_e32 v5, v6, v4
	s_delay_alu instid0(VALU_DEP_1) | instskip(NEXT) | instid1(VALU_DEP_1)
	v_fma_f32 v7, -v1, v5, v6
	v_fmac_f32_e32 v5, v7, v4
	s_delay_alu instid0(VALU_DEP_1) | instskip(NEXT) | instid1(VALU_DEP_1)
	v_fma_f32 v1, -v1, v5, v6
	v_div_fmas_f32 v1, v1, v4, v5
	s_delay_alu instid0(VALU_DEP_1) | instskip(NEXT) | instid1(VALU_DEP_1)
	v_div_fixup_f32 v1, v1, v194, v195
	v_fmac_f32_e32 v194, v195, v1
	s_delay_alu instid0(VALU_DEP_1) | instskip(NEXT) | instid1(VALU_DEP_1)
	v_div_scale_f32 v4, null, v194, v194, 1.0
	v_rcp_f32_e32 v5, v4
	v_nop
	s_delay_alu instid0(TRANS32_DEP_1) | instskip(NEXT) | instid1(VALU_DEP_1)
	v_fma_f32 v6, -v4, v5, 1.0
	v_fmac_f32_e32 v5, v6, v5
	v_div_scale_f32 v6, vcc_lo, 1.0, v194, 1.0
	s_delay_alu instid0(VALU_DEP_1) | instskip(NEXT) | instid1(VALU_DEP_1)
	v_mul_f32_e32 v7, v6, v5
	v_fma_f32 v8, -v4, v7, v6
	s_delay_alu instid0(VALU_DEP_1) | instskip(NEXT) | instid1(VALU_DEP_1)
	v_fmac_f32_e32 v7, v8, v5
	v_fma_f32 v4, -v4, v7, v6
	s_delay_alu instid0(VALU_DEP_1) | instskip(NEXT) | instid1(VALU_DEP_1)
	v_div_fmas_f32 v4, v4, v5, v7
	v_div_fixup_f32 v196, v4, v194, 1.0
	s_delay_alu instid0(VALU_DEP_1)
	v_mul_f32_e64 v197, v1, -v196
.LBB83_115:
	s_or_b32 exec_lo, exec_lo, s1
	ds_store_b64 v255, v[196:197]
.LBB83_116:
	s_or_b32 exec_lo, exec_lo, s2
	s_wait_dscnt 0x0
	s_barrier_signal -1
	s_barrier_wait -1
	ds_load_b64 v[194:195], v255
	s_mov_b32 s1, exec_lo
	v_cmpx_lt_u32_e32 12, v254
	s_cbranch_execz .LBB83_118
; %bb.117:
	ds_load_2addr_b64 v[200:203], v0 offset0:13 offset1:14
	ds_load_2addr_b64 v[204:207], v0 offset0:15 offset1:16
	;; [unrolled: 1-line block ×3, first 2 shown]
	s_wait_dscnt 0x3
	v_pk_mul_f32 v[198:199], v[194:195], v[98:99] op_sel:[1,1] op_sel_hi:[0,1]
	ds_load_2addr_b64 v[212:215], v0 offset0:19 offset1:20
	ds_load_2addr_b64 v[216:219], v0 offset0:21 offset1:22
	v_pk_fma_f32 v[196:197], v[194:195], v[98:99], v[198:199] op_sel_hi:[1,0,1] neg_lo:[0,0,1] neg_hi:[0,0,1]
	v_pk_fma_f32 v[198:199], v[194:195], v[98:99], v[198:199] op_sel_hi:[1,0,1]
	s_delay_alu instid0(VALU_DEP_1) | instskip(SKIP_1) | instid1(VALU_DEP_2)
	v_dual_mov_b32 v98, v196 :: v_dual_mov_b32 v99, v199
	s_wait_dscnt 0x4
	v_pk_mul_f32 v[220:221], v[200:201], v[198:199] op_sel:[0,1]
	v_pk_mul_f32 v[222:223], v[202:203], v[198:199] op_sel:[0,1]
	s_wait_dscnt 0x3
	v_pk_mul_f32 v[224:225], v[204:205], v[198:199] op_sel:[0,1]
	v_dual_mov_b32 v226, v207 :: v_dual_mov_b32 v227, v206
	v_dual_mul_f32 v228, v207, v199 :: v_dual_mul_f32 v230, v207, v196
	s_wait_dscnt 0x2
	v_pk_mul_f32 v[232:233], v[208:209], v[198:199] op_sel:[0,1]
	v_pk_mul_f32 v[234:235], v[210:211], v[198:199] op_sel:[0,1]
	v_pk_fma_f32 v[236:237], v[200:201], v[196:197], v[220:221] op_sel:[0,0,1] op_sel_hi:[1,1,0] neg_lo:[0,0,1] neg_hi:[0,0,1]
	v_pk_fma_f32 v[200:201], v[200:201], v[196:197], v[220:221] op_sel:[0,0,1] op_sel_hi:[1,0,0]
	v_pk_fma_f32 v[220:221], v[202:203], v[196:197], v[222:223] op_sel:[0,0,1] op_sel_hi:[1,1,0] neg_lo:[0,0,1] neg_hi:[0,0,1]
	v_pk_fma_f32 v[202:203], v[202:203], v[196:197], v[222:223] op_sel:[0,0,1] op_sel_hi:[1,0,0]
	;; [unrolled: 2-line block ×3, first 2 shown]
	v_pk_fma_f32 v[224:225], v[226:227], v[98:99], v[230:231] op_sel_hi:[1,1,0]
	v_pk_fma_f32 v[226:227], v[208:209], v[196:197], v[232:233] op_sel:[0,0,1] op_sel_hi:[1,1,0] neg_lo:[0,0,1] neg_hi:[0,0,1]
	v_pk_fma_f32 v[208:209], v[208:209], v[196:197], v[232:233] op_sel:[0,0,1] op_sel_hi:[1,0,0]
	v_dual_mov_b32 v237, v201 :: v_dual_mov_b32 v221, v203
	v_pk_fma_f32 v[200:201], v[210:211], v[196:197], v[234:235] op_sel:[0,0,1] op_sel_hi:[1,0,0]
	v_pk_fma_f32 v[202:203], v[210:211], v[196:197], v[234:235] op_sel:[0,0,1] op_sel_hi:[1,1,0] neg_lo:[0,0,1] neg_hi:[0,0,1]
	s_delay_alu instid0(VALU_DEP_4)
	v_mov_b32_e32 v227, v209
	v_pk_fma_f32 v[206:207], v[206:207], v[98:99], v[228:229] op_sel_hi:[1,1,0] neg_lo:[0,0,1] neg_hi:[0,0,1]
	v_dual_mov_b32 v223, v205 :: v_dual_mov_b32 v207, v225
	v_mov_b32_e32 v203, v201
	s_wait_dscnt 0x1
	v_pk_mul_f32 v[204:205], v[212:213], v[198:199] op_sel:[0,1]
	v_pk_add_f32 v[96:97], v[96:97], v[220:221] neg_lo:[0,1] neg_hi:[0,1]
	s_wait_dscnt 0x0
	v_pk_mul_f32 v[220:221], v[218:219], v[198:199] op_sel:[0,1]
	v_pk_add_f32 v[120:121], v[120:121], v[206:207] neg_lo:[0,1] neg_hi:[0,1]
	v_pk_add_f32 v[90:91], v[90:91], v[202:203] neg_lo:[0,1] neg_hi:[0,1]
	ds_load_2addr_b64 v[200:203], v0 offset0:23 offset1:24
	v_pk_fma_f32 v[208:209], v[212:213], v[196:197], v[204:205] op_sel:[0,0,1] op_sel_hi:[1,0,0]
	v_pk_fma_f32 v[210:211], v[212:213], v[196:197], v[204:205] op_sel:[0,0,1] op_sel_hi:[1,1,0] neg_lo:[0,0,1] neg_hi:[0,0,1]
	v_pk_mul_f32 v[212:213], v[214:215], v[198:199] op_sel:[0,1]
	ds_load_2addr_b64 v[204:207], v0 offset0:25 offset1:26
	v_mul_f32_e32 v208, v217, v196
	v_pk_add_f32 v[92:93], v[92:93], v[222:223] neg_lo:[0,1] neg_hi:[0,1]
	v_pk_add_f32 v[118:119], v[118:119], v[226:227] neg_lo:[0,1] neg_hi:[0,1]
	v_pk_fma_f32 v[222:223], v[214:215], v[196:197], v[212:213] op_sel:[0,0,1] op_sel_hi:[1,0,0]
	v_mul_f32_e32 v222, v217, v199
	v_mov_b32_e32 v211, v209
	v_pk_fma_f32 v[208:209], v[216:217], v[98:99], v[208:209] op_sel:[1,0,0] op_sel_hi:[0,1,0]
	v_pk_fma_f32 v[212:213], v[214:215], v[196:197], v[212:213] op_sel:[0,0,1] op_sel_hi:[1,1,0] neg_lo:[0,0,1] neg_hi:[0,0,1]
	v_pk_fma_f32 v[214:215], v[218:219], v[196:197], v[220:221] op_sel:[0,0,1] op_sel_hi:[1,0,0]
	v_mov_b32_e32 v213, v223
	v_pk_fma_f32 v[216:217], v[216:217], v[98:99], v[222:223] op_sel_hi:[1,1,0] neg_lo:[0,0,1] neg_hi:[0,0,1]
	v_mov_b32_e32 v217, v209
	v_pk_fma_f32 v[208:209], v[218:219], v[196:197], v[220:221] op_sel:[0,0,1] op_sel_hi:[1,1,0] neg_lo:[0,0,1] neg_hi:[0,0,1]
	v_mov_b32_e32 v209, v215
	v_pk_add_f32 v[138:139], v[138:139], v[212:213] neg_lo:[0,1] neg_hi:[0,1]
	s_wait_dscnt 0x1
	v_pk_mul_f32 v[212:213], v[200:201], v[198:199] op_sel:[0,1]
	v_pk_add_f32 v[116:117], v[116:117], v[210:211] neg_lo:[0,1] neg_hi:[0,1]
	v_pk_add_f32 v[78:79], v[78:79], v[216:217] neg_lo:[0,1] neg_hi:[0,1]
	;; [unrolled: 1-line block ×3, first 2 shown]
	ds_load_2addr_b64 v[208:211], v0 offset0:27 offset1:28
	s_wait_dscnt 0x1
	v_pk_mul_f32 v[218:219], v[204:205], v[198:199] op_sel:[0,1]
	v_pk_mul_f32 v[216:217], v[202:203], v[198:199] op_sel:[0,1]
	v_pk_fma_f32 v[220:221], v[200:201], v[196:197], v[212:213] op_sel:[0,0,1] op_sel_hi:[1,0,0]
	v_pk_fma_f32 v[200:201], v[200:201], v[196:197], v[212:213] op_sel:[0,0,1] op_sel_hi:[1,1,0] neg_lo:[0,0,1] neg_hi:[0,0,1]
	ds_load_2addr_b64 v[212:215], v0 offset0:29 offset1:30
	v_pk_fma_f32 v[224:225], v[204:205], v[196:197], v[218:219] op_sel:[0,0,1] op_sel_hi:[1,0,0]
	v_pk_fma_f32 v[222:223], v[202:203], v[196:197], v[216:217] op_sel:[0,0,1] op_sel_hi:[1,0,0]
	v_pk_fma_f32 v[204:205], v[204:205], v[196:197], v[218:219] op_sel:[0,0,1] op_sel_hi:[1,1,0] neg_lo:[0,0,1] neg_hi:[0,0,1]
	v_pk_fma_f32 v[202:203], v[202:203], v[196:197], v[216:217] op_sel:[0,0,1] op_sel_hi:[1,1,0] neg_lo:[0,0,1] neg_hi:[0,0,1]
	s_delay_alu instid0(VALU_DEP_4) | instskip(SKIP_2) | instid1(VALU_DEP_3)
	v_dual_mov_b32 v216, v207 :: v_dual_mov_b32 v205, v225
	v_dual_mov_b32 v217, v206 :: v_dual_mul_f32 v218, v207, v196
	v_dual_mov_b32 v201, v221 :: v_dual_mov_b32 v203, v223
	v_pk_add_f32 v[102:103], v[102:103], v[204:205] neg_lo:[0,1] neg_hi:[0,1]
	v_pk_add_f32 v[94:95], v[94:95], v[236:237] neg_lo:[0,1] neg_hi:[0,1]
	s_delay_alu instid0(VALU_DEP_4)
	v_pk_fma_f32 v[216:217], v[216:217], v[98:99], v[218:219] op_sel_hi:[1,1,0]
	v_mul_f32_e32 v204, v207, v199
	v_pk_add_f32 v[76:77], v[76:77], v[200:201] neg_lo:[0,1] neg_hi:[0,1]
	v_pk_add_f32 v[106:107], v[106:107], v[202:203] neg_lo:[0,1] neg_hi:[0,1]
	ds_load_2addr_b64 v[200:203], v0 offset0:31 offset1:32
	s_wait_dscnt 0x2
	v_pk_mul_f32 v[218:219], v[208:209], v[198:199] op_sel:[0,1]
	v_pk_mul_f32 v[220:221], v[210:211], v[198:199] op_sel:[0,1]
	v_pk_fma_f32 v[222:223], v[206:207], v[98:99], v[204:205] op_sel_hi:[1,1,0] neg_lo:[0,0,1] neg_hi:[0,0,1]
	v_mov_b32_e32 v223, v217
	s_wait_dscnt 0x1
	v_pk_mul_f32 v[216:217], v[212:213], v[198:199] op_sel:[0,1]
	ds_load_2addr_b64 v[204:207], v0 offset0:33 offset1:34
	v_pk_fma_f32 v[224:225], v[208:209], v[196:197], v[218:219] op_sel:[0,0,1] op_sel_hi:[1,0,0]
	v_pk_fma_f32 v[226:227], v[210:211], v[196:197], v[220:221] op_sel:[0,0,1] op_sel_hi:[1,0,0]
	v_pk_fma_f32 v[208:209], v[208:209], v[196:197], v[218:219] op_sel:[0,0,1] op_sel_hi:[1,1,0] neg_lo:[0,0,1] neg_hi:[0,0,1]
	v_pk_fma_f32 v[218:219], v[212:213], v[196:197], v[216:217] op_sel:[0,0,1] op_sel_hi:[1,0,0]
	v_pk_fma_f32 v[210:211], v[210:211], v[196:197], v[220:221] op_sel:[0,0,1] op_sel_hi:[1,1,0] neg_lo:[0,0,1] neg_hi:[0,0,1]
	s_delay_alu instid0(VALU_DEP_4) | instskip(SKIP_1) | instid1(VALU_DEP_4)
	v_dual_mov_b32 v209, v225 :: v_dual_mov_b32 v211, v227
	v_pk_fma_f32 v[212:213], v[212:213], v[196:197], v[216:217] op_sel:[0,0,1] op_sel_hi:[1,1,0] neg_lo:[0,0,1] neg_hi:[0,0,1]
	v_mov_b32_e32 v213, v219
	v_pk_mul_f32 v[216:217], v[214:215], v[198:199] op_sel:[0,1]
	s_delay_alu instid0(VALU_DEP_4)
	v_pk_add_f32 v[100:101], v[100:101], v[208:209] neg_lo:[0,1] neg_hi:[0,1]
	v_pk_add_f32 v[128:129], v[128:129], v[210:211] neg_lo:[0,1] neg_hi:[0,1]
	ds_load_2addr_b64 v[208:211], v0 offset0:35 offset1:36
	s_wait_dscnt 0x2
	v_mul_f32_e32 v218, v201, v196
	v_pk_add_f32 v[124:125], v[124:125], v[212:213] neg_lo:[0,1] neg_hi:[0,1]
	v_pk_fma_f32 v[212:213], v[214:215], v[196:197], v[216:217] op_sel:[0,0,1] op_sel_hi:[1,1,0] neg_lo:[0,0,1] neg_hi:[0,0,1]
	v_pk_fma_f32 v[214:215], v[214:215], v[196:197], v[216:217] op_sel:[0,0,1] op_sel_hi:[1,0,0]
	v_mul_f32_e32 v214, v201, v199
	v_pk_mul_f32 v[216:217], v[202:203], v[198:199] op_sel:[0,1]
	v_pk_add_f32 v[104:105], v[104:105], v[222:223] neg_lo:[0,1] neg_hi:[0,1]
	v_pk_fma_f32 v[218:219], v[200:201], v[98:99], v[218:219] op_sel:[1,0,0] op_sel_hi:[0,1,0]
	s_wait_dscnt 0x1
	v_pk_mul_f32 v[220:221], v[204:205], v[198:199] op_sel:[0,1]
	v_mov_b32_e32 v213, v215
	v_pk_fma_f32 v[222:223], v[202:203], v[196:197], v[216:217] op_sel:[0,0,1] op_sel_hi:[1,0,0]
	v_pk_fma_f32 v[214:215], v[200:201], v[98:99], v[214:215] op_sel_hi:[1,1,0] neg_lo:[0,0,1] neg_hi:[0,0,1]
	v_pk_fma_f32 v[216:217], v[202:203], v[196:197], v[216:217] op_sel:[0,0,1] op_sel_hi:[1,1,0] neg_lo:[0,0,1] neg_hi:[0,0,1]
	ds_load_2addr_b64 v[200:203], v0 offset0:37 offset1:38
	v_dual_mov_b32 v215, v219 :: v_dual_mov_b32 v217, v223
	v_pk_fma_f32 v[218:219], v[204:205], v[196:197], v[220:221] op_sel:[0,0,1] op_sel_hi:[1,0,0]
	v_pk_fma_f32 v[204:205], v[204:205], v[196:197], v[220:221] op_sel:[0,0,1] op_sel_hi:[1,1,0] neg_lo:[0,0,1] neg_hi:[0,0,1]
	v_pk_add_f32 v[126:127], v[126:127], v[212:213] neg_lo:[0,1] neg_hi:[0,1]
	s_delay_alu instid0(VALU_DEP_4)
	v_pk_add_f32 v[122:123], v[122:123], v[214:215] neg_lo:[0,1] neg_hi:[0,1]
	v_pk_add_f32 v[148:149], v[148:149], v[216:217] neg_lo:[0,1] neg_hi:[0,1]
	v_mov_b32_e32 v205, v219
	v_pk_mul_f32 v[218:219], v[206:207], v[198:199] op_sel:[0,1]
	s_wait_dscnt 0x1
	v_pk_mul_f32 v[216:217], v[208:209], v[198:199] op_sel:[0,1]
	ds_load_b64 v[220:221], v0 offset:328
	v_pk_fma_f32 v[214:215], v[206:207], v[196:197], v[218:219] op_sel:[0,0,1] op_sel_hi:[1,0,0]
	v_pk_fma_f32 v[212:213], v[206:207], v[196:197], v[218:219] op_sel:[0,0,1] op_sel_hi:[1,1,0] neg_lo:[0,0,1] neg_hi:[0,0,1]
	v_mov_b32_e32 v218, v211
	v_pk_add_f32 v[144:145], v[144:145], v[204:205] neg_lo:[0,1] neg_hi:[0,1]
	ds_load_2addr_b64 v[204:207], v0 offset0:39 offset1:40
	v_pk_fma_f32 v[222:223], v[208:209], v[196:197], v[216:217] op_sel:[0,0,1] op_sel_hi:[1,0,0]
	v_mov_b32_e32 v213, v215
	v_pk_fma_f32 v[208:209], v[208:209], v[196:197], v[216:217] op_sel:[0,0,1] op_sel_hi:[1,1,0] neg_lo:[0,0,1] neg_hi:[0,0,1]
	s_wait_dscnt 0x2
	v_pk_mul_f32 v[216:217], v[200:201], v[198:199] op_sel:[0,1]
	v_dual_mov_b32 v219, v210 :: v_dual_mul_f32 v214, v211, v196
	v_mov_b32_e32 v209, v223
	v_pk_add_f32 v[146:147], v[146:147], v[212:213] neg_lo:[0,1] neg_hi:[0,1]
	s_delay_alu instid0(VALU_DEP_4)
	v_pk_fma_f32 v[212:213], v[200:201], v[196:197], v[216:217] op_sel:[0,0,1] op_sel_hi:[1,0,0]
	v_mul_f32_e32 v222, v211, v199
	v_pk_fma_f32 v[214:215], v[218:219], v[98:99], v[214:215] op_sel_hi:[1,1,0]
	v_pk_add_f32 v[142:143], v[142:143], v[208:209] neg_lo:[0,1] neg_hi:[0,1]
	v_pk_mul_f32 v[208:209], v[202:203], v[198:199] op_sel:[0,1]
	v_pk_fma_f32 v[200:201], v[200:201], v[196:197], v[216:217] op_sel:[0,0,1] op_sel_hi:[1,1,0] neg_lo:[0,0,1] neg_hi:[0,0,1]
	v_mov_b32_e32 v201, v213
	v_pk_fma_f32 v[210:211], v[210:211], v[98:99], v[222:223] op_sel_hi:[1,1,0] neg_lo:[0,0,1] neg_hi:[0,0,1]
	s_delay_alu instid0(VALU_DEP_4)
	v_pk_fma_f32 v[212:213], v[202:203], v[196:197], v[208:209] op_sel:[0,0,1] op_sel_hi:[1,0,0]
	v_mov_b32_e32 v211, v215
	v_pk_fma_f32 v[202:203], v[202:203], v[196:197], v[208:209] op_sel:[0,0,1] op_sel_hi:[1,1,0] neg_lo:[0,0,1] neg_hi:[0,0,1]
	s_wait_dscnt 0x0
	v_pk_mul_f32 v[214:215], v[206:207], v[198:199] op_sel:[0,1]
	v_pk_add_f32 v[160:161], v[160:161], v[200:201] neg_lo:[0,1] neg_hi:[0,1]
	v_mov_b32_e32 v203, v213
	v_pk_add_f32 v[164:165], v[164:165], v[210:211] neg_lo:[0,1] neg_hi:[0,1]
	v_pk_mul_f32 v[210:211], v[204:205], v[198:199] op_sel:[0,1]
	v_pk_mul_f32 v[198:199], v[220:221], v[198:199] op_sel:[0,1]
	v_pk_fma_f32 v[212:213], v[206:207], v[196:197], v[214:215] op_sel:[0,0,1] op_sel_hi:[1,0,0]
	v_pk_fma_f32 v[206:207], v[206:207], v[196:197], v[214:215] op_sel:[0,0,1] op_sel_hi:[1,1,0] neg_lo:[0,0,1] neg_hi:[0,0,1]
	v_pk_add_f32 v[162:163], v[162:163], v[202:203] neg_lo:[0,1] neg_hi:[0,1]
	v_pk_fma_f32 v[208:209], v[204:205], v[196:197], v[210:211] op_sel:[0,0,1] op_sel_hi:[1,0,0]
	v_pk_fma_f32 v[204:205], v[204:205], v[196:197], v[210:211] op_sel:[0,0,1] op_sel_hi:[1,1,0] neg_lo:[0,0,1] neg_hi:[0,0,1]
	v_pk_fma_f32 v[210:211], v[220:221], v[196:197], v[198:199] op_sel:[0,0,1] op_sel_hi:[1,0,0]
	v_pk_fma_f32 v[196:197], v[220:221], v[196:197], v[198:199] op_sel:[0,0,1] op_sel_hi:[1,1,0] neg_lo:[0,0,1] neg_hi:[0,0,1]
	s_delay_alu instid0(VALU_DEP_4) | instskip(NEXT) | instid1(VALU_DEP_3)
	v_dual_mov_b32 v207, v213 :: v_dual_mov_b32 v205, v209
	v_mov_b32_e32 v197, v211
	s_delay_alu instid0(VALU_DEP_2) | instskip(NEXT) | instid1(VALU_DEP_3)
	v_pk_add_f32 v[166:167], v[166:167], v[206:207] neg_lo:[0,1] neg_hi:[0,1]
	v_pk_add_f32 v[158:159], v[158:159], v[204:205] neg_lo:[0,1] neg_hi:[0,1]
	s_delay_alu instid0(VALU_DEP_3)
	v_pk_add_f32 v[168:169], v[168:169], v[196:197] neg_lo:[0,1] neg_hi:[0,1]
.LBB83_118:
	s_or_b32 exec_lo, exec_lo, s1
	s_delay_alu instid0(SALU_CYCLE_1)
	s_mov_b32 s2, exec_lo
	s_wait_dscnt 0x0
	s_barrier_signal -1
	s_barrier_wait -1
	v_cmpx_eq_u32_e32 13, v254
	s_cbranch_execz .LBB83_125
; %bb.119:
	v_dual_mov_b32 v196, v96 :: v_dual_mov_b32 v197, v97
	v_dual_mov_b32 v198, v92 :: v_dual_mov_b32 v199, v93
	;; [unrolled: 1-line block ×4, first 2 shown]
	ds_store_b64 v255, v[94:95]
	ds_store_2addr_b64 v0, v[196:197], v[198:199] offset0:14 offset1:15
	ds_store_2addr_b64 v0, v[200:201], v[202:203] offset0:16 offset1:17
	v_dual_mov_b32 v196, v90 :: v_dual_mov_b32 v197, v91
	v_dual_mov_b32 v198, v116 :: v_dual_mov_b32 v199, v117
	;; [unrolled: 1-line block ×12, first 2 shown]
	ds_store_2addr_b64 v0, v[196:197], v[198:199] offset0:18 offset1:19
	ds_store_2addr_b64 v0, v[200:201], v[202:203] offset0:20 offset1:21
	;; [unrolled: 1-line block ×6, first 2 shown]
	v_dual_mov_b32 v196, v126 :: v_dual_mov_b32 v197, v127
	v_dual_mov_b32 v198, v122 :: v_dual_mov_b32 v199, v123
	v_dual_mov_b32 v200, v148 :: v_dual_mov_b32 v201, v149
	v_dual_mov_b32 v202, v144 :: v_dual_mov_b32 v203, v145
	v_dual_mov_b32 v204, v146 :: v_dual_mov_b32 v205, v147
	v_dual_mov_b32 v206, v142 :: v_dual_mov_b32 v207, v143
	v_dual_mov_b32 v208, v164 :: v_dual_mov_b32 v209, v165
	v_dual_mov_b32 v210, v160 :: v_dual_mov_b32 v211, v161
	v_dual_mov_b32 v212, v162 :: v_dual_mov_b32 v213, v163
	v_dual_mov_b32 v214, v158 :: v_dual_mov_b32 v215, v159
	v_dual_mov_b32 v216, v166 :: v_dual_mov_b32 v217, v167
	ds_store_2addr_b64 v0, v[196:197], v[198:199] offset0:30 offset1:31
	ds_store_2addr_b64 v0, v[200:201], v[202:203] offset0:32 offset1:33
	;; [unrolled: 1-line block ×6, first 2 shown]
	ds_load_b64 v[196:197], v255
	s_wait_dscnt 0x0
	v_cmp_neq_f32_e32 vcc_lo, 0, v196
	v_cmp_neq_f32_e64 s1, 0, v197
	s_or_b32 s1, vcc_lo, s1
	s_delay_alu instid0(SALU_CYCLE_1)
	s_and_b32 exec_lo, exec_lo, s1
	s_cbranch_execz .LBB83_125
; %bb.120:
	v_cmp_ngt_f32_e64 s1, |v196|, |v197|
                                        ; implicit-def: $vgpr198_vgpr199
	s_and_saveexec_b32 s4, s1
	s_delay_alu instid0(SALU_CYCLE_1)
	s_xor_b32 s1, exec_lo, s4
	s_cbranch_execz .LBB83_122
; %bb.121:
	v_div_scale_f32 v1, null, v197, v197, v196
	v_div_scale_f32 v6, vcc_lo, v196, v197, v196
	s_delay_alu instid0(VALU_DEP_2) | instskip(SKIP_1) | instid1(TRANS32_DEP_1)
	v_rcp_f32_e32 v4, v1
	v_nop
	v_fma_f32 v5, -v1, v4, 1.0
	s_delay_alu instid0(VALU_DEP_1) | instskip(NEXT) | instid1(VALU_DEP_1)
	v_fmac_f32_e32 v4, v5, v4
	v_mul_f32_e32 v5, v6, v4
	s_delay_alu instid0(VALU_DEP_1) | instskip(NEXT) | instid1(VALU_DEP_1)
	v_fma_f32 v7, -v1, v5, v6
	v_fmac_f32_e32 v5, v7, v4
	s_delay_alu instid0(VALU_DEP_1) | instskip(NEXT) | instid1(VALU_DEP_1)
	v_fma_f32 v1, -v1, v5, v6
	v_div_fmas_f32 v1, v1, v4, v5
	s_delay_alu instid0(VALU_DEP_1) | instskip(NEXT) | instid1(VALU_DEP_1)
	v_div_fixup_f32 v1, v1, v197, v196
	v_fmac_f32_e32 v197, v196, v1
	s_delay_alu instid0(VALU_DEP_1) | instskip(SKIP_1) | instid1(VALU_DEP_2)
	v_div_scale_f32 v4, null, v197, v197, 1.0
	v_div_scale_f32 v7, vcc_lo, 1.0, v197, 1.0
	v_rcp_f32_e32 v5, v4
	v_nop
	s_delay_alu instid0(TRANS32_DEP_1) | instskip(NEXT) | instid1(VALU_DEP_1)
	v_fma_f32 v6, -v4, v5, 1.0
	v_fmac_f32_e32 v5, v6, v5
	s_delay_alu instid0(VALU_DEP_1) | instskip(NEXT) | instid1(VALU_DEP_1)
	v_mul_f32_e32 v6, v7, v5
	v_fma_f32 v8, -v4, v6, v7
	s_delay_alu instid0(VALU_DEP_1) | instskip(NEXT) | instid1(VALU_DEP_1)
	v_fmac_f32_e32 v6, v8, v5
	v_fma_f32 v4, -v4, v6, v7
	s_delay_alu instid0(VALU_DEP_1) | instskip(NEXT) | instid1(VALU_DEP_1)
	v_div_fmas_f32 v4, v4, v5, v6
	v_div_fixup_f32 v4, v4, v197, 1.0
                                        ; implicit-def: $vgpr196_vgpr197
	s_delay_alu instid0(VALU_DEP_1)
	v_mul_f32_e32 v198, v1, v4
	v_xor_b32_e32 v199, 0x80000000, v4
.LBB83_122:
	s_and_not1_saveexec_b32 s1, s1
	s_cbranch_execz .LBB83_124
; %bb.123:
	v_div_scale_f32 v1, null, v196, v196, v197
	v_div_scale_f32 v6, vcc_lo, v197, v196, v197
	s_delay_alu instid0(VALU_DEP_2) | instskip(SKIP_1) | instid1(TRANS32_DEP_1)
	v_rcp_f32_e32 v4, v1
	v_nop
	v_fma_f32 v5, -v1, v4, 1.0
	s_delay_alu instid0(VALU_DEP_1) | instskip(NEXT) | instid1(VALU_DEP_1)
	v_fmac_f32_e32 v4, v5, v4
	v_mul_f32_e32 v5, v6, v4
	s_delay_alu instid0(VALU_DEP_1) | instskip(NEXT) | instid1(VALU_DEP_1)
	v_fma_f32 v7, -v1, v5, v6
	v_fmac_f32_e32 v5, v7, v4
	s_delay_alu instid0(VALU_DEP_1) | instskip(NEXT) | instid1(VALU_DEP_1)
	v_fma_f32 v1, -v1, v5, v6
	v_div_fmas_f32 v1, v1, v4, v5
	s_delay_alu instid0(VALU_DEP_1) | instskip(NEXT) | instid1(VALU_DEP_1)
	v_div_fixup_f32 v1, v1, v196, v197
	v_fmac_f32_e32 v196, v197, v1
	s_delay_alu instid0(VALU_DEP_1) | instskip(NEXT) | instid1(VALU_DEP_1)
	v_div_scale_f32 v4, null, v196, v196, 1.0
	v_rcp_f32_e32 v5, v4
	v_nop
	s_delay_alu instid0(TRANS32_DEP_1) | instskip(NEXT) | instid1(VALU_DEP_1)
	v_fma_f32 v6, -v4, v5, 1.0
	v_fmac_f32_e32 v5, v6, v5
	v_div_scale_f32 v6, vcc_lo, 1.0, v196, 1.0
	s_delay_alu instid0(VALU_DEP_1) | instskip(NEXT) | instid1(VALU_DEP_1)
	v_mul_f32_e32 v7, v6, v5
	v_fma_f32 v8, -v4, v7, v6
	s_delay_alu instid0(VALU_DEP_1) | instskip(NEXT) | instid1(VALU_DEP_1)
	v_fmac_f32_e32 v7, v8, v5
	v_fma_f32 v4, -v4, v7, v6
	s_delay_alu instid0(VALU_DEP_1) | instskip(NEXT) | instid1(VALU_DEP_1)
	v_div_fmas_f32 v4, v4, v5, v7
	v_div_fixup_f32 v198, v4, v196, 1.0
	s_delay_alu instid0(VALU_DEP_1)
	v_mul_f32_e64 v199, v1, -v198
.LBB83_124:
	s_or_b32 exec_lo, exec_lo, s1
	ds_store_b64 v255, v[198:199]
.LBB83_125:
	s_or_b32 exec_lo, exec_lo, s2
	s_wait_dscnt 0x0
	s_barrier_signal -1
	s_barrier_wait -1
	ds_load_b64 v[196:197], v255
	s_mov_b32 s1, exec_lo
	v_cmpx_lt_u32_e32 13, v254
	s_cbranch_execz .LBB83_127
; %bb.126:
	ds_load_2addr_b64 v[202:205], v0 offset0:14 offset1:15
	ds_load_2addr_b64 v[206:209], v0 offset0:16 offset1:17
	;; [unrolled: 1-line block ×3, first 2 shown]
	s_wait_dscnt 0x3
	v_pk_mul_f32 v[200:201], v[196:197], v[94:95] op_sel:[1,1] op_sel_hi:[0,1]
	ds_load_2addr_b64 v[214:217], v0 offset0:20 offset1:21
	ds_load_2addr_b64 v[218:221], v0 offset0:22 offset1:23
	v_pk_fma_f32 v[198:199], v[196:197], v[94:95], v[200:201] op_sel_hi:[1,0,1] neg_lo:[0,0,1] neg_hi:[0,0,1]
	v_pk_fma_f32 v[200:201], v[196:197], v[94:95], v[200:201] op_sel_hi:[1,0,1]
	s_delay_alu instid0(VALU_DEP_1) | instskip(SKIP_1) | instid1(VALU_DEP_2)
	v_dual_mov_b32 v94, v198 :: v_dual_mov_b32 v95, v201
	s_wait_dscnt 0x4
	v_pk_mul_f32 v[222:223], v[202:203], v[200:201] op_sel:[0,1]
	v_pk_mul_f32 v[224:225], v[204:205], v[200:201] op_sel:[0,1]
	s_wait_dscnt 0x3
	v_pk_mul_f32 v[226:227], v[206:207], v[200:201] op_sel:[0,1]
	v_dual_mov_b32 v228, v209 :: v_dual_mov_b32 v229, v208
	v_dual_mul_f32 v230, v209, v201 :: v_dual_mul_f32 v232, v209, v198
	s_wait_dscnt 0x2
	v_pk_mul_f32 v[234:235], v[210:211], v[200:201] op_sel:[0,1]
	v_pk_mul_f32 v[236:237], v[212:213], v[200:201] op_sel:[0,1]
	v_pk_fma_f32 v[238:239], v[202:203], v[198:199], v[222:223] op_sel:[0,0,1] op_sel_hi:[1,1,0] neg_lo:[0,0,1] neg_hi:[0,0,1]
	v_pk_fma_f32 v[202:203], v[202:203], v[198:199], v[222:223] op_sel:[0,0,1] op_sel_hi:[1,0,0]
	v_pk_fma_f32 v[222:223], v[204:205], v[198:199], v[224:225] op_sel:[0,0,1] op_sel_hi:[1,1,0] neg_lo:[0,0,1] neg_hi:[0,0,1]
	v_pk_fma_f32 v[204:205], v[204:205], v[198:199], v[224:225] op_sel:[0,0,1] op_sel_hi:[1,0,0]
	;; [unrolled: 2-line block ×3, first 2 shown]
	v_pk_fma_f32 v[226:227], v[228:229], v[94:95], v[232:233] op_sel_hi:[1,1,0]
	v_pk_fma_f32 v[208:209], v[208:209], v[94:95], v[230:231] op_sel_hi:[1,1,0] neg_lo:[0,0,1] neg_hi:[0,0,1]
	v_dual_mov_b32 v239, v203 :: v_dual_mov_b32 v223, v205
	s_delay_alu instid0(VALU_DEP_3)
	v_dual_mov_b32 v225, v207 :: v_dual_mov_b32 v209, v227
	v_pk_fma_f32 v[202:203], v[210:211], v[198:199], v[234:235] op_sel:[0,0,1] op_sel_hi:[1,0,0]
	v_pk_fma_f32 v[206:207], v[212:213], v[198:199], v[236:237] op_sel:[0,0,1] op_sel_hi:[1,0,0]
	v_pk_fma_f32 v[228:229], v[210:211], v[198:199], v[234:235] op_sel:[0,0,1] op_sel_hi:[1,1,0] neg_lo:[0,0,1] neg_hi:[0,0,1]
	v_pk_fma_f32 v[210:211], v[212:213], v[198:199], v[236:237] op_sel:[0,0,1] op_sel_hi:[1,1,0] neg_lo:[0,0,1] neg_hi:[0,0,1]
	s_wait_dscnt 0x1
	v_pk_mul_f32 v[212:213], v[214:215], v[200:201] op_sel:[0,1]
	v_dual_mov_b32 v229, v203 :: v_dual_mov_b32 v211, v207
	ds_load_2addr_b64 v[202:205], v0 offset0:24 offset1:25
	v_pk_add_f32 v[118:119], v[118:119], v[208:209] neg_lo:[0,1] neg_hi:[0,1]
	v_pk_mul_f32 v[208:209], v[216:217], v[200:201] op_sel:[0,1]
	v_pk_fma_f32 v[206:207], v[214:215], v[198:199], v[212:213] op_sel:[0,0,1] op_sel_hi:[1,0,0]
	s_wait_dscnt 0x1
	v_mul_f32_e32 v206, v219, v198
	v_pk_add_f32 v[116:117], v[116:117], v[210:211] neg_lo:[0,1] neg_hi:[0,1]
	v_pk_fma_f32 v[210:211], v[214:215], v[198:199], v[212:213] op_sel:[0,0,1] op_sel_hi:[1,1,0] neg_lo:[0,0,1] neg_hi:[0,0,1]
	v_pk_fma_f32 v[212:213], v[216:217], v[198:199], v[208:209] op_sel:[0,0,1] op_sel_hi:[1,0,0]
	v_mul_f32_e32 v212, v219, v201
	v_pk_fma_f32 v[214:215], v[218:219], v[94:95], v[206:207] op_sel:[1,0,0] op_sel_hi:[0,1,0]
	v_pk_fma_f32 v[216:217], v[216:217], v[198:199], v[208:209] op_sel:[0,0,1] op_sel_hi:[1,1,0] neg_lo:[0,0,1] neg_hi:[0,0,1]
	s_delay_alu instid0(VALU_DEP_4) | instskip(NEXT) | instid1(VALU_DEP_4)
	v_dual_mov_b32 v211, v207 :: v_dual_mov_b32 v217, v213
	v_pk_fma_f32 v[212:213], v[218:219], v[94:95], v[212:213] op_sel_hi:[1,1,0] neg_lo:[0,0,1] neg_hi:[0,0,1]
	ds_load_2addr_b64 v[206:209], v0 offset0:26 offset1:27
	v_mov_b32_e32 v213, v215
	v_pk_mul_f32 v[214:215], v[220:221], v[200:201] op_sel:[0,1]
	v_pk_add_f32 v[92:93], v[92:93], v[222:223] neg_lo:[0,1] neg_hi:[0,1]
	v_pk_add_f32 v[138:139], v[138:139], v[210:211] neg_lo:[0,1] neg_hi:[0,1]
	;; [unrolled: 1-line block ×3, first 2 shown]
	s_wait_dscnt 0x1
	v_pk_mul_f32 v[218:219], v[202:203], v[200:201] op_sel:[0,1]
	v_pk_fma_f32 v[222:223], v[220:221], v[198:199], v[214:215] op_sel:[0,0,1] op_sel_hi:[1,0,0]
	v_pk_fma_f32 v[214:215], v[220:221], v[198:199], v[214:215] op_sel:[0,0,1] op_sel_hi:[1,1,0] neg_lo:[0,0,1] neg_hi:[0,0,1]
	v_pk_add_f32 v[78:79], v[78:79], v[216:217] neg_lo:[0,1] neg_hi:[0,1]
	v_pk_mul_f32 v[216:217], v[204:205], v[200:201] op_sel:[0,1]
	v_pk_fma_f32 v[224:225], v[202:203], v[198:199], v[218:219] op_sel:[0,0,1] op_sel_hi:[1,0,0]
	v_mov_b32_e32 v215, v223
	v_pk_add_f32 v[80:81], v[80:81], v[212:213] neg_lo:[0,1] neg_hi:[0,1]
	ds_load_2addr_b64 v[210:213], v0 offset0:28 offset1:29
	v_pk_fma_f32 v[202:203], v[202:203], v[198:199], v[218:219] op_sel:[0,0,1] op_sel_hi:[1,1,0] neg_lo:[0,0,1] neg_hi:[0,0,1]
	v_pk_fma_f32 v[220:221], v[204:205], v[198:199], v[216:217] op_sel:[0,0,1] op_sel_hi:[1,0,0]
	v_mov_b32_e32 v203, v225
	v_pk_fma_f32 v[216:217], v[204:205], v[198:199], v[216:217] op_sel:[0,0,1] op_sel_hi:[1,1,0] neg_lo:[0,0,1] neg_hi:[0,0,1]
	v_pk_add_f32 v[76:77], v[76:77], v[214:215] neg_lo:[0,1] neg_hi:[0,1]
	s_wait_dscnt 0x1
	v_pk_mul_f32 v[218:219], v[206:207], v[200:201] op_sel:[0,1]
	v_mov_b32_e32 v217, v221
	v_pk_add_f32 v[106:107], v[106:107], v[202:203] neg_lo:[0,1] neg_hi:[0,1]
	ds_load_2addr_b64 v[202:205], v0 offset0:30 offset1:31
	v_pk_add_f32 v[96:97], v[96:97], v[238:239] neg_lo:[0,1] neg_hi:[0,1]
	v_pk_fma_f32 v[214:215], v[206:207], v[198:199], v[218:219] op_sel:[0,0,1] op_sel_hi:[1,0,0]
	v_pk_fma_f32 v[206:207], v[206:207], v[198:199], v[218:219] op_sel:[0,0,1] op_sel_hi:[1,1,0] neg_lo:[0,0,1] neg_hi:[0,0,1]
	v_dual_mov_b32 v218, v209 :: v_dual_mov_b32 v219, v208
	s_delay_alu instid0(VALU_DEP_3)
	v_dual_mul_f32 v220, v209, v198 :: v_dual_mov_b32 v207, v215
	v_pk_add_f32 v[102:103], v[102:103], v[216:217] neg_lo:[0,1] neg_hi:[0,1]
	ds_load_2addr_b64 v[214:217], v0 offset0:32 offset1:33
	v_pk_add_f32 v[90:91], v[90:91], v[228:229] neg_lo:[0,1] neg_hi:[0,1]
	s_wait_dscnt 0x2
	v_pk_mul_f32 v[224:225], v[210:211], v[200:201] op_sel:[0,1]
	v_pk_fma_f32 v[218:219], v[218:219], v[94:95], v[220:221] op_sel_hi:[1,1,0]
	v_mul_f32_e32 v222, v209, v201
	v_pk_add_f32 v[104:105], v[104:105], v[206:207] neg_lo:[0,1] neg_hi:[0,1]
	v_pk_mul_f32 v[220:221], v[212:213], v[200:201] op_sel:[0,1]
	v_pk_fma_f32 v[206:207], v[210:211], v[198:199], v[224:225] op_sel:[0,0,1] op_sel_hi:[1,0,0]
	v_pk_fma_f32 v[210:211], v[210:211], v[198:199], v[224:225] op_sel:[0,0,1] op_sel_hi:[1,1,0] neg_lo:[0,0,1] neg_hi:[0,0,1]
	v_pk_fma_f32 v[222:223], v[208:209], v[94:95], v[222:223] op_sel_hi:[1,1,0] neg_lo:[0,0,1] neg_hi:[0,0,1]
	v_mov_b32_e32 v223, v219
	v_pk_fma_f32 v[218:219], v[212:213], v[198:199], v[220:221] op_sel:[0,0,1] op_sel_hi:[1,0,0]
	v_mov_b32_e32 v211, v207
	ds_load_2addr_b64 v[206:209], v0 offset0:34 offset1:35
	s_wait_dscnt 0x2
	v_pk_mul_f32 v[224:225], v[202:203], v[200:201] op_sel:[0,1]
	v_pk_fma_f32 v[212:213], v[212:213], v[198:199], v[220:221] op_sel:[0,0,1] op_sel_hi:[1,1,0] neg_lo:[0,0,1] neg_hi:[0,0,1]
	v_mov_b32_e32 v213, v219
	v_pk_add_f32 v[128:129], v[128:129], v[210:211] neg_lo:[0,1] neg_hi:[0,1]
	v_pk_mul_f32 v[218:219], v[204:205], v[200:201] op_sel:[0,1]
	v_pk_fma_f32 v[210:211], v[202:203], v[198:199], v[224:225] op_sel:[0,0,1] op_sel_hi:[1,0,0]
	s_wait_dscnt 0x1
	v_mul_f32_e32 v220, v215, v198
	v_pk_fma_f32 v[202:203], v[202:203], v[198:199], v[224:225] op_sel:[0,0,1] op_sel_hi:[1,1,0] neg_lo:[0,0,1] neg_hi:[0,0,1]
	v_pk_add_f32 v[100:101], v[100:101], v[222:223] neg_lo:[0,1] neg_hi:[0,1]
	v_pk_add_f32 v[124:125], v[124:125], v[212:213] neg_lo:[0,1] neg_hi:[0,1]
	v_pk_fma_f32 v[222:223], v[204:205], v[198:199], v[218:219] op_sel:[0,0,1] op_sel_hi:[1,0,0]
	v_mov_b32_e32 v203, v211
	ds_load_2addr_b64 v[210:213], v0 offset0:36 offset1:37
	v_mul_f32_e32 v222, v215, v201
	v_pk_fma_f32 v[220:221], v[214:215], v[94:95], v[220:221] op_sel:[1,0,0] op_sel_hi:[0,1,0]
	v_pk_fma_f32 v[204:205], v[204:205], v[198:199], v[218:219] op_sel:[0,0,1] op_sel_hi:[1,1,0] neg_lo:[0,0,1] neg_hi:[0,0,1]
	v_pk_mul_f32 v[218:219], v[216:217], v[200:201] op_sel:[0,1]
	v_mov_b32_e32 v205, v223
	v_pk_fma_f32 v[214:215], v[214:215], v[94:95], v[222:223] op_sel_hi:[1,1,0] neg_lo:[0,0,1] neg_hi:[0,0,1]
	v_pk_add_f32 v[126:127], v[126:127], v[202:203] neg_lo:[0,1] neg_hi:[0,1]
	s_delay_alu instid0(VALU_DEP_4)
	v_pk_fma_f32 v[202:203], v[216:217], v[198:199], v[218:219] op_sel:[0,0,1] op_sel_hi:[1,0,0]
	v_mov_b32_e32 v215, v221
	s_wait_dscnt 0x1
	v_pk_mul_f32 v[220:221], v[206:207], v[200:201] op_sel:[0,1]
	v_pk_fma_f32 v[216:217], v[216:217], v[198:199], v[218:219] op_sel:[0,0,1] op_sel_hi:[1,1,0] neg_lo:[0,0,1] neg_hi:[0,0,1]
	v_pk_add_f32 v[122:123], v[122:123], v[204:205] neg_lo:[0,1] neg_hi:[0,1]
	v_mov_b32_e32 v217, v203
	v_pk_add_f32 v[148:149], v[148:149], v[214:215] neg_lo:[0,1] neg_hi:[0,1]
	v_pk_fma_f32 v[214:215], v[206:207], v[198:199], v[220:221] op_sel:[0,0,1] op_sel_hi:[1,0,0]
	ds_load_2addr_b64 v[202:205], v0 offset0:38 offset1:39
	v_pk_fma_f32 v[206:207], v[206:207], v[198:199], v[220:221] op_sel:[0,0,1] op_sel_hi:[1,1,0] neg_lo:[0,0,1] neg_hi:[0,0,1]
	v_pk_mul_f32 v[218:219], v[208:209], v[200:201] op_sel:[0,1]
	v_pk_add_f32 v[144:145], v[144:145], v[216:217] neg_lo:[0,1] neg_hi:[0,1]
	s_wait_dscnt 0x1
	v_dual_mov_b32 v207, v215 :: v_dual_mov_b32 v222, v213
	ds_load_2addr_b64 v[214:217], v0 offset0:40 offset1:41
	v_pk_mul_f32 v[220:221], v[210:211], v[200:201] op_sel:[0,1]
	v_mov_b32_e32 v223, v212
	v_pk_add_f32 v[146:147], v[146:147], v[206:207] neg_lo:[0,1] neg_hi:[0,1]
	v_pk_fma_f32 v[206:207], v[208:209], v[198:199], v[218:219] op_sel:[0,0,1] op_sel_hi:[1,1,0] neg_lo:[0,0,1] neg_hi:[0,0,1]
	v_pk_fma_f32 v[208:209], v[208:209], v[198:199], v[218:219] op_sel:[0,0,1] op_sel_hi:[1,0,0]
	v_pk_fma_f32 v[218:219], v[210:211], v[198:199], v[220:221] op_sel:[0,0,1] op_sel_hi:[1,0,0]
	v_mul_f32_e32 v208, v213, v198
	v_pk_fma_f32 v[210:211], v[210:211], v[198:199], v[220:221] op_sel:[0,0,1] op_sel_hi:[1,1,0] neg_lo:[0,0,1] neg_hi:[0,0,1]
	v_mul_f32_e32 v218, v213, v201
	s_delay_alu instid0(VALU_DEP_4) | instskip(NEXT) | instid1(VALU_DEP_4)
	v_dual_mov_b32 v207, v209 :: v_dual_mov_b32 v211, v219
	v_pk_fma_f32 v[208:209], v[222:223], v[94:95], v[208:209] op_sel_hi:[1,1,0]
	s_delay_alu instid0(VALU_DEP_2)
	v_pk_add_f32 v[142:143], v[142:143], v[206:207] neg_lo:[0,1] neg_hi:[0,1]
	s_wait_dscnt 0x1
	v_pk_mul_f32 v[206:207], v[202:203], v[200:201] op_sel:[0,1]
	v_pk_add_f32 v[164:165], v[164:165], v[210:211] neg_lo:[0,1] neg_hi:[0,1]
	v_pk_fma_f32 v[210:211], v[212:213], v[94:95], v[218:219] op_sel_hi:[1,1,0] neg_lo:[0,0,1] neg_hi:[0,0,1]
	v_mov_b32_e32 v211, v209
	v_pk_mul_f32 v[208:209], v[204:205], v[200:201] op_sel:[0,1]
	v_pk_fma_f32 v[212:213], v[202:203], v[198:199], v[206:207] op_sel:[0,0,1] op_sel_hi:[1,0,0]
	s_wait_dscnt 0x0
	v_pk_mul_f32 v[218:219], v[214:215], v[200:201] op_sel:[0,1]
	v_pk_mul_f32 v[200:201], v[216:217], v[200:201] op_sel:[0,1]
	v_pk_fma_f32 v[202:203], v[202:203], v[198:199], v[206:207] op_sel:[0,0,1] op_sel_hi:[1,1,0] neg_lo:[0,0,1] neg_hi:[0,0,1]
	v_pk_fma_f32 v[206:207], v[204:205], v[198:199], v[208:209] op_sel:[0,0,1] op_sel_hi:[1,0,0]
	v_mov_b32_e32 v203, v213
	v_pk_fma_f32 v[212:213], v[214:215], v[198:199], v[218:219] op_sel:[0,0,1] op_sel_hi:[1,0,0]
	v_pk_fma_f32 v[204:205], v[204:205], v[198:199], v[208:209] op_sel:[0,0,1] op_sel_hi:[1,1,0] neg_lo:[0,0,1] neg_hi:[0,0,1]
	v_pk_fma_f32 v[208:209], v[216:217], v[198:199], v[200:201] op_sel:[0,0,1] op_sel_hi:[1,0,0]
	v_mov_b32_e32 v205, v207
	v_pk_fma_f32 v[206:207], v[214:215], v[198:199], v[218:219] op_sel:[0,0,1] op_sel_hi:[1,1,0] neg_lo:[0,0,1] neg_hi:[0,0,1]
	v_pk_fma_f32 v[198:199], v[216:217], v[198:199], v[200:201] op_sel:[0,0,1] op_sel_hi:[1,1,0] neg_lo:[0,0,1] neg_hi:[0,0,1]
	s_delay_alu instid0(VALU_DEP_4) | instskip(SKIP_3) | instid1(VALU_DEP_4)
	v_dual_mov_b32 v207, v213 :: v_dual_mov_b32 v199, v209
	v_pk_add_f32 v[160:161], v[160:161], v[210:211] neg_lo:[0,1] neg_hi:[0,1]
	v_pk_add_f32 v[162:163], v[162:163], v[202:203] neg_lo:[0,1] neg_hi:[0,1]
	;; [unrolled: 1-line block ×5, first 2 shown]
.LBB83_127:
	s_or_b32 exec_lo, exec_lo, s1
	s_delay_alu instid0(SALU_CYCLE_1)
	s_mov_b32 s2, exec_lo
	s_wait_dscnt 0x0
	s_barrier_signal -1
	s_barrier_wait -1
	v_cmpx_eq_u32_e32 14, v254
	s_cbranch_execz .LBB83_134
; %bb.128:
	ds_store_b64 v255, v[96:97]
	ds_store_2addr_b64 v0, v[92:93], v[120:121] offset0:15 offset1:16
	ds_store_2addr_b64 v0, v[118:119], v[90:91] offset0:17 offset1:18
	;; [unrolled: 1-line block ×13, first 2 shown]
	ds_store_b64 v0, v[168:169] offset:328
	ds_load_b64 v[198:199], v255
	s_wait_dscnt 0x0
	v_cmp_neq_f32_e32 vcc_lo, 0, v198
	v_cmp_neq_f32_e64 s1, 0, v199
	s_or_b32 s1, vcc_lo, s1
	s_delay_alu instid0(SALU_CYCLE_1)
	s_and_b32 exec_lo, exec_lo, s1
	s_cbranch_execz .LBB83_134
; %bb.129:
	v_cmp_ngt_f32_e64 s1, |v198|, |v199|
                                        ; implicit-def: $vgpr200_vgpr201
	s_and_saveexec_b32 s4, s1
	s_delay_alu instid0(SALU_CYCLE_1)
	s_xor_b32 s1, exec_lo, s4
	s_cbranch_execz .LBB83_131
; %bb.130:
	v_div_scale_f32 v1, null, v199, v199, v198
	v_div_scale_f32 v6, vcc_lo, v198, v199, v198
	s_delay_alu instid0(VALU_DEP_2) | instskip(SKIP_1) | instid1(TRANS32_DEP_1)
	v_rcp_f32_e32 v4, v1
	v_nop
	v_fma_f32 v5, -v1, v4, 1.0
	s_delay_alu instid0(VALU_DEP_1) | instskip(NEXT) | instid1(VALU_DEP_1)
	v_fmac_f32_e32 v4, v5, v4
	v_mul_f32_e32 v5, v6, v4
	s_delay_alu instid0(VALU_DEP_1) | instskip(NEXT) | instid1(VALU_DEP_1)
	v_fma_f32 v7, -v1, v5, v6
	v_fmac_f32_e32 v5, v7, v4
	s_delay_alu instid0(VALU_DEP_1) | instskip(NEXT) | instid1(VALU_DEP_1)
	v_fma_f32 v1, -v1, v5, v6
	v_div_fmas_f32 v1, v1, v4, v5
	s_delay_alu instid0(VALU_DEP_1) | instskip(NEXT) | instid1(VALU_DEP_1)
	v_div_fixup_f32 v1, v1, v199, v198
	v_fmac_f32_e32 v199, v198, v1
	s_delay_alu instid0(VALU_DEP_1) | instskip(SKIP_1) | instid1(VALU_DEP_2)
	v_div_scale_f32 v4, null, v199, v199, 1.0
	v_div_scale_f32 v7, vcc_lo, 1.0, v199, 1.0
	v_rcp_f32_e32 v5, v4
	v_nop
	s_delay_alu instid0(TRANS32_DEP_1) | instskip(NEXT) | instid1(VALU_DEP_1)
	v_fma_f32 v6, -v4, v5, 1.0
	v_fmac_f32_e32 v5, v6, v5
	s_delay_alu instid0(VALU_DEP_1) | instskip(NEXT) | instid1(VALU_DEP_1)
	v_mul_f32_e32 v6, v7, v5
	v_fma_f32 v8, -v4, v6, v7
	s_delay_alu instid0(VALU_DEP_1) | instskip(NEXT) | instid1(VALU_DEP_1)
	v_fmac_f32_e32 v6, v8, v5
	v_fma_f32 v4, -v4, v6, v7
	s_delay_alu instid0(VALU_DEP_1) | instskip(NEXT) | instid1(VALU_DEP_1)
	v_div_fmas_f32 v4, v4, v5, v6
	v_div_fixup_f32 v4, v4, v199, 1.0
                                        ; implicit-def: $vgpr198_vgpr199
	s_delay_alu instid0(VALU_DEP_1)
	v_mul_f32_e32 v200, v1, v4
	v_xor_b32_e32 v201, 0x80000000, v4
.LBB83_131:
	s_and_not1_saveexec_b32 s1, s1
	s_cbranch_execz .LBB83_133
; %bb.132:
	v_div_scale_f32 v1, null, v198, v198, v199
	v_div_scale_f32 v6, vcc_lo, v199, v198, v199
	s_delay_alu instid0(VALU_DEP_2) | instskip(SKIP_1) | instid1(TRANS32_DEP_1)
	v_rcp_f32_e32 v4, v1
	v_nop
	v_fma_f32 v5, -v1, v4, 1.0
	s_delay_alu instid0(VALU_DEP_1) | instskip(NEXT) | instid1(VALU_DEP_1)
	v_fmac_f32_e32 v4, v5, v4
	v_mul_f32_e32 v5, v6, v4
	s_delay_alu instid0(VALU_DEP_1) | instskip(NEXT) | instid1(VALU_DEP_1)
	v_fma_f32 v7, -v1, v5, v6
	v_fmac_f32_e32 v5, v7, v4
	s_delay_alu instid0(VALU_DEP_1) | instskip(NEXT) | instid1(VALU_DEP_1)
	v_fma_f32 v1, -v1, v5, v6
	v_div_fmas_f32 v1, v1, v4, v5
	s_delay_alu instid0(VALU_DEP_1) | instskip(NEXT) | instid1(VALU_DEP_1)
	v_div_fixup_f32 v1, v1, v198, v199
	v_fmac_f32_e32 v198, v199, v1
	s_delay_alu instid0(VALU_DEP_1) | instskip(NEXT) | instid1(VALU_DEP_1)
	v_div_scale_f32 v4, null, v198, v198, 1.0
	v_rcp_f32_e32 v5, v4
	v_nop
	s_delay_alu instid0(TRANS32_DEP_1) | instskip(NEXT) | instid1(VALU_DEP_1)
	v_fma_f32 v6, -v4, v5, 1.0
	v_fmac_f32_e32 v5, v6, v5
	v_div_scale_f32 v6, vcc_lo, 1.0, v198, 1.0
	s_delay_alu instid0(VALU_DEP_1) | instskip(NEXT) | instid1(VALU_DEP_1)
	v_mul_f32_e32 v7, v6, v5
	v_fma_f32 v8, -v4, v7, v6
	s_delay_alu instid0(VALU_DEP_1) | instskip(NEXT) | instid1(VALU_DEP_1)
	v_fmac_f32_e32 v7, v8, v5
	v_fma_f32 v4, -v4, v7, v6
	s_delay_alu instid0(VALU_DEP_1) | instskip(NEXT) | instid1(VALU_DEP_1)
	v_div_fmas_f32 v4, v4, v5, v7
	v_div_fixup_f32 v200, v4, v198, 1.0
	s_delay_alu instid0(VALU_DEP_1)
	v_mul_f32_e64 v201, v1, -v200
.LBB83_133:
	s_or_b32 exec_lo, exec_lo, s1
	ds_store_b64 v255, v[200:201]
.LBB83_134:
	s_or_b32 exec_lo, exec_lo, s2
	s_wait_dscnt 0x0
	s_barrier_signal -1
	s_barrier_wait -1
	ds_load_b64 v[198:199], v255
	s_mov_b32 s1, exec_lo
	v_cmpx_lt_u32_e32 14, v254
	s_cbranch_execz .LBB83_136
; %bb.135:
	ds_load_2addr_b64 v[204:207], v0 offset0:15 offset1:16
	ds_load_2addr_b64 v[208:211], v0 offset0:17 offset1:18
	;; [unrolled: 1-line block ×3, first 2 shown]
	s_wait_dscnt 0x3
	v_pk_mul_f32 v[202:203], v[198:199], v[96:97] op_sel:[1,1] op_sel_hi:[0,1]
	ds_load_2addr_b64 v[216:219], v0 offset0:21 offset1:22
	ds_load_2addr_b64 v[220:223], v0 offset0:23 offset1:24
	v_pk_fma_f32 v[200:201], v[198:199], v[96:97], v[202:203] op_sel_hi:[1,0,1] neg_lo:[0,0,1] neg_hi:[0,0,1]
	v_pk_fma_f32 v[202:203], v[198:199], v[96:97], v[202:203] op_sel_hi:[1,0,1]
	s_delay_alu instid0(VALU_DEP_1) | instskip(SKIP_1) | instid1(VALU_DEP_2)
	v_dual_mov_b32 v96, v200 :: v_dual_mov_b32 v97, v203
	s_wait_dscnt 0x4
	v_pk_mul_f32 v[224:225], v[204:205], v[202:203] op_sel:[0,1]
	v_pk_mul_f32 v[226:227], v[206:207], v[202:203] op_sel:[0,1]
	s_wait_dscnt 0x3
	v_pk_mul_f32 v[228:229], v[208:209], v[202:203] op_sel:[0,1]
	s_wait_dscnt 0x2
	v_pk_mul_f32 v[236:237], v[212:213], v[202:203] op_sel:[0,1]
	v_dual_mov_b32 v230, v211 :: v_dual_mov_b32 v231, v210
	v_pk_fma_f32 v[240:241], v[204:205], v[200:201], v[224:225] op_sel:[0,0,1] op_sel_hi:[1,1,0] neg_lo:[0,0,1] neg_hi:[0,0,1]
	v_pk_fma_f32 v[204:205], v[204:205], v[200:201], v[224:225] op_sel:[0,0,1] op_sel_hi:[1,0,0]
	v_dual_mul_f32 v232, v211, v203 :: v_dual_mul_f32 v234, v211, v200
	v_pk_mul_f32 v[238:239], v[214:215], v[202:203] op_sel:[0,1]
	v_pk_fma_f32 v[224:225], v[206:207], v[200:201], v[226:227] op_sel:[0,0,1] op_sel_hi:[1,1,0] neg_lo:[0,0,1] neg_hi:[0,0,1]
	v_pk_fma_f32 v[206:207], v[206:207], v[200:201], v[226:227] op_sel:[0,0,1] op_sel_hi:[1,0,0]
	v_pk_fma_f32 v[226:227], v[208:209], v[200:201], v[228:229] op_sel:[0,0,1] op_sel_hi:[1,1,0] neg_lo:[0,0,1] neg_hi:[0,0,1]
	v_pk_fma_f32 v[208:209], v[208:209], v[200:201], v[228:229] op_sel:[0,0,1] op_sel_hi:[1,0,0]
	v_mov_b32_e32 v241, v205
	v_pk_fma_f32 v[204:205], v[212:213], v[200:201], v[236:237] op_sel:[0,0,1] op_sel_hi:[1,0,0]
	v_pk_fma_f32 v[228:229], v[230:231], v[96:97], v[234:235] op_sel_hi:[1,1,0]
	v_pk_fma_f32 v[230:231], v[212:213], v[200:201], v[236:237] op_sel:[0,0,1] op_sel_hi:[1,1,0] neg_lo:[0,0,1] neg_hi:[0,0,1]
	v_dual_mov_b32 v225, v207 :: v_dual_mov_b32 v227, v209
	v_pk_fma_f32 v[208:209], v[214:215], v[200:201], v[238:239] op_sel:[0,0,1] op_sel_hi:[1,0,0]
	s_wait_dscnt 0x1
	v_pk_mul_f32 v[212:213], v[216:217], v[202:203] op_sel:[0,1]
	v_pk_fma_f32 v[210:211], v[210:211], v[96:97], v[232:233] op_sel_hi:[1,1,0] neg_lo:[0,0,1] neg_hi:[0,0,1]
	v_mov_b32_e32 v231, v205
	ds_load_2addr_b64 v[204:207], v0 offset0:25 offset1:26
	v_pk_fma_f32 v[214:215], v[214:215], v[200:201], v[238:239] op_sel:[0,0,1] op_sel_hi:[1,1,0] neg_lo:[0,0,1] neg_hi:[0,0,1]
	v_mov_b32_e32 v211, v229
	v_pk_add_f32 v[120:121], v[120:121], v[224:225] neg_lo:[0,1] neg_hi:[0,1]
	v_mov_b32_e32 v215, v209
	v_pk_mul_f32 v[224:225], v[218:219], v[202:203] op_sel:[0,1]
	v_pk_fma_f32 v[208:209], v[216:217], v[200:201], v[212:213] op_sel:[0,0,1] op_sel_hi:[1,0,0]
	v_pk_fma_f32 v[212:213], v[216:217], v[200:201], v[212:213] op_sel:[0,0,1] op_sel_hi:[1,1,0] neg_lo:[0,0,1] neg_hi:[0,0,1]
	v_pk_add_f32 v[90:91], v[90:91], v[210:211] neg_lo:[0,1] neg_hi:[0,1]
	v_pk_add_f32 v[138:139], v[138:139], v[214:215] neg_lo:[0,1] neg_hi:[0,1]
	v_pk_fma_f32 v[214:215], v[218:219], v[200:201], v[224:225] op_sel:[0,0,1] op_sel_hi:[1,0,0]
	v_mov_b32_e32 v213, v209
	ds_load_2addr_b64 v[208:211], v0 offset0:27 offset1:28
	v_pk_fma_f32 v[216:217], v[218:219], v[200:201], v[224:225] op_sel:[0,0,1] op_sel_hi:[1,1,0] neg_lo:[0,0,1] neg_hi:[0,0,1]
	s_wait_dscnt 0x2
	v_dual_mul_f32 v214, v221, v200 :: v_dual_mul_f32 v218, v221, v203
	v_mov_b32_e32 v217, v215
	v_pk_add_f32 v[78:79], v[78:79], v[212:213] neg_lo:[0,1] neg_hi:[0,1]
	v_pk_mul_f32 v[212:213], v[222:223], v[202:203] op_sel:[0,1]
	s_delay_alu instid0(VALU_DEP_4)
	v_pk_fma_f32 v[214:215], v[220:221], v[96:97], v[214:215] op_sel:[1,0,0] op_sel_hi:[0,1,0]
	v_pk_fma_f32 v[218:219], v[220:221], v[96:97], v[218:219] op_sel_hi:[1,1,0] neg_lo:[0,0,1] neg_hi:[0,0,1]
	v_pk_add_f32 v[80:81], v[80:81], v[216:217] neg_lo:[0,1] neg_hi:[0,1]
	s_wait_dscnt 0x1
	v_pk_mul_f32 v[216:217], v[204:205], v[202:203] op_sel:[0,1]
	v_pk_fma_f32 v[224:225], v[222:223], v[200:201], v[212:213] op_sel:[0,0,1] op_sel_hi:[1,0,0]
	v_pk_fma_f32 v[220:221], v[222:223], v[200:201], v[212:213] op_sel:[0,0,1] op_sel_hi:[1,1,0] neg_lo:[0,0,1] neg_hi:[0,0,1]
	v_mov_b32_e32 v219, v215
	ds_load_2addr_b64 v[212:215], v0 offset0:29 offset1:30
	v_pk_fma_f32 v[222:223], v[204:205], v[200:201], v[216:217] op_sel:[0,0,1] op_sel_hi:[1,0,0]
	v_mov_b32_e32 v221, v225
	v_pk_mul_f32 v[224:225], v[206:207], v[202:203] op_sel:[0,1]
	v_pk_fma_f32 v[204:205], v[204:205], v[200:201], v[216:217] op_sel:[0,0,1] op_sel_hi:[1,1,0] neg_lo:[0,0,1] neg_hi:[0,0,1]
	v_pk_add_f32 v[76:77], v[76:77], v[218:219] neg_lo:[0,1] neg_hi:[0,1]
	s_wait_dscnt 0x1
	v_pk_mul_f32 v[216:217], v[208:209], v[202:203] op_sel:[0,1]
	v_pk_add_f32 v[106:107], v[106:107], v[220:221] neg_lo:[0,1] neg_hi:[0,1]
	v_pk_fma_f32 v[218:219], v[206:207], v[200:201], v[224:225] op_sel:[0,0,1] op_sel_hi:[1,0,0]
	v_mov_b32_e32 v205, v223
	v_pk_fma_f32 v[222:223], v[206:207], v[200:201], v[224:225] op_sel:[0,0,1] op_sel_hi:[1,1,0] neg_lo:[0,0,1] neg_hi:[0,0,1]
	v_pk_fma_f32 v[220:221], v[208:209], v[200:201], v[216:217] op_sel:[0,0,1] op_sel_hi:[1,0,0]
	v_pk_fma_f32 v[208:209], v[208:209], v[200:201], v[216:217] op_sel:[0,0,1] op_sel_hi:[1,1,0] neg_lo:[0,0,1] neg_hi:[0,0,1]
	v_mov_b32_e32 v223, v219
	v_pk_add_f32 v[102:103], v[102:103], v[204:205] neg_lo:[0,1] neg_hi:[0,1]
	ds_load_2addr_b64 v[204:207], v0 offset0:31 offset1:32
	v_dual_mov_b32 v209, v221 :: v_dual_mov_b32 v216, v211
	v_dual_mov_b32 v217, v210 :: v_dual_mul_f32 v218, v211, v200
	v_pk_add_f32 v[104:105], v[104:105], v[222:223] neg_lo:[0,1] neg_hi:[0,1]
	v_mul_f32_e32 v220, v211, v203
	s_delay_alu instid0(VALU_DEP_4)
	v_pk_add_f32 v[100:101], v[100:101], v[208:209] neg_lo:[0,1] neg_hi:[0,1]
	s_wait_dscnt 0x1
	v_pk_mul_f32 v[208:209], v[212:213], v[202:203] op_sel:[0,1]
	v_pk_fma_f32 v[222:223], v[216:217], v[96:97], v[218:219] op_sel_hi:[1,1,0]
	ds_load_2addr_b64 v[216:219], v0 offset0:33 offset1:34
	v_pk_mul_f32 v[224:225], v[214:215], v[202:203] op_sel:[0,1]
	v_pk_fma_f32 v[220:221], v[210:211], v[96:97], v[220:221] op_sel_hi:[1,1,0] neg_lo:[0,0,1] neg_hi:[0,0,1]
	v_pk_add_f32 v[118:119], v[118:119], v[226:227] neg_lo:[0,1] neg_hi:[0,1]
	v_pk_fma_f32 v[226:227], v[212:213], v[200:201], v[208:209] op_sel:[0,0,1] op_sel_hi:[1,0,0]
	v_mov_b32_e32 v221, v223
	v_pk_fma_f32 v[222:223], v[214:215], v[200:201], v[224:225] op_sel:[0,0,1] op_sel_hi:[1,0,0]
	v_pk_fma_f32 v[212:213], v[212:213], v[200:201], v[208:209] op_sel:[0,0,1] op_sel_hi:[1,1,0] neg_lo:[0,0,1] neg_hi:[0,0,1]
	ds_load_2addr_b64 v[208:211], v0 offset0:35 offset1:36
	v_pk_fma_f32 v[214:215], v[214:215], v[200:201], v[224:225] op_sel:[0,0,1] op_sel_hi:[1,1,0] neg_lo:[0,0,1] neg_hi:[0,0,1]
	v_mov_b32_e32 v213, v227
	s_wait_dscnt 0x2
	v_pk_mul_f32 v[224:225], v[204:205], v[202:203] op_sel:[0,1]
	v_mov_b32_e32 v215, v223
	v_pk_mul_f32 v[222:223], v[206:207], v[202:203] op_sel:[0,1]
	v_pk_add_f32 v[128:129], v[128:129], v[220:221] neg_lo:[0,1] neg_hi:[0,1]
	v_pk_add_f32 v[124:125], v[124:125], v[212:213] neg_lo:[0,1] neg_hi:[0,1]
	v_pk_fma_f32 v[220:221], v[204:205], v[200:201], v[224:225] op_sel:[0,0,1] op_sel_hi:[1,0,0]
	v_pk_add_f32 v[92:93], v[92:93], v[240:241] neg_lo:[0,1] neg_hi:[0,1]
	v_pk_fma_f32 v[212:213], v[206:207], v[200:201], v[222:223] op_sel:[0,0,1] op_sel_hi:[1,0,0]
	v_pk_add_f32 v[116:117], v[116:117], v[230:231] neg_lo:[0,1] neg_hi:[0,1]
	s_wait_dscnt 0x1
	v_mul_f32_e32 v212, v217, v200
	v_pk_add_f32 v[126:127], v[126:127], v[214:215] neg_lo:[0,1] neg_hi:[0,1]
	v_pk_fma_f32 v[214:215], v[204:205], v[200:201], v[224:225] op_sel:[0,0,1] op_sel_hi:[1,1,0] neg_lo:[0,0,1] neg_hi:[0,0,1]
	v_mov_b32_e32 v215, v221
	v_pk_fma_f32 v[220:221], v[206:207], v[200:201], v[222:223] op_sel:[0,0,1] op_sel_hi:[1,1,0] neg_lo:[0,0,1] neg_hi:[0,0,1]
	v_mul_f32_e32 v222, v217, v203
	ds_load_2addr_b64 v[204:207], v0 offset0:37 offset1:38
	v_mov_b32_e32 v221, v213
	v_pk_fma_f32 v[212:213], v[216:217], v[96:97], v[212:213] op_sel:[1,0,0] op_sel_hi:[0,1,0]
	v_pk_add_f32 v[122:123], v[122:123], v[214:215] neg_lo:[0,1] neg_hi:[0,1]
	v_pk_mul_f32 v[214:215], v[218:219], v[202:203] op_sel:[0,1]
	v_pk_fma_f32 v[216:217], v[216:217], v[96:97], v[222:223] op_sel_hi:[1,1,0] neg_lo:[0,0,1] neg_hi:[0,0,1]
	s_wait_dscnt 0x1
	v_pk_mul_f32 v[224:225], v[210:211], v[202:203] op_sel:[0,1]
	v_mov_b32_e32 v217, v213
	v_pk_add_f32 v[148:149], v[148:149], v[220:221] neg_lo:[0,1] neg_hi:[0,1]
	v_pk_mul_f32 v[220:221], v[208:209], v[202:203] op_sel:[0,1]
	v_pk_fma_f32 v[222:223], v[218:219], v[200:201], v[214:215] op_sel:[0,0,1] op_sel_hi:[1,0,0]
	v_pk_fma_f32 v[218:219], v[218:219], v[200:201], v[214:215] op_sel:[0,0,1] op_sel_hi:[1,1,0] neg_lo:[0,0,1] neg_hi:[0,0,1]
	ds_load_2addr_b64 v[212:215], v0 offset0:39 offset1:40
	v_pk_add_f32 v[144:145], v[144:145], v[216:217] neg_lo:[0,1] neg_hi:[0,1]
	v_pk_fma_f32 v[226:227], v[208:209], v[200:201], v[220:221] op_sel:[0,0,1] op_sel_hi:[1,0,0]
	v_pk_fma_f32 v[208:209], v[208:209], v[200:201], v[220:221] op_sel:[0,0,1] op_sel_hi:[1,1,0] neg_lo:[0,0,1] neg_hi:[0,0,1]
	ds_load_b64 v[220:221], v0 offset:328
	v_mov_b32_e32 v219, v223
	v_pk_fma_f32 v[222:223], v[210:211], v[200:201], v[224:225] op_sel:[0,0,1] op_sel_hi:[1,0,0]
	v_pk_fma_f32 v[210:211], v[210:211], v[200:201], v[224:225] op_sel:[0,0,1] op_sel_hi:[1,1,0] neg_lo:[0,0,1] neg_hi:[0,0,1]
	v_mov_b32_e32 v209, v227
	s_wait_dscnt 0x2
	v_mul_f32_e32 v216, v207, v203
	v_pk_add_f32 v[146:147], v[146:147], v[218:219] neg_lo:[0,1] neg_hi:[0,1]
	v_mov_b32_e32 v211, v223
	v_pk_mul_f32 v[222:223], v[204:205], v[202:203] op_sel:[0,1]
	v_pk_add_f32 v[142:143], v[142:143], v[208:209] neg_lo:[0,1] neg_hi:[0,1]
	s_delay_alu instid0(VALU_DEP_3) | instskip(NEXT) | instid1(VALU_DEP_3)
	v_pk_add_f32 v[164:165], v[164:165], v[210:211] neg_lo:[0,1] neg_hi:[0,1]
	v_pk_fma_f32 v[208:209], v[204:205], v[200:201], v[222:223] op_sel:[0,0,1] op_sel_hi:[1,0,0]
	v_dual_mov_b32 v210, v207 :: v_dual_mov_b32 v211, v206
	v_mul_f32_e32 v208, v207, v200
	v_pk_fma_f32 v[204:205], v[204:205], v[200:201], v[222:223] op_sel:[0,0,1] op_sel_hi:[1,1,0] neg_lo:[0,0,1] neg_hi:[0,0,1]
	s_delay_alu instid0(VALU_DEP_4)
	v_mov_b32_e32 v205, v209
	s_wait_dscnt 0x1
	v_pk_mul_f32 v[218:219], v[212:213], v[202:203] op_sel:[0,1]
	v_pk_fma_f32 v[206:207], v[206:207], v[96:97], v[216:217] op_sel_hi:[1,1,0] neg_lo:[0,0,1] neg_hi:[0,0,1]
	v_pk_fma_f32 v[208:209], v[210:211], v[96:97], v[208:209] op_sel_hi:[1,1,0]
	v_pk_mul_f32 v[210:211], v[214:215], v[202:203] op_sel:[0,1]
	s_wait_dscnt 0x0
	v_pk_mul_f32 v[202:203], v[220:221], v[202:203] op_sel:[0,1]
	v_pk_fma_f32 v[216:217], v[212:213], v[200:201], v[218:219] op_sel:[0,0,1] op_sel_hi:[1,0,0]
	v_pk_fma_f32 v[212:213], v[212:213], v[200:201], v[218:219] op_sel:[0,0,1] op_sel_hi:[1,1,0] neg_lo:[0,0,1] neg_hi:[0,0,1]
	v_mov_b32_e32 v207, v209
	v_pk_fma_f32 v[208:209], v[214:215], v[200:201], v[210:211] op_sel:[0,0,1] op_sel_hi:[1,0,0]
	v_pk_fma_f32 v[218:219], v[220:221], v[200:201], v[202:203] op_sel:[0,0,1] op_sel_hi:[1,0,0]
	v_pk_fma_f32 v[210:211], v[214:215], v[200:201], v[210:211] op_sel:[0,0,1] op_sel_hi:[1,1,0] neg_lo:[0,0,1] neg_hi:[0,0,1]
	v_pk_fma_f32 v[200:201], v[220:221], v[200:201], v[202:203] op_sel:[0,0,1] op_sel_hi:[1,1,0] neg_lo:[0,0,1] neg_hi:[0,0,1]
	s_delay_alu instid0(VALU_DEP_4) | instskip(NEXT) | instid1(VALU_DEP_4)
	v_dual_mov_b32 v213, v217 :: v_dual_mov_b32 v211, v209
	v_mov_b32_e32 v201, v219
	v_pk_add_f32 v[160:161], v[160:161], v[204:205] neg_lo:[0,1] neg_hi:[0,1]
	v_pk_add_f32 v[162:163], v[162:163], v[206:207] neg_lo:[0,1] neg_hi:[0,1]
	s_delay_alu instid0(VALU_DEP_4)
	v_pk_add_f32 v[158:159], v[158:159], v[212:213] neg_lo:[0,1] neg_hi:[0,1]
	v_pk_add_f32 v[166:167], v[166:167], v[210:211] neg_lo:[0,1] neg_hi:[0,1]
	;; [unrolled: 1-line block ×3, first 2 shown]
.LBB83_136:
	s_or_b32 exec_lo, exec_lo, s1
	s_delay_alu instid0(SALU_CYCLE_1)
	s_mov_b32 s2, exec_lo
	s_wait_dscnt 0x0
	s_barrier_signal -1
	s_barrier_wait -1
	v_cmpx_eq_u32_e32 15, v254
	s_cbranch_execz .LBB83_143
; %bb.137:
	v_dual_mov_b32 v200, v120 :: v_dual_mov_b32 v201, v121
	v_dual_mov_b32 v202, v118 :: v_dual_mov_b32 v203, v119
	;; [unrolled: 1-line block ×4, first 2 shown]
	ds_store_b64 v255, v[92:93]
	ds_store_2addr_b64 v0, v[200:201], v[202:203] offset0:16 offset1:17
	ds_store_2addr_b64 v0, v[204:205], v[206:207] offset0:18 offset1:19
	v_dual_mov_b32 v200, v138 :: v_dual_mov_b32 v201, v139
	v_dual_mov_b32 v202, v78 :: v_dual_mov_b32 v203, v79
	;; [unrolled: 1-line block ×12, first 2 shown]
	ds_store_2addr_b64 v0, v[200:201], v[202:203] offset0:20 offset1:21
	ds_store_2addr_b64 v0, v[204:205], v[206:207] offset0:22 offset1:23
	ds_store_2addr_b64 v0, v[208:209], v[210:211] offset0:24 offset1:25
	ds_store_2addr_b64 v0, v[212:213], v[214:215] offset0:26 offset1:27
	ds_store_2addr_b64 v0, v[216:217], v[218:219] offset0:28 offset1:29
	ds_store_2addr_b64 v0, v[220:221], v[222:223] offset0:30 offset1:31
	v_dual_mov_b32 v200, v148 :: v_dual_mov_b32 v201, v149
	v_dual_mov_b32 v202, v144 :: v_dual_mov_b32 v203, v145
	;; [unrolled: 1-line block ×9, first 2 shown]
	ds_store_2addr_b64 v0, v[200:201], v[202:203] offset0:32 offset1:33
	ds_store_2addr_b64 v0, v[204:205], v[206:207] offset0:34 offset1:35
	;; [unrolled: 1-line block ×5, first 2 shown]
	ds_load_b64 v[200:201], v255
	s_wait_dscnt 0x0
	v_cmp_neq_f32_e32 vcc_lo, 0, v200
	v_cmp_neq_f32_e64 s1, 0, v201
	s_or_b32 s1, vcc_lo, s1
	s_delay_alu instid0(SALU_CYCLE_1)
	s_and_b32 exec_lo, exec_lo, s1
	s_cbranch_execz .LBB83_143
; %bb.138:
	v_cmp_ngt_f32_e64 s1, |v200|, |v201|
                                        ; implicit-def: $vgpr202_vgpr203
	s_and_saveexec_b32 s4, s1
	s_delay_alu instid0(SALU_CYCLE_1)
	s_xor_b32 s1, exec_lo, s4
	s_cbranch_execz .LBB83_140
; %bb.139:
	v_div_scale_f32 v1, null, v201, v201, v200
	v_div_scale_f32 v6, vcc_lo, v200, v201, v200
	s_delay_alu instid0(VALU_DEP_2) | instskip(SKIP_1) | instid1(TRANS32_DEP_1)
	v_rcp_f32_e32 v4, v1
	v_nop
	v_fma_f32 v5, -v1, v4, 1.0
	s_delay_alu instid0(VALU_DEP_1) | instskip(NEXT) | instid1(VALU_DEP_1)
	v_fmac_f32_e32 v4, v5, v4
	v_mul_f32_e32 v5, v6, v4
	s_delay_alu instid0(VALU_DEP_1) | instskip(NEXT) | instid1(VALU_DEP_1)
	v_fma_f32 v7, -v1, v5, v6
	v_fmac_f32_e32 v5, v7, v4
	s_delay_alu instid0(VALU_DEP_1) | instskip(NEXT) | instid1(VALU_DEP_1)
	v_fma_f32 v1, -v1, v5, v6
	v_div_fmas_f32 v1, v1, v4, v5
	s_delay_alu instid0(VALU_DEP_1) | instskip(NEXT) | instid1(VALU_DEP_1)
	v_div_fixup_f32 v1, v1, v201, v200
	v_fmac_f32_e32 v201, v200, v1
	s_delay_alu instid0(VALU_DEP_1) | instskip(SKIP_1) | instid1(VALU_DEP_2)
	v_div_scale_f32 v4, null, v201, v201, 1.0
	v_div_scale_f32 v7, vcc_lo, 1.0, v201, 1.0
	v_rcp_f32_e32 v5, v4
	v_nop
	s_delay_alu instid0(TRANS32_DEP_1) | instskip(NEXT) | instid1(VALU_DEP_1)
	v_fma_f32 v6, -v4, v5, 1.0
	v_fmac_f32_e32 v5, v6, v5
	s_delay_alu instid0(VALU_DEP_1) | instskip(NEXT) | instid1(VALU_DEP_1)
	v_mul_f32_e32 v6, v7, v5
	v_fma_f32 v8, -v4, v6, v7
	s_delay_alu instid0(VALU_DEP_1) | instskip(NEXT) | instid1(VALU_DEP_1)
	v_fmac_f32_e32 v6, v8, v5
	v_fma_f32 v4, -v4, v6, v7
	s_delay_alu instid0(VALU_DEP_1) | instskip(NEXT) | instid1(VALU_DEP_1)
	v_div_fmas_f32 v4, v4, v5, v6
	v_div_fixup_f32 v4, v4, v201, 1.0
                                        ; implicit-def: $vgpr200_vgpr201
	s_delay_alu instid0(VALU_DEP_1)
	v_mul_f32_e32 v202, v1, v4
	v_xor_b32_e32 v203, 0x80000000, v4
.LBB83_140:
	s_and_not1_saveexec_b32 s1, s1
	s_cbranch_execz .LBB83_142
; %bb.141:
	v_div_scale_f32 v1, null, v200, v200, v201
	v_div_scale_f32 v6, vcc_lo, v201, v200, v201
	s_delay_alu instid0(VALU_DEP_2) | instskip(SKIP_1) | instid1(TRANS32_DEP_1)
	v_rcp_f32_e32 v4, v1
	v_nop
	v_fma_f32 v5, -v1, v4, 1.0
	s_delay_alu instid0(VALU_DEP_1) | instskip(NEXT) | instid1(VALU_DEP_1)
	v_fmac_f32_e32 v4, v5, v4
	v_mul_f32_e32 v5, v6, v4
	s_delay_alu instid0(VALU_DEP_1) | instskip(NEXT) | instid1(VALU_DEP_1)
	v_fma_f32 v7, -v1, v5, v6
	v_fmac_f32_e32 v5, v7, v4
	s_delay_alu instid0(VALU_DEP_1) | instskip(NEXT) | instid1(VALU_DEP_1)
	v_fma_f32 v1, -v1, v5, v6
	v_div_fmas_f32 v1, v1, v4, v5
	s_delay_alu instid0(VALU_DEP_1) | instskip(NEXT) | instid1(VALU_DEP_1)
	v_div_fixup_f32 v1, v1, v200, v201
	v_fmac_f32_e32 v200, v201, v1
	s_delay_alu instid0(VALU_DEP_1) | instskip(NEXT) | instid1(VALU_DEP_1)
	v_div_scale_f32 v4, null, v200, v200, 1.0
	v_rcp_f32_e32 v5, v4
	v_nop
	s_delay_alu instid0(TRANS32_DEP_1) | instskip(NEXT) | instid1(VALU_DEP_1)
	v_fma_f32 v6, -v4, v5, 1.0
	v_fmac_f32_e32 v5, v6, v5
	v_div_scale_f32 v6, vcc_lo, 1.0, v200, 1.0
	s_delay_alu instid0(VALU_DEP_1) | instskip(NEXT) | instid1(VALU_DEP_1)
	v_mul_f32_e32 v7, v6, v5
	v_fma_f32 v8, -v4, v7, v6
	s_delay_alu instid0(VALU_DEP_1) | instskip(NEXT) | instid1(VALU_DEP_1)
	v_fmac_f32_e32 v7, v8, v5
	v_fma_f32 v4, -v4, v7, v6
	s_delay_alu instid0(VALU_DEP_1) | instskip(NEXT) | instid1(VALU_DEP_1)
	v_div_fmas_f32 v4, v4, v5, v7
	v_div_fixup_f32 v202, v4, v200, 1.0
	s_delay_alu instid0(VALU_DEP_1)
	v_mul_f32_e64 v203, v1, -v202
.LBB83_142:
	s_or_b32 exec_lo, exec_lo, s1
	ds_store_b64 v255, v[202:203]
.LBB83_143:
	s_or_b32 exec_lo, exec_lo, s2
	s_wait_dscnt 0x0
	s_barrier_signal -1
	s_barrier_wait -1
	ds_load_b64 v[200:201], v255
	s_mov_b32 s1, exec_lo
	v_cmpx_lt_u32_e32 15, v254
	s_cbranch_execz .LBB83_145
; %bb.144:
	ds_load_2addr_b64 v[206:209], v0 offset0:16 offset1:17
	ds_load_2addr_b64 v[210:213], v0 offset0:18 offset1:19
	;; [unrolled: 1-line block ×3, first 2 shown]
	s_wait_dscnt 0x3
	v_pk_mul_f32 v[204:205], v[200:201], v[92:93] op_sel:[1,1] op_sel_hi:[0,1]
	ds_load_2addr_b64 v[218:221], v0 offset0:22 offset1:23
	ds_load_2addr_b64 v[222:225], v0 offset0:24 offset1:25
	v_pk_fma_f32 v[202:203], v[200:201], v[92:93], v[204:205] op_sel_hi:[1,0,1] neg_lo:[0,0,1] neg_hi:[0,0,1]
	v_pk_fma_f32 v[204:205], v[200:201], v[92:93], v[204:205] op_sel_hi:[1,0,1]
	s_delay_alu instid0(VALU_DEP_1) | instskip(SKIP_1) | instid1(VALU_DEP_2)
	v_dual_mov_b32 v92, v202 :: v_dual_mov_b32 v93, v205
	s_wait_dscnt 0x4
	v_pk_mul_f32 v[226:227], v[206:207], v[204:205] op_sel:[0,1]
	v_pk_mul_f32 v[228:229], v[208:209], v[204:205] op_sel:[0,1]
	s_wait_dscnt 0x3
	v_pk_mul_f32 v[230:231], v[210:211], v[204:205] op_sel:[0,1]
	s_wait_dscnt 0x2
	v_pk_mul_f32 v[238:239], v[214:215], v[204:205] op_sel:[0,1]
	v_dual_mov_b32 v232, v213 :: v_dual_mov_b32 v233, v212
	v_pk_fma_f32 v[242:243], v[206:207], v[202:203], v[226:227] op_sel:[0,0,1] op_sel_hi:[1,1,0] neg_lo:[0,0,1] neg_hi:[0,0,1]
	v_pk_fma_f32 v[206:207], v[206:207], v[202:203], v[226:227] op_sel:[0,0,1] op_sel_hi:[1,0,0]
	v_dual_mul_f32 v234, v213, v205 :: v_dual_mul_f32 v236, v213, v202
	v_pk_mul_f32 v[240:241], v[216:217], v[204:205] op_sel:[0,1]
	v_pk_fma_f32 v[226:227], v[208:209], v[202:203], v[228:229] op_sel:[0,0,1] op_sel_hi:[1,1,0] neg_lo:[0,0,1] neg_hi:[0,0,1]
	v_pk_fma_f32 v[208:209], v[208:209], v[202:203], v[228:229] op_sel:[0,0,1] op_sel_hi:[1,0,0]
	v_pk_fma_f32 v[228:229], v[210:211], v[202:203], v[230:231] op_sel:[0,0,1] op_sel_hi:[1,1,0] neg_lo:[0,0,1] neg_hi:[0,0,1]
	v_pk_fma_f32 v[210:211], v[210:211], v[202:203], v[230:231] op_sel:[0,0,1] op_sel_hi:[1,0,0]
	v_mov_b32_e32 v243, v207
	v_pk_fma_f32 v[206:207], v[214:215], v[202:203], v[238:239] op_sel:[0,0,1] op_sel_hi:[1,0,0]
	v_pk_fma_f32 v[230:231], v[232:233], v[92:93], v[236:237] op_sel_hi:[1,1,0]
	v_pk_fma_f32 v[232:233], v[214:215], v[202:203], v[238:239] op_sel:[0,0,1] op_sel_hi:[1,1,0] neg_lo:[0,0,1] neg_hi:[0,0,1]
	v_dual_mov_b32 v227, v209 :: v_dual_mov_b32 v229, v211
	v_pk_fma_f32 v[210:211], v[216:217], v[202:203], v[240:241] op_sel:[0,0,1] op_sel_hi:[1,0,0]
	v_mov_b32_e32 v233, v207
	s_wait_dscnt 0x1
	v_pk_mul_f32 v[214:215], v[218:219], v[204:205] op_sel:[0,1]
	ds_load_2addr_b64 v[206:209], v0 offset0:26 offset1:27
	v_pk_fma_f32 v[212:213], v[212:213], v[92:93], v[234:235] op_sel_hi:[1,1,0] neg_lo:[0,0,1] neg_hi:[0,0,1]
	v_pk_fma_f32 v[216:217], v[216:217], v[202:203], v[240:241] op_sel:[0,0,1] op_sel_hi:[1,1,0] neg_lo:[0,0,1] neg_hi:[0,0,1]
	v_mov_b32_e32 v213, v231
	v_pk_add_f32 v[118:119], v[118:119], v[226:227] neg_lo:[0,1] neg_hi:[0,1]
	v_mov_b32_e32 v217, v211
	v_pk_mul_f32 v[226:227], v[220:221], v[204:205] op_sel:[0,1]
	v_pk_fma_f32 v[210:211], v[218:219], v[202:203], v[214:215] op_sel:[0,0,1] op_sel_hi:[1,0,0]
	v_pk_fma_f32 v[214:215], v[218:219], v[202:203], v[214:215] op_sel:[0,0,1] op_sel_hi:[1,1,0] neg_lo:[0,0,1] neg_hi:[0,0,1]
	v_pk_add_f32 v[116:117], v[116:117], v[212:213] neg_lo:[0,1] neg_hi:[0,1]
	v_pk_add_f32 v[78:79], v[78:79], v[216:217] neg_lo:[0,1] neg_hi:[0,1]
	v_pk_fma_f32 v[216:217], v[220:221], v[202:203], v[226:227] op_sel:[0,0,1] op_sel_hi:[1,0,0]
	v_mov_b32_e32 v215, v211
	ds_load_2addr_b64 v[210:213], v0 offset0:28 offset1:29
	v_pk_fma_f32 v[218:219], v[220:221], v[202:203], v[226:227] op_sel:[0,0,1] op_sel_hi:[1,1,0] neg_lo:[0,0,1] neg_hi:[0,0,1]
	s_wait_dscnt 0x2
	v_dual_mul_f32 v216, v223, v202 :: v_dual_mov_b32 v219, v217
	v_pk_mul_f32 v[220:221], v[224:225], v[204:205] op_sel:[0,1]
	v_pk_add_f32 v[80:81], v[80:81], v[214:215] neg_lo:[0,1] neg_hi:[0,1]
	v_mul_f32_e32 v214, v223, v205
	s_delay_alu instid0(VALU_DEP_4)
	v_pk_fma_f32 v[216:217], v[222:223], v[92:93], v[216:217] op_sel:[1,0,0] op_sel_hi:[0,1,0]
	v_pk_add_f32 v[76:77], v[76:77], v[218:219] neg_lo:[0,1] neg_hi:[0,1]
	s_wait_dscnt 0x1
	v_pk_mul_f32 v[218:219], v[206:207], v[204:205] op_sel:[0,1]
	v_pk_fma_f32 v[226:227], v[224:225], v[202:203], v[220:221] op_sel:[0,0,1] op_sel_hi:[1,0,0]
	v_pk_fma_f32 v[222:223], v[222:223], v[92:93], v[214:215] op_sel_hi:[1,1,0] neg_lo:[0,0,1] neg_hi:[0,0,1]
	v_pk_fma_f32 v[220:221], v[224:225], v[202:203], v[220:221] op_sel:[0,0,1] op_sel_hi:[1,1,0] neg_lo:[0,0,1] neg_hi:[0,0,1]
	v_mov_b32_e32 v223, v217
	v_pk_fma_f32 v[224:225], v[206:207], v[202:203], v[218:219] op_sel:[0,0,1] op_sel_hi:[1,0,0]
	v_mov_b32_e32 v221, v227
	v_pk_fma_f32 v[206:207], v[206:207], v[202:203], v[218:219] op_sel:[0,0,1] op_sel_hi:[1,1,0] neg_lo:[0,0,1] neg_hi:[0,0,1]
	v_pk_mul_f32 v[218:219], v[208:209], v[204:205] op_sel:[0,1]
	ds_load_2addr_b64 v[214:217], v0 offset0:30 offset1:31
	v_pk_add_f32 v[106:107], v[106:107], v[222:223] neg_lo:[0,1] neg_hi:[0,1]
	v_pk_add_f32 v[102:103], v[102:103], v[220:221] neg_lo:[0,1] neg_hi:[0,1]
	;; [unrolled: 1-line block ×3, first 2 shown]
	v_pk_fma_f32 v[220:221], v[208:209], v[202:203], v[218:219] op_sel:[0,0,1] op_sel_hi:[1,0,0]
	v_mov_b32_e32 v207, v225
	s_wait_dscnt 0x1
	v_pk_mul_f32 v[224:225], v[210:211], v[204:205] op_sel:[0,1]
	v_pk_fma_f32 v[218:219], v[208:209], v[202:203], v[218:219] op_sel:[0,0,1] op_sel_hi:[1,1,0] neg_lo:[0,0,1] neg_hi:[0,0,1]
	v_dual_mov_b32 v220, v213 :: v_dual_mov_b32 v219, v221
	v_pk_add_f32 v[104:105], v[104:105], v[206:207] neg_lo:[0,1] neg_hi:[0,1]
	s_delay_alu instid0(VALU_DEP_4)
	v_pk_fma_f32 v[222:223], v[210:211], v[202:203], v[224:225] op_sel:[0,0,1] op_sel_hi:[1,0,0]
	ds_load_2addr_b64 v[206:209], v0 offset0:32 offset1:33
	v_pk_fma_f32 v[210:211], v[210:211], v[202:203], v[224:225] op_sel:[0,0,1] op_sel_hi:[1,1,0] neg_lo:[0,0,1] neg_hi:[0,0,1]
	v_dual_mov_b32 v221, v212 :: v_dual_mul_f32 v222, v213, v202
	v_mov_b32_e32 v211, v223
	v_pk_add_f32 v[100:101], v[100:101], v[218:219] neg_lo:[0,1] neg_hi:[0,1]
	v_pk_add_f32 v[120:121], v[120:121], v[242:243] neg_lo:[0,1] neg_hi:[0,1]
	v_pk_add_f32 v[138:139], v[138:139], v[232:233] neg_lo:[0,1] neg_hi:[0,1]
	v_pk_fma_f32 v[218:219], v[220:221], v[92:93], v[222:223] op_sel_hi:[1,1,0]
	v_mul_f32_e32 v224, v213, v205
	s_wait_dscnt 0x1
	v_pk_mul_f32 v[226:227], v[214:215], v[204:205] op_sel:[0,1]
	v_pk_add_f32 v[128:129], v[128:129], v[210:211] neg_lo:[0,1] neg_hi:[0,1]
	s_delay_alu instid0(VALU_DEP_3)
	v_pk_fma_f32 v[222:223], v[212:213], v[92:93], v[224:225] op_sel_hi:[1,1,0] neg_lo:[0,0,1] neg_hi:[0,0,1]
	v_pk_mul_f32 v[224:225], v[216:217], v[204:205] op_sel:[0,1]
	ds_load_2addr_b64 v[210:213], v0 offset0:34 offset1:35
	v_pk_fma_f32 v[220:221], v[214:215], v[202:203], v[226:227] op_sel:[0,0,1] op_sel_hi:[1,0,0]
	v_pk_fma_f32 v[214:215], v[214:215], v[202:203], v[226:227] op_sel:[0,0,1] op_sel_hi:[1,1,0] neg_lo:[0,0,1] neg_hi:[0,0,1]
	v_mov_b32_e32 v223, v219
	v_pk_fma_f32 v[226:227], v[216:217], v[202:203], v[224:225] op_sel:[0,0,1] op_sel_hi:[1,0,0]
	s_wait_dscnt 0x1
	v_pk_mul_f32 v[228:229], v[206:207], v[204:205] op_sel:[0,1]
	v_pk_fma_f32 v[216:217], v[216:217], v[202:203], v[224:225] op_sel:[0,0,1] op_sel_hi:[1,1,0] neg_lo:[0,0,1] neg_hi:[0,0,1]
	v_mov_b32_e32 v215, v221
	ds_load_2addr_b64 v[218:221], v0 offset0:36 offset1:37
	v_mov_b32_e32 v217, v227
	v_pk_mul_f32 v[224:225], v[208:209], v[204:205] op_sel:[0,1]
	v_pk_add_f32 v[124:125], v[124:125], v[222:223] neg_lo:[0,1] neg_hi:[0,1]
	v_pk_fma_f32 v[222:223], v[206:207], v[202:203], v[228:229] op_sel:[0,0,1] op_sel_hi:[1,0,0]
	v_pk_add_f32 v[126:127], v[126:127], v[214:215] neg_lo:[0,1] neg_hi:[0,1]
	v_pk_add_f32 v[122:123], v[122:123], v[216:217] neg_lo:[0,1] neg_hi:[0,1]
	v_pk_fma_f32 v[216:217], v[206:207], v[202:203], v[228:229] op_sel:[0,0,1] op_sel_hi:[1,1,0] neg_lo:[0,0,1] neg_hi:[0,0,1]
	v_pk_fma_f32 v[214:215], v[208:209], v[202:203], v[224:225] op_sel:[0,0,1] op_sel_hi:[1,0,0]
	v_mov_b32_e32 v217, v223
	v_pk_fma_f32 v[222:223], v[208:209], v[202:203], v[224:225] op_sel:[0,0,1] op_sel_hi:[1,1,0] neg_lo:[0,0,1] neg_hi:[0,0,1]
	ds_load_2addr_b64 v[206:209], v0 offset0:38 offset1:39
	s_wait_dscnt 0x2
	v_mul_f32_e32 v214, v211, v202
	v_mov_b32_e32 v223, v215
	v_pk_add_f32 v[148:149], v[148:149], v[216:217] neg_lo:[0,1] neg_hi:[0,1]
	v_mul_f32_e32 v216, v211, v205
	v_pk_mul_f32 v[224:225], v[212:213], v[204:205] op_sel:[0,1]
	s_delay_alu instid0(VALU_DEP_4) | instskip(SKIP_1) | instid1(VALU_DEP_4)
	v_pk_add_f32 v[144:145], v[144:145], v[222:223] neg_lo:[0,1] neg_hi:[0,1]
	v_pk_fma_f32 v[222:223], v[210:211], v[92:93], v[214:215] op_sel:[1,0,0] op_sel_hi:[0,1,0]
	v_pk_fma_f32 v[210:211], v[210:211], v[92:93], v[216:217] op_sel_hi:[1,1,0] neg_lo:[0,0,1] neg_hi:[0,0,1]
	ds_load_2addr_b64 v[214:217], v0 offset0:40 offset1:41
	s_wait_dscnt 0x2
	v_pk_mul_f32 v[226:227], v[218:219], v[204:205] op_sel:[0,1]
	v_pk_fma_f32 v[228:229], v[212:213], v[202:203], v[224:225] op_sel:[0,0,1] op_sel_hi:[1,0,0]
	v_mov_b32_e32 v211, v223
	v_pk_fma_f32 v[212:213], v[212:213], v[202:203], v[224:225] op_sel:[0,0,1] op_sel_hi:[1,1,0] neg_lo:[0,0,1] neg_hi:[0,0,1]
	v_pk_mul_f32 v[224:225], v[220:221], v[204:205] op_sel:[0,1]
	v_pk_fma_f32 v[222:223], v[218:219], v[202:203], v[226:227] op_sel:[0,0,1] op_sel_hi:[1,0,0]
	v_mov_b32_e32 v213, v229
	v_pk_fma_f32 v[218:219], v[218:219], v[202:203], v[226:227] op_sel:[0,0,1] op_sel_hi:[1,1,0] neg_lo:[0,0,1] neg_hi:[0,0,1]
	v_pk_add_f32 v[146:147], v[146:147], v[210:211] neg_lo:[0,1] neg_hi:[0,1]
	v_pk_fma_f32 v[210:211], v[220:221], v[202:203], v[224:225] op_sel:[0,0,1] op_sel_hi:[1,0,0]
	v_mov_b32_e32 v219, v223
	s_wait_dscnt 0x1
	v_pk_mul_f32 v[222:223], v[206:207], v[204:205] op_sel:[0,1]
	v_pk_add_f32 v[142:143], v[142:143], v[212:213] neg_lo:[0,1] neg_hi:[0,1]
	v_pk_fma_f32 v[212:213], v[220:221], v[202:203], v[224:225] op_sel:[0,0,1] op_sel_hi:[1,1,0] neg_lo:[0,0,1] neg_hi:[0,0,1]
	v_mov_b32_e32 v213, v211
	v_pk_add_f32 v[164:165], v[164:165], v[218:219] neg_lo:[0,1] neg_hi:[0,1]
	v_pk_fma_f32 v[210:211], v[206:207], v[202:203], v[222:223] op_sel:[0,0,1] op_sel_hi:[1,1,0] neg_lo:[0,0,1] neg_hi:[0,0,1]
	v_pk_fma_f32 v[206:207], v[206:207], v[202:203], v[222:223] op_sel:[0,0,1] op_sel_hi:[1,0,0]
	v_dual_mov_b32 v218, v209 :: v_dual_mov_b32 v219, v208
	v_dual_mul_f32 v220, v209, v202 :: v_dual_mul_f32 v206, v209, v205
	s_wait_dscnt 0x0
	v_pk_mul_f32 v[222:223], v[214:215], v[204:205] op_sel:[0,1]
	v_pk_mul_f32 v[204:205], v[216:217], v[204:205] op_sel:[0,1]
	v_pk_add_f32 v[160:161], v[160:161], v[212:213] neg_lo:[0,1] neg_hi:[0,1]
	v_pk_fma_f32 v[218:219], v[218:219], v[92:93], v[220:221] op_sel_hi:[1,1,0]
	v_mov_b32_e32 v211, v207
	v_pk_fma_f32 v[220:221], v[214:215], v[202:203], v[222:223] op_sel:[0,0,1] op_sel_hi:[1,0,0]
	v_pk_fma_f32 v[206:207], v[208:209], v[92:93], v[206:207] op_sel_hi:[1,1,0] neg_lo:[0,0,1] neg_hi:[0,0,1]
	v_pk_fma_f32 v[208:209], v[216:217], v[202:203], v[204:205] op_sel:[0,0,1] op_sel_hi:[1,0,0]
	v_pk_fma_f32 v[214:215], v[214:215], v[202:203], v[222:223] op_sel:[0,0,1] op_sel_hi:[1,1,0] neg_lo:[0,0,1] neg_hi:[0,0,1]
	v_pk_fma_f32 v[202:203], v[216:217], v[202:203], v[204:205] op_sel:[0,0,1] op_sel_hi:[1,1,0] neg_lo:[0,0,1] neg_hi:[0,0,1]
	v_dual_mov_b32 v207, v219 :: v_dual_mov_b32 v215, v221
	s_delay_alu instid0(VALU_DEP_4) | instskip(SKIP_1) | instid1(VALU_DEP_3)
	v_mov_b32_e32 v203, v209
	v_pk_add_f32 v[162:163], v[162:163], v[210:211] neg_lo:[0,1] neg_hi:[0,1]
	v_pk_add_f32 v[158:159], v[158:159], v[206:207] neg_lo:[0,1] neg_hi:[0,1]
	s_delay_alu instid0(VALU_DEP_4) | instskip(NEXT) | instid1(VALU_DEP_4)
	v_pk_add_f32 v[166:167], v[166:167], v[214:215] neg_lo:[0,1] neg_hi:[0,1]
	v_pk_add_f32 v[168:169], v[168:169], v[202:203] neg_lo:[0,1] neg_hi:[0,1]
.LBB83_145:
	s_or_b32 exec_lo, exec_lo, s1
	s_delay_alu instid0(SALU_CYCLE_1)
	s_mov_b32 s2, exec_lo
	s_wait_dscnt 0x0
	s_barrier_signal -1
	s_barrier_wait -1
	v_cmpx_eq_u32_e32 16, v254
	s_cbranch_execz .LBB83_152
; %bb.146:
	ds_store_b64 v255, v[120:121]
	ds_store_2addr_b64 v0, v[118:119], v[90:91] offset0:17 offset1:18
	ds_store_2addr_b64 v0, v[116:117], v[138:139] offset0:19 offset1:20
	;; [unrolled: 1-line block ×12, first 2 shown]
	ds_store_b64 v0, v[168:169] offset:328
	ds_load_b64 v[202:203], v255
	s_wait_dscnt 0x0
	v_cmp_neq_f32_e32 vcc_lo, 0, v202
	v_cmp_neq_f32_e64 s1, 0, v203
	s_or_b32 s1, vcc_lo, s1
	s_delay_alu instid0(SALU_CYCLE_1)
	s_and_b32 exec_lo, exec_lo, s1
	s_cbranch_execz .LBB83_152
; %bb.147:
	v_cmp_ngt_f32_e64 s1, |v202|, |v203|
                                        ; implicit-def: $vgpr204_vgpr205
	s_and_saveexec_b32 s4, s1
	s_delay_alu instid0(SALU_CYCLE_1)
	s_xor_b32 s1, exec_lo, s4
	s_cbranch_execz .LBB83_149
; %bb.148:
	v_div_scale_f32 v1, null, v203, v203, v202
	v_div_scale_f32 v6, vcc_lo, v202, v203, v202
	s_delay_alu instid0(VALU_DEP_2) | instskip(SKIP_1) | instid1(TRANS32_DEP_1)
	v_rcp_f32_e32 v4, v1
	v_nop
	v_fma_f32 v5, -v1, v4, 1.0
	s_delay_alu instid0(VALU_DEP_1) | instskip(NEXT) | instid1(VALU_DEP_1)
	v_fmac_f32_e32 v4, v5, v4
	v_mul_f32_e32 v5, v6, v4
	s_delay_alu instid0(VALU_DEP_1) | instskip(NEXT) | instid1(VALU_DEP_1)
	v_fma_f32 v7, -v1, v5, v6
	v_fmac_f32_e32 v5, v7, v4
	s_delay_alu instid0(VALU_DEP_1) | instskip(NEXT) | instid1(VALU_DEP_1)
	v_fma_f32 v1, -v1, v5, v6
	v_div_fmas_f32 v1, v1, v4, v5
	s_delay_alu instid0(VALU_DEP_1) | instskip(NEXT) | instid1(VALU_DEP_1)
	v_div_fixup_f32 v1, v1, v203, v202
	v_fmac_f32_e32 v203, v202, v1
	s_delay_alu instid0(VALU_DEP_1) | instskip(SKIP_1) | instid1(VALU_DEP_2)
	v_div_scale_f32 v4, null, v203, v203, 1.0
	v_div_scale_f32 v7, vcc_lo, 1.0, v203, 1.0
	v_rcp_f32_e32 v5, v4
	v_nop
	s_delay_alu instid0(TRANS32_DEP_1) | instskip(NEXT) | instid1(VALU_DEP_1)
	v_fma_f32 v6, -v4, v5, 1.0
	v_fmac_f32_e32 v5, v6, v5
	s_delay_alu instid0(VALU_DEP_1) | instskip(NEXT) | instid1(VALU_DEP_1)
	v_mul_f32_e32 v6, v7, v5
	v_fma_f32 v8, -v4, v6, v7
	s_delay_alu instid0(VALU_DEP_1) | instskip(NEXT) | instid1(VALU_DEP_1)
	v_fmac_f32_e32 v6, v8, v5
	v_fma_f32 v4, -v4, v6, v7
	s_delay_alu instid0(VALU_DEP_1) | instskip(NEXT) | instid1(VALU_DEP_1)
	v_div_fmas_f32 v4, v4, v5, v6
	v_div_fixup_f32 v4, v4, v203, 1.0
                                        ; implicit-def: $vgpr202_vgpr203
	s_delay_alu instid0(VALU_DEP_1)
	v_mul_f32_e32 v204, v1, v4
	v_xor_b32_e32 v205, 0x80000000, v4
.LBB83_149:
	s_and_not1_saveexec_b32 s1, s1
	s_cbranch_execz .LBB83_151
; %bb.150:
	v_div_scale_f32 v1, null, v202, v202, v203
	v_div_scale_f32 v6, vcc_lo, v203, v202, v203
	s_delay_alu instid0(VALU_DEP_2) | instskip(SKIP_1) | instid1(TRANS32_DEP_1)
	v_rcp_f32_e32 v4, v1
	v_nop
	v_fma_f32 v5, -v1, v4, 1.0
	s_delay_alu instid0(VALU_DEP_1) | instskip(NEXT) | instid1(VALU_DEP_1)
	v_fmac_f32_e32 v4, v5, v4
	v_mul_f32_e32 v5, v6, v4
	s_delay_alu instid0(VALU_DEP_1) | instskip(NEXT) | instid1(VALU_DEP_1)
	v_fma_f32 v7, -v1, v5, v6
	v_fmac_f32_e32 v5, v7, v4
	s_delay_alu instid0(VALU_DEP_1) | instskip(NEXT) | instid1(VALU_DEP_1)
	v_fma_f32 v1, -v1, v5, v6
	v_div_fmas_f32 v1, v1, v4, v5
	s_delay_alu instid0(VALU_DEP_1) | instskip(NEXT) | instid1(VALU_DEP_1)
	v_div_fixup_f32 v1, v1, v202, v203
	v_fmac_f32_e32 v202, v203, v1
	s_delay_alu instid0(VALU_DEP_1) | instskip(NEXT) | instid1(VALU_DEP_1)
	v_div_scale_f32 v4, null, v202, v202, 1.0
	v_rcp_f32_e32 v5, v4
	v_nop
	s_delay_alu instid0(TRANS32_DEP_1) | instskip(NEXT) | instid1(VALU_DEP_1)
	v_fma_f32 v6, -v4, v5, 1.0
	v_fmac_f32_e32 v5, v6, v5
	v_div_scale_f32 v6, vcc_lo, 1.0, v202, 1.0
	s_delay_alu instid0(VALU_DEP_1) | instskip(NEXT) | instid1(VALU_DEP_1)
	v_mul_f32_e32 v7, v6, v5
	v_fma_f32 v8, -v4, v7, v6
	s_delay_alu instid0(VALU_DEP_1) | instskip(NEXT) | instid1(VALU_DEP_1)
	v_fmac_f32_e32 v7, v8, v5
	v_fma_f32 v4, -v4, v7, v6
	s_delay_alu instid0(VALU_DEP_1) | instskip(NEXT) | instid1(VALU_DEP_1)
	v_div_fmas_f32 v4, v4, v5, v7
	v_div_fixup_f32 v204, v4, v202, 1.0
	s_delay_alu instid0(VALU_DEP_1)
	v_mul_f32_e64 v205, v1, -v204
.LBB83_151:
	s_or_b32 exec_lo, exec_lo, s1
	ds_store_b64 v255, v[204:205]
.LBB83_152:
	s_or_b32 exec_lo, exec_lo, s2
	s_wait_dscnt 0x0
	s_barrier_signal -1
	s_barrier_wait -1
	ds_load_b64 v[202:203], v255
	s_mov_b32 s1, exec_lo
	v_cmpx_lt_u32_e32 16, v254
	s_cbranch_execz .LBB83_154
; %bb.153:
	ds_load_2addr_b64 v[208:211], v0 offset0:17 offset1:18
	ds_load_2addr_b64 v[212:215], v0 offset0:19 offset1:20
	;; [unrolled: 1-line block ×3, first 2 shown]
	s_wait_dscnt 0x3
	v_pk_mul_f32 v[206:207], v[202:203], v[120:121] op_sel:[1,1] op_sel_hi:[0,1]
	ds_load_2addr_b64 v[220:223], v0 offset0:23 offset1:24
	ds_load_2addr_b64 v[224:227], v0 offset0:25 offset1:26
	v_pk_fma_f32 v[204:205], v[202:203], v[120:121], v[206:207] op_sel_hi:[1,0,1] neg_lo:[0,0,1] neg_hi:[0,0,1]
	v_pk_fma_f32 v[206:207], v[202:203], v[120:121], v[206:207] op_sel_hi:[1,0,1]
	s_delay_alu instid0(VALU_DEP_1) | instskip(SKIP_1) | instid1(VALU_DEP_2)
	v_dual_mov_b32 v120, v204 :: v_dual_mov_b32 v121, v207
	s_wait_dscnt 0x4
	v_pk_mul_f32 v[228:229], v[208:209], v[206:207] op_sel:[0,1]
	v_pk_mul_f32 v[230:231], v[210:211], v[206:207] op_sel:[0,1]
	s_wait_dscnt 0x3
	v_pk_mul_f32 v[232:233], v[212:213], v[206:207] op_sel:[0,1]
	v_dual_mov_b32 v234, v215 :: v_dual_mov_b32 v235, v214
	v_dual_mul_f32 v236, v215, v207 :: v_dual_mul_f32 v238, v215, v204
	s_wait_dscnt 0x2
	v_pk_mul_f32 v[240:241], v[216:217], v[206:207] op_sel:[0,1]
	v_pk_mul_f32 v[242:243], v[218:219], v[206:207] op_sel:[0,1]
	v_pk_fma_f32 v[244:245], v[208:209], v[204:205], v[228:229] op_sel:[0,0,1] op_sel_hi:[1,1,0] neg_lo:[0,0,1] neg_hi:[0,0,1]
	v_pk_fma_f32 v[208:209], v[208:209], v[204:205], v[228:229] op_sel:[0,0,1] op_sel_hi:[1,0,0]
	v_pk_fma_f32 v[228:229], v[210:211], v[204:205], v[230:231] op_sel:[0,0,1] op_sel_hi:[1,1,0] neg_lo:[0,0,1] neg_hi:[0,0,1]
	v_pk_fma_f32 v[210:211], v[210:211], v[204:205], v[230:231] op_sel:[0,0,1] op_sel_hi:[1,0,0]
	;; [unrolled: 2-line block ×3, first 2 shown]
	v_pk_fma_f32 v[232:233], v[234:235], v[120:121], v[238:239] op_sel_hi:[1,1,0]
	v_pk_fma_f32 v[234:235], v[216:217], v[204:205], v[240:241] op_sel:[0,0,1] op_sel_hi:[1,0,0]
	v_dual_mov_b32 v245, v209 :: v_dual_mov_b32 v229, v211
	v_pk_fma_f32 v[208:209], v[218:219], v[204:205], v[242:243] op_sel:[0,0,1] op_sel_hi:[1,0,0]
	v_pk_fma_f32 v[214:215], v[214:215], v[120:121], v[236:237] op_sel_hi:[1,1,0] neg_lo:[0,0,1] neg_hi:[0,0,1]
	v_dual_mov_b32 v231, v213 :: v_dual_mov_b32 v215, v233
	v_pk_fma_f32 v[212:213], v[216:217], v[204:205], v[240:241] op_sel:[0,0,1] op_sel_hi:[1,1,0] neg_lo:[0,0,1] neg_hi:[0,0,1]
	v_pk_fma_f32 v[216:217], v[218:219], v[204:205], v[242:243] op_sel:[0,0,1] op_sel_hi:[1,1,0] neg_lo:[0,0,1] neg_hi:[0,0,1]
	v_dual_mov_b32 v213, v235 :: v_dual_mov_b32 v217, v209
	ds_load_2addr_b64 v[208:211], v0 offset0:27 offset1:28
	v_pk_add_f32 v[90:91], v[90:91], v[228:229] neg_lo:[0,1] neg_hi:[0,1]
	s_wait_dscnt 0x2
	v_pk_mul_f32 v[218:219], v[220:221], v[206:207] op_sel:[0,1]
	v_pk_add_f32 v[138:139], v[138:139], v[214:215] neg_lo:[0,1] neg_hi:[0,1]
	v_pk_add_f32 v[78:79], v[78:79], v[212:213] neg_lo:[0,1] neg_hi:[0,1]
	v_pk_mul_f32 v[228:229], v[222:223], v[206:207] op_sel:[0,1]
	ds_load_2addr_b64 v[212:215], v0 offset0:29 offset1:30
	v_pk_add_f32 v[116:117], v[116:117], v[230:231] neg_lo:[0,1] neg_hi:[0,1]
	v_pk_add_f32 v[80:81], v[80:81], v[216:217] neg_lo:[0,1] neg_hi:[0,1]
	v_pk_fma_f32 v[216:217], v[220:221], v[204:205], v[218:219] op_sel:[0,0,1] op_sel_hi:[1,1,0] neg_lo:[0,0,1] neg_hi:[0,0,1]
	s_wait_dscnt 0x2
	v_mul_f32_e32 v230, v225, v204
	v_pk_fma_f32 v[218:219], v[220:221], v[204:205], v[218:219] op_sel:[0,0,1] op_sel_hi:[1,0,0]
	v_pk_fma_f32 v[220:221], v[222:223], v[204:205], v[228:229] op_sel:[0,0,1] op_sel_hi:[1,0,0]
	v_mul_f32_e32 v218, v225, v207
	v_pk_fma_f32 v[222:223], v[222:223], v[204:205], v[228:229] op_sel:[0,0,1] op_sel_hi:[1,1,0] neg_lo:[0,0,1] neg_hi:[0,0,1]
	v_pk_fma_f32 v[230:231], v[224:225], v[120:121], v[230:231] op_sel:[1,0,0] op_sel_hi:[0,1,0]
	s_delay_alu instid0(VALU_DEP_4)
	v_dual_mov_b32 v217, v219 :: v_dual_mov_b32 v223, v221
	v_pk_mul_f32 v[220:221], v[226:227], v[206:207] op_sel:[0,1]
	v_pk_fma_f32 v[218:219], v[224:225], v[120:121], v[218:219] op_sel_hi:[1,1,0] neg_lo:[0,0,1] neg_hi:[0,0,1]
	s_wait_dscnt 0x1
	v_pk_mul_f32 v[224:225], v[208:209], v[206:207] op_sel:[0,1]
	v_pk_add_f32 v[76:77], v[76:77], v[216:217] neg_lo:[0,1] neg_hi:[0,1]
	v_pk_add_f32 v[106:107], v[106:107], v[222:223] neg_lo:[0,1] neg_hi:[0,1]
	v_pk_fma_f32 v[222:223], v[226:227], v[204:205], v[220:221] op_sel:[0,0,1] op_sel_hi:[1,0,0]
	v_mov_b32_e32 v219, v231
	v_pk_fma_f32 v[226:227], v[226:227], v[204:205], v[220:221] op_sel:[0,0,1] op_sel_hi:[1,1,0] neg_lo:[0,0,1] neg_hi:[0,0,1]
	v_pk_fma_f32 v[220:221], v[208:209], v[204:205], v[224:225] op_sel:[0,0,1] op_sel_hi:[1,0,0]
	v_pk_fma_f32 v[208:209], v[208:209], v[204:205], v[224:225] op_sel:[0,0,1] op_sel_hi:[1,1,0] neg_lo:[0,0,1] neg_hi:[0,0,1]
	v_mov_b32_e32 v227, v223
	v_pk_add_f32 v[102:103], v[102:103], v[218:219] neg_lo:[0,1] neg_hi:[0,1]
	ds_load_2addr_b64 v[216:219], v0 offset0:31 offset1:32
	s_wait_dscnt 0x1
	v_pk_mul_f32 v[224:225], v[212:213], v[206:207] op_sel:[0,1]
	v_pk_mul_f32 v[228:229], v[210:211], v[206:207] op_sel:[0,1]
	v_pk_add_f32 v[104:105], v[104:105], v[226:227] neg_lo:[0,1] neg_hi:[0,1]
	v_pk_add_f32 v[118:119], v[118:119], v[244:245] neg_lo:[0,1] neg_hi:[0,1]
	s_delay_alu instid0(VALU_DEP_4)
	v_pk_fma_f32 v[226:227], v[212:213], v[204:205], v[224:225] op_sel:[0,0,1] op_sel_hi:[1,0,0]
	v_mov_b32_e32 v209, v221
	ds_load_2addr_b64 v[220:223], v0 offset0:33 offset1:34
	v_pk_fma_f32 v[230:231], v[210:211], v[204:205], v[228:229] op_sel:[0,0,1] op_sel_hi:[1,0,0]
	v_mul_f32_e32 v226, v215, v204
	v_pk_add_f32 v[100:101], v[100:101], v[208:209] neg_lo:[0,1] neg_hi:[0,1]
	v_pk_fma_f32 v[208:209], v[210:211], v[204:205], v[228:229] op_sel:[0,0,1] op_sel_hi:[1,1,0] neg_lo:[0,0,1] neg_hi:[0,0,1]
	v_pk_fma_f32 v[210:211], v[212:213], v[204:205], v[224:225] op_sel:[0,0,1] op_sel_hi:[1,1,0] neg_lo:[0,0,1] neg_hi:[0,0,1]
	v_dual_mov_b32 v209, v231 :: v_dual_mov_b32 v212, v215
	v_dual_mov_b32 v211, v227 :: v_dual_mov_b32 v213, v214
	v_mul_f32_e32 v224, v215, v207
	s_wait_dscnt 0x1
	v_pk_mul_f32 v[228:229], v[216:217], v[206:207] op_sel:[0,1]
	v_pk_add_f32 v[128:129], v[128:129], v[208:209] neg_lo:[0,1] neg_hi:[0,1]
	v_pk_add_f32 v[124:125], v[124:125], v[210:211] neg_lo:[0,1] neg_hi:[0,1]
	ds_load_2addr_b64 v[208:211], v0 offset0:35 offset1:36
	v_pk_fma_f32 v[224:225], v[214:215], v[120:121], v[224:225] op_sel_hi:[1,1,0] neg_lo:[0,0,1] neg_hi:[0,0,1]
	v_pk_fma_f32 v[212:213], v[212:213], v[120:121], v[226:227] op_sel_hi:[1,1,0]
	v_pk_mul_f32 v[214:215], v[218:219], v[206:207] op_sel:[0,1]
	v_pk_fma_f32 v[226:227], v[216:217], v[204:205], v[228:229] op_sel:[0,0,1] op_sel_hi:[1,0,0]
	s_wait_dscnt 0x1
	v_pk_mul_f32 v[230:231], v[220:221], v[206:207] op_sel:[0,1]
	v_pk_fma_f32 v[216:217], v[216:217], v[204:205], v[228:229] op_sel:[0,0,1] op_sel_hi:[1,1,0] neg_lo:[0,0,1] neg_hi:[0,0,1]
	v_mov_b32_e32 v225, v213
	v_pk_fma_f32 v[228:229], v[218:219], v[204:205], v[214:215] op_sel:[0,0,1] op_sel_hi:[1,0,0]
	v_pk_fma_f32 v[218:219], v[218:219], v[204:205], v[214:215] op_sel:[0,0,1] op_sel_hi:[1,1,0] neg_lo:[0,0,1] neg_hi:[0,0,1]
	ds_load_2addr_b64 v[212:215], v0 offset0:37 offset1:38
	v_mov_b32_e32 v217, v227
	v_pk_fma_f32 v[226:227], v[220:221], v[204:205], v[230:231] op_sel:[0,0,1] op_sel_hi:[1,0,0]
	v_mov_b32_e32 v219, v229
	v_pk_fma_f32 v[220:221], v[220:221], v[204:205], v[230:231] op_sel:[0,0,1] op_sel_hi:[1,1,0] neg_lo:[0,0,1] neg_hi:[0,0,1]
	ds_load_b64 v[230:231], v0 offset:328
	v_pk_add_f32 v[122:123], v[122:123], v[216:217] neg_lo:[0,1] neg_hi:[0,1]
	v_mov_b32_e32 v221, v227
	v_pk_mul_f32 v[226:227], v[222:223], v[206:207] op_sel:[0,1]
	v_pk_add_f32 v[148:149], v[148:149], v[218:219] neg_lo:[0,1] neg_hi:[0,1]
	ds_load_2addr_b64 v[216:219], v0 offset0:39 offset1:40
	v_pk_add_f32 v[126:127], v[126:127], v[224:225] neg_lo:[0,1] neg_hi:[0,1]
	v_pk_add_f32 v[144:145], v[144:145], v[220:221] neg_lo:[0,1] neg_hi:[0,1]
	v_pk_fma_f32 v[220:221], v[222:223], v[204:205], v[226:227] op_sel:[0,0,1] op_sel_hi:[1,1,0] neg_lo:[0,0,1] neg_hi:[0,0,1]
	v_pk_fma_f32 v[222:223], v[222:223], v[204:205], v[226:227] op_sel:[0,0,1] op_sel_hi:[1,0,0]
	s_wait_dscnt 0x3
	v_mul_f32_e32 v222, v209, v204
	v_pk_mul_f32 v[224:225], v[210:211], v[206:207] op_sel:[0,1]
	s_delay_alu instid0(VALU_DEP_3) | instskip(NEXT) | instid1(VALU_DEP_3)
	v_dual_mul_f32 v226, v209, v207 :: v_dual_mov_b32 v221, v223
	v_pk_fma_f32 v[222:223], v[208:209], v[120:121], v[222:223] op_sel:[1,0,0] op_sel_hi:[0,1,0]
	s_delay_alu instid0(VALU_DEP_3) | instskip(NEXT) | instid1(VALU_DEP_3)
	v_pk_fma_f32 v[228:229], v[210:211], v[204:205], v[224:225] op_sel:[0,0,1] op_sel_hi:[1,0,0]
	v_pk_fma_f32 v[208:209], v[208:209], v[120:121], v[226:227] op_sel_hi:[1,1,0] neg_lo:[0,0,1] neg_hi:[0,0,1]
	s_wait_dscnt 0x2
	v_pk_mul_f32 v[226:227], v[212:213], v[206:207] op_sel:[0,1]
	v_pk_fma_f32 v[210:211], v[210:211], v[204:205], v[224:225] op_sel:[0,0,1] op_sel_hi:[1,1,0] neg_lo:[0,0,1] neg_hi:[0,0,1]
	v_dual_mov_b32 v209, v223 :: v_dual_mov_b32 v211, v229
	v_pk_mul_f32 v[222:223], v[214:215], v[206:207] op_sel:[0,1]
	v_pk_add_f32 v[146:147], v[146:147], v[220:221] neg_lo:[0,1] neg_hi:[0,1]
	v_pk_fma_f32 v[220:221], v[212:213], v[204:205], v[226:227] op_sel:[0,0,1] op_sel_hi:[1,0,0]
	s_delay_alu instid0(VALU_DEP_4)
	v_pk_add_f32 v[142:143], v[142:143], v[208:209] neg_lo:[0,1] neg_hi:[0,1]
	v_pk_fma_f32 v[208:209], v[212:213], v[204:205], v[226:227] op_sel:[0,0,1] op_sel_hi:[1,1,0] neg_lo:[0,0,1] neg_hi:[0,0,1]
	v_pk_fma_f32 v[212:213], v[214:215], v[204:205], v[222:223] op_sel:[0,0,1] op_sel_hi:[1,0,0]
	v_pk_add_f32 v[164:165], v[164:165], v[210:211] neg_lo:[0,1] neg_hi:[0,1]
	s_wait_dscnt 0x0
	v_dual_mov_b32 v209, v221 :: v_dual_mov_b32 v220, v219
	v_pk_fma_f32 v[210:211], v[214:215], v[204:205], v[222:223] op_sel:[0,0,1] op_sel_hi:[1,1,0] neg_lo:[0,0,1] neg_hi:[0,0,1]
	v_pk_mul_f32 v[214:215], v[216:217], v[206:207] op_sel:[0,1]
	v_dual_mov_b32 v221, v218 :: v_dual_mul_f32 v212, v219, v204
	v_pk_mul_f32 v[222:223], v[230:231], v[206:207] op_sel:[0,1]
	v_dual_mov_b32 v211, v213 :: v_dual_mul_f32 v206, v219, v207
	s_delay_alu instid0(VALU_DEP_4) | instskip(NEXT) | instid1(VALU_DEP_4)
	v_pk_fma_f32 v[224:225], v[216:217], v[204:205], v[214:215] op_sel:[0,0,1] op_sel_hi:[1,0,0]
	v_pk_fma_f32 v[212:213], v[220:221], v[120:121], v[212:213] op_sel_hi:[1,1,0]
	v_pk_fma_f32 v[214:215], v[216:217], v[204:205], v[214:215] op_sel:[0,0,1] op_sel_hi:[1,1,0] neg_lo:[0,0,1] neg_hi:[0,0,1]
	v_pk_fma_f32 v[216:217], v[230:231], v[204:205], v[222:223] op_sel:[0,0,1] op_sel_hi:[1,0,0]
	v_pk_fma_f32 v[206:207], v[218:219], v[120:121], v[206:207] op_sel_hi:[1,1,0] neg_lo:[0,0,1] neg_hi:[0,0,1]
	v_pk_fma_f32 v[204:205], v[230:231], v[204:205], v[222:223] op_sel:[0,0,1] op_sel_hi:[1,1,0] neg_lo:[0,0,1] neg_hi:[0,0,1]
	v_dual_mov_b32 v215, v225 :: v_dual_mov_b32 v207, v213
	s_delay_alu instid0(VALU_DEP_4) | instskip(SKIP_2) | instid1(VALU_DEP_4)
	v_mov_b32_e32 v205, v217
	v_pk_add_f32 v[160:161], v[160:161], v[208:209] neg_lo:[0,1] neg_hi:[0,1]
	v_pk_add_f32 v[162:163], v[162:163], v[210:211] neg_lo:[0,1] neg_hi:[0,1]
	;; [unrolled: 1-line block ×5, first 2 shown]
.LBB83_154:
	s_or_b32 exec_lo, exec_lo, s1
	s_delay_alu instid0(SALU_CYCLE_1)
	s_mov_b32 s2, exec_lo
	s_wait_dscnt 0x0
	s_barrier_signal -1
	s_barrier_wait -1
	v_cmpx_eq_u32_e32 17, v254
	s_cbranch_execz .LBB83_161
; %bb.155:
	v_dual_mov_b32 v204, v90 :: v_dual_mov_b32 v205, v91
	v_dual_mov_b32 v206, v116 :: v_dual_mov_b32 v207, v117
	;; [unrolled: 1-line block ×10, first 2 shown]
	ds_store_b64 v255, v[118:119]
	v_dual_mov_b32 v224, v128 :: v_dual_mov_b32 v225, v129
	v_dual_mov_b32 v226, v124 :: v_dual_mov_b32 v227, v125
	ds_store_2addr_b64 v0, v[204:205], v[206:207] offset0:18 offset1:19
	ds_store_2addr_b64 v0, v[208:209], v[210:211] offset0:20 offset1:21
	;; [unrolled: 1-line block ×6, first 2 shown]
	v_dual_mov_b32 v204, v126 :: v_dual_mov_b32 v205, v127
	v_dual_mov_b32 v206, v122 :: v_dual_mov_b32 v207, v123
	;; [unrolled: 1-line block ×11, first 2 shown]
	ds_store_2addr_b64 v0, v[204:205], v[206:207] offset0:30 offset1:31
	ds_store_2addr_b64 v0, v[208:209], v[210:211] offset0:32 offset1:33
	;; [unrolled: 1-line block ×6, first 2 shown]
	ds_load_b64 v[204:205], v255
	s_wait_dscnt 0x0
	v_cmp_neq_f32_e32 vcc_lo, 0, v204
	v_cmp_neq_f32_e64 s1, 0, v205
	s_or_b32 s1, vcc_lo, s1
	s_delay_alu instid0(SALU_CYCLE_1)
	s_and_b32 exec_lo, exec_lo, s1
	s_cbranch_execz .LBB83_161
; %bb.156:
	v_cmp_ngt_f32_e64 s1, |v204|, |v205|
                                        ; implicit-def: $vgpr206_vgpr207
	s_and_saveexec_b32 s4, s1
	s_delay_alu instid0(SALU_CYCLE_1)
	s_xor_b32 s1, exec_lo, s4
	s_cbranch_execz .LBB83_158
; %bb.157:
	v_div_scale_f32 v1, null, v205, v205, v204
	v_div_scale_f32 v6, vcc_lo, v204, v205, v204
	s_delay_alu instid0(VALU_DEP_2) | instskip(SKIP_1) | instid1(TRANS32_DEP_1)
	v_rcp_f32_e32 v4, v1
	v_nop
	v_fma_f32 v5, -v1, v4, 1.0
	s_delay_alu instid0(VALU_DEP_1) | instskip(NEXT) | instid1(VALU_DEP_1)
	v_fmac_f32_e32 v4, v5, v4
	v_mul_f32_e32 v5, v6, v4
	s_delay_alu instid0(VALU_DEP_1) | instskip(NEXT) | instid1(VALU_DEP_1)
	v_fma_f32 v7, -v1, v5, v6
	v_fmac_f32_e32 v5, v7, v4
	s_delay_alu instid0(VALU_DEP_1) | instskip(NEXT) | instid1(VALU_DEP_1)
	v_fma_f32 v1, -v1, v5, v6
	v_div_fmas_f32 v1, v1, v4, v5
	s_delay_alu instid0(VALU_DEP_1) | instskip(NEXT) | instid1(VALU_DEP_1)
	v_div_fixup_f32 v1, v1, v205, v204
	v_fmac_f32_e32 v205, v204, v1
	s_delay_alu instid0(VALU_DEP_1) | instskip(SKIP_1) | instid1(VALU_DEP_2)
	v_div_scale_f32 v4, null, v205, v205, 1.0
	v_div_scale_f32 v7, vcc_lo, 1.0, v205, 1.0
	v_rcp_f32_e32 v5, v4
	v_nop
	s_delay_alu instid0(TRANS32_DEP_1) | instskip(NEXT) | instid1(VALU_DEP_1)
	v_fma_f32 v6, -v4, v5, 1.0
	v_fmac_f32_e32 v5, v6, v5
	s_delay_alu instid0(VALU_DEP_1) | instskip(NEXT) | instid1(VALU_DEP_1)
	v_mul_f32_e32 v6, v7, v5
	v_fma_f32 v8, -v4, v6, v7
	s_delay_alu instid0(VALU_DEP_1) | instskip(NEXT) | instid1(VALU_DEP_1)
	v_fmac_f32_e32 v6, v8, v5
	v_fma_f32 v4, -v4, v6, v7
	s_delay_alu instid0(VALU_DEP_1) | instskip(NEXT) | instid1(VALU_DEP_1)
	v_div_fmas_f32 v4, v4, v5, v6
	v_div_fixup_f32 v4, v4, v205, 1.0
                                        ; implicit-def: $vgpr204_vgpr205
	s_delay_alu instid0(VALU_DEP_1)
	v_mul_f32_e32 v206, v1, v4
	v_xor_b32_e32 v207, 0x80000000, v4
.LBB83_158:
	s_and_not1_saveexec_b32 s1, s1
	s_cbranch_execz .LBB83_160
; %bb.159:
	v_div_scale_f32 v1, null, v204, v204, v205
	v_div_scale_f32 v6, vcc_lo, v205, v204, v205
	s_delay_alu instid0(VALU_DEP_2) | instskip(SKIP_1) | instid1(TRANS32_DEP_1)
	v_rcp_f32_e32 v4, v1
	v_nop
	v_fma_f32 v5, -v1, v4, 1.0
	s_delay_alu instid0(VALU_DEP_1) | instskip(NEXT) | instid1(VALU_DEP_1)
	v_fmac_f32_e32 v4, v5, v4
	v_mul_f32_e32 v5, v6, v4
	s_delay_alu instid0(VALU_DEP_1) | instskip(NEXT) | instid1(VALU_DEP_1)
	v_fma_f32 v7, -v1, v5, v6
	v_fmac_f32_e32 v5, v7, v4
	s_delay_alu instid0(VALU_DEP_1) | instskip(NEXT) | instid1(VALU_DEP_1)
	v_fma_f32 v1, -v1, v5, v6
	v_div_fmas_f32 v1, v1, v4, v5
	s_delay_alu instid0(VALU_DEP_1) | instskip(NEXT) | instid1(VALU_DEP_1)
	v_div_fixup_f32 v1, v1, v204, v205
	v_fmac_f32_e32 v204, v205, v1
	s_delay_alu instid0(VALU_DEP_1) | instskip(NEXT) | instid1(VALU_DEP_1)
	v_div_scale_f32 v4, null, v204, v204, 1.0
	v_rcp_f32_e32 v5, v4
	v_nop
	s_delay_alu instid0(TRANS32_DEP_1) | instskip(NEXT) | instid1(VALU_DEP_1)
	v_fma_f32 v6, -v4, v5, 1.0
	v_fmac_f32_e32 v5, v6, v5
	v_div_scale_f32 v6, vcc_lo, 1.0, v204, 1.0
	s_delay_alu instid0(VALU_DEP_1) | instskip(NEXT) | instid1(VALU_DEP_1)
	v_mul_f32_e32 v7, v6, v5
	v_fma_f32 v8, -v4, v7, v6
	s_delay_alu instid0(VALU_DEP_1) | instskip(NEXT) | instid1(VALU_DEP_1)
	v_fmac_f32_e32 v7, v8, v5
	v_fma_f32 v4, -v4, v7, v6
	s_delay_alu instid0(VALU_DEP_1) | instskip(NEXT) | instid1(VALU_DEP_1)
	v_div_fmas_f32 v4, v4, v5, v7
	v_div_fixup_f32 v206, v4, v204, 1.0
	s_delay_alu instid0(VALU_DEP_1)
	v_mul_f32_e64 v207, v1, -v206
.LBB83_160:
	s_or_b32 exec_lo, exec_lo, s1
	ds_store_b64 v255, v[206:207]
.LBB83_161:
	s_or_b32 exec_lo, exec_lo, s2
	s_wait_dscnt 0x0
	s_barrier_signal -1
	s_barrier_wait -1
	ds_load_b64 v[204:205], v255
	s_mov_b32 s1, exec_lo
	v_cmpx_lt_u32_e32 17, v254
	s_cbranch_execz .LBB83_163
; %bb.162:
	ds_load_2addr_b64 v[210:213], v0 offset0:18 offset1:19
	ds_load_2addr_b64 v[214:217], v0 offset0:20 offset1:21
	;; [unrolled: 1-line block ×3, first 2 shown]
	s_wait_dscnt 0x3
	v_pk_mul_f32 v[208:209], v[204:205], v[118:119] op_sel:[1,1] op_sel_hi:[0,1]
	ds_load_2addr_b64 v[222:225], v0 offset0:24 offset1:25
	ds_load_2addr_b64 v[226:229], v0 offset0:26 offset1:27
	v_pk_fma_f32 v[206:207], v[204:205], v[118:119], v[208:209] op_sel_hi:[1,0,1] neg_lo:[0,0,1] neg_hi:[0,0,1]
	v_pk_fma_f32 v[208:209], v[204:205], v[118:119], v[208:209] op_sel_hi:[1,0,1]
	s_delay_alu instid0(VALU_DEP_1) | instskip(SKIP_1) | instid1(VALU_DEP_2)
	v_dual_mov_b32 v118, v206 :: v_dual_mov_b32 v119, v209
	s_wait_dscnt 0x4
	v_pk_mul_f32 v[230:231], v[210:211], v[208:209] op_sel:[0,1]
	v_pk_mul_f32 v[232:233], v[212:213], v[208:209] op_sel:[0,1]
	s_wait_dscnt 0x3
	v_pk_mul_f32 v[234:235], v[214:215], v[208:209] op_sel:[0,1]
	v_dual_mov_b32 v236, v217 :: v_dual_mov_b32 v237, v216
	v_dual_mul_f32 v238, v217, v209 :: v_dual_mul_f32 v240, v217, v206
	s_wait_dscnt 0x2
	v_pk_mul_f32 v[242:243], v[218:219], v[208:209] op_sel:[0,1]
	v_pk_mul_f32 v[244:245], v[220:221], v[208:209] op_sel:[0,1]
	v_pk_fma_f32 v[246:247], v[210:211], v[206:207], v[230:231] op_sel:[0,0,1] op_sel_hi:[1,1,0] neg_lo:[0,0,1] neg_hi:[0,0,1]
	v_pk_fma_f32 v[210:211], v[210:211], v[206:207], v[230:231] op_sel:[0,0,1] op_sel_hi:[1,0,0]
	v_pk_fma_f32 v[230:231], v[212:213], v[206:207], v[232:233] op_sel:[0,0,1] op_sel_hi:[1,1,0] neg_lo:[0,0,1] neg_hi:[0,0,1]
	v_pk_fma_f32 v[212:213], v[212:213], v[206:207], v[232:233] op_sel:[0,0,1] op_sel_hi:[1,0,0]
	;; [unrolled: 2-line block ×3, first 2 shown]
	v_pk_fma_f32 v[234:235], v[236:237], v[118:119], v[240:241] op_sel_hi:[1,1,0]
	v_pk_fma_f32 v[216:217], v[216:217], v[118:119], v[238:239] op_sel_hi:[1,1,0] neg_lo:[0,0,1] neg_hi:[0,0,1]
	v_pk_fma_f32 v[236:237], v[218:219], v[206:207], v[242:243] op_sel:[0,0,1] op_sel_hi:[1,1,0] neg_lo:[0,0,1] neg_hi:[0,0,1]
	v_dual_mov_b32 v247, v211 :: v_dual_mov_b32 v231, v213
	s_delay_alu instid0(VALU_DEP_4)
	v_dual_mov_b32 v233, v215 :: v_dual_mov_b32 v217, v235
	v_pk_fma_f32 v[210:211], v[218:219], v[206:207], v[242:243] op_sel:[0,0,1] op_sel_hi:[1,0,0]
	v_pk_fma_f32 v[214:215], v[220:221], v[206:207], v[244:245] op_sel:[0,0,1] op_sel_hi:[1,0,0]
	v_pk_fma_f32 v[218:219], v[220:221], v[206:207], v[244:245] op_sel:[0,0,1] op_sel_hi:[1,1,0] neg_lo:[0,0,1] neg_hi:[0,0,1]
	s_wait_dscnt 0x1
	v_pk_mul_f32 v[220:221], v[222:223], v[208:209] op_sel:[0,1]
	v_pk_add_f32 v[78:79], v[78:79], v[216:217] neg_lo:[0,1] neg_hi:[0,1]
	v_dual_mov_b32 v237, v211 :: v_dual_mov_b32 v219, v215
	ds_load_2addr_b64 v[210:213], v0 offset0:28 offset1:29
	v_pk_fma_f32 v[216:217], v[222:223], v[206:207], v[220:221] op_sel:[0,0,1] op_sel_hi:[1,0,0]
	v_pk_mul_f32 v[214:215], v[224:225], v[208:209] op_sel:[0,1]
	v_pk_fma_f32 v[220:221], v[222:223], v[206:207], v[220:221] op_sel:[0,0,1] op_sel_hi:[1,1,0] neg_lo:[0,0,1] neg_hi:[0,0,1]
	v_pk_add_f32 v[76:77], v[76:77], v[218:219] neg_lo:[0,1] neg_hi:[0,1]
	v_pk_add_f32 v[116:117], v[116:117], v[230:231] neg_lo:[0,1] neg_hi:[0,1]
	v_mov_b32_e32 v221, v217
	v_pk_fma_f32 v[218:219], v[224:225], v[206:207], v[214:215] op_sel:[0,0,1] op_sel_hi:[1,0,0]
	s_wait_dscnt 0x1
	v_mul_f32_e32 v218, v227, v206
	v_pk_fma_f32 v[222:223], v[224:225], v[206:207], v[214:215] op_sel:[0,0,1] op_sel_hi:[1,1,0] neg_lo:[0,0,1] neg_hi:[0,0,1]
	ds_load_2addr_b64 v[214:217], v0 offset0:30 offset1:31
	v_pk_add_f32 v[106:107], v[106:107], v[220:221] neg_lo:[0,1] neg_hi:[0,1]
	v_pk_mul_f32 v[220:221], v[228:229], v[208:209] op_sel:[0,1]
	v_mul_f32_e32 v224, v227, v209
	v_pk_add_f32 v[138:139], v[138:139], v[232:233] neg_lo:[0,1] neg_hi:[0,1]
	v_pk_add_f32 v[90:91], v[90:91], v[246:247] neg_lo:[0,1] neg_hi:[0,1]
	;; [unrolled: 1-line block ×3, first 2 shown]
	v_pk_fma_f32 v[230:231], v[228:229], v[206:207], v[220:221] op_sel:[0,0,1] op_sel_hi:[1,0,0]
	v_mov_b32_e32 v223, v219
	v_pk_fma_f32 v[228:229], v[228:229], v[206:207], v[220:221] op_sel:[0,0,1] op_sel_hi:[1,1,0] neg_lo:[0,0,1] neg_hi:[0,0,1]
	v_pk_fma_f32 v[218:219], v[226:227], v[118:119], v[218:219] op_sel:[1,0,0] op_sel_hi:[0,1,0]
	s_delay_alu instid0(VALU_DEP_4) | instskip(NEXT) | instid1(VALU_DEP_4)
	v_mov_b32_e32 v229, v231
	v_pk_add_f32 v[102:103], v[102:103], v[222:223] neg_lo:[0,1] neg_hi:[0,1]
	v_pk_fma_f32 v[222:223], v[226:227], v[118:119], v[224:225] op_sel_hi:[1,1,0] neg_lo:[0,0,1] neg_hi:[0,0,1]
	s_wait_dscnt 0x1
	v_pk_mul_f32 v[226:227], v[212:213], v[208:209] op_sel:[0,1]
	v_pk_mul_f32 v[224:225], v[210:211], v[208:209] op_sel:[0,1]
	v_pk_add_f32 v[100:101], v[100:101], v[228:229] neg_lo:[0,1] neg_hi:[0,1]
	s_delay_alu instid0(VALU_DEP_3)
	v_pk_fma_f32 v[234:235], v[212:213], v[206:207], v[226:227] op_sel:[0,0,1] op_sel_hi:[1,0,0]
	v_mov_b32_e32 v223, v219
	ds_load_2addr_b64 v[218:221], v0 offset0:32 offset1:33
	v_pk_fma_f32 v[232:233], v[210:211], v[206:207], v[224:225] op_sel:[0,0,1] op_sel_hi:[1,0,0]
	v_pk_fma_f32 v[210:211], v[210:211], v[206:207], v[224:225] op_sel:[0,0,1] op_sel_hi:[1,1,0] neg_lo:[0,0,1] neg_hi:[0,0,1]
	s_wait_dscnt 0x1
	v_pk_mul_f32 v[224:225], v[214:215], v[208:209] op_sel:[0,1]
	v_pk_fma_f32 v[212:213], v[212:213], v[206:207], v[226:227] op_sel:[0,0,1] op_sel_hi:[1,1,0] neg_lo:[0,0,1] neg_hi:[0,0,1]
	v_dual_mov_b32 v213, v235 :: v_dual_mov_b32 v211, v233
	v_pk_add_f32 v[104:105], v[104:105], v[222:223] neg_lo:[0,1] neg_hi:[0,1]
	s_delay_alu instid0(VALU_DEP_4) | instskip(SKIP_1) | instid1(VALU_DEP_4)
	v_pk_fma_f32 v[222:223], v[214:215], v[206:207], v[224:225] op_sel:[0,0,1] op_sel_hi:[1,0,0]
	v_dual_mov_b32 v226, v217 :: v_dual_mov_b32 v227, v216
	v_pk_add_f32 v[128:129], v[128:129], v[210:211] neg_lo:[0,1] neg_hi:[0,1]
	v_pk_add_f32 v[124:125], v[124:125], v[212:213] neg_lo:[0,1] neg_hi:[0,1]
	ds_load_2addr_b64 v[210:213], v0 offset0:34 offset1:35
	v_mul_f32_e32 v222, v217, v206
	v_pk_fma_f32 v[214:215], v[214:215], v[206:207], v[224:225] op_sel:[0,0,1] op_sel_hi:[1,1,0] neg_lo:[0,0,1] neg_hi:[0,0,1]
	v_mov_b32_e32 v215, v223
	s_delay_alu instid0(VALU_DEP_3)
	v_pk_fma_f32 v[226:227], v[226:227], v[118:119], v[222:223] op_sel_hi:[1,1,0]
	s_wait_dscnt 0x1
	v_pk_mul_f32 v[230:231], v[218:219], v[208:209] op_sel:[0,1]
	v_mul_f32_e32 v228, v217, v209
	ds_load_2addr_b64 v[222:225], v0 offset0:36 offset1:37
	v_pk_mul_f32 v[232:233], v[220:221], v[208:209] op_sel:[0,1]
	v_pk_add_f32 v[126:127], v[126:127], v[214:215] neg_lo:[0,1] neg_hi:[0,1]
	v_pk_fma_f32 v[214:215], v[218:219], v[206:207], v[230:231] op_sel:[0,0,1] op_sel_hi:[1,0,0]
	v_pk_fma_f32 v[228:229], v[216:217], v[118:119], v[228:229] op_sel_hi:[1,1,0] neg_lo:[0,0,1] neg_hi:[0,0,1]
	v_pk_fma_f32 v[218:219], v[218:219], v[206:207], v[230:231] op_sel:[0,0,1] op_sel_hi:[1,1,0] neg_lo:[0,0,1] neg_hi:[0,0,1]
	v_mov_b32_e32 v229, v227
	v_pk_fma_f32 v[226:227], v[220:221], v[206:207], v[232:233] op_sel:[0,0,1] op_sel_hi:[1,0,0]
	v_mov_b32_e32 v219, v215
	ds_load_2addr_b64 v[214:217], v0 offset0:38 offset1:39
	v_pk_fma_f32 v[220:221], v[220:221], v[206:207], v[232:233] op_sel:[0,0,1] op_sel_hi:[1,1,0] neg_lo:[0,0,1] neg_hi:[0,0,1]
	v_pk_add_f32 v[122:123], v[122:123], v[228:229] neg_lo:[0,1] neg_hi:[0,1]
	v_mov_b32_e32 v221, v227
	s_wait_dscnt 0x2
	v_pk_mul_f32 v[226:227], v[210:211], v[208:209] op_sel:[0,1]
	v_pk_mul_f32 v[228:229], v[212:213], v[208:209] op_sel:[0,1]
	v_pk_add_f32 v[148:149], v[148:149], v[218:219] neg_lo:[0,1] neg_hi:[0,1]
	v_pk_add_f32 v[144:145], v[144:145], v[220:221] neg_lo:[0,1] neg_hi:[0,1]
	ds_load_2addr_b64 v[218:221], v0 offset0:40 offset1:41
	v_pk_fma_f32 v[230:231], v[210:211], v[206:207], v[226:227] op_sel:[0,0,1] op_sel_hi:[1,0,0]
	v_pk_fma_f32 v[210:211], v[210:211], v[206:207], v[226:227] op_sel:[0,0,1] op_sel_hi:[1,1,0] neg_lo:[0,0,1] neg_hi:[0,0,1]
	v_pk_fma_f32 v[226:227], v[212:213], v[206:207], v[228:229] op_sel:[0,0,1] op_sel_hi:[1,0,0]
	s_wait_dscnt 0x2
	v_dual_mul_f32 v226, v223, v206 :: v_dual_mul_f32 v230, v223, v209
	v_pk_fma_f32 v[212:213], v[212:213], v[206:207], v[228:229] op_sel:[0,0,1] op_sel_hi:[1,1,0] neg_lo:[0,0,1] neg_hi:[0,0,1]
	s_delay_alu instid0(VALU_DEP_3) | instskip(NEXT) | instid1(VALU_DEP_3)
	v_dual_mov_b32 v211, v231 :: v_dual_mov_b32 v213, v227
	v_pk_fma_f32 v[228:229], v[222:223], v[118:119], v[226:227] op_sel:[1,0,0] op_sel_hi:[0,1,0]
	s_delay_alu instid0(VALU_DEP_4)
	v_pk_fma_f32 v[222:223], v[222:223], v[118:119], v[230:231] op_sel_hi:[1,1,0] neg_lo:[0,0,1] neg_hi:[0,0,1]
	s_wait_dscnt 0x1
	v_pk_mul_f32 v[230:231], v[214:215], v[208:209] op_sel:[0,1]
	v_pk_mul_f32 v[226:227], v[224:225], v[208:209] op_sel:[0,1]
	v_pk_add_f32 v[142:143], v[142:143], v[212:213] neg_lo:[0,1] neg_hi:[0,1]
	v_pk_add_f32 v[146:147], v[146:147], v[210:211] neg_lo:[0,1] neg_hi:[0,1]
	s_delay_alu instid0(VALU_DEP_4) | instskip(SKIP_2) | instid1(VALU_DEP_2)
	v_pk_fma_f32 v[212:213], v[214:215], v[206:207], v[230:231] op_sel:[0,0,1] op_sel_hi:[1,0,0]
	v_mov_b32_e32 v223, v229
	v_pk_fma_f32 v[210:211], v[224:225], v[206:207], v[226:227] op_sel:[0,0,1] op_sel_hi:[1,0,0]
	v_pk_add_f32 v[164:165], v[164:165], v[222:223] neg_lo:[0,1] neg_hi:[0,1]
	v_pk_fma_f32 v[222:223], v[224:225], v[206:207], v[226:227] op_sel:[0,0,1] op_sel_hi:[1,1,0] neg_lo:[0,0,1] neg_hi:[0,0,1]
	s_wait_dscnt 0x0
	s_delay_alu instid0(VALU_DEP_3)
	v_dual_mov_b32 v223, v211 :: v_dual_mov_b32 v224, v221
	v_pk_fma_f32 v[210:211], v[214:215], v[206:207], v[230:231] op_sel:[0,0,1] op_sel_hi:[1,1,0] neg_lo:[0,0,1] neg_hi:[0,0,1]
	v_mov_b32_e32 v211, v213
	v_pk_mul_f32 v[212:213], v[216:217], v[208:209] op_sel:[0,1]
	v_pk_mul_f32 v[214:215], v[218:219], v[208:209] op_sel:[0,1]
	v_dual_mov_b32 v225, v220 :: v_dual_mul_f32 v208, v221, v206
	v_pk_add_f32 v[160:161], v[160:161], v[222:223] neg_lo:[0,1] neg_hi:[0,1]
	s_delay_alu instid0(VALU_DEP_4)
	v_pk_fma_f32 v[226:227], v[216:217], v[206:207], v[212:213] op_sel:[0,0,1] op_sel_hi:[1,0,0]
	v_pk_fma_f32 v[212:213], v[216:217], v[206:207], v[212:213] op_sel:[0,0,1] op_sel_hi:[1,1,0] neg_lo:[0,0,1] neg_hi:[0,0,1]
	v_pk_fma_f32 v[216:217], v[218:219], v[206:207], v[214:215] op_sel:[0,0,1] op_sel_hi:[1,0,0]
	v_mul_f32_e32 v216, v221, v209
	v_pk_fma_f32 v[208:209], v[224:225], v[118:119], v[208:209] op_sel_hi:[1,1,0]
	v_mov_b32_e32 v213, v227
	v_pk_fma_f32 v[206:207], v[218:219], v[206:207], v[214:215] op_sel:[0,0,1] op_sel_hi:[1,1,0] neg_lo:[0,0,1] neg_hi:[0,0,1]
	v_mov_b32_e32 v207, v217
	v_pk_fma_f32 v[214:215], v[220:221], v[118:119], v[216:217] op_sel_hi:[1,1,0] neg_lo:[0,0,1] neg_hi:[0,0,1]
	v_mov_b32_e32 v215, v209
	v_pk_add_f32 v[162:163], v[162:163], v[210:211] neg_lo:[0,1] neg_hi:[0,1]
	v_pk_add_f32 v[158:159], v[158:159], v[212:213] neg_lo:[0,1] neg_hi:[0,1]
	v_pk_add_f32 v[166:167], v[166:167], v[206:207] neg_lo:[0,1] neg_hi:[0,1]
	s_delay_alu instid0(VALU_DEP_4)
	v_pk_add_f32 v[168:169], v[168:169], v[214:215] neg_lo:[0,1] neg_hi:[0,1]
.LBB83_163:
	s_or_b32 exec_lo, exec_lo, s1
	s_delay_alu instid0(SALU_CYCLE_1)
	s_mov_b32 s2, exec_lo
	s_wait_dscnt 0x0
	s_barrier_signal -1
	s_barrier_wait -1
	v_cmpx_eq_u32_e32 18, v254
	s_cbranch_execz .LBB83_170
; %bb.164:
	ds_store_b64 v255, v[90:91]
	ds_store_2addr_b64 v0, v[116:117], v[138:139] offset0:19 offset1:20
	ds_store_2addr_b64 v0, v[78:79], v[80:81] offset0:21 offset1:22
	;; [unrolled: 1-line block ×11, first 2 shown]
	ds_store_b64 v0, v[168:169] offset:328
	ds_load_b64 v[206:207], v255
	s_wait_dscnt 0x0
	v_cmp_neq_f32_e32 vcc_lo, 0, v206
	v_cmp_neq_f32_e64 s1, 0, v207
	s_or_b32 s1, vcc_lo, s1
	s_delay_alu instid0(SALU_CYCLE_1)
	s_and_b32 exec_lo, exec_lo, s1
	s_cbranch_execz .LBB83_170
; %bb.165:
	v_cmp_ngt_f32_e64 s1, |v206|, |v207|
                                        ; implicit-def: $vgpr208_vgpr209
	s_and_saveexec_b32 s4, s1
	s_delay_alu instid0(SALU_CYCLE_1)
	s_xor_b32 s1, exec_lo, s4
	s_cbranch_execz .LBB83_167
; %bb.166:
	v_div_scale_f32 v1, null, v207, v207, v206
	v_div_scale_f32 v6, vcc_lo, v206, v207, v206
	s_delay_alu instid0(VALU_DEP_2) | instskip(SKIP_1) | instid1(TRANS32_DEP_1)
	v_rcp_f32_e32 v4, v1
	v_nop
	v_fma_f32 v5, -v1, v4, 1.0
	s_delay_alu instid0(VALU_DEP_1) | instskip(NEXT) | instid1(VALU_DEP_1)
	v_fmac_f32_e32 v4, v5, v4
	v_mul_f32_e32 v5, v6, v4
	s_delay_alu instid0(VALU_DEP_1) | instskip(NEXT) | instid1(VALU_DEP_1)
	v_fma_f32 v7, -v1, v5, v6
	v_fmac_f32_e32 v5, v7, v4
	s_delay_alu instid0(VALU_DEP_1) | instskip(NEXT) | instid1(VALU_DEP_1)
	v_fma_f32 v1, -v1, v5, v6
	v_div_fmas_f32 v1, v1, v4, v5
	s_delay_alu instid0(VALU_DEP_1) | instskip(NEXT) | instid1(VALU_DEP_1)
	v_div_fixup_f32 v1, v1, v207, v206
	v_fmac_f32_e32 v207, v206, v1
	s_delay_alu instid0(VALU_DEP_1) | instskip(SKIP_1) | instid1(VALU_DEP_2)
	v_div_scale_f32 v4, null, v207, v207, 1.0
	v_div_scale_f32 v7, vcc_lo, 1.0, v207, 1.0
	v_rcp_f32_e32 v5, v4
	v_nop
	s_delay_alu instid0(TRANS32_DEP_1) | instskip(NEXT) | instid1(VALU_DEP_1)
	v_fma_f32 v6, -v4, v5, 1.0
	v_fmac_f32_e32 v5, v6, v5
	s_delay_alu instid0(VALU_DEP_1) | instskip(NEXT) | instid1(VALU_DEP_1)
	v_mul_f32_e32 v6, v7, v5
	v_fma_f32 v8, -v4, v6, v7
	s_delay_alu instid0(VALU_DEP_1) | instskip(NEXT) | instid1(VALU_DEP_1)
	v_fmac_f32_e32 v6, v8, v5
	v_fma_f32 v4, -v4, v6, v7
	s_delay_alu instid0(VALU_DEP_1) | instskip(NEXT) | instid1(VALU_DEP_1)
	v_div_fmas_f32 v4, v4, v5, v6
	v_div_fixup_f32 v4, v4, v207, 1.0
                                        ; implicit-def: $vgpr206_vgpr207
	s_delay_alu instid0(VALU_DEP_1)
	v_mul_f32_e32 v208, v1, v4
	v_xor_b32_e32 v209, 0x80000000, v4
.LBB83_167:
	s_and_not1_saveexec_b32 s1, s1
	s_cbranch_execz .LBB83_169
; %bb.168:
	v_div_scale_f32 v1, null, v206, v206, v207
	v_div_scale_f32 v6, vcc_lo, v207, v206, v207
	s_delay_alu instid0(VALU_DEP_2) | instskip(SKIP_1) | instid1(TRANS32_DEP_1)
	v_rcp_f32_e32 v4, v1
	v_nop
	v_fma_f32 v5, -v1, v4, 1.0
	s_delay_alu instid0(VALU_DEP_1) | instskip(NEXT) | instid1(VALU_DEP_1)
	v_fmac_f32_e32 v4, v5, v4
	v_mul_f32_e32 v5, v6, v4
	s_delay_alu instid0(VALU_DEP_1) | instskip(NEXT) | instid1(VALU_DEP_1)
	v_fma_f32 v7, -v1, v5, v6
	v_fmac_f32_e32 v5, v7, v4
	s_delay_alu instid0(VALU_DEP_1) | instskip(NEXT) | instid1(VALU_DEP_1)
	v_fma_f32 v1, -v1, v5, v6
	v_div_fmas_f32 v1, v1, v4, v5
	s_delay_alu instid0(VALU_DEP_1) | instskip(NEXT) | instid1(VALU_DEP_1)
	v_div_fixup_f32 v1, v1, v206, v207
	v_fmac_f32_e32 v206, v207, v1
	s_delay_alu instid0(VALU_DEP_1) | instskip(NEXT) | instid1(VALU_DEP_1)
	v_div_scale_f32 v4, null, v206, v206, 1.0
	v_rcp_f32_e32 v5, v4
	v_nop
	s_delay_alu instid0(TRANS32_DEP_1) | instskip(NEXT) | instid1(VALU_DEP_1)
	v_fma_f32 v6, -v4, v5, 1.0
	v_fmac_f32_e32 v5, v6, v5
	v_div_scale_f32 v6, vcc_lo, 1.0, v206, 1.0
	s_delay_alu instid0(VALU_DEP_1) | instskip(NEXT) | instid1(VALU_DEP_1)
	v_mul_f32_e32 v7, v6, v5
	v_fma_f32 v8, -v4, v7, v6
	s_delay_alu instid0(VALU_DEP_1) | instskip(NEXT) | instid1(VALU_DEP_1)
	v_fmac_f32_e32 v7, v8, v5
	v_fma_f32 v4, -v4, v7, v6
	s_delay_alu instid0(VALU_DEP_1) | instskip(NEXT) | instid1(VALU_DEP_1)
	v_div_fmas_f32 v4, v4, v5, v7
	v_div_fixup_f32 v208, v4, v206, 1.0
	s_delay_alu instid0(VALU_DEP_1)
	v_mul_f32_e64 v209, v1, -v208
.LBB83_169:
	s_or_b32 exec_lo, exec_lo, s1
	ds_store_b64 v255, v[208:209]
.LBB83_170:
	s_or_b32 exec_lo, exec_lo, s2
	s_wait_dscnt 0x0
	s_barrier_signal -1
	s_barrier_wait -1
	ds_load_b64 v[206:207], v255
	s_mov_b32 s1, exec_lo
	v_cmpx_lt_u32_e32 18, v254
	s_cbranch_execz .LBB83_172
; %bb.171:
	ds_load_2addr_b64 v[208:211], v0 offset0:19 offset1:20
	ds_load_2addr_b64 v[212:215], v0 offset0:21 offset1:22
	;; [unrolled: 1-line block ×3, first 2 shown]
	s_wait_dscnt 0x3
	v_pk_mul_f32 v[224:225], v[206:207], v[90:91] op_sel:[1,1] op_sel_hi:[0,1]
	ds_load_2addr_b64 v[220:223], v0 offset0:25 offset1:26
	v_pk_fma_f32 v[230:231], v[206:207], v[90:91], v[224:225] op_sel_hi:[1,0,1]
	v_pk_fma_f32 v[228:229], v[206:207], v[90:91], v[224:225] op_sel_hi:[1,0,1] neg_lo:[0,0,1] neg_hi:[0,0,1]
	ds_load_2addr_b64 v[224:227], v0 offset0:27 offset1:28
	v_dual_mov_b32 v91, v231 :: v_dual_mov_b32 v90, v228
	s_wait_dscnt 0x4
	v_pk_mul_f32 v[232:233], v[208:209], v[230:231] op_sel:[0,1]
	v_pk_mul_f32 v[234:235], v[210:211], v[230:231] op_sel:[0,1]
	s_wait_dscnt 0x3
	v_pk_mul_f32 v[236:237], v[212:213], v[230:231] op_sel:[0,1]
	v_dual_mov_b32 v238, v215 :: v_dual_mov_b32 v239, v214
	v_pk_fma_f32 v[250:251], v[208:209], v[228:229], v[232:233] op_sel:[0,0,1] op_sel_hi:[1,1,0] neg_lo:[0,0,1] neg_hi:[0,0,1]
	v_pk_fma_f32 v[208:209], v[208:209], v[228:229], v[232:233] op_sel:[0,0,1] op_sel_hi:[1,0,0]
	v_pk_fma_f32 v[232:233], v[210:211], v[228:229], v[234:235] op_sel:[0,0,1] op_sel_hi:[1,1,0] neg_lo:[0,0,1] neg_hi:[0,0,1]
	v_pk_fma_f32 v[210:211], v[210:211], v[228:229], v[234:235] op_sel:[0,0,1] op_sel_hi:[1,0,0]
	v_dual_mul_f32 v240, v215, v231 :: v_dual_mul_f32 v242, v215, v228
	s_wait_dscnt 0x2
	v_pk_mul_f32 v[244:245], v[216:217], v[230:231] op_sel:[0,1]
	v_pk_fma_f32 v[234:235], v[212:213], v[228:229], v[236:237] op_sel:[0,0,1] op_sel_hi:[1,1,0] neg_lo:[0,0,1] neg_hi:[0,0,1]
	v_pk_fma_f32 v[212:213], v[212:213], v[228:229], v[236:237] op_sel:[0,0,1] op_sel_hi:[1,0,0]
	v_dual_mov_b32 v251, v209 :: v_dual_mov_b32 v233, v211
	ds_load_2addr_b64 v[208:211], v0 offset0:29 offset1:30
	v_pk_mul_f32 v[246:247], v[218:219], v[230:231] op_sel:[0,1]
	s_wait_dscnt 0x2
	v_pk_mul_f32 v[248:249], v[220:221], v[230:231] op_sel:[0,1]
	v_pk_fma_f32 v[236:237], v[238:239], v[90:91], v[242:243] op_sel_hi:[1,1,0]
	v_mov_b32_e32 v235, v213
	v_pk_fma_f32 v[212:213], v[216:217], v[228:229], v[244:245] op_sel:[0,0,1] op_sel_hi:[1,0,0]
	v_pk_fma_f32 v[214:215], v[214:215], v[90:91], v[240:241] op_sel_hi:[1,1,0] neg_lo:[0,0,1] neg_hi:[0,0,1]
	v_pk_fma_f32 v[216:217], v[216:217], v[228:229], v[244:245] op_sel:[0,0,1] op_sel_hi:[1,1,0] neg_lo:[0,0,1] neg_hi:[0,0,1]
	v_mov_b32_e32 v215, v237
	v_pk_add_f32 v[138:139], v[138:139], v[232:233] neg_lo:[0,1] neg_hi:[0,1]
	v_pk_add_f32 v[78:79], v[78:79], v[234:235] neg_lo:[0,1] neg_hi:[0,1]
	v_pk_fma_f32 v[232:233], v[218:219], v[228:229], v[246:247] op_sel:[0,0,1] op_sel_hi:[1,0,0]
	v_pk_fma_f32 v[234:235], v[220:221], v[228:229], v[248:249] op_sel:[0,0,1] op_sel_hi:[1,0,0]
	v_mov_b32_e32 v217, v213
	v_pk_fma_f32 v[212:213], v[218:219], v[228:229], v[246:247] op_sel:[0,0,1] op_sel_hi:[1,1,0] neg_lo:[0,0,1] neg_hi:[0,0,1]
	v_pk_fma_f32 v[218:219], v[220:221], v[228:229], v[248:249] op_sel:[0,0,1] op_sel_hi:[1,1,0] neg_lo:[0,0,1] neg_hi:[0,0,1]
	v_pk_mul_f32 v[220:221], v[222:223], v[230:231] op_sel:[0,1]
	v_mov_b32_e32 v213, v233
	v_pk_add_f32 v[76:77], v[76:77], v[216:217] neg_lo:[0,1] neg_hi:[0,1]
	v_mov_b32_e32 v219, v235
	v_pk_add_f32 v[80:81], v[80:81], v[214:215] neg_lo:[0,1] neg_hi:[0,1]
	v_pk_fma_f32 v[216:217], v[222:223], v[228:229], v[220:221] op_sel:[0,0,1] op_sel_hi:[1,0,0]
	s_wait_dscnt 0x1
	v_mul_f32_e32 v216, v225, v228
	v_pk_add_f32 v[106:107], v[106:107], v[212:213] neg_lo:[0,1] neg_hi:[0,1]
	ds_load_2addr_b64 v[212:215], v0 offset0:31 offset1:32
	v_pk_add_f32 v[102:103], v[102:103], v[218:219] neg_lo:[0,1] neg_hi:[0,1]
	v_pk_fma_f32 v[232:233], v[222:223], v[228:229], v[220:221] op_sel:[0,0,1] op_sel_hi:[1,1,0] neg_lo:[0,0,1] neg_hi:[0,0,1]
	v_pk_mul_f32 v[220:221], v[226:227], v[230:231] op_sel:[0,1]
	s_wait_dscnt 0x1
	v_pk_mul_f32 v[222:223], v[208:209], v[230:231] op_sel:[0,1]
	v_pk_fma_f32 v[234:235], v[224:225], v[90:91], v[216:217] op_sel:[1,0,0] op_sel_hi:[0,1,0]
	v_mul_f32_e32 v218, v225, v231
	v_mov_b32_e32 v233, v217
	v_pk_fma_f32 v[216:217], v[226:227], v[228:229], v[220:221] op_sel:[0,0,1] op_sel_hi:[1,0,0]
	v_pk_fma_f32 v[220:221], v[226:227], v[228:229], v[220:221] op_sel:[0,0,1] op_sel_hi:[1,1,0] neg_lo:[0,0,1] neg_hi:[0,0,1]
	v_pk_add_f32 v[116:117], v[116:117], v[250:251] neg_lo:[0,1] neg_hi:[0,1]
	v_pk_fma_f32 v[224:225], v[224:225], v[90:91], v[218:219] op_sel_hi:[1,1,0] neg_lo:[0,0,1] neg_hi:[0,0,1]
	v_pk_fma_f32 v[218:219], v[208:209], v[228:229], v[222:223] op_sel:[0,0,1] op_sel_hi:[1,0,0]
	v_pk_fma_f32 v[208:209], v[208:209], v[228:229], v[222:223] op_sel:[0,0,1] op_sel_hi:[1,1,0] neg_lo:[0,0,1] neg_hi:[0,0,1]
	v_dual_mov_b32 v221, v217 :: v_dual_mov_b32 v225, v235
	v_pk_mul_f32 v[222:223], v[210:211], v[230:231] op_sel:[0,1]
	s_delay_alu instid0(VALU_DEP_4)
	v_mov_b32_e32 v209, v219
	ds_load_2addr_b64 v[216:219], v0 offset0:33 offset1:34
	v_pk_add_f32 v[104:105], v[104:105], v[232:233] neg_lo:[0,1] neg_hi:[0,1]
	v_pk_add_f32 v[100:101], v[100:101], v[224:225] neg_lo:[0,1] neg_hi:[0,1]
	s_wait_dscnt 0x1
	v_pk_mul_f32 v[224:225], v[212:213], v[230:231] op_sel:[0,1]
	v_pk_add_f32 v[128:129], v[128:129], v[220:221] neg_lo:[0,1] neg_hi:[0,1]
	v_pk_fma_f32 v[220:221], v[210:211], v[228:229], v[222:223] op_sel:[0,0,1] op_sel_hi:[1,1,0] neg_lo:[0,0,1] neg_hi:[0,0,1]
	v_pk_fma_f32 v[222:223], v[210:211], v[228:229], v[222:223] op_sel:[0,0,1] op_sel_hi:[1,0,0]
	v_mov_b32_e32 v226, v215
	v_pk_fma_f32 v[232:233], v[212:213], v[228:229], v[224:225] op_sel:[0,0,1] op_sel_hi:[1,0,0]
	v_pk_add_f32 v[124:125], v[124:125], v[208:209] neg_lo:[0,1] neg_hi:[0,1]
	v_dual_mov_b32 v227, v214 :: v_dual_mul_f32 v222, v215, v228
	ds_load_2addr_b64 v[208:211], v0 offset0:35 offset1:36
	v_mul_f32_e32 v232, v215, v231
	v_pk_fma_f32 v[224:225], v[212:213], v[228:229], v[224:225] op_sel:[0,0,1] op_sel_hi:[1,1,0] neg_lo:[0,0,1] neg_hi:[0,0,1]
	v_mov_b32_e32 v221, v223
	v_pk_fma_f32 v[222:223], v[226:227], v[90:91], v[222:223] op_sel_hi:[1,1,0]
	v_mov_b32_e32 v225, v233
	v_pk_fma_f32 v[226:227], v[214:215], v[90:91], v[232:233] op_sel_hi:[1,1,0] neg_lo:[0,0,1] neg_hi:[0,0,1]
	ds_load_2addr_b64 v[212:215], v0 offset0:37 offset1:38
	s_wait_dscnt 0x2
	v_pk_mul_f32 v[232:233], v[216:217], v[230:231] op_sel:[0,1]
	v_mov_b32_e32 v227, v223
	v_pk_add_f32 v[126:127], v[126:127], v[220:221] neg_lo:[0,1] neg_hi:[0,1]
	v_pk_mul_f32 v[220:221], v[218:219], v[230:231] op_sel:[0,1]
	v_pk_add_f32 v[122:123], v[122:123], v[224:225] neg_lo:[0,1] neg_hi:[0,1]
	v_pk_fma_f32 v[222:223], v[216:217], v[228:229], v[232:233] op_sel:[0,0,1] op_sel_hi:[1,0,0]
	v_pk_fma_f32 v[224:225], v[216:217], v[228:229], v[232:233] op_sel:[0,0,1] op_sel_hi:[1,1,0] neg_lo:[0,0,1] neg_hi:[0,0,1]
	v_pk_add_f32 v[148:149], v[148:149], v[226:227] neg_lo:[0,1] neg_hi:[0,1]
	v_pk_fma_f32 v[226:227], v[218:219], v[228:229], v[220:221] op_sel:[0,0,1] op_sel_hi:[1,0,0]
	v_pk_fma_f32 v[220:221], v[218:219], v[228:229], v[220:221] op_sel:[0,0,1] op_sel_hi:[1,1,0] neg_lo:[0,0,1] neg_hi:[0,0,1]
	v_mov_b32_e32 v225, v223
	ds_load_2addr_b64 v[216:219], v0 offset0:39 offset1:40
	s_wait_dscnt 0x2
	v_pk_mul_f32 v[222:223], v[208:209], v[230:231] op_sel:[0,1]
	v_mov_b32_e32 v221, v227
	v_pk_mul_f32 v[226:227], v[210:211], v[230:231] op_sel:[0,1]
	v_pk_add_f32 v[144:145], v[144:145], v[224:225] neg_lo:[0,1] neg_hi:[0,1]
	ds_load_b64 v[224:225], v0 offset:328
	v_pk_fma_f32 v[232:233], v[208:209], v[228:229], v[222:223] op_sel:[0,0,1] op_sel_hi:[1,0,0]
	v_pk_add_f32 v[146:147], v[146:147], v[220:221] neg_lo:[0,1] neg_hi:[0,1]
	v_pk_fma_f32 v[220:221], v[210:211], v[228:229], v[226:227] op_sel:[0,0,1] op_sel_hi:[1,0,0]
	v_pk_fma_f32 v[208:209], v[208:209], v[228:229], v[222:223] op_sel:[0,0,1] op_sel_hi:[1,1,0] neg_lo:[0,0,1] neg_hi:[0,0,1]
	s_wait_dscnt 0x2
	v_dual_mul_f32 v220, v213, v228 :: v_dual_mul_f32 v222, v213, v231
	v_mov_b32_e32 v209, v233
	v_pk_fma_f32 v[210:211], v[210:211], v[228:229], v[226:227] op_sel:[0,0,1] op_sel_hi:[1,1,0] neg_lo:[0,0,1] neg_hi:[0,0,1]
	v_mov_b32_e32 v211, v221
	s_delay_alu instid0(VALU_DEP_4) | instskip(NEXT) | instid1(VALU_DEP_4)
	v_pk_fma_f32 v[220:221], v[212:213], v[90:91], v[220:221] op_sel:[1,0,0] op_sel_hi:[0,1,0]
	v_pk_add_f32 v[142:143], v[142:143], v[208:209] neg_lo:[0,1] neg_hi:[0,1]
	v_pk_mul_f32 v[208:209], v[214:215], v[230:231] op_sel:[0,1]
	s_delay_alu instid0(VALU_DEP_4)
	v_pk_add_f32 v[164:165], v[164:165], v[210:211] neg_lo:[0,1] neg_hi:[0,1]
	v_pk_fma_f32 v[210:211], v[212:213], v[90:91], v[222:223] op_sel_hi:[1,1,0] neg_lo:[0,0,1] neg_hi:[0,0,1]
	v_mov_b32_e32 v211, v221
	s_wait_dscnt 0x1
	v_pk_mul_f32 v[212:213], v[216:217], v[230:231] op_sel:[0,1]
	v_pk_fma_f32 v[220:221], v[214:215], v[228:229], v[208:209] op_sel:[0,0,1] op_sel_hi:[1,0,0]
	v_pk_mul_f32 v[222:223], v[218:219], v[230:231] op_sel:[0,1]
	v_pk_fma_f32 v[208:209], v[214:215], v[228:229], v[208:209] op_sel:[0,0,1] op_sel_hi:[1,1,0] neg_lo:[0,0,1] neg_hi:[0,0,1]
	s_wait_dscnt 0x0
	v_pk_mul_f32 v[214:215], v[224:225], v[230:231] op_sel:[0,1]
	v_pk_fma_f32 v[226:227], v[216:217], v[228:229], v[212:213] op_sel:[0,0,1] op_sel_hi:[1,0,0]
	v_mov_b32_e32 v209, v221
	v_pk_fma_f32 v[220:221], v[218:219], v[228:229], v[222:223] op_sel:[0,0,1] op_sel_hi:[1,0,0]
	v_pk_fma_f32 v[212:213], v[216:217], v[228:229], v[212:213] op_sel:[0,0,1] op_sel_hi:[1,1,0] neg_lo:[0,0,1] neg_hi:[0,0,1]
	v_pk_fma_f32 v[216:217], v[224:225], v[228:229], v[214:215] op_sel:[0,0,1] op_sel_hi:[1,0,0]
	v_pk_fma_f32 v[218:219], v[218:219], v[228:229], v[222:223] op_sel:[0,0,1] op_sel_hi:[1,1,0] neg_lo:[0,0,1] neg_hi:[0,0,1]
	v_pk_fma_f32 v[214:215], v[224:225], v[228:229], v[214:215] op_sel:[0,0,1] op_sel_hi:[1,1,0] neg_lo:[0,0,1] neg_hi:[0,0,1]
	v_dual_mov_b32 v213, v227 :: v_dual_mov_b32 v219, v221
	s_delay_alu instid0(VALU_DEP_4) | instskip(SKIP_2) | instid1(VALU_DEP_4)
	v_mov_b32_e32 v215, v217
	v_pk_add_f32 v[160:161], v[160:161], v[210:211] neg_lo:[0,1] neg_hi:[0,1]
	v_pk_add_f32 v[162:163], v[162:163], v[208:209] neg_lo:[0,1] neg_hi:[0,1]
	v_pk_add_f32 v[158:159], v[158:159], v[212:213] neg_lo:[0,1] neg_hi:[0,1]
	v_pk_add_f32 v[166:167], v[166:167], v[218:219] neg_lo:[0,1] neg_hi:[0,1]
	v_pk_add_f32 v[168:169], v[168:169], v[214:215] neg_lo:[0,1] neg_hi:[0,1]
.LBB83_172:
	s_or_b32 exec_lo, exec_lo, s1
	s_delay_alu instid0(SALU_CYCLE_1)
	s_mov_b32 s2, exec_lo
	s_wait_dscnt 0x0
	s_barrier_signal -1
	s_barrier_wait -1
	v_cmpx_eq_u32_e32 19, v254
	s_cbranch_execz .LBB83_179
; %bb.173:
	v_dual_mov_b32 v208, v138 :: v_dual_mov_b32 v209, v139
	v_dual_mov_b32 v210, v78 :: v_dual_mov_b32 v211, v79
	;; [unrolled: 1-line block ×10, first 2 shown]
	ds_store_b64 v255, v[116:117]
	v_dual_mov_b32 v228, v126 :: v_dual_mov_b32 v229, v127
	v_dual_mov_b32 v230, v122 :: v_dual_mov_b32 v231, v123
	ds_store_2addr_b64 v0, v[208:209], v[210:211] offset0:20 offset1:21
	ds_store_2addr_b64 v0, v[212:213], v[214:215] offset0:22 offset1:23
	;; [unrolled: 1-line block ×6, first 2 shown]
	v_dual_mov_b32 v208, v148 :: v_dual_mov_b32 v209, v149
	v_dual_mov_b32 v210, v144 :: v_dual_mov_b32 v211, v145
	;; [unrolled: 1-line block ×9, first 2 shown]
	ds_store_2addr_b64 v0, v[208:209], v[210:211] offset0:32 offset1:33
	ds_store_2addr_b64 v0, v[212:213], v[214:215] offset0:34 offset1:35
	;; [unrolled: 1-line block ×5, first 2 shown]
	ds_load_b64 v[208:209], v255
	s_wait_dscnt 0x0
	v_cmp_neq_f32_e32 vcc_lo, 0, v208
	v_cmp_neq_f32_e64 s1, 0, v209
	s_or_b32 s1, vcc_lo, s1
	s_delay_alu instid0(SALU_CYCLE_1)
	s_and_b32 exec_lo, exec_lo, s1
	s_cbranch_execz .LBB83_179
; %bb.174:
	v_cmp_ngt_f32_e64 s1, |v208|, |v209|
                                        ; implicit-def: $vgpr210_vgpr211
	s_and_saveexec_b32 s4, s1
	s_delay_alu instid0(SALU_CYCLE_1)
	s_xor_b32 s1, exec_lo, s4
	s_cbranch_execz .LBB83_176
; %bb.175:
	v_div_scale_f32 v1, null, v209, v209, v208
	v_div_scale_f32 v6, vcc_lo, v208, v209, v208
	s_delay_alu instid0(VALU_DEP_2) | instskip(SKIP_1) | instid1(TRANS32_DEP_1)
	v_rcp_f32_e32 v4, v1
	v_nop
	v_fma_f32 v5, -v1, v4, 1.0
	s_delay_alu instid0(VALU_DEP_1) | instskip(NEXT) | instid1(VALU_DEP_1)
	v_fmac_f32_e32 v4, v5, v4
	v_mul_f32_e32 v5, v6, v4
	s_delay_alu instid0(VALU_DEP_1) | instskip(NEXT) | instid1(VALU_DEP_1)
	v_fma_f32 v7, -v1, v5, v6
	v_fmac_f32_e32 v5, v7, v4
	s_delay_alu instid0(VALU_DEP_1) | instskip(NEXT) | instid1(VALU_DEP_1)
	v_fma_f32 v1, -v1, v5, v6
	v_div_fmas_f32 v1, v1, v4, v5
	s_delay_alu instid0(VALU_DEP_1) | instskip(NEXT) | instid1(VALU_DEP_1)
	v_div_fixup_f32 v1, v1, v209, v208
	v_fmac_f32_e32 v209, v208, v1
	s_delay_alu instid0(VALU_DEP_1) | instskip(SKIP_1) | instid1(VALU_DEP_2)
	v_div_scale_f32 v4, null, v209, v209, 1.0
	v_div_scale_f32 v7, vcc_lo, 1.0, v209, 1.0
	v_rcp_f32_e32 v5, v4
	v_nop
	s_delay_alu instid0(TRANS32_DEP_1) | instskip(NEXT) | instid1(VALU_DEP_1)
	v_fma_f32 v6, -v4, v5, 1.0
	v_fmac_f32_e32 v5, v6, v5
	s_delay_alu instid0(VALU_DEP_1) | instskip(NEXT) | instid1(VALU_DEP_1)
	v_mul_f32_e32 v6, v7, v5
	v_fma_f32 v8, -v4, v6, v7
	s_delay_alu instid0(VALU_DEP_1) | instskip(NEXT) | instid1(VALU_DEP_1)
	v_fmac_f32_e32 v6, v8, v5
	v_fma_f32 v4, -v4, v6, v7
	s_delay_alu instid0(VALU_DEP_1) | instskip(NEXT) | instid1(VALU_DEP_1)
	v_div_fmas_f32 v4, v4, v5, v6
	v_div_fixup_f32 v4, v4, v209, 1.0
                                        ; implicit-def: $vgpr208_vgpr209
	s_delay_alu instid0(VALU_DEP_1)
	v_mul_f32_e32 v210, v1, v4
	v_xor_b32_e32 v211, 0x80000000, v4
.LBB83_176:
	s_and_not1_saveexec_b32 s1, s1
	s_cbranch_execz .LBB83_178
; %bb.177:
	v_div_scale_f32 v1, null, v208, v208, v209
	v_div_scale_f32 v6, vcc_lo, v209, v208, v209
	s_delay_alu instid0(VALU_DEP_2) | instskip(SKIP_1) | instid1(TRANS32_DEP_1)
	v_rcp_f32_e32 v4, v1
	v_nop
	v_fma_f32 v5, -v1, v4, 1.0
	s_delay_alu instid0(VALU_DEP_1) | instskip(NEXT) | instid1(VALU_DEP_1)
	v_fmac_f32_e32 v4, v5, v4
	v_mul_f32_e32 v5, v6, v4
	s_delay_alu instid0(VALU_DEP_1) | instskip(NEXT) | instid1(VALU_DEP_1)
	v_fma_f32 v7, -v1, v5, v6
	v_fmac_f32_e32 v5, v7, v4
	s_delay_alu instid0(VALU_DEP_1) | instskip(NEXT) | instid1(VALU_DEP_1)
	v_fma_f32 v1, -v1, v5, v6
	v_div_fmas_f32 v1, v1, v4, v5
	s_delay_alu instid0(VALU_DEP_1) | instskip(NEXT) | instid1(VALU_DEP_1)
	v_div_fixup_f32 v1, v1, v208, v209
	v_fmac_f32_e32 v208, v209, v1
	s_delay_alu instid0(VALU_DEP_1) | instskip(NEXT) | instid1(VALU_DEP_1)
	v_div_scale_f32 v4, null, v208, v208, 1.0
	v_rcp_f32_e32 v5, v4
	v_nop
	s_delay_alu instid0(TRANS32_DEP_1) | instskip(NEXT) | instid1(VALU_DEP_1)
	v_fma_f32 v6, -v4, v5, 1.0
	v_fmac_f32_e32 v5, v6, v5
	v_div_scale_f32 v6, vcc_lo, 1.0, v208, 1.0
	s_delay_alu instid0(VALU_DEP_1) | instskip(NEXT) | instid1(VALU_DEP_1)
	v_mul_f32_e32 v7, v6, v5
	v_fma_f32 v8, -v4, v7, v6
	s_delay_alu instid0(VALU_DEP_1) | instskip(NEXT) | instid1(VALU_DEP_1)
	v_fmac_f32_e32 v7, v8, v5
	v_fma_f32 v4, -v4, v7, v6
	s_delay_alu instid0(VALU_DEP_1) | instskip(NEXT) | instid1(VALU_DEP_1)
	v_div_fmas_f32 v4, v4, v5, v7
	v_div_fixup_f32 v210, v4, v208, 1.0
	s_delay_alu instid0(VALU_DEP_1)
	v_mul_f32_e64 v211, v1, -v210
.LBB83_178:
	s_or_b32 exec_lo, exec_lo, s1
	ds_store_b64 v255, v[210:211]
.LBB83_179:
	s_or_b32 exec_lo, exec_lo, s2
	s_wait_dscnt 0x0
	s_barrier_signal -1
	s_barrier_wait -1
	ds_load_b64 v[208:209], v255
	s_mov_b32 s1, exec_lo
	v_cmpx_lt_u32_e32 19, v254
	s_cbranch_execz .LBB83_181
; %bb.180:
	ds_load_2addr_b64 v[210:213], v0 offset0:20 offset1:21
	ds_load_2addr_b64 v[214:217], v0 offset0:22 offset1:23
	;; [unrolled: 1-line block ×3, first 2 shown]
	s_wait_dscnt 0x3
	v_pk_mul_f32 v[222:223], v[208:209], v[116:117] op_sel:[1,1] op_sel_hi:[0,1]
	s_delay_alu instid0(VALU_DEP_1)
	v_pk_fma_f32 v[230:231], v[208:209], v[116:117], v[222:223] op_sel_hi:[1,0,1] neg_lo:[0,0,1] neg_hi:[0,0,1]
	v_pk_fma_f32 v[232:233], v[208:209], v[116:117], v[222:223] op_sel_hi:[1,0,1]
	ds_load_2addr_b64 v[222:225], v0 offset0:26 offset1:27
	ds_load_2addr_b64 v[226:229], v0 offset0:28 offset1:29
	v_dual_mov_b32 v116, v230 :: v_dual_mov_b32 v117, v233
	s_wait_dscnt 0x4
	v_pk_mul_f32 v[234:235], v[210:211], v[232:233] op_sel:[0,1]
	v_pk_mul_f32 v[236:237], v[212:213], v[232:233] op_sel:[0,1]
	s_wait_dscnt 0x3
	v_pk_mul_f32 v[238:239], v[214:215], v[232:233] op_sel:[0,1]
	v_dual_mov_b32 v240, v217 :: v_dual_mov_b32 v241, v216
	v_dual_mul_f32 v242, v217, v233 :: v_dual_mul_f32 v244, v217, v230
	s_wait_dscnt 0x2
	v_pk_mul_f32 v[246:247], v[218:219], v[232:233] op_sel:[0,1]
	v_pk_mul_f32 v[248:249], v[220:221], v[232:233] op_sel:[0,1]
	v_pk_fma_f32 v[250:251], v[210:211], v[230:231], v[234:235] op_sel:[0,0,1] op_sel_hi:[1,1,0] neg_lo:[0,0,1] neg_hi:[0,0,1]
	v_pk_fma_f32 v[210:211], v[210:211], v[230:231], v[234:235] op_sel:[0,0,1] op_sel_hi:[1,0,0]
	v_pk_fma_f32 v[234:235], v[212:213], v[230:231], v[236:237] op_sel:[0,0,1] op_sel_hi:[1,1,0] neg_lo:[0,0,1] neg_hi:[0,0,1]
	v_pk_fma_f32 v[212:213], v[212:213], v[230:231], v[236:237] op_sel:[0,0,1] op_sel_hi:[1,0,0]
	;; [unrolled: 2-line block ×3, first 2 shown]
	v_pk_fma_f32 v[238:239], v[240:241], v[116:117], v[244:245] op_sel_hi:[1,1,0]
	v_pk_fma_f32 v[240:241], v[218:219], v[230:231], v[246:247] op_sel:[0,0,1] op_sel_hi:[1,1,0] neg_lo:[0,0,1] neg_hi:[0,0,1]
	v_pk_fma_f32 v[218:219], v[218:219], v[230:231], v[246:247] op_sel:[0,0,1] op_sel_hi:[1,0,0]
	v_dual_mov_b32 v251, v211 :: v_dual_mov_b32 v235, v213
	v_pk_fma_f32 v[210:211], v[220:221], v[230:231], v[248:249] op_sel:[0,0,1] op_sel_hi:[1,0,0]
	v_pk_fma_f32 v[216:217], v[216:217], v[116:117], v[242:243] op_sel_hi:[1,1,0] neg_lo:[0,0,1] neg_hi:[0,0,1]
	v_dual_mov_b32 v237, v215 :: v_dual_mov_b32 v217, v239
	v_mov_b32_e32 v241, v219
	s_wait_dscnt 0x1
	v_pk_mul_f32 v[214:215], v[222:223], v[232:233] op_sel:[0,1]
	v_pk_fma_f32 v[218:219], v[220:221], v[230:231], v[248:249] op_sel:[0,0,1] op_sel_hi:[1,1,0] neg_lo:[0,0,1] neg_hi:[0,0,1]
	v_mov_b32_e32 v219, v211
	ds_load_2addr_b64 v[210:213], v0 offset0:30 offset1:31
	v_pk_add_f32 v[76:77], v[76:77], v[216:217] neg_lo:[0,1] neg_hi:[0,1]
	v_pk_fma_f32 v[220:221], v[222:223], v[230:231], v[214:215] op_sel:[0,0,1] op_sel_hi:[1,0,0]
	v_pk_fma_f32 v[222:223], v[222:223], v[230:231], v[214:215] op_sel:[0,0,1] op_sel_hi:[1,1,0] neg_lo:[0,0,1] neg_hi:[0,0,1]
	ds_load_2addr_b64 v[214:217], v0 offset0:32 offset1:33
	v_pk_add_f32 v[78:79], v[78:79], v[234:235] neg_lo:[0,1] neg_hi:[0,1]
	v_pk_mul_f32 v[234:235], v[224:225], v[232:233] op_sel:[0,1]
	v_pk_add_f32 v[80:81], v[80:81], v[236:237] neg_lo:[0,1] neg_hi:[0,1]
	s_wait_dscnt 0x2
	v_dual_mul_f32 v220, v227, v230 :: v_dual_mov_b32 v223, v221
	v_pk_add_f32 v[102:103], v[102:103], v[218:219] neg_lo:[0,1] neg_hi:[0,1]
	v_pk_fma_f32 v[236:237], v[224:225], v[230:231], v[234:235] op_sel:[0,0,1] op_sel_hi:[1,0,0]
	v_pk_fma_f32 v[224:225], v[224:225], v[230:231], v[234:235] op_sel:[0,0,1] op_sel_hi:[1,1,0] neg_lo:[0,0,1] neg_hi:[0,0,1]
	v_pk_mul_f32 v[234:235], v[228:229], v[232:233] op_sel:[0,1]
	v_mul_f32_e32 v236, v227, v233
	v_pk_fma_f32 v[220:221], v[226:227], v[116:117], v[220:221] op_sel:[1,0,0] op_sel_hi:[0,1,0]
	v_mov_b32_e32 v225, v237
	v_pk_add_f32 v[104:105], v[104:105], v[222:223] neg_lo:[0,1] neg_hi:[0,1]
	v_pk_fma_f32 v[218:219], v[228:229], v[230:231], v[234:235] op_sel:[0,0,1] op_sel_hi:[1,0,0]
	v_pk_fma_f32 v[226:227], v[226:227], v[116:117], v[236:237] op_sel_hi:[1,1,0] neg_lo:[0,0,1] neg_hi:[0,0,1]
	v_pk_fma_f32 v[222:223], v[228:229], v[230:231], v[234:235] op_sel:[0,0,1] op_sel_hi:[1,1,0] neg_lo:[0,0,1] neg_hi:[0,0,1]
	v_mov_b32_e32 v227, v221
	v_pk_add_f32 v[100:101], v[100:101], v[224:225] neg_lo:[0,1] neg_hi:[0,1]
	v_mov_b32_e32 v223, v219
	s_wait_dscnt 0x1
	v_pk_mul_f32 v[224:225], v[210:211], v[232:233] op_sel:[0,1]
	ds_load_2addr_b64 v[218:221], v0 offset0:34 offset1:35
	s_wait_dscnt 0x1
	v_pk_mul_f32 v[228:229], v[214:215], v[232:233] op_sel:[0,1]
	v_pk_add_f32 v[128:129], v[128:129], v[226:227] neg_lo:[0,1] neg_hi:[0,1]
	v_pk_mul_f32 v[226:227], v[212:213], v[232:233] op_sel:[0,1]
	v_pk_add_f32 v[124:125], v[124:125], v[222:223] neg_lo:[0,1] neg_hi:[0,1]
	v_pk_fma_f32 v[234:235], v[210:211], v[230:231], v[224:225] op_sel:[0,0,1] op_sel_hi:[1,0,0]
	v_pk_fma_f32 v[210:211], v[210:211], v[230:231], v[224:225] op_sel:[0,0,1] op_sel_hi:[1,1,0] neg_lo:[0,0,1] neg_hi:[0,0,1]
	ds_load_2addr_b64 v[222:225], v0 offset0:36 offset1:37
	v_pk_fma_f32 v[238:239], v[214:215], v[230:231], v[228:229] op_sel:[0,0,1] op_sel_hi:[1,0,0]
	v_pk_fma_f32 v[236:237], v[212:213], v[230:231], v[226:227] op_sel:[0,0,1] op_sel_hi:[1,0,0]
	v_pk_fma_f32 v[214:215], v[214:215], v[230:231], v[228:229] op_sel:[0,0,1] op_sel_hi:[1,1,0] neg_lo:[0,0,1] neg_hi:[0,0,1]
	v_pk_fma_f32 v[212:213], v[212:213], v[230:231], v[226:227] op_sel:[0,0,1] op_sel_hi:[1,1,0] neg_lo:[0,0,1] neg_hi:[0,0,1]
	s_delay_alu instid0(VALU_DEP_4) | instskip(SKIP_2) | instid1(VALU_DEP_3)
	v_dual_mov_b32 v226, v217 :: v_dual_mov_b32 v215, v239
	v_dual_mov_b32 v227, v216 :: v_dual_mul_f32 v228, v217, v230
	v_dual_mov_b32 v211, v235 :: v_dual_mov_b32 v213, v237
	v_pk_add_f32 v[148:149], v[148:149], v[214:215] neg_lo:[0,1] neg_hi:[0,1]
	v_pk_add_f32 v[106:107], v[106:107], v[240:241] neg_lo:[0,1] neg_hi:[0,1]
	s_delay_alu instid0(VALU_DEP_4)
	v_pk_fma_f32 v[226:227], v[226:227], v[116:117], v[228:229] op_sel_hi:[1,1,0]
	v_mul_f32_e32 v214, v217, v233
	v_pk_add_f32 v[126:127], v[126:127], v[210:211] neg_lo:[0,1] neg_hi:[0,1]
	v_pk_add_f32 v[122:123], v[122:123], v[212:213] neg_lo:[0,1] neg_hi:[0,1]
	s_wait_dscnt 0x1
	v_pk_mul_f32 v[228:229], v[218:219], v[232:233] op_sel:[0,1]
	ds_load_2addr_b64 v[210:213], v0 offset0:38 offset1:39
	v_pk_mul_f32 v[234:235], v[220:221], v[232:233] op_sel:[0,1]
	v_pk_fma_f32 v[236:237], v[216:217], v[116:117], v[214:215] op_sel_hi:[1,1,0] neg_lo:[0,0,1] neg_hi:[0,0,1]
	v_mov_b32_e32 v237, v227
	v_pk_fma_f32 v[226:227], v[218:219], v[230:231], v[228:229] op_sel:[0,0,1] op_sel_hi:[1,0,0]
	s_wait_dscnt 0x1
	v_pk_mul_f32 v[238:239], v[222:223], v[232:233] op_sel:[0,1]
	ds_load_2addr_b64 v[214:217], v0 offset0:40 offset1:41
	v_pk_fma_f32 v[240:241], v[220:221], v[230:231], v[234:235] op_sel:[0,0,1] op_sel_hi:[1,0,0]
	v_pk_fma_f32 v[218:219], v[218:219], v[230:231], v[228:229] op_sel:[0,0,1] op_sel_hi:[1,1,0] neg_lo:[0,0,1] neg_hi:[0,0,1]
	v_mov_b32_e32 v219, v227
	v_pk_fma_f32 v[226:227], v[222:223], v[230:231], v[238:239] op_sel:[0,0,1] op_sel_hi:[1,0,0]
	v_pk_mul_f32 v[228:229], v[224:225], v[232:233] op_sel:[0,1]
	v_pk_fma_f32 v[220:221], v[220:221], v[230:231], v[234:235] op_sel:[0,0,1] op_sel_hi:[1,1,0] neg_lo:[0,0,1] neg_hi:[0,0,1]
	v_mov_b32_e32 v221, v241
	v_pk_fma_f32 v[222:223], v[222:223], v[230:231], v[238:239] op_sel:[0,0,1] op_sel_hi:[1,1,0] neg_lo:[0,0,1] neg_hi:[0,0,1]
	v_pk_add_f32 v[146:147], v[146:147], v[218:219] neg_lo:[0,1] neg_hi:[0,1]
	v_pk_fma_f32 v[218:219], v[224:225], v[230:231], v[228:229] op_sel:[0,0,1] op_sel_hi:[1,0,0]
	v_mov_b32_e32 v223, v227
	v_pk_add_f32 v[142:143], v[142:143], v[220:221] neg_lo:[0,1] neg_hi:[0,1]
	v_pk_fma_f32 v[220:221], v[224:225], v[230:231], v[228:229] op_sel:[0,0,1] op_sel_hi:[1,1,0] neg_lo:[0,0,1] neg_hi:[0,0,1]
	s_wait_dscnt 0x1
	v_mul_f32_e32 v218, v211, v230
	v_mov_b32_e32 v221, v219
	v_pk_add_f32 v[164:165], v[164:165], v[222:223] neg_lo:[0,1] neg_hi:[0,1]
	v_mul_f32_e32 v222, v211, v233
	v_pk_mul_f32 v[224:225], v[212:213], v[232:233] op_sel:[0,1]
	v_pk_fma_f32 v[218:219], v[210:211], v[116:117], v[218:219] op_sel:[1,0,0] op_sel_hi:[0,1,0]
	s_wait_dscnt 0x0
	v_pk_mul_f32 v[226:227], v[214:215], v[232:233] op_sel:[0,1]
	v_pk_add_f32 v[138:139], v[138:139], v[250:251] neg_lo:[0,1] neg_hi:[0,1]
	v_pk_fma_f32 v[210:211], v[210:211], v[116:117], v[222:223] op_sel_hi:[1,1,0] neg_lo:[0,0,1] neg_hi:[0,0,1]
	v_pk_mul_f32 v[222:223], v[216:217], v[232:233] op_sel:[0,1]
	v_pk_fma_f32 v[228:229], v[212:213], v[230:231], v[224:225] op_sel:[0,0,1] op_sel_hi:[1,0,0]
	v_mov_b32_e32 v211, v219
	v_pk_fma_f32 v[218:219], v[214:215], v[230:231], v[226:227] op_sel:[0,0,1] op_sel_hi:[1,0,0]
	v_pk_fma_f32 v[212:213], v[212:213], v[230:231], v[224:225] op_sel:[0,0,1] op_sel_hi:[1,1,0] neg_lo:[0,0,1] neg_hi:[0,0,1]
	v_pk_fma_f32 v[224:225], v[216:217], v[230:231], v[222:223] op_sel:[0,0,1] op_sel_hi:[1,0,0]
	v_pk_fma_f32 v[214:215], v[214:215], v[230:231], v[226:227] op_sel:[0,0,1] op_sel_hi:[1,1,0] neg_lo:[0,0,1] neg_hi:[0,0,1]
	v_pk_fma_f32 v[216:217], v[216:217], v[230:231], v[222:223] op_sel:[0,0,1] op_sel_hi:[1,1,0] neg_lo:[0,0,1] neg_hi:[0,0,1]
	v_dual_mov_b32 v213, v229 :: v_dual_mov_b32 v215, v219
	s_delay_alu instid0(VALU_DEP_4)
	v_mov_b32_e32 v217, v225
	v_pk_add_f32 v[144:145], v[144:145], v[236:237] neg_lo:[0,1] neg_hi:[0,1]
	v_pk_add_f32 v[160:161], v[160:161], v[220:221] neg_lo:[0,1] neg_hi:[0,1]
	;; [unrolled: 1-line block ×6, first 2 shown]
.LBB83_181:
	s_or_b32 exec_lo, exec_lo, s1
	s_delay_alu instid0(SALU_CYCLE_1)
	s_mov_b32 s2, exec_lo
	s_wait_dscnt 0x0
	s_barrier_signal -1
	s_barrier_wait -1
	v_cmpx_eq_u32_e32 20, v254
	s_cbranch_execz .LBB83_188
; %bb.182:
	ds_store_b64 v255, v[138:139]
	ds_store_2addr_b64 v0, v[78:79], v[80:81] offset0:21 offset1:22
	ds_store_2addr_b64 v0, v[76:77], v[106:107] offset0:23 offset1:24
	;; [unrolled: 1-line block ×10, first 2 shown]
	ds_store_b64 v0, v[168:169] offset:328
	ds_load_b64 v[210:211], v255
	s_wait_dscnt 0x0
	v_cmp_neq_f32_e32 vcc_lo, 0, v210
	v_cmp_neq_f32_e64 s1, 0, v211
	s_or_b32 s1, vcc_lo, s1
	s_delay_alu instid0(SALU_CYCLE_1)
	s_and_b32 exec_lo, exec_lo, s1
	s_cbranch_execz .LBB83_188
; %bb.183:
	v_cmp_ngt_f32_e64 s1, |v210|, |v211|
                                        ; implicit-def: $vgpr212_vgpr213
	s_and_saveexec_b32 s4, s1
	s_delay_alu instid0(SALU_CYCLE_1)
	s_xor_b32 s1, exec_lo, s4
	s_cbranch_execz .LBB83_185
; %bb.184:
	v_div_scale_f32 v1, null, v211, v211, v210
	v_div_scale_f32 v6, vcc_lo, v210, v211, v210
	s_delay_alu instid0(VALU_DEP_2) | instskip(SKIP_1) | instid1(TRANS32_DEP_1)
	v_rcp_f32_e32 v4, v1
	v_nop
	v_fma_f32 v5, -v1, v4, 1.0
	s_delay_alu instid0(VALU_DEP_1) | instskip(NEXT) | instid1(VALU_DEP_1)
	v_fmac_f32_e32 v4, v5, v4
	v_mul_f32_e32 v5, v6, v4
	s_delay_alu instid0(VALU_DEP_1) | instskip(NEXT) | instid1(VALU_DEP_1)
	v_fma_f32 v7, -v1, v5, v6
	v_fmac_f32_e32 v5, v7, v4
	s_delay_alu instid0(VALU_DEP_1) | instskip(NEXT) | instid1(VALU_DEP_1)
	v_fma_f32 v1, -v1, v5, v6
	v_div_fmas_f32 v1, v1, v4, v5
	s_delay_alu instid0(VALU_DEP_1) | instskip(NEXT) | instid1(VALU_DEP_1)
	v_div_fixup_f32 v1, v1, v211, v210
	v_fmac_f32_e32 v211, v210, v1
	s_delay_alu instid0(VALU_DEP_1) | instskip(SKIP_1) | instid1(VALU_DEP_2)
	v_div_scale_f32 v4, null, v211, v211, 1.0
	v_div_scale_f32 v7, vcc_lo, 1.0, v211, 1.0
	v_rcp_f32_e32 v5, v4
	v_nop
	s_delay_alu instid0(TRANS32_DEP_1) | instskip(NEXT) | instid1(VALU_DEP_1)
	v_fma_f32 v6, -v4, v5, 1.0
	v_fmac_f32_e32 v5, v6, v5
	s_delay_alu instid0(VALU_DEP_1) | instskip(NEXT) | instid1(VALU_DEP_1)
	v_mul_f32_e32 v6, v7, v5
	v_fma_f32 v8, -v4, v6, v7
	s_delay_alu instid0(VALU_DEP_1) | instskip(NEXT) | instid1(VALU_DEP_1)
	v_fmac_f32_e32 v6, v8, v5
	v_fma_f32 v4, -v4, v6, v7
	s_delay_alu instid0(VALU_DEP_1) | instskip(NEXT) | instid1(VALU_DEP_1)
	v_div_fmas_f32 v4, v4, v5, v6
	v_div_fixup_f32 v4, v4, v211, 1.0
                                        ; implicit-def: $vgpr210_vgpr211
	s_delay_alu instid0(VALU_DEP_1)
	v_mul_f32_e32 v212, v1, v4
	v_xor_b32_e32 v213, 0x80000000, v4
.LBB83_185:
	s_and_not1_saveexec_b32 s1, s1
	s_cbranch_execz .LBB83_187
; %bb.186:
	v_div_scale_f32 v1, null, v210, v210, v211
	v_div_scale_f32 v6, vcc_lo, v211, v210, v211
	s_delay_alu instid0(VALU_DEP_2) | instskip(SKIP_1) | instid1(TRANS32_DEP_1)
	v_rcp_f32_e32 v4, v1
	v_nop
	v_fma_f32 v5, -v1, v4, 1.0
	s_delay_alu instid0(VALU_DEP_1) | instskip(NEXT) | instid1(VALU_DEP_1)
	v_fmac_f32_e32 v4, v5, v4
	v_mul_f32_e32 v5, v6, v4
	s_delay_alu instid0(VALU_DEP_1) | instskip(NEXT) | instid1(VALU_DEP_1)
	v_fma_f32 v7, -v1, v5, v6
	v_fmac_f32_e32 v5, v7, v4
	s_delay_alu instid0(VALU_DEP_1) | instskip(NEXT) | instid1(VALU_DEP_1)
	v_fma_f32 v1, -v1, v5, v6
	v_div_fmas_f32 v1, v1, v4, v5
	s_delay_alu instid0(VALU_DEP_1) | instskip(NEXT) | instid1(VALU_DEP_1)
	v_div_fixup_f32 v1, v1, v210, v211
	v_fmac_f32_e32 v210, v211, v1
	s_delay_alu instid0(VALU_DEP_1) | instskip(NEXT) | instid1(VALU_DEP_1)
	v_div_scale_f32 v4, null, v210, v210, 1.0
	v_rcp_f32_e32 v5, v4
	v_nop
	s_delay_alu instid0(TRANS32_DEP_1) | instskip(NEXT) | instid1(VALU_DEP_1)
	v_fma_f32 v6, -v4, v5, 1.0
	v_fmac_f32_e32 v5, v6, v5
	v_div_scale_f32 v6, vcc_lo, 1.0, v210, 1.0
	s_delay_alu instid0(VALU_DEP_1) | instskip(NEXT) | instid1(VALU_DEP_1)
	v_mul_f32_e32 v7, v6, v5
	v_fma_f32 v8, -v4, v7, v6
	s_delay_alu instid0(VALU_DEP_1) | instskip(NEXT) | instid1(VALU_DEP_1)
	v_fmac_f32_e32 v7, v8, v5
	v_fma_f32 v4, -v4, v7, v6
	s_delay_alu instid0(VALU_DEP_1) | instskip(NEXT) | instid1(VALU_DEP_1)
	v_div_fmas_f32 v4, v4, v5, v7
	v_div_fixup_f32 v212, v4, v210, 1.0
	s_delay_alu instid0(VALU_DEP_1)
	v_mul_f32_e64 v213, v1, -v212
.LBB83_187:
	s_or_b32 exec_lo, exec_lo, s1
	ds_store_b64 v255, v[212:213]
.LBB83_188:
	s_or_b32 exec_lo, exec_lo, s2
	s_wait_dscnt 0x0
	s_barrier_signal -1
	s_barrier_wait -1
	ds_load_b64 v[210:211], v255
	s_mov_b32 s1, exec_lo
	v_cmpx_lt_u32_e32 20, v254
	s_cbranch_execz .LBB83_190
; %bb.189:
	ds_load_2addr_b64 v[212:215], v0 offset0:21 offset1:22
	ds_load_2addr_b64 v[216:219], v0 offset0:23 offset1:24
	;; [unrolled: 1-line block ×3, first 2 shown]
	s_wait_dscnt 0x3
	v_pk_mul_f32 v[224:225], v[210:211], v[138:139] op_sel:[1,1] op_sel_hi:[0,1]
	s_delay_alu instid0(VALU_DEP_1)
	v_pk_fma_f32 v[234:235], v[210:211], v[138:139], v[224:225] op_sel_hi:[1,0,1]
	v_pk_fma_f32 v[232:233], v[210:211], v[138:139], v[224:225] op_sel_hi:[1,0,1] neg_lo:[0,0,1] neg_hi:[0,0,1]
	ds_load_2addr_b64 v[224:227], v0 offset0:27 offset1:28
	ds_load_2addr_b64 v[228:231], v0 offset0:29 offset1:30
	v_dual_mov_b32 v139, v235 :: v_dual_mov_b32 v138, v232
	s_wait_dscnt 0x4
	v_pk_mul_f32 v[236:237], v[212:213], v[234:235] op_sel:[0,1]
	v_pk_mul_f32 v[238:239], v[214:215], v[234:235] op_sel:[0,1]
	s_wait_dscnt 0x3
	v_pk_mul_f32 v[240:241], v[216:217], v[234:235] op_sel:[0,1]
	s_wait_dscnt 0x2
	v_pk_mul_f32 v[248:249], v[220:221], v[234:235] op_sel:[0,1]
	v_dual_mov_b32 v242, v219 :: v_dual_mov_b32 v243, v218
	v_pk_fma_f32 v[252:253], v[212:213], v[232:233], v[236:237] op_sel:[0,0,1] op_sel_hi:[1,1,0] neg_lo:[0,0,1] neg_hi:[0,0,1]
	v_pk_fma_f32 v[212:213], v[212:213], v[232:233], v[236:237] op_sel:[0,0,1] op_sel_hi:[1,0,0]
	v_dual_mul_f32 v244, v219, v235 :: v_dual_mul_f32 v246, v219, v232
	v_pk_mul_f32 v[250:251], v[222:223], v[234:235] op_sel:[0,1]
	v_pk_fma_f32 v[236:237], v[214:215], v[232:233], v[238:239] op_sel:[0,0,1] op_sel_hi:[1,1,0] neg_lo:[0,0,1] neg_hi:[0,0,1]
	v_pk_fma_f32 v[214:215], v[214:215], v[232:233], v[238:239] op_sel:[0,0,1] op_sel_hi:[1,0,0]
	v_pk_fma_f32 v[238:239], v[216:217], v[232:233], v[240:241] op_sel:[0,0,1] op_sel_hi:[1,1,0] neg_lo:[0,0,1] neg_hi:[0,0,1]
	v_pk_fma_f32 v[216:217], v[216:217], v[232:233], v[240:241] op_sel:[0,0,1] op_sel_hi:[1,0,0]
	v_mov_b32_e32 v253, v213
	v_pk_fma_f32 v[212:213], v[220:221], v[232:233], v[248:249] op_sel:[0,0,1] op_sel_hi:[1,0,0]
	v_pk_fma_f32 v[240:241], v[242:243], v[138:139], v[246:247] op_sel_hi:[1,1,0]
	v_pk_fma_f32 v[242:243], v[220:221], v[232:233], v[248:249] op_sel:[0,0,1] op_sel_hi:[1,1,0] neg_lo:[0,0,1] neg_hi:[0,0,1]
	v_dual_mov_b32 v237, v215 :: v_dual_mov_b32 v239, v217
	v_pk_fma_f32 v[216:217], v[222:223], v[232:233], v[250:251] op_sel:[0,0,1] op_sel_hi:[1,0,0]
	v_mov_b32_e32 v243, v213
	s_wait_dscnt 0x1
	v_pk_mul_f32 v[220:221], v[224:225], v[234:235] op_sel:[0,1]
	ds_load_2addr_b64 v[212:215], v0 offset0:31 offset1:32
	v_pk_fma_f32 v[218:219], v[218:219], v[138:139], v[244:245] op_sel_hi:[1,1,0] neg_lo:[0,0,1] neg_hi:[0,0,1]
	v_pk_fma_f32 v[222:223], v[222:223], v[232:233], v[250:251] op_sel:[0,0,1] op_sel_hi:[1,1,0] neg_lo:[0,0,1] neg_hi:[0,0,1]
	v_mov_b32_e32 v219, v241
	v_pk_add_f32 v[80:81], v[80:81], v[236:237] neg_lo:[0,1] neg_hi:[0,1]
	v_mov_b32_e32 v223, v217
	v_pk_mul_f32 v[236:237], v[226:227], v[234:235] op_sel:[0,1]
	v_pk_fma_f32 v[216:217], v[224:225], v[232:233], v[220:221] op_sel:[0,0,1] op_sel_hi:[1,0,0]
	v_pk_fma_f32 v[220:221], v[224:225], v[232:233], v[220:221] op_sel:[0,0,1] op_sel_hi:[1,1,0] neg_lo:[0,0,1] neg_hi:[0,0,1]
	v_pk_add_f32 v[106:107], v[106:107], v[218:219] neg_lo:[0,1] neg_hi:[0,1]
	v_pk_add_f32 v[104:105], v[104:105], v[222:223] neg_lo:[0,1] neg_hi:[0,1]
	v_pk_fma_f32 v[222:223], v[226:227], v[232:233], v[236:237] op_sel:[0,0,1] op_sel_hi:[1,0,0]
	v_mov_b32_e32 v221, v217
	ds_load_2addr_b64 v[216:219], v0 offset0:33 offset1:34
	v_pk_fma_f32 v[224:225], v[226:227], v[232:233], v[236:237] op_sel:[0,0,1] op_sel_hi:[1,1,0] neg_lo:[0,0,1] neg_hi:[0,0,1]
	s_wait_dscnt 0x2
	v_dual_mul_f32 v222, v229, v232 :: v_dual_mul_f32 v226, v229, v235
	v_mov_b32_e32 v225, v223
	v_pk_add_f32 v[100:101], v[100:101], v[220:221] neg_lo:[0,1] neg_hi:[0,1]
	v_pk_mul_f32 v[220:221], v[230:231], v[234:235] op_sel:[0,1]
	s_delay_alu instid0(VALU_DEP_4)
	v_pk_fma_f32 v[222:223], v[228:229], v[138:139], v[222:223] op_sel:[1,0,0] op_sel_hi:[0,1,0]
	v_pk_fma_f32 v[226:227], v[228:229], v[138:139], v[226:227] op_sel_hi:[1,1,0] neg_lo:[0,0,1] neg_hi:[0,0,1]
	v_pk_add_f32 v[128:129], v[128:129], v[224:225] neg_lo:[0,1] neg_hi:[0,1]
	s_wait_dscnt 0x1
	v_pk_mul_f32 v[224:225], v[212:213], v[234:235] op_sel:[0,1]
	v_pk_fma_f32 v[236:237], v[230:231], v[232:233], v[220:221] op_sel:[0,0,1] op_sel_hi:[1,0,0]
	v_mov_b32_e32 v227, v223
	v_pk_fma_f32 v[228:229], v[230:231], v[232:233], v[220:221] op_sel:[0,0,1] op_sel_hi:[1,1,0] neg_lo:[0,0,1] neg_hi:[0,0,1]
	ds_load_2addr_b64 v[220:223], v0 offset0:35 offset1:36
	v_pk_fma_f32 v[230:231], v[212:213], v[232:233], v[224:225] op_sel:[0,0,1] op_sel_hi:[1,0,0]
	v_pk_fma_f32 v[212:213], v[212:213], v[232:233], v[224:225] op_sel:[0,0,1] op_sel_hi:[1,1,0] neg_lo:[0,0,1] neg_hi:[0,0,1]
	v_pk_mul_f32 v[224:225], v[214:215], v[234:235] op_sel:[0,1]
	v_mov_b32_e32 v229, v237
	v_pk_add_f32 v[124:125], v[124:125], v[226:227] neg_lo:[0,1] neg_hi:[0,1]
	v_pk_add_f32 v[76:77], v[76:77], v[238:239] neg_lo:[0,1] neg_hi:[0,1]
	;; [unrolled: 1-line block ×3, first 2 shown]
	v_pk_fma_f32 v[226:227], v[214:215], v[232:233], v[224:225] op_sel:[0,0,1] op_sel_hi:[1,0,0]
	v_mov_b32_e32 v213, v231
	s_wait_dscnt 0x1
	v_pk_mul_f32 v[230:231], v[216:217], v[234:235] op_sel:[0,1]
	v_pk_fma_f32 v[224:225], v[214:215], v[232:233], v[224:225] op_sel:[0,0,1] op_sel_hi:[1,1,0] neg_lo:[0,0,1] neg_hi:[0,0,1]
	v_pk_add_f32 v[126:127], v[126:127], v[228:229] neg_lo:[0,1] neg_hi:[0,1]
	v_mov_b32_e32 v225, v227
	v_pk_add_f32 v[122:123], v[122:123], v[212:213] neg_lo:[0,1] neg_hi:[0,1]
	v_pk_fma_f32 v[228:229], v[216:217], v[232:233], v[230:231] op_sel:[0,0,1] op_sel_hi:[1,0,0]
	ds_load_2addr_b64 v[212:215], v0 offset0:37 offset1:38
	v_pk_fma_f32 v[216:217], v[216:217], v[232:233], v[230:231] op_sel:[0,0,1] op_sel_hi:[1,1,0] neg_lo:[0,0,1] neg_hi:[0,0,1]
	v_dual_mov_b32 v226, v219 :: v_dual_mov_b32 v227, v218
	v_dual_mul_f32 v228, v219, v232 :: v_dual_mov_b32 v217, v229
	v_pk_add_f32 v[148:149], v[148:149], v[224:225] neg_lo:[0,1] neg_hi:[0,1]
	ds_load_b64 v[238:239], v0 offset:328
	s_wait_dscnt 0x2
	v_pk_mul_f32 v[230:231], v[220:221], v[234:235] op_sel:[0,1]
	v_pk_fma_f32 v[228:229], v[226:227], v[138:139], v[228:229] op_sel_hi:[1,1,0]
	ds_load_2addr_b64 v[224:227], v0 offset0:39 offset1:40
	v_pk_add_f32 v[144:145], v[144:145], v[216:217] neg_lo:[0,1] neg_hi:[0,1]
	v_mul_f32_e32 v216, v219, v235
	v_pk_mul_f32 v[236:237], v[222:223], v[234:235] op_sel:[0,1]
	v_pk_add_f32 v[102:103], v[102:103], v[242:243] neg_lo:[0,1] neg_hi:[0,1]
	s_delay_alu instid0(VALU_DEP_3)
	v_pk_fma_f32 v[216:217], v[218:219], v[138:139], v[216:217] op_sel_hi:[1,1,0] neg_lo:[0,0,1] neg_hi:[0,0,1]
	v_pk_fma_f32 v[218:219], v[220:221], v[232:233], v[230:231] op_sel:[0,0,1] op_sel_hi:[1,0,0]
	v_mov_b32_e32 v217, v229
	v_pk_fma_f32 v[228:229], v[222:223], v[232:233], v[236:237] op_sel:[0,0,1] op_sel_hi:[1,0,0]
	v_pk_fma_f32 v[220:221], v[220:221], v[232:233], v[230:231] op_sel:[0,0,1] op_sel_hi:[1,1,0] neg_lo:[0,0,1] neg_hi:[0,0,1]
	s_wait_dscnt 0x2
	v_pk_mul_f32 v[230:231], v[212:213], v[234:235] op_sel:[0,1]
	v_mov_b32_e32 v221, v219
	v_pk_fma_f32 v[218:219], v[222:223], v[232:233], v[236:237] op_sel:[0,0,1] op_sel_hi:[1,1,0] neg_lo:[0,0,1] neg_hi:[0,0,1]
	v_mov_b32_e32 v219, v229
	v_pk_add_f32 v[146:147], v[146:147], v[216:217] neg_lo:[0,1] neg_hi:[0,1]
	v_pk_fma_f32 v[216:217], v[212:213], v[232:233], v[230:231] op_sel:[0,0,1] op_sel_hi:[1,0,0]
	v_pk_mul_f32 v[222:223], v[214:215], v[234:235] op_sel:[0,1]
	v_pk_fma_f32 v[212:213], v[212:213], v[232:233], v[230:231] op_sel:[0,0,1] op_sel_hi:[1,1,0] neg_lo:[0,0,1] neg_hi:[0,0,1]
	v_pk_add_f32 v[164:165], v[164:165], v[218:219] neg_lo:[0,1] neg_hi:[0,1]
	s_wait_dscnt 0x0
	v_mul_f32_e32 v218, v225, v232
	v_mov_b32_e32 v213, v217
	v_pk_fma_f32 v[216:217], v[214:215], v[232:233], v[222:223] op_sel:[0,0,1] op_sel_hi:[1,1,0] neg_lo:[0,0,1] neg_hi:[0,0,1]
	v_pk_fma_f32 v[214:215], v[214:215], v[232:233], v[222:223] op_sel:[0,0,1] op_sel_hi:[1,0,0]
	v_pk_add_f32 v[142:143], v[142:143], v[220:221] neg_lo:[0,1] neg_hi:[0,1]
	v_pk_mul_f32 v[220:221], v[226:227], v[234:235] op_sel:[0,1]
	v_mul_f32_e32 v214, v225, v235
	v_pk_mul_f32 v[222:223], v[238:239], v[234:235] op_sel:[0,1]
	v_pk_fma_f32 v[218:219], v[224:225], v[138:139], v[218:219] op_sel:[1,0,0] op_sel_hi:[0,1,0]
	v_mov_b32_e32 v217, v215
	v_pk_fma_f32 v[228:229], v[226:227], v[232:233], v[220:221] op_sel:[0,0,1] op_sel_hi:[1,0,0]
	v_pk_fma_f32 v[214:215], v[224:225], v[138:139], v[214:215] op_sel_hi:[1,1,0] neg_lo:[0,0,1] neg_hi:[0,0,1]
	v_pk_fma_f32 v[224:225], v[238:239], v[232:233], v[222:223] op_sel:[0,0,1] op_sel_hi:[1,0,0]
	v_mov_b32_e32 v215, v219
	v_pk_fma_f32 v[218:219], v[226:227], v[232:233], v[220:221] op_sel:[0,0,1] op_sel_hi:[1,1,0] neg_lo:[0,0,1] neg_hi:[0,0,1]
	v_pk_fma_f32 v[220:221], v[238:239], v[232:233], v[222:223] op_sel:[0,0,1] op_sel_hi:[1,1,0] neg_lo:[0,0,1] neg_hi:[0,0,1]
	s_delay_alu instid0(VALU_DEP_4) | instskip(SKIP_3) | instid1(VALU_DEP_4)
	v_dual_mov_b32 v219, v229 :: v_dual_mov_b32 v221, v225
	v_pk_add_f32 v[160:161], v[160:161], v[212:213] neg_lo:[0,1] neg_hi:[0,1]
	v_pk_add_f32 v[162:163], v[162:163], v[216:217] neg_lo:[0,1] neg_hi:[0,1]
	;; [unrolled: 1-line block ×5, first 2 shown]
.LBB83_190:
	s_or_b32 exec_lo, exec_lo, s1
	s_delay_alu instid0(SALU_CYCLE_1)
	s_mov_b32 s2, exec_lo
	s_wait_dscnt 0x0
	s_barrier_signal -1
	s_barrier_wait -1
	v_cmpx_eq_u32_e32 21, v254
	s_cbranch_execz .LBB83_197
; %bb.191:
	v_dual_mov_b32 v212, v80 :: v_dual_mov_b32 v213, v81
	v_dual_mov_b32 v214, v76 :: v_dual_mov_b32 v215, v77
	;; [unrolled: 1-line block ×8, first 2 shown]
	ds_store_b64 v255, v[78:79]
	ds_store_2addr_b64 v0, v[212:213], v[214:215] offset0:22 offset1:23
	ds_store_2addr_b64 v0, v[216:217], v[218:219] offset0:24 offset1:25
	;; [unrolled: 1-line block ×4, first 2 shown]
	v_dual_mov_b32 v212, v126 :: v_dual_mov_b32 v213, v127
	v_dual_mov_b32 v214, v122 :: v_dual_mov_b32 v215, v123
	v_dual_mov_b32 v216, v148 :: v_dual_mov_b32 v217, v149
	v_dual_mov_b32 v218, v144 :: v_dual_mov_b32 v219, v145
	v_dual_mov_b32 v220, v146 :: v_dual_mov_b32 v221, v147
	v_dual_mov_b32 v222, v142 :: v_dual_mov_b32 v223, v143
	v_dual_mov_b32 v224, v164 :: v_dual_mov_b32 v225, v165
	v_dual_mov_b32 v226, v160 :: v_dual_mov_b32 v227, v161
	v_dual_mov_b32 v228, v162 :: v_dual_mov_b32 v229, v163
	v_dual_mov_b32 v230, v158 :: v_dual_mov_b32 v231, v159
	v_dual_mov_b32 v232, v166 :: v_dual_mov_b32 v233, v167
	ds_store_2addr_b64 v0, v[212:213], v[214:215] offset0:30 offset1:31
	ds_store_2addr_b64 v0, v[216:217], v[218:219] offset0:32 offset1:33
	;; [unrolled: 1-line block ×6, first 2 shown]
	ds_load_b64 v[212:213], v255
	s_wait_dscnt 0x0
	v_cmp_neq_f32_e32 vcc_lo, 0, v212
	v_cmp_neq_f32_e64 s1, 0, v213
	s_or_b32 s1, vcc_lo, s1
	s_delay_alu instid0(SALU_CYCLE_1)
	s_and_b32 exec_lo, exec_lo, s1
	s_cbranch_execz .LBB83_197
; %bb.192:
	v_cmp_ngt_f32_e64 s1, |v212|, |v213|
                                        ; implicit-def: $vgpr214_vgpr215
	s_and_saveexec_b32 s4, s1
	s_delay_alu instid0(SALU_CYCLE_1)
	s_xor_b32 s1, exec_lo, s4
	s_cbranch_execz .LBB83_194
; %bb.193:
	v_div_scale_f32 v1, null, v213, v213, v212
	v_div_scale_f32 v6, vcc_lo, v212, v213, v212
	s_delay_alu instid0(VALU_DEP_2) | instskip(SKIP_1) | instid1(TRANS32_DEP_1)
	v_rcp_f32_e32 v4, v1
	v_nop
	v_fma_f32 v5, -v1, v4, 1.0
	s_delay_alu instid0(VALU_DEP_1) | instskip(NEXT) | instid1(VALU_DEP_1)
	v_fmac_f32_e32 v4, v5, v4
	v_mul_f32_e32 v5, v6, v4
	s_delay_alu instid0(VALU_DEP_1) | instskip(NEXT) | instid1(VALU_DEP_1)
	v_fma_f32 v7, -v1, v5, v6
	v_fmac_f32_e32 v5, v7, v4
	s_delay_alu instid0(VALU_DEP_1) | instskip(NEXT) | instid1(VALU_DEP_1)
	v_fma_f32 v1, -v1, v5, v6
	v_div_fmas_f32 v1, v1, v4, v5
	s_delay_alu instid0(VALU_DEP_1) | instskip(NEXT) | instid1(VALU_DEP_1)
	v_div_fixup_f32 v1, v1, v213, v212
	v_fmac_f32_e32 v213, v212, v1
	s_delay_alu instid0(VALU_DEP_1) | instskip(SKIP_1) | instid1(VALU_DEP_2)
	v_div_scale_f32 v4, null, v213, v213, 1.0
	v_div_scale_f32 v7, vcc_lo, 1.0, v213, 1.0
	v_rcp_f32_e32 v5, v4
	v_nop
	s_delay_alu instid0(TRANS32_DEP_1) | instskip(NEXT) | instid1(VALU_DEP_1)
	v_fma_f32 v6, -v4, v5, 1.0
	v_fmac_f32_e32 v5, v6, v5
	s_delay_alu instid0(VALU_DEP_1) | instskip(NEXT) | instid1(VALU_DEP_1)
	v_mul_f32_e32 v6, v7, v5
	v_fma_f32 v8, -v4, v6, v7
	s_delay_alu instid0(VALU_DEP_1) | instskip(NEXT) | instid1(VALU_DEP_1)
	v_fmac_f32_e32 v6, v8, v5
	v_fma_f32 v4, -v4, v6, v7
	s_delay_alu instid0(VALU_DEP_1) | instskip(NEXT) | instid1(VALU_DEP_1)
	v_div_fmas_f32 v4, v4, v5, v6
	v_div_fixup_f32 v4, v4, v213, 1.0
                                        ; implicit-def: $vgpr212_vgpr213
	s_delay_alu instid0(VALU_DEP_1)
	v_mul_f32_e32 v214, v1, v4
	v_xor_b32_e32 v215, 0x80000000, v4
.LBB83_194:
	s_and_not1_saveexec_b32 s1, s1
	s_cbranch_execz .LBB83_196
; %bb.195:
	v_div_scale_f32 v1, null, v212, v212, v213
	v_div_scale_f32 v6, vcc_lo, v213, v212, v213
	s_delay_alu instid0(VALU_DEP_2) | instskip(SKIP_1) | instid1(TRANS32_DEP_1)
	v_rcp_f32_e32 v4, v1
	v_nop
	v_fma_f32 v5, -v1, v4, 1.0
	s_delay_alu instid0(VALU_DEP_1) | instskip(NEXT) | instid1(VALU_DEP_1)
	v_fmac_f32_e32 v4, v5, v4
	v_mul_f32_e32 v5, v6, v4
	s_delay_alu instid0(VALU_DEP_1) | instskip(NEXT) | instid1(VALU_DEP_1)
	v_fma_f32 v7, -v1, v5, v6
	v_fmac_f32_e32 v5, v7, v4
	s_delay_alu instid0(VALU_DEP_1) | instskip(NEXT) | instid1(VALU_DEP_1)
	v_fma_f32 v1, -v1, v5, v6
	v_div_fmas_f32 v1, v1, v4, v5
	s_delay_alu instid0(VALU_DEP_1) | instskip(NEXT) | instid1(VALU_DEP_1)
	v_div_fixup_f32 v1, v1, v212, v213
	v_fmac_f32_e32 v212, v213, v1
	s_delay_alu instid0(VALU_DEP_1) | instskip(NEXT) | instid1(VALU_DEP_1)
	v_div_scale_f32 v4, null, v212, v212, 1.0
	v_rcp_f32_e32 v5, v4
	v_nop
	s_delay_alu instid0(TRANS32_DEP_1) | instskip(NEXT) | instid1(VALU_DEP_1)
	v_fma_f32 v6, -v4, v5, 1.0
	v_fmac_f32_e32 v5, v6, v5
	v_div_scale_f32 v6, vcc_lo, 1.0, v212, 1.0
	s_delay_alu instid0(VALU_DEP_1) | instskip(NEXT) | instid1(VALU_DEP_1)
	v_mul_f32_e32 v7, v6, v5
	v_fma_f32 v8, -v4, v7, v6
	s_delay_alu instid0(VALU_DEP_1) | instskip(NEXT) | instid1(VALU_DEP_1)
	v_fmac_f32_e32 v7, v8, v5
	v_fma_f32 v4, -v4, v7, v6
	s_delay_alu instid0(VALU_DEP_1) | instskip(NEXT) | instid1(VALU_DEP_1)
	v_div_fmas_f32 v4, v4, v5, v7
	v_div_fixup_f32 v214, v4, v212, 1.0
	s_delay_alu instid0(VALU_DEP_1)
	v_mul_f32_e64 v215, v1, -v214
.LBB83_196:
	s_or_b32 exec_lo, exec_lo, s1
	ds_store_b64 v255, v[214:215]
.LBB83_197:
	s_or_b32 exec_lo, exec_lo, s2
	s_wait_dscnt 0x0
	s_barrier_signal -1
	s_barrier_wait -1
	ds_load_b64 v[212:213], v255
	s_mov_b32 s1, exec_lo
	v_cmpx_lt_u32_e32 21, v254
	s_cbranch_execz .LBB83_199
; %bb.198:
	ds_load_2addr_b64 v[218:221], v0 offset0:22 offset1:23
	s_wait_dscnt 0x1
	v_pk_mul_f32 v[216:217], v[212:213], v[78:79] op_sel:[1,1] op_sel_hi:[0,1]
	s_delay_alu instid0(VALU_DEP_1) | instskip(SKIP_1) | instid1(VALU_DEP_1)
	v_pk_fma_f32 v[214:215], v[212:213], v[78:79], v[216:217] op_sel_hi:[1,0,1] neg_lo:[0,0,1] neg_hi:[0,0,1]
	v_pk_fma_f32 v[216:217], v[212:213], v[78:79], v[216:217] op_sel_hi:[1,0,1]
	v_dual_mov_b32 v78, v214 :: v_dual_mov_b32 v79, v217
	s_wait_dscnt 0x0
	s_delay_alu instid0(VALU_DEP_2) | instskip(NEXT) | instid1(VALU_DEP_1)
	v_pk_mul_f32 v[222:223], v[218:219], v[216:217] op_sel:[0,1]
	v_pk_fma_f32 v[224:225], v[218:219], v[214:215], v[222:223] op_sel:[0,0,1] op_sel_hi:[1,1,0] neg_lo:[0,0,1] neg_hi:[0,0,1]
	v_pk_fma_f32 v[218:219], v[218:219], v[214:215], v[222:223] op_sel:[0,0,1] op_sel_hi:[1,0,0]
	s_delay_alu instid0(VALU_DEP_1) | instskip(SKIP_1) | instid1(VALU_DEP_1)
	v_mov_b32_e32 v225, v219
	v_pk_mul_f32 v[218:219], v[220:221], v[216:217] op_sel:[0,1]
	v_pk_fma_f32 v[222:223], v[220:221], v[214:215], v[218:219] op_sel:[0,0,1] op_sel_hi:[1,1,0] neg_lo:[0,0,1] neg_hi:[0,0,1]
	v_pk_fma_f32 v[218:219], v[220:221], v[214:215], v[218:219] op_sel:[0,0,1] op_sel_hi:[1,0,0]
	s_delay_alu instid0(VALU_DEP_1)
	v_mov_b32_e32 v223, v219
	ds_load_2addr_b64 v[218:221], v0 offset0:24 offset1:25
	v_pk_add_f32 v[80:81], v[80:81], v[224:225] neg_lo:[0,1] neg_hi:[0,1]
	v_pk_add_f32 v[76:77], v[76:77], v[222:223] neg_lo:[0,1] neg_hi:[0,1]
	s_wait_dscnt 0x0
	v_pk_mul_f32 v[222:223], v[218:219], v[216:217] op_sel:[0,1]
	s_delay_alu instid0(VALU_DEP_1) | instskip(SKIP_2) | instid1(VALU_DEP_2)
	v_pk_fma_f32 v[224:225], v[218:219], v[214:215], v[222:223] op_sel:[0,0,1] op_sel_hi:[1,1,0] neg_lo:[0,0,1] neg_hi:[0,0,1]
	v_pk_fma_f32 v[218:219], v[218:219], v[214:215], v[222:223] op_sel:[0,0,1] op_sel_hi:[1,0,0]
	v_dual_mul_f32 v222, v221, v217 :: v_dual_mov_b32 v218, v221
	v_dual_mov_b32 v225, v219 :: v_dual_mov_b32 v219, v220
	s_delay_alu instid0(VALU_DEP_2) | instskip(SKIP_1) | instid1(VALU_DEP_3)
	v_pk_fma_f32 v[222:223], v[220:221], v[78:79], v[222:223] op_sel_hi:[1,1,0] neg_lo:[0,0,1] neg_hi:[0,0,1]
	v_mul_f32_e32 v220, v221, v214
	v_pk_add_f32 v[106:107], v[106:107], v[224:225] neg_lo:[0,1] neg_hi:[0,1]
	s_delay_alu instid0(VALU_DEP_2) | instskip(NEXT) | instid1(VALU_DEP_1)
	v_pk_fma_f32 v[218:219], v[218:219], v[78:79], v[220:221] op_sel_hi:[1,1,0]
	v_mov_b32_e32 v223, v219
	ds_load_2addr_b64 v[218:221], v0 offset0:26 offset1:27
	v_pk_add_f32 v[102:103], v[102:103], v[222:223] neg_lo:[0,1] neg_hi:[0,1]
	s_wait_dscnt 0x0
	v_pk_mul_f32 v[222:223], v[218:219], v[216:217] op_sel:[0,1]
	s_delay_alu instid0(VALU_DEP_1) | instskip(SKIP_1) | instid1(VALU_DEP_1)
	v_pk_fma_f32 v[224:225], v[218:219], v[214:215], v[222:223] op_sel:[0,0,1] op_sel_hi:[1,1,0] neg_lo:[0,0,1] neg_hi:[0,0,1]
	v_pk_fma_f32 v[218:219], v[218:219], v[214:215], v[222:223] op_sel:[0,0,1] op_sel_hi:[1,0,0]
	v_mov_b32_e32 v225, v219
	v_pk_mul_f32 v[218:219], v[220:221], v[216:217] op_sel:[0,1]
	s_delay_alu instid0(VALU_DEP_1) | instskip(SKIP_1) | instid1(VALU_DEP_1)
	v_pk_fma_f32 v[222:223], v[220:221], v[214:215], v[218:219] op_sel:[0,0,1] op_sel_hi:[1,1,0] neg_lo:[0,0,1] neg_hi:[0,0,1]
	v_pk_fma_f32 v[218:219], v[220:221], v[214:215], v[218:219] op_sel:[0,0,1] op_sel_hi:[1,0,0]
	v_mov_b32_e32 v223, v219
	ds_load_2addr_b64 v[218:221], v0 offset0:28 offset1:29
	v_pk_add_f32 v[104:105], v[104:105], v[224:225] neg_lo:[0,1] neg_hi:[0,1]
	v_pk_add_f32 v[100:101], v[100:101], v[222:223] neg_lo:[0,1] neg_hi:[0,1]
	s_wait_dscnt 0x0
	v_pk_mul_f32 v[222:223], v[218:219], v[216:217] op_sel:[0,1]
	s_delay_alu instid0(VALU_DEP_1) | instskip(SKIP_1) | instid1(VALU_DEP_1)
	v_pk_fma_f32 v[224:225], v[218:219], v[214:215], v[222:223] op_sel:[0,0,1] op_sel_hi:[1,1,0] neg_lo:[0,0,1] neg_hi:[0,0,1]
	v_pk_fma_f32 v[218:219], v[218:219], v[214:215], v[222:223] op_sel:[0,0,1] op_sel_hi:[1,0,0]
	v_mov_b32_e32 v225, v219
	v_pk_mul_f32 v[218:219], v[220:221], v[216:217] op_sel:[0,1]
	s_delay_alu instid0(VALU_DEP_1) | instskip(SKIP_1) | instid1(VALU_DEP_1)
	v_pk_fma_f32 v[222:223], v[220:221], v[214:215], v[218:219] op_sel:[0,0,1] op_sel_hi:[1,1,0] neg_lo:[0,0,1] neg_hi:[0,0,1]
	v_pk_fma_f32 v[218:219], v[220:221], v[214:215], v[218:219] op_sel:[0,0,1] op_sel_hi:[1,0,0]
	v_mov_b32_e32 v223, v219
	ds_load_2addr_b64 v[218:221], v0 offset0:30 offset1:31
	v_pk_add_f32 v[128:129], v[128:129], v[224:225] neg_lo:[0,1] neg_hi:[0,1]
	v_pk_add_f32 v[124:125], v[124:125], v[222:223] neg_lo:[0,1] neg_hi:[0,1]
	s_wait_dscnt 0x0
	v_dual_mul_f32 v222, v219, v217 :: v_dual_mul_f32 v224, v219, v214
	s_delay_alu instid0(VALU_DEP_1) | instskip(NEXT) | instid1(VALU_DEP_2)
	v_pk_fma_f32 v[222:223], v[218:219], v[78:79], v[222:223] op_sel_hi:[1,1,0] neg_lo:[0,0,1] neg_hi:[0,0,1]
	v_pk_fma_f32 v[218:219], v[218:219], v[78:79], v[224:225] op_sel:[1,0,0] op_sel_hi:[0,1,0]
	s_delay_alu instid0(VALU_DEP_1) | instskip(SKIP_1) | instid1(VALU_DEP_2)
	v_mov_b32_e32 v223, v219
	v_pk_mul_f32 v[218:219], v[220:221], v[216:217] op_sel:[0,1]
	v_pk_add_f32 v[126:127], v[126:127], v[222:223] neg_lo:[0,1] neg_hi:[0,1]
	s_delay_alu instid0(VALU_DEP_2) | instskip(SKIP_1) | instid1(VALU_DEP_1)
	v_pk_fma_f32 v[222:223], v[220:221], v[214:215], v[218:219] op_sel:[0,0,1] op_sel_hi:[1,1,0] neg_lo:[0,0,1] neg_hi:[0,0,1]
	v_pk_fma_f32 v[218:219], v[220:221], v[214:215], v[218:219] op_sel:[0,0,1] op_sel_hi:[1,0,0]
	v_mov_b32_e32 v223, v219
	ds_load_2addr_b64 v[218:221], v0 offset0:32 offset1:33
	v_pk_add_f32 v[122:123], v[122:123], v[222:223] neg_lo:[0,1] neg_hi:[0,1]
	s_wait_dscnt 0x0
	v_pk_mul_f32 v[222:223], v[218:219], v[216:217] op_sel:[0,1]
	s_delay_alu instid0(VALU_DEP_1) | instskip(SKIP_1) | instid1(VALU_DEP_1)
	v_pk_fma_f32 v[224:225], v[218:219], v[214:215], v[222:223] op_sel:[0,0,1] op_sel_hi:[1,1,0] neg_lo:[0,0,1] neg_hi:[0,0,1]
	v_pk_fma_f32 v[218:219], v[218:219], v[214:215], v[222:223] op_sel:[0,0,1] op_sel_hi:[1,0,0]
	v_mov_b32_e32 v225, v219
	v_pk_mul_f32 v[218:219], v[220:221], v[216:217] op_sel:[0,1]
	s_delay_alu instid0(VALU_DEP_2) | instskip(NEXT) | instid1(VALU_DEP_2)
	v_pk_add_f32 v[148:149], v[148:149], v[224:225] neg_lo:[0,1] neg_hi:[0,1]
	v_pk_fma_f32 v[222:223], v[220:221], v[214:215], v[218:219] op_sel:[0,0,1] op_sel_hi:[1,1,0] neg_lo:[0,0,1] neg_hi:[0,0,1]
	v_pk_fma_f32 v[218:219], v[220:221], v[214:215], v[218:219] op_sel:[0,0,1] op_sel_hi:[1,0,0]
	s_delay_alu instid0(VALU_DEP_1) | instskip(SKIP_4) | instid1(VALU_DEP_1)
	v_mov_b32_e32 v223, v219
	ds_load_2addr_b64 v[218:221], v0 offset0:34 offset1:35
	v_pk_add_f32 v[144:145], v[144:145], v[222:223] neg_lo:[0,1] neg_hi:[0,1]
	s_wait_dscnt 0x0
	v_pk_mul_f32 v[222:223], v[218:219], v[216:217] op_sel:[0,1]
	v_pk_fma_f32 v[224:225], v[218:219], v[214:215], v[222:223] op_sel:[0,0,1] op_sel_hi:[1,1,0] neg_lo:[0,0,1] neg_hi:[0,0,1]
	v_pk_fma_f32 v[218:219], v[218:219], v[214:215], v[222:223] op_sel:[0,0,1] op_sel_hi:[1,0,0]
	v_dual_mul_f32 v222, v221, v217 :: v_dual_mov_b32 v218, v221
	s_delay_alu instid0(VALU_DEP_2) | instskip(NEXT) | instid1(VALU_DEP_2)
	v_dual_mov_b32 v225, v219 :: v_dual_mov_b32 v219, v220
	v_pk_fma_f32 v[222:223], v[220:221], v[78:79], v[222:223] op_sel_hi:[1,1,0] neg_lo:[0,0,1] neg_hi:[0,0,1]
	v_mul_f32_e32 v220, v221, v214
	s_delay_alu instid0(VALU_DEP_3) | instskip(NEXT) | instid1(VALU_DEP_2)
	v_pk_add_f32 v[146:147], v[146:147], v[224:225] neg_lo:[0,1] neg_hi:[0,1]
	v_pk_fma_f32 v[218:219], v[218:219], v[78:79], v[220:221] op_sel_hi:[1,1,0]
	s_delay_alu instid0(VALU_DEP_1) | instskip(SKIP_4) | instid1(VALU_DEP_1)
	v_mov_b32_e32 v223, v219
	ds_load_2addr_b64 v[218:221], v0 offset0:36 offset1:37
	v_pk_add_f32 v[142:143], v[142:143], v[222:223] neg_lo:[0,1] neg_hi:[0,1]
	s_wait_dscnt 0x0
	v_pk_mul_f32 v[222:223], v[218:219], v[216:217] op_sel:[0,1]
	v_pk_fma_f32 v[224:225], v[218:219], v[214:215], v[222:223] op_sel:[0,0,1] op_sel_hi:[1,1,0] neg_lo:[0,0,1] neg_hi:[0,0,1]
	v_pk_fma_f32 v[218:219], v[218:219], v[214:215], v[222:223] op_sel:[0,0,1] op_sel_hi:[1,0,0]
	s_delay_alu instid0(VALU_DEP_1) | instskip(SKIP_1) | instid1(VALU_DEP_1)
	v_mov_b32_e32 v225, v219
	v_pk_mul_f32 v[218:219], v[220:221], v[216:217] op_sel:[0,1]
	v_pk_fma_f32 v[222:223], v[220:221], v[214:215], v[218:219] op_sel:[0,0,1] op_sel_hi:[1,1,0] neg_lo:[0,0,1] neg_hi:[0,0,1]
	v_pk_fma_f32 v[218:219], v[220:221], v[214:215], v[218:219] op_sel:[0,0,1] op_sel_hi:[1,0,0]
	s_delay_alu instid0(VALU_DEP_1)
	v_mov_b32_e32 v223, v219
	ds_load_2addr_b64 v[218:221], v0 offset0:38 offset1:39
	v_pk_add_f32 v[164:165], v[164:165], v[224:225] neg_lo:[0,1] neg_hi:[0,1]
	v_pk_add_f32 v[160:161], v[160:161], v[222:223] neg_lo:[0,1] neg_hi:[0,1]
	s_wait_dscnt 0x0
	v_pk_mul_f32 v[222:223], v[218:219], v[216:217] op_sel:[0,1]
	s_delay_alu instid0(VALU_DEP_1) | instskip(SKIP_1) | instid1(VALU_DEP_1)
	v_pk_fma_f32 v[224:225], v[218:219], v[214:215], v[222:223] op_sel:[0,0,1] op_sel_hi:[1,1,0] neg_lo:[0,0,1] neg_hi:[0,0,1]
	v_pk_fma_f32 v[218:219], v[218:219], v[214:215], v[222:223] op_sel:[0,0,1] op_sel_hi:[1,0,0]
	v_mov_b32_e32 v225, v219
	v_pk_mul_f32 v[218:219], v[220:221], v[216:217] op_sel:[0,1]
	s_delay_alu instid0(VALU_DEP_1) | instskip(SKIP_1) | instid1(VALU_DEP_1)
	v_pk_fma_f32 v[222:223], v[220:221], v[214:215], v[218:219] op_sel:[0,0,1] op_sel_hi:[1,1,0] neg_lo:[0,0,1] neg_hi:[0,0,1]
	v_pk_fma_f32 v[218:219], v[220:221], v[214:215], v[218:219] op_sel:[0,0,1] op_sel_hi:[1,0,0]
	v_mov_b32_e32 v223, v219
	ds_load_2addr_b64 v[218:221], v0 offset0:40 offset1:41
	v_pk_add_f32 v[162:163], v[162:163], v[224:225] neg_lo:[0,1] neg_hi:[0,1]
	v_pk_add_f32 v[158:159], v[158:159], v[222:223] neg_lo:[0,1] neg_hi:[0,1]
	s_wait_dscnt 0x0
	v_dual_mul_f32 v222, v219, v217 :: v_dual_mul_f32 v224, v219, v214
	v_pk_mul_f32 v[216:217], v[220:221], v[216:217] op_sel:[0,1]
	s_delay_alu instid0(VALU_DEP_2) | instskip(NEXT) | instid1(VALU_DEP_3)
	v_pk_fma_f32 v[222:223], v[218:219], v[78:79], v[222:223] op_sel_hi:[1,1,0] neg_lo:[0,0,1] neg_hi:[0,0,1]
	v_pk_fma_f32 v[218:219], v[218:219], v[78:79], v[224:225] op_sel:[1,0,0] op_sel_hi:[0,1,0]
	s_delay_alu instid0(VALU_DEP_1) | instskip(NEXT) | instid1(VALU_DEP_4)
	v_mov_b32_e32 v223, v219
	v_pk_fma_f32 v[218:219], v[220:221], v[214:215], v[216:217] op_sel:[0,0,1] op_sel_hi:[1,1,0] neg_lo:[0,0,1] neg_hi:[0,0,1]
	v_pk_fma_f32 v[214:215], v[220:221], v[214:215], v[216:217] op_sel:[0,0,1] op_sel_hi:[1,0,0]
	s_delay_alu instid0(VALU_DEP_1) | instskip(NEXT) | instid1(VALU_DEP_4)
	v_mov_b32_e32 v219, v215
	v_pk_add_f32 v[166:167], v[166:167], v[222:223] neg_lo:[0,1] neg_hi:[0,1]
	s_delay_alu instid0(VALU_DEP_2)
	v_pk_add_f32 v[168:169], v[168:169], v[218:219] neg_lo:[0,1] neg_hi:[0,1]
.LBB83_199:
	s_or_b32 exec_lo, exec_lo, s1
	s_delay_alu instid0(SALU_CYCLE_1)
	s_mov_b32 s2, exec_lo
	s_wait_dscnt 0x0
	s_barrier_signal -1
	s_barrier_wait -1
	v_cmpx_eq_u32_e32 22, v254
	s_cbranch_execz .LBB83_206
; %bb.200:
	ds_store_b64 v255, v[80:81]
	ds_store_2addr_b64 v0, v[76:77], v[106:107] offset0:23 offset1:24
	ds_store_2addr_b64 v0, v[102:103], v[104:105] offset0:25 offset1:26
	;; [unrolled: 1-line block ×9, first 2 shown]
	ds_store_b64 v0, v[168:169] offset:328
	ds_load_b64 v[214:215], v255
	s_wait_dscnt 0x0
	v_cmp_neq_f32_e32 vcc_lo, 0, v214
	v_cmp_neq_f32_e64 s1, 0, v215
	s_or_b32 s1, vcc_lo, s1
	s_delay_alu instid0(SALU_CYCLE_1)
	s_and_b32 exec_lo, exec_lo, s1
	s_cbranch_execz .LBB83_206
; %bb.201:
	v_cmp_ngt_f32_e64 s1, |v214|, |v215|
                                        ; implicit-def: $vgpr216_vgpr217
	s_and_saveexec_b32 s4, s1
	s_delay_alu instid0(SALU_CYCLE_1)
	s_xor_b32 s1, exec_lo, s4
	s_cbranch_execz .LBB83_203
; %bb.202:
	v_div_scale_f32 v1, null, v215, v215, v214
	v_div_scale_f32 v6, vcc_lo, v214, v215, v214
	s_delay_alu instid0(VALU_DEP_2) | instskip(SKIP_1) | instid1(TRANS32_DEP_1)
	v_rcp_f32_e32 v4, v1
	v_nop
	v_fma_f32 v5, -v1, v4, 1.0
	s_delay_alu instid0(VALU_DEP_1) | instskip(NEXT) | instid1(VALU_DEP_1)
	v_fmac_f32_e32 v4, v5, v4
	v_mul_f32_e32 v5, v6, v4
	s_delay_alu instid0(VALU_DEP_1) | instskip(NEXT) | instid1(VALU_DEP_1)
	v_fma_f32 v7, -v1, v5, v6
	v_fmac_f32_e32 v5, v7, v4
	s_delay_alu instid0(VALU_DEP_1) | instskip(NEXT) | instid1(VALU_DEP_1)
	v_fma_f32 v1, -v1, v5, v6
	v_div_fmas_f32 v1, v1, v4, v5
	s_delay_alu instid0(VALU_DEP_1) | instskip(NEXT) | instid1(VALU_DEP_1)
	v_div_fixup_f32 v1, v1, v215, v214
	v_fmac_f32_e32 v215, v214, v1
	s_delay_alu instid0(VALU_DEP_1) | instskip(SKIP_1) | instid1(VALU_DEP_2)
	v_div_scale_f32 v4, null, v215, v215, 1.0
	v_div_scale_f32 v7, vcc_lo, 1.0, v215, 1.0
	v_rcp_f32_e32 v5, v4
	v_nop
	s_delay_alu instid0(TRANS32_DEP_1) | instskip(NEXT) | instid1(VALU_DEP_1)
	v_fma_f32 v6, -v4, v5, 1.0
	v_fmac_f32_e32 v5, v6, v5
	s_delay_alu instid0(VALU_DEP_1) | instskip(NEXT) | instid1(VALU_DEP_1)
	v_mul_f32_e32 v6, v7, v5
	v_fma_f32 v8, -v4, v6, v7
	s_delay_alu instid0(VALU_DEP_1) | instskip(NEXT) | instid1(VALU_DEP_1)
	v_fmac_f32_e32 v6, v8, v5
	v_fma_f32 v4, -v4, v6, v7
	s_delay_alu instid0(VALU_DEP_1) | instskip(NEXT) | instid1(VALU_DEP_1)
	v_div_fmas_f32 v4, v4, v5, v6
	v_div_fixup_f32 v4, v4, v215, 1.0
                                        ; implicit-def: $vgpr214_vgpr215
	s_delay_alu instid0(VALU_DEP_1)
	v_mul_f32_e32 v216, v1, v4
	v_xor_b32_e32 v217, 0x80000000, v4
.LBB83_203:
	s_and_not1_saveexec_b32 s1, s1
	s_cbranch_execz .LBB83_205
; %bb.204:
	v_div_scale_f32 v1, null, v214, v214, v215
	v_div_scale_f32 v6, vcc_lo, v215, v214, v215
	s_delay_alu instid0(VALU_DEP_2) | instskip(SKIP_1) | instid1(TRANS32_DEP_1)
	v_rcp_f32_e32 v4, v1
	v_nop
	v_fma_f32 v5, -v1, v4, 1.0
	s_delay_alu instid0(VALU_DEP_1) | instskip(NEXT) | instid1(VALU_DEP_1)
	v_fmac_f32_e32 v4, v5, v4
	v_mul_f32_e32 v5, v6, v4
	s_delay_alu instid0(VALU_DEP_1) | instskip(NEXT) | instid1(VALU_DEP_1)
	v_fma_f32 v7, -v1, v5, v6
	v_fmac_f32_e32 v5, v7, v4
	s_delay_alu instid0(VALU_DEP_1) | instskip(NEXT) | instid1(VALU_DEP_1)
	v_fma_f32 v1, -v1, v5, v6
	v_div_fmas_f32 v1, v1, v4, v5
	s_delay_alu instid0(VALU_DEP_1) | instskip(NEXT) | instid1(VALU_DEP_1)
	v_div_fixup_f32 v1, v1, v214, v215
	v_fmac_f32_e32 v214, v215, v1
	s_delay_alu instid0(VALU_DEP_1) | instskip(NEXT) | instid1(VALU_DEP_1)
	v_div_scale_f32 v4, null, v214, v214, 1.0
	v_rcp_f32_e32 v5, v4
	v_nop
	s_delay_alu instid0(TRANS32_DEP_1) | instskip(NEXT) | instid1(VALU_DEP_1)
	v_fma_f32 v6, -v4, v5, 1.0
	v_fmac_f32_e32 v5, v6, v5
	v_div_scale_f32 v6, vcc_lo, 1.0, v214, 1.0
	s_delay_alu instid0(VALU_DEP_1) | instskip(NEXT) | instid1(VALU_DEP_1)
	v_mul_f32_e32 v7, v6, v5
	v_fma_f32 v8, -v4, v7, v6
	s_delay_alu instid0(VALU_DEP_1) | instskip(NEXT) | instid1(VALU_DEP_1)
	v_fmac_f32_e32 v7, v8, v5
	v_fma_f32 v4, -v4, v7, v6
	s_delay_alu instid0(VALU_DEP_1) | instskip(NEXT) | instid1(VALU_DEP_1)
	v_div_fmas_f32 v4, v4, v5, v7
	v_div_fixup_f32 v216, v4, v214, 1.0
	s_delay_alu instid0(VALU_DEP_1)
	v_mul_f32_e64 v217, v1, -v216
.LBB83_205:
	s_or_b32 exec_lo, exec_lo, s1
	ds_store_b64 v255, v[216:217]
.LBB83_206:
	s_or_b32 exec_lo, exec_lo, s2
	s_wait_dscnt 0x0
	s_barrier_signal -1
	s_barrier_wait -1
	ds_load_b64 v[214:215], v255
	s_mov_b32 s1, exec_lo
	v_cmpx_lt_u32_e32 22, v254
	s_cbranch_execz .LBB83_208
; %bb.207:
	ds_load_2addr_b64 v[220:223], v0 offset0:23 offset1:24
	s_wait_dscnt 0x1
	v_pk_mul_f32 v[218:219], v[214:215], v[80:81] op_sel:[1,1] op_sel_hi:[0,1]
	s_delay_alu instid0(VALU_DEP_1) | instskip(SKIP_1) | instid1(VALU_DEP_1)
	v_pk_fma_f32 v[216:217], v[214:215], v[80:81], v[218:219] op_sel_hi:[1,0,1] neg_lo:[0,0,1] neg_hi:[0,0,1]
	v_pk_fma_f32 v[218:219], v[214:215], v[80:81], v[218:219] op_sel_hi:[1,0,1]
	v_dual_mov_b32 v80, v216 :: v_dual_mov_b32 v81, v219
	s_wait_dscnt 0x0
	s_delay_alu instid0(VALU_DEP_2) | instskip(NEXT) | instid1(VALU_DEP_1)
	v_pk_mul_f32 v[224:225], v[220:221], v[218:219] op_sel:[0,1]
	v_pk_fma_f32 v[226:227], v[220:221], v[216:217], v[224:225] op_sel:[0,0,1] op_sel_hi:[1,1,0] neg_lo:[0,0,1] neg_hi:[0,0,1]
	v_pk_fma_f32 v[220:221], v[220:221], v[216:217], v[224:225] op_sel:[0,0,1] op_sel_hi:[1,0,0]
	s_delay_alu instid0(VALU_DEP_1) | instskip(SKIP_1) | instid1(VALU_DEP_1)
	v_mov_b32_e32 v227, v221
	v_pk_mul_f32 v[220:221], v[222:223], v[218:219] op_sel:[0,1]
	v_pk_fma_f32 v[224:225], v[222:223], v[216:217], v[220:221] op_sel:[0,0,1] op_sel_hi:[1,1,0] neg_lo:[0,0,1] neg_hi:[0,0,1]
	v_pk_fma_f32 v[220:221], v[222:223], v[216:217], v[220:221] op_sel:[0,0,1] op_sel_hi:[1,0,0]
	s_delay_alu instid0(VALU_DEP_1)
	v_mov_b32_e32 v225, v221
	ds_load_2addr_b64 v[220:223], v0 offset0:25 offset1:26
	v_pk_add_f32 v[76:77], v[76:77], v[226:227] neg_lo:[0,1] neg_hi:[0,1]
	v_pk_add_f32 v[106:107], v[106:107], v[224:225] neg_lo:[0,1] neg_hi:[0,1]
	s_wait_dscnt 0x0
	v_pk_mul_f32 v[224:225], v[220:221], v[218:219] op_sel:[0,1]
	s_delay_alu instid0(VALU_DEP_1) | instskip(SKIP_2) | instid1(VALU_DEP_2)
	v_pk_fma_f32 v[226:227], v[220:221], v[216:217], v[224:225] op_sel:[0,0,1] op_sel_hi:[1,1,0] neg_lo:[0,0,1] neg_hi:[0,0,1]
	v_pk_fma_f32 v[220:221], v[220:221], v[216:217], v[224:225] op_sel:[0,0,1] op_sel_hi:[1,0,0]
	v_dual_mul_f32 v224, v223, v219 :: v_dual_mov_b32 v220, v223
	v_dual_mov_b32 v227, v221 :: v_dual_mov_b32 v221, v222
	s_delay_alu instid0(VALU_DEP_2) | instskip(SKIP_1) | instid1(VALU_DEP_3)
	v_pk_fma_f32 v[224:225], v[222:223], v[80:81], v[224:225] op_sel_hi:[1,1,0] neg_lo:[0,0,1] neg_hi:[0,0,1]
	v_mul_f32_e32 v222, v223, v216
	v_pk_add_f32 v[102:103], v[102:103], v[226:227] neg_lo:[0,1] neg_hi:[0,1]
	s_delay_alu instid0(VALU_DEP_2) | instskip(NEXT) | instid1(VALU_DEP_1)
	v_pk_fma_f32 v[220:221], v[220:221], v[80:81], v[222:223] op_sel_hi:[1,1,0]
	v_mov_b32_e32 v225, v221
	ds_load_2addr_b64 v[220:223], v0 offset0:27 offset1:28
	v_pk_add_f32 v[104:105], v[104:105], v[224:225] neg_lo:[0,1] neg_hi:[0,1]
	s_wait_dscnt 0x0
	v_pk_mul_f32 v[224:225], v[220:221], v[218:219] op_sel:[0,1]
	s_delay_alu instid0(VALU_DEP_1) | instskip(SKIP_1) | instid1(VALU_DEP_1)
	v_pk_fma_f32 v[226:227], v[220:221], v[216:217], v[224:225] op_sel:[0,0,1] op_sel_hi:[1,1,0] neg_lo:[0,0,1] neg_hi:[0,0,1]
	v_pk_fma_f32 v[220:221], v[220:221], v[216:217], v[224:225] op_sel:[0,0,1] op_sel_hi:[1,0,0]
	v_mov_b32_e32 v227, v221
	v_pk_mul_f32 v[220:221], v[222:223], v[218:219] op_sel:[0,1]
	s_delay_alu instid0(VALU_DEP_1) | instskip(SKIP_1) | instid1(VALU_DEP_1)
	v_pk_fma_f32 v[224:225], v[222:223], v[216:217], v[220:221] op_sel:[0,0,1] op_sel_hi:[1,1,0] neg_lo:[0,0,1] neg_hi:[0,0,1]
	v_pk_fma_f32 v[220:221], v[222:223], v[216:217], v[220:221] op_sel:[0,0,1] op_sel_hi:[1,0,0]
	v_mov_b32_e32 v225, v221
	ds_load_2addr_b64 v[220:223], v0 offset0:29 offset1:30
	v_pk_add_f32 v[100:101], v[100:101], v[226:227] neg_lo:[0,1] neg_hi:[0,1]
	v_pk_add_f32 v[128:129], v[128:129], v[224:225] neg_lo:[0,1] neg_hi:[0,1]
	s_wait_dscnt 0x0
	v_pk_mul_f32 v[224:225], v[220:221], v[218:219] op_sel:[0,1]
	s_delay_alu instid0(VALU_DEP_1) | instskip(SKIP_1) | instid1(VALU_DEP_1)
	v_pk_fma_f32 v[226:227], v[220:221], v[216:217], v[224:225] op_sel:[0,0,1] op_sel_hi:[1,1,0] neg_lo:[0,0,1] neg_hi:[0,0,1]
	v_pk_fma_f32 v[220:221], v[220:221], v[216:217], v[224:225] op_sel:[0,0,1] op_sel_hi:[1,0,0]
	v_mov_b32_e32 v227, v221
	v_pk_mul_f32 v[220:221], v[222:223], v[218:219] op_sel:[0,1]
	s_delay_alu instid0(VALU_DEP_1) | instskip(SKIP_1) | instid1(VALU_DEP_1)
	v_pk_fma_f32 v[224:225], v[222:223], v[216:217], v[220:221] op_sel:[0,0,1] op_sel_hi:[1,1,0] neg_lo:[0,0,1] neg_hi:[0,0,1]
	v_pk_fma_f32 v[220:221], v[222:223], v[216:217], v[220:221] op_sel:[0,0,1] op_sel_hi:[1,0,0]
	v_mov_b32_e32 v225, v221
	ds_load_2addr_b64 v[220:223], v0 offset0:31 offset1:32
	v_pk_add_f32 v[124:125], v[124:125], v[226:227] neg_lo:[0,1] neg_hi:[0,1]
	v_pk_add_f32 v[126:127], v[126:127], v[224:225] neg_lo:[0,1] neg_hi:[0,1]
	s_wait_dscnt 0x0
	v_dual_mul_f32 v224, v221, v219 :: v_dual_mul_f32 v226, v221, v216
	s_delay_alu instid0(VALU_DEP_1) | instskip(NEXT) | instid1(VALU_DEP_2)
	v_pk_fma_f32 v[224:225], v[220:221], v[80:81], v[224:225] op_sel_hi:[1,1,0] neg_lo:[0,0,1] neg_hi:[0,0,1]
	v_pk_fma_f32 v[220:221], v[220:221], v[80:81], v[226:227] op_sel:[1,0,0] op_sel_hi:[0,1,0]
	s_delay_alu instid0(VALU_DEP_1) | instskip(SKIP_1) | instid1(VALU_DEP_2)
	v_mov_b32_e32 v225, v221
	v_pk_mul_f32 v[220:221], v[222:223], v[218:219] op_sel:[0,1]
	v_pk_add_f32 v[122:123], v[122:123], v[224:225] neg_lo:[0,1] neg_hi:[0,1]
	s_delay_alu instid0(VALU_DEP_2) | instskip(SKIP_1) | instid1(VALU_DEP_1)
	v_pk_fma_f32 v[224:225], v[222:223], v[216:217], v[220:221] op_sel:[0,0,1] op_sel_hi:[1,1,0] neg_lo:[0,0,1] neg_hi:[0,0,1]
	v_pk_fma_f32 v[220:221], v[222:223], v[216:217], v[220:221] op_sel:[0,0,1] op_sel_hi:[1,0,0]
	v_mov_b32_e32 v225, v221
	ds_load_2addr_b64 v[220:223], v0 offset0:33 offset1:34
	v_pk_add_f32 v[148:149], v[148:149], v[224:225] neg_lo:[0,1] neg_hi:[0,1]
	s_wait_dscnt 0x0
	v_pk_mul_f32 v[224:225], v[220:221], v[218:219] op_sel:[0,1]
	s_delay_alu instid0(VALU_DEP_1) | instskip(SKIP_1) | instid1(VALU_DEP_1)
	v_pk_fma_f32 v[226:227], v[220:221], v[216:217], v[224:225] op_sel:[0,0,1] op_sel_hi:[1,1,0] neg_lo:[0,0,1] neg_hi:[0,0,1]
	v_pk_fma_f32 v[220:221], v[220:221], v[216:217], v[224:225] op_sel:[0,0,1] op_sel_hi:[1,0,0]
	v_mov_b32_e32 v227, v221
	v_pk_mul_f32 v[220:221], v[222:223], v[218:219] op_sel:[0,1]
	s_delay_alu instid0(VALU_DEP_2) | instskip(NEXT) | instid1(VALU_DEP_2)
	v_pk_add_f32 v[144:145], v[144:145], v[226:227] neg_lo:[0,1] neg_hi:[0,1]
	v_pk_fma_f32 v[224:225], v[222:223], v[216:217], v[220:221] op_sel:[0,0,1] op_sel_hi:[1,1,0] neg_lo:[0,0,1] neg_hi:[0,0,1]
	v_pk_fma_f32 v[220:221], v[222:223], v[216:217], v[220:221] op_sel:[0,0,1] op_sel_hi:[1,0,0]
	s_delay_alu instid0(VALU_DEP_1) | instskip(SKIP_4) | instid1(VALU_DEP_1)
	v_mov_b32_e32 v225, v221
	ds_load_2addr_b64 v[220:223], v0 offset0:35 offset1:36
	v_pk_add_f32 v[146:147], v[146:147], v[224:225] neg_lo:[0,1] neg_hi:[0,1]
	s_wait_dscnt 0x0
	v_pk_mul_f32 v[224:225], v[220:221], v[218:219] op_sel:[0,1]
	v_pk_fma_f32 v[226:227], v[220:221], v[216:217], v[224:225] op_sel:[0,0,1] op_sel_hi:[1,1,0] neg_lo:[0,0,1] neg_hi:[0,0,1]
	v_pk_fma_f32 v[220:221], v[220:221], v[216:217], v[224:225] op_sel:[0,0,1] op_sel_hi:[1,0,0]
	v_dual_mul_f32 v224, v223, v219 :: v_dual_mov_b32 v220, v223
	s_delay_alu instid0(VALU_DEP_2) | instskip(NEXT) | instid1(VALU_DEP_2)
	v_dual_mov_b32 v227, v221 :: v_dual_mov_b32 v221, v222
	v_pk_fma_f32 v[224:225], v[222:223], v[80:81], v[224:225] op_sel_hi:[1,1,0] neg_lo:[0,0,1] neg_hi:[0,0,1]
	v_mul_f32_e32 v222, v223, v216
	s_delay_alu instid0(VALU_DEP_3) | instskip(NEXT) | instid1(VALU_DEP_2)
	v_pk_add_f32 v[142:143], v[142:143], v[226:227] neg_lo:[0,1] neg_hi:[0,1]
	v_pk_fma_f32 v[220:221], v[220:221], v[80:81], v[222:223] op_sel_hi:[1,1,0]
	s_delay_alu instid0(VALU_DEP_1) | instskip(SKIP_4) | instid1(VALU_DEP_1)
	v_mov_b32_e32 v225, v221
	ds_load_2addr_b64 v[220:223], v0 offset0:37 offset1:38
	v_pk_add_f32 v[164:165], v[164:165], v[224:225] neg_lo:[0,1] neg_hi:[0,1]
	s_wait_dscnt 0x0
	v_pk_mul_f32 v[224:225], v[220:221], v[218:219] op_sel:[0,1]
	v_pk_fma_f32 v[226:227], v[220:221], v[216:217], v[224:225] op_sel:[0,0,1] op_sel_hi:[1,1,0] neg_lo:[0,0,1] neg_hi:[0,0,1]
	v_pk_fma_f32 v[220:221], v[220:221], v[216:217], v[224:225] op_sel:[0,0,1] op_sel_hi:[1,0,0]
	s_delay_alu instid0(VALU_DEP_1) | instskip(SKIP_1) | instid1(VALU_DEP_1)
	v_mov_b32_e32 v227, v221
	v_pk_mul_f32 v[220:221], v[222:223], v[218:219] op_sel:[0,1]
	v_pk_fma_f32 v[224:225], v[222:223], v[216:217], v[220:221] op_sel:[0,0,1] op_sel_hi:[1,1,0] neg_lo:[0,0,1] neg_hi:[0,0,1]
	v_pk_fma_f32 v[220:221], v[222:223], v[216:217], v[220:221] op_sel:[0,0,1] op_sel_hi:[1,0,0]
	s_delay_alu instid0(VALU_DEP_1)
	v_mov_b32_e32 v225, v221
	ds_load_2addr_b64 v[220:223], v0 offset0:39 offset1:40
	v_pk_add_f32 v[160:161], v[160:161], v[226:227] neg_lo:[0,1] neg_hi:[0,1]
	v_pk_add_f32 v[162:163], v[162:163], v[224:225] neg_lo:[0,1] neg_hi:[0,1]
	s_wait_dscnt 0x0
	v_pk_mul_f32 v[224:225], v[220:221], v[218:219] op_sel:[0,1]
	s_delay_alu instid0(VALU_DEP_1) | instskip(SKIP_1) | instid1(VALU_DEP_1)
	v_pk_fma_f32 v[226:227], v[220:221], v[216:217], v[224:225] op_sel:[0,0,1] op_sel_hi:[1,1,0] neg_lo:[0,0,1] neg_hi:[0,0,1]
	v_pk_fma_f32 v[220:221], v[220:221], v[216:217], v[224:225] op_sel:[0,0,1] op_sel_hi:[1,0,0]
	v_mov_b32_e32 v227, v221
	v_pk_mul_f32 v[220:221], v[222:223], v[218:219] op_sel:[0,1]
	s_delay_alu instid0(VALU_DEP_1) | instskip(SKIP_1) | instid1(VALU_DEP_1)
	v_pk_fma_f32 v[224:225], v[222:223], v[216:217], v[220:221] op_sel:[0,0,1] op_sel_hi:[1,1,0] neg_lo:[0,0,1] neg_hi:[0,0,1]
	v_pk_fma_f32 v[220:221], v[222:223], v[216:217], v[220:221] op_sel:[0,0,1] op_sel_hi:[1,0,0]
	v_mov_b32_e32 v225, v221
	ds_load_b64 v[220:221], v0 offset:328
	v_pk_add_f32 v[158:159], v[158:159], v[226:227] neg_lo:[0,1] neg_hi:[0,1]
	v_pk_add_f32 v[166:167], v[166:167], v[224:225] neg_lo:[0,1] neg_hi:[0,1]
	s_wait_dscnt 0x0
	v_pk_mul_f32 v[218:219], v[220:221], v[218:219] op_sel:[0,1]
	s_delay_alu instid0(VALU_DEP_1) | instskip(SKIP_1) | instid1(VALU_DEP_1)
	v_pk_fma_f32 v[222:223], v[220:221], v[216:217], v[218:219] op_sel:[0,0,1] op_sel_hi:[1,1,0] neg_lo:[0,0,1] neg_hi:[0,0,1]
	v_pk_fma_f32 v[216:217], v[220:221], v[216:217], v[218:219] op_sel:[0,0,1] op_sel_hi:[1,0,0]
	v_mov_b32_e32 v223, v217
	s_delay_alu instid0(VALU_DEP_1)
	v_pk_add_f32 v[168:169], v[168:169], v[222:223] neg_lo:[0,1] neg_hi:[0,1]
.LBB83_208:
	s_or_b32 exec_lo, exec_lo, s1
	s_delay_alu instid0(SALU_CYCLE_1)
	s_mov_b32 s2, exec_lo
	s_wait_dscnt 0x0
	s_barrier_signal -1
	s_barrier_wait -1
	v_cmpx_eq_u32_e32 23, v254
	s_cbranch_execz .LBB83_215
; %bb.209:
	v_dual_mov_b32 v216, v106 :: v_dual_mov_b32 v217, v107
	v_dual_mov_b32 v218, v102 :: v_dual_mov_b32 v219, v103
	;; [unrolled: 1-line block ×8, first 2 shown]
	ds_store_b64 v255, v[76:77]
	ds_store_2addr_b64 v0, v[216:217], v[218:219] offset0:24 offset1:25
	ds_store_2addr_b64 v0, v[220:221], v[222:223] offset0:26 offset1:27
	;; [unrolled: 1-line block ×4, first 2 shown]
	v_dual_mov_b32 v216, v148 :: v_dual_mov_b32 v217, v149
	v_dual_mov_b32 v218, v144 :: v_dual_mov_b32 v219, v145
	;; [unrolled: 1-line block ×9, first 2 shown]
	ds_store_2addr_b64 v0, v[216:217], v[218:219] offset0:32 offset1:33
	ds_store_2addr_b64 v0, v[220:221], v[222:223] offset0:34 offset1:35
	;; [unrolled: 1-line block ×5, first 2 shown]
	ds_load_b64 v[216:217], v255
	s_wait_dscnt 0x0
	v_cmp_neq_f32_e32 vcc_lo, 0, v216
	v_cmp_neq_f32_e64 s1, 0, v217
	s_or_b32 s1, vcc_lo, s1
	s_delay_alu instid0(SALU_CYCLE_1)
	s_and_b32 exec_lo, exec_lo, s1
	s_cbranch_execz .LBB83_215
; %bb.210:
	v_cmp_ngt_f32_e64 s1, |v216|, |v217|
                                        ; implicit-def: $vgpr218_vgpr219
	s_and_saveexec_b32 s4, s1
	s_delay_alu instid0(SALU_CYCLE_1)
	s_xor_b32 s1, exec_lo, s4
	s_cbranch_execz .LBB83_212
; %bb.211:
	v_div_scale_f32 v1, null, v217, v217, v216
	v_div_scale_f32 v6, vcc_lo, v216, v217, v216
	s_delay_alu instid0(VALU_DEP_2) | instskip(SKIP_1) | instid1(TRANS32_DEP_1)
	v_rcp_f32_e32 v4, v1
	v_nop
	v_fma_f32 v5, -v1, v4, 1.0
	s_delay_alu instid0(VALU_DEP_1) | instskip(NEXT) | instid1(VALU_DEP_1)
	v_fmac_f32_e32 v4, v5, v4
	v_mul_f32_e32 v5, v6, v4
	s_delay_alu instid0(VALU_DEP_1) | instskip(NEXT) | instid1(VALU_DEP_1)
	v_fma_f32 v7, -v1, v5, v6
	v_fmac_f32_e32 v5, v7, v4
	s_delay_alu instid0(VALU_DEP_1) | instskip(NEXT) | instid1(VALU_DEP_1)
	v_fma_f32 v1, -v1, v5, v6
	v_div_fmas_f32 v1, v1, v4, v5
	s_delay_alu instid0(VALU_DEP_1) | instskip(NEXT) | instid1(VALU_DEP_1)
	v_div_fixup_f32 v1, v1, v217, v216
	v_fmac_f32_e32 v217, v216, v1
	s_delay_alu instid0(VALU_DEP_1) | instskip(SKIP_1) | instid1(VALU_DEP_2)
	v_div_scale_f32 v4, null, v217, v217, 1.0
	v_div_scale_f32 v7, vcc_lo, 1.0, v217, 1.0
	v_rcp_f32_e32 v5, v4
	v_nop
	s_delay_alu instid0(TRANS32_DEP_1) | instskip(NEXT) | instid1(VALU_DEP_1)
	v_fma_f32 v6, -v4, v5, 1.0
	v_fmac_f32_e32 v5, v6, v5
	s_delay_alu instid0(VALU_DEP_1) | instskip(NEXT) | instid1(VALU_DEP_1)
	v_mul_f32_e32 v6, v7, v5
	v_fma_f32 v8, -v4, v6, v7
	s_delay_alu instid0(VALU_DEP_1) | instskip(NEXT) | instid1(VALU_DEP_1)
	v_fmac_f32_e32 v6, v8, v5
	v_fma_f32 v4, -v4, v6, v7
	s_delay_alu instid0(VALU_DEP_1) | instskip(NEXT) | instid1(VALU_DEP_1)
	v_div_fmas_f32 v4, v4, v5, v6
	v_div_fixup_f32 v4, v4, v217, 1.0
                                        ; implicit-def: $vgpr216_vgpr217
	s_delay_alu instid0(VALU_DEP_1)
	v_mul_f32_e32 v218, v1, v4
	v_xor_b32_e32 v219, 0x80000000, v4
.LBB83_212:
	s_and_not1_saveexec_b32 s1, s1
	s_cbranch_execz .LBB83_214
; %bb.213:
	v_div_scale_f32 v1, null, v216, v216, v217
	v_div_scale_f32 v6, vcc_lo, v217, v216, v217
	s_delay_alu instid0(VALU_DEP_2) | instskip(SKIP_1) | instid1(TRANS32_DEP_1)
	v_rcp_f32_e32 v4, v1
	v_nop
	v_fma_f32 v5, -v1, v4, 1.0
	s_delay_alu instid0(VALU_DEP_1) | instskip(NEXT) | instid1(VALU_DEP_1)
	v_fmac_f32_e32 v4, v5, v4
	v_mul_f32_e32 v5, v6, v4
	s_delay_alu instid0(VALU_DEP_1) | instskip(NEXT) | instid1(VALU_DEP_1)
	v_fma_f32 v7, -v1, v5, v6
	v_fmac_f32_e32 v5, v7, v4
	s_delay_alu instid0(VALU_DEP_1) | instskip(NEXT) | instid1(VALU_DEP_1)
	v_fma_f32 v1, -v1, v5, v6
	v_div_fmas_f32 v1, v1, v4, v5
	s_delay_alu instid0(VALU_DEP_1) | instskip(NEXT) | instid1(VALU_DEP_1)
	v_div_fixup_f32 v1, v1, v216, v217
	v_fmac_f32_e32 v216, v217, v1
	s_delay_alu instid0(VALU_DEP_1) | instskip(NEXT) | instid1(VALU_DEP_1)
	v_div_scale_f32 v4, null, v216, v216, 1.0
	v_rcp_f32_e32 v5, v4
	v_nop
	s_delay_alu instid0(TRANS32_DEP_1) | instskip(NEXT) | instid1(VALU_DEP_1)
	v_fma_f32 v6, -v4, v5, 1.0
	v_fmac_f32_e32 v5, v6, v5
	v_div_scale_f32 v6, vcc_lo, 1.0, v216, 1.0
	s_delay_alu instid0(VALU_DEP_1) | instskip(NEXT) | instid1(VALU_DEP_1)
	v_mul_f32_e32 v7, v6, v5
	v_fma_f32 v8, -v4, v7, v6
	s_delay_alu instid0(VALU_DEP_1) | instskip(NEXT) | instid1(VALU_DEP_1)
	v_fmac_f32_e32 v7, v8, v5
	v_fma_f32 v4, -v4, v7, v6
	s_delay_alu instid0(VALU_DEP_1) | instskip(NEXT) | instid1(VALU_DEP_1)
	v_div_fmas_f32 v4, v4, v5, v7
	v_div_fixup_f32 v218, v4, v216, 1.0
	s_delay_alu instid0(VALU_DEP_1)
	v_mul_f32_e64 v219, v1, -v218
.LBB83_214:
	s_or_b32 exec_lo, exec_lo, s1
	ds_store_b64 v255, v[218:219]
.LBB83_215:
	s_or_b32 exec_lo, exec_lo, s2
	s_wait_dscnt 0x0
	s_barrier_signal -1
	s_barrier_wait -1
	ds_load_b64 v[216:217], v255
	s_mov_b32 s1, exec_lo
	v_cmpx_lt_u32_e32 23, v254
	s_cbranch_execz .LBB83_217
; %bb.216:
	ds_load_2addr_b64 v[222:225], v0 offset0:24 offset1:25
	s_wait_dscnt 0x1
	v_pk_mul_f32 v[220:221], v[216:217], v[76:77] op_sel:[1,1] op_sel_hi:[0,1]
	s_delay_alu instid0(VALU_DEP_1) | instskip(SKIP_1) | instid1(VALU_DEP_1)
	v_pk_fma_f32 v[218:219], v[216:217], v[76:77], v[220:221] op_sel_hi:[1,0,1] neg_lo:[0,0,1] neg_hi:[0,0,1]
	v_pk_fma_f32 v[220:221], v[216:217], v[76:77], v[220:221] op_sel_hi:[1,0,1]
	v_dual_mov_b32 v76, v218 :: v_dual_mov_b32 v77, v221
	s_wait_dscnt 0x0
	s_delay_alu instid0(VALU_DEP_2) | instskip(NEXT) | instid1(VALU_DEP_1)
	v_pk_mul_f32 v[226:227], v[222:223], v[220:221] op_sel:[0,1]
	v_pk_fma_f32 v[228:229], v[222:223], v[218:219], v[226:227] op_sel:[0,0,1] op_sel_hi:[1,1,0] neg_lo:[0,0,1] neg_hi:[0,0,1]
	v_pk_fma_f32 v[222:223], v[222:223], v[218:219], v[226:227] op_sel:[0,0,1] op_sel_hi:[1,0,0]
	s_delay_alu instid0(VALU_DEP_1) | instskip(SKIP_1) | instid1(VALU_DEP_1)
	v_mov_b32_e32 v229, v223
	v_pk_mul_f32 v[222:223], v[224:225], v[220:221] op_sel:[0,1]
	v_pk_fma_f32 v[226:227], v[224:225], v[218:219], v[222:223] op_sel:[0,0,1] op_sel_hi:[1,1,0] neg_lo:[0,0,1] neg_hi:[0,0,1]
	v_pk_fma_f32 v[222:223], v[224:225], v[218:219], v[222:223] op_sel:[0,0,1] op_sel_hi:[1,0,0]
	s_delay_alu instid0(VALU_DEP_1)
	v_mov_b32_e32 v227, v223
	ds_load_2addr_b64 v[222:225], v0 offset0:26 offset1:27
	v_pk_add_f32 v[106:107], v[106:107], v[228:229] neg_lo:[0,1] neg_hi:[0,1]
	v_pk_add_f32 v[102:103], v[102:103], v[226:227] neg_lo:[0,1] neg_hi:[0,1]
	s_wait_dscnt 0x0
	v_pk_mul_f32 v[226:227], v[222:223], v[220:221] op_sel:[0,1]
	s_delay_alu instid0(VALU_DEP_1) | instskip(SKIP_2) | instid1(VALU_DEP_2)
	v_pk_fma_f32 v[228:229], v[222:223], v[218:219], v[226:227] op_sel:[0,0,1] op_sel_hi:[1,1,0] neg_lo:[0,0,1] neg_hi:[0,0,1]
	v_pk_fma_f32 v[222:223], v[222:223], v[218:219], v[226:227] op_sel:[0,0,1] op_sel_hi:[1,0,0]
	v_dual_mul_f32 v226, v225, v221 :: v_dual_mov_b32 v222, v225
	v_dual_mov_b32 v229, v223 :: v_dual_mov_b32 v223, v224
	s_delay_alu instid0(VALU_DEP_2) | instskip(SKIP_1) | instid1(VALU_DEP_3)
	v_pk_fma_f32 v[226:227], v[224:225], v[76:77], v[226:227] op_sel_hi:[1,1,0] neg_lo:[0,0,1] neg_hi:[0,0,1]
	v_mul_f32_e32 v224, v225, v218
	v_pk_add_f32 v[104:105], v[104:105], v[228:229] neg_lo:[0,1] neg_hi:[0,1]
	s_delay_alu instid0(VALU_DEP_2) | instskip(NEXT) | instid1(VALU_DEP_1)
	v_pk_fma_f32 v[222:223], v[222:223], v[76:77], v[224:225] op_sel_hi:[1,1,0]
	v_mov_b32_e32 v227, v223
	ds_load_2addr_b64 v[222:225], v0 offset0:28 offset1:29
	v_pk_add_f32 v[100:101], v[100:101], v[226:227] neg_lo:[0,1] neg_hi:[0,1]
	s_wait_dscnt 0x0
	v_pk_mul_f32 v[226:227], v[222:223], v[220:221] op_sel:[0,1]
	s_delay_alu instid0(VALU_DEP_1) | instskip(SKIP_1) | instid1(VALU_DEP_1)
	v_pk_fma_f32 v[228:229], v[222:223], v[218:219], v[226:227] op_sel:[0,0,1] op_sel_hi:[1,1,0] neg_lo:[0,0,1] neg_hi:[0,0,1]
	v_pk_fma_f32 v[222:223], v[222:223], v[218:219], v[226:227] op_sel:[0,0,1] op_sel_hi:[1,0,0]
	v_mov_b32_e32 v229, v223
	v_pk_mul_f32 v[222:223], v[224:225], v[220:221] op_sel:[0,1]
	s_delay_alu instid0(VALU_DEP_1) | instskip(SKIP_1) | instid1(VALU_DEP_1)
	v_pk_fma_f32 v[226:227], v[224:225], v[218:219], v[222:223] op_sel:[0,0,1] op_sel_hi:[1,1,0] neg_lo:[0,0,1] neg_hi:[0,0,1]
	v_pk_fma_f32 v[222:223], v[224:225], v[218:219], v[222:223] op_sel:[0,0,1] op_sel_hi:[1,0,0]
	v_mov_b32_e32 v227, v223
	ds_load_2addr_b64 v[222:225], v0 offset0:30 offset1:31
	v_pk_add_f32 v[128:129], v[128:129], v[228:229] neg_lo:[0,1] neg_hi:[0,1]
	v_pk_add_f32 v[124:125], v[124:125], v[226:227] neg_lo:[0,1] neg_hi:[0,1]
	s_wait_dscnt 0x0
	v_pk_mul_f32 v[226:227], v[222:223], v[220:221] op_sel:[0,1]
	s_delay_alu instid0(VALU_DEP_1) | instskip(SKIP_1) | instid1(VALU_DEP_1)
	v_pk_fma_f32 v[228:229], v[222:223], v[218:219], v[226:227] op_sel:[0,0,1] op_sel_hi:[1,1,0] neg_lo:[0,0,1] neg_hi:[0,0,1]
	v_pk_fma_f32 v[222:223], v[222:223], v[218:219], v[226:227] op_sel:[0,0,1] op_sel_hi:[1,0,0]
	v_mov_b32_e32 v229, v223
	v_pk_mul_f32 v[222:223], v[224:225], v[220:221] op_sel:[0,1]
	s_delay_alu instid0(VALU_DEP_1) | instskip(SKIP_1) | instid1(VALU_DEP_1)
	v_pk_fma_f32 v[226:227], v[224:225], v[218:219], v[222:223] op_sel:[0,0,1] op_sel_hi:[1,1,0] neg_lo:[0,0,1] neg_hi:[0,0,1]
	v_pk_fma_f32 v[222:223], v[224:225], v[218:219], v[222:223] op_sel:[0,0,1] op_sel_hi:[1,0,0]
	v_mov_b32_e32 v227, v223
	ds_load_2addr_b64 v[222:225], v0 offset0:32 offset1:33
	v_pk_add_f32 v[126:127], v[126:127], v[228:229] neg_lo:[0,1] neg_hi:[0,1]
	v_pk_add_f32 v[122:123], v[122:123], v[226:227] neg_lo:[0,1] neg_hi:[0,1]
	s_wait_dscnt 0x0
	v_dual_mul_f32 v226, v223, v221 :: v_dual_mul_f32 v228, v223, v218
	s_delay_alu instid0(VALU_DEP_1) | instskip(NEXT) | instid1(VALU_DEP_2)
	v_pk_fma_f32 v[226:227], v[222:223], v[76:77], v[226:227] op_sel_hi:[1,1,0] neg_lo:[0,0,1] neg_hi:[0,0,1]
	v_pk_fma_f32 v[222:223], v[222:223], v[76:77], v[228:229] op_sel:[1,0,0] op_sel_hi:[0,1,0]
	s_delay_alu instid0(VALU_DEP_1) | instskip(SKIP_1) | instid1(VALU_DEP_2)
	v_mov_b32_e32 v227, v223
	v_pk_mul_f32 v[222:223], v[224:225], v[220:221] op_sel:[0,1]
	v_pk_add_f32 v[148:149], v[148:149], v[226:227] neg_lo:[0,1] neg_hi:[0,1]
	s_delay_alu instid0(VALU_DEP_2) | instskip(SKIP_1) | instid1(VALU_DEP_1)
	v_pk_fma_f32 v[226:227], v[224:225], v[218:219], v[222:223] op_sel:[0,0,1] op_sel_hi:[1,1,0] neg_lo:[0,0,1] neg_hi:[0,0,1]
	v_pk_fma_f32 v[222:223], v[224:225], v[218:219], v[222:223] op_sel:[0,0,1] op_sel_hi:[1,0,0]
	v_mov_b32_e32 v227, v223
	ds_load_2addr_b64 v[222:225], v0 offset0:34 offset1:35
	v_pk_add_f32 v[144:145], v[144:145], v[226:227] neg_lo:[0,1] neg_hi:[0,1]
	s_wait_dscnt 0x0
	v_pk_mul_f32 v[226:227], v[222:223], v[220:221] op_sel:[0,1]
	s_delay_alu instid0(VALU_DEP_1) | instskip(SKIP_1) | instid1(VALU_DEP_1)
	v_pk_fma_f32 v[228:229], v[222:223], v[218:219], v[226:227] op_sel:[0,0,1] op_sel_hi:[1,1,0] neg_lo:[0,0,1] neg_hi:[0,0,1]
	v_pk_fma_f32 v[222:223], v[222:223], v[218:219], v[226:227] op_sel:[0,0,1] op_sel_hi:[1,0,0]
	v_mov_b32_e32 v229, v223
	v_pk_mul_f32 v[222:223], v[224:225], v[220:221] op_sel:[0,1]
	s_delay_alu instid0(VALU_DEP_2) | instskip(NEXT) | instid1(VALU_DEP_2)
	v_pk_add_f32 v[146:147], v[146:147], v[228:229] neg_lo:[0,1] neg_hi:[0,1]
	v_pk_fma_f32 v[226:227], v[224:225], v[218:219], v[222:223] op_sel:[0,0,1] op_sel_hi:[1,1,0] neg_lo:[0,0,1] neg_hi:[0,0,1]
	v_pk_fma_f32 v[222:223], v[224:225], v[218:219], v[222:223] op_sel:[0,0,1] op_sel_hi:[1,0,0]
	s_delay_alu instid0(VALU_DEP_1) | instskip(SKIP_4) | instid1(VALU_DEP_1)
	v_mov_b32_e32 v227, v223
	ds_load_2addr_b64 v[222:225], v0 offset0:36 offset1:37
	v_pk_add_f32 v[142:143], v[142:143], v[226:227] neg_lo:[0,1] neg_hi:[0,1]
	s_wait_dscnt 0x0
	v_pk_mul_f32 v[226:227], v[222:223], v[220:221] op_sel:[0,1]
	v_pk_fma_f32 v[228:229], v[222:223], v[218:219], v[226:227] op_sel:[0,0,1] op_sel_hi:[1,1,0] neg_lo:[0,0,1] neg_hi:[0,0,1]
	v_pk_fma_f32 v[222:223], v[222:223], v[218:219], v[226:227] op_sel:[0,0,1] op_sel_hi:[1,0,0]
	v_dual_mul_f32 v226, v225, v221 :: v_dual_mov_b32 v222, v225
	s_delay_alu instid0(VALU_DEP_2) | instskip(NEXT) | instid1(VALU_DEP_2)
	v_dual_mov_b32 v229, v223 :: v_dual_mov_b32 v223, v224
	v_pk_fma_f32 v[226:227], v[224:225], v[76:77], v[226:227] op_sel_hi:[1,1,0] neg_lo:[0,0,1] neg_hi:[0,0,1]
	v_mul_f32_e32 v224, v225, v218
	s_delay_alu instid0(VALU_DEP_3) | instskip(NEXT) | instid1(VALU_DEP_2)
	v_pk_add_f32 v[164:165], v[164:165], v[228:229] neg_lo:[0,1] neg_hi:[0,1]
	v_pk_fma_f32 v[222:223], v[222:223], v[76:77], v[224:225] op_sel_hi:[1,1,0]
	s_delay_alu instid0(VALU_DEP_1) | instskip(SKIP_4) | instid1(VALU_DEP_1)
	v_mov_b32_e32 v227, v223
	ds_load_2addr_b64 v[222:225], v0 offset0:38 offset1:39
	v_pk_add_f32 v[160:161], v[160:161], v[226:227] neg_lo:[0,1] neg_hi:[0,1]
	s_wait_dscnt 0x0
	v_pk_mul_f32 v[226:227], v[222:223], v[220:221] op_sel:[0,1]
	v_pk_fma_f32 v[228:229], v[222:223], v[218:219], v[226:227] op_sel:[0,0,1] op_sel_hi:[1,1,0] neg_lo:[0,0,1] neg_hi:[0,0,1]
	v_pk_fma_f32 v[222:223], v[222:223], v[218:219], v[226:227] op_sel:[0,0,1] op_sel_hi:[1,0,0]
	s_delay_alu instid0(VALU_DEP_1) | instskip(SKIP_1) | instid1(VALU_DEP_1)
	v_mov_b32_e32 v229, v223
	v_pk_mul_f32 v[222:223], v[224:225], v[220:221] op_sel:[0,1]
	v_pk_fma_f32 v[226:227], v[224:225], v[218:219], v[222:223] op_sel:[0,0,1] op_sel_hi:[1,1,0] neg_lo:[0,0,1] neg_hi:[0,0,1]
	v_pk_fma_f32 v[222:223], v[224:225], v[218:219], v[222:223] op_sel:[0,0,1] op_sel_hi:[1,0,0]
	s_delay_alu instid0(VALU_DEP_1)
	v_mov_b32_e32 v227, v223
	ds_load_2addr_b64 v[222:225], v0 offset0:40 offset1:41
	v_pk_add_f32 v[162:163], v[162:163], v[228:229] neg_lo:[0,1] neg_hi:[0,1]
	v_pk_add_f32 v[158:159], v[158:159], v[226:227] neg_lo:[0,1] neg_hi:[0,1]
	s_wait_dscnt 0x0
	v_pk_mul_f32 v[226:227], v[222:223], v[220:221] op_sel:[0,1]
	v_mul_f32_e32 v220, v225, v221
	s_delay_alu instid0(VALU_DEP_2) | instskip(SKIP_2) | instid1(VALU_DEP_4)
	v_pk_fma_f32 v[228:229], v[222:223], v[218:219], v[226:227] op_sel:[0,0,1] op_sel_hi:[1,1,0] neg_lo:[0,0,1] neg_hi:[0,0,1]
	v_pk_fma_f32 v[222:223], v[222:223], v[218:219], v[226:227] op_sel:[0,0,1] op_sel_hi:[1,0,0]
	v_dual_mov_b32 v222, v225 :: v_dual_mul_f32 v218, v225, v218
	v_pk_fma_f32 v[220:221], v[224:225], v[76:77], v[220:221] op_sel_hi:[1,1,0] neg_lo:[0,0,1] neg_hi:[0,0,1]
	s_delay_alu instid0(VALU_DEP_3) | instskip(NEXT) | instid1(VALU_DEP_1)
	v_dual_mov_b32 v229, v223 :: v_dual_mov_b32 v223, v224
	v_pk_add_f32 v[166:167], v[166:167], v[228:229] neg_lo:[0,1] neg_hi:[0,1]
	s_delay_alu instid0(VALU_DEP_2) | instskip(NEXT) | instid1(VALU_DEP_1)
	v_pk_fma_f32 v[218:219], v[222:223], v[76:77], v[218:219] op_sel_hi:[1,1,0]
	v_mov_b32_e32 v221, v219
	s_delay_alu instid0(VALU_DEP_1)
	v_pk_add_f32 v[168:169], v[168:169], v[220:221] neg_lo:[0,1] neg_hi:[0,1]
.LBB83_217:
	s_or_b32 exec_lo, exec_lo, s1
	s_delay_alu instid0(SALU_CYCLE_1)
	s_mov_b32 s2, exec_lo
	s_wait_dscnt 0x0
	s_barrier_signal -1
	s_barrier_wait -1
	v_cmpx_eq_u32_e32 24, v254
	s_cbranch_execz .LBB83_224
; %bb.218:
	ds_store_b64 v255, v[106:107]
	ds_store_2addr_b64 v0, v[102:103], v[104:105] offset0:25 offset1:26
	ds_store_2addr_b64 v0, v[100:101], v[128:129] offset0:27 offset1:28
	;; [unrolled: 1-line block ×8, first 2 shown]
	ds_store_b64 v0, v[168:169] offset:328
	ds_load_b64 v[218:219], v255
	s_wait_dscnt 0x0
	v_cmp_neq_f32_e32 vcc_lo, 0, v218
	v_cmp_neq_f32_e64 s1, 0, v219
	s_or_b32 s1, vcc_lo, s1
	s_delay_alu instid0(SALU_CYCLE_1)
	s_and_b32 exec_lo, exec_lo, s1
	s_cbranch_execz .LBB83_224
; %bb.219:
	v_cmp_ngt_f32_e64 s1, |v218|, |v219|
                                        ; implicit-def: $vgpr220_vgpr221
	s_and_saveexec_b32 s4, s1
	s_delay_alu instid0(SALU_CYCLE_1)
	s_xor_b32 s1, exec_lo, s4
	s_cbranch_execz .LBB83_221
; %bb.220:
	v_div_scale_f32 v1, null, v219, v219, v218
	v_div_scale_f32 v6, vcc_lo, v218, v219, v218
	s_delay_alu instid0(VALU_DEP_2) | instskip(SKIP_1) | instid1(TRANS32_DEP_1)
	v_rcp_f32_e32 v4, v1
	v_nop
	v_fma_f32 v5, -v1, v4, 1.0
	s_delay_alu instid0(VALU_DEP_1) | instskip(NEXT) | instid1(VALU_DEP_1)
	v_fmac_f32_e32 v4, v5, v4
	v_mul_f32_e32 v5, v6, v4
	s_delay_alu instid0(VALU_DEP_1) | instskip(NEXT) | instid1(VALU_DEP_1)
	v_fma_f32 v7, -v1, v5, v6
	v_fmac_f32_e32 v5, v7, v4
	s_delay_alu instid0(VALU_DEP_1) | instskip(NEXT) | instid1(VALU_DEP_1)
	v_fma_f32 v1, -v1, v5, v6
	v_div_fmas_f32 v1, v1, v4, v5
	s_delay_alu instid0(VALU_DEP_1) | instskip(NEXT) | instid1(VALU_DEP_1)
	v_div_fixup_f32 v1, v1, v219, v218
	v_fmac_f32_e32 v219, v218, v1
	s_delay_alu instid0(VALU_DEP_1) | instskip(SKIP_1) | instid1(VALU_DEP_2)
	v_div_scale_f32 v4, null, v219, v219, 1.0
	v_div_scale_f32 v7, vcc_lo, 1.0, v219, 1.0
	v_rcp_f32_e32 v5, v4
	v_nop
	s_delay_alu instid0(TRANS32_DEP_1) | instskip(NEXT) | instid1(VALU_DEP_1)
	v_fma_f32 v6, -v4, v5, 1.0
	v_fmac_f32_e32 v5, v6, v5
	s_delay_alu instid0(VALU_DEP_1) | instskip(NEXT) | instid1(VALU_DEP_1)
	v_mul_f32_e32 v6, v7, v5
	v_fma_f32 v8, -v4, v6, v7
	s_delay_alu instid0(VALU_DEP_1) | instskip(NEXT) | instid1(VALU_DEP_1)
	v_fmac_f32_e32 v6, v8, v5
	v_fma_f32 v4, -v4, v6, v7
	s_delay_alu instid0(VALU_DEP_1) | instskip(NEXT) | instid1(VALU_DEP_1)
	v_div_fmas_f32 v4, v4, v5, v6
	v_div_fixup_f32 v4, v4, v219, 1.0
                                        ; implicit-def: $vgpr218_vgpr219
	s_delay_alu instid0(VALU_DEP_1)
	v_mul_f32_e32 v220, v1, v4
	v_xor_b32_e32 v221, 0x80000000, v4
.LBB83_221:
	s_and_not1_saveexec_b32 s1, s1
	s_cbranch_execz .LBB83_223
; %bb.222:
	v_div_scale_f32 v1, null, v218, v218, v219
	v_div_scale_f32 v6, vcc_lo, v219, v218, v219
	s_delay_alu instid0(VALU_DEP_2) | instskip(SKIP_1) | instid1(TRANS32_DEP_1)
	v_rcp_f32_e32 v4, v1
	v_nop
	v_fma_f32 v5, -v1, v4, 1.0
	s_delay_alu instid0(VALU_DEP_1) | instskip(NEXT) | instid1(VALU_DEP_1)
	v_fmac_f32_e32 v4, v5, v4
	v_mul_f32_e32 v5, v6, v4
	s_delay_alu instid0(VALU_DEP_1) | instskip(NEXT) | instid1(VALU_DEP_1)
	v_fma_f32 v7, -v1, v5, v6
	v_fmac_f32_e32 v5, v7, v4
	s_delay_alu instid0(VALU_DEP_1) | instskip(NEXT) | instid1(VALU_DEP_1)
	v_fma_f32 v1, -v1, v5, v6
	v_div_fmas_f32 v1, v1, v4, v5
	s_delay_alu instid0(VALU_DEP_1) | instskip(NEXT) | instid1(VALU_DEP_1)
	v_div_fixup_f32 v1, v1, v218, v219
	v_fmac_f32_e32 v218, v219, v1
	s_delay_alu instid0(VALU_DEP_1) | instskip(NEXT) | instid1(VALU_DEP_1)
	v_div_scale_f32 v4, null, v218, v218, 1.0
	v_rcp_f32_e32 v5, v4
	v_nop
	s_delay_alu instid0(TRANS32_DEP_1) | instskip(NEXT) | instid1(VALU_DEP_1)
	v_fma_f32 v6, -v4, v5, 1.0
	v_fmac_f32_e32 v5, v6, v5
	v_div_scale_f32 v6, vcc_lo, 1.0, v218, 1.0
	s_delay_alu instid0(VALU_DEP_1) | instskip(NEXT) | instid1(VALU_DEP_1)
	v_mul_f32_e32 v7, v6, v5
	v_fma_f32 v8, -v4, v7, v6
	s_delay_alu instid0(VALU_DEP_1) | instskip(NEXT) | instid1(VALU_DEP_1)
	v_fmac_f32_e32 v7, v8, v5
	v_fma_f32 v4, -v4, v7, v6
	s_delay_alu instid0(VALU_DEP_1) | instskip(NEXT) | instid1(VALU_DEP_1)
	v_div_fmas_f32 v4, v4, v5, v7
	v_div_fixup_f32 v220, v4, v218, 1.0
	s_delay_alu instid0(VALU_DEP_1)
	v_mul_f32_e64 v221, v1, -v220
.LBB83_223:
	s_or_b32 exec_lo, exec_lo, s1
	ds_store_b64 v255, v[220:221]
.LBB83_224:
	s_or_b32 exec_lo, exec_lo, s2
	s_wait_dscnt 0x0
	s_barrier_signal -1
	s_barrier_wait -1
	ds_load_b64 v[218:219], v255
	s_mov_b32 s1, exec_lo
	v_cmpx_lt_u32_e32 24, v254
	s_cbranch_execz .LBB83_226
; %bb.225:
	ds_load_2addr_b64 v[224:227], v0 offset0:25 offset1:26
	s_wait_dscnt 0x1
	v_pk_mul_f32 v[222:223], v[218:219], v[106:107] op_sel:[1,1] op_sel_hi:[0,1]
	s_delay_alu instid0(VALU_DEP_1) | instskip(SKIP_1) | instid1(VALU_DEP_1)
	v_pk_fma_f32 v[220:221], v[218:219], v[106:107], v[222:223] op_sel_hi:[1,0,1] neg_lo:[0,0,1] neg_hi:[0,0,1]
	v_pk_fma_f32 v[222:223], v[218:219], v[106:107], v[222:223] op_sel_hi:[1,0,1]
	v_dual_mov_b32 v106, v220 :: v_dual_mov_b32 v107, v223
	s_wait_dscnt 0x0
	s_delay_alu instid0(VALU_DEP_2) | instskip(NEXT) | instid1(VALU_DEP_1)
	v_pk_mul_f32 v[228:229], v[224:225], v[222:223] op_sel:[0,1]
	v_pk_fma_f32 v[230:231], v[224:225], v[220:221], v[228:229] op_sel:[0,0,1] op_sel_hi:[1,1,0] neg_lo:[0,0,1] neg_hi:[0,0,1]
	v_pk_fma_f32 v[224:225], v[224:225], v[220:221], v[228:229] op_sel:[0,0,1] op_sel_hi:[1,0,0]
	s_delay_alu instid0(VALU_DEP_1) | instskip(SKIP_1) | instid1(VALU_DEP_1)
	v_mov_b32_e32 v231, v225
	v_pk_mul_f32 v[224:225], v[226:227], v[222:223] op_sel:[0,1]
	v_pk_fma_f32 v[228:229], v[226:227], v[220:221], v[224:225] op_sel:[0,0,1] op_sel_hi:[1,1,0] neg_lo:[0,0,1] neg_hi:[0,0,1]
	v_pk_fma_f32 v[224:225], v[226:227], v[220:221], v[224:225] op_sel:[0,0,1] op_sel_hi:[1,0,0]
	s_delay_alu instid0(VALU_DEP_1)
	v_mov_b32_e32 v229, v225
	ds_load_2addr_b64 v[224:227], v0 offset0:27 offset1:28
	v_pk_add_f32 v[102:103], v[102:103], v[230:231] neg_lo:[0,1] neg_hi:[0,1]
	v_pk_add_f32 v[104:105], v[104:105], v[228:229] neg_lo:[0,1] neg_hi:[0,1]
	s_wait_dscnt 0x0
	v_pk_mul_f32 v[228:229], v[224:225], v[222:223] op_sel:[0,1]
	s_delay_alu instid0(VALU_DEP_1) | instskip(SKIP_2) | instid1(VALU_DEP_2)
	v_pk_fma_f32 v[230:231], v[224:225], v[220:221], v[228:229] op_sel:[0,0,1] op_sel_hi:[1,1,0] neg_lo:[0,0,1] neg_hi:[0,0,1]
	v_pk_fma_f32 v[224:225], v[224:225], v[220:221], v[228:229] op_sel:[0,0,1] op_sel_hi:[1,0,0]
	v_dual_mul_f32 v228, v227, v223 :: v_dual_mov_b32 v224, v227
	v_dual_mov_b32 v231, v225 :: v_dual_mov_b32 v225, v226
	s_delay_alu instid0(VALU_DEP_2) | instskip(SKIP_1) | instid1(VALU_DEP_3)
	v_pk_fma_f32 v[228:229], v[226:227], v[106:107], v[228:229] op_sel_hi:[1,1,0] neg_lo:[0,0,1] neg_hi:[0,0,1]
	v_mul_f32_e32 v226, v227, v220
	v_pk_add_f32 v[100:101], v[100:101], v[230:231] neg_lo:[0,1] neg_hi:[0,1]
	s_delay_alu instid0(VALU_DEP_2) | instskip(NEXT) | instid1(VALU_DEP_1)
	v_pk_fma_f32 v[224:225], v[224:225], v[106:107], v[226:227] op_sel_hi:[1,1,0]
	v_mov_b32_e32 v229, v225
	ds_load_2addr_b64 v[224:227], v0 offset0:29 offset1:30
	v_pk_add_f32 v[128:129], v[128:129], v[228:229] neg_lo:[0,1] neg_hi:[0,1]
	s_wait_dscnt 0x0
	v_pk_mul_f32 v[228:229], v[224:225], v[222:223] op_sel:[0,1]
	s_delay_alu instid0(VALU_DEP_1) | instskip(SKIP_1) | instid1(VALU_DEP_1)
	v_pk_fma_f32 v[230:231], v[224:225], v[220:221], v[228:229] op_sel:[0,0,1] op_sel_hi:[1,1,0] neg_lo:[0,0,1] neg_hi:[0,0,1]
	v_pk_fma_f32 v[224:225], v[224:225], v[220:221], v[228:229] op_sel:[0,0,1] op_sel_hi:[1,0,0]
	v_mov_b32_e32 v231, v225
	v_pk_mul_f32 v[224:225], v[226:227], v[222:223] op_sel:[0,1]
	s_delay_alu instid0(VALU_DEP_1) | instskip(SKIP_1) | instid1(VALU_DEP_1)
	v_pk_fma_f32 v[228:229], v[226:227], v[220:221], v[224:225] op_sel:[0,0,1] op_sel_hi:[1,1,0] neg_lo:[0,0,1] neg_hi:[0,0,1]
	v_pk_fma_f32 v[224:225], v[226:227], v[220:221], v[224:225] op_sel:[0,0,1] op_sel_hi:[1,0,0]
	v_mov_b32_e32 v229, v225
	ds_load_2addr_b64 v[224:227], v0 offset0:31 offset1:32
	v_pk_add_f32 v[124:125], v[124:125], v[230:231] neg_lo:[0,1] neg_hi:[0,1]
	v_pk_add_f32 v[126:127], v[126:127], v[228:229] neg_lo:[0,1] neg_hi:[0,1]
	s_wait_dscnt 0x0
	v_pk_mul_f32 v[228:229], v[224:225], v[222:223] op_sel:[0,1]
	s_delay_alu instid0(VALU_DEP_1) | instskip(SKIP_1) | instid1(VALU_DEP_1)
	v_pk_fma_f32 v[230:231], v[224:225], v[220:221], v[228:229] op_sel:[0,0,1] op_sel_hi:[1,1,0] neg_lo:[0,0,1] neg_hi:[0,0,1]
	v_pk_fma_f32 v[224:225], v[224:225], v[220:221], v[228:229] op_sel:[0,0,1] op_sel_hi:[1,0,0]
	v_mov_b32_e32 v231, v225
	v_pk_mul_f32 v[224:225], v[226:227], v[222:223] op_sel:[0,1]
	s_delay_alu instid0(VALU_DEP_1) | instskip(SKIP_1) | instid1(VALU_DEP_1)
	v_pk_fma_f32 v[228:229], v[226:227], v[220:221], v[224:225] op_sel:[0,0,1] op_sel_hi:[1,1,0] neg_lo:[0,0,1] neg_hi:[0,0,1]
	v_pk_fma_f32 v[224:225], v[226:227], v[220:221], v[224:225] op_sel:[0,0,1] op_sel_hi:[1,0,0]
	v_mov_b32_e32 v229, v225
	ds_load_2addr_b64 v[224:227], v0 offset0:33 offset1:34
	v_pk_add_f32 v[122:123], v[122:123], v[230:231] neg_lo:[0,1] neg_hi:[0,1]
	v_pk_add_f32 v[148:149], v[148:149], v[228:229] neg_lo:[0,1] neg_hi:[0,1]
	s_wait_dscnt 0x0
	v_dual_mul_f32 v228, v225, v223 :: v_dual_mul_f32 v230, v225, v220
	s_delay_alu instid0(VALU_DEP_1) | instskip(NEXT) | instid1(VALU_DEP_2)
	v_pk_fma_f32 v[228:229], v[224:225], v[106:107], v[228:229] op_sel_hi:[1,1,0] neg_lo:[0,0,1] neg_hi:[0,0,1]
	v_pk_fma_f32 v[224:225], v[224:225], v[106:107], v[230:231] op_sel:[1,0,0] op_sel_hi:[0,1,0]
	s_delay_alu instid0(VALU_DEP_1) | instskip(SKIP_1) | instid1(VALU_DEP_2)
	v_mov_b32_e32 v229, v225
	v_pk_mul_f32 v[224:225], v[226:227], v[222:223] op_sel:[0,1]
	v_pk_add_f32 v[144:145], v[144:145], v[228:229] neg_lo:[0,1] neg_hi:[0,1]
	s_delay_alu instid0(VALU_DEP_2) | instskip(SKIP_1) | instid1(VALU_DEP_1)
	v_pk_fma_f32 v[228:229], v[226:227], v[220:221], v[224:225] op_sel:[0,0,1] op_sel_hi:[1,1,0] neg_lo:[0,0,1] neg_hi:[0,0,1]
	v_pk_fma_f32 v[224:225], v[226:227], v[220:221], v[224:225] op_sel:[0,0,1] op_sel_hi:[1,0,0]
	v_mov_b32_e32 v229, v225
	ds_load_2addr_b64 v[224:227], v0 offset0:35 offset1:36
	v_pk_add_f32 v[146:147], v[146:147], v[228:229] neg_lo:[0,1] neg_hi:[0,1]
	s_wait_dscnt 0x0
	v_pk_mul_f32 v[228:229], v[224:225], v[222:223] op_sel:[0,1]
	s_delay_alu instid0(VALU_DEP_1) | instskip(SKIP_1) | instid1(VALU_DEP_1)
	v_pk_fma_f32 v[230:231], v[224:225], v[220:221], v[228:229] op_sel:[0,0,1] op_sel_hi:[1,1,0] neg_lo:[0,0,1] neg_hi:[0,0,1]
	v_pk_fma_f32 v[224:225], v[224:225], v[220:221], v[228:229] op_sel:[0,0,1] op_sel_hi:[1,0,0]
	v_mov_b32_e32 v231, v225
	v_pk_mul_f32 v[224:225], v[226:227], v[222:223] op_sel:[0,1]
	s_delay_alu instid0(VALU_DEP_2) | instskip(NEXT) | instid1(VALU_DEP_2)
	v_pk_add_f32 v[142:143], v[142:143], v[230:231] neg_lo:[0,1] neg_hi:[0,1]
	v_pk_fma_f32 v[228:229], v[226:227], v[220:221], v[224:225] op_sel:[0,0,1] op_sel_hi:[1,1,0] neg_lo:[0,0,1] neg_hi:[0,0,1]
	v_pk_fma_f32 v[224:225], v[226:227], v[220:221], v[224:225] op_sel:[0,0,1] op_sel_hi:[1,0,0]
	s_delay_alu instid0(VALU_DEP_1) | instskip(SKIP_4) | instid1(VALU_DEP_1)
	v_mov_b32_e32 v229, v225
	ds_load_2addr_b64 v[224:227], v0 offset0:37 offset1:38
	v_pk_add_f32 v[164:165], v[164:165], v[228:229] neg_lo:[0,1] neg_hi:[0,1]
	s_wait_dscnt 0x0
	v_pk_mul_f32 v[228:229], v[224:225], v[222:223] op_sel:[0,1]
	v_pk_fma_f32 v[230:231], v[224:225], v[220:221], v[228:229] op_sel:[0,0,1] op_sel_hi:[1,1,0] neg_lo:[0,0,1] neg_hi:[0,0,1]
	v_pk_fma_f32 v[224:225], v[224:225], v[220:221], v[228:229] op_sel:[0,0,1] op_sel_hi:[1,0,0]
	v_dual_mul_f32 v228, v227, v223 :: v_dual_mov_b32 v224, v227
	s_delay_alu instid0(VALU_DEP_2) | instskip(NEXT) | instid1(VALU_DEP_2)
	v_dual_mov_b32 v231, v225 :: v_dual_mov_b32 v225, v226
	v_pk_fma_f32 v[228:229], v[226:227], v[106:107], v[228:229] op_sel_hi:[1,1,0] neg_lo:[0,0,1] neg_hi:[0,0,1]
	v_mul_f32_e32 v226, v227, v220
	s_delay_alu instid0(VALU_DEP_3) | instskip(NEXT) | instid1(VALU_DEP_2)
	v_pk_add_f32 v[160:161], v[160:161], v[230:231] neg_lo:[0,1] neg_hi:[0,1]
	v_pk_fma_f32 v[224:225], v[224:225], v[106:107], v[226:227] op_sel_hi:[1,1,0]
	s_delay_alu instid0(VALU_DEP_1) | instskip(SKIP_4) | instid1(VALU_DEP_1)
	v_mov_b32_e32 v229, v225
	ds_load_2addr_b64 v[224:227], v0 offset0:39 offset1:40
	v_pk_add_f32 v[162:163], v[162:163], v[228:229] neg_lo:[0,1] neg_hi:[0,1]
	s_wait_dscnt 0x0
	v_pk_mul_f32 v[228:229], v[224:225], v[222:223] op_sel:[0,1]
	v_pk_fma_f32 v[230:231], v[224:225], v[220:221], v[228:229] op_sel:[0,0,1] op_sel_hi:[1,1,0] neg_lo:[0,0,1] neg_hi:[0,0,1]
	v_pk_fma_f32 v[224:225], v[224:225], v[220:221], v[228:229] op_sel:[0,0,1] op_sel_hi:[1,0,0]
	s_delay_alu instid0(VALU_DEP_1) | instskip(SKIP_1) | instid1(VALU_DEP_1)
	v_mov_b32_e32 v231, v225
	v_pk_mul_f32 v[224:225], v[226:227], v[222:223] op_sel:[0,1]
	v_pk_fma_f32 v[228:229], v[226:227], v[220:221], v[224:225] op_sel:[0,0,1] op_sel_hi:[1,1,0] neg_lo:[0,0,1] neg_hi:[0,0,1]
	v_pk_fma_f32 v[224:225], v[226:227], v[220:221], v[224:225] op_sel:[0,0,1] op_sel_hi:[1,0,0]
	s_delay_alu instid0(VALU_DEP_1)
	v_mov_b32_e32 v229, v225
	ds_load_b64 v[224:225], v0 offset:328
	v_pk_add_f32 v[158:159], v[158:159], v[230:231] neg_lo:[0,1] neg_hi:[0,1]
	v_pk_add_f32 v[166:167], v[166:167], v[228:229] neg_lo:[0,1] neg_hi:[0,1]
	s_wait_dscnt 0x0
	v_pk_mul_f32 v[222:223], v[224:225], v[222:223] op_sel:[0,1]
	s_delay_alu instid0(VALU_DEP_1) | instskip(SKIP_1) | instid1(VALU_DEP_1)
	v_pk_fma_f32 v[226:227], v[224:225], v[220:221], v[222:223] op_sel:[0,0,1] op_sel_hi:[1,1,0] neg_lo:[0,0,1] neg_hi:[0,0,1]
	v_pk_fma_f32 v[220:221], v[224:225], v[220:221], v[222:223] op_sel:[0,0,1] op_sel_hi:[1,0,0]
	v_mov_b32_e32 v227, v221
	s_delay_alu instid0(VALU_DEP_1)
	v_pk_add_f32 v[168:169], v[168:169], v[226:227] neg_lo:[0,1] neg_hi:[0,1]
.LBB83_226:
	s_or_b32 exec_lo, exec_lo, s1
	s_delay_alu instid0(SALU_CYCLE_1)
	s_mov_b32 s2, exec_lo
	s_wait_dscnt 0x0
	s_barrier_signal -1
	s_barrier_wait -1
	v_cmpx_eq_u32_e32 25, v254
	s_cbranch_execz .LBB83_233
; %bb.227:
	v_dual_mov_b32 v220, v104 :: v_dual_mov_b32 v221, v105
	v_dual_mov_b32 v222, v100 :: v_dual_mov_b32 v223, v101
	;; [unrolled: 1-line block ×4, first 2 shown]
	ds_store_b64 v255, v[102:103]
	ds_store_2addr_b64 v0, v[220:221], v[222:223] offset0:26 offset1:27
	ds_store_2addr_b64 v0, v[224:225], v[226:227] offset0:28 offset1:29
	v_dual_mov_b32 v220, v126 :: v_dual_mov_b32 v221, v127
	v_dual_mov_b32 v222, v122 :: v_dual_mov_b32 v223, v123
	;; [unrolled: 1-line block ×11, first 2 shown]
	ds_store_2addr_b64 v0, v[220:221], v[222:223] offset0:30 offset1:31
	ds_store_2addr_b64 v0, v[224:225], v[226:227] offset0:32 offset1:33
	;; [unrolled: 1-line block ×6, first 2 shown]
	ds_load_b64 v[220:221], v255
	s_wait_dscnt 0x0
	v_cmp_neq_f32_e32 vcc_lo, 0, v220
	v_cmp_neq_f32_e64 s1, 0, v221
	s_or_b32 s1, vcc_lo, s1
	s_delay_alu instid0(SALU_CYCLE_1)
	s_and_b32 exec_lo, exec_lo, s1
	s_cbranch_execz .LBB83_233
; %bb.228:
	v_cmp_ngt_f32_e64 s1, |v220|, |v221|
                                        ; implicit-def: $vgpr222_vgpr223
	s_and_saveexec_b32 s4, s1
	s_delay_alu instid0(SALU_CYCLE_1)
	s_xor_b32 s1, exec_lo, s4
	s_cbranch_execz .LBB83_230
; %bb.229:
	v_div_scale_f32 v1, null, v221, v221, v220
	v_div_scale_f32 v6, vcc_lo, v220, v221, v220
	s_delay_alu instid0(VALU_DEP_2) | instskip(SKIP_1) | instid1(TRANS32_DEP_1)
	v_rcp_f32_e32 v4, v1
	v_nop
	v_fma_f32 v5, -v1, v4, 1.0
	s_delay_alu instid0(VALU_DEP_1) | instskip(NEXT) | instid1(VALU_DEP_1)
	v_fmac_f32_e32 v4, v5, v4
	v_mul_f32_e32 v5, v6, v4
	s_delay_alu instid0(VALU_DEP_1) | instskip(NEXT) | instid1(VALU_DEP_1)
	v_fma_f32 v7, -v1, v5, v6
	v_fmac_f32_e32 v5, v7, v4
	s_delay_alu instid0(VALU_DEP_1) | instskip(NEXT) | instid1(VALU_DEP_1)
	v_fma_f32 v1, -v1, v5, v6
	v_div_fmas_f32 v1, v1, v4, v5
	s_delay_alu instid0(VALU_DEP_1) | instskip(NEXT) | instid1(VALU_DEP_1)
	v_div_fixup_f32 v1, v1, v221, v220
	v_fmac_f32_e32 v221, v220, v1
	s_delay_alu instid0(VALU_DEP_1) | instskip(SKIP_1) | instid1(VALU_DEP_2)
	v_div_scale_f32 v4, null, v221, v221, 1.0
	v_div_scale_f32 v7, vcc_lo, 1.0, v221, 1.0
	v_rcp_f32_e32 v5, v4
	v_nop
	s_delay_alu instid0(TRANS32_DEP_1) | instskip(NEXT) | instid1(VALU_DEP_1)
	v_fma_f32 v6, -v4, v5, 1.0
	v_fmac_f32_e32 v5, v6, v5
	s_delay_alu instid0(VALU_DEP_1) | instskip(NEXT) | instid1(VALU_DEP_1)
	v_mul_f32_e32 v6, v7, v5
	v_fma_f32 v8, -v4, v6, v7
	s_delay_alu instid0(VALU_DEP_1) | instskip(NEXT) | instid1(VALU_DEP_1)
	v_fmac_f32_e32 v6, v8, v5
	v_fma_f32 v4, -v4, v6, v7
	s_delay_alu instid0(VALU_DEP_1) | instskip(NEXT) | instid1(VALU_DEP_1)
	v_div_fmas_f32 v4, v4, v5, v6
	v_div_fixup_f32 v4, v4, v221, 1.0
                                        ; implicit-def: $vgpr220_vgpr221
	s_delay_alu instid0(VALU_DEP_1)
	v_mul_f32_e32 v222, v1, v4
	v_xor_b32_e32 v223, 0x80000000, v4
.LBB83_230:
	s_and_not1_saveexec_b32 s1, s1
	s_cbranch_execz .LBB83_232
; %bb.231:
	v_div_scale_f32 v1, null, v220, v220, v221
	v_div_scale_f32 v6, vcc_lo, v221, v220, v221
	s_delay_alu instid0(VALU_DEP_2) | instskip(SKIP_1) | instid1(TRANS32_DEP_1)
	v_rcp_f32_e32 v4, v1
	v_nop
	v_fma_f32 v5, -v1, v4, 1.0
	s_delay_alu instid0(VALU_DEP_1) | instskip(NEXT) | instid1(VALU_DEP_1)
	v_fmac_f32_e32 v4, v5, v4
	v_mul_f32_e32 v5, v6, v4
	s_delay_alu instid0(VALU_DEP_1) | instskip(NEXT) | instid1(VALU_DEP_1)
	v_fma_f32 v7, -v1, v5, v6
	v_fmac_f32_e32 v5, v7, v4
	s_delay_alu instid0(VALU_DEP_1) | instskip(NEXT) | instid1(VALU_DEP_1)
	v_fma_f32 v1, -v1, v5, v6
	v_div_fmas_f32 v1, v1, v4, v5
	s_delay_alu instid0(VALU_DEP_1) | instskip(NEXT) | instid1(VALU_DEP_1)
	v_div_fixup_f32 v1, v1, v220, v221
	v_fmac_f32_e32 v220, v221, v1
	s_delay_alu instid0(VALU_DEP_1) | instskip(NEXT) | instid1(VALU_DEP_1)
	v_div_scale_f32 v4, null, v220, v220, 1.0
	v_rcp_f32_e32 v5, v4
	v_nop
	s_delay_alu instid0(TRANS32_DEP_1) | instskip(NEXT) | instid1(VALU_DEP_1)
	v_fma_f32 v6, -v4, v5, 1.0
	v_fmac_f32_e32 v5, v6, v5
	v_div_scale_f32 v6, vcc_lo, 1.0, v220, 1.0
	s_delay_alu instid0(VALU_DEP_1) | instskip(NEXT) | instid1(VALU_DEP_1)
	v_mul_f32_e32 v7, v6, v5
	v_fma_f32 v8, -v4, v7, v6
	s_delay_alu instid0(VALU_DEP_1) | instskip(NEXT) | instid1(VALU_DEP_1)
	v_fmac_f32_e32 v7, v8, v5
	v_fma_f32 v4, -v4, v7, v6
	s_delay_alu instid0(VALU_DEP_1) | instskip(NEXT) | instid1(VALU_DEP_1)
	v_div_fmas_f32 v4, v4, v5, v7
	v_div_fixup_f32 v222, v4, v220, 1.0
	s_delay_alu instid0(VALU_DEP_1)
	v_mul_f32_e64 v223, v1, -v222
.LBB83_232:
	s_or_b32 exec_lo, exec_lo, s1
	ds_store_b64 v255, v[222:223]
.LBB83_233:
	s_or_b32 exec_lo, exec_lo, s2
	s_wait_dscnt 0x0
	s_barrier_signal -1
	s_barrier_wait -1
	ds_load_b64 v[220:221], v255
	s_mov_b32 s1, exec_lo
	v_cmpx_lt_u32_e32 25, v254
	s_cbranch_execz .LBB83_235
; %bb.234:
	ds_load_2addr_b64 v[226:229], v0 offset0:26 offset1:27
	s_wait_dscnt 0x1
	v_pk_mul_f32 v[224:225], v[220:221], v[102:103] op_sel:[1,1] op_sel_hi:[0,1]
	s_delay_alu instid0(VALU_DEP_1) | instskip(SKIP_1) | instid1(VALU_DEP_1)
	v_pk_fma_f32 v[222:223], v[220:221], v[102:103], v[224:225] op_sel_hi:[1,0,1] neg_lo:[0,0,1] neg_hi:[0,0,1]
	v_pk_fma_f32 v[224:225], v[220:221], v[102:103], v[224:225] op_sel_hi:[1,0,1]
	v_dual_mov_b32 v102, v222 :: v_dual_mov_b32 v103, v225
	s_wait_dscnt 0x0
	s_delay_alu instid0(VALU_DEP_2) | instskip(NEXT) | instid1(VALU_DEP_1)
	v_pk_mul_f32 v[230:231], v[226:227], v[224:225] op_sel:[0,1]
	v_pk_fma_f32 v[232:233], v[226:227], v[222:223], v[230:231] op_sel:[0,0,1] op_sel_hi:[1,1,0] neg_lo:[0,0,1] neg_hi:[0,0,1]
	v_pk_fma_f32 v[226:227], v[226:227], v[222:223], v[230:231] op_sel:[0,0,1] op_sel_hi:[1,0,0]
	s_delay_alu instid0(VALU_DEP_1) | instskip(SKIP_1) | instid1(VALU_DEP_1)
	v_mov_b32_e32 v233, v227
	v_pk_mul_f32 v[226:227], v[228:229], v[224:225] op_sel:[0,1]
	v_pk_fma_f32 v[230:231], v[228:229], v[222:223], v[226:227] op_sel:[0,0,1] op_sel_hi:[1,1,0] neg_lo:[0,0,1] neg_hi:[0,0,1]
	v_pk_fma_f32 v[226:227], v[228:229], v[222:223], v[226:227] op_sel:[0,0,1] op_sel_hi:[1,0,0]
	s_delay_alu instid0(VALU_DEP_1)
	v_mov_b32_e32 v231, v227
	ds_load_2addr_b64 v[226:229], v0 offset0:28 offset1:29
	v_pk_add_f32 v[104:105], v[104:105], v[232:233] neg_lo:[0,1] neg_hi:[0,1]
	v_pk_add_f32 v[100:101], v[100:101], v[230:231] neg_lo:[0,1] neg_hi:[0,1]
	s_wait_dscnt 0x0
	v_pk_mul_f32 v[230:231], v[226:227], v[224:225] op_sel:[0,1]
	s_delay_alu instid0(VALU_DEP_1) | instskip(SKIP_2) | instid1(VALU_DEP_2)
	v_pk_fma_f32 v[232:233], v[226:227], v[222:223], v[230:231] op_sel:[0,0,1] op_sel_hi:[1,1,0] neg_lo:[0,0,1] neg_hi:[0,0,1]
	v_pk_fma_f32 v[226:227], v[226:227], v[222:223], v[230:231] op_sel:[0,0,1] op_sel_hi:[1,0,0]
	v_dual_mul_f32 v230, v229, v225 :: v_dual_mov_b32 v226, v229
	v_dual_mov_b32 v233, v227 :: v_dual_mov_b32 v227, v228
	s_delay_alu instid0(VALU_DEP_2) | instskip(SKIP_1) | instid1(VALU_DEP_3)
	v_pk_fma_f32 v[230:231], v[228:229], v[102:103], v[230:231] op_sel_hi:[1,1,0] neg_lo:[0,0,1] neg_hi:[0,0,1]
	v_mul_f32_e32 v228, v229, v222
	v_pk_add_f32 v[128:129], v[128:129], v[232:233] neg_lo:[0,1] neg_hi:[0,1]
	s_delay_alu instid0(VALU_DEP_2) | instskip(NEXT) | instid1(VALU_DEP_1)
	v_pk_fma_f32 v[226:227], v[226:227], v[102:103], v[228:229] op_sel_hi:[1,1,0]
	v_mov_b32_e32 v231, v227
	ds_load_2addr_b64 v[226:229], v0 offset0:30 offset1:31
	v_pk_add_f32 v[124:125], v[124:125], v[230:231] neg_lo:[0,1] neg_hi:[0,1]
	s_wait_dscnt 0x0
	v_pk_mul_f32 v[230:231], v[226:227], v[224:225] op_sel:[0,1]
	s_delay_alu instid0(VALU_DEP_1) | instskip(SKIP_1) | instid1(VALU_DEP_1)
	v_pk_fma_f32 v[232:233], v[226:227], v[222:223], v[230:231] op_sel:[0,0,1] op_sel_hi:[1,1,0] neg_lo:[0,0,1] neg_hi:[0,0,1]
	v_pk_fma_f32 v[226:227], v[226:227], v[222:223], v[230:231] op_sel:[0,0,1] op_sel_hi:[1,0,0]
	v_mov_b32_e32 v233, v227
	v_pk_mul_f32 v[226:227], v[228:229], v[224:225] op_sel:[0,1]
	s_delay_alu instid0(VALU_DEP_1) | instskip(SKIP_1) | instid1(VALU_DEP_1)
	v_pk_fma_f32 v[230:231], v[228:229], v[222:223], v[226:227] op_sel:[0,0,1] op_sel_hi:[1,1,0] neg_lo:[0,0,1] neg_hi:[0,0,1]
	v_pk_fma_f32 v[226:227], v[228:229], v[222:223], v[226:227] op_sel:[0,0,1] op_sel_hi:[1,0,0]
	v_mov_b32_e32 v231, v227
	ds_load_2addr_b64 v[226:229], v0 offset0:32 offset1:33
	v_pk_add_f32 v[126:127], v[126:127], v[232:233] neg_lo:[0,1] neg_hi:[0,1]
	v_pk_add_f32 v[122:123], v[122:123], v[230:231] neg_lo:[0,1] neg_hi:[0,1]
	s_wait_dscnt 0x0
	v_pk_mul_f32 v[230:231], v[226:227], v[224:225] op_sel:[0,1]
	s_delay_alu instid0(VALU_DEP_1) | instskip(SKIP_1) | instid1(VALU_DEP_1)
	v_pk_fma_f32 v[232:233], v[226:227], v[222:223], v[230:231] op_sel:[0,0,1] op_sel_hi:[1,1,0] neg_lo:[0,0,1] neg_hi:[0,0,1]
	v_pk_fma_f32 v[226:227], v[226:227], v[222:223], v[230:231] op_sel:[0,0,1] op_sel_hi:[1,0,0]
	v_mov_b32_e32 v233, v227
	v_pk_mul_f32 v[226:227], v[228:229], v[224:225] op_sel:[0,1]
	s_delay_alu instid0(VALU_DEP_1) | instskip(SKIP_1) | instid1(VALU_DEP_1)
	v_pk_fma_f32 v[230:231], v[228:229], v[222:223], v[226:227] op_sel:[0,0,1] op_sel_hi:[1,1,0] neg_lo:[0,0,1] neg_hi:[0,0,1]
	v_pk_fma_f32 v[226:227], v[228:229], v[222:223], v[226:227] op_sel:[0,0,1] op_sel_hi:[1,0,0]
	v_mov_b32_e32 v231, v227
	ds_load_2addr_b64 v[226:229], v0 offset0:34 offset1:35
	v_pk_add_f32 v[148:149], v[148:149], v[232:233] neg_lo:[0,1] neg_hi:[0,1]
	v_pk_add_f32 v[144:145], v[144:145], v[230:231] neg_lo:[0,1] neg_hi:[0,1]
	s_wait_dscnt 0x0
	v_dual_mul_f32 v230, v227, v225 :: v_dual_mul_f32 v232, v227, v222
	s_delay_alu instid0(VALU_DEP_1) | instskip(NEXT) | instid1(VALU_DEP_2)
	v_pk_fma_f32 v[230:231], v[226:227], v[102:103], v[230:231] op_sel_hi:[1,1,0] neg_lo:[0,0,1] neg_hi:[0,0,1]
	v_pk_fma_f32 v[226:227], v[226:227], v[102:103], v[232:233] op_sel:[1,0,0] op_sel_hi:[0,1,0]
	s_delay_alu instid0(VALU_DEP_1) | instskip(SKIP_1) | instid1(VALU_DEP_2)
	v_mov_b32_e32 v231, v227
	v_pk_mul_f32 v[226:227], v[228:229], v[224:225] op_sel:[0,1]
	v_pk_add_f32 v[146:147], v[146:147], v[230:231] neg_lo:[0,1] neg_hi:[0,1]
	s_delay_alu instid0(VALU_DEP_2) | instskip(SKIP_1) | instid1(VALU_DEP_1)
	v_pk_fma_f32 v[230:231], v[228:229], v[222:223], v[226:227] op_sel:[0,0,1] op_sel_hi:[1,1,0] neg_lo:[0,0,1] neg_hi:[0,0,1]
	v_pk_fma_f32 v[226:227], v[228:229], v[222:223], v[226:227] op_sel:[0,0,1] op_sel_hi:[1,0,0]
	v_mov_b32_e32 v231, v227
	ds_load_2addr_b64 v[226:229], v0 offset0:36 offset1:37
	v_pk_add_f32 v[142:143], v[142:143], v[230:231] neg_lo:[0,1] neg_hi:[0,1]
	s_wait_dscnt 0x0
	v_pk_mul_f32 v[230:231], v[226:227], v[224:225] op_sel:[0,1]
	s_delay_alu instid0(VALU_DEP_1) | instskip(SKIP_1) | instid1(VALU_DEP_1)
	v_pk_fma_f32 v[232:233], v[226:227], v[222:223], v[230:231] op_sel:[0,0,1] op_sel_hi:[1,1,0] neg_lo:[0,0,1] neg_hi:[0,0,1]
	v_pk_fma_f32 v[226:227], v[226:227], v[222:223], v[230:231] op_sel:[0,0,1] op_sel_hi:[1,0,0]
	v_mov_b32_e32 v233, v227
	v_pk_mul_f32 v[226:227], v[228:229], v[224:225] op_sel:[0,1]
	s_delay_alu instid0(VALU_DEP_2) | instskip(NEXT) | instid1(VALU_DEP_2)
	v_pk_add_f32 v[164:165], v[164:165], v[232:233] neg_lo:[0,1] neg_hi:[0,1]
	v_pk_fma_f32 v[230:231], v[228:229], v[222:223], v[226:227] op_sel:[0,0,1] op_sel_hi:[1,1,0] neg_lo:[0,0,1] neg_hi:[0,0,1]
	v_pk_fma_f32 v[226:227], v[228:229], v[222:223], v[226:227] op_sel:[0,0,1] op_sel_hi:[1,0,0]
	s_delay_alu instid0(VALU_DEP_1) | instskip(SKIP_4) | instid1(VALU_DEP_1)
	v_mov_b32_e32 v231, v227
	ds_load_2addr_b64 v[226:229], v0 offset0:38 offset1:39
	v_pk_add_f32 v[160:161], v[160:161], v[230:231] neg_lo:[0,1] neg_hi:[0,1]
	s_wait_dscnt 0x0
	v_pk_mul_f32 v[230:231], v[226:227], v[224:225] op_sel:[0,1]
	v_pk_fma_f32 v[232:233], v[226:227], v[222:223], v[230:231] op_sel:[0,0,1] op_sel_hi:[1,1,0] neg_lo:[0,0,1] neg_hi:[0,0,1]
	v_pk_fma_f32 v[226:227], v[226:227], v[222:223], v[230:231] op_sel:[0,0,1] op_sel_hi:[1,0,0]
	v_dual_mul_f32 v230, v229, v225 :: v_dual_mov_b32 v226, v229
	s_delay_alu instid0(VALU_DEP_2) | instskip(NEXT) | instid1(VALU_DEP_2)
	v_dual_mov_b32 v233, v227 :: v_dual_mov_b32 v227, v228
	v_pk_fma_f32 v[230:231], v[228:229], v[102:103], v[230:231] op_sel_hi:[1,1,0] neg_lo:[0,0,1] neg_hi:[0,0,1]
	v_mul_f32_e32 v228, v229, v222
	s_delay_alu instid0(VALU_DEP_3) | instskip(NEXT) | instid1(VALU_DEP_2)
	v_pk_add_f32 v[162:163], v[162:163], v[232:233] neg_lo:[0,1] neg_hi:[0,1]
	v_pk_fma_f32 v[226:227], v[226:227], v[102:103], v[228:229] op_sel_hi:[1,1,0]
	s_delay_alu instid0(VALU_DEP_1)
	v_mov_b32_e32 v231, v227
	ds_load_2addr_b64 v[226:229], v0 offset0:40 offset1:41
	v_pk_add_f32 v[158:159], v[158:159], v[230:231] neg_lo:[0,1] neg_hi:[0,1]
	s_wait_dscnt 0x0
	v_pk_mul_f32 v[230:231], v[226:227], v[224:225] op_sel:[0,1]
	v_pk_mul_f32 v[224:225], v[228:229], v[224:225] op_sel:[0,1]
	s_delay_alu instid0(VALU_DEP_2) | instskip(SKIP_1) | instid1(VALU_DEP_1)
	v_pk_fma_f32 v[232:233], v[226:227], v[222:223], v[230:231] op_sel:[0,0,1] op_sel_hi:[1,1,0] neg_lo:[0,0,1] neg_hi:[0,0,1]
	v_pk_fma_f32 v[226:227], v[226:227], v[222:223], v[230:231] op_sel:[0,0,1] op_sel_hi:[1,0,0]
	v_mov_b32_e32 v233, v227
	s_delay_alu instid0(VALU_DEP_4) | instskip(SKIP_1) | instid1(VALU_DEP_1)
	v_pk_fma_f32 v[226:227], v[228:229], v[222:223], v[224:225] op_sel:[0,0,1] op_sel_hi:[1,1,0] neg_lo:[0,0,1] neg_hi:[0,0,1]
	v_pk_fma_f32 v[222:223], v[228:229], v[222:223], v[224:225] op_sel:[0,0,1] op_sel_hi:[1,0,0]
	v_mov_b32_e32 v227, v223
	s_delay_alu instid0(VALU_DEP_4) | instskip(NEXT) | instid1(VALU_DEP_2)
	v_pk_add_f32 v[166:167], v[166:167], v[232:233] neg_lo:[0,1] neg_hi:[0,1]
	v_pk_add_f32 v[168:169], v[168:169], v[226:227] neg_lo:[0,1] neg_hi:[0,1]
.LBB83_235:
	s_or_b32 exec_lo, exec_lo, s1
	s_delay_alu instid0(SALU_CYCLE_1)
	s_mov_b32 s2, exec_lo
	s_wait_dscnt 0x0
	s_barrier_signal -1
	s_barrier_wait -1
	v_cmpx_eq_u32_e32 26, v254
	s_cbranch_execz .LBB83_242
; %bb.236:
	ds_store_b64 v255, v[104:105]
	ds_store_2addr_b64 v0, v[100:101], v[128:129] offset0:27 offset1:28
	ds_store_2addr_b64 v0, v[124:125], v[126:127] offset0:29 offset1:30
	ds_store_2addr_b64 v0, v[122:123], v[148:149] offset0:31 offset1:32
	ds_store_2addr_b64 v0, v[144:145], v[146:147] offset0:33 offset1:34
	ds_store_2addr_b64 v0, v[142:143], v[164:165] offset0:35 offset1:36
	ds_store_2addr_b64 v0, v[160:161], v[162:163] offset0:37 offset1:38
	ds_store_2addr_b64 v0, v[158:159], v[166:167] offset0:39 offset1:40
	ds_store_b64 v0, v[168:169] offset:328
	ds_load_b64 v[222:223], v255
	s_wait_dscnt 0x0
	v_cmp_neq_f32_e32 vcc_lo, 0, v222
	v_cmp_neq_f32_e64 s1, 0, v223
	s_or_b32 s1, vcc_lo, s1
	s_delay_alu instid0(SALU_CYCLE_1)
	s_and_b32 exec_lo, exec_lo, s1
	s_cbranch_execz .LBB83_242
; %bb.237:
	v_cmp_ngt_f32_e64 s1, |v222|, |v223|
                                        ; implicit-def: $vgpr224_vgpr225
	s_and_saveexec_b32 s4, s1
	s_delay_alu instid0(SALU_CYCLE_1)
	s_xor_b32 s1, exec_lo, s4
	s_cbranch_execz .LBB83_239
; %bb.238:
	v_div_scale_f32 v1, null, v223, v223, v222
	v_div_scale_f32 v6, vcc_lo, v222, v223, v222
	s_delay_alu instid0(VALU_DEP_2) | instskip(SKIP_1) | instid1(TRANS32_DEP_1)
	v_rcp_f32_e32 v4, v1
	v_nop
	v_fma_f32 v5, -v1, v4, 1.0
	s_delay_alu instid0(VALU_DEP_1) | instskip(NEXT) | instid1(VALU_DEP_1)
	v_fmac_f32_e32 v4, v5, v4
	v_mul_f32_e32 v5, v6, v4
	s_delay_alu instid0(VALU_DEP_1) | instskip(NEXT) | instid1(VALU_DEP_1)
	v_fma_f32 v7, -v1, v5, v6
	v_fmac_f32_e32 v5, v7, v4
	s_delay_alu instid0(VALU_DEP_1) | instskip(NEXT) | instid1(VALU_DEP_1)
	v_fma_f32 v1, -v1, v5, v6
	v_div_fmas_f32 v1, v1, v4, v5
	s_delay_alu instid0(VALU_DEP_1) | instskip(NEXT) | instid1(VALU_DEP_1)
	v_div_fixup_f32 v1, v1, v223, v222
	v_fmac_f32_e32 v223, v222, v1
	s_delay_alu instid0(VALU_DEP_1) | instskip(SKIP_1) | instid1(VALU_DEP_2)
	v_div_scale_f32 v4, null, v223, v223, 1.0
	v_div_scale_f32 v7, vcc_lo, 1.0, v223, 1.0
	v_rcp_f32_e32 v5, v4
	v_nop
	s_delay_alu instid0(TRANS32_DEP_1) | instskip(NEXT) | instid1(VALU_DEP_1)
	v_fma_f32 v6, -v4, v5, 1.0
	v_fmac_f32_e32 v5, v6, v5
	s_delay_alu instid0(VALU_DEP_1) | instskip(NEXT) | instid1(VALU_DEP_1)
	v_mul_f32_e32 v6, v7, v5
	v_fma_f32 v8, -v4, v6, v7
	s_delay_alu instid0(VALU_DEP_1) | instskip(NEXT) | instid1(VALU_DEP_1)
	v_fmac_f32_e32 v6, v8, v5
	v_fma_f32 v4, -v4, v6, v7
	s_delay_alu instid0(VALU_DEP_1) | instskip(NEXT) | instid1(VALU_DEP_1)
	v_div_fmas_f32 v4, v4, v5, v6
	v_div_fixup_f32 v4, v4, v223, 1.0
                                        ; implicit-def: $vgpr222_vgpr223
	s_delay_alu instid0(VALU_DEP_1)
	v_mul_f32_e32 v224, v1, v4
	v_xor_b32_e32 v225, 0x80000000, v4
.LBB83_239:
	s_and_not1_saveexec_b32 s1, s1
	s_cbranch_execz .LBB83_241
; %bb.240:
	v_div_scale_f32 v1, null, v222, v222, v223
	v_div_scale_f32 v6, vcc_lo, v223, v222, v223
	s_delay_alu instid0(VALU_DEP_2) | instskip(SKIP_1) | instid1(TRANS32_DEP_1)
	v_rcp_f32_e32 v4, v1
	v_nop
	v_fma_f32 v5, -v1, v4, 1.0
	s_delay_alu instid0(VALU_DEP_1) | instskip(NEXT) | instid1(VALU_DEP_1)
	v_fmac_f32_e32 v4, v5, v4
	v_mul_f32_e32 v5, v6, v4
	s_delay_alu instid0(VALU_DEP_1) | instskip(NEXT) | instid1(VALU_DEP_1)
	v_fma_f32 v7, -v1, v5, v6
	v_fmac_f32_e32 v5, v7, v4
	s_delay_alu instid0(VALU_DEP_1) | instskip(NEXT) | instid1(VALU_DEP_1)
	v_fma_f32 v1, -v1, v5, v6
	v_div_fmas_f32 v1, v1, v4, v5
	s_delay_alu instid0(VALU_DEP_1) | instskip(NEXT) | instid1(VALU_DEP_1)
	v_div_fixup_f32 v1, v1, v222, v223
	v_fmac_f32_e32 v222, v223, v1
	s_delay_alu instid0(VALU_DEP_1) | instskip(NEXT) | instid1(VALU_DEP_1)
	v_div_scale_f32 v4, null, v222, v222, 1.0
	v_rcp_f32_e32 v5, v4
	v_nop
	s_delay_alu instid0(TRANS32_DEP_1) | instskip(NEXT) | instid1(VALU_DEP_1)
	v_fma_f32 v6, -v4, v5, 1.0
	v_fmac_f32_e32 v5, v6, v5
	v_div_scale_f32 v6, vcc_lo, 1.0, v222, 1.0
	s_delay_alu instid0(VALU_DEP_1) | instskip(NEXT) | instid1(VALU_DEP_1)
	v_mul_f32_e32 v7, v6, v5
	v_fma_f32 v8, -v4, v7, v6
	s_delay_alu instid0(VALU_DEP_1) | instskip(NEXT) | instid1(VALU_DEP_1)
	v_fmac_f32_e32 v7, v8, v5
	v_fma_f32 v4, -v4, v7, v6
	s_delay_alu instid0(VALU_DEP_1) | instskip(NEXT) | instid1(VALU_DEP_1)
	v_div_fmas_f32 v4, v4, v5, v7
	v_div_fixup_f32 v224, v4, v222, 1.0
	s_delay_alu instid0(VALU_DEP_1)
	v_mul_f32_e64 v225, v1, -v224
.LBB83_241:
	s_or_b32 exec_lo, exec_lo, s1
	ds_store_b64 v255, v[224:225]
.LBB83_242:
	s_or_b32 exec_lo, exec_lo, s2
	s_wait_dscnt 0x0
	s_barrier_signal -1
	s_barrier_wait -1
	ds_load_b64 v[222:223], v255
	s_mov_b32 s1, exec_lo
	v_cmpx_lt_u32_e32 26, v254
	s_cbranch_execz .LBB83_244
; %bb.243:
	ds_load_2addr_b64 v[228:231], v0 offset0:27 offset1:28
	s_wait_dscnt 0x1
	v_pk_mul_f32 v[226:227], v[222:223], v[104:105] op_sel:[1,1] op_sel_hi:[0,1]
	s_delay_alu instid0(VALU_DEP_1) | instskip(SKIP_1) | instid1(VALU_DEP_1)
	v_pk_fma_f32 v[224:225], v[222:223], v[104:105], v[226:227] op_sel_hi:[1,0,1] neg_lo:[0,0,1] neg_hi:[0,0,1]
	v_pk_fma_f32 v[226:227], v[222:223], v[104:105], v[226:227] op_sel_hi:[1,0,1]
	v_dual_mov_b32 v104, v224 :: v_dual_mov_b32 v105, v227
	s_wait_dscnt 0x0
	s_delay_alu instid0(VALU_DEP_2) | instskip(NEXT) | instid1(VALU_DEP_1)
	v_pk_mul_f32 v[232:233], v[228:229], v[226:227] op_sel:[0,1]
	v_pk_fma_f32 v[234:235], v[228:229], v[224:225], v[232:233] op_sel:[0,0,1] op_sel_hi:[1,1,0] neg_lo:[0,0,1] neg_hi:[0,0,1]
	v_pk_fma_f32 v[228:229], v[228:229], v[224:225], v[232:233] op_sel:[0,0,1] op_sel_hi:[1,0,0]
	s_delay_alu instid0(VALU_DEP_1) | instskip(SKIP_1) | instid1(VALU_DEP_1)
	v_mov_b32_e32 v235, v229
	v_pk_mul_f32 v[228:229], v[230:231], v[226:227] op_sel:[0,1]
	v_pk_fma_f32 v[232:233], v[230:231], v[224:225], v[228:229] op_sel:[0,0,1] op_sel_hi:[1,1,0] neg_lo:[0,0,1] neg_hi:[0,0,1]
	v_pk_fma_f32 v[228:229], v[230:231], v[224:225], v[228:229] op_sel:[0,0,1] op_sel_hi:[1,0,0]
	s_delay_alu instid0(VALU_DEP_1)
	v_mov_b32_e32 v233, v229
	ds_load_2addr_b64 v[228:231], v0 offset0:29 offset1:30
	v_pk_add_f32 v[100:101], v[100:101], v[234:235] neg_lo:[0,1] neg_hi:[0,1]
	v_pk_add_f32 v[128:129], v[128:129], v[232:233] neg_lo:[0,1] neg_hi:[0,1]
	s_wait_dscnt 0x0
	v_pk_mul_f32 v[232:233], v[228:229], v[226:227] op_sel:[0,1]
	s_delay_alu instid0(VALU_DEP_1) | instskip(SKIP_2) | instid1(VALU_DEP_2)
	v_pk_fma_f32 v[234:235], v[228:229], v[224:225], v[232:233] op_sel:[0,0,1] op_sel_hi:[1,1,0] neg_lo:[0,0,1] neg_hi:[0,0,1]
	v_pk_fma_f32 v[228:229], v[228:229], v[224:225], v[232:233] op_sel:[0,0,1] op_sel_hi:[1,0,0]
	v_dual_mul_f32 v232, v231, v227 :: v_dual_mov_b32 v228, v231
	v_dual_mov_b32 v235, v229 :: v_dual_mov_b32 v229, v230
	s_delay_alu instid0(VALU_DEP_2) | instskip(SKIP_1) | instid1(VALU_DEP_3)
	v_pk_fma_f32 v[232:233], v[230:231], v[104:105], v[232:233] op_sel_hi:[1,1,0] neg_lo:[0,0,1] neg_hi:[0,0,1]
	v_mul_f32_e32 v230, v231, v224
	v_pk_add_f32 v[124:125], v[124:125], v[234:235] neg_lo:[0,1] neg_hi:[0,1]
	s_delay_alu instid0(VALU_DEP_2) | instskip(NEXT) | instid1(VALU_DEP_1)
	v_pk_fma_f32 v[228:229], v[228:229], v[104:105], v[230:231] op_sel_hi:[1,1,0]
	v_mov_b32_e32 v233, v229
	ds_load_2addr_b64 v[228:231], v0 offset0:31 offset1:32
	v_pk_add_f32 v[126:127], v[126:127], v[232:233] neg_lo:[0,1] neg_hi:[0,1]
	s_wait_dscnt 0x0
	v_pk_mul_f32 v[232:233], v[228:229], v[226:227] op_sel:[0,1]
	s_delay_alu instid0(VALU_DEP_1) | instskip(SKIP_1) | instid1(VALU_DEP_1)
	v_pk_fma_f32 v[234:235], v[228:229], v[224:225], v[232:233] op_sel:[0,0,1] op_sel_hi:[1,1,0] neg_lo:[0,0,1] neg_hi:[0,0,1]
	v_pk_fma_f32 v[228:229], v[228:229], v[224:225], v[232:233] op_sel:[0,0,1] op_sel_hi:[1,0,0]
	v_mov_b32_e32 v235, v229
	v_pk_mul_f32 v[228:229], v[230:231], v[226:227] op_sel:[0,1]
	s_delay_alu instid0(VALU_DEP_1) | instskip(SKIP_1) | instid1(VALU_DEP_1)
	v_pk_fma_f32 v[232:233], v[230:231], v[224:225], v[228:229] op_sel:[0,0,1] op_sel_hi:[1,1,0] neg_lo:[0,0,1] neg_hi:[0,0,1]
	v_pk_fma_f32 v[228:229], v[230:231], v[224:225], v[228:229] op_sel:[0,0,1] op_sel_hi:[1,0,0]
	v_mov_b32_e32 v233, v229
	ds_load_2addr_b64 v[228:231], v0 offset0:33 offset1:34
	v_pk_add_f32 v[122:123], v[122:123], v[234:235] neg_lo:[0,1] neg_hi:[0,1]
	v_pk_add_f32 v[148:149], v[148:149], v[232:233] neg_lo:[0,1] neg_hi:[0,1]
	s_wait_dscnt 0x0
	v_pk_mul_f32 v[232:233], v[228:229], v[226:227] op_sel:[0,1]
	s_delay_alu instid0(VALU_DEP_1) | instskip(SKIP_1) | instid1(VALU_DEP_1)
	v_pk_fma_f32 v[234:235], v[228:229], v[224:225], v[232:233] op_sel:[0,0,1] op_sel_hi:[1,1,0] neg_lo:[0,0,1] neg_hi:[0,0,1]
	v_pk_fma_f32 v[228:229], v[228:229], v[224:225], v[232:233] op_sel:[0,0,1] op_sel_hi:[1,0,0]
	v_mov_b32_e32 v235, v229
	v_pk_mul_f32 v[228:229], v[230:231], v[226:227] op_sel:[0,1]
	s_delay_alu instid0(VALU_DEP_1) | instskip(SKIP_1) | instid1(VALU_DEP_1)
	v_pk_fma_f32 v[232:233], v[230:231], v[224:225], v[228:229] op_sel:[0,0,1] op_sel_hi:[1,1,0] neg_lo:[0,0,1] neg_hi:[0,0,1]
	v_pk_fma_f32 v[228:229], v[230:231], v[224:225], v[228:229] op_sel:[0,0,1] op_sel_hi:[1,0,0]
	v_mov_b32_e32 v233, v229
	ds_load_2addr_b64 v[228:231], v0 offset0:35 offset1:36
	v_pk_add_f32 v[144:145], v[144:145], v[234:235] neg_lo:[0,1] neg_hi:[0,1]
	v_pk_add_f32 v[146:147], v[146:147], v[232:233] neg_lo:[0,1] neg_hi:[0,1]
	s_wait_dscnt 0x0
	v_dual_mul_f32 v232, v229, v227 :: v_dual_mul_f32 v234, v229, v224
	s_delay_alu instid0(VALU_DEP_1) | instskip(NEXT) | instid1(VALU_DEP_2)
	v_pk_fma_f32 v[232:233], v[228:229], v[104:105], v[232:233] op_sel_hi:[1,1,0] neg_lo:[0,0,1] neg_hi:[0,0,1]
	v_pk_fma_f32 v[228:229], v[228:229], v[104:105], v[234:235] op_sel:[1,0,0] op_sel_hi:[0,1,0]
	s_delay_alu instid0(VALU_DEP_1) | instskip(SKIP_1) | instid1(VALU_DEP_2)
	v_mov_b32_e32 v233, v229
	v_pk_mul_f32 v[228:229], v[230:231], v[226:227] op_sel:[0,1]
	v_pk_add_f32 v[142:143], v[142:143], v[232:233] neg_lo:[0,1] neg_hi:[0,1]
	s_delay_alu instid0(VALU_DEP_2) | instskip(SKIP_1) | instid1(VALU_DEP_1)
	v_pk_fma_f32 v[232:233], v[230:231], v[224:225], v[228:229] op_sel:[0,0,1] op_sel_hi:[1,1,0] neg_lo:[0,0,1] neg_hi:[0,0,1]
	v_pk_fma_f32 v[228:229], v[230:231], v[224:225], v[228:229] op_sel:[0,0,1] op_sel_hi:[1,0,0]
	v_mov_b32_e32 v233, v229
	ds_load_2addr_b64 v[228:231], v0 offset0:37 offset1:38
	v_pk_add_f32 v[164:165], v[164:165], v[232:233] neg_lo:[0,1] neg_hi:[0,1]
	s_wait_dscnt 0x0
	v_pk_mul_f32 v[232:233], v[228:229], v[226:227] op_sel:[0,1]
	s_delay_alu instid0(VALU_DEP_1) | instskip(SKIP_1) | instid1(VALU_DEP_1)
	v_pk_fma_f32 v[234:235], v[228:229], v[224:225], v[232:233] op_sel:[0,0,1] op_sel_hi:[1,1,0] neg_lo:[0,0,1] neg_hi:[0,0,1]
	v_pk_fma_f32 v[228:229], v[228:229], v[224:225], v[232:233] op_sel:[0,0,1] op_sel_hi:[1,0,0]
	v_mov_b32_e32 v235, v229
	v_pk_mul_f32 v[228:229], v[230:231], v[226:227] op_sel:[0,1]
	s_delay_alu instid0(VALU_DEP_2) | instskip(NEXT) | instid1(VALU_DEP_2)
	v_pk_add_f32 v[160:161], v[160:161], v[234:235] neg_lo:[0,1] neg_hi:[0,1]
	v_pk_fma_f32 v[232:233], v[230:231], v[224:225], v[228:229] op_sel:[0,0,1] op_sel_hi:[1,1,0] neg_lo:[0,0,1] neg_hi:[0,0,1]
	v_pk_fma_f32 v[228:229], v[230:231], v[224:225], v[228:229] op_sel:[0,0,1] op_sel_hi:[1,0,0]
	s_delay_alu instid0(VALU_DEP_1) | instskip(SKIP_4) | instid1(VALU_DEP_1)
	v_mov_b32_e32 v233, v229
	ds_load_2addr_b64 v[228:231], v0 offset0:39 offset1:40
	v_pk_add_f32 v[162:163], v[162:163], v[232:233] neg_lo:[0,1] neg_hi:[0,1]
	s_wait_dscnt 0x0
	v_pk_mul_f32 v[232:233], v[228:229], v[226:227] op_sel:[0,1]
	v_pk_fma_f32 v[234:235], v[228:229], v[224:225], v[232:233] op_sel:[0,0,1] op_sel_hi:[1,1,0] neg_lo:[0,0,1] neg_hi:[0,0,1]
	v_pk_fma_f32 v[228:229], v[228:229], v[224:225], v[232:233] op_sel:[0,0,1] op_sel_hi:[1,0,0]
	v_dual_mul_f32 v232, v231, v227 :: v_dual_mov_b32 v228, v231
	s_delay_alu instid0(VALU_DEP_2) | instskip(NEXT) | instid1(VALU_DEP_2)
	v_dual_mov_b32 v235, v229 :: v_dual_mov_b32 v229, v230
	v_pk_fma_f32 v[232:233], v[230:231], v[104:105], v[232:233] op_sel_hi:[1,1,0] neg_lo:[0,0,1] neg_hi:[0,0,1]
	v_mul_f32_e32 v230, v231, v224
	s_delay_alu instid0(VALU_DEP_3) | instskip(NEXT) | instid1(VALU_DEP_2)
	v_pk_add_f32 v[158:159], v[158:159], v[234:235] neg_lo:[0,1] neg_hi:[0,1]
	v_pk_fma_f32 v[228:229], v[228:229], v[104:105], v[230:231] op_sel_hi:[1,1,0]
	s_delay_alu instid0(VALU_DEP_1) | instskip(SKIP_4) | instid1(VALU_DEP_1)
	v_mov_b32_e32 v233, v229
	ds_load_b64 v[228:229], v0 offset:328
	v_pk_add_f32 v[166:167], v[166:167], v[232:233] neg_lo:[0,1] neg_hi:[0,1]
	s_wait_dscnt 0x0
	v_pk_mul_f32 v[226:227], v[228:229], v[226:227] op_sel:[0,1]
	v_pk_fma_f32 v[230:231], v[228:229], v[224:225], v[226:227] op_sel:[0,0,1] op_sel_hi:[1,1,0] neg_lo:[0,0,1] neg_hi:[0,0,1]
	v_pk_fma_f32 v[224:225], v[228:229], v[224:225], v[226:227] op_sel:[0,0,1] op_sel_hi:[1,0,0]
	s_delay_alu instid0(VALU_DEP_1) | instskip(NEXT) | instid1(VALU_DEP_1)
	v_mov_b32_e32 v231, v225
	v_pk_add_f32 v[168:169], v[168:169], v[230:231] neg_lo:[0,1] neg_hi:[0,1]
.LBB83_244:
	s_or_b32 exec_lo, exec_lo, s1
	s_delay_alu instid0(SALU_CYCLE_1)
	s_mov_b32 s2, exec_lo
	s_wait_dscnt 0x0
	s_barrier_signal -1
	s_barrier_wait -1
	v_cmpx_eq_u32_e32 27, v254
	s_cbranch_execz .LBB83_251
; %bb.245:
	v_dual_mov_b32 v224, v128 :: v_dual_mov_b32 v225, v129
	v_dual_mov_b32 v226, v124 :: v_dual_mov_b32 v227, v125
	;; [unrolled: 1-line block ×4, first 2 shown]
	ds_store_b64 v255, v[100:101]
	ds_store_2addr_b64 v0, v[224:225], v[226:227] offset0:28 offset1:29
	ds_store_2addr_b64 v0, v[228:229], v[230:231] offset0:30 offset1:31
	v_dual_mov_b32 v224, v148 :: v_dual_mov_b32 v225, v149
	v_dual_mov_b32 v226, v144 :: v_dual_mov_b32 v227, v145
	v_dual_mov_b32 v228, v146 :: v_dual_mov_b32 v229, v147
	v_dual_mov_b32 v230, v142 :: v_dual_mov_b32 v231, v143
	v_dual_mov_b32 v232, v164 :: v_dual_mov_b32 v233, v165
	v_dual_mov_b32 v234, v160 :: v_dual_mov_b32 v235, v161
	v_dual_mov_b32 v236, v162 :: v_dual_mov_b32 v237, v163
	v_dual_mov_b32 v238, v158 :: v_dual_mov_b32 v239, v159
	v_dual_mov_b32 v240, v166 :: v_dual_mov_b32 v241, v167
	ds_store_2addr_b64 v0, v[224:225], v[226:227] offset0:32 offset1:33
	ds_store_2addr_b64 v0, v[228:229], v[230:231] offset0:34 offset1:35
	;; [unrolled: 1-line block ×5, first 2 shown]
	ds_load_b64 v[224:225], v255
	s_wait_dscnt 0x0
	v_cmp_neq_f32_e32 vcc_lo, 0, v224
	v_cmp_neq_f32_e64 s1, 0, v225
	s_or_b32 s1, vcc_lo, s1
	s_delay_alu instid0(SALU_CYCLE_1)
	s_and_b32 exec_lo, exec_lo, s1
	s_cbranch_execz .LBB83_251
; %bb.246:
	v_cmp_ngt_f32_e64 s1, |v224|, |v225|
                                        ; implicit-def: $vgpr226_vgpr227
	s_and_saveexec_b32 s4, s1
	s_delay_alu instid0(SALU_CYCLE_1)
	s_xor_b32 s1, exec_lo, s4
	s_cbranch_execz .LBB83_248
; %bb.247:
	v_div_scale_f32 v1, null, v225, v225, v224
	v_div_scale_f32 v6, vcc_lo, v224, v225, v224
	s_delay_alu instid0(VALU_DEP_2) | instskip(SKIP_1) | instid1(TRANS32_DEP_1)
	v_rcp_f32_e32 v4, v1
	v_nop
	v_fma_f32 v5, -v1, v4, 1.0
	s_delay_alu instid0(VALU_DEP_1) | instskip(NEXT) | instid1(VALU_DEP_1)
	v_fmac_f32_e32 v4, v5, v4
	v_mul_f32_e32 v5, v6, v4
	s_delay_alu instid0(VALU_DEP_1) | instskip(NEXT) | instid1(VALU_DEP_1)
	v_fma_f32 v7, -v1, v5, v6
	v_fmac_f32_e32 v5, v7, v4
	s_delay_alu instid0(VALU_DEP_1) | instskip(NEXT) | instid1(VALU_DEP_1)
	v_fma_f32 v1, -v1, v5, v6
	v_div_fmas_f32 v1, v1, v4, v5
	s_delay_alu instid0(VALU_DEP_1) | instskip(NEXT) | instid1(VALU_DEP_1)
	v_div_fixup_f32 v1, v1, v225, v224
	v_fmac_f32_e32 v225, v224, v1
	s_delay_alu instid0(VALU_DEP_1) | instskip(SKIP_1) | instid1(VALU_DEP_2)
	v_div_scale_f32 v4, null, v225, v225, 1.0
	v_div_scale_f32 v7, vcc_lo, 1.0, v225, 1.0
	v_rcp_f32_e32 v5, v4
	v_nop
	s_delay_alu instid0(TRANS32_DEP_1) | instskip(NEXT) | instid1(VALU_DEP_1)
	v_fma_f32 v6, -v4, v5, 1.0
	v_fmac_f32_e32 v5, v6, v5
	s_delay_alu instid0(VALU_DEP_1) | instskip(NEXT) | instid1(VALU_DEP_1)
	v_mul_f32_e32 v6, v7, v5
	v_fma_f32 v8, -v4, v6, v7
	s_delay_alu instid0(VALU_DEP_1) | instskip(NEXT) | instid1(VALU_DEP_1)
	v_fmac_f32_e32 v6, v8, v5
	v_fma_f32 v4, -v4, v6, v7
	s_delay_alu instid0(VALU_DEP_1) | instskip(NEXT) | instid1(VALU_DEP_1)
	v_div_fmas_f32 v4, v4, v5, v6
	v_div_fixup_f32 v4, v4, v225, 1.0
                                        ; implicit-def: $vgpr224_vgpr225
	s_delay_alu instid0(VALU_DEP_1)
	v_mul_f32_e32 v226, v1, v4
	v_xor_b32_e32 v227, 0x80000000, v4
.LBB83_248:
	s_and_not1_saveexec_b32 s1, s1
	s_cbranch_execz .LBB83_250
; %bb.249:
	v_div_scale_f32 v1, null, v224, v224, v225
	v_div_scale_f32 v6, vcc_lo, v225, v224, v225
	s_delay_alu instid0(VALU_DEP_2) | instskip(SKIP_1) | instid1(TRANS32_DEP_1)
	v_rcp_f32_e32 v4, v1
	v_nop
	v_fma_f32 v5, -v1, v4, 1.0
	s_delay_alu instid0(VALU_DEP_1) | instskip(NEXT) | instid1(VALU_DEP_1)
	v_fmac_f32_e32 v4, v5, v4
	v_mul_f32_e32 v5, v6, v4
	s_delay_alu instid0(VALU_DEP_1) | instskip(NEXT) | instid1(VALU_DEP_1)
	v_fma_f32 v7, -v1, v5, v6
	v_fmac_f32_e32 v5, v7, v4
	s_delay_alu instid0(VALU_DEP_1) | instskip(NEXT) | instid1(VALU_DEP_1)
	v_fma_f32 v1, -v1, v5, v6
	v_div_fmas_f32 v1, v1, v4, v5
	s_delay_alu instid0(VALU_DEP_1) | instskip(NEXT) | instid1(VALU_DEP_1)
	v_div_fixup_f32 v1, v1, v224, v225
	v_fmac_f32_e32 v224, v225, v1
	s_delay_alu instid0(VALU_DEP_1) | instskip(NEXT) | instid1(VALU_DEP_1)
	v_div_scale_f32 v4, null, v224, v224, 1.0
	v_rcp_f32_e32 v5, v4
	v_nop
	s_delay_alu instid0(TRANS32_DEP_1) | instskip(NEXT) | instid1(VALU_DEP_1)
	v_fma_f32 v6, -v4, v5, 1.0
	v_fmac_f32_e32 v5, v6, v5
	v_div_scale_f32 v6, vcc_lo, 1.0, v224, 1.0
	s_delay_alu instid0(VALU_DEP_1) | instskip(NEXT) | instid1(VALU_DEP_1)
	v_mul_f32_e32 v7, v6, v5
	v_fma_f32 v8, -v4, v7, v6
	s_delay_alu instid0(VALU_DEP_1) | instskip(NEXT) | instid1(VALU_DEP_1)
	v_fmac_f32_e32 v7, v8, v5
	v_fma_f32 v4, -v4, v7, v6
	s_delay_alu instid0(VALU_DEP_1) | instskip(NEXT) | instid1(VALU_DEP_1)
	v_div_fmas_f32 v4, v4, v5, v7
	v_div_fixup_f32 v226, v4, v224, 1.0
	s_delay_alu instid0(VALU_DEP_1)
	v_mul_f32_e64 v227, v1, -v226
.LBB83_250:
	s_or_b32 exec_lo, exec_lo, s1
	ds_store_b64 v255, v[226:227]
.LBB83_251:
	s_or_b32 exec_lo, exec_lo, s2
	s_wait_dscnt 0x0
	s_barrier_signal -1
	s_barrier_wait -1
	ds_load_b64 v[224:225], v255
	s_mov_b32 s1, exec_lo
	v_cmpx_lt_u32_e32 27, v254
	s_cbranch_execz .LBB83_253
; %bb.252:
	ds_load_2addr_b64 v[230:233], v0 offset0:28 offset1:29
	s_wait_dscnt 0x1
	v_pk_mul_f32 v[228:229], v[224:225], v[100:101] op_sel:[1,1] op_sel_hi:[0,1]
	s_delay_alu instid0(VALU_DEP_1) | instskip(SKIP_1) | instid1(VALU_DEP_1)
	v_pk_fma_f32 v[226:227], v[224:225], v[100:101], v[228:229] op_sel_hi:[1,0,1] neg_lo:[0,0,1] neg_hi:[0,0,1]
	v_pk_fma_f32 v[228:229], v[224:225], v[100:101], v[228:229] op_sel_hi:[1,0,1]
	v_dual_mov_b32 v100, v226 :: v_dual_mov_b32 v101, v229
	s_wait_dscnt 0x0
	s_delay_alu instid0(VALU_DEP_2) | instskip(NEXT) | instid1(VALU_DEP_1)
	v_pk_mul_f32 v[234:235], v[230:231], v[228:229] op_sel:[0,1]
	v_pk_fma_f32 v[236:237], v[230:231], v[226:227], v[234:235] op_sel:[0,0,1] op_sel_hi:[1,1,0] neg_lo:[0,0,1] neg_hi:[0,0,1]
	v_pk_fma_f32 v[230:231], v[230:231], v[226:227], v[234:235] op_sel:[0,0,1] op_sel_hi:[1,0,0]
	s_delay_alu instid0(VALU_DEP_1) | instskip(SKIP_1) | instid1(VALU_DEP_1)
	v_mov_b32_e32 v237, v231
	v_pk_mul_f32 v[230:231], v[232:233], v[228:229] op_sel:[0,1]
	v_pk_fma_f32 v[234:235], v[232:233], v[226:227], v[230:231] op_sel:[0,0,1] op_sel_hi:[1,1,0] neg_lo:[0,0,1] neg_hi:[0,0,1]
	v_pk_fma_f32 v[230:231], v[232:233], v[226:227], v[230:231] op_sel:[0,0,1] op_sel_hi:[1,0,0]
	s_delay_alu instid0(VALU_DEP_1)
	v_mov_b32_e32 v235, v231
	ds_load_2addr_b64 v[230:233], v0 offset0:30 offset1:31
	v_pk_add_f32 v[128:129], v[128:129], v[236:237] neg_lo:[0,1] neg_hi:[0,1]
	v_pk_add_f32 v[124:125], v[124:125], v[234:235] neg_lo:[0,1] neg_hi:[0,1]
	s_wait_dscnt 0x0
	v_pk_mul_f32 v[234:235], v[230:231], v[228:229] op_sel:[0,1]
	s_delay_alu instid0(VALU_DEP_1) | instskip(SKIP_2) | instid1(VALU_DEP_2)
	v_pk_fma_f32 v[236:237], v[230:231], v[226:227], v[234:235] op_sel:[0,0,1] op_sel_hi:[1,1,0] neg_lo:[0,0,1] neg_hi:[0,0,1]
	v_pk_fma_f32 v[230:231], v[230:231], v[226:227], v[234:235] op_sel:[0,0,1] op_sel_hi:[1,0,0]
	v_dual_mul_f32 v234, v233, v229 :: v_dual_mov_b32 v230, v233
	v_dual_mov_b32 v237, v231 :: v_dual_mov_b32 v231, v232
	s_delay_alu instid0(VALU_DEP_2) | instskip(SKIP_1) | instid1(VALU_DEP_3)
	v_pk_fma_f32 v[234:235], v[232:233], v[100:101], v[234:235] op_sel_hi:[1,1,0] neg_lo:[0,0,1] neg_hi:[0,0,1]
	v_mul_f32_e32 v232, v233, v226
	v_pk_add_f32 v[126:127], v[126:127], v[236:237] neg_lo:[0,1] neg_hi:[0,1]
	s_delay_alu instid0(VALU_DEP_2) | instskip(NEXT) | instid1(VALU_DEP_1)
	v_pk_fma_f32 v[230:231], v[230:231], v[100:101], v[232:233] op_sel_hi:[1,1,0]
	v_mov_b32_e32 v235, v231
	ds_load_2addr_b64 v[230:233], v0 offset0:32 offset1:33
	v_pk_add_f32 v[122:123], v[122:123], v[234:235] neg_lo:[0,1] neg_hi:[0,1]
	s_wait_dscnt 0x0
	v_pk_mul_f32 v[234:235], v[230:231], v[228:229] op_sel:[0,1]
	s_delay_alu instid0(VALU_DEP_1) | instskip(SKIP_1) | instid1(VALU_DEP_1)
	v_pk_fma_f32 v[236:237], v[230:231], v[226:227], v[234:235] op_sel:[0,0,1] op_sel_hi:[1,1,0] neg_lo:[0,0,1] neg_hi:[0,0,1]
	v_pk_fma_f32 v[230:231], v[230:231], v[226:227], v[234:235] op_sel:[0,0,1] op_sel_hi:[1,0,0]
	v_mov_b32_e32 v237, v231
	v_pk_mul_f32 v[230:231], v[232:233], v[228:229] op_sel:[0,1]
	s_delay_alu instid0(VALU_DEP_1) | instskip(SKIP_1) | instid1(VALU_DEP_1)
	v_pk_fma_f32 v[234:235], v[232:233], v[226:227], v[230:231] op_sel:[0,0,1] op_sel_hi:[1,1,0] neg_lo:[0,0,1] neg_hi:[0,0,1]
	v_pk_fma_f32 v[230:231], v[232:233], v[226:227], v[230:231] op_sel:[0,0,1] op_sel_hi:[1,0,0]
	v_mov_b32_e32 v235, v231
	ds_load_2addr_b64 v[230:233], v0 offset0:34 offset1:35
	v_pk_add_f32 v[148:149], v[148:149], v[236:237] neg_lo:[0,1] neg_hi:[0,1]
	v_pk_add_f32 v[144:145], v[144:145], v[234:235] neg_lo:[0,1] neg_hi:[0,1]
	s_wait_dscnt 0x0
	v_pk_mul_f32 v[234:235], v[230:231], v[228:229] op_sel:[0,1]
	s_delay_alu instid0(VALU_DEP_1) | instskip(SKIP_1) | instid1(VALU_DEP_1)
	v_pk_fma_f32 v[236:237], v[230:231], v[226:227], v[234:235] op_sel:[0,0,1] op_sel_hi:[1,1,0] neg_lo:[0,0,1] neg_hi:[0,0,1]
	v_pk_fma_f32 v[230:231], v[230:231], v[226:227], v[234:235] op_sel:[0,0,1] op_sel_hi:[1,0,0]
	v_mov_b32_e32 v237, v231
	v_pk_mul_f32 v[230:231], v[232:233], v[228:229] op_sel:[0,1]
	s_delay_alu instid0(VALU_DEP_1) | instskip(SKIP_1) | instid1(VALU_DEP_1)
	v_pk_fma_f32 v[234:235], v[232:233], v[226:227], v[230:231] op_sel:[0,0,1] op_sel_hi:[1,1,0] neg_lo:[0,0,1] neg_hi:[0,0,1]
	v_pk_fma_f32 v[230:231], v[232:233], v[226:227], v[230:231] op_sel:[0,0,1] op_sel_hi:[1,0,0]
	v_mov_b32_e32 v235, v231
	ds_load_2addr_b64 v[230:233], v0 offset0:36 offset1:37
	v_pk_add_f32 v[146:147], v[146:147], v[236:237] neg_lo:[0,1] neg_hi:[0,1]
	v_pk_add_f32 v[142:143], v[142:143], v[234:235] neg_lo:[0,1] neg_hi:[0,1]
	s_wait_dscnt 0x0
	v_dual_mul_f32 v234, v231, v229 :: v_dual_mul_f32 v236, v231, v226
	s_delay_alu instid0(VALU_DEP_1) | instskip(NEXT) | instid1(VALU_DEP_2)
	v_pk_fma_f32 v[234:235], v[230:231], v[100:101], v[234:235] op_sel_hi:[1,1,0] neg_lo:[0,0,1] neg_hi:[0,0,1]
	v_pk_fma_f32 v[230:231], v[230:231], v[100:101], v[236:237] op_sel:[1,0,0] op_sel_hi:[0,1,0]
	s_delay_alu instid0(VALU_DEP_1) | instskip(SKIP_1) | instid1(VALU_DEP_2)
	v_mov_b32_e32 v235, v231
	v_pk_mul_f32 v[230:231], v[232:233], v[228:229] op_sel:[0,1]
	v_pk_add_f32 v[164:165], v[164:165], v[234:235] neg_lo:[0,1] neg_hi:[0,1]
	s_delay_alu instid0(VALU_DEP_2) | instskip(SKIP_1) | instid1(VALU_DEP_1)
	v_pk_fma_f32 v[234:235], v[232:233], v[226:227], v[230:231] op_sel:[0,0,1] op_sel_hi:[1,1,0] neg_lo:[0,0,1] neg_hi:[0,0,1]
	v_pk_fma_f32 v[230:231], v[232:233], v[226:227], v[230:231] op_sel:[0,0,1] op_sel_hi:[1,0,0]
	v_mov_b32_e32 v235, v231
	ds_load_2addr_b64 v[230:233], v0 offset0:38 offset1:39
	v_pk_add_f32 v[160:161], v[160:161], v[234:235] neg_lo:[0,1] neg_hi:[0,1]
	s_wait_dscnt 0x0
	v_pk_mul_f32 v[234:235], v[230:231], v[228:229] op_sel:[0,1]
	s_delay_alu instid0(VALU_DEP_1) | instskip(SKIP_1) | instid1(VALU_DEP_1)
	v_pk_fma_f32 v[236:237], v[230:231], v[226:227], v[234:235] op_sel:[0,0,1] op_sel_hi:[1,1,0] neg_lo:[0,0,1] neg_hi:[0,0,1]
	v_pk_fma_f32 v[230:231], v[230:231], v[226:227], v[234:235] op_sel:[0,0,1] op_sel_hi:[1,0,0]
	v_mov_b32_e32 v237, v231
	v_pk_mul_f32 v[230:231], v[232:233], v[228:229] op_sel:[0,1]
	s_delay_alu instid0(VALU_DEP_2) | instskip(NEXT) | instid1(VALU_DEP_2)
	v_pk_add_f32 v[162:163], v[162:163], v[236:237] neg_lo:[0,1] neg_hi:[0,1]
	v_pk_fma_f32 v[234:235], v[232:233], v[226:227], v[230:231] op_sel:[0,0,1] op_sel_hi:[1,1,0] neg_lo:[0,0,1] neg_hi:[0,0,1]
	v_pk_fma_f32 v[230:231], v[232:233], v[226:227], v[230:231] op_sel:[0,0,1] op_sel_hi:[1,0,0]
	s_delay_alu instid0(VALU_DEP_1)
	v_mov_b32_e32 v235, v231
	ds_load_2addr_b64 v[230:233], v0 offset0:40 offset1:41
	v_pk_add_f32 v[158:159], v[158:159], v[234:235] neg_lo:[0,1] neg_hi:[0,1]
	s_wait_dscnt 0x0
	v_pk_mul_f32 v[234:235], v[230:231], v[228:229] op_sel:[0,1]
	v_pk_mul_f32 v[228:229], v[232:233], v[228:229] op_sel:[0,1]
	s_delay_alu instid0(VALU_DEP_2) | instskip(SKIP_1) | instid1(VALU_DEP_1)
	v_pk_fma_f32 v[236:237], v[230:231], v[226:227], v[234:235] op_sel:[0,0,1] op_sel_hi:[1,1,0] neg_lo:[0,0,1] neg_hi:[0,0,1]
	v_pk_fma_f32 v[230:231], v[230:231], v[226:227], v[234:235] op_sel:[0,0,1] op_sel_hi:[1,0,0]
	v_mov_b32_e32 v237, v231
	s_delay_alu instid0(VALU_DEP_4) | instskip(SKIP_1) | instid1(VALU_DEP_3)
	v_pk_fma_f32 v[230:231], v[232:233], v[226:227], v[228:229] op_sel:[0,0,1] op_sel_hi:[1,1,0] neg_lo:[0,0,1] neg_hi:[0,0,1]
	v_pk_fma_f32 v[226:227], v[232:233], v[226:227], v[228:229] op_sel:[0,0,1] op_sel_hi:[1,0,0]
	v_pk_add_f32 v[166:167], v[166:167], v[236:237] neg_lo:[0,1] neg_hi:[0,1]
	s_delay_alu instid0(VALU_DEP_2) | instskip(NEXT) | instid1(VALU_DEP_1)
	v_mov_b32_e32 v231, v227
	v_pk_add_f32 v[168:169], v[168:169], v[230:231] neg_lo:[0,1] neg_hi:[0,1]
.LBB83_253:
	s_or_b32 exec_lo, exec_lo, s1
	s_delay_alu instid0(SALU_CYCLE_1)
	s_mov_b32 s2, exec_lo
	s_wait_dscnt 0x0
	s_barrier_signal -1
	s_barrier_wait -1
	v_cmpx_eq_u32_e32 28, v254
	s_cbranch_execz .LBB83_260
; %bb.254:
	ds_store_b64 v255, v[128:129]
	ds_store_2addr_b64 v0, v[124:125], v[126:127] offset0:29 offset1:30
	ds_store_2addr_b64 v0, v[122:123], v[148:149] offset0:31 offset1:32
	;; [unrolled: 1-line block ×6, first 2 shown]
	ds_store_b64 v0, v[168:169] offset:328
	ds_load_b64 v[226:227], v255
	s_wait_dscnt 0x0
	v_cmp_neq_f32_e32 vcc_lo, 0, v226
	v_cmp_neq_f32_e64 s1, 0, v227
	s_or_b32 s1, vcc_lo, s1
	s_delay_alu instid0(SALU_CYCLE_1)
	s_and_b32 exec_lo, exec_lo, s1
	s_cbranch_execz .LBB83_260
; %bb.255:
	v_cmp_ngt_f32_e64 s1, |v226|, |v227|
                                        ; implicit-def: $vgpr228_vgpr229
	s_and_saveexec_b32 s4, s1
	s_delay_alu instid0(SALU_CYCLE_1)
	s_xor_b32 s1, exec_lo, s4
	s_cbranch_execz .LBB83_257
; %bb.256:
	v_div_scale_f32 v1, null, v227, v227, v226
	v_div_scale_f32 v6, vcc_lo, v226, v227, v226
	s_delay_alu instid0(VALU_DEP_2) | instskip(SKIP_1) | instid1(TRANS32_DEP_1)
	v_rcp_f32_e32 v4, v1
	v_nop
	v_fma_f32 v5, -v1, v4, 1.0
	s_delay_alu instid0(VALU_DEP_1) | instskip(NEXT) | instid1(VALU_DEP_1)
	v_fmac_f32_e32 v4, v5, v4
	v_mul_f32_e32 v5, v6, v4
	s_delay_alu instid0(VALU_DEP_1) | instskip(NEXT) | instid1(VALU_DEP_1)
	v_fma_f32 v7, -v1, v5, v6
	v_fmac_f32_e32 v5, v7, v4
	s_delay_alu instid0(VALU_DEP_1) | instskip(NEXT) | instid1(VALU_DEP_1)
	v_fma_f32 v1, -v1, v5, v6
	v_div_fmas_f32 v1, v1, v4, v5
	s_delay_alu instid0(VALU_DEP_1) | instskip(NEXT) | instid1(VALU_DEP_1)
	v_div_fixup_f32 v1, v1, v227, v226
	v_fmac_f32_e32 v227, v226, v1
	s_delay_alu instid0(VALU_DEP_1) | instskip(SKIP_1) | instid1(VALU_DEP_2)
	v_div_scale_f32 v4, null, v227, v227, 1.0
	v_div_scale_f32 v7, vcc_lo, 1.0, v227, 1.0
	v_rcp_f32_e32 v5, v4
	v_nop
	s_delay_alu instid0(TRANS32_DEP_1) | instskip(NEXT) | instid1(VALU_DEP_1)
	v_fma_f32 v6, -v4, v5, 1.0
	v_fmac_f32_e32 v5, v6, v5
	s_delay_alu instid0(VALU_DEP_1) | instskip(NEXT) | instid1(VALU_DEP_1)
	v_mul_f32_e32 v6, v7, v5
	v_fma_f32 v8, -v4, v6, v7
	s_delay_alu instid0(VALU_DEP_1) | instskip(NEXT) | instid1(VALU_DEP_1)
	v_fmac_f32_e32 v6, v8, v5
	v_fma_f32 v4, -v4, v6, v7
	s_delay_alu instid0(VALU_DEP_1) | instskip(NEXT) | instid1(VALU_DEP_1)
	v_div_fmas_f32 v4, v4, v5, v6
	v_div_fixup_f32 v4, v4, v227, 1.0
                                        ; implicit-def: $vgpr226_vgpr227
	s_delay_alu instid0(VALU_DEP_1)
	v_mul_f32_e32 v228, v1, v4
	v_xor_b32_e32 v229, 0x80000000, v4
.LBB83_257:
	s_and_not1_saveexec_b32 s1, s1
	s_cbranch_execz .LBB83_259
; %bb.258:
	v_div_scale_f32 v1, null, v226, v226, v227
	v_div_scale_f32 v6, vcc_lo, v227, v226, v227
	s_delay_alu instid0(VALU_DEP_2) | instskip(SKIP_1) | instid1(TRANS32_DEP_1)
	v_rcp_f32_e32 v4, v1
	v_nop
	v_fma_f32 v5, -v1, v4, 1.0
	s_delay_alu instid0(VALU_DEP_1) | instskip(NEXT) | instid1(VALU_DEP_1)
	v_fmac_f32_e32 v4, v5, v4
	v_mul_f32_e32 v5, v6, v4
	s_delay_alu instid0(VALU_DEP_1) | instskip(NEXT) | instid1(VALU_DEP_1)
	v_fma_f32 v7, -v1, v5, v6
	v_fmac_f32_e32 v5, v7, v4
	s_delay_alu instid0(VALU_DEP_1) | instskip(NEXT) | instid1(VALU_DEP_1)
	v_fma_f32 v1, -v1, v5, v6
	v_div_fmas_f32 v1, v1, v4, v5
	s_delay_alu instid0(VALU_DEP_1) | instskip(NEXT) | instid1(VALU_DEP_1)
	v_div_fixup_f32 v1, v1, v226, v227
	v_fmac_f32_e32 v226, v227, v1
	s_delay_alu instid0(VALU_DEP_1) | instskip(NEXT) | instid1(VALU_DEP_1)
	v_div_scale_f32 v4, null, v226, v226, 1.0
	v_rcp_f32_e32 v5, v4
	v_nop
	s_delay_alu instid0(TRANS32_DEP_1) | instskip(NEXT) | instid1(VALU_DEP_1)
	v_fma_f32 v6, -v4, v5, 1.0
	v_fmac_f32_e32 v5, v6, v5
	v_div_scale_f32 v6, vcc_lo, 1.0, v226, 1.0
	s_delay_alu instid0(VALU_DEP_1) | instskip(NEXT) | instid1(VALU_DEP_1)
	v_mul_f32_e32 v7, v6, v5
	v_fma_f32 v8, -v4, v7, v6
	s_delay_alu instid0(VALU_DEP_1) | instskip(NEXT) | instid1(VALU_DEP_1)
	v_fmac_f32_e32 v7, v8, v5
	v_fma_f32 v4, -v4, v7, v6
	s_delay_alu instid0(VALU_DEP_1) | instskip(NEXT) | instid1(VALU_DEP_1)
	v_div_fmas_f32 v4, v4, v5, v7
	v_div_fixup_f32 v228, v4, v226, 1.0
	s_delay_alu instid0(VALU_DEP_1)
	v_mul_f32_e64 v229, v1, -v228
.LBB83_259:
	s_or_b32 exec_lo, exec_lo, s1
	ds_store_b64 v255, v[228:229]
.LBB83_260:
	s_or_b32 exec_lo, exec_lo, s2
	s_wait_dscnt 0x0
	s_barrier_signal -1
	s_barrier_wait -1
	ds_load_b64 v[226:227], v255
	s_mov_b32 s1, exec_lo
	v_cmpx_lt_u32_e32 28, v254
	s_cbranch_execz .LBB83_262
; %bb.261:
	ds_load_2addr_b64 v[232:235], v0 offset0:29 offset1:30
	s_wait_dscnt 0x1
	v_pk_mul_f32 v[230:231], v[226:227], v[128:129] op_sel:[1,1] op_sel_hi:[0,1]
	s_delay_alu instid0(VALU_DEP_1) | instskip(SKIP_1) | instid1(VALU_DEP_1)
	v_pk_fma_f32 v[228:229], v[226:227], v[128:129], v[230:231] op_sel_hi:[1,0,1] neg_lo:[0,0,1] neg_hi:[0,0,1]
	v_pk_fma_f32 v[230:231], v[226:227], v[128:129], v[230:231] op_sel_hi:[1,0,1]
	v_dual_mov_b32 v128, v228 :: v_dual_mov_b32 v129, v231
	s_wait_dscnt 0x0
	s_delay_alu instid0(VALU_DEP_2) | instskip(NEXT) | instid1(VALU_DEP_1)
	v_pk_mul_f32 v[236:237], v[232:233], v[230:231] op_sel:[0,1]
	v_pk_fma_f32 v[238:239], v[232:233], v[228:229], v[236:237] op_sel:[0,0,1] op_sel_hi:[1,1,0] neg_lo:[0,0,1] neg_hi:[0,0,1]
	v_pk_fma_f32 v[232:233], v[232:233], v[228:229], v[236:237] op_sel:[0,0,1] op_sel_hi:[1,0,0]
	s_delay_alu instid0(VALU_DEP_1) | instskip(SKIP_1) | instid1(VALU_DEP_1)
	v_mov_b32_e32 v239, v233
	v_pk_mul_f32 v[232:233], v[234:235], v[230:231] op_sel:[0,1]
	v_pk_fma_f32 v[236:237], v[234:235], v[228:229], v[232:233] op_sel:[0,0,1] op_sel_hi:[1,1,0] neg_lo:[0,0,1] neg_hi:[0,0,1]
	v_pk_fma_f32 v[232:233], v[234:235], v[228:229], v[232:233] op_sel:[0,0,1] op_sel_hi:[1,0,0]
	s_delay_alu instid0(VALU_DEP_1)
	v_mov_b32_e32 v237, v233
	ds_load_2addr_b64 v[232:235], v0 offset0:31 offset1:32
	v_pk_add_f32 v[124:125], v[124:125], v[238:239] neg_lo:[0,1] neg_hi:[0,1]
	v_pk_add_f32 v[126:127], v[126:127], v[236:237] neg_lo:[0,1] neg_hi:[0,1]
	s_wait_dscnt 0x0
	v_pk_mul_f32 v[236:237], v[232:233], v[230:231] op_sel:[0,1]
	s_delay_alu instid0(VALU_DEP_1) | instskip(SKIP_2) | instid1(VALU_DEP_2)
	v_pk_fma_f32 v[238:239], v[232:233], v[228:229], v[236:237] op_sel:[0,0,1] op_sel_hi:[1,1,0] neg_lo:[0,0,1] neg_hi:[0,0,1]
	v_pk_fma_f32 v[232:233], v[232:233], v[228:229], v[236:237] op_sel:[0,0,1] op_sel_hi:[1,0,0]
	v_dual_mul_f32 v236, v235, v231 :: v_dual_mov_b32 v232, v235
	v_dual_mov_b32 v239, v233 :: v_dual_mov_b32 v233, v234
	s_delay_alu instid0(VALU_DEP_2) | instskip(SKIP_1) | instid1(VALU_DEP_3)
	v_pk_fma_f32 v[236:237], v[234:235], v[128:129], v[236:237] op_sel_hi:[1,1,0] neg_lo:[0,0,1] neg_hi:[0,0,1]
	v_mul_f32_e32 v234, v235, v228
	v_pk_add_f32 v[122:123], v[122:123], v[238:239] neg_lo:[0,1] neg_hi:[0,1]
	s_delay_alu instid0(VALU_DEP_2) | instskip(NEXT) | instid1(VALU_DEP_1)
	v_pk_fma_f32 v[232:233], v[232:233], v[128:129], v[234:235] op_sel_hi:[1,1,0]
	v_mov_b32_e32 v237, v233
	ds_load_2addr_b64 v[232:235], v0 offset0:33 offset1:34
	v_pk_add_f32 v[148:149], v[148:149], v[236:237] neg_lo:[0,1] neg_hi:[0,1]
	s_wait_dscnt 0x0
	v_pk_mul_f32 v[236:237], v[232:233], v[230:231] op_sel:[0,1]
	s_delay_alu instid0(VALU_DEP_1) | instskip(SKIP_1) | instid1(VALU_DEP_1)
	v_pk_fma_f32 v[238:239], v[232:233], v[228:229], v[236:237] op_sel:[0,0,1] op_sel_hi:[1,1,0] neg_lo:[0,0,1] neg_hi:[0,0,1]
	v_pk_fma_f32 v[232:233], v[232:233], v[228:229], v[236:237] op_sel:[0,0,1] op_sel_hi:[1,0,0]
	v_mov_b32_e32 v239, v233
	v_pk_mul_f32 v[232:233], v[234:235], v[230:231] op_sel:[0,1]
	s_delay_alu instid0(VALU_DEP_1) | instskip(SKIP_1) | instid1(VALU_DEP_1)
	v_pk_fma_f32 v[236:237], v[234:235], v[228:229], v[232:233] op_sel:[0,0,1] op_sel_hi:[1,1,0] neg_lo:[0,0,1] neg_hi:[0,0,1]
	v_pk_fma_f32 v[232:233], v[234:235], v[228:229], v[232:233] op_sel:[0,0,1] op_sel_hi:[1,0,0]
	v_mov_b32_e32 v237, v233
	ds_load_2addr_b64 v[232:235], v0 offset0:35 offset1:36
	v_pk_add_f32 v[144:145], v[144:145], v[238:239] neg_lo:[0,1] neg_hi:[0,1]
	v_pk_add_f32 v[146:147], v[146:147], v[236:237] neg_lo:[0,1] neg_hi:[0,1]
	s_wait_dscnt 0x0
	v_pk_mul_f32 v[236:237], v[232:233], v[230:231] op_sel:[0,1]
	s_delay_alu instid0(VALU_DEP_1) | instskip(SKIP_1) | instid1(VALU_DEP_1)
	v_pk_fma_f32 v[238:239], v[232:233], v[228:229], v[236:237] op_sel:[0,0,1] op_sel_hi:[1,1,0] neg_lo:[0,0,1] neg_hi:[0,0,1]
	v_pk_fma_f32 v[232:233], v[232:233], v[228:229], v[236:237] op_sel:[0,0,1] op_sel_hi:[1,0,0]
	v_mov_b32_e32 v239, v233
	v_pk_mul_f32 v[232:233], v[234:235], v[230:231] op_sel:[0,1]
	s_delay_alu instid0(VALU_DEP_1) | instskip(SKIP_1) | instid1(VALU_DEP_1)
	v_pk_fma_f32 v[236:237], v[234:235], v[228:229], v[232:233] op_sel:[0,0,1] op_sel_hi:[1,1,0] neg_lo:[0,0,1] neg_hi:[0,0,1]
	v_pk_fma_f32 v[232:233], v[234:235], v[228:229], v[232:233] op_sel:[0,0,1] op_sel_hi:[1,0,0]
	v_mov_b32_e32 v237, v233
	ds_load_2addr_b64 v[232:235], v0 offset0:37 offset1:38
	v_pk_add_f32 v[142:143], v[142:143], v[238:239] neg_lo:[0,1] neg_hi:[0,1]
	v_pk_add_f32 v[164:165], v[164:165], v[236:237] neg_lo:[0,1] neg_hi:[0,1]
	s_wait_dscnt 0x0
	v_dual_mul_f32 v236, v233, v231 :: v_dual_mul_f32 v238, v233, v228
	s_delay_alu instid0(VALU_DEP_1) | instskip(NEXT) | instid1(VALU_DEP_2)
	v_pk_fma_f32 v[236:237], v[232:233], v[128:129], v[236:237] op_sel_hi:[1,1,0] neg_lo:[0,0,1] neg_hi:[0,0,1]
	v_pk_fma_f32 v[232:233], v[232:233], v[128:129], v[238:239] op_sel:[1,0,0] op_sel_hi:[0,1,0]
	s_delay_alu instid0(VALU_DEP_1) | instskip(SKIP_1) | instid1(VALU_DEP_2)
	v_mov_b32_e32 v237, v233
	v_pk_mul_f32 v[232:233], v[234:235], v[230:231] op_sel:[0,1]
	v_pk_add_f32 v[160:161], v[160:161], v[236:237] neg_lo:[0,1] neg_hi:[0,1]
	s_delay_alu instid0(VALU_DEP_2) | instskip(SKIP_1) | instid1(VALU_DEP_1)
	v_pk_fma_f32 v[236:237], v[234:235], v[228:229], v[232:233] op_sel:[0,0,1] op_sel_hi:[1,1,0] neg_lo:[0,0,1] neg_hi:[0,0,1]
	v_pk_fma_f32 v[232:233], v[234:235], v[228:229], v[232:233] op_sel:[0,0,1] op_sel_hi:[1,0,0]
	v_mov_b32_e32 v237, v233
	ds_load_2addr_b64 v[232:235], v0 offset0:39 offset1:40
	v_pk_add_f32 v[162:163], v[162:163], v[236:237] neg_lo:[0,1] neg_hi:[0,1]
	s_wait_dscnt 0x0
	v_pk_mul_f32 v[236:237], v[232:233], v[230:231] op_sel:[0,1]
	s_delay_alu instid0(VALU_DEP_1) | instskip(SKIP_1) | instid1(VALU_DEP_1)
	v_pk_fma_f32 v[238:239], v[232:233], v[228:229], v[236:237] op_sel:[0,0,1] op_sel_hi:[1,1,0] neg_lo:[0,0,1] neg_hi:[0,0,1]
	v_pk_fma_f32 v[232:233], v[232:233], v[228:229], v[236:237] op_sel:[0,0,1] op_sel_hi:[1,0,0]
	v_mov_b32_e32 v239, v233
	v_pk_mul_f32 v[232:233], v[234:235], v[230:231] op_sel:[0,1]
	s_delay_alu instid0(VALU_DEP_2) | instskip(NEXT) | instid1(VALU_DEP_2)
	v_pk_add_f32 v[158:159], v[158:159], v[238:239] neg_lo:[0,1] neg_hi:[0,1]
	v_pk_fma_f32 v[236:237], v[234:235], v[228:229], v[232:233] op_sel:[0,0,1] op_sel_hi:[1,1,0] neg_lo:[0,0,1] neg_hi:[0,0,1]
	v_pk_fma_f32 v[232:233], v[234:235], v[228:229], v[232:233] op_sel:[0,0,1] op_sel_hi:[1,0,0]
	s_delay_alu instid0(VALU_DEP_1) | instskip(SKIP_4) | instid1(VALU_DEP_1)
	v_mov_b32_e32 v237, v233
	ds_load_b64 v[232:233], v0 offset:328
	v_pk_add_f32 v[166:167], v[166:167], v[236:237] neg_lo:[0,1] neg_hi:[0,1]
	s_wait_dscnt 0x0
	v_pk_mul_f32 v[230:231], v[232:233], v[230:231] op_sel:[0,1]
	v_pk_fma_f32 v[234:235], v[232:233], v[228:229], v[230:231] op_sel:[0,0,1] op_sel_hi:[1,1,0] neg_lo:[0,0,1] neg_hi:[0,0,1]
	v_pk_fma_f32 v[228:229], v[232:233], v[228:229], v[230:231] op_sel:[0,0,1] op_sel_hi:[1,0,0]
	s_delay_alu instid0(VALU_DEP_1) | instskip(NEXT) | instid1(VALU_DEP_1)
	v_mov_b32_e32 v235, v229
	v_pk_add_f32 v[168:169], v[168:169], v[234:235] neg_lo:[0,1] neg_hi:[0,1]
.LBB83_262:
	s_or_b32 exec_lo, exec_lo, s1
	s_delay_alu instid0(SALU_CYCLE_1)
	s_mov_b32 s2, exec_lo
	s_wait_dscnt 0x0
	s_barrier_signal -1
	s_barrier_wait -1
	v_cmpx_eq_u32_e32 29, v254
	s_cbranch_execz .LBB83_269
; %bb.263:
	v_dual_mov_b32 v228, v126 :: v_dual_mov_b32 v229, v127
	v_dual_mov_b32 v230, v122 :: v_dual_mov_b32 v231, v123
	v_dual_mov_b32 v232, v148 :: v_dual_mov_b32 v233, v149
	v_dual_mov_b32 v234, v144 :: v_dual_mov_b32 v235, v145
	v_dual_mov_b32 v236, v146 :: v_dual_mov_b32 v237, v147
	v_dual_mov_b32 v238, v142 :: v_dual_mov_b32 v239, v143
	v_dual_mov_b32 v240, v164 :: v_dual_mov_b32 v241, v165
	v_dual_mov_b32 v242, v160 :: v_dual_mov_b32 v243, v161
	v_dual_mov_b32 v244, v162 :: v_dual_mov_b32 v245, v163
	v_dual_mov_b32 v246, v158 :: v_dual_mov_b32 v247, v159
	ds_store_b64 v255, v[124:125]
	v_dual_mov_b32 v248, v166 :: v_dual_mov_b32 v249, v167
	ds_store_2addr_b64 v0, v[228:229], v[230:231] offset0:30 offset1:31
	ds_store_2addr_b64 v0, v[232:233], v[234:235] offset0:32 offset1:33
	;; [unrolled: 1-line block ×6, first 2 shown]
	ds_load_b64 v[228:229], v255
	s_wait_dscnt 0x0
	v_cmp_neq_f32_e32 vcc_lo, 0, v228
	v_cmp_neq_f32_e64 s1, 0, v229
	s_or_b32 s1, vcc_lo, s1
	s_delay_alu instid0(SALU_CYCLE_1)
	s_and_b32 exec_lo, exec_lo, s1
	s_cbranch_execz .LBB83_269
; %bb.264:
	v_cmp_ngt_f32_e64 s1, |v228|, |v229|
                                        ; implicit-def: $vgpr230_vgpr231
	s_and_saveexec_b32 s4, s1
	s_delay_alu instid0(SALU_CYCLE_1)
	s_xor_b32 s1, exec_lo, s4
	s_cbranch_execz .LBB83_266
; %bb.265:
	v_div_scale_f32 v1, null, v229, v229, v228
	v_div_scale_f32 v6, vcc_lo, v228, v229, v228
	s_delay_alu instid0(VALU_DEP_2) | instskip(SKIP_1) | instid1(TRANS32_DEP_1)
	v_rcp_f32_e32 v4, v1
	v_nop
	v_fma_f32 v5, -v1, v4, 1.0
	s_delay_alu instid0(VALU_DEP_1) | instskip(NEXT) | instid1(VALU_DEP_1)
	v_fmac_f32_e32 v4, v5, v4
	v_mul_f32_e32 v5, v6, v4
	s_delay_alu instid0(VALU_DEP_1) | instskip(NEXT) | instid1(VALU_DEP_1)
	v_fma_f32 v7, -v1, v5, v6
	v_fmac_f32_e32 v5, v7, v4
	s_delay_alu instid0(VALU_DEP_1) | instskip(NEXT) | instid1(VALU_DEP_1)
	v_fma_f32 v1, -v1, v5, v6
	v_div_fmas_f32 v1, v1, v4, v5
	s_delay_alu instid0(VALU_DEP_1) | instskip(NEXT) | instid1(VALU_DEP_1)
	v_div_fixup_f32 v1, v1, v229, v228
	v_fmac_f32_e32 v229, v228, v1
	s_delay_alu instid0(VALU_DEP_1) | instskip(SKIP_1) | instid1(VALU_DEP_2)
	v_div_scale_f32 v4, null, v229, v229, 1.0
	v_div_scale_f32 v7, vcc_lo, 1.0, v229, 1.0
	v_rcp_f32_e32 v5, v4
	v_nop
	s_delay_alu instid0(TRANS32_DEP_1) | instskip(NEXT) | instid1(VALU_DEP_1)
	v_fma_f32 v6, -v4, v5, 1.0
	v_fmac_f32_e32 v5, v6, v5
	s_delay_alu instid0(VALU_DEP_1) | instskip(NEXT) | instid1(VALU_DEP_1)
	v_mul_f32_e32 v6, v7, v5
	v_fma_f32 v8, -v4, v6, v7
	s_delay_alu instid0(VALU_DEP_1) | instskip(NEXT) | instid1(VALU_DEP_1)
	v_fmac_f32_e32 v6, v8, v5
	v_fma_f32 v4, -v4, v6, v7
	s_delay_alu instid0(VALU_DEP_1) | instskip(NEXT) | instid1(VALU_DEP_1)
	v_div_fmas_f32 v4, v4, v5, v6
	v_div_fixup_f32 v4, v4, v229, 1.0
                                        ; implicit-def: $vgpr228_vgpr229
	s_delay_alu instid0(VALU_DEP_1)
	v_mul_f32_e32 v230, v1, v4
	v_xor_b32_e32 v231, 0x80000000, v4
.LBB83_266:
	s_and_not1_saveexec_b32 s1, s1
	s_cbranch_execz .LBB83_268
; %bb.267:
	v_div_scale_f32 v1, null, v228, v228, v229
	v_div_scale_f32 v6, vcc_lo, v229, v228, v229
	s_delay_alu instid0(VALU_DEP_2) | instskip(SKIP_1) | instid1(TRANS32_DEP_1)
	v_rcp_f32_e32 v4, v1
	v_nop
	v_fma_f32 v5, -v1, v4, 1.0
	s_delay_alu instid0(VALU_DEP_1) | instskip(NEXT) | instid1(VALU_DEP_1)
	v_fmac_f32_e32 v4, v5, v4
	v_mul_f32_e32 v5, v6, v4
	s_delay_alu instid0(VALU_DEP_1) | instskip(NEXT) | instid1(VALU_DEP_1)
	v_fma_f32 v7, -v1, v5, v6
	v_fmac_f32_e32 v5, v7, v4
	s_delay_alu instid0(VALU_DEP_1) | instskip(NEXT) | instid1(VALU_DEP_1)
	v_fma_f32 v1, -v1, v5, v6
	v_div_fmas_f32 v1, v1, v4, v5
	s_delay_alu instid0(VALU_DEP_1) | instskip(NEXT) | instid1(VALU_DEP_1)
	v_div_fixup_f32 v1, v1, v228, v229
	v_fmac_f32_e32 v228, v229, v1
	s_delay_alu instid0(VALU_DEP_1) | instskip(NEXT) | instid1(VALU_DEP_1)
	v_div_scale_f32 v4, null, v228, v228, 1.0
	v_rcp_f32_e32 v5, v4
	v_nop
	s_delay_alu instid0(TRANS32_DEP_1) | instskip(NEXT) | instid1(VALU_DEP_1)
	v_fma_f32 v6, -v4, v5, 1.0
	v_fmac_f32_e32 v5, v6, v5
	v_div_scale_f32 v6, vcc_lo, 1.0, v228, 1.0
	s_delay_alu instid0(VALU_DEP_1) | instskip(NEXT) | instid1(VALU_DEP_1)
	v_mul_f32_e32 v7, v6, v5
	v_fma_f32 v8, -v4, v7, v6
	s_delay_alu instid0(VALU_DEP_1) | instskip(NEXT) | instid1(VALU_DEP_1)
	v_fmac_f32_e32 v7, v8, v5
	v_fma_f32 v4, -v4, v7, v6
	s_delay_alu instid0(VALU_DEP_1) | instskip(NEXT) | instid1(VALU_DEP_1)
	v_div_fmas_f32 v4, v4, v5, v7
	v_div_fixup_f32 v230, v4, v228, 1.0
	s_delay_alu instid0(VALU_DEP_1)
	v_mul_f32_e64 v231, v1, -v230
.LBB83_268:
	s_or_b32 exec_lo, exec_lo, s1
	ds_store_b64 v255, v[230:231]
.LBB83_269:
	s_or_b32 exec_lo, exec_lo, s2
	s_wait_dscnt 0x0
	s_barrier_signal -1
	s_barrier_wait -1
	ds_load_b64 v[228:229], v255
	s_mov_b32 s1, exec_lo
	v_cmpx_lt_u32_e32 29, v254
	s_cbranch_execz .LBB83_271
; %bb.270:
	ds_load_2addr_b64 v[234:237], v0 offset0:30 offset1:31
	s_wait_dscnt 0x1
	v_pk_mul_f32 v[232:233], v[228:229], v[124:125] op_sel:[1,1] op_sel_hi:[0,1]
	s_delay_alu instid0(VALU_DEP_1) | instskip(SKIP_1) | instid1(VALU_DEP_1)
	v_pk_fma_f32 v[230:231], v[228:229], v[124:125], v[232:233] op_sel_hi:[1,0,1] neg_lo:[0,0,1] neg_hi:[0,0,1]
	v_pk_fma_f32 v[232:233], v[228:229], v[124:125], v[232:233] op_sel_hi:[1,0,1]
	v_dual_mov_b32 v124, v230 :: v_dual_mov_b32 v125, v233
	s_wait_dscnt 0x0
	s_delay_alu instid0(VALU_DEP_2) | instskip(NEXT) | instid1(VALU_DEP_1)
	v_pk_mul_f32 v[238:239], v[234:235], v[232:233] op_sel:[0,1]
	v_pk_fma_f32 v[240:241], v[234:235], v[230:231], v[238:239] op_sel:[0,0,1] op_sel_hi:[1,1,0] neg_lo:[0,0,1] neg_hi:[0,0,1]
	v_pk_fma_f32 v[234:235], v[234:235], v[230:231], v[238:239] op_sel:[0,0,1] op_sel_hi:[1,0,0]
	s_delay_alu instid0(VALU_DEP_1) | instskip(SKIP_1) | instid1(VALU_DEP_1)
	v_mov_b32_e32 v241, v235
	v_pk_mul_f32 v[234:235], v[236:237], v[232:233] op_sel:[0,1]
	v_pk_fma_f32 v[238:239], v[236:237], v[230:231], v[234:235] op_sel:[0,0,1] op_sel_hi:[1,1,0] neg_lo:[0,0,1] neg_hi:[0,0,1]
	v_pk_fma_f32 v[234:235], v[236:237], v[230:231], v[234:235] op_sel:[0,0,1] op_sel_hi:[1,0,0]
	s_delay_alu instid0(VALU_DEP_1)
	v_mov_b32_e32 v239, v235
	ds_load_2addr_b64 v[234:237], v0 offset0:32 offset1:33
	v_pk_add_f32 v[126:127], v[126:127], v[240:241] neg_lo:[0,1] neg_hi:[0,1]
	v_pk_add_f32 v[122:123], v[122:123], v[238:239] neg_lo:[0,1] neg_hi:[0,1]
	s_wait_dscnt 0x0
	v_pk_mul_f32 v[238:239], v[234:235], v[232:233] op_sel:[0,1]
	s_delay_alu instid0(VALU_DEP_1) | instskip(SKIP_2) | instid1(VALU_DEP_2)
	v_pk_fma_f32 v[240:241], v[234:235], v[230:231], v[238:239] op_sel:[0,0,1] op_sel_hi:[1,1,0] neg_lo:[0,0,1] neg_hi:[0,0,1]
	v_pk_fma_f32 v[234:235], v[234:235], v[230:231], v[238:239] op_sel:[0,0,1] op_sel_hi:[1,0,0]
	v_dual_mul_f32 v238, v237, v233 :: v_dual_mov_b32 v234, v237
	v_dual_mov_b32 v241, v235 :: v_dual_mov_b32 v235, v236
	s_delay_alu instid0(VALU_DEP_2) | instskip(SKIP_1) | instid1(VALU_DEP_3)
	v_pk_fma_f32 v[238:239], v[236:237], v[124:125], v[238:239] op_sel_hi:[1,1,0] neg_lo:[0,0,1] neg_hi:[0,0,1]
	v_mul_f32_e32 v236, v237, v230
	v_pk_add_f32 v[148:149], v[148:149], v[240:241] neg_lo:[0,1] neg_hi:[0,1]
	s_delay_alu instid0(VALU_DEP_2) | instskip(NEXT) | instid1(VALU_DEP_1)
	v_pk_fma_f32 v[234:235], v[234:235], v[124:125], v[236:237] op_sel_hi:[1,1,0]
	v_mov_b32_e32 v239, v235
	ds_load_2addr_b64 v[234:237], v0 offset0:34 offset1:35
	v_pk_add_f32 v[144:145], v[144:145], v[238:239] neg_lo:[0,1] neg_hi:[0,1]
	s_wait_dscnt 0x0
	v_pk_mul_f32 v[238:239], v[234:235], v[232:233] op_sel:[0,1]
	s_delay_alu instid0(VALU_DEP_1) | instskip(SKIP_1) | instid1(VALU_DEP_1)
	v_pk_fma_f32 v[240:241], v[234:235], v[230:231], v[238:239] op_sel:[0,0,1] op_sel_hi:[1,1,0] neg_lo:[0,0,1] neg_hi:[0,0,1]
	v_pk_fma_f32 v[234:235], v[234:235], v[230:231], v[238:239] op_sel:[0,0,1] op_sel_hi:[1,0,0]
	v_mov_b32_e32 v241, v235
	v_pk_mul_f32 v[234:235], v[236:237], v[232:233] op_sel:[0,1]
	s_delay_alu instid0(VALU_DEP_1) | instskip(SKIP_1) | instid1(VALU_DEP_1)
	v_pk_fma_f32 v[238:239], v[236:237], v[230:231], v[234:235] op_sel:[0,0,1] op_sel_hi:[1,1,0] neg_lo:[0,0,1] neg_hi:[0,0,1]
	v_pk_fma_f32 v[234:235], v[236:237], v[230:231], v[234:235] op_sel:[0,0,1] op_sel_hi:[1,0,0]
	v_mov_b32_e32 v239, v235
	ds_load_2addr_b64 v[234:237], v0 offset0:36 offset1:37
	v_pk_add_f32 v[146:147], v[146:147], v[240:241] neg_lo:[0,1] neg_hi:[0,1]
	v_pk_add_f32 v[142:143], v[142:143], v[238:239] neg_lo:[0,1] neg_hi:[0,1]
	s_wait_dscnt 0x0
	v_pk_mul_f32 v[238:239], v[234:235], v[232:233] op_sel:[0,1]
	s_delay_alu instid0(VALU_DEP_1) | instskip(SKIP_1) | instid1(VALU_DEP_1)
	v_pk_fma_f32 v[240:241], v[234:235], v[230:231], v[238:239] op_sel:[0,0,1] op_sel_hi:[1,1,0] neg_lo:[0,0,1] neg_hi:[0,0,1]
	v_pk_fma_f32 v[234:235], v[234:235], v[230:231], v[238:239] op_sel:[0,0,1] op_sel_hi:[1,0,0]
	v_mov_b32_e32 v241, v235
	v_pk_mul_f32 v[234:235], v[236:237], v[232:233] op_sel:[0,1]
	s_delay_alu instid0(VALU_DEP_1) | instskip(SKIP_1) | instid1(VALU_DEP_1)
	v_pk_fma_f32 v[238:239], v[236:237], v[230:231], v[234:235] op_sel:[0,0,1] op_sel_hi:[1,1,0] neg_lo:[0,0,1] neg_hi:[0,0,1]
	v_pk_fma_f32 v[234:235], v[236:237], v[230:231], v[234:235] op_sel:[0,0,1] op_sel_hi:[1,0,0]
	v_mov_b32_e32 v239, v235
	ds_load_2addr_b64 v[234:237], v0 offset0:38 offset1:39
	v_pk_add_f32 v[164:165], v[164:165], v[240:241] neg_lo:[0,1] neg_hi:[0,1]
	v_pk_add_f32 v[160:161], v[160:161], v[238:239] neg_lo:[0,1] neg_hi:[0,1]
	s_wait_dscnt 0x0
	v_dual_mul_f32 v238, v235, v233 :: v_dual_mul_f32 v240, v235, v230
	s_delay_alu instid0(VALU_DEP_1) | instskip(NEXT) | instid1(VALU_DEP_2)
	v_pk_fma_f32 v[238:239], v[234:235], v[124:125], v[238:239] op_sel_hi:[1,1,0] neg_lo:[0,0,1] neg_hi:[0,0,1]
	v_pk_fma_f32 v[234:235], v[234:235], v[124:125], v[240:241] op_sel:[1,0,0] op_sel_hi:[0,1,0]
	s_delay_alu instid0(VALU_DEP_1) | instskip(SKIP_1) | instid1(VALU_DEP_2)
	v_mov_b32_e32 v239, v235
	v_pk_mul_f32 v[234:235], v[236:237], v[232:233] op_sel:[0,1]
	v_pk_add_f32 v[162:163], v[162:163], v[238:239] neg_lo:[0,1] neg_hi:[0,1]
	s_delay_alu instid0(VALU_DEP_2) | instskip(SKIP_1) | instid1(VALU_DEP_1)
	v_pk_fma_f32 v[238:239], v[236:237], v[230:231], v[234:235] op_sel:[0,0,1] op_sel_hi:[1,1,0] neg_lo:[0,0,1] neg_hi:[0,0,1]
	v_pk_fma_f32 v[234:235], v[236:237], v[230:231], v[234:235] op_sel:[0,0,1] op_sel_hi:[1,0,0]
	v_mov_b32_e32 v239, v235
	ds_load_2addr_b64 v[234:237], v0 offset0:40 offset1:41
	v_pk_add_f32 v[158:159], v[158:159], v[238:239] neg_lo:[0,1] neg_hi:[0,1]
	s_wait_dscnt 0x0
	v_pk_mul_f32 v[238:239], v[234:235], v[232:233] op_sel:[0,1]
	v_mul_f32_e32 v232, v237, v233
	s_delay_alu instid0(VALU_DEP_2) | instskip(SKIP_2) | instid1(VALU_DEP_4)
	v_pk_fma_f32 v[240:241], v[234:235], v[230:231], v[238:239] op_sel:[0,0,1] op_sel_hi:[1,1,0] neg_lo:[0,0,1] neg_hi:[0,0,1]
	v_pk_fma_f32 v[234:235], v[234:235], v[230:231], v[238:239] op_sel:[0,0,1] op_sel_hi:[1,0,0]
	v_dual_mov_b32 v234, v237 :: v_dual_mul_f32 v230, v237, v230
	v_pk_fma_f32 v[232:233], v[236:237], v[124:125], v[232:233] op_sel_hi:[1,1,0] neg_lo:[0,0,1] neg_hi:[0,0,1]
	s_delay_alu instid0(VALU_DEP_3) | instskip(NEXT) | instid1(VALU_DEP_1)
	v_dual_mov_b32 v241, v235 :: v_dual_mov_b32 v235, v236
	v_pk_add_f32 v[166:167], v[166:167], v[240:241] neg_lo:[0,1] neg_hi:[0,1]
	s_delay_alu instid0(VALU_DEP_2) | instskip(NEXT) | instid1(VALU_DEP_1)
	v_pk_fma_f32 v[230:231], v[234:235], v[124:125], v[230:231] op_sel_hi:[1,1,0]
	v_mov_b32_e32 v233, v231
	s_delay_alu instid0(VALU_DEP_1)
	v_pk_add_f32 v[168:169], v[168:169], v[232:233] neg_lo:[0,1] neg_hi:[0,1]
.LBB83_271:
	s_or_b32 exec_lo, exec_lo, s1
	s_delay_alu instid0(SALU_CYCLE_1)
	s_mov_b32 s2, exec_lo
	s_wait_dscnt 0x0
	s_barrier_signal -1
	s_barrier_wait -1
	v_cmpx_eq_u32_e32 30, v254
	s_cbranch_execz .LBB83_278
; %bb.272:
	ds_store_b64 v255, v[126:127]
	ds_store_2addr_b64 v0, v[122:123], v[148:149] offset0:31 offset1:32
	ds_store_2addr_b64 v0, v[144:145], v[146:147] offset0:33 offset1:34
	;; [unrolled: 1-line block ×5, first 2 shown]
	ds_store_b64 v0, v[168:169] offset:328
	ds_load_b64 v[230:231], v255
	s_wait_dscnt 0x0
	v_cmp_neq_f32_e32 vcc_lo, 0, v230
	v_cmp_neq_f32_e64 s1, 0, v231
	s_or_b32 s1, vcc_lo, s1
	s_delay_alu instid0(SALU_CYCLE_1)
	s_and_b32 exec_lo, exec_lo, s1
	s_cbranch_execz .LBB83_278
; %bb.273:
	v_cmp_ngt_f32_e64 s1, |v230|, |v231|
                                        ; implicit-def: $vgpr232_vgpr233
	s_and_saveexec_b32 s4, s1
	s_delay_alu instid0(SALU_CYCLE_1)
	s_xor_b32 s1, exec_lo, s4
	s_cbranch_execz .LBB83_275
; %bb.274:
	v_div_scale_f32 v1, null, v231, v231, v230
	v_div_scale_f32 v6, vcc_lo, v230, v231, v230
	s_delay_alu instid0(VALU_DEP_2) | instskip(SKIP_1) | instid1(TRANS32_DEP_1)
	v_rcp_f32_e32 v4, v1
	v_nop
	v_fma_f32 v5, -v1, v4, 1.0
	s_delay_alu instid0(VALU_DEP_1) | instskip(NEXT) | instid1(VALU_DEP_1)
	v_fmac_f32_e32 v4, v5, v4
	v_mul_f32_e32 v5, v6, v4
	s_delay_alu instid0(VALU_DEP_1) | instskip(NEXT) | instid1(VALU_DEP_1)
	v_fma_f32 v7, -v1, v5, v6
	v_fmac_f32_e32 v5, v7, v4
	s_delay_alu instid0(VALU_DEP_1) | instskip(NEXT) | instid1(VALU_DEP_1)
	v_fma_f32 v1, -v1, v5, v6
	v_div_fmas_f32 v1, v1, v4, v5
	s_delay_alu instid0(VALU_DEP_1) | instskip(NEXT) | instid1(VALU_DEP_1)
	v_div_fixup_f32 v1, v1, v231, v230
	v_fmac_f32_e32 v231, v230, v1
	s_delay_alu instid0(VALU_DEP_1) | instskip(SKIP_1) | instid1(VALU_DEP_2)
	v_div_scale_f32 v4, null, v231, v231, 1.0
	v_div_scale_f32 v7, vcc_lo, 1.0, v231, 1.0
	v_rcp_f32_e32 v5, v4
	v_nop
	s_delay_alu instid0(TRANS32_DEP_1) | instskip(NEXT) | instid1(VALU_DEP_1)
	v_fma_f32 v6, -v4, v5, 1.0
	v_fmac_f32_e32 v5, v6, v5
	s_delay_alu instid0(VALU_DEP_1) | instskip(NEXT) | instid1(VALU_DEP_1)
	v_mul_f32_e32 v6, v7, v5
	v_fma_f32 v8, -v4, v6, v7
	s_delay_alu instid0(VALU_DEP_1) | instskip(NEXT) | instid1(VALU_DEP_1)
	v_fmac_f32_e32 v6, v8, v5
	v_fma_f32 v4, -v4, v6, v7
	s_delay_alu instid0(VALU_DEP_1) | instskip(NEXT) | instid1(VALU_DEP_1)
	v_div_fmas_f32 v4, v4, v5, v6
	v_div_fixup_f32 v4, v4, v231, 1.0
                                        ; implicit-def: $vgpr230_vgpr231
	s_delay_alu instid0(VALU_DEP_1)
	v_mul_f32_e32 v232, v1, v4
	v_xor_b32_e32 v233, 0x80000000, v4
.LBB83_275:
	s_and_not1_saveexec_b32 s1, s1
	s_cbranch_execz .LBB83_277
; %bb.276:
	v_div_scale_f32 v1, null, v230, v230, v231
	v_div_scale_f32 v6, vcc_lo, v231, v230, v231
	s_delay_alu instid0(VALU_DEP_2) | instskip(SKIP_1) | instid1(TRANS32_DEP_1)
	v_rcp_f32_e32 v4, v1
	v_nop
	v_fma_f32 v5, -v1, v4, 1.0
	s_delay_alu instid0(VALU_DEP_1) | instskip(NEXT) | instid1(VALU_DEP_1)
	v_fmac_f32_e32 v4, v5, v4
	v_mul_f32_e32 v5, v6, v4
	s_delay_alu instid0(VALU_DEP_1) | instskip(NEXT) | instid1(VALU_DEP_1)
	v_fma_f32 v7, -v1, v5, v6
	v_fmac_f32_e32 v5, v7, v4
	s_delay_alu instid0(VALU_DEP_1) | instskip(NEXT) | instid1(VALU_DEP_1)
	v_fma_f32 v1, -v1, v5, v6
	v_div_fmas_f32 v1, v1, v4, v5
	s_delay_alu instid0(VALU_DEP_1) | instskip(NEXT) | instid1(VALU_DEP_1)
	v_div_fixup_f32 v1, v1, v230, v231
	v_fmac_f32_e32 v230, v231, v1
	s_delay_alu instid0(VALU_DEP_1) | instskip(NEXT) | instid1(VALU_DEP_1)
	v_div_scale_f32 v4, null, v230, v230, 1.0
	v_rcp_f32_e32 v5, v4
	v_nop
	s_delay_alu instid0(TRANS32_DEP_1) | instskip(NEXT) | instid1(VALU_DEP_1)
	v_fma_f32 v6, -v4, v5, 1.0
	v_fmac_f32_e32 v5, v6, v5
	v_div_scale_f32 v6, vcc_lo, 1.0, v230, 1.0
	s_delay_alu instid0(VALU_DEP_1) | instskip(NEXT) | instid1(VALU_DEP_1)
	v_mul_f32_e32 v7, v6, v5
	v_fma_f32 v8, -v4, v7, v6
	s_delay_alu instid0(VALU_DEP_1) | instskip(NEXT) | instid1(VALU_DEP_1)
	v_fmac_f32_e32 v7, v8, v5
	v_fma_f32 v4, -v4, v7, v6
	s_delay_alu instid0(VALU_DEP_1) | instskip(NEXT) | instid1(VALU_DEP_1)
	v_div_fmas_f32 v4, v4, v5, v7
	v_div_fixup_f32 v232, v4, v230, 1.0
	s_delay_alu instid0(VALU_DEP_1)
	v_mul_f32_e64 v233, v1, -v232
.LBB83_277:
	s_or_b32 exec_lo, exec_lo, s1
	ds_store_b64 v255, v[232:233]
.LBB83_278:
	s_or_b32 exec_lo, exec_lo, s2
	s_wait_dscnt 0x0
	s_barrier_signal -1
	s_barrier_wait -1
	ds_load_b64 v[230:231], v255
	s_mov_b32 s1, exec_lo
	v_cmpx_lt_u32_e32 30, v254
	s_cbranch_execz .LBB83_280
; %bb.279:
	ds_load_2addr_b64 v[236:239], v0 offset0:31 offset1:32
	s_wait_dscnt 0x1
	v_pk_mul_f32 v[234:235], v[230:231], v[126:127] op_sel:[1,1] op_sel_hi:[0,1]
	s_delay_alu instid0(VALU_DEP_1) | instskip(SKIP_1) | instid1(VALU_DEP_1)
	v_pk_fma_f32 v[232:233], v[230:231], v[126:127], v[234:235] op_sel_hi:[1,0,1] neg_lo:[0,0,1] neg_hi:[0,0,1]
	v_pk_fma_f32 v[234:235], v[230:231], v[126:127], v[234:235] op_sel_hi:[1,0,1]
	v_dual_mov_b32 v126, v232 :: v_dual_mov_b32 v127, v235
	s_wait_dscnt 0x0
	s_delay_alu instid0(VALU_DEP_2) | instskip(NEXT) | instid1(VALU_DEP_1)
	v_pk_mul_f32 v[240:241], v[236:237], v[234:235] op_sel:[0,1]
	v_pk_fma_f32 v[242:243], v[236:237], v[232:233], v[240:241] op_sel:[0,0,1] op_sel_hi:[1,1,0] neg_lo:[0,0,1] neg_hi:[0,0,1]
	v_pk_fma_f32 v[236:237], v[236:237], v[232:233], v[240:241] op_sel:[0,0,1] op_sel_hi:[1,0,0]
	s_delay_alu instid0(VALU_DEP_1) | instskip(SKIP_1) | instid1(VALU_DEP_1)
	v_mov_b32_e32 v243, v237
	v_pk_mul_f32 v[236:237], v[238:239], v[234:235] op_sel:[0,1]
	v_pk_fma_f32 v[240:241], v[238:239], v[232:233], v[236:237] op_sel:[0,0,1] op_sel_hi:[1,1,0] neg_lo:[0,0,1] neg_hi:[0,0,1]
	v_pk_fma_f32 v[236:237], v[238:239], v[232:233], v[236:237] op_sel:[0,0,1] op_sel_hi:[1,0,0]
	s_delay_alu instid0(VALU_DEP_1)
	v_mov_b32_e32 v241, v237
	ds_load_2addr_b64 v[236:239], v0 offset0:33 offset1:34
	v_pk_add_f32 v[122:123], v[122:123], v[242:243] neg_lo:[0,1] neg_hi:[0,1]
	v_pk_add_f32 v[148:149], v[148:149], v[240:241] neg_lo:[0,1] neg_hi:[0,1]
	s_wait_dscnt 0x0
	v_pk_mul_f32 v[240:241], v[236:237], v[234:235] op_sel:[0,1]
	s_delay_alu instid0(VALU_DEP_1) | instskip(SKIP_2) | instid1(VALU_DEP_2)
	v_pk_fma_f32 v[242:243], v[236:237], v[232:233], v[240:241] op_sel:[0,0,1] op_sel_hi:[1,1,0] neg_lo:[0,0,1] neg_hi:[0,0,1]
	v_pk_fma_f32 v[236:237], v[236:237], v[232:233], v[240:241] op_sel:[0,0,1] op_sel_hi:[1,0,0]
	v_dual_mul_f32 v240, v239, v235 :: v_dual_mov_b32 v236, v239
	v_dual_mov_b32 v243, v237 :: v_dual_mov_b32 v237, v238
	s_delay_alu instid0(VALU_DEP_2) | instskip(SKIP_1) | instid1(VALU_DEP_3)
	v_pk_fma_f32 v[240:241], v[238:239], v[126:127], v[240:241] op_sel_hi:[1,1,0] neg_lo:[0,0,1] neg_hi:[0,0,1]
	v_mul_f32_e32 v238, v239, v232
	v_pk_add_f32 v[144:145], v[144:145], v[242:243] neg_lo:[0,1] neg_hi:[0,1]
	s_delay_alu instid0(VALU_DEP_2) | instskip(NEXT) | instid1(VALU_DEP_1)
	v_pk_fma_f32 v[236:237], v[236:237], v[126:127], v[238:239] op_sel_hi:[1,1,0]
	v_mov_b32_e32 v241, v237
	ds_load_2addr_b64 v[236:239], v0 offset0:35 offset1:36
	v_pk_add_f32 v[146:147], v[146:147], v[240:241] neg_lo:[0,1] neg_hi:[0,1]
	s_wait_dscnt 0x0
	v_pk_mul_f32 v[240:241], v[236:237], v[234:235] op_sel:[0,1]
	s_delay_alu instid0(VALU_DEP_1) | instskip(SKIP_1) | instid1(VALU_DEP_1)
	v_pk_fma_f32 v[242:243], v[236:237], v[232:233], v[240:241] op_sel:[0,0,1] op_sel_hi:[1,1,0] neg_lo:[0,0,1] neg_hi:[0,0,1]
	v_pk_fma_f32 v[236:237], v[236:237], v[232:233], v[240:241] op_sel:[0,0,1] op_sel_hi:[1,0,0]
	v_mov_b32_e32 v243, v237
	v_pk_mul_f32 v[236:237], v[238:239], v[234:235] op_sel:[0,1]
	s_delay_alu instid0(VALU_DEP_1) | instskip(SKIP_1) | instid1(VALU_DEP_1)
	v_pk_fma_f32 v[240:241], v[238:239], v[232:233], v[236:237] op_sel:[0,0,1] op_sel_hi:[1,1,0] neg_lo:[0,0,1] neg_hi:[0,0,1]
	v_pk_fma_f32 v[236:237], v[238:239], v[232:233], v[236:237] op_sel:[0,0,1] op_sel_hi:[1,0,0]
	v_mov_b32_e32 v241, v237
	ds_load_2addr_b64 v[236:239], v0 offset0:37 offset1:38
	v_pk_add_f32 v[142:143], v[142:143], v[242:243] neg_lo:[0,1] neg_hi:[0,1]
	v_pk_add_f32 v[164:165], v[164:165], v[240:241] neg_lo:[0,1] neg_hi:[0,1]
	s_wait_dscnt 0x0
	v_pk_mul_f32 v[240:241], v[236:237], v[234:235] op_sel:[0,1]
	s_delay_alu instid0(VALU_DEP_1) | instskip(SKIP_1) | instid1(VALU_DEP_1)
	v_pk_fma_f32 v[242:243], v[236:237], v[232:233], v[240:241] op_sel:[0,0,1] op_sel_hi:[1,1,0] neg_lo:[0,0,1] neg_hi:[0,0,1]
	v_pk_fma_f32 v[236:237], v[236:237], v[232:233], v[240:241] op_sel:[0,0,1] op_sel_hi:[1,0,0]
	v_mov_b32_e32 v243, v237
	v_pk_mul_f32 v[236:237], v[238:239], v[234:235] op_sel:[0,1]
	s_delay_alu instid0(VALU_DEP_1) | instskip(SKIP_1) | instid1(VALU_DEP_1)
	v_pk_fma_f32 v[240:241], v[238:239], v[232:233], v[236:237] op_sel:[0,0,1] op_sel_hi:[1,1,0] neg_lo:[0,0,1] neg_hi:[0,0,1]
	v_pk_fma_f32 v[236:237], v[238:239], v[232:233], v[236:237] op_sel:[0,0,1] op_sel_hi:[1,0,0]
	v_mov_b32_e32 v241, v237
	ds_load_2addr_b64 v[236:239], v0 offset0:39 offset1:40
	v_pk_add_f32 v[160:161], v[160:161], v[242:243] neg_lo:[0,1] neg_hi:[0,1]
	v_pk_add_f32 v[162:163], v[162:163], v[240:241] neg_lo:[0,1] neg_hi:[0,1]
	s_wait_dscnt 0x0
	v_dual_mul_f32 v240, v237, v235 :: v_dual_mul_f32 v242, v237, v232
	s_delay_alu instid0(VALU_DEP_1) | instskip(NEXT) | instid1(VALU_DEP_2)
	v_pk_fma_f32 v[240:241], v[236:237], v[126:127], v[240:241] op_sel_hi:[1,1,0] neg_lo:[0,0,1] neg_hi:[0,0,1]
	v_pk_fma_f32 v[236:237], v[236:237], v[126:127], v[242:243] op_sel:[1,0,0] op_sel_hi:[0,1,0]
	s_delay_alu instid0(VALU_DEP_1) | instskip(SKIP_1) | instid1(VALU_DEP_2)
	v_mov_b32_e32 v241, v237
	v_pk_mul_f32 v[236:237], v[238:239], v[234:235] op_sel:[0,1]
	v_pk_add_f32 v[158:159], v[158:159], v[240:241] neg_lo:[0,1] neg_hi:[0,1]
	s_delay_alu instid0(VALU_DEP_2) | instskip(SKIP_1) | instid1(VALU_DEP_1)
	v_pk_fma_f32 v[240:241], v[238:239], v[232:233], v[236:237] op_sel:[0,0,1] op_sel_hi:[1,1,0] neg_lo:[0,0,1] neg_hi:[0,0,1]
	v_pk_fma_f32 v[236:237], v[238:239], v[232:233], v[236:237] op_sel:[0,0,1] op_sel_hi:[1,0,0]
	v_mov_b32_e32 v241, v237
	ds_load_b64 v[236:237], v0 offset:328
	v_pk_add_f32 v[166:167], v[166:167], v[240:241] neg_lo:[0,1] neg_hi:[0,1]
	s_wait_dscnt 0x0
	v_pk_mul_f32 v[234:235], v[236:237], v[234:235] op_sel:[0,1]
	s_delay_alu instid0(VALU_DEP_1) | instskip(SKIP_1) | instid1(VALU_DEP_1)
	v_pk_fma_f32 v[238:239], v[236:237], v[232:233], v[234:235] op_sel:[0,0,1] op_sel_hi:[1,1,0] neg_lo:[0,0,1] neg_hi:[0,0,1]
	v_pk_fma_f32 v[232:233], v[236:237], v[232:233], v[234:235] op_sel:[0,0,1] op_sel_hi:[1,0,0]
	v_mov_b32_e32 v239, v233
	s_delay_alu instid0(VALU_DEP_1)
	v_pk_add_f32 v[168:169], v[168:169], v[238:239] neg_lo:[0,1] neg_hi:[0,1]
.LBB83_280:
	s_or_b32 exec_lo, exec_lo, s1
	s_delay_alu instid0(SALU_CYCLE_1)
	s_mov_b32 s2, exec_lo
	s_wait_dscnt 0x0
	s_barrier_signal -1
	s_barrier_wait -1
	v_cmpx_eq_u32_e32 31, v254
	s_cbranch_execz .LBB83_287
; %bb.281:
	v_dual_mov_b32 v232, v148 :: v_dual_mov_b32 v233, v149
	v_dual_mov_b32 v234, v144 :: v_dual_mov_b32 v235, v145
	;; [unrolled: 1-line block ×9, first 2 shown]
	ds_store_b64 v255, v[122:123]
	ds_store_2addr_b64 v0, v[232:233], v[234:235] offset0:32 offset1:33
	ds_store_2addr_b64 v0, v[236:237], v[238:239] offset0:34 offset1:35
	;; [unrolled: 1-line block ×5, first 2 shown]
	ds_load_b64 v[232:233], v255
	s_wait_dscnt 0x0
	v_cmp_neq_f32_e32 vcc_lo, 0, v232
	v_cmp_neq_f32_e64 s1, 0, v233
	s_or_b32 s1, vcc_lo, s1
	s_delay_alu instid0(SALU_CYCLE_1)
	s_and_b32 exec_lo, exec_lo, s1
	s_cbranch_execz .LBB83_287
; %bb.282:
	v_cmp_ngt_f32_e64 s1, |v232|, |v233|
                                        ; implicit-def: $vgpr234_vgpr235
	s_and_saveexec_b32 s4, s1
	s_delay_alu instid0(SALU_CYCLE_1)
	s_xor_b32 s1, exec_lo, s4
	s_cbranch_execz .LBB83_284
; %bb.283:
	v_div_scale_f32 v1, null, v233, v233, v232
	v_div_scale_f32 v6, vcc_lo, v232, v233, v232
	s_delay_alu instid0(VALU_DEP_2) | instskip(SKIP_1) | instid1(TRANS32_DEP_1)
	v_rcp_f32_e32 v4, v1
	v_nop
	v_fma_f32 v5, -v1, v4, 1.0
	s_delay_alu instid0(VALU_DEP_1) | instskip(NEXT) | instid1(VALU_DEP_1)
	v_fmac_f32_e32 v4, v5, v4
	v_mul_f32_e32 v5, v6, v4
	s_delay_alu instid0(VALU_DEP_1) | instskip(NEXT) | instid1(VALU_DEP_1)
	v_fma_f32 v7, -v1, v5, v6
	v_fmac_f32_e32 v5, v7, v4
	s_delay_alu instid0(VALU_DEP_1) | instskip(NEXT) | instid1(VALU_DEP_1)
	v_fma_f32 v1, -v1, v5, v6
	v_div_fmas_f32 v1, v1, v4, v5
	s_delay_alu instid0(VALU_DEP_1) | instskip(NEXT) | instid1(VALU_DEP_1)
	v_div_fixup_f32 v1, v1, v233, v232
	v_fmac_f32_e32 v233, v232, v1
	s_delay_alu instid0(VALU_DEP_1) | instskip(SKIP_1) | instid1(VALU_DEP_2)
	v_div_scale_f32 v4, null, v233, v233, 1.0
	v_div_scale_f32 v7, vcc_lo, 1.0, v233, 1.0
	v_rcp_f32_e32 v5, v4
	v_nop
	s_delay_alu instid0(TRANS32_DEP_1) | instskip(NEXT) | instid1(VALU_DEP_1)
	v_fma_f32 v6, -v4, v5, 1.0
	v_fmac_f32_e32 v5, v6, v5
	s_delay_alu instid0(VALU_DEP_1) | instskip(NEXT) | instid1(VALU_DEP_1)
	v_mul_f32_e32 v6, v7, v5
	v_fma_f32 v8, -v4, v6, v7
	s_delay_alu instid0(VALU_DEP_1) | instskip(NEXT) | instid1(VALU_DEP_1)
	v_fmac_f32_e32 v6, v8, v5
	v_fma_f32 v4, -v4, v6, v7
	s_delay_alu instid0(VALU_DEP_1) | instskip(NEXT) | instid1(VALU_DEP_1)
	v_div_fmas_f32 v4, v4, v5, v6
	v_div_fixup_f32 v4, v4, v233, 1.0
                                        ; implicit-def: $vgpr232_vgpr233
	s_delay_alu instid0(VALU_DEP_1)
	v_mul_f32_e32 v234, v1, v4
	v_xor_b32_e32 v235, 0x80000000, v4
.LBB83_284:
	s_and_not1_saveexec_b32 s1, s1
	s_cbranch_execz .LBB83_286
; %bb.285:
	v_div_scale_f32 v1, null, v232, v232, v233
	v_div_scale_f32 v6, vcc_lo, v233, v232, v233
	s_delay_alu instid0(VALU_DEP_2) | instskip(SKIP_1) | instid1(TRANS32_DEP_1)
	v_rcp_f32_e32 v4, v1
	v_nop
	v_fma_f32 v5, -v1, v4, 1.0
	s_delay_alu instid0(VALU_DEP_1) | instskip(NEXT) | instid1(VALU_DEP_1)
	v_fmac_f32_e32 v4, v5, v4
	v_mul_f32_e32 v5, v6, v4
	s_delay_alu instid0(VALU_DEP_1) | instskip(NEXT) | instid1(VALU_DEP_1)
	v_fma_f32 v7, -v1, v5, v6
	v_fmac_f32_e32 v5, v7, v4
	s_delay_alu instid0(VALU_DEP_1) | instskip(NEXT) | instid1(VALU_DEP_1)
	v_fma_f32 v1, -v1, v5, v6
	v_div_fmas_f32 v1, v1, v4, v5
	s_delay_alu instid0(VALU_DEP_1) | instskip(NEXT) | instid1(VALU_DEP_1)
	v_div_fixup_f32 v1, v1, v232, v233
	v_fmac_f32_e32 v232, v233, v1
	s_delay_alu instid0(VALU_DEP_1) | instskip(NEXT) | instid1(VALU_DEP_1)
	v_div_scale_f32 v4, null, v232, v232, 1.0
	v_rcp_f32_e32 v5, v4
	v_nop
	s_delay_alu instid0(TRANS32_DEP_1) | instskip(NEXT) | instid1(VALU_DEP_1)
	v_fma_f32 v6, -v4, v5, 1.0
	v_fmac_f32_e32 v5, v6, v5
	v_div_scale_f32 v6, vcc_lo, 1.0, v232, 1.0
	s_delay_alu instid0(VALU_DEP_1) | instskip(NEXT) | instid1(VALU_DEP_1)
	v_mul_f32_e32 v7, v6, v5
	v_fma_f32 v8, -v4, v7, v6
	s_delay_alu instid0(VALU_DEP_1) | instskip(NEXT) | instid1(VALU_DEP_1)
	v_fmac_f32_e32 v7, v8, v5
	v_fma_f32 v4, -v4, v7, v6
	s_delay_alu instid0(VALU_DEP_1) | instskip(NEXT) | instid1(VALU_DEP_1)
	v_div_fmas_f32 v4, v4, v5, v7
	v_div_fixup_f32 v234, v4, v232, 1.0
	s_delay_alu instid0(VALU_DEP_1)
	v_mul_f32_e64 v235, v1, -v234
.LBB83_286:
	s_or_b32 exec_lo, exec_lo, s1
	ds_store_b64 v255, v[234:235]
.LBB83_287:
	s_or_b32 exec_lo, exec_lo, s2
	s_wait_dscnt 0x0
	s_barrier_signal -1
	s_barrier_wait -1
	ds_load_b64 v[232:233], v255
	s_mov_b32 s1, exec_lo
	v_cmpx_lt_u32_e32 31, v254
	s_cbranch_execz .LBB83_289
; %bb.288:
	ds_load_2addr_b64 v[238:241], v0 offset0:32 offset1:33
	s_wait_dscnt 0x1
	v_pk_mul_f32 v[236:237], v[232:233], v[122:123] op_sel:[1,1] op_sel_hi:[0,1]
	s_delay_alu instid0(VALU_DEP_1) | instskip(SKIP_1) | instid1(VALU_DEP_1)
	v_pk_fma_f32 v[234:235], v[232:233], v[122:123], v[236:237] op_sel_hi:[1,0,1] neg_lo:[0,0,1] neg_hi:[0,0,1]
	v_pk_fma_f32 v[236:237], v[232:233], v[122:123], v[236:237] op_sel_hi:[1,0,1]
	v_dual_mov_b32 v122, v234 :: v_dual_mov_b32 v123, v237
	s_wait_dscnt 0x0
	s_delay_alu instid0(VALU_DEP_2) | instskip(NEXT) | instid1(VALU_DEP_1)
	v_pk_mul_f32 v[242:243], v[238:239], v[236:237] op_sel:[0,1]
	v_pk_fma_f32 v[244:245], v[238:239], v[234:235], v[242:243] op_sel:[0,0,1] op_sel_hi:[1,1,0] neg_lo:[0,0,1] neg_hi:[0,0,1]
	v_pk_fma_f32 v[238:239], v[238:239], v[234:235], v[242:243] op_sel:[0,0,1] op_sel_hi:[1,0,0]
	s_delay_alu instid0(VALU_DEP_1) | instskip(SKIP_1) | instid1(VALU_DEP_1)
	v_mov_b32_e32 v245, v239
	v_pk_mul_f32 v[238:239], v[240:241], v[236:237] op_sel:[0,1]
	v_pk_fma_f32 v[242:243], v[240:241], v[234:235], v[238:239] op_sel:[0,0,1] op_sel_hi:[1,1,0] neg_lo:[0,0,1] neg_hi:[0,0,1]
	v_pk_fma_f32 v[238:239], v[240:241], v[234:235], v[238:239] op_sel:[0,0,1] op_sel_hi:[1,0,0]
	s_delay_alu instid0(VALU_DEP_1)
	v_mov_b32_e32 v243, v239
	ds_load_2addr_b64 v[238:241], v0 offset0:34 offset1:35
	v_pk_add_f32 v[148:149], v[148:149], v[244:245] neg_lo:[0,1] neg_hi:[0,1]
	v_pk_add_f32 v[144:145], v[144:145], v[242:243] neg_lo:[0,1] neg_hi:[0,1]
	s_wait_dscnt 0x0
	v_pk_mul_f32 v[242:243], v[238:239], v[236:237] op_sel:[0,1]
	s_delay_alu instid0(VALU_DEP_1) | instskip(SKIP_2) | instid1(VALU_DEP_2)
	v_pk_fma_f32 v[244:245], v[238:239], v[234:235], v[242:243] op_sel:[0,0,1] op_sel_hi:[1,1,0] neg_lo:[0,0,1] neg_hi:[0,0,1]
	v_pk_fma_f32 v[238:239], v[238:239], v[234:235], v[242:243] op_sel:[0,0,1] op_sel_hi:[1,0,0]
	v_dual_mul_f32 v242, v241, v237 :: v_dual_mov_b32 v238, v241
	v_dual_mov_b32 v245, v239 :: v_dual_mov_b32 v239, v240
	s_delay_alu instid0(VALU_DEP_2) | instskip(SKIP_1) | instid1(VALU_DEP_3)
	v_pk_fma_f32 v[242:243], v[240:241], v[122:123], v[242:243] op_sel_hi:[1,1,0] neg_lo:[0,0,1] neg_hi:[0,0,1]
	v_mul_f32_e32 v240, v241, v234
	v_pk_add_f32 v[146:147], v[146:147], v[244:245] neg_lo:[0,1] neg_hi:[0,1]
	s_delay_alu instid0(VALU_DEP_2) | instskip(NEXT) | instid1(VALU_DEP_1)
	v_pk_fma_f32 v[238:239], v[238:239], v[122:123], v[240:241] op_sel_hi:[1,1,0]
	v_mov_b32_e32 v243, v239
	ds_load_2addr_b64 v[238:241], v0 offset0:36 offset1:37
	v_pk_add_f32 v[142:143], v[142:143], v[242:243] neg_lo:[0,1] neg_hi:[0,1]
	s_wait_dscnt 0x0
	v_pk_mul_f32 v[242:243], v[238:239], v[236:237] op_sel:[0,1]
	s_delay_alu instid0(VALU_DEP_1) | instskip(SKIP_1) | instid1(VALU_DEP_1)
	v_pk_fma_f32 v[244:245], v[238:239], v[234:235], v[242:243] op_sel:[0,0,1] op_sel_hi:[1,1,0] neg_lo:[0,0,1] neg_hi:[0,0,1]
	v_pk_fma_f32 v[238:239], v[238:239], v[234:235], v[242:243] op_sel:[0,0,1] op_sel_hi:[1,0,0]
	v_mov_b32_e32 v245, v239
	v_pk_mul_f32 v[238:239], v[240:241], v[236:237] op_sel:[0,1]
	s_delay_alu instid0(VALU_DEP_1) | instskip(SKIP_1) | instid1(VALU_DEP_1)
	v_pk_fma_f32 v[242:243], v[240:241], v[234:235], v[238:239] op_sel:[0,0,1] op_sel_hi:[1,1,0] neg_lo:[0,0,1] neg_hi:[0,0,1]
	v_pk_fma_f32 v[238:239], v[240:241], v[234:235], v[238:239] op_sel:[0,0,1] op_sel_hi:[1,0,0]
	v_mov_b32_e32 v243, v239
	ds_load_2addr_b64 v[238:241], v0 offset0:38 offset1:39
	v_pk_add_f32 v[164:165], v[164:165], v[244:245] neg_lo:[0,1] neg_hi:[0,1]
	v_pk_add_f32 v[160:161], v[160:161], v[242:243] neg_lo:[0,1] neg_hi:[0,1]
	s_wait_dscnt 0x0
	v_pk_mul_f32 v[242:243], v[238:239], v[236:237] op_sel:[0,1]
	s_delay_alu instid0(VALU_DEP_1) | instskip(SKIP_1) | instid1(VALU_DEP_1)
	v_pk_fma_f32 v[244:245], v[238:239], v[234:235], v[242:243] op_sel:[0,0,1] op_sel_hi:[1,1,0] neg_lo:[0,0,1] neg_hi:[0,0,1]
	v_pk_fma_f32 v[238:239], v[238:239], v[234:235], v[242:243] op_sel:[0,0,1] op_sel_hi:[1,0,0]
	v_mov_b32_e32 v245, v239
	v_pk_mul_f32 v[238:239], v[240:241], v[236:237] op_sel:[0,1]
	s_delay_alu instid0(VALU_DEP_1) | instskip(SKIP_1) | instid1(VALU_DEP_1)
	v_pk_fma_f32 v[242:243], v[240:241], v[234:235], v[238:239] op_sel:[0,0,1] op_sel_hi:[1,1,0] neg_lo:[0,0,1] neg_hi:[0,0,1]
	v_pk_fma_f32 v[238:239], v[240:241], v[234:235], v[238:239] op_sel:[0,0,1] op_sel_hi:[1,0,0]
	v_mov_b32_e32 v243, v239
	ds_load_2addr_b64 v[238:241], v0 offset0:40 offset1:41
	v_pk_add_f32 v[162:163], v[162:163], v[244:245] neg_lo:[0,1] neg_hi:[0,1]
	v_pk_add_f32 v[158:159], v[158:159], v[242:243] neg_lo:[0,1] neg_hi:[0,1]
	s_wait_dscnt 0x0
	v_dual_mul_f32 v242, v239, v237 :: v_dual_mul_f32 v244, v239, v234
	v_pk_mul_f32 v[236:237], v[240:241], v[236:237] op_sel:[0,1]
	s_delay_alu instid0(VALU_DEP_2) | instskip(NEXT) | instid1(VALU_DEP_3)
	v_pk_fma_f32 v[242:243], v[238:239], v[122:123], v[242:243] op_sel_hi:[1,1,0] neg_lo:[0,0,1] neg_hi:[0,0,1]
	v_pk_fma_f32 v[238:239], v[238:239], v[122:123], v[244:245] op_sel:[1,0,0] op_sel_hi:[0,1,0]
	s_delay_alu instid0(VALU_DEP_1) | instskip(NEXT) | instid1(VALU_DEP_4)
	v_mov_b32_e32 v243, v239
	v_pk_fma_f32 v[238:239], v[240:241], v[234:235], v[236:237] op_sel:[0,0,1] op_sel_hi:[1,1,0] neg_lo:[0,0,1] neg_hi:[0,0,1]
	v_pk_fma_f32 v[234:235], v[240:241], v[234:235], v[236:237] op_sel:[0,0,1] op_sel_hi:[1,0,0]
	s_delay_alu instid0(VALU_DEP_1) | instskip(NEXT) | instid1(VALU_DEP_4)
	v_mov_b32_e32 v239, v235
	v_pk_add_f32 v[166:167], v[166:167], v[242:243] neg_lo:[0,1] neg_hi:[0,1]
	s_delay_alu instid0(VALU_DEP_2)
	v_pk_add_f32 v[168:169], v[168:169], v[238:239] neg_lo:[0,1] neg_hi:[0,1]
.LBB83_289:
	s_or_b32 exec_lo, exec_lo, s1
	s_delay_alu instid0(SALU_CYCLE_1)
	s_mov_b32 s2, exec_lo
	s_wait_dscnt 0x0
	s_barrier_signal -1
	s_barrier_wait -1
	v_cmpx_eq_u32_e32 32, v254
	s_cbranch_execz .LBB83_296
; %bb.290:
	ds_store_b64 v255, v[148:149]
	ds_store_2addr_b64 v0, v[144:145], v[146:147] offset0:33 offset1:34
	ds_store_2addr_b64 v0, v[142:143], v[164:165] offset0:35 offset1:36
	;; [unrolled: 1-line block ×4, first 2 shown]
	ds_store_b64 v0, v[168:169] offset:328
	ds_load_b64 v[234:235], v255
	s_wait_dscnt 0x0
	v_cmp_neq_f32_e32 vcc_lo, 0, v234
	v_cmp_neq_f32_e64 s1, 0, v235
	s_or_b32 s1, vcc_lo, s1
	s_delay_alu instid0(SALU_CYCLE_1)
	s_and_b32 exec_lo, exec_lo, s1
	s_cbranch_execz .LBB83_296
; %bb.291:
	v_cmp_ngt_f32_e64 s1, |v234|, |v235|
                                        ; implicit-def: $vgpr236_vgpr237
	s_and_saveexec_b32 s4, s1
	s_delay_alu instid0(SALU_CYCLE_1)
	s_xor_b32 s1, exec_lo, s4
	s_cbranch_execz .LBB83_293
; %bb.292:
	v_div_scale_f32 v1, null, v235, v235, v234
	v_div_scale_f32 v6, vcc_lo, v234, v235, v234
	s_delay_alu instid0(VALU_DEP_2) | instskip(SKIP_1) | instid1(TRANS32_DEP_1)
	v_rcp_f32_e32 v4, v1
	v_nop
	v_fma_f32 v5, -v1, v4, 1.0
	s_delay_alu instid0(VALU_DEP_1) | instskip(NEXT) | instid1(VALU_DEP_1)
	v_fmac_f32_e32 v4, v5, v4
	v_mul_f32_e32 v5, v6, v4
	s_delay_alu instid0(VALU_DEP_1) | instskip(NEXT) | instid1(VALU_DEP_1)
	v_fma_f32 v7, -v1, v5, v6
	v_fmac_f32_e32 v5, v7, v4
	s_delay_alu instid0(VALU_DEP_1) | instskip(NEXT) | instid1(VALU_DEP_1)
	v_fma_f32 v1, -v1, v5, v6
	v_div_fmas_f32 v1, v1, v4, v5
	s_delay_alu instid0(VALU_DEP_1) | instskip(NEXT) | instid1(VALU_DEP_1)
	v_div_fixup_f32 v1, v1, v235, v234
	v_fmac_f32_e32 v235, v234, v1
	s_delay_alu instid0(VALU_DEP_1) | instskip(SKIP_1) | instid1(VALU_DEP_2)
	v_div_scale_f32 v4, null, v235, v235, 1.0
	v_div_scale_f32 v7, vcc_lo, 1.0, v235, 1.0
	v_rcp_f32_e32 v5, v4
	v_nop
	s_delay_alu instid0(TRANS32_DEP_1) | instskip(NEXT) | instid1(VALU_DEP_1)
	v_fma_f32 v6, -v4, v5, 1.0
	v_fmac_f32_e32 v5, v6, v5
	s_delay_alu instid0(VALU_DEP_1) | instskip(NEXT) | instid1(VALU_DEP_1)
	v_mul_f32_e32 v6, v7, v5
	v_fma_f32 v8, -v4, v6, v7
	s_delay_alu instid0(VALU_DEP_1) | instskip(NEXT) | instid1(VALU_DEP_1)
	v_fmac_f32_e32 v6, v8, v5
	v_fma_f32 v4, -v4, v6, v7
	s_delay_alu instid0(VALU_DEP_1) | instskip(NEXT) | instid1(VALU_DEP_1)
	v_div_fmas_f32 v4, v4, v5, v6
	v_div_fixup_f32 v4, v4, v235, 1.0
                                        ; implicit-def: $vgpr234_vgpr235
	s_delay_alu instid0(VALU_DEP_1)
	v_mul_f32_e32 v236, v1, v4
	v_xor_b32_e32 v237, 0x80000000, v4
.LBB83_293:
	s_and_not1_saveexec_b32 s1, s1
	s_cbranch_execz .LBB83_295
; %bb.294:
	v_div_scale_f32 v1, null, v234, v234, v235
	v_div_scale_f32 v6, vcc_lo, v235, v234, v235
	s_delay_alu instid0(VALU_DEP_2) | instskip(SKIP_1) | instid1(TRANS32_DEP_1)
	v_rcp_f32_e32 v4, v1
	v_nop
	v_fma_f32 v5, -v1, v4, 1.0
	s_delay_alu instid0(VALU_DEP_1) | instskip(NEXT) | instid1(VALU_DEP_1)
	v_fmac_f32_e32 v4, v5, v4
	v_mul_f32_e32 v5, v6, v4
	s_delay_alu instid0(VALU_DEP_1) | instskip(NEXT) | instid1(VALU_DEP_1)
	v_fma_f32 v7, -v1, v5, v6
	v_fmac_f32_e32 v5, v7, v4
	s_delay_alu instid0(VALU_DEP_1) | instskip(NEXT) | instid1(VALU_DEP_1)
	v_fma_f32 v1, -v1, v5, v6
	v_div_fmas_f32 v1, v1, v4, v5
	s_delay_alu instid0(VALU_DEP_1) | instskip(NEXT) | instid1(VALU_DEP_1)
	v_div_fixup_f32 v1, v1, v234, v235
	v_fmac_f32_e32 v234, v235, v1
	s_delay_alu instid0(VALU_DEP_1) | instskip(NEXT) | instid1(VALU_DEP_1)
	v_div_scale_f32 v4, null, v234, v234, 1.0
	v_rcp_f32_e32 v5, v4
	v_nop
	s_delay_alu instid0(TRANS32_DEP_1) | instskip(NEXT) | instid1(VALU_DEP_1)
	v_fma_f32 v6, -v4, v5, 1.0
	v_fmac_f32_e32 v5, v6, v5
	v_div_scale_f32 v6, vcc_lo, 1.0, v234, 1.0
	s_delay_alu instid0(VALU_DEP_1) | instskip(NEXT) | instid1(VALU_DEP_1)
	v_mul_f32_e32 v7, v6, v5
	v_fma_f32 v8, -v4, v7, v6
	s_delay_alu instid0(VALU_DEP_1) | instskip(NEXT) | instid1(VALU_DEP_1)
	v_fmac_f32_e32 v7, v8, v5
	v_fma_f32 v4, -v4, v7, v6
	s_delay_alu instid0(VALU_DEP_1) | instskip(NEXT) | instid1(VALU_DEP_1)
	v_div_fmas_f32 v4, v4, v5, v7
	v_div_fixup_f32 v236, v4, v234, 1.0
	s_delay_alu instid0(VALU_DEP_1)
	v_mul_f32_e64 v237, v1, -v236
.LBB83_295:
	s_or_b32 exec_lo, exec_lo, s1
	ds_store_b64 v255, v[236:237]
.LBB83_296:
	s_or_b32 exec_lo, exec_lo, s2
	s_wait_dscnt 0x0
	s_barrier_signal -1
	s_barrier_wait -1
	ds_load_b64 v[234:235], v255
	s_mov_b32 s1, exec_lo
	v_cmpx_lt_u32_e32 32, v254
	s_cbranch_execz .LBB83_298
; %bb.297:
	ds_load_2addr_b64 v[240:243], v0 offset0:33 offset1:34
	s_wait_dscnt 0x1
	v_pk_mul_f32 v[238:239], v[234:235], v[148:149] op_sel:[1,1] op_sel_hi:[0,1]
	s_delay_alu instid0(VALU_DEP_1) | instskip(SKIP_1) | instid1(VALU_DEP_1)
	v_pk_fma_f32 v[236:237], v[234:235], v[148:149], v[238:239] op_sel_hi:[1,0,1] neg_lo:[0,0,1] neg_hi:[0,0,1]
	v_pk_fma_f32 v[238:239], v[234:235], v[148:149], v[238:239] op_sel_hi:[1,0,1]
	v_dual_mov_b32 v148, v236 :: v_dual_mov_b32 v149, v239
	s_wait_dscnt 0x0
	s_delay_alu instid0(VALU_DEP_2) | instskip(NEXT) | instid1(VALU_DEP_1)
	v_pk_mul_f32 v[244:245], v[240:241], v[238:239] op_sel:[0,1]
	v_pk_fma_f32 v[246:247], v[240:241], v[236:237], v[244:245] op_sel:[0,0,1] op_sel_hi:[1,1,0] neg_lo:[0,0,1] neg_hi:[0,0,1]
	v_pk_fma_f32 v[240:241], v[240:241], v[236:237], v[244:245] op_sel:[0,0,1] op_sel_hi:[1,0,0]
	s_delay_alu instid0(VALU_DEP_1) | instskip(SKIP_1) | instid1(VALU_DEP_1)
	v_mov_b32_e32 v247, v241
	v_pk_mul_f32 v[240:241], v[242:243], v[238:239] op_sel:[0,1]
	v_pk_fma_f32 v[244:245], v[242:243], v[236:237], v[240:241] op_sel:[0,0,1] op_sel_hi:[1,1,0] neg_lo:[0,0,1] neg_hi:[0,0,1]
	v_pk_fma_f32 v[240:241], v[242:243], v[236:237], v[240:241] op_sel:[0,0,1] op_sel_hi:[1,0,0]
	s_delay_alu instid0(VALU_DEP_1)
	v_mov_b32_e32 v245, v241
	ds_load_2addr_b64 v[240:243], v0 offset0:35 offset1:36
	v_pk_add_f32 v[144:145], v[144:145], v[246:247] neg_lo:[0,1] neg_hi:[0,1]
	v_pk_add_f32 v[146:147], v[146:147], v[244:245] neg_lo:[0,1] neg_hi:[0,1]
	s_wait_dscnt 0x0
	v_pk_mul_f32 v[244:245], v[240:241], v[238:239] op_sel:[0,1]
	s_delay_alu instid0(VALU_DEP_1) | instskip(SKIP_2) | instid1(VALU_DEP_2)
	v_pk_fma_f32 v[246:247], v[240:241], v[236:237], v[244:245] op_sel:[0,0,1] op_sel_hi:[1,1,0] neg_lo:[0,0,1] neg_hi:[0,0,1]
	v_pk_fma_f32 v[240:241], v[240:241], v[236:237], v[244:245] op_sel:[0,0,1] op_sel_hi:[1,0,0]
	v_dual_mul_f32 v244, v243, v239 :: v_dual_mov_b32 v240, v243
	v_dual_mov_b32 v247, v241 :: v_dual_mov_b32 v241, v242
	s_delay_alu instid0(VALU_DEP_2) | instskip(SKIP_1) | instid1(VALU_DEP_3)
	v_pk_fma_f32 v[244:245], v[242:243], v[148:149], v[244:245] op_sel_hi:[1,1,0] neg_lo:[0,0,1] neg_hi:[0,0,1]
	v_mul_f32_e32 v242, v243, v236
	v_pk_add_f32 v[142:143], v[142:143], v[246:247] neg_lo:[0,1] neg_hi:[0,1]
	s_delay_alu instid0(VALU_DEP_2) | instskip(NEXT) | instid1(VALU_DEP_1)
	v_pk_fma_f32 v[240:241], v[240:241], v[148:149], v[242:243] op_sel_hi:[1,1,0]
	v_mov_b32_e32 v245, v241
	ds_load_2addr_b64 v[240:243], v0 offset0:37 offset1:38
	v_pk_add_f32 v[164:165], v[164:165], v[244:245] neg_lo:[0,1] neg_hi:[0,1]
	s_wait_dscnt 0x0
	v_pk_mul_f32 v[244:245], v[240:241], v[238:239] op_sel:[0,1]
	s_delay_alu instid0(VALU_DEP_1) | instskip(SKIP_1) | instid1(VALU_DEP_1)
	v_pk_fma_f32 v[246:247], v[240:241], v[236:237], v[244:245] op_sel:[0,0,1] op_sel_hi:[1,1,0] neg_lo:[0,0,1] neg_hi:[0,0,1]
	v_pk_fma_f32 v[240:241], v[240:241], v[236:237], v[244:245] op_sel:[0,0,1] op_sel_hi:[1,0,0]
	v_mov_b32_e32 v247, v241
	v_pk_mul_f32 v[240:241], v[242:243], v[238:239] op_sel:[0,1]
	s_delay_alu instid0(VALU_DEP_1) | instskip(SKIP_1) | instid1(VALU_DEP_1)
	v_pk_fma_f32 v[244:245], v[242:243], v[236:237], v[240:241] op_sel:[0,0,1] op_sel_hi:[1,1,0] neg_lo:[0,0,1] neg_hi:[0,0,1]
	v_pk_fma_f32 v[240:241], v[242:243], v[236:237], v[240:241] op_sel:[0,0,1] op_sel_hi:[1,0,0]
	v_mov_b32_e32 v245, v241
	ds_load_2addr_b64 v[240:243], v0 offset0:39 offset1:40
	v_pk_add_f32 v[160:161], v[160:161], v[246:247] neg_lo:[0,1] neg_hi:[0,1]
	v_pk_add_f32 v[162:163], v[162:163], v[244:245] neg_lo:[0,1] neg_hi:[0,1]
	s_wait_dscnt 0x0
	v_pk_mul_f32 v[244:245], v[240:241], v[238:239] op_sel:[0,1]
	s_delay_alu instid0(VALU_DEP_1) | instskip(SKIP_1) | instid1(VALU_DEP_1)
	v_pk_fma_f32 v[246:247], v[240:241], v[236:237], v[244:245] op_sel:[0,0,1] op_sel_hi:[1,1,0] neg_lo:[0,0,1] neg_hi:[0,0,1]
	v_pk_fma_f32 v[240:241], v[240:241], v[236:237], v[244:245] op_sel:[0,0,1] op_sel_hi:[1,0,0]
	v_mov_b32_e32 v247, v241
	v_pk_mul_f32 v[240:241], v[242:243], v[238:239] op_sel:[0,1]
	s_delay_alu instid0(VALU_DEP_1) | instskip(SKIP_1) | instid1(VALU_DEP_1)
	v_pk_fma_f32 v[244:245], v[242:243], v[236:237], v[240:241] op_sel:[0,0,1] op_sel_hi:[1,1,0] neg_lo:[0,0,1] neg_hi:[0,0,1]
	v_pk_fma_f32 v[240:241], v[242:243], v[236:237], v[240:241] op_sel:[0,0,1] op_sel_hi:[1,0,0]
	v_mov_b32_e32 v245, v241
	ds_load_b64 v[240:241], v0 offset:328
	v_pk_add_f32 v[158:159], v[158:159], v[246:247] neg_lo:[0,1] neg_hi:[0,1]
	v_pk_add_f32 v[166:167], v[166:167], v[244:245] neg_lo:[0,1] neg_hi:[0,1]
	s_wait_dscnt 0x0
	v_pk_mul_f32 v[238:239], v[240:241], v[238:239] op_sel:[0,1]
	s_delay_alu instid0(VALU_DEP_1) | instskip(SKIP_1) | instid1(VALU_DEP_1)
	v_pk_fma_f32 v[242:243], v[240:241], v[236:237], v[238:239] op_sel:[0,0,1] op_sel_hi:[1,1,0] neg_lo:[0,0,1] neg_hi:[0,0,1]
	v_pk_fma_f32 v[236:237], v[240:241], v[236:237], v[238:239] op_sel:[0,0,1] op_sel_hi:[1,0,0]
	v_mov_b32_e32 v243, v237
	s_delay_alu instid0(VALU_DEP_1)
	v_pk_add_f32 v[168:169], v[168:169], v[242:243] neg_lo:[0,1] neg_hi:[0,1]
.LBB83_298:
	s_or_b32 exec_lo, exec_lo, s1
	s_delay_alu instid0(SALU_CYCLE_1)
	s_mov_b32 s2, exec_lo
	s_wait_dscnt 0x0
	s_barrier_signal -1
	s_barrier_wait -1
	v_cmpx_eq_u32_e32 33, v254
	s_cbranch_execz .LBB83_305
; %bb.299:
	v_dual_mov_b32 v236, v146 :: v_dual_mov_b32 v237, v147
	v_dual_mov_b32 v238, v142 :: v_dual_mov_b32 v239, v143
	;; [unrolled: 1-line block ×7, first 2 shown]
	ds_store_b64 v255, v[144:145]
	ds_store_2addr_b64 v0, v[236:237], v[238:239] offset0:34 offset1:35
	ds_store_2addr_b64 v0, v[240:241], v[242:243] offset0:36 offset1:37
	;; [unrolled: 1-line block ×4, first 2 shown]
	ds_load_b64 v[236:237], v255
	s_wait_dscnt 0x0
	v_cmp_neq_f32_e32 vcc_lo, 0, v236
	v_cmp_neq_f32_e64 s1, 0, v237
	s_or_b32 s1, vcc_lo, s1
	s_delay_alu instid0(SALU_CYCLE_1)
	s_and_b32 exec_lo, exec_lo, s1
	s_cbranch_execz .LBB83_305
; %bb.300:
	v_cmp_ngt_f32_e64 s1, |v236|, |v237|
                                        ; implicit-def: $vgpr238_vgpr239
	s_and_saveexec_b32 s4, s1
	s_delay_alu instid0(SALU_CYCLE_1)
	s_xor_b32 s1, exec_lo, s4
	s_cbranch_execz .LBB83_302
; %bb.301:
	v_div_scale_f32 v1, null, v237, v237, v236
	v_div_scale_f32 v6, vcc_lo, v236, v237, v236
	s_delay_alu instid0(VALU_DEP_2) | instskip(SKIP_1) | instid1(TRANS32_DEP_1)
	v_rcp_f32_e32 v4, v1
	v_nop
	v_fma_f32 v5, -v1, v4, 1.0
	s_delay_alu instid0(VALU_DEP_1) | instskip(NEXT) | instid1(VALU_DEP_1)
	v_fmac_f32_e32 v4, v5, v4
	v_mul_f32_e32 v5, v6, v4
	s_delay_alu instid0(VALU_DEP_1) | instskip(NEXT) | instid1(VALU_DEP_1)
	v_fma_f32 v7, -v1, v5, v6
	v_fmac_f32_e32 v5, v7, v4
	s_delay_alu instid0(VALU_DEP_1) | instskip(NEXT) | instid1(VALU_DEP_1)
	v_fma_f32 v1, -v1, v5, v6
	v_div_fmas_f32 v1, v1, v4, v5
	s_delay_alu instid0(VALU_DEP_1) | instskip(NEXT) | instid1(VALU_DEP_1)
	v_div_fixup_f32 v1, v1, v237, v236
	v_fmac_f32_e32 v237, v236, v1
	s_delay_alu instid0(VALU_DEP_1) | instskip(SKIP_1) | instid1(VALU_DEP_2)
	v_div_scale_f32 v4, null, v237, v237, 1.0
	v_div_scale_f32 v7, vcc_lo, 1.0, v237, 1.0
	v_rcp_f32_e32 v5, v4
	v_nop
	s_delay_alu instid0(TRANS32_DEP_1) | instskip(NEXT) | instid1(VALU_DEP_1)
	v_fma_f32 v6, -v4, v5, 1.0
	v_fmac_f32_e32 v5, v6, v5
	s_delay_alu instid0(VALU_DEP_1) | instskip(NEXT) | instid1(VALU_DEP_1)
	v_mul_f32_e32 v6, v7, v5
	v_fma_f32 v8, -v4, v6, v7
	s_delay_alu instid0(VALU_DEP_1) | instskip(NEXT) | instid1(VALU_DEP_1)
	v_fmac_f32_e32 v6, v8, v5
	v_fma_f32 v4, -v4, v6, v7
	s_delay_alu instid0(VALU_DEP_1) | instskip(NEXT) | instid1(VALU_DEP_1)
	v_div_fmas_f32 v4, v4, v5, v6
	v_div_fixup_f32 v4, v4, v237, 1.0
                                        ; implicit-def: $vgpr236_vgpr237
	s_delay_alu instid0(VALU_DEP_1)
	v_mul_f32_e32 v238, v1, v4
	v_xor_b32_e32 v239, 0x80000000, v4
.LBB83_302:
	s_and_not1_saveexec_b32 s1, s1
	s_cbranch_execz .LBB83_304
; %bb.303:
	v_div_scale_f32 v1, null, v236, v236, v237
	v_div_scale_f32 v6, vcc_lo, v237, v236, v237
	s_delay_alu instid0(VALU_DEP_2) | instskip(SKIP_1) | instid1(TRANS32_DEP_1)
	v_rcp_f32_e32 v4, v1
	v_nop
	v_fma_f32 v5, -v1, v4, 1.0
	s_delay_alu instid0(VALU_DEP_1) | instskip(NEXT) | instid1(VALU_DEP_1)
	v_fmac_f32_e32 v4, v5, v4
	v_mul_f32_e32 v5, v6, v4
	s_delay_alu instid0(VALU_DEP_1) | instskip(NEXT) | instid1(VALU_DEP_1)
	v_fma_f32 v7, -v1, v5, v6
	v_fmac_f32_e32 v5, v7, v4
	s_delay_alu instid0(VALU_DEP_1) | instskip(NEXT) | instid1(VALU_DEP_1)
	v_fma_f32 v1, -v1, v5, v6
	v_div_fmas_f32 v1, v1, v4, v5
	s_delay_alu instid0(VALU_DEP_1) | instskip(NEXT) | instid1(VALU_DEP_1)
	v_div_fixup_f32 v1, v1, v236, v237
	v_fmac_f32_e32 v236, v237, v1
	s_delay_alu instid0(VALU_DEP_1) | instskip(NEXT) | instid1(VALU_DEP_1)
	v_div_scale_f32 v4, null, v236, v236, 1.0
	v_rcp_f32_e32 v5, v4
	v_nop
	s_delay_alu instid0(TRANS32_DEP_1) | instskip(NEXT) | instid1(VALU_DEP_1)
	v_fma_f32 v6, -v4, v5, 1.0
	v_fmac_f32_e32 v5, v6, v5
	v_div_scale_f32 v6, vcc_lo, 1.0, v236, 1.0
	s_delay_alu instid0(VALU_DEP_1) | instskip(NEXT) | instid1(VALU_DEP_1)
	v_mul_f32_e32 v7, v6, v5
	v_fma_f32 v8, -v4, v7, v6
	s_delay_alu instid0(VALU_DEP_1) | instskip(NEXT) | instid1(VALU_DEP_1)
	v_fmac_f32_e32 v7, v8, v5
	v_fma_f32 v4, -v4, v7, v6
	s_delay_alu instid0(VALU_DEP_1) | instskip(NEXT) | instid1(VALU_DEP_1)
	v_div_fmas_f32 v4, v4, v5, v7
	v_div_fixup_f32 v238, v4, v236, 1.0
	s_delay_alu instid0(VALU_DEP_1)
	v_mul_f32_e64 v239, v1, -v238
.LBB83_304:
	s_or_b32 exec_lo, exec_lo, s1
	ds_store_b64 v255, v[238:239]
.LBB83_305:
	s_or_b32 exec_lo, exec_lo, s2
	s_wait_dscnt 0x0
	s_barrier_signal -1
	s_barrier_wait -1
	ds_load_b64 v[236:237], v255
	s_mov_b32 s1, exec_lo
	v_cmpx_lt_u32_e32 33, v254
	s_cbranch_execz .LBB83_307
; %bb.306:
	ds_load_2addr_b64 v[242:245], v0 offset0:34 offset1:35
	s_wait_dscnt 0x1
	v_pk_mul_f32 v[240:241], v[236:237], v[144:145] op_sel:[1,1] op_sel_hi:[0,1]
	s_delay_alu instid0(VALU_DEP_1) | instskip(SKIP_1) | instid1(VALU_DEP_1)
	v_pk_fma_f32 v[238:239], v[236:237], v[144:145], v[240:241] op_sel_hi:[1,0,1] neg_lo:[0,0,1] neg_hi:[0,0,1]
	v_pk_fma_f32 v[240:241], v[236:237], v[144:145], v[240:241] op_sel_hi:[1,0,1]
	v_dual_mov_b32 v144, v238 :: v_dual_mov_b32 v145, v241
	s_wait_dscnt 0x0
	s_delay_alu instid0(VALU_DEP_2) | instskip(NEXT) | instid1(VALU_DEP_1)
	v_pk_mul_f32 v[246:247], v[242:243], v[240:241] op_sel:[0,1]
	v_pk_fma_f32 v[248:249], v[242:243], v[238:239], v[246:247] op_sel:[0,0,1] op_sel_hi:[1,1,0] neg_lo:[0,0,1] neg_hi:[0,0,1]
	v_pk_fma_f32 v[242:243], v[242:243], v[238:239], v[246:247] op_sel:[0,0,1] op_sel_hi:[1,0,0]
	s_delay_alu instid0(VALU_DEP_1) | instskip(SKIP_1) | instid1(VALU_DEP_1)
	v_mov_b32_e32 v249, v243
	v_pk_mul_f32 v[242:243], v[244:245], v[240:241] op_sel:[0,1]
	v_pk_fma_f32 v[246:247], v[244:245], v[238:239], v[242:243] op_sel:[0,0,1] op_sel_hi:[1,1,0] neg_lo:[0,0,1] neg_hi:[0,0,1]
	v_pk_fma_f32 v[242:243], v[244:245], v[238:239], v[242:243] op_sel:[0,0,1] op_sel_hi:[1,0,0]
	s_delay_alu instid0(VALU_DEP_1)
	v_mov_b32_e32 v247, v243
	ds_load_2addr_b64 v[242:245], v0 offset0:36 offset1:37
	v_pk_add_f32 v[146:147], v[146:147], v[248:249] neg_lo:[0,1] neg_hi:[0,1]
	v_pk_add_f32 v[142:143], v[142:143], v[246:247] neg_lo:[0,1] neg_hi:[0,1]
	s_wait_dscnt 0x0
	v_pk_mul_f32 v[246:247], v[242:243], v[240:241] op_sel:[0,1]
	s_delay_alu instid0(VALU_DEP_1) | instskip(SKIP_2) | instid1(VALU_DEP_2)
	v_pk_fma_f32 v[248:249], v[242:243], v[238:239], v[246:247] op_sel:[0,0,1] op_sel_hi:[1,1,0] neg_lo:[0,0,1] neg_hi:[0,0,1]
	v_pk_fma_f32 v[242:243], v[242:243], v[238:239], v[246:247] op_sel:[0,0,1] op_sel_hi:[1,0,0]
	v_dual_mul_f32 v246, v245, v241 :: v_dual_mov_b32 v242, v245
	v_dual_mov_b32 v249, v243 :: v_dual_mov_b32 v243, v244
	s_delay_alu instid0(VALU_DEP_2) | instskip(SKIP_1) | instid1(VALU_DEP_3)
	v_pk_fma_f32 v[246:247], v[244:245], v[144:145], v[246:247] op_sel_hi:[1,1,0] neg_lo:[0,0,1] neg_hi:[0,0,1]
	v_mul_f32_e32 v244, v245, v238
	v_pk_add_f32 v[164:165], v[164:165], v[248:249] neg_lo:[0,1] neg_hi:[0,1]
	s_delay_alu instid0(VALU_DEP_2) | instskip(NEXT) | instid1(VALU_DEP_1)
	v_pk_fma_f32 v[242:243], v[242:243], v[144:145], v[244:245] op_sel_hi:[1,1,0]
	v_mov_b32_e32 v247, v243
	ds_load_2addr_b64 v[242:245], v0 offset0:38 offset1:39
	v_pk_add_f32 v[160:161], v[160:161], v[246:247] neg_lo:[0,1] neg_hi:[0,1]
	s_wait_dscnt 0x0
	v_pk_mul_f32 v[246:247], v[242:243], v[240:241] op_sel:[0,1]
	s_delay_alu instid0(VALU_DEP_1) | instskip(SKIP_1) | instid1(VALU_DEP_1)
	v_pk_fma_f32 v[248:249], v[242:243], v[238:239], v[246:247] op_sel:[0,0,1] op_sel_hi:[1,1,0] neg_lo:[0,0,1] neg_hi:[0,0,1]
	v_pk_fma_f32 v[242:243], v[242:243], v[238:239], v[246:247] op_sel:[0,0,1] op_sel_hi:[1,0,0]
	v_mov_b32_e32 v249, v243
	v_pk_mul_f32 v[242:243], v[244:245], v[240:241] op_sel:[0,1]
	s_delay_alu instid0(VALU_DEP_1) | instskip(SKIP_1) | instid1(VALU_DEP_1)
	v_pk_fma_f32 v[246:247], v[244:245], v[238:239], v[242:243] op_sel:[0,0,1] op_sel_hi:[1,1,0] neg_lo:[0,0,1] neg_hi:[0,0,1]
	v_pk_fma_f32 v[242:243], v[244:245], v[238:239], v[242:243] op_sel:[0,0,1] op_sel_hi:[1,0,0]
	v_mov_b32_e32 v247, v243
	ds_load_2addr_b64 v[242:245], v0 offset0:40 offset1:41
	v_pk_add_f32 v[162:163], v[162:163], v[248:249] neg_lo:[0,1] neg_hi:[0,1]
	v_pk_add_f32 v[158:159], v[158:159], v[246:247] neg_lo:[0,1] neg_hi:[0,1]
	s_wait_dscnt 0x0
	v_pk_mul_f32 v[246:247], v[242:243], v[240:241] op_sel:[0,1]
	v_pk_mul_f32 v[240:241], v[244:245], v[240:241] op_sel:[0,1]
	s_delay_alu instid0(VALU_DEP_2) | instskip(SKIP_1) | instid1(VALU_DEP_1)
	v_pk_fma_f32 v[248:249], v[242:243], v[238:239], v[246:247] op_sel:[0,0,1] op_sel_hi:[1,1,0] neg_lo:[0,0,1] neg_hi:[0,0,1]
	v_pk_fma_f32 v[242:243], v[242:243], v[238:239], v[246:247] op_sel:[0,0,1] op_sel_hi:[1,0,0]
	v_mov_b32_e32 v249, v243
	s_delay_alu instid0(VALU_DEP_4) | instskip(SKIP_1) | instid1(VALU_DEP_1)
	v_pk_fma_f32 v[242:243], v[244:245], v[238:239], v[240:241] op_sel:[0,0,1] op_sel_hi:[1,1,0] neg_lo:[0,0,1] neg_hi:[0,0,1]
	v_pk_fma_f32 v[238:239], v[244:245], v[238:239], v[240:241] op_sel:[0,0,1] op_sel_hi:[1,0,0]
	v_mov_b32_e32 v243, v239
	s_delay_alu instid0(VALU_DEP_4) | instskip(NEXT) | instid1(VALU_DEP_2)
	v_pk_add_f32 v[166:167], v[166:167], v[248:249] neg_lo:[0,1] neg_hi:[0,1]
	v_pk_add_f32 v[168:169], v[168:169], v[242:243] neg_lo:[0,1] neg_hi:[0,1]
.LBB83_307:
	s_or_b32 exec_lo, exec_lo, s1
	s_delay_alu instid0(SALU_CYCLE_1)
	s_mov_b32 s2, exec_lo
	s_wait_dscnt 0x0
	s_barrier_signal -1
	s_barrier_wait -1
	v_cmpx_eq_u32_e32 34, v254
	s_cbranch_execz .LBB83_314
; %bb.308:
	ds_store_b64 v255, v[146:147]
	ds_store_2addr_b64 v0, v[142:143], v[164:165] offset0:35 offset1:36
	ds_store_2addr_b64 v0, v[160:161], v[162:163] offset0:37 offset1:38
	ds_store_2addr_b64 v0, v[158:159], v[166:167] offset0:39 offset1:40
	ds_store_b64 v0, v[168:169] offset:328
	ds_load_b64 v[238:239], v255
	s_wait_dscnt 0x0
	v_cmp_neq_f32_e32 vcc_lo, 0, v238
	v_cmp_neq_f32_e64 s1, 0, v239
	s_or_b32 s1, vcc_lo, s1
	s_delay_alu instid0(SALU_CYCLE_1)
	s_and_b32 exec_lo, exec_lo, s1
	s_cbranch_execz .LBB83_314
; %bb.309:
	v_cmp_ngt_f32_e64 s1, |v238|, |v239|
                                        ; implicit-def: $vgpr240_vgpr241
	s_and_saveexec_b32 s4, s1
	s_delay_alu instid0(SALU_CYCLE_1)
	s_xor_b32 s1, exec_lo, s4
	s_cbranch_execz .LBB83_311
; %bb.310:
	v_div_scale_f32 v1, null, v239, v239, v238
	v_div_scale_f32 v6, vcc_lo, v238, v239, v238
	s_delay_alu instid0(VALU_DEP_2) | instskip(SKIP_1) | instid1(TRANS32_DEP_1)
	v_rcp_f32_e32 v4, v1
	v_nop
	v_fma_f32 v5, -v1, v4, 1.0
	s_delay_alu instid0(VALU_DEP_1) | instskip(NEXT) | instid1(VALU_DEP_1)
	v_fmac_f32_e32 v4, v5, v4
	v_mul_f32_e32 v5, v6, v4
	s_delay_alu instid0(VALU_DEP_1) | instskip(NEXT) | instid1(VALU_DEP_1)
	v_fma_f32 v7, -v1, v5, v6
	v_fmac_f32_e32 v5, v7, v4
	s_delay_alu instid0(VALU_DEP_1) | instskip(NEXT) | instid1(VALU_DEP_1)
	v_fma_f32 v1, -v1, v5, v6
	v_div_fmas_f32 v1, v1, v4, v5
	s_delay_alu instid0(VALU_DEP_1) | instskip(NEXT) | instid1(VALU_DEP_1)
	v_div_fixup_f32 v1, v1, v239, v238
	v_fmac_f32_e32 v239, v238, v1
	s_delay_alu instid0(VALU_DEP_1) | instskip(SKIP_1) | instid1(VALU_DEP_2)
	v_div_scale_f32 v4, null, v239, v239, 1.0
	v_div_scale_f32 v7, vcc_lo, 1.0, v239, 1.0
	v_rcp_f32_e32 v5, v4
	v_nop
	s_delay_alu instid0(TRANS32_DEP_1) | instskip(NEXT) | instid1(VALU_DEP_1)
	v_fma_f32 v6, -v4, v5, 1.0
	v_fmac_f32_e32 v5, v6, v5
	s_delay_alu instid0(VALU_DEP_1) | instskip(NEXT) | instid1(VALU_DEP_1)
	v_mul_f32_e32 v6, v7, v5
	v_fma_f32 v8, -v4, v6, v7
	s_delay_alu instid0(VALU_DEP_1) | instskip(NEXT) | instid1(VALU_DEP_1)
	v_fmac_f32_e32 v6, v8, v5
	v_fma_f32 v4, -v4, v6, v7
	s_delay_alu instid0(VALU_DEP_1) | instskip(NEXT) | instid1(VALU_DEP_1)
	v_div_fmas_f32 v4, v4, v5, v6
	v_div_fixup_f32 v4, v4, v239, 1.0
                                        ; implicit-def: $vgpr238_vgpr239
	s_delay_alu instid0(VALU_DEP_1)
	v_mul_f32_e32 v240, v1, v4
	v_xor_b32_e32 v241, 0x80000000, v4
.LBB83_311:
	s_and_not1_saveexec_b32 s1, s1
	s_cbranch_execz .LBB83_313
; %bb.312:
	v_div_scale_f32 v1, null, v238, v238, v239
	v_div_scale_f32 v6, vcc_lo, v239, v238, v239
	s_delay_alu instid0(VALU_DEP_2) | instskip(SKIP_1) | instid1(TRANS32_DEP_1)
	v_rcp_f32_e32 v4, v1
	v_nop
	v_fma_f32 v5, -v1, v4, 1.0
	s_delay_alu instid0(VALU_DEP_1) | instskip(NEXT) | instid1(VALU_DEP_1)
	v_fmac_f32_e32 v4, v5, v4
	v_mul_f32_e32 v5, v6, v4
	s_delay_alu instid0(VALU_DEP_1) | instskip(NEXT) | instid1(VALU_DEP_1)
	v_fma_f32 v7, -v1, v5, v6
	v_fmac_f32_e32 v5, v7, v4
	s_delay_alu instid0(VALU_DEP_1) | instskip(NEXT) | instid1(VALU_DEP_1)
	v_fma_f32 v1, -v1, v5, v6
	v_div_fmas_f32 v1, v1, v4, v5
	s_delay_alu instid0(VALU_DEP_1) | instskip(NEXT) | instid1(VALU_DEP_1)
	v_div_fixup_f32 v1, v1, v238, v239
	v_fmac_f32_e32 v238, v239, v1
	s_delay_alu instid0(VALU_DEP_1) | instskip(NEXT) | instid1(VALU_DEP_1)
	v_div_scale_f32 v4, null, v238, v238, 1.0
	v_rcp_f32_e32 v5, v4
	v_nop
	s_delay_alu instid0(TRANS32_DEP_1) | instskip(NEXT) | instid1(VALU_DEP_1)
	v_fma_f32 v6, -v4, v5, 1.0
	v_fmac_f32_e32 v5, v6, v5
	v_div_scale_f32 v6, vcc_lo, 1.0, v238, 1.0
	s_delay_alu instid0(VALU_DEP_1) | instskip(NEXT) | instid1(VALU_DEP_1)
	v_mul_f32_e32 v7, v6, v5
	v_fma_f32 v8, -v4, v7, v6
	s_delay_alu instid0(VALU_DEP_1) | instskip(NEXT) | instid1(VALU_DEP_1)
	v_fmac_f32_e32 v7, v8, v5
	v_fma_f32 v4, -v4, v7, v6
	s_delay_alu instid0(VALU_DEP_1) | instskip(NEXT) | instid1(VALU_DEP_1)
	v_div_fmas_f32 v4, v4, v5, v7
	v_div_fixup_f32 v240, v4, v238, 1.0
	s_delay_alu instid0(VALU_DEP_1)
	v_mul_f32_e64 v241, v1, -v240
.LBB83_313:
	s_or_b32 exec_lo, exec_lo, s1
	ds_store_b64 v255, v[240:241]
.LBB83_314:
	s_or_b32 exec_lo, exec_lo, s2
	s_wait_dscnt 0x0
	s_barrier_signal -1
	s_barrier_wait -1
	ds_load_b64 v[238:239], v255
	s_mov_b32 s1, exec_lo
	v_cmpx_lt_u32_e32 34, v254
	s_cbranch_execz .LBB83_316
; %bb.315:
	s_wait_dscnt 0x0
	v_pk_mul_f32 v[242:243], v[238:239], v[146:147] op_sel:[1,1] op_sel_hi:[0,1]
	s_delay_alu instid0(VALU_DEP_1)
	v_pk_fma_f32 v[240:241], v[238:239], v[146:147], v[242:243] op_sel_hi:[1,0,1] neg_lo:[0,0,1] neg_hi:[0,0,1]
	v_pk_fma_f32 v[246:247], v[238:239], v[146:147], v[242:243] op_sel_hi:[1,0,1]
	ds_load_2addr_b64 v[242:245], v0 offset0:35 offset1:36
	v_dual_mov_b32 v146, v240 :: v_dual_mov_b32 v147, v247
	s_wait_dscnt 0x0
	v_pk_mul_f32 v[248:249], v[242:243], v[246:247] op_sel:[0,1]
	s_delay_alu instid0(VALU_DEP_1) | instskip(SKIP_1) | instid1(VALU_DEP_1)
	v_pk_fma_f32 v[250:251], v[242:243], v[240:241], v[248:249] op_sel:[0,0,1] op_sel_hi:[1,1,0] neg_lo:[0,0,1] neg_hi:[0,0,1]
	v_pk_fma_f32 v[242:243], v[242:243], v[240:241], v[248:249] op_sel:[0,0,1] op_sel_hi:[1,0,0]
	v_mov_b32_e32 v251, v243
	v_pk_mul_f32 v[242:243], v[244:245], v[246:247] op_sel:[0,1]
	s_delay_alu instid0(VALU_DEP_1) | instskip(SKIP_1) | instid1(VALU_DEP_1)
	v_pk_fma_f32 v[248:249], v[244:245], v[240:241], v[242:243] op_sel:[0,0,1] op_sel_hi:[1,1,0] neg_lo:[0,0,1] neg_hi:[0,0,1]
	v_pk_fma_f32 v[242:243], v[244:245], v[240:241], v[242:243] op_sel:[0,0,1] op_sel_hi:[1,0,0]
	v_mov_b32_e32 v249, v243
	ds_load_2addr_b64 v[242:245], v0 offset0:37 offset1:38
	v_pk_add_f32 v[142:143], v[142:143], v[250:251] neg_lo:[0,1] neg_hi:[0,1]
	v_pk_add_f32 v[164:165], v[164:165], v[248:249] neg_lo:[0,1] neg_hi:[0,1]
	s_wait_dscnt 0x0
	v_pk_mul_f32 v[248:249], v[242:243], v[246:247] op_sel:[0,1]
	s_delay_alu instid0(VALU_DEP_1) | instskip(SKIP_2) | instid1(VALU_DEP_2)
	v_pk_fma_f32 v[250:251], v[242:243], v[240:241], v[248:249] op_sel:[0,0,1] op_sel_hi:[1,1,0] neg_lo:[0,0,1] neg_hi:[0,0,1]
	v_pk_fma_f32 v[242:243], v[242:243], v[240:241], v[248:249] op_sel:[0,0,1] op_sel_hi:[1,0,0]
	v_dual_mul_f32 v248, v245, v247 :: v_dual_mov_b32 v242, v245
	v_dual_mov_b32 v251, v243 :: v_dual_mov_b32 v243, v244
	s_delay_alu instid0(VALU_DEP_2) | instskip(SKIP_1) | instid1(VALU_DEP_3)
	v_pk_fma_f32 v[248:249], v[244:245], v[146:147], v[248:249] op_sel_hi:[1,1,0] neg_lo:[0,0,1] neg_hi:[0,0,1]
	v_mul_f32_e32 v244, v245, v240
	v_pk_add_f32 v[160:161], v[160:161], v[250:251] neg_lo:[0,1] neg_hi:[0,1]
	s_delay_alu instid0(VALU_DEP_2) | instskip(NEXT) | instid1(VALU_DEP_1)
	v_pk_fma_f32 v[242:243], v[242:243], v[146:147], v[244:245] op_sel_hi:[1,1,0]
	v_mov_b32_e32 v249, v243
	ds_load_2addr_b64 v[242:245], v0 offset0:39 offset1:40
	v_pk_add_f32 v[162:163], v[162:163], v[248:249] neg_lo:[0,1] neg_hi:[0,1]
	s_wait_dscnt 0x0
	v_pk_mul_f32 v[248:249], v[242:243], v[246:247] op_sel:[0,1]
	s_delay_alu instid0(VALU_DEP_1) | instskip(SKIP_1) | instid1(VALU_DEP_1)
	v_pk_fma_f32 v[250:251], v[242:243], v[240:241], v[248:249] op_sel:[0,0,1] op_sel_hi:[1,1,0] neg_lo:[0,0,1] neg_hi:[0,0,1]
	v_pk_fma_f32 v[242:243], v[242:243], v[240:241], v[248:249] op_sel:[0,0,1] op_sel_hi:[1,0,0]
	v_mov_b32_e32 v251, v243
	v_pk_mul_f32 v[242:243], v[244:245], v[246:247] op_sel:[0,1]
	s_delay_alu instid0(VALU_DEP_1) | instskip(SKIP_1) | instid1(VALU_DEP_1)
	v_pk_fma_f32 v[248:249], v[244:245], v[240:241], v[242:243] op_sel:[0,0,1] op_sel_hi:[1,1,0] neg_lo:[0,0,1] neg_hi:[0,0,1]
	v_pk_fma_f32 v[242:243], v[244:245], v[240:241], v[242:243] op_sel:[0,0,1] op_sel_hi:[1,0,0]
	v_mov_b32_e32 v249, v243
	ds_load_b64 v[242:243], v0 offset:328
	v_pk_add_f32 v[158:159], v[158:159], v[250:251] neg_lo:[0,1] neg_hi:[0,1]
	v_pk_add_f32 v[166:167], v[166:167], v[248:249] neg_lo:[0,1] neg_hi:[0,1]
	s_wait_dscnt 0x0
	v_pk_mul_f32 v[244:245], v[242:243], v[246:247] op_sel:[0,1]
	s_delay_alu instid0(VALU_DEP_1) | instskip(SKIP_1) | instid1(VALU_DEP_1)
	v_pk_fma_f32 v[246:247], v[242:243], v[240:241], v[244:245] op_sel:[0,0,1] op_sel_hi:[1,1,0] neg_lo:[0,0,1] neg_hi:[0,0,1]
	v_pk_fma_f32 v[240:241], v[242:243], v[240:241], v[244:245] op_sel:[0,0,1] op_sel_hi:[1,0,0]
	v_mov_b32_e32 v247, v241
	s_delay_alu instid0(VALU_DEP_1)
	v_pk_add_f32 v[168:169], v[168:169], v[246:247] neg_lo:[0,1] neg_hi:[0,1]
.LBB83_316:
	s_or_b32 exec_lo, exec_lo, s1
	s_delay_alu instid0(SALU_CYCLE_1)
	s_mov_b32 s2, exec_lo
	s_wait_dscnt 0x0
	s_barrier_signal -1
	s_barrier_wait -1
	v_cmpx_eq_u32_e32 35, v254
	s_cbranch_execz .LBB83_323
; %bb.317:
	v_dual_mov_b32 v240, v164 :: v_dual_mov_b32 v241, v165
	v_dual_mov_b32 v242, v160 :: v_dual_mov_b32 v243, v161
	;; [unrolled: 1-line block ×5, first 2 shown]
	ds_store_b64 v255, v[142:143]
	ds_store_2addr_b64 v0, v[240:241], v[242:243] offset0:36 offset1:37
	ds_store_2addr_b64 v0, v[244:245], v[246:247] offset0:38 offset1:39
	ds_store_2addr_b64 v0, v[248:249], v[168:169] offset0:40 offset1:41
	ds_load_b64 v[240:241], v255
	s_wait_dscnt 0x0
	v_cmp_neq_f32_e32 vcc_lo, 0, v240
	v_cmp_neq_f32_e64 s1, 0, v241
	s_or_b32 s1, vcc_lo, s1
	s_delay_alu instid0(SALU_CYCLE_1)
	s_and_b32 exec_lo, exec_lo, s1
	s_cbranch_execz .LBB83_323
; %bb.318:
	v_cmp_ngt_f32_e64 s1, |v240|, |v241|
                                        ; implicit-def: $vgpr242_vgpr243
	s_and_saveexec_b32 s4, s1
	s_delay_alu instid0(SALU_CYCLE_1)
	s_xor_b32 s1, exec_lo, s4
	s_cbranch_execz .LBB83_320
; %bb.319:
	v_div_scale_f32 v1, null, v241, v241, v240
	v_div_scale_f32 v6, vcc_lo, v240, v241, v240
	s_delay_alu instid0(VALU_DEP_2) | instskip(SKIP_1) | instid1(TRANS32_DEP_1)
	v_rcp_f32_e32 v4, v1
	v_nop
	v_fma_f32 v5, -v1, v4, 1.0
	s_delay_alu instid0(VALU_DEP_1) | instskip(NEXT) | instid1(VALU_DEP_1)
	v_fmac_f32_e32 v4, v5, v4
	v_mul_f32_e32 v5, v6, v4
	s_delay_alu instid0(VALU_DEP_1) | instskip(NEXT) | instid1(VALU_DEP_1)
	v_fma_f32 v7, -v1, v5, v6
	v_fmac_f32_e32 v5, v7, v4
	s_delay_alu instid0(VALU_DEP_1) | instskip(NEXT) | instid1(VALU_DEP_1)
	v_fma_f32 v1, -v1, v5, v6
	v_div_fmas_f32 v1, v1, v4, v5
	s_delay_alu instid0(VALU_DEP_1) | instskip(NEXT) | instid1(VALU_DEP_1)
	v_div_fixup_f32 v1, v1, v241, v240
	v_fmac_f32_e32 v241, v240, v1
	s_delay_alu instid0(VALU_DEP_1) | instskip(SKIP_1) | instid1(VALU_DEP_2)
	v_div_scale_f32 v4, null, v241, v241, 1.0
	v_div_scale_f32 v7, vcc_lo, 1.0, v241, 1.0
	v_rcp_f32_e32 v5, v4
	v_nop
	s_delay_alu instid0(TRANS32_DEP_1) | instskip(NEXT) | instid1(VALU_DEP_1)
	v_fma_f32 v6, -v4, v5, 1.0
	v_fmac_f32_e32 v5, v6, v5
	s_delay_alu instid0(VALU_DEP_1) | instskip(NEXT) | instid1(VALU_DEP_1)
	v_mul_f32_e32 v6, v7, v5
	v_fma_f32 v8, -v4, v6, v7
	s_delay_alu instid0(VALU_DEP_1) | instskip(NEXT) | instid1(VALU_DEP_1)
	v_fmac_f32_e32 v6, v8, v5
	v_fma_f32 v4, -v4, v6, v7
	s_delay_alu instid0(VALU_DEP_1) | instskip(NEXT) | instid1(VALU_DEP_1)
	v_div_fmas_f32 v4, v4, v5, v6
	v_div_fixup_f32 v4, v4, v241, 1.0
                                        ; implicit-def: $vgpr240_vgpr241
	s_delay_alu instid0(VALU_DEP_1)
	v_mul_f32_e32 v242, v1, v4
	v_xor_b32_e32 v243, 0x80000000, v4
.LBB83_320:
	s_and_not1_saveexec_b32 s1, s1
	s_cbranch_execz .LBB83_322
; %bb.321:
	v_div_scale_f32 v1, null, v240, v240, v241
	v_div_scale_f32 v6, vcc_lo, v241, v240, v241
	s_delay_alu instid0(VALU_DEP_2) | instskip(SKIP_1) | instid1(TRANS32_DEP_1)
	v_rcp_f32_e32 v4, v1
	v_nop
	v_fma_f32 v5, -v1, v4, 1.0
	s_delay_alu instid0(VALU_DEP_1) | instskip(NEXT) | instid1(VALU_DEP_1)
	v_fmac_f32_e32 v4, v5, v4
	v_mul_f32_e32 v5, v6, v4
	s_delay_alu instid0(VALU_DEP_1) | instskip(NEXT) | instid1(VALU_DEP_1)
	v_fma_f32 v7, -v1, v5, v6
	v_fmac_f32_e32 v5, v7, v4
	s_delay_alu instid0(VALU_DEP_1) | instskip(NEXT) | instid1(VALU_DEP_1)
	v_fma_f32 v1, -v1, v5, v6
	v_div_fmas_f32 v1, v1, v4, v5
	s_delay_alu instid0(VALU_DEP_1) | instskip(NEXT) | instid1(VALU_DEP_1)
	v_div_fixup_f32 v1, v1, v240, v241
	v_fmac_f32_e32 v240, v241, v1
	s_delay_alu instid0(VALU_DEP_1) | instskip(NEXT) | instid1(VALU_DEP_1)
	v_div_scale_f32 v4, null, v240, v240, 1.0
	v_rcp_f32_e32 v5, v4
	v_nop
	s_delay_alu instid0(TRANS32_DEP_1) | instskip(NEXT) | instid1(VALU_DEP_1)
	v_fma_f32 v6, -v4, v5, 1.0
	v_fmac_f32_e32 v5, v6, v5
	v_div_scale_f32 v6, vcc_lo, 1.0, v240, 1.0
	s_delay_alu instid0(VALU_DEP_1) | instskip(NEXT) | instid1(VALU_DEP_1)
	v_mul_f32_e32 v7, v6, v5
	v_fma_f32 v8, -v4, v7, v6
	s_delay_alu instid0(VALU_DEP_1) | instskip(NEXT) | instid1(VALU_DEP_1)
	v_fmac_f32_e32 v7, v8, v5
	v_fma_f32 v4, -v4, v7, v6
	s_delay_alu instid0(VALU_DEP_1) | instskip(NEXT) | instid1(VALU_DEP_1)
	v_div_fmas_f32 v4, v4, v5, v7
	v_div_fixup_f32 v242, v4, v240, 1.0
	s_delay_alu instid0(VALU_DEP_1)
	v_mul_f32_e64 v243, v1, -v242
.LBB83_322:
	s_or_b32 exec_lo, exec_lo, s1
	ds_store_b64 v255, v[242:243]
.LBB83_323:
	s_or_b32 exec_lo, exec_lo, s2
	s_wait_dscnt 0x0
	s_barrier_signal -1
	s_barrier_wait -1
	ds_load_b64 v[240:241], v255
	s_mov_b32 s1, exec_lo
	v_cmpx_lt_u32_e32 35, v254
	s_cbranch_execz .LBB83_325
; %bb.324:
	s_wait_dscnt 0x0
	v_pk_mul_f32 v[242:243], v[240:241], v[142:143] op_sel:[1,1] op_sel_hi:[0,1]
	s_delay_alu instid0(VALU_DEP_1)
	v_pk_fma_f32 v[246:247], v[240:241], v[142:143], v[242:243] op_sel_hi:[1,0,1] neg_lo:[0,0,1] neg_hi:[0,0,1]
	v_pk_fma_f32 v[248:249], v[240:241], v[142:143], v[242:243] op_sel_hi:[1,0,1]
	ds_load_2addr_b64 v[242:245], v0 offset0:36 offset1:37
	v_dual_mov_b32 v142, v246 :: v_dual_mov_b32 v143, v249
	s_wait_dscnt 0x0
	v_pk_mul_f32 v[250:251], v[242:243], v[248:249] op_sel:[0,1]
	s_delay_alu instid0(VALU_DEP_1) | instskip(SKIP_1) | instid1(VALU_DEP_1)
	v_pk_fma_f32 v[252:253], v[242:243], v[246:247], v[250:251] op_sel:[0,0,1] op_sel_hi:[1,1,0] neg_lo:[0,0,1] neg_hi:[0,0,1]
	v_pk_fma_f32 v[242:243], v[242:243], v[246:247], v[250:251] op_sel:[0,0,1] op_sel_hi:[1,0,0]
	v_mov_b32_e32 v253, v243
	v_pk_mul_f32 v[242:243], v[244:245], v[248:249] op_sel:[0,1]
	s_delay_alu instid0(VALU_DEP_1) | instskip(SKIP_1) | instid1(VALU_DEP_1)
	v_pk_fma_f32 v[250:251], v[244:245], v[246:247], v[242:243] op_sel:[0,0,1] op_sel_hi:[1,1,0] neg_lo:[0,0,1] neg_hi:[0,0,1]
	v_pk_fma_f32 v[242:243], v[244:245], v[246:247], v[242:243] op_sel:[0,0,1] op_sel_hi:[1,0,0]
	v_mov_b32_e32 v251, v243
	ds_load_2addr_b64 v[242:245], v0 offset0:38 offset1:39
	v_pk_add_f32 v[164:165], v[164:165], v[252:253] neg_lo:[0,1] neg_hi:[0,1]
	v_pk_add_f32 v[160:161], v[160:161], v[250:251] neg_lo:[0,1] neg_hi:[0,1]
	s_wait_dscnt 0x0
	v_pk_mul_f32 v[250:251], v[242:243], v[248:249] op_sel:[0,1]
	s_delay_alu instid0(VALU_DEP_1) | instskip(SKIP_2) | instid1(VALU_DEP_2)
	v_pk_fma_f32 v[252:253], v[242:243], v[246:247], v[250:251] op_sel:[0,0,1] op_sel_hi:[1,1,0] neg_lo:[0,0,1] neg_hi:[0,0,1]
	v_pk_fma_f32 v[242:243], v[242:243], v[246:247], v[250:251] op_sel:[0,0,1] op_sel_hi:[1,0,0]
	v_dual_mul_f32 v250, v245, v249 :: v_dual_mov_b32 v242, v245
	v_dual_mov_b32 v253, v243 :: v_dual_mov_b32 v243, v244
	s_delay_alu instid0(VALU_DEP_2) | instskip(SKIP_1) | instid1(VALU_DEP_3)
	v_pk_fma_f32 v[250:251], v[244:245], v[142:143], v[250:251] op_sel_hi:[1,1,0] neg_lo:[0,0,1] neg_hi:[0,0,1]
	v_mul_f32_e32 v244, v245, v246
	v_pk_add_f32 v[162:163], v[162:163], v[252:253] neg_lo:[0,1] neg_hi:[0,1]
	s_delay_alu instid0(VALU_DEP_2) | instskip(NEXT) | instid1(VALU_DEP_1)
	v_pk_fma_f32 v[242:243], v[242:243], v[142:143], v[244:245] op_sel_hi:[1,1,0]
	v_mov_b32_e32 v251, v243
	ds_load_2addr_b64 v[242:245], v0 offset0:40 offset1:41
	v_pk_add_f32 v[158:159], v[158:159], v[250:251] neg_lo:[0,1] neg_hi:[0,1]
	s_wait_dscnt 0x0
	v_pk_mul_f32 v[250:251], v[242:243], v[248:249] op_sel:[0,1]
	v_mul_f32_e32 v248, v245, v249
	s_delay_alu instid0(VALU_DEP_2) | instskip(SKIP_2) | instid1(VALU_DEP_4)
	v_pk_fma_f32 v[252:253], v[242:243], v[246:247], v[250:251] op_sel:[0,0,1] op_sel_hi:[1,1,0] neg_lo:[0,0,1] neg_hi:[0,0,1]
	v_pk_fma_f32 v[242:243], v[242:243], v[246:247], v[250:251] op_sel:[0,0,1] op_sel_hi:[1,0,0]
	v_mov_b32_e32 v242, v245
	v_pk_fma_f32 v[248:249], v[244:245], v[142:143], v[248:249] op_sel_hi:[1,1,0] neg_lo:[0,0,1] neg_hi:[0,0,1]
	s_delay_alu instid0(VALU_DEP_3) | instskip(SKIP_1) | instid1(VALU_DEP_2)
	v_dual_mov_b32 v253, v243 :: v_dual_mov_b32 v243, v244
	v_mul_f32_e32 v244, v245, v246
	v_pk_add_f32 v[166:167], v[166:167], v[252:253] neg_lo:[0,1] neg_hi:[0,1]
	s_delay_alu instid0(VALU_DEP_2) | instskip(NEXT) | instid1(VALU_DEP_1)
	v_pk_fma_f32 v[242:243], v[242:243], v[142:143], v[244:245] op_sel_hi:[1,1,0]
	v_mov_b32_e32 v249, v243
	s_delay_alu instid0(VALU_DEP_1)
	v_pk_add_f32 v[168:169], v[168:169], v[248:249] neg_lo:[0,1] neg_hi:[0,1]
.LBB83_325:
	s_or_b32 exec_lo, exec_lo, s1
	s_delay_alu instid0(SALU_CYCLE_1)
	s_mov_b32 s2, exec_lo
	s_wait_dscnt 0x0
	s_barrier_signal -1
	s_barrier_wait -1
	v_cmpx_eq_u32_e32 36, v254
	s_cbranch_execz .LBB83_332
; %bb.326:
	ds_store_b64 v255, v[164:165]
	ds_store_2addr_b64 v0, v[160:161], v[162:163] offset0:37 offset1:38
	ds_store_2addr_b64 v0, v[158:159], v[166:167] offset0:39 offset1:40
	ds_store_b64 v0, v[168:169] offset:328
	ds_load_b64 v[242:243], v255
	s_wait_dscnt 0x0
	v_cmp_neq_f32_e32 vcc_lo, 0, v242
	v_cmp_neq_f32_e64 s1, 0, v243
	s_or_b32 s1, vcc_lo, s1
	s_delay_alu instid0(SALU_CYCLE_1)
	s_and_b32 exec_lo, exec_lo, s1
	s_cbranch_execz .LBB83_332
; %bb.327:
	v_cmp_ngt_f32_e64 s1, |v242|, |v243|
                                        ; implicit-def: $vgpr244_vgpr245
	s_and_saveexec_b32 s4, s1
	s_delay_alu instid0(SALU_CYCLE_1)
	s_xor_b32 s1, exec_lo, s4
	s_cbranch_execz .LBB83_329
; %bb.328:
	v_div_scale_f32 v1, null, v243, v243, v242
	v_div_scale_f32 v6, vcc_lo, v242, v243, v242
	s_delay_alu instid0(VALU_DEP_2) | instskip(SKIP_1) | instid1(TRANS32_DEP_1)
	v_rcp_f32_e32 v4, v1
	v_nop
	v_fma_f32 v5, -v1, v4, 1.0
	s_delay_alu instid0(VALU_DEP_1) | instskip(NEXT) | instid1(VALU_DEP_1)
	v_fmac_f32_e32 v4, v5, v4
	v_mul_f32_e32 v5, v6, v4
	s_delay_alu instid0(VALU_DEP_1) | instskip(NEXT) | instid1(VALU_DEP_1)
	v_fma_f32 v7, -v1, v5, v6
	v_fmac_f32_e32 v5, v7, v4
	s_delay_alu instid0(VALU_DEP_1) | instskip(NEXT) | instid1(VALU_DEP_1)
	v_fma_f32 v1, -v1, v5, v6
	v_div_fmas_f32 v1, v1, v4, v5
	s_delay_alu instid0(VALU_DEP_1) | instskip(NEXT) | instid1(VALU_DEP_1)
	v_div_fixup_f32 v1, v1, v243, v242
	v_fmac_f32_e32 v243, v242, v1
	s_delay_alu instid0(VALU_DEP_1) | instskip(SKIP_1) | instid1(VALU_DEP_2)
	v_div_scale_f32 v4, null, v243, v243, 1.0
	v_div_scale_f32 v7, vcc_lo, 1.0, v243, 1.0
	v_rcp_f32_e32 v5, v4
	v_nop
	s_delay_alu instid0(TRANS32_DEP_1) | instskip(NEXT) | instid1(VALU_DEP_1)
	v_fma_f32 v6, -v4, v5, 1.0
	v_fmac_f32_e32 v5, v6, v5
	s_delay_alu instid0(VALU_DEP_1) | instskip(NEXT) | instid1(VALU_DEP_1)
	v_mul_f32_e32 v6, v7, v5
	v_fma_f32 v8, -v4, v6, v7
	s_delay_alu instid0(VALU_DEP_1) | instskip(NEXT) | instid1(VALU_DEP_1)
	v_fmac_f32_e32 v6, v8, v5
	v_fma_f32 v4, -v4, v6, v7
	s_delay_alu instid0(VALU_DEP_1) | instskip(NEXT) | instid1(VALU_DEP_1)
	v_div_fmas_f32 v4, v4, v5, v6
	v_div_fixup_f32 v4, v4, v243, 1.0
                                        ; implicit-def: $vgpr242_vgpr243
	s_delay_alu instid0(VALU_DEP_1)
	v_mul_f32_e32 v244, v1, v4
	v_xor_b32_e32 v245, 0x80000000, v4
.LBB83_329:
	s_and_not1_saveexec_b32 s1, s1
	s_cbranch_execz .LBB83_331
; %bb.330:
	v_div_scale_f32 v1, null, v242, v242, v243
	v_div_scale_f32 v6, vcc_lo, v243, v242, v243
	s_delay_alu instid0(VALU_DEP_2) | instskip(SKIP_1) | instid1(TRANS32_DEP_1)
	v_rcp_f32_e32 v4, v1
	v_nop
	v_fma_f32 v5, -v1, v4, 1.0
	s_delay_alu instid0(VALU_DEP_1) | instskip(NEXT) | instid1(VALU_DEP_1)
	v_fmac_f32_e32 v4, v5, v4
	v_mul_f32_e32 v5, v6, v4
	s_delay_alu instid0(VALU_DEP_1) | instskip(NEXT) | instid1(VALU_DEP_1)
	v_fma_f32 v7, -v1, v5, v6
	v_fmac_f32_e32 v5, v7, v4
	s_delay_alu instid0(VALU_DEP_1) | instskip(NEXT) | instid1(VALU_DEP_1)
	v_fma_f32 v1, -v1, v5, v6
	v_div_fmas_f32 v1, v1, v4, v5
	s_delay_alu instid0(VALU_DEP_1) | instskip(NEXT) | instid1(VALU_DEP_1)
	v_div_fixup_f32 v1, v1, v242, v243
	v_fmac_f32_e32 v242, v243, v1
	s_delay_alu instid0(VALU_DEP_1) | instskip(NEXT) | instid1(VALU_DEP_1)
	v_div_scale_f32 v4, null, v242, v242, 1.0
	v_rcp_f32_e32 v5, v4
	v_nop
	s_delay_alu instid0(TRANS32_DEP_1) | instskip(NEXT) | instid1(VALU_DEP_1)
	v_fma_f32 v6, -v4, v5, 1.0
	v_fmac_f32_e32 v5, v6, v5
	v_div_scale_f32 v6, vcc_lo, 1.0, v242, 1.0
	s_delay_alu instid0(VALU_DEP_1) | instskip(NEXT) | instid1(VALU_DEP_1)
	v_mul_f32_e32 v7, v6, v5
	v_fma_f32 v8, -v4, v7, v6
	s_delay_alu instid0(VALU_DEP_1) | instskip(NEXT) | instid1(VALU_DEP_1)
	v_fmac_f32_e32 v7, v8, v5
	v_fma_f32 v4, -v4, v7, v6
	s_delay_alu instid0(VALU_DEP_1) | instskip(NEXT) | instid1(VALU_DEP_1)
	v_div_fmas_f32 v4, v4, v5, v7
	v_div_fixup_f32 v244, v4, v242, 1.0
	s_delay_alu instid0(VALU_DEP_1)
	v_mul_f32_e64 v245, v1, -v244
.LBB83_331:
	s_or_b32 exec_lo, exec_lo, s1
	ds_store_b64 v255, v[244:245]
.LBB83_332:
	s_or_b32 exec_lo, exec_lo, s2
	s_wait_dscnt 0x0
	s_barrier_signal -1
	s_barrier_wait -1
	ds_load_b64 v[242:243], v255
	s_mov_b32 s1, exec_lo
	v_cmpx_lt_u32_e32 36, v254
	s_cbranch_execz .LBB83_334
; %bb.333:
	s_wait_dscnt 0x0
	v_pk_mul_f32 v[244:245], v[242:243], v[164:165] op_sel:[1,1] op_sel_hi:[0,1]
	s_delay_alu instid0(VALU_DEP_1)
	v_pk_fma_f32 v[248:249], v[242:243], v[164:165], v[244:245] op_sel_hi:[1,0,1] neg_lo:[0,0,1] neg_hi:[0,0,1]
	v_pk_fma_f32 v[250:251], v[242:243], v[164:165], v[244:245] op_sel_hi:[1,0,1]
	ds_load_2addr_b64 v[244:247], v0 offset0:37 offset1:38
	v_dual_mov_b32 v164, v248 :: v_dual_mov_b32 v165, v251
	s_wait_dscnt 0x0
	v_pk_mul_f32 v[252:253], v[244:245], v[250:251] op_sel:[0,1]
	s_delay_alu instid0(VALU_DEP_1) | instskip(SKIP_1) | instid1(VALU_DEP_1)
	v_pk_fma_f32 v[4:5], v[244:245], v[248:249], v[252:253] op_sel:[0,0,1] op_sel_hi:[1,1,0] neg_lo:[0,0,1] neg_hi:[0,0,1]
	v_pk_fma_f32 v[244:245], v[244:245], v[248:249], v[252:253] op_sel:[0,0,1] op_sel_hi:[1,0,0]
	v_mov_b32_e32 v5, v245
	s_delay_alu instid0(VALU_DEP_1) | instskip(SKIP_1) | instid1(VALU_DEP_1)
	v_pk_add_f32 v[160:161], v[160:161], v[4:5] neg_lo:[0,1] neg_hi:[0,1]
	v_pk_mul_f32 v[4:5], v[246:247], v[250:251] op_sel:[0,1]
	v_pk_fma_f32 v[244:245], v[246:247], v[248:249], v[4:5] op_sel:[0,0,1] op_sel_hi:[1,1,0] neg_lo:[0,0,1] neg_hi:[0,0,1]
	v_pk_fma_f32 v[4:5], v[246:247], v[248:249], v[4:5] op_sel:[0,0,1] op_sel_hi:[1,0,0]
	s_delay_alu instid0(VALU_DEP_1) | instskip(NEXT) | instid1(VALU_DEP_1)
	v_mov_b32_e32 v245, v5
	v_pk_add_f32 v[162:163], v[162:163], v[244:245] neg_lo:[0,1] neg_hi:[0,1]
	ds_load_2addr_b64 v[244:247], v0 offset0:39 offset1:40
	s_wait_dscnt 0x0
	v_pk_mul_f32 v[4:5], v[244:245], v[250:251] op_sel:[0,1]
	s_delay_alu instid0(VALU_DEP_1) | instskip(SKIP_2) | instid1(VALU_DEP_2)
	v_pk_fma_f32 v[252:253], v[244:245], v[248:249], v[4:5] op_sel:[0,0,1] op_sel_hi:[1,1,0] neg_lo:[0,0,1] neg_hi:[0,0,1]
	v_pk_fma_f32 v[4:5], v[244:245], v[248:249], v[4:5] op_sel:[0,0,1] op_sel_hi:[1,0,0]
	v_dual_mul_f32 v244, v247, v251 :: v_dual_mov_b32 v4, v247
	v_dual_mov_b32 v253, v5 :: v_dual_mov_b32 v5, v246
	s_delay_alu instid0(VALU_DEP_2) | instskip(SKIP_1) | instid1(VALU_DEP_3)
	v_pk_fma_f32 v[244:245], v[246:247], v[164:165], v[244:245] op_sel_hi:[1,1,0] neg_lo:[0,0,1] neg_hi:[0,0,1]
	v_mul_f32_e32 v246, v247, v248
	v_pk_add_f32 v[158:159], v[158:159], v[252:253] neg_lo:[0,1] neg_hi:[0,1]
	s_delay_alu instid0(VALU_DEP_2) | instskip(NEXT) | instid1(VALU_DEP_1)
	v_pk_fma_f32 v[4:5], v[4:5], v[164:165], v[246:247] op_sel_hi:[1,1,0]
	v_mov_b32_e32 v245, v5
	ds_load_b64 v[4:5], v0 offset:328
	v_pk_add_f32 v[166:167], v[166:167], v[244:245] neg_lo:[0,1] neg_hi:[0,1]
	s_wait_dscnt 0x0
	v_pk_mul_f32 v[244:245], v[4:5], v[250:251] op_sel:[0,1]
	s_delay_alu instid0(VALU_DEP_1) | instskip(SKIP_1) | instid1(VALU_DEP_1)
	v_pk_fma_f32 v[246:247], v[4:5], v[248:249], v[244:245] op_sel:[0,0,1] op_sel_hi:[1,1,0] neg_lo:[0,0,1] neg_hi:[0,0,1]
	v_pk_fma_f32 v[4:5], v[4:5], v[248:249], v[244:245] op_sel:[0,0,1] op_sel_hi:[1,0,0]
	v_mov_b32_e32 v247, v5
	s_delay_alu instid0(VALU_DEP_1)
	v_pk_add_f32 v[168:169], v[168:169], v[246:247] neg_lo:[0,1] neg_hi:[0,1]
.LBB83_334:
	s_or_b32 exec_lo, exec_lo, s1
	s_delay_alu instid0(SALU_CYCLE_1)
	s_mov_b32 s2, exec_lo
	s_wait_dscnt 0x0
	s_barrier_signal -1
	s_barrier_wait -1
	v_cmpx_eq_u32_e32 37, v254
	s_cbranch_execz .LBB83_341
; %bb.335:
	v_dual_mov_b32 v4, v162 :: v_dual_mov_b32 v5, v163
	v_dual_mov_b32 v244, v158 :: v_dual_mov_b32 v245, v159
	;; [unrolled: 1-line block ×3, first 2 shown]
	ds_store_b64 v255, v[160:161]
	ds_store_2addr_b64 v0, v[4:5], v[244:245] offset0:38 offset1:39
	ds_store_2addr_b64 v0, v[246:247], v[168:169] offset0:40 offset1:41
	ds_load_b64 v[244:245], v255
	s_wait_dscnt 0x0
	v_cmp_neq_f32_e32 vcc_lo, 0, v244
	v_cmp_neq_f32_e64 s1, 0, v245
	s_or_b32 s1, vcc_lo, s1
	s_delay_alu instid0(SALU_CYCLE_1)
	s_and_b32 exec_lo, exec_lo, s1
	s_cbranch_execz .LBB83_341
; %bb.336:
	v_cmp_ngt_f32_e64 s1, |v244|, |v245|
                                        ; implicit-def: $vgpr246_vgpr247
	s_and_saveexec_b32 s4, s1
	s_delay_alu instid0(SALU_CYCLE_1)
	s_xor_b32 s1, exec_lo, s4
	s_cbranch_execz .LBB83_338
; %bb.337:
	v_div_scale_f32 v1, null, v245, v245, v244
	v_div_scale_f32 v6, vcc_lo, v244, v245, v244
	s_delay_alu instid0(VALU_DEP_2) | instskip(SKIP_1) | instid1(TRANS32_DEP_1)
	v_rcp_f32_e32 v4, v1
	v_nop
	v_fma_f32 v5, -v1, v4, 1.0
	s_delay_alu instid0(VALU_DEP_1) | instskip(NEXT) | instid1(VALU_DEP_1)
	v_fmac_f32_e32 v4, v5, v4
	v_mul_f32_e32 v5, v6, v4
	s_delay_alu instid0(VALU_DEP_1) | instskip(NEXT) | instid1(VALU_DEP_1)
	v_fma_f32 v7, -v1, v5, v6
	v_fmac_f32_e32 v5, v7, v4
	s_delay_alu instid0(VALU_DEP_1) | instskip(NEXT) | instid1(VALU_DEP_1)
	v_fma_f32 v1, -v1, v5, v6
	v_div_fmas_f32 v1, v1, v4, v5
	s_delay_alu instid0(VALU_DEP_1) | instskip(NEXT) | instid1(VALU_DEP_1)
	v_div_fixup_f32 v1, v1, v245, v244
	v_fmac_f32_e32 v245, v244, v1
	s_delay_alu instid0(VALU_DEP_1) | instskip(SKIP_1) | instid1(VALU_DEP_2)
	v_div_scale_f32 v4, null, v245, v245, 1.0
	v_div_scale_f32 v7, vcc_lo, 1.0, v245, 1.0
	v_rcp_f32_e32 v5, v4
	v_nop
	s_delay_alu instid0(TRANS32_DEP_1) | instskip(NEXT) | instid1(VALU_DEP_1)
	v_fma_f32 v6, -v4, v5, 1.0
	v_fmac_f32_e32 v5, v6, v5
	s_delay_alu instid0(VALU_DEP_1) | instskip(NEXT) | instid1(VALU_DEP_1)
	v_mul_f32_e32 v6, v7, v5
	v_fma_f32 v8, -v4, v6, v7
	s_delay_alu instid0(VALU_DEP_1) | instskip(NEXT) | instid1(VALU_DEP_1)
	v_fmac_f32_e32 v6, v8, v5
	v_fma_f32 v4, -v4, v6, v7
	s_delay_alu instid0(VALU_DEP_1) | instskip(NEXT) | instid1(VALU_DEP_1)
	v_div_fmas_f32 v4, v4, v5, v6
	v_div_fixup_f32 v4, v4, v245, 1.0
                                        ; implicit-def: $vgpr244_vgpr245
	s_delay_alu instid0(VALU_DEP_1)
	v_mul_f32_e32 v246, v1, v4
	v_xor_b32_e32 v247, 0x80000000, v4
.LBB83_338:
	s_and_not1_saveexec_b32 s1, s1
	s_cbranch_execz .LBB83_340
; %bb.339:
	v_div_scale_f32 v1, null, v244, v244, v245
	v_div_scale_f32 v6, vcc_lo, v245, v244, v245
	s_delay_alu instid0(VALU_DEP_2) | instskip(SKIP_1) | instid1(TRANS32_DEP_1)
	v_rcp_f32_e32 v4, v1
	v_nop
	v_fma_f32 v5, -v1, v4, 1.0
	s_delay_alu instid0(VALU_DEP_1) | instskip(NEXT) | instid1(VALU_DEP_1)
	v_fmac_f32_e32 v4, v5, v4
	v_mul_f32_e32 v5, v6, v4
	s_delay_alu instid0(VALU_DEP_1) | instskip(NEXT) | instid1(VALU_DEP_1)
	v_fma_f32 v7, -v1, v5, v6
	v_fmac_f32_e32 v5, v7, v4
	s_delay_alu instid0(VALU_DEP_1) | instskip(NEXT) | instid1(VALU_DEP_1)
	v_fma_f32 v1, -v1, v5, v6
	v_div_fmas_f32 v1, v1, v4, v5
	s_delay_alu instid0(VALU_DEP_1) | instskip(NEXT) | instid1(VALU_DEP_1)
	v_div_fixup_f32 v1, v1, v244, v245
	v_fmac_f32_e32 v244, v245, v1
	s_delay_alu instid0(VALU_DEP_1) | instskip(NEXT) | instid1(VALU_DEP_1)
	v_div_scale_f32 v4, null, v244, v244, 1.0
	v_rcp_f32_e32 v5, v4
	v_nop
	s_delay_alu instid0(TRANS32_DEP_1) | instskip(NEXT) | instid1(VALU_DEP_1)
	v_fma_f32 v6, -v4, v5, 1.0
	v_fmac_f32_e32 v5, v6, v5
	v_div_scale_f32 v6, vcc_lo, 1.0, v244, 1.0
	s_delay_alu instid0(VALU_DEP_1) | instskip(NEXT) | instid1(VALU_DEP_1)
	v_mul_f32_e32 v7, v6, v5
	v_fma_f32 v8, -v4, v7, v6
	s_delay_alu instid0(VALU_DEP_1) | instskip(NEXT) | instid1(VALU_DEP_1)
	v_fmac_f32_e32 v7, v8, v5
	v_fma_f32 v4, -v4, v7, v6
	s_delay_alu instid0(VALU_DEP_1) | instskip(NEXT) | instid1(VALU_DEP_1)
	v_div_fmas_f32 v4, v4, v5, v7
	v_div_fixup_f32 v246, v4, v244, 1.0
	s_delay_alu instid0(VALU_DEP_1)
	v_mul_f32_e64 v247, v1, -v246
.LBB83_340:
	s_or_b32 exec_lo, exec_lo, s1
	ds_store_b64 v255, v[246:247]
.LBB83_341:
	s_or_b32 exec_lo, exec_lo, s2
	s_wait_dscnt 0x0
	s_barrier_signal -1
	s_barrier_wait -1
	ds_load_b64 v[244:245], v255
	s_mov_b32 s1, exec_lo
	v_cmpx_lt_u32_e32 37, v254
	s_cbranch_execz .LBB83_343
; %bb.342:
	ds_load_2addr_b64 v[246:249], v0 offset0:38 offset1:39
	s_wait_dscnt 0x1
	v_pk_mul_f32 v[4:5], v[244:245], v[160:161] op_sel:[1,1] op_sel_hi:[0,1]
	s_delay_alu instid0(VALU_DEP_1) | instskip(SKIP_1) | instid1(VALU_DEP_1)
	v_pk_fma_f32 v[250:251], v[244:245], v[160:161], v[4:5] op_sel_hi:[1,0,1] neg_lo:[0,0,1] neg_hi:[0,0,1]
	v_pk_fma_f32 v[4:5], v[244:245], v[160:161], v[4:5] op_sel_hi:[1,0,1]
	v_dual_mov_b32 v160, v250 :: v_dual_mov_b32 v161, v5
	s_wait_dscnt 0x0
	s_delay_alu instid0(VALU_DEP_2) | instskip(NEXT) | instid1(VALU_DEP_1)
	v_pk_mul_f32 v[252:253], v[246:247], v[4:5] op_sel:[0,1]
	v_pk_fma_f32 v[6:7], v[246:247], v[250:251], v[252:253] op_sel:[0,0,1] op_sel_hi:[1,1,0] neg_lo:[0,0,1] neg_hi:[0,0,1]
	v_pk_fma_f32 v[246:247], v[246:247], v[250:251], v[252:253] op_sel:[0,0,1] op_sel_hi:[1,0,0]
	s_delay_alu instid0(VALU_DEP_1) | instskip(NEXT) | instid1(VALU_DEP_1)
	v_mov_b32_e32 v7, v247
	v_pk_add_f32 v[162:163], v[162:163], v[6:7] neg_lo:[0,1] neg_hi:[0,1]
	v_pk_mul_f32 v[6:7], v[248:249], v[4:5] op_sel:[0,1]
	s_delay_alu instid0(VALU_DEP_1) | instskip(SKIP_1) | instid1(VALU_DEP_1)
	v_pk_fma_f32 v[246:247], v[248:249], v[250:251], v[6:7] op_sel:[0,0,1] op_sel_hi:[1,1,0] neg_lo:[0,0,1] neg_hi:[0,0,1]
	v_pk_fma_f32 v[6:7], v[248:249], v[250:251], v[6:7] op_sel:[0,0,1] op_sel_hi:[1,0,0]
	v_mov_b32_e32 v247, v7
	s_delay_alu instid0(VALU_DEP_1) | instskip(SKIP_3) | instid1(VALU_DEP_1)
	v_pk_add_f32 v[158:159], v[158:159], v[246:247] neg_lo:[0,1] neg_hi:[0,1]
	ds_load_2addr_b64 v[246:249], v0 offset0:40 offset1:41
	s_wait_dscnt 0x0
	v_pk_mul_f32 v[6:7], v[246:247], v[4:5] op_sel:[0,1]
	v_pk_fma_f32 v[252:253], v[246:247], v[250:251], v[6:7] op_sel:[0,0,1] op_sel_hi:[1,1,0] neg_lo:[0,0,1] neg_hi:[0,0,1]
	v_pk_fma_f32 v[6:7], v[246:247], v[250:251], v[6:7] op_sel:[0,0,1] op_sel_hi:[1,0,0]
	s_delay_alu instid0(VALU_DEP_1) | instskip(SKIP_1) | instid1(VALU_DEP_2)
	v_dual_mov_b32 v6, v249 :: v_dual_mov_b32 v253, v7
	v_mov_b32_e32 v7, v248
	v_pk_add_f32 v[166:167], v[166:167], v[252:253] neg_lo:[0,1] neg_hi:[0,1]
	s_delay_alu instid0(VALU_DEP_2) | instskip(NEXT) | instid1(VALU_DEP_1)
	v_pk_mul_f32 v[4:5], v[6:7], v[4:5] op_sel:[0,1]
	v_pk_fma_f32 v[6:7], v[248:249], v[250:251], v[4:5] neg_lo:[0,0,1] neg_hi:[0,0,1]
	v_pk_fma_f32 v[4:5], v[248:249], v[250:251], v[4:5] op_sel_hi:[1,0,1]
	s_delay_alu instid0(VALU_DEP_1) | instskip(NEXT) | instid1(VALU_DEP_1)
	v_mov_b32_e32 v7, v5
	v_pk_add_f32 v[168:169], v[168:169], v[6:7] neg_lo:[0,1] neg_hi:[0,1]
.LBB83_343:
	s_or_b32 exec_lo, exec_lo, s1
	s_delay_alu instid0(SALU_CYCLE_1)
	s_mov_b32 s2, exec_lo
	s_wait_dscnt 0x0
	s_barrier_signal -1
	s_barrier_wait -1
	v_cmpx_eq_u32_e32 38, v254
	s_cbranch_execz .LBB83_350
; %bb.344:
	ds_store_b64 v255, v[162:163]
	ds_store_2addr_b64 v0, v[158:159], v[166:167] offset0:39 offset1:40
	ds_store_b64 v0, v[168:169] offset:328
	ds_load_b64 v[246:247], v255
	s_wait_dscnt 0x0
	v_cmp_neq_f32_e32 vcc_lo, 0, v246
	v_cmp_neq_f32_e64 s1, 0, v247
	s_or_b32 s1, vcc_lo, s1
	s_delay_alu instid0(SALU_CYCLE_1)
	s_and_b32 exec_lo, exec_lo, s1
	s_cbranch_execz .LBB83_350
; %bb.345:
	v_cmp_ngt_f32_e64 s1, |v246|, |v247|
                                        ; implicit-def: $vgpr248_vgpr249
	s_and_saveexec_b32 s4, s1
	s_delay_alu instid0(SALU_CYCLE_1)
	s_xor_b32 s1, exec_lo, s4
	s_cbranch_execz .LBB83_347
; %bb.346:
	v_div_scale_f32 v1, null, v247, v247, v246
	v_div_scale_f32 v6, vcc_lo, v246, v247, v246
	s_delay_alu instid0(VALU_DEP_2) | instskip(SKIP_1) | instid1(TRANS32_DEP_1)
	v_rcp_f32_e32 v4, v1
	v_nop
	v_fma_f32 v5, -v1, v4, 1.0
	s_delay_alu instid0(VALU_DEP_1) | instskip(NEXT) | instid1(VALU_DEP_1)
	v_fmac_f32_e32 v4, v5, v4
	v_mul_f32_e32 v5, v6, v4
	s_delay_alu instid0(VALU_DEP_1) | instskip(NEXT) | instid1(VALU_DEP_1)
	v_fma_f32 v7, -v1, v5, v6
	v_fmac_f32_e32 v5, v7, v4
	s_delay_alu instid0(VALU_DEP_1) | instskip(NEXT) | instid1(VALU_DEP_1)
	v_fma_f32 v1, -v1, v5, v6
	v_div_fmas_f32 v1, v1, v4, v5
	s_delay_alu instid0(VALU_DEP_1) | instskip(NEXT) | instid1(VALU_DEP_1)
	v_div_fixup_f32 v1, v1, v247, v246
	v_fmac_f32_e32 v247, v246, v1
	s_delay_alu instid0(VALU_DEP_1) | instskip(SKIP_1) | instid1(VALU_DEP_2)
	v_div_scale_f32 v4, null, v247, v247, 1.0
	v_div_scale_f32 v7, vcc_lo, 1.0, v247, 1.0
	v_rcp_f32_e32 v5, v4
	v_nop
	s_delay_alu instid0(TRANS32_DEP_1) | instskip(NEXT) | instid1(VALU_DEP_1)
	v_fma_f32 v6, -v4, v5, 1.0
	v_fmac_f32_e32 v5, v6, v5
	s_delay_alu instid0(VALU_DEP_1) | instskip(NEXT) | instid1(VALU_DEP_1)
	v_mul_f32_e32 v6, v7, v5
	v_fma_f32 v8, -v4, v6, v7
	s_delay_alu instid0(VALU_DEP_1) | instskip(NEXT) | instid1(VALU_DEP_1)
	v_fmac_f32_e32 v6, v8, v5
	v_fma_f32 v4, -v4, v6, v7
	s_delay_alu instid0(VALU_DEP_1) | instskip(NEXT) | instid1(VALU_DEP_1)
	v_div_fmas_f32 v4, v4, v5, v6
	v_div_fixup_f32 v4, v4, v247, 1.0
                                        ; implicit-def: $vgpr246_vgpr247
	s_delay_alu instid0(VALU_DEP_1)
	v_mul_f32_e32 v248, v1, v4
	v_xor_b32_e32 v249, 0x80000000, v4
.LBB83_347:
	s_and_not1_saveexec_b32 s1, s1
	s_cbranch_execz .LBB83_349
; %bb.348:
	v_div_scale_f32 v1, null, v246, v246, v247
	v_div_scale_f32 v6, vcc_lo, v247, v246, v247
	s_delay_alu instid0(VALU_DEP_2) | instskip(SKIP_1) | instid1(TRANS32_DEP_1)
	v_rcp_f32_e32 v4, v1
	v_nop
	v_fma_f32 v5, -v1, v4, 1.0
	s_delay_alu instid0(VALU_DEP_1) | instskip(NEXT) | instid1(VALU_DEP_1)
	v_fmac_f32_e32 v4, v5, v4
	v_mul_f32_e32 v5, v6, v4
	s_delay_alu instid0(VALU_DEP_1) | instskip(NEXT) | instid1(VALU_DEP_1)
	v_fma_f32 v7, -v1, v5, v6
	v_fmac_f32_e32 v5, v7, v4
	s_delay_alu instid0(VALU_DEP_1) | instskip(NEXT) | instid1(VALU_DEP_1)
	v_fma_f32 v1, -v1, v5, v6
	v_div_fmas_f32 v1, v1, v4, v5
	s_delay_alu instid0(VALU_DEP_1) | instskip(NEXT) | instid1(VALU_DEP_1)
	v_div_fixup_f32 v1, v1, v246, v247
	v_fmac_f32_e32 v246, v247, v1
	s_delay_alu instid0(VALU_DEP_1) | instskip(NEXT) | instid1(VALU_DEP_1)
	v_div_scale_f32 v4, null, v246, v246, 1.0
	v_rcp_f32_e32 v5, v4
	v_nop
	s_delay_alu instid0(TRANS32_DEP_1) | instskip(NEXT) | instid1(VALU_DEP_1)
	v_fma_f32 v6, -v4, v5, 1.0
	v_fmac_f32_e32 v5, v6, v5
	v_div_scale_f32 v6, vcc_lo, 1.0, v246, 1.0
	s_delay_alu instid0(VALU_DEP_1) | instskip(NEXT) | instid1(VALU_DEP_1)
	v_mul_f32_e32 v7, v6, v5
	v_fma_f32 v8, -v4, v7, v6
	s_delay_alu instid0(VALU_DEP_1) | instskip(NEXT) | instid1(VALU_DEP_1)
	v_fmac_f32_e32 v7, v8, v5
	v_fma_f32 v4, -v4, v7, v6
	s_delay_alu instid0(VALU_DEP_1) | instskip(NEXT) | instid1(VALU_DEP_1)
	v_div_fmas_f32 v4, v4, v5, v7
	v_div_fixup_f32 v248, v4, v246, 1.0
	s_delay_alu instid0(VALU_DEP_1)
	v_mul_f32_e64 v249, v1, -v248
.LBB83_349:
	s_or_b32 exec_lo, exec_lo, s1
	ds_store_b64 v255, v[248:249]
.LBB83_350:
	s_or_b32 exec_lo, exec_lo, s2
	s_wait_dscnt 0x0
	s_barrier_signal -1
	s_barrier_wait -1
	ds_load_b64 v[246:247], v255
	s_mov_b32 s1, exec_lo
	v_cmpx_lt_u32_e32 38, v254
	s_cbranch_execz .LBB83_352
; %bb.351:
	ds_load_2addr_b64 v[248:251], v0 offset0:39 offset1:40
	s_wait_dscnt 0x1
	v_pk_mul_f32 v[4:5], v[246:247], v[162:163] op_sel:[1,1] op_sel_hi:[0,1]
	s_delay_alu instid0(VALU_DEP_1) | instskip(SKIP_1) | instid1(VALU_DEP_1)
	v_pk_fma_f32 v[6:7], v[246:247], v[162:163], v[4:5] op_sel_hi:[1,0,1] neg_lo:[0,0,1] neg_hi:[0,0,1]
	v_pk_fma_f32 v[4:5], v[246:247], v[162:163], v[4:5] op_sel_hi:[1,0,1]
	v_dual_mov_b32 v162, v6 :: v_dual_mov_b32 v163, v5
	s_wait_dscnt 0x0
	s_delay_alu instid0(VALU_DEP_2) | instskip(NEXT) | instid1(VALU_DEP_1)
	v_pk_mul_f32 v[252:253], v[248:249], v[4:5] op_sel:[0,1]
	v_pk_fma_f32 v[8:9], v[248:249], v[6:7], v[252:253] op_sel:[0,0,1] op_sel_hi:[1,1,0] neg_lo:[0,0,1] neg_hi:[0,0,1]
	v_pk_fma_f32 v[248:249], v[248:249], v[6:7], v[252:253] op_sel:[0,0,1] op_sel_hi:[1,0,0]
	s_delay_alu instid0(VALU_DEP_1) | instskip(NEXT) | instid1(VALU_DEP_1)
	v_mov_b32_e32 v9, v249
	v_pk_add_f32 v[158:159], v[158:159], v[8:9] neg_lo:[0,1] neg_hi:[0,1]
	v_pk_mul_f32 v[8:9], v[250:251], v[4:5] op_sel:[0,1]
	s_delay_alu instid0(VALU_DEP_1) | instskip(SKIP_1) | instid1(VALU_DEP_1)
	v_pk_fma_f32 v[248:249], v[250:251], v[6:7], v[8:9] op_sel:[0,0,1] op_sel_hi:[1,1,0] neg_lo:[0,0,1] neg_hi:[0,0,1]
	v_pk_fma_f32 v[8:9], v[250:251], v[6:7], v[8:9] op_sel:[0,0,1] op_sel_hi:[1,0,0]
	v_mov_b32_e32 v249, v9
	ds_load_b64 v[8:9], v0 offset:328
	v_pk_add_f32 v[166:167], v[166:167], v[248:249] neg_lo:[0,1] neg_hi:[0,1]
	s_wait_dscnt 0x0
	v_pk_mul_f32 v[4:5], v[8:9], v[4:5] op_sel:[1,1] op_sel_hi:[0,1]
	s_delay_alu instid0(VALU_DEP_1) | instskip(SKIP_1) | instid1(VALU_DEP_1)
	v_pk_fma_f32 v[248:249], v[8:9], v[6:7], v[4:5] neg_lo:[0,0,1] neg_hi:[0,0,1]
	v_pk_fma_f32 v[4:5], v[8:9], v[6:7], v[4:5] op_sel_hi:[1,0,1]
	v_mov_b32_e32 v249, v5
	s_delay_alu instid0(VALU_DEP_1)
	v_pk_add_f32 v[168:169], v[168:169], v[248:249] neg_lo:[0,1] neg_hi:[0,1]
.LBB83_352:
	s_or_b32 exec_lo, exec_lo, s1
	s_delay_alu instid0(SALU_CYCLE_1)
	s_mov_b32 s2, exec_lo
	s_wait_dscnt 0x0
	s_barrier_signal -1
	s_barrier_wait -1
	v_cmpx_eq_u32_e32 39, v254
	s_cbranch_execz .LBB83_359
; %bb.353:
	v_dual_mov_b32 v4, v166 :: v_dual_mov_b32 v5, v167
	ds_store_b64 v255, v[158:159]
	ds_store_2addr_b64 v0, v[4:5], v[168:169] offset0:40 offset1:41
	ds_load_b64 v[248:249], v255
	s_wait_dscnt 0x0
	v_cmp_neq_f32_e32 vcc_lo, 0, v248
	v_cmp_neq_f32_e64 s1, 0, v249
	s_or_b32 s1, vcc_lo, s1
	s_delay_alu instid0(SALU_CYCLE_1)
	s_and_b32 exec_lo, exec_lo, s1
	s_cbranch_execz .LBB83_359
; %bb.354:
	v_cmp_ngt_f32_e64 s1, |v248|, |v249|
                                        ; implicit-def: $vgpr250_vgpr251
	s_and_saveexec_b32 s4, s1
	s_delay_alu instid0(SALU_CYCLE_1)
	s_xor_b32 s1, exec_lo, s4
	s_cbranch_execz .LBB83_356
; %bb.355:
	v_div_scale_f32 v1, null, v249, v249, v248
	v_div_scale_f32 v6, vcc_lo, v248, v249, v248
	s_delay_alu instid0(VALU_DEP_2) | instskip(SKIP_1) | instid1(TRANS32_DEP_1)
	v_rcp_f32_e32 v4, v1
	v_nop
	v_fma_f32 v5, -v1, v4, 1.0
	s_delay_alu instid0(VALU_DEP_1) | instskip(NEXT) | instid1(VALU_DEP_1)
	v_fmac_f32_e32 v4, v5, v4
	v_mul_f32_e32 v5, v6, v4
	s_delay_alu instid0(VALU_DEP_1) | instskip(NEXT) | instid1(VALU_DEP_1)
	v_fma_f32 v7, -v1, v5, v6
	v_fmac_f32_e32 v5, v7, v4
	s_delay_alu instid0(VALU_DEP_1) | instskip(NEXT) | instid1(VALU_DEP_1)
	v_fma_f32 v1, -v1, v5, v6
	v_div_fmas_f32 v1, v1, v4, v5
	s_delay_alu instid0(VALU_DEP_1) | instskip(NEXT) | instid1(VALU_DEP_1)
	v_div_fixup_f32 v1, v1, v249, v248
	v_fmac_f32_e32 v249, v248, v1
	s_delay_alu instid0(VALU_DEP_1) | instskip(SKIP_1) | instid1(VALU_DEP_2)
	v_div_scale_f32 v4, null, v249, v249, 1.0
	v_div_scale_f32 v7, vcc_lo, 1.0, v249, 1.0
	v_rcp_f32_e32 v5, v4
	v_nop
	s_delay_alu instid0(TRANS32_DEP_1) | instskip(NEXT) | instid1(VALU_DEP_1)
	v_fma_f32 v6, -v4, v5, 1.0
	v_fmac_f32_e32 v5, v6, v5
	s_delay_alu instid0(VALU_DEP_1) | instskip(NEXT) | instid1(VALU_DEP_1)
	v_mul_f32_e32 v6, v7, v5
	v_fma_f32 v8, -v4, v6, v7
	s_delay_alu instid0(VALU_DEP_1) | instskip(NEXT) | instid1(VALU_DEP_1)
	v_fmac_f32_e32 v6, v8, v5
	v_fma_f32 v4, -v4, v6, v7
	s_delay_alu instid0(VALU_DEP_1) | instskip(NEXT) | instid1(VALU_DEP_1)
	v_div_fmas_f32 v4, v4, v5, v6
	v_div_fixup_f32 v4, v4, v249, 1.0
                                        ; implicit-def: $vgpr248_vgpr249
	s_delay_alu instid0(VALU_DEP_1)
	v_mul_f32_e32 v250, v1, v4
	v_xor_b32_e32 v251, 0x80000000, v4
.LBB83_356:
	s_and_not1_saveexec_b32 s1, s1
	s_cbranch_execz .LBB83_358
; %bb.357:
	v_div_scale_f32 v1, null, v248, v248, v249
	v_div_scale_f32 v6, vcc_lo, v249, v248, v249
	s_delay_alu instid0(VALU_DEP_2) | instskip(SKIP_1) | instid1(TRANS32_DEP_1)
	v_rcp_f32_e32 v4, v1
	v_nop
	v_fma_f32 v5, -v1, v4, 1.0
	s_delay_alu instid0(VALU_DEP_1) | instskip(NEXT) | instid1(VALU_DEP_1)
	v_fmac_f32_e32 v4, v5, v4
	v_mul_f32_e32 v5, v6, v4
	s_delay_alu instid0(VALU_DEP_1) | instskip(NEXT) | instid1(VALU_DEP_1)
	v_fma_f32 v7, -v1, v5, v6
	v_fmac_f32_e32 v5, v7, v4
	s_delay_alu instid0(VALU_DEP_1) | instskip(NEXT) | instid1(VALU_DEP_1)
	v_fma_f32 v1, -v1, v5, v6
	v_div_fmas_f32 v1, v1, v4, v5
	s_delay_alu instid0(VALU_DEP_1) | instskip(NEXT) | instid1(VALU_DEP_1)
	v_div_fixup_f32 v1, v1, v248, v249
	v_fmac_f32_e32 v248, v249, v1
	s_delay_alu instid0(VALU_DEP_1) | instskip(NEXT) | instid1(VALU_DEP_1)
	v_div_scale_f32 v4, null, v248, v248, 1.0
	v_rcp_f32_e32 v5, v4
	v_nop
	s_delay_alu instid0(TRANS32_DEP_1) | instskip(NEXT) | instid1(VALU_DEP_1)
	v_fma_f32 v6, -v4, v5, 1.0
	v_fmac_f32_e32 v5, v6, v5
	v_div_scale_f32 v6, vcc_lo, 1.0, v248, 1.0
	s_delay_alu instid0(VALU_DEP_1) | instskip(NEXT) | instid1(VALU_DEP_1)
	v_mul_f32_e32 v7, v6, v5
	v_fma_f32 v8, -v4, v7, v6
	s_delay_alu instid0(VALU_DEP_1) | instskip(NEXT) | instid1(VALU_DEP_1)
	v_fmac_f32_e32 v7, v8, v5
	v_fma_f32 v4, -v4, v7, v6
	s_delay_alu instid0(VALU_DEP_1) | instskip(NEXT) | instid1(VALU_DEP_1)
	v_div_fmas_f32 v4, v4, v5, v7
	v_div_fixup_f32 v250, v4, v248, 1.0
	s_delay_alu instid0(VALU_DEP_1)
	v_mul_f32_e64 v251, v1, -v250
.LBB83_358:
	s_or_b32 exec_lo, exec_lo, s1
	ds_store_b64 v255, v[250:251]
.LBB83_359:
	s_or_b32 exec_lo, exec_lo, s2
	s_wait_dscnt 0x0
	s_barrier_signal -1
	s_barrier_wait -1
	ds_load_b64 v[248:249], v255
	s_mov_b32 s1, exec_lo
	v_cmpx_lt_u32_e32 39, v254
	s_cbranch_execz .LBB83_361
; %bb.360:
	ds_load_2addr_b64 v[250:253], v0 offset0:40 offset1:41
	s_wait_dscnt 0x1
	v_pk_mul_f32 v[4:5], v[248:249], v[158:159] op_sel:[1,1] op_sel_hi:[0,1]
	v_mov_b32_e32 v1, v254
	scratch_store_b64 off, v[248:249], off offset:32 ; 8-byte Folded Spill
	v_pk_fma_f32 v[6:7], v[248:249], v[158:159], v[4:5] op_sel_hi:[1,0,1] neg_lo:[0,0,1] neg_hi:[0,0,1]
	v_pk_fma_f32 v[4:5], v[248:249], v[158:159], v[4:5] op_sel_hi:[1,0,1]
	s_wait_xcnt 0x0
	v_mov_b32_e32 v248, v255
	v_mov_b64_e32 v[254:255], v[246:247]
	v_mov_b64_e32 v[246:247], v[162:163]
	;; [unrolled: 1-line block ×11, first 2 shown]
	s_wait_dscnt 0x0
	v_pk_mul_f32 v[8:9], v[250:251], v[4:5] op_sel:[0,1]
	v_mov_b64_e32 v[122:123], v[126:127]
	v_mov_b64_e32 v[126:127], v[124:125]
	;; [unrolled: 1-line block ×107, first 2 shown]
	v_pk_fma_f32 v[10:11], v[250:251], v[6:7], v[8:9] op_sel:[0,0,1] op_sel_hi:[1,1,0] neg_lo:[0,0,1] neg_hi:[0,0,1]
	v_pk_fma_f32 v[8:9], v[250:251], v[6:7], v[8:9] op_sel:[0,0,1] op_sel_hi:[1,0,0]
	v_dual_mov_b32 v8, v253 :: v_dual_mov_b32 v158, v6
	s_delay_alu instid0(VALU_DEP_2) | instskip(SKIP_1) | instid1(VALU_DEP_2)
	v_dual_mov_b32 v159, v5 :: v_dual_mov_b32 v11, v9
	v_mov_b32_e32 v9, v252
	v_pk_add_f32 v[166:167], v[166:167], v[10:11] neg_lo:[0,1] neg_hi:[0,1]
	v_mov_b64_e32 v[10:11], v[12:13]
	v_mov_b64_e32 v[12:13], v[14:15]
	;; [unrolled: 1-line block ×118, first 2 shown]
	v_mov_b32_e32 v255, v248
	scratch_load_b64 v[248:249], off, off offset:32 ; 8-byte Folded Reload
	v_mov_b32_e32 v254, v1
	v_pk_mul_f32 v[4:5], v[8:9], v[4:5] op_sel:[0,1]
	s_delay_alu instid0(VALU_DEP_1) | instskip(SKIP_1) | instid1(VALU_DEP_1)
	v_pk_fma_f32 v[8:9], v[252:253], v[6:7], v[4:5] neg_lo:[0,0,1] neg_hi:[0,0,1]
	v_pk_fma_f32 v[4:5], v[252:253], v[6:7], v[4:5] op_sel_hi:[1,0,1]
	v_mov_b32_e32 v9, v5
	s_delay_alu instid0(VALU_DEP_1)
	v_pk_add_f32 v[168:169], v[168:169], v[8:9] neg_lo:[0,1] neg_hi:[0,1]
.LBB83_361:
	s_wait_xcnt 0x0
	s_or_b32 exec_lo, exec_lo, s1
	s_delay_alu instid0(SALU_CYCLE_1)
	s_mov_b32 s2, exec_lo
	s_wait_storecnt 0x0
	s_wait_loadcnt_dscnt 0x0
	s_barrier_signal -1
	s_barrier_wait -1
	v_cmpx_eq_u32_e32 40, v254
	s_cbranch_execz .LBB83_368
; %bb.362:
	ds_store_b64 v255, v[166:167]
	ds_store_b64 v0, v[168:169] offset:328
	ds_load_b64 v[250:251], v255
	s_wait_dscnt 0x0
	v_cmp_neq_f32_e32 vcc_lo, 0, v250
	v_cmp_neq_f32_e64 s1, 0, v251
	s_or_b32 s1, vcc_lo, s1
	s_delay_alu instid0(SALU_CYCLE_1)
	s_and_b32 exec_lo, exec_lo, s1
	s_cbranch_execz .LBB83_368
; %bb.363:
	v_cmp_ngt_f32_e64 s1, |v250|, |v251|
                                        ; implicit-def: $vgpr252_vgpr253
	s_and_saveexec_b32 s4, s1
	s_delay_alu instid0(SALU_CYCLE_1)
	s_xor_b32 s1, exec_lo, s4
	s_cbranch_execz .LBB83_365
; %bb.364:
	v_div_scale_f32 v1, null, v251, v251, v250
	v_div_scale_f32 v6, vcc_lo, v250, v251, v250
	s_delay_alu instid0(VALU_DEP_2) | instskip(SKIP_1) | instid1(TRANS32_DEP_1)
	v_rcp_f32_e32 v4, v1
	v_nop
	v_fma_f32 v5, -v1, v4, 1.0
	s_delay_alu instid0(VALU_DEP_1) | instskip(NEXT) | instid1(VALU_DEP_1)
	v_fmac_f32_e32 v4, v5, v4
	v_mul_f32_e32 v5, v6, v4
	s_delay_alu instid0(VALU_DEP_1) | instskip(NEXT) | instid1(VALU_DEP_1)
	v_fma_f32 v7, -v1, v5, v6
	v_fmac_f32_e32 v5, v7, v4
	s_delay_alu instid0(VALU_DEP_1) | instskip(NEXT) | instid1(VALU_DEP_1)
	v_fma_f32 v1, -v1, v5, v6
	v_div_fmas_f32 v1, v1, v4, v5
	s_delay_alu instid0(VALU_DEP_1) | instskip(NEXT) | instid1(VALU_DEP_1)
	v_div_fixup_f32 v1, v1, v251, v250
	v_fmac_f32_e32 v251, v250, v1
	s_delay_alu instid0(VALU_DEP_1) | instskip(SKIP_1) | instid1(VALU_DEP_2)
	v_div_scale_f32 v4, null, v251, v251, 1.0
	v_div_scale_f32 v7, vcc_lo, 1.0, v251, 1.0
	v_rcp_f32_e32 v5, v4
	v_nop
	s_delay_alu instid0(TRANS32_DEP_1) | instskip(NEXT) | instid1(VALU_DEP_1)
	v_fma_f32 v6, -v4, v5, 1.0
	v_fmac_f32_e32 v5, v6, v5
	s_delay_alu instid0(VALU_DEP_1) | instskip(NEXT) | instid1(VALU_DEP_1)
	v_mul_f32_e32 v6, v7, v5
	v_fma_f32 v8, -v4, v6, v7
	s_delay_alu instid0(VALU_DEP_1) | instskip(NEXT) | instid1(VALU_DEP_1)
	v_fmac_f32_e32 v6, v8, v5
	v_fma_f32 v4, -v4, v6, v7
	s_delay_alu instid0(VALU_DEP_1) | instskip(NEXT) | instid1(VALU_DEP_1)
	v_div_fmas_f32 v4, v4, v5, v6
	v_div_fixup_f32 v4, v4, v251, 1.0
                                        ; implicit-def: $vgpr250_vgpr251
	s_delay_alu instid0(VALU_DEP_1)
	v_mul_f32_e32 v252, v1, v4
	v_xor_b32_e32 v253, 0x80000000, v4
.LBB83_365:
	s_and_not1_saveexec_b32 s1, s1
	s_cbranch_execz .LBB83_367
; %bb.366:
	v_div_scale_f32 v1, null, v250, v250, v251
	v_div_scale_f32 v6, vcc_lo, v251, v250, v251
	s_delay_alu instid0(VALU_DEP_2) | instskip(SKIP_1) | instid1(TRANS32_DEP_1)
	v_rcp_f32_e32 v4, v1
	v_nop
	v_fma_f32 v5, -v1, v4, 1.0
	s_delay_alu instid0(VALU_DEP_1) | instskip(NEXT) | instid1(VALU_DEP_1)
	v_fmac_f32_e32 v4, v5, v4
	v_mul_f32_e32 v5, v6, v4
	s_delay_alu instid0(VALU_DEP_1) | instskip(NEXT) | instid1(VALU_DEP_1)
	v_fma_f32 v7, -v1, v5, v6
	v_fmac_f32_e32 v5, v7, v4
	s_delay_alu instid0(VALU_DEP_1) | instskip(NEXT) | instid1(VALU_DEP_1)
	v_fma_f32 v1, -v1, v5, v6
	v_div_fmas_f32 v1, v1, v4, v5
	s_delay_alu instid0(VALU_DEP_1) | instskip(NEXT) | instid1(VALU_DEP_1)
	v_div_fixup_f32 v1, v1, v250, v251
	v_fmac_f32_e32 v250, v251, v1
	s_delay_alu instid0(VALU_DEP_1) | instskip(NEXT) | instid1(VALU_DEP_1)
	v_div_scale_f32 v4, null, v250, v250, 1.0
	v_rcp_f32_e32 v5, v4
	v_nop
	s_delay_alu instid0(TRANS32_DEP_1) | instskip(NEXT) | instid1(VALU_DEP_1)
	v_fma_f32 v6, -v4, v5, 1.0
	v_fmac_f32_e32 v5, v6, v5
	v_div_scale_f32 v6, vcc_lo, 1.0, v250, 1.0
	s_delay_alu instid0(VALU_DEP_1) | instskip(NEXT) | instid1(VALU_DEP_1)
	v_mul_f32_e32 v7, v6, v5
	v_fma_f32 v8, -v4, v7, v6
	s_delay_alu instid0(VALU_DEP_1) | instskip(NEXT) | instid1(VALU_DEP_1)
	v_fmac_f32_e32 v7, v8, v5
	v_fma_f32 v4, -v4, v7, v6
	s_delay_alu instid0(VALU_DEP_1) | instskip(NEXT) | instid1(VALU_DEP_1)
	v_div_fmas_f32 v4, v4, v5, v7
	v_div_fixup_f32 v252, v4, v250, 1.0
	s_delay_alu instid0(VALU_DEP_1)
	v_mul_f32_e64 v253, v1, -v252
.LBB83_367:
	s_or_b32 exec_lo, exec_lo, s1
	ds_store_b64 v255, v[252:253]
.LBB83_368:
	s_or_b32 exec_lo, exec_lo, s2
	s_wait_dscnt 0x0
	s_barrier_signal -1
	s_barrier_wait -1
	ds_load_b64 v[250:251], v255
	s_mov_b32 s1, exec_lo
	v_cmpx_lt_u32_e32 40, v254
	s_cbranch_execz .LBB83_370
; %bb.369:
	ds_load_b64 v[0:1], v0 offset:328
	s_wait_dscnt 0x1
	v_pk_mul_f32 v[4:5], v[250:251], v[166:167] op_sel:[1,1] op_sel_hi:[0,1]
	s_delay_alu instid0(VALU_DEP_1) | instskip(SKIP_2) | instid1(VALU_DEP_2)
	v_pk_fma_f32 v[6:7], v[250:251], v[166:167], v[4:5] op_sel_hi:[1,0,1]
	v_pk_fma_f32 v[166:167], v[250:251], v[166:167], v[4:5] op_sel_hi:[1,0,1] neg_lo:[0,0,1] neg_hi:[0,0,1]
	s_wait_dscnt 0x0
	v_pk_mul_f32 v[4:5], v[0:1], v[6:7] op_sel:[1,1] op_sel_hi:[0,1]
	s_delay_alu instid0(VALU_DEP_1) | instskip(SKIP_1) | instid1(VALU_DEP_2)
	v_pk_fma_f32 v[8:9], v[0:1], v[166:167], v[4:5] op_sel_hi:[1,0,1]
	v_pk_fma_f32 v[0:1], v[0:1], v[166:167], v[4:5] neg_lo:[0,0,1] neg_hi:[0,0,1]
	v_dual_mov_b32 v167, v7 :: v_dual_mov_b32 v1, v9
	s_delay_alu instid0(VALU_DEP_1)
	v_pk_add_f32 v[168:169], v[168:169], v[0:1] neg_lo:[0,1] neg_hi:[0,1]
.LBB83_370:
	s_or_b32 exec_lo, exec_lo, s1
	s_delay_alu instid0(SALU_CYCLE_1)
	s_mov_b32 s2, exec_lo
	s_wait_dscnt 0x0
	s_barrier_signal -1
	s_barrier_wait -1
	v_cmpx_eq_u32_e32 41, v254
	s_cbranch_execz .LBB83_377
; %bb.371:
	v_cmp_neq_f32_e32 vcc_lo, 0, v168
	v_cmp_neq_f32_e64 s1, 0, v169
	ds_store_b64 v255, v[168:169]
	s_or_b32 s1, vcc_lo, s1
	s_delay_alu instid0(SALU_CYCLE_1)
	s_and_b32 exec_lo, exec_lo, s1
	s_cbranch_execz .LBB83_377
; %bb.372:
	v_cmp_ngt_f32_e64 s1, |v168|, |v169|
                                        ; implicit-def: $vgpr252_vgpr253
	s_and_saveexec_b32 s4, s1
	s_delay_alu instid0(SALU_CYCLE_1)
	s_xor_b32 s1, exec_lo, s4
	s_cbranch_execz .LBB83_374
; %bb.373:
	v_div_scale_f32 v0, null, v169, v169, v168
	v_div_scale_f32 v5, vcc_lo, v168, v169, v168
	s_delay_alu instid0(VALU_DEP_2) | instskip(SKIP_1) | instid1(TRANS32_DEP_1)
	v_rcp_f32_e32 v1, v0
	v_nop
	v_fma_f32 v4, -v0, v1, 1.0
	s_delay_alu instid0(VALU_DEP_1) | instskip(NEXT) | instid1(VALU_DEP_1)
	v_fmac_f32_e32 v1, v4, v1
	v_mul_f32_e32 v4, v5, v1
	s_delay_alu instid0(VALU_DEP_1) | instskip(NEXT) | instid1(VALU_DEP_1)
	v_fma_f32 v6, -v0, v4, v5
	v_fmac_f32_e32 v4, v6, v1
	s_delay_alu instid0(VALU_DEP_1) | instskip(NEXT) | instid1(VALU_DEP_1)
	v_fma_f32 v0, -v0, v4, v5
	v_div_fmas_f32 v0, v0, v1, v4
	s_delay_alu instid0(VALU_DEP_1) | instskip(NEXT) | instid1(VALU_DEP_1)
	v_div_fixup_f32 v0, v0, v169, v168
	v_fma_f32 v1, v168, v0, v169
	s_delay_alu instid0(VALU_DEP_1) | instskip(SKIP_1) | instid1(VALU_DEP_2)
	v_div_scale_f32 v4, null, v1, v1, 1.0
	v_div_scale_f32 v7, vcc_lo, 1.0, v1, 1.0
	v_rcp_f32_e32 v5, v4
	v_nop
	s_delay_alu instid0(TRANS32_DEP_1) | instskip(NEXT) | instid1(VALU_DEP_1)
	v_fma_f32 v6, -v4, v5, 1.0
	v_fmac_f32_e32 v5, v6, v5
	s_delay_alu instid0(VALU_DEP_1) | instskip(NEXT) | instid1(VALU_DEP_1)
	v_mul_f32_e32 v6, v7, v5
	v_fma_f32 v8, -v4, v6, v7
	s_delay_alu instid0(VALU_DEP_1) | instskip(NEXT) | instid1(VALU_DEP_1)
	v_fmac_f32_e32 v6, v8, v5
	v_fma_f32 v4, -v4, v6, v7
	s_delay_alu instid0(VALU_DEP_1) | instskip(NEXT) | instid1(VALU_DEP_1)
	v_div_fmas_f32 v4, v4, v5, v6
	v_div_fixup_f32 v1, v4, v1, 1.0
	s_delay_alu instid0(VALU_DEP_1)
	v_mul_f32_e32 v252, v0, v1
	v_xor_b32_e32 v253, 0x80000000, v1
.LBB83_374:
	s_and_not1_saveexec_b32 s1, s1
	s_cbranch_execz .LBB83_376
; %bb.375:
	v_div_scale_f32 v0, null, v168, v168, v169
	v_div_scale_f32 v5, vcc_lo, v169, v168, v169
	s_delay_alu instid0(VALU_DEP_2) | instskip(SKIP_1) | instid1(TRANS32_DEP_1)
	v_rcp_f32_e32 v1, v0
	v_nop
	v_fma_f32 v4, -v0, v1, 1.0
	s_delay_alu instid0(VALU_DEP_1) | instskip(NEXT) | instid1(VALU_DEP_1)
	v_fmac_f32_e32 v1, v4, v1
	v_mul_f32_e32 v4, v5, v1
	s_delay_alu instid0(VALU_DEP_1) | instskip(NEXT) | instid1(VALU_DEP_1)
	v_fma_f32 v6, -v0, v4, v5
	v_fmac_f32_e32 v4, v6, v1
	s_delay_alu instid0(VALU_DEP_1) | instskip(NEXT) | instid1(VALU_DEP_1)
	v_fma_f32 v0, -v0, v4, v5
	v_div_fmas_f32 v0, v0, v1, v4
	s_delay_alu instid0(VALU_DEP_1) | instskip(NEXT) | instid1(VALU_DEP_1)
	v_div_fixup_f32 v0, v0, v168, v169
	v_fma_f32 v1, v169, v0, v168
	s_delay_alu instid0(VALU_DEP_1) | instskip(NEXT) | instid1(VALU_DEP_1)
	v_div_scale_f32 v4, null, v1, v1, 1.0
	v_rcp_f32_e32 v5, v4
	v_nop
	s_delay_alu instid0(TRANS32_DEP_1) | instskip(NEXT) | instid1(VALU_DEP_1)
	v_fma_f32 v6, -v4, v5, 1.0
	v_fmac_f32_e32 v5, v6, v5
	v_div_scale_f32 v6, vcc_lo, 1.0, v1, 1.0
	s_delay_alu instid0(VALU_DEP_1) | instskip(NEXT) | instid1(VALU_DEP_1)
	v_mul_f32_e32 v7, v6, v5
	v_fma_f32 v8, -v4, v7, v6
	s_delay_alu instid0(VALU_DEP_1) | instskip(NEXT) | instid1(VALU_DEP_1)
	v_fmac_f32_e32 v7, v8, v5
	v_fma_f32 v4, -v4, v7, v6
	s_delay_alu instid0(VALU_DEP_1) | instskip(NEXT) | instid1(VALU_DEP_1)
	v_div_fmas_f32 v4, v4, v5, v7
	v_div_fixup_f32 v252, v4, v1, 1.0
	s_delay_alu instid0(VALU_DEP_1)
	v_mul_f32_e64 v253, v0, -v252
.LBB83_376:
	s_or_b32 exec_lo, exec_lo, s1
	ds_store_b64 v255, v[252:253]
.LBB83_377:
	s_or_b32 exec_lo, exec_lo, s2
	s_wait_dscnt 0x0
	s_barrier_signal -1
	s_barrier_wait -1
	ds_load_b64 v[252:253], v255
	s_wait_dscnt 0x0
	s_barrier_signal -1
	s_barrier_wait -1
	s_and_saveexec_b32 s4, s0
	s_cbranch_execz .LBB83_380
; %bb.378:
	v_cmp_eq_f32_e32 vcc_lo, 0, v170
	v_cmp_eq_f32_e64 s0, 0, v171
	v_cmp_neq_f32_e64 s1, 0, v172
	v_cmp_neq_f32_e64 s2, 0, v173
	v_lshl_add_u64 v[2:3], v[2:3], 2, s[6:7]
	s_and_b32 s0, vcc_lo, s0
	s_delay_alu instid0(SALU_CYCLE_1)
	v_cndmask_b32_e64 v0, 0, 1, s0
	s_or_b32 s1, s1, s2
	global_load_b32 v1, v[2:3], off
	s_or_b32 vcc_lo, s1, s0
	v_cmp_eq_f32_e64 s0, 0, v175
	v_cndmask_b32_e32 v0, 2, v0, vcc_lo
	v_cmp_eq_f32_e32 vcc_lo, 0, v174
	s_delay_alu instid0(VALU_DEP_2) | instskip(SKIP_3) | instid1(SALU_CYCLE_1)
	v_cmp_eq_u32_e64 s1, 0, v0
	s_and_b32 s0, vcc_lo, s0
	v_cmp_eq_f32_e32 vcc_lo, 0, v176
	s_and_b32 s0, s0, s1
	v_cndmask_b32_e64 v0, v0, 3, s0
	v_cmp_eq_f32_e64 s0, 0, v177
	s_delay_alu instid0(VALU_DEP_2) | instskip(SKIP_3) | instid1(SALU_CYCLE_1)
	v_cmp_eq_u32_e64 s1, 0, v0
	s_and_b32 s0, vcc_lo, s0
	v_cmp_eq_f32_e32 vcc_lo, 0, v178
	s_and_b32 s0, s0, s1
	v_cndmask_b32_e64 v0, v0, 4, s0
	v_cmp_eq_f32_e64 s0, 0, v179
	s_delay_alu instid0(VALU_DEP_2) | instskip(SKIP_3) | instid1(SALU_CYCLE_1)
	v_cmp_eq_u32_e64 s1, 0, v0
	s_and_b32 s0, vcc_lo, s0
	v_cmp_eq_f32_e32 vcc_lo, 0, v180
	s_and_b32 s0, s0, s1
	v_cndmask_b32_e64 v0, v0, 5, s0
	v_cmp_eq_f32_e64 s0, 0, v181
	s_delay_alu instid0(VALU_DEP_2) | instskip(SKIP_3) | instid1(SALU_CYCLE_1)
	v_cmp_eq_u32_e64 s1, 0, v0
	s_and_b32 s0, vcc_lo, s0
	v_cmp_eq_f32_e32 vcc_lo, 0, v182
	s_and_b32 s0, s0, s1
	v_cndmask_b32_e64 v0, v0, 6, s0
	v_cmp_eq_f32_e64 s0, 0, v183
	s_delay_alu instid0(VALU_DEP_2) | instskip(SKIP_3) | instid1(SALU_CYCLE_1)
	v_cmp_eq_u32_e64 s1, 0, v0
	s_and_b32 s0, vcc_lo, s0
	v_cmp_eq_f32_e32 vcc_lo, 0, v184
	s_and_b32 s0, s0, s1
	v_cndmask_b32_e64 v0, v0, 7, s0
	v_cmp_eq_f32_e64 s0, 0, v185
	s_delay_alu instid0(VALU_DEP_2) | instskip(SKIP_3) | instid1(SALU_CYCLE_1)
	v_cmp_eq_u32_e64 s1, 0, v0
	s_and_b32 s0, vcc_lo, s0
	v_cmp_eq_f32_e32 vcc_lo, 0, v186
	s_and_b32 s0, s0, s1
	v_cndmask_b32_e64 v0, v0, 8, s0
	v_cmp_eq_f32_e64 s0, 0, v187
	s_delay_alu instid0(VALU_DEP_2) | instskip(SKIP_3) | instid1(SALU_CYCLE_1)
	v_cmp_eq_u32_e64 s1, 0, v0
	s_and_b32 s0, vcc_lo, s0
	v_cmp_eq_f32_e32 vcc_lo, 0, v188
	s_and_b32 s0, s0, s1
	v_cndmask_b32_e64 v0, v0, 9, s0
	v_cmp_eq_f32_e64 s0, 0, v189
	s_delay_alu instid0(VALU_DEP_2) | instskip(SKIP_3) | instid1(SALU_CYCLE_1)
	v_cmp_eq_u32_e64 s1, 0, v0
	s_and_b32 s0, vcc_lo, s0
	v_cmp_eq_f32_e32 vcc_lo, 0, v190
	s_and_b32 s0, s0, s1
	v_cndmask_b32_e64 v0, v0, 10, s0
	v_cmp_eq_f32_e64 s0, 0, v191
	s_delay_alu instid0(VALU_DEP_2) | instskip(SKIP_3) | instid1(SALU_CYCLE_1)
	v_cmp_eq_u32_e64 s1, 0, v0
	s_and_b32 s0, vcc_lo, s0
	v_cmp_eq_f32_e32 vcc_lo, 0, v192
	s_and_b32 s0, s0, s1
	v_cndmask_b32_e64 v0, v0, 11, s0
	v_cmp_eq_f32_e64 s0, 0, v193
	s_delay_alu instid0(VALU_DEP_2) | instskip(SKIP_3) | instid1(SALU_CYCLE_1)
	v_cmp_eq_u32_e64 s1, 0, v0
	s_and_b32 s0, vcc_lo, s0
	v_cmp_eq_f32_e32 vcc_lo, 0, v194
	s_and_b32 s0, s0, s1
	v_cndmask_b32_e64 v0, v0, 12, s0
	v_cmp_eq_f32_e64 s0, 0, v195
	s_delay_alu instid0(VALU_DEP_2) | instskip(SKIP_3) | instid1(SALU_CYCLE_1)
	v_cmp_eq_u32_e64 s1, 0, v0
	s_and_b32 s0, vcc_lo, s0
	v_cmp_eq_f32_e32 vcc_lo, 0, v196
	s_and_b32 s0, s0, s1
	v_cndmask_b32_e64 v0, v0, 13, s0
	v_cmp_eq_f32_e64 s0, 0, v197
	s_delay_alu instid0(VALU_DEP_2) | instskip(SKIP_3) | instid1(SALU_CYCLE_1)
	v_cmp_eq_u32_e64 s1, 0, v0
	s_and_b32 s0, vcc_lo, s0
	v_cmp_eq_f32_e32 vcc_lo, 0, v198
	s_and_b32 s0, s0, s1
	v_cndmask_b32_e64 v0, v0, 14, s0
	v_cmp_eq_f32_e64 s0, 0, v199
	s_delay_alu instid0(VALU_DEP_2) | instskip(SKIP_3) | instid1(SALU_CYCLE_1)
	v_cmp_eq_u32_e64 s1, 0, v0
	s_and_b32 s0, vcc_lo, s0
	v_cmp_eq_f32_e32 vcc_lo, 0, v200
	s_and_b32 s0, s0, s1
	v_cndmask_b32_e64 v0, v0, 15, s0
	v_cmp_eq_f32_e64 s0, 0, v201
	s_delay_alu instid0(VALU_DEP_2) | instskip(SKIP_3) | instid1(SALU_CYCLE_1)
	v_cmp_eq_u32_e64 s1, 0, v0
	s_and_b32 s0, vcc_lo, s0
	v_cmp_eq_f32_e32 vcc_lo, 0, v202
	s_and_b32 s0, s0, s1
	v_cndmask_b32_e64 v0, v0, 16, s0
	v_cmp_eq_f32_e64 s0, 0, v203
	s_delay_alu instid0(VALU_DEP_2) | instskip(SKIP_3) | instid1(SALU_CYCLE_1)
	v_cmp_eq_u32_e64 s1, 0, v0
	s_and_b32 s0, vcc_lo, s0
	v_cmp_eq_f32_e32 vcc_lo, 0, v204
	s_and_b32 s0, s0, s1
	v_cndmask_b32_e64 v0, v0, 17, s0
	v_cmp_eq_f32_e64 s0, 0, v205
	s_delay_alu instid0(VALU_DEP_2) | instskip(SKIP_3) | instid1(SALU_CYCLE_1)
	v_cmp_eq_u32_e64 s1, 0, v0
	s_and_b32 s0, vcc_lo, s0
	v_cmp_eq_f32_e32 vcc_lo, 0, v206
	s_and_b32 s0, s0, s1
	v_cndmask_b32_e64 v0, v0, 18, s0
	v_cmp_eq_f32_e64 s0, 0, v207
	s_delay_alu instid0(VALU_DEP_2) | instskip(SKIP_3) | instid1(SALU_CYCLE_1)
	v_cmp_eq_u32_e64 s1, 0, v0
	s_and_b32 s0, vcc_lo, s0
	v_cmp_eq_f32_e32 vcc_lo, 0, v208
	s_and_b32 s0, s0, s1
	v_cndmask_b32_e64 v0, v0, 19, s0
	v_cmp_eq_f32_e64 s0, 0, v209
	s_delay_alu instid0(VALU_DEP_2) | instskip(SKIP_3) | instid1(SALU_CYCLE_1)
	v_cmp_eq_u32_e64 s1, 0, v0
	s_and_b32 s0, vcc_lo, s0
	v_cmp_eq_f32_e32 vcc_lo, 0, v210
	s_and_b32 s0, s0, s1
	v_cndmask_b32_e64 v0, v0, 20, s0
	v_cmp_eq_f32_e64 s0, 0, v211
	s_delay_alu instid0(VALU_DEP_2) | instskip(SKIP_3) | instid1(SALU_CYCLE_1)
	v_cmp_eq_u32_e64 s1, 0, v0
	s_and_b32 s0, vcc_lo, s0
	v_cmp_eq_f32_e32 vcc_lo, 0, v212
	s_and_b32 s0, s0, s1
	v_cndmask_b32_e64 v0, v0, 21, s0
	v_cmp_eq_f32_e64 s0, 0, v213
	s_delay_alu instid0(VALU_DEP_2) | instskip(SKIP_3) | instid1(SALU_CYCLE_1)
	v_cmp_eq_u32_e64 s1, 0, v0
	s_and_b32 s0, vcc_lo, s0
	v_cmp_eq_f32_e32 vcc_lo, 0, v214
	s_and_b32 s0, s0, s1
	v_cndmask_b32_e64 v0, v0, 22, s0
	v_cmp_eq_f32_e64 s0, 0, v215
	s_delay_alu instid0(VALU_DEP_2) | instskip(SKIP_3) | instid1(SALU_CYCLE_1)
	v_cmp_eq_u32_e64 s1, 0, v0
	s_and_b32 s0, vcc_lo, s0
	v_cmp_eq_f32_e32 vcc_lo, 0, v216
	s_and_b32 s0, s0, s1
	v_cndmask_b32_e64 v0, v0, 23, s0
	v_cmp_eq_f32_e64 s0, 0, v217
	s_delay_alu instid0(VALU_DEP_2) | instskip(SKIP_3) | instid1(SALU_CYCLE_1)
	v_cmp_eq_u32_e64 s1, 0, v0
	s_and_b32 s0, vcc_lo, s0
	v_cmp_eq_f32_e32 vcc_lo, 0, v218
	s_and_b32 s0, s0, s1
	v_cndmask_b32_e64 v0, v0, 24, s0
	v_cmp_eq_f32_e64 s0, 0, v219
	s_delay_alu instid0(VALU_DEP_2) | instskip(SKIP_3) | instid1(SALU_CYCLE_1)
	v_cmp_eq_u32_e64 s1, 0, v0
	s_and_b32 s0, vcc_lo, s0
	v_cmp_eq_f32_e32 vcc_lo, 0, v220
	s_and_b32 s0, s0, s1
	v_cndmask_b32_e64 v0, v0, 25, s0
	v_cmp_eq_f32_e64 s0, 0, v221
	s_delay_alu instid0(VALU_DEP_2) | instskip(SKIP_3) | instid1(SALU_CYCLE_1)
	v_cmp_eq_u32_e64 s1, 0, v0
	s_and_b32 s0, vcc_lo, s0
	v_cmp_eq_f32_e32 vcc_lo, 0, v222
	s_and_b32 s0, s0, s1
	v_cndmask_b32_e64 v0, v0, 26, s0
	v_cmp_eq_f32_e64 s0, 0, v223
	s_delay_alu instid0(VALU_DEP_2) | instskip(SKIP_3) | instid1(SALU_CYCLE_1)
	v_cmp_eq_u32_e64 s1, 0, v0
	s_and_b32 s0, vcc_lo, s0
	v_cmp_eq_f32_e32 vcc_lo, 0, v224
	s_and_b32 s0, s0, s1
	v_cndmask_b32_e64 v0, v0, 27, s0
	v_cmp_eq_f32_e64 s0, 0, v225
	s_delay_alu instid0(VALU_DEP_2) | instskip(SKIP_3) | instid1(SALU_CYCLE_1)
	v_cmp_eq_u32_e64 s1, 0, v0
	s_and_b32 s0, vcc_lo, s0
	v_cmp_eq_f32_e32 vcc_lo, 0, v226
	s_and_b32 s0, s0, s1
	v_cndmask_b32_e64 v0, v0, 28, s0
	v_cmp_eq_f32_e64 s0, 0, v227
	s_delay_alu instid0(VALU_DEP_2) | instskip(SKIP_3) | instid1(SALU_CYCLE_1)
	v_cmp_eq_u32_e64 s1, 0, v0
	s_and_b32 s0, vcc_lo, s0
	v_cmp_eq_f32_e32 vcc_lo, 0, v228
	s_and_b32 s0, s0, s1
	v_cndmask_b32_e64 v0, v0, 29, s0
	v_cmp_eq_f32_e64 s0, 0, v229
	s_delay_alu instid0(VALU_DEP_2) | instskip(SKIP_3) | instid1(SALU_CYCLE_1)
	v_cmp_eq_u32_e64 s1, 0, v0
	s_and_b32 s0, vcc_lo, s0
	v_cmp_eq_f32_e32 vcc_lo, 0, v230
	s_and_b32 s0, s0, s1
	v_cndmask_b32_e64 v0, v0, 30, s0
	v_cmp_eq_f32_e64 s0, 0, v231
	s_delay_alu instid0(VALU_DEP_2) | instskip(SKIP_3) | instid1(SALU_CYCLE_1)
	v_cmp_eq_u32_e64 s1, 0, v0
	s_and_b32 s0, vcc_lo, s0
	v_cmp_eq_f32_e32 vcc_lo, 0, v232
	s_and_b32 s0, s0, s1
	v_cndmask_b32_e64 v0, v0, 31, s0
	v_cmp_eq_f32_e64 s0, 0, v233
	s_delay_alu instid0(VALU_DEP_2) | instskip(SKIP_3) | instid1(SALU_CYCLE_1)
	v_cmp_eq_u32_e64 s1, 0, v0
	s_and_b32 s0, vcc_lo, s0
	v_cmp_eq_f32_e32 vcc_lo, 0, v234
	s_and_b32 s0, s0, s1
	v_cndmask_b32_e64 v0, v0, 32, s0
	v_cmp_eq_f32_e64 s0, 0, v235
	s_delay_alu instid0(VALU_DEP_2) | instskip(SKIP_3) | instid1(SALU_CYCLE_1)
	v_cmp_eq_u32_e64 s1, 0, v0
	s_and_b32 s0, vcc_lo, s0
	v_cmp_eq_f32_e32 vcc_lo, 0, v236
	s_and_b32 s0, s0, s1
	v_cndmask_b32_e64 v0, v0, 33, s0
	v_cmp_eq_f32_e64 s0, 0, v237
	s_delay_alu instid0(VALU_DEP_2) | instskip(SKIP_3) | instid1(SALU_CYCLE_1)
	v_cmp_eq_u32_e64 s1, 0, v0
	s_and_b32 s0, vcc_lo, s0
	v_cmp_eq_f32_e32 vcc_lo, 0, v238
	s_and_b32 s0, s0, s1
	v_cndmask_b32_e64 v0, v0, 34, s0
	v_cmp_eq_f32_e64 s0, 0, v239
	s_delay_alu instid0(VALU_DEP_2) | instskip(SKIP_3) | instid1(SALU_CYCLE_1)
	v_cmp_eq_u32_e64 s1, 0, v0
	s_and_b32 s0, vcc_lo, s0
	v_cmp_eq_f32_e32 vcc_lo, 0, v240
	s_and_b32 s0, s0, s1
	v_cndmask_b32_e64 v0, v0, 35, s0
	v_cmp_eq_f32_e64 s0, 0, v241
	s_delay_alu instid0(VALU_DEP_2) | instskip(SKIP_3) | instid1(SALU_CYCLE_1)
	v_cmp_eq_u32_e64 s1, 0, v0
	s_and_b32 s0, vcc_lo, s0
	v_cmp_eq_f32_e32 vcc_lo, 0, v242
	s_and_b32 s0, s0, s1
	v_cndmask_b32_e64 v0, v0, 36, s0
	v_cmp_eq_f32_e64 s0, 0, v243
	s_delay_alu instid0(VALU_DEP_2) | instskip(SKIP_3) | instid1(SALU_CYCLE_1)
	v_cmp_eq_u32_e64 s1, 0, v0
	s_and_b32 s0, vcc_lo, s0
	v_cmp_eq_f32_e32 vcc_lo, 0, v244
	s_and_b32 s0, s0, s1
	v_cndmask_b32_e64 v0, v0, 37, s0
	v_cmp_eq_f32_e64 s0, 0, v245
	s_delay_alu instid0(VALU_DEP_2) | instskip(SKIP_3) | instid1(SALU_CYCLE_1)
	v_cmp_eq_u32_e64 s1, 0, v0
	s_and_b32 s0, vcc_lo, s0
	v_cmp_eq_f32_e32 vcc_lo, 0, v246
	s_and_b32 s0, s0, s1
	v_cndmask_b32_e64 v0, v0, 38, s0
	v_cmp_eq_f32_e64 s0, 0, v247
	s_delay_alu instid0(VALU_DEP_2) | instskip(SKIP_3) | instid1(SALU_CYCLE_1)
	v_cmp_eq_u32_e64 s1, 0, v0
	s_and_b32 s0, vcc_lo, s0
	v_cmp_eq_f32_e32 vcc_lo, 0, v248
	s_and_b32 s0, s0, s1
	v_cndmask_b32_e64 v0, v0, 39, s0
	v_cmp_eq_f32_e64 s0, 0, v249
	s_delay_alu instid0(VALU_DEP_2) | instskip(SKIP_3) | instid1(SALU_CYCLE_1)
	v_cmp_eq_u32_e64 s1, 0, v0
	s_and_b32 s0, vcc_lo, s0
	v_cmp_eq_f32_e32 vcc_lo, 0, v250
	s_and_b32 s0, s0, s1
	v_cndmask_b32_e64 v0, v0, 40, s0
	v_cmp_eq_f32_e64 s0, 0, v251
	s_delay_alu instid0(VALU_DEP_2) | instskip(SKIP_3) | instid1(SALU_CYCLE_1)
	v_cmp_eq_u32_e64 s1, 0, v0
	s_and_b32 s0, vcc_lo, s0
	v_cmp_eq_f32_e32 vcc_lo, 0, v252
	s_and_b32 s0, s0, s1
	v_cndmask_b32_e64 v0, v0, 41, s0
	v_cmp_eq_f32_e64 s0, 0, v253
	s_delay_alu instid0(VALU_DEP_2) | instskip(SKIP_4) | instid1(SALU_CYCLE_1)
	v_cmp_eq_u32_e64 s1, 0, v0
	s_and_b32 s0, vcc_lo, s0
	s_wait_loadcnt 0x0
	v_cmp_eq_u32_e32 vcc_lo, 0, v1
	s_and_b32 s0, s0, s1
	v_cndmask_b32_e64 v0, v0, 42, s0
	s_delay_alu instid0(VALU_DEP_1) | instskip(SKIP_1) | instid1(SALU_CYCLE_1)
	v_cmp_ne_u32_e64 s0, 0, v0
	s_and_b32 s0, vcc_lo, s0
	s_and_b32 exec_lo, exec_lo, s0
	s_cbranch_execz .LBB83_380
; %bb.379:
	v_add_nc_u32_e32 v0, s3, v0
	global_store_b32 v[2:3], v0, off
.LBB83_380:
	s_wait_xcnt 0x0
	s_or_b32 exec_lo, exec_lo, s4
	s_clause 0x1
	global_store_b64 v[18:19], v[40:41], off
	global_store_b64 v[26:27], v[42:43], off
	scratch_load_b64 v[4:5], off, off offset:16 th:TH_LOAD_LU ; 8-byte Folded Reload
	v_pk_mul_f32 v[0:1], v[252:253], v[168:169] op_sel:[1,1] op_sel_hi:[0,1]
	v_cmp_lt_u32_e32 vcc_lo, 41, v254
	s_wait_loadcnt 0x0
	s_clause 0x1
	global_store_b64 v[4:5], v[32:33], off
	global_store_b64 v[14:15], v[74:75], off
	v_pk_fma_f32 v[2:3], v[252:253], v[168:169], v[0:1] op_sel_hi:[1,0,1]
	v_pk_fma_f32 v[0:1], v[252:253], v[168:169], v[0:1] neg_lo:[0,0,1] neg_hi:[0,0,1]
	scratch_load_b64 v[4:5], off, off offset:24 th:TH_LOAD_LU ; 8-byte Folded Reload
	v_dual_cndmask_b32 v1, v169, v3 :: v_dual_cndmask_b32 v0, v168, v0
	scratch_load_b64 v[2:3], off, off th:TH_LOAD_LU ; 8-byte Folded Reload
	s_wait_loadcnt 0x1
	global_store_b64 v[4:5], v[58:59], off
	s_wait_loadcnt 0x0
	global_store_b64 v[2:3], v[30:31], off
	scratch_load_b64 v[2:3], off, off offset:8 th:TH_LOAD_LU ; 8-byte Folded Reload
	s_wait_loadcnt 0x0
	s_clause 0x23
	global_store_b64 v[2:3], v[56:57], off
	global_store_b64 v[10:11], v[54:55], off
	;; [unrolled: 1-line block ×36, first 2 shown]
.LBB83_381:
	s_sendmsg sendmsg(MSG_DEALLOC_VGPRS)
	s_endpgm
	.section	.rodata,"a",@progbits
	.p2align	6, 0x0
	.amdhsa_kernel _ZN9rocsolver6v33100L23getf2_npvt_small_kernelILi42E19rocblas_complex_numIfEiiPS3_EEvT1_T3_lS5_lPT2_S5_S5_
		.amdhsa_group_segment_fixed_size 0
		.amdhsa_private_segment_fixed_size 44
		.amdhsa_kernarg_size 312
		.amdhsa_user_sgpr_count 2
		.amdhsa_user_sgpr_dispatch_ptr 0
		.amdhsa_user_sgpr_queue_ptr 0
		.amdhsa_user_sgpr_kernarg_segment_ptr 1
		.amdhsa_user_sgpr_dispatch_id 0
		.amdhsa_user_sgpr_kernarg_preload_length 0
		.amdhsa_user_sgpr_kernarg_preload_offset 0
		.amdhsa_user_sgpr_private_segment_size 0
		.amdhsa_wavefront_size32 1
		.amdhsa_uses_dynamic_stack 0
		.amdhsa_enable_private_segment 1
		.amdhsa_system_sgpr_workgroup_id_x 1
		.amdhsa_system_sgpr_workgroup_id_y 1
		.amdhsa_system_sgpr_workgroup_id_z 0
		.amdhsa_system_sgpr_workgroup_info 0
		.amdhsa_system_vgpr_workitem_id 1
		.amdhsa_next_free_vgpr 256
		.amdhsa_next_free_sgpr 15
		.amdhsa_named_barrier_count 0
		.amdhsa_reserve_vcc 1
		.amdhsa_float_round_mode_32 0
		.amdhsa_float_round_mode_16_64 0
		.amdhsa_float_denorm_mode_32 3
		.amdhsa_float_denorm_mode_16_64 3
		.amdhsa_fp16_overflow 0
		.amdhsa_memory_ordered 1
		.amdhsa_forward_progress 1
		.amdhsa_inst_pref_size 255
		.amdhsa_round_robin_scheduling 0
		.amdhsa_exception_fp_ieee_invalid_op 0
		.amdhsa_exception_fp_denorm_src 0
		.amdhsa_exception_fp_ieee_div_zero 0
		.amdhsa_exception_fp_ieee_overflow 0
		.amdhsa_exception_fp_ieee_underflow 0
		.amdhsa_exception_fp_ieee_inexact 0
		.amdhsa_exception_int_div_zero 0
	.end_amdhsa_kernel
	.section	.text._ZN9rocsolver6v33100L23getf2_npvt_small_kernelILi42E19rocblas_complex_numIfEiiPS3_EEvT1_T3_lS5_lPT2_S5_S5_,"axG",@progbits,_ZN9rocsolver6v33100L23getf2_npvt_small_kernelILi42E19rocblas_complex_numIfEiiPS3_EEvT1_T3_lS5_lPT2_S5_S5_,comdat
.Lfunc_end83:
	.size	_ZN9rocsolver6v33100L23getf2_npvt_small_kernelILi42E19rocblas_complex_numIfEiiPS3_EEvT1_T3_lS5_lPT2_S5_S5_, .Lfunc_end83-_ZN9rocsolver6v33100L23getf2_npvt_small_kernelILi42E19rocblas_complex_numIfEiiPS3_EEvT1_T3_lS5_lPT2_S5_S5_
                                        ; -- End function
	.set _ZN9rocsolver6v33100L23getf2_npvt_small_kernelILi42E19rocblas_complex_numIfEiiPS3_EEvT1_T3_lS5_lPT2_S5_S5_.num_vgpr, 256
	.set _ZN9rocsolver6v33100L23getf2_npvt_small_kernelILi42E19rocblas_complex_numIfEiiPS3_EEvT1_T3_lS5_lPT2_S5_S5_.num_agpr, 0
	.set _ZN9rocsolver6v33100L23getf2_npvt_small_kernelILi42E19rocblas_complex_numIfEiiPS3_EEvT1_T3_lS5_lPT2_S5_S5_.numbered_sgpr, 15
	.set _ZN9rocsolver6v33100L23getf2_npvt_small_kernelILi42E19rocblas_complex_numIfEiiPS3_EEvT1_T3_lS5_lPT2_S5_S5_.num_named_barrier, 0
	.set _ZN9rocsolver6v33100L23getf2_npvt_small_kernelILi42E19rocblas_complex_numIfEiiPS3_EEvT1_T3_lS5_lPT2_S5_S5_.private_seg_size, 44
	.set _ZN9rocsolver6v33100L23getf2_npvt_small_kernelILi42E19rocblas_complex_numIfEiiPS3_EEvT1_T3_lS5_lPT2_S5_S5_.uses_vcc, 1
	.set _ZN9rocsolver6v33100L23getf2_npvt_small_kernelILi42E19rocblas_complex_numIfEiiPS3_EEvT1_T3_lS5_lPT2_S5_S5_.uses_flat_scratch, 1
	.set _ZN9rocsolver6v33100L23getf2_npvt_small_kernelILi42E19rocblas_complex_numIfEiiPS3_EEvT1_T3_lS5_lPT2_S5_S5_.has_dyn_sized_stack, 0
	.set _ZN9rocsolver6v33100L23getf2_npvt_small_kernelILi42E19rocblas_complex_numIfEiiPS3_EEvT1_T3_lS5_lPT2_S5_S5_.has_recursion, 0
	.set _ZN9rocsolver6v33100L23getf2_npvt_small_kernelILi42E19rocblas_complex_numIfEiiPS3_EEvT1_T3_lS5_lPT2_S5_S5_.has_indirect_call, 0
	.section	.AMDGPU.csdata,"",@progbits
; Kernel info:
; codeLenInByte = 77992
; TotalNumSgprs: 17
; NumVgprs: 256
; ScratchSize: 44
; MemoryBound: 0
; FloatMode: 240
; IeeeMode: 1
; LDSByteSize: 0 bytes/workgroup (compile time only)
; SGPRBlocks: 0
; VGPRBlocks: 15
; NumSGPRsForWavesPerEU: 17
; NumVGPRsForWavesPerEU: 256
; NamedBarCnt: 0
; Occupancy: 4
; WaveLimiterHint : 0
; COMPUTE_PGM_RSRC2:SCRATCH_EN: 1
; COMPUTE_PGM_RSRC2:USER_SGPR: 2
; COMPUTE_PGM_RSRC2:TRAP_HANDLER: 0
; COMPUTE_PGM_RSRC2:TGID_X_EN: 1
; COMPUTE_PGM_RSRC2:TGID_Y_EN: 1
; COMPUTE_PGM_RSRC2:TGID_Z_EN: 0
; COMPUTE_PGM_RSRC2:TIDIG_COMP_CNT: 1
	.section	.text._ZN9rocsolver6v33100L18getf2_small_kernelILi43E19rocblas_complex_numIfEiiPS3_EEvT1_T3_lS5_lPS5_llPT2_S5_S5_S7_l,"axG",@progbits,_ZN9rocsolver6v33100L18getf2_small_kernelILi43E19rocblas_complex_numIfEiiPS3_EEvT1_T3_lS5_lPS5_llPT2_S5_S5_S7_l,comdat
	.globl	_ZN9rocsolver6v33100L18getf2_small_kernelILi43E19rocblas_complex_numIfEiiPS3_EEvT1_T3_lS5_lPS5_llPT2_S5_S5_S7_l ; -- Begin function _ZN9rocsolver6v33100L18getf2_small_kernelILi43E19rocblas_complex_numIfEiiPS3_EEvT1_T3_lS5_lPS5_llPT2_S5_S5_S7_l
	.p2align	8
	.type	_ZN9rocsolver6v33100L18getf2_small_kernelILi43E19rocblas_complex_numIfEiiPS3_EEvT1_T3_lS5_lPS5_llPT2_S5_S5_S7_l,@function
_ZN9rocsolver6v33100L18getf2_small_kernelILi43E19rocblas_complex_numIfEiiPS3_EEvT1_T3_lS5_lPS5_llPT2_S5_S5_S7_l: ; @_ZN9rocsolver6v33100L18getf2_small_kernelILi43E19rocblas_complex_numIfEiiPS3_EEvT1_T3_lS5_lPS5_llPT2_S5_S5_S7_l
; %bb.0:
	s_clause 0x1
	s_load_u16 s2, s[0:1], 0x6e
	s_load_b64 s[12:13], s[0:1], 0x48
	s_bfe_u32 s3, ttmp6, 0x40010
	s_bfe_u32 s4, ttmp6, 0x40004
	s_add_co_i32 s3, s3, 1
	s_getreg_b32 s5, hwreg(HW_REG_IB_STS2, 6, 4)
	s_mul_i32 s3, ttmp7, s3
	v_bfe_u32 v94, v0, 10, 10
	s_add_co_i32 s4, s4, s3
	s_cmp_eq_u32 s5, 0
	s_cselect_b32 s3, ttmp7, s4
	s_wait_kmcnt 0x0
	v_mad_u32 v2, s3, s2, v94
	s_mov_b32 s2, exec_lo
	s_delay_alu instid0(VALU_DEP_1)
	v_cmpx_gt_i32_e64 s12, v2
	s_cbranch_execz .LBB84_904
; %bb.1:
	s_load_b128 s[4:7], s[0:1], 0x50
	v_mov_b64_e32 v[4:5], 0
	v_ashrrev_i32_e32 v3, 31, v2
	s_wait_kmcnt 0x0
	s_cmp_eq_u64 s[4:5], 0
	s_cselect_b32 s12, -1, 0
	s_delay_alu instid0(SALU_CYCLE_1)
	s_and_b32 vcc_lo, exec_lo, s12
	s_cbranch_vccnz .LBB84_3
; %bb.2:
	v_mul_u64_e32 v[4:5], s[6:7], v[2:3]
	s_delay_alu instid0(VALU_DEP_1)
	v_lshl_add_u64 v[4:5], v[4:5], 2, s[4:5]
.LBB84_3:
	s_clause 0x2
	s_load_b32 s2, s[0:1], 0x18
	s_load_b128 s[16:19], s[0:1], 0x8
	s_load_b32 s14, s[0:1], 0x0
	v_and_b32_e32 v99, 0x3ff, v0
	s_load_b256 s[4:11], s[0:1], 0x20
	v_mov_b32_e32 v93, 0
	s_wait_kmcnt 0x0
	s_delay_alu instid0(VALU_DEP_2) | instskip(SKIP_2) | instid1(VALU_DEP_2)
	v_add3_u32 v6, s2, s2, v99
	s_ashr_i32 s3, s2, 31
	v_mul_u64_e32 v[0:1], s[4:5], v[2:3]
	v_add_nc_u32_e32 v8, s2, v6
	s_max_i32 s4, s14, 43
	s_cmp_lt_i32 s14, 2
	s_delay_alu instid0(VALU_DEP_1) | instskip(NEXT) | instid1(VALU_DEP_1)
	v_add_nc_u32_e32 v10, s2, v8
	v_add_nc_u32_e32 v12, s2, v10
	s_delay_alu instid0(VALU_DEP_1) | instskip(NEXT) | instid1(VALU_DEP_1)
	v_dual_add_nc_u32 v14, s2, v12 :: v_dual_ashrrev_i32 v7, 31, v6
	v_dual_ashrrev_i32 v9, 31, v8 :: v_dual_add_nc_u32 v16, s2, v14
	s_delay_alu instid0(VALU_DEP_1) | instskip(SKIP_1) | instid1(VALU_DEP_2)
	v_dual_add_nc_u32 v18, s2, v16 :: v_dual_ashrrev_i32 v11, 31, v10
	v_ashrrev_i32_e32 v13, 31, v12
	v_dual_ashrrev_i32 v17, 31, v16 :: v_dual_add_nc_u32 v20, s2, v18
	v_lshl_add_u64 v[0:1], v[0:1], 3, s[16:17]
	s_delay_alu instid0(VALU_DEP_2) | instskip(NEXT) | instid1(VALU_DEP_2)
	v_add_nc_u32_e32 v22, s2, v20
	v_lshl_add_u64 v[0:1], s[18:19], 3, v[0:1]
	s_delay_alu instid0(VALU_DEP_2) | instskip(NEXT) | instid1(VALU_DEP_2)
	v_add_nc_u32_e32 v24, s2, v22
	v_lshl_add_u64 v[10:11], v[10:11], 3, v[0:1]
	v_lshl_add_u64 v[12:13], v[12:13], 3, v[0:1]
	;; [unrolled: 1-line block ×4, first 2 shown]
	v_dual_add_nc_u32 v26, s2, v24 :: v_dual_ashrrev_i32 v19, 31, v18
	v_ashrrev_i32_e32 v21, 31, v20
	v_lshl_add_u64 v[52:53], v[16:17], 3, v[0:1]
	s_delay_alu instid0(VALU_DEP_3) | instskip(NEXT) | instid1(VALU_DEP_4)
	v_add_nc_u32_e32 v28, s2, v26
	v_lshl_add_u64 v[18:19], v[18:19], 3, v[0:1]
	s_delay_alu instid0(VALU_DEP_4) | instskip(NEXT) | instid1(VALU_DEP_3)
	v_lshl_add_u64 v[20:21], v[20:21], 3, v[0:1]
	v_dual_ashrrev_i32 v23, 31, v22 :: v_dual_add_nc_u32 v30, s2, v28
	v_ashrrev_i32_e32 v25, 31, v24
	s_delay_alu instid0(VALU_DEP_2) | instskip(SKIP_1) | instid1(VALU_DEP_2)
	v_dual_ashrrev_i32 v29, 31, v28 :: v_dual_add_nc_u32 v32, s2, v30
	v_dual_lshlrev_b32 v92, 3, v99 :: v_dual_ashrrev_i32 v27, 31, v26
	v_lshl_add_u64 v[28:29], v[28:29], 3, v[0:1]
	s_delay_alu instid0(VALU_DEP_3) | instskip(NEXT) | instid1(VALU_DEP_3)
	v_add_nc_u32_e32 v38, s2, v32
	v_add_nc_u64_e32 v[34:35], v[0:1], v[92:93]
	v_ashrrev_i32_e32 v33, 31, v32
	v_lshl_add_u64 v[26:27], v[26:27], 3, v[0:1]
	s_delay_alu instid0(VALU_DEP_4) | instskip(SKIP_3) | instid1(VALU_DEP_4)
	v_add_nc_u32_e32 v40, s2, v38
	v_ashrrev_i32_e32 v15, 31, v14
	v_ashrrev_i32_e32 v39, 31, v38
	v_lshl_add_u64 v[32:33], v[32:33], 3, v[0:1]
	v_add_nc_u32_e32 v44, s2, v40
	s_delay_alu instid0(VALU_DEP_4)
	v_lshl_add_u64 v[42:43], v[14:15], 3, v[0:1]
	s_clause 0x3
	global_load_b64 v[16:17], v[10:11], off
	global_load_b64 v[14:15], v[12:13], off
	;; [unrolled: 1-line block ×4, first 2 shown]
	v_add_nc_u32_e32 v46, s2, v44
	s_wait_xcnt 0x3
	v_lshl_add_u64 v[10:11], s[2:3], 3, v[34:35]
	s_clause 0x3
	global_load_b64 v[56:57], v[36:37], off
	global_load_b64 v[42:43], v[48:49], off
	;; [unrolled: 1-line block ×4, first 2 shown]
	v_dual_ashrrev_i32 v41, 31, v40 :: v_dual_add_nc_u32 v50, s2, v46
	s_wait_xcnt 0x4
	v_lshl_add_u64 v[52:53], v[22:23], 3, v[0:1]
	s_wait_xcnt 0x1
	v_lshl_add_u64 v[34:35], v[24:25], 3, v[0:1]
	s_clause 0x3
	global_load_b64 v[24:25], v[18:19], off
	global_load_b64 v[22:23], v[20:21], off
	;; [unrolled: 1-line block ×4, first 2 shown]
	v_dual_add_nc_u32 v54, s2, v50 :: v_dual_ashrrev_i32 v45, 31, v44
	s_delay_alu instid0(VALU_DEP_1) | instskip(NEXT) | instid1(VALU_DEP_1)
	v_add_nc_u32_e32 v58, s2, v54
	v_dual_add_nc_u32 v48, s2, v58 :: v_dual_ashrrev_i32 v59, 31, v58
	s_delay_alu instid0(VALU_DEP_1) | instskip(NEXT) | instid1(VALU_DEP_2)
	v_dual_add_nc_u32 v60, s2, v48 :: v_dual_ashrrev_i32 v51, 31, v50
	v_lshl_add_u64 v[58:59], v[58:59], 3, v[0:1]
	s_delay_alu instid0(VALU_DEP_2) | instskip(NEXT) | instid1(VALU_DEP_1)
	v_dual_add_nc_u32 v62, s2, v60 :: v_dual_ashrrev_i32 v61, 31, v60
	v_dual_ashrrev_i32 v49, 31, v48 :: v_dual_add_nc_u32 v64, s2, v62
	v_ashrrev_i32_e32 v31, 31, v30
	v_ashrrev_i32_e32 v55, 31, v54
	;; [unrolled: 1-line block ×3, first 2 shown]
	s_delay_alu instid0(VALU_DEP_4)
	v_lshl_add_u64 v[48:49], v[48:49], 3, v[0:1]
	v_add_nc_u32_e32 v66, s2, v64
	v_lshl_add_u64 v[30:31], v[30:31], 3, v[0:1]
	s_clause 0x3
	global_load_b64 v[36:37], v[26:27], off
	global_load_b64 v[34:35], v[28:29], off
	;; [unrolled: 1-line block ×4, first 2 shown]
	v_add_nc_u32_e32 v70, s2, v66
	s_wait_xcnt 0x1
	v_lshl_add_u64 v[30:31], v[38:39], 3, v[0:1]
	s_wait_xcnt 0x0
	v_lshl_add_u64 v[32:33], v[40:41], 3, v[0:1]
	v_lshl_add_u64 v[38:39], v[44:45], 3, v[0:1]
	v_dual_ashrrev_i32 v65, 31, v64 :: v_dual_add_nc_u32 v72, s2, v70
	v_ashrrev_i32_e32 v47, 31, v46
	v_lshl_add_u64 v[62:63], v[62:63], 3, v[0:1]
	v_ashrrev_i32_e32 v71, 31, v70
	s_delay_alu instid0(VALU_DEP_4)
	v_lshl_add_u64 v[64:65], v[64:65], 3, v[0:1]
	v_add_nc_u32_e32 v74, s2, v72
	v_lshl_add_u64 v[40:41], v[46:47], 3, v[0:1]
	s_clause 0x3
	global_load_b64 v[46:47], v[30:31], off
	global_load_b64 v[44:45], v[32:33], off
	;; [unrolled: 1-line block ×4, first 2 shown]
	s_wait_xcnt 0x1
	v_lshl_add_u64 v[38:39], v[50:51], 3, v[0:1]
	v_add_nc_u32_e32 v50, s2, v74
	s_wait_xcnt 0x0
	v_lshl_add_u64 v[40:41], v[54:55], 3, v[0:1]
	s_clause 0x3
	global_load_b64 v[54:55], v[38:39], off
	global_load_b64 v[52:53], v[40:41], off
	;; [unrolled: 1-line block ×4, first 2 shown]
	v_add_nc_u32_e32 v80, s2, v50
	s_wait_xcnt 0x0
	v_lshl_add_u64 v[48:49], v[60:61], 3, v[0:1]
	s_delay_alu instid0(VALU_DEP_2) | instskip(SKIP_2) | instid1(VALU_DEP_3)
	v_dual_ashrrev_i32 v75, 31, v74 :: v_dual_add_nc_u32 v58, s2, v80
	v_dual_ashrrev_i32 v73, 31, v72 :: v_dual_ashrrev_i32 v67, 31, v66
	v_ashrrev_i32_e32 v81, 31, v80
	v_lshl_add_u64 v[86:87], v[74:75], 3, v[0:1]
	s_delay_alu instid0(VALU_DEP_4) | instskip(NEXT) | instid1(VALU_DEP_4)
	v_add_nc_u32_e32 v60, s2, v58
	v_lshl_add_u64 v[72:73], v[72:73], 3, v[0:1]
	v_lshl_add_u64 v[76:77], v[66:67], 3, v[0:1]
	s_clause 0x3
	global_load_b64 v[68:69], v[48:49], off
	global_load_b64 v[66:67], v[62:63], off
	;; [unrolled: 1-line block ×4, first 2 shown]
	v_add_nc_u32_e32 v82, s2, v60
	s_wait_xcnt 0x1
	v_lshl_add_u64 v[64:65], v[70:71], 3, v[0:1]
	v_dual_ashrrev_i32 v51, 31, v50 :: v_dual_ashrrev_i32 v61, 31, v60
	s_delay_alu instid0(VALU_DEP_3) | instskip(NEXT) | instid1(VALU_DEP_2)
	v_add_nc_u32_e32 v62, s2, v82
	v_lshl_add_u64 v[88:89], v[50:51], 3, v[0:1]
	s_clause 0x3
	global_load_b64 v[76:77], v[64:65], off
	global_load_b64 v[74:75], v[72:73], off
	;; [unrolled: 1-line block ×4, first 2 shown]
	v_add_nc_u32_e32 v70, s2, v62
	s_wait_xcnt 0x2
	v_lshl_add_u64 v[72:73], v[80:81], 3, v[0:1]
	v_ashrrev_i32_e32 v63, 31, v62
	v_lshl_add_u64 v[100:101], v[60:61], 3, v[0:1]
	v_dual_add_nc_u32 v90, s2, v70 :: v_dual_ashrrev_i32 v71, 31, v70
	s_delay_alu instid0(VALU_DEP_1) | instskip(SKIP_1) | instid1(VALU_DEP_3)
	v_dual_add_nc_u32 v64, s2, v90 :: v_dual_ashrrev_i32 v91, 31, v90
	v_ashrrev_i32_e32 v59, 31, v58
	v_lshl_add_u64 v[104:105], v[70:71], 3, v[0:1]
	s_delay_alu instid0(VALU_DEP_3) | instskip(SKIP_1) | instid1(VALU_DEP_4)
	v_dual_add_nc_u32 v96, s2, v64 :: v_dual_ashrrev_i32 v83, 31, v82
	v_ashrrev_i32_e32 v65, 31, v64
	v_lshl_add_u64 v[80:81], v[58:59], 3, v[0:1]
	v_lshl_add_u64 v[106:107], v[90:91], 3, v[0:1]
	s_delay_alu instid0(VALU_DEP_4)
	v_dual_add_nc_u32 v102, s2, v96 :: v_dual_ashrrev_i32 v97, 31, v96
	v_lshl_add_u64 v[82:83], v[82:83], 3, v[0:1]
	s_clause 0x3
	global_load_b64 v[88:89], v[72:73], off
	global_load_b64 v[86:87], v[80:81], off
	;; [unrolled: 1-line block ×4, first 2 shown]
	s_wait_xcnt 0x1
	v_lshl_add_u64 v[100:101], v[62:63], 3, v[0:1]
	v_dual_add_nc_u32 v62, s2, v102 :: v_dual_ashrrev_i32 v103, 31, v102
	v_lshl_add_u64 v[108:109], v[64:65], 3, v[0:1]
	v_lshl_add_u64 v[96:97], v[96:97], 3, v[0:1]
	s_delay_alu instid0(VALU_DEP_3) | instskip(NEXT) | instid1(VALU_DEP_4)
	v_ashrrev_i32_e32 v63, 31, v62
	v_lshl_add_u64 v[102:103], v[102:103], 3, v[0:1]
	s_delay_alu instid0(VALU_DEP_2)
	v_lshl_add_u64 v[110:111], v[62:63], 3, v[0:1]
	s_clause 0x6
	global_load_b64 v[82:83], v[100:101], off
	global_load_b64 v[80:81], v[104:105], off
	;; [unrolled: 1-line block ×7, first 2 shown]
	s_wait_xcnt 0x2
	v_mul_lo_u32 v97, s4, v94
	s_load_b64 s[4:5], s[0:1], 0x40
	s_delay_alu instid0(VALU_DEP_1) | instskip(NEXT) | instid1(VALU_DEP_1)
	v_lshl_add_u32 v96, v97, 3, 0
	v_dual_lshlrev_b32 v97, 3, v97 :: v_dual_add_nc_u32 v92, v96, v92
	s_wait_loadcnt 0x24
	ds_store_b64 v92, v[84:85]
	s_wait_loadcnt_dscnt 0x0
	s_barrier_signal -1
	s_barrier_wait -1
	ds_load_b64 v[94:95], v96
	s_cbranch_scc1 .LBB84_6
; %bb.4:
	v_add3_u32 v92, v97, 0, 8
	v_mov_b32_e32 v93, 0
	s_wait_xcnt 0x0
	s_mov_b32 s0, 1
.LBB84_5:                               ; =>This Inner Loop Header: Depth=1
	ds_load_b64 v[100:101], v92
	s_wait_dscnt 0x1
	v_cmp_gt_f32_e32 vcc_lo, 0, v94
	v_cndmask_b32_e64 v102, v94, -v94, vcc_lo
	v_cmp_gt_f32_e32 vcc_lo, 0, v95
	v_cndmask_b32_e64 v104, v95, -v95, vcc_lo
	s_wait_dscnt 0x0
	v_cmp_gt_f32_e32 vcc_lo, 0, v100
	v_cndmask_b32_e64 v103, v100, -v100, vcc_lo
	v_cmp_gt_f32_e32 vcc_lo, 0, v101
	v_cndmask_b32_e64 v105, v101, -v101, vcc_lo
	s_delay_alu instid0(VALU_DEP_1) | instskip(NEXT) | instid1(VALU_DEP_1)
	v_pk_add_f32 v[102:103], v[102:103], v[104:105]
	v_cmp_lt_f32_e32 vcc_lo, v102, v103
	v_dual_cndmask_b32 v95, v95, v101 :: v_dual_add_nc_u32 v92, 8, v92
	v_cndmask_b32_e32 v94, v94, v100, vcc_lo
	v_cndmask_b32_e64 v93, v93, s0, vcc_lo
	s_add_co_i32 s0, s0, 1
	s_delay_alu instid0(SALU_CYCLE_1)
	s_cmp_eq_u32 s14, s0
	s_cbranch_scc0 .LBB84_5
.LBB84_6:
	s_wait_dscnt 0x0
	v_cmp_neq_f32_e32 vcc_lo, 0, v94
	s_wait_xcnt 0x0
	v_cmp_neq_f32_e64 s0, 0, v95
	v_dual_mov_b32 v98, 1 :: v_dual_mov_b32 v101, 1
	s_or_b32 s1, vcc_lo, s0
	s_delay_alu instid0(SALU_CYCLE_1)
	s_and_saveexec_b32 s0, s1
	s_cbranch_execz .LBB84_12
; %bb.7:
	v_cmp_ngt_f32_e64 s1, |v94|, |v95|
	s_and_saveexec_b32 s15, s1
	s_delay_alu instid0(SALU_CYCLE_1)
	s_xor_b32 s1, exec_lo, s15
	s_cbranch_execz .LBB84_9
; %bb.8:
	v_div_scale_f32 v92, null, v95, v95, v94
	v_div_scale_f32 v101, vcc_lo, v94, v95, v94
	s_delay_alu instid0(VALU_DEP_2) | instskip(SKIP_1) | instid1(TRANS32_DEP_1)
	v_rcp_f32_e32 v98, v92
	v_nop
	v_fma_f32 v100, -v92, v98, 1.0
	s_delay_alu instid0(VALU_DEP_1) | instskip(NEXT) | instid1(VALU_DEP_1)
	v_fmac_f32_e32 v98, v100, v98
	v_mul_f32_e32 v100, v101, v98
	s_delay_alu instid0(VALU_DEP_1) | instskip(NEXT) | instid1(VALU_DEP_1)
	v_fma_f32 v102, -v92, v100, v101
	v_fmac_f32_e32 v100, v102, v98
	s_delay_alu instid0(VALU_DEP_1) | instskip(NEXT) | instid1(VALU_DEP_1)
	v_fma_f32 v92, -v92, v100, v101
	v_div_fmas_f32 v92, v92, v98, v100
	s_delay_alu instid0(VALU_DEP_1) | instskip(NEXT) | instid1(VALU_DEP_1)
	v_div_fixup_f32 v92, v92, v95, v94
	v_fmac_f32_e32 v95, v94, v92
	s_delay_alu instid0(VALU_DEP_1) | instskip(SKIP_1) | instid1(VALU_DEP_2)
	v_div_scale_f32 v94, null, v95, v95, 1.0
	v_div_scale_f32 v101, vcc_lo, 1.0, v95, 1.0
	v_rcp_f32_e32 v98, v94
	v_nop
	s_delay_alu instid0(TRANS32_DEP_1) | instskip(NEXT) | instid1(VALU_DEP_1)
	v_fma_f32 v100, -v94, v98, 1.0
	v_fmac_f32_e32 v98, v100, v98
	s_delay_alu instid0(VALU_DEP_1) | instskip(NEXT) | instid1(VALU_DEP_1)
	v_mul_f32_e32 v100, v101, v98
	v_fma_f32 v102, -v94, v100, v101
	s_delay_alu instid0(VALU_DEP_1) | instskip(NEXT) | instid1(VALU_DEP_1)
	v_fmac_f32_e32 v100, v102, v98
	v_fma_f32 v94, -v94, v100, v101
	s_delay_alu instid0(VALU_DEP_1) | instskip(NEXT) | instid1(VALU_DEP_1)
	v_div_fmas_f32 v94, v94, v98, v100
	v_div_fixup_f32 v95, v94, v95, 1.0
	s_delay_alu instid0(VALU_DEP_1)
	v_mul_f32_e32 v94, v92, v95
	v_xor_b32_e32 v95, 0x80000000, v95
.LBB84_9:
	s_and_not1_saveexec_b32 s1, s1
	s_cbranch_execz .LBB84_11
; %bb.10:
	s_delay_alu instid0(VALU_DEP_1) | instskip(SKIP_1) | instid1(VALU_DEP_2)
	v_div_scale_f32 v92, null, v94, v94, v95
	v_div_scale_f32 v101, vcc_lo, v95, v94, v95
	v_rcp_f32_e32 v98, v92
	v_nop
	s_delay_alu instid0(TRANS32_DEP_1) | instskip(NEXT) | instid1(VALU_DEP_1)
	v_fma_f32 v100, -v92, v98, 1.0
	v_fmac_f32_e32 v98, v100, v98
	s_delay_alu instid0(VALU_DEP_1) | instskip(NEXT) | instid1(VALU_DEP_1)
	v_mul_f32_e32 v100, v101, v98
	v_fma_f32 v102, -v92, v100, v101
	s_delay_alu instid0(VALU_DEP_1) | instskip(NEXT) | instid1(VALU_DEP_1)
	v_fmac_f32_e32 v100, v102, v98
	v_fma_f32 v92, -v92, v100, v101
	s_delay_alu instid0(VALU_DEP_1) | instskip(NEXT) | instid1(VALU_DEP_1)
	v_div_fmas_f32 v92, v92, v98, v100
	v_div_fixup_f32 v92, v92, v94, v95
	s_delay_alu instid0(VALU_DEP_1) | instskip(NEXT) | instid1(VALU_DEP_1)
	v_fmac_f32_e32 v94, v95, v92
	v_div_scale_f32 v95, null, v94, v94, 1.0
	s_delay_alu instid0(VALU_DEP_1) | instskip(SKIP_1) | instid1(TRANS32_DEP_1)
	v_rcp_f32_e32 v98, v95
	v_nop
	v_fma_f32 v100, -v95, v98, 1.0
	s_delay_alu instid0(VALU_DEP_1) | instskip(SKIP_1) | instid1(VALU_DEP_1)
	v_fmac_f32_e32 v98, v100, v98
	v_div_scale_f32 v100, vcc_lo, 1.0, v94, 1.0
	v_mul_f32_e32 v101, v100, v98
	s_delay_alu instid0(VALU_DEP_1) | instskip(NEXT) | instid1(VALU_DEP_1)
	v_fma_f32 v102, -v95, v101, v100
	v_fmac_f32_e32 v101, v102, v98
	s_delay_alu instid0(VALU_DEP_1) | instskip(NEXT) | instid1(VALU_DEP_1)
	v_fma_f32 v95, -v95, v101, v100
	v_div_fmas_f32 v95, v95, v98, v101
	s_delay_alu instid0(VALU_DEP_1) | instskip(NEXT) | instid1(VALU_DEP_1)
	v_div_fixup_f32 v94, v95, v94, 1.0
	v_mul_f32_e64 v95, v92, -v94
.LBB84_11:
	s_or_b32 exec_lo, exec_lo, s1
	v_dual_mov_b32 v101, 0 :: v_dual_mov_b32 v98, 2
.LBB84_12:
	s_or_b32 exec_lo, exec_lo, s0
	s_delay_alu instid0(SALU_CYCLE_1)
	s_mov_b32 s0, exec_lo
	v_cmpx_ne_u32_e64 v99, v93
	s_xor_b32 s0, exec_lo, s0
	s_cbranch_execz .LBB84_18
; %bb.13:
	s_mov_b32 s1, exec_lo
	v_cmpx_eq_u32_e32 0, v99
	s_cbranch_execz .LBB84_17
; %bb.14:
	v_cmp_ne_u32_e32 vcc_lo, 0, v93
	s_xor_b32 s15, s12, -1
	s_delay_alu instid0(SALU_CYCLE_1) | instskip(NEXT) | instid1(SALU_CYCLE_1)
	s_and_b32 s16, s15, vcc_lo
	s_and_saveexec_b32 s15, s16
	s_cbranch_execz .LBB84_16
; %bb.15:
	v_dual_mov_b32 v102, v93 :: v_dual_ashrrev_i32 v103, 31, v93
	s_delay_alu instid0(VALU_DEP_1)
	v_lshl_add_u64 v[102:103], v[102:103], 2, v[4:5]
	s_clause 0x1
	global_load_b32 v92, v[102:103], off
	global_load_b32 v99, v[4:5], off
	s_wait_loadcnt 0x1
	global_store_b32 v[4:5], v92, off
	s_wait_loadcnt 0x0
	global_store_b32 v[102:103], v99, off
.LBB84_16:
	s_wait_xcnt 0x0
	s_or_b32 exec_lo, exec_lo, s15
	v_mov_b32_e32 v99, v93
.LBB84_17:
	s_or_b32 exec_lo, exec_lo, s1
.LBB84_18:
	s_or_saveexec_b32 s0, s0
	s_delay_alu instid0(VALU_DEP_1)
	v_mov_b32_e32 v100, v99
	s_xor_b32 exec_lo, exec_lo, s0
	s_cbranch_execz .LBB84_20
; %bb.19:
	v_mov_b32_e32 v100, 0
	ds_store_2addr_b64 v96, v[78:79], v[56:57] offset0:1 offset1:2
	ds_store_2addr_b64 v96, v[42:43], v[16:17] offset0:3 offset1:4
	;; [unrolled: 1-line block ×21, first 2 shown]
.LBB84_20:
	s_or_b32 exec_lo, exec_lo, s0
	s_delay_alu instid0(SALU_CYCLE_1)
	s_mov_b32 s0, exec_lo
	s_wait_storecnt_dscnt 0x0
	s_barrier_signal -1
	s_barrier_wait -1
	v_cmpx_lt_i32_e32 0, v100
	s_cbranch_execz .LBB84_22
; %bb.21:
	v_pk_mul_f32 v[102:103], v[94:95], v[84:85] op_sel:[1,1] op_sel_hi:[0,1]
	s_delay_alu instid0(VALU_DEP_1)
	v_pk_fma_f32 v[92:93], v[94:95], v[84:85], v[102:103] op_sel_hi:[1,0,1] neg_lo:[0,0,1] neg_hi:[0,0,1]
	v_pk_fma_f32 v[94:95], v[94:95], v[84:85], v[102:103] op_sel_hi:[1,0,1]
	ds_load_2addr_b64 v[102:105], v96 offset0:1 offset1:2
	v_dual_mov_b32 v84, v92 :: v_dual_mov_b32 v85, v95
	s_wait_dscnt 0x0
	v_pk_mul_f32 v[106:107], v[102:103], v[94:95] op_sel:[0,1]
	s_delay_alu instid0(VALU_DEP_1) | instskip(SKIP_1) | instid1(VALU_DEP_1)
	v_pk_fma_f32 v[108:109], v[102:103], v[92:93], v[106:107] op_sel:[0,0,1] op_sel_hi:[1,1,0] neg_lo:[0,0,1] neg_hi:[0,0,1]
	v_pk_fma_f32 v[102:103], v[102:103], v[92:93], v[106:107] op_sel:[0,0,1] op_sel_hi:[1,0,0]
	v_mov_b32_e32 v109, v103
	v_pk_mul_f32 v[102:103], v[104:105], v[94:95] op_sel:[0,1]
	s_delay_alu instid0(VALU_DEP_1) | instskip(SKIP_1) | instid1(VALU_DEP_1)
	v_pk_fma_f32 v[106:107], v[104:105], v[92:93], v[102:103] op_sel:[0,0,1] op_sel_hi:[1,1,0] neg_lo:[0,0,1] neg_hi:[0,0,1]
	v_pk_fma_f32 v[102:103], v[104:105], v[92:93], v[102:103] op_sel:[0,0,1] op_sel_hi:[1,0,0]
	v_mov_b32_e32 v107, v103
	ds_load_2addr_b64 v[102:105], v96 offset0:3 offset1:4
	v_pk_add_f32 v[78:79], v[78:79], v[108:109] neg_lo:[0,1] neg_hi:[0,1]
	v_pk_add_f32 v[56:57], v[56:57], v[106:107] neg_lo:[0,1] neg_hi:[0,1]
	s_wait_dscnt 0x0
	v_pk_mul_f32 v[106:107], v[102:103], v[94:95] op_sel:[0,1]
	s_delay_alu instid0(VALU_DEP_1) | instskip(SKIP_2) | instid1(VALU_DEP_2)
	v_pk_fma_f32 v[108:109], v[102:103], v[92:93], v[106:107] op_sel:[0,0,1] op_sel_hi:[1,1,0] neg_lo:[0,0,1] neg_hi:[0,0,1]
	v_pk_fma_f32 v[102:103], v[102:103], v[92:93], v[106:107] op_sel:[0,0,1] op_sel_hi:[1,0,0]
	v_dual_mul_f32 v106, v105, v95 :: v_dual_mov_b32 v102, v105
	v_dual_mov_b32 v109, v103 :: v_dual_mov_b32 v103, v104
	s_delay_alu instid0(VALU_DEP_2) | instskip(SKIP_1) | instid1(VALU_DEP_3)
	v_pk_fma_f32 v[106:107], v[104:105], v[84:85], v[106:107] op_sel_hi:[1,1,0] neg_lo:[0,0,1] neg_hi:[0,0,1]
	v_mul_f32_e32 v104, v105, v92
	v_pk_add_f32 v[42:43], v[42:43], v[108:109] neg_lo:[0,1] neg_hi:[0,1]
	s_delay_alu instid0(VALU_DEP_2) | instskip(NEXT) | instid1(VALU_DEP_1)
	v_pk_fma_f32 v[102:103], v[102:103], v[84:85], v[104:105] op_sel_hi:[1,1,0]
	v_mov_b32_e32 v107, v103
	ds_load_2addr_b64 v[102:105], v96 offset0:5 offset1:6
	v_pk_add_f32 v[16:17], v[16:17], v[106:107] neg_lo:[0,1] neg_hi:[0,1]
	s_wait_dscnt 0x0
	v_pk_mul_f32 v[106:107], v[102:103], v[94:95] op_sel:[0,1]
	s_delay_alu instid0(VALU_DEP_1) | instskip(SKIP_1) | instid1(VALU_DEP_1)
	v_pk_fma_f32 v[108:109], v[102:103], v[92:93], v[106:107] op_sel:[0,0,1] op_sel_hi:[1,1,0] neg_lo:[0,0,1] neg_hi:[0,0,1]
	v_pk_fma_f32 v[102:103], v[102:103], v[92:93], v[106:107] op_sel:[0,0,1] op_sel_hi:[1,0,0]
	v_mov_b32_e32 v109, v103
	v_pk_mul_f32 v[102:103], v[104:105], v[94:95] op_sel:[0,1]
	s_delay_alu instid0(VALU_DEP_1) | instskip(SKIP_1) | instid1(VALU_DEP_1)
	v_pk_fma_f32 v[106:107], v[104:105], v[92:93], v[102:103] op_sel:[0,0,1] op_sel_hi:[1,1,0] neg_lo:[0,0,1] neg_hi:[0,0,1]
	v_pk_fma_f32 v[102:103], v[104:105], v[92:93], v[102:103] op_sel:[0,0,1] op_sel_hi:[1,0,0]
	v_mov_b32_e32 v107, v103
	ds_load_2addr_b64 v[102:105], v96 offset0:7 offset1:8
	v_pk_add_f32 v[14:15], v[14:15], v[108:109] neg_lo:[0,1] neg_hi:[0,1]
	v_pk_add_f32 v[8:9], v[8:9], v[106:107] neg_lo:[0,1] neg_hi:[0,1]
	s_wait_dscnt 0x0
	v_pk_mul_f32 v[106:107], v[102:103], v[94:95] op_sel:[0,1]
	s_delay_alu instid0(VALU_DEP_1) | instskip(SKIP_1) | instid1(VALU_DEP_1)
	v_pk_fma_f32 v[108:109], v[102:103], v[92:93], v[106:107] op_sel:[0,0,1] op_sel_hi:[1,1,0] neg_lo:[0,0,1] neg_hi:[0,0,1]
	v_pk_fma_f32 v[102:103], v[102:103], v[92:93], v[106:107] op_sel:[0,0,1] op_sel_hi:[1,0,0]
	v_mov_b32_e32 v109, v103
	v_pk_mul_f32 v[102:103], v[104:105], v[94:95] op_sel:[0,1]
	s_delay_alu instid0(VALU_DEP_1) | instskip(SKIP_1) | instid1(VALU_DEP_1)
	v_pk_fma_f32 v[106:107], v[104:105], v[92:93], v[102:103] op_sel:[0,0,1] op_sel_hi:[1,1,0] neg_lo:[0,0,1] neg_hi:[0,0,1]
	v_pk_fma_f32 v[102:103], v[104:105], v[92:93], v[102:103] op_sel:[0,0,1] op_sel_hi:[1,0,0]
	v_mov_b32_e32 v107, v103
	ds_load_2addr_b64 v[102:105], v96 offset0:9 offset1:10
	v_pk_add_f32 v[6:7], v[6:7], v[108:109] neg_lo:[0,1] neg_hi:[0,1]
	v_pk_add_f32 v[24:25], v[24:25], v[106:107] neg_lo:[0,1] neg_hi:[0,1]
	s_wait_dscnt 0x0
	v_dual_mul_f32 v106, v103, v95 :: v_dual_mul_f32 v108, v103, v92
	s_delay_alu instid0(VALU_DEP_1) | instskip(NEXT) | instid1(VALU_DEP_2)
	v_pk_fma_f32 v[106:107], v[102:103], v[84:85], v[106:107] op_sel_hi:[1,1,0] neg_lo:[0,0,1] neg_hi:[0,0,1]
	v_pk_fma_f32 v[102:103], v[102:103], v[84:85], v[108:109] op_sel:[1,0,0] op_sel_hi:[0,1,0]
	s_delay_alu instid0(VALU_DEP_1) | instskip(SKIP_1) | instid1(VALU_DEP_2)
	v_mov_b32_e32 v107, v103
	v_pk_mul_f32 v[102:103], v[104:105], v[94:95] op_sel:[0,1]
	v_pk_add_f32 v[22:23], v[22:23], v[106:107] neg_lo:[0,1] neg_hi:[0,1]
	s_delay_alu instid0(VALU_DEP_2) | instskip(SKIP_1) | instid1(VALU_DEP_1)
	v_pk_fma_f32 v[106:107], v[104:105], v[92:93], v[102:103] op_sel:[0,0,1] op_sel_hi:[1,1,0] neg_lo:[0,0,1] neg_hi:[0,0,1]
	v_pk_fma_f32 v[102:103], v[104:105], v[92:93], v[102:103] op_sel:[0,0,1] op_sel_hi:[1,0,0]
	v_mov_b32_e32 v107, v103
	ds_load_2addr_b64 v[102:105], v96 offset0:11 offset1:12
	v_pk_add_f32 v[12:13], v[12:13], v[106:107] neg_lo:[0,1] neg_hi:[0,1]
	s_wait_dscnt 0x0
	v_pk_mul_f32 v[106:107], v[102:103], v[94:95] op_sel:[0,1]
	s_delay_alu instid0(VALU_DEP_1) | instskip(SKIP_1) | instid1(VALU_DEP_1)
	v_pk_fma_f32 v[108:109], v[102:103], v[92:93], v[106:107] op_sel:[0,0,1] op_sel_hi:[1,1,0] neg_lo:[0,0,1] neg_hi:[0,0,1]
	v_pk_fma_f32 v[102:103], v[102:103], v[92:93], v[106:107] op_sel:[0,0,1] op_sel_hi:[1,0,0]
	v_mov_b32_e32 v109, v103
	v_pk_mul_f32 v[102:103], v[104:105], v[94:95] op_sel:[0,1]
	s_delay_alu instid0(VALU_DEP_2) | instskip(NEXT) | instid1(VALU_DEP_2)
	v_pk_add_f32 v[10:11], v[10:11], v[108:109] neg_lo:[0,1] neg_hi:[0,1]
	v_pk_fma_f32 v[106:107], v[104:105], v[92:93], v[102:103] op_sel:[0,0,1] op_sel_hi:[1,1,0] neg_lo:[0,0,1] neg_hi:[0,0,1]
	v_pk_fma_f32 v[102:103], v[104:105], v[92:93], v[102:103] op_sel:[0,0,1] op_sel_hi:[1,0,0]
	s_delay_alu instid0(VALU_DEP_1) | instskip(SKIP_4) | instid1(VALU_DEP_1)
	v_mov_b32_e32 v107, v103
	ds_load_2addr_b64 v[102:105], v96 offset0:13 offset1:14
	v_pk_add_f32 v[36:37], v[36:37], v[106:107] neg_lo:[0,1] neg_hi:[0,1]
	s_wait_dscnt 0x0
	v_pk_mul_f32 v[106:107], v[102:103], v[94:95] op_sel:[0,1]
	v_pk_fma_f32 v[108:109], v[102:103], v[92:93], v[106:107] op_sel:[0,0,1] op_sel_hi:[1,1,0] neg_lo:[0,0,1] neg_hi:[0,0,1]
	v_pk_fma_f32 v[102:103], v[102:103], v[92:93], v[106:107] op_sel:[0,0,1] op_sel_hi:[1,0,0]
	v_dual_mul_f32 v106, v105, v95 :: v_dual_mov_b32 v102, v105
	s_delay_alu instid0(VALU_DEP_2) | instskip(NEXT) | instid1(VALU_DEP_2)
	v_dual_mov_b32 v109, v103 :: v_dual_mov_b32 v103, v104
	v_pk_fma_f32 v[106:107], v[104:105], v[84:85], v[106:107] op_sel_hi:[1,1,0] neg_lo:[0,0,1] neg_hi:[0,0,1]
	v_mul_f32_e32 v104, v105, v92
	s_delay_alu instid0(VALU_DEP_3) | instskip(NEXT) | instid1(VALU_DEP_2)
	v_pk_add_f32 v[34:35], v[34:35], v[108:109] neg_lo:[0,1] neg_hi:[0,1]
	v_pk_fma_f32 v[102:103], v[102:103], v[84:85], v[104:105] op_sel_hi:[1,1,0]
	s_delay_alu instid0(VALU_DEP_1) | instskip(SKIP_4) | instid1(VALU_DEP_1)
	v_mov_b32_e32 v107, v103
	ds_load_2addr_b64 v[102:105], v96 offset0:15 offset1:16
	v_pk_add_f32 v[20:21], v[20:21], v[106:107] neg_lo:[0,1] neg_hi:[0,1]
	s_wait_dscnt 0x0
	v_pk_mul_f32 v[106:107], v[102:103], v[94:95] op_sel:[0,1]
	v_pk_fma_f32 v[108:109], v[102:103], v[92:93], v[106:107] op_sel:[0,0,1] op_sel_hi:[1,1,0] neg_lo:[0,0,1] neg_hi:[0,0,1]
	v_pk_fma_f32 v[102:103], v[102:103], v[92:93], v[106:107] op_sel:[0,0,1] op_sel_hi:[1,0,0]
	s_delay_alu instid0(VALU_DEP_1) | instskip(SKIP_1) | instid1(VALU_DEP_1)
	v_mov_b32_e32 v109, v103
	v_pk_mul_f32 v[102:103], v[104:105], v[94:95] op_sel:[0,1]
	v_pk_fma_f32 v[106:107], v[104:105], v[92:93], v[102:103] op_sel:[0,0,1] op_sel_hi:[1,1,0] neg_lo:[0,0,1] neg_hi:[0,0,1]
	v_pk_fma_f32 v[102:103], v[104:105], v[92:93], v[102:103] op_sel:[0,0,1] op_sel_hi:[1,0,0]
	s_delay_alu instid0(VALU_DEP_1)
	v_mov_b32_e32 v107, v103
	ds_load_2addr_b64 v[102:105], v96 offset0:17 offset1:18
	v_pk_add_f32 v[18:19], v[18:19], v[108:109] neg_lo:[0,1] neg_hi:[0,1]
	v_pk_add_f32 v[46:47], v[46:47], v[106:107] neg_lo:[0,1] neg_hi:[0,1]
	s_wait_dscnt 0x0
	v_pk_mul_f32 v[106:107], v[102:103], v[94:95] op_sel:[0,1]
	s_delay_alu instid0(VALU_DEP_1) | instskip(SKIP_1) | instid1(VALU_DEP_1)
	v_pk_fma_f32 v[108:109], v[102:103], v[92:93], v[106:107] op_sel:[0,0,1] op_sel_hi:[1,1,0] neg_lo:[0,0,1] neg_hi:[0,0,1]
	v_pk_fma_f32 v[102:103], v[102:103], v[92:93], v[106:107] op_sel:[0,0,1] op_sel_hi:[1,0,0]
	v_mov_b32_e32 v109, v103
	v_pk_mul_f32 v[102:103], v[104:105], v[94:95] op_sel:[0,1]
	s_delay_alu instid0(VALU_DEP_1) | instskip(SKIP_1) | instid1(VALU_DEP_1)
	v_pk_fma_f32 v[106:107], v[104:105], v[92:93], v[102:103] op_sel:[0,0,1] op_sel_hi:[1,1,0] neg_lo:[0,0,1] neg_hi:[0,0,1]
	v_pk_fma_f32 v[102:103], v[104:105], v[92:93], v[102:103] op_sel:[0,0,1] op_sel_hi:[1,0,0]
	v_mov_b32_e32 v107, v103
	ds_load_2addr_b64 v[102:105], v96 offset0:19 offset1:20
	v_pk_add_f32 v[44:45], v[44:45], v[108:109] neg_lo:[0,1] neg_hi:[0,1]
	v_pk_add_f32 v[28:29], v[28:29], v[106:107] neg_lo:[0,1] neg_hi:[0,1]
	s_wait_dscnt 0x0
	v_dual_mul_f32 v106, v103, v95 :: v_dual_mul_f32 v108, v103, v92
	s_delay_alu instid0(VALU_DEP_1) | instskip(NEXT) | instid1(VALU_DEP_2)
	v_pk_fma_f32 v[106:107], v[102:103], v[84:85], v[106:107] op_sel_hi:[1,1,0] neg_lo:[0,0,1] neg_hi:[0,0,1]
	v_pk_fma_f32 v[102:103], v[102:103], v[84:85], v[108:109] op_sel:[1,0,0] op_sel_hi:[0,1,0]
	s_delay_alu instid0(VALU_DEP_1) | instskip(SKIP_1) | instid1(VALU_DEP_2)
	v_mov_b32_e32 v107, v103
	v_pk_mul_f32 v[102:103], v[104:105], v[94:95] op_sel:[0,1]
	v_pk_add_f32 v[26:27], v[26:27], v[106:107] neg_lo:[0,1] neg_hi:[0,1]
	s_delay_alu instid0(VALU_DEP_2) | instskip(SKIP_1) | instid1(VALU_DEP_1)
	v_pk_fma_f32 v[106:107], v[104:105], v[92:93], v[102:103] op_sel:[0,0,1] op_sel_hi:[1,1,0] neg_lo:[0,0,1] neg_hi:[0,0,1]
	v_pk_fma_f32 v[102:103], v[104:105], v[92:93], v[102:103] op_sel:[0,0,1] op_sel_hi:[1,0,0]
	v_mov_b32_e32 v107, v103
	ds_load_2addr_b64 v[102:105], v96 offset0:21 offset1:22
	v_pk_add_f32 v[54:55], v[54:55], v[106:107] neg_lo:[0,1] neg_hi:[0,1]
	s_wait_dscnt 0x0
	v_pk_mul_f32 v[106:107], v[102:103], v[94:95] op_sel:[0,1]
	s_delay_alu instid0(VALU_DEP_1) | instskip(SKIP_1) | instid1(VALU_DEP_1)
	v_pk_fma_f32 v[108:109], v[102:103], v[92:93], v[106:107] op_sel:[0,0,1] op_sel_hi:[1,1,0] neg_lo:[0,0,1] neg_hi:[0,0,1]
	v_pk_fma_f32 v[102:103], v[102:103], v[92:93], v[106:107] op_sel:[0,0,1] op_sel_hi:[1,0,0]
	v_mov_b32_e32 v109, v103
	v_pk_mul_f32 v[102:103], v[104:105], v[94:95] op_sel:[0,1]
	s_delay_alu instid0(VALU_DEP_2) | instskip(NEXT) | instid1(VALU_DEP_2)
	v_pk_add_f32 v[52:53], v[52:53], v[108:109] neg_lo:[0,1] neg_hi:[0,1]
	v_pk_fma_f32 v[106:107], v[104:105], v[92:93], v[102:103] op_sel:[0,0,1] op_sel_hi:[1,1,0] neg_lo:[0,0,1] neg_hi:[0,0,1]
	v_pk_fma_f32 v[102:103], v[104:105], v[92:93], v[102:103] op_sel:[0,0,1] op_sel_hi:[1,0,0]
	s_delay_alu instid0(VALU_DEP_1) | instskip(SKIP_4) | instid1(VALU_DEP_1)
	v_mov_b32_e32 v107, v103
	ds_load_2addr_b64 v[102:105], v96 offset0:23 offset1:24
	v_pk_add_f32 v[32:33], v[32:33], v[106:107] neg_lo:[0,1] neg_hi:[0,1]
	s_wait_dscnt 0x0
	v_pk_mul_f32 v[106:107], v[102:103], v[94:95] op_sel:[0,1]
	v_pk_fma_f32 v[108:109], v[102:103], v[92:93], v[106:107] op_sel:[0,0,1] op_sel_hi:[1,1,0] neg_lo:[0,0,1] neg_hi:[0,0,1]
	v_pk_fma_f32 v[102:103], v[102:103], v[92:93], v[106:107] op_sel:[0,0,1] op_sel_hi:[1,0,0]
	v_dual_mul_f32 v106, v105, v95 :: v_dual_mov_b32 v102, v105
	s_delay_alu instid0(VALU_DEP_2) | instskip(NEXT) | instid1(VALU_DEP_2)
	v_dual_mov_b32 v109, v103 :: v_dual_mov_b32 v103, v104
	v_pk_fma_f32 v[106:107], v[104:105], v[84:85], v[106:107] op_sel_hi:[1,1,0] neg_lo:[0,0,1] neg_hi:[0,0,1]
	v_mul_f32_e32 v104, v105, v92
	s_delay_alu instid0(VALU_DEP_3) | instskip(NEXT) | instid1(VALU_DEP_2)
	v_pk_add_f32 v[30:31], v[30:31], v[108:109] neg_lo:[0,1] neg_hi:[0,1]
	v_pk_fma_f32 v[102:103], v[102:103], v[84:85], v[104:105] op_sel_hi:[1,1,0]
	s_delay_alu instid0(VALU_DEP_1) | instskip(SKIP_4) | instid1(VALU_DEP_1)
	v_mov_b32_e32 v107, v103
	ds_load_2addr_b64 v[102:105], v96 offset0:25 offset1:26
	v_pk_add_f32 v[68:69], v[68:69], v[106:107] neg_lo:[0,1] neg_hi:[0,1]
	s_wait_dscnt 0x0
	v_pk_mul_f32 v[106:107], v[102:103], v[94:95] op_sel:[0,1]
	v_pk_fma_f32 v[108:109], v[102:103], v[92:93], v[106:107] op_sel:[0,0,1] op_sel_hi:[1,1,0] neg_lo:[0,0,1] neg_hi:[0,0,1]
	v_pk_fma_f32 v[102:103], v[102:103], v[92:93], v[106:107] op_sel:[0,0,1] op_sel_hi:[1,0,0]
	s_delay_alu instid0(VALU_DEP_1) | instskip(SKIP_1) | instid1(VALU_DEP_1)
	v_mov_b32_e32 v109, v103
	v_pk_mul_f32 v[102:103], v[104:105], v[94:95] op_sel:[0,1]
	v_pk_fma_f32 v[106:107], v[104:105], v[92:93], v[102:103] op_sel:[0,0,1] op_sel_hi:[1,1,0] neg_lo:[0,0,1] neg_hi:[0,0,1]
	v_pk_fma_f32 v[102:103], v[104:105], v[92:93], v[102:103] op_sel:[0,0,1] op_sel_hi:[1,0,0]
	s_delay_alu instid0(VALU_DEP_1)
	v_mov_b32_e32 v107, v103
	ds_load_2addr_b64 v[102:105], v96 offset0:27 offset1:28
	v_pk_add_f32 v[66:67], v[66:67], v[108:109] neg_lo:[0,1] neg_hi:[0,1]
	v_pk_add_f32 v[40:41], v[40:41], v[106:107] neg_lo:[0,1] neg_hi:[0,1]
	s_wait_dscnt 0x0
	v_pk_mul_f32 v[106:107], v[102:103], v[94:95] op_sel:[0,1]
	s_delay_alu instid0(VALU_DEP_1) | instskip(SKIP_1) | instid1(VALU_DEP_1)
	v_pk_fma_f32 v[108:109], v[102:103], v[92:93], v[106:107] op_sel:[0,0,1] op_sel_hi:[1,1,0] neg_lo:[0,0,1] neg_hi:[0,0,1]
	v_pk_fma_f32 v[102:103], v[102:103], v[92:93], v[106:107] op_sel:[0,0,1] op_sel_hi:[1,0,0]
	v_mov_b32_e32 v109, v103
	v_pk_mul_f32 v[102:103], v[104:105], v[94:95] op_sel:[0,1]
	s_delay_alu instid0(VALU_DEP_1) | instskip(SKIP_1) | instid1(VALU_DEP_1)
	v_pk_fma_f32 v[106:107], v[104:105], v[92:93], v[102:103] op_sel:[0,0,1] op_sel_hi:[1,1,0] neg_lo:[0,0,1] neg_hi:[0,0,1]
	v_pk_fma_f32 v[102:103], v[104:105], v[92:93], v[102:103] op_sel:[0,0,1] op_sel_hi:[1,0,0]
	v_mov_b32_e32 v107, v103
	ds_load_2addr_b64 v[102:105], v96 offset0:29 offset1:30
	v_pk_add_f32 v[38:39], v[38:39], v[108:109] neg_lo:[0,1] neg_hi:[0,1]
	v_pk_add_f32 v[76:77], v[76:77], v[106:107] neg_lo:[0,1] neg_hi:[0,1]
	s_wait_dscnt 0x0
	v_dual_mul_f32 v106, v103, v95 :: v_dual_mul_f32 v108, v103, v92
	s_delay_alu instid0(VALU_DEP_1) | instskip(NEXT) | instid1(VALU_DEP_2)
	v_pk_fma_f32 v[106:107], v[102:103], v[84:85], v[106:107] op_sel_hi:[1,1,0] neg_lo:[0,0,1] neg_hi:[0,0,1]
	v_pk_fma_f32 v[102:103], v[102:103], v[84:85], v[108:109] op_sel:[1,0,0] op_sel_hi:[0,1,0]
	s_delay_alu instid0(VALU_DEP_1) | instskip(SKIP_1) | instid1(VALU_DEP_2)
	v_mov_b32_e32 v107, v103
	v_pk_mul_f32 v[102:103], v[104:105], v[94:95] op_sel:[0,1]
	v_pk_add_f32 v[74:75], v[74:75], v[106:107] neg_lo:[0,1] neg_hi:[0,1]
	s_delay_alu instid0(VALU_DEP_2) | instskip(SKIP_1) | instid1(VALU_DEP_1)
	v_pk_fma_f32 v[106:107], v[104:105], v[92:93], v[102:103] op_sel:[0,0,1] op_sel_hi:[1,1,0] neg_lo:[0,0,1] neg_hi:[0,0,1]
	v_pk_fma_f32 v[102:103], v[104:105], v[92:93], v[102:103] op_sel:[0,0,1] op_sel_hi:[1,0,0]
	v_mov_b32_e32 v107, v103
	ds_load_2addr_b64 v[102:105], v96 offset0:31 offset1:32
	v_pk_add_f32 v[50:51], v[50:51], v[106:107] neg_lo:[0,1] neg_hi:[0,1]
	s_wait_dscnt 0x0
	v_pk_mul_f32 v[106:107], v[102:103], v[94:95] op_sel:[0,1]
	s_delay_alu instid0(VALU_DEP_1) | instskip(SKIP_1) | instid1(VALU_DEP_1)
	v_pk_fma_f32 v[108:109], v[102:103], v[92:93], v[106:107] op_sel:[0,0,1] op_sel_hi:[1,1,0] neg_lo:[0,0,1] neg_hi:[0,0,1]
	v_pk_fma_f32 v[102:103], v[102:103], v[92:93], v[106:107] op_sel:[0,0,1] op_sel_hi:[1,0,0]
	v_mov_b32_e32 v109, v103
	v_pk_mul_f32 v[102:103], v[104:105], v[94:95] op_sel:[0,1]
	s_delay_alu instid0(VALU_DEP_2) | instskip(NEXT) | instid1(VALU_DEP_2)
	v_pk_add_f32 v[48:49], v[48:49], v[108:109] neg_lo:[0,1] neg_hi:[0,1]
	v_pk_fma_f32 v[106:107], v[104:105], v[92:93], v[102:103] op_sel:[0,0,1] op_sel_hi:[1,1,0] neg_lo:[0,0,1] neg_hi:[0,0,1]
	v_pk_fma_f32 v[102:103], v[104:105], v[92:93], v[102:103] op_sel:[0,0,1] op_sel_hi:[1,0,0]
	s_delay_alu instid0(VALU_DEP_1) | instskip(SKIP_4) | instid1(VALU_DEP_1)
	v_mov_b32_e32 v107, v103
	ds_load_2addr_b64 v[102:105], v96 offset0:33 offset1:34
	v_pk_add_f32 v[88:89], v[88:89], v[106:107] neg_lo:[0,1] neg_hi:[0,1]
	s_wait_dscnt 0x0
	v_pk_mul_f32 v[106:107], v[102:103], v[94:95] op_sel:[0,1]
	v_pk_fma_f32 v[108:109], v[102:103], v[92:93], v[106:107] op_sel:[0,0,1] op_sel_hi:[1,1,0] neg_lo:[0,0,1] neg_hi:[0,0,1]
	v_pk_fma_f32 v[102:103], v[102:103], v[92:93], v[106:107] op_sel:[0,0,1] op_sel_hi:[1,0,0]
	v_dual_mul_f32 v106, v105, v95 :: v_dual_mov_b32 v102, v105
	s_delay_alu instid0(VALU_DEP_2) | instskip(NEXT) | instid1(VALU_DEP_2)
	v_dual_mov_b32 v109, v103 :: v_dual_mov_b32 v103, v104
	v_pk_fma_f32 v[106:107], v[104:105], v[84:85], v[106:107] op_sel_hi:[1,1,0] neg_lo:[0,0,1] neg_hi:[0,0,1]
	v_mul_f32_e32 v104, v105, v92
	s_delay_alu instid0(VALU_DEP_3) | instskip(NEXT) | instid1(VALU_DEP_2)
	v_pk_add_f32 v[86:87], v[86:87], v[108:109] neg_lo:[0,1] neg_hi:[0,1]
	v_pk_fma_f32 v[102:103], v[102:103], v[84:85], v[104:105] op_sel_hi:[1,1,0]
	s_delay_alu instid0(VALU_DEP_1) | instskip(SKIP_4) | instid1(VALU_DEP_1)
	v_mov_b32_e32 v107, v103
	ds_load_2addr_b64 v[102:105], v96 offset0:35 offset1:36
	v_pk_add_f32 v[60:61], v[60:61], v[106:107] neg_lo:[0,1] neg_hi:[0,1]
	s_wait_dscnt 0x0
	v_pk_mul_f32 v[106:107], v[102:103], v[94:95] op_sel:[0,1]
	v_pk_fma_f32 v[108:109], v[102:103], v[92:93], v[106:107] op_sel:[0,0,1] op_sel_hi:[1,1,0] neg_lo:[0,0,1] neg_hi:[0,0,1]
	v_pk_fma_f32 v[102:103], v[102:103], v[92:93], v[106:107] op_sel:[0,0,1] op_sel_hi:[1,0,0]
	s_delay_alu instid0(VALU_DEP_1) | instskip(SKIP_1) | instid1(VALU_DEP_1)
	v_mov_b32_e32 v109, v103
	v_pk_mul_f32 v[102:103], v[104:105], v[94:95] op_sel:[0,1]
	v_pk_fma_f32 v[106:107], v[104:105], v[92:93], v[102:103] op_sel:[0,0,1] op_sel_hi:[1,1,0] neg_lo:[0,0,1] neg_hi:[0,0,1]
	v_pk_fma_f32 v[102:103], v[104:105], v[92:93], v[102:103] op_sel:[0,0,1] op_sel_hi:[1,0,0]
	s_delay_alu instid0(VALU_DEP_1)
	v_mov_b32_e32 v107, v103
	ds_load_2addr_b64 v[102:105], v96 offset0:37 offset1:38
	v_pk_add_f32 v[58:59], v[58:59], v[108:109] neg_lo:[0,1] neg_hi:[0,1]
	v_pk_add_f32 v[82:83], v[82:83], v[106:107] neg_lo:[0,1] neg_hi:[0,1]
	s_wait_dscnt 0x0
	v_pk_mul_f32 v[106:107], v[102:103], v[94:95] op_sel:[0,1]
	s_delay_alu instid0(VALU_DEP_1) | instskip(SKIP_1) | instid1(VALU_DEP_1)
	v_pk_fma_f32 v[108:109], v[102:103], v[92:93], v[106:107] op_sel:[0,0,1] op_sel_hi:[1,1,0] neg_lo:[0,0,1] neg_hi:[0,0,1]
	v_pk_fma_f32 v[102:103], v[102:103], v[92:93], v[106:107] op_sel:[0,0,1] op_sel_hi:[1,0,0]
	v_mov_b32_e32 v109, v103
	v_pk_mul_f32 v[102:103], v[104:105], v[94:95] op_sel:[0,1]
	s_delay_alu instid0(VALU_DEP_1) | instskip(SKIP_1) | instid1(VALU_DEP_1)
	v_pk_fma_f32 v[106:107], v[104:105], v[92:93], v[102:103] op_sel:[0,0,1] op_sel_hi:[1,1,0] neg_lo:[0,0,1] neg_hi:[0,0,1]
	v_pk_fma_f32 v[102:103], v[104:105], v[92:93], v[102:103] op_sel:[0,0,1] op_sel_hi:[1,0,0]
	v_mov_b32_e32 v107, v103
	ds_load_2addr_b64 v[102:105], v96 offset0:39 offset1:40
	v_pk_add_f32 v[80:81], v[80:81], v[108:109] neg_lo:[0,1] neg_hi:[0,1]
	v_pk_add_f32 v[64:65], v[64:65], v[106:107] neg_lo:[0,1] neg_hi:[0,1]
	s_wait_dscnt 0x0
	v_dual_mul_f32 v106, v103, v95 :: v_dual_mul_f32 v108, v103, v92
	s_delay_alu instid0(VALU_DEP_1) | instskip(NEXT) | instid1(VALU_DEP_2)
	v_pk_fma_f32 v[106:107], v[102:103], v[84:85], v[106:107] op_sel_hi:[1,1,0] neg_lo:[0,0,1] neg_hi:[0,0,1]
	v_pk_fma_f32 v[102:103], v[102:103], v[84:85], v[108:109] op_sel:[1,0,0] op_sel_hi:[0,1,0]
	s_delay_alu instid0(VALU_DEP_1) | instskip(SKIP_1) | instid1(VALU_DEP_2)
	v_mov_b32_e32 v107, v103
	v_pk_mul_f32 v[102:103], v[104:105], v[94:95] op_sel:[0,1]
	v_pk_add_f32 v[62:63], v[62:63], v[106:107] neg_lo:[0,1] neg_hi:[0,1]
	s_delay_alu instid0(VALU_DEP_2) | instskip(SKIP_1) | instid1(VALU_DEP_1)
	v_pk_fma_f32 v[106:107], v[104:105], v[92:93], v[102:103] op_sel:[0,0,1] op_sel_hi:[1,1,0] neg_lo:[0,0,1] neg_hi:[0,0,1]
	v_pk_fma_f32 v[102:103], v[104:105], v[92:93], v[102:103] op_sel:[0,0,1] op_sel_hi:[1,0,0]
	v_mov_b32_e32 v107, v103
	ds_load_2addr_b64 v[102:105], v96 offset0:41 offset1:42
	v_pk_add_f32 v[72:73], v[72:73], v[106:107] neg_lo:[0,1] neg_hi:[0,1]
	s_wait_dscnt 0x0
	v_pk_mul_f32 v[106:107], v[102:103], v[94:95] op_sel:[0,1]
	v_mul_f32_e32 v94, v105, v95
	s_delay_alu instid0(VALU_DEP_2) | instskip(SKIP_2) | instid1(VALU_DEP_4)
	v_pk_fma_f32 v[108:109], v[102:103], v[92:93], v[106:107] op_sel:[0,0,1] op_sel_hi:[1,1,0] neg_lo:[0,0,1] neg_hi:[0,0,1]
	v_pk_fma_f32 v[102:103], v[102:103], v[92:93], v[106:107] op_sel:[0,0,1] op_sel_hi:[1,0,0]
	v_dual_mov_b32 v102, v105 :: v_dual_mul_f32 v92, v105, v92
	v_pk_fma_f32 v[94:95], v[104:105], v[84:85], v[94:95] op_sel_hi:[1,1,0] neg_lo:[0,0,1] neg_hi:[0,0,1]
	s_delay_alu instid0(VALU_DEP_3) | instskip(NEXT) | instid1(VALU_DEP_1)
	v_dual_mov_b32 v109, v103 :: v_dual_mov_b32 v103, v104
	v_pk_add_f32 v[70:71], v[70:71], v[108:109] neg_lo:[0,1] neg_hi:[0,1]
	s_delay_alu instid0(VALU_DEP_2) | instskip(NEXT) | instid1(VALU_DEP_1)
	v_pk_fma_f32 v[92:93], v[102:103], v[84:85], v[92:93] op_sel_hi:[1,1,0]
	v_mov_b32_e32 v95, v93
	s_delay_alu instid0(VALU_DEP_1)
	v_pk_add_f32 v[90:91], v[90:91], v[94:95] neg_lo:[0,1] neg_hi:[0,1]
.LBB84_22:
	s_or_b32 exec_lo, exec_lo, s0
	v_lshl_add_u32 v92, v100, 3, v96
	s_barrier_signal -1
	s_barrier_wait -1
	ds_store_b64 v92, v[78:79]
	s_wait_dscnt 0x0
	s_barrier_signal -1
	s_barrier_wait -1
	ds_load_b64 v[94:95], v96 offset:8
	v_mov_b32_e32 v92, 1
	s_cmp_lt_i32 s14, 3
	s_cbranch_scc1 .LBB84_25
; %bb.23:
	v_add3_u32 v93, v97, 0, 16
	v_mov_b32_e32 v92, 1
	s_mov_b32 s0, 2
.LBB84_24:                              ; =>This Inner Loop Header: Depth=1
	ds_load_b64 v[102:103], v93
	s_wait_dscnt 0x1
	v_cmp_gt_f32_e32 vcc_lo, 0, v94
	v_cndmask_b32_e64 v104, v94, -v94, vcc_lo
	v_cmp_gt_f32_e32 vcc_lo, 0, v95
	v_cndmask_b32_e64 v106, v95, -v95, vcc_lo
	s_wait_dscnt 0x0
	v_cmp_gt_f32_e32 vcc_lo, 0, v102
	v_cndmask_b32_e64 v105, v102, -v102, vcc_lo
	v_cmp_gt_f32_e32 vcc_lo, 0, v103
	v_cndmask_b32_e64 v107, v103, -v103, vcc_lo
	s_delay_alu instid0(VALU_DEP_1) | instskip(NEXT) | instid1(VALU_DEP_1)
	v_pk_add_f32 v[104:105], v[104:105], v[106:107]
	v_cmp_lt_f32_e32 vcc_lo, v104, v105
	v_dual_add_nc_u32 v93, 8, v93 :: v_dual_cndmask_b32 v95, v95, v103, vcc_lo
	v_cndmask_b32_e32 v94, v94, v102, vcc_lo
	v_cndmask_b32_e64 v92, v92, s0, vcc_lo
	s_add_co_i32 s0, s0, 1
	s_delay_alu instid0(SALU_CYCLE_1)
	s_cmp_lg_u32 s14, s0
	s_cbranch_scc1 .LBB84_24
.LBB84_25:
	s_wait_dscnt 0x0
	v_cmp_neq_f32_e32 vcc_lo, 0, v94
	v_cmp_neq_f32_e64 s0, 0, v95
	s_or_b32 s1, vcc_lo, s0
	s_delay_alu instid0(SALU_CYCLE_1)
	s_and_saveexec_b32 s0, s1
	s_cbranch_execz .LBB84_31
; %bb.26:
	v_cmp_ngt_f32_e64 s1, |v94|, |v95|
	s_and_saveexec_b32 s15, s1
	s_delay_alu instid0(SALU_CYCLE_1)
	s_xor_b32 s1, exec_lo, s15
	s_cbranch_execz .LBB84_28
; %bb.27:
	v_div_scale_f32 v93, null, v95, v95, v94
	v_div_scale_f32 v103, vcc_lo, v94, v95, v94
	s_delay_alu instid0(VALU_DEP_2) | instskip(SKIP_1) | instid1(TRANS32_DEP_1)
	v_rcp_f32_e32 v98, v93
	v_nop
	v_fma_f32 v102, -v93, v98, 1.0
	s_delay_alu instid0(VALU_DEP_1) | instskip(NEXT) | instid1(VALU_DEP_1)
	v_fmac_f32_e32 v98, v102, v98
	v_mul_f32_e32 v102, v103, v98
	s_delay_alu instid0(VALU_DEP_1) | instskip(NEXT) | instid1(VALU_DEP_1)
	v_fma_f32 v104, -v93, v102, v103
	v_fmac_f32_e32 v102, v104, v98
	s_delay_alu instid0(VALU_DEP_1) | instskip(NEXT) | instid1(VALU_DEP_1)
	v_fma_f32 v93, -v93, v102, v103
	v_div_fmas_f32 v93, v93, v98, v102
	s_delay_alu instid0(VALU_DEP_1) | instskip(NEXT) | instid1(VALU_DEP_1)
	v_div_fixup_f32 v93, v93, v95, v94
	v_fmac_f32_e32 v95, v94, v93
	s_delay_alu instid0(VALU_DEP_1) | instskip(SKIP_1) | instid1(VALU_DEP_2)
	v_div_scale_f32 v94, null, v95, v95, 1.0
	v_div_scale_f32 v103, vcc_lo, 1.0, v95, 1.0
	v_rcp_f32_e32 v98, v94
	v_nop
	s_delay_alu instid0(TRANS32_DEP_1) | instskip(NEXT) | instid1(VALU_DEP_1)
	v_fma_f32 v102, -v94, v98, 1.0
	v_fmac_f32_e32 v98, v102, v98
	s_delay_alu instid0(VALU_DEP_1) | instskip(NEXT) | instid1(VALU_DEP_1)
	v_mul_f32_e32 v102, v103, v98
	v_fma_f32 v104, -v94, v102, v103
	s_delay_alu instid0(VALU_DEP_1) | instskip(NEXT) | instid1(VALU_DEP_1)
	v_fmac_f32_e32 v102, v104, v98
	v_fma_f32 v94, -v94, v102, v103
	s_delay_alu instid0(VALU_DEP_1) | instskip(NEXT) | instid1(VALU_DEP_1)
	v_div_fmas_f32 v94, v94, v98, v102
	v_div_fixup_f32 v95, v94, v95, 1.0
	s_delay_alu instid0(VALU_DEP_1)
	v_mul_f32_e32 v94, v93, v95
	v_xor_b32_e32 v95, 0x80000000, v95
.LBB84_28:
	s_and_not1_saveexec_b32 s1, s1
	s_cbranch_execz .LBB84_30
; %bb.29:
	s_delay_alu instid0(VALU_DEP_1) | instskip(SKIP_1) | instid1(VALU_DEP_2)
	v_div_scale_f32 v93, null, v94, v94, v95
	v_div_scale_f32 v103, vcc_lo, v95, v94, v95
	v_rcp_f32_e32 v98, v93
	v_nop
	s_delay_alu instid0(TRANS32_DEP_1) | instskip(NEXT) | instid1(VALU_DEP_1)
	v_fma_f32 v102, -v93, v98, 1.0
	v_fmac_f32_e32 v98, v102, v98
	s_delay_alu instid0(VALU_DEP_1) | instskip(NEXT) | instid1(VALU_DEP_1)
	v_mul_f32_e32 v102, v103, v98
	v_fma_f32 v104, -v93, v102, v103
	s_delay_alu instid0(VALU_DEP_1) | instskip(NEXT) | instid1(VALU_DEP_1)
	v_fmac_f32_e32 v102, v104, v98
	v_fma_f32 v93, -v93, v102, v103
	s_delay_alu instid0(VALU_DEP_1) | instskip(NEXT) | instid1(VALU_DEP_1)
	v_div_fmas_f32 v93, v93, v98, v102
	v_div_fixup_f32 v93, v93, v94, v95
	s_delay_alu instid0(VALU_DEP_1) | instskip(NEXT) | instid1(VALU_DEP_1)
	v_fmac_f32_e32 v94, v95, v93
	v_div_scale_f32 v95, null, v94, v94, 1.0
	s_delay_alu instid0(VALU_DEP_1) | instskip(SKIP_1) | instid1(TRANS32_DEP_1)
	v_rcp_f32_e32 v98, v95
	v_nop
	v_fma_f32 v102, -v95, v98, 1.0
	s_delay_alu instid0(VALU_DEP_1) | instskip(SKIP_1) | instid1(VALU_DEP_1)
	v_fmac_f32_e32 v98, v102, v98
	v_div_scale_f32 v102, vcc_lo, 1.0, v94, 1.0
	v_mul_f32_e32 v103, v102, v98
	s_delay_alu instid0(VALU_DEP_1) | instskip(NEXT) | instid1(VALU_DEP_1)
	v_fma_f32 v104, -v95, v103, v102
	v_fmac_f32_e32 v103, v104, v98
	s_delay_alu instid0(VALU_DEP_1) | instskip(NEXT) | instid1(VALU_DEP_1)
	v_fma_f32 v95, -v95, v103, v102
	v_div_fmas_f32 v95, v95, v98, v103
	s_delay_alu instid0(VALU_DEP_1) | instskip(NEXT) | instid1(VALU_DEP_1)
	v_div_fixup_f32 v94, v95, v94, 1.0
	v_mul_f32_e64 v95, v93, -v94
.LBB84_30:
	s_or_b32 exec_lo, exec_lo, s1
	v_mov_b32_e32 v98, v101
.LBB84_31:
	s_or_b32 exec_lo, exec_lo, s0
	s_delay_alu instid0(SALU_CYCLE_1)
	s_mov_b32 s0, exec_lo
	v_cmpx_ne_u32_e64 v100, v92
	s_xor_b32 s0, exec_lo, s0
	s_cbranch_execz .LBB84_37
; %bb.32:
	s_mov_b32 s1, exec_lo
	v_cmpx_eq_u32_e32 1, v100
	s_cbranch_execz .LBB84_36
; %bb.33:
	v_cmp_ne_u32_e32 vcc_lo, 1, v92
	s_xor_b32 s15, s12, -1
	s_delay_alu instid0(SALU_CYCLE_1) | instskip(NEXT) | instid1(SALU_CYCLE_1)
	s_and_b32 s16, s15, vcc_lo
	s_and_saveexec_b32 s15, s16
	s_cbranch_execz .LBB84_35
; %bb.34:
	v_ashrrev_i32_e32 v93, 31, v92
	s_delay_alu instid0(VALU_DEP_1)
	v_lshl_add_u64 v[100:101], v[92:93], 2, v[4:5]
	s_clause 0x1
	global_load_b32 v93, v[100:101], off
	global_load_b32 v99, v[4:5], off offset:4
	s_wait_loadcnt 0x1
	global_store_b32 v[4:5], v93, off offset:4
	s_wait_loadcnt 0x0
	global_store_b32 v[100:101], v99, off
.LBB84_35:
	s_wait_xcnt 0x0
	s_or_b32 exec_lo, exec_lo, s15
	v_dual_mov_b32 v100, v92 :: v_dual_mov_b32 v99, v92
.LBB84_36:
	s_or_b32 exec_lo, exec_lo, s1
.LBB84_37:
	s_and_not1_saveexec_b32 s0, s0
	s_cbranch_execz .LBB84_39
; %bb.38:
	v_dual_mov_b32 v92, v56 :: v_dual_mov_b32 v93, v57
	v_dual_mov_b32 v100, v42 :: v_dual_mov_b32 v101, v43
	ds_store_2addr_b64 v96, v[92:93], v[100:101] offset0:2 offset1:3
	v_dual_mov_b32 v92, v16 :: v_dual_mov_b32 v93, v17
	v_dual_mov_b32 v100, v14 :: v_dual_mov_b32 v101, v15
	ds_store_2addr_b64 v96, v[92:93], v[100:101] offset0:4 offset1:5
	;; [unrolled: 3-line block ×20, first 2 shown]
	ds_store_b64 v96, v[90:91] offset:336
	v_mov_b32_e32 v100, 1
.LBB84_39:
	s_or_b32 exec_lo, exec_lo, s0
	s_delay_alu instid0(SALU_CYCLE_1)
	s_mov_b32 s0, exec_lo
	s_wait_storecnt_dscnt 0x0
	s_barrier_signal -1
	s_barrier_wait -1
	v_cmpx_lt_i32_e32 1, v100
	s_cbranch_execz .LBB84_41
; %bb.40:
	v_pk_mul_f32 v[102:103], v[94:95], v[78:79] op_sel:[1,1] op_sel_hi:[0,1]
	s_delay_alu instid0(VALU_DEP_1)
	v_pk_fma_f32 v[92:93], v[94:95], v[78:79], v[102:103] op_sel_hi:[1,0,1] neg_lo:[0,0,1] neg_hi:[0,0,1]
	v_pk_fma_f32 v[94:95], v[94:95], v[78:79], v[102:103] op_sel_hi:[1,0,1]
	ds_load_2addr_b64 v[102:105], v96 offset0:2 offset1:3
	v_dual_mov_b32 v78, v92 :: v_dual_mov_b32 v79, v95
	s_wait_dscnt 0x0
	v_pk_mul_f32 v[106:107], v[102:103], v[94:95] op_sel:[0,1]
	s_delay_alu instid0(VALU_DEP_1) | instskip(SKIP_1) | instid1(VALU_DEP_1)
	v_pk_fma_f32 v[108:109], v[102:103], v[92:93], v[106:107] op_sel:[0,0,1] op_sel_hi:[1,1,0] neg_lo:[0,0,1] neg_hi:[0,0,1]
	v_pk_fma_f32 v[102:103], v[102:103], v[92:93], v[106:107] op_sel:[0,0,1] op_sel_hi:[1,0,0]
	v_mov_b32_e32 v109, v103
	v_pk_mul_f32 v[102:103], v[104:105], v[94:95] op_sel:[0,1]
	s_delay_alu instid0(VALU_DEP_1) | instskip(SKIP_1) | instid1(VALU_DEP_1)
	v_pk_fma_f32 v[106:107], v[104:105], v[92:93], v[102:103] op_sel:[0,0,1] op_sel_hi:[1,1,0] neg_lo:[0,0,1] neg_hi:[0,0,1]
	v_pk_fma_f32 v[102:103], v[104:105], v[92:93], v[102:103] op_sel:[0,0,1] op_sel_hi:[1,0,0]
	v_mov_b32_e32 v107, v103
	ds_load_2addr_b64 v[102:105], v96 offset0:4 offset1:5
	v_pk_add_f32 v[56:57], v[56:57], v[108:109] neg_lo:[0,1] neg_hi:[0,1]
	v_pk_add_f32 v[42:43], v[42:43], v[106:107] neg_lo:[0,1] neg_hi:[0,1]
	s_wait_dscnt 0x0
	v_pk_mul_f32 v[106:107], v[102:103], v[94:95] op_sel:[0,1]
	s_delay_alu instid0(VALU_DEP_1) | instskip(SKIP_2) | instid1(VALU_DEP_2)
	v_pk_fma_f32 v[108:109], v[102:103], v[92:93], v[106:107] op_sel:[0,0,1] op_sel_hi:[1,1,0] neg_lo:[0,0,1] neg_hi:[0,0,1]
	v_pk_fma_f32 v[102:103], v[102:103], v[92:93], v[106:107] op_sel:[0,0,1] op_sel_hi:[1,0,0]
	v_dual_mul_f32 v106, v105, v95 :: v_dual_mov_b32 v102, v105
	v_dual_mov_b32 v109, v103 :: v_dual_mov_b32 v103, v104
	s_delay_alu instid0(VALU_DEP_2) | instskip(SKIP_1) | instid1(VALU_DEP_3)
	v_pk_fma_f32 v[106:107], v[104:105], v[78:79], v[106:107] op_sel_hi:[1,1,0] neg_lo:[0,0,1] neg_hi:[0,0,1]
	v_mul_f32_e32 v104, v105, v92
	v_pk_add_f32 v[16:17], v[16:17], v[108:109] neg_lo:[0,1] neg_hi:[0,1]
	s_delay_alu instid0(VALU_DEP_2) | instskip(NEXT) | instid1(VALU_DEP_1)
	v_pk_fma_f32 v[102:103], v[102:103], v[78:79], v[104:105] op_sel_hi:[1,1,0]
	v_mov_b32_e32 v107, v103
	ds_load_2addr_b64 v[102:105], v96 offset0:6 offset1:7
	v_pk_add_f32 v[14:15], v[14:15], v[106:107] neg_lo:[0,1] neg_hi:[0,1]
	s_wait_dscnt 0x0
	v_pk_mul_f32 v[106:107], v[102:103], v[94:95] op_sel:[0,1]
	s_delay_alu instid0(VALU_DEP_1) | instskip(SKIP_1) | instid1(VALU_DEP_1)
	v_pk_fma_f32 v[108:109], v[102:103], v[92:93], v[106:107] op_sel:[0,0,1] op_sel_hi:[1,1,0] neg_lo:[0,0,1] neg_hi:[0,0,1]
	v_pk_fma_f32 v[102:103], v[102:103], v[92:93], v[106:107] op_sel:[0,0,1] op_sel_hi:[1,0,0]
	v_mov_b32_e32 v109, v103
	v_pk_mul_f32 v[102:103], v[104:105], v[94:95] op_sel:[0,1]
	s_delay_alu instid0(VALU_DEP_1) | instskip(SKIP_1) | instid1(VALU_DEP_1)
	v_pk_fma_f32 v[106:107], v[104:105], v[92:93], v[102:103] op_sel:[0,0,1] op_sel_hi:[1,1,0] neg_lo:[0,0,1] neg_hi:[0,0,1]
	v_pk_fma_f32 v[102:103], v[104:105], v[92:93], v[102:103] op_sel:[0,0,1] op_sel_hi:[1,0,0]
	v_mov_b32_e32 v107, v103
	ds_load_2addr_b64 v[102:105], v96 offset0:8 offset1:9
	v_pk_add_f32 v[8:9], v[8:9], v[108:109] neg_lo:[0,1] neg_hi:[0,1]
	v_pk_add_f32 v[6:7], v[6:7], v[106:107] neg_lo:[0,1] neg_hi:[0,1]
	s_wait_dscnt 0x0
	v_pk_mul_f32 v[106:107], v[102:103], v[94:95] op_sel:[0,1]
	s_delay_alu instid0(VALU_DEP_1) | instskip(SKIP_1) | instid1(VALU_DEP_1)
	v_pk_fma_f32 v[108:109], v[102:103], v[92:93], v[106:107] op_sel:[0,0,1] op_sel_hi:[1,1,0] neg_lo:[0,0,1] neg_hi:[0,0,1]
	v_pk_fma_f32 v[102:103], v[102:103], v[92:93], v[106:107] op_sel:[0,0,1] op_sel_hi:[1,0,0]
	v_mov_b32_e32 v109, v103
	v_pk_mul_f32 v[102:103], v[104:105], v[94:95] op_sel:[0,1]
	s_delay_alu instid0(VALU_DEP_1) | instskip(SKIP_1) | instid1(VALU_DEP_1)
	v_pk_fma_f32 v[106:107], v[104:105], v[92:93], v[102:103] op_sel:[0,0,1] op_sel_hi:[1,1,0] neg_lo:[0,0,1] neg_hi:[0,0,1]
	v_pk_fma_f32 v[102:103], v[104:105], v[92:93], v[102:103] op_sel:[0,0,1] op_sel_hi:[1,0,0]
	v_mov_b32_e32 v107, v103
	ds_load_2addr_b64 v[102:105], v96 offset0:10 offset1:11
	v_pk_add_f32 v[24:25], v[24:25], v[108:109] neg_lo:[0,1] neg_hi:[0,1]
	v_pk_add_f32 v[22:23], v[22:23], v[106:107] neg_lo:[0,1] neg_hi:[0,1]
	s_wait_dscnt 0x0
	v_dual_mul_f32 v106, v103, v95 :: v_dual_mul_f32 v108, v103, v92
	s_delay_alu instid0(VALU_DEP_1) | instskip(NEXT) | instid1(VALU_DEP_2)
	v_pk_fma_f32 v[106:107], v[102:103], v[78:79], v[106:107] op_sel_hi:[1,1,0] neg_lo:[0,0,1] neg_hi:[0,0,1]
	v_pk_fma_f32 v[102:103], v[102:103], v[78:79], v[108:109] op_sel:[1,0,0] op_sel_hi:[0,1,0]
	s_delay_alu instid0(VALU_DEP_1) | instskip(SKIP_1) | instid1(VALU_DEP_2)
	v_mov_b32_e32 v107, v103
	v_pk_mul_f32 v[102:103], v[104:105], v[94:95] op_sel:[0,1]
	v_pk_add_f32 v[12:13], v[12:13], v[106:107] neg_lo:[0,1] neg_hi:[0,1]
	s_delay_alu instid0(VALU_DEP_2) | instskip(SKIP_1) | instid1(VALU_DEP_1)
	v_pk_fma_f32 v[106:107], v[104:105], v[92:93], v[102:103] op_sel:[0,0,1] op_sel_hi:[1,1,0] neg_lo:[0,0,1] neg_hi:[0,0,1]
	v_pk_fma_f32 v[102:103], v[104:105], v[92:93], v[102:103] op_sel:[0,0,1] op_sel_hi:[1,0,0]
	v_mov_b32_e32 v107, v103
	ds_load_2addr_b64 v[102:105], v96 offset0:12 offset1:13
	v_pk_add_f32 v[10:11], v[10:11], v[106:107] neg_lo:[0,1] neg_hi:[0,1]
	s_wait_dscnt 0x0
	v_pk_mul_f32 v[106:107], v[102:103], v[94:95] op_sel:[0,1]
	s_delay_alu instid0(VALU_DEP_1) | instskip(SKIP_1) | instid1(VALU_DEP_1)
	v_pk_fma_f32 v[108:109], v[102:103], v[92:93], v[106:107] op_sel:[0,0,1] op_sel_hi:[1,1,0] neg_lo:[0,0,1] neg_hi:[0,0,1]
	v_pk_fma_f32 v[102:103], v[102:103], v[92:93], v[106:107] op_sel:[0,0,1] op_sel_hi:[1,0,0]
	v_mov_b32_e32 v109, v103
	v_pk_mul_f32 v[102:103], v[104:105], v[94:95] op_sel:[0,1]
	s_delay_alu instid0(VALU_DEP_2) | instskip(NEXT) | instid1(VALU_DEP_2)
	v_pk_add_f32 v[36:37], v[36:37], v[108:109] neg_lo:[0,1] neg_hi:[0,1]
	v_pk_fma_f32 v[106:107], v[104:105], v[92:93], v[102:103] op_sel:[0,0,1] op_sel_hi:[1,1,0] neg_lo:[0,0,1] neg_hi:[0,0,1]
	v_pk_fma_f32 v[102:103], v[104:105], v[92:93], v[102:103] op_sel:[0,0,1] op_sel_hi:[1,0,0]
	s_delay_alu instid0(VALU_DEP_1) | instskip(SKIP_4) | instid1(VALU_DEP_1)
	v_mov_b32_e32 v107, v103
	ds_load_2addr_b64 v[102:105], v96 offset0:14 offset1:15
	v_pk_add_f32 v[34:35], v[34:35], v[106:107] neg_lo:[0,1] neg_hi:[0,1]
	s_wait_dscnt 0x0
	v_pk_mul_f32 v[106:107], v[102:103], v[94:95] op_sel:[0,1]
	v_pk_fma_f32 v[108:109], v[102:103], v[92:93], v[106:107] op_sel:[0,0,1] op_sel_hi:[1,1,0] neg_lo:[0,0,1] neg_hi:[0,0,1]
	v_pk_fma_f32 v[102:103], v[102:103], v[92:93], v[106:107] op_sel:[0,0,1] op_sel_hi:[1,0,0]
	v_dual_mul_f32 v106, v105, v95 :: v_dual_mov_b32 v102, v105
	s_delay_alu instid0(VALU_DEP_2) | instskip(NEXT) | instid1(VALU_DEP_2)
	v_dual_mov_b32 v109, v103 :: v_dual_mov_b32 v103, v104
	v_pk_fma_f32 v[106:107], v[104:105], v[78:79], v[106:107] op_sel_hi:[1,1,0] neg_lo:[0,0,1] neg_hi:[0,0,1]
	v_mul_f32_e32 v104, v105, v92
	s_delay_alu instid0(VALU_DEP_3) | instskip(NEXT) | instid1(VALU_DEP_2)
	v_pk_add_f32 v[20:21], v[20:21], v[108:109] neg_lo:[0,1] neg_hi:[0,1]
	v_pk_fma_f32 v[102:103], v[102:103], v[78:79], v[104:105] op_sel_hi:[1,1,0]
	s_delay_alu instid0(VALU_DEP_1) | instskip(SKIP_4) | instid1(VALU_DEP_1)
	v_mov_b32_e32 v107, v103
	ds_load_2addr_b64 v[102:105], v96 offset0:16 offset1:17
	v_pk_add_f32 v[18:19], v[18:19], v[106:107] neg_lo:[0,1] neg_hi:[0,1]
	s_wait_dscnt 0x0
	v_pk_mul_f32 v[106:107], v[102:103], v[94:95] op_sel:[0,1]
	v_pk_fma_f32 v[108:109], v[102:103], v[92:93], v[106:107] op_sel:[0,0,1] op_sel_hi:[1,1,0] neg_lo:[0,0,1] neg_hi:[0,0,1]
	v_pk_fma_f32 v[102:103], v[102:103], v[92:93], v[106:107] op_sel:[0,0,1] op_sel_hi:[1,0,0]
	s_delay_alu instid0(VALU_DEP_1) | instskip(SKIP_1) | instid1(VALU_DEP_1)
	v_mov_b32_e32 v109, v103
	v_pk_mul_f32 v[102:103], v[104:105], v[94:95] op_sel:[0,1]
	v_pk_fma_f32 v[106:107], v[104:105], v[92:93], v[102:103] op_sel:[0,0,1] op_sel_hi:[1,1,0] neg_lo:[0,0,1] neg_hi:[0,0,1]
	v_pk_fma_f32 v[102:103], v[104:105], v[92:93], v[102:103] op_sel:[0,0,1] op_sel_hi:[1,0,0]
	s_delay_alu instid0(VALU_DEP_1)
	v_mov_b32_e32 v107, v103
	ds_load_2addr_b64 v[102:105], v96 offset0:18 offset1:19
	v_pk_add_f32 v[46:47], v[46:47], v[108:109] neg_lo:[0,1] neg_hi:[0,1]
	v_pk_add_f32 v[44:45], v[44:45], v[106:107] neg_lo:[0,1] neg_hi:[0,1]
	s_wait_dscnt 0x0
	v_pk_mul_f32 v[106:107], v[102:103], v[94:95] op_sel:[0,1]
	s_delay_alu instid0(VALU_DEP_1) | instskip(SKIP_1) | instid1(VALU_DEP_1)
	v_pk_fma_f32 v[108:109], v[102:103], v[92:93], v[106:107] op_sel:[0,0,1] op_sel_hi:[1,1,0] neg_lo:[0,0,1] neg_hi:[0,0,1]
	v_pk_fma_f32 v[102:103], v[102:103], v[92:93], v[106:107] op_sel:[0,0,1] op_sel_hi:[1,0,0]
	v_mov_b32_e32 v109, v103
	v_pk_mul_f32 v[102:103], v[104:105], v[94:95] op_sel:[0,1]
	s_delay_alu instid0(VALU_DEP_1) | instskip(SKIP_1) | instid1(VALU_DEP_1)
	v_pk_fma_f32 v[106:107], v[104:105], v[92:93], v[102:103] op_sel:[0,0,1] op_sel_hi:[1,1,0] neg_lo:[0,0,1] neg_hi:[0,0,1]
	v_pk_fma_f32 v[102:103], v[104:105], v[92:93], v[102:103] op_sel:[0,0,1] op_sel_hi:[1,0,0]
	v_mov_b32_e32 v107, v103
	ds_load_2addr_b64 v[102:105], v96 offset0:20 offset1:21
	v_pk_add_f32 v[28:29], v[28:29], v[108:109] neg_lo:[0,1] neg_hi:[0,1]
	v_pk_add_f32 v[26:27], v[26:27], v[106:107] neg_lo:[0,1] neg_hi:[0,1]
	s_wait_dscnt 0x0
	v_dual_mul_f32 v106, v103, v95 :: v_dual_mul_f32 v108, v103, v92
	s_delay_alu instid0(VALU_DEP_1) | instskip(NEXT) | instid1(VALU_DEP_2)
	v_pk_fma_f32 v[106:107], v[102:103], v[78:79], v[106:107] op_sel_hi:[1,1,0] neg_lo:[0,0,1] neg_hi:[0,0,1]
	v_pk_fma_f32 v[102:103], v[102:103], v[78:79], v[108:109] op_sel:[1,0,0] op_sel_hi:[0,1,0]
	s_delay_alu instid0(VALU_DEP_1) | instskip(SKIP_1) | instid1(VALU_DEP_2)
	v_mov_b32_e32 v107, v103
	v_pk_mul_f32 v[102:103], v[104:105], v[94:95] op_sel:[0,1]
	v_pk_add_f32 v[54:55], v[54:55], v[106:107] neg_lo:[0,1] neg_hi:[0,1]
	s_delay_alu instid0(VALU_DEP_2) | instskip(SKIP_1) | instid1(VALU_DEP_1)
	v_pk_fma_f32 v[106:107], v[104:105], v[92:93], v[102:103] op_sel:[0,0,1] op_sel_hi:[1,1,0] neg_lo:[0,0,1] neg_hi:[0,0,1]
	v_pk_fma_f32 v[102:103], v[104:105], v[92:93], v[102:103] op_sel:[0,0,1] op_sel_hi:[1,0,0]
	v_mov_b32_e32 v107, v103
	ds_load_2addr_b64 v[102:105], v96 offset0:22 offset1:23
	v_pk_add_f32 v[52:53], v[52:53], v[106:107] neg_lo:[0,1] neg_hi:[0,1]
	s_wait_dscnt 0x0
	v_pk_mul_f32 v[106:107], v[102:103], v[94:95] op_sel:[0,1]
	s_delay_alu instid0(VALU_DEP_1) | instskip(SKIP_1) | instid1(VALU_DEP_1)
	v_pk_fma_f32 v[108:109], v[102:103], v[92:93], v[106:107] op_sel:[0,0,1] op_sel_hi:[1,1,0] neg_lo:[0,0,1] neg_hi:[0,0,1]
	v_pk_fma_f32 v[102:103], v[102:103], v[92:93], v[106:107] op_sel:[0,0,1] op_sel_hi:[1,0,0]
	v_mov_b32_e32 v109, v103
	v_pk_mul_f32 v[102:103], v[104:105], v[94:95] op_sel:[0,1]
	s_delay_alu instid0(VALU_DEP_2) | instskip(NEXT) | instid1(VALU_DEP_2)
	v_pk_add_f32 v[32:33], v[32:33], v[108:109] neg_lo:[0,1] neg_hi:[0,1]
	v_pk_fma_f32 v[106:107], v[104:105], v[92:93], v[102:103] op_sel:[0,0,1] op_sel_hi:[1,1,0] neg_lo:[0,0,1] neg_hi:[0,0,1]
	v_pk_fma_f32 v[102:103], v[104:105], v[92:93], v[102:103] op_sel:[0,0,1] op_sel_hi:[1,0,0]
	s_delay_alu instid0(VALU_DEP_1) | instskip(SKIP_4) | instid1(VALU_DEP_1)
	v_mov_b32_e32 v107, v103
	ds_load_2addr_b64 v[102:105], v96 offset0:24 offset1:25
	v_pk_add_f32 v[30:31], v[30:31], v[106:107] neg_lo:[0,1] neg_hi:[0,1]
	s_wait_dscnt 0x0
	v_pk_mul_f32 v[106:107], v[102:103], v[94:95] op_sel:[0,1]
	v_pk_fma_f32 v[108:109], v[102:103], v[92:93], v[106:107] op_sel:[0,0,1] op_sel_hi:[1,1,0] neg_lo:[0,0,1] neg_hi:[0,0,1]
	v_pk_fma_f32 v[102:103], v[102:103], v[92:93], v[106:107] op_sel:[0,0,1] op_sel_hi:[1,0,0]
	v_dual_mul_f32 v106, v105, v95 :: v_dual_mov_b32 v102, v105
	s_delay_alu instid0(VALU_DEP_2) | instskip(NEXT) | instid1(VALU_DEP_2)
	v_dual_mov_b32 v109, v103 :: v_dual_mov_b32 v103, v104
	v_pk_fma_f32 v[106:107], v[104:105], v[78:79], v[106:107] op_sel_hi:[1,1,0] neg_lo:[0,0,1] neg_hi:[0,0,1]
	v_mul_f32_e32 v104, v105, v92
	s_delay_alu instid0(VALU_DEP_3) | instskip(NEXT) | instid1(VALU_DEP_2)
	v_pk_add_f32 v[68:69], v[68:69], v[108:109] neg_lo:[0,1] neg_hi:[0,1]
	v_pk_fma_f32 v[102:103], v[102:103], v[78:79], v[104:105] op_sel_hi:[1,1,0]
	s_delay_alu instid0(VALU_DEP_1) | instskip(SKIP_4) | instid1(VALU_DEP_1)
	v_mov_b32_e32 v107, v103
	ds_load_2addr_b64 v[102:105], v96 offset0:26 offset1:27
	v_pk_add_f32 v[66:67], v[66:67], v[106:107] neg_lo:[0,1] neg_hi:[0,1]
	s_wait_dscnt 0x0
	v_pk_mul_f32 v[106:107], v[102:103], v[94:95] op_sel:[0,1]
	v_pk_fma_f32 v[108:109], v[102:103], v[92:93], v[106:107] op_sel:[0,0,1] op_sel_hi:[1,1,0] neg_lo:[0,0,1] neg_hi:[0,0,1]
	v_pk_fma_f32 v[102:103], v[102:103], v[92:93], v[106:107] op_sel:[0,0,1] op_sel_hi:[1,0,0]
	s_delay_alu instid0(VALU_DEP_1) | instskip(SKIP_1) | instid1(VALU_DEP_1)
	v_mov_b32_e32 v109, v103
	v_pk_mul_f32 v[102:103], v[104:105], v[94:95] op_sel:[0,1]
	v_pk_fma_f32 v[106:107], v[104:105], v[92:93], v[102:103] op_sel:[0,0,1] op_sel_hi:[1,1,0] neg_lo:[0,0,1] neg_hi:[0,0,1]
	v_pk_fma_f32 v[102:103], v[104:105], v[92:93], v[102:103] op_sel:[0,0,1] op_sel_hi:[1,0,0]
	s_delay_alu instid0(VALU_DEP_1)
	v_mov_b32_e32 v107, v103
	ds_load_2addr_b64 v[102:105], v96 offset0:28 offset1:29
	v_pk_add_f32 v[40:41], v[40:41], v[108:109] neg_lo:[0,1] neg_hi:[0,1]
	v_pk_add_f32 v[38:39], v[38:39], v[106:107] neg_lo:[0,1] neg_hi:[0,1]
	s_wait_dscnt 0x0
	v_pk_mul_f32 v[106:107], v[102:103], v[94:95] op_sel:[0,1]
	s_delay_alu instid0(VALU_DEP_1) | instskip(SKIP_1) | instid1(VALU_DEP_1)
	v_pk_fma_f32 v[108:109], v[102:103], v[92:93], v[106:107] op_sel:[0,0,1] op_sel_hi:[1,1,0] neg_lo:[0,0,1] neg_hi:[0,0,1]
	v_pk_fma_f32 v[102:103], v[102:103], v[92:93], v[106:107] op_sel:[0,0,1] op_sel_hi:[1,0,0]
	v_mov_b32_e32 v109, v103
	v_pk_mul_f32 v[102:103], v[104:105], v[94:95] op_sel:[0,1]
	s_delay_alu instid0(VALU_DEP_1) | instskip(SKIP_1) | instid1(VALU_DEP_1)
	v_pk_fma_f32 v[106:107], v[104:105], v[92:93], v[102:103] op_sel:[0,0,1] op_sel_hi:[1,1,0] neg_lo:[0,0,1] neg_hi:[0,0,1]
	v_pk_fma_f32 v[102:103], v[104:105], v[92:93], v[102:103] op_sel:[0,0,1] op_sel_hi:[1,0,0]
	v_mov_b32_e32 v107, v103
	ds_load_2addr_b64 v[102:105], v96 offset0:30 offset1:31
	v_pk_add_f32 v[76:77], v[76:77], v[108:109] neg_lo:[0,1] neg_hi:[0,1]
	v_pk_add_f32 v[74:75], v[74:75], v[106:107] neg_lo:[0,1] neg_hi:[0,1]
	s_wait_dscnt 0x0
	v_dual_mul_f32 v106, v103, v95 :: v_dual_mul_f32 v108, v103, v92
	s_delay_alu instid0(VALU_DEP_1) | instskip(NEXT) | instid1(VALU_DEP_2)
	v_pk_fma_f32 v[106:107], v[102:103], v[78:79], v[106:107] op_sel_hi:[1,1,0] neg_lo:[0,0,1] neg_hi:[0,0,1]
	v_pk_fma_f32 v[102:103], v[102:103], v[78:79], v[108:109] op_sel:[1,0,0] op_sel_hi:[0,1,0]
	s_delay_alu instid0(VALU_DEP_1) | instskip(SKIP_1) | instid1(VALU_DEP_2)
	v_mov_b32_e32 v107, v103
	v_pk_mul_f32 v[102:103], v[104:105], v[94:95] op_sel:[0,1]
	v_pk_add_f32 v[50:51], v[50:51], v[106:107] neg_lo:[0,1] neg_hi:[0,1]
	s_delay_alu instid0(VALU_DEP_2) | instskip(SKIP_1) | instid1(VALU_DEP_1)
	v_pk_fma_f32 v[106:107], v[104:105], v[92:93], v[102:103] op_sel:[0,0,1] op_sel_hi:[1,1,0] neg_lo:[0,0,1] neg_hi:[0,0,1]
	v_pk_fma_f32 v[102:103], v[104:105], v[92:93], v[102:103] op_sel:[0,0,1] op_sel_hi:[1,0,0]
	v_mov_b32_e32 v107, v103
	ds_load_2addr_b64 v[102:105], v96 offset0:32 offset1:33
	v_pk_add_f32 v[48:49], v[48:49], v[106:107] neg_lo:[0,1] neg_hi:[0,1]
	s_wait_dscnt 0x0
	v_pk_mul_f32 v[106:107], v[102:103], v[94:95] op_sel:[0,1]
	s_delay_alu instid0(VALU_DEP_1) | instskip(SKIP_1) | instid1(VALU_DEP_1)
	v_pk_fma_f32 v[108:109], v[102:103], v[92:93], v[106:107] op_sel:[0,0,1] op_sel_hi:[1,1,0] neg_lo:[0,0,1] neg_hi:[0,0,1]
	v_pk_fma_f32 v[102:103], v[102:103], v[92:93], v[106:107] op_sel:[0,0,1] op_sel_hi:[1,0,0]
	v_mov_b32_e32 v109, v103
	v_pk_mul_f32 v[102:103], v[104:105], v[94:95] op_sel:[0,1]
	s_delay_alu instid0(VALU_DEP_2) | instskip(NEXT) | instid1(VALU_DEP_2)
	v_pk_add_f32 v[88:89], v[88:89], v[108:109] neg_lo:[0,1] neg_hi:[0,1]
	v_pk_fma_f32 v[106:107], v[104:105], v[92:93], v[102:103] op_sel:[0,0,1] op_sel_hi:[1,1,0] neg_lo:[0,0,1] neg_hi:[0,0,1]
	v_pk_fma_f32 v[102:103], v[104:105], v[92:93], v[102:103] op_sel:[0,0,1] op_sel_hi:[1,0,0]
	s_delay_alu instid0(VALU_DEP_1) | instskip(SKIP_4) | instid1(VALU_DEP_1)
	v_mov_b32_e32 v107, v103
	ds_load_2addr_b64 v[102:105], v96 offset0:34 offset1:35
	v_pk_add_f32 v[86:87], v[86:87], v[106:107] neg_lo:[0,1] neg_hi:[0,1]
	s_wait_dscnt 0x0
	v_pk_mul_f32 v[106:107], v[102:103], v[94:95] op_sel:[0,1]
	v_pk_fma_f32 v[108:109], v[102:103], v[92:93], v[106:107] op_sel:[0,0,1] op_sel_hi:[1,1,0] neg_lo:[0,0,1] neg_hi:[0,0,1]
	v_pk_fma_f32 v[102:103], v[102:103], v[92:93], v[106:107] op_sel:[0,0,1] op_sel_hi:[1,0,0]
	v_dual_mul_f32 v106, v105, v95 :: v_dual_mov_b32 v102, v105
	s_delay_alu instid0(VALU_DEP_2) | instskip(NEXT) | instid1(VALU_DEP_2)
	v_dual_mov_b32 v109, v103 :: v_dual_mov_b32 v103, v104
	v_pk_fma_f32 v[106:107], v[104:105], v[78:79], v[106:107] op_sel_hi:[1,1,0] neg_lo:[0,0,1] neg_hi:[0,0,1]
	v_mul_f32_e32 v104, v105, v92
	s_delay_alu instid0(VALU_DEP_3) | instskip(NEXT) | instid1(VALU_DEP_2)
	v_pk_add_f32 v[60:61], v[60:61], v[108:109] neg_lo:[0,1] neg_hi:[0,1]
	v_pk_fma_f32 v[102:103], v[102:103], v[78:79], v[104:105] op_sel_hi:[1,1,0]
	s_delay_alu instid0(VALU_DEP_1) | instskip(SKIP_4) | instid1(VALU_DEP_1)
	v_mov_b32_e32 v107, v103
	ds_load_2addr_b64 v[102:105], v96 offset0:36 offset1:37
	v_pk_add_f32 v[58:59], v[58:59], v[106:107] neg_lo:[0,1] neg_hi:[0,1]
	s_wait_dscnt 0x0
	v_pk_mul_f32 v[106:107], v[102:103], v[94:95] op_sel:[0,1]
	v_pk_fma_f32 v[108:109], v[102:103], v[92:93], v[106:107] op_sel:[0,0,1] op_sel_hi:[1,1,0] neg_lo:[0,0,1] neg_hi:[0,0,1]
	v_pk_fma_f32 v[102:103], v[102:103], v[92:93], v[106:107] op_sel:[0,0,1] op_sel_hi:[1,0,0]
	s_delay_alu instid0(VALU_DEP_1) | instskip(SKIP_1) | instid1(VALU_DEP_1)
	v_mov_b32_e32 v109, v103
	v_pk_mul_f32 v[102:103], v[104:105], v[94:95] op_sel:[0,1]
	v_pk_fma_f32 v[106:107], v[104:105], v[92:93], v[102:103] op_sel:[0,0,1] op_sel_hi:[1,1,0] neg_lo:[0,0,1] neg_hi:[0,0,1]
	v_pk_fma_f32 v[102:103], v[104:105], v[92:93], v[102:103] op_sel:[0,0,1] op_sel_hi:[1,0,0]
	s_delay_alu instid0(VALU_DEP_1)
	v_mov_b32_e32 v107, v103
	ds_load_2addr_b64 v[102:105], v96 offset0:38 offset1:39
	v_pk_add_f32 v[82:83], v[82:83], v[108:109] neg_lo:[0,1] neg_hi:[0,1]
	v_pk_add_f32 v[80:81], v[80:81], v[106:107] neg_lo:[0,1] neg_hi:[0,1]
	s_wait_dscnt 0x0
	v_pk_mul_f32 v[106:107], v[102:103], v[94:95] op_sel:[0,1]
	s_delay_alu instid0(VALU_DEP_1) | instskip(SKIP_1) | instid1(VALU_DEP_1)
	v_pk_fma_f32 v[108:109], v[102:103], v[92:93], v[106:107] op_sel:[0,0,1] op_sel_hi:[1,1,0] neg_lo:[0,0,1] neg_hi:[0,0,1]
	v_pk_fma_f32 v[102:103], v[102:103], v[92:93], v[106:107] op_sel:[0,0,1] op_sel_hi:[1,0,0]
	v_mov_b32_e32 v109, v103
	v_pk_mul_f32 v[102:103], v[104:105], v[94:95] op_sel:[0,1]
	s_delay_alu instid0(VALU_DEP_1) | instskip(SKIP_1) | instid1(VALU_DEP_1)
	v_pk_fma_f32 v[106:107], v[104:105], v[92:93], v[102:103] op_sel:[0,0,1] op_sel_hi:[1,1,0] neg_lo:[0,0,1] neg_hi:[0,0,1]
	v_pk_fma_f32 v[102:103], v[104:105], v[92:93], v[102:103] op_sel:[0,0,1] op_sel_hi:[1,0,0]
	v_mov_b32_e32 v107, v103
	ds_load_2addr_b64 v[102:105], v96 offset0:40 offset1:41
	v_pk_add_f32 v[64:65], v[64:65], v[108:109] neg_lo:[0,1] neg_hi:[0,1]
	v_pk_add_f32 v[62:63], v[62:63], v[106:107] neg_lo:[0,1] neg_hi:[0,1]
	s_wait_dscnt 0x0
	v_dual_mul_f32 v106, v103, v95 :: v_dual_mul_f32 v108, v103, v92
	s_delay_alu instid0(VALU_DEP_1) | instskip(NEXT) | instid1(VALU_DEP_2)
	v_pk_fma_f32 v[106:107], v[102:103], v[78:79], v[106:107] op_sel_hi:[1,1,0] neg_lo:[0,0,1] neg_hi:[0,0,1]
	v_pk_fma_f32 v[102:103], v[102:103], v[78:79], v[108:109] op_sel:[1,0,0] op_sel_hi:[0,1,0]
	s_delay_alu instid0(VALU_DEP_1) | instskip(SKIP_1) | instid1(VALU_DEP_2)
	v_mov_b32_e32 v107, v103
	v_pk_mul_f32 v[102:103], v[104:105], v[94:95] op_sel:[0,1]
	v_pk_add_f32 v[72:73], v[72:73], v[106:107] neg_lo:[0,1] neg_hi:[0,1]
	s_delay_alu instid0(VALU_DEP_2) | instskip(SKIP_1) | instid1(VALU_DEP_1)
	v_pk_fma_f32 v[106:107], v[104:105], v[92:93], v[102:103] op_sel:[0,0,1] op_sel_hi:[1,1,0] neg_lo:[0,0,1] neg_hi:[0,0,1]
	v_pk_fma_f32 v[102:103], v[104:105], v[92:93], v[102:103] op_sel:[0,0,1] op_sel_hi:[1,0,0]
	v_mov_b32_e32 v107, v103
	ds_load_b64 v[102:103], v96 offset:336
	v_pk_add_f32 v[70:71], v[70:71], v[106:107] neg_lo:[0,1] neg_hi:[0,1]
	s_wait_dscnt 0x0
	v_pk_mul_f32 v[94:95], v[102:103], v[94:95] op_sel:[0,1]
	s_delay_alu instid0(VALU_DEP_1) | instskip(SKIP_1) | instid1(VALU_DEP_1)
	v_pk_fma_f32 v[104:105], v[102:103], v[92:93], v[94:95] op_sel:[0,0,1] op_sel_hi:[1,1,0] neg_lo:[0,0,1] neg_hi:[0,0,1]
	v_pk_fma_f32 v[92:93], v[102:103], v[92:93], v[94:95] op_sel:[0,0,1] op_sel_hi:[1,0,0]
	v_mov_b32_e32 v105, v93
	s_delay_alu instid0(VALU_DEP_1)
	v_pk_add_f32 v[90:91], v[90:91], v[104:105] neg_lo:[0,1] neg_hi:[0,1]
.LBB84_41:
	s_or_b32 exec_lo, exec_lo, s0
	v_lshl_add_u32 v92, v100, 3, v96
	s_barrier_signal -1
	s_barrier_wait -1
	ds_store_b64 v92, v[56:57]
	s_wait_dscnt 0x0
	s_barrier_signal -1
	s_barrier_wait -1
	ds_load_b64 v[94:95], v96 offset:16
	v_mov_b32_e32 v92, 2
	s_cmp_lt_i32 s14, 4
	s_mov_b32 s0, 3
	s_cbranch_scc1 .LBB84_44
; %bb.42:
	v_add3_u32 v93, v97, 0, 24
	v_mov_b32_e32 v92, 2
.LBB84_43:                              ; =>This Inner Loop Header: Depth=1
	ds_load_b64 v[102:103], v93
	s_wait_dscnt 0x1
	v_cmp_gt_f32_e32 vcc_lo, 0, v94
	v_cndmask_b32_e64 v104, v94, -v94, vcc_lo
	v_cmp_gt_f32_e32 vcc_lo, 0, v95
	v_cndmask_b32_e64 v106, v95, -v95, vcc_lo
	s_wait_dscnt 0x0
	v_cmp_gt_f32_e32 vcc_lo, 0, v102
	v_cndmask_b32_e64 v105, v102, -v102, vcc_lo
	v_cmp_gt_f32_e32 vcc_lo, 0, v103
	v_cndmask_b32_e64 v107, v103, -v103, vcc_lo
	s_delay_alu instid0(VALU_DEP_1) | instskip(NEXT) | instid1(VALU_DEP_1)
	v_pk_add_f32 v[104:105], v[104:105], v[106:107]
	v_cmp_lt_f32_e32 vcc_lo, v104, v105
	v_dual_add_nc_u32 v93, 8, v93 :: v_dual_cndmask_b32 v95, v95, v103, vcc_lo
	v_cndmask_b32_e32 v94, v94, v102, vcc_lo
	v_cndmask_b32_e64 v92, v92, s0, vcc_lo
	s_add_co_i32 s0, s0, 1
	s_delay_alu instid0(SALU_CYCLE_1)
	s_cmp_lg_u32 s14, s0
	s_cbranch_scc1 .LBB84_43
.LBB84_44:
	s_wait_dscnt 0x0
	v_cmp_eq_f32_e32 vcc_lo, 0, v94
	v_cmp_eq_f32_e64 s0, 0, v95
	s_and_b32 s0, vcc_lo, s0
	s_delay_alu instid0(SALU_CYCLE_1) | instskip(NEXT) | instid1(SALU_CYCLE_1)
	s_and_saveexec_b32 s1, s0
	s_xor_b32 s0, exec_lo, s1
; %bb.45:
	v_cmp_ne_u32_e32 vcc_lo, 0, v98
	v_cndmask_b32_e32 v98, 3, v98, vcc_lo
; %bb.46:
	s_and_not1_saveexec_b32 s0, s0
	s_cbranch_execz .LBB84_52
; %bb.47:
	v_cmp_ngt_f32_e64 s1, |v94|, |v95|
	s_and_saveexec_b32 s15, s1
	s_delay_alu instid0(SALU_CYCLE_1)
	s_xor_b32 s1, exec_lo, s15
	s_cbranch_execz .LBB84_49
; %bb.48:
	v_div_scale_f32 v93, null, v95, v95, v94
	v_div_scale_f32 v103, vcc_lo, v94, v95, v94
	s_delay_alu instid0(VALU_DEP_2) | instskip(SKIP_1) | instid1(TRANS32_DEP_1)
	v_rcp_f32_e32 v101, v93
	v_nop
	v_fma_f32 v102, -v93, v101, 1.0
	s_delay_alu instid0(VALU_DEP_1) | instskip(NEXT) | instid1(VALU_DEP_1)
	v_fmac_f32_e32 v101, v102, v101
	v_mul_f32_e32 v102, v103, v101
	s_delay_alu instid0(VALU_DEP_1) | instskip(NEXT) | instid1(VALU_DEP_1)
	v_fma_f32 v104, -v93, v102, v103
	v_fmac_f32_e32 v102, v104, v101
	s_delay_alu instid0(VALU_DEP_1) | instskip(NEXT) | instid1(VALU_DEP_1)
	v_fma_f32 v93, -v93, v102, v103
	v_div_fmas_f32 v93, v93, v101, v102
	s_delay_alu instid0(VALU_DEP_1) | instskip(NEXT) | instid1(VALU_DEP_1)
	v_div_fixup_f32 v93, v93, v95, v94
	v_fmac_f32_e32 v95, v94, v93
	s_delay_alu instid0(VALU_DEP_1) | instskip(SKIP_1) | instid1(VALU_DEP_2)
	v_div_scale_f32 v94, null, v95, v95, 1.0
	v_div_scale_f32 v103, vcc_lo, 1.0, v95, 1.0
	v_rcp_f32_e32 v101, v94
	v_nop
	s_delay_alu instid0(TRANS32_DEP_1) | instskip(NEXT) | instid1(VALU_DEP_1)
	v_fma_f32 v102, -v94, v101, 1.0
	v_fmac_f32_e32 v101, v102, v101
	s_delay_alu instid0(VALU_DEP_1) | instskip(NEXT) | instid1(VALU_DEP_1)
	v_mul_f32_e32 v102, v103, v101
	v_fma_f32 v104, -v94, v102, v103
	s_delay_alu instid0(VALU_DEP_1) | instskip(NEXT) | instid1(VALU_DEP_1)
	v_fmac_f32_e32 v102, v104, v101
	v_fma_f32 v94, -v94, v102, v103
	s_delay_alu instid0(VALU_DEP_1) | instskip(NEXT) | instid1(VALU_DEP_1)
	v_div_fmas_f32 v94, v94, v101, v102
	v_div_fixup_f32 v95, v94, v95, 1.0
	s_delay_alu instid0(VALU_DEP_1)
	v_mul_f32_e32 v94, v93, v95
	v_xor_b32_e32 v95, 0x80000000, v95
.LBB84_49:
	s_and_not1_saveexec_b32 s1, s1
	s_cbranch_execz .LBB84_51
; %bb.50:
	s_delay_alu instid0(VALU_DEP_1) | instskip(SKIP_1) | instid1(VALU_DEP_2)
	v_div_scale_f32 v93, null, v94, v94, v95
	v_div_scale_f32 v103, vcc_lo, v95, v94, v95
	v_rcp_f32_e32 v101, v93
	v_nop
	s_delay_alu instid0(TRANS32_DEP_1) | instskip(NEXT) | instid1(VALU_DEP_1)
	v_fma_f32 v102, -v93, v101, 1.0
	v_fmac_f32_e32 v101, v102, v101
	s_delay_alu instid0(VALU_DEP_1) | instskip(NEXT) | instid1(VALU_DEP_1)
	v_mul_f32_e32 v102, v103, v101
	v_fma_f32 v104, -v93, v102, v103
	s_delay_alu instid0(VALU_DEP_1) | instskip(NEXT) | instid1(VALU_DEP_1)
	v_fmac_f32_e32 v102, v104, v101
	v_fma_f32 v93, -v93, v102, v103
	s_delay_alu instid0(VALU_DEP_1) | instskip(NEXT) | instid1(VALU_DEP_1)
	v_div_fmas_f32 v93, v93, v101, v102
	v_div_fixup_f32 v93, v93, v94, v95
	s_delay_alu instid0(VALU_DEP_1) | instskip(NEXT) | instid1(VALU_DEP_1)
	v_fmac_f32_e32 v94, v95, v93
	v_div_scale_f32 v95, null, v94, v94, 1.0
	s_delay_alu instid0(VALU_DEP_1) | instskip(SKIP_1) | instid1(TRANS32_DEP_1)
	v_rcp_f32_e32 v101, v95
	v_nop
	v_fma_f32 v102, -v95, v101, 1.0
	s_delay_alu instid0(VALU_DEP_1) | instskip(SKIP_1) | instid1(VALU_DEP_1)
	v_fmac_f32_e32 v101, v102, v101
	v_div_scale_f32 v102, vcc_lo, 1.0, v94, 1.0
	v_mul_f32_e32 v103, v102, v101
	s_delay_alu instid0(VALU_DEP_1) | instskip(NEXT) | instid1(VALU_DEP_1)
	v_fma_f32 v104, -v95, v103, v102
	v_fmac_f32_e32 v103, v104, v101
	s_delay_alu instid0(VALU_DEP_1) | instskip(NEXT) | instid1(VALU_DEP_1)
	v_fma_f32 v95, -v95, v103, v102
	v_div_fmas_f32 v95, v95, v101, v103
	s_delay_alu instid0(VALU_DEP_1) | instskip(NEXT) | instid1(VALU_DEP_1)
	v_div_fixup_f32 v94, v95, v94, 1.0
	v_mul_f32_e64 v95, v93, -v94
.LBB84_51:
	s_or_b32 exec_lo, exec_lo, s1
.LBB84_52:
	s_delay_alu instid0(SALU_CYCLE_1) | instskip(NEXT) | instid1(SALU_CYCLE_1)
	s_or_b32 exec_lo, exec_lo, s0
	s_mov_b32 s0, exec_lo
	v_cmpx_ne_u32_e64 v100, v92
	s_xor_b32 s0, exec_lo, s0
	s_cbranch_execz .LBB84_58
; %bb.53:
	s_mov_b32 s1, exec_lo
	v_cmpx_eq_u32_e32 2, v100
	s_cbranch_execz .LBB84_57
; %bb.54:
	v_cmp_ne_u32_e32 vcc_lo, 2, v92
	s_xor_b32 s15, s12, -1
	s_delay_alu instid0(SALU_CYCLE_1) | instskip(NEXT) | instid1(SALU_CYCLE_1)
	s_and_b32 s16, s15, vcc_lo
	s_and_saveexec_b32 s15, s16
	s_cbranch_execz .LBB84_56
; %bb.55:
	v_ashrrev_i32_e32 v93, 31, v92
	s_delay_alu instid0(VALU_DEP_1)
	v_lshl_add_u64 v[100:101], v[92:93], 2, v[4:5]
	s_clause 0x1
	global_load_b32 v93, v[100:101], off
	global_load_b32 v99, v[4:5], off offset:8
	s_wait_loadcnt 0x1
	global_store_b32 v[4:5], v93, off offset:8
	s_wait_loadcnt 0x0
	global_store_b32 v[100:101], v99, off
.LBB84_56:
	s_wait_xcnt 0x0
	s_or_b32 exec_lo, exec_lo, s15
	v_dual_mov_b32 v100, v92 :: v_dual_mov_b32 v99, v92
.LBB84_57:
	s_or_b32 exec_lo, exec_lo, s1
.LBB84_58:
	s_and_not1_saveexec_b32 s0, s0
	s_cbranch_execz .LBB84_60
; %bb.59:
	v_mov_b32_e32 v100, 2
	ds_store_2addr_b64 v96, v[42:43], v[16:17] offset0:3 offset1:4
	ds_store_2addr_b64 v96, v[14:15], v[8:9] offset0:5 offset1:6
	;; [unrolled: 1-line block ×20, first 2 shown]
.LBB84_60:
	s_or_b32 exec_lo, exec_lo, s0
	s_delay_alu instid0(SALU_CYCLE_1)
	s_mov_b32 s0, exec_lo
	s_wait_storecnt_dscnt 0x0
	s_barrier_signal -1
	s_barrier_wait -1
	v_cmpx_lt_i32_e32 2, v100
	s_cbranch_execz .LBB84_62
; %bb.61:
	v_pk_mul_f32 v[102:103], v[94:95], v[56:57] op_sel:[1,1] op_sel_hi:[0,1]
	s_delay_alu instid0(VALU_DEP_1)
	v_pk_fma_f32 v[92:93], v[94:95], v[56:57], v[102:103] op_sel_hi:[1,0,1] neg_lo:[0,0,1] neg_hi:[0,0,1]
	v_pk_fma_f32 v[94:95], v[94:95], v[56:57], v[102:103] op_sel_hi:[1,0,1]
	ds_load_2addr_b64 v[102:105], v96 offset0:3 offset1:4
	v_dual_mov_b32 v56, v92 :: v_dual_mov_b32 v57, v95
	s_wait_dscnt 0x0
	v_pk_mul_f32 v[106:107], v[102:103], v[94:95] op_sel:[0,1]
	s_delay_alu instid0(VALU_DEP_1) | instskip(SKIP_1) | instid1(VALU_DEP_1)
	v_pk_fma_f32 v[108:109], v[102:103], v[92:93], v[106:107] op_sel:[0,0,1] op_sel_hi:[1,1,0] neg_lo:[0,0,1] neg_hi:[0,0,1]
	v_pk_fma_f32 v[102:103], v[102:103], v[92:93], v[106:107] op_sel:[0,0,1] op_sel_hi:[1,0,0]
	v_mov_b32_e32 v109, v103
	v_pk_mul_f32 v[102:103], v[104:105], v[94:95] op_sel:[0,1]
	s_delay_alu instid0(VALU_DEP_1) | instskip(SKIP_1) | instid1(VALU_DEP_1)
	v_pk_fma_f32 v[106:107], v[104:105], v[92:93], v[102:103] op_sel:[0,0,1] op_sel_hi:[1,1,0] neg_lo:[0,0,1] neg_hi:[0,0,1]
	v_pk_fma_f32 v[102:103], v[104:105], v[92:93], v[102:103] op_sel:[0,0,1] op_sel_hi:[1,0,0]
	v_mov_b32_e32 v107, v103
	ds_load_2addr_b64 v[102:105], v96 offset0:5 offset1:6
	v_pk_add_f32 v[42:43], v[42:43], v[108:109] neg_lo:[0,1] neg_hi:[0,1]
	v_pk_add_f32 v[16:17], v[16:17], v[106:107] neg_lo:[0,1] neg_hi:[0,1]
	s_wait_dscnt 0x0
	v_pk_mul_f32 v[106:107], v[102:103], v[94:95] op_sel:[0,1]
	s_delay_alu instid0(VALU_DEP_1) | instskip(SKIP_2) | instid1(VALU_DEP_2)
	v_pk_fma_f32 v[108:109], v[102:103], v[92:93], v[106:107] op_sel:[0,0,1] op_sel_hi:[1,1,0] neg_lo:[0,0,1] neg_hi:[0,0,1]
	v_pk_fma_f32 v[102:103], v[102:103], v[92:93], v[106:107] op_sel:[0,0,1] op_sel_hi:[1,0,0]
	v_dual_mul_f32 v106, v105, v95 :: v_dual_mov_b32 v102, v105
	v_dual_mov_b32 v109, v103 :: v_dual_mov_b32 v103, v104
	s_delay_alu instid0(VALU_DEP_2) | instskip(SKIP_1) | instid1(VALU_DEP_3)
	v_pk_fma_f32 v[106:107], v[104:105], v[56:57], v[106:107] op_sel_hi:[1,1,0] neg_lo:[0,0,1] neg_hi:[0,0,1]
	v_mul_f32_e32 v104, v105, v92
	v_pk_add_f32 v[14:15], v[14:15], v[108:109] neg_lo:[0,1] neg_hi:[0,1]
	s_delay_alu instid0(VALU_DEP_2) | instskip(NEXT) | instid1(VALU_DEP_1)
	v_pk_fma_f32 v[102:103], v[102:103], v[56:57], v[104:105] op_sel_hi:[1,1,0]
	v_mov_b32_e32 v107, v103
	ds_load_2addr_b64 v[102:105], v96 offset0:7 offset1:8
	v_pk_add_f32 v[8:9], v[8:9], v[106:107] neg_lo:[0,1] neg_hi:[0,1]
	s_wait_dscnt 0x0
	v_pk_mul_f32 v[106:107], v[102:103], v[94:95] op_sel:[0,1]
	s_delay_alu instid0(VALU_DEP_1) | instskip(SKIP_1) | instid1(VALU_DEP_1)
	v_pk_fma_f32 v[108:109], v[102:103], v[92:93], v[106:107] op_sel:[0,0,1] op_sel_hi:[1,1,0] neg_lo:[0,0,1] neg_hi:[0,0,1]
	v_pk_fma_f32 v[102:103], v[102:103], v[92:93], v[106:107] op_sel:[0,0,1] op_sel_hi:[1,0,0]
	v_mov_b32_e32 v109, v103
	v_pk_mul_f32 v[102:103], v[104:105], v[94:95] op_sel:[0,1]
	s_delay_alu instid0(VALU_DEP_1) | instskip(SKIP_1) | instid1(VALU_DEP_1)
	v_pk_fma_f32 v[106:107], v[104:105], v[92:93], v[102:103] op_sel:[0,0,1] op_sel_hi:[1,1,0] neg_lo:[0,0,1] neg_hi:[0,0,1]
	v_pk_fma_f32 v[102:103], v[104:105], v[92:93], v[102:103] op_sel:[0,0,1] op_sel_hi:[1,0,0]
	v_mov_b32_e32 v107, v103
	ds_load_2addr_b64 v[102:105], v96 offset0:9 offset1:10
	v_pk_add_f32 v[6:7], v[6:7], v[108:109] neg_lo:[0,1] neg_hi:[0,1]
	v_pk_add_f32 v[24:25], v[24:25], v[106:107] neg_lo:[0,1] neg_hi:[0,1]
	s_wait_dscnt 0x0
	v_pk_mul_f32 v[106:107], v[102:103], v[94:95] op_sel:[0,1]
	s_delay_alu instid0(VALU_DEP_1) | instskip(SKIP_1) | instid1(VALU_DEP_1)
	v_pk_fma_f32 v[108:109], v[102:103], v[92:93], v[106:107] op_sel:[0,0,1] op_sel_hi:[1,1,0] neg_lo:[0,0,1] neg_hi:[0,0,1]
	v_pk_fma_f32 v[102:103], v[102:103], v[92:93], v[106:107] op_sel:[0,0,1] op_sel_hi:[1,0,0]
	v_mov_b32_e32 v109, v103
	v_pk_mul_f32 v[102:103], v[104:105], v[94:95] op_sel:[0,1]
	s_delay_alu instid0(VALU_DEP_1) | instskip(SKIP_1) | instid1(VALU_DEP_1)
	v_pk_fma_f32 v[106:107], v[104:105], v[92:93], v[102:103] op_sel:[0,0,1] op_sel_hi:[1,1,0] neg_lo:[0,0,1] neg_hi:[0,0,1]
	v_pk_fma_f32 v[102:103], v[104:105], v[92:93], v[102:103] op_sel:[0,0,1] op_sel_hi:[1,0,0]
	v_mov_b32_e32 v107, v103
	ds_load_2addr_b64 v[102:105], v96 offset0:11 offset1:12
	v_pk_add_f32 v[22:23], v[22:23], v[108:109] neg_lo:[0,1] neg_hi:[0,1]
	v_pk_add_f32 v[12:13], v[12:13], v[106:107] neg_lo:[0,1] neg_hi:[0,1]
	s_wait_dscnt 0x0
	v_dual_mul_f32 v106, v103, v95 :: v_dual_mul_f32 v108, v103, v92
	s_delay_alu instid0(VALU_DEP_1) | instskip(NEXT) | instid1(VALU_DEP_2)
	v_pk_fma_f32 v[106:107], v[102:103], v[56:57], v[106:107] op_sel_hi:[1,1,0] neg_lo:[0,0,1] neg_hi:[0,0,1]
	v_pk_fma_f32 v[102:103], v[102:103], v[56:57], v[108:109] op_sel:[1,0,0] op_sel_hi:[0,1,0]
	s_delay_alu instid0(VALU_DEP_1) | instskip(SKIP_1) | instid1(VALU_DEP_2)
	v_mov_b32_e32 v107, v103
	v_pk_mul_f32 v[102:103], v[104:105], v[94:95] op_sel:[0,1]
	v_pk_add_f32 v[10:11], v[10:11], v[106:107] neg_lo:[0,1] neg_hi:[0,1]
	s_delay_alu instid0(VALU_DEP_2) | instskip(SKIP_1) | instid1(VALU_DEP_1)
	v_pk_fma_f32 v[106:107], v[104:105], v[92:93], v[102:103] op_sel:[0,0,1] op_sel_hi:[1,1,0] neg_lo:[0,0,1] neg_hi:[0,0,1]
	v_pk_fma_f32 v[102:103], v[104:105], v[92:93], v[102:103] op_sel:[0,0,1] op_sel_hi:[1,0,0]
	v_mov_b32_e32 v107, v103
	ds_load_2addr_b64 v[102:105], v96 offset0:13 offset1:14
	v_pk_add_f32 v[36:37], v[36:37], v[106:107] neg_lo:[0,1] neg_hi:[0,1]
	s_wait_dscnt 0x0
	v_pk_mul_f32 v[106:107], v[102:103], v[94:95] op_sel:[0,1]
	s_delay_alu instid0(VALU_DEP_1) | instskip(SKIP_1) | instid1(VALU_DEP_1)
	v_pk_fma_f32 v[108:109], v[102:103], v[92:93], v[106:107] op_sel:[0,0,1] op_sel_hi:[1,1,0] neg_lo:[0,0,1] neg_hi:[0,0,1]
	v_pk_fma_f32 v[102:103], v[102:103], v[92:93], v[106:107] op_sel:[0,0,1] op_sel_hi:[1,0,0]
	v_mov_b32_e32 v109, v103
	v_pk_mul_f32 v[102:103], v[104:105], v[94:95] op_sel:[0,1]
	s_delay_alu instid0(VALU_DEP_2) | instskip(NEXT) | instid1(VALU_DEP_2)
	v_pk_add_f32 v[34:35], v[34:35], v[108:109] neg_lo:[0,1] neg_hi:[0,1]
	v_pk_fma_f32 v[106:107], v[104:105], v[92:93], v[102:103] op_sel:[0,0,1] op_sel_hi:[1,1,0] neg_lo:[0,0,1] neg_hi:[0,0,1]
	v_pk_fma_f32 v[102:103], v[104:105], v[92:93], v[102:103] op_sel:[0,0,1] op_sel_hi:[1,0,0]
	s_delay_alu instid0(VALU_DEP_1) | instskip(SKIP_4) | instid1(VALU_DEP_1)
	v_mov_b32_e32 v107, v103
	ds_load_2addr_b64 v[102:105], v96 offset0:15 offset1:16
	v_pk_add_f32 v[20:21], v[20:21], v[106:107] neg_lo:[0,1] neg_hi:[0,1]
	s_wait_dscnt 0x0
	v_pk_mul_f32 v[106:107], v[102:103], v[94:95] op_sel:[0,1]
	v_pk_fma_f32 v[108:109], v[102:103], v[92:93], v[106:107] op_sel:[0,0,1] op_sel_hi:[1,1,0] neg_lo:[0,0,1] neg_hi:[0,0,1]
	v_pk_fma_f32 v[102:103], v[102:103], v[92:93], v[106:107] op_sel:[0,0,1] op_sel_hi:[1,0,0]
	v_dual_mul_f32 v106, v105, v95 :: v_dual_mov_b32 v102, v105
	s_delay_alu instid0(VALU_DEP_2) | instskip(NEXT) | instid1(VALU_DEP_2)
	v_dual_mov_b32 v109, v103 :: v_dual_mov_b32 v103, v104
	v_pk_fma_f32 v[106:107], v[104:105], v[56:57], v[106:107] op_sel_hi:[1,1,0] neg_lo:[0,0,1] neg_hi:[0,0,1]
	v_mul_f32_e32 v104, v105, v92
	s_delay_alu instid0(VALU_DEP_3) | instskip(NEXT) | instid1(VALU_DEP_2)
	v_pk_add_f32 v[18:19], v[18:19], v[108:109] neg_lo:[0,1] neg_hi:[0,1]
	v_pk_fma_f32 v[102:103], v[102:103], v[56:57], v[104:105] op_sel_hi:[1,1,0]
	s_delay_alu instid0(VALU_DEP_1) | instskip(SKIP_4) | instid1(VALU_DEP_1)
	v_mov_b32_e32 v107, v103
	ds_load_2addr_b64 v[102:105], v96 offset0:17 offset1:18
	v_pk_add_f32 v[46:47], v[46:47], v[106:107] neg_lo:[0,1] neg_hi:[0,1]
	s_wait_dscnt 0x0
	v_pk_mul_f32 v[106:107], v[102:103], v[94:95] op_sel:[0,1]
	v_pk_fma_f32 v[108:109], v[102:103], v[92:93], v[106:107] op_sel:[0,0,1] op_sel_hi:[1,1,0] neg_lo:[0,0,1] neg_hi:[0,0,1]
	v_pk_fma_f32 v[102:103], v[102:103], v[92:93], v[106:107] op_sel:[0,0,1] op_sel_hi:[1,0,0]
	s_delay_alu instid0(VALU_DEP_1) | instskip(SKIP_1) | instid1(VALU_DEP_1)
	v_mov_b32_e32 v109, v103
	v_pk_mul_f32 v[102:103], v[104:105], v[94:95] op_sel:[0,1]
	v_pk_fma_f32 v[106:107], v[104:105], v[92:93], v[102:103] op_sel:[0,0,1] op_sel_hi:[1,1,0] neg_lo:[0,0,1] neg_hi:[0,0,1]
	v_pk_fma_f32 v[102:103], v[104:105], v[92:93], v[102:103] op_sel:[0,0,1] op_sel_hi:[1,0,0]
	s_delay_alu instid0(VALU_DEP_1)
	v_mov_b32_e32 v107, v103
	ds_load_2addr_b64 v[102:105], v96 offset0:19 offset1:20
	v_pk_add_f32 v[44:45], v[44:45], v[108:109] neg_lo:[0,1] neg_hi:[0,1]
	v_pk_add_f32 v[28:29], v[28:29], v[106:107] neg_lo:[0,1] neg_hi:[0,1]
	s_wait_dscnt 0x0
	v_pk_mul_f32 v[106:107], v[102:103], v[94:95] op_sel:[0,1]
	s_delay_alu instid0(VALU_DEP_1) | instskip(SKIP_1) | instid1(VALU_DEP_1)
	v_pk_fma_f32 v[108:109], v[102:103], v[92:93], v[106:107] op_sel:[0,0,1] op_sel_hi:[1,1,0] neg_lo:[0,0,1] neg_hi:[0,0,1]
	v_pk_fma_f32 v[102:103], v[102:103], v[92:93], v[106:107] op_sel:[0,0,1] op_sel_hi:[1,0,0]
	v_mov_b32_e32 v109, v103
	v_pk_mul_f32 v[102:103], v[104:105], v[94:95] op_sel:[0,1]
	s_delay_alu instid0(VALU_DEP_1) | instskip(SKIP_1) | instid1(VALU_DEP_1)
	v_pk_fma_f32 v[106:107], v[104:105], v[92:93], v[102:103] op_sel:[0,0,1] op_sel_hi:[1,1,0] neg_lo:[0,0,1] neg_hi:[0,0,1]
	v_pk_fma_f32 v[102:103], v[104:105], v[92:93], v[102:103] op_sel:[0,0,1] op_sel_hi:[1,0,0]
	v_mov_b32_e32 v107, v103
	ds_load_2addr_b64 v[102:105], v96 offset0:21 offset1:22
	v_pk_add_f32 v[26:27], v[26:27], v[108:109] neg_lo:[0,1] neg_hi:[0,1]
	v_pk_add_f32 v[54:55], v[54:55], v[106:107] neg_lo:[0,1] neg_hi:[0,1]
	s_wait_dscnt 0x0
	v_dual_mul_f32 v106, v103, v95 :: v_dual_mul_f32 v108, v103, v92
	s_delay_alu instid0(VALU_DEP_1) | instskip(NEXT) | instid1(VALU_DEP_2)
	v_pk_fma_f32 v[106:107], v[102:103], v[56:57], v[106:107] op_sel_hi:[1,1,0] neg_lo:[0,0,1] neg_hi:[0,0,1]
	v_pk_fma_f32 v[102:103], v[102:103], v[56:57], v[108:109] op_sel:[1,0,0] op_sel_hi:[0,1,0]
	s_delay_alu instid0(VALU_DEP_1) | instskip(SKIP_1) | instid1(VALU_DEP_2)
	v_mov_b32_e32 v107, v103
	v_pk_mul_f32 v[102:103], v[104:105], v[94:95] op_sel:[0,1]
	v_pk_add_f32 v[52:53], v[52:53], v[106:107] neg_lo:[0,1] neg_hi:[0,1]
	s_delay_alu instid0(VALU_DEP_2) | instskip(SKIP_1) | instid1(VALU_DEP_1)
	v_pk_fma_f32 v[106:107], v[104:105], v[92:93], v[102:103] op_sel:[0,0,1] op_sel_hi:[1,1,0] neg_lo:[0,0,1] neg_hi:[0,0,1]
	v_pk_fma_f32 v[102:103], v[104:105], v[92:93], v[102:103] op_sel:[0,0,1] op_sel_hi:[1,0,0]
	v_mov_b32_e32 v107, v103
	ds_load_2addr_b64 v[102:105], v96 offset0:23 offset1:24
	v_pk_add_f32 v[32:33], v[32:33], v[106:107] neg_lo:[0,1] neg_hi:[0,1]
	s_wait_dscnt 0x0
	v_pk_mul_f32 v[106:107], v[102:103], v[94:95] op_sel:[0,1]
	s_delay_alu instid0(VALU_DEP_1) | instskip(SKIP_1) | instid1(VALU_DEP_1)
	v_pk_fma_f32 v[108:109], v[102:103], v[92:93], v[106:107] op_sel:[0,0,1] op_sel_hi:[1,1,0] neg_lo:[0,0,1] neg_hi:[0,0,1]
	v_pk_fma_f32 v[102:103], v[102:103], v[92:93], v[106:107] op_sel:[0,0,1] op_sel_hi:[1,0,0]
	v_mov_b32_e32 v109, v103
	v_pk_mul_f32 v[102:103], v[104:105], v[94:95] op_sel:[0,1]
	s_delay_alu instid0(VALU_DEP_2) | instskip(NEXT) | instid1(VALU_DEP_2)
	v_pk_add_f32 v[30:31], v[30:31], v[108:109] neg_lo:[0,1] neg_hi:[0,1]
	v_pk_fma_f32 v[106:107], v[104:105], v[92:93], v[102:103] op_sel:[0,0,1] op_sel_hi:[1,1,0] neg_lo:[0,0,1] neg_hi:[0,0,1]
	v_pk_fma_f32 v[102:103], v[104:105], v[92:93], v[102:103] op_sel:[0,0,1] op_sel_hi:[1,0,0]
	s_delay_alu instid0(VALU_DEP_1) | instskip(SKIP_4) | instid1(VALU_DEP_1)
	v_mov_b32_e32 v107, v103
	ds_load_2addr_b64 v[102:105], v96 offset0:25 offset1:26
	v_pk_add_f32 v[68:69], v[68:69], v[106:107] neg_lo:[0,1] neg_hi:[0,1]
	s_wait_dscnt 0x0
	v_pk_mul_f32 v[106:107], v[102:103], v[94:95] op_sel:[0,1]
	v_pk_fma_f32 v[108:109], v[102:103], v[92:93], v[106:107] op_sel:[0,0,1] op_sel_hi:[1,1,0] neg_lo:[0,0,1] neg_hi:[0,0,1]
	v_pk_fma_f32 v[102:103], v[102:103], v[92:93], v[106:107] op_sel:[0,0,1] op_sel_hi:[1,0,0]
	v_dual_mul_f32 v106, v105, v95 :: v_dual_mov_b32 v102, v105
	s_delay_alu instid0(VALU_DEP_2) | instskip(NEXT) | instid1(VALU_DEP_2)
	v_dual_mov_b32 v109, v103 :: v_dual_mov_b32 v103, v104
	v_pk_fma_f32 v[106:107], v[104:105], v[56:57], v[106:107] op_sel_hi:[1,1,0] neg_lo:[0,0,1] neg_hi:[0,0,1]
	v_mul_f32_e32 v104, v105, v92
	s_delay_alu instid0(VALU_DEP_3) | instskip(NEXT) | instid1(VALU_DEP_2)
	v_pk_add_f32 v[66:67], v[66:67], v[108:109] neg_lo:[0,1] neg_hi:[0,1]
	v_pk_fma_f32 v[102:103], v[102:103], v[56:57], v[104:105] op_sel_hi:[1,1,0]
	s_delay_alu instid0(VALU_DEP_1) | instskip(SKIP_4) | instid1(VALU_DEP_1)
	v_mov_b32_e32 v107, v103
	ds_load_2addr_b64 v[102:105], v96 offset0:27 offset1:28
	v_pk_add_f32 v[40:41], v[40:41], v[106:107] neg_lo:[0,1] neg_hi:[0,1]
	s_wait_dscnt 0x0
	v_pk_mul_f32 v[106:107], v[102:103], v[94:95] op_sel:[0,1]
	v_pk_fma_f32 v[108:109], v[102:103], v[92:93], v[106:107] op_sel:[0,0,1] op_sel_hi:[1,1,0] neg_lo:[0,0,1] neg_hi:[0,0,1]
	v_pk_fma_f32 v[102:103], v[102:103], v[92:93], v[106:107] op_sel:[0,0,1] op_sel_hi:[1,0,0]
	s_delay_alu instid0(VALU_DEP_1) | instskip(SKIP_1) | instid1(VALU_DEP_1)
	v_mov_b32_e32 v109, v103
	v_pk_mul_f32 v[102:103], v[104:105], v[94:95] op_sel:[0,1]
	v_pk_fma_f32 v[106:107], v[104:105], v[92:93], v[102:103] op_sel:[0,0,1] op_sel_hi:[1,1,0] neg_lo:[0,0,1] neg_hi:[0,0,1]
	v_pk_fma_f32 v[102:103], v[104:105], v[92:93], v[102:103] op_sel:[0,0,1] op_sel_hi:[1,0,0]
	s_delay_alu instid0(VALU_DEP_1)
	v_mov_b32_e32 v107, v103
	ds_load_2addr_b64 v[102:105], v96 offset0:29 offset1:30
	v_pk_add_f32 v[38:39], v[38:39], v[108:109] neg_lo:[0,1] neg_hi:[0,1]
	v_pk_add_f32 v[76:77], v[76:77], v[106:107] neg_lo:[0,1] neg_hi:[0,1]
	s_wait_dscnt 0x0
	v_pk_mul_f32 v[106:107], v[102:103], v[94:95] op_sel:[0,1]
	s_delay_alu instid0(VALU_DEP_1) | instskip(SKIP_1) | instid1(VALU_DEP_1)
	v_pk_fma_f32 v[108:109], v[102:103], v[92:93], v[106:107] op_sel:[0,0,1] op_sel_hi:[1,1,0] neg_lo:[0,0,1] neg_hi:[0,0,1]
	v_pk_fma_f32 v[102:103], v[102:103], v[92:93], v[106:107] op_sel:[0,0,1] op_sel_hi:[1,0,0]
	v_mov_b32_e32 v109, v103
	v_pk_mul_f32 v[102:103], v[104:105], v[94:95] op_sel:[0,1]
	s_delay_alu instid0(VALU_DEP_1) | instskip(SKIP_1) | instid1(VALU_DEP_1)
	v_pk_fma_f32 v[106:107], v[104:105], v[92:93], v[102:103] op_sel:[0,0,1] op_sel_hi:[1,1,0] neg_lo:[0,0,1] neg_hi:[0,0,1]
	v_pk_fma_f32 v[102:103], v[104:105], v[92:93], v[102:103] op_sel:[0,0,1] op_sel_hi:[1,0,0]
	v_mov_b32_e32 v107, v103
	ds_load_2addr_b64 v[102:105], v96 offset0:31 offset1:32
	v_pk_add_f32 v[74:75], v[74:75], v[108:109] neg_lo:[0,1] neg_hi:[0,1]
	v_pk_add_f32 v[50:51], v[50:51], v[106:107] neg_lo:[0,1] neg_hi:[0,1]
	s_wait_dscnt 0x0
	v_dual_mul_f32 v106, v103, v95 :: v_dual_mul_f32 v108, v103, v92
	s_delay_alu instid0(VALU_DEP_1) | instskip(NEXT) | instid1(VALU_DEP_2)
	v_pk_fma_f32 v[106:107], v[102:103], v[56:57], v[106:107] op_sel_hi:[1,1,0] neg_lo:[0,0,1] neg_hi:[0,0,1]
	v_pk_fma_f32 v[102:103], v[102:103], v[56:57], v[108:109] op_sel:[1,0,0] op_sel_hi:[0,1,0]
	s_delay_alu instid0(VALU_DEP_1) | instskip(SKIP_1) | instid1(VALU_DEP_2)
	v_mov_b32_e32 v107, v103
	v_pk_mul_f32 v[102:103], v[104:105], v[94:95] op_sel:[0,1]
	v_pk_add_f32 v[48:49], v[48:49], v[106:107] neg_lo:[0,1] neg_hi:[0,1]
	s_delay_alu instid0(VALU_DEP_2) | instskip(SKIP_1) | instid1(VALU_DEP_1)
	v_pk_fma_f32 v[106:107], v[104:105], v[92:93], v[102:103] op_sel:[0,0,1] op_sel_hi:[1,1,0] neg_lo:[0,0,1] neg_hi:[0,0,1]
	v_pk_fma_f32 v[102:103], v[104:105], v[92:93], v[102:103] op_sel:[0,0,1] op_sel_hi:[1,0,0]
	v_mov_b32_e32 v107, v103
	ds_load_2addr_b64 v[102:105], v96 offset0:33 offset1:34
	v_pk_add_f32 v[88:89], v[88:89], v[106:107] neg_lo:[0,1] neg_hi:[0,1]
	s_wait_dscnt 0x0
	v_pk_mul_f32 v[106:107], v[102:103], v[94:95] op_sel:[0,1]
	s_delay_alu instid0(VALU_DEP_1) | instskip(SKIP_1) | instid1(VALU_DEP_1)
	v_pk_fma_f32 v[108:109], v[102:103], v[92:93], v[106:107] op_sel:[0,0,1] op_sel_hi:[1,1,0] neg_lo:[0,0,1] neg_hi:[0,0,1]
	v_pk_fma_f32 v[102:103], v[102:103], v[92:93], v[106:107] op_sel:[0,0,1] op_sel_hi:[1,0,0]
	v_mov_b32_e32 v109, v103
	v_pk_mul_f32 v[102:103], v[104:105], v[94:95] op_sel:[0,1]
	s_delay_alu instid0(VALU_DEP_2) | instskip(NEXT) | instid1(VALU_DEP_2)
	v_pk_add_f32 v[86:87], v[86:87], v[108:109] neg_lo:[0,1] neg_hi:[0,1]
	v_pk_fma_f32 v[106:107], v[104:105], v[92:93], v[102:103] op_sel:[0,0,1] op_sel_hi:[1,1,0] neg_lo:[0,0,1] neg_hi:[0,0,1]
	v_pk_fma_f32 v[102:103], v[104:105], v[92:93], v[102:103] op_sel:[0,0,1] op_sel_hi:[1,0,0]
	s_delay_alu instid0(VALU_DEP_1) | instskip(SKIP_4) | instid1(VALU_DEP_1)
	v_mov_b32_e32 v107, v103
	ds_load_2addr_b64 v[102:105], v96 offset0:35 offset1:36
	v_pk_add_f32 v[60:61], v[60:61], v[106:107] neg_lo:[0,1] neg_hi:[0,1]
	s_wait_dscnt 0x0
	v_pk_mul_f32 v[106:107], v[102:103], v[94:95] op_sel:[0,1]
	v_pk_fma_f32 v[108:109], v[102:103], v[92:93], v[106:107] op_sel:[0,0,1] op_sel_hi:[1,1,0] neg_lo:[0,0,1] neg_hi:[0,0,1]
	v_pk_fma_f32 v[102:103], v[102:103], v[92:93], v[106:107] op_sel:[0,0,1] op_sel_hi:[1,0,0]
	v_dual_mul_f32 v106, v105, v95 :: v_dual_mov_b32 v102, v105
	s_delay_alu instid0(VALU_DEP_2) | instskip(NEXT) | instid1(VALU_DEP_2)
	v_dual_mov_b32 v109, v103 :: v_dual_mov_b32 v103, v104
	v_pk_fma_f32 v[106:107], v[104:105], v[56:57], v[106:107] op_sel_hi:[1,1,0] neg_lo:[0,0,1] neg_hi:[0,0,1]
	v_mul_f32_e32 v104, v105, v92
	s_delay_alu instid0(VALU_DEP_3) | instskip(NEXT) | instid1(VALU_DEP_2)
	v_pk_add_f32 v[58:59], v[58:59], v[108:109] neg_lo:[0,1] neg_hi:[0,1]
	v_pk_fma_f32 v[102:103], v[102:103], v[56:57], v[104:105] op_sel_hi:[1,1,0]
	s_delay_alu instid0(VALU_DEP_1) | instskip(SKIP_4) | instid1(VALU_DEP_1)
	v_mov_b32_e32 v107, v103
	ds_load_2addr_b64 v[102:105], v96 offset0:37 offset1:38
	v_pk_add_f32 v[82:83], v[82:83], v[106:107] neg_lo:[0,1] neg_hi:[0,1]
	s_wait_dscnt 0x0
	v_pk_mul_f32 v[106:107], v[102:103], v[94:95] op_sel:[0,1]
	v_pk_fma_f32 v[108:109], v[102:103], v[92:93], v[106:107] op_sel:[0,0,1] op_sel_hi:[1,1,0] neg_lo:[0,0,1] neg_hi:[0,0,1]
	v_pk_fma_f32 v[102:103], v[102:103], v[92:93], v[106:107] op_sel:[0,0,1] op_sel_hi:[1,0,0]
	s_delay_alu instid0(VALU_DEP_1) | instskip(SKIP_1) | instid1(VALU_DEP_1)
	v_mov_b32_e32 v109, v103
	v_pk_mul_f32 v[102:103], v[104:105], v[94:95] op_sel:[0,1]
	v_pk_fma_f32 v[106:107], v[104:105], v[92:93], v[102:103] op_sel:[0,0,1] op_sel_hi:[1,1,0] neg_lo:[0,0,1] neg_hi:[0,0,1]
	v_pk_fma_f32 v[102:103], v[104:105], v[92:93], v[102:103] op_sel:[0,0,1] op_sel_hi:[1,0,0]
	s_delay_alu instid0(VALU_DEP_1)
	v_mov_b32_e32 v107, v103
	ds_load_2addr_b64 v[102:105], v96 offset0:39 offset1:40
	v_pk_add_f32 v[80:81], v[80:81], v[108:109] neg_lo:[0,1] neg_hi:[0,1]
	v_pk_add_f32 v[64:65], v[64:65], v[106:107] neg_lo:[0,1] neg_hi:[0,1]
	s_wait_dscnt 0x0
	v_pk_mul_f32 v[106:107], v[102:103], v[94:95] op_sel:[0,1]
	s_delay_alu instid0(VALU_DEP_1) | instskip(SKIP_1) | instid1(VALU_DEP_1)
	v_pk_fma_f32 v[108:109], v[102:103], v[92:93], v[106:107] op_sel:[0,0,1] op_sel_hi:[1,1,0] neg_lo:[0,0,1] neg_hi:[0,0,1]
	v_pk_fma_f32 v[102:103], v[102:103], v[92:93], v[106:107] op_sel:[0,0,1] op_sel_hi:[1,0,0]
	v_mov_b32_e32 v109, v103
	v_pk_mul_f32 v[102:103], v[104:105], v[94:95] op_sel:[0,1]
	s_delay_alu instid0(VALU_DEP_1) | instskip(SKIP_1) | instid1(VALU_DEP_1)
	v_pk_fma_f32 v[106:107], v[104:105], v[92:93], v[102:103] op_sel:[0,0,1] op_sel_hi:[1,1,0] neg_lo:[0,0,1] neg_hi:[0,0,1]
	v_pk_fma_f32 v[102:103], v[104:105], v[92:93], v[102:103] op_sel:[0,0,1] op_sel_hi:[1,0,0]
	v_mov_b32_e32 v107, v103
	ds_load_2addr_b64 v[102:105], v96 offset0:41 offset1:42
	v_pk_add_f32 v[62:63], v[62:63], v[108:109] neg_lo:[0,1] neg_hi:[0,1]
	v_pk_add_f32 v[72:73], v[72:73], v[106:107] neg_lo:[0,1] neg_hi:[0,1]
	s_wait_dscnt 0x0
	v_dual_mul_f32 v106, v103, v95 :: v_dual_mul_f32 v108, v103, v92
	v_pk_mul_f32 v[94:95], v[104:105], v[94:95] op_sel:[0,1]
	s_delay_alu instid0(VALU_DEP_2) | instskip(NEXT) | instid1(VALU_DEP_3)
	v_pk_fma_f32 v[106:107], v[102:103], v[56:57], v[106:107] op_sel_hi:[1,1,0] neg_lo:[0,0,1] neg_hi:[0,0,1]
	v_pk_fma_f32 v[102:103], v[102:103], v[56:57], v[108:109] op_sel:[1,0,0] op_sel_hi:[0,1,0]
	s_delay_alu instid0(VALU_DEP_1) | instskip(NEXT) | instid1(VALU_DEP_4)
	v_mov_b32_e32 v107, v103
	v_pk_fma_f32 v[102:103], v[104:105], v[92:93], v[94:95] op_sel:[0,0,1] op_sel_hi:[1,1,0] neg_lo:[0,0,1] neg_hi:[0,0,1]
	v_pk_fma_f32 v[92:93], v[104:105], v[92:93], v[94:95] op_sel:[0,0,1] op_sel_hi:[1,0,0]
	s_delay_alu instid0(VALU_DEP_1) | instskip(NEXT) | instid1(VALU_DEP_4)
	v_mov_b32_e32 v103, v93
	v_pk_add_f32 v[70:71], v[70:71], v[106:107] neg_lo:[0,1] neg_hi:[0,1]
	s_delay_alu instid0(VALU_DEP_2)
	v_pk_add_f32 v[90:91], v[90:91], v[102:103] neg_lo:[0,1] neg_hi:[0,1]
.LBB84_62:
	s_or_b32 exec_lo, exec_lo, s0
	v_lshl_add_u32 v92, v100, 3, v96
	s_barrier_signal -1
	s_barrier_wait -1
	ds_store_b64 v92, v[42:43]
	s_wait_dscnt 0x0
	s_barrier_signal -1
	s_barrier_wait -1
	ds_load_b64 v[94:95], v96 offset:24
	v_mov_b32_e32 v92, 3
	s_cmp_lt_i32 s14, 5
	s_cbranch_scc1 .LBB84_65
; %bb.63:
	v_mov_b32_e32 v92, 3
	v_add3_u32 v93, v97, 0, 32
	s_mov_b32 s0, 4
.LBB84_64:                              ; =>This Inner Loop Header: Depth=1
	ds_load_b64 v[102:103], v93
	s_wait_dscnt 0x1
	v_cmp_gt_f32_e32 vcc_lo, 0, v94
	v_cndmask_b32_e64 v104, v94, -v94, vcc_lo
	v_cmp_gt_f32_e32 vcc_lo, 0, v95
	v_cndmask_b32_e64 v106, v95, -v95, vcc_lo
	s_wait_dscnt 0x0
	v_cmp_gt_f32_e32 vcc_lo, 0, v102
	v_cndmask_b32_e64 v105, v102, -v102, vcc_lo
	v_cmp_gt_f32_e32 vcc_lo, 0, v103
	v_cndmask_b32_e64 v107, v103, -v103, vcc_lo
	s_delay_alu instid0(VALU_DEP_1) | instskip(NEXT) | instid1(VALU_DEP_1)
	v_pk_add_f32 v[104:105], v[104:105], v[106:107]
	v_cmp_lt_f32_e32 vcc_lo, v104, v105
	v_dual_add_nc_u32 v93, 8, v93 :: v_dual_cndmask_b32 v95, v95, v103, vcc_lo
	v_cndmask_b32_e32 v94, v94, v102, vcc_lo
	v_cndmask_b32_e64 v92, v92, s0, vcc_lo
	s_add_co_i32 s0, s0, 1
	s_delay_alu instid0(SALU_CYCLE_1)
	s_cmp_lg_u32 s14, s0
	s_cbranch_scc1 .LBB84_64
.LBB84_65:
	s_wait_dscnt 0x0
	v_cmp_eq_f32_e32 vcc_lo, 0, v94
	v_cmp_eq_f32_e64 s0, 0, v95
	s_and_b32 s0, vcc_lo, s0
	s_delay_alu instid0(SALU_CYCLE_1) | instskip(NEXT) | instid1(SALU_CYCLE_1)
	s_and_saveexec_b32 s1, s0
	s_xor_b32 s0, exec_lo, s1
; %bb.66:
	v_cmp_ne_u32_e32 vcc_lo, 0, v98
	v_cndmask_b32_e32 v98, 4, v98, vcc_lo
; %bb.67:
	s_and_not1_saveexec_b32 s0, s0
	s_cbranch_execz .LBB84_73
; %bb.68:
	v_cmp_ngt_f32_e64 s1, |v94|, |v95|
	s_and_saveexec_b32 s15, s1
	s_delay_alu instid0(SALU_CYCLE_1)
	s_xor_b32 s1, exec_lo, s15
	s_cbranch_execz .LBB84_70
; %bb.69:
	v_div_scale_f32 v93, null, v95, v95, v94
	v_div_scale_f32 v103, vcc_lo, v94, v95, v94
	s_delay_alu instid0(VALU_DEP_2) | instskip(SKIP_1) | instid1(TRANS32_DEP_1)
	v_rcp_f32_e32 v101, v93
	v_nop
	v_fma_f32 v102, -v93, v101, 1.0
	s_delay_alu instid0(VALU_DEP_1) | instskip(NEXT) | instid1(VALU_DEP_1)
	v_fmac_f32_e32 v101, v102, v101
	v_mul_f32_e32 v102, v103, v101
	s_delay_alu instid0(VALU_DEP_1) | instskip(NEXT) | instid1(VALU_DEP_1)
	v_fma_f32 v104, -v93, v102, v103
	v_fmac_f32_e32 v102, v104, v101
	s_delay_alu instid0(VALU_DEP_1) | instskip(NEXT) | instid1(VALU_DEP_1)
	v_fma_f32 v93, -v93, v102, v103
	v_div_fmas_f32 v93, v93, v101, v102
	s_delay_alu instid0(VALU_DEP_1) | instskip(NEXT) | instid1(VALU_DEP_1)
	v_div_fixup_f32 v93, v93, v95, v94
	v_fmac_f32_e32 v95, v94, v93
	s_delay_alu instid0(VALU_DEP_1) | instskip(SKIP_1) | instid1(VALU_DEP_2)
	v_div_scale_f32 v94, null, v95, v95, 1.0
	v_div_scale_f32 v103, vcc_lo, 1.0, v95, 1.0
	v_rcp_f32_e32 v101, v94
	v_nop
	s_delay_alu instid0(TRANS32_DEP_1) | instskip(NEXT) | instid1(VALU_DEP_1)
	v_fma_f32 v102, -v94, v101, 1.0
	v_fmac_f32_e32 v101, v102, v101
	s_delay_alu instid0(VALU_DEP_1) | instskip(NEXT) | instid1(VALU_DEP_1)
	v_mul_f32_e32 v102, v103, v101
	v_fma_f32 v104, -v94, v102, v103
	s_delay_alu instid0(VALU_DEP_1) | instskip(NEXT) | instid1(VALU_DEP_1)
	v_fmac_f32_e32 v102, v104, v101
	v_fma_f32 v94, -v94, v102, v103
	s_delay_alu instid0(VALU_DEP_1) | instskip(NEXT) | instid1(VALU_DEP_1)
	v_div_fmas_f32 v94, v94, v101, v102
	v_div_fixup_f32 v95, v94, v95, 1.0
	s_delay_alu instid0(VALU_DEP_1)
	v_mul_f32_e32 v94, v93, v95
	v_xor_b32_e32 v95, 0x80000000, v95
.LBB84_70:
	s_and_not1_saveexec_b32 s1, s1
	s_cbranch_execz .LBB84_72
; %bb.71:
	s_delay_alu instid0(VALU_DEP_1) | instskip(SKIP_1) | instid1(VALU_DEP_2)
	v_div_scale_f32 v93, null, v94, v94, v95
	v_div_scale_f32 v103, vcc_lo, v95, v94, v95
	v_rcp_f32_e32 v101, v93
	v_nop
	s_delay_alu instid0(TRANS32_DEP_1) | instskip(NEXT) | instid1(VALU_DEP_1)
	v_fma_f32 v102, -v93, v101, 1.0
	v_fmac_f32_e32 v101, v102, v101
	s_delay_alu instid0(VALU_DEP_1) | instskip(NEXT) | instid1(VALU_DEP_1)
	v_mul_f32_e32 v102, v103, v101
	v_fma_f32 v104, -v93, v102, v103
	s_delay_alu instid0(VALU_DEP_1) | instskip(NEXT) | instid1(VALU_DEP_1)
	v_fmac_f32_e32 v102, v104, v101
	v_fma_f32 v93, -v93, v102, v103
	s_delay_alu instid0(VALU_DEP_1) | instskip(NEXT) | instid1(VALU_DEP_1)
	v_div_fmas_f32 v93, v93, v101, v102
	v_div_fixup_f32 v93, v93, v94, v95
	s_delay_alu instid0(VALU_DEP_1) | instskip(NEXT) | instid1(VALU_DEP_1)
	v_fmac_f32_e32 v94, v95, v93
	v_div_scale_f32 v95, null, v94, v94, 1.0
	s_delay_alu instid0(VALU_DEP_1) | instskip(SKIP_1) | instid1(TRANS32_DEP_1)
	v_rcp_f32_e32 v101, v95
	v_nop
	v_fma_f32 v102, -v95, v101, 1.0
	s_delay_alu instid0(VALU_DEP_1) | instskip(SKIP_1) | instid1(VALU_DEP_1)
	v_fmac_f32_e32 v101, v102, v101
	v_div_scale_f32 v102, vcc_lo, 1.0, v94, 1.0
	v_mul_f32_e32 v103, v102, v101
	s_delay_alu instid0(VALU_DEP_1) | instskip(NEXT) | instid1(VALU_DEP_1)
	v_fma_f32 v104, -v95, v103, v102
	v_fmac_f32_e32 v103, v104, v101
	s_delay_alu instid0(VALU_DEP_1) | instskip(NEXT) | instid1(VALU_DEP_1)
	v_fma_f32 v95, -v95, v103, v102
	v_div_fmas_f32 v95, v95, v101, v103
	s_delay_alu instid0(VALU_DEP_1) | instskip(NEXT) | instid1(VALU_DEP_1)
	v_div_fixup_f32 v94, v95, v94, 1.0
	v_mul_f32_e64 v95, v93, -v94
.LBB84_72:
	s_or_b32 exec_lo, exec_lo, s1
.LBB84_73:
	s_delay_alu instid0(SALU_CYCLE_1) | instskip(NEXT) | instid1(SALU_CYCLE_1)
	s_or_b32 exec_lo, exec_lo, s0
	s_mov_b32 s0, exec_lo
	v_cmpx_ne_u32_e64 v100, v92
	s_xor_b32 s0, exec_lo, s0
	s_cbranch_execz .LBB84_79
; %bb.74:
	s_mov_b32 s1, exec_lo
	v_cmpx_eq_u32_e32 3, v100
	s_cbranch_execz .LBB84_78
; %bb.75:
	v_cmp_ne_u32_e32 vcc_lo, 3, v92
	s_xor_b32 s15, s12, -1
	s_delay_alu instid0(SALU_CYCLE_1) | instskip(NEXT) | instid1(SALU_CYCLE_1)
	s_and_b32 s16, s15, vcc_lo
	s_and_saveexec_b32 s15, s16
	s_cbranch_execz .LBB84_77
; %bb.76:
	v_ashrrev_i32_e32 v93, 31, v92
	s_delay_alu instid0(VALU_DEP_1)
	v_lshl_add_u64 v[100:101], v[92:93], 2, v[4:5]
	s_clause 0x1
	global_load_b32 v93, v[100:101], off
	global_load_b32 v99, v[4:5], off offset:12
	s_wait_loadcnt 0x1
	global_store_b32 v[4:5], v93, off offset:12
	s_wait_loadcnt 0x0
	global_store_b32 v[100:101], v99, off
.LBB84_77:
	s_wait_xcnt 0x0
	s_or_b32 exec_lo, exec_lo, s15
	v_dual_mov_b32 v100, v92 :: v_dual_mov_b32 v99, v92
.LBB84_78:
	s_or_b32 exec_lo, exec_lo, s1
.LBB84_79:
	s_and_not1_saveexec_b32 s0, s0
	s_cbranch_execz .LBB84_81
; %bb.80:
	v_dual_mov_b32 v92, v16 :: v_dual_mov_b32 v93, v17
	v_dual_mov_b32 v100, v14 :: v_dual_mov_b32 v101, v15
	ds_store_2addr_b64 v96, v[92:93], v[100:101] offset0:4 offset1:5
	v_dual_mov_b32 v92, v8 :: v_dual_mov_b32 v93, v9
	v_dual_mov_b32 v100, v6 :: v_dual_mov_b32 v101, v7
	ds_store_2addr_b64 v96, v[92:93], v[100:101] offset0:6 offset1:7
	;; [unrolled: 3-line block ×19, first 2 shown]
	ds_store_b64 v96, v[90:91] offset:336
	v_mov_b32_e32 v100, 3
.LBB84_81:
	s_or_b32 exec_lo, exec_lo, s0
	s_delay_alu instid0(SALU_CYCLE_1)
	s_mov_b32 s0, exec_lo
	s_wait_storecnt_dscnt 0x0
	s_barrier_signal -1
	s_barrier_wait -1
	v_cmpx_lt_i32_e32 3, v100
	s_cbranch_execz .LBB84_83
; %bb.82:
	v_pk_mul_f32 v[102:103], v[94:95], v[42:43] op_sel:[1,1] op_sel_hi:[0,1]
	s_delay_alu instid0(VALU_DEP_1)
	v_pk_fma_f32 v[92:93], v[94:95], v[42:43], v[102:103] op_sel_hi:[1,0,1] neg_lo:[0,0,1] neg_hi:[0,0,1]
	v_pk_fma_f32 v[94:95], v[94:95], v[42:43], v[102:103] op_sel_hi:[1,0,1]
	ds_load_2addr_b64 v[102:105], v96 offset0:4 offset1:5
	v_dual_mov_b32 v42, v92 :: v_dual_mov_b32 v43, v95
	s_wait_dscnt 0x0
	v_pk_mul_f32 v[106:107], v[102:103], v[94:95] op_sel:[0,1]
	s_delay_alu instid0(VALU_DEP_1) | instskip(SKIP_1) | instid1(VALU_DEP_1)
	v_pk_fma_f32 v[108:109], v[102:103], v[92:93], v[106:107] op_sel:[0,0,1] op_sel_hi:[1,1,0] neg_lo:[0,0,1] neg_hi:[0,0,1]
	v_pk_fma_f32 v[102:103], v[102:103], v[92:93], v[106:107] op_sel:[0,0,1] op_sel_hi:[1,0,0]
	v_mov_b32_e32 v109, v103
	v_pk_mul_f32 v[102:103], v[104:105], v[94:95] op_sel:[0,1]
	s_delay_alu instid0(VALU_DEP_1) | instskip(SKIP_1) | instid1(VALU_DEP_1)
	v_pk_fma_f32 v[106:107], v[104:105], v[92:93], v[102:103] op_sel:[0,0,1] op_sel_hi:[1,1,0] neg_lo:[0,0,1] neg_hi:[0,0,1]
	v_pk_fma_f32 v[102:103], v[104:105], v[92:93], v[102:103] op_sel:[0,0,1] op_sel_hi:[1,0,0]
	v_mov_b32_e32 v107, v103
	ds_load_2addr_b64 v[102:105], v96 offset0:6 offset1:7
	v_pk_add_f32 v[16:17], v[16:17], v[108:109] neg_lo:[0,1] neg_hi:[0,1]
	v_pk_add_f32 v[14:15], v[14:15], v[106:107] neg_lo:[0,1] neg_hi:[0,1]
	s_wait_dscnt 0x0
	v_pk_mul_f32 v[106:107], v[102:103], v[94:95] op_sel:[0,1]
	s_delay_alu instid0(VALU_DEP_1) | instskip(SKIP_2) | instid1(VALU_DEP_2)
	v_pk_fma_f32 v[108:109], v[102:103], v[92:93], v[106:107] op_sel:[0,0,1] op_sel_hi:[1,1,0] neg_lo:[0,0,1] neg_hi:[0,0,1]
	v_pk_fma_f32 v[102:103], v[102:103], v[92:93], v[106:107] op_sel:[0,0,1] op_sel_hi:[1,0,0]
	v_dual_mul_f32 v106, v105, v95 :: v_dual_mov_b32 v102, v105
	v_dual_mov_b32 v109, v103 :: v_dual_mov_b32 v103, v104
	s_delay_alu instid0(VALU_DEP_2) | instskip(SKIP_1) | instid1(VALU_DEP_3)
	v_pk_fma_f32 v[106:107], v[104:105], v[42:43], v[106:107] op_sel_hi:[1,1,0] neg_lo:[0,0,1] neg_hi:[0,0,1]
	v_mul_f32_e32 v104, v105, v92
	v_pk_add_f32 v[8:9], v[8:9], v[108:109] neg_lo:[0,1] neg_hi:[0,1]
	s_delay_alu instid0(VALU_DEP_2) | instskip(NEXT) | instid1(VALU_DEP_1)
	v_pk_fma_f32 v[102:103], v[102:103], v[42:43], v[104:105] op_sel_hi:[1,1,0]
	v_mov_b32_e32 v107, v103
	ds_load_2addr_b64 v[102:105], v96 offset0:8 offset1:9
	v_pk_add_f32 v[6:7], v[6:7], v[106:107] neg_lo:[0,1] neg_hi:[0,1]
	s_wait_dscnt 0x0
	v_pk_mul_f32 v[106:107], v[102:103], v[94:95] op_sel:[0,1]
	s_delay_alu instid0(VALU_DEP_1) | instskip(SKIP_1) | instid1(VALU_DEP_1)
	v_pk_fma_f32 v[108:109], v[102:103], v[92:93], v[106:107] op_sel:[0,0,1] op_sel_hi:[1,1,0] neg_lo:[0,0,1] neg_hi:[0,0,1]
	v_pk_fma_f32 v[102:103], v[102:103], v[92:93], v[106:107] op_sel:[0,0,1] op_sel_hi:[1,0,0]
	v_mov_b32_e32 v109, v103
	v_pk_mul_f32 v[102:103], v[104:105], v[94:95] op_sel:[0,1]
	s_delay_alu instid0(VALU_DEP_1) | instskip(SKIP_1) | instid1(VALU_DEP_1)
	v_pk_fma_f32 v[106:107], v[104:105], v[92:93], v[102:103] op_sel:[0,0,1] op_sel_hi:[1,1,0] neg_lo:[0,0,1] neg_hi:[0,0,1]
	v_pk_fma_f32 v[102:103], v[104:105], v[92:93], v[102:103] op_sel:[0,0,1] op_sel_hi:[1,0,0]
	v_mov_b32_e32 v107, v103
	ds_load_2addr_b64 v[102:105], v96 offset0:10 offset1:11
	v_pk_add_f32 v[24:25], v[24:25], v[108:109] neg_lo:[0,1] neg_hi:[0,1]
	v_pk_add_f32 v[22:23], v[22:23], v[106:107] neg_lo:[0,1] neg_hi:[0,1]
	s_wait_dscnt 0x0
	v_pk_mul_f32 v[106:107], v[102:103], v[94:95] op_sel:[0,1]
	s_delay_alu instid0(VALU_DEP_1) | instskip(SKIP_1) | instid1(VALU_DEP_1)
	v_pk_fma_f32 v[108:109], v[102:103], v[92:93], v[106:107] op_sel:[0,0,1] op_sel_hi:[1,1,0] neg_lo:[0,0,1] neg_hi:[0,0,1]
	v_pk_fma_f32 v[102:103], v[102:103], v[92:93], v[106:107] op_sel:[0,0,1] op_sel_hi:[1,0,0]
	v_mov_b32_e32 v109, v103
	v_pk_mul_f32 v[102:103], v[104:105], v[94:95] op_sel:[0,1]
	s_delay_alu instid0(VALU_DEP_1) | instskip(SKIP_1) | instid1(VALU_DEP_1)
	v_pk_fma_f32 v[106:107], v[104:105], v[92:93], v[102:103] op_sel:[0,0,1] op_sel_hi:[1,1,0] neg_lo:[0,0,1] neg_hi:[0,0,1]
	v_pk_fma_f32 v[102:103], v[104:105], v[92:93], v[102:103] op_sel:[0,0,1] op_sel_hi:[1,0,0]
	v_mov_b32_e32 v107, v103
	ds_load_2addr_b64 v[102:105], v96 offset0:12 offset1:13
	v_pk_add_f32 v[12:13], v[12:13], v[108:109] neg_lo:[0,1] neg_hi:[0,1]
	v_pk_add_f32 v[10:11], v[10:11], v[106:107] neg_lo:[0,1] neg_hi:[0,1]
	s_wait_dscnt 0x0
	v_dual_mul_f32 v106, v103, v95 :: v_dual_mul_f32 v108, v103, v92
	s_delay_alu instid0(VALU_DEP_1) | instskip(NEXT) | instid1(VALU_DEP_2)
	v_pk_fma_f32 v[106:107], v[102:103], v[42:43], v[106:107] op_sel_hi:[1,1,0] neg_lo:[0,0,1] neg_hi:[0,0,1]
	v_pk_fma_f32 v[102:103], v[102:103], v[42:43], v[108:109] op_sel:[1,0,0] op_sel_hi:[0,1,0]
	s_delay_alu instid0(VALU_DEP_1) | instskip(SKIP_1) | instid1(VALU_DEP_2)
	v_mov_b32_e32 v107, v103
	v_pk_mul_f32 v[102:103], v[104:105], v[94:95] op_sel:[0,1]
	v_pk_add_f32 v[36:37], v[36:37], v[106:107] neg_lo:[0,1] neg_hi:[0,1]
	s_delay_alu instid0(VALU_DEP_2) | instskip(SKIP_1) | instid1(VALU_DEP_1)
	v_pk_fma_f32 v[106:107], v[104:105], v[92:93], v[102:103] op_sel:[0,0,1] op_sel_hi:[1,1,0] neg_lo:[0,0,1] neg_hi:[0,0,1]
	v_pk_fma_f32 v[102:103], v[104:105], v[92:93], v[102:103] op_sel:[0,0,1] op_sel_hi:[1,0,0]
	v_mov_b32_e32 v107, v103
	ds_load_2addr_b64 v[102:105], v96 offset0:14 offset1:15
	v_pk_add_f32 v[34:35], v[34:35], v[106:107] neg_lo:[0,1] neg_hi:[0,1]
	s_wait_dscnt 0x0
	v_pk_mul_f32 v[106:107], v[102:103], v[94:95] op_sel:[0,1]
	s_delay_alu instid0(VALU_DEP_1) | instskip(SKIP_1) | instid1(VALU_DEP_1)
	v_pk_fma_f32 v[108:109], v[102:103], v[92:93], v[106:107] op_sel:[0,0,1] op_sel_hi:[1,1,0] neg_lo:[0,0,1] neg_hi:[0,0,1]
	v_pk_fma_f32 v[102:103], v[102:103], v[92:93], v[106:107] op_sel:[0,0,1] op_sel_hi:[1,0,0]
	v_mov_b32_e32 v109, v103
	v_pk_mul_f32 v[102:103], v[104:105], v[94:95] op_sel:[0,1]
	s_delay_alu instid0(VALU_DEP_2) | instskip(NEXT) | instid1(VALU_DEP_2)
	v_pk_add_f32 v[20:21], v[20:21], v[108:109] neg_lo:[0,1] neg_hi:[0,1]
	v_pk_fma_f32 v[106:107], v[104:105], v[92:93], v[102:103] op_sel:[0,0,1] op_sel_hi:[1,1,0] neg_lo:[0,0,1] neg_hi:[0,0,1]
	v_pk_fma_f32 v[102:103], v[104:105], v[92:93], v[102:103] op_sel:[0,0,1] op_sel_hi:[1,0,0]
	s_delay_alu instid0(VALU_DEP_1) | instskip(SKIP_4) | instid1(VALU_DEP_1)
	v_mov_b32_e32 v107, v103
	ds_load_2addr_b64 v[102:105], v96 offset0:16 offset1:17
	v_pk_add_f32 v[18:19], v[18:19], v[106:107] neg_lo:[0,1] neg_hi:[0,1]
	s_wait_dscnt 0x0
	v_pk_mul_f32 v[106:107], v[102:103], v[94:95] op_sel:[0,1]
	v_pk_fma_f32 v[108:109], v[102:103], v[92:93], v[106:107] op_sel:[0,0,1] op_sel_hi:[1,1,0] neg_lo:[0,0,1] neg_hi:[0,0,1]
	v_pk_fma_f32 v[102:103], v[102:103], v[92:93], v[106:107] op_sel:[0,0,1] op_sel_hi:[1,0,0]
	v_dual_mul_f32 v106, v105, v95 :: v_dual_mov_b32 v102, v105
	s_delay_alu instid0(VALU_DEP_2) | instskip(NEXT) | instid1(VALU_DEP_2)
	v_dual_mov_b32 v109, v103 :: v_dual_mov_b32 v103, v104
	v_pk_fma_f32 v[106:107], v[104:105], v[42:43], v[106:107] op_sel_hi:[1,1,0] neg_lo:[0,0,1] neg_hi:[0,0,1]
	v_mul_f32_e32 v104, v105, v92
	s_delay_alu instid0(VALU_DEP_3) | instskip(NEXT) | instid1(VALU_DEP_2)
	v_pk_add_f32 v[46:47], v[46:47], v[108:109] neg_lo:[0,1] neg_hi:[0,1]
	v_pk_fma_f32 v[102:103], v[102:103], v[42:43], v[104:105] op_sel_hi:[1,1,0]
	s_delay_alu instid0(VALU_DEP_1) | instskip(SKIP_4) | instid1(VALU_DEP_1)
	v_mov_b32_e32 v107, v103
	ds_load_2addr_b64 v[102:105], v96 offset0:18 offset1:19
	v_pk_add_f32 v[44:45], v[44:45], v[106:107] neg_lo:[0,1] neg_hi:[0,1]
	s_wait_dscnt 0x0
	v_pk_mul_f32 v[106:107], v[102:103], v[94:95] op_sel:[0,1]
	v_pk_fma_f32 v[108:109], v[102:103], v[92:93], v[106:107] op_sel:[0,0,1] op_sel_hi:[1,1,0] neg_lo:[0,0,1] neg_hi:[0,0,1]
	v_pk_fma_f32 v[102:103], v[102:103], v[92:93], v[106:107] op_sel:[0,0,1] op_sel_hi:[1,0,0]
	s_delay_alu instid0(VALU_DEP_1) | instskip(SKIP_1) | instid1(VALU_DEP_1)
	v_mov_b32_e32 v109, v103
	v_pk_mul_f32 v[102:103], v[104:105], v[94:95] op_sel:[0,1]
	v_pk_fma_f32 v[106:107], v[104:105], v[92:93], v[102:103] op_sel:[0,0,1] op_sel_hi:[1,1,0] neg_lo:[0,0,1] neg_hi:[0,0,1]
	v_pk_fma_f32 v[102:103], v[104:105], v[92:93], v[102:103] op_sel:[0,0,1] op_sel_hi:[1,0,0]
	s_delay_alu instid0(VALU_DEP_1)
	v_mov_b32_e32 v107, v103
	ds_load_2addr_b64 v[102:105], v96 offset0:20 offset1:21
	v_pk_add_f32 v[28:29], v[28:29], v[108:109] neg_lo:[0,1] neg_hi:[0,1]
	v_pk_add_f32 v[26:27], v[26:27], v[106:107] neg_lo:[0,1] neg_hi:[0,1]
	s_wait_dscnt 0x0
	v_pk_mul_f32 v[106:107], v[102:103], v[94:95] op_sel:[0,1]
	s_delay_alu instid0(VALU_DEP_1) | instskip(SKIP_1) | instid1(VALU_DEP_1)
	v_pk_fma_f32 v[108:109], v[102:103], v[92:93], v[106:107] op_sel:[0,0,1] op_sel_hi:[1,1,0] neg_lo:[0,0,1] neg_hi:[0,0,1]
	v_pk_fma_f32 v[102:103], v[102:103], v[92:93], v[106:107] op_sel:[0,0,1] op_sel_hi:[1,0,0]
	v_mov_b32_e32 v109, v103
	v_pk_mul_f32 v[102:103], v[104:105], v[94:95] op_sel:[0,1]
	s_delay_alu instid0(VALU_DEP_1) | instskip(SKIP_1) | instid1(VALU_DEP_1)
	v_pk_fma_f32 v[106:107], v[104:105], v[92:93], v[102:103] op_sel:[0,0,1] op_sel_hi:[1,1,0] neg_lo:[0,0,1] neg_hi:[0,0,1]
	v_pk_fma_f32 v[102:103], v[104:105], v[92:93], v[102:103] op_sel:[0,0,1] op_sel_hi:[1,0,0]
	v_mov_b32_e32 v107, v103
	ds_load_2addr_b64 v[102:105], v96 offset0:22 offset1:23
	v_pk_add_f32 v[54:55], v[54:55], v[108:109] neg_lo:[0,1] neg_hi:[0,1]
	v_pk_add_f32 v[52:53], v[52:53], v[106:107] neg_lo:[0,1] neg_hi:[0,1]
	s_wait_dscnt 0x0
	v_dual_mul_f32 v106, v103, v95 :: v_dual_mul_f32 v108, v103, v92
	s_delay_alu instid0(VALU_DEP_1) | instskip(NEXT) | instid1(VALU_DEP_2)
	v_pk_fma_f32 v[106:107], v[102:103], v[42:43], v[106:107] op_sel_hi:[1,1,0] neg_lo:[0,0,1] neg_hi:[0,0,1]
	v_pk_fma_f32 v[102:103], v[102:103], v[42:43], v[108:109] op_sel:[1,0,0] op_sel_hi:[0,1,0]
	s_delay_alu instid0(VALU_DEP_1) | instskip(SKIP_1) | instid1(VALU_DEP_2)
	v_mov_b32_e32 v107, v103
	v_pk_mul_f32 v[102:103], v[104:105], v[94:95] op_sel:[0,1]
	v_pk_add_f32 v[32:33], v[32:33], v[106:107] neg_lo:[0,1] neg_hi:[0,1]
	s_delay_alu instid0(VALU_DEP_2) | instskip(SKIP_1) | instid1(VALU_DEP_1)
	v_pk_fma_f32 v[106:107], v[104:105], v[92:93], v[102:103] op_sel:[0,0,1] op_sel_hi:[1,1,0] neg_lo:[0,0,1] neg_hi:[0,0,1]
	v_pk_fma_f32 v[102:103], v[104:105], v[92:93], v[102:103] op_sel:[0,0,1] op_sel_hi:[1,0,0]
	v_mov_b32_e32 v107, v103
	ds_load_2addr_b64 v[102:105], v96 offset0:24 offset1:25
	v_pk_add_f32 v[30:31], v[30:31], v[106:107] neg_lo:[0,1] neg_hi:[0,1]
	s_wait_dscnt 0x0
	v_pk_mul_f32 v[106:107], v[102:103], v[94:95] op_sel:[0,1]
	s_delay_alu instid0(VALU_DEP_1) | instskip(SKIP_1) | instid1(VALU_DEP_1)
	v_pk_fma_f32 v[108:109], v[102:103], v[92:93], v[106:107] op_sel:[0,0,1] op_sel_hi:[1,1,0] neg_lo:[0,0,1] neg_hi:[0,0,1]
	v_pk_fma_f32 v[102:103], v[102:103], v[92:93], v[106:107] op_sel:[0,0,1] op_sel_hi:[1,0,0]
	v_mov_b32_e32 v109, v103
	v_pk_mul_f32 v[102:103], v[104:105], v[94:95] op_sel:[0,1]
	s_delay_alu instid0(VALU_DEP_2) | instskip(NEXT) | instid1(VALU_DEP_2)
	v_pk_add_f32 v[68:69], v[68:69], v[108:109] neg_lo:[0,1] neg_hi:[0,1]
	v_pk_fma_f32 v[106:107], v[104:105], v[92:93], v[102:103] op_sel:[0,0,1] op_sel_hi:[1,1,0] neg_lo:[0,0,1] neg_hi:[0,0,1]
	v_pk_fma_f32 v[102:103], v[104:105], v[92:93], v[102:103] op_sel:[0,0,1] op_sel_hi:[1,0,0]
	s_delay_alu instid0(VALU_DEP_1) | instskip(SKIP_4) | instid1(VALU_DEP_1)
	v_mov_b32_e32 v107, v103
	ds_load_2addr_b64 v[102:105], v96 offset0:26 offset1:27
	v_pk_add_f32 v[66:67], v[66:67], v[106:107] neg_lo:[0,1] neg_hi:[0,1]
	s_wait_dscnt 0x0
	v_pk_mul_f32 v[106:107], v[102:103], v[94:95] op_sel:[0,1]
	v_pk_fma_f32 v[108:109], v[102:103], v[92:93], v[106:107] op_sel:[0,0,1] op_sel_hi:[1,1,0] neg_lo:[0,0,1] neg_hi:[0,0,1]
	v_pk_fma_f32 v[102:103], v[102:103], v[92:93], v[106:107] op_sel:[0,0,1] op_sel_hi:[1,0,0]
	v_dual_mul_f32 v106, v105, v95 :: v_dual_mov_b32 v102, v105
	s_delay_alu instid0(VALU_DEP_2) | instskip(NEXT) | instid1(VALU_DEP_2)
	v_dual_mov_b32 v109, v103 :: v_dual_mov_b32 v103, v104
	v_pk_fma_f32 v[106:107], v[104:105], v[42:43], v[106:107] op_sel_hi:[1,1,0] neg_lo:[0,0,1] neg_hi:[0,0,1]
	v_mul_f32_e32 v104, v105, v92
	s_delay_alu instid0(VALU_DEP_3) | instskip(NEXT) | instid1(VALU_DEP_2)
	v_pk_add_f32 v[40:41], v[40:41], v[108:109] neg_lo:[0,1] neg_hi:[0,1]
	v_pk_fma_f32 v[102:103], v[102:103], v[42:43], v[104:105] op_sel_hi:[1,1,0]
	s_delay_alu instid0(VALU_DEP_1) | instskip(SKIP_4) | instid1(VALU_DEP_1)
	v_mov_b32_e32 v107, v103
	ds_load_2addr_b64 v[102:105], v96 offset0:28 offset1:29
	v_pk_add_f32 v[38:39], v[38:39], v[106:107] neg_lo:[0,1] neg_hi:[0,1]
	s_wait_dscnt 0x0
	v_pk_mul_f32 v[106:107], v[102:103], v[94:95] op_sel:[0,1]
	v_pk_fma_f32 v[108:109], v[102:103], v[92:93], v[106:107] op_sel:[0,0,1] op_sel_hi:[1,1,0] neg_lo:[0,0,1] neg_hi:[0,0,1]
	v_pk_fma_f32 v[102:103], v[102:103], v[92:93], v[106:107] op_sel:[0,0,1] op_sel_hi:[1,0,0]
	s_delay_alu instid0(VALU_DEP_1) | instskip(SKIP_1) | instid1(VALU_DEP_1)
	v_mov_b32_e32 v109, v103
	v_pk_mul_f32 v[102:103], v[104:105], v[94:95] op_sel:[0,1]
	v_pk_fma_f32 v[106:107], v[104:105], v[92:93], v[102:103] op_sel:[0,0,1] op_sel_hi:[1,1,0] neg_lo:[0,0,1] neg_hi:[0,0,1]
	v_pk_fma_f32 v[102:103], v[104:105], v[92:93], v[102:103] op_sel:[0,0,1] op_sel_hi:[1,0,0]
	s_delay_alu instid0(VALU_DEP_1)
	v_mov_b32_e32 v107, v103
	ds_load_2addr_b64 v[102:105], v96 offset0:30 offset1:31
	v_pk_add_f32 v[76:77], v[76:77], v[108:109] neg_lo:[0,1] neg_hi:[0,1]
	v_pk_add_f32 v[74:75], v[74:75], v[106:107] neg_lo:[0,1] neg_hi:[0,1]
	s_wait_dscnt 0x0
	v_pk_mul_f32 v[106:107], v[102:103], v[94:95] op_sel:[0,1]
	s_delay_alu instid0(VALU_DEP_1) | instskip(SKIP_1) | instid1(VALU_DEP_1)
	v_pk_fma_f32 v[108:109], v[102:103], v[92:93], v[106:107] op_sel:[0,0,1] op_sel_hi:[1,1,0] neg_lo:[0,0,1] neg_hi:[0,0,1]
	v_pk_fma_f32 v[102:103], v[102:103], v[92:93], v[106:107] op_sel:[0,0,1] op_sel_hi:[1,0,0]
	v_mov_b32_e32 v109, v103
	v_pk_mul_f32 v[102:103], v[104:105], v[94:95] op_sel:[0,1]
	s_delay_alu instid0(VALU_DEP_1) | instskip(SKIP_1) | instid1(VALU_DEP_1)
	v_pk_fma_f32 v[106:107], v[104:105], v[92:93], v[102:103] op_sel:[0,0,1] op_sel_hi:[1,1,0] neg_lo:[0,0,1] neg_hi:[0,0,1]
	v_pk_fma_f32 v[102:103], v[104:105], v[92:93], v[102:103] op_sel:[0,0,1] op_sel_hi:[1,0,0]
	v_mov_b32_e32 v107, v103
	ds_load_2addr_b64 v[102:105], v96 offset0:32 offset1:33
	v_pk_add_f32 v[50:51], v[50:51], v[108:109] neg_lo:[0,1] neg_hi:[0,1]
	v_pk_add_f32 v[48:49], v[48:49], v[106:107] neg_lo:[0,1] neg_hi:[0,1]
	s_wait_dscnt 0x0
	v_dual_mul_f32 v106, v103, v95 :: v_dual_mul_f32 v108, v103, v92
	s_delay_alu instid0(VALU_DEP_1) | instskip(NEXT) | instid1(VALU_DEP_2)
	v_pk_fma_f32 v[106:107], v[102:103], v[42:43], v[106:107] op_sel_hi:[1,1,0] neg_lo:[0,0,1] neg_hi:[0,0,1]
	v_pk_fma_f32 v[102:103], v[102:103], v[42:43], v[108:109] op_sel:[1,0,0] op_sel_hi:[0,1,0]
	s_delay_alu instid0(VALU_DEP_1) | instskip(SKIP_1) | instid1(VALU_DEP_2)
	v_mov_b32_e32 v107, v103
	v_pk_mul_f32 v[102:103], v[104:105], v[94:95] op_sel:[0,1]
	v_pk_add_f32 v[88:89], v[88:89], v[106:107] neg_lo:[0,1] neg_hi:[0,1]
	s_delay_alu instid0(VALU_DEP_2) | instskip(SKIP_1) | instid1(VALU_DEP_1)
	v_pk_fma_f32 v[106:107], v[104:105], v[92:93], v[102:103] op_sel:[0,0,1] op_sel_hi:[1,1,0] neg_lo:[0,0,1] neg_hi:[0,0,1]
	v_pk_fma_f32 v[102:103], v[104:105], v[92:93], v[102:103] op_sel:[0,0,1] op_sel_hi:[1,0,0]
	v_mov_b32_e32 v107, v103
	ds_load_2addr_b64 v[102:105], v96 offset0:34 offset1:35
	v_pk_add_f32 v[86:87], v[86:87], v[106:107] neg_lo:[0,1] neg_hi:[0,1]
	s_wait_dscnt 0x0
	v_pk_mul_f32 v[106:107], v[102:103], v[94:95] op_sel:[0,1]
	s_delay_alu instid0(VALU_DEP_1) | instskip(SKIP_1) | instid1(VALU_DEP_1)
	v_pk_fma_f32 v[108:109], v[102:103], v[92:93], v[106:107] op_sel:[0,0,1] op_sel_hi:[1,1,0] neg_lo:[0,0,1] neg_hi:[0,0,1]
	v_pk_fma_f32 v[102:103], v[102:103], v[92:93], v[106:107] op_sel:[0,0,1] op_sel_hi:[1,0,0]
	v_mov_b32_e32 v109, v103
	v_pk_mul_f32 v[102:103], v[104:105], v[94:95] op_sel:[0,1]
	s_delay_alu instid0(VALU_DEP_2) | instskip(NEXT) | instid1(VALU_DEP_2)
	v_pk_add_f32 v[60:61], v[60:61], v[108:109] neg_lo:[0,1] neg_hi:[0,1]
	v_pk_fma_f32 v[106:107], v[104:105], v[92:93], v[102:103] op_sel:[0,0,1] op_sel_hi:[1,1,0] neg_lo:[0,0,1] neg_hi:[0,0,1]
	v_pk_fma_f32 v[102:103], v[104:105], v[92:93], v[102:103] op_sel:[0,0,1] op_sel_hi:[1,0,0]
	s_delay_alu instid0(VALU_DEP_1) | instskip(SKIP_4) | instid1(VALU_DEP_1)
	v_mov_b32_e32 v107, v103
	ds_load_2addr_b64 v[102:105], v96 offset0:36 offset1:37
	v_pk_add_f32 v[58:59], v[58:59], v[106:107] neg_lo:[0,1] neg_hi:[0,1]
	s_wait_dscnt 0x0
	v_pk_mul_f32 v[106:107], v[102:103], v[94:95] op_sel:[0,1]
	v_pk_fma_f32 v[108:109], v[102:103], v[92:93], v[106:107] op_sel:[0,0,1] op_sel_hi:[1,1,0] neg_lo:[0,0,1] neg_hi:[0,0,1]
	v_pk_fma_f32 v[102:103], v[102:103], v[92:93], v[106:107] op_sel:[0,0,1] op_sel_hi:[1,0,0]
	v_dual_mul_f32 v106, v105, v95 :: v_dual_mov_b32 v102, v105
	s_delay_alu instid0(VALU_DEP_2) | instskip(NEXT) | instid1(VALU_DEP_2)
	v_dual_mov_b32 v109, v103 :: v_dual_mov_b32 v103, v104
	v_pk_fma_f32 v[106:107], v[104:105], v[42:43], v[106:107] op_sel_hi:[1,1,0] neg_lo:[0,0,1] neg_hi:[0,0,1]
	v_mul_f32_e32 v104, v105, v92
	s_delay_alu instid0(VALU_DEP_3) | instskip(NEXT) | instid1(VALU_DEP_2)
	v_pk_add_f32 v[82:83], v[82:83], v[108:109] neg_lo:[0,1] neg_hi:[0,1]
	v_pk_fma_f32 v[102:103], v[102:103], v[42:43], v[104:105] op_sel_hi:[1,1,0]
	s_delay_alu instid0(VALU_DEP_1) | instskip(SKIP_4) | instid1(VALU_DEP_1)
	v_mov_b32_e32 v107, v103
	ds_load_2addr_b64 v[102:105], v96 offset0:38 offset1:39
	v_pk_add_f32 v[80:81], v[80:81], v[106:107] neg_lo:[0,1] neg_hi:[0,1]
	s_wait_dscnt 0x0
	v_pk_mul_f32 v[106:107], v[102:103], v[94:95] op_sel:[0,1]
	v_pk_fma_f32 v[108:109], v[102:103], v[92:93], v[106:107] op_sel:[0,0,1] op_sel_hi:[1,1,0] neg_lo:[0,0,1] neg_hi:[0,0,1]
	v_pk_fma_f32 v[102:103], v[102:103], v[92:93], v[106:107] op_sel:[0,0,1] op_sel_hi:[1,0,0]
	s_delay_alu instid0(VALU_DEP_1) | instskip(SKIP_1) | instid1(VALU_DEP_1)
	v_mov_b32_e32 v109, v103
	v_pk_mul_f32 v[102:103], v[104:105], v[94:95] op_sel:[0,1]
	v_pk_fma_f32 v[106:107], v[104:105], v[92:93], v[102:103] op_sel:[0,0,1] op_sel_hi:[1,1,0] neg_lo:[0,0,1] neg_hi:[0,0,1]
	v_pk_fma_f32 v[102:103], v[104:105], v[92:93], v[102:103] op_sel:[0,0,1] op_sel_hi:[1,0,0]
	s_delay_alu instid0(VALU_DEP_1)
	v_mov_b32_e32 v107, v103
	ds_load_2addr_b64 v[102:105], v96 offset0:40 offset1:41
	v_pk_add_f32 v[64:65], v[64:65], v[108:109] neg_lo:[0,1] neg_hi:[0,1]
	v_pk_add_f32 v[62:63], v[62:63], v[106:107] neg_lo:[0,1] neg_hi:[0,1]
	s_wait_dscnt 0x0
	v_pk_mul_f32 v[106:107], v[102:103], v[94:95] op_sel:[0,1]
	s_delay_alu instid0(VALU_DEP_1) | instskip(SKIP_1) | instid1(VALU_DEP_1)
	v_pk_fma_f32 v[108:109], v[102:103], v[92:93], v[106:107] op_sel:[0,0,1] op_sel_hi:[1,1,0] neg_lo:[0,0,1] neg_hi:[0,0,1]
	v_pk_fma_f32 v[102:103], v[102:103], v[92:93], v[106:107] op_sel:[0,0,1] op_sel_hi:[1,0,0]
	v_mov_b32_e32 v109, v103
	v_pk_mul_f32 v[102:103], v[104:105], v[94:95] op_sel:[0,1]
	s_delay_alu instid0(VALU_DEP_1) | instskip(SKIP_1) | instid1(VALU_DEP_1)
	v_pk_fma_f32 v[106:107], v[104:105], v[92:93], v[102:103] op_sel:[0,0,1] op_sel_hi:[1,1,0] neg_lo:[0,0,1] neg_hi:[0,0,1]
	v_pk_fma_f32 v[102:103], v[104:105], v[92:93], v[102:103] op_sel:[0,0,1] op_sel_hi:[1,0,0]
	v_mov_b32_e32 v107, v103
	ds_load_b64 v[102:103], v96 offset:336
	v_pk_add_f32 v[72:73], v[72:73], v[108:109] neg_lo:[0,1] neg_hi:[0,1]
	v_pk_add_f32 v[70:71], v[70:71], v[106:107] neg_lo:[0,1] neg_hi:[0,1]
	s_wait_dscnt 0x0
	v_pk_mul_f32 v[94:95], v[102:103], v[94:95] op_sel:[0,1]
	s_delay_alu instid0(VALU_DEP_1) | instskip(SKIP_1) | instid1(VALU_DEP_1)
	v_pk_fma_f32 v[104:105], v[102:103], v[92:93], v[94:95] op_sel:[0,0,1] op_sel_hi:[1,1,0] neg_lo:[0,0,1] neg_hi:[0,0,1]
	v_pk_fma_f32 v[92:93], v[102:103], v[92:93], v[94:95] op_sel:[0,0,1] op_sel_hi:[1,0,0]
	v_mov_b32_e32 v105, v93
	s_delay_alu instid0(VALU_DEP_1)
	v_pk_add_f32 v[90:91], v[90:91], v[104:105] neg_lo:[0,1] neg_hi:[0,1]
.LBB84_83:
	s_or_b32 exec_lo, exec_lo, s0
	v_lshl_add_u32 v92, v100, 3, v96
	s_barrier_signal -1
	s_barrier_wait -1
	ds_store_b64 v92, v[16:17]
	s_wait_dscnt 0x0
	s_barrier_signal -1
	s_barrier_wait -1
	ds_load_b64 v[94:95], v96 offset:32
	v_mov_b32_e32 v92, 4
	s_cmp_lt_i32 s14, 6
	s_cbranch_scc1 .LBB84_86
; %bb.84:
	v_add3_u32 v93, v97, 0, 40
	v_mov_b32_e32 v92, 4
	s_mov_b32 s0, 5
.LBB84_85:                              ; =>This Inner Loop Header: Depth=1
	ds_load_b64 v[102:103], v93
	s_wait_dscnt 0x1
	v_cmp_gt_f32_e32 vcc_lo, 0, v94
	v_cndmask_b32_e64 v104, v94, -v94, vcc_lo
	v_cmp_gt_f32_e32 vcc_lo, 0, v95
	v_cndmask_b32_e64 v106, v95, -v95, vcc_lo
	s_wait_dscnt 0x0
	v_cmp_gt_f32_e32 vcc_lo, 0, v102
	v_cndmask_b32_e64 v105, v102, -v102, vcc_lo
	v_cmp_gt_f32_e32 vcc_lo, 0, v103
	v_cndmask_b32_e64 v107, v103, -v103, vcc_lo
	s_delay_alu instid0(VALU_DEP_1) | instskip(NEXT) | instid1(VALU_DEP_1)
	v_pk_add_f32 v[104:105], v[104:105], v[106:107]
	v_cmp_lt_f32_e32 vcc_lo, v104, v105
	v_dual_add_nc_u32 v93, 8, v93 :: v_dual_cndmask_b32 v95, v95, v103, vcc_lo
	v_cndmask_b32_e32 v94, v94, v102, vcc_lo
	v_cndmask_b32_e64 v92, v92, s0, vcc_lo
	s_add_co_i32 s0, s0, 1
	s_delay_alu instid0(SALU_CYCLE_1)
	s_cmp_lg_u32 s14, s0
	s_cbranch_scc1 .LBB84_85
.LBB84_86:
	s_wait_dscnt 0x0
	v_cmp_eq_f32_e32 vcc_lo, 0, v94
	v_cmp_eq_f32_e64 s0, 0, v95
	s_and_b32 s0, vcc_lo, s0
	s_delay_alu instid0(SALU_CYCLE_1) | instskip(NEXT) | instid1(SALU_CYCLE_1)
	s_and_saveexec_b32 s1, s0
	s_xor_b32 s0, exec_lo, s1
; %bb.87:
	v_cmp_ne_u32_e32 vcc_lo, 0, v98
	v_cndmask_b32_e32 v98, 5, v98, vcc_lo
; %bb.88:
	s_and_not1_saveexec_b32 s0, s0
	s_cbranch_execz .LBB84_94
; %bb.89:
	v_cmp_ngt_f32_e64 s1, |v94|, |v95|
	s_and_saveexec_b32 s15, s1
	s_delay_alu instid0(SALU_CYCLE_1)
	s_xor_b32 s1, exec_lo, s15
	s_cbranch_execz .LBB84_91
; %bb.90:
	v_div_scale_f32 v93, null, v95, v95, v94
	v_div_scale_f32 v103, vcc_lo, v94, v95, v94
	s_delay_alu instid0(VALU_DEP_2) | instskip(SKIP_1) | instid1(TRANS32_DEP_1)
	v_rcp_f32_e32 v101, v93
	v_nop
	v_fma_f32 v102, -v93, v101, 1.0
	s_delay_alu instid0(VALU_DEP_1) | instskip(NEXT) | instid1(VALU_DEP_1)
	v_fmac_f32_e32 v101, v102, v101
	v_mul_f32_e32 v102, v103, v101
	s_delay_alu instid0(VALU_DEP_1) | instskip(NEXT) | instid1(VALU_DEP_1)
	v_fma_f32 v104, -v93, v102, v103
	v_fmac_f32_e32 v102, v104, v101
	s_delay_alu instid0(VALU_DEP_1) | instskip(NEXT) | instid1(VALU_DEP_1)
	v_fma_f32 v93, -v93, v102, v103
	v_div_fmas_f32 v93, v93, v101, v102
	s_delay_alu instid0(VALU_DEP_1) | instskip(NEXT) | instid1(VALU_DEP_1)
	v_div_fixup_f32 v93, v93, v95, v94
	v_fmac_f32_e32 v95, v94, v93
	s_delay_alu instid0(VALU_DEP_1) | instskip(SKIP_1) | instid1(VALU_DEP_2)
	v_div_scale_f32 v94, null, v95, v95, 1.0
	v_div_scale_f32 v103, vcc_lo, 1.0, v95, 1.0
	v_rcp_f32_e32 v101, v94
	v_nop
	s_delay_alu instid0(TRANS32_DEP_1) | instskip(NEXT) | instid1(VALU_DEP_1)
	v_fma_f32 v102, -v94, v101, 1.0
	v_fmac_f32_e32 v101, v102, v101
	s_delay_alu instid0(VALU_DEP_1) | instskip(NEXT) | instid1(VALU_DEP_1)
	v_mul_f32_e32 v102, v103, v101
	v_fma_f32 v104, -v94, v102, v103
	s_delay_alu instid0(VALU_DEP_1) | instskip(NEXT) | instid1(VALU_DEP_1)
	v_fmac_f32_e32 v102, v104, v101
	v_fma_f32 v94, -v94, v102, v103
	s_delay_alu instid0(VALU_DEP_1) | instskip(NEXT) | instid1(VALU_DEP_1)
	v_div_fmas_f32 v94, v94, v101, v102
	v_div_fixup_f32 v95, v94, v95, 1.0
	s_delay_alu instid0(VALU_DEP_1)
	v_mul_f32_e32 v94, v93, v95
	v_xor_b32_e32 v95, 0x80000000, v95
.LBB84_91:
	s_and_not1_saveexec_b32 s1, s1
	s_cbranch_execz .LBB84_93
; %bb.92:
	s_delay_alu instid0(VALU_DEP_1) | instskip(SKIP_1) | instid1(VALU_DEP_2)
	v_div_scale_f32 v93, null, v94, v94, v95
	v_div_scale_f32 v103, vcc_lo, v95, v94, v95
	v_rcp_f32_e32 v101, v93
	v_nop
	s_delay_alu instid0(TRANS32_DEP_1) | instskip(NEXT) | instid1(VALU_DEP_1)
	v_fma_f32 v102, -v93, v101, 1.0
	v_fmac_f32_e32 v101, v102, v101
	s_delay_alu instid0(VALU_DEP_1) | instskip(NEXT) | instid1(VALU_DEP_1)
	v_mul_f32_e32 v102, v103, v101
	v_fma_f32 v104, -v93, v102, v103
	s_delay_alu instid0(VALU_DEP_1) | instskip(NEXT) | instid1(VALU_DEP_1)
	v_fmac_f32_e32 v102, v104, v101
	v_fma_f32 v93, -v93, v102, v103
	s_delay_alu instid0(VALU_DEP_1) | instskip(NEXT) | instid1(VALU_DEP_1)
	v_div_fmas_f32 v93, v93, v101, v102
	v_div_fixup_f32 v93, v93, v94, v95
	s_delay_alu instid0(VALU_DEP_1) | instskip(NEXT) | instid1(VALU_DEP_1)
	v_fmac_f32_e32 v94, v95, v93
	v_div_scale_f32 v95, null, v94, v94, 1.0
	s_delay_alu instid0(VALU_DEP_1) | instskip(SKIP_1) | instid1(TRANS32_DEP_1)
	v_rcp_f32_e32 v101, v95
	v_nop
	v_fma_f32 v102, -v95, v101, 1.0
	s_delay_alu instid0(VALU_DEP_1) | instskip(SKIP_1) | instid1(VALU_DEP_1)
	v_fmac_f32_e32 v101, v102, v101
	v_div_scale_f32 v102, vcc_lo, 1.0, v94, 1.0
	v_mul_f32_e32 v103, v102, v101
	s_delay_alu instid0(VALU_DEP_1) | instskip(NEXT) | instid1(VALU_DEP_1)
	v_fma_f32 v104, -v95, v103, v102
	v_fmac_f32_e32 v103, v104, v101
	s_delay_alu instid0(VALU_DEP_1) | instskip(NEXT) | instid1(VALU_DEP_1)
	v_fma_f32 v95, -v95, v103, v102
	v_div_fmas_f32 v95, v95, v101, v103
	s_delay_alu instid0(VALU_DEP_1) | instskip(NEXT) | instid1(VALU_DEP_1)
	v_div_fixup_f32 v94, v95, v94, 1.0
	v_mul_f32_e64 v95, v93, -v94
.LBB84_93:
	s_or_b32 exec_lo, exec_lo, s1
.LBB84_94:
	s_delay_alu instid0(SALU_CYCLE_1) | instskip(NEXT) | instid1(SALU_CYCLE_1)
	s_or_b32 exec_lo, exec_lo, s0
	s_mov_b32 s0, exec_lo
	v_cmpx_ne_u32_e64 v100, v92
	s_xor_b32 s0, exec_lo, s0
	s_cbranch_execz .LBB84_100
; %bb.95:
	s_mov_b32 s1, exec_lo
	v_cmpx_eq_u32_e32 4, v100
	s_cbranch_execz .LBB84_99
; %bb.96:
	v_cmp_ne_u32_e32 vcc_lo, 4, v92
	s_xor_b32 s15, s12, -1
	s_delay_alu instid0(SALU_CYCLE_1) | instskip(NEXT) | instid1(SALU_CYCLE_1)
	s_and_b32 s16, s15, vcc_lo
	s_and_saveexec_b32 s15, s16
	s_cbranch_execz .LBB84_98
; %bb.97:
	v_ashrrev_i32_e32 v93, 31, v92
	s_delay_alu instid0(VALU_DEP_1)
	v_lshl_add_u64 v[100:101], v[92:93], 2, v[4:5]
	s_clause 0x1
	global_load_b32 v93, v[100:101], off
	global_load_b32 v99, v[4:5], off offset:16
	s_wait_loadcnt 0x1
	global_store_b32 v[4:5], v93, off offset:16
	s_wait_loadcnt 0x0
	global_store_b32 v[100:101], v99, off
.LBB84_98:
	s_wait_xcnt 0x0
	s_or_b32 exec_lo, exec_lo, s15
	v_dual_mov_b32 v100, v92 :: v_dual_mov_b32 v99, v92
.LBB84_99:
	s_or_b32 exec_lo, exec_lo, s1
.LBB84_100:
	s_and_not1_saveexec_b32 s0, s0
	s_cbranch_execz .LBB84_102
; %bb.101:
	v_mov_b32_e32 v100, 4
	ds_store_2addr_b64 v96, v[14:15], v[8:9] offset0:5 offset1:6
	ds_store_2addr_b64 v96, v[6:7], v[24:25] offset0:7 offset1:8
	;; [unrolled: 1-line block ×19, first 2 shown]
.LBB84_102:
	s_or_b32 exec_lo, exec_lo, s0
	s_delay_alu instid0(SALU_CYCLE_1)
	s_mov_b32 s0, exec_lo
	s_wait_storecnt_dscnt 0x0
	s_barrier_signal -1
	s_barrier_wait -1
	v_cmpx_lt_i32_e32 4, v100
	s_cbranch_execz .LBB84_104
; %bb.103:
	v_pk_mul_f32 v[102:103], v[94:95], v[16:17] op_sel:[1,1] op_sel_hi:[0,1]
	s_delay_alu instid0(VALU_DEP_1)
	v_pk_fma_f32 v[92:93], v[94:95], v[16:17], v[102:103] op_sel_hi:[1,0,1] neg_lo:[0,0,1] neg_hi:[0,0,1]
	v_pk_fma_f32 v[94:95], v[94:95], v[16:17], v[102:103] op_sel_hi:[1,0,1]
	ds_load_2addr_b64 v[102:105], v96 offset0:5 offset1:6
	v_dual_mov_b32 v16, v92 :: v_dual_mov_b32 v17, v95
	s_wait_dscnt 0x0
	v_pk_mul_f32 v[106:107], v[102:103], v[94:95] op_sel:[0,1]
	s_delay_alu instid0(VALU_DEP_1) | instskip(SKIP_1) | instid1(VALU_DEP_1)
	v_pk_fma_f32 v[108:109], v[102:103], v[92:93], v[106:107] op_sel:[0,0,1] op_sel_hi:[1,1,0] neg_lo:[0,0,1] neg_hi:[0,0,1]
	v_pk_fma_f32 v[102:103], v[102:103], v[92:93], v[106:107] op_sel:[0,0,1] op_sel_hi:[1,0,0]
	v_mov_b32_e32 v109, v103
	v_pk_mul_f32 v[102:103], v[104:105], v[94:95] op_sel:[0,1]
	s_delay_alu instid0(VALU_DEP_1) | instskip(SKIP_1) | instid1(VALU_DEP_1)
	v_pk_fma_f32 v[106:107], v[104:105], v[92:93], v[102:103] op_sel:[0,0,1] op_sel_hi:[1,1,0] neg_lo:[0,0,1] neg_hi:[0,0,1]
	v_pk_fma_f32 v[102:103], v[104:105], v[92:93], v[102:103] op_sel:[0,0,1] op_sel_hi:[1,0,0]
	v_mov_b32_e32 v107, v103
	ds_load_2addr_b64 v[102:105], v96 offset0:7 offset1:8
	v_pk_add_f32 v[14:15], v[14:15], v[108:109] neg_lo:[0,1] neg_hi:[0,1]
	v_pk_add_f32 v[8:9], v[8:9], v[106:107] neg_lo:[0,1] neg_hi:[0,1]
	s_wait_dscnt 0x0
	v_pk_mul_f32 v[106:107], v[102:103], v[94:95] op_sel:[0,1]
	s_delay_alu instid0(VALU_DEP_1) | instskip(SKIP_2) | instid1(VALU_DEP_2)
	v_pk_fma_f32 v[108:109], v[102:103], v[92:93], v[106:107] op_sel:[0,0,1] op_sel_hi:[1,1,0] neg_lo:[0,0,1] neg_hi:[0,0,1]
	v_pk_fma_f32 v[102:103], v[102:103], v[92:93], v[106:107] op_sel:[0,0,1] op_sel_hi:[1,0,0]
	v_dual_mul_f32 v106, v105, v95 :: v_dual_mov_b32 v102, v105
	v_dual_mov_b32 v109, v103 :: v_dual_mov_b32 v103, v104
	s_delay_alu instid0(VALU_DEP_2) | instskip(SKIP_1) | instid1(VALU_DEP_3)
	v_pk_fma_f32 v[106:107], v[104:105], v[16:17], v[106:107] op_sel_hi:[1,1,0] neg_lo:[0,0,1] neg_hi:[0,0,1]
	v_mul_f32_e32 v104, v105, v92
	v_pk_add_f32 v[6:7], v[6:7], v[108:109] neg_lo:[0,1] neg_hi:[0,1]
	s_delay_alu instid0(VALU_DEP_2) | instskip(NEXT) | instid1(VALU_DEP_1)
	v_pk_fma_f32 v[102:103], v[102:103], v[16:17], v[104:105] op_sel_hi:[1,1,0]
	v_mov_b32_e32 v107, v103
	ds_load_2addr_b64 v[102:105], v96 offset0:9 offset1:10
	v_pk_add_f32 v[24:25], v[24:25], v[106:107] neg_lo:[0,1] neg_hi:[0,1]
	s_wait_dscnt 0x0
	v_pk_mul_f32 v[106:107], v[102:103], v[94:95] op_sel:[0,1]
	s_delay_alu instid0(VALU_DEP_1) | instskip(SKIP_1) | instid1(VALU_DEP_1)
	v_pk_fma_f32 v[108:109], v[102:103], v[92:93], v[106:107] op_sel:[0,0,1] op_sel_hi:[1,1,0] neg_lo:[0,0,1] neg_hi:[0,0,1]
	v_pk_fma_f32 v[102:103], v[102:103], v[92:93], v[106:107] op_sel:[0,0,1] op_sel_hi:[1,0,0]
	v_mov_b32_e32 v109, v103
	v_pk_mul_f32 v[102:103], v[104:105], v[94:95] op_sel:[0,1]
	s_delay_alu instid0(VALU_DEP_1) | instskip(SKIP_1) | instid1(VALU_DEP_1)
	v_pk_fma_f32 v[106:107], v[104:105], v[92:93], v[102:103] op_sel:[0,0,1] op_sel_hi:[1,1,0] neg_lo:[0,0,1] neg_hi:[0,0,1]
	v_pk_fma_f32 v[102:103], v[104:105], v[92:93], v[102:103] op_sel:[0,0,1] op_sel_hi:[1,0,0]
	v_mov_b32_e32 v107, v103
	ds_load_2addr_b64 v[102:105], v96 offset0:11 offset1:12
	v_pk_add_f32 v[22:23], v[22:23], v[108:109] neg_lo:[0,1] neg_hi:[0,1]
	v_pk_add_f32 v[12:13], v[12:13], v[106:107] neg_lo:[0,1] neg_hi:[0,1]
	s_wait_dscnt 0x0
	v_pk_mul_f32 v[106:107], v[102:103], v[94:95] op_sel:[0,1]
	s_delay_alu instid0(VALU_DEP_1) | instskip(SKIP_1) | instid1(VALU_DEP_1)
	v_pk_fma_f32 v[108:109], v[102:103], v[92:93], v[106:107] op_sel:[0,0,1] op_sel_hi:[1,1,0] neg_lo:[0,0,1] neg_hi:[0,0,1]
	v_pk_fma_f32 v[102:103], v[102:103], v[92:93], v[106:107] op_sel:[0,0,1] op_sel_hi:[1,0,0]
	v_mov_b32_e32 v109, v103
	v_pk_mul_f32 v[102:103], v[104:105], v[94:95] op_sel:[0,1]
	s_delay_alu instid0(VALU_DEP_1) | instskip(SKIP_1) | instid1(VALU_DEP_1)
	v_pk_fma_f32 v[106:107], v[104:105], v[92:93], v[102:103] op_sel:[0,0,1] op_sel_hi:[1,1,0] neg_lo:[0,0,1] neg_hi:[0,0,1]
	v_pk_fma_f32 v[102:103], v[104:105], v[92:93], v[102:103] op_sel:[0,0,1] op_sel_hi:[1,0,0]
	v_mov_b32_e32 v107, v103
	ds_load_2addr_b64 v[102:105], v96 offset0:13 offset1:14
	v_pk_add_f32 v[10:11], v[10:11], v[108:109] neg_lo:[0,1] neg_hi:[0,1]
	v_pk_add_f32 v[36:37], v[36:37], v[106:107] neg_lo:[0,1] neg_hi:[0,1]
	s_wait_dscnt 0x0
	v_dual_mul_f32 v106, v103, v95 :: v_dual_mul_f32 v108, v103, v92
	s_delay_alu instid0(VALU_DEP_1) | instskip(NEXT) | instid1(VALU_DEP_2)
	v_pk_fma_f32 v[106:107], v[102:103], v[16:17], v[106:107] op_sel_hi:[1,1,0] neg_lo:[0,0,1] neg_hi:[0,0,1]
	v_pk_fma_f32 v[102:103], v[102:103], v[16:17], v[108:109] op_sel:[1,0,0] op_sel_hi:[0,1,0]
	s_delay_alu instid0(VALU_DEP_1) | instskip(SKIP_1) | instid1(VALU_DEP_2)
	v_mov_b32_e32 v107, v103
	v_pk_mul_f32 v[102:103], v[104:105], v[94:95] op_sel:[0,1]
	v_pk_add_f32 v[34:35], v[34:35], v[106:107] neg_lo:[0,1] neg_hi:[0,1]
	s_delay_alu instid0(VALU_DEP_2) | instskip(SKIP_1) | instid1(VALU_DEP_1)
	v_pk_fma_f32 v[106:107], v[104:105], v[92:93], v[102:103] op_sel:[0,0,1] op_sel_hi:[1,1,0] neg_lo:[0,0,1] neg_hi:[0,0,1]
	v_pk_fma_f32 v[102:103], v[104:105], v[92:93], v[102:103] op_sel:[0,0,1] op_sel_hi:[1,0,0]
	v_mov_b32_e32 v107, v103
	ds_load_2addr_b64 v[102:105], v96 offset0:15 offset1:16
	v_pk_add_f32 v[20:21], v[20:21], v[106:107] neg_lo:[0,1] neg_hi:[0,1]
	s_wait_dscnt 0x0
	v_pk_mul_f32 v[106:107], v[102:103], v[94:95] op_sel:[0,1]
	s_delay_alu instid0(VALU_DEP_1) | instskip(SKIP_1) | instid1(VALU_DEP_1)
	v_pk_fma_f32 v[108:109], v[102:103], v[92:93], v[106:107] op_sel:[0,0,1] op_sel_hi:[1,1,0] neg_lo:[0,0,1] neg_hi:[0,0,1]
	v_pk_fma_f32 v[102:103], v[102:103], v[92:93], v[106:107] op_sel:[0,0,1] op_sel_hi:[1,0,0]
	v_mov_b32_e32 v109, v103
	v_pk_mul_f32 v[102:103], v[104:105], v[94:95] op_sel:[0,1]
	s_delay_alu instid0(VALU_DEP_2) | instskip(NEXT) | instid1(VALU_DEP_2)
	v_pk_add_f32 v[18:19], v[18:19], v[108:109] neg_lo:[0,1] neg_hi:[0,1]
	v_pk_fma_f32 v[106:107], v[104:105], v[92:93], v[102:103] op_sel:[0,0,1] op_sel_hi:[1,1,0] neg_lo:[0,0,1] neg_hi:[0,0,1]
	v_pk_fma_f32 v[102:103], v[104:105], v[92:93], v[102:103] op_sel:[0,0,1] op_sel_hi:[1,0,0]
	s_delay_alu instid0(VALU_DEP_1) | instskip(SKIP_4) | instid1(VALU_DEP_1)
	v_mov_b32_e32 v107, v103
	ds_load_2addr_b64 v[102:105], v96 offset0:17 offset1:18
	v_pk_add_f32 v[46:47], v[46:47], v[106:107] neg_lo:[0,1] neg_hi:[0,1]
	s_wait_dscnt 0x0
	v_pk_mul_f32 v[106:107], v[102:103], v[94:95] op_sel:[0,1]
	v_pk_fma_f32 v[108:109], v[102:103], v[92:93], v[106:107] op_sel:[0,0,1] op_sel_hi:[1,1,0] neg_lo:[0,0,1] neg_hi:[0,0,1]
	v_pk_fma_f32 v[102:103], v[102:103], v[92:93], v[106:107] op_sel:[0,0,1] op_sel_hi:[1,0,0]
	v_dual_mul_f32 v106, v105, v95 :: v_dual_mov_b32 v102, v105
	s_delay_alu instid0(VALU_DEP_2) | instskip(NEXT) | instid1(VALU_DEP_2)
	v_dual_mov_b32 v109, v103 :: v_dual_mov_b32 v103, v104
	v_pk_fma_f32 v[106:107], v[104:105], v[16:17], v[106:107] op_sel_hi:[1,1,0] neg_lo:[0,0,1] neg_hi:[0,0,1]
	v_mul_f32_e32 v104, v105, v92
	s_delay_alu instid0(VALU_DEP_3) | instskip(NEXT) | instid1(VALU_DEP_2)
	v_pk_add_f32 v[44:45], v[44:45], v[108:109] neg_lo:[0,1] neg_hi:[0,1]
	v_pk_fma_f32 v[102:103], v[102:103], v[16:17], v[104:105] op_sel_hi:[1,1,0]
	s_delay_alu instid0(VALU_DEP_1) | instskip(SKIP_4) | instid1(VALU_DEP_1)
	v_mov_b32_e32 v107, v103
	ds_load_2addr_b64 v[102:105], v96 offset0:19 offset1:20
	v_pk_add_f32 v[28:29], v[28:29], v[106:107] neg_lo:[0,1] neg_hi:[0,1]
	s_wait_dscnt 0x0
	v_pk_mul_f32 v[106:107], v[102:103], v[94:95] op_sel:[0,1]
	v_pk_fma_f32 v[108:109], v[102:103], v[92:93], v[106:107] op_sel:[0,0,1] op_sel_hi:[1,1,0] neg_lo:[0,0,1] neg_hi:[0,0,1]
	v_pk_fma_f32 v[102:103], v[102:103], v[92:93], v[106:107] op_sel:[0,0,1] op_sel_hi:[1,0,0]
	s_delay_alu instid0(VALU_DEP_1) | instskip(SKIP_1) | instid1(VALU_DEP_1)
	v_mov_b32_e32 v109, v103
	v_pk_mul_f32 v[102:103], v[104:105], v[94:95] op_sel:[0,1]
	v_pk_fma_f32 v[106:107], v[104:105], v[92:93], v[102:103] op_sel:[0,0,1] op_sel_hi:[1,1,0] neg_lo:[0,0,1] neg_hi:[0,0,1]
	v_pk_fma_f32 v[102:103], v[104:105], v[92:93], v[102:103] op_sel:[0,0,1] op_sel_hi:[1,0,0]
	s_delay_alu instid0(VALU_DEP_1)
	v_mov_b32_e32 v107, v103
	ds_load_2addr_b64 v[102:105], v96 offset0:21 offset1:22
	v_pk_add_f32 v[26:27], v[26:27], v[108:109] neg_lo:[0,1] neg_hi:[0,1]
	v_pk_add_f32 v[54:55], v[54:55], v[106:107] neg_lo:[0,1] neg_hi:[0,1]
	s_wait_dscnt 0x0
	v_pk_mul_f32 v[106:107], v[102:103], v[94:95] op_sel:[0,1]
	s_delay_alu instid0(VALU_DEP_1) | instskip(SKIP_1) | instid1(VALU_DEP_1)
	v_pk_fma_f32 v[108:109], v[102:103], v[92:93], v[106:107] op_sel:[0,0,1] op_sel_hi:[1,1,0] neg_lo:[0,0,1] neg_hi:[0,0,1]
	v_pk_fma_f32 v[102:103], v[102:103], v[92:93], v[106:107] op_sel:[0,0,1] op_sel_hi:[1,0,0]
	v_mov_b32_e32 v109, v103
	v_pk_mul_f32 v[102:103], v[104:105], v[94:95] op_sel:[0,1]
	s_delay_alu instid0(VALU_DEP_1) | instskip(SKIP_1) | instid1(VALU_DEP_1)
	v_pk_fma_f32 v[106:107], v[104:105], v[92:93], v[102:103] op_sel:[0,0,1] op_sel_hi:[1,1,0] neg_lo:[0,0,1] neg_hi:[0,0,1]
	v_pk_fma_f32 v[102:103], v[104:105], v[92:93], v[102:103] op_sel:[0,0,1] op_sel_hi:[1,0,0]
	v_mov_b32_e32 v107, v103
	ds_load_2addr_b64 v[102:105], v96 offset0:23 offset1:24
	v_pk_add_f32 v[52:53], v[52:53], v[108:109] neg_lo:[0,1] neg_hi:[0,1]
	v_pk_add_f32 v[32:33], v[32:33], v[106:107] neg_lo:[0,1] neg_hi:[0,1]
	s_wait_dscnt 0x0
	v_dual_mul_f32 v106, v103, v95 :: v_dual_mul_f32 v108, v103, v92
	s_delay_alu instid0(VALU_DEP_1) | instskip(NEXT) | instid1(VALU_DEP_2)
	v_pk_fma_f32 v[106:107], v[102:103], v[16:17], v[106:107] op_sel_hi:[1,1,0] neg_lo:[0,0,1] neg_hi:[0,0,1]
	v_pk_fma_f32 v[102:103], v[102:103], v[16:17], v[108:109] op_sel:[1,0,0] op_sel_hi:[0,1,0]
	s_delay_alu instid0(VALU_DEP_1) | instskip(SKIP_1) | instid1(VALU_DEP_2)
	v_mov_b32_e32 v107, v103
	v_pk_mul_f32 v[102:103], v[104:105], v[94:95] op_sel:[0,1]
	v_pk_add_f32 v[30:31], v[30:31], v[106:107] neg_lo:[0,1] neg_hi:[0,1]
	s_delay_alu instid0(VALU_DEP_2) | instskip(SKIP_1) | instid1(VALU_DEP_1)
	v_pk_fma_f32 v[106:107], v[104:105], v[92:93], v[102:103] op_sel:[0,0,1] op_sel_hi:[1,1,0] neg_lo:[0,0,1] neg_hi:[0,0,1]
	v_pk_fma_f32 v[102:103], v[104:105], v[92:93], v[102:103] op_sel:[0,0,1] op_sel_hi:[1,0,0]
	v_mov_b32_e32 v107, v103
	ds_load_2addr_b64 v[102:105], v96 offset0:25 offset1:26
	v_pk_add_f32 v[68:69], v[68:69], v[106:107] neg_lo:[0,1] neg_hi:[0,1]
	s_wait_dscnt 0x0
	v_pk_mul_f32 v[106:107], v[102:103], v[94:95] op_sel:[0,1]
	s_delay_alu instid0(VALU_DEP_1) | instskip(SKIP_1) | instid1(VALU_DEP_1)
	v_pk_fma_f32 v[108:109], v[102:103], v[92:93], v[106:107] op_sel:[0,0,1] op_sel_hi:[1,1,0] neg_lo:[0,0,1] neg_hi:[0,0,1]
	v_pk_fma_f32 v[102:103], v[102:103], v[92:93], v[106:107] op_sel:[0,0,1] op_sel_hi:[1,0,0]
	v_mov_b32_e32 v109, v103
	v_pk_mul_f32 v[102:103], v[104:105], v[94:95] op_sel:[0,1]
	s_delay_alu instid0(VALU_DEP_2) | instskip(NEXT) | instid1(VALU_DEP_2)
	v_pk_add_f32 v[66:67], v[66:67], v[108:109] neg_lo:[0,1] neg_hi:[0,1]
	v_pk_fma_f32 v[106:107], v[104:105], v[92:93], v[102:103] op_sel:[0,0,1] op_sel_hi:[1,1,0] neg_lo:[0,0,1] neg_hi:[0,0,1]
	v_pk_fma_f32 v[102:103], v[104:105], v[92:93], v[102:103] op_sel:[0,0,1] op_sel_hi:[1,0,0]
	s_delay_alu instid0(VALU_DEP_1) | instskip(SKIP_4) | instid1(VALU_DEP_1)
	v_mov_b32_e32 v107, v103
	ds_load_2addr_b64 v[102:105], v96 offset0:27 offset1:28
	v_pk_add_f32 v[40:41], v[40:41], v[106:107] neg_lo:[0,1] neg_hi:[0,1]
	s_wait_dscnt 0x0
	v_pk_mul_f32 v[106:107], v[102:103], v[94:95] op_sel:[0,1]
	v_pk_fma_f32 v[108:109], v[102:103], v[92:93], v[106:107] op_sel:[0,0,1] op_sel_hi:[1,1,0] neg_lo:[0,0,1] neg_hi:[0,0,1]
	v_pk_fma_f32 v[102:103], v[102:103], v[92:93], v[106:107] op_sel:[0,0,1] op_sel_hi:[1,0,0]
	v_dual_mul_f32 v106, v105, v95 :: v_dual_mov_b32 v102, v105
	s_delay_alu instid0(VALU_DEP_2) | instskip(NEXT) | instid1(VALU_DEP_2)
	v_dual_mov_b32 v109, v103 :: v_dual_mov_b32 v103, v104
	v_pk_fma_f32 v[106:107], v[104:105], v[16:17], v[106:107] op_sel_hi:[1,1,0] neg_lo:[0,0,1] neg_hi:[0,0,1]
	v_mul_f32_e32 v104, v105, v92
	s_delay_alu instid0(VALU_DEP_3) | instskip(NEXT) | instid1(VALU_DEP_2)
	v_pk_add_f32 v[38:39], v[38:39], v[108:109] neg_lo:[0,1] neg_hi:[0,1]
	v_pk_fma_f32 v[102:103], v[102:103], v[16:17], v[104:105] op_sel_hi:[1,1,0]
	s_delay_alu instid0(VALU_DEP_1) | instskip(SKIP_4) | instid1(VALU_DEP_1)
	v_mov_b32_e32 v107, v103
	ds_load_2addr_b64 v[102:105], v96 offset0:29 offset1:30
	v_pk_add_f32 v[76:77], v[76:77], v[106:107] neg_lo:[0,1] neg_hi:[0,1]
	s_wait_dscnt 0x0
	v_pk_mul_f32 v[106:107], v[102:103], v[94:95] op_sel:[0,1]
	v_pk_fma_f32 v[108:109], v[102:103], v[92:93], v[106:107] op_sel:[0,0,1] op_sel_hi:[1,1,0] neg_lo:[0,0,1] neg_hi:[0,0,1]
	v_pk_fma_f32 v[102:103], v[102:103], v[92:93], v[106:107] op_sel:[0,0,1] op_sel_hi:[1,0,0]
	s_delay_alu instid0(VALU_DEP_1) | instskip(SKIP_1) | instid1(VALU_DEP_1)
	v_mov_b32_e32 v109, v103
	v_pk_mul_f32 v[102:103], v[104:105], v[94:95] op_sel:[0,1]
	v_pk_fma_f32 v[106:107], v[104:105], v[92:93], v[102:103] op_sel:[0,0,1] op_sel_hi:[1,1,0] neg_lo:[0,0,1] neg_hi:[0,0,1]
	v_pk_fma_f32 v[102:103], v[104:105], v[92:93], v[102:103] op_sel:[0,0,1] op_sel_hi:[1,0,0]
	s_delay_alu instid0(VALU_DEP_1)
	v_mov_b32_e32 v107, v103
	ds_load_2addr_b64 v[102:105], v96 offset0:31 offset1:32
	v_pk_add_f32 v[74:75], v[74:75], v[108:109] neg_lo:[0,1] neg_hi:[0,1]
	v_pk_add_f32 v[50:51], v[50:51], v[106:107] neg_lo:[0,1] neg_hi:[0,1]
	s_wait_dscnt 0x0
	v_pk_mul_f32 v[106:107], v[102:103], v[94:95] op_sel:[0,1]
	s_delay_alu instid0(VALU_DEP_1) | instskip(SKIP_1) | instid1(VALU_DEP_1)
	v_pk_fma_f32 v[108:109], v[102:103], v[92:93], v[106:107] op_sel:[0,0,1] op_sel_hi:[1,1,0] neg_lo:[0,0,1] neg_hi:[0,0,1]
	v_pk_fma_f32 v[102:103], v[102:103], v[92:93], v[106:107] op_sel:[0,0,1] op_sel_hi:[1,0,0]
	v_mov_b32_e32 v109, v103
	v_pk_mul_f32 v[102:103], v[104:105], v[94:95] op_sel:[0,1]
	s_delay_alu instid0(VALU_DEP_1) | instskip(SKIP_1) | instid1(VALU_DEP_1)
	v_pk_fma_f32 v[106:107], v[104:105], v[92:93], v[102:103] op_sel:[0,0,1] op_sel_hi:[1,1,0] neg_lo:[0,0,1] neg_hi:[0,0,1]
	v_pk_fma_f32 v[102:103], v[104:105], v[92:93], v[102:103] op_sel:[0,0,1] op_sel_hi:[1,0,0]
	v_mov_b32_e32 v107, v103
	ds_load_2addr_b64 v[102:105], v96 offset0:33 offset1:34
	v_pk_add_f32 v[48:49], v[48:49], v[108:109] neg_lo:[0,1] neg_hi:[0,1]
	v_pk_add_f32 v[88:89], v[88:89], v[106:107] neg_lo:[0,1] neg_hi:[0,1]
	s_wait_dscnt 0x0
	v_dual_mul_f32 v106, v103, v95 :: v_dual_mul_f32 v108, v103, v92
	s_delay_alu instid0(VALU_DEP_1) | instskip(NEXT) | instid1(VALU_DEP_2)
	v_pk_fma_f32 v[106:107], v[102:103], v[16:17], v[106:107] op_sel_hi:[1,1,0] neg_lo:[0,0,1] neg_hi:[0,0,1]
	v_pk_fma_f32 v[102:103], v[102:103], v[16:17], v[108:109] op_sel:[1,0,0] op_sel_hi:[0,1,0]
	s_delay_alu instid0(VALU_DEP_1) | instskip(SKIP_1) | instid1(VALU_DEP_2)
	v_mov_b32_e32 v107, v103
	v_pk_mul_f32 v[102:103], v[104:105], v[94:95] op_sel:[0,1]
	v_pk_add_f32 v[86:87], v[86:87], v[106:107] neg_lo:[0,1] neg_hi:[0,1]
	s_delay_alu instid0(VALU_DEP_2) | instskip(SKIP_1) | instid1(VALU_DEP_1)
	v_pk_fma_f32 v[106:107], v[104:105], v[92:93], v[102:103] op_sel:[0,0,1] op_sel_hi:[1,1,0] neg_lo:[0,0,1] neg_hi:[0,0,1]
	v_pk_fma_f32 v[102:103], v[104:105], v[92:93], v[102:103] op_sel:[0,0,1] op_sel_hi:[1,0,0]
	v_mov_b32_e32 v107, v103
	ds_load_2addr_b64 v[102:105], v96 offset0:35 offset1:36
	v_pk_add_f32 v[60:61], v[60:61], v[106:107] neg_lo:[0,1] neg_hi:[0,1]
	s_wait_dscnt 0x0
	v_pk_mul_f32 v[106:107], v[102:103], v[94:95] op_sel:[0,1]
	s_delay_alu instid0(VALU_DEP_1) | instskip(SKIP_1) | instid1(VALU_DEP_1)
	v_pk_fma_f32 v[108:109], v[102:103], v[92:93], v[106:107] op_sel:[0,0,1] op_sel_hi:[1,1,0] neg_lo:[0,0,1] neg_hi:[0,0,1]
	v_pk_fma_f32 v[102:103], v[102:103], v[92:93], v[106:107] op_sel:[0,0,1] op_sel_hi:[1,0,0]
	v_mov_b32_e32 v109, v103
	v_pk_mul_f32 v[102:103], v[104:105], v[94:95] op_sel:[0,1]
	s_delay_alu instid0(VALU_DEP_2) | instskip(NEXT) | instid1(VALU_DEP_2)
	v_pk_add_f32 v[58:59], v[58:59], v[108:109] neg_lo:[0,1] neg_hi:[0,1]
	v_pk_fma_f32 v[106:107], v[104:105], v[92:93], v[102:103] op_sel:[0,0,1] op_sel_hi:[1,1,0] neg_lo:[0,0,1] neg_hi:[0,0,1]
	v_pk_fma_f32 v[102:103], v[104:105], v[92:93], v[102:103] op_sel:[0,0,1] op_sel_hi:[1,0,0]
	s_delay_alu instid0(VALU_DEP_1) | instskip(SKIP_4) | instid1(VALU_DEP_1)
	v_mov_b32_e32 v107, v103
	ds_load_2addr_b64 v[102:105], v96 offset0:37 offset1:38
	v_pk_add_f32 v[82:83], v[82:83], v[106:107] neg_lo:[0,1] neg_hi:[0,1]
	s_wait_dscnt 0x0
	v_pk_mul_f32 v[106:107], v[102:103], v[94:95] op_sel:[0,1]
	v_pk_fma_f32 v[108:109], v[102:103], v[92:93], v[106:107] op_sel:[0,0,1] op_sel_hi:[1,1,0] neg_lo:[0,0,1] neg_hi:[0,0,1]
	v_pk_fma_f32 v[102:103], v[102:103], v[92:93], v[106:107] op_sel:[0,0,1] op_sel_hi:[1,0,0]
	v_dual_mul_f32 v106, v105, v95 :: v_dual_mov_b32 v102, v105
	s_delay_alu instid0(VALU_DEP_2) | instskip(NEXT) | instid1(VALU_DEP_2)
	v_dual_mov_b32 v109, v103 :: v_dual_mov_b32 v103, v104
	v_pk_fma_f32 v[106:107], v[104:105], v[16:17], v[106:107] op_sel_hi:[1,1,0] neg_lo:[0,0,1] neg_hi:[0,0,1]
	v_mul_f32_e32 v104, v105, v92
	s_delay_alu instid0(VALU_DEP_3) | instskip(NEXT) | instid1(VALU_DEP_2)
	v_pk_add_f32 v[80:81], v[80:81], v[108:109] neg_lo:[0,1] neg_hi:[0,1]
	v_pk_fma_f32 v[102:103], v[102:103], v[16:17], v[104:105] op_sel_hi:[1,1,0]
	s_delay_alu instid0(VALU_DEP_1) | instskip(SKIP_4) | instid1(VALU_DEP_1)
	v_mov_b32_e32 v107, v103
	ds_load_2addr_b64 v[102:105], v96 offset0:39 offset1:40
	v_pk_add_f32 v[64:65], v[64:65], v[106:107] neg_lo:[0,1] neg_hi:[0,1]
	s_wait_dscnt 0x0
	v_pk_mul_f32 v[106:107], v[102:103], v[94:95] op_sel:[0,1]
	v_pk_fma_f32 v[108:109], v[102:103], v[92:93], v[106:107] op_sel:[0,0,1] op_sel_hi:[1,1,0] neg_lo:[0,0,1] neg_hi:[0,0,1]
	v_pk_fma_f32 v[102:103], v[102:103], v[92:93], v[106:107] op_sel:[0,0,1] op_sel_hi:[1,0,0]
	s_delay_alu instid0(VALU_DEP_1) | instskip(SKIP_1) | instid1(VALU_DEP_1)
	v_mov_b32_e32 v109, v103
	v_pk_mul_f32 v[102:103], v[104:105], v[94:95] op_sel:[0,1]
	v_pk_fma_f32 v[106:107], v[104:105], v[92:93], v[102:103] op_sel:[0,0,1] op_sel_hi:[1,1,0] neg_lo:[0,0,1] neg_hi:[0,0,1]
	v_pk_fma_f32 v[102:103], v[104:105], v[92:93], v[102:103] op_sel:[0,0,1] op_sel_hi:[1,0,0]
	s_delay_alu instid0(VALU_DEP_1)
	v_mov_b32_e32 v107, v103
	ds_load_2addr_b64 v[102:105], v96 offset0:41 offset1:42
	v_pk_add_f32 v[62:63], v[62:63], v[108:109] neg_lo:[0,1] neg_hi:[0,1]
	v_pk_add_f32 v[72:73], v[72:73], v[106:107] neg_lo:[0,1] neg_hi:[0,1]
	s_wait_dscnt 0x0
	v_pk_mul_f32 v[106:107], v[102:103], v[94:95] op_sel:[0,1]
	v_pk_mul_f32 v[94:95], v[104:105], v[94:95] op_sel:[0,1]
	s_delay_alu instid0(VALU_DEP_2) | instskip(SKIP_1) | instid1(VALU_DEP_1)
	v_pk_fma_f32 v[108:109], v[102:103], v[92:93], v[106:107] op_sel:[0,0,1] op_sel_hi:[1,1,0] neg_lo:[0,0,1] neg_hi:[0,0,1]
	v_pk_fma_f32 v[102:103], v[102:103], v[92:93], v[106:107] op_sel:[0,0,1] op_sel_hi:[1,0,0]
	v_mov_b32_e32 v109, v103
	s_delay_alu instid0(VALU_DEP_4) | instskip(SKIP_1) | instid1(VALU_DEP_1)
	v_pk_fma_f32 v[102:103], v[104:105], v[92:93], v[94:95] op_sel:[0,0,1] op_sel_hi:[1,1,0] neg_lo:[0,0,1] neg_hi:[0,0,1]
	v_pk_fma_f32 v[92:93], v[104:105], v[92:93], v[94:95] op_sel:[0,0,1] op_sel_hi:[1,0,0]
	v_mov_b32_e32 v103, v93
	s_delay_alu instid0(VALU_DEP_4) | instskip(NEXT) | instid1(VALU_DEP_2)
	v_pk_add_f32 v[70:71], v[70:71], v[108:109] neg_lo:[0,1] neg_hi:[0,1]
	v_pk_add_f32 v[90:91], v[90:91], v[102:103] neg_lo:[0,1] neg_hi:[0,1]
.LBB84_104:
	s_or_b32 exec_lo, exec_lo, s0
	v_lshl_add_u32 v92, v100, 3, v96
	s_barrier_signal -1
	s_barrier_wait -1
	ds_store_b64 v92, v[14:15]
	s_wait_dscnt 0x0
	s_barrier_signal -1
	s_barrier_wait -1
	ds_load_b64 v[94:95], v96 offset:40
	v_mov_b32_e32 v92, 5
	s_cmp_lt_i32 s14, 7
	s_cbranch_scc1 .LBB84_107
; %bb.105:
	v_add3_u32 v93, v97, 0, 48
	v_mov_b32_e32 v92, 5
	s_mov_b32 s0, 6
.LBB84_106:                             ; =>This Inner Loop Header: Depth=1
	ds_load_b64 v[102:103], v93
	s_wait_dscnt 0x1
	v_cmp_gt_f32_e32 vcc_lo, 0, v94
	v_cndmask_b32_e64 v104, v94, -v94, vcc_lo
	v_cmp_gt_f32_e32 vcc_lo, 0, v95
	v_cndmask_b32_e64 v106, v95, -v95, vcc_lo
	s_wait_dscnt 0x0
	v_cmp_gt_f32_e32 vcc_lo, 0, v102
	v_cndmask_b32_e64 v105, v102, -v102, vcc_lo
	v_cmp_gt_f32_e32 vcc_lo, 0, v103
	v_cndmask_b32_e64 v107, v103, -v103, vcc_lo
	s_delay_alu instid0(VALU_DEP_1) | instskip(NEXT) | instid1(VALU_DEP_1)
	v_pk_add_f32 v[104:105], v[104:105], v[106:107]
	v_cmp_lt_f32_e32 vcc_lo, v104, v105
	v_dual_add_nc_u32 v93, 8, v93 :: v_dual_cndmask_b32 v95, v95, v103, vcc_lo
	v_cndmask_b32_e32 v94, v94, v102, vcc_lo
	v_cndmask_b32_e64 v92, v92, s0, vcc_lo
	s_add_co_i32 s0, s0, 1
	s_delay_alu instid0(SALU_CYCLE_1)
	s_cmp_lg_u32 s14, s0
	s_cbranch_scc1 .LBB84_106
.LBB84_107:
	s_wait_dscnt 0x0
	v_cmp_eq_f32_e32 vcc_lo, 0, v94
	v_cmp_eq_f32_e64 s0, 0, v95
	s_and_b32 s0, vcc_lo, s0
	s_delay_alu instid0(SALU_CYCLE_1) | instskip(NEXT) | instid1(SALU_CYCLE_1)
	s_and_saveexec_b32 s1, s0
	s_xor_b32 s0, exec_lo, s1
; %bb.108:
	v_cmp_ne_u32_e32 vcc_lo, 0, v98
	v_cndmask_b32_e32 v98, 6, v98, vcc_lo
; %bb.109:
	s_and_not1_saveexec_b32 s0, s0
	s_cbranch_execz .LBB84_115
; %bb.110:
	v_cmp_ngt_f32_e64 s1, |v94|, |v95|
	s_and_saveexec_b32 s15, s1
	s_delay_alu instid0(SALU_CYCLE_1)
	s_xor_b32 s1, exec_lo, s15
	s_cbranch_execz .LBB84_112
; %bb.111:
	v_div_scale_f32 v93, null, v95, v95, v94
	v_div_scale_f32 v103, vcc_lo, v94, v95, v94
	s_delay_alu instid0(VALU_DEP_2) | instskip(SKIP_1) | instid1(TRANS32_DEP_1)
	v_rcp_f32_e32 v101, v93
	v_nop
	v_fma_f32 v102, -v93, v101, 1.0
	s_delay_alu instid0(VALU_DEP_1) | instskip(NEXT) | instid1(VALU_DEP_1)
	v_fmac_f32_e32 v101, v102, v101
	v_mul_f32_e32 v102, v103, v101
	s_delay_alu instid0(VALU_DEP_1) | instskip(NEXT) | instid1(VALU_DEP_1)
	v_fma_f32 v104, -v93, v102, v103
	v_fmac_f32_e32 v102, v104, v101
	s_delay_alu instid0(VALU_DEP_1) | instskip(NEXT) | instid1(VALU_DEP_1)
	v_fma_f32 v93, -v93, v102, v103
	v_div_fmas_f32 v93, v93, v101, v102
	s_delay_alu instid0(VALU_DEP_1) | instskip(NEXT) | instid1(VALU_DEP_1)
	v_div_fixup_f32 v93, v93, v95, v94
	v_fmac_f32_e32 v95, v94, v93
	s_delay_alu instid0(VALU_DEP_1) | instskip(SKIP_1) | instid1(VALU_DEP_2)
	v_div_scale_f32 v94, null, v95, v95, 1.0
	v_div_scale_f32 v103, vcc_lo, 1.0, v95, 1.0
	v_rcp_f32_e32 v101, v94
	v_nop
	s_delay_alu instid0(TRANS32_DEP_1) | instskip(NEXT) | instid1(VALU_DEP_1)
	v_fma_f32 v102, -v94, v101, 1.0
	v_fmac_f32_e32 v101, v102, v101
	s_delay_alu instid0(VALU_DEP_1) | instskip(NEXT) | instid1(VALU_DEP_1)
	v_mul_f32_e32 v102, v103, v101
	v_fma_f32 v104, -v94, v102, v103
	s_delay_alu instid0(VALU_DEP_1) | instskip(NEXT) | instid1(VALU_DEP_1)
	v_fmac_f32_e32 v102, v104, v101
	v_fma_f32 v94, -v94, v102, v103
	s_delay_alu instid0(VALU_DEP_1) | instskip(NEXT) | instid1(VALU_DEP_1)
	v_div_fmas_f32 v94, v94, v101, v102
	v_div_fixup_f32 v95, v94, v95, 1.0
	s_delay_alu instid0(VALU_DEP_1)
	v_mul_f32_e32 v94, v93, v95
	v_xor_b32_e32 v95, 0x80000000, v95
.LBB84_112:
	s_and_not1_saveexec_b32 s1, s1
	s_cbranch_execz .LBB84_114
; %bb.113:
	s_delay_alu instid0(VALU_DEP_1) | instskip(SKIP_1) | instid1(VALU_DEP_2)
	v_div_scale_f32 v93, null, v94, v94, v95
	v_div_scale_f32 v103, vcc_lo, v95, v94, v95
	v_rcp_f32_e32 v101, v93
	v_nop
	s_delay_alu instid0(TRANS32_DEP_1) | instskip(NEXT) | instid1(VALU_DEP_1)
	v_fma_f32 v102, -v93, v101, 1.0
	v_fmac_f32_e32 v101, v102, v101
	s_delay_alu instid0(VALU_DEP_1) | instskip(NEXT) | instid1(VALU_DEP_1)
	v_mul_f32_e32 v102, v103, v101
	v_fma_f32 v104, -v93, v102, v103
	s_delay_alu instid0(VALU_DEP_1) | instskip(NEXT) | instid1(VALU_DEP_1)
	v_fmac_f32_e32 v102, v104, v101
	v_fma_f32 v93, -v93, v102, v103
	s_delay_alu instid0(VALU_DEP_1) | instskip(NEXT) | instid1(VALU_DEP_1)
	v_div_fmas_f32 v93, v93, v101, v102
	v_div_fixup_f32 v93, v93, v94, v95
	s_delay_alu instid0(VALU_DEP_1) | instskip(NEXT) | instid1(VALU_DEP_1)
	v_fmac_f32_e32 v94, v95, v93
	v_div_scale_f32 v95, null, v94, v94, 1.0
	s_delay_alu instid0(VALU_DEP_1) | instskip(SKIP_1) | instid1(TRANS32_DEP_1)
	v_rcp_f32_e32 v101, v95
	v_nop
	v_fma_f32 v102, -v95, v101, 1.0
	s_delay_alu instid0(VALU_DEP_1) | instskip(SKIP_1) | instid1(VALU_DEP_1)
	v_fmac_f32_e32 v101, v102, v101
	v_div_scale_f32 v102, vcc_lo, 1.0, v94, 1.0
	v_mul_f32_e32 v103, v102, v101
	s_delay_alu instid0(VALU_DEP_1) | instskip(NEXT) | instid1(VALU_DEP_1)
	v_fma_f32 v104, -v95, v103, v102
	v_fmac_f32_e32 v103, v104, v101
	s_delay_alu instid0(VALU_DEP_1) | instskip(NEXT) | instid1(VALU_DEP_1)
	v_fma_f32 v95, -v95, v103, v102
	v_div_fmas_f32 v95, v95, v101, v103
	s_delay_alu instid0(VALU_DEP_1) | instskip(NEXT) | instid1(VALU_DEP_1)
	v_div_fixup_f32 v94, v95, v94, 1.0
	v_mul_f32_e64 v95, v93, -v94
.LBB84_114:
	s_or_b32 exec_lo, exec_lo, s1
.LBB84_115:
	s_delay_alu instid0(SALU_CYCLE_1) | instskip(NEXT) | instid1(SALU_CYCLE_1)
	s_or_b32 exec_lo, exec_lo, s0
	s_mov_b32 s0, exec_lo
	v_cmpx_ne_u32_e64 v100, v92
	s_xor_b32 s0, exec_lo, s0
	s_cbranch_execz .LBB84_121
; %bb.116:
	s_mov_b32 s1, exec_lo
	v_cmpx_eq_u32_e32 5, v100
	s_cbranch_execz .LBB84_120
; %bb.117:
	v_cmp_ne_u32_e32 vcc_lo, 5, v92
	s_xor_b32 s15, s12, -1
	s_delay_alu instid0(SALU_CYCLE_1) | instskip(NEXT) | instid1(SALU_CYCLE_1)
	s_and_b32 s16, s15, vcc_lo
	s_and_saveexec_b32 s15, s16
	s_cbranch_execz .LBB84_119
; %bb.118:
	v_ashrrev_i32_e32 v93, 31, v92
	s_delay_alu instid0(VALU_DEP_1)
	v_lshl_add_u64 v[100:101], v[92:93], 2, v[4:5]
	s_clause 0x1
	global_load_b32 v93, v[100:101], off
	global_load_b32 v99, v[4:5], off offset:20
	s_wait_loadcnt 0x1
	global_store_b32 v[4:5], v93, off offset:20
	s_wait_loadcnt 0x0
	global_store_b32 v[100:101], v99, off
.LBB84_119:
	s_wait_xcnt 0x0
	s_or_b32 exec_lo, exec_lo, s15
	v_dual_mov_b32 v100, v92 :: v_dual_mov_b32 v99, v92
.LBB84_120:
	s_or_b32 exec_lo, exec_lo, s1
.LBB84_121:
	s_and_not1_saveexec_b32 s0, s0
	s_cbranch_execz .LBB84_123
; %bb.122:
	v_dual_mov_b32 v92, v8 :: v_dual_mov_b32 v93, v9
	v_dual_mov_b32 v100, v6 :: v_dual_mov_b32 v101, v7
	ds_store_2addr_b64 v96, v[92:93], v[100:101] offset0:6 offset1:7
	v_dual_mov_b32 v92, v24 :: v_dual_mov_b32 v93, v25
	v_dual_mov_b32 v100, v22 :: v_dual_mov_b32 v101, v23
	ds_store_2addr_b64 v96, v[92:93], v[100:101] offset0:8 offset1:9
	;; [unrolled: 3-line block ×18, first 2 shown]
	ds_store_b64 v96, v[90:91] offset:336
	v_mov_b32_e32 v100, 5
.LBB84_123:
	s_or_b32 exec_lo, exec_lo, s0
	s_delay_alu instid0(SALU_CYCLE_1)
	s_mov_b32 s0, exec_lo
	s_wait_storecnt_dscnt 0x0
	s_barrier_signal -1
	s_barrier_wait -1
	v_cmpx_lt_i32_e32 5, v100
	s_cbranch_execz .LBB84_125
; %bb.124:
	v_pk_mul_f32 v[102:103], v[94:95], v[14:15] op_sel:[1,1] op_sel_hi:[0,1]
	s_delay_alu instid0(VALU_DEP_1)
	v_pk_fma_f32 v[92:93], v[94:95], v[14:15], v[102:103] op_sel_hi:[1,0,1] neg_lo:[0,0,1] neg_hi:[0,0,1]
	v_pk_fma_f32 v[94:95], v[94:95], v[14:15], v[102:103] op_sel_hi:[1,0,1]
	ds_load_2addr_b64 v[102:105], v96 offset0:6 offset1:7
	v_dual_mov_b32 v14, v92 :: v_dual_mov_b32 v15, v95
	s_wait_dscnt 0x0
	v_pk_mul_f32 v[106:107], v[102:103], v[94:95] op_sel:[0,1]
	s_delay_alu instid0(VALU_DEP_1) | instskip(SKIP_1) | instid1(VALU_DEP_1)
	v_pk_fma_f32 v[108:109], v[102:103], v[92:93], v[106:107] op_sel:[0,0,1] op_sel_hi:[1,1,0] neg_lo:[0,0,1] neg_hi:[0,0,1]
	v_pk_fma_f32 v[102:103], v[102:103], v[92:93], v[106:107] op_sel:[0,0,1] op_sel_hi:[1,0,0]
	v_mov_b32_e32 v109, v103
	v_pk_mul_f32 v[102:103], v[104:105], v[94:95] op_sel:[0,1]
	s_delay_alu instid0(VALU_DEP_1) | instskip(SKIP_1) | instid1(VALU_DEP_1)
	v_pk_fma_f32 v[106:107], v[104:105], v[92:93], v[102:103] op_sel:[0,0,1] op_sel_hi:[1,1,0] neg_lo:[0,0,1] neg_hi:[0,0,1]
	v_pk_fma_f32 v[102:103], v[104:105], v[92:93], v[102:103] op_sel:[0,0,1] op_sel_hi:[1,0,0]
	v_mov_b32_e32 v107, v103
	ds_load_2addr_b64 v[102:105], v96 offset0:8 offset1:9
	v_pk_add_f32 v[8:9], v[8:9], v[108:109] neg_lo:[0,1] neg_hi:[0,1]
	v_pk_add_f32 v[6:7], v[6:7], v[106:107] neg_lo:[0,1] neg_hi:[0,1]
	s_wait_dscnt 0x0
	v_pk_mul_f32 v[106:107], v[102:103], v[94:95] op_sel:[0,1]
	s_delay_alu instid0(VALU_DEP_1) | instskip(SKIP_2) | instid1(VALU_DEP_2)
	v_pk_fma_f32 v[108:109], v[102:103], v[92:93], v[106:107] op_sel:[0,0,1] op_sel_hi:[1,1,0] neg_lo:[0,0,1] neg_hi:[0,0,1]
	v_pk_fma_f32 v[102:103], v[102:103], v[92:93], v[106:107] op_sel:[0,0,1] op_sel_hi:[1,0,0]
	v_dual_mul_f32 v106, v105, v95 :: v_dual_mov_b32 v102, v105
	v_dual_mov_b32 v109, v103 :: v_dual_mov_b32 v103, v104
	s_delay_alu instid0(VALU_DEP_2) | instskip(SKIP_1) | instid1(VALU_DEP_3)
	v_pk_fma_f32 v[106:107], v[104:105], v[14:15], v[106:107] op_sel_hi:[1,1,0] neg_lo:[0,0,1] neg_hi:[0,0,1]
	v_mul_f32_e32 v104, v105, v92
	v_pk_add_f32 v[24:25], v[24:25], v[108:109] neg_lo:[0,1] neg_hi:[0,1]
	s_delay_alu instid0(VALU_DEP_2) | instskip(NEXT) | instid1(VALU_DEP_1)
	v_pk_fma_f32 v[102:103], v[102:103], v[14:15], v[104:105] op_sel_hi:[1,1,0]
	v_mov_b32_e32 v107, v103
	ds_load_2addr_b64 v[102:105], v96 offset0:10 offset1:11
	v_pk_add_f32 v[22:23], v[22:23], v[106:107] neg_lo:[0,1] neg_hi:[0,1]
	s_wait_dscnt 0x0
	v_pk_mul_f32 v[106:107], v[102:103], v[94:95] op_sel:[0,1]
	s_delay_alu instid0(VALU_DEP_1) | instskip(SKIP_1) | instid1(VALU_DEP_1)
	v_pk_fma_f32 v[108:109], v[102:103], v[92:93], v[106:107] op_sel:[0,0,1] op_sel_hi:[1,1,0] neg_lo:[0,0,1] neg_hi:[0,0,1]
	v_pk_fma_f32 v[102:103], v[102:103], v[92:93], v[106:107] op_sel:[0,0,1] op_sel_hi:[1,0,0]
	v_mov_b32_e32 v109, v103
	v_pk_mul_f32 v[102:103], v[104:105], v[94:95] op_sel:[0,1]
	s_delay_alu instid0(VALU_DEP_1) | instskip(SKIP_1) | instid1(VALU_DEP_1)
	v_pk_fma_f32 v[106:107], v[104:105], v[92:93], v[102:103] op_sel:[0,0,1] op_sel_hi:[1,1,0] neg_lo:[0,0,1] neg_hi:[0,0,1]
	v_pk_fma_f32 v[102:103], v[104:105], v[92:93], v[102:103] op_sel:[0,0,1] op_sel_hi:[1,0,0]
	v_mov_b32_e32 v107, v103
	ds_load_2addr_b64 v[102:105], v96 offset0:12 offset1:13
	v_pk_add_f32 v[12:13], v[12:13], v[108:109] neg_lo:[0,1] neg_hi:[0,1]
	v_pk_add_f32 v[10:11], v[10:11], v[106:107] neg_lo:[0,1] neg_hi:[0,1]
	s_wait_dscnt 0x0
	v_pk_mul_f32 v[106:107], v[102:103], v[94:95] op_sel:[0,1]
	s_delay_alu instid0(VALU_DEP_1) | instskip(SKIP_1) | instid1(VALU_DEP_1)
	v_pk_fma_f32 v[108:109], v[102:103], v[92:93], v[106:107] op_sel:[0,0,1] op_sel_hi:[1,1,0] neg_lo:[0,0,1] neg_hi:[0,0,1]
	v_pk_fma_f32 v[102:103], v[102:103], v[92:93], v[106:107] op_sel:[0,0,1] op_sel_hi:[1,0,0]
	v_mov_b32_e32 v109, v103
	v_pk_mul_f32 v[102:103], v[104:105], v[94:95] op_sel:[0,1]
	s_delay_alu instid0(VALU_DEP_1) | instskip(SKIP_1) | instid1(VALU_DEP_1)
	v_pk_fma_f32 v[106:107], v[104:105], v[92:93], v[102:103] op_sel:[0,0,1] op_sel_hi:[1,1,0] neg_lo:[0,0,1] neg_hi:[0,0,1]
	v_pk_fma_f32 v[102:103], v[104:105], v[92:93], v[102:103] op_sel:[0,0,1] op_sel_hi:[1,0,0]
	v_mov_b32_e32 v107, v103
	ds_load_2addr_b64 v[102:105], v96 offset0:14 offset1:15
	v_pk_add_f32 v[36:37], v[36:37], v[108:109] neg_lo:[0,1] neg_hi:[0,1]
	v_pk_add_f32 v[34:35], v[34:35], v[106:107] neg_lo:[0,1] neg_hi:[0,1]
	s_wait_dscnt 0x0
	v_dual_mul_f32 v106, v103, v95 :: v_dual_mul_f32 v108, v103, v92
	s_delay_alu instid0(VALU_DEP_1) | instskip(NEXT) | instid1(VALU_DEP_2)
	v_pk_fma_f32 v[106:107], v[102:103], v[14:15], v[106:107] op_sel_hi:[1,1,0] neg_lo:[0,0,1] neg_hi:[0,0,1]
	v_pk_fma_f32 v[102:103], v[102:103], v[14:15], v[108:109] op_sel:[1,0,0] op_sel_hi:[0,1,0]
	s_delay_alu instid0(VALU_DEP_1) | instskip(SKIP_1) | instid1(VALU_DEP_2)
	v_mov_b32_e32 v107, v103
	v_pk_mul_f32 v[102:103], v[104:105], v[94:95] op_sel:[0,1]
	v_pk_add_f32 v[20:21], v[20:21], v[106:107] neg_lo:[0,1] neg_hi:[0,1]
	s_delay_alu instid0(VALU_DEP_2) | instskip(SKIP_1) | instid1(VALU_DEP_1)
	v_pk_fma_f32 v[106:107], v[104:105], v[92:93], v[102:103] op_sel:[0,0,1] op_sel_hi:[1,1,0] neg_lo:[0,0,1] neg_hi:[0,0,1]
	v_pk_fma_f32 v[102:103], v[104:105], v[92:93], v[102:103] op_sel:[0,0,1] op_sel_hi:[1,0,0]
	v_mov_b32_e32 v107, v103
	ds_load_2addr_b64 v[102:105], v96 offset0:16 offset1:17
	v_pk_add_f32 v[18:19], v[18:19], v[106:107] neg_lo:[0,1] neg_hi:[0,1]
	s_wait_dscnt 0x0
	v_pk_mul_f32 v[106:107], v[102:103], v[94:95] op_sel:[0,1]
	s_delay_alu instid0(VALU_DEP_1) | instskip(SKIP_1) | instid1(VALU_DEP_1)
	v_pk_fma_f32 v[108:109], v[102:103], v[92:93], v[106:107] op_sel:[0,0,1] op_sel_hi:[1,1,0] neg_lo:[0,0,1] neg_hi:[0,0,1]
	v_pk_fma_f32 v[102:103], v[102:103], v[92:93], v[106:107] op_sel:[0,0,1] op_sel_hi:[1,0,0]
	v_mov_b32_e32 v109, v103
	v_pk_mul_f32 v[102:103], v[104:105], v[94:95] op_sel:[0,1]
	s_delay_alu instid0(VALU_DEP_2) | instskip(NEXT) | instid1(VALU_DEP_2)
	v_pk_add_f32 v[46:47], v[46:47], v[108:109] neg_lo:[0,1] neg_hi:[0,1]
	v_pk_fma_f32 v[106:107], v[104:105], v[92:93], v[102:103] op_sel:[0,0,1] op_sel_hi:[1,1,0] neg_lo:[0,0,1] neg_hi:[0,0,1]
	v_pk_fma_f32 v[102:103], v[104:105], v[92:93], v[102:103] op_sel:[0,0,1] op_sel_hi:[1,0,0]
	s_delay_alu instid0(VALU_DEP_1) | instskip(SKIP_4) | instid1(VALU_DEP_1)
	v_mov_b32_e32 v107, v103
	ds_load_2addr_b64 v[102:105], v96 offset0:18 offset1:19
	v_pk_add_f32 v[44:45], v[44:45], v[106:107] neg_lo:[0,1] neg_hi:[0,1]
	s_wait_dscnt 0x0
	v_pk_mul_f32 v[106:107], v[102:103], v[94:95] op_sel:[0,1]
	v_pk_fma_f32 v[108:109], v[102:103], v[92:93], v[106:107] op_sel:[0,0,1] op_sel_hi:[1,1,0] neg_lo:[0,0,1] neg_hi:[0,0,1]
	v_pk_fma_f32 v[102:103], v[102:103], v[92:93], v[106:107] op_sel:[0,0,1] op_sel_hi:[1,0,0]
	v_dual_mul_f32 v106, v105, v95 :: v_dual_mov_b32 v102, v105
	s_delay_alu instid0(VALU_DEP_2) | instskip(NEXT) | instid1(VALU_DEP_2)
	v_dual_mov_b32 v109, v103 :: v_dual_mov_b32 v103, v104
	v_pk_fma_f32 v[106:107], v[104:105], v[14:15], v[106:107] op_sel_hi:[1,1,0] neg_lo:[0,0,1] neg_hi:[0,0,1]
	v_mul_f32_e32 v104, v105, v92
	s_delay_alu instid0(VALU_DEP_3) | instskip(NEXT) | instid1(VALU_DEP_2)
	v_pk_add_f32 v[28:29], v[28:29], v[108:109] neg_lo:[0,1] neg_hi:[0,1]
	v_pk_fma_f32 v[102:103], v[102:103], v[14:15], v[104:105] op_sel_hi:[1,1,0]
	s_delay_alu instid0(VALU_DEP_1) | instskip(SKIP_4) | instid1(VALU_DEP_1)
	v_mov_b32_e32 v107, v103
	ds_load_2addr_b64 v[102:105], v96 offset0:20 offset1:21
	v_pk_add_f32 v[26:27], v[26:27], v[106:107] neg_lo:[0,1] neg_hi:[0,1]
	s_wait_dscnt 0x0
	v_pk_mul_f32 v[106:107], v[102:103], v[94:95] op_sel:[0,1]
	v_pk_fma_f32 v[108:109], v[102:103], v[92:93], v[106:107] op_sel:[0,0,1] op_sel_hi:[1,1,0] neg_lo:[0,0,1] neg_hi:[0,0,1]
	v_pk_fma_f32 v[102:103], v[102:103], v[92:93], v[106:107] op_sel:[0,0,1] op_sel_hi:[1,0,0]
	s_delay_alu instid0(VALU_DEP_1) | instskip(SKIP_1) | instid1(VALU_DEP_1)
	v_mov_b32_e32 v109, v103
	v_pk_mul_f32 v[102:103], v[104:105], v[94:95] op_sel:[0,1]
	v_pk_fma_f32 v[106:107], v[104:105], v[92:93], v[102:103] op_sel:[0,0,1] op_sel_hi:[1,1,0] neg_lo:[0,0,1] neg_hi:[0,0,1]
	v_pk_fma_f32 v[102:103], v[104:105], v[92:93], v[102:103] op_sel:[0,0,1] op_sel_hi:[1,0,0]
	s_delay_alu instid0(VALU_DEP_1)
	v_mov_b32_e32 v107, v103
	ds_load_2addr_b64 v[102:105], v96 offset0:22 offset1:23
	v_pk_add_f32 v[54:55], v[54:55], v[108:109] neg_lo:[0,1] neg_hi:[0,1]
	v_pk_add_f32 v[52:53], v[52:53], v[106:107] neg_lo:[0,1] neg_hi:[0,1]
	s_wait_dscnt 0x0
	v_pk_mul_f32 v[106:107], v[102:103], v[94:95] op_sel:[0,1]
	s_delay_alu instid0(VALU_DEP_1) | instskip(SKIP_1) | instid1(VALU_DEP_1)
	v_pk_fma_f32 v[108:109], v[102:103], v[92:93], v[106:107] op_sel:[0,0,1] op_sel_hi:[1,1,0] neg_lo:[0,0,1] neg_hi:[0,0,1]
	v_pk_fma_f32 v[102:103], v[102:103], v[92:93], v[106:107] op_sel:[0,0,1] op_sel_hi:[1,0,0]
	v_mov_b32_e32 v109, v103
	v_pk_mul_f32 v[102:103], v[104:105], v[94:95] op_sel:[0,1]
	s_delay_alu instid0(VALU_DEP_1) | instskip(SKIP_1) | instid1(VALU_DEP_1)
	v_pk_fma_f32 v[106:107], v[104:105], v[92:93], v[102:103] op_sel:[0,0,1] op_sel_hi:[1,1,0] neg_lo:[0,0,1] neg_hi:[0,0,1]
	v_pk_fma_f32 v[102:103], v[104:105], v[92:93], v[102:103] op_sel:[0,0,1] op_sel_hi:[1,0,0]
	v_mov_b32_e32 v107, v103
	ds_load_2addr_b64 v[102:105], v96 offset0:24 offset1:25
	v_pk_add_f32 v[32:33], v[32:33], v[108:109] neg_lo:[0,1] neg_hi:[0,1]
	v_pk_add_f32 v[30:31], v[30:31], v[106:107] neg_lo:[0,1] neg_hi:[0,1]
	s_wait_dscnt 0x0
	v_dual_mul_f32 v106, v103, v95 :: v_dual_mul_f32 v108, v103, v92
	s_delay_alu instid0(VALU_DEP_1) | instskip(NEXT) | instid1(VALU_DEP_2)
	v_pk_fma_f32 v[106:107], v[102:103], v[14:15], v[106:107] op_sel_hi:[1,1,0] neg_lo:[0,0,1] neg_hi:[0,0,1]
	v_pk_fma_f32 v[102:103], v[102:103], v[14:15], v[108:109] op_sel:[1,0,0] op_sel_hi:[0,1,0]
	s_delay_alu instid0(VALU_DEP_1) | instskip(SKIP_1) | instid1(VALU_DEP_2)
	v_mov_b32_e32 v107, v103
	v_pk_mul_f32 v[102:103], v[104:105], v[94:95] op_sel:[0,1]
	v_pk_add_f32 v[68:69], v[68:69], v[106:107] neg_lo:[0,1] neg_hi:[0,1]
	s_delay_alu instid0(VALU_DEP_2) | instskip(SKIP_1) | instid1(VALU_DEP_1)
	v_pk_fma_f32 v[106:107], v[104:105], v[92:93], v[102:103] op_sel:[0,0,1] op_sel_hi:[1,1,0] neg_lo:[0,0,1] neg_hi:[0,0,1]
	v_pk_fma_f32 v[102:103], v[104:105], v[92:93], v[102:103] op_sel:[0,0,1] op_sel_hi:[1,0,0]
	v_mov_b32_e32 v107, v103
	ds_load_2addr_b64 v[102:105], v96 offset0:26 offset1:27
	v_pk_add_f32 v[66:67], v[66:67], v[106:107] neg_lo:[0,1] neg_hi:[0,1]
	s_wait_dscnt 0x0
	v_pk_mul_f32 v[106:107], v[102:103], v[94:95] op_sel:[0,1]
	s_delay_alu instid0(VALU_DEP_1) | instskip(SKIP_1) | instid1(VALU_DEP_1)
	v_pk_fma_f32 v[108:109], v[102:103], v[92:93], v[106:107] op_sel:[0,0,1] op_sel_hi:[1,1,0] neg_lo:[0,0,1] neg_hi:[0,0,1]
	v_pk_fma_f32 v[102:103], v[102:103], v[92:93], v[106:107] op_sel:[0,0,1] op_sel_hi:[1,0,0]
	v_mov_b32_e32 v109, v103
	v_pk_mul_f32 v[102:103], v[104:105], v[94:95] op_sel:[0,1]
	s_delay_alu instid0(VALU_DEP_2) | instskip(NEXT) | instid1(VALU_DEP_2)
	v_pk_add_f32 v[40:41], v[40:41], v[108:109] neg_lo:[0,1] neg_hi:[0,1]
	v_pk_fma_f32 v[106:107], v[104:105], v[92:93], v[102:103] op_sel:[0,0,1] op_sel_hi:[1,1,0] neg_lo:[0,0,1] neg_hi:[0,0,1]
	v_pk_fma_f32 v[102:103], v[104:105], v[92:93], v[102:103] op_sel:[0,0,1] op_sel_hi:[1,0,0]
	s_delay_alu instid0(VALU_DEP_1) | instskip(SKIP_4) | instid1(VALU_DEP_1)
	v_mov_b32_e32 v107, v103
	ds_load_2addr_b64 v[102:105], v96 offset0:28 offset1:29
	v_pk_add_f32 v[38:39], v[38:39], v[106:107] neg_lo:[0,1] neg_hi:[0,1]
	s_wait_dscnt 0x0
	v_pk_mul_f32 v[106:107], v[102:103], v[94:95] op_sel:[0,1]
	v_pk_fma_f32 v[108:109], v[102:103], v[92:93], v[106:107] op_sel:[0,0,1] op_sel_hi:[1,1,0] neg_lo:[0,0,1] neg_hi:[0,0,1]
	v_pk_fma_f32 v[102:103], v[102:103], v[92:93], v[106:107] op_sel:[0,0,1] op_sel_hi:[1,0,0]
	v_dual_mul_f32 v106, v105, v95 :: v_dual_mov_b32 v102, v105
	s_delay_alu instid0(VALU_DEP_2) | instskip(NEXT) | instid1(VALU_DEP_2)
	v_dual_mov_b32 v109, v103 :: v_dual_mov_b32 v103, v104
	v_pk_fma_f32 v[106:107], v[104:105], v[14:15], v[106:107] op_sel_hi:[1,1,0] neg_lo:[0,0,1] neg_hi:[0,0,1]
	v_mul_f32_e32 v104, v105, v92
	s_delay_alu instid0(VALU_DEP_3) | instskip(NEXT) | instid1(VALU_DEP_2)
	v_pk_add_f32 v[76:77], v[76:77], v[108:109] neg_lo:[0,1] neg_hi:[0,1]
	v_pk_fma_f32 v[102:103], v[102:103], v[14:15], v[104:105] op_sel_hi:[1,1,0]
	s_delay_alu instid0(VALU_DEP_1) | instskip(SKIP_4) | instid1(VALU_DEP_1)
	v_mov_b32_e32 v107, v103
	ds_load_2addr_b64 v[102:105], v96 offset0:30 offset1:31
	v_pk_add_f32 v[74:75], v[74:75], v[106:107] neg_lo:[0,1] neg_hi:[0,1]
	s_wait_dscnt 0x0
	v_pk_mul_f32 v[106:107], v[102:103], v[94:95] op_sel:[0,1]
	v_pk_fma_f32 v[108:109], v[102:103], v[92:93], v[106:107] op_sel:[0,0,1] op_sel_hi:[1,1,0] neg_lo:[0,0,1] neg_hi:[0,0,1]
	v_pk_fma_f32 v[102:103], v[102:103], v[92:93], v[106:107] op_sel:[0,0,1] op_sel_hi:[1,0,0]
	s_delay_alu instid0(VALU_DEP_1) | instskip(SKIP_1) | instid1(VALU_DEP_1)
	v_mov_b32_e32 v109, v103
	v_pk_mul_f32 v[102:103], v[104:105], v[94:95] op_sel:[0,1]
	v_pk_fma_f32 v[106:107], v[104:105], v[92:93], v[102:103] op_sel:[0,0,1] op_sel_hi:[1,1,0] neg_lo:[0,0,1] neg_hi:[0,0,1]
	v_pk_fma_f32 v[102:103], v[104:105], v[92:93], v[102:103] op_sel:[0,0,1] op_sel_hi:[1,0,0]
	s_delay_alu instid0(VALU_DEP_1)
	v_mov_b32_e32 v107, v103
	ds_load_2addr_b64 v[102:105], v96 offset0:32 offset1:33
	v_pk_add_f32 v[50:51], v[50:51], v[108:109] neg_lo:[0,1] neg_hi:[0,1]
	v_pk_add_f32 v[48:49], v[48:49], v[106:107] neg_lo:[0,1] neg_hi:[0,1]
	s_wait_dscnt 0x0
	v_pk_mul_f32 v[106:107], v[102:103], v[94:95] op_sel:[0,1]
	s_delay_alu instid0(VALU_DEP_1) | instskip(SKIP_1) | instid1(VALU_DEP_1)
	v_pk_fma_f32 v[108:109], v[102:103], v[92:93], v[106:107] op_sel:[0,0,1] op_sel_hi:[1,1,0] neg_lo:[0,0,1] neg_hi:[0,0,1]
	v_pk_fma_f32 v[102:103], v[102:103], v[92:93], v[106:107] op_sel:[0,0,1] op_sel_hi:[1,0,0]
	v_mov_b32_e32 v109, v103
	v_pk_mul_f32 v[102:103], v[104:105], v[94:95] op_sel:[0,1]
	s_delay_alu instid0(VALU_DEP_1) | instskip(SKIP_1) | instid1(VALU_DEP_1)
	v_pk_fma_f32 v[106:107], v[104:105], v[92:93], v[102:103] op_sel:[0,0,1] op_sel_hi:[1,1,0] neg_lo:[0,0,1] neg_hi:[0,0,1]
	v_pk_fma_f32 v[102:103], v[104:105], v[92:93], v[102:103] op_sel:[0,0,1] op_sel_hi:[1,0,0]
	v_mov_b32_e32 v107, v103
	ds_load_2addr_b64 v[102:105], v96 offset0:34 offset1:35
	v_pk_add_f32 v[88:89], v[88:89], v[108:109] neg_lo:[0,1] neg_hi:[0,1]
	v_pk_add_f32 v[86:87], v[86:87], v[106:107] neg_lo:[0,1] neg_hi:[0,1]
	s_wait_dscnt 0x0
	v_dual_mul_f32 v106, v103, v95 :: v_dual_mul_f32 v108, v103, v92
	s_delay_alu instid0(VALU_DEP_1) | instskip(NEXT) | instid1(VALU_DEP_2)
	v_pk_fma_f32 v[106:107], v[102:103], v[14:15], v[106:107] op_sel_hi:[1,1,0] neg_lo:[0,0,1] neg_hi:[0,0,1]
	v_pk_fma_f32 v[102:103], v[102:103], v[14:15], v[108:109] op_sel:[1,0,0] op_sel_hi:[0,1,0]
	s_delay_alu instid0(VALU_DEP_1) | instskip(SKIP_1) | instid1(VALU_DEP_2)
	v_mov_b32_e32 v107, v103
	v_pk_mul_f32 v[102:103], v[104:105], v[94:95] op_sel:[0,1]
	v_pk_add_f32 v[60:61], v[60:61], v[106:107] neg_lo:[0,1] neg_hi:[0,1]
	s_delay_alu instid0(VALU_DEP_2) | instskip(SKIP_1) | instid1(VALU_DEP_1)
	v_pk_fma_f32 v[106:107], v[104:105], v[92:93], v[102:103] op_sel:[0,0,1] op_sel_hi:[1,1,0] neg_lo:[0,0,1] neg_hi:[0,0,1]
	v_pk_fma_f32 v[102:103], v[104:105], v[92:93], v[102:103] op_sel:[0,0,1] op_sel_hi:[1,0,0]
	v_mov_b32_e32 v107, v103
	ds_load_2addr_b64 v[102:105], v96 offset0:36 offset1:37
	v_pk_add_f32 v[58:59], v[58:59], v[106:107] neg_lo:[0,1] neg_hi:[0,1]
	s_wait_dscnt 0x0
	v_pk_mul_f32 v[106:107], v[102:103], v[94:95] op_sel:[0,1]
	s_delay_alu instid0(VALU_DEP_1) | instskip(SKIP_1) | instid1(VALU_DEP_1)
	v_pk_fma_f32 v[108:109], v[102:103], v[92:93], v[106:107] op_sel:[0,0,1] op_sel_hi:[1,1,0] neg_lo:[0,0,1] neg_hi:[0,0,1]
	v_pk_fma_f32 v[102:103], v[102:103], v[92:93], v[106:107] op_sel:[0,0,1] op_sel_hi:[1,0,0]
	v_mov_b32_e32 v109, v103
	v_pk_mul_f32 v[102:103], v[104:105], v[94:95] op_sel:[0,1]
	s_delay_alu instid0(VALU_DEP_2) | instskip(NEXT) | instid1(VALU_DEP_2)
	v_pk_add_f32 v[82:83], v[82:83], v[108:109] neg_lo:[0,1] neg_hi:[0,1]
	v_pk_fma_f32 v[106:107], v[104:105], v[92:93], v[102:103] op_sel:[0,0,1] op_sel_hi:[1,1,0] neg_lo:[0,0,1] neg_hi:[0,0,1]
	v_pk_fma_f32 v[102:103], v[104:105], v[92:93], v[102:103] op_sel:[0,0,1] op_sel_hi:[1,0,0]
	s_delay_alu instid0(VALU_DEP_1) | instskip(SKIP_4) | instid1(VALU_DEP_1)
	v_mov_b32_e32 v107, v103
	ds_load_2addr_b64 v[102:105], v96 offset0:38 offset1:39
	v_pk_add_f32 v[80:81], v[80:81], v[106:107] neg_lo:[0,1] neg_hi:[0,1]
	s_wait_dscnt 0x0
	v_pk_mul_f32 v[106:107], v[102:103], v[94:95] op_sel:[0,1]
	v_pk_fma_f32 v[108:109], v[102:103], v[92:93], v[106:107] op_sel:[0,0,1] op_sel_hi:[1,1,0] neg_lo:[0,0,1] neg_hi:[0,0,1]
	v_pk_fma_f32 v[102:103], v[102:103], v[92:93], v[106:107] op_sel:[0,0,1] op_sel_hi:[1,0,0]
	v_dual_mul_f32 v106, v105, v95 :: v_dual_mov_b32 v102, v105
	s_delay_alu instid0(VALU_DEP_2) | instskip(NEXT) | instid1(VALU_DEP_2)
	v_dual_mov_b32 v109, v103 :: v_dual_mov_b32 v103, v104
	v_pk_fma_f32 v[106:107], v[104:105], v[14:15], v[106:107] op_sel_hi:[1,1,0] neg_lo:[0,0,1] neg_hi:[0,0,1]
	v_mul_f32_e32 v104, v105, v92
	s_delay_alu instid0(VALU_DEP_3) | instskip(NEXT) | instid1(VALU_DEP_2)
	v_pk_add_f32 v[64:65], v[64:65], v[108:109] neg_lo:[0,1] neg_hi:[0,1]
	v_pk_fma_f32 v[102:103], v[102:103], v[14:15], v[104:105] op_sel_hi:[1,1,0]
	s_delay_alu instid0(VALU_DEP_1) | instskip(SKIP_4) | instid1(VALU_DEP_1)
	v_mov_b32_e32 v107, v103
	ds_load_2addr_b64 v[102:105], v96 offset0:40 offset1:41
	v_pk_add_f32 v[62:63], v[62:63], v[106:107] neg_lo:[0,1] neg_hi:[0,1]
	s_wait_dscnt 0x0
	v_pk_mul_f32 v[106:107], v[102:103], v[94:95] op_sel:[0,1]
	v_pk_fma_f32 v[108:109], v[102:103], v[92:93], v[106:107] op_sel:[0,0,1] op_sel_hi:[1,1,0] neg_lo:[0,0,1] neg_hi:[0,0,1]
	v_pk_fma_f32 v[102:103], v[102:103], v[92:93], v[106:107] op_sel:[0,0,1] op_sel_hi:[1,0,0]
	s_delay_alu instid0(VALU_DEP_1) | instskip(SKIP_1) | instid1(VALU_DEP_1)
	v_mov_b32_e32 v109, v103
	v_pk_mul_f32 v[102:103], v[104:105], v[94:95] op_sel:[0,1]
	v_pk_fma_f32 v[106:107], v[104:105], v[92:93], v[102:103] op_sel:[0,0,1] op_sel_hi:[1,1,0] neg_lo:[0,0,1] neg_hi:[0,0,1]
	v_pk_fma_f32 v[102:103], v[104:105], v[92:93], v[102:103] op_sel:[0,0,1] op_sel_hi:[1,0,0]
	s_delay_alu instid0(VALU_DEP_1)
	v_mov_b32_e32 v107, v103
	ds_load_b64 v[102:103], v96 offset:336
	v_pk_add_f32 v[72:73], v[72:73], v[108:109] neg_lo:[0,1] neg_hi:[0,1]
	v_pk_add_f32 v[70:71], v[70:71], v[106:107] neg_lo:[0,1] neg_hi:[0,1]
	s_wait_dscnt 0x0
	v_pk_mul_f32 v[94:95], v[102:103], v[94:95] op_sel:[0,1]
	s_delay_alu instid0(VALU_DEP_1) | instskip(SKIP_1) | instid1(VALU_DEP_1)
	v_pk_fma_f32 v[104:105], v[102:103], v[92:93], v[94:95] op_sel:[0,0,1] op_sel_hi:[1,1,0] neg_lo:[0,0,1] neg_hi:[0,0,1]
	v_pk_fma_f32 v[92:93], v[102:103], v[92:93], v[94:95] op_sel:[0,0,1] op_sel_hi:[1,0,0]
	v_mov_b32_e32 v105, v93
	s_delay_alu instid0(VALU_DEP_1)
	v_pk_add_f32 v[90:91], v[90:91], v[104:105] neg_lo:[0,1] neg_hi:[0,1]
.LBB84_125:
	s_or_b32 exec_lo, exec_lo, s0
	v_lshl_add_u32 v92, v100, 3, v96
	s_barrier_signal -1
	s_barrier_wait -1
	ds_store_b64 v92, v[8:9]
	s_wait_dscnt 0x0
	s_barrier_signal -1
	s_barrier_wait -1
	ds_load_b64 v[94:95], v96 offset:48
	v_mov_b32_e32 v92, 6
	s_cmp_lt_i32 s14, 8
	s_cbranch_scc1 .LBB84_128
; %bb.126:
	v_add3_u32 v93, v97, 0, 56
	v_mov_b32_e32 v92, 6
	s_mov_b32 s0, 7
.LBB84_127:                             ; =>This Inner Loop Header: Depth=1
	ds_load_b64 v[102:103], v93
	s_wait_dscnt 0x1
	v_cmp_gt_f32_e32 vcc_lo, 0, v94
	v_cndmask_b32_e64 v104, v94, -v94, vcc_lo
	v_cmp_gt_f32_e32 vcc_lo, 0, v95
	v_cndmask_b32_e64 v106, v95, -v95, vcc_lo
	s_wait_dscnt 0x0
	v_cmp_gt_f32_e32 vcc_lo, 0, v102
	v_cndmask_b32_e64 v105, v102, -v102, vcc_lo
	v_cmp_gt_f32_e32 vcc_lo, 0, v103
	v_cndmask_b32_e64 v107, v103, -v103, vcc_lo
	s_delay_alu instid0(VALU_DEP_1) | instskip(NEXT) | instid1(VALU_DEP_1)
	v_pk_add_f32 v[104:105], v[104:105], v[106:107]
	v_cmp_lt_f32_e32 vcc_lo, v104, v105
	v_dual_add_nc_u32 v93, 8, v93 :: v_dual_cndmask_b32 v95, v95, v103, vcc_lo
	v_cndmask_b32_e32 v94, v94, v102, vcc_lo
	v_cndmask_b32_e64 v92, v92, s0, vcc_lo
	s_add_co_i32 s0, s0, 1
	s_delay_alu instid0(SALU_CYCLE_1)
	s_cmp_lg_u32 s14, s0
	s_cbranch_scc1 .LBB84_127
.LBB84_128:
	s_wait_dscnt 0x0
	v_cmp_eq_f32_e32 vcc_lo, 0, v94
	v_cmp_eq_f32_e64 s0, 0, v95
	s_and_b32 s0, vcc_lo, s0
	s_delay_alu instid0(SALU_CYCLE_1) | instskip(NEXT) | instid1(SALU_CYCLE_1)
	s_and_saveexec_b32 s1, s0
	s_xor_b32 s0, exec_lo, s1
; %bb.129:
	v_cmp_ne_u32_e32 vcc_lo, 0, v98
	v_cndmask_b32_e32 v98, 7, v98, vcc_lo
; %bb.130:
	s_and_not1_saveexec_b32 s0, s0
	s_cbranch_execz .LBB84_136
; %bb.131:
	v_cmp_ngt_f32_e64 s1, |v94|, |v95|
	s_and_saveexec_b32 s15, s1
	s_delay_alu instid0(SALU_CYCLE_1)
	s_xor_b32 s1, exec_lo, s15
	s_cbranch_execz .LBB84_133
; %bb.132:
	v_div_scale_f32 v93, null, v95, v95, v94
	v_div_scale_f32 v103, vcc_lo, v94, v95, v94
	s_delay_alu instid0(VALU_DEP_2) | instskip(SKIP_1) | instid1(TRANS32_DEP_1)
	v_rcp_f32_e32 v101, v93
	v_nop
	v_fma_f32 v102, -v93, v101, 1.0
	s_delay_alu instid0(VALU_DEP_1) | instskip(NEXT) | instid1(VALU_DEP_1)
	v_fmac_f32_e32 v101, v102, v101
	v_mul_f32_e32 v102, v103, v101
	s_delay_alu instid0(VALU_DEP_1) | instskip(NEXT) | instid1(VALU_DEP_1)
	v_fma_f32 v104, -v93, v102, v103
	v_fmac_f32_e32 v102, v104, v101
	s_delay_alu instid0(VALU_DEP_1) | instskip(NEXT) | instid1(VALU_DEP_1)
	v_fma_f32 v93, -v93, v102, v103
	v_div_fmas_f32 v93, v93, v101, v102
	s_delay_alu instid0(VALU_DEP_1) | instskip(NEXT) | instid1(VALU_DEP_1)
	v_div_fixup_f32 v93, v93, v95, v94
	v_fmac_f32_e32 v95, v94, v93
	s_delay_alu instid0(VALU_DEP_1) | instskip(SKIP_1) | instid1(VALU_DEP_2)
	v_div_scale_f32 v94, null, v95, v95, 1.0
	v_div_scale_f32 v103, vcc_lo, 1.0, v95, 1.0
	v_rcp_f32_e32 v101, v94
	v_nop
	s_delay_alu instid0(TRANS32_DEP_1) | instskip(NEXT) | instid1(VALU_DEP_1)
	v_fma_f32 v102, -v94, v101, 1.0
	v_fmac_f32_e32 v101, v102, v101
	s_delay_alu instid0(VALU_DEP_1) | instskip(NEXT) | instid1(VALU_DEP_1)
	v_mul_f32_e32 v102, v103, v101
	v_fma_f32 v104, -v94, v102, v103
	s_delay_alu instid0(VALU_DEP_1) | instskip(NEXT) | instid1(VALU_DEP_1)
	v_fmac_f32_e32 v102, v104, v101
	v_fma_f32 v94, -v94, v102, v103
	s_delay_alu instid0(VALU_DEP_1) | instskip(NEXT) | instid1(VALU_DEP_1)
	v_div_fmas_f32 v94, v94, v101, v102
	v_div_fixup_f32 v95, v94, v95, 1.0
	s_delay_alu instid0(VALU_DEP_1)
	v_mul_f32_e32 v94, v93, v95
	v_xor_b32_e32 v95, 0x80000000, v95
.LBB84_133:
	s_and_not1_saveexec_b32 s1, s1
	s_cbranch_execz .LBB84_135
; %bb.134:
	s_delay_alu instid0(VALU_DEP_1) | instskip(SKIP_1) | instid1(VALU_DEP_2)
	v_div_scale_f32 v93, null, v94, v94, v95
	v_div_scale_f32 v103, vcc_lo, v95, v94, v95
	v_rcp_f32_e32 v101, v93
	v_nop
	s_delay_alu instid0(TRANS32_DEP_1) | instskip(NEXT) | instid1(VALU_DEP_1)
	v_fma_f32 v102, -v93, v101, 1.0
	v_fmac_f32_e32 v101, v102, v101
	s_delay_alu instid0(VALU_DEP_1) | instskip(NEXT) | instid1(VALU_DEP_1)
	v_mul_f32_e32 v102, v103, v101
	v_fma_f32 v104, -v93, v102, v103
	s_delay_alu instid0(VALU_DEP_1) | instskip(NEXT) | instid1(VALU_DEP_1)
	v_fmac_f32_e32 v102, v104, v101
	v_fma_f32 v93, -v93, v102, v103
	s_delay_alu instid0(VALU_DEP_1) | instskip(NEXT) | instid1(VALU_DEP_1)
	v_div_fmas_f32 v93, v93, v101, v102
	v_div_fixup_f32 v93, v93, v94, v95
	s_delay_alu instid0(VALU_DEP_1) | instskip(NEXT) | instid1(VALU_DEP_1)
	v_fmac_f32_e32 v94, v95, v93
	v_div_scale_f32 v95, null, v94, v94, 1.0
	s_delay_alu instid0(VALU_DEP_1) | instskip(SKIP_1) | instid1(TRANS32_DEP_1)
	v_rcp_f32_e32 v101, v95
	v_nop
	v_fma_f32 v102, -v95, v101, 1.0
	s_delay_alu instid0(VALU_DEP_1) | instskip(SKIP_1) | instid1(VALU_DEP_1)
	v_fmac_f32_e32 v101, v102, v101
	v_div_scale_f32 v102, vcc_lo, 1.0, v94, 1.0
	v_mul_f32_e32 v103, v102, v101
	s_delay_alu instid0(VALU_DEP_1) | instskip(NEXT) | instid1(VALU_DEP_1)
	v_fma_f32 v104, -v95, v103, v102
	v_fmac_f32_e32 v103, v104, v101
	s_delay_alu instid0(VALU_DEP_1) | instskip(NEXT) | instid1(VALU_DEP_1)
	v_fma_f32 v95, -v95, v103, v102
	v_div_fmas_f32 v95, v95, v101, v103
	s_delay_alu instid0(VALU_DEP_1) | instskip(NEXT) | instid1(VALU_DEP_1)
	v_div_fixup_f32 v94, v95, v94, 1.0
	v_mul_f32_e64 v95, v93, -v94
.LBB84_135:
	s_or_b32 exec_lo, exec_lo, s1
.LBB84_136:
	s_delay_alu instid0(SALU_CYCLE_1) | instskip(NEXT) | instid1(SALU_CYCLE_1)
	s_or_b32 exec_lo, exec_lo, s0
	s_mov_b32 s0, exec_lo
	v_cmpx_ne_u32_e64 v100, v92
	s_xor_b32 s0, exec_lo, s0
	s_cbranch_execz .LBB84_142
; %bb.137:
	s_mov_b32 s1, exec_lo
	v_cmpx_eq_u32_e32 6, v100
	s_cbranch_execz .LBB84_141
; %bb.138:
	v_cmp_ne_u32_e32 vcc_lo, 6, v92
	s_xor_b32 s15, s12, -1
	s_delay_alu instid0(SALU_CYCLE_1) | instskip(NEXT) | instid1(SALU_CYCLE_1)
	s_and_b32 s16, s15, vcc_lo
	s_and_saveexec_b32 s15, s16
	s_cbranch_execz .LBB84_140
; %bb.139:
	v_ashrrev_i32_e32 v93, 31, v92
	s_delay_alu instid0(VALU_DEP_1)
	v_lshl_add_u64 v[100:101], v[92:93], 2, v[4:5]
	s_clause 0x1
	global_load_b32 v93, v[100:101], off
	global_load_b32 v99, v[4:5], off offset:24
	s_wait_loadcnt 0x1
	global_store_b32 v[4:5], v93, off offset:24
	s_wait_loadcnt 0x0
	global_store_b32 v[100:101], v99, off
.LBB84_140:
	s_wait_xcnt 0x0
	s_or_b32 exec_lo, exec_lo, s15
	v_dual_mov_b32 v100, v92 :: v_dual_mov_b32 v99, v92
.LBB84_141:
	s_or_b32 exec_lo, exec_lo, s1
.LBB84_142:
	s_and_not1_saveexec_b32 s0, s0
	s_cbranch_execz .LBB84_144
; %bb.143:
	v_mov_b32_e32 v100, 6
	ds_store_2addr_b64 v96, v[6:7], v[24:25] offset0:7 offset1:8
	ds_store_2addr_b64 v96, v[22:23], v[12:13] offset0:9 offset1:10
	;; [unrolled: 1-line block ×18, first 2 shown]
.LBB84_144:
	s_or_b32 exec_lo, exec_lo, s0
	s_delay_alu instid0(SALU_CYCLE_1)
	s_mov_b32 s0, exec_lo
	s_wait_storecnt_dscnt 0x0
	s_barrier_signal -1
	s_barrier_wait -1
	v_cmpx_lt_i32_e32 6, v100
	s_cbranch_execz .LBB84_146
; %bb.145:
	v_pk_mul_f32 v[102:103], v[94:95], v[8:9] op_sel:[1,1] op_sel_hi:[0,1]
	s_delay_alu instid0(VALU_DEP_1)
	v_pk_fma_f32 v[92:93], v[94:95], v[8:9], v[102:103] op_sel_hi:[1,0,1] neg_lo:[0,0,1] neg_hi:[0,0,1]
	v_pk_fma_f32 v[94:95], v[94:95], v[8:9], v[102:103] op_sel_hi:[1,0,1]
	ds_load_2addr_b64 v[102:105], v96 offset0:7 offset1:8
	v_dual_mov_b32 v8, v92 :: v_dual_mov_b32 v9, v95
	s_wait_dscnt 0x0
	v_pk_mul_f32 v[106:107], v[102:103], v[94:95] op_sel:[0,1]
	s_delay_alu instid0(VALU_DEP_1) | instskip(SKIP_1) | instid1(VALU_DEP_1)
	v_pk_fma_f32 v[108:109], v[102:103], v[92:93], v[106:107] op_sel:[0,0,1] op_sel_hi:[1,1,0] neg_lo:[0,0,1] neg_hi:[0,0,1]
	v_pk_fma_f32 v[102:103], v[102:103], v[92:93], v[106:107] op_sel:[0,0,1] op_sel_hi:[1,0,0]
	v_mov_b32_e32 v109, v103
	v_pk_mul_f32 v[102:103], v[104:105], v[94:95] op_sel:[0,1]
	s_delay_alu instid0(VALU_DEP_1) | instskip(SKIP_1) | instid1(VALU_DEP_1)
	v_pk_fma_f32 v[106:107], v[104:105], v[92:93], v[102:103] op_sel:[0,0,1] op_sel_hi:[1,1,0] neg_lo:[0,0,1] neg_hi:[0,0,1]
	v_pk_fma_f32 v[102:103], v[104:105], v[92:93], v[102:103] op_sel:[0,0,1] op_sel_hi:[1,0,0]
	v_mov_b32_e32 v107, v103
	ds_load_2addr_b64 v[102:105], v96 offset0:9 offset1:10
	v_pk_add_f32 v[6:7], v[6:7], v[108:109] neg_lo:[0,1] neg_hi:[0,1]
	v_pk_add_f32 v[24:25], v[24:25], v[106:107] neg_lo:[0,1] neg_hi:[0,1]
	s_wait_dscnt 0x0
	v_pk_mul_f32 v[106:107], v[102:103], v[94:95] op_sel:[0,1]
	s_delay_alu instid0(VALU_DEP_1) | instskip(SKIP_2) | instid1(VALU_DEP_2)
	v_pk_fma_f32 v[108:109], v[102:103], v[92:93], v[106:107] op_sel:[0,0,1] op_sel_hi:[1,1,0] neg_lo:[0,0,1] neg_hi:[0,0,1]
	v_pk_fma_f32 v[102:103], v[102:103], v[92:93], v[106:107] op_sel:[0,0,1] op_sel_hi:[1,0,0]
	v_dual_mul_f32 v106, v105, v95 :: v_dual_mov_b32 v102, v105
	v_dual_mov_b32 v109, v103 :: v_dual_mov_b32 v103, v104
	s_delay_alu instid0(VALU_DEP_2) | instskip(SKIP_1) | instid1(VALU_DEP_3)
	v_pk_fma_f32 v[106:107], v[104:105], v[8:9], v[106:107] op_sel_hi:[1,1,0] neg_lo:[0,0,1] neg_hi:[0,0,1]
	v_mul_f32_e32 v104, v105, v92
	v_pk_add_f32 v[22:23], v[22:23], v[108:109] neg_lo:[0,1] neg_hi:[0,1]
	s_delay_alu instid0(VALU_DEP_2) | instskip(NEXT) | instid1(VALU_DEP_1)
	v_pk_fma_f32 v[102:103], v[102:103], v[8:9], v[104:105] op_sel_hi:[1,1,0]
	v_mov_b32_e32 v107, v103
	ds_load_2addr_b64 v[102:105], v96 offset0:11 offset1:12
	v_pk_add_f32 v[12:13], v[12:13], v[106:107] neg_lo:[0,1] neg_hi:[0,1]
	s_wait_dscnt 0x0
	v_pk_mul_f32 v[106:107], v[102:103], v[94:95] op_sel:[0,1]
	s_delay_alu instid0(VALU_DEP_1) | instskip(SKIP_1) | instid1(VALU_DEP_1)
	v_pk_fma_f32 v[108:109], v[102:103], v[92:93], v[106:107] op_sel:[0,0,1] op_sel_hi:[1,1,0] neg_lo:[0,0,1] neg_hi:[0,0,1]
	v_pk_fma_f32 v[102:103], v[102:103], v[92:93], v[106:107] op_sel:[0,0,1] op_sel_hi:[1,0,0]
	v_mov_b32_e32 v109, v103
	v_pk_mul_f32 v[102:103], v[104:105], v[94:95] op_sel:[0,1]
	s_delay_alu instid0(VALU_DEP_1) | instskip(SKIP_1) | instid1(VALU_DEP_1)
	v_pk_fma_f32 v[106:107], v[104:105], v[92:93], v[102:103] op_sel:[0,0,1] op_sel_hi:[1,1,0] neg_lo:[0,0,1] neg_hi:[0,0,1]
	v_pk_fma_f32 v[102:103], v[104:105], v[92:93], v[102:103] op_sel:[0,0,1] op_sel_hi:[1,0,0]
	v_mov_b32_e32 v107, v103
	ds_load_2addr_b64 v[102:105], v96 offset0:13 offset1:14
	v_pk_add_f32 v[10:11], v[10:11], v[108:109] neg_lo:[0,1] neg_hi:[0,1]
	v_pk_add_f32 v[36:37], v[36:37], v[106:107] neg_lo:[0,1] neg_hi:[0,1]
	s_wait_dscnt 0x0
	v_pk_mul_f32 v[106:107], v[102:103], v[94:95] op_sel:[0,1]
	s_delay_alu instid0(VALU_DEP_1) | instskip(SKIP_1) | instid1(VALU_DEP_1)
	v_pk_fma_f32 v[108:109], v[102:103], v[92:93], v[106:107] op_sel:[0,0,1] op_sel_hi:[1,1,0] neg_lo:[0,0,1] neg_hi:[0,0,1]
	v_pk_fma_f32 v[102:103], v[102:103], v[92:93], v[106:107] op_sel:[0,0,1] op_sel_hi:[1,0,0]
	v_mov_b32_e32 v109, v103
	v_pk_mul_f32 v[102:103], v[104:105], v[94:95] op_sel:[0,1]
	s_delay_alu instid0(VALU_DEP_1) | instskip(SKIP_1) | instid1(VALU_DEP_1)
	v_pk_fma_f32 v[106:107], v[104:105], v[92:93], v[102:103] op_sel:[0,0,1] op_sel_hi:[1,1,0] neg_lo:[0,0,1] neg_hi:[0,0,1]
	v_pk_fma_f32 v[102:103], v[104:105], v[92:93], v[102:103] op_sel:[0,0,1] op_sel_hi:[1,0,0]
	v_mov_b32_e32 v107, v103
	ds_load_2addr_b64 v[102:105], v96 offset0:15 offset1:16
	v_pk_add_f32 v[34:35], v[34:35], v[108:109] neg_lo:[0,1] neg_hi:[0,1]
	v_pk_add_f32 v[20:21], v[20:21], v[106:107] neg_lo:[0,1] neg_hi:[0,1]
	s_wait_dscnt 0x0
	v_dual_mul_f32 v106, v103, v95 :: v_dual_mul_f32 v108, v103, v92
	s_delay_alu instid0(VALU_DEP_1) | instskip(NEXT) | instid1(VALU_DEP_2)
	v_pk_fma_f32 v[106:107], v[102:103], v[8:9], v[106:107] op_sel_hi:[1,1,0] neg_lo:[0,0,1] neg_hi:[0,0,1]
	v_pk_fma_f32 v[102:103], v[102:103], v[8:9], v[108:109] op_sel:[1,0,0] op_sel_hi:[0,1,0]
	s_delay_alu instid0(VALU_DEP_1) | instskip(SKIP_1) | instid1(VALU_DEP_2)
	v_mov_b32_e32 v107, v103
	v_pk_mul_f32 v[102:103], v[104:105], v[94:95] op_sel:[0,1]
	v_pk_add_f32 v[18:19], v[18:19], v[106:107] neg_lo:[0,1] neg_hi:[0,1]
	s_delay_alu instid0(VALU_DEP_2) | instskip(SKIP_1) | instid1(VALU_DEP_1)
	v_pk_fma_f32 v[106:107], v[104:105], v[92:93], v[102:103] op_sel:[0,0,1] op_sel_hi:[1,1,0] neg_lo:[0,0,1] neg_hi:[0,0,1]
	v_pk_fma_f32 v[102:103], v[104:105], v[92:93], v[102:103] op_sel:[0,0,1] op_sel_hi:[1,0,0]
	v_mov_b32_e32 v107, v103
	ds_load_2addr_b64 v[102:105], v96 offset0:17 offset1:18
	v_pk_add_f32 v[46:47], v[46:47], v[106:107] neg_lo:[0,1] neg_hi:[0,1]
	s_wait_dscnt 0x0
	v_pk_mul_f32 v[106:107], v[102:103], v[94:95] op_sel:[0,1]
	s_delay_alu instid0(VALU_DEP_1) | instskip(SKIP_1) | instid1(VALU_DEP_1)
	v_pk_fma_f32 v[108:109], v[102:103], v[92:93], v[106:107] op_sel:[0,0,1] op_sel_hi:[1,1,0] neg_lo:[0,0,1] neg_hi:[0,0,1]
	v_pk_fma_f32 v[102:103], v[102:103], v[92:93], v[106:107] op_sel:[0,0,1] op_sel_hi:[1,0,0]
	v_mov_b32_e32 v109, v103
	v_pk_mul_f32 v[102:103], v[104:105], v[94:95] op_sel:[0,1]
	s_delay_alu instid0(VALU_DEP_2) | instskip(NEXT) | instid1(VALU_DEP_2)
	v_pk_add_f32 v[44:45], v[44:45], v[108:109] neg_lo:[0,1] neg_hi:[0,1]
	v_pk_fma_f32 v[106:107], v[104:105], v[92:93], v[102:103] op_sel:[0,0,1] op_sel_hi:[1,1,0] neg_lo:[0,0,1] neg_hi:[0,0,1]
	v_pk_fma_f32 v[102:103], v[104:105], v[92:93], v[102:103] op_sel:[0,0,1] op_sel_hi:[1,0,0]
	s_delay_alu instid0(VALU_DEP_1) | instskip(SKIP_4) | instid1(VALU_DEP_1)
	v_mov_b32_e32 v107, v103
	ds_load_2addr_b64 v[102:105], v96 offset0:19 offset1:20
	v_pk_add_f32 v[28:29], v[28:29], v[106:107] neg_lo:[0,1] neg_hi:[0,1]
	s_wait_dscnt 0x0
	v_pk_mul_f32 v[106:107], v[102:103], v[94:95] op_sel:[0,1]
	v_pk_fma_f32 v[108:109], v[102:103], v[92:93], v[106:107] op_sel:[0,0,1] op_sel_hi:[1,1,0] neg_lo:[0,0,1] neg_hi:[0,0,1]
	v_pk_fma_f32 v[102:103], v[102:103], v[92:93], v[106:107] op_sel:[0,0,1] op_sel_hi:[1,0,0]
	v_dual_mul_f32 v106, v105, v95 :: v_dual_mov_b32 v102, v105
	s_delay_alu instid0(VALU_DEP_2) | instskip(NEXT) | instid1(VALU_DEP_2)
	v_dual_mov_b32 v109, v103 :: v_dual_mov_b32 v103, v104
	v_pk_fma_f32 v[106:107], v[104:105], v[8:9], v[106:107] op_sel_hi:[1,1,0] neg_lo:[0,0,1] neg_hi:[0,0,1]
	v_mul_f32_e32 v104, v105, v92
	s_delay_alu instid0(VALU_DEP_3) | instskip(NEXT) | instid1(VALU_DEP_2)
	v_pk_add_f32 v[26:27], v[26:27], v[108:109] neg_lo:[0,1] neg_hi:[0,1]
	v_pk_fma_f32 v[102:103], v[102:103], v[8:9], v[104:105] op_sel_hi:[1,1,0]
	s_delay_alu instid0(VALU_DEP_1) | instskip(SKIP_4) | instid1(VALU_DEP_1)
	v_mov_b32_e32 v107, v103
	ds_load_2addr_b64 v[102:105], v96 offset0:21 offset1:22
	v_pk_add_f32 v[54:55], v[54:55], v[106:107] neg_lo:[0,1] neg_hi:[0,1]
	s_wait_dscnt 0x0
	v_pk_mul_f32 v[106:107], v[102:103], v[94:95] op_sel:[0,1]
	v_pk_fma_f32 v[108:109], v[102:103], v[92:93], v[106:107] op_sel:[0,0,1] op_sel_hi:[1,1,0] neg_lo:[0,0,1] neg_hi:[0,0,1]
	v_pk_fma_f32 v[102:103], v[102:103], v[92:93], v[106:107] op_sel:[0,0,1] op_sel_hi:[1,0,0]
	s_delay_alu instid0(VALU_DEP_1) | instskip(SKIP_1) | instid1(VALU_DEP_1)
	v_mov_b32_e32 v109, v103
	v_pk_mul_f32 v[102:103], v[104:105], v[94:95] op_sel:[0,1]
	v_pk_fma_f32 v[106:107], v[104:105], v[92:93], v[102:103] op_sel:[0,0,1] op_sel_hi:[1,1,0] neg_lo:[0,0,1] neg_hi:[0,0,1]
	v_pk_fma_f32 v[102:103], v[104:105], v[92:93], v[102:103] op_sel:[0,0,1] op_sel_hi:[1,0,0]
	s_delay_alu instid0(VALU_DEP_1)
	v_mov_b32_e32 v107, v103
	ds_load_2addr_b64 v[102:105], v96 offset0:23 offset1:24
	v_pk_add_f32 v[52:53], v[52:53], v[108:109] neg_lo:[0,1] neg_hi:[0,1]
	v_pk_add_f32 v[32:33], v[32:33], v[106:107] neg_lo:[0,1] neg_hi:[0,1]
	s_wait_dscnt 0x0
	v_pk_mul_f32 v[106:107], v[102:103], v[94:95] op_sel:[0,1]
	s_delay_alu instid0(VALU_DEP_1) | instskip(SKIP_1) | instid1(VALU_DEP_1)
	v_pk_fma_f32 v[108:109], v[102:103], v[92:93], v[106:107] op_sel:[0,0,1] op_sel_hi:[1,1,0] neg_lo:[0,0,1] neg_hi:[0,0,1]
	v_pk_fma_f32 v[102:103], v[102:103], v[92:93], v[106:107] op_sel:[0,0,1] op_sel_hi:[1,0,0]
	v_mov_b32_e32 v109, v103
	v_pk_mul_f32 v[102:103], v[104:105], v[94:95] op_sel:[0,1]
	s_delay_alu instid0(VALU_DEP_1) | instskip(SKIP_1) | instid1(VALU_DEP_1)
	v_pk_fma_f32 v[106:107], v[104:105], v[92:93], v[102:103] op_sel:[0,0,1] op_sel_hi:[1,1,0] neg_lo:[0,0,1] neg_hi:[0,0,1]
	v_pk_fma_f32 v[102:103], v[104:105], v[92:93], v[102:103] op_sel:[0,0,1] op_sel_hi:[1,0,0]
	v_mov_b32_e32 v107, v103
	ds_load_2addr_b64 v[102:105], v96 offset0:25 offset1:26
	v_pk_add_f32 v[30:31], v[30:31], v[108:109] neg_lo:[0,1] neg_hi:[0,1]
	v_pk_add_f32 v[68:69], v[68:69], v[106:107] neg_lo:[0,1] neg_hi:[0,1]
	s_wait_dscnt 0x0
	v_dual_mul_f32 v106, v103, v95 :: v_dual_mul_f32 v108, v103, v92
	s_delay_alu instid0(VALU_DEP_1) | instskip(NEXT) | instid1(VALU_DEP_2)
	v_pk_fma_f32 v[106:107], v[102:103], v[8:9], v[106:107] op_sel_hi:[1,1,0] neg_lo:[0,0,1] neg_hi:[0,0,1]
	v_pk_fma_f32 v[102:103], v[102:103], v[8:9], v[108:109] op_sel:[1,0,0] op_sel_hi:[0,1,0]
	s_delay_alu instid0(VALU_DEP_1) | instskip(SKIP_1) | instid1(VALU_DEP_2)
	v_mov_b32_e32 v107, v103
	v_pk_mul_f32 v[102:103], v[104:105], v[94:95] op_sel:[0,1]
	v_pk_add_f32 v[66:67], v[66:67], v[106:107] neg_lo:[0,1] neg_hi:[0,1]
	s_delay_alu instid0(VALU_DEP_2) | instskip(SKIP_1) | instid1(VALU_DEP_1)
	v_pk_fma_f32 v[106:107], v[104:105], v[92:93], v[102:103] op_sel:[0,0,1] op_sel_hi:[1,1,0] neg_lo:[0,0,1] neg_hi:[0,0,1]
	v_pk_fma_f32 v[102:103], v[104:105], v[92:93], v[102:103] op_sel:[0,0,1] op_sel_hi:[1,0,0]
	v_mov_b32_e32 v107, v103
	ds_load_2addr_b64 v[102:105], v96 offset0:27 offset1:28
	v_pk_add_f32 v[40:41], v[40:41], v[106:107] neg_lo:[0,1] neg_hi:[0,1]
	s_wait_dscnt 0x0
	v_pk_mul_f32 v[106:107], v[102:103], v[94:95] op_sel:[0,1]
	s_delay_alu instid0(VALU_DEP_1) | instskip(SKIP_1) | instid1(VALU_DEP_1)
	v_pk_fma_f32 v[108:109], v[102:103], v[92:93], v[106:107] op_sel:[0,0,1] op_sel_hi:[1,1,0] neg_lo:[0,0,1] neg_hi:[0,0,1]
	v_pk_fma_f32 v[102:103], v[102:103], v[92:93], v[106:107] op_sel:[0,0,1] op_sel_hi:[1,0,0]
	v_mov_b32_e32 v109, v103
	v_pk_mul_f32 v[102:103], v[104:105], v[94:95] op_sel:[0,1]
	s_delay_alu instid0(VALU_DEP_2) | instskip(NEXT) | instid1(VALU_DEP_2)
	v_pk_add_f32 v[38:39], v[38:39], v[108:109] neg_lo:[0,1] neg_hi:[0,1]
	v_pk_fma_f32 v[106:107], v[104:105], v[92:93], v[102:103] op_sel:[0,0,1] op_sel_hi:[1,1,0] neg_lo:[0,0,1] neg_hi:[0,0,1]
	v_pk_fma_f32 v[102:103], v[104:105], v[92:93], v[102:103] op_sel:[0,0,1] op_sel_hi:[1,0,0]
	s_delay_alu instid0(VALU_DEP_1) | instskip(SKIP_4) | instid1(VALU_DEP_1)
	v_mov_b32_e32 v107, v103
	ds_load_2addr_b64 v[102:105], v96 offset0:29 offset1:30
	v_pk_add_f32 v[76:77], v[76:77], v[106:107] neg_lo:[0,1] neg_hi:[0,1]
	s_wait_dscnt 0x0
	v_pk_mul_f32 v[106:107], v[102:103], v[94:95] op_sel:[0,1]
	v_pk_fma_f32 v[108:109], v[102:103], v[92:93], v[106:107] op_sel:[0,0,1] op_sel_hi:[1,1,0] neg_lo:[0,0,1] neg_hi:[0,0,1]
	v_pk_fma_f32 v[102:103], v[102:103], v[92:93], v[106:107] op_sel:[0,0,1] op_sel_hi:[1,0,0]
	v_dual_mul_f32 v106, v105, v95 :: v_dual_mov_b32 v102, v105
	s_delay_alu instid0(VALU_DEP_2) | instskip(NEXT) | instid1(VALU_DEP_2)
	v_dual_mov_b32 v109, v103 :: v_dual_mov_b32 v103, v104
	v_pk_fma_f32 v[106:107], v[104:105], v[8:9], v[106:107] op_sel_hi:[1,1,0] neg_lo:[0,0,1] neg_hi:[0,0,1]
	v_mul_f32_e32 v104, v105, v92
	s_delay_alu instid0(VALU_DEP_3) | instskip(NEXT) | instid1(VALU_DEP_2)
	v_pk_add_f32 v[74:75], v[74:75], v[108:109] neg_lo:[0,1] neg_hi:[0,1]
	v_pk_fma_f32 v[102:103], v[102:103], v[8:9], v[104:105] op_sel_hi:[1,1,0]
	s_delay_alu instid0(VALU_DEP_1) | instskip(SKIP_4) | instid1(VALU_DEP_1)
	v_mov_b32_e32 v107, v103
	ds_load_2addr_b64 v[102:105], v96 offset0:31 offset1:32
	v_pk_add_f32 v[50:51], v[50:51], v[106:107] neg_lo:[0,1] neg_hi:[0,1]
	s_wait_dscnt 0x0
	v_pk_mul_f32 v[106:107], v[102:103], v[94:95] op_sel:[0,1]
	v_pk_fma_f32 v[108:109], v[102:103], v[92:93], v[106:107] op_sel:[0,0,1] op_sel_hi:[1,1,0] neg_lo:[0,0,1] neg_hi:[0,0,1]
	v_pk_fma_f32 v[102:103], v[102:103], v[92:93], v[106:107] op_sel:[0,0,1] op_sel_hi:[1,0,0]
	s_delay_alu instid0(VALU_DEP_1) | instskip(SKIP_1) | instid1(VALU_DEP_1)
	v_mov_b32_e32 v109, v103
	v_pk_mul_f32 v[102:103], v[104:105], v[94:95] op_sel:[0,1]
	v_pk_fma_f32 v[106:107], v[104:105], v[92:93], v[102:103] op_sel:[0,0,1] op_sel_hi:[1,1,0] neg_lo:[0,0,1] neg_hi:[0,0,1]
	v_pk_fma_f32 v[102:103], v[104:105], v[92:93], v[102:103] op_sel:[0,0,1] op_sel_hi:[1,0,0]
	s_delay_alu instid0(VALU_DEP_1)
	v_mov_b32_e32 v107, v103
	ds_load_2addr_b64 v[102:105], v96 offset0:33 offset1:34
	v_pk_add_f32 v[48:49], v[48:49], v[108:109] neg_lo:[0,1] neg_hi:[0,1]
	v_pk_add_f32 v[88:89], v[88:89], v[106:107] neg_lo:[0,1] neg_hi:[0,1]
	s_wait_dscnt 0x0
	v_pk_mul_f32 v[106:107], v[102:103], v[94:95] op_sel:[0,1]
	s_delay_alu instid0(VALU_DEP_1) | instskip(SKIP_1) | instid1(VALU_DEP_1)
	v_pk_fma_f32 v[108:109], v[102:103], v[92:93], v[106:107] op_sel:[0,0,1] op_sel_hi:[1,1,0] neg_lo:[0,0,1] neg_hi:[0,0,1]
	v_pk_fma_f32 v[102:103], v[102:103], v[92:93], v[106:107] op_sel:[0,0,1] op_sel_hi:[1,0,0]
	v_mov_b32_e32 v109, v103
	v_pk_mul_f32 v[102:103], v[104:105], v[94:95] op_sel:[0,1]
	s_delay_alu instid0(VALU_DEP_1) | instskip(SKIP_1) | instid1(VALU_DEP_1)
	v_pk_fma_f32 v[106:107], v[104:105], v[92:93], v[102:103] op_sel:[0,0,1] op_sel_hi:[1,1,0] neg_lo:[0,0,1] neg_hi:[0,0,1]
	v_pk_fma_f32 v[102:103], v[104:105], v[92:93], v[102:103] op_sel:[0,0,1] op_sel_hi:[1,0,0]
	v_mov_b32_e32 v107, v103
	ds_load_2addr_b64 v[102:105], v96 offset0:35 offset1:36
	v_pk_add_f32 v[86:87], v[86:87], v[108:109] neg_lo:[0,1] neg_hi:[0,1]
	v_pk_add_f32 v[60:61], v[60:61], v[106:107] neg_lo:[0,1] neg_hi:[0,1]
	s_wait_dscnt 0x0
	v_dual_mul_f32 v106, v103, v95 :: v_dual_mul_f32 v108, v103, v92
	s_delay_alu instid0(VALU_DEP_1) | instskip(NEXT) | instid1(VALU_DEP_2)
	v_pk_fma_f32 v[106:107], v[102:103], v[8:9], v[106:107] op_sel_hi:[1,1,0] neg_lo:[0,0,1] neg_hi:[0,0,1]
	v_pk_fma_f32 v[102:103], v[102:103], v[8:9], v[108:109] op_sel:[1,0,0] op_sel_hi:[0,1,0]
	s_delay_alu instid0(VALU_DEP_1) | instskip(SKIP_1) | instid1(VALU_DEP_2)
	v_mov_b32_e32 v107, v103
	v_pk_mul_f32 v[102:103], v[104:105], v[94:95] op_sel:[0,1]
	v_pk_add_f32 v[58:59], v[58:59], v[106:107] neg_lo:[0,1] neg_hi:[0,1]
	s_delay_alu instid0(VALU_DEP_2) | instskip(SKIP_1) | instid1(VALU_DEP_1)
	v_pk_fma_f32 v[106:107], v[104:105], v[92:93], v[102:103] op_sel:[0,0,1] op_sel_hi:[1,1,0] neg_lo:[0,0,1] neg_hi:[0,0,1]
	v_pk_fma_f32 v[102:103], v[104:105], v[92:93], v[102:103] op_sel:[0,0,1] op_sel_hi:[1,0,0]
	v_mov_b32_e32 v107, v103
	ds_load_2addr_b64 v[102:105], v96 offset0:37 offset1:38
	v_pk_add_f32 v[82:83], v[82:83], v[106:107] neg_lo:[0,1] neg_hi:[0,1]
	s_wait_dscnt 0x0
	v_pk_mul_f32 v[106:107], v[102:103], v[94:95] op_sel:[0,1]
	s_delay_alu instid0(VALU_DEP_1) | instskip(SKIP_1) | instid1(VALU_DEP_1)
	v_pk_fma_f32 v[108:109], v[102:103], v[92:93], v[106:107] op_sel:[0,0,1] op_sel_hi:[1,1,0] neg_lo:[0,0,1] neg_hi:[0,0,1]
	v_pk_fma_f32 v[102:103], v[102:103], v[92:93], v[106:107] op_sel:[0,0,1] op_sel_hi:[1,0,0]
	v_mov_b32_e32 v109, v103
	v_pk_mul_f32 v[102:103], v[104:105], v[94:95] op_sel:[0,1]
	s_delay_alu instid0(VALU_DEP_2) | instskip(NEXT) | instid1(VALU_DEP_2)
	v_pk_add_f32 v[80:81], v[80:81], v[108:109] neg_lo:[0,1] neg_hi:[0,1]
	v_pk_fma_f32 v[106:107], v[104:105], v[92:93], v[102:103] op_sel:[0,0,1] op_sel_hi:[1,1,0] neg_lo:[0,0,1] neg_hi:[0,0,1]
	v_pk_fma_f32 v[102:103], v[104:105], v[92:93], v[102:103] op_sel:[0,0,1] op_sel_hi:[1,0,0]
	s_delay_alu instid0(VALU_DEP_1) | instskip(SKIP_4) | instid1(VALU_DEP_1)
	v_mov_b32_e32 v107, v103
	ds_load_2addr_b64 v[102:105], v96 offset0:39 offset1:40
	v_pk_add_f32 v[64:65], v[64:65], v[106:107] neg_lo:[0,1] neg_hi:[0,1]
	s_wait_dscnt 0x0
	v_pk_mul_f32 v[106:107], v[102:103], v[94:95] op_sel:[0,1]
	v_pk_fma_f32 v[108:109], v[102:103], v[92:93], v[106:107] op_sel:[0,0,1] op_sel_hi:[1,1,0] neg_lo:[0,0,1] neg_hi:[0,0,1]
	v_pk_fma_f32 v[102:103], v[102:103], v[92:93], v[106:107] op_sel:[0,0,1] op_sel_hi:[1,0,0]
	v_dual_mul_f32 v106, v105, v95 :: v_dual_mov_b32 v102, v105
	s_delay_alu instid0(VALU_DEP_2) | instskip(NEXT) | instid1(VALU_DEP_2)
	v_dual_mov_b32 v109, v103 :: v_dual_mov_b32 v103, v104
	v_pk_fma_f32 v[106:107], v[104:105], v[8:9], v[106:107] op_sel_hi:[1,1,0] neg_lo:[0,0,1] neg_hi:[0,0,1]
	v_mul_f32_e32 v104, v105, v92
	s_delay_alu instid0(VALU_DEP_3) | instskip(NEXT) | instid1(VALU_DEP_2)
	v_pk_add_f32 v[62:63], v[62:63], v[108:109] neg_lo:[0,1] neg_hi:[0,1]
	v_pk_fma_f32 v[102:103], v[102:103], v[8:9], v[104:105] op_sel_hi:[1,1,0]
	s_delay_alu instid0(VALU_DEP_1)
	v_mov_b32_e32 v107, v103
	ds_load_2addr_b64 v[102:105], v96 offset0:41 offset1:42
	v_pk_add_f32 v[72:73], v[72:73], v[106:107] neg_lo:[0,1] neg_hi:[0,1]
	s_wait_dscnt 0x0
	v_pk_mul_f32 v[106:107], v[102:103], v[94:95] op_sel:[0,1]
	v_mul_f32_e32 v94, v105, v95
	s_delay_alu instid0(VALU_DEP_2) | instskip(SKIP_2) | instid1(VALU_DEP_4)
	v_pk_fma_f32 v[108:109], v[102:103], v[92:93], v[106:107] op_sel:[0,0,1] op_sel_hi:[1,1,0] neg_lo:[0,0,1] neg_hi:[0,0,1]
	v_pk_fma_f32 v[102:103], v[102:103], v[92:93], v[106:107] op_sel:[0,0,1] op_sel_hi:[1,0,0]
	v_dual_mov_b32 v102, v105 :: v_dual_mul_f32 v92, v105, v92
	v_pk_fma_f32 v[94:95], v[104:105], v[8:9], v[94:95] op_sel_hi:[1,1,0] neg_lo:[0,0,1] neg_hi:[0,0,1]
	s_delay_alu instid0(VALU_DEP_3) | instskip(NEXT) | instid1(VALU_DEP_1)
	v_dual_mov_b32 v109, v103 :: v_dual_mov_b32 v103, v104
	v_pk_add_f32 v[70:71], v[70:71], v[108:109] neg_lo:[0,1] neg_hi:[0,1]
	s_delay_alu instid0(VALU_DEP_2) | instskip(NEXT) | instid1(VALU_DEP_1)
	v_pk_fma_f32 v[92:93], v[102:103], v[8:9], v[92:93] op_sel_hi:[1,1,0]
	v_mov_b32_e32 v95, v93
	s_delay_alu instid0(VALU_DEP_1)
	v_pk_add_f32 v[90:91], v[90:91], v[94:95] neg_lo:[0,1] neg_hi:[0,1]
.LBB84_146:
	s_or_b32 exec_lo, exec_lo, s0
	v_lshl_add_u32 v92, v100, 3, v96
	s_barrier_signal -1
	s_barrier_wait -1
	ds_store_b64 v92, v[6:7]
	s_wait_dscnt 0x0
	s_barrier_signal -1
	s_barrier_wait -1
	ds_load_b64 v[94:95], v96 offset:56
	v_mov_b32_e32 v92, 7
	s_cmp_lt_i32 s14, 9
	s_cbranch_scc1 .LBB84_149
; %bb.147:
	v_add3_u32 v93, v97, 0, 64
	v_mov_b32_e32 v92, 7
	s_mov_b32 s0, 8
.LBB84_148:                             ; =>This Inner Loop Header: Depth=1
	ds_load_b64 v[102:103], v93
	s_wait_dscnt 0x1
	v_cmp_gt_f32_e32 vcc_lo, 0, v94
	v_cndmask_b32_e64 v104, v94, -v94, vcc_lo
	v_cmp_gt_f32_e32 vcc_lo, 0, v95
	v_cndmask_b32_e64 v106, v95, -v95, vcc_lo
	s_wait_dscnt 0x0
	v_cmp_gt_f32_e32 vcc_lo, 0, v102
	v_cndmask_b32_e64 v105, v102, -v102, vcc_lo
	v_cmp_gt_f32_e32 vcc_lo, 0, v103
	v_cndmask_b32_e64 v107, v103, -v103, vcc_lo
	s_delay_alu instid0(VALU_DEP_1) | instskip(NEXT) | instid1(VALU_DEP_1)
	v_pk_add_f32 v[104:105], v[104:105], v[106:107]
	v_cmp_lt_f32_e32 vcc_lo, v104, v105
	v_dual_add_nc_u32 v93, 8, v93 :: v_dual_cndmask_b32 v95, v95, v103, vcc_lo
	v_cndmask_b32_e32 v94, v94, v102, vcc_lo
	v_cndmask_b32_e64 v92, v92, s0, vcc_lo
	s_add_co_i32 s0, s0, 1
	s_delay_alu instid0(SALU_CYCLE_1)
	s_cmp_lg_u32 s14, s0
	s_cbranch_scc1 .LBB84_148
.LBB84_149:
	s_wait_dscnt 0x0
	v_cmp_eq_f32_e32 vcc_lo, 0, v94
	v_cmp_eq_f32_e64 s0, 0, v95
	s_and_b32 s0, vcc_lo, s0
	s_delay_alu instid0(SALU_CYCLE_1) | instskip(NEXT) | instid1(SALU_CYCLE_1)
	s_and_saveexec_b32 s1, s0
	s_xor_b32 s0, exec_lo, s1
; %bb.150:
	v_cmp_ne_u32_e32 vcc_lo, 0, v98
	v_cndmask_b32_e32 v98, 8, v98, vcc_lo
; %bb.151:
	s_and_not1_saveexec_b32 s0, s0
	s_cbranch_execz .LBB84_157
; %bb.152:
	v_cmp_ngt_f32_e64 s1, |v94|, |v95|
	s_and_saveexec_b32 s15, s1
	s_delay_alu instid0(SALU_CYCLE_1)
	s_xor_b32 s1, exec_lo, s15
	s_cbranch_execz .LBB84_154
; %bb.153:
	v_div_scale_f32 v93, null, v95, v95, v94
	v_div_scale_f32 v103, vcc_lo, v94, v95, v94
	s_delay_alu instid0(VALU_DEP_2) | instskip(SKIP_1) | instid1(TRANS32_DEP_1)
	v_rcp_f32_e32 v101, v93
	v_nop
	v_fma_f32 v102, -v93, v101, 1.0
	s_delay_alu instid0(VALU_DEP_1) | instskip(NEXT) | instid1(VALU_DEP_1)
	v_fmac_f32_e32 v101, v102, v101
	v_mul_f32_e32 v102, v103, v101
	s_delay_alu instid0(VALU_DEP_1) | instskip(NEXT) | instid1(VALU_DEP_1)
	v_fma_f32 v104, -v93, v102, v103
	v_fmac_f32_e32 v102, v104, v101
	s_delay_alu instid0(VALU_DEP_1) | instskip(NEXT) | instid1(VALU_DEP_1)
	v_fma_f32 v93, -v93, v102, v103
	v_div_fmas_f32 v93, v93, v101, v102
	s_delay_alu instid0(VALU_DEP_1) | instskip(NEXT) | instid1(VALU_DEP_1)
	v_div_fixup_f32 v93, v93, v95, v94
	v_fmac_f32_e32 v95, v94, v93
	s_delay_alu instid0(VALU_DEP_1) | instskip(SKIP_1) | instid1(VALU_DEP_2)
	v_div_scale_f32 v94, null, v95, v95, 1.0
	v_div_scale_f32 v103, vcc_lo, 1.0, v95, 1.0
	v_rcp_f32_e32 v101, v94
	v_nop
	s_delay_alu instid0(TRANS32_DEP_1) | instskip(NEXT) | instid1(VALU_DEP_1)
	v_fma_f32 v102, -v94, v101, 1.0
	v_fmac_f32_e32 v101, v102, v101
	s_delay_alu instid0(VALU_DEP_1) | instskip(NEXT) | instid1(VALU_DEP_1)
	v_mul_f32_e32 v102, v103, v101
	v_fma_f32 v104, -v94, v102, v103
	s_delay_alu instid0(VALU_DEP_1) | instskip(NEXT) | instid1(VALU_DEP_1)
	v_fmac_f32_e32 v102, v104, v101
	v_fma_f32 v94, -v94, v102, v103
	s_delay_alu instid0(VALU_DEP_1) | instskip(NEXT) | instid1(VALU_DEP_1)
	v_div_fmas_f32 v94, v94, v101, v102
	v_div_fixup_f32 v95, v94, v95, 1.0
	s_delay_alu instid0(VALU_DEP_1)
	v_mul_f32_e32 v94, v93, v95
	v_xor_b32_e32 v95, 0x80000000, v95
.LBB84_154:
	s_and_not1_saveexec_b32 s1, s1
	s_cbranch_execz .LBB84_156
; %bb.155:
	s_delay_alu instid0(VALU_DEP_1) | instskip(SKIP_1) | instid1(VALU_DEP_2)
	v_div_scale_f32 v93, null, v94, v94, v95
	v_div_scale_f32 v103, vcc_lo, v95, v94, v95
	v_rcp_f32_e32 v101, v93
	v_nop
	s_delay_alu instid0(TRANS32_DEP_1) | instskip(NEXT) | instid1(VALU_DEP_1)
	v_fma_f32 v102, -v93, v101, 1.0
	v_fmac_f32_e32 v101, v102, v101
	s_delay_alu instid0(VALU_DEP_1) | instskip(NEXT) | instid1(VALU_DEP_1)
	v_mul_f32_e32 v102, v103, v101
	v_fma_f32 v104, -v93, v102, v103
	s_delay_alu instid0(VALU_DEP_1) | instskip(NEXT) | instid1(VALU_DEP_1)
	v_fmac_f32_e32 v102, v104, v101
	v_fma_f32 v93, -v93, v102, v103
	s_delay_alu instid0(VALU_DEP_1) | instskip(NEXT) | instid1(VALU_DEP_1)
	v_div_fmas_f32 v93, v93, v101, v102
	v_div_fixup_f32 v93, v93, v94, v95
	s_delay_alu instid0(VALU_DEP_1) | instskip(NEXT) | instid1(VALU_DEP_1)
	v_fmac_f32_e32 v94, v95, v93
	v_div_scale_f32 v95, null, v94, v94, 1.0
	s_delay_alu instid0(VALU_DEP_1) | instskip(SKIP_1) | instid1(TRANS32_DEP_1)
	v_rcp_f32_e32 v101, v95
	v_nop
	v_fma_f32 v102, -v95, v101, 1.0
	s_delay_alu instid0(VALU_DEP_1) | instskip(SKIP_1) | instid1(VALU_DEP_1)
	v_fmac_f32_e32 v101, v102, v101
	v_div_scale_f32 v102, vcc_lo, 1.0, v94, 1.0
	v_mul_f32_e32 v103, v102, v101
	s_delay_alu instid0(VALU_DEP_1) | instskip(NEXT) | instid1(VALU_DEP_1)
	v_fma_f32 v104, -v95, v103, v102
	v_fmac_f32_e32 v103, v104, v101
	s_delay_alu instid0(VALU_DEP_1) | instskip(NEXT) | instid1(VALU_DEP_1)
	v_fma_f32 v95, -v95, v103, v102
	v_div_fmas_f32 v95, v95, v101, v103
	s_delay_alu instid0(VALU_DEP_1) | instskip(NEXT) | instid1(VALU_DEP_1)
	v_div_fixup_f32 v94, v95, v94, 1.0
	v_mul_f32_e64 v95, v93, -v94
.LBB84_156:
	s_or_b32 exec_lo, exec_lo, s1
.LBB84_157:
	s_delay_alu instid0(SALU_CYCLE_1) | instskip(NEXT) | instid1(SALU_CYCLE_1)
	s_or_b32 exec_lo, exec_lo, s0
	s_mov_b32 s0, exec_lo
	v_cmpx_ne_u32_e64 v100, v92
	s_xor_b32 s0, exec_lo, s0
	s_cbranch_execz .LBB84_163
; %bb.158:
	s_mov_b32 s1, exec_lo
	v_cmpx_eq_u32_e32 7, v100
	s_cbranch_execz .LBB84_162
; %bb.159:
	v_cmp_ne_u32_e32 vcc_lo, 7, v92
	s_xor_b32 s15, s12, -1
	s_delay_alu instid0(SALU_CYCLE_1) | instskip(NEXT) | instid1(SALU_CYCLE_1)
	s_and_b32 s16, s15, vcc_lo
	s_and_saveexec_b32 s15, s16
	s_cbranch_execz .LBB84_161
; %bb.160:
	v_ashrrev_i32_e32 v93, 31, v92
	s_delay_alu instid0(VALU_DEP_1)
	v_lshl_add_u64 v[100:101], v[92:93], 2, v[4:5]
	s_clause 0x1
	global_load_b32 v93, v[100:101], off
	global_load_b32 v99, v[4:5], off offset:28
	s_wait_loadcnt 0x1
	global_store_b32 v[4:5], v93, off offset:28
	s_wait_loadcnt 0x0
	global_store_b32 v[100:101], v99, off
.LBB84_161:
	s_wait_xcnt 0x0
	s_or_b32 exec_lo, exec_lo, s15
	v_dual_mov_b32 v100, v92 :: v_dual_mov_b32 v99, v92
.LBB84_162:
	s_or_b32 exec_lo, exec_lo, s1
.LBB84_163:
	s_and_not1_saveexec_b32 s0, s0
	s_cbranch_execz .LBB84_165
; %bb.164:
	v_dual_mov_b32 v92, v24 :: v_dual_mov_b32 v93, v25
	v_dual_mov_b32 v100, v22 :: v_dual_mov_b32 v101, v23
	ds_store_2addr_b64 v96, v[92:93], v[100:101] offset0:8 offset1:9
	v_dual_mov_b32 v92, v12 :: v_dual_mov_b32 v93, v13
	v_dual_mov_b32 v100, v10 :: v_dual_mov_b32 v101, v11
	ds_store_2addr_b64 v96, v[92:93], v[100:101] offset0:10 offset1:11
	;; [unrolled: 3-line block ×17, first 2 shown]
	ds_store_b64 v96, v[90:91] offset:336
	v_mov_b32_e32 v100, 7
.LBB84_165:
	s_or_b32 exec_lo, exec_lo, s0
	s_delay_alu instid0(SALU_CYCLE_1)
	s_mov_b32 s0, exec_lo
	s_wait_storecnt_dscnt 0x0
	s_barrier_signal -1
	s_barrier_wait -1
	v_cmpx_lt_i32_e32 7, v100
	s_cbranch_execz .LBB84_167
; %bb.166:
	v_pk_mul_f32 v[102:103], v[94:95], v[6:7] op_sel:[1,1] op_sel_hi:[0,1]
	s_delay_alu instid0(VALU_DEP_1)
	v_pk_fma_f32 v[92:93], v[94:95], v[6:7], v[102:103] op_sel_hi:[1,0,1] neg_lo:[0,0,1] neg_hi:[0,0,1]
	v_pk_fma_f32 v[94:95], v[94:95], v[6:7], v[102:103] op_sel_hi:[1,0,1]
	ds_load_2addr_b64 v[102:105], v96 offset0:8 offset1:9
	v_dual_mov_b32 v6, v92 :: v_dual_mov_b32 v7, v95
	s_wait_dscnt 0x0
	v_pk_mul_f32 v[106:107], v[102:103], v[94:95] op_sel:[0,1]
	s_delay_alu instid0(VALU_DEP_1) | instskip(SKIP_1) | instid1(VALU_DEP_1)
	v_pk_fma_f32 v[108:109], v[102:103], v[92:93], v[106:107] op_sel:[0,0,1] op_sel_hi:[1,1,0] neg_lo:[0,0,1] neg_hi:[0,0,1]
	v_pk_fma_f32 v[102:103], v[102:103], v[92:93], v[106:107] op_sel:[0,0,1] op_sel_hi:[1,0,0]
	v_mov_b32_e32 v109, v103
	v_pk_mul_f32 v[102:103], v[104:105], v[94:95] op_sel:[0,1]
	s_delay_alu instid0(VALU_DEP_1) | instskip(SKIP_1) | instid1(VALU_DEP_1)
	v_pk_fma_f32 v[106:107], v[104:105], v[92:93], v[102:103] op_sel:[0,0,1] op_sel_hi:[1,1,0] neg_lo:[0,0,1] neg_hi:[0,0,1]
	v_pk_fma_f32 v[102:103], v[104:105], v[92:93], v[102:103] op_sel:[0,0,1] op_sel_hi:[1,0,0]
	v_mov_b32_e32 v107, v103
	ds_load_2addr_b64 v[102:105], v96 offset0:10 offset1:11
	v_pk_add_f32 v[24:25], v[24:25], v[108:109] neg_lo:[0,1] neg_hi:[0,1]
	v_pk_add_f32 v[22:23], v[22:23], v[106:107] neg_lo:[0,1] neg_hi:[0,1]
	s_wait_dscnt 0x0
	v_pk_mul_f32 v[106:107], v[102:103], v[94:95] op_sel:[0,1]
	s_delay_alu instid0(VALU_DEP_1) | instskip(SKIP_2) | instid1(VALU_DEP_2)
	v_pk_fma_f32 v[108:109], v[102:103], v[92:93], v[106:107] op_sel:[0,0,1] op_sel_hi:[1,1,0] neg_lo:[0,0,1] neg_hi:[0,0,1]
	v_pk_fma_f32 v[102:103], v[102:103], v[92:93], v[106:107] op_sel:[0,0,1] op_sel_hi:[1,0,0]
	v_dual_mul_f32 v106, v105, v95 :: v_dual_mov_b32 v102, v105
	v_dual_mov_b32 v109, v103 :: v_dual_mov_b32 v103, v104
	s_delay_alu instid0(VALU_DEP_2) | instskip(SKIP_1) | instid1(VALU_DEP_3)
	v_pk_fma_f32 v[106:107], v[104:105], v[6:7], v[106:107] op_sel_hi:[1,1,0] neg_lo:[0,0,1] neg_hi:[0,0,1]
	v_mul_f32_e32 v104, v105, v92
	v_pk_add_f32 v[12:13], v[12:13], v[108:109] neg_lo:[0,1] neg_hi:[0,1]
	s_delay_alu instid0(VALU_DEP_2) | instskip(NEXT) | instid1(VALU_DEP_1)
	v_pk_fma_f32 v[102:103], v[102:103], v[6:7], v[104:105] op_sel_hi:[1,1,0]
	v_mov_b32_e32 v107, v103
	ds_load_2addr_b64 v[102:105], v96 offset0:12 offset1:13
	v_pk_add_f32 v[10:11], v[10:11], v[106:107] neg_lo:[0,1] neg_hi:[0,1]
	s_wait_dscnt 0x0
	v_pk_mul_f32 v[106:107], v[102:103], v[94:95] op_sel:[0,1]
	s_delay_alu instid0(VALU_DEP_1) | instskip(SKIP_1) | instid1(VALU_DEP_1)
	v_pk_fma_f32 v[108:109], v[102:103], v[92:93], v[106:107] op_sel:[0,0,1] op_sel_hi:[1,1,0] neg_lo:[0,0,1] neg_hi:[0,0,1]
	v_pk_fma_f32 v[102:103], v[102:103], v[92:93], v[106:107] op_sel:[0,0,1] op_sel_hi:[1,0,0]
	v_mov_b32_e32 v109, v103
	v_pk_mul_f32 v[102:103], v[104:105], v[94:95] op_sel:[0,1]
	s_delay_alu instid0(VALU_DEP_1) | instskip(SKIP_1) | instid1(VALU_DEP_1)
	v_pk_fma_f32 v[106:107], v[104:105], v[92:93], v[102:103] op_sel:[0,0,1] op_sel_hi:[1,1,0] neg_lo:[0,0,1] neg_hi:[0,0,1]
	v_pk_fma_f32 v[102:103], v[104:105], v[92:93], v[102:103] op_sel:[0,0,1] op_sel_hi:[1,0,0]
	v_mov_b32_e32 v107, v103
	ds_load_2addr_b64 v[102:105], v96 offset0:14 offset1:15
	v_pk_add_f32 v[36:37], v[36:37], v[108:109] neg_lo:[0,1] neg_hi:[0,1]
	v_pk_add_f32 v[34:35], v[34:35], v[106:107] neg_lo:[0,1] neg_hi:[0,1]
	s_wait_dscnt 0x0
	v_pk_mul_f32 v[106:107], v[102:103], v[94:95] op_sel:[0,1]
	s_delay_alu instid0(VALU_DEP_1) | instskip(SKIP_1) | instid1(VALU_DEP_1)
	v_pk_fma_f32 v[108:109], v[102:103], v[92:93], v[106:107] op_sel:[0,0,1] op_sel_hi:[1,1,0] neg_lo:[0,0,1] neg_hi:[0,0,1]
	v_pk_fma_f32 v[102:103], v[102:103], v[92:93], v[106:107] op_sel:[0,0,1] op_sel_hi:[1,0,0]
	v_mov_b32_e32 v109, v103
	v_pk_mul_f32 v[102:103], v[104:105], v[94:95] op_sel:[0,1]
	s_delay_alu instid0(VALU_DEP_1) | instskip(SKIP_1) | instid1(VALU_DEP_1)
	v_pk_fma_f32 v[106:107], v[104:105], v[92:93], v[102:103] op_sel:[0,0,1] op_sel_hi:[1,1,0] neg_lo:[0,0,1] neg_hi:[0,0,1]
	v_pk_fma_f32 v[102:103], v[104:105], v[92:93], v[102:103] op_sel:[0,0,1] op_sel_hi:[1,0,0]
	v_mov_b32_e32 v107, v103
	ds_load_2addr_b64 v[102:105], v96 offset0:16 offset1:17
	v_pk_add_f32 v[20:21], v[20:21], v[108:109] neg_lo:[0,1] neg_hi:[0,1]
	v_pk_add_f32 v[18:19], v[18:19], v[106:107] neg_lo:[0,1] neg_hi:[0,1]
	s_wait_dscnt 0x0
	v_dual_mul_f32 v106, v103, v95 :: v_dual_mul_f32 v108, v103, v92
	s_delay_alu instid0(VALU_DEP_1) | instskip(NEXT) | instid1(VALU_DEP_2)
	v_pk_fma_f32 v[106:107], v[102:103], v[6:7], v[106:107] op_sel_hi:[1,1,0] neg_lo:[0,0,1] neg_hi:[0,0,1]
	v_pk_fma_f32 v[102:103], v[102:103], v[6:7], v[108:109] op_sel:[1,0,0] op_sel_hi:[0,1,0]
	s_delay_alu instid0(VALU_DEP_1) | instskip(SKIP_1) | instid1(VALU_DEP_2)
	v_mov_b32_e32 v107, v103
	v_pk_mul_f32 v[102:103], v[104:105], v[94:95] op_sel:[0,1]
	v_pk_add_f32 v[46:47], v[46:47], v[106:107] neg_lo:[0,1] neg_hi:[0,1]
	s_delay_alu instid0(VALU_DEP_2) | instskip(SKIP_1) | instid1(VALU_DEP_1)
	v_pk_fma_f32 v[106:107], v[104:105], v[92:93], v[102:103] op_sel:[0,0,1] op_sel_hi:[1,1,0] neg_lo:[0,0,1] neg_hi:[0,0,1]
	v_pk_fma_f32 v[102:103], v[104:105], v[92:93], v[102:103] op_sel:[0,0,1] op_sel_hi:[1,0,0]
	v_mov_b32_e32 v107, v103
	ds_load_2addr_b64 v[102:105], v96 offset0:18 offset1:19
	v_pk_add_f32 v[44:45], v[44:45], v[106:107] neg_lo:[0,1] neg_hi:[0,1]
	s_wait_dscnt 0x0
	v_pk_mul_f32 v[106:107], v[102:103], v[94:95] op_sel:[0,1]
	s_delay_alu instid0(VALU_DEP_1) | instskip(SKIP_1) | instid1(VALU_DEP_1)
	v_pk_fma_f32 v[108:109], v[102:103], v[92:93], v[106:107] op_sel:[0,0,1] op_sel_hi:[1,1,0] neg_lo:[0,0,1] neg_hi:[0,0,1]
	v_pk_fma_f32 v[102:103], v[102:103], v[92:93], v[106:107] op_sel:[0,0,1] op_sel_hi:[1,0,0]
	v_mov_b32_e32 v109, v103
	v_pk_mul_f32 v[102:103], v[104:105], v[94:95] op_sel:[0,1]
	s_delay_alu instid0(VALU_DEP_2) | instskip(NEXT) | instid1(VALU_DEP_2)
	v_pk_add_f32 v[28:29], v[28:29], v[108:109] neg_lo:[0,1] neg_hi:[0,1]
	v_pk_fma_f32 v[106:107], v[104:105], v[92:93], v[102:103] op_sel:[0,0,1] op_sel_hi:[1,1,0] neg_lo:[0,0,1] neg_hi:[0,0,1]
	v_pk_fma_f32 v[102:103], v[104:105], v[92:93], v[102:103] op_sel:[0,0,1] op_sel_hi:[1,0,0]
	s_delay_alu instid0(VALU_DEP_1) | instskip(SKIP_4) | instid1(VALU_DEP_1)
	v_mov_b32_e32 v107, v103
	ds_load_2addr_b64 v[102:105], v96 offset0:20 offset1:21
	v_pk_add_f32 v[26:27], v[26:27], v[106:107] neg_lo:[0,1] neg_hi:[0,1]
	s_wait_dscnt 0x0
	v_pk_mul_f32 v[106:107], v[102:103], v[94:95] op_sel:[0,1]
	v_pk_fma_f32 v[108:109], v[102:103], v[92:93], v[106:107] op_sel:[0,0,1] op_sel_hi:[1,1,0] neg_lo:[0,0,1] neg_hi:[0,0,1]
	v_pk_fma_f32 v[102:103], v[102:103], v[92:93], v[106:107] op_sel:[0,0,1] op_sel_hi:[1,0,0]
	v_dual_mul_f32 v106, v105, v95 :: v_dual_mov_b32 v102, v105
	s_delay_alu instid0(VALU_DEP_2) | instskip(NEXT) | instid1(VALU_DEP_2)
	v_dual_mov_b32 v109, v103 :: v_dual_mov_b32 v103, v104
	v_pk_fma_f32 v[106:107], v[104:105], v[6:7], v[106:107] op_sel_hi:[1,1,0] neg_lo:[0,0,1] neg_hi:[0,0,1]
	v_mul_f32_e32 v104, v105, v92
	s_delay_alu instid0(VALU_DEP_3) | instskip(NEXT) | instid1(VALU_DEP_2)
	v_pk_add_f32 v[54:55], v[54:55], v[108:109] neg_lo:[0,1] neg_hi:[0,1]
	v_pk_fma_f32 v[102:103], v[102:103], v[6:7], v[104:105] op_sel_hi:[1,1,0]
	s_delay_alu instid0(VALU_DEP_1) | instskip(SKIP_4) | instid1(VALU_DEP_1)
	v_mov_b32_e32 v107, v103
	ds_load_2addr_b64 v[102:105], v96 offset0:22 offset1:23
	v_pk_add_f32 v[52:53], v[52:53], v[106:107] neg_lo:[0,1] neg_hi:[0,1]
	s_wait_dscnt 0x0
	v_pk_mul_f32 v[106:107], v[102:103], v[94:95] op_sel:[0,1]
	v_pk_fma_f32 v[108:109], v[102:103], v[92:93], v[106:107] op_sel:[0,0,1] op_sel_hi:[1,1,0] neg_lo:[0,0,1] neg_hi:[0,0,1]
	v_pk_fma_f32 v[102:103], v[102:103], v[92:93], v[106:107] op_sel:[0,0,1] op_sel_hi:[1,0,0]
	s_delay_alu instid0(VALU_DEP_1) | instskip(SKIP_1) | instid1(VALU_DEP_1)
	v_mov_b32_e32 v109, v103
	v_pk_mul_f32 v[102:103], v[104:105], v[94:95] op_sel:[0,1]
	v_pk_fma_f32 v[106:107], v[104:105], v[92:93], v[102:103] op_sel:[0,0,1] op_sel_hi:[1,1,0] neg_lo:[0,0,1] neg_hi:[0,0,1]
	v_pk_fma_f32 v[102:103], v[104:105], v[92:93], v[102:103] op_sel:[0,0,1] op_sel_hi:[1,0,0]
	s_delay_alu instid0(VALU_DEP_1)
	v_mov_b32_e32 v107, v103
	ds_load_2addr_b64 v[102:105], v96 offset0:24 offset1:25
	v_pk_add_f32 v[32:33], v[32:33], v[108:109] neg_lo:[0,1] neg_hi:[0,1]
	v_pk_add_f32 v[30:31], v[30:31], v[106:107] neg_lo:[0,1] neg_hi:[0,1]
	s_wait_dscnt 0x0
	v_pk_mul_f32 v[106:107], v[102:103], v[94:95] op_sel:[0,1]
	s_delay_alu instid0(VALU_DEP_1) | instskip(SKIP_1) | instid1(VALU_DEP_1)
	v_pk_fma_f32 v[108:109], v[102:103], v[92:93], v[106:107] op_sel:[0,0,1] op_sel_hi:[1,1,0] neg_lo:[0,0,1] neg_hi:[0,0,1]
	v_pk_fma_f32 v[102:103], v[102:103], v[92:93], v[106:107] op_sel:[0,0,1] op_sel_hi:[1,0,0]
	v_mov_b32_e32 v109, v103
	v_pk_mul_f32 v[102:103], v[104:105], v[94:95] op_sel:[0,1]
	s_delay_alu instid0(VALU_DEP_1) | instskip(SKIP_1) | instid1(VALU_DEP_1)
	v_pk_fma_f32 v[106:107], v[104:105], v[92:93], v[102:103] op_sel:[0,0,1] op_sel_hi:[1,1,0] neg_lo:[0,0,1] neg_hi:[0,0,1]
	v_pk_fma_f32 v[102:103], v[104:105], v[92:93], v[102:103] op_sel:[0,0,1] op_sel_hi:[1,0,0]
	v_mov_b32_e32 v107, v103
	ds_load_2addr_b64 v[102:105], v96 offset0:26 offset1:27
	v_pk_add_f32 v[68:69], v[68:69], v[108:109] neg_lo:[0,1] neg_hi:[0,1]
	v_pk_add_f32 v[66:67], v[66:67], v[106:107] neg_lo:[0,1] neg_hi:[0,1]
	s_wait_dscnt 0x0
	v_dual_mul_f32 v106, v103, v95 :: v_dual_mul_f32 v108, v103, v92
	s_delay_alu instid0(VALU_DEP_1) | instskip(NEXT) | instid1(VALU_DEP_2)
	v_pk_fma_f32 v[106:107], v[102:103], v[6:7], v[106:107] op_sel_hi:[1,1,0] neg_lo:[0,0,1] neg_hi:[0,0,1]
	v_pk_fma_f32 v[102:103], v[102:103], v[6:7], v[108:109] op_sel:[1,0,0] op_sel_hi:[0,1,0]
	s_delay_alu instid0(VALU_DEP_1) | instskip(SKIP_1) | instid1(VALU_DEP_2)
	v_mov_b32_e32 v107, v103
	v_pk_mul_f32 v[102:103], v[104:105], v[94:95] op_sel:[0,1]
	v_pk_add_f32 v[40:41], v[40:41], v[106:107] neg_lo:[0,1] neg_hi:[0,1]
	s_delay_alu instid0(VALU_DEP_2) | instskip(SKIP_1) | instid1(VALU_DEP_1)
	v_pk_fma_f32 v[106:107], v[104:105], v[92:93], v[102:103] op_sel:[0,0,1] op_sel_hi:[1,1,0] neg_lo:[0,0,1] neg_hi:[0,0,1]
	v_pk_fma_f32 v[102:103], v[104:105], v[92:93], v[102:103] op_sel:[0,0,1] op_sel_hi:[1,0,0]
	v_mov_b32_e32 v107, v103
	ds_load_2addr_b64 v[102:105], v96 offset0:28 offset1:29
	v_pk_add_f32 v[38:39], v[38:39], v[106:107] neg_lo:[0,1] neg_hi:[0,1]
	s_wait_dscnt 0x0
	v_pk_mul_f32 v[106:107], v[102:103], v[94:95] op_sel:[0,1]
	s_delay_alu instid0(VALU_DEP_1) | instskip(SKIP_1) | instid1(VALU_DEP_1)
	v_pk_fma_f32 v[108:109], v[102:103], v[92:93], v[106:107] op_sel:[0,0,1] op_sel_hi:[1,1,0] neg_lo:[0,0,1] neg_hi:[0,0,1]
	v_pk_fma_f32 v[102:103], v[102:103], v[92:93], v[106:107] op_sel:[0,0,1] op_sel_hi:[1,0,0]
	v_mov_b32_e32 v109, v103
	v_pk_mul_f32 v[102:103], v[104:105], v[94:95] op_sel:[0,1]
	s_delay_alu instid0(VALU_DEP_2) | instskip(NEXT) | instid1(VALU_DEP_2)
	v_pk_add_f32 v[76:77], v[76:77], v[108:109] neg_lo:[0,1] neg_hi:[0,1]
	v_pk_fma_f32 v[106:107], v[104:105], v[92:93], v[102:103] op_sel:[0,0,1] op_sel_hi:[1,1,0] neg_lo:[0,0,1] neg_hi:[0,0,1]
	v_pk_fma_f32 v[102:103], v[104:105], v[92:93], v[102:103] op_sel:[0,0,1] op_sel_hi:[1,0,0]
	s_delay_alu instid0(VALU_DEP_1) | instskip(SKIP_4) | instid1(VALU_DEP_1)
	v_mov_b32_e32 v107, v103
	ds_load_2addr_b64 v[102:105], v96 offset0:30 offset1:31
	v_pk_add_f32 v[74:75], v[74:75], v[106:107] neg_lo:[0,1] neg_hi:[0,1]
	s_wait_dscnt 0x0
	v_pk_mul_f32 v[106:107], v[102:103], v[94:95] op_sel:[0,1]
	v_pk_fma_f32 v[108:109], v[102:103], v[92:93], v[106:107] op_sel:[0,0,1] op_sel_hi:[1,1,0] neg_lo:[0,0,1] neg_hi:[0,0,1]
	v_pk_fma_f32 v[102:103], v[102:103], v[92:93], v[106:107] op_sel:[0,0,1] op_sel_hi:[1,0,0]
	v_dual_mul_f32 v106, v105, v95 :: v_dual_mov_b32 v102, v105
	s_delay_alu instid0(VALU_DEP_2) | instskip(NEXT) | instid1(VALU_DEP_2)
	v_dual_mov_b32 v109, v103 :: v_dual_mov_b32 v103, v104
	v_pk_fma_f32 v[106:107], v[104:105], v[6:7], v[106:107] op_sel_hi:[1,1,0] neg_lo:[0,0,1] neg_hi:[0,0,1]
	v_mul_f32_e32 v104, v105, v92
	s_delay_alu instid0(VALU_DEP_3) | instskip(NEXT) | instid1(VALU_DEP_2)
	v_pk_add_f32 v[50:51], v[50:51], v[108:109] neg_lo:[0,1] neg_hi:[0,1]
	v_pk_fma_f32 v[102:103], v[102:103], v[6:7], v[104:105] op_sel_hi:[1,1,0]
	s_delay_alu instid0(VALU_DEP_1) | instskip(SKIP_4) | instid1(VALU_DEP_1)
	v_mov_b32_e32 v107, v103
	ds_load_2addr_b64 v[102:105], v96 offset0:32 offset1:33
	v_pk_add_f32 v[48:49], v[48:49], v[106:107] neg_lo:[0,1] neg_hi:[0,1]
	s_wait_dscnt 0x0
	v_pk_mul_f32 v[106:107], v[102:103], v[94:95] op_sel:[0,1]
	v_pk_fma_f32 v[108:109], v[102:103], v[92:93], v[106:107] op_sel:[0,0,1] op_sel_hi:[1,1,0] neg_lo:[0,0,1] neg_hi:[0,0,1]
	v_pk_fma_f32 v[102:103], v[102:103], v[92:93], v[106:107] op_sel:[0,0,1] op_sel_hi:[1,0,0]
	s_delay_alu instid0(VALU_DEP_1) | instskip(SKIP_1) | instid1(VALU_DEP_1)
	v_mov_b32_e32 v109, v103
	v_pk_mul_f32 v[102:103], v[104:105], v[94:95] op_sel:[0,1]
	v_pk_fma_f32 v[106:107], v[104:105], v[92:93], v[102:103] op_sel:[0,0,1] op_sel_hi:[1,1,0] neg_lo:[0,0,1] neg_hi:[0,0,1]
	v_pk_fma_f32 v[102:103], v[104:105], v[92:93], v[102:103] op_sel:[0,0,1] op_sel_hi:[1,0,0]
	s_delay_alu instid0(VALU_DEP_1)
	v_mov_b32_e32 v107, v103
	ds_load_2addr_b64 v[102:105], v96 offset0:34 offset1:35
	v_pk_add_f32 v[88:89], v[88:89], v[108:109] neg_lo:[0,1] neg_hi:[0,1]
	v_pk_add_f32 v[86:87], v[86:87], v[106:107] neg_lo:[0,1] neg_hi:[0,1]
	s_wait_dscnt 0x0
	v_pk_mul_f32 v[106:107], v[102:103], v[94:95] op_sel:[0,1]
	s_delay_alu instid0(VALU_DEP_1) | instskip(SKIP_1) | instid1(VALU_DEP_1)
	v_pk_fma_f32 v[108:109], v[102:103], v[92:93], v[106:107] op_sel:[0,0,1] op_sel_hi:[1,1,0] neg_lo:[0,0,1] neg_hi:[0,0,1]
	v_pk_fma_f32 v[102:103], v[102:103], v[92:93], v[106:107] op_sel:[0,0,1] op_sel_hi:[1,0,0]
	v_mov_b32_e32 v109, v103
	v_pk_mul_f32 v[102:103], v[104:105], v[94:95] op_sel:[0,1]
	s_delay_alu instid0(VALU_DEP_1) | instskip(SKIP_1) | instid1(VALU_DEP_1)
	v_pk_fma_f32 v[106:107], v[104:105], v[92:93], v[102:103] op_sel:[0,0,1] op_sel_hi:[1,1,0] neg_lo:[0,0,1] neg_hi:[0,0,1]
	v_pk_fma_f32 v[102:103], v[104:105], v[92:93], v[102:103] op_sel:[0,0,1] op_sel_hi:[1,0,0]
	v_mov_b32_e32 v107, v103
	ds_load_2addr_b64 v[102:105], v96 offset0:36 offset1:37
	v_pk_add_f32 v[60:61], v[60:61], v[108:109] neg_lo:[0,1] neg_hi:[0,1]
	v_pk_add_f32 v[58:59], v[58:59], v[106:107] neg_lo:[0,1] neg_hi:[0,1]
	s_wait_dscnt 0x0
	v_dual_mul_f32 v106, v103, v95 :: v_dual_mul_f32 v108, v103, v92
	s_delay_alu instid0(VALU_DEP_1) | instskip(NEXT) | instid1(VALU_DEP_2)
	v_pk_fma_f32 v[106:107], v[102:103], v[6:7], v[106:107] op_sel_hi:[1,1,0] neg_lo:[0,0,1] neg_hi:[0,0,1]
	v_pk_fma_f32 v[102:103], v[102:103], v[6:7], v[108:109] op_sel:[1,0,0] op_sel_hi:[0,1,0]
	s_delay_alu instid0(VALU_DEP_1) | instskip(SKIP_1) | instid1(VALU_DEP_2)
	v_mov_b32_e32 v107, v103
	v_pk_mul_f32 v[102:103], v[104:105], v[94:95] op_sel:[0,1]
	v_pk_add_f32 v[82:83], v[82:83], v[106:107] neg_lo:[0,1] neg_hi:[0,1]
	s_delay_alu instid0(VALU_DEP_2) | instskip(SKIP_1) | instid1(VALU_DEP_1)
	v_pk_fma_f32 v[106:107], v[104:105], v[92:93], v[102:103] op_sel:[0,0,1] op_sel_hi:[1,1,0] neg_lo:[0,0,1] neg_hi:[0,0,1]
	v_pk_fma_f32 v[102:103], v[104:105], v[92:93], v[102:103] op_sel:[0,0,1] op_sel_hi:[1,0,0]
	v_mov_b32_e32 v107, v103
	ds_load_2addr_b64 v[102:105], v96 offset0:38 offset1:39
	v_pk_add_f32 v[80:81], v[80:81], v[106:107] neg_lo:[0,1] neg_hi:[0,1]
	s_wait_dscnt 0x0
	v_pk_mul_f32 v[106:107], v[102:103], v[94:95] op_sel:[0,1]
	s_delay_alu instid0(VALU_DEP_1) | instskip(SKIP_1) | instid1(VALU_DEP_1)
	v_pk_fma_f32 v[108:109], v[102:103], v[92:93], v[106:107] op_sel:[0,0,1] op_sel_hi:[1,1,0] neg_lo:[0,0,1] neg_hi:[0,0,1]
	v_pk_fma_f32 v[102:103], v[102:103], v[92:93], v[106:107] op_sel:[0,0,1] op_sel_hi:[1,0,0]
	v_mov_b32_e32 v109, v103
	v_pk_mul_f32 v[102:103], v[104:105], v[94:95] op_sel:[0,1]
	s_delay_alu instid0(VALU_DEP_2) | instskip(NEXT) | instid1(VALU_DEP_2)
	v_pk_add_f32 v[64:65], v[64:65], v[108:109] neg_lo:[0,1] neg_hi:[0,1]
	v_pk_fma_f32 v[106:107], v[104:105], v[92:93], v[102:103] op_sel:[0,0,1] op_sel_hi:[1,1,0] neg_lo:[0,0,1] neg_hi:[0,0,1]
	v_pk_fma_f32 v[102:103], v[104:105], v[92:93], v[102:103] op_sel:[0,0,1] op_sel_hi:[1,0,0]
	s_delay_alu instid0(VALU_DEP_1) | instskip(SKIP_4) | instid1(VALU_DEP_1)
	v_mov_b32_e32 v107, v103
	ds_load_2addr_b64 v[102:105], v96 offset0:40 offset1:41
	v_pk_add_f32 v[62:63], v[62:63], v[106:107] neg_lo:[0,1] neg_hi:[0,1]
	s_wait_dscnt 0x0
	v_pk_mul_f32 v[106:107], v[102:103], v[94:95] op_sel:[0,1]
	v_pk_fma_f32 v[108:109], v[102:103], v[92:93], v[106:107] op_sel:[0,0,1] op_sel_hi:[1,1,0] neg_lo:[0,0,1] neg_hi:[0,0,1]
	v_pk_fma_f32 v[102:103], v[102:103], v[92:93], v[106:107] op_sel:[0,0,1] op_sel_hi:[1,0,0]
	v_dual_mul_f32 v106, v105, v95 :: v_dual_mov_b32 v102, v105
	s_delay_alu instid0(VALU_DEP_2) | instskip(NEXT) | instid1(VALU_DEP_2)
	v_dual_mov_b32 v109, v103 :: v_dual_mov_b32 v103, v104
	v_pk_fma_f32 v[106:107], v[104:105], v[6:7], v[106:107] op_sel_hi:[1,1,0] neg_lo:[0,0,1] neg_hi:[0,0,1]
	v_mul_f32_e32 v104, v105, v92
	s_delay_alu instid0(VALU_DEP_3) | instskip(NEXT) | instid1(VALU_DEP_2)
	v_pk_add_f32 v[72:73], v[72:73], v[108:109] neg_lo:[0,1] neg_hi:[0,1]
	v_pk_fma_f32 v[102:103], v[102:103], v[6:7], v[104:105] op_sel_hi:[1,1,0]
	s_delay_alu instid0(VALU_DEP_1) | instskip(SKIP_4) | instid1(VALU_DEP_1)
	v_mov_b32_e32 v107, v103
	ds_load_b64 v[102:103], v96 offset:336
	v_pk_add_f32 v[70:71], v[70:71], v[106:107] neg_lo:[0,1] neg_hi:[0,1]
	s_wait_dscnt 0x0
	v_pk_mul_f32 v[94:95], v[102:103], v[94:95] op_sel:[0,1]
	v_pk_fma_f32 v[104:105], v[102:103], v[92:93], v[94:95] op_sel:[0,0,1] op_sel_hi:[1,1,0] neg_lo:[0,0,1] neg_hi:[0,0,1]
	v_pk_fma_f32 v[92:93], v[102:103], v[92:93], v[94:95] op_sel:[0,0,1] op_sel_hi:[1,0,0]
	s_delay_alu instid0(VALU_DEP_1) | instskip(NEXT) | instid1(VALU_DEP_1)
	v_mov_b32_e32 v105, v93
	v_pk_add_f32 v[90:91], v[90:91], v[104:105] neg_lo:[0,1] neg_hi:[0,1]
.LBB84_167:
	s_or_b32 exec_lo, exec_lo, s0
	v_lshl_add_u32 v92, v100, 3, v96
	s_barrier_signal -1
	s_barrier_wait -1
	ds_store_b64 v92, v[24:25]
	s_wait_dscnt 0x0
	s_barrier_signal -1
	s_barrier_wait -1
	ds_load_b64 v[94:95], v96 offset:64
	v_mov_b32_e32 v92, 8
	s_cmp_lt_i32 s14, 10
	s_cbranch_scc1 .LBB84_170
; %bb.168:
	v_add3_u32 v93, v97, 0, 0x48
	v_mov_b32_e32 v92, 8
	s_mov_b32 s0, 9
.LBB84_169:                             ; =>This Inner Loop Header: Depth=1
	ds_load_b64 v[102:103], v93
	s_wait_dscnt 0x1
	v_cmp_gt_f32_e32 vcc_lo, 0, v94
	v_cndmask_b32_e64 v104, v94, -v94, vcc_lo
	v_cmp_gt_f32_e32 vcc_lo, 0, v95
	v_cndmask_b32_e64 v106, v95, -v95, vcc_lo
	s_wait_dscnt 0x0
	v_cmp_gt_f32_e32 vcc_lo, 0, v102
	v_cndmask_b32_e64 v105, v102, -v102, vcc_lo
	v_cmp_gt_f32_e32 vcc_lo, 0, v103
	v_cndmask_b32_e64 v107, v103, -v103, vcc_lo
	s_delay_alu instid0(VALU_DEP_1) | instskip(NEXT) | instid1(VALU_DEP_1)
	v_pk_add_f32 v[104:105], v[104:105], v[106:107]
	v_cmp_lt_f32_e32 vcc_lo, v104, v105
	v_dual_add_nc_u32 v93, 8, v93 :: v_dual_cndmask_b32 v95, v95, v103, vcc_lo
	v_cndmask_b32_e32 v94, v94, v102, vcc_lo
	v_cndmask_b32_e64 v92, v92, s0, vcc_lo
	s_add_co_i32 s0, s0, 1
	s_delay_alu instid0(SALU_CYCLE_1)
	s_cmp_lg_u32 s14, s0
	s_cbranch_scc1 .LBB84_169
.LBB84_170:
	s_wait_dscnt 0x0
	v_cmp_eq_f32_e32 vcc_lo, 0, v94
	v_cmp_eq_f32_e64 s0, 0, v95
	s_and_b32 s0, vcc_lo, s0
	s_delay_alu instid0(SALU_CYCLE_1) | instskip(NEXT) | instid1(SALU_CYCLE_1)
	s_and_saveexec_b32 s1, s0
	s_xor_b32 s0, exec_lo, s1
; %bb.171:
	v_cmp_ne_u32_e32 vcc_lo, 0, v98
	v_cndmask_b32_e32 v98, 9, v98, vcc_lo
; %bb.172:
	s_and_not1_saveexec_b32 s0, s0
	s_cbranch_execz .LBB84_178
; %bb.173:
	v_cmp_ngt_f32_e64 s1, |v94|, |v95|
	s_and_saveexec_b32 s15, s1
	s_delay_alu instid0(SALU_CYCLE_1)
	s_xor_b32 s1, exec_lo, s15
	s_cbranch_execz .LBB84_175
; %bb.174:
	v_div_scale_f32 v93, null, v95, v95, v94
	v_div_scale_f32 v103, vcc_lo, v94, v95, v94
	s_delay_alu instid0(VALU_DEP_2) | instskip(SKIP_1) | instid1(TRANS32_DEP_1)
	v_rcp_f32_e32 v101, v93
	v_nop
	v_fma_f32 v102, -v93, v101, 1.0
	s_delay_alu instid0(VALU_DEP_1) | instskip(NEXT) | instid1(VALU_DEP_1)
	v_fmac_f32_e32 v101, v102, v101
	v_mul_f32_e32 v102, v103, v101
	s_delay_alu instid0(VALU_DEP_1) | instskip(NEXT) | instid1(VALU_DEP_1)
	v_fma_f32 v104, -v93, v102, v103
	v_fmac_f32_e32 v102, v104, v101
	s_delay_alu instid0(VALU_DEP_1) | instskip(NEXT) | instid1(VALU_DEP_1)
	v_fma_f32 v93, -v93, v102, v103
	v_div_fmas_f32 v93, v93, v101, v102
	s_delay_alu instid0(VALU_DEP_1) | instskip(NEXT) | instid1(VALU_DEP_1)
	v_div_fixup_f32 v93, v93, v95, v94
	v_fmac_f32_e32 v95, v94, v93
	s_delay_alu instid0(VALU_DEP_1) | instskip(SKIP_1) | instid1(VALU_DEP_2)
	v_div_scale_f32 v94, null, v95, v95, 1.0
	v_div_scale_f32 v103, vcc_lo, 1.0, v95, 1.0
	v_rcp_f32_e32 v101, v94
	v_nop
	s_delay_alu instid0(TRANS32_DEP_1) | instskip(NEXT) | instid1(VALU_DEP_1)
	v_fma_f32 v102, -v94, v101, 1.0
	v_fmac_f32_e32 v101, v102, v101
	s_delay_alu instid0(VALU_DEP_1) | instskip(NEXT) | instid1(VALU_DEP_1)
	v_mul_f32_e32 v102, v103, v101
	v_fma_f32 v104, -v94, v102, v103
	s_delay_alu instid0(VALU_DEP_1) | instskip(NEXT) | instid1(VALU_DEP_1)
	v_fmac_f32_e32 v102, v104, v101
	v_fma_f32 v94, -v94, v102, v103
	s_delay_alu instid0(VALU_DEP_1) | instskip(NEXT) | instid1(VALU_DEP_1)
	v_div_fmas_f32 v94, v94, v101, v102
	v_div_fixup_f32 v95, v94, v95, 1.0
	s_delay_alu instid0(VALU_DEP_1)
	v_mul_f32_e32 v94, v93, v95
	v_xor_b32_e32 v95, 0x80000000, v95
.LBB84_175:
	s_and_not1_saveexec_b32 s1, s1
	s_cbranch_execz .LBB84_177
; %bb.176:
	s_delay_alu instid0(VALU_DEP_1) | instskip(SKIP_1) | instid1(VALU_DEP_2)
	v_div_scale_f32 v93, null, v94, v94, v95
	v_div_scale_f32 v103, vcc_lo, v95, v94, v95
	v_rcp_f32_e32 v101, v93
	v_nop
	s_delay_alu instid0(TRANS32_DEP_1) | instskip(NEXT) | instid1(VALU_DEP_1)
	v_fma_f32 v102, -v93, v101, 1.0
	v_fmac_f32_e32 v101, v102, v101
	s_delay_alu instid0(VALU_DEP_1) | instskip(NEXT) | instid1(VALU_DEP_1)
	v_mul_f32_e32 v102, v103, v101
	v_fma_f32 v104, -v93, v102, v103
	s_delay_alu instid0(VALU_DEP_1) | instskip(NEXT) | instid1(VALU_DEP_1)
	v_fmac_f32_e32 v102, v104, v101
	v_fma_f32 v93, -v93, v102, v103
	s_delay_alu instid0(VALU_DEP_1) | instskip(NEXT) | instid1(VALU_DEP_1)
	v_div_fmas_f32 v93, v93, v101, v102
	v_div_fixup_f32 v93, v93, v94, v95
	s_delay_alu instid0(VALU_DEP_1) | instskip(NEXT) | instid1(VALU_DEP_1)
	v_fmac_f32_e32 v94, v95, v93
	v_div_scale_f32 v95, null, v94, v94, 1.0
	s_delay_alu instid0(VALU_DEP_1) | instskip(SKIP_1) | instid1(TRANS32_DEP_1)
	v_rcp_f32_e32 v101, v95
	v_nop
	v_fma_f32 v102, -v95, v101, 1.0
	s_delay_alu instid0(VALU_DEP_1) | instskip(SKIP_1) | instid1(VALU_DEP_1)
	v_fmac_f32_e32 v101, v102, v101
	v_div_scale_f32 v102, vcc_lo, 1.0, v94, 1.0
	v_mul_f32_e32 v103, v102, v101
	s_delay_alu instid0(VALU_DEP_1) | instskip(NEXT) | instid1(VALU_DEP_1)
	v_fma_f32 v104, -v95, v103, v102
	v_fmac_f32_e32 v103, v104, v101
	s_delay_alu instid0(VALU_DEP_1) | instskip(NEXT) | instid1(VALU_DEP_1)
	v_fma_f32 v95, -v95, v103, v102
	v_div_fmas_f32 v95, v95, v101, v103
	s_delay_alu instid0(VALU_DEP_1) | instskip(NEXT) | instid1(VALU_DEP_1)
	v_div_fixup_f32 v94, v95, v94, 1.0
	v_mul_f32_e64 v95, v93, -v94
.LBB84_177:
	s_or_b32 exec_lo, exec_lo, s1
.LBB84_178:
	s_delay_alu instid0(SALU_CYCLE_1) | instskip(NEXT) | instid1(SALU_CYCLE_1)
	s_or_b32 exec_lo, exec_lo, s0
	s_mov_b32 s0, exec_lo
	v_cmpx_ne_u32_e64 v100, v92
	s_xor_b32 s0, exec_lo, s0
	s_cbranch_execz .LBB84_184
; %bb.179:
	s_mov_b32 s1, exec_lo
	v_cmpx_eq_u32_e32 8, v100
	s_cbranch_execz .LBB84_183
; %bb.180:
	v_cmp_ne_u32_e32 vcc_lo, 8, v92
	s_xor_b32 s15, s12, -1
	s_delay_alu instid0(SALU_CYCLE_1) | instskip(NEXT) | instid1(SALU_CYCLE_1)
	s_and_b32 s16, s15, vcc_lo
	s_and_saveexec_b32 s15, s16
	s_cbranch_execz .LBB84_182
; %bb.181:
	v_ashrrev_i32_e32 v93, 31, v92
	s_delay_alu instid0(VALU_DEP_1)
	v_lshl_add_u64 v[100:101], v[92:93], 2, v[4:5]
	s_clause 0x1
	global_load_b32 v93, v[100:101], off
	global_load_b32 v99, v[4:5], off offset:32
	s_wait_loadcnt 0x1
	global_store_b32 v[4:5], v93, off offset:32
	s_wait_loadcnt 0x0
	global_store_b32 v[100:101], v99, off
.LBB84_182:
	s_wait_xcnt 0x0
	s_or_b32 exec_lo, exec_lo, s15
	v_dual_mov_b32 v100, v92 :: v_dual_mov_b32 v99, v92
.LBB84_183:
	s_or_b32 exec_lo, exec_lo, s1
.LBB84_184:
	s_and_not1_saveexec_b32 s0, s0
	s_cbranch_execz .LBB84_186
; %bb.185:
	v_mov_b32_e32 v100, 8
	ds_store_2addr_b64 v96, v[22:23], v[12:13] offset0:9 offset1:10
	ds_store_2addr_b64 v96, v[10:11], v[36:37] offset0:11 offset1:12
	;; [unrolled: 1-line block ×17, first 2 shown]
.LBB84_186:
	s_or_b32 exec_lo, exec_lo, s0
	s_delay_alu instid0(SALU_CYCLE_1)
	s_mov_b32 s0, exec_lo
	s_wait_storecnt_dscnt 0x0
	s_barrier_signal -1
	s_barrier_wait -1
	v_cmpx_lt_i32_e32 8, v100
	s_cbranch_execz .LBB84_188
; %bb.187:
	v_pk_mul_f32 v[102:103], v[94:95], v[24:25] op_sel:[1,1] op_sel_hi:[0,1]
	s_delay_alu instid0(VALU_DEP_1)
	v_pk_fma_f32 v[92:93], v[94:95], v[24:25], v[102:103] op_sel_hi:[1,0,1] neg_lo:[0,0,1] neg_hi:[0,0,1]
	v_pk_fma_f32 v[94:95], v[94:95], v[24:25], v[102:103] op_sel_hi:[1,0,1]
	ds_load_2addr_b64 v[102:105], v96 offset0:9 offset1:10
	v_dual_mov_b32 v24, v92 :: v_dual_mov_b32 v25, v95
	s_wait_dscnt 0x0
	v_pk_mul_f32 v[106:107], v[102:103], v[94:95] op_sel:[0,1]
	s_delay_alu instid0(VALU_DEP_1) | instskip(SKIP_1) | instid1(VALU_DEP_1)
	v_pk_fma_f32 v[108:109], v[102:103], v[92:93], v[106:107] op_sel:[0,0,1] op_sel_hi:[1,1,0] neg_lo:[0,0,1] neg_hi:[0,0,1]
	v_pk_fma_f32 v[102:103], v[102:103], v[92:93], v[106:107] op_sel:[0,0,1] op_sel_hi:[1,0,0]
	v_mov_b32_e32 v109, v103
	v_pk_mul_f32 v[102:103], v[104:105], v[94:95] op_sel:[0,1]
	s_delay_alu instid0(VALU_DEP_1) | instskip(SKIP_1) | instid1(VALU_DEP_1)
	v_pk_fma_f32 v[106:107], v[104:105], v[92:93], v[102:103] op_sel:[0,0,1] op_sel_hi:[1,1,0] neg_lo:[0,0,1] neg_hi:[0,0,1]
	v_pk_fma_f32 v[102:103], v[104:105], v[92:93], v[102:103] op_sel:[0,0,1] op_sel_hi:[1,0,0]
	v_mov_b32_e32 v107, v103
	ds_load_2addr_b64 v[102:105], v96 offset0:11 offset1:12
	v_pk_add_f32 v[22:23], v[22:23], v[108:109] neg_lo:[0,1] neg_hi:[0,1]
	v_pk_add_f32 v[12:13], v[12:13], v[106:107] neg_lo:[0,1] neg_hi:[0,1]
	s_wait_dscnt 0x0
	v_pk_mul_f32 v[106:107], v[102:103], v[94:95] op_sel:[0,1]
	s_delay_alu instid0(VALU_DEP_1) | instskip(SKIP_2) | instid1(VALU_DEP_2)
	v_pk_fma_f32 v[108:109], v[102:103], v[92:93], v[106:107] op_sel:[0,0,1] op_sel_hi:[1,1,0] neg_lo:[0,0,1] neg_hi:[0,0,1]
	v_pk_fma_f32 v[102:103], v[102:103], v[92:93], v[106:107] op_sel:[0,0,1] op_sel_hi:[1,0,0]
	v_dual_mul_f32 v106, v105, v95 :: v_dual_mov_b32 v102, v105
	v_dual_mov_b32 v109, v103 :: v_dual_mov_b32 v103, v104
	s_delay_alu instid0(VALU_DEP_2) | instskip(SKIP_1) | instid1(VALU_DEP_3)
	v_pk_fma_f32 v[106:107], v[104:105], v[24:25], v[106:107] op_sel_hi:[1,1,0] neg_lo:[0,0,1] neg_hi:[0,0,1]
	v_mul_f32_e32 v104, v105, v92
	v_pk_add_f32 v[10:11], v[10:11], v[108:109] neg_lo:[0,1] neg_hi:[0,1]
	s_delay_alu instid0(VALU_DEP_2) | instskip(NEXT) | instid1(VALU_DEP_1)
	v_pk_fma_f32 v[102:103], v[102:103], v[24:25], v[104:105] op_sel_hi:[1,1,0]
	v_mov_b32_e32 v107, v103
	ds_load_2addr_b64 v[102:105], v96 offset0:13 offset1:14
	v_pk_add_f32 v[36:37], v[36:37], v[106:107] neg_lo:[0,1] neg_hi:[0,1]
	s_wait_dscnt 0x0
	v_pk_mul_f32 v[106:107], v[102:103], v[94:95] op_sel:[0,1]
	s_delay_alu instid0(VALU_DEP_1) | instskip(SKIP_1) | instid1(VALU_DEP_1)
	v_pk_fma_f32 v[108:109], v[102:103], v[92:93], v[106:107] op_sel:[0,0,1] op_sel_hi:[1,1,0] neg_lo:[0,0,1] neg_hi:[0,0,1]
	v_pk_fma_f32 v[102:103], v[102:103], v[92:93], v[106:107] op_sel:[0,0,1] op_sel_hi:[1,0,0]
	v_mov_b32_e32 v109, v103
	v_pk_mul_f32 v[102:103], v[104:105], v[94:95] op_sel:[0,1]
	s_delay_alu instid0(VALU_DEP_1) | instskip(SKIP_1) | instid1(VALU_DEP_1)
	v_pk_fma_f32 v[106:107], v[104:105], v[92:93], v[102:103] op_sel:[0,0,1] op_sel_hi:[1,1,0] neg_lo:[0,0,1] neg_hi:[0,0,1]
	v_pk_fma_f32 v[102:103], v[104:105], v[92:93], v[102:103] op_sel:[0,0,1] op_sel_hi:[1,0,0]
	v_mov_b32_e32 v107, v103
	ds_load_2addr_b64 v[102:105], v96 offset0:15 offset1:16
	v_pk_add_f32 v[34:35], v[34:35], v[108:109] neg_lo:[0,1] neg_hi:[0,1]
	v_pk_add_f32 v[20:21], v[20:21], v[106:107] neg_lo:[0,1] neg_hi:[0,1]
	s_wait_dscnt 0x0
	v_pk_mul_f32 v[106:107], v[102:103], v[94:95] op_sel:[0,1]
	s_delay_alu instid0(VALU_DEP_1) | instskip(SKIP_1) | instid1(VALU_DEP_1)
	v_pk_fma_f32 v[108:109], v[102:103], v[92:93], v[106:107] op_sel:[0,0,1] op_sel_hi:[1,1,0] neg_lo:[0,0,1] neg_hi:[0,0,1]
	v_pk_fma_f32 v[102:103], v[102:103], v[92:93], v[106:107] op_sel:[0,0,1] op_sel_hi:[1,0,0]
	v_mov_b32_e32 v109, v103
	v_pk_mul_f32 v[102:103], v[104:105], v[94:95] op_sel:[0,1]
	s_delay_alu instid0(VALU_DEP_1) | instskip(SKIP_1) | instid1(VALU_DEP_1)
	v_pk_fma_f32 v[106:107], v[104:105], v[92:93], v[102:103] op_sel:[0,0,1] op_sel_hi:[1,1,0] neg_lo:[0,0,1] neg_hi:[0,0,1]
	v_pk_fma_f32 v[102:103], v[104:105], v[92:93], v[102:103] op_sel:[0,0,1] op_sel_hi:[1,0,0]
	v_mov_b32_e32 v107, v103
	ds_load_2addr_b64 v[102:105], v96 offset0:17 offset1:18
	v_pk_add_f32 v[18:19], v[18:19], v[108:109] neg_lo:[0,1] neg_hi:[0,1]
	v_pk_add_f32 v[46:47], v[46:47], v[106:107] neg_lo:[0,1] neg_hi:[0,1]
	s_wait_dscnt 0x0
	v_dual_mul_f32 v106, v103, v95 :: v_dual_mul_f32 v108, v103, v92
	s_delay_alu instid0(VALU_DEP_1) | instskip(NEXT) | instid1(VALU_DEP_2)
	v_pk_fma_f32 v[106:107], v[102:103], v[24:25], v[106:107] op_sel_hi:[1,1,0] neg_lo:[0,0,1] neg_hi:[0,0,1]
	v_pk_fma_f32 v[102:103], v[102:103], v[24:25], v[108:109] op_sel:[1,0,0] op_sel_hi:[0,1,0]
	s_delay_alu instid0(VALU_DEP_1) | instskip(SKIP_1) | instid1(VALU_DEP_2)
	v_mov_b32_e32 v107, v103
	v_pk_mul_f32 v[102:103], v[104:105], v[94:95] op_sel:[0,1]
	v_pk_add_f32 v[44:45], v[44:45], v[106:107] neg_lo:[0,1] neg_hi:[0,1]
	s_delay_alu instid0(VALU_DEP_2) | instskip(SKIP_1) | instid1(VALU_DEP_1)
	v_pk_fma_f32 v[106:107], v[104:105], v[92:93], v[102:103] op_sel:[0,0,1] op_sel_hi:[1,1,0] neg_lo:[0,0,1] neg_hi:[0,0,1]
	v_pk_fma_f32 v[102:103], v[104:105], v[92:93], v[102:103] op_sel:[0,0,1] op_sel_hi:[1,0,0]
	v_mov_b32_e32 v107, v103
	ds_load_2addr_b64 v[102:105], v96 offset0:19 offset1:20
	v_pk_add_f32 v[28:29], v[28:29], v[106:107] neg_lo:[0,1] neg_hi:[0,1]
	s_wait_dscnt 0x0
	v_pk_mul_f32 v[106:107], v[102:103], v[94:95] op_sel:[0,1]
	s_delay_alu instid0(VALU_DEP_1) | instskip(SKIP_1) | instid1(VALU_DEP_1)
	v_pk_fma_f32 v[108:109], v[102:103], v[92:93], v[106:107] op_sel:[0,0,1] op_sel_hi:[1,1,0] neg_lo:[0,0,1] neg_hi:[0,0,1]
	v_pk_fma_f32 v[102:103], v[102:103], v[92:93], v[106:107] op_sel:[0,0,1] op_sel_hi:[1,0,0]
	v_mov_b32_e32 v109, v103
	v_pk_mul_f32 v[102:103], v[104:105], v[94:95] op_sel:[0,1]
	s_delay_alu instid0(VALU_DEP_2) | instskip(NEXT) | instid1(VALU_DEP_2)
	v_pk_add_f32 v[26:27], v[26:27], v[108:109] neg_lo:[0,1] neg_hi:[0,1]
	v_pk_fma_f32 v[106:107], v[104:105], v[92:93], v[102:103] op_sel:[0,0,1] op_sel_hi:[1,1,0] neg_lo:[0,0,1] neg_hi:[0,0,1]
	v_pk_fma_f32 v[102:103], v[104:105], v[92:93], v[102:103] op_sel:[0,0,1] op_sel_hi:[1,0,0]
	s_delay_alu instid0(VALU_DEP_1) | instskip(SKIP_4) | instid1(VALU_DEP_1)
	v_mov_b32_e32 v107, v103
	ds_load_2addr_b64 v[102:105], v96 offset0:21 offset1:22
	v_pk_add_f32 v[54:55], v[54:55], v[106:107] neg_lo:[0,1] neg_hi:[0,1]
	s_wait_dscnt 0x0
	v_pk_mul_f32 v[106:107], v[102:103], v[94:95] op_sel:[0,1]
	v_pk_fma_f32 v[108:109], v[102:103], v[92:93], v[106:107] op_sel:[0,0,1] op_sel_hi:[1,1,0] neg_lo:[0,0,1] neg_hi:[0,0,1]
	v_pk_fma_f32 v[102:103], v[102:103], v[92:93], v[106:107] op_sel:[0,0,1] op_sel_hi:[1,0,0]
	v_dual_mul_f32 v106, v105, v95 :: v_dual_mov_b32 v102, v105
	s_delay_alu instid0(VALU_DEP_2) | instskip(NEXT) | instid1(VALU_DEP_2)
	v_dual_mov_b32 v109, v103 :: v_dual_mov_b32 v103, v104
	v_pk_fma_f32 v[106:107], v[104:105], v[24:25], v[106:107] op_sel_hi:[1,1,0] neg_lo:[0,0,1] neg_hi:[0,0,1]
	v_mul_f32_e32 v104, v105, v92
	s_delay_alu instid0(VALU_DEP_3) | instskip(NEXT) | instid1(VALU_DEP_2)
	v_pk_add_f32 v[52:53], v[52:53], v[108:109] neg_lo:[0,1] neg_hi:[0,1]
	v_pk_fma_f32 v[102:103], v[102:103], v[24:25], v[104:105] op_sel_hi:[1,1,0]
	s_delay_alu instid0(VALU_DEP_1) | instskip(SKIP_4) | instid1(VALU_DEP_1)
	v_mov_b32_e32 v107, v103
	ds_load_2addr_b64 v[102:105], v96 offset0:23 offset1:24
	v_pk_add_f32 v[32:33], v[32:33], v[106:107] neg_lo:[0,1] neg_hi:[0,1]
	s_wait_dscnt 0x0
	v_pk_mul_f32 v[106:107], v[102:103], v[94:95] op_sel:[0,1]
	v_pk_fma_f32 v[108:109], v[102:103], v[92:93], v[106:107] op_sel:[0,0,1] op_sel_hi:[1,1,0] neg_lo:[0,0,1] neg_hi:[0,0,1]
	v_pk_fma_f32 v[102:103], v[102:103], v[92:93], v[106:107] op_sel:[0,0,1] op_sel_hi:[1,0,0]
	s_delay_alu instid0(VALU_DEP_1) | instskip(SKIP_1) | instid1(VALU_DEP_1)
	v_mov_b32_e32 v109, v103
	v_pk_mul_f32 v[102:103], v[104:105], v[94:95] op_sel:[0,1]
	v_pk_fma_f32 v[106:107], v[104:105], v[92:93], v[102:103] op_sel:[0,0,1] op_sel_hi:[1,1,0] neg_lo:[0,0,1] neg_hi:[0,0,1]
	v_pk_fma_f32 v[102:103], v[104:105], v[92:93], v[102:103] op_sel:[0,0,1] op_sel_hi:[1,0,0]
	s_delay_alu instid0(VALU_DEP_1)
	v_mov_b32_e32 v107, v103
	ds_load_2addr_b64 v[102:105], v96 offset0:25 offset1:26
	v_pk_add_f32 v[30:31], v[30:31], v[108:109] neg_lo:[0,1] neg_hi:[0,1]
	v_pk_add_f32 v[68:69], v[68:69], v[106:107] neg_lo:[0,1] neg_hi:[0,1]
	s_wait_dscnt 0x0
	v_pk_mul_f32 v[106:107], v[102:103], v[94:95] op_sel:[0,1]
	s_delay_alu instid0(VALU_DEP_1) | instskip(SKIP_1) | instid1(VALU_DEP_1)
	v_pk_fma_f32 v[108:109], v[102:103], v[92:93], v[106:107] op_sel:[0,0,1] op_sel_hi:[1,1,0] neg_lo:[0,0,1] neg_hi:[0,0,1]
	v_pk_fma_f32 v[102:103], v[102:103], v[92:93], v[106:107] op_sel:[0,0,1] op_sel_hi:[1,0,0]
	v_mov_b32_e32 v109, v103
	v_pk_mul_f32 v[102:103], v[104:105], v[94:95] op_sel:[0,1]
	s_delay_alu instid0(VALU_DEP_1) | instskip(SKIP_1) | instid1(VALU_DEP_1)
	v_pk_fma_f32 v[106:107], v[104:105], v[92:93], v[102:103] op_sel:[0,0,1] op_sel_hi:[1,1,0] neg_lo:[0,0,1] neg_hi:[0,0,1]
	v_pk_fma_f32 v[102:103], v[104:105], v[92:93], v[102:103] op_sel:[0,0,1] op_sel_hi:[1,0,0]
	v_mov_b32_e32 v107, v103
	ds_load_2addr_b64 v[102:105], v96 offset0:27 offset1:28
	v_pk_add_f32 v[66:67], v[66:67], v[108:109] neg_lo:[0,1] neg_hi:[0,1]
	v_pk_add_f32 v[40:41], v[40:41], v[106:107] neg_lo:[0,1] neg_hi:[0,1]
	s_wait_dscnt 0x0
	v_dual_mul_f32 v106, v103, v95 :: v_dual_mul_f32 v108, v103, v92
	s_delay_alu instid0(VALU_DEP_1) | instskip(NEXT) | instid1(VALU_DEP_2)
	v_pk_fma_f32 v[106:107], v[102:103], v[24:25], v[106:107] op_sel_hi:[1,1,0] neg_lo:[0,0,1] neg_hi:[0,0,1]
	v_pk_fma_f32 v[102:103], v[102:103], v[24:25], v[108:109] op_sel:[1,0,0] op_sel_hi:[0,1,0]
	s_delay_alu instid0(VALU_DEP_1) | instskip(SKIP_1) | instid1(VALU_DEP_2)
	v_mov_b32_e32 v107, v103
	v_pk_mul_f32 v[102:103], v[104:105], v[94:95] op_sel:[0,1]
	v_pk_add_f32 v[38:39], v[38:39], v[106:107] neg_lo:[0,1] neg_hi:[0,1]
	s_delay_alu instid0(VALU_DEP_2) | instskip(SKIP_1) | instid1(VALU_DEP_1)
	v_pk_fma_f32 v[106:107], v[104:105], v[92:93], v[102:103] op_sel:[0,0,1] op_sel_hi:[1,1,0] neg_lo:[0,0,1] neg_hi:[0,0,1]
	v_pk_fma_f32 v[102:103], v[104:105], v[92:93], v[102:103] op_sel:[0,0,1] op_sel_hi:[1,0,0]
	v_mov_b32_e32 v107, v103
	ds_load_2addr_b64 v[102:105], v96 offset0:29 offset1:30
	v_pk_add_f32 v[76:77], v[76:77], v[106:107] neg_lo:[0,1] neg_hi:[0,1]
	s_wait_dscnt 0x0
	v_pk_mul_f32 v[106:107], v[102:103], v[94:95] op_sel:[0,1]
	s_delay_alu instid0(VALU_DEP_1) | instskip(SKIP_1) | instid1(VALU_DEP_1)
	v_pk_fma_f32 v[108:109], v[102:103], v[92:93], v[106:107] op_sel:[0,0,1] op_sel_hi:[1,1,0] neg_lo:[0,0,1] neg_hi:[0,0,1]
	v_pk_fma_f32 v[102:103], v[102:103], v[92:93], v[106:107] op_sel:[0,0,1] op_sel_hi:[1,0,0]
	v_mov_b32_e32 v109, v103
	v_pk_mul_f32 v[102:103], v[104:105], v[94:95] op_sel:[0,1]
	s_delay_alu instid0(VALU_DEP_2) | instskip(NEXT) | instid1(VALU_DEP_2)
	v_pk_add_f32 v[74:75], v[74:75], v[108:109] neg_lo:[0,1] neg_hi:[0,1]
	v_pk_fma_f32 v[106:107], v[104:105], v[92:93], v[102:103] op_sel:[0,0,1] op_sel_hi:[1,1,0] neg_lo:[0,0,1] neg_hi:[0,0,1]
	v_pk_fma_f32 v[102:103], v[104:105], v[92:93], v[102:103] op_sel:[0,0,1] op_sel_hi:[1,0,0]
	s_delay_alu instid0(VALU_DEP_1) | instskip(SKIP_4) | instid1(VALU_DEP_1)
	v_mov_b32_e32 v107, v103
	ds_load_2addr_b64 v[102:105], v96 offset0:31 offset1:32
	v_pk_add_f32 v[50:51], v[50:51], v[106:107] neg_lo:[0,1] neg_hi:[0,1]
	s_wait_dscnt 0x0
	v_pk_mul_f32 v[106:107], v[102:103], v[94:95] op_sel:[0,1]
	v_pk_fma_f32 v[108:109], v[102:103], v[92:93], v[106:107] op_sel:[0,0,1] op_sel_hi:[1,1,0] neg_lo:[0,0,1] neg_hi:[0,0,1]
	v_pk_fma_f32 v[102:103], v[102:103], v[92:93], v[106:107] op_sel:[0,0,1] op_sel_hi:[1,0,0]
	v_dual_mul_f32 v106, v105, v95 :: v_dual_mov_b32 v102, v105
	s_delay_alu instid0(VALU_DEP_2) | instskip(NEXT) | instid1(VALU_DEP_2)
	v_dual_mov_b32 v109, v103 :: v_dual_mov_b32 v103, v104
	v_pk_fma_f32 v[106:107], v[104:105], v[24:25], v[106:107] op_sel_hi:[1,1,0] neg_lo:[0,0,1] neg_hi:[0,0,1]
	v_mul_f32_e32 v104, v105, v92
	s_delay_alu instid0(VALU_DEP_3) | instskip(NEXT) | instid1(VALU_DEP_2)
	v_pk_add_f32 v[48:49], v[48:49], v[108:109] neg_lo:[0,1] neg_hi:[0,1]
	v_pk_fma_f32 v[102:103], v[102:103], v[24:25], v[104:105] op_sel_hi:[1,1,0]
	s_delay_alu instid0(VALU_DEP_1) | instskip(SKIP_4) | instid1(VALU_DEP_1)
	v_mov_b32_e32 v107, v103
	ds_load_2addr_b64 v[102:105], v96 offset0:33 offset1:34
	v_pk_add_f32 v[88:89], v[88:89], v[106:107] neg_lo:[0,1] neg_hi:[0,1]
	s_wait_dscnt 0x0
	v_pk_mul_f32 v[106:107], v[102:103], v[94:95] op_sel:[0,1]
	v_pk_fma_f32 v[108:109], v[102:103], v[92:93], v[106:107] op_sel:[0,0,1] op_sel_hi:[1,1,0] neg_lo:[0,0,1] neg_hi:[0,0,1]
	v_pk_fma_f32 v[102:103], v[102:103], v[92:93], v[106:107] op_sel:[0,0,1] op_sel_hi:[1,0,0]
	s_delay_alu instid0(VALU_DEP_1) | instskip(SKIP_1) | instid1(VALU_DEP_1)
	v_mov_b32_e32 v109, v103
	v_pk_mul_f32 v[102:103], v[104:105], v[94:95] op_sel:[0,1]
	v_pk_fma_f32 v[106:107], v[104:105], v[92:93], v[102:103] op_sel:[0,0,1] op_sel_hi:[1,1,0] neg_lo:[0,0,1] neg_hi:[0,0,1]
	v_pk_fma_f32 v[102:103], v[104:105], v[92:93], v[102:103] op_sel:[0,0,1] op_sel_hi:[1,0,0]
	s_delay_alu instid0(VALU_DEP_1)
	v_mov_b32_e32 v107, v103
	ds_load_2addr_b64 v[102:105], v96 offset0:35 offset1:36
	v_pk_add_f32 v[86:87], v[86:87], v[108:109] neg_lo:[0,1] neg_hi:[0,1]
	v_pk_add_f32 v[60:61], v[60:61], v[106:107] neg_lo:[0,1] neg_hi:[0,1]
	s_wait_dscnt 0x0
	v_pk_mul_f32 v[106:107], v[102:103], v[94:95] op_sel:[0,1]
	s_delay_alu instid0(VALU_DEP_1) | instskip(SKIP_1) | instid1(VALU_DEP_1)
	v_pk_fma_f32 v[108:109], v[102:103], v[92:93], v[106:107] op_sel:[0,0,1] op_sel_hi:[1,1,0] neg_lo:[0,0,1] neg_hi:[0,0,1]
	v_pk_fma_f32 v[102:103], v[102:103], v[92:93], v[106:107] op_sel:[0,0,1] op_sel_hi:[1,0,0]
	v_mov_b32_e32 v109, v103
	v_pk_mul_f32 v[102:103], v[104:105], v[94:95] op_sel:[0,1]
	s_delay_alu instid0(VALU_DEP_1) | instskip(SKIP_1) | instid1(VALU_DEP_1)
	v_pk_fma_f32 v[106:107], v[104:105], v[92:93], v[102:103] op_sel:[0,0,1] op_sel_hi:[1,1,0] neg_lo:[0,0,1] neg_hi:[0,0,1]
	v_pk_fma_f32 v[102:103], v[104:105], v[92:93], v[102:103] op_sel:[0,0,1] op_sel_hi:[1,0,0]
	v_mov_b32_e32 v107, v103
	ds_load_2addr_b64 v[102:105], v96 offset0:37 offset1:38
	v_pk_add_f32 v[58:59], v[58:59], v[108:109] neg_lo:[0,1] neg_hi:[0,1]
	v_pk_add_f32 v[82:83], v[82:83], v[106:107] neg_lo:[0,1] neg_hi:[0,1]
	s_wait_dscnt 0x0
	v_dual_mul_f32 v106, v103, v95 :: v_dual_mul_f32 v108, v103, v92
	s_delay_alu instid0(VALU_DEP_1) | instskip(NEXT) | instid1(VALU_DEP_2)
	v_pk_fma_f32 v[106:107], v[102:103], v[24:25], v[106:107] op_sel_hi:[1,1,0] neg_lo:[0,0,1] neg_hi:[0,0,1]
	v_pk_fma_f32 v[102:103], v[102:103], v[24:25], v[108:109] op_sel:[1,0,0] op_sel_hi:[0,1,0]
	s_delay_alu instid0(VALU_DEP_1) | instskip(SKIP_1) | instid1(VALU_DEP_2)
	v_mov_b32_e32 v107, v103
	v_pk_mul_f32 v[102:103], v[104:105], v[94:95] op_sel:[0,1]
	v_pk_add_f32 v[80:81], v[80:81], v[106:107] neg_lo:[0,1] neg_hi:[0,1]
	s_delay_alu instid0(VALU_DEP_2) | instskip(SKIP_1) | instid1(VALU_DEP_1)
	v_pk_fma_f32 v[106:107], v[104:105], v[92:93], v[102:103] op_sel:[0,0,1] op_sel_hi:[1,1,0] neg_lo:[0,0,1] neg_hi:[0,0,1]
	v_pk_fma_f32 v[102:103], v[104:105], v[92:93], v[102:103] op_sel:[0,0,1] op_sel_hi:[1,0,0]
	v_mov_b32_e32 v107, v103
	ds_load_2addr_b64 v[102:105], v96 offset0:39 offset1:40
	v_pk_add_f32 v[64:65], v[64:65], v[106:107] neg_lo:[0,1] neg_hi:[0,1]
	s_wait_dscnt 0x0
	v_pk_mul_f32 v[106:107], v[102:103], v[94:95] op_sel:[0,1]
	s_delay_alu instid0(VALU_DEP_1) | instskip(SKIP_1) | instid1(VALU_DEP_1)
	v_pk_fma_f32 v[108:109], v[102:103], v[92:93], v[106:107] op_sel:[0,0,1] op_sel_hi:[1,1,0] neg_lo:[0,0,1] neg_hi:[0,0,1]
	v_pk_fma_f32 v[102:103], v[102:103], v[92:93], v[106:107] op_sel:[0,0,1] op_sel_hi:[1,0,0]
	v_mov_b32_e32 v109, v103
	v_pk_mul_f32 v[102:103], v[104:105], v[94:95] op_sel:[0,1]
	s_delay_alu instid0(VALU_DEP_2) | instskip(NEXT) | instid1(VALU_DEP_2)
	v_pk_add_f32 v[62:63], v[62:63], v[108:109] neg_lo:[0,1] neg_hi:[0,1]
	v_pk_fma_f32 v[106:107], v[104:105], v[92:93], v[102:103] op_sel:[0,0,1] op_sel_hi:[1,1,0] neg_lo:[0,0,1] neg_hi:[0,0,1]
	v_pk_fma_f32 v[102:103], v[104:105], v[92:93], v[102:103] op_sel:[0,0,1] op_sel_hi:[1,0,0]
	s_delay_alu instid0(VALU_DEP_1)
	v_mov_b32_e32 v107, v103
	ds_load_2addr_b64 v[102:105], v96 offset0:41 offset1:42
	v_pk_add_f32 v[72:73], v[72:73], v[106:107] neg_lo:[0,1] neg_hi:[0,1]
	s_wait_dscnt 0x0
	v_pk_mul_f32 v[106:107], v[102:103], v[94:95] op_sel:[0,1]
	v_pk_mul_f32 v[94:95], v[104:105], v[94:95] op_sel:[0,1]
	s_delay_alu instid0(VALU_DEP_2) | instskip(SKIP_1) | instid1(VALU_DEP_1)
	v_pk_fma_f32 v[108:109], v[102:103], v[92:93], v[106:107] op_sel:[0,0,1] op_sel_hi:[1,1,0] neg_lo:[0,0,1] neg_hi:[0,0,1]
	v_pk_fma_f32 v[102:103], v[102:103], v[92:93], v[106:107] op_sel:[0,0,1] op_sel_hi:[1,0,0]
	v_mov_b32_e32 v109, v103
	s_delay_alu instid0(VALU_DEP_4) | instskip(SKIP_1) | instid1(VALU_DEP_3)
	v_pk_fma_f32 v[102:103], v[104:105], v[92:93], v[94:95] op_sel:[0,0,1] op_sel_hi:[1,1,0] neg_lo:[0,0,1] neg_hi:[0,0,1]
	v_pk_fma_f32 v[92:93], v[104:105], v[92:93], v[94:95] op_sel:[0,0,1] op_sel_hi:[1,0,0]
	v_pk_add_f32 v[70:71], v[70:71], v[108:109] neg_lo:[0,1] neg_hi:[0,1]
	s_delay_alu instid0(VALU_DEP_2) | instskip(NEXT) | instid1(VALU_DEP_1)
	v_mov_b32_e32 v103, v93
	v_pk_add_f32 v[90:91], v[90:91], v[102:103] neg_lo:[0,1] neg_hi:[0,1]
.LBB84_188:
	s_or_b32 exec_lo, exec_lo, s0
	v_lshl_add_u32 v92, v100, 3, v96
	s_barrier_signal -1
	s_barrier_wait -1
	ds_store_b64 v92, v[22:23]
	s_wait_dscnt 0x0
	s_barrier_signal -1
	s_barrier_wait -1
	ds_load_b64 v[94:95], v96 offset:72
	v_mov_b32_e32 v92, 9
	s_cmp_lt_i32 s14, 11
	s_cbranch_scc1 .LBB84_191
; %bb.189:
	v_add3_u32 v93, v97, 0, 0x50
	v_mov_b32_e32 v92, 9
	s_mov_b32 s0, 10
.LBB84_190:                             ; =>This Inner Loop Header: Depth=1
	ds_load_b64 v[102:103], v93
	s_wait_dscnt 0x1
	v_cmp_gt_f32_e32 vcc_lo, 0, v94
	v_cndmask_b32_e64 v104, v94, -v94, vcc_lo
	v_cmp_gt_f32_e32 vcc_lo, 0, v95
	v_cndmask_b32_e64 v106, v95, -v95, vcc_lo
	s_wait_dscnt 0x0
	v_cmp_gt_f32_e32 vcc_lo, 0, v102
	v_cndmask_b32_e64 v105, v102, -v102, vcc_lo
	v_cmp_gt_f32_e32 vcc_lo, 0, v103
	v_cndmask_b32_e64 v107, v103, -v103, vcc_lo
	s_delay_alu instid0(VALU_DEP_1) | instskip(NEXT) | instid1(VALU_DEP_1)
	v_pk_add_f32 v[104:105], v[104:105], v[106:107]
	v_cmp_lt_f32_e32 vcc_lo, v104, v105
	v_dual_add_nc_u32 v93, 8, v93 :: v_dual_cndmask_b32 v95, v95, v103, vcc_lo
	v_cndmask_b32_e32 v94, v94, v102, vcc_lo
	v_cndmask_b32_e64 v92, v92, s0, vcc_lo
	s_add_co_i32 s0, s0, 1
	s_delay_alu instid0(SALU_CYCLE_1)
	s_cmp_lg_u32 s14, s0
	s_cbranch_scc1 .LBB84_190
.LBB84_191:
	s_wait_dscnt 0x0
	v_cmp_eq_f32_e32 vcc_lo, 0, v94
	v_cmp_eq_f32_e64 s0, 0, v95
	s_and_b32 s0, vcc_lo, s0
	s_delay_alu instid0(SALU_CYCLE_1) | instskip(NEXT) | instid1(SALU_CYCLE_1)
	s_and_saveexec_b32 s1, s0
	s_xor_b32 s0, exec_lo, s1
; %bb.192:
	v_cmp_ne_u32_e32 vcc_lo, 0, v98
	v_cndmask_b32_e32 v98, 10, v98, vcc_lo
; %bb.193:
	s_and_not1_saveexec_b32 s0, s0
	s_cbranch_execz .LBB84_199
; %bb.194:
	v_cmp_ngt_f32_e64 s1, |v94|, |v95|
	s_and_saveexec_b32 s15, s1
	s_delay_alu instid0(SALU_CYCLE_1)
	s_xor_b32 s1, exec_lo, s15
	s_cbranch_execz .LBB84_196
; %bb.195:
	v_div_scale_f32 v93, null, v95, v95, v94
	v_div_scale_f32 v103, vcc_lo, v94, v95, v94
	s_delay_alu instid0(VALU_DEP_2) | instskip(SKIP_1) | instid1(TRANS32_DEP_1)
	v_rcp_f32_e32 v101, v93
	v_nop
	v_fma_f32 v102, -v93, v101, 1.0
	s_delay_alu instid0(VALU_DEP_1) | instskip(NEXT) | instid1(VALU_DEP_1)
	v_fmac_f32_e32 v101, v102, v101
	v_mul_f32_e32 v102, v103, v101
	s_delay_alu instid0(VALU_DEP_1) | instskip(NEXT) | instid1(VALU_DEP_1)
	v_fma_f32 v104, -v93, v102, v103
	v_fmac_f32_e32 v102, v104, v101
	s_delay_alu instid0(VALU_DEP_1) | instskip(NEXT) | instid1(VALU_DEP_1)
	v_fma_f32 v93, -v93, v102, v103
	v_div_fmas_f32 v93, v93, v101, v102
	s_delay_alu instid0(VALU_DEP_1) | instskip(NEXT) | instid1(VALU_DEP_1)
	v_div_fixup_f32 v93, v93, v95, v94
	v_fmac_f32_e32 v95, v94, v93
	s_delay_alu instid0(VALU_DEP_1) | instskip(SKIP_1) | instid1(VALU_DEP_2)
	v_div_scale_f32 v94, null, v95, v95, 1.0
	v_div_scale_f32 v103, vcc_lo, 1.0, v95, 1.0
	v_rcp_f32_e32 v101, v94
	v_nop
	s_delay_alu instid0(TRANS32_DEP_1) | instskip(NEXT) | instid1(VALU_DEP_1)
	v_fma_f32 v102, -v94, v101, 1.0
	v_fmac_f32_e32 v101, v102, v101
	s_delay_alu instid0(VALU_DEP_1) | instskip(NEXT) | instid1(VALU_DEP_1)
	v_mul_f32_e32 v102, v103, v101
	v_fma_f32 v104, -v94, v102, v103
	s_delay_alu instid0(VALU_DEP_1) | instskip(NEXT) | instid1(VALU_DEP_1)
	v_fmac_f32_e32 v102, v104, v101
	v_fma_f32 v94, -v94, v102, v103
	s_delay_alu instid0(VALU_DEP_1) | instskip(NEXT) | instid1(VALU_DEP_1)
	v_div_fmas_f32 v94, v94, v101, v102
	v_div_fixup_f32 v95, v94, v95, 1.0
	s_delay_alu instid0(VALU_DEP_1)
	v_mul_f32_e32 v94, v93, v95
	v_xor_b32_e32 v95, 0x80000000, v95
.LBB84_196:
	s_and_not1_saveexec_b32 s1, s1
	s_cbranch_execz .LBB84_198
; %bb.197:
	s_delay_alu instid0(VALU_DEP_1) | instskip(SKIP_1) | instid1(VALU_DEP_2)
	v_div_scale_f32 v93, null, v94, v94, v95
	v_div_scale_f32 v103, vcc_lo, v95, v94, v95
	v_rcp_f32_e32 v101, v93
	v_nop
	s_delay_alu instid0(TRANS32_DEP_1) | instskip(NEXT) | instid1(VALU_DEP_1)
	v_fma_f32 v102, -v93, v101, 1.0
	v_fmac_f32_e32 v101, v102, v101
	s_delay_alu instid0(VALU_DEP_1) | instskip(NEXT) | instid1(VALU_DEP_1)
	v_mul_f32_e32 v102, v103, v101
	v_fma_f32 v104, -v93, v102, v103
	s_delay_alu instid0(VALU_DEP_1) | instskip(NEXT) | instid1(VALU_DEP_1)
	v_fmac_f32_e32 v102, v104, v101
	v_fma_f32 v93, -v93, v102, v103
	s_delay_alu instid0(VALU_DEP_1) | instskip(NEXT) | instid1(VALU_DEP_1)
	v_div_fmas_f32 v93, v93, v101, v102
	v_div_fixup_f32 v93, v93, v94, v95
	s_delay_alu instid0(VALU_DEP_1) | instskip(NEXT) | instid1(VALU_DEP_1)
	v_fmac_f32_e32 v94, v95, v93
	v_div_scale_f32 v95, null, v94, v94, 1.0
	s_delay_alu instid0(VALU_DEP_1) | instskip(SKIP_1) | instid1(TRANS32_DEP_1)
	v_rcp_f32_e32 v101, v95
	v_nop
	v_fma_f32 v102, -v95, v101, 1.0
	s_delay_alu instid0(VALU_DEP_1) | instskip(SKIP_1) | instid1(VALU_DEP_1)
	v_fmac_f32_e32 v101, v102, v101
	v_div_scale_f32 v102, vcc_lo, 1.0, v94, 1.0
	v_mul_f32_e32 v103, v102, v101
	s_delay_alu instid0(VALU_DEP_1) | instskip(NEXT) | instid1(VALU_DEP_1)
	v_fma_f32 v104, -v95, v103, v102
	v_fmac_f32_e32 v103, v104, v101
	s_delay_alu instid0(VALU_DEP_1) | instskip(NEXT) | instid1(VALU_DEP_1)
	v_fma_f32 v95, -v95, v103, v102
	v_div_fmas_f32 v95, v95, v101, v103
	s_delay_alu instid0(VALU_DEP_1) | instskip(NEXT) | instid1(VALU_DEP_1)
	v_div_fixup_f32 v94, v95, v94, 1.0
	v_mul_f32_e64 v95, v93, -v94
.LBB84_198:
	s_or_b32 exec_lo, exec_lo, s1
.LBB84_199:
	s_delay_alu instid0(SALU_CYCLE_1) | instskip(NEXT) | instid1(SALU_CYCLE_1)
	s_or_b32 exec_lo, exec_lo, s0
	s_mov_b32 s0, exec_lo
	v_cmpx_ne_u32_e64 v100, v92
	s_xor_b32 s0, exec_lo, s0
	s_cbranch_execz .LBB84_205
; %bb.200:
	s_mov_b32 s1, exec_lo
	v_cmpx_eq_u32_e32 9, v100
	s_cbranch_execz .LBB84_204
; %bb.201:
	v_cmp_ne_u32_e32 vcc_lo, 9, v92
	s_xor_b32 s15, s12, -1
	s_delay_alu instid0(SALU_CYCLE_1) | instskip(NEXT) | instid1(SALU_CYCLE_1)
	s_and_b32 s16, s15, vcc_lo
	s_and_saveexec_b32 s15, s16
	s_cbranch_execz .LBB84_203
; %bb.202:
	v_ashrrev_i32_e32 v93, 31, v92
	s_delay_alu instid0(VALU_DEP_1)
	v_lshl_add_u64 v[100:101], v[92:93], 2, v[4:5]
	s_clause 0x1
	global_load_b32 v93, v[100:101], off
	global_load_b32 v99, v[4:5], off offset:36
	s_wait_loadcnt 0x1
	global_store_b32 v[4:5], v93, off offset:36
	s_wait_loadcnt 0x0
	global_store_b32 v[100:101], v99, off
.LBB84_203:
	s_wait_xcnt 0x0
	s_or_b32 exec_lo, exec_lo, s15
	v_dual_mov_b32 v100, v92 :: v_dual_mov_b32 v99, v92
.LBB84_204:
	s_or_b32 exec_lo, exec_lo, s1
.LBB84_205:
	s_and_not1_saveexec_b32 s0, s0
	s_cbranch_execz .LBB84_207
; %bb.206:
	v_dual_mov_b32 v92, v12 :: v_dual_mov_b32 v93, v13
	v_dual_mov_b32 v100, v10 :: v_dual_mov_b32 v101, v11
	ds_store_2addr_b64 v96, v[92:93], v[100:101] offset0:10 offset1:11
	v_dual_mov_b32 v92, v36 :: v_dual_mov_b32 v93, v37
	v_dual_mov_b32 v100, v34 :: v_dual_mov_b32 v101, v35
	ds_store_2addr_b64 v96, v[92:93], v[100:101] offset0:12 offset1:13
	;; [unrolled: 3-line block ×16, first 2 shown]
	ds_store_b64 v96, v[90:91] offset:336
	v_mov_b32_e32 v100, 9
.LBB84_207:
	s_or_b32 exec_lo, exec_lo, s0
	s_delay_alu instid0(SALU_CYCLE_1)
	s_mov_b32 s0, exec_lo
	s_wait_storecnt_dscnt 0x0
	s_barrier_signal -1
	s_barrier_wait -1
	v_cmpx_lt_i32_e32 9, v100
	s_cbranch_execz .LBB84_209
; %bb.208:
	v_pk_mul_f32 v[102:103], v[94:95], v[22:23] op_sel:[1,1] op_sel_hi:[0,1]
	s_delay_alu instid0(VALU_DEP_1)
	v_pk_fma_f32 v[92:93], v[94:95], v[22:23], v[102:103] op_sel_hi:[1,0,1] neg_lo:[0,0,1] neg_hi:[0,0,1]
	v_pk_fma_f32 v[94:95], v[94:95], v[22:23], v[102:103] op_sel_hi:[1,0,1]
	ds_load_2addr_b64 v[102:105], v96 offset0:10 offset1:11
	v_dual_mov_b32 v22, v92 :: v_dual_mov_b32 v23, v95
	s_wait_dscnt 0x0
	v_pk_mul_f32 v[106:107], v[102:103], v[94:95] op_sel:[0,1]
	s_delay_alu instid0(VALU_DEP_1) | instskip(SKIP_1) | instid1(VALU_DEP_1)
	v_pk_fma_f32 v[108:109], v[102:103], v[92:93], v[106:107] op_sel:[0,0,1] op_sel_hi:[1,1,0] neg_lo:[0,0,1] neg_hi:[0,0,1]
	v_pk_fma_f32 v[102:103], v[102:103], v[92:93], v[106:107] op_sel:[0,0,1] op_sel_hi:[1,0,0]
	v_mov_b32_e32 v109, v103
	v_pk_mul_f32 v[102:103], v[104:105], v[94:95] op_sel:[0,1]
	s_delay_alu instid0(VALU_DEP_1) | instskip(SKIP_1) | instid1(VALU_DEP_1)
	v_pk_fma_f32 v[106:107], v[104:105], v[92:93], v[102:103] op_sel:[0,0,1] op_sel_hi:[1,1,0] neg_lo:[0,0,1] neg_hi:[0,0,1]
	v_pk_fma_f32 v[102:103], v[104:105], v[92:93], v[102:103] op_sel:[0,0,1] op_sel_hi:[1,0,0]
	v_mov_b32_e32 v107, v103
	ds_load_2addr_b64 v[102:105], v96 offset0:12 offset1:13
	v_pk_add_f32 v[12:13], v[12:13], v[108:109] neg_lo:[0,1] neg_hi:[0,1]
	v_pk_add_f32 v[10:11], v[10:11], v[106:107] neg_lo:[0,1] neg_hi:[0,1]
	s_wait_dscnt 0x0
	v_pk_mul_f32 v[106:107], v[102:103], v[94:95] op_sel:[0,1]
	s_delay_alu instid0(VALU_DEP_1) | instskip(SKIP_2) | instid1(VALU_DEP_2)
	v_pk_fma_f32 v[108:109], v[102:103], v[92:93], v[106:107] op_sel:[0,0,1] op_sel_hi:[1,1,0] neg_lo:[0,0,1] neg_hi:[0,0,1]
	v_pk_fma_f32 v[102:103], v[102:103], v[92:93], v[106:107] op_sel:[0,0,1] op_sel_hi:[1,0,0]
	v_dual_mul_f32 v106, v105, v95 :: v_dual_mov_b32 v102, v105
	v_dual_mov_b32 v109, v103 :: v_dual_mov_b32 v103, v104
	s_delay_alu instid0(VALU_DEP_2) | instskip(SKIP_1) | instid1(VALU_DEP_3)
	v_pk_fma_f32 v[106:107], v[104:105], v[22:23], v[106:107] op_sel_hi:[1,1,0] neg_lo:[0,0,1] neg_hi:[0,0,1]
	v_mul_f32_e32 v104, v105, v92
	v_pk_add_f32 v[36:37], v[36:37], v[108:109] neg_lo:[0,1] neg_hi:[0,1]
	s_delay_alu instid0(VALU_DEP_2) | instskip(NEXT) | instid1(VALU_DEP_1)
	v_pk_fma_f32 v[102:103], v[102:103], v[22:23], v[104:105] op_sel_hi:[1,1,0]
	v_mov_b32_e32 v107, v103
	ds_load_2addr_b64 v[102:105], v96 offset0:14 offset1:15
	v_pk_add_f32 v[34:35], v[34:35], v[106:107] neg_lo:[0,1] neg_hi:[0,1]
	s_wait_dscnt 0x0
	v_pk_mul_f32 v[106:107], v[102:103], v[94:95] op_sel:[0,1]
	s_delay_alu instid0(VALU_DEP_1) | instskip(SKIP_1) | instid1(VALU_DEP_1)
	v_pk_fma_f32 v[108:109], v[102:103], v[92:93], v[106:107] op_sel:[0,0,1] op_sel_hi:[1,1,0] neg_lo:[0,0,1] neg_hi:[0,0,1]
	v_pk_fma_f32 v[102:103], v[102:103], v[92:93], v[106:107] op_sel:[0,0,1] op_sel_hi:[1,0,0]
	v_mov_b32_e32 v109, v103
	v_pk_mul_f32 v[102:103], v[104:105], v[94:95] op_sel:[0,1]
	s_delay_alu instid0(VALU_DEP_1) | instskip(SKIP_1) | instid1(VALU_DEP_1)
	v_pk_fma_f32 v[106:107], v[104:105], v[92:93], v[102:103] op_sel:[0,0,1] op_sel_hi:[1,1,0] neg_lo:[0,0,1] neg_hi:[0,0,1]
	v_pk_fma_f32 v[102:103], v[104:105], v[92:93], v[102:103] op_sel:[0,0,1] op_sel_hi:[1,0,0]
	v_mov_b32_e32 v107, v103
	ds_load_2addr_b64 v[102:105], v96 offset0:16 offset1:17
	v_pk_add_f32 v[20:21], v[20:21], v[108:109] neg_lo:[0,1] neg_hi:[0,1]
	v_pk_add_f32 v[18:19], v[18:19], v[106:107] neg_lo:[0,1] neg_hi:[0,1]
	s_wait_dscnt 0x0
	v_pk_mul_f32 v[106:107], v[102:103], v[94:95] op_sel:[0,1]
	s_delay_alu instid0(VALU_DEP_1) | instskip(SKIP_1) | instid1(VALU_DEP_1)
	v_pk_fma_f32 v[108:109], v[102:103], v[92:93], v[106:107] op_sel:[0,0,1] op_sel_hi:[1,1,0] neg_lo:[0,0,1] neg_hi:[0,0,1]
	v_pk_fma_f32 v[102:103], v[102:103], v[92:93], v[106:107] op_sel:[0,0,1] op_sel_hi:[1,0,0]
	v_mov_b32_e32 v109, v103
	v_pk_mul_f32 v[102:103], v[104:105], v[94:95] op_sel:[0,1]
	s_delay_alu instid0(VALU_DEP_1) | instskip(SKIP_1) | instid1(VALU_DEP_1)
	v_pk_fma_f32 v[106:107], v[104:105], v[92:93], v[102:103] op_sel:[0,0,1] op_sel_hi:[1,1,0] neg_lo:[0,0,1] neg_hi:[0,0,1]
	v_pk_fma_f32 v[102:103], v[104:105], v[92:93], v[102:103] op_sel:[0,0,1] op_sel_hi:[1,0,0]
	v_mov_b32_e32 v107, v103
	ds_load_2addr_b64 v[102:105], v96 offset0:18 offset1:19
	v_pk_add_f32 v[46:47], v[46:47], v[108:109] neg_lo:[0,1] neg_hi:[0,1]
	v_pk_add_f32 v[44:45], v[44:45], v[106:107] neg_lo:[0,1] neg_hi:[0,1]
	s_wait_dscnt 0x0
	v_dual_mul_f32 v106, v103, v95 :: v_dual_mul_f32 v108, v103, v92
	s_delay_alu instid0(VALU_DEP_1) | instskip(NEXT) | instid1(VALU_DEP_2)
	v_pk_fma_f32 v[106:107], v[102:103], v[22:23], v[106:107] op_sel_hi:[1,1,0] neg_lo:[0,0,1] neg_hi:[0,0,1]
	v_pk_fma_f32 v[102:103], v[102:103], v[22:23], v[108:109] op_sel:[1,0,0] op_sel_hi:[0,1,0]
	s_delay_alu instid0(VALU_DEP_1) | instskip(SKIP_1) | instid1(VALU_DEP_2)
	v_mov_b32_e32 v107, v103
	v_pk_mul_f32 v[102:103], v[104:105], v[94:95] op_sel:[0,1]
	v_pk_add_f32 v[28:29], v[28:29], v[106:107] neg_lo:[0,1] neg_hi:[0,1]
	s_delay_alu instid0(VALU_DEP_2) | instskip(SKIP_1) | instid1(VALU_DEP_1)
	v_pk_fma_f32 v[106:107], v[104:105], v[92:93], v[102:103] op_sel:[0,0,1] op_sel_hi:[1,1,0] neg_lo:[0,0,1] neg_hi:[0,0,1]
	v_pk_fma_f32 v[102:103], v[104:105], v[92:93], v[102:103] op_sel:[0,0,1] op_sel_hi:[1,0,0]
	v_mov_b32_e32 v107, v103
	ds_load_2addr_b64 v[102:105], v96 offset0:20 offset1:21
	v_pk_add_f32 v[26:27], v[26:27], v[106:107] neg_lo:[0,1] neg_hi:[0,1]
	s_wait_dscnt 0x0
	v_pk_mul_f32 v[106:107], v[102:103], v[94:95] op_sel:[0,1]
	s_delay_alu instid0(VALU_DEP_1) | instskip(SKIP_1) | instid1(VALU_DEP_1)
	v_pk_fma_f32 v[108:109], v[102:103], v[92:93], v[106:107] op_sel:[0,0,1] op_sel_hi:[1,1,0] neg_lo:[0,0,1] neg_hi:[0,0,1]
	v_pk_fma_f32 v[102:103], v[102:103], v[92:93], v[106:107] op_sel:[0,0,1] op_sel_hi:[1,0,0]
	v_mov_b32_e32 v109, v103
	v_pk_mul_f32 v[102:103], v[104:105], v[94:95] op_sel:[0,1]
	s_delay_alu instid0(VALU_DEP_2) | instskip(NEXT) | instid1(VALU_DEP_2)
	v_pk_add_f32 v[54:55], v[54:55], v[108:109] neg_lo:[0,1] neg_hi:[0,1]
	v_pk_fma_f32 v[106:107], v[104:105], v[92:93], v[102:103] op_sel:[0,0,1] op_sel_hi:[1,1,0] neg_lo:[0,0,1] neg_hi:[0,0,1]
	v_pk_fma_f32 v[102:103], v[104:105], v[92:93], v[102:103] op_sel:[0,0,1] op_sel_hi:[1,0,0]
	s_delay_alu instid0(VALU_DEP_1) | instskip(SKIP_4) | instid1(VALU_DEP_1)
	v_mov_b32_e32 v107, v103
	ds_load_2addr_b64 v[102:105], v96 offset0:22 offset1:23
	v_pk_add_f32 v[52:53], v[52:53], v[106:107] neg_lo:[0,1] neg_hi:[0,1]
	s_wait_dscnt 0x0
	v_pk_mul_f32 v[106:107], v[102:103], v[94:95] op_sel:[0,1]
	v_pk_fma_f32 v[108:109], v[102:103], v[92:93], v[106:107] op_sel:[0,0,1] op_sel_hi:[1,1,0] neg_lo:[0,0,1] neg_hi:[0,0,1]
	v_pk_fma_f32 v[102:103], v[102:103], v[92:93], v[106:107] op_sel:[0,0,1] op_sel_hi:[1,0,0]
	v_dual_mul_f32 v106, v105, v95 :: v_dual_mov_b32 v102, v105
	s_delay_alu instid0(VALU_DEP_2) | instskip(NEXT) | instid1(VALU_DEP_2)
	v_dual_mov_b32 v109, v103 :: v_dual_mov_b32 v103, v104
	v_pk_fma_f32 v[106:107], v[104:105], v[22:23], v[106:107] op_sel_hi:[1,1,0] neg_lo:[0,0,1] neg_hi:[0,0,1]
	v_mul_f32_e32 v104, v105, v92
	s_delay_alu instid0(VALU_DEP_3) | instskip(NEXT) | instid1(VALU_DEP_2)
	v_pk_add_f32 v[32:33], v[32:33], v[108:109] neg_lo:[0,1] neg_hi:[0,1]
	v_pk_fma_f32 v[102:103], v[102:103], v[22:23], v[104:105] op_sel_hi:[1,1,0]
	s_delay_alu instid0(VALU_DEP_1) | instskip(SKIP_4) | instid1(VALU_DEP_1)
	v_mov_b32_e32 v107, v103
	ds_load_2addr_b64 v[102:105], v96 offset0:24 offset1:25
	v_pk_add_f32 v[30:31], v[30:31], v[106:107] neg_lo:[0,1] neg_hi:[0,1]
	s_wait_dscnt 0x0
	v_pk_mul_f32 v[106:107], v[102:103], v[94:95] op_sel:[0,1]
	v_pk_fma_f32 v[108:109], v[102:103], v[92:93], v[106:107] op_sel:[0,0,1] op_sel_hi:[1,1,0] neg_lo:[0,0,1] neg_hi:[0,0,1]
	v_pk_fma_f32 v[102:103], v[102:103], v[92:93], v[106:107] op_sel:[0,0,1] op_sel_hi:[1,0,0]
	s_delay_alu instid0(VALU_DEP_1) | instskip(SKIP_1) | instid1(VALU_DEP_1)
	v_mov_b32_e32 v109, v103
	v_pk_mul_f32 v[102:103], v[104:105], v[94:95] op_sel:[0,1]
	v_pk_fma_f32 v[106:107], v[104:105], v[92:93], v[102:103] op_sel:[0,0,1] op_sel_hi:[1,1,0] neg_lo:[0,0,1] neg_hi:[0,0,1]
	v_pk_fma_f32 v[102:103], v[104:105], v[92:93], v[102:103] op_sel:[0,0,1] op_sel_hi:[1,0,0]
	s_delay_alu instid0(VALU_DEP_1)
	v_mov_b32_e32 v107, v103
	ds_load_2addr_b64 v[102:105], v96 offset0:26 offset1:27
	v_pk_add_f32 v[68:69], v[68:69], v[108:109] neg_lo:[0,1] neg_hi:[0,1]
	v_pk_add_f32 v[66:67], v[66:67], v[106:107] neg_lo:[0,1] neg_hi:[0,1]
	s_wait_dscnt 0x0
	v_pk_mul_f32 v[106:107], v[102:103], v[94:95] op_sel:[0,1]
	s_delay_alu instid0(VALU_DEP_1) | instskip(SKIP_1) | instid1(VALU_DEP_1)
	v_pk_fma_f32 v[108:109], v[102:103], v[92:93], v[106:107] op_sel:[0,0,1] op_sel_hi:[1,1,0] neg_lo:[0,0,1] neg_hi:[0,0,1]
	v_pk_fma_f32 v[102:103], v[102:103], v[92:93], v[106:107] op_sel:[0,0,1] op_sel_hi:[1,0,0]
	v_mov_b32_e32 v109, v103
	v_pk_mul_f32 v[102:103], v[104:105], v[94:95] op_sel:[0,1]
	s_delay_alu instid0(VALU_DEP_1) | instskip(SKIP_1) | instid1(VALU_DEP_1)
	v_pk_fma_f32 v[106:107], v[104:105], v[92:93], v[102:103] op_sel:[0,0,1] op_sel_hi:[1,1,0] neg_lo:[0,0,1] neg_hi:[0,0,1]
	v_pk_fma_f32 v[102:103], v[104:105], v[92:93], v[102:103] op_sel:[0,0,1] op_sel_hi:[1,0,0]
	v_mov_b32_e32 v107, v103
	ds_load_2addr_b64 v[102:105], v96 offset0:28 offset1:29
	v_pk_add_f32 v[40:41], v[40:41], v[108:109] neg_lo:[0,1] neg_hi:[0,1]
	v_pk_add_f32 v[38:39], v[38:39], v[106:107] neg_lo:[0,1] neg_hi:[0,1]
	s_wait_dscnt 0x0
	v_dual_mul_f32 v106, v103, v95 :: v_dual_mul_f32 v108, v103, v92
	s_delay_alu instid0(VALU_DEP_1) | instskip(NEXT) | instid1(VALU_DEP_2)
	v_pk_fma_f32 v[106:107], v[102:103], v[22:23], v[106:107] op_sel_hi:[1,1,0] neg_lo:[0,0,1] neg_hi:[0,0,1]
	v_pk_fma_f32 v[102:103], v[102:103], v[22:23], v[108:109] op_sel:[1,0,0] op_sel_hi:[0,1,0]
	s_delay_alu instid0(VALU_DEP_1) | instskip(SKIP_1) | instid1(VALU_DEP_2)
	v_mov_b32_e32 v107, v103
	v_pk_mul_f32 v[102:103], v[104:105], v[94:95] op_sel:[0,1]
	v_pk_add_f32 v[76:77], v[76:77], v[106:107] neg_lo:[0,1] neg_hi:[0,1]
	s_delay_alu instid0(VALU_DEP_2) | instskip(SKIP_1) | instid1(VALU_DEP_1)
	v_pk_fma_f32 v[106:107], v[104:105], v[92:93], v[102:103] op_sel:[0,0,1] op_sel_hi:[1,1,0] neg_lo:[0,0,1] neg_hi:[0,0,1]
	v_pk_fma_f32 v[102:103], v[104:105], v[92:93], v[102:103] op_sel:[0,0,1] op_sel_hi:[1,0,0]
	v_mov_b32_e32 v107, v103
	ds_load_2addr_b64 v[102:105], v96 offset0:30 offset1:31
	v_pk_add_f32 v[74:75], v[74:75], v[106:107] neg_lo:[0,1] neg_hi:[0,1]
	s_wait_dscnt 0x0
	v_pk_mul_f32 v[106:107], v[102:103], v[94:95] op_sel:[0,1]
	s_delay_alu instid0(VALU_DEP_1) | instskip(SKIP_1) | instid1(VALU_DEP_1)
	v_pk_fma_f32 v[108:109], v[102:103], v[92:93], v[106:107] op_sel:[0,0,1] op_sel_hi:[1,1,0] neg_lo:[0,0,1] neg_hi:[0,0,1]
	v_pk_fma_f32 v[102:103], v[102:103], v[92:93], v[106:107] op_sel:[0,0,1] op_sel_hi:[1,0,0]
	v_mov_b32_e32 v109, v103
	v_pk_mul_f32 v[102:103], v[104:105], v[94:95] op_sel:[0,1]
	s_delay_alu instid0(VALU_DEP_2) | instskip(NEXT) | instid1(VALU_DEP_2)
	v_pk_add_f32 v[50:51], v[50:51], v[108:109] neg_lo:[0,1] neg_hi:[0,1]
	v_pk_fma_f32 v[106:107], v[104:105], v[92:93], v[102:103] op_sel:[0,0,1] op_sel_hi:[1,1,0] neg_lo:[0,0,1] neg_hi:[0,0,1]
	v_pk_fma_f32 v[102:103], v[104:105], v[92:93], v[102:103] op_sel:[0,0,1] op_sel_hi:[1,0,0]
	s_delay_alu instid0(VALU_DEP_1) | instskip(SKIP_4) | instid1(VALU_DEP_1)
	v_mov_b32_e32 v107, v103
	ds_load_2addr_b64 v[102:105], v96 offset0:32 offset1:33
	v_pk_add_f32 v[48:49], v[48:49], v[106:107] neg_lo:[0,1] neg_hi:[0,1]
	s_wait_dscnt 0x0
	v_pk_mul_f32 v[106:107], v[102:103], v[94:95] op_sel:[0,1]
	v_pk_fma_f32 v[108:109], v[102:103], v[92:93], v[106:107] op_sel:[0,0,1] op_sel_hi:[1,1,0] neg_lo:[0,0,1] neg_hi:[0,0,1]
	v_pk_fma_f32 v[102:103], v[102:103], v[92:93], v[106:107] op_sel:[0,0,1] op_sel_hi:[1,0,0]
	v_dual_mul_f32 v106, v105, v95 :: v_dual_mov_b32 v102, v105
	s_delay_alu instid0(VALU_DEP_2) | instskip(NEXT) | instid1(VALU_DEP_2)
	v_dual_mov_b32 v109, v103 :: v_dual_mov_b32 v103, v104
	v_pk_fma_f32 v[106:107], v[104:105], v[22:23], v[106:107] op_sel_hi:[1,1,0] neg_lo:[0,0,1] neg_hi:[0,0,1]
	v_mul_f32_e32 v104, v105, v92
	s_delay_alu instid0(VALU_DEP_3) | instskip(NEXT) | instid1(VALU_DEP_2)
	v_pk_add_f32 v[88:89], v[88:89], v[108:109] neg_lo:[0,1] neg_hi:[0,1]
	v_pk_fma_f32 v[102:103], v[102:103], v[22:23], v[104:105] op_sel_hi:[1,1,0]
	s_delay_alu instid0(VALU_DEP_1) | instskip(SKIP_4) | instid1(VALU_DEP_1)
	v_mov_b32_e32 v107, v103
	ds_load_2addr_b64 v[102:105], v96 offset0:34 offset1:35
	v_pk_add_f32 v[86:87], v[86:87], v[106:107] neg_lo:[0,1] neg_hi:[0,1]
	s_wait_dscnt 0x0
	v_pk_mul_f32 v[106:107], v[102:103], v[94:95] op_sel:[0,1]
	v_pk_fma_f32 v[108:109], v[102:103], v[92:93], v[106:107] op_sel:[0,0,1] op_sel_hi:[1,1,0] neg_lo:[0,0,1] neg_hi:[0,0,1]
	v_pk_fma_f32 v[102:103], v[102:103], v[92:93], v[106:107] op_sel:[0,0,1] op_sel_hi:[1,0,0]
	s_delay_alu instid0(VALU_DEP_1) | instskip(SKIP_1) | instid1(VALU_DEP_1)
	v_mov_b32_e32 v109, v103
	v_pk_mul_f32 v[102:103], v[104:105], v[94:95] op_sel:[0,1]
	v_pk_fma_f32 v[106:107], v[104:105], v[92:93], v[102:103] op_sel:[0,0,1] op_sel_hi:[1,1,0] neg_lo:[0,0,1] neg_hi:[0,0,1]
	v_pk_fma_f32 v[102:103], v[104:105], v[92:93], v[102:103] op_sel:[0,0,1] op_sel_hi:[1,0,0]
	s_delay_alu instid0(VALU_DEP_1)
	v_mov_b32_e32 v107, v103
	ds_load_2addr_b64 v[102:105], v96 offset0:36 offset1:37
	v_pk_add_f32 v[60:61], v[60:61], v[108:109] neg_lo:[0,1] neg_hi:[0,1]
	v_pk_add_f32 v[58:59], v[58:59], v[106:107] neg_lo:[0,1] neg_hi:[0,1]
	s_wait_dscnt 0x0
	v_pk_mul_f32 v[106:107], v[102:103], v[94:95] op_sel:[0,1]
	s_delay_alu instid0(VALU_DEP_1) | instskip(SKIP_1) | instid1(VALU_DEP_1)
	v_pk_fma_f32 v[108:109], v[102:103], v[92:93], v[106:107] op_sel:[0,0,1] op_sel_hi:[1,1,0] neg_lo:[0,0,1] neg_hi:[0,0,1]
	v_pk_fma_f32 v[102:103], v[102:103], v[92:93], v[106:107] op_sel:[0,0,1] op_sel_hi:[1,0,0]
	v_mov_b32_e32 v109, v103
	v_pk_mul_f32 v[102:103], v[104:105], v[94:95] op_sel:[0,1]
	s_delay_alu instid0(VALU_DEP_1) | instskip(SKIP_1) | instid1(VALU_DEP_1)
	v_pk_fma_f32 v[106:107], v[104:105], v[92:93], v[102:103] op_sel:[0,0,1] op_sel_hi:[1,1,0] neg_lo:[0,0,1] neg_hi:[0,0,1]
	v_pk_fma_f32 v[102:103], v[104:105], v[92:93], v[102:103] op_sel:[0,0,1] op_sel_hi:[1,0,0]
	v_mov_b32_e32 v107, v103
	ds_load_2addr_b64 v[102:105], v96 offset0:38 offset1:39
	v_pk_add_f32 v[82:83], v[82:83], v[108:109] neg_lo:[0,1] neg_hi:[0,1]
	v_pk_add_f32 v[80:81], v[80:81], v[106:107] neg_lo:[0,1] neg_hi:[0,1]
	s_wait_dscnt 0x0
	v_dual_mul_f32 v106, v103, v95 :: v_dual_mul_f32 v108, v103, v92
	s_delay_alu instid0(VALU_DEP_1) | instskip(NEXT) | instid1(VALU_DEP_2)
	v_pk_fma_f32 v[106:107], v[102:103], v[22:23], v[106:107] op_sel_hi:[1,1,0] neg_lo:[0,0,1] neg_hi:[0,0,1]
	v_pk_fma_f32 v[102:103], v[102:103], v[22:23], v[108:109] op_sel:[1,0,0] op_sel_hi:[0,1,0]
	s_delay_alu instid0(VALU_DEP_1) | instskip(SKIP_1) | instid1(VALU_DEP_2)
	v_mov_b32_e32 v107, v103
	v_pk_mul_f32 v[102:103], v[104:105], v[94:95] op_sel:[0,1]
	v_pk_add_f32 v[64:65], v[64:65], v[106:107] neg_lo:[0,1] neg_hi:[0,1]
	s_delay_alu instid0(VALU_DEP_2) | instskip(SKIP_1) | instid1(VALU_DEP_1)
	v_pk_fma_f32 v[106:107], v[104:105], v[92:93], v[102:103] op_sel:[0,0,1] op_sel_hi:[1,1,0] neg_lo:[0,0,1] neg_hi:[0,0,1]
	v_pk_fma_f32 v[102:103], v[104:105], v[92:93], v[102:103] op_sel:[0,0,1] op_sel_hi:[1,0,0]
	v_mov_b32_e32 v107, v103
	ds_load_2addr_b64 v[102:105], v96 offset0:40 offset1:41
	v_pk_add_f32 v[62:63], v[62:63], v[106:107] neg_lo:[0,1] neg_hi:[0,1]
	s_wait_dscnt 0x0
	v_pk_mul_f32 v[106:107], v[102:103], v[94:95] op_sel:[0,1]
	s_delay_alu instid0(VALU_DEP_1) | instskip(SKIP_1) | instid1(VALU_DEP_1)
	v_pk_fma_f32 v[108:109], v[102:103], v[92:93], v[106:107] op_sel:[0,0,1] op_sel_hi:[1,1,0] neg_lo:[0,0,1] neg_hi:[0,0,1]
	v_pk_fma_f32 v[102:103], v[102:103], v[92:93], v[106:107] op_sel:[0,0,1] op_sel_hi:[1,0,0]
	v_mov_b32_e32 v109, v103
	v_pk_mul_f32 v[102:103], v[104:105], v[94:95] op_sel:[0,1]
	s_delay_alu instid0(VALU_DEP_2) | instskip(NEXT) | instid1(VALU_DEP_2)
	v_pk_add_f32 v[72:73], v[72:73], v[108:109] neg_lo:[0,1] neg_hi:[0,1]
	v_pk_fma_f32 v[106:107], v[104:105], v[92:93], v[102:103] op_sel:[0,0,1] op_sel_hi:[1,1,0] neg_lo:[0,0,1] neg_hi:[0,0,1]
	v_pk_fma_f32 v[102:103], v[104:105], v[92:93], v[102:103] op_sel:[0,0,1] op_sel_hi:[1,0,0]
	s_delay_alu instid0(VALU_DEP_1) | instskip(SKIP_4) | instid1(VALU_DEP_1)
	v_mov_b32_e32 v107, v103
	ds_load_b64 v[102:103], v96 offset:336
	v_pk_add_f32 v[70:71], v[70:71], v[106:107] neg_lo:[0,1] neg_hi:[0,1]
	s_wait_dscnt 0x0
	v_pk_mul_f32 v[94:95], v[102:103], v[94:95] op_sel:[0,1]
	v_pk_fma_f32 v[104:105], v[102:103], v[92:93], v[94:95] op_sel:[0,0,1] op_sel_hi:[1,1,0] neg_lo:[0,0,1] neg_hi:[0,0,1]
	v_pk_fma_f32 v[92:93], v[102:103], v[92:93], v[94:95] op_sel:[0,0,1] op_sel_hi:[1,0,0]
	s_delay_alu instid0(VALU_DEP_1) | instskip(NEXT) | instid1(VALU_DEP_1)
	v_mov_b32_e32 v105, v93
	v_pk_add_f32 v[90:91], v[90:91], v[104:105] neg_lo:[0,1] neg_hi:[0,1]
.LBB84_209:
	s_or_b32 exec_lo, exec_lo, s0
	v_lshl_add_u32 v92, v100, 3, v96
	s_barrier_signal -1
	s_barrier_wait -1
	ds_store_b64 v92, v[12:13]
	s_wait_dscnt 0x0
	s_barrier_signal -1
	s_barrier_wait -1
	ds_load_b64 v[94:95], v96 offset:80
	v_mov_b32_e32 v92, 10
	s_cmp_lt_i32 s14, 12
	s_cbranch_scc1 .LBB84_212
; %bb.210:
	v_add3_u32 v93, v97, 0, 0x58
	v_mov_b32_e32 v92, 10
	s_mov_b32 s0, 11
.LBB84_211:                             ; =>This Inner Loop Header: Depth=1
	ds_load_b64 v[102:103], v93
	s_wait_dscnt 0x1
	v_cmp_gt_f32_e32 vcc_lo, 0, v94
	v_cndmask_b32_e64 v104, v94, -v94, vcc_lo
	v_cmp_gt_f32_e32 vcc_lo, 0, v95
	v_cndmask_b32_e64 v106, v95, -v95, vcc_lo
	s_wait_dscnt 0x0
	v_cmp_gt_f32_e32 vcc_lo, 0, v102
	v_cndmask_b32_e64 v105, v102, -v102, vcc_lo
	v_cmp_gt_f32_e32 vcc_lo, 0, v103
	v_cndmask_b32_e64 v107, v103, -v103, vcc_lo
	s_delay_alu instid0(VALU_DEP_1) | instskip(NEXT) | instid1(VALU_DEP_1)
	v_pk_add_f32 v[104:105], v[104:105], v[106:107]
	v_cmp_lt_f32_e32 vcc_lo, v104, v105
	v_dual_add_nc_u32 v93, 8, v93 :: v_dual_cndmask_b32 v95, v95, v103, vcc_lo
	v_cndmask_b32_e32 v94, v94, v102, vcc_lo
	v_cndmask_b32_e64 v92, v92, s0, vcc_lo
	s_add_co_i32 s0, s0, 1
	s_delay_alu instid0(SALU_CYCLE_1)
	s_cmp_lg_u32 s14, s0
	s_cbranch_scc1 .LBB84_211
.LBB84_212:
	s_wait_dscnt 0x0
	v_cmp_eq_f32_e32 vcc_lo, 0, v94
	v_cmp_eq_f32_e64 s0, 0, v95
	s_and_b32 s0, vcc_lo, s0
	s_delay_alu instid0(SALU_CYCLE_1) | instskip(NEXT) | instid1(SALU_CYCLE_1)
	s_and_saveexec_b32 s1, s0
	s_xor_b32 s0, exec_lo, s1
; %bb.213:
	v_cmp_ne_u32_e32 vcc_lo, 0, v98
	v_cndmask_b32_e32 v98, 11, v98, vcc_lo
; %bb.214:
	s_and_not1_saveexec_b32 s0, s0
	s_cbranch_execz .LBB84_220
; %bb.215:
	v_cmp_ngt_f32_e64 s1, |v94|, |v95|
	s_and_saveexec_b32 s15, s1
	s_delay_alu instid0(SALU_CYCLE_1)
	s_xor_b32 s1, exec_lo, s15
	s_cbranch_execz .LBB84_217
; %bb.216:
	v_div_scale_f32 v93, null, v95, v95, v94
	v_div_scale_f32 v103, vcc_lo, v94, v95, v94
	s_delay_alu instid0(VALU_DEP_2) | instskip(SKIP_1) | instid1(TRANS32_DEP_1)
	v_rcp_f32_e32 v101, v93
	v_nop
	v_fma_f32 v102, -v93, v101, 1.0
	s_delay_alu instid0(VALU_DEP_1) | instskip(NEXT) | instid1(VALU_DEP_1)
	v_fmac_f32_e32 v101, v102, v101
	v_mul_f32_e32 v102, v103, v101
	s_delay_alu instid0(VALU_DEP_1) | instskip(NEXT) | instid1(VALU_DEP_1)
	v_fma_f32 v104, -v93, v102, v103
	v_fmac_f32_e32 v102, v104, v101
	s_delay_alu instid0(VALU_DEP_1) | instskip(NEXT) | instid1(VALU_DEP_1)
	v_fma_f32 v93, -v93, v102, v103
	v_div_fmas_f32 v93, v93, v101, v102
	s_delay_alu instid0(VALU_DEP_1) | instskip(NEXT) | instid1(VALU_DEP_1)
	v_div_fixup_f32 v93, v93, v95, v94
	v_fmac_f32_e32 v95, v94, v93
	s_delay_alu instid0(VALU_DEP_1) | instskip(SKIP_1) | instid1(VALU_DEP_2)
	v_div_scale_f32 v94, null, v95, v95, 1.0
	v_div_scale_f32 v103, vcc_lo, 1.0, v95, 1.0
	v_rcp_f32_e32 v101, v94
	v_nop
	s_delay_alu instid0(TRANS32_DEP_1) | instskip(NEXT) | instid1(VALU_DEP_1)
	v_fma_f32 v102, -v94, v101, 1.0
	v_fmac_f32_e32 v101, v102, v101
	s_delay_alu instid0(VALU_DEP_1) | instskip(NEXT) | instid1(VALU_DEP_1)
	v_mul_f32_e32 v102, v103, v101
	v_fma_f32 v104, -v94, v102, v103
	s_delay_alu instid0(VALU_DEP_1) | instskip(NEXT) | instid1(VALU_DEP_1)
	v_fmac_f32_e32 v102, v104, v101
	v_fma_f32 v94, -v94, v102, v103
	s_delay_alu instid0(VALU_DEP_1) | instskip(NEXT) | instid1(VALU_DEP_1)
	v_div_fmas_f32 v94, v94, v101, v102
	v_div_fixup_f32 v95, v94, v95, 1.0
	s_delay_alu instid0(VALU_DEP_1)
	v_mul_f32_e32 v94, v93, v95
	v_xor_b32_e32 v95, 0x80000000, v95
.LBB84_217:
	s_and_not1_saveexec_b32 s1, s1
	s_cbranch_execz .LBB84_219
; %bb.218:
	s_delay_alu instid0(VALU_DEP_1) | instskip(SKIP_1) | instid1(VALU_DEP_2)
	v_div_scale_f32 v93, null, v94, v94, v95
	v_div_scale_f32 v103, vcc_lo, v95, v94, v95
	v_rcp_f32_e32 v101, v93
	v_nop
	s_delay_alu instid0(TRANS32_DEP_1) | instskip(NEXT) | instid1(VALU_DEP_1)
	v_fma_f32 v102, -v93, v101, 1.0
	v_fmac_f32_e32 v101, v102, v101
	s_delay_alu instid0(VALU_DEP_1) | instskip(NEXT) | instid1(VALU_DEP_1)
	v_mul_f32_e32 v102, v103, v101
	v_fma_f32 v104, -v93, v102, v103
	s_delay_alu instid0(VALU_DEP_1) | instskip(NEXT) | instid1(VALU_DEP_1)
	v_fmac_f32_e32 v102, v104, v101
	v_fma_f32 v93, -v93, v102, v103
	s_delay_alu instid0(VALU_DEP_1) | instskip(NEXT) | instid1(VALU_DEP_1)
	v_div_fmas_f32 v93, v93, v101, v102
	v_div_fixup_f32 v93, v93, v94, v95
	s_delay_alu instid0(VALU_DEP_1) | instskip(NEXT) | instid1(VALU_DEP_1)
	v_fmac_f32_e32 v94, v95, v93
	v_div_scale_f32 v95, null, v94, v94, 1.0
	s_delay_alu instid0(VALU_DEP_1) | instskip(SKIP_1) | instid1(TRANS32_DEP_1)
	v_rcp_f32_e32 v101, v95
	v_nop
	v_fma_f32 v102, -v95, v101, 1.0
	s_delay_alu instid0(VALU_DEP_1) | instskip(SKIP_1) | instid1(VALU_DEP_1)
	v_fmac_f32_e32 v101, v102, v101
	v_div_scale_f32 v102, vcc_lo, 1.0, v94, 1.0
	v_mul_f32_e32 v103, v102, v101
	s_delay_alu instid0(VALU_DEP_1) | instskip(NEXT) | instid1(VALU_DEP_1)
	v_fma_f32 v104, -v95, v103, v102
	v_fmac_f32_e32 v103, v104, v101
	s_delay_alu instid0(VALU_DEP_1) | instskip(NEXT) | instid1(VALU_DEP_1)
	v_fma_f32 v95, -v95, v103, v102
	v_div_fmas_f32 v95, v95, v101, v103
	s_delay_alu instid0(VALU_DEP_1) | instskip(NEXT) | instid1(VALU_DEP_1)
	v_div_fixup_f32 v94, v95, v94, 1.0
	v_mul_f32_e64 v95, v93, -v94
.LBB84_219:
	s_or_b32 exec_lo, exec_lo, s1
.LBB84_220:
	s_delay_alu instid0(SALU_CYCLE_1) | instskip(NEXT) | instid1(SALU_CYCLE_1)
	s_or_b32 exec_lo, exec_lo, s0
	s_mov_b32 s0, exec_lo
	v_cmpx_ne_u32_e64 v100, v92
	s_xor_b32 s0, exec_lo, s0
	s_cbranch_execz .LBB84_226
; %bb.221:
	s_mov_b32 s1, exec_lo
	v_cmpx_eq_u32_e32 10, v100
	s_cbranch_execz .LBB84_225
; %bb.222:
	v_cmp_ne_u32_e32 vcc_lo, 10, v92
	s_xor_b32 s15, s12, -1
	s_delay_alu instid0(SALU_CYCLE_1) | instskip(NEXT) | instid1(SALU_CYCLE_1)
	s_and_b32 s16, s15, vcc_lo
	s_and_saveexec_b32 s15, s16
	s_cbranch_execz .LBB84_224
; %bb.223:
	v_ashrrev_i32_e32 v93, 31, v92
	s_delay_alu instid0(VALU_DEP_1)
	v_lshl_add_u64 v[100:101], v[92:93], 2, v[4:5]
	s_clause 0x1
	global_load_b32 v93, v[100:101], off
	global_load_b32 v99, v[4:5], off offset:40
	s_wait_loadcnt 0x1
	global_store_b32 v[4:5], v93, off offset:40
	s_wait_loadcnt 0x0
	global_store_b32 v[100:101], v99, off
.LBB84_224:
	s_wait_xcnt 0x0
	s_or_b32 exec_lo, exec_lo, s15
	v_dual_mov_b32 v100, v92 :: v_dual_mov_b32 v99, v92
.LBB84_225:
	s_or_b32 exec_lo, exec_lo, s1
.LBB84_226:
	s_and_not1_saveexec_b32 s0, s0
	s_cbranch_execz .LBB84_228
; %bb.227:
	v_mov_b32_e32 v100, 10
	ds_store_2addr_b64 v96, v[10:11], v[36:37] offset0:11 offset1:12
	ds_store_2addr_b64 v96, v[34:35], v[20:21] offset0:13 offset1:14
	;; [unrolled: 1-line block ×16, first 2 shown]
.LBB84_228:
	s_or_b32 exec_lo, exec_lo, s0
	s_delay_alu instid0(SALU_CYCLE_1)
	s_mov_b32 s0, exec_lo
	s_wait_storecnt_dscnt 0x0
	s_barrier_signal -1
	s_barrier_wait -1
	v_cmpx_lt_i32_e32 10, v100
	s_cbranch_execz .LBB84_230
; %bb.229:
	v_pk_mul_f32 v[102:103], v[94:95], v[12:13] op_sel:[1,1] op_sel_hi:[0,1]
	s_delay_alu instid0(VALU_DEP_1)
	v_pk_fma_f32 v[92:93], v[94:95], v[12:13], v[102:103] op_sel_hi:[1,0,1] neg_lo:[0,0,1] neg_hi:[0,0,1]
	v_pk_fma_f32 v[94:95], v[94:95], v[12:13], v[102:103] op_sel_hi:[1,0,1]
	ds_load_2addr_b64 v[102:105], v96 offset0:11 offset1:12
	v_dual_mov_b32 v12, v92 :: v_dual_mov_b32 v13, v95
	s_wait_dscnt 0x0
	v_pk_mul_f32 v[106:107], v[102:103], v[94:95] op_sel:[0,1]
	s_delay_alu instid0(VALU_DEP_1) | instskip(SKIP_1) | instid1(VALU_DEP_1)
	v_pk_fma_f32 v[108:109], v[102:103], v[92:93], v[106:107] op_sel:[0,0,1] op_sel_hi:[1,1,0] neg_lo:[0,0,1] neg_hi:[0,0,1]
	v_pk_fma_f32 v[102:103], v[102:103], v[92:93], v[106:107] op_sel:[0,0,1] op_sel_hi:[1,0,0]
	v_mov_b32_e32 v109, v103
	v_pk_mul_f32 v[102:103], v[104:105], v[94:95] op_sel:[0,1]
	s_delay_alu instid0(VALU_DEP_1) | instskip(SKIP_1) | instid1(VALU_DEP_1)
	v_pk_fma_f32 v[106:107], v[104:105], v[92:93], v[102:103] op_sel:[0,0,1] op_sel_hi:[1,1,0] neg_lo:[0,0,1] neg_hi:[0,0,1]
	v_pk_fma_f32 v[102:103], v[104:105], v[92:93], v[102:103] op_sel:[0,0,1] op_sel_hi:[1,0,0]
	v_mov_b32_e32 v107, v103
	ds_load_2addr_b64 v[102:105], v96 offset0:13 offset1:14
	v_pk_add_f32 v[10:11], v[10:11], v[108:109] neg_lo:[0,1] neg_hi:[0,1]
	v_pk_add_f32 v[36:37], v[36:37], v[106:107] neg_lo:[0,1] neg_hi:[0,1]
	s_wait_dscnt 0x0
	v_pk_mul_f32 v[106:107], v[102:103], v[94:95] op_sel:[0,1]
	s_delay_alu instid0(VALU_DEP_1) | instskip(SKIP_2) | instid1(VALU_DEP_2)
	v_pk_fma_f32 v[108:109], v[102:103], v[92:93], v[106:107] op_sel:[0,0,1] op_sel_hi:[1,1,0] neg_lo:[0,0,1] neg_hi:[0,0,1]
	v_pk_fma_f32 v[102:103], v[102:103], v[92:93], v[106:107] op_sel:[0,0,1] op_sel_hi:[1,0,0]
	v_dual_mul_f32 v106, v105, v95 :: v_dual_mov_b32 v102, v105
	v_dual_mov_b32 v109, v103 :: v_dual_mov_b32 v103, v104
	s_delay_alu instid0(VALU_DEP_2) | instskip(SKIP_1) | instid1(VALU_DEP_3)
	v_pk_fma_f32 v[106:107], v[104:105], v[12:13], v[106:107] op_sel_hi:[1,1,0] neg_lo:[0,0,1] neg_hi:[0,0,1]
	v_mul_f32_e32 v104, v105, v92
	v_pk_add_f32 v[34:35], v[34:35], v[108:109] neg_lo:[0,1] neg_hi:[0,1]
	s_delay_alu instid0(VALU_DEP_2) | instskip(NEXT) | instid1(VALU_DEP_1)
	v_pk_fma_f32 v[102:103], v[102:103], v[12:13], v[104:105] op_sel_hi:[1,1,0]
	v_mov_b32_e32 v107, v103
	ds_load_2addr_b64 v[102:105], v96 offset0:15 offset1:16
	v_pk_add_f32 v[20:21], v[20:21], v[106:107] neg_lo:[0,1] neg_hi:[0,1]
	s_wait_dscnt 0x0
	v_pk_mul_f32 v[106:107], v[102:103], v[94:95] op_sel:[0,1]
	s_delay_alu instid0(VALU_DEP_1) | instskip(SKIP_1) | instid1(VALU_DEP_1)
	v_pk_fma_f32 v[108:109], v[102:103], v[92:93], v[106:107] op_sel:[0,0,1] op_sel_hi:[1,1,0] neg_lo:[0,0,1] neg_hi:[0,0,1]
	v_pk_fma_f32 v[102:103], v[102:103], v[92:93], v[106:107] op_sel:[0,0,1] op_sel_hi:[1,0,0]
	v_mov_b32_e32 v109, v103
	v_pk_mul_f32 v[102:103], v[104:105], v[94:95] op_sel:[0,1]
	s_delay_alu instid0(VALU_DEP_1) | instskip(SKIP_1) | instid1(VALU_DEP_1)
	v_pk_fma_f32 v[106:107], v[104:105], v[92:93], v[102:103] op_sel:[0,0,1] op_sel_hi:[1,1,0] neg_lo:[0,0,1] neg_hi:[0,0,1]
	v_pk_fma_f32 v[102:103], v[104:105], v[92:93], v[102:103] op_sel:[0,0,1] op_sel_hi:[1,0,0]
	v_mov_b32_e32 v107, v103
	ds_load_2addr_b64 v[102:105], v96 offset0:17 offset1:18
	v_pk_add_f32 v[18:19], v[18:19], v[108:109] neg_lo:[0,1] neg_hi:[0,1]
	v_pk_add_f32 v[46:47], v[46:47], v[106:107] neg_lo:[0,1] neg_hi:[0,1]
	s_wait_dscnt 0x0
	v_pk_mul_f32 v[106:107], v[102:103], v[94:95] op_sel:[0,1]
	s_delay_alu instid0(VALU_DEP_1) | instskip(SKIP_1) | instid1(VALU_DEP_1)
	v_pk_fma_f32 v[108:109], v[102:103], v[92:93], v[106:107] op_sel:[0,0,1] op_sel_hi:[1,1,0] neg_lo:[0,0,1] neg_hi:[0,0,1]
	v_pk_fma_f32 v[102:103], v[102:103], v[92:93], v[106:107] op_sel:[0,0,1] op_sel_hi:[1,0,0]
	v_mov_b32_e32 v109, v103
	v_pk_mul_f32 v[102:103], v[104:105], v[94:95] op_sel:[0,1]
	s_delay_alu instid0(VALU_DEP_1) | instskip(SKIP_1) | instid1(VALU_DEP_1)
	v_pk_fma_f32 v[106:107], v[104:105], v[92:93], v[102:103] op_sel:[0,0,1] op_sel_hi:[1,1,0] neg_lo:[0,0,1] neg_hi:[0,0,1]
	v_pk_fma_f32 v[102:103], v[104:105], v[92:93], v[102:103] op_sel:[0,0,1] op_sel_hi:[1,0,0]
	v_mov_b32_e32 v107, v103
	ds_load_2addr_b64 v[102:105], v96 offset0:19 offset1:20
	v_pk_add_f32 v[44:45], v[44:45], v[108:109] neg_lo:[0,1] neg_hi:[0,1]
	v_pk_add_f32 v[28:29], v[28:29], v[106:107] neg_lo:[0,1] neg_hi:[0,1]
	s_wait_dscnt 0x0
	v_dual_mul_f32 v106, v103, v95 :: v_dual_mul_f32 v108, v103, v92
	s_delay_alu instid0(VALU_DEP_1) | instskip(NEXT) | instid1(VALU_DEP_2)
	v_pk_fma_f32 v[106:107], v[102:103], v[12:13], v[106:107] op_sel_hi:[1,1,0] neg_lo:[0,0,1] neg_hi:[0,0,1]
	v_pk_fma_f32 v[102:103], v[102:103], v[12:13], v[108:109] op_sel:[1,0,0] op_sel_hi:[0,1,0]
	s_delay_alu instid0(VALU_DEP_1) | instskip(SKIP_1) | instid1(VALU_DEP_2)
	v_mov_b32_e32 v107, v103
	v_pk_mul_f32 v[102:103], v[104:105], v[94:95] op_sel:[0,1]
	v_pk_add_f32 v[26:27], v[26:27], v[106:107] neg_lo:[0,1] neg_hi:[0,1]
	s_delay_alu instid0(VALU_DEP_2) | instskip(SKIP_1) | instid1(VALU_DEP_1)
	v_pk_fma_f32 v[106:107], v[104:105], v[92:93], v[102:103] op_sel:[0,0,1] op_sel_hi:[1,1,0] neg_lo:[0,0,1] neg_hi:[0,0,1]
	v_pk_fma_f32 v[102:103], v[104:105], v[92:93], v[102:103] op_sel:[0,0,1] op_sel_hi:[1,0,0]
	v_mov_b32_e32 v107, v103
	ds_load_2addr_b64 v[102:105], v96 offset0:21 offset1:22
	v_pk_add_f32 v[54:55], v[54:55], v[106:107] neg_lo:[0,1] neg_hi:[0,1]
	s_wait_dscnt 0x0
	v_pk_mul_f32 v[106:107], v[102:103], v[94:95] op_sel:[0,1]
	s_delay_alu instid0(VALU_DEP_1) | instskip(SKIP_1) | instid1(VALU_DEP_1)
	v_pk_fma_f32 v[108:109], v[102:103], v[92:93], v[106:107] op_sel:[0,0,1] op_sel_hi:[1,1,0] neg_lo:[0,0,1] neg_hi:[0,0,1]
	v_pk_fma_f32 v[102:103], v[102:103], v[92:93], v[106:107] op_sel:[0,0,1] op_sel_hi:[1,0,0]
	v_mov_b32_e32 v109, v103
	v_pk_mul_f32 v[102:103], v[104:105], v[94:95] op_sel:[0,1]
	s_delay_alu instid0(VALU_DEP_2) | instskip(NEXT) | instid1(VALU_DEP_2)
	v_pk_add_f32 v[52:53], v[52:53], v[108:109] neg_lo:[0,1] neg_hi:[0,1]
	v_pk_fma_f32 v[106:107], v[104:105], v[92:93], v[102:103] op_sel:[0,0,1] op_sel_hi:[1,1,0] neg_lo:[0,0,1] neg_hi:[0,0,1]
	v_pk_fma_f32 v[102:103], v[104:105], v[92:93], v[102:103] op_sel:[0,0,1] op_sel_hi:[1,0,0]
	s_delay_alu instid0(VALU_DEP_1) | instskip(SKIP_4) | instid1(VALU_DEP_1)
	v_mov_b32_e32 v107, v103
	ds_load_2addr_b64 v[102:105], v96 offset0:23 offset1:24
	v_pk_add_f32 v[32:33], v[32:33], v[106:107] neg_lo:[0,1] neg_hi:[0,1]
	s_wait_dscnt 0x0
	v_pk_mul_f32 v[106:107], v[102:103], v[94:95] op_sel:[0,1]
	v_pk_fma_f32 v[108:109], v[102:103], v[92:93], v[106:107] op_sel:[0,0,1] op_sel_hi:[1,1,0] neg_lo:[0,0,1] neg_hi:[0,0,1]
	v_pk_fma_f32 v[102:103], v[102:103], v[92:93], v[106:107] op_sel:[0,0,1] op_sel_hi:[1,0,0]
	v_dual_mul_f32 v106, v105, v95 :: v_dual_mov_b32 v102, v105
	s_delay_alu instid0(VALU_DEP_2) | instskip(NEXT) | instid1(VALU_DEP_2)
	v_dual_mov_b32 v109, v103 :: v_dual_mov_b32 v103, v104
	v_pk_fma_f32 v[106:107], v[104:105], v[12:13], v[106:107] op_sel_hi:[1,1,0] neg_lo:[0,0,1] neg_hi:[0,0,1]
	v_mul_f32_e32 v104, v105, v92
	s_delay_alu instid0(VALU_DEP_3) | instskip(NEXT) | instid1(VALU_DEP_2)
	v_pk_add_f32 v[30:31], v[30:31], v[108:109] neg_lo:[0,1] neg_hi:[0,1]
	v_pk_fma_f32 v[102:103], v[102:103], v[12:13], v[104:105] op_sel_hi:[1,1,0]
	s_delay_alu instid0(VALU_DEP_1) | instskip(SKIP_4) | instid1(VALU_DEP_1)
	v_mov_b32_e32 v107, v103
	ds_load_2addr_b64 v[102:105], v96 offset0:25 offset1:26
	v_pk_add_f32 v[68:69], v[68:69], v[106:107] neg_lo:[0,1] neg_hi:[0,1]
	s_wait_dscnt 0x0
	v_pk_mul_f32 v[106:107], v[102:103], v[94:95] op_sel:[0,1]
	v_pk_fma_f32 v[108:109], v[102:103], v[92:93], v[106:107] op_sel:[0,0,1] op_sel_hi:[1,1,0] neg_lo:[0,0,1] neg_hi:[0,0,1]
	v_pk_fma_f32 v[102:103], v[102:103], v[92:93], v[106:107] op_sel:[0,0,1] op_sel_hi:[1,0,0]
	s_delay_alu instid0(VALU_DEP_1) | instskip(SKIP_1) | instid1(VALU_DEP_1)
	v_mov_b32_e32 v109, v103
	v_pk_mul_f32 v[102:103], v[104:105], v[94:95] op_sel:[0,1]
	v_pk_fma_f32 v[106:107], v[104:105], v[92:93], v[102:103] op_sel:[0,0,1] op_sel_hi:[1,1,0] neg_lo:[0,0,1] neg_hi:[0,0,1]
	v_pk_fma_f32 v[102:103], v[104:105], v[92:93], v[102:103] op_sel:[0,0,1] op_sel_hi:[1,0,0]
	s_delay_alu instid0(VALU_DEP_1)
	v_mov_b32_e32 v107, v103
	ds_load_2addr_b64 v[102:105], v96 offset0:27 offset1:28
	v_pk_add_f32 v[66:67], v[66:67], v[108:109] neg_lo:[0,1] neg_hi:[0,1]
	v_pk_add_f32 v[40:41], v[40:41], v[106:107] neg_lo:[0,1] neg_hi:[0,1]
	s_wait_dscnt 0x0
	v_pk_mul_f32 v[106:107], v[102:103], v[94:95] op_sel:[0,1]
	s_delay_alu instid0(VALU_DEP_1) | instskip(SKIP_1) | instid1(VALU_DEP_1)
	v_pk_fma_f32 v[108:109], v[102:103], v[92:93], v[106:107] op_sel:[0,0,1] op_sel_hi:[1,1,0] neg_lo:[0,0,1] neg_hi:[0,0,1]
	v_pk_fma_f32 v[102:103], v[102:103], v[92:93], v[106:107] op_sel:[0,0,1] op_sel_hi:[1,0,0]
	v_mov_b32_e32 v109, v103
	v_pk_mul_f32 v[102:103], v[104:105], v[94:95] op_sel:[0,1]
	s_delay_alu instid0(VALU_DEP_1) | instskip(SKIP_1) | instid1(VALU_DEP_1)
	v_pk_fma_f32 v[106:107], v[104:105], v[92:93], v[102:103] op_sel:[0,0,1] op_sel_hi:[1,1,0] neg_lo:[0,0,1] neg_hi:[0,0,1]
	v_pk_fma_f32 v[102:103], v[104:105], v[92:93], v[102:103] op_sel:[0,0,1] op_sel_hi:[1,0,0]
	v_mov_b32_e32 v107, v103
	ds_load_2addr_b64 v[102:105], v96 offset0:29 offset1:30
	v_pk_add_f32 v[38:39], v[38:39], v[108:109] neg_lo:[0,1] neg_hi:[0,1]
	v_pk_add_f32 v[76:77], v[76:77], v[106:107] neg_lo:[0,1] neg_hi:[0,1]
	s_wait_dscnt 0x0
	v_dual_mul_f32 v106, v103, v95 :: v_dual_mul_f32 v108, v103, v92
	s_delay_alu instid0(VALU_DEP_1) | instskip(NEXT) | instid1(VALU_DEP_2)
	v_pk_fma_f32 v[106:107], v[102:103], v[12:13], v[106:107] op_sel_hi:[1,1,0] neg_lo:[0,0,1] neg_hi:[0,0,1]
	v_pk_fma_f32 v[102:103], v[102:103], v[12:13], v[108:109] op_sel:[1,0,0] op_sel_hi:[0,1,0]
	s_delay_alu instid0(VALU_DEP_1) | instskip(SKIP_1) | instid1(VALU_DEP_2)
	v_mov_b32_e32 v107, v103
	v_pk_mul_f32 v[102:103], v[104:105], v[94:95] op_sel:[0,1]
	v_pk_add_f32 v[74:75], v[74:75], v[106:107] neg_lo:[0,1] neg_hi:[0,1]
	s_delay_alu instid0(VALU_DEP_2) | instskip(SKIP_1) | instid1(VALU_DEP_1)
	v_pk_fma_f32 v[106:107], v[104:105], v[92:93], v[102:103] op_sel:[0,0,1] op_sel_hi:[1,1,0] neg_lo:[0,0,1] neg_hi:[0,0,1]
	v_pk_fma_f32 v[102:103], v[104:105], v[92:93], v[102:103] op_sel:[0,0,1] op_sel_hi:[1,0,0]
	v_mov_b32_e32 v107, v103
	ds_load_2addr_b64 v[102:105], v96 offset0:31 offset1:32
	v_pk_add_f32 v[50:51], v[50:51], v[106:107] neg_lo:[0,1] neg_hi:[0,1]
	s_wait_dscnt 0x0
	v_pk_mul_f32 v[106:107], v[102:103], v[94:95] op_sel:[0,1]
	s_delay_alu instid0(VALU_DEP_1) | instskip(SKIP_1) | instid1(VALU_DEP_1)
	v_pk_fma_f32 v[108:109], v[102:103], v[92:93], v[106:107] op_sel:[0,0,1] op_sel_hi:[1,1,0] neg_lo:[0,0,1] neg_hi:[0,0,1]
	v_pk_fma_f32 v[102:103], v[102:103], v[92:93], v[106:107] op_sel:[0,0,1] op_sel_hi:[1,0,0]
	v_mov_b32_e32 v109, v103
	v_pk_mul_f32 v[102:103], v[104:105], v[94:95] op_sel:[0,1]
	s_delay_alu instid0(VALU_DEP_2) | instskip(NEXT) | instid1(VALU_DEP_2)
	v_pk_add_f32 v[48:49], v[48:49], v[108:109] neg_lo:[0,1] neg_hi:[0,1]
	v_pk_fma_f32 v[106:107], v[104:105], v[92:93], v[102:103] op_sel:[0,0,1] op_sel_hi:[1,1,0] neg_lo:[0,0,1] neg_hi:[0,0,1]
	v_pk_fma_f32 v[102:103], v[104:105], v[92:93], v[102:103] op_sel:[0,0,1] op_sel_hi:[1,0,0]
	s_delay_alu instid0(VALU_DEP_1) | instskip(SKIP_4) | instid1(VALU_DEP_1)
	v_mov_b32_e32 v107, v103
	ds_load_2addr_b64 v[102:105], v96 offset0:33 offset1:34
	v_pk_add_f32 v[88:89], v[88:89], v[106:107] neg_lo:[0,1] neg_hi:[0,1]
	s_wait_dscnt 0x0
	v_pk_mul_f32 v[106:107], v[102:103], v[94:95] op_sel:[0,1]
	v_pk_fma_f32 v[108:109], v[102:103], v[92:93], v[106:107] op_sel:[0,0,1] op_sel_hi:[1,1,0] neg_lo:[0,0,1] neg_hi:[0,0,1]
	v_pk_fma_f32 v[102:103], v[102:103], v[92:93], v[106:107] op_sel:[0,0,1] op_sel_hi:[1,0,0]
	v_dual_mul_f32 v106, v105, v95 :: v_dual_mov_b32 v102, v105
	s_delay_alu instid0(VALU_DEP_2) | instskip(NEXT) | instid1(VALU_DEP_2)
	v_dual_mov_b32 v109, v103 :: v_dual_mov_b32 v103, v104
	v_pk_fma_f32 v[106:107], v[104:105], v[12:13], v[106:107] op_sel_hi:[1,1,0] neg_lo:[0,0,1] neg_hi:[0,0,1]
	v_mul_f32_e32 v104, v105, v92
	s_delay_alu instid0(VALU_DEP_3) | instskip(NEXT) | instid1(VALU_DEP_2)
	v_pk_add_f32 v[86:87], v[86:87], v[108:109] neg_lo:[0,1] neg_hi:[0,1]
	v_pk_fma_f32 v[102:103], v[102:103], v[12:13], v[104:105] op_sel_hi:[1,1,0]
	s_delay_alu instid0(VALU_DEP_1) | instskip(SKIP_4) | instid1(VALU_DEP_1)
	v_mov_b32_e32 v107, v103
	ds_load_2addr_b64 v[102:105], v96 offset0:35 offset1:36
	v_pk_add_f32 v[60:61], v[60:61], v[106:107] neg_lo:[0,1] neg_hi:[0,1]
	s_wait_dscnt 0x0
	v_pk_mul_f32 v[106:107], v[102:103], v[94:95] op_sel:[0,1]
	v_pk_fma_f32 v[108:109], v[102:103], v[92:93], v[106:107] op_sel:[0,0,1] op_sel_hi:[1,1,0] neg_lo:[0,0,1] neg_hi:[0,0,1]
	v_pk_fma_f32 v[102:103], v[102:103], v[92:93], v[106:107] op_sel:[0,0,1] op_sel_hi:[1,0,0]
	s_delay_alu instid0(VALU_DEP_1) | instskip(SKIP_1) | instid1(VALU_DEP_1)
	v_mov_b32_e32 v109, v103
	v_pk_mul_f32 v[102:103], v[104:105], v[94:95] op_sel:[0,1]
	v_pk_fma_f32 v[106:107], v[104:105], v[92:93], v[102:103] op_sel:[0,0,1] op_sel_hi:[1,1,0] neg_lo:[0,0,1] neg_hi:[0,0,1]
	v_pk_fma_f32 v[102:103], v[104:105], v[92:93], v[102:103] op_sel:[0,0,1] op_sel_hi:[1,0,0]
	s_delay_alu instid0(VALU_DEP_1)
	v_mov_b32_e32 v107, v103
	ds_load_2addr_b64 v[102:105], v96 offset0:37 offset1:38
	v_pk_add_f32 v[58:59], v[58:59], v[108:109] neg_lo:[0,1] neg_hi:[0,1]
	v_pk_add_f32 v[82:83], v[82:83], v[106:107] neg_lo:[0,1] neg_hi:[0,1]
	s_wait_dscnt 0x0
	v_pk_mul_f32 v[106:107], v[102:103], v[94:95] op_sel:[0,1]
	s_delay_alu instid0(VALU_DEP_1) | instskip(SKIP_1) | instid1(VALU_DEP_1)
	v_pk_fma_f32 v[108:109], v[102:103], v[92:93], v[106:107] op_sel:[0,0,1] op_sel_hi:[1,1,0] neg_lo:[0,0,1] neg_hi:[0,0,1]
	v_pk_fma_f32 v[102:103], v[102:103], v[92:93], v[106:107] op_sel:[0,0,1] op_sel_hi:[1,0,0]
	v_mov_b32_e32 v109, v103
	v_pk_mul_f32 v[102:103], v[104:105], v[94:95] op_sel:[0,1]
	s_delay_alu instid0(VALU_DEP_1) | instskip(SKIP_1) | instid1(VALU_DEP_1)
	v_pk_fma_f32 v[106:107], v[104:105], v[92:93], v[102:103] op_sel:[0,0,1] op_sel_hi:[1,1,0] neg_lo:[0,0,1] neg_hi:[0,0,1]
	v_pk_fma_f32 v[102:103], v[104:105], v[92:93], v[102:103] op_sel:[0,0,1] op_sel_hi:[1,0,0]
	v_mov_b32_e32 v107, v103
	ds_load_2addr_b64 v[102:105], v96 offset0:39 offset1:40
	v_pk_add_f32 v[80:81], v[80:81], v[108:109] neg_lo:[0,1] neg_hi:[0,1]
	v_pk_add_f32 v[64:65], v[64:65], v[106:107] neg_lo:[0,1] neg_hi:[0,1]
	s_wait_dscnt 0x0
	v_dual_mul_f32 v106, v103, v95 :: v_dual_mul_f32 v108, v103, v92
	s_delay_alu instid0(VALU_DEP_1) | instskip(NEXT) | instid1(VALU_DEP_2)
	v_pk_fma_f32 v[106:107], v[102:103], v[12:13], v[106:107] op_sel_hi:[1,1,0] neg_lo:[0,0,1] neg_hi:[0,0,1]
	v_pk_fma_f32 v[102:103], v[102:103], v[12:13], v[108:109] op_sel:[1,0,0] op_sel_hi:[0,1,0]
	s_delay_alu instid0(VALU_DEP_1) | instskip(SKIP_1) | instid1(VALU_DEP_2)
	v_mov_b32_e32 v107, v103
	v_pk_mul_f32 v[102:103], v[104:105], v[94:95] op_sel:[0,1]
	v_pk_add_f32 v[62:63], v[62:63], v[106:107] neg_lo:[0,1] neg_hi:[0,1]
	s_delay_alu instid0(VALU_DEP_2) | instskip(SKIP_1) | instid1(VALU_DEP_1)
	v_pk_fma_f32 v[106:107], v[104:105], v[92:93], v[102:103] op_sel:[0,0,1] op_sel_hi:[1,1,0] neg_lo:[0,0,1] neg_hi:[0,0,1]
	v_pk_fma_f32 v[102:103], v[104:105], v[92:93], v[102:103] op_sel:[0,0,1] op_sel_hi:[1,0,0]
	v_mov_b32_e32 v107, v103
	ds_load_2addr_b64 v[102:105], v96 offset0:41 offset1:42
	v_pk_add_f32 v[72:73], v[72:73], v[106:107] neg_lo:[0,1] neg_hi:[0,1]
	s_wait_dscnt 0x0
	v_pk_mul_f32 v[106:107], v[102:103], v[94:95] op_sel:[0,1]
	v_pk_mul_f32 v[94:95], v[104:105], v[94:95] op_sel:[0,1]
	s_delay_alu instid0(VALU_DEP_2) | instskip(SKIP_1) | instid1(VALU_DEP_1)
	v_pk_fma_f32 v[108:109], v[102:103], v[92:93], v[106:107] op_sel:[0,0,1] op_sel_hi:[1,1,0] neg_lo:[0,0,1] neg_hi:[0,0,1]
	v_pk_fma_f32 v[102:103], v[102:103], v[92:93], v[106:107] op_sel:[0,0,1] op_sel_hi:[1,0,0]
	v_mov_b32_e32 v109, v103
	s_delay_alu instid0(VALU_DEP_4) | instskip(SKIP_1) | instid1(VALU_DEP_3)
	v_pk_fma_f32 v[102:103], v[104:105], v[92:93], v[94:95] op_sel:[0,0,1] op_sel_hi:[1,1,0] neg_lo:[0,0,1] neg_hi:[0,0,1]
	v_pk_fma_f32 v[92:93], v[104:105], v[92:93], v[94:95] op_sel:[0,0,1] op_sel_hi:[1,0,0]
	v_pk_add_f32 v[70:71], v[70:71], v[108:109] neg_lo:[0,1] neg_hi:[0,1]
	s_delay_alu instid0(VALU_DEP_2) | instskip(NEXT) | instid1(VALU_DEP_1)
	v_mov_b32_e32 v103, v93
	v_pk_add_f32 v[90:91], v[90:91], v[102:103] neg_lo:[0,1] neg_hi:[0,1]
.LBB84_230:
	s_or_b32 exec_lo, exec_lo, s0
	v_lshl_add_u32 v92, v100, 3, v96
	s_barrier_signal -1
	s_barrier_wait -1
	ds_store_b64 v92, v[10:11]
	s_wait_dscnt 0x0
	s_barrier_signal -1
	s_barrier_wait -1
	ds_load_b64 v[94:95], v96 offset:88
	v_mov_b32_e32 v92, 11
	s_cmp_lt_i32 s14, 13
	s_cbranch_scc1 .LBB84_233
; %bb.231:
	v_add3_u32 v93, v97, 0, 0x60
	v_mov_b32_e32 v92, 11
	s_mov_b32 s0, 12
.LBB84_232:                             ; =>This Inner Loop Header: Depth=1
	ds_load_b64 v[102:103], v93
	s_wait_dscnt 0x1
	v_cmp_gt_f32_e32 vcc_lo, 0, v94
	v_cndmask_b32_e64 v104, v94, -v94, vcc_lo
	v_cmp_gt_f32_e32 vcc_lo, 0, v95
	v_cndmask_b32_e64 v106, v95, -v95, vcc_lo
	s_wait_dscnt 0x0
	v_cmp_gt_f32_e32 vcc_lo, 0, v102
	v_cndmask_b32_e64 v105, v102, -v102, vcc_lo
	v_cmp_gt_f32_e32 vcc_lo, 0, v103
	v_cndmask_b32_e64 v107, v103, -v103, vcc_lo
	s_delay_alu instid0(VALU_DEP_1) | instskip(NEXT) | instid1(VALU_DEP_1)
	v_pk_add_f32 v[104:105], v[104:105], v[106:107]
	v_cmp_lt_f32_e32 vcc_lo, v104, v105
	v_dual_add_nc_u32 v93, 8, v93 :: v_dual_cndmask_b32 v95, v95, v103, vcc_lo
	v_cndmask_b32_e32 v94, v94, v102, vcc_lo
	v_cndmask_b32_e64 v92, v92, s0, vcc_lo
	s_add_co_i32 s0, s0, 1
	s_delay_alu instid0(SALU_CYCLE_1)
	s_cmp_lg_u32 s14, s0
	s_cbranch_scc1 .LBB84_232
.LBB84_233:
	s_wait_dscnt 0x0
	v_cmp_eq_f32_e32 vcc_lo, 0, v94
	v_cmp_eq_f32_e64 s0, 0, v95
	s_and_b32 s0, vcc_lo, s0
	s_delay_alu instid0(SALU_CYCLE_1) | instskip(NEXT) | instid1(SALU_CYCLE_1)
	s_and_saveexec_b32 s1, s0
	s_xor_b32 s0, exec_lo, s1
; %bb.234:
	v_cmp_ne_u32_e32 vcc_lo, 0, v98
	v_cndmask_b32_e32 v98, 12, v98, vcc_lo
; %bb.235:
	s_and_not1_saveexec_b32 s0, s0
	s_cbranch_execz .LBB84_241
; %bb.236:
	v_cmp_ngt_f32_e64 s1, |v94|, |v95|
	s_and_saveexec_b32 s15, s1
	s_delay_alu instid0(SALU_CYCLE_1)
	s_xor_b32 s1, exec_lo, s15
	s_cbranch_execz .LBB84_238
; %bb.237:
	v_div_scale_f32 v93, null, v95, v95, v94
	v_div_scale_f32 v103, vcc_lo, v94, v95, v94
	s_delay_alu instid0(VALU_DEP_2) | instskip(SKIP_1) | instid1(TRANS32_DEP_1)
	v_rcp_f32_e32 v101, v93
	v_nop
	v_fma_f32 v102, -v93, v101, 1.0
	s_delay_alu instid0(VALU_DEP_1) | instskip(NEXT) | instid1(VALU_DEP_1)
	v_fmac_f32_e32 v101, v102, v101
	v_mul_f32_e32 v102, v103, v101
	s_delay_alu instid0(VALU_DEP_1) | instskip(NEXT) | instid1(VALU_DEP_1)
	v_fma_f32 v104, -v93, v102, v103
	v_fmac_f32_e32 v102, v104, v101
	s_delay_alu instid0(VALU_DEP_1) | instskip(NEXT) | instid1(VALU_DEP_1)
	v_fma_f32 v93, -v93, v102, v103
	v_div_fmas_f32 v93, v93, v101, v102
	s_delay_alu instid0(VALU_DEP_1) | instskip(NEXT) | instid1(VALU_DEP_1)
	v_div_fixup_f32 v93, v93, v95, v94
	v_fmac_f32_e32 v95, v94, v93
	s_delay_alu instid0(VALU_DEP_1) | instskip(SKIP_1) | instid1(VALU_DEP_2)
	v_div_scale_f32 v94, null, v95, v95, 1.0
	v_div_scale_f32 v103, vcc_lo, 1.0, v95, 1.0
	v_rcp_f32_e32 v101, v94
	v_nop
	s_delay_alu instid0(TRANS32_DEP_1) | instskip(NEXT) | instid1(VALU_DEP_1)
	v_fma_f32 v102, -v94, v101, 1.0
	v_fmac_f32_e32 v101, v102, v101
	s_delay_alu instid0(VALU_DEP_1) | instskip(NEXT) | instid1(VALU_DEP_1)
	v_mul_f32_e32 v102, v103, v101
	v_fma_f32 v104, -v94, v102, v103
	s_delay_alu instid0(VALU_DEP_1) | instskip(NEXT) | instid1(VALU_DEP_1)
	v_fmac_f32_e32 v102, v104, v101
	v_fma_f32 v94, -v94, v102, v103
	s_delay_alu instid0(VALU_DEP_1) | instskip(NEXT) | instid1(VALU_DEP_1)
	v_div_fmas_f32 v94, v94, v101, v102
	v_div_fixup_f32 v95, v94, v95, 1.0
	s_delay_alu instid0(VALU_DEP_1)
	v_mul_f32_e32 v94, v93, v95
	v_xor_b32_e32 v95, 0x80000000, v95
.LBB84_238:
	s_and_not1_saveexec_b32 s1, s1
	s_cbranch_execz .LBB84_240
; %bb.239:
	s_delay_alu instid0(VALU_DEP_1) | instskip(SKIP_1) | instid1(VALU_DEP_2)
	v_div_scale_f32 v93, null, v94, v94, v95
	v_div_scale_f32 v103, vcc_lo, v95, v94, v95
	v_rcp_f32_e32 v101, v93
	v_nop
	s_delay_alu instid0(TRANS32_DEP_1) | instskip(NEXT) | instid1(VALU_DEP_1)
	v_fma_f32 v102, -v93, v101, 1.0
	v_fmac_f32_e32 v101, v102, v101
	s_delay_alu instid0(VALU_DEP_1) | instskip(NEXT) | instid1(VALU_DEP_1)
	v_mul_f32_e32 v102, v103, v101
	v_fma_f32 v104, -v93, v102, v103
	s_delay_alu instid0(VALU_DEP_1) | instskip(NEXT) | instid1(VALU_DEP_1)
	v_fmac_f32_e32 v102, v104, v101
	v_fma_f32 v93, -v93, v102, v103
	s_delay_alu instid0(VALU_DEP_1) | instskip(NEXT) | instid1(VALU_DEP_1)
	v_div_fmas_f32 v93, v93, v101, v102
	v_div_fixup_f32 v93, v93, v94, v95
	s_delay_alu instid0(VALU_DEP_1) | instskip(NEXT) | instid1(VALU_DEP_1)
	v_fmac_f32_e32 v94, v95, v93
	v_div_scale_f32 v95, null, v94, v94, 1.0
	s_delay_alu instid0(VALU_DEP_1) | instskip(SKIP_1) | instid1(TRANS32_DEP_1)
	v_rcp_f32_e32 v101, v95
	v_nop
	v_fma_f32 v102, -v95, v101, 1.0
	s_delay_alu instid0(VALU_DEP_1) | instskip(SKIP_1) | instid1(VALU_DEP_1)
	v_fmac_f32_e32 v101, v102, v101
	v_div_scale_f32 v102, vcc_lo, 1.0, v94, 1.0
	v_mul_f32_e32 v103, v102, v101
	s_delay_alu instid0(VALU_DEP_1) | instskip(NEXT) | instid1(VALU_DEP_1)
	v_fma_f32 v104, -v95, v103, v102
	v_fmac_f32_e32 v103, v104, v101
	s_delay_alu instid0(VALU_DEP_1) | instskip(NEXT) | instid1(VALU_DEP_1)
	v_fma_f32 v95, -v95, v103, v102
	v_div_fmas_f32 v95, v95, v101, v103
	s_delay_alu instid0(VALU_DEP_1) | instskip(NEXT) | instid1(VALU_DEP_1)
	v_div_fixup_f32 v94, v95, v94, 1.0
	v_mul_f32_e64 v95, v93, -v94
.LBB84_240:
	s_or_b32 exec_lo, exec_lo, s1
.LBB84_241:
	s_delay_alu instid0(SALU_CYCLE_1) | instskip(NEXT) | instid1(SALU_CYCLE_1)
	s_or_b32 exec_lo, exec_lo, s0
	s_mov_b32 s0, exec_lo
	v_cmpx_ne_u32_e64 v100, v92
	s_xor_b32 s0, exec_lo, s0
	s_cbranch_execz .LBB84_247
; %bb.242:
	s_mov_b32 s1, exec_lo
	v_cmpx_eq_u32_e32 11, v100
	s_cbranch_execz .LBB84_246
; %bb.243:
	v_cmp_ne_u32_e32 vcc_lo, 11, v92
	s_xor_b32 s15, s12, -1
	s_delay_alu instid0(SALU_CYCLE_1) | instskip(NEXT) | instid1(SALU_CYCLE_1)
	s_and_b32 s16, s15, vcc_lo
	s_and_saveexec_b32 s15, s16
	s_cbranch_execz .LBB84_245
; %bb.244:
	v_ashrrev_i32_e32 v93, 31, v92
	s_delay_alu instid0(VALU_DEP_1)
	v_lshl_add_u64 v[100:101], v[92:93], 2, v[4:5]
	s_clause 0x1
	global_load_b32 v93, v[100:101], off
	global_load_b32 v99, v[4:5], off offset:44
	s_wait_loadcnt 0x1
	global_store_b32 v[4:5], v93, off offset:44
	s_wait_loadcnt 0x0
	global_store_b32 v[100:101], v99, off
.LBB84_245:
	s_wait_xcnt 0x0
	s_or_b32 exec_lo, exec_lo, s15
	v_dual_mov_b32 v100, v92 :: v_dual_mov_b32 v99, v92
.LBB84_246:
	s_or_b32 exec_lo, exec_lo, s1
.LBB84_247:
	s_and_not1_saveexec_b32 s0, s0
	s_cbranch_execz .LBB84_249
; %bb.248:
	v_dual_mov_b32 v92, v36 :: v_dual_mov_b32 v93, v37
	v_dual_mov_b32 v100, v34 :: v_dual_mov_b32 v101, v35
	ds_store_2addr_b64 v96, v[92:93], v[100:101] offset0:12 offset1:13
	v_dual_mov_b32 v92, v20 :: v_dual_mov_b32 v93, v21
	v_dual_mov_b32 v100, v18 :: v_dual_mov_b32 v101, v19
	ds_store_2addr_b64 v96, v[92:93], v[100:101] offset0:14 offset1:15
	;; [unrolled: 3-line block ×15, first 2 shown]
	ds_store_b64 v96, v[90:91] offset:336
	v_mov_b32_e32 v100, 11
.LBB84_249:
	s_or_b32 exec_lo, exec_lo, s0
	s_delay_alu instid0(SALU_CYCLE_1)
	s_mov_b32 s0, exec_lo
	s_wait_storecnt_dscnt 0x0
	s_barrier_signal -1
	s_barrier_wait -1
	v_cmpx_lt_i32_e32 11, v100
	s_cbranch_execz .LBB84_251
; %bb.250:
	v_pk_mul_f32 v[102:103], v[94:95], v[10:11] op_sel:[1,1] op_sel_hi:[0,1]
	s_delay_alu instid0(VALU_DEP_1)
	v_pk_fma_f32 v[92:93], v[94:95], v[10:11], v[102:103] op_sel_hi:[1,0,1] neg_lo:[0,0,1] neg_hi:[0,0,1]
	v_pk_fma_f32 v[94:95], v[94:95], v[10:11], v[102:103] op_sel_hi:[1,0,1]
	ds_load_2addr_b64 v[102:105], v96 offset0:12 offset1:13
	v_dual_mov_b32 v10, v92 :: v_dual_mov_b32 v11, v95
	s_wait_dscnt 0x0
	v_pk_mul_f32 v[106:107], v[102:103], v[94:95] op_sel:[0,1]
	s_delay_alu instid0(VALU_DEP_1) | instskip(SKIP_1) | instid1(VALU_DEP_1)
	v_pk_fma_f32 v[108:109], v[102:103], v[92:93], v[106:107] op_sel:[0,0,1] op_sel_hi:[1,1,0] neg_lo:[0,0,1] neg_hi:[0,0,1]
	v_pk_fma_f32 v[102:103], v[102:103], v[92:93], v[106:107] op_sel:[0,0,1] op_sel_hi:[1,0,0]
	v_mov_b32_e32 v109, v103
	v_pk_mul_f32 v[102:103], v[104:105], v[94:95] op_sel:[0,1]
	s_delay_alu instid0(VALU_DEP_1) | instskip(SKIP_1) | instid1(VALU_DEP_1)
	v_pk_fma_f32 v[106:107], v[104:105], v[92:93], v[102:103] op_sel:[0,0,1] op_sel_hi:[1,1,0] neg_lo:[0,0,1] neg_hi:[0,0,1]
	v_pk_fma_f32 v[102:103], v[104:105], v[92:93], v[102:103] op_sel:[0,0,1] op_sel_hi:[1,0,0]
	v_mov_b32_e32 v107, v103
	ds_load_2addr_b64 v[102:105], v96 offset0:14 offset1:15
	v_pk_add_f32 v[36:37], v[36:37], v[108:109] neg_lo:[0,1] neg_hi:[0,1]
	v_pk_add_f32 v[34:35], v[34:35], v[106:107] neg_lo:[0,1] neg_hi:[0,1]
	s_wait_dscnt 0x0
	v_pk_mul_f32 v[106:107], v[102:103], v[94:95] op_sel:[0,1]
	s_delay_alu instid0(VALU_DEP_1) | instskip(SKIP_2) | instid1(VALU_DEP_2)
	v_pk_fma_f32 v[108:109], v[102:103], v[92:93], v[106:107] op_sel:[0,0,1] op_sel_hi:[1,1,0] neg_lo:[0,0,1] neg_hi:[0,0,1]
	v_pk_fma_f32 v[102:103], v[102:103], v[92:93], v[106:107] op_sel:[0,0,1] op_sel_hi:[1,0,0]
	v_dual_mul_f32 v106, v105, v95 :: v_dual_mov_b32 v102, v105
	v_dual_mov_b32 v109, v103 :: v_dual_mov_b32 v103, v104
	s_delay_alu instid0(VALU_DEP_2) | instskip(SKIP_1) | instid1(VALU_DEP_3)
	v_pk_fma_f32 v[106:107], v[104:105], v[10:11], v[106:107] op_sel_hi:[1,1,0] neg_lo:[0,0,1] neg_hi:[0,0,1]
	v_mul_f32_e32 v104, v105, v92
	v_pk_add_f32 v[20:21], v[20:21], v[108:109] neg_lo:[0,1] neg_hi:[0,1]
	s_delay_alu instid0(VALU_DEP_2) | instskip(NEXT) | instid1(VALU_DEP_1)
	v_pk_fma_f32 v[102:103], v[102:103], v[10:11], v[104:105] op_sel_hi:[1,1,0]
	v_mov_b32_e32 v107, v103
	ds_load_2addr_b64 v[102:105], v96 offset0:16 offset1:17
	v_pk_add_f32 v[18:19], v[18:19], v[106:107] neg_lo:[0,1] neg_hi:[0,1]
	s_wait_dscnt 0x0
	v_pk_mul_f32 v[106:107], v[102:103], v[94:95] op_sel:[0,1]
	s_delay_alu instid0(VALU_DEP_1) | instskip(SKIP_1) | instid1(VALU_DEP_1)
	v_pk_fma_f32 v[108:109], v[102:103], v[92:93], v[106:107] op_sel:[0,0,1] op_sel_hi:[1,1,0] neg_lo:[0,0,1] neg_hi:[0,0,1]
	v_pk_fma_f32 v[102:103], v[102:103], v[92:93], v[106:107] op_sel:[0,0,1] op_sel_hi:[1,0,0]
	v_mov_b32_e32 v109, v103
	v_pk_mul_f32 v[102:103], v[104:105], v[94:95] op_sel:[0,1]
	s_delay_alu instid0(VALU_DEP_1) | instskip(SKIP_1) | instid1(VALU_DEP_1)
	v_pk_fma_f32 v[106:107], v[104:105], v[92:93], v[102:103] op_sel:[0,0,1] op_sel_hi:[1,1,0] neg_lo:[0,0,1] neg_hi:[0,0,1]
	v_pk_fma_f32 v[102:103], v[104:105], v[92:93], v[102:103] op_sel:[0,0,1] op_sel_hi:[1,0,0]
	v_mov_b32_e32 v107, v103
	ds_load_2addr_b64 v[102:105], v96 offset0:18 offset1:19
	v_pk_add_f32 v[46:47], v[46:47], v[108:109] neg_lo:[0,1] neg_hi:[0,1]
	v_pk_add_f32 v[44:45], v[44:45], v[106:107] neg_lo:[0,1] neg_hi:[0,1]
	s_wait_dscnt 0x0
	v_pk_mul_f32 v[106:107], v[102:103], v[94:95] op_sel:[0,1]
	s_delay_alu instid0(VALU_DEP_1) | instskip(SKIP_1) | instid1(VALU_DEP_1)
	v_pk_fma_f32 v[108:109], v[102:103], v[92:93], v[106:107] op_sel:[0,0,1] op_sel_hi:[1,1,0] neg_lo:[0,0,1] neg_hi:[0,0,1]
	v_pk_fma_f32 v[102:103], v[102:103], v[92:93], v[106:107] op_sel:[0,0,1] op_sel_hi:[1,0,0]
	v_mov_b32_e32 v109, v103
	v_pk_mul_f32 v[102:103], v[104:105], v[94:95] op_sel:[0,1]
	s_delay_alu instid0(VALU_DEP_1) | instskip(SKIP_1) | instid1(VALU_DEP_1)
	v_pk_fma_f32 v[106:107], v[104:105], v[92:93], v[102:103] op_sel:[0,0,1] op_sel_hi:[1,1,0] neg_lo:[0,0,1] neg_hi:[0,0,1]
	v_pk_fma_f32 v[102:103], v[104:105], v[92:93], v[102:103] op_sel:[0,0,1] op_sel_hi:[1,0,0]
	v_mov_b32_e32 v107, v103
	ds_load_2addr_b64 v[102:105], v96 offset0:20 offset1:21
	v_pk_add_f32 v[28:29], v[28:29], v[108:109] neg_lo:[0,1] neg_hi:[0,1]
	v_pk_add_f32 v[26:27], v[26:27], v[106:107] neg_lo:[0,1] neg_hi:[0,1]
	s_wait_dscnt 0x0
	v_dual_mul_f32 v106, v103, v95 :: v_dual_mul_f32 v108, v103, v92
	s_delay_alu instid0(VALU_DEP_1) | instskip(NEXT) | instid1(VALU_DEP_2)
	v_pk_fma_f32 v[106:107], v[102:103], v[10:11], v[106:107] op_sel_hi:[1,1,0] neg_lo:[0,0,1] neg_hi:[0,0,1]
	v_pk_fma_f32 v[102:103], v[102:103], v[10:11], v[108:109] op_sel:[1,0,0] op_sel_hi:[0,1,0]
	s_delay_alu instid0(VALU_DEP_1) | instskip(SKIP_1) | instid1(VALU_DEP_2)
	v_mov_b32_e32 v107, v103
	v_pk_mul_f32 v[102:103], v[104:105], v[94:95] op_sel:[0,1]
	v_pk_add_f32 v[54:55], v[54:55], v[106:107] neg_lo:[0,1] neg_hi:[0,1]
	s_delay_alu instid0(VALU_DEP_2) | instskip(SKIP_1) | instid1(VALU_DEP_1)
	v_pk_fma_f32 v[106:107], v[104:105], v[92:93], v[102:103] op_sel:[0,0,1] op_sel_hi:[1,1,0] neg_lo:[0,0,1] neg_hi:[0,0,1]
	v_pk_fma_f32 v[102:103], v[104:105], v[92:93], v[102:103] op_sel:[0,0,1] op_sel_hi:[1,0,0]
	v_mov_b32_e32 v107, v103
	ds_load_2addr_b64 v[102:105], v96 offset0:22 offset1:23
	v_pk_add_f32 v[52:53], v[52:53], v[106:107] neg_lo:[0,1] neg_hi:[0,1]
	s_wait_dscnt 0x0
	v_pk_mul_f32 v[106:107], v[102:103], v[94:95] op_sel:[0,1]
	s_delay_alu instid0(VALU_DEP_1) | instskip(SKIP_1) | instid1(VALU_DEP_1)
	v_pk_fma_f32 v[108:109], v[102:103], v[92:93], v[106:107] op_sel:[0,0,1] op_sel_hi:[1,1,0] neg_lo:[0,0,1] neg_hi:[0,0,1]
	v_pk_fma_f32 v[102:103], v[102:103], v[92:93], v[106:107] op_sel:[0,0,1] op_sel_hi:[1,0,0]
	v_mov_b32_e32 v109, v103
	v_pk_mul_f32 v[102:103], v[104:105], v[94:95] op_sel:[0,1]
	s_delay_alu instid0(VALU_DEP_2) | instskip(NEXT) | instid1(VALU_DEP_2)
	v_pk_add_f32 v[32:33], v[32:33], v[108:109] neg_lo:[0,1] neg_hi:[0,1]
	v_pk_fma_f32 v[106:107], v[104:105], v[92:93], v[102:103] op_sel:[0,0,1] op_sel_hi:[1,1,0] neg_lo:[0,0,1] neg_hi:[0,0,1]
	v_pk_fma_f32 v[102:103], v[104:105], v[92:93], v[102:103] op_sel:[0,0,1] op_sel_hi:[1,0,0]
	s_delay_alu instid0(VALU_DEP_1) | instskip(SKIP_4) | instid1(VALU_DEP_1)
	v_mov_b32_e32 v107, v103
	ds_load_2addr_b64 v[102:105], v96 offset0:24 offset1:25
	v_pk_add_f32 v[30:31], v[30:31], v[106:107] neg_lo:[0,1] neg_hi:[0,1]
	s_wait_dscnt 0x0
	v_pk_mul_f32 v[106:107], v[102:103], v[94:95] op_sel:[0,1]
	v_pk_fma_f32 v[108:109], v[102:103], v[92:93], v[106:107] op_sel:[0,0,1] op_sel_hi:[1,1,0] neg_lo:[0,0,1] neg_hi:[0,0,1]
	v_pk_fma_f32 v[102:103], v[102:103], v[92:93], v[106:107] op_sel:[0,0,1] op_sel_hi:[1,0,0]
	v_dual_mul_f32 v106, v105, v95 :: v_dual_mov_b32 v102, v105
	s_delay_alu instid0(VALU_DEP_2) | instskip(NEXT) | instid1(VALU_DEP_2)
	v_dual_mov_b32 v109, v103 :: v_dual_mov_b32 v103, v104
	v_pk_fma_f32 v[106:107], v[104:105], v[10:11], v[106:107] op_sel_hi:[1,1,0] neg_lo:[0,0,1] neg_hi:[0,0,1]
	v_mul_f32_e32 v104, v105, v92
	s_delay_alu instid0(VALU_DEP_3) | instskip(NEXT) | instid1(VALU_DEP_2)
	v_pk_add_f32 v[68:69], v[68:69], v[108:109] neg_lo:[0,1] neg_hi:[0,1]
	v_pk_fma_f32 v[102:103], v[102:103], v[10:11], v[104:105] op_sel_hi:[1,1,0]
	s_delay_alu instid0(VALU_DEP_1) | instskip(SKIP_4) | instid1(VALU_DEP_1)
	v_mov_b32_e32 v107, v103
	ds_load_2addr_b64 v[102:105], v96 offset0:26 offset1:27
	v_pk_add_f32 v[66:67], v[66:67], v[106:107] neg_lo:[0,1] neg_hi:[0,1]
	s_wait_dscnt 0x0
	v_pk_mul_f32 v[106:107], v[102:103], v[94:95] op_sel:[0,1]
	v_pk_fma_f32 v[108:109], v[102:103], v[92:93], v[106:107] op_sel:[0,0,1] op_sel_hi:[1,1,0] neg_lo:[0,0,1] neg_hi:[0,0,1]
	v_pk_fma_f32 v[102:103], v[102:103], v[92:93], v[106:107] op_sel:[0,0,1] op_sel_hi:[1,0,0]
	s_delay_alu instid0(VALU_DEP_1) | instskip(SKIP_1) | instid1(VALU_DEP_1)
	v_mov_b32_e32 v109, v103
	v_pk_mul_f32 v[102:103], v[104:105], v[94:95] op_sel:[0,1]
	v_pk_fma_f32 v[106:107], v[104:105], v[92:93], v[102:103] op_sel:[0,0,1] op_sel_hi:[1,1,0] neg_lo:[0,0,1] neg_hi:[0,0,1]
	v_pk_fma_f32 v[102:103], v[104:105], v[92:93], v[102:103] op_sel:[0,0,1] op_sel_hi:[1,0,0]
	s_delay_alu instid0(VALU_DEP_1)
	v_mov_b32_e32 v107, v103
	ds_load_2addr_b64 v[102:105], v96 offset0:28 offset1:29
	v_pk_add_f32 v[40:41], v[40:41], v[108:109] neg_lo:[0,1] neg_hi:[0,1]
	v_pk_add_f32 v[38:39], v[38:39], v[106:107] neg_lo:[0,1] neg_hi:[0,1]
	s_wait_dscnt 0x0
	v_pk_mul_f32 v[106:107], v[102:103], v[94:95] op_sel:[0,1]
	s_delay_alu instid0(VALU_DEP_1) | instskip(SKIP_1) | instid1(VALU_DEP_1)
	v_pk_fma_f32 v[108:109], v[102:103], v[92:93], v[106:107] op_sel:[0,0,1] op_sel_hi:[1,1,0] neg_lo:[0,0,1] neg_hi:[0,0,1]
	v_pk_fma_f32 v[102:103], v[102:103], v[92:93], v[106:107] op_sel:[0,0,1] op_sel_hi:[1,0,0]
	v_mov_b32_e32 v109, v103
	v_pk_mul_f32 v[102:103], v[104:105], v[94:95] op_sel:[0,1]
	s_delay_alu instid0(VALU_DEP_1) | instskip(SKIP_1) | instid1(VALU_DEP_1)
	v_pk_fma_f32 v[106:107], v[104:105], v[92:93], v[102:103] op_sel:[0,0,1] op_sel_hi:[1,1,0] neg_lo:[0,0,1] neg_hi:[0,0,1]
	v_pk_fma_f32 v[102:103], v[104:105], v[92:93], v[102:103] op_sel:[0,0,1] op_sel_hi:[1,0,0]
	v_mov_b32_e32 v107, v103
	ds_load_2addr_b64 v[102:105], v96 offset0:30 offset1:31
	v_pk_add_f32 v[76:77], v[76:77], v[108:109] neg_lo:[0,1] neg_hi:[0,1]
	v_pk_add_f32 v[74:75], v[74:75], v[106:107] neg_lo:[0,1] neg_hi:[0,1]
	s_wait_dscnt 0x0
	v_dual_mul_f32 v106, v103, v95 :: v_dual_mul_f32 v108, v103, v92
	s_delay_alu instid0(VALU_DEP_1) | instskip(NEXT) | instid1(VALU_DEP_2)
	v_pk_fma_f32 v[106:107], v[102:103], v[10:11], v[106:107] op_sel_hi:[1,1,0] neg_lo:[0,0,1] neg_hi:[0,0,1]
	v_pk_fma_f32 v[102:103], v[102:103], v[10:11], v[108:109] op_sel:[1,0,0] op_sel_hi:[0,1,0]
	s_delay_alu instid0(VALU_DEP_1) | instskip(SKIP_1) | instid1(VALU_DEP_2)
	v_mov_b32_e32 v107, v103
	v_pk_mul_f32 v[102:103], v[104:105], v[94:95] op_sel:[0,1]
	v_pk_add_f32 v[50:51], v[50:51], v[106:107] neg_lo:[0,1] neg_hi:[0,1]
	s_delay_alu instid0(VALU_DEP_2) | instskip(SKIP_1) | instid1(VALU_DEP_1)
	v_pk_fma_f32 v[106:107], v[104:105], v[92:93], v[102:103] op_sel:[0,0,1] op_sel_hi:[1,1,0] neg_lo:[0,0,1] neg_hi:[0,0,1]
	v_pk_fma_f32 v[102:103], v[104:105], v[92:93], v[102:103] op_sel:[0,0,1] op_sel_hi:[1,0,0]
	v_mov_b32_e32 v107, v103
	ds_load_2addr_b64 v[102:105], v96 offset0:32 offset1:33
	v_pk_add_f32 v[48:49], v[48:49], v[106:107] neg_lo:[0,1] neg_hi:[0,1]
	s_wait_dscnt 0x0
	v_pk_mul_f32 v[106:107], v[102:103], v[94:95] op_sel:[0,1]
	s_delay_alu instid0(VALU_DEP_1) | instskip(SKIP_1) | instid1(VALU_DEP_1)
	v_pk_fma_f32 v[108:109], v[102:103], v[92:93], v[106:107] op_sel:[0,0,1] op_sel_hi:[1,1,0] neg_lo:[0,0,1] neg_hi:[0,0,1]
	v_pk_fma_f32 v[102:103], v[102:103], v[92:93], v[106:107] op_sel:[0,0,1] op_sel_hi:[1,0,0]
	v_mov_b32_e32 v109, v103
	v_pk_mul_f32 v[102:103], v[104:105], v[94:95] op_sel:[0,1]
	s_delay_alu instid0(VALU_DEP_2) | instskip(NEXT) | instid1(VALU_DEP_2)
	v_pk_add_f32 v[88:89], v[88:89], v[108:109] neg_lo:[0,1] neg_hi:[0,1]
	v_pk_fma_f32 v[106:107], v[104:105], v[92:93], v[102:103] op_sel:[0,0,1] op_sel_hi:[1,1,0] neg_lo:[0,0,1] neg_hi:[0,0,1]
	v_pk_fma_f32 v[102:103], v[104:105], v[92:93], v[102:103] op_sel:[0,0,1] op_sel_hi:[1,0,0]
	s_delay_alu instid0(VALU_DEP_1) | instskip(SKIP_4) | instid1(VALU_DEP_1)
	v_mov_b32_e32 v107, v103
	ds_load_2addr_b64 v[102:105], v96 offset0:34 offset1:35
	v_pk_add_f32 v[86:87], v[86:87], v[106:107] neg_lo:[0,1] neg_hi:[0,1]
	s_wait_dscnt 0x0
	v_pk_mul_f32 v[106:107], v[102:103], v[94:95] op_sel:[0,1]
	v_pk_fma_f32 v[108:109], v[102:103], v[92:93], v[106:107] op_sel:[0,0,1] op_sel_hi:[1,1,0] neg_lo:[0,0,1] neg_hi:[0,0,1]
	v_pk_fma_f32 v[102:103], v[102:103], v[92:93], v[106:107] op_sel:[0,0,1] op_sel_hi:[1,0,0]
	v_dual_mul_f32 v106, v105, v95 :: v_dual_mov_b32 v102, v105
	s_delay_alu instid0(VALU_DEP_2) | instskip(NEXT) | instid1(VALU_DEP_2)
	v_dual_mov_b32 v109, v103 :: v_dual_mov_b32 v103, v104
	v_pk_fma_f32 v[106:107], v[104:105], v[10:11], v[106:107] op_sel_hi:[1,1,0] neg_lo:[0,0,1] neg_hi:[0,0,1]
	v_mul_f32_e32 v104, v105, v92
	s_delay_alu instid0(VALU_DEP_3) | instskip(NEXT) | instid1(VALU_DEP_2)
	v_pk_add_f32 v[60:61], v[60:61], v[108:109] neg_lo:[0,1] neg_hi:[0,1]
	v_pk_fma_f32 v[102:103], v[102:103], v[10:11], v[104:105] op_sel_hi:[1,1,0]
	s_delay_alu instid0(VALU_DEP_1) | instskip(SKIP_4) | instid1(VALU_DEP_1)
	v_mov_b32_e32 v107, v103
	ds_load_2addr_b64 v[102:105], v96 offset0:36 offset1:37
	v_pk_add_f32 v[58:59], v[58:59], v[106:107] neg_lo:[0,1] neg_hi:[0,1]
	s_wait_dscnt 0x0
	v_pk_mul_f32 v[106:107], v[102:103], v[94:95] op_sel:[0,1]
	v_pk_fma_f32 v[108:109], v[102:103], v[92:93], v[106:107] op_sel:[0,0,1] op_sel_hi:[1,1,0] neg_lo:[0,0,1] neg_hi:[0,0,1]
	v_pk_fma_f32 v[102:103], v[102:103], v[92:93], v[106:107] op_sel:[0,0,1] op_sel_hi:[1,0,0]
	s_delay_alu instid0(VALU_DEP_1) | instskip(SKIP_1) | instid1(VALU_DEP_1)
	v_mov_b32_e32 v109, v103
	v_pk_mul_f32 v[102:103], v[104:105], v[94:95] op_sel:[0,1]
	v_pk_fma_f32 v[106:107], v[104:105], v[92:93], v[102:103] op_sel:[0,0,1] op_sel_hi:[1,1,0] neg_lo:[0,0,1] neg_hi:[0,0,1]
	v_pk_fma_f32 v[102:103], v[104:105], v[92:93], v[102:103] op_sel:[0,0,1] op_sel_hi:[1,0,0]
	s_delay_alu instid0(VALU_DEP_1)
	v_mov_b32_e32 v107, v103
	ds_load_2addr_b64 v[102:105], v96 offset0:38 offset1:39
	v_pk_add_f32 v[82:83], v[82:83], v[108:109] neg_lo:[0,1] neg_hi:[0,1]
	v_pk_add_f32 v[80:81], v[80:81], v[106:107] neg_lo:[0,1] neg_hi:[0,1]
	s_wait_dscnt 0x0
	v_pk_mul_f32 v[106:107], v[102:103], v[94:95] op_sel:[0,1]
	s_delay_alu instid0(VALU_DEP_1) | instskip(SKIP_1) | instid1(VALU_DEP_1)
	v_pk_fma_f32 v[108:109], v[102:103], v[92:93], v[106:107] op_sel:[0,0,1] op_sel_hi:[1,1,0] neg_lo:[0,0,1] neg_hi:[0,0,1]
	v_pk_fma_f32 v[102:103], v[102:103], v[92:93], v[106:107] op_sel:[0,0,1] op_sel_hi:[1,0,0]
	v_mov_b32_e32 v109, v103
	v_pk_mul_f32 v[102:103], v[104:105], v[94:95] op_sel:[0,1]
	s_delay_alu instid0(VALU_DEP_1) | instskip(SKIP_1) | instid1(VALU_DEP_1)
	v_pk_fma_f32 v[106:107], v[104:105], v[92:93], v[102:103] op_sel:[0,0,1] op_sel_hi:[1,1,0] neg_lo:[0,0,1] neg_hi:[0,0,1]
	v_pk_fma_f32 v[102:103], v[104:105], v[92:93], v[102:103] op_sel:[0,0,1] op_sel_hi:[1,0,0]
	v_mov_b32_e32 v107, v103
	ds_load_2addr_b64 v[102:105], v96 offset0:40 offset1:41
	v_pk_add_f32 v[64:65], v[64:65], v[108:109] neg_lo:[0,1] neg_hi:[0,1]
	v_pk_add_f32 v[62:63], v[62:63], v[106:107] neg_lo:[0,1] neg_hi:[0,1]
	s_wait_dscnt 0x0
	v_dual_mul_f32 v106, v103, v95 :: v_dual_mul_f32 v108, v103, v92
	s_delay_alu instid0(VALU_DEP_1) | instskip(NEXT) | instid1(VALU_DEP_2)
	v_pk_fma_f32 v[106:107], v[102:103], v[10:11], v[106:107] op_sel_hi:[1,1,0] neg_lo:[0,0,1] neg_hi:[0,0,1]
	v_pk_fma_f32 v[102:103], v[102:103], v[10:11], v[108:109] op_sel:[1,0,0] op_sel_hi:[0,1,0]
	s_delay_alu instid0(VALU_DEP_1) | instskip(SKIP_1) | instid1(VALU_DEP_2)
	v_mov_b32_e32 v107, v103
	v_pk_mul_f32 v[102:103], v[104:105], v[94:95] op_sel:[0,1]
	v_pk_add_f32 v[72:73], v[72:73], v[106:107] neg_lo:[0,1] neg_hi:[0,1]
	s_delay_alu instid0(VALU_DEP_2) | instskip(SKIP_1) | instid1(VALU_DEP_1)
	v_pk_fma_f32 v[106:107], v[104:105], v[92:93], v[102:103] op_sel:[0,0,1] op_sel_hi:[1,1,0] neg_lo:[0,0,1] neg_hi:[0,0,1]
	v_pk_fma_f32 v[102:103], v[104:105], v[92:93], v[102:103] op_sel:[0,0,1] op_sel_hi:[1,0,0]
	v_mov_b32_e32 v107, v103
	ds_load_b64 v[102:103], v96 offset:336
	v_pk_add_f32 v[70:71], v[70:71], v[106:107] neg_lo:[0,1] neg_hi:[0,1]
	s_wait_dscnt 0x0
	v_pk_mul_f32 v[94:95], v[102:103], v[94:95] op_sel:[0,1]
	s_delay_alu instid0(VALU_DEP_1) | instskip(SKIP_1) | instid1(VALU_DEP_1)
	v_pk_fma_f32 v[104:105], v[102:103], v[92:93], v[94:95] op_sel:[0,0,1] op_sel_hi:[1,1,0] neg_lo:[0,0,1] neg_hi:[0,0,1]
	v_pk_fma_f32 v[92:93], v[102:103], v[92:93], v[94:95] op_sel:[0,0,1] op_sel_hi:[1,0,0]
	v_mov_b32_e32 v105, v93
	s_delay_alu instid0(VALU_DEP_1)
	v_pk_add_f32 v[90:91], v[90:91], v[104:105] neg_lo:[0,1] neg_hi:[0,1]
.LBB84_251:
	s_or_b32 exec_lo, exec_lo, s0
	v_lshl_add_u32 v92, v100, 3, v96
	s_barrier_signal -1
	s_barrier_wait -1
	ds_store_b64 v92, v[36:37]
	s_wait_dscnt 0x0
	s_barrier_signal -1
	s_barrier_wait -1
	ds_load_b64 v[94:95], v96 offset:96
	v_mov_b32_e32 v92, 12
	s_cmp_lt_i32 s14, 14
	s_cbranch_scc1 .LBB84_254
; %bb.252:
	v_add3_u32 v93, v97, 0, 0x68
	v_mov_b32_e32 v92, 12
	s_mov_b32 s0, 13
.LBB84_253:                             ; =>This Inner Loop Header: Depth=1
	ds_load_b64 v[102:103], v93
	s_wait_dscnt 0x1
	v_cmp_gt_f32_e32 vcc_lo, 0, v94
	v_cndmask_b32_e64 v104, v94, -v94, vcc_lo
	v_cmp_gt_f32_e32 vcc_lo, 0, v95
	v_cndmask_b32_e64 v106, v95, -v95, vcc_lo
	s_wait_dscnt 0x0
	v_cmp_gt_f32_e32 vcc_lo, 0, v102
	v_cndmask_b32_e64 v105, v102, -v102, vcc_lo
	v_cmp_gt_f32_e32 vcc_lo, 0, v103
	v_cndmask_b32_e64 v107, v103, -v103, vcc_lo
	s_delay_alu instid0(VALU_DEP_1) | instskip(NEXT) | instid1(VALU_DEP_1)
	v_pk_add_f32 v[104:105], v[104:105], v[106:107]
	v_cmp_lt_f32_e32 vcc_lo, v104, v105
	v_dual_add_nc_u32 v93, 8, v93 :: v_dual_cndmask_b32 v95, v95, v103, vcc_lo
	v_cndmask_b32_e32 v94, v94, v102, vcc_lo
	v_cndmask_b32_e64 v92, v92, s0, vcc_lo
	s_add_co_i32 s0, s0, 1
	s_delay_alu instid0(SALU_CYCLE_1)
	s_cmp_lg_u32 s14, s0
	s_cbranch_scc1 .LBB84_253
.LBB84_254:
	s_wait_dscnt 0x0
	v_cmp_eq_f32_e32 vcc_lo, 0, v94
	v_cmp_eq_f32_e64 s0, 0, v95
	s_and_b32 s0, vcc_lo, s0
	s_delay_alu instid0(SALU_CYCLE_1) | instskip(NEXT) | instid1(SALU_CYCLE_1)
	s_and_saveexec_b32 s1, s0
	s_xor_b32 s0, exec_lo, s1
; %bb.255:
	v_cmp_ne_u32_e32 vcc_lo, 0, v98
	v_cndmask_b32_e32 v98, 13, v98, vcc_lo
; %bb.256:
	s_and_not1_saveexec_b32 s0, s0
	s_cbranch_execz .LBB84_262
; %bb.257:
	v_cmp_ngt_f32_e64 s1, |v94|, |v95|
	s_and_saveexec_b32 s15, s1
	s_delay_alu instid0(SALU_CYCLE_1)
	s_xor_b32 s1, exec_lo, s15
	s_cbranch_execz .LBB84_259
; %bb.258:
	v_div_scale_f32 v93, null, v95, v95, v94
	v_div_scale_f32 v103, vcc_lo, v94, v95, v94
	s_delay_alu instid0(VALU_DEP_2) | instskip(SKIP_1) | instid1(TRANS32_DEP_1)
	v_rcp_f32_e32 v101, v93
	v_nop
	v_fma_f32 v102, -v93, v101, 1.0
	s_delay_alu instid0(VALU_DEP_1) | instskip(NEXT) | instid1(VALU_DEP_1)
	v_fmac_f32_e32 v101, v102, v101
	v_mul_f32_e32 v102, v103, v101
	s_delay_alu instid0(VALU_DEP_1) | instskip(NEXT) | instid1(VALU_DEP_1)
	v_fma_f32 v104, -v93, v102, v103
	v_fmac_f32_e32 v102, v104, v101
	s_delay_alu instid0(VALU_DEP_1) | instskip(NEXT) | instid1(VALU_DEP_1)
	v_fma_f32 v93, -v93, v102, v103
	v_div_fmas_f32 v93, v93, v101, v102
	s_delay_alu instid0(VALU_DEP_1) | instskip(NEXT) | instid1(VALU_DEP_1)
	v_div_fixup_f32 v93, v93, v95, v94
	v_fmac_f32_e32 v95, v94, v93
	s_delay_alu instid0(VALU_DEP_1) | instskip(SKIP_1) | instid1(VALU_DEP_2)
	v_div_scale_f32 v94, null, v95, v95, 1.0
	v_div_scale_f32 v103, vcc_lo, 1.0, v95, 1.0
	v_rcp_f32_e32 v101, v94
	v_nop
	s_delay_alu instid0(TRANS32_DEP_1) | instskip(NEXT) | instid1(VALU_DEP_1)
	v_fma_f32 v102, -v94, v101, 1.0
	v_fmac_f32_e32 v101, v102, v101
	s_delay_alu instid0(VALU_DEP_1) | instskip(NEXT) | instid1(VALU_DEP_1)
	v_mul_f32_e32 v102, v103, v101
	v_fma_f32 v104, -v94, v102, v103
	s_delay_alu instid0(VALU_DEP_1) | instskip(NEXT) | instid1(VALU_DEP_1)
	v_fmac_f32_e32 v102, v104, v101
	v_fma_f32 v94, -v94, v102, v103
	s_delay_alu instid0(VALU_DEP_1) | instskip(NEXT) | instid1(VALU_DEP_1)
	v_div_fmas_f32 v94, v94, v101, v102
	v_div_fixup_f32 v95, v94, v95, 1.0
	s_delay_alu instid0(VALU_DEP_1)
	v_mul_f32_e32 v94, v93, v95
	v_xor_b32_e32 v95, 0x80000000, v95
.LBB84_259:
	s_and_not1_saveexec_b32 s1, s1
	s_cbranch_execz .LBB84_261
; %bb.260:
	s_delay_alu instid0(VALU_DEP_1) | instskip(SKIP_1) | instid1(VALU_DEP_2)
	v_div_scale_f32 v93, null, v94, v94, v95
	v_div_scale_f32 v103, vcc_lo, v95, v94, v95
	v_rcp_f32_e32 v101, v93
	v_nop
	s_delay_alu instid0(TRANS32_DEP_1) | instskip(NEXT) | instid1(VALU_DEP_1)
	v_fma_f32 v102, -v93, v101, 1.0
	v_fmac_f32_e32 v101, v102, v101
	s_delay_alu instid0(VALU_DEP_1) | instskip(NEXT) | instid1(VALU_DEP_1)
	v_mul_f32_e32 v102, v103, v101
	v_fma_f32 v104, -v93, v102, v103
	s_delay_alu instid0(VALU_DEP_1) | instskip(NEXT) | instid1(VALU_DEP_1)
	v_fmac_f32_e32 v102, v104, v101
	v_fma_f32 v93, -v93, v102, v103
	s_delay_alu instid0(VALU_DEP_1) | instskip(NEXT) | instid1(VALU_DEP_1)
	v_div_fmas_f32 v93, v93, v101, v102
	v_div_fixup_f32 v93, v93, v94, v95
	s_delay_alu instid0(VALU_DEP_1) | instskip(NEXT) | instid1(VALU_DEP_1)
	v_fmac_f32_e32 v94, v95, v93
	v_div_scale_f32 v95, null, v94, v94, 1.0
	s_delay_alu instid0(VALU_DEP_1) | instskip(SKIP_1) | instid1(TRANS32_DEP_1)
	v_rcp_f32_e32 v101, v95
	v_nop
	v_fma_f32 v102, -v95, v101, 1.0
	s_delay_alu instid0(VALU_DEP_1) | instskip(SKIP_1) | instid1(VALU_DEP_1)
	v_fmac_f32_e32 v101, v102, v101
	v_div_scale_f32 v102, vcc_lo, 1.0, v94, 1.0
	v_mul_f32_e32 v103, v102, v101
	s_delay_alu instid0(VALU_DEP_1) | instskip(NEXT) | instid1(VALU_DEP_1)
	v_fma_f32 v104, -v95, v103, v102
	v_fmac_f32_e32 v103, v104, v101
	s_delay_alu instid0(VALU_DEP_1) | instskip(NEXT) | instid1(VALU_DEP_1)
	v_fma_f32 v95, -v95, v103, v102
	v_div_fmas_f32 v95, v95, v101, v103
	s_delay_alu instid0(VALU_DEP_1) | instskip(NEXT) | instid1(VALU_DEP_1)
	v_div_fixup_f32 v94, v95, v94, 1.0
	v_mul_f32_e64 v95, v93, -v94
.LBB84_261:
	s_or_b32 exec_lo, exec_lo, s1
.LBB84_262:
	s_delay_alu instid0(SALU_CYCLE_1) | instskip(NEXT) | instid1(SALU_CYCLE_1)
	s_or_b32 exec_lo, exec_lo, s0
	s_mov_b32 s0, exec_lo
	v_cmpx_ne_u32_e64 v100, v92
	s_xor_b32 s0, exec_lo, s0
	s_cbranch_execz .LBB84_268
; %bb.263:
	s_mov_b32 s1, exec_lo
	v_cmpx_eq_u32_e32 12, v100
	s_cbranch_execz .LBB84_267
; %bb.264:
	v_cmp_ne_u32_e32 vcc_lo, 12, v92
	s_xor_b32 s15, s12, -1
	s_delay_alu instid0(SALU_CYCLE_1) | instskip(NEXT) | instid1(SALU_CYCLE_1)
	s_and_b32 s16, s15, vcc_lo
	s_and_saveexec_b32 s15, s16
	s_cbranch_execz .LBB84_266
; %bb.265:
	v_ashrrev_i32_e32 v93, 31, v92
	s_delay_alu instid0(VALU_DEP_1)
	v_lshl_add_u64 v[100:101], v[92:93], 2, v[4:5]
	s_clause 0x1
	global_load_b32 v93, v[100:101], off
	global_load_b32 v99, v[4:5], off offset:48
	s_wait_loadcnt 0x1
	global_store_b32 v[4:5], v93, off offset:48
	s_wait_loadcnt 0x0
	global_store_b32 v[100:101], v99, off
.LBB84_266:
	s_wait_xcnt 0x0
	s_or_b32 exec_lo, exec_lo, s15
	v_dual_mov_b32 v100, v92 :: v_dual_mov_b32 v99, v92
.LBB84_267:
	s_or_b32 exec_lo, exec_lo, s1
.LBB84_268:
	s_and_not1_saveexec_b32 s0, s0
	s_cbranch_execz .LBB84_270
; %bb.269:
	v_mov_b32_e32 v100, 12
	ds_store_2addr_b64 v96, v[34:35], v[20:21] offset0:13 offset1:14
	ds_store_2addr_b64 v96, v[18:19], v[46:47] offset0:15 offset1:16
	ds_store_2addr_b64 v96, v[44:45], v[28:29] offset0:17 offset1:18
	ds_store_2addr_b64 v96, v[26:27], v[54:55] offset0:19 offset1:20
	ds_store_2addr_b64 v96, v[52:53], v[32:33] offset0:21 offset1:22
	ds_store_2addr_b64 v96, v[30:31], v[68:69] offset0:23 offset1:24
	ds_store_2addr_b64 v96, v[66:67], v[40:41] offset0:25 offset1:26
	ds_store_2addr_b64 v96, v[38:39], v[76:77] offset0:27 offset1:28
	ds_store_2addr_b64 v96, v[74:75], v[50:51] offset0:29 offset1:30
	ds_store_2addr_b64 v96, v[48:49], v[88:89] offset0:31 offset1:32
	ds_store_2addr_b64 v96, v[86:87], v[60:61] offset0:33 offset1:34
	ds_store_2addr_b64 v96, v[58:59], v[82:83] offset0:35 offset1:36
	ds_store_2addr_b64 v96, v[80:81], v[64:65] offset0:37 offset1:38
	ds_store_2addr_b64 v96, v[62:63], v[72:73] offset0:39 offset1:40
	ds_store_2addr_b64 v96, v[70:71], v[90:91] offset0:41 offset1:42
.LBB84_270:
	s_or_b32 exec_lo, exec_lo, s0
	s_delay_alu instid0(SALU_CYCLE_1)
	s_mov_b32 s0, exec_lo
	s_wait_storecnt_dscnt 0x0
	s_barrier_signal -1
	s_barrier_wait -1
	v_cmpx_lt_i32_e32 12, v100
	s_cbranch_execz .LBB84_272
; %bb.271:
	v_pk_mul_f32 v[102:103], v[94:95], v[36:37] op_sel:[1,1] op_sel_hi:[0,1]
	s_delay_alu instid0(VALU_DEP_1)
	v_pk_fma_f32 v[92:93], v[94:95], v[36:37], v[102:103] op_sel_hi:[1,0,1] neg_lo:[0,0,1] neg_hi:[0,0,1]
	v_pk_fma_f32 v[94:95], v[94:95], v[36:37], v[102:103] op_sel_hi:[1,0,1]
	ds_load_2addr_b64 v[102:105], v96 offset0:13 offset1:14
	v_dual_mov_b32 v36, v92 :: v_dual_mov_b32 v37, v95
	s_wait_dscnt 0x0
	v_pk_mul_f32 v[106:107], v[102:103], v[94:95] op_sel:[0,1]
	s_delay_alu instid0(VALU_DEP_1) | instskip(SKIP_1) | instid1(VALU_DEP_1)
	v_pk_fma_f32 v[108:109], v[102:103], v[92:93], v[106:107] op_sel:[0,0,1] op_sel_hi:[1,1,0] neg_lo:[0,0,1] neg_hi:[0,0,1]
	v_pk_fma_f32 v[102:103], v[102:103], v[92:93], v[106:107] op_sel:[0,0,1] op_sel_hi:[1,0,0]
	v_mov_b32_e32 v109, v103
	v_pk_mul_f32 v[102:103], v[104:105], v[94:95] op_sel:[0,1]
	s_delay_alu instid0(VALU_DEP_1) | instskip(SKIP_1) | instid1(VALU_DEP_1)
	v_pk_fma_f32 v[106:107], v[104:105], v[92:93], v[102:103] op_sel:[0,0,1] op_sel_hi:[1,1,0] neg_lo:[0,0,1] neg_hi:[0,0,1]
	v_pk_fma_f32 v[102:103], v[104:105], v[92:93], v[102:103] op_sel:[0,0,1] op_sel_hi:[1,0,0]
	v_mov_b32_e32 v107, v103
	ds_load_2addr_b64 v[102:105], v96 offset0:15 offset1:16
	v_pk_add_f32 v[34:35], v[34:35], v[108:109] neg_lo:[0,1] neg_hi:[0,1]
	v_pk_add_f32 v[20:21], v[20:21], v[106:107] neg_lo:[0,1] neg_hi:[0,1]
	s_wait_dscnt 0x0
	v_pk_mul_f32 v[106:107], v[102:103], v[94:95] op_sel:[0,1]
	s_delay_alu instid0(VALU_DEP_1) | instskip(SKIP_2) | instid1(VALU_DEP_2)
	v_pk_fma_f32 v[108:109], v[102:103], v[92:93], v[106:107] op_sel:[0,0,1] op_sel_hi:[1,1,0] neg_lo:[0,0,1] neg_hi:[0,0,1]
	v_pk_fma_f32 v[102:103], v[102:103], v[92:93], v[106:107] op_sel:[0,0,1] op_sel_hi:[1,0,0]
	v_dual_mul_f32 v106, v105, v95 :: v_dual_mov_b32 v102, v105
	v_dual_mov_b32 v109, v103 :: v_dual_mov_b32 v103, v104
	s_delay_alu instid0(VALU_DEP_2) | instskip(SKIP_1) | instid1(VALU_DEP_3)
	v_pk_fma_f32 v[106:107], v[104:105], v[36:37], v[106:107] op_sel_hi:[1,1,0] neg_lo:[0,0,1] neg_hi:[0,0,1]
	v_mul_f32_e32 v104, v105, v92
	v_pk_add_f32 v[18:19], v[18:19], v[108:109] neg_lo:[0,1] neg_hi:[0,1]
	s_delay_alu instid0(VALU_DEP_2) | instskip(NEXT) | instid1(VALU_DEP_1)
	v_pk_fma_f32 v[102:103], v[102:103], v[36:37], v[104:105] op_sel_hi:[1,1,0]
	v_mov_b32_e32 v107, v103
	ds_load_2addr_b64 v[102:105], v96 offset0:17 offset1:18
	v_pk_add_f32 v[46:47], v[46:47], v[106:107] neg_lo:[0,1] neg_hi:[0,1]
	s_wait_dscnt 0x0
	v_pk_mul_f32 v[106:107], v[102:103], v[94:95] op_sel:[0,1]
	s_delay_alu instid0(VALU_DEP_1) | instskip(SKIP_1) | instid1(VALU_DEP_1)
	v_pk_fma_f32 v[108:109], v[102:103], v[92:93], v[106:107] op_sel:[0,0,1] op_sel_hi:[1,1,0] neg_lo:[0,0,1] neg_hi:[0,0,1]
	v_pk_fma_f32 v[102:103], v[102:103], v[92:93], v[106:107] op_sel:[0,0,1] op_sel_hi:[1,0,0]
	v_mov_b32_e32 v109, v103
	v_pk_mul_f32 v[102:103], v[104:105], v[94:95] op_sel:[0,1]
	s_delay_alu instid0(VALU_DEP_1) | instskip(SKIP_1) | instid1(VALU_DEP_1)
	v_pk_fma_f32 v[106:107], v[104:105], v[92:93], v[102:103] op_sel:[0,0,1] op_sel_hi:[1,1,0] neg_lo:[0,0,1] neg_hi:[0,0,1]
	v_pk_fma_f32 v[102:103], v[104:105], v[92:93], v[102:103] op_sel:[0,0,1] op_sel_hi:[1,0,0]
	v_mov_b32_e32 v107, v103
	ds_load_2addr_b64 v[102:105], v96 offset0:19 offset1:20
	v_pk_add_f32 v[44:45], v[44:45], v[108:109] neg_lo:[0,1] neg_hi:[0,1]
	v_pk_add_f32 v[28:29], v[28:29], v[106:107] neg_lo:[0,1] neg_hi:[0,1]
	s_wait_dscnt 0x0
	v_pk_mul_f32 v[106:107], v[102:103], v[94:95] op_sel:[0,1]
	s_delay_alu instid0(VALU_DEP_1) | instskip(SKIP_1) | instid1(VALU_DEP_1)
	v_pk_fma_f32 v[108:109], v[102:103], v[92:93], v[106:107] op_sel:[0,0,1] op_sel_hi:[1,1,0] neg_lo:[0,0,1] neg_hi:[0,0,1]
	v_pk_fma_f32 v[102:103], v[102:103], v[92:93], v[106:107] op_sel:[0,0,1] op_sel_hi:[1,0,0]
	v_mov_b32_e32 v109, v103
	v_pk_mul_f32 v[102:103], v[104:105], v[94:95] op_sel:[0,1]
	s_delay_alu instid0(VALU_DEP_1) | instskip(SKIP_1) | instid1(VALU_DEP_1)
	v_pk_fma_f32 v[106:107], v[104:105], v[92:93], v[102:103] op_sel:[0,0,1] op_sel_hi:[1,1,0] neg_lo:[0,0,1] neg_hi:[0,0,1]
	v_pk_fma_f32 v[102:103], v[104:105], v[92:93], v[102:103] op_sel:[0,0,1] op_sel_hi:[1,0,0]
	v_mov_b32_e32 v107, v103
	ds_load_2addr_b64 v[102:105], v96 offset0:21 offset1:22
	v_pk_add_f32 v[26:27], v[26:27], v[108:109] neg_lo:[0,1] neg_hi:[0,1]
	v_pk_add_f32 v[54:55], v[54:55], v[106:107] neg_lo:[0,1] neg_hi:[0,1]
	s_wait_dscnt 0x0
	v_dual_mul_f32 v106, v103, v95 :: v_dual_mul_f32 v108, v103, v92
	s_delay_alu instid0(VALU_DEP_1) | instskip(NEXT) | instid1(VALU_DEP_2)
	v_pk_fma_f32 v[106:107], v[102:103], v[36:37], v[106:107] op_sel_hi:[1,1,0] neg_lo:[0,0,1] neg_hi:[0,0,1]
	v_pk_fma_f32 v[102:103], v[102:103], v[36:37], v[108:109] op_sel:[1,0,0] op_sel_hi:[0,1,0]
	s_delay_alu instid0(VALU_DEP_1) | instskip(SKIP_1) | instid1(VALU_DEP_2)
	v_mov_b32_e32 v107, v103
	v_pk_mul_f32 v[102:103], v[104:105], v[94:95] op_sel:[0,1]
	v_pk_add_f32 v[52:53], v[52:53], v[106:107] neg_lo:[0,1] neg_hi:[0,1]
	s_delay_alu instid0(VALU_DEP_2) | instskip(SKIP_1) | instid1(VALU_DEP_1)
	v_pk_fma_f32 v[106:107], v[104:105], v[92:93], v[102:103] op_sel:[0,0,1] op_sel_hi:[1,1,0] neg_lo:[0,0,1] neg_hi:[0,0,1]
	v_pk_fma_f32 v[102:103], v[104:105], v[92:93], v[102:103] op_sel:[0,0,1] op_sel_hi:[1,0,0]
	v_mov_b32_e32 v107, v103
	ds_load_2addr_b64 v[102:105], v96 offset0:23 offset1:24
	v_pk_add_f32 v[32:33], v[32:33], v[106:107] neg_lo:[0,1] neg_hi:[0,1]
	s_wait_dscnt 0x0
	v_pk_mul_f32 v[106:107], v[102:103], v[94:95] op_sel:[0,1]
	s_delay_alu instid0(VALU_DEP_1) | instskip(SKIP_1) | instid1(VALU_DEP_1)
	v_pk_fma_f32 v[108:109], v[102:103], v[92:93], v[106:107] op_sel:[0,0,1] op_sel_hi:[1,1,0] neg_lo:[0,0,1] neg_hi:[0,0,1]
	v_pk_fma_f32 v[102:103], v[102:103], v[92:93], v[106:107] op_sel:[0,0,1] op_sel_hi:[1,0,0]
	v_mov_b32_e32 v109, v103
	v_pk_mul_f32 v[102:103], v[104:105], v[94:95] op_sel:[0,1]
	s_delay_alu instid0(VALU_DEP_2) | instskip(NEXT) | instid1(VALU_DEP_2)
	v_pk_add_f32 v[30:31], v[30:31], v[108:109] neg_lo:[0,1] neg_hi:[0,1]
	v_pk_fma_f32 v[106:107], v[104:105], v[92:93], v[102:103] op_sel:[0,0,1] op_sel_hi:[1,1,0] neg_lo:[0,0,1] neg_hi:[0,0,1]
	v_pk_fma_f32 v[102:103], v[104:105], v[92:93], v[102:103] op_sel:[0,0,1] op_sel_hi:[1,0,0]
	s_delay_alu instid0(VALU_DEP_1) | instskip(SKIP_4) | instid1(VALU_DEP_1)
	v_mov_b32_e32 v107, v103
	ds_load_2addr_b64 v[102:105], v96 offset0:25 offset1:26
	v_pk_add_f32 v[68:69], v[68:69], v[106:107] neg_lo:[0,1] neg_hi:[0,1]
	s_wait_dscnt 0x0
	v_pk_mul_f32 v[106:107], v[102:103], v[94:95] op_sel:[0,1]
	v_pk_fma_f32 v[108:109], v[102:103], v[92:93], v[106:107] op_sel:[0,0,1] op_sel_hi:[1,1,0] neg_lo:[0,0,1] neg_hi:[0,0,1]
	v_pk_fma_f32 v[102:103], v[102:103], v[92:93], v[106:107] op_sel:[0,0,1] op_sel_hi:[1,0,0]
	v_dual_mul_f32 v106, v105, v95 :: v_dual_mov_b32 v102, v105
	s_delay_alu instid0(VALU_DEP_2) | instskip(NEXT) | instid1(VALU_DEP_2)
	v_dual_mov_b32 v109, v103 :: v_dual_mov_b32 v103, v104
	v_pk_fma_f32 v[106:107], v[104:105], v[36:37], v[106:107] op_sel_hi:[1,1,0] neg_lo:[0,0,1] neg_hi:[0,0,1]
	v_mul_f32_e32 v104, v105, v92
	s_delay_alu instid0(VALU_DEP_3) | instskip(NEXT) | instid1(VALU_DEP_2)
	v_pk_add_f32 v[66:67], v[66:67], v[108:109] neg_lo:[0,1] neg_hi:[0,1]
	v_pk_fma_f32 v[102:103], v[102:103], v[36:37], v[104:105] op_sel_hi:[1,1,0]
	s_delay_alu instid0(VALU_DEP_1) | instskip(SKIP_4) | instid1(VALU_DEP_1)
	v_mov_b32_e32 v107, v103
	ds_load_2addr_b64 v[102:105], v96 offset0:27 offset1:28
	v_pk_add_f32 v[40:41], v[40:41], v[106:107] neg_lo:[0,1] neg_hi:[0,1]
	s_wait_dscnt 0x0
	v_pk_mul_f32 v[106:107], v[102:103], v[94:95] op_sel:[0,1]
	v_pk_fma_f32 v[108:109], v[102:103], v[92:93], v[106:107] op_sel:[0,0,1] op_sel_hi:[1,1,0] neg_lo:[0,0,1] neg_hi:[0,0,1]
	v_pk_fma_f32 v[102:103], v[102:103], v[92:93], v[106:107] op_sel:[0,0,1] op_sel_hi:[1,0,0]
	s_delay_alu instid0(VALU_DEP_1) | instskip(SKIP_1) | instid1(VALU_DEP_1)
	v_mov_b32_e32 v109, v103
	v_pk_mul_f32 v[102:103], v[104:105], v[94:95] op_sel:[0,1]
	v_pk_fma_f32 v[106:107], v[104:105], v[92:93], v[102:103] op_sel:[0,0,1] op_sel_hi:[1,1,0] neg_lo:[0,0,1] neg_hi:[0,0,1]
	v_pk_fma_f32 v[102:103], v[104:105], v[92:93], v[102:103] op_sel:[0,0,1] op_sel_hi:[1,0,0]
	s_delay_alu instid0(VALU_DEP_1)
	v_mov_b32_e32 v107, v103
	ds_load_2addr_b64 v[102:105], v96 offset0:29 offset1:30
	v_pk_add_f32 v[38:39], v[38:39], v[108:109] neg_lo:[0,1] neg_hi:[0,1]
	v_pk_add_f32 v[76:77], v[76:77], v[106:107] neg_lo:[0,1] neg_hi:[0,1]
	s_wait_dscnt 0x0
	v_pk_mul_f32 v[106:107], v[102:103], v[94:95] op_sel:[0,1]
	s_delay_alu instid0(VALU_DEP_1) | instskip(SKIP_1) | instid1(VALU_DEP_1)
	v_pk_fma_f32 v[108:109], v[102:103], v[92:93], v[106:107] op_sel:[0,0,1] op_sel_hi:[1,1,0] neg_lo:[0,0,1] neg_hi:[0,0,1]
	v_pk_fma_f32 v[102:103], v[102:103], v[92:93], v[106:107] op_sel:[0,0,1] op_sel_hi:[1,0,0]
	v_mov_b32_e32 v109, v103
	v_pk_mul_f32 v[102:103], v[104:105], v[94:95] op_sel:[0,1]
	s_delay_alu instid0(VALU_DEP_1) | instskip(SKIP_1) | instid1(VALU_DEP_1)
	v_pk_fma_f32 v[106:107], v[104:105], v[92:93], v[102:103] op_sel:[0,0,1] op_sel_hi:[1,1,0] neg_lo:[0,0,1] neg_hi:[0,0,1]
	v_pk_fma_f32 v[102:103], v[104:105], v[92:93], v[102:103] op_sel:[0,0,1] op_sel_hi:[1,0,0]
	v_mov_b32_e32 v107, v103
	ds_load_2addr_b64 v[102:105], v96 offset0:31 offset1:32
	v_pk_add_f32 v[74:75], v[74:75], v[108:109] neg_lo:[0,1] neg_hi:[0,1]
	v_pk_add_f32 v[50:51], v[50:51], v[106:107] neg_lo:[0,1] neg_hi:[0,1]
	s_wait_dscnt 0x0
	v_dual_mul_f32 v106, v103, v95 :: v_dual_mul_f32 v108, v103, v92
	s_delay_alu instid0(VALU_DEP_1) | instskip(NEXT) | instid1(VALU_DEP_2)
	v_pk_fma_f32 v[106:107], v[102:103], v[36:37], v[106:107] op_sel_hi:[1,1,0] neg_lo:[0,0,1] neg_hi:[0,0,1]
	v_pk_fma_f32 v[102:103], v[102:103], v[36:37], v[108:109] op_sel:[1,0,0] op_sel_hi:[0,1,0]
	s_delay_alu instid0(VALU_DEP_1) | instskip(SKIP_1) | instid1(VALU_DEP_2)
	v_mov_b32_e32 v107, v103
	v_pk_mul_f32 v[102:103], v[104:105], v[94:95] op_sel:[0,1]
	v_pk_add_f32 v[48:49], v[48:49], v[106:107] neg_lo:[0,1] neg_hi:[0,1]
	s_delay_alu instid0(VALU_DEP_2) | instskip(SKIP_1) | instid1(VALU_DEP_1)
	v_pk_fma_f32 v[106:107], v[104:105], v[92:93], v[102:103] op_sel:[0,0,1] op_sel_hi:[1,1,0] neg_lo:[0,0,1] neg_hi:[0,0,1]
	v_pk_fma_f32 v[102:103], v[104:105], v[92:93], v[102:103] op_sel:[0,0,1] op_sel_hi:[1,0,0]
	v_mov_b32_e32 v107, v103
	ds_load_2addr_b64 v[102:105], v96 offset0:33 offset1:34
	v_pk_add_f32 v[88:89], v[88:89], v[106:107] neg_lo:[0,1] neg_hi:[0,1]
	s_wait_dscnt 0x0
	v_pk_mul_f32 v[106:107], v[102:103], v[94:95] op_sel:[0,1]
	s_delay_alu instid0(VALU_DEP_1) | instskip(SKIP_1) | instid1(VALU_DEP_1)
	v_pk_fma_f32 v[108:109], v[102:103], v[92:93], v[106:107] op_sel:[0,0,1] op_sel_hi:[1,1,0] neg_lo:[0,0,1] neg_hi:[0,0,1]
	v_pk_fma_f32 v[102:103], v[102:103], v[92:93], v[106:107] op_sel:[0,0,1] op_sel_hi:[1,0,0]
	v_mov_b32_e32 v109, v103
	v_pk_mul_f32 v[102:103], v[104:105], v[94:95] op_sel:[0,1]
	s_delay_alu instid0(VALU_DEP_2) | instskip(NEXT) | instid1(VALU_DEP_2)
	v_pk_add_f32 v[86:87], v[86:87], v[108:109] neg_lo:[0,1] neg_hi:[0,1]
	v_pk_fma_f32 v[106:107], v[104:105], v[92:93], v[102:103] op_sel:[0,0,1] op_sel_hi:[1,1,0] neg_lo:[0,0,1] neg_hi:[0,0,1]
	v_pk_fma_f32 v[102:103], v[104:105], v[92:93], v[102:103] op_sel:[0,0,1] op_sel_hi:[1,0,0]
	s_delay_alu instid0(VALU_DEP_1) | instskip(SKIP_4) | instid1(VALU_DEP_1)
	v_mov_b32_e32 v107, v103
	ds_load_2addr_b64 v[102:105], v96 offset0:35 offset1:36
	v_pk_add_f32 v[60:61], v[60:61], v[106:107] neg_lo:[0,1] neg_hi:[0,1]
	s_wait_dscnt 0x0
	v_pk_mul_f32 v[106:107], v[102:103], v[94:95] op_sel:[0,1]
	v_pk_fma_f32 v[108:109], v[102:103], v[92:93], v[106:107] op_sel:[0,0,1] op_sel_hi:[1,1,0] neg_lo:[0,0,1] neg_hi:[0,0,1]
	v_pk_fma_f32 v[102:103], v[102:103], v[92:93], v[106:107] op_sel:[0,0,1] op_sel_hi:[1,0,0]
	v_dual_mul_f32 v106, v105, v95 :: v_dual_mov_b32 v102, v105
	s_delay_alu instid0(VALU_DEP_2) | instskip(NEXT) | instid1(VALU_DEP_2)
	v_dual_mov_b32 v109, v103 :: v_dual_mov_b32 v103, v104
	v_pk_fma_f32 v[106:107], v[104:105], v[36:37], v[106:107] op_sel_hi:[1,1,0] neg_lo:[0,0,1] neg_hi:[0,0,1]
	v_mul_f32_e32 v104, v105, v92
	s_delay_alu instid0(VALU_DEP_3) | instskip(NEXT) | instid1(VALU_DEP_2)
	v_pk_add_f32 v[58:59], v[58:59], v[108:109] neg_lo:[0,1] neg_hi:[0,1]
	v_pk_fma_f32 v[102:103], v[102:103], v[36:37], v[104:105] op_sel_hi:[1,1,0]
	s_delay_alu instid0(VALU_DEP_1) | instskip(SKIP_4) | instid1(VALU_DEP_1)
	v_mov_b32_e32 v107, v103
	ds_load_2addr_b64 v[102:105], v96 offset0:37 offset1:38
	v_pk_add_f32 v[82:83], v[82:83], v[106:107] neg_lo:[0,1] neg_hi:[0,1]
	s_wait_dscnt 0x0
	v_pk_mul_f32 v[106:107], v[102:103], v[94:95] op_sel:[0,1]
	v_pk_fma_f32 v[108:109], v[102:103], v[92:93], v[106:107] op_sel:[0,0,1] op_sel_hi:[1,1,0] neg_lo:[0,0,1] neg_hi:[0,0,1]
	v_pk_fma_f32 v[102:103], v[102:103], v[92:93], v[106:107] op_sel:[0,0,1] op_sel_hi:[1,0,0]
	s_delay_alu instid0(VALU_DEP_1) | instskip(SKIP_1) | instid1(VALU_DEP_1)
	v_mov_b32_e32 v109, v103
	v_pk_mul_f32 v[102:103], v[104:105], v[94:95] op_sel:[0,1]
	v_pk_fma_f32 v[106:107], v[104:105], v[92:93], v[102:103] op_sel:[0,0,1] op_sel_hi:[1,1,0] neg_lo:[0,0,1] neg_hi:[0,0,1]
	v_pk_fma_f32 v[102:103], v[104:105], v[92:93], v[102:103] op_sel:[0,0,1] op_sel_hi:[1,0,0]
	s_delay_alu instid0(VALU_DEP_1)
	v_mov_b32_e32 v107, v103
	ds_load_2addr_b64 v[102:105], v96 offset0:39 offset1:40
	v_pk_add_f32 v[80:81], v[80:81], v[108:109] neg_lo:[0,1] neg_hi:[0,1]
	v_pk_add_f32 v[64:65], v[64:65], v[106:107] neg_lo:[0,1] neg_hi:[0,1]
	s_wait_dscnt 0x0
	v_pk_mul_f32 v[106:107], v[102:103], v[94:95] op_sel:[0,1]
	s_delay_alu instid0(VALU_DEP_1) | instskip(SKIP_1) | instid1(VALU_DEP_1)
	v_pk_fma_f32 v[108:109], v[102:103], v[92:93], v[106:107] op_sel:[0,0,1] op_sel_hi:[1,1,0] neg_lo:[0,0,1] neg_hi:[0,0,1]
	v_pk_fma_f32 v[102:103], v[102:103], v[92:93], v[106:107] op_sel:[0,0,1] op_sel_hi:[1,0,0]
	v_mov_b32_e32 v109, v103
	v_pk_mul_f32 v[102:103], v[104:105], v[94:95] op_sel:[0,1]
	s_delay_alu instid0(VALU_DEP_1) | instskip(SKIP_1) | instid1(VALU_DEP_1)
	v_pk_fma_f32 v[106:107], v[104:105], v[92:93], v[102:103] op_sel:[0,0,1] op_sel_hi:[1,1,0] neg_lo:[0,0,1] neg_hi:[0,0,1]
	v_pk_fma_f32 v[102:103], v[104:105], v[92:93], v[102:103] op_sel:[0,0,1] op_sel_hi:[1,0,0]
	v_mov_b32_e32 v107, v103
	ds_load_2addr_b64 v[102:105], v96 offset0:41 offset1:42
	v_pk_add_f32 v[62:63], v[62:63], v[108:109] neg_lo:[0,1] neg_hi:[0,1]
	v_pk_add_f32 v[72:73], v[72:73], v[106:107] neg_lo:[0,1] neg_hi:[0,1]
	s_wait_dscnt 0x0
	v_mul_f32_e32 v94, v103, v95
	s_delay_alu instid0(VALU_DEP_1) | instskip(SKIP_1) | instid1(VALU_DEP_1)
	v_pk_fma_f32 v[106:107], v[102:103], v[36:37], v[94:95] op_sel_hi:[1,1,0] neg_lo:[0,0,1] neg_hi:[0,0,1]
	v_dual_mul_f32 v94, v103, v92 :: v_dual_mul_f32 v92, v105, v92
	v_pk_fma_f32 v[102:103], v[102:103], v[36:37], v[94:95] op_sel:[1,0,0] op_sel_hi:[0,1,0]
	v_dual_mov_b32 v102, v105 :: v_dual_mul_f32 v94, v105, v95
	s_delay_alu instid0(VALU_DEP_2) | instskip(NEXT) | instid1(VALU_DEP_2)
	v_dual_mov_b32 v107, v103 :: v_dual_mov_b32 v103, v104
	v_pk_fma_f32 v[94:95], v[104:105], v[36:37], v[94:95] op_sel_hi:[1,1,0] neg_lo:[0,0,1] neg_hi:[0,0,1]
	s_delay_alu instid0(VALU_DEP_2) | instskip(NEXT) | instid1(VALU_DEP_3)
	v_pk_add_f32 v[70:71], v[70:71], v[106:107] neg_lo:[0,1] neg_hi:[0,1]
	v_pk_fma_f32 v[92:93], v[102:103], v[36:37], v[92:93] op_sel_hi:[1,1,0]
	s_delay_alu instid0(VALU_DEP_1) | instskip(NEXT) | instid1(VALU_DEP_1)
	v_mov_b32_e32 v95, v93
	v_pk_add_f32 v[90:91], v[90:91], v[94:95] neg_lo:[0,1] neg_hi:[0,1]
.LBB84_272:
	s_or_b32 exec_lo, exec_lo, s0
	v_lshl_add_u32 v92, v100, 3, v96
	s_barrier_signal -1
	s_barrier_wait -1
	ds_store_b64 v92, v[34:35]
	s_wait_dscnt 0x0
	s_barrier_signal -1
	s_barrier_wait -1
	ds_load_b64 v[94:95], v96 offset:104
	v_mov_b32_e32 v92, 13
	s_cmp_lt_i32 s14, 15
	s_cbranch_scc1 .LBB84_275
; %bb.273:
	v_add3_u32 v93, v97, 0, 0x70
	v_mov_b32_e32 v92, 13
	s_mov_b32 s0, 14
.LBB84_274:                             ; =>This Inner Loop Header: Depth=1
	ds_load_b64 v[102:103], v93
	s_wait_dscnt 0x1
	v_cmp_gt_f32_e32 vcc_lo, 0, v94
	v_cndmask_b32_e64 v104, v94, -v94, vcc_lo
	v_cmp_gt_f32_e32 vcc_lo, 0, v95
	v_cndmask_b32_e64 v106, v95, -v95, vcc_lo
	s_wait_dscnt 0x0
	v_cmp_gt_f32_e32 vcc_lo, 0, v102
	v_cndmask_b32_e64 v105, v102, -v102, vcc_lo
	v_cmp_gt_f32_e32 vcc_lo, 0, v103
	v_cndmask_b32_e64 v107, v103, -v103, vcc_lo
	s_delay_alu instid0(VALU_DEP_1) | instskip(NEXT) | instid1(VALU_DEP_1)
	v_pk_add_f32 v[104:105], v[104:105], v[106:107]
	v_cmp_lt_f32_e32 vcc_lo, v104, v105
	v_dual_add_nc_u32 v93, 8, v93 :: v_dual_cndmask_b32 v95, v95, v103, vcc_lo
	v_cndmask_b32_e32 v94, v94, v102, vcc_lo
	v_cndmask_b32_e64 v92, v92, s0, vcc_lo
	s_add_co_i32 s0, s0, 1
	s_delay_alu instid0(SALU_CYCLE_1)
	s_cmp_lg_u32 s14, s0
	s_cbranch_scc1 .LBB84_274
.LBB84_275:
	s_wait_dscnt 0x0
	v_cmp_eq_f32_e32 vcc_lo, 0, v94
	v_cmp_eq_f32_e64 s0, 0, v95
	s_and_b32 s0, vcc_lo, s0
	s_delay_alu instid0(SALU_CYCLE_1) | instskip(NEXT) | instid1(SALU_CYCLE_1)
	s_and_saveexec_b32 s1, s0
	s_xor_b32 s0, exec_lo, s1
; %bb.276:
	v_cmp_ne_u32_e32 vcc_lo, 0, v98
	v_cndmask_b32_e32 v98, 14, v98, vcc_lo
; %bb.277:
	s_and_not1_saveexec_b32 s0, s0
	s_cbranch_execz .LBB84_283
; %bb.278:
	v_cmp_ngt_f32_e64 s1, |v94|, |v95|
	s_and_saveexec_b32 s15, s1
	s_delay_alu instid0(SALU_CYCLE_1)
	s_xor_b32 s1, exec_lo, s15
	s_cbranch_execz .LBB84_280
; %bb.279:
	v_div_scale_f32 v93, null, v95, v95, v94
	v_div_scale_f32 v103, vcc_lo, v94, v95, v94
	s_delay_alu instid0(VALU_DEP_2) | instskip(SKIP_1) | instid1(TRANS32_DEP_1)
	v_rcp_f32_e32 v101, v93
	v_nop
	v_fma_f32 v102, -v93, v101, 1.0
	s_delay_alu instid0(VALU_DEP_1) | instskip(NEXT) | instid1(VALU_DEP_1)
	v_fmac_f32_e32 v101, v102, v101
	v_mul_f32_e32 v102, v103, v101
	s_delay_alu instid0(VALU_DEP_1) | instskip(NEXT) | instid1(VALU_DEP_1)
	v_fma_f32 v104, -v93, v102, v103
	v_fmac_f32_e32 v102, v104, v101
	s_delay_alu instid0(VALU_DEP_1) | instskip(NEXT) | instid1(VALU_DEP_1)
	v_fma_f32 v93, -v93, v102, v103
	v_div_fmas_f32 v93, v93, v101, v102
	s_delay_alu instid0(VALU_DEP_1) | instskip(NEXT) | instid1(VALU_DEP_1)
	v_div_fixup_f32 v93, v93, v95, v94
	v_fmac_f32_e32 v95, v94, v93
	s_delay_alu instid0(VALU_DEP_1) | instskip(SKIP_1) | instid1(VALU_DEP_2)
	v_div_scale_f32 v94, null, v95, v95, 1.0
	v_div_scale_f32 v103, vcc_lo, 1.0, v95, 1.0
	v_rcp_f32_e32 v101, v94
	v_nop
	s_delay_alu instid0(TRANS32_DEP_1) | instskip(NEXT) | instid1(VALU_DEP_1)
	v_fma_f32 v102, -v94, v101, 1.0
	v_fmac_f32_e32 v101, v102, v101
	s_delay_alu instid0(VALU_DEP_1) | instskip(NEXT) | instid1(VALU_DEP_1)
	v_mul_f32_e32 v102, v103, v101
	v_fma_f32 v104, -v94, v102, v103
	s_delay_alu instid0(VALU_DEP_1) | instskip(NEXT) | instid1(VALU_DEP_1)
	v_fmac_f32_e32 v102, v104, v101
	v_fma_f32 v94, -v94, v102, v103
	s_delay_alu instid0(VALU_DEP_1) | instskip(NEXT) | instid1(VALU_DEP_1)
	v_div_fmas_f32 v94, v94, v101, v102
	v_div_fixup_f32 v95, v94, v95, 1.0
	s_delay_alu instid0(VALU_DEP_1)
	v_mul_f32_e32 v94, v93, v95
	v_xor_b32_e32 v95, 0x80000000, v95
.LBB84_280:
	s_and_not1_saveexec_b32 s1, s1
	s_cbranch_execz .LBB84_282
; %bb.281:
	s_delay_alu instid0(VALU_DEP_1) | instskip(SKIP_1) | instid1(VALU_DEP_2)
	v_div_scale_f32 v93, null, v94, v94, v95
	v_div_scale_f32 v103, vcc_lo, v95, v94, v95
	v_rcp_f32_e32 v101, v93
	v_nop
	s_delay_alu instid0(TRANS32_DEP_1) | instskip(NEXT) | instid1(VALU_DEP_1)
	v_fma_f32 v102, -v93, v101, 1.0
	v_fmac_f32_e32 v101, v102, v101
	s_delay_alu instid0(VALU_DEP_1) | instskip(NEXT) | instid1(VALU_DEP_1)
	v_mul_f32_e32 v102, v103, v101
	v_fma_f32 v104, -v93, v102, v103
	s_delay_alu instid0(VALU_DEP_1) | instskip(NEXT) | instid1(VALU_DEP_1)
	v_fmac_f32_e32 v102, v104, v101
	v_fma_f32 v93, -v93, v102, v103
	s_delay_alu instid0(VALU_DEP_1) | instskip(NEXT) | instid1(VALU_DEP_1)
	v_div_fmas_f32 v93, v93, v101, v102
	v_div_fixup_f32 v93, v93, v94, v95
	s_delay_alu instid0(VALU_DEP_1) | instskip(NEXT) | instid1(VALU_DEP_1)
	v_fmac_f32_e32 v94, v95, v93
	v_div_scale_f32 v95, null, v94, v94, 1.0
	s_delay_alu instid0(VALU_DEP_1) | instskip(SKIP_1) | instid1(TRANS32_DEP_1)
	v_rcp_f32_e32 v101, v95
	v_nop
	v_fma_f32 v102, -v95, v101, 1.0
	s_delay_alu instid0(VALU_DEP_1) | instskip(SKIP_1) | instid1(VALU_DEP_1)
	v_fmac_f32_e32 v101, v102, v101
	v_div_scale_f32 v102, vcc_lo, 1.0, v94, 1.0
	v_mul_f32_e32 v103, v102, v101
	s_delay_alu instid0(VALU_DEP_1) | instskip(NEXT) | instid1(VALU_DEP_1)
	v_fma_f32 v104, -v95, v103, v102
	v_fmac_f32_e32 v103, v104, v101
	s_delay_alu instid0(VALU_DEP_1) | instskip(NEXT) | instid1(VALU_DEP_1)
	v_fma_f32 v95, -v95, v103, v102
	v_div_fmas_f32 v95, v95, v101, v103
	s_delay_alu instid0(VALU_DEP_1) | instskip(NEXT) | instid1(VALU_DEP_1)
	v_div_fixup_f32 v94, v95, v94, 1.0
	v_mul_f32_e64 v95, v93, -v94
.LBB84_282:
	s_or_b32 exec_lo, exec_lo, s1
.LBB84_283:
	s_delay_alu instid0(SALU_CYCLE_1) | instskip(NEXT) | instid1(SALU_CYCLE_1)
	s_or_b32 exec_lo, exec_lo, s0
	s_mov_b32 s0, exec_lo
	v_cmpx_ne_u32_e64 v100, v92
	s_xor_b32 s0, exec_lo, s0
	s_cbranch_execz .LBB84_289
; %bb.284:
	s_mov_b32 s1, exec_lo
	v_cmpx_eq_u32_e32 13, v100
	s_cbranch_execz .LBB84_288
; %bb.285:
	v_cmp_ne_u32_e32 vcc_lo, 13, v92
	s_xor_b32 s15, s12, -1
	s_delay_alu instid0(SALU_CYCLE_1) | instskip(NEXT) | instid1(SALU_CYCLE_1)
	s_and_b32 s16, s15, vcc_lo
	s_and_saveexec_b32 s15, s16
	s_cbranch_execz .LBB84_287
; %bb.286:
	v_ashrrev_i32_e32 v93, 31, v92
	s_delay_alu instid0(VALU_DEP_1)
	v_lshl_add_u64 v[100:101], v[92:93], 2, v[4:5]
	s_clause 0x1
	global_load_b32 v93, v[100:101], off
	global_load_b32 v99, v[4:5], off offset:52
	s_wait_loadcnt 0x1
	global_store_b32 v[4:5], v93, off offset:52
	s_wait_loadcnt 0x0
	global_store_b32 v[100:101], v99, off
.LBB84_287:
	s_wait_xcnt 0x0
	s_or_b32 exec_lo, exec_lo, s15
	v_dual_mov_b32 v100, v92 :: v_dual_mov_b32 v99, v92
.LBB84_288:
	s_or_b32 exec_lo, exec_lo, s1
.LBB84_289:
	s_and_not1_saveexec_b32 s0, s0
	s_cbranch_execz .LBB84_291
; %bb.290:
	v_dual_mov_b32 v92, v20 :: v_dual_mov_b32 v93, v21
	v_dual_mov_b32 v100, v18 :: v_dual_mov_b32 v101, v19
	ds_store_2addr_b64 v96, v[92:93], v[100:101] offset0:14 offset1:15
	v_dual_mov_b32 v92, v46 :: v_dual_mov_b32 v93, v47
	v_dual_mov_b32 v100, v44 :: v_dual_mov_b32 v101, v45
	ds_store_2addr_b64 v96, v[92:93], v[100:101] offset0:16 offset1:17
	;; [unrolled: 3-line block ×14, first 2 shown]
	ds_store_b64 v96, v[90:91] offset:336
	v_mov_b32_e32 v100, 13
.LBB84_291:
	s_or_b32 exec_lo, exec_lo, s0
	s_delay_alu instid0(SALU_CYCLE_1)
	s_mov_b32 s0, exec_lo
	s_wait_storecnt_dscnt 0x0
	s_barrier_signal -1
	s_barrier_wait -1
	v_cmpx_lt_i32_e32 13, v100
	s_cbranch_execz .LBB84_293
; %bb.292:
	v_pk_mul_f32 v[102:103], v[94:95], v[34:35] op_sel:[1,1] op_sel_hi:[0,1]
	s_delay_alu instid0(VALU_DEP_1)
	v_pk_fma_f32 v[92:93], v[94:95], v[34:35], v[102:103] op_sel_hi:[1,0,1] neg_lo:[0,0,1] neg_hi:[0,0,1]
	v_pk_fma_f32 v[94:95], v[94:95], v[34:35], v[102:103] op_sel_hi:[1,0,1]
	ds_load_2addr_b64 v[102:105], v96 offset0:14 offset1:15
	v_dual_mov_b32 v34, v92 :: v_dual_mov_b32 v35, v95
	s_wait_dscnt 0x0
	v_pk_mul_f32 v[106:107], v[102:103], v[94:95] op_sel:[0,1]
	s_delay_alu instid0(VALU_DEP_1) | instskip(SKIP_1) | instid1(VALU_DEP_1)
	v_pk_fma_f32 v[108:109], v[102:103], v[92:93], v[106:107] op_sel:[0,0,1] op_sel_hi:[1,1,0] neg_lo:[0,0,1] neg_hi:[0,0,1]
	v_pk_fma_f32 v[102:103], v[102:103], v[92:93], v[106:107] op_sel:[0,0,1] op_sel_hi:[1,0,0]
	v_mov_b32_e32 v109, v103
	v_pk_mul_f32 v[102:103], v[104:105], v[94:95] op_sel:[0,1]
	s_delay_alu instid0(VALU_DEP_1) | instskip(SKIP_1) | instid1(VALU_DEP_1)
	v_pk_fma_f32 v[106:107], v[104:105], v[92:93], v[102:103] op_sel:[0,0,1] op_sel_hi:[1,1,0] neg_lo:[0,0,1] neg_hi:[0,0,1]
	v_pk_fma_f32 v[102:103], v[104:105], v[92:93], v[102:103] op_sel:[0,0,1] op_sel_hi:[1,0,0]
	v_mov_b32_e32 v107, v103
	ds_load_2addr_b64 v[102:105], v96 offset0:16 offset1:17
	v_pk_add_f32 v[20:21], v[20:21], v[108:109] neg_lo:[0,1] neg_hi:[0,1]
	v_pk_add_f32 v[18:19], v[18:19], v[106:107] neg_lo:[0,1] neg_hi:[0,1]
	s_wait_dscnt 0x0
	v_pk_mul_f32 v[106:107], v[102:103], v[94:95] op_sel:[0,1]
	s_delay_alu instid0(VALU_DEP_1) | instskip(SKIP_2) | instid1(VALU_DEP_2)
	v_pk_fma_f32 v[108:109], v[102:103], v[92:93], v[106:107] op_sel:[0,0,1] op_sel_hi:[1,1,0] neg_lo:[0,0,1] neg_hi:[0,0,1]
	v_pk_fma_f32 v[102:103], v[102:103], v[92:93], v[106:107] op_sel:[0,0,1] op_sel_hi:[1,0,0]
	v_dual_mul_f32 v106, v105, v95 :: v_dual_mov_b32 v102, v105
	v_dual_mov_b32 v109, v103 :: v_dual_mov_b32 v103, v104
	s_delay_alu instid0(VALU_DEP_2) | instskip(SKIP_1) | instid1(VALU_DEP_3)
	v_pk_fma_f32 v[106:107], v[104:105], v[34:35], v[106:107] op_sel_hi:[1,1,0] neg_lo:[0,0,1] neg_hi:[0,0,1]
	v_mul_f32_e32 v104, v105, v92
	v_pk_add_f32 v[46:47], v[46:47], v[108:109] neg_lo:[0,1] neg_hi:[0,1]
	s_delay_alu instid0(VALU_DEP_2) | instskip(NEXT) | instid1(VALU_DEP_1)
	v_pk_fma_f32 v[102:103], v[102:103], v[34:35], v[104:105] op_sel_hi:[1,1,0]
	v_mov_b32_e32 v107, v103
	ds_load_2addr_b64 v[102:105], v96 offset0:18 offset1:19
	v_pk_add_f32 v[44:45], v[44:45], v[106:107] neg_lo:[0,1] neg_hi:[0,1]
	s_wait_dscnt 0x0
	v_pk_mul_f32 v[106:107], v[102:103], v[94:95] op_sel:[0,1]
	s_delay_alu instid0(VALU_DEP_1) | instskip(SKIP_1) | instid1(VALU_DEP_1)
	v_pk_fma_f32 v[108:109], v[102:103], v[92:93], v[106:107] op_sel:[0,0,1] op_sel_hi:[1,1,0] neg_lo:[0,0,1] neg_hi:[0,0,1]
	v_pk_fma_f32 v[102:103], v[102:103], v[92:93], v[106:107] op_sel:[0,0,1] op_sel_hi:[1,0,0]
	v_mov_b32_e32 v109, v103
	v_pk_mul_f32 v[102:103], v[104:105], v[94:95] op_sel:[0,1]
	s_delay_alu instid0(VALU_DEP_1) | instskip(SKIP_1) | instid1(VALU_DEP_1)
	v_pk_fma_f32 v[106:107], v[104:105], v[92:93], v[102:103] op_sel:[0,0,1] op_sel_hi:[1,1,0] neg_lo:[0,0,1] neg_hi:[0,0,1]
	v_pk_fma_f32 v[102:103], v[104:105], v[92:93], v[102:103] op_sel:[0,0,1] op_sel_hi:[1,0,0]
	v_mov_b32_e32 v107, v103
	ds_load_2addr_b64 v[102:105], v96 offset0:20 offset1:21
	v_pk_add_f32 v[28:29], v[28:29], v[108:109] neg_lo:[0,1] neg_hi:[0,1]
	v_pk_add_f32 v[26:27], v[26:27], v[106:107] neg_lo:[0,1] neg_hi:[0,1]
	s_wait_dscnt 0x0
	v_pk_mul_f32 v[106:107], v[102:103], v[94:95] op_sel:[0,1]
	s_delay_alu instid0(VALU_DEP_1) | instskip(SKIP_1) | instid1(VALU_DEP_1)
	v_pk_fma_f32 v[108:109], v[102:103], v[92:93], v[106:107] op_sel:[0,0,1] op_sel_hi:[1,1,0] neg_lo:[0,0,1] neg_hi:[0,0,1]
	v_pk_fma_f32 v[102:103], v[102:103], v[92:93], v[106:107] op_sel:[0,0,1] op_sel_hi:[1,0,0]
	v_mov_b32_e32 v109, v103
	v_pk_mul_f32 v[102:103], v[104:105], v[94:95] op_sel:[0,1]
	s_delay_alu instid0(VALU_DEP_1) | instskip(SKIP_1) | instid1(VALU_DEP_1)
	v_pk_fma_f32 v[106:107], v[104:105], v[92:93], v[102:103] op_sel:[0,0,1] op_sel_hi:[1,1,0] neg_lo:[0,0,1] neg_hi:[0,0,1]
	v_pk_fma_f32 v[102:103], v[104:105], v[92:93], v[102:103] op_sel:[0,0,1] op_sel_hi:[1,0,0]
	v_mov_b32_e32 v107, v103
	ds_load_2addr_b64 v[102:105], v96 offset0:22 offset1:23
	v_pk_add_f32 v[54:55], v[54:55], v[108:109] neg_lo:[0,1] neg_hi:[0,1]
	v_pk_add_f32 v[52:53], v[52:53], v[106:107] neg_lo:[0,1] neg_hi:[0,1]
	s_wait_dscnt 0x0
	v_dual_mul_f32 v106, v103, v95 :: v_dual_mul_f32 v108, v103, v92
	s_delay_alu instid0(VALU_DEP_1) | instskip(NEXT) | instid1(VALU_DEP_2)
	v_pk_fma_f32 v[106:107], v[102:103], v[34:35], v[106:107] op_sel_hi:[1,1,0] neg_lo:[0,0,1] neg_hi:[0,0,1]
	v_pk_fma_f32 v[102:103], v[102:103], v[34:35], v[108:109] op_sel:[1,0,0] op_sel_hi:[0,1,0]
	s_delay_alu instid0(VALU_DEP_1) | instskip(SKIP_1) | instid1(VALU_DEP_2)
	v_mov_b32_e32 v107, v103
	v_pk_mul_f32 v[102:103], v[104:105], v[94:95] op_sel:[0,1]
	v_pk_add_f32 v[32:33], v[32:33], v[106:107] neg_lo:[0,1] neg_hi:[0,1]
	s_delay_alu instid0(VALU_DEP_2) | instskip(SKIP_1) | instid1(VALU_DEP_1)
	v_pk_fma_f32 v[106:107], v[104:105], v[92:93], v[102:103] op_sel:[0,0,1] op_sel_hi:[1,1,0] neg_lo:[0,0,1] neg_hi:[0,0,1]
	v_pk_fma_f32 v[102:103], v[104:105], v[92:93], v[102:103] op_sel:[0,0,1] op_sel_hi:[1,0,0]
	v_mov_b32_e32 v107, v103
	ds_load_2addr_b64 v[102:105], v96 offset0:24 offset1:25
	v_pk_add_f32 v[30:31], v[30:31], v[106:107] neg_lo:[0,1] neg_hi:[0,1]
	s_wait_dscnt 0x0
	v_pk_mul_f32 v[106:107], v[102:103], v[94:95] op_sel:[0,1]
	s_delay_alu instid0(VALU_DEP_1) | instskip(SKIP_1) | instid1(VALU_DEP_1)
	v_pk_fma_f32 v[108:109], v[102:103], v[92:93], v[106:107] op_sel:[0,0,1] op_sel_hi:[1,1,0] neg_lo:[0,0,1] neg_hi:[0,0,1]
	v_pk_fma_f32 v[102:103], v[102:103], v[92:93], v[106:107] op_sel:[0,0,1] op_sel_hi:[1,0,0]
	v_mov_b32_e32 v109, v103
	v_pk_mul_f32 v[102:103], v[104:105], v[94:95] op_sel:[0,1]
	s_delay_alu instid0(VALU_DEP_2) | instskip(NEXT) | instid1(VALU_DEP_2)
	v_pk_add_f32 v[68:69], v[68:69], v[108:109] neg_lo:[0,1] neg_hi:[0,1]
	v_pk_fma_f32 v[106:107], v[104:105], v[92:93], v[102:103] op_sel:[0,0,1] op_sel_hi:[1,1,0] neg_lo:[0,0,1] neg_hi:[0,0,1]
	v_pk_fma_f32 v[102:103], v[104:105], v[92:93], v[102:103] op_sel:[0,0,1] op_sel_hi:[1,0,0]
	s_delay_alu instid0(VALU_DEP_1) | instskip(SKIP_4) | instid1(VALU_DEP_1)
	v_mov_b32_e32 v107, v103
	ds_load_2addr_b64 v[102:105], v96 offset0:26 offset1:27
	v_pk_add_f32 v[66:67], v[66:67], v[106:107] neg_lo:[0,1] neg_hi:[0,1]
	s_wait_dscnt 0x0
	v_pk_mul_f32 v[106:107], v[102:103], v[94:95] op_sel:[0,1]
	v_pk_fma_f32 v[108:109], v[102:103], v[92:93], v[106:107] op_sel:[0,0,1] op_sel_hi:[1,1,0] neg_lo:[0,0,1] neg_hi:[0,0,1]
	v_pk_fma_f32 v[102:103], v[102:103], v[92:93], v[106:107] op_sel:[0,0,1] op_sel_hi:[1,0,0]
	v_dual_mul_f32 v106, v105, v95 :: v_dual_mov_b32 v102, v105
	s_delay_alu instid0(VALU_DEP_2) | instskip(NEXT) | instid1(VALU_DEP_2)
	v_dual_mov_b32 v109, v103 :: v_dual_mov_b32 v103, v104
	v_pk_fma_f32 v[106:107], v[104:105], v[34:35], v[106:107] op_sel_hi:[1,1,0] neg_lo:[0,0,1] neg_hi:[0,0,1]
	v_mul_f32_e32 v104, v105, v92
	s_delay_alu instid0(VALU_DEP_3) | instskip(NEXT) | instid1(VALU_DEP_2)
	v_pk_add_f32 v[40:41], v[40:41], v[108:109] neg_lo:[0,1] neg_hi:[0,1]
	v_pk_fma_f32 v[102:103], v[102:103], v[34:35], v[104:105] op_sel_hi:[1,1,0]
	s_delay_alu instid0(VALU_DEP_1) | instskip(SKIP_4) | instid1(VALU_DEP_1)
	v_mov_b32_e32 v107, v103
	ds_load_2addr_b64 v[102:105], v96 offset0:28 offset1:29
	v_pk_add_f32 v[38:39], v[38:39], v[106:107] neg_lo:[0,1] neg_hi:[0,1]
	s_wait_dscnt 0x0
	v_pk_mul_f32 v[106:107], v[102:103], v[94:95] op_sel:[0,1]
	v_pk_fma_f32 v[108:109], v[102:103], v[92:93], v[106:107] op_sel:[0,0,1] op_sel_hi:[1,1,0] neg_lo:[0,0,1] neg_hi:[0,0,1]
	v_pk_fma_f32 v[102:103], v[102:103], v[92:93], v[106:107] op_sel:[0,0,1] op_sel_hi:[1,0,0]
	s_delay_alu instid0(VALU_DEP_1) | instskip(SKIP_1) | instid1(VALU_DEP_1)
	v_mov_b32_e32 v109, v103
	v_pk_mul_f32 v[102:103], v[104:105], v[94:95] op_sel:[0,1]
	v_pk_fma_f32 v[106:107], v[104:105], v[92:93], v[102:103] op_sel:[0,0,1] op_sel_hi:[1,1,0] neg_lo:[0,0,1] neg_hi:[0,0,1]
	v_pk_fma_f32 v[102:103], v[104:105], v[92:93], v[102:103] op_sel:[0,0,1] op_sel_hi:[1,0,0]
	s_delay_alu instid0(VALU_DEP_1)
	v_mov_b32_e32 v107, v103
	ds_load_2addr_b64 v[102:105], v96 offset0:30 offset1:31
	v_pk_add_f32 v[76:77], v[76:77], v[108:109] neg_lo:[0,1] neg_hi:[0,1]
	v_pk_add_f32 v[74:75], v[74:75], v[106:107] neg_lo:[0,1] neg_hi:[0,1]
	s_wait_dscnt 0x0
	v_pk_mul_f32 v[106:107], v[102:103], v[94:95] op_sel:[0,1]
	s_delay_alu instid0(VALU_DEP_1) | instskip(SKIP_1) | instid1(VALU_DEP_1)
	v_pk_fma_f32 v[108:109], v[102:103], v[92:93], v[106:107] op_sel:[0,0,1] op_sel_hi:[1,1,0] neg_lo:[0,0,1] neg_hi:[0,0,1]
	v_pk_fma_f32 v[102:103], v[102:103], v[92:93], v[106:107] op_sel:[0,0,1] op_sel_hi:[1,0,0]
	v_mov_b32_e32 v109, v103
	v_pk_mul_f32 v[102:103], v[104:105], v[94:95] op_sel:[0,1]
	s_delay_alu instid0(VALU_DEP_1) | instskip(SKIP_1) | instid1(VALU_DEP_1)
	v_pk_fma_f32 v[106:107], v[104:105], v[92:93], v[102:103] op_sel:[0,0,1] op_sel_hi:[1,1,0] neg_lo:[0,0,1] neg_hi:[0,0,1]
	v_pk_fma_f32 v[102:103], v[104:105], v[92:93], v[102:103] op_sel:[0,0,1] op_sel_hi:[1,0,0]
	v_mov_b32_e32 v107, v103
	ds_load_2addr_b64 v[102:105], v96 offset0:32 offset1:33
	v_pk_add_f32 v[50:51], v[50:51], v[108:109] neg_lo:[0,1] neg_hi:[0,1]
	v_pk_add_f32 v[48:49], v[48:49], v[106:107] neg_lo:[0,1] neg_hi:[0,1]
	s_wait_dscnt 0x0
	v_dual_mul_f32 v106, v103, v95 :: v_dual_mul_f32 v108, v103, v92
	s_delay_alu instid0(VALU_DEP_1) | instskip(NEXT) | instid1(VALU_DEP_2)
	v_pk_fma_f32 v[106:107], v[102:103], v[34:35], v[106:107] op_sel_hi:[1,1,0] neg_lo:[0,0,1] neg_hi:[0,0,1]
	v_pk_fma_f32 v[102:103], v[102:103], v[34:35], v[108:109] op_sel:[1,0,0] op_sel_hi:[0,1,0]
	s_delay_alu instid0(VALU_DEP_1) | instskip(SKIP_1) | instid1(VALU_DEP_2)
	v_mov_b32_e32 v107, v103
	v_pk_mul_f32 v[102:103], v[104:105], v[94:95] op_sel:[0,1]
	v_pk_add_f32 v[88:89], v[88:89], v[106:107] neg_lo:[0,1] neg_hi:[0,1]
	s_delay_alu instid0(VALU_DEP_2) | instskip(SKIP_1) | instid1(VALU_DEP_1)
	v_pk_fma_f32 v[106:107], v[104:105], v[92:93], v[102:103] op_sel:[0,0,1] op_sel_hi:[1,1,0] neg_lo:[0,0,1] neg_hi:[0,0,1]
	v_pk_fma_f32 v[102:103], v[104:105], v[92:93], v[102:103] op_sel:[0,0,1] op_sel_hi:[1,0,0]
	v_mov_b32_e32 v107, v103
	ds_load_2addr_b64 v[102:105], v96 offset0:34 offset1:35
	v_pk_add_f32 v[86:87], v[86:87], v[106:107] neg_lo:[0,1] neg_hi:[0,1]
	s_wait_dscnt 0x0
	v_pk_mul_f32 v[106:107], v[102:103], v[94:95] op_sel:[0,1]
	s_delay_alu instid0(VALU_DEP_1) | instskip(SKIP_1) | instid1(VALU_DEP_1)
	v_pk_fma_f32 v[108:109], v[102:103], v[92:93], v[106:107] op_sel:[0,0,1] op_sel_hi:[1,1,0] neg_lo:[0,0,1] neg_hi:[0,0,1]
	v_pk_fma_f32 v[102:103], v[102:103], v[92:93], v[106:107] op_sel:[0,0,1] op_sel_hi:[1,0,0]
	v_mov_b32_e32 v109, v103
	v_pk_mul_f32 v[102:103], v[104:105], v[94:95] op_sel:[0,1]
	s_delay_alu instid0(VALU_DEP_2) | instskip(NEXT) | instid1(VALU_DEP_2)
	v_pk_add_f32 v[60:61], v[60:61], v[108:109] neg_lo:[0,1] neg_hi:[0,1]
	v_pk_fma_f32 v[106:107], v[104:105], v[92:93], v[102:103] op_sel:[0,0,1] op_sel_hi:[1,1,0] neg_lo:[0,0,1] neg_hi:[0,0,1]
	v_pk_fma_f32 v[102:103], v[104:105], v[92:93], v[102:103] op_sel:[0,0,1] op_sel_hi:[1,0,0]
	s_delay_alu instid0(VALU_DEP_1) | instskip(SKIP_4) | instid1(VALU_DEP_1)
	v_mov_b32_e32 v107, v103
	ds_load_2addr_b64 v[102:105], v96 offset0:36 offset1:37
	v_pk_add_f32 v[58:59], v[58:59], v[106:107] neg_lo:[0,1] neg_hi:[0,1]
	s_wait_dscnt 0x0
	v_pk_mul_f32 v[106:107], v[102:103], v[94:95] op_sel:[0,1]
	v_pk_fma_f32 v[108:109], v[102:103], v[92:93], v[106:107] op_sel:[0,0,1] op_sel_hi:[1,1,0] neg_lo:[0,0,1] neg_hi:[0,0,1]
	v_pk_fma_f32 v[102:103], v[102:103], v[92:93], v[106:107] op_sel:[0,0,1] op_sel_hi:[1,0,0]
	v_dual_mul_f32 v106, v105, v95 :: v_dual_mov_b32 v102, v105
	s_delay_alu instid0(VALU_DEP_2) | instskip(NEXT) | instid1(VALU_DEP_2)
	v_dual_mov_b32 v109, v103 :: v_dual_mov_b32 v103, v104
	v_pk_fma_f32 v[106:107], v[104:105], v[34:35], v[106:107] op_sel_hi:[1,1,0] neg_lo:[0,0,1] neg_hi:[0,0,1]
	v_mul_f32_e32 v104, v105, v92
	s_delay_alu instid0(VALU_DEP_3) | instskip(NEXT) | instid1(VALU_DEP_2)
	v_pk_add_f32 v[82:83], v[82:83], v[108:109] neg_lo:[0,1] neg_hi:[0,1]
	v_pk_fma_f32 v[102:103], v[102:103], v[34:35], v[104:105] op_sel_hi:[1,1,0]
	s_delay_alu instid0(VALU_DEP_1) | instskip(SKIP_4) | instid1(VALU_DEP_1)
	v_mov_b32_e32 v107, v103
	ds_load_2addr_b64 v[102:105], v96 offset0:38 offset1:39
	v_pk_add_f32 v[80:81], v[80:81], v[106:107] neg_lo:[0,1] neg_hi:[0,1]
	s_wait_dscnt 0x0
	v_pk_mul_f32 v[106:107], v[102:103], v[94:95] op_sel:[0,1]
	v_pk_fma_f32 v[108:109], v[102:103], v[92:93], v[106:107] op_sel:[0,0,1] op_sel_hi:[1,1,0] neg_lo:[0,0,1] neg_hi:[0,0,1]
	v_pk_fma_f32 v[102:103], v[102:103], v[92:93], v[106:107] op_sel:[0,0,1] op_sel_hi:[1,0,0]
	s_delay_alu instid0(VALU_DEP_1) | instskip(SKIP_1) | instid1(VALU_DEP_1)
	v_mov_b32_e32 v109, v103
	v_pk_mul_f32 v[102:103], v[104:105], v[94:95] op_sel:[0,1]
	v_pk_fma_f32 v[106:107], v[104:105], v[92:93], v[102:103] op_sel:[0,0,1] op_sel_hi:[1,1,0] neg_lo:[0,0,1] neg_hi:[0,0,1]
	v_pk_fma_f32 v[102:103], v[104:105], v[92:93], v[102:103] op_sel:[0,0,1] op_sel_hi:[1,0,0]
	s_delay_alu instid0(VALU_DEP_1)
	v_mov_b32_e32 v107, v103
	ds_load_2addr_b64 v[102:105], v96 offset0:40 offset1:41
	v_pk_add_f32 v[64:65], v[64:65], v[108:109] neg_lo:[0,1] neg_hi:[0,1]
	v_pk_add_f32 v[62:63], v[62:63], v[106:107] neg_lo:[0,1] neg_hi:[0,1]
	s_wait_dscnt 0x0
	v_pk_mul_f32 v[106:107], v[102:103], v[94:95] op_sel:[0,1]
	s_delay_alu instid0(VALU_DEP_1) | instskip(SKIP_1) | instid1(VALU_DEP_1)
	v_pk_fma_f32 v[108:109], v[102:103], v[92:93], v[106:107] op_sel:[0,0,1] op_sel_hi:[1,1,0] neg_lo:[0,0,1] neg_hi:[0,0,1]
	v_pk_fma_f32 v[102:103], v[102:103], v[92:93], v[106:107] op_sel:[0,0,1] op_sel_hi:[1,0,0]
	v_mov_b32_e32 v109, v103
	v_pk_mul_f32 v[102:103], v[104:105], v[94:95] op_sel:[0,1]
	s_delay_alu instid0(VALU_DEP_1) | instskip(SKIP_1) | instid1(VALU_DEP_1)
	v_pk_fma_f32 v[106:107], v[104:105], v[92:93], v[102:103] op_sel:[0,0,1] op_sel_hi:[1,1,0] neg_lo:[0,0,1] neg_hi:[0,0,1]
	v_pk_fma_f32 v[102:103], v[104:105], v[92:93], v[102:103] op_sel:[0,0,1] op_sel_hi:[1,0,0]
	v_mov_b32_e32 v107, v103
	ds_load_b64 v[102:103], v96 offset:336
	v_pk_add_f32 v[72:73], v[72:73], v[108:109] neg_lo:[0,1] neg_hi:[0,1]
	v_pk_add_f32 v[70:71], v[70:71], v[106:107] neg_lo:[0,1] neg_hi:[0,1]
	s_wait_dscnt 0x0
	v_pk_mul_f32 v[94:95], v[102:103], v[94:95] op_sel:[0,1]
	s_delay_alu instid0(VALU_DEP_1) | instskip(SKIP_1) | instid1(VALU_DEP_1)
	v_pk_fma_f32 v[104:105], v[102:103], v[92:93], v[94:95] op_sel:[0,0,1] op_sel_hi:[1,1,0] neg_lo:[0,0,1] neg_hi:[0,0,1]
	v_pk_fma_f32 v[92:93], v[102:103], v[92:93], v[94:95] op_sel:[0,0,1] op_sel_hi:[1,0,0]
	v_mov_b32_e32 v105, v93
	s_delay_alu instid0(VALU_DEP_1)
	v_pk_add_f32 v[90:91], v[90:91], v[104:105] neg_lo:[0,1] neg_hi:[0,1]
.LBB84_293:
	s_or_b32 exec_lo, exec_lo, s0
	v_lshl_add_u32 v92, v100, 3, v96
	s_barrier_signal -1
	s_barrier_wait -1
	ds_store_b64 v92, v[20:21]
	s_wait_dscnt 0x0
	s_barrier_signal -1
	s_barrier_wait -1
	ds_load_b64 v[94:95], v96 offset:112
	v_mov_b32_e32 v92, 14
	s_cmp_lt_i32 s14, 16
	s_cbranch_scc1 .LBB84_296
; %bb.294:
	v_add3_u32 v93, v97, 0, 0x78
	v_mov_b32_e32 v92, 14
	s_mov_b32 s0, 15
.LBB84_295:                             ; =>This Inner Loop Header: Depth=1
	ds_load_b64 v[102:103], v93
	s_wait_dscnt 0x1
	v_cmp_gt_f32_e32 vcc_lo, 0, v94
	v_cndmask_b32_e64 v104, v94, -v94, vcc_lo
	v_cmp_gt_f32_e32 vcc_lo, 0, v95
	v_cndmask_b32_e64 v106, v95, -v95, vcc_lo
	s_wait_dscnt 0x0
	v_cmp_gt_f32_e32 vcc_lo, 0, v102
	v_cndmask_b32_e64 v105, v102, -v102, vcc_lo
	v_cmp_gt_f32_e32 vcc_lo, 0, v103
	v_cndmask_b32_e64 v107, v103, -v103, vcc_lo
	s_delay_alu instid0(VALU_DEP_1) | instskip(NEXT) | instid1(VALU_DEP_1)
	v_pk_add_f32 v[104:105], v[104:105], v[106:107]
	v_cmp_lt_f32_e32 vcc_lo, v104, v105
	v_dual_add_nc_u32 v93, 8, v93 :: v_dual_cndmask_b32 v95, v95, v103, vcc_lo
	v_cndmask_b32_e32 v94, v94, v102, vcc_lo
	v_cndmask_b32_e64 v92, v92, s0, vcc_lo
	s_add_co_i32 s0, s0, 1
	s_delay_alu instid0(SALU_CYCLE_1)
	s_cmp_lg_u32 s14, s0
	s_cbranch_scc1 .LBB84_295
.LBB84_296:
	s_wait_dscnt 0x0
	v_cmp_eq_f32_e32 vcc_lo, 0, v94
	v_cmp_eq_f32_e64 s0, 0, v95
	s_and_b32 s0, vcc_lo, s0
	s_delay_alu instid0(SALU_CYCLE_1) | instskip(NEXT) | instid1(SALU_CYCLE_1)
	s_and_saveexec_b32 s1, s0
	s_xor_b32 s0, exec_lo, s1
; %bb.297:
	v_cmp_ne_u32_e32 vcc_lo, 0, v98
	v_cndmask_b32_e32 v98, 15, v98, vcc_lo
; %bb.298:
	s_and_not1_saveexec_b32 s0, s0
	s_cbranch_execz .LBB84_304
; %bb.299:
	v_cmp_ngt_f32_e64 s1, |v94|, |v95|
	s_and_saveexec_b32 s15, s1
	s_delay_alu instid0(SALU_CYCLE_1)
	s_xor_b32 s1, exec_lo, s15
	s_cbranch_execz .LBB84_301
; %bb.300:
	v_div_scale_f32 v93, null, v95, v95, v94
	v_div_scale_f32 v103, vcc_lo, v94, v95, v94
	s_delay_alu instid0(VALU_DEP_2) | instskip(SKIP_1) | instid1(TRANS32_DEP_1)
	v_rcp_f32_e32 v101, v93
	v_nop
	v_fma_f32 v102, -v93, v101, 1.0
	s_delay_alu instid0(VALU_DEP_1) | instskip(NEXT) | instid1(VALU_DEP_1)
	v_fmac_f32_e32 v101, v102, v101
	v_mul_f32_e32 v102, v103, v101
	s_delay_alu instid0(VALU_DEP_1) | instskip(NEXT) | instid1(VALU_DEP_1)
	v_fma_f32 v104, -v93, v102, v103
	v_fmac_f32_e32 v102, v104, v101
	s_delay_alu instid0(VALU_DEP_1) | instskip(NEXT) | instid1(VALU_DEP_1)
	v_fma_f32 v93, -v93, v102, v103
	v_div_fmas_f32 v93, v93, v101, v102
	s_delay_alu instid0(VALU_DEP_1) | instskip(NEXT) | instid1(VALU_DEP_1)
	v_div_fixup_f32 v93, v93, v95, v94
	v_fmac_f32_e32 v95, v94, v93
	s_delay_alu instid0(VALU_DEP_1) | instskip(SKIP_1) | instid1(VALU_DEP_2)
	v_div_scale_f32 v94, null, v95, v95, 1.0
	v_div_scale_f32 v103, vcc_lo, 1.0, v95, 1.0
	v_rcp_f32_e32 v101, v94
	v_nop
	s_delay_alu instid0(TRANS32_DEP_1) | instskip(NEXT) | instid1(VALU_DEP_1)
	v_fma_f32 v102, -v94, v101, 1.0
	v_fmac_f32_e32 v101, v102, v101
	s_delay_alu instid0(VALU_DEP_1) | instskip(NEXT) | instid1(VALU_DEP_1)
	v_mul_f32_e32 v102, v103, v101
	v_fma_f32 v104, -v94, v102, v103
	s_delay_alu instid0(VALU_DEP_1) | instskip(NEXT) | instid1(VALU_DEP_1)
	v_fmac_f32_e32 v102, v104, v101
	v_fma_f32 v94, -v94, v102, v103
	s_delay_alu instid0(VALU_DEP_1) | instskip(NEXT) | instid1(VALU_DEP_1)
	v_div_fmas_f32 v94, v94, v101, v102
	v_div_fixup_f32 v95, v94, v95, 1.0
	s_delay_alu instid0(VALU_DEP_1)
	v_mul_f32_e32 v94, v93, v95
	v_xor_b32_e32 v95, 0x80000000, v95
.LBB84_301:
	s_and_not1_saveexec_b32 s1, s1
	s_cbranch_execz .LBB84_303
; %bb.302:
	s_delay_alu instid0(VALU_DEP_1) | instskip(SKIP_1) | instid1(VALU_DEP_2)
	v_div_scale_f32 v93, null, v94, v94, v95
	v_div_scale_f32 v103, vcc_lo, v95, v94, v95
	v_rcp_f32_e32 v101, v93
	v_nop
	s_delay_alu instid0(TRANS32_DEP_1) | instskip(NEXT) | instid1(VALU_DEP_1)
	v_fma_f32 v102, -v93, v101, 1.0
	v_fmac_f32_e32 v101, v102, v101
	s_delay_alu instid0(VALU_DEP_1) | instskip(NEXT) | instid1(VALU_DEP_1)
	v_mul_f32_e32 v102, v103, v101
	v_fma_f32 v104, -v93, v102, v103
	s_delay_alu instid0(VALU_DEP_1) | instskip(NEXT) | instid1(VALU_DEP_1)
	v_fmac_f32_e32 v102, v104, v101
	v_fma_f32 v93, -v93, v102, v103
	s_delay_alu instid0(VALU_DEP_1) | instskip(NEXT) | instid1(VALU_DEP_1)
	v_div_fmas_f32 v93, v93, v101, v102
	v_div_fixup_f32 v93, v93, v94, v95
	s_delay_alu instid0(VALU_DEP_1) | instskip(NEXT) | instid1(VALU_DEP_1)
	v_fmac_f32_e32 v94, v95, v93
	v_div_scale_f32 v95, null, v94, v94, 1.0
	s_delay_alu instid0(VALU_DEP_1) | instskip(SKIP_1) | instid1(TRANS32_DEP_1)
	v_rcp_f32_e32 v101, v95
	v_nop
	v_fma_f32 v102, -v95, v101, 1.0
	s_delay_alu instid0(VALU_DEP_1) | instskip(SKIP_1) | instid1(VALU_DEP_1)
	v_fmac_f32_e32 v101, v102, v101
	v_div_scale_f32 v102, vcc_lo, 1.0, v94, 1.0
	v_mul_f32_e32 v103, v102, v101
	s_delay_alu instid0(VALU_DEP_1) | instskip(NEXT) | instid1(VALU_DEP_1)
	v_fma_f32 v104, -v95, v103, v102
	v_fmac_f32_e32 v103, v104, v101
	s_delay_alu instid0(VALU_DEP_1) | instskip(NEXT) | instid1(VALU_DEP_1)
	v_fma_f32 v95, -v95, v103, v102
	v_div_fmas_f32 v95, v95, v101, v103
	s_delay_alu instid0(VALU_DEP_1) | instskip(NEXT) | instid1(VALU_DEP_1)
	v_div_fixup_f32 v94, v95, v94, 1.0
	v_mul_f32_e64 v95, v93, -v94
.LBB84_303:
	s_or_b32 exec_lo, exec_lo, s1
.LBB84_304:
	s_delay_alu instid0(SALU_CYCLE_1) | instskip(NEXT) | instid1(SALU_CYCLE_1)
	s_or_b32 exec_lo, exec_lo, s0
	s_mov_b32 s0, exec_lo
	v_cmpx_ne_u32_e64 v100, v92
	s_xor_b32 s0, exec_lo, s0
	s_cbranch_execz .LBB84_310
; %bb.305:
	s_mov_b32 s1, exec_lo
	v_cmpx_eq_u32_e32 14, v100
	s_cbranch_execz .LBB84_309
; %bb.306:
	v_cmp_ne_u32_e32 vcc_lo, 14, v92
	s_xor_b32 s15, s12, -1
	s_delay_alu instid0(SALU_CYCLE_1) | instskip(NEXT) | instid1(SALU_CYCLE_1)
	s_and_b32 s16, s15, vcc_lo
	s_and_saveexec_b32 s15, s16
	s_cbranch_execz .LBB84_308
; %bb.307:
	v_ashrrev_i32_e32 v93, 31, v92
	s_delay_alu instid0(VALU_DEP_1)
	v_lshl_add_u64 v[100:101], v[92:93], 2, v[4:5]
	s_clause 0x1
	global_load_b32 v93, v[100:101], off
	global_load_b32 v99, v[4:5], off offset:56
	s_wait_loadcnt 0x1
	global_store_b32 v[4:5], v93, off offset:56
	s_wait_loadcnt 0x0
	global_store_b32 v[100:101], v99, off
.LBB84_308:
	s_wait_xcnt 0x0
	s_or_b32 exec_lo, exec_lo, s15
	v_dual_mov_b32 v100, v92 :: v_dual_mov_b32 v99, v92
.LBB84_309:
	s_or_b32 exec_lo, exec_lo, s1
.LBB84_310:
	s_and_not1_saveexec_b32 s0, s0
	s_cbranch_execz .LBB84_312
; %bb.311:
	v_mov_b32_e32 v100, 14
	ds_store_2addr_b64 v96, v[18:19], v[46:47] offset0:15 offset1:16
	ds_store_2addr_b64 v96, v[44:45], v[28:29] offset0:17 offset1:18
	;; [unrolled: 1-line block ×14, first 2 shown]
.LBB84_312:
	s_or_b32 exec_lo, exec_lo, s0
	s_delay_alu instid0(SALU_CYCLE_1)
	s_mov_b32 s0, exec_lo
	s_wait_storecnt_dscnt 0x0
	s_barrier_signal -1
	s_barrier_wait -1
	v_cmpx_lt_i32_e32 14, v100
	s_cbranch_execz .LBB84_314
; %bb.313:
	v_pk_mul_f32 v[102:103], v[94:95], v[20:21] op_sel:[1,1] op_sel_hi:[0,1]
	s_delay_alu instid0(VALU_DEP_1)
	v_pk_fma_f32 v[92:93], v[94:95], v[20:21], v[102:103] op_sel_hi:[1,0,1] neg_lo:[0,0,1] neg_hi:[0,0,1]
	v_pk_fma_f32 v[94:95], v[94:95], v[20:21], v[102:103] op_sel_hi:[1,0,1]
	ds_load_2addr_b64 v[102:105], v96 offset0:15 offset1:16
	v_dual_mov_b32 v20, v92 :: v_dual_mov_b32 v21, v95
	s_wait_dscnt 0x0
	v_pk_mul_f32 v[106:107], v[102:103], v[94:95] op_sel:[0,1]
	s_delay_alu instid0(VALU_DEP_1) | instskip(SKIP_1) | instid1(VALU_DEP_1)
	v_pk_fma_f32 v[108:109], v[102:103], v[92:93], v[106:107] op_sel:[0,0,1] op_sel_hi:[1,1,0] neg_lo:[0,0,1] neg_hi:[0,0,1]
	v_pk_fma_f32 v[102:103], v[102:103], v[92:93], v[106:107] op_sel:[0,0,1] op_sel_hi:[1,0,0]
	v_mov_b32_e32 v109, v103
	v_pk_mul_f32 v[102:103], v[104:105], v[94:95] op_sel:[0,1]
	s_delay_alu instid0(VALU_DEP_1) | instskip(SKIP_1) | instid1(VALU_DEP_1)
	v_pk_fma_f32 v[106:107], v[104:105], v[92:93], v[102:103] op_sel:[0,0,1] op_sel_hi:[1,1,0] neg_lo:[0,0,1] neg_hi:[0,0,1]
	v_pk_fma_f32 v[102:103], v[104:105], v[92:93], v[102:103] op_sel:[0,0,1] op_sel_hi:[1,0,0]
	v_mov_b32_e32 v107, v103
	ds_load_2addr_b64 v[102:105], v96 offset0:17 offset1:18
	v_pk_add_f32 v[18:19], v[18:19], v[108:109] neg_lo:[0,1] neg_hi:[0,1]
	v_pk_add_f32 v[46:47], v[46:47], v[106:107] neg_lo:[0,1] neg_hi:[0,1]
	s_wait_dscnt 0x0
	v_pk_mul_f32 v[106:107], v[102:103], v[94:95] op_sel:[0,1]
	s_delay_alu instid0(VALU_DEP_1) | instskip(SKIP_2) | instid1(VALU_DEP_2)
	v_pk_fma_f32 v[108:109], v[102:103], v[92:93], v[106:107] op_sel:[0,0,1] op_sel_hi:[1,1,0] neg_lo:[0,0,1] neg_hi:[0,0,1]
	v_pk_fma_f32 v[102:103], v[102:103], v[92:93], v[106:107] op_sel:[0,0,1] op_sel_hi:[1,0,0]
	v_dual_mul_f32 v106, v105, v95 :: v_dual_mov_b32 v102, v105
	v_dual_mov_b32 v109, v103 :: v_dual_mov_b32 v103, v104
	s_delay_alu instid0(VALU_DEP_2) | instskip(SKIP_1) | instid1(VALU_DEP_3)
	v_pk_fma_f32 v[106:107], v[104:105], v[20:21], v[106:107] op_sel_hi:[1,1,0] neg_lo:[0,0,1] neg_hi:[0,0,1]
	v_mul_f32_e32 v104, v105, v92
	v_pk_add_f32 v[44:45], v[44:45], v[108:109] neg_lo:[0,1] neg_hi:[0,1]
	s_delay_alu instid0(VALU_DEP_2) | instskip(NEXT) | instid1(VALU_DEP_1)
	v_pk_fma_f32 v[102:103], v[102:103], v[20:21], v[104:105] op_sel_hi:[1,1,0]
	v_mov_b32_e32 v107, v103
	ds_load_2addr_b64 v[102:105], v96 offset0:19 offset1:20
	v_pk_add_f32 v[28:29], v[28:29], v[106:107] neg_lo:[0,1] neg_hi:[0,1]
	s_wait_dscnt 0x0
	v_pk_mul_f32 v[106:107], v[102:103], v[94:95] op_sel:[0,1]
	s_delay_alu instid0(VALU_DEP_1) | instskip(SKIP_1) | instid1(VALU_DEP_1)
	v_pk_fma_f32 v[108:109], v[102:103], v[92:93], v[106:107] op_sel:[0,0,1] op_sel_hi:[1,1,0] neg_lo:[0,0,1] neg_hi:[0,0,1]
	v_pk_fma_f32 v[102:103], v[102:103], v[92:93], v[106:107] op_sel:[0,0,1] op_sel_hi:[1,0,0]
	v_mov_b32_e32 v109, v103
	v_pk_mul_f32 v[102:103], v[104:105], v[94:95] op_sel:[0,1]
	s_delay_alu instid0(VALU_DEP_1) | instskip(SKIP_1) | instid1(VALU_DEP_1)
	v_pk_fma_f32 v[106:107], v[104:105], v[92:93], v[102:103] op_sel:[0,0,1] op_sel_hi:[1,1,0] neg_lo:[0,0,1] neg_hi:[0,0,1]
	v_pk_fma_f32 v[102:103], v[104:105], v[92:93], v[102:103] op_sel:[0,0,1] op_sel_hi:[1,0,0]
	v_mov_b32_e32 v107, v103
	ds_load_2addr_b64 v[102:105], v96 offset0:21 offset1:22
	v_pk_add_f32 v[26:27], v[26:27], v[108:109] neg_lo:[0,1] neg_hi:[0,1]
	v_pk_add_f32 v[54:55], v[54:55], v[106:107] neg_lo:[0,1] neg_hi:[0,1]
	s_wait_dscnt 0x0
	v_pk_mul_f32 v[106:107], v[102:103], v[94:95] op_sel:[0,1]
	s_delay_alu instid0(VALU_DEP_1) | instskip(SKIP_1) | instid1(VALU_DEP_1)
	v_pk_fma_f32 v[108:109], v[102:103], v[92:93], v[106:107] op_sel:[0,0,1] op_sel_hi:[1,1,0] neg_lo:[0,0,1] neg_hi:[0,0,1]
	v_pk_fma_f32 v[102:103], v[102:103], v[92:93], v[106:107] op_sel:[0,0,1] op_sel_hi:[1,0,0]
	v_mov_b32_e32 v109, v103
	v_pk_mul_f32 v[102:103], v[104:105], v[94:95] op_sel:[0,1]
	s_delay_alu instid0(VALU_DEP_1) | instskip(SKIP_1) | instid1(VALU_DEP_1)
	v_pk_fma_f32 v[106:107], v[104:105], v[92:93], v[102:103] op_sel:[0,0,1] op_sel_hi:[1,1,0] neg_lo:[0,0,1] neg_hi:[0,0,1]
	v_pk_fma_f32 v[102:103], v[104:105], v[92:93], v[102:103] op_sel:[0,0,1] op_sel_hi:[1,0,0]
	v_mov_b32_e32 v107, v103
	ds_load_2addr_b64 v[102:105], v96 offset0:23 offset1:24
	v_pk_add_f32 v[52:53], v[52:53], v[108:109] neg_lo:[0,1] neg_hi:[0,1]
	v_pk_add_f32 v[32:33], v[32:33], v[106:107] neg_lo:[0,1] neg_hi:[0,1]
	s_wait_dscnt 0x0
	v_dual_mul_f32 v106, v103, v95 :: v_dual_mul_f32 v108, v103, v92
	s_delay_alu instid0(VALU_DEP_1) | instskip(NEXT) | instid1(VALU_DEP_2)
	v_pk_fma_f32 v[106:107], v[102:103], v[20:21], v[106:107] op_sel_hi:[1,1,0] neg_lo:[0,0,1] neg_hi:[0,0,1]
	v_pk_fma_f32 v[102:103], v[102:103], v[20:21], v[108:109] op_sel:[1,0,0] op_sel_hi:[0,1,0]
	s_delay_alu instid0(VALU_DEP_1) | instskip(SKIP_1) | instid1(VALU_DEP_2)
	v_mov_b32_e32 v107, v103
	v_pk_mul_f32 v[102:103], v[104:105], v[94:95] op_sel:[0,1]
	v_pk_add_f32 v[30:31], v[30:31], v[106:107] neg_lo:[0,1] neg_hi:[0,1]
	s_delay_alu instid0(VALU_DEP_2) | instskip(SKIP_1) | instid1(VALU_DEP_1)
	v_pk_fma_f32 v[106:107], v[104:105], v[92:93], v[102:103] op_sel:[0,0,1] op_sel_hi:[1,1,0] neg_lo:[0,0,1] neg_hi:[0,0,1]
	v_pk_fma_f32 v[102:103], v[104:105], v[92:93], v[102:103] op_sel:[0,0,1] op_sel_hi:[1,0,0]
	v_mov_b32_e32 v107, v103
	ds_load_2addr_b64 v[102:105], v96 offset0:25 offset1:26
	v_pk_add_f32 v[68:69], v[68:69], v[106:107] neg_lo:[0,1] neg_hi:[0,1]
	s_wait_dscnt 0x0
	v_pk_mul_f32 v[106:107], v[102:103], v[94:95] op_sel:[0,1]
	s_delay_alu instid0(VALU_DEP_1) | instskip(SKIP_1) | instid1(VALU_DEP_1)
	v_pk_fma_f32 v[108:109], v[102:103], v[92:93], v[106:107] op_sel:[0,0,1] op_sel_hi:[1,1,0] neg_lo:[0,0,1] neg_hi:[0,0,1]
	v_pk_fma_f32 v[102:103], v[102:103], v[92:93], v[106:107] op_sel:[0,0,1] op_sel_hi:[1,0,0]
	v_mov_b32_e32 v109, v103
	v_pk_mul_f32 v[102:103], v[104:105], v[94:95] op_sel:[0,1]
	s_delay_alu instid0(VALU_DEP_2) | instskip(NEXT) | instid1(VALU_DEP_2)
	v_pk_add_f32 v[66:67], v[66:67], v[108:109] neg_lo:[0,1] neg_hi:[0,1]
	v_pk_fma_f32 v[106:107], v[104:105], v[92:93], v[102:103] op_sel:[0,0,1] op_sel_hi:[1,1,0] neg_lo:[0,0,1] neg_hi:[0,0,1]
	v_pk_fma_f32 v[102:103], v[104:105], v[92:93], v[102:103] op_sel:[0,0,1] op_sel_hi:[1,0,0]
	s_delay_alu instid0(VALU_DEP_1) | instskip(SKIP_4) | instid1(VALU_DEP_1)
	v_mov_b32_e32 v107, v103
	ds_load_2addr_b64 v[102:105], v96 offset0:27 offset1:28
	v_pk_add_f32 v[40:41], v[40:41], v[106:107] neg_lo:[0,1] neg_hi:[0,1]
	s_wait_dscnt 0x0
	v_pk_mul_f32 v[106:107], v[102:103], v[94:95] op_sel:[0,1]
	v_pk_fma_f32 v[108:109], v[102:103], v[92:93], v[106:107] op_sel:[0,0,1] op_sel_hi:[1,1,0] neg_lo:[0,0,1] neg_hi:[0,0,1]
	v_pk_fma_f32 v[102:103], v[102:103], v[92:93], v[106:107] op_sel:[0,0,1] op_sel_hi:[1,0,0]
	v_dual_mul_f32 v106, v105, v95 :: v_dual_mov_b32 v102, v105
	s_delay_alu instid0(VALU_DEP_2) | instskip(NEXT) | instid1(VALU_DEP_2)
	v_dual_mov_b32 v109, v103 :: v_dual_mov_b32 v103, v104
	v_pk_fma_f32 v[106:107], v[104:105], v[20:21], v[106:107] op_sel_hi:[1,1,0] neg_lo:[0,0,1] neg_hi:[0,0,1]
	v_mul_f32_e32 v104, v105, v92
	s_delay_alu instid0(VALU_DEP_3) | instskip(NEXT) | instid1(VALU_DEP_2)
	v_pk_add_f32 v[38:39], v[38:39], v[108:109] neg_lo:[0,1] neg_hi:[0,1]
	v_pk_fma_f32 v[102:103], v[102:103], v[20:21], v[104:105] op_sel_hi:[1,1,0]
	s_delay_alu instid0(VALU_DEP_1) | instskip(SKIP_4) | instid1(VALU_DEP_1)
	v_mov_b32_e32 v107, v103
	ds_load_2addr_b64 v[102:105], v96 offset0:29 offset1:30
	v_pk_add_f32 v[76:77], v[76:77], v[106:107] neg_lo:[0,1] neg_hi:[0,1]
	s_wait_dscnt 0x0
	v_pk_mul_f32 v[106:107], v[102:103], v[94:95] op_sel:[0,1]
	v_pk_fma_f32 v[108:109], v[102:103], v[92:93], v[106:107] op_sel:[0,0,1] op_sel_hi:[1,1,0] neg_lo:[0,0,1] neg_hi:[0,0,1]
	v_pk_fma_f32 v[102:103], v[102:103], v[92:93], v[106:107] op_sel:[0,0,1] op_sel_hi:[1,0,0]
	s_delay_alu instid0(VALU_DEP_1) | instskip(SKIP_1) | instid1(VALU_DEP_1)
	v_mov_b32_e32 v109, v103
	v_pk_mul_f32 v[102:103], v[104:105], v[94:95] op_sel:[0,1]
	v_pk_fma_f32 v[106:107], v[104:105], v[92:93], v[102:103] op_sel:[0,0,1] op_sel_hi:[1,1,0] neg_lo:[0,0,1] neg_hi:[0,0,1]
	v_pk_fma_f32 v[102:103], v[104:105], v[92:93], v[102:103] op_sel:[0,0,1] op_sel_hi:[1,0,0]
	s_delay_alu instid0(VALU_DEP_1)
	v_mov_b32_e32 v107, v103
	ds_load_2addr_b64 v[102:105], v96 offset0:31 offset1:32
	v_pk_add_f32 v[74:75], v[74:75], v[108:109] neg_lo:[0,1] neg_hi:[0,1]
	v_pk_add_f32 v[50:51], v[50:51], v[106:107] neg_lo:[0,1] neg_hi:[0,1]
	s_wait_dscnt 0x0
	v_pk_mul_f32 v[106:107], v[102:103], v[94:95] op_sel:[0,1]
	s_delay_alu instid0(VALU_DEP_1) | instskip(SKIP_1) | instid1(VALU_DEP_1)
	v_pk_fma_f32 v[108:109], v[102:103], v[92:93], v[106:107] op_sel:[0,0,1] op_sel_hi:[1,1,0] neg_lo:[0,0,1] neg_hi:[0,0,1]
	v_pk_fma_f32 v[102:103], v[102:103], v[92:93], v[106:107] op_sel:[0,0,1] op_sel_hi:[1,0,0]
	v_mov_b32_e32 v109, v103
	v_pk_mul_f32 v[102:103], v[104:105], v[94:95] op_sel:[0,1]
	s_delay_alu instid0(VALU_DEP_1) | instskip(SKIP_1) | instid1(VALU_DEP_1)
	v_pk_fma_f32 v[106:107], v[104:105], v[92:93], v[102:103] op_sel:[0,0,1] op_sel_hi:[1,1,0] neg_lo:[0,0,1] neg_hi:[0,0,1]
	v_pk_fma_f32 v[102:103], v[104:105], v[92:93], v[102:103] op_sel:[0,0,1] op_sel_hi:[1,0,0]
	v_mov_b32_e32 v107, v103
	ds_load_2addr_b64 v[102:105], v96 offset0:33 offset1:34
	v_pk_add_f32 v[48:49], v[48:49], v[108:109] neg_lo:[0,1] neg_hi:[0,1]
	v_pk_add_f32 v[88:89], v[88:89], v[106:107] neg_lo:[0,1] neg_hi:[0,1]
	s_wait_dscnt 0x0
	v_dual_mul_f32 v106, v103, v95 :: v_dual_mul_f32 v108, v103, v92
	s_delay_alu instid0(VALU_DEP_1) | instskip(NEXT) | instid1(VALU_DEP_2)
	v_pk_fma_f32 v[106:107], v[102:103], v[20:21], v[106:107] op_sel_hi:[1,1,0] neg_lo:[0,0,1] neg_hi:[0,0,1]
	v_pk_fma_f32 v[102:103], v[102:103], v[20:21], v[108:109] op_sel:[1,0,0] op_sel_hi:[0,1,0]
	s_delay_alu instid0(VALU_DEP_1) | instskip(SKIP_1) | instid1(VALU_DEP_2)
	v_mov_b32_e32 v107, v103
	v_pk_mul_f32 v[102:103], v[104:105], v[94:95] op_sel:[0,1]
	v_pk_add_f32 v[86:87], v[86:87], v[106:107] neg_lo:[0,1] neg_hi:[0,1]
	s_delay_alu instid0(VALU_DEP_2) | instskip(SKIP_1) | instid1(VALU_DEP_1)
	v_pk_fma_f32 v[106:107], v[104:105], v[92:93], v[102:103] op_sel:[0,0,1] op_sel_hi:[1,1,0] neg_lo:[0,0,1] neg_hi:[0,0,1]
	v_pk_fma_f32 v[102:103], v[104:105], v[92:93], v[102:103] op_sel:[0,0,1] op_sel_hi:[1,0,0]
	v_mov_b32_e32 v107, v103
	ds_load_2addr_b64 v[102:105], v96 offset0:35 offset1:36
	v_pk_add_f32 v[60:61], v[60:61], v[106:107] neg_lo:[0,1] neg_hi:[0,1]
	s_wait_dscnt 0x0
	v_pk_mul_f32 v[106:107], v[102:103], v[94:95] op_sel:[0,1]
	s_delay_alu instid0(VALU_DEP_1) | instskip(SKIP_1) | instid1(VALU_DEP_1)
	v_pk_fma_f32 v[108:109], v[102:103], v[92:93], v[106:107] op_sel:[0,0,1] op_sel_hi:[1,1,0] neg_lo:[0,0,1] neg_hi:[0,0,1]
	v_pk_fma_f32 v[102:103], v[102:103], v[92:93], v[106:107] op_sel:[0,0,1] op_sel_hi:[1,0,0]
	v_mov_b32_e32 v109, v103
	v_pk_mul_f32 v[102:103], v[104:105], v[94:95] op_sel:[0,1]
	s_delay_alu instid0(VALU_DEP_2) | instskip(NEXT) | instid1(VALU_DEP_2)
	v_pk_add_f32 v[58:59], v[58:59], v[108:109] neg_lo:[0,1] neg_hi:[0,1]
	v_pk_fma_f32 v[106:107], v[104:105], v[92:93], v[102:103] op_sel:[0,0,1] op_sel_hi:[1,1,0] neg_lo:[0,0,1] neg_hi:[0,0,1]
	v_pk_fma_f32 v[102:103], v[104:105], v[92:93], v[102:103] op_sel:[0,0,1] op_sel_hi:[1,0,0]
	s_delay_alu instid0(VALU_DEP_1) | instskip(SKIP_4) | instid1(VALU_DEP_1)
	v_mov_b32_e32 v107, v103
	ds_load_2addr_b64 v[102:105], v96 offset0:37 offset1:38
	v_pk_add_f32 v[82:83], v[82:83], v[106:107] neg_lo:[0,1] neg_hi:[0,1]
	s_wait_dscnt 0x0
	v_pk_mul_f32 v[106:107], v[102:103], v[94:95] op_sel:[0,1]
	v_pk_fma_f32 v[108:109], v[102:103], v[92:93], v[106:107] op_sel:[0,0,1] op_sel_hi:[1,1,0] neg_lo:[0,0,1] neg_hi:[0,0,1]
	v_pk_fma_f32 v[102:103], v[102:103], v[92:93], v[106:107] op_sel:[0,0,1] op_sel_hi:[1,0,0]
	v_dual_mul_f32 v106, v105, v95 :: v_dual_mov_b32 v102, v105
	s_delay_alu instid0(VALU_DEP_2) | instskip(NEXT) | instid1(VALU_DEP_2)
	v_dual_mov_b32 v109, v103 :: v_dual_mov_b32 v103, v104
	v_pk_fma_f32 v[106:107], v[104:105], v[20:21], v[106:107] op_sel_hi:[1,1,0] neg_lo:[0,0,1] neg_hi:[0,0,1]
	v_mul_f32_e32 v104, v105, v92
	s_delay_alu instid0(VALU_DEP_3) | instskip(NEXT) | instid1(VALU_DEP_2)
	v_pk_add_f32 v[80:81], v[80:81], v[108:109] neg_lo:[0,1] neg_hi:[0,1]
	v_pk_fma_f32 v[102:103], v[102:103], v[20:21], v[104:105] op_sel_hi:[1,1,0]
	s_delay_alu instid0(VALU_DEP_1) | instskip(SKIP_4) | instid1(VALU_DEP_1)
	v_mov_b32_e32 v107, v103
	ds_load_2addr_b64 v[102:105], v96 offset0:39 offset1:40
	v_pk_add_f32 v[64:65], v[64:65], v[106:107] neg_lo:[0,1] neg_hi:[0,1]
	s_wait_dscnt 0x0
	v_pk_mul_f32 v[106:107], v[102:103], v[94:95] op_sel:[0,1]
	v_pk_fma_f32 v[108:109], v[102:103], v[92:93], v[106:107] op_sel:[0,0,1] op_sel_hi:[1,1,0] neg_lo:[0,0,1] neg_hi:[0,0,1]
	v_pk_fma_f32 v[102:103], v[102:103], v[92:93], v[106:107] op_sel:[0,0,1] op_sel_hi:[1,0,0]
	s_delay_alu instid0(VALU_DEP_1) | instskip(SKIP_1) | instid1(VALU_DEP_1)
	v_mov_b32_e32 v109, v103
	v_pk_mul_f32 v[102:103], v[104:105], v[94:95] op_sel:[0,1]
	v_pk_fma_f32 v[106:107], v[104:105], v[92:93], v[102:103] op_sel:[0,0,1] op_sel_hi:[1,1,0] neg_lo:[0,0,1] neg_hi:[0,0,1]
	v_pk_fma_f32 v[102:103], v[104:105], v[92:93], v[102:103] op_sel:[0,0,1] op_sel_hi:[1,0,0]
	s_delay_alu instid0(VALU_DEP_1)
	v_mov_b32_e32 v107, v103
	ds_load_2addr_b64 v[102:105], v96 offset0:41 offset1:42
	v_pk_add_f32 v[62:63], v[62:63], v[108:109] neg_lo:[0,1] neg_hi:[0,1]
	v_pk_add_f32 v[72:73], v[72:73], v[106:107] neg_lo:[0,1] neg_hi:[0,1]
	s_wait_dscnt 0x0
	v_pk_mul_f32 v[106:107], v[102:103], v[94:95] op_sel:[0,1]
	v_pk_mul_f32 v[94:95], v[104:105], v[94:95] op_sel:[0,1]
	s_delay_alu instid0(VALU_DEP_2) | instskip(SKIP_1) | instid1(VALU_DEP_1)
	v_pk_fma_f32 v[108:109], v[102:103], v[92:93], v[106:107] op_sel:[0,0,1] op_sel_hi:[1,1,0] neg_lo:[0,0,1] neg_hi:[0,0,1]
	v_pk_fma_f32 v[102:103], v[102:103], v[92:93], v[106:107] op_sel:[0,0,1] op_sel_hi:[1,0,0]
	v_mov_b32_e32 v109, v103
	s_delay_alu instid0(VALU_DEP_4) | instskip(SKIP_1) | instid1(VALU_DEP_1)
	v_pk_fma_f32 v[102:103], v[104:105], v[92:93], v[94:95] op_sel:[0,0,1] op_sel_hi:[1,1,0] neg_lo:[0,0,1] neg_hi:[0,0,1]
	v_pk_fma_f32 v[92:93], v[104:105], v[92:93], v[94:95] op_sel:[0,0,1] op_sel_hi:[1,0,0]
	v_mov_b32_e32 v103, v93
	s_delay_alu instid0(VALU_DEP_4) | instskip(NEXT) | instid1(VALU_DEP_2)
	v_pk_add_f32 v[70:71], v[70:71], v[108:109] neg_lo:[0,1] neg_hi:[0,1]
	v_pk_add_f32 v[90:91], v[90:91], v[102:103] neg_lo:[0,1] neg_hi:[0,1]
.LBB84_314:
	s_or_b32 exec_lo, exec_lo, s0
	v_lshl_add_u32 v92, v100, 3, v96
	s_barrier_signal -1
	s_barrier_wait -1
	ds_store_b64 v92, v[18:19]
	s_wait_dscnt 0x0
	s_barrier_signal -1
	s_barrier_wait -1
	ds_load_b64 v[94:95], v96 offset:120
	v_mov_b32_e32 v92, 15
	s_cmp_lt_i32 s14, 17
	s_cbranch_scc1 .LBB84_317
; %bb.315:
	v_add3_u32 v93, v97, 0, 0x80
	v_mov_b32_e32 v92, 15
	s_mov_b32 s0, 16
.LBB84_316:                             ; =>This Inner Loop Header: Depth=1
	ds_load_b64 v[102:103], v93
	s_wait_dscnt 0x1
	v_cmp_gt_f32_e32 vcc_lo, 0, v94
	v_cndmask_b32_e64 v104, v94, -v94, vcc_lo
	v_cmp_gt_f32_e32 vcc_lo, 0, v95
	v_cndmask_b32_e64 v106, v95, -v95, vcc_lo
	s_wait_dscnt 0x0
	v_cmp_gt_f32_e32 vcc_lo, 0, v102
	v_cndmask_b32_e64 v105, v102, -v102, vcc_lo
	v_cmp_gt_f32_e32 vcc_lo, 0, v103
	v_cndmask_b32_e64 v107, v103, -v103, vcc_lo
	s_delay_alu instid0(VALU_DEP_1) | instskip(NEXT) | instid1(VALU_DEP_1)
	v_pk_add_f32 v[104:105], v[104:105], v[106:107]
	v_cmp_lt_f32_e32 vcc_lo, v104, v105
	v_dual_add_nc_u32 v93, 8, v93 :: v_dual_cndmask_b32 v95, v95, v103, vcc_lo
	v_cndmask_b32_e32 v94, v94, v102, vcc_lo
	v_cndmask_b32_e64 v92, v92, s0, vcc_lo
	s_add_co_i32 s0, s0, 1
	s_delay_alu instid0(SALU_CYCLE_1)
	s_cmp_lg_u32 s14, s0
	s_cbranch_scc1 .LBB84_316
.LBB84_317:
	s_wait_dscnt 0x0
	v_cmp_eq_f32_e32 vcc_lo, 0, v94
	v_cmp_eq_f32_e64 s0, 0, v95
	s_and_b32 s0, vcc_lo, s0
	s_delay_alu instid0(SALU_CYCLE_1) | instskip(NEXT) | instid1(SALU_CYCLE_1)
	s_and_saveexec_b32 s1, s0
	s_xor_b32 s0, exec_lo, s1
; %bb.318:
	v_cmp_ne_u32_e32 vcc_lo, 0, v98
	v_cndmask_b32_e32 v98, 16, v98, vcc_lo
; %bb.319:
	s_and_not1_saveexec_b32 s0, s0
	s_cbranch_execz .LBB84_325
; %bb.320:
	v_cmp_ngt_f32_e64 s1, |v94|, |v95|
	s_and_saveexec_b32 s15, s1
	s_delay_alu instid0(SALU_CYCLE_1)
	s_xor_b32 s1, exec_lo, s15
	s_cbranch_execz .LBB84_322
; %bb.321:
	v_div_scale_f32 v93, null, v95, v95, v94
	v_div_scale_f32 v103, vcc_lo, v94, v95, v94
	s_delay_alu instid0(VALU_DEP_2) | instskip(SKIP_1) | instid1(TRANS32_DEP_1)
	v_rcp_f32_e32 v101, v93
	v_nop
	v_fma_f32 v102, -v93, v101, 1.0
	s_delay_alu instid0(VALU_DEP_1) | instskip(NEXT) | instid1(VALU_DEP_1)
	v_fmac_f32_e32 v101, v102, v101
	v_mul_f32_e32 v102, v103, v101
	s_delay_alu instid0(VALU_DEP_1) | instskip(NEXT) | instid1(VALU_DEP_1)
	v_fma_f32 v104, -v93, v102, v103
	v_fmac_f32_e32 v102, v104, v101
	s_delay_alu instid0(VALU_DEP_1) | instskip(NEXT) | instid1(VALU_DEP_1)
	v_fma_f32 v93, -v93, v102, v103
	v_div_fmas_f32 v93, v93, v101, v102
	s_delay_alu instid0(VALU_DEP_1) | instskip(NEXT) | instid1(VALU_DEP_1)
	v_div_fixup_f32 v93, v93, v95, v94
	v_fmac_f32_e32 v95, v94, v93
	s_delay_alu instid0(VALU_DEP_1) | instskip(SKIP_1) | instid1(VALU_DEP_2)
	v_div_scale_f32 v94, null, v95, v95, 1.0
	v_div_scale_f32 v103, vcc_lo, 1.0, v95, 1.0
	v_rcp_f32_e32 v101, v94
	v_nop
	s_delay_alu instid0(TRANS32_DEP_1) | instskip(NEXT) | instid1(VALU_DEP_1)
	v_fma_f32 v102, -v94, v101, 1.0
	v_fmac_f32_e32 v101, v102, v101
	s_delay_alu instid0(VALU_DEP_1) | instskip(NEXT) | instid1(VALU_DEP_1)
	v_mul_f32_e32 v102, v103, v101
	v_fma_f32 v104, -v94, v102, v103
	s_delay_alu instid0(VALU_DEP_1) | instskip(NEXT) | instid1(VALU_DEP_1)
	v_fmac_f32_e32 v102, v104, v101
	v_fma_f32 v94, -v94, v102, v103
	s_delay_alu instid0(VALU_DEP_1) | instskip(NEXT) | instid1(VALU_DEP_1)
	v_div_fmas_f32 v94, v94, v101, v102
	v_div_fixup_f32 v95, v94, v95, 1.0
	s_delay_alu instid0(VALU_DEP_1)
	v_mul_f32_e32 v94, v93, v95
	v_xor_b32_e32 v95, 0x80000000, v95
.LBB84_322:
	s_and_not1_saveexec_b32 s1, s1
	s_cbranch_execz .LBB84_324
; %bb.323:
	s_delay_alu instid0(VALU_DEP_1) | instskip(SKIP_1) | instid1(VALU_DEP_2)
	v_div_scale_f32 v93, null, v94, v94, v95
	v_div_scale_f32 v103, vcc_lo, v95, v94, v95
	v_rcp_f32_e32 v101, v93
	v_nop
	s_delay_alu instid0(TRANS32_DEP_1) | instskip(NEXT) | instid1(VALU_DEP_1)
	v_fma_f32 v102, -v93, v101, 1.0
	v_fmac_f32_e32 v101, v102, v101
	s_delay_alu instid0(VALU_DEP_1) | instskip(NEXT) | instid1(VALU_DEP_1)
	v_mul_f32_e32 v102, v103, v101
	v_fma_f32 v104, -v93, v102, v103
	s_delay_alu instid0(VALU_DEP_1) | instskip(NEXT) | instid1(VALU_DEP_1)
	v_fmac_f32_e32 v102, v104, v101
	v_fma_f32 v93, -v93, v102, v103
	s_delay_alu instid0(VALU_DEP_1) | instskip(NEXT) | instid1(VALU_DEP_1)
	v_div_fmas_f32 v93, v93, v101, v102
	v_div_fixup_f32 v93, v93, v94, v95
	s_delay_alu instid0(VALU_DEP_1) | instskip(NEXT) | instid1(VALU_DEP_1)
	v_fmac_f32_e32 v94, v95, v93
	v_div_scale_f32 v95, null, v94, v94, 1.0
	s_delay_alu instid0(VALU_DEP_1) | instskip(SKIP_1) | instid1(TRANS32_DEP_1)
	v_rcp_f32_e32 v101, v95
	v_nop
	v_fma_f32 v102, -v95, v101, 1.0
	s_delay_alu instid0(VALU_DEP_1) | instskip(SKIP_1) | instid1(VALU_DEP_1)
	v_fmac_f32_e32 v101, v102, v101
	v_div_scale_f32 v102, vcc_lo, 1.0, v94, 1.0
	v_mul_f32_e32 v103, v102, v101
	s_delay_alu instid0(VALU_DEP_1) | instskip(NEXT) | instid1(VALU_DEP_1)
	v_fma_f32 v104, -v95, v103, v102
	v_fmac_f32_e32 v103, v104, v101
	s_delay_alu instid0(VALU_DEP_1) | instskip(NEXT) | instid1(VALU_DEP_1)
	v_fma_f32 v95, -v95, v103, v102
	v_div_fmas_f32 v95, v95, v101, v103
	s_delay_alu instid0(VALU_DEP_1) | instskip(NEXT) | instid1(VALU_DEP_1)
	v_div_fixup_f32 v94, v95, v94, 1.0
	v_mul_f32_e64 v95, v93, -v94
.LBB84_324:
	s_or_b32 exec_lo, exec_lo, s1
.LBB84_325:
	s_delay_alu instid0(SALU_CYCLE_1) | instskip(NEXT) | instid1(SALU_CYCLE_1)
	s_or_b32 exec_lo, exec_lo, s0
	s_mov_b32 s0, exec_lo
	v_cmpx_ne_u32_e64 v100, v92
	s_xor_b32 s0, exec_lo, s0
	s_cbranch_execz .LBB84_331
; %bb.326:
	s_mov_b32 s1, exec_lo
	v_cmpx_eq_u32_e32 15, v100
	s_cbranch_execz .LBB84_330
; %bb.327:
	v_cmp_ne_u32_e32 vcc_lo, 15, v92
	s_xor_b32 s15, s12, -1
	s_delay_alu instid0(SALU_CYCLE_1) | instskip(NEXT) | instid1(SALU_CYCLE_1)
	s_and_b32 s16, s15, vcc_lo
	s_and_saveexec_b32 s15, s16
	s_cbranch_execz .LBB84_329
; %bb.328:
	v_ashrrev_i32_e32 v93, 31, v92
	s_delay_alu instid0(VALU_DEP_1)
	v_lshl_add_u64 v[100:101], v[92:93], 2, v[4:5]
	s_clause 0x1
	global_load_b32 v93, v[100:101], off
	global_load_b32 v99, v[4:5], off offset:60
	s_wait_loadcnt 0x1
	global_store_b32 v[4:5], v93, off offset:60
	s_wait_loadcnt 0x0
	global_store_b32 v[100:101], v99, off
.LBB84_329:
	s_wait_xcnt 0x0
	s_or_b32 exec_lo, exec_lo, s15
	v_dual_mov_b32 v100, v92 :: v_dual_mov_b32 v99, v92
.LBB84_330:
	s_or_b32 exec_lo, exec_lo, s1
.LBB84_331:
	s_and_not1_saveexec_b32 s0, s0
	s_cbranch_execz .LBB84_333
; %bb.332:
	v_dual_mov_b32 v92, v46 :: v_dual_mov_b32 v93, v47
	v_dual_mov_b32 v100, v44 :: v_dual_mov_b32 v101, v45
	ds_store_2addr_b64 v96, v[92:93], v[100:101] offset0:16 offset1:17
	v_dual_mov_b32 v92, v28 :: v_dual_mov_b32 v93, v29
	v_dual_mov_b32 v100, v26 :: v_dual_mov_b32 v101, v27
	ds_store_2addr_b64 v96, v[92:93], v[100:101] offset0:18 offset1:19
	;; [unrolled: 3-line block ×13, first 2 shown]
	ds_store_b64 v96, v[90:91] offset:336
	v_mov_b32_e32 v100, 15
.LBB84_333:
	s_or_b32 exec_lo, exec_lo, s0
	s_delay_alu instid0(SALU_CYCLE_1)
	s_mov_b32 s0, exec_lo
	s_wait_storecnt_dscnt 0x0
	s_barrier_signal -1
	s_barrier_wait -1
	v_cmpx_lt_i32_e32 15, v100
	s_cbranch_execz .LBB84_335
; %bb.334:
	v_pk_mul_f32 v[102:103], v[94:95], v[18:19] op_sel:[1,1] op_sel_hi:[0,1]
	s_delay_alu instid0(VALU_DEP_1)
	v_pk_fma_f32 v[92:93], v[94:95], v[18:19], v[102:103] op_sel_hi:[1,0,1] neg_lo:[0,0,1] neg_hi:[0,0,1]
	v_pk_fma_f32 v[94:95], v[94:95], v[18:19], v[102:103] op_sel_hi:[1,0,1]
	ds_load_2addr_b64 v[102:105], v96 offset0:16 offset1:17
	v_dual_mov_b32 v18, v92 :: v_dual_mov_b32 v19, v95
	s_wait_dscnt 0x0
	v_pk_mul_f32 v[106:107], v[102:103], v[94:95] op_sel:[0,1]
	s_delay_alu instid0(VALU_DEP_1) | instskip(SKIP_1) | instid1(VALU_DEP_1)
	v_pk_fma_f32 v[108:109], v[102:103], v[92:93], v[106:107] op_sel:[0,0,1] op_sel_hi:[1,1,0] neg_lo:[0,0,1] neg_hi:[0,0,1]
	v_pk_fma_f32 v[102:103], v[102:103], v[92:93], v[106:107] op_sel:[0,0,1] op_sel_hi:[1,0,0]
	v_mov_b32_e32 v109, v103
	v_pk_mul_f32 v[102:103], v[104:105], v[94:95] op_sel:[0,1]
	s_delay_alu instid0(VALU_DEP_1) | instskip(SKIP_1) | instid1(VALU_DEP_1)
	v_pk_fma_f32 v[106:107], v[104:105], v[92:93], v[102:103] op_sel:[0,0,1] op_sel_hi:[1,1,0] neg_lo:[0,0,1] neg_hi:[0,0,1]
	v_pk_fma_f32 v[102:103], v[104:105], v[92:93], v[102:103] op_sel:[0,0,1] op_sel_hi:[1,0,0]
	v_mov_b32_e32 v107, v103
	ds_load_2addr_b64 v[102:105], v96 offset0:18 offset1:19
	v_pk_add_f32 v[46:47], v[46:47], v[108:109] neg_lo:[0,1] neg_hi:[0,1]
	v_pk_add_f32 v[44:45], v[44:45], v[106:107] neg_lo:[0,1] neg_hi:[0,1]
	s_wait_dscnt 0x0
	v_pk_mul_f32 v[106:107], v[102:103], v[94:95] op_sel:[0,1]
	s_delay_alu instid0(VALU_DEP_1) | instskip(SKIP_2) | instid1(VALU_DEP_2)
	v_pk_fma_f32 v[108:109], v[102:103], v[92:93], v[106:107] op_sel:[0,0,1] op_sel_hi:[1,1,0] neg_lo:[0,0,1] neg_hi:[0,0,1]
	v_pk_fma_f32 v[102:103], v[102:103], v[92:93], v[106:107] op_sel:[0,0,1] op_sel_hi:[1,0,0]
	v_dual_mul_f32 v106, v105, v95 :: v_dual_mov_b32 v102, v105
	v_dual_mov_b32 v109, v103 :: v_dual_mov_b32 v103, v104
	s_delay_alu instid0(VALU_DEP_2) | instskip(SKIP_1) | instid1(VALU_DEP_3)
	v_pk_fma_f32 v[106:107], v[104:105], v[18:19], v[106:107] op_sel_hi:[1,1,0] neg_lo:[0,0,1] neg_hi:[0,0,1]
	v_mul_f32_e32 v104, v105, v92
	v_pk_add_f32 v[28:29], v[28:29], v[108:109] neg_lo:[0,1] neg_hi:[0,1]
	s_delay_alu instid0(VALU_DEP_2) | instskip(NEXT) | instid1(VALU_DEP_1)
	v_pk_fma_f32 v[102:103], v[102:103], v[18:19], v[104:105] op_sel_hi:[1,1,0]
	v_mov_b32_e32 v107, v103
	ds_load_2addr_b64 v[102:105], v96 offset0:20 offset1:21
	v_pk_add_f32 v[26:27], v[26:27], v[106:107] neg_lo:[0,1] neg_hi:[0,1]
	s_wait_dscnt 0x0
	v_pk_mul_f32 v[106:107], v[102:103], v[94:95] op_sel:[0,1]
	s_delay_alu instid0(VALU_DEP_1) | instskip(SKIP_1) | instid1(VALU_DEP_1)
	v_pk_fma_f32 v[108:109], v[102:103], v[92:93], v[106:107] op_sel:[0,0,1] op_sel_hi:[1,1,0] neg_lo:[0,0,1] neg_hi:[0,0,1]
	v_pk_fma_f32 v[102:103], v[102:103], v[92:93], v[106:107] op_sel:[0,0,1] op_sel_hi:[1,0,0]
	v_mov_b32_e32 v109, v103
	v_pk_mul_f32 v[102:103], v[104:105], v[94:95] op_sel:[0,1]
	s_delay_alu instid0(VALU_DEP_1) | instskip(SKIP_1) | instid1(VALU_DEP_1)
	v_pk_fma_f32 v[106:107], v[104:105], v[92:93], v[102:103] op_sel:[0,0,1] op_sel_hi:[1,1,0] neg_lo:[0,0,1] neg_hi:[0,0,1]
	v_pk_fma_f32 v[102:103], v[104:105], v[92:93], v[102:103] op_sel:[0,0,1] op_sel_hi:[1,0,0]
	v_mov_b32_e32 v107, v103
	ds_load_2addr_b64 v[102:105], v96 offset0:22 offset1:23
	v_pk_add_f32 v[54:55], v[54:55], v[108:109] neg_lo:[0,1] neg_hi:[0,1]
	v_pk_add_f32 v[52:53], v[52:53], v[106:107] neg_lo:[0,1] neg_hi:[0,1]
	s_wait_dscnt 0x0
	v_pk_mul_f32 v[106:107], v[102:103], v[94:95] op_sel:[0,1]
	s_delay_alu instid0(VALU_DEP_1) | instskip(SKIP_1) | instid1(VALU_DEP_1)
	v_pk_fma_f32 v[108:109], v[102:103], v[92:93], v[106:107] op_sel:[0,0,1] op_sel_hi:[1,1,0] neg_lo:[0,0,1] neg_hi:[0,0,1]
	v_pk_fma_f32 v[102:103], v[102:103], v[92:93], v[106:107] op_sel:[0,0,1] op_sel_hi:[1,0,0]
	v_mov_b32_e32 v109, v103
	v_pk_mul_f32 v[102:103], v[104:105], v[94:95] op_sel:[0,1]
	s_delay_alu instid0(VALU_DEP_1) | instskip(SKIP_1) | instid1(VALU_DEP_1)
	v_pk_fma_f32 v[106:107], v[104:105], v[92:93], v[102:103] op_sel:[0,0,1] op_sel_hi:[1,1,0] neg_lo:[0,0,1] neg_hi:[0,0,1]
	v_pk_fma_f32 v[102:103], v[104:105], v[92:93], v[102:103] op_sel:[0,0,1] op_sel_hi:[1,0,0]
	v_mov_b32_e32 v107, v103
	ds_load_2addr_b64 v[102:105], v96 offset0:24 offset1:25
	v_pk_add_f32 v[32:33], v[32:33], v[108:109] neg_lo:[0,1] neg_hi:[0,1]
	v_pk_add_f32 v[30:31], v[30:31], v[106:107] neg_lo:[0,1] neg_hi:[0,1]
	s_wait_dscnt 0x0
	v_dual_mul_f32 v106, v103, v95 :: v_dual_mul_f32 v108, v103, v92
	s_delay_alu instid0(VALU_DEP_1) | instskip(NEXT) | instid1(VALU_DEP_2)
	v_pk_fma_f32 v[106:107], v[102:103], v[18:19], v[106:107] op_sel_hi:[1,1,0] neg_lo:[0,0,1] neg_hi:[0,0,1]
	v_pk_fma_f32 v[102:103], v[102:103], v[18:19], v[108:109] op_sel:[1,0,0] op_sel_hi:[0,1,0]
	s_delay_alu instid0(VALU_DEP_1) | instskip(SKIP_1) | instid1(VALU_DEP_2)
	v_mov_b32_e32 v107, v103
	v_pk_mul_f32 v[102:103], v[104:105], v[94:95] op_sel:[0,1]
	v_pk_add_f32 v[68:69], v[68:69], v[106:107] neg_lo:[0,1] neg_hi:[0,1]
	s_delay_alu instid0(VALU_DEP_2) | instskip(SKIP_1) | instid1(VALU_DEP_1)
	v_pk_fma_f32 v[106:107], v[104:105], v[92:93], v[102:103] op_sel:[0,0,1] op_sel_hi:[1,1,0] neg_lo:[0,0,1] neg_hi:[0,0,1]
	v_pk_fma_f32 v[102:103], v[104:105], v[92:93], v[102:103] op_sel:[0,0,1] op_sel_hi:[1,0,0]
	v_mov_b32_e32 v107, v103
	ds_load_2addr_b64 v[102:105], v96 offset0:26 offset1:27
	v_pk_add_f32 v[66:67], v[66:67], v[106:107] neg_lo:[0,1] neg_hi:[0,1]
	s_wait_dscnt 0x0
	v_pk_mul_f32 v[106:107], v[102:103], v[94:95] op_sel:[0,1]
	s_delay_alu instid0(VALU_DEP_1) | instskip(SKIP_1) | instid1(VALU_DEP_1)
	v_pk_fma_f32 v[108:109], v[102:103], v[92:93], v[106:107] op_sel:[0,0,1] op_sel_hi:[1,1,0] neg_lo:[0,0,1] neg_hi:[0,0,1]
	v_pk_fma_f32 v[102:103], v[102:103], v[92:93], v[106:107] op_sel:[0,0,1] op_sel_hi:[1,0,0]
	v_mov_b32_e32 v109, v103
	v_pk_mul_f32 v[102:103], v[104:105], v[94:95] op_sel:[0,1]
	s_delay_alu instid0(VALU_DEP_2) | instskip(NEXT) | instid1(VALU_DEP_2)
	v_pk_add_f32 v[40:41], v[40:41], v[108:109] neg_lo:[0,1] neg_hi:[0,1]
	v_pk_fma_f32 v[106:107], v[104:105], v[92:93], v[102:103] op_sel:[0,0,1] op_sel_hi:[1,1,0] neg_lo:[0,0,1] neg_hi:[0,0,1]
	v_pk_fma_f32 v[102:103], v[104:105], v[92:93], v[102:103] op_sel:[0,0,1] op_sel_hi:[1,0,0]
	s_delay_alu instid0(VALU_DEP_1) | instskip(SKIP_4) | instid1(VALU_DEP_1)
	v_mov_b32_e32 v107, v103
	ds_load_2addr_b64 v[102:105], v96 offset0:28 offset1:29
	v_pk_add_f32 v[38:39], v[38:39], v[106:107] neg_lo:[0,1] neg_hi:[0,1]
	s_wait_dscnt 0x0
	v_pk_mul_f32 v[106:107], v[102:103], v[94:95] op_sel:[0,1]
	v_pk_fma_f32 v[108:109], v[102:103], v[92:93], v[106:107] op_sel:[0,0,1] op_sel_hi:[1,1,0] neg_lo:[0,0,1] neg_hi:[0,0,1]
	v_pk_fma_f32 v[102:103], v[102:103], v[92:93], v[106:107] op_sel:[0,0,1] op_sel_hi:[1,0,0]
	v_dual_mul_f32 v106, v105, v95 :: v_dual_mov_b32 v102, v105
	s_delay_alu instid0(VALU_DEP_2) | instskip(NEXT) | instid1(VALU_DEP_2)
	v_dual_mov_b32 v109, v103 :: v_dual_mov_b32 v103, v104
	v_pk_fma_f32 v[106:107], v[104:105], v[18:19], v[106:107] op_sel_hi:[1,1,0] neg_lo:[0,0,1] neg_hi:[0,0,1]
	v_mul_f32_e32 v104, v105, v92
	s_delay_alu instid0(VALU_DEP_3) | instskip(NEXT) | instid1(VALU_DEP_2)
	v_pk_add_f32 v[76:77], v[76:77], v[108:109] neg_lo:[0,1] neg_hi:[0,1]
	v_pk_fma_f32 v[102:103], v[102:103], v[18:19], v[104:105] op_sel_hi:[1,1,0]
	s_delay_alu instid0(VALU_DEP_1) | instskip(SKIP_4) | instid1(VALU_DEP_1)
	v_mov_b32_e32 v107, v103
	ds_load_2addr_b64 v[102:105], v96 offset0:30 offset1:31
	v_pk_add_f32 v[74:75], v[74:75], v[106:107] neg_lo:[0,1] neg_hi:[0,1]
	s_wait_dscnt 0x0
	v_pk_mul_f32 v[106:107], v[102:103], v[94:95] op_sel:[0,1]
	v_pk_fma_f32 v[108:109], v[102:103], v[92:93], v[106:107] op_sel:[0,0,1] op_sel_hi:[1,1,0] neg_lo:[0,0,1] neg_hi:[0,0,1]
	v_pk_fma_f32 v[102:103], v[102:103], v[92:93], v[106:107] op_sel:[0,0,1] op_sel_hi:[1,0,0]
	s_delay_alu instid0(VALU_DEP_1) | instskip(SKIP_1) | instid1(VALU_DEP_1)
	v_mov_b32_e32 v109, v103
	v_pk_mul_f32 v[102:103], v[104:105], v[94:95] op_sel:[0,1]
	v_pk_fma_f32 v[106:107], v[104:105], v[92:93], v[102:103] op_sel:[0,0,1] op_sel_hi:[1,1,0] neg_lo:[0,0,1] neg_hi:[0,0,1]
	v_pk_fma_f32 v[102:103], v[104:105], v[92:93], v[102:103] op_sel:[0,0,1] op_sel_hi:[1,0,0]
	s_delay_alu instid0(VALU_DEP_1)
	v_mov_b32_e32 v107, v103
	ds_load_2addr_b64 v[102:105], v96 offset0:32 offset1:33
	v_pk_add_f32 v[50:51], v[50:51], v[108:109] neg_lo:[0,1] neg_hi:[0,1]
	v_pk_add_f32 v[48:49], v[48:49], v[106:107] neg_lo:[0,1] neg_hi:[0,1]
	s_wait_dscnt 0x0
	v_pk_mul_f32 v[106:107], v[102:103], v[94:95] op_sel:[0,1]
	s_delay_alu instid0(VALU_DEP_1) | instskip(SKIP_1) | instid1(VALU_DEP_1)
	v_pk_fma_f32 v[108:109], v[102:103], v[92:93], v[106:107] op_sel:[0,0,1] op_sel_hi:[1,1,0] neg_lo:[0,0,1] neg_hi:[0,0,1]
	v_pk_fma_f32 v[102:103], v[102:103], v[92:93], v[106:107] op_sel:[0,0,1] op_sel_hi:[1,0,0]
	v_mov_b32_e32 v109, v103
	v_pk_mul_f32 v[102:103], v[104:105], v[94:95] op_sel:[0,1]
	s_delay_alu instid0(VALU_DEP_1) | instskip(SKIP_1) | instid1(VALU_DEP_1)
	v_pk_fma_f32 v[106:107], v[104:105], v[92:93], v[102:103] op_sel:[0,0,1] op_sel_hi:[1,1,0] neg_lo:[0,0,1] neg_hi:[0,0,1]
	v_pk_fma_f32 v[102:103], v[104:105], v[92:93], v[102:103] op_sel:[0,0,1] op_sel_hi:[1,0,0]
	v_mov_b32_e32 v107, v103
	ds_load_2addr_b64 v[102:105], v96 offset0:34 offset1:35
	v_pk_add_f32 v[88:89], v[88:89], v[108:109] neg_lo:[0,1] neg_hi:[0,1]
	v_pk_add_f32 v[86:87], v[86:87], v[106:107] neg_lo:[0,1] neg_hi:[0,1]
	s_wait_dscnt 0x0
	v_dual_mul_f32 v106, v103, v95 :: v_dual_mul_f32 v108, v103, v92
	s_delay_alu instid0(VALU_DEP_1) | instskip(NEXT) | instid1(VALU_DEP_2)
	v_pk_fma_f32 v[106:107], v[102:103], v[18:19], v[106:107] op_sel_hi:[1,1,0] neg_lo:[0,0,1] neg_hi:[0,0,1]
	v_pk_fma_f32 v[102:103], v[102:103], v[18:19], v[108:109] op_sel:[1,0,0] op_sel_hi:[0,1,0]
	s_delay_alu instid0(VALU_DEP_1) | instskip(SKIP_1) | instid1(VALU_DEP_2)
	v_mov_b32_e32 v107, v103
	v_pk_mul_f32 v[102:103], v[104:105], v[94:95] op_sel:[0,1]
	v_pk_add_f32 v[60:61], v[60:61], v[106:107] neg_lo:[0,1] neg_hi:[0,1]
	s_delay_alu instid0(VALU_DEP_2) | instskip(SKIP_1) | instid1(VALU_DEP_1)
	v_pk_fma_f32 v[106:107], v[104:105], v[92:93], v[102:103] op_sel:[0,0,1] op_sel_hi:[1,1,0] neg_lo:[0,0,1] neg_hi:[0,0,1]
	v_pk_fma_f32 v[102:103], v[104:105], v[92:93], v[102:103] op_sel:[0,0,1] op_sel_hi:[1,0,0]
	v_mov_b32_e32 v107, v103
	ds_load_2addr_b64 v[102:105], v96 offset0:36 offset1:37
	v_pk_add_f32 v[58:59], v[58:59], v[106:107] neg_lo:[0,1] neg_hi:[0,1]
	s_wait_dscnt 0x0
	v_pk_mul_f32 v[106:107], v[102:103], v[94:95] op_sel:[0,1]
	s_delay_alu instid0(VALU_DEP_1) | instskip(SKIP_1) | instid1(VALU_DEP_1)
	v_pk_fma_f32 v[108:109], v[102:103], v[92:93], v[106:107] op_sel:[0,0,1] op_sel_hi:[1,1,0] neg_lo:[0,0,1] neg_hi:[0,0,1]
	v_pk_fma_f32 v[102:103], v[102:103], v[92:93], v[106:107] op_sel:[0,0,1] op_sel_hi:[1,0,0]
	v_mov_b32_e32 v109, v103
	v_pk_mul_f32 v[102:103], v[104:105], v[94:95] op_sel:[0,1]
	s_delay_alu instid0(VALU_DEP_2) | instskip(NEXT) | instid1(VALU_DEP_2)
	v_pk_add_f32 v[82:83], v[82:83], v[108:109] neg_lo:[0,1] neg_hi:[0,1]
	v_pk_fma_f32 v[106:107], v[104:105], v[92:93], v[102:103] op_sel:[0,0,1] op_sel_hi:[1,1,0] neg_lo:[0,0,1] neg_hi:[0,0,1]
	v_pk_fma_f32 v[102:103], v[104:105], v[92:93], v[102:103] op_sel:[0,0,1] op_sel_hi:[1,0,0]
	s_delay_alu instid0(VALU_DEP_1) | instskip(SKIP_4) | instid1(VALU_DEP_1)
	v_mov_b32_e32 v107, v103
	ds_load_2addr_b64 v[102:105], v96 offset0:38 offset1:39
	v_pk_add_f32 v[80:81], v[80:81], v[106:107] neg_lo:[0,1] neg_hi:[0,1]
	s_wait_dscnt 0x0
	v_pk_mul_f32 v[106:107], v[102:103], v[94:95] op_sel:[0,1]
	v_pk_fma_f32 v[108:109], v[102:103], v[92:93], v[106:107] op_sel:[0,0,1] op_sel_hi:[1,1,0] neg_lo:[0,0,1] neg_hi:[0,0,1]
	v_pk_fma_f32 v[102:103], v[102:103], v[92:93], v[106:107] op_sel:[0,0,1] op_sel_hi:[1,0,0]
	v_dual_mul_f32 v106, v105, v95 :: v_dual_mov_b32 v102, v105
	s_delay_alu instid0(VALU_DEP_2) | instskip(NEXT) | instid1(VALU_DEP_2)
	v_dual_mov_b32 v109, v103 :: v_dual_mov_b32 v103, v104
	v_pk_fma_f32 v[106:107], v[104:105], v[18:19], v[106:107] op_sel_hi:[1,1,0] neg_lo:[0,0,1] neg_hi:[0,0,1]
	v_mul_f32_e32 v104, v105, v92
	s_delay_alu instid0(VALU_DEP_3) | instskip(NEXT) | instid1(VALU_DEP_2)
	v_pk_add_f32 v[64:65], v[64:65], v[108:109] neg_lo:[0,1] neg_hi:[0,1]
	v_pk_fma_f32 v[102:103], v[102:103], v[18:19], v[104:105] op_sel_hi:[1,1,0]
	s_delay_alu instid0(VALU_DEP_1) | instskip(SKIP_4) | instid1(VALU_DEP_1)
	v_mov_b32_e32 v107, v103
	ds_load_2addr_b64 v[102:105], v96 offset0:40 offset1:41
	v_pk_add_f32 v[62:63], v[62:63], v[106:107] neg_lo:[0,1] neg_hi:[0,1]
	s_wait_dscnt 0x0
	v_pk_mul_f32 v[106:107], v[102:103], v[94:95] op_sel:[0,1]
	v_pk_fma_f32 v[108:109], v[102:103], v[92:93], v[106:107] op_sel:[0,0,1] op_sel_hi:[1,1,0] neg_lo:[0,0,1] neg_hi:[0,0,1]
	v_pk_fma_f32 v[102:103], v[102:103], v[92:93], v[106:107] op_sel:[0,0,1] op_sel_hi:[1,0,0]
	s_delay_alu instid0(VALU_DEP_1) | instskip(SKIP_1) | instid1(VALU_DEP_1)
	v_mov_b32_e32 v109, v103
	v_pk_mul_f32 v[102:103], v[104:105], v[94:95] op_sel:[0,1]
	v_pk_fma_f32 v[106:107], v[104:105], v[92:93], v[102:103] op_sel:[0,0,1] op_sel_hi:[1,1,0] neg_lo:[0,0,1] neg_hi:[0,0,1]
	v_pk_fma_f32 v[102:103], v[104:105], v[92:93], v[102:103] op_sel:[0,0,1] op_sel_hi:[1,0,0]
	s_delay_alu instid0(VALU_DEP_1)
	v_mov_b32_e32 v107, v103
	ds_load_b64 v[102:103], v96 offset:336
	v_pk_add_f32 v[72:73], v[72:73], v[108:109] neg_lo:[0,1] neg_hi:[0,1]
	v_pk_add_f32 v[70:71], v[70:71], v[106:107] neg_lo:[0,1] neg_hi:[0,1]
	s_wait_dscnt 0x0
	v_pk_mul_f32 v[94:95], v[102:103], v[94:95] op_sel:[0,1]
	s_delay_alu instid0(VALU_DEP_1) | instskip(SKIP_1) | instid1(VALU_DEP_1)
	v_pk_fma_f32 v[104:105], v[102:103], v[92:93], v[94:95] op_sel:[0,0,1] op_sel_hi:[1,1,0] neg_lo:[0,0,1] neg_hi:[0,0,1]
	v_pk_fma_f32 v[92:93], v[102:103], v[92:93], v[94:95] op_sel:[0,0,1] op_sel_hi:[1,0,0]
	v_mov_b32_e32 v105, v93
	s_delay_alu instid0(VALU_DEP_1)
	v_pk_add_f32 v[90:91], v[90:91], v[104:105] neg_lo:[0,1] neg_hi:[0,1]
.LBB84_335:
	s_or_b32 exec_lo, exec_lo, s0
	v_lshl_add_u32 v92, v100, 3, v96
	s_barrier_signal -1
	s_barrier_wait -1
	ds_store_b64 v92, v[46:47]
	s_wait_dscnt 0x0
	s_barrier_signal -1
	s_barrier_wait -1
	ds_load_b64 v[94:95], v96 offset:128
	v_mov_b32_e32 v92, 16
	s_cmp_lt_i32 s14, 18
	s_cbranch_scc1 .LBB84_338
; %bb.336:
	v_add3_u32 v93, v97, 0, 0x88
	v_mov_b32_e32 v92, 16
	s_mov_b32 s0, 17
.LBB84_337:                             ; =>This Inner Loop Header: Depth=1
	ds_load_b64 v[102:103], v93
	s_wait_dscnt 0x1
	v_cmp_gt_f32_e32 vcc_lo, 0, v94
	v_cndmask_b32_e64 v104, v94, -v94, vcc_lo
	v_cmp_gt_f32_e32 vcc_lo, 0, v95
	v_cndmask_b32_e64 v106, v95, -v95, vcc_lo
	s_wait_dscnt 0x0
	v_cmp_gt_f32_e32 vcc_lo, 0, v102
	v_cndmask_b32_e64 v105, v102, -v102, vcc_lo
	v_cmp_gt_f32_e32 vcc_lo, 0, v103
	v_cndmask_b32_e64 v107, v103, -v103, vcc_lo
	s_delay_alu instid0(VALU_DEP_1) | instskip(NEXT) | instid1(VALU_DEP_1)
	v_pk_add_f32 v[104:105], v[104:105], v[106:107]
	v_cmp_lt_f32_e32 vcc_lo, v104, v105
	v_dual_add_nc_u32 v93, 8, v93 :: v_dual_cndmask_b32 v95, v95, v103, vcc_lo
	v_cndmask_b32_e32 v94, v94, v102, vcc_lo
	v_cndmask_b32_e64 v92, v92, s0, vcc_lo
	s_add_co_i32 s0, s0, 1
	s_delay_alu instid0(SALU_CYCLE_1)
	s_cmp_lg_u32 s14, s0
	s_cbranch_scc1 .LBB84_337
.LBB84_338:
	s_wait_dscnt 0x0
	v_cmp_eq_f32_e32 vcc_lo, 0, v94
	v_cmp_eq_f32_e64 s0, 0, v95
	s_and_b32 s0, vcc_lo, s0
	s_delay_alu instid0(SALU_CYCLE_1) | instskip(NEXT) | instid1(SALU_CYCLE_1)
	s_and_saveexec_b32 s1, s0
	s_xor_b32 s0, exec_lo, s1
; %bb.339:
	v_cmp_ne_u32_e32 vcc_lo, 0, v98
	v_cndmask_b32_e32 v98, 17, v98, vcc_lo
; %bb.340:
	s_and_not1_saveexec_b32 s0, s0
	s_cbranch_execz .LBB84_346
; %bb.341:
	v_cmp_ngt_f32_e64 s1, |v94|, |v95|
	s_and_saveexec_b32 s15, s1
	s_delay_alu instid0(SALU_CYCLE_1)
	s_xor_b32 s1, exec_lo, s15
	s_cbranch_execz .LBB84_343
; %bb.342:
	v_div_scale_f32 v93, null, v95, v95, v94
	v_div_scale_f32 v103, vcc_lo, v94, v95, v94
	s_delay_alu instid0(VALU_DEP_2) | instskip(SKIP_1) | instid1(TRANS32_DEP_1)
	v_rcp_f32_e32 v101, v93
	v_nop
	v_fma_f32 v102, -v93, v101, 1.0
	s_delay_alu instid0(VALU_DEP_1) | instskip(NEXT) | instid1(VALU_DEP_1)
	v_fmac_f32_e32 v101, v102, v101
	v_mul_f32_e32 v102, v103, v101
	s_delay_alu instid0(VALU_DEP_1) | instskip(NEXT) | instid1(VALU_DEP_1)
	v_fma_f32 v104, -v93, v102, v103
	v_fmac_f32_e32 v102, v104, v101
	s_delay_alu instid0(VALU_DEP_1) | instskip(NEXT) | instid1(VALU_DEP_1)
	v_fma_f32 v93, -v93, v102, v103
	v_div_fmas_f32 v93, v93, v101, v102
	s_delay_alu instid0(VALU_DEP_1) | instskip(NEXT) | instid1(VALU_DEP_1)
	v_div_fixup_f32 v93, v93, v95, v94
	v_fmac_f32_e32 v95, v94, v93
	s_delay_alu instid0(VALU_DEP_1) | instskip(SKIP_1) | instid1(VALU_DEP_2)
	v_div_scale_f32 v94, null, v95, v95, 1.0
	v_div_scale_f32 v103, vcc_lo, 1.0, v95, 1.0
	v_rcp_f32_e32 v101, v94
	v_nop
	s_delay_alu instid0(TRANS32_DEP_1) | instskip(NEXT) | instid1(VALU_DEP_1)
	v_fma_f32 v102, -v94, v101, 1.0
	v_fmac_f32_e32 v101, v102, v101
	s_delay_alu instid0(VALU_DEP_1) | instskip(NEXT) | instid1(VALU_DEP_1)
	v_mul_f32_e32 v102, v103, v101
	v_fma_f32 v104, -v94, v102, v103
	s_delay_alu instid0(VALU_DEP_1) | instskip(NEXT) | instid1(VALU_DEP_1)
	v_fmac_f32_e32 v102, v104, v101
	v_fma_f32 v94, -v94, v102, v103
	s_delay_alu instid0(VALU_DEP_1) | instskip(NEXT) | instid1(VALU_DEP_1)
	v_div_fmas_f32 v94, v94, v101, v102
	v_div_fixup_f32 v95, v94, v95, 1.0
	s_delay_alu instid0(VALU_DEP_1)
	v_mul_f32_e32 v94, v93, v95
	v_xor_b32_e32 v95, 0x80000000, v95
.LBB84_343:
	s_and_not1_saveexec_b32 s1, s1
	s_cbranch_execz .LBB84_345
; %bb.344:
	s_delay_alu instid0(VALU_DEP_1) | instskip(SKIP_1) | instid1(VALU_DEP_2)
	v_div_scale_f32 v93, null, v94, v94, v95
	v_div_scale_f32 v103, vcc_lo, v95, v94, v95
	v_rcp_f32_e32 v101, v93
	v_nop
	s_delay_alu instid0(TRANS32_DEP_1) | instskip(NEXT) | instid1(VALU_DEP_1)
	v_fma_f32 v102, -v93, v101, 1.0
	v_fmac_f32_e32 v101, v102, v101
	s_delay_alu instid0(VALU_DEP_1) | instskip(NEXT) | instid1(VALU_DEP_1)
	v_mul_f32_e32 v102, v103, v101
	v_fma_f32 v104, -v93, v102, v103
	s_delay_alu instid0(VALU_DEP_1) | instskip(NEXT) | instid1(VALU_DEP_1)
	v_fmac_f32_e32 v102, v104, v101
	v_fma_f32 v93, -v93, v102, v103
	s_delay_alu instid0(VALU_DEP_1) | instskip(NEXT) | instid1(VALU_DEP_1)
	v_div_fmas_f32 v93, v93, v101, v102
	v_div_fixup_f32 v93, v93, v94, v95
	s_delay_alu instid0(VALU_DEP_1) | instskip(NEXT) | instid1(VALU_DEP_1)
	v_fmac_f32_e32 v94, v95, v93
	v_div_scale_f32 v95, null, v94, v94, 1.0
	s_delay_alu instid0(VALU_DEP_1) | instskip(SKIP_1) | instid1(TRANS32_DEP_1)
	v_rcp_f32_e32 v101, v95
	v_nop
	v_fma_f32 v102, -v95, v101, 1.0
	s_delay_alu instid0(VALU_DEP_1) | instskip(SKIP_1) | instid1(VALU_DEP_1)
	v_fmac_f32_e32 v101, v102, v101
	v_div_scale_f32 v102, vcc_lo, 1.0, v94, 1.0
	v_mul_f32_e32 v103, v102, v101
	s_delay_alu instid0(VALU_DEP_1) | instskip(NEXT) | instid1(VALU_DEP_1)
	v_fma_f32 v104, -v95, v103, v102
	v_fmac_f32_e32 v103, v104, v101
	s_delay_alu instid0(VALU_DEP_1) | instskip(NEXT) | instid1(VALU_DEP_1)
	v_fma_f32 v95, -v95, v103, v102
	v_div_fmas_f32 v95, v95, v101, v103
	s_delay_alu instid0(VALU_DEP_1) | instskip(NEXT) | instid1(VALU_DEP_1)
	v_div_fixup_f32 v94, v95, v94, 1.0
	v_mul_f32_e64 v95, v93, -v94
.LBB84_345:
	s_or_b32 exec_lo, exec_lo, s1
.LBB84_346:
	s_delay_alu instid0(SALU_CYCLE_1) | instskip(NEXT) | instid1(SALU_CYCLE_1)
	s_or_b32 exec_lo, exec_lo, s0
	s_mov_b32 s0, exec_lo
	v_cmpx_ne_u32_e64 v100, v92
	s_xor_b32 s0, exec_lo, s0
	s_cbranch_execz .LBB84_352
; %bb.347:
	s_mov_b32 s1, exec_lo
	v_cmpx_eq_u32_e32 16, v100
	s_cbranch_execz .LBB84_351
; %bb.348:
	v_cmp_ne_u32_e32 vcc_lo, 16, v92
	s_xor_b32 s15, s12, -1
	s_delay_alu instid0(SALU_CYCLE_1) | instskip(NEXT) | instid1(SALU_CYCLE_1)
	s_and_b32 s16, s15, vcc_lo
	s_and_saveexec_b32 s15, s16
	s_cbranch_execz .LBB84_350
; %bb.349:
	v_ashrrev_i32_e32 v93, 31, v92
	s_delay_alu instid0(VALU_DEP_1)
	v_lshl_add_u64 v[100:101], v[92:93], 2, v[4:5]
	s_clause 0x1
	global_load_b32 v93, v[100:101], off
	global_load_b32 v99, v[4:5], off offset:64
	s_wait_loadcnt 0x1
	global_store_b32 v[4:5], v93, off offset:64
	s_wait_loadcnt 0x0
	global_store_b32 v[100:101], v99, off
.LBB84_350:
	s_wait_xcnt 0x0
	s_or_b32 exec_lo, exec_lo, s15
	v_dual_mov_b32 v100, v92 :: v_dual_mov_b32 v99, v92
.LBB84_351:
	s_or_b32 exec_lo, exec_lo, s1
.LBB84_352:
	s_and_not1_saveexec_b32 s0, s0
	s_cbranch_execz .LBB84_354
; %bb.353:
	v_mov_b32_e32 v100, 16
	ds_store_2addr_b64 v96, v[44:45], v[28:29] offset0:17 offset1:18
	ds_store_2addr_b64 v96, v[26:27], v[54:55] offset0:19 offset1:20
	;; [unrolled: 1-line block ×13, first 2 shown]
.LBB84_354:
	s_or_b32 exec_lo, exec_lo, s0
	s_delay_alu instid0(SALU_CYCLE_1)
	s_mov_b32 s0, exec_lo
	s_wait_storecnt_dscnt 0x0
	s_barrier_signal -1
	s_barrier_wait -1
	v_cmpx_lt_i32_e32 16, v100
	s_cbranch_execz .LBB84_356
; %bb.355:
	v_pk_mul_f32 v[102:103], v[94:95], v[46:47] op_sel:[1,1] op_sel_hi:[0,1]
	s_delay_alu instid0(VALU_DEP_1)
	v_pk_fma_f32 v[92:93], v[94:95], v[46:47], v[102:103] op_sel_hi:[1,0,1] neg_lo:[0,0,1] neg_hi:[0,0,1]
	v_pk_fma_f32 v[94:95], v[94:95], v[46:47], v[102:103] op_sel_hi:[1,0,1]
	ds_load_2addr_b64 v[102:105], v96 offset0:17 offset1:18
	v_dual_mov_b32 v46, v92 :: v_dual_mov_b32 v47, v95
	s_wait_dscnt 0x0
	v_pk_mul_f32 v[106:107], v[102:103], v[94:95] op_sel:[0,1]
	s_delay_alu instid0(VALU_DEP_1) | instskip(SKIP_1) | instid1(VALU_DEP_1)
	v_pk_fma_f32 v[108:109], v[102:103], v[92:93], v[106:107] op_sel:[0,0,1] op_sel_hi:[1,1,0] neg_lo:[0,0,1] neg_hi:[0,0,1]
	v_pk_fma_f32 v[102:103], v[102:103], v[92:93], v[106:107] op_sel:[0,0,1] op_sel_hi:[1,0,0]
	v_mov_b32_e32 v109, v103
	v_pk_mul_f32 v[102:103], v[104:105], v[94:95] op_sel:[0,1]
	s_delay_alu instid0(VALU_DEP_1) | instskip(SKIP_1) | instid1(VALU_DEP_1)
	v_pk_fma_f32 v[106:107], v[104:105], v[92:93], v[102:103] op_sel:[0,0,1] op_sel_hi:[1,1,0] neg_lo:[0,0,1] neg_hi:[0,0,1]
	v_pk_fma_f32 v[102:103], v[104:105], v[92:93], v[102:103] op_sel:[0,0,1] op_sel_hi:[1,0,0]
	v_mov_b32_e32 v107, v103
	ds_load_2addr_b64 v[102:105], v96 offset0:19 offset1:20
	v_pk_add_f32 v[44:45], v[44:45], v[108:109] neg_lo:[0,1] neg_hi:[0,1]
	v_pk_add_f32 v[28:29], v[28:29], v[106:107] neg_lo:[0,1] neg_hi:[0,1]
	s_wait_dscnt 0x0
	v_pk_mul_f32 v[106:107], v[102:103], v[94:95] op_sel:[0,1]
	s_delay_alu instid0(VALU_DEP_1) | instskip(SKIP_2) | instid1(VALU_DEP_2)
	v_pk_fma_f32 v[108:109], v[102:103], v[92:93], v[106:107] op_sel:[0,0,1] op_sel_hi:[1,1,0] neg_lo:[0,0,1] neg_hi:[0,0,1]
	v_pk_fma_f32 v[102:103], v[102:103], v[92:93], v[106:107] op_sel:[0,0,1] op_sel_hi:[1,0,0]
	v_dual_mul_f32 v106, v105, v95 :: v_dual_mov_b32 v102, v105
	v_dual_mov_b32 v109, v103 :: v_dual_mov_b32 v103, v104
	s_delay_alu instid0(VALU_DEP_2) | instskip(SKIP_1) | instid1(VALU_DEP_3)
	v_pk_fma_f32 v[106:107], v[104:105], v[46:47], v[106:107] op_sel_hi:[1,1,0] neg_lo:[0,0,1] neg_hi:[0,0,1]
	v_mul_f32_e32 v104, v105, v92
	v_pk_add_f32 v[26:27], v[26:27], v[108:109] neg_lo:[0,1] neg_hi:[0,1]
	s_delay_alu instid0(VALU_DEP_2) | instskip(NEXT) | instid1(VALU_DEP_1)
	v_pk_fma_f32 v[102:103], v[102:103], v[46:47], v[104:105] op_sel_hi:[1,1,0]
	v_mov_b32_e32 v107, v103
	ds_load_2addr_b64 v[102:105], v96 offset0:21 offset1:22
	v_pk_add_f32 v[54:55], v[54:55], v[106:107] neg_lo:[0,1] neg_hi:[0,1]
	s_wait_dscnt 0x0
	v_pk_mul_f32 v[106:107], v[102:103], v[94:95] op_sel:[0,1]
	s_delay_alu instid0(VALU_DEP_1) | instskip(SKIP_1) | instid1(VALU_DEP_1)
	v_pk_fma_f32 v[108:109], v[102:103], v[92:93], v[106:107] op_sel:[0,0,1] op_sel_hi:[1,1,0] neg_lo:[0,0,1] neg_hi:[0,0,1]
	v_pk_fma_f32 v[102:103], v[102:103], v[92:93], v[106:107] op_sel:[0,0,1] op_sel_hi:[1,0,0]
	v_mov_b32_e32 v109, v103
	v_pk_mul_f32 v[102:103], v[104:105], v[94:95] op_sel:[0,1]
	s_delay_alu instid0(VALU_DEP_1) | instskip(SKIP_1) | instid1(VALU_DEP_1)
	v_pk_fma_f32 v[106:107], v[104:105], v[92:93], v[102:103] op_sel:[0,0,1] op_sel_hi:[1,1,0] neg_lo:[0,0,1] neg_hi:[0,0,1]
	v_pk_fma_f32 v[102:103], v[104:105], v[92:93], v[102:103] op_sel:[0,0,1] op_sel_hi:[1,0,0]
	v_mov_b32_e32 v107, v103
	ds_load_2addr_b64 v[102:105], v96 offset0:23 offset1:24
	v_pk_add_f32 v[52:53], v[52:53], v[108:109] neg_lo:[0,1] neg_hi:[0,1]
	v_pk_add_f32 v[32:33], v[32:33], v[106:107] neg_lo:[0,1] neg_hi:[0,1]
	s_wait_dscnt 0x0
	v_pk_mul_f32 v[106:107], v[102:103], v[94:95] op_sel:[0,1]
	s_delay_alu instid0(VALU_DEP_1) | instskip(SKIP_1) | instid1(VALU_DEP_1)
	v_pk_fma_f32 v[108:109], v[102:103], v[92:93], v[106:107] op_sel:[0,0,1] op_sel_hi:[1,1,0] neg_lo:[0,0,1] neg_hi:[0,0,1]
	v_pk_fma_f32 v[102:103], v[102:103], v[92:93], v[106:107] op_sel:[0,0,1] op_sel_hi:[1,0,0]
	v_mov_b32_e32 v109, v103
	v_pk_mul_f32 v[102:103], v[104:105], v[94:95] op_sel:[0,1]
	s_delay_alu instid0(VALU_DEP_1) | instskip(SKIP_1) | instid1(VALU_DEP_1)
	v_pk_fma_f32 v[106:107], v[104:105], v[92:93], v[102:103] op_sel:[0,0,1] op_sel_hi:[1,1,0] neg_lo:[0,0,1] neg_hi:[0,0,1]
	v_pk_fma_f32 v[102:103], v[104:105], v[92:93], v[102:103] op_sel:[0,0,1] op_sel_hi:[1,0,0]
	v_mov_b32_e32 v107, v103
	ds_load_2addr_b64 v[102:105], v96 offset0:25 offset1:26
	v_pk_add_f32 v[30:31], v[30:31], v[108:109] neg_lo:[0,1] neg_hi:[0,1]
	v_pk_add_f32 v[68:69], v[68:69], v[106:107] neg_lo:[0,1] neg_hi:[0,1]
	s_wait_dscnt 0x0
	v_dual_mul_f32 v106, v103, v95 :: v_dual_mul_f32 v108, v103, v92
	s_delay_alu instid0(VALU_DEP_1) | instskip(NEXT) | instid1(VALU_DEP_2)
	v_pk_fma_f32 v[106:107], v[102:103], v[46:47], v[106:107] op_sel_hi:[1,1,0] neg_lo:[0,0,1] neg_hi:[0,0,1]
	v_pk_fma_f32 v[102:103], v[102:103], v[46:47], v[108:109] op_sel:[1,0,0] op_sel_hi:[0,1,0]
	s_delay_alu instid0(VALU_DEP_1) | instskip(SKIP_1) | instid1(VALU_DEP_2)
	v_mov_b32_e32 v107, v103
	v_pk_mul_f32 v[102:103], v[104:105], v[94:95] op_sel:[0,1]
	v_pk_add_f32 v[66:67], v[66:67], v[106:107] neg_lo:[0,1] neg_hi:[0,1]
	s_delay_alu instid0(VALU_DEP_2) | instskip(SKIP_1) | instid1(VALU_DEP_1)
	v_pk_fma_f32 v[106:107], v[104:105], v[92:93], v[102:103] op_sel:[0,0,1] op_sel_hi:[1,1,0] neg_lo:[0,0,1] neg_hi:[0,0,1]
	v_pk_fma_f32 v[102:103], v[104:105], v[92:93], v[102:103] op_sel:[0,0,1] op_sel_hi:[1,0,0]
	v_mov_b32_e32 v107, v103
	ds_load_2addr_b64 v[102:105], v96 offset0:27 offset1:28
	v_pk_add_f32 v[40:41], v[40:41], v[106:107] neg_lo:[0,1] neg_hi:[0,1]
	s_wait_dscnt 0x0
	v_pk_mul_f32 v[106:107], v[102:103], v[94:95] op_sel:[0,1]
	s_delay_alu instid0(VALU_DEP_1) | instskip(SKIP_1) | instid1(VALU_DEP_1)
	v_pk_fma_f32 v[108:109], v[102:103], v[92:93], v[106:107] op_sel:[0,0,1] op_sel_hi:[1,1,0] neg_lo:[0,0,1] neg_hi:[0,0,1]
	v_pk_fma_f32 v[102:103], v[102:103], v[92:93], v[106:107] op_sel:[0,0,1] op_sel_hi:[1,0,0]
	v_mov_b32_e32 v109, v103
	v_pk_mul_f32 v[102:103], v[104:105], v[94:95] op_sel:[0,1]
	s_delay_alu instid0(VALU_DEP_2) | instskip(NEXT) | instid1(VALU_DEP_2)
	v_pk_add_f32 v[38:39], v[38:39], v[108:109] neg_lo:[0,1] neg_hi:[0,1]
	v_pk_fma_f32 v[106:107], v[104:105], v[92:93], v[102:103] op_sel:[0,0,1] op_sel_hi:[1,1,0] neg_lo:[0,0,1] neg_hi:[0,0,1]
	v_pk_fma_f32 v[102:103], v[104:105], v[92:93], v[102:103] op_sel:[0,0,1] op_sel_hi:[1,0,0]
	s_delay_alu instid0(VALU_DEP_1) | instskip(SKIP_4) | instid1(VALU_DEP_1)
	v_mov_b32_e32 v107, v103
	ds_load_2addr_b64 v[102:105], v96 offset0:29 offset1:30
	v_pk_add_f32 v[76:77], v[76:77], v[106:107] neg_lo:[0,1] neg_hi:[0,1]
	s_wait_dscnt 0x0
	v_pk_mul_f32 v[106:107], v[102:103], v[94:95] op_sel:[0,1]
	v_pk_fma_f32 v[108:109], v[102:103], v[92:93], v[106:107] op_sel:[0,0,1] op_sel_hi:[1,1,0] neg_lo:[0,0,1] neg_hi:[0,0,1]
	v_pk_fma_f32 v[102:103], v[102:103], v[92:93], v[106:107] op_sel:[0,0,1] op_sel_hi:[1,0,0]
	v_dual_mul_f32 v106, v105, v95 :: v_dual_mov_b32 v102, v105
	s_delay_alu instid0(VALU_DEP_2) | instskip(NEXT) | instid1(VALU_DEP_2)
	v_dual_mov_b32 v109, v103 :: v_dual_mov_b32 v103, v104
	v_pk_fma_f32 v[106:107], v[104:105], v[46:47], v[106:107] op_sel_hi:[1,1,0] neg_lo:[0,0,1] neg_hi:[0,0,1]
	v_mul_f32_e32 v104, v105, v92
	s_delay_alu instid0(VALU_DEP_3) | instskip(NEXT) | instid1(VALU_DEP_2)
	v_pk_add_f32 v[74:75], v[74:75], v[108:109] neg_lo:[0,1] neg_hi:[0,1]
	v_pk_fma_f32 v[102:103], v[102:103], v[46:47], v[104:105] op_sel_hi:[1,1,0]
	s_delay_alu instid0(VALU_DEP_1) | instskip(SKIP_4) | instid1(VALU_DEP_1)
	v_mov_b32_e32 v107, v103
	ds_load_2addr_b64 v[102:105], v96 offset0:31 offset1:32
	v_pk_add_f32 v[50:51], v[50:51], v[106:107] neg_lo:[0,1] neg_hi:[0,1]
	s_wait_dscnt 0x0
	v_pk_mul_f32 v[106:107], v[102:103], v[94:95] op_sel:[0,1]
	v_pk_fma_f32 v[108:109], v[102:103], v[92:93], v[106:107] op_sel:[0,0,1] op_sel_hi:[1,1,0] neg_lo:[0,0,1] neg_hi:[0,0,1]
	v_pk_fma_f32 v[102:103], v[102:103], v[92:93], v[106:107] op_sel:[0,0,1] op_sel_hi:[1,0,0]
	s_delay_alu instid0(VALU_DEP_1) | instskip(SKIP_1) | instid1(VALU_DEP_1)
	v_mov_b32_e32 v109, v103
	v_pk_mul_f32 v[102:103], v[104:105], v[94:95] op_sel:[0,1]
	v_pk_fma_f32 v[106:107], v[104:105], v[92:93], v[102:103] op_sel:[0,0,1] op_sel_hi:[1,1,0] neg_lo:[0,0,1] neg_hi:[0,0,1]
	v_pk_fma_f32 v[102:103], v[104:105], v[92:93], v[102:103] op_sel:[0,0,1] op_sel_hi:[1,0,0]
	s_delay_alu instid0(VALU_DEP_1)
	v_mov_b32_e32 v107, v103
	ds_load_2addr_b64 v[102:105], v96 offset0:33 offset1:34
	v_pk_add_f32 v[48:49], v[48:49], v[108:109] neg_lo:[0,1] neg_hi:[0,1]
	v_pk_add_f32 v[88:89], v[88:89], v[106:107] neg_lo:[0,1] neg_hi:[0,1]
	s_wait_dscnt 0x0
	v_pk_mul_f32 v[106:107], v[102:103], v[94:95] op_sel:[0,1]
	s_delay_alu instid0(VALU_DEP_1) | instskip(SKIP_1) | instid1(VALU_DEP_1)
	v_pk_fma_f32 v[108:109], v[102:103], v[92:93], v[106:107] op_sel:[0,0,1] op_sel_hi:[1,1,0] neg_lo:[0,0,1] neg_hi:[0,0,1]
	v_pk_fma_f32 v[102:103], v[102:103], v[92:93], v[106:107] op_sel:[0,0,1] op_sel_hi:[1,0,0]
	v_mov_b32_e32 v109, v103
	v_pk_mul_f32 v[102:103], v[104:105], v[94:95] op_sel:[0,1]
	s_delay_alu instid0(VALU_DEP_1) | instskip(SKIP_1) | instid1(VALU_DEP_1)
	v_pk_fma_f32 v[106:107], v[104:105], v[92:93], v[102:103] op_sel:[0,0,1] op_sel_hi:[1,1,0] neg_lo:[0,0,1] neg_hi:[0,0,1]
	v_pk_fma_f32 v[102:103], v[104:105], v[92:93], v[102:103] op_sel:[0,0,1] op_sel_hi:[1,0,0]
	v_mov_b32_e32 v107, v103
	ds_load_2addr_b64 v[102:105], v96 offset0:35 offset1:36
	v_pk_add_f32 v[86:87], v[86:87], v[108:109] neg_lo:[0,1] neg_hi:[0,1]
	v_pk_add_f32 v[60:61], v[60:61], v[106:107] neg_lo:[0,1] neg_hi:[0,1]
	s_wait_dscnt 0x0
	v_dual_mul_f32 v106, v103, v95 :: v_dual_mul_f32 v108, v103, v92
	s_delay_alu instid0(VALU_DEP_1) | instskip(NEXT) | instid1(VALU_DEP_2)
	v_pk_fma_f32 v[106:107], v[102:103], v[46:47], v[106:107] op_sel_hi:[1,1,0] neg_lo:[0,0,1] neg_hi:[0,0,1]
	v_pk_fma_f32 v[102:103], v[102:103], v[46:47], v[108:109] op_sel:[1,0,0] op_sel_hi:[0,1,0]
	s_delay_alu instid0(VALU_DEP_1) | instskip(SKIP_1) | instid1(VALU_DEP_2)
	v_mov_b32_e32 v107, v103
	v_pk_mul_f32 v[102:103], v[104:105], v[94:95] op_sel:[0,1]
	v_pk_add_f32 v[58:59], v[58:59], v[106:107] neg_lo:[0,1] neg_hi:[0,1]
	s_delay_alu instid0(VALU_DEP_2) | instskip(SKIP_1) | instid1(VALU_DEP_1)
	v_pk_fma_f32 v[106:107], v[104:105], v[92:93], v[102:103] op_sel:[0,0,1] op_sel_hi:[1,1,0] neg_lo:[0,0,1] neg_hi:[0,0,1]
	v_pk_fma_f32 v[102:103], v[104:105], v[92:93], v[102:103] op_sel:[0,0,1] op_sel_hi:[1,0,0]
	v_mov_b32_e32 v107, v103
	ds_load_2addr_b64 v[102:105], v96 offset0:37 offset1:38
	v_pk_add_f32 v[82:83], v[82:83], v[106:107] neg_lo:[0,1] neg_hi:[0,1]
	s_wait_dscnt 0x0
	v_pk_mul_f32 v[106:107], v[102:103], v[94:95] op_sel:[0,1]
	s_delay_alu instid0(VALU_DEP_1) | instskip(SKIP_1) | instid1(VALU_DEP_1)
	v_pk_fma_f32 v[108:109], v[102:103], v[92:93], v[106:107] op_sel:[0,0,1] op_sel_hi:[1,1,0] neg_lo:[0,0,1] neg_hi:[0,0,1]
	v_pk_fma_f32 v[102:103], v[102:103], v[92:93], v[106:107] op_sel:[0,0,1] op_sel_hi:[1,0,0]
	v_mov_b32_e32 v109, v103
	v_pk_mul_f32 v[102:103], v[104:105], v[94:95] op_sel:[0,1]
	s_delay_alu instid0(VALU_DEP_2) | instskip(NEXT) | instid1(VALU_DEP_2)
	v_pk_add_f32 v[80:81], v[80:81], v[108:109] neg_lo:[0,1] neg_hi:[0,1]
	v_pk_fma_f32 v[106:107], v[104:105], v[92:93], v[102:103] op_sel:[0,0,1] op_sel_hi:[1,1,0] neg_lo:[0,0,1] neg_hi:[0,0,1]
	v_pk_fma_f32 v[102:103], v[104:105], v[92:93], v[102:103] op_sel:[0,0,1] op_sel_hi:[1,0,0]
	s_delay_alu instid0(VALU_DEP_1) | instskip(SKIP_4) | instid1(VALU_DEP_1)
	v_mov_b32_e32 v107, v103
	ds_load_2addr_b64 v[102:105], v96 offset0:39 offset1:40
	v_pk_add_f32 v[64:65], v[64:65], v[106:107] neg_lo:[0,1] neg_hi:[0,1]
	s_wait_dscnt 0x0
	v_pk_mul_f32 v[106:107], v[102:103], v[94:95] op_sel:[0,1]
	v_pk_fma_f32 v[108:109], v[102:103], v[92:93], v[106:107] op_sel:[0,0,1] op_sel_hi:[1,1,0] neg_lo:[0,0,1] neg_hi:[0,0,1]
	v_pk_fma_f32 v[102:103], v[102:103], v[92:93], v[106:107] op_sel:[0,0,1] op_sel_hi:[1,0,0]
	v_dual_mul_f32 v106, v105, v95 :: v_dual_mov_b32 v102, v105
	s_delay_alu instid0(VALU_DEP_2) | instskip(NEXT) | instid1(VALU_DEP_2)
	v_dual_mov_b32 v109, v103 :: v_dual_mov_b32 v103, v104
	v_pk_fma_f32 v[106:107], v[104:105], v[46:47], v[106:107] op_sel_hi:[1,1,0] neg_lo:[0,0,1] neg_hi:[0,0,1]
	v_mul_f32_e32 v104, v105, v92
	s_delay_alu instid0(VALU_DEP_3) | instskip(NEXT) | instid1(VALU_DEP_2)
	v_pk_add_f32 v[62:63], v[62:63], v[108:109] neg_lo:[0,1] neg_hi:[0,1]
	v_pk_fma_f32 v[102:103], v[102:103], v[46:47], v[104:105] op_sel_hi:[1,1,0]
	s_delay_alu instid0(VALU_DEP_1)
	v_mov_b32_e32 v107, v103
	ds_load_2addr_b64 v[102:105], v96 offset0:41 offset1:42
	v_pk_add_f32 v[72:73], v[72:73], v[106:107] neg_lo:[0,1] neg_hi:[0,1]
	s_wait_dscnt 0x0
	v_pk_mul_f32 v[106:107], v[102:103], v[94:95] op_sel:[0,1]
	v_pk_mul_f32 v[94:95], v[104:105], v[94:95] op_sel:[0,1]
	s_delay_alu instid0(VALU_DEP_2) | instskip(SKIP_1) | instid1(VALU_DEP_1)
	v_pk_fma_f32 v[108:109], v[102:103], v[92:93], v[106:107] op_sel:[0,0,1] op_sel_hi:[1,1,0] neg_lo:[0,0,1] neg_hi:[0,0,1]
	v_pk_fma_f32 v[102:103], v[102:103], v[92:93], v[106:107] op_sel:[0,0,1] op_sel_hi:[1,0,0]
	v_mov_b32_e32 v109, v103
	s_delay_alu instid0(VALU_DEP_4) | instskip(SKIP_1) | instid1(VALU_DEP_1)
	v_pk_fma_f32 v[102:103], v[104:105], v[92:93], v[94:95] op_sel:[0,0,1] op_sel_hi:[1,1,0] neg_lo:[0,0,1] neg_hi:[0,0,1]
	v_pk_fma_f32 v[92:93], v[104:105], v[92:93], v[94:95] op_sel:[0,0,1] op_sel_hi:[1,0,0]
	v_mov_b32_e32 v103, v93
	s_delay_alu instid0(VALU_DEP_4) | instskip(NEXT) | instid1(VALU_DEP_2)
	v_pk_add_f32 v[70:71], v[70:71], v[108:109] neg_lo:[0,1] neg_hi:[0,1]
	v_pk_add_f32 v[90:91], v[90:91], v[102:103] neg_lo:[0,1] neg_hi:[0,1]
.LBB84_356:
	s_or_b32 exec_lo, exec_lo, s0
	v_lshl_add_u32 v92, v100, 3, v96
	s_barrier_signal -1
	s_barrier_wait -1
	ds_store_b64 v92, v[44:45]
	s_wait_dscnt 0x0
	s_barrier_signal -1
	s_barrier_wait -1
	ds_load_b64 v[94:95], v96 offset:136
	v_mov_b32_e32 v92, 17
	s_cmp_lt_i32 s14, 19
	s_cbranch_scc1 .LBB84_359
; %bb.357:
	v_add3_u32 v93, v97, 0, 0x90
	v_mov_b32_e32 v92, 17
	s_mov_b32 s0, 18
.LBB84_358:                             ; =>This Inner Loop Header: Depth=1
	ds_load_b64 v[102:103], v93
	s_wait_dscnt 0x1
	v_cmp_gt_f32_e32 vcc_lo, 0, v94
	v_cndmask_b32_e64 v104, v94, -v94, vcc_lo
	v_cmp_gt_f32_e32 vcc_lo, 0, v95
	v_cndmask_b32_e64 v106, v95, -v95, vcc_lo
	s_wait_dscnt 0x0
	v_cmp_gt_f32_e32 vcc_lo, 0, v102
	v_cndmask_b32_e64 v105, v102, -v102, vcc_lo
	v_cmp_gt_f32_e32 vcc_lo, 0, v103
	v_cndmask_b32_e64 v107, v103, -v103, vcc_lo
	s_delay_alu instid0(VALU_DEP_1) | instskip(NEXT) | instid1(VALU_DEP_1)
	v_pk_add_f32 v[104:105], v[104:105], v[106:107]
	v_cmp_lt_f32_e32 vcc_lo, v104, v105
	v_dual_add_nc_u32 v93, 8, v93 :: v_dual_cndmask_b32 v95, v95, v103, vcc_lo
	v_cndmask_b32_e32 v94, v94, v102, vcc_lo
	v_cndmask_b32_e64 v92, v92, s0, vcc_lo
	s_add_co_i32 s0, s0, 1
	s_delay_alu instid0(SALU_CYCLE_1)
	s_cmp_lg_u32 s14, s0
	s_cbranch_scc1 .LBB84_358
.LBB84_359:
	s_wait_dscnt 0x0
	v_cmp_eq_f32_e32 vcc_lo, 0, v94
	v_cmp_eq_f32_e64 s0, 0, v95
	s_and_b32 s0, vcc_lo, s0
	s_delay_alu instid0(SALU_CYCLE_1) | instskip(NEXT) | instid1(SALU_CYCLE_1)
	s_and_saveexec_b32 s1, s0
	s_xor_b32 s0, exec_lo, s1
; %bb.360:
	v_cmp_ne_u32_e32 vcc_lo, 0, v98
	v_cndmask_b32_e32 v98, 18, v98, vcc_lo
; %bb.361:
	s_and_not1_saveexec_b32 s0, s0
	s_cbranch_execz .LBB84_367
; %bb.362:
	v_cmp_ngt_f32_e64 s1, |v94|, |v95|
	s_and_saveexec_b32 s15, s1
	s_delay_alu instid0(SALU_CYCLE_1)
	s_xor_b32 s1, exec_lo, s15
	s_cbranch_execz .LBB84_364
; %bb.363:
	v_div_scale_f32 v93, null, v95, v95, v94
	v_div_scale_f32 v103, vcc_lo, v94, v95, v94
	s_delay_alu instid0(VALU_DEP_2) | instskip(SKIP_1) | instid1(TRANS32_DEP_1)
	v_rcp_f32_e32 v101, v93
	v_nop
	v_fma_f32 v102, -v93, v101, 1.0
	s_delay_alu instid0(VALU_DEP_1) | instskip(NEXT) | instid1(VALU_DEP_1)
	v_fmac_f32_e32 v101, v102, v101
	v_mul_f32_e32 v102, v103, v101
	s_delay_alu instid0(VALU_DEP_1) | instskip(NEXT) | instid1(VALU_DEP_1)
	v_fma_f32 v104, -v93, v102, v103
	v_fmac_f32_e32 v102, v104, v101
	s_delay_alu instid0(VALU_DEP_1) | instskip(NEXT) | instid1(VALU_DEP_1)
	v_fma_f32 v93, -v93, v102, v103
	v_div_fmas_f32 v93, v93, v101, v102
	s_delay_alu instid0(VALU_DEP_1) | instskip(NEXT) | instid1(VALU_DEP_1)
	v_div_fixup_f32 v93, v93, v95, v94
	v_fmac_f32_e32 v95, v94, v93
	s_delay_alu instid0(VALU_DEP_1) | instskip(SKIP_1) | instid1(VALU_DEP_2)
	v_div_scale_f32 v94, null, v95, v95, 1.0
	v_div_scale_f32 v103, vcc_lo, 1.0, v95, 1.0
	v_rcp_f32_e32 v101, v94
	v_nop
	s_delay_alu instid0(TRANS32_DEP_1) | instskip(NEXT) | instid1(VALU_DEP_1)
	v_fma_f32 v102, -v94, v101, 1.0
	v_fmac_f32_e32 v101, v102, v101
	s_delay_alu instid0(VALU_DEP_1) | instskip(NEXT) | instid1(VALU_DEP_1)
	v_mul_f32_e32 v102, v103, v101
	v_fma_f32 v104, -v94, v102, v103
	s_delay_alu instid0(VALU_DEP_1) | instskip(NEXT) | instid1(VALU_DEP_1)
	v_fmac_f32_e32 v102, v104, v101
	v_fma_f32 v94, -v94, v102, v103
	s_delay_alu instid0(VALU_DEP_1) | instskip(NEXT) | instid1(VALU_DEP_1)
	v_div_fmas_f32 v94, v94, v101, v102
	v_div_fixup_f32 v95, v94, v95, 1.0
	s_delay_alu instid0(VALU_DEP_1)
	v_mul_f32_e32 v94, v93, v95
	v_xor_b32_e32 v95, 0x80000000, v95
.LBB84_364:
	s_and_not1_saveexec_b32 s1, s1
	s_cbranch_execz .LBB84_366
; %bb.365:
	s_delay_alu instid0(VALU_DEP_1) | instskip(SKIP_1) | instid1(VALU_DEP_2)
	v_div_scale_f32 v93, null, v94, v94, v95
	v_div_scale_f32 v103, vcc_lo, v95, v94, v95
	v_rcp_f32_e32 v101, v93
	v_nop
	s_delay_alu instid0(TRANS32_DEP_1) | instskip(NEXT) | instid1(VALU_DEP_1)
	v_fma_f32 v102, -v93, v101, 1.0
	v_fmac_f32_e32 v101, v102, v101
	s_delay_alu instid0(VALU_DEP_1) | instskip(NEXT) | instid1(VALU_DEP_1)
	v_mul_f32_e32 v102, v103, v101
	v_fma_f32 v104, -v93, v102, v103
	s_delay_alu instid0(VALU_DEP_1) | instskip(NEXT) | instid1(VALU_DEP_1)
	v_fmac_f32_e32 v102, v104, v101
	v_fma_f32 v93, -v93, v102, v103
	s_delay_alu instid0(VALU_DEP_1) | instskip(NEXT) | instid1(VALU_DEP_1)
	v_div_fmas_f32 v93, v93, v101, v102
	v_div_fixup_f32 v93, v93, v94, v95
	s_delay_alu instid0(VALU_DEP_1) | instskip(NEXT) | instid1(VALU_DEP_1)
	v_fmac_f32_e32 v94, v95, v93
	v_div_scale_f32 v95, null, v94, v94, 1.0
	s_delay_alu instid0(VALU_DEP_1) | instskip(SKIP_1) | instid1(TRANS32_DEP_1)
	v_rcp_f32_e32 v101, v95
	v_nop
	v_fma_f32 v102, -v95, v101, 1.0
	s_delay_alu instid0(VALU_DEP_1) | instskip(SKIP_1) | instid1(VALU_DEP_1)
	v_fmac_f32_e32 v101, v102, v101
	v_div_scale_f32 v102, vcc_lo, 1.0, v94, 1.0
	v_mul_f32_e32 v103, v102, v101
	s_delay_alu instid0(VALU_DEP_1) | instskip(NEXT) | instid1(VALU_DEP_1)
	v_fma_f32 v104, -v95, v103, v102
	v_fmac_f32_e32 v103, v104, v101
	s_delay_alu instid0(VALU_DEP_1) | instskip(NEXT) | instid1(VALU_DEP_1)
	v_fma_f32 v95, -v95, v103, v102
	v_div_fmas_f32 v95, v95, v101, v103
	s_delay_alu instid0(VALU_DEP_1) | instskip(NEXT) | instid1(VALU_DEP_1)
	v_div_fixup_f32 v94, v95, v94, 1.0
	v_mul_f32_e64 v95, v93, -v94
.LBB84_366:
	s_or_b32 exec_lo, exec_lo, s1
.LBB84_367:
	s_delay_alu instid0(SALU_CYCLE_1) | instskip(NEXT) | instid1(SALU_CYCLE_1)
	s_or_b32 exec_lo, exec_lo, s0
	s_mov_b32 s0, exec_lo
	v_cmpx_ne_u32_e64 v100, v92
	s_xor_b32 s0, exec_lo, s0
	s_cbranch_execz .LBB84_373
; %bb.368:
	s_mov_b32 s1, exec_lo
	v_cmpx_eq_u32_e32 17, v100
	s_cbranch_execz .LBB84_372
; %bb.369:
	v_cmp_ne_u32_e32 vcc_lo, 17, v92
	s_xor_b32 s15, s12, -1
	s_delay_alu instid0(SALU_CYCLE_1) | instskip(NEXT) | instid1(SALU_CYCLE_1)
	s_and_b32 s16, s15, vcc_lo
	s_and_saveexec_b32 s15, s16
	s_cbranch_execz .LBB84_371
; %bb.370:
	v_ashrrev_i32_e32 v93, 31, v92
	s_delay_alu instid0(VALU_DEP_1)
	v_lshl_add_u64 v[100:101], v[92:93], 2, v[4:5]
	s_clause 0x1
	global_load_b32 v93, v[100:101], off
	global_load_b32 v99, v[4:5], off offset:68
	s_wait_loadcnt 0x1
	global_store_b32 v[4:5], v93, off offset:68
	s_wait_loadcnt 0x0
	global_store_b32 v[100:101], v99, off
.LBB84_371:
	s_wait_xcnt 0x0
	s_or_b32 exec_lo, exec_lo, s15
	v_dual_mov_b32 v100, v92 :: v_dual_mov_b32 v99, v92
.LBB84_372:
	s_or_b32 exec_lo, exec_lo, s1
.LBB84_373:
	s_and_not1_saveexec_b32 s0, s0
	s_cbranch_execz .LBB84_375
; %bb.374:
	v_dual_mov_b32 v92, v28 :: v_dual_mov_b32 v93, v29
	v_dual_mov_b32 v100, v26 :: v_dual_mov_b32 v101, v27
	ds_store_2addr_b64 v96, v[92:93], v[100:101] offset0:18 offset1:19
	v_dual_mov_b32 v92, v54 :: v_dual_mov_b32 v93, v55
	v_dual_mov_b32 v100, v52 :: v_dual_mov_b32 v101, v53
	ds_store_2addr_b64 v96, v[92:93], v[100:101] offset0:20 offset1:21
	;; [unrolled: 3-line block ×12, first 2 shown]
	ds_store_b64 v96, v[90:91] offset:336
	v_mov_b32_e32 v100, 17
.LBB84_375:
	s_or_b32 exec_lo, exec_lo, s0
	s_delay_alu instid0(SALU_CYCLE_1)
	s_mov_b32 s0, exec_lo
	s_wait_storecnt_dscnt 0x0
	s_barrier_signal -1
	s_barrier_wait -1
	v_cmpx_lt_i32_e32 17, v100
	s_cbranch_execz .LBB84_377
; %bb.376:
	v_pk_mul_f32 v[102:103], v[94:95], v[44:45] op_sel:[1,1] op_sel_hi:[0,1]
	s_delay_alu instid0(VALU_DEP_1)
	v_pk_fma_f32 v[92:93], v[94:95], v[44:45], v[102:103] op_sel_hi:[1,0,1] neg_lo:[0,0,1] neg_hi:[0,0,1]
	v_pk_fma_f32 v[94:95], v[94:95], v[44:45], v[102:103] op_sel_hi:[1,0,1]
	ds_load_2addr_b64 v[102:105], v96 offset0:18 offset1:19
	v_dual_mov_b32 v44, v92 :: v_dual_mov_b32 v45, v95
	s_wait_dscnt 0x0
	v_pk_mul_f32 v[106:107], v[102:103], v[94:95] op_sel:[0,1]
	s_delay_alu instid0(VALU_DEP_1) | instskip(SKIP_1) | instid1(VALU_DEP_1)
	v_pk_fma_f32 v[108:109], v[102:103], v[92:93], v[106:107] op_sel:[0,0,1] op_sel_hi:[1,1,0] neg_lo:[0,0,1] neg_hi:[0,0,1]
	v_pk_fma_f32 v[102:103], v[102:103], v[92:93], v[106:107] op_sel:[0,0,1] op_sel_hi:[1,0,0]
	v_mov_b32_e32 v109, v103
	v_pk_mul_f32 v[102:103], v[104:105], v[94:95] op_sel:[0,1]
	s_delay_alu instid0(VALU_DEP_1) | instskip(SKIP_1) | instid1(VALU_DEP_1)
	v_pk_fma_f32 v[106:107], v[104:105], v[92:93], v[102:103] op_sel:[0,0,1] op_sel_hi:[1,1,0] neg_lo:[0,0,1] neg_hi:[0,0,1]
	v_pk_fma_f32 v[102:103], v[104:105], v[92:93], v[102:103] op_sel:[0,0,1] op_sel_hi:[1,0,0]
	v_mov_b32_e32 v107, v103
	ds_load_2addr_b64 v[102:105], v96 offset0:20 offset1:21
	v_pk_add_f32 v[28:29], v[28:29], v[108:109] neg_lo:[0,1] neg_hi:[0,1]
	v_pk_add_f32 v[26:27], v[26:27], v[106:107] neg_lo:[0,1] neg_hi:[0,1]
	s_wait_dscnt 0x0
	v_pk_mul_f32 v[106:107], v[102:103], v[94:95] op_sel:[0,1]
	s_delay_alu instid0(VALU_DEP_1) | instskip(SKIP_2) | instid1(VALU_DEP_2)
	v_pk_fma_f32 v[108:109], v[102:103], v[92:93], v[106:107] op_sel:[0,0,1] op_sel_hi:[1,1,0] neg_lo:[0,0,1] neg_hi:[0,0,1]
	v_pk_fma_f32 v[102:103], v[102:103], v[92:93], v[106:107] op_sel:[0,0,1] op_sel_hi:[1,0,0]
	v_dual_mul_f32 v106, v105, v95 :: v_dual_mov_b32 v102, v105
	v_dual_mov_b32 v109, v103 :: v_dual_mov_b32 v103, v104
	s_delay_alu instid0(VALU_DEP_2) | instskip(SKIP_1) | instid1(VALU_DEP_3)
	v_pk_fma_f32 v[106:107], v[104:105], v[44:45], v[106:107] op_sel_hi:[1,1,0] neg_lo:[0,0,1] neg_hi:[0,0,1]
	v_mul_f32_e32 v104, v105, v92
	v_pk_add_f32 v[54:55], v[54:55], v[108:109] neg_lo:[0,1] neg_hi:[0,1]
	s_delay_alu instid0(VALU_DEP_2) | instskip(NEXT) | instid1(VALU_DEP_1)
	v_pk_fma_f32 v[102:103], v[102:103], v[44:45], v[104:105] op_sel_hi:[1,1,0]
	v_mov_b32_e32 v107, v103
	ds_load_2addr_b64 v[102:105], v96 offset0:22 offset1:23
	v_pk_add_f32 v[52:53], v[52:53], v[106:107] neg_lo:[0,1] neg_hi:[0,1]
	s_wait_dscnt 0x0
	v_pk_mul_f32 v[106:107], v[102:103], v[94:95] op_sel:[0,1]
	s_delay_alu instid0(VALU_DEP_1) | instskip(SKIP_1) | instid1(VALU_DEP_1)
	v_pk_fma_f32 v[108:109], v[102:103], v[92:93], v[106:107] op_sel:[0,0,1] op_sel_hi:[1,1,0] neg_lo:[0,0,1] neg_hi:[0,0,1]
	v_pk_fma_f32 v[102:103], v[102:103], v[92:93], v[106:107] op_sel:[0,0,1] op_sel_hi:[1,0,0]
	v_mov_b32_e32 v109, v103
	v_pk_mul_f32 v[102:103], v[104:105], v[94:95] op_sel:[0,1]
	s_delay_alu instid0(VALU_DEP_1) | instskip(SKIP_1) | instid1(VALU_DEP_1)
	v_pk_fma_f32 v[106:107], v[104:105], v[92:93], v[102:103] op_sel:[0,0,1] op_sel_hi:[1,1,0] neg_lo:[0,0,1] neg_hi:[0,0,1]
	v_pk_fma_f32 v[102:103], v[104:105], v[92:93], v[102:103] op_sel:[0,0,1] op_sel_hi:[1,0,0]
	v_mov_b32_e32 v107, v103
	ds_load_2addr_b64 v[102:105], v96 offset0:24 offset1:25
	v_pk_add_f32 v[32:33], v[32:33], v[108:109] neg_lo:[0,1] neg_hi:[0,1]
	v_pk_add_f32 v[30:31], v[30:31], v[106:107] neg_lo:[0,1] neg_hi:[0,1]
	s_wait_dscnt 0x0
	v_pk_mul_f32 v[106:107], v[102:103], v[94:95] op_sel:[0,1]
	s_delay_alu instid0(VALU_DEP_1) | instskip(SKIP_1) | instid1(VALU_DEP_1)
	v_pk_fma_f32 v[108:109], v[102:103], v[92:93], v[106:107] op_sel:[0,0,1] op_sel_hi:[1,1,0] neg_lo:[0,0,1] neg_hi:[0,0,1]
	v_pk_fma_f32 v[102:103], v[102:103], v[92:93], v[106:107] op_sel:[0,0,1] op_sel_hi:[1,0,0]
	v_mov_b32_e32 v109, v103
	v_pk_mul_f32 v[102:103], v[104:105], v[94:95] op_sel:[0,1]
	s_delay_alu instid0(VALU_DEP_1) | instskip(SKIP_1) | instid1(VALU_DEP_1)
	v_pk_fma_f32 v[106:107], v[104:105], v[92:93], v[102:103] op_sel:[0,0,1] op_sel_hi:[1,1,0] neg_lo:[0,0,1] neg_hi:[0,0,1]
	v_pk_fma_f32 v[102:103], v[104:105], v[92:93], v[102:103] op_sel:[0,0,1] op_sel_hi:[1,0,0]
	v_mov_b32_e32 v107, v103
	ds_load_2addr_b64 v[102:105], v96 offset0:26 offset1:27
	v_pk_add_f32 v[68:69], v[68:69], v[108:109] neg_lo:[0,1] neg_hi:[0,1]
	v_pk_add_f32 v[66:67], v[66:67], v[106:107] neg_lo:[0,1] neg_hi:[0,1]
	s_wait_dscnt 0x0
	v_dual_mul_f32 v106, v103, v95 :: v_dual_mul_f32 v108, v103, v92
	s_delay_alu instid0(VALU_DEP_1) | instskip(NEXT) | instid1(VALU_DEP_2)
	v_pk_fma_f32 v[106:107], v[102:103], v[44:45], v[106:107] op_sel_hi:[1,1,0] neg_lo:[0,0,1] neg_hi:[0,0,1]
	v_pk_fma_f32 v[102:103], v[102:103], v[44:45], v[108:109] op_sel:[1,0,0] op_sel_hi:[0,1,0]
	s_delay_alu instid0(VALU_DEP_1) | instskip(SKIP_1) | instid1(VALU_DEP_2)
	v_mov_b32_e32 v107, v103
	v_pk_mul_f32 v[102:103], v[104:105], v[94:95] op_sel:[0,1]
	v_pk_add_f32 v[40:41], v[40:41], v[106:107] neg_lo:[0,1] neg_hi:[0,1]
	s_delay_alu instid0(VALU_DEP_2) | instskip(SKIP_1) | instid1(VALU_DEP_1)
	v_pk_fma_f32 v[106:107], v[104:105], v[92:93], v[102:103] op_sel:[0,0,1] op_sel_hi:[1,1,0] neg_lo:[0,0,1] neg_hi:[0,0,1]
	v_pk_fma_f32 v[102:103], v[104:105], v[92:93], v[102:103] op_sel:[0,0,1] op_sel_hi:[1,0,0]
	v_mov_b32_e32 v107, v103
	ds_load_2addr_b64 v[102:105], v96 offset0:28 offset1:29
	v_pk_add_f32 v[38:39], v[38:39], v[106:107] neg_lo:[0,1] neg_hi:[0,1]
	s_wait_dscnt 0x0
	v_pk_mul_f32 v[106:107], v[102:103], v[94:95] op_sel:[0,1]
	s_delay_alu instid0(VALU_DEP_1) | instskip(SKIP_1) | instid1(VALU_DEP_1)
	v_pk_fma_f32 v[108:109], v[102:103], v[92:93], v[106:107] op_sel:[0,0,1] op_sel_hi:[1,1,0] neg_lo:[0,0,1] neg_hi:[0,0,1]
	v_pk_fma_f32 v[102:103], v[102:103], v[92:93], v[106:107] op_sel:[0,0,1] op_sel_hi:[1,0,0]
	v_mov_b32_e32 v109, v103
	v_pk_mul_f32 v[102:103], v[104:105], v[94:95] op_sel:[0,1]
	s_delay_alu instid0(VALU_DEP_2) | instskip(NEXT) | instid1(VALU_DEP_2)
	v_pk_add_f32 v[76:77], v[76:77], v[108:109] neg_lo:[0,1] neg_hi:[0,1]
	v_pk_fma_f32 v[106:107], v[104:105], v[92:93], v[102:103] op_sel:[0,0,1] op_sel_hi:[1,1,0] neg_lo:[0,0,1] neg_hi:[0,0,1]
	v_pk_fma_f32 v[102:103], v[104:105], v[92:93], v[102:103] op_sel:[0,0,1] op_sel_hi:[1,0,0]
	s_delay_alu instid0(VALU_DEP_1) | instskip(SKIP_4) | instid1(VALU_DEP_1)
	v_mov_b32_e32 v107, v103
	ds_load_2addr_b64 v[102:105], v96 offset0:30 offset1:31
	v_pk_add_f32 v[74:75], v[74:75], v[106:107] neg_lo:[0,1] neg_hi:[0,1]
	s_wait_dscnt 0x0
	v_pk_mul_f32 v[106:107], v[102:103], v[94:95] op_sel:[0,1]
	v_pk_fma_f32 v[108:109], v[102:103], v[92:93], v[106:107] op_sel:[0,0,1] op_sel_hi:[1,1,0] neg_lo:[0,0,1] neg_hi:[0,0,1]
	v_pk_fma_f32 v[102:103], v[102:103], v[92:93], v[106:107] op_sel:[0,0,1] op_sel_hi:[1,0,0]
	v_dual_mul_f32 v106, v105, v95 :: v_dual_mov_b32 v102, v105
	s_delay_alu instid0(VALU_DEP_2) | instskip(NEXT) | instid1(VALU_DEP_2)
	v_dual_mov_b32 v109, v103 :: v_dual_mov_b32 v103, v104
	v_pk_fma_f32 v[106:107], v[104:105], v[44:45], v[106:107] op_sel_hi:[1,1,0] neg_lo:[0,0,1] neg_hi:[0,0,1]
	v_mul_f32_e32 v104, v105, v92
	s_delay_alu instid0(VALU_DEP_3) | instskip(NEXT) | instid1(VALU_DEP_2)
	v_pk_add_f32 v[50:51], v[50:51], v[108:109] neg_lo:[0,1] neg_hi:[0,1]
	v_pk_fma_f32 v[102:103], v[102:103], v[44:45], v[104:105] op_sel_hi:[1,1,0]
	s_delay_alu instid0(VALU_DEP_1) | instskip(SKIP_4) | instid1(VALU_DEP_1)
	v_mov_b32_e32 v107, v103
	ds_load_2addr_b64 v[102:105], v96 offset0:32 offset1:33
	v_pk_add_f32 v[48:49], v[48:49], v[106:107] neg_lo:[0,1] neg_hi:[0,1]
	s_wait_dscnt 0x0
	v_pk_mul_f32 v[106:107], v[102:103], v[94:95] op_sel:[0,1]
	v_pk_fma_f32 v[108:109], v[102:103], v[92:93], v[106:107] op_sel:[0,0,1] op_sel_hi:[1,1,0] neg_lo:[0,0,1] neg_hi:[0,0,1]
	v_pk_fma_f32 v[102:103], v[102:103], v[92:93], v[106:107] op_sel:[0,0,1] op_sel_hi:[1,0,0]
	s_delay_alu instid0(VALU_DEP_1) | instskip(SKIP_1) | instid1(VALU_DEP_1)
	v_mov_b32_e32 v109, v103
	v_pk_mul_f32 v[102:103], v[104:105], v[94:95] op_sel:[0,1]
	v_pk_fma_f32 v[106:107], v[104:105], v[92:93], v[102:103] op_sel:[0,0,1] op_sel_hi:[1,1,0] neg_lo:[0,0,1] neg_hi:[0,0,1]
	v_pk_fma_f32 v[102:103], v[104:105], v[92:93], v[102:103] op_sel:[0,0,1] op_sel_hi:[1,0,0]
	s_delay_alu instid0(VALU_DEP_1)
	v_mov_b32_e32 v107, v103
	ds_load_2addr_b64 v[102:105], v96 offset0:34 offset1:35
	v_pk_add_f32 v[88:89], v[88:89], v[108:109] neg_lo:[0,1] neg_hi:[0,1]
	v_pk_add_f32 v[86:87], v[86:87], v[106:107] neg_lo:[0,1] neg_hi:[0,1]
	s_wait_dscnt 0x0
	v_pk_mul_f32 v[106:107], v[102:103], v[94:95] op_sel:[0,1]
	s_delay_alu instid0(VALU_DEP_1) | instskip(SKIP_1) | instid1(VALU_DEP_1)
	v_pk_fma_f32 v[108:109], v[102:103], v[92:93], v[106:107] op_sel:[0,0,1] op_sel_hi:[1,1,0] neg_lo:[0,0,1] neg_hi:[0,0,1]
	v_pk_fma_f32 v[102:103], v[102:103], v[92:93], v[106:107] op_sel:[0,0,1] op_sel_hi:[1,0,0]
	v_mov_b32_e32 v109, v103
	v_pk_mul_f32 v[102:103], v[104:105], v[94:95] op_sel:[0,1]
	s_delay_alu instid0(VALU_DEP_1) | instskip(SKIP_1) | instid1(VALU_DEP_1)
	v_pk_fma_f32 v[106:107], v[104:105], v[92:93], v[102:103] op_sel:[0,0,1] op_sel_hi:[1,1,0] neg_lo:[0,0,1] neg_hi:[0,0,1]
	v_pk_fma_f32 v[102:103], v[104:105], v[92:93], v[102:103] op_sel:[0,0,1] op_sel_hi:[1,0,0]
	v_mov_b32_e32 v107, v103
	ds_load_2addr_b64 v[102:105], v96 offset0:36 offset1:37
	v_pk_add_f32 v[60:61], v[60:61], v[108:109] neg_lo:[0,1] neg_hi:[0,1]
	v_pk_add_f32 v[58:59], v[58:59], v[106:107] neg_lo:[0,1] neg_hi:[0,1]
	s_wait_dscnt 0x0
	v_dual_mul_f32 v106, v103, v95 :: v_dual_mul_f32 v108, v103, v92
	s_delay_alu instid0(VALU_DEP_1) | instskip(NEXT) | instid1(VALU_DEP_2)
	v_pk_fma_f32 v[106:107], v[102:103], v[44:45], v[106:107] op_sel_hi:[1,1,0] neg_lo:[0,0,1] neg_hi:[0,0,1]
	v_pk_fma_f32 v[102:103], v[102:103], v[44:45], v[108:109] op_sel:[1,0,0] op_sel_hi:[0,1,0]
	s_delay_alu instid0(VALU_DEP_1) | instskip(SKIP_1) | instid1(VALU_DEP_2)
	v_mov_b32_e32 v107, v103
	v_pk_mul_f32 v[102:103], v[104:105], v[94:95] op_sel:[0,1]
	v_pk_add_f32 v[82:83], v[82:83], v[106:107] neg_lo:[0,1] neg_hi:[0,1]
	s_delay_alu instid0(VALU_DEP_2) | instskip(SKIP_1) | instid1(VALU_DEP_1)
	v_pk_fma_f32 v[106:107], v[104:105], v[92:93], v[102:103] op_sel:[0,0,1] op_sel_hi:[1,1,0] neg_lo:[0,0,1] neg_hi:[0,0,1]
	v_pk_fma_f32 v[102:103], v[104:105], v[92:93], v[102:103] op_sel:[0,0,1] op_sel_hi:[1,0,0]
	v_mov_b32_e32 v107, v103
	ds_load_2addr_b64 v[102:105], v96 offset0:38 offset1:39
	v_pk_add_f32 v[80:81], v[80:81], v[106:107] neg_lo:[0,1] neg_hi:[0,1]
	s_wait_dscnt 0x0
	v_pk_mul_f32 v[106:107], v[102:103], v[94:95] op_sel:[0,1]
	s_delay_alu instid0(VALU_DEP_1) | instskip(SKIP_1) | instid1(VALU_DEP_1)
	v_pk_fma_f32 v[108:109], v[102:103], v[92:93], v[106:107] op_sel:[0,0,1] op_sel_hi:[1,1,0] neg_lo:[0,0,1] neg_hi:[0,0,1]
	v_pk_fma_f32 v[102:103], v[102:103], v[92:93], v[106:107] op_sel:[0,0,1] op_sel_hi:[1,0,0]
	v_mov_b32_e32 v109, v103
	v_pk_mul_f32 v[102:103], v[104:105], v[94:95] op_sel:[0,1]
	s_delay_alu instid0(VALU_DEP_2) | instskip(NEXT) | instid1(VALU_DEP_2)
	v_pk_add_f32 v[64:65], v[64:65], v[108:109] neg_lo:[0,1] neg_hi:[0,1]
	v_pk_fma_f32 v[106:107], v[104:105], v[92:93], v[102:103] op_sel:[0,0,1] op_sel_hi:[1,1,0] neg_lo:[0,0,1] neg_hi:[0,0,1]
	v_pk_fma_f32 v[102:103], v[104:105], v[92:93], v[102:103] op_sel:[0,0,1] op_sel_hi:[1,0,0]
	s_delay_alu instid0(VALU_DEP_1) | instskip(SKIP_4) | instid1(VALU_DEP_1)
	v_mov_b32_e32 v107, v103
	ds_load_2addr_b64 v[102:105], v96 offset0:40 offset1:41
	v_pk_add_f32 v[62:63], v[62:63], v[106:107] neg_lo:[0,1] neg_hi:[0,1]
	s_wait_dscnt 0x0
	v_pk_mul_f32 v[106:107], v[102:103], v[94:95] op_sel:[0,1]
	v_pk_fma_f32 v[108:109], v[102:103], v[92:93], v[106:107] op_sel:[0,0,1] op_sel_hi:[1,1,0] neg_lo:[0,0,1] neg_hi:[0,0,1]
	v_pk_fma_f32 v[102:103], v[102:103], v[92:93], v[106:107] op_sel:[0,0,1] op_sel_hi:[1,0,0]
	v_dual_mul_f32 v106, v105, v95 :: v_dual_mov_b32 v102, v105
	s_delay_alu instid0(VALU_DEP_2) | instskip(NEXT) | instid1(VALU_DEP_2)
	v_dual_mov_b32 v109, v103 :: v_dual_mov_b32 v103, v104
	v_pk_fma_f32 v[106:107], v[104:105], v[44:45], v[106:107] op_sel_hi:[1,1,0] neg_lo:[0,0,1] neg_hi:[0,0,1]
	v_mul_f32_e32 v104, v105, v92
	s_delay_alu instid0(VALU_DEP_3) | instskip(NEXT) | instid1(VALU_DEP_2)
	v_pk_add_f32 v[72:73], v[72:73], v[108:109] neg_lo:[0,1] neg_hi:[0,1]
	v_pk_fma_f32 v[102:103], v[102:103], v[44:45], v[104:105] op_sel_hi:[1,1,0]
	s_delay_alu instid0(VALU_DEP_1) | instskip(SKIP_4) | instid1(VALU_DEP_1)
	v_mov_b32_e32 v107, v103
	ds_load_b64 v[102:103], v96 offset:336
	v_pk_add_f32 v[70:71], v[70:71], v[106:107] neg_lo:[0,1] neg_hi:[0,1]
	s_wait_dscnt 0x0
	v_pk_mul_f32 v[94:95], v[102:103], v[94:95] op_sel:[0,1]
	v_pk_fma_f32 v[104:105], v[102:103], v[92:93], v[94:95] op_sel:[0,0,1] op_sel_hi:[1,1,0] neg_lo:[0,0,1] neg_hi:[0,0,1]
	v_pk_fma_f32 v[92:93], v[102:103], v[92:93], v[94:95] op_sel:[0,0,1] op_sel_hi:[1,0,0]
	s_delay_alu instid0(VALU_DEP_1) | instskip(NEXT) | instid1(VALU_DEP_1)
	v_mov_b32_e32 v105, v93
	v_pk_add_f32 v[90:91], v[90:91], v[104:105] neg_lo:[0,1] neg_hi:[0,1]
.LBB84_377:
	s_or_b32 exec_lo, exec_lo, s0
	v_lshl_add_u32 v92, v100, 3, v96
	s_barrier_signal -1
	s_barrier_wait -1
	ds_store_b64 v92, v[28:29]
	s_wait_dscnt 0x0
	s_barrier_signal -1
	s_barrier_wait -1
	ds_load_b64 v[94:95], v96 offset:144
	v_mov_b32_e32 v92, 18
	s_cmp_lt_i32 s14, 20
	s_cbranch_scc1 .LBB84_380
; %bb.378:
	v_add3_u32 v93, v97, 0, 0x98
	v_mov_b32_e32 v92, 18
	s_mov_b32 s0, 19
.LBB84_379:                             ; =>This Inner Loop Header: Depth=1
	ds_load_b64 v[102:103], v93
	s_wait_dscnt 0x1
	v_cmp_gt_f32_e32 vcc_lo, 0, v94
	v_cndmask_b32_e64 v104, v94, -v94, vcc_lo
	v_cmp_gt_f32_e32 vcc_lo, 0, v95
	v_cndmask_b32_e64 v106, v95, -v95, vcc_lo
	s_wait_dscnt 0x0
	v_cmp_gt_f32_e32 vcc_lo, 0, v102
	v_cndmask_b32_e64 v105, v102, -v102, vcc_lo
	v_cmp_gt_f32_e32 vcc_lo, 0, v103
	v_cndmask_b32_e64 v107, v103, -v103, vcc_lo
	s_delay_alu instid0(VALU_DEP_1) | instskip(NEXT) | instid1(VALU_DEP_1)
	v_pk_add_f32 v[104:105], v[104:105], v[106:107]
	v_cmp_lt_f32_e32 vcc_lo, v104, v105
	v_dual_add_nc_u32 v93, 8, v93 :: v_dual_cndmask_b32 v95, v95, v103, vcc_lo
	v_cndmask_b32_e32 v94, v94, v102, vcc_lo
	v_cndmask_b32_e64 v92, v92, s0, vcc_lo
	s_add_co_i32 s0, s0, 1
	s_delay_alu instid0(SALU_CYCLE_1)
	s_cmp_lg_u32 s14, s0
	s_cbranch_scc1 .LBB84_379
.LBB84_380:
	s_wait_dscnt 0x0
	v_cmp_eq_f32_e32 vcc_lo, 0, v94
	v_cmp_eq_f32_e64 s0, 0, v95
	s_and_b32 s0, vcc_lo, s0
	s_delay_alu instid0(SALU_CYCLE_1) | instskip(NEXT) | instid1(SALU_CYCLE_1)
	s_and_saveexec_b32 s1, s0
	s_xor_b32 s0, exec_lo, s1
; %bb.381:
	v_cmp_ne_u32_e32 vcc_lo, 0, v98
	v_cndmask_b32_e32 v98, 19, v98, vcc_lo
; %bb.382:
	s_and_not1_saveexec_b32 s0, s0
	s_cbranch_execz .LBB84_388
; %bb.383:
	v_cmp_ngt_f32_e64 s1, |v94|, |v95|
	s_and_saveexec_b32 s15, s1
	s_delay_alu instid0(SALU_CYCLE_1)
	s_xor_b32 s1, exec_lo, s15
	s_cbranch_execz .LBB84_385
; %bb.384:
	v_div_scale_f32 v93, null, v95, v95, v94
	v_div_scale_f32 v103, vcc_lo, v94, v95, v94
	s_delay_alu instid0(VALU_DEP_2) | instskip(SKIP_1) | instid1(TRANS32_DEP_1)
	v_rcp_f32_e32 v101, v93
	v_nop
	v_fma_f32 v102, -v93, v101, 1.0
	s_delay_alu instid0(VALU_DEP_1) | instskip(NEXT) | instid1(VALU_DEP_1)
	v_fmac_f32_e32 v101, v102, v101
	v_mul_f32_e32 v102, v103, v101
	s_delay_alu instid0(VALU_DEP_1) | instskip(NEXT) | instid1(VALU_DEP_1)
	v_fma_f32 v104, -v93, v102, v103
	v_fmac_f32_e32 v102, v104, v101
	s_delay_alu instid0(VALU_DEP_1) | instskip(NEXT) | instid1(VALU_DEP_1)
	v_fma_f32 v93, -v93, v102, v103
	v_div_fmas_f32 v93, v93, v101, v102
	s_delay_alu instid0(VALU_DEP_1) | instskip(NEXT) | instid1(VALU_DEP_1)
	v_div_fixup_f32 v93, v93, v95, v94
	v_fmac_f32_e32 v95, v94, v93
	s_delay_alu instid0(VALU_DEP_1) | instskip(SKIP_1) | instid1(VALU_DEP_2)
	v_div_scale_f32 v94, null, v95, v95, 1.0
	v_div_scale_f32 v103, vcc_lo, 1.0, v95, 1.0
	v_rcp_f32_e32 v101, v94
	v_nop
	s_delay_alu instid0(TRANS32_DEP_1) | instskip(NEXT) | instid1(VALU_DEP_1)
	v_fma_f32 v102, -v94, v101, 1.0
	v_fmac_f32_e32 v101, v102, v101
	s_delay_alu instid0(VALU_DEP_1) | instskip(NEXT) | instid1(VALU_DEP_1)
	v_mul_f32_e32 v102, v103, v101
	v_fma_f32 v104, -v94, v102, v103
	s_delay_alu instid0(VALU_DEP_1) | instskip(NEXT) | instid1(VALU_DEP_1)
	v_fmac_f32_e32 v102, v104, v101
	v_fma_f32 v94, -v94, v102, v103
	s_delay_alu instid0(VALU_DEP_1) | instskip(NEXT) | instid1(VALU_DEP_1)
	v_div_fmas_f32 v94, v94, v101, v102
	v_div_fixup_f32 v95, v94, v95, 1.0
	s_delay_alu instid0(VALU_DEP_1)
	v_mul_f32_e32 v94, v93, v95
	v_xor_b32_e32 v95, 0x80000000, v95
.LBB84_385:
	s_and_not1_saveexec_b32 s1, s1
	s_cbranch_execz .LBB84_387
; %bb.386:
	s_delay_alu instid0(VALU_DEP_1) | instskip(SKIP_1) | instid1(VALU_DEP_2)
	v_div_scale_f32 v93, null, v94, v94, v95
	v_div_scale_f32 v103, vcc_lo, v95, v94, v95
	v_rcp_f32_e32 v101, v93
	v_nop
	s_delay_alu instid0(TRANS32_DEP_1) | instskip(NEXT) | instid1(VALU_DEP_1)
	v_fma_f32 v102, -v93, v101, 1.0
	v_fmac_f32_e32 v101, v102, v101
	s_delay_alu instid0(VALU_DEP_1) | instskip(NEXT) | instid1(VALU_DEP_1)
	v_mul_f32_e32 v102, v103, v101
	v_fma_f32 v104, -v93, v102, v103
	s_delay_alu instid0(VALU_DEP_1) | instskip(NEXT) | instid1(VALU_DEP_1)
	v_fmac_f32_e32 v102, v104, v101
	v_fma_f32 v93, -v93, v102, v103
	s_delay_alu instid0(VALU_DEP_1) | instskip(NEXT) | instid1(VALU_DEP_1)
	v_div_fmas_f32 v93, v93, v101, v102
	v_div_fixup_f32 v93, v93, v94, v95
	s_delay_alu instid0(VALU_DEP_1) | instskip(NEXT) | instid1(VALU_DEP_1)
	v_fmac_f32_e32 v94, v95, v93
	v_div_scale_f32 v95, null, v94, v94, 1.0
	s_delay_alu instid0(VALU_DEP_1) | instskip(SKIP_1) | instid1(TRANS32_DEP_1)
	v_rcp_f32_e32 v101, v95
	v_nop
	v_fma_f32 v102, -v95, v101, 1.0
	s_delay_alu instid0(VALU_DEP_1) | instskip(SKIP_1) | instid1(VALU_DEP_1)
	v_fmac_f32_e32 v101, v102, v101
	v_div_scale_f32 v102, vcc_lo, 1.0, v94, 1.0
	v_mul_f32_e32 v103, v102, v101
	s_delay_alu instid0(VALU_DEP_1) | instskip(NEXT) | instid1(VALU_DEP_1)
	v_fma_f32 v104, -v95, v103, v102
	v_fmac_f32_e32 v103, v104, v101
	s_delay_alu instid0(VALU_DEP_1) | instskip(NEXT) | instid1(VALU_DEP_1)
	v_fma_f32 v95, -v95, v103, v102
	v_div_fmas_f32 v95, v95, v101, v103
	s_delay_alu instid0(VALU_DEP_1) | instskip(NEXT) | instid1(VALU_DEP_1)
	v_div_fixup_f32 v94, v95, v94, 1.0
	v_mul_f32_e64 v95, v93, -v94
.LBB84_387:
	s_or_b32 exec_lo, exec_lo, s1
.LBB84_388:
	s_delay_alu instid0(SALU_CYCLE_1) | instskip(NEXT) | instid1(SALU_CYCLE_1)
	s_or_b32 exec_lo, exec_lo, s0
	s_mov_b32 s0, exec_lo
	v_cmpx_ne_u32_e64 v100, v92
	s_xor_b32 s0, exec_lo, s0
	s_cbranch_execz .LBB84_394
; %bb.389:
	s_mov_b32 s1, exec_lo
	v_cmpx_eq_u32_e32 18, v100
	s_cbranch_execz .LBB84_393
; %bb.390:
	v_cmp_ne_u32_e32 vcc_lo, 18, v92
	s_xor_b32 s15, s12, -1
	s_delay_alu instid0(SALU_CYCLE_1) | instskip(NEXT) | instid1(SALU_CYCLE_1)
	s_and_b32 s16, s15, vcc_lo
	s_and_saveexec_b32 s15, s16
	s_cbranch_execz .LBB84_392
; %bb.391:
	v_ashrrev_i32_e32 v93, 31, v92
	s_delay_alu instid0(VALU_DEP_1)
	v_lshl_add_u64 v[100:101], v[92:93], 2, v[4:5]
	s_clause 0x1
	global_load_b32 v93, v[100:101], off
	global_load_b32 v99, v[4:5], off offset:72
	s_wait_loadcnt 0x1
	global_store_b32 v[4:5], v93, off offset:72
	s_wait_loadcnt 0x0
	global_store_b32 v[100:101], v99, off
.LBB84_392:
	s_wait_xcnt 0x0
	s_or_b32 exec_lo, exec_lo, s15
	v_dual_mov_b32 v100, v92 :: v_dual_mov_b32 v99, v92
.LBB84_393:
	s_or_b32 exec_lo, exec_lo, s1
.LBB84_394:
	s_and_not1_saveexec_b32 s0, s0
	s_cbranch_execz .LBB84_396
; %bb.395:
	v_mov_b32_e32 v100, 18
	ds_store_2addr_b64 v96, v[26:27], v[54:55] offset0:19 offset1:20
	ds_store_2addr_b64 v96, v[52:53], v[32:33] offset0:21 offset1:22
	;; [unrolled: 1-line block ×12, first 2 shown]
.LBB84_396:
	s_or_b32 exec_lo, exec_lo, s0
	s_delay_alu instid0(SALU_CYCLE_1)
	s_mov_b32 s0, exec_lo
	s_wait_storecnt_dscnt 0x0
	s_barrier_signal -1
	s_barrier_wait -1
	v_cmpx_lt_i32_e32 18, v100
	s_cbranch_execz .LBB84_398
; %bb.397:
	v_pk_mul_f32 v[102:103], v[94:95], v[28:29] op_sel:[1,1] op_sel_hi:[0,1]
	s_delay_alu instid0(VALU_DEP_1)
	v_pk_fma_f32 v[92:93], v[94:95], v[28:29], v[102:103] op_sel_hi:[1,0,1] neg_lo:[0,0,1] neg_hi:[0,0,1]
	v_pk_fma_f32 v[94:95], v[94:95], v[28:29], v[102:103] op_sel_hi:[1,0,1]
	ds_load_2addr_b64 v[102:105], v96 offset0:19 offset1:20
	v_dual_mov_b32 v28, v92 :: v_dual_mov_b32 v29, v95
	s_wait_dscnt 0x0
	v_pk_mul_f32 v[106:107], v[102:103], v[94:95] op_sel:[0,1]
	s_delay_alu instid0(VALU_DEP_1) | instskip(SKIP_1) | instid1(VALU_DEP_1)
	v_pk_fma_f32 v[108:109], v[102:103], v[92:93], v[106:107] op_sel:[0,0,1] op_sel_hi:[1,1,0] neg_lo:[0,0,1] neg_hi:[0,0,1]
	v_pk_fma_f32 v[102:103], v[102:103], v[92:93], v[106:107] op_sel:[0,0,1] op_sel_hi:[1,0,0]
	v_mov_b32_e32 v109, v103
	v_pk_mul_f32 v[102:103], v[104:105], v[94:95] op_sel:[0,1]
	s_delay_alu instid0(VALU_DEP_1) | instskip(SKIP_1) | instid1(VALU_DEP_1)
	v_pk_fma_f32 v[106:107], v[104:105], v[92:93], v[102:103] op_sel:[0,0,1] op_sel_hi:[1,1,0] neg_lo:[0,0,1] neg_hi:[0,0,1]
	v_pk_fma_f32 v[102:103], v[104:105], v[92:93], v[102:103] op_sel:[0,0,1] op_sel_hi:[1,0,0]
	v_mov_b32_e32 v107, v103
	ds_load_2addr_b64 v[102:105], v96 offset0:21 offset1:22
	v_pk_add_f32 v[26:27], v[26:27], v[108:109] neg_lo:[0,1] neg_hi:[0,1]
	v_pk_add_f32 v[54:55], v[54:55], v[106:107] neg_lo:[0,1] neg_hi:[0,1]
	s_wait_dscnt 0x0
	v_pk_mul_f32 v[106:107], v[102:103], v[94:95] op_sel:[0,1]
	s_delay_alu instid0(VALU_DEP_1) | instskip(SKIP_2) | instid1(VALU_DEP_2)
	v_pk_fma_f32 v[108:109], v[102:103], v[92:93], v[106:107] op_sel:[0,0,1] op_sel_hi:[1,1,0] neg_lo:[0,0,1] neg_hi:[0,0,1]
	v_pk_fma_f32 v[102:103], v[102:103], v[92:93], v[106:107] op_sel:[0,0,1] op_sel_hi:[1,0,0]
	v_dual_mul_f32 v106, v105, v95 :: v_dual_mov_b32 v102, v105
	v_dual_mov_b32 v109, v103 :: v_dual_mov_b32 v103, v104
	s_delay_alu instid0(VALU_DEP_2) | instskip(SKIP_1) | instid1(VALU_DEP_3)
	v_pk_fma_f32 v[106:107], v[104:105], v[28:29], v[106:107] op_sel_hi:[1,1,0] neg_lo:[0,0,1] neg_hi:[0,0,1]
	v_mul_f32_e32 v104, v105, v92
	v_pk_add_f32 v[52:53], v[52:53], v[108:109] neg_lo:[0,1] neg_hi:[0,1]
	s_delay_alu instid0(VALU_DEP_2) | instskip(NEXT) | instid1(VALU_DEP_1)
	v_pk_fma_f32 v[102:103], v[102:103], v[28:29], v[104:105] op_sel_hi:[1,1,0]
	v_mov_b32_e32 v107, v103
	ds_load_2addr_b64 v[102:105], v96 offset0:23 offset1:24
	v_pk_add_f32 v[32:33], v[32:33], v[106:107] neg_lo:[0,1] neg_hi:[0,1]
	s_wait_dscnt 0x0
	v_pk_mul_f32 v[106:107], v[102:103], v[94:95] op_sel:[0,1]
	s_delay_alu instid0(VALU_DEP_1) | instskip(SKIP_1) | instid1(VALU_DEP_1)
	v_pk_fma_f32 v[108:109], v[102:103], v[92:93], v[106:107] op_sel:[0,0,1] op_sel_hi:[1,1,0] neg_lo:[0,0,1] neg_hi:[0,0,1]
	v_pk_fma_f32 v[102:103], v[102:103], v[92:93], v[106:107] op_sel:[0,0,1] op_sel_hi:[1,0,0]
	v_mov_b32_e32 v109, v103
	v_pk_mul_f32 v[102:103], v[104:105], v[94:95] op_sel:[0,1]
	s_delay_alu instid0(VALU_DEP_1) | instskip(SKIP_1) | instid1(VALU_DEP_1)
	v_pk_fma_f32 v[106:107], v[104:105], v[92:93], v[102:103] op_sel:[0,0,1] op_sel_hi:[1,1,0] neg_lo:[0,0,1] neg_hi:[0,0,1]
	v_pk_fma_f32 v[102:103], v[104:105], v[92:93], v[102:103] op_sel:[0,0,1] op_sel_hi:[1,0,0]
	v_mov_b32_e32 v107, v103
	ds_load_2addr_b64 v[102:105], v96 offset0:25 offset1:26
	v_pk_add_f32 v[30:31], v[30:31], v[108:109] neg_lo:[0,1] neg_hi:[0,1]
	v_pk_add_f32 v[68:69], v[68:69], v[106:107] neg_lo:[0,1] neg_hi:[0,1]
	s_wait_dscnt 0x0
	v_pk_mul_f32 v[106:107], v[102:103], v[94:95] op_sel:[0,1]
	s_delay_alu instid0(VALU_DEP_1) | instskip(SKIP_1) | instid1(VALU_DEP_1)
	v_pk_fma_f32 v[108:109], v[102:103], v[92:93], v[106:107] op_sel:[0,0,1] op_sel_hi:[1,1,0] neg_lo:[0,0,1] neg_hi:[0,0,1]
	v_pk_fma_f32 v[102:103], v[102:103], v[92:93], v[106:107] op_sel:[0,0,1] op_sel_hi:[1,0,0]
	v_mov_b32_e32 v109, v103
	v_pk_mul_f32 v[102:103], v[104:105], v[94:95] op_sel:[0,1]
	s_delay_alu instid0(VALU_DEP_1) | instskip(SKIP_1) | instid1(VALU_DEP_1)
	v_pk_fma_f32 v[106:107], v[104:105], v[92:93], v[102:103] op_sel:[0,0,1] op_sel_hi:[1,1,0] neg_lo:[0,0,1] neg_hi:[0,0,1]
	v_pk_fma_f32 v[102:103], v[104:105], v[92:93], v[102:103] op_sel:[0,0,1] op_sel_hi:[1,0,0]
	v_mov_b32_e32 v107, v103
	ds_load_2addr_b64 v[102:105], v96 offset0:27 offset1:28
	v_pk_add_f32 v[66:67], v[66:67], v[108:109] neg_lo:[0,1] neg_hi:[0,1]
	v_pk_add_f32 v[40:41], v[40:41], v[106:107] neg_lo:[0,1] neg_hi:[0,1]
	s_wait_dscnt 0x0
	v_dual_mul_f32 v106, v103, v95 :: v_dual_mul_f32 v108, v103, v92
	s_delay_alu instid0(VALU_DEP_1) | instskip(NEXT) | instid1(VALU_DEP_2)
	v_pk_fma_f32 v[106:107], v[102:103], v[28:29], v[106:107] op_sel_hi:[1,1,0] neg_lo:[0,0,1] neg_hi:[0,0,1]
	v_pk_fma_f32 v[102:103], v[102:103], v[28:29], v[108:109] op_sel:[1,0,0] op_sel_hi:[0,1,0]
	s_delay_alu instid0(VALU_DEP_1) | instskip(SKIP_1) | instid1(VALU_DEP_2)
	v_mov_b32_e32 v107, v103
	v_pk_mul_f32 v[102:103], v[104:105], v[94:95] op_sel:[0,1]
	v_pk_add_f32 v[38:39], v[38:39], v[106:107] neg_lo:[0,1] neg_hi:[0,1]
	s_delay_alu instid0(VALU_DEP_2) | instskip(SKIP_1) | instid1(VALU_DEP_1)
	v_pk_fma_f32 v[106:107], v[104:105], v[92:93], v[102:103] op_sel:[0,0,1] op_sel_hi:[1,1,0] neg_lo:[0,0,1] neg_hi:[0,0,1]
	v_pk_fma_f32 v[102:103], v[104:105], v[92:93], v[102:103] op_sel:[0,0,1] op_sel_hi:[1,0,0]
	v_mov_b32_e32 v107, v103
	ds_load_2addr_b64 v[102:105], v96 offset0:29 offset1:30
	v_pk_add_f32 v[76:77], v[76:77], v[106:107] neg_lo:[0,1] neg_hi:[0,1]
	s_wait_dscnt 0x0
	v_pk_mul_f32 v[106:107], v[102:103], v[94:95] op_sel:[0,1]
	s_delay_alu instid0(VALU_DEP_1) | instskip(SKIP_1) | instid1(VALU_DEP_1)
	v_pk_fma_f32 v[108:109], v[102:103], v[92:93], v[106:107] op_sel:[0,0,1] op_sel_hi:[1,1,0] neg_lo:[0,0,1] neg_hi:[0,0,1]
	v_pk_fma_f32 v[102:103], v[102:103], v[92:93], v[106:107] op_sel:[0,0,1] op_sel_hi:[1,0,0]
	v_mov_b32_e32 v109, v103
	v_pk_mul_f32 v[102:103], v[104:105], v[94:95] op_sel:[0,1]
	s_delay_alu instid0(VALU_DEP_2) | instskip(NEXT) | instid1(VALU_DEP_2)
	v_pk_add_f32 v[74:75], v[74:75], v[108:109] neg_lo:[0,1] neg_hi:[0,1]
	v_pk_fma_f32 v[106:107], v[104:105], v[92:93], v[102:103] op_sel:[0,0,1] op_sel_hi:[1,1,0] neg_lo:[0,0,1] neg_hi:[0,0,1]
	v_pk_fma_f32 v[102:103], v[104:105], v[92:93], v[102:103] op_sel:[0,0,1] op_sel_hi:[1,0,0]
	s_delay_alu instid0(VALU_DEP_1) | instskip(SKIP_4) | instid1(VALU_DEP_1)
	v_mov_b32_e32 v107, v103
	ds_load_2addr_b64 v[102:105], v96 offset0:31 offset1:32
	v_pk_add_f32 v[50:51], v[50:51], v[106:107] neg_lo:[0,1] neg_hi:[0,1]
	s_wait_dscnt 0x0
	v_pk_mul_f32 v[106:107], v[102:103], v[94:95] op_sel:[0,1]
	v_pk_fma_f32 v[108:109], v[102:103], v[92:93], v[106:107] op_sel:[0,0,1] op_sel_hi:[1,1,0] neg_lo:[0,0,1] neg_hi:[0,0,1]
	v_pk_fma_f32 v[102:103], v[102:103], v[92:93], v[106:107] op_sel:[0,0,1] op_sel_hi:[1,0,0]
	v_dual_mul_f32 v106, v105, v95 :: v_dual_mov_b32 v102, v105
	s_delay_alu instid0(VALU_DEP_2) | instskip(NEXT) | instid1(VALU_DEP_2)
	v_dual_mov_b32 v109, v103 :: v_dual_mov_b32 v103, v104
	v_pk_fma_f32 v[106:107], v[104:105], v[28:29], v[106:107] op_sel_hi:[1,1,0] neg_lo:[0,0,1] neg_hi:[0,0,1]
	v_mul_f32_e32 v104, v105, v92
	s_delay_alu instid0(VALU_DEP_3) | instskip(NEXT) | instid1(VALU_DEP_2)
	v_pk_add_f32 v[48:49], v[48:49], v[108:109] neg_lo:[0,1] neg_hi:[0,1]
	v_pk_fma_f32 v[102:103], v[102:103], v[28:29], v[104:105] op_sel_hi:[1,1,0]
	s_delay_alu instid0(VALU_DEP_1) | instskip(SKIP_4) | instid1(VALU_DEP_1)
	v_mov_b32_e32 v107, v103
	ds_load_2addr_b64 v[102:105], v96 offset0:33 offset1:34
	v_pk_add_f32 v[88:89], v[88:89], v[106:107] neg_lo:[0,1] neg_hi:[0,1]
	s_wait_dscnt 0x0
	v_pk_mul_f32 v[106:107], v[102:103], v[94:95] op_sel:[0,1]
	v_pk_fma_f32 v[108:109], v[102:103], v[92:93], v[106:107] op_sel:[0,0,1] op_sel_hi:[1,1,0] neg_lo:[0,0,1] neg_hi:[0,0,1]
	v_pk_fma_f32 v[102:103], v[102:103], v[92:93], v[106:107] op_sel:[0,0,1] op_sel_hi:[1,0,0]
	s_delay_alu instid0(VALU_DEP_1) | instskip(SKIP_1) | instid1(VALU_DEP_1)
	v_mov_b32_e32 v109, v103
	v_pk_mul_f32 v[102:103], v[104:105], v[94:95] op_sel:[0,1]
	v_pk_fma_f32 v[106:107], v[104:105], v[92:93], v[102:103] op_sel:[0,0,1] op_sel_hi:[1,1,0] neg_lo:[0,0,1] neg_hi:[0,0,1]
	v_pk_fma_f32 v[102:103], v[104:105], v[92:93], v[102:103] op_sel:[0,0,1] op_sel_hi:[1,0,0]
	s_delay_alu instid0(VALU_DEP_1)
	v_mov_b32_e32 v107, v103
	ds_load_2addr_b64 v[102:105], v96 offset0:35 offset1:36
	v_pk_add_f32 v[86:87], v[86:87], v[108:109] neg_lo:[0,1] neg_hi:[0,1]
	v_pk_add_f32 v[60:61], v[60:61], v[106:107] neg_lo:[0,1] neg_hi:[0,1]
	s_wait_dscnt 0x0
	v_pk_mul_f32 v[106:107], v[102:103], v[94:95] op_sel:[0,1]
	s_delay_alu instid0(VALU_DEP_1) | instskip(SKIP_1) | instid1(VALU_DEP_1)
	v_pk_fma_f32 v[108:109], v[102:103], v[92:93], v[106:107] op_sel:[0,0,1] op_sel_hi:[1,1,0] neg_lo:[0,0,1] neg_hi:[0,0,1]
	v_pk_fma_f32 v[102:103], v[102:103], v[92:93], v[106:107] op_sel:[0,0,1] op_sel_hi:[1,0,0]
	v_mov_b32_e32 v109, v103
	v_pk_mul_f32 v[102:103], v[104:105], v[94:95] op_sel:[0,1]
	s_delay_alu instid0(VALU_DEP_1) | instskip(SKIP_1) | instid1(VALU_DEP_1)
	v_pk_fma_f32 v[106:107], v[104:105], v[92:93], v[102:103] op_sel:[0,0,1] op_sel_hi:[1,1,0] neg_lo:[0,0,1] neg_hi:[0,0,1]
	v_pk_fma_f32 v[102:103], v[104:105], v[92:93], v[102:103] op_sel:[0,0,1] op_sel_hi:[1,0,0]
	v_mov_b32_e32 v107, v103
	ds_load_2addr_b64 v[102:105], v96 offset0:37 offset1:38
	v_pk_add_f32 v[58:59], v[58:59], v[108:109] neg_lo:[0,1] neg_hi:[0,1]
	v_pk_add_f32 v[82:83], v[82:83], v[106:107] neg_lo:[0,1] neg_hi:[0,1]
	s_wait_dscnt 0x0
	v_dual_mul_f32 v106, v103, v95 :: v_dual_mul_f32 v108, v103, v92
	s_delay_alu instid0(VALU_DEP_1) | instskip(NEXT) | instid1(VALU_DEP_2)
	v_pk_fma_f32 v[106:107], v[102:103], v[28:29], v[106:107] op_sel_hi:[1,1,0] neg_lo:[0,0,1] neg_hi:[0,0,1]
	v_pk_fma_f32 v[102:103], v[102:103], v[28:29], v[108:109] op_sel:[1,0,0] op_sel_hi:[0,1,0]
	s_delay_alu instid0(VALU_DEP_1) | instskip(SKIP_1) | instid1(VALU_DEP_2)
	v_mov_b32_e32 v107, v103
	v_pk_mul_f32 v[102:103], v[104:105], v[94:95] op_sel:[0,1]
	v_pk_add_f32 v[80:81], v[80:81], v[106:107] neg_lo:[0,1] neg_hi:[0,1]
	s_delay_alu instid0(VALU_DEP_2) | instskip(SKIP_1) | instid1(VALU_DEP_1)
	v_pk_fma_f32 v[106:107], v[104:105], v[92:93], v[102:103] op_sel:[0,0,1] op_sel_hi:[1,1,0] neg_lo:[0,0,1] neg_hi:[0,0,1]
	v_pk_fma_f32 v[102:103], v[104:105], v[92:93], v[102:103] op_sel:[0,0,1] op_sel_hi:[1,0,0]
	v_mov_b32_e32 v107, v103
	ds_load_2addr_b64 v[102:105], v96 offset0:39 offset1:40
	v_pk_add_f32 v[64:65], v[64:65], v[106:107] neg_lo:[0,1] neg_hi:[0,1]
	s_wait_dscnt 0x0
	v_pk_mul_f32 v[106:107], v[102:103], v[94:95] op_sel:[0,1]
	s_delay_alu instid0(VALU_DEP_1) | instskip(SKIP_1) | instid1(VALU_DEP_1)
	v_pk_fma_f32 v[108:109], v[102:103], v[92:93], v[106:107] op_sel:[0,0,1] op_sel_hi:[1,1,0] neg_lo:[0,0,1] neg_hi:[0,0,1]
	v_pk_fma_f32 v[102:103], v[102:103], v[92:93], v[106:107] op_sel:[0,0,1] op_sel_hi:[1,0,0]
	v_mov_b32_e32 v109, v103
	v_pk_mul_f32 v[102:103], v[104:105], v[94:95] op_sel:[0,1]
	s_delay_alu instid0(VALU_DEP_2) | instskip(NEXT) | instid1(VALU_DEP_2)
	v_pk_add_f32 v[62:63], v[62:63], v[108:109] neg_lo:[0,1] neg_hi:[0,1]
	v_pk_fma_f32 v[106:107], v[104:105], v[92:93], v[102:103] op_sel:[0,0,1] op_sel_hi:[1,1,0] neg_lo:[0,0,1] neg_hi:[0,0,1]
	v_pk_fma_f32 v[102:103], v[104:105], v[92:93], v[102:103] op_sel:[0,0,1] op_sel_hi:[1,0,0]
	s_delay_alu instid0(VALU_DEP_1)
	v_mov_b32_e32 v107, v103
	ds_load_2addr_b64 v[102:105], v96 offset0:41 offset1:42
	v_pk_add_f32 v[72:73], v[72:73], v[106:107] neg_lo:[0,1] neg_hi:[0,1]
	s_wait_dscnt 0x0
	v_pk_mul_f32 v[106:107], v[102:103], v[94:95] op_sel:[0,1]
	v_mul_f32_e32 v94, v105, v95
	s_delay_alu instid0(VALU_DEP_2) | instskip(SKIP_2) | instid1(VALU_DEP_4)
	v_pk_fma_f32 v[108:109], v[102:103], v[92:93], v[106:107] op_sel:[0,0,1] op_sel_hi:[1,1,0] neg_lo:[0,0,1] neg_hi:[0,0,1]
	v_pk_fma_f32 v[102:103], v[102:103], v[92:93], v[106:107] op_sel:[0,0,1] op_sel_hi:[1,0,0]
	v_dual_mov_b32 v102, v105 :: v_dual_mul_f32 v92, v105, v92
	v_pk_fma_f32 v[94:95], v[104:105], v[28:29], v[94:95] op_sel_hi:[1,1,0] neg_lo:[0,0,1] neg_hi:[0,0,1]
	s_delay_alu instid0(VALU_DEP_3) | instskip(NEXT) | instid1(VALU_DEP_1)
	v_dual_mov_b32 v109, v103 :: v_dual_mov_b32 v103, v104
	v_pk_add_f32 v[70:71], v[70:71], v[108:109] neg_lo:[0,1] neg_hi:[0,1]
	s_delay_alu instid0(VALU_DEP_2) | instskip(NEXT) | instid1(VALU_DEP_1)
	v_pk_fma_f32 v[92:93], v[102:103], v[28:29], v[92:93] op_sel_hi:[1,1,0]
	v_mov_b32_e32 v95, v93
	s_delay_alu instid0(VALU_DEP_1)
	v_pk_add_f32 v[90:91], v[90:91], v[94:95] neg_lo:[0,1] neg_hi:[0,1]
.LBB84_398:
	s_or_b32 exec_lo, exec_lo, s0
	v_lshl_add_u32 v92, v100, 3, v96
	s_barrier_signal -1
	s_barrier_wait -1
	ds_store_b64 v92, v[26:27]
	s_wait_dscnt 0x0
	s_barrier_signal -1
	s_barrier_wait -1
	ds_load_b64 v[94:95], v96 offset:152
	v_mov_b32_e32 v92, 19
	s_cmp_lt_i32 s14, 21
	s_cbranch_scc1 .LBB84_401
; %bb.399:
	v_add3_u32 v93, v97, 0, 0xa0
	v_mov_b32_e32 v92, 19
	s_mov_b32 s0, 20
.LBB84_400:                             ; =>This Inner Loop Header: Depth=1
	ds_load_b64 v[102:103], v93
	s_wait_dscnt 0x1
	v_cmp_gt_f32_e32 vcc_lo, 0, v94
	v_cndmask_b32_e64 v104, v94, -v94, vcc_lo
	v_cmp_gt_f32_e32 vcc_lo, 0, v95
	v_cndmask_b32_e64 v106, v95, -v95, vcc_lo
	s_wait_dscnt 0x0
	v_cmp_gt_f32_e32 vcc_lo, 0, v102
	v_cndmask_b32_e64 v105, v102, -v102, vcc_lo
	v_cmp_gt_f32_e32 vcc_lo, 0, v103
	v_cndmask_b32_e64 v107, v103, -v103, vcc_lo
	s_delay_alu instid0(VALU_DEP_1) | instskip(NEXT) | instid1(VALU_DEP_1)
	v_pk_add_f32 v[104:105], v[104:105], v[106:107]
	v_cmp_lt_f32_e32 vcc_lo, v104, v105
	v_dual_add_nc_u32 v93, 8, v93 :: v_dual_cndmask_b32 v95, v95, v103, vcc_lo
	v_cndmask_b32_e32 v94, v94, v102, vcc_lo
	v_cndmask_b32_e64 v92, v92, s0, vcc_lo
	s_add_co_i32 s0, s0, 1
	s_delay_alu instid0(SALU_CYCLE_1)
	s_cmp_lg_u32 s14, s0
	s_cbranch_scc1 .LBB84_400
.LBB84_401:
	s_wait_dscnt 0x0
	v_cmp_eq_f32_e32 vcc_lo, 0, v94
	v_cmp_eq_f32_e64 s0, 0, v95
	s_and_b32 s0, vcc_lo, s0
	s_delay_alu instid0(SALU_CYCLE_1) | instskip(NEXT) | instid1(SALU_CYCLE_1)
	s_and_saveexec_b32 s1, s0
	s_xor_b32 s0, exec_lo, s1
; %bb.402:
	v_cmp_ne_u32_e32 vcc_lo, 0, v98
	v_cndmask_b32_e32 v98, 20, v98, vcc_lo
; %bb.403:
	s_and_not1_saveexec_b32 s0, s0
	s_cbranch_execz .LBB84_409
; %bb.404:
	v_cmp_ngt_f32_e64 s1, |v94|, |v95|
	s_and_saveexec_b32 s15, s1
	s_delay_alu instid0(SALU_CYCLE_1)
	s_xor_b32 s1, exec_lo, s15
	s_cbranch_execz .LBB84_406
; %bb.405:
	v_div_scale_f32 v93, null, v95, v95, v94
	v_div_scale_f32 v103, vcc_lo, v94, v95, v94
	s_delay_alu instid0(VALU_DEP_2) | instskip(SKIP_1) | instid1(TRANS32_DEP_1)
	v_rcp_f32_e32 v101, v93
	v_nop
	v_fma_f32 v102, -v93, v101, 1.0
	s_delay_alu instid0(VALU_DEP_1) | instskip(NEXT) | instid1(VALU_DEP_1)
	v_fmac_f32_e32 v101, v102, v101
	v_mul_f32_e32 v102, v103, v101
	s_delay_alu instid0(VALU_DEP_1) | instskip(NEXT) | instid1(VALU_DEP_1)
	v_fma_f32 v104, -v93, v102, v103
	v_fmac_f32_e32 v102, v104, v101
	s_delay_alu instid0(VALU_DEP_1) | instskip(NEXT) | instid1(VALU_DEP_1)
	v_fma_f32 v93, -v93, v102, v103
	v_div_fmas_f32 v93, v93, v101, v102
	s_delay_alu instid0(VALU_DEP_1) | instskip(NEXT) | instid1(VALU_DEP_1)
	v_div_fixup_f32 v93, v93, v95, v94
	v_fmac_f32_e32 v95, v94, v93
	s_delay_alu instid0(VALU_DEP_1) | instskip(SKIP_1) | instid1(VALU_DEP_2)
	v_div_scale_f32 v94, null, v95, v95, 1.0
	v_div_scale_f32 v103, vcc_lo, 1.0, v95, 1.0
	v_rcp_f32_e32 v101, v94
	v_nop
	s_delay_alu instid0(TRANS32_DEP_1) | instskip(NEXT) | instid1(VALU_DEP_1)
	v_fma_f32 v102, -v94, v101, 1.0
	v_fmac_f32_e32 v101, v102, v101
	s_delay_alu instid0(VALU_DEP_1) | instskip(NEXT) | instid1(VALU_DEP_1)
	v_mul_f32_e32 v102, v103, v101
	v_fma_f32 v104, -v94, v102, v103
	s_delay_alu instid0(VALU_DEP_1) | instskip(NEXT) | instid1(VALU_DEP_1)
	v_fmac_f32_e32 v102, v104, v101
	v_fma_f32 v94, -v94, v102, v103
	s_delay_alu instid0(VALU_DEP_1) | instskip(NEXT) | instid1(VALU_DEP_1)
	v_div_fmas_f32 v94, v94, v101, v102
	v_div_fixup_f32 v95, v94, v95, 1.0
	s_delay_alu instid0(VALU_DEP_1)
	v_mul_f32_e32 v94, v93, v95
	v_xor_b32_e32 v95, 0x80000000, v95
.LBB84_406:
	s_and_not1_saveexec_b32 s1, s1
	s_cbranch_execz .LBB84_408
; %bb.407:
	s_delay_alu instid0(VALU_DEP_1) | instskip(SKIP_1) | instid1(VALU_DEP_2)
	v_div_scale_f32 v93, null, v94, v94, v95
	v_div_scale_f32 v103, vcc_lo, v95, v94, v95
	v_rcp_f32_e32 v101, v93
	v_nop
	s_delay_alu instid0(TRANS32_DEP_1) | instskip(NEXT) | instid1(VALU_DEP_1)
	v_fma_f32 v102, -v93, v101, 1.0
	v_fmac_f32_e32 v101, v102, v101
	s_delay_alu instid0(VALU_DEP_1) | instskip(NEXT) | instid1(VALU_DEP_1)
	v_mul_f32_e32 v102, v103, v101
	v_fma_f32 v104, -v93, v102, v103
	s_delay_alu instid0(VALU_DEP_1) | instskip(NEXT) | instid1(VALU_DEP_1)
	v_fmac_f32_e32 v102, v104, v101
	v_fma_f32 v93, -v93, v102, v103
	s_delay_alu instid0(VALU_DEP_1) | instskip(NEXT) | instid1(VALU_DEP_1)
	v_div_fmas_f32 v93, v93, v101, v102
	v_div_fixup_f32 v93, v93, v94, v95
	s_delay_alu instid0(VALU_DEP_1) | instskip(NEXT) | instid1(VALU_DEP_1)
	v_fmac_f32_e32 v94, v95, v93
	v_div_scale_f32 v95, null, v94, v94, 1.0
	s_delay_alu instid0(VALU_DEP_1) | instskip(SKIP_1) | instid1(TRANS32_DEP_1)
	v_rcp_f32_e32 v101, v95
	v_nop
	v_fma_f32 v102, -v95, v101, 1.0
	s_delay_alu instid0(VALU_DEP_1) | instskip(SKIP_1) | instid1(VALU_DEP_1)
	v_fmac_f32_e32 v101, v102, v101
	v_div_scale_f32 v102, vcc_lo, 1.0, v94, 1.0
	v_mul_f32_e32 v103, v102, v101
	s_delay_alu instid0(VALU_DEP_1) | instskip(NEXT) | instid1(VALU_DEP_1)
	v_fma_f32 v104, -v95, v103, v102
	v_fmac_f32_e32 v103, v104, v101
	s_delay_alu instid0(VALU_DEP_1) | instskip(NEXT) | instid1(VALU_DEP_1)
	v_fma_f32 v95, -v95, v103, v102
	v_div_fmas_f32 v95, v95, v101, v103
	s_delay_alu instid0(VALU_DEP_1) | instskip(NEXT) | instid1(VALU_DEP_1)
	v_div_fixup_f32 v94, v95, v94, 1.0
	v_mul_f32_e64 v95, v93, -v94
.LBB84_408:
	s_or_b32 exec_lo, exec_lo, s1
.LBB84_409:
	s_delay_alu instid0(SALU_CYCLE_1) | instskip(NEXT) | instid1(SALU_CYCLE_1)
	s_or_b32 exec_lo, exec_lo, s0
	s_mov_b32 s0, exec_lo
	v_cmpx_ne_u32_e64 v100, v92
	s_xor_b32 s0, exec_lo, s0
	s_cbranch_execz .LBB84_415
; %bb.410:
	s_mov_b32 s1, exec_lo
	v_cmpx_eq_u32_e32 19, v100
	s_cbranch_execz .LBB84_414
; %bb.411:
	v_cmp_ne_u32_e32 vcc_lo, 19, v92
	s_xor_b32 s15, s12, -1
	s_delay_alu instid0(SALU_CYCLE_1) | instskip(NEXT) | instid1(SALU_CYCLE_1)
	s_and_b32 s16, s15, vcc_lo
	s_and_saveexec_b32 s15, s16
	s_cbranch_execz .LBB84_413
; %bb.412:
	v_ashrrev_i32_e32 v93, 31, v92
	s_delay_alu instid0(VALU_DEP_1)
	v_lshl_add_u64 v[100:101], v[92:93], 2, v[4:5]
	s_clause 0x1
	global_load_b32 v93, v[100:101], off
	global_load_b32 v99, v[4:5], off offset:76
	s_wait_loadcnt 0x1
	global_store_b32 v[4:5], v93, off offset:76
	s_wait_loadcnt 0x0
	global_store_b32 v[100:101], v99, off
.LBB84_413:
	s_wait_xcnt 0x0
	s_or_b32 exec_lo, exec_lo, s15
	v_dual_mov_b32 v100, v92 :: v_dual_mov_b32 v99, v92
.LBB84_414:
	s_or_b32 exec_lo, exec_lo, s1
.LBB84_415:
	s_and_not1_saveexec_b32 s0, s0
	s_cbranch_execz .LBB84_417
; %bb.416:
	v_dual_mov_b32 v92, v54 :: v_dual_mov_b32 v93, v55
	v_dual_mov_b32 v100, v52 :: v_dual_mov_b32 v101, v53
	ds_store_2addr_b64 v96, v[92:93], v[100:101] offset0:20 offset1:21
	v_dual_mov_b32 v92, v32 :: v_dual_mov_b32 v93, v33
	v_dual_mov_b32 v100, v30 :: v_dual_mov_b32 v101, v31
	ds_store_2addr_b64 v96, v[92:93], v[100:101] offset0:22 offset1:23
	;; [unrolled: 3-line block ×11, first 2 shown]
	ds_store_b64 v96, v[90:91] offset:336
	v_mov_b32_e32 v100, 19
.LBB84_417:
	s_or_b32 exec_lo, exec_lo, s0
	s_delay_alu instid0(SALU_CYCLE_1)
	s_mov_b32 s0, exec_lo
	s_wait_storecnt_dscnt 0x0
	s_barrier_signal -1
	s_barrier_wait -1
	v_cmpx_lt_i32_e32 19, v100
	s_cbranch_execz .LBB84_419
; %bb.418:
	v_pk_mul_f32 v[102:103], v[94:95], v[26:27] op_sel:[1,1] op_sel_hi:[0,1]
	s_delay_alu instid0(VALU_DEP_1)
	v_pk_fma_f32 v[92:93], v[94:95], v[26:27], v[102:103] op_sel_hi:[1,0,1] neg_lo:[0,0,1] neg_hi:[0,0,1]
	v_pk_fma_f32 v[94:95], v[94:95], v[26:27], v[102:103] op_sel_hi:[1,0,1]
	ds_load_2addr_b64 v[102:105], v96 offset0:20 offset1:21
	v_dual_mov_b32 v26, v92 :: v_dual_mov_b32 v27, v95
	s_wait_dscnt 0x0
	v_pk_mul_f32 v[106:107], v[102:103], v[94:95] op_sel:[0,1]
	s_delay_alu instid0(VALU_DEP_1) | instskip(SKIP_1) | instid1(VALU_DEP_1)
	v_pk_fma_f32 v[108:109], v[102:103], v[92:93], v[106:107] op_sel:[0,0,1] op_sel_hi:[1,1,0] neg_lo:[0,0,1] neg_hi:[0,0,1]
	v_pk_fma_f32 v[102:103], v[102:103], v[92:93], v[106:107] op_sel:[0,0,1] op_sel_hi:[1,0,0]
	v_mov_b32_e32 v109, v103
	v_pk_mul_f32 v[102:103], v[104:105], v[94:95] op_sel:[0,1]
	s_delay_alu instid0(VALU_DEP_1) | instskip(SKIP_1) | instid1(VALU_DEP_1)
	v_pk_fma_f32 v[106:107], v[104:105], v[92:93], v[102:103] op_sel:[0,0,1] op_sel_hi:[1,1,0] neg_lo:[0,0,1] neg_hi:[0,0,1]
	v_pk_fma_f32 v[102:103], v[104:105], v[92:93], v[102:103] op_sel:[0,0,1] op_sel_hi:[1,0,0]
	v_mov_b32_e32 v107, v103
	ds_load_2addr_b64 v[102:105], v96 offset0:22 offset1:23
	v_pk_add_f32 v[54:55], v[54:55], v[108:109] neg_lo:[0,1] neg_hi:[0,1]
	v_pk_add_f32 v[52:53], v[52:53], v[106:107] neg_lo:[0,1] neg_hi:[0,1]
	s_wait_dscnt 0x0
	v_pk_mul_f32 v[106:107], v[102:103], v[94:95] op_sel:[0,1]
	s_delay_alu instid0(VALU_DEP_1) | instskip(SKIP_2) | instid1(VALU_DEP_2)
	v_pk_fma_f32 v[108:109], v[102:103], v[92:93], v[106:107] op_sel:[0,0,1] op_sel_hi:[1,1,0] neg_lo:[0,0,1] neg_hi:[0,0,1]
	v_pk_fma_f32 v[102:103], v[102:103], v[92:93], v[106:107] op_sel:[0,0,1] op_sel_hi:[1,0,0]
	v_dual_mul_f32 v106, v105, v95 :: v_dual_mov_b32 v102, v105
	v_dual_mov_b32 v109, v103 :: v_dual_mov_b32 v103, v104
	s_delay_alu instid0(VALU_DEP_2) | instskip(SKIP_1) | instid1(VALU_DEP_3)
	v_pk_fma_f32 v[106:107], v[104:105], v[26:27], v[106:107] op_sel_hi:[1,1,0] neg_lo:[0,0,1] neg_hi:[0,0,1]
	v_mul_f32_e32 v104, v105, v92
	v_pk_add_f32 v[32:33], v[32:33], v[108:109] neg_lo:[0,1] neg_hi:[0,1]
	s_delay_alu instid0(VALU_DEP_2) | instskip(NEXT) | instid1(VALU_DEP_1)
	v_pk_fma_f32 v[102:103], v[102:103], v[26:27], v[104:105] op_sel_hi:[1,1,0]
	v_mov_b32_e32 v107, v103
	ds_load_2addr_b64 v[102:105], v96 offset0:24 offset1:25
	v_pk_add_f32 v[30:31], v[30:31], v[106:107] neg_lo:[0,1] neg_hi:[0,1]
	s_wait_dscnt 0x0
	v_pk_mul_f32 v[106:107], v[102:103], v[94:95] op_sel:[0,1]
	s_delay_alu instid0(VALU_DEP_1) | instskip(SKIP_1) | instid1(VALU_DEP_1)
	v_pk_fma_f32 v[108:109], v[102:103], v[92:93], v[106:107] op_sel:[0,0,1] op_sel_hi:[1,1,0] neg_lo:[0,0,1] neg_hi:[0,0,1]
	v_pk_fma_f32 v[102:103], v[102:103], v[92:93], v[106:107] op_sel:[0,0,1] op_sel_hi:[1,0,0]
	v_mov_b32_e32 v109, v103
	v_pk_mul_f32 v[102:103], v[104:105], v[94:95] op_sel:[0,1]
	s_delay_alu instid0(VALU_DEP_1) | instskip(SKIP_1) | instid1(VALU_DEP_1)
	v_pk_fma_f32 v[106:107], v[104:105], v[92:93], v[102:103] op_sel:[0,0,1] op_sel_hi:[1,1,0] neg_lo:[0,0,1] neg_hi:[0,0,1]
	v_pk_fma_f32 v[102:103], v[104:105], v[92:93], v[102:103] op_sel:[0,0,1] op_sel_hi:[1,0,0]
	v_mov_b32_e32 v107, v103
	ds_load_2addr_b64 v[102:105], v96 offset0:26 offset1:27
	v_pk_add_f32 v[68:69], v[68:69], v[108:109] neg_lo:[0,1] neg_hi:[0,1]
	v_pk_add_f32 v[66:67], v[66:67], v[106:107] neg_lo:[0,1] neg_hi:[0,1]
	s_wait_dscnt 0x0
	v_pk_mul_f32 v[106:107], v[102:103], v[94:95] op_sel:[0,1]
	s_delay_alu instid0(VALU_DEP_1) | instskip(SKIP_1) | instid1(VALU_DEP_1)
	v_pk_fma_f32 v[108:109], v[102:103], v[92:93], v[106:107] op_sel:[0,0,1] op_sel_hi:[1,1,0] neg_lo:[0,0,1] neg_hi:[0,0,1]
	v_pk_fma_f32 v[102:103], v[102:103], v[92:93], v[106:107] op_sel:[0,0,1] op_sel_hi:[1,0,0]
	v_mov_b32_e32 v109, v103
	v_pk_mul_f32 v[102:103], v[104:105], v[94:95] op_sel:[0,1]
	s_delay_alu instid0(VALU_DEP_1) | instskip(SKIP_1) | instid1(VALU_DEP_1)
	v_pk_fma_f32 v[106:107], v[104:105], v[92:93], v[102:103] op_sel:[0,0,1] op_sel_hi:[1,1,0] neg_lo:[0,0,1] neg_hi:[0,0,1]
	v_pk_fma_f32 v[102:103], v[104:105], v[92:93], v[102:103] op_sel:[0,0,1] op_sel_hi:[1,0,0]
	v_mov_b32_e32 v107, v103
	ds_load_2addr_b64 v[102:105], v96 offset0:28 offset1:29
	v_pk_add_f32 v[40:41], v[40:41], v[108:109] neg_lo:[0,1] neg_hi:[0,1]
	v_pk_add_f32 v[38:39], v[38:39], v[106:107] neg_lo:[0,1] neg_hi:[0,1]
	s_wait_dscnt 0x0
	v_dual_mul_f32 v106, v103, v95 :: v_dual_mul_f32 v108, v103, v92
	s_delay_alu instid0(VALU_DEP_1) | instskip(NEXT) | instid1(VALU_DEP_2)
	v_pk_fma_f32 v[106:107], v[102:103], v[26:27], v[106:107] op_sel_hi:[1,1,0] neg_lo:[0,0,1] neg_hi:[0,0,1]
	v_pk_fma_f32 v[102:103], v[102:103], v[26:27], v[108:109] op_sel:[1,0,0] op_sel_hi:[0,1,0]
	s_delay_alu instid0(VALU_DEP_1) | instskip(SKIP_1) | instid1(VALU_DEP_2)
	v_mov_b32_e32 v107, v103
	v_pk_mul_f32 v[102:103], v[104:105], v[94:95] op_sel:[0,1]
	v_pk_add_f32 v[76:77], v[76:77], v[106:107] neg_lo:[0,1] neg_hi:[0,1]
	s_delay_alu instid0(VALU_DEP_2) | instskip(SKIP_1) | instid1(VALU_DEP_1)
	v_pk_fma_f32 v[106:107], v[104:105], v[92:93], v[102:103] op_sel:[0,0,1] op_sel_hi:[1,1,0] neg_lo:[0,0,1] neg_hi:[0,0,1]
	v_pk_fma_f32 v[102:103], v[104:105], v[92:93], v[102:103] op_sel:[0,0,1] op_sel_hi:[1,0,0]
	v_mov_b32_e32 v107, v103
	ds_load_2addr_b64 v[102:105], v96 offset0:30 offset1:31
	v_pk_add_f32 v[74:75], v[74:75], v[106:107] neg_lo:[0,1] neg_hi:[0,1]
	s_wait_dscnt 0x0
	v_pk_mul_f32 v[106:107], v[102:103], v[94:95] op_sel:[0,1]
	s_delay_alu instid0(VALU_DEP_1) | instskip(SKIP_1) | instid1(VALU_DEP_1)
	v_pk_fma_f32 v[108:109], v[102:103], v[92:93], v[106:107] op_sel:[0,0,1] op_sel_hi:[1,1,0] neg_lo:[0,0,1] neg_hi:[0,0,1]
	v_pk_fma_f32 v[102:103], v[102:103], v[92:93], v[106:107] op_sel:[0,0,1] op_sel_hi:[1,0,0]
	v_mov_b32_e32 v109, v103
	v_pk_mul_f32 v[102:103], v[104:105], v[94:95] op_sel:[0,1]
	s_delay_alu instid0(VALU_DEP_2) | instskip(NEXT) | instid1(VALU_DEP_2)
	v_pk_add_f32 v[50:51], v[50:51], v[108:109] neg_lo:[0,1] neg_hi:[0,1]
	v_pk_fma_f32 v[106:107], v[104:105], v[92:93], v[102:103] op_sel:[0,0,1] op_sel_hi:[1,1,0] neg_lo:[0,0,1] neg_hi:[0,0,1]
	v_pk_fma_f32 v[102:103], v[104:105], v[92:93], v[102:103] op_sel:[0,0,1] op_sel_hi:[1,0,0]
	s_delay_alu instid0(VALU_DEP_1) | instskip(SKIP_4) | instid1(VALU_DEP_1)
	v_mov_b32_e32 v107, v103
	ds_load_2addr_b64 v[102:105], v96 offset0:32 offset1:33
	v_pk_add_f32 v[48:49], v[48:49], v[106:107] neg_lo:[0,1] neg_hi:[0,1]
	s_wait_dscnt 0x0
	v_pk_mul_f32 v[106:107], v[102:103], v[94:95] op_sel:[0,1]
	v_pk_fma_f32 v[108:109], v[102:103], v[92:93], v[106:107] op_sel:[0,0,1] op_sel_hi:[1,1,0] neg_lo:[0,0,1] neg_hi:[0,0,1]
	v_pk_fma_f32 v[102:103], v[102:103], v[92:93], v[106:107] op_sel:[0,0,1] op_sel_hi:[1,0,0]
	v_dual_mul_f32 v106, v105, v95 :: v_dual_mov_b32 v102, v105
	s_delay_alu instid0(VALU_DEP_2) | instskip(NEXT) | instid1(VALU_DEP_2)
	v_dual_mov_b32 v109, v103 :: v_dual_mov_b32 v103, v104
	v_pk_fma_f32 v[106:107], v[104:105], v[26:27], v[106:107] op_sel_hi:[1,1,0] neg_lo:[0,0,1] neg_hi:[0,0,1]
	v_mul_f32_e32 v104, v105, v92
	s_delay_alu instid0(VALU_DEP_3) | instskip(NEXT) | instid1(VALU_DEP_2)
	v_pk_add_f32 v[88:89], v[88:89], v[108:109] neg_lo:[0,1] neg_hi:[0,1]
	v_pk_fma_f32 v[102:103], v[102:103], v[26:27], v[104:105] op_sel_hi:[1,1,0]
	s_delay_alu instid0(VALU_DEP_1) | instskip(SKIP_4) | instid1(VALU_DEP_1)
	v_mov_b32_e32 v107, v103
	ds_load_2addr_b64 v[102:105], v96 offset0:34 offset1:35
	v_pk_add_f32 v[86:87], v[86:87], v[106:107] neg_lo:[0,1] neg_hi:[0,1]
	s_wait_dscnt 0x0
	v_pk_mul_f32 v[106:107], v[102:103], v[94:95] op_sel:[0,1]
	v_pk_fma_f32 v[108:109], v[102:103], v[92:93], v[106:107] op_sel:[0,0,1] op_sel_hi:[1,1,0] neg_lo:[0,0,1] neg_hi:[0,0,1]
	v_pk_fma_f32 v[102:103], v[102:103], v[92:93], v[106:107] op_sel:[0,0,1] op_sel_hi:[1,0,0]
	s_delay_alu instid0(VALU_DEP_1) | instskip(SKIP_1) | instid1(VALU_DEP_1)
	v_mov_b32_e32 v109, v103
	v_pk_mul_f32 v[102:103], v[104:105], v[94:95] op_sel:[0,1]
	v_pk_fma_f32 v[106:107], v[104:105], v[92:93], v[102:103] op_sel:[0,0,1] op_sel_hi:[1,1,0] neg_lo:[0,0,1] neg_hi:[0,0,1]
	v_pk_fma_f32 v[102:103], v[104:105], v[92:93], v[102:103] op_sel:[0,0,1] op_sel_hi:[1,0,0]
	s_delay_alu instid0(VALU_DEP_1)
	v_mov_b32_e32 v107, v103
	ds_load_2addr_b64 v[102:105], v96 offset0:36 offset1:37
	v_pk_add_f32 v[60:61], v[60:61], v[108:109] neg_lo:[0,1] neg_hi:[0,1]
	v_pk_add_f32 v[58:59], v[58:59], v[106:107] neg_lo:[0,1] neg_hi:[0,1]
	s_wait_dscnt 0x0
	v_pk_mul_f32 v[106:107], v[102:103], v[94:95] op_sel:[0,1]
	s_delay_alu instid0(VALU_DEP_1) | instskip(SKIP_1) | instid1(VALU_DEP_1)
	v_pk_fma_f32 v[108:109], v[102:103], v[92:93], v[106:107] op_sel:[0,0,1] op_sel_hi:[1,1,0] neg_lo:[0,0,1] neg_hi:[0,0,1]
	v_pk_fma_f32 v[102:103], v[102:103], v[92:93], v[106:107] op_sel:[0,0,1] op_sel_hi:[1,0,0]
	v_mov_b32_e32 v109, v103
	v_pk_mul_f32 v[102:103], v[104:105], v[94:95] op_sel:[0,1]
	s_delay_alu instid0(VALU_DEP_1) | instskip(SKIP_1) | instid1(VALU_DEP_1)
	v_pk_fma_f32 v[106:107], v[104:105], v[92:93], v[102:103] op_sel:[0,0,1] op_sel_hi:[1,1,0] neg_lo:[0,0,1] neg_hi:[0,0,1]
	v_pk_fma_f32 v[102:103], v[104:105], v[92:93], v[102:103] op_sel:[0,0,1] op_sel_hi:[1,0,0]
	v_mov_b32_e32 v107, v103
	ds_load_2addr_b64 v[102:105], v96 offset0:38 offset1:39
	v_pk_add_f32 v[82:83], v[82:83], v[108:109] neg_lo:[0,1] neg_hi:[0,1]
	v_pk_add_f32 v[80:81], v[80:81], v[106:107] neg_lo:[0,1] neg_hi:[0,1]
	s_wait_dscnt 0x0
	v_dual_mul_f32 v106, v103, v95 :: v_dual_mul_f32 v108, v103, v92
	s_delay_alu instid0(VALU_DEP_1) | instskip(NEXT) | instid1(VALU_DEP_2)
	v_pk_fma_f32 v[106:107], v[102:103], v[26:27], v[106:107] op_sel_hi:[1,1,0] neg_lo:[0,0,1] neg_hi:[0,0,1]
	v_pk_fma_f32 v[102:103], v[102:103], v[26:27], v[108:109] op_sel:[1,0,0] op_sel_hi:[0,1,0]
	s_delay_alu instid0(VALU_DEP_1) | instskip(SKIP_1) | instid1(VALU_DEP_2)
	v_mov_b32_e32 v107, v103
	v_pk_mul_f32 v[102:103], v[104:105], v[94:95] op_sel:[0,1]
	v_pk_add_f32 v[64:65], v[64:65], v[106:107] neg_lo:[0,1] neg_hi:[0,1]
	s_delay_alu instid0(VALU_DEP_2) | instskip(SKIP_1) | instid1(VALU_DEP_1)
	v_pk_fma_f32 v[106:107], v[104:105], v[92:93], v[102:103] op_sel:[0,0,1] op_sel_hi:[1,1,0] neg_lo:[0,0,1] neg_hi:[0,0,1]
	v_pk_fma_f32 v[102:103], v[104:105], v[92:93], v[102:103] op_sel:[0,0,1] op_sel_hi:[1,0,0]
	v_mov_b32_e32 v107, v103
	ds_load_2addr_b64 v[102:105], v96 offset0:40 offset1:41
	v_pk_add_f32 v[62:63], v[62:63], v[106:107] neg_lo:[0,1] neg_hi:[0,1]
	s_wait_dscnt 0x0
	v_pk_mul_f32 v[106:107], v[102:103], v[94:95] op_sel:[0,1]
	s_delay_alu instid0(VALU_DEP_1) | instskip(SKIP_1) | instid1(VALU_DEP_1)
	v_pk_fma_f32 v[108:109], v[102:103], v[92:93], v[106:107] op_sel:[0,0,1] op_sel_hi:[1,1,0] neg_lo:[0,0,1] neg_hi:[0,0,1]
	v_pk_fma_f32 v[102:103], v[102:103], v[92:93], v[106:107] op_sel:[0,0,1] op_sel_hi:[1,0,0]
	v_mov_b32_e32 v109, v103
	v_pk_mul_f32 v[102:103], v[104:105], v[94:95] op_sel:[0,1]
	s_delay_alu instid0(VALU_DEP_2) | instskip(NEXT) | instid1(VALU_DEP_2)
	v_pk_add_f32 v[72:73], v[72:73], v[108:109] neg_lo:[0,1] neg_hi:[0,1]
	v_pk_fma_f32 v[106:107], v[104:105], v[92:93], v[102:103] op_sel:[0,0,1] op_sel_hi:[1,1,0] neg_lo:[0,0,1] neg_hi:[0,0,1]
	v_pk_fma_f32 v[102:103], v[104:105], v[92:93], v[102:103] op_sel:[0,0,1] op_sel_hi:[1,0,0]
	s_delay_alu instid0(VALU_DEP_1) | instskip(SKIP_4) | instid1(VALU_DEP_1)
	v_mov_b32_e32 v107, v103
	ds_load_b64 v[102:103], v96 offset:336
	v_pk_add_f32 v[70:71], v[70:71], v[106:107] neg_lo:[0,1] neg_hi:[0,1]
	s_wait_dscnt 0x0
	v_pk_mul_f32 v[94:95], v[102:103], v[94:95] op_sel:[0,1]
	v_pk_fma_f32 v[104:105], v[102:103], v[92:93], v[94:95] op_sel:[0,0,1] op_sel_hi:[1,1,0] neg_lo:[0,0,1] neg_hi:[0,0,1]
	v_pk_fma_f32 v[92:93], v[102:103], v[92:93], v[94:95] op_sel:[0,0,1] op_sel_hi:[1,0,0]
	s_delay_alu instid0(VALU_DEP_1) | instskip(NEXT) | instid1(VALU_DEP_1)
	v_mov_b32_e32 v105, v93
	v_pk_add_f32 v[90:91], v[90:91], v[104:105] neg_lo:[0,1] neg_hi:[0,1]
.LBB84_419:
	s_or_b32 exec_lo, exec_lo, s0
	v_lshl_add_u32 v92, v100, 3, v96
	s_barrier_signal -1
	s_barrier_wait -1
	ds_store_b64 v92, v[54:55]
	s_wait_dscnt 0x0
	s_barrier_signal -1
	s_barrier_wait -1
	ds_load_b64 v[94:95], v96 offset:160
	v_mov_b32_e32 v92, 20
	s_cmp_lt_i32 s14, 22
	s_cbranch_scc1 .LBB84_422
; %bb.420:
	v_add3_u32 v93, v97, 0, 0xa8
	v_mov_b32_e32 v92, 20
	s_mov_b32 s0, 21
.LBB84_421:                             ; =>This Inner Loop Header: Depth=1
	ds_load_b64 v[102:103], v93
	s_wait_dscnt 0x1
	v_cmp_gt_f32_e32 vcc_lo, 0, v94
	v_cndmask_b32_e64 v104, v94, -v94, vcc_lo
	v_cmp_gt_f32_e32 vcc_lo, 0, v95
	v_cndmask_b32_e64 v106, v95, -v95, vcc_lo
	s_wait_dscnt 0x0
	v_cmp_gt_f32_e32 vcc_lo, 0, v102
	v_cndmask_b32_e64 v105, v102, -v102, vcc_lo
	v_cmp_gt_f32_e32 vcc_lo, 0, v103
	v_cndmask_b32_e64 v107, v103, -v103, vcc_lo
	s_delay_alu instid0(VALU_DEP_1) | instskip(NEXT) | instid1(VALU_DEP_1)
	v_pk_add_f32 v[104:105], v[104:105], v[106:107]
	v_cmp_lt_f32_e32 vcc_lo, v104, v105
	v_dual_add_nc_u32 v93, 8, v93 :: v_dual_cndmask_b32 v95, v95, v103, vcc_lo
	v_cndmask_b32_e32 v94, v94, v102, vcc_lo
	v_cndmask_b32_e64 v92, v92, s0, vcc_lo
	s_add_co_i32 s0, s0, 1
	s_delay_alu instid0(SALU_CYCLE_1)
	s_cmp_lg_u32 s14, s0
	s_cbranch_scc1 .LBB84_421
.LBB84_422:
	s_wait_dscnt 0x0
	v_cmp_eq_f32_e32 vcc_lo, 0, v94
	v_cmp_eq_f32_e64 s0, 0, v95
	s_and_b32 s0, vcc_lo, s0
	s_delay_alu instid0(SALU_CYCLE_1) | instskip(NEXT) | instid1(SALU_CYCLE_1)
	s_and_saveexec_b32 s1, s0
	s_xor_b32 s0, exec_lo, s1
; %bb.423:
	v_cmp_ne_u32_e32 vcc_lo, 0, v98
	v_cndmask_b32_e32 v98, 21, v98, vcc_lo
; %bb.424:
	s_and_not1_saveexec_b32 s0, s0
	s_cbranch_execz .LBB84_430
; %bb.425:
	v_cmp_ngt_f32_e64 s1, |v94|, |v95|
	s_and_saveexec_b32 s15, s1
	s_delay_alu instid0(SALU_CYCLE_1)
	s_xor_b32 s1, exec_lo, s15
	s_cbranch_execz .LBB84_427
; %bb.426:
	v_div_scale_f32 v93, null, v95, v95, v94
	v_div_scale_f32 v103, vcc_lo, v94, v95, v94
	s_delay_alu instid0(VALU_DEP_2) | instskip(SKIP_1) | instid1(TRANS32_DEP_1)
	v_rcp_f32_e32 v101, v93
	v_nop
	v_fma_f32 v102, -v93, v101, 1.0
	s_delay_alu instid0(VALU_DEP_1) | instskip(NEXT) | instid1(VALU_DEP_1)
	v_fmac_f32_e32 v101, v102, v101
	v_mul_f32_e32 v102, v103, v101
	s_delay_alu instid0(VALU_DEP_1) | instskip(NEXT) | instid1(VALU_DEP_1)
	v_fma_f32 v104, -v93, v102, v103
	v_fmac_f32_e32 v102, v104, v101
	s_delay_alu instid0(VALU_DEP_1) | instskip(NEXT) | instid1(VALU_DEP_1)
	v_fma_f32 v93, -v93, v102, v103
	v_div_fmas_f32 v93, v93, v101, v102
	s_delay_alu instid0(VALU_DEP_1) | instskip(NEXT) | instid1(VALU_DEP_1)
	v_div_fixup_f32 v93, v93, v95, v94
	v_fmac_f32_e32 v95, v94, v93
	s_delay_alu instid0(VALU_DEP_1) | instskip(SKIP_1) | instid1(VALU_DEP_2)
	v_div_scale_f32 v94, null, v95, v95, 1.0
	v_div_scale_f32 v103, vcc_lo, 1.0, v95, 1.0
	v_rcp_f32_e32 v101, v94
	v_nop
	s_delay_alu instid0(TRANS32_DEP_1) | instskip(NEXT) | instid1(VALU_DEP_1)
	v_fma_f32 v102, -v94, v101, 1.0
	v_fmac_f32_e32 v101, v102, v101
	s_delay_alu instid0(VALU_DEP_1) | instskip(NEXT) | instid1(VALU_DEP_1)
	v_mul_f32_e32 v102, v103, v101
	v_fma_f32 v104, -v94, v102, v103
	s_delay_alu instid0(VALU_DEP_1) | instskip(NEXT) | instid1(VALU_DEP_1)
	v_fmac_f32_e32 v102, v104, v101
	v_fma_f32 v94, -v94, v102, v103
	s_delay_alu instid0(VALU_DEP_1) | instskip(NEXT) | instid1(VALU_DEP_1)
	v_div_fmas_f32 v94, v94, v101, v102
	v_div_fixup_f32 v95, v94, v95, 1.0
	s_delay_alu instid0(VALU_DEP_1)
	v_mul_f32_e32 v94, v93, v95
	v_xor_b32_e32 v95, 0x80000000, v95
.LBB84_427:
	s_and_not1_saveexec_b32 s1, s1
	s_cbranch_execz .LBB84_429
; %bb.428:
	s_delay_alu instid0(VALU_DEP_1) | instskip(SKIP_1) | instid1(VALU_DEP_2)
	v_div_scale_f32 v93, null, v94, v94, v95
	v_div_scale_f32 v103, vcc_lo, v95, v94, v95
	v_rcp_f32_e32 v101, v93
	v_nop
	s_delay_alu instid0(TRANS32_DEP_1) | instskip(NEXT) | instid1(VALU_DEP_1)
	v_fma_f32 v102, -v93, v101, 1.0
	v_fmac_f32_e32 v101, v102, v101
	s_delay_alu instid0(VALU_DEP_1) | instskip(NEXT) | instid1(VALU_DEP_1)
	v_mul_f32_e32 v102, v103, v101
	v_fma_f32 v104, -v93, v102, v103
	s_delay_alu instid0(VALU_DEP_1) | instskip(NEXT) | instid1(VALU_DEP_1)
	v_fmac_f32_e32 v102, v104, v101
	v_fma_f32 v93, -v93, v102, v103
	s_delay_alu instid0(VALU_DEP_1) | instskip(NEXT) | instid1(VALU_DEP_1)
	v_div_fmas_f32 v93, v93, v101, v102
	v_div_fixup_f32 v93, v93, v94, v95
	s_delay_alu instid0(VALU_DEP_1) | instskip(NEXT) | instid1(VALU_DEP_1)
	v_fmac_f32_e32 v94, v95, v93
	v_div_scale_f32 v95, null, v94, v94, 1.0
	s_delay_alu instid0(VALU_DEP_1) | instskip(SKIP_1) | instid1(TRANS32_DEP_1)
	v_rcp_f32_e32 v101, v95
	v_nop
	v_fma_f32 v102, -v95, v101, 1.0
	s_delay_alu instid0(VALU_DEP_1) | instskip(SKIP_1) | instid1(VALU_DEP_1)
	v_fmac_f32_e32 v101, v102, v101
	v_div_scale_f32 v102, vcc_lo, 1.0, v94, 1.0
	v_mul_f32_e32 v103, v102, v101
	s_delay_alu instid0(VALU_DEP_1) | instskip(NEXT) | instid1(VALU_DEP_1)
	v_fma_f32 v104, -v95, v103, v102
	v_fmac_f32_e32 v103, v104, v101
	s_delay_alu instid0(VALU_DEP_1) | instskip(NEXT) | instid1(VALU_DEP_1)
	v_fma_f32 v95, -v95, v103, v102
	v_div_fmas_f32 v95, v95, v101, v103
	s_delay_alu instid0(VALU_DEP_1) | instskip(NEXT) | instid1(VALU_DEP_1)
	v_div_fixup_f32 v94, v95, v94, 1.0
	v_mul_f32_e64 v95, v93, -v94
.LBB84_429:
	s_or_b32 exec_lo, exec_lo, s1
.LBB84_430:
	s_delay_alu instid0(SALU_CYCLE_1) | instskip(NEXT) | instid1(SALU_CYCLE_1)
	s_or_b32 exec_lo, exec_lo, s0
	s_mov_b32 s0, exec_lo
	v_cmpx_ne_u32_e64 v100, v92
	s_xor_b32 s0, exec_lo, s0
	s_cbranch_execz .LBB84_436
; %bb.431:
	s_mov_b32 s1, exec_lo
	v_cmpx_eq_u32_e32 20, v100
	s_cbranch_execz .LBB84_435
; %bb.432:
	v_cmp_ne_u32_e32 vcc_lo, 20, v92
	s_xor_b32 s15, s12, -1
	s_delay_alu instid0(SALU_CYCLE_1) | instskip(NEXT) | instid1(SALU_CYCLE_1)
	s_and_b32 s16, s15, vcc_lo
	s_and_saveexec_b32 s15, s16
	s_cbranch_execz .LBB84_434
; %bb.433:
	v_ashrrev_i32_e32 v93, 31, v92
	s_delay_alu instid0(VALU_DEP_1)
	v_lshl_add_u64 v[100:101], v[92:93], 2, v[4:5]
	s_clause 0x1
	global_load_b32 v93, v[100:101], off
	global_load_b32 v99, v[4:5], off offset:80
	s_wait_loadcnt 0x1
	global_store_b32 v[4:5], v93, off offset:80
	s_wait_loadcnt 0x0
	global_store_b32 v[100:101], v99, off
.LBB84_434:
	s_wait_xcnt 0x0
	s_or_b32 exec_lo, exec_lo, s15
	v_dual_mov_b32 v100, v92 :: v_dual_mov_b32 v99, v92
.LBB84_435:
	s_or_b32 exec_lo, exec_lo, s1
.LBB84_436:
	s_and_not1_saveexec_b32 s0, s0
	s_cbranch_execz .LBB84_438
; %bb.437:
	v_mov_b32_e32 v100, 20
	ds_store_2addr_b64 v96, v[52:53], v[32:33] offset0:21 offset1:22
	ds_store_2addr_b64 v96, v[30:31], v[68:69] offset0:23 offset1:24
	;; [unrolled: 1-line block ×11, first 2 shown]
.LBB84_438:
	s_or_b32 exec_lo, exec_lo, s0
	s_delay_alu instid0(SALU_CYCLE_1)
	s_mov_b32 s0, exec_lo
	s_wait_storecnt_dscnt 0x0
	s_barrier_signal -1
	s_barrier_wait -1
	v_cmpx_lt_i32_e32 20, v100
	s_cbranch_execz .LBB84_440
; %bb.439:
	v_pk_mul_f32 v[102:103], v[94:95], v[54:55] op_sel:[1,1] op_sel_hi:[0,1]
	s_delay_alu instid0(VALU_DEP_1)
	v_pk_fma_f32 v[92:93], v[94:95], v[54:55], v[102:103] op_sel_hi:[1,0,1] neg_lo:[0,0,1] neg_hi:[0,0,1]
	v_pk_fma_f32 v[94:95], v[94:95], v[54:55], v[102:103] op_sel_hi:[1,0,1]
	ds_load_2addr_b64 v[102:105], v96 offset0:21 offset1:22
	v_dual_mov_b32 v54, v92 :: v_dual_mov_b32 v55, v95
	s_wait_dscnt 0x0
	v_pk_mul_f32 v[106:107], v[102:103], v[94:95] op_sel:[0,1]
	s_delay_alu instid0(VALU_DEP_1) | instskip(SKIP_1) | instid1(VALU_DEP_1)
	v_pk_fma_f32 v[108:109], v[102:103], v[92:93], v[106:107] op_sel:[0,0,1] op_sel_hi:[1,1,0] neg_lo:[0,0,1] neg_hi:[0,0,1]
	v_pk_fma_f32 v[102:103], v[102:103], v[92:93], v[106:107] op_sel:[0,0,1] op_sel_hi:[1,0,0]
	v_mov_b32_e32 v109, v103
	v_pk_mul_f32 v[102:103], v[104:105], v[94:95] op_sel:[0,1]
	s_delay_alu instid0(VALU_DEP_1) | instskip(SKIP_1) | instid1(VALU_DEP_1)
	v_pk_fma_f32 v[106:107], v[104:105], v[92:93], v[102:103] op_sel:[0,0,1] op_sel_hi:[1,1,0] neg_lo:[0,0,1] neg_hi:[0,0,1]
	v_pk_fma_f32 v[102:103], v[104:105], v[92:93], v[102:103] op_sel:[0,0,1] op_sel_hi:[1,0,0]
	v_mov_b32_e32 v107, v103
	ds_load_2addr_b64 v[102:105], v96 offset0:23 offset1:24
	v_pk_add_f32 v[52:53], v[52:53], v[108:109] neg_lo:[0,1] neg_hi:[0,1]
	v_pk_add_f32 v[32:33], v[32:33], v[106:107] neg_lo:[0,1] neg_hi:[0,1]
	s_wait_dscnt 0x0
	v_pk_mul_f32 v[106:107], v[102:103], v[94:95] op_sel:[0,1]
	s_delay_alu instid0(VALU_DEP_1) | instskip(SKIP_2) | instid1(VALU_DEP_2)
	v_pk_fma_f32 v[108:109], v[102:103], v[92:93], v[106:107] op_sel:[0,0,1] op_sel_hi:[1,1,0] neg_lo:[0,0,1] neg_hi:[0,0,1]
	v_pk_fma_f32 v[102:103], v[102:103], v[92:93], v[106:107] op_sel:[0,0,1] op_sel_hi:[1,0,0]
	v_dual_mul_f32 v106, v105, v95 :: v_dual_mov_b32 v102, v105
	v_dual_mov_b32 v109, v103 :: v_dual_mov_b32 v103, v104
	s_delay_alu instid0(VALU_DEP_2) | instskip(SKIP_1) | instid1(VALU_DEP_3)
	v_pk_fma_f32 v[106:107], v[104:105], v[54:55], v[106:107] op_sel_hi:[1,1,0] neg_lo:[0,0,1] neg_hi:[0,0,1]
	v_mul_f32_e32 v104, v105, v92
	v_pk_add_f32 v[30:31], v[30:31], v[108:109] neg_lo:[0,1] neg_hi:[0,1]
	s_delay_alu instid0(VALU_DEP_2) | instskip(NEXT) | instid1(VALU_DEP_1)
	v_pk_fma_f32 v[102:103], v[102:103], v[54:55], v[104:105] op_sel_hi:[1,1,0]
	v_mov_b32_e32 v107, v103
	ds_load_2addr_b64 v[102:105], v96 offset0:25 offset1:26
	v_pk_add_f32 v[68:69], v[68:69], v[106:107] neg_lo:[0,1] neg_hi:[0,1]
	s_wait_dscnt 0x0
	v_pk_mul_f32 v[106:107], v[102:103], v[94:95] op_sel:[0,1]
	s_delay_alu instid0(VALU_DEP_1) | instskip(SKIP_1) | instid1(VALU_DEP_1)
	v_pk_fma_f32 v[108:109], v[102:103], v[92:93], v[106:107] op_sel:[0,0,1] op_sel_hi:[1,1,0] neg_lo:[0,0,1] neg_hi:[0,0,1]
	v_pk_fma_f32 v[102:103], v[102:103], v[92:93], v[106:107] op_sel:[0,0,1] op_sel_hi:[1,0,0]
	v_mov_b32_e32 v109, v103
	v_pk_mul_f32 v[102:103], v[104:105], v[94:95] op_sel:[0,1]
	s_delay_alu instid0(VALU_DEP_1) | instskip(SKIP_1) | instid1(VALU_DEP_1)
	v_pk_fma_f32 v[106:107], v[104:105], v[92:93], v[102:103] op_sel:[0,0,1] op_sel_hi:[1,1,0] neg_lo:[0,0,1] neg_hi:[0,0,1]
	v_pk_fma_f32 v[102:103], v[104:105], v[92:93], v[102:103] op_sel:[0,0,1] op_sel_hi:[1,0,0]
	v_mov_b32_e32 v107, v103
	ds_load_2addr_b64 v[102:105], v96 offset0:27 offset1:28
	v_pk_add_f32 v[66:67], v[66:67], v[108:109] neg_lo:[0,1] neg_hi:[0,1]
	v_pk_add_f32 v[40:41], v[40:41], v[106:107] neg_lo:[0,1] neg_hi:[0,1]
	s_wait_dscnt 0x0
	v_pk_mul_f32 v[106:107], v[102:103], v[94:95] op_sel:[0,1]
	s_delay_alu instid0(VALU_DEP_1) | instskip(SKIP_1) | instid1(VALU_DEP_1)
	v_pk_fma_f32 v[108:109], v[102:103], v[92:93], v[106:107] op_sel:[0,0,1] op_sel_hi:[1,1,0] neg_lo:[0,0,1] neg_hi:[0,0,1]
	v_pk_fma_f32 v[102:103], v[102:103], v[92:93], v[106:107] op_sel:[0,0,1] op_sel_hi:[1,0,0]
	v_mov_b32_e32 v109, v103
	v_pk_mul_f32 v[102:103], v[104:105], v[94:95] op_sel:[0,1]
	s_delay_alu instid0(VALU_DEP_1) | instskip(SKIP_1) | instid1(VALU_DEP_1)
	v_pk_fma_f32 v[106:107], v[104:105], v[92:93], v[102:103] op_sel:[0,0,1] op_sel_hi:[1,1,0] neg_lo:[0,0,1] neg_hi:[0,0,1]
	v_pk_fma_f32 v[102:103], v[104:105], v[92:93], v[102:103] op_sel:[0,0,1] op_sel_hi:[1,0,0]
	v_mov_b32_e32 v107, v103
	ds_load_2addr_b64 v[102:105], v96 offset0:29 offset1:30
	v_pk_add_f32 v[38:39], v[38:39], v[108:109] neg_lo:[0,1] neg_hi:[0,1]
	v_pk_add_f32 v[76:77], v[76:77], v[106:107] neg_lo:[0,1] neg_hi:[0,1]
	s_wait_dscnt 0x0
	v_dual_mul_f32 v106, v103, v95 :: v_dual_mul_f32 v108, v103, v92
	s_delay_alu instid0(VALU_DEP_1) | instskip(NEXT) | instid1(VALU_DEP_2)
	v_pk_fma_f32 v[106:107], v[102:103], v[54:55], v[106:107] op_sel_hi:[1,1,0] neg_lo:[0,0,1] neg_hi:[0,0,1]
	v_pk_fma_f32 v[102:103], v[102:103], v[54:55], v[108:109] op_sel:[1,0,0] op_sel_hi:[0,1,0]
	s_delay_alu instid0(VALU_DEP_1) | instskip(SKIP_1) | instid1(VALU_DEP_2)
	v_mov_b32_e32 v107, v103
	v_pk_mul_f32 v[102:103], v[104:105], v[94:95] op_sel:[0,1]
	v_pk_add_f32 v[74:75], v[74:75], v[106:107] neg_lo:[0,1] neg_hi:[0,1]
	s_delay_alu instid0(VALU_DEP_2) | instskip(SKIP_1) | instid1(VALU_DEP_1)
	v_pk_fma_f32 v[106:107], v[104:105], v[92:93], v[102:103] op_sel:[0,0,1] op_sel_hi:[1,1,0] neg_lo:[0,0,1] neg_hi:[0,0,1]
	v_pk_fma_f32 v[102:103], v[104:105], v[92:93], v[102:103] op_sel:[0,0,1] op_sel_hi:[1,0,0]
	v_mov_b32_e32 v107, v103
	ds_load_2addr_b64 v[102:105], v96 offset0:31 offset1:32
	v_pk_add_f32 v[50:51], v[50:51], v[106:107] neg_lo:[0,1] neg_hi:[0,1]
	s_wait_dscnt 0x0
	v_pk_mul_f32 v[106:107], v[102:103], v[94:95] op_sel:[0,1]
	s_delay_alu instid0(VALU_DEP_1) | instskip(SKIP_1) | instid1(VALU_DEP_1)
	v_pk_fma_f32 v[108:109], v[102:103], v[92:93], v[106:107] op_sel:[0,0,1] op_sel_hi:[1,1,0] neg_lo:[0,0,1] neg_hi:[0,0,1]
	v_pk_fma_f32 v[102:103], v[102:103], v[92:93], v[106:107] op_sel:[0,0,1] op_sel_hi:[1,0,0]
	v_mov_b32_e32 v109, v103
	v_pk_mul_f32 v[102:103], v[104:105], v[94:95] op_sel:[0,1]
	s_delay_alu instid0(VALU_DEP_2) | instskip(NEXT) | instid1(VALU_DEP_2)
	v_pk_add_f32 v[48:49], v[48:49], v[108:109] neg_lo:[0,1] neg_hi:[0,1]
	v_pk_fma_f32 v[106:107], v[104:105], v[92:93], v[102:103] op_sel:[0,0,1] op_sel_hi:[1,1,0] neg_lo:[0,0,1] neg_hi:[0,0,1]
	v_pk_fma_f32 v[102:103], v[104:105], v[92:93], v[102:103] op_sel:[0,0,1] op_sel_hi:[1,0,0]
	s_delay_alu instid0(VALU_DEP_1) | instskip(SKIP_4) | instid1(VALU_DEP_1)
	v_mov_b32_e32 v107, v103
	ds_load_2addr_b64 v[102:105], v96 offset0:33 offset1:34
	v_pk_add_f32 v[88:89], v[88:89], v[106:107] neg_lo:[0,1] neg_hi:[0,1]
	s_wait_dscnt 0x0
	v_pk_mul_f32 v[106:107], v[102:103], v[94:95] op_sel:[0,1]
	v_pk_fma_f32 v[108:109], v[102:103], v[92:93], v[106:107] op_sel:[0,0,1] op_sel_hi:[1,1,0] neg_lo:[0,0,1] neg_hi:[0,0,1]
	v_pk_fma_f32 v[102:103], v[102:103], v[92:93], v[106:107] op_sel:[0,0,1] op_sel_hi:[1,0,0]
	v_dual_mul_f32 v106, v105, v95 :: v_dual_mov_b32 v102, v105
	s_delay_alu instid0(VALU_DEP_2) | instskip(NEXT) | instid1(VALU_DEP_2)
	v_dual_mov_b32 v109, v103 :: v_dual_mov_b32 v103, v104
	v_pk_fma_f32 v[106:107], v[104:105], v[54:55], v[106:107] op_sel_hi:[1,1,0] neg_lo:[0,0,1] neg_hi:[0,0,1]
	v_mul_f32_e32 v104, v105, v92
	s_delay_alu instid0(VALU_DEP_3) | instskip(NEXT) | instid1(VALU_DEP_2)
	v_pk_add_f32 v[86:87], v[86:87], v[108:109] neg_lo:[0,1] neg_hi:[0,1]
	v_pk_fma_f32 v[102:103], v[102:103], v[54:55], v[104:105] op_sel_hi:[1,1,0]
	s_delay_alu instid0(VALU_DEP_1) | instskip(SKIP_4) | instid1(VALU_DEP_1)
	v_mov_b32_e32 v107, v103
	ds_load_2addr_b64 v[102:105], v96 offset0:35 offset1:36
	v_pk_add_f32 v[60:61], v[60:61], v[106:107] neg_lo:[0,1] neg_hi:[0,1]
	s_wait_dscnt 0x0
	v_pk_mul_f32 v[106:107], v[102:103], v[94:95] op_sel:[0,1]
	v_pk_fma_f32 v[108:109], v[102:103], v[92:93], v[106:107] op_sel:[0,0,1] op_sel_hi:[1,1,0] neg_lo:[0,0,1] neg_hi:[0,0,1]
	v_pk_fma_f32 v[102:103], v[102:103], v[92:93], v[106:107] op_sel:[0,0,1] op_sel_hi:[1,0,0]
	s_delay_alu instid0(VALU_DEP_1) | instskip(SKIP_1) | instid1(VALU_DEP_1)
	v_mov_b32_e32 v109, v103
	v_pk_mul_f32 v[102:103], v[104:105], v[94:95] op_sel:[0,1]
	v_pk_fma_f32 v[106:107], v[104:105], v[92:93], v[102:103] op_sel:[0,0,1] op_sel_hi:[1,1,0] neg_lo:[0,0,1] neg_hi:[0,0,1]
	v_pk_fma_f32 v[102:103], v[104:105], v[92:93], v[102:103] op_sel:[0,0,1] op_sel_hi:[1,0,0]
	s_delay_alu instid0(VALU_DEP_1)
	v_mov_b32_e32 v107, v103
	ds_load_2addr_b64 v[102:105], v96 offset0:37 offset1:38
	v_pk_add_f32 v[58:59], v[58:59], v[108:109] neg_lo:[0,1] neg_hi:[0,1]
	v_pk_add_f32 v[82:83], v[82:83], v[106:107] neg_lo:[0,1] neg_hi:[0,1]
	s_wait_dscnt 0x0
	v_pk_mul_f32 v[106:107], v[102:103], v[94:95] op_sel:[0,1]
	s_delay_alu instid0(VALU_DEP_1) | instskip(SKIP_1) | instid1(VALU_DEP_1)
	v_pk_fma_f32 v[108:109], v[102:103], v[92:93], v[106:107] op_sel:[0,0,1] op_sel_hi:[1,1,0] neg_lo:[0,0,1] neg_hi:[0,0,1]
	v_pk_fma_f32 v[102:103], v[102:103], v[92:93], v[106:107] op_sel:[0,0,1] op_sel_hi:[1,0,0]
	v_mov_b32_e32 v109, v103
	v_pk_mul_f32 v[102:103], v[104:105], v[94:95] op_sel:[0,1]
	s_delay_alu instid0(VALU_DEP_1) | instskip(SKIP_1) | instid1(VALU_DEP_1)
	v_pk_fma_f32 v[106:107], v[104:105], v[92:93], v[102:103] op_sel:[0,0,1] op_sel_hi:[1,1,0] neg_lo:[0,0,1] neg_hi:[0,0,1]
	v_pk_fma_f32 v[102:103], v[104:105], v[92:93], v[102:103] op_sel:[0,0,1] op_sel_hi:[1,0,0]
	v_mov_b32_e32 v107, v103
	ds_load_2addr_b64 v[102:105], v96 offset0:39 offset1:40
	v_pk_add_f32 v[80:81], v[80:81], v[108:109] neg_lo:[0,1] neg_hi:[0,1]
	v_pk_add_f32 v[64:65], v[64:65], v[106:107] neg_lo:[0,1] neg_hi:[0,1]
	s_wait_dscnt 0x0
	v_dual_mul_f32 v106, v103, v95 :: v_dual_mul_f32 v108, v103, v92
	s_delay_alu instid0(VALU_DEP_1) | instskip(NEXT) | instid1(VALU_DEP_2)
	v_pk_fma_f32 v[106:107], v[102:103], v[54:55], v[106:107] op_sel_hi:[1,1,0] neg_lo:[0,0,1] neg_hi:[0,0,1]
	v_pk_fma_f32 v[102:103], v[102:103], v[54:55], v[108:109] op_sel:[1,0,0] op_sel_hi:[0,1,0]
	s_delay_alu instid0(VALU_DEP_1) | instskip(SKIP_1) | instid1(VALU_DEP_2)
	v_mov_b32_e32 v107, v103
	v_pk_mul_f32 v[102:103], v[104:105], v[94:95] op_sel:[0,1]
	v_pk_add_f32 v[62:63], v[62:63], v[106:107] neg_lo:[0,1] neg_hi:[0,1]
	s_delay_alu instid0(VALU_DEP_2) | instskip(SKIP_1) | instid1(VALU_DEP_1)
	v_pk_fma_f32 v[106:107], v[104:105], v[92:93], v[102:103] op_sel:[0,0,1] op_sel_hi:[1,1,0] neg_lo:[0,0,1] neg_hi:[0,0,1]
	v_pk_fma_f32 v[102:103], v[104:105], v[92:93], v[102:103] op_sel:[0,0,1] op_sel_hi:[1,0,0]
	v_mov_b32_e32 v107, v103
	ds_load_2addr_b64 v[102:105], v96 offset0:41 offset1:42
	v_pk_add_f32 v[72:73], v[72:73], v[106:107] neg_lo:[0,1] neg_hi:[0,1]
	s_wait_dscnt 0x0
	v_pk_mul_f32 v[106:107], v[102:103], v[94:95] op_sel:[0,1]
	v_pk_mul_f32 v[94:95], v[104:105], v[94:95] op_sel:[0,1]
	s_delay_alu instid0(VALU_DEP_2) | instskip(SKIP_1) | instid1(VALU_DEP_1)
	v_pk_fma_f32 v[108:109], v[102:103], v[92:93], v[106:107] op_sel:[0,0,1] op_sel_hi:[1,1,0] neg_lo:[0,0,1] neg_hi:[0,0,1]
	v_pk_fma_f32 v[102:103], v[102:103], v[92:93], v[106:107] op_sel:[0,0,1] op_sel_hi:[1,0,0]
	v_mov_b32_e32 v109, v103
	s_delay_alu instid0(VALU_DEP_4) | instskip(SKIP_1) | instid1(VALU_DEP_3)
	v_pk_fma_f32 v[102:103], v[104:105], v[92:93], v[94:95] op_sel:[0,0,1] op_sel_hi:[1,1,0] neg_lo:[0,0,1] neg_hi:[0,0,1]
	v_pk_fma_f32 v[92:93], v[104:105], v[92:93], v[94:95] op_sel:[0,0,1] op_sel_hi:[1,0,0]
	v_pk_add_f32 v[70:71], v[70:71], v[108:109] neg_lo:[0,1] neg_hi:[0,1]
	s_delay_alu instid0(VALU_DEP_2) | instskip(NEXT) | instid1(VALU_DEP_1)
	v_mov_b32_e32 v103, v93
	v_pk_add_f32 v[90:91], v[90:91], v[102:103] neg_lo:[0,1] neg_hi:[0,1]
.LBB84_440:
	s_or_b32 exec_lo, exec_lo, s0
	v_lshl_add_u32 v92, v100, 3, v96
	s_barrier_signal -1
	s_barrier_wait -1
	ds_store_b64 v92, v[52:53]
	s_wait_dscnt 0x0
	s_barrier_signal -1
	s_barrier_wait -1
	ds_load_b64 v[94:95], v96 offset:168
	v_mov_b32_e32 v92, 21
	s_cmp_lt_i32 s14, 23
	s_cbranch_scc1 .LBB84_443
; %bb.441:
	v_add3_u32 v93, v97, 0, 0xb0
	v_mov_b32_e32 v92, 21
	s_mov_b32 s0, 22
.LBB84_442:                             ; =>This Inner Loop Header: Depth=1
	ds_load_b64 v[102:103], v93
	s_wait_dscnt 0x1
	v_cmp_gt_f32_e32 vcc_lo, 0, v94
	v_cndmask_b32_e64 v104, v94, -v94, vcc_lo
	v_cmp_gt_f32_e32 vcc_lo, 0, v95
	v_cndmask_b32_e64 v106, v95, -v95, vcc_lo
	s_wait_dscnt 0x0
	v_cmp_gt_f32_e32 vcc_lo, 0, v102
	v_cndmask_b32_e64 v105, v102, -v102, vcc_lo
	v_cmp_gt_f32_e32 vcc_lo, 0, v103
	v_cndmask_b32_e64 v107, v103, -v103, vcc_lo
	s_delay_alu instid0(VALU_DEP_1) | instskip(NEXT) | instid1(VALU_DEP_1)
	v_pk_add_f32 v[104:105], v[104:105], v[106:107]
	v_cmp_lt_f32_e32 vcc_lo, v104, v105
	v_dual_add_nc_u32 v93, 8, v93 :: v_dual_cndmask_b32 v95, v95, v103, vcc_lo
	v_cndmask_b32_e32 v94, v94, v102, vcc_lo
	v_cndmask_b32_e64 v92, v92, s0, vcc_lo
	s_add_co_i32 s0, s0, 1
	s_delay_alu instid0(SALU_CYCLE_1)
	s_cmp_lg_u32 s14, s0
	s_cbranch_scc1 .LBB84_442
.LBB84_443:
	s_wait_dscnt 0x0
	v_cmp_eq_f32_e32 vcc_lo, 0, v94
	v_cmp_eq_f32_e64 s0, 0, v95
	s_and_b32 s0, vcc_lo, s0
	s_delay_alu instid0(SALU_CYCLE_1) | instskip(NEXT) | instid1(SALU_CYCLE_1)
	s_and_saveexec_b32 s1, s0
	s_xor_b32 s0, exec_lo, s1
; %bb.444:
	v_cmp_ne_u32_e32 vcc_lo, 0, v98
	v_cndmask_b32_e32 v98, 22, v98, vcc_lo
; %bb.445:
	s_and_not1_saveexec_b32 s0, s0
	s_cbranch_execz .LBB84_451
; %bb.446:
	v_cmp_ngt_f32_e64 s1, |v94|, |v95|
	s_and_saveexec_b32 s15, s1
	s_delay_alu instid0(SALU_CYCLE_1)
	s_xor_b32 s1, exec_lo, s15
	s_cbranch_execz .LBB84_448
; %bb.447:
	v_div_scale_f32 v93, null, v95, v95, v94
	v_div_scale_f32 v103, vcc_lo, v94, v95, v94
	s_delay_alu instid0(VALU_DEP_2) | instskip(SKIP_1) | instid1(TRANS32_DEP_1)
	v_rcp_f32_e32 v101, v93
	v_nop
	v_fma_f32 v102, -v93, v101, 1.0
	s_delay_alu instid0(VALU_DEP_1) | instskip(NEXT) | instid1(VALU_DEP_1)
	v_fmac_f32_e32 v101, v102, v101
	v_mul_f32_e32 v102, v103, v101
	s_delay_alu instid0(VALU_DEP_1) | instskip(NEXT) | instid1(VALU_DEP_1)
	v_fma_f32 v104, -v93, v102, v103
	v_fmac_f32_e32 v102, v104, v101
	s_delay_alu instid0(VALU_DEP_1) | instskip(NEXT) | instid1(VALU_DEP_1)
	v_fma_f32 v93, -v93, v102, v103
	v_div_fmas_f32 v93, v93, v101, v102
	s_delay_alu instid0(VALU_DEP_1) | instskip(NEXT) | instid1(VALU_DEP_1)
	v_div_fixup_f32 v93, v93, v95, v94
	v_fmac_f32_e32 v95, v94, v93
	s_delay_alu instid0(VALU_DEP_1) | instskip(SKIP_1) | instid1(VALU_DEP_2)
	v_div_scale_f32 v94, null, v95, v95, 1.0
	v_div_scale_f32 v103, vcc_lo, 1.0, v95, 1.0
	v_rcp_f32_e32 v101, v94
	v_nop
	s_delay_alu instid0(TRANS32_DEP_1) | instskip(NEXT) | instid1(VALU_DEP_1)
	v_fma_f32 v102, -v94, v101, 1.0
	v_fmac_f32_e32 v101, v102, v101
	s_delay_alu instid0(VALU_DEP_1) | instskip(NEXT) | instid1(VALU_DEP_1)
	v_mul_f32_e32 v102, v103, v101
	v_fma_f32 v104, -v94, v102, v103
	s_delay_alu instid0(VALU_DEP_1) | instskip(NEXT) | instid1(VALU_DEP_1)
	v_fmac_f32_e32 v102, v104, v101
	v_fma_f32 v94, -v94, v102, v103
	s_delay_alu instid0(VALU_DEP_1) | instskip(NEXT) | instid1(VALU_DEP_1)
	v_div_fmas_f32 v94, v94, v101, v102
	v_div_fixup_f32 v95, v94, v95, 1.0
	s_delay_alu instid0(VALU_DEP_1)
	v_mul_f32_e32 v94, v93, v95
	v_xor_b32_e32 v95, 0x80000000, v95
.LBB84_448:
	s_and_not1_saveexec_b32 s1, s1
	s_cbranch_execz .LBB84_450
; %bb.449:
	s_delay_alu instid0(VALU_DEP_1) | instskip(SKIP_1) | instid1(VALU_DEP_2)
	v_div_scale_f32 v93, null, v94, v94, v95
	v_div_scale_f32 v103, vcc_lo, v95, v94, v95
	v_rcp_f32_e32 v101, v93
	v_nop
	s_delay_alu instid0(TRANS32_DEP_1) | instskip(NEXT) | instid1(VALU_DEP_1)
	v_fma_f32 v102, -v93, v101, 1.0
	v_fmac_f32_e32 v101, v102, v101
	s_delay_alu instid0(VALU_DEP_1) | instskip(NEXT) | instid1(VALU_DEP_1)
	v_mul_f32_e32 v102, v103, v101
	v_fma_f32 v104, -v93, v102, v103
	s_delay_alu instid0(VALU_DEP_1) | instskip(NEXT) | instid1(VALU_DEP_1)
	v_fmac_f32_e32 v102, v104, v101
	v_fma_f32 v93, -v93, v102, v103
	s_delay_alu instid0(VALU_DEP_1) | instskip(NEXT) | instid1(VALU_DEP_1)
	v_div_fmas_f32 v93, v93, v101, v102
	v_div_fixup_f32 v93, v93, v94, v95
	s_delay_alu instid0(VALU_DEP_1) | instskip(NEXT) | instid1(VALU_DEP_1)
	v_fmac_f32_e32 v94, v95, v93
	v_div_scale_f32 v95, null, v94, v94, 1.0
	s_delay_alu instid0(VALU_DEP_1) | instskip(SKIP_1) | instid1(TRANS32_DEP_1)
	v_rcp_f32_e32 v101, v95
	v_nop
	v_fma_f32 v102, -v95, v101, 1.0
	s_delay_alu instid0(VALU_DEP_1) | instskip(SKIP_1) | instid1(VALU_DEP_1)
	v_fmac_f32_e32 v101, v102, v101
	v_div_scale_f32 v102, vcc_lo, 1.0, v94, 1.0
	v_mul_f32_e32 v103, v102, v101
	s_delay_alu instid0(VALU_DEP_1) | instskip(NEXT) | instid1(VALU_DEP_1)
	v_fma_f32 v104, -v95, v103, v102
	v_fmac_f32_e32 v103, v104, v101
	s_delay_alu instid0(VALU_DEP_1) | instskip(NEXT) | instid1(VALU_DEP_1)
	v_fma_f32 v95, -v95, v103, v102
	v_div_fmas_f32 v95, v95, v101, v103
	s_delay_alu instid0(VALU_DEP_1) | instskip(NEXT) | instid1(VALU_DEP_1)
	v_div_fixup_f32 v94, v95, v94, 1.0
	v_mul_f32_e64 v95, v93, -v94
.LBB84_450:
	s_or_b32 exec_lo, exec_lo, s1
.LBB84_451:
	s_delay_alu instid0(SALU_CYCLE_1) | instskip(NEXT) | instid1(SALU_CYCLE_1)
	s_or_b32 exec_lo, exec_lo, s0
	s_mov_b32 s0, exec_lo
	v_cmpx_ne_u32_e64 v100, v92
	s_xor_b32 s0, exec_lo, s0
	s_cbranch_execz .LBB84_457
; %bb.452:
	s_mov_b32 s1, exec_lo
	v_cmpx_eq_u32_e32 21, v100
	s_cbranch_execz .LBB84_456
; %bb.453:
	v_cmp_ne_u32_e32 vcc_lo, 21, v92
	s_xor_b32 s15, s12, -1
	s_delay_alu instid0(SALU_CYCLE_1) | instskip(NEXT) | instid1(SALU_CYCLE_1)
	s_and_b32 s16, s15, vcc_lo
	s_and_saveexec_b32 s15, s16
	s_cbranch_execz .LBB84_455
; %bb.454:
	v_ashrrev_i32_e32 v93, 31, v92
	s_delay_alu instid0(VALU_DEP_1)
	v_lshl_add_u64 v[100:101], v[92:93], 2, v[4:5]
	s_clause 0x1
	global_load_b32 v93, v[100:101], off
	global_load_b32 v99, v[4:5], off offset:84
	s_wait_loadcnt 0x1
	global_store_b32 v[4:5], v93, off offset:84
	s_wait_loadcnt 0x0
	global_store_b32 v[100:101], v99, off
.LBB84_455:
	s_wait_xcnt 0x0
	s_or_b32 exec_lo, exec_lo, s15
	v_dual_mov_b32 v100, v92 :: v_dual_mov_b32 v99, v92
.LBB84_456:
	s_or_b32 exec_lo, exec_lo, s1
.LBB84_457:
	s_and_not1_saveexec_b32 s0, s0
	s_cbranch_execz .LBB84_459
; %bb.458:
	v_dual_mov_b32 v92, v32 :: v_dual_mov_b32 v93, v33
	v_dual_mov_b32 v100, v30 :: v_dual_mov_b32 v101, v31
	ds_store_2addr_b64 v96, v[92:93], v[100:101] offset0:22 offset1:23
	v_dual_mov_b32 v92, v68 :: v_dual_mov_b32 v93, v69
	v_dual_mov_b32 v100, v66 :: v_dual_mov_b32 v101, v67
	ds_store_2addr_b64 v96, v[92:93], v[100:101] offset0:24 offset1:25
	;; [unrolled: 3-line block ×10, first 2 shown]
	ds_store_b64 v96, v[90:91] offset:336
	v_mov_b32_e32 v100, 21
.LBB84_459:
	s_or_b32 exec_lo, exec_lo, s0
	s_delay_alu instid0(SALU_CYCLE_1)
	s_mov_b32 s0, exec_lo
	s_wait_storecnt_dscnt 0x0
	s_barrier_signal -1
	s_barrier_wait -1
	v_cmpx_lt_i32_e32 21, v100
	s_cbranch_execz .LBB84_461
; %bb.460:
	v_pk_mul_f32 v[102:103], v[94:95], v[52:53] op_sel:[1,1] op_sel_hi:[0,1]
	s_delay_alu instid0(VALU_DEP_1)
	v_pk_fma_f32 v[92:93], v[94:95], v[52:53], v[102:103] op_sel_hi:[1,0,1] neg_lo:[0,0,1] neg_hi:[0,0,1]
	v_pk_fma_f32 v[94:95], v[94:95], v[52:53], v[102:103] op_sel_hi:[1,0,1]
	ds_load_2addr_b64 v[102:105], v96 offset0:22 offset1:23
	v_dual_mov_b32 v52, v92 :: v_dual_mov_b32 v53, v95
	s_wait_dscnt 0x0
	v_pk_mul_f32 v[106:107], v[102:103], v[94:95] op_sel:[0,1]
	s_delay_alu instid0(VALU_DEP_1) | instskip(SKIP_1) | instid1(VALU_DEP_1)
	v_pk_fma_f32 v[108:109], v[102:103], v[92:93], v[106:107] op_sel:[0,0,1] op_sel_hi:[1,1,0] neg_lo:[0,0,1] neg_hi:[0,0,1]
	v_pk_fma_f32 v[102:103], v[102:103], v[92:93], v[106:107] op_sel:[0,0,1] op_sel_hi:[1,0,0]
	v_mov_b32_e32 v109, v103
	v_pk_mul_f32 v[102:103], v[104:105], v[94:95] op_sel:[0,1]
	s_delay_alu instid0(VALU_DEP_1) | instskip(SKIP_1) | instid1(VALU_DEP_1)
	v_pk_fma_f32 v[106:107], v[104:105], v[92:93], v[102:103] op_sel:[0,0,1] op_sel_hi:[1,1,0] neg_lo:[0,0,1] neg_hi:[0,0,1]
	v_pk_fma_f32 v[102:103], v[104:105], v[92:93], v[102:103] op_sel:[0,0,1] op_sel_hi:[1,0,0]
	v_mov_b32_e32 v107, v103
	ds_load_2addr_b64 v[102:105], v96 offset0:24 offset1:25
	v_pk_add_f32 v[32:33], v[32:33], v[108:109] neg_lo:[0,1] neg_hi:[0,1]
	v_pk_add_f32 v[30:31], v[30:31], v[106:107] neg_lo:[0,1] neg_hi:[0,1]
	s_wait_dscnt 0x0
	v_pk_mul_f32 v[106:107], v[102:103], v[94:95] op_sel:[0,1]
	s_delay_alu instid0(VALU_DEP_1) | instskip(SKIP_2) | instid1(VALU_DEP_2)
	v_pk_fma_f32 v[108:109], v[102:103], v[92:93], v[106:107] op_sel:[0,0,1] op_sel_hi:[1,1,0] neg_lo:[0,0,1] neg_hi:[0,0,1]
	v_pk_fma_f32 v[102:103], v[102:103], v[92:93], v[106:107] op_sel:[0,0,1] op_sel_hi:[1,0,0]
	v_dual_mul_f32 v106, v105, v95 :: v_dual_mov_b32 v102, v105
	v_dual_mov_b32 v109, v103 :: v_dual_mov_b32 v103, v104
	s_delay_alu instid0(VALU_DEP_2) | instskip(SKIP_1) | instid1(VALU_DEP_3)
	v_pk_fma_f32 v[106:107], v[104:105], v[52:53], v[106:107] op_sel_hi:[1,1,0] neg_lo:[0,0,1] neg_hi:[0,0,1]
	v_mul_f32_e32 v104, v105, v92
	v_pk_add_f32 v[68:69], v[68:69], v[108:109] neg_lo:[0,1] neg_hi:[0,1]
	s_delay_alu instid0(VALU_DEP_2) | instskip(NEXT) | instid1(VALU_DEP_1)
	v_pk_fma_f32 v[102:103], v[102:103], v[52:53], v[104:105] op_sel_hi:[1,1,0]
	v_mov_b32_e32 v107, v103
	ds_load_2addr_b64 v[102:105], v96 offset0:26 offset1:27
	v_pk_add_f32 v[66:67], v[66:67], v[106:107] neg_lo:[0,1] neg_hi:[0,1]
	s_wait_dscnt 0x0
	v_pk_mul_f32 v[106:107], v[102:103], v[94:95] op_sel:[0,1]
	s_delay_alu instid0(VALU_DEP_1) | instskip(SKIP_1) | instid1(VALU_DEP_1)
	v_pk_fma_f32 v[108:109], v[102:103], v[92:93], v[106:107] op_sel:[0,0,1] op_sel_hi:[1,1,0] neg_lo:[0,0,1] neg_hi:[0,0,1]
	v_pk_fma_f32 v[102:103], v[102:103], v[92:93], v[106:107] op_sel:[0,0,1] op_sel_hi:[1,0,0]
	v_mov_b32_e32 v109, v103
	v_pk_mul_f32 v[102:103], v[104:105], v[94:95] op_sel:[0,1]
	s_delay_alu instid0(VALU_DEP_1) | instskip(SKIP_1) | instid1(VALU_DEP_1)
	v_pk_fma_f32 v[106:107], v[104:105], v[92:93], v[102:103] op_sel:[0,0,1] op_sel_hi:[1,1,0] neg_lo:[0,0,1] neg_hi:[0,0,1]
	v_pk_fma_f32 v[102:103], v[104:105], v[92:93], v[102:103] op_sel:[0,0,1] op_sel_hi:[1,0,0]
	v_mov_b32_e32 v107, v103
	ds_load_2addr_b64 v[102:105], v96 offset0:28 offset1:29
	v_pk_add_f32 v[40:41], v[40:41], v[108:109] neg_lo:[0,1] neg_hi:[0,1]
	v_pk_add_f32 v[38:39], v[38:39], v[106:107] neg_lo:[0,1] neg_hi:[0,1]
	s_wait_dscnt 0x0
	v_pk_mul_f32 v[106:107], v[102:103], v[94:95] op_sel:[0,1]
	s_delay_alu instid0(VALU_DEP_1) | instskip(SKIP_1) | instid1(VALU_DEP_1)
	v_pk_fma_f32 v[108:109], v[102:103], v[92:93], v[106:107] op_sel:[0,0,1] op_sel_hi:[1,1,0] neg_lo:[0,0,1] neg_hi:[0,0,1]
	v_pk_fma_f32 v[102:103], v[102:103], v[92:93], v[106:107] op_sel:[0,0,1] op_sel_hi:[1,0,0]
	v_mov_b32_e32 v109, v103
	v_pk_mul_f32 v[102:103], v[104:105], v[94:95] op_sel:[0,1]
	s_delay_alu instid0(VALU_DEP_1) | instskip(SKIP_1) | instid1(VALU_DEP_1)
	v_pk_fma_f32 v[106:107], v[104:105], v[92:93], v[102:103] op_sel:[0,0,1] op_sel_hi:[1,1,0] neg_lo:[0,0,1] neg_hi:[0,0,1]
	v_pk_fma_f32 v[102:103], v[104:105], v[92:93], v[102:103] op_sel:[0,0,1] op_sel_hi:[1,0,0]
	v_mov_b32_e32 v107, v103
	ds_load_2addr_b64 v[102:105], v96 offset0:30 offset1:31
	v_pk_add_f32 v[76:77], v[76:77], v[108:109] neg_lo:[0,1] neg_hi:[0,1]
	v_pk_add_f32 v[74:75], v[74:75], v[106:107] neg_lo:[0,1] neg_hi:[0,1]
	s_wait_dscnt 0x0
	v_dual_mul_f32 v106, v103, v95 :: v_dual_mul_f32 v108, v103, v92
	s_delay_alu instid0(VALU_DEP_1) | instskip(NEXT) | instid1(VALU_DEP_2)
	v_pk_fma_f32 v[106:107], v[102:103], v[52:53], v[106:107] op_sel_hi:[1,1,0] neg_lo:[0,0,1] neg_hi:[0,0,1]
	v_pk_fma_f32 v[102:103], v[102:103], v[52:53], v[108:109] op_sel:[1,0,0] op_sel_hi:[0,1,0]
	s_delay_alu instid0(VALU_DEP_1) | instskip(SKIP_1) | instid1(VALU_DEP_2)
	v_mov_b32_e32 v107, v103
	v_pk_mul_f32 v[102:103], v[104:105], v[94:95] op_sel:[0,1]
	v_pk_add_f32 v[50:51], v[50:51], v[106:107] neg_lo:[0,1] neg_hi:[0,1]
	s_delay_alu instid0(VALU_DEP_2) | instskip(SKIP_1) | instid1(VALU_DEP_1)
	v_pk_fma_f32 v[106:107], v[104:105], v[92:93], v[102:103] op_sel:[0,0,1] op_sel_hi:[1,1,0] neg_lo:[0,0,1] neg_hi:[0,0,1]
	v_pk_fma_f32 v[102:103], v[104:105], v[92:93], v[102:103] op_sel:[0,0,1] op_sel_hi:[1,0,0]
	v_mov_b32_e32 v107, v103
	ds_load_2addr_b64 v[102:105], v96 offset0:32 offset1:33
	v_pk_add_f32 v[48:49], v[48:49], v[106:107] neg_lo:[0,1] neg_hi:[0,1]
	s_wait_dscnt 0x0
	v_pk_mul_f32 v[106:107], v[102:103], v[94:95] op_sel:[0,1]
	s_delay_alu instid0(VALU_DEP_1) | instskip(SKIP_1) | instid1(VALU_DEP_1)
	v_pk_fma_f32 v[108:109], v[102:103], v[92:93], v[106:107] op_sel:[0,0,1] op_sel_hi:[1,1,0] neg_lo:[0,0,1] neg_hi:[0,0,1]
	v_pk_fma_f32 v[102:103], v[102:103], v[92:93], v[106:107] op_sel:[0,0,1] op_sel_hi:[1,0,0]
	v_mov_b32_e32 v109, v103
	v_pk_mul_f32 v[102:103], v[104:105], v[94:95] op_sel:[0,1]
	s_delay_alu instid0(VALU_DEP_2) | instskip(NEXT) | instid1(VALU_DEP_2)
	v_pk_add_f32 v[88:89], v[88:89], v[108:109] neg_lo:[0,1] neg_hi:[0,1]
	v_pk_fma_f32 v[106:107], v[104:105], v[92:93], v[102:103] op_sel:[0,0,1] op_sel_hi:[1,1,0] neg_lo:[0,0,1] neg_hi:[0,0,1]
	v_pk_fma_f32 v[102:103], v[104:105], v[92:93], v[102:103] op_sel:[0,0,1] op_sel_hi:[1,0,0]
	s_delay_alu instid0(VALU_DEP_1) | instskip(SKIP_4) | instid1(VALU_DEP_1)
	v_mov_b32_e32 v107, v103
	ds_load_2addr_b64 v[102:105], v96 offset0:34 offset1:35
	v_pk_add_f32 v[86:87], v[86:87], v[106:107] neg_lo:[0,1] neg_hi:[0,1]
	s_wait_dscnt 0x0
	v_pk_mul_f32 v[106:107], v[102:103], v[94:95] op_sel:[0,1]
	v_pk_fma_f32 v[108:109], v[102:103], v[92:93], v[106:107] op_sel:[0,0,1] op_sel_hi:[1,1,0] neg_lo:[0,0,1] neg_hi:[0,0,1]
	v_pk_fma_f32 v[102:103], v[102:103], v[92:93], v[106:107] op_sel:[0,0,1] op_sel_hi:[1,0,0]
	v_dual_mul_f32 v106, v105, v95 :: v_dual_mov_b32 v102, v105
	s_delay_alu instid0(VALU_DEP_2) | instskip(NEXT) | instid1(VALU_DEP_2)
	v_dual_mov_b32 v109, v103 :: v_dual_mov_b32 v103, v104
	v_pk_fma_f32 v[106:107], v[104:105], v[52:53], v[106:107] op_sel_hi:[1,1,0] neg_lo:[0,0,1] neg_hi:[0,0,1]
	v_mul_f32_e32 v104, v105, v92
	s_delay_alu instid0(VALU_DEP_3) | instskip(NEXT) | instid1(VALU_DEP_2)
	v_pk_add_f32 v[60:61], v[60:61], v[108:109] neg_lo:[0,1] neg_hi:[0,1]
	v_pk_fma_f32 v[102:103], v[102:103], v[52:53], v[104:105] op_sel_hi:[1,1,0]
	s_delay_alu instid0(VALU_DEP_1) | instskip(SKIP_4) | instid1(VALU_DEP_1)
	v_mov_b32_e32 v107, v103
	ds_load_2addr_b64 v[102:105], v96 offset0:36 offset1:37
	v_pk_add_f32 v[58:59], v[58:59], v[106:107] neg_lo:[0,1] neg_hi:[0,1]
	s_wait_dscnt 0x0
	v_pk_mul_f32 v[106:107], v[102:103], v[94:95] op_sel:[0,1]
	v_pk_fma_f32 v[108:109], v[102:103], v[92:93], v[106:107] op_sel:[0,0,1] op_sel_hi:[1,1,0] neg_lo:[0,0,1] neg_hi:[0,0,1]
	v_pk_fma_f32 v[102:103], v[102:103], v[92:93], v[106:107] op_sel:[0,0,1] op_sel_hi:[1,0,0]
	s_delay_alu instid0(VALU_DEP_1) | instskip(SKIP_1) | instid1(VALU_DEP_1)
	v_mov_b32_e32 v109, v103
	v_pk_mul_f32 v[102:103], v[104:105], v[94:95] op_sel:[0,1]
	v_pk_fma_f32 v[106:107], v[104:105], v[92:93], v[102:103] op_sel:[0,0,1] op_sel_hi:[1,1,0] neg_lo:[0,0,1] neg_hi:[0,0,1]
	v_pk_fma_f32 v[102:103], v[104:105], v[92:93], v[102:103] op_sel:[0,0,1] op_sel_hi:[1,0,0]
	s_delay_alu instid0(VALU_DEP_1)
	v_mov_b32_e32 v107, v103
	ds_load_2addr_b64 v[102:105], v96 offset0:38 offset1:39
	v_pk_add_f32 v[82:83], v[82:83], v[108:109] neg_lo:[0,1] neg_hi:[0,1]
	v_pk_add_f32 v[80:81], v[80:81], v[106:107] neg_lo:[0,1] neg_hi:[0,1]
	s_wait_dscnt 0x0
	v_pk_mul_f32 v[106:107], v[102:103], v[94:95] op_sel:[0,1]
	s_delay_alu instid0(VALU_DEP_1) | instskip(SKIP_1) | instid1(VALU_DEP_1)
	v_pk_fma_f32 v[108:109], v[102:103], v[92:93], v[106:107] op_sel:[0,0,1] op_sel_hi:[1,1,0] neg_lo:[0,0,1] neg_hi:[0,0,1]
	v_pk_fma_f32 v[102:103], v[102:103], v[92:93], v[106:107] op_sel:[0,0,1] op_sel_hi:[1,0,0]
	v_mov_b32_e32 v109, v103
	v_pk_mul_f32 v[102:103], v[104:105], v[94:95] op_sel:[0,1]
	s_delay_alu instid0(VALU_DEP_1) | instskip(SKIP_1) | instid1(VALU_DEP_1)
	v_pk_fma_f32 v[106:107], v[104:105], v[92:93], v[102:103] op_sel:[0,0,1] op_sel_hi:[1,1,0] neg_lo:[0,0,1] neg_hi:[0,0,1]
	v_pk_fma_f32 v[102:103], v[104:105], v[92:93], v[102:103] op_sel:[0,0,1] op_sel_hi:[1,0,0]
	v_mov_b32_e32 v107, v103
	ds_load_2addr_b64 v[102:105], v96 offset0:40 offset1:41
	v_pk_add_f32 v[64:65], v[64:65], v[108:109] neg_lo:[0,1] neg_hi:[0,1]
	v_pk_add_f32 v[62:63], v[62:63], v[106:107] neg_lo:[0,1] neg_hi:[0,1]
	s_wait_dscnt 0x0
	v_dual_mul_f32 v106, v103, v95 :: v_dual_mul_f32 v108, v103, v92
	s_delay_alu instid0(VALU_DEP_1) | instskip(NEXT) | instid1(VALU_DEP_2)
	v_pk_fma_f32 v[106:107], v[102:103], v[52:53], v[106:107] op_sel_hi:[1,1,0] neg_lo:[0,0,1] neg_hi:[0,0,1]
	v_pk_fma_f32 v[102:103], v[102:103], v[52:53], v[108:109] op_sel:[1,0,0] op_sel_hi:[0,1,0]
	s_delay_alu instid0(VALU_DEP_1) | instskip(SKIP_1) | instid1(VALU_DEP_2)
	v_mov_b32_e32 v107, v103
	v_pk_mul_f32 v[102:103], v[104:105], v[94:95] op_sel:[0,1]
	v_pk_add_f32 v[72:73], v[72:73], v[106:107] neg_lo:[0,1] neg_hi:[0,1]
	s_delay_alu instid0(VALU_DEP_2) | instskip(SKIP_1) | instid1(VALU_DEP_1)
	v_pk_fma_f32 v[106:107], v[104:105], v[92:93], v[102:103] op_sel:[0,0,1] op_sel_hi:[1,1,0] neg_lo:[0,0,1] neg_hi:[0,0,1]
	v_pk_fma_f32 v[102:103], v[104:105], v[92:93], v[102:103] op_sel:[0,0,1] op_sel_hi:[1,0,0]
	v_mov_b32_e32 v107, v103
	ds_load_b64 v[102:103], v96 offset:336
	v_pk_add_f32 v[70:71], v[70:71], v[106:107] neg_lo:[0,1] neg_hi:[0,1]
	s_wait_dscnt 0x0
	v_pk_mul_f32 v[94:95], v[102:103], v[94:95] op_sel:[0,1]
	s_delay_alu instid0(VALU_DEP_1) | instskip(SKIP_1) | instid1(VALU_DEP_1)
	v_pk_fma_f32 v[104:105], v[102:103], v[92:93], v[94:95] op_sel:[0,0,1] op_sel_hi:[1,1,0] neg_lo:[0,0,1] neg_hi:[0,0,1]
	v_pk_fma_f32 v[92:93], v[102:103], v[92:93], v[94:95] op_sel:[0,0,1] op_sel_hi:[1,0,0]
	v_mov_b32_e32 v105, v93
	s_delay_alu instid0(VALU_DEP_1)
	v_pk_add_f32 v[90:91], v[90:91], v[104:105] neg_lo:[0,1] neg_hi:[0,1]
.LBB84_461:
	s_or_b32 exec_lo, exec_lo, s0
	v_lshl_add_u32 v92, v100, 3, v96
	s_barrier_signal -1
	s_barrier_wait -1
	ds_store_b64 v92, v[32:33]
	s_wait_dscnt 0x0
	s_barrier_signal -1
	s_barrier_wait -1
	ds_load_b64 v[94:95], v96 offset:176
	v_mov_b32_e32 v92, 22
	s_cmp_lt_i32 s14, 24
	s_cbranch_scc1 .LBB84_464
; %bb.462:
	v_add3_u32 v93, v97, 0, 0xb8
	v_mov_b32_e32 v92, 22
	s_mov_b32 s0, 23
.LBB84_463:                             ; =>This Inner Loop Header: Depth=1
	ds_load_b64 v[102:103], v93
	s_wait_dscnt 0x1
	v_cmp_gt_f32_e32 vcc_lo, 0, v94
	v_cndmask_b32_e64 v104, v94, -v94, vcc_lo
	v_cmp_gt_f32_e32 vcc_lo, 0, v95
	v_cndmask_b32_e64 v106, v95, -v95, vcc_lo
	s_wait_dscnt 0x0
	v_cmp_gt_f32_e32 vcc_lo, 0, v102
	v_cndmask_b32_e64 v105, v102, -v102, vcc_lo
	v_cmp_gt_f32_e32 vcc_lo, 0, v103
	v_cndmask_b32_e64 v107, v103, -v103, vcc_lo
	s_delay_alu instid0(VALU_DEP_1) | instskip(NEXT) | instid1(VALU_DEP_1)
	v_pk_add_f32 v[104:105], v[104:105], v[106:107]
	v_cmp_lt_f32_e32 vcc_lo, v104, v105
	v_dual_add_nc_u32 v93, 8, v93 :: v_dual_cndmask_b32 v95, v95, v103, vcc_lo
	v_cndmask_b32_e32 v94, v94, v102, vcc_lo
	v_cndmask_b32_e64 v92, v92, s0, vcc_lo
	s_add_co_i32 s0, s0, 1
	s_delay_alu instid0(SALU_CYCLE_1)
	s_cmp_lg_u32 s14, s0
	s_cbranch_scc1 .LBB84_463
.LBB84_464:
	s_wait_dscnt 0x0
	v_cmp_eq_f32_e32 vcc_lo, 0, v94
	v_cmp_eq_f32_e64 s0, 0, v95
	s_and_b32 s0, vcc_lo, s0
	s_delay_alu instid0(SALU_CYCLE_1) | instskip(NEXT) | instid1(SALU_CYCLE_1)
	s_and_saveexec_b32 s1, s0
	s_xor_b32 s0, exec_lo, s1
; %bb.465:
	v_cmp_ne_u32_e32 vcc_lo, 0, v98
	v_cndmask_b32_e32 v98, 23, v98, vcc_lo
; %bb.466:
	s_and_not1_saveexec_b32 s0, s0
	s_cbranch_execz .LBB84_472
; %bb.467:
	v_cmp_ngt_f32_e64 s1, |v94|, |v95|
	s_and_saveexec_b32 s15, s1
	s_delay_alu instid0(SALU_CYCLE_1)
	s_xor_b32 s1, exec_lo, s15
	s_cbranch_execz .LBB84_469
; %bb.468:
	v_div_scale_f32 v93, null, v95, v95, v94
	v_div_scale_f32 v103, vcc_lo, v94, v95, v94
	s_delay_alu instid0(VALU_DEP_2) | instskip(SKIP_1) | instid1(TRANS32_DEP_1)
	v_rcp_f32_e32 v101, v93
	v_nop
	v_fma_f32 v102, -v93, v101, 1.0
	s_delay_alu instid0(VALU_DEP_1) | instskip(NEXT) | instid1(VALU_DEP_1)
	v_fmac_f32_e32 v101, v102, v101
	v_mul_f32_e32 v102, v103, v101
	s_delay_alu instid0(VALU_DEP_1) | instskip(NEXT) | instid1(VALU_DEP_1)
	v_fma_f32 v104, -v93, v102, v103
	v_fmac_f32_e32 v102, v104, v101
	s_delay_alu instid0(VALU_DEP_1) | instskip(NEXT) | instid1(VALU_DEP_1)
	v_fma_f32 v93, -v93, v102, v103
	v_div_fmas_f32 v93, v93, v101, v102
	s_delay_alu instid0(VALU_DEP_1) | instskip(NEXT) | instid1(VALU_DEP_1)
	v_div_fixup_f32 v93, v93, v95, v94
	v_fmac_f32_e32 v95, v94, v93
	s_delay_alu instid0(VALU_DEP_1) | instskip(SKIP_1) | instid1(VALU_DEP_2)
	v_div_scale_f32 v94, null, v95, v95, 1.0
	v_div_scale_f32 v103, vcc_lo, 1.0, v95, 1.0
	v_rcp_f32_e32 v101, v94
	v_nop
	s_delay_alu instid0(TRANS32_DEP_1) | instskip(NEXT) | instid1(VALU_DEP_1)
	v_fma_f32 v102, -v94, v101, 1.0
	v_fmac_f32_e32 v101, v102, v101
	s_delay_alu instid0(VALU_DEP_1) | instskip(NEXT) | instid1(VALU_DEP_1)
	v_mul_f32_e32 v102, v103, v101
	v_fma_f32 v104, -v94, v102, v103
	s_delay_alu instid0(VALU_DEP_1) | instskip(NEXT) | instid1(VALU_DEP_1)
	v_fmac_f32_e32 v102, v104, v101
	v_fma_f32 v94, -v94, v102, v103
	s_delay_alu instid0(VALU_DEP_1) | instskip(NEXT) | instid1(VALU_DEP_1)
	v_div_fmas_f32 v94, v94, v101, v102
	v_div_fixup_f32 v95, v94, v95, 1.0
	s_delay_alu instid0(VALU_DEP_1)
	v_mul_f32_e32 v94, v93, v95
	v_xor_b32_e32 v95, 0x80000000, v95
.LBB84_469:
	s_and_not1_saveexec_b32 s1, s1
	s_cbranch_execz .LBB84_471
; %bb.470:
	s_delay_alu instid0(VALU_DEP_1) | instskip(SKIP_1) | instid1(VALU_DEP_2)
	v_div_scale_f32 v93, null, v94, v94, v95
	v_div_scale_f32 v103, vcc_lo, v95, v94, v95
	v_rcp_f32_e32 v101, v93
	v_nop
	s_delay_alu instid0(TRANS32_DEP_1) | instskip(NEXT) | instid1(VALU_DEP_1)
	v_fma_f32 v102, -v93, v101, 1.0
	v_fmac_f32_e32 v101, v102, v101
	s_delay_alu instid0(VALU_DEP_1) | instskip(NEXT) | instid1(VALU_DEP_1)
	v_mul_f32_e32 v102, v103, v101
	v_fma_f32 v104, -v93, v102, v103
	s_delay_alu instid0(VALU_DEP_1) | instskip(NEXT) | instid1(VALU_DEP_1)
	v_fmac_f32_e32 v102, v104, v101
	v_fma_f32 v93, -v93, v102, v103
	s_delay_alu instid0(VALU_DEP_1) | instskip(NEXT) | instid1(VALU_DEP_1)
	v_div_fmas_f32 v93, v93, v101, v102
	v_div_fixup_f32 v93, v93, v94, v95
	s_delay_alu instid0(VALU_DEP_1) | instskip(NEXT) | instid1(VALU_DEP_1)
	v_fmac_f32_e32 v94, v95, v93
	v_div_scale_f32 v95, null, v94, v94, 1.0
	s_delay_alu instid0(VALU_DEP_1) | instskip(SKIP_1) | instid1(TRANS32_DEP_1)
	v_rcp_f32_e32 v101, v95
	v_nop
	v_fma_f32 v102, -v95, v101, 1.0
	s_delay_alu instid0(VALU_DEP_1) | instskip(SKIP_1) | instid1(VALU_DEP_1)
	v_fmac_f32_e32 v101, v102, v101
	v_div_scale_f32 v102, vcc_lo, 1.0, v94, 1.0
	v_mul_f32_e32 v103, v102, v101
	s_delay_alu instid0(VALU_DEP_1) | instskip(NEXT) | instid1(VALU_DEP_1)
	v_fma_f32 v104, -v95, v103, v102
	v_fmac_f32_e32 v103, v104, v101
	s_delay_alu instid0(VALU_DEP_1) | instskip(NEXT) | instid1(VALU_DEP_1)
	v_fma_f32 v95, -v95, v103, v102
	v_div_fmas_f32 v95, v95, v101, v103
	s_delay_alu instid0(VALU_DEP_1) | instskip(NEXT) | instid1(VALU_DEP_1)
	v_div_fixup_f32 v94, v95, v94, 1.0
	v_mul_f32_e64 v95, v93, -v94
.LBB84_471:
	s_or_b32 exec_lo, exec_lo, s1
.LBB84_472:
	s_delay_alu instid0(SALU_CYCLE_1) | instskip(NEXT) | instid1(SALU_CYCLE_1)
	s_or_b32 exec_lo, exec_lo, s0
	s_mov_b32 s0, exec_lo
	v_cmpx_ne_u32_e64 v100, v92
	s_xor_b32 s0, exec_lo, s0
	s_cbranch_execz .LBB84_478
; %bb.473:
	s_mov_b32 s1, exec_lo
	v_cmpx_eq_u32_e32 22, v100
	s_cbranch_execz .LBB84_477
; %bb.474:
	v_cmp_ne_u32_e32 vcc_lo, 22, v92
	s_xor_b32 s15, s12, -1
	s_delay_alu instid0(SALU_CYCLE_1) | instskip(NEXT) | instid1(SALU_CYCLE_1)
	s_and_b32 s16, s15, vcc_lo
	s_and_saveexec_b32 s15, s16
	s_cbranch_execz .LBB84_476
; %bb.475:
	v_ashrrev_i32_e32 v93, 31, v92
	s_delay_alu instid0(VALU_DEP_1)
	v_lshl_add_u64 v[100:101], v[92:93], 2, v[4:5]
	s_clause 0x1
	global_load_b32 v93, v[100:101], off
	global_load_b32 v99, v[4:5], off offset:88
	s_wait_loadcnt 0x1
	global_store_b32 v[4:5], v93, off offset:88
	s_wait_loadcnt 0x0
	global_store_b32 v[100:101], v99, off
.LBB84_476:
	s_wait_xcnt 0x0
	s_or_b32 exec_lo, exec_lo, s15
	v_dual_mov_b32 v100, v92 :: v_dual_mov_b32 v99, v92
.LBB84_477:
	s_or_b32 exec_lo, exec_lo, s1
.LBB84_478:
	s_and_not1_saveexec_b32 s0, s0
	s_cbranch_execz .LBB84_480
; %bb.479:
	v_mov_b32_e32 v100, 22
	ds_store_2addr_b64 v96, v[30:31], v[68:69] offset0:23 offset1:24
	ds_store_2addr_b64 v96, v[66:67], v[40:41] offset0:25 offset1:26
	;; [unrolled: 1-line block ×10, first 2 shown]
.LBB84_480:
	s_or_b32 exec_lo, exec_lo, s0
	s_delay_alu instid0(SALU_CYCLE_1)
	s_mov_b32 s0, exec_lo
	s_wait_storecnt_dscnt 0x0
	s_barrier_signal -1
	s_barrier_wait -1
	v_cmpx_lt_i32_e32 22, v100
	s_cbranch_execz .LBB84_482
; %bb.481:
	v_pk_mul_f32 v[102:103], v[94:95], v[32:33] op_sel:[1,1] op_sel_hi:[0,1]
	s_delay_alu instid0(VALU_DEP_1)
	v_pk_fma_f32 v[92:93], v[94:95], v[32:33], v[102:103] op_sel_hi:[1,0,1] neg_lo:[0,0,1] neg_hi:[0,0,1]
	v_pk_fma_f32 v[94:95], v[94:95], v[32:33], v[102:103] op_sel_hi:[1,0,1]
	ds_load_2addr_b64 v[102:105], v96 offset0:23 offset1:24
	v_dual_mov_b32 v32, v92 :: v_dual_mov_b32 v33, v95
	s_wait_dscnt 0x0
	v_pk_mul_f32 v[106:107], v[102:103], v[94:95] op_sel:[0,1]
	s_delay_alu instid0(VALU_DEP_1) | instskip(SKIP_1) | instid1(VALU_DEP_1)
	v_pk_fma_f32 v[108:109], v[102:103], v[92:93], v[106:107] op_sel:[0,0,1] op_sel_hi:[1,1,0] neg_lo:[0,0,1] neg_hi:[0,0,1]
	v_pk_fma_f32 v[102:103], v[102:103], v[92:93], v[106:107] op_sel:[0,0,1] op_sel_hi:[1,0,0]
	v_mov_b32_e32 v109, v103
	v_pk_mul_f32 v[102:103], v[104:105], v[94:95] op_sel:[0,1]
	s_delay_alu instid0(VALU_DEP_1) | instskip(SKIP_1) | instid1(VALU_DEP_1)
	v_pk_fma_f32 v[106:107], v[104:105], v[92:93], v[102:103] op_sel:[0,0,1] op_sel_hi:[1,1,0] neg_lo:[0,0,1] neg_hi:[0,0,1]
	v_pk_fma_f32 v[102:103], v[104:105], v[92:93], v[102:103] op_sel:[0,0,1] op_sel_hi:[1,0,0]
	v_mov_b32_e32 v107, v103
	ds_load_2addr_b64 v[102:105], v96 offset0:25 offset1:26
	v_pk_add_f32 v[30:31], v[30:31], v[108:109] neg_lo:[0,1] neg_hi:[0,1]
	v_pk_add_f32 v[68:69], v[68:69], v[106:107] neg_lo:[0,1] neg_hi:[0,1]
	s_wait_dscnt 0x0
	v_pk_mul_f32 v[106:107], v[102:103], v[94:95] op_sel:[0,1]
	s_delay_alu instid0(VALU_DEP_1) | instskip(SKIP_2) | instid1(VALU_DEP_2)
	v_pk_fma_f32 v[108:109], v[102:103], v[92:93], v[106:107] op_sel:[0,0,1] op_sel_hi:[1,1,0] neg_lo:[0,0,1] neg_hi:[0,0,1]
	v_pk_fma_f32 v[102:103], v[102:103], v[92:93], v[106:107] op_sel:[0,0,1] op_sel_hi:[1,0,0]
	v_dual_mul_f32 v106, v105, v95 :: v_dual_mov_b32 v102, v105
	v_dual_mov_b32 v109, v103 :: v_dual_mov_b32 v103, v104
	s_delay_alu instid0(VALU_DEP_2) | instskip(SKIP_1) | instid1(VALU_DEP_3)
	v_pk_fma_f32 v[106:107], v[104:105], v[32:33], v[106:107] op_sel_hi:[1,1,0] neg_lo:[0,0,1] neg_hi:[0,0,1]
	v_mul_f32_e32 v104, v105, v92
	v_pk_add_f32 v[66:67], v[66:67], v[108:109] neg_lo:[0,1] neg_hi:[0,1]
	s_delay_alu instid0(VALU_DEP_2) | instskip(NEXT) | instid1(VALU_DEP_1)
	v_pk_fma_f32 v[102:103], v[102:103], v[32:33], v[104:105] op_sel_hi:[1,1,0]
	v_mov_b32_e32 v107, v103
	ds_load_2addr_b64 v[102:105], v96 offset0:27 offset1:28
	v_pk_add_f32 v[40:41], v[40:41], v[106:107] neg_lo:[0,1] neg_hi:[0,1]
	s_wait_dscnt 0x0
	v_pk_mul_f32 v[106:107], v[102:103], v[94:95] op_sel:[0,1]
	s_delay_alu instid0(VALU_DEP_1) | instskip(SKIP_1) | instid1(VALU_DEP_1)
	v_pk_fma_f32 v[108:109], v[102:103], v[92:93], v[106:107] op_sel:[0,0,1] op_sel_hi:[1,1,0] neg_lo:[0,0,1] neg_hi:[0,0,1]
	v_pk_fma_f32 v[102:103], v[102:103], v[92:93], v[106:107] op_sel:[0,0,1] op_sel_hi:[1,0,0]
	v_mov_b32_e32 v109, v103
	v_pk_mul_f32 v[102:103], v[104:105], v[94:95] op_sel:[0,1]
	s_delay_alu instid0(VALU_DEP_1) | instskip(SKIP_1) | instid1(VALU_DEP_1)
	v_pk_fma_f32 v[106:107], v[104:105], v[92:93], v[102:103] op_sel:[0,0,1] op_sel_hi:[1,1,0] neg_lo:[0,0,1] neg_hi:[0,0,1]
	v_pk_fma_f32 v[102:103], v[104:105], v[92:93], v[102:103] op_sel:[0,0,1] op_sel_hi:[1,0,0]
	v_mov_b32_e32 v107, v103
	ds_load_2addr_b64 v[102:105], v96 offset0:29 offset1:30
	v_pk_add_f32 v[38:39], v[38:39], v[108:109] neg_lo:[0,1] neg_hi:[0,1]
	v_pk_add_f32 v[76:77], v[76:77], v[106:107] neg_lo:[0,1] neg_hi:[0,1]
	s_wait_dscnt 0x0
	v_pk_mul_f32 v[106:107], v[102:103], v[94:95] op_sel:[0,1]
	s_delay_alu instid0(VALU_DEP_1) | instskip(SKIP_1) | instid1(VALU_DEP_1)
	v_pk_fma_f32 v[108:109], v[102:103], v[92:93], v[106:107] op_sel:[0,0,1] op_sel_hi:[1,1,0] neg_lo:[0,0,1] neg_hi:[0,0,1]
	v_pk_fma_f32 v[102:103], v[102:103], v[92:93], v[106:107] op_sel:[0,0,1] op_sel_hi:[1,0,0]
	v_mov_b32_e32 v109, v103
	v_pk_mul_f32 v[102:103], v[104:105], v[94:95] op_sel:[0,1]
	s_delay_alu instid0(VALU_DEP_1) | instskip(SKIP_1) | instid1(VALU_DEP_1)
	v_pk_fma_f32 v[106:107], v[104:105], v[92:93], v[102:103] op_sel:[0,0,1] op_sel_hi:[1,1,0] neg_lo:[0,0,1] neg_hi:[0,0,1]
	v_pk_fma_f32 v[102:103], v[104:105], v[92:93], v[102:103] op_sel:[0,0,1] op_sel_hi:[1,0,0]
	v_mov_b32_e32 v107, v103
	ds_load_2addr_b64 v[102:105], v96 offset0:31 offset1:32
	v_pk_add_f32 v[74:75], v[74:75], v[108:109] neg_lo:[0,1] neg_hi:[0,1]
	v_pk_add_f32 v[50:51], v[50:51], v[106:107] neg_lo:[0,1] neg_hi:[0,1]
	s_wait_dscnt 0x0
	v_dual_mul_f32 v106, v103, v95 :: v_dual_mul_f32 v108, v103, v92
	s_delay_alu instid0(VALU_DEP_1) | instskip(NEXT) | instid1(VALU_DEP_2)
	v_pk_fma_f32 v[106:107], v[102:103], v[32:33], v[106:107] op_sel_hi:[1,1,0] neg_lo:[0,0,1] neg_hi:[0,0,1]
	v_pk_fma_f32 v[102:103], v[102:103], v[32:33], v[108:109] op_sel:[1,0,0] op_sel_hi:[0,1,0]
	s_delay_alu instid0(VALU_DEP_1) | instskip(SKIP_1) | instid1(VALU_DEP_2)
	v_mov_b32_e32 v107, v103
	v_pk_mul_f32 v[102:103], v[104:105], v[94:95] op_sel:[0,1]
	v_pk_add_f32 v[48:49], v[48:49], v[106:107] neg_lo:[0,1] neg_hi:[0,1]
	s_delay_alu instid0(VALU_DEP_2) | instskip(SKIP_1) | instid1(VALU_DEP_1)
	v_pk_fma_f32 v[106:107], v[104:105], v[92:93], v[102:103] op_sel:[0,0,1] op_sel_hi:[1,1,0] neg_lo:[0,0,1] neg_hi:[0,0,1]
	v_pk_fma_f32 v[102:103], v[104:105], v[92:93], v[102:103] op_sel:[0,0,1] op_sel_hi:[1,0,0]
	v_mov_b32_e32 v107, v103
	ds_load_2addr_b64 v[102:105], v96 offset0:33 offset1:34
	v_pk_add_f32 v[88:89], v[88:89], v[106:107] neg_lo:[0,1] neg_hi:[0,1]
	s_wait_dscnt 0x0
	v_pk_mul_f32 v[106:107], v[102:103], v[94:95] op_sel:[0,1]
	s_delay_alu instid0(VALU_DEP_1) | instskip(SKIP_1) | instid1(VALU_DEP_1)
	v_pk_fma_f32 v[108:109], v[102:103], v[92:93], v[106:107] op_sel:[0,0,1] op_sel_hi:[1,1,0] neg_lo:[0,0,1] neg_hi:[0,0,1]
	v_pk_fma_f32 v[102:103], v[102:103], v[92:93], v[106:107] op_sel:[0,0,1] op_sel_hi:[1,0,0]
	v_mov_b32_e32 v109, v103
	v_pk_mul_f32 v[102:103], v[104:105], v[94:95] op_sel:[0,1]
	s_delay_alu instid0(VALU_DEP_2) | instskip(NEXT) | instid1(VALU_DEP_2)
	v_pk_add_f32 v[86:87], v[86:87], v[108:109] neg_lo:[0,1] neg_hi:[0,1]
	v_pk_fma_f32 v[106:107], v[104:105], v[92:93], v[102:103] op_sel:[0,0,1] op_sel_hi:[1,1,0] neg_lo:[0,0,1] neg_hi:[0,0,1]
	v_pk_fma_f32 v[102:103], v[104:105], v[92:93], v[102:103] op_sel:[0,0,1] op_sel_hi:[1,0,0]
	s_delay_alu instid0(VALU_DEP_1) | instskip(SKIP_4) | instid1(VALU_DEP_1)
	v_mov_b32_e32 v107, v103
	ds_load_2addr_b64 v[102:105], v96 offset0:35 offset1:36
	v_pk_add_f32 v[60:61], v[60:61], v[106:107] neg_lo:[0,1] neg_hi:[0,1]
	s_wait_dscnt 0x0
	v_pk_mul_f32 v[106:107], v[102:103], v[94:95] op_sel:[0,1]
	v_pk_fma_f32 v[108:109], v[102:103], v[92:93], v[106:107] op_sel:[0,0,1] op_sel_hi:[1,1,0] neg_lo:[0,0,1] neg_hi:[0,0,1]
	v_pk_fma_f32 v[102:103], v[102:103], v[92:93], v[106:107] op_sel:[0,0,1] op_sel_hi:[1,0,0]
	v_dual_mul_f32 v106, v105, v95 :: v_dual_mov_b32 v102, v105
	s_delay_alu instid0(VALU_DEP_2) | instskip(NEXT) | instid1(VALU_DEP_2)
	v_dual_mov_b32 v109, v103 :: v_dual_mov_b32 v103, v104
	v_pk_fma_f32 v[106:107], v[104:105], v[32:33], v[106:107] op_sel_hi:[1,1,0] neg_lo:[0,0,1] neg_hi:[0,0,1]
	v_mul_f32_e32 v104, v105, v92
	s_delay_alu instid0(VALU_DEP_3) | instskip(NEXT) | instid1(VALU_DEP_2)
	v_pk_add_f32 v[58:59], v[58:59], v[108:109] neg_lo:[0,1] neg_hi:[0,1]
	v_pk_fma_f32 v[102:103], v[102:103], v[32:33], v[104:105] op_sel_hi:[1,1,0]
	s_delay_alu instid0(VALU_DEP_1) | instskip(SKIP_4) | instid1(VALU_DEP_1)
	v_mov_b32_e32 v107, v103
	ds_load_2addr_b64 v[102:105], v96 offset0:37 offset1:38
	v_pk_add_f32 v[82:83], v[82:83], v[106:107] neg_lo:[0,1] neg_hi:[0,1]
	s_wait_dscnt 0x0
	v_pk_mul_f32 v[106:107], v[102:103], v[94:95] op_sel:[0,1]
	v_pk_fma_f32 v[108:109], v[102:103], v[92:93], v[106:107] op_sel:[0,0,1] op_sel_hi:[1,1,0] neg_lo:[0,0,1] neg_hi:[0,0,1]
	v_pk_fma_f32 v[102:103], v[102:103], v[92:93], v[106:107] op_sel:[0,0,1] op_sel_hi:[1,0,0]
	s_delay_alu instid0(VALU_DEP_1) | instskip(SKIP_1) | instid1(VALU_DEP_1)
	v_mov_b32_e32 v109, v103
	v_pk_mul_f32 v[102:103], v[104:105], v[94:95] op_sel:[0,1]
	v_pk_fma_f32 v[106:107], v[104:105], v[92:93], v[102:103] op_sel:[0,0,1] op_sel_hi:[1,1,0] neg_lo:[0,0,1] neg_hi:[0,0,1]
	v_pk_fma_f32 v[102:103], v[104:105], v[92:93], v[102:103] op_sel:[0,0,1] op_sel_hi:[1,0,0]
	s_delay_alu instid0(VALU_DEP_1)
	v_mov_b32_e32 v107, v103
	ds_load_2addr_b64 v[102:105], v96 offset0:39 offset1:40
	v_pk_add_f32 v[80:81], v[80:81], v[108:109] neg_lo:[0,1] neg_hi:[0,1]
	v_pk_add_f32 v[64:65], v[64:65], v[106:107] neg_lo:[0,1] neg_hi:[0,1]
	s_wait_dscnt 0x0
	v_pk_mul_f32 v[106:107], v[102:103], v[94:95] op_sel:[0,1]
	s_delay_alu instid0(VALU_DEP_1) | instskip(SKIP_1) | instid1(VALU_DEP_1)
	v_pk_fma_f32 v[108:109], v[102:103], v[92:93], v[106:107] op_sel:[0,0,1] op_sel_hi:[1,1,0] neg_lo:[0,0,1] neg_hi:[0,0,1]
	v_pk_fma_f32 v[102:103], v[102:103], v[92:93], v[106:107] op_sel:[0,0,1] op_sel_hi:[1,0,0]
	v_mov_b32_e32 v109, v103
	v_pk_mul_f32 v[102:103], v[104:105], v[94:95] op_sel:[0,1]
	s_delay_alu instid0(VALU_DEP_1) | instskip(SKIP_1) | instid1(VALU_DEP_1)
	v_pk_fma_f32 v[106:107], v[104:105], v[92:93], v[102:103] op_sel:[0,0,1] op_sel_hi:[1,1,0] neg_lo:[0,0,1] neg_hi:[0,0,1]
	v_pk_fma_f32 v[102:103], v[104:105], v[92:93], v[102:103] op_sel:[0,0,1] op_sel_hi:[1,0,0]
	v_mov_b32_e32 v107, v103
	ds_load_2addr_b64 v[102:105], v96 offset0:41 offset1:42
	v_pk_add_f32 v[62:63], v[62:63], v[108:109] neg_lo:[0,1] neg_hi:[0,1]
	v_pk_add_f32 v[72:73], v[72:73], v[106:107] neg_lo:[0,1] neg_hi:[0,1]
	s_wait_dscnt 0x0
	v_dual_mul_f32 v106, v103, v95 :: v_dual_mul_f32 v108, v103, v92
	v_pk_mul_f32 v[94:95], v[104:105], v[94:95] op_sel:[0,1]
	s_delay_alu instid0(VALU_DEP_2) | instskip(NEXT) | instid1(VALU_DEP_3)
	v_pk_fma_f32 v[106:107], v[102:103], v[32:33], v[106:107] op_sel_hi:[1,1,0] neg_lo:[0,0,1] neg_hi:[0,0,1]
	v_pk_fma_f32 v[102:103], v[102:103], v[32:33], v[108:109] op_sel:[1,0,0] op_sel_hi:[0,1,0]
	s_delay_alu instid0(VALU_DEP_1) | instskip(NEXT) | instid1(VALU_DEP_4)
	v_mov_b32_e32 v107, v103
	v_pk_fma_f32 v[102:103], v[104:105], v[92:93], v[94:95] op_sel:[0,0,1] op_sel_hi:[1,1,0] neg_lo:[0,0,1] neg_hi:[0,0,1]
	v_pk_fma_f32 v[92:93], v[104:105], v[92:93], v[94:95] op_sel:[0,0,1] op_sel_hi:[1,0,0]
	s_delay_alu instid0(VALU_DEP_1) | instskip(NEXT) | instid1(VALU_DEP_4)
	v_mov_b32_e32 v103, v93
	v_pk_add_f32 v[70:71], v[70:71], v[106:107] neg_lo:[0,1] neg_hi:[0,1]
	s_delay_alu instid0(VALU_DEP_2)
	v_pk_add_f32 v[90:91], v[90:91], v[102:103] neg_lo:[0,1] neg_hi:[0,1]
.LBB84_482:
	s_or_b32 exec_lo, exec_lo, s0
	v_lshl_add_u32 v92, v100, 3, v96
	s_barrier_signal -1
	s_barrier_wait -1
	ds_store_b64 v92, v[30:31]
	s_wait_dscnt 0x0
	s_barrier_signal -1
	s_barrier_wait -1
	ds_load_b64 v[92:93], v96 offset:184
	v_mov_b32_e32 v94, 23
	s_cmp_lt_i32 s14, 25
	s_cbranch_scc1 .LBB84_485
; %bb.483:
	v_add3_u32 v95, v97, 0, 0xc0
	v_mov_b32_e32 v94, 23
	s_mov_b32 s0, 24
.LBB84_484:                             ; =>This Inner Loop Header: Depth=1
	ds_load_b64 v[102:103], v95
	s_wait_dscnt 0x1
	v_cmp_gt_f32_e32 vcc_lo, 0, v92
	v_cndmask_b32_e64 v104, v92, -v92, vcc_lo
	v_cmp_gt_f32_e32 vcc_lo, 0, v93
	v_cndmask_b32_e64 v106, v93, -v93, vcc_lo
	s_wait_dscnt 0x0
	v_cmp_gt_f32_e32 vcc_lo, 0, v102
	v_cndmask_b32_e64 v105, v102, -v102, vcc_lo
	v_cmp_gt_f32_e32 vcc_lo, 0, v103
	v_cndmask_b32_e64 v107, v103, -v103, vcc_lo
	s_delay_alu instid0(VALU_DEP_1) | instskip(NEXT) | instid1(VALU_DEP_1)
	v_pk_add_f32 v[104:105], v[104:105], v[106:107]
	v_cmp_lt_f32_e32 vcc_lo, v104, v105
	v_dual_cndmask_b32 v92, v92, v102 :: v_dual_add_nc_u32 v95, 8, v95
	v_cndmask_b32_e32 v93, v93, v103, vcc_lo
	v_cndmask_b32_e64 v94, v94, s0, vcc_lo
	s_add_co_i32 s0, s0, 1
	s_delay_alu instid0(SALU_CYCLE_1)
	s_cmp_lg_u32 s14, s0
	s_cbranch_scc1 .LBB84_484
.LBB84_485:
	s_wait_dscnt 0x0
	v_cmp_eq_f32_e32 vcc_lo, 0, v92
	v_cmp_eq_f32_e64 s0, 0, v93
	s_and_b32 s0, vcc_lo, s0
	s_delay_alu instid0(SALU_CYCLE_1) | instskip(NEXT) | instid1(SALU_CYCLE_1)
	s_and_saveexec_b32 s1, s0
	s_xor_b32 s0, exec_lo, s1
; %bb.486:
	v_cmp_ne_u32_e32 vcc_lo, 0, v98
	v_cndmask_b32_e32 v98, 24, v98, vcc_lo
; %bb.487:
	s_and_not1_saveexec_b32 s0, s0
	s_cbranch_execz .LBB84_493
; %bb.488:
	v_cmp_ngt_f32_e64 s1, |v92|, |v93|
	s_and_saveexec_b32 s15, s1
	s_delay_alu instid0(SALU_CYCLE_1)
	s_xor_b32 s1, exec_lo, s15
	s_cbranch_execz .LBB84_490
; %bb.489:
	v_div_scale_f32 v95, null, v93, v93, v92
	v_div_scale_f32 v103, vcc_lo, v92, v93, v92
	s_delay_alu instid0(VALU_DEP_2) | instskip(SKIP_1) | instid1(TRANS32_DEP_1)
	v_rcp_f32_e32 v101, v95
	v_nop
	v_fma_f32 v102, -v95, v101, 1.0
	s_delay_alu instid0(VALU_DEP_1) | instskip(NEXT) | instid1(VALU_DEP_1)
	v_fmac_f32_e32 v101, v102, v101
	v_mul_f32_e32 v102, v103, v101
	s_delay_alu instid0(VALU_DEP_1) | instskip(NEXT) | instid1(VALU_DEP_1)
	v_fma_f32 v104, -v95, v102, v103
	v_fmac_f32_e32 v102, v104, v101
	s_delay_alu instid0(VALU_DEP_1) | instskip(NEXT) | instid1(VALU_DEP_1)
	v_fma_f32 v95, -v95, v102, v103
	v_div_fmas_f32 v95, v95, v101, v102
	s_delay_alu instid0(VALU_DEP_1) | instskip(NEXT) | instid1(VALU_DEP_1)
	v_div_fixup_f32 v95, v95, v93, v92
	v_fmac_f32_e32 v93, v92, v95
	s_delay_alu instid0(VALU_DEP_1) | instskip(SKIP_1) | instid1(VALU_DEP_2)
	v_div_scale_f32 v92, null, v93, v93, 1.0
	v_div_scale_f32 v103, vcc_lo, 1.0, v93, 1.0
	v_rcp_f32_e32 v101, v92
	v_nop
	s_delay_alu instid0(TRANS32_DEP_1) | instskip(NEXT) | instid1(VALU_DEP_1)
	v_fma_f32 v102, -v92, v101, 1.0
	v_fmac_f32_e32 v101, v102, v101
	s_delay_alu instid0(VALU_DEP_1) | instskip(NEXT) | instid1(VALU_DEP_1)
	v_mul_f32_e32 v102, v103, v101
	v_fma_f32 v104, -v92, v102, v103
	s_delay_alu instid0(VALU_DEP_1) | instskip(NEXT) | instid1(VALU_DEP_1)
	v_fmac_f32_e32 v102, v104, v101
	v_fma_f32 v92, -v92, v102, v103
	s_delay_alu instid0(VALU_DEP_1) | instskip(NEXT) | instid1(VALU_DEP_1)
	v_div_fmas_f32 v92, v92, v101, v102
	v_div_fixup_f32 v93, v92, v93, 1.0
	s_delay_alu instid0(VALU_DEP_1)
	v_mul_f32_e32 v92, v95, v93
	v_xor_b32_e32 v93, 0x80000000, v93
.LBB84_490:
	s_and_not1_saveexec_b32 s1, s1
	s_cbranch_execz .LBB84_492
; %bb.491:
	s_delay_alu instid0(VALU_DEP_1) | instskip(SKIP_1) | instid1(VALU_DEP_2)
	v_div_scale_f32 v95, null, v92, v92, v93
	v_div_scale_f32 v103, vcc_lo, v93, v92, v93
	v_rcp_f32_e32 v101, v95
	v_nop
	s_delay_alu instid0(TRANS32_DEP_1) | instskip(NEXT) | instid1(VALU_DEP_1)
	v_fma_f32 v102, -v95, v101, 1.0
	v_fmac_f32_e32 v101, v102, v101
	s_delay_alu instid0(VALU_DEP_1) | instskip(NEXT) | instid1(VALU_DEP_1)
	v_mul_f32_e32 v102, v103, v101
	v_fma_f32 v104, -v95, v102, v103
	s_delay_alu instid0(VALU_DEP_1) | instskip(NEXT) | instid1(VALU_DEP_1)
	v_fmac_f32_e32 v102, v104, v101
	v_fma_f32 v95, -v95, v102, v103
	s_delay_alu instid0(VALU_DEP_1) | instskip(NEXT) | instid1(VALU_DEP_1)
	v_div_fmas_f32 v95, v95, v101, v102
	v_div_fixup_f32 v95, v95, v92, v93
	s_delay_alu instid0(VALU_DEP_1) | instskip(NEXT) | instid1(VALU_DEP_1)
	v_fmac_f32_e32 v92, v93, v95
	v_div_scale_f32 v93, null, v92, v92, 1.0
	s_delay_alu instid0(VALU_DEP_1) | instskip(SKIP_1) | instid1(TRANS32_DEP_1)
	v_rcp_f32_e32 v101, v93
	v_nop
	v_fma_f32 v102, -v93, v101, 1.0
	s_delay_alu instid0(VALU_DEP_1) | instskip(SKIP_1) | instid1(VALU_DEP_1)
	v_fmac_f32_e32 v101, v102, v101
	v_div_scale_f32 v102, vcc_lo, 1.0, v92, 1.0
	v_mul_f32_e32 v103, v102, v101
	s_delay_alu instid0(VALU_DEP_1) | instskip(NEXT) | instid1(VALU_DEP_1)
	v_fma_f32 v104, -v93, v103, v102
	v_fmac_f32_e32 v103, v104, v101
	s_delay_alu instid0(VALU_DEP_1) | instskip(NEXT) | instid1(VALU_DEP_1)
	v_fma_f32 v93, -v93, v103, v102
	v_div_fmas_f32 v93, v93, v101, v103
	s_delay_alu instid0(VALU_DEP_1) | instskip(NEXT) | instid1(VALU_DEP_1)
	v_div_fixup_f32 v92, v93, v92, 1.0
	v_mul_f32_e64 v93, v95, -v92
.LBB84_492:
	s_or_b32 exec_lo, exec_lo, s1
.LBB84_493:
	s_delay_alu instid0(SALU_CYCLE_1) | instskip(NEXT) | instid1(SALU_CYCLE_1)
	s_or_b32 exec_lo, exec_lo, s0
	s_mov_b32 s0, exec_lo
	v_cmpx_ne_u32_e64 v100, v94
	s_xor_b32 s0, exec_lo, s0
	s_cbranch_execz .LBB84_499
; %bb.494:
	s_mov_b32 s1, exec_lo
	v_cmpx_eq_u32_e32 23, v100
	s_cbranch_execz .LBB84_498
; %bb.495:
	v_cmp_ne_u32_e32 vcc_lo, 23, v94
	s_xor_b32 s15, s12, -1
	s_delay_alu instid0(SALU_CYCLE_1) | instskip(NEXT) | instid1(SALU_CYCLE_1)
	s_and_b32 s16, s15, vcc_lo
	s_and_saveexec_b32 s15, s16
	s_cbranch_execz .LBB84_497
; %bb.496:
	v_ashrrev_i32_e32 v95, 31, v94
	s_delay_alu instid0(VALU_DEP_1)
	v_lshl_add_u64 v[100:101], v[94:95], 2, v[4:5]
	s_clause 0x1
	global_load_b32 v95, v[100:101], off
	global_load_b32 v99, v[4:5], off offset:92
	s_wait_loadcnt 0x1
	global_store_b32 v[4:5], v95, off offset:92
	s_wait_loadcnt 0x0
	global_store_b32 v[100:101], v99, off
.LBB84_497:
	s_wait_xcnt 0x0
	s_or_b32 exec_lo, exec_lo, s15
	v_dual_mov_b32 v100, v94 :: v_dual_mov_b32 v99, v94
.LBB84_498:
	s_or_b32 exec_lo, exec_lo, s1
.LBB84_499:
	s_and_not1_saveexec_b32 s0, s0
	s_cbranch_execz .LBB84_501
; %bb.500:
	v_dual_mov_b32 v94, v68 :: v_dual_mov_b32 v95, v69
	v_dual_mov_b32 v100, v66 :: v_dual_mov_b32 v101, v67
	ds_store_2addr_b64 v96, v[94:95], v[100:101] offset0:24 offset1:25
	v_dual_mov_b32 v94, v40 :: v_dual_mov_b32 v95, v41
	v_dual_mov_b32 v100, v38 :: v_dual_mov_b32 v101, v39
	ds_store_2addr_b64 v96, v[94:95], v[100:101] offset0:26 offset1:27
	;; [unrolled: 3-line block ×9, first 2 shown]
	ds_store_b64 v96, v[90:91] offset:336
	v_mov_b32_e32 v100, 23
.LBB84_501:
	s_or_b32 exec_lo, exec_lo, s0
	s_delay_alu instid0(SALU_CYCLE_1)
	s_mov_b32 s0, exec_lo
	s_wait_storecnt_dscnt 0x0
	s_barrier_signal -1
	s_barrier_wait -1
	v_cmpx_lt_i32_e32 23, v100
	s_cbranch_execz .LBB84_503
; %bb.502:
	v_pk_mul_f32 v[102:103], v[92:93], v[30:31] op_sel:[1,1] op_sel_hi:[0,1]
	s_delay_alu instid0(VALU_DEP_1)
	v_pk_fma_f32 v[94:95], v[92:93], v[30:31], v[102:103] op_sel_hi:[1,0,1] neg_lo:[0,0,1] neg_hi:[0,0,1]
	v_pk_fma_f32 v[92:93], v[92:93], v[30:31], v[102:103] op_sel_hi:[1,0,1]
	ds_load_2addr_b64 v[102:105], v96 offset0:24 offset1:25
	v_dual_mov_b32 v30, v94 :: v_dual_mov_b32 v31, v93
	s_wait_dscnt 0x0
	v_pk_mul_f32 v[106:107], v[102:103], v[92:93] op_sel:[0,1]
	s_delay_alu instid0(VALU_DEP_1) | instskip(SKIP_1) | instid1(VALU_DEP_1)
	v_pk_fma_f32 v[108:109], v[102:103], v[94:95], v[106:107] op_sel:[0,0,1] op_sel_hi:[1,1,0] neg_lo:[0,0,1] neg_hi:[0,0,1]
	v_pk_fma_f32 v[102:103], v[102:103], v[94:95], v[106:107] op_sel:[0,0,1] op_sel_hi:[1,0,0]
	v_mov_b32_e32 v109, v103
	v_pk_mul_f32 v[102:103], v[104:105], v[92:93] op_sel:[0,1]
	s_delay_alu instid0(VALU_DEP_1) | instskip(SKIP_1) | instid1(VALU_DEP_1)
	v_pk_fma_f32 v[106:107], v[104:105], v[94:95], v[102:103] op_sel:[0,0,1] op_sel_hi:[1,1,0] neg_lo:[0,0,1] neg_hi:[0,0,1]
	v_pk_fma_f32 v[102:103], v[104:105], v[94:95], v[102:103] op_sel:[0,0,1] op_sel_hi:[1,0,0]
	v_mov_b32_e32 v107, v103
	ds_load_2addr_b64 v[102:105], v96 offset0:26 offset1:27
	v_pk_add_f32 v[68:69], v[68:69], v[108:109] neg_lo:[0,1] neg_hi:[0,1]
	v_pk_add_f32 v[66:67], v[66:67], v[106:107] neg_lo:[0,1] neg_hi:[0,1]
	s_wait_dscnt 0x0
	v_pk_mul_f32 v[106:107], v[102:103], v[92:93] op_sel:[0,1]
	s_delay_alu instid0(VALU_DEP_1) | instskip(SKIP_2) | instid1(VALU_DEP_2)
	v_pk_fma_f32 v[108:109], v[102:103], v[94:95], v[106:107] op_sel:[0,0,1] op_sel_hi:[1,1,0] neg_lo:[0,0,1] neg_hi:[0,0,1]
	v_pk_fma_f32 v[102:103], v[102:103], v[94:95], v[106:107] op_sel:[0,0,1] op_sel_hi:[1,0,0]
	v_dual_mul_f32 v106, v105, v93 :: v_dual_mov_b32 v102, v105
	v_dual_mov_b32 v109, v103 :: v_dual_mov_b32 v103, v104
	s_delay_alu instid0(VALU_DEP_2) | instskip(SKIP_1) | instid1(VALU_DEP_3)
	v_pk_fma_f32 v[106:107], v[104:105], v[30:31], v[106:107] op_sel_hi:[1,1,0] neg_lo:[0,0,1] neg_hi:[0,0,1]
	v_mul_f32_e32 v104, v105, v94
	v_pk_add_f32 v[40:41], v[40:41], v[108:109] neg_lo:[0,1] neg_hi:[0,1]
	s_delay_alu instid0(VALU_DEP_2) | instskip(NEXT) | instid1(VALU_DEP_1)
	v_pk_fma_f32 v[102:103], v[102:103], v[30:31], v[104:105] op_sel_hi:[1,1,0]
	v_mov_b32_e32 v107, v103
	ds_load_2addr_b64 v[102:105], v96 offset0:28 offset1:29
	v_pk_add_f32 v[38:39], v[38:39], v[106:107] neg_lo:[0,1] neg_hi:[0,1]
	s_wait_dscnt 0x0
	v_pk_mul_f32 v[106:107], v[102:103], v[92:93] op_sel:[0,1]
	s_delay_alu instid0(VALU_DEP_1) | instskip(SKIP_1) | instid1(VALU_DEP_1)
	v_pk_fma_f32 v[108:109], v[102:103], v[94:95], v[106:107] op_sel:[0,0,1] op_sel_hi:[1,1,0] neg_lo:[0,0,1] neg_hi:[0,0,1]
	v_pk_fma_f32 v[102:103], v[102:103], v[94:95], v[106:107] op_sel:[0,0,1] op_sel_hi:[1,0,0]
	v_mov_b32_e32 v109, v103
	v_pk_mul_f32 v[102:103], v[104:105], v[92:93] op_sel:[0,1]
	s_delay_alu instid0(VALU_DEP_1) | instskip(SKIP_1) | instid1(VALU_DEP_1)
	v_pk_fma_f32 v[106:107], v[104:105], v[94:95], v[102:103] op_sel:[0,0,1] op_sel_hi:[1,1,0] neg_lo:[0,0,1] neg_hi:[0,0,1]
	v_pk_fma_f32 v[102:103], v[104:105], v[94:95], v[102:103] op_sel:[0,0,1] op_sel_hi:[1,0,0]
	v_mov_b32_e32 v107, v103
	ds_load_2addr_b64 v[102:105], v96 offset0:30 offset1:31
	v_pk_add_f32 v[76:77], v[76:77], v[108:109] neg_lo:[0,1] neg_hi:[0,1]
	v_pk_add_f32 v[74:75], v[74:75], v[106:107] neg_lo:[0,1] neg_hi:[0,1]
	s_wait_dscnt 0x0
	v_pk_mul_f32 v[106:107], v[102:103], v[92:93] op_sel:[0,1]
	s_delay_alu instid0(VALU_DEP_1) | instskip(SKIP_1) | instid1(VALU_DEP_1)
	v_pk_fma_f32 v[108:109], v[102:103], v[94:95], v[106:107] op_sel:[0,0,1] op_sel_hi:[1,1,0] neg_lo:[0,0,1] neg_hi:[0,0,1]
	v_pk_fma_f32 v[102:103], v[102:103], v[94:95], v[106:107] op_sel:[0,0,1] op_sel_hi:[1,0,0]
	v_mov_b32_e32 v109, v103
	v_pk_mul_f32 v[102:103], v[104:105], v[92:93] op_sel:[0,1]
	s_delay_alu instid0(VALU_DEP_1) | instskip(SKIP_1) | instid1(VALU_DEP_1)
	v_pk_fma_f32 v[106:107], v[104:105], v[94:95], v[102:103] op_sel:[0,0,1] op_sel_hi:[1,1,0] neg_lo:[0,0,1] neg_hi:[0,0,1]
	v_pk_fma_f32 v[102:103], v[104:105], v[94:95], v[102:103] op_sel:[0,0,1] op_sel_hi:[1,0,0]
	v_mov_b32_e32 v107, v103
	ds_load_2addr_b64 v[102:105], v96 offset0:32 offset1:33
	v_pk_add_f32 v[50:51], v[50:51], v[108:109] neg_lo:[0,1] neg_hi:[0,1]
	v_pk_add_f32 v[48:49], v[48:49], v[106:107] neg_lo:[0,1] neg_hi:[0,1]
	s_wait_dscnt 0x0
	v_dual_mul_f32 v106, v103, v93 :: v_dual_mul_f32 v108, v103, v94
	s_delay_alu instid0(VALU_DEP_1) | instskip(NEXT) | instid1(VALU_DEP_2)
	v_pk_fma_f32 v[106:107], v[102:103], v[30:31], v[106:107] op_sel_hi:[1,1,0] neg_lo:[0,0,1] neg_hi:[0,0,1]
	v_pk_fma_f32 v[102:103], v[102:103], v[30:31], v[108:109] op_sel:[1,0,0] op_sel_hi:[0,1,0]
	s_delay_alu instid0(VALU_DEP_1) | instskip(SKIP_1) | instid1(VALU_DEP_2)
	v_mov_b32_e32 v107, v103
	v_pk_mul_f32 v[102:103], v[104:105], v[92:93] op_sel:[0,1]
	v_pk_add_f32 v[88:89], v[88:89], v[106:107] neg_lo:[0,1] neg_hi:[0,1]
	s_delay_alu instid0(VALU_DEP_2) | instskip(SKIP_1) | instid1(VALU_DEP_1)
	v_pk_fma_f32 v[106:107], v[104:105], v[94:95], v[102:103] op_sel:[0,0,1] op_sel_hi:[1,1,0] neg_lo:[0,0,1] neg_hi:[0,0,1]
	v_pk_fma_f32 v[102:103], v[104:105], v[94:95], v[102:103] op_sel:[0,0,1] op_sel_hi:[1,0,0]
	v_mov_b32_e32 v107, v103
	ds_load_2addr_b64 v[102:105], v96 offset0:34 offset1:35
	v_pk_add_f32 v[86:87], v[86:87], v[106:107] neg_lo:[0,1] neg_hi:[0,1]
	s_wait_dscnt 0x0
	v_pk_mul_f32 v[106:107], v[102:103], v[92:93] op_sel:[0,1]
	s_delay_alu instid0(VALU_DEP_1) | instskip(SKIP_1) | instid1(VALU_DEP_1)
	v_pk_fma_f32 v[108:109], v[102:103], v[94:95], v[106:107] op_sel:[0,0,1] op_sel_hi:[1,1,0] neg_lo:[0,0,1] neg_hi:[0,0,1]
	v_pk_fma_f32 v[102:103], v[102:103], v[94:95], v[106:107] op_sel:[0,0,1] op_sel_hi:[1,0,0]
	v_mov_b32_e32 v109, v103
	v_pk_mul_f32 v[102:103], v[104:105], v[92:93] op_sel:[0,1]
	s_delay_alu instid0(VALU_DEP_2) | instskip(NEXT) | instid1(VALU_DEP_2)
	v_pk_add_f32 v[60:61], v[60:61], v[108:109] neg_lo:[0,1] neg_hi:[0,1]
	v_pk_fma_f32 v[106:107], v[104:105], v[94:95], v[102:103] op_sel:[0,0,1] op_sel_hi:[1,1,0] neg_lo:[0,0,1] neg_hi:[0,0,1]
	v_pk_fma_f32 v[102:103], v[104:105], v[94:95], v[102:103] op_sel:[0,0,1] op_sel_hi:[1,0,0]
	s_delay_alu instid0(VALU_DEP_1) | instskip(SKIP_4) | instid1(VALU_DEP_1)
	v_mov_b32_e32 v107, v103
	ds_load_2addr_b64 v[102:105], v96 offset0:36 offset1:37
	v_pk_add_f32 v[58:59], v[58:59], v[106:107] neg_lo:[0,1] neg_hi:[0,1]
	s_wait_dscnt 0x0
	v_pk_mul_f32 v[106:107], v[102:103], v[92:93] op_sel:[0,1]
	v_pk_fma_f32 v[108:109], v[102:103], v[94:95], v[106:107] op_sel:[0,0,1] op_sel_hi:[1,1,0] neg_lo:[0,0,1] neg_hi:[0,0,1]
	v_pk_fma_f32 v[102:103], v[102:103], v[94:95], v[106:107] op_sel:[0,0,1] op_sel_hi:[1,0,0]
	v_dual_mul_f32 v106, v105, v93 :: v_dual_mov_b32 v102, v105
	s_delay_alu instid0(VALU_DEP_2) | instskip(NEXT) | instid1(VALU_DEP_2)
	v_dual_mov_b32 v109, v103 :: v_dual_mov_b32 v103, v104
	v_pk_fma_f32 v[106:107], v[104:105], v[30:31], v[106:107] op_sel_hi:[1,1,0] neg_lo:[0,0,1] neg_hi:[0,0,1]
	v_mul_f32_e32 v104, v105, v94
	s_delay_alu instid0(VALU_DEP_3) | instskip(NEXT) | instid1(VALU_DEP_2)
	v_pk_add_f32 v[82:83], v[82:83], v[108:109] neg_lo:[0,1] neg_hi:[0,1]
	v_pk_fma_f32 v[102:103], v[102:103], v[30:31], v[104:105] op_sel_hi:[1,1,0]
	s_delay_alu instid0(VALU_DEP_1) | instskip(SKIP_4) | instid1(VALU_DEP_1)
	v_mov_b32_e32 v107, v103
	ds_load_2addr_b64 v[102:105], v96 offset0:38 offset1:39
	v_pk_add_f32 v[80:81], v[80:81], v[106:107] neg_lo:[0,1] neg_hi:[0,1]
	s_wait_dscnt 0x0
	v_pk_mul_f32 v[106:107], v[102:103], v[92:93] op_sel:[0,1]
	v_pk_fma_f32 v[108:109], v[102:103], v[94:95], v[106:107] op_sel:[0,0,1] op_sel_hi:[1,1,0] neg_lo:[0,0,1] neg_hi:[0,0,1]
	v_pk_fma_f32 v[102:103], v[102:103], v[94:95], v[106:107] op_sel:[0,0,1] op_sel_hi:[1,0,0]
	s_delay_alu instid0(VALU_DEP_1) | instskip(SKIP_1) | instid1(VALU_DEP_1)
	v_mov_b32_e32 v109, v103
	v_pk_mul_f32 v[102:103], v[104:105], v[92:93] op_sel:[0,1]
	v_pk_fma_f32 v[106:107], v[104:105], v[94:95], v[102:103] op_sel:[0,0,1] op_sel_hi:[1,1,0] neg_lo:[0,0,1] neg_hi:[0,0,1]
	v_pk_fma_f32 v[102:103], v[104:105], v[94:95], v[102:103] op_sel:[0,0,1] op_sel_hi:[1,0,0]
	s_delay_alu instid0(VALU_DEP_1)
	v_mov_b32_e32 v107, v103
	ds_load_2addr_b64 v[102:105], v96 offset0:40 offset1:41
	v_pk_add_f32 v[64:65], v[64:65], v[108:109] neg_lo:[0,1] neg_hi:[0,1]
	v_pk_add_f32 v[62:63], v[62:63], v[106:107] neg_lo:[0,1] neg_hi:[0,1]
	s_wait_dscnt 0x0
	v_pk_mul_f32 v[106:107], v[102:103], v[92:93] op_sel:[0,1]
	s_delay_alu instid0(VALU_DEP_1) | instskip(SKIP_1) | instid1(VALU_DEP_1)
	v_pk_fma_f32 v[108:109], v[102:103], v[94:95], v[106:107] op_sel:[0,0,1] op_sel_hi:[1,1,0] neg_lo:[0,0,1] neg_hi:[0,0,1]
	v_pk_fma_f32 v[102:103], v[102:103], v[94:95], v[106:107] op_sel:[0,0,1] op_sel_hi:[1,0,0]
	v_mov_b32_e32 v109, v103
	v_pk_mul_f32 v[102:103], v[104:105], v[92:93] op_sel:[0,1]
	s_delay_alu instid0(VALU_DEP_1) | instskip(SKIP_1) | instid1(VALU_DEP_1)
	v_pk_fma_f32 v[106:107], v[104:105], v[94:95], v[102:103] op_sel:[0,0,1] op_sel_hi:[1,1,0] neg_lo:[0,0,1] neg_hi:[0,0,1]
	v_pk_fma_f32 v[102:103], v[104:105], v[94:95], v[102:103] op_sel:[0,0,1] op_sel_hi:[1,0,0]
	v_mov_b32_e32 v107, v103
	ds_load_b64 v[102:103], v96 offset:336
	v_pk_add_f32 v[72:73], v[72:73], v[108:109] neg_lo:[0,1] neg_hi:[0,1]
	v_pk_add_f32 v[70:71], v[70:71], v[106:107] neg_lo:[0,1] neg_hi:[0,1]
	s_wait_dscnt 0x0
	v_pk_mul_f32 v[92:93], v[102:103], v[92:93] op_sel:[0,1]
	s_delay_alu instid0(VALU_DEP_1) | instskip(SKIP_1) | instid1(VALU_DEP_1)
	v_pk_fma_f32 v[104:105], v[102:103], v[94:95], v[92:93] op_sel:[0,0,1] op_sel_hi:[1,1,0] neg_lo:[0,0,1] neg_hi:[0,0,1]
	v_pk_fma_f32 v[92:93], v[102:103], v[94:95], v[92:93] op_sel:[0,0,1] op_sel_hi:[1,0,0]
	v_mov_b32_e32 v105, v93
	s_delay_alu instid0(VALU_DEP_1)
	v_pk_add_f32 v[90:91], v[90:91], v[104:105] neg_lo:[0,1] neg_hi:[0,1]
.LBB84_503:
	s_or_b32 exec_lo, exec_lo, s0
	v_lshl_add_u32 v92, v100, 3, v96
	s_barrier_signal -1
	s_barrier_wait -1
	ds_store_b64 v92, v[68:69]
	s_wait_dscnt 0x0
	s_barrier_signal -1
	s_barrier_wait -1
	ds_load_b64 v[92:93], v96 offset:192
	v_mov_b32_e32 v94, 24
	s_cmp_lt_i32 s14, 26
	s_cbranch_scc1 .LBB84_506
; %bb.504:
	v_add3_u32 v95, v97, 0, 0xc8
	v_mov_b32_e32 v94, 24
	s_mov_b32 s0, 25
.LBB84_505:                             ; =>This Inner Loop Header: Depth=1
	ds_load_b64 v[102:103], v95
	s_wait_dscnt 0x1
	v_cmp_gt_f32_e32 vcc_lo, 0, v92
	v_cndmask_b32_e64 v104, v92, -v92, vcc_lo
	v_cmp_gt_f32_e32 vcc_lo, 0, v93
	v_cndmask_b32_e64 v106, v93, -v93, vcc_lo
	s_wait_dscnt 0x0
	v_cmp_gt_f32_e32 vcc_lo, 0, v102
	v_cndmask_b32_e64 v105, v102, -v102, vcc_lo
	v_cmp_gt_f32_e32 vcc_lo, 0, v103
	v_cndmask_b32_e64 v107, v103, -v103, vcc_lo
	s_delay_alu instid0(VALU_DEP_1) | instskip(NEXT) | instid1(VALU_DEP_1)
	v_pk_add_f32 v[104:105], v[104:105], v[106:107]
	v_cmp_lt_f32_e32 vcc_lo, v104, v105
	v_dual_cndmask_b32 v92, v92, v102 :: v_dual_add_nc_u32 v95, 8, v95
	v_cndmask_b32_e32 v93, v93, v103, vcc_lo
	v_cndmask_b32_e64 v94, v94, s0, vcc_lo
	s_add_co_i32 s0, s0, 1
	s_delay_alu instid0(SALU_CYCLE_1)
	s_cmp_lg_u32 s14, s0
	s_cbranch_scc1 .LBB84_505
.LBB84_506:
	s_wait_dscnt 0x0
	v_cmp_eq_f32_e32 vcc_lo, 0, v92
	v_cmp_eq_f32_e64 s0, 0, v93
	s_and_b32 s0, vcc_lo, s0
	s_delay_alu instid0(SALU_CYCLE_1) | instskip(NEXT) | instid1(SALU_CYCLE_1)
	s_and_saveexec_b32 s1, s0
	s_xor_b32 s0, exec_lo, s1
; %bb.507:
	v_cmp_ne_u32_e32 vcc_lo, 0, v98
	v_cndmask_b32_e32 v98, 25, v98, vcc_lo
; %bb.508:
	s_and_not1_saveexec_b32 s0, s0
	s_cbranch_execz .LBB84_514
; %bb.509:
	v_cmp_ngt_f32_e64 s1, |v92|, |v93|
	s_and_saveexec_b32 s15, s1
	s_delay_alu instid0(SALU_CYCLE_1)
	s_xor_b32 s1, exec_lo, s15
	s_cbranch_execz .LBB84_511
; %bb.510:
	v_div_scale_f32 v95, null, v93, v93, v92
	v_div_scale_f32 v103, vcc_lo, v92, v93, v92
	s_delay_alu instid0(VALU_DEP_2) | instskip(SKIP_1) | instid1(TRANS32_DEP_1)
	v_rcp_f32_e32 v101, v95
	v_nop
	v_fma_f32 v102, -v95, v101, 1.0
	s_delay_alu instid0(VALU_DEP_1) | instskip(NEXT) | instid1(VALU_DEP_1)
	v_fmac_f32_e32 v101, v102, v101
	v_mul_f32_e32 v102, v103, v101
	s_delay_alu instid0(VALU_DEP_1) | instskip(NEXT) | instid1(VALU_DEP_1)
	v_fma_f32 v104, -v95, v102, v103
	v_fmac_f32_e32 v102, v104, v101
	s_delay_alu instid0(VALU_DEP_1) | instskip(NEXT) | instid1(VALU_DEP_1)
	v_fma_f32 v95, -v95, v102, v103
	v_div_fmas_f32 v95, v95, v101, v102
	s_delay_alu instid0(VALU_DEP_1) | instskip(NEXT) | instid1(VALU_DEP_1)
	v_div_fixup_f32 v95, v95, v93, v92
	v_fmac_f32_e32 v93, v92, v95
	s_delay_alu instid0(VALU_DEP_1) | instskip(SKIP_1) | instid1(VALU_DEP_2)
	v_div_scale_f32 v92, null, v93, v93, 1.0
	v_div_scale_f32 v103, vcc_lo, 1.0, v93, 1.0
	v_rcp_f32_e32 v101, v92
	v_nop
	s_delay_alu instid0(TRANS32_DEP_1) | instskip(NEXT) | instid1(VALU_DEP_1)
	v_fma_f32 v102, -v92, v101, 1.0
	v_fmac_f32_e32 v101, v102, v101
	s_delay_alu instid0(VALU_DEP_1) | instskip(NEXT) | instid1(VALU_DEP_1)
	v_mul_f32_e32 v102, v103, v101
	v_fma_f32 v104, -v92, v102, v103
	s_delay_alu instid0(VALU_DEP_1) | instskip(NEXT) | instid1(VALU_DEP_1)
	v_fmac_f32_e32 v102, v104, v101
	v_fma_f32 v92, -v92, v102, v103
	s_delay_alu instid0(VALU_DEP_1) | instskip(NEXT) | instid1(VALU_DEP_1)
	v_div_fmas_f32 v92, v92, v101, v102
	v_div_fixup_f32 v93, v92, v93, 1.0
	s_delay_alu instid0(VALU_DEP_1)
	v_mul_f32_e32 v92, v95, v93
	v_xor_b32_e32 v93, 0x80000000, v93
.LBB84_511:
	s_and_not1_saveexec_b32 s1, s1
	s_cbranch_execz .LBB84_513
; %bb.512:
	s_delay_alu instid0(VALU_DEP_1) | instskip(SKIP_1) | instid1(VALU_DEP_2)
	v_div_scale_f32 v95, null, v92, v92, v93
	v_div_scale_f32 v103, vcc_lo, v93, v92, v93
	v_rcp_f32_e32 v101, v95
	v_nop
	s_delay_alu instid0(TRANS32_DEP_1) | instskip(NEXT) | instid1(VALU_DEP_1)
	v_fma_f32 v102, -v95, v101, 1.0
	v_fmac_f32_e32 v101, v102, v101
	s_delay_alu instid0(VALU_DEP_1) | instskip(NEXT) | instid1(VALU_DEP_1)
	v_mul_f32_e32 v102, v103, v101
	v_fma_f32 v104, -v95, v102, v103
	s_delay_alu instid0(VALU_DEP_1) | instskip(NEXT) | instid1(VALU_DEP_1)
	v_fmac_f32_e32 v102, v104, v101
	v_fma_f32 v95, -v95, v102, v103
	s_delay_alu instid0(VALU_DEP_1) | instskip(NEXT) | instid1(VALU_DEP_1)
	v_div_fmas_f32 v95, v95, v101, v102
	v_div_fixup_f32 v95, v95, v92, v93
	s_delay_alu instid0(VALU_DEP_1) | instskip(NEXT) | instid1(VALU_DEP_1)
	v_fmac_f32_e32 v92, v93, v95
	v_div_scale_f32 v93, null, v92, v92, 1.0
	s_delay_alu instid0(VALU_DEP_1) | instskip(SKIP_1) | instid1(TRANS32_DEP_1)
	v_rcp_f32_e32 v101, v93
	v_nop
	v_fma_f32 v102, -v93, v101, 1.0
	s_delay_alu instid0(VALU_DEP_1) | instskip(SKIP_1) | instid1(VALU_DEP_1)
	v_fmac_f32_e32 v101, v102, v101
	v_div_scale_f32 v102, vcc_lo, 1.0, v92, 1.0
	v_mul_f32_e32 v103, v102, v101
	s_delay_alu instid0(VALU_DEP_1) | instskip(NEXT) | instid1(VALU_DEP_1)
	v_fma_f32 v104, -v93, v103, v102
	v_fmac_f32_e32 v103, v104, v101
	s_delay_alu instid0(VALU_DEP_1) | instskip(NEXT) | instid1(VALU_DEP_1)
	v_fma_f32 v93, -v93, v103, v102
	v_div_fmas_f32 v93, v93, v101, v103
	s_delay_alu instid0(VALU_DEP_1) | instskip(NEXT) | instid1(VALU_DEP_1)
	v_div_fixup_f32 v92, v93, v92, 1.0
	v_mul_f32_e64 v93, v95, -v92
.LBB84_513:
	s_or_b32 exec_lo, exec_lo, s1
.LBB84_514:
	s_delay_alu instid0(SALU_CYCLE_1) | instskip(NEXT) | instid1(SALU_CYCLE_1)
	s_or_b32 exec_lo, exec_lo, s0
	s_mov_b32 s0, exec_lo
	v_cmpx_ne_u32_e64 v100, v94
	s_xor_b32 s0, exec_lo, s0
	s_cbranch_execz .LBB84_520
; %bb.515:
	s_mov_b32 s1, exec_lo
	v_cmpx_eq_u32_e32 24, v100
	s_cbranch_execz .LBB84_519
; %bb.516:
	v_cmp_ne_u32_e32 vcc_lo, 24, v94
	s_xor_b32 s15, s12, -1
	s_delay_alu instid0(SALU_CYCLE_1) | instskip(NEXT) | instid1(SALU_CYCLE_1)
	s_and_b32 s16, s15, vcc_lo
	s_and_saveexec_b32 s15, s16
	s_cbranch_execz .LBB84_518
; %bb.517:
	v_ashrrev_i32_e32 v95, 31, v94
	s_delay_alu instid0(VALU_DEP_1)
	v_lshl_add_u64 v[100:101], v[94:95], 2, v[4:5]
	s_clause 0x1
	global_load_b32 v95, v[100:101], off
	global_load_b32 v99, v[4:5], off offset:96
	s_wait_loadcnt 0x1
	global_store_b32 v[4:5], v95, off offset:96
	s_wait_loadcnt 0x0
	global_store_b32 v[100:101], v99, off
.LBB84_518:
	s_wait_xcnt 0x0
	s_or_b32 exec_lo, exec_lo, s15
	v_dual_mov_b32 v100, v94 :: v_dual_mov_b32 v99, v94
.LBB84_519:
	s_or_b32 exec_lo, exec_lo, s1
.LBB84_520:
	s_and_not1_saveexec_b32 s0, s0
	s_cbranch_execz .LBB84_522
; %bb.521:
	v_mov_b32_e32 v100, 24
	ds_store_2addr_b64 v96, v[66:67], v[40:41] offset0:25 offset1:26
	ds_store_2addr_b64 v96, v[38:39], v[76:77] offset0:27 offset1:28
	;; [unrolled: 1-line block ×9, first 2 shown]
.LBB84_522:
	s_or_b32 exec_lo, exec_lo, s0
	s_delay_alu instid0(SALU_CYCLE_1)
	s_mov_b32 s0, exec_lo
	s_wait_storecnt_dscnt 0x0
	s_barrier_signal -1
	s_barrier_wait -1
	v_cmpx_lt_i32_e32 24, v100
	s_cbranch_execz .LBB84_524
; %bb.523:
	v_pk_mul_f32 v[102:103], v[92:93], v[68:69] op_sel:[1,1] op_sel_hi:[0,1]
	s_delay_alu instid0(VALU_DEP_1)
	v_pk_fma_f32 v[94:95], v[92:93], v[68:69], v[102:103] op_sel_hi:[1,0,1] neg_lo:[0,0,1] neg_hi:[0,0,1]
	v_pk_fma_f32 v[92:93], v[92:93], v[68:69], v[102:103] op_sel_hi:[1,0,1]
	ds_load_2addr_b64 v[102:105], v96 offset0:25 offset1:26
	v_dual_mov_b32 v68, v94 :: v_dual_mov_b32 v69, v93
	s_wait_dscnt 0x0
	v_pk_mul_f32 v[106:107], v[102:103], v[92:93] op_sel:[0,1]
	s_delay_alu instid0(VALU_DEP_1) | instskip(SKIP_1) | instid1(VALU_DEP_1)
	v_pk_fma_f32 v[108:109], v[102:103], v[94:95], v[106:107] op_sel:[0,0,1] op_sel_hi:[1,1,0] neg_lo:[0,0,1] neg_hi:[0,0,1]
	v_pk_fma_f32 v[102:103], v[102:103], v[94:95], v[106:107] op_sel:[0,0,1] op_sel_hi:[1,0,0]
	v_mov_b32_e32 v109, v103
	v_pk_mul_f32 v[102:103], v[104:105], v[92:93] op_sel:[0,1]
	s_delay_alu instid0(VALU_DEP_1) | instskip(SKIP_1) | instid1(VALU_DEP_1)
	v_pk_fma_f32 v[106:107], v[104:105], v[94:95], v[102:103] op_sel:[0,0,1] op_sel_hi:[1,1,0] neg_lo:[0,0,1] neg_hi:[0,0,1]
	v_pk_fma_f32 v[102:103], v[104:105], v[94:95], v[102:103] op_sel:[0,0,1] op_sel_hi:[1,0,0]
	v_mov_b32_e32 v107, v103
	ds_load_2addr_b64 v[102:105], v96 offset0:27 offset1:28
	v_pk_add_f32 v[66:67], v[66:67], v[108:109] neg_lo:[0,1] neg_hi:[0,1]
	v_pk_add_f32 v[40:41], v[40:41], v[106:107] neg_lo:[0,1] neg_hi:[0,1]
	s_wait_dscnt 0x0
	v_pk_mul_f32 v[106:107], v[102:103], v[92:93] op_sel:[0,1]
	s_delay_alu instid0(VALU_DEP_1) | instskip(SKIP_2) | instid1(VALU_DEP_2)
	v_pk_fma_f32 v[108:109], v[102:103], v[94:95], v[106:107] op_sel:[0,0,1] op_sel_hi:[1,1,0] neg_lo:[0,0,1] neg_hi:[0,0,1]
	v_pk_fma_f32 v[102:103], v[102:103], v[94:95], v[106:107] op_sel:[0,0,1] op_sel_hi:[1,0,0]
	v_dual_mul_f32 v106, v105, v93 :: v_dual_mov_b32 v102, v105
	v_dual_mov_b32 v109, v103 :: v_dual_mov_b32 v103, v104
	s_delay_alu instid0(VALU_DEP_2) | instskip(SKIP_1) | instid1(VALU_DEP_3)
	v_pk_fma_f32 v[106:107], v[104:105], v[68:69], v[106:107] op_sel_hi:[1,1,0] neg_lo:[0,0,1] neg_hi:[0,0,1]
	v_mul_f32_e32 v104, v105, v94
	v_pk_add_f32 v[38:39], v[38:39], v[108:109] neg_lo:[0,1] neg_hi:[0,1]
	s_delay_alu instid0(VALU_DEP_2) | instskip(NEXT) | instid1(VALU_DEP_1)
	v_pk_fma_f32 v[102:103], v[102:103], v[68:69], v[104:105] op_sel_hi:[1,1,0]
	v_mov_b32_e32 v107, v103
	ds_load_2addr_b64 v[102:105], v96 offset0:29 offset1:30
	v_pk_add_f32 v[76:77], v[76:77], v[106:107] neg_lo:[0,1] neg_hi:[0,1]
	s_wait_dscnt 0x0
	v_pk_mul_f32 v[106:107], v[102:103], v[92:93] op_sel:[0,1]
	s_delay_alu instid0(VALU_DEP_1) | instskip(SKIP_1) | instid1(VALU_DEP_1)
	v_pk_fma_f32 v[108:109], v[102:103], v[94:95], v[106:107] op_sel:[0,0,1] op_sel_hi:[1,1,0] neg_lo:[0,0,1] neg_hi:[0,0,1]
	v_pk_fma_f32 v[102:103], v[102:103], v[94:95], v[106:107] op_sel:[0,0,1] op_sel_hi:[1,0,0]
	v_mov_b32_e32 v109, v103
	v_pk_mul_f32 v[102:103], v[104:105], v[92:93] op_sel:[0,1]
	s_delay_alu instid0(VALU_DEP_1) | instskip(SKIP_1) | instid1(VALU_DEP_1)
	v_pk_fma_f32 v[106:107], v[104:105], v[94:95], v[102:103] op_sel:[0,0,1] op_sel_hi:[1,1,0] neg_lo:[0,0,1] neg_hi:[0,0,1]
	v_pk_fma_f32 v[102:103], v[104:105], v[94:95], v[102:103] op_sel:[0,0,1] op_sel_hi:[1,0,0]
	v_mov_b32_e32 v107, v103
	ds_load_2addr_b64 v[102:105], v96 offset0:31 offset1:32
	v_pk_add_f32 v[74:75], v[74:75], v[108:109] neg_lo:[0,1] neg_hi:[0,1]
	v_pk_add_f32 v[50:51], v[50:51], v[106:107] neg_lo:[0,1] neg_hi:[0,1]
	s_wait_dscnt 0x0
	v_pk_mul_f32 v[106:107], v[102:103], v[92:93] op_sel:[0,1]
	s_delay_alu instid0(VALU_DEP_1) | instskip(SKIP_1) | instid1(VALU_DEP_1)
	v_pk_fma_f32 v[108:109], v[102:103], v[94:95], v[106:107] op_sel:[0,0,1] op_sel_hi:[1,1,0] neg_lo:[0,0,1] neg_hi:[0,0,1]
	v_pk_fma_f32 v[102:103], v[102:103], v[94:95], v[106:107] op_sel:[0,0,1] op_sel_hi:[1,0,0]
	v_mov_b32_e32 v109, v103
	v_pk_mul_f32 v[102:103], v[104:105], v[92:93] op_sel:[0,1]
	s_delay_alu instid0(VALU_DEP_1) | instskip(SKIP_1) | instid1(VALU_DEP_1)
	v_pk_fma_f32 v[106:107], v[104:105], v[94:95], v[102:103] op_sel:[0,0,1] op_sel_hi:[1,1,0] neg_lo:[0,0,1] neg_hi:[0,0,1]
	v_pk_fma_f32 v[102:103], v[104:105], v[94:95], v[102:103] op_sel:[0,0,1] op_sel_hi:[1,0,0]
	v_mov_b32_e32 v107, v103
	ds_load_2addr_b64 v[102:105], v96 offset0:33 offset1:34
	v_pk_add_f32 v[48:49], v[48:49], v[108:109] neg_lo:[0,1] neg_hi:[0,1]
	v_pk_add_f32 v[88:89], v[88:89], v[106:107] neg_lo:[0,1] neg_hi:[0,1]
	s_wait_dscnt 0x0
	v_dual_mul_f32 v106, v103, v93 :: v_dual_mul_f32 v108, v103, v94
	s_delay_alu instid0(VALU_DEP_1) | instskip(NEXT) | instid1(VALU_DEP_2)
	v_pk_fma_f32 v[106:107], v[102:103], v[68:69], v[106:107] op_sel_hi:[1,1,0] neg_lo:[0,0,1] neg_hi:[0,0,1]
	v_pk_fma_f32 v[102:103], v[102:103], v[68:69], v[108:109] op_sel:[1,0,0] op_sel_hi:[0,1,0]
	s_delay_alu instid0(VALU_DEP_1) | instskip(SKIP_1) | instid1(VALU_DEP_2)
	v_mov_b32_e32 v107, v103
	v_pk_mul_f32 v[102:103], v[104:105], v[92:93] op_sel:[0,1]
	v_pk_add_f32 v[86:87], v[86:87], v[106:107] neg_lo:[0,1] neg_hi:[0,1]
	s_delay_alu instid0(VALU_DEP_2) | instskip(SKIP_1) | instid1(VALU_DEP_1)
	v_pk_fma_f32 v[106:107], v[104:105], v[94:95], v[102:103] op_sel:[0,0,1] op_sel_hi:[1,1,0] neg_lo:[0,0,1] neg_hi:[0,0,1]
	v_pk_fma_f32 v[102:103], v[104:105], v[94:95], v[102:103] op_sel:[0,0,1] op_sel_hi:[1,0,0]
	v_mov_b32_e32 v107, v103
	ds_load_2addr_b64 v[102:105], v96 offset0:35 offset1:36
	v_pk_add_f32 v[60:61], v[60:61], v[106:107] neg_lo:[0,1] neg_hi:[0,1]
	s_wait_dscnt 0x0
	v_pk_mul_f32 v[106:107], v[102:103], v[92:93] op_sel:[0,1]
	s_delay_alu instid0(VALU_DEP_1) | instskip(SKIP_1) | instid1(VALU_DEP_1)
	v_pk_fma_f32 v[108:109], v[102:103], v[94:95], v[106:107] op_sel:[0,0,1] op_sel_hi:[1,1,0] neg_lo:[0,0,1] neg_hi:[0,0,1]
	v_pk_fma_f32 v[102:103], v[102:103], v[94:95], v[106:107] op_sel:[0,0,1] op_sel_hi:[1,0,0]
	v_mov_b32_e32 v109, v103
	v_pk_mul_f32 v[102:103], v[104:105], v[92:93] op_sel:[0,1]
	s_delay_alu instid0(VALU_DEP_2) | instskip(NEXT) | instid1(VALU_DEP_2)
	v_pk_add_f32 v[58:59], v[58:59], v[108:109] neg_lo:[0,1] neg_hi:[0,1]
	v_pk_fma_f32 v[106:107], v[104:105], v[94:95], v[102:103] op_sel:[0,0,1] op_sel_hi:[1,1,0] neg_lo:[0,0,1] neg_hi:[0,0,1]
	v_pk_fma_f32 v[102:103], v[104:105], v[94:95], v[102:103] op_sel:[0,0,1] op_sel_hi:[1,0,0]
	s_delay_alu instid0(VALU_DEP_1) | instskip(SKIP_4) | instid1(VALU_DEP_1)
	v_mov_b32_e32 v107, v103
	ds_load_2addr_b64 v[102:105], v96 offset0:37 offset1:38
	v_pk_add_f32 v[82:83], v[82:83], v[106:107] neg_lo:[0,1] neg_hi:[0,1]
	s_wait_dscnt 0x0
	v_pk_mul_f32 v[106:107], v[102:103], v[92:93] op_sel:[0,1]
	v_pk_fma_f32 v[108:109], v[102:103], v[94:95], v[106:107] op_sel:[0,0,1] op_sel_hi:[1,1,0] neg_lo:[0,0,1] neg_hi:[0,0,1]
	v_pk_fma_f32 v[102:103], v[102:103], v[94:95], v[106:107] op_sel:[0,0,1] op_sel_hi:[1,0,0]
	v_dual_mul_f32 v106, v105, v93 :: v_dual_mov_b32 v102, v105
	s_delay_alu instid0(VALU_DEP_2) | instskip(NEXT) | instid1(VALU_DEP_2)
	v_dual_mov_b32 v109, v103 :: v_dual_mov_b32 v103, v104
	v_pk_fma_f32 v[106:107], v[104:105], v[68:69], v[106:107] op_sel_hi:[1,1,0] neg_lo:[0,0,1] neg_hi:[0,0,1]
	v_mul_f32_e32 v104, v105, v94
	s_delay_alu instid0(VALU_DEP_3) | instskip(NEXT) | instid1(VALU_DEP_2)
	v_pk_add_f32 v[80:81], v[80:81], v[108:109] neg_lo:[0,1] neg_hi:[0,1]
	v_pk_fma_f32 v[102:103], v[102:103], v[68:69], v[104:105] op_sel_hi:[1,1,0]
	s_delay_alu instid0(VALU_DEP_1) | instskip(SKIP_4) | instid1(VALU_DEP_1)
	v_mov_b32_e32 v107, v103
	ds_load_2addr_b64 v[102:105], v96 offset0:39 offset1:40
	v_pk_add_f32 v[64:65], v[64:65], v[106:107] neg_lo:[0,1] neg_hi:[0,1]
	s_wait_dscnt 0x0
	v_pk_mul_f32 v[106:107], v[102:103], v[92:93] op_sel:[0,1]
	v_pk_fma_f32 v[108:109], v[102:103], v[94:95], v[106:107] op_sel:[0,0,1] op_sel_hi:[1,1,0] neg_lo:[0,0,1] neg_hi:[0,0,1]
	v_pk_fma_f32 v[102:103], v[102:103], v[94:95], v[106:107] op_sel:[0,0,1] op_sel_hi:[1,0,0]
	s_delay_alu instid0(VALU_DEP_1) | instskip(SKIP_1) | instid1(VALU_DEP_1)
	v_mov_b32_e32 v109, v103
	v_pk_mul_f32 v[102:103], v[104:105], v[92:93] op_sel:[0,1]
	v_pk_fma_f32 v[106:107], v[104:105], v[94:95], v[102:103] op_sel:[0,0,1] op_sel_hi:[1,1,0] neg_lo:[0,0,1] neg_hi:[0,0,1]
	v_pk_fma_f32 v[102:103], v[104:105], v[94:95], v[102:103] op_sel:[0,0,1] op_sel_hi:[1,0,0]
	s_delay_alu instid0(VALU_DEP_1)
	v_mov_b32_e32 v107, v103
	ds_load_2addr_b64 v[102:105], v96 offset0:41 offset1:42
	v_pk_add_f32 v[62:63], v[62:63], v[108:109] neg_lo:[0,1] neg_hi:[0,1]
	v_pk_add_f32 v[72:73], v[72:73], v[106:107] neg_lo:[0,1] neg_hi:[0,1]
	s_wait_dscnt 0x0
	v_pk_mul_f32 v[106:107], v[102:103], v[92:93] op_sel:[0,1]
	v_mul_f32_e32 v92, v105, v93
	s_delay_alu instid0(VALU_DEP_2) | instskip(SKIP_2) | instid1(VALU_DEP_4)
	v_pk_fma_f32 v[108:109], v[102:103], v[94:95], v[106:107] op_sel:[0,0,1] op_sel_hi:[1,1,0] neg_lo:[0,0,1] neg_hi:[0,0,1]
	v_pk_fma_f32 v[102:103], v[102:103], v[94:95], v[106:107] op_sel:[0,0,1] op_sel_hi:[1,0,0]
	v_dual_mov_b32 v102, v105 :: v_dual_mul_f32 v94, v105, v94
	v_pk_fma_f32 v[92:93], v[104:105], v[68:69], v[92:93] op_sel_hi:[1,1,0] neg_lo:[0,0,1] neg_hi:[0,0,1]
	s_delay_alu instid0(VALU_DEP_3) | instskip(NEXT) | instid1(VALU_DEP_1)
	v_dual_mov_b32 v109, v103 :: v_dual_mov_b32 v103, v104
	v_pk_add_f32 v[70:71], v[70:71], v[108:109] neg_lo:[0,1] neg_hi:[0,1]
	s_delay_alu instid0(VALU_DEP_2) | instskip(NEXT) | instid1(VALU_DEP_1)
	v_pk_fma_f32 v[94:95], v[102:103], v[68:69], v[94:95] op_sel_hi:[1,1,0]
	v_mov_b32_e32 v93, v95
	s_delay_alu instid0(VALU_DEP_1)
	v_pk_add_f32 v[90:91], v[90:91], v[92:93] neg_lo:[0,1] neg_hi:[0,1]
.LBB84_524:
	s_or_b32 exec_lo, exec_lo, s0
	v_lshl_add_u32 v92, v100, 3, v96
	s_barrier_signal -1
	s_barrier_wait -1
	ds_store_b64 v92, v[66:67]
	s_wait_dscnt 0x0
	s_barrier_signal -1
	s_barrier_wait -1
	ds_load_b64 v[92:93], v96 offset:200
	v_mov_b32_e32 v94, 25
	s_cmp_lt_i32 s14, 27
	s_cbranch_scc1 .LBB84_527
; %bb.525:
	v_add3_u32 v95, v97, 0, 0xd0
	v_mov_b32_e32 v94, 25
	s_mov_b32 s0, 26
.LBB84_526:                             ; =>This Inner Loop Header: Depth=1
	ds_load_b64 v[102:103], v95
	s_wait_dscnt 0x1
	v_cmp_gt_f32_e32 vcc_lo, 0, v92
	v_cndmask_b32_e64 v104, v92, -v92, vcc_lo
	v_cmp_gt_f32_e32 vcc_lo, 0, v93
	v_cndmask_b32_e64 v106, v93, -v93, vcc_lo
	s_wait_dscnt 0x0
	v_cmp_gt_f32_e32 vcc_lo, 0, v102
	v_cndmask_b32_e64 v105, v102, -v102, vcc_lo
	v_cmp_gt_f32_e32 vcc_lo, 0, v103
	v_cndmask_b32_e64 v107, v103, -v103, vcc_lo
	s_delay_alu instid0(VALU_DEP_1) | instskip(NEXT) | instid1(VALU_DEP_1)
	v_pk_add_f32 v[104:105], v[104:105], v[106:107]
	v_cmp_lt_f32_e32 vcc_lo, v104, v105
	v_dual_cndmask_b32 v92, v92, v102 :: v_dual_add_nc_u32 v95, 8, v95
	v_cndmask_b32_e32 v93, v93, v103, vcc_lo
	v_cndmask_b32_e64 v94, v94, s0, vcc_lo
	s_add_co_i32 s0, s0, 1
	s_delay_alu instid0(SALU_CYCLE_1)
	s_cmp_lg_u32 s14, s0
	s_cbranch_scc1 .LBB84_526
.LBB84_527:
	s_wait_dscnt 0x0
	v_cmp_eq_f32_e32 vcc_lo, 0, v92
	v_cmp_eq_f32_e64 s0, 0, v93
	s_and_b32 s0, vcc_lo, s0
	s_delay_alu instid0(SALU_CYCLE_1) | instskip(NEXT) | instid1(SALU_CYCLE_1)
	s_and_saveexec_b32 s1, s0
	s_xor_b32 s0, exec_lo, s1
; %bb.528:
	v_cmp_ne_u32_e32 vcc_lo, 0, v98
	v_cndmask_b32_e32 v98, 26, v98, vcc_lo
; %bb.529:
	s_and_not1_saveexec_b32 s0, s0
	s_cbranch_execz .LBB84_535
; %bb.530:
	v_cmp_ngt_f32_e64 s1, |v92|, |v93|
	s_and_saveexec_b32 s15, s1
	s_delay_alu instid0(SALU_CYCLE_1)
	s_xor_b32 s1, exec_lo, s15
	s_cbranch_execz .LBB84_532
; %bb.531:
	v_div_scale_f32 v95, null, v93, v93, v92
	v_div_scale_f32 v103, vcc_lo, v92, v93, v92
	s_delay_alu instid0(VALU_DEP_2) | instskip(SKIP_1) | instid1(TRANS32_DEP_1)
	v_rcp_f32_e32 v101, v95
	v_nop
	v_fma_f32 v102, -v95, v101, 1.0
	s_delay_alu instid0(VALU_DEP_1) | instskip(NEXT) | instid1(VALU_DEP_1)
	v_fmac_f32_e32 v101, v102, v101
	v_mul_f32_e32 v102, v103, v101
	s_delay_alu instid0(VALU_DEP_1) | instskip(NEXT) | instid1(VALU_DEP_1)
	v_fma_f32 v104, -v95, v102, v103
	v_fmac_f32_e32 v102, v104, v101
	s_delay_alu instid0(VALU_DEP_1) | instskip(NEXT) | instid1(VALU_DEP_1)
	v_fma_f32 v95, -v95, v102, v103
	v_div_fmas_f32 v95, v95, v101, v102
	s_delay_alu instid0(VALU_DEP_1) | instskip(NEXT) | instid1(VALU_DEP_1)
	v_div_fixup_f32 v95, v95, v93, v92
	v_fmac_f32_e32 v93, v92, v95
	s_delay_alu instid0(VALU_DEP_1) | instskip(SKIP_1) | instid1(VALU_DEP_2)
	v_div_scale_f32 v92, null, v93, v93, 1.0
	v_div_scale_f32 v103, vcc_lo, 1.0, v93, 1.0
	v_rcp_f32_e32 v101, v92
	v_nop
	s_delay_alu instid0(TRANS32_DEP_1) | instskip(NEXT) | instid1(VALU_DEP_1)
	v_fma_f32 v102, -v92, v101, 1.0
	v_fmac_f32_e32 v101, v102, v101
	s_delay_alu instid0(VALU_DEP_1) | instskip(NEXT) | instid1(VALU_DEP_1)
	v_mul_f32_e32 v102, v103, v101
	v_fma_f32 v104, -v92, v102, v103
	s_delay_alu instid0(VALU_DEP_1) | instskip(NEXT) | instid1(VALU_DEP_1)
	v_fmac_f32_e32 v102, v104, v101
	v_fma_f32 v92, -v92, v102, v103
	s_delay_alu instid0(VALU_DEP_1) | instskip(NEXT) | instid1(VALU_DEP_1)
	v_div_fmas_f32 v92, v92, v101, v102
	v_div_fixup_f32 v93, v92, v93, 1.0
	s_delay_alu instid0(VALU_DEP_1)
	v_mul_f32_e32 v92, v95, v93
	v_xor_b32_e32 v93, 0x80000000, v93
.LBB84_532:
	s_and_not1_saveexec_b32 s1, s1
	s_cbranch_execz .LBB84_534
; %bb.533:
	s_delay_alu instid0(VALU_DEP_1) | instskip(SKIP_1) | instid1(VALU_DEP_2)
	v_div_scale_f32 v95, null, v92, v92, v93
	v_div_scale_f32 v103, vcc_lo, v93, v92, v93
	v_rcp_f32_e32 v101, v95
	v_nop
	s_delay_alu instid0(TRANS32_DEP_1) | instskip(NEXT) | instid1(VALU_DEP_1)
	v_fma_f32 v102, -v95, v101, 1.0
	v_fmac_f32_e32 v101, v102, v101
	s_delay_alu instid0(VALU_DEP_1) | instskip(NEXT) | instid1(VALU_DEP_1)
	v_mul_f32_e32 v102, v103, v101
	v_fma_f32 v104, -v95, v102, v103
	s_delay_alu instid0(VALU_DEP_1) | instskip(NEXT) | instid1(VALU_DEP_1)
	v_fmac_f32_e32 v102, v104, v101
	v_fma_f32 v95, -v95, v102, v103
	s_delay_alu instid0(VALU_DEP_1) | instskip(NEXT) | instid1(VALU_DEP_1)
	v_div_fmas_f32 v95, v95, v101, v102
	v_div_fixup_f32 v95, v95, v92, v93
	s_delay_alu instid0(VALU_DEP_1) | instskip(NEXT) | instid1(VALU_DEP_1)
	v_fmac_f32_e32 v92, v93, v95
	v_div_scale_f32 v93, null, v92, v92, 1.0
	s_delay_alu instid0(VALU_DEP_1) | instskip(SKIP_1) | instid1(TRANS32_DEP_1)
	v_rcp_f32_e32 v101, v93
	v_nop
	v_fma_f32 v102, -v93, v101, 1.0
	s_delay_alu instid0(VALU_DEP_1) | instskip(SKIP_1) | instid1(VALU_DEP_1)
	v_fmac_f32_e32 v101, v102, v101
	v_div_scale_f32 v102, vcc_lo, 1.0, v92, 1.0
	v_mul_f32_e32 v103, v102, v101
	s_delay_alu instid0(VALU_DEP_1) | instskip(NEXT) | instid1(VALU_DEP_1)
	v_fma_f32 v104, -v93, v103, v102
	v_fmac_f32_e32 v103, v104, v101
	s_delay_alu instid0(VALU_DEP_1) | instskip(NEXT) | instid1(VALU_DEP_1)
	v_fma_f32 v93, -v93, v103, v102
	v_div_fmas_f32 v93, v93, v101, v103
	s_delay_alu instid0(VALU_DEP_1) | instskip(NEXT) | instid1(VALU_DEP_1)
	v_div_fixup_f32 v92, v93, v92, 1.0
	v_mul_f32_e64 v93, v95, -v92
.LBB84_534:
	s_or_b32 exec_lo, exec_lo, s1
.LBB84_535:
	s_delay_alu instid0(SALU_CYCLE_1) | instskip(NEXT) | instid1(SALU_CYCLE_1)
	s_or_b32 exec_lo, exec_lo, s0
	s_mov_b32 s0, exec_lo
	v_cmpx_ne_u32_e64 v100, v94
	s_xor_b32 s0, exec_lo, s0
	s_cbranch_execz .LBB84_541
; %bb.536:
	s_mov_b32 s1, exec_lo
	v_cmpx_eq_u32_e32 25, v100
	s_cbranch_execz .LBB84_540
; %bb.537:
	v_cmp_ne_u32_e32 vcc_lo, 25, v94
	s_xor_b32 s15, s12, -1
	s_delay_alu instid0(SALU_CYCLE_1) | instskip(NEXT) | instid1(SALU_CYCLE_1)
	s_and_b32 s16, s15, vcc_lo
	s_and_saveexec_b32 s15, s16
	s_cbranch_execz .LBB84_539
; %bb.538:
	v_ashrrev_i32_e32 v95, 31, v94
	s_delay_alu instid0(VALU_DEP_1)
	v_lshl_add_u64 v[100:101], v[94:95], 2, v[4:5]
	s_clause 0x1
	global_load_b32 v95, v[100:101], off
	global_load_b32 v99, v[4:5], off offset:100
	s_wait_loadcnt 0x1
	global_store_b32 v[4:5], v95, off offset:100
	s_wait_loadcnt 0x0
	global_store_b32 v[100:101], v99, off
.LBB84_539:
	s_wait_xcnt 0x0
	s_or_b32 exec_lo, exec_lo, s15
	v_dual_mov_b32 v100, v94 :: v_dual_mov_b32 v99, v94
.LBB84_540:
	s_or_b32 exec_lo, exec_lo, s1
.LBB84_541:
	s_and_not1_saveexec_b32 s0, s0
	s_cbranch_execz .LBB84_543
; %bb.542:
	v_dual_mov_b32 v94, v40 :: v_dual_mov_b32 v95, v41
	v_dual_mov_b32 v100, v38 :: v_dual_mov_b32 v101, v39
	ds_store_2addr_b64 v96, v[94:95], v[100:101] offset0:26 offset1:27
	v_dual_mov_b32 v94, v76 :: v_dual_mov_b32 v95, v77
	v_dual_mov_b32 v100, v74 :: v_dual_mov_b32 v101, v75
	ds_store_2addr_b64 v96, v[94:95], v[100:101] offset0:28 offset1:29
	;; [unrolled: 3-line block ×8, first 2 shown]
	ds_store_b64 v96, v[90:91] offset:336
	v_mov_b32_e32 v100, 25
.LBB84_543:
	s_or_b32 exec_lo, exec_lo, s0
	s_delay_alu instid0(SALU_CYCLE_1)
	s_mov_b32 s0, exec_lo
	s_wait_storecnt_dscnt 0x0
	s_barrier_signal -1
	s_barrier_wait -1
	v_cmpx_lt_i32_e32 25, v100
	s_cbranch_execz .LBB84_545
; %bb.544:
	v_pk_mul_f32 v[102:103], v[92:93], v[66:67] op_sel:[1,1] op_sel_hi:[0,1]
	s_delay_alu instid0(VALU_DEP_1)
	v_pk_fma_f32 v[94:95], v[92:93], v[66:67], v[102:103] op_sel_hi:[1,0,1] neg_lo:[0,0,1] neg_hi:[0,0,1]
	v_pk_fma_f32 v[92:93], v[92:93], v[66:67], v[102:103] op_sel_hi:[1,0,1]
	ds_load_2addr_b64 v[102:105], v96 offset0:26 offset1:27
	v_dual_mov_b32 v66, v94 :: v_dual_mov_b32 v67, v93
	s_wait_dscnt 0x0
	v_pk_mul_f32 v[106:107], v[102:103], v[92:93] op_sel:[0,1]
	s_delay_alu instid0(VALU_DEP_1) | instskip(SKIP_1) | instid1(VALU_DEP_1)
	v_pk_fma_f32 v[108:109], v[102:103], v[94:95], v[106:107] op_sel:[0,0,1] op_sel_hi:[1,1,0] neg_lo:[0,0,1] neg_hi:[0,0,1]
	v_pk_fma_f32 v[102:103], v[102:103], v[94:95], v[106:107] op_sel:[0,0,1] op_sel_hi:[1,0,0]
	v_mov_b32_e32 v109, v103
	v_pk_mul_f32 v[102:103], v[104:105], v[92:93] op_sel:[0,1]
	s_delay_alu instid0(VALU_DEP_1) | instskip(SKIP_1) | instid1(VALU_DEP_1)
	v_pk_fma_f32 v[106:107], v[104:105], v[94:95], v[102:103] op_sel:[0,0,1] op_sel_hi:[1,1,0] neg_lo:[0,0,1] neg_hi:[0,0,1]
	v_pk_fma_f32 v[102:103], v[104:105], v[94:95], v[102:103] op_sel:[0,0,1] op_sel_hi:[1,0,0]
	v_mov_b32_e32 v107, v103
	ds_load_2addr_b64 v[102:105], v96 offset0:28 offset1:29
	v_pk_add_f32 v[40:41], v[40:41], v[108:109] neg_lo:[0,1] neg_hi:[0,1]
	v_pk_add_f32 v[38:39], v[38:39], v[106:107] neg_lo:[0,1] neg_hi:[0,1]
	s_wait_dscnt 0x0
	v_pk_mul_f32 v[106:107], v[102:103], v[92:93] op_sel:[0,1]
	s_delay_alu instid0(VALU_DEP_1) | instskip(SKIP_2) | instid1(VALU_DEP_2)
	v_pk_fma_f32 v[108:109], v[102:103], v[94:95], v[106:107] op_sel:[0,0,1] op_sel_hi:[1,1,0] neg_lo:[0,0,1] neg_hi:[0,0,1]
	v_pk_fma_f32 v[102:103], v[102:103], v[94:95], v[106:107] op_sel:[0,0,1] op_sel_hi:[1,0,0]
	v_dual_mul_f32 v106, v105, v93 :: v_dual_mov_b32 v102, v105
	v_dual_mov_b32 v109, v103 :: v_dual_mov_b32 v103, v104
	s_delay_alu instid0(VALU_DEP_2) | instskip(SKIP_1) | instid1(VALU_DEP_3)
	v_pk_fma_f32 v[106:107], v[104:105], v[66:67], v[106:107] op_sel_hi:[1,1,0] neg_lo:[0,0,1] neg_hi:[0,0,1]
	v_mul_f32_e32 v104, v105, v94
	v_pk_add_f32 v[76:77], v[76:77], v[108:109] neg_lo:[0,1] neg_hi:[0,1]
	s_delay_alu instid0(VALU_DEP_2) | instskip(NEXT) | instid1(VALU_DEP_1)
	v_pk_fma_f32 v[102:103], v[102:103], v[66:67], v[104:105] op_sel_hi:[1,1,0]
	v_mov_b32_e32 v107, v103
	ds_load_2addr_b64 v[102:105], v96 offset0:30 offset1:31
	v_pk_add_f32 v[74:75], v[74:75], v[106:107] neg_lo:[0,1] neg_hi:[0,1]
	s_wait_dscnt 0x0
	v_pk_mul_f32 v[106:107], v[102:103], v[92:93] op_sel:[0,1]
	s_delay_alu instid0(VALU_DEP_1) | instskip(SKIP_1) | instid1(VALU_DEP_1)
	v_pk_fma_f32 v[108:109], v[102:103], v[94:95], v[106:107] op_sel:[0,0,1] op_sel_hi:[1,1,0] neg_lo:[0,0,1] neg_hi:[0,0,1]
	v_pk_fma_f32 v[102:103], v[102:103], v[94:95], v[106:107] op_sel:[0,0,1] op_sel_hi:[1,0,0]
	v_mov_b32_e32 v109, v103
	v_pk_mul_f32 v[102:103], v[104:105], v[92:93] op_sel:[0,1]
	s_delay_alu instid0(VALU_DEP_1) | instskip(SKIP_1) | instid1(VALU_DEP_1)
	v_pk_fma_f32 v[106:107], v[104:105], v[94:95], v[102:103] op_sel:[0,0,1] op_sel_hi:[1,1,0] neg_lo:[0,0,1] neg_hi:[0,0,1]
	v_pk_fma_f32 v[102:103], v[104:105], v[94:95], v[102:103] op_sel:[0,0,1] op_sel_hi:[1,0,0]
	v_mov_b32_e32 v107, v103
	ds_load_2addr_b64 v[102:105], v96 offset0:32 offset1:33
	v_pk_add_f32 v[50:51], v[50:51], v[108:109] neg_lo:[0,1] neg_hi:[0,1]
	v_pk_add_f32 v[48:49], v[48:49], v[106:107] neg_lo:[0,1] neg_hi:[0,1]
	s_wait_dscnt 0x0
	v_pk_mul_f32 v[106:107], v[102:103], v[92:93] op_sel:[0,1]
	s_delay_alu instid0(VALU_DEP_1) | instskip(SKIP_1) | instid1(VALU_DEP_1)
	v_pk_fma_f32 v[108:109], v[102:103], v[94:95], v[106:107] op_sel:[0,0,1] op_sel_hi:[1,1,0] neg_lo:[0,0,1] neg_hi:[0,0,1]
	v_pk_fma_f32 v[102:103], v[102:103], v[94:95], v[106:107] op_sel:[0,0,1] op_sel_hi:[1,0,0]
	v_mov_b32_e32 v109, v103
	v_pk_mul_f32 v[102:103], v[104:105], v[92:93] op_sel:[0,1]
	s_delay_alu instid0(VALU_DEP_1) | instskip(SKIP_1) | instid1(VALU_DEP_1)
	v_pk_fma_f32 v[106:107], v[104:105], v[94:95], v[102:103] op_sel:[0,0,1] op_sel_hi:[1,1,0] neg_lo:[0,0,1] neg_hi:[0,0,1]
	v_pk_fma_f32 v[102:103], v[104:105], v[94:95], v[102:103] op_sel:[0,0,1] op_sel_hi:[1,0,0]
	v_mov_b32_e32 v107, v103
	ds_load_2addr_b64 v[102:105], v96 offset0:34 offset1:35
	v_pk_add_f32 v[88:89], v[88:89], v[108:109] neg_lo:[0,1] neg_hi:[0,1]
	v_pk_add_f32 v[86:87], v[86:87], v[106:107] neg_lo:[0,1] neg_hi:[0,1]
	s_wait_dscnt 0x0
	v_dual_mul_f32 v106, v103, v93 :: v_dual_mul_f32 v108, v103, v94
	s_delay_alu instid0(VALU_DEP_1) | instskip(NEXT) | instid1(VALU_DEP_2)
	v_pk_fma_f32 v[106:107], v[102:103], v[66:67], v[106:107] op_sel_hi:[1,1,0] neg_lo:[0,0,1] neg_hi:[0,0,1]
	v_pk_fma_f32 v[102:103], v[102:103], v[66:67], v[108:109] op_sel:[1,0,0] op_sel_hi:[0,1,0]
	s_delay_alu instid0(VALU_DEP_1) | instskip(SKIP_1) | instid1(VALU_DEP_2)
	v_mov_b32_e32 v107, v103
	v_pk_mul_f32 v[102:103], v[104:105], v[92:93] op_sel:[0,1]
	v_pk_add_f32 v[60:61], v[60:61], v[106:107] neg_lo:[0,1] neg_hi:[0,1]
	s_delay_alu instid0(VALU_DEP_2) | instskip(SKIP_1) | instid1(VALU_DEP_1)
	v_pk_fma_f32 v[106:107], v[104:105], v[94:95], v[102:103] op_sel:[0,0,1] op_sel_hi:[1,1,0] neg_lo:[0,0,1] neg_hi:[0,0,1]
	v_pk_fma_f32 v[102:103], v[104:105], v[94:95], v[102:103] op_sel:[0,0,1] op_sel_hi:[1,0,0]
	v_mov_b32_e32 v107, v103
	ds_load_2addr_b64 v[102:105], v96 offset0:36 offset1:37
	v_pk_add_f32 v[58:59], v[58:59], v[106:107] neg_lo:[0,1] neg_hi:[0,1]
	s_wait_dscnt 0x0
	v_pk_mul_f32 v[106:107], v[102:103], v[92:93] op_sel:[0,1]
	s_delay_alu instid0(VALU_DEP_1) | instskip(SKIP_1) | instid1(VALU_DEP_1)
	v_pk_fma_f32 v[108:109], v[102:103], v[94:95], v[106:107] op_sel:[0,0,1] op_sel_hi:[1,1,0] neg_lo:[0,0,1] neg_hi:[0,0,1]
	v_pk_fma_f32 v[102:103], v[102:103], v[94:95], v[106:107] op_sel:[0,0,1] op_sel_hi:[1,0,0]
	v_mov_b32_e32 v109, v103
	v_pk_mul_f32 v[102:103], v[104:105], v[92:93] op_sel:[0,1]
	s_delay_alu instid0(VALU_DEP_2) | instskip(NEXT) | instid1(VALU_DEP_2)
	v_pk_add_f32 v[82:83], v[82:83], v[108:109] neg_lo:[0,1] neg_hi:[0,1]
	v_pk_fma_f32 v[106:107], v[104:105], v[94:95], v[102:103] op_sel:[0,0,1] op_sel_hi:[1,1,0] neg_lo:[0,0,1] neg_hi:[0,0,1]
	v_pk_fma_f32 v[102:103], v[104:105], v[94:95], v[102:103] op_sel:[0,0,1] op_sel_hi:[1,0,0]
	s_delay_alu instid0(VALU_DEP_1) | instskip(SKIP_4) | instid1(VALU_DEP_1)
	v_mov_b32_e32 v107, v103
	ds_load_2addr_b64 v[102:105], v96 offset0:38 offset1:39
	v_pk_add_f32 v[80:81], v[80:81], v[106:107] neg_lo:[0,1] neg_hi:[0,1]
	s_wait_dscnt 0x0
	v_pk_mul_f32 v[106:107], v[102:103], v[92:93] op_sel:[0,1]
	v_pk_fma_f32 v[108:109], v[102:103], v[94:95], v[106:107] op_sel:[0,0,1] op_sel_hi:[1,1,0] neg_lo:[0,0,1] neg_hi:[0,0,1]
	v_pk_fma_f32 v[102:103], v[102:103], v[94:95], v[106:107] op_sel:[0,0,1] op_sel_hi:[1,0,0]
	v_dual_mul_f32 v106, v105, v93 :: v_dual_mov_b32 v102, v105
	s_delay_alu instid0(VALU_DEP_2) | instskip(NEXT) | instid1(VALU_DEP_2)
	v_dual_mov_b32 v109, v103 :: v_dual_mov_b32 v103, v104
	v_pk_fma_f32 v[106:107], v[104:105], v[66:67], v[106:107] op_sel_hi:[1,1,0] neg_lo:[0,0,1] neg_hi:[0,0,1]
	v_mul_f32_e32 v104, v105, v94
	s_delay_alu instid0(VALU_DEP_3) | instskip(NEXT) | instid1(VALU_DEP_2)
	v_pk_add_f32 v[64:65], v[64:65], v[108:109] neg_lo:[0,1] neg_hi:[0,1]
	v_pk_fma_f32 v[102:103], v[102:103], v[66:67], v[104:105] op_sel_hi:[1,1,0]
	s_delay_alu instid0(VALU_DEP_1) | instskip(SKIP_4) | instid1(VALU_DEP_1)
	v_mov_b32_e32 v107, v103
	ds_load_2addr_b64 v[102:105], v96 offset0:40 offset1:41
	v_pk_add_f32 v[62:63], v[62:63], v[106:107] neg_lo:[0,1] neg_hi:[0,1]
	s_wait_dscnt 0x0
	v_pk_mul_f32 v[106:107], v[102:103], v[92:93] op_sel:[0,1]
	v_pk_fma_f32 v[108:109], v[102:103], v[94:95], v[106:107] op_sel:[0,0,1] op_sel_hi:[1,1,0] neg_lo:[0,0,1] neg_hi:[0,0,1]
	v_pk_fma_f32 v[102:103], v[102:103], v[94:95], v[106:107] op_sel:[0,0,1] op_sel_hi:[1,0,0]
	s_delay_alu instid0(VALU_DEP_1) | instskip(SKIP_1) | instid1(VALU_DEP_1)
	v_mov_b32_e32 v109, v103
	v_pk_mul_f32 v[102:103], v[104:105], v[92:93] op_sel:[0,1]
	v_pk_fma_f32 v[106:107], v[104:105], v[94:95], v[102:103] op_sel:[0,0,1] op_sel_hi:[1,1,0] neg_lo:[0,0,1] neg_hi:[0,0,1]
	v_pk_fma_f32 v[102:103], v[104:105], v[94:95], v[102:103] op_sel:[0,0,1] op_sel_hi:[1,0,0]
	s_delay_alu instid0(VALU_DEP_1)
	v_mov_b32_e32 v107, v103
	ds_load_b64 v[102:103], v96 offset:336
	v_pk_add_f32 v[72:73], v[72:73], v[108:109] neg_lo:[0,1] neg_hi:[0,1]
	v_pk_add_f32 v[70:71], v[70:71], v[106:107] neg_lo:[0,1] neg_hi:[0,1]
	s_wait_dscnt 0x0
	v_pk_mul_f32 v[92:93], v[102:103], v[92:93] op_sel:[0,1]
	s_delay_alu instid0(VALU_DEP_1) | instskip(SKIP_1) | instid1(VALU_DEP_1)
	v_pk_fma_f32 v[104:105], v[102:103], v[94:95], v[92:93] op_sel:[0,0,1] op_sel_hi:[1,1,0] neg_lo:[0,0,1] neg_hi:[0,0,1]
	v_pk_fma_f32 v[92:93], v[102:103], v[94:95], v[92:93] op_sel:[0,0,1] op_sel_hi:[1,0,0]
	v_mov_b32_e32 v105, v93
	s_delay_alu instid0(VALU_DEP_1)
	v_pk_add_f32 v[90:91], v[90:91], v[104:105] neg_lo:[0,1] neg_hi:[0,1]
.LBB84_545:
	s_or_b32 exec_lo, exec_lo, s0
	v_lshl_add_u32 v92, v100, 3, v96
	s_barrier_signal -1
	s_barrier_wait -1
	ds_store_b64 v92, v[40:41]
	s_wait_dscnt 0x0
	s_barrier_signal -1
	s_barrier_wait -1
	ds_load_b64 v[92:93], v96 offset:208
	v_mov_b32_e32 v94, 26
	s_cmp_lt_i32 s14, 28
	s_cbranch_scc1 .LBB84_548
; %bb.546:
	v_add3_u32 v95, v97, 0, 0xd8
	v_mov_b32_e32 v94, 26
	s_mov_b32 s0, 27
.LBB84_547:                             ; =>This Inner Loop Header: Depth=1
	ds_load_b64 v[102:103], v95
	s_wait_dscnt 0x1
	v_cmp_gt_f32_e32 vcc_lo, 0, v92
	v_cndmask_b32_e64 v104, v92, -v92, vcc_lo
	v_cmp_gt_f32_e32 vcc_lo, 0, v93
	v_cndmask_b32_e64 v106, v93, -v93, vcc_lo
	s_wait_dscnt 0x0
	v_cmp_gt_f32_e32 vcc_lo, 0, v102
	v_cndmask_b32_e64 v105, v102, -v102, vcc_lo
	v_cmp_gt_f32_e32 vcc_lo, 0, v103
	v_cndmask_b32_e64 v107, v103, -v103, vcc_lo
	s_delay_alu instid0(VALU_DEP_1) | instskip(NEXT) | instid1(VALU_DEP_1)
	v_pk_add_f32 v[104:105], v[104:105], v[106:107]
	v_cmp_lt_f32_e32 vcc_lo, v104, v105
	v_dual_cndmask_b32 v92, v92, v102 :: v_dual_add_nc_u32 v95, 8, v95
	v_cndmask_b32_e32 v93, v93, v103, vcc_lo
	v_cndmask_b32_e64 v94, v94, s0, vcc_lo
	s_add_co_i32 s0, s0, 1
	s_delay_alu instid0(SALU_CYCLE_1)
	s_cmp_lg_u32 s14, s0
	s_cbranch_scc1 .LBB84_547
.LBB84_548:
	s_wait_dscnt 0x0
	v_cmp_eq_f32_e32 vcc_lo, 0, v92
	v_cmp_eq_f32_e64 s0, 0, v93
	s_and_b32 s0, vcc_lo, s0
	s_delay_alu instid0(SALU_CYCLE_1) | instskip(NEXT) | instid1(SALU_CYCLE_1)
	s_and_saveexec_b32 s1, s0
	s_xor_b32 s0, exec_lo, s1
; %bb.549:
	v_cmp_ne_u32_e32 vcc_lo, 0, v98
	v_cndmask_b32_e32 v98, 27, v98, vcc_lo
; %bb.550:
	s_and_not1_saveexec_b32 s0, s0
	s_cbranch_execz .LBB84_556
; %bb.551:
	v_cmp_ngt_f32_e64 s1, |v92|, |v93|
	s_and_saveexec_b32 s15, s1
	s_delay_alu instid0(SALU_CYCLE_1)
	s_xor_b32 s1, exec_lo, s15
	s_cbranch_execz .LBB84_553
; %bb.552:
	v_div_scale_f32 v95, null, v93, v93, v92
	v_div_scale_f32 v103, vcc_lo, v92, v93, v92
	s_delay_alu instid0(VALU_DEP_2) | instskip(SKIP_1) | instid1(TRANS32_DEP_1)
	v_rcp_f32_e32 v101, v95
	v_nop
	v_fma_f32 v102, -v95, v101, 1.0
	s_delay_alu instid0(VALU_DEP_1) | instskip(NEXT) | instid1(VALU_DEP_1)
	v_fmac_f32_e32 v101, v102, v101
	v_mul_f32_e32 v102, v103, v101
	s_delay_alu instid0(VALU_DEP_1) | instskip(NEXT) | instid1(VALU_DEP_1)
	v_fma_f32 v104, -v95, v102, v103
	v_fmac_f32_e32 v102, v104, v101
	s_delay_alu instid0(VALU_DEP_1) | instskip(NEXT) | instid1(VALU_DEP_1)
	v_fma_f32 v95, -v95, v102, v103
	v_div_fmas_f32 v95, v95, v101, v102
	s_delay_alu instid0(VALU_DEP_1) | instskip(NEXT) | instid1(VALU_DEP_1)
	v_div_fixup_f32 v95, v95, v93, v92
	v_fmac_f32_e32 v93, v92, v95
	s_delay_alu instid0(VALU_DEP_1) | instskip(SKIP_1) | instid1(VALU_DEP_2)
	v_div_scale_f32 v92, null, v93, v93, 1.0
	v_div_scale_f32 v103, vcc_lo, 1.0, v93, 1.0
	v_rcp_f32_e32 v101, v92
	v_nop
	s_delay_alu instid0(TRANS32_DEP_1) | instskip(NEXT) | instid1(VALU_DEP_1)
	v_fma_f32 v102, -v92, v101, 1.0
	v_fmac_f32_e32 v101, v102, v101
	s_delay_alu instid0(VALU_DEP_1) | instskip(NEXT) | instid1(VALU_DEP_1)
	v_mul_f32_e32 v102, v103, v101
	v_fma_f32 v104, -v92, v102, v103
	s_delay_alu instid0(VALU_DEP_1) | instskip(NEXT) | instid1(VALU_DEP_1)
	v_fmac_f32_e32 v102, v104, v101
	v_fma_f32 v92, -v92, v102, v103
	s_delay_alu instid0(VALU_DEP_1) | instskip(NEXT) | instid1(VALU_DEP_1)
	v_div_fmas_f32 v92, v92, v101, v102
	v_div_fixup_f32 v93, v92, v93, 1.0
	s_delay_alu instid0(VALU_DEP_1)
	v_mul_f32_e32 v92, v95, v93
	v_xor_b32_e32 v93, 0x80000000, v93
.LBB84_553:
	s_and_not1_saveexec_b32 s1, s1
	s_cbranch_execz .LBB84_555
; %bb.554:
	s_delay_alu instid0(VALU_DEP_1) | instskip(SKIP_1) | instid1(VALU_DEP_2)
	v_div_scale_f32 v95, null, v92, v92, v93
	v_div_scale_f32 v103, vcc_lo, v93, v92, v93
	v_rcp_f32_e32 v101, v95
	v_nop
	s_delay_alu instid0(TRANS32_DEP_1) | instskip(NEXT) | instid1(VALU_DEP_1)
	v_fma_f32 v102, -v95, v101, 1.0
	v_fmac_f32_e32 v101, v102, v101
	s_delay_alu instid0(VALU_DEP_1) | instskip(NEXT) | instid1(VALU_DEP_1)
	v_mul_f32_e32 v102, v103, v101
	v_fma_f32 v104, -v95, v102, v103
	s_delay_alu instid0(VALU_DEP_1) | instskip(NEXT) | instid1(VALU_DEP_1)
	v_fmac_f32_e32 v102, v104, v101
	v_fma_f32 v95, -v95, v102, v103
	s_delay_alu instid0(VALU_DEP_1) | instskip(NEXT) | instid1(VALU_DEP_1)
	v_div_fmas_f32 v95, v95, v101, v102
	v_div_fixup_f32 v95, v95, v92, v93
	s_delay_alu instid0(VALU_DEP_1) | instskip(NEXT) | instid1(VALU_DEP_1)
	v_fmac_f32_e32 v92, v93, v95
	v_div_scale_f32 v93, null, v92, v92, 1.0
	s_delay_alu instid0(VALU_DEP_1) | instskip(SKIP_1) | instid1(TRANS32_DEP_1)
	v_rcp_f32_e32 v101, v93
	v_nop
	v_fma_f32 v102, -v93, v101, 1.0
	s_delay_alu instid0(VALU_DEP_1) | instskip(SKIP_1) | instid1(VALU_DEP_1)
	v_fmac_f32_e32 v101, v102, v101
	v_div_scale_f32 v102, vcc_lo, 1.0, v92, 1.0
	v_mul_f32_e32 v103, v102, v101
	s_delay_alu instid0(VALU_DEP_1) | instskip(NEXT) | instid1(VALU_DEP_1)
	v_fma_f32 v104, -v93, v103, v102
	v_fmac_f32_e32 v103, v104, v101
	s_delay_alu instid0(VALU_DEP_1) | instskip(NEXT) | instid1(VALU_DEP_1)
	v_fma_f32 v93, -v93, v103, v102
	v_div_fmas_f32 v93, v93, v101, v103
	s_delay_alu instid0(VALU_DEP_1) | instskip(NEXT) | instid1(VALU_DEP_1)
	v_div_fixup_f32 v92, v93, v92, 1.0
	v_mul_f32_e64 v93, v95, -v92
.LBB84_555:
	s_or_b32 exec_lo, exec_lo, s1
.LBB84_556:
	s_delay_alu instid0(SALU_CYCLE_1) | instskip(NEXT) | instid1(SALU_CYCLE_1)
	s_or_b32 exec_lo, exec_lo, s0
	s_mov_b32 s0, exec_lo
	v_cmpx_ne_u32_e64 v100, v94
	s_xor_b32 s0, exec_lo, s0
	s_cbranch_execz .LBB84_562
; %bb.557:
	s_mov_b32 s1, exec_lo
	v_cmpx_eq_u32_e32 26, v100
	s_cbranch_execz .LBB84_561
; %bb.558:
	v_cmp_ne_u32_e32 vcc_lo, 26, v94
	s_xor_b32 s15, s12, -1
	s_delay_alu instid0(SALU_CYCLE_1) | instskip(NEXT) | instid1(SALU_CYCLE_1)
	s_and_b32 s16, s15, vcc_lo
	s_and_saveexec_b32 s15, s16
	s_cbranch_execz .LBB84_560
; %bb.559:
	v_ashrrev_i32_e32 v95, 31, v94
	s_delay_alu instid0(VALU_DEP_1)
	v_lshl_add_u64 v[100:101], v[94:95], 2, v[4:5]
	s_clause 0x1
	global_load_b32 v95, v[100:101], off
	global_load_b32 v99, v[4:5], off offset:104
	s_wait_loadcnt 0x1
	global_store_b32 v[4:5], v95, off offset:104
	s_wait_loadcnt 0x0
	global_store_b32 v[100:101], v99, off
.LBB84_560:
	s_wait_xcnt 0x0
	s_or_b32 exec_lo, exec_lo, s15
	v_dual_mov_b32 v100, v94 :: v_dual_mov_b32 v99, v94
.LBB84_561:
	s_or_b32 exec_lo, exec_lo, s1
.LBB84_562:
	s_and_not1_saveexec_b32 s0, s0
	s_cbranch_execz .LBB84_564
; %bb.563:
	v_mov_b32_e32 v100, 26
	ds_store_2addr_b64 v96, v[38:39], v[76:77] offset0:27 offset1:28
	ds_store_2addr_b64 v96, v[74:75], v[50:51] offset0:29 offset1:30
	ds_store_2addr_b64 v96, v[48:49], v[88:89] offset0:31 offset1:32
	ds_store_2addr_b64 v96, v[86:87], v[60:61] offset0:33 offset1:34
	ds_store_2addr_b64 v96, v[58:59], v[82:83] offset0:35 offset1:36
	ds_store_2addr_b64 v96, v[80:81], v[64:65] offset0:37 offset1:38
	ds_store_2addr_b64 v96, v[62:63], v[72:73] offset0:39 offset1:40
	ds_store_2addr_b64 v96, v[70:71], v[90:91] offset0:41 offset1:42
.LBB84_564:
	s_or_b32 exec_lo, exec_lo, s0
	s_delay_alu instid0(SALU_CYCLE_1)
	s_mov_b32 s0, exec_lo
	s_wait_storecnt_dscnt 0x0
	s_barrier_signal -1
	s_barrier_wait -1
	v_cmpx_lt_i32_e32 26, v100
	s_cbranch_execz .LBB84_566
; %bb.565:
	v_pk_mul_f32 v[102:103], v[92:93], v[40:41] op_sel:[1,1] op_sel_hi:[0,1]
	s_delay_alu instid0(VALU_DEP_1)
	v_pk_fma_f32 v[94:95], v[92:93], v[40:41], v[102:103] op_sel_hi:[1,0,1] neg_lo:[0,0,1] neg_hi:[0,0,1]
	v_pk_fma_f32 v[92:93], v[92:93], v[40:41], v[102:103] op_sel_hi:[1,0,1]
	ds_load_2addr_b64 v[102:105], v96 offset0:27 offset1:28
	v_dual_mov_b32 v40, v94 :: v_dual_mov_b32 v41, v93
	s_wait_dscnt 0x0
	v_pk_mul_f32 v[106:107], v[102:103], v[92:93] op_sel:[0,1]
	s_delay_alu instid0(VALU_DEP_1) | instskip(SKIP_1) | instid1(VALU_DEP_1)
	v_pk_fma_f32 v[108:109], v[102:103], v[94:95], v[106:107] op_sel:[0,0,1] op_sel_hi:[1,1,0] neg_lo:[0,0,1] neg_hi:[0,0,1]
	v_pk_fma_f32 v[102:103], v[102:103], v[94:95], v[106:107] op_sel:[0,0,1] op_sel_hi:[1,0,0]
	v_mov_b32_e32 v109, v103
	v_pk_mul_f32 v[102:103], v[104:105], v[92:93] op_sel:[0,1]
	s_delay_alu instid0(VALU_DEP_1) | instskip(SKIP_1) | instid1(VALU_DEP_1)
	v_pk_fma_f32 v[106:107], v[104:105], v[94:95], v[102:103] op_sel:[0,0,1] op_sel_hi:[1,1,0] neg_lo:[0,0,1] neg_hi:[0,0,1]
	v_pk_fma_f32 v[102:103], v[104:105], v[94:95], v[102:103] op_sel:[0,0,1] op_sel_hi:[1,0,0]
	v_mov_b32_e32 v107, v103
	ds_load_2addr_b64 v[102:105], v96 offset0:29 offset1:30
	v_pk_add_f32 v[38:39], v[38:39], v[108:109] neg_lo:[0,1] neg_hi:[0,1]
	v_pk_add_f32 v[76:77], v[76:77], v[106:107] neg_lo:[0,1] neg_hi:[0,1]
	s_wait_dscnt 0x0
	v_pk_mul_f32 v[106:107], v[102:103], v[92:93] op_sel:[0,1]
	s_delay_alu instid0(VALU_DEP_1) | instskip(SKIP_2) | instid1(VALU_DEP_2)
	v_pk_fma_f32 v[108:109], v[102:103], v[94:95], v[106:107] op_sel:[0,0,1] op_sel_hi:[1,1,0] neg_lo:[0,0,1] neg_hi:[0,0,1]
	v_pk_fma_f32 v[102:103], v[102:103], v[94:95], v[106:107] op_sel:[0,0,1] op_sel_hi:[1,0,0]
	v_dual_mul_f32 v106, v105, v93 :: v_dual_mov_b32 v102, v105
	v_dual_mov_b32 v109, v103 :: v_dual_mov_b32 v103, v104
	s_delay_alu instid0(VALU_DEP_2) | instskip(SKIP_1) | instid1(VALU_DEP_3)
	v_pk_fma_f32 v[106:107], v[104:105], v[40:41], v[106:107] op_sel_hi:[1,1,0] neg_lo:[0,0,1] neg_hi:[0,0,1]
	v_mul_f32_e32 v104, v105, v94
	v_pk_add_f32 v[74:75], v[74:75], v[108:109] neg_lo:[0,1] neg_hi:[0,1]
	s_delay_alu instid0(VALU_DEP_2) | instskip(NEXT) | instid1(VALU_DEP_1)
	v_pk_fma_f32 v[102:103], v[102:103], v[40:41], v[104:105] op_sel_hi:[1,1,0]
	v_mov_b32_e32 v107, v103
	ds_load_2addr_b64 v[102:105], v96 offset0:31 offset1:32
	v_pk_add_f32 v[50:51], v[50:51], v[106:107] neg_lo:[0,1] neg_hi:[0,1]
	s_wait_dscnt 0x0
	v_pk_mul_f32 v[106:107], v[102:103], v[92:93] op_sel:[0,1]
	s_delay_alu instid0(VALU_DEP_1) | instskip(SKIP_1) | instid1(VALU_DEP_1)
	v_pk_fma_f32 v[108:109], v[102:103], v[94:95], v[106:107] op_sel:[0,0,1] op_sel_hi:[1,1,0] neg_lo:[0,0,1] neg_hi:[0,0,1]
	v_pk_fma_f32 v[102:103], v[102:103], v[94:95], v[106:107] op_sel:[0,0,1] op_sel_hi:[1,0,0]
	v_mov_b32_e32 v109, v103
	v_pk_mul_f32 v[102:103], v[104:105], v[92:93] op_sel:[0,1]
	s_delay_alu instid0(VALU_DEP_1) | instskip(SKIP_1) | instid1(VALU_DEP_1)
	v_pk_fma_f32 v[106:107], v[104:105], v[94:95], v[102:103] op_sel:[0,0,1] op_sel_hi:[1,1,0] neg_lo:[0,0,1] neg_hi:[0,0,1]
	v_pk_fma_f32 v[102:103], v[104:105], v[94:95], v[102:103] op_sel:[0,0,1] op_sel_hi:[1,0,0]
	v_mov_b32_e32 v107, v103
	ds_load_2addr_b64 v[102:105], v96 offset0:33 offset1:34
	v_pk_add_f32 v[48:49], v[48:49], v[108:109] neg_lo:[0,1] neg_hi:[0,1]
	v_pk_add_f32 v[88:89], v[88:89], v[106:107] neg_lo:[0,1] neg_hi:[0,1]
	s_wait_dscnt 0x0
	v_pk_mul_f32 v[106:107], v[102:103], v[92:93] op_sel:[0,1]
	s_delay_alu instid0(VALU_DEP_1) | instskip(SKIP_1) | instid1(VALU_DEP_1)
	v_pk_fma_f32 v[108:109], v[102:103], v[94:95], v[106:107] op_sel:[0,0,1] op_sel_hi:[1,1,0] neg_lo:[0,0,1] neg_hi:[0,0,1]
	v_pk_fma_f32 v[102:103], v[102:103], v[94:95], v[106:107] op_sel:[0,0,1] op_sel_hi:[1,0,0]
	v_mov_b32_e32 v109, v103
	v_pk_mul_f32 v[102:103], v[104:105], v[92:93] op_sel:[0,1]
	s_delay_alu instid0(VALU_DEP_1) | instskip(SKIP_1) | instid1(VALU_DEP_1)
	v_pk_fma_f32 v[106:107], v[104:105], v[94:95], v[102:103] op_sel:[0,0,1] op_sel_hi:[1,1,0] neg_lo:[0,0,1] neg_hi:[0,0,1]
	v_pk_fma_f32 v[102:103], v[104:105], v[94:95], v[102:103] op_sel:[0,0,1] op_sel_hi:[1,0,0]
	v_mov_b32_e32 v107, v103
	ds_load_2addr_b64 v[102:105], v96 offset0:35 offset1:36
	v_pk_add_f32 v[86:87], v[86:87], v[108:109] neg_lo:[0,1] neg_hi:[0,1]
	v_pk_add_f32 v[60:61], v[60:61], v[106:107] neg_lo:[0,1] neg_hi:[0,1]
	s_wait_dscnt 0x0
	v_dual_mul_f32 v106, v103, v93 :: v_dual_mul_f32 v108, v103, v94
	s_delay_alu instid0(VALU_DEP_1) | instskip(NEXT) | instid1(VALU_DEP_2)
	v_pk_fma_f32 v[106:107], v[102:103], v[40:41], v[106:107] op_sel_hi:[1,1,0] neg_lo:[0,0,1] neg_hi:[0,0,1]
	v_pk_fma_f32 v[102:103], v[102:103], v[40:41], v[108:109] op_sel:[1,0,0] op_sel_hi:[0,1,0]
	s_delay_alu instid0(VALU_DEP_1) | instskip(SKIP_1) | instid1(VALU_DEP_2)
	v_mov_b32_e32 v107, v103
	v_pk_mul_f32 v[102:103], v[104:105], v[92:93] op_sel:[0,1]
	v_pk_add_f32 v[58:59], v[58:59], v[106:107] neg_lo:[0,1] neg_hi:[0,1]
	s_delay_alu instid0(VALU_DEP_2) | instskip(SKIP_1) | instid1(VALU_DEP_1)
	v_pk_fma_f32 v[106:107], v[104:105], v[94:95], v[102:103] op_sel:[0,0,1] op_sel_hi:[1,1,0] neg_lo:[0,0,1] neg_hi:[0,0,1]
	v_pk_fma_f32 v[102:103], v[104:105], v[94:95], v[102:103] op_sel:[0,0,1] op_sel_hi:[1,0,0]
	v_mov_b32_e32 v107, v103
	ds_load_2addr_b64 v[102:105], v96 offset0:37 offset1:38
	v_pk_add_f32 v[82:83], v[82:83], v[106:107] neg_lo:[0,1] neg_hi:[0,1]
	s_wait_dscnt 0x0
	v_pk_mul_f32 v[106:107], v[102:103], v[92:93] op_sel:[0,1]
	s_delay_alu instid0(VALU_DEP_1) | instskip(SKIP_1) | instid1(VALU_DEP_1)
	v_pk_fma_f32 v[108:109], v[102:103], v[94:95], v[106:107] op_sel:[0,0,1] op_sel_hi:[1,1,0] neg_lo:[0,0,1] neg_hi:[0,0,1]
	v_pk_fma_f32 v[102:103], v[102:103], v[94:95], v[106:107] op_sel:[0,0,1] op_sel_hi:[1,0,0]
	v_mov_b32_e32 v109, v103
	v_pk_mul_f32 v[102:103], v[104:105], v[92:93] op_sel:[0,1]
	s_delay_alu instid0(VALU_DEP_2) | instskip(NEXT) | instid1(VALU_DEP_2)
	v_pk_add_f32 v[80:81], v[80:81], v[108:109] neg_lo:[0,1] neg_hi:[0,1]
	v_pk_fma_f32 v[106:107], v[104:105], v[94:95], v[102:103] op_sel:[0,0,1] op_sel_hi:[1,1,0] neg_lo:[0,0,1] neg_hi:[0,0,1]
	v_pk_fma_f32 v[102:103], v[104:105], v[94:95], v[102:103] op_sel:[0,0,1] op_sel_hi:[1,0,0]
	s_delay_alu instid0(VALU_DEP_1) | instskip(SKIP_4) | instid1(VALU_DEP_1)
	v_mov_b32_e32 v107, v103
	ds_load_2addr_b64 v[102:105], v96 offset0:39 offset1:40
	v_pk_add_f32 v[64:65], v[64:65], v[106:107] neg_lo:[0,1] neg_hi:[0,1]
	s_wait_dscnt 0x0
	v_pk_mul_f32 v[106:107], v[102:103], v[92:93] op_sel:[0,1]
	v_pk_fma_f32 v[108:109], v[102:103], v[94:95], v[106:107] op_sel:[0,0,1] op_sel_hi:[1,1,0] neg_lo:[0,0,1] neg_hi:[0,0,1]
	v_pk_fma_f32 v[102:103], v[102:103], v[94:95], v[106:107] op_sel:[0,0,1] op_sel_hi:[1,0,0]
	v_dual_mul_f32 v106, v105, v93 :: v_dual_mov_b32 v102, v105
	s_delay_alu instid0(VALU_DEP_2) | instskip(NEXT) | instid1(VALU_DEP_2)
	v_dual_mov_b32 v109, v103 :: v_dual_mov_b32 v103, v104
	v_pk_fma_f32 v[106:107], v[104:105], v[40:41], v[106:107] op_sel_hi:[1,1,0] neg_lo:[0,0,1] neg_hi:[0,0,1]
	v_mul_f32_e32 v104, v105, v94
	s_delay_alu instid0(VALU_DEP_3) | instskip(NEXT) | instid1(VALU_DEP_2)
	v_pk_add_f32 v[62:63], v[62:63], v[108:109] neg_lo:[0,1] neg_hi:[0,1]
	v_pk_fma_f32 v[102:103], v[102:103], v[40:41], v[104:105] op_sel_hi:[1,1,0]
	s_delay_alu instid0(VALU_DEP_1)
	v_mov_b32_e32 v107, v103
	ds_load_2addr_b64 v[102:105], v96 offset0:41 offset1:42
	v_pk_add_f32 v[72:73], v[72:73], v[106:107] neg_lo:[0,1] neg_hi:[0,1]
	s_wait_dscnt 0x0
	v_pk_mul_f32 v[106:107], v[102:103], v[92:93] op_sel:[0,1]
	v_pk_mul_f32 v[92:93], v[104:105], v[92:93] op_sel:[0,1]
	s_delay_alu instid0(VALU_DEP_2) | instskip(SKIP_1) | instid1(VALU_DEP_1)
	v_pk_fma_f32 v[108:109], v[102:103], v[94:95], v[106:107] op_sel:[0,0,1] op_sel_hi:[1,1,0] neg_lo:[0,0,1] neg_hi:[0,0,1]
	v_pk_fma_f32 v[102:103], v[102:103], v[94:95], v[106:107] op_sel:[0,0,1] op_sel_hi:[1,0,0]
	v_mov_b32_e32 v109, v103
	s_delay_alu instid0(VALU_DEP_4) | instskip(SKIP_1) | instid1(VALU_DEP_1)
	v_pk_fma_f32 v[102:103], v[104:105], v[94:95], v[92:93] op_sel:[0,0,1] op_sel_hi:[1,1,0] neg_lo:[0,0,1] neg_hi:[0,0,1]
	v_pk_fma_f32 v[92:93], v[104:105], v[94:95], v[92:93] op_sel:[0,0,1] op_sel_hi:[1,0,0]
	v_mov_b32_e32 v103, v93
	s_delay_alu instid0(VALU_DEP_4) | instskip(NEXT) | instid1(VALU_DEP_2)
	v_pk_add_f32 v[70:71], v[70:71], v[108:109] neg_lo:[0,1] neg_hi:[0,1]
	v_pk_add_f32 v[90:91], v[90:91], v[102:103] neg_lo:[0,1] neg_hi:[0,1]
.LBB84_566:
	s_or_b32 exec_lo, exec_lo, s0
	v_lshl_add_u32 v92, v100, 3, v96
	s_barrier_signal -1
	s_barrier_wait -1
	ds_store_b64 v92, v[38:39]
	s_wait_dscnt 0x0
	s_barrier_signal -1
	s_barrier_wait -1
	ds_load_b64 v[92:93], v96 offset:216
	v_mov_b32_e32 v94, 27
	s_cmp_lt_i32 s14, 29
	s_cbranch_scc1 .LBB84_569
; %bb.567:
	v_add3_u32 v95, v97, 0, 0xe0
	v_mov_b32_e32 v94, 27
	s_mov_b32 s0, 28
.LBB84_568:                             ; =>This Inner Loop Header: Depth=1
	ds_load_b64 v[102:103], v95
	s_wait_dscnt 0x1
	v_cmp_gt_f32_e32 vcc_lo, 0, v92
	v_cndmask_b32_e64 v104, v92, -v92, vcc_lo
	v_cmp_gt_f32_e32 vcc_lo, 0, v93
	v_cndmask_b32_e64 v106, v93, -v93, vcc_lo
	s_wait_dscnt 0x0
	v_cmp_gt_f32_e32 vcc_lo, 0, v102
	v_cndmask_b32_e64 v105, v102, -v102, vcc_lo
	v_cmp_gt_f32_e32 vcc_lo, 0, v103
	v_cndmask_b32_e64 v107, v103, -v103, vcc_lo
	s_delay_alu instid0(VALU_DEP_1) | instskip(NEXT) | instid1(VALU_DEP_1)
	v_pk_add_f32 v[104:105], v[104:105], v[106:107]
	v_cmp_lt_f32_e32 vcc_lo, v104, v105
	v_dual_cndmask_b32 v92, v92, v102 :: v_dual_add_nc_u32 v95, 8, v95
	v_cndmask_b32_e32 v93, v93, v103, vcc_lo
	v_cndmask_b32_e64 v94, v94, s0, vcc_lo
	s_add_co_i32 s0, s0, 1
	s_delay_alu instid0(SALU_CYCLE_1)
	s_cmp_lg_u32 s14, s0
	s_cbranch_scc1 .LBB84_568
.LBB84_569:
	s_wait_dscnt 0x0
	v_cmp_eq_f32_e32 vcc_lo, 0, v92
	v_cmp_eq_f32_e64 s0, 0, v93
	s_and_b32 s0, vcc_lo, s0
	s_delay_alu instid0(SALU_CYCLE_1) | instskip(NEXT) | instid1(SALU_CYCLE_1)
	s_and_saveexec_b32 s1, s0
	s_xor_b32 s0, exec_lo, s1
; %bb.570:
	v_cmp_ne_u32_e32 vcc_lo, 0, v98
	v_cndmask_b32_e32 v98, 28, v98, vcc_lo
; %bb.571:
	s_and_not1_saveexec_b32 s0, s0
	s_cbranch_execz .LBB84_577
; %bb.572:
	v_cmp_ngt_f32_e64 s1, |v92|, |v93|
	s_and_saveexec_b32 s15, s1
	s_delay_alu instid0(SALU_CYCLE_1)
	s_xor_b32 s1, exec_lo, s15
	s_cbranch_execz .LBB84_574
; %bb.573:
	v_div_scale_f32 v95, null, v93, v93, v92
	v_div_scale_f32 v103, vcc_lo, v92, v93, v92
	s_delay_alu instid0(VALU_DEP_2) | instskip(SKIP_1) | instid1(TRANS32_DEP_1)
	v_rcp_f32_e32 v101, v95
	v_nop
	v_fma_f32 v102, -v95, v101, 1.0
	s_delay_alu instid0(VALU_DEP_1) | instskip(NEXT) | instid1(VALU_DEP_1)
	v_fmac_f32_e32 v101, v102, v101
	v_mul_f32_e32 v102, v103, v101
	s_delay_alu instid0(VALU_DEP_1) | instskip(NEXT) | instid1(VALU_DEP_1)
	v_fma_f32 v104, -v95, v102, v103
	v_fmac_f32_e32 v102, v104, v101
	s_delay_alu instid0(VALU_DEP_1) | instskip(NEXT) | instid1(VALU_DEP_1)
	v_fma_f32 v95, -v95, v102, v103
	v_div_fmas_f32 v95, v95, v101, v102
	s_delay_alu instid0(VALU_DEP_1) | instskip(NEXT) | instid1(VALU_DEP_1)
	v_div_fixup_f32 v95, v95, v93, v92
	v_fmac_f32_e32 v93, v92, v95
	s_delay_alu instid0(VALU_DEP_1) | instskip(SKIP_1) | instid1(VALU_DEP_2)
	v_div_scale_f32 v92, null, v93, v93, 1.0
	v_div_scale_f32 v103, vcc_lo, 1.0, v93, 1.0
	v_rcp_f32_e32 v101, v92
	v_nop
	s_delay_alu instid0(TRANS32_DEP_1) | instskip(NEXT) | instid1(VALU_DEP_1)
	v_fma_f32 v102, -v92, v101, 1.0
	v_fmac_f32_e32 v101, v102, v101
	s_delay_alu instid0(VALU_DEP_1) | instskip(NEXT) | instid1(VALU_DEP_1)
	v_mul_f32_e32 v102, v103, v101
	v_fma_f32 v104, -v92, v102, v103
	s_delay_alu instid0(VALU_DEP_1) | instskip(NEXT) | instid1(VALU_DEP_1)
	v_fmac_f32_e32 v102, v104, v101
	v_fma_f32 v92, -v92, v102, v103
	s_delay_alu instid0(VALU_DEP_1) | instskip(NEXT) | instid1(VALU_DEP_1)
	v_div_fmas_f32 v92, v92, v101, v102
	v_div_fixup_f32 v93, v92, v93, 1.0
	s_delay_alu instid0(VALU_DEP_1)
	v_mul_f32_e32 v92, v95, v93
	v_xor_b32_e32 v93, 0x80000000, v93
.LBB84_574:
	s_and_not1_saveexec_b32 s1, s1
	s_cbranch_execz .LBB84_576
; %bb.575:
	s_delay_alu instid0(VALU_DEP_1) | instskip(SKIP_1) | instid1(VALU_DEP_2)
	v_div_scale_f32 v95, null, v92, v92, v93
	v_div_scale_f32 v103, vcc_lo, v93, v92, v93
	v_rcp_f32_e32 v101, v95
	v_nop
	s_delay_alu instid0(TRANS32_DEP_1) | instskip(NEXT) | instid1(VALU_DEP_1)
	v_fma_f32 v102, -v95, v101, 1.0
	v_fmac_f32_e32 v101, v102, v101
	s_delay_alu instid0(VALU_DEP_1) | instskip(NEXT) | instid1(VALU_DEP_1)
	v_mul_f32_e32 v102, v103, v101
	v_fma_f32 v104, -v95, v102, v103
	s_delay_alu instid0(VALU_DEP_1) | instskip(NEXT) | instid1(VALU_DEP_1)
	v_fmac_f32_e32 v102, v104, v101
	v_fma_f32 v95, -v95, v102, v103
	s_delay_alu instid0(VALU_DEP_1) | instskip(NEXT) | instid1(VALU_DEP_1)
	v_div_fmas_f32 v95, v95, v101, v102
	v_div_fixup_f32 v95, v95, v92, v93
	s_delay_alu instid0(VALU_DEP_1) | instskip(NEXT) | instid1(VALU_DEP_1)
	v_fmac_f32_e32 v92, v93, v95
	v_div_scale_f32 v93, null, v92, v92, 1.0
	s_delay_alu instid0(VALU_DEP_1) | instskip(SKIP_1) | instid1(TRANS32_DEP_1)
	v_rcp_f32_e32 v101, v93
	v_nop
	v_fma_f32 v102, -v93, v101, 1.0
	s_delay_alu instid0(VALU_DEP_1) | instskip(SKIP_1) | instid1(VALU_DEP_1)
	v_fmac_f32_e32 v101, v102, v101
	v_div_scale_f32 v102, vcc_lo, 1.0, v92, 1.0
	v_mul_f32_e32 v103, v102, v101
	s_delay_alu instid0(VALU_DEP_1) | instskip(NEXT) | instid1(VALU_DEP_1)
	v_fma_f32 v104, -v93, v103, v102
	v_fmac_f32_e32 v103, v104, v101
	s_delay_alu instid0(VALU_DEP_1) | instskip(NEXT) | instid1(VALU_DEP_1)
	v_fma_f32 v93, -v93, v103, v102
	v_div_fmas_f32 v93, v93, v101, v103
	s_delay_alu instid0(VALU_DEP_1) | instskip(NEXT) | instid1(VALU_DEP_1)
	v_div_fixup_f32 v92, v93, v92, 1.0
	v_mul_f32_e64 v93, v95, -v92
.LBB84_576:
	s_or_b32 exec_lo, exec_lo, s1
.LBB84_577:
	s_delay_alu instid0(SALU_CYCLE_1) | instskip(NEXT) | instid1(SALU_CYCLE_1)
	s_or_b32 exec_lo, exec_lo, s0
	s_mov_b32 s0, exec_lo
	v_cmpx_ne_u32_e64 v100, v94
	s_xor_b32 s0, exec_lo, s0
	s_cbranch_execz .LBB84_583
; %bb.578:
	s_mov_b32 s1, exec_lo
	v_cmpx_eq_u32_e32 27, v100
	s_cbranch_execz .LBB84_582
; %bb.579:
	v_cmp_ne_u32_e32 vcc_lo, 27, v94
	s_xor_b32 s15, s12, -1
	s_delay_alu instid0(SALU_CYCLE_1) | instskip(NEXT) | instid1(SALU_CYCLE_1)
	s_and_b32 s16, s15, vcc_lo
	s_and_saveexec_b32 s15, s16
	s_cbranch_execz .LBB84_581
; %bb.580:
	v_ashrrev_i32_e32 v95, 31, v94
	s_delay_alu instid0(VALU_DEP_1)
	v_lshl_add_u64 v[100:101], v[94:95], 2, v[4:5]
	s_clause 0x1
	global_load_b32 v95, v[100:101], off
	global_load_b32 v99, v[4:5], off offset:108
	s_wait_loadcnt 0x1
	global_store_b32 v[4:5], v95, off offset:108
	s_wait_loadcnt 0x0
	global_store_b32 v[100:101], v99, off
.LBB84_581:
	s_wait_xcnt 0x0
	s_or_b32 exec_lo, exec_lo, s15
	v_dual_mov_b32 v100, v94 :: v_dual_mov_b32 v99, v94
.LBB84_582:
	s_or_b32 exec_lo, exec_lo, s1
.LBB84_583:
	s_and_not1_saveexec_b32 s0, s0
	s_cbranch_execz .LBB84_585
; %bb.584:
	v_dual_mov_b32 v94, v76 :: v_dual_mov_b32 v95, v77
	v_dual_mov_b32 v100, v74 :: v_dual_mov_b32 v101, v75
	ds_store_2addr_b64 v96, v[94:95], v[100:101] offset0:28 offset1:29
	v_dual_mov_b32 v94, v50 :: v_dual_mov_b32 v95, v51
	v_dual_mov_b32 v100, v48 :: v_dual_mov_b32 v101, v49
	ds_store_2addr_b64 v96, v[94:95], v[100:101] offset0:30 offset1:31
	;; [unrolled: 3-line block ×7, first 2 shown]
	ds_store_b64 v96, v[90:91] offset:336
	v_mov_b32_e32 v100, 27
.LBB84_585:
	s_or_b32 exec_lo, exec_lo, s0
	s_delay_alu instid0(SALU_CYCLE_1)
	s_mov_b32 s0, exec_lo
	s_wait_storecnt_dscnt 0x0
	s_barrier_signal -1
	s_barrier_wait -1
	v_cmpx_lt_i32_e32 27, v100
	s_cbranch_execz .LBB84_587
; %bb.586:
	v_pk_mul_f32 v[102:103], v[92:93], v[38:39] op_sel:[1,1] op_sel_hi:[0,1]
	s_delay_alu instid0(VALU_DEP_1)
	v_pk_fma_f32 v[94:95], v[92:93], v[38:39], v[102:103] op_sel_hi:[1,0,1] neg_lo:[0,0,1] neg_hi:[0,0,1]
	v_pk_fma_f32 v[92:93], v[92:93], v[38:39], v[102:103] op_sel_hi:[1,0,1]
	ds_load_2addr_b64 v[102:105], v96 offset0:28 offset1:29
	v_dual_mov_b32 v38, v94 :: v_dual_mov_b32 v39, v93
	s_wait_dscnt 0x0
	v_pk_mul_f32 v[106:107], v[102:103], v[92:93] op_sel:[0,1]
	s_delay_alu instid0(VALU_DEP_1) | instskip(SKIP_1) | instid1(VALU_DEP_1)
	v_pk_fma_f32 v[108:109], v[102:103], v[94:95], v[106:107] op_sel:[0,0,1] op_sel_hi:[1,1,0] neg_lo:[0,0,1] neg_hi:[0,0,1]
	v_pk_fma_f32 v[102:103], v[102:103], v[94:95], v[106:107] op_sel:[0,0,1] op_sel_hi:[1,0,0]
	v_mov_b32_e32 v109, v103
	v_pk_mul_f32 v[102:103], v[104:105], v[92:93] op_sel:[0,1]
	s_delay_alu instid0(VALU_DEP_1) | instskip(SKIP_1) | instid1(VALU_DEP_1)
	v_pk_fma_f32 v[106:107], v[104:105], v[94:95], v[102:103] op_sel:[0,0,1] op_sel_hi:[1,1,0] neg_lo:[0,0,1] neg_hi:[0,0,1]
	v_pk_fma_f32 v[102:103], v[104:105], v[94:95], v[102:103] op_sel:[0,0,1] op_sel_hi:[1,0,0]
	v_mov_b32_e32 v107, v103
	ds_load_2addr_b64 v[102:105], v96 offset0:30 offset1:31
	v_pk_add_f32 v[76:77], v[76:77], v[108:109] neg_lo:[0,1] neg_hi:[0,1]
	v_pk_add_f32 v[74:75], v[74:75], v[106:107] neg_lo:[0,1] neg_hi:[0,1]
	s_wait_dscnt 0x0
	v_pk_mul_f32 v[106:107], v[102:103], v[92:93] op_sel:[0,1]
	s_delay_alu instid0(VALU_DEP_1) | instskip(SKIP_2) | instid1(VALU_DEP_2)
	v_pk_fma_f32 v[108:109], v[102:103], v[94:95], v[106:107] op_sel:[0,0,1] op_sel_hi:[1,1,0] neg_lo:[0,0,1] neg_hi:[0,0,1]
	v_pk_fma_f32 v[102:103], v[102:103], v[94:95], v[106:107] op_sel:[0,0,1] op_sel_hi:[1,0,0]
	v_dual_mul_f32 v106, v105, v93 :: v_dual_mov_b32 v102, v105
	v_dual_mov_b32 v109, v103 :: v_dual_mov_b32 v103, v104
	s_delay_alu instid0(VALU_DEP_2) | instskip(SKIP_1) | instid1(VALU_DEP_3)
	v_pk_fma_f32 v[106:107], v[104:105], v[38:39], v[106:107] op_sel_hi:[1,1,0] neg_lo:[0,0,1] neg_hi:[0,0,1]
	v_mul_f32_e32 v104, v105, v94
	v_pk_add_f32 v[50:51], v[50:51], v[108:109] neg_lo:[0,1] neg_hi:[0,1]
	s_delay_alu instid0(VALU_DEP_2) | instskip(NEXT) | instid1(VALU_DEP_1)
	v_pk_fma_f32 v[102:103], v[102:103], v[38:39], v[104:105] op_sel_hi:[1,1,0]
	v_mov_b32_e32 v107, v103
	ds_load_2addr_b64 v[102:105], v96 offset0:32 offset1:33
	v_pk_add_f32 v[48:49], v[48:49], v[106:107] neg_lo:[0,1] neg_hi:[0,1]
	s_wait_dscnt 0x0
	v_pk_mul_f32 v[106:107], v[102:103], v[92:93] op_sel:[0,1]
	s_delay_alu instid0(VALU_DEP_1) | instskip(SKIP_1) | instid1(VALU_DEP_1)
	v_pk_fma_f32 v[108:109], v[102:103], v[94:95], v[106:107] op_sel:[0,0,1] op_sel_hi:[1,1,0] neg_lo:[0,0,1] neg_hi:[0,0,1]
	v_pk_fma_f32 v[102:103], v[102:103], v[94:95], v[106:107] op_sel:[0,0,1] op_sel_hi:[1,0,0]
	v_mov_b32_e32 v109, v103
	v_pk_mul_f32 v[102:103], v[104:105], v[92:93] op_sel:[0,1]
	s_delay_alu instid0(VALU_DEP_1) | instskip(SKIP_1) | instid1(VALU_DEP_1)
	v_pk_fma_f32 v[106:107], v[104:105], v[94:95], v[102:103] op_sel:[0,0,1] op_sel_hi:[1,1,0] neg_lo:[0,0,1] neg_hi:[0,0,1]
	v_pk_fma_f32 v[102:103], v[104:105], v[94:95], v[102:103] op_sel:[0,0,1] op_sel_hi:[1,0,0]
	v_mov_b32_e32 v107, v103
	ds_load_2addr_b64 v[102:105], v96 offset0:34 offset1:35
	v_pk_add_f32 v[88:89], v[88:89], v[108:109] neg_lo:[0,1] neg_hi:[0,1]
	v_pk_add_f32 v[86:87], v[86:87], v[106:107] neg_lo:[0,1] neg_hi:[0,1]
	s_wait_dscnt 0x0
	v_pk_mul_f32 v[106:107], v[102:103], v[92:93] op_sel:[0,1]
	s_delay_alu instid0(VALU_DEP_1) | instskip(SKIP_1) | instid1(VALU_DEP_1)
	v_pk_fma_f32 v[108:109], v[102:103], v[94:95], v[106:107] op_sel:[0,0,1] op_sel_hi:[1,1,0] neg_lo:[0,0,1] neg_hi:[0,0,1]
	v_pk_fma_f32 v[102:103], v[102:103], v[94:95], v[106:107] op_sel:[0,0,1] op_sel_hi:[1,0,0]
	v_mov_b32_e32 v109, v103
	v_pk_mul_f32 v[102:103], v[104:105], v[92:93] op_sel:[0,1]
	s_delay_alu instid0(VALU_DEP_1) | instskip(SKIP_1) | instid1(VALU_DEP_1)
	v_pk_fma_f32 v[106:107], v[104:105], v[94:95], v[102:103] op_sel:[0,0,1] op_sel_hi:[1,1,0] neg_lo:[0,0,1] neg_hi:[0,0,1]
	v_pk_fma_f32 v[102:103], v[104:105], v[94:95], v[102:103] op_sel:[0,0,1] op_sel_hi:[1,0,0]
	v_mov_b32_e32 v107, v103
	ds_load_2addr_b64 v[102:105], v96 offset0:36 offset1:37
	v_pk_add_f32 v[60:61], v[60:61], v[108:109] neg_lo:[0,1] neg_hi:[0,1]
	v_pk_add_f32 v[58:59], v[58:59], v[106:107] neg_lo:[0,1] neg_hi:[0,1]
	s_wait_dscnt 0x0
	v_dual_mul_f32 v106, v103, v93 :: v_dual_mul_f32 v108, v103, v94
	s_delay_alu instid0(VALU_DEP_1) | instskip(NEXT) | instid1(VALU_DEP_2)
	v_pk_fma_f32 v[106:107], v[102:103], v[38:39], v[106:107] op_sel_hi:[1,1,0] neg_lo:[0,0,1] neg_hi:[0,0,1]
	v_pk_fma_f32 v[102:103], v[102:103], v[38:39], v[108:109] op_sel:[1,0,0] op_sel_hi:[0,1,0]
	s_delay_alu instid0(VALU_DEP_1) | instskip(SKIP_1) | instid1(VALU_DEP_2)
	v_mov_b32_e32 v107, v103
	v_pk_mul_f32 v[102:103], v[104:105], v[92:93] op_sel:[0,1]
	v_pk_add_f32 v[82:83], v[82:83], v[106:107] neg_lo:[0,1] neg_hi:[0,1]
	s_delay_alu instid0(VALU_DEP_2) | instskip(SKIP_1) | instid1(VALU_DEP_1)
	v_pk_fma_f32 v[106:107], v[104:105], v[94:95], v[102:103] op_sel:[0,0,1] op_sel_hi:[1,1,0] neg_lo:[0,0,1] neg_hi:[0,0,1]
	v_pk_fma_f32 v[102:103], v[104:105], v[94:95], v[102:103] op_sel:[0,0,1] op_sel_hi:[1,0,0]
	v_mov_b32_e32 v107, v103
	ds_load_2addr_b64 v[102:105], v96 offset0:38 offset1:39
	v_pk_add_f32 v[80:81], v[80:81], v[106:107] neg_lo:[0,1] neg_hi:[0,1]
	s_wait_dscnt 0x0
	v_pk_mul_f32 v[106:107], v[102:103], v[92:93] op_sel:[0,1]
	s_delay_alu instid0(VALU_DEP_1) | instskip(SKIP_1) | instid1(VALU_DEP_1)
	v_pk_fma_f32 v[108:109], v[102:103], v[94:95], v[106:107] op_sel:[0,0,1] op_sel_hi:[1,1,0] neg_lo:[0,0,1] neg_hi:[0,0,1]
	v_pk_fma_f32 v[102:103], v[102:103], v[94:95], v[106:107] op_sel:[0,0,1] op_sel_hi:[1,0,0]
	v_mov_b32_e32 v109, v103
	v_pk_mul_f32 v[102:103], v[104:105], v[92:93] op_sel:[0,1]
	s_delay_alu instid0(VALU_DEP_2) | instskip(NEXT) | instid1(VALU_DEP_2)
	v_pk_add_f32 v[64:65], v[64:65], v[108:109] neg_lo:[0,1] neg_hi:[0,1]
	v_pk_fma_f32 v[106:107], v[104:105], v[94:95], v[102:103] op_sel:[0,0,1] op_sel_hi:[1,1,0] neg_lo:[0,0,1] neg_hi:[0,0,1]
	v_pk_fma_f32 v[102:103], v[104:105], v[94:95], v[102:103] op_sel:[0,0,1] op_sel_hi:[1,0,0]
	s_delay_alu instid0(VALU_DEP_1) | instskip(SKIP_4) | instid1(VALU_DEP_1)
	v_mov_b32_e32 v107, v103
	ds_load_2addr_b64 v[102:105], v96 offset0:40 offset1:41
	v_pk_add_f32 v[62:63], v[62:63], v[106:107] neg_lo:[0,1] neg_hi:[0,1]
	s_wait_dscnt 0x0
	v_pk_mul_f32 v[106:107], v[102:103], v[92:93] op_sel:[0,1]
	v_pk_fma_f32 v[108:109], v[102:103], v[94:95], v[106:107] op_sel:[0,0,1] op_sel_hi:[1,1,0] neg_lo:[0,0,1] neg_hi:[0,0,1]
	v_pk_fma_f32 v[102:103], v[102:103], v[94:95], v[106:107] op_sel:[0,0,1] op_sel_hi:[1,0,0]
	v_dual_mul_f32 v106, v105, v93 :: v_dual_mov_b32 v102, v105
	s_delay_alu instid0(VALU_DEP_2) | instskip(NEXT) | instid1(VALU_DEP_2)
	v_dual_mov_b32 v109, v103 :: v_dual_mov_b32 v103, v104
	v_pk_fma_f32 v[106:107], v[104:105], v[38:39], v[106:107] op_sel_hi:[1,1,0] neg_lo:[0,0,1] neg_hi:[0,0,1]
	v_mul_f32_e32 v104, v105, v94
	s_delay_alu instid0(VALU_DEP_3) | instskip(NEXT) | instid1(VALU_DEP_2)
	v_pk_add_f32 v[72:73], v[72:73], v[108:109] neg_lo:[0,1] neg_hi:[0,1]
	v_pk_fma_f32 v[102:103], v[102:103], v[38:39], v[104:105] op_sel_hi:[1,1,0]
	s_delay_alu instid0(VALU_DEP_1) | instskip(SKIP_4) | instid1(VALU_DEP_1)
	v_mov_b32_e32 v107, v103
	ds_load_b64 v[102:103], v96 offset:336
	v_pk_add_f32 v[70:71], v[70:71], v[106:107] neg_lo:[0,1] neg_hi:[0,1]
	s_wait_dscnt 0x0
	v_pk_mul_f32 v[92:93], v[102:103], v[92:93] op_sel:[0,1]
	v_pk_fma_f32 v[104:105], v[102:103], v[94:95], v[92:93] op_sel:[0,0,1] op_sel_hi:[1,1,0] neg_lo:[0,0,1] neg_hi:[0,0,1]
	v_pk_fma_f32 v[92:93], v[102:103], v[94:95], v[92:93] op_sel:[0,0,1] op_sel_hi:[1,0,0]
	s_delay_alu instid0(VALU_DEP_1) | instskip(NEXT) | instid1(VALU_DEP_1)
	v_mov_b32_e32 v105, v93
	v_pk_add_f32 v[90:91], v[90:91], v[104:105] neg_lo:[0,1] neg_hi:[0,1]
.LBB84_587:
	s_or_b32 exec_lo, exec_lo, s0
	v_lshl_add_u32 v92, v100, 3, v96
	s_barrier_signal -1
	s_barrier_wait -1
	ds_store_b64 v92, v[76:77]
	s_wait_dscnt 0x0
	s_barrier_signal -1
	s_barrier_wait -1
	ds_load_b64 v[92:93], v96 offset:224
	v_mov_b32_e32 v94, 28
	s_cmp_lt_i32 s14, 30
	s_cbranch_scc1 .LBB84_590
; %bb.588:
	v_add3_u32 v95, v97, 0, 0xe8
	v_mov_b32_e32 v94, 28
	s_mov_b32 s0, 29
.LBB84_589:                             ; =>This Inner Loop Header: Depth=1
	ds_load_b64 v[102:103], v95
	s_wait_dscnt 0x1
	v_cmp_gt_f32_e32 vcc_lo, 0, v92
	v_cndmask_b32_e64 v104, v92, -v92, vcc_lo
	v_cmp_gt_f32_e32 vcc_lo, 0, v93
	v_cndmask_b32_e64 v106, v93, -v93, vcc_lo
	s_wait_dscnt 0x0
	v_cmp_gt_f32_e32 vcc_lo, 0, v102
	v_cndmask_b32_e64 v105, v102, -v102, vcc_lo
	v_cmp_gt_f32_e32 vcc_lo, 0, v103
	v_cndmask_b32_e64 v107, v103, -v103, vcc_lo
	s_delay_alu instid0(VALU_DEP_1) | instskip(NEXT) | instid1(VALU_DEP_1)
	v_pk_add_f32 v[104:105], v[104:105], v[106:107]
	v_cmp_lt_f32_e32 vcc_lo, v104, v105
	v_dual_cndmask_b32 v92, v92, v102 :: v_dual_add_nc_u32 v95, 8, v95
	v_cndmask_b32_e32 v93, v93, v103, vcc_lo
	v_cndmask_b32_e64 v94, v94, s0, vcc_lo
	s_add_co_i32 s0, s0, 1
	s_delay_alu instid0(SALU_CYCLE_1)
	s_cmp_lg_u32 s14, s0
	s_cbranch_scc1 .LBB84_589
.LBB84_590:
	s_wait_dscnt 0x0
	v_cmp_eq_f32_e32 vcc_lo, 0, v92
	v_cmp_eq_f32_e64 s0, 0, v93
	s_and_b32 s0, vcc_lo, s0
	s_delay_alu instid0(SALU_CYCLE_1) | instskip(NEXT) | instid1(SALU_CYCLE_1)
	s_and_saveexec_b32 s1, s0
	s_xor_b32 s0, exec_lo, s1
; %bb.591:
	v_cmp_ne_u32_e32 vcc_lo, 0, v98
	v_cndmask_b32_e32 v98, 29, v98, vcc_lo
; %bb.592:
	s_and_not1_saveexec_b32 s0, s0
	s_cbranch_execz .LBB84_598
; %bb.593:
	v_cmp_ngt_f32_e64 s1, |v92|, |v93|
	s_and_saveexec_b32 s15, s1
	s_delay_alu instid0(SALU_CYCLE_1)
	s_xor_b32 s1, exec_lo, s15
	s_cbranch_execz .LBB84_595
; %bb.594:
	v_div_scale_f32 v95, null, v93, v93, v92
	v_div_scale_f32 v103, vcc_lo, v92, v93, v92
	s_delay_alu instid0(VALU_DEP_2) | instskip(SKIP_1) | instid1(TRANS32_DEP_1)
	v_rcp_f32_e32 v101, v95
	v_nop
	v_fma_f32 v102, -v95, v101, 1.0
	s_delay_alu instid0(VALU_DEP_1) | instskip(NEXT) | instid1(VALU_DEP_1)
	v_fmac_f32_e32 v101, v102, v101
	v_mul_f32_e32 v102, v103, v101
	s_delay_alu instid0(VALU_DEP_1) | instskip(NEXT) | instid1(VALU_DEP_1)
	v_fma_f32 v104, -v95, v102, v103
	v_fmac_f32_e32 v102, v104, v101
	s_delay_alu instid0(VALU_DEP_1) | instskip(NEXT) | instid1(VALU_DEP_1)
	v_fma_f32 v95, -v95, v102, v103
	v_div_fmas_f32 v95, v95, v101, v102
	s_delay_alu instid0(VALU_DEP_1) | instskip(NEXT) | instid1(VALU_DEP_1)
	v_div_fixup_f32 v95, v95, v93, v92
	v_fmac_f32_e32 v93, v92, v95
	s_delay_alu instid0(VALU_DEP_1) | instskip(SKIP_1) | instid1(VALU_DEP_2)
	v_div_scale_f32 v92, null, v93, v93, 1.0
	v_div_scale_f32 v103, vcc_lo, 1.0, v93, 1.0
	v_rcp_f32_e32 v101, v92
	v_nop
	s_delay_alu instid0(TRANS32_DEP_1) | instskip(NEXT) | instid1(VALU_DEP_1)
	v_fma_f32 v102, -v92, v101, 1.0
	v_fmac_f32_e32 v101, v102, v101
	s_delay_alu instid0(VALU_DEP_1) | instskip(NEXT) | instid1(VALU_DEP_1)
	v_mul_f32_e32 v102, v103, v101
	v_fma_f32 v104, -v92, v102, v103
	s_delay_alu instid0(VALU_DEP_1) | instskip(NEXT) | instid1(VALU_DEP_1)
	v_fmac_f32_e32 v102, v104, v101
	v_fma_f32 v92, -v92, v102, v103
	s_delay_alu instid0(VALU_DEP_1) | instskip(NEXT) | instid1(VALU_DEP_1)
	v_div_fmas_f32 v92, v92, v101, v102
	v_div_fixup_f32 v93, v92, v93, 1.0
	s_delay_alu instid0(VALU_DEP_1)
	v_mul_f32_e32 v92, v95, v93
	v_xor_b32_e32 v93, 0x80000000, v93
.LBB84_595:
	s_and_not1_saveexec_b32 s1, s1
	s_cbranch_execz .LBB84_597
; %bb.596:
	s_delay_alu instid0(VALU_DEP_1) | instskip(SKIP_1) | instid1(VALU_DEP_2)
	v_div_scale_f32 v95, null, v92, v92, v93
	v_div_scale_f32 v103, vcc_lo, v93, v92, v93
	v_rcp_f32_e32 v101, v95
	v_nop
	s_delay_alu instid0(TRANS32_DEP_1) | instskip(NEXT) | instid1(VALU_DEP_1)
	v_fma_f32 v102, -v95, v101, 1.0
	v_fmac_f32_e32 v101, v102, v101
	s_delay_alu instid0(VALU_DEP_1) | instskip(NEXT) | instid1(VALU_DEP_1)
	v_mul_f32_e32 v102, v103, v101
	v_fma_f32 v104, -v95, v102, v103
	s_delay_alu instid0(VALU_DEP_1) | instskip(NEXT) | instid1(VALU_DEP_1)
	v_fmac_f32_e32 v102, v104, v101
	v_fma_f32 v95, -v95, v102, v103
	s_delay_alu instid0(VALU_DEP_1) | instskip(NEXT) | instid1(VALU_DEP_1)
	v_div_fmas_f32 v95, v95, v101, v102
	v_div_fixup_f32 v95, v95, v92, v93
	s_delay_alu instid0(VALU_DEP_1) | instskip(NEXT) | instid1(VALU_DEP_1)
	v_fmac_f32_e32 v92, v93, v95
	v_div_scale_f32 v93, null, v92, v92, 1.0
	s_delay_alu instid0(VALU_DEP_1) | instskip(SKIP_1) | instid1(TRANS32_DEP_1)
	v_rcp_f32_e32 v101, v93
	v_nop
	v_fma_f32 v102, -v93, v101, 1.0
	s_delay_alu instid0(VALU_DEP_1) | instskip(SKIP_1) | instid1(VALU_DEP_1)
	v_fmac_f32_e32 v101, v102, v101
	v_div_scale_f32 v102, vcc_lo, 1.0, v92, 1.0
	v_mul_f32_e32 v103, v102, v101
	s_delay_alu instid0(VALU_DEP_1) | instskip(NEXT) | instid1(VALU_DEP_1)
	v_fma_f32 v104, -v93, v103, v102
	v_fmac_f32_e32 v103, v104, v101
	s_delay_alu instid0(VALU_DEP_1) | instskip(NEXT) | instid1(VALU_DEP_1)
	v_fma_f32 v93, -v93, v103, v102
	v_div_fmas_f32 v93, v93, v101, v103
	s_delay_alu instid0(VALU_DEP_1) | instskip(NEXT) | instid1(VALU_DEP_1)
	v_div_fixup_f32 v92, v93, v92, 1.0
	v_mul_f32_e64 v93, v95, -v92
.LBB84_597:
	s_or_b32 exec_lo, exec_lo, s1
.LBB84_598:
	s_delay_alu instid0(SALU_CYCLE_1) | instskip(NEXT) | instid1(SALU_CYCLE_1)
	s_or_b32 exec_lo, exec_lo, s0
	s_mov_b32 s0, exec_lo
	v_cmpx_ne_u32_e64 v100, v94
	s_xor_b32 s0, exec_lo, s0
	s_cbranch_execz .LBB84_604
; %bb.599:
	s_mov_b32 s1, exec_lo
	v_cmpx_eq_u32_e32 28, v100
	s_cbranch_execz .LBB84_603
; %bb.600:
	v_cmp_ne_u32_e32 vcc_lo, 28, v94
	s_xor_b32 s15, s12, -1
	s_delay_alu instid0(SALU_CYCLE_1) | instskip(NEXT) | instid1(SALU_CYCLE_1)
	s_and_b32 s16, s15, vcc_lo
	s_and_saveexec_b32 s15, s16
	s_cbranch_execz .LBB84_602
; %bb.601:
	v_ashrrev_i32_e32 v95, 31, v94
	s_delay_alu instid0(VALU_DEP_1)
	v_lshl_add_u64 v[100:101], v[94:95], 2, v[4:5]
	s_clause 0x1
	global_load_b32 v95, v[100:101], off
	global_load_b32 v99, v[4:5], off offset:112
	s_wait_loadcnt 0x1
	global_store_b32 v[4:5], v95, off offset:112
	s_wait_loadcnt 0x0
	global_store_b32 v[100:101], v99, off
.LBB84_602:
	s_wait_xcnt 0x0
	s_or_b32 exec_lo, exec_lo, s15
	v_dual_mov_b32 v100, v94 :: v_dual_mov_b32 v99, v94
.LBB84_603:
	s_or_b32 exec_lo, exec_lo, s1
.LBB84_604:
	s_and_not1_saveexec_b32 s0, s0
	s_cbranch_execz .LBB84_606
; %bb.605:
	v_mov_b32_e32 v100, 28
	ds_store_2addr_b64 v96, v[74:75], v[50:51] offset0:29 offset1:30
	ds_store_2addr_b64 v96, v[48:49], v[88:89] offset0:31 offset1:32
	;; [unrolled: 1-line block ×7, first 2 shown]
.LBB84_606:
	s_or_b32 exec_lo, exec_lo, s0
	s_delay_alu instid0(SALU_CYCLE_1)
	s_mov_b32 s0, exec_lo
	s_wait_storecnt_dscnt 0x0
	s_barrier_signal -1
	s_barrier_wait -1
	v_cmpx_lt_i32_e32 28, v100
	s_cbranch_execz .LBB84_608
; %bb.607:
	v_pk_mul_f32 v[94:95], v[92:93], v[76:77] op_sel:[1,1] op_sel_hi:[0,1]
	s_delay_alu instid0(VALU_DEP_1)
	v_pk_fma_f32 v[102:103], v[92:93], v[76:77], v[94:95] op_sel_hi:[1,0,1] neg_lo:[0,0,1] neg_hi:[0,0,1]
	v_pk_fma_f32 v[104:105], v[92:93], v[76:77], v[94:95] op_sel_hi:[1,0,1]
	ds_load_2addr_b64 v[92:95], v96 offset0:29 offset1:30
	v_dual_mov_b32 v76, v102 :: v_dual_mov_b32 v77, v105
	s_wait_dscnt 0x0
	v_pk_mul_f32 v[106:107], v[92:93], v[104:105] op_sel:[0,1]
	s_delay_alu instid0(VALU_DEP_1) | instskip(SKIP_1) | instid1(VALU_DEP_1)
	v_pk_fma_f32 v[108:109], v[92:93], v[102:103], v[106:107] op_sel:[0,0,1] op_sel_hi:[1,1,0] neg_lo:[0,0,1] neg_hi:[0,0,1]
	v_pk_fma_f32 v[92:93], v[92:93], v[102:103], v[106:107] op_sel:[0,0,1] op_sel_hi:[1,0,0]
	v_mov_b32_e32 v109, v93
	v_pk_mul_f32 v[92:93], v[94:95], v[104:105] op_sel:[0,1]
	s_delay_alu instid0(VALU_DEP_1) | instskip(SKIP_1) | instid1(VALU_DEP_1)
	v_pk_fma_f32 v[106:107], v[94:95], v[102:103], v[92:93] op_sel:[0,0,1] op_sel_hi:[1,1,0] neg_lo:[0,0,1] neg_hi:[0,0,1]
	v_pk_fma_f32 v[92:93], v[94:95], v[102:103], v[92:93] op_sel:[0,0,1] op_sel_hi:[1,0,0]
	v_mov_b32_e32 v107, v93
	ds_load_2addr_b64 v[92:95], v96 offset0:31 offset1:32
	v_pk_add_f32 v[74:75], v[74:75], v[108:109] neg_lo:[0,1] neg_hi:[0,1]
	v_pk_add_f32 v[50:51], v[50:51], v[106:107] neg_lo:[0,1] neg_hi:[0,1]
	s_wait_dscnt 0x0
	v_pk_mul_f32 v[106:107], v[92:93], v[104:105] op_sel:[0,1]
	s_delay_alu instid0(VALU_DEP_1) | instskip(SKIP_2) | instid1(VALU_DEP_2)
	v_pk_fma_f32 v[108:109], v[92:93], v[102:103], v[106:107] op_sel:[0,0,1] op_sel_hi:[1,1,0] neg_lo:[0,0,1] neg_hi:[0,0,1]
	v_pk_fma_f32 v[92:93], v[92:93], v[102:103], v[106:107] op_sel:[0,0,1] op_sel_hi:[1,0,0]
	v_dual_mul_f32 v106, v95, v105 :: v_dual_mov_b32 v92, v95
	v_dual_mov_b32 v109, v93 :: v_dual_mov_b32 v93, v94
	s_delay_alu instid0(VALU_DEP_2) | instskip(SKIP_1) | instid1(VALU_DEP_3)
	v_pk_fma_f32 v[106:107], v[94:95], v[76:77], v[106:107] op_sel_hi:[1,1,0] neg_lo:[0,0,1] neg_hi:[0,0,1]
	v_mul_f32_e32 v94, v95, v102
	v_pk_add_f32 v[48:49], v[48:49], v[108:109] neg_lo:[0,1] neg_hi:[0,1]
	s_delay_alu instid0(VALU_DEP_2) | instskip(NEXT) | instid1(VALU_DEP_1)
	v_pk_fma_f32 v[92:93], v[92:93], v[76:77], v[94:95] op_sel_hi:[1,1,0]
	v_mov_b32_e32 v107, v93
	ds_load_2addr_b64 v[92:95], v96 offset0:33 offset1:34
	v_pk_add_f32 v[88:89], v[88:89], v[106:107] neg_lo:[0,1] neg_hi:[0,1]
	s_wait_dscnt 0x0
	v_pk_mul_f32 v[106:107], v[92:93], v[104:105] op_sel:[0,1]
	s_delay_alu instid0(VALU_DEP_1) | instskip(SKIP_1) | instid1(VALU_DEP_1)
	v_pk_fma_f32 v[108:109], v[92:93], v[102:103], v[106:107] op_sel:[0,0,1] op_sel_hi:[1,1,0] neg_lo:[0,0,1] neg_hi:[0,0,1]
	v_pk_fma_f32 v[92:93], v[92:93], v[102:103], v[106:107] op_sel:[0,0,1] op_sel_hi:[1,0,0]
	v_mov_b32_e32 v109, v93
	v_pk_mul_f32 v[92:93], v[94:95], v[104:105] op_sel:[0,1]
	s_delay_alu instid0(VALU_DEP_1) | instskip(SKIP_1) | instid1(VALU_DEP_1)
	v_pk_fma_f32 v[106:107], v[94:95], v[102:103], v[92:93] op_sel:[0,0,1] op_sel_hi:[1,1,0] neg_lo:[0,0,1] neg_hi:[0,0,1]
	v_pk_fma_f32 v[92:93], v[94:95], v[102:103], v[92:93] op_sel:[0,0,1] op_sel_hi:[1,0,0]
	v_mov_b32_e32 v107, v93
	ds_load_2addr_b64 v[92:95], v96 offset0:35 offset1:36
	v_pk_add_f32 v[86:87], v[86:87], v[108:109] neg_lo:[0,1] neg_hi:[0,1]
	v_pk_add_f32 v[60:61], v[60:61], v[106:107] neg_lo:[0,1] neg_hi:[0,1]
	s_wait_dscnt 0x0
	v_pk_mul_f32 v[106:107], v[92:93], v[104:105] op_sel:[0,1]
	s_delay_alu instid0(VALU_DEP_1) | instskip(SKIP_1) | instid1(VALU_DEP_1)
	v_pk_fma_f32 v[108:109], v[92:93], v[102:103], v[106:107] op_sel:[0,0,1] op_sel_hi:[1,1,0] neg_lo:[0,0,1] neg_hi:[0,0,1]
	v_pk_fma_f32 v[92:93], v[92:93], v[102:103], v[106:107] op_sel:[0,0,1] op_sel_hi:[1,0,0]
	v_mov_b32_e32 v109, v93
	v_pk_mul_f32 v[92:93], v[94:95], v[104:105] op_sel:[0,1]
	s_delay_alu instid0(VALU_DEP_1) | instskip(SKIP_1) | instid1(VALU_DEP_1)
	v_pk_fma_f32 v[106:107], v[94:95], v[102:103], v[92:93] op_sel:[0,0,1] op_sel_hi:[1,1,0] neg_lo:[0,0,1] neg_hi:[0,0,1]
	v_pk_fma_f32 v[92:93], v[94:95], v[102:103], v[92:93] op_sel:[0,0,1] op_sel_hi:[1,0,0]
	v_mov_b32_e32 v107, v93
	ds_load_2addr_b64 v[92:95], v96 offset0:37 offset1:38
	v_pk_add_f32 v[58:59], v[58:59], v[108:109] neg_lo:[0,1] neg_hi:[0,1]
	v_pk_add_f32 v[82:83], v[82:83], v[106:107] neg_lo:[0,1] neg_hi:[0,1]
	s_wait_dscnt 0x0
	v_dual_mul_f32 v106, v93, v105 :: v_dual_mul_f32 v108, v93, v102
	s_delay_alu instid0(VALU_DEP_1) | instskip(NEXT) | instid1(VALU_DEP_2)
	v_pk_fma_f32 v[106:107], v[92:93], v[76:77], v[106:107] op_sel_hi:[1,1,0] neg_lo:[0,0,1] neg_hi:[0,0,1]
	v_pk_fma_f32 v[92:93], v[92:93], v[76:77], v[108:109] op_sel:[1,0,0] op_sel_hi:[0,1,0]
	s_delay_alu instid0(VALU_DEP_1) | instskip(SKIP_1) | instid1(VALU_DEP_2)
	v_mov_b32_e32 v107, v93
	v_pk_mul_f32 v[92:93], v[94:95], v[104:105] op_sel:[0,1]
	v_pk_add_f32 v[80:81], v[80:81], v[106:107] neg_lo:[0,1] neg_hi:[0,1]
	s_delay_alu instid0(VALU_DEP_2) | instskip(SKIP_1) | instid1(VALU_DEP_1)
	v_pk_fma_f32 v[106:107], v[94:95], v[102:103], v[92:93] op_sel:[0,0,1] op_sel_hi:[1,1,0] neg_lo:[0,0,1] neg_hi:[0,0,1]
	v_pk_fma_f32 v[92:93], v[94:95], v[102:103], v[92:93] op_sel:[0,0,1] op_sel_hi:[1,0,0]
	v_mov_b32_e32 v107, v93
	ds_load_2addr_b64 v[92:95], v96 offset0:39 offset1:40
	v_pk_add_f32 v[64:65], v[64:65], v[106:107] neg_lo:[0,1] neg_hi:[0,1]
	s_wait_dscnt 0x0
	v_pk_mul_f32 v[106:107], v[92:93], v[104:105] op_sel:[0,1]
	s_delay_alu instid0(VALU_DEP_1) | instskip(SKIP_1) | instid1(VALU_DEP_1)
	v_pk_fma_f32 v[108:109], v[92:93], v[102:103], v[106:107] op_sel:[0,0,1] op_sel_hi:[1,1,0] neg_lo:[0,0,1] neg_hi:[0,0,1]
	v_pk_fma_f32 v[92:93], v[92:93], v[102:103], v[106:107] op_sel:[0,0,1] op_sel_hi:[1,0,0]
	v_mov_b32_e32 v109, v93
	v_pk_mul_f32 v[92:93], v[94:95], v[104:105] op_sel:[0,1]
	s_delay_alu instid0(VALU_DEP_2) | instskip(NEXT) | instid1(VALU_DEP_2)
	v_pk_add_f32 v[62:63], v[62:63], v[108:109] neg_lo:[0,1] neg_hi:[0,1]
	v_pk_fma_f32 v[106:107], v[94:95], v[102:103], v[92:93] op_sel:[0,0,1] op_sel_hi:[1,1,0] neg_lo:[0,0,1] neg_hi:[0,0,1]
	v_pk_fma_f32 v[92:93], v[94:95], v[102:103], v[92:93] op_sel:[0,0,1] op_sel_hi:[1,0,0]
	s_delay_alu instid0(VALU_DEP_1) | instskip(SKIP_4) | instid1(VALU_DEP_1)
	v_mov_b32_e32 v107, v93
	ds_load_2addr_b64 v[92:95], v96 offset0:41 offset1:42
	v_pk_add_f32 v[72:73], v[72:73], v[106:107] neg_lo:[0,1] neg_hi:[0,1]
	s_wait_dscnt 0x0
	v_pk_mul_f32 v[106:107], v[92:93], v[104:105] op_sel:[0,1]
	v_pk_fma_f32 v[108:109], v[92:93], v[102:103], v[106:107] op_sel:[0,0,1] op_sel_hi:[1,1,0] neg_lo:[0,0,1] neg_hi:[0,0,1]
	v_pk_fma_f32 v[92:93], v[92:93], v[102:103], v[106:107] op_sel:[0,0,1] op_sel_hi:[1,0,0]
	s_delay_alu instid0(VALU_DEP_1) | instskip(SKIP_1) | instid1(VALU_DEP_2)
	v_mov_b32_e32 v109, v93
	v_pk_mul_f32 v[92:93], v[94:95], v[104:105] op_sel:[0,1]
	v_pk_add_f32 v[70:71], v[70:71], v[108:109] neg_lo:[0,1] neg_hi:[0,1]
	s_delay_alu instid0(VALU_DEP_2) | instskip(SKIP_1) | instid1(VALU_DEP_1)
	v_pk_fma_f32 v[104:105], v[94:95], v[102:103], v[92:93] op_sel:[0,0,1] op_sel_hi:[1,1,0] neg_lo:[0,0,1] neg_hi:[0,0,1]
	v_pk_fma_f32 v[92:93], v[94:95], v[102:103], v[92:93] op_sel:[0,0,1] op_sel_hi:[1,0,0]
	v_mov_b32_e32 v105, v93
	s_delay_alu instid0(VALU_DEP_1)
	v_pk_add_f32 v[90:91], v[90:91], v[104:105] neg_lo:[0,1] neg_hi:[0,1]
.LBB84_608:
	s_or_b32 exec_lo, exec_lo, s0
	v_lshl_add_u32 v92, v100, 3, v96
	s_barrier_signal -1
	s_barrier_wait -1
	ds_store_b64 v92, v[74:75]
	s_wait_dscnt 0x0
	s_barrier_signal -1
	s_barrier_wait -1
	ds_load_b64 v[92:93], v96 offset:232
	v_mov_b32_e32 v94, 29
	s_cmp_lt_i32 s14, 31
	s_cbranch_scc1 .LBB84_611
; %bb.609:
	v_add3_u32 v95, v97, 0, 0xf0
	v_mov_b32_e32 v94, 29
	s_mov_b32 s0, 30
.LBB84_610:                             ; =>This Inner Loop Header: Depth=1
	ds_load_b64 v[102:103], v95
	s_wait_dscnt 0x1
	v_cmp_gt_f32_e32 vcc_lo, 0, v92
	v_cndmask_b32_e64 v104, v92, -v92, vcc_lo
	v_cmp_gt_f32_e32 vcc_lo, 0, v93
	v_cndmask_b32_e64 v106, v93, -v93, vcc_lo
	s_wait_dscnt 0x0
	v_cmp_gt_f32_e32 vcc_lo, 0, v102
	v_cndmask_b32_e64 v105, v102, -v102, vcc_lo
	v_cmp_gt_f32_e32 vcc_lo, 0, v103
	v_cndmask_b32_e64 v107, v103, -v103, vcc_lo
	s_delay_alu instid0(VALU_DEP_1) | instskip(NEXT) | instid1(VALU_DEP_1)
	v_pk_add_f32 v[104:105], v[104:105], v[106:107]
	v_cmp_lt_f32_e32 vcc_lo, v104, v105
	v_dual_cndmask_b32 v92, v92, v102 :: v_dual_add_nc_u32 v95, 8, v95
	v_cndmask_b32_e32 v93, v93, v103, vcc_lo
	v_cndmask_b32_e64 v94, v94, s0, vcc_lo
	s_add_co_i32 s0, s0, 1
	s_delay_alu instid0(SALU_CYCLE_1)
	s_cmp_lg_u32 s14, s0
	s_cbranch_scc1 .LBB84_610
.LBB84_611:
	s_wait_dscnt 0x0
	v_cmp_eq_f32_e32 vcc_lo, 0, v92
	v_cmp_eq_f32_e64 s0, 0, v93
	s_and_b32 s0, vcc_lo, s0
	s_delay_alu instid0(SALU_CYCLE_1) | instskip(NEXT) | instid1(SALU_CYCLE_1)
	s_and_saveexec_b32 s1, s0
	s_xor_b32 s0, exec_lo, s1
; %bb.612:
	v_cmp_ne_u32_e32 vcc_lo, 0, v98
	v_cndmask_b32_e32 v98, 30, v98, vcc_lo
; %bb.613:
	s_and_not1_saveexec_b32 s0, s0
	s_cbranch_execz .LBB84_619
; %bb.614:
	v_cmp_ngt_f32_e64 s1, |v92|, |v93|
	s_and_saveexec_b32 s15, s1
	s_delay_alu instid0(SALU_CYCLE_1)
	s_xor_b32 s1, exec_lo, s15
	s_cbranch_execz .LBB84_616
; %bb.615:
	v_div_scale_f32 v95, null, v93, v93, v92
	v_div_scale_f32 v103, vcc_lo, v92, v93, v92
	s_delay_alu instid0(VALU_DEP_2) | instskip(SKIP_1) | instid1(TRANS32_DEP_1)
	v_rcp_f32_e32 v101, v95
	v_nop
	v_fma_f32 v102, -v95, v101, 1.0
	s_delay_alu instid0(VALU_DEP_1) | instskip(NEXT) | instid1(VALU_DEP_1)
	v_fmac_f32_e32 v101, v102, v101
	v_mul_f32_e32 v102, v103, v101
	s_delay_alu instid0(VALU_DEP_1) | instskip(NEXT) | instid1(VALU_DEP_1)
	v_fma_f32 v104, -v95, v102, v103
	v_fmac_f32_e32 v102, v104, v101
	s_delay_alu instid0(VALU_DEP_1) | instskip(NEXT) | instid1(VALU_DEP_1)
	v_fma_f32 v95, -v95, v102, v103
	v_div_fmas_f32 v95, v95, v101, v102
	s_delay_alu instid0(VALU_DEP_1) | instskip(NEXT) | instid1(VALU_DEP_1)
	v_div_fixup_f32 v95, v95, v93, v92
	v_fmac_f32_e32 v93, v92, v95
	s_delay_alu instid0(VALU_DEP_1) | instskip(SKIP_1) | instid1(VALU_DEP_2)
	v_div_scale_f32 v92, null, v93, v93, 1.0
	v_div_scale_f32 v103, vcc_lo, 1.0, v93, 1.0
	v_rcp_f32_e32 v101, v92
	v_nop
	s_delay_alu instid0(TRANS32_DEP_1) | instskip(NEXT) | instid1(VALU_DEP_1)
	v_fma_f32 v102, -v92, v101, 1.0
	v_fmac_f32_e32 v101, v102, v101
	s_delay_alu instid0(VALU_DEP_1) | instskip(NEXT) | instid1(VALU_DEP_1)
	v_mul_f32_e32 v102, v103, v101
	v_fma_f32 v104, -v92, v102, v103
	s_delay_alu instid0(VALU_DEP_1) | instskip(NEXT) | instid1(VALU_DEP_1)
	v_fmac_f32_e32 v102, v104, v101
	v_fma_f32 v92, -v92, v102, v103
	s_delay_alu instid0(VALU_DEP_1) | instskip(NEXT) | instid1(VALU_DEP_1)
	v_div_fmas_f32 v92, v92, v101, v102
	v_div_fixup_f32 v93, v92, v93, 1.0
	s_delay_alu instid0(VALU_DEP_1)
	v_mul_f32_e32 v92, v95, v93
	v_xor_b32_e32 v93, 0x80000000, v93
.LBB84_616:
	s_and_not1_saveexec_b32 s1, s1
	s_cbranch_execz .LBB84_618
; %bb.617:
	s_delay_alu instid0(VALU_DEP_1) | instskip(SKIP_1) | instid1(VALU_DEP_2)
	v_div_scale_f32 v95, null, v92, v92, v93
	v_div_scale_f32 v103, vcc_lo, v93, v92, v93
	v_rcp_f32_e32 v101, v95
	v_nop
	s_delay_alu instid0(TRANS32_DEP_1) | instskip(NEXT) | instid1(VALU_DEP_1)
	v_fma_f32 v102, -v95, v101, 1.0
	v_fmac_f32_e32 v101, v102, v101
	s_delay_alu instid0(VALU_DEP_1) | instskip(NEXT) | instid1(VALU_DEP_1)
	v_mul_f32_e32 v102, v103, v101
	v_fma_f32 v104, -v95, v102, v103
	s_delay_alu instid0(VALU_DEP_1) | instskip(NEXT) | instid1(VALU_DEP_1)
	v_fmac_f32_e32 v102, v104, v101
	v_fma_f32 v95, -v95, v102, v103
	s_delay_alu instid0(VALU_DEP_1) | instskip(NEXT) | instid1(VALU_DEP_1)
	v_div_fmas_f32 v95, v95, v101, v102
	v_div_fixup_f32 v95, v95, v92, v93
	s_delay_alu instid0(VALU_DEP_1) | instskip(NEXT) | instid1(VALU_DEP_1)
	v_fmac_f32_e32 v92, v93, v95
	v_div_scale_f32 v93, null, v92, v92, 1.0
	s_delay_alu instid0(VALU_DEP_1) | instskip(SKIP_1) | instid1(TRANS32_DEP_1)
	v_rcp_f32_e32 v101, v93
	v_nop
	v_fma_f32 v102, -v93, v101, 1.0
	s_delay_alu instid0(VALU_DEP_1) | instskip(SKIP_1) | instid1(VALU_DEP_1)
	v_fmac_f32_e32 v101, v102, v101
	v_div_scale_f32 v102, vcc_lo, 1.0, v92, 1.0
	v_mul_f32_e32 v103, v102, v101
	s_delay_alu instid0(VALU_DEP_1) | instskip(NEXT) | instid1(VALU_DEP_1)
	v_fma_f32 v104, -v93, v103, v102
	v_fmac_f32_e32 v103, v104, v101
	s_delay_alu instid0(VALU_DEP_1) | instskip(NEXT) | instid1(VALU_DEP_1)
	v_fma_f32 v93, -v93, v103, v102
	v_div_fmas_f32 v93, v93, v101, v103
	s_delay_alu instid0(VALU_DEP_1) | instskip(NEXT) | instid1(VALU_DEP_1)
	v_div_fixup_f32 v92, v93, v92, 1.0
	v_mul_f32_e64 v93, v95, -v92
.LBB84_618:
	s_or_b32 exec_lo, exec_lo, s1
.LBB84_619:
	s_delay_alu instid0(SALU_CYCLE_1) | instskip(NEXT) | instid1(SALU_CYCLE_1)
	s_or_b32 exec_lo, exec_lo, s0
	s_mov_b32 s0, exec_lo
	v_cmpx_ne_u32_e64 v100, v94
	s_xor_b32 s0, exec_lo, s0
	s_cbranch_execz .LBB84_625
; %bb.620:
	s_mov_b32 s1, exec_lo
	v_cmpx_eq_u32_e32 29, v100
	s_cbranch_execz .LBB84_624
; %bb.621:
	v_cmp_ne_u32_e32 vcc_lo, 29, v94
	s_xor_b32 s15, s12, -1
	s_delay_alu instid0(SALU_CYCLE_1) | instskip(NEXT) | instid1(SALU_CYCLE_1)
	s_and_b32 s16, s15, vcc_lo
	s_and_saveexec_b32 s15, s16
	s_cbranch_execz .LBB84_623
; %bb.622:
	v_ashrrev_i32_e32 v95, 31, v94
	s_delay_alu instid0(VALU_DEP_1)
	v_lshl_add_u64 v[100:101], v[94:95], 2, v[4:5]
	s_clause 0x1
	global_load_b32 v95, v[100:101], off
	global_load_b32 v99, v[4:5], off offset:116
	s_wait_loadcnt 0x1
	global_store_b32 v[4:5], v95, off offset:116
	s_wait_loadcnt 0x0
	global_store_b32 v[100:101], v99, off
.LBB84_623:
	s_wait_xcnt 0x0
	s_or_b32 exec_lo, exec_lo, s15
	v_dual_mov_b32 v100, v94 :: v_dual_mov_b32 v99, v94
.LBB84_624:
	s_or_b32 exec_lo, exec_lo, s1
.LBB84_625:
	s_and_not1_saveexec_b32 s0, s0
	s_cbranch_execz .LBB84_627
; %bb.626:
	v_dual_mov_b32 v94, v50 :: v_dual_mov_b32 v95, v51
	v_dual_mov_b32 v100, v48 :: v_dual_mov_b32 v101, v49
	ds_store_2addr_b64 v96, v[94:95], v[100:101] offset0:30 offset1:31
	v_dual_mov_b32 v94, v88 :: v_dual_mov_b32 v95, v89
	v_dual_mov_b32 v100, v86 :: v_dual_mov_b32 v101, v87
	ds_store_2addr_b64 v96, v[94:95], v[100:101] offset0:32 offset1:33
	;; [unrolled: 3-line block ×6, first 2 shown]
	ds_store_b64 v96, v[90:91] offset:336
	v_mov_b32_e32 v100, 29
.LBB84_627:
	s_or_b32 exec_lo, exec_lo, s0
	s_delay_alu instid0(SALU_CYCLE_1)
	s_mov_b32 s0, exec_lo
	s_wait_storecnt_dscnt 0x0
	s_barrier_signal -1
	s_barrier_wait -1
	v_cmpx_lt_i32_e32 29, v100
	s_cbranch_execz .LBB84_629
; %bb.628:
	v_pk_mul_f32 v[94:95], v[92:93], v[74:75] op_sel:[1,1] op_sel_hi:[0,1]
	s_delay_alu instid0(VALU_DEP_1)
	v_pk_fma_f32 v[102:103], v[92:93], v[74:75], v[94:95] op_sel_hi:[1,0,1] neg_lo:[0,0,1] neg_hi:[0,0,1]
	v_pk_fma_f32 v[104:105], v[92:93], v[74:75], v[94:95] op_sel_hi:[1,0,1]
	ds_load_2addr_b64 v[92:95], v96 offset0:30 offset1:31
	v_dual_mov_b32 v74, v102 :: v_dual_mov_b32 v75, v105
	s_wait_dscnt 0x0
	v_pk_mul_f32 v[106:107], v[92:93], v[104:105] op_sel:[0,1]
	s_delay_alu instid0(VALU_DEP_1) | instskip(SKIP_1) | instid1(VALU_DEP_1)
	v_pk_fma_f32 v[108:109], v[92:93], v[102:103], v[106:107] op_sel:[0,0,1] op_sel_hi:[1,1,0] neg_lo:[0,0,1] neg_hi:[0,0,1]
	v_pk_fma_f32 v[92:93], v[92:93], v[102:103], v[106:107] op_sel:[0,0,1] op_sel_hi:[1,0,0]
	v_mov_b32_e32 v109, v93
	v_pk_mul_f32 v[92:93], v[94:95], v[104:105] op_sel:[0,1]
	s_delay_alu instid0(VALU_DEP_1) | instskip(SKIP_1) | instid1(VALU_DEP_1)
	v_pk_fma_f32 v[106:107], v[94:95], v[102:103], v[92:93] op_sel:[0,0,1] op_sel_hi:[1,1,0] neg_lo:[0,0,1] neg_hi:[0,0,1]
	v_pk_fma_f32 v[92:93], v[94:95], v[102:103], v[92:93] op_sel:[0,0,1] op_sel_hi:[1,0,0]
	v_mov_b32_e32 v107, v93
	ds_load_2addr_b64 v[92:95], v96 offset0:32 offset1:33
	v_pk_add_f32 v[50:51], v[50:51], v[108:109] neg_lo:[0,1] neg_hi:[0,1]
	v_pk_add_f32 v[48:49], v[48:49], v[106:107] neg_lo:[0,1] neg_hi:[0,1]
	s_wait_dscnt 0x0
	v_pk_mul_f32 v[106:107], v[92:93], v[104:105] op_sel:[0,1]
	s_delay_alu instid0(VALU_DEP_1) | instskip(SKIP_2) | instid1(VALU_DEP_2)
	v_pk_fma_f32 v[108:109], v[92:93], v[102:103], v[106:107] op_sel:[0,0,1] op_sel_hi:[1,1,0] neg_lo:[0,0,1] neg_hi:[0,0,1]
	v_pk_fma_f32 v[92:93], v[92:93], v[102:103], v[106:107] op_sel:[0,0,1] op_sel_hi:[1,0,0]
	v_dual_mul_f32 v106, v95, v105 :: v_dual_mov_b32 v92, v95
	v_dual_mov_b32 v109, v93 :: v_dual_mov_b32 v93, v94
	s_delay_alu instid0(VALU_DEP_2) | instskip(SKIP_1) | instid1(VALU_DEP_3)
	v_pk_fma_f32 v[106:107], v[94:95], v[74:75], v[106:107] op_sel_hi:[1,1,0] neg_lo:[0,0,1] neg_hi:[0,0,1]
	v_mul_f32_e32 v94, v95, v102
	v_pk_add_f32 v[88:89], v[88:89], v[108:109] neg_lo:[0,1] neg_hi:[0,1]
	s_delay_alu instid0(VALU_DEP_2) | instskip(NEXT) | instid1(VALU_DEP_1)
	v_pk_fma_f32 v[92:93], v[92:93], v[74:75], v[94:95] op_sel_hi:[1,1,0]
	v_mov_b32_e32 v107, v93
	ds_load_2addr_b64 v[92:95], v96 offset0:34 offset1:35
	v_pk_add_f32 v[86:87], v[86:87], v[106:107] neg_lo:[0,1] neg_hi:[0,1]
	s_wait_dscnt 0x0
	v_pk_mul_f32 v[106:107], v[92:93], v[104:105] op_sel:[0,1]
	s_delay_alu instid0(VALU_DEP_1) | instskip(SKIP_1) | instid1(VALU_DEP_1)
	v_pk_fma_f32 v[108:109], v[92:93], v[102:103], v[106:107] op_sel:[0,0,1] op_sel_hi:[1,1,0] neg_lo:[0,0,1] neg_hi:[0,0,1]
	v_pk_fma_f32 v[92:93], v[92:93], v[102:103], v[106:107] op_sel:[0,0,1] op_sel_hi:[1,0,0]
	v_mov_b32_e32 v109, v93
	v_pk_mul_f32 v[92:93], v[94:95], v[104:105] op_sel:[0,1]
	s_delay_alu instid0(VALU_DEP_1) | instskip(SKIP_1) | instid1(VALU_DEP_1)
	v_pk_fma_f32 v[106:107], v[94:95], v[102:103], v[92:93] op_sel:[0,0,1] op_sel_hi:[1,1,0] neg_lo:[0,0,1] neg_hi:[0,0,1]
	v_pk_fma_f32 v[92:93], v[94:95], v[102:103], v[92:93] op_sel:[0,0,1] op_sel_hi:[1,0,0]
	v_mov_b32_e32 v107, v93
	ds_load_2addr_b64 v[92:95], v96 offset0:36 offset1:37
	v_pk_add_f32 v[60:61], v[60:61], v[108:109] neg_lo:[0,1] neg_hi:[0,1]
	v_pk_add_f32 v[58:59], v[58:59], v[106:107] neg_lo:[0,1] neg_hi:[0,1]
	s_wait_dscnt 0x0
	v_pk_mul_f32 v[106:107], v[92:93], v[104:105] op_sel:[0,1]
	s_delay_alu instid0(VALU_DEP_1) | instskip(SKIP_1) | instid1(VALU_DEP_1)
	v_pk_fma_f32 v[108:109], v[92:93], v[102:103], v[106:107] op_sel:[0,0,1] op_sel_hi:[1,1,0] neg_lo:[0,0,1] neg_hi:[0,0,1]
	v_pk_fma_f32 v[92:93], v[92:93], v[102:103], v[106:107] op_sel:[0,0,1] op_sel_hi:[1,0,0]
	v_mov_b32_e32 v109, v93
	v_pk_mul_f32 v[92:93], v[94:95], v[104:105] op_sel:[0,1]
	s_delay_alu instid0(VALU_DEP_1) | instskip(SKIP_1) | instid1(VALU_DEP_1)
	v_pk_fma_f32 v[106:107], v[94:95], v[102:103], v[92:93] op_sel:[0,0,1] op_sel_hi:[1,1,0] neg_lo:[0,0,1] neg_hi:[0,0,1]
	v_pk_fma_f32 v[92:93], v[94:95], v[102:103], v[92:93] op_sel:[0,0,1] op_sel_hi:[1,0,0]
	v_mov_b32_e32 v107, v93
	ds_load_2addr_b64 v[92:95], v96 offset0:38 offset1:39
	v_pk_add_f32 v[82:83], v[82:83], v[108:109] neg_lo:[0,1] neg_hi:[0,1]
	v_pk_add_f32 v[80:81], v[80:81], v[106:107] neg_lo:[0,1] neg_hi:[0,1]
	s_wait_dscnt 0x0
	v_dual_mul_f32 v106, v93, v105 :: v_dual_mul_f32 v108, v93, v102
	s_delay_alu instid0(VALU_DEP_1) | instskip(NEXT) | instid1(VALU_DEP_2)
	v_pk_fma_f32 v[106:107], v[92:93], v[74:75], v[106:107] op_sel_hi:[1,1,0] neg_lo:[0,0,1] neg_hi:[0,0,1]
	v_pk_fma_f32 v[92:93], v[92:93], v[74:75], v[108:109] op_sel:[1,0,0] op_sel_hi:[0,1,0]
	s_delay_alu instid0(VALU_DEP_1) | instskip(SKIP_1) | instid1(VALU_DEP_2)
	v_mov_b32_e32 v107, v93
	v_pk_mul_f32 v[92:93], v[94:95], v[104:105] op_sel:[0,1]
	v_pk_add_f32 v[64:65], v[64:65], v[106:107] neg_lo:[0,1] neg_hi:[0,1]
	s_delay_alu instid0(VALU_DEP_2) | instskip(SKIP_1) | instid1(VALU_DEP_1)
	v_pk_fma_f32 v[106:107], v[94:95], v[102:103], v[92:93] op_sel:[0,0,1] op_sel_hi:[1,1,0] neg_lo:[0,0,1] neg_hi:[0,0,1]
	v_pk_fma_f32 v[92:93], v[94:95], v[102:103], v[92:93] op_sel:[0,0,1] op_sel_hi:[1,0,0]
	v_mov_b32_e32 v107, v93
	ds_load_2addr_b64 v[92:95], v96 offset0:40 offset1:41
	v_pk_add_f32 v[62:63], v[62:63], v[106:107] neg_lo:[0,1] neg_hi:[0,1]
	s_wait_dscnt 0x0
	v_pk_mul_f32 v[106:107], v[92:93], v[104:105] op_sel:[0,1]
	s_delay_alu instid0(VALU_DEP_1) | instskip(SKIP_1) | instid1(VALU_DEP_1)
	v_pk_fma_f32 v[108:109], v[92:93], v[102:103], v[106:107] op_sel:[0,0,1] op_sel_hi:[1,1,0] neg_lo:[0,0,1] neg_hi:[0,0,1]
	v_pk_fma_f32 v[92:93], v[92:93], v[102:103], v[106:107] op_sel:[0,0,1] op_sel_hi:[1,0,0]
	v_mov_b32_e32 v109, v93
	v_pk_mul_f32 v[92:93], v[94:95], v[104:105] op_sel:[0,1]
	s_delay_alu instid0(VALU_DEP_2) | instskip(NEXT) | instid1(VALU_DEP_2)
	v_pk_add_f32 v[72:73], v[72:73], v[108:109] neg_lo:[0,1] neg_hi:[0,1]
	v_pk_fma_f32 v[106:107], v[94:95], v[102:103], v[92:93] op_sel:[0,0,1] op_sel_hi:[1,1,0] neg_lo:[0,0,1] neg_hi:[0,0,1]
	v_pk_fma_f32 v[92:93], v[94:95], v[102:103], v[92:93] op_sel:[0,0,1] op_sel_hi:[1,0,0]
	s_delay_alu instid0(VALU_DEP_1) | instskip(SKIP_4) | instid1(VALU_DEP_1)
	v_mov_b32_e32 v107, v93
	ds_load_b64 v[92:93], v96 offset:336
	v_pk_add_f32 v[70:71], v[70:71], v[106:107] neg_lo:[0,1] neg_hi:[0,1]
	s_wait_dscnt 0x0
	v_pk_mul_f32 v[94:95], v[92:93], v[104:105] op_sel:[0,1]
	v_pk_fma_f32 v[104:105], v[92:93], v[102:103], v[94:95] op_sel:[0,0,1] op_sel_hi:[1,1,0] neg_lo:[0,0,1] neg_hi:[0,0,1]
	v_pk_fma_f32 v[92:93], v[92:93], v[102:103], v[94:95] op_sel:[0,0,1] op_sel_hi:[1,0,0]
	s_delay_alu instid0(VALU_DEP_1) | instskip(NEXT) | instid1(VALU_DEP_1)
	v_mov_b32_e32 v105, v93
	v_pk_add_f32 v[90:91], v[90:91], v[104:105] neg_lo:[0,1] neg_hi:[0,1]
.LBB84_629:
	s_or_b32 exec_lo, exec_lo, s0
	v_lshl_add_u32 v92, v100, 3, v96
	s_barrier_signal -1
	s_barrier_wait -1
	ds_store_b64 v92, v[50:51]
	s_wait_dscnt 0x0
	s_barrier_signal -1
	s_barrier_wait -1
	ds_load_b64 v[92:93], v96 offset:240
	v_mov_b32_e32 v94, 30
	s_cmp_lt_i32 s14, 32
	s_cbranch_scc1 .LBB84_632
; %bb.630:
	v_add3_u32 v95, v97, 0, 0xf8
	v_mov_b32_e32 v94, 30
	s_mov_b32 s0, 31
.LBB84_631:                             ; =>This Inner Loop Header: Depth=1
	ds_load_b64 v[102:103], v95
	s_wait_dscnt 0x1
	v_cmp_gt_f32_e32 vcc_lo, 0, v92
	v_cndmask_b32_e64 v104, v92, -v92, vcc_lo
	v_cmp_gt_f32_e32 vcc_lo, 0, v93
	v_cndmask_b32_e64 v106, v93, -v93, vcc_lo
	s_wait_dscnt 0x0
	v_cmp_gt_f32_e32 vcc_lo, 0, v102
	v_cndmask_b32_e64 v105, v102, -v102, vcc_lo
	v_cmp_gt_f32_e32 vcc_lo, 0, v103
	v_cndmask_b32_e64 v107, v103, -v103, vcc_lo
	s_delay_alu instid0(VALU_DEP_1) | instskip(NEXT) | instid1(VALU_DEP_1)
	v_pk_add_f32 v[104:105], v[104:105], v[106:107]
	v_cmp_lt_f32_e32 vcc_lo, v104, v105
	v_dual_cndmask_b32 v92, v92, v102 :: v_dual_add_nc_u32 v95, 8, v95
	v_cndmask_b32_e32 v93, v93, v103, vcc_lo
	v_cndmask_b32_e64 v94, v94, s0, vcc_lo
	s_add_co_i32 s0, s0, 1
	s_delay_alu instid0(SALU_CYCLE_1)
	s_cmp_lg_u32 s14, s0
	s_cbranch_scc1 .LBB84_631
.LBB84_632:
	s_wait_dscnt 0x0
	v_cmp_eq_f32_e32 vcc_lo, 0, v92
	v_cmp_eq_f32_e64 s0, 0, v93
	s_and_b32 s0, vcc_lo, s0
	s_delay_alu instid0(SALU_CYCLE_1) | instskip(NEXT) | instid1(SALU_CYCLE_1)
	s_and_saveexec_b32 s1, s0
	s_xor_b32 s0, exec_lo, s1
; %bb.633:
	v_cmp_ne_u32_e32 vcc_lo, 0, v98
	v_cndmask_b32_e32 v98, 31, v98, vcc_lo
; %bb.634:
	s_and_not1_saveexec_b32 s0, s0
	s_cbranch_execz .LBB84_640
; %bb.635:
	v_cmp_ngt_f32_e64 s1, |v92|, |v93|
	s_and_saveexec_b32 s15, s1
	s_delay_alu instid0(SALU_CYCLE_1)
	s_xor_b32 s1, exec_lo, s15
	s_cbranch_execz .LBB84_637
; %bb.636:
	v_div_scale_f32 v95, null, v93, v93, v92
	v_div_scale_f32 v103, vcc_lo, v92, v93, v92
	s_delay_alu instid0(VALU_DEP_2) | instskip(SKIP_1) | instid1(TRANS32_DEP_1)
	v_rcp_f32_e32 v101, v95
	v_nop
	v_fma_f32 v102, -v95, v101, 1.0
	s_delay_alu instid0(VALU_DEP_1) | instskip(NEXT) | instid1(VALU_DEP_1)
	v_fmac_f32_e32 v101, v102, v101
	v_mul_f32_e32 v102, v103, v101
	s_delay_alu instid0(VALU_DEP_1) | instskip(NEXT) | instid1(VALU_DEP_1)
	v_fma_f32 v104, -v95, v102, v103
	v_fmac_f32_e32 v102, v104, v101
	s_delay_alu instid0(VALU_DEP_1) | instskip(NEXT) | instid1(VALU_DEP_1)
	v_fma_f32 v95, -v95, v102, v103
	v_div_fmas_f32 v95, v95, v101, v102
	s_delay_alu instid0(VALU_DEP_1) | instskip(NEXT) | instid1(VALU_DEP_1)
	v_div_fixup_f32 v95, v95, v93, v92
	v_fmac_f32_e32 v93, v92, v95
	s_delay_alu instid0(VALU_DEP_1) | instskip(SKIP_1) | instid1(VALU_DEP_2)
	v_div_scale_f32 v92, null, v93, v93, 1.0
	v_div_scale_f32 v103, vcc_lo, 1.0, v93, 1.0
	v_rcp_f32_e32 v101, v92
	v_nop
	s_delay_alu instid0(TRANS32_DEP_1) | instskip(NEXT) | instid1(VALU_DEP_1)
	v_fma_f32 v102, -v92, v101, 1.0
	v_fmac_f32_e32 v101, v102, v101
	s_delay_alu instid0(VALU_DEP_1) | instskip(NEXT) | instid1(VALU_DEP_1)
	v_mul_f32_e32 v102, v103, v101
	v_fma_f32 v104, -v92, v102, v103
	s_delay_alu instid0(VALU_DEP_1) | instskip(NEXT) | instid1(VALU_DEP_1)
	v_fmac_f32_e32 v102, v104, v101
	v_fma_f32 v92, -v92, v102, v103
	s_delay_alu instid0(VALU_DEP_1) | instskip(NEXT) | instid1(VALU_DEP_1)
	v_div_fmas_f32 v92, v92, v101, v102
	v_div_fixup_f32 v93, v92, v93, 1.0
	s_delay_alu instid0(VALU_DEP_1)
	v_mul_f32_e32 v92, v95, v93
	v_xor_b32_e32 v93, 0x80000000, v93
.LBB84_637:
	s_and_not1_saveexec_b32 s1, s1
	s_cbranch_execz .LBB84_639
; %bb.638:
	s_delay_alu instid0(VALU_DEP_1) | instskip(SKIP_1) | instid1(VALU_DEP_2)
	v_div_scale_f32 v95, null, v92, v92, v93
	v_div_scale_f32 v103, vcc_lo, v93, v92, v93
	v_rcp_f32_e32 v101, v95
	v_nop
	s_delay_alu instid0(TRANS32_DEP_1) | instskip(NEXT) | instid1(VALU_DEP_1)
	v_fma_f32 v102, -v95, v101, 1.0
	v_fmac_f32_e32 v101, v102, v101
	s_delay_alu instid0(VALU_DEP_1) | instskip(NEXT) | instid1(VALU_DEP_1)
	v_mul_f32_e32 v102, v103, v101
	v_fma_f32 v104, -v95, v102, v103
	s_delay_alu instid0(VALU_DEP_1) | instskip(NEXT) | instid1(VALU_DEP_1)
	v_fmac_f32_e32 v102, v104, v101
	v_fma_f32 v95, -v95, v102, v103
	s_delay_alu instid0(VALU_DEP_1) | instskip(NEXT) | instid1(VALU_DEP_1)
	v_div_fmas_f32 v95, v95, v101, v102
	v_div_fixup_f32 v95, v95, v92, v93
	s_delay_alu instid0(VALU_DEP_1) | instskip(NEXT) | instid1(VALU_DEP_1)
	v_fmac_f32_e32 v92, v93, v95
	v_div_scale_f32 v93, null, v92, v92, 1.0
	s_delay_alu instid0(VALU_DEP_1) | instskip(SKIP_1) | instid1(TRANS32_DEP_1)
	v_rcp_f32_e32 v101, v93
	v_nop
	v_fma_f32 v102, -v93, v101, 1.0
	s_delay_alu instid0(VALU_DEP_1) | instskip(SKIP_1) | instid1(VALU_DEP_1)
	v_fmac_f32_e32 v101, v102, v101
	v_div_scale_f32 v102, vcc_lo, 1.0, v92, 1.0
	v_mul_f32_e32 v103, v102, v101
	s_delay_alu instid0(VALU_DEP_1) | instskip(NEXT) | instid1(VALU_DEP_1)
	v_fma_f32 v104, -v93, v103, v102
	v_fmac_f32_e32 v103, v104, v101
	s_delay_alu instid0(VALU_DEP_1) | instskip(NEXT) | instid1(VALU_DEP_1)
	v_fma_f32 v93, -v93, v103, v102
	v_div_fmas_f32 v93, v93, v101, v103
	s_delay_alu instid0(VALU_DEP_1) | instskip(NEXT) | instid1(VALU_DEP_1)
	v_div_fixup_f32 v92, v93, v92, 1.0
	v_mul_f32_e64 v93, v95, -v92
.LBB84_639:
	s_or_b32 exec_lo, exec_lo, s1
.LBB84_640:
	s_delay_alu instid0(SALU_CYCLE_1) | instskip(NEXT) | instid1(SALU_CYCLE_1)
	s_or_b32 exec_lo, exec_lo, s0
	s_mov_b32 s0, exec_lo
	v_cmpx_ne_u32_e64 v100, v94
	s_xor_b32 s0, exec_lo, s0
	s_cbranch_execz .LBB84_646
; %bb.641:
	s_mov_b32 s1, exec_lo
	v_cmpx_eq_u32_e32 30, v100
	s_cbranch_execz .LBB84_645
; %bb.642:
	v_cmp_ne_u32_e32 vcc_lo, 30, v94
	s_xor_b32 s15, s12, -1
	s_delay_alu instid0(SALU_CYCLE_1) | instskip(NEXT) | instid1(SALU_CYCLE_1)
	s_and_b32 s16, s15, vcc_lo
	s_and_saveexec_b32 s15, s16
	s_cbranch_execz .LBB84_644
; %bb.643:
	v_ashrrev_i32_e32 v95, 31, v94
	s_delay_alu instid0(VALU_DEP_1)
	v_lshl_add_u64 v[100:101], v[94:95], 2, v[4:5]
	s_clause 0x1
	global_load_b32 v95, v[100:101], off
	global_load_b32 v99, v[4:5], off offset:120
	s_wait_loadcnt 0x1
	global_store_b32 v[4:5], v95, off offset:120
	s_wait_loadcnt 0x0
	global_store_b32 v[100:101], v99, off
.LBB84_644:
	s_wait_xcnt 0x0
	s_or_b32 exec_lo, exec_lo, s15
	v_dual_mov_b32 v100, v94 :: v_dual_mov_b32 v99, v94
.LBB84_645:
	s_or_b32 exec_lo, exec_lo, s1
.LBB84_646:
	s_and_not1_saveexec_b32 s0, s0
	s_cbranch_execz .LBB84_648
; %bb.647:
	v_mov_b32_e32 v100, 30
	ds_store_2addr_b64 v96, v[48:49], v[88:89] offset0:31 offset1:32
	ds_store_2addr_b64 v96, v[86:87], v[60:61] offset0:33 offset1:34
	;; [unrolled: 1-line block ×6, first 2 shown]
.LBB84_648:
	s_or_b32 exec_lo, exec_lo, s0
	s_delay_alu instid0(SALU_CYCLE_1)
	s_mov_b32 s0, exec_lo
	s_wait_storecnt_dscnt 0x0
	s_barrier_signal -1
	s_barrier_wait -1
	v_cmpx_lt_i32_e32 30, v100
	s_cbranch_execz .LBB84_650
; %bb.649:
	v_pk_mul_f32 v[94:95], v[92:93], v[50:51] op_sel:[1,1] op_sel_hi:[0,1]
	s_delay_alu instid0(VALU_DEP_1)
	v_pk_fma_f32 v[102:103], v[92:93], v[50:51], v[94:95] op_sel_hi:[1,0,1] neg_lo:[0,0,1] neg_hi:[0,0,1]
	v_pk_fma_f32 v[104:105], v[92:93], v[50:51], v[94:95] op_sel_hi:[1,0,1]
	ds_load_2addr_b64 v[92:95], v96 offset0:31 offset1:32
	v_dual_mov_b32 v50, v102 :: v_dual_mov_b32 v51, v105
	s_wait_dscnt 0x0
	v_pk_mul_f32 v[106:107], v[92:93], v[104:105] op_sel:[0,1]
	s_delay_alu instid0(VALU_DEP_1) | instskip(SKIP_1) | instid1(VALU_DEP_1)
	v_pk_fma_f32 v[108:109], v[92:93], v[102:103], v[106:107] op_sel:[0,0,1] op_sel_hi:[1,1,0] neg_lo:[0,0,1] neg_hi:[0,0,1]
	v_pk_fma_f32 v[92:93], v[92:93], v[102:103], v[106:107] op_sel:[0,0,1] op_sel_hi:[1,0,0]
	v_mov_b32_e32 v109, v93
	v_pk_mul_f32 v[92:93], v[94:95], v[104:105] op_sel:[0,1]
	s_delay_alu instid0(VALU_DEP_1) | instskip(SKIP_1) | instid1(VALU_DEP_1)
	v_pk_fma_f32 v[106:107], v[94:95], v[102:103], v[92:93] op_sel:[0,0,1] op_sel_hi:[1,1,0] neg_lo:[0,0,1] neg_hi:[0,0,1]
	v_pk_fma_f32 v[92:93], v[94:95], v[102:103], v[92:93] op_sel:[0,0,1] op_sel_hi:[1,0,0]
	v_mov_b32_e32 v107, v93
	ds_load_2addr_b64 v[92:95], v96 offset0:33 offset1:34
	v_pk_add_f32 v[48:49], v[48:49], v[108:109] neg_lo:[0,1] neg_hi:[0,1]
	v_pk_add_f32 v[88:89], v[88:89], v[106:107] neg_lo:[0,1] neg_hi:[0,1]
	s_wait_dscnt 0x0
	v_pk_mul_f32 v[106:107], v[92:93], v[104:105] op_sel:[0,1]
	s_delay_alu instid0(VALU_DEP_1) | instskip(SKIP_2) | instid1(VALU_DEP_2)
	v_pk_fma_f32 v[108:109], v[92:93], v[102:103], v[106:107] op_sel:[0,0,1] op_sel_hi:[1,1,0] neg_lo:[0,0,1] neg_hi:[0,0,1]
	v_pk_fma_f32 v[92:93], v[92:93], v[102:103], v[106:107] op_sel:[0,0,1] op_sel_hi:[1,0,0]
	v_dual_mul_f32 v106, v95, v105 :: v_dual_mov_b32 v92, v95
	v_dual_mov_b32 v109, v93 :: v_dual_mov_b32 v93, v94
	s_delay_alu instid0(VALU_DEP_2) | instskip(SKIP_1) | instid1(VALU_DEP_3)
	v_pk_fma_f32 v[106:107], v[94:95], v[50:51], v[106:107] op_sel_hi:[1,1,0] neg_lo:[0,0,1] neg_hi:[0,0,1]
	v_mul_f32_e32 v94, v95, v102
	v_pk_add_f32 v[86:87], v[86:87], v[108:109] neg_lo:[0,1] neg_hi:[0,1]
	s_delay_alu instid0(VALU_DEP_2) | instskip(NEXT) | instid1(VALU_DEP_1)
	v_pk_fma_f32 v[92:93], v[92:93], v[50:51], v[94:95] op_sel_hi:[1,1,0]
	v_mov_b32_e32 v107, v93
	ds_load_2addr_b64 v[92:95], v96 offset0:35 offset1:36
	v_pk_add_f32 v[60:61], v[60:61], v[106:107] neg_lo:[0,1] neg_hi:[0,1]
	s_wait_dscnt 0x0
	v_pk_mul_f32 v[106:107], v[92:93], v[104:105] op_sel:[0,1]
	s_delay_alu instid0(VALU_DEP_1) | instskip(SKIP_1) | instid1(VALU_DEP_1)
	v_pk_fma_f32 v[108:109], v[92:93], v[102:103], v[106:107] op_sel:[0,0,1] op_sel_hi:[1,1,0] neg_lo:[0,0,1] neg_hi:[0,0,1]
	v_pk_fma_f32 v[92:93], v[92:93], v[102:103], v[106:107] op_sel:[0,0,1] op_sel_hi:[1,0,0]
	v_mov_b32_e32 v109, v93
	v_pk_mul_f32 v[92:93], v[94:95], v[104:105] op_sel:[0,1]
	s_delay_alu instid0(VALU_DEP_1) | instskip(SKIP_1) | instid1(VALU_DEP_1)
	v_pk_fma_f32 v[106:107], v[94:95], v[102:103], v[92:93] op_sel:[0,0,1] op_sel_hi:[1,1,0] neg_lo:[0,0,1] neg_hi:[0,0,1]
	v_pk_fma_f32 v[92:93], v[94:95], v[102:103], v[92:93] op_sel:[0,0,1] op_sel_hi:[1,0,0]
	v_mov_b32_e32 v107, v93
	ds_load_2addr_b64 v[92:95], v96 offset0:37 offset1:38
	v_pk_add_f32 v[58:59], v[58:59], v[108:109] neg_lo:[0,1] neg_hi:[0,1]
	v_pk_add_f32 v[82:83], v[82:83], v[106:107] neg_lo:[0,1] neg_hi:[0,1]
	s_wait_dscnt 0x0
	v_pk_mul_f32 v[106:107], v[92:93], v[104:105] op_sel:[0,1]
	s_delay_alu instid0(VALU_DEP_1) | instskip(SKIP_1) | instid1(VALU_DEP_1)
	v_pk_fma_f32 v[108:109], v[92:93], v[102:103], v[106:107] op_sel:[0,0,1] op_sel_hi:[1,1,0] neg_lo:[0,0,1] neg_hi:[0,0,1]
	v_pk_fma_f32 v[92:93], v[92:93], v[102:103], v[106:107] op_sel:[0,0,1] op_sel_hi:[1,0,0]
	v_mov_b32_e32 v109, v93
	v_pk_mul_f32 v[92:93], v[94:95], v[104:105] op_sel:[0,1]
	s_delay_alu instid0(VALU_DEP_1) | instskip(SKIP_1) | instid1(VALU_DEP_1)
	v_pk_fma_f32 v[106:107], v[94:95], v[102:103], v[92:93] op_sel:[0,0,1] op_sel_hi:[1,1,0] neg_lo:[0,0,1] neg_hi:[0,0,1]
	v_pk_fma_f32 v[92:93], v[94:95], v[102:103], v[92:93] op_sel:[0,0,1] op_sel_hi:[1,0,0]
	v_mov_b32_e32 v107, v93
	ds_load_2addr_b64 v[92:95], v96 offset0:39 offset1:40
	v_pk_add_f32 v[80:81], v[80:81], v[108:109] neg_lo:[0,1] neg_hi:[0,1]
	v_pk_add_f32 v[64:65], v[64:65], v[106:107] neg_lo:[0,1] neg_hi:[0,1]
	s_wait_dscnt 0x0
	v_dual_mul_f32 v106, v93, v105 :: v_dual_mul_f32 v108, v93, v102
	s_delay_alu instid0(VALU_DEP_1) | instskip(NEXT) | instid1(VALU_DEP_2)
	v_pk_fma_f32 v[106:107], v[92:93], v[50:51], v[106:107] op_sel_hi:[1,1,0] neg_lo:[0,0,1] neg_hi:[0,0,1]
	v_pk_fma_f32 v[92:93], v[92:93], v[50:51], v[108:109] op_sel:[1,0,0] op_sel_hi:[0,1,0]
	s_delay_alu instid0(VALU_DEP_1) | instskip(SKIP_1) | instid1(VALU_DEP_2)
	v_mov_b32_e32 v107, v93
	v_pk_mul_f32 v[92:93], v[94:95], v[104:105] op_sel:[0,1]
	v_pk_add_f32 v[62:63], v[62:63], v[106:107] neg_lo:[0,1] neg_hi:[0,1]
	s_delay_alu instid0(VALU_DEP_2) | instskip(SKIP_1) | instid1(VALU_DEP_1)
	v_pk_fma_f32 v[106:107], v[94:95], v[102:103], v[92:93] op_sel:[0,0,1] op_sel_hi:[1,1,0] neg_lo:[0,0,1] neg_hi:[0,0,1]
	v_pk_fma_f32 v[92:93], v[94:95], v[102:103], v[92:93] op_sel:[0,0,1] op_sel_hi:[1,0,0]
	v_mov_b32_e32 v107, v93
	ds_load_2addr_b64 v[92:95], v96 offset0:41 offset1:42
	v_pk_add_f32 v[72:73], v[72:73], v[106:107] neg_lo:[0,1] neg_hi:[0,1]
	s_wait_dscnt 0x0
	v_pk_mul_f32 v[106:107], v[92:93], v[104:105] op_sel:[0,1]
	v_mul_f32_e32 v104, v95, v105
	s_delay_alu instid0(VALU_DEP_2) | instskip(SKIP_2) | instid1(VALU_DEP_4)
	v_pk_fma_f32 v[108:109], v[92:93], v[102:103], v[106:107] op_sel:[0,0,1] op_sel_hi:[1,1,0] neg_lo:[0,0,1] neg_hi:[0,0,1]
	v_pk_fma_f32 v[92:93], v[92:93], v[102:103], v[106:107] op_sel:[0,0,1] op_sel_hi:[1,0,0]
	v_mov_b32_e32 v92, v95
	v_pk_fma_f32 v[104:105], v[94:95], v[50:51], v[104:105] op_sel_hi:[1,1,0] neg_lo:[0,0,1] neg_hi:[0,0,1]
	s_delay_alu instid0(VALU_DEP_3) | instskip(SKIP_1) | instid1(VALU_DEP_2)
	v_dual_mov_b32 v109, v93 :: v_dual_mov_b32 v93, v94
	v_mul_f32_e32 v94, v95, v102
	v_pk_add_f32 v[70:71], v[70:71], v[108:109] neg_lo:[0,1] neg_hi:[0,1]
	s_delay_alu instid0(VALU_DEP_2) | instskip(NEXT) | instid1(VALU_DEP_1)
	v_pk_fma_f32 v[92:93], v[92:93], v[50:51], v[94:95] op_sel_hi:[1,1,0]
	v_mov_b32_e32 v105, v93
	s_delay_alu instid0(VALU_DEP_1)
	v_pk_add_f32 v[90:91], v[90:91], v[104:105] neg_lo:[0,1] neg_hi:[0,1]
.LBB84_650:
	s_or_b32 exec_lo, exec_lo, s0
	v_lshl_add_u32 v92, v100, 3, v96
	s_barrier_signal -1
	s_barrier_wait -1
	ds_store_b64 v92, v[48:49]
	s_wait_dscnt 0x0
	s_barrier_signal -1
	s_barrier_wait -1
	ds_load_b64 v[92:93], v96 offset:248
	v_mov_b32_e32 v94, 31
	s_cmp_lt_i32 s14, 33
	s_cbranch_scc1 .LBB84_653
; %bb.651:
	v_add3_u32 v95, v97, 0, 0x100
	v_mov_b32_e32 v94, 31
	s_mov_b32 s0, 32
.LBB84_652:                             ; =>This Inner Loop Header: Depth=1
	ds_load_b64 v[102:103], v95
	s_wait_dscnt 0x1
	v_cmp_gt_f32_e32 vcc_lo, 0, v92
	v_cndmask_b32_e64 v104, v92, -v92, vcc_lo
	v_cmp_gt_f32_e32 vcc_lo, 0, v93
	v_cndmask_b32_e64 v106, v93, -v93, vcc_lo
	s_wait_dscnt 0x0
	v_cmp_gt_f32_e32 vcc_lo, 0, v102
	v_cndmask_b32_e64 v105, v102, -v102, vcc_lo
	v_cmp_gt_f32_e32 vcc_lo, 0, v103
	v_cndmask_b32_e64 v107, v103, -v103, vcc_lo
	s_delay_alu instid0(VALU_DEP_1) | instskip(NEXT) | instid1(VALU_DEP_1)
	v_pk_add_f32 v[104:105], v[104:105], v[106:107]
	v_cmp_lt_f32_e32 vcc_lo, v104, v105
	v_dual_cndmask_b32 v92, v92, v102 :: v_dual_add_nc_u32 v95, 8, v95
	v_cndmask_b32_e32 v93, v93, v103, vcc_lo
	v_cndmask_b32_e64 v94, v94, s0, vcc_lo
	s_add_co_i32 s0, s0, 1
	s_delay_alu instid0(SALU_CYCLE_1)
	s_cmp_lg_u32 s14, s0
	s_cbranch_scc1 .LBB84_652
.LBB84_653:
	s_wait_dscnt 0x0
	v_cmp_eq_f32_e32 vcc_lo, 0, v92
	v_cmp_eq_f32_e64 s0, 0, v93
	s_and_b32 s0, vcc_lo, s0
	s_delay_alu instid0(SALU_CYCLE_1) | instskip(NEXT) | instid1(SALU_CYCLE_1)
	s_and_saveexec_b32 s1, s0
	s_xor_b32 s0, exec_lo, s1
; %bb.654:
	v_cmp_ne_u32_e32 vcc_lo, 0, v98
	v_cndmask_b32_e32 v98, 32, v98, vcc_lo
; %bb.655:
	s_and_not1_saveexec_b32 s0, s0
	s_cbranch_execz .LBB84_661
; %bb.656:
	v_cmp_ngt_f32_e64 s1, |v92|, |v93|
	s_and_saveexec_b32 s15, s1
	s_delay_alu instid0(SALU_CYCLE_1)
	s_xor_b32 s1, exec_lo, s15
	s_cbranch_execz .LBB84_658
; %bb.657:
	v_div_scale_f32 v95, null, v93, v93, v92
	v_div_scale_f32 v103, vcc_lo, v92, v93, v92
	s_delay_alu instid0(VALU_DEP_2) | instskip(SKIP_1) | instid1(TRANS32_DEP_1)
	v_rcp_f32_e32 v101, v95
	v_nop
	v_fma_f32 v102, -v95, v101, 1.0
	s_delay_alu instid0(VALU_DEP_1) | instskip(NEXT) | instid1(VALU_DEP_1)
	v_fmac_f32_e32 v101, v102, v101
	v_mul_f32_e32 v102, v103, v101
	s_delay_alu instid0(VALU_DEP_1) | instskip(NEXT) | instid1(VALU_DEP_1)
	v_fma_f32 v104, -v95, v102, v103
	v_fmac_f32_e32 v102, v104, v101
	s_delay_alu instid0(VALU_DEP_1) | instskip(NEXT) | instid1(VALU_DEP_1)
	v_fma_f32 v95, -v95, v102, v103
	v_div_fmas_f32 v95, v95, v101, v102
	s_delay_alu instid0(VALU_DEP_1) | instskip(NEXT) | instid1(VALU_DEP_1)
	v_div_fixup_f32 v95, v95, v93, v92
	v_fmac_f32_e32 v93, v92, v95
	s_delay_alu instid0(VALU_DEP_1) | instskip(SKIP_1) | instid1(VALU_DEP_2)
	v_div_scale_f32 v92, null, v93, v93, 1.0
	v_div_scale_f32 v103, vcc_lo, 1.0, v93, 1.0
	v_rcp_f32_e32 v101, v92
	v_nop
	s_delay_alu instid0(TRANS32_DEP_1) | instskip(NEXT) | instid1(VALU_DEP_1)
	v_fma_f32 v102, -v92, v101, 1.0
	v_fmac_f32_e32 v101, v102, v101
	s_delay_alu instid0(VALU_DEP_1) | instskip(NEXT) | instid1(VALU_DEP_1)
	v_mul_f32_e32 v102, v103, v101
	v_fma_f32 v104, -v92, v102, v103
	s_delay_alu instid0(VALU_DEP_1) | instskip(NEXT) | instid1(VALU_DEP_1)
	v_fmac_f32_e32 v102, v104, v101
	v_fma_f32 v92, -v92, v102, v103
	s_delay_alu instid0(VALU_DEP_1) | instskip(NEXT) | instid1(VALU_DEP_1)
	v_div_fmas_f32 v92, v92, v101, v102
	v_div_fixup_f32 v93, v92, v93, 1.0
	s_delay_alu instid0(VALU_DEP_1)
	v_mul_f32_e32 v92, v95, v93
	v_xor_b32_e32 v93, 0x80000000, v93
.LBB84_658:
	s_and_not1_saveexec_b32 s1, s1
	s_cbranch_execz .LBB84_660
; %bb.659:
	s_delay_alu instid0(VALU_DEP_1) | instskip(SKIP_1) | instid1(VALU_DEP_2)
	v_div_scale_f32 v95, null, v92, v92, v93
	v_div_scale_f32 v103, vcc_lo, v93, v92, v93
	v_rcp_f32_e32 v101, v95
	v_nop
	s_delay_alu instid0(TRANS32_DEP_1) | instskip(NEXT) | instid1(VALU_DEP_1)
	v_fma_f32 v102, -v95, v101, 1.0
	v_fmac_f32_e32 v101, v102, v101
	s_delay_alu instid0(VALU_DEP_1) | instskip(NEXT) | instid1(VALU_DEP_1)
	v_mul_f32_e32 v102, v103, v101
	v_fma_f32 v104, -v95, v102, v103
	s_delay_alu instid0(VALU_DEP_1) | instskip(NEXT) | instid1(VALU_DEP_1)
	v_fmac_f32_e32 v102, v104, v101
	v_fma_f32 v95, -v95, v102, v103
	s_delay_alu instid0(VALU_DEP_1) | instskip(NEXT) | instid1(VALU_DEP_1)
	v_div_fmas_f32 v95, v95, v101, v102
	v_div_fixup_f32 v95, v95, v92, v93
	s_delay_alu instid0(VALU_DEP_1) | instskip(NEXT) | instid1(VALU_DEP_1)
	v_fmac_f32_e32 v92, v93, v95
	v_div_scale_f32 v93, null, v92, v92, 1.0
	s_delay_alu instid0(VALU_DEP_1) | instskip(SKIP_1) | instid1(TRANS32_DEP_1)
	v_rcp_f32_e32 v101, v93
	v_nop
	v_fma_f32 v102, -v93, v101, 1.0
	s_delay_alu instid0(VALU_DEP_1) | instskip(SKIP_1) | instid1(VALU_DEP_1)
	v_fmac_f32_e32 v101, v102, v101
	v_div_scale_f32 v102, vcc_lo, 1.0, v92, 1.0
	v_mul_f32_e32 v103, v102, v101
	s_delay_alu instid0(VALU_DEP_1) | instskip(NEXT) | instid1(VALU_DEP_1)
	v_fma_f32 v104, -v93, v103, v102
	v_fmac_f32_e32 v103, v104, v101
	s_delay_alu instid0(VALU_DEP_1) | instskip(NEXT) | instid1(VALU_DEP_1)
	v_fma_f32 v93, -v93, v103, v102
	v_div_fmas_f32 v93, v93, v101, v103
	s_delay_alu instid0(VALU_DEP_1) | instskip(NEXT) | instid1(VALU_DEP_1)
	v_div_fixup_f32 v92, v93, v92, 1.0
	v_mul_f32_e64 v93, v95, -v92
.LBB84_660:
	s_or_b32 exec_lo, exec_lo, s1
.LBB84_661:
	s_delay_alu instid0(SALU_CYCLE_1) | instskip(NEXT) | instid1(SALU_CYCLE_1)
	s_or_b32 exec_lo, exec_lo, s0
	s_mov_b32 s0, exec_lo
	v_cmpx_ne_u32_e64 v100, v94
	s_xor_b32 s0, exec_lo, s0
	s_cbranch_execz .LBB84_667
; %bb.662:
	s_mov_b32 s1, exec_lo
	v_cmpx_eq_u32_e32 31, v100
	s_cbranch_execz .LBB84_666
; %bb.663:
	v_cmp_ne_u32_e32 vcc_lo, 31, v94
	s_xor_b32 s15, s12, -1
	s_delay_alu instid0(SALU_CYCLE_1) | instskip(NEXT) | instid1(SALU_CYCLE_1)
	s_and_b32 s16, s15, vcc_lo
	s_and_saveexec_b32 s15, s16
	s_cbranch_execz .LBB84_665
; %bb.664:
	v_ashrrev_i32_e32 v95, 31, v94
	s_delay_alu instid0(VALU_DEP_1)
	v_lshl_add_u64 v[100:101], v[94:95], 2, v[4:5]
	s_clause 0x1
	global_load_b32 v95, v[100:101], off
	global_load_b32 v99, v[4:5], off offset:124
	s_wait_loadcnt 0x1
	global_store_b32 v[4:5], v95, off offset:124
	s_wait_loadcnt 0x0
	global_store_b32 v[100:101], v99, off
.LBB84_665:
	s_wait_xcnt 0x0
	s_or_b32 exec_lo, exec_lo, s15
	v_dual_mov_b32 v100, v94 :: v_dual_mov_b32 v99, v94
.LBB84_666:
	s_or_b32 exec_lo, exec_lo, s1
.LBB84_667:
	s_and_not1_saveexec_b32 s0, s0
	s_cbranch_execz .LBB84_669
; %bb.668:
	v_dual_mov_b32 v94, v88 :: v_dual_mov_b32 v95, v89
	v_dual_mov_b32 v100, v86 :: v_dual_mov_b32 v101, v87
	ds_store_2addr_b64 v96, v[94:95], v[100:101] offset0:32 offset1:33
	v_dual_mov_b32 v94, v60 :: v_dual_mov_b32 v95, v61
	v_dual_mov_b32 v100, v58 :: v_dual_mov_b32 v101, v59
	ds_store_2addr_b64 v96, v[94:95], v[100:101] offset0:34 offset1:35
	;; [unrolled: 3-line block ×5, first 2 shown]
	ds_store_b64 v96, v[90:91] offset:336
	v_mov_b32_e32 v100, 31
.LBB84_669:
	s_or_b32 exec_lo, exec_lo, s0
	s_delay_alu instid0(SALU_CYCLE_1)
	s_mov_b32 s0, exec_lo
	s_wait_storecnt_dscnt 0x0
	s_barrier_signal -1
	s_barrier_wait -1
	v_cmpx_lt_i32_e32 31, v100
	s_cbranch_execz .LBB84_671
; %bb.670:
	v_pk_mul_f32 v[94:95], v[92:93], v[48:49] op_sel:[1,1] op_sel_hi:[0,1]
	s_delay_alu instid0(VALU_DEP_1)
	v_pk_fma_f32 v[102:103], v[92:93], v[48:49], v[94:95] op_sel_hi:[1,0,1] neg_lo:[0,0,1] neg_hi:[0,0,1]
	v_pk_fma_f32 v[104:105], v[92:93], v[48:49], v[94:95] op_sel_hi:[1,0,1]
	ds_load_2addr_b64 v[92:95], v96 offset0:32 offset1:33
	v_dual_mov_b32 v48, v102 :: v_dual_mov_b32 v49, v105
	s_wait_dscnt 0x0
	v_pk_mul_f32 v[106:107], v[92:93], v[104:105] op_sel:[0,1]
	s_delay_alu instid0(VALU_DEP_1) | instskip(SKIP_1) | instid1(VALU_DEP_1)
	v_pk_fma_f32 v[108:109], v[92:93], v[102:103], v[106:107] op_sel:[0,0,1] op_sel_hi:[1,1,0] neg_lo:[0,0,1] neg_hi:[0,0,1]
	v_pk_fma_f32 v[92:93], v[92:93], v[102:103], v[106:107] op_sel:[0,0,1] op_sel_hi:[1,0,0]
	v_mov_b32_e32 v109, v93
	v_pk_mul_f32 v[92:93], v[94:95], v[104:105] op_sel:[0,1]
	s_delay_alu instid0(VALU_DEP_1) | instskip(SKIP_1) | instid1(VALU_DEP_1)
	v_pk_fma_f32 v[106:107], v[94:95], v[102:103], v[92:93] op_sel:[0,0,1] op_sel_hi:[1,1,0] neg_lo:[0,0,1] neg_hi:[0,0,1]
	v_pk_fma_f32 v[92:93], v[94:95], v[102:103], v[92:93] op_sel:[0,0,1] op_sel_hi:[1,0,0]
	v_mov_b32_e32 v107, v93
	ds_load_2addr_b64 v[92:95], v96 offset0:34 offset1:35
	v_pk_add_f32 v[88:89], v[88:89], v[108:109] neg_lo:[0,1] neg_hi:[0,1]
	v_pk_add_f32 v[86:87], v[86:87], v[106:107] neg_lo:[0,1] neg_hi:[0,1]
	s_wait_dscnt 0x0
	v_pk_mul_f32 v[106:107], v[92:93], v[104:105] op_sel:[0,1]
	s_delay_alu instid0(VALU_DEP_1) | instskip(SKIP_2) | instid1(VALU_DEP_2)
	v_pk_fma_f32 v[108:109], v[92:93], v[102:103], v[106:107] op_sel:[0,0,1] op_sel_hi:[1,1,0] neg_lo:[0,0,1] neg_hi:[0,0,1]
	v_pk_fma_f32 v[92:93], v[92:93], v[102:103], v[106:107] op_sel:[0,0,1] op_sel_hi:[1,0,0]
	v_dual_mul_f32 v106, v95, v105 :: v_dual_mov_b32 v92, v95
	v_dual_mov_b32 v109, v93 :: v_dual_mov_b32 v93, v94
	s_delay_alu instid0(VALU_DEP_2) | instskip(SKIP_1) | instid1(VALU_DEP_3)
	v_pk_fma_f32 v[106:107], v[94:95], v[48:49], v[106:107] op_sel_hi:[1,1,0] neg_lo:[0,0,1] neg_hi:[0,0,1]
	v_mul_f32_e32 v94, v95, v102
	v_pk_add_f32 v[60:61], v[60:61], v[108:109] neg_lo:[0,1] neg_hi:[0,1]
	s_delay_alu instid0(VALU_DEP_2) | instskip(NEXT) | instid1(VALU_DEP_1)
	v_pk_fma_f32 v[92:93], v[92:93], v[48:49], v[94:95] op_sel_hi:[1,1,0]
	v_mov_b32_e32 v107, v93
	ds_load_2addr_b64 v[92:95], v96 offset0:36 offset1:37
	v_pk_add_f32 v[58:59], v[58:59], v[106:107] neg_lo:[0,1] neg_hi:[0,1]
	s_wait_dscnt 0x0
	v_pk_mul_f32 v[106:107], v[92:93], v[104:105] op_sel:[0,1]
	s_delay_alu instid0(VALU_DEP_1) | instskip(SKIP_1) | instid1(VALU_DEP_1)
	v_pk_fma_f32 v[108:109], v[92:93], v[102:103], v[106:107] op_sel:[0,0,1] op_sel_hi:[1,1,0] neg_lo:[0,0,1] neg_hi:[0,0,1]
	v_pk_fma_f32 v[92:93], v[92:93], v[102:103], v[106:107] op_sel:[0,0,1] op_sel_hi:[1,0,0]
	v_mov_b32_e32 v109, v93
	v_pk_mul_f32 v[92:93], v[94:95], v[104:105] op_sel:[0,1]
	s_delay_alu instid0(VALU_DEP_1) | instskip(SKIP_1) | instid1(VALU_DEP_1)
	v_pk_fma_f32 v[106:107], v[94:95], v[102:103], v[92:93] op_sel:[0,0,1] op_sel_hi:[1,1,0] neg_lo:[0,0,1] neg_hi:[0,0,1]
	v_pk_fma_f32 v[92:93], v[94:95], v[102:103], v[92:93] op_sel:[0,0,1] op_sel_hi:[1,0,0]
	v_mov_b32_e32 v107, v93
	ds_load_2addr_b64 v[92:95], v96 offset0:38 offset1:39
	v_pk_add_f32 v[82:83], v[82:83], v[108:109] neg_lo:[0,1] neg_hi:[0,1]
	v_pk_add_f32 v[80:81], v[80:81], v[106:107] neg_lo:[0,1] neg_hi:[0,1]
	s_wait_dscnt 0x0
	v_pk_mul_f32 v[106:107], v[92:93], v[104:105] op_sel:[0,1]
	s_delay_alu instid0(VALU_DEP_1) | instskip(SKIP_1) | instid1(VALU_DEP_1)
	v_pk_fma_f32 v[108:109], v[92:93], v[102:103], v[106:107] op_sel:[0,0,1] op_sel_hi:[1,1,0] neg_lo:[0,0,1] neg_hi:[0,0,1]
	v_pk_fma_f32 v[92:93], v[92:93], v[102:103], v[106:107] op_sel:[0,0,1] op_sel_hi:[1,0,0]
	v_mov_b32_e32 v109, v93
	v_pk_mul_f32 v[92:93], v[94:95], v[104:105] op_sel:[0,1]
	s_delay_alu instid0(VALU_DEP_1) | instskip(SKIP_1) | instid1(VALU_DEP_1)
	v_pk_fma_f32 v[106:107], v[94:95], v[102:103], v[92:93] op_sel:[0,0,1] op_sel_hi:[1,1,0] neg_lo:[0,0,1] neg_hi:[0,0,1]
	v_pk_fma_f32 v[92:93], v[94:95], v[102:103], v[92:93] op_sel:[0,0,1] op_sel_hi:[1,0,0]
	v_mov_b32_e32 v107, v93
	ds_load_2addr_b64 v[92:95], v96 offset0:40 offset1:41
	v_pk_add_f32 v[64:65], v[64:65], v[108:109] neg_lo:[0,1] neg_hi:[0,1]
	v_pk_add_f32 v[62:63], v[62:63], v[106:107] neg_lo:[0,1] neg_hi:[0,1]
	s_wait_dscnt 0x0
	v_dual_mul_f32 v106, v93, v105 :: v_dual_mul_f32 v108, v93, v102
	s_delay_alu instid0(VALU_DEP_1) | instskip(NEXT) | instid1(VALU_DEP_2)
	v_pk_fma_f32 v[106:107], v[92:93], v[48:49], v[106:107] op_sel_hi:[1,1,0] neg_lo:[0,0,1] neg_hi:[0,0,1]
	v_pk_fma_f32 v[92:93], v[92:93], v[48:49], v[108:109] op_sel:[1,0,0] op_sel_hi:[0,1,0]
	s_delay_alu instid0(VALU_DEP_1) | instskip(SKIP_1) | instid1(VALU_DEP_2)
	v_mov_b32_e32 v107, v93
	v_pk_mul_f32 v[92:93], v[94:95], v[104:105] op_sel:[0,1]
	v_pk_add_f32 v[72:73], v[72:73], v[106:107] neg_lo:[0,1] neg_hi:[0,1]
	s_delay_alu instid0(VALU_DEP_2) | instskip(SKIP_1) | instid1(VALU_DEP_1)
	v_pk_fma_f32 v[106:107], v[94:95], v[102:103], v[92:93] op_sel:[0,0,1] op_sel_hi:[1,1,0] neg_lo:[0,0,1] neg_hi:[0,0,1]
	v_pk_fma_f32 v[92:93], v[94:95], v[102:103], v[92:93] op_sel:[0,0,1] op_sel_hi:[1,0,0]
	v_mov_b32_e32 v107, v93
	ds_load_b64 v[92:93], v96 offset:336
	v_pk_add_f32 v[70:71], v[70:71], v[106:107] neg_lo:[0,1] neg_hi:[0,1]
	s_wait_dscnt 0x0
	v_pk_mul_f32 v[94:95], v[92:93], v[104:105] op_sel:[0,1]
	s_delay_alu instid0(VALU_DEP_1) | instskip(SKIP_1) | instid1(VALU_DEP_1)
	v_pk_fma_f32 v[104:105], v[92:93], v[102:103], v[94:95] op_sel:[0,0,1] op_sel_hi:[1,1,0] neg_lo:[0,0,1] neg_hi:[0,0,1]
	v_pk_fma_f32 v[92:93], v[92:93], v[102:103], v[94:95] op_sel:[0,0,1] op_sel_hi:[1,0,0]
	v_mov_b32_e32 v105, v93
	s_delay_alu instid0(VALU_DEP_1)
	v_pk_add_f32 v[90:91], v[90:91], v[104:105] neg_lo:[0,1] neg_hi:[0,1]
.LBB84_671:
	s_or_b32 exec_lo, exec_lo, s0
	v_lshl_add_u32 v92, v100, 3, v96
	s_barrier_signal -1
	s_barrier_wait -1
	ds_store_b64 v92, v[88:89]
	s_wait_dscnt 0x0
	s_barrier_signal -1
	s_barrier_wait -1
	ds_load_b64 v[92:93], v96 offset:256
	v_mov_b32_e32 v94, 32
	s_cmp_lt_i32 s14, 34
	s_cbranch_scc1 .LBB84_674
; %bb.672:
	v_add3_u32 v95, v97, 0, 0x108
	v_mov_b32_e32 v94, 32
	s_mov_b32 s0, 33
.LBB84_673:                             ; =>This Inner Loop Header: Depth=1
	ds_load_b64 v[102:103], v95
	s_wait_dscnt 0x1
	v_cmp_gt_f32_e32 vcc_lo, 0, v92
	v_cndmask_b32_e64 v104, v92, -v92, vcc_lo
	v_cmp_gt_f32_e32 vcc_lo, 0, v93
	v_cndmask_b32_e64 v106, v93, -v93, vcc_lo
	s_wait_dscnt 0x0
	v_cmp_gt_f32_e32 vcc_lo, 0, v102
	v_cndmask_b32_e64 v105, v102, -v102, vcc_lo
	v_cmp_gt_f32_e32 vcc_lo, 0, v103
	v_cndmask_b32_e64 v107, v103, -v103, vcc_lo
	s_delay_alu instid0(VALU_DEP_1) | instskip(NEXT) | instid1(VALU_DEP_1)
	v_pk_add_f32 v[104:105], v[104:105], v[106:107]
	v_cmp_lt_f32_e32 vcc_lo, v104, v105
	v_dual_cndmask_b32 v92, v92, v102 :: v_dual_add_nc_u32 v95, 8, v95
	v_cndmask_b32_e32 v93, v93, v103, vcc_lo
	v_cndmask_b32_e64 v94, v94, s0, vcc_lo
	s_add_co_i32 s0, s0, 1
	s_delay_alu instid0(SALU_CYCLE_1)
	s_cmp_lg_u32 s14, s0
	s_cbranch_scc1 .LBB84_673
.LBB84_674:
	s_wait_dscnt 0x0
	v_cmp_eq_f32_e32 vcc_lo, 0, v92
	v_cmp_eq_f32_e64 s0, 0, v93
	s_and_b32 s0, vcc_lo, s0
	s_delay_alu instid0(SALU_CYCLE_1) | instskip(NEXT) | instid1(SALU_CYCLE_1)
	s_and_saveexec_b32 s1, s0
	s_xor_b32 s0, exec_lo, s1
; %bb.675:
	v_cmp_ne_u32_e32 vcc_lo, 0, v98
	v_cndmask_b32_e32 v98, 33, v98, vcc_lo
; %bb.676:
	s_and_not1_saveexec_b32 s0, s0
	s_cbranch_execz .LBB84_682
; %bb.677:
	v_cmp_ngt_f32_e64 s1, |v92|, |v93|
	s_and_saveexec_b32 s15, s1
	s_delay_alu instid0(SALU_CYCLE_1)
	s_xor_b32 s1, exec_lo, s15
	s_cbranch_execz .LBB84_679
; %bb.678:
	v_div_scale_f32 v95, null, v93, v93, v92
	v_div_scale_f32 v103, vcc_lo, v92, v93, v92
	s_delay_alu instid0(VALU_DEP_2) | instskip(SKIP_1) | instid1(TRANS32_DEP_1)
	v_rcp_f32_e32 v101, v95
	v_nop
	v_fma_f32 v102, -v95, v101, 1.0
	s_delay_alu instid0(VALU_DEP_1) | instskip(NEXT) | instid1(VALU_DEP_1)
	v_fmac_f32_e32 v101, v102, v101
	v_mul_f32_e32 v102, v103, v101
	s_delay_alu instid0(VALU_DEP_1) | instskip(NEXT) | instid1(VALU_DEP_1)
	v_fma_f32 v104, -v95, v102, v103
	v_fmac_f32_e32 v102, v104, v101
	s_delay_alu instid0(VALU_DEP_1) | instskip(NEXT) | instid1(VALU_DEP_1)
	v_fma_f32 v95, -v95, v102, v103
	v_div_fmas_f32 v95, v95, v101, v102
	s_delay_alu instid0(VALU_DEP_1) | instskip(NEXT) | instid1(VALU_DEP_1)
	v_div_fixup_f32 v95, v95, v93, v92
	v_fmac_f32_e32 v93, v92, v95
	s_delay_alu instid0(VALU_DEP_1) | instskip(SKIP_1) | instid1(VALU_DEP_2)
	v_div_scale_f32 v92, null, v93, v93, 1.0
	v_div_scale_f32 v103, vcc_lo, 1.0, v93, 1.0
	v_rcp_f32_e32 v101, v92
	v_nop
	s_delay_alu instid0(TRANS32_DEP_1) | instskip(NEXT) | instid1(VALU_DEP_1)
	v_fma_f32 v102, -v92, v101, 1.0
	v_fmac_f32_e32 v101, v102, v101
	s_delay_alu instid0(VALU_DEP_1) | instskip(NEXT) | instid1(VALU_DEP_1)
	v_mul_f32_e32 v102, v103, v101
	v_fma_f32 v104, -v92, v102, v103
	s_delay_alu instid0(VALU_DEP_1) | instskip(NEXT) | instid1(VALU_DEP_1)
	v_fmac_f32_e32 v102, v104, v101
	v_fma_f32 v92, -v92, v102, v103
	s_delay_alu instid0(VALU_DEP_1) | instskip(NEXT) | instid1(VALU_DEP_1)
	v_div_fmas_f32 v92, v92, v101, v102
	v_div_fixup_f32 v93, v92, v93, 1.0
	s_delay_alu instid0(VALU_DEP_1)
	v_mul_f32_e32 v92, v95, v93
	v_xor_b32_e32 v93, 0x80000000, v93
.LBB84_679:
	s_and_not1_saveexec_b32 s1, s1
	s_cbranch_execz .LBB84_681
; %bb.680:
	s_delay_alu instid0(VALU_DEP_1) | instskip(SKIP_1) | instid1(VALU_DEP_2)
	v_div_scale_f32 v95, null, v92, v92, v93
	v_div_scale_f32 v103, vcc_lo, v93, v92, v93
	v_rcp_f32_e32 v101, v95
	v_nop
	s_delay_alu instid0(TRANS32_DEP_1) | instskip(NEXT) | instid1(VALU_DEP_1)
	v_fma_f32 v102, -v95, v101, 1.0
	v_fmac_f32_e32 v101, v102, v101
	s_delay_alu instid0(VALU_DEP_1) | instskip(NEXT) | instid1(VALU_DEP_1)
	v_mul_f32_e32 v102, v103, v101
	v_fma_f32 v104, -v95, v102, v103
	s_delay_alu instid0(VALU_DEP_1) | instskip(NEXT) | instid1(VALU_DEP_1)
	v_fmac_f32_e32 v102, v104, v101
	v_fma_f32 v95, -v95, v102, v103
	s_delay_alu instid0(VALU_DEP_1) | instskip(NEXT) | instid1(VALU_DEP_1)
	v_div_fmas_f32 v95, v95, v101, v102
	v_div_fixup_f32 v95, v95, v92, v93
	s_delay_alu instid0(VALU_DEP_1) | instskip(NEXT) | instid1(VALU_DEP_1)
	v_fmac_f32_e32 v92, v93, v95
	v_div_scale_f32 v93, null, v92, v92, 1.0
	s_delay_alu instid0(VALU_DEP_1) | instskip(SKIP_1) | instid1(TRANS32_DEP_1)
	v_rcp_f32_e32 v101, v93
	v_nop
	v_fma_f32 v102, -v93, v101, 1.0
	s_delay_alu instid0(VALU_DEP_1) | instskip(SKIP_1) | instid1(VALU_DEP_1)
	v_fmac_f32_e32 v101, v102, v101
	v_div_scale_f32 v102, vcc_lo, 1.0, v92, 1.0
	v_mul_f32_e32 v103, v102, v101
	s_delay_alu instid0(VALU_DEP_1) | instskip(NEXT) | instid1(VALU_DEP_1)
	v_fma_f32 v104, -v93, v103, v102
	v_fmac_f32_e32 v103, v104, v101
	s_delay_alu instid0(VALU_DEP_1) | instskip(NEXT) | instid1(VALU_DEP_1)
	v_fma_f32 v93, -v93, v103, v102
	v_div_fmas_f32 v93, v93, v101, v103
	s_delay_alu instid0(VALU_DEP_1) | instskip(NEXT) | instid1(VALU_DEP_1)
	v_div_fixup_f32 v92, v93, v92, 1.0
	v_mul_f32_e64 v93, v95, -v92
.LBB84_681:
	s_or_b32 exec_lo, exec_lo, s1
.LBB84_682:
	s_delay_alu instid0(SALU_CYCLE_1) | instskip(NEXT) | instid1(SALU_CYCLE_1)
	s_or_b32 exec_lo, exec_lo, s0
	s_mov_b32 s0, exec_lo
	v_cmpx_ne_u32_e64 v100, v94
	s_xor_b32 s0, exec_lo, s0
	s_cbranch_execz .LBB84_688
; %bb.683:
	s_mov_b32 s1, exec_lo
	v_cmpx_eq_u32_e32 32, v100
	s_cbranch_execz .LBB84_687
; %bb.684:
	v_cmp_ne_u32_e32 vcc_lo, 32, v94
	s_xor_b32 s15, s12, -1
	s_delay_alu instid0(SALU_CYCLE_1) | instskip(NEXT) | instid1(SALU_CYCLE_1)
	s_and_b32 s16, s15, vcc_lo
	s_and_saveexec_b32 s15, s16
	s_cbranch_execz .LBB84_686
; %bb.685:
	v_ashrrev_i32_e32 v95, 31, v94
	s_delay_alu instid0(VALU_DEP_1)
	v_lshl_add_u64 v[100:101], v[94:95], 2, v[4:5]
	s_clause 0x1
	global_load_b32 v95, v[100:101], off
	global_load_b32 v99, v[4:5], off offset:128
	s_wait_loadcnt 0x1
	global_store_b32 v[4:5], v95, off offset:128
	s_wait_loadcnt 0x0
	global_store_b32 v[100:101], v99, off
.LBB84_686:
	s_wait_xcnt 0x0
	s_or_b32 exec_lo, exec_lo, s15
	v_dual_mov_b32 v100, v94 :: v_dual_mov_b32 v99, v94
.LBB84_687:
	s_or_b32 exec_lo, exec_lo, s1
.LBB84_688:
	s_and_not1_saveexec_b32 s0, s0
	s_cbranch_execz .LBB84_690
; %bb.689:
	v_mov_b32_e32 v100, 32
	ds_store_2addr_b64 v96, v[86:87], v[60:61] offset0:33 offset1:34
	ds_store_2addr_b64 v96, v[58:59], v[82:83] offset0:35 offset1:36
	;; [unrolled: 1-line block ×5, first 2 shown]
.LBB84_690:
	s_or_b32 exec_lo, exec_lo, s0
	s_delay_alu instid0(SALU_CYCLE_1)
	s_mov_b32 s0, exec_lo
	s_wait_storecnt_dscnt 0x0
	s_barrier_signal -1
	s_barrier_wait -1
	v_cmpx_lt_i32_e32 32, v100
	s_cbranch_execz .LBB84_692
; %bb.691:
	v_pk_mul_f32 v[94:95], v[92:93], v[88:89] op_sel:[1,1] op_sel_hi:[0,1]
	s_delay_alu instid0(VALU_DEP_1)
	v_pk_fma_f32 v[102:103], v[92:93], v[88:89], v[94:95] op_sel_hi:[1,0,1] neg_lo:[0,0,1] neg_hi:[0,0,1]
	v_pk_fma_f32 v[104:105], v[92:93], v[88:89], v[94:95] op_sel_hi:[1,0,1]
	ds_load_2addr_b64 v[92:95], v96 offset0:33 offset1:34
	v_dual_mov_b32 v88, v102 :: v_dual_mov_b32 v89, v105
	s_wait_dscnt 0x0
	v_pk_mul_f32 v[106:107], v[92:93], v[104:105] op_sel:[0,1]
	s_delay_alu instid0(VALU_DEP_1) | instskip(SKIP_1) | instid1(VALU_DEP_1)
	v_pk_fma_f32 v[108:109], v[92:93], v[102:103], v[106:107] op_sel:[0,0,1] op_sel_hi:[1,1,0] neg_lo:[0,0,1] neg_hi:[0,0,1]
	v_pk_fma_f32 v[92:93], v[92:93], v[102:103], v[106:107] op_sel:[0,0,1] op_sel_hi:[1,0,0]
	v_mov_b32_e32 v109, v93
	v_pk_mul_f32 v[92:93], v[94:95], v[104:105] op_sel:[0,1]
	s_delay_alu instid0(VALU_DEP_1) | instskip(SKIP_1) | instid1(VALU_DEP_1)
	v_pk_fma_f32 v[106:107], v[94:95], v[102:103], v[92:93] op_sel:[0,0,1] op_sel_hi:[1,1,0] neg_lo:[0,0,1] neg_hi:[0,0,1]
	v_pk_fma_f32 v[92:93], v[94:95], v[102:103], v[92:93] op_sel:[0,0,1] op_sel_hi:[1,0,0]
	v_mov_b32_e32 v107, v93
	ds_load_2addr_b64 v[92:95], v96 offset0:35 offset1:36
	v_pk_add_f32 v[86:87], v[86:87], v[108:109] neg_lo:[0,1] neg_hi:[0,1]
	v_pk_add_f32 v[60:61], v[60:61], v[106:107] neg_lo:[0,1] neg_hi:[0,1]
	s_wait_dscnt 0x0
	v_pk_mul_f32 v[106:107], v[92:93], v[104:105] op_sel:[0,1]
	s_delay_alu instid0(VALU_DEP_1) | instskip(SKIP_2) | instid1(VALU_DEP_2)
	v_pk_fma_f32 v[108:109], v[92:93], v[102:103], v[106:107] op_sel:[0,0,1] op_sel_hi:[1,1,0] neg_lo:[0,0,1] neg_hi:[0,0,1]
	v_pk_fma_f32 v[92:93], v[92:93], v[102:103], v[106:107] op_sel:[0,0,1] op_sel_hi:[1,0,0]
	v_dual_mul_f32 v106, v95, v105 :: v_dual_mov_b32 v92, v95
	v_dual_mov_b32 v109, v93 :: v_dual_mov_b32 v93, v94
	s_delay_alu instid0(VALU_DEP_2) | instskip(SKIP_1) | instid1(VALU_DEP_3)
	v_pk_fma_f32 v[106:107], v[94:95], v[88:89], v[106:107] op_sel_hi:[1,1,0] neg_lo:[0,0,1] neg_hi:[0,0,1]
	v_mul_f32_e32 v94, v95, v102
	v_pk_add_f32 v[58:59], v[58:59], v[108:109] neg_lo:[0,1] neg_hi:[0,1]
	s_delay_alu instid0(VALU_DEP_2) | instskip(NEXT) | instid1(VALU_DEP_1)
	v_pk_fma_f32 v[92:93], v[92:93], v[88:89], v[94:95] op_sel_hi:[1,1,0]
	v_mov_b32_e32 v107, v93
	ds_load_2addr_b64 v[92:95], v96 offset0:37 offset1:38
	v_pk_add_f32 v[82:83], v[82:83], v[106:107] neg_lo:[0,1] neg_hi:[0,1]
	s_wait_dscnt 0x0
	v_pk_mul_f32 v[106:107], v[92:93], v[104:105] op_sel:[0,1]
	s_delay_alu instid0(VALU_DEP_1) | instskip(SKIP_1) | instid1(VALU_DEP_1)
	v_pk_fma_f32 v[108:109], v[92:93], v[102:103], v[106:107] op_sel:[0,0,1] op_sel_hi:[1,1,0] neg_lo:[0,0,1] neg_hi:[0,0,1]
	v_pk_fma_f32 v[92:93], v[92:93], v[102:103], v[106:107] op_sel:[0,0,1] op_sel_hi:[1,0,0]
	v_mov_b32_e32 v109, v93
	v_pk_mul_f32 v[92:93], v[94:95], v[104:105] op_sel:[0,1]
	s_delay_alu instid0(VALU_DEP_1) | instskip(SKIP_1) | instid1(VALU_DEP_1)
	v_pk_fma_f32 v[106:107], v[94:95], v[102:103], v[92:93] op_sel:[0,0,1] op_sel_hi:[1,1,0] neg_lo:[0,0,1] neg_hi:[0,0,1]
	v_pk_fma_f32 v[92:93], v[94:95], v[102:103], v[92:93] op_sel:[0,0,1] op_sel_hi:[1,0,0]
	v_mov_b32_e32 v107, v93
	ds_load_2addr_b64 v[92:95], v96 offset0:39 offset1:40
	v_pk_add_f32 v[80:81], v[80:81], v[108:109] neg_lo:[0,1] neg_hi:[0,1]
	v_pk_add_f32 v[64:65], v[64:65], v[106:107] neg_lo:[0,1] neg_hi:[0,1]
	s_wait_dscnt 0x0
	v_pk_mul_f32 v[106:107], v[92:93], v[104:105] op_sel:[0,1]
	s_delay_alu instid0(VALU_DEP_1) | instskip(SKIP_1) | instid1(VALU_DEP_1)
	v_pk_fma_f32 v[108:109], v[92:93], v[102:103], v[106:107] op_sel:[0,0,1] op_sel_hi:[1,1,0] neg_lo:[0,0,1] neg_hi:[0,0,1]
	v_pk_fma_f32 v[92:93], v[92:93], v[102:103], v[106:107] op_sel:[0,0,1] op_sel_hi:[1,0,0]
	v_mov_b32_e32 v109, v93
	v_pk_mul_f32 v[92:93], v[94:95], v[104:105] op_sel:[0,1]
	s_delay_alu instid0(VALU_DEP_1) | instskip(SKIP_1) | instid1(VALU_DEP_1)
	v_pk_fma_f32 v[106:107], v[94:95], v[102:103], v[92:93] op_sel:[0,0,1] op_sel_hi:[1,1,0] neg_lo:[0,0,1] neg_hi:[0,0,1]
	v_pk_fma_f32 v[92:93], v[94:95], v[102:103], v[92:93] op_sel:[0,0,1] op_sel_hi:[1,0,0]
	v_mov_b32_e32 v107, v93
	ds_load_2addr_b64 v[92:95], v96 offset0:41 offset1:42
	v_pk_add_f32 v[62:63], v[62:63], v[108:109] neg_lo:[0,1] neg_hi:[0,1]
	v_pk_add_f32 v[72:73], v[72:73], v[106:107] neg_lo:[0,1] neg_hi:[0,1]
	s_wait_dscnt 0x0
	v_dual_mul_f32 v106, v93, v105 :: v_dual_mul_f32 v108, v93, v102
	s_delay_alu instid0(VALU_DEP_1) | instskip(NEXT) | instid1(VALU_DEP_2)
	v_pk_fma_f32 v[106:107], v[92:93], v[88:89], v[106:107] op_sel_hi:[1,1,0] neg_lo:[0,0,1] neg_hi:[0,0,1]
	v_pk_fma_f32 v[92:93], v[92:93], v[88:89], v[108:109] op_sel:[1,0,0] op_sel_hi:[0,1,0]
	s_delay_alu instid0(VALU_DEP_1) | instskip(SKIP_1) | instid1(VALU_DEP_1)
	v_mov_b32_e32 v107, v93
	v_pk_mul_f32 v[92:93], v[94:95], v[104:105] op_sel:[0,1]
	v_pk_fma_f32 v[104:105], v[94:95], v[102:103], v[92:93] op_sel:[0,0,1] op_sel_hi:[1,1,0] neg_lo:[0,0,1] neg_hi:[0,0,1]
	v_pk_fma_f32 v[92:93], v[94:95], v[102:103], v[92:93] op_sel:[0,0,1] op_sel_hi:[1,0,0]
	s_delay_alu instid0(VALU_DEP_1) | instskip(SKIP_1) | instid1(VALU_DEP_2)
	v_mov_b32_e32 v105, v93
	v_pk_add_f32 v[70:71], v[70:71], v[106:107] neg_lo:[0,1] neg_hi:[0,1]
	v_pk_add_f32 v[90:91], v[90:91], v[104:105] neg_lo:[0,1] neg_hi:[0,1]
.LBB84_692:
	s_or_b32 exec_lo, exec_lo, s0
	v_lshl_add_u32 v92, v100, 3, v96
	s_barrier_signal -1
	s_barrier_wait -1
	ds_store_b64 v92, v[86:87]
	s_wait_dscnt 0x0
	s_barrier_signal -1
	s_barrier_wait -1
	ds_load_b64 v[92:93], v96 offset:264
	v_mov_b32_e32 v94, 33
	s_cmp_lt_i32 s14, 35
	s_cbranch_scc1 .LBB84_695
; %bb.693:
	v_add3_u32 v95, v97, 0, 0x110
	v_mov_b32_e32 v94, 33
	s_mov_b32 s0, 34
.LBB84_694:                             ; =>This Inner Loop Header: Depth=1
	ds_load_b64 v[102:103], v95
	s_wait_dscnt 0x1
	v_cmp_gt_f32_e32 vcc_lo, 0, v92
	v_cndmask_b32_e64 v104, v92, -v92, vcc_lo
	v_cmp_gt_f32_e32 vcc_lo, 0, v93
	v_cndmask_b32_e64 v106, v93, -v93, vcc_lo
	s_wait_dscnt 0x0
	v_cmp_gt_f32_e32 vcc_lo, 0, v102
	v_cndmask_b32_e64 v105, v102, -v102, vcc_lo
	v_cmp_gt_f32_e32 vcc_lo, 0, v103
	v_cndmask_b32_e64 v107, v103, -v103, vcc_lo
	s_delay_alu instid0(VALU_DEP_1) | instskip(NEXT) | instid1(VALU_DEP_1)
	v_pk_add_f32 v[104:105], v[104:105], v[106:107]
	v_cmp_lt_f32_e32 vcc_lo, v104, v105
	v_dual_cndmask_b32 v92, v92, v102 :: v_dual_add_nc_u32 v95, 8, v95
	v_cndmask_b32_e32 v93, v93, v103, vcc_lo
	v_cndmask_b32_e64 v94, v94, s0, vcc_lo
	s_add_co_i32 s0, s0, 1
	s_delay_alu instid0(SALU_CYCLE_1)
	s_cmp_lg_u32 s14, s0
	s_cbranch_scc1 .LBB84_694
.LBB84_695:
	s_wait_dscnt 0x0
	v_cmp_eq_f32_e32 vcc_lo, 0, v92
	v_cmp_eq_f32_e64 s0, 0, v93
	s_and_b32 s0, vcc_lo, s0
	s_delay_alu instid0(SALU_CYCLE_1) | instskip(NEXT) | instid1(SALU_CYCLE_1)
	s_and_saveexec_b32 s1, s0
	s_xor_b32 s0, exec_lo, s1
; %bb.696:
	v_cmp_ne_u32_e32 vcc_lo, 0, v98
	v_cndmask_b32_e32 v98, 34, v98, vcc_lo
; %bb.697:
	s_and_not1_saveexec_b32 s0, s0
	s_cbranch_execz .LBB84_703
; %bb.698:
	v_cmp_ngt_f32_e64 s1, |v92|, |v93|
	s_and_saveexec_b32 s15, s1
	s_delay_alu instid0(SALU_CYCLE_1)
	s_xor_b32 s1, exec_lo, s15
	s_cbranch_execz .LBB84_700
; %bb.699:
	v_div_scale_f32 v95, null, v93, v93, v92
	v_div_scale_f32 v103, vcc_lo, v92, v93, v92
	s_delay_alu instid0(VALU_DEP_2) | instskip(SKIP_1) | instid1(TRANS32_DEP_1)
	v_rcp_f32_e32 v101, v95
	v_nop
	v_fma_f32 v102, -v95, v101, 1.0
	s_delay_alu instid0(VALU_DEP_1) | instskip(NEXT) | instid1(VALU_DEP_1)
	v_fmac_f32_e32 v101, v102, v101
	v_mul_f32_e32 v102, v103, v101
	s_delay_alu instid0(VALU_DEP_1) | instskip(NEXT) | instid1(VALU_DEP_1)
	v_fma_f32 v104, -v95, v102, v103
	v_fmac_f32_e32 v102, v104, v101
	s_delay_alu instid0(VALU_DEP_1) | instskip(NEXT) | instid1(VALU_DEP_1)
	v_fma_f32 v95, -v95, v102, v103
	v_div_fmas_f32 v95, v95, v101, v102
	s_delay_alu instid0(VALU_DEP_1) | instskip(NEXT) | instid1(VALU_DEP_1)
	v_div_fixup_f32 v95, v95, v93, v92
	v_fmac_f32_e32 v93, v92, v95
	s_delay_alu instid0(VALU_DEP_1) | instskip(SKIP_1) | instid1(VALU_DEP_2)
	v_div_scale_f32 v92, null, v93, v93, 1.0
	v_div_scale_f32 v103, vcc_lo, 1.0, v93, 1.0
	v_rcp_f32_e32 v101, v92
	v_nop
	s_delay_alu instid0(TRANS32_DEP_1) | instskip(NEXT) | instid1(VALU_DEP_1)
	v_fma_f32 v102, -v92, v101, 1.0
	v_fmac_f32_e32 v101, v102, v101
	s_delay_alu instid0(VALU_DEP_1) | instskip(NEXT) | instid1(VALU_DEP_1)
	v_mul_f32_e32 v102, v103, v101
	v_fma_f32 v104, -v92, v102, v103
	s_delay_alu instid0(VALU_DEP_1) | instskip(NEXT) | instid1(VALU_DEP_1)
	v_fmac_f32_e32 v102, v104, v101
	v_fma_f32 v92, -v92, v102, v103
	s_delay_alu instid0(VALU_DEP_1) | instskip(NEXT) | instid1(VALU_DEP_1)
	v_div_fmas_f32 v92, v92, v101, v102
	v_div_fixup_f32 v93, v92, v93, 1.0
	s_delay_alu instid0(VALU_DEP_1)
	v_mul_f32_e32 v92, v95, v93
	v_xor_b32_e32 v93, 0x80000000, v93
.LBB84_700:
	s_and_not1_saveexec_b32 s1, s1
	s_cbranch_execz .LBB84_702
; %bb.701:
	s_delay_alu instid0(VALU_DEP_1) | instskip(SKIP_1) | instid1(VALU_DEP_2)
	v_div_scale_f32 v95, null, v92, v92, v93
	v_div_scale_f32 v103, vcc_lo, v93, v92, v93
	v_rcp_f32_e32 v101, v95
	v_nop
	s_delay_alu instid0(TRANS32_DEP_1) | instskip(NEXT) | instid1(VALU_DEP_1)
	v_fma_f32 v102, -v95, v101, 1.0
	v_fmac_f32_e32 v101, v102, v101
	s_delay_alu instid0(VALU_DEP_1) | instskip(NEXT) | instid1(VALU_DEP_1)
	v_mul_f32_e32 v102, v103, v101
	v_fma_f32 v104, -v95, v102, v103
	s_delay_alu instid0(VALU_DEP_1) | instskip(NEXT) | instid1(VALU_DEP_1)
	v_fmac_f32_e32 v102, v104, v101
	v_fma_f32 v95, -v95, v102, v103
	s_delay_alu instid0(VALU_DEP_1) | instskip(NEXT) | instid1(VALU_DEP_1)
	v_div_fmas_f32 v95, v95, v101, v102
	v_div_fixup_f32 v95, v95, v92, v93
	s_delay_alu instid0(VALU_DEP_1) | instskip(NEXT) | instid1(VALU_DEP_1)
	v_fmac_f32_e32 v92, v93, v95
	v_div_scale_f32 v93, null, v92, v92, 1.0
	s_delay_alu instid0(VALU_DEP_1) | instskip(SKIP_1) | instid1(TRANS32_DEP_1)
	v_rcp_f32_e32 v101, v93
	v_nop
	v_fma_f32 v102, -v93, v101, 1.0
	s_delay_alu instid0(VALU_DEP_1) | instskip(SKIP_1) | instid1(VALU_DEP_1)
	v_fmac_f32_e32 v101, v102, v101
	v_div_scale_f32 v102, vcc_lo, 1.0, v92, 1.0
	v_mul_f32_e32 v103, v102, v101
	s_delay_alu instid0(VALU_DEP_1) | instskip(NEXT) | instid1(VALU_DEP_1)
	v_fma_f32 v104, -v93, v103, v102
	v_fmac_f32_e32 v103, v104, v101
	s_delay_alu instid0(VALU_DEP_1) | instskip(NEXT) | instid1(VALU_DEP_1)
	v_fma_f32 v93, -v93, v103, v102
	v_div_fmas_f32 v93, v93, v101, v103
	s_delay_alu instid0(VALU_DEP_1) | instskip(NEXT) | instid1(VALU_DEP_1)
	v_div_fixup_f32 v92, v93, v92, 1.0
	v_mul_f32_e64 v93, v95, -v92
.LBB84_702:
	s_or_b32 exec_lo, exec_lo, s1
.LBB84_703:
	s_delay_alu instid0(SALU_CYCLE_1) | instskip(NEXT) | instid1(SALU_CYCLE_1)
	s_or_b32 exec_lo, exec_lo, s0
	s_mov_b32 s0, exec_lo
	v_cmpx_ne_u32_e64 v100, v94
	s_xor_b32 s0, exec_lo, s0
	s_cbranch_execz .LBB84_709
; %bb.704:
	s_mov_b32 s1, exec_lo
	v_cmpx_eq_u32_e32 33, v100
	s_cbranch_execz .LBB84_708
; %bb.705:
	v_cmp_ne_u32_e32 vcc_lo, 33, v94
	s_xor_b32 s15, s12, -1
	s_delay_alu instid0(SALU_CYCLE_1) | instskip(NEXT) | instid1(SALU_CYCLE_1)
	s_and_b32 s16, s15, vcc_lo
	s_and_saveexec_b32 s15, s16
	s_cbranch_execz .LBB84_707
; %bb.706:
	v_ashrrev_i32_e32 v95, 31, v94
	s_delay_alu instid0(VALU_DEP_1)
	v_lshl_add_u64 v[100:101], v[94:95], 2, v[4:5]
	s_clause 0x1
	global_load_b32 v95, v[100:101], off
	global_load_b32 v99, v[4:5], off offset:132
	s_wait_loadcnt 0x1
	global_store_b32 v[4:5], v95, off offset:132
	s_wait_loadcnt 0x0
	global_store_b32 v[100:101], v99, off
.LBB84_707:
	s_wait_xcnt 0x0
	s_or_b32 exec_lo, exec_lo, s15
	v_dual_mov_b32 v100, v94 :: v_dual_mov_b32 v99, v94
.LBB84_708:
	s_or_b32 exec_lo, exec_lo, s1
.LBB84_709:
	s_and_not1_saveexec_b32 s0, s0
	s_cbranch_execz .LBB84_711
; %bb.710:
	v_dual_mov_b32 v94, v60 :: v_dual_mov_b32 v95, v61
	v_dual_mov_b32 v100, v58 :: v_dual_mov_b32 v101, v59
	ds_store_2addr_b64 v96, v[94:95], v[100:101] offset0:34 offset1:35
	v_dual_mov_b32 v94, v82 :: v_dual_mov_b32 v95, v83
	v_dual_mov_b32 v100, v80 :: v_dual_mov_b32 v101, v81
	ds_store_2addr_b64 v96, v[94:95], v[100:101] offset0:36 offset1:37
	;; [unrolled: 3-line block ×4, first 2 shown]
	ds_store_b64 v96, v[90:91] offset:336
	v_mov_b32_e32 v100, 33
.LBB84_711:
	s_or_b32 exec_lo, exec_lo, s0
	s_delay_alu instid0(SALU_CYCLE_1)
	s_mov_b32 s0, exec_lo
	s_wait_storecnt_dscnt 0x0
	s_barrier_signal -1
	s_barrier_wait -1
	v_cmpx_lt_i32_e32 33, v100
	s_cbranch_execz .LBB84_713
; %bb.712:
	v_pk_mul_f32 v[94:95], v[92:93], v[86:87] op_sel:[1,1] op_sel_hi:[0,1]
	s_delay_alu instid0(VALU_DEP_1)
	v_pk_fma_f32 v[102:103], v[92:93], v[86:87], v[94:95] op_sel_hi:[1,0,1] neg_lo:[0,0,1] neg_hi:[0,0,1]
	v_pk_fma_f32 v[104:105], v[92:93], v[86:87], v[94:95] op_sel_hi:[1,0,1]
	ds_load_2addr_b64 v[92:95], v96 offset0:34 offset1:35
	v_dual_mov_b32 v86, v102 :: v_dual_mov_b32 v87, v105
	s_wait_dscnt 0x0
	v_pk_mul_f32 v[106:107], v[92:93], v[104:105] op_sel:[0,1]
	s_delay_alu instid0(VALU_DEP_1) | instskip(SKIP_1) | instid1(VALU_DEP_1)
	v_pk_fma_f32 v[108:109], v[92:93], v[102:103], v[106:107] op_sel:[0,0,1] op_sel_hi:[1,1,0] neg_lo:[0,0,1] neg_hi:[0,0,1]
	v_pk_fma_f32 v[92:93], v[92:93], v[102:103], v[106:107] op_sel:[0,0,1] op_sel_hi:[1,0,0]
	v_mov_b32_e32 v109, v93
	v_pk_mul_f32 v[92:93], v[94:95], v[104:105] op_sel:[0,1]
	s_delay_alu instid0(VALU_DEP_1) | instskip(SKIP_1) | instid1(VALU_DEP_1)
	v_pk_fma_f32 v[106:107], v[94:95], v[102:103], v[92:93] op_sel:[0,0,1] op_sel_hi:[1,1,0] neg_lo:[0,0,1] neg_hi:[0,0,1]
	v_pk_fma_f32 v[92:93], v[94:95], v[102:103], v[92:93] op_sel:[0,0,1] op_sel_hi:[1,0,0]
	v_mov_b32_e32 v107, v93
	ds_load_2addr_b64 v[92:95], v96 offset0:36 offset1:37
	v_pk_add_f32 v[60:61], v[60:61], v[108:109] neg_lo:[0,1] neg_hi:[0,1]
	v_pk_add_f32 v[58:59], v[58:59], v[106:107] neg_lo:[0,1] neg_hi:[0,1]
	s_wait_dscnt 0x0
	v_pk_mul_f32 v[106:107], v[92:93], v[104:105] op_sel:[0,1]
	s_delay_alu instid0(VALU_DEP_1) | instskip(SKIP_2) | instid1(VALU_DEP_2)
	v_pk_fma_f32 v[108:109], v[92:93], v[102:103], v[106:107] op_sel:[0,0,1] op_sel_hi:[1,1,0] neg_lo:[0,0,1] neg_hi:[0,0,1]
	v_pk_fma_f32 v[92:93], v[92:93], v[102:103], v[106:107] op_sel:[0,0,1] op_sel_hi:[1,0,0]
	v_dual_mul_f32 v106, v95, v105 :: v_dual_mov_b32 v92, v95
	v_dual_mov_b32 v109, v93 :: v_dual_mov_b32 v93, v94
	s_delay_alu instid0(VALU_DEP_2) | instskip(SKIP_1) | instid1(VALU_DEP_3)
	v_pk_fma_f32 v[106:107], v[94:95], v[86:87], v[106:107] op_sel_hi:[1,1,0] neg_lo:[0,0,1] neg_hi:[0,0,1]
	v_mul_f32_e32 v94, v95, v102
	v_pk_add_f32 v[82:83], v[82:83], v[108:109] neg_lo:[0,1] neg_hi:[0,1]
	s_delay_alu instid0(VALU_DEP_2) | instskip(NEXT) | instid1(VALU_DEP_1)
	v_pk_fma_f32 v[92:93], v[92:93], v[86:87], v[94:95] op_sel_hi:[1,1,0]
	v_mov_b32_e32 v107, v93
	ds_load_2addr_b64 v[92:95], v96 offset0:38 offset1:39
	v_pk_add_f32 v[80:81], v[80:81], v[106:107] neg_lo:[0,1] neg_hi:[0,1]
	s_wait_dscnt 0x0
	v_pk_mul_f32 v[106:107], v[92:93], v[104:105] op_sel:[0,1]
	s_delay_alu instid0(VALU_DEP_1) | instskip(SKIP_1) | instid1(VALU_DEP_1)
	v_pk_fma_f32 v[108:109], v[92:93], v[102:103], v[106:107] op_sel:[0,0,1] op_sel_hi:[1,1,0] neg_lo:[0,0,1] neg_hi:[0,0,1]
	v_pk_fma_f32 v[92:93], v[92:93], v[102:103], v[106:107] op_sel:[0,0,1] op_sel_hi:[1,0,0]
	v_mov_b32_e32 v109, v93
	v_pk_mul_f32 v[92:93], v[94:95], v[104:105] op_sel:[0,1]
	s_delay_alu instid0(VALU_DEP_1) | instskip(SKIP_1) | instid1(VALU_DEP_1)
	v_pk_fma_f32 v[106:107], v[94:95], v[102:103], v[92:93] op_sel:[0,0,1] op_sel_hi:[1,1,0] neg_lo:[0,0,1] neg_hi:[0,0,1]
	v_pk_fma_f32 v[92:93], v[94:95], v[102:103], v[92:93] op_sel:[0,0,1] op_sel_hi:[1,0,0]
	v_mov_b32_e32 v107, v93
	ds_load_2addr_b64 v[92:95], v96 offset0:40 offset1:41
	v_pk_add_f32 v[64:65], v[64:65], v[108:109] neg_lo:[0,1] neg_hi:[0,1]
	v_pk_add_f32 v[62:63], v[62:63], v[106:107] neg_lo:[0,1] neg_hi:[0,1]
	s_wait_dscnt 0x0
	v_pk_mul_f32 v[106:107], v[92:93], v[104:105] op_sel:[0,1]
	s_delay_alu instid0(VALU_DEP_1) | instskip(SKIP_1) | instid1(VALU_DEP_1)
	v_pk_fma_f32 v[108:109], v[92:93], v[102:103], v[106:107] op_sel:[0,0,1] op_sel_hi:[1,1,0] neg_lo:[0,0,1] neg_hi:[0,0,1]
	v_pk_fma_f32 v[92:93], v[92:93], v[102:103], v[106:107] op_sel:[0,0,1] op_sel_hi:[1,0,0]
	v_mov_b32_e32 v109, v93
	v_pk_mul_f32 v[92:93], v[94:95], v[104:105] op_sel:[0,1]
	s_delay_alu instid0(VALU_DEP_1) | instskip(SKIP_1) | instid1(VALU_DEP_1)
	v_pk_fma_f32 v[106:107], v[94:95], v[102:103], v[92:93] op_sel:[0,0,1] op_sel_hi:[1,1,0] neg_lo:[0,0,1] neg_hi:[0,0,1]
	v_pk_fma_f32 v[92:93], v[94:95], v[102:103], v[92:93] op_sel:[0,0,1] op_sel_hi:[1,0,0]
	v_mov_b32_e32 v107, v93
	ds_load_b64 v[92:93], v96 offset:336
	v_pk_add_f32 v[72:73], v[72:73], v[108:109] neg_lo:[0,1] neg_hi:[0,1]
	v_pk_add_f32 v[70:71], v[70:71], v[106:107] neg_lo:[0,1] neg_hi:[0,1]
	s_wait_dscnt 0x0
	v_pk_mul_f32 v[94:95], v[92:93], v[104:105] op_sel:[0,1]
	s_delay_alu instid0(VALU_DEP_1) | instskip(SKIP_1) | instid1(VALU_DEP_1)
	v_pk_fma_f32 v[104:105], v[92:93], v[102:103], v[94:95] op_sel:[0,0,1] op_sel_hi:[1,1,0] neg_lo:[0,0,1] neg_hi:[0,0,1]
	v_pk_fma_f32 v[92:93], v[92:93], v[102:103], v[94:95] op_sel:[0,0,1] op_sel_hi:[1,0,0]
	v_mov_b32_e32 v105, v93
	s_delay_alu instid0(VALU_DEP_1)
	v_pk_add_f32 v[90:91], v[90:91], v[104:105] neg_lo:[0,1] neg_hi:[0,1]
.LBB84_713:
	s_or_b32 exec_lo, exec_lo, s0
	v_lshl_add_u32 v92, v100, 3, v96
	s_barrier_signal -1
	s_barrier_wait -1
	ds_store_b64 v92, v[60:61]
	s_wait_dscnt 0x0
	s_barrier_signal -1
	s_barrier_wait -1
	ds_load_b64 v[92:93], v96 offset:272
	v_mov_b32_e32 v94, 34
	s_cmp_lt_i32 s14, 36
	s_cbranch_scc1 .LBB84_716
; %bb.714:
	v_add3_u32 v95, v97, 0, 0x118
	v_mov_b32_e32 v94, 34
	s_mov_b32 s0, 35
.LBB84_715:                             ; =>This Inner Loop Header: Depth=1
	ds_load_b64 v[102:103], v95
	s_wait_dscnt 0x1
	v_cmp_gt_f32_e32 vcc_lo, 0, v92
	v_cndmask_b32_e64 v104, v92, -v92, vcc_lo
	v_cmp_gt_f32_e32 vcc_lo, 0, v93
	v_cndmask_b32_e64 v106, v93, -v93, vcc_lo
	s_wait_dscnt 0x0
	v_cmp_gt_f32_e32 vcc_lo, 0, v102
	v_cndmask_b32_e64 v105, v102, -v102, vcc_lo
	v_cmp_gt_f32_e32 vcc_lo, 0, v103
	v_cndmask_b32_e64 v107, v103, -v103, vcc_lo
	s_delay_alu instid0(VALU_DEP_1) | instskip(NEXT) | instid1(VALU_DEP_1)
	v_pk_add_f32 v[104:105], v[104:105], v[106:107]
	v_cmp_lt_f32_e32 vcc_lo, v104, v105
	v_dual_cndmask_b32 v92, v92, v102 :: v_dual_add_nc_u32 v95, 8, v95
	v_cndmask_b32_e32 v93, v93, v103, vcc_lo
	v_cndmask_b32_e64 v94, v94, s0, vcc_lo
	s_add_co_i32 s0, s0, 1
	s_delay_alu instid0(SALU_CYCLE_1)
	s_cmp_lg_u32 s14, s0
	s_cbranch_scc1 .LBB84_715
.LBB84_716:
	s_wait_dscnt 0x0
	v_cmp_eq_f32_e32 vcc_lo, 0, v92
	v_cmp_eq_f32_e64 s0, 0, v93
	s_and_b32 s0, vcc_lo, s0
	s_delay_alu instid0(SALU_CYCLE_1) | instskip(NEXT) | instid1(SALU_CYCLE_1)
	s_and_saveexec_b32 s1, s0
	s_xor_b32 s0, exec_lo, s1
; %bb.717:
	v_cmp_ne_u32_e32 vcc_lo, 0, v98
	v_cndmask_b32_e32 v98, 35, v98, vcc_lo
; %bb.718:
	s_and_not1_saveexec_b32 s0, s0
	s_cbranch_execz .LBB84_724
; %bb.719:
	v_cmp_ngt_f32_e64 s1, |v92|, |v93|
	s_and_saveexec_b32 s15, s1
	s_delay_alu instid0(SALU_CYCLE_1)
	s_xor_b32 s1, exec_lo, s15
	s_cbranch_execz .LBB84_721
; %bb.720:
	v_div_scale_f32 v95, null, v93, v93, v92
	v_div_scale_f32 v103, vcc_lo, v92, v93, v92
	s_delay_alu instid0(VALU_DEP_2) | instskip(SKIP_1) | instid1(TRANS32_DEP_1)
	v_rcp_f32_e32 v101, v95
	v_nop
	v_fma_f32 v102, -v95, v101, 1.0
	s_delay_alu instid0(VALU_DEP_1) | instskip(NEXT) | instid1(VALU_DEP_1)
	v_fmac_f32_e32 v101, v102, v101
	v_mul_f32_e32 v102, v103, v101
	s_delay_alu instid0(VALU_DEP_1) | instskip(NEXT) | instid1(VALU_DEP_1)
	v_fma_f32 v104, -v95, v102, v103
	v_fmac_f32_e32 v102, v104, v101
	s_delay_alu instid0(VALU_DEP_1) | instskip(NEXT) | instid1(VALU_DEP_1)
	v_fma_f32 v95, -v95, v102, v103
	v_div_fmas_f32 v95, v95, v101, v102
	s_delay_alu instid0(VALU_DEP_1) | instskip(NEXT) | instid1(VALU_DEP_1)
	v_div_fixup_f32 v95, v95, v93, v92
	v_fmac_f32_e32 v93, v92, v95
	s_delay_alu instid0(VALU_DEP_1) | instskip(SKIP_1) | instid1(VALU_DEP_2)
	v_div_scale_f32 v92, null, v93, v93, 1.0
	v_div_scale_f32 v103, vcc_lo, 1.0, v93, 1.0
	v_rcp_f32_e32 v101, v92
	v_nop
	s_delay_alu instid0(TRANS32_DEP_1) | instskip(NEXT) | instid1(VALU_DEP_1)
	v_fma_f32 v102, -v92, v101, 1.0
	v_fmac_f32_e32 v101, v102, v101
	s_delay_alu instid0(VALU_DEP_1) | instskip(NEXT) | instid1(VALU_DEP_1)
	v_mul_f32_e32 v102, v103, v101
	v_fma_f32 v104, -v92, v102, v103
	s_delay_alu instid0(VALU_DEP_1) | instskip(NEXT) | instid1(VALU_DEP_1)
	v_fmac_f32_e32 v102, v104, v101
	v_fma_f32 v92, -v92, v102, v103
	s_delay_alu instid0(VALU_DEP_1) | instskip(NEXT) | instid1(VALU_DEP_1)
	v_div_fmas_f32 v92, v92, v101, v102
	v_div_fixup_f32 v93, v92, v93, 1.0
	s_delay_alu instid0(VALU_DEP_1)
	v_mul_f32_e32 v92, v95, v93
	v_xor_b32_e32 v93, 0x80000000, v93
.LBB84_721:
	s_and_not1_saveexec_b32 s1, s1
	s_cbranch_execz .LBB84_723
; %bb.722:
	s_delay_alu instid0(VALU_DEP_1) | instskip(SKIP_1) | instid1(VALU_DEP_2)
	v_div_scale_f32 v95, null, v92, v92, v93
	v_div_scale_f32 v103, vcc_lo, v93, v92, v93
	v_rcp_f32_e32 v101, v95
	v_nop
	s_delay_alu instid0(TRANS32_DEP_1) | instskip(NEXT) | instid1(VALU_DEP_1)
	v_fma_f32 v102, -v95, v101, 1.0
	v_fmac_f32_e32 v101, v102, v101
	s_delay_alu instid0(VALU_DEP_1) | instskip(NEXT) | instid1(VALU_DEP_1)
	v_mul_f32_e32 v102, v103, v101
	v_fma_f32 v104, -v95, v102, v103
	s_delay_alu instid0(VALU_DEP_1) | instskip(NEXT) | instid1(VALU_DEP_1)
	v_fmac_f32_e32 v102, v104, v101
	v_fma_f32 v95, -v95, v102, v103
	s_delay_alu instid0(VALU_DEP_1) | instskip(NEXT) | instid1(VALU_DEP_1)
	v_div_fmas_f32 v95, v95, v101, v102
	v_div_fixup_f32 v95, v95, v92, v93
	s_delay_alu instid0(VALU_DEP_1) | instskip(NEXT) | instid1(VALU_DEP_1)
	v_fmac_f32_e32 v92, v93, v95
	v_div_scale_f32 v93, null, v92, v92, 1.0
	s_delay_alu instid0(VALU_DEP_1) | instskip(SKIP_1) | instid1(TRANS32_DEP_1)
	v_rcp_f32_e32 v101, v93
	v_nop
	v_fma_f32 v102, -v93, v101, 1.0
	s_delay_alu instid0(VALU_DEP_1) | instskip(SKIP_1) | instid1(VALU_DEP_1)
	v_fmac_f32_e32 v101, v102, v101
	v_div_scale_f32 v102, vcc_lo, 1.0, v92, 1.0
	v_mul_f32_e32 v103, v102, v101
	s_delay_alu instid0(VALU_DEP_1) | instskip(NEXT) | instid1(VALU_DEP_1)
	v_fma_f32 v104, -v93, v103, v102
	v_fmac_f32_e32 v103, v104, v101
	s_delay_alu instid0(VALU_DEP_1) | instskip(NEXT) | instid1(VALU_DEP_1)
	v_fma_f32 v93, -v93, v103, v102
	v_div_fmas_f32 v93, v93, v101, v103
	s_delay_alu instid0(VALU_DEP_1) | instskip(NEXT) | instid1(VALU_DEP_1)
	v_div_fixup_f32 v92, v93, v92, 1.0
	v_mul_f32_e64 v93, v95, -v92
.LBB84_723:
	s_or_b32 exec_lo, exec_lo, s1
.LBB84_724:
	s_delay_alu instid0(SALU_CYCLE_1) | instskip(NEXT) | instid1(SALU_CYCLE_1)
	s_or_b32 exec_lo, exec_lo, s0
	s_mov_b32 s0, exec_lo
	v_cmpx_ne_u32_e64 v100, v94
	s_xor_b32 s0, exec_lo, s0
	s_cbranch_execz .LBB84_730
; %bb.725:
	s_mov_b32 s1, exec_lo
	v_cmpx_eq_u32_e32 34, v100
	s_cbranch_execz .LBB84_729
; %bb.726:
	v_cmp_ne_u32_e32 vcc_lo, 34, v94
	s_xor_b32 s15, s12, -1
	s_delay_alu instid0(SALU_CYCLE_1) | instskip(NEXT) | instid1(SALU_CYCLE_1)
	s_and_b32 s16, s15, vcc_lo
	s_and_saveexec_b32 s15, s16
	s_cbranch_execz .LBB84_728
; %bb.727:
	v_ashrrev_i32_e32 v95, 31, v94
	s_delay_alu instid0(VALU_DEP_1)
	v_lshl_add_u64 v[100:101], v[94:95], 2, v[4:5]
	s_clause 0x1
	global_load_b32 v95, v[100:101], off
	global_load_b32 v99, v[4:5], off offset:136
	s_wait_loadcnt 0x1
	global_store_b32 v[4:5], v95, off offset:136
	s_wait_loadcnt 0x0
	global_store_b32 v[100:101], v99, off
.LBB84_728:
	s_wait_xcnt 0x0
	s_or_b32 exec_lo, exec_lo, s15
	v_dual_mov_b32 v100, v94 :: v_dual_mov_b32 v99, v94
.LBB84_729:
	s_or_b32 exec_lo, exec_lo, s1
.LBB84_730:
	s_and_not1_saveexec_b32 s0, s0
	s_cbranch_execz .LBB84_732
; %bb.731:
	v_mov_b32_e32 v100, 34
	ds_store_2addr_b64 v96, v[58:59], v[82:83] offset0:35 offset1:36
	ds_store_2addr_b64 v96, v[80:81], v[64:65] offset0:37 offset1:38
	;; [unrolled: 1-line block ×4, first 2 shown]
.LBB84_732:
	s_or_b32 exec_lo, exec_lo, s0
	s_delay_alu instid0(SALU_CYCLE_1)
	s_mov_b32 s0, exec_lo
	s_wait_storecnt_dscnt 0x0
	s_barrier_signal -1
	s_barrier_wait -1
	v_cmpx_lt_i32_e32 34, v100
	s_cbranch_execz .LBB84_734
; %bb.733:
	v_pk_mul_f32 v[94:95], v[92:93], v[60:61] op_sel:[1,1] op_sel_hi:[0,1]
	s_delay_alu instid0(VALU_DEP_1)
	v_pk_fma_f32 v[102:103], v[92:93], v[60:61], v[94:95] op_sel_hi:[1,0,1] neg_lo:[0,0,1] neg_hi:[0,0,1]
	v_pk_fma_f32 v[104:105], v[92:93], v[60:61], v[94:95] op_sel_hi:[1,0,1]
	ds_load_2addr_b64 v[92:95], v96 offset0:35 offset1:36
	v_dual_mov_b32 v60, v102 :: v_dual_mov_b32 v61, v105
	s_wait_dscnt 0x0
	v_pk_mul_f32 v[106:107], v[92:93], v[104:105] op_sel:[0,1]
	s_delay_alu instid0(VALU_DEP_1) | instskip(SKIP_1) | instid1(VALU_DEP_1)
	v_pk_fma_f32 v[108:109], v[92:93], v[102:103], v[106:107] op_sel:[0,0,1] op_sel_hi:[1,1,0] neg_lo:[0,0,1] neg_hi:[0,0,1]
	v_pk_fma_f32 v[92:93], v[92:93], v[102:103], v[106:107] op_sel:[0,0,1] op_sel_hi:[1,0,0]
	v_mov_b32_e32 v109, v93
	v_pk_mul_f32 v[92:93], v[94:95], v[104:105] op_sel:[0,1]
	s_delay_alu instid0(VALU_DEP_1) | instskip(SKIP_1) | instid1(VALU_DEP_1)
	v_pk_fma_f32 v[106:107], v[94:95], v[102:103], v[92:93] op_sel:[0,0,1] op_sel_hi:[1,1,0] neg_lo:[0,0,1] neg_hi:[0,0,1]
	v_pk_fma_f32 v[92:93], v[94:95], v[102:103], v[92:93] op_sel:[0,0,1] op_sel_hi:[1,0,0]
	v_mov_b32_e32 v107, v93
	ds_load_2addr_b64 v[92:95], v96 offset0:37 offset1:38
	v_pk_add_f32 v[58:59], v[58:59], v[108:109] neg_lo:[0,1] neg_hi:[0,1]
	v_pk_add_f32 v[82:83], v[82:83], v[106:107] neg_lo:[0,1] neg_hi:[0,1]
	s_wait_dscnt 0x0
	v_pk_mul_f32 v[106:107], v[92:93], v[104:105] op_sel:[0,1]
	s_delay_alu instid0(VALU_DEP_1) | instskip(SKIP_2) | instid1(VALU_DEP_2)
	v_pk_fma_f32 v[108:109], v[92:93], v[102:103], v[106:107] op_sel:[0,0,1] op_sel_hi:[1,1,0] neg_lo:[0,0,1] neg_hi:[0,0,1]
	v_pk_fma_f32 v[92:93], v[92:93], v[102:103], v[106:107] op_sel:[0,0,1] op_sel_hi:[1,0,0]
	v_dual_mul_f32 v106, v95, v105 :: v_dual_mov_b32 v92, v95
	v_dual_mov_b32 v109, v93 :: v_dual_mov_b32 v93, v94
	s_delay_alu instid0(VALU_DEP_2) | instskip(SKIP_1) | instid1(VALU_DEP_3)
	v_pk_fma_f32 v[106:107], v[94:95], v[60:61], v[106:107] op_sel_hi:[1,1,0] neg_lo:[0,0,1] neg_hi:[0,0,1]
	v_mul_f32_e32 v94, v95, v102
	v_pk_add_f32 v[80:81], v[80:81], v[108:109] neg_lo:[0,1] neg_hi:[0,1]
	s_delay_alu instid0(VALU_DEP_2) | instskip(NEXT) | instid1(VALU_DEP_1)
	v_pk_fma_f32 v[92:93], v[92:93], v[60:61], v[94:95] op_sel_hi:[1,1,0]
	v_mov_b32_e32 v107, v93
	ds_load_2addr_b64 v[92:95], v96 offset0:39 offset1:40
	v_pk_add_f32 v[64:65], v[64:65], v[106:107] neg_lo:[0,1] neg_hi:[0,1]
	s_wait_dscnt 0x0
	v_pk_mul_f32 v[106:107], v[92:93], v[104:105] op_sel:[0,1]
	s_delay_alu instid0(VALU_DEP_1) | instskip(SKIP_1) | instid1(VALU_DEP_1)
	v_pk_fma_f32 v[108:109], v[92:93], v[102:103], v[106:107] op_sel:[0,0,1] op_sel_hi:[1,1,0] neg_lo:[0,0,1] neg_hi:[0,0,1]
	v_pk_fma_f32 v[92:93], v[92:93], v[102:103], v[106:107] op_sel:[0,0,1] op_sel_hi:[1,0,0]
	v_mov_b32_e32 v109, v93
	v_pk_mul_f32 v[92:93], v[94:95], v[104:105] op_sel:[0,1]
	s_delay_alu instid0(VALU_DEP_1) | instskip(SKIP_1) | instid1(VALU_DEP_1)
	v_pk_fma_f32 v[106:107], v[94:95], v[102:103], v[92:93] op_sel:[0,0,1] op_sel_hi:[1,1,0] neg_lo:[0,0,1] neg_hi:[0,0,1]
	v_pk_fma_f32 v[92:93], v[94:95], v[102:103], v[92:93] op_sel:[0,0,1] op_sel_hi:[1,0,0]
	v_mov_b32_e32 v107, v93
	ds_load_2addr_b64 v[92:95], v96 offset0:41 offset1:42
	v_pk_add_f32 v[62:63], v[62:63], v[108:109] neg_lo:[0,1] neg_hi:[0,1]
	v_pk_add_f32 v[72:73], v[72:73], v[106:107] neg_lo:[0,1] neg_hi:[0,1]
	s_wait_dscnt 0x0
	v_pk_mul_f32 v[106:107], v[92:93], v[104:105] op_sel:[0,1]
	s_delay_alu instid0(VALU_DEP_1) | instskip(SKIP_1) | instid1(VALU_DEP_1)
	v_pk_fma_f32 v[108:109], v[92:93], v[102:103], v[106:107] op_sel:[0,0,1] op_sel_hi:[1,1,0] neg_lo:[0,0,1] neg_hi:[0,0,1]
	v_pk_fma_f32 v[92:93], v[92:93], v[102:103], v[106:107] op_sel:[0,0,1] op_sel_hi:[1,0,0]
	v_mov_b32_e32 v109, v93
	v_pk_mul_f32 v[92:93], v[94:95], v[104:105] op_sel:[0,1]
	s_delay_alu instid0(VALU_DEP_1) | instskip(SKIP_1) | instid1(VALU_DEP_1)
	v_pk_fma_f32 v[104:105], v[94:95], v[102:103], v[92:93] op_sel:[0,0,1] op_sel_hi:[1,1,0] neg_lo:[0,0,1] neg_hi:[0,0,1]
	v_pk_fma_f32 v[92:93], v[94:95], v[102:103], v[92:93] op_sel:[0,0,1] op_sel_hi:[1,0,0]
	v_mov_b32_e32 v105, v93
	v_pk_add_f32 v[70:71], v[70:71], v[108:109] neg_lo:[0,1] neg_hi:[0,1]
	s_delay_alu instid0(VALU_DEP_2)
	v_pk_add_f32 v[90:91], v[90:91], v[104:105] neg_lo:[0,1] neg_hi:[0,1]
.LBB84_734:
	s_or_b32 exec_lo, exec_lo, s0
	v_lshl_add_u32 v92, v100, 3, v96
	s_barrier_signal -1
	s_barrier_wait -1
	ds_store_b64 v92, v[58:59]
	s_wait_dscnt 0x0
	s_barrier_signal -1
	s_barrier_wait -1
	ds_load_b64 v[92:93], v96 offset:280
	v_mov_b32_e32 v94, 35
	s_cmp_lt_i32 s14, 37
	s_cbranch_scc1 .LBB84_737
; %bb.735:
	v_add3_u32 v95, v97, 0, 0x120
	v_mov_b32_e32 v94, 35
	s_mov_b32 s0, 36
.LBB84_736:                             ; =>This Inner Loop Header: Depth=1
	ds_load_b64 v[102:103], v95
	s_wait_dscnt 0x1
	v_cmp_gt_f32_e32 vcc_lo, 0, v92
	v_cndmask_b32_e64 v104, v92, -v92, vcc_lo
	v_cmp_gt_f32_e32 vcc_lo, 0, v93
	v_cndmask_b32_e64 v106, v93, -v93, vcc_lo
	s_wait_dscnt 0x0
	v_cmp_gt_f32_e32 vcc_lo, 0, v102
	v_cndmask_b32_e64 v105, v102, -v102, vcc_lo
	v_cmp_gt_f32_e32 vcc_lo, 0, v103
	v_cndmask_b32_e64 v107, v103, -v103, vcc_lo
	s_delay_alu instid0(VALU_DEP_1) | instskip(NEXT) | instid1(VALU_DEP_1)
	v_pk_add_f32 v[104:105], v[104:105], v[106:107]
	v_cmp_lt_f32_e32 vcc_lo, v104, v105
	v_dual_cndmask_b32 v92, v92, v102 :: v_dual_add_nc_u32 v95, 8, v95
	v_cndmask_b32_e32 v93, v93, v103, vcc_lo
	v_cndmask_b32_e64 v94, v94, s0, vcc_lo
	s_add_co_i32 s0, s0, 1
	s_delay_alu instid0(SALU_CYCLE_1)
	s_cmp_lg_u32 s14, s0
	s_cbranch_scc1 .LBB84_736
.LBB84_737:
	s_wait_dscnt 0x0
	v_cmp_eq_f32_e32 vcc_lo, 0, v92
	v_cmp_eq_f32_e64 s0, 0, v93
	s_and_b32 s0, vcc_lo, s0
	s_delay_alu instid0(SALU_CYCLE_1) | instskip(NEXT) | instid1(SALU_CYCLE_1)
	s_and_saveexec_b32 s1, s0
	s_xor_b32 s0, exec_lo, s1
; %bb.738:
	v_cmp_ne_u32_e32 vcc_lo, 0, v98
	v_cndmask_b32_e32 v98, 36, v98, vcc_lo
; %bb.739:
	s_and_not1_saveexec_b32 s0, s0
	s_cbranch_execz .LBB84_745
; %bb.740:
	v_cmp_ngt_f32_e64 s1, |v92|, |v93|
	s_and_saveexec_b32 s15, s1
	s_delay_alu instid0(SALU_CYCLE_1)
	s_xor_b32 s1, exec_lo, s15
	s_cbranch_execz .LBB84_742
; %bb.741:
	v_div_scale_f32 v95, null, v93, v93, v92
	v_div_scale_f32 v103, vcc_lo, v92, v93, v92
	s_delay_alu instid0(VALU_DEP_2) | instskip(SKIP_1) | instid1(TRANS32_DEP_1)
	v_rcp_f32_e32 v101, v95
	v_nop
	v_fma_f32 v102, -v95, v101, 1.0
	s_delay_alu instid0(VALU_DEP_1) | instskip(NEXT) | instid1(VALU_DEP_1)
	v_fmac_f32_e32 v101, v102, v101
	v_mul_f32_e32 v102, v103, v101
	s_delay_alu instid0(VALU_DEP_1) | instskip(NEXT) | instid1(VALU_DEP_1)
	v_fma_f32 v104, -v95, v102, v103
	v_fmac_f32_e32 v102, v104, v101
	s_delay_alu instid0(VALU_DEP_1) | instskip(NEXT) | instid1(VALU_DEP_1)
	v_fma_f32 v95, -v95, v102, v103
	v_div_fmas_f32 v95, v95, v101, v102
	s_delay_alu instid0(VALU_DEP_1) | instskip(NEXT) | instid1(VALU_DEP_1)
	v_div_fixup_f32 v95, v95, v93, v92
	v_fmac_f32_e32 v93, v92, v95
	s_delay_alu instid0(VALU_DEP_1) | instskip(SKIP_1) | instid1(VALU_DEP_2)
	v_div_scale_f32 v92, null, v93, v93, 1.0
	v_div_scale_f32 v103, vcc_lo, 1.0, v93, 1.0
	v_rcp_f32_e32 v101, v92
	v_nop
	s_delay_alu instid0(TRANS32_DEP_1) | instskip(NEXT) | instid1(VALU_DEP_1)
	v_fma_f32 v102, -v92, v101, 1.0
	v_fmac_f32_e32 v101, v102, v101
	s_delay_alu instid0(VALU_DEP_1) | instskip(NEXT) | instid1(VALU_DEP_1)
	v_mul_f32_e32 v102, v103, v101
	v_fma_f32 v104, -v92, v102, v103
	s_delay_alu instid0(VALU_DEP_1) | instskip(NEXT) | instid1(VALU_DEP_1)
	v_fmac_f32_e32 v102, v104, v101
	v_fma_f32 v92, -v92, v102, v103
	s_delay_alu instid0(VALU_DEP_1) | instskip(NEXT) | instid1(VALU_DEP_1)
	v_div_fmas_f32 v92, v92, v101, v102
	v_div_fixup_f32 v93, v92, v93, 1.0
	s_delay_alu instid0(VALU_DEP_1)
	v_mul_f32_e32 v92, v95, v93
	v_xor_b32_e32 v93, 0x80000000, v93
.LBB84_742:
	s_and_not1_saveexec_b32 s1, s1
	s_cbranch_execz .LBB84_744
; %bb.743:
	s_delay_alu instid0(VALU_DEP_1) | instskip(SKIP_1) | instid1(VALU_DEP_2)
	v_div_scale_f32 v95, null, v92, v92, v93
	v_div_scale_f32 v103, vcc_lo, v93, v92, v93
	v_rcp_f32_e32 v101, v95
	v_nop
	s_delay_alu instid0(TRANS32_DEP_1) | instskip(NEXT) | instid1(VALU_DEP_1)
	v_fma_f32 v102, -v95, v101, 1.0
	v_fmac_f32_e32 v101, v102, v101
	s_delay_alu instid0(VALU_DEP_1) | instskip(NEXT) | instid1(VALU_DEP_1)
	v_mul_f32_e32 v102, v103, v101
	v_fma_f32 v104, -v95, v102, v103
	s_delay_alu instid0(VALU_DEP_1) | instskip(NEXT) | instid1(VALU_DEP_1)
	v_fmac_f32_e32 v102, v104, v101
	v_fma_f32 v95, -v95, v102, v103
	s_delay_alu instid0(VALU_DEP_1) | instskip(NEXT) | instid1(VALU_DEP_1)
	v_div_fmas_f32 v95, v95, v101, v102
	v_div_fixup_f32 v95, v95, v92, v93
	s_delay_alu instid0(VALU_DEP_1) | instskip(NEXT) | instid1(VALU_DEP_1)
	v_fmac_f32_e32 v92, v93, v95
	v_div_scale_f32 v93, null, v92, v92, 1.0
	s_delay_alu instid0(VALU_DEP_1) | instskip(SKIP_1) | instid1(TRANS32_DEP_1)
	v_rcp_f32_e32 v101, v93
	v_nop
	v_fma_f32 v102, -v93, v101, 1.0
	s_delay_alu instid0(VALU_DEP_1) | instskip(SKIP_1) | instid1(VALU_DEP_1)
	v_fmac_f32_e32 v101, v102, v101
	v_div_scale_f32 v102, vcc_lo, 1.0, v92, 1.0
	v_mul_f32_e32 v103, v102, v101
	s_delay_alu instid0(VALU_DEP_1) | instskip(NEXT) | instid1(VALU_DEP_1)
	v_fma_f32 v104, -v93, v103, v102
	v_fmac_f32_e32 v103, v104, v101
	s_delay_alu instid0(VALU_DEP_1) | instskip(NEXT) | instid1(VALU_DEP_1)
	v_fma_f32 v93, -v93, v103, v102
	v_div_fmas_f32 v93, v93, v101, v103
	s_delay_alu instid0(VALU_DEP_1) | instskip(NEXT) | instid1(VALU_DEP_1)
	v_div_fixup_f32 v92, v93, v92, 1.0
	v_mul_f32_e64 v93, v95, -v92
.LBB84_744:
	s_or_b32 exec_lo, exec_lo, s1
.LBB84_745:
	s_delay_alu instid0(SALU_CYCLE_1) | instskip(NEXT) | instid1(SALU_CYCLE_1)
	s_or_b32 exec_lo, exec_lo, s0
	s_mov_b32 s0, exec_lo
	v_cmpx_ne_u32_e64 v100, v94
	s_xor_b32 s0, exec_lo, s0
	s_cbranch_execz .LBB84_751
; %bb.746:
	s_mov_b32 s1, exec_lo
	v_cmpx_eq_u32_e32 35, v100
	s_cbranch_execz .LBB84_750
; %bb.747:
	v_cmp_ne_u32_e32 vcc_lo, 35, v94
	s_xor_b32 s15, s12, -1
	s_delay_alu instid0(SALU_CYCLE_1) | instskip(NEXT) | instid1(SALU_CYCLE_1)
	s_and_b32 s16, s15, vcc_lo
	s_and_saveexec_b32 s15, s16
	s_cbranch_execz .LBB84_749
; %bb.748:
	v_ashrrev_i32_e32 v95, 31, v94
	s_delay_alu instid0(VALU_DEP_1)
	v_lshl_add_u64 v[100:101], v[94:95], 2, v[4:5]
	s_clause 0x1
	global_load_b32 v95, v[100:101], off
	global_load_b32 v99, v[4:5], off offset:140
	s_wait_loadcnt 0x1
	global_store_b32 v[4:5], v95, off offset:140
	s_wait_loadcnt 0x0
	global_store_b32 v[100:101], v99, off
.LBB84_749:
	s_wait_xcnt 0x0
	s_or_b32 exec_lo, exec_lo, s15
	v_dual_mov_b32 v100, v94 :: v_dual_mov_b32 v99, v94
.LBB84_750:
	s_or_b32 exec_lo, exec_lo, s1
.LBB84_751:
	s_and_not1_saveexec_b32 s0, s0
	s_cbranch_execz .LBB84_753
; %bb.752:
	v_dual_mov_b32 v94, v82 :: v_dual_mov_b32 v95, v83
	v_dual_mov_b32 v102, v80 :: v_dual_mov_b32 v103, v81
	;; [unrolled: 1-line block ×6, first 2 shown]
	v_mov_b32_e32 v111, v71
	ds_store_2addr_b64 v96, v[94:95], v[102:103] offset0:36 offset1:37
	ds_store_2addr_b64 v96, v[104:105], v[106:107] offset0:38 offset1:39
	;; [unrolled: 1-line block ×3, first 2 shown]
	ds_store_b64 v96, v[90:91] offset:336
.LBB84_753:
	s_or_b32 exec_lo, exec_lo, s0
	s_delay_alu instid0(SALU_CYCLE_1)
	s_mov_b32 s0, exec_lo
	s_wait_storecnt_dscnt 0x0
	s_barrier_signal -1
	s_barrier_wait -1
	v_cmpx_lt_i32_e32 35, v100
	s_cbranch_execz .LBB84_755
; %bb.754:
	v_pk_mul_f32 v[94:95], v[92:93], v[58:59] op_sel:[1,1] op_sel_hi:[0,1]
	s_delay_alu instid0(VALU_DEP_1)
	v_pk_fma_f32 v[102:103], v[92:93], v[58:59], v[94:95] op_sel_hi:[1,0,1] neg_lo:[0,0,1] neg_hi:[0,0,1]
	v_pk_fma_f32 v[104:105], v[92:93], v[58:59], v[94:95] op_sel_hi:[1,0,1]
	ds_load_2addr_b64 v[92:95], v96 offset0:36 offset1:37
	v_dual_mov_b32 v58, v102 :: v_dual_mov_b32 v59, v105
	s_wait_dscnt 0x0
	v_pk_mul_f32 v[106:107], v[92:93], v[104:105] op_sel:[0,1]
	s_delay_alu instid0(VALU_DEP_1) | instskip(SKIP_1) | instid1(VALU_DEP_1)
	v_pk_fma_f32 v[108:109], v[92:93], v[102:103], v[106:107] op_sel:[0,0,1] op_sel_hi:[1,1,0] neg_lo:[0,0,1] neg_hi:[0,0,1]
	v_pk_fma_f32 v[92:93], v[92:93], v[102:103], v[106:107] op_sel:[0,0,1] op_sel_hi:[1,0,0]
	v_mov_b32_e32 v109, v93
	v_pk_mul_f32 v[92:93], v[94:95], v[104:105] op_sel:[0,1]
	s_delay_alu instid0(VALU_DEP_1) | instskip(SKIP_1) | instid1(VALU_DEP_1)
	v_pk_fma_f32 v[106:107], v[94:95], v[102:103], v[92:93] op_sel:[0,0,1] op_sel_hi:[1,1,0] neg_lo:[0,0,1] neg_hi:[0,0,1]
	v_pk_fma_f32 v[92:93], v[94:95], v[102:103], v[92:93] op_sel:[0,0,1] op_sel_hi:[1,0,0]
	v_mov_b32_e32 v107, v93
	ds_load_2addr_b64 v[92:95], v96 offset0:38 offset1:39
	v_pk_add_f32 v[82:83], v[82:83], v[108:109] neg_lo:[0,1] neg_hi:[0,1]
	v_pk_add_f32 v[80:81], v[80:81], v[106:107] neg_lo:[0,1] neg_hi:[0,1]
	s_wait_dscnt 0x0
	v_pk_mul_f32 v[106:107], v[92:93], v[104:105] op_sel:[0,1]
	s_delay_alu instid0(VALU_DEP_1) | instskip(SKIP_2) | instid1(VALU_DEP_2)
	v_pk_fma_f32 v[108:109], v[92:93], v[102:103], v[106:107] op_sel:[0,0,1] op_sel_hi:[1,1,0] neg_lo:[0,0,1] neg_hi:[0,0,1]
	v_pk_fma_f32 v[92:93], v[92:93], v[102:103], v[106:107] op_sel:[0,0,1] op_sel_hi:[1,0,0]
	v_dual_mul_f32 v106, v95, v105 :: v_dual_mov_b32 v92, v95
	v_dual_mov_b32 v109, v93 :: v_dual_mov_b32 v93, v94
	s_delay_alu instid0(VALU_DEP_2) | instskip(SKIP_1) | instid1(VALU_DEP_3)
	v_pk_fma_f32 v[106:107], v[94:95], v[58:59], v[106:107] op_sel_hi:[1,1,0] neg_lo:[0,0,1] neg_hi:[0,0,1]
	v_mul_f32_e32 v94, v95, v102
	v_pk_add_f32 v[64:65], v[64:65], v[108:109] neg_lo:[0,1] neg_hi:[0,1]
	s_delay_alu instid0(VALU_DEP_2) | instskip(NEXT) | instid1(VALU_DEP_1)
	v_pk_fma_f32 v[92:93], v[92:93], v[58:59], v[94:95] op_sel_hi:[1,1,0]
	v_mov_b32_e32 v107, v93
	ds_load_2addr_b64 v[92:95], v96 offset0:40 offset1:41
	v_pk_add_f32 v[62:63], v[62:63], v[106:107] neg_lo:[0,1] neg_hi:[0,1]
	s_wait_dscnt 0x0
	v_pk_mul_f32 v[106:107], v[92:93], v[104:105] op_sel:[0,1]
	s_delay_alu instid0(VALU_DEP_1) | instskip(SKIP_1) | instid1(VALU_DEP_1)
	v_pk_fma_f32 v[108:109], v[92:93], v[102:103], v[106:107] op_sel:[0,0,1] op_sel_hi:[1,1,0] neg_lo:[0,0,1] neg_hi:[0,0,1]
	v_pk_fma_f32 v[92:93], v[92:93], v[102:103], v[106:107] op_sel:[0,0,1] op_sel_hi:[1,0,0]
	v_mov_b32_e32 v109, v93
	v_pk_mul_f32 v[92:93], v[94:95], v[104:105] op_sel:[0,1]
	s_delay_alu instid0(VALU_DEP_1) | instskip(SKIP_1) | instid1(VALU_DEP_1)
	v_pk_fma_f32 v[106:107], v[94:95], v[102:103], v[92:93] op_sel:[0,0,1] op_sel_hi:[1,1,0] neg_lo:[0,0,1] neg_hi:[0,0,1]
	v_pk_fma_f32 v[92:93], v[94:95], v[102:103], v[92:93] op_sel:[0,0,1] op_sel_hi:[1,0,0]
	v_mov_b32_e32 v107, v93
	ds_load_b64 v[92:93], v96 offset:336
	v_pk_add_f32 v[72:73], v[72:73], v[108:109] neg_lo:[0,1] neg_hi:[0,1]
	v_pk_add_f32 v[70:71], v[70:71], v[106:107] neg_lo:[0,1] neg_hi:[0,1]
	s_wait_dscnt 0x0
	v_pk_mul_f32 v[94:95], v[92:93], v[104:105] op_sel:[0,1]
	s_delay_alu instid0(VALU_DEP_1) | instskip(SKIP_1) | instid1(VALU_DEP_1)
	v_pk_fma_f32 v[104:105], v[92:93], v[102:103], v[94:95] op_sel:[0,0,1] op_sel_hi:[1,1,0] neg_lo:[0,0,1] neg_hi:[0,0,1]
	v_pk_fma_f32 v[92:93], v[92:93], v[102:103], v[94:95] op_sel:[0,0,1] op_sel_hi:[1,0,0]
	v_mov_b32_e32 v105, v93
	s_delay_alu instid0(VALU_DEP_1)
	v_pk_add_f32 v[90:91], v[90:91], v[104:105] neg_lo:[0,1] neg_hi:[0,1]
.LBB84_755:
	s_or_b32 exec_lo, exec_lo, s0
	v_lshl_add_u32 v92, v100, 3, v96
	s_barrier_signal -1
	s_barrier_wait -1
	ds_store_b64 v92, v[82:83]
	s_wait_dscnt 0x0
	s_barrier_signal -1
	s_barrier_wait -1
	ds_load_b64 v[92:93], v96 offset:288
	v_mov_b32_e32 v94, 36
	s_cmp_lt_i32 s14, 38
	s_cbranch_scc1 .LBB84_758
; %bb.756:
	v_add3_u32 v95, v97, 0, 0x128
	v_mov_b32_e32 v94, 36
	s_mov_b32 s0, 37
.LBB84_757:                             ; =>This Inner Loop Header: Depth=1
	ds_load_b64 v[102:103], v95
	s_wait_dscnt 0x1
	v_cmp_gt_f32_e32 vcc_lo, 0, v92
	v_cndmask_b32_e64 v104, v92, -v92, vcc_lo
	v_cmp_gt_f32_e32 vcc_lo, 0, v93
	v_cndmask_b32_e64 v106, v93, -v93, vcc_lo
	s_wait_dscnt 0x0
	v_cmp_gt_f32_e32 vcc_lo, 0, v102
	v_cndmask_b32_e64 v105, v102, -v102, vcc_lo
	v_cmp_gt_f32_e32 vcc_lo, 0, v103
	v_cndmask_b32_e64 v107, v103, -v103, vcc_lo
	s_delay_alu instid0(VALU_DEP_1) | instskip(NEXT) | instid1(VALU_DEP_1)
	v_pk_add_f32 v[104:105], v[104:105], v[106:107]
	v_cmp_lt_f32_e32 vcc_lo, v104, v105
	v_dual_cndmask_b32 v92, v92, v102 :: v_dual_add_nc_u32 v95, 8, v95
	v_cndmask_b32_e32 v93, v93, v103, vcc_lo
	v_cndmask_b32_e64 v94, v94, s0, vcc_lo
	s_add_co_i32 s0, s0, 1
	s_delay_alu instid0(SALU_CYCLE_1)
	s_cmp_lg_u32 s14, s0
	s_cbranch_scc1 .LBB84_757
.LBB84_758:
	s_wait_dscnt 0x0
	v_cmp_eq_f32_e32 vcc_lo, 0, v92
	v_cmp_eq_f32_e64 s0, 0, v93
	s_and_b32 s0, vcc_lo, s0
	s_delay_alu instid0(SALU_CYCLE_1) | instskip(NEXT) | instid1(SALU_CYCLE_1)
	s_and_saveexec_b32 s1, s0
	s_xor_b32 s0, exec_lo, s1
; %bb.759:
	v_cmp_ne_u32_e32 vcc_lo, 0, v98
	v_cndmask_b32_e32 v98, 37, v98, vcc_lo
; %bb.760:
	s_and_not1_saveexec_b32 s0, s0
	s_cbranch_execz .LBB84_766
; %bb.761:
	v_cmp_ngt_f32_e64 s1, |v92|, |v93|
	s_and_saveexec_b32 s15, s1
	s_delay_alu instid0(SALU_CYCLE_1)
	s_xor_b32 s1, exec_lo, s15
	s_cbranch_execz .LBB84_763
; %bb.762:
	v_div_scale_f32 v95, null, v93, v93, v92
	v_div_scale_f32 v103, vcc_lo, v92, v93, v92
	s_delay_alu instid0(VALU_DEP_2) | instskip(SKIP_1) | instid1(TRANS32_DEP_1)
	v_rcp_f32_e32 v101, v95
	v_nop
	v_fma_f32 v102, -v95, v101, 1.0
	s_delay_alu instid0(VALU_DEP_1) | instskip(NEXT) | instid1(VALU_DEP_1)
	v_fmac_f32_e32 v101, v102, v101
	v_mul_f32_e32 v102, v103, v101
	s_delay_alu instid0(VALU_DEP_1) | instskip(NEXT) | instid1(VALU_DEP_1)
	v_fma_f32 v104, -v95, v102, v103
	v_fmac_f32_e32 v102, v104, v101
	s_delay_alu instid0(VALU_DEP_1) | instskip(NEXT) | instid1(VALU_DEP_1)
	v_fma_f32 v95, -v95, v102, v103
	v_div_fmas_f32 v95, v95, v101, v102
	s_delay_alu instid0(VALU_DEP_1) | instskip(NEXT) | instid1(VALU_DEP_1)
	v_div_fixup_f32 v95, v95, v93, v92
	v_fmac_f32_e32 v93, v92, v95
	s_delay_alu instid0(VALU_DEP_1) | instskip(SKIP_1) | instid1(VALU_DEP_2)
	v_div_scale_f32 v92, null, v93, v93, 1.0
	v_div_scale_f32 v103, vcc_lo, 1.0, v93, 1.0
	v_rcp_f32_e32 v101, v92
	v_nop
	s_delay_alu instid0(TRANS32_DEP_1) | instskip(NEXT) | instid1(VALU_DEP_1)
	v_fma_f32 v102, -v92, v101, 1.0
	v_fmac_f32_e32 v101, v102, v101
	s_delay_alu instid0(VALU_DEP_1) | instskip(NEXT) | instid1(VALU_DEP_1)
	v_mul_f32_e32 v102, v103, v101
	v_fma_f32 v104, -v92, v102, v103
	s_delay_alu instid0(VALU_DEP_1) | instskip(NEXT) | instid1(VALU_DEP_1)
	v_fmac_f32_e32 v102, v104, v101
	v_fma_f32 v92, -v92, v102, v103
	s_delay_alu instid0(VALU_DEP_1) | instskip(NEXT) | instid1(VALU_DEP_1)
	v_div_fmas_f32 v92, v92, v101, v102
	v_div_fixup_f32 v93, v92, v93, 1.0
	s_delay_alu instid0(VALU_DEP_1)
	v_mul_f32_e32 v92, v95, v93
	v_xor_b32_e32 v93, 0x80000000, v93
.LBB84_763:
	s_and_not1_saveexec_b32 s1, s1
	s_cbranch_execz .LBB84_765
; %bb.764:
	s_delay_alu instid0(VALU_DEP_1) | instskip(SKIP_1) | instid1(VALU_DEP_2)
	v_div_scale_f32 v95, null, v92, v92, v93
	v_div_scale_f32 v103, vcc_lo, v93, v92, v93
	v_rcp_f32_e32 v101, v95
	v_nop
	s_delay_alu instid0(TRANS32_DEP_1) | instskip(NEXT) | instid1(VALU_DEP_1)
	v_fma_f32 v102, -v95, v101, 1.0
	v_fmac_f32_e32 v101, v102, v101
	s_delay_alu instid0(VALU_DEP_1) | instskip(NEXT) | instid1(VALU_DEP_1)
	v_mul_f32_e32 v102, v103, v101
	v_fma_f32 v104, -v95, v102, v103
	s_delay_alu instid0(VALU_DEP_1) | instskip(NEXT) | instid1(VALU_DEP_1)
	v_fmac_f32_e32 v102, v104, v101
	v_fma_f32 v95, -v95, v102, v103
	s_delay_alu instid0(VALU_DEP_1) | instskip(NEXT) | instid1(VALU_DEP_1)
	v_div_fmas_f32 v95, v95, v101, v102
	v_div_fixup_f32 v95, v95, v92, v93
	s_delay_alu instid0(VALU_DEP_1) | instskip(NEXT) | instid1(VALU_DEP_1)
	v_fmac_f32_e32 v92, v93, v95
	v_div_scale_f32 v93, null, v92, v92, 1.0
	s_delay_alu instid0(VALU_DEP_1) | instskip(SKIP_1) | instid1(TRANS32_DEP_1)
	v_rcp_f32_e32 v101, v93
	v_nop
	v_fma_f32 v102, -v93, v101, 1.0
	s_delay_alu instid0(VALU_DEP_1) | instskip(SKIP_1) | instid1(VALU_DEP_1)
	v_fmac_f32_e32 v101, v102, v101
	v_div_scale_f32 v102, vcc_lo, 1.0, v92, 1.0
	v_mul_f32_e32 v103, v102, v101
	s_delay_alu instid0(VALU_DEP_1) | instskip(NEXT) | instid1(VALU_DEP_1)
	v_fma_f32 v104, -v93, v103, v102
	v_fmac_f32_e32 v103, v104, v101
	s_delay_alu instid0(VALU_DEP_1) | instskip(NEXT) | instid1(VALU_DEP_1)
	v_fma_f32 v93, -v93, v103, v102
	v_div_fmas_f32 v93, v93, v101, v103
	s_delay_alu instid0(VALU_DEP_1) | instskip(NEXT) | instid1(VALU_DEP_1)
	v_div_fixup_f32 v92, v93, v92, 1.0
	v_mul_f32_e64 v93, v95, -v92
.LBB84_765:
	s_or_b32 exec_lo, exec_lo, s1
.LBB84_766:
	s_delay_alu instid0(SALU_CYCLE_1) | instskip(NEXT) | instid1(SALU_CYCLE_1)
	s_or_b32 exec_lo, exec_lo, s0
	s_mov_b32 s0, exec_lo
	v_cmpx_ne_u32_e64 v100, v94
	s_xor_b32 s0, exec_lo, s0
	s_cbranch_execz .LBB84_772
; %bb.767:
	s_mov_b32 s1, exec_lo
	v_cmpx_eq_u32_e32 36, v100
	s_cbranch_execz .LBB84_771
; %bb.768:
	v_cmp_ne_u32_e32 vcc_lo, 36, v94
	s_xor_b32 s15, s12, -1
	s_delay_alu instid0(SALU_CYCLE_1) | instskip(NEXT) | instid1(SALU_CYCLE_1)
	s_and_b32 s16, s15, vcc_lo
	s_and_saveexec_b32 s15, s16
	s_cbranch_execz .LBB84_770
; %bb.769:
	v_ashrrev_i32_e32 v95, 31, v94
	s_delay_alu instid0(VALU_DEP_1)
	v_lshl_add_u64 v[100:101], v[94:95], 2, v[4:5]
	s_clause 0x1
	global_load_b32 v95, v[100:101], off
	global_load_b32 v99, v[4:5], off offset:144
	s_wait_loadcnt 0x1
	global_store_b32 v[4:5], v95, off offset:144
	s_wait_loadcnt 0x0
	global_store_b32 v[100:101], v99, off
.LBB84_770:
	s_wait_xcnt 0x0
	s_or_b32 exec_lo, exec_lo, s15
	v_dual_mov_b32 v100, v94 :: v_dual_mov_b32 v99, v94
.LBB84_771:
	s_or_b32 exec_lo, exec_lo, s1
.LBB84_772:
	s_and_not1_saveexec_b32 s0, s0
	s_cbranch_execz .LBB84_774
; %bb.773:
	v_mov_b32_e32 v100, 36
	ds_store_2addr_b64 v96, v[80:81], v[64:65] offset0:37 offset1:38
	ds_store_2addr_b64 v96, v[62:63], v[72:73] offset0:39 offset1:40
	;; [unrolled: 1-line block ×3, first 2 shown]
.LBB84_774:
	s_or_b32 exec_lo, exec_lo, s0
	s_delay_alu instid0(SALU_CYCLE_1)
	s_mov_b32 s0, exec_lo
	s_wait_storecnt_dscnt 0x0
	s_barrier_signal -1
	s_barrier_wait -1
	v_cmpx_lt_i32_e32 36, v100
	s_cbranch_execz .LBB84_776
; %bb.775:
	v_pk_mul_f32 v[94:95], v[92:93], v[82:83] op_sel:[1,1] op_sel_hi:[0,1]
	s_delay_alu instid0(VALU_DEP_1)
	v_pk_fma_f32 v[102:103], v[92:93], v[82:83], v[94:95] op_sel_hi:[1,0,1] neg_lo:[0,0,1] neg_hi:[0,0,1]
	v_pk_fma_f32 v[104:105], v[92:93], v[82:83], v[94:95] op_sel_hi:[1,0,1]
	ds_load_2addr_b64 v[92:95], v96 offset0:37 offset1:38
	v_dual_mov_b32 v82, v102 :: v_dual_mov_b32 v83, v105
	s_wait_dscnt 0x0
	v_pk_mul_f32 v[106:107], v[92:93], v[104:105] op_sel:[0,1]
	s_delay_alu instid0(VALU_DEP_1) | instskip(SKIP_1) | instid1(VALU_DEP_1)
	v_pk_fma_f32 v[108:109], v[92:93], v[102:103], v[106:107] op_sel:[0,0,1] op_sel_hi:[1,1,0] neg_lo:[0,0,1] neg_hi:[0,0,1]
	v_pk_fma_f32 v[92:93], v[92:93], v[102:103], v[106:107] op_sel:[0,0,1] op_sel_hi:[1,0,0]
	v_mov_b32_e32 v109, v93
	v_pk_mul_f32 v[92:93], v[94:95], v[104:105] op_sel:[0,1]
	s_delay_alu instid0(VALU_DEP_1) | instskip(SKIP_1) | instid1(VALU_DEP_1)
	v_pk_fma_f32 v[106:107], v[94:95], v[102:103], v[92:93] op_sel:[0,0,1] op_sel_hi:[1,1,0] neg_lo:[0,0,1] neg_hi:[0,0,1]
	v_pk_fma_f32 v[92:93], v[94:95], v[102:103], v[92:93] op_sel:[0,0,1] op_sel_hi:[1,0,0]
	v_mov_b32_e32 v107, v93
	ds_load_2addr_b64 v[92:95], v96 offset0:39 offset1:40
	v_pk_add_f32 v[80:81], v[80:81], v[108:109] neg_lo:[0,1] neg_hi:[0,1]
	v_pk_add_f32 v[64:65], v[64:65], v[106:107] neg_lo:[0,1] neg_hi:[0,1]
	s_wait_dscnt 0x0
	v_pk_mul_f32 v[106:107], v[92:93], v[104:105] op_sel:[0,1]
	s_delay_alu instid0(VALU_DEP_1) | instskip(SKIP_2) | instid1(VALU_DEP_2)
	v_pk_fma_f32 v[108:109], v[92:93], v[102:103], v[106:107] op_sel:[0,0,1] op_sel_hi:[1,1,0] neg_lo:[0,0,1] neg_hi:[0,0,1]
	v_pk_fma_f32 v[92:93], v[92:93], v[102:103], v[106:107] op_sel:[0,0,1] op_sel_hi:[1,0,0]
	v_dual_mul_f32 v106, v95, v105 :: v_dual_mov_b32 v92, v95
	v_dual_mov_b32 v109, v93 :: v_dual_mov_b32 v93, v94
	s_delay_alu instid0(VALU_DEP_2) | instskip(SKIP_1) | instid1(VALU_DEP_3)
	v_pk_fma_f32 v[106:107], v[94:95], v[82:83], v[106:107] op_sel_hi:[1,1,0] neg_lo:[0,0,1] neg_hi:[0,0,1]
	v_mul_f32_e32 v94, v95, v102
	v_pk_add_f32 v[62:63], v[62:63], v[108:109] neg_lo:[0,1] neg_hi:[0,1]
	s_delay_alu instid0(VALU_DEP_2) | instskip(NEXT) | instid1(VALU_DEP_1)
	v_pk_fma_f32 v[92:93], v[92:93], v[82:83], v[94:95] op_sel_hi:[1,1,0]
	v_mov_b32_e32 v107, v93
	ds_load_2addr_b64 v[92:95], v96 offset0:41 offset1:42
	v_pk_add_f32 v[72:73], v[72:73], v[106:107] neg_lo:[0,1] neg_hi:[0,1]
	s_wait_dscnt 0x0
	v_pk_mul_f32 v[106:107], v[92:93], v[104:105] op_sel:[0,1]
	v_mul_f32_e32 v104, v95, v105
	s_delay_alu instid0(VALU_DEP_2) | instskip(SKIP_2) | instid1(VALU_DEP_4)
	v_pk_fma_f32 v[108:109], v[92:93], v[102:103], v[106:107] op_sel:[0,0,1] op_sel_hi:[1,1,0] neg_lo:[0,0,1] neg_hi:[0,0,1]
	v_pk_fma_f32 v[92:93], v[92:93], v[102:103], v[106:107] op_sel:[0,0,1] op_sel_hi:[1,0,0]
	v_mov_b32_e32 v92, v95
	v_pk_fma_f32 v[104:105], v[94:95], v[82:83], v[104:105] op_sel_hi:[1,1,0] neg_lo:[0,0,1] neg_hi:[0,0,1]
	s_delay_alu instid0(VALU_DEP_3) | instskip(SKIP_1) | instid1(VALU_DEP_2)
	v_dual_mov_b32 v109, v93 :: v_dual_mov_b32 v93, v94
	v_mul_f32_e32 v94, v95, v102
	v_pk_add_f32 v[70:71], v[70:71], v[108:109] neg_lo:[0,1] neg_hi:[0,1]
	s_delay_alu instid0(VALU_DEP_2) | instskip(NEXT) | instid1(VALU_DEP_1)
	v_pk_fma_f32 v[92:93], v[92:93], v[82:83], v[94:95] op_sel_hi:[1,1,0]
	v_mov_b32_e32 v105, v93
	s_delay_alu instid0(VALU_DEP_1)
	v_pk_add_f32 v[90:91], v[90:91], v[104:105] neg_lo:[0,1] neg_hi:[0,1]
.LBB84_776:
	s_or_b32 exec_lo, exec_lo, s0
	v_lshl_add_u32 v92, v100, 3, v96
	s_barrier_signal -1
	s_barrier_wait -1
	ds_store_b64 v92, v[80:81]
	s_wait_dscnt 0x0
	s_barrier_signal -1
	s_barrier_wait -1
	ds_load_b64 v[92:93], v96 offset:296
	v_mov_b32_e32 v94, 37
	s_cmp_lt_i32 s14, 39
	s_cbranch_scc1 .LBB84_779
; %bb.777:
	v_add3_u32 v95, v97, 0, 0x130
	v_mov_b32_e32 v94, 37
	s_mov_b32 s0, 38
.LBB84_778:                             ; =>This Inner Loop Header: Depth=1
	ds_load_b64 v[102:103], v95
	s_wait_dscnt 0x1
	v_cmp_gt_f32_e32 vcc_lo, 0, v92
	v_cndmask_b32_e64 v104, v92, -v92, vcc_lo
	v_cmp_gt_f32_e32 vcc_lo, 0, v93
	v_cndmask_b32_e64 v106, v93, -v93, vcc_lo
	s_wait_dscnt 0x0
	v_cmp_gt_f32_e32 vcc_lo, 0, v102
	v_cndmask_b32_e64 v105, v102, -v102, vcc_lo
	v_cmp_gt_f32_e32 vcc_lo, 0, v103
	v_cndmask_b32_e64 v107, v103, -v103, vcc_lo
	s_delay_alu instid0(VALU_DEP_1) | instskip(NEXT) | instid1(VALU_DEP_1)
	v_pk_add_f32 v[104:105], v[104:105], v[106:107]
	v_cmp_lt_f32_e32 vcc_lo, v104, v105
	v_dual_cndmask_b32 v92, v92, v102 :: v_dual_add_nc_u32 v95, 8, v95
	v_cndmask_b32_e32 v93, v93, v103, vcc_lo
	v_cndmask_b32_e64 v94, v94, s0, vcc_lo
	s_add_co_i32 s0, s0, 1
	s_delay_alu instid0(SALU_CYCLE_1)
	s_cmp_lg_u32 s14, s0
	s_cbranch_scc1 .LBB84_778
.LBB84_779:
	s_wait_dscnt 0x0
	v_cmp_eq_f32_e32 vcc_lo, 0, v92
	v_cmp_eq_f32_e64 s0, 0, v93
	s_and_b32 s0, vcc_lo, s0
	s_delay_alu instid0(SALU_CYCLE_1) | instskip(NEXT) | instid1(SALU_CYCLE_1)
	s_and_saveexec_b32 s1, s0
	s_xor_b32 s0, exec_lo, s1
; %bb.780:
	v_cmp_ne_u32_e32 vcc_lo, 0, v98
	v_cndmask_b32_e32 v98, 38, v98, vcc_lo
; %bb.781:
	s_and_not1_saveexec_b32 s0, s0
	s_cbranch_execz .LBB84_787
; %bb.782:
	v_cmp_ngt_f32_e64 s1, |v92|, |v93|
	s_and_saveexec_b32 s15, s1
	s_delay_alu instid0(SALU_CYCLE_1)
	s_xor_b32 s1, exec_lo, s15
	s_cbranch_execz .LBB84_784
; %bb.783:
	v_div_scale_f32 v95, null, v93, v93, v92
	v_div_scale_f32 v103, vcc_lo, v92, v93, v92
	s_delay_alu instid0(VALU_DEP_2) | instskip(SKIP_1) | instid1(TRANS32_DEP_1)
	v_rcp_f32_e32 v101, v95
	v_nop
	v_fma_f32 v102, -v95, v101, 1.0
	s_delay_alu instid0(VALU_DEP_1) | instskip(NEXT) | instid1(VALU_DEP_1)
	v_fmac_f32_e32 v101, v102, v101
	v_mul_f32_e32 v102, v103, v101
	s_delay_alu instid0(VALU_DEP_1) | instskip(NEXT) | instid1(VALU_DEP_1)
	v_fma_f32 v104, -v95, v102, v103
	v_fmac_f32_e32 v102, v104, v101
	s_delay_alu instid0(VALU_DEP_1) | instskip(NEXT) | instid1(VALU_DEP_1)
	v_fma_f32 v95, -v95, v102, v103
	v_div_fmas_f32 v95, v95, v101, v102
	s_delay_alu instid0(VALU_DEP_1) | instskip(NEXT) | instid1(VALU_DEP_1)
	v_div_fixup_f32 v95, v95, v93, v92
	v_fmac_f32_e32 v93, v92, v95
	s_delay_alu instid0(VALU_DEP_1) | instskip(SKIP_1) | instid1(VALU_DEP_2)
	v_div_scale_f32 v92, null, v93, v93, 1.0
	v_div_scale_f32 v103, vcc_lo, 1.0, v93, 1.0
	v_rcp_f32_e32 v101, v92
	v_nop
	s_delay_alu instid0(TRANS32_DEP_1) | instskip(NEXT) | instid1(VALU_DEP_1)
	v_fma_f32 v102, -v92, v101, 1.0
	v_fmac_f32_e32 v101, v102, v101
	s_delay_alu instid0(VALU_DEP_1) | instskip(NEXT) | instid1(VALU_DEP_1)
	v_mul_f32_e32 v102, v103, v101
	v_fma_f32 v104, -v92, v102, v103
	s_delay_alu instid0(VALU_DEP_1) | instskip(NEXT) | instid1(VALU_DEP_1)
	v_fmac_f32_e32 v102, v104, v101
	v_fma_f32 v92, -v92, v102, v103
	s_delay_alu instid0(VALU_DEP_1) | instskip(NEXT) | instid1(VALU_DEP_1)
	v_div_fmas_f32 v92, v92, v101, v102
	v_div_fixup_f32 v93, v92, v93, 1.0
	s_delay_alu instid0(VALU_DEP_1)
	v_mul_f32_e32 v92, v95, v93
	v_xor_b32_e32 v93, 0x80000000, v93
.LBB84_784:
	s_and_not1_saveexec_b32 s1, s1
	s_cbranch_execz .LBB84_786
; %bb.785:
	s_delay_alu instid0(VALU_DEP_1) | instskip(SKIP_1) | instid1(VALU_DEP_2)
	v_div_scale_f32 v95, null, v92, v92, v93
	v_div_scale_f32 v103, vcc_lo, v93, v92, v93
	v_rcp_f32_e32 v101, v95
	v_nop
	s_delay_alu instid0(TRANS32_DEP_1) | instskip(NEXT) | instid1(VALU_DEP_1)
	v_fma_f32 v102, -v95, v101, 1.0
	v_fmac_f32_e32 v101, v102, v101
	s_delay_alu instid0(VALU_DEP_1) | instskip(NEXT) | instid1(VALU_DEP_1)
	v_mul_f32_e32 v102, v103, v101
	v_fma_f32 v104, -v95, v102, v103
	s_delay_alu instid0(VALU_DEP_1) | instskip(NEXT) | instid1(VALU_DEP_1)
	v_fmac_f32_e32 v102, v104, v101
	v_fma_f32 v95, -v95, v102, v103
	s_delay_alu instid0(VALU_DEP_1) | instskip(NEXT) | instid1(VALU_DEP_1)
	v_div_fmas_f32 v95, v95, v101, v102
	v_div_fixup_f32 v95, v95, v92, v93
	s_delay_alu instid0(VALU_DEP_1) | instskip(NEXT) | instid1(VALU_DEP_1)
	v_fmac_f32_e32 v92, v93, v95
	v_div_scale_f32 v93, null, v92, v92, 1.0
	s_delay_alu instid0(VALU_DEP_1) | instskip(SKIP_1) | instid1(TRANS32_DEP_1)
	v_rcp_f32_e32 v101, v93
	v_nop
	v_fma_f32 v102, -v93, v101, 1.0
	s_delay_alu instid0(VALU_DEP_1) | instskip(SKIP_1) | instid1(VALU_DEP_1)
	v_fmac_f32_e32 v101, v102, v101
	v_div_scale_f32 v102, vcc_lo, 1.0, v92, 1.0
	v_mul_f32_e32 v103, v102, v101
	s_delay_alu instid0(VALU_DEP_1) | instskip(NEXT) | instid1(VALU_DEP_1)
	v_fma_f32 v104, -v93, v103, v102
	v_fmac_f32_e32 v103, v104, v101
	s_delay_alu instid0(VALU_DEP_1) | instskip(NEXT) | instid1(VALU_DEP_1)
	v_fma_f32 v93, -v93, v103, v102
	v_div_fmas_f32 v93, v93, v101, v103
	s_delay_alu instid0(VALU_DEP_1) | instskip(NEXT) | instid1(VALU_DEP_1)
	v_div_fixup_f32 v92, v93, v92, 1.0
	v_mul_f32_e64 v93, v95, -v92
.LBB84_786:
	s_or_b32 exec_lo, exec_lo, s1
.LBB84_787:
	s_delay_alu instid0(SALU_CYCLE_1) | instskip(NEXT) | instid1(SALU_CYCLE_1)
	s_or_b32 exec_lo, exec_lo, s0
	s_mov_b32 s0, exec_lo
	v_cmpx_ne_u32_e64 v100, v94
	s_xor_b32 s0, exec_lo, s0
	s_cbranch_execz .LBB84_793
; %bb.788:
	s_mov_b32 s1, exec_lo
	v_cmpx_eq_u32_e32 37, v100
	s_cbranch_execz .LBB84_792
; %bb.789:
	v_cmp_ne_u32_e32 vcc_lo, 37, v94
	s_xor_b32 s15, s12, -1
	s_delay_alu instid0(SALU_CYCLE_1) | instskip(NEXT) | instid1(SALU_CYCLE_1)
	s_and_b32 s16, s15, vcc_lo
	s_and_saveexec_b32 s15, s16
	s_cbranch_execz .LBB84_791
; %bb.790:
	v_ashrrev_i32_e32 v95, 31, v94
	s_delay_alu instid0(VALU_DEP_1)
	v_lshl_add_u64 v[100:101], v[94:95], 2, v[4:5]
	s_clause 0x1
	global_load_b32 v95, v[100:101], off
	global_load_b32 v99, v[4:5], off offset:148
	s_wait_loadcnt 0x1
	global_store_b32 v[4:5], v95, off offset:148
	s_wait_loadcnt 0x0
	global_store_b32 v[100:101], v99, off
.LBB84_791:
	s_wait_xcnt 0x0
	s_or_b32 exec_lo, exec_lo, s15
	v_dual_mov_b32 v100, v94 :: v_dual_mov_b32 v99, v94
.LBB84_792:
	s_or_b32 exec_lo, exec_lo, s1
.LBB84_793:
	s_and_not1_saveexec_b32 s0, s0
	s_cbranch_execz .LBB84_795
; %bb.794:
	v_dual_mov_b32 v94, v64 :: v_dual_mov_b32 v95, v65
	v_dual_mov_b32 v102, v62 :: v_dual_mov_b32 v103, v63
	;; [unrolled: 1-line block ×4, first 2 shown]
	v_mov_b32_e32 v107, v71
	ds_store_2addr_b64 v96, v[94:95], v[102:103] offset0:38 offset1:39
	ds_store_2addr_b64 v96, v[104:105], v[106:107] offset0:40 offset1:41
	ds_store_b64 v96, v[90:91] offset:336
.LBB84_795:
	s_or_b32 exec_lo, exec_lo, s0
	s_delay_alu instid0(SALU_CYCLE_1)
	s_mov_b32 s0, exec_lo
	s_wait_storecnt_dscnt 0x0
	s_barrier_signal -1
	s_barrier_wait -1
	v_cmpx_lt_i32_e32 37, v100
	s_cbranch_execz .LBB84_797
; %bb.796:
	v_pk_mul_f32 v[94:95], v[92:93], v[80:81] op_sel:[1,1] op_sel_hi:[0,1]
	s_delay_alu instid0(VALU_DEP_1)
	v_pk_fma_f32 v[102:103], v[92:93], v[80:81], v[94:95] op_sel_hi:[1,0,1] neg_lo:[0,0,1] neg_hi:[0,0,1]
	v_pk_fma_f32 v[104:105], v[92:93], v[80:81], v[94:95] op_sel_hi:[1,0,1]
	ds_load_2addr_b64 v[92:95], v96 offset0:38 offset1:39
	v_dual_mov_b32 v80, v102 :: v_dual_mov_b32 v81, v105
	s_wait_dscnt 0x0
	v_pk_mul_f32 v[106:107], v[92:93], v[104:105] op_sel:[0,1]
	s_delay_alu instid0(VALU_DEP_1) | instskip(SKIP_1) | instid1(VALU_DEP_1)
	v_pk_fma_f32 v[108:109], v[92:93], v[102:103], v[106:107] op_sel:[0,0,1] op_sel_hi:[1,1,0] neg_lo:[0,0,1] neg_hi:[0,0,1]
	v_pk_fma_f32 v[92:93], v[92:93], v[102:103], v[106:107] op_sel:[0,0,1] op_sel_hi:[1,0,0]
	v_mov_b32_e32 v109, v93
	v_pk_mul_f32 v[92:93], v[94:95], v[104:105] op_sel:[0,1]
	s_delay_alu instid0(VALU_DEP_1) | instskip(SKIP_1) | instid1(VALU_DEP_1)
	v_pk_fma_f32 v[106:107], v[94:95], v[102:103], v[92:93] op_sel:[0,0,1] op_sel_hi:[1,1,0] neg_lo:[0,0,1] neg_hi:[0,0,1]
	v_pk_fma_f32 v[92:93], v[94:95], v[102:103], v[92:93] op_sel:[0,0,1] op_sel_hi:[1,0,0]
	v_mov_b32_e32 v107, v93
	ds_load_2addr_b64 v[92:95], v96 offset0:40 offset1:41
	v_pk_add_f32 v[64:65], v[64:65], v[108:109] neg_lo:[0,1] neg_hi:[0,1]
	v_pk_add_f32 v[62:63], v[62:63], v[106:107] neg_lo:[0,1] neg_hi:[0,1]
	s_wait_dscnt 0x0
	v_pk_mul_f32 v[106:107], v[92:93], v[104:105] op_sel:[0,1]
	s_delay_alu instid0(VALU_DEP_1) | instskip(SKIP_2) | instid1(VALU_DEP_2)
	v_pk_fma_f32 v[108:109], v[92:93], v[102:103], v[106:107] op_sel:[0,0,1] op_sel_hi:[1,1,0] neg_lo:[0,0,1] neg_hi:[0,0,1]
	v_pk_fma_f32 v[92:93], v[92:93], v[102:103], v[106:107] op_sel:[0,0,1] op_sel_hi:[1,0,0]
	v_dual_mul_f32 v106, v95, v105 :: v_dual_mov_b32 v92, v95
	v_dual_mov_b32 v109, v93 :: v_dual_mov_b32 v93, v94
	s_delay_alu instid0(VALU_DEP_2) | instskip(SKIP_1) | instid1(VALU_DEP_3)
	v_pk_fma_f32 v[106:107], v[94:95], v[80:81], v[106:107] op_sel_hi:[1,1,0] neg_lo:[0,0,1] neg_hi:[0,0,1]
	v_mul_f32_e32 v94, v95, v102
	v_pk_add_f32 v[72:73], v[72:73], v[108:109] neg_lo:[0,1] neg_hi:[0,1]
	s_delay_alu instid0(VALU_DEP_2) | instskip(NEXT) | instid1(VALU_DEP_1)
	v_pk_fma_f32 v[92:93], v[92:93], v[80:81], v[94:95] op_sel_hi:[1,1,0]
	v_mov_b32_e32 v107, v93
	ds_load_b64 v[92:93], v96 offset:336
	v_pk_add_f32 v[70:71], v[70:71], v[106:107] neg_lo:[0,1] neg_hi:[0,1]
	s_wait_dscnt 0x0
	v_pk_mul_f32 v[94:95], v[92:93], v[104:105] op_sel:[0,1]
	s_delay_alu instid0(VALU_DEP_1) | instskip(SKIP_1) | instid1(VALU_DEP_1)
	v_pk_fma_f32 v[104:105], v[92:93], v[102:103], v[94:95] op_sel:[0,0,1] op_sel_hi:[1,1,0] neg_lo:[0,0,1] neg_hi:[0,0,1]
	v_pk_fma_f32 v[92:93], v[92:93], v[102:103], v[94:95] op_sel:[0,0,1] op_sel_hi:[1,0,0]
	v_mov_b32_e32 v105, v93
	s_delay_alu instid0(VALU_DEP_1)
	v_pk_add_f32 v[90:91], v[90:91], v[104:105] neg_lo:[0,1] neg_hi:[0,1]
.LBB84_797:
	s_or_b32 exec_lo, exec_lo, s0
	v_lshl_add_u32 v92, v100, 3, v96
	s_barrier_signal -1
	s_barrier_wait -1
	ds_store_b64 v92, v[64:65]
	s_wait_dscnt 0x0
	s_barrier_signal -1
	s_barrier_wait -1
	ds_load_b64 v[92:93], v96 offset:304
	v_mov_b32_e32 v94, 38
	s_cmp_lt_i32 s14, 40
	s_cbranch_scc1 .LBB84_800
; %bb.798:
	v_add3_u32 v95, v97, 0, 0x138
	v_mov_b32_e32 v94, 38
	s_mov_b32 s0, 39
.LBB84_799:                             ; =>This Inner Loop Header: Depth=1
	ds_load_b64 v[102:103], v95
	s_wait_dscnt 0x1
	v_cmp_gt_f32_e32 vcc_lo, 0, v92
	v_cndmask_b32_e64 v104, v92, -v92, vcc_lo
	v_cmp_gt_f32_e32 vcc_lo, 0, v93
	v_cndmask_b32_e64 v106, v93, -v93, vcc_lo
	s_wait_dscnt 0x0
	v_cmp_gt_f32_e32 vcc_lo, 0, v102
	v_cndmask_b32_e64 v105, v102, -v102, vcc_lo
	v_cmp_gt_f32_e32 vcc_lo, 0, v103
	v_cndmask_b32_e64 v107, v103, -v103, vcc_lo
	s_delay_alu instid0(VALU_DEP_1) | instskip(NEXT) | instid1(VALU_DEP_1)
	v_pk_add_f32 v[104:105], v[104:105], v[106:107]
	v_cmp_lt_f32_e32 vcc_lo, v104, v105
	v_dual_cndmask_b32 v92, v92, v102 :: v_dual_add_nc_u32 v95, 8, v95
	v_cndmask_b32_e32 v93, v93, v103, vcc_lo
	v_cndmask_b32_e64 v94, v94, s0, vcc_lo
	s_add_co_i32 s0, s0, 1
	s_delay_alu instid0(SALU_CYCLE_1)
	s_cmp_lg_u32 s14, s0
	s_cbranch_scc1 .LBB84_799
.LBB84_800:
	s_wait_dscnt 0x0
	v_cmp_eq_f32_e32 vcc_lo, 0, v92
	v_cmp_eq_f32_e64 s0, 0, v93
	s_and_b32 s0, vcc_lo, s0
	s_delay_alu instid0(SALU_CYCLE_1) | instskip(NEXT) | instid1(SALU_CYCLE_1)
	s_and_saveexec_b32 s1, s0
	s_xor_b32 s0, exec_lo, s1
; %bb.801:
	v_cmp_ne_u32_e32 vcc_lo, 0, v98
	v_cndmask_b32_e32 v98, 39, v98, vcc_lo
; %bb.802:
	s_and_not1_saveexec_b32 s0, s0
	s_cbranch_execz .LBB84_808
; %bb.803:
	v_cmp_ngt_f32_e64 s1, |v92|, |v93|
	s_and_saveexec_b32 s15, s1
	s_delay_alu instid0(SALU_CYCLE_1)
	s_xor_b32 s1, exec_lo, s15
	s_cbranch_execz .LBB84_805
; %bb.804:
	v_div_scale_f32 v95, null, v93, v93, v92
	v_div_scale_f32 v103, vcc_lo, v92, v93, v92
	s_delay_alu instid0(VALU_DEP_2) | instskip(SKIP_1) | instid1(TRANS32_DEP_1)
	v_rcp_f32_e32 v101, v95
	v_nop
	v_fma_f32 v102, -v95, v101, 1.0
	s_delay_alu instid0(VALU_DEP_1) | instskip(NEXT) | instid1(VALU_DEP_1)
	v_fmac_f32_e32 v101, v102, v101
	v_mul_f32_e32 v102, v103, v101
	s_delay_alu instid0(VALU_DEP_1) | instskip(NEXT) | instid1(VALU_DEP_1)
	v_fma_f32 v104, -v95, v102, v103
	v_fmac_f32_e32 v102, v104, v101
	s_delay_alu instid0(VALU_DEP_1) | instskip(NEXT) | instid1(VALU_DEP_1)
	v_fma_f32 v95, -v95, v102, v103
	v_div_fmas_f32 v95, v95, v101, v102
	s_delay_alu instid0(VALU_DEP_1) | instskip(NEXT) | instid1(VALU_DEP_1)
	v_div_fixup_f32 v95, v95, v93, v92
	v_fmac_f32_e32 v93, v92, v95
	s_delay_alu instid0(VALU_DEP_1) | instskip(SKIP_1) | instid1(VALU_DEP_2)
	v_div_scale_f32 v92, null, v93, v93, 1.0
	v_div_scale_f32 v103, vcc_lo, 1.0, v93, 1.0
	v_rcp_f32_e32 v101, v92
	v_nop
	s_delay_alu instid0(TRANS32_DEP_1) | instskip(NEXT) | instid1(VALU_DEP_1)
	v_fma_f32 v102, -v92, v101, 1.0
	v_fmac_f32_e32 v101, v102, v101
	s_delay_alu instid0(VALU_DEP_1) | instskip(NEXT) | instid1(VALU_DEP_1)
	v_mul_f32_e32 v102, v103, v101
	v_fma_f32 v104, -v92, v102, v103
	s_delay_alu instid0(VALU_DEP_1) | instskip(NEXT) | instid1(VALU_DEP_1)
	v_fmac_f32_e32 v102, v104, v101
	v_fma_f32 v92, -v92, v102, v103
	s_delay_alu instid0(VALU_DEP_1) | instskip(NEXT) | instid1(VALU_DEP_1)
	v_div_fmas_f32 v92, v92, v101, v102
	v_div_fixup_f32 v93, v92, v93, 1.0
	s_delay_alu instid0(VALU_DEP_1)
	v_mul_f32_e32 v92, v95, v93
	v_xor_b32_e32 v93, 0x80000000, v93
.LBB84_805:
	s_and_not1_saveexec_b32 s1, s1
	s_cbranch_execz .LBB84_807
; %bb.806:
	s_delay_alu instid0(VALU_DEP_1) | instskip(SKIP_1) | instid1(VALU_DEP_2)
	v_div_scale_f32 v95, null, v92, v92, v93
	v_div_scale_f32 v103, vcc_lo, v93, v92, v93
	v_rcp_f32_e32 v101, v95
	v_nop
	s_delay_alu instid0(TRANS32_DEP_1) | instskip(NEXT) | instid1(VALU_DEP_1)
	v_fma_f32 v102, -v95, v101, 1.0
	v_fmac_f32_e32 v101, v102, v101
	s_delay_alu instid0(VALU_DEP_1) | instskip(NEXT) | instid1(VALU_DEP_1)
	v_mul_f32_e32 v102, v103, v101
	v_fma_f32 v104, -v95, v102, v103
	s_delay_alu instid0(VALU_DEP_1) | instskip(NEXT) | instid1(VALU_DEP_1)
	v_fmac_f32_e32 v102, v104, v101
	v_fma_f32 v95, -v95, v102, v103
	s_delay_alu instid0(VALU_DEP_1) | instskip(NEXT) | instid1(VALU_DEP_1)
	v_div_fmas_f32 v95, v95, v101, v102
	v_div_fixup_f32 v95, v95, v92, v93
	s_delay_alu instid0(VALU_DEP_1) | instskip(NEXT) | instid1(VALU_DEP_1)
	v_fmac_f32_e32 v92, v93, v95
	v_div_scale_f32 v93, null, v92, v92, 1.0
	s_delay_alu instid0(VALU_DEP_1) | instskip(SKIP_1) | instid1(TRANS32_DEP_1)
	v_rcp_f32_e32 v101, v93
	v_nop
	v_fma_f32 v102, -v93, v101, 1.0
	s_delay_alu instid0(VALU_DEP_1) | instskip(SKIP_1) | instid1(VALU_DEP_1)
	v_fmac_f32_e32 v101, v102, v101
	v_div_scale_f32 v102, vcc_lo, 1.0, v92, 1.0
	v_mul_f32_e32 v103, v102, v101
	s_delay_alu instid0(VALU_DEP_1) | instskip(NEXT) | instid1(VALU_DEP_1)
	v_fma_f32 v104, -v93, v103, v102
	v_fmac_f32_e32 v103, v104, v101
	s_delay_alu instid0(VALU_DEP_1) | instskip(NEXT) | instid1(VALU_DEP_1)
	v_fma_f32 v93, -v93, v103, v102
	v_div_fmas_f32 v93, v93, v101, v103
	s_delay_alu instid0(VALU_DEP_1) | instskip(NEXT) | instid1(VALU_DEP_1)
	v_div_fixup_f32 v92, v93, v92, 1.0
	v_mul_f32_e64 v93, v95, -v92
.LBB84_807:
	s_or_b32 exec_lo, exec_lo, s1
.LBB84_808:
	s_delay_alu instid0(SALU_CYCLE_1) | instskip(NEXT) | instid1(SALU_CYCLE_1)
	s_or_b32 exec_lo, exec_lo, s0
	s_mov_b32 s0, exec_lo
	v_cmpx_ne_u32_e64 v100, v94
	s_xor_b32 s0, exec_lo, s0
	s_cbranch_execz .LBB84_814
; %bb.809:
	s_mov_b32 s1, exec_lo
	v_cmpx_eq_u32_e32 38, v100
	s_cbranch_execz .LBB84_813
; %bb.810:
	v_cmp_ne_u32_e32 vcc_lo, 38, v94
	s_xor_b32 s15, s12, -1
	s_delay_alu instid0(SALU_CYCLE_1) | instskip(NEXT) | instid1(SALU_CYCLE_1)
	s_and_b32 s16, s15, vcc_lo
	s_and_saveexec_b32 s15, s16
	s_cbranch_execz .LBB84_812
; %bb.811:
	v_ashrrev_i32_e32 v95, 31, v94
	s_delay_alu instid0(VALU_DEP_1)
	v_lshl_add_u64 v[100:101], v[94:95], 2, v[4:5]
	s_clause 0x1
	global_load_b32 v95, v[100:101], off
	global_load_b32 v99, v[4:5], off offset:152
	s_wait_loadcnt 0x1
	global_store_b32 v[4:5], v95, off offset:152
	s_wait_loadcnt 0x0
	global_store_b32 v[100:101], v99, off
.LBB84_812:
	s_wait_xcnt 0x0
	s_or_b32 exec_lo, exec_lo, s15
	v_dual_mov_b32 v100, v94 :: v_dual_mov_b32 v99, v94
.LBB84_813:
	s_or_b32 exec_lo, exec_lo, s1
.LBB84_814:
	s_and_not1_saveexec_b32 s0, s0
	s_cbranch_execz .LBB84_816
; %bb.815:
	v_mov_b32_e32 v100, 38
	ds_store_2addr_b64 v96, v[62:63], v[72:73] offset0:39 offset1:40
	ds_store_2addr_b64 v96, v[70:71], v[90:91] offset0:41 offset1:42
.LBB84_816:
	s_or_b32 exec_lo, exec_lo, s0
	s_delay_alu instid0(SALU_CYCLE_1)
	s_mov_b32 s0, exec_lo
	s_wait_storecnt_dscnt 0x0
	s_barrier_signal -1
	s_barrier_wait -1
	v_cmpx_lt_i32_e32 38, v100
	s_cbranch_execz .LBB84_818
; %bb.817:
	v_pk_mul_f32 v[94:95], v[92:93], v[64:65] op_sel:[1,1] op_sel_hi:[0,1]
	s_delay_alu instid0(VALU_DEP_1)
	v_pk_fma_f32 v[102:103], v[92:93], v[64:65], v[94:95] op_sel_hi:[1,0,1] neg_lo:[0,0,1] neg_hi:[0,0,1]
	v_pk_fma_f32 v[104:105], v[92:93], v[64:65], v[94:95] op_sel_hi:[1,0,1]
	ds_load_2addr_b64 v[92:95], v96 offset0:39 offset1:40
	v_dual_mov_b32 v64, v102 :: v_dual_mov_b32 v65, v105
	s_wait_dscnt 0x0
	v_pk_mul_f32 v[106:107], v[92:93], v[104:105] op_sel:[0,1]
	s_delay_alu instid0(VALU_DEP_1) | instskip(SKIP_1) | instid1(VALU_DEP_1)
	v_pk_fma_f32 v[108:109], v[92:93], v[102:103], v[106:107] op_sel:[0,0,1] op_sel_hi:[1,1,0] neg_lo:[0,0,1] neg_hi:[0,0,1]
	v_pk_fma_f32 v[92:93], v[92:93], v[102:103], v[106:107] op_sel:[0,0,1] op_sel_hi:[1,0,0]
	v_mov_b32_e32 v109, v93
	v_pk_mul_f32 v[92:93], v[94:95], v[104:105] op_sel:[0,1]
	s_delay_alu instid0(VALU_DEP_1) | instskip(SKIP_1) | instid1(VALU_DEP_1)
	v_pk_fma_f32 v[106:107], v[94:95], v[102:103], v[92:93] op_sel:[0,0,1] op_sel_hi:[1,1,0] neg_lo:[0,0,1] neg_hi:[0,0,1]
	v_pk_fma_f32 v[92:93], v[94:95], v[102:103], v[92:93] op_sel:[0,0,1] op_sel_hi:[1,0,0]
	v_mov_b32_e32 v107, v93
	ds_load_2addr_b64 v[92:95], v96 offset0:41 offset1:42
	v_pk_add_f32 v[62:63], v[62:63], v[108:109] neg_lo:[0,1] neg_hi:[0,1]
	v_pk_add_f32 v[72:73], v[72:73], v[106:107] neg_lo:[0,1] neg_hi:[0,1]
	s_wait_dscnt 0x0
	v_pk_mul_f32 v[106:107], v[92:93], v[104:105] op_sel:[0,1]
	s_delay_alu instid0(VALU_DEP_1) | instskip(SKIP_1) | instid1(VALU_DEP_1)
	v_pk_fma_f32 v[108:109], v[92:93], v[102:103], v[106:107] op_sel:[0,0,1] op_sel_hi:[1,1,0] neg_lo:[0,0,1] neg_hi:[0,0,1]
	v_pk_fma_f32 v[92:93], v[92:93], v[102:103], v[106:107] op_sel:[0,0,1] op_sel_hi:[1,0,0]
	v_dual_mov_b32 v92, v95 :: v_dual_mov_b32 v109, v93
	v_mov_b32_e32 v93, v94
	s_delay_alu instid0(VALU_DEP_2) | instskip(NEXT) | instid1(VALU_DEP_2)
	v_pk_add_f32 v[70:71], v[70:71], v[108:109] neg_lo:[0,1] neg_hi:[0,1]
	v_pk_mul_f32 v[92:93], v[92:93], v[104:105] op_sel:[0,1]
	s_delay_alu instid0(VALU_DEP_1) | instskip(SKIP_1) | instid1(VALU_DEP_1)
	v_pk_fma_f32 v[104:105], v[94:95], v[102:103], v[92:93] neg_lo:[0,0,1] neg_hi:[0,0,1]
	v_pk_fma_f32 v[92:93], v[94:95], v[102:103], v[92:93] op_sel_hi:[1,0,1]
	v_mov_b32_e32 v105, v93
	s_delay_alu instid0(VALU_DEP_1)
	v_pk_add_f32 v[90:91], v[90:91], v[104:105] neg_lo:[0,1] neg_hi:[0,1]
.LBB84_818:
	s_or_b32 exec_lo, exec_lo, s0
	v_lshl_add_u32 v92, v100, 3, v96
	s_barrier_signal -1
	s_barrier_wait -1
	ds_store_b64 v92, v[62:63]
	s_wait_dscnt 0x0
	s_barrier_signal -1
	s_barrier_wait -1
	ds_load_b64 v[92:93], v96 offset:312
	v_mov_b32_e32 v94, 39
	s_cmp_lt_i32 s14, 41
	s_cbranch_scc1 .LBB84_821
; %bb.819:
	v_add3_u32 v95, v97, 0, 0x140
	v_mov_b32_e32 v94, 39
	s_mov_b32 s0, 40
.LBB84_820:                             ; =>This Inner Loop Header: Depth=1
	ds_load_b64 v[102:103], v95
	s_wait_dscnt 0x1
	v_cmp_gt_f32_e32 vcc_lo, 0, v92
	v_cndmask_b32_e64 v104, v92, -v92, vcc_lo
	v_cmp_gt_f32_e32 vcc_lo, 0, v93
	v_cndmask_b32_e64 v106, v93, -v93, vcc_lo
	s_wait_dscnt 0x0
	v_cmp_gt_f32_e32 vcc_lo, 0, v102
	v_cndmask_b32_e64 v105, v102, -v102, vcc_lo
	v_cmp_gt_f32_e32 vcc_lo, 0, v103
	v_cndmask_b32_e64 v107, v103, -v103, vcc_lo
	s_delay_alu instid0(VALU_DEP_1) | instskip(NEXT) | instid1(VALU_DEP_1)
	v_pk_add_f32 v[104:105], v[104:105], v[106:107]
	v_cmp_lt_f32_e32 vcc_lo, v104, v105
	v_dual_cndmask_b32 v92, v92, v102 :: v_dual_add_nc_u32 v95, 8, v95
	v_cndmask_b32_e32 v93, v93, v103, vcc_lo
	v_cndmask_b32_e64 v94, v94, s0, vcc_lo
	s_add_co_i32 s0, s0, 1
	s_delay_alu instid0(SALU_CYCLE_1)
	s_cmp_lg_u32 s14, s0
	s_cbranch_scc1 .LBB84_820
.LBB84_821:
	s_wait_dscnt 0x0
	v_cmp_eq_f32_e32 vcc_lo, 0, v92
	v_cmp_eq_f32_e64 s0, 0, v93
	s_and_b32 s0, vcc_lo, s0
	s_delay_alu instid0(SALU_CYCLE_1) | instskip(NEXT) | instid1(SALU_CYCLE_1)
	s_and_saveexec_b32 s1, s0
	s_xor_b32 s0, exec_lo, s1
; %bb.822:
	v_cmp_ne_u32_e32 vcc_lo, 0, v98
	v_cndmask_b32_e32 v98, 40, v98, vcc_lo
; %bb.823:
	s_and_not1_saveexec_b32 s0, s0
	s_cbranch_execz .LBB84_829
; %bb.824:
	v_cmp_ngt_f32_e64 s1, |v92|, |v93|
	s_and_saveexec_b32 s15, s1
	s_delay_alu instid0(SALU_CYCLE_1)
	s_xor_b32 s1, exec_lo, s15
	s_cbranch_execz .LBB84_826
; %bb.825:
	v_div_scale_f32 v95, null, v93, v93, v92
	v_div_scale_f32 v103, vcc_lo, v92, v93, v92
	s_delay_alu instid0(VALU_DEP_2) | instskip(SKIP_1) | instid1(TRANS32_DEP_1)
	v_rcp_f32_e32 v101, v95
	v_nop
	v_fma_f32 v102, -v95, v101, 1.0
	s_delay_alu instid0(VALU_DEP_1) | instskip(NEXT) | instid1(VALU_DEP_1)
	v_fmac_f32_e32 v101, v102, v101
	v_mul_f32_e32 v102, v103, v101
	s_delay_alu instid0(VALU_DEP_1) | instskip(NEXT) | instid1(VALU_DEP_1)
	v_fma_f32 v104, -v95, v102, v103
	v_fmac_f32_e32 v102, v104, v101
	s_delay_alu instid0(VALU_DEP_1) | instskip(NEXT) | instid1(VALU_DEP_1)
	v_fma_f32 v95, -v95, v102, v103
	v_div_fmas_f32 v95, v95, v101, v102
	s_delay_alu instid0(VALU_DEP_1) | instskip(NEXT) | instid1(VALU_DEP_1)
	v_div_fixup_f32 v95, v95, v93, v92
	v_fmac_f32_e32 v93, v92, v95
	s_delay_alu instid0(VALU_DEP_1) | instskip(SKIP_1) | instid1(VALU_DEP_2)
	v_div_scale_f32 v92, null, v93, v93, 1.0
	v_div_scale_f32 v103, vcc_lo, 1.0, v93, 1.0
	v_rcp_f32_e32 v101, v92
	v_nop
	s_delay_alu instid0(TRANS32_DEP_1) | instskip(NEXT) | instid1(VALU_DEP_1)
	v_fma_f32 v102, -v92, v101, 1.0
	v_fmac_f32_e32 v101, v102, v101
	s_delay_alu instid0(VALU_DEP_1) | instskip(NEXT) | instid1(VALU_DEP_1)
	v_mul_f32_e32 v102, v103, v101
	v_fma_f32 v104, -v92, v102, v103
	s_delay_alu instid0(VALU_DEP_1) | instskip(NEXT) | instid1(VALU_DEP_1)
	v_fmac_f32_e32 v102, v104, v101
	v_fma_f32 v92, -v92, v102, v103
	s_delay_alu instid0(VALU_DEP_1) | instskip(NEXT) | instid1(VALU_DEP_1)
	v_div_fmas_f32 v92, v92, v101, v102
	v_div_fixup_f32 v93, v92, v93, 1.0
	s_delay_alu instid0(VALU_DEP_1)
	v_mul_f32_e32 v92, v95, v93
	v_xor_b32_e32 v93, 0x80000000, v93
.LBB84_826:
	s_and_not1_saveexec_b32 s1, s1
	s_cbranch_execz .LBB84_828
; %bb.827:
	s_delay_alu instid0(VALU_DEP_1) | instskip(SKIP_1) | instid1(VALU_DEP_2)
	v_div_scale_f32 v95, null, v92, v92, v93
	v_div_scale_f32 v103, vcc_lo, v93, v92, v93
	v_rcp_f32_e32 v101, v95
	v_nop
	s_delay_alu instid0(TRANS32_DEP_1) | instskip(NEXT) | instid1(VALU_DEP_1)
	v_fma_f32 v102, -v95, v101, 1.0
	v_fmac_f32_e32 v101, v102, v101
	s_delay_alu instid0(VALU_DEP_1) | instskip(NEXT) | instid1(VALU_DEP_1)
	v_mul_f32_e32 v102, v103, v101
	v_fma_f32 v104, -v95, v102, v103
	s_delay_alu instid0(VALU_DEP_1) | instskip(NEXT) | instid1(VALU_DEP_1)
	v_fmac_f32_e32 v102, v104, v101
	v_fma_f32 v95, -v95, v102, v103
	s_delay_alu instid0(VALU_DEP_1) | instskip(NEXT) | instid1(VALU_DEP_1)
	v_div_fmas_f32 v95, v95, v101, v102
	v_div_fixup_f32 v95, v95, v92, v93
	s_delay_alu instid0(VALU_DEP_1) | instskip(NEXT) | instid1(VALU_DEP_1)
	v_fmac_f32_e32 v92, v93, v95
	v_div_scale_f32 v93, null, v92, v92, 1.0
	s_delay_alu instid0(VALU_DEP_1) | instskip(SKIP_1) | instid1(TRANS32_DEP_1)
	v_rcp_f32_e32 v101, v93
	v_nop
	v_fma_f32 v102, -v93, v101, 1.0
	s_delay_alu instid0(VALU_DEP_1) | instskip(SKIP_1) | instid1(VALU_DEP_1)
	v_fmac_f32_e32 v101, v102, v101
	v_div_scale_f32 v102, vcc_lo, 1.0, v92, 1.0
	v_mul_f32_e32 v103, v102, v101
	s_delay_alu instid0(VALU_DEP_1) | instskip(NEXT) | instid1(VALU_DEP_1)
	v_fma_f32 v104, -v93, v103, v102
	v_fmac_f32_e32 v103, v104, v101
	s_delay_alu instid0(VALU_DEP_1) | instskip(NEXT) | instid1(VALU_DEP_1)
	v_fma_f32 v93, -v93, v103, v102
	v_div_fmas_f32 v93, v93, v101, v103
	s_delay_alu instid0(VALU_DEP_1) | instskip(NEXT) | instid1(VALU_DEP_1)
	v_div_fixup_f32 v92, v93, v92, 1.0
	v_mul_f32_e64 v93, v95, -v92
.LBB84_828:
	s_or_b32 exec_lo, exec_lo, s1
.LBB84_829:
	s_delay_alu instid0(SALU_CYCLE_1) | instskip(NEXT) | instid1(SALU_CYCLE_1)
	s_or_b32 exec_lo, exec_lo, s0
	s_mov_b32 s0, exec_lo
	v_cmpx_ne_u32_e64 v100, v94
	s_xor_b32 s0, exec_lo, s0
	s_cbranch_execz .LBB84_835
; %bb.830:
	s_mov_b32 s1, exec_lo
	v_cmpx_eq_u32_e32 39, v100
	s_cbranch_execz .LBB84_834
; %bb.831:
	v_cmp_ne_u32_e32 vcc_lo, 39, v94
	s_xor_b32 s15, s12, -1
	s_delay_alu instid0(SALU_CYCLE_1) | instskip(NEXT) | instid1(SALU_CYCLE_1)
	s_and_b32 s16, s15, vcc_lo
	s_and_saveexec_b32 s15, s16
	s_cbranch_execz .LBB84_833
; %bb.832:
	v_ashrrev_i32_e32 v95, 31, v94
	s_delay_alu instid0(VALU_DEP_1)
	v_lshl_add_u64 v[100:101], v[94:95], 2, v[4:5]
	s_clause 0x1
	global_load_b32 v95, v[100:101], off
	global_load_b32 v99, v[4:5], off offset:156
	s_wait_loadcnt 0x1
	global_store_b32 v[4:5], v95, off offset:156
	s_wait_loadcnt 0x0
	global_store_b32 v[100:101], v99, off
.LBB84_833:
	s_wait_xcnt 0x0
	s_or_b32 exec_lo, exec_lo, s15
	v_dual_mov_b32 v100, v94 :: v_dual_mov_b32 v99, v94
.LBB84_834:
	s_or_b32 exec_lo, exec_lo, s1
.LBB84_835:
	s_and_not1_saveexec_b32 s0, s0
	s_cbranch_execz .LBB84_837
; %bb.836:
	v_dual_mov_b32 v94, v72 :: v_dual_mov_b32 v95, v73
	v_dual_mov_b32 v102, v70 :: v_dual_mov_b32 v103, v71
	v_mov_b32_e32 v100, 39
	ds_store_2addr_b64 v96, v[94:95], v[102:103] offset0:40 offset1:41
	ds_store_b64 v96, v[90:91] offset:336
.LBB84_837:
	s_or_b32 exec_lo, exec_lo, s0
	s_delay_alu instid0(SALU_CYCLE_1)
	s_mov_b32 s0, exec_lo
	s_wait_storecnt_dscnt 0x0
	s_barrier_signal -1
	s_barrier_wait -1
	v_cmpx_lt_i32_e32 39, v100
	s_cbranch_execz .LBB84_839
; %bb.838:
	v_pk_mul_f32 v[94:95], v[92:93], v[62:63] op_sel:[1,1] op_sel_hi:[0,1]
	s_delay_alu instid0(VALU_DEP_1)
	v_pk_fma_f32 v[102:103], v[92:93], v[62:63], v[94:95] op_sel_hi:[1,0,1] neg_lo:[0,0,1] neg_hi:[0,0,1]
	v_pk_fma_f32 v[104:105], v[92:93], v[62:63], v[94:95] op_sel_hi:[1,0,1]
	ds_load_2addr_b64 v[92:95], v96 offset0:40 offset1:41
	v_dual_mov_b32 v62, v102 :: v_dual_mov_b32 v63, v105
	s_wait_dscnt 0x0
	v_pk_mul_f32 v[106:107], v[92:93], v[104:105] op_sel:[0,1]
	s_delay_alu instid0(VALU_DEP_1) | instskip(SKIP_1) | instid1(VALU_DEP_1)
	v_pk_fma_f32 v[108:109], v[92:93], v[102:103], v[106:107] op_sel:[0,0,1] op_sel_hi:[1,1,0] neg_lo:[0,0,1] neg_hi:[0,0,1]
	v_pk_fma_f32 v[92:93], v[92:93], v[102:103], v[106:107] op_sel:[0,0,1] op_sel_hi:[1,0,0]
	v_mov_b32_e32 v109, v93
	v_pk_mul_f32 v[92:93], v[94:95], v[104:105] op_sel:[0,1]
	s_delay_alu instid0(VALU_DEP_1) | instskip(SKIP_1) | instid1(VALU_DEP_1)
	v_pk_fma_f32 v[106:107], v[94:95], v[102:103], v[92:93] op_sel:[0,0,1] op_sel_hi:[1,1,0] neg_lo:[0,0,1] neg_hi:[0,0,1]
	v_pk_fma_f32 v[92:93], v[94:95], v[102:103], v[92:93] op_sel:[0,0,1] op_sel_hi:[1,0,0]
	v_mov_b32_e32 v107, v93
	ds_load_b64 v[92:93], v96 offset:336
	v_pk_add_f32 v[72:73], v[72:73], v[108:109] neg_lo:[0,1] neg_hi:[0,1]
	v_pk_add_f32 v[70:71], v[70:71], v[106:107] neg_lo:[0,1] neg_hi:[0,1]
	s_wait_dscnt 0x0
	v_pk_mul_f32 v[94:95], v[92:93], v[104:105] op_sel:[1,1] op_sel_hi:[0,1]
	s_delay_alu instid0(VALU_DEP_1) | instskip(SKIP_1) | instid1(VALU_DEP_1)
	v_pk_fma_f32 v[104:105], v[92:93], v[102:103], v[94:95] neg_lo:[0,0,1] neg_hi:[0,0,1]
	v_pk_fma_f32 v[92:93], v[92:93], v[102:103], v[94:95] op_sel_hi:[1,0,1]
	v_mov_b32_e32 v105, v93
	s_delay_alu instid0(VALU_DEP_1)
	v_pk_add_f32 v[90:91], v[90:91], v[104:105] neg_lo:[0,1] neg_hi:[0,1]
.LBB84_839:
	s_or_b32 exec_lo, exec_lo, s0
	v_lshl_add_u32 v92, v100, 3, v96
	s_barrier_signal -1
	s_barrier_wait -1
	ds_store_b64 v92, v[72:73]
	s_wait_dscnt 0x0
	s_barrier_signal -1
	s_barrier_wait -1
	ds_load_b64 v[92:93], v96 offset:320
	v_mov_b32_e32 v94, 40
	s_cmp_lt_i32 s14, 42
	s_cbranch_scc1 .LBB84_842
; %bb.840:
	v_add3_u32 v95, v97, 0, 0x148
	v_mov_b32_e32 v94, 40
	s_mov_b32 s0, 41
.LBB84_841:                             ; =>This Inner Loop Header: Depth=1
	ds_load_b64 v[102:103], v95
	s_wait_dscnt 0x1
	v_cmp_gt_f32_e32 vcc_lo, 0, v92
	v_cndmask_b32_e64 v104, v92, -v92, vcc_lo
	v_cmp_gt_f32_e32 vcc_lo, 0, v93
	v_cndmask_b32_e64 v106, v93, -v93, vcc_lo
	s_wait_dscnt 0x0
	v_cmp_gt_f32_e32 vcc_lo, 0, v102
	v_cndmask_b32_e64 v105, v102, -v102, vcc_lo
	v_cmp_gt_f32_e32 vcc_lo, 0, v103
	v_cndmask_b32_e64 v107, v103, -v103, vcc_lo
	s_delay_alu instid0(VALU_DEP_1) | instskip(NEXT) | instid1(VALU_DEP_1)
	v_pk_add_f32 v[104:105], v[104:105], v[106:107]
	v_cmp_lt_f32_e32 vcc_lo, v104, v105
	v_dual_cndmask_b32 v92, v92, v102 :: v_dual_add_nc_u32 v95, 8, v95
	v_cndmask_b32_e32 v93, v93, v103, vcc_lo
	v_cndmask_b32_e64 v94, v94, s0, vcc_lo
	s_add_co_i32 s0, s0, 1
	s_delay_alu instid0(SALU_CYCLE_1)
	s_cmp_lg_u32 s14, s0
	s_cbranch_scc1 .LBB84_841
.LBB84_842:
	s_wait_dscnt 0x0
	v_cmp_eq_f32_e32 vcc_lo, 0, v92
	v_cmp_eq_f32_e64 s0, 0, v93
	s_and_b32 s0, vcc_lo, s0
	s_delay_alu instid0(SALU_CYCLE_1) | instskip(NEXT) | instid1(SALU_CYCLE_1)
	s_and_saveexec_b32 s1, s0
	s_xor_b32 s0, exec_lo, s1
; %bb.843:
	v_cmp_ne_u32_e32 vcc_lo, 0, v98
	v_cndmask_b32_e32 v98, 41, v98, vcc_lo
; %bb.844:
	s_and_not1_saveexec_b32 s0, s0
	s_cbranch_execz .LBB84_850
; %bb.845:
	v_cmp_ngt_f32_e64 s1, |v92|, |v93|
	s_and_saveexec_b32 s15, s1
	s_delay_alu instid0(SALU_CYCLE_1)
	s_xor_b32 s1, exec_lo, s15
	s_cbranch_execz .LBB84_847
; %bb.846:
	v_div_scale_f32 v95, null, v93, v93, v92
	v_div_scale_f32 v103, vcc_lo, v92, v93, v92
	s_delay_alu instid0(VALU_DEP_2) | instskip(SKIP_1) | instid1(TRANS32_DEP_1)
	v_rcp_f32_e32 v101, v95
	v_nop
	v_fma_f32 v102, -v95, v101, 1.0
	s_delay_alu instid0(VALU_DEP_1) | instskip(NEXT) | instid1(VALU_DEP_1)
	v_fmac_f32_e32 v101, v102, v101
	v_mul_f32_e32 v102, v103, v101
	s_delay_alu instid0(VALU_DEP_1) | instskip(NEXT) | instid1(VALU_DEP_1)
	v_fma_f32 v104, -v95, v102, v103
	v_fmac_f32_e32 v102, v104, v101
	s_delay_alu instid0(VALU_DEP_1) | instskip(NEXT) | instid1(VALU_DEP_1)
	v_fma_f32 v95, -v95, v102, v103
	v_div_fmas_f32 v95, v95, v101, v102
	s_delay_alu instid0(VALU_DEP_1) | instskip(NEXT) | instid1(VALU_DEP_1)
	v_div_fixup_f32 v95, v95, v93, v92
	v_fmac_f32_e32 v93, v92, v95
	s_delay_alu instid0(VALU_DEP_1) | instskip(SKIP_1) | instid1(VALU_DEP_2)
	v_div_scale_f32 v92, null, v93, v93, 1.0
	v_div_scale_f32 v103, vcc_lo, 1.0, v93, 1.0
	v_rcp_f32_e32 v101, v92
	v_nop
	s_delay_alu instid0(TRANS32_DEP_1) | instskip(NEXT) | instid1(VALU_DEP_1)
	v_fma_f32 v102, -v92, v101, 1.0
	v_fmac_f32_e32 v101, v102, v101
	s_delay_alu instid0(VALU_DEP_1) | instskip(NEXT) | instid1(VALU_DEP_1)
	v_mul_f32_e32 v102, v103, v101
	v_fma_f32 v104, -v92, v102, v103
	s_delay_alu instid0(VALU_DEP_1) | instskip(NEXT) | instid1(VALU_DEP_1)
	v_fmac_f32_e32 v102, v104, v101
	v_fma_f32 v92, -v92, v102, v103
	s_delay_alu instid0(VALU_DEP_1) | instskip(NEXT) | instid1(VALU_DEP_1)
	v_div_fmas_f32 v92, v92, v101, v102
	v_div_fixup_f32 v93, v92, v93, 1.0
	s_delay_alu instid0(VALU_DEP_1)
	v_mul_f32_e32 v92, v95, v93
	v_xor_b32_e32 v93, 0x80000000, v93
.LBB84_847:
	s_and_not1_saveexec_b32 s1, s1
	s_cbranch_execz .LBB84_849
; %bb.848:
	s_delay_alu instid0(VALU_DEP_1) | instskip(SKIP_1) | instid1(VALU_DEP_2)
	v_div_scale_f32 v95, null, v92, v92, v93
	v_div_scale_f32 v103, vcc_lo, v93, v92, v93
	v_rcp_f32_e32 v101, v95
	v_nop
	s_delay_alu instid0(TRANS32_DEP_1) | instskip(NEXT) | instid1(VALU_DEP_1)
	v_fma_f32 v102, -v95, v101, 1.0
	v_fmac_f32_e32 v101, v102, v101
	s_delay_alu instid0(VALU_DEP_1) | instskip(NEXT) | instid1(VALU_DEP_1)
	v_mul_f32_e32 v102, v103, v101
	v_fma_f32 v104, -v95, v102, v103
	s_delay_alu instid0(VALU_DEP_1) | instskip(NEXT) | instid1(VALU_DEP_1)
	v_fmac_f32_e32 v102, v104, v101
	v_fma_f32 v95, -v95, v102, v103
	s_delay_alu instid0(VALU_DEP_1) | instskip(NEXT) | instid1(VALU_DEP_1)
	v_div_fmas_f32 v95, v95, v101, v102
	v_div_fixup_f32 v95, v95, v92, v93
	s_delay_alu instid0(VALU_DEP_1) | instskip(NEXT) | instid1(VALU_DEP_1)
	v_fmac_f32_e32 v92, v93, v95
	v_div_scale_f32 v93, null, v92, v92, 1.0
	s_delay_alu instid0(VALU_DEP_1) | instskip(SKIP_1) | instid1(TRANS32_DEP_1)
	v_rcp_f32_e32 v101, v93
	v_nop
	v_fma_f32 v102, -v93, v101, 1.0
	s_delay_alu instid0(VALU_DEP_1) | instskip(SKIP_1) | instid1(VALU_DEP_1)
	v_fmac_f32_e32 v101, v102, v101
	v_div_scale_f32 v102, vcc_lo, 1.0, v92, 1.0
	v_mul_f32_e32 v103, v102, v101
	s_delay_alu instid0(VALU_DEP_1) | instskip(NEXT) | instid1(VALU_DEP_1)
	v_fma_f32 v104, -v93, v103, v102
	v_fmac_f32_e32 v103, v104, v101
	s_delay_alu instid0(VALU_DEP_1) | instskip(NEXT) | instid1(VALU_DEP_1)
	v_fma_f32 v93, -v93, v103, v102
	v_div_fmas_f32 v93, v93, v101, v103
	s_delay_alu instid0(VALU_DEP_1) | instskip(NEXT) | instid1(VALU_DEP_1)
	v_div_fixup_f32 v92, v93, v92, 1.0
	v_mul_f32_e64 v93, v95, -v92
.LBB84_849:
	s_or_b32 exec_lo, exec_lo, s1
.LBB84_850:
	s_delay_alu instid0(SALU_CYCLE_1) | instskip(NEXT) | instid1(SALU_CYCLE_1)
	s_or_b32 exec_lo, exec_lo, s0
	s_mov_b32 s0, exec_lo
	v_cmpx_ne_u32_e64 v100, v94
	s_xor_b32 s0, exec_lo, s0
	s_cbranch_execz .LBB84_856
; %bb.851:
	s_mov_b32 s1, exec_lo
	v_cmpx_eq_u32_e32 40, v100
	s_cbranch_execz .LBB84_855
; %bb.852:
	v_cmp_ne_u32_e32 vcc_lo, 40, v94
	s_xor_b32 s15, s12, -1
	s_delay_alu instid0(SALU_CYCLE_1) | instskip(NEXT) | instid1(SALU_CYCLE_1)
	s_and_b32 s16, s15, vcc_lo
	s_and_saveexec_b32 s15, s16
	s_cbranch_execz .LBB84_854
; %bb.853:
	v_ashrrev_i32_e32 v95, 31, v94
	s_delay_alu instid0(VALU_DEP_1)
	v_lshl_add_u64 v[100:101], v[94:95], 2, v[4:5]
	s_clause 0x1
	global_load_b32 v95, v[100:101], off
	global_load_b32 v99, v[4:5], off offset:160
	s_wait_loadcnt 0x1
	global_store_b32 v[4:5], v95, off offset:160
	s_wait_loadcnt 0x0
	global_store_b32 v[100:101], v99, off
.LBB84_854:
	s_wait_xcnt 0x0
	s_or_b32 exec_lo, exec_lo, s15
	v_dual_mov_b32 v100, v94 :: v_dual_mov_b32 v99, v94
.LBB84_855:
	s_or_b32 exec_lo, exec_lo, s1
.LBB84_856:
	s_and_not1_saveexec_b32 s0, s0
; %bb.857:
	v_mov_b32_e32 v100, 40
	ds_store_2addr_b64 v96, v[70:71], v[90:91] offset0:41 offset1:42
; %bb.858:
	s_or_b32 exec_lo, exec_lo, s0
	s_delay_alu instid0(SALU_CYCLE_1)
	s_mov_b32 s0, exec_lo
	s_wait_storecnt_dscnt 0x0
	s_barrier_signal -1
	s_barrier_wait -1
	v_cmpx_lt_i32_e32 40, v100
	s_cbranch_execz .LBB84_860
; %bb.859:
	ds_load_2addr_b64 v[102:105], v96 offset0:41 offset1:42
	v_pk_mul_f32 v[94:95], v[92:93], v[72:73] op_sel:[1,1] op_sel_hi:[0,1]
	s_delay_alu instid0(VALU_DEP_1) | instskip(SKIP_3) | instid1(VALU_DEP_3)
	v_pk_fma_f32 v[106:107], v[92:93], v[72:73], v[94:95] op_sel_hi:[1,0,1]
	v_pk_fma_f32 v[72:73], v[92:93], v[72:73], v[94:95] op_sel_hi:[1,0,1] neg_lo:[0,0,1] neg_hi:[0,0,1]
	s_wait_dscnt 0x0
	v_dual_mov_b32 v108, v105 :: v_dual_mov_b32 v109, v104
	v_pk_mul_f32 v[92:93], v[102:103], v[106:107] op_sel:[0,1]
	s_delay_alu instid0(VALU_DEP_2) | instskip(NEXT) | instid1(VALU_DEP_2)
	v_pk_mul_f32 v[94:95], v[108:109], v[106:107] op_sel:[0,1]
	v_pk_fma_f32 v[108:109], v[102:103], v[72:73], v[92:93] op_sel:[0,0,1] op_sel_hi:[1,0,0]
	v_pk_fma_f32 v[92:93], v[102:103], v[72:73], v[92:93] op_sel:[0,0,1] op_sel_hi:[1,1,0] neg_lo:[0,0,1] neg_hi:[0,0,1]
	s_delay_alu instid0(VALU_DEP_3) | instskip(SKIP_1) | instid1(VALU_DEP_4)
	v_pk_fma_f32 v[110:111], v[104:105], v[72:73], v[94:95] op_sel_hi:[1,0,1]
	v_pk_fma_f32 v[94:95], v[104:105], v[72:73], v[94:95] neg_lo:[0,0,1] neg_hi:[0,0,1]
	v_dual_mov_b32 v93, v109 :: v_dual_mov_b32 v73, v107
	s_delay_alu instid0(VALU_DEP_3) | instskip(NEXT) | instid1(VALU_DEP_2)
	v_mov_b32_e32 v95, v111
	v_pk_add_f32 v[70:71], v[70:71], v[92:93] neg_lo:[0,1] neg_hi:[0,1]
	s_delay_alu instid0(VALU_DEP_2)
	v_pk_add_f32 v[90:91], v[90:91], v[94:95] neg_lo:[0,1] neg_hi:[0,1]
.LBB84_860:
	s_or_b32 exec_lo, exec_lo, s0
	v_lshl_add_u32 v92, v100, 3, v96
	s_barrier_signal -1
	s_barrier_wait -1
	ds_store_b64 v92, v[70:71]
	s_wait_dscnt 0x0
	s_barrier_signal -1
	s_barrier_wait -1
	ds_load_b64 v[92:93], v96 offset:328
	v_mov_b32_e32 v94, 41
	s_cmp_lt_i32 s14, 43
	s_cbranch_scc1 .LBB84_863
; %bb.861:
	v_add3_u32 v95, v97, 0, 0x150
	v_mov_b32_e32 v94, 41
	s_mov_b32 s0, 42
.LBB84_862:                             ; =>This Inner Loop Header: Depth=1
	ds_load_b64 v[102:103], v95
	s_wait_dscnt 0x1
	v_cmp_gt_f32_e32 vcc_lo, 0, v92
	v_cndmask_b32_e64 v104, v92, -v92, vcc_lo
	v_cmp_gt_f32_e32 vcc_lo, 0, v93
	v_cndmask_b32_e64 v106, v93, -v93, vcc_lo
	s_wait_dscnt 0x0
	v_cmp_gt_f32_e32 vcc_lo, 0, v102
	v_cndmask_b32_e64 v105, v102, -v102, vcc_lo
	v_cmp_gt_f32_e32 vcc_lo, 0, v103
	v_cndmask_b32_e64 v107, v103, -v103, vcc_lo
	s_delay_alu instid0(VALU_DEP_1) | instskip(NEXT) | instid1(VALU_DEP_1)
	v_pk_add_f32 v[104:105], v[104:105], v[106:107]
	v_cmp_lt_f32_e32 vcc_lo, v104, v105
	v_dual_cndmask_b32 v92, v92, v102 :: v_dual_add_nc_u32 v95, 8, v95
	v_cndmask_b32_e32 v93, v93, v103, vcc_lo
	v_cndmask_b32_e64 v94, v94, s0, vcc_lo
	s_add_co_i32 s0, s0, 1
	s_delay_alu instid0(SALU_CYCLE_1)
	s_cmp_lg_u32 s14, s0
	s_cbranch_scc1 .LBB84_862
.LBB84_863:
	s_wait_dscnt 0x0
	v_cmp_eq_f32_e32 vcc_lo, 0, v92
	v_cmp_eq_f32_e64 s0, 0, v93
	s_and_b32 s0, vcc_lo, s0
	s_delay_alu instid0(SALU_CYCLE_1) | instskip(NEXT) | instid1(SALU_CYCLE_1)
	s_and_saveexec_b32 s1, s0
	s_xor_b32 s0, exec_lo, s1
; %bb.864:
	v_cmp_ne_u32_e32 vcc_lo, 0, v98
	v_cndmask_b32_e32 v98, 42, v98, vcc_lo
; %bb.865:
	s_and_not1_saveexec_b32 s0, s0
	s_cbranch_execz .LBB84_871
; %bb.866:
	v_cmp_ngt_f32_e64 s1, |v92|, |v93|
	s_and_saveexec_b32 s15, s1
	s_delay_alu instid0(SALU_CYCLE_1)
	s_xor_b32 s1, exec_lo, s15
	s_cbranch_execz .LBB84_868
; %bb.867:
	v_div_scale_f32 v95, null, v93, v93, v92
	v_div_scale_f32 v103, vcc_lo, v92, v93, v92
	s_delay_alu instid0(VALU_DEP_2) | instskip(SKIP_1) | instid1(TRANS32_DEP_1)
	v_rcp_f32_e32 v101, v95
	v_nop
	v_fma_f32 v102, -v95, v101, 1.0
	s_delay_alu instid0(VALU_DEP_1) | instskip(NEXT) | instid1(VALU_DEP_1)
	v_fmac_f32_e32 v101, v102, v101
	v_mul_f32_e32 v102, v103, v101
	s_delay_alu instid0(VALU_DEP_1) | instskip(NEXT) | instid1(VALU_DEP_1)
	v_fma_f32 v104, -v95, v102, v103
	v_fmac_f32_e32 v102, v104, v101
	s_delay_alu instid0(VALU_DEP_1) | instskip(NEXT) | instid1(VALU_DEP_1)
	v_fma_f32 v95, -v95, v102, v103
	v_div_fmas_f32 v95, v95, v101, v102
	s_delay_alu instid0(VALU_DEP_1) | instskip(NEXT) | instid1(VALU_DEP_1)
	v_div_fixup_f32 v95, v95, v93, v92
	v_fmac_f32_e32 v93, v92, v95
	s_delay_alu instid0(VALU_DEP_1) | instskip(SKIP_1) | instid1(VALU_DEP_2)
	v_div_scale_f32 v92, null, v93, v93, 1.0
	v_div_scale_f32 v103, vcc_lo, 1.0, v93, 1.0
	v_rcp_f32_e32 v101, v92
	v_nop
	s_delay_alu instid0(TRANS32_DEP_1) | instskip(NEXT) | instid1(VALU_DEP_1)
	v_fma_f32 v102, -v92, v101, 1.0
	v_fmac_f32_e32 v101, v102, v101
	s_delay_alu instid0(VALU_DEP_1) | instskip(NEXT) | instid1(VALU_DEP_1)
	v_mul_f32_e32 v102, v103, v101
	v_fma_f32 v104, -v92, v102, v103
	s_delay_alu instid0(VALU_DEP_1) | instskip(NEXT) | instid1(VALU_DEP_1)
	v_fmac_f32_e32 v102, v104, v101
	v_fma_f32 v92, -v92, v102, v103
	s_delay_alu instid0(VALU_DEP_1) | instskip(NEXT) | instid1(VALU_DEP_1)
	v_div_fmas_f32 v92, v92, v101, v102
	v_div_fixup_f32 v93, v92, v93, 1.0
	s_delay_alu instid0(VALU_DEP_1)
	v_mul_f32_e32 v92, v95, v93
	v_xor_b32_e32 v93, 0x80000000, v93
.LBB84_868:
	s_and_not1_saveexec_b32 s1, s1
	s_cbranch_execz .LBB84_870
; %bb.869:
	s_delay_alu instid0(VALU_DEP_1) | instskip(SKIP_1) | instid1(VALU_DEP_2)
	v_div_scale_f32 v95, null, v92, v92, v93
	v_div_scale_f32 v103, vcc_lo, v93, v92, v93
	v_rcp_f32_e32 v101, v95
	v_nop
	s_delay_alu instid0(TRANS32_DEP_1) | instskip(NEXT) | instid1(VALU_DEP_1)
	v_fma_f32 v102, -v95, v101, 1.0
	v_fmac_f32_e32 v101, v102, v101
	s_delay_alu instid0(VALU_DEP_1) | instskip(NEXT) | instid1(VALU_DEP_1)
	v_mul_f32_e32 v102, v103, v101
	v_fma_f32 v104, -v95, v102, v103
	s_delay_alu instid0(VALU_DEP_1) | instskip(NEXT) | instid1(VALU_DEP_1)
	v_fmac_f32_e32 v102, v104, v101
	v_fma_f32 v95, -v95, v102, v103
	s_delay_alu instid0(VALU_DEP_1) | instskip(NEXT) | instid1(VALU_DEP_1)
	v_div_fmas_f32 v95, v95, v101, v102
	v_div_fixup_f32 v95, v95, v92, v93
	s_delay_alu instid0(VALU_DEP_1) | instskip(NEXT) | instid1(VALU_DEP_1)
	v_fmac_f32_e32 v92, v93, v95
	v_div_scale_f32 v93, null, v92, v92, 1.0
	s_delay_alu instid0(VALU_DEP_1) | instskip(SKIP_1) | instid1(TRANS32_DEP_1)
	v_rcp_f32_e32 v101, v93
	v_nop
	v_fma_f32 v102, -v93, v101, 1.0
	s_delay_alu instid0(VALU_DEP_1) | instskip(SKIP_1) | instid1(VALU_DEP_1)
	v_fmac_f32_e32 v101, v102, v101
	v_div_scale_f32 v102, vcc_lo, 1.0, v92, 1.0
	v_mul_f32_e32 v103, v102, v101
	s_delay_alu instid0(VALU_DEP_1) | instskip(NEXT) | instid1(VALU_DEP_1)
	v_fma_f32 v104, -v93, v103, v102
	v_fmac_f32_e32 v103, v104, v101
	s_delay_alu instid0(VALU_DEP_1) | instskip(NEXT) | instid1(VALU_DEP_1)
	v_fma_f32 v93, -v93, v103, v102
	v_div_fmas_f32 v93, v93, v101, v103
	s_delay_alu instid0(VALU_DEP_1) | instskip(NEXT) | instid1(VALU_DEP_1)
	v_div_fixup_f32 v92, v93, v92, 1.0
	v_mul_f32_e64 v93, v95, -v92
.LBB84_870:
	s_or_b32 exec_lo, exec_lo, s1
.LBB84_871:
	s_delay_alu instid0(SALU_CYCLE_1) | instskip(NEXT) | instid1(SALU_CYCLE_1)
	s_or_b32 exec_lo, exec_lo, s0
	s_mov_b32 s0, exec_lo
	v_cmpx_ne_u32_e64 v100, v94
	s_xor_b32 s0, exec_lo, s0
	s_cbranch_execz .LBB84_877
; %bb.872:
	s_mov_b32 s1, exec_lo
	v_cmpx_eq_u32_e32 41, v100
	s_cbranch_execz .LBB84_876
; %bb.873:
	v_cmp_ne_u32_e32 vcc_lo, 41, v94
	s_xor_b32 s15, s12, -1
	s_delay_alu instid0(SALU_CYCLE_1) | instskip(NEXT) | instid1(SALU_CYCLE_1)
	s_and_b32 s16, s15, vcc_lo
	s_and_saveexec_b32 s15, s16
	s_cbranch_execz .LBB84_875
; %bb.874:
	v_ashrrev_i32_e32 v95, 31, v94
	s_delay_alu instid0(VALU_DEP_1)
	v_lshl_add_u64 v[100:101], v[94:95], 2, v[4:5]
	s_clause 0x1
	global_load_b32 v95, v[100:101], off
	global_load_b32 v99, v[4:5], off offset:164
	s_wait_loadcnt 0x1
	global_store_b32 v[4:5], v95, off offset:164
	s_wait_loadcnt 0x0
	global_store_b32 v[100:101], v99, off
.LBB84_875:
	s_wait_xcnt 0x0
	s_or_b32 exec_lo, exec_lo, s15
	v_dual_mov_b32 v100, v94 :: v_dual_mov_b32 v99, v94
.LBB84_876:
	s_or_b32 exec_lo, exec_lo, s1
.LBB84_877:
	s_and_not1_saveexec_b32 s0, s0
; %bb.878:
	v_mov_b32_e32 v100, 41
	ds_store_b64 v96, v[90:91] offset:336
; %bb.879:
	s_or_b32 exec_lo, exec_lo, s0
	s_delay_alu instid0(SALU_CYCLE_1)
	s_mov_b32 s0, exec_lo
	s_wait_storecnt_dscnt 0x0
	s_barrier_signal -1
	s_barrier_wait -1
	v_cmpx_lt_i32_e32 41, v100
	s_cbranch_execz .LBB84_881
; %bb.880:
	ds_load_b64 v[94:95], v96 offset:336
	v_pk_mul_f32 v[102:103], v[92:93], v[70:71] op_sel:[1,1] op_sel_hi:[0,1]
	s_delay_alu instid0(VALU_DEP_1) | instskip(SKIP_2) | instid1(VALU_DEP_2)
	v_pk_fma_f32 v[104:105], v[92:93], v[70:71], v[102:103] op_sel_hi:[1,0,1]
	v_pk_fma_f32 v[70:71], v[92:93], v[70:71], v[102:103] op_sel_hi:[1,0,1] neg_lo:[0,0,1] neg_hi:[0,0,1]
	s_wait_dscnt 0x0
	v_pk_mul_f32 v[92:93], v[94:95], v[104:105] op_sel:[1,1] op_sel_hi:[0,1]
	s_delay_alu instid0(VALU_DEP_1) | instskip(SKIP_1) | instid1(VALU_DEP_2)
	v_pk_fma_f32 v[102:103], v[94:95], v[70:71], v[92:93] op_sel_hi:[1,0,1]
	v_pk_fma_f32 v[92:93], v[94:95], v[70:71], v[92:93] neg_lo:[0,0,1] neg_hi:[0,0,1]
	v_dual_mov_b32 v71, v105 :: v_dual_mov_b32 v93, v103
	s_delay_alu instid0(VALU_DEP_1)
	v_pk_add_f32 v[90:91], v[90:91], v[92:93] neg_lo:[0,1] neg_hi:[0,1]
.LBB84_881:
	s_or_b32 exec_lo, exec_lo, s0
	v_lshl_add_u32 v92, v100, 3, v96
	s_barrier_signal -1
	s_barrier_wait -1
	ds_store_b64 v92, v[90:91]
	s_wait_dscnt 0x0
	s_barrier_signal -1
	s_barrier_wait -1
	ds_load_b64 v[92:93], v96 offset:336
	v_mov_b32_e32 v94, 42
	s_cmp_lt_i32 s14, 44
	s_cbranch_scc1 .LBB84_884
; %bb.882:
	v_add3_u32 v95, v97, 0, 0x158
	v_mov_b32_e32 v94, 42
	s_mov_b32 s0, 43
.LBB84_883:                             ; =>This Inner Loop Header: Depth=1
	ds_load_b64 v[96:97], v95
	s_wait_dscnt 0x1
	v_cmp_gt_f32_e32 vcc_lo, 0, v92
	v_cndmask_b32_e64 v102, v92, -v92, vcc_lo
	v_cmp_gt_f32_e32 vcc_lo, 0, v93
	v_cndmask_b32_e64 v104, v93, -v93, vcc_lo
	s_wait_dscnt 0x0
	v_cmp_gt_f32_e32 vcc_lo, 0, v96
	v_cndmask_b32_e64 v103, v96, -v96, vcc_lo
	v_cmp_gt_f32_e32 vcc_lo, 0, v97
	v_cndmask_b32_e64 v105, v97, -v97, vcc_lo
	s_delay_alu instid0(VALU_DEP_1) | instskip(NEXT) | instid1(VALU_DEP_1)
	v_pk_add_f32 v[102:103], v[102:103], v[104:105]
	v_cmp_lt_f32_e32 vcc_lo, v102, v103
	v_dual_add_nc_u32 v95, 8, v95 :: v_dual_cndmask_b32 v93, v93, v97, vcc_lo
	v_cndmask_b32_e32 v92, v92, v96, vcc_lo
	v_cndmask_b32_e64 v94, v94, s0, vcc_lo
	s_add_co_i32 s0, s0, 1
	s_delay_alu instid0(SALU_CYCLE_1)
	s_cmp_lg_u32 s14, s0
	s_cbranch_scc1 .LBB84_883
.LBB84_884:
	s_wait_dscnt 0x0
	v_cmp_eq_f32_e32 vcc_lo, 0, v92
	v_cmp_eq_f32_e64 s0, 0, v93
	s_and_b32 s0, vcc_lo, s0
	s_delay_alu instid0(SALU_CYCLE_1) | instskip(NEXT) | instid1(SALU_CYCLE_1)
	s_and_saveexec_b32 s1, s0
	s_xor_b32 s0, exec_lo, s1
; %bb.885:
	v_cmp_ne_u32_e32 vcc_lo, 0, v98
	v_cndmask_b32_e32 v98, 43, v98, vcc_lo
; %bb.886:
	s_and_not1_saveexec_b32 s0, s0
	s_cbranch_execz .LBB84_892
; %bb.887:
	v_cmp_ngt_f32_e64 s1, |v92|, |v93|
	s_and_saveexec_b32 s14, s1
	s_delay_alu instid0(SALU_CYCLE_1)
	s_xor_b32 s1, exec_lo, s14
	s_cbranch_execz .LBB84_889
; %bb.888:
	v_div_scale_f32 v95, null, v93, v93, v92
	v_div_scale_f32 v101, vcc_lo, v92, v93, v92
	s_delay_alu instid0(VALU_DEP_2) | instskip(SKIP_1) | instid1(TRANS32_DEP_1)
	v_rcp_f32_e32 v96, v95
	v_nop
	v_fma_f32 v97, -v95, v96, 1.0
	s_delay_alu instid0(VALU_DEP_1) | instskip(NEXT) | instid1(VALU_DEP_1)
	v_fmac_f32_e32 v96, v97, v96
	v_mul_f32_e32 v97, v101, v96
	s_delay_alu instid0(VALU_DEP_1) | instskip(NEXT) | instid1(VALU_DEP_1)
	v_fma_f32 v102, -v95, v97, v101
	v_fmac_f32_e32 v97, v102, v96
	s_delay_alu instid0(VALU_DEP_1) | instskip(NEXT) | instid1(VALU_DEP_1)
	v_fma_f32 v95, -v95, v97, v101
	v_div_fmas_f32 v95, v95, v96, v97
	s_delay_alu instid0(VALU_DEP_1) | instskip(NEXT) | instid1(VALU_DEP_1)
	v_div_fixup_f32 v95, v95, v93, v92
	v_fmac_f32_e32 v93, v92, v95
	s_delay_alu instid0(VALU_DEP_1) | instskip(SKIP_1) | instid1(VALU_DEP_2)
	v_div_scale_f32 v92, null, v93, v93, 1.0
	v_div_scale_f32 v101, vcc_lo, 1.0, v93, 1.0
	v_rcp_f32_e32 v96, v92
	v_nop
	s_delay_alu instid0(TRANS32_DEP_1) | instskip(NEXT) | instid1(VALU_DEP_1)
	v_fma_f32 v97, -v92, v96, 1.0
	v_fmac_f32_e32 v96, v97, v96
	s_delay_alu instid0(VALU_DEP_1) | instskip(NEXT) | instid1(VALU_DEP_1)
	v_mul_f32_e32 v97, v101, v96
	v_fma_f32 v102, -v92, v97, v101
	s_delay_alu instid0(VALU_DEP_1) | instskip(NEXT) | instid1(VALU_DEP_1)
	v_fmac_f32_e32 v97, v102, v96
	v_fma_f32 v92, -v92, v97, v101
	s_delay_alu instid0(VALU_DEP_1) | instskip(NEXT) | instid1(VALU_DEP_1)
	v_div_fmas_f32 v92, v92, v96, v97
	v_div_fixup_f32 v93, v92, v93, 1.0
	s_delay_alu instid0(VALU_DEP_1)
	v_mul_f32_e32 v92, v95, v93
	v_xor_b32_e32 v93, 0x80000000, v93
.LBB84_889:
	s_and_not1_saveexec_b32 s1, s1
	s_cbranch_execz .LBB84_891
; %bb.890:
	s_delay_alu instid0(VALU_DEP_1) | instskip(SKIP_1) | instid1(VALU_DEP_2)
	v_div_scale_f32 v95, null, v92, v92, v93
	v_div_scale_f32 v101, vcc_lo, v93, v92, v93
	v_rcp_f32_e32 v96, v95
	v_nop
	s_delay_alu instid0(TRANS32_DEP_1) | instskip(NEXT) | instid1(VALU_DEP_1)
	v_fma_f32 v97, -v95, v96, 1.0
	v_fmac_f32_e32 v96, v97, v96
	s_delay_alu instid0(VALU_DEP_1) | instskip(NEXT) | instid1(VALU_DEP_1)
	v_mul_f32_e32 v97, v101, v96
	v_fma_f32 v102, -v95, v97, v101
	s_delay_alu instid0(VALU_DEP_1) | instskip(NEXT) | instid1(VALU_DEP_1)
	v_fmac_f32_e32 v97, v102, v96
	v_fma_f32 v95, -v95, v97, v101
	s_delay_alu instid0(VALU_DEP_1) | instskip(NEXT) | instid1(VALU_DEP_1)
	v_div_fmas_f32 v95, v95, v96, v97
	v_div_fixup_f32 v95, v95, v92, v93
	s_delay_alu instid0(VALU_DEP_1) | instskip(NEXT) | instid1(VALU_DEP_1)
	v_fmac_f32_e32 v92, v93, v95
	v_div_scale_f32 v93, null, v92, v92, 1.0
	s_delay_alu instid0(VALU_DEP_1) | instskip(SKIP_1) | instid1(TRANS32_DEP_1)
	v_rcp_f32_e32 v96, v93
	v_nop
	v_fma_f32 v97, -v93, v96, 1.0
	s_delay_alu instid0(VALU_DEP_1) | instskip(SKIP_1) | instid1(VALU_DEP_1)
	v_fmac_f32_e32 v96, v97, v96
	v_div_scale_f32 v97, vcc_lo, 1.0, v92, 1.0
	v_mul_f32_e32 v101, v97, v96
	s_delay_alu instid0(VALU_DEP_1) | instskip(NEXT) | instid1(VALU_DEP_1)
	v_fma_f32 v102, -v93, v101, v97
	v_fmac_f32_e32 v101, v102, v96
	s_delay_alu instid0(VALU_DEP_1) | instskip(NEXT) | instid1(VALU_DEP_1)
	v_fma_f32 v93, -v93, v101, v97
	v_div_fmas_f32 v93, v93, v96, v101
	s_delay_alu instid0(VALU_DEP_1) | instskip(NEXT) | instid1(VALU_DEP_1)
	v_div_fixup_f32 v92, v93, v92, 1.0
	v_mul_f32_e64 v93, v95, -v92
.LBB84_891:
	s_or_b32 exec_lo, exec_lo, s1
.LBB84_892:
	s_delay_alu instid0(SALU_CYCLE_1)
	s_or_b32 exec_lo, exec_lo, s0
	v_mov_b32_e32 v96, 42
	s_mov_b32 s0, exec_lo
	v_cmpx_ne_u32_e64 v100, v94
	s_cbranch_execz .LBB84_898
; %bb.893:
	s_mov_b32 s1, exec_lo
	v_cmpx_eq_u32_e32 42, v100
	s_cbranch_execz .LBB84_897
; %bb.894:
	v_cmp_ne_u32_e32 vcc_lo, 42, v94
	s_xor_b32 s12, s12, -1
	s_delay_alu instid0(SALU_CYCLE_1) | instskip(NEXT) | instid1(SALU_CYCLE_1)
	s_and_b32 s14, s12, vcc_lo
	s_and_saveexec_b32 s12, s14
	s_cbranch_execz .LBB84_896
; %bb.895:
	v_ashrrev_i32_e32 v95, 31, v94
	s_delay_alu instid0(VALU_DEP_1)
	v_lshl_add_u64 v[96:97], v[94:95], 2, v[4:5]
	s_clause 0x1
	global_load_b32 v95, v[96:97], off
	global_load_b32 v99, v[4:5], off offset:168
	s_wait_loadcnt 0x1
	global_store_b32 v[4:5], v95, off offset:168
	s_wait_loadcnt 0x0
	global_store_b32 v[96:97], v99, off
.LBB84_896:
	s_wait_xcnt 0x0
	s_or_b32 exec_lo, exec_lo, s12
	v_dual_mov_b32 v100, v94 :: v_dual_mov_b32 v99, v94
.LBB84_897:
	s_or_b32 exec_lo, exec_lo, s1
	s_delay_alu instid0(VALU_DEP_1)
	v_mov_b32_e32 v96, v100
.LBB84_898:
	s_or_b32 exec_lo, exec_lo, s0
	s_delay_alu instid0(VALU_DEP_1)
	v_ashrrev_i32_e32 v97, 31, v96
	s_mov_b32 s0, exec_lo
	s_wait_storecnt 0x0
	s_barrier_signal -1
	s_barrier_wait -1
	s_barrier_signal -1
	s_barrier_wait -1
	v_cmpx_gt_i32_e32 43, v96
	s_cbranch_execz .LBB84_900
; %bb.899:
	v_mul_u64_e32 v[4:5], s[10:11], v[2:3]
	v_add3_u32 v94, v99, s13, 1
	s_delay_alu instid0(VALU_DEP_2) | instskip(NEXT) | instid1(VALU_DEP_1)
	v_lshl_add_u64 v[4:5], v[4:5], 2, s[6:7]
	v_lshl_add_u64 v[4:5], s[8:9], 2, v[4:5]
	s_delay_alu instid0(VALU_DEP_1)
	v_lshl_add_u64 v[4:5], v[96:97], 2, v[4:5]
	global_store_b32 v[4:5], v94, off
.LBB84_900:
	s_wait_xcnt 0x0
	s_or_b32 exec_lo, exec_lo, s0
	s_delay_alu instid0(SALU_CYCLE_1)
	s_mov_b32 s1, exec_lo
	v_cmpx_eq_u32_e32 0, v96
	s_cbranch_execz .LBB84_903
; %bb.901:
	s_wait_kmcnt 0x0
	v_lshl_add_u64 v[2:3], v[2:3], 2, s[4:5]
	v_cmp_ne_u32_e64 s0, 0, v98
	global_load_b32 v4, v[2:3], off
	s_wait_loadcnt 0x0
	v_cmp_eq_u32_e32 vcc_lo, 0, v4
	s_and_b32 s0, vcc_lo, s0
	s_wait_xcnt 0x0
	s_and_b32 exec_lo, exec_lo, s0
	s_cbranch_execz .LBB84_903
; %bb.902:
	v_add_nc_u32_e32 v4, s13, v98
	global_store_b32 v[2:3], v4, off
.LBB84_903:
	s_wait_xcnt 0x0
	s_or_b32 exec_lo, exec_lo, s1
	v_add3_u32 v4, s2, s2, v96
	v_pk_mul_f32 v[2:3], v[92:93], v[90:91] op_sel:[1,1] op_sel_hi:[0,1]
	v_cmp_lt_i32_e32 vcc_lo, 42, v96
	v_lshl_add_u64 v[96:97], v[96:97], 3, v[0:1]
	s_delay_alu instid0(VALU_DEP_4) | instskip(NEXT) | instid1(VALU_DEP_4)
	v_add_nc_u32_e32 v94, s2, v4
	v_pk_fma_f32 v[106:107], v[92:93], v[90:91], v[2:3] op_sel_hi:[1,0,1]
	v_pk_fma_f32 v[2:3], v[92:93], v[90:91], v[2:3] neg_lo:[0,0,1] neg_hi:[0,0,1]
	global_store_b64 v[96:97], v[84:85], off
	s_wait_xcnt 0x0
	v_lshl_add_u64 v[84:85], s[2:3], 3, v[96:97]
	v_dual_cndmask_b32 v3, v91, v107 :: v_dual_add_nc_u32 v98, s2, v94
	v_dual_cndmask_b32 v2, v90, v2 :: v_dual_ashrrev_i32 v5, 31, v4
	global_store_b64 v[84:85], v[78:79], off
	v_add_nc_u32_e32 v100, s2, v98
	v_ashrrev_i32_e32 v95, 31, v94
	v_lshl_add_u64 v[4:5], v[4:5], 3, v[0:1]
	s_delay_alu instid0(VALU_DEP_3)
	v_dual_add_nc_u32 v102, s2, v100 :: v_dual_ashrrev_i32 v99, 31, v98
	global_store_b64 v[4:5], v[56:57], off
	s_wait_xcnt 0x0
	v_lshl_add_u64 v[56:57], v[94:95], 3, v[0:1]
	v_dual_add_nc_u32 v104, s2, v102 :: v_dual_ashrrev_i32 v103, 31, v102
	global_store_b64 v[56:57], v[42:43], off
	v_add_nc_u32_e32 v92, s2, v104
	s_wait_xcnt 0x0
	v_lshl_add_u64 v[56:57], v[98:99], 3, v[0:1]
	v_ashrrev_i32_e32 v105, 31, v104
	s_delay_alu instid0(VALU_DEP_3) | instskip(NEXT) | instid1(VALU_DEP_1)
	v_add_nc_u32_e32 v90, s2, v92
	v_add_nc_u32_e32 v106, s2, v90
	s_delay_alu instid0(VALU_DEP_1) | instskip(SKIP_1) | instid1(VALU_DEP_2)
	v_dual_add_nc_u32 v96, s2, v106 :: v_dual_ashrrev_i32 v93, 31, v92
	v_ashrrev_i32_e32 v91, 31, v90
	v_dual_ashrrev_i32 v107, 31, v106 :: v_dual_add_nc_u32 v78, s2, v96
	v_ashrrev_i32_e32 v97, 31, v96
	s_delay_alu instid0(VALU_DEP_4) | instskip(NEXT) | instid1(VALU_DEP_4)
	v_lshl_add_u64 v[92:93], v[92:93], 3, v[0:1]
	v_lshl_add_u64 v[90:91], v[90:91], 3, v[0:1]
	s_delay_alu instid0(VALU_DEP_4) | instskip(NEXT) | instid1(VALU_DEP_1)
	v_add_nc_u32_e32 v84, s2, v78
	v_add_nc_u32_e32 v4, s2, v84
	s_delay_alu instid0(VALU_DEP_1) | instskip(SKIP_2) | instid1(VALU_DEP_3)
	v_add_nc_u32_e32 v94, s2, v4
	v_ashrrev_i32_e32 v101, 31, v100
	v_ashrrev_i32_e32 v5, 31, v4
	v_dual_ashrrev_i32 v85, 31, v84 :: v_dual_add_nc_u32 v42, s2, v94
	s_delay_alu instid0(VALU_DEP_3)
	v_lshl_add_u64 v[98:99], v[100:101], 3, v[0:1]
	s_clause 0x1
	global_store_b64 v[56:57], v[16:17], off
	global_store_b64 v[98:99], v[14:15], off
	v_add_nc_u32_e32 v100, s2, v42
	s_wait_xcnt 0x1
	v_lshl_add_u64 v[56:57], v[102:103], 3, v[0:1]
	s_wait_xcnt 0x0
	v_lshl_add_u64 v[98:99], v[104:105], 3, v[0:1]
	s_clause 0x3
	global_store_b64 v[56:57], v[8:9], off
	global_store_b64 v[98:99], v[6:7], off
	;; [unrolled: 1-line block ×4, first 2 shown]
	v_add_nc_u32_e32 v14, s2, v100
	s_wait_xcnt 0x0
	v_lshl_add_u64 v[22:23], v[106:107], 3, v[0:1]
	v_lshl_add_u64 v[24:25], v[96:97], 3, v[0:1]
	v_ashrrev_i32_e32 v95, 31, v94
	v_dual_ashrrev_i32 v43, 31, v42 :: v_dual_ashrrev_i32 v101, 31, v100
	v_add_nc_u32_e32 v16, s2, v14
	v_lshl_add_u64 v[4:5], v[4:5], 3, v[0:1]
	s_delay_alu instid0(VALU_DEP_2) | instskip(SKIP_1) | instid1(VALU_DEP_2)
	v_dual_ashrrev_i32 v15, 31, v14 :: v_dual_add_nc_u32 v102, s2, v16
	v_ashrrev_i32_e32 v17, 31, v16
	v_lshl_add_u64 v[14:15], v[14:15], 3, v[0:1]
	s_delay_alu instid0(VALU_DEP_3) | instskip(NEXT) | instid1(VALU_DEP_3)
	v_dual_add_nc_u32 v6, s2, v102 :: v_dual_ashrrev_i32 v103, 31, v102
	v_lshl_add_u64 v[16:17], v[16:17], 3, v[0:1]
	s_delay_alu instid0(VALU_DEP_2) | instskip(SKIP_1) | instid1(VALU_DEP_1)
	v_add_nc_u32_e32 v8, s2, v6
	v_ashrrev_i32_e32 v79, 31, v78
	v_lshl_add_u64 v[56:57], v[78:79], 3, v[0:1]
	v_lshl_add_u64 v[78:79], v[84:85], 3, v[0:1]
	s_delay_alu instid0(VALU_DEP_4)
	v_add_nc_u32_e32 v84, s2, v8
	s_clause 0x3
	global_store_b64 v[22:23], v[12:13], off
	global_store_b64 v[24:25], v[10:11], off
	;; [unrolled: 1-line block ×4, first 2 shown]
	s_wait_xcnt 0x3
	v_lshl_add_u64 v[22:23], v[94:95], 3, v[0:1]
	s_wait_xcnt 0x2
	v_lshl_add_u64 v[24:25], v[42:43], 3, v[0:1]
	;; [unrolled: 2-line block ×3, first 2 shown]
	v_add_nc_u32_e32 v10, s2, v84
	s_clause 0x3
	global_store_b64 v[4:5], v[20:21], off
	global_store_b64 v[22:23], v[18:19], off
	;; [unrolled: 1-line block ×4, first 2 shown]
	s_wait_xcnt 0x3
	v_lshl_add_u64 v[20:21], v[102:103], 3, v[0:1]
	v_ashrrev_i32_e32 v9, 31, v8
	v_dual_ashrrev_i32 v85, 31, v84 :: v_dual_add_nc_u32 v12, s2, v10
	s_delay_alu instid0(VALU_DEP_2) | instskip(NEXT) | instid1(VALU_DEP_2)
	v_lshl_add_u64 v[8:9], v[8:9], 3, v[0:1]
	v_add_nc_u32_e32 v36, s2, v12
	s_delay_alu instid0(VALU_DEP_1) | instskip(SKIP_3) | instid1(VALU_DEP_3)
	v_dual_add_nc_u32 v4, s2, v36 :: v_dual_ashrrev_i32 v7, 31, v6
	v_dual_ashrrev_i32 v11, 31, v10 :: v_dual_ashrrev_i32 v13, 31, v12
	v_ashrrev_i32_e32 v37, 31, v36
	s_wait_xcnt 0x2
	v_add_nc_u32_e32 v18, s2, v4
	v_lshl_add_u64 v[6:7], v[6:7], 3, v[0:1]
	s_clause 0x3
	global_store_b64 v[14:15], v[28:29], off
	global_store_b64 v[16:17], v[26:27], off
	;; [unrolled: 1-line block ×4, first 2 shown]
	s_wait_xcnt 0x2
	v_lshl_add_u64 v[16:17], v[84:85], 3, v[0:1]
	v_add_nc_u32_e32 v22, s2, v18
	v_lshl_add_u64 v[10:11], v[10:11], 3, v[0:1]
	v_lshl_add_u64 v[12:13], v[12:13], 3, v[0:1]
	s_clause 0x3
	global_store_b64 v[8:9], v[32:33], off
	global_store_b64 v[16:17], v[30:31], off
	;; [unrolled: 1-line block ×4, first 2 shown]
	s_wait_xcnt 0x4
	v_dual_add_nc_u32 v6, s2, v22 :: v_dual_ashrrev_i32 v5, 31, v4
	v_ashrrev_i32_e32 v19, 31, v18
	s_wait_xcnt 0x0
	v_lshl_add_u64 v[12:13], v[36:37], 3, v[0:1]
	s_delay_alu instid0(VALU_DEP_3) | instskip(SKIP_2) | instid1(VALU_DEP_3)
	v_add_nc_u32_e32 v14, s2, v6
	v_lshl_add_u64 v[4:5], v[4:5], 3, v[0:1]
	v_lshl_add_u64 v[16:17], v[18:19], 3, v[0:1]
	v_add_nc_u32_e32 v20, s2, v14
	s_delay_alu instid0(VALU_DEP_1) | instskip(SKIP_1) | instid1(VALU_DEP_2)
	v_dual_add_nc_u32 v8, s2, v20 :: v_dual_ashrrev_i32 v23, 31, v22
	v_ashrrev_i32_e32 v21, 31, v20
	v_add_nc_u32_e32 v10, s2, v8
	s_delay_alu instid0(VALU_DEP_3)
	v_lshl_add_u64 v[18:19], v[22:23], 3, v[0:1]
	s_clause 0x3
	global_store_b64 v[12:13], v[40:41], off
	global_store_b64 v[4:5], v[38:39], off
	;; [unrolled: 1-line block ×4, first 2 shown]
	v_dual_ashrrev_i32 v9, 31, v8 :: v_dual_add_nc_u32 v22, s2, v10
	s_wait_xcnt 0x1
	v_lshl_add_u64 v[16:17], v[20:21], 3, v[0:1]
	s_delay_alu instid0(VALU_DEP_2) | instskip(NEXT) | instid1(VALU_DEP_3)
	v_lshl_add_u64 v[8:9], v[8:9], 3, v[0:1]
	v_add_nc_u32_e32 v4, s2, v22
	s_delay_alu instid0(VALU_DEP_1) | instskip(SKIP_1) | instid1(VALU_DEP_2)
	v_dual_ashrrev_i32 v7, 31, v6 :: v_dual_add_nc_u32 v12, s2, v4
	v_ashrrev_i32_e32 v15, 31, v14
	v_lshl_add_u64 v[6:7], v[6:7], 3, v[0:1]
	v_dual_ashrrev_i32 v11, 31, v10 :: v_dual_ashrrev_i32 v5, 31, v4
	s_wait_xcnt 0x0
	v_add_nc_u32_e32 v18, s2, v12
	v_lshl_add_u64 v[14:15], v[14:15], 3, v[0:1]
	s_clause 0x3
	global_store_b64 v[6:7], v[50:51], off
	global_store_b64 v[14:15], v[48:49], off
	;; [unrolled: 1-line block ×4, first 2 shown]
	s_wait_xcnt 0x3
	v_dual_add_nc_u32 v6, s2, v18 :: v_dual_ashrrev_i32 v13, 31, v12
	v_lshl_add_u64 v[10:11], v[10:11], 3, v[0:1]
	v_lshl_add_u64 v[4:5], v[4:5], 3, v[0:1]
	s_wait_xcnt 0x0
	s_delay_alu instid0(VALU_DEP_3) | instskip(SKIP_2) | instid1(VALU_DEP_3)
	v_add_nc_u32_e32 v8, s2, v6
	v_ashrrev_i32_e32 v23, 31, v22
	v_lshl_add_u64 v[12:13], v[12:13], 3, v[0:1]
	v_add_nc_u32_e32 v16, s2, v8
	s_delay_alu instid0(VALU_DEP_3)
	v_lshl_add_u64 v[14:15], v[22:23], 3, v[0:1]
	s_clause 0x3
	global_store_b64 v[10:11], v[60:61], off
	global_store_b64 v[14:15], v[58:59], off
	global_store_b64 v[4:5], v[82:83], off
	global_store_b64 v[12:13], v[80:81], off
	s_wait_xcnt 0x1
	v_dual_add_nc_u32 v4, s2, v16 :: v_dual_ashrrev_i32 v19, 31, v18
	v_dual_ashrrev_i32 v9, 31, v8 :: v_dual_ashrrev_i32 v7, 31, v6
	v_ashrrev_i32_e32 v17, 31, v16
	s_delay_alu instid0(VALU_DEP_3) | instskip(NEXT) | instid1(VALU_DEP_4)
	v_ashrrev_i32_e32 v5, 31, v4
	v_lshl_add_u64 v[10:11], v[18:19], 3, v[0:1]
	s_delay_alu instid0(VALU_DEP_4)
	v_lshl_add_u64 v[8:9], v[8:9], 3, v[0:1]
	v_lshl_add_u64 v[6:7], v[6:7], 3, v[0:1]
	s_wait_xcnt 0x0
	v_lshl_add_u64 v[12:13], v[16:17], 3, v[0:1]
	v_lshl_add_u64 v[0:1], v[4:5], 3, v[0:1]
	s_clause 0x4
	global_store_b64 v[10:11], v[64:65], off
	global_store_b64 v[6:7], v[62:63], off
	global_store_b64 v[8:9], v[72:73], off
	global_store_b64 v[12:13], v[70:71], off
	global_store_b64 v[0:1], v[2:3], off
.LBB84_904:
	s_sendmsg sendmsg(MSG_DEALLOC_VGPRS)
	s_endpgm
	.section	.rodata,"a",@progbits
	.p2align	6, 0x0
	.amdhsa_kernel _ZN9rocsolver6v33100L18getf2_small_kernelILi43E19rocblas_complex_numIfEiiPS3_EEvT1_T3_lS5_lPS5_llPT2_S5_S5_S7_l
		.amdhsa_group_segment_fixed_size 0
		.amdhsa_private_segment_fixed_size 0
		.amdhsa_kernarg_size 352
		.amdhsa_user_sgpr_count 2
		.amdhsa_user_sgpr_dispatch_ptr 0
		.amdhsa_user_sgpr_queue_ptr 0
		.amdhsa_user_sgpr_kernarg_segment_ptr 1
		.amdhsa_user_sgpr_dispatch_id 0
		.amdhsa_user_sgpr_kernarg_preload_length 0
		.amdhsa_user_sgpr_kernarg_preload_offset 0
		.amdhsa_user_sgpr_private_segment_size 0
		.amdhsa_wavefront_size32 1
		.amdhsa_uses_dynamic_stack 0
		.amdhsa_enable_private_segment 0
		.amdhsa_system_sgpr_workgroup_id_x 1
		.amdhsa_system_sgpr_workgroup_id_y 1
		.amdhsa_system_sgpr_workgroup_id_z 0
		.amdhsa_system_sgpr_workgroup_info 0
		.amdhsa_system_vgpr_workitem_id 1
		.amdhsa_next_free_vgpr 112
		.amdhsa_next_free_sgpr 20
		.amdhsa_named_barrier_count 0
		.amdhsa_reserve_vcc 1
		.amdhsa_float_round_mode_32 0
		.amdhsa_float_round_mode_16_64 0
		.amdhsa_float_denorm_mode_32 3
		.amdhsa_float_denorm_mode_16_64 3
		.amdhsa_fp16_overflow 0
		.amdhsa_memory_ordered 1
		.amdhsa_forward_progress 1
		.amdhsa_inst_pref_size 255
		.amdhsa_round_robin_scheduling 0
		.amdhsa_exception_fp_ieee_invalid_op 0
		.amdhsa_exception_fp_denorm_src 0
		.amdhsa_exception_fp_ieee_div_zero 0
		.amdhsa_exception_fp_ieee_overflow 0
		.amdhsa_exception_fp_ieee_underflow 0
		.amdhsa_exception_fp_ieee_inexact 0
		.amdhsa_exception_int_div_zero 0
	.end_amdhsa_kernel
	.section	.text._ZN9rocsolver6v33100L18getf2_small_kernelILi43E19rocblas_complex_numIfEiiPS3_EEvT1_T3_lS5_lPS5_llPT2_S5_S5_S7_l,"axG",@progbits,_ZN9rocsolver6v33100L18getf2_small_kernelILi43E19rocblas_complex_numIfEiiPS3_EEvT1_T3_lS5_lPS5_llPT2_S5_S5_S7_l,comdat
.Lfunc_end84:
	.size	_ZN9rocsolver6v33100L18getf2_small_kernelILi43E19rocblas_complex_numIfEiiPS3_EEvT1_T3_lS5_lPS5_llPT2_S5_S5_S7_l, .Lfunc_end84-_ZN9rocsolver6v33100L18getf2_small_kernelILi43E19rocblas_complex_numIfEiiPS3_EEvT1_T3_lS5_lPS5_llPT2_S5_S5_S7_l
                                        ; -- End function
	.set _ZN9rocsolver6v33100L18getf2_small_kernelILi43E19rocblas_complex_numIfEiiPS3_EEvT1_T3_lS5_lPS5_llPT2_S5_S5_S7_l.num_vgpr, 112
	.set _ZN9rocsolver6v33100L18getf2_small_kernelILi43E19rocblas_complex_numIfEiiPS3_EEvT1_T3_lS5_lPS5_llPT2_S5_S5_S7_l.num_agpr, 0
	.set _ZN9rocsolver6v33100L18getf2_small_kernelILi43E19rocblas_complex_numIfEiiPS3_EEvT1_T3_lS5_lPS5_llPT2_S5_S5_S7_l.numbered_sgpr, 20
	.set _ZN9rocsolver6v33100L18getf2_small_kernelILi43E19rocblas_complex_numIfEiiPS3_EEvT1_T3_lS5_lPS5_llPT2_S5_S5_S7_l.num_named_barrier, 0
	.set _ZN9rocsolver6v33100L18getf2_small_kernelILi43E19rocblas_complex_numIfEiiPS3_EEvT1_T3_lS5_lPS5_llPT2_S5_S5_S7_l.private_seg_size, 0
	.set _ZN9rocsolver6v33100L18getf2_small_kernelILi43E19rocblas_complex_numIfEiiPS3_EEvT1_T3_lS5_lPS5_llPT2_S5_S5_S7_l.uses_vcc, 1
	.set _ZN9rocsolver6v33100L18getf2_small_kernelILi43E19rocblas_complex_numIfEiiPS3_EEvT1_T3_lS5_lPS5_llPT2_S5_S5_S7_l.uses_flat_scratch, 0
	.set _ZN9rocsolver6v33100L18getf2_small_kernelILi43E19rocblas_complex_numIfEiiPS3_EEvT1_T3_lS5_lPS5_llPT2_S5_S5_S7_l.has_dyn_sized_stack, 0
	.set _ZN9rocsolver6v33100L18getf2_small_kernelILi43E19rocblas_complex_numIfEiiPS3_EEvT1_T3_lS5_lPS5_llPT2_S5_S5_S7_l.has_recursion, 0
	.set _ZN9rocsolver6v33100L18getf2_small_kernelILi43E19rocblas_complex_numIfEiiPS3_EEvT1_T3_lS5_lPS5_llPT2_S5_S5_S7_l.has_indirect_call, 0
	.section	.AMDGPU.csdata,"",@progbits
; Kernel info:
; codeLenInByte = 95540
; TotalNumSgprs: 22
; NumVgprs: 112
; ScratchSize: 0
; MemoryBound: 0
; FloatMode: 240
; IeeeMode: 1
; LDSByteSize: 0 bytes/workgroup (compile time only)
; SGPRBlocks: 0
; VGPRBlocks: 6
; NumSGPRsForWavesPerEU: 22
; NumVGPRsForWavesPerEU: 112
; NamedBarCnt: 0
; Occupancy: 9
; WaveLimiterHint : 0
; COMPUTE_PGM_RSRC2:SCRATCH_EN: 0
; COMPUTE_PGM_RSRC2:USER_SGPR: 2
; COMPUTE_PGM_RSRC2:TRAP_HANDLER: 0
; COMPUTE_PGM_RSRC2:TGID_X_EN: 1
; COMPUTE_PGM_RSRC2:TGID_Y_EN: 1
; COMPUTE_PGM_RSRC2:TGID_Z_EN: 0
; COMPUTE_PGM_RSRC2:TIDIG_COMP_CNT: 1
	.section	.text._ZN9rocsolver6v33100L23getf2_npvt_small_kernelILi43E19rocblas_complex_numIfEiiPS3_EEvT1_T3_lS5_lPT2_S5_S5_,"axG",@progbits,_ZN9rocsolver6v33100L23getf2_npvt_small_kernelILi43E19rocblas_complex_numIfEiiPS3_EEvT1_T3_lS5_lPT2_S5_S5_,comdat
	.globl	_ZN9rocsolver6v33100L23getf2_npvt_small_kernelILi43E19rocblas_complex_numIfEiiPS3_EEvT1_T3_lS5_lPT2_S5_S5_ ; -- Begin function _ZN9rocsolver6v33100L23getf2_npvt_small_kernelILi43E19rocblas_complex_numIfEiiPS3_EEvT1_T3_lS5_lPT2_S5_S5_
	.p2align	8
	.type	_ZN9rocsolver6v33100L23getf2_npvt_small_kernelILi43E19rocblas_complex_numIfEiiPS3_EEvT1_T3_lS5_lPT2_S5_S5_,@function
_ZN9rocsolver6v33100L23getf2_npvt_small_kernelILi43E19rocblas_complex_numIfEiiPS3_EEvT1_T3_lS5_lPT2_S5_S5_: ; @_ZN9rocsolver6v33100L23getf2_npvt_small_kernelILi43E19rocblas_complex_numIfEiiPS3_EEvT1_T3_lS5_lPT2_S5_S5_
; %bb.0:
	s_clause 0x1
	s_load_u16 s14, s[0:1], 0x46
	s_load_b64 s[2:3], s[0:1], 0x30
	s_bfe_u32 s4, ttmp6, 0x40010
	s_bfe_u32 s5, ttmp6, 0x40004
	s_add_co_i32 s4, s4, 1
	s_getreg_b32 s6, hwreg(HW_REG_IB_STS2, 6, 4)
	s_mul_i32 s4, ttmp7, s4
	v_bfe_u32 v33, v0, 10, 10
	s_add_co_i32 s5, s5, s4
	s_cmp_eq_u32 s6, 0
	s_cselect_b32 s4, ttmp7, s5
	s_wait_kmcnt 0x0
	v_mad_u32 v172, s4, s14, v33
	s_delay_alu instid0(VALU_DEP_1)
	v_cmp_gt_i32_e32 vcc_lo, s2, v172
	s_and_saveexec_b32 s2, vcc_lo
	s_cbranch_execz .LBB85_390
; %bb.1:
	s_clause 0x1
	s_load_b32 s12, s[0:1], 0x18
	s_load_b128 s[8:11], s[0:1], 0x8
	v_and_b32_e32 v32, 0x3ff, v0
	s_load_b128 s[4:7], s[0:1], 0x20
	s_mulk_i32 s14, 0x158
	v_mov_b32_e32 v13, 0
	s_wait_xcnt 0x0
	v_cmp_ne_u32_e64 s1, 0, v32
	v_cmp_eq_u32_e64 s0, 0, v32
	s_wait_kmcnt 0x0
	v_add3_u32 v4, s12, s12, v32
	s_ashr_i32 s13, s12, 31
	s_delay_alu instid0(VALU_DEP_1) | instskip(NEXT) | instid1(VALU_DEP_1)
	v_add_nc_u32_e32 v6, s12, v4
	v_add_nc_u32_e32 v8, s12, v6
	s_delay_alu instid0(VALU_DEP_1) | instskip(NEXT) | instid1(VALU_DEP_1)
	v_add_nc_u32_e32 v14, s12, v8
	v_dual_add_nc_u32 v28, s12, v14 :: v_dual_ashrrev_i32 v5, 31, v4
	s_delay_alu instid0(VALU_DEP_1) | instskip(SKIP_1) | instid1(VALU_DEP_2)
	v_dual_ashrrev_i32 v7, 31, v6 :: v_dual_add_nc_u32 v20, s12, v28
	v_ashrrev_i32_e32 v29, 31, v28
	v_add_nc_u32_e32 v24, s12, v20
	s_delay_alu instid0(VALU_DEP_1) | instskip(NEXT) | instid1(VALU_DEP_1)
	v_add_nc_u32_e32 v26, s12, v24
	v_add_nc_u32_e32 v18, s12, v26
	v_ashrrev_i32_e32 v15, 31, v14
	s_delay_alu instid0(VALU_DEP_2) | instskip(NEXT) | instid1(VALU_DEP_1)
	v_dual_add_nc_u32 v0, s12, v18 :: v_dual_ashrrev_i32 v19, 31, v18
	v_add_nc_u32_e32 v22, s12, v0
	v_ashrrev_i32_e32 v173, 31, v172
	s_delay_alu instid0(VALU_DEP_2) | instskip(NEXT) | instid1(VALU_DEP_2)
	v_dual_ashrrev_i32 v1, 31, v0 :: v_dual_add_nc_u32 v2, s12, v22
	v_mul_u64_e32 v[10:11], s[4:5], v[172:173]
	s_delay_alu instid0(VALU_DEP_2) | instskip(SKIP_1) | instid1(VALU_DEP_2)
	v_dual_add_nc_u32 v30, s12, v2 :: v_dual_lshlrev_b32 v12, 3, v32
	v_dual_ashrrev_i32 v25, 31, v24 :: v_dual_ashrrev_i32 v27, 31, v26
	v_dual_add_nc_u32 v34, s12, v30 :: v_dual_ashrrev_i32 v9, 31, v8
	s_delay_alu instid0(VALU_DEP_1) | instskip(NEXT) | instid1(VALU_DEP_1)
	v_dual_add_nc_u32 v38, s12, v34 :: v_dual_ashrrev_i32 v21, 31, v20
	v_add_nc_u32_e32 v40, s12, v38
	s_delay_alu instid0(VALU_DEP_1) | instskip(NEXT) | instid1(VALU_DEP_1)
	v_dual_add_nc_u32 v42, s12, v40 :: v_dual_ashrrev_i32 v41, 31, v40
	v_ashrrev_i32_e32 v43, 31, v42
	v_lshl_add_u64 v[10:11], v[10:11], 3, s[8:9]
	s_delay_alu instid0(VALU_DEP_1) | instskip(NEXT) | instid1(VALU_DEP_1)
	v_lshl_add_u64 v[10:11], s[10:11], 3, v[10:11]
	v_lshl_add_u64 v[54:55], v[6:7], 3, v[10:11]
	v_add_nc_u32_e32 v6, s12, v42
	v_lshl_add_u64 v[36:37], v[8:9], 3, v[10:11]
	v_add_nc_u64_e32 v[16:17], v[10:11], v[12:13]
	v_lshl_add_u64 v[12:13], v[4:5], 3, v[10:11]
	v_lshl_add_u64 v[4:5], v[28:29], 3, v[10:11]
	v_add_nc_u32_e32 v8, s12, v6
	v_lshl_add_u64 v[20:21], v[20:21], 3, v[10:11]
	v_lshl_add_u64 v[14:15], v[14:15], 3, v[10:11]
	scratch_store_b64 off, v[36:37], off offset:40 ; 8-byte Folded Spill
	s_clause 0x1
	global_load_b64 v[50:51], v[36:37], off
	global_load_b64 v[48:49], v[14:15], off
	v_dual_add_nc_u32 v56, s12, v8 :: v_dual_ashrrev_i32 v23, 31, v22
	s_clause 0x1
	scratch_store_b64 off, v[4:5], off
	scratch_store_b64 off, v[20:21], off offset:16
	s_clause 0x1
	global_load_b64 v[28:29], v[4:5], off
	global_load_b64 v[46:47], v[20:21], off
	v_add_nc_u32_e32 v58, s12, v56
	s_wait_xcnt 0x0
	v_lshl_add_u64 v[20:21], v[0:1], 3, v[10:11]
	v_lshl_add_u64 v[44:45], v[24:25], 3, v[10:11]
	v_lshl_add_u64 v[26:27], v[26:27], 3, v[10:11]
	v_lshl_add_u64 v[24:25], s[12:13], 3, v[16:17]
	v_add_nc_u32_e32 v0, s12, v58
	v_ashrrev_i32_e32 v3, 31, v2
	v_lshl_add_u64 v[18:19], v[18:19], 3, v[10:11]
	s_clause 0x1
	global_load_b64 v[36:37], v[16:17], off
	global_load_b64 v[52:53], v[24:25], off
	s_clause 0x3
	scratch_store_b64 off, v[12:13], off offset:8
	scratch_store_b64 off, v[54:55], off offset:32
	;; [unrolled: 1-line block ×4, first 2 shown]
	v_add_nc_u32_e32 v62, s12, v0
	s_clause 0x5
	global_load_b64 v[76:77], v[12:13], off
	global_load_b64 v[74:75], v[54:55], off
	;; [unrolled: 1-line block ×6, first 2 shown]
	s_wait_xcnt 0x2
	v_lshl_add_u64 v[26:27], v[2:3], 3, v[10:11]
	v_dual_add_nc_u32 v2, s12, v62 :: v_dual_ashrrev_i32 v1, 31, v0
	v_dual_ashrrev_i32 v35, 31, v34 :: v_dual_ashrrev_i32 v9, 31, v8
	v_dual_ashrrev_i32 v39, 31, v38 :: v_dual_ashrrev_i32 v57, 31, v56
	s_delay_alu instid0(VALU_DEP_3)
	v_add_nc_u32_e32 v88, s12, v2
	v_ashrrev_i32_e32 v31, 31, v30
	v_ashrrev_i32_e32 v7, 31, v6
	v_lshl_add_u64 v[4:5], v[34:35], 3, v[10:11]
	v_lshl_add_u64 v[34:35], v[38:39], 3, v[10:11]
	v_add_nc_u32_e32 v90, s12, v88
	v_lshl_add_u64 v[38:39], v[40:41], 3, v[10:11]
	v_lshl_add_u64 v[40:41], v[42:43], 3, v[10:11]
	;; [unrolled: 1-line block ×4, first 2 shown]
	v_add_nc_u32_e32 v92, s12, v90
	v_lshl_add_u64 v[60:61], v[0:1], 3, v[10:11]
	v_dual_ashrrev_i32 v63, 31, v62 :: v_dual_ashrrev_i32 v89, 31, v88
	v_lshl_add_u64 v[22:23], v[22:23], 3, v[10:11]
	s_delay_alu instid0(VALU_DEP_4) | instskip(SKIP_1) | instid1(VALU_DEP_4)
	v_add_nc_u32_e32 v6, s12, v92
	v_lshl_add_u64 v[56:57], v[56:57], 3, v[10:11]
	v_lshl_add_u64 v[62:63], v[62:63], 3, v[10:11]
	;; [unrolled: 1-line block ×4, first 2 shown]
	v_add_nc_u32_e32 v8, s12, v6
	v_ashrrev_i32_e32 v91, 31, v90
	s_clause 0x7
	global_load_b64 v[64:65], v[22:23], off
	global_load_b64 v[96:97], v[26:27], off
	;; [unrolled: 1-line block ×8, first 2 shown]
	v_dual_add_nc_u32 v112, s12, v8 :: v_dual_ashrrev_i32 v9, 31, v8
	v_lshl_add_u64 v[90:91], v[90:91], 3, v[10:11]
	s_delay_alu instid0(VALU_DEP_2) | instskip(SKIP_2) | instid1(VALU_DEP_3)
	v_dual_add_nc_u32 v0, s12, v112 :: v_dual_ashrrev_i32 v59, 31, v58
	v_dual_ashrrev_i32 v3, 31, v2 :: v_dual_ashrrev_i32 v93, 31, v92
	v_ashrrev_i32_e32 v113, 31, v112
	v_dual_add_nc_u32 v130, s12, v0 :: v_dual_ashrrev_i32 v7, 31, v6
	v_ashrrev_i32_e32 v1, 31, v0
	s_delay_alu instid0(VALU_DEP_4) | instskip(SKIP_1) | instid1(VALU_DEP_4)
	v_lshl_add_u64 v[86:87], v[2:3], 3, v[10:11]
	v_lshl_add_u64 v[110:111], v[8:9], 3, v[10:11]
	v_add_nc_u32_e32 v2, s12, v130
	v_lshl_add_u64 v[108:109], v[6:7], 3, v[10:11]
	v_lshl_add_u64 v[114:115], v[0:1], 3, v[10:11]
	;; [unrolled: 1-line block ×4, first 2 shown]
	v_add_nc_u32_e32 v134, s12, v2
	v_lshl_add_u64 v[112:113], v[112:113], 3, v[10:11]
	s_clause 0xb
	global_load_b64 v[84:85], v[44:45], off
	global_load_b64 v[80:81], v[56:57], off
	;; [unrolled: 1-line block ×12, first 2 shown]
	v_add_nc_u32_e32 v136, s12, v134
	s_delay_alu instid0(VALU_DEP_1) | instskip(NEXT) | instid1(VALU_DEP_1)
	v_add_nc_u32_e32 v6, s12, v136
	v_add_nc_u32_e32 v0, s12, v6
	s_delay_alu instid0(VALU_DEP_1) | instskip(SKIP_1) | instid1(VALU_DEP_2)
	v_dual_add_nc_u32 v8, s12, v0 :: v_dual_ashrrev_i32 v7, 31, v6
	v_dual_ashrrev_i32 v131, 31, v130 :: v_dual_ashrrev_i32 v137, 31, v136
	v_dual_add_nc_u32 v148, s12, v8 :: v_dual_ashrrev_i32 v3, 31, v2
	v_ashrrev_i32_e32 v9, 31, v8
	s_delay_alu instid0(VALU_DEP_4) | instskip(SKIP_1) | instid1(VALU_DEP_4)
	v_lshl_add_u64 v[138:139], v[6:7], 3, v[10:11]
	v_dual_ashrrev_i32 v135, 31, v134 :: v_dual_ashrrev_i32 v1, 31, v0
	v_lshl_add_u64 v[132:133], v[2:3], 3, v[10:11]
	v_dual_add_nc_u32 v2, s12, v148 :: v_dual_ashrrev_i32 v149, 31, v148
	v_lshl_add_u64 v[136:137], v[136:137], 3, v[10:11]
	v_lshl_add_u64 v[130:131], v[130:131], 3, v[10:11]
	;; [unrolled: 1-line block ×3, first 2 shown]
	s_delay_alu instid0(VALU_DEP_4) | instskip(SKIP_3) | instid1(VALU_DEP_4)
	v_dual_add_nc_u32 v6, s12, v2 :: v_dual_ashrrev_i32 v3, 31, v2
	v_lshlrev_b32_e32 v0, 3, v33
	v_lshl_add_u64 v[134:135], v[134:135], 3, v[10:11]
	v_lshl_add_u64 v[152:153], v[8:9], 3, v[10:11]
	v_ashrrev_i32_e32 v7, 31, v6
	v_lshl_add_u64 v[154:155], v[148:149], 3, v[10:11]
	s_clause 0x3
	global_load_b64 v[146:147], v[114:115], off
	global_load_b64 v[142:143], v[130:131], off
	;; [unrolled: 1-line block ×4, first 2 shown]
	v_lshl_add_u64 v[156:157], v[2:3], 3, v[10:11]
	v_lshl_add_u64 v[148:149], v[6:7], 3, v[10:11]
	s_clause 0x6
	global_load_b64 v[166:167], v[136:137], off
	global_load_b64 v[160:161], v[138:139], off
	;; [unrolled: 1-line block ×7, first 2 shown]
	v_mad_u32_u24 v6, 0x158, v33, 0
	v_add3_u32 v33, 0, s14, v0
	s_wait_xcnt 0x0
	s_and_saveexec_b32 s4, s0
	s_cbranch_execz .LBB85_8
; %bb.2:
	s_wait_loadcnt 0x26
	ds_store_b64 v33, v[36:37]
	s_wait_loadcnt 0x24
	ds_store_2addr_b64 v6, v[52:53], v[76:77] offset0:1 offset1:2
	s_wait_loadcnt 0x23
	ds_store_2addr_b64 v6, v[74:75], v[50:51] offset0:3 offset1:4
	ds_store_2addr_b64 v6, v[48:49], v[28:29] offset0:5 offset1:6
	s_wait_loadcnt 0x22
	ds_store_2addr_b64 v6, v[46:47], v[72:73] offset0:7 offset1:8
	s_wait_loadcnt 0x20
	;; [unrolled: 2-line block ×18, first 2 shown]
	ds_store_2addr_b64 v6, v[168:169], v[170:171] offset0:41 offset1:42
	ds_load_b64 v[0:1], v33
	s_wait_dscnt 0x0
	v_cmp_neq_f32_e32 vcc_lo, 0, v0
	v_cmp_neq_f32_e64 s2, 0, v1
	s_or_b32 s2, vcc_lo, s2
	s_delay_alu instid0(SALU_CYCLE_1)
	s_and_b32 exec_lo, exec_lo, s2
	s_cbranch_execz .LBB85_8
; %bb.3:
	v_cmp_ngt_f32_e64 s2, |v0|, |v1|
                                        ; implicit-def: $vgpr2_vgpr3
	s_and_saveexec_b32 s5, s2
	s_delay_alu instid0(SALU_CYCLE_1)
	s_xor_b32 s2, exec_lo, s5
	s_cbranch_execz .LBB85_5
; %bb.4:
	v_div_scale_f32 v2, null, v1, v1, v0
	v_div_scale_f32 v8, vcc_lo, v0, v1, v0
	s_delay_alu instid0(VALU_DEP_2) | instskip(SKIP_1) | instid1(TRANS32_DEP_1)
	v_rcp_f32_e32 v3, v2
	v_nop
	v_fma_f32 v7, -v2, v3, 1.0
	s_delay_alu instid0(VALU_DEP_1) | instskip(NEXT) | instid1(VALU_DEP_1)
	v_fmac_f32_e32 v3, v7, v3
	v_mul_f32_e32 v7, v8, v3
	s_delay_alu instid0(VALU_DEP_1) | instskip(NEXT) | instid1(VALU_DEP_1)
	v_fma_f32 v9, -v2, v7, v8
	v_fmac_f32_e32 v7, v9, v3
	s_delay_alu instid0(VALU_DEP_1) | instskip(NEXT) | instid1(VALU_DEP_1)
	v_fma_f32 v2, -v2, v7, v8
	v_div_fmas_f32 v2, v2, v3, v7
	s_delay_alu instid0(VALU_DEP_1) | instskip(NEXT) | instid1(VALU_DEP_1)
	v_div_fixup_f32 v2, v2, v1, v0
	v_fmac_f32_e32 v1, v0, v2
	s_delay_alu instid0(VALU_DEP_1) | instskip(SKIP_1) | instid1(VALU_DEP_2)
	v_div_scale_f32 v0, null, v1, v1, 1.0
	v_div_scale_f32 v8, vcc_lo, 1.0, v1, 1.0
	v_rcp_f32_e32 v3, v0
	v_nop
	s_delay_alu instid0(TRANS32_DEP_1) | instskip(NEXT) | instid1(VALU_DEP_1)
	v_fma_f32 v7, -v0, v3, 1.0
	v_fmac_f32_e32 v3, v7, v3
	s_delay_alu instid0(VALU_DEP_1) | instskip(NEXT) | instid1(VALU_DEP_1)
	v_mul_f32_e32 v7, v8, v3
	v_fma_f32 v9, -v0, v7, v8
	s_delay_alu instid0(VALU_DEP_1) | instskip(NEXT) | instid1(VALU_DEP_1)
	v_fmac_f32_e32 v7, v9, v3
	v_fma_f32 v0, -v0, v7, v8
	s_delay_alu instid0(VALU_DEP_1) | instskip(NEXT) | instid1(VALU_DEP_1)
	v_div_fmas_f32 v0, v0, v3, v7
	v_div_fixup_f32 v0, v0, v1, 1.0
	s_delay_alu instid0(VALU_DEP_1)
	v_mul_f32_e32 v2, v2, v0
	v_xor_b32_e32 v3, 0x80000000, v0
                                        ; implicit-def: $vgpr0_vgpr1
.LBB85_5:
	s_and_not1_saveexec_b32 s2, s2
	s_cbranch_execz .LBB85_7
; %bb.6:
	v_div_scale_f32 v2, null, v0, v0, v1
	v_div_scale_f32 v8, vcc_lo, v1, v0, v1
	s_delay_alu instid0(VALU_DEP_2) | instskip(SKIP_1) | instid1(TRANS32_DEP_1)
	v_rcp_f32_e32 v3, v2
	v_nop
	v_fma_f32 v7, -v2, v3, 1.0
	s_delay_alu instid0(VALU_DEP_1) | instskip(NEXT) | instid1(VALU_DEP_1)
	v_fmac_f32_e32 v3, v7, v3
	v_mul_f32_e32 v7, v8, v3
	s_delay_alu instid0(VALU_DEP_1) | instskip(NEXT) | instid1(VALU_DEP_1)
	v_fma_f32 v9, -v2, v7, v8
	v_fmac_f32_e32 v7, v9, v3
	s_delay_alu instid0(VALU_DEP_1) | instskip(NEXT) | instid1(VALU_DEP_1)
	v_fma_f32 v2, -v2, v7, v8
	v_div_fmas_f32 v2, v2, v3, v7
	s_delay_alu instid0(VALU_DEP_1) | instskip(NEXT) | instid1(VALU_DEP_1)
	v_div_fixup_f32 v3, v2, v0, v1
	v_fmac_f32_e32 v0, v1, v3
	s_delay_alu instid0(VALU_DEP_1) | instskip(NEXT) | instid1(VALU_DEP_1)
	v_div_scale_f32 v1, null, v0, v0, 1.0
	v_rcp_f32_e32 v2, v1
	v_nop
	s_delay_alu instid0(TRANS32_DEP_1) | instskip(NEXT) | instid1(VALU_DEP_1)
	v_fma_f32 v7, -v1, v2, 1.0
	v_fmac_f32_e32 v2, v7, v2
	v_div_scale_f32 v7, vcc_lo, 1.0, v0, 1.0
	s_delay_alu instid0(VALU_DEP_1) | instskip(NEXT) | instid1(VALU_DEP_1)
	v_mul_f32_e32 v8, v7, v2
	v_fma_f32 v9, -v1, v8, v7
	s_delay_alu instid0(VALU_DEP_1) | instskip(NEXT) | instid1(VALU_DEP_1)
	v_fmac_f32_e32 v8, v9, v2
	v_fma_f32 v1, -v1, v8, v7
	s_delay_alu instid0(VALU_DEP_1) | instskip(NEXT) | instid1(VALU_DEP_1)
	v_div_fmas_f32 v1, v1, v2, v8
	v_div_fixup_f32 v2, v1, v0, 1.0
	s_delay_alu instid0(VALU_DEP_1)
	v_mul_f32_e64 v3, v3, -v2
.LBB85_7:
	s_or_b32 exec_lo, exec_lo, s2
	ds_store_b64 v33, v[2:3]
.LBB85_8:
	s_or_b32 exec_lo, exec_lo, s4
	s_wait_storecnt 0x0
	s_wait_loadcnt_dscnt 0x0
	s_barrier_signal -1
	s_barrier_wait -1
	ds_load_b64 v[174:175], v33
	s_and_saveexec_b32 s2, s1
	s_cbranch_execz .LBB85_10
; %bb.9:
	s_wait_dscnt 0x0
	v_pk_mul_f32 v[0:1], v[174:175], v[36:37] op_sel:[1,1] op_sel_hi:[0,1]
	s_delay_alu instid0(VALU_DEP_1)
	v_pk_fma_f32 v[176:177], v[174:175], v[36:37], v[0:1] op_sel_hi:[1,0,1] neg_lo:[0,0,1] neg_hi:[0,0,1]
	v_pk_fma_f32 v[178:179], v[174:175], v[36:37], v[0:1] op_sel_hi:[1,0,1]
	ds_load_2addr_b64 v[0:3], v6 offset0:1 offset1:2
	v_dual_mov_b32 v36, v176 :: v_dual_mov_b32 v37, v179
	s_wait_dscnt 0x0
	v_pk_mul_f32 v[8:9], v[0:1], v[178:179] op_sel:[0,1]
	s_delay_alu instid0(VALU_DEP_1) | instskip(SKIP_1) | instid1(VALU_DEP_1)
	v_pk_fma_f32 v[10:11], v[0:1], v[176:177], v[8:9] op_sel:[0,0,1] op_sel_hi:[1,1,0] neg_lo:[0,0,1] neg_hi:[0,0,1]
	v_pk_fma_f32 v[0:1], v[0:1], v[176:177], v[8:9] op_sel:[0,0,1] op_sel_hi:[1,0,0]
	v_mov_b32_e32 v11, v1
	v_pk_mul_f32 v[0:1], v[2:3], v[178:179] op_sel:[0,1]
	s_delay_alu instid0(VALU_DEP_1) | instskip(SKIP_1) | instid1(VALU_DEP_1)
	v_pk_fma_f32 v[8:9], v[2:3], v[176:177], v[0:1] op_sel:[0,0,1] op_sel_hi:[1,1,0] neg_lo:[0,0,1] neg_hi:[0,0,1]
	v_pk_fma_f32 v[0:1], v[2:3], v[176:177], v[0:1] op_sel:[0,0,1] op_sel_hi:[1,0,0]
	v_mov_b32_e32 v9, v1
	ds_load_2addr_b64 v[0:3], v6 offset0:3 offset1:4
	v_pk_add_f32 v[52:53], v[52:53], v[10:11] neg_lo:[0,1] neg_hi:[0,1]
	v_pk_add_f32 v[76:77], v[76:77], v[8:9] neg_lo:[0,1] neg_hi:[0,1]
	s_wait_dscnt 0x0
	v_pk_mul_f32 v[8:9], v[0:1], v[178:179] op_sel:[0,1]
	s_delay_alu instid0(VALU_DEP_1) | instskip(SKIP_2) | instid1(VALU_DEP_2)
	v_pk_fma_f32 v[10:11], v[0:1], v[176:177], v[8:9] op_sel:[0,0,1] op_sel_hi:[1,1,0] neg_lo:[0,0,1] neg_hi:[0,0,1]
	v_pk_fma_f32 v[0:1], v[0:1], v[176:177], v[8:9] op_sel:[0,0,1] op_sel_hi:[1,0,0]
	v_dual_mul_f32 v8, v3, v179 :: v_dual_mov_b32 v0, v3
	v_dual_mov_b32 v11, v1 :: v_dual_mov_b32 v1, v2
	s_delay_alu instid0(VALU_DEP_2) | instskip(SKIP_1) | instid1(VALU_DEP_3)
	v_pk_fma_f32 v[8:9], v[2:3], v[36:37], v[8:9] op_sel_hi:[1,1,0] neg_lo:[0,0,1] neg_hi:[0,0,1]
	v_mul_f32_e32 v2, v3, v176
	v_pk_add_f32 v[74:75], v[74:75], v[10:11] neg_lo:[0,1] neg_hi:[0,1]
	s_delay_alu instid0(VALU_DEP_2) | instskip(NEXT) | instid1(VALU_DEP_1)
	v_pk_fma_f32 v[0:1], v[0:1], v[36:37], v[2:3] op_sel_hi:[1,1,0]
	v_mov_b32_e32 v9, v1
	ds_load_2addr_b64 v[0:3], v6 offset0:5 offset1:6
	v_pk_add_f32 v[50:51], v[50:51], v[8:9] neg_lo:[0,1] neg_hi:[0,1]
	s_wait_dscnt 0x0
	v_pk_mul_f32 v[8:9], v[0:1], v[178:179] op_sel:[0,1]
	s_delay_alu instid0(VALU_DEP_1) | instskip(SKIP_1) | instid1(VALU_DEP_1)
	v_pk_fma_f32 v[10:11], v[0:1], v[176:177], v[8:9] op_sel:[0,0,1] op_sel_hi:[1,1,0] neg_lo:[0,0,1] neg_hi:[0,0,1]
	v_pk_fma_f32 v[0:1], v[0:1], v[176:177], v[8:9] op_sel:[0,0,1] op_sel_hi:[1,0,0]
	v_mov_b32_e32 v11, v1
	v_pk_mul_f32 v[0:1], v[2:3], v[178:179] op_sel:[0,1]
	s_delay_alu instid0(VALU_DEP_1) | instskip(SKIP_1) | instid1(VALU_DEP_1)
	v_pk_fma_f32 v[8:9], v[2:3], v[176:177], v[0:1] op_sel:[0,0,1] op_sel_hi:[1,1,0] neg_lo:[0,0,1] neg_hi:[0,0,1]
	v_pk_fma_f32 v[0:1], v[2:3], v[176:177], v[0:1] op_sel:[0,0,1] op_sel_hi:[1,0,0]
	v_mov_b32_e32 v9, v1
	ds_load_2addr_b64 v[0:3], v6 offset0:7 offset1:8
	v_pk_add_f32 v[48:49], v[48:49], v[10:11] neg_lo:[0,1] neg_hi:[0,1]
	v_pk_add_f32 v[28:29], v[28:29], v[8:9] neg_lo:[0,1] neg_hi:[0,1]
	s_wait_dscnt 0x0
	v_pk_mul_f32 v[8:9], v[0:1], v[178:179] op_sel:[0,1]
	s_delay_alu instid0(VALU_DEP_1) | instskip(SKIP_1) | instid1(VALU_DEP_1)
	v_pk_fma_f32 v[10:11], v[0:1], v[176:177], v[8:9] op_sel:[0,0,1] op_sel_hi:[1,1,0] neg_lo:[0,0,1] neg_hi:[0,0,1]
	v_pk_fma_f32 v[0:1], v[0:1], v[176:177], v[8:9] op_sel:[0,0,1] op_sel_hi:[1,0,0]
	v_mov_b32_e32 v11, v1
	v_pk_mul_f32 v[0:1], v[2:3], v[178:179] op_sel:[0,1]
	s_delay_alu instid0(VALU_DEP_1) | instskip(SKIP_1) | instid1(VALU_DEP_1)
	v_pk_fma_f32 v[8:9], v[2:3], v[176:177], v[0:1] op_sel:[0,0,1] op_sel_hi:[1,1,0] neg_lo:[0,0,1] neg_hi:[0,0,1]
	v_pk_fma_f32 v[0:1], v[2:3], v[176:177], v[0:1] op_sel:[0,0,1] op_sel_hi:[1,0,0]
	v_mov_b32_e32 v9, v1
	ds_load_2addr_b64 v[0:3], v6 offset0:9 offset1:10
	v_pk_add_f32 v[46:47], v[46:47], v[10:11] neg_lo:[0,1] neg_hi:[0,1]
	v_pk_add_f32 v[72:73], v[72:73], v[8:9] neg_lo:[0,1] neg_hi:[0,1]
	s_wait_dscnt 0x0
	v_dual_mul_f32 v8, v1, v179 :: v_dual_mul_f32 v10, v1, v176
	s_delay_alu instid0(VALU_DEP_1) | instskip(NEXT) | instid1(VALU_DEP_2)
	v_pk_fma_f32 v[8:9], v[0:1], v[36:37], v[8:9] op_sel_hi:[1,1,0] neg_lo:[0,0,1] neg_hi:[0,0,1]
	v_pk_fma_f32 v[0:1], v[0:1], v[36:37], v[10:11] op_sel:[1,0,0] op_sel_hi:[0,1,0]
	s_delay_alu instid0(VALU_DEP_1) | instskip(SKIP_1) | instid1(VALU_DEP_2)
	v_mov_b32_e32 v9, v1
	v_pk_mul_f32 v[0:1], v[2:3], v[178:179] op_sel:[0,1]
	v_pk_add_f32 v[68:69], v[68:69], v[8:9] neg_lo:[0,1] neg_hi:[0,1]
	s_delay_alu instid0(VALU_DEP_2) | instskip(SKIP_1) | instid1(VALU_DEP_1)
	v_pk_fma_f32 v[8:9], v[2:3], v[176:177], v[0:1] op_sel:[0,0,1] op_sel_hi:[1,1,0] neg_lo:[0,0,1] neg_hi:[0,0,1]
	v_pk_fma_f32 v[0:1], v[2:3], v[176:177], v[0:1] op_sel:[0,0,1] op_sel_hi:[1,0,0]
	v_mov_b32_e32 v9, v1
	ds_load_2addr_b64 v[0:3], v6 offset0:11 offset1:12
	v_pk_add_f32 v[70:71], v[70:71], v[8:9] neg_lo:[0,1] neg_hi:[0,1]
	s_wait_dscnt 0x0
	v_pk_mul_f32 v[8:9], v[0:1], v[178:179] op_sel:[0,1]
	s_delay_alu instid0(VALU_DEP_1) | instskip(SKIP_1) | instid1(VALU_DEP_1)
	v_pk_fma_f32 v[10:11], v[0:1], v[176:177], v[8:9] op_sel:[0,0,1] op_sel_hi:[1,1,0] neg_lo:[0,0,1] neg_hi:[0,0,1]
	v_pk_fma_f32 v[0:1], v[0:1], v[176:177], v[8:9] op_sel:[0,0,1] op_sel_hi:[1,0,0]
	v_mov_b32_e32 v11, v1
	v_pk_mul_f32 v[0:1], v[2:3], v[178:179] op_sel:[0,1]
	s_delay_alu instid0(VALU_DEP_2) | instskip(NEXT) | instid1(VALU_DEP_2)
	v_pk_add_f32 v[66:67], v[66:67], v[10:11] neg_lo:[0,1] neg_hi:[0,1]
	v_pk_fma_f32 v[8:9], v[2:3], v[176:177], v[0:1] op_sel:[0,0,1] op_sel_hi:[1,1,0] neg_lo:[0,0,1] neg_hi:[0,0,1]
	v_pk_fma_f32 v[0:1], v[2:3], v[176:177], v[0:1] op_sel:[0,0,1] op_sel_hi:[1,0,0]
	s_delay_alu instid0(VALU_DEP_1) | instskip(SKIP_4) | instid1(VALU_DEP_1)
	v_mov_b32_e32 v9, v1
	ds_load_2addr_b64 v[0:3], v6 offset0:13 offset1:14
	v_pk_add_f32 v[64:65], v[64:65], v[8:9] neg_lo:[0,1] neg_hi:[0,1]
	s_wait_dscnt 0x0
	v_pk_mul_f32 v[8:9], v[0:1], v[178:179] op_sel:[0,1]
	v_pk_fma_f32 v[10:11], v[0:1], v[176:177], v[8:9] op_sel:[0,0,1] op_sel_hi:[1,1,0] neg_lo:[0,0,1] neg_hi:[0,0,1]
	v_pk_fma_f32 v[0:1], v[0:1], v[176:177], v[8:9] op_sel:[0,0,1] op_sel_hi:[1,0,0]
	v_dual_mul_f32 v8, v3, v179 :: v_dual_mov_b32 v0, v3
	s_delay_alu instid0(VALU_DEP_2) | instskip(NEXT) | instid1(VALU_DEP_2)
	v_dual_mov_b32 v11, v1 :: v_dual_mov_b32 v1, v2
	v_pk_fma_f32 v[8:9], v[2:3], v[36:37], v[8:9] op_sel_hi:[1,1,0] neg_lo:[0,0,1] neg_hi:[0,0,1]
	v_mul_f32_e32 v2, v3, v176
	s_delay_alu instid0(VALU_DEP_3) | instskip(NEXT) | instid1(VALU_DEP_2)
	v_pk_add_f32 v[96:97], v[96:97], v[10:11] neg_lo:[0,1] neg_hi:[0,1]
	v_pk_fma_f32 v[0:1], v[0:1], v[36:37], v[2:3] op_sel_hi:[1,1,0]
	s_delay_alu instid0(VALU_DEP_1) | instskip(SKIP_4) | instid1(VALU_DEP_1)
	v_mov_b32_e32 v9, v1
	ds_load_2addr_b64 v[0:3], v6 offset0:15 offset1:16
	v_pk_add_f32 v[98:99], v[98:99], v[8:9] neg_lo:[0,1] neg_hi:[0,1]
	s_wait_dscnt 0x0
	v_pk_mul_f32 v[8:9], v[0:1], v[178:179] op_sel:[0,1]
	v_pk_fma_f32 v[10:11], v[0:1], v[176:177], v[8:9] op_sel:[0,0,1] op_sel_hi:[1,1,0] neg_lo:[0,0,1] neg_hi:[0,0,1]
	v_pk_fma_f32 v[0:1], v[0:1], v[176:177], v[8:9] op_sel:[0,0,1] op_sel_hi:[1,0,0]
	s_delay_alu instid0(VALU_DEP_1) | instskip(SKIP_1) | instid1(VALU_DEP_1)
	v_mov_b32_e32 v11, v1
	v_pk_mul_f32 v[0:1], v[2:3], v[178:179] op_sel:[0,1]
	v_pk_fma_f32 v[8:9], v[2:3], v[176:177], v[0:1] op_sel:[0,0,1] op_sel_hi:[1,1,0] neg_lo:[0,0,1] neg_hi:[0,0,1]
	v_pk_fma_f32 v[0:1], v[2:3], v[176:177], v[0:1] op_sel:[0,0,1] op_sel_hi:[1,0,0]
	s_delay_alu instid0(VALU_DEP_1)
	v_mov_b32_e32 v9, v1
	ds_load_2addr_b64 v[0:3], v6 offset0:17 offset1:18
	v_pk_add_f32 v[94:95], v[94:95], v[10:11] neg_lo:[0,1] neg_hi:[0,1]
	v_pk_add_f32 v[120:121], v[120:121], v[8:9] neg_lo:[0,1] neg_hi:[0,1]
	s_wait_dscnt 0x0
	v_pk_mul_f32 v[8:9], v[0:1], v[178:179] op_sel:[0,1]
	s_delay_alu instid0(VALU_DEP_1) | instskip(SKIP_1) | instid1(VALU_DEP_1)
	v_pk_fma_f32 v[10:11], v[0:1], v[176:177], v[8:9] op_sel:[0,0,1] op_sel_hi:[1,1,0] neg_lo:[0,0,1] neg_hi:[0,0,1]
	v_pk_fma_f32 v[0:1], v[0:1], v[176:177], v[8:9] op_sel:[0,0,1] op_sel_hi:[1,0,0]
	v_mov_b32_e32 v11, v1
	v_pk_mul_f32 v[0:1], v[2:3], v[178:179] op_sel:[0,1]
	s_delay_alu instid0(VALU_DEP_1) | instskip(SKIP_1) | instid1(VALU_DEP_1)
	v_pk_fma_f32 v[8:9], v[2:3], v[176:177], v[0:1] op_sel:[0,0,1] op_sel_hi:[1,1,0] neg_lo:[0,0,1] neg_hi:[0,0,1]
	v_pk_fma_f32 v[0:1], v[2:3], v[176:177], v[0:1] op_sel:[0,0,1] op_sel_hi:[1,0,0]
	v_mov_b32_e32 v9, v1
	ds_load_2addr_b64 v[0:3], v6 offset0:19 offset1:20
	v_pk_add_f32 v[116:117], v[116:117], v[10:11] neg_lo:[0,1] neg_hi:[0,1]
	v_pk_add_f32 v[118:119], v[118:119], v[8:9] neg_lo:[0,1] neg_hi:[0,1]
	s_wait_dscnt 0x0
	v_dual_mul_f32 v8, v1, v179 :: v_dual_mul_f32 v10, v1, v176
	s_delay_alu instid0(VALU_DEP_1) | instskip(NEXT) | instid1(VALU_DEP_2)
	v_pk_fma_f32 v[8:9], v[0:1], v[36:37], v[8:9] op_sel_hi:[1,1,0] neg_lo:[0,0,1] neg_hi:[0,0,1]
	v_pk_fma_f32 v[0:1], v[0:1], v[36:37], v[10:11] op_sel:[1,0,0] op_sel_hi:[0,1,0]
	s_delay_alu instid0(VALU_DEP_1) | instskip(SKIP_1) | instid1(VALU_DEP_2)
	v_mov_b32_e32 v9, v1
	v_pk_mul_f32 v[0:1], v[2:3], v[178:179] op_sel:[0,1]
	v_pk_add_f32 v[54:55], v[54:55], v[8:9] neg_lo:[0,1] neg_hi:[0,1]
	s_delay_alu instid0(VALU_DEP_2) | instskip(SKIP_1) | instid1(VALU_DEP_1)
	v_pk_fma_f32 v[8:9], v[2:3], v[176:177], v[0:1] op_sel:[0,0,1] op_sel_hi:[1,1,0] neg_lo:[0,0,1] neg_hi:[0,0,1]
	v_pk_fma_f32 v[0:1], v[2:3], v[176:177], v[0:1] op_sel:[0,0,1] op_sel_hi:[1,0,0]
	v_mov_b32_e32 v9, v1
	ds_load_2addr_b64 v[0:3], v6 offset0:21 offset1:22
	v_pk_add_f32 v[84:85], v[84:85], v[8:9] neg_lo:[0,1] neg_hi:[0,1]
	s_wait_dscnt 0x0
	v_pk_mul_f32 v[8:9], v[0:1], v[178:179] op_sel:[0,1]
	s_delay_alu instid0(VALU_DEP_1) | instskip(SKIP_1) | instid1(VALU_DEP_1)
	v_pk_fma_f32 v[10:11], v[0:1], v[176:177], v[8:9] op_sel:[0,0,1] op_sel_hi:[1,1,0] neg_lo:[0,0,1] neg_hi:[0,0,1]
	v_pk_fma_f32 v[0:1], v[0:1], v[176:177], v[8:9] op_sel:[0,0,1] op_sel_hi:[1,0,0]
	v_mov_b32_e32 v11, v1
	v_pk_mul_f32 v[0:1], v[2:3], v[178:179] op_sel:[0,1]
	s_delay_alu instid0(VALU_DEP_2) | instskip(NEXT) | instid1(VALU_DEP_2)
	v_pk_add_f32 v[80:81], v[80:81], v[10:11] neg_lo:[0,1] neg_hi:[0,1]
	v_pk_fma_f32 v[8:9], v[2:3], v[176:177], v[0:1] op_sel:[0,0,1] op_sel_hi:[1,1,0] neg_lo:[0,0,1] neg_hi:[0,0,1]
	v_pk_fma_f32 v[0:1], v[2:3], v[176:177], v[0:1] op_sel:[0,0,1] op_sel_hi:[1,0,0]
	s_delay_alu instid0(VALU_DEP_1) | instskip(SKIP_4) | instid1(VALU_DEP_1)
	v_mov_b32_e32 v9, v1
	ds_load_2addr_b64 v[0:3], v6 offset0:23 offset1:24
	v_pk_add_f32 v[82:83], v[82:83], v[8:9] neg_lo:[0,1] neg_hi:[0,1]
	s_wait_dscnt 0x0
	v_pk_mul_f32 v[8:9], v[0:1], v[178:179] op_sel:[0,1]
	v_pk_fma_f32 v[10:11], v[0:1], v[176:177], v[8:9] op_sel:[0,0,1] op_sel_hi:[1,1,0] neg_lo:[0,0,1] neg_hi:[0,0,1]
	v_pk_fma_f32 v[0:1], v[0:1], v[176:177], v[8:9] op_sel:[0,0,1] op_sel_hi:[1,0,0]
	v_dual_mul_f32 v8, v3, v179 :: v_dual_mov_b32 v0, v3
	s_delay_alu instid0(VALU_DEP_2) | instskip(NEXT) | instid1(VALU_DEP_2)
	v_dual_mov_b32 v11, v1 :: v_dual_mov_b32 v1, v2
	v_pk_fma_f32 v[8:9], v[2:3], v[36:37], v[8:9] op_sel_hi:[1,1,0] neg_lo:[0,0,1] neg_hi:[0,0,1]
	v_mul_f32_e32 v2, v3, v176
	s_delay_alu instid0(VALU_DEP_3) | instskip(NEXT) | instid1(VALU_DEP_2)
	v_pk_add_f32 v[78:79], v[78:79], v[10:11] neg_lo:[0,1] neg_hi:[0,1]
	v_pk_fma_f32 v[0:1], v[0:1], v[36:37], v[2:3] op_sel_hi:[1,1,0]
	s_delay_alu instid0(VALU_DEP_1) | instskip(SKIP_4) | instid1(VALU_DEP_1)
	v_mov_b32_e32 v9, v1
	ds_load_2addr_b64 v[0:3], v6 offset0:25 offset1:26
	v_pk_add_f32 v[106:107], v[106:107], v[8:9] neg_lo:[0,1] neg_hi:[0,1]
	s_wait_dscnt 0x0
	v_pk_mul_f32 v[8:9], v[0:1], v[178:179] op_sel:[0,1]
	v_pk_fma_f32 v[10:11], v[0:1], v[176:177], v[8:9] op_sel:[0,0,1] op_sel_hi:[1,1,0] neg_lo:[0,0,1] neg_hi:[0,0,1]
	v_pk_fma_f32 v[0:1], v[0:1], v[176:177], v[8:9] op_sel:[0,0,1] op_sel_hi:[1,0,0]
	s_delay_alu instid0(VALU_DEP_1) | instskip(SKIP_1) | instid1(VALU_DEP_1)
	v_mov_b32_e32 v11, v1
	v_pk_mul_f32 v[0:1], v[2:3], v[178:179] op_sel:[0,1]
	v_pk_fma_f32 v[8:9], v[2:3], v[176:177], v[0:1] op_sel:[0,0,1] op_sel_hi:[1,1,0] neg_lo:[0,0,1] neg_hi:[0,0,1]
	v_pk_fma_f32 v[0:1], v[2:3], v[176:177], v[0:1] op_sel:[0,0,1] op_sel_hi:[1,0,0]
	s_delay_alu instid0(VALU_DEP_1)
	v_mov_b32_e32 v9, v1
	ds_load_2addr_b64 v[0:3], v6 offset0:27 offset1:28
	v_pk_add_f32 v[102:103], v[102:103], v[10:11] neg_lo:[0,1] neg_hi:[0,1]
	v_pk_add_f32 v[104:105], v[104:105], v[8:9] neg_lo:[0,1] neg_hi:[0,1]
	s_wait_dscnt 0x0
	v_pk_mul_f32 v[8:9], v[0:1], v[178:179] op_sel:[0,1]
	s_delay_alu instid0(VALU_DEP_1) | instskip(SKIP_1) | instid1(VALU_DEP_1)
	v_pk_fma_f32 v[10:11], v[0:1], v[176:177], v[8:9] op_sel:[0,0,1] op_sel_hi:[1,1,0] neg_lo:[0,0,1] neg_hi:[0,0,1]
	v_pk_fma_f32 v[0:1], v[0:1], v[176:177], v[8:9] op_sel:[0,0,1] op_sel_hi:[1,0,0]
	v_mov_b32_e32 v11, v1
	v_pk_mul_f32 v[0:1], v[2:3], v[178:179] op_sel:[0,1]
	s_delay_alu instid0(VALU_DEP_1) | instskip(SKIP_1) | instid1(VALU_DEP_1)
	v_pk_fma_f32 v[8:9], v[2:3], v[176:177], v[0:1] op_sel:[0,0,1] op_sel_hi:[1,1,0] neg_lo:[0,0,1] neg_hi:[0,0,1]
	v_pk_fma_f32 v[0:1], v[2:3], v[176:177], v[0:1] op_sel:[0,0,1] op_sel_hi:[1,0,0]
	v_mov_b32_e32 v9, v1
	ds_load_2addr_b64 v[0:3], v6 offset0:29 offset1:30
	v_pk_add_f32 v[100:101], v[100:101], v[10:11] neg_lo:[0,1] neg_hi:[0,1]
	v_pk_add_f32 v[128:129], v[128:129], v[8:9] neg_lo:[0,1] neg_hi:[0,1]
	s_wait_dscnt 0x0
	v_dual_mul_f32 v8, v1, v179 :: v_dual_mul_f32 v10, v1, v176
	s_delay_alu instid0(VALU_DEP_1) | instskip(NEXT) | instid1(VALU_DEP_2)
	v_pk_fma_f32 v[8:9], v[0:1], v[36:37], v[8:9] op_sel_hi:[1,1,0] neg_lo:[0,0,1] neg_hi:[0,0,1]
	v_pk_fma_f32 v[0:1], v[0:1], v[36:37], v[10:11] op_sel:[1,0,0] op_sel_hi:[0,1,0]
	s_delay_alu instid0(VALU_DEP_1) | instskip(SKIP_1) | instid1(VALU_DEP_2)
	v_mov_b32_e32 v9, v1
	v_pk_mul_f32 v[0:1], v[2:3], v[178:179] op_sel:[0,1]
	v_pk_add_f32 v[124:125], v[124:125], v[8:9] neg_lo:[0,1] neg_hi:[0,1]
	s_delay_alu instid0(VALU_DEP_2) | instskip(SKIP_1) | instid1(VALU_DEP_1)
	v_pk_fma_f32 v[8:9], v[2:3], v[176:177], v[0:1] op_sel:[0,0,1] op_sel_hi:[1,1,0] neg_lo:[0,0,1] neg_hi:[0,0,1]
	v_pk_fma_f32 v[0:1], v[2:3], v[176:177], v[0:1] op_sel:[0,0,1] op_sel_hi:[1,0,0]
	v_mov_b32_e32 v9, v1
	ds_load_2addr_b64 v[0:3], v6 offset0:31 offset1:32
	v_pk_add_f32 v[126:127], v[126:127], v[8:9] neg_lo:[0,1] neg_hi:[0,1]
	s_wait_dscnt 0x0
	v_pk_mul_f32 v[8:9], v[0:1], v[178:179] op_sel:[0,1]
	s_delay_alu instid0(VALU_DEP_1) | instskip(SKIP_1) | instid1(VALU_DEP_1)
	v_pk_fma_f32 v[10:11], v[0:1], v[176:177], v[8:9] op_sel:[0,0,1] op_sel_hi:[1,1,0] neg_lo:[0,0,1] neg_hi:[0,0,1]
	v_pk_fma_f32 v[0:1], v[0:1], v[176:177], v[8:9] op_sel:[0,0,1] op_sel_hi:[1,0,0]
	v_mov_b32_e32 v11, v1
	v_pk_mul_f32 v[0:1], v[2:3], v[178:179] op_sel:[0,1]
	s_delay_alu instid0(VALU_DEP_2) | instskip(NEXT) | instid1(VALU_DEP_2)
	v_pk_add_f32 v[122:123], v[122:123], v[10:11] neg_lo:[0,1] neg_hi:[0,1]
	v_pk_fma_f32 v[8:9], v[2:3], v[176:177], v[0:1] op_sel:[0,0,1] op_sel_hi:[1,1,0] neg_lo:[0,0,1] neg_hi:[0,0,1]
	v_pk_fma_f32 v[0:1], v[2:3], v[176:177], v[0:1] op_sel:[0,0,1] op_sel_hi:[1,0,0]
	s_delay_alu instid0(VALU_DEP_1) | instskip(SKIP_4) | instid1(VALU_DEP_1)
	v_mov_b32_e32 v9, v1
	ds_load_2addr_b64 v[0:3], v6 offset0:33 offset1:34
	v_pk_add_f32 v[146:147], v[146:147], v[8:9] neg_lo:[0,1] neg_hi:[0,1]
	s_wait_dscnt 0x0
	v_pk_mul_f32 v[8:9], v[0:1], v[178:179] op_sel:[0,1]
	v_pk_fma_f32 v[10:11], v[0:1], v[176:177], v[8:9] op_sel:[0,0,1] op_sel_hi:[1,1,0] neg_lo:[0,0,1] neg_hi:[0,0,1]
	v_pk_fma_f32 v[0:1], v[0:1], v[176:177], v[8:9] op_sel:[0,0,1] op_sel_hi:[1,0,0]
	v_dual_mul_f32 v8, v3, v179 :: v_dual_mov_b32 v0, v3
	s_delay_alu instid0(VALU_DEP_2) | instskip(NEXT) | instid1(VALU_DEP_2)
	v_dual_mov_b32 v11, v1 :: v_dual_mov_b32 v1, v2
	v_pk_fma_f32 v[8:9], v[2:3], v[36:37], v[8:9] op_sel_hi:[1,1,0] neg_lo:[0,0,1] neg_hi:[0,0,1]
	v_mul_f32_e32 v2, v3, v176
	s_delay_alu instid0(VALU_DEP_3) | instskip(NEXT) | instid1(VALU_DEP_2)
	v_pk_add_f32 v[142:143], v[142:143], v[10:11] neg_lo:[0,1] neg_hi:[0,1]
	v_pk_fma_f32 v[0:1], v[0:1], v[36:37], v[2:3] op_sel_hi:[1,1,0]
	s_delay_alu instid0(VALU_DEP_1) | instskip(SKIP_4) | instid1(VALU_DEP_1)
	v_mov_b32_e32 v9, v1
	ds_load_2addr_b64 v[0:3], v6 offset0:35 offset1:36
	v_pk_add_f32 v[144:145], v[144:145], v[8:9] neg_lo:[0,1] neg_hi:[0,1]
	s_wait_dscnt 0x0
	v_pk_mul_f32 v[8:9], v[0:1], v[178:179] op_sel:[0,1]
	v_pk_fma_f32 v[10:11], v[0:1], v[176:177], v[8:9] op_sel:[0,0,1] op_sel_hi:[1,1,0] neg_lo:[0,0,1] neg_hi:[0,0,1]
	v_pk_fma_f32 v[0:1], v[0:1], v[176:177], v[8:9] op_sel:[0,0,1] op_sel_hi:[1,0,0]
	s_delay_alu instid0(VALU_DEP_1) | instskip(SKIP_1) | instid1(VALU_DEP_1)
	v_mov_b32_e32 v11, v1
	v_pk_mul_f32 v[0:1], v[2:3], v[178:179] op_sel:[0,1]
	v_pk_fma_f32 v[8:9], v[2:3], v[176:177], v[0:1] op_sel:[0,0,1] op_sel_hi:[1,1,0] neg_lo:[0,0,1] neg_hi:[0,0,1]
	v_pk_fma_f32 v[0:1], v[2:3], v[176:177], v[0:1] op_sel:[0,0,1] op_sel_hi:[1,0,0]
	s_delay_alu instid0(VALU_DEP_1)
	v_mov_b32_e32 v9, v1
	ds_load_2addr_b64 v[0:3], v6 offset0:37 offset1:38
	v_pk_add_f32 v[140:141], v[140:141], v[10:11] neg_lo:[0,1] neg_hi:[0,1]
	v_pk_add_f32 v[166:167], v[166:167], v[8:9] neg_lo:[0,1] neg_hi:[0,1]
	s_wait_dscnt 0x0
	v_pk_mul_f32 v[8:9], v[0:1], v[178:179] op_sel:[0,1]
	s_delay_alu instid0(VALU_DEP_1) | instskip(SKIP_1) | instid1(VALU_DEP_1)
	v_pk_fma_f32 v[10:11], v[0:1], v[176:177], v[8:9] op_sel:[0,0,1] op_sel_hi:[1,1,0] neg_lo:[0,0,1] neg_hi:[0,0,1]
	v_pk_fma_f32 v[0:1], v[0:1], v[176:177], v[8:9] op_sel:[0,0,1] op_sel_hi:[1,0,0]
	v_mov_b32_e32 v11, v1
	v_pk_mul_f32 v[0:1], v[2:3], v[178:179] op_sel:[0,1]
	s_delay_alu instid0(VALU_DEP_1) | instskip(SKIP_1) | instid1(VALU_DEP_1)
	v_pk_fma_f32 v[8:9], v[2:3], v[176:177], v[0:1] op_sel:[0,0,1] op_sel_hi:[1,1,0] neg_lo:[0,0,1] neg_hi:[0,0,1]
	v_pk_fma_f32 v[0:1], v[2:3], v[176:177], v[0:1] op_sel:[0,0,1] op_sel_hi:[1,0,0]
	v_mov_b32_e32 v9, v1
	ds_load_2addr_b64 v[0:3], v6 offset0:39 offset1:40
	v_pk_add_f32 v[160:161], v[160:161], v[10:11] neg_lo:[0,1] neg_hi:[0,1]
	v_pk_add_f32 v[164:165], v[164:165], v[8:9] neg_lo:[0,1] neg_hi:[0,1]
	s_wait_dscnt 0x0
	v_dual_mul_f32 v8, v1, v179 :: v_dual_mul_f32 v10, v1, v176
	s_delay_alu instid0(VALU_DEP_1) | instskip(NEXT) | instid1(VALU_DEP_2)
	v_pk_fma_f32 v[8:9], v[0:1], v[36:37], v[8:9] op_sel_hi:[1,1,0] neg_lo:[0,0,1] neg_hi:[0,0,1]
	v_pk_fma_f32 v[0:1], v[0:1], v[36:37], v[10:11] op_sel:[1,0,0] op_sel_hi:[0,1,0]
	s_delay_alu instid0(VALU_DEP_1) | instskip(SKIP_1) | instid1(VALU_DEP_2)
	v_mov_b32_e32 v9, v1
	v_pk_mul_f32 v[0:1], v[2:3], v[178:179] op_sel:[0,1]
	v_pk_add_f32 v[158:159], v[158:159], v[8:9] neg_lo:[0,1] neg_hi:[0,1]
	s_delay_alu instid0(VALU_DEP_2) | instskip(SKIP_1) | instid1(VALU_DEP_1)
	v_pk_fma_f32 v[8:9], v[2:3], v[176:177], v[0:1] op_sel:[0,0,1] op_sel_hi:[1,1,0] neg_lo:[0,0,1] neg_hi:[0,0,1]
	v_pk_fma_f32 v[0:1], v[2:3], v[176:177], v[0:1] op_sel:[0,0,1] op_sel_hi:[1,0,0]
	v_mov_b32_e32 v9, v1
	ds_load_2addr_b64 v[0:3], v6 offset0:41 offset1:42
	v_pk_add_f32 v[162:163], v[162:163], v[8:9] neg_lo:[0,1] neg_hi:[0,1]
	s_wait_dscnt 0x0
	v_pk_mul_f32 v[8:9], v[0:1], v[178:179] op_sel:[0,1]
	s_delay_alu instid0(VALU_DEP_1) | instskip(SKIP_2) | instid1(VALU_DEP_2)
	v_pk_fma_f32 v[10:11], v[0:1], v[176:177], v[8:9] op_sel:[0,0,1] op_sel_hi:[1,1,0] neg_lo:[0,0,1] neg_hi:[0,0,1]
	v_pk_fma_f32 v[0:1], v[0:1], v[176:177], v[8:9] op_sel:[0,0,1] op_sel_hi:[1,0,0]
	v_dual_mul_f32 v8, v3, v179 :: v_dual_mov_b32 v0, v3
	v_dual_mov_b32 v11, v1 :: v_dual_mov_b32 v1, v2
	s_delay_alu instid0(VALU_DEP_2) | instskip(SKIP_1) | instid1(VALU_DEP_3)
	v_pk_fma_f32 v[8:9], v[2:3], v[36:37], v[8:9] op_sel_hi:[1,1,0] neg_lo:[0,0,1] neg_hi:[0,0,1]
	v_mul_f32_e32 v2, v3, v176
	v_pk_add_f32 v[168:169], v[168:169], v[10:11] neg_lo:[0,1] neg_hi:[0,1]
	s_delay_alu instid0(VALU_DEP_2) | instskip(NEXT) | instid1(VALU_DEP_1)
	v_pk_fma_f32 v[0:1], v[0:1], v[36:37], v[2:3] op_sel_hi:[1,1,0]
	v_mov_b32_e32 v9, v1
	s_delay_alu instid0(VALU_DEP_1)
	v_pk_add_f32 v[170:171], v[170:171], v[8:9] neg_lo:[0,1] neg_hi:[0,1]
.LBB85_10:
	s_or_b32 exec_lo, exec_lo, s2
	s_delay_alu instid0(SALU_CYCLE_1)
	s_mov_b32 s2, exec_lo
	s_wait_dscnt 0x0
	s_barrier_signal -1
	s_barrier_wait -1
	v_cmpx_eq_u32_e32 1, v32
	s_cbranch_execz .LBB85_17
; %bb.11:
	v_dual_mov_b32 v0, v76 :: v_dual_mov_b32 v1, v77
	v_dual_mov_b32 v2, v74 :: v_dual_mov_b32 v3, v75
	ds_store_b64 v33, v[52:53]
	ds_store_2addr_b64 v6, v[0:1], v[2:3] offset0:2 offset1:3
	v_dual_mov_b32 v0, v50 :: v_dual_mov_b32 v1, v51
	v_dual_mov_b32 v2, v48 :: v_dual_mov_b32 v3, v49
	ds_store_2addr_b64 v6, v[0:1], v[2:3] offset0:4 offset1:5
	v_dual_mov_b32 v0, v28 :: v_dual_mov_b32 v1, v29
	v_dual_mov_b32 v2, v46 :: v_dual_mov_b32 v3, v47
	ds_store_2addr_b64 v6, v[0:1], v[2:3] offset0:6 offset1:7
	v_dual_mov_b32 v0, v72 :: v_dual_mov_b32 v1, v73
	v_dual_mov_b32 v2, v68 :: v_dual_mov_b32 v3, v69
	ds_store_2addr_b64 v6, v[0:1], v[2:3] offset0:8 offset1:9
	v_dual_mov_b32 v0, v70 :: v_dual_mov_b32 v1, v71
	v_dual_mov_b32 v2, v66 :: v_dual_mov_b32 v3, v67
	ds_store_2addr_b64 v6, v[0:1], v[2:3] offset0:10 offset1:11
	v_dual_mov_b32 v0, v64 :: v_dual_mov_b32 v1, v65
	v_dual_mov_b32 v2, v96 :: v_dual_mov_b32 v3, v97
	ds_store_2addr_b64 v6, v[0:1], v[2:3] offset0:12 offset1:13
	v_dual_mov_b32 v0, v98 :: v_dual_mov_b32 v1, v99
	v_dual_mov_b32 v2, v94 :: v_dual_mov_b32 v3, v95
	ds_store_2addr_b64 v6, v[0:1], v[2:3] offset0:14 offset1:15
	v_dual_mov_b32 v0, v120 :: v_dual_mov_b32 v1, v121
	v_dual_mov_b32 v2, v116 :: v_dual_mov_b32 v3, v117
	ds_store_2addr_b64 v6, v[0:1], v[2:3] offset0:16 offset1:17
	v_dual_mov_b32 v0, v118 :: v_dual_mov_b32 v1, v119
	v_dual_mov_b32 v2, v54 :: v_dual_mov_b32 v3, v55
	ds_store_2addr_b64 v6, v[0:1], v[2:3] offset0:18 offset1:19
	v_dual_mov_b32 v0, v84 :: v_dual_mov_b32 v1, v85
	v_dual_mov_b32 v2, v80 :: v_dual_mov_b32 v3, v81
	ds_store_2addr_b64 v6, v[0:1], v[2:3] offset0:20 offset1:21
	v_dual_mov_b32 v0, v82 :: v_dual_mov_b32 v1, v83
	v_dual_mov_b32 v2, v78 :: v_dual_mov_b32 v3, v79
	ds_store_2addr_b64 v6, v[0:1], v[2:3] offset0:22 offset1:23
	v_dual_mov_b32 v0, v106 :: v_dual_mov_b32 v1, v107
	v_dual_mov_b32 v2, v102 :: v_dual_mov_b32 v3, v103
	ds_store_2addr_b64 v6, v[0:1], v[2:3] offset0:24 offset1:25
	v_dual_mov_b32 v0, v104 :: v_dual_mov_b32 v1, v105
	v_dual_mov_b32 v2, v100 :: v_dual_mov_b32 v3, v101
	ds_store_2addr_b64 v6, v[0:1], v[2:3] offset0:26 offset1:27
	v_dual_mov_b32 v0, v128 :: v_dual_mov_b32 v1, v129
	v_dual_mov_b32 v2, v124 :: v_dual_mov_b32 v3, v125
	ds_store_2addr_b64 v6, v[0:1], v[2:3] offset0:28 offset1:29
	v_dual_mov_b32 v0, v126 :: v_dual_mov_b32 v1, v127
	v_dual_mov_b32 v2, v122 :: v_dual_mov_b32 v3, v123
	ds_store_2addr_b64 v6, v[0:1], v[2:3] offset0:30 offset1:31
	v_dual_mov_b32 v0, v146 :: v_dual_mov_b32 v1, v147
	v_dual_mov_b32 v2, v142 :: v_dual_mov_b32 v3, v143
	ds_store_2addr_b64 v6, v[0:1], v[2:3] offset0:32 offset1:33
	v_dual_mov_b32 v0, v144 :: v_dual_mov_b32 v1, v145
	v_dual_mov_b32 v2, v140 :: v_dual_mov_b32 v3, v141
	ds_store_2addr_b64 v6, v[0:1], v[2:3] offset0:34 offset1:35
	v_dual_mov_b32 v0, v166 :: v_dual_mov_b32 v1, v167
	v_dual_mov_b32 v2, v160 :: v_dual_mov_b32 v3, v161
	ds_store_2addr_b64 v6, v[0:1], v[2:3] offset0:36 offset1:37
	v_dual_mov_b32 v0, v164 :: v_dual_mov_b32 v1, v165
	v_dual_mov_b32 v2, v158 :: v_dual_mov_b32 v3, v159
	ds_store_2addr_b64 v6, v[0:1], v[2:3] offset0:38 offset1:39
	v_dual_mov_b32 v0, v162 :: v_dual_mov_b32 v1, v163
	v_dual_mov_b32 v2, v168 :: v_dual_mov_b32 v3, v169
	ds_store_2addr_b64 v6, v[0:1], v[2:3] offset0:40 offset1:41
	ds_store_b64 v6, v[170:171] offset:336
	ds_load_b64 v[0:1], v33
	s_wait_dscnt 0x0
	v_cmp_neq_f32_e32 vcc_lo, 0, v0
	v_cmp_neq_f32_e64 s1, 0, v1
	s_or_b32 s1, vcc_lo, s1
	s_delay_alu instid0(SALU_CYCLE_1)
	s_and_b32 exec_lo, exec_lo, s1
	s_cbranch_execz .LBB85_17
; %bb.12:
	v_cmp_ngt_f32_e64 s1, |v0|, |v1|
                                        ; implicit-def: $vgpr2_vgpr3
	s_and_saveexec_b32 s4, s1
	s_delay_alu instid0(SALU_CYCLE_1)
	s_xor_b32 s1, exec_lo, s4
	s_cbranch_execz .LBB85_14
; %bb.13:
	v_div_scale_f32 v2, null, v1, v1, v0
	v_div_scale_f32 v8, vcc_lo, v0, v1, v0
	s_delay_alu instid0(VALU_DEP_2) | instskip(SKIP_1) | instid1(TRANS32_DEP_1)
	v_rcp_f32_e32 v3, v2
	v_nop
	v_fma_f32 v7, -v2, v3, 1.0
	s_delay_alu instid0(VALU_DEP_1) | instskip(NEXT) | instid1(VALU_DEP_1)
	v_fmac_f32_e32 v3, v7, v3
	v_mul_f32_e32 v7, v8, v3
	s_delay_alu instid0(VALU_DEP_1) | instskip(NEXT) | instid1(VALU_DEP_1)
	v_fma_f32 v9, -v2, v7, v8
	v_fmac_f32_e32 v7, v9, v3
	s_delay_alu instid0(VALU_DEP_1) | instskip(NEXT) | instid1(VALU_DEP_1)
	v_fma_f32 v2, -v2, v7, v8
	v_div_fmas_f32 v2, v2, v3, v7
	s_delay_alu instid0(VALU_DEP_1) | instskip(NEXT) | instid1(VALU_DEP_1)
	v_div_fixup_f32 v2, v2, v1, v0
	v_fmac_f32_e32 v1, v0, v2
	s_delay_alu instid0(VALU_DEP_1) | instskip(SKIP_1) | instid1(VALU_DEP_2)
	v_div_scale_f32 v0, null, v1, v1, 1.0
	v_div_scale_f32 v8, vcc_lo, 1.0, v1, 1.0
	v_rcp_f32_e32 v3, v0
	v_nop
	s_delay_alu instid0(TRANS32_DEP_1) | instskip(NEXT) | instid1(VALU_DEP_1)
	v_fma_f32 v7, -v0, v3, 1.0
	v_fmac_f32_e32 v3, v7, v3
	s_delay_alu instid0(VALU_DEP_1) | instskip(NEXT) | instid1(VALU_DEP_1)
	v_mul_f32_e32 v7, v8, v3
	v_fma_f32 v9, -v0, v7, v8
	s_delay_alu instid0(VALU_DEP_1) | instskip(NEXT) | instid1(VALU_DEP_1)
	v_fmac_f32_e32 v7, v9, v3
	v_fma_f32 v0, -v0, v7, v8
	s_delay_alu instid0(VALU_DEP_1) | instskip(NEXT) | instid1(VALU_DEP_1)
	v_div_fmas_f32 v0, v0, v3, v7
	v_div_fixup_f32 v0, v0, v1, 1.0
	s_delay_alu instid0(VALU_DEP_1)
	v_mul_f32_e32 v2, v2, v0
	v_xor_b32_e32 v3, 0x80000000, v0
                                        ; implicit-def: $vgpr0_vgpr1
.LBB85_14:
	s_and_not1_saveexec_b32 s1, s1
	s_cbranch_execz .LBB85_16
; %bb.15:
	v_div_scale_f32 v2, null, v0, v0, v1
	v_div_scale_f32 v8, vcc_lo, v1, v0, v1
	s_delay_alu instid0(VALU_DEP_2) | instskip(SKIP_1) | instid1(TRANS32_DEP_1)
	v_rcp_f32_e32 v3, v2
	v_nop
	v_fma_f32 v7, -v2, v3, 1.0
	s_delay_alu instid0(VALU_DEP_1) | instskip(NEXT) | instid1(VALU_DEP_1)
	v_fmac_f32_e32 v3, v7, v3
	v_mul_f32_e32 v7, v8, v3
	s_delay_alu instid0(VALU_DEP_1) | instskip(NEXT) | instid1(VALU_DEP_1)
	v_fma_f32 v9, -v2, v7, v8
	v_fmac_f32_e32 v7, v9, v3
	s_delay_alu instid0(VALU_DEP_1) | instskip(NEXT) | instid1(VALU_DEP_1)
	v_fma_f32 v2, -v2, v7, v8
	v_div_fmas_f32 v2, v2, v3, v7
	s_delay_alu instid0(VALU_DEP_1) | instskip(NEXT) | instid1(VALU_DEP_1)
	v_div_fixup_f32 v3, v2, v0, v1
	v_fmac_f32_e32 v0, v1, v3
	s_delay_alu instid0(VALU_DEP_1) | instskip(NEXT) | instid1(VALU_DEP_1)
	v_div_scale_f32 v1, null, v0, v0, 1.0
	v_rcp_f32_e32 v2, v1
	v_nop
	s_delay_alu instid0(TRANS32_DEP_1) | instskip(NEXT) | instid1(VALU_DEP_1)
	v_fma_f32 v7, -v1, v2, 1.0
	v_fmac_f32_e32 v2, v7, v2
	v_div_scale_f32 v7, vcc_lo, 1.0, v0, 1.0
	s_delay_alu instid0(VALU_DEP_1) | instskip(NEXT) | instid1(VALU_DEP_1)
	v_mul_f32_e32 v8, v7, v2
	v_fma_f32 v9, -v1, v8, v7
	s_delay_alu instid0(VALU_DEP_1) | instskip(NEXT) | instid1(VALU_DEP_1)
	v_fmac_f32_e32 v8, v9, v2
	v_fma_f32 v1, -v1, v8, v7
	s_delay_alu instid0(VALU_DEP_1) | instskip(NEXT) | instid1(VALU_DEP_1)
	v_div_fmas_f32 v1, v1, v2, v8
	v_div_fixup_f32 v2, v1, v0, 1.0
	s_delay_alu instid0(VALU_DEP_1)
	v_mul_f32_e64 v3, v3, -v2
.LBB85_16:
	s_or_b32 exec_lo, exec_lo, s1
	ds_store_b64 v33, v[2:3]
.LBB85_17:
	s_or_b32 exec_lo, exec_lo, s2
	s_wait_dscnt 0x0
	s_barrier_signal -1
	s_barrier_wait -1
	ds_load_b64 v[176:177], v33
	s_mov_b32 s1, exec_lo
	v_cmpx_lt_u32_e32 1, v32
	s_cbranch_execz .LBB85_19
; %bb.18:
	ds_load_2addr_b64 v[178:181], v6 offset0:2 offset1:3
	ds_load_2addr_b64 v[182:185], v6 offset0:4 offset1:5
	;; [unrolled: 1-line block ×3, first 2 shown]
	s_wait_dscnt 0x3
	v_pk_mul_f32 v[2:3], v[176:177], v[52:53] op_sel:[1,1] op_sel_hi:[0,1]
	ds_load_2addr_b64 v[190:193], v6 offset0:8 offset1:9
	ds_load_2addr_b64 v[194:197], v6 offset0:10 offset1:11
	v_pk_fma_f32 v[0:1], v[176:177], v[52:53], v[2:3] op_sel_hi:[1,0,1] neg_lo:[0,0,1] neg_hi:[0,0,1]
	v_pk_fma_f32 v[2:3], v[176:177], v[52:53], v[2:3] op_sel_hi:[1,0,1]
	s_delay_alu instid0(VALU_DEP_1) | instskip(SKIP_1) | instid1(VALU_DEP_2)
	v_dual_mov_b32 v52, v0 :: v_dual_mov_b32 v53, v3
	s_wait_dscnt 0x4
	v_pk_mul_f32 v[8:9], v[178:179], v[2:3] op_sel:[0,1]
	v_pk_mul_f32 v[10:11], v[180:181], v[2:3] op_sel:[0,1]
	s_wait_dscnt 0x3
	v_pk_mul_f32 v[198:199], v[182:183], v[2:3] op_sel:[0,1]
	s_wait_dscnt 0x2
	v_pk_mul_f32 v[206:207], v[186:187], v[2:3] op_sel:[0,1]
	v_dual_mov_b32 v200, v185 :: v_dual_mov_b32 v201, v184
	v_pk_fma_f32 v[212:213], v[178:179], v[0:1], v[8:9] op_sel:[0,0,1] op_sel_hi:[1,1,0] neg_lo:[0,0,1] neg_hi:[0,0,1]
	v_pk_fma_f32 v[8:9], v[178:179], v[0:1], v[8:9] op_sel:[0,0,1] op_sel_hi:[1,0,0]
	v_dual_mul_f32 v202, v185, v3 :: v_dual_mul_f32 v204, v185, v0
	v_pk_mul_f32 v[208:209], v[188:189], v[2:3] op_sel:[0,1]
	v_pk_fma_f32 v[178:179], v[180:181], v[0:1], v[10:11] op_sel:[0,0,1] op_sel_hi:[1,1,0] neg_lo:[0,0,1] neg_hi:[0,0,1]
	v_pk_fma_f32 v[10:11], v[180:181], v[0:1], v[10:11] op_sel:[0,0,1] op_sel_hi:[1,0,0]
	v_pk_fma_f32 v[180:181], v[182:183], v[0:1], v[198:199] op_sel:[0,0,1] op_sel_hi:[1,1,0] neg_lo:[0,0,1] neg_hi:[0,0,1]
	v_pk_fma_f32 v[182:183], v[182:183], v[0:1], v[198:199] op_sel:[0,0,1] op_sel_hi:[1,0,0]
	s_wait_dscnt 0x1
	v_pk_mul_f32 v[210:211], v[190:191], v[2:3] op_sel:[0,1]
	v_dual_mov_b32 v213, v9 :: v_dual_mov_b32 v179, v11
	v_pk_fma_f32 v[8:9], v[186:187], v[0:1], v[206:207] op_sel:[0,0,1] op_sel_hi:[1,0,0]
	v_pk_fma_f32 v[198:199], v[200:201], v[52:53], v[204:205] op_sel_hi:[1,1,0]
	v_mov_b32_e32 v181, v183
	v_pk_fma_f32 v[10:11], v[186:187], v[0:1], v[206:207] op_sel:[0,0,1] op_sel_hi:[1,1,0] neg_lo:[0,0,1] neg_hi:[0,0,1]
	v_pk_fma_f32 v[182:183], v[188:189], v[0:1], v[208:209] op_sel:[0,0,1] op_sel_hi:[1,0,0]
	v_mov_b32_e32 v11, v9
	v_pk_fma_f32 v[8:9], v[190:191], v[0:1], v[210:211] op_sel:[0,0,1] op_sel_hi:[1,0,0]
	v_pk_fma_f32 v[186:187], v[188:189], v[0:1], v[208:209] op_sel:[0,0,1] op_sel_hi:[1,1,0] neg_lo:[0,0,1] neg_hi:[0,0,1]
	v_pk_fma_f32 v[184:185], v[184:185], v[52:53], v[202:203] op_sel_hi:[1,1,0] neg_lo:[0,0,1] neg_hi:[0,0,1]
	v_mov_b32_e32 v187, v183
	v_pk_fma_f32 v[182:183], v[190:191], v[0:1], v[210:211] op_sel:[0,0,1] op_sel_hi:[1,1,0] neg_lo:[0,0,1] neg_hi:[0,0,1]
	v_mov_b32_e32 v185, v199
	v_pk_add_f32 v[74:75], v[74:75], v[178:179] neg_lo:[0,1] neg_hi:[0,1]
	v_pk_add_f32 v[50:51], v[50:51], v[180:181] neg_lo:[0,1] neg_hi:[0,1]
	ds_load_2addr_b64 v[178:181], v6 offset0:12 offset1:13
	v_mov_b32_e32 v183, v9
	v_pk_add_f32 v[48:49], v[48:49], v[184:185] neg_lo:[0,1] neg_hi:[0,1]
	v_pk_add_f32 v[28:29], v[28:29], v[10:11] neg_lo:[0,1] neg_hi:[0,1]
	s_wait_dscnt 0x1
	v_mul_f32_e32 v10, v195, v0
	v_pk_mul_f32 v[8:9], v[192:193], v[2:3] op_sel:[0,1]
	v_pk_add_f32 v[72:73], v[72:73], v[182:183] neg_lo:[0,1] neg_hi:[0,1]
	ds_load_2addr_b64 v[182:185], v6 offset0:14 offset1:15
	v_pk_mul_f32 v[188:189], v[196:197], v[2:3] op_sel:[0,1]
	v_pk_add_f32 v[46:47], v[46:47], v[186:187] neg_lo:[0,1] neg_hi:[0,1]
	v_pk_fma_f32 v[186:187], v[192:193], v[0:1], v[8:9] op_sel:[0,0,1] op_sel_hi:[1,0,0]
	v_mul_f32_e32 v186, v195, v3
	v_pk_fma_f32 v[10:11], v[194:195], v[52:53], v[10:11] op_sel:[1,0,0] op_sel_hi:[0,1,0]
	v_pk_fma_f32 v[190:191], v[196:197], v[0:1], v[188:189] op_sel:[0,0,1] op_sel_hi:[1,0,0]
	v_pk_fma_f32 v[8:9], v[192:193], v[0:1], v[8:9] op_sel:[0,0,1] op_sel_hi:[1,1,0] neg_lo:[0,0,1] neg_hi:[0,0,1]
	v_mov_b32_e32 v9, v187
	v_pk_fma_f32 v[186:187], v[194:195], v[52:53], v[186:187] op_sel_hi:[1,1,0] neg_lo:[0,0,1] neg_hi:[0,0,1]
	v_pk_fma_f32 v[188:189], v[196:197], v[0:1], v[188:189] op_sel:[0,0,1] op_sel_hi:[1,1,0] neg_lo:[0,0,1] neg_hi:[0,0,1]
	v_dual_mov_b32 v187, v11 :: v_dual_mov_b32 v189, v191
	s_wait_dscnt 0x1
	v_pk_mul_f32 v[10:11], v[178:179], v[2:3] op_sel:[0,1]
	v_pk_add_f32 v[68:69], v[68:69], v[8:9] neg_lo:[0,1] neg_hi:[0,1]
	v_pk_mul_f32 v[190:191], v[180:181], v[2:3] op_sel:[0,1]
	v_pk_add_f32 v[70:71], v[70:71], v[186:187] neg_lo:[0,1] neg_hi:[0,1]
	v_pk_add_f32 v[76:77], v[76:77], v[212:213] neg_lo:[0,1] neg_hi:[0,1]
	v_pk_fma_f32 v[8:9], v[178:179], v[0:1], v[10:11] op_sel:[0,0,1] op_sel_hi:[1,0,0]
	v_pk_fma_f32 v[10:11], v[178:179], v[0:1], v[10:11] op_sel:[0,0,1] op_sel_hi:[1,1,0] neg_lo:[0,0,1] neg_hi:[0,0,1]
	s_wait_dscnt 0x0
	v_mov_b32_e32 v194, v185
	v_pk_add_f32 v[66:67], v[66:67], v[188:189] neg_lo:[0,1] neg_hi:[0,1]
	ds_load_2addr_b64 v[186:189], v6 offset0:16 offset1:17
	v_mov_b32_e32 v11, v9
	v_pk_fma_f32 v[8:9], v[180:181], v[0:1], v[190:191] op_sel:[0,0,1] op_sel_hi:[1,1,0] neg_lo:[0,0,1] neg_hi:[0,0,1]
	v_pk_fma_f32 v[190:191], v[180:181], v[0:1], v[190:191] op_sel:[0,0,1] op_sel_hi:[1,0,0]
	ds_load_2addr_b64 v[178:181], v6 offset0:18 offset1:19
	v_pk_mul_f32 v[192:193], v[182:183], v[2:3] op_sel:[0,1]
	v_dual_mov_b32 v195, v184 :: v_dual_mul_f32 v190, v185, v0
	v_mov_b32_e32 v9, v191
	v_pk_add_f32 v[64:65], v[64:65], v[10:11] neg_lo:[0,1] neg_hi:[0,1]
	s_delay_alu instid0(VALU_DEP_4)
	v_pk_fma_f32 v[10:11], v[182:183], v[0:1], v[192:193] op_sel:[0,0,1] op_sel_hi:[1,0,0]
	v_mul_f32_e32 v10, v185, v3
	v_pk_fma_f32 v[190:191], v[194:195], v[52:53], v[190:191] op_sel_hi:[1,1,0]
	v_pk_add_f32 v[96:97], v[96:97], v[8:9] neg_lo:[0,1] neg_hi:[0,1]
	v_pk_fma_f32 v[8:9], v[182:183], v[0:1], v[192:193] op_sel:[0,0,1] op_sel_hi:[1,1,0] neg_lo:[0,0,1] neg_hi:[0,0,1]
	v_mov_b32_e32 v9, v11
	v_pk_fma_f32 v[10:11], v[184:185], v[52:53], v[10:11] op_sel_hi:[1,1,0] neg_lo:[0,0,1] neg_hi:[0,0,1]
	v_mov_b32_e32 v11, v191
	ds_load_2addr_b64 v[182:185], v6 offset0:20 offset1:21
	ds_load_2addr_b64 v[190:193], v6 offset0:22 offset1:23
	s_wait_dscnt 0x3
	v_pk_mul_f32 v[194:195], v[186:187], v[2:3] op_sel:[0,1]
	v_pk_mul_f32 v[196:197], v[188:189], v[2:3] op_sel:[0,1]
	v_pk_add_f32 v[98:99], v[98:99], v[8:9] neg_lo:[0,1] neg_hi:[0,1]
	v_pk_add_f32 v[94:95], v[94:95], v[10:11] neg_lo:[0,1] neg_hi:[0,1]
	s_wait_dscnt 0x2
	v_pk_mul_f32 v[10:11], v[178:179], v[2:3] op_sel:[0,1]
	v_pk_fma_f32 v[8:9], v[186:187], v[0:1], v[194:195] op_sel:[0,0,1] op_sel_hi:[1,0,0]
	v_pk_fma_f32 v[198:199], v[188:189], v[0:1], v[196:197] op_sel:[0,0,1] op_sel_hi:[1,0,0]
	v_pk_fma_f32 v[186:187], v[186:187], v[0:1], v[194:195] op_sel:[0,0,1] op_sel_hi:[1,1,0] neg_lo:[0,0,1] neg_hi:[0,0,1]
	v_pk_mul_f32 v[194:195], v[180:181], v[2:3] op_sel:[0,1]
	v_pk_fma_f32 v[188:189], v[188:189], v[0:1], v[196:197] op_sel:[0,0,1] op_sel_hi:[1,1,0] neg_lo:[0,0,1] neg_hi:[0,0,1]
	s_delay_alu instid0(VALU_DEP_4) | instskip(SKIP_2) | instid1(VALU_DEP_3)
	v_dual_mov_b32 v187, v9 :: v_dual_mov_b32 v189, v199
	v_pk_fma_f32 v[8:9], v[178:179], v[0:1], v[10:11] op_sel:[0,0,1] op_sel_hi:[1,0,0]
	v_pk_fma_f32 v[10:11], v[178:179], v[0:1], v[10:11] op_sel:[0,0,1] op_sel_hi:[1,1,0] neg_lo:[0,0,1] neg_hi:[0,0,1]
	v_pk_add_f32 v[120:121], v[120:121], v[186:187] neg_lo:[0,1] neg_hi:[0,1]
	s_delay_alu instid0(VALU_DEP_4) | instskip(NEXT) | instid1(VALU_DEP_4)
	v_pk_add_f32 v[116:117], v[116:117], v[188:189] neg_lo:[0,1] neg_hi:[0,1]
	v_mov_b32_e32 v11, v9
	v_pk_fma_f32 v[8:9], v[180:181], v[0:1], v[194:195] op_sel:[0,0,1] op_sel_hi:[1,0,0]
	ds_load_2addr_b64 v[186:189], v6 offset0:24 offset1:25
	s_wait_dscnt 0x2
	v_dual_mul_f32 v8, v183, v0 :: v_dual_mul_f32 v178, v183, v3
	v_pk_add_f32 v[118:119], v[118:119], v[10:11] neg_lo:[0,1] neg_hi:[0,1]
	v_pk_fma_f32 v[10:11], v[180:181], v[0:1], v[194:195] op_sel:[0,0,1] op_sel_hi:[1,1,0] neg_lo:[0,0,1] neg_hi:[0,0,1]
	v_mov_b32_e32 v11, v9
	v_pk_mul_f32 v[194:195], v[184:185], v[2:3] op_sel:[0,1]
	v_pk_fma_f32 v[8:9], v[182:183], v[52:53], v[8:9] op_sel:[1,0,0] op_sel_hi:[0,1,0]
	s_wait_dscnt 0x1
	v_pk_mul_f32 v[196:197], v[190:191], v[2:3] op_sel:[0,1]
	v_pk_add_f32 v[54:55], v[54:55], v[10:11] neg_lo:[0,1] neg_hi:[0,1]
	v_pk_fma_f32 v[10:11], v[182:183], v[52:53], v[178:179] op_sel_hi:[1,1,0] neg_lo:[0,0,1] neg_hi:[0,0,1]
	v_pk_fma_f32 v[182:183], v[184:185], v[0:1], v[194:195] op_sel:[0,0,1] op_sel_hi:[1,0,0]
	v_pk_fma_f32 v[184:185], v[184:185], v[0:1], v[194:195] op_sel:[0,0,1] op_sel_hi:[1,1,0] neg_lo:[0,0,1] neg_hi:[0,0,1]
	v_mov_b32_e32 v11, v9
	v_pk_fma_f32 v[8:9], v[190:191], v[0:1], v[196:197] op_sel:[0,0,1] op_sel_hi:[1,0,0]
	ds_load_2addr_b64 v[178:181], v6 offset0:26 offset1:27
	v_mov_b32_e32 v185, v183
	v_pk_fma_f32 v[182:183], v[190:191], v[0:1], v[196:197] op_sel:[0,0,1] op_sel_hi:[1,1,0] neg_lo:[0,0,1] neg_hi:[0,0,1]
	v_pk_mul_f32 v[190:191], v[192:193], v[2:3] op_sel:[0,1]
	v_pk_add_f32 v[84:85], v[84:85], v[10:11] neg_lo:[0,1] neg_hi:[0,1]
	s_delay_alu instid0(VALU_DEP_4) | instskip(NEXT) | instid1(VALU_DEP_3)
	v_pk_add_f32 v[80:81], v[80:81], v[184:185] neg_lo:[0,1] neg_hi:[0,1]
	v_pk_fma_f32 v[10:11], v[192:193], v[0:1], v[190:191] op_sel:[0,0,1] op_sel_hi:[1,0,0]
	v_mov_b32_e32 v183, v9
	s_wait_dscnt 0x1
	v_pk_mul_f32 v[8:9], v[186:187], v[2:3] op_sel:[0,1]
	v_pk_fma_f32 v[190:191], v[192:193], v[0:1], v[190:191] op_sel:[0,0,1] op_sel_hi:[1,1,0] neg_lo:[0,0,1] neg_hi:[0,0,1]
	v_dual_mov_b32 v10, v189 :: v_dual_mov_b32 v191, v11
	v_pk_add_f32 v[82:83], v[82:83], v[182:183] neg_lo:[0,1] neg_hi:[0,1]
	ds_load_2addr_b64 v[182:185], v6 offset0:28 offset1:29
	v_pk_fma_f32 v[194:195], v[186:187], v[0:1], v[8:9] op_sel:[0,0,1] op_sel_hi:[1,0,0]
	v_pk_fma_f32 v[8:9], v[186:187], v[0:1], v[8:9] op_sel:[0,0,1] op_sel_hi:[1,1,0] neg_lo:[0,0,1] neg_hi:[0,0,1]
	v_dual_mov_b32 v11, v188 :: v_dual_mul_f32 v186, v189, v0
	v_pk_add_f32 v[78:79], v[78:79], v[190:191] neg_lo:[0,1] neg_hi:[0,1]
	s_delay_alu instid0(VALU_DEP_4)
	v_mov_b32_e32 v9, v195
	s_wait_dscnt 0x1
	v_pk_mul_f32 v[194:195], v[178:179], v[2:3] op_sel:[0,1]
	v_pk_mul_f32 v[196:197], v[180:181], v[2:3] op_sel:[0,1]
	v_pk_fma_f32 v[10:11], v[10:11], v[52:53], v[186:187] op_sel_hi:[1,1,0]
	ds_load_2addr_b64 v[190:193], v6 offset0:30 offset1:31
	v_pk_add_f32 v[106:107], v[106:107], v[8:9] neg_lo:[0,1] neg_hi:[0,1]
	v_mul_f32_e32 v8, v189, v3
	v_pk_fma_f32 v[186:187], v[178:179], v[0:1], v[194:195] op_sel:[0,0,1] op_sel_hi:[1,0,0]
	s_delay_alu instid0(VALU_DEP_2)
	v_pk_fma_f32 v[8:9], v[188:189], v[52:53], v[8:9] op_sel_hi:[1,1,0] neg_lo:[0,0,1] neg_hi:[0,0,1]
	v_mov_b32_e32 v9, v11
	v_pk_fma_f32 v[10:11], v[178:179], v[0:1], v[194:195] op_sel:[0,0,1] op_sel_hi:[1,1,0] neg_lo:[0,0,1] neg_hi:[0,0,1]
	v_pk_fma_f32 v[178:179], v[180:181], v[0:1], v[196:197] op_sel:[0,0,1] op_sel_hi:[1,0,0]
	v_mov_b32_e32 v11, v187
	s_wait_dscnt 0x1
	v_pk_mul_f32 v[194:195], v[182:183], v[2:3] op_sel:[0,1]
	ds_load_2addr_b64 v[186:189], v6 offset0:32 offset1:33
	v_pk_fma_f32 v[180:181], v[180:181], v[0:1], v[196:197] op_sel:[0,0,1] op_sel_hi:[1,1,0] neg_lo:[0,0,1] neg_hi:[0,0,1]
	v_mov_b32_e32 v181, v179
	v_pk_add_f32 v[102:103], v[102:103], v[8:9] neg_lo:[0,1] neg_hi:[0,1]
	v_pk_mul_f32 v[8:9], v[184:185], v[2:3] op_sel:[0,1]
	v_pk_fma_f32 v[178:179], v[182:183], v[0:1], v[194:195] op_sel:[0,0,1] op_sel_hi:[1,0,0]
	v_pk_add_f32 v[104:105], v[104:105], v[10:11] neg_lo:[0,1] neg_hi:[0,1]
	v_pk_fma_f32 v[10:11], v[182:183], v[0:1], v[194:195] op_sel:[0,0,1] op_sel_hi:[1,1,0] neg_lo:[0,0,1] neg_hi:[0,0,1]
	v_pk_add_f32 v[100:101], v[100:101], v[180:181] neg_lo:[0,1] neg_hi:[0,1]
	v_pk_fma_f32 v[182:183], v[184:185], v[0:1], v[8:9] op_sel:[0,0,1] op_sel_hi:[1,0,0]
	v_mov_b32_e32 v11, v179
	ds_load_2addr_b64 v[178:181], v6 offset0:34 offset1:35
	v_pk_fma_f32 v[8:9], v[184:185], v[0:1], v[8:9] op_sel:[0,0,1] op_sel_hi:[1,1,0] neg_lo:[0,0,1] neg_hi:[0,0,1]
	s_wait_dscnt 0x2
	v_dual_mul_f32 v182, v191, v0 :: v_dual_mul_f32 v184, v191, v3
	v_mov_b32_e32 v9, v183
	v_pk_add_f32 v[128:129], v[128:129], v[10:11] neg_lo:[0,1] neg_hi:[0,1]
	v_pk_mul_f32 v[10:11], v[192:193], v[2:3] op_sel:[0,1]
	s_delay_alu instid0(VALU_DEP_4)
	v_pk_fma_f32 v[182:183], v[190:191], v[52:53], v[182:183] op_sel:[1,0,0] op_sel_hi:[0,1,0]
	v_pk_fma_f32 v[190:191], v[190:191], v[52:53], v[184:185] op_sel_hi:[1,1,0] neg_lo:[0,0,1] neg_hi:[0,0,1]
	v_pk_add_f32 v[124:125], v[124:125], v[8:9] neg_lo:[0,1] neg_hi:[0,1]
	s_wait_dscnt 0x1
	v_pk_mul_f32 v[8:9], v[186:187], v[2:3] op_sel:[0,1]
	v_pk_fma_f32 v[194:195], v[192:193], v[0:1], v[10:11] op_sel:[0,0,1] op_sel_hi:[1,0,0]
	v_pk_fma_f32 v[10:11], v[192:193], v[0:1], v[10:11] op_sel:[0,0,1] op_sel_hi:[1,1,0] neg_lo:[0,0,1] neg_hi:[0,0,1]
	v_mov_b32_e32 v191, v183
	ds_load_2addr_b64 v[182:185], v6 offset0:36 offset1:37
	v_pk_fma_f32 v[192:193], v[186:187], v[0:1], v[8:9] op_sel:[0,0,1] op_sel_hi:[1,0,0]
	v_mov_b32_e32 v11, v195
	v_pk_fma_f32 v[8:9], v[186:187], v[0:1], v[8:9] op_sel:[0,0,1] op_sel_hi:[1,1,0] neg_lo:[0,0,1] neg_hi:[0,0,1]
	v_pk_mul_f32 v[186:187], v[188:189], v[2:3] op_sel:[0,1]
	v_pk_add_f32 v[126:127], v[126:127], v[190:191] neg_lo:[0,1] neg_hi:[0,1]
	ds_load_b64 v[196:197], v6 offset:336
	v_pk_add_f32 v[122:123], v[122:123], v[10:11] neg_lo:[0,1] neg_hi:[0,1]
	v_pk_fma_f32 v[10:11], v[188:189], v[0:1], v[186:187] op_sel:[0,0,1] op_sel_hi:[1,0,0]
	v_mov_b32_e32 v9, v193
	s_wait_dscnt 0x2
	v_pk_mul_f32 v[192:193], v[178:179], v[2:3] op_sel:[0,1]
	v_pk_fma_f32 v[190:191], v[188:189], v[0:1], v[186:187] op_sel:[0,0,1] op_sel_hi:[1,1,0] neg_lo:[0,0,1] neg_hi:[0,0,1]
	ds_load_2addr_b64 v[186:189], v6 offset0:38 offset1:39
	v_mov_b32_e32 v191, v11
	v_pk_add_f32 v[146:147], v[146:147], v[8:9] neg_lo:[0,1] neg_hi:[0,1]
	v_pk_fma_f32 v[8:9], v[178:179], v[0:1], v[192:193] op_sel:[0,0,1] op_sel_hi:[1,0,0]
	v_pk_fma_f32 v[10:11], v[178:179], v[0:1], v[192:193] op_sel:[0,0,1] op_sel_hi:[1,1,0] neg_lo:[0,0,1] neg_hi:[0,0,1]
	v_dual_mov_b32 v8, v181 :: v_dual_mul_f32 v178, v181, v0
	v_pk_add_f32 v[142:143], v[142:143], v[190:191] neg_lo:[0,1] neg_hi:[0,1]
	s_delay_alu instid0(VALU_DEP_4)
	v_dual_mov_b32 v11, v9 :: v_dual_mov_b32 v9, v180
	ds_load_2addr_b64 v[190:193], v6 offset0:40 offset1:41
	s_wait_dscnt 0x3
	v_pk_mul_f32 v[194:195], v[182:183], v[2:3] op_sel:[0,1]
	v_pk_add_f32 v[144:145], v[144:145], v[10:11] neg_lo:[0,1] neg_hi:[0,1]
	v_mul_f32_e32 v10, v181, v3
	v_pk_fma_f32 v[8:9], v[8:9], v[52:53], v[178:179] op_sel_hi:[1,1,0]
	v_pk_mul_f32 v[178:179], v[184:185], v[2:3] op_sel:[0,1]
	s_delay_alu instid0(VALU_DEP_3) | instskip(NEXT) | instid1(VALU_DEP_3)
	v_pk_fma_f32 v[10:11], v[180:181], v[52:53], v[10:11] op_sel_hi:[1,1,0] neg_lo:[0,0,1] neg_hi:[0,0,1]
	v_mov_b32_e32 v11, v9
	s_delay_alu instid0(VALU_DEP_3)
	v_pk_fma_f32 v[8:9], v[184:185], v[0:1], v[178:179] op_sel:[0,0,1] op_sel_hi:[1,0,0]
	v_pk_fma_f32 v[180:181], v[182:183], v[0:1], v[194:195] op_sel:[0,0,1] op_sel_hi:[1,0,0]
	v_pk_fma_f32 v[182:183], v[182:183], v[0:1], v[194:195] op_sel:[0,0,1] op_sel_hi:[1,1,0] neg_lo:[0,0,1] neg_hi:[0,0,1]
	s_wait_dscnt 0x1
	v_pk_mul_f32 v[194:195], v[186:187], v[2:3] op_sel:[0,1]
	v_pk_fma_f32 v[178:179], v[184:185], v[0:1], v[178:179] op_sel:[0,0,1] op_sel_hi:[1,1,0] neg_lo:[0,0,1] neg_hi:[0,0,1]
	v_mov_b32_e32 v179, v9
	v_pk_add_f32 v[140:141], v[140:141], v[10:11] neg_lo:[0,1] neg_hi:[0,1]
	v_pk_mul_f32 v[10:11], v[188:189], v[2:3] op_sel:[0,1]
	v_pk_fma_f32 v[8:9], v[186:187], v[0:1], v[194:195] op_sel:[0,0,1] op_sel_hi:[1,0,0]
	v_mov_b32_e32 v183, v181
	v_pk_add_f32 v[160:161], v[160:161], v[178:179] neg_lo:[0,1] neg_hi:[0,1]
	v_pk_fma_f32 v[178:179], v[186:187], v[0:1], v[194:195] op_sel:[0,0,1] op_sel_hi:[1,1,0] neg_lo:[0,0,1] neg_hi:[0,0,1]
	s_wait_dscnt 0x0
	v_dual_mul_f32 v180, v191, v0 :: v_dual_mov_b32 v179, v9
	v_pk_fma_f32 v[8:9], v[188:189], v[0:1], v[10:11] op_sel:[0,0,1] op_sel_hi:[1,1,0] neg_lo:[0,0,1] neg_hi:[0,0,1]
	v_pk_fma_f32 v[10:11], v[188:189], v[0:1], v[10:11] op_sel:[0,0,1] op_sel_hi:[1,0,0]
	v_pk_add_f32 v[166:167], v[166:167], v[182:183] neg_lo:[0,1] neg_hi:[0,1]
	v_pk_mul_f32 v[182:183], v[192:193], v[2:3] op_sel:[0,1]
	v_pk_fma_f32 v[180:181], v[190:191], v[52:53], v[180:181] op_sel:[1,0,0] op_sel_hi:[0,1,0]
	v_mul_f32_e32 v10, v191, v3
	v_pk_mul_f32 v[2:3], v[196:197], v[2:3] op_sel:[0,1]
	v_pk_add_f32 v[164:165], v[164:165], v[178:179] neg_lo:[0,1] neg_hi:[0,1]
	v_pk_fma_f32 v[184:185], v[192:193], v[0:1], v[182:183] op_sel:[0,0,1] op_sel_hi:[1,0,0]
	v_mov_b32_e32 v9, v11
	v_pk_fma_f32 v[10:11], v[190:191], v[52:53], v[10:11] op_sel_hi:[1,1,0] neg_lo:[0,0,1] neg_hi:[0,0,1]
	v_pk_fma_f32 v[186:187], v[196:197], v[0:1], v[2:3] op_sel:[0,0,1] op_sel_hi:[1,0,0]
	v_mov_b32_e32 v11, v181
	v_pk_fma_f32 v[180:181], v[192:193], v[0:1], v[182:183] op_sel:[0,0,1] op_sel_hi:[1,1,0] neg_lo:[0,0,1] neg_hi:[0,0,1]
	v_pk_fma_f32 v[0:1], v[196:197], v[0:1], v[2:3] op_sel:[0,0,1] op_sel_hi:[1,1,0] neg_lo:[0,0,1] neg_hi:[0,0,1]
	s_delay_alu instid0(VALU_DEP_4) | instskip(SKIP_2) | instid1(VALU_DEP_3)
	v_dual_mov_b32 v181, v185 :: v_dual_mov_b32 v1, v187
	v_pk_add_f32 v[158:159], v[158:159], v[8:9] neg_lo:[0,1] neg_hi:[0,1]
	v_pk_add_f32 v[162:163], v[162:163], v[10:11] neg_lo:[0,1] neg_hi:[0,1]
	;; [unrolled: 1-line block ×3, first 2 shown]
	s_delay_alu instid0(VALU_DEP_4)
	v_pk_add_f32 v[170:171], v[170:171], v[0:1] neg_lo:[0,1] neg_hi:[0,1]
.LBB85_19:
	s_or_b32 exec_lo, exec_lo, s1
	s_delay_alu instid0(SALU_CYCLE_1)
	s_mov_b32 s2, exec_lo
	s_wait_dscnt 0x0
	s_barrier_signal -1
	s_barrier_wait -1
	v_cmpx_eq_u32_e32 2, v32
	s_cbranch_execz .LBB85_26
; %bb.20:
	ds_store_b64 v33, v[76:77]
	ds_store_2addr_b64 v6, v[74:75], v[50:51] offset0:3 offset1:4
	ds_store_2addr_b64 v6, v[48:49], v[28:29] offset0:5 offset1:6
	;; [unrolled: 1-line block ×20, first 2 shown]
	ds_load_b64 v[0:1], v33
	s_wait_dscnt 0x0
	v_cmp_neq_f32_e32 vcc_lo, 0, v0
	v_cmp_neq_f32_e64 s1, 0, v1
	s_or_b32 s1, vcc_lo, s1
	s_delay_alu instid0(SALU_CYCLE_1)
	s_and_b32 exec_lo, exec_lo, s1
	s_cbranch_execz .LBB85_26
; %bb.21:
	v_cmp_ngt_f32_e64 s1, |v0|, |v1|
                                        ; implicit-def: $vgpr2_vgpr3
	s_and_saveexec_b32 s4, s1
	s_delay_alu instid0(SALU_CYCLE_1)
	s_xor_b32 s1, exec_lo, s4
	s_cbranch_execz .LBB85_23
; %bb.22:
	v_div_scale_f32 v2, null, v1, v1, v0
	v_div_scale_f32 v8, vcc_lo, v0, v1, v0
	s_delay_alu instid0(VALU_DEP_2) | instskip(SKIP_1) | instid1(TRANS32_DEP_1)
	v_rcp_f32_e32 v3, v2
	v_nop
	v_fma_f32 v7, -v2, v3, 1.0
	s_delay_alu instid0(VALU_DEP_1) | instskip(NEXT) | instid1(VALU_DEP_1)
	v_fmac_f32_e32 v3, v7, v3
	v_mul_f32_e32 v7, v8, v3
	s_delay_alu instid0(VALU_DEP_1) | instskip(NEXT) | instid1(VALU_DEP_1)
	v_fma_f32 v9, -v2, v7, v8
	v_fmac_f32_e32 v7, v9, v3
	s_delay_alu instid0(VALU_DEP_1) | instskip(NEXT) | instid1(VALU_DEP_1)
	v_fma_f32 v2, -v2, v7, v8
	v_div_fmas_f32 v2, v2, v3, v7
	s_delay_alu instid0(VALU_DEP_1) | instskip(NEXT) | instid1(VALU_DEP_1)
	v_div_fixup_f32 v2, v2, v1, v0
	v_fmac_f32_e32 v1, v0, v2
	s_delay_alu instid0(VALU_DEP_1) | instskip(SKIP_1) | instid1(VALU_DEP_2)
	v_div_scale_f32 v0, null, v1, v1, 1.0
	v_div_scale_f32 v8, vcc_lo, 1.0, v1, 1.0
	v_rcp_f32_e32 v3, v0
	v_nop
	s_delay_alu instid0(TRANS32_DEP_1) | instskip(NEXT) | instid1(VALU_DEP_1)
	v_fma_f32 v7, -v0, v3, 1.0
	v_fmac_f32_e32 v3, v7, v3
	s_delay_alu instid0(VALU_DEP_1) | instskip(NEXT) | instid1(VALU_DEP_1)
	v_mul_f32_e32 v7, v8, v3
	v_fma_f32 v9, -v0, v7, v8
	s_delay_alu instid0(VALU_DEP_1) | instskip(NEXT) | instid1(VALU_DEP_1)
	v_fmac_f32_e32 v7, v9, v3
	v_fma_f32 v0, -v0, v7, v8
	s_delay_alu instid0(VALU_DEP_1) | instskip(NEXT) | instid1(VALU_DEP_1)
	v_div_fmas_f32 v0, v0, v3, v7
	v_div_fixup_f32 v0, v0, v1, 1.0
	s_delay_alu instid0(VALU_DEP_1)
	v_mul_f32_e32 v2, v2, v0
	v_xor_b32_e32 v3, 0x80000000, v0
                                        ; implicit-def: $vgpr0_vgpr1
.LBB85_23:
	s_and_not1_saveexec_b32 s1, s1
	s_cbranch_execz .LBB85_25
; %bb.24:
	v_div_scale_f32 v2, null, v0, v0, v1
	v_div_scale_f32 v8, vcc_lo, v1, v0, v1
	s_delay_alu instid0(VALU_DEP_2) | instskip(SKIP_1) | instid1(TRANS32_DEP_1)
	v_rcp_f32_e32 v3, v2
	v_nop
	v_fma_f32 v7, -v2, v3, 1.0
	s_delay_alu instid0(VALU_DEP_1) | instskip(NEXT) | instid1(VALU_DEP_1)
	v_fmac_f32_e32 v3, v7, v3
	v_mul_f32_e32 v7, v8, v3
	s_delay_alu instid0(VALU_DEP_1) | instskip(NEXT) | instid1(VALU_DEP_1)
	v_fma_f32 v9, -v2, v7, v8
	v_fmac_f32_e32 v7, v9, v3
	s_delay_alu instid0(VALU_DEP_1) | instskip(NEXT) | instid1(VALU_DEP_1)
	v_fma_f32 v2, -v2, v7, v8
	v_div_fmas_f32 v2, v2, v3, v7
	s_delay_alu instid0(VALU_DEP_1) | instskip(NEXT) | instid1(VALU_DEP_1)
	v_div_fixup_f32 v3, v2, v0, v1
	v_fmac_f32_e32 v0, v1, v3
	s_delay_alu instid0(VALU_DEP_1) | instskip(NEXT) | instid1(VALU_DEP_1)
	v_div_scale_f32 v1, null, v0, v0, 1.0
	v_rcp_f32_e32 v2, v1
	v_nop
	s_delay_alu instid0(TRANS32_DEP_1) | instskip(NEXT) | instid1(VALU_DEP_1)
	v_fma_f32 v7, -v1, v2, 1.0
	v_fmac_f32_e32 v2, v7, v2
	v_div_scale_f32 v7, vcc_lo, 1.0, v0, 1.0
	s_delay_alu instid0(VALU_DEP_1) | instskip(NEXT) | instid1(VALU_DEP_1)
	v_mul_f32_e32 v8, v7, v2
	v_fma_f32 v9, -v1, v8, v7
	s_delay_alu instid0(VALU_DEP_1) | instskip(NEXT) | instid1(VALU_DEP_1)
	v_fmac_f32_e32 v8, v9, v2
	v_fma_f32 v1, -v1, v8, v7
	s_delay_alu instid0(VALU_DEP_1) | instskip(NEXT) | instid1(VALU_DEP_1)
	v_div_fmas_f32 v1, v1, v2, v8
	v_div_fixup_f32 v2, v1, v0, 1.0
	s_delay_alu instid0(VALU_DEP_1)
	v_mul_f32_e64 v3, v3, -v2
.LBB85_25:
	s_or_b32 exec_lo, exec_lo, s1
	ds_store_b64 v33, v[2:3]
.LBB85_26:
	s_or_b32 exec_lo, exec_lo, s2
	s_wait_dscnt 0x0
	s_barrier_signal -1
	s_barrier_wait -1
	ds_load_b64 v[178:179], v33
	s_mov_b32 s1, exec_lo
	v_cmpx_lt_u32_e32 2, v32
	s_cbranch_execz .LBB85_28
; %bb.27:
	ds_load_2addr_b64 v[182:185], v6 offset0:3 offset1:4
	ds_load_2addr_b64 v[186:189], v6 offset0:5 offset1:6
	;; [unrolled: 1-line block ×3, first 2 shown]
	s_wait_dscnt 0x3
	v_pk_mul_f32 v[2:3], v[178:179], v[76:77] op_sel:[1,1] op_sel_hi:[0,1]
	ds_load_2addr_b64 v[194:197], v6 offset0:9 offset1:10
	ds_load_2addr_b64 v[198:201], v6 offset0:11 offset1:12
	v_pk_fma_f32 v[180:181], v[178:179], v[76:77], v[2:3] op_sel_hi:[1,0,1]
	v_pk_fma_f32 v[0:1], v[178:179], v[76:77], v[2:3] op_sel_hi:[1,0,1] neg_lo:[0,0,1] neg_hi:[0,0,1]
	s_delay_alu instid0(VALU_DEP_1) | instskip(SKIP_1) | instid1(VALU_DEP_3)
	v_dual_mov_b32 v77, v181 :: v_dual_mov_b32 v76, v0
	s_wait_dscnt 0x4
	v_pk_mul_f32 v[2:3], v[182:183], v[180:181] op_sel:[0,1]
	v_pk_mul_f32 v[8:9], v[184:185], v[180:181] op_sel:[0,1]
	s_wait_dscnt 0x3
	v_pk_mul_f32 v[10:11], v[186:187], v[180:181] op_sel:[0,1]
	v_dual_mov_b32 v202, v189 :: v_dual_mov_b32 v203, v188
	v_dual_mul_f32 v204, v189, v181 :: v_dual_mul_f32 v206, v189, v0
	s_wait_dscnt 0x2
	v_pk_mul_f32 v[208:209], v[190:191], v[180:181] op_sel:[0,1]
	v_pk_mul_f32 v[210:211], v[192:193], v[180:181] op_sel:[0,1]
	v_pk_fma_f32 v[212:213], v[182:183], v[0:1], v[2:3] op_sel:[0,0,1] op_sel_hi:[1,1,0] neg_lo:[0,0,1] neg_hi:[0,0,1]
	v_pk_fma_f32 v[2:3], v[182:183], v[0:1], v[2:3] op_sel:[0,0,1] op_sel_hi:[1,0,0]
	v_pk_fma_f32 v[182:183], v[184:185], v[0:1], v[8:9] op_sel:[0,0,1] op_sel_hi:[1,1,0] neg_lo:[0,0,1] neg_hi:[0,0,1]
	v_pk_fma_f32 v[8:9], v[184:185], v[0:1], v[8:9] op_sel:[0,0,1] op_sel_hi:[1,0,0]
	;; [unrolled: 2-line block ×3, first 2 shown]
	v_pk_fma_f32 v[186:187], v[188:189], v[76:77], v[204:205] op_sel_hi:[1,1,0] neg_lo:[0,0,1] neg_hi:[0,0,1]
	v_pk_fma_f32 v[188:189], v[202:203], v[76:77], v[206:207] op_sel_hi:[1,1,0]
	v_pk_fma_f32 v[202:203], v[190:191], v[0:1], v[208:209] op_sel:[0,0,1] op_sel_hi:[1,1,0] neg_lo:[0,0,1] neg_hi:[0,0,1]
	v_pk_fma_f32 v[190:191], v[190:191], v[0:1], v[208:209] op_sel:[0,0,1] op_sel_hi:[1,0,0]
	v_dual_mov_b32 v213, v3 :: v_dual_mov_b32 v183, v9
	v_pk_fma_f32 v[2:3], v[192:193], v[0:1], v[210:211] op_sel:[0,0,1] op_sel_hi:[1,0,0]
	v_dual_mov_b32 v185, v11 :: v_dual_mov_b32 v187, v189
	v_pk_fma_f32 v[8:9], v[192:193], v[0:1], v[210:211] op_sel:[0,0,1] op_sel_hi:[1,1,0] neg_lo:[0,0,1] neg_hi:[0,0,1]
	s_delay_alu instid0(VALU_DEP_3)
	v_dual_mov_b32 v203, v191 :: v_dual_mov_b32 v9, v3
	s_wait_dscnt 0x1
	v_pk_mul_f32 v[2:3], v[194:195], v[180:181] op_sel:[0,1]
	v_pk_add_f32 v[50:51], v[50:51], v[182:183] neg_lo:[0,1] neg_hi:[0,1]
	v_pk_add_f32 v[48:49], v[48:49], v[184:185] neg_lo:[0,1] neg_hi:[0,1]
	;; [unrolled: 1-line block ×3, first 2 shown]
	ds_load_2addr_b64 v[182:185], v6 offset0:13 offset1:14
	ds_load_2addr_b64 v[186:189], v6 offset0:15 offset1:16
	v_pk_mul_f32 v[10:11], v[196:197], v[180:181] op_sel:[0,1]
	v_pk_add_f32 v[72:73], v[72:73], v[8:9] neg_lo:[0,1] neg_hi:[0,1]
	v_pk_fma_f32 v[8:9], v[194:195], v[0:1], v[2:3] op_sel:[0,0,1] op_sel_hi:[1,0,0]
	s_wait_dscnt 0x2
	v_mul_f32_e32 v8, v199, v0
	v_pk_mul_f32 v[190:191], v[200:201], v[180:181] op_sel:[0,1]
	v_pk_fma_f32 v[192:193], v[196:197], v[0:1], v[10:11] op_sel:[0,0,1] op_sel_hi:[1,0,0]
	v_pk_fma_f32 v[2:3], v[194:195], v[0:1], v[2:3] op_sel:[0,0,1] op_sel_hi:[1,1,0] neg_lo:[0,0,1] neg_hi:[0,0,1]
	v_dual_mul_f32 v192, v199, v181 :: v_dual_mov_b32 v3, v9
	v_pk_fma_f32 v[8:9], v[198:199], v[76:77], v[8:9] op_sel:[1,0,0] op_sel_hi:[0,1,0]
	v_pk_fma_f32 v[194:195], v[200:201], v[0:1], v[190:191] op_sel:[0,0,1] op_sel_hi:[1,0,0]
	v_pk_fma_f32 v[10:11], v[196:197], v[0:1], v[10:11] op_sel:[0,0,1] op_sel_hi:[1,1,0] neg_lo:[0,0,1] neg_hi:[0,0,1]
	v_mov_b32_e32 v11, v193
	v_pk_fma_f32 v[192:193], v[198:199], v[76:77], v[192:193] op_sel_hi:[1,1,0] neg_lo:[0,0,1] neg_hi:[0,0,1]
	v_mov_b32_e32 v193, v9
	v_pk_fma_f32 v[8:9], v[200:201], v[0:1], v[190:191] op_sel:[0,0,1] op_sel_hi:[1,1,0] neg_lo:[0,0,1] neg_hi:[0,0,1]
	v_mov_b32_e32 v9, v195
	v_pk_add_f32 v[68:69], v[68:69], v[2:3] neg_lo:[0,1] neg_hi:[0,1]
	v_pk_add_f32 v[70:71], v[70:71], v[10:11] neg_lo:[0,1] neg_hi:[0,1]
	s_wait_dscnt 0x1
	v_pk_mul_f32 v[2:3], v[182:183], v[180:181] op_sel:[0,1]
	s_wait_dscnt 0x0
	v_pk_mul_f32 v[10:11], v[186:187], v[180:181] op_sel:[0,1]
	v_pk_add_f32 v[64:65], v[64:65], v[8:9] neg_lo:[0,1] neg_hi:[0,1]
	v_pk_mul_f32 v[8:9], v[184:185], v[180:181] op_sel:[0,1]
	v_pk_add_f32 v[66:67], v[66:67], v[192:193] neg_lo:[0,1] neg_hi:[0,1]
	ds_load_2addr_b64 v[190:193], v6 offset0:17 offset1:18
	ds_load_2addr_b64 v[194:197], v6 offset0:19 offset1:20
	v_pk_fma_f32 v[198:199], v[182:183], v[0:1], v[2:3] op_sel:[0,0,1] op_sel_hi:[1,0,0]
	v_pk_fma_f32 v[2:3], v[182:183], v[0:1], v[2:3] op_sel:[0,0,1] op_sel_hi:[1,1,0] neg_lo:[0,0,1] neg_hi:[0,0,1]
	v_pk_fma_f32 v[182:183], v[184:185], v[0:1], v[8:9] op_sel:[0,0,1] op_sel_hi:[1,0,0]
	v_pk_fma_f32 v[200:201], v[186:187], v[0:1], v[10:11] op_sel:[0,0,1] op_sel_hi:[1,0,0]
	v_pk_fma_f32 v[8:9], v[184:185], v[0:1], v[8:9] op_sel:[0,0,1] op_sel_hi:[1,1,0] neg_lo:[0,0,1] neg_hi:[0,0,1]
	v_pk_fma_f32 v[10:11], v[186:187], v[0:1], v[10:11] op_sel:[0,0,1] op_sel_hi:[1,1,0] neg_lo:[0,0,1] neg_hi:[0,0,1]
	s_delay_alu instid0(VALU_DEP_4) | instskip(NEXT) | instid1(VALU_DEP_4)
	v_dual_mov_b32 v3, v199 :: v_dual_mov_b32 v9, v183
	v_dual_mov_b32 v11, v201 :: v_dual_mov_b32 v182, v189
	v_dual_mov_b32 v183, v188 :: v_dual_mul_f32 v184, v189, v0
	s_delay_alu instid0(VALU_DEP_3) | instskip(NEXT) | instid1(VALU_DEP_4)
	v_pk_add_f32 v[96:97], v[96:97], v[2:3] neg_lo:[0,1] neg_hi:[0,1]
	v_pk_add_f32 v[98:99], v[98:99], v[8:9] neg_lo:[0,1] neg_hi:[0,1]
	s_delay_alu instid0(VALU_DEP_4)
	v_pk_add_f32 v[94:95], v[94:95], v[10:11] neg_lo:[0,1] neg_hi:[0,1]
	v_pk_add_f32 v[46:47], v[46:47], v[202:203] neg_lo:[0,1] neg_hi:[0,1]
	v_pk_fma_f32 v[2:3], v[182:183], v[76:77], v[184:185] op_sel_hi:[1,1,0]
	v_mul_f32_e32 v186, v189, v181
	ds_load_2addr_b64 v[182:185], v6 offset0:21 offset1:22
	s_wait_dscnt 0x2
	v_pk_mul_f32 v[10:11], v[190:191], v[180:181] op_sel:[0,1]
	v_pk_mul_f32 v[198:199], v[192:193], v[180:181] op_sel:[0,1]
	v_pk_add_f32 v[74:75], v[74:75], v[212:213] neg_lo:[0,1] neg_hi:[0,1]
	v_pk_fma_f32 v[8:9], v[188:189], v[76:77], v[186:187] op_sel_hi:[1,1,0] neg_lo:[0,0,1] neg_hi:[0,0,1]
	v_mov_b32_e32 v9, v3
	s_wait_dscnt 0x1
	v_pk_mul_f32 v[2:3], v[194:195], v[180:181] op_sel:[0,1]
	v_pk_fma_f32 v[200:201], v[190:191], v[0:1], v[10:11] op_sel:[0,0,1] op_sel_hi:[1,0,0]
	v_pk_fma_f32 v[10:11], v[190:191], v[0:1], v[10:11] op_sel:[0,0,1] op_sel_hi:[1,1,0] neg_lo:[0,0,1] neg_hi:[0,0,1]
	ds_load_2addr_b64 v[186:189], v6 offset0:23 offset1:24
	v_pk_add_f32 v[120:121], v[120:121], v[8:9] neg_lo:[0,1] neg_hi:[0,1]
	v_pk_fma_f32 v[190:191], v[194:195], v[0:1], v[2:3] op_sel:[0,0,1] op_sel_hi:[1,0,0]
	v_pk_fma_f32 v[2:3], v[194:195], v[0:1], v[2:3] op_sel:[0,0,1] op_sel_hi:[1,1,0] neg_lo:[0,0,1] neg_hi:[0,0,1]
	v_pk_fma_f32 v[202:203], v[192:193], v[0:1], v[198:199] op_sel:[0,0,1] op_sel_hi:[1,0,0]
	v_pk_fma_f32 v[192:193], v[192:193], v[0:1], v[198:199] op_sel:[0,0,1] op_sel_hi:[1,1,0] neg_lo:[0,0,1] neg_hi:[0,0,1]
	s_delay_alu instid0(VALU_DEP_4) | instskip(SKIP_1) | instid1(VALU_DEP_4)
	v_dual_mov_b32 v11, v201 :: v_dual_mov_b32 v3, v191
	v_pk_mul_f32 v[190:191], v[196:197], v[180:181] op_sel:[0,1]
	v_mov_b32_e32 v193, v203
	s_wait_dscnt 0x1
	v_mul_f32_e32 v194, v183, v181
	v_pk_add_f32 v[116:117], v[116:117], v[10:11] neg_lo:[0,1] neg_hi:[0,1]
	v_pk_fma_f32 v[8:9], v[196:197], v[0:1], v[190:191] op_sel:[0,0,1] op_sel_hi:[1,0,0]
	v_mul_f32_e32 v8, v183, v0
	v_pk_add_f32 v[118:119], v[118:119], v[192:193] neg_lo:[0,1] neg_hi:[0,1]
	v_pk_fma_f32 v[194:195], v[182:183], v[76:77], v[194:195] op_sel_hi:[1,1,0] neg_lo:[0,0,1] neg_hi:[0,0,1]
	v_pk_mul_f32 v[10:11], v[184:185], v[180:181] op_sel:[0,1]
	s_delay_alu instid0(VALU_DEP_4) | instskip(NEXT) | instid1(VALU_DEP_1)
	v_pk_fma_f32 v[198:199], v[182:183], v[76:77], v[8:9] op_sel:[1,0,0] op_sel_hi:[0,1,0]
	v_mov_b32_e32 v195, v199
	v_pk_add_f32 v[54:55], v[54:55], v[2:3] neg_lo:[0,1] neg_hi:[0,1]
	v_pk_fma_f32 v[2:3], v[196:197], v[0:1], v[190:191] op_sel:[0,0,1] op_sel_hi:[1,1,0] neg_lo:[0,0,1] neg_hi:[0,0,1]
	ds_load_2addr_b64 v[190:193], v6 offset0:25 offset1:26
	s_wait_dscnt 0x1
	v_pk_mul_f32 v[196:197], v[186:187], v[180:181] op_sel:[0,1]
	v_mov_b32_e32 v3, v9
	v_pk_fma_f32 v[8:9], v[184:185], v[0:1], v[10:11] op_sel:[0,0,1] op_sel_hi:[1,0,0]
	v_pk_fma_f32 v[10:11], v[184:185], v[0:1], v[10:11] op_sel:[0,0,1] op_sel_hi:[1,1,0] neg_lo:[0,0,1] neg_hi:[0,0,1]
	v_pk_add_f32 v[80:81], v[80:81], v[194:195] neg_lo:[0,1] neg_hi:[0,1]
	v_pk_fma_f32 v[182:183], v[186:187], v[0:1], v[196:197] op_sel:[0,0,1] op_sel_hi:[1,0,0]
	s_delay_alu instid0(VALU_DEP_4) | instskip(SKIP_2) | instid1(VALU_DEP_4)
	v_mov_b32_e32 v11, v9
	v_pk_fma_f32 v[8:9], v[186:187], v[0:1], v[196:197] op_sel:[0,0,1] op_sel_hi:[1,1,0] neg_lo:[0,0,1] neg_hi:[0,0,1]
	v_pk_mul_f32 v[186:187], v[188:189], v[180:181] op_sel:[0,1]
	v_mov_b32_e32 v9, v183
	ds_load_2addr_b64 v[182:185], v6 offset0:27 offset1:28
	ds_load_2addr_b64 v[194:197], v6 offset0:29 offset1:30
	v_pk_add_f32 v[82:83], v[82:83], v[10:11] neg_lo:[0,1] neg_hi:[0,1]
	v_pk_add_f32 v[84:85], v[84:85], v[2:3] neg_lo:[0,1] neg_hi:[0,1]
	v_pk_fma_f32 v[2:3], v[188:189], v[0:1], v[186:187] op_sel:[0,0,1] op_sel_hi:[1,0,0]
	v_pk_fma_f32 v[198:199], v[188:189], v[0:1], v[186:187] op_sel:[0,0,1] op_sel_hi:[1,1,0] neg_lo:[0,0,1] neg_hi:[0,0,1]
	s_wait_dscnt 0x2
	v_mov_b32_e32 v10, v193
	v_pk_add_f32 v[78:79], v[78:79], v[8:9] neg_lo:[0,1] neg_hi:[0,1]
	v_pk_mul_f32 v[8:9], v[190:191], v[180:181] op_sel:[0,1]
	v_dual_mov_b32 v11, v192 :: v_dual_mul_f32 v2, v193, v0
	v_mov_b32_e32 v199, v3
	s_delay_alu instid0(VALU_DEP_3) | instskip(SKIP_1) | instid1(VALU_DEP_4)
	v_pk_fma_f32 v[186:187], v[190:191], v[0:1], v[8:9] op_sel:[0,0,1] op_sel_hi:[1,0,0]
	v_mul_f32_e32 v186, v193, v181
	v_pk_fma_f32 v[2:3], v[10:11], v[76:77], v[2:3] op_sel_hi:[1,1,0]
	v_pk_fma_f32 v[8:9], v[190:191], v[0:1], v[8:9] op_sel:[0,0,1] op_sel_hi:[1,1,0] neg_lo:[0,0,1] neg_hi:[0,0,1]
	v_pk_add_f32 v[106:107], v[106:107], v[198:199] neg_lo:[0,1] neg_hi:[0,1]
	v_mov_b32_e32 v9, v187
	v_pk_fma_f32 v[10:11], v[192:193], v[76:77], v[186:187] op_sel_hi:[1,1,0] neg_lo:[0,0,1] neg_hi:[0,0,1]
	s_wait_dscnt 0x1
	v_pk_mul_f32 v[190:191], v[182:183], v[180:181] op_sel:[0,1]
	v_mov_b32_e32 v11, v3
	ds_load_2addr_b64 v[186:189], v6 offset0:31 offset1:32
	v_pk_add_f32 v[102:103], v[102:103], v[8:9] neg_lo:[0,1] neg_hi:[0,1]
	v_pk_mul_f32 v[8:9], v[184:185], v[180:181] op_sel:[0,1]
	v_pk_fma_f32 v[2:3], v[182:183], v[0:1], v[190:191] op_sel:[0,0,1] op_sel_hi:[1,0,0]
	v_pk_add_f32 v[104:105], v[104:105], v[10:11] neg_lo:[0,1] neg_hi:[0,1]
	s_wait_dscnt 0x1
	v_pk_mul_f32 v[10:11], v[194:195], v[180:181] op_sel:[0,1]
	v_pk_fma_f32 v[182:183], v[182:183], v[0:1], v[190:191] op_sel:[0,0,1] op_sel_hi:[1,1,0] neg_lo:[0,0,1] neg_hi:[0,0,1]
	ds_load_2addr_b64 v[190:193], v6 offset0:33 offset1:34
	v_mov_b32_e32 v183, v3
	v_pk_fma_f32 v[2:3], v[184:185], v[0:1], v[8:9] op_sel:[0,0,1] op_sel_hi:[1,0,0]
	v_pk_fma_f32 v[198:199], v[194:195], v[0:1], v[10:11] op_sel:[0,0,1] op_sel_hi:[1,0,0]
	v_pk_fma_f32 v[8:9], v[184:185], v[0:1], v[8:9] op_sel:[0,0,1] op_sel_hi:[1,1,0] neg_lo:[0,0,1] neg_hi:[0,0,1]
	v_pk_mul_f32 v[184:185], v[196:197], v[180:181] op_sel:[0,1]
	s_delay_alu instid0(VALU_DEP_4) | instskip(SKIP_2) | instid1(VALU_DEP_4)
	v_mov_b32_e32 v9, v3
	v_pk_fma_f32 v[2:3], v[194:195], v[0:1], v[10:11] op_sel:[0,0,1] op_sel_hi:[1,1,0] neg_lo:[0,0,1] neg_hi:[0,0,1]
	v_mov_b32_e32 v3, v199
	v_pk_fma_f32 v[10:11], v[196:197], v[0:1], v[184:185] op_sel:[0,0,1] op_sel_hi:[1,0,0]
	v_pk_add_f32 v[100:101], v[100:101], v[182:183] neg_lo:[0,1] neg_hi:[0,1]
	v_pk_add_f32 v[128:129], v[128:129], v[8:9] neg_lo:[0,1] neg_hi:[0,1]
	s_wait_dscnt 0x1
	v_dual_mul_f32 v8, v187, v0 :: v_dual_mul_f32 v10, v187, v181
	v_pk_add_f32 v[124:125], v[124:125], v[2:3] neg_lo:[0,1] neg_hi:[0,1]
	v_pk_fma_f32 v[2:3], v[196:197], v[0:1], v[184:185] op_sel:[0,0,1] op_sel_hi:[1,1,0] neg_lo:[0,0,1] neg_hi:[0,0,1]
	ds_load_2addr_b64 v[182:185], v6 offset0:35 offset1:36
	v_mov_b32_e32 v3, v11
	v_pk_fma_f32 v[8:9], v[186:187], v[76:77], v[8:9] op_sel:[1,0,0] op_sel_hi:[0,1,0]
	v_pk_mul_f32 v[198:199], v[188:189], v[180:181] op_sel:[0,1]
	ds_load_2addr_b64 v[194:197], v6 offset0:37 offset1:38
	v_pk_add_f32 v[126:127], v[126:127], v[2:3] neg_lo:[0,1] neg_hi:[0,1]
	v_pk_fma_f32 v[2:3], v[186:187], v[76:77], v[10:11] op_sel_hi:[1,1,0] neg_lo:[0,0,1] neg_hi:[0,0,1]
	v_mov_b32_e32 v3, v9
	v_pk_fma_f32 v[8:9], v[188:189], v[0:1], v[198:199] op_sel:[0,0,1] op_sel_hi:[1,0,0]
	s_wait_dscnt 0x2
	v_pk_mul_f32 v[186:187], v[192:193], v[180:181] op_sel:[0,1]
	v_pk_fma_f32 v[188:189], v[188:189], v[0:1], v[198:199] op_sel:[0,0,1] op_sel_hi:[1,1,0] neg_lo:[0,0,1] neg_hi:[0,0,1]
	v_pk_mul_f32 v[10:11], v[190:191], v[180:181] op_sel:[0,1]
	v_pk_add_f32 v[122:123], v[122:123], v[2:3] neg_lo:[0,1] neg_hi:[0,1]
	v_mov_b32_e32 v189, v9
	v_pk_fma_f32 v[8:9], v[192:193], v[0:1], v[186:187] op_sel:[0,0,1] op_sel_hi:[1,0,0]
	v_pk_fma_f32 v[2:3], v[192:193], v[0:1], v[186:187] op_sel:[0,0,1] op_sel_hi:[1,1,0] neg_lo:[0,0,1] neg_hi:[0,0,1]
	v_pk_fma_f32 v[200:201], v[190:191], v[0:1], v[10:11] op_sel:[0,0,1] op_sel_hi:[1,0,0]
	v_pk_fma_f32 v[10:11], v[190:191], v[0:1], v[10:11] op_sel:[0,0,1] op_sel_hi:[1,1,0] neg_lo:[0,0,1] neg_hi:[0,0,1]
	v_pk_add_f32 v[146:147], v[146:147], v[188:189] neg_lo:[0,1] neg_hi:[0,1]
	v_mov_b32_e32 v3, v9
	s_wait_dscnt 0x1
	v_pk_mul_f32 v[8:9], v[182:183], v[180:181] op_sel:[0,1]
	v_mov_b32_e32 v11, v201
	ds_load_2addr_b64 v[186:189], v6 offset0:39 offset1:40
	ds_load_2addr_b64 v[190:193], v6 offset0:41 offset1:42
	s_wait_dscnt 0x2
	v_pk_mul_f32 v[200:201], v[194:195], v[180:181] op_sel:[0,1]
	v_pk_fma_f32 v[198:199], v[182:183], v[0:1], v[8:9] op_sel:[0,0,1] op_sel_hi:[1,0,0]
	v_pk_fma_f32 v[8:9], v[182:183], v[0:1], v[8:9] op_sel:[0,0,1] op_sel_hi:[1,1,0] neg_lo:[0,0,1] neg_hi:[0,0,1]
	v_pk_add_f32 v[142:143], v[142:143], v[10:11] neg_lo:[0,1] neg_hi:[0,1]
	s_delay_alu instid0(VALU_DEP_3) | instskip(SKIP_2) | instid1(VALU_DEP_3)
	v_dual_mul_f32 v10, v185, v0 :: v_dual_mov_b32 v9, v199
	v_pk_add_f32 v[144:145], v[144:145], v[2:3] neg_lo:[0,1] neg_hi:[0,1]
	v_dual_mov_b32 v2, v185 :: v_dual_mov_b32 v3, v184
	v_pk_add_f32 v[140:141], v[140:141], v[8:9] neg_lo:[0,1] neg_hi:[0,1]
	s_delay_alu instid0(VALU_DEP_2) | instskip(SKIP_4) | instid1(VALU_DEP_3)
	v_pk_fma_f32 v[2:3], v[2:3], v[76:77], v[10:11] op_sel_hi:[1,1,0]
	v_mul_f32_e32 v198, v185, v181
	v_pk_fma_f32 v[10:11], v[194:195], v[0:1], v[200:201] op_sel:[0,0,1] op_sel_hi:[1,0,0]
	s_wait_dscnt 0x1
	v_pk_mul_f32 v[8:9], v[186:187], v[180:181] op_sel:[0,1]
	v_pk_fma_f32 v[182:183], v[184:185], v[76:77], v[198:199] op_sel_hi:[1,1,0] neg_lo:[0,0,1] neg_hi:[0,0,1]
	v_mov_b32_e32 v183, v3
	v_pk_mul_f32 v[2:3], v[196:197], v[180:181] op_sel:[0,1]
	v_pk_fma_f32 v[184:185], v[194:195], v[0:1], v[200:201] op_sel:[0,0,1] op_sel_hi:[1,1,0] neg_lo:[0,0,1] neg_hi:[0,0,1]
	v_mov_b32_e32 v185, v11
	s_delay_alu instid0(VALU_DEP_4) | instskip(NEXT) | instid1(VALU_DEP_4)
	v_pk_add_f32 v[166:167], v[166:167], v[182:183] neg_lo:[0,1] neg_hi:[0,1]
	v_pk_fma_f32 v[10:11], v[196:197], v[0:1], v[2:3] op_sel:[0,0,1] op_sel_hi:[1,0,0]
	v_pk_fma_f32 v[2:3], v[196:197], v[0:1], v[2:3] op_sel:[0,0,1] op_sel_hi:[1,1,0] neg_lo:[0,0,1] neg_hi:[0,0,1]
	v_pk_fma_f32 v[182:183], v[186:187], v[0:1], v[8:9] op_sel:[0,0,1] op_sel_hi:[1,0,0]
	s_wait_dscnt 0x0
	v_mul_f32_e32 v182, v191, v0
	v_pk_fma_f32 v[8:9], v[186:187], v[0:1], v[8:9] op_sel:[0,0,1] op_sel_hi:[1,1,0] neg_lo:[0,0,1] neg_hi:[0,0,1]
	v_mov_b32_e32 v3, v11
	v_pk_add_f32 v[160:161], v[160:161], v[184:185] neg_lo:[0,1] neg_hi:[0,1]
	v_pk_mul_f32 v[10:11], v[188:189], v[180:181] op_sel:[0,1]
	v_pk_mul_f32 v[184:185], v[192:193], v[180:181] op_sel:[0,1]
	v_mul_f32_e32 v180, v191, v181
	v_pk_add_f32 v[164:165], v[164:165], v[2:3] neg_lo:[0,1] neg_hi:[0,1]
	s_delay_alu instid0(VALU_DEP_4)
	v_pk_fma_f32 v[186:187], v[188:189], v[0:1], v[10:11] op_sel:[0,0,1] op_sel_hi:[1,0,0]
	v_mov_b32_e32 v9, v183
	v_pk_fma_f32 v[182:183], v[190:191], v[76:77], v[182:183] op_sel:[1,0,0] op_sel_hi:[0,1,0]
	v_pk_fma_f32 v[10:11], v[188:189], v[0:1], v[10:11] op_sel:[0,0,1] op_sel_hi:[1,1,0] neg_lo:[0,0,1] neg_hi:[0,0,1]
	v_pk_fma_f32 v[188:189], v[192:193], v[0:1], v[184:185] op_sel:[0,0,1] op_sel_hi:[1,0,0]
	v_pk_fma_f32 v[180:181], v[190:191], v[76:77], v[180:181] op_sel_hi:[1,1,0] neg_lo:[0,0,1] neg_hi:[0,0,1]
	v_pk_fma_f32 v[0:1], v[192:193], v[0:1], v[184:185] op_sel:[0,0,1] op_sel_hi:[1,1,0] neg_lo:[0,0,1] neg_hi:[0,0,1]
	v_dual_mov_b32 v11, v187 :: v_dual_mov_b32 v181, v183
	s_delay_alu instid0(VALU_DEP_4) | instskip(SKIP_1) | instid1(VALU_DEP_3)
	v_mov_b32_e32 v1, v189
	v_pk_add_f32 v[158:159], v[158:159], v[8:9] neg_lo:[0,1] neg_hi:[0,1]
	v_pk_add_f32 v[162:163], v[162:163], v[10:11] neg_lo:[0,1] neg_hi:[0,1]
	s_delay_alu instid0(VALU_DEP_4) | instskip(NEXT) | instid1(VALU_DEP_4)
	v_pk_add_f32 v[168:169], v[168:169], v[180:181] neg_lo:[0,1] neg_hi:[0,1]
	v_pk_add_f32 v[170:171], v[170:171], v[0:1] neg_lo:[0,1] neg_hi:[0,1]
.LBB85_28:
	s_or_b32 exec_lo, exec_lo, s1
	s_delay_alu instid0(SALU_CYCLE_1)
	s_mov_b32 s2, exec_lo
	s_wait_dscnt 0x0
	s_barrier_signal -1
	s_barrier_wait -1
	v_cmpx_eq_u32_e32 3, v32
	s_cbranch_execz .LBB85_35
; %bb.29:
	v_dual_mov_b32 v0, v50 :: v_dual_mov_b32 v1, v51
	v_dual_mov_b32 v2, v48 :: v_dual_mov_b32 v3, v49
	;; [unrolled: 1-line block ×4, first 2 shown]
	ds_store_b64 v33, v[74:75]
	ds_store_2addr_b64 v6, v[0:1], v[2:3] offset0:4 offset1:5
	ds_store_2addr_b64 v6, v[8:9], v[10:11] offset0:6 offset1:7
	v_dual_mov_b32 v0, v72 :: v_dual_mov_b32 v1, v73
	v_dual_mov_b32 v2, v68 :: v_dual_mov_b32 v3, v69
	;; [unrolled: 1-line block ×12, first 2 shown]
	ds_store_2addr_b64 v6, v[0:1], v[2:3] offset0:8 offset1:9
	ds_store_2addr_b64 v6, v[8:9], v[10:11] offset0:10 offset1:11
	;; [unrolled: 1-line block ×6, first 2 shown]
	v_dual_mov_b32 v0, v84 :: v_dual_mov_b32 v1, v85
	v_dual_mov_b32 v2, v80 :: v_dual_mov_b32 v3, v81
	;; [unrolled: 1-line block ×12, first 2 shown]
	ds_store_2addr_b64 v6, v[0:1], v[2:3] offset0:20 offset1:21
	ds_store_2addr_b64 v6, v[8:9], v[10:11] offset0:22 offset1:23
	;; [unrolled: 1-line block ×6, first 2 shown]
	v_dual_mov_b32 v0, v146 :: v_dual_mov_b32 v1, v147
	v_dual_mov_b32 v2, v142 :: v_dual_mov_b32 v3, v143
	v_dual_mov_b32 v8, v144 :: v_dual_mov_b32 v9, v145
	v_dual_mov_b32 v10, v140 :: v_dual_mov_b32 v11, v141
	v_dual_mov_b32 v180, v166 :: v_dual_mov_b32 v181, v167
	v_dual_mov_b32 v182, v160 :: v_dual_mov_b32 v183, v161
	v_dual_mov_b32 v184, v164 :: v_dual_mov_b32 v185, v165
	v_dual_mov_b32 v186, v158 :: v_dual_mov_b32 v187, v159
	v_dual_mov_b32 v188, v162 :: v_dual_mov_b32 v189, v163
	v_dual_mov_b32 v190, v168 :: v_dual_mov_b32 v191, v169
	ds_store_2addr_b64 v6, v[0:1], v[2:3] offset0:32 offset1:33
	ds_store_2addr_b64 v6, v[8:9], v[10:11] offset0:34 offset1:35
	ds_store_2addr_b64 v6, v[180:181], v[182:183] offset0:36 offset1:37
	ds_store_2addr_b64 v6, v[184:185], v[186:187] offset0:38 offset1:39
	ds_store_2addr_b64 v6, v[188:189], v[190:191] offset0:40 offset1:41
	ds_store_b64 v6, v[170:171] offset:336
	ds_load_b64 v[0:1], v33
	s_wait_dscnt 0x0
	v_cmp_neq_f32_e32 vcc_lo, 0, v0
	v_cmp_neq_f32_e64 s1, 0, v1
	s_or_b32 s1, vcc_lo, s1
	s_delay_alu instid0(SALU_CYCLE_1)
	s_and_b32 exec_lo, exec_lo, s1
	s_cbranch_execz .LBB85_35
; %bb.30:
	v_cmp_ngt_f32_e64 s1, |v0|, |v1|
                                        ; implicit-def: $vgpr2_vgpr3
	s_and_saveexec_b32 s4, s1
	s_delay_alu instid0(SALU_CYCLE_1)
	s_xor_b32 s1, exec_lo, s4
	s_cbranch_execz .LBB85_32
; %bb.31:
	v_div_scale_f32 v2, null, v1, v1, v0
	v_div_scale_f32 v8, vcc_lo, v0, v1, v0
	s_delay_alu instid0(VALU_DEP_2) | instskip(SKIP_1) | instid1(TRANS32_DEP_1)
	v_rcp_f32_e32 v3, v2
	v_nop
	v_fma_f32 v7, -v2, v3, 1.0
	s_delay_alu instid0(VALU_DEP_1) | instskip(NEXT) | instid1(VALU_DEP_1)
	v_fmac_f32_e32 v3, v7, v3
	v_mul_f32_e32 v7, v8, v3
	s_delay_alu instid0(VALU_DEP_1) | instskip(NEXT) | instid1(VALU_DEP_1)
	v_fma_f32 v9, -v2, v7, v8
	v_fmac_f32_e32 v7, v9, v3
	s_delay_alu instid0(VALU_DEP_1) | instskip(NEXT) | instid1(VALU_DEP_1)
	v_fma_f32 v2, -v2, v7, v8
	v_div_fmas_f32 v2, v2, v3, v7
	s_delay_alu instid0(VALU_DEP_1) | instskip(NEXT) | instid1(VALU_DEP_1)
	v_div_fixup_f32 v2, v2, v1, v0
	v_fmac_f32_e32 v1, v0, v2
	s_delay_alu instid0(VALU_DEP_1) | instskip(SKIP_1) | instid1(VALU_DEP_2)
	v_div_scale_f32 v0, null, v1, v1, 1.0
	v_div_scale_f32 v8, vcc_lo, 1.0, v1, 1.0
	v_rcp_f32_e32 v3, v0
	v_nop
	s_delay_alu instid0(TRANS32_DEP_1) | instskip(NEXT) | instid1(VALU_DEP_1)
	v_fma_f32 v7, -v0, v3, 1.0
	v_fmac_f32_e32 v3, v7, v3
	s_delay_alu instid0(VALU_DEP_1) | instskip(NEXT) | instid1(VALU_DEP_1)
	v_mul_f32_e32 v7, v8, v3
	v_fma_f32 v9, -v0, v7, v8
	s_delay_alu instid0(VALU_DEP_1) | instskip(NEXT) | instid1(VALU_DEP_1)
	v_fmac_f32_e32 v7, v9, v3
	v_fma_f32 v0, -v0, v7, v8
	s_delay_alu instid0(VALU_DEP_1) | instskip(NEXT) | instid1(VALU_DEP_1)
	v_div_fmas_f32 v0, v0, v3, v7
	v_div_fixup_f32 v0, v0, v1, 1.0
	s_delay_alu instid0(VALU_DEP_1)
	v_mul_f32_e32 v2, v2, v0
	v_xor_b32_e32 v3, 0x80000000, v0
                                        ; implicit-def: $vgpr0_vgpr1
.LBB85_32:
	s_and_not1_saveexec_b32 s1, s1
	s_cbranch_execz .LBB85_34
; %bb.33:
	v_div_scale_f32 v2, null, v0, v0, v1
	v_div_scale_f32 v8, vcc_lo, v1, v0, v1
	s_delay_alu instid0(VALU_DEP_2) | instskip(SKIP_1) | instid1(TRANS32_DEP_1)
	v_rcp_f32_e32 v3, v2
	v_nop
	v_fma_f32 v7, -v2, v3, 1.0
	s_delay_alu instid0(VALU_DEP_1) | instskip(NEXT) | instid1(VALU_DEP_1)
	v_fmac_f32_e32 v3, v7, v3
	v_mul_f32_e32 v7, v8, v3
	s_delay_alu instid0(VALU_DEP_1) | instskip(NEXT) | instid1(VALU_DEP_1)
	v_fma_f32 v9, -v2, v7, v8
	v_fmac_f32_e32 v7, v9, v3
	s_delay_alu instid0(VALU_DEP_1) | instskip(NEXT) | instid1(VALU_DEP_1)
	v_fma_f32 v2, -v2, v7, v8
	v_div_fmas_f32 v2, v2, v3, v7
	s_delay_alu instid0(VALU_DEP_1) | instskip(NEXT) | instid1(VALU_DEP_1)
	v_div_fixup_f32 v3, v2, v0, v1
	v_fmac_f32_e32 v0, v1, v3
	s_delay_alu instid0(VALU_DEP_1) | instskip(NEXT) | instid1(VALU_DEP_1)
	v_div_scale_f32 v1, null, v0, v0, 1.0
	v_rcp_f32_e32 v2, v1
	v_nop
	s_delay_alu instid0(TRANS32_DEP_1) | instskip(NEXT) | instid1(VALU_DEP_1)
	v_fma_f32 v7, -v1, v2, 1.0
	v_fmac_f32_e32 v2, v7, v2
	v_div_scale_f32 v7, vcc_lo, 1.0, v0, 1.0
	s_delay_alu instid0(VALU_DEP_1) | instskip(NEXT) | instid1(VALU_DEP_1)
	v_mul_f32_e32 v8, v7, v2
	v_fma_f32 v9, -v1, v8, v7
	s_delay_alu instid0(VALU_DEP_1) | instskip(NEXT) | instid1(VALU_DEP_1)
	v_fmac_f32_e32 v8, v9, v2
	v_fma_f32 v1, -v1, v8, v7
	s_delay_alu instid0(VALU_DEP_1) | instskip(NEXT) | instid1(VALU_DEP_1)
	v_div_fmas_f32 v1, v1, v2, v8
	v_div_fixup_f32 v2, v1, v0, 1.0
	s_delay_alu instid0(VALU_DEP_1)
	v_mul_f32_e64 v3, v3, -v2
.LBB85_34:
	s_or_b32 exec_lo, exec_lo, s1
	ds_store_b64 v33, v[2:3]
.LBB85_35:
	s_or_b32 exec_lo, exec_lo, s2
	s_wait_dscnt 0x0
	s_barrier_signal -1
	s_barrier_wait -1
	ds_load_b64 v[180:181], v33
	s_mov_b32 s1, exec_lo
	v_cmpx_lt_u32_e32 3, v32
	s_cbranch_execz .LBB85_37
; %bb.36:
	ds_load_2addr_b64 v[182:185], v6 offset0:4 offset1:5
	ds_load_2addr_b64 v[186:189], v6 offset0:6 offset1:7
	;; [unrolled: 1-line block ×3, first 2 shown]
	s_wait_dscnt 0x3
	v_pk_mul_f32 v[2:3], v[180:181], v[74:75] op_sel:[1,1] op_sel_hi:[0,1]
	ds_load_2addr_b64 v[194:197], v6 offset0:10 offset1:11
	ds_load_2addr_b64 v[198:201], v6 offset0:12 offset1:13
	v_pk_fma_f32 v[0:1], v[180:181], v[74:75], v[2:3] op_sel_hi:[1,0,1] neg_lo:[0,0,1] neg_hi:[0,0,1]
	v_pk_fma_f32 v[2:3], v[180:181], v[74:75], v[2:3] op_sel_hi:[1,0,1]
	s_delay_alu instid0(VALU_DEP_1) | instskip(SKIP_1) | instid1(VALU_DEP_2)
	v_dual_mov_b32 v74, v0 :: v_dual_mov_b32 v75, v3
	s_wait_dscnt 0x4
	v_pk_mul_f32 v[8:9], v[182:183], v[2:3] op_sel:[0,1]
	v_pk_mul_f32 v[10:11], v[184:185], v[2:3] op_sel:[0,1]
	s_wait_dscnt 0x3
	v_pk_mul_f32 v[202:203], v[186:187], v[2:3] op_sel:[0,1]
	v_dual_mov_b32 v204, v189 :: v_dual_mov_b32 v205, v188
	v_dual_mul_f32 v206, v189, v3 :: v_dual_mul_f32 v208, v189, v0
	v_pk_fma_f32 v[214:215], v[182:183], v[0:1], v[8:9] op_sel:[0,0,1] op_sel_hi:[1,1,0] neg_lo:[0,0,1] neg_hi:[0,0,1]
	v_pk_fma_f32 v[8:9], v[182:183], v[0:1], v[8:9] op_sel:[0,0,1] op_sel_hi:[1,0,0]
	v_pk_fma_f32 v[182:183], v[184:185], v[0:1], v[10:11] op_sel:[0,0,1] op_sel_hi:[1,1,0] neg_lo:[0,0,1] neg_hi:[0,0,1]
	v_pk_fma_f32 v[10:11], v[184:185], v[0:1], v[10:11] op_sel:[0,0,1] op_sel_hi:[1,0,0]
	;; [unrolled: 2-line block ×3, first 2 shown]
	v_pk_fma_f32 v[202:203], v[204:205], v[74:75], v[208:209] op_sel_hi:[1,1,0]
	s_wait_dscnt 0x2
	v_pk_mul_f32 v[210:211], v[190:191], v[2:3] op_sel:[0,1]
	v_pk_fma_f32 v[188:189], v[188:189], v[74:75], v[206:207] op_sel_hi:[1,1,0] neg_lo:[0,0,1] neg_hi:[0,0,1]
	v_pk_mul_f32 v[212:213], v[192:193], v[2:3] op_sel:[0,1]
	v_dual_mov_b32 v185, v187 :: v_dual_mov_b32 v189, v203
	v_dual_mov_b32 v215, v9 :: v_dual_mov_b32 v183, v11
	v_pk_fma_f32 v[8:9], v[190:191], v[0:1], v[210:211] op_sel:[0,0,1] op_sel_hi:[1,0,0]
	s_delay_alu instid0(VALU_DEP_3) | instskip(NEXT) | instid1(VALU_DEP_4)
	v_pk_add_f32 v[28:29], v[28:29], v[184:185] neg_lo:[0,1] neg_hi:[0,1]
	v_pk_add_f32 v[46:47], v[46:47], v[188:189] neg_lo:[0,1] neg_hi:[0,1]
	s_wait_dscnt 0x1
	v_pk_mul_f32 v[188:189], v[194:195], v[2:3] op_sel:[0,1]
	v_pk_add_f32 v[48:49], v[48:49], v[182:183] neg_lo:[0,1] neg_hi:[0,1]
	v_pk_fma_f32 v[186:187], v[192:193], v[0:1], v[212:213] op_sel:[0,0,1] op_sel_hi:[1,0,0]
	ds_load_2addr_b64 v[182:185], v6 offset0:14 offset1:15
	v_pk_fma_f32 v[10:11], v[190:191], v[0:1], v[210:211] op_sel:[0,0,1] op_sel_hi:[1,1,0] neg_lo:[0,0,1] neg_hi:[0,0,1]
	v_mov_b32_e32 v11, v9
	v_pk_fma_f32 v[8:9], v[192:193], v[0:1], v[212:213] op_sel:[0,0,1] op_sel_hi:[1,1,0] neg_lo:[0,0,1] neg_hi:[0,0,1]
	v_pk_fma_f32 v[192:193], v[194:195], v[0:1], v[188:189] op_sel:[0,0,1] op_sel_hi:[1,0,0]
	v_pk_mul_f32 v[190:191], v[196:197], v[2:3] op_sel:[0,1]
	v_mov_b32_e32 v9, v187
	v_pk_add_f32 v[72:73], v[72:73], v[10:11] neg_lo:[0,1] neg_hi:[0,1]
	v_pk_fma_f32 v[10:11], v[194:195], v[0:1], v[188:189] op_sel:[0,0,1] op_sel_hi:[1,1,0] neg_lo:[0,0,1] neg_hi:[0,0,1]
	v_mov_b32_e32 v11, v193
	v_pk_fma_f32 v[186:187], v[196:197], v[0:1], v[190:191] op_sel:[0,0,1] op_sel_hi:[1,0,0]
	v_pk_add_f32 v[68:69], v[68:69], v[8:9] neg_lo:[0,1] neg_hi:[0,1]
	v_pk_fma_f32 v[8:9], v[196:197], v[0:1], v[190:191] op_sel:[0,0,1] op_sel_hi:[1,1,0] neg_lo:[0,0,1] neg_hi:[0,0,1]
	s_wait_dscnt 0x1
	v_mul_f32_e32 v190, v199, v0
	v_pk_add_f32 v[70:71], v[70:71], v[10:11] neg_lo:[0,1] neg_hi:[0,1]
	v_mul_f32_e32 v10, v199, v3
	v_pk_add_f32 v[50:51], v[50:51], v[214:215] neg_lo:[0,1] neg_hi:[0,1]
	s_delay_alu instid0(VALU_DEP_4)
	v_pk_fma_f32 v[190:191], v[198:199], v[74:75], v[190:191] op_sel:[1,0,0] op_sel_hi:[0,1,0]
	v_mov_b32_e32 v9, v187
	ds_load_2addr_b64 v[186:189], v6 offset0:16 offset1:17
	v_pk_fma_f32 v[10:11], v[198:199], v[74:75], v[10:11] op_sel_hi:[1,1,0] neg_lo:[0,0,1] neg_hi:[0,0,1]
	s_wait_dscnt 0x1
	v_pk_mul_f32 v[194:195], v[182:183], v[2:3] op_sel:[0,1]
	v_mov_b32_e32 v11, v191
	v_pk_add_f32 v[66:67], v[66:67], v[8:9] neg_lo:[0,1] neg_hi:[0,1]
	v_pk_mul_f32 v[8:9], v[200:201], v[2:3] op_sel:[0,1]
	v_pk_mul_f32 v[196:197], v[184:185], v[2:3] op_sel:[0,1]
	ds_load_2addr_b64 v[190:193], v6 offset0:18 offset1:19
	v_pk_fma_f32 v[202:203], v[182:183], v[0:1], v[194:195] op_sel:[0,0,1] op_sel_hi:[1,0,0]
	v_pk_fma_f32 v[182:183], v[182:183], v[0:1], v[194:195] op_sel:[0,0,1] op_sel_hi:[1,1,0] neg_lo:[0,0,1] neg_hi:[0,0,1]
	v_pk_fma_f32 v[198:199], v[200:201], v[0:1], v[8:9] op_sel:[0,0,1] op_sel_hi:[1,0,0]
	v_pk_fma_f32 v[8:9], v[200:201], v[0:1], v[8:9] op_sel:[0,0,1] op_sel_hi:[1,1,0] neg_lo:[0,0,1] neg_hi:[0,0,1]
	;; [unrolled: 2-line block ×3, first 2 shown]
	s_delay_alu instid0(VALU_DEP_4) | instskip(SKIP_1) | instid1(VALU_DEP_4)
	v_dual_mov_b32 v183, v203 :: v_dual_mov_b32 v9, v199
	v_pk_add_f32 v[64:65], v[64:65], v[10:11] neg_lo:[0,1] neg_hi:[0,1]
	v_mov_b32_e32 v185, v201
	ds_load_2addr_b64 v[194:197], v6 offset0:22 offset1:23
	v_pk_add_f32 v[98:99], v[98:99], v[182:183] neg_lo:[0,1] neg_hi:[0,1]
	s_wait_dscnt 0x2
	v_pk_mul_f32 v[10:11], v[186:187], v[2:3] op_sel:[0,1]
	v_pk_add_f32 v[96:97], v[96:97], v[8:9] neg_lo:[0,1] neg_hi:[0,1]
	v_pk_add_f32 v[94:95], v[94:95], v[184:185] neg_lo:[0,1] neg_hi:[0,1]
	ds_load_2addr_b64 v[182:185], v6 offset0:20 offset1:21
	v_mul_f32_e32 v198, v189, v3
	v_pk_fma_f32 v[8:9], v[186:187], v[0:1], v[10:11] op_sel:[0,0,1] op_sel_hi:[1,1,0] neg_lo:[0,0,1] neg_hi:[0,0,1]
	v_pk_fma_f32 v[10:11], v[186:187], v[0:1], v[10:11] op_sel:[0,0,1] op_sel_hi:[1,0,0]
	v_dual_mov_b32 v186, v189 :: v_dual_mov_b32 v187, v188
	v_mul_f32_e32 v10, v189, v0
	s_wait_dscnt 0x2
	v_pk_mul_f32 v[200:201], v[190:191], v[2:3] op_sel:[0,1]
	v_pk_mul_f32 v[202:203], v[192:193], v[2:3] op_sel:[0,1]
	v_pk_fma_f32 v[188:189], v[188:189], v[74:75], v[198:199] op_sel_hi:[1,1,0] neg_lo:[0,0,1] neg_hi:[0,0,1]
	v_pk_fma_f32 v[186:187], v[186:187], v[74:75], v[10:11] op_sel_hi:[1,1,0]
	v_mov_b32_e32 v9, v11
	v_pk_fma_f32 v[10:11], v[190:191], v[0:1], v[200:201] op_sel:[0,0,1] op_sel_hi:[1,0,0]
	v_pk_fma_f32 v[198:199], v[192:193], v[0:1], v[202:203] op_sel:[0,0,1] op_sel_hi:[1,0,0]
	s_delay_alu instid0(VALU_DEP_4) | instskip(SKIP_1) | instid1(VALU_DEP_4)
	v_mov_b32_e32 v189, v187
	v_pk_fma_f32 v[186:187], v[190:191], v[0:1], v[200:201] op_sel:[0,0,1] op_sel_hi:[1,1,0] neg_lo:[0,0,1] neg_hi:[0,0,1]
	v_mov_b32_e32 v187, v11
	v_pk_fma_f32 v[10:11], v[192:193], v[0:1], v[202:203] op_sel:[0,0,1] op_sel_hi:[1,1,0] neg_lo:[0,0,1] neg_hi:[0,0,1]
	v_mov_b32_e32 v11, v199
	s_wait_dscnt 0x0
	v_pk_mul_f32 v[190:191], v[182:183], v[2:3] op_sel:[0,1]
	v_pk_add_f32 v[116:117], v[116:117], v[188:189] neg_lo:[0,1] neg_hi:[0,1]
	v_pk_add_f32 v[118:119], v[118:119], v[186:187] neg_lo:[0,1] neg_hi:[0,1]
	ds_load_2addr_b64 v[186:189], v6 offset0:24 offset1:25
	v_pk_add_f32 v[120:121], v[120:121], v[8:9] neg_lo:[0,1] neg_hi:[0,1]
	v_pk_add_f32 v[54:55], v[54:55], v[10:11] neg_lo:[0,1] neg_hi:[0,1]
	v_pk_fma_f32 v[8:9], v[182:183], v[0:1], v[190:191] op_sel:[0,0,1] op_sel_hi:[1,0,0]
	v_pk_fma_f32 v[10:11], v[182:183], v[0:1], v[190:191] op_sel:[0,0,1] op_sel_hi:[1,1,0] neg_lo:[0,0,1] neg_hi:[0,0,1]
	ds_load_2addr_b64 v[190:193], v6 offset0:26 offset1:27
	v_pk_mul_f32 v[182:183], v[184:185], v[2:3] op_sel:[0,1]
	v_dual_mul_f32 v8, v195, v0 :: v_dual_mov_b32 v11, v9
	v_pk_mul_f32 v[198:199], v[196:197], v[2:3] op_sel:[0,1]
	s_delay_alu instid0(VALU_DEP_3) | instskip(SKIP_1) | instid1(VALU_DEP_4)
	v_pk_fma_f32 v[200:201], v[184:185], v[0:1], v[182:183] op_sel:[0,0,1] op_sel_hi:[1,0,0]
	v_mul_f32_e32 v200, v195, v3
	v_pk_fma_f32 v[8:9], v[194:195], v[74:75], v[8:9] op_sel:[1,0,0] op_sel_hi:[0,1,0]
	v_pk_fma_f32 v[182:183], v[184:185], v[0:1], v[182:183] op_sel:[0,0,1] op_sel_hi:[1,1,0] neg_lo:[0,0,1] neg_hi:[0,0,1]
	v_pk_fma_f32 v[184:185], v[196:197], v[0:1], v[198:199] op_sel:[0,0,1] op_sel_hi:[1,0,0]
	v_mov_b32_e32 v183, v201
	v_pk_fma_f32 v[194:195], v[194:195], v[74:75], v[200:201] op_sel_hi:[1,1,0] neg_lo:[0,0,1] neg_hi:[0,0,1]
	v_mov_b32_e32 v195, v9
	v_pk_fma_f32 v[8:9], v[196:197], v[0:1], v[198:199] op_sel:[0,0,1] op_sel_hi:[1,1,0] neg_lo:[0,0,1] neg_hi:[0,0,1]
	v_mov_b32_e32 v9, v185
	v_pk_add_f32 v[84:85], v[84:85], v[10:11] neg_lo:[0,1] neg_hi:[0,1]
	s_wait_dscnt 0x1
	v_pk_mul_f32 v[10:11], v[186:187], v[2:3] op_sel:[0,1]
	v_pk_add_f32 v[80:81], v[80:81], v[182:183] neg_lo:[0,1] neg_hi:[0,1]
	ds_load_2addr_b64 v[182:185], v6 offset0:28 offset1:29
	v_pk_add_f32 v[78:79], v[78:79], v[8:9] neg_lo:[0,1] neg_hi:[0,1]
	v_pk_mul_f32 v[8:9], v[188:189], v[2:3] op_sel:[0,1]
	s_wait_dscnt 0x1
	v_pk_mul_f32 v[198:199], v[190:191], v[2:3] op_sel:[0,1]
	v_pk_add_f32 v[82:83], v[82:83], v[194:195] neg_lo:[0,1] neg_hi:[0,1]
	ds_load_2addr_b64 v[194:197], v6 offset0:30 offset1:31
	v_pk_fma_f32 v[200:201], v[186:187], v[0:1], v[10:11] op_sel:[0,0,1] op_sel_hi:[1,0,0]
	v_pk_fma_f32 v[10:11], v[186:187], v[0:1], v[10:11] op_sel:[0,0,1] op_sel_hi:[1,1,0] neg_lo:[0,0,1] neg_hi:[0,0,1]
	v_pk_fma_f32 v[186:187], v[188:189], v[0:1], v[8:9] op_sel:[0,0,1] op_sel_hi:[1,0,0]
	v_pk_fma_f32 v[202:203], v[190:191], v[0:1], v[198:199] op_sel:[0,0,1] op_sel_hi:[1,0,0]
	v_pk_fma_f32 v[8:9], v[188:189], v[0:1], v[8:9] op_sel:[0,0,1] op_sel_hi:[1,1,0] neg_lo:[0,0,1] neg_hi:[0,0,1]
	v_dual_mov_b32 v11, v201 :: v_dual_mov_b32 v188, v193
	s_delay_alu instid0(VALU_DEP_4)
	v_mov_b32_e32 v9, v187
	v_pk_fma_f32 v[186:187], v[190:191], v[0:1], v[198:199] op_sel:[0,0,1] op_sel_hi:[1,1,0] neg_lo:[0,0,1] neg_hi:[0,0,1]
	v_dual_mov_b32 v187, v203 :: v_dual_mov_b32 v189, v192
	v_mul_f32_e32 v190, v193, v0
	v_pk_add_f32 v[106:107], v[106:107], v[10:11] neg_lo:[0,1] neg_hi:[0,1]
	v_pk_add_f32 v[102:103], v[102:103], v[8:9] neg_lo:[0,1] neg_hi:[0,1]
	s_delay_alu instid0(VALU_DEP_4)
	v_pk_add_f32 v[104:105], v[104:105], v[186:187] neg_lo:[0,1] neg_hi:[0,1]
	s_wait_dscnt 0x1
	v_pk_mul_f32 v[198:199], v[182:183], v[2:3] op_sel:[0,1]
	v_pk_fma_f32 v[10:11], v[188:189], v[74:75], v[190:191] op_sel_hi:[1,1,0]
	v_mul_f32_e32 v8, v193, v3
	ds_load_2addr_b64 v[186:189], v6 offset0:32 offset1:33
	v_pk_mul_f32 v[200:201], v[184:185], v[2:3] op_sel:[0,1]
	v_pk_fma_f32 v[202:203], v[182:183], v[0:1], v[198:199] op_sel:[0,0,1] op_sel_hi:[1,0,0]
	v_pk_fma_f32 v[182:183], v[182:183], v[0:1], v[198:199] op_sel:[0,0,1] op_sel_hi:[1,1,0] neg_lo:[0,0,1] neg_hi:[0,0,1]
	v_pk_fma_f32 v[8:9], v[192:193], v[74:75], v[8:9] op_sel_hi:[1,1,0] neg_lo:[0,0,1] neg_hi:[0,0,1]
	v_mov_b32_e32 v9, v11
	s_wait_dscnt 0x1
	v_pk_mul_f32 v[10:11], v[194:195], v[2:3] op_sel:[0,1]
	ds_load_2addr_b64 v[190:193], v6 offset0:34 offset1:35
	v_pk_fma_f32 v[204:205], v[184:185], v[0:1], v[200:201] op_sel:[0,0,1] op_sel_hi:[1,0,0]
	v_pk_fma_f32 v[184:185], v[184:185], v[0:1], v[200:201] op_sel:[0,0,1] op_sel_hi:[1,1,0] neg_lo:[0,0,1] neg_hi:[0,0,1]
	v_mov_b32_e32 v183, v203
	v_pk_fma_f32 v[198:199], v[194:195], v[0:1], v[10:11] op_sel:[0,0,1] op_sel_hi:[1,0,0]
	v_pk_fma_f32 v[10:11], v[194:195], v[0:1], v[10:11] op_sel:[0,0,1] op_sel_hi:[1,1,0] neg_lo:[0,0,1] neg_hi:[0,0,1]
	v_pk_mul_f32 v[194:195], v[196:197], v[2:3] op_sel:[0,1]
	v_mov_b32_e32 v185, v205
	v_pk_add_f32 v[100:101], v[100:101], v[8:9] neg_lo:[0,1] neg_hi:[0,1]
	v_pk_add_f32 v[128:129], v[128:129], v[182:183] neg_lo:[0,1] neg_hi:[0,1]
	s_delay_alu instid0(VALU_DEP_4)
	v_pk_fma_f32 v[8:9], v[196:197], v[0:1], v[194:195] op_sel:[0,0,1] op_sel_hi:[1,1,0] neg_lo:[0,0,1] neg_hi:[0,0,1]
	v_pk_fma_f32 v[194:195], v[196:197], v[0:1], v[194:195] op_sel:[0,0,1] op_sel_hi:[1,0,0]
	v_mov_b32_e32 v11, v199
	v_pk_add_f32 v[124:125], v[124:125], v[184:185] neg_lo:[0,1] neg_hi:[0,1]
	ds_load_2addr_b64 v[182:185], v6 offset0:36 offset1:37
	s_wait_dscnt 0x2
	v_mul_f32_e32 v194, v187, v3
	v_mov_b32_e32 v9, v195
	v_pk_add_f32 v[126:127], v[126:127], v[10:11] neg_lo:[0,1] neg_hi:[0,1]
	v_mul_f32_e32 v10, v187, v0
	v_pk_mul_f32 v[196:197], v[188:189], v[2:3] op_sel:[0,1]
	s_wait_dscnt 0x1
	v_pk_mul_f32 v[198:199], v[190:191], v[2:3] op_sel:[0,1]
	v_pk_fma_f32 v[194:195], v[186:187], v[74:75], v[194:195] op_sel_hi:[1,1,0] neg_lo:[0,0,1] neg_hi:[0,0,1]
	v_pk_add_f32 v[122:123], v[122:123], v[8:9] neg_lo:[0,1] neg_hi:[0,1]
	v_pk_fma_f32 v[10:11], v[186:187], v[74:75], v[10:11] op_sel:[1,0,0] op_sel_hi:[0,1,0]
	v_pk_fma_f32 v[200:201], v[188:189], v[0:1], v[196:197] op_sel:[0,0,1] op_sel_hi:[1,0,0]
	v_pk_fma_f32 v[196:197], v[188:189], v[0:1], v[196:197] op_sel:[0,0,1] op_sel_hi:[1,1,0] neg_lo:[0,0,1] neg_hi:[0,0,1]
	ds_load_2addr_b64 v[186:189], v6 offset0:38 offset1:39
	v_dual_mov_b32 v195, v11 :: v_dual_mov_b32 v197, v201
	v_pk_fma_f32 v[10:11], v[190:191], v[0:1], v[198:199] op_sel:[0,0,1] op_sel_hi:[1,0,0]
	v_pk_fma_f32 v[190:191], v[190:191], v[0:1], v[198:199] op_sel:[0,0,1] op_sel_hi:[1,1,0] neg_lo:[0,0,1] neg_hi:[0,0,1]
	ds_load_b64 v[198:199], v6 offset:336
	v_pk_add_f32 v[146:147], v[146:147], v[194:195] neg_lo:[0,1] neg_hi:[0,1]
	v_pk_add_f32 v[142:143], v[142:143], v[196:197] neg_lo:[0,1] neg_hi:[0,1]
	s_wait_dscnt 0x2
	v_dual_mov_b32 v191, v11 :: v_dual_mov_b32 v196, v185
	v_pk_mul_f32 v[10:11], v[192:193], v[2:3] op_sel:[0,1]
	v_pk_mul_f32 v[194:195], v[182:183], v[2:3] op_sel:[0,1]
	v_mov_b32_e32 v197, v184
	s_delay_alu instid0(VALU_DEP_4) | instskip(NEXT) | instid1(VALU_DEP_4)
	v_pk_add_f32 v[144:145], v[144:145], v[190:191] neg_lo:[0,1] neg_hi:[0,1]
	v_pk_fma_f32 v[8:9], v[192:193], v[0:1], v[10:11] op_sel:[0,0,1] op_sel_hi:[1,1,0] neg_lo:[0,0,1] neg_hi:[0,0,1]
	v_pk_fma_f32 v[10:11], v[192:193], v[0:1], v[10:11] op_sel:[0,0,1] op_sel_hi:[1,0,0]
	ds_load_2addr_b64 v[190:193], v6 offset0:40 offset1:41
	v_mul_f32_e32 v10, v185, v0
	v_pk_fma_f32 v[200:201], v[182:183], v[0:1], v[194:195] op_sel:[0,0,1] op_sel_hi:[1,0,0]
	v_dual_mul_f32 v200, v185, v3 :: v_dual_mov_b32 v9, v11
	v_pk_fma_f32 v[182:183], v[182:183], v[0:1], v[194:195] op_sel:[0,0,1] op_sel_hi:[1,1,0] neg_lo:[0,0,1] neg_hi:[0,0,1]
	s_delay_alu instid0(VALU_DEP_4)
	v_pk_fma_f32 v[10:11], v[196:197], v[74:75], v[10:11] op_sel_hi:[1,1,0]
	s_wait_dscnt 0x2
	v_pk_mul_f32 v[194:195], v[186:187], v[2:3] op_sel:[0,1]
	v_mov_b32_e32 v183, v201
	v_pk_fma_f32 v[184:185], v[184:185], v[74:75], v[200:201] op_sel_hi:[1,1,0] neg_lo:[0,0,1] neg_hi:[0,0,1]
	v_pk_add_f32 v[140:141], v[140:141], v[8:9] neg_lo:[0,1] neg_hi:[0,1]
	v_mov_b32_e32 v185, v11
	v_pk_fma_f32 v[8:9], v[186:187], v[0:1], v[194:195] op_sel:[0,0,1] op_sel_hi:[1,0,0]
	v_pk_mul_f32 v[10:11], v[188:189], v[2:3] op_sel:[0,1]
	v_pk_add_f32 v[166:167], v[166:167], v[182:183] neg_lo:[0,1] neg_hi:[0,1]
	v_pk_fma_f32 v[182:183], v[186:187], v[0:1], v[194:195] op_sel:[0,0,1] op_sel_hi:[1,1,0] neg_lo:[0,0,1] neg_hi:[0,0,1]
	v_pk_add_f32 v[160:161], v[160:161], v[184:185] neg_lo:[0,1] neg_hi:[0,1]
	s_delay_alu instid0(VALU_DEP_4)
	v_pk_fma_f32 v[184:185], v[188:189], v[0:1], v[10:11] op_sel:[0,0,1] op_sel_hi:[1,0,0]
	v_mov_b32_e32 v183, v9
	s_wait_dscnt 0x0
	v_pk_mul_f32 v[8:9], v[190:191], v[2:3] op_sel:[0,1]
	v_pk_mul_f32 v[186:187], v[192:193], v[2:3] op_sel:[0,1]
	;; [unrolled: 1-line block ×3, first 2 shown]
	v_pk_fma_f32 v[10:11], v[188:189], v[0:1], v[10:11] op_sel:[0,0,1] op_sel_hi:[1,1,0] neg_lo:[0,0,1] neg_hi:[0,0,1]
	v_mov_b32_e32 v11, v185
	v_pk_fma_f32 v[188:189], v[190:191], v[0:1], v[8:9] op_sel:[0,0,1] op_sel_hi:[1,0,0]
	v_pk_fma_f32 v[184:185], v[192:193], v[0:1], v[186:187] op_sel:[0,0,1] op_sel_hi:[1,0,0]
	v_pk_fma_f32 v[8:9], v[190:191], v[0:1], v[8:9] op_sel:[0,0,1] op_sel_hi:[1,1,0] neg_lo:[0,0,1] neg_hi:[0,0,1]
	v_pk_fma_f32 v[190:191], v[198:199], v[0:1], v[2:3] op_sel:[0,0,1] op_sel_hi:[1,0,0]
	v_pk_fma_f32 v[186:187], v[192:193], v[0:1], v[186:187] op_sel:[0,0,1] op_sel_hi:[1,1,0] neg_lo:[0,0,1] neg_hi:[0,0,1]
	v_pk_fma_f32 v[0:1], v[198:199], v[0:1], v[2:3] op_sel:[0,0,1] op_sel_hi:[1,1,0] neg_lo:[0,0,1] neg_hi:[0,0,1]
	v_dual_mov_b32 v9, v189 :: v_dual_mov_b32 v187, v185
	s_delay_alu instid0(VALU_DEP_4) | instskip(SKIP_2) | instid1(VALU_DEP_4)
	v_mov_b32_e32 v1, v191
	v_pk_add_f32 v[164:165], v[164:165], v[182:183] neg_lo:[0,1] neg_hi:[0,1]
	v_pk_add_f32 v[158:159], v[158:159], v[10:11] neg_lo:[0,1] neg_hi:[0,1]
	;; [unrolled: 1-line block ×5, first 2 shown]
.LBB85_37:
	s_or_b32 exec_lo, exec_lo, s1
	s_delay_alu instid0(SALU_CYCLE_1)
	s_mov_b32 s2, exec_lo
	s_wait_dscnt 0x0
	s_barrier_signal -1
	s_barrier_wait -1
	v_cmpx_eq_u32_e32 4, v32
	s_cbranch_execz .LBB85_44
; %bb.38:
	ds_store_b64 v33, v[50:51]
	ds_store_2addr_b64 v6, v[48:49], v[28:29] offset0:5 offset1:6
	ds_store_2addr_b64 v6, v[46:47], v[72:73] offset0:7 offset1:8
	;; [unrolled: 1-line block ×19, first 2 shown]
	ds_load_b64 v[0:1], v33
	s_wait_dscnt 0x0
	v_cmp_neq_f32_e32 vcc_lo, 0, v0
	v_cmp_neq_f32_e64 s1, 0, v1
	s_or_b32 s1, vcc_lo, s1
	s_delay_alu instid0(SALU_CYCLE_1)
	s_and_b32 exec_lo, exec_lo, s1
	s_cbranch_execz .LBB85_44
; %bb.39:
	v_cmp_ngt_f32_e64 s1, |v0|, |v1|
                                        ; implicit-def: $vgpr2_vgpr3
	s_and_saveexec_b32 s4, s1
	s_delay_alu instid0(SALU_CYCLE_1)
	s_xor_b32 s1, exec_lo, s4
	s_cbranch_execz .LBB85_41
; %bb.40:
	v_div_scale_f32 v2, null, v1, v1, v0
	v_div_scale_f32 v8, vcc_lo, v0, v1, v0
	s_delay_alu instid0(VALU_DEP_2) | instskip(SKIP_1) | instid1(TRANS32_DEP_1)
	v_rcp_f32_e32 v3, v2
	v_nop
	v_fma_f32 v7, -v2, v3, 1.0
	s_delay_alu instid0(VALU_DEP_1) | instskip(NEXT) | instid1(VALU_DEP_1)
	v_fmac_f32_e32 v3, v7, v3
	v_mul_f32_e32 v7, v8, v3
	s_delay_alu instid0(VALU_DEP_1) | instskip(NEXT) | instid1(VALU_DEP_1)
	v_fma_f32 v9, -v2, v7, v8
	v_fmac_f32_e32 v7, v9, v3
	s_delay_alu instid0(VALU_DEP_1) | instskip(NEXT) | instid1(VALU_DEP_1)
	v_fma_f32 v2, -v2, v7, v8
	v_div_fmas_f32 v2, v2, v3, v7
	s_delay_alu instid0(VALU_DEP_1) | instskip(NEXT) | instid1(VALU_DEP_1)
	v_div_fixup_f32 v2, v2, v1, v0
	v_fmac_f32_e32 v1, v0, v2
	s_delay_alu instid0(VALU_DEP_1) | instskip(SKIP_1) | instid1(VALU_DEP_2)
	v_div_scale_f32 v0, null, v1, v1, 1.0
	v_div_scale_f32 v8, vcc_lo, 1.0, v1, 1.0
	v_rcp_f32_e32 v3, v0
	v_nop
	s_delay_alu instid0(TRANS32_DEP_1) | instskip(NEXT) | instid1(VALU_DEP_1)
	v_fma_f32 v7, -v0, v3, 1.0
	v_fmac_f32_e32 v3, v7, v3
	s_delay_alu instid0(VALU_DEP_1) | instskip(NEXT) | instid1(VALU_DEP_1)
	v_mul_f32_e32 v7, v8, v3
	v_fma_f32 v9, -v0, v7, v8
	s_delay_alu instid0(VALU_DEP_1) | instskip(NEXT) | instid1(VALU_DEP_1)
	v_fmac_f32_e32 v7, v9, v3
	v_fma_f32 v0, -v0, v7, v8
	s_delay_alu instid0(VALU_DEP_1) | instskip(NEXT) | instid1(VALU_DEP_1)
	v_div_fmas_f32 v0, v0, v3, v7
	v_div_fixup_f32 v0, v0, v1, 1.0
	s_delay_alu instid0(VALU_DEP_1)
	v_mul_f32_e32 v2, v2, v0
	v_xor_b32_e32 v3, 0x80000000, v0
                                        ; implicit-def: $vgpr0_vgpr1
.LBB85_41:
	s_and_not1_saveexec_b32 s1, s1
	s_cbranch_execz .LBB85_43
; %bb.42:
	v_div_scale_f32 v2, null, v0, v0, v1
	v_div_scale_f32 v8, vcc_lo, v1, v0, v1
	s_delay_alu instid0(VALU_DEP_2) | instskip(SKIP_1) | instid1(TRANS32_DEP_1)
	v_rcp_f32_e32 v3, v2
	v_nop
	v_fma_f32 v7, -v2, v3, 1.0
	s_delay_alu instid0(VALU_DEP_1) | instskip(NEXT) | instid1(VALU_DEP_1)
	v_fmac_f32_e32 v3, v7, v3
	v_mul_f32_e32 v7, v8, v3
	s_delay_alu instid0(VALU_DEP_1) | instskip(NEXT) | instid1(VALU_DEP_1)
	v_fma_f32 v9, -v2, v7, v8
	v_fmac_f32_e32 v7, v9, v3
	s_delay_alu instid0(VALU_DEP_1) | instskip(NEXT) | instid1(VALU_DEP_1)
	v_fma_f32 v2, -v2, v7, v8
	v_div_fmas_f32 v2, v2, v3, v7
	s_delay_alu instid0(VALU_DEP_1) | instskip(NEXT) | instid1(VALU_DEP_1)
	v_div_fixup_f32 v3, v2, v0, v1
	v_fmac_f32_e32 v0, v1, v3
	s_delay_alu instid0(VALU_DEP_1) | instskip(NEXT) | instid1(VALU_DEP_1)
	v_div_scale_f32 v1, null, v0, v0, 1.0
	v_rcp_f32_e32 v2, v1
	v_nop
	s_delay_alu instid0(TRANS32_DEP_1) | instskip(NEXT) | instid1(VALU_DEP_1)
	v_fma_f32 v7, -v1, v2, 1.0
	v_fmac_f32_e32 v2, v7, v2
	v_div_scale_f32 v7, vcc_lo, 1.0, v0, 1.0
	s_delay_alu instid0(VALU_DEP_1) | instskip(NEXT) | instid1(VALU_DEP_1)
	v_mul_f32_e32 v8, v7, v2
	v_fma_f32 v9, -v1, v8, v7
	s_delay_alu instid0(VALU_DEP_1) | instskip(NEXT) | instid1(VALU_DEP_1)
	v_fmac_f32_e32 v8, v9, v2
	v_fma_f32 v1, -v1, v8, v7
	s_delay_alu instid0(VALU_DEP_1) | instskip(NEXT) | instid1(VALU_DEP_1)
	v_div_fmas_f32 v1, v1, v2, v8
	v_div_fixup_f32 v2, v1, v0, 1.0
	s_delay_alu instid0(VALU_DEP_1)
	v_mul_f32_e64 v3, v3, -v2
.LBB85_43:
	s_or_b32 exec_lo, exec_lo, s1
	ds_store_b64 v33, v[2:3]
.LBB85_44:
	s_or_b32 exec_lo, exec_lo, s2
	s_wait_dscnt 0x0
	s_barrier_signal -1
	s_barrier_wait -1
	ds_load_b64 v[182:183], v33
	s_mov_b32 s1, exec_lo
	v_cmpx_lt_u32_e32 4, v32
	s_cbranch_execz .LBB85_46
; %bb.45:
	ds_load_2addr_b64 v[184:187], v6 offset0:5 offset1:6
	ds_load_2addr_b64 v[188:191], v6 offset0:7 offset1:8
	ds_load_2addr_b64 v[192:195], v6 offset0:9 offset1:10
	s_wait_dscnt 0x3
	v_pk_mul_f32 v[2:3], v[182:183], v[50:51] op_sel:[1,1] op_sel_hi:[0,1]
	ds_load_2addr_b64 v[196:199], v6 offset0:11 offset1:12
	ds_load_2addr_b64 v[200:203], v6 offset0:13 offset1:14
	v_pk_fma_f32 v[0:1], v[182:183], v[50:51], v[2:3] op_sel_hi:[1,0,1] neg_lo:[0,0,1] neg_hi:[0,0,1]
	v_pk_fma_f32 v[2:3], v[182:183], v[50:51], v[2:3] op_sel_hi:[1,0,1]
	s_delay_alu instid0(VALU_DEP_1) | instskip(SKIP_1) | instid1(VALU_DEP_2)
	v_dual_mov_b32 v50, v0 :: v_dual_mov_b32 v51, v3
	s_wait_dscnt 0x4
	v_pk_mul_f32 v[8:9], v[184:185], v[2:3] op_sel:[0,1]
	v_pk_mul_f32 v[10:11], v[186:187], v[2:3] op_sel:[0,1]
	s_wait_dscnt 0x3
	v_pk_mul_f32 v[204:205], v[188:189], v[2:3] op_sel:[0,1]
	v_dual_mov_b32 v206, v191 :: v_dual_mov_b32 v207, v190
	v_dual_mul_f32 v208, v191, v3 :: v_dual_mul_f32 v210, v191, v0
	v_pk_fma_f32 v[216:217], v[184:185], v[0:1], v[8:9] op_sel:[0,0,1] op_sel_hi:[1,1,0] neg_lo:[0,0,1] neg_hi:[0,0,1]
	v_pk_fma_f32 v[8:9], v[184:185], v[0:1], v[8:9] op_sel:[0,0,1] op_sel_hi:[1,0,0]
	v_pk_fma_f32 v[184:185], v[186:187], v[0:1], v[10:11] op_sel:[0,0,1] op_sel_hi:[1,1,0] neg_lo:[0,0,1] neg_hi:[0,0,1]
	v_pk_fma_f32 v[10:11], v[186:187], v[0:1], v[10:11] op_sel:[0,0,1] op_sel_hi:[1,0,0]
	;; [unrolled: 2-line block ×3, first 2 shown]
	v_pk_fma_f32 v[204:205], v[206:207], v[50:51], v[210:211] op_sel_hi:[1,1,0]
	s_wait_dscnt 0x2
	v_pk_mul_f32 v[212:213], v[192:193], v[2:3] op_sel:[0,1]
	v_pk_fma_f32 v[190:191], v[190:191], v[50:51], v[208:209] op_sel_hi:[1,1,0] neg_lo:[0,0,1] neg_hi:[0,0,1]
	v_pk_mul_f32 v[214:215], v[194:195], v[2:3] op_sel:[0,1]
	v_dual_mov_b32 v187, v189 :: v_dual_mov_b32 v191, v205
	v_dual_mov_b32 v217, v9 :: v_dual_mov_b32 v185, v11
	v_pk_fma_f32 v[8:9], v[192:193], v[0:1], v[212:213] op_sel:[0,0,1] op_sel_hi:[1,0,0]
	s_delay_alu instid0(VALU_DEP_4) | instskip(NEXT) | instid1(VALU_DEP_4)
	v_pk_fma_f32 v[188:189], v[194:195], v[0:1], v[214:215] op_sel:[0,0,1] op_sel_hi:[1,0,0]
	v_pk_add_f32 v[72:73], v[72:73], v[190:191] neg_lo:[0,1] neg_hi:[0,1]
	s_wait_dscnt 0x1
	v_pk_mul_f32 v[190:191], v[196:197], v[2:3] op_sel:[0,1]
	v_pk_add_f32 v[28:29], v[28:29], v[184:185] neg_lo:[0,1] neg_hi:[0,1]
	v_pk_add_f32 v[46:47], v[46:47], v[186:187] neg_lo:[0,1] neg_hi:[0,1]
	ds_load_2addr_b64 v[184:187], v6 offset0:15 offset1:16
	v_pk_fma_f32 v[10:11], v[192:193], v[0:1], v[212:213] op_sel:[0,0,1] op_sel_hi:[1,1,0] neg_lo:[0,0,1] neg_hi:[0,0,1]
	v_mov_b32_e32 v11, v9
	v_pk_fma_f32 v[8:9], v[194:195], v[0:1], v[214:215] op_sel:[0,0,1] op_sel_hi:[1,1,0] neg_lo:[0,0,1] neg_hi:[0,0,1]
	v_pk_mul_f32 v[192:193], v[198:199], v[2:3] op_sel:[0,1]
	v_pk_fma_f32 v[194:195], v[196:197], v[0:1], v[190:191] op_sel:[0,0,1] op_sel_hi:[1,0,0]
	v_mov_b32_e32 v9, v189
	v_pk_add_f32 v[68:69], v[68:69], v[10:11] neg_lo:[0,1] neg_hi:[0,1]
	v_pk_fma_f32 v[10:11], v[196:197], v[0:1], v[190:191] op_sel:[0,0,1] op_sel_hi:[1,1,0] neg_lo:[0,0,1] neg_hi:[0,0,1]
	v_pk_fma_f32 v[188:189], v[198:199], v[0:1], v[192:193] op_sel:[0,0,1] op_sel_hi:[1,0,0]
	v_mov_b32_e32 v11, v195
	v_pk_add_f32 v[70:71], v[70:71], v[8:9] neg_lo:[0,1] neg_hi:[0,1]
	v_pk_fma_f32 v[8:9], v[198:199], v[0:1], v[192:193] op_sel:[0,0,1] op_sel_hi:[1,1,0] neg_lo:[0,0,1] neg_hi:[0,0,1]
	s_wait_dscnt 0x1
	v_mul_f32_e32 v192, v201, v0
	v_pk_add_f32 v[48:49], v[48:49], v[216:217] neg_lo:[0,1] neg_hi:[0,1]
	v_pk_add_f32 v[66:67], v[66:67], v[10:11] neg_lo:[0,1] neg_hi:[0,1]
	v_mul_f32_e32 v10, v201, v3
	s_delay_alu instid0(VALU_DEP_4)
	v_pk_fma_f32 v[192:193], v[200:201], v[50:51], v[192:193] op_sel:[1,0,0] op_sel_hi:[0,1,0]
	v_mov_b32_e32 v9, v189
	ds_load_2addr_b64 v[188:191], v6 offset0:17 offset1:18
	v_pk_fma_f32 v[10:11], v[200:201], v[50:51], v[10:11] op_sel_hi:[1,1,0] neg_lo:[0,0,1] neg_hi:[0,0,1]
	s_wait_dscnt 0x1
	v_pk_mul_f32 v[196:197], v[184:185], v[2:3] op_sel:[0,1]
	v_mov_b32_e32 v11, v193
	v_pk_add_f32 v[64:65], v[64:65], v[8:9] neg_lo:[0,1] neg_hi:[0,1]
	v_pk_mul_f32 v[8:9], v[202:203], v[2:3] op_sel:[0,1]
	v_pk_mul_f32 v[198:199], v[186:187], v[2:3] op_sel:[0,1]
	v_pk_fma_f32 v[204:205], v[184:185], v[0:1], v[196:197] op_sel:[0,0,1] op_sel_hi:[1,0,0]
	ds_load_2addr_b64 v[192:195], v6 offset0:19 offset1:20
	v_pk_fma_f32 v[184:185], v[184:185], v[0:1], v[196:197] op_sel:[0,0,1] op_sel_hi:[1,1,0] neg_lo:[0,0,1] neg_hi:[0,0,1]
	v_pk_fma_f32 v[200:201], v[202:203], v[0:1], v[8:9] op_sel:[0,0,1] op_sel_hi:[1,0,0]
	v_pk_fma_f32 v[8:9], v[202:203], v[0:1], v[8:9] op_sel:[0,0,1] op_sel_hi:[1,1,0] neg_lo:[0,0,1] neg_hi:[0,0,1]
	v_pk_fma_f32 v[202:203], v[186:187], v[0:1], v[198:199] op_sel:[0,0,1] op_sel_hi:[1,0,0]
	v_pk_fma_f32 v[186:187], v[186:187], v[0:1], v[198:199] op_sel:[0,0,1] op_sel_hi:[1,1,0] neg_lo:[0,0,1] neg_hi:[0,0,1]
	s_delay_alu instid0(VALU_DEP_4) | instskip(SKIP_1) | instid1(VALU_DEP_4)
	v_dual_mov_b32 v185, v205 :: v_dual_mov_b32 v9, v201
	v_pk_add_f32 v[96:97], v[96:97], v[10:11] neg_lo:[0,1] neg_hi:[0,1]
	v_mov_b32_e32 v187, v203
	ds_load_2addr_b64 v[196:199], v6 offset0:23 offset1:24
	v_pk_add_f32 v[94:95], v[94:95], v[184:185] neg_lo:[0,1] neg_hi:[0,1]
	s_wait_dscnt 0x2
	v_pk_mul_f32 v[10:11], v[188:189], v[2:3] op_sel:[0,1]
	v_pk_add_f32 v[98:99], v[98:99], v[8:9] neg_lo:[0,1] neg_hi:[0,1]
	v_pk_add_f32 v[120:121], v[120:121], v[186:187] neg_lo:[0,1] neg_hi:[0,1]
	ds_load_2addr_b64 v[184:187], v6 offset0:21 offset1:22
	v_pk_fma_f32 v[8:9], v[188:189], v[0:1], v[10:11] op_sel:[0,0,1] op_sel_hi:[1,0,0]
	v_pk_fma_f32 v[10:11], v[188:189], v[0:1], v[10:11] op_sel:[0,0,1] op_sel_hi:[1,1,0] neg_lo:[0,0,1] neg_hi:[0,0,1]
	v_dual_mov_b32 v188, v191 :: v_dual_mov_b32 v189, v190
	s_delay_alu instid0(VALU_DEP_3) | instskip(SKIP_2) | instid1(VALU_DEP_2)
	v_dual_mul_f32 v8, v191, v0 :: v_dual_mov_b32 v11, v9
	s_wait_dscnt 0x2
	v_pk_mul_f32 v[200:201], v[192:193], v[2:3] op_sel:[0,1]
	v_pk_fma_f32 v[8:9], v[188:189], v[50:51], v[8:9] op_sel_hi:[1,1,0]
	v_mul_f32_e32 v202, v191, v3
	v_pk_add_f32 v[116:117], v[116:117], v[10:11] neg_lo:[0,1] neg_hi:[0,1]
	v_pk_mul_f32 v[10:11], v[194:195], v[2:3] op_sel:[0,1]
	v_pk_fma_f32 v[188:189], v[192:193], v[0:1], v[200:201] op_sel:[0,0,1] op_sel_hi:[1,0,0]
	s_delay_alu instid0(VALU_DEP_4)
	v_pk_fma_f32 v[202:203], v[190:191], v[50:51], v[202:203] op_sel_hi:[1,1,0] neg_lo:[0,0,1] neg_hi:[0,0,1]
	v_mov_b32_e32 v203, v9
	v_pk_fma_f32 v[8:9], v[192:193], v[0:1], v[200:201] op_sel:[0,0,1] op_sel_hi:[1,1,0] neg_lo:[0,0,1] neg_hi:[0,0,1]
	v_pk_fma_f32 v[192:193], v[194:195], v[0:1], v[10:11] op_sel:[0,0,1] op_sel_hi:[1,0,0]
	v_mov_b32_e32 v9, v189
	v_pk_fma_f32 v[10:11], v[194:195], v[0:1], v[10:11] op_sel:[0,0,1] op_sel_hi:[1,1,0] neg_lo:[0,0,1] neg_hi:[0,0,1]
	s_wait_dscnt 0x0
	v_pk_mul_f32 v[194:195], v[184:185], v[2:3] op_sel:[0,1]
	ds_load_2addr_b64 v[188:191], v6 offset0:25 offset1:26
	v_mov_b32_e32 v11, v193
	v_pk_mul_f32 v[192:193], v[186:187], v[2:3] op_sel:[0,1]
	v_pk_add_f32 v[54:55], v[54:55], v[8:9] neg_lo:[0,1] neg_hi:[0,1]
	v_pk_fma_f32 v[8:9], v[184:185], v[0:1], v[194:195] op_sel:[0,0,1] op_sel_hi:[1,0,0]
	v_mul_f32_e32 v8, v197, v0
	v_pk_add_f32 v[84:85], v[84:85], v[10:11] neg_lo:[0,1] neg_hi:[0,1]
	v_pk_fma_f32 v[10:11], v[184:185], v[0:1], v[194:195] op_sel:[0,0,1] op_sel_hi:[1,1,0] neg_lo:[0,0,1] neg_hi:[0,0,1]
	v_pk_fma_f32 v[194:195], v[186:187], v[0:1], v[192:193] op_sel:[0,0,1] op_sel_hi:[1,0,0]
	v_mul_f32_e32 v194, v197, v3
	v_mov_b32_e32 v11, v9
	v_pk_fma_f32 v[8:9], v[196:197], v[50:51], v[8:9] op_sel:[1,0,0] op_sel_hi:[0,1,0]
	v_pk_fma_f32 v[192:193], v[186:187], v[0:1], v[192:193] op_sel:[0,0,1] op_sel_hi:[1,1,0] neg_lo:[0,0,1] neg_hi:[0,0,1]
	v_mov_b32_e32 v193, v195
	v_pk_fma_f32 v[194:195], v[196:197], v[50:51], v[194:195] op_sel_hi:[1,1,0] neg_lo:[0,0,1] neg_hi:[0,0,1]
	ds_load_2addr_b64 v[184:187], v6 offset0:27 offset1:28
	v_mov_b32_e32 v195, v9
	v_pk_mul_f32 v[8:9], v[198:199], v[2:3] op_sel:[0,1]
	v_pk_add_f32 v[80:81], v[80:81], v[10:11] neg_lo:[0,1] neg_hi:[0,1]
	v_pk_add_f32 v[82:83], v[82:83], v[192:193] neg_lo:[0,1] neg_hi:[0,1]
	s_wait_dscnt 0x1
	v_pk_mul_f32 v[10:11], v[188:189], v[2:3] op_sel:[0,1]
	v_pk_mul_f32 v[196:197], v[190:191], v[2:3] op_sel:[0,1]
	v_pk_fma_f32 v[200:201], v[198:199], v[0:1], v[8:9] op_sel:[0,0,1] op_sel_hi:[1,0,0]
	v_pk_fma_f32 v[8:9], v[198:199], v[0:1], v[8:9] op_sel:[0,0,1] op_sel_hi:[1,1,0] neg_lo:[0,0,1] neg_hi:[0,0,1]
	v_pk_add_f32 v[118:119], v[118:119], v[202:203] neg_lo:[0,1] neg_hi:[0,1]
	v_pk_fma_f32 v[202:203], v[188:189], v[0:1], v[10:11] op_sel:[0,0,1] op_sel_hi:[1,0,0]
	v_pk_fma_f32 v[198:199], v[190:191], v[0:1], v[196:197] op_sel:[0,0,1] op_sel_hi:[1,0,0]
	v_mov_b32_e32 v9, v201
	v_pk_add_f32 v[78:79], v[78:79], v[194:195] neg_lo:[0,1] neg_hi:[0,1]
	ds_load_2addr_b64 v[192:195], v6 offset0:29 offset1:30
	v_pk_fma_f32 v[10:11], v[188:189], v[0:1], v[10:11] op_sel:[0,0,1] op_sel_hi:[1,1,0] neg_lo:[0,0,1] neg_hi:[0,0,1]
	v_pk_fma_f32 v[196:197], v[190:191], v[0:1], v[196:197] op_sel:[0,0,1] op_sel_hi:[1,1,0] neg_lo:[0,0,1] neg_hi:[0,0,1]
	v_dual_mov_b32 v11, v203 :: v_dual_mov_b32 v197, v199
	ds_load_2addr_b64 v[188:191], v6 offset0:31 offset1:32
	s_wait_dscnt 0x2
	v_pk_mul_f32 v[198:199], v[184:185], v[2:3] op_sel:[0,1]
	v_pk_add_f32 v[106:107], v[106:107], v[8:9] neg_lo:[0,1] neg_hi:[0,1]
	v_pk_add_f32 v[102:103], v[102:103], v[10:11] neg_lo:[0,1] neg_hi:[0,1]
	;; [unrolled: 1-line block ×3, first 2 shown]
	s_delay_alu instid0(VALU_DEP_4) | instskip(SKIP_2) | instid1(VALU_DEP_3)
	v_pk_fma_f32 v[8:9], v[184:185], v[0:1], v[198:199] op_sel:[0,0,1] op_sel_hi:[1,0,0]
	v_pk_fma_f32 v[10:11], v[184:185], v[0:1], v[198:199] op_sel:[0,0,1] op_sel_hi:[1,1,0] neg_lo:[0,0,1] neg_hi:[0,0,1]
	v_dual_mov_b32 v184, v187 :: v_dual_mov_b32 v185, v186
	v_dual_mul_f32 v8, v187, v0 :: v_dual_mov_b32 v11, v9
	ds_load_2addr_b64 v[196:199], v6 offset0:33 offset1:34
	s_wait_dscnt 0x2
	v_pk_mul_f32 v[202:203], v[192:193], v[2:3] op_sel:[0,1]
	v_pk_fma_f32 v[8:9], v[184:185], v[50:51], v[8:9] op_sel_hi:[1,1,0]
	v_mul_f32_e32 v200, v187, v3
	v_pk_add_f32 v[100:101], v[100:101], v[10:11] neg_lo:[0,1] neg_hi:[0,1]
	v_pk_mul_f32 v[10:11], v[194:195], v[2:3] op_sel:[0,1]
	v_pk_fma_f32 v[184:185], v[192:193], v[0:1], v[202:203] op_sel:[0,0,1] op_sel_hi:[1,0,0]
	s_delay_alu instid0(VALU_DEP_4)
	v_pk_fma_f32 v[200:201], v[186:187], v[50:51], v[200:201] op_sel_hi:[1,1,0] neg_lo:[0,0,1] neg_hi:[0,0,1]
	v_mov_b32_e32 v201, v9
	v_pk_fma_f32 v[8:9], v[192:193], v[0:1], v[202:203] op_sel:[0,0,1] op_sel_hi:[1,1,0] neg_lo:[0,0,1] neg_hi:[0,0,1]
	v_pk_fma_f32 v[192:193], v[194:195], v[0:1], v[10:11] op_sel:[0,0,1] op_sel_hi:[1,0,0]
	v_mov_b32_e32 v9, v185
	ds_load_2addr_b64 v[184:187], v6 offset0:35 offset1:36
	s_wait_dscnt 0x2
	v_pk_mul_f32 v[202:203], v[188:189], v[2:3] op_sel:[0,1]
	v_pk_fma_f32 v[10:11], v[194:195], v[0:1], v[10:11] op_sel:[0,0,1] op_sel_hi:[1,1,0] neg_lo:[0,0,1] neg_hi:[0,0,1]
	v_mov_b32_e32 v11, v193
	v_pk_add_f32 v[128:129], v[128:129], v[200:201] neg_lo:[0,1] neg_hi:[0,1]
	v_pk_mul_f32 v[200:201], v[190:191], v[2:3] op_sel:[0,1]
	v_pk_add_f32 v[124:125], v[124:125], v[8:9] neg_lo:[0,1] neg_hi:[0,1]
	v_pk_fma_f32 v[8:9], v[188:189], v[0:1], v[202:203] op_sel:[0,0,1] op_sel_hi:[1,0,0]
	s_wait_dscnt 0x1
	v_mul_f32_e32 v8, v197, v0
	v_pk_add_f32 v[126:127], v[126:127], v[10:11] neg_lo:[0,1] neg_hi:[0,1]
	v_pk_fma_f32 v[10:11], v[188:189], v[0:1], v[202:203] op_sel:[0,0,1] op_sel_hi:[1,1,0] neg_lo:[0,0,1] neg_hi:[0,0,1]
	v_pk_fma_f32 v[188:189], v[190:191], v[0:1], v[200:201] op_sel:[0,0,1] op_sel_hi:[1,0,0]
	v_mul_f32_e32 v188, v197, v3
	ds_load_2addr_b64 v[192:195], v6 offset0:37 offset1:38
	v_mov_b32_e32 v11, v9
	v_pk_fma_f32 v[8:9], v[196:197], v[50:51], v[8:9] op_sel:[1,0,0] op_sel_hi:[0,1,0]
	v_pk_fma_f32 v[190:191], v[190:191], v[0:1], v[200:201] op_sel:[0,0,1] op_sel_hi:[1,1,0] neg_lo:[0,0,1] neg_hi:[0,0,1]
	v_pk_mul_f32 v[200:201], v[198:199], v[2:3] op_sel:[0,1]
	v_mov_b32_e32 v191, v189
	v_pk_fma_f32 v[188:189], v[196:197], v[50:51], v[188:189] op_sel_hi:[1,1,0] neg_lo:[0,0,1] neg_hi:[0,0,1]
	v_pk_add_f32 v[122:123], v[122:123], v[10:11] neg_lo:[0,1] neg_hi:[0,1]
	s_delay_alu instid0(VALU_DEP_4)
	v_pk_fma_f32 v[10:11], v[198:199], v[0:1], v[200:201] op_sel:[0,0,1] op_sel_hi:[1,0,0]
	v_mov_b32_e32 v189, v9
	s_wait_dscnt 0x1
	v_pk_mul_f32 v[8:9], v[184:185], v[2:3] op_sel:[0,1]
	v_pk_fma_f32 v[198:199], v[198:199], v[0:1], v[200:201] op_sel:[0,0,1] op_sel_hi:[1,1,0] neg_lo:[0,0,1] neg_hi:[0,0,1]
	v_pk_add_f32 v[146:147], v[146:147], v[190:191] neg_lo:[0,1] neg_hi:[0,1]
	v_mov_b32_e32 v199, v11
	v_pk_add_f32 v[142:143], v[142:143], v[188:189] neg_lo:[0,1] neg_hi:[0,1]
	v_pk_fma_f32 v[196:197], v[184:185], v[0:1], v[8:9] op_sel:[0,0,1] op_sel_hi:[1,0,0]
	ds_load_2addr_b64 v[188:191], v6 offset0:39 offset1:40
	v_pk_fma_f32 v[8:9], v[184:185], v[0:1], v[8:9] op_sel:[0,0,1] op_sel_hi:[1,1,0] neg_lo:[0,0,1] neg_hi:[0,0,1]
	v_pk_mul_f32 v[10:11], v[186:187], v[2:3] op_sel:[0,1]
	v_pk_add_f32 v[144:145], v[144:145], v[198:199] neg_lo:[0,1] neg_hi:[0,1]
	s_wait_dscnt 0x1
	v_dual_mov_b32 v9, v197 :: v_dual_mov_b32 v200, v195
	ds_load_2addr_b64 v[196:199], v6 offset0:41 offset1:42
	v_pk_mul_f32 v[184:185], v[192:193], v[2:3] op_sel:[0,1]
	v_mov_b32_e32 v201, v194
	v_pk_add_f32 v[140:141], v[140:141], v[8:9] neg_lo:[0,1] neg_hi:[0,1]
	v_pk_fma_f32 v[8:9], v[186:187], v[0:1], v[10:11] op_sel:[0,0,1] op_sel_hi:[1,1,0] neg_lo:[0,0,1] neg_hi:[0,0,1]
	v_pk_fma_f32 v[10:11], v[186:187], v[0:1], v[10:11] op_sel:[0,0,1] op_sel_hi:[1,0,0]
	v_pk_fma_f32 v[186:187], v[192:193], v[0:1], v[184:185] op_sel:[0,0,1] op_sel_hi:[1,0,0]
	v_mul_f32_e32 v10, v195, v0
	v_pk_fma_f32 v[184:185], v[192:193], v[0:1], v[184:185] op_sel:[0,0,1] op_sel_hi:[1,1,0] neg_lo:[0,0,1] neg_hi:[0,0,1]
	v_mul_f32_e32 v186, v195, v3
	s_delay_alu instid0(VALU_DEP_4) | instskip(NEXT) | instid1(VALU_DEP_4)
	v_dual_mov_b32 v9, v11 :: v_dual_mov_b32 v185, v187
	v_pk_fma_f32 v[10:11], v[200:201], v[50:51], v[10:11] op_sel_hi:[1,1,0]
	s_delay_alu instid0(VALU_DEP_2)
	v_pk_add_f32 v[166:167], v[166:167], v[8:9] neg_lo:[0,1] neg_hi:[0,1]
	s_wait_dscnt 0x1
	v_pk_mul_f32 v[8:9], v[188:189], v[2:3] op_sel:[0,1]
	v_pk_add_f32 v[160:161], v[160:161], v[184:185] neg_lo:[0,1] neg_hi:[0,1]
	v_pk_fma_f32 v[184:185], v[194:195], v[50:51], v[186:187] op_sel_hi:[1,1,0] neg_lo:[0,0,1] neg_hi:[0,0,1]
	s_wait_dscnt 0x0
	v_pk_mul_f32 v[192:193], v[196:197], v[2:3] op_sel:[0,1]
	v_pk_fma_f32 v[186:187], v[188:189], v[0:1], v[8:9] op_sel:[0,0,1] op_sel_hi:[1,0,0]
	v_mov_b32_e32 v185, v11
	v_pk_mul_f32 v[10:11], v[190:191], v[2:3] op_sel:[0,1]
	v_pk_mul_f32 v[2:3], v[198:199], v[2:3] op_sel:[0,1]
	v_pk_fma_f32 v[8:9], v[188:189], v[0:1], v[8:9] op_sel:[0,0,1] op_sel_hi:[1,1,0] neg_lo:[0,0,1] neg_hi:[0,0,1]
	v_mov_b32_e32 v9, v187
	v_pk_fma_f32 v[186:187], v[196:197], v[0:1], v[192:193] op_sel:[0,0,1] op_sel_hi:[1,0,0]
	v_pk_fma_f32 v[188:189], v[190:191], v[0:1], v[10:11] op_sel:[0,0,1] op_sel_hi:[1,0,0]
	v_pk_fma_f32 v[10:11], v[190:191], v[0:1], v[10:11] op_sel:[0,0,1] op_sel_hi:[1,1,0] neg_lo:[0,0,1] neg_hi:[0,0,1]
	v_pk_fma_f32 v[190:191], v[198:199], v[0:1], v[2:3] op_sel:[0,0,1] op_sel_hi:[1,0,0]
	v_pk_add_f32 v[164:165], v[164:165], v[184:185] neg_lo:[0,1] neg_hi:[0,1]
	v_pk_add_f32 v[158:159], v[158:159], v[8:9] neg_lo:[0,1] neg_hi:[0,1]
	v_mov_b32_e32 v11, v189
	v_pk_fma_f32 v[188:189], v[196:197], v[0:1], v[192:193] op_sel:[0,0,1] op_sel_hi:[1,1,0] neg_lo:[0,0,1] neg_hi:[0,0,1]
	v_pk_fma_f32 v[0:1], v[198:199], v[0:1], v[2:3] op_sel:[0,0,1] op_sel_hi:[1,1,0] neg_lo:[0,0,1] neg_hi:[0,0,1]
	v_dual_mov_b32 v189, v187 :: v_dual_mov_b32 v1, v191
	s_delay_alu instid0(VALU_DEP_4) | instskip(NEXT) | instid1(VALU_DEP_2)
	v_pk_add_f32 v[162:163], v[162:163], v[10:11] neg_lo:[0,1] neg_hi:[0,1]
	v_pk_add_f32 v[168:169], v[168:169], v[188:189] neg_lo:[0,1] neg_hi:[0,1]
	s_delay_alu instid0(VALU_DEP_3)
	v_pk_add_f32 v[170:171], v[170:171], v[0:1] neg_lo:[0,1] neg_hi:[0,1]
.LBB85_46:
	s_or_b32 exec_lo, exec_lo, s1
	s_delay_alu instid0(SALU_CYCLE_1)
	s_mov_b32 s2, exec_lo
	s_wait_dscnt 0x0
	s_barrier_signal -1
	s_barrier_wait -1
	v_cmpx_eq_u32_e32 5, v32
	s_cbranch_execz .LBB85_53
; %bb.47:
	v_dual_mov_b32 v0, v28 :: v_dual_mov_b32 v1, v29
	v_dual_mov_b32 v2, v46 :: v_dual_mov_b32 v3, v47
	;; [unrolled: 1-line block ×10, first 2 shown]
	ds_store_b64 v33, v[48:49]
	v_dual_mov_b32 v196, v120 :: v_dual_mov_b32 v197, v121
	v_dual_mov_b32 v198, v116 :: v_dual_mov_b32 v199, v117
	ds_store_2addr_b64 v6, v[0:1], v[2:3] offset0:6 offset1:7
	ds_store_2addr_b64 v6, v[8:9], v[10:11] offset0:8 offset1:9
	ds_store_2addr_b64 v6, v[184:185], v[186:187] offset0:10 offset1:11
	ds_store_2addr_b64 v6, v[188:189], v[190:191] offset0:12 offset1:13
	ds_store_2addr_b64 v6, v[192:193], v[194:195] offset0:14 offset1:15
	ds_store_2addr_b64 v6, v[196:197], v[198:199] offset0:16 offset1:17
	v_dual_mov_b32 v0, v118 :: v_dual_mov_b32 v1, v119
	v_dual_mov_b32 v2, v54 :: v_dual_mov_b32 v3, v55
	;; [unrolled: 1-line block ×12, first 2 shown]
	ds_store_2addr_b64 v6, v[0:1], v[2:3] offset0:18 offset1:19
	ds_store_2addr_b64 v6, v[8:9], v[10:11] offset0:20 offset1:21
	ds_store_2addr_b64 v6, v[184:185], v[186:187] offset0:22 offset1:23
	ds_store_2addr_b64 v6, v[188:189], v[190:191] offset0:24 offset1:25
	ds_store_2addr_b64 v6, v[192:193], v[194:195] offset0:26 offset1:27
	ds_store_2addr_b64 v6, v[196:197], v[198:199] offset0:28 offset1:29
	v_dual_mov_b32 v0, v126 :: v_dual_mov_b32 v1, v127
	v_dual_mov_b32 v2, v122 :: v_dual_mov_b32 v3, v123
	;; [unrolled: 1-line block ×12, first 2 shown]
	ds_store_2addr_b64 v6, v[0:1], v[2:3] offset0:30 offset1:31
	ds_store_2addr_b64 v6, v[8:9], v[10:11] offset0:32 offset1:33
	;; [unrolled: 1-line block ×6, first 2 shown]
	ds_store_b64 v6, v[170:171] offset:336
	ds_load_b64 v[0:1], v33
	s_wait_dscnt 0x0
	v_cmp_neq_f32_e32 vcc_lo, 0, v0
	v_cmp_neq_f32_e64 s1, 0, v1
	s_or_b32 s1, vcc_lo, s1
	s_delay_alu instid0(SALU_CYCLE_1)
	s_and_b32 exec_lo, exec_lo, s1
	s_cbranch_execz .LBB85_53
; %bb.48:
	v_cmp_ngt_f32_e64 s1, |v0|, |v1|
                                        ; implicit-def: $vgpr2_vgpr3
	s_and_saveexec_b32 s4, s1
	s_delay_alu instid0(SALU_CYCLE_1)
	s_xor_b32 s1, exec_lo, s4
	s_cbranch_execz .LBB85_50
; %bb.49:
	v_div_scale_f32 v2, null, v1, v1, v0
	v_div_scale_f32 v8, vcc_lo, v0, v1, v0
	s_delay_alu instid0(VALU_DEP_2) | instskip(SKIP_1) | instid1(TRANS32_DEP_1)
	v_rcp_f32_e32 v3, v2
	v_nop
	v_fma_f32 v7, -v2, v3, 1.0
	s_delay_alu instid0(VALU_DEP_1) | instskip(NEXT) | instid1(VALU_DEP_1)
	v_fmac_f32_e32 v3, v7, v3
	v_mul_f32_e32 v7, v8, v3
	s_delay_alu instid0(VALU_DEP_1) | instskip(NEXT) | instid1(VALU_DEP_1)
	v_fma_f32 v9, -v2, v7, v8
	v_fmac_f32_e32 v7, v9, v3
	s_delay_alu instid0(VALU_DEP_1) | instskip(NEXT) | instid1(VALU_DEP_1)
	v_fma_f32 v2, -v2, v7, v8
	v_div_fmas_f32 v2, v2, v3, v7
	s_delay_alu instid0(VALU_DEP_1) | instskip(NEXT) | instid1(VALU_DEP_1)
	v_div_fixup_f32 v2, v2, v1, v0
	v_fmac_f32_e32 v1, v0, v2
	s_delay_alu instid0(VALU_DEP_1) | instskip(SKIP_1) | instid1(VALU_DEP_2)
	v_div_scale_f32 v0, null, v1, v1, 1.0
	v_div_scale_f32 v8, vcc_lo, 1.0, v1, 1.0
	v_rcp_f32_e32 v3, v0
	v_nop
	s_delay_alu instid0(TRANS32_DEP_1) | instskip(NEXT) | instid1(VALU_DEP_1)
	v_fma_f32 v7, -v0, v3, 1.0
	v_fmac_f32_e32 v3, v7, v3
	s_delay_alu instid0(VALU_DEP_1) | instskip(NEXT) | instid1(VALU_DEP_1)
	v_mul_f32_e32 v7, v8, v3
	v_fma_f32 v9, -v0, v7, v8
	s_delay_alu instid0(VALU_DEP_1) | instskip(NEXT) | instid1(VALU_DEP_1)
	v_fmac_f32_e32 v7, v9, v3
	v_fma_f32 v0, -v0, v7, v8
	s_delay_alu instid0(VALU_DEP_1) | instskip(NEXT) | instid1(VALU_DEP_1)
	v_div_fmas_f32 v0, v0, v3, v7
	v_div_fixup_f32 v0, v0, v1, 1.0
	s_delay_alu instid0(VALU_DEP_1)
	v_mul_f32_e32 v2, v2, v0
	v_xor_b32_e32 v3, 0x80000000, v0
                                        ; implicit-def: $vgpr0_vgpr1
.LBB85_50:
	s_and_not1_saveexec_b32 s1, s1
	s_cbranch_execz .LBB85_52
; %bb.51:
	v_div_scale_f32 v2, null, v0, v0, v1
	v_div_scale_f32 v8, vcc_lo, v1, v0, v1
	s_delay_alu instid0(VALU_DEP_2) | instskip(SKIP_1) | instid1(TRANS32_DEP_1)
	v_rcp_f32_e32 v3, v2
	v_nop
	v_fma_f32 v7, -v2, v3, 1.0
	s_delay_alu instid0(VALU_DEP_1) | instskip(NEXT) | instid1(VALU_DEP_1)
	v_fmac_f32_e32 v3, v7, v3
	v_mul_f32_e32 v7, v8, v3
	s_delay_alu instid0(VALU_DEP_1) | instskip(NEXT) | instid1(VALU_DEP_1)
	v_fma_f32 v9, -v2, v7, v8
	v_fmac_f32_e32 v7, v9, v3
	s_delay_alu instid0(VALU_DEP_1) | instskip(NEXT) | instid1(VALU_DEP_1)
	v_fma_f32 v2, -v2, v7, v8
	v_div_fmas_f32 v2, v2, v3, v7
	s_delay_alu instid0(VALU_DEP_1) | instskip(NEXT) | instid1(VALU_DEP_1)
	v_div_fixup_f32 v3, v2, v0, v1
	v_fmac_f32_e32 v0, v1, v3
	s_delay_alu instid0(VALU_DEP_1) | instskip(NEXT) | instid1(VALU_DEP_1)
	v_div_scale_f32 v1, null, v0, v0, 1.0
	v_rcp_f32_e32 v2, v1
	v_nop
	s_delay_alu instid0(TRANS32_DEP_1) | instskip(NEXT) | instid1(VALU_DEP_1)
	v_fma_f32 v7, -v1, v2, 1.0
	v_fmac_f32_e32 v2, v7, v2
	v_div_scale_f32 v7, vcc_lo, 1.0, v0, 1.0
	s_delay_alu instid0(VALU_DEP_1) | instskip(NEXT) | instid1(VALU_DEP_1)
	v_mul_f32_e32 v8, v7, v2
	v_fma_f32 v9, -v1, v8, v7
	s_delay_alu instid0(VALU_DEP_1) | instskip(NEXT) | instid1(VALU_DEP_1)
	v_fmac_f32_e32 v8, v9, v2
	v_fma_f32 v1, -v1, v8, v7
	s_delay_alu instid0(VALU_DEP_1) | instskip(NEXT) | instid1(VALU_DEP_1)
	v_div_fmas_f32 v1, v1, v2, v8
	v_div_fixup_f32 v2, v1, v0, 1.0
	s_delay_alu instid0(VALU_DEP_1)
	v_mul_f32_e64 v3, v3, -v2
.LBB85_52:
	s_or_b32 exec_lo, exec_lo, s1
	ds_store_b64 v33, v[2:3]
.LBB85_53:
	s_or_b32 exec_lo, exec_lo, s2
	s_wait_dscnt 0x0
	s_barrier_signal -1
	s_barrier_wait -1
	ds_load_b64 v[184:185], v33
	s_mov_b32 s1, exec_lo
	v_cmpx_lt_u32_e32 5, v32
	s_cbranch_execz .LBB85_55
; %bb.54:
	ds_load_2addr_b64 v[186:189], v6 offset0:6 offset1:7
	ds_load_2addr_b64 v[190:193], v6 offset0:8 offset1:9
	;; [unrolled: 1-line block ×3, first 2 shown]
	s_wait_dscnt 0x3
	v_pk_mul_f32 v[2:3], v[184:185], v[48:49] op_sel:[1,1] op_sel_hi:[0,1]
	ds_load_2addr_b64 v[198:201], v6 offset0:12 offset1:13
	ds_load_2addr_b64 v[202:205], v6 offset0:14 offset1:15
	v_pk_fma_f32 v[0:1], v[184:185], v[48:49], v[2:3] op_sel_hi:[1,0,1] neg_lo:[0,0,1] neg_hi:[0,0,1]
	v_pk_fma_f32 v[2:3], v[184:185], v[48:49], v[2:3] op_sel_hi:[1,0,1]
	s_delay_alu instid0(VALU_DEP_1) | instskip(SKIP_1) | instid1(VALU_DEP_2)
	v_dual_mov_b32 v48, v0 :: v_dual_mov_b32 v49, v3
	s_wait_dscnt 0x4
	v_pk_mul_f32 v[8:9], v[186:187], v[2:3] op_sel:[0,1]
	v_pk_mul_f32 v[10:11], v[188:189], v[2:3] op_sel:[0,1]
	s_wait_dscnt 0x3
	v_pk_mul_f32 v[206:207], v[190:191], v[2:3] op_sel:[0,1]
	v_dual_mov_b32 v208, v193 :: v_dual_mov_b32 v209, v192
	v_dual_mul_f32 v210, v193, v3 :: v_dual_mul_f32 v212, v193, v0
	v_pk_fma_f32 v[218:219], v[186:187], v[0:1], v[8:9] op_sel:[0,0,1] op_sel_hi:[1,1,0] neg_lo:[0,0,1] neg_hi:[0,0,1]
	v_pk_fma_f32 v[8:9], v[186:187], v[0:1], v[8:9] op_sel:[0,0,1] op_sel_hi:[1,0,0]
	v_pk_fma_f32 v[186:187], v[188:189], v[0:1], v[10:11] op_sel:[0,0,1] op_sel_hi:[1,1,0] neg_lo:[0,0,1] neg_hi:[0,0,1]
	v_pk_fma_f32 v[10:11], v[188:189], v[0:1], v[10:11] op_sel:[0,0,1] op_sel_hi:[1,0,0]
	;; [unrolled: 2-line block ×3, first 2 shown]
	v_pk_fma_f32 v[206:207], v[208:209], v[48:49], v[212:213] op_sel_hi:[1,1,0]
	s_delay_alu instid0(VALU_DEP_4)
	v_dual_mov_b32 v219, v9 :: v_dual_mov_b32 v187, v11
	s_wait_dscnt 0x2
	v_pk_mul_f32 v[214:215], v[194:195], v[2:3] op_sel:[0,1]
	v_mov_b32_e32 v189, v191
	v_pk_fma_f32 v[192:193], v[192:193], v[48:49], v[210:211] op_sel_hi:[1,1,0] neg_lo:[0,0,1] neg_hi:[0,0,1]
	v_mov_b32_e32 v193, v207
	v_pk_add_f32 v[46:47], v[46:47], v[186:187] neg_lo:[0,1] neg_hi:[0,1]
	v_pk_mul_f32 v[216:217], v[196:197], v[2:3] op_sel:[0,1]
	v_pk_add_f32 v[72:73], v[72:73], v[188:189] neg_lo:[0,1] neg_hi:[0,1]
	ds_load_2addr_b64 v[186:189], v6 offset0:16 offset1:17
	v_pk_fma_f32 v[8:9], v[194:195], v[0:1], v[214:215] op_sel:[0,0,1] op_sel_hi:[1,0,0]
	s_wait_dscnt 0x2
	v_pk_mul_f32 v[10:11], v[198:199], v[2:3] op_sel:[0,1]
	v_pk_add_f32 v[68:69], v[68:69], v[192:193] neg_lo:[0,1] neg_hi:[0,1]
	v_pk_fma_f32 v[192:193], v[194:195], v[0:1], v[214:215] op_sel:[0,0,1] op_sel_hi:[1,1,0] neg_lo:[0,0,1] neg_hi:[0,0,1]
	v_pk_fma_f32 v[190:191], v[196:197], v[0:1], v[216:217] op_sel:[0,0,1] op_sel_hi:[1,0,0]
	v_mov_b32_e32 v193, v9
	v_pk_fma_f32 v[8:9], v[198:199], v[0:1], v[10:11] op_sel:[0,0,1] op_sel_hi:[1,0,0]
	v_pk_fma_f32 v[194:195], v[196:197], v[0:1], v[216:217] op_sel:[0,0,1] op_sel_hi:[1,1,0] neg_lo:[0,0,1] neg_hi:[0,0,1]
	v_pk_mul_f32 v[196:197], v[200:201], v[2:3] op_sel:[0,1]
	v_pk_fma_f32 v[10:11], v[198:199], v[0:1], v[10:11] op_sel:[0,0,1] op_sel_hi:[1,1,0] neg_lo:[0,0,1] neg_hi:[0,0,1]
	s_delay_alu instid0(VALU_DEP_4)
	v_dual_mov_b32 v195, v191 :: v_dual_mov_b32 v11, v9
	v_pk_add_f32 v[70:71], v[70:71], v[192:193] neg_lo:[0,1] neg_hi:[0,1]
	ds_load_2addr_b64 v[190:193], v6 offset0:18 offset1:19
	v_pk_fma_f32 v[8:9], v[200:201], v[0:1], v[196:197] op_sel:[0,0,1] op_sel_hi:[1,0,0]
	s_wait_dscnt 0x2
	v_mul_f32_e32 v8, v203, v0
	v_pk_add_f32 v[64:65], v[64:65], v[10:11] neg_lo:[0,1] neg_hi:[0,1]
	v_pk_fma_f32 v[10:11], v[200:201], v[0:1], v[196:197] op_sel:[0,0,1] op_sel_hi:[1,1,0] neg_lo:[0,0,1] neg_hi:[0,0,1]
	v_pk_add_f32 v[66:67], v[66:67], v[194:195] neg_lo:[0,1] neg_hi:[0,1]
	v_dual_mov_b32 v11, v9 :: v_dual_mul_f32 v194, v203, v3
	v_pk_mul_f32 v[198:199], v[204:205], v[2:3] op_sel:[0,1]
	v_pk_fma_f32 v[8:9], v[202:203], v[48:49], v[8:9] op_sel:[1,0,0] op_sel_hi:[0,1,0]
	s_wait_dscnt 0x1
	v_pk_mul_f32 v[200:201], v[186:187], v[2:3] op_sel:[0,1]
	v_pk_add_f32 v[96:97], v[96:97], v[10:11] neg_lo:[0,1] neg_hi:[0,1]
	v_pk_fma_f32 v[10:11], v[202:203], v[48:49], v[194:195] op_sel_hi:[1,1,0] neg_lo:[0,0,1] neg_hi:[0,0,1]
	v_pk_fma_f32 v[202:203], v[204:205], v[0:1], v[198:199] op_sel:[0,0,1] op_sel_hi:[1,0,0]
	v_mov_b32_e32 v11, v9
	v_pk_fma_f32 v[8:9], v[186:187], v[0:1], v[200:201] op_sel:[0,0,1] op_sel_hi:[1,0,0]
	ds_load_2addr_b64 v[194:197], v6 offset0:20 offset1:21
	v_pk_fma_f32 v[186:187], v[186:187], v[0:1], v[200:201] op_sel:[0,0,1] op_sel_hi:[1,1,0] neg_lo:[0,0,1] neg_hi:[0,0,1]
	v_pk_mul_f32 v[200:201], v[188:189], v[2:3] op_sel:[0,1]
	v_pk_fma_f32 v[198:199], v[204:205], v[0:1], v[198:199] op_sel:[0,0,1] op_sel_hi:[1,1,0] neg_lo:[0,0,1] neg_hi:[0,0,1]
	v_mov_b32_e32 v199, v203
	v_pk_add_f32 v[98:99], v[98:99], v[10:11] neg_lo:[0,1] neg_hi:[0,1]
	v_pk_add_f32 v[28:29], v[28:29], v[218:219] neg_lo:[0,1] neg_hi:[0,1]
	v_pk_fma_f32 v[10:11], v[188:189], v[0:1], v[200:201] op_sel:[0,0,1] op_sel_hi:[1,0,0]
	v_mov_b32_e32 v187, v9
	s_wait_dscnt 0x1
	v_pk_mul_f32 v[8:9], v[190:191], v[2:3] op_sel:[0,1]
	v_pk_fma_f32 v[200:201], v[188:189], v[0:1], v[200:201] op_sel:[0,0,1] op_sel_hi:[1,1,0] neg_lo:[0,0,1] neg_hi:[0,0,1]
	v_pk_add_f32 v[94:95], v[94:95], v[198:199] neg_lo:[0,1] neg_hi:[0,1]
	v_mov_b32_e32 v201, v11
	v_pk_add_f32 v[120:121], v[120:121], v[186:187] neg_lo:[0,1] neg_hi:[0,1]
	ds_load_2addr_b64 v[186:189], v6 offset0:22 offset1:23
	v_pk_fma_f32 v[198:199], v[190:191], v[0:1], v[8:9] op_sel:[0,0,1] op_sel_hi:[1,0,0]
	v_pk_fma_f32 v[8:9], v[190:191], v[0:1], v[8:9] op_sel:[0,0,1] op_sel_hi:[1,1,0] neg_lo:[0,0,1] neg_hi:[0,0,1]
	v_dual_mov_b32 v10, v193 :: v_dual_mov_b32 v11, v192
	s_delay_alu instid0(VALU_DEP_3)
	v_dual_mul_f32 v190, v193, v0 :: v_dual_mov_b32 v9, v199
	s_wait_dscnt 0x1
	v_pk_mul_f32 v[202:203], v[194:195], v[2:3] op_sel:[0,1]
	v_pk_add_f32 v[116:117], v[116:117], v[200:201] neg_lo:[0,1] neg_hi:[0,1]
	v_pk_mul_f32 v[204:205], v[196:197], v[2:3] op_sel:[0,1]
	v_pk_fma_f32 v[10:11], v[10:11], v[48:49], v[190:191] op_sel_hi:[1,1,0]
	v_pk_add_f32 v[118:119], v[118:119], v[8:9] neg_lo:[0,1] neg_hi:[0,1]
	v_mul_f32_e32 v8, v193, v3
	v_pk_fma_f32 v[190:191], v[194:195], v[0:1], v[202:203] op_sel:[0,0,1] op_sel_hi:[1,0,0]
	ds_load_2addr_b64 v[198:201], v6 offset0:24 offset1:25
	v_pk_fma_f32 v[8:9], v[192:193], v[48:49], v[8:9] op_sel_hi:[1,1,0] neg_lo:[0,0,1] neg_hi:[0,0,1]
	v_mov_b32_e32 v9, v11
	v_pk_fma_f32 v[10:11], v[194:195], v[0:1], v[202:203] op_sel:[0,0,1] op_sel_hi:[1,1,0] neg_lo:[0,0,1] neg_hi:[0,0,1]
	v_pk_fma_f32 v[194:195], v[196:197], v[0:1], v[204:205] op_sel:[0,0,1] op_sel_hi:[1,0,0]
	v_mov_b32_e32 v11, v191
	s_wait_dscnt 0x1
	v_pk_mul_f32 v[202:203], v[186:187], v[2:3] op_sel:[0,1]
	ds_load_2addr_b64 v[190:193], v6 offset0:26 offset1:27
	v_pk_fma_f32 v[196:197], v[196:197], v[0:1], v[204:205] op_sel:[0,0,1] op_sel_hi:[1,1,0] neg_lo:[0,0,1] neg_hi:[0,0,1]
	v_mov_b32_e32 v197, v195
	v_pk_add_f32 v[54:55], v[54:55], v[8:9] neg_lo:[0,1] neg_hi:[0,1]
	v_pk_mul_f32 v[8:9], v[188:189], v[2:3] op_sel:[0,1]
	v_pk_fma_f32 v[194:195], v[186:187], v[0:1], v[202:203] op_sel:[0,0,1] op_sel_hi:[1,0,0]
	v_pk_add_f32 v[84:85], v[84:85], v[10:11] neg_lo:[0,1] neg_hi:[0,1]
	v_pk_fma_f32 v[10:11], v[186:187], v[0:1], v[202:203] op_sel:[0,0,1] op_sel_hi:[1,1,0] neg_lo:[0,0,1] neg_hi:[0,0,1]
	v_pk_add_f32 v[80:81], v[80:81], v[196:197] neg_lo:[0,1] neg_hi:[0,1]
	v_pk_fma_f32 v[186:187], v[188:189], v[0:1], v[8:9] op_sel:[0,0,1] op_sel_hi:[1,0,0]
	v_mov_b32_e32 v11, v195
	ds_load_2addr_b64 v[194:197], v6 offset0:28 offset1:29
	v_pk_fma_f32 v[8:9], v[188:189], v[0:1], v[8:9] op_sel:[0,0,1] op_sel_hi:[1,1,0] neg_lo:[0,0,1] neg_hi:[0,0,1]
	s_wait_dscnt 0x2
	v_dual_mul_f32 v186, v199, v0 :: v_dual_mul_f32 v188, v199, v3
	v_mov_b32_e32 v9, v187
	v_pk_add_f32 v[82:83], v[82:83], v[10:11] neg_lo:[0,1] neg_hi:[0,1]
	v_pk_mul_f32 v[10:11], v[200:201], v[2:3] op_sel:[0,1]
	s_delay_alu instid0(VALU_DEP_4)
	v_pk_fma_f32 v[186:187], v[198:199], v[48:49], v[186:187] op_sel:[1,0,0] op_sel_hi:[0,1,0]
	v_pk_fma_f32 v[198:199], v[198:199], v[48:49], v[188:189] op_sel_hi:[1,1,0] neg_lo:[0,0,1] neg_hi:[0,0,1]
	v_pk_add_f32 v[78:79], v[78:79], v[8:9] neg_lo:[0,1] neg_hi:[0,1]
	s_wait_dscnt 0x1
	v_pk_mul_f32 v[8:9], v[190:191], v[2:3] op_sel:[0,1]
	v_pk_fma_f32 v[202:203], v[200:201], v[0:1], v[10:11] op_sel:[0,0,1] op_sel_hi:[1,0,0]
	v_pk_fma_f32 v[10:11], v[200:201], v[0:1], v[10:11] op_sel:[0,0,1] op_sel_hi:[1,1,0] neg_lo:[0,0,1] neg_hi:[0,0,1]
	v_mov_b32_e32 v199, v187
	ds_load_2addr_b64 v[186:189], v6 offset0:30 offset1:31
	v_pk_fma_f32 v[200:201], v[190:191], v[0:1], v[8:9] op_sel:[0,0,1] op_sel_hi:[1,0,0]
	v_mov_b32_e32 v11, v203
	v_pk_mul_f32 v[202:203], v[192:193], v[2:3] op_sel:[0,1]
	v_pk_fma_f32 v[8:9], v[190:191], v[0:1], v[8:9] op_sel:[0,0,1] op_sel_hi:[1,1,0] neg_lo:[0,0,1] neg_hi:[0,0,1]
	v_pk_add_f32 v[106:107], v[106:107], v[198:199] neg_lo:[0,1] neg_hi:[0,1]
	s_wait_dscnt 0x1
	v_mul_f32_e32 v198, v197, v0
	v_pk_add_f32 v[102:103], v[102:103], v[10:11] neg_lo:[0,1] neg_hi:[0,1]
	v_pk_fma_f32 v[190:191], v[192:193], v[0:1], v[202:203] op_sel:[0,0,1] op_sel_hi:[1,0,0]
	v_mov_b32_e32 v9, v201
	v_pk_mul_f32 v[200:201], v[194:195], v[2:3] op_sel:[0,1]
	v_pk_fma_f32 v[10:11], v[192:193], v[0:1], v[202:203] op_sel:[0,0,1] op_sel_hi:[1,1,0] neg_lo:[0,0,1] neg_hi:[0,0,1]
	s_delay_alu instid0(VALU_DEP_4) | instskip(NEXT) | instid1(VALU_DEP_4)
	v_mov_b32_e32 v11, v191
	v_pk_add_f32 v[104:105], v[104:105], v[8:9] neg_lo:[0,1] neg_hi:[0,1]
	s_delay_alu instid0(VALU_DEP_4)
	v_pk_fma_f32 v[8:9], v[194:195], v[0:1], v[200:201] op_sel:[0,0,1] op_sel_hi:[1,0,0]
	ds_load_2addr_b64 v[190:193], v6 offset0:32 offset1:33
	v_pk_fma_f32 v[194:195], v[194:195], v[0:1], v[200:201] op_sel:[0,0,1] op_sel_hi:[1,1,0] neg_lo:[0,0,1] neg_hi:[0,0,1]
	v_mov_b32_e32 v8, v197
	v_pk_add_f32 v[100:101], v[100:101], v[10:11] neg_lo:[0,1] neg_hi:[0,1]
	v_dual_mov_b32 v195, v9 :: v_dual_mov_b32 v9, v196
	s_wait_dscnt 0x1
	v_pk_mul_f32 v[10:11], v[186:187], v[2:3] op_sel:[0,1]
	v_pk_mul_f32 v[202:203], v[188:189], v[2:3] op_sel:[0,1]
	s_delay_alu instid0(VALU_DEP_3)
	v_pk_add_f32 v[128:129], v[128:129], v[194:195] neg_lo:[0,1] neg_hi:[0,1]
	v_mul_f32_e32 v194, v197, v3
	v_pk_fma_f32 v[8:9], v[8:9], v[48:49], v[198:199] op_sel_hi:[1,1,0]
	ds_load_2addr_b64 v[198:201], v6 offset0:34 offset1:35
	v_pk_fma_f32 v[204:205], v[186:187], v[0:1], v[10:11] op_sel:[0,0,1] op_sel_hi:[1,0,0]
	v_pk_fma_f32 v[194:195], v[196:197], v[48:49], v[194:195] op_sel_hi:[1,1,0] neg_lo:[0,0,1] neg_hi:[0,0,1]
	v_mov_b32_e32 v195, v9
	v_pk_fma_f32 v[8:9], v[186:187], v[0:1], v[10:11] op_sel:[0,0,1] op_sel_hi:[1,1,0] neg_lo:[0,0,1] neg_hi:[0,0,1]
	v_pk_fma_f32 v[10:11], v[188:189], v[0:1], v[202:203] op_sel:[0,0,1] op_sel_hi:[1,0,0]
	v_pk_fma_f32 v[196:197], v[188:189], v[0:1], v[202:203] op_sel:[0,0,1] op_sel_hi:[1,1,0] neg_lo:[0,0,1] neg_hi:[0,0,1]
	ds_load_2addr_b64 v[186:189], v6 offset0:36 offset1:37
	s_wait_dscnt 0x2
	v_pk_mul_f32 v[202:203], v[190:191], v[2:3] op_sel:[0,1]
	v_dual_mov_b32 v9, v205 :: v_dual_mov_b32 v197, v11
	v_pk_mul_f32 v[10:11], v[192:193], v[2:3] op_sel:[0,1]
	v_pk_add_f32 v[124:125], v[124:125], v[194:195] neg_lo:[0,1] neg_hi:[0,1]
	s_delay_alu instid0(VALU_DEP_4) | instskip(NEXT) | instid1(VALU_DEP_4)
	v_pk_fma_f32 v[194:195], v[190:191], v[0:1], v[202:203] op_sel:[0,0,1] op_sel_hi:[1,0,0]
	v_pk_add_f32 v[126:127], v[126:127], v[8:9] neg_lo:[0,1] neg_hi:[0,1]
	v_pk_add_f32 v[122:123], v[122:123], v[196:197] neg_lo:[0,1] neg_hi:[0,1]
	v_pk_fma_f32 v[8:9], v[192:193], v[0:1], v[10:11] op_sel:[0,0,1] op_sel_hi:[1,0,0]
	v_pk_fma_f32 v[196:197], v[190:191], v[0:1], v[202:203] op_sel:[0,0,1] op_sel_hi:[1,1,0] neg_lo:[0,0,1] neg_hi:[0,0,1]
	v_mov_b32_e32 v197, v195
	v_pk_fma_f32 v[10:11], v[192:193], v[0:1], v[10:11] op_sel:[0,0,1] op_sel_hi:[1,1,0] neg_lo:[0,0,1] neg_hi:[0,0,1]
	s_wait_dscnt 0x1
	v_dual_mul_f32 v8, v199, v0 :: v_dual_mul_f32 v194, v199, v3
	ds_load_2addr_b64 v[190:193], v6 offset0:38 offset1:39
	v_mov_b32_e32 v11, v9
	v_pk_add_f32 v[146:147], v[146:147], v[196:197] neg_lo:[0,1] neg_hi:[0,1]
	v_pk_fma_f32 v[8:9], v[198:199], v[48:49], v[8:9] op_sel:[1,0,0] op_sel_hi:[0,1,0]
	v_pk_mul_f32 v[196:197], v[200:201], v[2:3] op_sel:[0,1]
	s_wait_dscnt 0x1
	v_pk_mul_f32 v[202:203], v[188:189], v[2:3] op_sel:[0,1]
	v_pk_add_f32 v[142:143], v[142:143], v[10:11] neg_lo:[0,1] neg_hi:[0,1]
	v_pk_fma_f32 v[10:11], v[198:199], v[48:49], v[194:195] op_sel_hi:[1,1,0] neg_lo:[0,0,1] neg_hi:[0,0,1]
	v_pk_mul_f32 v[198:199], v[186:187], v[2:3] op_sel:[0,1]
	v_mov_b32_e32 v11, v9
	v_pk_fma_f32 v[8:9], v[200:201], v[0:1], v[196:197] op_sel:[0,0,1] op_sel_hi:[1,0,0]
	v_pk_fma_f32 v[200:201], v[200:201], v[0:1], v[196:197] op_sel:[0,0,1] op_sel_hi:[1,1,0] neg_lo:[0,0,1] neg_hi:[0,0,1]
	ds_load_2addr_b64 v[194:197], v6 offset0:40 offset1:41
	v_pk_fma_f32 v[204:205], v[186:187], v[0:1], v[198:199] op_sel:[0,0,1] op_sel_hi:[1,0,0]
	v_pk_fma_f32 v[186:187], v[186:187], v[0:1], v[198:199] op_sel:[0,0,1] op_sel_hi:[1,1,0] neg_lo:[0,0,1] neg_hi:[0,0,1]
	ds_load_b64 v[198:199], v6 offset:336
	v_mov_b32_e32 v201, v9
	v_pk_fma_f32 v[8:9], v[188:189], v[0:1], v[202:203] op_sel:[0,0,1] op_sel_hi:[1,0,0]
	v_pk_fma_f32 v[188:189], v[188:189], v[0:1], v[202:203] op_sel:[0,0,1] op_sel_hi:[1,1,0] neg_lo:[0,0,1] neg_hi:[0,0,1]
	v_mov_b32_e32 v187, v205
	v_pk_add_f32 v[144:145], v[144:145], v[10:11] neg_lo:[0,1] neg_hi:[0,1]
	v_pk_add_f32 v[140:141], v[140:141], v[200:201] neg_lo:[0,1] neg_hi:[0,1]
	v_mov_b32_e32 v189, v9
	s_wait_dscnt 0x2
	v_pk_mul_f32 v[8:9], v[190:191], v[2:3] op_sel:[0,1]
	v_pk_add_f32 v[166:167], v[166:167], v[186:187] neg_lo:[0,1] neg_hi:[0,1]
	v_dual_mov_b32 v186, v193 :: v_dual_mov_b32 v187, v192
	v_pk_add_f32 v[160:161], v[160:161], v[188:189] neg_lo:[0,1] neg_hi:[0,1]
	s_delay_alu instid0(VALU_DEP_4)
	v_pk_fma_f32 v[10:11], v[190:191], v[0:1], v[8:9] op_sel:[0,0,1] op_sel_hi:[1,0,0]
	v_dual_mul_f32 v10, v193, v0 :: v_dual_mul_f32 v188, v193, v3
	v_pk_fma_f32 v[8:9], v[190:191], v[0:1], v[8:9] op_sel:[0,0,1] op_sel_hi:[1,1,0] neg_lo:[0,0,1] neg_hi:[0,0,1]
	s_wait_dscnt 0x1
	v_pk_mul_f32 v[190:191], v[194:195], v[2:3] op_sel:[0,1]
	v_mov_b32_e32 v9, v11
	v_pk_fma_f32 v[10:11], v[186:187], v[48:49], v[10:11] op_sel_hi:[1,1,0]
	v_pk_mul_f32 v[186:187], v[196:197], v[2:3] op_sel:[0,1]
	s_wait_dscnt 0x0
	v_pk_mul_f32 v[2:3], v[198:199], v[2:3] op_sel:[0,1]
	v_pk_fma_f32 v[188:189], v[192:193], v[48:49], v[188:189] op_sel_hi:[1,1,0] neg_lo:[0,0,1] neg_hi:[0,0,1]
	v_pk_fma_f32 v[192:193], v[194:195], v[0:1], v[190:191] op_sel:[0,0,1] op_sel_hi:[1,0,0]
	v_mov_b32_e32 v189, v11
	v_pk_fma_f32 v[10:11], v[196:197], v[0:1], v[186:187] op_sel:[0,0,1] op_sel_hi:[1,0,0]
	v_pk_fma_f32 v[190:191], v[194:195], v[0:1], v[190:191] op_sel:[0,0,1] op_sel_hi:[1,1,0] neg_lo:[0,0,1] neg_hi:[0,0,1]
	v_pk_fma_f32 v[194:195], v[198:199], v[0:1], v[2:3] op_sel:[0,0,1] op_sel_hi:[1,0,0]
	v_pk_fma_f32 v[186:187], v[196:197], v[0:1], v[186:187] op_sel:[0,0,1] op_sel_hi:[1,1,0] neg_lo:[0,0,1] neg_hi:[0,0,1]
	v_pk_fma_f32 v[0:1], v[198:199], v[0:1], v[2:3] op_sel:[0,0,1] op_sel_hi:[1,1,0] neg_lo:[0,0,1] neg_hi:[0,0,1]
	v_dual_mov_b32 v191, v193 :: v_dual_mov_b32 v187, v11
	s_delay_alu instid0(VALU_DEP_4) | instskip(SKIP_2) | instid1(VALU_DEP_4)
	v_mov_b32_e32 v1, v195
	v_pk_add_f32 v[164:165], v[164:165], v[8:9] neg_lo:[0,1] neg_hi:[0,1]
	v_pk_add_f32 v[158:159], v[158:159], v[188:189] neg_lo:[0,1] neg_hi:[0,1]
	;; [unrolled: 1-line block ×5, first 2 shown]
.LBB85_55:
	s_or_b32 exec_lo, exec_lo, s1
	s_delay_alu instid0(SALU_CYCLE_1)
	s_mov_b32 s2, exec_lo
	s_wait_dscnt 0x0
	s_barrier_signal -1
	s_barrier_wait -1
	v_cmpx_eq_u32_e32 6, v32
	s_cbranch_execz .LBB85_62
; %bb.56:
	ds_store_b64 v33, v[28:29]
	ds_store_2addr_b64 v6, v[46:47], v[72:73] offset0:7 offset1:8
	ds_store_2addr_b64 v6, v[68:69], v[70:71] offset0:9 offset1:10
	;; [unrolled: 1-line block ×18, first 2 shown]
	ds_load_b64 v[0:1], v33
	s_wait_dscnt 0x0
	v_cmp_neq_f32_e32 vcc_lo, 0, v0
	v_cmp_neq_f32_e64 s1, 0, v1
	s_or_b32 s1, vcc_lo, s1
	s_delay_alu instid0(SALU_CYCLE_1)
	s_and_b32 exec_lo, exec_lo, s1
	s_cbranch_execz .LBB85_62
; %bb.57:
	v_cmp_ngt_f32_e64 s1, |v0|, |v1|
                                        ; implicit-def: $vgpr2_vgpr3
	s_and_saveexec_b32 s4, s1
	s_delay_alu instid0(SALU_CYCLE_1)
	s_xor_b32 s1, exec_lo, s4
	s_cbranch_execz .LBB85_59
; %bb.58:
	v_div_scale_f32 v2, null, v1, v1, v0
	v_div_scale_f32 v8, vcc_lo, v0, v1, v0
	s_delay_alu instid0(VALU_DEP_2) | instskip(SKIP_1) | instid1(TRANS32_DEP_1)
	v_rcp_f32_e32 v3, v2
	v_nop
	v_fma_f32 v7, -v2, v3, 1.0
	s_delay_alu instid0(VALU_DEP_1) | instskip(NEXT) | instid1(VALU_DEP_1)
	v_fmac_f32_e32 v3, v7, v3
	v_mul_f32_e32 v7, v8, v3
	s_delay_alu instid0(VALU_DEP_1) | instskip(NEXT) | instid1(VALU_DEP_1)
	v_fma_f32 v9, -v2, v7, v8
	v_fmac_f32_e32 v7, v9, v3
	s_delay_alu instid0(VALU_DEP_1) | instskip(NEXT) | instid1(VALU_DEP_1)
	v_fma_f32 v2, -v2, v7, v8
	v_div_fmas_f32 v2, v2, v3, v7
	s_delay_alu instid0(VALU_DEP_1) | instskip(NEXT) | instid1(VALU_DEP_1)
	v_div_fixup_f32 v2, v2, v1, v0
	v_fmac_f32_e32 v1, v0, v2
	s_delay_alu instid0(VALU_DEP_1) | instskip(SKIP_1) | instid1(VALU_DEP_2)
	v_div_scale_f32 v0, null, v1, v1, 1.0
	v_div_scale_f32 v8, vcc_lo, 1.0, v1, 1.0
	v_rcp_f32_e32 v3, v0
	v_nop
	s_delay_alu instid0(TRANS32_DEP_1) | instskip(NEXT) | instid1(VALU_DEP_1)
	v_fma_f32 v7, -v0, v3, 1.0
	v_fmac_f32_e32 v3, v7, v3
	s_delay_alu instid0(VALU_DEP_1) | instskip(NEXT) | instid1(VALU_DEP_1)
	v_mul_f32_e32 v7, v8, v3
	v_fma_f32 v9, -v0, v7, v8
	s_delay_alu instid0(VALU_DEP_1) | instskip(NEXT) | instid1(VALU_DEP_1)
	v_fmac_f32_e32 v7, v9, v3
	v_fma_f32 v0, -v0, v7, v8
	s_delay_alu instid0(VALU_DEP_1) | instskip(NEXT) | instid1(VALU_DEP_1)
	v_div_fmas_f32 v0, v0, v3, v7
	v_div_fixup_f32 v0, v0, v1, 1.0
	s_delay_alu instid0(VALU_DEP_1)
	v_mul_f32_e32 v2, v2, v0
	v_xor_b32_e32 v3, 0x80000000, v0
                                        ; implicit-def: $vgpr0_vgpr1
.LBB85_59:
	s_and_not1_saveexec_b32 s1, s1
	s_cbranch_execz .LBB85_61
; %bb.60:
	v_div_scale_f32 v2, null, v0, v0, v1
	v_div_scale_f32 v8, vcc_lo, v1, v0, v1
	s_delay_alu instid0(VALU_DEP_2) | instskip(SKIP_1) | instid1(TRANS32_DEP_1)
	v_rcp_f32_e32 v3, v2
	v_nop
	v_fma_f32 v7, -v2, v3, 1.0
	s_delay_alu instid0(VALU_DEP_1) | instskip(NEXT) | instid1(VALU_DEP_1)
	v_fmac_f32_e32 v3, v7, v3
	v_mul_f32_e32 v7, v8, v3
	s_delay_alu instid0(VALU_DEP_1) | instskip(NEXT) | instid1(VALU_DEP_1)
	v_fma_f32 v9, -v2, v7, v8
	v_fmac_f32_e32 v7, v9, v3
	s_delay_alu instid0(VALU_DEP_1) | instskip(NEXT) | instid1(VALU_DEP_1)
	v_fma_f32 v2, -v2, v7, v8
	v_div_fmas_f32 v2, v2, v3, v7
	s_delay_alu instid0(VALU_DEP_1) | instskip(NEXT) | instid1(VALU_DEP_1)
	v_div_fixup_f32 v3, v2, v0, v1
	v_fmac_f32_e32 v0, v1, v3
	s_delay_alu instid0(VALU_DEP_1) | instskip(NEXT) | instid1(VALU_DEP_1)
	v_div_scale_f32 v1, null, v0, v0, 1.0
	v_rcp_f32_e32 v2, v1
	v_nop
	s_delay_alu instid0(TRANS32_DEP_1) | instskip(NEXT) | instid1(VALU_DEP_1)
	v_fma_f32 v7, -v1, v2, 1.0
	v_fmac_f32_e32 v2, v7, v2
	v_div_scale_f32 v7, vcc_lo, 1.0, v0, 1.0
	s_delay_alu instid0(VALU_DEP_1) | instskip(NEXT) | instid1(VALU_DEP_1)
	v_mul_f32_e32 v8, v7, v2
	v_fma_f32 v9, -v1, v8, v7
	s_delay_alu instid0(VALU_DEP_1) | instskip(NEXT) | instid1(VALU_DEP_1)
	v_fmac_f32_e32 v8, v9, v2
	v_fma_f32 v1, -v1, v8, v7
	s_delay_alu instid0(VALU_DEP_1) | instskip(NEXT) | instid1(VALU_DEP_1)
	v_div_fmas_f32 v1, v1, v2, v8
	v_div_fixup_f32 v2, v1, v0, 1.0
	s_delay_alu instid0(VALU_DEP_1)
	v_mul_f32_e64 v3, v3, -v2
.LBB85_61:
	s_or_b32 exec_lo, exec_lo, s1
	ds_store_b64 v33, v[2:3]
.LBB85_62:
	s_or_b32 exec_lo, exec_lo, s2
	s_wait_dscnt 0x0
	s_barrier_signal -1
	s_barrier_wait -1
	ds_load_b64 v[186:187], v33
	s_mov_b32 s1, exec_lo
	v_cmpx_lt_u32_e32 6, v32
	s_cbranch_execz .LBB85_64
; %bb.63:
	ds_load_2addr_b64 v[188:191], v6 offset0:7 offset1:8
	ds_load_2addr_b64 v[192:195], v6 offset0:9 offset1:10
	;; [unrolled: 1-line block ×3, first 2 shown]
	s_wait_dscnt 0x3
	v_pk_mul_f32 v[2:3], v[186:187], v[28:29] op_sel:[1,1] op_sel_hi:[0,1]
	ds_load_2addr_b64 v[200:203], v6 offset0:13 offset1:14
	ds_load_2addr_b64 v[204:207], v6 offset0:15 offset1:16
	v_pk_fma_f32 v[0:1], v[186:187], v[28:29], v[2:3] op_sel_hi:[1,0,1] neg_lo:[0,0,1] neg_hi:[0,0,1]
	v_pk_fma_f32 v[2:3], v[186:187], v[28:29], v[2:3] op_sel_hi:[1,0,1]
	s_delay_alu instid0(VALU_DEP_1) | instskip(SKIP_1) | instid1(VALU_DEP_2)
	v_dual_mov_b32 v28, v0 :: v_dual_mov_b32 v29, v3
	s_wait_dscnt 0x4
	v_pk_mul_f32 v[8:9], v[188:189], v[2:3] op_sel:[0,1]
	v_pk_mul_f32 v[10:11], v[190:191], v[2:3] op_sel:[0,1]
	s_wait_dscnt 0x3
	v_pk_mul_f32 v[208:209], v[192:193], v[2:3] op_sel:[0,1]
	s_wait_dscnt 0x2
	v_pk_mul_f32 v[216:217], v[196:197], v[2:3] op_sel:[0,1]
	v_dual_mov_b32 v210, v195 :: v_dual_mov_b32 v211, v194
	v_pk_fma_f32 v[222:223], v[188:189], v[0:1], v[8:9] op_sel:[0,0,1] op_sel_hi:[1,1,0] neg_lo:[0,0,1] neg_hi:[0,0,1]
	v_pk_fma_f32 v[8:9], v[188:189], v[0:1], v[8:9] op_sel:[0,0,1] op_sel_hi:[1,0,0]
	v_dual_mul_f32 v212, v195, v3 :: v_dual_mul_f32 v214, v195, v0
	v_pk_mul_f32 v[218:219], v[198:199], v[2:3] op_sel:[0,1]
	v_pk_fma_f32 v[188:189], v[190:191], v[0:1], v[10:11] op_sel:[0,0,1] op_sel_hi:[1,1,0] neg_lo:[0,0,1] neg_hi:[0,0,1]
	v_pk_fma_f32 v[10:11], v[190:191], v[0:1], v[10:11] op_sel:[0,0,1] op_sel_hi:[1,0,0]
	v_pk_fma_f32 v[190:191], v[192:193], v[0:1], v[208:209] op_sel:[0,0,1] op_sel_hi:[1,1,0] neg_lo:[0,0,1] neg_hi:[0,0,1]
	v_pk_fma_f32 v[192:193], v[192:193], v[0:1], v[208:209] op_sel:[0,0,1] op_sel_hi:[1,0,0]
	s_wait_dscnt 0x1
	v_pk_mul_f32 v[220:221], v[200:201], v[2:3] op_sel:[0,1]
	v_dual_mov_b32 v223, v9 :: v_dual_mov_b32 v189, v11
	v_pk_fma_f32 v[8:9], v[196:197], v[0:1], v[216:217] op_sel:[0,0,1] op_sel_hi:[1,0,0]
	v_pk_fma_f32 v[208:209], v[210:211], v[28:29], v[214:215] op_sel_hi:[1,1,0]
	v_mov_b32_e32 v191, v193
	v_pk_fma_f32 v[10:11], v[196:197], v[0:1], v[216:217] op_sel:[0,0,1] op_sel_hi:[1,1,0] neg_lo:[0,0,1] neg_hi:[0,0,1]
	v_pk_fma_f32 v[192:193], v[198:199], v[0:1], v[218:219] op_sel:[0,0,1] op_sel_hi:[1,0,0]
	v_mov_b32_e32 v11, v9
	v_pk_fma_f32 v[8:9], v[200:201], v[0:1], v[220:221] op_sel:[0,0,1] op_sel_hi:[1,0,0]
	v_pk_fma_f32 v[194:195], v[194:195], v[28:29], v[212:213] op_sel_hi:[1,1,0] neg_lo:[0,0,1] neg_hi:[0,0,1]
	v_pk_fma_f32 v[196:197], v[198:199], v[0:1], v[218:219] op_sel:[0,0,1] op_sel_hi:[1,1,0] neg_lo:[0,0,1] neg_hi:[0,0,1]
	v_mov_b32_e32 v195, v209
	v_pk_add_f32 v[72:73], v[72:73], v[188:189] neg_lo:[0,1] neg_hi:[0,1]
	v_pk_add_f32 v[68:69], v[68:69], v[190:191] neg_lo:[0,1] neg_hi:[0,1]
	ds_load_2addr_b64 v[188:191], v6 offset0:17 offset1:18
	v_mov_b32_e32 v197, v193
	v_pk_fma_f32 v[192:193], v[200:201], v[0:1], v[220:221] op_sel:[0,0,1] op_sel_hi:[1,1,0] neg_lo:[0,0,1] neg_hi:[0,0,1]
	v_mov_b32_e32 v193, v9
	v_pk_mul_f32 v[8:9], v[202:203], v[2:3] op_sel:[0,1]
	v_pk_add_f32 v[66:67], v[66:67], v[10:11] neg_lo:[0,1] neg_hi:[0,1]
	v_pk_add_f32 v[64:65], v[64:65], v[196:197] neg_lo:[0,1] neg_hi:[0,1]
	s_wait_dscnt 0x1
	v_mul_f32_e32 v10, v205, v0
	v_pk_mul_f32 v[198:199], v[206:207], v[2:3] op_sel:[0,1]
	v_pk_fma_f32 v[196:197], v[202:203], v[0:1], v[8:9] op_sel:[0,0,1] op_sel_hi:[1,0,0]
	v_pk_fma_f32 v[8:9], v[202:203], v[0:1], v[8:9] op_sel:[0,0,1] op_sel_hi:[1,1,0] neg_lo:[0,0,1] neg_hi:[0,0,1]
	v_pk_add_f32 v[70:71], v[70:71], v[194:195] neg_lo:[0,1] neg_hi:[0,1]
	v_mul_f32_e32 v196, v205, v3
	v_pk_fma_f32 v[10:11], v[204:205], v[28:29], v[10:11] op_sel:[1,0,0] op_sel_hi:[0,1,0]
	v_mov_b32_e32 v9, v197
	v_pk_add_f32 v[96:97], v[96:97], v[192:193] neg_lo:[0,1] neg_hi:[0,1]
	ds_load_2addr_b64 v[192:195], v6 offset0:19 offset1:20
	v_pk_fma_f32 v[200:201], v[206:207], v[0:1], v[198:199] op_sel:[0,0,1] op_sel_hi:[1,0,0]
	v_pk_fma_f32 v[196:197], v[204:205], v[28:29], v[196:197] op_sel_hi:[1,1,0] neg_lo:[0,0,1] neg_hi:[0,0,1]
	v_pk_fma_f32 v[198:199], v[206:207], v[0:1], v[198:199] op_sel:[0,0,1] op_sel_hi:[1,1,0] neg_lo:[0,0,1] neg_hi:[0,0,1]
	v_mov_b32_e32 v197, v11
	s_wait_dscnt 0x1
	v_pk_mul_f32 v[10:11], v[188:189], v[2:3] op_sel:[0,1]
	v_mov_b32_e32 v199, v201
	v_pk_add_f32 v[98:99], v[98:99], v[8:9] neg_lo:[0,1] neg_hi:[0,1]
	v_pk_mul_f32 v[200:201], v[190:191], v[2:3] op_sel:[0,1]
	v_pk_add_f32 v[94:95], v[94:95], v[196:197] neg_lo:[0,1] neg_hi:[0,1]
	v_pk_fma_f32 v[8:9], v[188:189], v[0:1], v[10:11] op_sel:[0,0,1] op_sel_hi:[1,0,0]
	v_pk_add_f32 v[120:121], v[120:121], v[198:199] neg_lo:[0,1] neg_hi:[0,1]
	ds_load_2addr_b64 v[196:199], v6 offset0:21 offset1:22
	v_pk_fma_f32 v[10:11], v[188:189], v[0:1], v[10:11] op_sel:[0,0,1] op_sel_hi:[1,1,0] neg_lo:[0,0,1] neg_hi:[0,0,1]
	v_pk_add_f32 v[46:47], v[46:47], v[222:223] neg_lo:[0,1] neg_hi:[0,1]
	v_mov_b32_e32 v11, v9
	v_pk_fma_f32 v[8:9], v[190:191], v[0:1], v[200:201] op_sel:[0,0,1] op_sel_hi:[1,1,0] neg_lo:[0,0,1] neg_hi:[0,0,1]
	v_pk_fma_f32 v[200:201], v[190:191], v[0:1], v[200:201] op_sel:[0,0,1] op_sel_hi:[1,0,0]
	ds_load_2addr_b64 v[188:191], v6 offset0:23 offset1:24
	s_wait_dscnt 0x2
	v_pk_mul_f32 v[202:203], v[192:193], v[2:3] op_sel:[0,1]
	v_dual_mov_b32 v204, v195 :: v_dual_mov_b32 v205, v194
	v_dual_mul_f32 v200, v195, v0 :: v_dual_mov_b32 v9, v201
	v_pk_add_f32 v[116:117], v[116:117], v[10:11] neg_lo:[0,1] neg_hi:[0,1]
	s_delay_alu instid0(VALU_DEP_4) | instskip(SKIP_1) | instid1(VALU_DEP_4)
	v_pk_fma_f32 v[10:11], v[192:193], v[0:1], v[202:203] op_sel:[0,0,1] op_sel_hi:[1,0,0]
	v_mul_f32_e32 v10, v195, v3
	v_pk_fma_f32 v[200:201], v[204:205], v[28:29], v[200:201] op_sel_hi:[1,1,0]
	v_pk_add_f32 v[118:119], v[118:119], v[8:9] neg_lo:[0,1] neg_hi:[0,1]
	v_pk_fma_f32 v[8:9], v[192:193], v[0:1], v[202:203] op_sel:[0,0,1] op_sel_hi:[1,1,0] neg_lo:[0,0,1] neg_hi:[0,0,1]
	v_mov_b32_e32 v9, v11
	v_pk_fma_f32 v[10:11], v[194:195], v[28:29], v[10:11] op_sel_hi:[1,1,0] neg_lo:[0,0,1] neg_hi:[0,0,1]
	s_wait_dscnt 0x1
	v_pk_mul_f32 v[204:205], v[196:197], v[2:3] op_sel:[0,1]
	v_pk_mul_f32 v[206:207], v[198:199], v[2:3] op_sel:[0,1]
	ds_load_2addr_b64 v[192:195], v6 offset0:25 offset1:26
	v_mov_b32_e32 v11, v201
	v_pk_add_f32 v[54:55], v[54:55], v[8:9] neg_lo:[0,1] neg_hi:[0,1]
	v_pk_fma_f32 v[8:9], v[196:197], v[0:1], v[204:205] op_sel:[0,0,1] op_sel_hi:[1,0,0]
	v_pk_fma_f32 v[208:209], v[198:199], v[0:1], v[206:207] op_sel:[0,0,1] op_sel_hi:[1,0,0]
	ds_load_2addr_b64 v[200:203], v6 offset0:27 offset1:28
	v_pk_add_f32 v[84:85], v[84:85], v[10:11] neg_lo:[0,1] neg_hi:[0,1]
	s_wait_dscnt 0x2
	v_pk_mul_f32 v[10:11], v[188:189], v[2:3] op_sel:[0,1]
	v_pk_fma_f32 v[196:197], v[196:197], v[0:1], v[204:205] op_sel:[0,0,1] op_sel_hi:[1,1,0] neg_lo:[0,0,1] neg_hi:[0,0,1]
	v_pk_fma_f32 v[198:199], v[198:199], v[0:1], v[206:207] op_sel:[0,0,1] op_sel_hi:[1,1,0] neg_lo:[0,0,1] neg_hi:[0,0,1]
	v_dual_mov_b32 v197, v9 :: v_dual_mov_b32 v199, v209
	s_delay_alu instid0(VALU_DEP_4) | instskip(SKIP_2) | instid1(VALU_DEP_4)
	v_pk_fma_f32 v[8:9], v[188:189], v[0:1], v[10:11] op_sel:[0,0,1] op_sel_hi:[1,0,0]
	v_pk_mul_f32 v[204:205], v[190:191], v[2:3] op_sel:[0,1]
	v_pk_fma_f32 v[10:11], v[188:189], v[0:1], v[10:11] op_sel:[0,0,1] op_sel_hi:[1,1,0] neg_lo:[0,0,1] neg_hi:[0,0,1]
	v_pk_add_f32 v[80:81], v[80:81], v[196:197] neg_lo:[0,1] neg_hi:[0,1]
	v_pk_add_f32 v[82:83], v[82:83], v[198:199] neg_lo:[0,1] neg_hi:[0,1]
	ds_load_2addr_b64 v[196:199], v6 offset0:29 offset1:30
	v_mov_b32_e32 v11, v9
	v_pk_fma_f32 v[8:9], v[190:191], v[0:1], v[204:205] op_sel:[0,0,1] op_sel_hi:[1,0,0]
	s_wait_dscnt 0x2
	v_dual_mul_f32 v8, v193, v0 :: v_dual_mul_f32 v188, v193, v3
	s_delay_alu instid0(VALU_DEP_3) | instskip(SKIP_2) | instid1(VALU_DEP_4)
	v_pk_add_f32 v[78:79], v[78:79], v[10:11] neg_lo:[0,1] neg_hi:[0,1]
	v_pk_fma_f32 v[10:11], v[190:191], v[0:1], v[204:205] op_sel:[0,0,1] op_sel_hi:[1,1,0] neg_lo:[0,0,1] neg_hi:[0,0,1]
	v_mov_b32_e32 v11, v9
	v_pk_fma_f32 v[8:9], v[192:193], v[28:29], v[8:9] op_sel:[1,0,0] op_sel_hi:[0,1,0]
	s_wait_dscnt 0x1
	v_pk_mul_f32 v[206:207], v[200:201], v[2:3] op_sel:[0,1]
	v_pk_mul_f32 v[204:205], v[194:195], v[2:3] op_sel:[0,1]
	v_pk_add_f32 v[106:107], v[106:107], v[10:11] neg_lo:[0,1] neg_hi:[0,1]
	v_pk_fma_f32 v[10:11], v[192:193], v[28:29], v[188:189] op_sel_hi:[1,1,0] neg_lo:[0,0,1] neg_hi:[0,0,1]
	v_mov_b32_e32 v11, v9
	v_pk_fma_f32 v[8:9], v[200:201], v[0:1], v[206:207] op_sel:[0,0,1] op_sel_hi:[1,0,0]
	ds_load_2addr_b64 v[188:191], v6 offset0:31 offset1:32
	v_pk_fma_f32 v[200:201], v[200:201], v[0:1], v[206:207] op_sel:[0,0,1] op_sel_hi:[1,1,0] neg_lo:[0,0,1] neg_hi:[0,0,1]
	v_pk_fma_f32 v[192:193], v[194:195], v[0:1], v[204:205] op_sel:[0,0,1] op_sel_hi:[1,0,0]
	v_pk_fma_f32 v[194:195], v[194:195], v[0:1], v[204:205] op_sel:[0,0,1] op_sel_hi:[1,1,0] neg_lo:[0,0,1] neg_hi:[0,0,1]
	v_mov_b32_e32 v201, v9
	s_wait_dscnt 0x1
	v_pk_mul_f32 v[8:9], v[196:197], v[2:3] op_sel:[0,1]
	v_mov_b32_e32 v195, v193
	v_pk_mul_f32 v[192:193], v[202:203], v[2:3] op_sel:[0,1]
	v_pk_add_f32 v[100:101], v[100:101], v[200:201] neg_lo:[0,1] neg_hi:[0,1]
	s_delay_alu instid0(VALU_DEP_4) | instskip(SKIP_2) | instid1(VALU_DEP_3)
	v_pk_fma_f32 v[200:201], v[196:197], v[0:1], v[8:9] op_sel:[0,0,1] op_sel_hi:[1,0,0]
	v_pk_fma_f32 v[8:9], v[196:197], v[0:1], v[8:9] op_sel:[0,0,1] op_sel_hi:[1,1,0] neg_lo:[0,0,1] neg_hi:[0,0,1]
	v_pk_add_f32 v[104:105], v[104:105], v[194:195] neg_lo:[0,1] neg_hi:[0,1]
	v_dual_mul_f32 v196, v199, v0 :: v_dual_mov_b32 v9, v201
	v_pk_add_f32 v[102:103], v[102:103], v[10:11] neg_lo:[0,1] neg_hi:[0,1]
	v_pk_fma_f32 v[10:11], v[202:203], v[0:1], v[192:193] op_sel:[0,0,1] op_sel_hi:[1,0,0]
	v_pk_fma_f32 v[202:203], v[202:203], v[0:1], v[192:193] op_sel:[0,0,1] op_sel_hi:[1,1,0] neg_lo:[0,0,1] neg_hi:[0,0,1]
	ds_load_2addr_b64 v[192:195], v6 offset0:33 offset1:34
	v_mov_b32_e32 v10, v199
	s_wait_dscnt 0x1
	v_pk_mul_f32 v[204:205], v[188:189], v[2:3] op_sel:[0,1]
	v_dual_mov_b32 v203, v11 :: v_dual_mov_b32 v11, v198
	v_pk_add_f32 v[124:125], v[124:125], v[8:9] neg_lo:[0,1] neg_hi:[0,1]
	v_pk_mul_f32 v[206:207], v[190:191], v[2:3] op_sel:[0,1]
	s_delay_alu instid0(VALU_DEP_3) | instskip(SKIP_4) | instid1(VALU_DEP_1)
	v_pk_add_f32 v[128:129], v[128:129], v[202:203] neg_lo:[0,1] neg_hi:[0,1]
	ds_load_2addr_b64 v[200:203], v6 offset0:35 offset1:36
	v_pk_fma_f32 v[10:11], v[10:11], v[28:29], v[196:197] op_sel_hi:[1,1,0]
	v_pk_fma_f32 v[196:197], v[188:189], v[0:1], v[204:205] op_sel:[0,0,1] op_sel_hi:[1,0,0]
	v_mul_f32_e32 v8, v199, v3
	v_pk_fma_f32 v[8:9], v[198:199], v[28:29], v[8:9] op_sel_hi:[1,1,0] neg_lo:[0,0,1] neg_hi:[0,0,1]
	v_pk_fma_f32 v[198:199], v[190:191], v[0:1], v[206:207] op_sel:[0,0,1] op_sel_hi:[1,0,0]
	v_mov_b32_e32 v9, v11
	v_pk_fma_f32 v[10:11], v[188:189], v[0:1], v[204:205] op_sel:[0,0,1] op_sel_hi:[1,1,0] neg_lo:[0,0,1] neg_hi:[0,0,1]
	v_mov_b32_e32 v11, v197
	s_wait_dscnt 0x1
	v_pk_mul_f32 v[204:205], v[192:193], v[2:3] op_sel:[0,1]
	v_pk_fma_f32 v[196:197], v[190:191], v[0:1], v[206:207] op_sel:[0,0,1] op_sel_hi:[1,1,0] neg_lo:[0,0,1] neg_hi:[0,0,1]
	ds_load_2addr_b64 v[188:191], v6 offset0:37 offset1:38
	v_mov_b32_e32 v197, v199
	v_pk_add_f32 v[126:127], v[126:127], v[8:9] neg_lo:[0,1] neg_hi:[0,1]
	v_pk_mul_f32 v[8:9], v[194:195], v[2:3] op_sel:[0,1]
	v_pk_add_f32 v[122:123], v[122:123], v[10:11] neg_lo:[0,1] neg_hi:[0,1]
	v_pk_fma_f32 v[10:11], v[192:193], v[0:1], v[204:205] op_sel:[0,0,1] op_sel_hi:[1,0,0]
	v_pk_add_f32 v[146:147], v[146:147], v[196:197] neg_lo:[0,1] neg_hi:[0,1]
	ds_load_2addr_b64 v[196:199], v6 offset0:39 offset1:40
	v_pk_fma_f32 v[192:193], v[192:193], v[0:1], v[204:205] op_sel:[0,0,1] op_sel_hi:[1,1,0] neg_lo:[0,0,1] neg_hi:[0,0,1]
	v_pk_fma_f32 v[204:205], v[194:195], v[0:1], v[8:9] op_sel:[0,0,1] op_sel_hi:[1,0,0]
	s_wait_dscnt 0x2
	v_dual_mov_b32 v193, v11 :: v_dual_mul_f32 v10, v201, v0
	v_pk_fma_f32 v[8:9], v[194:195], v[0:1], v[8:9] op_sel:[0,0,1] op_sel_hi:[1,1,0] neg_lo:[0,0,1] neg_hi:[0,0,1]
	s_delay_alu instid0(VALU_DEP_3) | instskip(NEXT) | instid1(VALU_DEP_3)
	v_mov_b32_e32 v9, v205
	v_pk_add_f32 v[142:143], v[142:143], v[192:193] neg_lo:[0,1] neg_hi:[0,1]
	s_delay_alu instid0(VALU_DEP_4) | instskip(SKIP_3) | instid1(VALU_DEP_3)
	v_pk_fma_f32 v[10:11], v[200:201], v[28:29], v[10:11] op_sel:[1,0,0] op_sel_hi:[0,1,0]
	v_mul_f32_e32 v194, v201, v3
	v_pk_mul_f32 v[192:193], v[202:203], v[2:3] op_sel:[0,1]
	v_pk_add_f32 v[144:145], v[144:145], v[8:9] neg_lo:[0,1] neg_hi:[0,1]
	v_pk_fma_f32 v[8:9], v[200:201], v[28:29], v[194:195] op_sel_hi:[1,1,0] neg_lo:[0,0,1] neg_hi:[0,0,1]
	s_delay_alu instid0(VALU_DEP_3)
	v_pk_fma_f32 v[204:205], v[202:203], v[0:1], v[192:193] op_sel:[0,0,1] op_sel_hi:[1,0,0]
	v_mov_b32_e32 v9, v11
	v_pk_fma_f32 v[10:11], v[202:203], v[0:1], v[192:193] op_sel:[0,0,1] op_sel_hi:[1,1,0] neg_lo:[0,0,1] neg_hi:[0,0,1]
	ds_load_2addr_b64 v[192:195], v6 offset0:41 offset1:42
	s_wait_dscnt 0x2
	v_pk_mul_f32 v[200:201], v[188:189], v[2:3] op_sel:[0,1]
	v_mov_b32_e32 v11, v205
	v_pk_mul_f32 v[204:205], v[190:191], v[2:3] op_sel:[0,1]
	v_pk_add_f32 v[140:141], v[140:141], v[8:9] neg_lo:[0,1] neg_hi:[0,1]
	s_delay_alu instid0(VALU_DEP_4)
	v_pk_fma_f32 v[202:203], v[188:189], v[0:1], v[200:201] op_sel:[0,0,1] op_sel_hi:[1,0,0]
	v_pk_fma_f32 v[188:189], v[188:189], v[0:1], v[200:201] op_sel:[0,0,1] op_sel_hi:[1,1,0] neg_lo:[0,0,1] neg_hi:[0,0,1]
	s_wait_dscnt 0x1
	v_pk_mul_f32 v[200:201], v[196:197], v[2:3] op_sel:[0,1]
	v_pk_add_f32 v[166:167], v[166:167], v[10:11] neg_lo:[0,1] neg_hi:[0,1]
	v_pk_fma_f32 v[8:9], v[190:191], v[0:1], v[204:205] op_sel:[0,0,1] op_sel_hi:[1,0,0]
	s_delay_alu instid0(VALU_DEP_3) | instskip(SKIP_1) | instid1(VALU_DEP_1)
	v_pk_fma_f32 v[10:11], v[196:197], v[0:1], v[200:201] op_sel:[0,0,1] op_sel_hi:[1,0,0]
	v_dual_mov_b32 v189, v203 :: v_dual_mov_b32 v10, v199
	v_pk_add_f32 v[160:161], v[160:161], v[188:189] neg_lo:[0,1] neg_hi:[0,1]
	v_pk_fma_f32 v[188:189], v[190:191], v[0:1], v[204:205] op_sel:[0,0,1] op_sel_hi:[1,1,0] neg_lo:[0,0,1] neg_hi:[0,0,1]
	v_mov_b32_e32 v189, v9
	v_pk_fma_f32 v[8:9], v[196:197], v[0:1], v[200:201] op_sel:[0,0,1] op_sel_hi:[1,1,0] neg_lo:[0,0,1] neg_hi:[0,0,1]
	v_dual_mov_b32 v9, v11 :: v_dual_mov_b32 v11, v198
	v_dual_mul_f32 v190, v199, v3 :: v_dual_mul_f32 v196, v199, v0
	s_wait_dscnt 0x0
	v_mov_b32_e32 v203, v194
	v_pk_mul_f32 v[200:201], v[192:193], v[2:3] op_sel:[0,1]
	v_dual_mov_b32 v202, v195 :: v_dual_mul_f32 v2, v195, v0
	v_pk_fma_f32 v[10:11], v[10:11], v[28:29], v[196:197] op_sel_hi:[1,1,0]
	v_pk_fma_f32 v[190:191], v[198:199], v[28:29], v[190:191] op_sel_hi:[1,1,0] neg_lo:[0,0,1] neg_hi:[0,0,1]
	s_delay_alu instid0(VALU_DEP_4) | instskip(SKIP_3) | instid1(VALU_DEP_4)
	v_pk_fma_f32 v[196:197], v[192:193], v[0:1], v[200:201] op_sel:[0,0,1] op_sel_hi:[1,0,0]
	v_mul_f32_e32 v10, v195, v3
	v_pk_fma_f32 v[2:3], v[202:203], v[28:29], v[2:3] op_sel_hi:[1,1,0]
	v_pk_fma_f32 v[0:1], v[192:193], v[0:1], v[200:201] op_sel:[0,0,1] op_sel_hi:[1,1,0] neg_lo:[0,0,1] neg_hi:[0,0,1]
	v_dual_mov_b32 v191, v11 :: v_dual_mov_b32 v1, v197
	s_delay_alu instid0(VALU_DEP_4) | instskip(NEXT) | instid1(VALU_DEP_4)
	v_pk_fma_f32 v[10:11], v[194:195], v[28:29], v[10:11] op_sel_hi:[1,1,0] neg_lo:[0,0,1] neg_hi:[0,0,1]
	v_mov_b32_e32 v11, v3
	v_pk_add_f32 v[164:165], v[164:165], v[188:189] neg_lo:[0,1] neg_hi:[0,1]
	v_pk_add_f32 v[158:159], v[158:159], v[8:9] neg_lo:[0,1] neg_hi:[0,1]
	;; [unrolled: 1-line block ×5, first 2 shown]
.LBB85_64:
	s_or_b32 exec_lo, exec_lo, s1
	s_delay_alu instid0(SALU_CYCLE_1)
	s_mov_b32 s2, exec_lo
	s_wait_dscnt 0x0
	s_barrier_signal -1
	s_barrier_wait -1
	v_cmpx_eq_u32_e32 7, v32
	s_cbranch_execz .LBB85_71
; %bb.65:
	v_dual_mov_b32 v0, v72 :: v_dual_mov_b32 v1, v73
	v_dual_mov_b32 v2, v68 :: v_dual_mov_b32 v3, v69
	;; [unrolled: 1-line block ×10, first 2 shown]
	ds_store_b64 v33, v[46:47]
	v_dual_mov_b32 v200, v118 :: v_dual_mov_b32 v201, v119
	v_dual_mov_b32 v202, v54 :: v_dual_mov_b32 v203, v55
	ds_store_2addr_b64 v6, v[0:1], v[2:3] offset0:8 offset1:9
	ds_store_2addr_b64 v6, v[8:9], v[10:11] offset0:10 offset1:11
	;; [unrolled: 1-line block ×6, first 2 shown]
	v_dual_mov_b32 v0, v84 :: v_dual_mov_b32 v1, v85
	v_dual_mov_b32 v2, v80 :: v_dual_mov_b32 v3, v81
	v_dual_mov_b32 v8, v82 :: v_dual_mov_b32 v9, v83
	v_dual_mov_b32 v10, v78 :: v_dual_mov_b32 v11, v79
	v_dual_mov_b32 v188, v106 :: v_dual_mov_b32 v189, v107
	v_dual_mov_b32 v190, v102 :: v_dual_mov_b32 v191, v103
	v_dual_mov_b32 v192, v104 :: v_dual_mov_b32 v193, v105
	v_dual_mov_b32 v194, v100 :: v_dual_mov_b32 v195, v101
	v_dual_mov_b32 v196, v128 :: v_dual_mov_b32 v197, v129
	v_dual_mov_b32 v198, v124 :: v_dual_mov_b32 v199, v125
	v_dual_mov_b32 v200, v126 :: v_dual_mov_b32 v201, v127
	v_dual_mov_b32 v202, v122 :: v_dual_mov_b32 v203, v123
	ds_store_2addr_b64 v6, v[0:1], v[2:3] offset0:20 offset1:21
	ds_store_2addr_b64 v6, v[8:9], v[10:11] offset0:22 offset1:23
	ds_store_2addr_b64 v6, v[188:189], v[190:191] offset0:24 offset1:25
	ds_store_2addr_b64 v6, v[192:193], v[194:195] offset0:26 offset1:27
	ds_store_2addr_b64 v6, v[196:197], v[198:199] offset0:28 offset1:29
	ds_store_2addr_b64 v6, v[200:201], v[202:203] offset0:30 offset1:31
	v_dual_mov_b32 v0, v146 :: v_dual_mov_b32 v1, v147
	v_dual_mov_b32 v2, v142 :: v_dual_mov_b32 v3, v143
	;; [unrolled: 1-line block ×10, first 2 shown]
	ds_store_2addr_b64 v6, v[0:1], v[2:3] offset0:32 offset1:33
	ds_store_2addr_b64 v6, v[8:9], v[10:11] offset0:34 offset1:35
	;; [unrolled: 1-line block ×5, first 2 shown]
	ds_store_b64 v6, v[170:171] offset:336
	ds_load_b64 v[0:1], v33
	s_wait_dscnt 0x0
	v_cmp_neq_f32_e32 vcc_lo, 0, v0
	v_cmp_neq_f32_e64 s1, 0, v1
	s_or_b32 s1, vcc_lo, s1
	s_delay_alu instid0(SALU_CYCLE_1)
	s_and_b32 exec_lo, exec_lo, s1
	s_cbranch_execz .LBB85_71
; %bb.66:
	v_cmp_ngt_f32_e64 s1, |v0|, |v1|
                                        ; implicit-def: $vgpr2_vgpr3
	s_and_saveexec_b32 s4, s1
	s_delay_alu instid0(SALU_CYCLE_1)
	s_xor_b32 s1, exec_lo, s4
	s_cbranch_execz .LBB85_68
; %bb.67:
	v_div_scale_f32 v2, null, v1, v1, v0
	v_div_scale_f32 v8, vcc_lo, v0, v1, v0
	s_delay_alu instid0(VALU_DEP_2) | instskip(SKIP_1) | instid1(TRANS32_DEP_1)
	v_rcp_f32_e32 v3, v2
	v_nop
	v_fma_f32 v7, -v2, v3, 1.0
	s_delay_alu instid0(VALU_DEP_1) | instskip(NEXT) | instid1(VALU_DEP_1)
	v_fmac_f32_e32 v3, v7, v3
	v_mul_f32_e32 v7, v8, v3
	s_delay_alu instid0(VALU_DEP_1) | instskip(NEXT) | instid1(VALU_DEP_1)
	v_fma_f32 v9, -v2, v7, v8
	v_fmac_f32_e32 v7, v9, v3
	s_delay_alu instid0(VALU_DEP_1) | instskip(NEXT) | instid1(VALU_DEP_1)
	v_fma_f32 v2, -v2, v7, v8
	v_div_fmas_f32 v2, v2, v3, v7
	s_delay_alu instid0(VALU_DEP_1) | instskip(NEXT) | instid1(VALU_DEP_1)
	v_div_fixup_f32 v2, v2, v1, v0
	v_fmac_f32_e32 v1, v0, v2
	s_delay_alu instid0(VALU_DEP_1) | instskip(SKIP_1) | instid1(VALU_DEP_2)
	v_div_scale_f32 v0, null, v1, v1, 1.0
	v_div_scale_f32 v8, vcc_lo, 1.0, v1, 1.0
	v_rcp_f32_e32 v3, v0
	v_nop
	s_delay_alu instid0(TRANS32_DEP_1) | instskip(NEXT) | instid1(VALU_DEP_1)
	v_fma_f32 v7, -v0, v3, 1.0
	v_fmac_f32_e32 v3, v7, v3
	s_delay_alu instid0(VALU_DEP_1) | instskip(NEXT) | instid1(VALU_DEP_1)
	v_mul_f32_e32 v7, v8, v3
	v_fma_f32 v9, -v0, v7, v8
	s_delay_alu instid0(VALU_DEP_1) | instskip(NEXT) | instid1(VALU_DEP_1)
	v_fmac_f32_e32 v7, v9, v3
	v_fma_f32 v0, -v0, v7, v8
	s_delay_alu instid0(VALU_DEP_1) | instskip(NEXT) | instid1(VALU_DEP_1)
	v_div_fmas_f32 v0, v0, v3, v7
	v_div_fixup_f32 v0, v0, v1, 1.0
	s_delay_alu instid0(VALU_DEP_1)
	v_mul_f32_e32 v2, v2, v0
	v_xor_b32_e32 v3, 0x80000000, v0
                                        ; implicit-def: $vgpr0_vgpr1
.LBB85_68:
	s_and_not1_saveexec_b32 s1, s1
	s_cbranch_execz .LBB85_70
; %bb.69:
	v_div_scale_f32 v2, null, v0, v0, v1
	v_div_scale_f32 v8, vcc_lo, v1, v0, v1
	s_delay_alu instid0(VALU_DEP_2) | instskip(SKIP_1) | instid1(TRANS32_DEP_1)
	v_rcp_f32_e32 v3, v2
	v_nop
	v_fma_f32 v7, -v2, v3, 1.0
	s_delay_alu instid0(VALU_DEP_1) | instskip(NEXT) | instid1(VALU_DEP_1)
	v_fmac_f32_e32 v3, v7, v3
	v_mul_f32_e32 v7, v8, v3
	s_delay_alu instid0(VALU_DEP_1) | instskip(NEXT) | instid1(VALU_DEP_1)
	v_fma_f32 v9, -v2, v7, v8
	v_fmac_f32_e32 v7, v9, v3
	s_delay_alu instid0(VALU_DEP_1) | instskip(NEXT) | instid1(VALU_DEP_1)
	v_fma_f32 v2, -v2, v7, v8
	v_div_fmas_f32 v2, v2, v3, v7
	s_delay_alu instid0(VALU_DEP_1) | instskip(NEXT) | instid1(VALU_DEP_1)
	v_div_fixup_f32 v3, v2, v0, v1
	v_fmac_f32_e32 v0, v1, v3
	s_delay_alu instid0(VALU_DEP_1) | instskip(NEXT) | instid1(VALU_DEP_1)
	v_div_scale_f32 v1, null, v0, v0, 1.0
	v_rcp_f32_e32 v2, v1
	v_nop
	s_delay_alu instid0(TRANS32_DEP_1) | instskip(NEXT) | instid1(VALU_DEP_1)
	v_fma_f32 v7, -v1, v2, 1.0
	v_fmac_f32_e32 v2, v7, v2
	v_div_scale_f32 v7, vcc_lo, 1.0, v0, 1.0
	s_delay_alu instid0(VALU_DEP_1) | instskip(NEXT) | instid1(VALU_DEP_1)
	v_mul_f32_e32 v8, v7, v2
	v_fma_f32 v9, -v1, v8, v7
	s_delay_alu instid0(VALU_DEP_1) | instskip(NEXT) | instid1(VALU_DEP_1)
	v_fmac_f32_e32 v8, v9, v2
	v_fma_f32 v1, -v1, v8, v7
	s_delay_alu instid0(VALU_DEP_1) | instskip(NEXT) | instid1(VALU_DEP_1)
	v_div_fmas_f32 v1, v1, v2, v8
	v_div_fixup_f32 v2, v1, v0, 1.0
	s_delay_alu instid0(VALU_DEP_1)
	v_mul_f32_e64 v3, v3, -v2
.LBB85_70:
	s_or_b32 exec_lo, exec_lo, s1
	ds_store_b64 v33, v[2:3]
.LBB85_71:
	s_or_b32 exec_lo, exec_lo, s2
	s_wait_dscnt 0x0
	s_barrier_signal -1
	s_barrier_wait -1
	ds_load_b64 v[188:189], v33
	s_mov_b32 s1, exec_lo
	v_cmpx_lt_u32_e32 7, v32
	s_cbranch_execz .LBB85_73
; %bb.72:
	ds_load_2addr_b64 v[190:193], v6 offset0:8 offset1:9
	ds_load_2addr_b64 v[194:197], v6 offset0:10 offset1:11
	;; [unrolled: 1-line block ×3, first 2 shown]
	s_wait_dscnt 0x3
	v_pk_mul_f32 v[2:3], v[188:189], v[46:47] op_sel:[1,1] op_sel_hi:[0,1]
	ds_load_2addr_b64 v[202:205], v6 offset0:14 offset1:15
	ds_load_2addr_b64 v[206:209], v6 offset0:16 offset1:17
	v_pk_fma_f32 v[0:1], v[188:189], v[46:47], v[2:3] op_sel_hi:[1,0,1] neg_lo:[0,0,1] neg_hi:[0,0,1]
	v_pk_fma_f32 v[2:3], v[188:189], v[46:47], v[2:3] op_sel_hi:[1,0,1]
	s_delay_alu instid0(VALU_DEP_1) | instskip(SKIP_1) | instid1(VALU_DEP_2)
	v_dual_mov_b32 v46, v0 :: v_dual_mov_b32 v47, v3
	s_wait_dscnt 0x4
	v_pk_mul_f32 v[8:9], v[190:191], v[2:3] op_sel:[0,1]
	v_pk_mul_f32 v[10:11], v[192:193], v[2:3] op_sel:[0,1]
	s_wait_dscnt 0x3
	v_pk_mul_f32 v[210:211], v[194:195], v[2:3] op_sel:[0,1]
	v_dual_mov_b32 v212, v197 :: v_dual_mov_b32 v213, v196
	v_dual_mul_f32 v214, v197, v3 :: v_dual_mul_f32 v216, v197, v0
	s_wait_dscnt 0x2
	v_pk_mul_f32 v[218:219], v[198:199], v[2:3] op_sel:[0,1]
	v_pk_fma_f32 v[222:223], v[190:191], v[0:1], v[8:9] op_sel:[0,0,1] op_sel_hi:[1,1,0] neg_lo:[0,0,1] neg_hi:[0,0,1]
	v_pk_fma_f32 v[8:9], v[190:191], v[0:1], v[8:9] op_sel:[0,0,1] op_sel_hi:[1,0,0]
	v_pk_fma_f32 v[190:191], v[192:193], v[0:1], v[10:11] op_sel:[0,0,1] op_sel_hi:[1,1,0] neg_lo:[0,0,1] neg_hi:[0,0,1]
	v_pk_fma_f32 v[10:11], v[192:193], v[0:1], v[10:11] op_sel:[0,0,1] op_sel_hi:[1,0,0]
	;; [unrolled: 2-line block ×3, first 2 shown]
	v_pk_mul_f32 v[220:221], v[200:201], v[2:3] op_sel:[0,1]
	v_pk_fma_f32 v[210:211], v[212:213], v[46:47], v[216:217] op_sel_hi:[1,1,0]
	v_dual_mov_b32 v223, v9 :: v_dual_mov_b32 v191, v11
	v_pk_fma_f32 v[8:9], v[198:199], v[0:1], v[218:219] op_sel:[0,0,1] op_sel_hi:[1,0,0]
	v_mov_b32_e32 v193, v195
	v_pk_fma_f32 v[196:197], v[196:197], v[46:47], v[214:215] op_sel_hi:[1,1,0] neg_lo:[0,0,1] neg_hi:[0,0,1]
	v_pk_fma_f32 v[212:213], v[198:199], v[0:1], v[218:219] op_sel:[0,0,1] op_sel_hi:[1,1,0] neg_lo:[0,0,1] neg_hi:[0,0,1]
	v_mov_b32_e32 v197, v211
	v_pk_fma_f32 v[10:11], v[200:201], v[0:1], v[220:221] op_sel:[0,0,1] op_sel_hi:[1,0,0]
	v_mov_b32_e32 v213, v9
	s_wait_dscnt 0x1
	v_pk_mul_f32 v[8:9], v[202:203], v[2:3] op_sel:[0,1]
	v_pk_add_f32 v[68:69], v[68:69], v[190:191] neg_lo:[0,1] neg_hi:[0,1]
	v_pk_add_f32 v[70:71], v[70:71], v[192:193] neg_lo:[0,1] neg_hi:[0,1]
	ds_load_2addr_b64 v[190:193], v6 offset0:18 offset1:19
	v_pk_fma_f32 v[194:195], v[200:201], v[0:1], v[220:221] op_sel:[0,0,1] op_sel_hi:[1,1,0] neg_lo:[0,0,1] neg_hi:[0,0,1]
	v_mov_b32_e32 v195, v11
	v_pk_add_f32 v[66:67], v[66:67], v[196:197] neg_lo:[0,1] neg_hi:[0,1]
	v_pk_mul_f32 v[10:11], v[204:205], v[2:3] op_sel:[0,1]
	v_pk_fma_f32 v[196:197], v[202:203], v[0:1], v[8:9] op_sel:[0,0,1] op_sel_hi:[1,0,0]
	v_pk_fma_f32 v[8:9], v[202:203], v[0:1], v[8:9] op_sel:[0,0,1] op_sel_hi:[1,1,0] neg_lo:[0,0,1] neg_hi:[0,0,1]
	s_wait_dscnt 0x1
	v_pk_mul_f32 v[202:203], v[208:209], v[2:3] op_sel:[0,1]
	v_pk_add_f32 v[96:97], v[96:97], v[194:195] neg_lo:[0,1] neg_hi:[0,1]
	v_pk_fma_f32 v[198:199], v[204:205], v[0:1], v[10:11] op_sel:[0,0,1] op_sel_hi:[1,0,0]
	v_dual_mov_b32 v9, v197 :: v_dual_mul_f32 v198, v207, v0
	ds_load_2addr_b64 v[194:197], v6 offset0:20 offset1:21
	v_pk_fma_f32 v[10:11], v[204:205], v[0:1], v[10:11] op_sel:[0,0,1] op_sel_hi:[1,1,0] neg_lo:[0,0,1] neg_hi:[0,0,1]
	v_pk_fma_f32 v[204:205], v[208:209], v[0:1], v[202:203] op_sel:[0,0,1] op_sel_hi:[1,0,0]
	v_pk_add_f32 v[98:99], v[98:99], v[8:9] neg_lo:[0,1] neg_hi:[0,1]
	v_mul_f32_e32 v8, v207, v3
	v_mov_b32_e32 v11, v199
	v_pk_fma_f32 v[198:199], v[206:207], v[46:47], v[198:199] op_sel:[1,0,0] op_sel_hi:[0,1,0]
	v_pk_fma_f32 v[202:203], v[208:209], v[0:1], v[202:203] op_sel:[0,0,1] op_sel_hi:[1,1,0] neg_lo:[0,0,1] neg_hi:[0,0,1]
	v_mov_b32_e32 v203, v205
	v_pk_fma_f32 v[8:9], v[206:207], v[46:47], v[8:9] op_sel_hi:[1,1,0] neg_lo:[0,0,1] neg_hi:[0,0,1]
	s_wait_dscnt 0x1
	v_pk_mul_f32 v[206:207], v[192:193], v[2:3] op_sel:[0,1]
	v_mov_b32_e32 v9, v199
	v_pk_add_f32 v[94:95], v[94:95], v[10:11] neg_lo:[0,1] neg_hi:[0,1]
	v_pk_mul_f32 v[10:11], v[190:191], v[2:3] op_sel:[0,1]
	ds_load_2addr_b64 v[198:201], v6 offset0:22 offset1:23
	v_pk_fma_f32 v[204:205], v[192:193], v[0:1], v[206:207] op_sel:[0,0,1] op_sel_hi:[1,0,0]
	v_pk_fma_f32 v[192:193], v[192:193], v[0:1], v[206:207] op_sel:[0,0,1] op_sel_hi:[1,1,0] neg_lo:[0,0,1] neg_hi:[0,0,1]
	v_pk_add_f32 v[120:121], v[120:121], v[8:9] neg_lo:[0,1] neg_hi:[0,1]
	v_pk_fma_f32 v[210:211], v[190:191], v[0:1], v[10:11] op_sel:[0,0,1] op_sel_hi:[1,0,0]
	v_pk_fma_f32 v[10:11], v[190:191], v[0:1], v[10:11] op_sel:[0,0,1] op_sel_hi:[1,1,0] neg_lo:[0,0,1] neg_hi:[0,0,1]
	s_wait_dscnt 0x1
	v_pk_mul_f32 v[190:191], v[194:195], v[2:3] op_sel:[0,1]
	v_mov_b32_e32 v193, v205
	v_pk_add_f32 v[116:117], v[116:117], v[202:203] neg_lo:[0,1] neg_hi:[0,1]
	v_mov_b32_e32 v11, v211
	ds_load_2addr_b64 v[202:205], v6 offset0:26 offset1:27
	v_pk_fma_f32 v[8:9], v[194:195], v[0:1], v[190:191] op_sel:[0,0,1] op_sel_hi:[1,0,0]
	v_pk_add_f32 v[54:55], v[54:55], v[192:193] neg_lo:[0,1] neg_hi:[0,1]
	v_mov_b32_e32 v8, v197
	v_pk_add_f32 v[118:119], v[118:119], v[10:11] neg_lo:[0,1] neg_hi:[0,1]
	v_pk_fma_f32 v[10:11], v[194:195], v[0:1], v[190:191] op_sel:[0,0,1] op_sel_hi:[1,1,0] neg_lo:[0,0,1] neg_hi:[0,0,1]
	ds_load_2addr_b64 v[190:193], v6 offset0:24 offset1:25
	v_dual_mov_b32 v11, v9 :: v_dual_mov_b32 v9, v196
	v_mul_f32_e32 v194, v197, v0
	s_wait_dscnt 0x2
	v_pk_mul_f32 v[206:207], v[198:199], v[2:3] op_sel:[0,1]
	v_pk_mul_f32 v[210:211], v[200:201], v[2:3] op_sel:[0,1]
	v_pk_add_f32 v[84:85], v[84:85], v[10:11] neg_lo:[0,1] neg_hi:[0,1]
	v_pk_add_f32 v[72:73], v[72:73], v[222:223] neg_lo:[0,1] neg_hi:[0,1]
	v_pk_fma_f32 v[8:9], v[8:9], v[46:47], v[194:195] op_sel_hi:[1,1,0]
	v_pk_fma_f32 v[10:11], v[198:199], v[0:1], v[206:207] op_sel:[0,0,1] op_sel_hi:[1,0,0]
	v_mul_f32_e32 v208, v197, v3
	v_pk_fma_f32 v[194:195], v[200:201], v[0:1], v[210:211] op_sel:[0,0,1] op_sel_hi:[1,0,0]
	v_pk_add_f32 v[64:65], v[64:65], v[212:213] neg_lo:[0,1] neg_hi:[0,1]
	s_delay_alu instid0(VALU_DEP_3)
	v_pk_fma_f32 v[208:209], v[196:197], v[46:47], v[208:209] op_sel_hi:[1,1,0] neg_lo:[0,0,1] neg_hi:[0,0,1]
	v_mov_b32_e32 v209, v9
	v_pk_fma_f32 v[8:9], v[198:199], v[0:1], v[206:207] op_sel:[0,0,1] op_sel_hi:[1,1,0] neg_lo:[0,0,1] neg_hi:[0,0,1]
	v_mov_b32_e32 v9, v11
	v_pk_fma_f32 v[10:11], v[200:201], v[0:1], v[210:211] op_sel:[0,0,1] op_sel_hi:[1,1,0] neg_lo:[0,0,1] neg_hi:[0,0,1]
	v_mov_b32_e32 v11, v195
	ds_load_2addr_b64 v[194:197], v6 offset0:28 offset1:29
	s_wait_dscnt 0x1
	v_pk_mul_f32 v[198:199], v[190:191], v[2:3] op_sel:[0,1]
	v_pk_add_f32 v[82:83], v[82:83], v[8:9] neg_lo:[0,1] neg_hi:[0,1]
	v_pk_mul_f32 v[8:9], v[192:193], v[2:3] op_sel:[0,1]
	v_pk_add_f32 v[78:79], v[78:79], v[10:11] neg_lo:[0,1] neg_hi:[0,1]
	v_pk_add_f32 v[80:81], v[80:81], v[208:209] neg_lo:[0,1] neg_hi:[0,1]
	v_pk_fma_f32 v[10:11], v[190:191], v[0:1], v[198:199] op_sel:[0,0,1] op_sel_hi:[1,1,0] neg_lo:[0,0,1] neg_hi:[0,0,1]
	v_pk_fma_f32 v[190:191], v[190:191], v[0:1], v[198:199] op_sel:[0,0,1] op_sel_hi:[1,0,0]
	ds_load_2addr_b64 v[198:201], v6 offset0:30 offset1:31
	v_dual_mul_f32 v206, v203, v0 :: v_dual_mul_f32 v190, v203, v3
	v_pk_fma_f32 v[208:209], v[192:193], v[0:1], v[8:9] op_sel:[0,0,1] op_sel_hi:[1,0,0]
	v_pk_fma_f32 v[8:9], v[192:193], v[0:1], v[8:9] op_sel:[0,0,1] op_sel_hi:[1,1,0] neg_lo:[0,0,1] neg_hi:[0,0,1]
	v_mov_b32_e32 v11, v191
	s_delay_alu instid0(VALU_DEP_4)
	v_pk_fma_f32 v[206:207], v[202:203], v[46:47], v[206:207] op_sel:[1,0,0] op_sel_hi:[0,1,0]
	v_pk_mul_f32 v[192:193], v[204:205], v[2:3] op_sel:[0,1]
	v_mov_b32_e32 v9, v209
	v_pk_fma_f32 v[190:191], v[202:203], v[46:47], v[190:191] op_sel_hi:[1,1,0] neg_lo:[0,0,1] neg_hi:[0,0,1]
	v_pk_add_f32 v[106:107], v[106:107], v[10:11] neg_lo:[0,1] neg_hi:[0,1]
	s_wait_dscnt 0x1
	v_pk_mul_f32 v[10:11], v[194:195], v[2:3] op_sel:[0,1]
	v_pk_add_f32 v[102:103], v[102:103], v[8:9] neg_lo:[0,1] neg_hi:[0,1]
	v_pk_fma_f32 v[8:9], v[204:205], v[0:1], v[192:193] op_sel:[0,0,1] op_sel_hi:[1,0,0]
	v_mov_b32_e32 v191, v207
	v_pk_fma_f32 v[206:207], v[204:205], v[0:1], v[192:193] op_sel:[0,0,1] op_sel_hi:[1,1,0] neg_lo:[0,0,1] neg_hi:[0,0,1]
	v_pk_fma_f32 v[202:203], v[194:195], v[0:1], v[10:11] op_sel:[0,0,1] op_sel_hi:[1,0,0]
	v_pk_mul_f32 v[208:209], v[196:197], v[2:3] op_sel:[0,1]
	v_mov_b32_e32 v207, v9
	v_pk_add_f32 v[104:105], v[104:105], v[190:191] neg_lo:[0,1] neg_hi:[0,1]
	ds_load_2addr_b64 v[190:193], v6 offset0:32 offset1:33
	v_pk_fma_f32 v[8:9], v[194:195], v[0:1], v[10:11] op_sel:[0,0,1] op_sel_hi:[1,1,0] neg_lo:[0,0,1] neg_hi:[0,0,1]
	s_wait_dscnt 0x1
	v_pk_mul_f32 v[10:11], v[198:199], v[2:3] op_sel:[0,1]
	v_pk_add_f32 v[100:101], v[100:101], v[206:207] neg_lo:[0,1] neg_hi:[0,1]
	v_pk_fma_f32 v[194:195], v[196:197], v[0:1], v[208:209] op_sel:[0,0,1] op_sel_hi:[1,0,0]
	v_mov_b32_e32 v194, v201
	s_delay_alu instid0(VALU_DEP_4)
	v_pk_fma_f32 v[206:207], v[198:199], v[0:1], v[10:11] op_sel:[0,0,1] op_sel_hi:[1,0,0]
	v_mov_b32_e32 v9, v203
	ds_load_2addr_b64 v[202:205], v6 offset0:34 offset1:35
	v_pk_fma_f32 v[10:11], v[198:199], v[0:1], v[10:11] op_sel:[0,0,1] op_sel_hi:[1,1,0] neg_lo:[0,0,1] neg_hi:[0,0,1]
	v_dual_mul_f32 v198, v201, v0 :: v_dual_mov_b32 v11, v207
	v_pk_add_f32 v[128:129], v[128:129], v[8:9] neg_lo:[0,1] neg_hi:[0,1]
	v_pk_fma_f32 v[8:9], v[196:197], v[0:1], v[208:209] op_sel:[0,0,1] op_sel_hi:[1,1,0] neg_lo:[0,0,1] neg_hi:[0,0,1]
	v_dual_mov_b32 v9, v195 :: v_dual_mov_b32 v195, v200
	v_mul_f32_e32 v196, v201, v3
	v_pk_add_f32 v[126:127], v[126:127], v[10:11] neg_lo:[0,1] neg_hi:[0,1]
	s_delay_alu instid0(VALU_DEP_3)
	v_pk_add_f32 v[124:125], v[124:125], v[8:9] neg_lo:[0,1] neg_hi:[0,1]
	s_wait_dscnt 0x1
	v_pk_mul_f32 v[8:9], v[190:191], v[2:3] op_sel:[0,1]
	v_pk_fma_f32 v[10:11], v[200:201], v[46:47], v[196:197] op_sel_hi:[1,1,0] neg_lo:[0,0,1] neg_hi:[0,0,1]
	v_pk_fma_f32 v[198:199], v[194:195], v[46:47], v[198:199] op_sel_hi:[1,1,0]
	v_pk_mul_f32 v[200:201], v[192:193], v[2:3] op_sel:[0,1]
	ds_load_2addr_b64 v[194:197], v6 offset0:36 offset1:37
	v_pk_fma_f32 v[206:207], v[190:191], v[0:1], v[8:9] op_sel:[0,0,1] op_sel_hi:[1,0,0]
	v_pk_fma_f32 v[8:9], v[190:191], v[0:1], v[8:9] op_sel:[0,0,1] op_sel_hi:[1,1,0] neg_lo:[0,0,1] neg_hi:[0,0,1]
	v_mov_b32_e32 v11, v199
	s_wait_dscnt 0x1
	v_pk_mul_f32 v[208:209], v[202:203], v[2:3] op_sel:[0,1]
	v_pk_fma_f32 v[198:199], v[192:193], v[0:1], v[200:201] op_sel:[0,0,1] op_sel_hi:[1,0,0]
	v_pk_fma_f32 v[200:201], v[192:193], v[0:1], v[200:201] op_sel:[0,0,1] op_sel_hi:[1,1,0] neg_lo:[0,0,1] neg_hi:[0,0,1]
	v_mov_b32_e32 v9, v207
	ds_load_2addr_b64 v[190:193], v6 offset0:38 offset1:39
	v_pk_fma_f32 v[206:207], v[202:203], v[0:1], v[208:209] op_sel:[0,0,1] op_sel_hi:[1,0,0]
	v_mov_b32_e32 v201, v199
	v_pk_fma_f32 v[198:199], v[202:203], v[0:1], v[208:209] op_sel:[0,0,1] op_sel_hi:[1,1,0] neg_lo:[0,0,1] neg_hi:[0,0,1]
	v_pk_mul_f32 v[202:203], v[204:205], v[2:3] op_sel:[0,1]
	v_pk_add_f32 v[122:123], v[122:123], v[10:11] neg_lo:[0,1] neg_hi:[0,1]
	v_pk_add_f32 v[146:147], v[146:147], v[8:9] neg_lo:[0,1] neg_hi:[0,1]
	;; [unrolled: 1-line block ×3, first 2 shown]
	ds_load_b64 v[208:209], v6 offset:336
	v_pk_fma_f32 v[10:11], v[204:205], v[0:1], v[202:203] op_sel:[0,0,1] op_sel_hi:[1,0,0]
	v_mov_b32_e32 v199, v207
	v_pk_fma_f32 v[8:9], v[204:205], v[0:1], v[202:203] op_sel:[0,0,1] op_sel_hi:[1,1,0] neg_lo:[0,0,1] neg_hi:[0,0,1]
	s_wait_dscnt 0x2
	v_dual_mul_f32 v10, v195, v0 :: v_dual_mul_f32 v204, v195, v3
	v_mov_b32_e32 v9, v11
	v_pk_add_f32 v[144:145], v[144:145], v[198:199] neg_lo:[0,1] neg_hi:[0,1]
	ds_load_2addr_b64 v[198:201], v6 offset0:40 offset1:41
	v_pk_mul_f32 v[202:203], v[196:197], v[2:3] op_sel:[0,1]
	v_pk_fma_f32 v[10:11], v[194:195], v[46:47], v[10:11] op_sel:[1,0,0] op_sel_hi:[0,1,0]
	v_pk_fma_f32 v[194:195], v[194:195], v[46:47], v[204:205] op_sel_hi:[1,1,0] neg_lo:[0,0,1] neg_hi:[0,0,1]
	s_wait_dscnt 0x2
	v_pk_mul_f32 v[204:205], v[190:191], v[2:3] op_sel:[0,1]
	v_pk_add_f32 v[140:141], v[140:141], v[8:9] neg_lo:[0,1] neg_hi:[0,1]
	v_pk_fma_f32 v[206:207], v[196:197], v[0:1], v[202:203] op_sel:[0,0,1] op_sel_hi:[1,0,0]
	v_mov_b32_e32 v195, v11
	v_pk_fma_f32 v[10:11], v[196:197], v[0:1], v[202:203] op_sel:[0,0,1] op_sel_hi:[1,1,0] neg_lo:[0,0,1] neg_hi:[0,0,1]
	v_pk_mul_f32 v[196:197], v[192:193], v[2:3] op_sel:[0,1]
	v_pk_fma_f32 v[8:9], v[190:191], v[0:1], v[204:205] op_sel:[0,0,1] op_sel_hi:[1,0,0]
	v_mov_b32_e32 v11, v207
	v_pk_add_f32 v[166:167], v[166:167], v[194:195] neg_lo:[0,1] neg_hi:[0,1]
	s_delay_alu instid0(VALU_DEP_2)
	v_pk_add_f32 v[160:161], v[160:161], v[10:11] neg_lo:[0,1] neg_hi:[0,1]
	v_pk_fma_f32 v[10:11], v[190:191], v[0:1], v[204:205] op_sel:[0,0,1] op_sel_hi:[1,1,0] neg_lo:[0,0,1] neg_hi:[0,0,1]
	v_pk_fma_f32 v[190:191], v[192:193], v[0:1], v[196:197] op_sel:[0,0,1] op_sel_hi:[1,0,0]
	s_wait_dscnt 0x0
	v_dual_mov_b32 v11, v9 :: v_dual_mov_b32 v194, v201
	v_pk_fma_f32 v[8:9], v[192:193], v[0:1], v[196:197] op_sel:[0,0,1] op_sel_hi:[1,1,0] neg_lo:[0,0,1] neg_hi:[0,0,1]
	v_pk_mul_f32 v[192:193], v[198:199], v[2:3] op_sel:[0,1]
	v_dual_mov_b32 v195, v200 :: v_dual_mul_f32 v190, v201, v0
	v_pk_mul_f32 v[196:197], v[208:209], v[2:3] op_sel:[0,1]
	v_dual_mov_b32 v9, v191 :: v_dual_mul_f32 v2, v201, v3
	s_delay_alu instid0(VALU_DEP_4) | instskip(NEXT) | instid1(VALU_DEP_4)
	v_pk_fma_f32 v[202:203], v[198:199], v[0:1], v[192:193] op_sel:[0,0,1] op_sel_hi:[1,0,0]
	v_pk_fma_f32 v[190:191], v[194:195], v[46:47], v[190:191] op_sel_hi:[1,1,0]
	s_delay_alu instid0(VALU_DEP_4)
	v_pk_fma_f32 v[194:195], v[208:209], v[0:1], v[196:197] op_sel:[0,0,1] op_sel_hi:[1,0,0]
	v_pk_fma_f32 v[192:193], v[198:199], v[0:1], v[192:193] op_sel:[0,0,1] op_sel_hi:[1,1,0] neg_lo:[0,0,1] neg_hi:[0,0,1]
	v_pk_fma_f32 v[2:3], v[200:201], v[46:47], v[2:3] op_sel_hi:[1,1,0] neg_lo:[0,0,1] neg_hi:[0,0,1]
	v_pk_fma_f32 v[0:1], v[208:209], v[0:1], v[196:197] op_sel:[0,0,1] op_sel_hi:[1,1,0] neg_lo:[0,0,1] neg_hi:[0,0,1]
	v_dual_mov_b32 v193, v203 :: v_dual_mov_b32 v3, v191
	v_mov_b32_e32 v1, v195
	v_pk_add_f32 v[164:165], v[164:165], v[10:11] neg_lo:[0,1] neg_hi:[0,1]
	v_pk_add_f32 v[158:159], v[158:159], v[8:9] neg_lo:[0,1] neg_hi:[0,1]
	s_delay_alu instid0(VALU_DEP_4)
	v_pk_add_f32 v[162:163], v[162:163], v[192:193] neg_lo:[0,1] neg_hi:[0,1]
	v_pk_add_f32 v[168:169], v[168:169], v[2:3] neg_lo:[0,1] neg_hi:[0,1]
	;; [unrolled: 1-line block ×3, first 2 shown]
.LBB85_73:
	s_or_b32 exec_lo, exec_lo, s1
	s_delay_alu instid0(SALU_CYCLE_1)
	s_mov_b32 s2, exec_lo
	s_wait_dscnt 0x0
	s_barrier_signal -1
	s_barrier_wait -1
	v_cmpx_eq_u32_e32 8, v32
	s_cbranch_execz .LBB85_80
; %bb.74:
	ds_store_b64 v33, v[72:73]
	ds_store_2addr_b64 v6, v[68:69], v[70:71] offset0:9 offset1:10
	ds_store_2addr_b64 v6, v[66:67], v[64:65] offset0:11 offset1:12
	;; [unrolled: 1-line block ×17, first 2 shown]
	ds_load_b64 v[0:1], v33
	s_wait_dscnt 0x0
	v_cmp_neq_f32_e32 vcc_lo, 0, v0
	v_cmp_neq_f32_e64 s1, 0, v1
	s_or_b32 s1, vcc_lo, s1
	s_delay_alu instid0(SALU_CYCLE_1)
	s_and_b32 exec_lo, exec_lo, s1
	s_cbranch_execz .LBB85_80
; %bb.75:
	v_cmp_ngt_f32_e64 s1, |v0|, |v1|
                                        ; implicit-def: $vgpr2_vgpr3
	s_and_saveexec_b32 s4, s1
	s_delay_alu instid0(SALU_CYCLE_1)
	s_xor_b32 s1, exec_lo, s4
	s_cbranch_execz .LBB85_77
; %bb.76:
	v_div_scale_f32 v2, null, v1, v1, v0
	v_div_scale_f32 v8, vcc_lo, v0, v1, v0
	s_delay_alu instid0(VALU_DEP_2) | instskip(SKIP_1) | instid1(TRANS32_DEP_1)
	v_rcp_f32_e32 v3, v2
	v_nop
	v_fma_f32 v7, -v2, v3, 1.0
	s_delay_alu instid0(VALU_DEP_1) | instskip(NEXT) | instid1(VALU_DEP_1)
	v_fmac_f32_e32 v3, v7, v3
	v_mul_f32_e32 v7, v8, v3
	s_delay_alu instid0(VALU_DEP_1) | instskip(NEXT) | instid1(VALU_DEP_1)
	v_fma_f32 v9, -v2, v7, v8
	v_fmac_f32_e32 v7, v9, v3
	s_delay_alu instid0(VALU_DEP_1) | instskip(NEXT) | instid1(VALU_DEP_1)
	v_fma_f32 v2, -v2, v7, v8
	v_div_fmas_f32 v2, v2, v3, v7
	s_delay_alu instid0(VALU_DEP_1) | instskip(NEXT) | instid1(VALU_DEP_1)
	v_div_fixup_f32 v2, v2, v1, v0
	v_fmac_f32_e32 v1, v0, v2
	s_delay_alu instid0(VALU_DEP_1) | instskip(SKIP_1) | instid1(VALU_DEP_2)
	v_div_scale_f32 v0, null, v1, v1, 1.0
	v_div_scale_f32 v8, vcc_lo, 1.0, v1, 1.0
	v_rcp_f32_e32 v3, v0
	v_nop
	s_delay_alu instid0(TRANS32_DEP_1) | instskip(NEXT) | instid1(VALU_DEP_1)
	v_fma_f32 v7, -v0, v3, 1.0
	v_fmac_f32_e32 v3, v7, v3
	s_delay_alu instid0(VALU_DEP_1) | instskip(NEXT) | instid1(VALU_DEP_1)
	v_mul_f32_e32 v7, v8, v3
	v_fma_f32 v9, -v0, v7, v8
	s_delay_alu instid0(VALU_DEP_1) | instskip(NEXT) | instid1(VALU_DEP_1)
	v_fmac_f32_e32 v7, v9, v3
	v_fma_f32 v0, -v0, v7, v8
	s_delay_alu instid0(VALU_DEP_1) | instskip(NEXT) | instid1(VALU_DEP_1)
	v_div_fmas_f32 v0, v0, v3, v7
	v_div_fixup_f32 v0, v0, v1, 1.0
	s_delay_alu instid0(VALU_DEP_1)
	v_mul_f32_e32 v2, v2, v0
	v_xor_b32_e32 v3, 0x80000000, v0
                                        ; implicit-def: $vgpr0_vgpr1
.LBB85_77:
	s_and_not1_saveexec_b32 s1, s1
	s_cbranch_execz .LBB85_79
; %bb.78:
	v_div_scale_f32 v2, null, v0, v0, v1
	v_div_scale_f32 v8, vcc_lo, v1, v0, v1
	s_delay_alu instid0(VALU_DEP_2) | instskip(SKIP_1) | instid1(TRANS32_DEP_1)
	v_rcp_f32_e32 v3, v2
	v_nop
	v_fma_f32 v7, -v2, v3, 1.0
	s_delay_alu instid0(VALU_DEP_1) | instskip(NEXT) | instid1(VALU_DEP_1)
	v_fmac_f32_e32 v3, v7, v3
	v_mul_f32_e32 v7, v8, v3
	s_delay_alu instid0(VALU_DEP_1) | instskip(NEXT) | instid1(VALU_DEP_1)
	v_fma_f32 v9, -v2, v7, v8
	v_fmac_f32_e32 v7, v9, v3
	s_delay_alu instid0(VALU_DEP_1) | instskip(NEXT) | instid1(VALU_DEP_1)
	v_fma_f32 v2, -v2, v7, v8
	v_div_fmas_f32 v2, v2, v3, v7
	s_delay_alu instid0(VALU_DEP_1) | instskip(NEXT) | instid1(VALU_DEP_1)
	v_div_fixup_f32 v3, v2, v0, v1
	v_fmac_f32_e32 v0, v1, v3
	s_delay_alu instid0(VALU_DEP_1) | instskip(NEXT) | instid1(VALU_DEP_1)
	v_div_scale_f32 v1, null, v0, v0, 1.0
	v_rcp_f32_e32 v2, v1
	v_nop
	s_delay_alu instid0(TRANS32_DEP_1) | instskip(NEXT) | instid1(VALU_DEP_1)
	v_fma_f32 v7, -v1, v2, 1.0
	v_fmac_f32_e32 v2, v7, v2
	v_div_scale_f32 v7, vcc_lo, 1.0, v0, 1.0
	s_delay_alu instid0(VALU_DEP_1) | instskip(NEXT) | instid1(VALU_DEP_1)
	v_mul_f32_e32 v8, v7, v2
	v_fma_f32 v9, -v1, v8, v7
	s_delay_alu instid0(VALU_DEP_1) | instskip(NEXT) | instid1(VALU_DEP_1)
	v_fmac_f32_e32 v8, v9, v2
	v_fma_f32 v1, -v1, v8, v7
	s_delay_alu instid0(VALU_DEP_1) | instskip(NEXT) | instid1(VALU_DEP_1)
	v_div_fmas_f32 v1, v1, v2, v8
	v_div_fixup_f32 v2, v1, v0, 1.0
	s_delay_alu instid0(VALU_DEP_1)
	v_mul_f32_e64 v3, v3, -v2
.LBB85_79:
	s_or_b32 exec_lo, exec_lo, s1
	ds_store_b64 v33, v[2:3]
.LBB85_80:
	s_or_b32 exec_lo, exec_lo, s2
	s_wait_dscnt 0x0
	s_barrier_signal -1
	s_barrier_wait -1
	ds_load_b64 v[190:191], v33
	s_mov_b32 s1, exec_lo
	v_cmpx_lt_u32_e32 8, v32
	s_cbranch_execz .LBB85_82
; %bb.81:
	ds_load_2addr_b64 v[192:195], v6 offset0:9 offset1:10
	ds_load_2addr_b64 v[196:199], v6 offset0:11 offset1:12
	;; [unrolled: 1-line block ×3, first 2 shown]
	s_wait_dscnt 0x3
	v_pk_mul_f32 v[2:3], v[190:191], v[72:73] op_sel:[1,1] op_sel_hi:[0,1]
	ds_load_2addr_b64 v[204:207], v6 offset0:15 offset1:16
	ds_load_2addr_b64 v[208:211], v6 offset0:17 offset1:18
	v_pk_fma_f32 v[0:1], v[190:191], v[72:73], v[2:3] op_sel_hi:[1,0,1] neg_lo:[0,0,1] neg_hi:[0,0,1]
	v_pk_fma_f32 v[2:3], v[190:191], v[72:73], v[2:3] op_sel_hi:[1,0,1]
	s_delay_alu instid0(VALU_DEP_1) | instskip(SKIP_1) | instid1(VALU_DEP_2)
	v_dual_mov_b32 v72, v0 :: v_dual_mov_b32 v73, v3
	s_wait_dscnt 0x4
	v_pk_mul_f32 v[8:9], v[192:193], v[2:3] op_sel:[0,1]
	v_pk_mul_f32 v[10:11], v[194:195], v[2:3] op_sel:[0,1]
	s_wait_dscnt 0x3
	v_pk_mul_f32 v[212:213], v[196:197], v[2:3] op_sel:[0,1]
	v_dual_mov_b32 v214, v199 :: v_dual_mov_b32 v215, v198
	v_dual_mul_f32 v216, v199, v3 :: v_dual_mul_f32 v218, v199, v0
	s_wait_dscnt 0x2
	v_pk_mul_f32 v[220:221], v[200:201], v[2:3] op_sel:[0,1]
	v_pk_fma_f32 v[224:225], v[192:193], v[0:1], v[8:9] op_sel:[0,0,1] op_sel_hi:[1,1,0] neg_lo:[0,0,1] neg_hi:[0,0,1]
	v_pk_fma_f32 v[8:9], v[192:193], v[0:1], v[8:9] op_sel:[0,0,1] op_sel_hi:[1,0,0]
	v_pk_fma_f32 v[192:193], v[194:195], v[0:1], v[10:11] op_sel:[0,0,1] op_sel_hi:[1,1,0] neg_lo:[0,0,1] neg_hi:[0,0,1]
	v_pk_fma_f32 v[10:11], v[194:195], v[0:1], v[10:11] op_sel:[0,0,1] op_sel_hi:[1,0,0]
	;; [unrolled: 2-line block ×3, first 2 shown]
	v_pk_mul_f32 v[222:223], v[202:203], v[2:3] op_sel:[0,1]
	v_pk_fma_f32 v[212:213], v[214:215], v[72:73], v[218:219] op_sel_hi:[1,1,0]
	v_dual_mov_b32 v225, v9 :: v_dual_mov_b32 v193, v11
	s_delay_alu instid0(VALU_DEP_4)
	v_mov_b32_e32 v195, v197
	v_pk_fma_f32 v[8:9], v[200:201], v[0:1], v[220:221] op_sel:[0,0,1] op_sel_hi:[1,0,0]
	v_pk_fma_f32 v[198:199], v[198:199], v[72:73], v[216:217] op_sel_hi:[1,1,0] neg_lo:[0,0,1] neg_hi:[0,0,1]
	v_pk_fma_f32 v[214:215], v[200:201], v[0:1], v[220:221] op_sel:[0,0,1] op_sel_hi:[1,1,0] neg_lo:[0,0,1] neg_hi:[0,0,1]
	v_pk_fma_f32 v[10:11], v[202:203], v[0:1], v[222:223] op_sel:[0,0,1] op_sel_hi:[1,0,0]
	v_mov_b32_e32 v199, v213
	v_pk_add_f32 v[70:71], v[70:71], v[192:193] neg_lo:[0,1] neg_hi:[0,1]
	v_pk_add_f32 v[66:67], v[66:67], v[194:195] neg_lo:[0,1] neg_hi:[0,1]
	v_mov_b32_e32 v215, v9
	s_wait_dscnt 0x1
	v_pk_mul_f32 v[8:9], v[204:205], v[2:3] op_sel:[0,1]
	ds_load_2addr_b64 v[192:195], v6 offset0:19 offset1:20
	v_pk_fma_f32 v[196:197], v[202:203], v[0:1], v[222:223] op_sel:[0,0,1] op_sel_hi:[1,1,0] neg_lo:[0,0,1] neg_hi:[0,0,1]
	v_mov_b32_e32 v197, v11
	v_pk_mul_f32 v[10:11], v[206:207], v[2:3] op_sel:[0,1]
	v_pk_add_f32 v[64:65], v[64:65], v[198:199] neg_lo:[0,1] neg_hi:[0,1]
	v_pk_fma_f32 v[198:199], v[204:205], v[0:1], v[8:9] op_sel:[0,0,1] op_sel_hi:[1,0,0]
	v_pk_fma_f32 v[8:9], v[204:205], v[0:1], v[8:9] op_sel:[0,0,1] op_sel_hi:[1,1,0] neg_lo:[0,0,1] neg_hi:[0,0,1]
	v_pk_add_f32 v[98:99], v[98:99], v[196:197] neg_lo:[0,1] neg_hi:[0,1]
	v_pk_fma_f32 v[200:201], v[206:207], v[0:1], v[10:11] op_sel:[0,0,1] op_sel_hi:[1,0,0]
	s_wait_dscnt 0x1
	v_dual_mul_f32 v200, v209, v0 :: v_dual_mov_b32 v9, v199
	ds_load_2addr_b64 v[196:199], v6 offset0:21 offset1:22
	v_pk_fma_f32 v[10:11], v[206:207], v[0:1], v[10:11] op_sel:[0,0,1] op_sel_hi:[1,1,0] neg_lo:[0,0,1] neg_hi:[0,0,1]
	v_mul_f32_e32 v202, v209, v3
	v_mov_b32_e32 v11, v201
	v_pk_fma_f32 v[200:201], v[208:209], v[72:73], v[200:201] op_sel:[1,0,0] op_sel_hi:[0,1,0]
	v_pk_add_f32 v[94:95], v[94:95], v[8:9] neg_lo:[0,1] neg_hi:[0,1]
	v_pk_mul_f32 v[8:9], v[210:211], v[2:3] op_sel:[0,1]
	v_pk_fma_f32 v[206:207], v[208:209], v[72:73], v[202:203] op_sel_hi:[1,1,0] neg_lo:[0,0,1] neg_hi:[0,0,1]
	v_pk_add_f32 v[68:69], v[68:69], v[224:225] neg_lo:[0,1] neg_hi:[0,1]
	v_mov_b32_e32 v207, v201
	v_pk_add_f32 v[120:121], v[120:121], v[10:11] neg_lo:[0,1] neg_hi:[0,1]
	s_wait_dscnt 0x1
	v_pk_mul_f32 v[10:11], v[192:193], v[2:3] op_sel:[0,1]
	v_pk_fma_f32 v[204:205], v[210:211], v[0:1], v[8:9] op_sel:[0,0,1] op_sel_hi:[1,0,0]
	ds_load_2addr_b64 v[200:203], v6 offset0:23 offset1:24
	v_pk_fma_f32 v[8:9], v[210:211], v[0:1], v[8:9] op_sel:[0,0,1] op_sel_hi:[1,1,0] neg_lo:[0,0,1] neg_hi:[0,0,1]
	v_pk_add_f32 v[116:117], v[116:117], v[206:207] neg_lo:[0,1] neg_hi:[0,1]
	v_pk_fma_f32 v[208:209], v[192:193], v[0:1], v[10:11] op_sel:[0,0,1] op_sel_hi:[1,0,0]
	v_pk_fma_f32 v[10:11], v[192:193], v[0:1], v[10:11] op_sel:[0,0,1] op_sel_hi:[1,1,0] neg_lo:[0,0,1] neg_hi:[0,0,1]
	v_mov_b32_e32 v9, v205
	v_pk_mul_f32 v[192:193], v[194:195], v[2:3] op_sel:[0,1]
	s_wait_dscnt 0x1
	v_pk_mul_f32 v[204:205], v[196:197], v[2:3] op_sel:[0,1]
	v_mov_b32_e32 v11, v209
	v_pk_add_f32 v[96:97], v[96:97], v[214:215] neg_lo:[0,1] neg_hi:[0,1]
	v_pk_fma_f32 v[206:207], v[194:195], v[0:1], v[192:193] op_sel:[0,0,1] op_sel_hi:[1,1,0] neg_lo:[0,0,1] neg_hi:[0,0,1]
	s_delay_alu instid0(VALU_DEP_3)
	v_pk_add_f32 v[54:55], v[54:55], v[10:11] neg_lo:[0,1] neg_hi:[0,1]
	v_pk_fma_f32 v[10:11], v[196:197], v[0:1], v[204:205] op_sel:[0,0,1] op_sel_hi:[1,0,0]
	v_mov_b32_e32 v10, v199
	v_pk_add_f32 v[118:119], v[118:119], v[8:9] neg_lo:[0,1] neg_hi:[0,1]
	v_pk_fma_f32 v[8:9], v[194:195], v[0:1], v[192:193] op_sel:[0,0,1] op_sel_hi:[1,0,0]
	ds_load_2addr_b64 v[192:195], v6 offset0:25 offset1:26
	s_wait_dscnt 0x1
	v_pk_mul_f32 v[210:211], v[202:203], v[2:3] op_sel:[0,1]
	v_mov_b32_e32 v207, v9
	v_pk_fma_f32 v[8:9], v[196:197], v[0:1], v[204:205] op_sel:[0,0,1] op_sel_hi:[1,1,0] neg_lo:[0,0,1] neg_hi:[0,0,1]
	v_dual_mov_b32 v9, v11 :: v_dual_mov_b32 v11, v198
	v_mul_f32_e32 v196, v199, v0
	s_delay_alu instid0(VALU_DEP_4) | instskip(SKIP_4) | instid1(VALU_DEP_2)
	v_pk_add_f32 v[84:85], v[84:85], v[206:207] neg_lo:[0,1] neg_hi:[0,1]
	ds_load_2addr_b64 v[204:207], v6 offset0:27 offset1:28
	v_pk_add_f32 v[80:81], v[80:81], v[8:9] neg_lo:[0,1] neg_hi:[0,1]
	v_pk_mul_f32 v[8:9], v[200:201], v[2:3] op_sel:[0,1]
	v_pk_fma_f32 v[10:11], v[10:11], v[72:73], v[196:197] op_sel_hi:[1,1,0]
	v_pk_fma_f32 v[196:197], v[200:201], v[0:1], v[8:9] op_sel:[0,0,1] op_sel_hi:[1,0,0]
	v_mul_f32_e32 v208, v199, v3
	v_pk_fma_f32 v[8:9], v[200:201], v[0:1], v[8:9] op_sel:[0,0,1] op_sel_hi:[1,1,0] neg_lo:[0,0,1] neg_hi:[0,0,1]
	s_wait_dscnt 0x1
	v_pk_mul_f32 v[200:201], v[192:193], v[2:3] op_sel:[0,1]
	v_mov_b32_e32 v9, v197
	v_pk_fma_f32 v[208:209], v[198:199], v[72:73], v[208:209] op_sel_hi:[1,1,0] neg_lo:[0,0,1] neg_hi:[0,0,1]
	v_mov_b32_e32 v209, v11
	v_pk_fma_f32 v[10:11], v[202:203], v[0:1], v[210:211] op_sel:[0,0,1] op_sel_hi:[1,0,0]
	ds_load_2addr_b64 v[196:199], v6 offset0:29 offset1:30
	v_pk_fma_f32 v[202:203], v[202:203], v[0:1], v[210:211] op_sel:[0,0,1] op_sel_hi:[1,1,0] neg_lo:[0,0,1] neg_hi:[0,0,1]
	v_pk_add_f32 v[78:79], v[78:79], v[8:9] neg_lo:[0,1] neg_hi:[0,1]
	v_pk_fma_f32 v[8:9], v[192:193], v[0:1], v[200:201] op_sel:[0,0,1] op_sel_hi:[1,1,0] neg_lo:[0,0,1] neg_hi:[0,0,1]
	v_mov_b32_e32 v203, v11
	v_pk_add_f32 v[82:83], v[82:83], v[208:209] neg_lo:[0,1] neg_hi:[0,1]
	v_pk_mul_f32 v[10:11], v[194:195], v[2:3] op_sel:[0,1]
	v_pk_fma_f32 v[208:209], v[192:193], v[0:1], v[200:201] op_sel:[0,0,1] op_sel_hi:[1,0,0]
	s_delay_alu instid0(VALU_DEP_4)
	v_pk_add_f32 v[106:107], v[106:107], v[202:203] neg_lo:[0,1] neg_hi:[0,1]
	ds_load_2addr_b64 v[200:203], v6 offset0:31 offset1:32
	v_pk_fma_f32 v[192:193], v[194:195], v[0:1], v[10:11] op_sel:[0,0,1] op_sel_hi:[1,0,0]
	v_mov_b32_e32 v9, v209
	s_wait_dscnt 0x2
	v_mul_f32_e32 v192, v205, v0
	v_pk_fma_f32 v[10:11], v[194:195], v[0:1], v[10:11] op_sel:[0,0,1] op_sel_hi:[1,1,0] neg_lo:[0,0,1] neg_hi:[0,0,1]
	v_pk_mul_f32 v[208:209], v[206:207], v[2:3] op_sel:[0,1]
	v_mov_b32_e32 v11, v193
	v_pk_add_f32 v[102:103], v[102:103], v[8:9] neg_lo:[0,1] neg_hi:[0,1]
	v_mul_f32_e32 v8, v205, v3
	v_pk_fma_f32 v[192:193], v[204:205], v[72:73], v[192:193] op_sel:[1,0,0] op_sel_hi:[0,1,0]
	s_wait_dscnt 0x1
	v_pk_mul_f32 v[210:211], v[198:199], v[2:3] op_sel:[0,1]
	v_pk_add_f32 v[104:105], v[104:105], v[10:11] neg_lo:[0,1] neg_hi:[0,1]
	v_pk_mul_f32 v[10:11], v[196:197], v[2:3] op_sel:[0,1]
	v_pk_fma_f32 v[8:9], v[204:205], v[72:73], v[8:9] op_sel_hi:[1,1,0] neg_lo:[0,0,1] neg_hi:[0,0,1]
	v_pk_fma_f32 v[204:205], v[206:207], v[0:1], v[208:209] op_sel:[0,0,1] op_sel_hi:[1,0,0]
	v_mov_b32_e32 v9, v193
	ds_load_2addr_b64 v[192:195], v6 offset0:33 offset1:34
	v_pk_fma_f32 v[206:207], v[206:207], v[0:1], v[208:209] op_sel:[0,0,1] op_sel_hi:[1,1,0] neg_lo:[0,0,1] neg_hi:[0,0,1]
	v_pk_fma_f32 v[212:213], v[196:197], v[0:1], v[10:11] op_sel:[0,0,1] op_sel_hi:[1,0,0]
	v_mov_b32_e32 v207, v205
	v_pk_fma_f32 v[204:205], v[198:199], v[0:1], v[210:211] op_sel:[0,0,1] op_sel_hi:[1,0,0]
	s_wait_dscnt 0x1
	v_pk_mul_f32 v[208:209], v[200:201], v[2:3] op_sel:[0,1]
	v_pk_fma_f32 v[10:11], v[196:197], v[0:1], v[10:11] op_sel:[0,0,1] op_sel_hi:[1,1,0] neg_lo:[0,0,1] neg_hi:[0,0,1]
	v_pk_fma_f32 v[196:197], v[198:199], v[0:1], v[210:211] op_sel:[0,0,1] op_sel_hi:[1,1,0] neg_lo:[0,0,1] neg_hi:[0,0,1]
	v_dual_mov_b32 v11, v213 :: v_dual_mov_b32 v197, v205
	v_pk_add_f32 v[100:101], v[100:101], v[8:9] neg_lo:[0,1] neg_hi:[0,1]
	v_pk_fma_f32 v[8:9], v[200:201], v[0:1], v[208:209] op_sel:[0,0,1] op_sel_hi:[1,0,0]
	v_mov_b32_e32 v8, v203
	s_delay_alu instid0(VALU_DEP_4)
	v_pk_add_f32 v[124:125], v[124:125], v[10:11] neg_lo:[0,1] neg_hi:[0,1]
	v_pk_add_f32 v[126:127], v[126:127], v[196:197] neg_lo:[0,1] neg_hi:[0,1]
	ds_load_2addr_b64 v[196:199], v6 offset0:35 offset1:36
	v_pk_fma_f32 v[10:11], v[200:201], v[0:1], v[208:209] op_sel:[0,0,1] op_sel_hi:[1,1,0] neg_lo:[0,0,1] neg_hi:[0,0,1]
	v_dual_mov_b32 v11, v9 :: v_dual_mov_b32 v9, v202
	v_mul_f32_e32 v200, v203, v0
	v_pk_add_f32 v[128:129], v[128:129], v[206:207] neg_lo:[0,1] neg_hi:[0,1]
	s_wait_dscnt 0x1
	v_pk_mul_f32 v[208:209], v[192:193], v[2:3] op_sel:[0,1]
	ds_load_2addr_b64 v[204:207], v6 offset0:37 offset1:38
	v_pk_mul_f32 v[212:213], v[194:195], v[2:3] op_sel:[0,1]
	v_pk_fma_f32 v[8:9], v[8:9], v[72:73], v[200:201] op_sel_hi:[1,1,0]
	v_mul_f32_e32 v210, v203, v3
	v_pk_add_f32 v[122:123], v[122:123], v[10:11] neg_lo:[0,1] neg_hi:[0,1]
	v_pk_fma_f32 v[10:11], v[192:193], v[0:1], v[208:209] op_sel:[0,0,1] op_sel_hi:[1,0,0]
	s_delay_alu instid0(VALU_DEP_3)
	v_pk_fma_f32 v[200:201], v[202:203], v[72:73], v[210:211] op_sel_hi:[1,1,0] neg_lo:[0,0,1] neg_hi:[0,0,1]
	v_pk_fma_f32 v[202:203], v[194:195], v[0:1], v[212:213] op_sel:[0,0,1] op_sel_hi:[1,0,0]
	v_mov_b32_e32 v201, v9
	v_pk_fma_f32 v[8:9], v[192:193], v[0:1], v[208:209] op_sel:[0,0,1] op_sel_hi:[1,1,0] neg_lo:[0,0,1] neg_hi:[0,0,1]
	v_mov_b32_e32 v9, v11
	v_pk_fma_f32 v[10:11], v[194:195], v[0:1], v[212:213] op_sel:[0,0,1] op_sel_hi:[1,1,0] neg_lo:[0,0,1] neg_hi:[0,0,1]
	v_mov_b32_e32 v11, v203
	ds_load_2addr_b64 v[192:195], v6 offset0:39 offset1:40
	s_wait_dscnt 0x2
	v_pk_mul_f32 v[208:209], v[196:197], v[2:3] op_sel:[0,1]
	v_pk_add_f32 v[146:147], v[146:147], v[200:201] neg_lo:[0,1] neg_hi:[0,1]
	ds_load_2addr_b64 v[200:203], v6 offset0:41 offset1:42
	v_pk_add_f32 v[144:145], v[144:145], v[10:11] neg_lo:[0,1] neg_hi:[0,1]
	v_pk_mul_f32 v[10:11], v[198:199], v[2:3] op_sel:[0,1]
	v_pk_add_f32 v[142:143], v[142:143], v[8:9] neg_lo:[0,1] neg_hi:[0,1]
	v_pk_fma_f32 v[8:9], v[196:197], v[0:1], v[208:209] op_sel:[0,0,1] op_sel_hi:[1,0,0]
	s_wait_dscnt 0x2
	v_mul_f32_e32 v8, v205, v0
	v_pk_fma_f32 v[196:197], v[196:197], v[0:1], v[208:209] op_sel:[0,0,1] op_sel_hi:[1,1,0] neg_lo:[0,0,1] neg_hi:[0,0,1]
	v_pk_fma_f32 v[208:209], v[198:199], v[0:1], v[10:11] op_sel:[0,0,1] op_sel_hi:[1,0,0]
	v_mul_f32_e32 v208, v205, v3
	v_mov_b32_e32 v197, v9
	v_pk_fma_f32 v[8:9], v[204:205], v[72:73], v[8:9] op_sel:[1,0,0] op_sel_hi:[0,1,0]
	v_pk_fma_f32 v[10:11], v[198:199], v[0:1], v[10:11] op_sel:[0,0,1] op_sel_hi:[1,1,0] neg_lo:[0,0,1] neg_hi:[0,0,1]
	v_pk_mul_f32 v[198:199], v[206:207], v[2:3] op_sel:[0,1]
	v_mov_b32_e32 v11, v209
	v_pk_fma_f32 v[204:205], v[204:205], v[72:73], v[208:209] op_sel_hi:[1,1,0] neg_lo:[0,0,1] neg_hi:[0,0,1]
	v_mov_b32_e32 v205, v9
	v_pk_add_f32 v[140:141], v[140:141], v[196:197] neg_lo:[0,1] neg_hi:[0,1]
	v_pk_fma_f32 v[8:9], v[206:207], v[0:1], v[198:199] op_sel:[0,0,1] op_sel_hi:[1,0,0]
	v_pk_add_f32 v[166:167], v[166:167], v[10:11] neg_lo:[0,1] neg_hi:[0,1]
	s_wait_dscnt 0x1
	v_pk_mul_f32 v[10:11], v[192:193], v[2:3] op_sel:[0,1]
	v_pk_fma_f32 v[196:197], v[206:207], v[0:1], v[198:199] op_sel:[0,0,1] op_sel_hi:[1,1,0] neg_lo:[0,0,1] neg_hi:[0,0,1]
	v_mov_b32_e32 v197, v9
	v_pk_mul_f32 v[8:9], v[194:195], v[2:3] op_sel:[0,1]
	v_pk_add_f32 v[160:161], v[160:161], v[204:205] neg_lo:[0,1] neg_hi:[0,1]
	v_pk_fma_f32 v[198:199], v[192:193], v[0:1], v[10:11] op_sel:[0,0,1] op_sel_hi:[1,0,0]
	s_wait_dscnt 0x0
	v_pk_mul_f32 v[204:205], v[200:201], v[2:3] op_sel:[0,1]
	v_pk_mul_f32 v[2:3], v[202:203], v[2:3] op_sel:[0,1]
	v_pk_fma_f32 v[10:11], v[192:193], v[0:1], v[10:11] op_sel:[0,0,1] op_sel_hi:[1,1,0] neg_lo:[0,0,1] neg_hi:[0,0,1]
	v_pk_fma_f32 v[192:193], v[194:195], v[0:1], v[8:9] op_sel:[0,0,1] op_sel_hi:[1,0,0]
	v_mov_b32_e32 v11, v199
	v_pk_fma_f32 v[198:199], v[200:201], v[0:1], v[204:205] op_sel:[0,0,1] op_sel_hi:[1,0,0]
	v_pk_fma_f32 v[8:9], v[194:195], v[0:1], v[8:9] op_sel:[0,0,1] op_sel_hi:[1,1,0] neg_lo:[0,0,1] neg_hi:[0,0,1]
	v_pk_fma_f32 v[194:195], v[202:203], v[0:1], v[2:3] op_sel:[0,0,1] op_sel_hi:[1,0,0]
	v_mov_b32_e32 v9, v193
	v_pk_fma_f32 v[192:193], v[200:201], v[0:1], v[204:205] op_sel:[0,0,1] op_sel_hi:[1,1,0] neg_lo:[0,0,1] neg_hi:[0,0,1]
	v_pk_fma_f32 v[0:1], v[202:203], v[0:1], v[2:3] op_sel:[0,0,1] op_sel_hi:[1,1,0] neg_lo:[0,0,1] neg_hi:[0,0,1]
	s_delay_alu instid0(VALU_DEP_4) | instskip(SKIP_3) | instid1(VALU_DEP_4)
	v_dual_mov_b32 v193, v199 :: v_dual_mov_b32 v1, v195
	v_pk_add_f32 v[164:165], v[164:165], v[196:197] neg_lo:[0,1] neg_hi:[0,1]
	v_pk_add_f32 v[158:159], v[158:159], v[10:11] neg_lo:[0,1] neg_hi:[0,1]
	;; [unrolled: 1-line block ×5, first 2 shown]
.LBB85_82:
	s_or_b32 exec_lo, exec_lo, s1
	s_delay_alu instid0(SALU_CYCLE_1)
	s_mov_b32 s2, exec_lo
	s_wait_dscnt 0x0
	s_barrier_signal -1
	s_barrier_wait -1
	v_cmpx_eq_u32_e32 9, v32
	s_cbranch_execz .LBB85_89
; %bb.83:
	v_dual_mov_b32 v0, v70 :: v_dual_mov_b32 v1, v71
	v_dual_mov_b32 v2, v66 :: v_dual_mov_b32 v3, v67
	;; [unrolled: 1-line block ×8, first 2 shown]
	ds_store_b64 v33, v[68:69]
	ds_store_2addr_b64 v6, v[0:1], v[2:3] offset0:10 offset1:11
	ds_store_2addr_b64 v6, v[8:9], v[10:11] offset0:12 offset1:13
	;; [unrolled: 1-line block ×4, first 2 shown]
	v_dual_mov_b32 v0, v118 :: v_dual_mov_b32 v1, v119
	v_dual_mov_b32 v2, v54 :: v_dual_mov_b32 v3, v55
	;; [unrolled: 1-line block ×12, first 2 shown]
	ds_store_2addr_b64 v6, v[0:1], v[2:3] offset0:18 offset1:19
	ds_store_2addr_b64 v6, v[8:9], v[10:11] offset0:20 offset1:21
	;; [unrolled: 1-line block ×6, first 2 shown]
	v_dual_mov_b32 v0, v126 :: v_dual_mov_b32 v1, v127
	v_dual_mov_b32 v2, v122 :: v_dual_mov_b32 v3, v123
	;; [unrolled: 1-line block ×12, first 2 shown]
	ds_store_2addr_b64 v6, v[0:1], v[2:3] offset0:30 offset1:31
	ds_store_2addr_b64 v6, v[8:9], v[10:11] offset0:32 offset1:33
	;; [unrolled: 1-line block ×6, first 2 shown]
	ds_store_b64 v6, v[170:171] offset:336
	ds_load_b64 v[0:1], v33
	s_wait_dscnt 0x0
	v_cmp_neq_f32_e32 vcc_lo, 0, v0
	v_cmp_neq_f32_e64 s1, 0, v1
	s_or_b32 s1, vcc_lo, s1
	s_delay_alu instid0(SALU_CYCLE_1)
	s_and_b32 exec_lo, exec_lo, s1
	s_cbranch_execz .LBB85_89
; %bb.84:
	v_cmp_ngt_f32_e64 s1, |v0|, |v1|
                                        ; implicit-def: $vgpr2_vgpr3
	s_and_saveexec_b32 s4, s1
	s_delay_alu instid0(SALU_CYCLE_1)
	s_xor_b32 s1, exec_lo, s4
	s_cbranch_execz .LBB85_86
; %bb.85:
	v_div_scale_f32 v2, null, v1, v1, v0
	v_div_scale_f32 v8, vcc_lo, v0, v1, v0
	s_delay_alu instid0(VALU_DEP_2) | instskip(SKIP_1) | instid1(TRANS32_DEP_1)
	v_rcp_f32_e32 v3, v2
	v_nop
	v_fma_f32 v7, -v2, v3, 1.0
	s_delay_alu instid0(VALU_DEP_1) | instskip(NEXT) | instid1(VALU_DEP_1)
	v_fmac_f32_e32 v3, v7, v3
	v_mul_f32_e32 v7, v8, v3
	s_delay_alu instid0(VALU_DEP_1) | instskip(NEXT) | instid1(VALU_DEP_1)
	v_fma_f32 v9, -v2, v7, v8
	v_fmac_f32_e32 v7, v9, v3
	s_delay_alu instid0(VALU_DEP_1) | instskip(NEXT) | instid1(VALU_DEP_1)
	v_fma_f32 v2, -v2, v7, v8
	v_div_fmas_f32 v2, v2, v3, v7
	s_delay_alu instid0(VALU_DEP_1) | instskip(NEXT) | instid1(VALU_DEP_1)
	v_div_fixup_f32 v2, v2, v1, v0
	v_fmac_f32_e32 v1, v0, v2
	s_delay_alu instid0(VALU_DEP_1) | instskip(SKIP_1) | instid1(VALU_DEP_2)
	v_div_scale_f32 v0, null, v1, v1, 1.0
	v_div_scale_f32 v8, vcc_lo, 1.0, v1, 1.0
	v_rcp_f32_e32 v3, v0
	v_nop
	s_delay_alu instid0(TRANS32_DEP_1) | instskip(NEXT) | instid1(VALU_DEP_1)
	v_fma_f32 v7, -v0, v3, 1.0
	v_fmac_f32_e32 v3, v7, v3
	s_delay_alu instid0(VALU_DEP_1) | instskip(NEXT) | instid1(VALU_DEP_1)
	v_mul_f32_e32 v7, v8, v3
	v_fma_f32 v9, -v0, v7, v8
	s_delay_alu instid0(VALU_DEP_1) | instskip(NEXT) | instid1(VALU_DEP_1)
	v_fmac_f32_e32 v7, v9, v3
	v_fma_f32 v0, -v0, v7, v8
	s_delay_alu instid0(VALU_DEP_1) | instskip(NEXT) | instid1(VALU_DEP_1)
	v_div_fmas_f32 v0, v0, v3, v7
	v_div_fixup_f32 v0, v0, v1, 1.0
	s_delay_alu instid0(VALU_DEP_1)
	v_mul_f32_e32 v2, v2, v0
	v_xor_b32_e32 v3, 0x80000000, v0
                                        ; implicit-def: $vgpr0_vgpr1
.LBB85_86:
	s_and_not1_saveexec_b32 s1, s1
	s_cbranch_execz .LBB85_88
; %bb.87:
	v_div_scale_f32 v2, null, v0, v0, v1
	v_div_scale_f32 v8, vcc_lo, v1, v0, v1
	s_delay_alu instid0(VALU_DEP_2) | instskip(SKIP_1) | instid1(TRANS32_DEP_1)
	v_rcp_f32_e32 v3, v2
	v_nop
	v_fma_f32 v7, -v2, v3, 1.0
	s_delay_alu instid0(VALU_DEP_1) | instskip(NEXT) | instid1(VALU_DEP_1)
	v_fmac_f32_e32 v3, v7, v3
	v_mul_f32_e32 v7, v8, v3
	s_delay_alu instid0(VALU_DEP_1) | instskip(NEXT) | instid1(VALU_DEP_1)
	v_fma_f32 v9, -v2, v7, v8
	v_fmac_f32_e32 v7, v9, v3
	s_delay_alu instid0(VALU_DEP_1) | instskip(NEXT) | instid1(VALU_DEP_1)
	v_fma_f32 v2, -v2, v7, v8
	v_div_fmas_f32 v2, v2, v3, v7
	s_delay_alu instid0(VALU_DEP_1) | instskip(NEXT) | instid1(VALU_DEP_1)
	v_div_fixup_f32 v3, v2, v0, v1
	v_fmac_f32_e32 v0, v1, v3
	s_delay_alu instid0(VALU_DEP_1) | instskip(NEXT) | instid1(VALU_DEP_1)
	v_div_scale_f32 v1, null, v0, v0, 1.0
	v_rcp_f32_e32 v2, v1
	v_nop
	s_delay_alu instid0(TRANS32_DEP_1) | instskip(NEXT) | instid1(VALU_DEP_1)
	v_fma_f32 v7, -v1, v2, 1.0
	v_fmac_f32_e32 v2, v7, v2
	v_div_scale_f32 v7, vcc_lo, 1.0, v0, 1.0
	s_delay_alu instid0(VALU_DEP_1) | instskip(NEXT) | instid1(VALU_DEP_1)
	v_mul_f32_e32 v8, v7, v2
	v_fma_f32 v9, -v1, v8, v7
	s_delay_alu instid0(VALU_DEP_1) | instskip(NEXT) | instid1(VALU_DEP_1)
	v_fmac_f32_e32 v8, v9, v2
	v_fma_f32 v1, -v1, v8, v7
	s_delay_alu instid0(VALU_DEP_1) | instskip(NEXT) | instid1(VALU_DEP_1)
	v_div_fmas_f32 v1, v1, v2, v8
	v_div_fixup_f32 v2, v1, v0, 1.0
	s_delay_alu instid0(VALU_DEP_1)
	v_mul_f32_e64 v3, v3, -v2
.LBB85_88:
	s_or_b32 exec_lo, exec_lo, s1
	ds_store_b64 v33, v[2:3]
.LBB85_89:
	s_or_b32 exec_lo, exec_lo, s2
	s_wait_dscnt 0x0
	s_barrier_signal -1
	s_barrier_wait -1
	ds_load_b64 v[192:193], v33
	s_mov_b32 s1, exec_lo
	v_cmpx_lt_u32_e32 9, v32
	s_cbranch_execz .LBB85_91
; %bb.90:
	ds_load_2addr_b64 v[194:197], v6 offset0:10 offset1:11
	ds_load_2addr_b64 v[198:201], v6 offset0:12 offset1:13
	;; [unrolled: 1-line block ×3, first 2 shown]
	s_wait_dscnt 0x3
	v_pk_mul_f32 v[2:3], v[192:193], v[68:69] op_sel:[1,1] op_sel_hi:[0,1]
	ds_load_2addr_b64 v[206:209], v6 offset0:16 offset1:17
	ds_load_2addr_b64 v[210:213], v6 offset0:18 offset1:19
	v_pk_fma_f32 v[0:1], v[192:193], v[68:69], v[2:3] op_sel_hi:[1,0,1] neg_lo:[0,0,1] neg_hi:[0,0,1]
	v_pk_fma_f32 v[2:3], v[192:193], v[68:69], v[2:3] op_sel_hi:[1,0,1]
	s_delay_alu instid0(VALU_DEP_1) | instskip(SKIP_1) | instid1(VALU_DEP_2)
	v_dual_mov_b32 v68, v0 :: v_dual_mov_b32 v69, v3
	s_wait_dscnt 0x4
	v_pk_mul_f32 v[8:9], v[194:195], v[2:3] op_sel:[0,1]
	v_pk_mul_f32 v[10:11], v[196:197], v[2:3] op_sel:[0,1]
	s_wait_dscnt 0x3
	v_pk_mul_f32 v[214:215], v[198:199], v[2:3] op_sel:[0,1]
	v_dual_mov_b32 v216, v201 :: v_dual_mov_b32 v217, v200
	v_dual_mul_f32 v218, v201, v3 :: v_dual_mul_f32 v220, v201, v0
	s_wait_dscnt 0x2
	v_pk_mul_f32 v[222:223], v[202:203], v[2:3] op_sel:[0,1]
	v_pk_mul_f32 v[224:225], v[204:205], v[2:3] op_sel:[0,1]
	v_pk_fma_f32 v[226:227], v[194:195], v[0:1], v[8:9] op_sel:[0,0,1] op_sel_hi:[1,1,0] neg_lo:[0,0,1] neg_hi:[0,0,1]
	v_pk_fma_f32 v[8:9], v[194:195], v[0:1], v[8:9] op_sel:[0,0,1] op_sel_hi:[1,0,0]
	v_pk_fma_f32 v[194:195], v[196:197], v[0:1], v[10:11] op_sel:[0,0,1] op_sel_hi:[1,1,0] neg_lo:[0,0,1] neg_hi:[0,0,1]
	v_pk_fma_f32 v[10:11], v[196:197], v[0:1], v[10:11] op_sel:[0,0,1] op_sel_hi:[1,0,0]
	;; [unrolled: 2-line block ×3, first 2 shown]
	v_pk_fma_f32 v[214:215], v[216:217], v[68:69], v[220:221] op_sel_hi:[1,1,0]
	v_pk_fma_f32 v[216:217], v[202:203], v[0:1], v[222:223] op_sel:[0,0,1] op_sel_hi:[1,1,0] neg_lo:[0,0,1] neg_hi:[0,0,1]
	v_pk_fma_f32 v[202:203], v[202:203], v[0:1], v[222:223] op_sel:[0,0,1] op_sel_hi:[1,0,0]
	v_dual_mov_b32 v227, v9 :: v_dual_mov_b32 v195, v11
	v_pk_fma_f32 v[8:9], v[204:205], v[0:1], v[224:225] op_sel:[0,0,1] op_sel_hi:[1,0,0]
	v_pk_fma_f32 v[200:201], v[200:201], v[68:69], v[218:219] op_sel_hi:[1,1,0] neg_lo:[0,0,1] neg_hi:[0,0,1]
	v_dual_mov_b32 v197, v199 :: v_dual_mov_b32 v201, v215
	v_pk_fma_f32 v[10:11], v[204:205], v[0:1], v[224:225] op_sel:[0,0,1] op_sel_hi:[1,1,0] neg_lo:[0,0,1] neg_hi:[0,0,1]
	s_delay_alu instid0(VALU_DEP_4)
	v_dual_mov_b32 v217, v203 :: v_dual_mov_b32 v11, v9
	s_wait_dscnt 0x1
	v_pk_mul_f32 v[8:9], v[206:207], v[2:3] op_sel:[0,1]
	v_pk_add_f32 v[66:67], v[66:67], v[194:195] neg_lo:[0,1] neg_hi:[0,1]
	v_pk_add_f32 v[64:65], v[64:65], v[196:197] neg_lo:[0,1] neg_hi:[0,1]
	ds_load_2addr_b64 v[194:197], v6 offset0:20 offset1:21
	v_pk_add_f32 v[96:97], v[96:97], v[200:201] neg_lo:[0,1] neg_hi:[0,1]
	ds_load_2addr_b64 v[198:201], v6 offset0:22 offset1:23
	v_pk_mul_f32 v[202:203], v[208:209], v[2:3] op_sel:[0,1]
	v_pk_add_f32 v[94:95], v[94:95], v[10:11] neg_lo:[0,1] neg_hi:[0,1]
	v_pk_fma_f32 v[10:11], v[206:207], v[0:1], v[8:9] op_sel:[0,0,1] op_sel_hi:[1,0,0]
	s_wait_dscnt 0x2
	v_mul_f32_e32 v10, v211, v0
	v_pk_mul_f32 v[204:205], v[212:213], v[2:3] op_sel:[0,1]
	v_pk_fma_f32 v[8:9], v[206:207], v[0:1], v[8:9] op_sel:[0,0,1] op_sel_hi:[1,1,0] neg_lo:[0,0,1] neg_hi:[0,0,1]
	v_pk_fma_f32 v[206:207], v[208:209], v[0:1], v[202:203] op_sel:[0,0,1] op_sel_hi:[1,0,0]
	v_mul_f32_e32 v206, v211, v3
	v_mov_b32_e32 v9, v11
	v_pk_fma_f32 v[10:11], v[210:211], v[68:69], v[10:11] op_sel:[1,0,0] op_sel_hi:[0,1,0]
	v_pk_fma_f32 v[202:203], v[208:209], v[0:1], v[202:203] op_sel:[0,0,1] op_sel_hi:[1,1,0] neg_lo:[0,0,1] neg_hi:[0,0,1]
	v_pk_fma_f32 v[208:209], v[212:213], v[0:1], v[204:205] op_sel:[0,0,1] op_sel_hi:[1,0,0]
	v_mov_b32_e32 v203, v207
	v_pk_fma_f32 v[206:207], v[210:211], v[68:69], v[206:207] op_sel_hi:[1,1,0] neg_lo:[0,0,1] neg_hi:[0,0,1]
	v_mov_b32_e32 v207, v11
	v_pk_fma_f32 v[10:11], v[212:213], v[0:1], v[204:205] op_sel:[0,0,1] op_sel_hi:[1,1,0] neg_lo:[0,0,1] neg_hi:[0,0,1]
	v_mov_b32_e32 v11, v209
	v_pk_add_f32 v[120:121], v[120:121], v[8:9] neg_lo:[0,1] neg_hi:[0,1]
	v_pk_add_f32 v[116:117], v[116:117], v[202:203] neg_lo:[0,1] neg_hi:[0,1]
	s_wait_dscnt 0x1
	v_pk_mul_f32 v[8:9], v[194:195], v[2:3] op_sel:[0,1]
	ds_load_2addr_b64 v[202:205], v6 offset0:24 offset1:25
	v_pk_add_f32 v[54:55], v[54:55], v[10:11] neg_lo:[0,1] neg_hi:[0,1]
	v_pk_mul_f32 v[10:11], v[196:197], v[2:3] op_sel:[0,1]
	s_wait_dscnt 0x1
	v_pk_mul_f32 v[210:211], v[198:199], v[2:3] op_sel:[0,1]
	v_pk_add_f32 v[118:119], v[118:119], v[206:207] neg_lo:[0,1] neg_hi:[0,1]
	v_pk_fma_f32 v[212:213], v[194:195], v[0:1], v[8:9] op_sel:[0,0,1] op_sel_hi:[1,0,0]
	v_pk_fma_f32 v[8:9], v[194:195], v[0:1], v[8:9] op_sel:[0,0,1] op_sel_hi:[1,1,0] neg_lo:[0,0,1] neg_hi:[0,0,1]
	v_pk_fma_f32 v[194:195], v[196:197], v[0:1], v[10:11] op_sel:[0,0,1] op_sel_hi:[1,0,0]
	ds_load_2addr_b64 v[206:209], v6 offset0:26 offset1:27
	v_pk_fma_f32 v[214:215], v[198:199], v[0:1], v[210:211] op_sel:[0,0,1] op_sel_hi:[1,0,0]
	v_pk_fma_f32 v[10:11], v[196:197], v[0:1], v[10:11] op_sel:[0,0,1] op_sel_hi:[1,1,0] neg_lo:[0,0,1] neg_hi:[0,0,1]
	v_dual_mov_b32 v9, v213 :: v_dual_mov_b32 v11, v195
	v_pk_fma_f32 v[194:195], v[198:199], v[0:1], v[210:211] op_sel:[0,0,1] op_sel_hi:[1,1,0] neg_lo:[0,0,1] neg_hi:[0,0,1]
	s_delay_alu instid0(VALU_DEP_4) | instskip(SKIP_1) | instid1(VALU_DEP_4)
	v_dual_mov_b32 v195, v215 :: v_dual_mov_b32 v196, v201
	v_dual_mov_b32 v197, v200 :: v_dual_mul_f32 v198, v201, v0
	v_pk_add_f32 v[84:85], v[84:85], v[8:9] neg_lo:[0,1] neg_hi:[0,1]
	s_delay_alu instid0(VALU_DEP_3)
	v_pk_add_f32 v[82:83], v[82:83], v[194:195] neg_lo:[0,1] neg_hi:[0,1]
	v_mul_f32_e32 v210, v201, v3
	s_wait_dscnt 0x1
	v_pk_mul_f32 v[212:213], v[204:205], v[2:3] op_sel:[0,1]
	v_pk_fma_f32 v[8:9], v[196:197], v[68:69], v[198:199] op_sel_hi:[1,1,0]
	ds_load_2addr_b64 v[194:197], v6 offset0:28 offset1:29
	v_pk_add_f32 v[80:81], v[80:81], v[10:11] neg_lo:[0,1] neg_hi:[0,1]
	v_pk_fma_f32 v[10:11], v[200:201], v[68:69], v[210:211] op_sel_hi:[1,1,0] neg_lo:[0,0,1] neg_hi:[0,0,1]
	v_pk_add_f32 v[98:99], v[98:99], v[216:217] neg_lo:[0,1] neg_hi:[0,1]
	v_pk_mul_f32 v[210:211], v[202:203], v[2:3] op_sel:[0,1]
	v_pk_fma_f32 v[216:217], v[204:205], v[0:1], v[212:213] op_sel:[0,0,1] op_sel_hi:[1,0,0]
	v_mov_b32_e32 v11, v9
	s_wait_dscnt 0x1
	v_pk_mul_f32 v[8:9], v[206:207], v[2:3] op_sel:[0,1]
	ds_load_2addr_b64 v[198:201], v6 offset0:30 offset1:31
	v_pk_fma_f32 v[214:215], v[202:203], v[0:1], v[210:211] op_sel:[0,0,1] op_sel_hi:[1,0,0]
	v_pk_fma_f32 v[202:203], v[202:203], v[0:1], v[210:211] op_sel:[0,0,1] op_sel_hi:[1,1,0] neg_lo:[0,0,1] neg_hi:[0,0,1]
	v_pk_fma_f32 v[204:205], v[204:205], v[0:1], v[212:213] op_sel:[0,0,1] op_sel_hi:[1,1,0] neg_lo:[0,0,1] neg_hi:[0,0,1]
	v_pk_fma_f32 v[210:211], v[206:207], v[0:1], v[8:9] op_sel:[0,0,1] op_sel_hi:[1,0,0]
	v_pk_fma_f32 v[8:9], v[206:207], v[0:1], v[8:9] op_sel:[0,0,1] op_sel_hi:[1,1,0] neg_lo:[0,0,1] neg_hi:[0,0,1]
	v_pk_mul_f32 v[206:207], v[208:209], v[2:3] op_sel:[0,1]
	v_mov_b32_e32 v205, v217
	v_pk_add_f32 v[78:79], v[78:79], v[10:11] neg_lo:[0,1] neg_hi:[0,1]
	v_mov_b32_e32 v203, v215
	v_pk_add_f32 v[70:71], v[70:71], v[226:227] neg_lo:[0,1] neg_hi:[0,1]
	v_pk_fma_f32 v[10:11], v[208:209], v[0:1], v[206:207] op_sel:[0,0,1] op_sel_hi:[1,0,0]
	s_wait_dscnt 0x1
	v_mul_f32_e32 v10, v195, v0
	v_pk_add_f32 v[102:103], v[102:103], v[204:205] neg_lo:[0,1] neg_hi:[0,1]
	v_pk_add_f32 v[106:107], v[106:107], v[202:203] neg_lo:[0,1] neg_hi:[0,1]
	ds_load_2addr_b64 v[202:205], v6 offset0:32 offset1:33
	v_pk_fma_f32 v[212:213], v[194:195], v[68:69], v[10:11] op_sel:[1,0,0] op_sel_hi:[0,1,0]
	v_mov_b32_e32 v9, v211
	s_wait_dscnt 0x1
	v_pk_mul_f32 v[210:211], v[198:199], v[2:3] op_sel:[0,1]
	s_delay_alu instid0(VALU_DEP_2) | instskip(SKIP_4) | instid1(VALU_DEP_3)
	v_pk_add_f32 v[104:105], v[104:105], v[8:9] neg_lo:[0,1] neg_hi:[0,1]
	v_pk_fma_f32 v[8:9], v[208:209], v[0:1], v[206:207] op_sel:[0,0,1] op_sel_hi:[1,1,0] neg_lo:[0,0,1] neg_hi:[0,0,1]
	v_pk_mul_f32 v[208:209], v[196:197], v[2:3] op_sel:[0,1]
	v_mul_f32_e32 v206, v195, v3
	v_mov_b32_e32 v9, v11
	v_pk_fma_f32 v[10:11], v[196:197], v[0:1], v[208:209] op_sel:[0,0,1] op_sel_hi:[1,0,0]
	s_delay_alu instid0(VALU_DEP_3) | instskip(SKIP_2) | instid1(VALU_DEP_4)
	v_pk_fma_f32 v[206:207], v[194:195], v[68:69], v[206:207] op_sel_hi:[1,1,0] neg_lo:[0,0,1] neg_hi:[0,0,1]
	v_pk_fma_f32 v[194:195], v[198:199], v[0:1], v[210:211] op_sel:[0,0,1] op_sel_hi:[1,0,0]
	v_pk_fma_f32 v[208:209], v[196:197], v[0:1], v[208:209] op_sel:[0,0,1] op_sel_hi:[1,1,0] neg_lo:[0,0,1] neg_hi:[0,0,1]
	v_dual_mov_b32 v207, v213 :: v_dual_mov_b32 v209, v11
	v_pk_fma_f32 v[10:11], v[198:199], v[0:1], v[210:211] op_sel:[0,0,1] op_sel_hi:[1,1,0] neg_lo:[0,0,1] neg_hi:[0,0,1]
	s_delay_alu instid0(VALU_DEP_4)
	v_mov_b32_e32 v11, v195
	ds_load_2addr_b64 v[194:197], v6 offset0:34 offset1:35
	v_pk_mul_f32 v[198:199], v[200:201], v[2:3] op_sel:[0,1]
	v_pk_add_f32 v[128:129], v[128:129], v[206:207] neg_lo:[0,1] neg_hi:[0,1]
	s_wait_dscnt 0x1
	v_pk_mul_f32 v[206:207], v[202:203], v[2:3] op_sel:[0,1]
	v_pk_add_f32 v[124:125], v[124:125], v[208:209] neg_lo:[0,1] neg_hi:[0,1]
	v_mov_b32_e32 v208, v205
	v_pk_add_f32 v[126:127], v[126:127], v[10:11] neg_lo:[0,1] neg_hi:[0,1]
	v_pk_fma_f32 v[10:11], v[200:201], v[0:1], v[198:199] op_sel:[0,0,1] op_sel_hi:[1,0,0]
	v_pk_add_f32 v[100:101], v[100:101], v[8:9] neg_lo:[0,1] neg_hi:[0,1]
	v_pk_fma_f32 v[8:9], v[200:201], v[0:1], v[198:199] op_sel:[0,0,1] op_sel_hi:[1,1,0] neg_lo:[0,0,1] neg_hi:[0,0,1]
	v_dual_mov_b32 v209, v204 :: v_dual_mul_f32 v10, v205, v0
	ds_load_2addr_b64 v[198:201], v6 offset0:36 offset1:37
	v_pk_fma_f32 v[210:211], v[202:203], v[0:1], v[206:207] op_sel:[0,0,1] op_sel_hi:[1,0,0]
	v_dual_mul_f32 v210, v205, v3 :: v_dual_mov_b32 v9, v11
	v_pk_fma_f32 v[10:11], v[208:209], v[68:69], v[10:11] op_sel_hi:[1,1,0]
	v_pk_fma_f32 v[206:207], v[202:203], v[0:1], v[206:207] op_sel:[0,0,1] op_sel_hi:[1,1,0] neg_lo:[0,0,1] neg_hi:[0,0,1]
	s_delay_alu instid0(VALU_DEP_4) | instskip(NEXT) | instid1(VALU_DEP_4)
	v_mov_b32_e32 v207, v211
	v_pk_fma_f32 v[208:209], v[204:205], v[68:69], v[210:211] op_sel_hi:[1,1,0] neg_lo:[0,0,1] neg_hi:[0,0,1]
	s_wait_dscnt 0x1
	v_pk_mul_f32 v[210:211], v[194:195], v[2:3] op_sel:[0,1]
	ds_load_2addr_b64 v[202:205], v6 offset0:38 offset1:39
	v_mov_b32_e32 v209, v11
	v_pk_add_f32 v[122:123], v[122:123], v[8:9] neg_lo:[0,1] neg_hi:[0,1]
	v_pk_mul_f32 v[8:9], v[196:197], v[2:3] op_sel:[0,1]
	v_pk_fma_f32 v[10:11], v[194:195], v[0:1], v[210:211] op_sel:[0,0,1] op_sel_hi:[1,0,0]
	v_pk_add_f32 v[146:147], v[146:147], v[206:207] neg_lo:[0,1] neg_hi:[0,1]
	v_pk_add_f32 v[142:143], v[142:143], v[208:209] neg_lo:[0,1] neg_hi:[0,1]
	v_pk_fma_f32 v[206:207], v[194:195], v[0:1], v[210:211] op_sel:[0,0,1] op_sel_hi:[1,1,0] neg_lo:[0,0,1] neg_hi:[0,0,1]
	v_pk_fma_f32 v[208:209], v[196:197], v[0:1], v[8:9] op_sel:[0,0,1] op_sel_hi:[1,0,0]
	v_mov_b32_e32 v207, v11
	v_pk_fma_f32 v[8:9], v[196:197], v[0:1], v[8:9] op_sel:[0,0,1] op_sel_hi:[1,1,0] neg_lo:[0,0,1] neg_hi:[0,0,1]
	s_wait_dscnt 0x1
	v_pk_mul_f32 v[10:11], v[198:199], v[2:3] op_sel:[0,1]
	ds_load_2addr_b64 v[194:197], v6 offset0:40 offset1:41
	v_mov_b32_e32 v9, v209
	v_pk_mul_f32 v[208:209], v[200:201], v[2:3] op_sel:[0,1]
	v_pk_add_f32 v[144:145], v[144:145], v[206:207] neg_lo:[0,1] neg_hi:[0,1]
	ds_load_b64 v[206:207], v6 offset:336
	v_pk_fma_f32 v[210:211], v[198:199], v[0:1], v[10:11] op_sel:[0,0,1] op_sel_hi:[1,0,0]
	v_pk_add_f32 v[140:141], v[140:141], v[8:9] neg_lo:[0,1] neg_hi:[0,1]
	v_pk_fma_f32 v[8:9], v[200:201], v[0:1], v[208:209] op_sel:[0,0,1] op_sel_hi:[1,0,0]
	s_wait_dscnt 0x2
	v_mul_f32_e32 v8, v203, v0
	v_pk_fma_f32 v[10:11], v[198:199], v[0:1], v[10:11] op_sel:[0,0,1] op_sel_hi:[1,1,0] neg_lo:[0,0,1] neg_hi:[0,0,1]
	v_pk_fma_f32 v[198:199], v[200:201], v[0:1], v[208:209] op_sel:[0,0,1] op_sel_hi:[1,1,0] neg_lo:[0,0,1] neg_hi:[0,0,1]
	v_dual_mul_f32 v200, v203, v3 :: v_dual_mov_b32 v199, v9
	s_delay_alu instid0(VALU_DEP_4) | instskip(SKIP_1) | instid1(VALU_DEP_3)
	v_pk_fma_f32 v[8:9], v[202:203], v[68:69], v[8:9] op_sel:[1,0,0] op_sel_hi:[0,1,0]
	v_mov_b32_e32 v11, v211
	v_pk_add_f32 v[160:161], v[160:161], v[198:199] neg_lo:[0,1] neg_hi:[0,1]
	s_delay_alu instid0(VALU_DEP_4) | instskip(NEXT) | instid1(VALU_DEP_4)
	v_pk_fma_f32 v[198:199], v[202:203], v[68:69], v[200:201] op_sel_hi:[1,1,0] neg_lo:[0,0,1] neg_hi:[0,0,1]
	v_mov_b32_e32 v199, v9
	s_delay_alu instid0(VALU_DEP_4)
	v_pk_add_f32 v[166:167], v[166:167], v[10:11] neg_lo:[0,1] neg_hi:[0,1]
	v_pk_mul_f32 v[10:11], v[204:205], v[2:3] op_sel:[0,1]
	s_wait_dscnt 0x1
	v_pk_mul_f32 v[8:9], v[194:195], v[2:3] op_sel:[0,1]
	v_pk_mul_f32 v[202:203], v[196:197], v[2:3] op_sel:[0,1]
	s_wait_dscnt 0x0
	v_pk_mul_f32 v[2:3], v[206:207], v[2:3] op_sel:[0,1]
	v_pk_add_f32 v[164:165], v[164:165], v[198:199] neg_lo:[0,1] neg_hi:[0,1]
	v_pk_fma_f32 v[200:201], v[204:205], v[0:1], v[10:11] op_sel:[0,0,1] op_sel_hi:[1,0,0]
	v_pk_fma_f32 v[10:11], v[204:205], v[0:1], v[10:11] op_sel:[0,0,1] op_sel_hi:[1,1,0] neg_lo:[0,0,1] neg_hi:[0,0,1]
	v_pk_fma_f32 v[204:205], v[194:195], v[0:1], v[8:9] op_sel:[0,0,1] op_sel_hi:[1,0,0]
	v_pk_fma_f32 v[8:9], v[194:195], v[0:1], v[8:9] op_sel:[0,0,1] op_sel_hi:[1,1,0] neg_lo:[0,0,1] neg_hi:[0,0,1]
	v_pk_fma_f32 v[194:195], v[206:207], v[0:1], v[2:3] op_sel:[0,0,1] op_sel_hi:[1,0,0]
	v_mov_b32_e32 v11, v201
	v_pk_fma_f32 v[200:201], v[196:197], v[0:1], v[202:203] op_sel:[0,0,1] op_sel_hi:[1,0,0]
	v_pk_fma_f32 v[196:197], v[196:197], v[0:1], v[202:203] op_sel:[0,0,1] op_sel_hi:[1,1,0] neg_lo:[0,0,1] neg_hi:[0,0,1]
	v_pk_fma_f32 v[0:1], v[206:207], v[0:1], v[2:3] op_sel:[0,0,1] op_sel_hi:[1,1,0] neg_lo:[0,0,1] neg_hi:[0,0,1]
	v_dual_mov_b32 v9, v205 :: v_dual_mov_b32 v1, v195
	s_delay_alu instid0(VALU_DEP_4) | instskip(SKIP_1) | instid1(VALU_DEP_3)
	v_mov_b32_e32 v197, v201
	v_pk_add_f32 v[158:159], v[158:159], v[10:11] neg_lo:[0,1] neg_hi:[0,1]
	v_pk_add_f32 v[162:163], v[162:163], v[8:9] neg_lo:[0,1] neg_hi:[0,1]
	s_delay_alu instid0(VALU_DEP_4) | instskip(NEXT) | instid1(VALU_DEP_4)
	v_pk_add_f32 v[170:171], v[170:171], v[0:1] neg_lo:[0,1] neg_hi:[0,1]
	v_pk_add_f32 v[168:169], v[168:169], v[196:197] neg_lo:[0,1] neg_hi:[0,1]
.LBB85_91:
	s_or_b32 exec_lo, exec_lo, s1
	s_delay_alu instid0(SALU_CYCLE_1)
	s_mov_b32 s2, exec_lo
	s_wait_dscnt 0x0
	s_barrier_signal -1
	s_barrier_wait -1
	v_cmpx_eq_u32_e32 10, v32
	s_cbranch_execz .LBB85_98
; %bb.92:
	ds_store_b64 v33, v[70:71]
	ds_store_2addr_b64 v6, v[66:67], v[64:65] offset0:11 offset1:12
	ds_store_2addr_b64 v6, v[96:97], v[98:99] offset0:13 offset1:14
	;; [unrolled: 1-line block ×16, first 2 shown]
	ds_load_b64 v[0:1], v33
	s_wait_dscnt 0x0
	v_cmp_neq_f32_e32 vcc_lo, 0, v0
	v_cmp_neq_f32_e64 s1, 0, v1
	s_or_b32 s1, vcc_lo, s1
	s_delay_alu instid0(SALU_CYCLE_1)
	s_and_b32 exec_lo, exec_lo, s1
	s_cbranch_execz .LBB85_98
; %bb.93:
	v_cmp_ngt_f32_e64 s1, |v0|, |v1|
                                        ; implicit-def: $vgpr2_vgpr3
	s_and_saveexec_b32 s4, s1
	s_delay_alu instid0(SALU_CYCLE_1)
	s_xor_b32 s1, exec_lo, s4
	s_cbranch_execz .LBB85_95
; %bb.94:
	v_div_scale_f32 v2, null, v1, v1, v0
	v_div_scale_f32 v8, vcc_lo, v0, v1, v0
	s_delay_alu instid0(VALU_DEP_2) | instskip(SKIP_1) | instid1(TRANS32_DEP_1)
	v_rcp_f32_e32 v3, v2
	v_nop
	v_fma_f32 v7, -v2, v3, 1.0
	s_delay_alu instid0(VALU_DEP_1) | instskip(NEXT) | instid1(VALU_DEP_1)
	v_fmac_f32_e32 v3, v7, v3
	v_mul_f32_e32 v7, v8, v3
	s_delay_alu instid0(VALU_DEP_1) | instskip(NEXT) | instid1(VALU_DEP_1)
	v_fma_f32 v9, -v2, v7, v8
	v_fmac_f32_e32 v7, v9, v3
	s_delay_alu instid0(VALU_DEP_1) | instskip(NEXT) | instid1(VALU_DEP_1)
	v_fma_f32 v2, -v2, v7, v8
	v_div_fmas_f32 v2, v2, v3, v7
	s_delay_alu instid0(VALU_DEP_1) | instskip(NEXT) | instid1(VALU_DEP_1)
	v_div_fixup_f32 v2, v2, v1, v0
	v_fmac_f32_e32 v1, v0, v2
	s_delay_alu instid0(VALU_DEP_1) | instskip(SKIP_1) | instid1(VALU_DEP_2)
	v_div_scale_f32 v0, null, v1, v1, 1.0
	v_div_scale_f32 v8, vcc_lo, 1.0, v1, 1.0
	v_rcp_f32_e32 v3, v0
	v_nop
	s_delay_alu instid0(TRANS32_DEP_1) | instskip(NEXT) | instid1(VALU_DEP_1)
	v_fma_f32 v7, -v0, v3, 1.0
	v_fmac_f32_e32 v3, v7, v3
	s_delay_alu instid0(VALU_DEP_1) | instskip(NEXT) | instid1(VALU_DEP_1)
	v_mul_f32_e32 v7, v8, v3
	v_fma_f32 v9, -v0, v7, v8
	s_delay_alu instid0(VALU_DEP_1) | instskip(NEXT) | instid1(VALU_DEP_1)
	v_fmac_f32_e32 v7, v9, v3
	v_fma_f32 v0, -v0, v7, v8
	s_delay_alu instid0(VALU_DEP_1) | instskip(NEXT) | instid1(VALU_DEP_1)
	v_div_fmas_f32 v0, v0, v3, v7
	v_div_fixup_f32 v0, v0, v1, 1.0
	s_delay_alu instid0(VALU_DEP_1)
	v_mul_f32_e32 v2, v2, v0
	v_xor_b32_e32 v3, 0x80000000, v0
                                        ; implicit-def: $vgpr0_vgpr1
.LBB85_95:
	s_and_not1_saveexec_b32 s1, s1
	s_cbranch_execz .LBB85_97
; %bb.96:
	v_div_scale_f32 v2, null, v0, v0, v1
	v_div_scale_f32 v8, vcc_lo, v1, v0, v1
	s_delay_alu instid0(VALU_DEP_2) | instskip(SKIP_1) | instid1(TRANS32_DEP_1)
	v_rcp_f32_e32 v3, v2
	v_nop
	v_fma_f32 v7, -v2, v3, 1.0
	s_delay_alu instid0(VALU_DEP_1) | instskip(NEXT) | instid1(VALU_DEP_1)
	v_fmac_f32_e32 v3, v7, v3
	v_mul_f32_e32 v7, v8, v3
	s_delay_alu instid0(VALU_DEP_1) | instskip(NEXT) | instid1(VALU_DEP_1)
	v_fma_f32 v9, -v2, v7, v8
	v_fmac_f32_e32 v7, v9, v3
	s_delay_alu instid0(VALU_DEP_1) | instskip(NEXT) | instid1(VALU_DEP_1)
	v_fma_f32 v2, -v2, v7, v8
	v_div_fmas_f32 v2, v2, v3, v7
	s_delay_alu instid0(VALU_DEP_1) | instskip(NEXT) | instid1(VALU_DEP_1)
	v_div_fixup_f32 v3, v2, v0, v1
	v_fmac_f32_e32 v0, v1, v3
	s_delay_alu instid0(VALU_DEP_1) | instskip(NEXT) | instid1(VALU_DEP_1)
	v_div_scale_f32 v1, null, v0, v0, 1.0
	v_rcp_f32_e32 v2, v1
	v_nop
	s_delay_alu instid0(TRANS32_DEP_1) | instskip(NEXT) | instid1(VALU_DEP_1)
	v_fma_f32 v7, -v1, v2, 1.0
	v_fmac_f32_e32 v2, v7, v2
	v_div_scale_f32 v7, vcc_lo, 1.0, v0, 1.0
	s_delay_alu instid0(VALU_DEP_1) | instskip(NEXT) | instid1(VALU_DEP_1)
	v_mul_f32_e32 v8, v7, v2
	v_fma_f32 v9, -v1, v8, v7
	s_delay_alu instid0(VALU_DEP_1) | instskip(NEXT) | instid1(VALU_DEP_1)
	v_fmac_f32_e32 v8, v9, v2
	v_fma_f32 v1, -v1, v8, v7
	s_delay_alu instid0(VALU_DEP_1) | instskip(NEXT) | instid1(VALU_DEP_1)
	v_div_fmas_f32 v1, v1, v2, v8
	v_div_fixup_f32 v2, v1, v0, 1.0
	s_delay_alu instid0(VALU_DEP_1)
	v_mul_f32_e64 v3, v3, -v2
.LBB85_97:
	s_or_b32 exec_lo, exec_lo, s1
	ds_store_b64 v33, v[2:3]
.LBB85_98:
	s_or_b32 exec_lo, exec_lo, s2
	s_wait_dscnt 0x0
	s_barrier_signal -1
	s_barrier_wait -1
	ds_load_b64 v[194:195], v33
	s_mov_b32 s1, exec_lo
	v_cmpx_lt_u32_e32 10, v32
	s_cbranch_execz .LBB85_100
; %bb.99:
	ds_load_2addr_b64 v[196:199], v6 offset0:11 offset1:12
	ds_load_2addr_b64 v[200:203], v6 offset0:13 offset1:14
	;; [unrolled: 1-line block ×3, first 2 shown]
	s_wait_dscnt 0x3
	v_pk_mul_f32 v[2:3], v[194:195], v[70:71] op_sel:[1,1] op_sel_hi:[0,1]
	ds_load_2addr_b64 v[208:211], v6 offset0:17 offset1:18
	ds_load_2addr_b64 v[212:215], v6 offset0:19 offset1:20
	v_pk_fma_f32 v[0:1], v[194:195], v[70:71], v[2:3] op_sel_hi:[1,0,1] neg_lo:[0,0,1] neg_hi:[0,0,1]
	v_pk_fma_f32 v[2:3], v[194:195], v[70:71], v[2:3] op_sel_hi:[1,0,1]
	s_delay_alu instid0(VALU_DEP_1) | instskip(SKIP_1) | instid1(VALU_DEP_2)
	v_dual_mov_b32 v70, v0 :: v_dual_mov_b32 v71, v3
	s_wait_dscnt 0x4
	v_pk_mul_f32 v[8:9], v[196:197], v[2:3] op_sel:[0,1]
	v_pk_mul_f32 v[10:11], v[198:199], v[2:3] op_sel:[0,1]
	s_wait_dscnt 0x3
	v_pk_mul_f32 v[216:217], v[200:201], v[2:3] op_sel:[0,1]
	v_dual_mov_b32 v218, v203 :: v_dual_mov_b32 v219, v202
	v_dual_mul_f32 v220, v203, v3 :: v_dual_mul_f32 v222, v203, v0
	v_pk_fma_f32 v[228:229], v[196:197], v[0:1], v[8:9] op_sel:[0,0,1] op_sel_hi:[1,1,0] neg_lo:[0,0,1] neg_hi:[0,0,1]
	v_pk_fma_f32 v[8:9], v[196:197], v[0:1], v[8:9] op_sel:[0,0,1] op_sel_hi:[1,0,0]
	v_pk_fma_f32 v[196:197], v[198:199], v[0:1], v[10:11] op_sel:[0,0,1] op_sel_hi:[1,1,0] neg_lo:[0,0,1] neg_hi:[0,0,1]
	v_pk_fma_f32 v[10:11], v[198:199], v[0:1], v[10:11] op_sel:[0,0,1] op_sel_hi:[1,0,0]
	;; [unrolled: 2-line block ×3, first 2 shown]
	s_wait_dscnt 0x2
	v_pk_mul_f32 v[224:225], v[204:205], v[2:3] op_sel:[0,1]
	v_pk_mul_f32 v[226:227], v[206:207], v[2:3] op_sel:[0,1]
	v_pk_fma_f32 v[216:217], v[218:219], v[70:71], v[222:223] op_sel_hi:[1,1,0]
	v_dual_mov_b32 v229, v9 :: v_dual_mov_b32 v197, v11
	v_mov_b32_e32 v199, v201
	v_pk_fma_f32 v[202:203], v[202:203], v[70:71], v[220:221] op_sel_hi:[1,1,0] neg_lo:[0,0,1] neg_hi:[0,0,1]
	v_pk_fma_f32 v[218:219], v[204:205], v[0:1], v[224:225] op_sel:[0,0,1] op_sel_hi:[1,0,0]
	v_pk_fma_f32 v[8:9], v[206:207], v[0:1], v[226:227] op_sel:[0,0,1] op_sel_hi:[1,0,0]
	v_mov_b32_e32 v203, v217
	v_pk_add_f32 v[64:65], v[64:65], v[196:197] neg_lo:[0,1] neg_hi:[0,1]
	v_pk_add_f32 v[96:97], v[96:97], v[198:199] neg_lo:[0,1] neg_hi:[0,1]
	v_pk_fma_f32 v[10:11], v[204:205], v[0:1], v[224:225] op_sel:[0,0,1] op_sel_hi:[1,1,0] neg_lo:[0,0,1] neg_hi:[0,0,1]
	s_wait_dscnt 0x1
	v_pk_mul_f32 v[204:205], v[208:209], v[2:3] op_sel:[0,1]
	ds_load_2addr_b64 v[196:199], v6 offset0:21 offset1:22
	v_pk_fma_f32 v[200:201], v[206:207], v[0:1], v[226:227] op_sel:[0,0,1] op_sel_hi:[1,1,0] neg_lo:[0,0,1] neg_hi:[0,0,1]
	v_dual_mov_b32 v11, v219 :: v_dual_mov_b32 v201, v9
	v_pk_mul_f32 v[8:9], v[210:211], v[2:3] op_sel:[0,1]
	v_pk_add_f32 v[98:99], v[98:99], v[202:203] neg_lo:[0,1] neg_hi:[0,1]
	v_pk_fma_f32 v[202:203], v[208:209], v[0:1], v[204:205] op_sel:[0,0,1] op_sel_hi:[1,0,0]
	s_delay_alu instid0(VALU_DEP_4)
	v_pk_add_f32 v[94:95], v[94:95], v[10:11] neg_lo:[0,1] neg_hi:[0,1]
	v_pk_fma_f32 v[204:205], v[208:209], v[0:1], v[204:205] op_sel:[0,0,1] op_sel_hi:[1,1,0] neg_lo:[0,0,1] neg_hi:[0,0,1]
	v_pk_fma_f32 v[10:11], v[210:211], v[0:1], v[8:9] op_sel:[0,0,1] op_sel_hi:[1,0,0]
	s_wait_dscnt 0x1
	v_dual_mul_f32 v10, v213, v0 :: v_dual_mov_b32 v205, v203
	v_pk_add_f32 v[120:121], v[120:121], v[200:201] neg_lo:[0,1] neg_hi:[0,1]
	ds_load_2addr_b64 v[200:203], v6 offset0:23 offset1:24
	v_pk_fma_f32 v[8:9], v[210:211], v[0:1], v[8:9] op_sel:[0,0,1] op_sel_hi:[1,1,0] neg_lo:[0,0,1] neg_hi:[0,0,1]
	v_dual_mov_b32 v9, v11 :: v_dual_mul_f32 v206, v213, v3
	v_pk_fma_f32 v[10:11], v[212:213], v[70:71], v[10:11] op_sel:[1,0,0] op_sel_hi:[0,1,0]
	v_pk_mul_f32 v[208:209], v[214:215], v[2:3] op_sel:[0,1]
	v_pk_add_f32 v[116:117], v[116:117], v[204:205] neg_lo:[0,1] neg_hi:[0,1]
	s_delay_alu instid0(VALU_DEP_4)
	v_pk_add_f32 v[118:119], v[118:119], v[8:9] neg_lo:[0,1] neg_hi:[0,1]
	v_pk_fma_f32 v[8:9], v[212:213], v[70:71], v[206:207] op_sel_hi:[1,1,0] neg_lo:[0,0,1] neg_hi:[0,0,1]
	ds_load_2addr_b64 v[204:207], v6 offset0:25 offset1:26
	v_pk_fma_f32 v[210:211], v[214:215], v[0:1], v[208:209] op_sel:[0,0,1] op_sel_hi:[1,0,0]
	v_mov_b32_e32 v9, v11
	s_wait_dscnt 0x2
	v_pk_mul_f32 v[10:11], v[196:197], v[2:3] op_sel:[0,1]
	v_pk_mul_f32 v[212:213], v[198:199], v[2:3] op_sel:[0,1]
	v_pk_fma_f32 v[208:209], v[214:215], v[0:1], v[208:209] op_sel:[0,0,1] op_sel_hi:[1,1,0] neg_lo:[0,0,1] neg_hi:[0,0,1]
	v_mov_b32_e32 v209, v211
	v_pk_add_f32 v[54:55], v[54:55], v[8:9] neg_lo:[0,1] neg_hi:[0,1]
	v_pk_fma_f32 v[8:9], v[196:197], v[0:1], v[10:11] op_sel:[0,0,1] op_sel_hi:[1,0,0]
	v_pk_fma_f32 v[214:215], v[198:199], v[0:1], v[212:213] op_sel:[0,0,1] op_sel_hi:[1,0,0]
	v_pk_fma_f32 v[10:11], v[196:197], v[0:1], v[10:11] op_sel:[0,0,1] op_sel_hi:[1,1,0] neg_lo:[0,0,1] neg_hi:[0,0,1]
	v_pk_add_f32 v[84:85], v[84:85], v[208:209] neg_lo:[0,1] neg_hi:[0,1]
	ds_load_2addr_b64 v[208:211], v6 offset0:29 offset1:30
	v_mov_b32_e32 v11, v9
	v_pk_fma_f32 v[8:9], v[198:199], v[0:1], v[212:213] op_sel:[0,0,1] op_sel_hi:[1,1,0] neg_lo:[0,0,1] neg_hi:[0,0,1]
	v_mov_b32_e32 v9, v215
	s_wait_dscnt 0x2
	v_pk_mul_f32 v[212:213], v[200:201], v[2:3] op_sel:[0,1]
	ds_load_2addr_b64 v[196:199], v6 offset0:27 offset1:28
	v_pk_add_f32 v[80:81], v[80:81], v[10:11] neg_lo:[0,1] neg_hi:[0,1]
	v_dual_mov_b32 v10, v203 :: v_dual_mov_b32 v11, v202
	v_pk_add_f32 v[82:83], v[82:83], v[8:9] neg_lo:[0,1] neg_hi:[0,1]
	v_pk_fma_f32 v[8:9], v[200:201], v[0:1], v[212:213] op_sel:[0,0,1] op_sel_hi:[1,0,0]
	v_dual_mul_f32 v8, v203, v0 :: v_dual_mul_f32 v214, v203, v3
	s_wait_dscnt 0x2
	v_pk_mul_f32 v[216:217], v[204:205], v[2:3] op_sel:[0,1]
	v_pk_fma_f32 v[200:201], v[200:201], v[0:1], v[212:213] op_sel:[0,0,1] op_sel_hi:[1,1,0] neg_lo:[0,0,1] neg_hi:[0,0,1]
	v_pk_mul_f32 v[212:213], v[206:207], v[2:3] op_sel:[0,1]
	v_pk_fma_f32 v[10:11], v[10:11], v[70:71], v[8:9] op_sel_hi:[1,1,0]
	v_mov_b32_e32 v201, v9
	v_pk_fma_f32 v[8:9], v[204:205], v[0:1], v[216:217] op_sel:[0,0,1] op_sel_hi:[1,0,0]
	v_pk_fma_f32 v[202:203], v[202:203], v[70:71], v[214:215] op_sel_hi:[1,1,0] neg_lo:[0,0,1] neg_hi:[0,0,1]
	v_pk_add_f32 v[66:67], v[66:67], v[228:229] neg_lo:[0,1] neg_hi:[0,1]
	v_mov_b32_e32 v203, v11
	v_pk_fma_f32 v[10:11], v[204:205], v[0:1], v[216:217] op_sel:[0,0,1] op_sel_hi:[1,1,0] neg_lo:[0,0,1] neg_hi:[0,0,1]
	v_mov_b32_e32 v11, v9
	v_pk_fma_f32 v[8:9], v[206:207], v[0:1], v[212:213] op_sel:[0,0,1] op_sel_hi:[1,0,0]
	s_wait_dscnt 0x0
	v_pk_mul_f32 v[214:215], v[196:197], v[2:3] op_sel:[0,1]
	v_pk_add_f32 v[78:79], v[78:79], v[200:201] neg_lo:[0,1] neg_hi:[0,1]
	v_pk_add_f32 v[106:107], v[106:107], v[202:203] neg_lo:[0,1] neg_hi:[0,1]
	ds_load_2addr_b64 v[200:203], v6 offset0:31 offset1:32
	v_pk_add_f32 v[102:103], v[102:103], v[10:11] neg_lo:[0,1] neg_hi:[0,1]
	v_pk_fma_f32 v[10:11], v[206:207], v[0:1], v[212:213] op_sel:[0,0,1] op_sel_hi:[1,1,0] neg_lo:[0,0,1] neg_hi:[0,0,1]
	ds_load_2addr_b64 v[204:207], v6 offset0:33 offset1:34
	v_pk_mul_f32 v[212:213], v[198:199], v[2:3] op_sel:[0,1]
	v_mov_b32_e32 v11, v9
	v_pk_fma_f32 v[8:9], v[196:197], v[0:1], v[214:215] op_sel:[0,0,1] op_sel_hi:[1,0,0]
	v_mul_f32_e32 v8, v209, v0
	v_pk_fma_f32 v[196:197], v[196:197], v[0:1], v[214:215] op_sel:[0,0,1] op_sel_hi:[1,1,0] neg_lo:[0,0,1] neg_hi:[0,0,1]
	v_pk_fma_f32 v[214:215], v[198:199], v[0:1], v[212:213] op_sel:[0,0,1] op_sel_hi:[1,0,0]
	v_mul_f32_e32 v214, v209, v3
	v_mov_b32_e32 v197, v9
	v_pk_fma_f32 v[8:9], v[208:209], v[70:71], v[8:9] op_sel:[1,0,0] op_sel_hi:[0,1,0]
	v_pk_fma_f32 v[198:199], v[198:199], v[0:1], v[212:213] op_sel:[0,0,1] op_sel_hi:[1,1,0] neg_lo:[0,0,1] neg_hi:[0,0,1]
	v_pk_mul_f32 v[212:213], v[210:211], v[2:3] op_sel:[0,1]
	v_pk_fma_f32 v[208:209], v[208:209], v[70:71], v[214:215] op_sel_hi:[1,1,0] neg_lo:[0,0,1] neg_hi:[0,0,1]
	s_delay_alu instid0(VALU_DEP_4) | instskip(SKIP_1) | instid1(VALU_DEP_4)
	v_dual_mov_b32 v199, v215 :: v_dual_mov_b32 v209, v9
	v_pk_add_f32 v[104:105], v[104:105], v[10:11] neg_lo:[0,1] neg_hi:[0,1]
	v_pk_fma_f32 v[8:9], v[210:211], v[0:1], v[212:213] op_sel:[0,0,1] op_sel_hi:[1,0,0]
	v_pk_fma_f32 v[10:11], v[210:211], v[0:1], v[212:213] op_sel:[0,0,1] op_sel_hi:[1,1,0] neg_lo:[0,0,1] neg_hi:[0,0,1]
	s_wait_dscnt 0x1
	v_pk_mul_f32 v[212:213], v[202:203], v[2:3] op_sel:[0,1]
	v_pk_add_f32 v[100:101], v[100:101], v[196:197] neg_lo:[0,1] neg_hi:[0,1]
	v_pk_add_f32 v[128:129], v[128:129], v[198:199] neg_lo:[0,1] neg_hi:[0,1]
	v_mov_b32_e32 v11, v9
	v_pk_mul_f32 v[8:9], v[200:201], v[2:3] op_sel:[0,1]
	ds_load_2addr_b64 v[196:199], v6 offset0:35 offset1:36
	s_wait_dscnt 0x1
	v_pk_mul_f32 v[214:215], v[204:205], v[2:3] op_sel:[0,1]
	v_pk_add_f32 v[124:125], v[124:125], v[208:209] neg_lo:[0,1] neg_hi:[0,1]
	v_pk_add_f32 v[126:127], v[126:127], v[10:11] neg_lo:[0,1] neg_hi:[0,1]
	v_pk_fma_f32 v[10:11], v[200:201], v[0:1], v[8:9] op_sel:[0,0,1] op_sel_hi:[1,0,0]
	v_pk_fma_f32 v[8:9], v[200:201], v[0:1], v[8:9] op_sel:[0,0,1] op_sel_hi:[1,1,0] neg_lo:[0,0,1] neg_hi:[0,0,1]
	v_pk_fma_f32 v[200:201], v[202:203], v[0:1], v[212:213] op_sel:[0,0,1] op_sel_hi:[1,0,0]
	v_pk_fma_f32 v[216:217], v[204:205], v[0:1], v[214:215] op_sel:[0,0,1] op_sel_hi:[1,0,0]
	ds_load_2addr_b64 v[208:211], v6 offset0:37 offset1:38
	v_mov_b32_e32 v9, v11
	v_pk_fma_f32 v[10:11], v[202:203], v[0:1], v[212:213] op_sel:[0,0,1] op_sel_hi:[1,1,0] neg_lo:[0,0,1] neg_hi:[0,0,1]
	v_mov_b32_e32 v11, v201
	v_pk_fma_f32 v[200:201], v[204:205], v[0:1], v[214:215] op_sel:[0,0,1] op_sel_hi:[1,1,0] neg_lo:[0,0,1] neg_hi:[0,0,1]
	v_dual_mov_b32 v201, v217 :: v_dual_mov_b32 v202, v207
	v_dual_mov_b32 v203, v206 :: v_dual_mul_f32 v204, v207, v0
	v_pk_add_f32 v[122:123], v[122:123], v[8:9] neg_lo:[0,1] neg_hi:[0,1]
	v_pk_add_f32 v[146:147], v[146:147], v[10:11] neg_lo:[0,1] neg_hi:[0,1]
	s_delay_alu instid0(VALU_DEP_4)
	v_pk_add_f32 v[142:143], v[142:143], v[200:201] neg_lo:[0,1] neg_hi:[0,1]
	s_wait_dscnt 0x1
	v_pk_mul_f32 v[212:213], v[196:197], v[2:3] op_sel:[0,1]
	v_pk_fma_f32 v[10:11], v[202:203], v[70:71], v[204:205] op_sel_hi:[1,1,0]
	ds_load_2addr_b64 v[200:203], v6 offset0:39 offset1:40
	v_mul_f32_e32 v8, v207, v3
	v_pk_mul_f32 v[214:215], v[198:199], v[2:3] op_sel:[0,1]
	s_delay_alu instid0(VALU_DEP_2)
	v_pk_fma_f32 v[8:9], v[206:207], v[70:71], v[8:9] op_sel_hi:[1,1,0] neg_lo:[0,0,1] neg_hi:[0,0,1]
	ds_load_2addr_b64 v[204:207], v6 offset0:41 offset1:42
	v_mov_b32_e32 v9, v11
	v_pk_fma_f32 v[10:11], v[196:197], v[0:1], v[212:213] op_sel:[0,0,1] op_sel_hi:[1,0,0]
	s_wait_dscnt 0x2
	v_pk_mul_f32 v[216:217], v[208:209], v[2:3] op_sel:[0,1]
	v_pk_fma_f32 v[218:219], v[198:199], v[0:1], v[214:215] op_sel:[0,0,1] op_sel_hi:[1,0,0]
	v_pk_fma_f32 v[196:197], v[196:197], v[0:1], v[212:213] op_sel:[0,0,1] op_sel_hi:[1,1,0] neg_lo:[0,0,1] neg_hi:[0,0,1]
	v_pk_mul_f32 v[212:213], v[210:211], v[2:3] op_sel:[0,1]
	v_mov_b32_e32 v197, v11
	v_pk_fma_f32 v[10:11], v[208:209], v[0:1], v[216:217] op_sel:[0,0,1] op_sel_hi:[1,0,0]
	v_pk_fma_f32 v[198:199], v[198:199], v[0:1], v[214:215] op_sel:[0,0,1] op_sel_hi:[1,1,0] neg_lo:[0,0,1] neg_hi:[0,0,1]
	v_mov_b32_e32 v199, v219
	v_pk_fma_f32 v[208:209], v[208:209], v[0:1], v[216:217] op_sel:[0,0,1] op_sel_hi:[1,1,0] neg_lo:[0,0,1] neg_hi:[0,0,1]
	v_pk_add_f32 v[144:145], v[144:145], v[8:9] neg_lo:[0,1] neg_hi:[0,1]
	v_pk_fma_f32 v[8:9], v[210:211], v[0:1], v[212:213] op_sel:[0,0,1] op_sel_hi:[1,0,0]
	s_wait_dscnt 0x1
	v_dual_mov_b32 v209, v11 :: v_dual_mul_f32 v8, v201, v0
	v_pk_add_f32 v[140:141], v[140:141], v[196:197] neg_lo:[0,1] neg_hi:[0,1]
	v_pk_add_f32 v[166:167], v[166:167], v[198:199] neg_lo:[0,1] neg_hi:[0,1]
	v_pk_fma_f32 v[10:11], v[210:211], v[0:1], v[212:213] op_sel:[0,0,1] op_sel_hi:[1,1,0] neg_lo:[0,0,1] neg_hi:[0,0,1]
	v_mul_f32_e32 v196, v201, v3
	v_pk_mul_f32 v[198:199], v[202:203], v[2:3] op_sel:[0,1]
	v_pk_add_f32 v[160:161], v[160:161], v[208:209] neg_lo:[0,1] neg_hi:[0,1]
	v_mov_b32_e32 v11, v9
	v_pk_fma_f32 v[8:9], v[200:201], v[70:71], v[8:9] op_sel:[1,0,0] op_sel_hi:[0,1,0]
	s_wait_dscnt 0x0
	v_pk_mul_f32 v[208:209], v[204:205], v[2:3] op_sel:[0,1]
	v_pk_mul_f32 v[2:3], v[206:207], v[2:3] op_sel:[0,1]
	v_pk_fma_f32 v[196:197], v[200:201], v[70:71], v[196:197] op_sel_hi:[1,1,0] neg_lo:[0,0,1] neg_hi:[0,0,1]
	v_pk_fma_f32 v[200:201], v[202:203], v[0:1], v[198:199] op_sel:[0,0,1] op_sel_hi:[1,0,0]
	v_mov_b32_e32 v197, v9
	v_pk_fma_f32 v[8:9], v[204:205], v[0:1], v[208:209] op_sel:[0,0,1] op_sel_hi:[1,0,0]
	v_pk_fma_f32 v[198:199], v[202:203], v[0:1], v[198:199] op_sel:[0,0,1] op_sel_hi:[1,1,0] neg_lo:[0,0,1] neg_hi:[0,0,1]
	v_pk_fma_f32 v[202:203], v[206:207], v[0:1], v[2:3] op_sel:[0,0,1] op_sel_hi:[1,0,0]
	v_mov_b32_e32 v199, v201
	v_pk_fma_f32 v[200:201], v[204:205], v[0:1], v[208:209] op_sel:[0,0,1] op_sel_hi:[1,1,0] neg_lo:[0,0,1] neg_hi:[0,0,1]
	v_pk_fma_f32 v[0:1], v[206:207], v[0:1], v[2:3] op_sel:[0,0,1] op_sel_hi:[1,1,0] neg_lo:[0,0,1] neg_hi:[0,0,1]
	s_delay_alu instid0(VALU_DEP_4) | instskip(SKIP_3) | instid1(VALU_DEP_4)
	v_dual_mov_b32 v201, v9 :: v_dual_mov_b32 v1, v203
	v_pk_add_f32 v[164:165], v[164:165], v[10:11] neg_lo:[0,1] neg_hi:[0,1]
	v_pk_add_f32 v[158:159], v[158:159], v[196:197] neg_lo:[0,1] neg_hi:[0,1]
	;; [unrolled: 1-line block ×5, first 2 shown]
.LBB85_100:
	s_or_b32 exec_lo, exec_lo, s1
	s_delay_alu instid0(SALU_CYCLE_1)
	s_mov_b32 s2, exec_lo
	s_wait_dscnt 0x0
	s_barrier_signal -1
	s_barrier_wait -1
	v_cmpx_eq_u32_e32 11, v32
	s_cbranch_execz .LBB85_107
; %bb.101:
	v_dual_mov_b32 v0, v64 :: v_dual_mov_b32 v1, v65
	v_dual_mov_b32 v2, v96 :: v_dual_mov_b32 v3, v97
	;; [unrolled: 1-line block ×8, first 2 shown]
	ds_store_b64 v33, v[66:67]
	ds_store_2addr_b64 v6, v[0:1], v[2:3] offset0:12 offset1:13
	ds_store_2addr_b64 v6, v[8:9], v[10:11] offset0:14 offset1:15
	;; [unrolled: 1-line block ×4, first 2 shown]
	v_dual_mov_b32 v0, v84 :: v_dual_mov_b32 v1, v85
	v_dual_mov_b32 v2, v80 :: v_dual_mov_b32 v3, v81
	;; [unrolled: 1-line block ×12, first 2 shown]
	ds_store_2addr_b64 v6, v[0:1], v[2:3] offset0:20 offset1:21
	ds_store_2addr_b64 v6, v[8:9], v[10:11] offset0:22 offset1:23
	;; [unrolled: 1-line block ×6, first 2 shown]
	v_dual_mov_b32 v0, v146 :: v_dual_mov_b32 v1, v147
	v_dual_mov_b32 v2, v142 :: v_dual_mov_b32 v3, v143
	v_dual_mov_b32 v8, v144 :: v_dual_mov_b32 v9, v145
	v_dual_mov_b32 v10, v140 :: v_dual_mov_b32 v11, v141
	v_dual_mov_b32 v196, v166 :: v_dual_mov_b32 v197, v167
	v_dual_mov_b32 v198, v160 :: v_dual_mov_b32 v199, v161
	v_dual_mov_b32 v200, v164 :: v_dual_mov_b32 v201, v165
	v_dual_mov_b32 v202, v158 :: v_dual_mov_b32 v203, v159
	v_dual_mov_b32 v204, v162 :: v_dual_mov_b32 v205, v163
	v_dual_mov_b32 v206, v168 :: v_dual_mov_b32 v207, v169
	ds_store_2addr_b64 v6, v[0:1], v[2:3] offset0:32 offset1:33
	ds_store_2addr_b64 v6, v[8:9], v[10:11] offset0:34 offset1:35
	;; [unrolled: 1-line block ×5, first 2 shown]
	ds_store_b64 v6, v[170:171] offset:336
	ds_load_b64 v[0:1], v33
	s_wait_dscnt 0x0
	v_cmp_neq_f32_e32 vcc_lo, 0, v0
	v_cmp_neq_f32_e64 s1, 0, v1
	s_or_b32 s1, vcc_lo, s1
	s_delay_alu instid0(SALU_CYCLE_1)
	s_and_b32 exec_lo, exec_lo, s1
	s_cbranch_execz .LBB85_107
; %bb.102:
	v_cmp_ngt_f32_e64 s1, |v0|, |v1|
                                        ; implicit-def: $vgpr2_vgpr3
	s_and_saveexec_b32 s4, s1
	s_delay_alu instid0(SALU_CYCLE_1)
	s_xor_b32 s1, exec_lo, s4
	s_cbranch_execz .LBB85_104
; %bb.103:
	v_div_scale_f32 v2, null, v1, v1, v0
	v_div_scale_f32 v8, vcc_lo, v0, v1, v0
	s_delay_alu instid0(VALU_DEP_2) | instskip(SKIP_1) | instid1(TRANS32_DEP_1)
	v_rcp_f32_e32 v3, v2
	v_nop
	v_fma_f32 v7, -v2, v3, 1.0
	s_delay_alu instid0(VALU_DEP_1) | instskip(NEXT) | instid1(VALU_DEP_1)
	v_fmac_f32_e32 v3, v7, v3
	v_mul_f32_e32 v7, v8, v3
	s_delay_alu instid0(VALU_DEP_1) | instskip(NEXT) | instid1(VALU_DEP_1)
	v_fma_f32 v9, -v2, v7, v8
	v_fmac_f32_e32 v7, v9, v3
	s_delay_alu instid0(VALU_DEP_1) | instskip(NEXT) | instid1(VALU_DEP_1)
	v_fma_f32 v2, -v2, v7, v8
	v_div_fmas_f32 v2, v2, v3, v7
	s_delay_alu instid0(VALU_DEP_1) | instskip(NEXT) | instid1(VALU_DEP_1)
	v_div_fixup_f32 v2, v2, v1, v0
	v_fmac_f32_e32 v1, v0, v2
	s_delay_alu instid0(VALU_DEP_1) | instskip(SKIP_1) | instid1(VALU_DEP_2)
	v_div_scale_f32 v0, null, v1, v1, 1.0
	v_div_scale_f32 v8, vcc_lo, 1.0, v1, 1.0
	v_rcp_f32_e32 v3, v0
	v_nop
	s_delay_alu instid0(TRANS32_DEP_1) | instskip(NEXT) | instid1(VALU_DEP_1)
	v_fma_f32 v7, -v0, v3, 1.0
	v_fmac_f32_e32 v3, v7, v3
	s_delay_alu instid0(VALU_DEP_1) | instskip(NEXT) | instid1(VALU_DEP_1)
	v_mul_f32_e32 v7, v8, v3
	v_fma_f32 v9, -v0, v7, v8
	s_delay_alu instid0(VALU_DEP_1) | instskip(NEXT) | instid1(VALU_DEP_1)
	v_fmac_f32_e32 v7, v9, v3
	v_fma_f32 v0, -v0, v7, v8
	s_delay_alu instid0(VALU_DEP_1) | instskip(NEXT) | instid1(VALU_DEP_1)
	v_div_fmas_f32 v0, v0, v3, v7
	v_div_fixup_f32 v0, v0, v1, 1.0
	s_delay_alu instid0(VALU_DEP_1)
	v_mul_f32_e32 v2, v2, v0
	v_xor_b32_e32 v3, 0x80000000, v0
                                        ; implicit-def: $vgpr0_vgpr1
.LBB85_104:
	s_and_not1_saveexec_b32 s1, s1
	s_cbranch_execz .LBB85_106
; %bb.105:
	v_div_scale_f32 v2, null, v0, v0, v1
	v_div_scale_f32 v8, vcc_lo, v1, v0, v1
	s_delay_alu instid0(VALU_DEP_2) | instskip(SKIP_1) | instid1(TRANS32_DEP_1)
	v_rcp_f32_e32 v3, v2
	v_nop
	v_fma_f32 v7, -v2, v3, 1.0
	s_delay_alu instid0(VALU_DEP_1) | instskip(NEXT) | instid1(VALU_DEP_1)
	v_fmac_f32_e32 v3, v7, v3
	v_mul_f32_e32 v7, v8, v3
	s_delay_alu instid0(VALU_DEP_1) | instskip(NEXT) | instid1(VALU_DEP_1)
	v_fma_f32 v9, -v2, v7, v8
	v_fmac_f32_e32 v7, v9, v3
	s_delay_alu instid0(VALU_DEP_1) | instskip(NEXT) | instid1(VALU_DEP_1)
	v_fma_f32 v2, -v2, v7, v8
	v_div_fmas_f32 v2, v2, v3, v7
	s_delay_alu instid0(VALU_DEP_1) | instskip(NEXT) | instid1(VALU_DEP_1)
	v_div_fixup_f32 v3, v2, v0, v1
	v_fmac_f32_e32 v0, v1, v3
	s_delay_alu instid0(VALU_DEP_1) | instskip(NEXT) | instid1(VALU_DEP_1)
	v_div_scale_f32 v1, null, v0, v0, 1.0
	v_rcp_f32_e32 v2, v1
	v_nop
	s_delay_alu instid0(TRANS32_DEP_1) | instskip(NEXT) | instid1(VALU_DEP_1)
	v_fma_f32 v7, -v1, v2, 1.0
	v_fmac_f32_e32 v2, v7, v2
	v_div_scale_f32 v7, vcc_lo, 1.0, v0, 1.0
	s_delay_alu instid0(VALU_DEP_1) | instskip(NEXT) | instid1(VALU_DEP_1)
	v_mul_f32_e32 v8, v7, v2
	v_fma_f32 v9, -v1, v8, v7
	s_delay_alu instid0(VALU_DEP_1) | instskip(NEXT) | instid1(VALU_DEP_1)
	v_fmac_f32_e32 v8, v9, v2
	v_fma_f32 v1, -v1, v8, v7
	s_delay_alu instid0(VALU_DEP_1) | instskip(NEXT) | instid1(VALU_DEP_1)
	v_div_fmas_f32 v1, v1, v2, v8
	v_div_fixup_f32 v2, v1, v0, 1.0
	s_delay_alu instid0(VALU_DEP_1)
	v_mul_f32_e64 v3, v3, -v2
.LBB85_106:
	s_or_b32 exec_lo, exec_lo, s1
	ds_store_b64 v33, v[2:3]
.LBB85_107:
	s_or_b32 exec_lo, exec_lo, s2
	s_wait_dscnt 0x0
	s_barrier_signal -1
	s_barrier_wait -1
	ds_load_b64 v[196:197], v33
	s_mov_b32 s1, exec_lo
	v_cmpx_lt_u32_e32 11, v32
	s_cbranch_execz .LBB85_109
; %bb.108:
	ds_load_2addr_b64 v[198:201], v6 offset0:12 offset1:13
	ds_load_2addr_b64 v[202:205], v6 offset0:14 offset1:15
	;; [unrolled: 1-line block ×3, first 2 shown]
	s_wait_dscnt 0x3
	v_pk_mul_f32 v[2:3], v[196:197], v[66:67] op_sel:[1,1] op_sel_hi:[0,1]
	ds_load_2addr_b64 v[210:213], v6 offset0:18 offset1:19
	ds_load_2addr_b64 v[214:217], v6 offset0:20 offset1:21
	v_pk_fma_f32 v[0:1], v[196:197], v[66:67], v[2:3] op_sel_hi:[1,0,1] neg_lo:[0,0,1] neg_hi:[0,0,1]
	v_pk_fma_f32 v[2:3], v[196:197], v[66:67], v[2:3] op_sel_hi:[1,0,1]
	s_delay_alu instid0(VALU_DEP_1) | instskip(SKIP_1) | instid1(VALU_DEP_2)
	v_dual_mov_b32 v66, v0 :: v_dual_mov_b32 v67, v3
	s_wait_dscnt 0x4
	v_pk_mul_f32 v[8:9], v[198:199], v[2:3] op_sel:[0,1]
	v_pk_mul_f32 v[10:11], v[200:201], v[2:3] op_sel:[0,1]
	s_wait_dscnt 0x3
	v_pk_mul_f32 v[218:219], v[202:203], v[2:3] op_sel:[0,1]
	v_dual_mov_b32 v220, v205 :: v_dual_mov_b32 v221, v204
	v_dual_mul_f32 v222, v205, v3 :: v_dual_mul_f32 v224, v205, v0
	v_pk_fma_f32 v[230:231], v[198:199], v[0:1], v[8:9] op_sel:[0,0,1] op_sel_hi:[1,1,0] neg_lo:[0,0,1] neg_hi:[0,0,1]
	v_pk_fma_f32 v[8:9], v[198:199], v[0:1], v[8:9] op_sel:[0,0,1] op_sel_hi:[1,0,0]
	v_pk_fma_f32 v[198:199], v[200:201], v[0:1], v[10:11] op_sel:[0,0,1] op_sel_hi:[1,1,0] neg_lo:[0,0,1] neg_hi:[0,0,1]
	v_pk_fma_f32 v[10:11], v[200:201], v[0:1], v[10:11] op_sel:[0,0,1] op_sel_hi:[1,0,0]
	;; [unrolled: 2-line block ×3, first 2 shown]
	v_pk_fma_f32 v[218:219], v[220:221], v[66:67], v[224:225] op_sel_hi:[1,1,0]
	s_delay_alu instid0(VALU_DEP_4)
	v_dual_mov_b32 v231, v9 :: v_dual_mov_b32 v199, v11
	s_wait_dscnt 0x2
	v_pk_mul_f32 v[226:227], v[206:207], v[2:3] op_sel:[0,1]
	v_mov_b32_e32 v201, v203
	v_pk_fma_f32 v[204:205], v[204:205], v[66:67], v[222:223] op_sel_hi:[1,1,0] neg_lo:[0,0,1] neg_hi:[0,0,1]
	v_mov_b32_e32 v205, v219
	v_pk_add_f32 v[96:97], v[96:97], v[198:199] neg_lo:[0,1] neg_hi:[0,1]
	v_pk_mul_f32 v[228:229], v[208:209], v[2:3] op_sel:[0,1]
	v_pk_add_f32 v[98:99], v[98:99], v[200:201] neg_lo:[0,1] neg_hi:[0,1]
	ds_load_2addr_b64 v[198:201], v6 offset0:22 offset1:23
	v_pk_fma_f32 v[8:9], v[206:207], v[0:1], v[226:227] op_sel:[0,0,1] op_sel_hi:[1,0,0]
	s_wait_dscnt 0x2
	v_pk_mul_f32 v[10:11], v[210:211], v[2:3] op_sel:[0,1]
	v_pk_add_f32 v[94:95], v[94:95], v[204:205] neg_lo:[0,1] neg_hi:[0,1]
	v_pk_fma_f32 v[204:205], v[206:207], v[0:1], v[226:227] op_sel:[0,0,1] op_sel_hi:[1,1,0] neg_lo:[0,0,1] neg_hi:[0,0,1]
	v_pk_fma_f32 v[202:203], v[208:209], v[0:1], v[228:229] op_sel:[0,0,1] op_sel_hi:[1,0,0]
	v_mov_b32_e32 v205, v9
	v_pk_fma_f32 v[8:9], v[210:211], v[0:1], v[10:11] op_sel:[0,0,1] op_sel_hi:[1,0,0]
	v_pk_fma_f32 v[206:207], v[208:209], v[0:1], v[228:229] op_sel:[0,0,1] op_sel_hi:[1,1,0] neg_lo:[0,0,1] neg_hi:[0,0,1]
	v_pk_mul_f32 v[208:209], v[212:213], v[2:3] op_sel:[0,1]
	v_pk_fma_f32 v[10:11], v[210:211], v[0:1], v[10:11] op_sel:[0,0,1] op_sel_hi:[1,1,0] neg_lo:[0,0,1] neg_hi:[0,0,1]
	s_delay_alu instid0(VALU_DEP_4)
	v_dual_mov_b32 v207, v203 :: v_dual_mov_b32 v11, v9
	v_pk_add_f32 v[120:121], v[120:121], v[204:205] neg_lo:[0,1] neg_hi:[0,1]
	ds_load_2addr_b64 v[202:205], v6 offset0:24 offset1:25
	v_pk_fma_f32 v[8:9], v[212:213], v[0:1], v[208:209] op_sel:[0,0,1] op_sel_hi:[1,0,0]
	s_wait_dscnt 0x2
	v_mul_f32_e32 v8, v215, v0
	v_pk_add_f32 v[118:119], v[118:119], v[10:11] neg_lo:[0,1] neg_hi:[0,1]
	v_pk_fma_f32 v[10:11], v[212:213], v[0:1], v[208:209] op_sel:[0,0,1] op_sel_hi:[1,1,0] neg_lo:[0,0,1] neg_hi:[0,0,1]
	v_pk_add_f32 v[116:117], v[116:117], v[206:207] neg_lo:[0,1] neg_hi:[0,1]
	v_dual_mov_b32 v11, v9 :: v_dual_mul_f32 v206, v215, v3
	v_pk_mul_f32 v[210:211], v[216:217], v[2:3] op_sel:[0,1]
	v_pk_fma_f32 v[8:9], v[214:215], v[66:67], v[8:9] op_sel:[1,0,0] op_sel_hi:[0,1,0]
	s_wait_dscnt 0x1
	v_pk_mul_f32 v[212:213], v[198:199], v[2:3] op_sel:[0,1]
	v_pk_add_f32 v[54:55], v[54:55], v[10:11] neg_lo:[0,1] neg_hi:[0,1]
	v_pk_fma_f32 v[10:11], v[214:215], v[66:67], v[206:207] op_sel_hi:[1,1,0] neg_lo:[0,0,1] neg_hi:[0,0,1]
	v_pk_fma_f32 v[214:215], v[216:217], v[0:1], v[210:211] op_sel:[0,0,1] op_sel_hi:[1,0,0]
	v_mov_b32_e32 v11, v9
	v_pk_fma_f32 v[8:9], v[198:199], v[0:1], v[212:213] op_sel:[0,0,1] op_sel_hi:[1,0,0]
	ds_load_2addr_b64 v[206:209], v6 offset0:26 offset1:27
	v_pk_fma_f32 v[198:199], v[198:199], v[0:1], v[212:213] op_sel:[0,0,1] op_sel_hi:[1,1,0] neg_lo:[0,0,1] neg_hi:[0,0,1]
	v_pk_mul_f32 v[212:213], v[200:201], v[2:3] op_sel:[0,1]
	v_pk_fma_f32 v[210:211], v[216:217], v[0:1], v[210:211] op_sel:[0,0,1] op_sel_hi:[1,1,0] neg_lo:[0,0,1] neg_hi:[0,0,1]
	v_mov_b32_e32 v211, v215
	v_pk_add_f32 v[84:85], v[84:85], v[10:11] neg_lo:[0,1] neg_hi:[0,1]
	v_pk_add_f32 v[64:65], v[64:65], v[230:231] neg_lo:[0,1] neg_hi:[0,1]
	v_pk_fma_f32 v[10:11], v[200:201], v[0:1], v[212:213] op_sel:[0,0,1] op_sel_hi:[1,0,0]
	v_mov_b32_e32 v199, v9
	s_wait_dscnt 0x1
	v_pk_mul_f32 v[8:9], v[202:203], v[2:3] op_sel:[0,1]
	v_pk_fma_f32 v[212:213], v[200:201], v[0:1], v[212:213] op_sel:[0,0,1] op_sel_hi:[1,1,0] neg_lo:[0,0,1] neg_hi:[0,0,1]
	v_pk_add_f32 v[80:81], v[80:81], v[210:211] neg_lo:[0,1] neg_hi:[0,1]
	v_mov_b32_e32 v213, v11
	v_pk_add_f32 v[82:83], v[82:83], v[198:199] neg_lo:[0,1] neg_hi:[0,1]
	ds_load_2addr_b64 v[198:201], v6 offset0:28 offset1:29
	v_pk_fma_f32 v[210:211], v[202:203], v[0:1], v[8:9] op_sel:[0,0,1] op_sel_hi:[1,0,0]
	v_pk_fma_f32 v[8:9], v[202:203], v[0:1], v[8:9] op_sel:[0,0,1] op_sel_hi:[1,1,0] neg_lo:[0,0,1] neg_hi:[0,0,1]
	v_dual_mov_b32 v10, v205 :: v_dual_mov_b32 v11, v204
	s_delay_alu instid0(VALU_DEP_3)
	v_dual_mul_f32 v202, v205, v0 :: v_dual_mov_b32 v9, v211
	s_wait_dscnt 0x1
	v_pk_mul_f32 v[214:215], v[206:207], v[2:3] op_sel:[0,1]
	v_pk_add_f32 v[78:79], v[78:79], v[212:213] neg_lo:[0,1] neg_hi:[0,1]
	v_pk_mul_f32 v[216:217], v[208:209], v[2:3] op_sel:[0,1]
	v_pk_fma_f32 v[10:11], v[10:11], v[66:67], v[202:203] op_sel_hi:[1,1,0]
	v_pk_add_f32 v[106:107], v[106:107], v[8:9] neg_lo:[0,1] neg_hi:[0,1]
	v_mul_f32_e32 v8, v205, v3
	v_pk_fma_f32 v[202:203], v[206:207], v[0:1], v[214:215] op_sel:[0,0,1] op_sel_hi:[1,0,0]
	ds_load_2addr_b64 v[210:213], v6 offset0:30 offset1:31
	v_pk_fma_f32 v[8:9], v[204:205], v[66:67], v[8:9] op_sel_hi:[1,1,0] neg_lo:[0,0,1] neg_hi:[0,0,1]
	v_mov_b32_e32 v9, v11
	v_pk_fma_f32 v[10:11], v[206:207], v[0:1], v[214:215] op_sel:[0,0,1] op_sel_hi:[1,1,0] neg_lo:[0,0,1] neg_hi:[0,0,1]
	v_pk_fma_f32 v[206:207], v[208:209], v[0:1], v[216:217] op_sel:[0,0,1] op_sel_hi:[1,0,0]
	v_mov_b32_e32 v11, v203
	s_wait_dscnt 0x1
	v_pk_mul_f32 v[214:215], v[198:199], v[2:3] op_sel:[0,1]
	ds_load_2addr_b64 v[202:205], v6 offset0:32 offset1:33
	v_pk_fma_f32 v[208:209], v[208:209], v[0:1], v[216:217] op_sel:[0,0,1] op_sel_hi:[1,1,0] neg_lo:[0,0,1] neg_hi:[0,0,1]
	v_mov_b32_e32 v209, v207
	v_pk_add_f32 v[102:103], v[102:103], v[8:9] neg_lo:[0,1] neg_hi:[0,1]
	v_pk_mul_f32 v[8:9], v[200:201], v[2:3] op_sel:[0,1]
	v_pk_fma_f32 v[206:207], v[198:199], v[0:1], v[214:215] op_sel:[0,0,1] op_sel_hi:[1,0,0]
	v_pk_add_f32 v[104:105], v[104:105], v[10:11] neg_lo:[0,1] neg_hi:[0,1]
	v_pk_fma_f32 v[10:11], v[198:199], v[0:1], v[214:215] op_sel:[0,0,1] op_sel_hi:[1,1,0] neg_lo:[0,0,1] neg_hi:[0,0,1]
	v_pk_add_f32 v[100:101], v[100:101], v[208:209] neg_lo:[0,1] neg_hi:[0,1]
	v_pk_fma_f32 v[198:199], v[200:201], v[0:1], v[8:9] op_sel:[0,0,1] op_sel_hi:[1,0,0]
	v_mov_b32_e32 v11, v207
	ds_load_2addr_b64 v[206:209], v6 offset0:34 offset1:35
	v_pk_fma_f32 v[8:9], v[200:201], v[0:1], v[8:9] op_sel:[0,0,1] op_sel_hi:[1,1,0] neg_lo:[0,0,1] neg_hi:[0,0,1]
	s_wait_dscnt 0x2
	v_dual_mul_f32 v198, v211, v0 :: v_dual_mul_f32 v200, v211, v3
	v_mov_b32_e32 v9, v199
	v_pk_add_f32 v[128:129], v[128:129], v[10:11] neg_lo:[0,1] neg_hi:[0,1]
	v_pk_mul_f32 v[10:11], v[212:213], v[2:3] op_sel:[0,1]
	s_delay_alu instid0(VALU_DEP_4)
	v_pk_fma_f32 v[198:199], v[210:211], v[66:67], v[198:199] op_sel:[1,0,0] op_sel_hi:[0,1,0]
	v_pk_fma_f32 v[210:211], v[210:211], v[66:67], v[200:201] op_sel_hi:[1,1,0] neg_lo:[0,0,1] neg_hi:[0,0,1]
	v_pk_add_f32 v[124:125], v[124:125], v[8:9] neg_lo:[0,1] neg_hi:[0,1]
	s_wait_dscnt 0x1
	v_pk_mul_f32 v[8:9], v[202:203], v[2:3] op_sel:[0,1]
	v_pk_fma_f32 v[214:215], v[212:213], v[0:1], v[10:11] op_sel:[0,0,1] op_sel_hi:[1,0,0]
	v_pk_fma_f32 v[10:11], v[212:213], v[0:1], v[10:11] op_sel:[0,0,1] op_sel_hi:[1,1,0] neg_lo:[0,0,1] neg_hi:[0,0,1]
	v_mov_b32_e32 v211, v199
	ds_load_2addr_b64 v[198:201], v6 offset0:36 offset1:37
	v_pk_fma_f32 v[212:213], v[202:203], v[0:1], v[8:9] op_sel:[0,0,1] op_sel_hi:[1,0,0]
	v_mov_b32_e32 v11, v215
	v_pk_fma_f32 v[8:9], v[202:203], v[0:1], v[8:9] op_sel:[0,0,1] op_sel_hi:[1,1,0] neg_lo:[0,0,1] neg_hi:[0,0,1]
	v_pk_mul_f32 v[202:203], v[204:205], v[2:3] op_sel:[0,1]
	v_pk_add_f32 v[126:127], v[126:127], v[210:211] neg_lo:[0,1] neg_hi:[0,1]
	ds_load_b64 v[216:217], v6 offset:336
	v_pk_add_f32 v[122:123], v[122:123], v[10:11] neg_lo:[0,1] neg_hi:[0,1]
	v_pk_fma_f32 v[10:11], v[204:205], v[0:1], v[202:203] op_sel:[0,0,1] op_sel_hi:[1,0,0]
	v_mov_b32_e32 v9, v213
	s_wait_dscnt 0x2
	v_pk_mul_f32 v[212:213], v[206:207], v[2:3] op_sel:[0,1]
	v_pk_fma_f32 v[210:211], v[204:205], v[0:1], v[202:203] op_sel:[0,0,1] op_sel_hi:[1,1,0] neg_lo:[0,0,1] neg_hi:[0,0,1]
	ds_load_2addr_b64 v[202:205], v6 offset0:38 offset1:39
	v_mov_b32_e32 v211, v11
	v_pk_add_f32 v[146:147], v[146:147], v[8:9] neg_lo:[0,1] neg_hi:[0,1]
	v_pk_fma_f32 v[8:9], v[206:207], v[0:1], v[212:213] op_sel:[0,0,1] op_sel_hi:[1,0,0]
	v_pk_fma_f32 v[10:11], v[206:207], v[0:1], v[212:213] op_sel:[0,0,1] op_sel_hi:[1,1,0] neg_lo:[0,0,1] neg_hi:[0,0,1]
	v_dual_mov_b32 v8, v209 :: v_dual_mul_f32 v206, v209, v0
	v_pk_add_f32 v[142:143], v[142:143], v[210:211] neg_lo:[0,1] neg_hi:[0,1]
	s_delay_alu instid0(VALU_DEP_4)
	v_dual_mov_b32 v11, v9 :: v_dual_mov_b32 v9, v208
	ds_load_2addr_b64 v[210:213], v6 offset0:40 offset1:41
	s_wait_dscnt 0x3
	v_pk_mul_f32 v[214:215], v[198:199], v[2:3] op_sel:[0,1]
	v_pk_add_f32 v[144:145], v[144:145], v[10:11] neg_lo:[0,1] neg_hi:[0,1]
	v_mul_f32_e32 v10, v209, v3
	v_pk_fma_f32 v[8:9], v[8:9], v[66:67], v[206:207] op_sel_hi:[1,1,0]
	v_pk_mul_f32 v[206:207], v[200:201], v[2:3] op_sel:[0,1]
	s_delay_alu instid0(VALU_DEP_3) | instskip(SKIP_1) | instid1(VALU_DEP_4)
	v_pk_fma_f32 v[10:11], v[208:209], v[66:67], v[10:11] op_sel_hi:[1,1,0] neg_lo:[0,0,1] neg_hi:[0,0,1]
	v_pk_fma_f32 v[208:209], v[198:199], v[0:1], v[214:215] op_sel:[0,0,1] op_sel_hi:[1,0,0]
	v_mov_b32_e32 v11, v9
	s_delay_alu instid0(VALU_DEP_4)
	v_pk_fma_f32 v[8:9], v[200:201], v[0:1], v[206:207] op_sel:[0,0,1] op_sel_hi:[1,0,0]
	v_pk_fma_f32 v[198:199], v[198:199], v[0:1], v[214:215] op_sel:[0,0,1] op_sel_hi:[1,1,0] neg_lo:[0,0,1] neg_hi:[0,0,1]
	s_wait_dscnt 0x1
	v_pk_mul_f32 v[214:215], v[202:203], v[2:3] op_sel:[0,1]
	v_mov_b32_e32 v199, v209
	v_pk_fma_f32 v[200:201], v[200:201], v[0:1], v[206:207] op_sel:[0,0,1] op_sel_hi:[1,1,0] neg_lo:[0,0,1] neg_hi:[0,0,1]
	v_mov_b32_e32 v201, v9
	v_pk_add_f32 v[140:141], v[140:141], v[10:11] neg_lo:[0,1] neg_hi:[0,1]
	v_pk_fma_f32 v[8:9], v[202:203], v[0:1], v[214:215] op_sel:[0,0,1] op_sel_hi:[1,0,0]
	v_pk_mul_f32 v[10:11], v[204:205], v[2:3] op_sel:[0,1]
	v_pk_add_f32 v[166:167], v[166:167], v[198:199] neg_lo:[0,1] neg_hi:[0,1]
	v_pk_fma_f32 v[198:199], v[202:203], v[0:1], v[214:215] op_sel:[0,0,1] op_sel_hi:[1,1,0] neg_lo:[0,0,1] neg_hi:[0,0,1]
	v_pk_add_f32 v[160:161], v[160:161], v[200:201] neg_lo:[0,1] neg_hi:[0,1]
	s_wait_dscnt 0x0
	v_dual_mov_b32 v199, v9 :: v_dual_mul_f32 v200, v211, v0
	v_pk_fma_f32 v[8:9], v[204:205], v[0:1], v[10:11] op_sel:[0,0,1] op_sel_hi:[1,1,0] neg_lo:[0,0,1] neg_hi:[0,0,1]
	v_pk_fma_f32 v[10:11], v[204:205], v[0:1], v[10:11] op_sel:[0,0,1] op_sel_hi:[1,0,0]
	v_pk_mul_f32 v[202:203], v[212:213], v[2:3] op_sel:[0,1]
	s_delay_alu instid0(VALU_DEP_4)
	v_pk_add_f32 v[164:165], v[164:165], v[198:199] neg_lo:[0,1] neg_hi:[0,1]
	v_pk_fma_f32 v[200:201], v[210:211], v[66:67], v[200:201] op_sel:[1,0,0] op_sel_hi:[0,1,0]
	v_mul_f32_e32 v10, v211, v3
	v_pk_mul_f32 v[2:3], v[216:217], v[2:3] op_sel:[0,1]
	v_pk_fma_f32 v[204:205], v[212:213], v[0:1], v[202:203] op_sel:[0,0,1] op_sel_hi:[1,0,0]
	v_mov_b32_e32 v9, v11
	s_delay_alu instid0(VALU_DEP_4) | instskip(NEXT) | instid1(VALU_DEP_4)
	v_pk_fma_f32 v[10:11], v[210:211], v[66:67], v[10:11] op_sel_hi:[1,1,0] neg_lo:[0,0,1] neg_hi:[0,0,1]
	v_pk_fma_f32 v[206:207], v[216:217], v[0:1], v[2:3] op_sel:[0,0,1] op_sel_hi:[1,0,0]
	v_mov_b32_e32 v11, v201
	v_pk_fma_f32 v[200:201], v[212:213], v[0:1], v[202:203] op_sel:[0,0,1] op_sel_hi:[1,1,0] neg_lo:[0,0,1] neg_hi:[0,0,1]
	v_pk_fma_f32 v[0:1], v[216:217], v[0:1], v[2:3] op_sel:[0,0,1] op_sel_hi:[1,1,0] neg_lo:[0,0,1] neg_hi:[0,0,1]
	s_delay_alu instid0(VALU_DEP_4) | instskip(SKIP_2) | instid1(VALU_DEP_3)
	v_dual_mov_b32 v201, v205 :: v_dual_mov_b32 v1, v207
	v_pk_add_f32 v[158:159], v[158:159], v[8:9] neg_lo:[0,1] neg_hi:[0,1]
	v_pk_add_f32 v[162:163], v[162:163], v[10:11] neg_lo:[0,1] neg_hi:[0,1]
	v_pk_add_f32 v[168:169], v[168:169], v[200:201] neg_lo:[0,1] neg_hi:[0,1]
	s_delay_alu instid0(VALU_DEP_4)
	v_pk_add_f32 v[170:171], v[170:171], v[0:1] neg_lo:[0,1] neg_hi:[0,1]
.LBB85_109:
	s_or_b32 exec_lo, exec_lo, s1
	s_delay_alu instid0(SALU_CYCLE_1)
	s_mov_b32 s2, exec_lo
	s_wait_dscnt 0x0
	s_barrier_signal -1
	s_barrier_wait -1
	v_cmpx_eq_u32_e32 12, v32
	s_cbranch_execz .LBB85_116
; %bb.110:
	ds_store_b64 v33, v[64:65]
	ds_store_2addr_b64 v6, v[96:97], v[98:99] offset0:13 offset1:14
	ds_store_2addr_b64 v6, v[94:95], v[120:121] offset0:15 offset1:16
	;; [unrolled: 1-line block ×15, first 2 shown]
	ds_load_b64 v[0:1], v33
	s_wait_dscnt 0x0
	v_cmp_neq_f32_e32 vcc_lo, 0, v0
	v_cmp_neq_f32_e64 s1, 0, v1
	s_or_b32 s1, vcc_lo, s1
	s_delay_alu instid0(SALU_CYCLE_1)
	s_and_b32 exec_lo, exec_lo, s1
	s_cbranch_execz .LBB85_116
; %bb.111:
	v_cmp_ngt_f32_e64 s1, |v0|, |v1|
                                        ; implicit-def: $vgpr2_vgpr3
	s_and_saveexec_b32 s4, s1
	s_delay_alu instid0(SALU_CYCLE_1)
	s_xor_b32 s1, exec_lo, s4
	s_cbranch_execz .LBB85_113
; %bb.112:
	v_div_scale_f32 v2, null, v1, v1, v0
	v_div_scale_f32 v8, vcc_lo, v0, v1, v0
	s_delay_alu instid0(VALU_DEP_2) | instskip(SKIP_1) | instid1(TRANS32_DEP_1)
	v_rcp_f32_e32 v3, v2
	v_nop
	v_fma_f32 v7, -v2, v3, 1.0
	s_delay_alu instid0(VALU_DEP_1) | instskip(NEXT) | instid1(VALU_DEP_1)
	v_fmac_f32_e32 v3, v7, v3
	v_mul_f32_e32 v7, v8, v3
	s_delay_alu instid0(VALU_DEP_1) | instskip(NEXT) | instid1(VALU_DEP_1)
	v_fma_f32 v9, -v2, v7, v8
	v_fmac_f32_e32 v7, v9, v3
	s_delay_alu instid0(VALU_DEP_1) | instskip(NEXT) | instid1(VALU_DEP_1)
	v_fma_f32 v2, -v2, v7, v8
	v_div_fmas_f32 v2, v2, v3, v7
	s_delay_alu instid0(VALU_DEP_1) | instskip(NEXT) | instid1(VALU_DEP_1)
	v_div_fixup_f32 v2, v2, v1, v0
	v_fmac_f32_e32 v1, v0, v2
	s_delay_alu instid0(VALU_DEP_1) | instskip(SKIP_1) | instid1(VALU_DEP_2)
	v_div_scale_f32 v0, null, v1, v1, 1.0
	v_div_scale_f32 v8, vcc_lo, 1.0, v1, 1.0
	v_rcp_f32_e32 v3, v0
	v_nop
	s_delay_alu instid0(TRANS32_DEP_1) | instskip(NEXT) | instid1(VALU_DEP_1)
	v_fma_f32 v7, -v0, v3, 1.0
	v_fmac_f32_e32 v3, v7, v3
	s_delay_alu instid0(VALU_DEP_1) | instskip(NEXT) | instid1(VALU_DEP_1)
	v_mul_f32_e32 v7, v8, v3
	v_fma_f32 v9, -v0, v7, v8
	s_delay_alu instid0(VALU_DEP_1) | instskip(NEXT) | instid1(VALU_DEP_1)
	v_fmac_f32_e32 v7, v9, v3
	v_fma_f32 v0, -v0, v7, v8
	s_delay_alu instid0(VALU_DEP_1) | instskip(NEXT) | instid1(VALU_DEP_1)
	v_div_fmas_f32 v0, v0, v3, v7
	v_div_fixup_f32 v0, v0, v1, 1.0
	s_delay_alu instid0(VALU_DEP_1)
	v_mul_f32_e32 v2, v2, v0
	v_xor_b32_e32 v3, 0x80000000, v0
                                        ; implicit-def: $vgpr0_vgpr1
.LBB85_113:
	s_and_not1_saveexec_b32 s1, s1
	s_cbranch_execz .LBB85_115
; %bb.114:
	v_div_scale_f32 v2, null, v0, v0, v1
	v_div_scale_f32 v8, vcc_lo, v1, v0, v1
	s_delay_alu instid0(VALU_DEP_2) | instskip(SKIP_1) | instid1(TRANS32_DEP_1)
	v_rcp_f32_e32 v3, v2
	v_nop
	v_fma_f32 v7, -v2, v3, 1.0
	s_delay_alu instid0(VALU_DEP_1) | instskip(NEXT) | instid1(VALU_DEP_1)
	v_fmac_f32_e32 v3, v7, v3
	v_mul_f32_e32 v7, v8, v3
	s_delay_alu instid0(VALU_DEP_1) | instskip(NEXT) | instid1(VALU_DEP_1)
	v_fma_f32 v9, -v2, v7, v8
	v_fmac_f32_e32 v7, v9, v3
	s_delay_alu instid0(VALU_DEP_1) | instskip(NEXT) | instid1(VALU_DEP_1)
	v_fma_f32 v2, -v2, v7, v8
	v_div_fmas_f32 v2, v2, v3, v7
	s_delay_alu instid0(VALU_DEP_1) | instskip(NEXT) | instid1(VALU_DEP_1)
	v_div_fixup_f32 v3, v2, v0, v1
	v_fmac_f32_e32 v0, v1, v3
	s_delay_alu instid0(VALU_DEP_1) | instskip(NEXT) | instid1(VALU_DEP_1)
	v_div_scale_f32 v1, null, v0, v0, 1.0
	v_rcp_f32_e32 v2, v1
	v_nop
	s_delay_alu instid0(TRANS32_DEP_1) | instskip(NEXT) | instid1(VALU_DEP_1)
	v_fma_f32 v7, -v1, v2, 1.0
	v_fmac_f32_e32 v2, v7, v2
	v_div_scale_f32 v7, vcc_lo, 1.0, v0, 1.0
	s_delay_alu instid0(VALU_DEP_1) | instskip(NEXT) | instid1(VALU_DEP_1)
	v_mul_f32_e32 v8, v7, v2
	v_fma_f32 v9, -v1, v8, v7
	s_delay_alu instid0(VALU_DEP_1) | instskip(NEXT) | instid1(VALU_DEP_1)
	v_fmac_f32_e32 v8, v9, v2
	v_fma_f32 v1, -v1, v8, v7
	s_delay_alu instid0(VALU_DEP_1) | instskip(NEXT) | instid1(VALU_DEP_1)
	v_div_fmas_f32 v1, v1, v2, v8
	v_div_fixup_f32 v2, v1, v0, 1.0
	s_delay_alu instid0(VALU_DEP_1)
	v_mul_f32_e64 v3, v3, -v2
.LBB85_115:
	s_or_b32 exec_lo, exec_lo, s1
	ds_store_b64 v33, v[2:3]
.LBB85_116:
	s_or_b32 exec_lo, exec_lo, s2
	s_wait_dscnt 0x0
	s_barrier_signal -1
	s_barrier_wait -1
	ds_load_b64 v[198:199], v33
	s_mov_b32 s1, exec_lo
	v_cmpx_lt_u32_e32 12, v32
	s_cbranch_execz .LBB85_118
; %bb.117:
	ds_load_2addr_b64 v[200:203], v6 offset0:13 offset1:14
	ds_load_2addr_b64 v[204:207], v6 offset0:15 offset1:16
	;; [unrolled: 1-line block ×3, first 2 shown]
	s_wait_dscnt 0x3
	v_pk_mul_f32 v[0:1], v[198:199], v[64:65] op_sel:[1,1] op_sel_hi:[0,1]
	ds_load_2addr_b64 v[212:215], v6 offset0:19 offset1:20
	ds_load_2addr_b64 v[216:219], v6 offset0:21 offset1:22
	v_pk_fma_f32 v[2:3], v[198:199], v[64:65], v[0:1] op_sel_hi:[1,0,1] neg_lo:[0,0,1] neg_hi:[0,0,1]
	v_pk_fma_f32 v[0:1], v[198:199], v[64:65], v[0:1] op_sel_hi:[1,0,1]
	s_delay_alu instid0(VALU_DEP_1) | instskip(SKIP_1) | instid1(VALU_DEP_2)
	v_dual_mov_b32 v64, v2 :: v_dual_mov_b32 v65, v1
	s_wait_dscnt 0x4
	v_pk_mul_f32 v[8:9], v[200:201], v[0:1] op_sel:[0,1]
	v_pk_mul_f32 v[10:11], v[202:203], v[0:1] op_sel:[0,1]
	s_wait_dscnt 0x3
	v_pk_mul_f32 v[220:221], v[204:205], v[0:1] op_sel:[0,1]
	v_dual_mov_b32 v222, v207 :: v_dual_mov_b32 v223, v206
	v_dual_mul_f32 v224, v207, v1 :: v_dual_mul_f32 v226, v207, v2
	v_pk_fma_f32 v[234:235], v[200:201], v[2:3], v[8:9] op_sel:[0,0,1] op_sel_hi:[1,1,0] neg_lo:[0,0,1] neg_hi:[0,0,1]
	v_pk_fma_f32 v[8:9], v[200:201], v[2:3], v[8:9] op_sel:[0,0,1] op_sel_hi:[1,0,0]
	v_pk_fma_f32 v[200:201], v[202:203], v[2:3], v[10:11] op_sel:[0,0,1] op_sel_hi:[1,1,0] neg_lo:[0,0,1] neg_hi:[0,0,1]
	v_pk_fma_f32 v[10:11], v[202:203], v[2:3], v[10:11] op_sel:[0,0,1] op_sel_hi:[1,0,0]
	;; [unrolled: 2-line block ×3, first 2 shown]
	v_pk_fma_f32 v[220:221], v[222:223], v[64:65], v[226:227] op_sel_hi:[1,1,0]
	s_delay_alu instid0(VALU_DEP_4)
	v_dual_mov_b32 v235, v9 :: v_dual_mov_b32 v201, v11
	s_wait_dscnt 0x2
	v_pk_mul_f32 v[228:229], v[208:209], v[0:1] op_sel:[0,1]
	v_mov_b32_e32 v203, v205
	v_pk_mul_f32 v[230:231], v[210:211], v[0:1] op_sel:[0,1]
	v_pk_fma_f32 v[206:207], v[206:207], v[64:65], v[224:225] op_sel_hi:[1,1,0] neg_lo:[0,0,1] neg_hi:[0,0,1]
	s_wait_dscnt 0x1
	v_pk_mul_f32 v[232:233], v[212:213], v[0:1] op_sel:[0,1]
	v_mov_b32_e32 v207, v221
	v_pk_add_f32 v[98:99], v[98:99], v[200:201] neg_lo:[0,1] neg_hi:[0,1]
	v_pk_add_f32 v[94:95], v[94:95], v[202:203] neg_lo:[0,1] neg_hi:[0,1]
	ds_load_2addr_b64 v[200:203], v6 offset0:23 offset1:24
	v_pk_fma_f32 v[8:9], v[208:209], v[2:3], v[228:229] op_sel:[0,0,1] op_sel_hi:[1,0,0]
	v_pk_fma_f32 v[204:205], v[210:211], v[2:3], v[230:231] op_sel:[0,0,1] op_sel_hi:[1,0,0]
	v_pk_fma_f32 v[10:11], v[208:209], v[2:3], v[228:229] op_sel:[0,0,1] op_sel_hi:[1,1,0] neg_lo:[0,0,1] neg_hi:[0,0,1]
	v_pk_fma_f32 v[208:209], v[212:213], v[2:3], v[232:233] op_sel:[0,0,1] op_sel_hi:[1,0,0]
	v_pk_add_f32 v[120:121], v[120:121], v[206:207] neg_lo:[0,1] neg_hi:[0,1]
	v_pk_mul_f32 v[206:207], v[214:215], v[0:1] op_sel:[0,1]
	v_mov_b32_e32 v11, v9
	v_pk_fma_f32 v[8:9], v[210:211], v[2:3], v[230:231] op_sel:[0,0,1] op_sel_hi:[1,1,0] neg_lo:[0,0,1] neg_hi:[0,0,1]
	v_mov_b32_e32 v9, v205
	v_pk_fma_f32 v[204:205], v[212:213], v[2:3], v[232:233] op_sel:[0,0,1] op_sel_hi:[1,1,0] neg_lo:[0,0,1] neg_hi:[0,0,1]
	v_mov_b32_e32 v205, v209
	v_pk_fma_f32 v[208:209], v[214:215], v[2:3], v[206:207] op_sel:[0,0,1] op_sel_hi:[1,0,0]
	v_pk_add_f32 v[116:117], v[116:117], v[10:11] neg_lo:[0,1] neg_hi:[0,1]
	v_pk_add_f32 v[118:119], v[118:119], v[8:9] neg_lo:[0,1] neg_hi:[0,1]
	s_wait_dscnt 0x1
	v_dual_mul_f32 v8, v217, v2 :: v_dual_mul_f32 v208, v217, v1
	v_pk_fma_f32 v[10:11], v[214:215], v[2:3], v[206:207] op_sel:[0,0,1] op_sel_hi:[1,1,0] neg_lo:[0,0,1] neg_hi:[0,0,1]
	v_pk_mul_f32 v[210:211], v[218:219], v[0:1] op_sel:[0,1]
	v_mov_b32_e32 v11, v209
	v_pk_add_f32 v[54:55], v[54:55], v[204:205] neg_lo:[0,1] neg_hi:[0,1]
	ds_load_2addr_b64 v[204:207], v6 offset0:25 offset1:26
	v_pk_fma_f32 v[8:9], v[216:217], v[64:65], v[8:9] op_sel:[1,0,0] op_sel_hi:[0,1,0]
	s_wait_dscnt 0x1
	v_pk_mul_f32 v[212:213], v[200:201], v[0:1] op_sel:[0,1]
	v_pk_fma_f32 v[214:215], v[218:219], v[2:3], v[210:211] op_sel:[0,0,1] op_sel_hi:[1,0,0]
	v_pk_fma_f32 v[216:217], v[216:217], v[64:65], v[208:209] op_sel_hi:[1,1,0] neg_lo:[0,0,1] neg_hi:[0,0,1]
	v_pk_mul_f32 v[220:221], v[202:203], v[0:1] op_sel:[0,1]
	v_mov_b32_e32 v217, v9
	v_pk_fma_f32 v[8:9], v[218:219], v[2:3], v[210:211] op_sel:[0,0,1] op_sel_hi:[1,1,0] neg_lo:[0,0,1] neg_hi:[0,0,1]
	v_pk_fma_f32 v[218:219], v[200:201], v[2:3], v[212:213] op_sel:[0,0,1] op_sel_hi:[1,0,0]
	v_mov_b32_e32 v9, v215
	ds_load_2addr_b64 v[208:211], v6 offset0:27 offset1:28
	v_pk_fma_f32 v[200:201], v[200:201], v[2:3], v[212:213] op_sel:[0,0,1] op_sel_hi:[1,1,0] neg_lo:[0,0,1] neg_hi:[0,0,1]
	ds_load_2addr_b64 v[212:215], v6 offset0:29 offset1:30
	v_pk_add_f32 v[84:85], v[84:85], v[10:11] neg_lo:[0,1] neg_hi:[0,1]
	v_pk_add_f32 v[82:83], v[82:83], v[8:9] neg_lo:[0,1] neg_hi:[0,1]
	v_pk_fma_f32 v[8:9], v[202:203], v[2:3], v[220:221] op_sel:[0,0,1] op_sel_hi:[1,0,0]
	v_mov_b32_e32 v201, v219
	v_pk_fma_f32 v[10:11], v[202:203], v[2:3], v[220:221] op_sel:[0,0,1] op_sel_hi:[1,1,0] neg_lo:[0,0,1] neg_hi:[0,0,1]
	v_pk_add_f32 v[80:81], v[80:81], v[216:217] neg_lo:[0,1] neg_hi:[0,1]
	v_pk_add_f32 v[96:97], v[96:97], v[234:235] neg_lo:[0,1] neg_hi:[0,1]
	v_mov_b32_e32 v11, v9
	v_pk_add_f32 v[78:79], v[78:79], v[200:201] neg_lo:[0,1] neg_hi:[0,1]
	s_wait_dscnt 0x2
	v_pk_mul_f32 v[200:201], v[204:205], v[0:1] op_sel:[0,1]
	v_dual_mov_b32 v8, v207 :: v_dual_mov_b32 v9, v206
	v_mul_f32_e32 v202, v207, v2
	v_pk_add_f32 v[106:107], v[106:107], v[10:11] neg_lo:[0,1] neg_hi:[0,1]
	s_delay_alu instid0(VALU_DEP_4)
	v_pk_fma_f32 v[216:217], v[204:205], v[2:3], v[200:201] op_sel:[0,0,1] op_sel_hi:[1,0,0]
	v_mul_f32_e32 v10, v207, v1
	v_pk_fma_f32 v[204:205], v[204:205], v[2:3], v[200:201] op_sel:[0,0,1] op_sel_hi:[1,1,0] neg_lo:[0,0,1] neg_hi:[0,0,1]
	v_pk_fma_f32 v[8:9], v[8:9], v[64:65], v[202:203] op_sel_hi:[1,1,0]
	ds_load_2addr_b64 v[200:203], v6 offset0:31 offset1:32
	v_mov_b32_e32 v205, v217
	s_wait_dscnt 0x2
	v_pk_mul_f32 v[216:217], v[208:209], v[0:1] op_sel:[0,1]
	v_pk_fma_f32 v[10:11], v[206:207], v[64:65], v[10:11] op_sel_hi:[1,1,0] neg_lo:[0,0,1] neg_hi:[0,0,1]
	v_mov_b32_e32 v11, v9
	v_pk_mul_f32 v[218:219], v[210:211], v[0:1] op_sel:[0,1]
	s_wait_dscnt 0x1
	v_pk_mul_f32 v[220:221], v[212:213], v[0:1] op_sel:[0,1]
	v_pk_fma_f32 v[8:9], v[208:209], v[2:3], v[216:217] op_sel:[0,0,1] op_sel_hi:[1,0,0]
	v_pk_add_f32 v[102:103], v[102:103], v[204:205] neg_lo:[0,1] neg_hi:[0,1]
	ds_load_2addr_b64 v[204:207], v6 offset0:33 offset1:34
	v_pk_add_f32 v[104:105], v[104:105], v[10:11] neg_lo:[0,1] neg_hi:[0,1]
	v_pk_fma_f32 v[10:11], v[208:209], v[2:3], v[216:217] op_sel:[0,0,1] op_sel_hi:[1,1,0] neg_lo:[0,0,1] neg_hi:[0,0,1]
	v_mov_b32_e32 v11, v9
	v_pk_fma_f32 v[8:9], v[210:211], v[2:3], v[218:219] op_sel:[0,0,1] op_sel_hi:[1,0,0]
	v_pk_fma_f32 v[208:209], v[212:213], v[2:3], v[220:221] op_sel:[0,0,1] op_sel_hi:[1,0,0]
	v_pk_mul_f32 v[216:217], v[214:215], v[0:1] op_sel:[0,1]
	v_pk_fma_f32 v[210:211], v[210:211], v[2:3], v[218:219] op_sel:[0,0,1] op_sel_hi:[1,1,0] neg_lo:[0,0,1] neg_hi:[0,0,1]
	s_delay_alu instid0(VALU_DEP_4)
	v_mov_b32_e32 v211, v9
	v_pk_fma_f32 v[8:9], v[212:213], v[2:3], v[220:221] op_sel:[0,0,1] op_sel_hi:[1,1,0] neg_lo:[0,0,1] neg_hi:[0,0,1]
	v_mov_b32_e32 v9, v209
	v_pk_add_f32 v[100:101], v[100:101], v[10:11] neg_lo:[0,1] neg_hi:[0,1]
	v_pk_fma_f32 v[10:11], v[214:215], v[2:3], v[216:217] op_sel:[0,0,1] op_sel_hi:[1,0,0]
	s_wait_dscnt 0x1
	v_mul_f32_e32 v10, v201, v2
	v_pk_add_f32 v[128:129], v[128:129], v[210:211] neg_lo:[0,1] neg_hi:[0,1]
	v_pk_add_f32 v[124:125], v[124:125], v[8:9] neg_lo:[0,1] neg_hi:[0,1]
	v_pk_fma_f32 v[8:9], v[214:215], v[2:3], v[216:217] op_sel:[0,0,1] op_sel_hi:[1,1,0] neg_lo:[0,0,1] neg_hi:[0,0,1]
	v_mov_b32_e32 v9, v11
	v_pk_fma_f32 v[10:11], v[200:201], v[64:65], v[10:11] op_sel:[1,0,0] op_sel_hi:[0,1,0]
	v_mul_f32_e32 v212, v201, v1
	ds_load_2addr_b64 v[208:211], v6 offset0:35 offset1:36
	v_pk_mul_f32 v[216:217], v[202:203], v[0:1] op_sel:[0,1]
	v_pk_add_f32 v[126:127], v[126:127], v[8:9] neg_lo:[0,1] neg_hi:[0,1]
	s_wait_dscnt 0x1
	v_pk_mul_f32 v[218:219], v[206:207], v[0:1] op_sel:[0,1]
	v_pk_fma_f32 v[8:9], v[200:201], v[64:65], v[212:213] op_sel_hi:[1,1,0] neg_lo:[0,0,1] neg_hi:[0,0,1]
	v_mov_b32_e32 v9, v11
	v_pk_mul_f32 v[10:11], v[204:205], v[0:1] op_sel:[0,1]
	v_pk_fma_f32 v[200:201], v[202:203], v[2:3], v[216:217] op_sel:[0,0,1] op_sel_hi:[1,0,0]
	ds_load_2addr_b64 v[212:215], v6 offset0:37 offset1:38
	v_pk_fma_f32 v[202:203], v[202:203], v[2:3], v[216:217] op_sel:[0,0,1] op_sel_hi:[1,1,0] neg_lo:[0,0,1] neg_hi:[0,0,1]
	v_pk_add_f32 v[122:123], v[122:123], v[8:9] neg_lo:[0,1] neg_hi:[0,1]
	v_pk_fma_f32 v[8:9], v[204:205], v[2:3], v[10:11] op_sel:[0,0,1] op_sel_hi:[1,0,0]
	v_pk_fma_f32 v[216:217], v[206:207], v[2:3], v[218:219] op_sel:[0,0,1] op_sel_hi:[1,0,0]
	v_mov_b32_e32 v203, v201
	v_pk_fma_f32 v[10:11], v[204:205], v[2:3], v[10:11] op_sel:[0,0,1] op_sel_hi:[1,1,0] neg_lo:[0,0,1] neg_hi:[0,0,1]
	s_delay_alu instid0(VALU_DEP_4)
	v_mov_b32_e32 v11, v9
	v_pk_fma_f32 v[8:9], v[206:207], v[2:3], v[218:219] op_sel:[0,0,1] op_sel_hi:[1,1,0] neg_lo:[0,0,1] neg_hi:[0,0,1]
	v_mov_b32_e32 v9, v217
	v_pk_add_f32 v[146:147], v[146:147], v[202:203] neg_lo:[0,1] neg_hi:[0,1]
	ds_load_2addr_b64 v[200:203], v6 offset0:39 offset1:40
	v_pk_add_f32 v[142:143], v[142:143], v[10:11] neg_lo:[0,1] neg_hi:[0,1]
	s_wait_dscnt 0x2
	v_pk_mul_f32 v[10:11], v[208:209], v[0:1] op_sel:[0,1]
	v_pk_add_f32 v[144:145], v[144:145], v[8:9] neg_lo:[0,1] neg_hi:[0,1]
	v_dual_mov_b32 v8, v211 :: v_dual_mov_b32 v9, v210
	v_mul_f32_e32 v204, v211, v2
	s_delay_alu instid0(VALU_DEP_4)
	v_pk_fma_f32 v[216:217], v[208:209], v[2:3], v[10:11] op_sel:[0,0,1] op_sel_hi:[1,1,0] neg_lo:[0,0,1] neg_hi:[0,0,1]
	v_pk_fma_f32 v[10:11], v[208:209], v[2:3], v[10:11] op_sel:[0,0,1] op_sel_hi:[1,0,0]
	v_mul_f32_e32 v10, v211, v1
	s_wait_dscnt 0x1
	v_pk_mul_f32 v[208:209], v[212:213], v[0:1] op_sel:[0,1]
	v_pk_fma_f32 v[8:9], v[8:9], v[64:65], v[204:205] op_sel_hi:[1,1,0]
	ds_load_2addr_b64 v[204:207], v6 offset0:41 offset1:42
	v_mov_b32_e32 v217, v11
	v_pk_fma_f32 v[10:11], v[210:211], v[64:65], v[10:11] op_sel_hi:[1,1,0] neg_lo:[0,0,1] neg_hi:[0,0,1]
	v_pk_fma_f32 v[218:219], v[212:213], v[2:3], v[208:209] op_sel:[0,0,1] op_sel_hi:[1,0,0]
	v_mov_b32_e32 v11, v9
	v_pk_fma_f32 v[8:9], v[212:213], v[2:3], v[208:209] op_sel:[0,0,1] op_sel_hi:[1,1,0] neg_lo:[0,0,1] neg_hi:[0,0,1]
	v_pk_mul_f32 v[208:209], v[214:215], v[0:1] op_sel:[0,1]
	v_pk_add_f32 v[140:141], v[140:141], v[216:217] neg_lo:[0,1] neg_hi:[0,1]
	s_wait_dscnt 0x1
	v_pk_mul_f32 v[210:211], v[200:201], v[0:1] op_sel:[0,1]
	v_pk_add_f32 v[166:167], v[166:167], v[10:11] neg_lo:[0,1] neg_hi:[0,1]
	v_pk_mul_f32 v[212:213], v[202:203], v[0:1] op_sel:[0,1]
	v_pk_fma_f32 v[10:11], v[214:215], v[2:3], v[208:209] op_sel:[0,0,1] op_sel_hi:[1,0,0]
	v_mov_b32_e32 v9, v219
	v_pk_fma_f32 v[208:209], v[214:215], v[2:3], v[208:209] op_sel:[0,0,1] op_sel_hi:[1,1,0] neg_lo:[0,0,1] neg_hi:[0,0,1]
	s_delay_alu instid0(VALU_DEP_3) | instskip(NEXT) | instid1(VALU_DEP_3)
	v_mov_b32_e32 v209, v11
	v_pk_add_f32 v[160:161], v[160:161], v[8:9] neg_lo:[0,1] neg_hi:[0,1]
	v_pk_fma_f32 v[8:9], v[200:201], v[2:3], v[210:211] op_sel:[0,0,1] op_sel_hi:[1,0,0]
	v_pk_fma_f32 v[10:11], v[200:201], v[2:3], v[210:211] op_sel:[0,0,1] op_sel_hi:[1,1,0] neg_lo:[0,0,1] neg_hi:[0,0,1]
	s_wait_dscnt 0x0
	v_dual_mul_f32 v0, v205, v2 :: v_dual_mov_b32 v201, v206
	s_delay_alu instid0(VALU_DEP_3)
	v_dual_mov_b32 v200, v207 :: v_dual_mov_b32 v11, v9
	v_mul_f32_e32 v210, v207, v2
	v_pk_fma_f32 v[8:9], v[202:203], v[2:3], v[212:213] op_sel:[0,0,1] op_sel_hi:[1,1,0] neg_lo:[0,0,1] neg_hi:[0,0,1]
	v_pk_fma_f32 v[2:3], v[202:203], v[2:3], v[212:213] op_sel:[0,0,1] op_sel_hi:[1,0,0]
	v_mul_f32_e32 v2, v205, v1
	v_pk_fma_f32 v[202:203], v[204:205], v[64:65], v[0:1] op_sel:[1,0,0] op_sel_hi:[0,1,0]
	v_pk_fma_f32 v[200:201], v[200:201], v[64:65], v[210:211] op_sel_hi:[1,1,0]
	v_mul_f32_e32 v0, v207, v1
	v_mov_b32_e32 v9, v3
	v_pk_fma_f32 v[2:3], v[204:205], v[64:65], v[2:3] op_sel_hi:[1,1,0] neg_lo:[0,0,1] neg_hi:[0,0,1]
	v_mov_b32_e32 v3, v203
	v_pk_add_f32 v[164:165], v[164:165], v[208:209] neg_lo:[0,1] neg_hi:[0,1]
	v_pk_fma_f32 v[0:1], v[206:207], v[64:65], v[0:1] op_sel_hi:[1,1,0] neg_lo:[0,0,1] neg_hi:[0,0,1]
	v_mov_b32_e32 v1, v201
	v_pk_add_f32 v[158:159], v[158:159], v[10:11] neg_lo:[0,1] neg_hi:[0,1]
	v_pk_add_f32 v[162:163], v[162:163], v[8:9] neg_lo:[0,1] neg_hi:[0,1]
	;; [unrolled: 1-line block ×3, first 2 shown]
	s_delay_alu instid0(VALU_DEP_4)
	v_pk_add_f32 v[170:171], v[170:171], v[0:1] neg_lo:[0,1] neg_hi:[0,1]
.LBB85_118:
	s_or_b32 exec_lo, exec_lo, s1
	s_delay_alu instid0(SALU_CYCLE_1)
	s_mov_b32 s2, exec_lo
	s_wait_dscnt 0x0
	s_barrier_signal -1
	s_barrier_wait -1
	v_cmpx_eq_u32_e32 13, v32
	s_cbranch_execz .LBB85_125
; %bb.119:
	v_dual_mov_b32 v0, v98 :: v_dual_mov_b32 v1, v99
	v_dual_mov_b32 v2, v94 :: v_dual_mov_b32 v3, v95
	;; [unrolled: 1-line block ×4, first 2 shown]
	ds_store_b64 v33, v[96:97]
	ds_store_2addr_b64 v6, v[0:1], v[2:3] offset0:14 offset1:15
	ds_store_2addr_b64 v6, v[8:9], v[10:11] offset0:16 offset1:17
	v_dual_mov_b32 v0, v118 :: v_dual_mov_b32 v1, v119
	v_dual_mov_b32 v2, v54 :: v_dual_mov_b32 v3, v55
	;; [unrolled: 1-line block ×12, first 2 shown]
	ds_store_2addr_b64 v6, v[0:1], v[2:3] offset0:18 offset1:19
	ds_store_2addr_b64 v6, v[8:9], v[10:11] offset0:20 offset1:21
	;; [unrolled: 1-line block ×6, first 2 shown]
	v_dual_mov_b32 v0, v126 :: v_dual_mov_b32 v1, v127
	v_dual_mov_b32 v2, v122 :: v_dual_mov_b32 v3, v123
	;; [unrolled: 1-line block ×12, first 2 shown]
	ds_store_2addr_b64 v6, v[0:1], v[2:3] offset0:30 offset1:31
	ds_store_2addr_b64 v6, v[8:9], v[10:11] offset0:32 offset1:33
	;; [unrolled: 1-line block ×6, first 2 shown]
	ds_store_b64 v6, v[170:171] offset:336
	ds_load_b64 v[0:1], v33
	s_wait_dscnt 0x0
	v_cmp_neq_f32_e32 vcc_lo, 0, v0
	v_cmp_neq_f32_e64 s1, 0, v1
	s_or_b32 s1, vcc_lo, s1
	s_delay_alu instid0(SALU_CYCLE_1)
	s_and_b32 exec_lo, exec_lo, s1
	s_cbranch_execz .LBB85_125
; %bb.120:
	v_cmp_ngt_f32_e64 s1, |v0|, |v1|
                                        ; implicit-def: $vgpr2_vgpr3
	s_and_saveexec_b32 s4, s1
	s_delay_alu instid0(SALU_CYCLE_1)
	s_xor_b32 s1, exec_lo, s4
	s_cbranch_execz .LBB85_122
; %bb.121:
	v_div_scale_f32 v2, null, v1, v1, v0
	v_div_scale_f32 v8, vcc_lo, v0, v1, v0
	s_delay_alu instid0(VALU_DEP_2) | instskip(SKIP_1) | instid1(TRANS32_DEP_1)
	v_rcp_f32_e32 v3, v2
	v_nop
	v_fma_f32 v7, -v2, v3, 1.0
	s_delay_alu instid0(VALU_DEP_1) | instskip(NEXT) | instid1(VALU_DEP_1)
	v_fmac_f32_e32 v3, v7, v3
	v_mul_f32_e32 v7, v8, v3
	s_delay_alu instid0(VALU_DEP_1) | instskip(NEXT) | instid1(VALU_DEP_1)
	v_fma_f32 v9, -v2, v7, v8
	v_fmac_f32_e32 v7, v9, v3
	s_delay_alu instid0(VALU_DEP_1) | instskip(NEXT) | instid1(VALU_DEP_1)
	v_fma_f32 v2, -v2, v7, v8
	v_div_fmas_f32 v2, v2, v3, v7
	s_delay_alu instid0(VALU_DEP_1) | instskip(NEXT) | instid1(VALU_DEP_1)
	v_div_fixup_f32 v2, v2, v1, v0
	v_fmac_f32_e32 v1, v0, v2
	s_delay_alu instid0(VALU_DEP_1) | instskip(SKIP_1) | instid1(VALU_DEP_2)
	v_div_scale_f32 v0, null, v1, v1, 1.0
	v_div_scale_f32 v8, vcc_lo, 1.0, v1, 1.0
	v_rcp_f32_e32 v3, v0
	v_nop
	s_delay_alu instid0(TRANS32_DEP_1) | instskip(NEXT) | instid1(VALU_DEP_1)
	v_fma_f32 v7, -v0, v3, 1.0
	v_fmac_f32_e32 v3, v7, v3
	s_delay_alu instid0(VALU_DEP_1) | instskip(NEXT) | instid1(VALU_DEP_1)
	v_mul_f32_e32 v7, v8, v3
	v_fma_f32 v9, -v0, v7, v8
	s_delay_alu instid0(VALU_DEP_1) | instskip(NEXT) | instid1(VALU_DEP_1)
	v_fmac_f32_e32 v7, v9, v3
	v_fma_f32 v0, -v0, v7, v8
	s_delay_alu instid0(VALU_DEP_1) | instskip(NEXT) | instid1(VALU_DEP_1)
	v_div_fmas_f32 v0, v0, v3, v7
	v_div_fixup_f32 v0, v0, v1, 1.0
	s_delay_alu instid0(VALU_DEP_1)
	v_mul_f32_e32 v2, v2, v0
	v_xor_b32_e32 v3, 0x80000000, v0
                                        ; implicit-def: $vgpr0_vgpr1
.LBB85_122:
	s_and_not1_saveexec_b32 s1, s1
	s_cbranch_execz .LBB85_124
; %bb.123:
	v_div_scale_f32 v2, null, v0, v0, v1
	v_div_scale_f32 v8, vcc_lo, v1, v0, v1
	s_delay_alu instid0(VALU_DEP_2) | instskip(SKIP_1) | instid1(TRANS32_DEP_1)
	v_rcp_f32_e32 v3, v2
	v_nop
	v_fma_f32 v7, -v2, v3, 1.0
	s_delay_alu instid0(VALU_DEP_1) | instskip(NEXT) | instid1(VALU_DEP_1)
	v_fmac_f32_e32 v3, v7, v3
	v_mul_f32_e32 v7, v8, v3
	s_delay_alu instid0(VALU_DEP_1) | instskip(NEXT) | instid1(VALU_DEP_1)
	v_fma_f32 v9, -v2, v7, v8
	v_fmac_f32_e32 v7, v9, v3
	s_delay_alu instid0(VALU_DEP_1) | instskip(NEXT) | instid1(VALU_DEP_1)
	v_fma_f32 v2, -v2, v7, v8
	v_div_fmas_f32 v2, v2, v3, v7
	s_delay_alu instid0(VALU_DEP_1) | instskip(NEXT) | instid1(VALU_DEP_1)
	v_div_fixup_f32 v3, v2, v0, v1
	v_fmac_f32_e32 v0, v1, v3
	s_delay_alu instid0(VALU_DEP_1) | instskip(NEXT) | instid1(VALU_DEP_1)
	v_div_scale_f32 v1, null, v0, v0, 1.0
	v_rcp_f32_e32 v2, v1
	v_nop
	s_delay_alu instid0(TRANS32_DEP_1) | instskip(NEXT) | instid1(VALU_DEP_1)
	v_fma_f32 v7, -v1, v2, 1.0
	v_fmac_f32_e32 v2, v7, v2
	v_div_scale_f32 v7, vcc_lo, 1.0, v0, 1.0
	s_delay_alu instid0(VALU_DEP_1) | instskip(NEXT) | instid1(VALU_DEP_1)
	v_mul_f32_e32 v8, v7, v2
	v_fma_f32 v9, -v1, v8, v7
	s_delay_alu instid0(VALU_DEP_1) | instskip(NEXT) | instid1(VALU_DEP_1)
	v_fmac_f32_e32 v8, v9, v2
	v_fma_f32 v1, -v1, v8, v7
	s_delay_alu instid0(VALU_DEP_1) | instskip(NEXT) | instid1(VALU_DEP_1)
	v_div_fmas_f32 v1, v1, v2, v8
	v_div_fixup_f32 v2, v1, v0, 1.0
	s_delay_alu instid0(VALU_DEP_1)
	v_mul_f32_e64 v3, v3, -v2
.LBB85_124:
	s_or_b32 exec_lo, exec_lo, s1
	ds_store_b64 v33, v[2:3]
.LBB85_125:
	s_or_b32 exec_lo, exec_lo, s2
	s_wait_dscnt 0x0
	s_barrier_signal -1
	s_barrier_wait -1
	ds_load_b64 v[200:201], v33
	s_mov_b32 s1, exec_lo
	v_cmpx_lt_u32_e32 13, v32
	s_cbranch_execz .LBB85_127
; %bb.126:
	ds_load_2addr_b64 v[202:205], v6 offset0:14 offset1:15
	ds_load_2addr_b64 v[206:209], v6 offset0:16 offset1:17
	;; [unrolled: 1-line block ×3, first 2 shown]
	s_wait_dscnt 0x3
	v_pk_mul_f32 v[2:3], v[200:201], v[96:97] op_sel:[1,1] op_sel_hi:[0,1]
	ds_load_2addr_b64 v[214:217], v6 offset0:20 offset1:21
	ds_load_2addr_b64 v[218:221], v6 offset0:22 offset1:23
	v_pk_fma_f32 v[0:1], v[200:201], v[96:97], v[2:3] op_sel_hi:[1,0,1] neg_lo:[0,0,1] neg_hi:[0,0,1]
	v_pk_fma_f32 v[2:3], v[200:201], v[96:97], v[2:3] op_sel_hi:[1,0,1]
	s_delay_alu instid0(VALU_DEP_1) | instskip(SKIP_1) | instid1(VALU_DEP_2)
	v_dual_mov_b32 v96, v0 :: v_dual_mov_b32 v97, v3
	s_wait_dscnt 0x4
	v_pk_mul_f32 v[8:9], v[202:203], v[2:3] op_sel:[0,1]
	v_pk_mul_f32 v[10:11], v[204:205], v[2:3] op_sel:[0,1]
	s_wait_dscnt 0x3
	v_pk_mul_f32 v[222:223], v[206:207], v[2:3] op_sel:[0,1]
	v_dual_mov_b32 v224, v209 :: v_dual_mov_b32 v225, v208
	v_dual_mul_f32 v226, v209, v3 :: v_dual_mul_f32 v228, v209, v0
	s_wait_dscnt 0x2
	v_pk_mul_f32 v[230:231], v[210:211], v[2:3] op_sel:[0,1]
	v_pk_mul_f32 v[232:233], v[212:213], v[2:3] op_sel:[0,1]
	v_pk_fma_f32 v[234:235], v[202:203], v[0:1], v[8:9] op_sel:[0,0,1] op_sel_hi:[1,1,0] neg_lo:[0,0,1] neg_hi:[0,0,1]
	v_pk_fma_f32 v[8:9], v[202:203], v[0:1], v[8:9] op_sel:[0,0,1] op_sel_hi:[1,0,0]
	v_pk_fma_f32 v[202:203], v[204:205], v[0:1], v[10:11] op_sel:[0,0,1] op_sel_hi:[1,1,0] neg_lo:[0,0,1] neg_hi:[0,0,1]
	v_pk_fma_f32 v[10:11], v[204:205], v[0:1], v[10:11] op_sel:[0,0,1] op_sel_hi:[1,0,0]
	;; [unrolled: 2-line block ×3, first 2 shown]
	v_pk_fma_f32 v[222:223], v[224:225], v[96:97], v[228:229] op_sel_hi:[1,1,0]
	v_pk_fma_f32 v[224:225], v[210:211], v[0:1], v[230:231] op_sel:[0,0,1] op_sel_hi:[1,1,0] neg_lo:[0,0,1] neg_hi:[0,0,1]
	v_pk_fma_f32 v[210:211], v[210:211], v[0:1], v[230:231] op_sel:[0,0,1] op_sel_hi:[1,0,0]
	v_dual_mov_b32 v235, v9 :: v_dual_mov_b32 v203, v11
	v_pk_fma_f32 v[8:9], v[212:213], v[0:1], v[232:233] op_sel:[0,0,1] op_sel_hi:[1,0,0]
	v_pk_fma_f32 v[208:209], v[208:209], v[96:97], v[226:227] op_sel_hi:[1,1,0] neg_lo:[0,0,1] neg_hi:[0,0,1]
	v_dual_mov_b32 v205, v207 :: v_dual_mov_b32 v209, v223
	v_pk_fma_f32 v[10:11], v[212:213], v[0:1], v[232:233] op_sel:[0,0,1] op_sel_hi:[1,1,0] neg_lo:[0,0,1] neg_hi:[0,0,1]
	s_delay_alu instid0(VALU_DEP_4)
	v_dual_mov_b32 v225, v211 :: v_dual_mov_b32 v11, v9
	s_wait_dscnt 0x1
	v_pk_mul_f32 v[8:9], v[214:215], v[2:3] op_sel:[0,1]
	v_pk_add_f32 v[94:95], v[94:95], v[202:203] neg_lo:[0,1] neg_hi:[0,1]
	v_pk_add_f32 v[120:121], v[120:121], v[204:205] neg_lo:[0,1] neg_hi:[0,1]
	ds_load_2addr_b64 v[202:205], v6 offset0:24 offset1:25
	v_pk_add_f32 v[116:117], v[116:117], v[208:209] neg_lo:[0,1] neg_hi:[0,1]
	ds_load_2addr_b64 v[206:209], v6 offset0:26 offset1:27
	v_pk_mul_f32 v[210:211], v[216:217], v[2:3] op_sel:[0,1]
	v_pk_add_f32 v[54:55], v[54:55], v[10:11] neg_lo:[0,1] neg_hi:[0,1]
	v_pk_fma_f32 v[10:11], v[214:215], v[0:1], v[8:9] op_sel:[0,0,1] op_sel_hi:[1,0,0]
	s_wait_dscnt 0x2
	v_mul_f32_e32 v10, v219, v0
	v_pk_mul_f32 v[212:213], v[220:221], v[2:3] op_sel:[0,1]
	v_pk_fma_f32 v[8:9], v[214:215], v[0:1], v[8:9] op_sel:[0,0,1] op_sel_hi:[1,1,0] neg_lo:[0,0,1] neg_hi:[0,0,1]
	v_pk_fma_f32 v[214:215], v[216:217], v[0:1], v[210:211] op_sel:[0,0,1] op_sel_hi:[1,0,0]
	v_mul_f32_e32 v214, v219, v3
	v_mov_b32_e32 v9, v11
	v_pk_fma_f32 v[10:11], v[218:219], v[96:97], v[10:11] op_sel:[1,0,0] op_sel_hi:[0,1,0]
	v_pk_fma_f32 v[210:211], v[216:217], v[0:1], v[210:211] op_sel:[0,0,1] op_sel_hi:[1,1,0] neg_lo:[0,0,1] neg_hi:[0,0,1]
	v_pk_fma_f32 v[216:217], v[220:221], v[0:1], v[212:213] op_sel:[0,0,1] op_sel_hi:[1,0,0]
	v_mov_b32_e32 v211, v215
	v_pk_fma_f32 v[214:215], v[218:219], v[96:97], v[214:215] op_sel_hi:[1,1,0] neg_lo:[0,0,1] neg_hi:[0,0,1]
	v_mov_b32_e32 v215, v11
	v_pk_fma_f32 v[10:11], v[220:221], v[0:1], v[212:213] op_sel:[0,0,1] op_sel_hi:[1,1,0] neg_lo:[0,0,1] neg_hi:[0,0,1]
	v_mov_b32_e32 v11, v217
	v_pk_add_f32 v[84:85], v[84:85], v[8:9] neg_lo:[0,1] neg_hi:[0,1]
	s_wait_dscnt 0x1
	v_pk_mul_f32 v[8:9], v[202:203], v[2:3] op_sel:[0,1]
	s_wait_dscnt 0x0
	v_pk_mul_f32 v[218:219], v[206:207], v[2:3] op_sel:[0,1]
	v_pk_add_f32 v[80:81], v[80:81], v[210:211] neg_lo:[0,1] neg_hi:[0,1]
	v_pk_add_f32 v[78:79], v[78:79], v[10:11] neg_lo:[0,1] neg_hi:[0,1]
	v_pk_mul_f32 v[10:11], v[204:205], v[2:3] op_sel:[0,1]
	v_pk_add_f32 v[82:83], v[82:83], v[214:215] neg_lo:[0,1] neg_hi:[0,1]
	ds_load_2addr_b64 v[210:213], v6 offset0:28 offset1:29
	ds_load_2addr_b64 v[214:217], v6 offset0:30 offset1:31
	v_pk_fma_f32 v[220:221], v[202:203], v[0:1], v[8:9] op_sel:[0,0,1] op_sel_hi:[1,0,0]
	v_pk_fma_f32 v[8:9], v[202:203], v[0:1], v[8:9] op_sel:[0,0,1] op_sel_hi:[1,1,0] neg_lo:[0,0,1] neg_hi:[0,0,1]
	v_pk_fma_f32 v[202:203], v[204:205], v[0:1], v[10:11] op_sel:[0,0,1] op_sel_hi:[1,0,0]
	v_pk_fma_f32 v[222:223], v[206:207], v[0:1], v[218:219] op_sel:[0,0,1] op_sel_hi:[1,0,0]
	v_pk_fma_f32 v[10:11], v[204:205], v[0:1], v[10:11] op_sel:[0,0,1] op_sel_hi:[1,1,0] neg_lo:[0,0,1] neg_hi:[0,0,1]
	v_dual_mov_b32 v9, v221 :: v_dual_mov_b32 v204, v209
	s_delay_alu instid0(VALU_DEP_4)
	v_mov_b32_e32 v11, v203
	v_pk_fma_f32 v[202:203], v[206:207], v[0:1], v[218:219] op_sel:[0,0,1] op_sel_hi:[1,1,0] neg_lo:[0,0,1] neg_hi:[0,0,1]
	v_dual_mov_b32 v203, v223 :: v_dual_mov_b32 v205, v208
	v_mul_f32_e32 v206, v209, v0
	v_pk_add_f32 v[106:107], v[106:107], v[8:9] neg_lo:[0,1] neg_hi:[0,1]
	v_pk_add_f32 v[102:103], v[102:103], v[10:11] neg_lo:[0,1] neg_hi:[0,1]
	s_delay_alu instid0(VALU_DEP_4)
	v_pk_add_f32 v[104:105], v[104:105], v[202:203] neg_lo:[0,1] neg_hi:[0,1]
	v_pk_add_f32 v[118:119], v[118:119], v[224:225] neg_lo:[0,1] neg_hi:[0,1]
	v_pk_fma_f32 v[10:11], v[204:205], v[96:97], v[206:207] op_sel_hi:[1,1,0]
	v_mul_f32_e32 v8, v209, v3
	ds_load_2addr_b64 v[202:205], v6 offset0:32 offset1:33
	s_wait_dscnt 0x2
	v_pk_mul_f32 v[218:219], v[210:211], v[2:3] op_sel:[0,1]
	v_pk_mul_f32 v[220:221], v[212:213], v[2:3] op_sel:[0,1]
	v_pk_add_f32 v[98:99], v[98:99], v[234:235] neg_lo:[0,1] neg_hi:[0,1]
	v_pk_fma_f32 v[8:9], v[208:209], v[96:97], v[8:9] op_sel_hi:[1,1,0] neg_lo:[0,0,1] neg_hi:[0,0,1]
	v_mov_b32_e32 v9, v11
	s_wait_dscnt 0x1
	v_pk_mul_f32 v[10:11], v[214:215], v[2:3] op_sel:[0,1]
	ds_load_2addr_b64 v[206:209], v6 offset0:34 offset1:35
	v_pk_fma_f32 v[222:223], v[210:211], v[0:1], v[218:219] op_sel:[0,0,1] op_sel_hi:[1,0,0]
	v_pk_fma_f32 v[224:225], v[212:213], v[0:1], v[220:221] op_sel:[0,0,1] op_sel_hi:[1,0,0]
	v_pk_fma_f32 v[210:211], v[210:211], v[0:1], v[218:219] op_sel:[0,0,1] op_sel_hi:[1,1,0] neg_lo:[0,0,1] neg_hi:[0,0,1]
	v_pk_fma_f32 v[218:219], v[214:215], v[0:1], v[10:11] op_sel:[0,0,1] op_sel_hi:[1,0,0]
	v_pk_fma_f32 v[10:11], v[214:215], v[0:1], v[10:11] op_sel:[0,0,1] op_sel_hi:[1,1,0] neg_lo:[0,0,1] neg_hi:[0,0,1]
	v_pk_mul_f32 v[214:215], v[216:217], v[2:3] op_sel:[0,1]
	v_pk_fma_f32 v[212:213], v[212:213], v[0:1], v[220:221] op_sel:[0,0,1] op_sel_hi:[1,1,0] neg_lo:[0,0,1] neg_hi:[0,0,1]
	v_dual_mov_b32 v211, v223 :: v_dual_mov_b32 v213, v225
	v_pk_add_f32 v[100:101], v[100:101], v[8:9] neg_lo:[0,1] neg_hi:[0,1]
	s_delay_alu instid0(VALU_DEP_4)
	v_pk_fma_f32 v[8:9], v[216:217], v[0:1], v[214:215] op_sel:[0,0,1] op_sel_hi:[1,1,0] neg_lo:[0,0,1] neg_hi:[0,0,1]
	v_pk_fma_f32 v[214:215], v[216:217], v[0:1], v[214:215] op_sel:[0,0,1] op_sel_hi:[1,0,0]
	v_mov_b32_e32 v11, v219
	v_pk_add_f32 v[128:129], v[128:129], v[210:211] neg_lo:[0,1] neg_hi:[0,1]
	v_pk_add_f32 v[124:125], v[124:125], v[212:213] neg_lo:[0,1] neg_hi:[0,1]
	ds_load_2addr_b64 v[210:213], v6 offset0:36 offset1:37
	v_mov_b32_e32 v9, v215
	v_pk_add_f32 v[126:127], v[126:127], v[10:11] neg_lo:[0,1] neg_hi:[0,1]
	s_wait_dscnt 0x2
	v_dual_mul_f32 v10, v203, v0 :: v_dual_mul_f32 v214, v203, v3
	v_pk_mul_f32 v[216:217], v[204:205], v[2:3] op_sel:[0,1]
	s_wait_dscnt 0x1
	v_pk_mul_f32 v[218:219], v[206:207], v[2:3] op_sel:[0,1]
	v_pk_add_f32 v[122:123], v[122:123], v[8:9] neg_lo:[0,1] neg_hi:[0,1]
	v_pk_fma_f32 v[10:11], v[202:203], v[96:97], v[10:11] op_sel:[1,0,0] op_sel_hi:[0,1,0]
	v_pk_fma_f32 v[214:215], v[202:203], v[96:97], v[214:215] op_sel_hi:[1,1,0] neg_lo:[0,0,1] neg_hi:[0,0,1]
	v_pk_fma_f32 v[220:221], v[204:205], v[0:1], v[216:217] op_sel:[0,0,1] op_sel_hi:[1,0,0]
	v_pk_fma_f32 v[216:217], v[204:205], v[0:1], v[216:217] op_sel:[0,0,1] op_sel_hi:[1,1,0] neg_lo:[0,0,1] neg_hi:[0,0,1]
	ds_load_2addr_b64 v[202:205], v6 offset0:38 offset1:39
	v_mov_b32_e32 v215, v11
	v_pk_fma_f32 v[10:11], v[206:207], v[0:1], v[218:219] op_sel:[0,0,1] op_sel_hi:[1,0,0]
	v_pk_fma_f32 v[206:207], v[206:207], v[0:1], v[218:219] op_sel:[0,0,1] op_sel_hi:[1,1,0] neg_lo:[0,0,1] neg_hi:[0,0,1]
	v_mov_b32_e32 v217, v221
	ds_load_b64 v[218:219], v6 offset:336
	v_pk_add_f32 v[146:147], v[146:147], v[214:215] neg_lo:[0,1] neg_hi:[0,1]
	v_mov_b32_e32 v207, v11
	v_pk_mul_f32 v[10:11], v[208:209], v[2:3] op_sel:[0,1]
	v_pk_add_f32 v[142:143], v[142:143], v[216:217] neg_lo:[0,1] neg_hi:[0,1]
	s_wait_dscnt 0x2
	v_mov_b32_e32 v216, v213
	v_pk_mul_f32 v[214:215], v[210:211], v[2:3] op_sel:[0,1]
	v_pk_add_f32 v[144:145], v[144:145], v[206:207] neg_lo:[0,1] neg_hi:[0,1]
	v_pk_fma_f32 v[8:9], v[208:209], v[0:1], v[10:11] op_sel:[0,0,1] op_sel_hi:[1,1,0] neg_lo:[0,0,1] neg_hi:[0,0,1]
	v_pk_fma_f32 v[10:11], v[208:209], v[0:1], v[10:11] op_sel:[0,0,1] op_sel_hi:[1,0,0]
	ds_load_2addr_b64 v[206:209], v6 offset0:40 offset1:41
	v_dual_mov_b32 v217, v212 :: v_dual_mul_f32 v10, v213, v0
	v_pk_fma_f32 v[220:221], v[210:211], v[0:1], v[214:215] op_sel:[0,0,1] op_sel_hi:[1,0,0]
	v_dual_mov_b32 v9, v11 :: v_dual_mul_f32 v220, v213, v3
	v_pk_fma_f32 v[210:211], v[210:211], v[0:1], v[214:215] op_sel:[0,0,1] op_sel_hi:[1,1,0] neg_lo:[0,0,1] neg_hi:[0,0,1]
	s_delay_alu instid0(VALU_DEP_4)
	v_pk_fma_f32 v[10:11], v[216:217], v[96:97], v[10:11] op_sel_hi:[1,1,0]
	s_wait_dscnt 0x2
	v_pk_mul_f32 v[214:215], v[202:203], v[2:3] op_sel:[0,1]
	v_mov_b32_e32 v211, v221
	v_pk_fma_f32 v[212:213], v[212:213], v[96:97], v[220:221] op_sel_hi:[1,1,0] neg_lo:[0,0,1] neg_hi:[0,0,1]
	v_pk_add_f32 v[140:141], v[140:141], v[8:9] neg_lo:[0,1] neg_hi:[0,1]
	v_mov_b32_e32 v213, v11
	v_pk_fma_f32 v[8:9], v[202:203], v[0:1], v[214:215] op_sel:[0,0,1] op_sel_hi:[1,0,0]
	v_pk_mul_f32 v[10:11], v[204:205], v[2:3] op_sel:[0,1]
	v_pk_fma_f32 v[202:203], v[202:203], v[0:1], v[214:215] op_sel:[0,0,1] op_sel_hi:[1,1,0] neg_lo:[0,0,1] neg_hi:[0,0,1]
	v_pk_add_f32 v[166:167], v[166:167], v[210:211] neg_lo:[0,1] neg_hi:[0,1]
	v_pk_add_f32 v[160:161], v[160:161], v[212:213] neg_lo:[0,1] neg_hi:[0,1]
	s_delay_alu instid0(VALU_DEP_4)
	v_pk_fma_f32 v[210:211], v[204:205], v[0:1], v[10:11] op_sel:[0,0,1] op_sel_hi:[1,0,0]
	v_mov_b32_e32 v203, v9
	s_wait_dscnt 0x0
	v_pk_mul_f32 v[8:9], v[206:207], v[2:3] op_sel:[0,1]
	v_pk_mul_f32 v[212:213], v[208:209], v[2:3] op_sel:[0,1]
	;; [unrolled: 1-line block ×3, first 2 shown]
	v_pk_fma_f32 v[10:11], v[204:205], v[0:1], v[10:11] op_sel:[0,0,1] op_sel_hi:[1,1,0] neg_lo:[0,0,1] neg_hi:[0,0,1]
	v_mov_b32_e32 v11, v211
	v_pk_fma_f32 v[204:205], v[206:207], v[0:1], v[8:9] op_sel:[0,0,1] op_sel_hi:[1,0,0]
	v_pk_fma_f32 v[210:211], v[208:209], v[0:1], v[212:213] op_sel:[0,0,1] op_sel_hi:[1,0,0]
	v_pk_fma_f32 v[8:9], v[206:207], v[0:1], v[8:9] op_sel:[0,0,1] op_sel_hi:[1,1,0] neg_lo:[0,0,1] neg_hi:[0,0,1]
	v_pk_fma_f32 v[206:207], v[218:219], v[0:1], v[2:3] op_sel:[0,0,1] op_sel_hi:[1,0,0]
	v_pk_add_f32 v[164:165], v[164:165], v[202:203] neg_lo:[0,1] neg_hi:[0,1]
	v_mov_b32_e32 v9, v205
	v_pk_fma_f32 v[204:205], v[208:209], v[0:1], v[212:213] op_sel:[0,0,1] op_sel_hi:[1,1,0] neg_lo:[0,0,1] neg_hi:[0,0,1]
	v_pk_fma_f32 v[0:1], v[218:219], v[0:1], v[2:3] op_sel:[0,0,1] op_sel_hi:[1,1,0] neg_lo:[0,0,1] neg_hi:[0,0,1]
	v_dual_mov_b32 v205, v211 :: v_dual_mov_b32 v1, v207
	v_pk_add_f32 v[158:159], v[158:159], v[10:11] neg_lo:[0,1] neg_hi:[0,1]
	v_pk_add_f32 v[162:163], v[162:163], v[8:9] neg_lo:[0,1] neg_hi:[0,1]
	s_delay_alu instid0(VALU_DEP_3) | instskip(NEXT) | instid1(VALU_DEP_4)
	v_pk_add_f32 v[168:169], v[168:169], v[204:205] neg_lo:[0,1] neg_hi:[0,1]
	v_pk_add_f32 v[170:171], v[170:171], v[0:1] neg_lo:[0,1] neg_hi:[0,1]
.LBB85_127:
	s_or_b32 exec_lo, exec_lo, s1
	s_delay_alu instid0(SALU_CYCLE_1)
	s_mov_b32 s2, exec_lo
	s_wait_dscnt 0x0
	s_barrier_signal -1
	s_barrier_wait -1
	v_cmpx_eq_u32_e32 14, v32
	s_cbranch_execz .LBB85_134
; %bb.128:
	ds_store_b64 v33, v[98:99]
	ds_store_2addr_b64 v6, v[94:95], v[120:121] offset0:15 offset1:16
	ds_store_2addr_b64 v6, v[116:117], v[118:119] offset0:17 offset1:18
	;; [unrolled: 1-line block ×14, first 2 shown]
	ds_load_b64 v[0:1], v33
	s_wait_dscnt 0x0
	v_cmp_neq_f32_e32 vcc_lo, 0, v0
	v_cmp_neq_f32_e64 s1, 0, v1
	s_or_b32 s1, vcc_lo, s1
	s_delay_alu instid0(SALU_CYCLE_1)
	s_and_b32 exec_lo, exec_lo, s1
	s_cbranch_execz .LBB85_134
; %bb.129:
	v_cmp_ngt_f32_e64 s1, |v0|, |v1|
                                        ; implicit-def: $vgpr2_vgpr3
	s_and_saveexec_b32 s4, s1
	s_delay_alu instid0(SALU_CYCLE_1)
	s_xor_b32 s1, exec_lo, s4
	s_cbranch_execz .LBB85_131
; %bb.130:
	v_div_scale_f32 v2, null, v1, v1, v0
	v_div_scale_f32 v8, vcc_lo, v0, v1, v0
	s_delay_alu instid0(VALU_DEP_2) | instskip(SKIP_1) | instid1(TRANS32_DEP_1)
	v_rcp_f32_e32 v3, v2
	v_nop
	v_fma_f32 v7, -v2, v3, 1.0
	s_delay_alu instid0(VALU_DEP_1) | instskip(NEXT) | instid1(VALU_DEP_1)
	v_fmac_f32_e32 v3, v7, v3
	v_mul_f32_e32 v7, v8, v3
	s_delay_alu instid0(VALU_DEP_1) | instskip(NEXT) | instid1(VALU_DEP_1)
	v_fma_f32 v9, -v2, v7, v8
	v_fmac_f32_e32 v7, v9, v3
	s_delay_alu instid0(VALU_DEP_1) | instskip(NEXT) | instid1(VALU_DEP_1)
	v_fma_f32 v2, -v2, v7, v8
	v_div_fmas_f32 v2, v2, v3, v7
	s_delay_alu instid0(VALU_DEP_1) | instskip(NEXT) | instid1(VALU_DEP_1)
	v_div_fixup_f32 v2, v2, v1, v0
	v_fmac_f32_e32 v1, v0, v2
	s_delay_alu instid0(VALU_DEP_1) | instskip(SKIP_1) | instid1(VALU_DEP_2)
	v_div_scale_f32 v0, null, v1, v1, 1.0
	v_div_scale_f32 v8, vcc_lo, 1.0, v1, 1.0
	v_rcp_f32_e32 v3, v0
	v_nop
	s_delay_alu instid0(TRANS32_DEP_1) | instskip(NEXT) | instid1(VALU_DEP_1)
	v_fma_f32 v7, -v0, v3, 1.0
	v_fmac_f32_e32 v3, v7, v3
	s_delay_alu instid0(VALU_DEP_1) | instskip(NEXT) | instid1(VALU_DEP_1)
	v_mul_f32_e32 v7, v8, v3
	v_fma_f32 v9, -v0, v7, v8
	s_delay_alu instid0(VALU_DEP_1) | instskip(NEXT) | instid1(VALU_DEP_1)
	v_fmac_f32_e32 v7, v9, v3
	v_fma_f32 v0, -v0, v7, v8
	s_delay_alu instid0(VALU_DEP_1) | instskip(NEXT) | instid1(VALU_DEP_1)
	v_div_fmas_f32 v0, v0, v3, v7
	v_div_fixup_f32 v0, v0, v1, 1.0
	s_delay_alu instid0(VALU_DEP_1)
	v_mul_f32_e32 v2, v2, v0
	v_xor_b32_e32 v3, 0x80000000, v0
                                        ; implicit-def: $vgpr0_vgpr1
.LBB85_131:
	s_and_not1_saveexec_b32 s1, s1
	s_cbranch_execz .LBB85_133
; %bb.132:
	v_div_scale_f32 v2, null, v0, v0, v1
	v_div_scale_f32 v8, vcc_lo, v1, v0, v1
	s_delay_alu instid0(VALU_DEP_2) | instskip(SKIP_1) | instid1(TRANS32_DEP_1)
	v_rcp_f32_e32 v3, v2
	v_nop
	v_fma_f32 v7, -v2, v3, 1.0
	s_delay_alu instid0(VALU_DEP_1) | instskip(NEXT) | instid1(VALU_DEP_1)
	v_fmac_f32_e32 v3, v7, v3
	v_mul_f32_e32 v7, v8, v3
	s_delay_alu instid0(VALU_DEP_1) | instskip(NEXT) | instid1(VALU_DEP_1)
	v_fma_f32 v9, -v2, v7, v8
	v_fmac_f32_e32 v7, v9, v3
	s_delay_alu instid0(VALU_DEP_1) | instskip(NEXT) | instid1(VALU_DEP_1)
	v_fma_f32 v2, -v2, v7, v8
	v_div_fmas_f32 v2, v2, v3, v7
	s_delay_alu instid0(VALU_DEP_1) | instskip(NEXT) | instid1(VALU_DEP_1)
	v_div_fixup_f32 v3, v2, v0, v1
	v_fmac_f32_e32 v0, v1, v3
	s_delay_alu instid0(VALU_DEP_1) | instskip(NEXT) | instid1(VALU_DEP_1)
	v_div_scale_f32 v1, null, v0, v0, 1.0
	v_rcp_f32_e32 v2, v1
	v_nop
	s_delay_alu instid0(TRANS32_DEP_1) | instskip(NEXT) | instid1(VALU_DEP_1)
	v_fma_f32 v7, -v1, v2, 1.0
	v_fmac_f32_e32 v2, v7, v2
	v_div_scale_f32 v7, vcc_lo, 1.0, v0, 1.0
	s_delay_alu instid0(VALU_DEP_1) | instskip(NEXT) | instid1(VALU_DEP_1)
	v_mul_f32_e32 v8, v7, v2
	v_fma_f32 v9, -v1, v8, v7
	s_delay_alu instid0(VALU_DEP_1) | instskip(NEXT) | instid1(VALU_DEP_1)
	v_fmac_f32_e32 v8, v9, v2
	v_fma_f32 v1, -v1, v8, v7
	s_delay_alu instid0(VALU_DEP_1) | instskip(NEXT) | instid1(VALU_DEP_1)
	v_div_fmas_f32 v1, v1, v2, v8
	v_div_fixup_f32 v2, v1, v0, 1.0
	s_delay_alu instid0(VALU_DEP_1)
	v_mul_f32_e64 v3, v3, -v2
.LBB85_133:
	s_or_b32 exec_lo, exec_lo, s1
	ds_store_b64 v33, v[2:3]
.LBB85_134:
	s_or_b32 exec_lo, exec_lo, s2
	s_wait_dscnt 0x0
	s_barrier_signal -1
	s_barrier_wait -1
	ds_load_b64 v[202:203], v33
	s_mov_b32 s1, exec_lo
	v_cmpx_lt_u32_e32 14, v32
	s_cbranch_execz .LBB85_136
; %bb.135:
	ds_load_2addr_b64 v[204:207], v6 offset0:15 offset1:16
	ds_load_2addr_b64 v[208:211], v6 offset0:17 offset1:18
	;; [unrolled: 1-line block ×3, first 2 shown]
	s_wait_dscnt 0x3
	v_pk_mul_f32 v[2:3], v[202:203], v[98:99] op_sel:[1,1] op_sel_hi:[0,1]
	ds_load_2addr_b64 v[216:219], v6 offset0:21 offset1:22
	ds_load_2addr_b64 v[220:223], v6 offset0:23 offset1:24
	v_pk_fma_f32 v[0:1], v[202:203], v[98:99], v[2:3] op_sel_hi:[1,0,1] neg_lo:[0,0,1] neg_hi:[0,0,1]
	v_pk_fma_f32 v[2:3], v[202:203], v[98:99], v[2:3] op_sel_hi:[1,0,1]
	s_delay_alu instid0(VALU_DEP_1) | instskip(SKIP_1) | instid1(VALU_DEP_2)
	v_dual_mov_b32 v98, v0 :: v_dual_mov_b32 v99, v3
	s_wait_dscnt 0x4
	v_pk_mul_f32 v[8:9], v[204:205], v[2:3] op_sel:[0,1]
	v_pk_mul_f32 v[10:11], v[206:207], v[2:3] op_sel:[0,1]
	s_wait_dscnt 0x3
	v_pk_mul_f32 v[224:225], v[208:209], v[2:3] op_sel:[0,1]
	v_dual_mov_b32 v226, v211 :: v_dual_mov_b32 v227, v210
	v_dual_mul_f32 v228, v211, v3 :: v_dual_mul_f32 v230, v211, v0
	s_wait_dscnt 0x2
	v_pk_mul_f32 v[232:233], v[212:213], v[2:3] op_sel:[0,1]
	v_pk_fma_f32 v[236:237], v[204:205], v[0:1], v[8:9] op_sel:[0,0,1] op_sel_hi:[1,1,0] neg_lo:[0,0,1] neg_hi:[0,0,1]
	v_pk_fma_f32 v[8:9], v[204:205], v[0:1], v[8:9] op_sel:[0,0,1] op_sel_hi:[1,0,0]
	v_pk_mul_f32 v[234:235], v[214:215], v[2:3] op_sel:[0,1]
	v_pk_fma_f32 v[204:205], v[206:207], v[0:1], v[10:11] op_sel:[0,0,1] op_sel_hi:[1,1,0] neg_lo:[0,0,1] neg_hi:[0,0,1]
	v_pk_fma_f32 v[10:11], v[206:207], v[0:1], v[10:11] op_sel:[0,0,1] op_sel_hi:[1,0,0]
	v_pk_fma_f32 v[206:207], v[208:209], v[0:1], v[224:225] op_sel:[0,0,1] op_sel_hi:[1,1,0] neg_lo:[0,0,1] neg_hi:[0,0,1]
	v_pk_fma_f32 v[208:209], v[208:209], v[0:1], v[224:225] op_sel:[0,0,1] op_sel_hi:[1,0,0]
	v_pk_fma_f32 v[224:225], v[226:227], v[98:99], v[230:231] op_sel_hi:[1,1,0]
	s_delay_alu instid0(VALU_DEP_4)
	v_dual_mov_b32 v237, v9 :: v_dual_mov_b32 v205, v11
	v_pk_fma_f32 v[8:9], v[212:213], v[0:1], v[232:233] op_sel:[0,0,1] op_sel_hi:[1,0,0]
	v_pk_fma_f32 v[10:11], v[214:215], v[0:1], v[234:235] op_sel:[0,0,1] op_sel_hi:[1,0,0]
	v_mov_b32_e32 v207, v209
	v_pk_fma_f32 v[210:211], v[210:211], v[98:99], v[228:229] op_sel_hi:[1,1,0] neg_lo:[0,0,1] neg_hi:[0,0,1]
	v_pk_fma_f32 v[226:227], v[212:213], v[0:1], v[232:233] op_sel:[0,0,1] op_sel_hi:[1,1,0] neg_lo:[0,0,1] neg_hi:[0,0,1]
	v_mov_b32_e32 v211, v225
	s_wait_dscnt 0x1
	v_pk_mul_f32 v[208:209], v[216:217], v[2:3] op_sel:[0,1]
	v_mov_b32_e32 v227, v9
	v_pk_fma_f32 v[8:9], v[214:215], v[0:1], v[234:235] op_sel:[0,0,1] op_sel_hi:[1,1,0] neg_lo:[0,0,1] neg_hi:[0,0,1]
	v_mov_b32_e32 v9, v11
	v_pk_add_f32 v[120:121], v[120:121], v[204:205] neg_lo:[0,1] neg_hi:[0,1]
	v_pk_add_f32 v[116:117], v[116:117], v[206:207] neg_lo:[0,1] neg_hi:[0,1]
	ds_load_2addr_b64 v[204:207], v6 offset0:25 offset1:26
	v_pk_add_f32 v[118:119], v[118:119], v[210:211] neg_lo:[0,1] neg_hi:[0,1]
	v_pk_fma_f32 v[10:11], v[216:217], v[0:1], v[208:209] op_sel:[0,0,1] op_sel_hi:[1,0,0]
	v_pk_mul_f32 v[210:211], v[218:219], v[2:3] op_sel:[0,1]
	v_pk_add_f32 v[84:85], v[84:85], v[8:9] neg_lo:[0,1] neg_hi:[0,1]
	s_wait_dscnt 0x1
	v_mul_f32_e32 v8, v221, v0
	v_pk_fma_f32 v[212:213], v[216:217], v[0:1], v[208:209] op_sel:[0,0,1] op_sel_hi:[1,1,0] neg_lo:[0,0,1] neg_hi:[0,0,1]
	v_mov_b32_e32 v213, v11
	v_pk_fma_f32 v[10:11], v[218:219], v[0:1], v[210:211] op_sel:[0,0,1] op_sel_hi:[1,0,0]
	v_mul_f32_e32 v10, v221, v3
	v_pk_fma_f32 v[8:9], v[220:221], v[98:99], v[8:9] op_sel:[1,0,0] op_sel_hi:[0,1,0]
	v_pk_fma_f32 v[214:215], v[218:219], v[0:1], v[210:211] op_sel:[0,0,1] op_sel_hi:[1,1,0] neg_lo:[0,0,1] neg_hi:[0,0,1]
	ds_load_2addr_b64 v[208:211], v6 offset0:27 offset1:28
	v_mov_b32_e32 v215, v11
	v_pk_fma_f32 v[10:11], v[220:221], v[98:99], v[10:11] op_sel_hi:[1,1,0] neg_lo:[0,0,1] neg_hi:[0,0,1]
	v_mov_b32_e32 v11, v9
	v_pk_mul_f32 v[8:9], v[222:223], v[2:3] op_sel:[0,1]
	v_pk_add_f32 v[80:81], v[80:81], v[212:213] neg_lo:[0,1] neg_hi:[0,1]
	v_pk_add_f32 v[82:83], v[82:83], v[214:215] neg_lo:[0,1] neg_hi:[0,1]
	ds_load_2addr_b64 v[212:215], v6 offset0:29 offset1:30
	s_wait_dscnt 0x2
	v_pk_mul_f32 v[216:217], v[204:205], v[2:3] op_sel:[0,1]
	v_pk_fma_f32 v[218:219], v[222:223], v[0:1], v[8:9] op_sel:[0,0,1] op_sel_hi:[1,0,0]
	v_pk_fma_f32 v[8:9], v[222:223], v[0:1], v[8:9] op_sel:[0,0,1] op_sel_hi:[1,1,0] neg_lo:[0,0,1] neg_hi:[0,0,1]
	v_pk_add_f32 v[94:95], v[94:95], v[236:237] neg_lo:[0,1] neg_hi:[0,1]
	v_pk_add_f32 v[54:55], v[54:55], v[226:227] neg_lo:[0,1] neg_hi:[0,1]
	v_pk_fma_f32 v[220:221], v[204:205], v[0:1], v[216:217] op_sel:[0,0,1] op_sel_hi:[1,0,0]
	v_mov_b32_e32 v9, v219
	v_pk_add_f32 v[78:79], v[78:79], v[10:11] neg_lo:[0,1] neg_hi:[0,1]
	v_pk_mul_f32 v[10:11], v[206:207], v[2:3] op_sel:[0,1]
	v_pk_fma_f32 v[204:205], v[204:205], v[0:1], v[216:217] op_sel:[0,0,1] op_sel_hi:[1,1,0] neg_lo:[0,0,1] neg_hi:[0,0,1]
	s_delay_alu instid0(VALU_DEP_4)
	v_pk_add_f32 v[106:107], v[106:107], v[8:9] neg_lo:[0,1] neg_hi:[0,1]
	s_wait_dscnt 0x1
	v_pk_mul_f32 v[216:217], v[208:209], v[2:3] op_sel:[0,1]
	v_pk_fma_f32 v[222:223], v[206:207], v[0:1], v[10:11] op_sel:[0,0,1] op_sel_hi:[1,0,0]
	v_mov_b32_e32 v205, v221
	v_pk_fma_f32 v[10:11], v[206:207], v[0:1], v[10:11] op_sel:[0,0,1] op_sel_hi:[1,1,0] neg_lo:[0,0,1] neg_hi:[0,0,1]
	s_delay_alu instid0(VALU_DEP_4) | instskip(NEXT) | instid1(VALU_DEP_4)
	v_pk_fma_f32 v[8:9], v[208:209], v[0:1], v[216:217] op_sel:[0,0,1] op_sel_hi:[1,0,0]
	v_mov_b32_e32 v11, v223
	s_delay_alu instid0(VALU_DEP_4)
	v_pk_add_f32 v[102:103], v[102:103], v[204:205] neg_lo:[0,1] neg_hi:[0,1]
	ds_load_2addr_b64 v[204:207], v6 offset0:31 offset1:32
	v_mul_f32_e32 v8, v211, v0
	s_wait_dscnt 0x1
	v_pk_mul_f32 v[222:223], v[212:213], v[2:3] op_sel:[0,1]
	v_pk_add_f32 v[104:105], v[104:105], v[10:11] neg_lo:[0,1] neg_hi:[0,1]
	v_pk_fma_f32 v[10:11], v[208:209], v[0:1], v[216:217] op_sel:[0,0,1] op_sel_hi:[1,1,0] neg_lo:[0,0,1] neg_hi:[0,0,1]
	v_dual_mov_b32 v208, v211 :: v_dual_mov_b32 v209, v210
	v_mov_b32_e32 v11, v9
	ds_load_2addr_b64 v[216:219], v6 offset0:33 offset1:34
	v_pk_fma_f32 v[8:9], v[208:209], v[98:99], v[8:9] op_sel_hi:[1,1,0]
	v_mul_f32_e32 v220, v211, v3
	v_pk_add_f32 v[100:101], v[100:101], v[10:11] neg_lo:[0,1] neg_hi:[0,1]
	v_pk_mul_f32 v[10:11], v[214:215], v[2:3] op_sel:[0,1]
	v_pk_fma_f32 v[208:209], v[212:213], v[0:1], v[222:223] op_sel:[0,0,1] op_sel_hi:[1,0,0]
	s_delay_alu instid0(VALU_DEP_4)
	v_pk_fma_f32 v[220:221], v[210:211], v[98:99], v[220:221] op_sel_hi:[1,1,0] neg_lo:[0,0,1] neg_hi:[0,0,1]
	v_mov_b32_e32 v221, v9
	v_pk_fma_f32 v[8:9], v[212:213], v[0:1], v[222:223] op_sel:[0,0,1] op_sel_hi:[1,1,0] neg_lo:[0,0,1] neg_hi:[0,0,1]
	v_pk_fma_f32 v[212:213], v[214:215], v[0:1], v[10:11] op_sel:[0,0,1] op_sel_hi:[1,0,0]
	v_mov_b32_e32 v9, v209
	ds_load_2addr_b64 v[208:211], v6 offset0:35 offset1:36
	s_wait_dscnt 0x2
	v_pk_mul_f32 v[222:223], v[204:205], v[2:3] op_sel:[0,1]
	v_pk_fma_f32 v[10:11], v[214:215], v[0:1], v[10:11] op_sel:[0,0,1] op_sel_hi:[1,1,0] neg_lo:[0,0,1] neg_hi:[0,0,1]
	v_mov_b32_e32 v11, v213
	v_pk_add_f32 v[128:129], v[128:129], v[220:221] neg_lo:[0,1] neg_hi:[0,1]
	v_pk_mul_f32 v[220:221], v[206:207], v[2:3] op_sel:[0,1]
	v_pk_add_f32 v[124:125], v[124:125], v[8:9] neg_lo:[0,1] neg_hi:[0,1]
	v_pk_fma_f32 v[8:9], v[204:205], v[0:1], v[222:223] op_sel:[0,0,1] op_sel_hi:[1,0,0]
	s_wait_dscnt 0x1
	v_mul_f32_e32 v8, v217, v0
	v_pk_add_f32 v[126:127], v[126:127], v[10:11] neg_lo:[0,1] neg_hi:[0,1]
	v_pk_fma_f32 v[10:11], v[204:205], v[0:1], v[222:223] op_sel:[0,0,1] op_sel_hi:[1,1,0] neg_lo:[0,0,1] neg_hi:[0,0,1]
	v_pk_fma_f32 v[204:205], v[206:207], v[0:1], v[220:221] op_sel:[0,0,1] op_sel_hi:[1,0,0]
	v_mul_f32_e32 v204, v217, v3
	ds_load_2addr_b64 v[212:215], v6 offset0:37 offset1:38
	v_mov_b32_e32 v11, v9
	v_pk_fma_f32 v[8:9], v[216:217], v[98:99], v[8:9] op_sel:[1,0,0] op_sel_hi:[0,1,0]
	v_pk_fma_f32 v[206:207], v[206:207], v[0:1], v[220:221] op_sel:[0,0,1] op_sel_hi:[1,1,0] neg_lo:[0,0,1] neg_hi:[0,0,1]
	v_pk_mul_f32 v[220:221], v[218:219], v[2:3] op_sel:[0,1]
	v_mov_b32_e32 v207, v205
	v_pk_fma_f32 v[204:205], v[216:217], v[98:99], v[204:205] op_sel_hi:[1,1,0] neg_lo:[0,0,1] neg_hi:[0,0,1]
	v_pk_add_f32 v[122:123], v[122:123], v[10:11] neg_lo:[0,1] neg_hi:[0,1]
	s_delay_alu instid0(VALU_DEP_4)
	v_pk_fma_f32 v[10:11], v[218:219], v[0:1], v[220:221] op_sel:[0,0,1] op_sel_hi:[1,0,0]
	v_mov_b32_e32 v205, v9
	s_wait_dscnt 0x1
	v_pk_mul_f32 v[8:9], v[208:209], v[2:3] op_sel:[0,1]
	v_pk_fma_f32 v[218:219], v[218:219], v[0:1], v[220:221] op_sel:[0,0,1] op_sel_hi:[1,1,0] neg_lo:[0,0,1] neg_hi:[0,0,1]
	v_pk_add_f32 v[146:147], v[146:147], v[206:207] neg_lo:[0,1] neg_hi:[0,1]
	v_mov_b32_e32 v219, v11
	v_pk_add_f32 v[142:143], v[142:143], v[204:205] neg_lo:[0,1] neg_hi:[0,1]
	v_pk_fma_f32 v[216:217], v[208:209], v[0:1], v[8:9] op_sel:[0,0,1] op_sel_hi:[1,0,0]
	ds_load_2addr_b64 v[204:207], v6 offset0:39 offset1:40
	v_pk_fma_f32 v[8:9], v[208:209], v[0:1], v[8:9] op_sel:[0,0,1] op_sel_hi:[1,1,0] neg_lo:[0,0,1] neg_hi:[0,0,1]
	v_pk_mul_f32 v[10:11], v[210:211], v[2:3] op_sel:[0,1]
	v_pk_add_f32 v[144:145], v[144:145], v[218:219] neg_lo:[0,1] neg_hi:[0,1]
	s_wait_dscnt 0x1
	v_dual_mov_b32 v9, v217 :: v_dual_mov_b32 v220, v215
	ds_load_2addr_b64 v[216:219], v6 offset0:41 offset1:42
	v_pk_mul_f32 v[208:209], v[212:213], v[2:3] op_sel:[0,1]
	v_mov_b32_e32 v221, v214
	v_pk_add_f32 v[140:141], v[140:141], v[8:9] neg_lo:[0,1] neg_hi:[0,1]
	v_pk_fma_f32 v[8:9], v[210:211], v[0:1], v[10:11] op_sel:[0,0,1] op_sel_hi:[1,1,0] neg_lo:[0,0,1] neg_hi:[0,0,1]
	v_pk_fma_f32 v[10:11], v[210:211], v[0:1], v[10:11] op_sel:[0,0,1] op_sel_hi:[1,0,0]
	v_pk_fma_f32 v[210:211], v[212:213], v[0:1], v[208:209] op_sel:[0,0,1] op_sel_hi:[1,0,0]
	v_mul_f32_e32 v10, v215, v0
	v_pk_fma_f32 v[208:209], v[212:213], v[0:1], v[208:209] op_sel:[0,0,1] op_sel_hi:[1,1,0] neg_lo:[0,0,1] neg_hi:[0,0,1]
	v_mul_f32_e32 v210, v215, v3
	s_delay_alu instid0(VALU_DEP_4) | instskip(NEXT) | instid1(VALU_DEP_4)
	v_dual_mov_b32 v9, v11 :: v_dual_mov_b32 v209, v211
	v_pk_fma_f32 v[10:11], v[220:221], v[98:99], v[10:11] op_sel_hi:[1,1,0]
	s_delay_alu instid0(VALU_DEP_2)
	v_pk_add_f32 v[166:167], v[166:167], v[8:9] neg_lo:[0,1] neg_hi:[0,1]
	s_wait_dscnt 0x1
	v_pk_mul_f32 v[8:9], v[204:205], v[2:3] op_sel:[0,1]
	v_pk_add_f32 v[160:161], v[160:161], v[208:209] neg_lo:[0,1] neg_hi:[0,1]
	v_pk_fma_f32 v[208:209], v[214:215], v[98:99], v[210:211] op_sel_hi:[1,1,0] neg_lo:[0,0,1] neg_hi:[0,0,1]
	s_wait_dscnt 0x0
	v_pk_mul_f32 v[212:213], v[216:217], v[2:3] op_sel:[0,1]
	v_pk_fma_f32 v[210:211], v[204:205], v[0:1], v[8:9] op_sel:[0,0,1] op_sel_hi:[1,0,0]
	v_mov_b32_e32 v209, v11
	v_pk_mul_f32 v[10:11], v[206:207], v[2:3] op_sel:[0,1]
	v_pk_mul_f32 v[2:3], v[218:219], v[2:3] op_sel:[0,1]
	v_pk_fma_f32 v[8:9], v[204:205], v[0:1], v[8:9] op_sel:[0,0,1] op_sel_hi:[1,1,0] neg_lo:[0,0,1] neg_hi:[0,0,1]
	v_mov_b32_e32 v9, v211
	v_pk_fma_f32 v[210:211], v[216:217], v[0:1], v[212:213] op_sel:[0,0,1] op_sel_hi:[1,0,0]
	v_pk_fma_f32 v[204:205], v[206:207], v[0:1], v[10:11] op_sel:[0,0,1] op_sel_hi:[1,0,0]
	v_pk_fma_f32 v[10:11], v[206:207], v[0:1], v[10:11] op_sel:[0,0,1] op_sel_hi:[1,1,0] neg_lo:[0,0,1] neg_hi:[0,0,1]
	v_pk_fma_f32 v[206:207], v[218:219], v[0:1], v[2:3] op_sel:[0,0,1] op_sel_hi:[1,0,0]
	v_pk_add_f32 v[164:165], v[164:165], v[208:209] neg_lo:[0,1] neg_hi:[0,1]
	v_pk_add_f32 v[158:159], v[158:159], v[8:9] neg_lo:[0,1] neg_hi:[0,1]
	v_mov_b32_e32 v11, v205
	v_pk_fma_f32 v[204:205], v[216:217], v[0:1], v[212:213] op_sel:[0,0,1] op_sel_hi:[1,1,0] neg_lo:[0,0,1] neg_hi:[0,0,1]
	v_pk_fma_f32 v[0:1], v[218:219], v[0:1], v[2:3] op_sel:[0,0,1] op_sel_hi:[1,1,0] neg_lo:[0,0,1] neg_hi:[0,0,1]
	v_dual_mov_b32 v205, v211 :: v_dual_mov_b32 v1, v207
	s_delay_alu instid0(VALU_DEP_4) | instskip(NEXT) | instid1(VALU_DEP_2)
	v_pk_add_f32 v[162:163], v[162:163], v[10:11] neg_lo:[0,1] neg_hi:[0,1]
	v_pk_add_f32 v[168:169], v[168:169], v[204:205] neg_lo:[0,1] neg_hi:[0,1]
	s_delay_alu instid0(VALU_DEP_3)
	v_pk_add_f32 v[170:171], v[170:171], v[0:1] neg_lo:[0,1] neg_hi:[0,1]
.LBB85_136:
	s_or_b32 exec_lo, exec_lo, s1
	s_delay_alu instid0(SALU_CYCLE_1)
	s_mov_b32 s2, exec_lo
	s_wait_dscnt 0x0
	s_barrier_signal -1
	s_barrier_wait -1
	v_cmpx_eq_u32_e32 15, v32
	s_cbranch_execz .LBB85_143
; %bb.137:
	v_dual_mov_b32 v0, v120 :: v_dual_mov_b32 v1, v121
	v_dual_mov_b32 v2, v116 :: v_dual_mov_b32 v3, v117
	;; [unrolled: 1-line block ×4, first 2 shown]
	ds_store_b64 v33, v[94:95]
	ds_store_2addr_b64 v6, v[0:1], v[2:3] offset0:16 offset1:17
	ds_store_2addr_b64 v6, v[8:9], v[10:11] offset0:18 offset1:19
	v_dual_mov_b32 v0, v84 :: v_dual_mov_b32 v1, v85
	v_dual_mov_b32 v2, v80 :: v_dual_mov_b32 v3, v81
	;; [unrolled: 1-line block ×12, first 2 shown]
	ds_store_2addr_b64 v6, v[0:1], v[2:3] offset0:20 offset1:21
	ds_store_2addr_b64 v6, v[8:9], v[10:11] offset0:22 offset1:23
	;; [unrolled: 1-line block ×6, first 2 shown]
	v_dual_mov_b32 v0, v146 :: v_dual_mov_b32 v1, v147
	v_dual_mov_b32 v2, v142 :: v_dual_mov_b32 v3, v143
	;; [unrolled: 1-line block ×10, first 2 shown]
	ds_store_2addr_b64 v6, v[0:1], v[2:3] offset0:32 offset1:33
	ds_store_2addr_b64 v6, v[8:9], v[10:11] offset0:34 offset1:35
	;; [unrolled: 1-line block ×5, first 2 shown]
	ds_store_b64 v6, v[170:171] offset:336
	ds_load_b64 v[0:1], v33
	s_wait_dscnt 0x0
	v_cmp_neq_f32_e32 vcc_lo, 0, v0
	v_cmp_neq_f32_e64 s1, 0, v1
	s_or_b32 s1, vcc_lo, s1
	s_delay_alu instid0(SALU_CYCLE_1)
	s_and_b32 exec_lo, exec_lo, s1
	s_cbranch_execz .LBB85_143
; %bb.138:
	v_cmp_ngt_f32_e64 s1, |v0|, |v1|
                                        ; implicit-def: $vgpr2_vgpr3
	s_and_saveexec_b32 s4, s1
	s_delay_alu instid0(SALU_CYCLE_1)
	s_xor_b32 s1, exec_lo, s4
	s_cbranch_execz .LBB85_140
; %bb.139:
	v_div_scale_f32 v2, null, v1, v1, v0
	v_div_scale_f32 v8, vcc_lo, v0, v1, v0
	s_delay_alu instid0(VALU_DEP_2) | instskip(SKIP_1) | instid1(TRANS32_DEP_1)
	v_rcp_f32_e32 v3, v2
	v_nop
	v_fma_f32 v7, -v2, v3, 1.0
	s_delay_alu instid0(VALU_DEP_1) | instskip(NEXT) | instid1(VALU_DEP_1)
	v_fmac_f32_e32 v3, v7, v3
	v_mul_f32_e32 v7, v8, v3
	s_delay_alu instid0(VALU_DEP_1) | instskip(NEXT) | instid1(VALU_DEP_1)
	v_fma_f32 v9, -v2, v7, v8
	v_fmac_f32_e32 v7, v9, v3
	s_delay_alu instid0(VALU_DEP_1) | instskip(NEXT) | instid1(VALU_DEP_1)
	v_fma_f32 v2, -v2, v7, v8
	v_div_fmas_f32 v2, v2, v3, v7
	s_delay_alu instid0(VALU_DEP_1) | instskip(NEXT) | instid1(VALU_DEP_1)
	v_div_fixup_f32 v2, v2, v1, v0
	v_fmac_f32_e32 v1, v0, v2
	s_delay_alu instid0(VALU_DEP_1) | instskip(SKIP_1) | instid1(VALU_DEP_2)
	v_div_scale_f32 v0, null, v1, v1, 1.0
	v_div_scale_f32 v8, vcc_lo, 1.0, v1, 1.0
	v_rcp_f32_e32 v3, v0
	v_nop
	s_delay_alu instid0(TRANS32_DEP_1) | instskip(NEXT) | instid1(VALU_DEP_1)
	v_fma_f32 v7, -v0, v3, 1.0
	v_fmac_f32_e32 v3, v7, v3
	s_delay_alu instid0(VALU_DEP_1) | instskip(NEXT) | instid1(VALU_DEP_1)
	v_mul_f32_e32 v7, v8, v3
	v_fma_f32 v9, -v0, v7, v8
	s_delay_alu instid0(VALU_DEP_1) | instskip(NEXT) | instid1(VALU_DEP_1)
	v_fmac_f32_e32 v7, v9, v3
	v_fma_f32 v0, -v0, v7, v8
	s_delay_alu instid0(VALU_DEP_1) | instskip(NEXT) | instid1(VALU_DEP_1)
	v_div_fmas_f32 v0, v0, v3, v7
	v_div_fixup_f32 v0, v0, v1, 1.0
	s_delay_alu instid0(VALU_DEP_1)
	v_mul_f32_e32 v2, v2, v0
	v_xor_b32_e32 v3, 0x80000000, v0
                                        ; implicit-def: $vgpr0_vgpr1
.LBB85_140:
	s_and_not1_saveexec_b32 s1, s1
	s_cbranch_execz .LBB85_142
; %bb.141:
	v_div_scale_f32 v2, null, v0, v0, v1
	v_div_scale_f32 v8, vcc_lo, v1, v0, v1
	s_delay_alu instid0(VALU_DEP_2) | instskip(SKIP_1) | instid1(TRANS32_DEP_1)
	v_rcp_f32_e32 v3, v2
	v_nop
	v_fma_f32 v7, -v2, v3, 1.0
	s_delay_alu instid0(VALU_DEP_1) | instskip(NEXT) | instid1(VALU_DEP_1)
	v_fmac_f32_e32 v3, v7, v3
	v_mul_f32_e32 v7, v8, v3
	s_delay_alu instid0(VALU_DEP_1) | instskip(NEXT) | instid1(VALU_DEP_1)
	v_fma_f32 v9, -v2, v7, v8
	v_fmac_f32_e32 v7, v9, v3
	s_delay_alu instid0(VALU_DEP_1) | instskip(NEXT) | instid1(VALU_DEP_1)
	v_fma_f32 v2, -v2, v7, v8
	v_div_fmas_f32 v2, v2, v3, v7
	s_delay_alu instid0(VALU_DEP_1) | instskip(NEXT) | instid1(VALU_DEP_1)
	v_div_fixup_f32 v3, v2, v0, v1
	v_fmac_f32_e32 v0, v1, v3
	s_delay_alu instid0(VALU_DEP_1) | instskip(NEXT) | instid1(VALU_DEP_1)
	v_div_scale_f32 v1, null, v0, v0, 1.0
	v_rcp_f32_e32 v2, v1
	v_nop
	s_delay_alu instid0(TRANS32_DEP_1) | instskip(NEXT) | instid1(VALU_DEP_1)
	v_fma_f32 v7, -v1, v2, 1.0
	v_fmac_f32_e32 v2, v7, v2
	v_div_scale_f32 v7, vcc_lo, 1.0, v0, 1.0
	s_delay_alu instid0(VALU_DEP_1) | instskip(NEXT) | instid1(VALU_DEP_1)
	v_mul_f32_e32 v8, v7, v2
	v_fma_f32 v9, -v1, v8, v7
	s_delay_alu instid0(VALU_DEP_1) | instskip(NEXT) | instid1(VALU_DEP_1)
	v_fmac_f32_e32 v8, v9, v2
	v_fma_f32 v1, -v1, v8, v7
	s_delay_alu instid0(VALU_DEP_1) | instskip(NEXT) | instid1(VALU_DEP_1)
	v_div_fmas_f32 v1, v1, v2, v8
	v_div_fixup_f32 v2, v1, v0, 1.0
	s_delay_alu instid0(VALU_DEP_1)
	v_mul_f32_e64 v3, v3, -v2
.LBB85_142:
	s_or_b32 exec_lo, exec_lo, s1
	ds_store_b64 v33, v[2:3]
.LBB85_143:
	s_or_b32 exec_lo, exec_lo, s2
	s_wait_dscnt 0x0
	s_barrier_signal -1
	s_barrier_wait -1
	ds_load_b64 v[204:205], v33
	s_mov_b32 s1, exec_lo
	v_cmpx_lt_u32_e32 15, v32
	s_cbranch_execz .LBB85_145
; %bb.144:
	ds_load_2addr_b64 v[206:209], v6 offset0:16 offset1:17
	ds_load_2addr_b64 v[210:213], v6 offset0:18 offset1:19
	;; [unrolled: 1-line block ×3, first 2 shown]
	s_wait_dscnt 0x3
	v_pk_mul_f32 v[2:3], v[204:205], v[94:95] op_sel:[1,1] op_sel_hi:[0,1]
	ds_load_2addr_b64 v[218:221], v6 offset0:22 offset1:23
	ds_load_2addr_b64 v[222:225], v6 offset0:24 offset1:25
	v_pk_fma_f32 v[0:1], v[204:205], v[94:95], v[2:3] op_sel_hi:[1,0,1] neg_lo:[0,0,1] neg_hi:[0,0,1]
	v_pk_fma_f32 v[2:3], v[204:205], v[94:95], v[2:3] op_sel_hi:[1,0,1]
	s_delay_alu instid0(VALU_DEP_1) | instskip(SKIP_1) | instid1(VALU_DEP_2)
	v_dual_mov_b32 v94, v0 :: v_dual_mov_b32 v95, v3
	s_wait_dscnt 0x4
	v_pk_mul_f32 v[8:9], v[206:207], v[2:3] op_sel:[0,1]
	v_pk_mul_f32 v[10:11], v[208:209], v[2:3] op_sel:[0,1]
	s_wait_dscnt 0x3
	v_pk_mul_f32 v[226:227], v[210:211], v[2:3] op_sel:[0,1]
	v_dual_mov_b32 v228, v213 :: v_dual_mov_b32 v229, v212
	v_dual_mul_f32 v230, v213, v3 :: v_dual_mul_f32 v232, v213, v0
	s_wait_dscnt 0x2
	v_pk_mul_f32 v[234:235], v[214:215], v[2:3] op_sel:[0,1]
	v_pk_fma_f32 v[238:239], v[206:207], v[0:1], v[8:9] op_sel:[0,0,1] op_sel_hi:[1,1,0] neg_lo:[0,0,1] neg_hi:[0,0,1]
	v_pk_fma_f32 v[8:9], v[206:207], v[0:1], v[8:9] op_sel:[0,0,1] op_sel_hi:[1,0,0]
	v_pk_fma_f32 v[206:207], v[208:209], v[0:1], v[10:11] op_sel:[0,0,1] op_sel_hi:[1,1,0] neg_lo:[0,0,1] neg_hi:[0,0,1]
	v_pk_fma_f32 v[10:11], v[208:209], v[0:1], v[10:11] op_sel:[0,0,1] op_sel_hi:[1,0,0]
	;; [unrolled: 2-line block ×3, first 2 shown]
	v_pk_mul_f32 v[236:237], v[216:217], v[2:3] op_sel:[0,1]
	v_pk_fma_f32 v[226:227], v[228:229], v[94:95], v[232:233] op_sel_hi:[1,1,0]
	v_dual_mov_b32 v239, v9 :: v_dual_mov_b32 v207, v11
	s_delay_alu instid0(VALU_DEP_4)
	v_mov_b32_e32 v209, v211
	v_pk_fma_f32 v[8:9], v[214:215], v[0:1], v[234:235] op_sel:[0,0,1] op_sel_hi:[1,0,0]
	v_pk_fma_f32 v[212:213], v[212:213], v[94:95], v[230:231] op_sel_hi:[1,1,0] neg_lo:[0,0,1] neg_hi:[0,0,1]
	v_pk_fma_f32 v[228:229], v[214:215], v[0:1], v[234:235] op_sel:[0,0,1] op_sel_hi:[1,1,0] neg_lo:[0,0,1] neg_hi:[0,0,1]
	v_pk_fma_f32 v[10:11], v[216:217], v[0:1], v[236:237] op_sel:[0,0,1] op_sel_hi:[1,0,0]
	v_mov_b32_e32 v213, v227
	v_pk_add_f32 v[116:117], v[116:117], v[206:207] neg_lo:[0,1] neg_hi:[0,1]
	v_pk_add_f32 v[118:119], v[118:119], v[208:209] neg_lo:[0,1] neg_hi:[0,1]
	v_mov_b32_e32 v229, v9
	s_wait_dscnt 0x1
	v_pk_mul_f32 v[8:9], v[218:219], v[2:3] op_sel:[0,1]
	ds_load_2addr_b64 v[206:209], v6 offset0:26 offset1:27
	v_pk_fma_f32 v[210:211], v[216:217], v[0:1], v[236:237] op_sel:[0,0,1] op_sel_hi:[1,1,0] neg_lo:[0,0,1] neg_hi:[0,0,1]
	v_mov_b32_e32 v211, v11
	v_pk_mul_f32 v[10:11], v[220:221], v[2:3] op_sel:[0,1]
	v_pk_add_f32 v[54:55], v[54:55], v[212:213] neg_lo:[0,1] neg_hi:[0,1]
	v_pk_fma_f32 v[212:213], v[218:219], v[0:1], v[8:9] op_sel:[0,0,1] op_sel_hi:[1,0,0]
	v_pk_fma_f32 v[8:9], v[218:219], v[0:1], v[8:9] op_sel:[0,0,1] op_sel_hi:[1,1,0] neg_lo:[0,0,1] neg_hi:[0,0,1]
	v_pk_add_f32 v[80:81], v[80:81], v[210:211] neg_lo:[0,1] neg_hi:[0,1]
	v_pk_fma_f32 v[214:215], v[220:221], v[0:1], v[10:11] op_sel:[0,0,1] op_sel_hi:[1,0,0]
	s_wait_dscnt 0x1
	v_dual_mul_f32 v214, v223, v0 :: v_dual_mov_b32 v9, v213
	ds_load_2addr_b64 v[210:213], v6 offset0:28 offset1:29
	v_pk_fma_f32 v[10:11], v[220:221], v[0:1], v[10:11] op_sel:[0,0,1] op_sel_hi:[1,1,0] neg_lo:[0,0,1] neg_hi:[0,0,1]
	v_mul_f32_e32 v216, v223, v3
	v_mov_b32_e32 v11, v215
	v_pk_fma_f32 v[214:215], v[222:223], v[94:95], v[214:215] op_sel:[1,0,0] op_sel_hi:[0,1,0]
	v_pk_add_f32 v[82:83], v[82:83], v[8:9] neg_lo:[0,1] neg_hi:[0,1]
	v_pk_mul_f32 v[8:9], v[224:225], v[2:3] op_sel:[0,1]
	v_pk_fma_f32 v[220:221], v[222:223], v[94:95], v[216:217] op_sel_hi:[1,1,0] neg_lo:[0,0,1] neg_hi:[0,0,1]
	v_pk_add_f32 v[120:121], v[120:121], v[238:239] neg_lo:[0,1] neg_hi:[0,1]
	v_mov_b32_e32 v221, v215
	v_pk_add_f32 v[78:79], v[78:79], v[10:11] neg_lo:[0,1] neg_hi:[0,1]
	s_wait_dscnt 0x1
	v_pk_mul_f32 v[10:11], v[206:207], v[2:3] op_sel:[0,1]
	v_pk_fma_f32 v[218:219], v[224:225], v[0:1], v[8:9] op_sel:[0,0,1] op_sel_hi:[1,0,0]
	v_pk_fma_f32 v[8:9], v[224:225], v[0:1], v[8:9] op_sel:[0,0,1] op_sel_hi:[1,1,0] neg_lo:[0,0,1] neg_hi:[0,0,1]
	ds_load_2addr_b64 v[214:217], v6 offset0:30 offset1:31
	v_pk_add_f32 v[106:107], v[106:107], v[220:221] neg_lo:[0,1] neg_hi:[0,1]
	v_pk_fma_f32 v[222:223], v[206:207], v[0:1], v[10:11] op_sel:[0,0,1] op_sel_hi:[1,0,0]
	v_mov_b32_e32 v9, v219
	v_pk_mul_f32 v[218:219], v[208:209], v[2:3] op_sel:[0,1]
	v_pk_fma_f32 v[10:11], v[206:207], v[0:1], v[10:11] op_sel:[0,0,1] op_sel_hi:[1,1,0] neg_lo:[0,0,1] neg_hi:[0,0,1]
	v_pk_add_f32 v[84:85], v[84:85], v[228:229] neg_lo:[0,1] neg_hi:[0,1]
	v_mov_b32_e32 v11, v223
	s_wait_dscnt 0x1
	v_pk_mul_f32 v[222:223], v[210:211], v[2:3] op_sel:[0,1]
	v_pk_fma_f32 v[206:207], v[208:209], v[0:1], v[218:219] op_sel:[0,0,1] op_sel_hi:[1,0,0]
	s_delay_alu instid0(VALU_DEP_3) | instskip(SKIP_1) | instid1(VALU_DEP_3)
	v_pk_add_f32 v[104:105], v[104:105], v[10:11] neg_lo:[0,1] neg_hi:[0,1]
	v_pk_fma_f32 v[10:11], v[208:209], v[0:1], v[218:219] op_sel:[0,0,1] op_sel_hi:[1,1,0] neg_lo:[0,0,1] neg_hi:[0,0,1]
	v_mov_b32_e32 v11, v207
	v_pk_add_f32 v[102:103], v[102:103], v[8:9] neg_lo:[0,1] neg_hi:[0,1]
	v_pk_fma_f32 v[8:9], v[210:211], v[0:1], v[222:223] op_sel:[0,0,1] op_sel_hi:[1,0,0]
	ds_load_2addr_b64 v[206:209], v6 offset0:32 offset1:33
	v_pk_fma_f32 v[210:211], v[210:211], v[0:1], v[222:223] op_sel:[0,0,1] op_sel_hi:[1,1,0] neg_lo:[0,0,1] neg_hi:[0,0,1]
	v_dual_mov_b32 v8, v213 :: v_dual_mul_f32 v218, v213, v0
	v_dual_mov_b32 v211, v9 :: v_dual_mov_b32 v9, v212
	v_pk_add_f32 v[100:101], v[100:101], v[10:11] neg_lo:[0,1] neg_hi:[0,1]
	s_wait_dscnt 0x1
	v_pk_mul_f32 v[10:11], v[214:215], v[2:3] op_sel:[0,1]
	v_pk_mul_f32 v[222:223], v[216:217], v[2:3] op_sel:[0,1]
	v_pk_add_f32 v[128:129], v[128:129], v[210:211] neg_lo:[0,1] neg_hi:[0,1]
	v_mul_f32_e32 v210, v213, v3
	v_pk_fma_f32 v[8:9], v[8:9], v[94:95], v[218:219] op_sel_hi:[1,1,0]
	ds_load_2addr_b64 v[218:221], v6 offset0:34 offset1:35
	v_pk_fma_f32 v[224:225], v[214:215], v[0:1], v[10:11] op_sel:[0,0,1] op_sel_hi:[1,0,0]
	v_pk_fma_f32 v[226:227], v[212:213], v[94:95], v[210:211] op_sel_hi:[1,1,0] neg_lo:[0,0,1] neg_hi:[0,0,1]
	v_mov_b32_e32 v227, v9
	v_pk_fma_f32 v[8:9], v[214:215], v[0:1], v[10:11] op_sel:[0,0,1] op_sel_hi:[1,1,0] neg_lo:[0,0,1] neg_hi:[0,0,1]
	v_pk_fma_f32 v[10:11], v[216:217], v[0:1], v[222:223] op_sel:[0,0,1] op_sel_hi:[1,0,0]
	ds_load_2addr_b64 v[210:213], v6 offset0:36 offset1:37
	v_pk_fma_f32 v[214:215], v[216:217], v[0:1], v[222:223] op_sel:[0,0,1] op_sel_hi:[1,1,0] neg_lo:[0,0,1] neg_hi:[0,0,1]
	s_wait_dscnt 0x2
	v_pk_mul_f32 v[216:217], v[206:207], v[2:3] op_sel:[0,1]
	v_dual_mov_b32 v9, v225 :: v_dual_mov_b32 v215, v11
	v_pk_mul_f32 v[10:11], v[208:209], v[2:3] op_sel:[0,1]
	v_pk_add_f32 v[124:125], v[124:125], v[226:227] neg_lo:[0,1] neg_hi:[0,1]
	s_delay_alu instid0(VALU_DEP_4) | instskip(NEXT) | instid1(VALU_DEP_4)
	v_pk_fma_f32 v[222:223], v[206:207], v[0:1], v[216:217] op_sel:[0,0,1] op_sel_hi:[1,0,0]
	v_pk_add_f32 v[126:127], v[126:127], v[8:9] neg_lo:[0,1] neg_hi:[0,1]
	v_pk_add_f32 v[122:123], v[122:123], v[214:215] neg_lo:[0,1] neg_hi:[0,1]
	v_pk_fma_f32 v[8:9], v[208:209], v[0:1], v[10:11] op_sel:[0,0,1] op_sel_hi:[1,0,0]
	v_pk_fma_f32 v[214:215], v[206:207], v[0:1], v[216:217] op_sel:[0,0,1] op_sel_hi:[1,1,0] neg_lo:[0,0,1] neg_hi:[0,0,1]
	v_mov_b32_e32 v215, v223
	v_pk_fma_f32 v[10:11], v[208:209], v[0:1], v[10:11] op_sel:[0,0,1] op_sel_hi:[1,1,0] neg_lo:[0,0,1] neg_hi:[0,0,1]
	s_wait_dscnt 0x1
	v_dual_mul_f32 v8, v219, v0 :: v_dual_mul_f32 v216, v219, v3
	ds_load_2addr_b64 v[206:209], v6 offset0:38 offset1:39
	v_mov_b32_e32 v11, v9
	v_pk_add_f32 v[146:147], v[146:147], v[214:215] neg_lo:[0,1] neg_hi:[0,1]
	v_pk_fma_f32 v[8:9], v[218:219], v[94:95], v[8:9] op_sel:[1,0,0] op_sel_hi:[0,1,0]
	v_pk_mul_f32 v[214:215], v[220:221], v[2:3] op_sel:[0,1]
	s_wait_dscnt 0x1
	v_pk_mul_f32 v[222:223], v[212:213], v[2:3] op_sel:[0,1]
	v_pk_add_f32 v[142:143], v[142:143], v[10:11] neg_lo:[0,1] neg_hi:[0,1]
	v_pk_fma_f32 v[10:11], v[218:219], v[94:95], v[216:217] op_sel_hi:[1,1,0] neg_lo:[0,0,1] neg_hi:[0,0,1]
	v_pk_mul_f32 v[218:219], v[210:211], v[2:3] op_sel:[0,1]
	v_mov_b32_e32 v11, v9
	v_pk_fma_f32 v[8:9], v[220:221], v[0:1], v[214:215] op_sel:[0,0,1] op_sel_hi:[1,0,0]
	v_pk_fma_f32 v[220:221], v[220:221], v[0:1], v[214:215] op_sel:[0,0,1] op_sel_hi:[1,1,0] neg_lo:[0,0,1] neg_hi:[0,0,1]
	ds_load_2addr_b64 v[214:217], v6 offset0:40 offset1:41
	v_pk_fma_f32 v[224:225], v[210:211], v[0:1], v[218:219] op_sel:[0,0,1] op_sel_hi:[1,0,0]
	v_pk_fma_f32 v[210:211], v[210:211], v[0:1], v[218:219] op_sel:[0,0,1] op_sel_hi:[1,1,0] neg_lo:[0,0,1] neg_hi:[0,0,1]
	ds_load_b64 v[218:219], v6 offset:336
	v_mov_b32_e32 v221, v9
	v_pk_fma_f32 v[8:9], v[212:213], v[0:1], v[222:223] op_sel:[0,0,1] op_sel_hi:[1,0,0]
	v_pk_fma_f32 v[212:213], v[212:213], v[0:1], v[222:223] op_sel:[0,0,1] op_sel_hi:[1,1,0] neg_lo:[0,0,1] neg_hi:[0,0,1]
	v_mov_b32_e32 v211, v225
	v_pk_add_f32 v[144:145], v[144:145], v[10:11] neg_lo:[0,1] neg_hi:[0,1]
	v_pk_add_f32 v[140:141], v[140:141], v[220:221] neg_lo:[0,1] neg_hi:[0,1]
	v_mov_b32_e32 v213, v9
	s_wait_dscnt 0x2
	v_pk_mul_f32 v[8:9], v[206:207], v[2:3] op_sel:[0,1]
	v_pk_add_f32 v[166:167], v[166:167], v[210:211] neg_lo:[0,1] neg_hi:[0,1]
	v_dual_mov_b32 v210, v209 :: v_dual_mov_b32 v211, v208
	v_pk_add_f32 v[160:161], v[160:161], v[212:213] neg_lo:[0,1] neg_hi:[0,1]
	s_delay_alu instid0(VALU_DEP_4)
	v_pk_fma_f32 v[10:11], v[206:207], v[0:1], v[8:9] op_sel:[0,0,1] op_sel_hi:[1,0,0]
	v_mul_f32_e32 v10, v209, v0
	v_pk_fma_f32 v[8:9], v[206:207], v[0:1], v[8:9] op_sel:[0,0,1] op_sel_hi:[1,1,0] neg_lo:[0,0,1] neg_hi:[0,0,1]
	v_mul_f32_e32 v206, v209, v3
	s_wait_dscnt 0x1
	v_pk_mul_f32 v[212:213], v[214:215], v[2:3] op_sel:[0,1]
	v_mov_b32_e32 v9, v11
	v_pk_fma_f32 v[10:11], v[210:211], v[94:95], v[10:11] op_sel_hi:[1,1,0]
	v_pk_mul_f32 v[210:211], v[216:217], v[2:3] op_sel:[0,1]
	s_wait_dscnt 0x0
	v_pk_mul_f32 v[2:3], v[218:219], v[2:3] op_sel:[0,1]
	v_pk_fma_f32 v[206:207], v[208:209], v[94:95], v[206:207] op_sel_hi:[1,1,0] neg_lo:[0,0,1] neg_hi:[0,0,1]
	v_pk_fma_f32 v[208:209], v[214:215], v[0:1], v[212:213] op_sel:[0,0,1] op_sel_hi:[1,0,0]
	v_mov_b32_e32 v207, v11
	v_pk_fma_f32 v[10:11], v[216:217], v[0:1], v[210:211] op_sel:[0,0,1] op_sel_hi:[1,0,0]
	v_pk_fma_f32 v[212:213], v[214:215], v[0:1], v[212:213] op_sel:[0,0,1] op_sel_hi:[1,1,0] neg_lo:[0,0,1] neg_hi:[0,0,1]
	v_pk_fma_f32 v[214:215], v[218:219], v[0:1], v[2:3] op_sel:[0,0,1] op_sel_hi:[1,0,0]
	v_mov_b32_e32 v213, v209
	v_pk_fma_f32 v[208:209], v[216:217], v[0:1], v[210:211] op_sel:[0,0,1] op_sel_hi:[1,1,0] neg_lo:[0,0,1] neg_hi:[0,0,1]
	v_pk_fma_f32 v[0:1], v[218:219], v[0:1], v[2:3] op_sel:[0,0,1] op_sel_hi:[1,1,0] neg_lo:[0,0,1] neg_hi:[0,0,1]
	s_delay_alu instid0(VALU_DEP_4) | instskip(SKIP_3) | instid1(VALU_DEP_4)
	v_dual_mov_b32 v209, v11 :: v_dual_mov_b32 v1, v215
	v_pk_add_f32 v[164:165], v[164:165], v[8:9] neg_lo:[0,1] neg_hi:[0,1]
	v_pk_add_f32 v[158:159], v[158:159], v[206:207] neg_lo:[0,1] neg_hi:[0,1]
	v_pk_add_f32 v[162:163], v[162:163], v[212:213] neg_lo:[0,1] neg_hi:[0,1]
	v_pk_add_f32 v[168:169], v[168:169], v[208:209] neg_lo:[0,1] neg_hi:[0,1]
	v_pk_add_f32 v[170:171], v[170:171], v[0:1] neg_lo:[0,1] neg_hi:[0,1]
.LBB85_145:
	s_or_b32 exec_lo, exec_lo, s1
	s_delay_alu instid0(SALU_CYCLE_1)
	s_mov_b32 s2, exec_lo
	s_wait_dscnt 0x0
	s_barrier_signal -1
	s_barrier_wait -1
	v_cmpx_eq_u32_e32 16, v32
	s_cbranch_execz .LBB85_152
; %bb.146:
	ds_store_b64 v33, v[120:121]
	ds_store_2addr_b64 v6, v[116:117], v[118:119] offset0:17 offset1:18
	ds_store_2addr_b64 v6, v[54:55], v[84:85] offset0:19 offset1:20
	;; [unrolled: 1-line block ×13, first 2 shown]
	ds_load_b64 v[0:1], v33
	s_wait_dscnt 0x0
	v_cmp_neq_f32_e32 vcc_lo, 0, v0
	v_cmp_neq_f32_e64 s1, 0, v1
	s_or_b32 s1, vcc_lo, s1
	s_delay_alu instid0(SALU_CYCLE_1)
	s_and_b32 exec_lo, exec_lo, s1
	s_cbranch_execz .LBB85_152
; %bb.147:
	v_cmp_ngt_f32_e64 s1, |v0|, |v1|
                                        ; implicit-def: $vgpr2_vgpr3
	s_and_saveexec_b32 s4, s1
	s_delay_alu instid0(SALU_CYCLE_1)
	s_xor_b32 s1, exec_lo, s4
	s_cbranch_execz .LBB85_149
; %bb.148:
	v_div_scale_f32 v2, null, v1, v1, v0
	v_div_scale_f32 v8, vcc_lo, v0, v1, v0
	s_delay_alu instid0(VALU_DEP_2) | instskip(SKIP_1) | instid1(TRANS32_DEP_1)
	v_rcp_f32_e32 v3, v2
	v_nop
	v_fma_f32 v7, -v2, v3, 1.0
	s_delay_alu instid0(VALU_DEP_1) | instskip(NEXT) | instid1(VALU_DEP_1)
	v_fmac_f32_e32 v3, v7, v3
	v_mul_f32_e32 v7, v8, v3
	s_delay_alu instid0(VALU_DEP_1) | instskip(NEXT) | instid1(VALU_DEP_1)
	v_fma_f32 v9, -v2, v7, v8
	v_fmac_f32_e32 v7, v9, v3
	s_delay_alu instid0(VALU_DEP_1) | instskip(NEXT) | instid1(VALU_DEP_1)
	v_fma_f32 v2, -v2, v7, v8
	v_div_fmas_f32 v2, v2, v3, v7
	s_delay_alu instid0(VALU_DEP_1) | instskip(NEXT) | instid1(VALU_DEP_1)
	v_div_fixup_f32 v2, v2, v1, v0
	v_fmac_f32_e32 v1, v0, v2
	s_delay_alu instid0(VALU_DEP_1) | instskip(SKIP_1) | instid1(VALU_DEP_2)
	v_div_scale_f32 v0, null, v1, v1, 1.0
	v_div_scale_f32 v8, vcc_lo, 1.0, v1, 1.0
	v_rcp_f32_e32 v3, v0
	v_nop
	s_delay_alu instid0(TRANS32_DEP_1) | instskip(NEXT) | instid1(VALU_DEP_1)
	v_fma_f32 v7, -v0, v3, 1.0
	v_fmac_f32_e32 v3, v7, v3
	s_delay_alu instid0(VALU_DEP_1) | instskip(NEXT) | instid1(VALU_DEP_1)
	v_mul_f32_e32 v7, v8, v3
	v_fma_f32 v9, -v0, v7, v8
	s_delay_alu instid0(VALU_DEP_1) | instskip(NEXT) | instid1(VALU_DEP_1)
	v_fmac_f32_e32 v7, v9, v3
	v_fma_f32 v0, -v0, v7, v8
	s_delay_alu instid0(VALU_DEP_1) | instskip(NEXT) | instid1(VALU_DEP_1)
	v_div_fmas_f32 v0, v0, v3, v7
	v_div_fixup_f32 v0, v0, v1, 1.0
	s_delay_alu instid0(VALU_DEP_1)
	v_mul_f32_e32 v2, v2, v0
	v_xor_b32_e32 v3, 0x80000000, v0
                                        ; implicit-def: $vgpr0_vgpr1
.LBB85_149:
	s_and_not1_saveexec_b32 s1, s1
	s_cbranch_execz .LBB85_151
; %bb.150:
	v_div_scale_f32 v2, null, v0, v0, v1
	v_div_scale_f32 v8, vcc_lo, v1, v0, v1
	s_delay_alu instid0(VALU_DEP_2) | instskip(SKIP_1) | instid1(TRANS32_DEP_1)
	v_rcp_f32_e32 v3, v2
	v_nop
	v_fma_f32 v7, -v2, v3, 1.0
	s_delay_alu instid0(VALU_DEP_1) | instskip(NEXT) | instid1(VALU_DEP_1)
	v_fmac_f32_e32 v3, v7, v3
	v_mul_f32_e32 v7, v8, v3
	s_delay_alu instid0(VALU_DEP_1) | instskip(NEXT) | instid1(VALU_DEP_1)
	v_fma_f32 v9, -v2, v7, v8
	v_fmac_f32_e32 v7, v9, v3
	s_delay_alu instid0(VALU_DEP_1) | instskip(NEXT) | instid1(VALU_DEP_1)
	v_fma_f32 v2, -v2, v7, v8
	v_div_fmas_f32 v2, v2, v3, v7
	s_delay_alu instid0(VALU_DEP_1) | instskip(NEXT) | instid1(VALU_DEP_1)
	v_div_fixup_f32 v3, v2, v0, v1
	v_fmac_f32_e32 v0, v1, v3
	s_delay_alu instid0(VALU_DEP_1) | instskip(NEXT) | instid1(VALU_DEP_1)
	v_div_scale_f32 v1, null, v0, v0, 1.0
	v_rcp_f32_e32 v2, v1
	v_nop
	s_delay_alu instid0(TRANS32_DEP_1) | instskip(NEXT) | instid1(VALU_DEP_1)
	v_fma_f32 v7, -v1, v2, 1.0
	v_fmac_f32_e32 v2, v7, v2
	v_div_scale_f32 v7, vcc_lo, 1.0, v0, 1.0
	s_delay_alu instid0(VALU_DEP_1) | instskip(NEXT) | instid1(VALU_DEP_1)
	v_mul_f32_e32 v8, v7, v2
	v_fma_f32 v9, -v1, v8, v7
	s_delay_alu instid0(VALU_DEP_1) | instskip(NEXT) | instid1(VALU_DEP_1)
	v_fmac_f32_e32 v8, v9, v2
	v_fma_f32 v1, -v1, v8, v7
	s_delay_alu instid0(VALU_DEP_1) | instskip(NEXT) | instid1(VALU_DEP_1)
	v_div_fmas_f32 v1, v1, v2, v8
	v_div_fixup_f32 v2, v1, v0, 1.0
	s_delay_alu instid0(VALU_DEP_1)
	v_mul_f32_e64 v3, v3, -v2
.LBB85_151:
	s_or_b32 exec_lo, exec_lo, s1
	ds_store_b64 v33, v[2:3]
.LBB85_152:
	s_or_b32 exec_lo, exec_lo, s2
	s_wait_dscnt 0x0
	s_barrier_signal -1
	s_barrier_wait -1
	ds_load_b64 v[206:207], v33
	s_mov_b32 s1, exec_lo
	v_cmpx_lt_u32_e32 16, v32
	s_cbranch_execz .LBB85_154
; %bb.153:
	ds_load_2addr_b64 v[208:211], v6 offset0:17 offset1:18
	ds_load_2addr_b64 v[212:215], v6 offset0:19 offset1:20
	;; [unrolled: 1-line block ×3, first 2 shown]
	s_wait_dscnt 0x3
	v_pk_mul_f32 v[2:3], v[206:207], v[120:121] op_sel:[1,1] op_sel_hi:[0,1]
	ds_load_2addr_b64 v[220:223], v6 offset0:23 offset1:24
	ds_load_2addr_b64 v[224:227], v6 offset0:25 offset1:26
	v_pk_fma_f32 v[0:1], v[206:207], v[120:121], v[2:3] op_sel_hi:[1,0,1] neg_lo:[0,0,1] neg_hi:[0,0,1]
	v_pk_fma_f32 v[2:3], v[206:207], v[120:121], v[2:3] op_sel_hi:[1,0,1]
	s_delay_alu instid0(VALU_DEP_1) | instskip(SKIP_1) | instid1(VALU_DEP_2)
	v_dual_mov_b32 v120, v0 :: v_dual_mov_b32 v121, v3
	s_wait_dscnt 0x4
	v_pk_mul_f32 v[8:9], v[208:209], v[2:3] op_sel:[0,1]
	v_pk_mul_f32 v[10:11], v[210:211], v[2:3] op_sel:[0,1]
	s_wait_dscnt 0x3
	v_pk_mul_f32 v[228:229], v[212:213], v[2:3] op_sel:[0,1]
	v_dual_mov_b32 v230, v215 :: v_dual_mov_b32 v231, v214
	v_dual_mul_f32 v232, v215, v3 :: v_dual_mul_f32 v234, v215, v0
	s_wait_dscnt 0x2
	v_pk_mul_f32 v[236:237], v[216:217], v[2:3] op_sel:[0,1]
	v_pk_fma_f32 v[240:241], v[208:209], v[0:1], v[8:9] op_sel:[0,0,1] op_sel_hi:[1,1,0] neg_lo:[0,0,1] neg_hi:[0,0,1]
	v_pk_fma_f32 v[8:9], v[208:209], v[0:1], v[8:9] op_sel:[0,0,1] op_sel_hi:[1,0,0]
	v_pk_fma_f32 v[208:209], v[210:211], v[0:1], v[10:11] op_sel:[0,0,1] op_sel_hi:[1,1,0] neg_lo:[0,0,1] neg_hi:[0,0,1]
	v_pk_fma_f32 v[10:11], v[210:211], v[0:1], v[10:11] op_sel:[0,0,1] op_sel_hi:[1,0,0]
	v_pk_fma_f32 v[210:211], v[212:213], v[0:1], v[228:229] op_sel:[0,0,1] op_sel_hi:[1,1,0] neg_lo:[0,0,1] neg_hi:[0,0,1]
	v_pk_fma_f32 v[212:213], v[212:213], v[0:1], v[228:229] op_sel:[0,0,1] op_sel_hi:[1,0,0]
	v_pk_mul_f32 v[238:239], v[218:219], v[2:3] op_sel:[0,1]
	v_pk_fma_f32 v[228:229], v[230:231], v[120:121], v[234:235] op_sel_hi:[1,1,0]
	v_dual_mov_b32 v241, v9 :: v_dual_mov_b32 v209, v11
	v_pk_fma_f32 v[8:9], v[216:217], v[0:1], v[236:237] op_sel:[0,0,1] op_sel_hi:[1,0,0]
	v_mov_b32_e32 v211, v213
	v_pk_fma_f32 v[214:215], v[214:215], v[120:121], v[232:233] op_sel_hi:[1,1,0] neg_lo:[0,0,1] neg_hi:[0,0,1]
	v_pk_fma_f32 v[230:231], v[216:217], v[0:1], v[236:237] op_sel:[0,0,1] op_sel_hi:[1,1,0] neg_lo:[0,0,1] neg_hi:[0,0,1]
	v_mov_b32_e32 v215, v229
	v_pk_fma_f32 v[10:11], v[218:219], v[0:1], v[238:239] op_sel:[0,0,1] op_sel_hi:[1,0,0]
	v_mov_b32_e32 v231, v9
	s_wait_dscnt 0x1
	v_pk_mul_f32 v[8:9], v[220:221], v[2:3] op_sel:[0,1]
	v_pk_add_f32 v[118:119], v[118:119], v[208:209] neg_lo:[0,1] neg_hi:[0,1]
	v_pk_add_f32 v[54:55], v[54:55], v[210:211] neg_lo:[0,1] neg_hi:[0,1]
	ds_load_2addr_b64 v[208:211], v6 offset0:27 offset1:28
	v_pk_fma_f32 v[212:213], v[218:219], v[0:1], v[238:239] op_sel:[0,0,1] op_sel_hi:[1,1,0] neg_lo:[0,0,1] neg_hi:[0,0,1]
	v_mov_b32_e32 v213, v11
	v_pk_add_f32 v[84:85], v[84:85], v[214:215] neg_lo:[0,1] neg_hi:[0,1]
	v_pk_mul_f32 v[10:11], v[222:223], v[2:3] op_sel:[0,1]
	v_pk_fma_f32 v[214:215], v[220:221], v[0:1], v[8:9] op_sel:[0,0,1] op_sel_hi:[1,0,0]
	v_pk_fma_f32 v[8:9], v[220:221], v[0:1], v[8:9] op_sel:[0,0,1] op_sel_hi:[1,1,0] neg_lo:[0,0,1] neg_hi:[0,0,1]
	v_pk_add_f32 v[82:83], v[82:83], v[212:213] neg_lo:[0,1] neg_hi:[0,1]
	s_wait_dscnt 0x1
	v_pk_mul_f32 v[218:219], v[226:227], v[2:3] op_sel:[0,1]
	v_pk_fma_f32 v[216:217], v[222:223], v[0:1], v[10:11] op_sel:[0,0,1] op_sel_hi:[1,0,0]
	v_dual_mov_b32 v9, v215 :: v_dual_mul_f32 v216, v225, v0
	ds_load_2addr_b64 v[212:215], v6 offset0:29 offset1:30
	v_pk_fma_f32 v[10:11], v[222:223], v[0:1], v[10:11] op_sel:[0,0,1] op_sel_hi:[1,1,0] neg_lo:[0,0,1] neg_hi:[0,0,1]
	v_mov_b32_e32 v11, v217
	v_pk_add_f32 v[78:79], v[78:79], v[8:9] neg_lo:[0,1] neg_hi:[0,1]
	v_mul_f32_e32 v8, v225, v3
	v_pk_fma_f32 v[216:217], v[224:225], v[120:121], v[216:217] op_sel:[1,0,0] op_sel_hi:[0,1,0]
	v_pk_fma_f32 v[220:221], v[226:227], v[0:1], v[218:219] op_sel:[0,0,1] op_sel_hi:[1,0,0]
	v_pk_fma_f32 v[222:223], v[226:227], v[0:1], v[218:219] op_sel:[0,0,1] op_sel_hi:[1,1,0] neg_lo:[0,0,1] neg_hi:[0,0,1]
	v_pk_add_f32 v[116:117], v[116:117], v[240:241] neg_lo:[0,1] neg_hi:[0,1]
	v_pk_fma_f32 v[8:9], v[224:225], v[120:121], v[8:9] op_sel_hi:[1,1,0] neg_lo:[0,0,1] neg_hi:[0,0,1]
	v_mov_b32_e32 v9, v217
	v_pk_add_f32 v[106:107], v[106:107], v[10:11] neg_lo:[0,1] neg_hi:[0,1]
	s_wait_dscnt 0x1
	v_pk_mul_f32 v[10:11], v[208:209], v[2:3] op_sel:[0,1]
	ds_load_2addr_b64 v[216:219], v6 offset0:31 offset1:32
	v_mov_b32_e32 v223, v221
	v_pk_add_f32 v[102:103], v[102:103], v[8:9] neg_lo:[0,1] neg_hi:[0,1]
	v_pk_add_f32 v[80:81], v[80:81], v[230:231] neg_lo:[0,1] neg_hi:[0,1]
	v_pk_fma_f32 v[224:225], v[208:209], v[0:1], v[10:11] op_sel:[0,0,1] op_sel_hi:[1,0,0]
	v_pk_fma_f32 v[10:11], v[208:209], v[0:1], v[10:11] op_sel:[0,0,1] op_sel_hi:[1,1,0] neg_lo:[0,0,1] neg_hi:[0,0,1]
	v_pk_mul_f32 v[208:209], v[210:211], v[2:3] op_sel:[0,1]
	s_wait_dscnt 0x1
	v_pk_mul_f32 v[220:221], v[212:213], v[2:3] op_sel:[0,1]
	v_pk_add_f32 v[104:105], v[104:105], v[222:223] neg_lo:[0,1] neg_hi:[0,1]
	v_mov_b32_e32 v11, v225
	v_pk_fma_f32 v[8:9], v[210:211], v[0:1], v[208:209] op_sel:[0,0,1] op_sel_hi:[1,0,0]
	v_pk_fma_f32 v[222:223], v[210:211], v[0:1], v[208:209] op_sel:[0,0,1] op_sel_hi:[1,1,0] neg_lo:[0,0,1] neg_hi:[0,0,1]
	ds_load_2addr_b64 v[208:211], v6 offset0:33 offset1:34
	v_pk_add_f32 v[100:101], v[100:101], v[10:11] neg_lo:[0,1] neg_hi:[0,1]
	v_pk_fma_f32 v[10:11], v[212:213], v[0:1], v[220:221] op_sel:[0,0,1] op_sel_hi:[1,0,0]
	v_dual_mov_b32 v223, v9 :: v_dual_mov_b32 v10, v215
	v_pk_fma_f32 v[8:9], v[212:213], v[0:1], v[220:221] op_sel:[0,0,1] op_sel_hi:[1,1,0] neg_lo:[0,0,1] neg_hi:[0,0,1]
	v_mul_f32_e32 v212, v215, v0
	s_delay_alu instid0(VALU_DEP_4)
	v_dual_mov_b32 v9, v11 :: v_dual_mov_b32 v11, v214
	s_wait_dscnt 0x1
	v_pk_mul_f32 v[224:225], v[216:217], v[2:3] op_sel:[0,1]
	v_pk_mul_f32 v[226:227], v[218:219], v[2:3] op_sel:[0,1]
	v_pk_add_f32 v[128:129], v[128:129], v[222:223] neg_lo:[0,1] neg_hi:[0,1]
	v_pk_add_f32 v[124:125], v[124:125], v[8:9] neg_lo:[0,1] neg_hi:[0,1]
	v_pk_fma_f32 v[8:9], v[10:11], v[120:121], v[212:213] op_sel_hi:[1,1,0]
	v_mul_f32_e32 v220, v215, v3
	s_delay_alu instid0(VALU_DEP_1)
	v_pk_fma_f32 v[10:11], v[214:215], v[120:121], v[220:221] op_sel_hi:[1,1,0] neg_lo:[0,0,1] neg_hi:[0,0,1]
	ds_load_2addr_b64 v[212:215], v6 offset0:35 offset1:36
	v_pk_fma_f32 v[220:221], v[216:217], v[0:1], v[224:225] op_sel:[0,0,1] op_sel_hi:[1,0,0]
	v_mov_b32_e32 v11, v9
	v_pk_fma_f32 v[8:9], v[216:217], v[0:1], v[224:225] op_sel:[0,0,1] op_sel_hi:[1,1,0] neg_lo:[0,0,1] neg_hi:[0,0,1]
	s_wait_dscnt 0x1
	v_pk_mul_f32 v[224:225], v[208:209], v[2:3] op_sel:[0,1]
	v_pk_fma_f32 v[216:217], v[218:219], v[0:1], v[226:227] op_sel:[0,0,1] op_sel_hi:[1,0,0]
	v_mov_b32_e32 v9, v221
	ds_load_2addr_b64 v[220:223], v6 offset0:37 offset1:38
	v_pk_fma_f32 v[218:219], v[218:219], v[0:1], v[226:227] op_sel:[0,0,1] op_sel_hi:[1,1,0] neg_lo:[0,0,1] neg_hi:[0,0,1]
	v_pk_mul_f32 v[226:227], v[210:211], v[2:3] op_sel:[0,1]
	v_pk_add_f32 v[126:127], v[126:127], v[10:11] neg_lo:[0,1] neg_hi:[0,1]
	v_pk_fma_f32 v[10:11], v[208:209], v[0:1], v[224:225] op_sel:[0,0,1] op_sel_hi:[1,0,0]
	v_mov_b32_e32 v219, v217
	v_pk_fma_f32 v[216:217], v[208:209], v[0:1], v[224:225] op_sel:[0,0,1] op_sel_hi:[1,1,0] neg_lo:[0,0,1] neg_hi:[0,0,1]
	v_pk_add_f32 v[122:123], v[122:123], v[8:9] neg_lo:[0,1] neg_hi:[0,1]
	v_pk_fma_f32 v[8:9], v[210:211], v[0:1], v[226:227] op_sel:[0,0,1] op_sel_hi:[1,0,0]
	v_mov_b32_e32 v217, v11
	v_pk_fma_f32 v[10:11], v[210:211], v[0:1], v[226:227] op_sel:[0,0,1] op_sel_hi:[1,1,0] neg_lo:[0,0,1] neg_hi:[0,0,1]
	ds_load_2addr_b64 v[208:211], v6 offset0:39 offset1:40
	v_pk_add_f32 v[146:147], v[146:147], v[218:219] neg_lo:[0,1] neg_hi:[0,1]
	v_mov_b32_e32 v11, v9
	s_wait_dscnt 0x2
	v_mul_f32_e32 v8, v213, v0
	v_pk_add_f32 v[142:143], v[142:143], v[216:217] neg_lo:[0,1] neg_hi:[0,1]
	v_mul_f32_e32 v216, v213, v3
	v_pk_mul_f32 v[224:225], v[214:215], v[2:3] op_sel:[0,1]
	v_pk_add_f32 v[144:145], v[144:145], v[10:11] neg_lo:[0,1] neg_hi:[0,1]
	v_pk_fma_f32 v[8:9], v[212:213], v[120:121], v[8:9] op_sel:[1,0,0] op_sel_hi:[0,1,0]
	s_wait_dscnt 0x1
	v_pk_mul_f32 v[10:11], v[220:221], v[2:3] op_sel:[0,1]
	v_pk_fma_f32 v[212:213], v[212:213], v[120:121], v[216:217] op_sel_hi:[1,1,0] neg_lo:[0,0,1] neg_hi:[0,0,1]
	ds_load_2addr_b64 v[216:219], v6 offset0:41 offset1:42
	v_pk_fma_f32 v[226:227], v[214:215], v[0:1], v[224:225] op_sel:[0,0,1] op_sel_hi:[1,0,0]
	v_mov_b32_e32 v213, v9
	v_pk_fma_f32 v[8:9], v[220:221], v[0:1], v[10:11] op_sel:[0,0,1] op_sel_hi:[1,0,0]
	v_pk_fma_f32 v[214:215], v[214:215], v[0:1], v[224:225] op_sel:[0,0,1] op_sel_hi:[1,1,0] neg_lo:[0,0,1] neg_hi:[0,0,1]
	v_pk_mul_f32 v[224:225], v[222:223], v[2:3] op_sel:[0,1]
	v_pk_fma_f32 v[10:11], v[220:221], v[0:1], v[10:11] op_sel:[0,0,1] op_sel_hi:[1,1,0] neg_lo:[0,0,1] neg_hi:[0,0,1]
	s_delay_alu instid0(VALU_DEP_4) | instskip(SKIP_1) | instid1(VALU_DEP_4)
	v_dual_mov_b32 v215, v227 :: v_dual_mov_b32 v11, v9
	v_pk_add_f32 v[140:141], v[140:141], v[212:213] neg_lo:[0,1] neg_hi:[0,1]
	v_pk_fma_f32 v[8:9], v[222:223], v[0:1], v[224:225] op_sel:[0,0,1] op_sel_hi:[1,0,0]
	s_wait_dscnt 0x1
	v_pk_mul_f32 v[212:213], v[208:209], v[2:3] op_sel:[0,1]
	v_pk_add_f32 v[166:167], v[166:167], v[214:215] neg_lo:[0,1] neg_hi:[0,1]
	v_mov_b32_e32 v214, v211
	v_pk_add_f32 v[160:161], v[160:161], v[10:11] neg_lo:[0,1] neg_hi:[0,1]
	v_pk_fma_f32 v[10:11], v[222:223], v[0:1], v[224:225] op_sel:[0,0,1] op_sel_hi:[1,1,0] neg_lo:[0,0,1] neg_hi:[0,0,1]
	v_dual_mov_b32 v11, v9 :: v_dual_mov_b32 v215, v210
	v_pk_fma_f32 v[8:9], v[208:209], v[0:1], v[212:213] op_sel:[0,0,1] op_sel_hi:[1,1,0] neg_lo:[0,0,1] neg_hi:[0,0,1]
	v_pk_fma_f32 v[208:209], v[208:209], v[0:1], v[212:213] op_sel:[0,0,1] op_sel_hi:[1,0,0]
	v_dual_mul_f32 v220, v211, v0 :: v_dual_mul_f32 v208, v211, v3
	s_wait_dscnt 0x0
	v_pk_mul_f32 v[212:213], v[216:217], v[2:3] op_sel:[0,1]
	v_pk_mul_f32 v[2:3], v[218:219], v[2:3] op_sel:[0,1]
	v_pk_add_f32 v[164:165], v[164:165], v[10:11] neg_lo:[0,1] neg_hi:[0,1]
	v_pk_fma_f32 v[214:215], v[214:215], v[120:121], v[220:221] op_sel_hi:[1,1,0]
	v_mov_b32_e32 v9, v209
	v_pk_fma_f32 v[220:221], v[216:217], v[0:1], v[212:213] op_sel:[0,0,1] op_sel_hi:[1,0,0]
	v_pk_fma_f32 v[208:209], v[210:211], v[120:121], v[208:209] op_sel_hi:[1,1,0] neg_lo:[0,0,1] neg_hi:[0,0,1]
	v_pk_fma_f32 v[210:211], v[218:219], v[0:1], v[2:3] op_sel:[0,0,1] op_sel_hi:[1,0,0]
	v_pk_fma_f32 v[212:213], v[216:217], v[0:1], v[212:213] op_sel:[0,0,1] op_sel_hi:[1,1,0] neg_lo:[0,0,1] neg_hi:[0,0,1]
	v_pk_fma_f32 v[0:1], v[218:219], v[0:1], v[2:3] op_sel:[0,0,1] op_sel_hi:[1,1,0] neg_lo:[0,0,1] neg_hi:[0,0,1]
	v_dual_mov_b32 v209, v215 :: v_dual_mov_b32 v213, v221
	s_delay_alu instid0(VALU_DEP_4) | instskip(SKIP_1) | instid1(VALU_DEP_3)
	v_mov_b32_e32 v1, v211
	v_pk_add_f32 v[158:159], v[158:159], v[8:9] neg_lo:[0,1] neg_hi:[0,1]
	v_pk_add_f32 v[162:163], v[162:163], v[208:209] neg_lo:[0,1] neg_hi:[0,1]
	s_delay_alu instid0(VALU_DEP_4) | instskip(NEXT) | instid1(VALU_DEP_4)
	v_pk_add_f32 v[168:169], v[168:169], v[212:213] neg_lo:[0,1] neg_hi:[0,1]
	v_pk_add_f32 v[170:171], v[170:171], v[0:1] neg_lo:[0,1] neg_hi:[0,1]
.LBB85_154:
	s_or_b32 exec_lo, exec_lo, s1
	s_delay_alu instid0(SALU_CYCLE_1)
	s_mov_b32 s2, exec_lo
	s_wait_dscnt 0x0
	s_barrier_signal -1
	s_barrier_wait -1
	v_cmpx_eq_u32_e32 17, v32
	s_cbranch_execz .LBB85_161
; %bb.155:
	v_dual_mov_b32 v0, v118 :: v_dual_mov_b32 v1, v119
	v_dual_mov_b32 v2, v54 :: v_dual_mov_b32 v3, v55
	v_dual_mov_b32 v8, v84 :: v_dual_mov_b32 v9, v85
	v_dual_mov_b32 v10, v80 :: v_dual_mov_b32 v11, v81
	v_dual_mov_b32 v208, v82 :: v_dual_mov_b32 v209, v83
	v_dual_mov_b32 v210, v78 :: v_dual_mov_b32 v211, v79
	v_dual_mov_b32 v212, v106 :: v_dual_mov_b32 v213, v107
	v_dual_mov_b32 v214, v102 :: v_dual_mov_b32 v215, v103
	v_dual_mov_b32 v216, v104 :: v_dual_mov_b32 v217, v105
	v_dual_mov_b32 v218, v100 :: v_dual_mov_b32 v219, v101
	ds_store_b64 v33, v[116:117]
	v_dual_mov_b32 v220, v128 :: v_dual_mov_b32 v221, v129
	v_dual_mov_b32 v222, v124 :: v_dual_mov_b32 v223, v125
	ds_store_2addr_b64 v6, v[0:1], v[2:3] offset0:18 offset1:19
	ds_store_2addr_b64 v6, v[8:9], v[10:11] offset0:20 offset1:21
	;; [unrolled: 1-line block ×6, first 2 shown]
	v_dual_mov_b32 v0, v126 :: v_dual_mov_b32 v1, v127
	v_dual_mov_b32 v2, v122 :: v_dual_mov_b32 v3, v123
	;; [unrolled: 1-line block ×12, first 2 shown]
	ds_store_2addr_b64 v6, v[0:1], v[2:3] offset0:30 offset1:31
	ds_store_2addr_b64 v6, v[8:9], v[10:11] offset0:32 offset1:33
	;; [unrolled: 1-line block ×6, first 2 shown]
	ds_store_b64 v6, v[170:171] offset:336
	ds_load_b64 v[0:1], v33
	s_wait_dscnt 0x0
	v_cmp_neq_f32_e32 vcc_lo, 0, v0
	v_cmp_neq_f32_e64 s1, 0, v1
	s_or_b32 s1, vcc_lo, s1
	s_delay_alu instid0(SALU_CYCLE_1)
	s_and_b32 exec_lo, exec_lo, s1
	s_cbranch_execz .LBB85_161
; %bb.156:
	v_cmp_ngt_f32_e64 s1, |v0|, |v1|
                                        ; implicit-def: $vgpr2_vgpr3
	s_and_saveexec_b32 s4, s1
	s_delay_alu instid0(SALU_CYCLE_1)
	s_xor_b32 s1, exec_lo, s4
	s_cbranch_execz .LBB85_158
; %bb.157:
	v_div_scale_f32 v2, null, v1, v1, v0
	v_div_scale_f32 v8, vcc_lo, v0, v1, v0
	s_delay_alu instid0(VALU_DEP_2) | instskip(SKIP_1) | instid1(TRANS32_DEP_1)
	v_rcp_f32_e32 v3, v2
	v_nop
	v_fma_f32 v7, -v2, v3, 1.0
	s_delay_alu instid0(VALU_DEP_1) | instskip(NEXT) | instid1(VALU_DEP_1)
	v_fmac_f32_e32 v3, v7, v3
	v_mul_f32_e32 v7, v8, v3
	s_delay_alu instid0(VALU_DEP_1) | instskip(NEXT) | instid1(VALU_DEP_1)
	v_fma_f32 v9, -v2, v7, v8
	v_fmac_f32_e32 v7, v9, v3
	s_delay_alu instid0(VALU_DEP_1) | instskip(NEXT) | instid1(VALU_DEP_1)
	v_fma_f32 v2, -v2, v7, v8
	v_div_fmas_f32 v2, v2, v3, v7
	s_delay_alu instid0(VALU_DEP_1) | instskip(NEXT) | instid1(VALU_DEP_1)
	v_div_fixup_f32 v2, v2, v1, v0
	v_fmac_f32_e32 v1, v0, v2
	s_delay_alu instid0(VALU_DEP_1) | instskip(SKIP_1) | instid1(VALU_DEP_2)
	v_div_scale_f32 v0, null, v1, v1, 1.0
	v_div_scale_f32 v8, vcc_lo, 1.0, v1, 1.0
	v_rcp_f32_e32 v3, v0
	v_nop
	s_delay_alu instid0(TRANS32_DEP_1) | instskip(NEXT) | instid1(VALU_DEP_1)
	v_fma_f32 v7, -v0, v3, 1.0
	v_fmac_f32_e32 v3, v7, v3
	s_delay_alu instid0(VALU_DEP_1) | instskip(NEXT) | instid1(VALU_DEP_1)
	v_mul_f32_e32 v7, v8, v3
	v_fma_f32 v9, -v0, v7, v8
	s_delay_alu instid0(VALU_DEP_1) | instskip(NEXT) | instid1(VALU_DEP_1)
	v_fmac_f32_e32 v7, v9, v3
	v_fma_f32 v0, -v0, v7, v8
	s_delay_alu instid0(VALU_DEP_1) | instskip(NEXT) | instid1(VALU_DEP_1)
	v_div_fmas_f32 v0, v0, v3, v7
	v_div_fixup_f32 v0, v0, v1, 1.0
	s_delay_alu instid0(VALU_DEP_1)
	v_mul_f32_e32 v2, v2, v0
	v_xor_b32_e32 v3, 0x80000000, v0
                                        ; implicit-def: $vgpr0_vgpr1
.LBB85_158:
	s_and_not1_saveexec_b32 s1, s1
	s_cbranch_execz .LBB85_160
; %bb.159:
	v_div_scale_f32 v2, null, v0, v0, v1
	v_div_scale_f32 v8, vcc_lo, v1, v0, v1
	s_delay_alu instid0(VALU_DEP_2) | instskip(SKIP_1) | instid1(TRANS32_DEP_1)
	v_rcp_f32_e32 v3, v2
	v_nop
	v_fma_f32 v7, -v2, v3, 1.0
	s_delay_alu instid0(VALU_DEP_1) | instskip(NEXT) | instid1(VALU_DEP_1)
	v_fmac_f32_e32 v3, v7, v3
	v_mul_f32_e32 v7, v8, v3
	s_delay_alu instid0(VALU_DEP_1) | instskip(NEXT) | instid1(VALU_DEP_1)
	v_fma_f32 v9, -v2, v7, v8
	v_fmac_f32_e32 v7, v9, v3
	s_delay_alu instid0(VALU_DEP_1) | instskip(NEXT) | instid1(VALU_DEP_1)
	v_fma_f32 v2, -v2, v7, v8
	v_div_fmas_f32 v2, v2, v3, v7
	s_delay_alu instid0(VALU_DEP_1) | instskip(NEXT) | instid1(VALU_DEP_1)
	v_div_fixup_f32 v3, v2, v0, v1
	v_fmac_f32_e32 v0, v1, v3
	s_delay_alu instid0(VALU_DEP_1) | instskip(NEXT) | instid1(VALU_DEP_1)
	v_div_scale_f32 v1, null, v0, v0, 1.0
	v_rcp_f32_e32 v2, v1
	v_nop
	s_delay_alu instid0(TRANS32_DEP_1) | instskip(NEXT) | instid1(VALU_DEP_1)
	v_fma_f32 v7, -v1, v2, 1.0
	v_fmac_f32_e32 v2, v7, v2
	v_div_scale_f32 v7, vcc_lo, 1.0, v0, 1.0
	s_delay_alu instid0(VALU_DEP_1) | instskip(NEXT) | instid1(VALU_DEP_1)
	v_mul_f32_e32 v8, v7, v2
	v_fma_f32 v9, -v1, v8, v7
	s_delay_alu instid0(VALU_DEP_1) | instskip(NEXT) | instid1(VALU_DEP_1)
	v_fmac_f32_e32 v8, v9, v2
	v_fma_f32 v1, -v1, v8, v7
	s_delay_alu instid0(VALU_DEP_1) | instskip(NEXT) | instid1(VALU_DEP_1)
	v_div_fmas_f32 v1, v1, v2, v8
	v_div_fixup_f32 v2, v1, v0, 1.0
	s_delay_alu instid0(VALU_DEP_1)
	v_mul_f32_e64 v3, v3, -v2
.LBB85_160:
	s_or_b32 exec_lo, exec_lo, s1
	ds_store_b64 v33, v[2:3]
.LBB85_161:
	s_or_b32 exec_lo, exec_lo, s2
	s_wait_dscnt 0x0
	s_barrier_signal -1
	s_barrier_wait -1
	ds_load_b64 v[208:209], v33
	s_mov_b32 s1, exec_lo
	v_cmpx_lt_u32_e32 17, v32
	s_cbranch_execz .LBB85_163
; %bb.162:
	ds_load_2addr_b64 v[210:213], v6 offset0:18 offset1:19
	ds_load_2addr_b64 v[214:217], v6 offset0:20 offset1:21
	;; [unrolled: 1-line block ×3, first 2 shown]
	s_wait_dscnt 0x3
	v_pk_mul_f32 v[2:3], v[208:209], v[116:117] op_sel:[1,1] op_sel_hi:[0,1]
	ds_load_2addr_b64 v[222:225], v6 offset0:24 offset1:25
	ds_load_2addr_b64 v[226:229], v6 offset0:26 offset1:27
	v_pk_fma_f32 v[0:1], v[208:209], v[116:117], v[2:3] op_sel_hi:[1,0,1] neg_lo:[0,0,1] neg_hi:[0,0,1]
	v_pk_fma_f32 v[2:3], v[208:209], v[116:117], v[2:3] op_sel_hi:[1,0,1]
	s_delay_alu instid0(VALU_DEP_1) | instskip(SKIP_1) | instid1(VALU_DEP_2)
	v_dual_mov_b32 v116, v0 :: v_dual_mov_b32 v117, v3
	s_wait_dscnt 0x4
	v_pk_mul_f32 v[8:9], v[210:211], v[2:3] op_sel:[0,1]
	v_pk_mul_f32 v[10:11], v[212:213], v[2:3] op_sel:[0,1]
	s_wait_dscnt 0x3
	v_pk_mul_f32 v[230:231], v[214:215], v[2:3] op_sel:[0,1]
	v_dual_mov_b32 v232, v217 :: v_dual_mov_b32 v233, v216
	v_dual_mul_f32 v234, v217, v3 :: v_dual_mul_f32 v236, v217, v0
	v_pk_fma_f32 v[242:243], v[210:211], v[0:1], v[8:9] op_sel:[0,0,1] op_sel_hi:[1,1,0] neg_lo:[0,0,1] neg_hi:[0,0,1]
	v_pk_fma_f32 v[8:9], v[210:211], v[0:1], v[8:9] op_sel:[0,0,1] op_sel_hi:[1,0,0]
	v_pk_fma_f32 v[210:211], v[212:213], v[0:1], v[10:11] op_sel:[0,0,1] op_sel_hi:[1,1,0] neg_lo:[0,0,1] neg_hi:[0,0,1]
	v_pk_fma_f32 v[10:11], v[212:213], v[0:1], v[10:11] op_sel:[0,0,1] op_sel_hi:[1,0,0]
	;; [unrolled: 2-line block ×3, first 2 shown]
	s_wait_dscnt 0x2
	v_pk_mul_f32 v[238:239], v[218:219], v[2:3] op_sel:[0,1]
	v_pk_fma_f32 v[230:231], v[232:233], v[116:117], v[236:237] op_sel_hi:[1,1,0]
	v_dual_mov_b32 v243, v9 :: v_dual_mov_b32 v211, v11
	v_mov_b32_e32 v213, v215
	v_pk_mul_f32 v[240:241], v[220:221], v[2:3] op_sel:[0,1]
	v_pk_fma_f32 v[216:217], v[216:217], v[116:117], v[234:235] op_sel_hi:[1,1,0] neg_lo:[0,0,1] neg_hi:[0,0,1]
	v_pk_fma_f32 v[232:233], v[218:219], v[0:1], v[238:239] op_sel:[0,0,1] op_sel_hi:[1,0,0]
	v_mov_b32_e32 v217, v231
	v_pk_add_f32 v[54:55], v[54:55], v[210:211] neg_lo:[0,1] neg_hi:[0,1]
	v_pk_add_f32 v[84:85], v[84:85], v[212:213] neg_lo:[0,1] neg_hi:[0,1]
	ds_load_2addr_b64 v[210:213], v6 offset0:28 offset1:29
	v_pk_fma_f32 v[8:9], v[220:221], v[0:1], v[240:241] op_sel:[0,0,1] op_sel_hi:[1,0,0]
	v_pk_fma_f32 v[10:11], v[218:219], v[0:1], v[238:239] op_sel:[0,0,1] op_sel_hi:[1,1,0] neg_lo:[0,0,1] neg_hi:[0,0,1]
	v_mov_b32_e32 v11, v233
	v_pk_fma_f32 v[214:215], v[220:221], v[0:1], v[240:241] op_sel:[0,0,1] op_sel_hi:[1,1,0] neg_lo:[0,0,1] neg_hi:[0,0,1]
	s_wait_dscnt 0x1
	v_dual_mul_f32 v220, v227, v0 :: v_dual_mov_b32 v215, v9
	v_pk_mul_f32 v[8:9], v[222:223], v[2:3] op_sel:[0,1]
	v_pk_add_f32 v[82:83], v[82:83], v[10:11] neg_lo:[0,1] neg_hi:[0,1]
	v_pk_mul_f32 v[10:11], v[224:225], v[2:3] op_sel:[0,1]
	v_pk_add_f32 v[80:81], v[80:81], v[216:217] neg_lo:[0,1] neg_hi:[0,1]
	v_pk_add_f32 v[78:79], v[78:79], v[214:215] neg_lo:[0,1] neg_hi:[0,1]
	v_pk_fma_f32 v[218:219], v[222:223], v[0:1], v[8:9] op_sel:[0,0,1] op_sel_hi:[1,1,0] neg_lo:[0,0,1] neg_hi:[0,0,1]
	v_pk_fma_f32 v[8:9], v[222:223], v[0:1], v[8:9] op_sel:[0,0,1] op_sel_hi:[1,0,0]
	ds_load_2addr_b64 v[214:217], v6 offset0:30 offset1:31
	v_mul_f32_e32 v8, v227, v3
	v_pk_fma_f32 v[220:221], v[226:227], v[116:117], v[220:221] op_sel:[1,0,0] op_sel_hi:[0,1,0]
	v_pk_fma_f32 v[222:223], v[224:225], v[0:1], v[10:11] op_sel:[0,0,1] op_sel_hi:[1,0,0]
	v_mov_b32_e32 v219, v9
	v_pk_fma_f32 v[10:11], v[224:225], v[0:1], v[10:11] op_sel:[0,0,1] op_sel_hi:[1,1,0] neg_lo:[0,0,1] neg_hi:[0,0,1]
	v_pk_fma_f32 v[8:9], v[226:227], v[116:117], v[8:9] op_sel_hi:[1,1,0] neg_lo:[0,0,1] neg_hi:[0,0,1]
	v_mov_b32_e32 v9, v221
	v_pk_mul_f32 v[220:221], v[228:229], v[2:3] op_sel:[0,1]
	v_mov_b32_e32 v11, v223
	s_wait_dscnt 0x1
	v_pk_mul_f32 v[222:223], v[210:211], v[2:3] op_sel:[0,1]
	v_pk_add_f32 v[106:107], v[106:107], v[218:219] neg_lo:[0,1] neg_hi:[0,1]
	v_pk_add_f32 v[104:105], v[104:105], v[8:9] neg_lo:[0,1] neg_hi:[0,1]
	v_pk_fma_f32 v[8:9], v[228:229], v[0:1], v[220:221] op_sel:[0,0,1] op_sel_hi:[1,0,0]
	v_pk_add_f32 v[102:103], v[102:103], v[10:11] neg_lo:[0,1] neg_hi:[0,1]
	v_pk_fma_f32 v[10:11], v[228:229], v[0:1], v[220:221] op_sel:[0,0,1] op_sel_hi:[1,1,0] neg_lo:[0,0,1] neg_hi:[0,0,1]
	v_pk_fma_f32 v[224:225], v[210:211], v[0:1], v[222:223] op_sel:[0,0,1] op_sel_hi:[1,0,0]
	ds_load_2addr_b64 v[218:221], v6 offset0:32 offset1:33
	v_mov_b32_e32 v11, v9
	v_pk_fma_f32 v[8:9], v[210:211], v[0:1], v[222:223] op_sel:[0,0,1] op_sel_hi:[1,1,0] neg_lo:[0,0,1] neg_hi:[0,0,1]
	v_pk_mul_f32 v[226:227], v[212:213], v[2:3] op_sel:[0,1]
	v_mov_b32_e32 v9, v225
	ds_load_2addr_b64 v[222:225], v6 offset0:34 offset1:35
	s_wait_dscnt 0x2
	v_pk_mul_f32 v[210:211], v[214:215], v[2:3] op_sel:[0,1]
	v_pk_add_f32 v[100:101], v[100:101], v[10:11] neg_lo:[0,1] neg_hi:[0,1]
	v_pk_fma_f32 v[228:229], v[212:213], v[0:1], v[226:227] op_sel:[0,0,1] op_sel_hi:[1,0,0]
	v_pk_add_f32 v[128:129], v[128:129], v[8:9] neg_lo:[0,1] neg_hi:[0,1]
	v_pk_fma_f32 v[8:9], v[212:213], v[0:1], v[226:227] op_sel:[0,0,1] op_sel_hi:[1,1,0] neg_lo:[0,0,1] neg_hi:[0,0,1]
	v_pk_fma_f32 v[10:11], v[214:215], v[0:1], v[210:211] op_sel:[0,0,1] op_sel_hi:[1,0,0]
	v_pk_fma_f32 v[210:211], v[214:215], v[0:1], v[210:211] op_sel:[0,0,1] op_sel_hi:[1,1,0] neg_lo:[0,0,1] neg_hi:[0,0,1]
	v_dual_mov_b32 v9, v229 :: v_dual_mov_b32 v10, v217
	s_delay_alu instid0(VALU_DEP_3) | instskip(SKIP_1) | instid1(VALU_DEP_3)
	v_dual_mul_f32 v212, v217, v3 :: v_dual_mov_b32 v211, v11
	v_dual_mov_b32 v11, v216 :: v_dual_mul_f32 v214, v217, v0
	v_pk_add_f32 v[124:125], v[124:125], v[8:9] neg_lo:[0,1] neg_hi:[0,1]
	s_wait_dscnt 0x1
	v_pk_mul_f32 v[8:9], v[218:219], v[2:3] op_sel:[0,1]
	v_pk_add_f32 v[126:127], v[126:127], v[210:211] neg_lo:[0,1] neg_hi:[0,1]
	v_pk_fma_f32 v[226:227], v[216:217], v[116:117], v[212:213] op_sel_hi:[1,1,0] neg_lo:[0,0,1] neg_hi:[0,0,1]
	ds_load_2addr_b64 v[210:213], v6 offset0:36 offset1:37
	v_pk_fma_f32 v[10:11], v[10:11], v[116:117], v[214:215] op_sel_hi:[1,1,0]
	v_pk_mul_f32 v[214:215], v[220:221], v[2:3] op_sel:[0,1]
	v_pk_fma_f32 v[216:217], v[218:219], v[0:1], v[8:9] op_sel:[0,0,1] op_sel_hi:[1,0,0]
	s_wait_dscnt 0x1
	v_pk_mul_f32 v[228:229], v[222:223], v[2:3] op_sel:[0,1]
	v_pk_fma_f32 v[8:9], v[218:219], v[0:1], v[8:9] op_sel:[0,0,1] op_sel_hi:[1,1,0] neg_lo:[0,0,1] neg_hi:[0,0,1]
	v_mov_b32_e32 v227, v11
	v_pk_fma_f32 v[10:11], v[220:221], v[0:1], v[214:215] op_sel:[0,0,1] op_sel_hi:[1,0,0]
	v_mov_b32_e32 v9, v217
	v_pk_fma_f32 v[218:219], v[222:223], v[0:1], v[228:229] op_sel:[0,0,1] op_sel_hi:[1,0,0]
	v_pk_fma_f32 v[220:221], v[220:221], v[0:1], v[214:215] op_sel:[0,0,1] op_sel_hi:[1,1,0] neg_lo:[0,0,1] neg_hi:[0,0,1]
	ds_load_2addr_b64 v[214:217], v6 offset0:38 offset1:39
	v_mov_b32_e32 v221, v11
	v_pk_fma_f32 v[10:11], v[222:223], v[0:1], v[228:229] op_sel:[0,0,1] op_sel_hi:[1,1,0] neg_lo:[0,0,1] neg_hi:[0,0,1]
	v_mov_b32_e32 v11, v219
	v_pk_mul_f32 v[218:219], v[224:225], v[2:3] op_sel:[0,1]
	v_pk_add_f32 v[146:147], v[146:147], v[8:9] neg_lo:[0,1] neg_hi:[0,1]
	v_pk_add_f32 v[142:143], v[142:143], v[220:221] neg_lo:[0,1] neg_hi:[0,1]
	ds_load_b64 v[228:229], v6 offset:336
	v_pk_add_f32 v[144:145], v[144:145], v[10:11] neg_lo:[0,1] neg_hi:[0,1]
	v_pk_fma_f32 v[8:9], v[224:225], v[0:1], v[218:219] op_sel:[0,0,1] op_sel_hi:[1,1,0] neg_lo:[0,0,1] neg_hi:[0,0,1]
	v_pk_fma_f32 v[10:11], v[224:225], v[0:1], v[218:219] op_sel:[0,0,1] op_sel_hi:[1,0,0]
	ds_load_2addr_b64 v[218:221], v6 offset0:40 offset1:41
	s_wait_dscnt 0x3
	v_dual_mul_f32 v10, v211, v0 :: v_dual_mul_f32 v224, v211, v3
	v_pk_mul_f32 v[222:223], v[212:213], v[2:3] op_sel:[0,1]
	v_mov_b32_e32 v9, v11
	v_pk_add_f32 v[122:123], v[122:123], v[226:227] neg_lo:[0,1] neg_hi:[0,1]
	s_delay_alu instid0(VALU_DEP_4)
	v_pk_fma_f32 v[10:11], v[210:211], v[116:117], v[10:11] op_sel:[1,0,0] op_sel_hi:[0,1,0]
	v_pk_fma_f32 v[210:211], v[210:211], v[116:117], v[224:225] op_sel_hi:[1,1,0] neg_lo:[0,0,1] neg_hi:[0,0,1]
	v_pk_fma_f32 v[226:227], v[212:213], v[0:1], v[222:223] op_sel:[0,0,1] op_sel_hi:[1,0,0]
	s_wait_dscnt 0x2
	v_pk_mul_f32 v[224:225], v[214:215], v[2:3] op_sel:[0,1]
	v_pk_add_f32 v[118:119], v[118:119], v[242:243] neg_lo:[0,1] neg_hi:[0,1]
	v_mov_b32_e32 v211, v11
	v_pk_fma_f32 v[10:11], v[212:213], v[0:1], v[222:223] op_sel:[0,0,1] op_sel_hi:[1,1,0] neg_lo:[0,0,1] neg_hi:[0,0,1]
	v_mov_b32_e32 v11, v227
	v_pk_mul_f32 v[212:213], v[216:217], v[2:3] op_sel:[0,1]
	v_pk_add_f32 v[140:141], v[140:141], v[8:9] neg_lo:[0,1] neg_hi:[0,1]
	v_pk_fma_f32 v[8:9], v[214:215], v[0:1], v[224:225] op_sel:[0,0,1] op_sel_hi:[1,0,0]
	v_pk_add_f32 v[166:167], v[166:167], v[210:211] neg_lo:[0,1] neg_hi:[0,1]
	v_pk_add_f32 v[160:161], v[160:161], v[10:11] neg_lo:[0,1] neg_hi:[0,1]
	v_pk_fma_f32 v[10:11], v[214:215], v[0:1], v[224:225] op_sel:[0,0,1] op_sel_hi:[1,1,0] neg_lo:[0,0,1] neg_hi:[0,0,1]
	v_pk_fma_f32 v[210:211], v[216:217], v[0:1], v[212:213] op_sel:[0,0,1] op_sel_hi:[1,0,0]
	v_mov_b32_e32 v11, v9
	v_pk_fma_f32 v[8:9], v[216:217], v[0:1], v[212:213] op_sel:[0,0,1] op_sel_hi:[1,1,0] neg_lo:[0,0,1] neg_hi:[0,0,1]
	s_wait_dscnt 0x0
	v_pk_mul_f32 v[212:213], v[218:219], v[2:3] op_sel:[0,1]
	v_dual_mov_b32 v214, v221 :: v_dual_mov_b32 v215, v220
	v_mul_f32_e32 v210, v221, v0
	v_pk_mul_f32 v[216:217], v[228:229], v[2:3] op_sel:[0,1]
	v_dual_mul_f32 v2, v221, v3 :: v_dual_mov_b32 v9, v211
	v_pk_fma_f32 v[222:223], v[218:219], v[0:1], v[212:213] op_sel:[0,0,1] op_sel_hi:[1,0,0]
	s_delay_alu instid0(VALU_DEP_4) | instskip(NEXT) | instid1(VALU_DEP_4)
	v_pk_fma_f32 v[210:211], v[214:215], v[116:117], v[210:211] op_sel_hi:[1,1,0]
	v_pk_fma_f32 v[214:215], v[228:229], v[0:1], v[216:217] op_sel:[0,0,1] op_sel_hi:[1,0,0]
	v_pk_fma_f32 v[212:213], v[218:219], v[0:1], v[212:213] op_sel:[0,0,1] op_sel_hi:[1,1,0] neg_lo:[0,0,1] neg_hi:[0,0,1]
	v_pk_fma_f32 v[2:3], v[220:221], v[116:117], v[2:3] op_sel_hi:[1,1,0] neg_lo:[0,0,1] neg_hi:[0,0,1]
	v_pk_fma_f32 v[0:1], v[228:229], v[0:1], v[216:217] op_sel:[0,0,1] op_sel_hi:[1,1,0] neg_lo:[0,0,1] neg_hi:[0,0,1]
	v_dual_mov_b32 v213, v223 :: v_dual_mov_b32 v3, v211
	v_mov_b32_e32 v1, v215
	v_pk_add_f32 v[164:165], v[164:165], v[10:11] neg_lo:[0,1] neg_hi:[0,1]
	v_pk_add_f32 v[158:159], v[158:159], v[8:9] neg_lo:[0,1] neg_hi:[0,1]
	s_delay_alu instid0(VALU_DEP_4)
	v_pk_add_f32 v[162:163], v[162:163], v[212:213] neg_lo:[0,1] neg_hi:[0,1]
	v_pk_add_f32 v[168:169], v[168:169], v[2:3] neg_lo:[0,1] neg_hi:[0,1]
	;; [unrolled: 1-line block ×3, first 2 shown]
.LBB85_163:
	s_or_b32 exec_lo, exec_lo, s1
	s_delay_alu instid0(SALU_CYCLE_1)
	s_mov_b32 s2, exec_lo
	s_wait_dscnt 0x0
	s_barrier_signal -1
	s_barrier_wait -1
	v_cmpx_eq_u32_e32 18, v32
	s_cbranch_execz .LBB85_170
; %bb.164:
	ds_store_b64 v33, v[118:119]
	ds_store_2addr_b64 v6, v[54:55], v[84:85] offset0:19 offset1:20
	ds_store_2addr_b64 v6, v[80:81], v[82:83] offset0:21 offset1:22
	;; [unrolled: 1-line block ×12, first 2 shown]
	ds_load_b64 v[0:1], v33
	s_wait_dscnt 0x0
	v_cmp_neq_f32_e32 vcc_lo, 0, v0
	v_cmp_neq_f32_e64 s1, 0, v1
	s_or_b32 s1, vcc_lo, s1
	s_delay_alu instid0(SALU_CYCLE_1)
	s_and_b32 exec_lo, exec_lo, s1
	s_cbranch_execz .LBB85_170
; %bb.165:
	v_cmp_ngt_f32_e64 s1, |v0|, |v1|
                                        ; implicit-def: $vgpr2_vgpr3
	s_and_saveexec_b32 s4, s1
	s_delay_alu instid0(SALU_CYCLE_1)
	s_xor_b32 s1, exec_lo, s4
	s_cbranch_execz .LBB85_167
; %bb.166:
	v_div_scale_f32 v2, null, v1, v1, v0
	v_div_scale_f32 v8, vcc_lo, v0, v1, v0
	s_delay_alu instid0(VALU_DEP_2) | instskip(SKIP_1) | instid1(TRANS32_DEP_1)
	v_rcp_f32_e32 v3, v2
	v_nop
	v_fma_f32 v7, -v2, v3, 1.0
	s_delay_alu instid0(VALU_DEP_1) | instskip(NEXT) | instid1(VALU_DEP_1)
	v_fmac_f32_e32 v3, v7, v3
	v_mul_f32_e32 v7, v8, v3
	s_delay_alu instid0(VALU_DEP_1) | instskip(NEXT) | instid1(VALU_DEP_1)
	v_fma_f32 v9, -v2, v7, v8
	v_fmac_f32_e32 v7, v9, v3
	s_delay_alu instid0(VALU_DEP_1) | instskip(NEXT) | instid1(VALU_DEP_1)
	v_fma_f32 v2, -v2, v7, v8
	v_div_fmas_f32 v2, v2, v3, v7
	s_delay_alu instid0(VALU_DEP_1) | instskip(NEXT) | instid1(VALU_DEP_1)
	v_div_fixup_f32 v2, v2, v1, v0
	v_fmac_f32_e32 v1, v0, v2
	s_delay_alu instid0(VALU_DEP_1) | instskip(SKIP_1) | instid1(VALU_DEP_2)
	v_div_scale_f32 v0, null, v1, v1, 1.0
	v_div_scale_f32 v8, vcc_lo, 1.0, v1, 1.0
	v_rcp_f32_e32 v3, v0
	v_nop
	s_delay_alu instid0(TRANS32_DEP_1) | instskip(NEXT) | instid1(VALU_DEP_1)
	v_fma_f32 v7, -v0, v3, 1.0
	v_fmac_f32_e32 v3, v7, v3
	s_delay_alu instid0(VALU_DEP_1) | instskip(NEXT) | instid1(VALU_DEP_1)
	v_mul_f32_e32 v7, v8, v3
	v_fma_f32 v9, -v0, v7, v8
	s_delay_alu instid0(VALU_DEP_1) | instskip(NEXT) | instid1(VALU_DEP_1)
	v_fmac_f32_e32 v7, v9, v3
	v_fma_f32 v0, -v0, v7, v8
	s_delay_alu instid0(VALU_DEP_1) | instskip(NEXT) | instid1(VALU_DEP_1)
	v_div_fmas_f32 v0, v0, v3, v7
	v_div_fixup_f32 v0, v0, v1, 1.0
	s_delay_alu instid0(VALU_DEP_1)
	v_mul_f32_e32 v2, v2, v0
	v_xor_b32_e32 v3, 0x80000000, v0
                                        ; implicit-def: $vgpr0_vgpr1
.LBB85_167:
	s_and_not1_saveexec_b32 s1, s1
	s_cbranch_execz .LBB85_169
; %bb.168:
	v_div_scale_f32 v2, null, v0, v0, v1
	v_div_scale_f32 v8, vcc_lo, v1, v0, v1
	s_delay_alu instid0(VALU_DEP_2) | instskip(SKIP_1) | instid1(TRANS32_DEP_1)
	v_rcp_f32_e32 v3, v2
	v_nop
	v_fma_f32 v7, -v2, v3, 1.0
	s_delay_alu instid0(VALU_DEP_1) | instskip(NEXT) | instid1(VALU_DEP_1)
	v_fmac_f32_e32 v3, v7, v3
	v_mul_f32_e32 v7, v8, v3
	s_delay_alu instid0(VALU_DEP_1) | instskip(NEXT) | instid1(VALU_DEP_1)
	v_fma_f32 v9, -v2, v7, v8
	v_fmac_f32_e32 v7, v9, v3
	s_delay_alu instid0(VALU_DEP_1) | instskip(NEXT) | instid1(VALU_DEP_1)
	v_fma_f32 v2, -v2, v7, v8
	v_div_fmas_f32 v2, v2, v3, v7
	s_delay_alu instid0(VALU_DEP_1) | instskip(NEXT) | instid1(VALU_DEP_1)
	v_div_fixup_f32 v3, v2, v0, v1
	v_fmac_f32_e32 v0, v1, v3
	s_delay_alu instid0(VALU_DEP_1) | instskip(NEXT) | instid1(VALU_DEP_1)
	v_div_scale_f32 v1, null, v0, v0, 1.0
	v_rcp_f32_e32 v2, v1
	v_nop
	s_delay_alu instid0(TRANS32_DEP_1) | instskip(NEXT) | instid1(VALU_DEP_1)
	v_fma_f32 v7, -v1, v2, 1.0
	v_fmac_f32_e32 v2, v7, v2
	v_div_scale_f32 v7, vcc_lo, 1.0, v0, 1.0
	s_delay_alu instid0(VALU_DEP_1) | instskip(NEXT) | instid1(VALU_DEP_1)
	v_mul_f32_e32 v8, v7, v2
	v_fma_f32 v9, -v1, v8, v7
	s_delay_alu instid0(VALU_DEP_1) | instskip(NEXT) | instid1(VALU_DEP_1)
	v_fmac_f32_e32 v8, v9, v2
	v_fma_f32 v1, -v1, v8, v7
	s_delay_alu instid0(VALU_DEP_1) | instskip(NEXT) | instid1(VALU_DEP_1)
	v_div_fmas_f32 v1, v1, v2, v8
	v_div_fixup_f32 v2, v1, v0, 1.0
	s_delay_alu instid0(VALU_DEP_1)
	v_mul_f32_e64 v3, v3, -v2
.LBB85_169:
	s_or_b32 exec_lo, exec_lo, s1
	ds_store_b64 v33, v[2:3]
.LBB85_170:
	s_or_b32 exec_lo, exec_lo, s2
	s_wait_dscnt 0x0
	s_barrier_signal -1
	s_barrier_wait -1
	ds_load_b64 v[210:211], v33
	s_mov_b32 s1, exec_lo
	v_cmpx_lt_u32_e32 18, v32
	s_cbranch_execz .LBB85_172
; %bb.171:
	ds_load_2addr_b64 v[212:215], v6 offset0:19 offset1:20
	ds_load_2addr_b64 v[216:219], v6 offset0:21 offset1:22
	;; [unrolled: 1-line block ×3, first 2 shown]
	s_wait_dscnt 0x3
	v_pk_mul_f32 v[2:3], v[210:211], v[118:119] op_sel:[1,1] op_sel_hi:[0,1]
	ds_load_2addr_b64 v[224:227], v6 offset0:25 offset1:26
	ds_load_2addr_b64 v[228:231], v6 offset0:27 offset1:28
	v_pk_fma_f32 v[0:1], v[210:211], v[118:119], v[2:3] op_sel_hi:[1,0,1] neg_lo:[0,0,1] neg_hi:[0,0,1]
	v_pk_fma_f32 v[2:3], v[210:211], v[118:119], v[2:3] op_sel_hi:[1,0,1]
	s_delay_alu instid0(VALU_DEP_1) | instskip(SKIP_1) | instid1(VALU_DEP_2)
	v_dual_mov_b32 v118, v0 :: v_dual_mov_b32 v119, v3
	s_wait_dscnt 0x4
	v_pk_mul_f32 v[8:9], v[212:213], v[2:3] op_sel:[0,1]
	v_pk_mul_f32 v[10:11], v[214:215], v[2:3] op_sel:[0,1]
	s_wait_dscnt 0x3
	v_pk_mul_f32 v[232:233], v[216:217], v[2:3] op_sel:[0,1]
	v_dual_mov_b32 v234, v219 :: v_dual_mov_b32 v235, v218
	v_dual_mul_f32 v236, v219, v3 :: v_dual_mul_f32 v238, v219, v0
	v_pk_fma_f32 v[244:245], v[212:213], v[0:1], v[8:9] op_sel:[0,0,1] op_sel_hi:[1,1,0] neg_lo:[0,0,1] neg_hi:[0,0,1]
	v_pk_fma_f32 v[8:9], v[212:213], v[0:1], v[8:9] op_sel:[0,0,1] op_sel_hi:[1,0,0]
	v_pk_fma_f32 v[212:213], v[214:215], v[0:1], v[10:11] op_sel:[0,0,1] op_sel_hi:[1,1,0] neg_lo:[0,0,1] neg_hi:[0,0,1]
	v_pk_fma_f32 v[10:11], v[214:215], v[0:1], v[10:11] op_sel:[0,0,1] op_sel_hi:[1,0,0]
	;; [unrolled: 2-line block ×3, first 2 shown]
	s_wait_dscnt 0x2
	v_pk_mul_f32 v[240:241], v[220:221], v[2:3] op_sel:[0,1]
	v_pk_mul_f32 v[242:243], v[222:223], v[2:3] op_sel:[0,1]
	v_pk_fma_f32 v[232:233], v[234:235], v[118:119], v[238:239] op_sel_hi:[1,1,0]
	v_dual_mov_b32 v245, v9 :: v_dual_mov_b32 v213, v11
	v_mov_b32_e32 v215, v217
	v_pk_fma_f32 v[8:9], v[220:221], v[0:1], v[240:241] op_sel:[0,0,1] op_sel_hi:[1,0,0]
	v_pk_fma_f32 v[218:219], v[218:219], v[118:119], v[236:237] op_sel_hi:[1,1,0] neg_lo:[0,0,1] neg_hi:[0,0,1]
	v_pk_fma_f32 v[10:11], v[222:223], v[0:1], v[242:243] op_sel:[0,0,1] op_sel_hi:[1,0,0]
	v_mov_b32_e32 v219, v233
	v_pk_add_f32 v[84:85], v[84:85], v[212:213] neg_lo:[0,1] neg_hi:[0,1]
	v_pk_add_f32 v[80:81], v[80:81], v[214:215] neg_lo:[0,1] neg_hi:[0,1]
	s_wait_dscnt 0x1
	v_pk_mul_f32 v[216:217], v[224:225], v[2:3] op_sel:[0,1]
	ds_load_2addr_b64 v[212:215], v6 offset0:29 offset1:30
	v_pk_fma_f32 v[234:235], v[220:221], v[0:1], v[240:241] op_sel:[0,0,1] op_sel_hi:[1,1,0] neg_lo:[0,0,1] neg_hi:[0,0,1]
	v_mov_b32_e32 v235, v9
	v_pk_fma_f32 v[8:9], v[222:223], v[0:1], v[242:243] op_sel:[0,0,1] op_sel_hi:[1,1,0] neg_lo:[0,0,1] neg_hi:[0,0,1]
	v_mov_b32_e32 v9, v11
	v_pk_mul_f32 v[10:11], v[226:227], v[2:3] op_sel:[0,1]
	v_pk_add_f32 v[82:83], v[82:83], v[218:219] neg_lo:[0,1] neg_hi:[0,1]
	v_pk_fma_f32 v[218:219], v[224:225], v[0:1], v[216:217] op_sel:[0,0,1] op_sel_hi:[1,0,0]
	v_pk_fma_f32 v[220:221], v[224:225], v[0:1], v[216:217] op_sel:[0,0,1] op_sel_hi:[1,1,0] neg_lo:[0,0,1] neg_hi:[0,0,1]
	v_pk_add_f32 v[106:107], v[106:107], v[8:9] neg_lo:[0,1] neg_hi:[0,1]
	v_pk_fma_f32 v[8:9], v[226:227], v[0:1], v[10:11] op_sel:[0,0,1] op_sel_hi:[1,0,0]
	s_wait_dscnt 0x1
	v_dual_mul_f32 v8, v229, v0 :: v_dual_mov_b32 v221, v219
	ds_load_2addr_b64 v[216:219], v6 offset0:31 offset1:32
	v_pk_fma_f32 v[10:11], v[226:227], v[0:1], v[10:11] op_sel:[0,0,1] op_sel_hi:[1,1,0] neg_lo:[0,0,1] neg_hi:[0,0,1]
	v_mul_f32_e32 v222, v229, v3
	v_mov_b32_e32 v11, v9
	v_pk_fma_f32 v[8:9], v[228:229], v[118:119], v[8:9] op_sel:[1,0,0] op_sel_hi:[0,1,0]
	v_pk_add_f32 v[102:103], v[102:103], v[220:221] neg_lo:[0,1] neg_hi:[0,1]
	v_pk_add_f32 v[54:55], v[54:55], v[244:245] neg_lo:[0,1] neg_hi:[0,1]
	v_pk_fma_f32 v[224:225], v[228:229], v[118:119], v[222:223] op_sel_hi:[1,1,0] neg_lo:[0,0,1] neg_hi:[0,0,1]
	s_wait_dscnt 0x1
	v_pk_mul_f32 v[226:227], v[212:213], v[2:3] op_sel:[0,1]
	v_mov_b32_e32 v225, v9
	v_pk_add_f32 v[104:105], v[104:105], v[10:11] neg_lo:[0,1] neg_hi:[0,1]
	v_pk_mul_f32 v[10:11], v[230:231], v[2:3] op_sel:[0,1]
	v_pk_mul_f32 v[8:9], v[214:215], v[2:3] op_sel:[0,1]
	ds_load_2addr_b64 v[220:223], v6 offset0:33 offset1:34
	v_pk_add_f32 v[100:101], v[100:101], v[224:225] neg_lo:[0,1] neg_hi:[0,1]
	v_pk_add_f32 v[78:79], v[78:79], v[234:235] neg_lo:[0,1] neg_hi:[0,1]
	v_pk_fma_f32 v[228:229], v[230:231], v[0:1], v[10:11] op_sel:[0,0,1] op_sel_hi:[1,0,0]
	v_pk_fma_f32 v[10:11], v[230:231], v[0:1], v[10:11] op_sel:[0,0,1] op_sel_hi:[1,1,0] neg_lo:[0,0,1] neg_hi:[0,0,1]
	v_pk_fma_f32 v[230:231], v[212:213], v[0:1], v[226:227] op_sel:[0,0,1] op_sel_hi:[1,0,0]
	v_pk_fma_f32 v[232:233], v[214:215], v[0:1], v[8:9] op_sel:[0,0,1] op_sel_hi:[1,0,0]
	v_pk_fma_f32 v[212:213], v[212:213], v[0:1], v[226:227] op_sel:[0,0,1] op_sel_hi:[1,1,0] neg_lo:[0,0,1] neg_hi:[0,0,1]
	v_pk_fma_f32 v[8:9], v[214:215], v[0:1], v[8:9] op_sel:[0,0,1] op_sel_hi:[1,1,0] neg_lo:[0,0,1] neg_hi:[0,0,1]
	s_wait_dscnt 0x1
	v_pk_mul_f32 v[226:227], v[216:217], v[2:3] op_sel:[0,1]
	v_dual_mov_b32 v213, v231 :: v_dual_mov_b32 v9, v233
	v_mov_b32_e32 v11, v229
	s_delay_alu instid0(VALU_DEP_2)
	v_pk_add_f32 v[124:125], v[124:125], v[212:213] neg_lo:[0,1] neg_hi:[0,1]
	ds_load_2addr_b64 v[212:215], v6 offset0:35 offset1:36
	v_pk_add_f32 v[126:127], v[126:127], v[8:9] neg_lo:[0,1] neg_hi:[0,1]
	v_pk_fma_f32 v[8:9], v[216:217], v[0:1], v[226:227] op_sel:[0,0,1] op_sel_hi:[1,0,0]
	v_pk_add_f32 v[128:129], v[128:129], v[10:11] neg_lo:[0,1] neg_hi:[0,1]
	v_dual_mov_b32 v10, v219 :: v_dual_mov_b32 v11, v218
	v_mul_f32_e32 v8, v219, v0
	v_pk_fma_f32 v[216:217], v[216:217], v[0:1], v[226:227] op_sel:[0,0,1] op_sel_hi:[1,1,0] neg_lo:[0,0,1] neg_hi:[0,0,1]
	v_mov_b32_e32 v217, v9
	s_wait_dscnt 0x1
	v_pk_mul_f32 v[230:231], v[220:221], v[2:3] op_sel:[0,1]
	ds_load_2addr_b64 v[224:227], v6 offset0:37 offset1:38
	v_pk_fma_f32 v[8:9], v[10:11], v[118:119], v[8:9] op_sel_hi:[1,1,0]
	v_mul_f32_e32 v228, v219, v3
	v_pk_mul_f32 v[10:11], v[222:223], v[2:3] op_sel:[0,1]
	v_pk_add_f32 v[122:123], v[122:123], v[216:217] neg_lo:[0,1] neg_hi:[0,1]
	v_pk_fma_f32 v[216:217], v[220:221], v[0:1], v[230:231] op_sel:[0,0,1] op_sel_hi:[1,0,0]
	v_pk_fma_f32 v[220:221], v[220:221], v[0:1], v[230:231] op_sel:[0,0,1] op_sel_hi:[1,1,0] neg_lo:[0,0,1] neg_hi:[0,0,1]
	v_pk_fma_f32 v[228:229], v[218:219], v[118:119], v[228:229] op_sel_hi:[1,1,0] neg_lo:[0,0,1] neg_hi:[0,0,1]
	v_mov_b32_e32 v229, v9
	v_pk_fma_f32 v[8:9], v[222:223], v[0:1], v[10:11] op_sel:[0,0,1] op_sel_hi:[1,0,0]
	v_mov_b32_e32 v221, v217
	ds_load_2addr_b64 v[216:219], v6 offset0:39 offset1:40
	v_pk_fma_f32 v[10:11], v[222:223], v[0:1], v[10:11] op_sel:[0,0,1] op_sel_hi:[1,1,0] neg_lo:[0,0,1] neg_hi:[0,0,1]
	v_pk_add_f32 v[146:147], v[146:147], v[228:229] neg_lo:[0,1] neg_hi:[0,1]
	v_mov_b32_e32 v11, v9
	s_wait_dscnt 0x2
	v_pk_mul_f32 v[8:9], v[212:213], v[2:3] op_sel:[0,1]
	v_pk_mul_f32 v[228:229], v[214:215], v[2:3] op_sel:[0,1]
	v_pk_add_f32 v[142:143], v[142:143], v[220:221] neg_lo:[0,1] neg_hi:[0,1]
	ds_load_2addr_b64 v[220:223], v6 offset0:41 offset1:42
	v_pk_add_f32 v[144:145], v[144:145], v[10:11] neg_lo:[0,1] neg_hi:[0,1]
	v_pk_fma_f32 v[10:11], v[212:213], v[0:1], v[8:9] op_sel:[0,0,1] op_sel_hi:[1,0,0]
	s_wait_dscnt 0x2
	v_mul_f32_e32 v10, v225, v0
	v_pk_fma_f32 v[8:9], v[212:213], v[0:1], v[8:9] op_sel:[0,0,1] op_sel_hi:[1,1,0] neg_lo:[0,0,1] neg_hi:[0,0,1]
	v_pk_fma_f32 v[212:213], v[214:215], v[0:1], v[228:229] op_sel:[0,0,1] op_sel_hi:[1,0,0]
	v_pk_fma_f32 v[214:215], v[214:215], v[0:1], v[228:229] op_sel:[0,0,1] op_sel_hi:[1,1,0] neg_lo:[0,0,1] neg_hi:[0,0,1]
	v_mov_b32_e32 v9, v11
	v_pk_fma_f32 v[10:11], v[224:225], v[118:119], v[10:11] op_sel:[1,0,0] op_sel_hi:[0,1,0]
	v_mul_f32_e32 v212, v225, v3
	v_pk_mul_f32 v[228:229], v[226:227], v[2:3] op_sel:[0,1]
	s_delay_alu instid0(VALU_DEP_4) | instskip(NEXT) | instid1(VALU_DEP_2)
	v_pk_add_f32 v[140:141], v[140:141], v[8:9] neg_lo:[0,1] neg_hi:[0,1]
	v_pk_fma_f32 v[8:9], v[226:227], v[0:1], v[228:229] op_sel:[0,0,1] op_sel_hi:[1,0,0]
	v_mov_b32_e32 v215, v213
	v_pk_fma_f32 v[212:213], v[224:225], v[118:119], v[212:213] op_sel_hi:[1,1,0] neg_lo:[0,0,1] neg_hi:[0,0,1]
	s_wait_dscnt 0x1
	v_pk_mul_f32 v[224:225], v[216:217], v[2:3] op_sel:[0,1]
	v_mov_b32_e32 v213, v11
	s_delay_alu instid0(VALU_DEP_2) | instskip(NEXT) | instid1(VALU_DEP_2)
	v_pk_fma_f32 v[10:11], v[216:217], v[0:1], v[224:225] op_sel:[0,0,1] op_sel_hi:[1,0,0]
	v_pk_add_f32 v[160:161], v[160:161], v[212:213] neg_lo:[0,1] neg_hi:[0,1]
	v_pk_fma_f32 v[212:213], v[226:227], v[0:1], v[228:229] op_sel:[0,0,1] op_sel_hi:[1,1,0] neg_lo:[0,0,1] neg_hi:[0,0,1]
	v_mov_b32_e32 v213, v9
	v_pk_fma_f32 v[8:9], v[216:217], v[0:1], v[224:225] op_sel:[0,0,1] op_sel_hi:[1,1,0] neg_lo:[0,0,1] neg_hi:[0,0,1]
	v_pk_add_f32 v[166:167], v[166:167], v[214:215] neg_lo:[0,1] neg_hi:[0,1]
	s_wait_dscnt 0x0
	v_dual_mov_b32 v9, v11 :: v_dual_mov_b32 v216, v223
	v_pk_mul_f32 v[10:11], v[218:219], v[2:3] op_sel:[0,1]
	v_pk_mul_f32 v[214:215], v[220:221], v[2:3] op_sel:[0,1]
	v_dual_mov_b32 v217, v222 :: v_dual_mul_f32 v2, v223, v0
	v_pk_add_f32 v[164:165], v[164:165], v[212:213] neg_lo:[0,1] neg_hi:[0,1]
	s_delay_alu instid0(VALU_DEP_4)
	v_pk_fma_f32 v[224:225], v[218:219], v[0:1], v[10:11] op_sel:[0,0,1] op_sel_hi:[1,0,0]
	v_pk_fma_f32 v[10:11], v[218:219], v[0:1], v[10:11] op_sel:[0,0,1] op_sel_hi:[1,1,0] neg_lo:[0,0,1] neg_hi:[0,0,1]
	v_pk_fma_f32 v[218:219], v[220:221], v[0:1], v[214:215] op_sel:[0,0,1] op_sel_hi:[1,0,0]
	v_mul_f32_e32 v218, v223, v3
	v_pk_fma_f32 v[2:3], v[216:217], v[118:119], v[2:3] op_sel_hi:[1,1,0]
	v_mov_b32_e32 v11, v225
	v_pk_fma_f32 v[0:1], v[220:221], v[0:1], v[214:215] op_sel:[0,0,1] op_sel_hi:[1,1,0] neg_lo:[0,0,1] neg_hi:[0,0,1]
	v_mov_b32_e32 v1, v219
	v_pk_fma_f32 v[214:215], v[222:223], v[118:119], v[218:219] op_sel_hi:[1,1,0] neg_lo:[0,0,1] neg_hi:[0,0,1]
	v_mov_b32_e32 v215, v3
	v_pk_add_f32 v[158:159], v[158:159], v[8:9] neg_lo:[0,1] neg_hi:[0,1]
	v_pk_add_f32 v[162:163], v[162:163], v[10:11] neg_lo:[0,1] neg_hi:[0,1]
	;; [unrolled: 1-line block ×3, first 2 shown]
	s_delay_alu instid0(VALU_DEP_4)
	v_pk_add_f32 v[170:171], v[170:171], v[214:215] neg_lo:[0,1] neg_hi:[0,1]
.LBB85_172:
	s_or_b32 exec_lo, exec_lo, s1
	s_delay_alu instid0(SALU_CYCLE_1)
	s_mov_b32 s2, exec_lo
	s_wait_dscnt 0x0
	s_barrier_signal -1
	s_barrier_wait -1
	v_cmpx_eq_u32_e32 19, v32
	s_cbranch_execz .LBB85_179
; %bb.173:
	v_dual_mov_b32 v0, v84 :: v_dual_mov_b32 v1, v85
	v_dual_mov_b32 v2, v80 :: v_dual_mov_b32 v3, v81
	;; [unrolled: 1-line block ×10, first 2 shown]
	ds_store_b64 v33, v[54:55]
	v_dual_mov_b32 v224, v126 :: v_dual_mov_b32 v225, v127
	v_dual_mov_b32 v226, v122 :: v_dual_mov_b32 v227, v123
	ds_store_2addr_b64 v6, v[0:1], v[2:3] offset0:20 offset1:21
	ds_store_2addr_b64 v6, v[8:9], v[10:11] offset0:22 offset1:23
	;; [unrolled: 1-line block ×6, first 2 shown]
	v_dual_mov_b32 v0, v146 :: v_dual_mov_b32 v1, v147
	v_dual_mov_b32 v2, v142 :: v_dual_mov_b32 v3, v143
	;; [unrolled: 1-line block ×10, first 2 shown]
	ds_store_2addr_b64 v6, v[0:1], v[2:3] offset0:32 offset1:33
	ds_store_2addr_b64 v6, v[8:9], v[10:11] offset0:34 offset1:35
	;; [unrolled: 1-line block ×5, first 2 shown]
	ds_store_b64 v6, v[170:171] offset:336
	ds_load_b64 v[0:1], v33
	s_wait_dscnt 0x0
	v_cmp_neq_f32_e32 vcc_lo, 0, v0
	v_cmp_neq_f32_e64 s1, 0, v1
	s_or_b32 s1, vcc_lo, s1
	s_delay_alu instid0(SALU_CYCLE_1)
	s_and_b32 exec_lo, exec_lo, s1
	s_cbranch_execz .LBB85_179
; %bb.174:
	v_cmp_ngt_f32_e64 s1, |v0|, |v1|
                                        ; implicit-def: $vgpr2_vgpr3
	s_and_saveexec_b32 s4, s1
	s_delay_alu instid0(SALU_CYCLE_1)
	s_xor_b32 s1, exec_lo, s4
	s_cbranch_execz .LBB85_176
; %bb.175:
	v_div_scale_f32 v2, null, v1, v1, v0
	v_div_scale_f32 v8, vcc_lo, v0, v1, v0
	s_delay_alu instid0(VALU_DEP_2) | instskip(SKIP_1) | instid1(TRANS32_DEP_1)
	v_rcp_f32_e32 v3, v2
	v_nop
	v_fma_f32 v7, -v2, v3, 1.0
	s_delay_alu instid0(VALU_DEP_1) | instskip(NEXT) | instid1(VALU_DEP_1)
	v_fmac_f32_e32 v3, v7, v3
	v_mul_f32_e32 v7, v8, v3
	s_delay_alu instid0(VALU_DEP_1) | instskip(NEXT) | instid1(VALU_DEP_1)
	v_fma_f32 v9, -v2, v7, v8
	v_fmac_f32_e32 v7, v9, v3
	s_delay_alu instid0(VALU_DEP_1) | instskip(NEXT) | instid1(VALU_DEP_1)
	v_fma_f32 v2, -v2, v7, v8
	v_div_fmas_f32 v2, v2, v3, v7
	s_delay_alu instid0(VALU_DEP_1) | instskip(NEXT) | instid1(VALU_DEP_1)
	v_div_fixup_f32 v2, v2, v1, v0
	v_fmac_f32_e32 v1, v0, v2
	s_delay_alu instid0(VALU_DEP_1) | instskip(SKIP_1) | instid1(VALU_DEP_2)
	v_div_scale_f32 v0, null, v1, v1, 1.0
	v_div_scale_f32 v8, vcc_lo, 1.0, v1, 1.0
	v_rcp_f32_e32 v3, v0
	v_nop
	s_delay_alu instid0(TRANS32_DEP_1) | instskip(NEXT) | instid1(VALU_DEP_1)
	v_fma_f32 v7, -v0, v3, 1.0
	v_fmac_f32_e32 v3, v7, v3
	s_delay_alu instid0(VALU_DEP_1) | instskip(NEXT) | instid1(VALU_DEP_1)
	v_mul_f32_e32 v7, v8, v3
	v_fma_f32 v9, -v0, v7, v8
	s_delay_alu instid0(VALU_DEP_1) | instskip(NEXT) | instid1(VALU_DEP_1)
	v_fmac_f32_e32 v7, v9, v3
	v_fma_f32 v0, -v0, v7, v8
	s_delay_alu instid0(VALU_DEP_1) | instskip(NEXT) | instid1(VALU_DEP_1)
	v_div_fmas_f32 v0, v0, v3, v7
	v_div_fixup_f32 v0, v0, v1, 1.0
	s_delay_alu instid0(VALU_DEP_1)
	v_mul_f32_e32 v2, v2, v0
	v_xor_b32_e32 v3, 0x80000000, v0
                                        ; implicit-def: $vgpr0_vgpr1
.LBB85_176:
	s_and_not1_saveexec_b32 s1, s1
	s_cbranch_execz .LBB85_178
; %bb.177:
	v_div_scale_f32 v2, null, v0, v0, v1
	v_div_scale_f32 v8, vcc_lo, v1, v0, v1
	s_delay_alu instid0(VALU_DEP_2) | instskip(SKIP_1) | instid1(TRANS32_DEP_1)
	v_rcp_f32_e32 v3, v2
	v_nop
	v_fma_f32 v7, -v2, v3, 1.0
	s_delay_alu instid0(VALU_DEP_1) | instskip(NEXT) | instid1(VALU_DEP_1)
	v_fmac_f32_e32 v3, v7, v3
	v_mul_f32_e32 v7, v8, v3
	s_delay_alu instid0(VALU_DEP_1) | instskip(NEXT) | instid1(VALU_DEP_1)
	v_fma_f32 v9, -v2, v7, v8
	v_fmac_f32_e32 v7, v9, v3
	s_delay_alu instid0(VALU_DEP_1) | instskip(NEXT) | instid1(VALU_DEP_1)
	v_fma_f32 v2, -v2, v7, v8
	v_div_fmas_f32 v2, v2, v3, v7
	s_delay_alu instid0(VALU_DEP_1) | instskip(NEXT) | instid1(VALU_DEP_1)
	v_div_fixup_f32 v3, v2, v0, v1
	v_fmac_f32_e32 v0, v1, v3
	s_delay_alu instid0(VALU_DEP_1) | instskip(NEXT) | instid1(VALU_DEP_1)
	v_div_scale_f32 v1, null, v0, v0, 1.0
	v_rcp_f32_e32 v2, v1
	v_nop
	s_delay_alu instid0(TRANS32_DEP_1) | instskip(NEXT) | instid1(VALU_DEP_1)
	v_fma_f32 v7, -v1, v2, 1.0
	v_fmac_f32_e32 v2, v7, v2
	v_div_scale_f32 v7, vcc_lo, 1.0, v0, 1.0
	s_delay_alu instid0(VALU_DEP_1) | instskip(NEXT) | instid1(VALU_DEP_1)
	v_mul_f32_e32 v8, v7, v2
	v_fma_f32 v9, -v1, v8, v7
	s_delay_alu instid0(VALU_DEP_1) | instskip(NEXT) | instid1(VALU_DEP_1)
	v_fmac_f32_e32 v8, v9, v2
	v_fma_f32 v1, -v1, v8, v7
	s_delay_alu instid0(VALU_DEP_1) | instskip(NEXT) | instid1(VALU_DEP_1)
	v_div_fmas_f32 v1, v1, v2, v8
	v_div_fixup_f32 v2, v1, v0, 1.0
	s_delay_alu instid0(VALU_DEP_1)
	v_mul_f32_e64 v3, v3, -v2
.LBB85_178:
	s_or_b32 exec_lo, exec_lo, s1
	ds_store_b64 v33, v[2:3]
.LBB85_179:
	s_or_b32 exec_lo, exec_lo, s2
	s_wait_dscnt 0x0
	s_barrier_signal -1
	s_barrier_wait -1
	ds_load_b64 v[212:213], v33
	s_mov_b32 s1, exec_lo
	v_cmpx_lt_u32_e32 19, v32
	s_cbranch_execz .LBB85_181
; %bb.180:
	s_wait_dscnt 0x0
	v_pk_mul_f32 v[0:1], v[212:213], v[54:55] op_sel:[1,1] op_sel_hi:[0,1]
	s_delay_alu instid0(VALU_DEP_1)
	v_pk_fma_f32 v[214:215], v[212:213], v[54:55], v[0:1] op_sel_hi:[1,0,1] neg_lo:[0,0,1] neg_hi:[0,0,1]
	v_pk_fma_f32 v[216:217], v[212:213], v[54:55], v[0:1] op_sel_hi:[1,0,1]
	ds_load_2addr_b64 v[0:3], v6 offset0:20 offset1:21
	v_dual_mov_b32 v54, v214 :: v_dual_mov_b32 v55, v217
	s_wait_dscnt 0x0
	v_pk_mul_f32 v[8:9], v[0:1], v[216:217] op_sel:[0,1]
	s_delay_alu instid0(VALU_DEP_1) | instskip(SKIP_1) | instid1(VALU_DEP_1)
	v_pk_fma_f32 v[10:11], v[0:1], v[214:215], v[8:9] op_sel:[0,0,1] op_sel_hi:[1,1,0] neg_lo:[0,0,1] neg_hi:[0,0,1]
	v_pk_fma_f32 v[0:1], v[0:1], v[214:215], v[8:9] op_sel:[0,0,1] op_sel_hi:[1,0,0]
	v_mov_b32_e32 v11, v1
	v_pk_mul_f32 v[0:1], v[2:3], v[216:217] op_sel:[0,1]
	s_delay_alu instid0(VALU_DEP_1) | instskip(SKIP_1) | instid1(VALU_DEP_1)
	v_pk_fma_f32 v[8:9], v[2:3], v[214:215], v[0:1] op_sel:[0,0,1] op_sel_hi:[1,1,0] neg_lo:[0,0,1] neg_hi:[0,0,1]
	v_pk_fma_f32 v[0:1], v[2:3], v[214:215], v[0:1] op_sel:[0,0,1] op_sel_hi:[1,0,0]
	v_mov_b32_e32 v9, v1
	ds_load_2addr_b64 v[0:3], v6 offset0:22 offset1:23
	v_pk_add_f32 v[84:85], v[84:85], v[10:11] neg_lo:[0,1] neg_hi:[0,1]
	v_pk_add_f32 v[80:81], v[80:81], v[8:9] neg_lo:[0,1] neg_hi:[0,1]
	s_wait_dscnt 0x0
	v_pk_mul_f32 v[8:9], v[0:1], v[216:217] op_sel:[0,1]
	s_delay_alu instid0(VALU_DEP_1) | instskip(SKIP_2) | instid1(VALU_DEP_2)
	v_pk_fma_f32 v[10:11], v[0:1], v[214:215], v[8:9] op_sel:[0,0,1] op_sel_hi:[1,1,0] neg_lo:[0,0,1] neg_hi:[0,0,1]
	v_pk_fma_f32 v[0:1], v[0:1], v[214:215], v[8:9] op_sel:[0,0,1] op_sel_hi:[1,0,0]
	v_dual_mul_f32 v8, v3, v217 :: v_dual_mov_b32 v0, v3
	v_dual_mov_b32 v11, v1 :: v_dual_mov_b32 v1, v2
	s_delay_alu instid0(VALU_DEP_2) | instskip(SKIP_1) | instid1(VALU_DEP_3)
	v_pk_fma_f32 v[8:9], v[2:3], v[54:55], v[8:9] op_sel_hi:[1,1,0] neg_lo:[0,0,1] neg_hi:[0,0,1]
	v_mul_f32_e32 v2, v3, v214
	v_pk_add_f32 v[82:83], v[82:83], v[10:11] neg_lo:[0,1] neg_hi:[0,1]
	s_delay_alu instid0(VALU_DEP_2) | instskip(NEXT) | instid1(VALU_DEP_1)
	v_pk_fma_f32 v[0:1], v[0:1], v[54:55], v[2:3] op_sel_hi:[1,1,0]
	v_mov_b32_e32 v9, v1
	ds_load_2addr_b64 v[0:3], v6 offset0:24 offset1:25
	v_pk_add_f32 v[78:79], v[78:79], v[8:9] neg_lo:[0,1] neg_hi:[0,1]
	s_wait_dscnt 0x0
	v_pk_mul_f32 v[8:9], v[0:1], v[216:217] op_sel:[0,1]
	s_delay_alu instid0(VALU_DEP_1) | instskip(SKIP_1) | instid1(VALU_DEP_1)
	v_pk_fma_f32 v[10:11], v[0:1], v[214:215], v[8:9] op_sel:[0,0,1] op_sel_hi:[1,1,0] neg_lo:[0,0,1] neg_hi:[0,0,1]
	v_pk_fma_f32 v[0:1], v[0:1], v[214:215], v[8:9] op_sel:[0,0,1] op_sel_hi:[1,0,0]
	v_mov_b32_e32 v11, v1
	v_pk_mul_f32 v[0:1], v[2:3], v[216:217] op_sel:[0,1]
	s_delay_alu instid0(VALU_DEP_1) | instskip(SKIP_1) | instid1(VALU_DEP_1)
	v_pk_fma_f32 v[8:9], v[2:3], v[214:215], v[0:1] op_sel:[0,0,1] op_sel_hi:[1,1,0] neg_lo:[0,0,1] neg_hi:[0,0,1]
	v_pk_fma_f32 v[0:1], v[2:3], v[214:215], v[0:1] op_sel:[0,0,1] op_sel_hi:[1,0,0]
	v_mov_b32_e32 v9, v1
	ds_load_2addr_b64 v[0:3], v6 offset0:26 offset1:27
	v_pk_add_f32 v[106:107], v[106:107], v[10:11] neg_lo:[0,1] neg_hi:[0,1]
	v_pk_add_f32 v[102:103], v[102:103], v[8:9] neg_lo:[0,1] neg_hi:[0,1]
	s_wait_dscnt 0x0
	v_pk_mul_f32 v[8:9], v[0:1], v[216:217] op_sel:[0,1]
	s_delay_alu instid0(VALU_DEP_1) | instskip(SKIP_1) | instid1(VALU_DEP_1)
	v_pk_fma_f32 v[10:11], v[0:1], v[214:215], v[8:9] op_sel:[0,0,1] op_sel_hi:[1,1,0] neg_lo:[0,0,1] neg_hi:[0,0,1]
	v_pk_fma_f32 v[0:1], v[0:1], v[214:215], v[8:9] op_sel:[0,0,1] op_sel_hi:[1,0,0]
	v_mov_b32_e32 v11, v1
	v_pk_mul_f32 v[0:1], v[2:3], v[216:217] op_sel:[0,1]
	s_delay_alu instid0(VALU_DEP_1) | instskip(SKIP_1) | instid1(VALU_DEP_1)
	v_pk_fma_f32 v[8:9], v[2:3], v[214:215], v[0:1] op_sel:[0,0,1] op_sel_hi:[1,1,0] neg_lo:[0,0,1] neg_hi:[0,0,1]
	v_pk_fma_f32 v[0:1], v[2:3], v[214:215], v[0:1] op_sel:[0,0,1] op_sel_hi:[1,0,0]
	v_mov_b32_e32 v9, v1
	ds_load_2addr_b64 v[0:3], v6 offset0:28 offset1:29
	v_pk_add_f32 v[104:105], v[104:105], v[10:11] neg_lo:[0,1] neg_hi:[0,1]
	v_pk_add_f32 v[100:101], v[100:101], v[8:9] neg_lo:[0,1] neg_hi:[0,1]
	s_wait_dscnt 0x0
	v_dual_mul_f32 v8, v1, v217 :: v_dual_mul_f32 v10, v1, v214
	s_delay_alu instid0(VALU_DEP_1) | instskip(NEXT) | instid1(VALU_DEP_2)
	v_pk_fma_f32 v[8:9], v[0:1], v[54:55], v[8:9] op_sel_hi:[1,1,0] neg_lo:[0,0,1] neg_hi:[0,0,1]
	v_pk_fma_f32 v[0:1], v[0:1], v[54:55], v[10:11] op_sel:[1,0,0] op_sel_hi:[0,1,0]
	s_delay_alu instid0(VALU_DEP_1) | instskip(SKIP_1) | instid1(VALU_DEP_2)
	v_mov_b32_e32 v9, v1
	v_pk_mul_f32 v[0:1], v[2:3], v[216:217] op_sel:[0,1]
	v_pk_add_f32 v[128:129], v[128:129], v[8:9] neg_lo:[0,1] neg_hi:[0,1]
	s_delay_alu instid0(VALU_DEP_2) | instskip(SKIP_1) | instid1(VALU_DEP_1)
	v_pk_fma_f32 v[8:9], v[2:3], v[214:215], v[0:1] op_sel:[0,0,1] op_sel_hi:[1,1,0] neg_lo:[0,0,1] neg_hi:[0,0,1]
	v_pk_fma_f32 v[0:1], v[2:3], v[214:215], v[0:1] op_sel:[0,0,1] op_sel_hi:[1,0,0]
	v_mov_b32_e32 v9, v1
	ds_load_2addr_b64 v[0:3], v6 offset0:30 offset1:31
	v_pk_add_f32 v[124:125], v[124:125], v[8:9] neg_lo:[0,1] neg_hi:[0,1]
	s_wait_dscnt 0x0
	v_pk_mul_f32 v[8:9], v[0:1], v[216:217] op_sel:[0,1]
	s_delay_alu instid0(VALU_DEP_1) | instskip(SKIP_1) | instid1(VALU_DEP_1)
	v_pk_fma_f32 v[10:11], v[0:1], v[214:215], v[8:9] op_sel:[0,0,1] op_sel_hi:[1,1,0] neg_lo:[0,0,1] neg_hi:[0,0,1]
	v_pk_fma_f32 v[0:1], v[0:1], v[214:215], v[8:9] op_sel:[0,0,1] op_sel_hi:[1,0,0]
	v_mov_b32_e32 v11, v1
	v_pk_mul_f32 v[0:1], v[2:3], v[216:217] op_sel:[0,1]
	s_delay_alu instid0(VALU_DEP_2) | instskip(NEXT) | instid1(VALU_DEP_2)
	v_pk_add_f32 v[126:127], v[126:127], v[10:11] neg_lo:[0,1] neg_hi:[0,1]
	v_pk_fma_f32 v[8:9], v[2:3], v[214:215], v[0:1] op_sel:[0,0,1] op_sel_hi:[1,1,0] neg_lo:[0,0,1] neg_hi:[0,0,1]
	v_pk_fma_f32 v[0:1], v[2:3], v[214:215], v[0:1] op_sel:[0,0,1] op_sel_hi:[1,0,0]
	s_delay_alu instid0(VALU_DEP_1) | instskip(SKIP_4) | instid1(VALU_DEP_1)
	v_mov_b32_e32 v9, v1
	ds_load_2addr_b64 v[0:3], v6 offset0:32 offset1:33
	v_pk_add_f32 v[122:123], v[122:123], v[8:9] neg_lo:[0,1] neg_hi:[0,1]
	s_wait_dscnt 0x0
	v_pk_mul_f32 v[8:9], v[0:1], v[216:217] op_sel:[0,1]
	v_pk_fma_f32 v[10:11], v[0:1], v[214:215], v[8:9] op_sel:[0,0,1] op_sel_hi:[1,1,0] neg_lo:[0,0,1] neg_hi:[0,0,1]
	v_pk_fma_f32 v[0:1], v[0:1], v[214:215], v[8:9] op_sel:[0,0,1] op_sel_hi:[1,0,0]
	v_dual_mul_f32 v8, v3, v217 :: v_dual_mov_b32 v0, v3
	s_delay_alu instid0(VALU_DEP_2) | instskip(NEXT) | instid1(VALU_DEP_2)
	v_dual_mov_b32 v11, v1 :: v_dual_mov_b32 v1, v2
	v_pk_fma_f32 v[8:9], v[2:3], v[54:55], v[8:9] op_sel_hi:[1,1,0] neg_lo:[0,0,1] neg_hi:[0,0,1]
	v_mul_f32_e32 v2, v3, v214
	s_delay_alu instid0(VALU_DEP_3) | instskip(NEXT) | instid1(VALU_DEP_2)
	v_pk_add_f32 v[146:147], v[146:147], v[10:11] neg_lo:[0,1] neg_hi:[0,1]
	v_pk_fma_f32 v[0:1], v[0:1], v[54:55], v[2:3] op_sel_hi:[1,1,0]
	s_delay_alu instid0(VALU_DEP_1) | instskip(SKIP_4) | instid1(VALU_DEP_1)
	v_mov_b32_e32 v9, v1
	ds_load_2addr_b64 v[0:3], v6 offset0:34 offset1:35
	v_pk_add_f32 v[142:143], v[142:143], v[8:9] neg_lo:[0,1] neg_hi:[0,1]
	s_wait_dscnt 0x0
	v_pk_mul_f32 v[8:9], v[0:1], v[216:217] op_sel:[0,1]
	v_pk_fma_f32 v[10:11], v[0:1], v[214:215], v[8:9] op_sel:[0,0,1] op_sel_hi:[1,1,0] neg_lo:[0,0,1] neg_hi:[0,0,1]
	v_pk_fma_f32 v[0:1], v[0:1], v[214:215], v[8:9] op_sel:[0,0,1] op_sel_hi:[1,0,0]
	s_delay_alu instid0(VALU_DEP_1) | instskip(SKIP_1) | instid1(VALU_DEP_1)
	v_mov_b32_e32 v11, v1
	v_pk_mul_f32 v[0:1], v[2:3], v[216:217] op_sel:[0,1]
	v_pk_fma_f32 v[8:9], v[2:3], v[214:215], v[0:1] op_sel:[0,0,1] op_sel_hi:[1,1,0] neg_lo:[0,0,1] neg_hi:[0,0,1]
	v_pk_fma_f32 v[0:1], v[2:3], v[214:215], v[0:1] op_sel:[0,0,1] op_sel_hi:[1,0,0]
	s_delay_alu instid0(VALU_DEP_1)
	v_mov_b32_e32 v9, v1
	ds_load_2addr_b64 v[0:3], v6 offset0:36 offset1:37
	v_pk_add_f32 v[144:145], v[144:145], v[10:11] neg_lo:[0,1] neg_hi:[0,1]
	v_pk_add_f32 v[140:141], v[140:141], v[8:9] neg_lo:[0,1] neg_hi:[0,1]
	s_wait_dscnt 0x0
	v_pk_mul_f32 v[8:9], v[0:1], v[216:217] op_sel:[0,1]
	s_delay_alu instid0(VALU_DEP_1) | instskip(SKIP_1) | instid1(VALU_DEP_1)
	v_pk_fma_f32 v[10:11], v[0:1], v[214:215], v[8:9] op_sel:[0,0,1] op_sel_hi:[1,1,0] neg_lo:[0,0,1] neg_hi:[0,0,1]
	v_pk_fma_f32 v[0:1], v[0:1], v[214:215], v[8:9] op_sel:[0,0,1] op_sel_hi:[1,0,0]
	v_mov_b32_e32 v11, v1
	v_pk_mul_f32 v[0:1], v[2:3], v[216:217] op_sel:[0,1]
	s_delay_alu instid0(VALU_DEP_1) | instskip(SKIP_1) | instid1(VALU_DEP_1)
	v_pk_fma_f32 v[8:9], v[2:3], v[214:215], v[0:1] op_sel:[0,0,1] op_sel_hi:[1,1,0] neg_lo:[0,0,1] neg_hi:[0,0,1]
	v_pk_fma_f32 v[0:1], v[2:3], v[214:215], v[0:1] op_sel:[0,0,1] op_sel_hi:[1,0,0]
	v_mov_b32_e32 v9, v1
	ds_load_2addr_b64 v[0:3], v6 offset0:38 offset1:39
	v_pk_add_f32 v[166:167], v[166:167], v[10:11] neg_lo:[0,1] neg_hi:[0,1]
	v_pk_add_f32 v[160:161], v[160:161], v[8:9] neg_lo:[0,1] neg_hi:[0,1]
	s_wait_dscnt 0x0
	v_dual_mul_f32 v8, v1, v217 :: v_dual_mul_f32 v10, v1, v214
	s_delay_alu instid0(VALU_DEP_1) | instskip(NEXT) | instid1(VALU_DEP_2)
	v_pk_fma_f32 v[8:9], v[0:1], v[54:55], v[8:9] op_sel_hi:[1,1,0] neg_lo:[0,0,1] neg_hi:[0,0,1]
	v_pk_fma_f32 v[0:1], v[0:1], v[54:55], v[10:11] op_sel:[1,0,0] op_sel_hi:[0,1,0]
	s_delay_alu instid0(VALU_DEP_1) | instskip(SKIP_1) | instid1(VALU_DEP_2)
	v_mov_b32_e32 v9, v1
	v_pk_mul_f32 v[0:1], v[2:3], v[216:217] op_sel:[0,1]
	v_pk_add_f32 v[164:165], v[164:165], v[8:9] neg_lo:[0,1] neg_hi:[0,1]
	s_delay_alu instid0(VALU_DEP_2) | instskip(SKIP_1) | instid1(VALU_DEP_1)
	v_pk_fma_f32 v[8:9], v[2:3], v[214:215], v[0:1] op_sel:[0,0,1] op_sel_hi:[1,1,0] neg_lo:[0,0,1] neg_hi:[0,0,1]
	v_pk_fma_f32 v[0:1], v[2:3], v[214:215], v[0:1] op_sel:[0,0,1] op_sel_hi:[1,0,0]
	v_mov_b32_e32 v9, v1
	ds_load_2addr_b64 v[0:3], v6 offset0:40 offset1:41
	v_pk_add_f32 v[158:159], v[158:159], v[8:9] neg_lo:[0,1] neg_hi:[0,1]
	s_wait_dscnt 0x0
	v_pk_mul_f32 v[8:9], v[0:1], v[216:217] op_sel:[0,1]
	s_delay_alu instid0(VALU_DEP_1) | instskip(SKIP_1) | instid1(VALU_DEP_1)
	v_pk_fma_f32 v[10:11], v[0:1], v[214:215], v[8:9] op_sel:[0,0,1] op_sel_hi:[1,1,0] neg_lo:[0,0,1] neg_hi:[0,0,1]
	v_pk_fma_f32 v[0:1], v[0:1], v[214:215], v[8:9] op_sel:[0,0,1] op_sel_hi:[1,0,0]
	v_mov_b32_e32 v11, v1
	v_pk_mul_f32 v[0:1], v[2:3], v[216:217] op_sel:[0,1]
	s_delay_alu instid0(VALU_DEP_2) | instskip(NEXT) | instid1(VALU_DEP_2)
	v_pk_add_f32 v[162:163], v[162:163], v[10:11] neg_lo:[0,1] neg_hi:[0,1]
	v_pk_fma_f32 v[8:9], v[2:3], v[214:215], v[0:1] op_sel:[0,0,1] op_sel_hi:[1,1,0] neg_lo:[0,0,1] neg_hi:[0,0,1]
	v_pk_fma_f32 v[0:1], v[2:3], v[214:215], v[0:1] op_sel:[0,0,1] op_sel_hi:[1,0,0]
	s_delay_alu instid0(VALU_DEP_1) | instskip(SKIP_4) | instid1(VALU_DEP_1)
	v_mov_b32_e32 v9, v1
	ds_load_b64 v[0:1], v6 offset:336
	v_pk_add_f32 v[168:169], v[168:169], v[8:9] neg_lo:[0,1] neg_hi:[0,1]
	s_wait_dscnt 0x0
	v_pk_mul_f32 v[2:3], v[0:1], v[216:217] op_sel:[0,1]
	v_pk_fma_f32 v[8:9], v[0:1], v[214:215], v[2:3] op_sel:[0,0,1] op_sel_hi:[1,1,0] neg_lo:[0,0,1] neg_hi:[0,0,1]
	v_pk_fma_f32 v[0:1], v[0:1], v[214:215], v[2:3] op_sel:[0,0,1] op_sel_hi:[1,0,0]
	s_delay_alu instid0(VALU_DEP_1) | instskip(NEXT) | instid1(VALU_DEP_1)
	v_mov_b32_e32 v9, v1
	v_pk_add_f32 v[170:171], v[170:171], v[8:9] neg_lo:[0,1] neg_hi:[0,1]
.LBB85_181:
	s_or_b32 exec_lo, exec_lo, s1
	s_delay_alu instid0(SALU_CYCLE_1)
	s_mov_b32 s2, exec_lo
	s_wait_dscnt 0x0
	s_barrier_signal -1
	s_barrier_wait -1
	v_cmpx_eq_u32_e32 20, v32
	s_cbranch_execz .LBB85_188
; %bb.182:
	ds_store_b64 v33, v[84:85]
	ds_store_2addr_b64 v6, v[80:81], v[82:83] offset0:21 offset1:22
	ds_store_2addr_b64 v6, v[78:79], v[106:107] offset0:23 offset1:24
	;; [unrolled: 1-line block ×11, first 2 shown]
	ds_load_b64 v[0:1], v33
	s_wait_dscnt 0x0
	v_cmp_neq_f32_e32 vcc_lo, 0, v0
	v_cmp_neq_f32_e64 s1, 0, v1
	s_or_b32 s1, vcc_lo, s1
	s_delay_alu instid0(SALU_CYCLE_1)
	s_and_b32 exec_lo, exec_lo, s1
	s_cbranch_execz .LBB85_188
; %bb.183:
	v_cmp_ngt_f32_e64 s1, |v0|, |v1|
                                        ; implicit-def: $vgpr2_vgpr3
	s_and_saveexec_b32 s4, s1
	s_delay_alu instid0(SALU_CYCLE_1)
	s_xor_b32 s1, exec_lo, s4
	s_cbranch_execz .LBB85_185
; %bb.184:
	v_div_scale_f32 v2, null, v1, v1, v0
	v_div_scale_f32 v8, vcc_lo, v0, v1, v0
	s_delay_alu instid0(VALU_DEP_2) | instskip(SKIP_1) | instid1(TRANS32_DEP_1)
	v_rcp_f32_e32 v3, v2
	v_nop
	v_fma_f32 v7, -v2, v3, 1.0
	s_delay_alu instid0(VALU_DEP_1) | instskip(NEXT) | instid1(VALU_DEP_1)
	v_fmac_f32_e32 v3, v7, v3
	v_mul_f32_e32 v7, v8, v3
	s_delay_alu instid0(VALU_DEP_1) | instskip(NEXT) | instid1(VALU_DEP_1)
	v_fma_f32 v9, -v2, v7, v8
	v_fmac_f32_e32 v7, v9, v3
	s_delay_alu instid0(VALU_DEP_1) | instskip(NEXT) | instid1(VALU_DEP_1)
	v_fma_f32 v2, -v2, v7, v8
	v_div_fmas_f32 v2, v2, v3, v7
	s_delay_alu instid0(VALU_DEP_1) | instskip(NEXT) | instid1(VALU_DEP_1)
	v_div_fixup_f32 v2, v2, v1, v0
	v_fmac_f32_e32 v1, v0, v2
	s_delay_alu instid0(VALU_DEP_1) | instskip(SKIP_1) | instid1(VALU_DEP_2)
	v_div_scale_f32 v0, null, v1, v1, 1.0
	v_div_scale_f32 v8, vcc_lo, 1.0, v1, 1.0
	v_rcp_f32_e32 v3, v0
	v_nop
	s_delay_alu instid0(TRANS32_DEP_1) | instskip(NEXT) | instid1(VALU_DEP_1)
	v_fma_f32 v7, -v0, v3, 1.0
	v_fmac_f32_e32 v3, v7, v3
	s_delay_alu instid0(VALU_DEP_1) | instskip(NEXT) | instid1(VALU_DEP_1)
	v_mul_f32_e32 v7, v8, v3
	v_fma_f32 v9, -v0, v7, v8
	s_delay_alu instid0(VALU_DEP_1) | instskip(NEXT) | instid1(VALU_DEP_1)
	v_fmac_f32_e32 v7, v9, v3
	v_fma_f32 v0, -v0, v7, v8
	s_delay_alu instid0(VALU_DEP_1) | instskip(NEXT) | instid1(VALU_DEP_1)
	v_div_fmas_f32 v0, v0, v3, v7
	v_div_fixup_f32 v0, v0, v1, 1.0
	s_delay_alu instid0(VALU_DEP_1)
	v_mul_f32_e32 v2, v2, v0
	v_xor_b32_e32 v3, 0x80000000, v0
                                        ; implicit-def: $vgpr0_vgpr1
.LBB85_185:
	s_and_not1_saveexec_b32 s1, s1
	s_cbranch_execz .LBB85_187
; %bb.186:
	v_div_scale_f32 v2, null, v0, v0, v1
	v_div_scale_f32 v8, vcc_lo, v1, v0, v1
	s_delay_alu instid0(VALU_DEP_2) | instskip(SKIP_1) | instid1(TRANS32_DEP_1)
	v_rcp_f32_e32 v3, v2
	v_nop
	v_fma_f32 v7, -v2, v3, 1.0
	s_delay_alu instid0(VALU_DEP_1) | instskip(NEXT) | instid1(VALU_DEP_1)
	v_fmac_f32_e32 v3, v7, v3
	v_mul_f32_e32 v7, v8, v3
	s_delay_alu instid0(VALU_DEP_1) | instskip(NEXT) | instid1(VALU_DEP_1)
	v_fma_f32 v9, -v2, v7, v8
	v_fmac_f32_e32 v7, v9, v3
	s_delay_alu instid0(VALU_DEP_1) | instskip(NEXT) | instid1(VALU_DEP_1)
	v_fma_f32 v2, -v2, v7, v8
	v_div_fmas_f32 v2, v2, v3, v7
	s_delay_alu instid0(VALU_DEP_1) | instskip(NEXT) | instid1(VALU_DEP_1)
	v_div_fixup_f32 v3, v2, v0, v1
	v_fmac_f32_e32 v0, v1, v3
	s_delay_alu instid0(VALU_DEP_1) | instskip(NEXT) | instid1(VALU_DEP_1)
	v_div_scale_f32 v1, null, v0, v0, 1.0
	v_rcp_f32_e32 v2, v1
	v_nop
	s_delay_alu instid0(TRANS32_DEP_1) | instskip(NEXT) | instid1(VALU_DEP_1)
	v_fma_f32 v7, -v1, v2, 1.0
	v_fmac_f32_e32 v2, v7, v2
	v_div_scale_f32 v7, vcc_lo, 1.0, v0, 1.0
	s_delay_alu instid0(VALU_DEP_1) | instskip(NEXT) | instid1(VALU_DEP_1)
	v_mul_f32_e32 v8, v7, v2
	v_fma_f32 v9, -v1, v8, v7
	s_delay_alu instid0(VALU_DEP_1) | instskip(NEXT) | instid1(VALU_DEP_1)
	v_fmac_f32_e32 v8, v9, v2
	v_fma_f32 v1, -v1, v8, v7
	s_delay_alu instid0(VALU_DEP_1) | instskip(NEXT) | instid1(VALU_DEP_1)
	v_div_fmas_f32 v1, v1, v2, v8
	v_div_fixup_f32 v2, v1, v0, 1.0
	s_delay_alu instid0(VALU_DEP_1)
	v_mul_f32_e64 v3, v3, -v2
.LBB85_187:
	s_or_b32 exec_lo, exec_lo, s1
	ds_store_b64 v33, v[2:3]
.LBB85_188:
	s_or_b32 exec_lo, exec_lo, s2
	s_wait_dscnt 0x0
	s_barrier_signal -1
	s_barrier_wait -1
	ds_load_b64 v[214:215], v33
	s_mov_b32 s1, exec_lo
	v_cmpx_lt_u32_e32 20, v32
	s_cbranch_execz .LBB85_190
; %bb.189:
	s_wait_dscnt 0x0
	v_pk_mul_f32 v[0:1], v[214:215], v[84:85] op_sel:[1,1] op_sel_hi:[0,1]
	s_delay_alu instid0(VALU_DEP_1)
	v_pk_fma_f32 v[216:217], v[214:215], v[84:85], v[0:1] op_sel_hi:[1,0,1] neg_lo:[0,0,1] neg_hi:[0,0,1]
	v_pk_fma_f32 v[218:219], v[214:215], v[84:85], v[0:1] op_sel_hi:[1,0,1]
	ds_load_2addr_b64 v[0:3], v6 offset0:21 offset1:22
	v_dual_mov_b32 v84, v216 :: v_dual_mov_b32 v85, v219
	s_wait_dscnt 0x0
	v_pk_mul_f32 v[8:9], v[0:1], v[218:219] op_sel:[0,1]
	s_delay_alu instid0(VALU_DEP_1) | instskip(SKIP_1) | instid1(VALU_DEP_1)
	v_pk_fma_f32 v[10:11], v[0:1], v[216:217], v[8:9] op_sel:[0,0,1] op_sel_hi:[1,1,0] neg_lo:[0,0,1] neg_hi:[0,0,1]
	v_pk_fma_f32 v[0:1], v[0:1], v[216:217], v[8:9] op_sel:[0,0,1] op_sel_hi:[1,0,0]
	v_mov_b32_e32 v11, v1
	v_pk_mul_f32 v[0:1], v[2:3], v[218:219] op_sel:[0,1]
	s_delay_alu instid0(VALU_DEP_1) | instskip(SKIP_1) | instid1(VALU_DEP_1)
	v_pk_fma_f32 v[8:9], v[2:3], v[216:217], v[0:1] op_sel:[0,0,1] op_sel_hi:[1,1,0] neg_lo:[0,0,1] neg_hi:[0,0,1]
	v_pk_fma_f32 v[0:1], v[2:3], v[216:217], v[0:1] op_sel:[0,0,1] op_sel_hi:[1,0,0]
	v_mov_b32_e32 v9, v1
	ds_load_2addr_b64 v[0:3], v6 offset0:23 offset1:24
	v_pk_add_f32 v[80:81], v[80:81], v[10:11] neg_lo:[0,1] neg_hi:[0,1]
	v_pk_add_f32 v[82:83], v[82:83], v[8:9] neg_lo:[0,1] neg_hi:[0,1]
	s_wait_dscnt 0x0
	v_pk_mul_f32 v[8:9], v[0:1], v[218:219] op_sel:[0,1]
	s_delay_alu instid0(VALU_DEP_1) | instskip(SKIP_2) | instid1(VALU_DEP_2)
	v_pk_fma_f32 v[10:11], v[0:1], v[216:217], v[8:9] op_sel:[0,0,1] op_sel_hi:[1,1,0] neg_lo:[0,0,1] neg_hi:[0,0,1]
	v_pk_fma_f32 v[0:1], v[0:1], v[216:217], v[8:9] op_sel:[0,0,1] op_sel_hi:[1,0,0]
	v_dual_mul_f32 v8, v3, v219 :: v_dual_mov_b32 v0, v3
	v_dual_mov_b32 v11, v1 :: v_dual_mov_b32 v1, v2
	s_delay_alu instid0(VALU_DEP_2) | instskip(SKIP_1) | instid1(VALU_DEP_3)
	v_pk_fma_f32 v[8:9], v[2:3], v[84:85], v[8:9] op_sel_hi:[1,1,0] neg_lo:[0,0,1] neg_hi:[0,0,1]
	v_mul_f32_e32 v2, v3, v216
	v_pk_add_f32 v[78:79], v[78:79], v[10:11] neg_lo:[0,1] neg_hi:[0,1]
	s_delay_alu instid0(VALU_DEP_2) | instskip(NEXT) | instid1(VALU_DEP_1)
	v_pk_fma_f32 v[0:1], v[0:1], v[84:85], v[2:3] op_sel_hi:[1,1,0]
	v_mov_b32_e32 v9, v1
	ds_load_2addr_b64 v[0:3], v6 offset0:25 offset1:26
	v_pk_add_f32 v[106:107], v[106:107], v[8:9] neg_lo:[0,1] neg_hi:[0,1]
	s_wait_dscnt 0x0
	v_pk_mul_f32 v[8:9], v[0:1], v[218:219] op_sel:[0,1]
	s_delay_alu instid0(VALU_DEP_1) | instskip(SKIP_1) | instid1(VALU_DEP_1)
	v_pk_fma_f32 v[10:11], v[0:1], v[216:217], v[8:9] op_sel:[0,0,1] op_sel_hi:[1,1,0] neg_lo:[0,0,1] neg_hi:[0,0,1]
	v_pk_fma_f32 v[0:1], v[0:1], v[216:217], v[8:9] op_sel:[0,0,1] op_sel_hi:[1,0,0]
	v_mov_b32_e32 v11, v1
	v_pk_mul_f32 v[0:1], v[2:3], v[218:219] op_sel:[0,1]
	s_delay_alu instid0(VALU_DEP_1) | instskip(SKIP_1) | instid1(VALU_DEP_1)
	v_pk_fma_f32 v[8:9], v[2:3], v[216:217], v[0:1] op_sel:[0,0,1] op_sel_hi:[1,1,0] neg_lo:[0,0,1] neg_hi:[0,0,1]
	v_pk_fma_f32 v[0:1], v[2:3], v[216:217], v[0:1] op_sel:[0,0,1] op_sel_hi:[1,0,0]
	v_mov_b32_e32 v9, v1
	ds_load_2addr_b64 v[0:3], v6 offset0:27 offset1:28
	v_pk_add_f32 v[102:103], v[102:103], v[10:11] neg_lo:[0,1] neg_hi:[0,1]
	v_pk_add_f32 v[104:105], v[104:105], v[8:9] neg_lo:[0,1] neg_hi:[0,1]
	s_wait_dscnt 0x0
	v_pk_mul_f32 v[8:9], v[0:1], v[218:219] op_sel:[0,1]
	s_delay_alu instid0(VALU_DEP_1) | instskip(SKIP_1) | instid1(VALU_DEP_1)
	v_pk_fma_f32 v[10:11], v[0:1], v[216:217], v[8:9] op_sel:[0,0,1] op_sel_hi:[1,1,0] neg_lo:[0,0,1] neg_hi:[0,0,1]
	v_pk_fma_f32 v[0:1], v[0:1], v[216:217], v[8:9] op_sel:[0,0,1] op_sel_hi:[1,0,0]
	v_mov_b32_e32 v11, v1
	v_pk_mul_f32 v[0:1], v[2:3], v[218:219] op_sel:[0,1]
	s_delay_alu instid0(VALU_DEP_1) | instskip(SKIP_1) | instid1(VALU_DEP_1)
	v_pk_fma_f32 v[8:9], v[2:3], v[216:217], v[0:1] op_sel:[0,0,1] op_sel_hi:[1,1,0] neg_lo:[0,0,1] neg_hi:[0,0,1]
	v_pk_fma_f32 v[0:1], v[2:3], v[216:217], v[0:1] op_sel:[0,0,1] op_sel_hi:[1,0,0]
	v_mov_b32_e32 v9, v1
	ds_load_2addr_b64 v[0:3], v6 offset0:29 offset1:30
	v_pk_add_f32 v[100:101], v[100:101], v[10:11] neg_lo:[0,1] neg_hi:[0,1]
	v_pk_add_f32 v[128:129], v[128:129], v[8:9] neg_lo:[0,1] neg_hi:[0,1]
	s_wait_dscnt 0x0
	v_dual_mul_f32 v8, v1, v219 :: v_dual_mul_f32 v10, v1, v216
	s_delay_alu instid0(VALU_DEP_1) | instskip(NEXT) | instid1(VALU_DEP_2)
	v_pk_fma_f32 v[8:9], v[0:1], v[84:85], v[8:9] op_sel_hi:[1,1,0] neg_lo:[0,0,1] neg_hi:[0,0,1]
	v_pk_fma_f32 v[0:1], v[0:1], v[84:85], v[10:11] op_sel:[1,0,0] op_sel_hi:[0,1,0]
	s_delay_alu instid0(VALU_DEP_1) | instskip(SKIP_1) | instid1(VALU_DEP_2)
	v_mov_b32_e32 v9, v1
	v_pk_mul_f32 v[0:1], v[2:3], v[218:219] op_sel:[0,1]
	v_pk_add_f32 v[124:125], v[124:125], v[8:9] neg_lo:[0,1] neg_hi:[0,1]
	s_delay_alu instid0(VALU_DEP_2) | instskip(SKIP_1) | instid1(VALU_DEP_1)
	v_pk_fma_f32 v[8:9], v[2:3], v[216:217], v[0:1] op_sel:[0,0,1] op_sel_hi:[1,1,0] neg_lo:[0,0,1] neg_hi:[0,0,1]
	v_pk_fma_f32 v[0:1], v[2:3], v[216:217], v[0:1] op_sel:[0,0,1] op_sel_hi:[1,0,0]
	v_mov_b32_e32 v9, v1
	ds_load_2addr_b64 v[0:3], v6 offset0:31 offset1:32
	v_pk_add_f32 v[126:127], v[126:127], v[8:9] neg_lo:[0,1] neg_hi:[0,1]
	s_wait_dscnt 0x0
	v_pk_mul_f32 v[8:9], v[0:1], v[218:219] op_sel:[0,1]
	s_delay_alu instid0(VALU_DEP_1) | instskip(SKIP_1) | instid1(VALU_DEP_1)
	v_pk_fma_f32 v[10:11], v[0:1], v[216:217], v[8:9] op_sel:[0,0,1] op_sel_hi:[1,1,0] neg_lo:[0,0,1] neg_hi:[0,0,1]
	v_pk_fma_f32 v[0:1], v[0:1], v[216:217], v[8:9] op_sel:[0,0,1] op_sel_hi:[1,0,0]
	v_mov_b32_e32 v11, v1
	v_pk_mul_f32 v[0:1], v[2:3], v[218:219] op_sel:[0,1]
	s_delay_alu instid0(VALU_DEP_2) | instskip(NEXT) | instid1(VALU_DEP_2)
	v_pk_add_f32 v[122:123], v[122:123], v[10:11] neg_lo:[0,1] neg_hi:[0,1]
	v_pk_fma_f32 v[8:9], v[2:3], v[216:217], v[0:1] op_sel:[0,0,1] op_sel_hi:[1,1,0] neg_lo:[0,0,1] neg_hi:[0,0,1]
	v_pk_fma_f32 v[0:1], v[2:3], v[216:217], v[0:1] op_sel:[0,0,1] op_sel_hi:[1,0,0]
	s_delay_alu instid0(VALU_DEP_1) | instskip(SKIP_4) | instid1(VALU_DEP_1)
	v_mov_b32_e32 v9, v1
	ds_load_2addr_b64 v[0:3], v6 offset0:33 offset1:34
	v_pk_add_f32 v[146:147], v[146:147], v[8:9] neg_lo:[0,1] neg_hi:[0,1]
	s_wait_dscnt 0x0
	v_pk_mul_f32 v[8:9], v[0:1], v[218:219] op_sel:[0,1]
	v_pk_fma_f32 v[10:11], v[0:1], v[216:217], v[8:9] op_sel:[0,0,1] op_sel_hi:[1,1,0] neg_lo:[0,0,1] neg_hi:[0,0,1]
	v_pk_fma_f32 v[0:1], v[0:1], v[216:217], v[8:9] op_sel:[0,0,1] op_sel_hi:[1,0,0]
	v_dual_mul_f32 v8, v3, v219 :: v_dual_mov_b32 v0, v3
	s_delay_alu instid0(VALU_DEP_2) | instskip(NEXT) | instid1(VALU_DEP_2)
	v_dual_mov_b32 v11, v1 :: v_dual_mov_b32 v1, v2
	v_pk_fma_f32 v[8:9], v[2:3], v[84:85], v[8:9] op_sel_hi:[1,1,0] neg_lo:[0,0,1] neg_hi:[0,0,1]
	v_mul_f32_e32 v2, v3, v216
	s_delay_alu instid0(VALU_DEP_3) | instskip(NEXT) | instid1(VALU_DEP_2)
	v_pk_add_f32 v[142:143], v[142:143], v[10:11] neg_lo:[0,1] neg_hi:[0,1]
	v_pk_fma_f32 v[0:1], v[0:1], v[84:85], v[2:3] op_sel_hi:[1,1,0]
	s_delay_alu instid0(VALU_DEP_1) | instskip(SKIP_4) | instid1(VALU_DEP_1)
	v_mov_b32_e32 v9, v1
	ds_load_2addr_b64 v[0:3], v6 offset0:35 offset1:36
	v_pk_add_f32 v[144:145], v[144:145], v[8:9] neg_lo:[0,1] neg_hi:[0,1]
	s_wait_dscnt 0x0
	v_pk_mul_f32 v[8:9], v[0:1], v[218:219] op_sel:[0,1]
	v_pk_fma_f32 v[10:11], v[0:1], v[216:217], v[8:9] op_sel:[0,0,1] op_sel_hi:[1,1,0] neg_lo:[0,0,1] neg_hi:[0,0,1]
	v_pk_fma_f32 v[0:1], v[0:1], v[216:217], v[8:9] op_sel:[0,0,1] op_sel_hi:[1,0,0]
	s_delay_alu instid0(VALU_DEP_1) | instskip(SKIP_1) | instid1(VALU_DEP_1)
	v_mov_b32_e32 v11, v1
	v_pk_mul_f32 v[0:1], v[2:3], v[218:219] op_sel:[0,1]
	v_pk_fma_f32 v[8:9], v[2:3], v[216:217], v[0:1] op_sel:[0,0,1] op_sel_hi:[1,1,0] neg_lo:[0,0,1] neg_hi:[0,0,1]
	v_pk_fma_f32 v[0:1], v[2:3], v[216:217], v[0:1] op_sel:[0,0,1] op_sel_hi:[1,0,0]
	s_delay_alu instid0(VALU_DEP_1)
	v_mov_b32_e32 v9, v1
	ds_load_2addr_b64 v[0:3], v6 offset0:37 offset1:38
	v_pk_add_f32 v[140:141], v[140:141], v[10:11] neg_lo:[0,1] neg_hi:[0,1]
	v_pk_add_f32 v[166:167], v[166:167], v[8:9] neg_lo:[0,1] neg_hi:[0,1]
	s_wait_dscnt 0x0
	v_pk_mul_f32 v[8:9], v[0:1], v[218:219] op_sel:[0,1]
	s_delay_alu instid0(VALU_DEP_1) | instskip(SKIP_1) | instid1(VALU_DEP_1)
	v_pk_fma_f32 v[10:11], v[0:1], v[216:217], v[8:9] op_sel:[0,0,1] op_sel_hi:[1,1,0] neg_lo:[0,0,1] neg_hi:[0,0,1]
	v_pk_fma_f32 v[0:1], v[0:1], v[216:217], v[8:9] op_sel:[0,0,1] op_sel_hi:[1,0,0]
	v_mov_b32_e32 v11, v1
	v_pk_mul_f32 v[0:1], v[2:3], v[218:219] op_sel:[0,1]
	s_delay_alu instid0(VALU_DEP_1) | instskip(SKIP_1) | instid1(VALU_DEP_1)
	v_pk_fma_f32 v[8:9], v[2:3], v[216:217], v[0:1] op_sel:[0,0,1] op_sel_hi:[1,1,0] neg_lo:[0,0,1] neg_hi:[0,0,1]
	v_pk_fma_f32 v[0:1], v[2:3], v[216:217], v[0:1] op_sel:[0,0,1] op_sel_hi:[1,0,0]
	v_mov_b32_e32 v9, v1
	ds_load_2addr_b64 v[0:3], v6 offset0:39 offset1:40
	v_pk_add_f32 v[160:161], v[160:161], v[10:11] neg_lo:[0,1] neg_hi:[0,1]
	v_pk_add_f32 v[164:165], v[164:165], v[8:9] neg_lo:[0,1] neg_hi:[0,1]
	s_wait_dscnt 0x0
	v_dual_mul_f32 v8, v1, v219 :: v_dual_mul_f32 v10, v1, v216
	s_delay_alu instid0(VALU_DEP_1) | instskip(NEXT) | instid1(VALU_DEP_2)
	v_pk_fma_f32 v[8:9], v[0:1], v[84:85], v[8:9] op_sel_hi:[1,1,0] neg_lo:[0,0,1] neg_hi:[0,0,1]
	v_pk_fma_f32 v[0:1], v[0:1], v[84:85], v[10:11] op_sel:[1,0,0] op_sel_hi:[0,1,0]
	s_delay_alu instid0(VALU_DEP_1) | instskip(SKIP_1) | instid1(VALU_DEP_2)
	v_mov_b32_e32 v9, v1
	v_pk_mul_f32 v[0:1], v[2:3], v[218:219] op_sel:[0,1]
	v_pk_add_f32 v[158:159], v[158:159], v[8:9] neg_lo:[0,1] neg_hi:[0,1]
	s_delay_alu instid0(VALU_DEP_2) | instskip(SKIP_1) | instid1(VALU_DEP_1)
	v_pk_fma_f32 v[8:9], v[2:3], v[216:217], v[0:1] op_sel:[0,0,1] op_sel_hi:[1,1,0] neg_lo:[0,0,1] neg_hi:[0,0,1]
	v_pk_fma_f32 v[0:1], v[2:3], v[216:217], v[0:1] op_sel:[0,0,1] op_sel_hi:[1,0,0]
	v_mov_b32_e32 v9, v1
	ds_load_2addr_b64 v[0:3], v6 offset0:41 offset1:42
	v_pk_add_f32 v[162:163], v[162:163], v[8:9] neg_lo:[0,1] neg_hi:[0,1]
	s_wait_dscnt 0x0
	v_pk_mul_f32 v[8:9], v[0:1], v[218:219] op_sel:[0,1]
	s_delay_alu instid0(VALU_DEP_1) | instskip(SKIP_1) | instid1(VALU_DEP_1)
	v_pk_fma_f32 v[10:11], v[0:1], v[216:217], v[8:9] op_sel:[0,0,1] op_sel_hi:[1,1,0] neg_lo:[0,0,1] neg_hi:[0,0,1]
	v_pk_fma_f32 v[0:1], v[0:1], v[216:217], v[8:9] op_sel:[0,0,1] op_sel_hi:[1,0,0]
	v_mov_b32_e32 v11, v1
	v_pk_mul_f32 v[0:1], v[2:3], v[218:219] op_sel:[0,1]
	s_delay_alu instid0(VALU_DEP_2) | instskip(NEXT) | instid1(VALU_DEP_2)
	v_pk_add_f32 v[168:169], v[168:169], v[10:11] neg_lo:[0,1] neg_hi:[0,1]
	v_pk_fma_f32 v[8:9], v[2:3], v[216:217], v[0:1] op_sel:[0,0,1] op_sel_hi:[1,1,0] neg_lo:[0,0,1] neg_hi:[0,0,1]
	v_pk_fma_f32 v[0:1], v[2:3], v[216:217], v[0:1] op_sel:[0,0,1] op_sel_hi:[1,0,0]
	s_delay_alu instid0(VALU_DEP_1) | instskip(NEXT) | instid1(VALU_DEP_1)
	v_mov_b32_e32 v9, v1
	v_pk_add_f32 v[170:171], v[170:171], v[8:9] neg_lo:[0,1] neg_hi:[0,1]
.LBB85_190:
	s_or_b32 exec_lo, exec_lo, s1
	s_delay_alu instid0(SALU_CYCLE_1)
	s_mov_b32 s2, exec_lo
	s_wait_dscnt 0x0
	s_barrier_signal -1
	s_barrier_wait -1
	v_cmpx_eq_u32_e32 21, v32
	s_cbranch_execz .LBB85_197
; %bb.191:
	v_dual_mov_b32 v0, v82 :: v_dual_mov_b32 v1, v83
	v_dual_mov_b32 v2, v78 :: v_dual_mov_b32 v3, v79
	;; [unrolled: 1-line block ×8, first 2 shown]
	ds_store_b64 v33, v[80:81]
	ds_store_2addr_b64 v6, v[0:1], v[2:3] offset0:22 offset1:23
	ds_store_2addr_b64 v6, v[8:9], v[10:11] offset0:24 offset1:25
	;; [unrolled: 1-line block ×4, first 2 shown]
	v_dual_mov_b32 v0, v126 :: v_dual_mov_b32 v1, v127
	v_dual_mov_b32 v2, v122 :: v_dual_mov_b32 v3, v123
	;; [unrolled: 1-line block ×12, first 2 shown]
	ds_store_2addr_b64 v6, v[0:1], v[2:3] offset0:30 offset1:31
	ds_store_2addr_b64 v6, v[8:9], v[10:11] offset0:32 offset1:33
	;; [unrolled: 1-line block ×6, first 2 shown]
	ds_store_b64 v6, v[170:171] offset:336
	ds_load_b64 v[0:1], v33
	s_wait_dscnt 0x0
	v_cmp_neq_f32_e32 vcc_lo, 0, v0
	v_cmp_neq_f32_e64 s1, 0, v1
	s_or_b32 s1, vcc_lo, s1
	s_delay_alu instid0(SALU_CYCLE_1)
	s_and_b32 exec_lo, exec_lo, s1
	s_cbranch_execz .LBB85_197
; %bb.192:
	v_cmp_ngt_f32_e64 s1, |v0|, |v1|
                                        ; implicit-def: $vgpr2_vgpr3
	s_and_saveexec_b32 s4, s1
	s_delay_alu instid0(SALU_CYCLE_1)
	s_xor_b32 s1, exec_lo, s4
	s_cbranch_execz .LBB85_194
; %bb.193:
	v_div_scale_f32 v2, null, v1, v1, v0
	v_div_scale_f32 v8, vcc_lo, v0, v1, v0
	s_delay_alu instid0(VALU_DEP_2) | instskip(SKIP_1) | instid1(TRANS32_DEP_1)
	v_rcp_f32_e32 v3, v2
	v_nop
	v_fma_f32 v7, -v2, v3, 1.0
	s_delay_alu instid0(VALU_DEP_1) | instskip(NEXT) | instid1(VALU_DEP_1)
	v_fmac_f32_e32 v3, v7, v3
	v_mul_f32_e32 v7, v8, v3
	s_delay_alu instid0(VALU_DEP_1) | instskip(NEXT) | instid1(VALU_DEP_1)
	v_fma_f32 v9, -v2, v7, v8
	v_fmac_f32_e32 v7, v9, v3
	s_delay_alu instid0(VALU_DEP_1) | instskip(NEXT) | instid1(VALU_DEP_1)
	v_fma_f32 v2, -v2, v7, v8
	v_div_fmas_f32 v2, v2, v3, v7
	s_delay_alu instid0(VALU_DEP_1) | instskip(NEXT) | instid1(VALU_DEP_1)
	v_div_fixup_f32 v2, v2, v1, v0
	v_fmac_f32_e32 v1, v0, v2
	s_delay_alu instid0(VALU_DEP_1) | instskip(SKIP_1) | instid1(VALU_DEP_2)
	v_div_scale_f32 v0, null, v1, v1, 1.0
	v_div_scale_f32 v8, vcc_lo, 1.0, v1, 1.0
	v_rcp_f32_e32 v3, v0
	v_nop
	s_delay_alu instid0(TRANS32_DEP_1) | instskip(NEXT) | instid1(VALU_DEP_1)
	v_fma_f32 v7, -v0, v3, 1.0
	v_fmac_f32_e32 v3, v7, v3
	s_delay_alu instid0(VALU_DEP_1) | instskip(NEXT) | instid1(VALU_DEP_1)
	v_mul_f32_e32 v7, v8, v3
	v_fma_f32 v9, -v0, v7, v8
	s_delay_alu instid0(VALU_DEP_1) | instskip(NEXT) | instid1(VALU_DEP_1)
	v_fmac_f32_e32 v7, v9, v3
	v_fma_f32 v0, -v0, v7, v8
	s_delay_alu instid0(VALU_DEP_1) | instskip(NEXT) | instid1(VALU_DEP_1)
	v_div_fmas_f32 v0, v0, v3, v7
	v_div_fixup_f32 v0, v0, v1, 1.0
	s_delay_alu instid0(VALU_DEP_1)
	v_mul_f32_e32 v2, v2, v0
	v_xor_b32_e32 v3, 0x80000000, v0
                                        ; implicit-def: $vgpr0_vgpr1
.LBB85_194:
	s_and_not1_saveexec_b32 s1, s1
	s_cbranch_execz .LBB85_196
; %bb.195:
	v_div_scale_f32 v2, null, v0, v0, v1
	v_div_scale_f32 v8, vcc_lo, v1, v0, v1
	s_delay_alu instid0(VALU_DEP_2) | instskip(SKIP_1) | instid1(TRANS32_DEP_1)
	v_rcp_f32_e32 v3, v2
	v_nop
	v_fma_f32 v7, -v2, v3, 1.0
	s_delay_alu instid0(VALU_DEP_1) | instskip(NEXT) | instid1(VALU_DEP_1)
	v_fmac_f32_e32 v3, v7, v3
	v_mul_f32_e32 v7, v8, v3
	s_delay_alu instid0(VALU_DEP_1) | instskip(NEXT) | instid1(VALU_DEP_1)
	v_fma_f32 v9, -v2, v7, v8
	v_fmac_f32_e32 v7, v9, v3
	s_delay_alu instid0(VALU_DEP_1) | instskip(NEXT) | instid1(VALU_DEP_1)
	v_fma_f32 v2, -v2, v7, v8
	v_div_fmas_f32 v2, v2, v3, v7
	s_delay_alu instid0(VALU_DEP_1) | instskip(NEXT) | instid1(VALU_DEP_1)
	v_div_fixup_f32 v3, v2, v0, v1
	v_fmac_f32_e32 v0, v1, v3
	s_delay_alu instid0(VALU_DEP_1) | instskip(NEXT) | instid1(VALU_DEP_1)
	v_div_scale_f32 v1, null, v0, v0, 1.0
	v_rcp_f32_e32 v2, v1
	v_nop
	s_delay_alu instid0(TRANS32_DEP_1) | instskip(NEXT) | instid1(VALU_DEP_1)
	v_fma_f32 v7, -v1, v2, 1.0
	v_fmac_f32_e32 v2, v7, v2
	v_div_scale_f32 v7, vcc_lo, 1.0, v0, 1.0
	s_delay_alu instid0(VALU_DEP_1) | instskip(NEXT) | instid1(VALU_DEP_1)
	v_mul_f32_e32 v8, v7, v2
	v_fma_f32 v9, -v1, v8, v7
	s_delay_alu instid0(VALU_DEP_1) | instskip(NEXT) | instid1(VALU_DEP_1)
	v_fmac_f32_e32 v8, v9, v2
	v_fma_f32 v1, -v1, v8, v7
	s_delay_alu instid0(VALU_DEP_1) | instskip(NEXT) | instid1(VALU_DEP_1)
	v_div_fmas_f32 v1, v1, v2, v8
	v_div_fixup_f32 v2, v1, v0, 1.0
	s_delay_alu instid0(VALU_DEP_1)
	v_mul_f32_e64 v3, v3, -v2
.LBB85_196:
	s_or_b32 exec_lo, exec_lo, s1
	ds_store_b64 v33, v[2:3]
.LBB85_197:
	s_or_b32 exec_lo, exec_lo, s2
	s_wait_dscnt 0x0
	s_barrier_signal -1
	s_barrier_wait -1
	ds_load_b64 v[216:217], v33
	s_mov_b32 s1, exec_lo
	v_cmpx_lt_u32_e32 21, v32
	s_cbranch_execz .LBB85_199
; %bb.198:
	s_wait_dscnt 0x0
	v_pk_mul_f32 v[0:1], v[216:217], v[80:81] op_sel:[1,1] op_sel_hi:[0,1]
	s_delay_alu instid0(VALU_DEP_1)
	v_pk_fma_f32 v[218:219], v[216:217], v[80:81], v[0:1] op_sel_hi:[1,0,1] neg_lo:[0,0,1] neg_hi:[0,0,1]
	v_pk_fma_f32 v[220:221], v[216:217], v[80:81], v[0:1] op_sel_hi:[1,0,1]
	ds_load_2addr_b64 v[0:3], v6 offset0:22 offset1:23
	v_dual_mov_b32 v80, v218 :: v_dual_mov_b32 v81, v221
	s_wait_dscnt 0x0
	v_pk_mul_f32 v[8:9], v[0:1], v[220:221] op_sel:[0,1]
	s_delay_alu instid0(VALU_DEP_1) | instskip(SKIP_1) | instid1(VALU_DEP_1)
	v_pk_fma_f32 v[10:11], v[0:1], v[218:219], v[8:9] op_sel:[0,0,1] op_sel_hi:[1,1,0] neg_lo:[0,0,1] neg_hi:[0,0,1]
	v_pk_fma_f32 v[0:1], v[0:1], v[218:219], v[8:9] op_sel:[0,0,1] op_sel_hi:[1,0,0]
	v_mov_b32_e32 v11, v1
	v_pk_mul_f32 v[0:1], v[2:3], v[220:221] op_sel:[0,1]
	s_delay_alu instid0(VALU_DEP_1) | instskip(SKIP_1) | instid1(VALU_DEP_1)
	v_pk_fma_f32 v[8:9], v[2:3], v[218:219], v[0:1] op_sel:[0,0,1] op_sel_hi:[1,1,0] neg_lo:[0,0,1] neg_hi:[0,0,1]
	v_pk_fma_f32 v[0:1], v[2:3], v[218:219], v[0:1] op_sel:[0,0,1] op_sel_hi:[1,0,0]
	v_mov_b32_e32 v9, v1
	ds_load_2addr_b64 v[0:3], v6 offset0:24 offset1:25
	v_pk_add_f32 v[82:83], v[82:83], v[10:11] neg_lo:[0,1] neg_hi:[0,1]
	v_pk_add_f32 v[78:79], v[78:79], v[8:9] neg_lo:[0,1] neg_hi:[0,1]
	s_wait_dscnt 0x0
	v_pk_mul_f32 v[8:9], v[0:1], v[220:221] op_sel:[0,1]
	s_delay_alu instid0(VALU_DEP_1) | instskip(SKIP_2) | instid1(VALU_DEP_2)
	v_pk_fma_f32 v[10:11], v[0:1], v[218:219], v[8:9] op_sel:[0,0,1] op_sel_hi:[1,1,0] neg_lo:[0,0,1] neg_hi:[0,0,1]
	v_pk_fma_f32 v[0:1], v[0:1], v[218:219], v[8:9] op_sel:[0,0,1] op_sel_hi:[1,0,0]
	v_dual_mul_f32 v8, v3, v221 :: v_dual_mov_b32 v0, v3
	v_dual_mov_b32 v11, v1 :: v_dual_mov_b32 v1, v2
	s_delay_alu instid0(VALU_DEP_2) | instskip(SKIP_1) | instid1(VALU_DEP_3)
	v_pk_fma_f32 v[8:9], v[2:3], v[80:81], v[8:9] op_sel_hi:[1,1,0] neg_lo:[0,0,1] neg_hi:[0,0,1]
	v_mul_f32_e32 v2, v3, v218
	v_pk_add_f32 v[106:107], v[106:107], v[10:11] neg_lo:[0,1] neg_hi:[0,1]
	s_delay_alu instid0(VALU_DEP_2) | instskip(NEXT) | instid1(VALU_DEP_1)
	v_pk_fma_f32 v[0:1], v[0:1], v[80:81], v[2:3] op_sel_hi:[1,1,0]
	v_mov_b32_e32 v9, v1
	ds_load_2addr_b64 v[0:3], v6 offset0:26 offset1:27
	v_pk_add_f32 v[102:103], v[102:103], v[8:9] neg_lo:[0,1] neg_hi:[0,1]
	s_wait_dscnt 0x0
	v_pk_mul_f32 v[8:9], v[0:1], v[220:221] op_sel:[0,1]
	s_delay_alu instid0(VALU_DEP_1) | instskip(SKIP_1) | instid1(VALU_DEP_1)
	v_pk_fma_f32 v[10:11], v[0:1], v[218:219], v[8:9] op_sel:[0,0,1] op_sel_hi:[1,1,0] neg_lo:[0,0,1] neg_hi:[0,0,1]
	v_pk_fma_f32 v[0:1], v[0:1], v[218:219], v[8:9] op_sel:[0,0,1] op_sel_hi:[1,0,0]
	v_mov_b32_e32 v11, v1
	v_pk_mul_f32 v[0:1], v[2:3], v[220:221] op_sel:[0,1]
	s_delay_alu instid0(VALU_DEP_1) | instskip(SKIP_1) | instid1(VALU_DEP_1)
	v_pk_fma_f32 v[8:9], v[2:3], v[218:219], v[0:1] op_sel:[0,0,1] op_sel_hi:[1,1,0] neg_lo:[0,0,1] neg_hi:[0,0,1]
	v_pk_fma_f32 v[0:1], v[2:3], v[218:219], v[0:1] op_sel:[0,0,1] op_sel_hi:[1,0,0]
	v_mov_b32_e32 v9, v1
	ds_load_2addr_b64 v[0:3], v6 offset0:28 offset1:29
	v_pk_add_f32 v[104:105], v[104:105], v[10:11] neg_lo:[0,1] neg_hi:[0,1]
	v_pk_add_f32 v[100:101], v[100:101], v[8:9] neg_lo:[0,1] neg_hi:[0,1]
	s_wait_dscnt 0x0
	v_pk_mul_f32 v[8:9], v[0:1], v[220:221] op_sel:[0,1]
	s_delay_alu instid0(VALU_DEP_1) | instskip(SKIP_1) | instid1(VALU_DEP_1)
	v_pk_fma_f32 v[10:11], v[0:1], v[218:219], v[8:9] op_sel:[0,0,1] op_sel_hi:[1,1,0] neg_lo:[0,0,1] neg_hi:[0,0,1]
	v_pk_fma_f32 v[0:1], v[0:1], v[218:219], v[8:9] op_sel:[0,0,1] op_sel_hi:[1,0,0]
	v_mov_b32_e32 v11, v1
	v_pk_mul_f32 v[0:1], v[2:3], v[220:221] op_sel:[0,1]
	s_delay_alu instid0(VALU_DEP_1) | instskip(SKIP_1) | instid1(VALU_DEP_1)
	v_pk_fma_f32 v[8:9], v[2:3], v[218:219], v[0:1] op_sel:[0,0,1] op_sel_hi:[1,1,0] neg_lo:[0,0,1] neg_hi:[0,0,1]
	v_pk_fma_f32 v[0:1], v[2:3], v[218:219], v[0:1] op_sel:[0,0,1] op_sel_hi:[1,0,0]
	v_mov_b32_e32 v9, v1
	ds_load_2addr_b64 v[0:3], v6 offset0:30 offset1:31
	v_pk_add_f32 v[128:129], v[128:129], v[10:11] neg_lo:[0,1] neg_hi:[0,1]
	v_pk_add_f32 v[124:125], v[124:125], v[8:9] neg_lo:[0,1] neg_hi:[0,1]
	s_wait_dscnt 0x0
	v_dual_mul_f32 v8, v1, v221 :: v_dual_mul_f32 v10, v1, v218
	s_delay_alu instid0(VALU_DEP_1) | instskip(NEXT) | instid1(VALU_DEP_2)
	v_pk_fma_f32 v[8:9], v[0:1], v[80:81], v[8:9] op_sel_hi:[1,1,0] neg_lo:[0,0,1] neg_hi:[0,0,1]
	v_pk_fma_f32 v[0:1], v[0:1], v[80:81], v[10:11] op_sel:[1,0,0] op_sel_hi:[0,1,0]
	s_delay_alu instid0(VALU_DEP_1) | instskip(SKIP_1) | instid1(VALU_DEP_2)
	v_mov_b32_e32 v9, v1
	v_pk_mul_f32 v[0:1], v[2:3], v[220:221] op_sel:[0,1]
	v_pk_add_f32 v[126:127], v[126:127], v[8:9] neg_lo:[0,1] neg_hi:[0,1]
	s_delay_alu instid0(VALU_DEP_2) | instskip(SKIP_1) | instid1(VALU_DEP_1)
	v_pk_fma_f32 v[8:9], v[2:3], v[218:219], v[0:1] op_sel:[0,0,1] op_sel_hi:[1,1,0] neg_lo:[0,0,1] neg_hi:[0,0,1]
	v_pk_fma_f32 v[0:1], v[2:3], v[218:219], v[0:1] op_sel:[0,0,1] op_sel_hi:[1,0,0]
	v_mov_b32_e32 v9, v1
	ds_load_2addr_b64 v[0:3], v6 offset0:32 offset1:33
	v_pk_add_f32 v[122:123], v[122:123], v[8:9] neg_lo:[0,1] neg_hi:[0,1]
	s_wait_dscnt 0x0
	v_pk_mul_f32 v[8:9], v[0:1], v[220:221] op_sel:[0,1]
	s_delay_alu instid0(VALU_DEP_1) | instskip(SKIP_1) | instid1(VALU_DEP_1)
	v_pk_fma_f32 v[10:11], v[0:1], v[218:219], v[8:9] op_sel:[0,0,1] op_sel_hi:[1,1,0] neg_lo:[0,0,1] neg_hi:[0,0,1]
	v_pk_fma_f32 v[0:1], v[0:1], v[218:219], v[8:9] op_sel:[0,0,1] op_sel_hi:[1,0,0]
	v_mov_b32_e32 v11, v1
	v_pk_mul_f32 v[0:1], v[2:3], v[220:221] op_sel:[0,1]
	s_delay_alu instid0(VALU_DEP_2) | instskip(NEXT) | instid1(VALU_DEP_2)
	v_pk_add_f32 v[146:147], v[146:147], v[10:11] neg_lo:[0,1] neg_hi:[0,1]
	v_pk_fma_f32 v[8:9], v[2:3], v[218:219], v[0:1] op_sel:[0,0,1] op_sel_hi:[1,1,0] neg_lo:[0,0,1] neg_hi:[0,0,1]
	v_pk_fma_f32 v[0:1], v[2:3], v[218:219], v[0:1] op_sel:[0,0,1] op_sel_hi:[1,0,0]
	s_delay_alu instid0(VALU_DEP_1) | instskip(SKIP_4) | instid1(VALU_DEP_1)
	v_mov_b32_e32 v9, v1
	ds_load_2addr_b64 v[0:3], v6 offset0:34 offset1:35
	v_pk_add_f32 v[142:143], v[142:143], v[8:9] neg_lo:[0,1] neg_hi:[0,1]
	s_wait_dscnt 0x0
	v_pk_mul_f32 v[8:9], v[0:1], v[220:221] op_sel:[0,1]
	v_pk_fma_f32 v[10:11], v[0:1], v[218:219], v[8:9] op_sel:[0,0,1] op_sel_hi:[1,1,0] neg_lo:[0,0,1] neg_hi:[0,0,1]
	v_pk_fma_f32 v[0:1], v[0:1], v[218:219], v[8:9] op_sel:[0,0,1] op_sel_hi:[1,0,0]
	v_dual_mul_f32 v8, v3, v221 :: v_dual_mov_b32 v0, v3
	s_delay_alu instid0(VALU_DEP_2) | instskip(NEXT) | instid1(VALU_DEP_2)
	v_dual_mov_b32 v11, v1 :: v_dual_mov_b32 v1, v2
	v_pk_fma_f32 v[8:9], v[2:3], v[80:81], v[8:9] op_sel_hi:[1,1,0] neg_lo:[0,0,1] neg_hi:[0,0,1]
	v_mul_f32_e32 v2, v3, v218
	s_delay_alu instid0(VALU_DEP_3) | instskip(NEXT) | instid1(VALU_DEP_2)
	v_pk_add_f32 v[144:145], v[144:145], v[10:11] neg_lo:[0,1] neg_hi:[0,1]
	v_pk_fma_f32 v[0:1], v[0:1], v[80:81], v[2:3] op_sel_hi:[1,1,0]
	s_delay_alu instid0(VALU_DEP_1) | instskip(SKIP_4) | instid1(VALU_DEP_1)
	v_mov_b32_e32 v9, v1
	ds_load_2addr_b64 v[0:3], v6 offset0:36 offset1:37
	v_pk_add_f32 v[140:141], v[140:141], v[8:9] neg_lo:[0,1] neg_hi:[0,1]
	s_wait_dscnt 0x0
	v_pk_mul_f32 v[8:9], v[0:1], v[220:221] op_sel:[0,1]
	v_pk_fma_f32 v[10:11], v[0:1], v[218:219], v[8:9] op_sel:[0,0,1] op_sel_hi:[1,1,0] neg_lo:[0,0,1] neg_hi:[0,0,1]
	v_pk_fma_f32 v[0:1], v[0:1], v[218:219], v[8:9] op_sel:[0,0,1] op_sel_hi:[1,0,0]
	s_delay_alu instid0(VALU_DEP_1) | instskip(SKIP_1) | instid1(VALU_DEP_1)
	v_mov_b32_e32 v11, v1
	v_pk_mul_f32 v[0:1], v[2:3], v[220:221] op_sel:[0,1]
	v_pk_fma_f32 v[8:9], v[2:3], v[218:219], v[0:1] op_sel:[0,0,1] op_sel_hi:[1,1,0] neg_lo:[0,0,1] neg_hi:[0,0,1]
	v_pk_fma_f32 v[0:1], v[2:3], v[218:219], v[0:1] op_sel:[0,0,1] op_sel_hi:[1,0,0]
	s_delay_alu instid0(VALU_DEP_1)
	v_mov_b32_e32 v9, v1
	ds_load_2addr_b64 v[0:3], v6 offset0:38 offset1:39
	v_pk_add_f32 v[166:167], v[166:167], v[10:11] neg_lo:[0,1] neg_hi:[0,1]
	v_pk_add_f32 v[160:161], v[160:161], v[8:9] neg_lo:[0,1] neg_hi:[0,1]
	s_wait_dscnt 0x0
	v_pk_mul_f32 v[8:9], v[0:1], v[220:221] op_sel:[0,1]
	s_delay_alu instid0(VALU_DEP_1) | instskip(SKIP_1) | instid1(VALU_DEP_1)
	v_pk_fma_f32 v[10:11], v[0:1], v[218:219], v[8:9] op_sel:[0,0,1] op_sel_hi:[1,1,0] neg_lo:[0,0,1] neg_hi:[0,0,1]
	v_pk_fma_f32 v[0:1], v[0:1], v[218:219], v[8:9] op_sel:[0,0,1] op_sel_hi:[1,0,0]
	v_mov_b32_e32 v11, v1
	v_pk_mul_f32 v[0:1], v[2:3], v[220:221] op_sel:[0,1]
	s_delay_alu instid0(VALU_DEP_1) | instskip(SKIP_1) | instid1(VALU_DEP_1)
	v_pk_fma_f32 v[8:9], v[2:3], v[218:219], v[0:1] op_sel:[0,0,1] op_sel_hi:[1,1,0] neg_lo:[0,0,1] neg_hi:[0,0,1]
	v_pk_fma_f32 v[0:1], v[2:3], v[218:219], v[0:1] op_sel:[0,0,1] op_sel_hi:[1,0,0]
	v_mov_b32_e32 v9, v1
	ds_load_2addr_b64 v[0:3], v6 offset0:40 offset1:41
	v_pk_add_f32 v[164:165], v[164:165], v[10:11] neg_lo:[0,1] neg_hi:[0,1]
	v_pk_add_f32 v[158:159], v[158:159], v[8:9] neg_lo:[0,1] neg_hi:[0,1]
	s_wait_dscnt 0x0
	v_dual_mul_f32 v8, v1, v221 :: v_dual_mul_f32 v10, v1, v218
	s_delay_alu instid0(VALU_DEP_1) | instskip(NEXT) | instid1(VALU_DEP_2)
	v_pk_fma_f32 v[8:9], v[0:1], v[80:81], v[8:9] op_sel_hi:[1,1,0] neg_lo:[0,0,1] neg_hi:[0,0,1]
	v_pk_fma_f32 v[0:1], v[0:1], v[80:81], v[10:11] op_sel:[1,0,0] op_sel_hi:[0,1,0]
	s_delay_alu instid0(VALU_DEP_1) | instskip(SKIP_1) | instid1(VALU_DEP_2)
	v_mov_b32_e32 v9, v1
	v_pk_mul_f32 v[0:1], v[2:3], v[220:221] op_sel:[0,1]
	v_pk_add_f32 v[162:163], v[162:163], v[8:9] neg_lo:[0,1] neg_hi:[0,1]
	s_delay_alu instid0(VALU_DEP_2) | instskip(SKIP_1) | instid1(VALU_DEP_1)
	v_pk_fma_f32 v[8:9], v[2:3], v[218:219], v[0:1] op_sel:[0,0,1] op_sel_hi:[1,1,0] neg_lo:[0,0,1] neg_hi:[0,0,1]
	v_pk_fma_f32 v[0:1], v[2:3], v[218:219], v[0:1] op_sel:[0,0,1] op_sel_hi:[1,0,0]
	v_mov_b32_e32 v9, v1
	ds_load_b64 v[0:1], v6 offset:336
	v_pk_add_f32 v[168:169], v[168:169], v[8:9] neg_lo:[0,1] neg_hi:[0,1]
	s_wait_dscnt 0x0
	v_pk_mul_f32 v[2:3], v[0:1], v[220:221] op_sel:[0,1]
	s_delay_alu instid0(VALU_DEP_1) | instskip(SKIP_1) | instid1(VALU_DEP_1)
	v_pk_fma_f32 v[8:9], v[0:1], v[218:219], v[2:3] op_sel:[0,0,1] op_sel_hi:[1,1,0] neg_lo:[0,0,1] neg_hi:[0,0,1]
	v_pk_fma_f32 v[0:1], v[0:1], v[218:219], v[2:3] op_sel:[0,0,1] op_sel_hi:[1,0,0]
	v_mov_b32_e32 v9, v1
	s_delay_alu instid0(VALU_DEP_1)
	v_pk_add_f32 v[170:171], v[170:171], v[8:9] neg_lo:[0,1] neg_hi:[0,1]
.LBB85_199:
	s_or_b32 exec_lo, exec_lo, s1
	s_delay_alu instid0(SALU_CYCLE_1)
	s_mov_b32 s2, exec_lo
	s_wait_dscnt 0x0
	s_barrier_signal -1
	s_barrier_wait -1
	v_cmpx_eq_u32_e32 22, v32
	s_cbranch_execz .LBB85_206
; %bb.200:
	ds_store_b64 v33, v[82:83]
	ds_store_2addr_b64 v6, v[78:79], v[106:107] offset0:23 offset1:24
	ds_store_2addr_b64 v6, v[102:103], v[104:105] offset0:25 offset1:26
	;; [unrolled: 1-line block ×10, first 2 shown]
	ds_load_b64 v[0:1], v33
	s_wait_dscnt 0x0
	v_cmp_neq_f32_e32 vcc_lo, 0, v0
	v_cmp_neq_f32_e64 s1, 0, v1
	s_or_b32 s1, vcc_lo, s1
	s_delay_alu instid0(SALU_CYCLE_1)
	s_and_b32 exec_lo, exec_lo, s1
	s_cbranch_execz .LBB85_206
; %bb.201:
	v_cmp_ngt_f32_e64 s1, |v0|, |v1|
                                        ; implicit-def: $vgpr2_vgpr3
	s_and_saveexec_b32 s4, s1
	s_delay_alu instid0(SALU_CYCLE_1)
	s_xor_b32 s1, exec_lo, s4
	s_cbranch_execz .LBB85_203
; %bb.202:
	v_div_scale_f32 v2, null, v1, v1, v0
	v_div_scale_f32 v8, vcc_lo, v0, v1, v0
	s_delay_alu instid0(VALU_DEP_2) | instskip(SKIP_1) | instid1(TRANS32_DEP_1)
	v_rcp_f32_e32 v3, v2
	v_nop
	v_fma_f32 v7, -v2, v3, 1.0
	s_delay_alu instid0(VALU_DEP_1) | instskip(NEXT) | instid1(VALU_DEP_1)
	v_fmac_f32_e32 v3, v7, v3
	v_mul_f32_e32 v7, v8, v3
	s_delay_alu instid0(VALU_DEP_1) | instskip(NEXT) | instid1(VALU_DEP_1)
	v_fma_f32 v9, -v2, v7, v8
	v_fmac_f32_e32 v7, v9, v3
	s_delay_alu instid0(VALU_DEP_1) | instskip(NEXT) | instid1(VALU_DEP_1)
	v_fma_f32 v2, -v2, v7, v8
	v_div_fmas_f32 v2, v2, v3, v7
	s_delay_alu instid0(VALU_DEP_1) | instskip(NEXT) | instid1(VALU_DEP_1)
	v_div_fixup_f32 v2, v2, v1, v0
	v_fmac_f32_e32 v1, v0, v2
	s_delay_alu instid0(VALU_DEP_1) | instskip(SKIP_1) | instid1(VALU_DEP_2)
	v_div_scale_f32 v0, null, v1, v1, 1.0
	v_div_scale_f32 v8, vcc_lo, 1.0, v1, 1.0
	v_rcp_f32_e32 v3, v0
	v_nop
	s_delay_alu instid0(TRANS32_DEP_1) | instskip(NEXT) | instid1(VALU_DEP_1)
	v_fma_f32 v7, -v0, v3, 1.0
	v_fmac_f32_e32 v3, v7, v3
	s_delay_alu instid0(VALU_DEP_1) | instskip(NEXT) | instid1(VALU_DEP_1)
	v_mul_f32_e32 v7, v8, v3
	v_fma_f32 v9, -v0, v7, v8
	s_delay_alu instid0(VALU_DEP_1) | instskip(NEXT) | instid1(VALU_DEP_1)
	v_fmac_f32_e32 v7, v9, v3
	v_fma_f32 v0, -v0, v7, v8
	s_delay_alu instid0(VALU_DEP_1) | instskip(NEXT) | instid1(VALU_DEP_1)
	v_div_fmas_f32 v0, v0, v3, v7
	v_div_fixup_f32 v0, v0, v1, 1.0
	s_delay_alu instid0(VALU_DEP_1)
	v_mul_f32_e32 v2, v2, v0
	v_xor_b32_e32 v3, 0x80000000, v0
                                        ; implicit-def: $vgpr0_vgpr1
.LBB85_203:
	s_and_not1_saveexec_b32 s1, s1
	s_cbranch_execz .LBB85_205
; %bb.204:
	v_div_scale_f32 v2, null, v0, v0, v1
	v_div_scale_f32 v8, vcc_lo, v1, v0, v1
	s_delay_alu instid0(VALU_DEP_2) | instskip(SKIP_1) | instid1(TRANS32_DEP_1)
	v_rcp_f32_e32 v3, v2
	v_nop
	v_fma_f32 v7, -v2, v3, 1.0
	s_delay_alu instid0(VALU_DEP_1) | instskip(NEXT) | instid1(VALU_DEP_1)
	v_fmac_f32_e32 v3, v7, v3
	v_mul_f32_e32 v7, v8, v3
	s_delay_alu instid0(VALU_DEP_1) | instskip(NEXT) | instid1(VALU_DEP_1)
	v_fma_f32 v9, -v2, v7, v8
	v_fmac_f32_e32 v7, v9, v3
	s_delay_alu instid0(VALU_DEP_1) | instskip(NEXT) | instid1(VALU_DEP_1)
	v_fma_f32 v2, -v2, v7, v8
	v_div_fmas_f32 v2, v2, v3, v7
	s_delay_alu instid0(VALU_DEP_1) | instskip(NEXT) | instid1(VALU_DEP_1)
	v_div_fixup_f32 v3, v2, v0, v1
	v_fmac_f32_e32 v0, v1, v3
	s_delay_alu instid0(VALU_DEP_1) | instskip(NEXT) | instid1(VALU_DEP_1)
	v_div_scale_f32 v1, null, v0, v0, 1.0
	v_rcp_f32_e32 v2, v1
	v_nop
	s_delay_alu instid0(TRANS32_DEP_1) | instskip(NEXT) | instid1(VALU_DEP_1)
	v_fma_f32 v7, -v1, v2, 1.0
	v_fmac_f32_e32 v2, v7, v2
	v_div_scale_f32 v7, vcc_lo, 1.0, v0, 1.0
	s_delay_alu instid0(VALU_DEP_1) | instskip(NEXT) | instid1(VALU_DEP_1)
	v_mul_f32_e32 v8, v7, v2
	v_fma_f32 v9, -v1, v8, v7
	s_delay_alu instid0(VALU_DEP_1) | instskip(NEXT) | instid1(VALU_DEP_1)
	v_fmac_f32_e32 v8, v9, v2
	v_fma_f32 v1, -v1, v8, v7
	s_delay_alu instid0(VALU_DEP_1) | instskip(NEXT) | instid1(VALU_DEP_1)
	v_div_fmas_f32 v1, v1, v2, v8
	v_div_fixup_f32 v2, v1, v0, 1.0
	s_delay_alu instid0(VALU_DEP_1)
	v_mul_f32_e64 v3, v3, -v2
.LBB85_205:
	s_or_b32 exec_lo, exec_lo, s1
	ds_store_b64 v33, v[2:3]
.LBB85_206:
	s_or_b32 exec_lo, exec_lo, s2
	s_wait_dscnt 0x0
	s_barrier_signal -1
	s_barrier_wait -1
	ds_load_b64 v[218:219], v33
	s_mov_b32 s1, exec_lo
	v_cmpx_lt_u32_e32 22, v32
	s_cbranch_execz .LBB85_208
; %bb.207:
	s_wait_dscnt 0x0
	v_pk_mul_f32 v[0:1], v[218:219], v[82:83] op_sel:[1,1] op_sel_hi:[0,1]
	s_delay_alu instid0(VALU_DEP_1)
	v_pk_fma_f32 v[220:221], v[218:219], v[82:83], v[0:1] op_sel_hi:[1,0,1] neg_lo:[0,0,1] neg_hi:[0,0,1]
	v_pk_fma_f32 v[222:223], v[218:219], v[82:83], v[0:1] op_sel_hi:[1,0,1]
	ds_load_2addr_b64 v[0:3], v6 offset0:23 offset1:24
	v_dual_mov_b32 v82, v220 :: v_dual_mov_b32 v83, v223
	s_wait_dscnt 0x0
	v_pk_mul_f32 v[8:9], v[0:1], v[222:223] op_sel:[0,1]
	s_delay_alu instid0(VALU_DEP_1) | instskip(SKIP_1) | instid1(VALU_DEP_1)
	v_pk_fma_f32 v[10:11], v[0:1], v[220:221], v[8:9] op_sel:[0,0,1] op_sel_hi:[1,1,0] neg_lo:[0,0,1] neg_hi:[0,0,1]
	v_pk_fma_f32 v[0:1], v[0:1], v[220:221], v[8:9] op_sel:[0,0,1] op_sel_hi:[1,0,0]
	v_mov_b32_e32 v11, v1
	v_pk_mul_f32 v[0:1], v[2:3], v[222:223] op_sel:[0,1]
	s_delay_alu instid0(VALU_DEP_1) | instskip(SKIP_1) | instid1(VALU_DEP_1)
	v_pk_fma_f32 v[8:9], v[2:3], v[220:221], v[0:1] op_sel:[0,0,1] op_sel_hi:[1,1,0] neg_lo:[0,0,1] neg_hi:[0,0,1]
	v_pk_fma_f32 v[0:1], v[2:3], v[220:221], v[0:1] op_sel:[0,0,1] op_sel_hi:[1,0,0]
	v_mov_b32_e32 v9, v1
	ds_load_2addr_b64 v[0:3], v6 offset0:25 offset1:26
	v_pk_add_f32 v[78:79], v[78:79], v[10:11] neg_lo:[0,1] neg_hi:[0,1]
	v_pk_add_f32 v[106:107], v[106:107], v[8:9] neg_lo:[0,1] neg_hi:[0,1]
	s_wait_dscnt 0x0
	v_pk_mul_f32 v[8:9], v[0:1], v[222:223] op_sel:[0,1]
	s_delay_alu instid0(VALU_DEP_1) | instskip(SKIP_2) | instid1(VALU_DEP_2)
	v_pk_fma_f32 v[10:11], v[0:1], v[220:221], v[8:9] op_sel:[0,0,1] op_sel_hi:[1,1,0] neg_lo:[0,0,1] neg_hi:[0,0,1]
	v_pk_fma_f32 v[0:1], v[0:1], v[220:221], v[8:9] op_sel:[0,0,1] op_sel_hi:[1,0,0]
	v_dual_mul_f32 v8, v3, v223 :: v_dual_mov_b32 v0, v3
	v_dual_mov_b32 v11, v1 :: v_dual_mov_b32 v1, v2
	s_delay_alu instid0(VALU_DEP_2) | instskip(SKIP_1) | instid1(VALU_DEP_3)
	v_pk_fma_f32 v[8:9], v[2:3], v[82:83], v[8:9] op_sel_hi:[1,1,0] neg_lo:[0,0,1] neg_hi:[0,0,1]
	v_mul_f32_e32 v2, v3, v220
	v_pk_add_f32 v[102:103], v[102:103], v[10:11] neg_lo:[0,1] neg_hi:[0,1]
	s_delay_alu instid0(VALU_DEP_2) | instskip(NEXT) | instid1(VALU_DEP_1)
	v_pk_fma_f32 v[0:1], v[0:1], v[82:83], v[2:3] op_sel_hi:[1,1,0]
	v_mov_b32_e32 v9, v1
	ds_load_2addr_b64 v[0:3], v6 offset0:27 offset1:28
	v_pk_add_f32 v[104:105], v[104:105], v[8:9] neg_lo:[0,1] neg_hi:[0,1]
	s_wait_dscnt 0x0
	v_pk_mul_f32 v[8:9], v[0:1], v[222:223] op_sel:[0,1]
	s_delay_alu instid0(VALU_DEP_1) | instskip(SKIP_1) | instid1(VALU_DEP_1)
	v_pk_fma_f32 v[10:11], v[0:1], v[220:221], v[8:9] op_sel:[0,0,1] op_sel_hi:[1,1,0] neg_lo:[0,0,1] neg_hi:[0,0,1]
	v_pk_fma_f32 v[0:1], v[0:1], v[220:221], v[8:9] op_sel:[0,0,1] op_sel_hi:[1,0,0]
	v_mov_b32_e32 v11, v1
	v_pk_mul_f32 v[0:1], v[2:3], v[222:223] op_sel:[0,1]
	s_delay_alu instid0(VALU_DEP_1) | instskip(SKIP_1) | instid1(VALU_DEP_1)
	v_pk_fma_f32 v[8:9], v[2:3], v[220:221], v[0:1] op_sel:[0,0,1] op_sel_hi:[1,1,0] neg_lo:[0,0,1] neg_hi:[0,0,1]
	v_pk_fma_f32 v[0:1], v[2:3], v[220:221], v[0:1] op_sel:[0,0,1] op_sel_hi:[1,0,0]
	v_mov_b32_e32 v9, v1
	ds_load_2addr_b64 v[0:3], v6 offset0:29 offset1:30
	v_pk_add_f32 v[100:101], v[100:101], v[10:11] neg_lo:[0,1] neg_hi:[0,1]
	v_pk_add_f32 v[128:129], v[128:129], v[8:9] neg_lo:[0,1] neg_hi:[0,1]
	s_wait_dscnt 0x0
	v_pk_mul_f32 v[8:9], v[0:1], v[222:223] op_sel:[0,1]
	s_delay_alu instid0(VALU_DEP_1) | instskip(SKIP_1) | instid1(VALU_DEP_1)
	v_pk_fma_f32 v[10:11], v[0:1], v[220:221], v[8:9] op_sel:[0,0,1] op_sel_hi:[1,1,0] neg_lo:[0,0,1] neg_hi:[0,0,1]
	v_pk_fma_f32 v[0:1], v[0:1], v[220:221], v[8:9] op_sel:[0,0,1] op_sel_hi:[1,0,0]
	v_mov_b32_e32 v11, v1
	v_pk_mul_f32 v[0:1], v[2:3], v[222:223] op_sel:[0,1]
	s_delay_alu instid0(VALU_DEP_1) | instskip(SKIP_1) | instid1(VALU_DEP_1)
	v_pk_fma_f32 v[8:9], v[2:3], v[220:221], v[0:1] op_sel:[0,0,1] op_sel_hi:[1,1,0] neg_lo:[0,0,1] neg_hi:[0,0,1]
	v_pk_fma_f32 v[0:1], v[2:3], v[220:221], v[0:1] op_sel:[0,0,1] op_sel_hi:[1,0,0]
	v_mov_b32_e32 v9, v1
	ds_load_2addr_b64 v[0:3], v6 offset0:31 offset1:32
	v_pk_add_f32 v[124:125], v[124:125], v[10:11] neg_lo:[0,1] neg_hi:[0,1]
	v_pk_add_f32 v[126:127], v[126:127], v[8:9] neg_lo:[0,1] neg_hi:[0,1]
	s_wait_dscnt 0x0
	v_dual_mul_f32 v8, v1, v223 :: v_dual_mul_f32 v10, v1, v220
	s_delay_alu instid0(VALU_DEP_1) | instskip(NEXT) | instid1(VALU_DEP_2)
	v_pk_fma_f32 v[8:9], v[0:1], v[82:83], v[8:9] op_sel_hi:[1,1,0] neg_lo:[0,0,1] neg_hi:[0,0,1]
	v_pk_fma_f32 v[0:1], v[0:1], v[82:83], v[10:11] op_sel:[1,0,0] op_sel_hi:[0,1,0]
	s_delay_alu instid0(VALU_DEP_1) | instskip(SKIP_1) | instid1(VALU_DEP_2)
	v_mov_b32_e32 v9, v1
	v_pk_mul_f32 v[0:1], v[2:3], v[222:223] op_sel:[0,1]
	v_pk_add_f32 v[122:123], v[122:123], v[8:9] neg_lo:[0,1] neg_hi:[0,1]
	s_delay_alu instid0(VALU_DEP_2) | instskip(SKIP_1) | instid1(VALU_DEP_1)
	v_pk_fma_f32 v[8:9], v[2:3], v[220:221], v[0:1] op_sel:[0,0,1] op_sel_hi:[1,1,0] neg_lo:[0,0,1] neg_hi:[0,0,1]
	v_pk_fma_f32 v[0:1], v[2:3], v[220:221], v[0:1] op_sel:[0,0,1] op_sel_hi:[1,0,0]
	v_mov_b32_e32 v9, v1
	ds_load_2addr_b64 v[0:3], v6 offset0:33 offset1:34
	v_pk_add_f32 v[146:147], v[146:147], v[8:9] neg_lo:[0,1] neg_hi:[0,1]
	s_wait_dscnt 0x0
	v_pk_mul_f32 v[8:9], v[0:1], v[222:223] op_sel:[0,1]
	s_delay_alu instid0(VALU_DEP_1) | instskip(SKIP_1) | instid1(VALU_DEP_1)
	v_pk_fma_f32 v[10:11], v[0:1], v[220:221], v[8:9] op_sel:[0,0,1] op_sel_hi:[1,1,0] neg_lo:[0,0,1] neg_hi:[0,0,1]
	v_pk_fma_f32 v[0:1], v[0:1], v[220:221], v[8:9] op_sel:[0,0,1] op_sel_hi:[1,0,0]
	v_mov_b32_e32 v11, v1
	v_pk_mul_f32 v[0:1], v[2:3], v[222:223] op_sel:[0,1]
	s_delay_alu instid0(VALU_DEP_2) | instskip(NEXT) | instid1(VALU_DEP_2)
	v_pk_add_f32 v[142:143], v[142:143], v[10:11] neg_lo:[0,1] neg_hi:[0,1]
	v_pk_fma_f32 v[8:9], v[2:3], v[220:221], v[0:1] op_sel:[0,0,1] op_sel_hi:[1,1,0] neg_lo:[0,0,1] neg_hi:[0,0,1]
	v_pk_fma_f32 v[0:1], v[2:3], v[220:221], v[0:1] op_sel:[0,0,1] op_sel_hi:[1,0,0]
	s_delay_alu instid0(VALU_DEP_1) | instskip(SKIP_4) | instid1(VALU_DEP_1)
	v_mov_b32_e32 v9, v1
	ds_load_2addr_b64 v[0:3], v6 offset0:35 offset1:36
	v_pk_add_f32 v[144:145], v[144:145], v[8:9] neg_lo:[0,1] neg_hi:[0,1]
	s_wait_dscnt 0x0
	v_pk_mul_f32 v[8:9], v[0:1], v[222:223] op_sel:[0,1]
	v_pk_fma_f32 v[10:11], v[0:1], v[220:221], v[8:9] op_sel:[0,0,1] op_sel_hi:[1,1,0] neg_lo:[0,0,1] neg_hi:[0,0,1]
	v_pk_fma_f32 v[0:1], v[0:1], v[220:221], v[8:9] op_sel:[0,0,1] op_sel_hi:[1,0,0]
	v_dual_mul_f32 v8, v3, v223 :: v_dual_mov_b32 v0, v3
	s_delay_alu instid0(VALU_DEP_2) | instskip(NEXT) | instid1(VALU_DEP_2)
	v_dual_mov_b32 v11, v1 :: v_dual_mov_b32 v1, v2
	v_pk_fma_f32 v[8:9], v[2:3], v[82:83], v[8:9] op_sel_hi:[1,1,0] neg_lo:[0,0,1] neg_hi:[0,0,1]
	v_mul_f32_e32 v2, v3, v220
	s_delay_alu instid0(VALU_DEP_3) | instskip(NEXT) | instid1(VALU_DEP_2)
	v_pk_add_f32 v[140:141], v[140:141], v[10:11] neg_lo:[0,1] neg_hi:[0,1]
	v_pk_fma_f32 v[0:1], v[0:1], v[82:83], v[2:3] op_sel_hi:[1,1,0]
	s_delay_alu instid0(VALU_DEP_1) | instskip(SKIP_4) | instid1(VALU_DEP_1)
	v_mov_b32_e32 v9, v1
	ds_load_2addr_b64 v[0:3], v6 offset0:37 offset1:38
	v_pk_add_f32 v[166:167], v[166:167], v[8:9] neg_lo:[0,1] neg_hi:[0,1]
	s_wait_dscnt 0x0
	v_pk_mul_f32 v[8:9], v[0:1], v[222:223] op_sel:[0,1]
	v_pk_fma_f32 v[10:11], v[0:1], v[220:221], v[8:9] op_sel:[0,0,1] op_sel_hi:[1,1,0] neg_lo:[0,0,1] neg_hi:[0,0,1]
	v_pk_fma_f32 v[0:1], v[0:1], v[220:221], v[8:9] op_sel:[0,0,1] op_sel_hi:[1,0,0]
	s_delay_alu instid0(VALU_DEP_1) | instskip(SKIP_1) | instid1(VALU_DEP_1)
	v_mov_b32_e32 v11, v1
	v_pk_mul_f32 v[0:1], v[2:3], v[222:223] op_sel:[0,1]
	v_pk_fma_f32 v[8:9], v[2:3], v[220:221], v[0:1] op_sel:[0,0,1] op_sel_hi:[1,1,0] neg_lo:[0,0,1] neg_hi:[0,0,1]
	v_pk_fma_f32 v[0:1], v[2:3], v[220:221], v[0:1] op_sel:[0,0,1] op_sel_hi:[1,0,0]
	s_delay_alu instid0(VALU_DEP_1)
	v_mov_b32_e32 v9, v1
	ds_load_2addr_b64 v[0:3], v6 offset0:39 offset1:40
	v_pk_add_f32 v[160:161], v[160:161], v[10:11] neg_lo:[0,1] neg_hi:[0,1]
	v_pk_add_f32 v[164:165], v[164:165], v[8:9] neg_lo:[0,1] neg_hi:[0,1]
	s_wait_dscnt 0x0
	v_pk_mul_f32 v[8:9], v[0:1], v[222:223] op_sel:[0,1]
	s_delay_alu instid0(VALU_DEP_1) | instskip(SKIP_1) | instid1(VALU_DEP_1)
	v_pk_fma_f32 v[10:11], v[0:1], v[220:221], v[8:9] op_sel:[0,0,1] op_sel_hi:[1,1,0] neg_lo:[0,0,1] neg_hi:[0,0,1]
	v_pk_fma_f32 v[0:1], v[0:1], v[220:221], v[8:9] op_sel:[0,0,1] op_sel_hi:[1,0,0]
	v_mov_b32_e32 v11, v1
	v_pk_mul_f32 v[0:1], v[2:3], v[222:223] op_sel:[0,1]
	s_delay_alu instid0(VALU_DEP_1) | instskip(SKIP_1) | instid1(VALU_DEP_1)
	v_pk_fma_f32 v[8:9], v[2:3], v[220:221], v[0:1] op_sel:[0,0,1] op_sel_hi:[1,1,0] neg_lo:[0,0,1] neg_hi:[0,0,1]
	v_pk_fma_f32 v[0:1], v[2:3], v[220:221], v[0:1] op_sel:[0,0,1] op_sel_hi:[1,0,0]
	v_mov_b32_e32 v9, v1
	ds_load_2addr_b64 v[0:3], v6 offset0:41 offset1:42
	v_pk_add_f32 v[158:159], v[158:159], v[10:11] neg_lo:[0,1] neg_hi:[0,1]
	v_pk_add_f32 v[162:163], v[162:163], v[8:9] neg_lo:[0,1] neg_hi:[0,1]
	s_wait_dscnt 0x0
	v_dual_mul_f32 v8, v1, v223 :: v_dual_mul_f32 v10, v1, v220
	s_delay_alu instid0(VALU_DEP_1) | instskip(NEXT) | instid1(VALU_DEP_2)
	v_pk_fma_f32 v[8:9], v[0:1], v[82:83], v[8:9] op_sel_hi:[1,1,0] neg_lo:[0,0,1] neg_hi:[0,0,1]
	v_pk_fma_f32 v[0:1], v[0:1], v[82:83], v[10:11] op_sel:[1,0,0] op_sel_hi:[0,1,0]
	s_delay_alu instid0(VALU_DEP_1) | instskip(SKIP_1) | instid1(VALU_DEP_2)
	v_mov_b32_e32 v9, v1
	v_pk_mul_f32 v[0:1], v[2:3], v[222:223] op_sel:[0,1]
	v_pk_add_f32 v[168:169], v[168:169], v[8:9] neg_lo:[0,1] neg_hi:[0,1]
	s_delay_alu instid0(VALU_DEP_2) | instskip(SKIP_1) | instid1(VALU_DEP_1)
	v_pk_fma_f32 v[8:9], v[2:3], v[220:221], v[0:1] op_sel:[0,0,1] op_sel_hi:[1,1,0] neg_lo:[0,0,1] neg_hi:[0,0,1]
	v_pk_fma_f32 v[0:1], v[2:3], v[220:221], v[0:1] op_sel:[0,0,1] op_sel_hi:[1,0,0]
	v_mov_b32_e32 v9, v1
	s_delay_alu instid0(VALU_DEP_1)
	v_pk_add_f32 v[170:171], v[170:171], v[8:9] neg_lo:[0,1] neg_hi:[0,1]
.LBB85_208:
	s_or_b32 exec_lo, exec_lo, s1
	s_delay_alu instid0(SALU_CYCLE_1)
	s_mov_b32 s2, exec_lo
	s_wait_dscnt 0x0
	s_barrier_signal -1
	s_barrier_wait -1
	v_cmpx_eq_u32_e32 23, v32
	s_cbranch_execz .LBB85_215
; %bb.209:
	v_dual_mov_b32 v0, v106 :: v_dual_mov_b32 v1, v107
	v_dual_mov_b32 v2, v102 :: v_dual_mov_b32 v3, v103
	;; [unrolled: 1-line block ×8, first 2 shown]
	ds_store_b64 v33, v[78:79]
	ds_store_2addr_b64 v6, v[0:1], v[2:3] offset0:24 offset1:25
	ds_store_2addr_b64 v6, v[8:9], v[10:11] offset0:26 offset1:27
	;; [unrolled: 1-line block ×4, first 2 shown]
	v_dual_mov_b32 v0, v146 :: v_dual_mov_b32 v1, v147
	v_dual_mov_b32 v2, v142 :: v_dual_mov_b32 v3, v143
	;; [unrolled: 1-line block ×10, first 2 shown]
	ds_store_2addr_b64 v6, v[0:1], v[2:3] offset0:32 offset1:33
	ds_store_2addr_b64 v6, v[8:9], v[10:11] offset0:34 offset1:35
	ds_store_2addr_b64 v6, v[220:221], v[222:223] offset0:36 offset1:37
	ds_store_2addr_b64 v6, v[224:225], v[226:227] offset0:38 offset1:39
	ds_store_2addr_b64 v6, v[228:229], v[230:231] offset0:40 offset1:41
	ds_store_b64 v6, v[170:171] offset:336
	ds_load_b64 v[0:1], v33
	s_wait_dscnt 0x0
	v_cmp_neq_f32_e32 vcc_lo, 0, v0
	v_cmp_neq_f32_e64 s1, 0, v1
	s_or_b32 s1, vcc_lo, s1
	s_delay_alu instid0(SALU_CYCLE_1)
	s_and_b32 exec_lo, exec_lo, s1
	s_cbranch_execz .LBB85_215
; %bb.210:
	v_cmp_ngt_f32_e64 s1, |v0|, |v1|
                                        ; implicit-def: $vgpr2_vgpr3
	s_and_saveexec_b32 s4, s1
	s_delay_alu instid0(SALU_CYCLE_1)
	s_xor_b32 s1, exec_lo, s4
	s_cbranch_execz .LBB85_212
; %bb.211:
	v_div_scale_f32 v2, null, v1, v1, v0
	v_div_scale_f32 v8, vcc_lo, v0, v1, v0
	s_delay_alu instid0(VALU_DEP_2) | instskip(SKIP_1) | instid1(TRANS32_DEP_1)
	v_rcp_f32_e32 v3, v2
	v_nop
	v_fma_f32 v7, -v2, v3, 1.0
	s_delay_alu instid0(VALU_DEP_1) | instskip(NEXT) | instid1(VALU_DEP_1)
	v_fmac_f32_e32 v3, v7, v3
	v_mul_f32_e32 v7, v8, v3
	s_delay_alu instid0(VALU_DEP_1) | instskip(NEXT) | instid1(VALU_DEP_1)
	v_fma_f32 v9, -v2, v7, v8
	v_fmac_f32_e32 v7, v9, v3
	s_delay_alu instid0(VALU_DEP_1) | instskip(NEXT) | instid1(VALU_DEP_1)
	v_fma_f32 v2, -v2, v7, v8
	v_div_fmas_f32 v2, v2, v3, v7
	s_delay_alu instid0(VALU_DEP_1) | instskip(NEXT) | instid1(VALU_DEP_1)
	v_div_fixup_f32 v2, v2, v1, v0
	v_fmac_f32_e32 v1, v0, v2
	s_delay_alu instid0(VALU_DEP_1) | instskip(SKIP_1) | instid1(VALU_DEP_2)
	v_div_scale_f32 v0, null, v1, v1, 1.0
	v_div_scale_f32 v8, vcc_lo, 1.0, v1, 1.0
	v_rcp_f32_e32 v3, v0
	v_nop
	s_delay_alu instid0(TRANS32_DEP_1) | instskip(NEXT) | instid1(VALU_DEP_1)
	v_fma_f32 v7, -v0, v3, 1.0
	v_fmac_f32_e32 v3, v7, v3
	s_delay_alu instid0(VALU_DEP_1) | instskip(NEXT) | instid1(VALU_DEP_1)
	v_mul_f32_e32 v7, v8, v3
	v_fma_f32 v9, -v0, v7, v8
	s_delay_alu instid0(VALU_DEP_1) | instskip(NEXT) | instid1(VALU_DEP_1)
	v_fmac_f32_e32 v7, v9, v3
	v_fma_f32 v0, -v0, v7, v8
	s_delay_alu instid0(VALU_DEP_1) | instskip(NEXT) | instid1(VALU_DEP_1)
	v_div_fmas_f32 v0, v0, v3, v7
	v_div_fixup_f32 v0, v0, v1, 1.0
	s_delay_alu instid0(VALU_DEP_1)
	v_mul_f32_e32 v2, v2, v0
	v_xor_b32_e32 v3, 0x80000000, v0
                                        ; implicit-def: $vgpr0_vgpr1
.LBB85_212:
	s_and_not1_saveexec_b32 s1, s1
	s_cbranch_execz .LBB85_214
; %bb.213:
	v_div_scale_f32 v2, null, v0, v0, v1
	v_div_scale_f32 v8, vcc_lo, v1, v0, v1
	s_delay_alu instid0(VALU_DEP_2) | instskip(SKIP_1) | instid1(TRANS32_DEP_1)
	v_rcp_f32_e32 v3, v2
	v_nop
	v_fma_f32 v7, -v2, v3, 1.0
	s_delay_alu instid0(VALU_DEP_1) | instskip(NEXT) | instid1(VALU_DEP_1)
	v_fmac_f32_e32 v3, v7, v3
	v_mul_f32_e32 v7, v8, v3
	s_delay_alu instid0(VALU_DEP_1) | instskip(NEXT) | instid1(VALU_DEP_1)
	v_fma_f32 v9, -v2, v7, v8
	v_fmac_f32_e32 v7, v9, v3
	s_delay_alu instid0(VALU_DEP_1) | instskip(NEXT) | instid1(VALU_DEP_1)
	v_fma_f32 v2, -v2, v7, v8
	v_div_fmas_f32 v2, v2, v3, v7
	s_delay_alu instid0(VALU_DEP_1) | instskip(NEXT) | instid1(VALU_DEP_1)
	v_div_fixup_f32 v3, v2, v0, v1
	v_fmac_f32_e32 v0, v1, v3
	s_delay_alu instid0(VALU_DEP_1) | instskip(NEXT) | instid1(VALU_DEP_1)
	v_div_scale_f32 v1, null, v0, v0, 1.0
	v_rcp_f32_e32 v2, v1
	v_nop
	s_delay_alu instid0(TRANS32_DEP_1) | instskip(NEXT) | instid1(VALU_DEP_1)
	v_fma_f32 v7, -v1, v2, 1.0
	v_fmac_f32_e32 v2, v7, v2
	v_div_scale_f32 v7, vcc_lo, 1.0, v0, 1.0
	s_delay_alu instid0(VALU_DEP_1) | instskip(NEXT) | instid1(VALU_DEP_1)
	v_mul_f32_e32 v8, v7, v2
	v_fma_f32 v9, -v1, v8, v7
	s_delay_alu instid0(VALU_DEP_1) | instskip(NEXT) | instid1(VALU_DEP_1)
	v_fmac_f32_e32 v8, v9, v2
	v_fma_f32 v1, -v1, v8, v7
	s_delay_alu instid0(VALU_DEP_1) | instskip(NEXT) | instid1(VALU_DEP_1)
	v_div_fmas_f32 v1, v1, v2, v8
	v_div_fixup_f32 v2, v1, v0, 1.0
	s_delay_alu instid0(VALU_DEP_1)
	v_mul_f32_e64 v3, v3, -v2
.LBB85_214:
	s_or_b32 exec_lo, exec_lo, s1
	ds_store_b64 v33, v[2:3]
.LBB85_215:
	s_or_b32 exec_lo, exec_lo, s2
	s_wait_dscnt 0x0
	s_barrier_signal -1
	s_barrier_wait -1
	ds_load_b64 v[220:221], v33
	s_mov_b32 s1, exec_lo
	v_cmpx_lt_u32_e32 23, v32
	s_cbranch_execz .LBB85_217
; %bb.216:
	ds_load_2addr_b64 v[224:227], v6 offset0:24 offset1:25
	s_wait_dscnt 0x1
	v_pk_mul_f32 v[0:1], v[220:221], v[78:79] op_sel:[1,1] op_sel_hi:[0,1]
	s_delay_alu instid0(VALU_DEP_1) | instskip(SKIP_1) | instid1(VALU_DEP_1)
	v_pk_fma_f32 v[222:223], v[220:221], v[78:79], v[0:1] op_sel_hi:[1,0,1] neg_lo:[0,0,1] neg_hi:[0,0,1]
	v_pk_fma_f32 v[0:1], v[220:221], v[78:79], v[0:1] op_sel_hi:[1,0,1]
	v_dual_mov_b32 v78, v222 :: v_dual_mov_b32 v79, v1
	s_wait_dscnt 0x0
	s_delay_alu instid0(VALU_DEP_2) | instskip(NEXT) | instid1(VALU_DEP_1)
	v_pk_mul_f32 v[2:3], v[224:225], v[0:1] op_sel:[0,1]
	v_pk_fma_f32 v[8:9], v[224:225], v[222:223], v[2:3] op_sel:[0,0,1] op_sel_hi:[1,1,0] neg_lo:[0,0,1] neg_hi:[0,0,1]
	v_pk_fma_f32 v[2:3], v[224:225], v[222:223], v[2:3] op_sel:[0,0,1] op_sel_hi:[1,0,0]
	s_delay_alu instid0(VALU_DEP_1) | instskip(SKIP_1) | instid1(VALU_DEP_2)
	v_mov_b32_e32 v9, v3
	v_pk_mul_f32 v[2:3], v[226:227], v[0:1] op_sel:[0,1]
	v_pk_add_f32 v[106:107], v[106:107], v[8:9] neg_lo:[0,1] neg_hi:[0,1]
	s_delay_alu instid0(VALU_DEP_2) | instskip(SKIP_3) | instid1(VALU_DEP_1)
	v_pk_fma_f32 v[8:9], v[226:227], v[222:223], v[2:3] op_sel:[0,0,1] op_sel_hi:[1,1,0] neg_lo:[0,0,1] neg_hi:[0,0,1]
	v_pk_fma_f32 v[2:3], v[226:227], v[222:223], v[2:3] op_sel:[0,0,1] op_sel_hi:[1,0,0]
	ds_load_2addr_b64 v[224:227], v6 offset0:26 offset1:27
	v_mov_b32_e32 v9, v3
	v_pk_add_f32 v[102:103], v[102:103], v[8:9] neg_lo:[0,1] neg_hi:[0,1]
	s_wait_dscnt 0x0
	v_pk_mul_f32 v[2:3], v[224:225], v[0:1] op_sel:[0,1]
	v_mul_f32_e32 v10, v227, v222
	s_delay_alu instid0(VALU_DEP_2) | instskip(SKIP_1) | instid1(VALU_DEP_1)
	v_pk_fma_f32 v[8:9], v[224:225], v[222:223], v[2:3] op_sel:[0,0,1] op_sel_hi:[1,1,0] neg_lo:[0,0,1] neg_hi:[0,0,1]
	v_pk_fma_f32 v[2:3], v[224:225], v[222:223], v[2:3] op_sel:[0,0,1] op_sel_hi:[1,0,0]
	v_dual_mov_b32 v2, v227 :: v_dual_mov_b32 v9, v3
	v_mov_b32_e32 v3, v226
	s_delay_alu instid0(VALU_DEP_2) | instskip(SKIP_1) | instid1(VALU_DEP_3)
	v_pk_add_f32 v[104:105], v[104:105], v[8:9] neg_lo:[0,1] neg_hi:[0,1]
	v_mul_f32_e32 v8, v227, v1
	v_pk_fma_f32 v[2:3], v[2:3], v[78:79], v[10:11] op_sel_hi:[1,1,0]
	s_delay_alu instid0(VALU_DEP_2) | instskip(SKIP_2) | instid1(VALU_DEP_1)
	v_pk_fma_f32 v[8:9], v[226:227], v[78:79], v[8:9] op_sel_hi:[1,1,0] neg_lo:[0,0,1] neg_hi:[0,0,1]
	ds_load_2addr_b64 v[224:227], v6 offset0:28 offset1:29
	v_mov_b32_e32 v9, v3
	v_pk_add_f32 v[100:101], v[100:101], v[8:9] neg_lo:[0,1] neg_hi:[0,1]
	s_wait_dscnt 0x0
	v_pk_mul_f32 v[2:3], v[224:225], v[0:1] op_sel:[0,1]
	s_delay_alu instid0(VALU_DEP_1) | instskip(SKIP_1) | instid1(VALU_DEP_1)
	v_pk_fma_f32 v[8:9], v[224:225], v[222:223], v[2:3] op_sel:[0,0,1] op_sel_hi:[1,1,0] neg_lo:[0,0,1] neg_hi:[0,0,1]
	v_pk_fma_f32 v[2:3], v[224:225], v[222:223], v[2:3] op_sel:[0,0,1] op_sel_hi:[1,0,0]
	v_mov_b32_e32 v9, v3
	v_pk_mul_f32 v[2:3], v[226:227], v[0:1] op_sel:[0,1]
	s_delay_alu instid0(VALU_DEP_2) | instskip(NEXT) | instid1(VALU_DEP_2)
	v_pk_add_f32 v[128:129], v[128:129], v[8:9] neg_lo:[0,1] neg_hi:[0,1]
	v_pk_fma_f32 v[8:9], v[226:227], v[222:223], v[2:3] op_sel:[0,0,1] op_sel_hi:[1,1,0] neg_lo:[0,0,1] neg_hi:[0,0,1]
	v_pk_fma_f32 v[2:3], v[226:227], v[222:223], v[2:3] op_sel:[0,0,1] op_sel_hi:[1,0,0]
	ds_load_2addr_b64 v[224:227], v6 offset0:30 offset1:31
	v_mov_b32_e32 v9, v3
	s_delay_alu instid0(VALU_DEP_1) | instskip(SKIP_2) | instid1(VALU_DEP_1)
	v_pk_add_f32 v[124:125], v[124:125], v[8:9] neg_lo:[0,1] neg_hi:[0,1]
	s_wait_dscnt 0x0
	v_pk_mul_f32 v[2:3], v[224:225], v[0:1] op_sel:[0,1]
	v_pk_fma_f32 v[8:9], v[224:225], v[222:223], v[2:3] op_sel:[0,0,1] op_sel_hi:[1,1,0] neg_lo:[0,0,1] neg_hi:[0,0,1]
	v_pk_fma_f32 v[2:3], v[224:225], v[222:223], v[2:3] op_sel:[0,0,1] op_sel_hi:[1,0,0]
	s_delay_alu instid0(VALU_DEP_1) | instskip(SKIP_1) | instid1(VALU_DEP_2)
	v_mov_b32_e32 v9, v3
	v_pk_mul_f32 v[2:3], v[226:227], v[0:1] op_sel:[0,1]
	v_pk_add_f32 v[126:127], v[126:127], v[8:9] neg_lo:[0,1] neg_hi:[0,1]
	s_delay_alu instid0(VALU_DEP_2) | instskip(SKIP_3) | instid1(VALU_DEP_1)
	v_pk_fma_f32 v[8:9], v[226:227], v[222:223], v[2:3] op_sel:[0,0,1] op_sel_hi:[1,1,0] neg_lo:[0,0,1] neg_hi:[0,0,1]
	v_pk_fma_f32 v[2:3], v[226:227], v[222:223], v[2:3] op_sel:[0,0,1] op_sel_hi:[1,0,0]
	ds_load_2addr_b64 v[224:227], v6 offset0:32 offset1:33
	v_mov_b32_e32 v9, v3
	v_pk_add_f32 v[122:123], v[122:123], v[8:9] neg_lo:[0,1] neg_hi:[0,1]
	s_wait_dscnt 0x0
	v_dual_mul_f32 v8, v225, v222 :: v_dual_mul_f32 v2, v225, v1
	s_delay_alu instid0(VALU_DEP_1) | instskip(NEXT) | instid1(VALU_DEP_2)
	v_pk_fma_f32 v[8:9], v[224:225], v[78:79], v[8:9] op_sel:[1,0,0] op_sel_hi:[0,1,0]
	v_pk_fma_f32 v[2:3], v[224:225], v[78:79], v[2:3] op_sel_hi:[1,1,0] neg_lo:[0,0,1] neg_hi:[0,0,1]
	s_delay_alu instid0(VALU_DEP_2) | instskip(NEXT) | instid1(VALU_DEP_1)
	v_mov_b32_e32 v3, v9
	v_pk_add_f32 v[146:147], v[146:147], v[2:3] neg_lo:[0,1] neg_hi:[0,1]
	v_pk_mul_f32 v[2:3], v[226:227], v[0:1] op_sel:[0,1]
	s_delay_alu instid0(VALU_DEP_1) | instskip(SKIP_3) | instid1(VALU_DEP_1)
	v_pk_fma_f32 v[8:9], v[226:227], v[222:223], v[2:3] op_sel:[0,0,1] op_sel_hi:[1,1,0] neg_lo:[0,0,1] neg_hi:[0,0,1]
	v_pk_fma_f32 v[2:3], v[226:227], v[222:223], v[2:3] op_sel:[0,0,1] op_sel_hi:[1,0,0]
	ds_load_2addr_b64 v[224:227], v6 offset0:34 offset1:35
	v_mov_b32_e32 v9, v3
	v_pk_add_f32 v[142:143], v[142:143], v[8:9] neg_lo:[0,1] neg_hi:[0,1]
	s_wait_dscnt 0x0
	v_pk_mul_f32 v[2:3], v[224:225], v[0:1] op_sel:[0,1]
	s_delay_alu instid0(VALU_DEP_1) | instskip(SKIP_1) | instid1(VALU_DEP_1)
	v_pk_fma_f32 v[8:9], v[224:225], v[222:223], v[2:3] op_sel:[0,0,1] op_sel_hi:[1,1,0] neg_lo:[0,0,1] neg_hi:[0,0,1]
	v_pk_fma_f32 v[2:3], v[224:225], v[222:223], v[2:3] op_sel:[0,0,1] op_sel_hi:[1,0,0]
	v_mov_b32_e32 v9, v3
	v_pk_mul_f32 v[2:3], v[226:227], v[0:1] op_sel:[0,1]
	s_delay_alu instid0(VALU_DEP_2) | instskip(NEXT) | instid1(VALU_DEP_2)
	v_pk_add_f32 v[144:145], v[144:145], v[8:9] neg_lo:[0,1] neg_hi:[0,1]
	v_pk_fma_f32 v[8:9], v[226:227], v[222:223], v[2:3] op_sel:[0,0,1] op_sel_hi:[1,1,0] neg_lo:[0,0,1] neg_hi:[0,0,1]
	v_pk_fma_f32 v[2:3], v[226:227], v[222:223], v[2:3] op_sel:[0,0,1] op_sel_hi:[1,0,0]
	ds_load_2addr_b64 v[224:227], v6 offset0:36 offset1:37
	v_mov_b32_e32 v9, v3
	s_delay_alu instid0(VALU_DEP_1) | instskip(SKIP_3) | instid1(VALU_DEP_2)
	v_pk_add_f32 v[140:141], v[140:141], v[8:9] neg_lo:[0,1] neg_hi:[0,1]
	s_wait_dscnt 0x0
	v_pk_mul_f32 v[2:3], v[224:225], v[0:1] op_sel:[0,1]
	v_mul_f32_e32 v10, v227, v222
	v_pk_fma_f32 v[8:9], v[224:225], v[222:223], v[2:3] op_sel:[0,0,1] op_sel_hi:[1,1,0] neg_lo:[0,0,1] neg_hi:[0,0,1]
	v_pk_fma_f32 v[2:3], v[224:225], v[222:223], v[2:3] op_sel:[0,0,1] op_sel_hi:[1,0,0]
	s_delay_alu instid0(VALU_DEP_1) | instskip(SKIP_1) | instid1(VALU_DEP_2)
	v_dual_mov_b32 v2, v227 :: v_dual_mov_b32 v9, v3
	v_mov_b32_e32 v3, v226
	v_pk_add_f32 v[166:167], v[166:167], v[8:9] neg_lo:[0,1] neg_hi:[0,1]
	v_mul_f32_e32 v8, v227, v1
	s_delay_alu instid0(VALU_DEP_3) | instskip(NEXT) | instid1(VALU_DEP_2)
	v_pk_fma_f32 v[2:3], v[2:3], v[78:79], v[10:11] op_sel_hi:[1,1,0]
	v_pk_fma_f32 v[8:9], v[226:227], v[78:79], v[8:9] op_sel_hi:[1,1,0] neg_lo:[0,0,1] neg_hi:[0,0,1]
	ds_load_2addr_b64 v[224:227], v6 offset0:38 offset1:39
	v_mov_b32_e32 v9, v3
	s_delay_alu instid0(VALU_DEP_1) | instskip(SKIP_2) | instid1(VALU_DEP_1)
	v_pk_add_f32 v[160:161], v[160:161], v[8:9] neg_lo:[0,1] neg_hi:[0,1]
	s_wait_dscnt 0x0
	v_pk_mul_f32 v[2:3], v[224:225], v[0:1] op_sel:[0,1]
	v_pk_fma_f32 v[8:9], v[224:225], v[222:223], v[2:3] op_sel:[0,0,1] op_sel_hi:[1,1,0] neg_lo:[0,0,1] neg_hi:[0,0,1]
	v_pk_fma_f32 v[2:3], v[224:225], v[222:223], v[2:3] op_sel:[0,0,1] op_sel_hi:[1,0,0]
	s_delay_alu instid0(VALU_DEP_1) | instskip(SKIP_1) | instid1(VALU_DEP_2)
	v_mov_b32_e32 v9, v3
	v_pk_mul_f32 v[2:3], v[226:227], v[0:1] op_sel:[0,1]
	v_pk_add_f32 v[164:165], v[164:165], v[8:9] neg_lo:[0,1] neg_hi:[0,1]
	s_delay_alu instid0(VALU_DEP_2) | instskip(SKIP_3) | instid1(VALU_DEP_1)
	v_pk_fma_f32 v[8:9], v[226:227], v[222:223], v[2:3] op_sel:[0,0,1] op_sel_hi:[1,1,0] neg_lo:[0,0,1] neg_hi:[0,0,1]
	v_pk_fma_f32 v[2:3], v[226:227], v[222:223], v[2:3] op_sel:[0,0,1] op_sel_hi:[1,0,0]
	ds_load_2addr_b64 v[224:227], v6 offset0:40 offset1:41
	v_mov_b32_e32 v9, v3
	v_pk_add_f32 v[158:159], v[158:159], v[8:9] neg_lo:[0,1] neg_hi:[0,1]
	s_wait_dscnt 0x0
	v_pk_mul_f32 v[2:3], v[224:225], v[0:1] op_sel:[0,1]
	s_delay_alu instid0(VALU_DEP_1) | instskip(SKIP_1) | instid1(VALU_DEP_1)
	v_pk_fma_f32 v[8:9], v[224:225], v[222:223], v[2:3] op_sel:[0,0,1] op_sel_hi:[1,1,0] neg_lo:[0,0,1] neg_hi:[0,0,1]
	v_pk_fma_f32 v[2:3], v[224:225], v[222:223], v[2:3] op_sel:[0,0,1] op_sel_hi:[1,0,0]
	v_mov_b32_e32 v9, v3
	v_pk_mul_f32 v[2:3], v[226:227], v[0:1] op_sel:[0,1]
	s_delay_alu instid0(VALU_DEP_2) | instskip(NEXT) | instid1(VALU_DEP_2)
	v_pk_add_f32 v[162:163], v[162:163], v[8:9] neg_lo:[0,1] neg_hi:[0,1]
	v_pk_fma_f32 v[8:9], v[226:227], v[222:223], v[2:3] op_sel:[0,0,1] op_sel_hi:[1,1,0] neg_lo:[0,0,1] neg_hi:[0,0,1]
	v_pk_fma_f32 v[2:3], v[226:227], v[222:223], v[2:3] op_sel:[0,0,1] op_sel_hi:[1,0,0]
	s_delay_alu instid0(VALU_DEP_1) | instskip(SKIP_4) | instid1(VALU_DEP_1)
	v_mov_b32_e32 v9, v3
	ds_load_b64 v[2:3], v6 offset:336
	v_pk_add_f32 v[168:169], v[168:169], v[8:9] neg_lo:[0,1] neg_hi:[0,1]
	s_wait_dscnt 0x0
	v_pk_mul_f32 v[0:1], v[2:3], v[0:1] op_sel:[0,1]
	v_pk_fma_f32 v[8:9], v[2:3], v[222:223], v[0:1] op_sel:[0,0,1] op_sel_hi:[1,1,0] neg_lo:[0,0,1] neg_hi:[0,0,1]
	v_pk_fma_f32 v[0:1], v[2:3], v[222:223], v[0:1] op_sel:[0,0,1] op_sel_hi:[1,0,0]
	s_delay_alu instid0(VALU_DEP_1) | instskip(NEXT) | instid1(VALU_DEP_1)
	v_mov_b32_e32 v9, v1
	v_pk_add_f32 v[170:171], v[170:171], v[8:9] neg_lo:[0,1] neg_hi:[0,1]
.LBB85_217:
	s_or_b32 exec_lo, exec_lo, s1
	s_delay_alu instid0(SALU_CYCLE_1)
	s_mov_b32 s2, exec_lo
	s_wait_dscnt 0x0
	s_barrier_signal -1
	s_barrier_wait -1
	v_cmpx_eq_u32_e32 24, v32
	s_cbranch_execz .LBB85_224
; %bb.218:
	ds_store_b64 v33, v[106:107]
	ds_store_2addr_b64 v6, v[102:103], v[104:105] offset0:25 offset1:26
	ds_store_2addr_b64 v6, v[100:101], v[128:129] offset0:27 offset1:28
	;; [unrolled: 1-line block ×9, first 2 shown]
	ds_load_b64 v[0:1], v33
	s_wait_dscnt 0x0
	v_cmp_neq_f32_e32 vcc_lo, 0, v0
	v_cmp_neq_f32_e64 s1, 0, v1
	s_or_b32 s1, vcc_lo, s1
	s_delay_alu instid0(SALU_CYCLE_1)
	s_and_b32 exec_lo, exec_lo, s1
	s_cbranch_execz .LBB85_224
; %bb.219:
	v_cmp_ngt_f32_e64 s1, |v0|, |v1|
                                        ; implicit-def: $vgpr2_vgpr3
	s_and_saveexec_b32 s4, s1
	s_delay_alu instid0(SALU_CYCLE_1)
	s_xor_b32 s1, exec_lo, s4
	s_cbranch_execz .LBB85_221
; %bb.220:
	v_div_scale_f32 v2, null, v1, v1, v0
	v_div_scale_f32 v8, vcc_lo, v0, v1, v0
	s_delay_alu instid0(VALU_DEP_2) | instskip(SKIP_1) | instid1(TRANS32_DEP_1)
	v_rcp_f32_e32 v3, v2
	v_nop
	v_fma_f32 v7, -v2, v3, 1.0
	s_delay_alu instid0(VALU_DEP_1) | instskip(NEXT) | instid1(VALU_DEP_1)
	v_fmac_f32_e32 v3, v7, v3
	v_mul_f32_e32 v7, v8, v3
	s_delay_alu instid0(VALU_DEP_1) | instskip(NEXT) | instid1(VALU_DEP_1)
	v_fma_f32 v9, -v2, v7, v8
	v_fmac_f32_e32 v7, v9, v3
	s_delay_alu instid0(VALU_DEP_1) | instskip(NEXT) | instid1(VALU_DEP_1)
	v_fma_f32 v2, -v2, v7, v8
	v_div_fmas_f32 v2, v2, v3, v7
	s_delay_alu instid0(VALU_DEP_1) | instskip(NEXT) | instid1(VALU_DEP_1)
	v_div_fixup_f32 v2, v2, v1, v0
	v_fmac_f32_e32 v1, v0, v2
	s_delay_alu instid0(VALU_DEP_1) | instskip(SKIP_1) | instid1(VALU_DEP_2)
	v_div_scale_f32 v0, null, v1, v1, 1.0
	v_div_scale_f32 v8, vcc_lo, 1.0, v1, 1.0
	v_rcp_f32_e32 v3, v0
	v_nop
	s_delay_alu instid0(TRANS32_DEP_1) | instskip(NEXT) | instid1(VALU_DEP_1)
	v_fma_f32 v7, -v0, v3, 1.0
	v_fmac_f32_e32 v3, v7, v3
	s_delay_alu instid0(VALU_DEP_1) | instskip(NEXT) | instid1(VALU_DEP_1)
	v_mul_f32_e32 v7, v8, v3
	v_fma_f32 v9, -v0, v7, v8
	s_delay_alu instid0(VALU_DEP_1) | instskip(NEXT) | instid1(VALU_DEP_1)
	v_fmac_f32_e32 v7, v9, v3
	v_fma_f32 v0, -v0, v7, v8
	s_delay_alu instid0(VALU_DEP_1) | instskip(NEXT) | instid1(VALU_DEP_1)
	v_div_fmas_f32 v0, v0, v3, v7
	v_div_fixup_f32 v0, v0, v1, 1.0
	s_delay_alu instid0(VALU_DEP_1)
	v_mul_f32_e32 v2, v2, v0
	v_xor_b32_e32 v3, 0x80000000, v0
                                        ; implicit-def: $vgpr0_vgpr1
.LBB85_221:
	s_and_not1_saveexec_b32 s1, s1
	s_cbranch_execz .LBB85_223
; %bb.222:
	v_div_scale_f32 v2, null, v0, v0, v1
	v_div_scale_f32 v8, vcc_lo, v1, v0, v1
	s_delay_alu instid0(VALU_DEP_2) | instskip(SKIP_1) | instid1(TRANS32_DEP_1)
	v_rcp_f32_e32 v3, v2
	v_nop
	v_fma_f32 v7, -v2, v3, 1.0
	s_delay_alu instid0(VALU_DEP_1) | instskip(NEXT) | instid1(VALU_DEP_1)
	v_fmac_f32_e32 v3, v7, v3
	v_mul_f32_e32 v7, v8, v3
	s_delay_alu instid0(VALU_DEP_1) | instskip(NEXT) | instid1(VALU_DEP_1)
	v_fma_f32 v9, -v2, v7, v8
	v_fmac_f32_e32 v7, v9, v3
	s_delay_alu instid0(VALU_DEP_1) | instskip(NEXT) | instid1(VALU_DEP_1)
	v_fma_f32 v2, -v2, v7, v8
	v_div_fmas_f32 v2, v2, v3, v7
	s_delay_alu instid0(VALU_DEP_1) | instskip(NEXT) | instid1(VALU_DEP_1)
	v_div_fixup_f32 v3, v2, v0, v1
	v_fmac_f32_e32 v0, v1, v3
	s_delay_alu instid0(VALU_DEP_1) | instskip(NEXT) | instid1(VALU_DEP_1)
	v_div_scale_f32 v1, null, v0, v0, 1.0
	v_rcp_f32_e32 v2, v1
	v_nop
	s_delay_alu instid0(TRANS32_DEP_1) | instskip(NEXT) | instid1(VALU_DEP_1)
	v_fma_f32 v7, -v1, v2, 1.0
	v_fmac_f32_e32 v2, v7, v2
	v_div_scale_f32 v7, vcc_lo, 1.0, v0, 1.0
	s_delay_alu instid0(VALU_DEP_1) | instskip(NEXT) | instid1(VALU_DEP_1)
	v_mul_f32_e32 v8, v7, v2
	v_fma_f32 v9, -v1, v8, v7
	s_delay_alu instid0(VALU_DEP_1) | instskip(NEXT) | instid1(VALU_DEP_1)
	v_fmac_f32_e32 v8, v9, v2
	v_fma_f32 v1, -v1, v8, v7
	s_delay_alu instid0(VALU_DEP_1) | instskip(NEXT) | instid1(VALU_DEP_1)
	v_div_fmas_f32 v1, v1, v2, v8
	v_div_fixup_f32 v2, v1, v0, 1.0
	s_delay_alu instid0(VALU_DEP_1)
	v_mul_f32_e64 v3, v3, -v2
.LBB85_223:
	s_or_b32 exec_lo, exec_lo, s1
	ds_store_b64 v33, v[2:3]
.LBB85_224:
	s_or_b32 exec_lo, exec_lo, s2
	s_wait_dscnt 0x0
	s_barrier_signal -1
	s_barrier_wait -1
	ds_load_b64 v[222:223], v33
	s_mov_b32 s1, exec_lo
	v_cmpx_lt_u32_e32 24, v32
	s_cbranch_execz .LBB85_226
; %bb.225:
	ds_load_2addr_b64 v[226:229], v6 offset0:25 offset1:26
	s_wait_dscnt 0x1
	v_pk_mul_f32 v[2:3], v[222:223], v[106:107] op_sel:[1,1] op_sel_hi:[0,1]
	s_delay_alu instid0(VALU_DEP_1) | instskip(SKIP_1) | instid1(VALU_DEP_1)
	v_pk_fma_f32 v[224:225], v[222:223], v[106:107], v[2:3] op_sel_hi:[1,0,1]
	v_pk_fma_f32 v[0:1], v[222:223], v[106:107], v[2:3] op_sel_hi:[1,0,1] neg_lo:[0,0,1] neg_hi:[0,0,1]
	v_dual_mov_b32 v107, v225 :: v_dual_mov_b32 v106, v0
	s_wait_dscnt 0x0
	s_delay_alu instid0(VALU_DEP_3) | instskip(NEXT) | instid1(VALU_DEP_1)
	v_pk_mul_f32 v[2:3], v[226:227], v[224:225] op_sel:[0,1]
	v_pk_fma_f32 v[8:9], v[226:227], v[0:1], v[2:3] op_sel:[0,0,1] op_sel_hi:[1,1,0] neg_lo:[0,0,1] neg_hi:[0,0,1]
	v_pk_fma_f32 v[2:3], v[226:227], v[0:1], v[2:3] op_sel:[0,0,1] op_sel_hi:[1,0,0]
	s_delay_alu instid0(VALU_DEP_1) | instskip(SKIP_1) | instid1(VALU_DEP_2)
	v_mov_b32_e32 v9, v3
	v_pk_mul_f32 v[2:3], v[228:229], v[224:225] op_sel:[0,1]
	v_pk_add_f32 v[102:103], v[102:103], v[8:9] neg_lo:[0,1] neg_hi:[0,1]
	s_delay_alu instid0(VALU_DEP_2) | instskip(SKIP_3) | instid1(VALU_DEP_1)
	v_pk_fma_f32 v[8:9], v[228:229], v[0:1], v[2:3] op_sel:[0,0,1] op_sel_hi:[1,1,0] neg_lo:[0,0,1] neg_hi:[0,0,1]
	v_pk_fma_f32 v[2:3], v[228:229], v[0:1], v[2:3] op_sel:[0,0,1] op_sel_hi:[1,0,0]
	ds_load_2addr_b64 v[226:229], v6 offset0:27 offset1:28
	v_mov_b32_e32 v9, v3
	v_pk_add_f32 v[104:105], v[104:105], v[8:9] neg_lo:[0,1] neg_hi:[0,1]
	s_wait_dscnt 0x0
	v_pk_mul_f32 v[2:3], v[226:227], v[224:225] op_sel:[0,1]
	v_mul_f32_e32 v10, v229, v0
	s_delay_alu instid0(VALU_DEP_2) | instskip(SKIP_1) | instid1(VALU_DEP_1)
	v_pk_fma_f32 v[8:9], v[226:227], v[0:1], v[2:3] op_sel:[0,0,1] op_sel_hi:[1,1,0] neg_lo:[0,0,1] neg_hi:[0,0,1]
	v_pk_fma_f32 v[2:3], v[226:227], v[0:1], v[2:3] op_sel:[0,0,1] op_sel_hi:[1,0,0]
	v_dual_mov_b32 v2, v229 :: v_dual_mov_b32 v9, v3
	v_mov_b32_e32 v3, v228
	s_delay_alu instid0(VALU_DEP_2) | instskip(SKIP_1) | instid1(VALU_DEP_3)
	v_pk_add_f32 v[100:101], v[100:101], v[8:9] neg_lo:[0,1] neg_hi:[0,1]
	v_mul_f32_e32 v8, v229, v225
	v_pk_fma_f32 v[2:3], v[2:3], v[106:107], v[10:11] op_sel_hi:[1,1,0]
	s_delay_alu instid0(VALU_DEP_2) | instskip(SKIP_2) | instid1(VALU_DEP_1)
	v_pk_fma_f32 v[8:9], v[228:229], v[106:107], v[8:9] op_sel_hi:[1,1,0] neg_lo:[0,0,1] neg_hi:[0,0,1]
	ds_load_2addr_b64 v[226:229], v6 offset0:29 offset1:30
	v_mov_b32_e32 v9, v3
	v_pk_add_f32 v[128:129], v[128:129], v[8:9] neg_lo:[0,1] neg_hi:[0,1]
	s_wait_dscnt 0x0
	v_pk_mul_f32 v[2:3], v[226:227], v[224:225] op_sel:[0,1]
	s_delay_alu instid0(VALU_DEP_1) | instskip(SKIP_1) | instid1(VALU_DEP_1)
	v_pk_fma_f32 v[8:9], v[226:227], v[0:1], v[2:3] op_sel:[0,0,1] op_sel_hi:[1,1,0] neg_lo:[0,0,1] neg_hi:[0,0,1]
	v_pk_fma_f32 v[2:3], v[226:227], v[0:1], v[2:3] op_sel:[0,0,1] op_sel_hi:[1,0,0]
	v_mov_b32_e32 v9, v3
	v_pk_mul_f32 v[2:3], v[228:229], v[224:225] op_sel:[0,1]
	s_delay_alu instid0(VALU_DEP_2) | instskip(NEXT) | instid1(VALU_DEP_2)
	v_pk_add_f32 v[124:125], v[124:125], v[8:9] neg_lo:[0,1] neg_hi:[0,1]
	v_pk_fma_f32 v[8:9], v[228:229], v[0:1], v[2:3] op_sel:[0,0,1] op_sel_hi:[1,1,0] neg_lo:[0,0,1] neg_hi:[0,0,1]
	v_pk_fma_f32 v[2:3], v[228:229], v[0:1], v[2:3] op_sel:[0,0,1] op_sel_hi:[1,0,0]
	ds_load_2addr_b64 v[226:229], v6 offset0:31 offset1:32
	v_mov_b32_e32 v9, v3
	s_delay_alu instid0(VALU_DEP_1) | instskip(SKIP_2) | instid1(VALU_DEP_1)
	v_pk_add_f32 v[126:127], v[126:127], v[8:9] neg_lo:[0,1] neg_hi:[0,1]
	s_wait_dscnt 0x0
	v_pk_mul_f32 v[2:3], v[226:227], v[224:225] op_sel:[0,1]
	v_pk_fma_f32 v[8:9], v[226:227], v[0:1], v[2:3] op_sel:[0,0,1] op_sel_hi:[1,1,0] neg_lo:[0,0,1] neg_hi:[0,0,1]
	v_pk_fma_f32 v[2:3], v[226:227], v[0:1], v[2:3] op_sel:[0,0,1] op_sel_hi:[1,0,0]
	s_delay_alu instid0(VALU_DEP_1) | instskip(SKIP_1) | instid1(VALU_DEP_2)
	v_mov_b32_e32 v9, v3
	v_pk_mul_f32 v[2:3], v[228:229], v[224:225] op_sel:[0,1]
	v_pk_add_f32 v[122:123], v[122:123], v[8:9] neg_lo:[0,1] neg_hi:[0,1]
	s_delay_alu instid0(VALU_DEP_2) | instskip(SKIP_3) | instid1(VALU_DEP_1)
	v_pk_fma_f32 v[8:9], v[228:229], v[0:1], v[2:3] op_sel:[0,0,1] op_sel_hi:[1,1,0] neg_lo:[0,0,1] neg_hi:[0,0,1]
	v_pk_fma_f32 v[2:3], v[228:229], v[0:1], v[2:3] op_sel:[0,0,1] op_sel_hi:[1,0,0]
	ds_load_2addr_b64 v[226:229], v6 offset0:33 offset1:34
	v_mov_b32_e32 v9, v3
	v_pk_add_f32 v[146:147], v[146:147], v[8:9] neg_lo:[0,1] neg_hi:[0,1]
	s_wait_dscnt 0x0
	v_dual_mul_f32 v2, v227, v225 :: v_dual_mul_f32 v8, v227, v0
	s_delay_alu instid0(VALU_DEP_1) | instskip(NEXT) | instid1(VALU_DEP_2)
	v_pk_fma_f32 v[2:3], v[226:227], v[106:107], v[2:3] op_sel_hi:[1,1,0] neg_lo:[0,0,1] neg_hi:[0,0,1]
	v_pk_fma_f32 v[8:9], v[226:227], v[106:107], v[8:9] op_sel:[1,0,0] op_sel_hi:[0,1,0]
	s_delay_alu instid0(VALU_DEP_1) | instskip(NEXT) | instid1(VALU_DEP_1)
	v_mov_b32_e32 v3, v9
	v_pk_add_f32 v[142:143], v[142:143], v[2:3] neg_lo:[0,1] neg_hi:[0,1]
	v_pk_mul_f32 v[2:3], v[228:229], v[224:225] op_sel:[0,1]
	s_delay_alu instid0(VALU_DEP_1) | instskip(SKIP_3) | instid1(VALU_DEP_1)
	v_pk_fma_f32 v[8:9], v[228:229], v[0:1], v[2:3] op_sel:[0,0,1] op_sel_hi:[1,1,0] neg_lo:[0,0,1] neg_hi:[0,0,1]
	v_pk_fma_f32 v[2:3], v[228:229], v[0:1], v[2:3] op_sel:[0,0,1] op_sel_hi:[1,0,0]
	ds_load_2addr_b64 v[226:229], v6 offset0:35 offset1:36
	v_mov_b32_e32 v9, v3
	v_pk_add_f32 v[144:145], v[144:145], v[8:9] neg_lo:[0,1] neg_hi:[0,1]
	s_wait_dscnt 0x0
	v_pk_mul_f32 v[2:3], v[226:227], v[224:225] op_sel:[0,1]
	s_delay_alu instid0(VALU_DEP_1) | instskip(SKIP_1) | instid1(VALU_DEP_1)
	v_pk_fma_f32 v[8:9], v[226:227], v[0:1], v[2:3] op_sel:[0,0,1] op_sel_hi:[1,1,0] neg_lo:[0,0,1] neg_hi:[0,0,1]
	v_pk_fma_f32 v[2:3], v[226:227], v[0:1], v[2:3] op_sel:[0,0,1] op_sel_hi:[1,0,0]
	v_mov_b32_e32 v9, v3
	v_pk_mul_f32 v[2:3], v[228:229], v[224:225] op_sel:[0,1]
	s_delay_alu instid0(VALU_DEP_2) | instskip(NEXT) | instid1(VALU_DEP_2)
	v_pk_add_f32 v[140:141], v[140:141], v[8:9] neg_lo:[0,1] neg_hi:[0,1]
	v_pk_fma_f32 v[8:9], v[228:229], v[0:1], v[2:3] op_sel:[0,0,1] op_sel_hi:[1,1,0] neg_lo:[0,0,1] neg_hi:[0,0,1]
	v_pk_fma_f32 v[2:3], v[228:229], v[0:1], v[2:3] op_sel:[0,0,1] op_sel_hi:[1,0,0]
	ds_load_2addr_b64 v[226:229], v6 offset0:37 offset1:38
	v_mov_b32_e32 v9, v3
	s_delay_alu instid0(VALU_DEP_1) | instskip(SKIP_3) | instid1(VALU_DEP_2)
	v_pk_add_f32 v[166:167], v[166:167], v[8:9] neg_lo:[0,1] neg_hi:[0,1]
	s_wait_dscnt 0x0
	v_pk_mul_f32 v[2:3], v[226:227], v[224:225] op_sel:[0,1]
	v_mul_f32_e32 v10, v229, v0
	v_pk_fma_f32 v[8:9], v[226:227], v[0:1], v[2:3] op_sel:[0,0,1] op_sel_hi:[1,1,0] neg_lo:[0,0,1] neg_hi:[0,0,1]
	v_pk_fma_f32 v[2:3], v[226:227], v[0:1], v[2:3] op_sel:[0,0,1] op_sel_hi:[1,0,0]
	s_delay_alu instid0(VALU_DEP_1) | instskip(SKIP_1) | instid1(VALU_DEP_2)
	v_dual_mov_b32 v2, v229 :: v_dual_mov_b32 v9, v3
	v_mov_b32_e32 v3, v228
	v_pk_add_f32 v[160:161], v[160:161], v[8:9] neg_lo:[0,1] neg_hi:[0,1]
	v_mul_f32_e32 v8, v229, v225
	s_delay_alu instid0(VALU_DEP_3) | instskip(NEXT) | instid1(VALU_DEP_2)
	v_pk_fma_f32 v[2:3], v[2:3], v[106:107], v[10:11] op_sel_hi:[1,1,0]
	v_pk_fma_f32 v[8:9], v[228:229], v[106:107], v[8:9] op_sel_hi:[1,1,0] neg_lo:[0,0,1] neg_hi:[0,0,1]
	ds_load_2addr_b64 v[226:229], v6 offset0:39 offset1:40
	v_mov_b32_e32 v9, v3
	s_delay_alu instid0(VALU_DEP_1) | instskip(SKIP_2) | instid1(VALU_DEP_1)
	v_pk_add_f32 v[164:165], v[164:165], v[8:9] neg_lo:[0,1] neg_hi:[0,1]
	s_wait_dscnt 0x0
	v_pk_mul_f32 v[2:3], v[226:227], v[224:225] op_sel:[0,1]
	v_pk_fma_f32 v[8:9], v[226:227], v[0:1], v[2:3] op_sel:[0,0,1] op_sel_hi:[1,1,0] neg_lo:[0,0,1] neg_hi:[0,0,1]
	v_pk_fma_f32 v[2:3], v[226:227], v[0:1], v[2:3] op_sel:[0,0,1] op_sel_hi:[1,0,0]
	s_delay_alu instid0(VALU_DEP_1) | instskip(SKIP_1) | instid1(VALU_DEP_2)
	v_mov_b32_e32 v9, v3
	v_pk_mul_f32 v[2:3], v[228:229], v[224:225] op_sel:[0,1]
	v_pk_add_f32 v[158:159], v[158:159], v[8:9] neg_lo:[0,1] neg_hi:[0,1]
	s_delay_alu instid0(VALU_DEP_2) | instskip(SKIP_3) | instid1(VALU_DEP_1)
	v_pk_fma_f32 v[8:9], v[228:229], v[0:1], v[2:3] op_sel:[0,0,1] op_sel_hi:[1,1,0] neg_lo:[0,0,1] neg_hi:[0,0,1]
	v_pk_fma_f32 v[2:3], v[228:229], v[0:1], v[2:3] op_sel:[0,0,1] op_sel_hi:[1,0,0]
	ds_load_2addr_b64 v[226:229], v6 offset0:41 offset1:42
	v_mov_b32_e32 v9, v3
	v_pk_add_f32 v[162:163], v[162:163], v[8:9] neg_lo:[0,1] neg_hi:[0,1]
	s_wait_dscnt 0x0
	v_pk_mul_f32 v[2:3], v[226:227], v[224:225] op_sel:[0,1]
	s_delay_alu instid0(VALU_DEP_1) | instskip(SKIP_2) | instid1(VALU_DEP_2)
	v_pk_fma_f32 v[8:9], v[226:227], v[0:1], v[2:3] op_sel:[0,0,1] op_sel_hi:[1,1,0] neg_lo:[0,0,1] neg_hi:[0,0,1]
	v_pk_fma_f32 v[2:3], v[226:227], v[0:1], v[2:3] op_sel:[0,0,1] op_sel_hi:[1,0,0]
	v_dual_mov_b32 v2, v229 :: v_dual_mul_f32 v0, v229, v0
	v_dual_mov_b32 v9, v3 :: v_dual_mov_b32 v3, v228
	s_delay_alu instid0(VALU_DEP_1) | instskip(SKIP_1) | instid1(VALU_DEP_3)
	v_pk_add_f32 v[168:169], v[168:169], v[8:9] neg_lo:[0,1] neg_hi:[0,1]
	v_mul_f32_e32 v8, v229, v225
	v_pk_fma_f32 v[0:1], v[2:3], v[106:107], v[0:1] op_sel_hi:[1,1,0]
	s_delay_alu instid0(VALU_DEP_2) | instskip(NEXT) | instid1(VALU_DEP_2)
	v_pk_fma_f32 v[8:9], v[228:229], v[106:107], v[8:9] op_sel_hi:[1,1,0] neg_lo:[0,0,1] neg_hi:[0,0,1]
	v_mov_b32_e32 v9, v1
	s_delay_alu instid0(VALU_DEP_1)
	v_pk_add_f32 v[170:171], v[170:171], v[8:9] neg_lo:[0,1] neg_hi:[0,1]
.LBB85_226:
	s_or_b32 exec_lo, exec_lo, s1
	s_delay_alu instid0(SALU_CYCLE_1)
	s_mov_b32 s2, exec_lo
	s_wait_dscnt 0x0
	s_barrier_signal -1
	s_barrier_wait -1
	v_cmpx_eq_u32_e32 25, v32
	s_cbranch_execz .LBB85_233
; %bb.227:
	v_dual_mov_b32 v0, v104 :: v_dual_mov_b32 v1, v105
	v_dual_mov_b32 v2, v100 :: v_dual_mov_b32 v3, v101
	;; [unrolled: 1-line block ×4, first 2 shown]
	ds_store_b64 v33, v[102:103]
	ds_store_2addr_b64 v6, v[0:1], v[2:3] offset0:26 offset1:27
	ds_store_2addr_b64 v6, v[8:9], v[10:11] offset0:28 offset1:29
	v_dual_mov_b32 v0, v126 :: v_dual_mov_b32 v1, v127
	v_dual_mov_b32 v2, v122 :: v_dual_mov_b32 v3, v123
	v_dual_mov_b32 v8, v146 :: v_dual_mov_b32 v9, v147
	v_dual_mov_b32 v10, v142 :: v_dual_mov_b32 v11, v143
	v_dual_mov_b32 v224, v144 :: v_dual_mov_b32 v225, v145
	v_dual_mov_b32 v226, v140 :: v_dual_mov_b32 v227, v141
	v_dual_mov_b32 v228, v166 :: v_dual_mov_b32 v229, v167
	v_dual_mov_b32 v230, v160 :: v_dual_mov_b32 v231, v161
	v_dual_mov_b32 v232, v164 :: v_dual_mov_b32 v233, v165
	v_dual_mov_b32 v234, v158 :: v_dual_mov_b32 v235, v159
	v_dual_mov_b32 v236, v162 :: v_dual_mov_b32 v237, v163
	v_dual_mov_b32 v238, v168 :: v_dual_mov_b32 v239, v169
	ds_store_2addr_b64 v6, v[0:1], v[2:3] offset0:30 offset1:31
	ds_store_2addr_b64 v6, v[8:9], v[10:11] offset0:32 offset1:33
	;; [unrolled: 1-line block ×6, first 2 shown]
	ds_store_b64 v6, v[170:171] offset:336
	ds_load_b64 v[0:1], v33
	s_wait_dscnt 0x0
	v_cmp_neq_f32_e32 vcc_lo, 0, v0
	v_cmp_neq_f32_e64 s1, 0, v1
	s_or_b32 s1, vcc_lo, s1
	s_delay_alu instid0(SALU_CYCLE_1)
	s_and_b32 exec_lo, exec_lo, s1
	s_cbranch_execz .LBB85_233
; %bb.228:
	v_cmp_ngt_f32_e64 s1, |v0|, |v1|
                                        ; implicit-def: $vgpr2_vgpr3
	s_and_saveexec_b32 s4, s1
	s_delay_alu instid0(SALU_CYCLE_1)
	s_xor_b32 s1, exec_lo, s4
	s_cbranch_execz .LBB85_230
; %bb.229:
	v_div_scale_f32 v2, null, v1, v1, v0
	v_div_scale_f32 v8, vcc_lo, v0, v1, v0
	s_delay_alu instid0(VALU_DEP_2) | instskip(SKIP_1) | instid1(TRANS32_DEP_1)
	v_rcp_f32_e32 v3, v2
	v_nop
	v_fma_f32 v7, -v2, v3, 1.0
	s_delay_alu instid0(VALU_DEP_1) | instskip(NEXT) | instid1(VALU_DEP_1)
	v_fmac_f32_e32 v3, v7, v3
	v_mul_f32_e32 v7, v8, v3
	s_delay_alu instid0(VALU_DEP_1) | instskip(NEXT) | instid1(VALU_DEP_1)
	v_fma_f32 v9, -v2, v7, v8
	v_fmac_f32_e32 v7, v9, v3
	s_delay_alu instid0(VALU_DEP_1) | instskip(NEXT) | instid1(VALU_DEP_1)
	v_fma_f32 v2, -v2, v7, v8
	v_div_fmas_f32 v2, v2, v3, v7
	s_delay_alu instid0(VALU_DEP_1) | instskip(NEXT) | instid1(VALU_DEP_1)
	v_div_fixup_f32 v2, v2, v1, v0
	v_fmac_f32_e32 v1, v0, v2
	s_delay_alu instid0(VALU_DEP_1) | instskip(SKIP_1) | instid1(VALU_DEP_2)
	v_div_scale_f32 v0, null, v1, v1, 1.0
	v_div_scale_f32 v8, vcc_lo, 1.0, v1, 1.0
	v_rcp_f32_e32 v3, v0
	v_nop
	s_delay_alu instid0(TRANS32_DEP_1) | instskip(NEXT) | instid1(VALU_DEP_1)
	v_fma_f32 v7, -v0, v3, 1.0
	v_fmac_f32_e32 v3, v7, v3
	s_delay_alu instid0(VALU_DEP_1) | instskip(NEXT) | instid1(VALU_DEP_1)
	v_mul_f32_e32 v7, v8, v3
	v_fma_f32 v9, -v0, v7, v8
	s_delay_alu instid0(VALU_DEP_1) | instskip(NEXT) | instid1(VALU_DEP_1)
	v_fmac_f32_e32 v7, v9, v3
	v_fma_f32 v0, -v0, v7, v8
	s_delay_alu instid0(VALU_DEP_1) | instskip(NEXT) | instid1(VALU_DEP_1)
	v_div_fmas_f32 v0, v0, v3, v7
	v_div_fixup_f32 v0, v0, v1, 1.0
	s_delay_alu instid0(VALU_DEP_1)
	v_mul_f32_e32 v2, v2, v0
	v_xor_b32_e32 v3, 0x80000000, v0
                                        ; implicit-def: $vgpr0_vgpr1
.LBB85_230:
	s_and_not1_saveexec_b32 s1, s1
	s_cbranch_execz .LBB85_232
; %bb.231:
	v_div_scale_f32 v2, null, v0, v0, v1
	v_div_scale_f32 v8, vcc_lo, v1, v0, v1
	s_delay_alu instid0(VALU_DEP_2) | instskip(SKIP_1) | instid1(TRANS32_DEP_1)
	v_rcp_f32_e32 v3, v2
	v_nop
	v_fma_f32 v7, -v2, v3, 1.0
	s_delay_alu instid0(VALU_DEP_1) | instskip(NEXT) | instid1(VALU_DEP_1)
	v_fmac_f32_e32 v3, v7, v3
	v_mul_f32_e32 v7, v8, v3
	s_delay_alu instid0(VALU_DEP_1) | instskip(NEXT) | instid1(VALU_DEP_1)
	v_fma_f32 v9, -v2, v7, v8
	v_fmac_f32_e32 v7, v9, v3
	s_delay_alu instid0(VALU_DEP_1) | instskip(NEXT) | instid1(VALU_DEP_1)
	v_fma_f32 v2, -v2, v7, v8
	v_div_fmas_f32 v2, v2, v3, v7
	s_delay_alu instid0(VALU_DEP_1) | instskip(NEXT) | instid1(VALU_DEP_1)
	v_div_fixup_f32 v3, v2, v0, v1
	v_fmac_f32_e32 v0, v1, v3
	s_delay_alu instid0(VALU_DEP_1) | instskip(NEXT) | instid1(VALU_DEP_1)
	v_div_scale_f32 v1, null, v0, v0, 1.0
	v_rcp_f32_e32 v2, v1
	v_nop
	s_delay_alu instid0(TRANS32_DEP_1) | instskip(NEXT) | instid1(VALU_DEP_1)
	v_fma_f32 v7, -v1, v2, 1.0
	v_fmac_f32_e32 v2, v7, v2
	v_div_scale_f32 v7, vcc_lo, 1.0, v0, 1.0
	s_delay_alu instid0(VALU_DEP_1) | instskip(NEXT) | instid1(VALU_DEP_1)
	v_mul_f32_e32 v8, v7, v2
	v_fma_f32 v9, -v1, v8, v7
	s_delay_alu instid0(VALU_DEP_1) | instskip(NEXT) | instid1(VALU_DEP_1)
	v_fmac_f32_e32 v8, v9, v2
	v_fma_f32 v1, -v1, v8, v7
	s_delay_alu instid0(VALU_DEP_1) | instskip(NEXT) | instid1(VALU_DEP_1)
	v_div_fmas_f32 v1, v1, v2, v8
	v_div_fixup_f32 v2, v1, v0, 1.0
	s_delay_alu instid0(VALU_DEP_1)
	v_mul_f32_e64 v3, v3, -v2
.LBB85_232:
	s_or_b32 exec_lo, exec_lo, s1
	ds_store_b64 v33, v[2:3]
.LBB85_233:
	s_or_b32 exec_lo, exec_lo, s2
	s_wait_dscnt 0x0
	s_barrier_signal -1
	s_barrier_wait -1
	ds_load_b64 v[224:225], v33
	s_mov_b32 s1, exec_lo
	v_cmpx_lt_u32_e32 25, v32
	s_cbranch_execz .LBB85_235
; %bb.234:
	ds_load_2addr_b64 v[228:231], v6 offset0:26 offset1:27
	s_wait_dscnt 0x1
	v_pk_mul_f32 v[2:3], v[224:225], v[102:103] op_sel:[1,1] op_sel_hi:[0,1]
	s_delay_alu instid0(VALU_DEP_1) | instskip(SKIP_1) | instid1(VALU_DEP_1)
	v_pk_fma_f32 v[226:227], v[224:225], v[102:103], v[2:3] op_sel_hi:[1,0,1]
	v_pk_fma_f32 v[0:1], v[224:225], v[102:103], v[2:3] op_sel_hi:[1,0,1] neg_lo:[0,0,1] neg_hi:[0,0,1]
	v_dual_mov_b32 v103, v227 :: v_dual_mov_b32 v102, v0
	s_wait_dscnt 0x0
	s_delay_alu instid0(VALU_DEP_3) | instskip(NEXT) | instid1(VALU_DEP_1)
	v_pk_mul_f32 v[2:3], v[228:229], v[226:227] op_sel:[0,1]
	v_pk_fma_f32 v[8:9], v[228:229], v[0:1], v[2:3] op_sel:[0,0,1] op_sel_hi:[1,1,0] neg_lo:[0,0,1] neg_hi:[0,0,1]
	v_pk_fma_f32 v[2:3], v[228:229], v[0:1], v[2:3] op_sel:[0,0,1] op_sel_hi:[1,0,0]
	s_delay_alu instid0(VALU_DEP_1) | instskip(SKIP_1) | instid1(VALU_DEP_2)
	v_mov_b32_e32 v9, v3
	v_pk_mul_f32 v[2:3], v[230:231], v[226:227] op_sel:[0,1]
	v_pk_add_f32 v[104:105], v[104:105], v[8:9] neg_lo:[0,1] neg_hi:[0,1]
	s_delay_alu instid0(VALU_DEP_2) | instskip(SKIP_3) | instid1(VALU_DEP_1)
	v_pk_fma_f32 v[8:9], v[230:231], v[0:1], v[2:3] op_sel:[0,0,1] op_sel_hi:[1,1,0] neg_lo:[0,0,1] neg_hi:[0,0,1]
	v_pk_fma_f32 v[2:3], v[230:231], v[0:1], v[2:3] op_sel:[0,0,1] op_sel_hi:[1,0,0]
	ds_load_2addr_b64 v[228:231], v6 offset0:28 offset1:29
	v_mov_b32_e32 v9, v3
	v_pk_add_f32 v[100:101], v[100:101], v[8:9] neg_lo:[0,1] neg_hi:[0,1]
	s_wait_dscnt 0x0
	v_pk_mul_f32 v[2:3], v[228:229], v[226:227] op_sel:[0,1]
	v_mul_f32_e32 v10, v231, v0
	s_delay_alu instid0(VALU_DEP_2) | instskip(SKIP_1) | instid1(VALU_DEP_1)
	v_pk_fma_f32 v[8:9], v[228:229], v[0:1], v[2:3] op_sel:[0,0,1] op_sel_hi:[1,1,0] neg_lo:[0,0,1] neg_hi:[0,0,1]
	v_pk_fma_f32 v[2:3], v[228:229], v[0:1], v[2:3] op_sel:[0,0,1] op_sel_hi:[1,0,0]
	v_dual_mov_b32 v2, v231 :: v_dual_mov_b32 v9, v3
	v_mov_b32_e32 v3, v230
	s_delay_alu instid0(VALU_DEP_2) | instskip(SKIP_1) | instid1(VALU_DEP_3)
	v_pk_add_f32 v[128:129], v[128:129], v[8:9] neg_lo:[0,1] neg_hi:[0,1]
	v_mul_f32_e32 v8, v231, v227
	v_pk_fma_f32 v[2:3], v[2:3], v[102:103], v[10:11] op_sel_hi:[1,1,0]
	s_delay_alu instid0(VALU_DEP_2) | instskip(SKIP_2) | instid1(VALU_DEP_1)
	v_pk_fma_f32 v[8:9], v[230:231], v[102:103], v[8:9] op_sel_hi:[1,1,0] neg_lo:[0,0,1] neg_hi:[0,0,1]
	ds_load_2addr_b64 v[228:231], v6 offset0:30 offset1:31
	v_mov_b32_e32 v9, v3
	v_pk_add_f32 v[124:125], v[124:125], v[8:9] neg_lo:[0,1] neg_hi:[0,1]
	s_wait_dscnt 0x0
	v_pk_mul_f32 v[2:3], v[228:229], v[226:227] op_sel:[0,1]
	s_delay_alu instid0(VALU_DEP_1) | instskip(SKIP_1) | instid1(VALU_DEP_1)
	v_pk_fma_f32 v[8:9], v[228:229], v[0:1], v[2:3] op_sel:[0,0,1] op_sel_hi:[1,1,0] neg_lo:[0,0,1] neg_hi:[0,0,1]
	v_pk_fma_f32 v[2:3], v[228:229], v[0:1], v[2:3] op_sel:[0,0,1] op_sel_hi:[1,0,0]
	v_mov_b32_e32 v9, v3
	v_pk_mul_f32 v[2:3], v[230:231], v[226:227] op_sel:[0,1]
	s_delay_alu instid0(VALU_DEP_2) | instskip(NEXT) | instid1(VALU_DEP_2)
	v_pk_add_f32 v[126:127], v[126:127], v[8:9] neg_lo:[0,1] neg_hi:[0,1]
	v_pk_fma_f32 v[8:9], v[230:231], v[0:1], v[2:3] op_sel:[0,0,1] op_sel_hi:[1,1,0] neg_lo:[0,0,1] neg_hi:[0,0,1]
	v_pk_fma_f32 v[2:3], v[230:231], v[0:1], v[2:3] op_sel:[0,0,1] op_sel_hi:[1,0,0]
	ds_load_2addr_b64 v[228:231], v6 offset0:32 offset1:33
	v_mov_b32_e32 v9, v3
	s_delay_alu instid0(VALU_DEP_1) | instskip(SKIP_2) | instid1(VALU_DEP_1)
	v_pk_add_f32 v[122:123], v[122:123], v[8:9] neg_lo:[0,1] neg_hi:[0,1]
	s_wait_dscnt 0x0
	v_pk_mul_f32 v[2:3], v[228:229], v[226:227] op_sel:[0,1]
	v_pk_fma_f32 v[8:9], v[228:229], v[0:1], v[2:3] op_sel:[0,0,1] op_sel_hi:[1,1,0] neg_lo:[0,0,1] neg_hi:[0,0,1]
	v_pk_fma_f32 v[2:3], v[228:229], v[0:1], v[2:3] op_sel:[0,0,1] op_sel_hi:[1,0,0]
	s_delay_alu instid0(VALU_DEP_1) | instskip(SKIP_1) | instid1(VALU_DEP_2)
	v_mov_b32_e32 v9, v3
	v_pk_mul_f32 v[2:3], v[230:231], v[226:227] op_sel:[0,1]
	v_pk_add_f32 v[146:147], v[146:147], v[8:9] neg_lo:[0,1] neg_hi:[0,1]
	s_delay_alu instid0(VALU_DEP_2) | instskip(SKIP_3) | instid1(VALU_DEP_1)
	v_pk_fma_f32 v[8:9], v[230:231], v[0:1], v[2:3] op_sel:[0,0,1] op_sel_hi:[1,1,0] neg_lo:[0,0,1] neg_hi:[0,0,1]
	v_pk_fma_f32 v[2:3], v[230:231], v[0:1], v[2:3] op_sel:[0,0,1] op_sel_hi:[1,0,0]
	ds_load_2addr_b64 v[228:231], v6 offset0:34 offset1:35
	v_mov_b32_e32 v9, v3
	v_pk_add_f32 v[142:143], v[142:143], v[8:9] neg_lo:[0,1] neg_hi:[0,1]
	s_wait_dscnt 0x0
	v_dual_mul_f32 v8, v229, v0 :: v_dual_mul_f32 v2, v229, v227
	s_delay_alu instid0(VALU_DEP_1) | instskip(NEXT) | instid1(VALU_DEP_2)
	v_pk_fma_f32 v[8:9], v[228:229], v[102:103], v[8:9] op_sel:[1,0,0] op_sel_hi:[0,1,0]
	v_pk_fma_f32 v[2:3], v[228:229], v[102:103], v[2:3] op_sel_hi:[1,1,0] neg_lo:[0,0,1] neg_hi:[0,0,1]
	s_delay_alu instid0(VALU_DEP_2) | instskip(NEXT) | instid1(VALU_DEP_1)
	v_mov_b32_e32 v3, v9
	v_pk_add_f32 v[144:145], v[144:145], v[2:3] neg_lo:[0,1] neg_hi:[0,1]
	v_pk_mul_f32 v[2:3], v[230:231], v[226:227] op_sel:[0,1]
	s_delay_alu instid0(VALU_DEP_1) | instskip(SKIP_3) | instid1(VALU_DEP_1)
	v_pk_fma_f32 v[8:9], v[230:231], v[0:1], v[2:3] op_sel:[0,0,1] op_sel_hi:[1,1,0] neg_lo:[0,0,1] neg_hi:[0,0,1]
	v_pk_fma_f32 v[2:3], v[230:231], v[0:1], v[2:3] op_sel:[0,0,1] op_sel_hi:[1,0,0]
	ds_load_2addr_b64 v[228:231], v6 offset0:36 offset1:37
	v_mov_b32_e32 v9, v3
	v_pk_add_f32 v[140:141], v[140:141], v[8:9] neg_lo:[0,1] neg_hi:[0,1]
	s_wait_dscnt 0x0
	v_pk_mul_f32 v[2:3], v[228:229], v[226:227] op_sel:[0,1]
	s_delay_alu instid0(VALU_DEP_1) | instskip(SKIP_1) | instid1(VALU_DEP_1)
	v_pk_fma_f32 v[8:9], v[228:229], v[0:1], v[2:3] op_sel:[0,0,1] op_sel_hi:[1,1,0] neg_lo:[0,0,1] neg_hi:[0,0,1]
	v_pk_fma_f32 v[2:3], v[228:229], v[0:1], v[2:3] op_sel:[0,0,1] op_sel_hi:[1,0,0]
	v_mov_b32_e32 v9, v3
	v_pk_mul_f32 v[2:3], v[230:231], v[226:227] op_sel:[0,1]
	s_delay_alu instid0(VALU_DEP_2) | instskip(NEXT) | instid1(VALU_DEP_2)
	v_pk_add_f32 v[166:167], v[166:167], v[8:9] neg_lo:[0,1] neg_hi:[0,1]
	v_pk_fma_f32 v[8:9], v[230:231], v[0:1], v[2:3] op_sel:[0,0,1] op_sel_hi:[1,1,0] neg_lo:[0,0,1] neg_hi:[0,0,1]
	v_pk_fma_f32 v[2:3], v[230:231], v[0:1], v[2:3] op_sel:[0,0,1] op_sel_hi:[1,0,0]
	ds_load_2addr_b64 v[228:231], v6 offset0:38 offset1:39
	v_mov_b32_e32 v9, v3
	s_delay_alu instid0(VALU_DEP_1) | instskip(SKIP_3) | instid1(VALU_DEP_2)
	v_pk_add_f32 v[160:161], v[160:161], v[8:9] neg_lo:[0,1] neg_hi:[0,1]
	s_wait_dscnt 0x0
	v_pk_mul_f32 v[2:3], v[228:229], v[226:227] op_sel:[0,1]
	v_mul_f32_e32 v10, v231, v0
	v_pk_fma_f32 v[8:9], v[228:229], v[0:1], v[2:3] op_sel:[0,0,1] op_sel_hi:[1,1,0] neg_lo:[0,0,1] neg_hi:[0,0,1]
	v_pk_fma_f32 v[2:3], v[228:229], v[0:1], v[2:3] op_sel:[0,0,1] op_sel_hi:[1,0,0]
	s_delay_alu instid0(VALU_DEP_1) | instskip(SKIP_1) | instid1(VALU_DEP_2)
	v_dual_mov_b32 v2, v231 :: v_dual_mov_b32 v9, v3
	v_mov_b32_e32 v3, v230
	v_pk_add_f32 v[164:165], v[164:165], v[8:9] neg_lo:[0,1] neg_hi:[0,1]
	v_mul_f32_e32 v8, v231, v227
	s_delay_alu instid0(VALU_DEP_3) | instskip(NEXT) | instid1(VALU_DEP_2)
	v_pk_fma_f32 v[2:3], v[2:3], v[102:103], v[10:11] op_sel_hi:[1,1,0]
	v_pk_fma_f32 v[8:9], v[230:231], v[102:103], v[8:9] op_sel_hi:[1,1,0] neg_lo:[0,0,1] neg_hi:[0,0,1]
	ds_load_2addr_b64 v[228:231], v6 offset0:40 offset1:41
	v_mov_b32_e32 v9, v3
	s_delay_alu instid0(VALU_DEP_1) | instskip(SKIP_2) | instid1(VALU_DEP_1)
	v_pk_add_f32 v[158:159], v[158:159], v[8:9] neg_lo:[0,1] neg_hi:[0,1]
	s_wait_dscnt 0x0
	v_pk_mul_f32 v[2:3], v[228:229], v[226:227] op_sel:[0,1]
	v_pk_fma_f32 v[8:9], v[228:229], v[0:1], v[2:3] op_sel:[0,0,1] op_sel_hi:[1,1,0] neg_lo:[0,0,1] neg_hi:[0,0,1]
	v_pk_fma_f32 v[2:3], v[228:229], v[0:1], v[2:3] op_sel:[0,0,1] op_sel_hi:[1,0,0]
	s_delay_alu instid0(VALU_DEP_1) | instskip(SKIP_1) | instid1(VALU_DEP_2)
	v_mov_b32_e32 v9, v3
	v_pk_mul_f32 v[2:3], v[230:231], v[226:227] op_sel:[0,1]
	v_pk_add_f32 v[162:163], v[162:163], v[8:9] neg_lo:[0,1] neg_hi:[0,1]
	s_delay_alu instid0(VALU_DEP_2) | instskip(SKIP_1) | instid1(VALU_DEP_1)
	v_pk_fma_f32 v[8:9], v[230:231], v[0:1], v[2:3] op_sel:[0,0,1] op_sel_hi:[1,1,0] neg_lo:[0,0,1] neg_hi:[0,0,1]
	v_pk_fma_f32 v[2:3], v[230:231], v[0:1], v[2:3] op_sel:[0,0,1] op_sel_hi:[1,0,0]
	v_mov_b32_e32 v9, v3
	ds_load_b64 v[2:3], v6 offset:336
	v_pk_add_f32 v[168:169], v[168:169], v[8:9] neg_lo:[0,1] neg_hi:[0,1]
	s_wait_dscnt 0x0
	v_pk_mul_f32 v[8:9], v[2:3], v[226:227] op_sel:[0,1]
	s_delay_alu instid0(VALU_DEP_1) | instskip(SKIP_1) | instid1(VALU_DEP_1)
	v_pk_fma_f32 v[10:11], v[2:3], v[0:1], v[8:9] op_sel:[0,0,1] op_sel_hi:[1,1,0] neg_lo:[0,0,1] neg_hi:[0,0,1]
	v_pk_fma_f32 v[0:1], v[2:3], v[0:1], v[8:9] op_sel:[0,0,1] op_sel_hi:[1,0,0]
	v_mov_b32_e32 v11, v1
	s_delay_alu instid0(VALU_DEP_1)
	v_pk_add_f32 v[170:171], v[170:171], v[10:11] neg_lo:[0,1] neg_hi:[0,1]
.LBB85_235:
	s_or_b32 exec_lo, exec_lo, s1
	s_delay_alu instid0(SALU_CYCLE_1)
	s_mov_b32 s2, exec_lo
	s_wait_dscnt 0x0
	s_barrier_signal -1
	s_barrier_wait -1
	v_cmpx_eq_u32_e32 26, v32
	s_cbranch_execz .LBB85_242
; %bb.236:
	ds_store_b64 v33, v[104:105]
	ds_store_2addr_b64 v6, v[100:101], v[128:129] offset0:27 offset1:28
	ds_store_2addr_b64 v6, v[124:125], v[126:127] offset0:29 offset1:30
	;; [unrolled: 1-line block ×8, first 2 shown]
	ds_load_b64 v[0:1], v33
	s_wait_dscnt 0x0
	v_cmp_neq_f32_e32 vcc_lo, 0, v0
	v_cmp_neq_f32_e64 s1, 0, v1
	s_or_b32 s1, vcc_lo, s1
	s_delay_alu instid0(SALU_CYCLE_1)
	s_and_b32 exec_lo, exec_lo, s1
	s_cbranch_execz .LBB85_242
; %bb.237:
	v_cmp_ngt_f32_e64 s1, |v0|, |v1|
                                        ; implicit-def: $vgpr2_vgpr3
	s_and_saveexec_b32 s4, s1
	s_delay_alu instid0(SALU_CYCLE_1)
	s_xor_b32 s1, exec_lo, s4
	s_cbranch_execz .LBB85_239
; %bb.238:
	v_div_scale_f32 v2, null, v1, v1, v0
	v_div_scale_f32 v8, vcc_lo, v0, v1, v0
	s_delay_alu instid0(VALU_DEP_2) | instskip(SKIP_1) | instid1(TRANS32_DEP_1)
	v_rcp_f32_e32 v3, v2
	v_nop
	v_fma_f32 v7, -v2, v3, 1.0
	s_delay_alu instid0(VALU_DEP_1) | instskip(NEXT) | instid1(VALU_DEP_1)
	v_fmac_f32_e32 v3, v7, v3
	v_mul_f32_e32 v7, v8, v3
	s_delay_alu instid0(VALU_DEP_1) | instskip(NEXT) | instid1(VALU_DEP_1)
	v_fma_f32 v9, -v2, v7, v8
	v_fmac_f32_e32 v7, v9, v3
	s_delay_alu instid0(VALU_DEP_1) | instskip(NEXT) | instid1(VALU_DEP_1)
	v_fma_f32 v2, -v2, v7, v8
	v_div_fmas_f32 v2, v2, v3, v7
	s_delay_alu instid0(VALU_DEP_1) | instskip(NEXT) | instid1(VALU_DEP_1)
	v_div_fixup_f32 v2, v2, v1, v0
	v_fmac_f32_e32 v1, v0, v2
	s_delay_alu instid0(VALU_DEP_1) | instskip(SKIP_1) | instid1(VALU_DEP_2)
	v_div_scale_f32 v0, null, v1, v1, 1.0
	v_div_scale_f32 v8, vcc_lo, 1.0, v1, 1.0
	v_rcp_f32_e32 v3, v0
	v_nop
	s_delay_alu instid0(TRANS32_DEP_1) | instskip(NEXT) | instid1(VALU_DEP_1)
	v_fma_f32 v7, -v0, v3, 1.0
	v_fmac_f32_e32 v3, v7, v3
	s_delay_alu instid0(VALU_DEP_1) | instskip(NEXT) | instid1(VALU_DEP_1)
	v_mul_f32_e32 v7, v8, v3
	v_fma_f32 v9, -v0, v7, v8
	s_delay_alu instid0(VALU_DEP_1) | instskip(NEXT) | instid1(VALU_DEP_1)
	v_fmac_f32_e32 v7, v9, v3
	v_fma_f32 v0, -v0, v7, v8
	s_delay_alu instid0(VALU_DEP_1) | instskip(NEXT) | instid1(VALU_DEP_1)
	v_div_fmas_f32 v0, v0, v3, v7
	v_div_fixup_f32 v0, v0, v1, 1.0
	s_delay_alu instid0(VALU_DEP_1)
	v_mul_f32_e32 v2, v2, v0
	v_xor_b32_e32 v3, 0x80000000, v0
                                        ; implicit-def: $vgpr0_vgpr1
.LBB85_239:
	s_and_not1_saveexec_b32 s1, s1
	s_cbranch_execz .LBB85_241
; %bb.240:
	v_div_scale_f32 v2, null, v0, v0, v1
	v_div_scale_f32 v8, vcc_lo, v1, v0, v1
	s_delay_alu instid0(VALU_DEP_2) | instskip(SKIP_1) | instid1(TRANS32_DEP_1)
	v_rcp_f32_e32 v3, v2
	v_nop
	v_fma_f32 v7, -v2, v3, 1.0
	s_delay_alu instid0(VALU_DEP_1) | instskip(NEXT) | instid1(VALU_DEP_1)
	v_fmac_f32_e32 v3, v7, v3
	v_mul_f32_e32 v7, v8, v3
	s_delay_alu instid0(VALU_DEP_1) | instskip(NEXT) | instid1(VALU_DEP_1)
	v_fma_f32 v9, -v2, v7, v8
	v_fmac_f32_e32 v7, v9, v3
	s_delay_alu instid0(VALU_DEP_1) | instskip(NEXT) | instid1(VALU_DEP_1)
	v_fma_f32 v2, -v2, v7, v8
	v_div_fmas_f32 v2, v2, v3, v7
	s_delay_alu instid0(VALU_DEP_1) | instskip(NEXT) | instid1(VALU_DEP_1)
	v_div_fixup_f32 v3, v2, v0, v1
	v_fmac_f32_e32 v0, v1, v3
	s_delay_alu instid0(VALU_DEP_1) | instskip(NEXT) | instid1(VALU_DEP_1)
	v_div_scale_f32 v1, null, v0, v0, 1.0
	v_rcp_f32_e32 v2, v1
	v_nop
	s_delay_alu instid0(TRANS32_DEP_1) | instskip(NEXT) | instid1(VALU_DEP_1)
	v_fma_f32 v7, -v1, v2, 1.0
	v_fmac_f32_e32 v2, v7, v2
	v_div_scale_f32 v7, vcc_lo, 1.0, v0, 1.0
	s_delay_alu instid0(VALU_DEP_1) | instskip(NEXT) | instid1(VALU_DEP_1)
	v_mul_f32_e32 v8, v7, v2
	v_fma_f32 v9, -v1, v8, v7
	s_delay_alu instid0(VALU_DEP_1) | instskip(NEXT) | instid1(VALU_DEP_1)
	v_fmac_f32_e32 v8, v9, v2
	v_fma_f32 v1, -v1, v8, v7
	s_delay_alu instid0(VALU_DEP_1) | instskip(NEXT) | instid1(VALU_DEP_1)
	v_div_fmas_f32 v1, v1, v2, v8
	v_div_fixup_f32 v2, v1, v0, 1.0
	s_delay_alu instid0(VALU_DEP_1)
	v_mul_f32_e64 v3, v3, -v2
.LBB85_241:
	s_or_b32 exec_lo, exec_lo, s1
	ds_store_b64 v33, v[2:3]
.LBB85_242:
	s_or_b32 exec_lo, exec_lo, s2
	s_wait_dscnt 0x0
	s_barrier_signal -1
	s_barrier_wait -1
	ds_load_b64 v[226:227], v33
	s_mov_b32 s1, exec_lo
	v_cmpx_lt_u32_e32 26, v32
	s_cbranch_execz .LBB85_244
; %bb.243:
	ds_load_2addr_b64 v[230:233], v6 offset0:27 offset1:28
	s_wait_dscnt 0x1
	v_pk_mul_f32 v[2:3], v[226:227], v[104:105] op_sel:[1,1] op_sel_hi:[0,1]
	s_delay_alu instid0(VALU_DEP_1) | instskip(SKIP_1) | instid1(VALU_DEP_1)
	v_pk_fma_f32 v[228:229], v[226:227], v[104:105], v[2:3] op_sel_hi:[1,0,1]
	v_pk_fma_f32 v[0:1], v[226:227], v[104:105], v[2:3] op_sel_hi:[1,0,1] neg_lo:[0,0,1] neg_hi:[0,0,1]
	v_dual_mov_b32 v105, v229 :: v_dual_mov_b32 v104, v0
	s_wait_dscnt 0x0
	s_delay_alu instid0(VALU_DEP_3) | instskip(NEXT) | instid1(VALU_DEP_1)
	v_pk_mul_f32 v[2:3], v[230:231], v[228:229] op_sel:[0,1]
	v_pk_fma_f32 v[8:9], v[230:231], v[0:1], v[2:3] op_sel:[0,0,1] op_sel_hi:[1,1,0] neg_lo:[0,0,1] neg_hi:[0,0,1]
	v_pk_fma_f32 v[2:3], v[230:231], v[0:1], v[2:3] op_sel:[0,0,1] op_sel_hi:[1,0,0]
	s_delay_alu instid0(VALU_DEP_1) | instskip(SKIP_1) | instid1(VALU_DEP_2)
	v_mov_b32_e32 v9, v3
	v_pk_mul_f32 v[2:3], v[232:233], v[228:229] op_sel:[0,1]
	v_pk_add_f32 v[100:101], v[100:101], v[8:9] neg_lo:[0,1] neg_hi:[0,1]
	s_delay_alu instid0(VALU_DEP_2) | instskip(SKIP_3) | instid1(VALU_DEP_1)
	v_pk_fma_f32 v[8:9], v[232:233], v[0:1], v[2:3] op_sel:[0,0,1] op_sel_hi:[1,1,0] neg_lo:[0,0,1] neg_hi:[0,0,1]
	v_pk_fma_f32 v[2:3], v[232:233], v[0:1], v[2:3] op_sel:[0,0,1] op_sel_hi:[1,0,0]
	ds_load_2addr_b64 v[230:233], v6 offset0:29 offset1:30
	v_mov_b32_e32 v9, v3
	v_pk_add_f32 v[128:129], v[128:129], v[8:9] neg_lo:[0,1] neg_hi:[0,1]
	s_wait_dscnt 0x0
	v_pk_mul_f32 v[2:3], v[230:231], v[228:229] op_sel:[0,1]
	v_mul_f32_e32 v10, v233, v0
	s_delay_alu instid0(VALU_DEP_2) | instskip(SKIP_1) | instid1(VALU_DEP_1)
	v_pk_fma_f32 v[8:9], v[230:231], v[0:1], v[2:3] op_sel:[0,0,1] op_sel_hi:[1,1,0] neg_lo:[0,0,1] neg_hi:[0,0,1]
	v_pk_fma_f32 v[2:3], v[230:231], v[0:1], v[2:3] op_sel:[0,0,1] op_sel_hi:[1,0,0]
	v_dual_mov_b32 v2, v233 :: v_dual_mov_b32 v9, v3
	v_mov_b32_e32 v3, v232
	s_delay_alu instid0(VALU_DEP_2) | instskip(SKIP_1) | instid1(VALU_DEP_3)
	v_pk_add_f32 v[124:125], v[124:125], v[8:9] neg_lo:[0,1] neg_hi:[0,1]
	v_mul_f32_e32 v8, v233, v229
	v_pk_fma_f32 v[2:3], v[2:3], v[104:105], v[10:11] op_sel_hi:[1,1,0]
	s_delay_alu instid0(VALU_DEP_2) | instskip(SKIP_2) | instid1(VALU_DEP_1)
	v_pk_fma_f32 v[8:9], v[232:233], v[104:105], v[8:9] op_sel_hi:[1,1,0] neg_lo:[0,0,1] neg_hi:[0,0,1]
	ds_load_2addr_b64 v[230:233], v6 offset0:31 offset1:32
	v_mov_b32_e32 v9, v3
	v_pk_add_f32 v[126:127], v[126:127], v[8:9] neg_lo:[0,1] neg_hi:[0,1]
	s_wait_dscnt 0x0
	v_pk_mul_f32 v[2:3], v[230:231], v[228:229] op_sel:[0,1]
	s_delay_alu instid0(VALU_DEP_1) | instskip(SKIP_1) | instid1(VALU_DEP_1)
	v_pk_fma_f32 v[8:9], v[230:231], v[0:1], v[2:3] op_sel:[0,0,1] op_sel_hi:[1,1,0] neg_lo:[0,0,1] neg_hi:[0,0,1]
	v_pk_fma_f32 v[2:3], v[230:231], v[0:1], v[2:3] op_sel:[0,0,1] op_sel_hi:[1,0,0]
	v_mov_b32_e32 v9, v3
	v_pk_mul_f32 v[2:3], v[232:233], v[228:229] op_sel:[0,1]
	s_delay_alu instid0(VALU_DEP_2) | instskip(NEXT) | instid1(VALU_DEP_2)
	v_pk_add_f32 v[122:123], v[122:123], v[8:9] neg_lo:[0,1] neg_hi:[0,1]
	v_pk_fma_f32 v[8:9], v[232:233], v[0:1], v[2:3] op_sel:[0,0,1] op_sel_hi:[1,1,0] neg_lo:[0,0,1] neg_hi:[0,0,1]
	v_pk_fma_f32 v[2:3], v[232:233], v[0:1], v[2:3] op_sel:[0,0,1] op_sel_hi:[1,0,0]
	ds_load_2addr_b64 v[230:233], v6 offset0:33 offset1:34
	v_mov_b32_e32 v9, v3
	s_delay_alu instid0(VALU_DEP_1) | instskip(SKIP_2) | instid1(VALU_DEP_1)
	v_pk_add_f32 v[146:147], v[146:147], v[8:9] neg_lo:[0,1] neg_hi:[0,1]
	s_wait_dscnt 0x0
	v_pk_mul_f32 v[2:3], v[230:231], v[228:229] op_sel:[0,1]
	v_pk_fma_f32 v[8:9], v[230:231], v[0:1], v[2:3] op_sel:[0,0,1] op_sel_hi:[1,1,0] neg_lo:[0,0,1] neg_hi:[0,0,1]
	v_pk_fma_f32 v[2:3], v[230:231], v[0:1], v[2:3] op_sel:[0,0,1] op_sel_hi:[1,0,0]
	s_delay_alu instid0(VALU_DEP_1) | instskip(SKIP_1) | instid1(VALU_DEP_2)
	v_mov_b32_e32 v9, v3
	v_pk_mul_f32 v[2:3], v[232:233], v[228:229] op_sel:[0,1]
	v_pk_add_f32 v[142:143], v[142:143], v[8:9] neg_lo:[0,1] neg_hi:[0,1]
	s_delay_alu instid0(VALU_DEP_2) | instskip(SKIP_3) | instid1(VALU_DEP_1)
	v_pk_fma_f32 v[8:9], v[232:233], v[0:1], v[2:3] op_sel:[0,0,1] op_sel_hi:[1,1,0] neg_lo:[0,0,1] neg_hi:[0,0,1]
	v_pk_fma_f32 v[2:3], v[232:233], v[0:1], v[2:3] op_sel:[0,0,1] op_sel_hi:[1,0,0]
	ds_load_2addr_b64 v[230:233], v6 offset0:35 offset1:36
	v_mov_b32_e32 v9, v3
	v_pk_add_f32 v[144:145], v[144:145], v[8:9] neg_lo:[0,1] neg_hi:[0,1]
	s_wait_dscnt 0x0
	v_dual_mul_f32 v2, v231, v229 :: v_dual_mul_f32 v8, v231, v0
	s_delay_alu instid0(VALU_DEP_1) | instskip(NEXT) | instid1(VALU_DEP_2)
	v_pk_fma_f32 v[2:3], v[230:231], v[104:105], v[2:3] op_sel_hi:[1,1,0] neg_lo:[0,0,1] neg_hi:[0,0,1]
	v_pk_fma_f32 v[8:9], v[230:231], v[104:105], v[8:9] op_sel:[1,0,0] op_sel_hi:[0,1,0]
	s_delay_alu instid0(VALU_DEP_1) | instskip(NEXT) | instid1(VALU_DEP_1)
	v_mov_b32_e32 v3, v9
	v_pk_add_f32 v[140:141], v[140:141], v[2:3] neg_lo:[0,1] neg_hi:[0,1]
	v_pk_mul_f32 v[2:3], v[232:233], v[228:229] op_sel:[0,1]
	s_delay_alu instid0(VALU_DEP_1) | instskip(SKIP_3) | instid1(VALU_DEP_1)
	v_pk_fma_f32 v[8:9], v[232:233], v[0:1], v[2:3] op_sel:[0,0,1] op_sel_hi:[1,1,0] neg_lo:[0,0,1] neg_hi:[0,0,1]
	v_pk_fma_f32 v[2:3], v[232:233], v[0:1], v[2:3] op_sel:[0,0,1] op_sel_hi:[1,0,0]
	ds_load_2addr_b64 v[230:233], v6 offset0:37 offset1:38
	v_mov_b32_e32 v9, v3
	v_pk_add_f32 v[166:167], v[166:167], v[8:9] neg_lo:[0,1] neg_hi:[0,1]
	s_wait_dscnt 0x0
	v_pk_mul_f32 v[2:3], v[230:231], v[228:229] op_sel:[0,1]
	s_delay_alu instid0(VALU_DEP_1) | instskip(SKIP_1) | instid1(VALU_DEP_1)
	v_pk_fma_f32 v[8:9], v[230:231], v[0:1], v[2:3] op_sel:[0,0,1] op_sel_hi:[1,1,0] neg_lo:[0,0,1] neg_hi:[0,0,1]
	v_pk_fma_f32 v[2:3], v[230:231], v[0:1], v[2:3] op_sel:[0,0,1] op_sel_hi:[1,0,0]
	v_mov_b32_e32 v9, v3
	v_pk_mul_f32 v[2:3], v[232:233], v[228:229] op_sel:[0,1]
	s_delay_alu instid0(VALU_DEP_2) | instskip(NEXT) | instid1(VALU_DEP_2)
	v_pk_add_f32 v[160:161], v[160:161], v[8:9] neg_lo:[0,1] neg_hi:[0,1]
	v_pk_fma_f32 v[8:9], v[232:233], v[0:1], v[2:3] op_sel:[0,0,1] op_sel_hi:[1,1,0] neg_lo:[0,0,1] neg_hi:[0,0,1]
	v_pk_fma_f32 v[2:3], v[232:233], v[0:1], v[2:3] op_sel:[0,0,1] op_sel_hi:[1,0,0]
	ds_load_2addr_b64 v[230:233], v6 offset0:39 offset1:40
	v_mov_b32_e32 v9, v3
	s_delay_alu instid0(VALU_DEP_1) | instskip(SKIP_3) | instid1(VALU_DEP_2)
	v_pk_add_f32 v[164:165], v[164:165], v[8:9] neg_lo:[0,1] neg_hi:[0,1]
	s_wait_dscnt 0x0
	v_pk_mul_f32 v[2:3], v[230:231], v[228:229] op_sel:[0,1]
	v_mul_f32_e32 v10, v233, v0
	v_pk_fma_f32 v[8:9], v[230:231], v[0:1], v[2:3] op_sel:[0,0,1] op_sel_hi:[1,1,0] neg_lo:[0,0,1] neg_hi:[0,0,1]
	v_pk_fma_f32 v[2:3], v[230:231], v[0:1], v[2:3] op_sel:[0,0,1] op_sel_hi:[1,0,0]
	s_delay_alu instid0(VALU_DEP_1) | instskip(SKIP_1) | instid1(VALU_DEP_2)
	v_dual_mov_b32 v2, v233 :: v_dual_mov_b32 v9, v3
	v_mov_b32_e32 v3, v232
	v_pk_add_f32 v[158:159], v[158:159], v[8:9] neg_lo:[0,1] neg_hi:[0,1]
	v_mul_f32_e32 v8, v233, v229
	s_delay_alu instid0(VALU_DEP_3) | instskip(NEXT) | instid1(VALU_DEP_2)
	v_pk_fma_f32 v[2:3], v[2:3], v[104:105], v[10:11] op_sel_hi:[1,1,0]
	v_pk_fma_f32 v[8:9], v[232:233], v[104:105], v[8:9] op_sel_hi:[1,1,0] neg_lo:[0,0,1] neg_hi:[0,0,1]
	ds_load_2addr_b64 v[230:233], v6 offset0:41 offset1:42
	v_mov_b32_e32 v9, v3
	s_delay_alu instid0(VALU_DEP_1) | instskip(SKIP_2) | instid1(VALU_DEP_1)
	v_pk_add_f32 v[162:163], v[162:163], v[8:9] neg_lo:[0,1] neg_hi:[0,1]
	s_wait_dscnt 0x0
	v_pk_mul_f32 v[2:3], v[230:231], v[228:229] op_sel:[0,1]
	v_pk_fma_f32 v[8:9], v[230:231], v[0:1], v[2:3] op_sel:[0,0,1] op_sel_hi:[1,1,0] neg_lo:[0,0,1] neg_hi:[0,0,1]
	v_pk_fma_f32 v[2:3], v[230:231], v[0:1], v[2:3] op_sel:[0,0,1] op_sel_hi:[1,0,0]
	s_delay_alu instid0(VALU_DEP_1) | instskip(SKIP_1) | instid1(VALU_DEP_2)
	v_mov_b32_e32 v9, v3
	v_pk_mul_f32 v[2:3], v[232:233], v[228:229] op_sel:[0,1]
	v_pk_add_f32 v[168:169], v[168:169], v[8:9] neg_lo:[0,1] neg_hi:[0,1]
	s_delay_alu instid0(VALU_DEP_2) | instskip(SKIP_1) | instid1(VALU_DEP_1)
	v_pk_fma_f32 v[8:9], v[232:233], v[0:1], v[2:3] op_sel:[0,0,1] op_sel_hi:[1,1,0] neg_lo:[0,0,1] neg_hi:[0,0,1]
	v_pk_fma_f32 v[0:1], v[232:233], v[0:1], v[2:3] op_sel:[0,0,1] op_sel_hi:[1,0,0]
	v_mov_b32_e32 v9, v1
	s_delay_alu instid0(VALU_DEP_1)
	v_pk_add_f32 v[170:171], v[170:171], v[8:9] neg_lo:[0,1] neg_hi:[0,1]
.LBB85_244:
	s_or_b32 exec_lo, exec_lo, s1
	s_delay_alu instid0(SALU_CYCLE_1)
	s_mov_b32 s2, exec_lo
	s_wait_dscnt 0x0
	s_barrier_signal -1
	s_barrier_wait -1
	v_cmpx_eq_u32_e32 27, v32
	s_cbranch_execz .LBB85_251
; %bb.245:
	v_dual_mov_b32 v0, v128 :: v_dual_mov_b32 v1, v129
	v_dual_mov_b32 v2, v124 :: v_dual_mov_b32 v3, v125
	;; [unrolled: 1-line block ×4, first 2 shown]
	ds_store_b64 v33, v[100:101]
	ds_store_2addr_b64 v6, v[0:1], v[2:3] offset0:28 offset1:29
	ds_store_2addr_b64 v6, v[8:9], v[10:11] offset0:30 offset1:31
	v_dual_mov_b32 v0, v146 :: v_dual_mov_b32 v1, v147
	v_dual_mov_b32 v2, v142 :: v_dual_mov_b32 v3, v143
	;; [unrolled: 1-line block ×10, first 2 shown]
	ds_store_2addr_b64 v6, v[0:1], v[2:3] offset0:32 offset1:33
	ds_store_2addr_b64 v6, v[8:9], v[10:11] offset0:34 offset1:35
	;; [unrolled: 1-line block ×5, first 2 shown]
	ds_store_b64 v6, v[170:171] offset:336
	ds_load_b64 v[0:1], v33
	s_wait_dscnt 0x0
	v_cmp_neq_f32_e32 vcc_lo, 0, v0
	v_cmp_neq_f32_e64 s1, 0, v1
	s_or_b32 s1, vcc_lo, s1
	s_delay_alu instid0(SALU_CYCLE_1)
	s_and_b32 exec_lo, exec_lo, s1
	s_cbranch_execz .LBB85_251
; %bb.246:
	v_cmp_ngt_f32_e64 s1, |v0|, |v1|
                                        ; implicit-def: $vgpr2_vgpr3
	s_and_saveexec_b32 s4, s1
	s_delay_alu instid0(SALU_CYCLE_1)
	s_xor_b32 s1, exec_lo, s4
	s_cbranch_execz .LBB85_248
; %bb.247:
	v_div_scale_f32 v2, null, v1, v1, v0
	v_div_scale_f32 v8, vcc_lo, v0, v1, v0
	s_delay_alu instid0(VALU_DEP_2) | instskip(SKIP_1) | instid1(TRANS32_DEP_1)
	v_rcp_f32_e32 v3, v2
	v_nop
	v_fma_f32 v7, -v2, v3, 1.0
	s_delay_alu instid0(VALU_DEP_1) | instskip(NEXT) | instid1(VALU_DEP_1)
	v_fmac_f32_e32 v3, v7, v3
	v_mul_f32_e32 v7, v8, v3
	s_delay_alu instid0(VALU_DEP_1) | instskip(NEXT) | instid1(VALU_DEP_1)
	v_fma_f32 v9, -v2, v7, v8
	v_fmac_f32_e32 v7, v9, v3
	s_delay_alu instid0(VALU_DEP_1) | instskip(NEXT) | instid1(VALU_DEP_1)
	v_fma_f32 v2, -v2, v7, v8
	v_div_fmas_f32 v2, v2, v3, v7
	s_delay_alu instid0(VALU_DEP_1) | instskip(NEXT) | instid1(VALU_DEP_1)
	v_div_fixup_f32 v2, v2, v1, v0
	v_fmac_f32_e32 v1, v0, v2
	s_delay_alu instid0(VALU_DEP_1) | instskip(SKIP_1) | instid1(VALU_DEP_2)
	v_div_scale_f32 v0, null, v1, v1, 1.0
	v_div_scale_f32 v8, vcc_lo, 1.0, v1, 1.0
	v_rcp_f32_e32 v3, v0
	v_nop
	s_delay_alu instid0(TRANS32_DEP_1) | instskip(NEXT) | instid1(VALU_DEP_1)
	v_fma_f32 v7, -v0, v3, 1.0
	v_fmac_f32_e32 v3, v7, v3
	s_delay_alu instid0(VALU_DEP_1) | instskip(NEXT) | instid1(VALU_DEP_1)
	v_mul_f32_e32 v7, v8, v3
	v_fma_f32 v9, -v0, v7, v8
	s_delay_alu instid0(VALU_DEP_1) | instskip(NEXT) | instid1(VALU_DEP_1)
	v_fmac_f32_e32 v7, v9, v3
	v_fma_f32 v0, -v0, v7, v8
	s_delay_alu instid0(VALU_DEP_1) | instskip(NEXT) | instid1(VALU_DEP_1)
	v_div_fmas_f32 v0, v0, v3, v7
	v_div_fixup_f32 v0, v0, v1, 1.0
	s_delay_alu instid0(VALU_DEP_1)
	v_mul_f32_e32 v2, v2, v0
	v_xor_b32_e32 v3, 0x80000000, v0
                                        ; implicit-def: $vgpr0_vgpr1
.LBB85_248:
	s_and_not1_saveexec_b32 s1, s1
	s_cbranch_execz .LBB85_250
; %bb.249:
	v_div_scale_f32 v2, null, v0, v0, v1
	v_div_scale_f32 v8, vcc_lo, v1, v0, v1
	s_delay_alu instid0(VALU_DEP_2) | instskip(SKIP_1) | instid1(TRANS32_DEP_1)
	v_rcp_f32_e32 v3, v2
	v_nop
	v_fma_f32 v7, -v2, v3, 1.0
	s_delay_alu instid0(VALU_DEP_1) | instskip(NEXT) | instid1(VALU_DEP_1)
	v_fmac_f32_e32 v3, v7, v3
	v_mul_f32_e32 v7, v8, v3
	s_delay_alu instid0(VALU_DEP_1) | instskip(NEXT) | instid1(VALU_DEP_1)
	v_fma_f32 v9, -v2, v7, v8
	v_fmac_f32_e32 v7, v9, v3
	s_delay_alu instid0(VALU_DEP_1) | instskip(NEXT) | instid1(VALU_DEP_1)
	v_fma_f32 v2, -v2, v7, v8
	v_div_fmas_f32 v2, v2, v3, v7
	s_delay_alu instid0(VALU_DEP_1) | instskip(NEXT) | instid1(VALU_DEP_1)
	v_div_fixup_f32 v3, v2, v0, v1
	v_fmac_f32_e32 v0, v1, v3
	s_delay_alu instid0(VALU_DEP_1) | instskip(NEXT) | instid1(VALU_DEP_1)
	v_div_scale_f32 v1, null, v0, v0, 1.0
	v_rcp_f32_e32 v2, v1
	v_nop
	s_delay_alu instid0(TRANS32_DEP_1) | instskip(NEXT) | instid1(VALU_DEP_1)
	v_fma_f32 v7, -v1, v2, 1.0
	v_fmac_f32_e32 v2, v7, v2
	v_div_scale_f32 v7, vcc_lo, 1.0, v0, 1.0
	s_delay_alu instid0(VALU_DEP_1) | instskip(NEXT) | instid1(VALU_DEP_1)
	v_mul_f32_e32 v8, v7, v2
	v_fma_f32 v9, -v1, v8, v7
	s_delay_alu instid0(VALU_DEP_1) | instskip(NEXT) | instid1(VALU_DEP_1)
	v_fmac_f32_e32 v8, v9, v2
	v_fma_f32 v1, -v1, v8, v7
	s_delay_alu instid0(VALU_DEP_1) | instskip(NEXT) | instid1(VALU_DEP_1)
	v_div_fmas_f32 v1, v1, v2, v8
	v_div_fixup_f32 v2, v1, v0, 1.0
	s_delay_alu instid0(VALU_DEP_1)
	v_mul_f32_e64 v3, v3, -v2
.LBB85_250:
	s_or_b32 exec_lo, exec_lo, s1
	ds_store_b64 v33, v[2:3]
.LBB85_251:
	s_or_b32 exec_lo, exec_lo, s2
	s_wait_dscnt 0x0
	s_barrier_signal -1
	s_barrier_wait -1
	ds_load_b64 v[228:229], v33
	s_mov_b32 s1, exec_lo
	v_cmpx_lt_u32_e32 27, v32
	s_cbranch_execz .LBB85_253
; %bb.252:
	ds_load_2addr_b64 v[232:235], v6 offset0:28 offset1:29
	s_wait_dscnt 0x1
	v_pk_mul_f32 v[2:3], v[228:229], v[100:101] op_sel:[1,1] op_sel_hi:[0,1]
	s_delay_alu instid0(VALU_DEP_1) | instskip(SKIP_1) | instid1(VALU_DEP_1)
	v_pk_fma_f32 v[230:231], v[228:229], v[100:101], v[2:3] op_sel_hi:[1,0,1]
	v_pk_fma_f32 v[0:1], v[228:229], v[100:101], v[2:3] op_sel_hi:[1,0,1] neg_lo:[0,0,1] neg_hi:[0,0,1]
	v_dual_mov_b32 v101, v231 :: v_dual_mov_b32 v100, v0
	s_wait_dscnt 0x0
	s_delay_alu instid0(VALU_DEP_3) | instskip(NEXT) | instid1(VALU_DEP_1)
	v_pk_mul_f32 v[2:3], v[232:233], v[230:231] op_sel:[0,1]
	v_pk_fma_f32 v[8:9], v[232:233], v[0:1], v[2:3] op_sel:[0,0,1] op_sel_hi:[1,1,0] neg_lo:[0,0,1] neg_hi:[0,0,1]
	v_pk_fma_f32 v[2:3], v[232:233], v[0:1], v[2:3] op_sel:[0,0,1] op_sel_hi:[1,0,0]
	s_delay_alu instid0(VALU_DEP_1) | instskip(SKIP_1) | instid1(VALU_DEP_2)
	v_mov_b32_e32 v9, v3
	v_pk_mul_f32 v[2:3], v[234:235], v[230:231] op_sel:[0,1]
	v_pk_add_f32 v[128:129], v[128:129], v[8:9] neg_lo:[0,1] neg_hi:[0,1]
	s_delay_alu instid0(VALU_DEP_2) | instskip(SKIP_3) | instid1(VALU_DEP_1)
	v_pk_fma_f32 v[8:9], v[234:235], v[0:1], v[2:3] op_sel:[0,0,1] op_sel_hi:[1,1,0] neg_lo:[0,0,1] neg_hi:[0,0,1]
	v_pk_fma_f32 v[2:3], v[234:235], v[0:1], v[2:3] op_sel:[0,0,1] op_sel_hi:[1,0,0]
	ds_load_2addr_b64 v[232:235], v6 offset0:30 offset1:31
	v_mov_b32_e32 v9, v3
	v_pk_add_f32 v[124:125], v[124:125], v[8:9] neg_lo:[0,1] neg_hi:[0,1]
	s_wait_dscnt 0x0
	v_pk_mul_f32 v[2:3], v[232:233], v[230:231] op_sel:[0,1]
	v_mul_f32_e32 v10, v235, v0
	s_delay_alu instid0(VALU_DEP_2) | instskip(SKIP_1) | instid1(VALU_DEP_1)
	v_pk_fma_f32 v[8:9], v[232:233], v[0:1], v[2:3] op_sel:[0,0,1] op_sel_hi:[1,1,0] neg_lo:[0,0,1] neg_hi:[0,0,1]
	v_pk_fma_f32 v[2:3], v[232:233], v[0:1], v[2:3] op_sel:[0,0,1] op_sel_hi:[1,0,0]
	v_dual_mov_b32 v2, v235 :: v_dual_mov_b32 v9, v3
	v_mov_b32_e32 v3, v234
	s_delay_alu instid0(VALU_DEP_2) | instskip(SKIP_1) | instid1(VALU_DEP_3)
	v_pk_add_f32 v[126:127], v[126:127], v[8:9] neg_lo:[0,1] neg_hi:[0,1]
	v_mul_f32_e32 v8, v235, v231
	v_pk_fma_f32 v[2:3], v[2:3], v[100:101], v[10:11] op_sel_hi:[1,1,0]
	s_delay_alu instid0(VALU_DEP_2) | instskip(SKIP_2) | instid1(VALU_DEP_1)
	v_pk_fma_f32 v[8:9], v[234:235], v[100:101], v[8:9] op_sel_hi:[1,1,0] neg_lo:[0,0,1] neg_hi:[0,0,1]
	ds_load_2addr_b64 v[232:235], v6 offset0:32 offset1:33
	v_mov_b32_e32 v9, v3
	v_pk_add_f32 v[122:123], v[122:123], v[8:9] neg_lo:[0,1] neg_hi:[0,1]
	s_wait_dscnt 0x0
	v_pk_mul_f32 v[2:3], v[232:233], v[230:231] op_sel:[0,1]
	s_delay_alu instid0(VALU_DEP_1) | instskip(SKIP_1) | instid1(VALU_DEP_1)
	v_pk_fma_f32 v[8:9], v[232:233], v[0:1], v[2:3] op_sel:[0,0,1] op_sel_hi:[1,1,0] neg_lo:[0,0,1] neg_hi:[0,0,1]
	v_pk_fma_f32 v[2:3], v[232:233], v[0:1], v[2:3] op_sel:[0,0,1] op_sel_hi:[1,0,0]
	v_mov_b32_e32 v9, v3
	v_pk_mul_f32 v[2:3], v[234:235], v[230:231] op_sel:[0,1]
	s_delay_alu instid0(VALU_DEP_2) | instskip(NEXT) | instid1(VALU_DEP_2)
	v_pk_add_f32 v[146:147], v[146:147], v[8:9] neg_lo:[0,1] neg_hi:[0,1]
	v_pk_fma_f32 v[8:9], v[234:235], v[0:1], v[2:3] op_sel:[0,0,1] op_sel_hi:[1,1,0] neg_lo:[0,0,1] neg_hi:[0,0,1]
	v_pk_fma_f32 v[2:3], v[234:235], v[0:1], v[2:3] op_sel:[0,0,1] op_sel_hi:[1,0,0]
	ds_load_2addr_b64 v[232:235], v6 offset0:34 offset1:35
	v_mov_b32_e32 v9, v3
	s_delay_alu instid0(VALU_DEP_1) | instskip(SKIP_2) | instid1(VALU_DEP_1)
	v_pk_add_f32 v[142:143], v[142:143], v[8:9] neg_lo:[0,1] neg_hi:[0,1]
	s_wait_dscnt 0x0
	v_pk_mul_f32 v[2:3], v[232:233], v[230:231] op_sel:[0,1]
	v_pk_fma_f32 v[8:9], v[232:233], v[0:1], v[2:3] op_sel:[0,0,1] op_sel_hi:[1,1,0] neg_lo:[0,0,1] neg_hi:[0,0,1]
	v_pk_fma_f32 v[2:3], v[232:233], v[0:1], v[2:3] op_sel:[0,0,1] op_sel_hi:[1,0,0]
	s_delay_alu instid0(VALU_DEP_1) | instskip(SKIP_1) | instid1(VALU_DEP_2)
	v_mov_b32_e32 v9, v3
	v_pk_mul_f32 v[2:3], v[234:235], v[230:231] op_sel:[0,1]
	v_pk_add_f32 v[144:145], v[144:145], v[8:9] neg_lo:[0,1] neg_hi:[0,1]
	s_delay_alu instid0(VALU_DEP_2) | instskip(SKIP_3) | instid1(VALU_DEP_1)
	v_pk_fma_f32 v[8:9], v[234:235], v[0:1], v[2:3] op_sel:[0,0,1] op_sel_hi:[1,1,0] neg_lo:[0,0,1] neg_hi:[0,0,1]
	v_pk_fma_f32 v[2:3], v[234:235], v[0:1], v[2:3] op_sel:[0,0,1] op_sel_hi:[1,0,0]
	ds_load_2addr_b64 v[232:235], v6 offset0:36 offset1:37
	v_mov_b32_e32 v9, v3
	v_pk_add_f32 v[140:141], v[140:141], v[8:9] neg_lo:[0,1] neg_hi:[0,1]
	s_wait_dscnt 0x0
	v_dual_mul_f32 v8, v233, v0 :: v_dual_mul_f32 v2, v233, v231
	s_delay_alu instid0(VALU_DEP_1) | instskip(NEXT) | instid1(VALU_DEP_2)
	v_pk_fma_f32 v[8:9], v[232:233], v[100:101], v[8:9] op_sel:[1,0,0] op_sel_hi:[0,1,0]
	v_pk_fma_f32 v[2:3], v[232:233], v[100:101], v[2:3] op_sel_hi:[1,1,0] neg_lo:[0,0,1] neg_hi:[0,0,1]
	s_delay_alu instid0(VALU_DEP_2) | instskip(NEXT) | instid1(VALU_DEP_1)
	v_mov_b32_e32 v3, v9
	v_pk_add_f32 v[166:167], v[166:167], v[2:3] neg_lo:[0,1] neg_hi:[0,1]
	v_pk_mul_f32 v[2:3], v[234:235], v[230:231] op_sel:[0,1]
	s_delay_alu instid0(VALU_DEP_1) | instskip(SKIP_3) | instid1(VALU_DEP_1)
	v_pk_fma_f32 v[8:9], v[234:235], v[0:1], v[2:3] op_sel:[0,0,1] op_sel_hi:[1,1,0] neg_lo:[0,0,1] neg_hi:[0,0,1]
	v_pk_fma_f32 v[2:3], v[234:235], v[0:1], v[2:3] op_sel:[0,0,1] op_sel_hi:[1,0,0]
	ds_load_2addr_b64 v[232:235], v6 offset0:38 offset1:39
	v_mov_b32_e32 v9, v3
	v_pk_add_f32 v[160:161], v[160:161], v[8:9] neg_lo:[0,1] neg_hi:[0,1]
	s_wait_dscnt 0x0
	v_pk_mul_f32 v[2:3], v[232:233], v[230:231] op_sel:[0,1]
	s_delay_alu instid0(VALU_DEP_1) | instskip(SKIP_1) | instid1(VALU_DEP_1)
	v_pk_fma_f32 v[8:9], v[232:233], v[0:1], v[2:3] op_sel:[0,0,1] op_sel_hi:[1,1,0] neg_lo:[0,0,1] neg_hi:[0,0,1]
	v_pk_fma_f32 v[2:3], v[232:233], v[0:1], v[2:3] op_sel:[0,0,1] op_sel_hi:[1,0,0]
	v_mov_b32_e32 v9, v3
	v_pk_mul_f32 v[2:3], v[234:235], v[230:231] op_sel:[0,1]
	s_delay_alu instid0(VALU_DEP_2) | instskip(NEXT) | instid1(VALU_DEP_2)
	v_pk_add_f32 v[164:165], v[164:165], v[8:9] neg_lo:[0,1] neg_hi:[0,1]
	v_pk_fma_f32 v[8:9], v[234:235], v[0:1], v[2:3] op_sel:[0,0,1] op_sel_hi:[1,1,0] neg_lo:[0,0,1] neg_hi:[0,0,1]
	v_pk_fma_f32 v[2:3], v[234:235], v[0:1], v[2:3] op_sel:[0,0,1] op_sel_hi:[1,0,0]
	ds_load_2addr_b64 v[232:235], v6 offset0:40 offset1:41
	v_mov_b32_e32 v9, v3
	s_delay_alu instid0(VALU_DEP_1) | instskip(SKIP_3) | instid1(VALU_DEP_2)
	v_pk_add_f32 v[158:159], v[158:159], v[8:9] neg_lo:[0,1] neg_hi:[0,1]
	s_wait_dscnt 0x0
	v_pk_mul_f32 v[2:3], v[232:233], v[230:231] op_sel:[0,1]
	v_mul_f32_e32 v10, v235, v0
	v_pk_fma_f32 v[8:9], v[232:233], v[0:1], v[2:3] op_sel:[0,0,1] op_sel_hi:[1,1,0] neg_lo:[0,0,1] neg_hi:[0,0,1]
	v_pk_fma_f32 v[2:3], v[232:233], v[0:1], v[2:3] op_sel:[0,0,1] op_sel_hi:[1,0,0]
	s_delay_alu instid0(VALU_DEP_1) | instskip(SKIP_1) | instid1(VALU_DEP_2)
	v_dual_mov_b32 v2, v235 :: v_dual_mov_b32 v9, v3
	v_mov_b32_e32 v3, v234
	v_pk_add_f32 v[162:163], v[162:163], v[8:9] neg_lo:[0,1] neg_hi:[0,1]
	v_mul_f32_e32 v8, v235, v231
	s_delay_alu instid0(VALU_DEP_3) | instskip(NEXT) | instid1(VALU_DEP_2)
	v_pk_fma_f32 v[2:3], v[2:3], v[100:101], v[10:11] op_sel_hi:[1,1,0]
	v_pk_fma_f32 v[8:9], v[234:235], v[100:101], v[8:9] op_sel_hi:[1,1,0] neg_lo:[0,0,1] neg_hi:[0,0,1]
	s_delay_alu instid0(VALU_DEP_2) | instskip(SKIP_4) | instid1(VALU_DEP_1)
	v_mov_b32_e32 v9, v3
	ds_load_b64 v[2:3], v6 offset:336
	v_pk_add_f32 v[168:169], v[168:169], v[8:9] neg_lo:[0,1] neg_hi:[0,1]
	s_wait_dscnt 0x0
	v_pk_mul_f32 v[8:9], v[2:3], v[230:231] op_sel:[0,1]
	v_pk_fma_f32 v[10:11], v[2:3], v[0:1], v[8:9] op_sel:[0,0,1] op_sel_hi:[1,1,0] neg_lo:[0,0,1] neg_hi:[0,0,1]
	v_pk_fma_f32 v[0:1], v[2:3], v[0:1], v[8:9] op_sel:[0,0,1] op_sel_hi:[1,0,0]
	s_delay_alu instid0(VALU_DEP_1) | instskip(NEXT) | instid1(VALU_DEP_1)
	v_mov_b32_e32 v11, v1
	v_pk_add_f32 v[170:171], v[170:171], v[10:11] neg_lo:[0,1] neg_hi:[0,1]
.LBB85_253:
	s_or_b32 exec_lo, exec_lo, s1
	s_delay_alu instid0(SALU_CYCLE_1)
	s_mov_b32 s2, exec_lo
	s_wait_dscnt 0x0
	s_barrier_signal -1
	s_barrier_wait -1
	v_cmpx_eq_u32_e32 28, v32
	s_cbranch_execz .LBB85_260
; %bb.254:
	ds_store_b64 v33, v[128:129]
	ds_store_2addr_b64 v6, v[124:125], v[126:127] offset0:29 offset1:30
	ds_store_2addr_b64 v6, v[122:123], v[146:147] offset0:31 offset1:32
	;; [unrolled: 1-line block ×7, first 2 shown]
	ds_load_b64 v[0:1], v33
	s_wait_dscnt 0x0
	v_cmp_neq_f32_e32 vcc_lo, 0, v0
	v_cmp_neq_f32_e64 s1, 0, v1
	s_or_b32 s1, vcc_lo, s1
	s_delay_alu instid0(SALU_CYCLE_1)
	s_and_b32 exec_lo, exec_lo, s1
	s_cbranch_execz .LBB85_260
; %bb.255:
	v_cmp_ngt_f32_e64 s1, |v0|, |v1|
                                        ; implicit-def: $vgpr2_vgpr3
	s_and_saveexec_b32 s4, s1
	s_delay_alu instid0(SALU_CYCLE_1)
	s_xor_b32 s1, exec_lo, s4
	s_cbranch_execz .LBB85_257
; %bb.256:
	v_div_scale_f32 v2, null, v1, v1, v0
	v_div_scale_f32 v8, vcc_lo, v0, v1, v0
	s_delay_alu instid0(VALU_DEP_2) | instskip(SKIP_1) | instid1(TRANS32_DEP_1)
	v_rcp_f32_e32 v3, v2
	v_nop
	v_fma_f32 v7, -v2, v3, 1.0
	s_delay_alu instid0(VALU_DEP_1) | instskip(NEXT) | instid1(VALU_DEP_1)
	v_fmac_f32_e32 v3, v7, v3
	v_mul_f32_e32 v7, v8, v3
	s_delay_alu instid0(VALU_DEP_1) | instskip(NEXT) | instid1(VALU_DEP_1)
	v_fma_f32 v9, -v2, v7, v8
	v_fmac_f32_e32 v7, v9, v3
	s_delay_alu instid0(VALU_DEP_1) | instskip(NEXT) | instid1(VALU_DEP_1)
	v_fma_f32 v2, -v2, v7, v8
	v_div_fmas_f32 v2, v2, v3, v7
	s_delay_alu instid0(VALU_DEP_1) | instskip(NEXT) | instid1(VALU_DEP_1)
	v_div_fixup_f32 v2, v2, v1, v0
	v_fmac_f32_e32 v1, v0, v2
	s_delay_alu instid0(VALU_DEP_1) | instskip(SKIP_1) | instid1(VALU_DEP_2)
	v_div_scale_f32 v0, null, v1, v1, 1.0
	v_div_scale_f32 v8, vcc_lo, 1.0, v1, 1.0
	v_rcp_f32_e32 v3, v0
	v_nop
	s_delay_alu instid0(TRANS32_DEP_1) | instskip(NEXT) | instid1(VALU_DEP_1)
	v_fma_f32 v7, -v0, v3, 1.0
	v_fmac_f32_e32 v3, v7, v3
	s_delay_alu instid0(VALU_DEP_1) | instskip(NEXT) | instid1(VALU_DEP_1)
	v_mul_f32_e32 v7, v8, v3
	v_fma_f32 v9, -v0, v7, v8
	s_delay_alu instid0(VALU_DEP_1) | instskip(NEXT) | instid1(VALU_DEP_1)
	v_fmac_f32_e32 v7, v9, v3
	v_fma_f32 v0, -v0, v7, v8
	s_delay_alu instid0(VALU_DEP_1) | instskip(NEXT) | instid1(VALU_DEP_1)
	v_div_fmas_f32 v0, v0, v3, v7
	v_div_fixup_f32 v0, v0, v1, 1.0
	s_delay_alu instid0(VALU_DEP_1)
	v_mul_f32_e32 v2, v2, v0
	v_xor_b32_e32 v3, 0x80000000, v0
                                        ; implicit-def: $vgpr0_vgpr1
.LBB85_257:
	s_and_not1_saveexec_b32 s1, s1
	s_cbranch_execz .LBB85_259
; %bb.258:
	v_div_scale_f32 v2, null, v0, v0, v1
	v_div_scale_f32 v8, vcc_lo, v1, v0, v1
	s_delay_alu instid0(VALU_DEP_2) | instskip(SKIP_1) | instid1(TRANS32_DEP_1)
	v_rcp_f32_e32 v3, v2
	v_nop
	v_fma_f32 v7, -v2, v3, 1.0
	s_delay_alu instid0(VALU_DEP_1) | instskip(NEXT) | instid1(VALU_DEP_1)
	v_fmac_f32_e32 v3, v7, v3
	v_mul_f32_e32 v7, v8, v3
	s_delay_alu instid0(VALU_DEP_1) | instskip(NEXT) | instid1(VALU_DEP_1)
	v_fma_f32 v9, -v2, v7, v8
	v_fmac_f32_e32 v7, v9, v3
	s_delay_alu instid0(VALU_DEP_1) | instskip(NEXT) | instid1(VALU_DEP_1)
	v_fma_f32 v2, -v2, v7, v8
	v_div_fmas_f32 v2, v2, v3, v7
	s_delay_alu instid0(VALU_DEP_1) | instskip(NEXT) | instid1(VALU_DEP_1)
	v_div_fixup_f32 v3, v2, v0, v1
	v_fmac_f32_e32 v0, v1, v3
	s_delay_alu instid0(VALU_DEP_1) | instskip(NEXT) | instid1(VALU_DEP_1)
	v_div_scale_f32 v1, null, v0, v0, 1.0
	v_rcp_f32_e32 v2, v1
	v_nop
	s_delay_alu instid0(TRANS32_DEP_1) | instskip(NEXT) | instid1(VALU_DEP_1)
	v_fma_f32 v7, -v1, v2, 1.0
	v_fmac_f32_e32 v2, v7, v2
	v_div_scale_f32 v7, vcc_lo, 1.0, v0, 1.0
	s_delay_alu instid0(VALU_DEP_1) | instskip(NEXT) | instid1(VALU_DEP_1)
	v_mul_f32_e32 v8, v7, v2
	v_fma_f32 v9, -v1, v8, v7
	s_delay_alu instid0(VALU_DEP_1) | instskip(NEXT) | instid1(VALU_DEP_1)
	v_fmac_f32_e32 v8, v9, v2
	v_fma_f32 v1, -v1, v8, v7
	s_delay_alu instid0(VALU_DEP_1) | instskip(NEXT) | instid1(VALU_DEP_1)
	v_div_fmas_f32 v1, v1, v2, v8
	v_div_fixup_f32 v2, v1, v0, 1.0
	s_delay_alu instid0(VALU_DEP_1)
	v_mul_f32_e64 v3, v3, -v2
.LBB85_259:
	s_or_b32 exec_lo, exec_lo, s1
	ds_store_b64 v33, v[2:3]
.LBB85_260:
	s_or_b32 exec_lo, exec_lo, s2
	s_wait_dscnt 0x0
	s_barrier_signal -1
	s_barrier_wait -1
	ds_load_b64 v[230:231], v33
	s_mov_b32 s1, exec_lo
	v_cmpx_lt_u32_e32 28, v32
	s_cbranch_execz .LBB85_262
; %bb.261:
	ds_load_2addr_b64 v[234:237], v6 offset0:29 offset1:30
	s_wait_dscnt 0x1
	v_pk_mul_f32 v[2:3], v[230:231], v[128:129] op_sel:[1,1] op_sel_hi:[0,1]
	s_delay_alu instid0(VALU_DEP_1) | instskip(SKIP_1) | instid1(VALU_DEP_1)
	v_pk_fma_f32 v[232:233], v[230:231], v[128:129], v[2:3] op_sel_hi:[1,0,1]
	v_pk_fma_f32 v[0:1], v[230:231], v[128:129], v[2:3] op_sel_hi:[1,0,1] neg_lo:[0,0,1] neg_hi:[0,0,1]
	v_dual_mov_b32 v129, v233 :: v_dual_mov_b32 v128, v0
	s_wait_dscnt 0x0
	s_delay_alu instid0(VALU_DEP_3) | instskip(NEXT) | instid1(VALU_DEP_1)
	v_pk_mul_f32 v[2:3], v[234:235], v[232:233] op_sel:[0,1]
	v_pk_fma_f32 v[8:9], v[234:235], v[0:1], v[2:3] op_sel:[0,0,1] op_sel_hi:[1,1,0] neg_lo:[0,0,1] neg_hi:[0,0,1]
	v_pk_fma_f32 v[2:3], v[234:235], v[0:1], v[2:3] op_sel:[0,0,1] op_sel_hi:[1,0,0]
	s_delay_alu instid0(VALU_DEP_1) | instskip(SKIP_1) | instid1(VALU_DEP_2)
	v_mov_b32_e32 v9, v3
	v_pk_mul_f32 v[2:3], v[236:237], v[232:233] op_sel:[0,1]
	v_pk_add_f32 v[124:125], v[124:125], v[8:9] neg_lo:[0,1] neg_hi:[0,1]
	s_delay_alu instid0(VALU_DEP_2) | instskip(SKIP_3) | instid1(VALU_DEP_1)
	v_pk_fma_f32 v[8:9], v[236:237], v[0:1], v[2:3] op_sel:[0,0,1] op_sel_hi:[1,1,0] neg_lo:[0,0,1] neg_hi:[0,0,1]
	v_pk_fma_f32 v[2:3], v[236:237], v[0:1], v[2:3] op_sel:[0,0,1] op_sel_hi:[1,0,0]
	ds_load_2addr_b64 v[234:237], v6 offset0:31 offset1:32
	v_mov_b32_e32 v9, v3
	v_pk_add_f32 v[126:127], v[126:127], v[8:9] neg_lo:[0,1] neg_hi:[0,1]
	s_wait_dscnt 0x0
	v_pk_mul_f32 v[2:3], v[234:235], v[232:233] op_sel:[0,1]
	v_mul_f32_e32 v10, v237, v0
	s_delay_alu instid0(VALU_DEP_2) | instskip(SKIP_1) | instid1(VALU_DEP_1)
	v_pk_fma_f32 v[8:9], v[234:235], v[0:1], v[2:3] op_sel:[0,0,1] op_sel_hi:[1,1,0] neg_lo:[0,0,1] neg_hi:[0,0,1]
	v_pk_fma_f32 v[2:3], v[234:235], v[0:1], v[2:3] op_sel:[0,0,1] op_sel_hi:[1,0,0]
	v_dual_mov_b32 v2, v237 :: v_dual_mov_b32 v9, v3
	v_mov_b32_e32 v3, v236
	s_delay_alu instid0(VALU_DEP_2) | instskip(SKIP_1) | instid1(VALU_DEP_3)
	v_pk_add_f32 v[122:123], v[122:123], v[8:9] neg_lo:[0,1] neg_hi:[0,1]
	v_mul_f32_e32 v8, v237, v233
	v_pk_fma_f32 v[2:3], v[2:3], v[128:129], v[10:11] op_sel_hi:[1,1,0]
	s_delay_alu instid0(VALU_DEP_2) | instskip(SKIP_2) | instid1(VALU_DEP_1)
	v_pk_fma_f32 v[8:9], v[236:237], v[128:129], v[8:9] op_sel_hi:[1,1,0] neg_lo:[0,0,1] neg_hi:[0,0,1]
	ds_load_2addr_b64 v[234:237], v6 offset0:33 offset1:34
	v_mov_b32_e32 v9, v3
	v_pk_add_f32 v[146:147], v[146:147], v[8:9] neg_lo:[0,1] neg_hi:[0,1]
	s_wait_dscnt 0x0
	v_pk_mul_f32 v[2:3], v[234:235], v[232:233] op_sel:[0,1]
	s_delay_alu instid0(VALU_DEP_1) | instskip(SKIP_1) | instid1(VALU_DEP_1)
	v_pk_fma_f32 v[8:9], v[234:235], v[0:1], v[2:3] op_sel:[0,0,1] op_sel_hi:[1,1,0] neg_lo:[0,0,1] neg_hi:[0,0,1]
	v_pk_fma_f32 v[2:3], v[234:235], v[0:1], v[2:3] op_sel:[0,0,1] op_sel_hi:[1,0,0]
	v_mov_b32_e32 v9, v3
	v_pk_mul_f32 v[2:3], v[236:237], v[232:233] op_sel:[0,1]
	s_delay_alu instid0(VALU_DEP_2) | instskip(NEXT) | instid1(VALU_DEP_2)
	v_pk_add_f32 v[142:143], v[142:143], v[8:9] neg_lo:[0,1] neg_hi:[0,1]
	v_pk_fma_f32 v[8:9], v[236:237], v[0:1], v[2:3] op_sel:[0,0,1] op_sel_hi:[1,1,0] neg_lo:[0,0,1] neg_hi:[0,0,1]
	v_pk_fma_f32 v[2:3], v[236:237], v[0:1], v[2:3] op_sel:[0,0,1] op_sel_hi:[1,0,0]
	ds_load_2addr_b64 v[234:237], v6 offset0:35 offset1:36
	v_mov_b32_e32 v9, v3
	s_delay_alu instid0(VALU_DEP_1) | instskip(SKIP_2) | instid1(VALU_DEP_1)
	v_pk_add_f32 v[144:145], v[144:145], v[8:9] neg_lo:[0,1] neg_hi:[0,1]
	s_wait_dscnt 0x0
	v_pk_mul_f32 v[2:3], v[234:235], v[232:233] op_sel:[0,1]
	v_pk_fma_f32 v[8:9], v[234:235], v[0:1], v[2:3] op_sel:[0,0,1] op_sel_hi:[1,1,0] neg_lo:[0,0,1] neg_hi:[0,0,1]
	v_pk_fma_f32 v[2:3], v[234:235], v[0:1], v[2:3] op_sel:[0,0,1] op_sel_hi:[1,0,0]
	s_delay_alu instid0(VALU_DEP_1) | instskip(SKIP_1) | instid1(VALU_DEP_2)
	v_mov_b32_e32 v9, v3
	v_pk_mul_f32 v[2:3], v[236:237], v[232:233] op_sel:[0,1]
	v_pk_add_f32 v[140:141], v[140:141], v[8:9] neg_lo:[0,1] neg_hi:[0,1]
	s_delay_alu instid0(VALU_DEP_2) | instskip(SKIP_3) | instid1(VALU_DEP_1)
	v_pk_fma_f32 v[8:9], v[236:237], v[0:1], v[2:3] op_sel:[0,0,1] op_sel_hi:[1,1,0] neg_lo:[0,0,1] neg_hi:[0,0,1]
	v_pk_fma_f32 v[2:3], v[236:237], v[0:1], v[2:3] op_sel:[0,0,1] op_sel_hi:[1,0,0]
	ds_load_2addr_b64 v[234:237], v6 offset0:37 offset1:38
	v_mov_b32_e32 v9, v3
	v_pk_add_f32 v[166:167], v[166:167], v[8:9] neg_lo:[0,1] neg_hi:[0,1]
	s_wait_dscnt 0x0
	v_dual_mul_f32 v2, v235, v233 :: v_dual_mul_f32 v8, v235, v0
	s_delay_alu instid0(VALU_DEP_1) | instskip(NEXT) | instid1(VALU_DEP_2)
	v_pk_fma_f32 v[2:3], v[234:235], v[128:129], v[2:3] op_sel_hi:[1,1,0] neg_lo:[0,0,1] neg_hi:[0,0,1]
	v_pk_fma_f32 v[8:9], v[234:235], v[128:129], v[8:9] op_sel:[1,0,0] op_sel_hi:[0,1,0]
	s_delay_alu instid0(VALU_DEP_1) | instskip(NEXT) | instid1(VALU_DEP_1)
	v_mov_b32_e32 v3, v9
	v_pk_add_f32 v[160:161], v[160:161], v[2:3] neg_lo:[0,1] neg_hi:[0,1]
	v_pk_mul_f32 v[2:3], v[236:237], v[232:233] op_sel:[0,1]
	s_delay_alu instid0(VALU_DEP_1) | instskip(SKIP_3) | instid1(VALU_DEP_1)
	v_pk_fma_f32 v[8:9], v[236:237], v[0:1], v[2:3] op_sel:[0,0,1] op_sel_hi:[1,1,0] neg_lo:[0,0,1] neg_hi:[0,0,1]
	v_pk_fma_f32 v[2:3], v[236:237], v[0:1], v[2:3] op_sel:[0,0,1] op_sel_hi:[1,0,0]
	ds_load_2addr_b64 v[234:237], v6 offset0:39 offset1:40
	v_mov_b32_e32 v9, v3
	v_pk_add_f32 v[164:165], v[164:165], v[8:9] neg_lo:[0,1] neg_hi:[0,1]
	s_wait_dscnt 0x0
	v_pk_mul_f32 v[2:3], v[234:235], v[232:233] op_sel:[0,1]
	s_delay_alu instid0(VALU_DEP_1) | instskip(SKIP_1) | instid1(VALU_DEP_1)
	v_pk_fma_f32 v[8:9], v[234:235], v[0:1], v[2:3] op_sel:[0,0,1] op_sel_hi:[1,1,0] neg_lo:[0,0,1] neg_hi:[0,0,1]
	v_pk_fma_f32 v[2:3], v[234:235], v[0:1], v[2:3] op_sel:[0,0,1] op_sel_hi:[1,0,0]
	v_mov_b32_e32 v9, v3
	v_pk_mul_f32 v[2:3], v[236:237], v[232:233] op_sel:[0,1]
	s_delay_alu instid0(VALU_DEP_2) | instskip(NEXT) | instid1(VALU_DEP_2)
	v_pk_add_f32 v[158:159], v[158:159], v[8:9] neg_lo:[0,1] neg_hi:[0,1]
	v_pk_fma_f32 v[8:9], v[236:237], v[0:1], v[2:3] op_sel:[0,0,1] op_sel_hi:[1,1,0] neg_lo:[0,0,1] neg_hi:[0,0,1]
	v_pk_fma_f32 v[2:3], v[236:237], v[0:1], v[2:3] op_sel:[0,0,1] op_sel_hi:[1,0,0]
	ds_load_2addr_b64 v[234:237], v6 offset0:41 offset1:42
	v_mov_b32_e32 v9, v3
	s_delay_alu instid0(VALU_DEP_1) | instskip(SKIP_2) | instid1(VALU_DEP_1)
	v_pk_add_f32 v[162:163], v[162:163], v[8:9] neg_lo:[0,1] neg_hi:[0,1]
	s_wait_dscnt 0x0
	v_pk_mul_f32 v[2:3], v[234:235], v[232:233] op_sel:[0,1]
	v_pk_fma_f32 v[8:9], v[234:235], v[0:1], v[2:3] op_sel:[0,0,1] op_sel_hi:[1,1,0] neg_lo:[0,0,1] neg_hi:[0,0,1]
	v_pk_fma_f32 v[2:3], v[234:235], v[0:1], v[2:3] op_sel:[0,0,1] op_sel_hi:[1,0,0]
	s_delay_alu instid0(VALU_DEP_1) | instskip(SKIP_1) | instid1(VALU_DEP_2)
	v_mov_b32_e32 v9, v3
	v_pk_mul_f32 v[2:3], v[236:237], v[232:233] op_sel:[0,1]
	v_pk_add_f32 v[168:169], v[168:169], v[8:9] neg_lo:[0,1] neg_hi:[0,1]
	s_delay_alu instid0(VALU_DEP_2) | instskip(SKIP_1) | instid1(VALU_DEP_1)
	v_pk_fma_f32 v[8:9], v[236:237], v[0:1], v[2:3] op_sel:[0,0,1] op_sel_hi:[1,1,0] neg_lo:[0,0,1] neg_hi:[0,0,1]
	v_pk_fma_f32 v[0:1], v[236:237], v[0:1], v[2:3] op_sel:[0,0,1] op_sel_hi:[1,0,0]
	v_mov_b32_e32 v9, v1
	s_delay_alu instid0(VALU_DEP_1)
	v_pk_add_f32 v[170:171], v[170:171], v[8:9] neg_lo:[0,1] neg_hi:[0,1]
.LBB85_262:
	s_or_b32 exec_lo, exec_lo, s1
	s_delay_alu instid0(SALU_CYCLE_1)
	s_mov_b32 s2, exec_lo
	s_wait_dscnt 0x0
	s_barrier_signal -1
	s_barrier_wait -1
	v_cmpx_eq_u32_e32 29, v32
	s_cbranch_execz .LBB85_269
; %bb.263:
	v_dual_mov_b32 v0, v126 :: v_dual_mov_b32 v1, v127
	v_dual_mov_b32 v2, v122 :: v_dual_mov_b32 v3, v123
	ds_store_b64 v33, v[124:125]
	ds_store_2addr_b64 v6, v[0:1], v[2:3] offset0:30 offset1:31
	v_dual_mov_b32 v0, v146 :: v_dual_mov_b32 v1, v147
	v_dual_mov_b32 v2, v142 :: v_dual_mov_b32 v3, v143
	ds_store_2addr_b64 v6, v[0:1], v[2:3] offset0:32 offset1:33
	v_dual_mov_b32 v0, v144 :: v_dual_mov_b32 v1, v145
	v_dual_mov_b32 v2, v140 :: v_dual_mov_b32 v3, v141
	;; [unrolled: 3-line block ×5, first 2 shown]
	ds_store_2addr_b64 v6, v[0:1], v[2:3] offset0:40 offset1:41
	ds_store_b64 v6, v[170:171] offset:336
	ds_load_b64 v[0:1], v33
	s_wait_dscnt 0x0
	v_cmp_neq_f32_e32 vcc_lo, 0, v0
	v_cmp_neq_f32_e64 s1, 0, v1
	s_or_b32 s1, vcc_lo, s1
	s_delay_alu instid0(SALU_CYCLE_1)
	s_and_b32 exec_lo, exec_lo, s1
	s_cbranch_execz .LBB85_269
; %bb.264:
	v_cmp_ngt_f32_e64 s1, |v0|, |v1|
                                        ; implicit-def: $vgpr2_vgpr3
	s_and_saveexec_b32 s4, s1
	s_delay_alu instid0(SALU_CYCLE_1)
	s_xor_b32 s1, exec_lo, s4
	s_cbranch_execz .LBB85_266
; %bb.265:
	v_div_scale_f32 v2, null, v1, v1, v0
	v_div_scale_f32 v8, vcc_lo, v0, v1, v0
	s_delay_alu instid0(VALU_DEP_2) | instskip(SKIP_1) | instid1(TRANS32_DEP_1)
	v_rcp_f32_e32 v3, v2
	v_nop
	v_fma_f32 v7, -v2, v3, 1.0
	s_delay_alu instid0(VALU_DEP_1) | instskip(NEXT) | instid1(VALU_DEP_1)
	v_fmac_f32_e32 v3, v7, v3
	v_mul_f32_e32 v7, v8, v3
	s_delay_alu instid0(VALU_DEP_1) | instskip(NEXT) | instid1(VALU_DEP_1)
	v_fma_f32 v9, -v2, v7, v8
	v_fmac_f32_e32 v7, v9, v3
	s_delay_alu instid0(VALU_DEP_1) | instskip(NEXT) | instid1(VALU_DEP_1)
	v_fma_f32 v2, -v2, v7, v8
	v_div_fmas_f32 v2, v2, v3, v7
	s_delay_alu instid0(VALU_DEP_1) | instskip(NEXT) | instid1(VALU_DEP_1)
	v_div_fixup_f32 v2, v2, v1, v0
	v_fmac_f32_e32 v1, v0, v2
	s_delay_alu instid0(VALU_DEP_1) | instskip(SKIP_1) | instid1(VALU_DEP_2)
	v_div_scale_f32 v0, null, v1, v1, 1.0
	v_div_scale_f32 v8, vcc_lo, 1.0, v1, 1.0
	v_rcp_f32_e32 v3, v0
	v_nop
	s_delay_alu instid0(TRANS32_DEP_1) | instskip(NEXT) | instid1(VALU_DEP_1)
	v_fma_f32 v7, -v0, v3, 1.0
	v_fmac_f32_e32 v3, v7, v3
	s_delay_alu instid0(VALU_DEP_1) | instskip(NEXT) | instid1(VALU_DEP_1)
	v_mul_f32_e32 v7, v8, v3
	v_fma_f32 v9, -v0, v7, v8
	s_delay_alu instid0(VALU_DEP_1) | instskip(NEXT) | instid1(VALU_DEP_1)
	v_fmac_f32_e32 v7, v9, v3
	v_fma_f32 v0, -v0, v7, v8
	s_delay_alu instid0(VALU_DEP_1) | instskip(NEXT) | instid1(VALU_DEP_1)
	v_div_fmas_f32 v0, v0, v3, v7
	v_div_fixup_f32 v0, v0, v1, 1.0
	s_delay_alu instid0(VALU_DEP_1)
	v_mul_f32_e32 v2, v2, v0
	v_xor_b32_e32 v3, 0x80000000, v0
                                        ; implicit-def: $vgpr0_vgpr1
.LBB85_266:
	s_and_not1_saveexec_b32 s1, s1
	s_cbranch_execz .LBB85_268
; %bb.267:
	v_div_scale_f32 v2, null, v0, v0, v1
	v_div_scale_f32 v8, vcc_lo, v1, v0, v1
	s_delay_alu instid0(VALU_DEP_2) | instskip(SKIP_1) | instid1(TRANS32_DEP_1)
	v_rcp_f32_e32 v3, v2
	v_nop
	v_fma_f32 v7, -v2, v3, 1.0
	s_delay_alu instid0(VALU_DEP_1) | instskip(NEXT) | instid1(VALU_DEP_1)
	v_fmac_f32_e32 v3, v7, v3
	v_mul_f32_e32 v7, v8, v3
	s_delay_alu instid0(VALU_DEP_1) | instskip(NEXT) | instid1(VALU_DEP_1)
	v_fma_f32 v9, -v2, v7, v8
	v_fmac_f32_e32 v7, v9, v3
	s_delay_alu instid0(VALU_DEP_1) | instskip(NEXT) | instid1(VALU_DEP_1)
	v_fma_f32 v2, -v2, v7, v8
	v_div_fmas_f32 v2, v2, v3, v7
	s_delay_alu instid0(VALU_DEP_1) | instskip(NEXT) | instid1(VALU_DEP_1)
	v_div_fixup_f32 v3, v2, v0, v1
	v_fmac_f32_e32 v0, v1, v3
	s_delay_alu instid0(VALU_DEP_1) | instskip(NEXT) | instid1(VALU_DEP_1)
	v_div_scale_f32 v1, null, v0, v0, 1.0
	v_rcp_f32_e32 v2, v1
	v_nop
	s_delay_alu instid0(TRANS32_DEP_1) | instskip(NEXT) | instid1(VALU_DEP_1)
	v_fma_f32 v7, -v1, v2, 1.0
	v_fmac_f32_e32 v2, v7, v2
	v_div_scale_f32 v7, vcc_lo, 1.0, v0, 1.0
	s_delay_alu instid0(VALU_DEP_1) | instskip(NEXT) | instid1(VALU_DEP_1)
	v_mul_f32_e32 v8, v7, v2
	v_fma_f32 v9, -v1, v8, v7
	s_delay_alu instid0(VALU_DEP_1) | instskip(NEXT) | instid1(VALU_DEP_1)
	v_fmac_f32_e32 v8, v9, v2
	v_fma_f32 v1, -v1, v8, v7
	s_delay_alu instid0(VALU_DEP_1) | instskip(NEXT) | instid1(VALU_DEP_1)
	v_div_fmas_f32 v1, v1, v2, v8
	v_div_fixup_f32 v2, v1, v0, 1.0
	s_delay_alu instid0(VALU_DEP_1)
	v_mul_f32_e64 v3, v3, -v2
.LBB85_268:
	s_or_b32 exec_lo, exec_lo, s1
	ds_store_b64 v33, v[2:3]
.LBB85_269:
	s_or_b32 exec_lo, exec_lo, s2
	s_wait_dscnt 0x0
	s_barrier_signal -1
	s_barrier_wait -1
	ds_load_b64 v[232:233], v33
	s_mov_b32 s1, exec_lo
	v_cmpx_lt_u32_e32 29, v32
	s_cbranch_execz .LBB85_271
; %bb.270:
	ds_load_2addr_b64 v[234:237], v6 offset0:30 offset1:31
	s_wait_dscnt 0x1
	v_pk_mul_f32 v[2:3], v[232:233], v[124:125] op_sel:[1,1] op_sel_hi:[0,1]
	s_delay_alu instid0(VALU_DEP_1) | instskip(SKIP_1) | instid1(VALU_DEP_1)
	v_pk_fma_f32 v[0:1], v[232:233], v[124:125], v[2:3] op_sel_hi:[1,0,1] neg_lo:[0,0,1] neg_hi:[0,0,1]
	v_pk_fma_f32 v[2:3], v[232:233], v[124:125], v[2:3] op_sel_hi:[1,0,1]
	v_dual_mov_b32 v124, v0 :: v_dual_mov_b32 v125, v3
	s_wait_dscnt 0x0
	s_delay_alu instid0(VALU_DEP_2) | instskip(NEXT) | instid1(VALU_DEP_1)
	v_pk_mul_f32 v[8:9], v[234:235], v[2:3] op_sel:[0,1]
	v_pk_fma_f32 v[10:11], v[234:235], v[0:1], v[8:9] op_sel:[0,0,1] op_sel_hi:[1,1,0] neg_lo:[0,0,1] neg_hi:[0,0,1]
	v_pk_fma_f32 v[8:9], v[234:235], v[0:1], v[8:9] op_sel:[0,0,1] op_sel_hi:[1,0,0]
	s_delay_alu instid0(VALU_DEP_1) | instskip(SKIP_1) | instid1(VALU_DEP_2)
	v_mov_b32_e32 v11, v9
	v_pk_mul_f32 v[8:9], v[236:237], v[2:3] op_sel:[0,1]
	v_pk_add_f32 v[126:127], v[126:127], v[10:11] neg_lo:[0,1] neg_hi:[0,1]
	s_delay_alu instid0(VALU_DEP_2) | instskip(SKIP_3) | instid1(VALU_DEP_1)
	v_pk_fma_f32 v[10:11], v[236:237], v[0:1], v[8:9] op_sel:[0,0,1] op_sel_hi:[1,1,0] neg_lo:[0,0,1] neg_hi:[0,0,1]
	v_pk_fma_f32 v[8:9], v[236:237], v[0:1], v[8:9] op_sel:[0,0,1] op_sel_hi:[1,0,0]
	ds_load_2addr_b64 v[234:237], v6 offset0:32 offset1:33
	v_mov_b32_e32 v11, v9
	v_pk_add_f32 v[122:123], v[122:123], v[10:11] neg_lo:[0,1] neg_hi:[0,1]
	s_wait_dscnt 0x0
	v_pk_mul_f32 v[8:9], v[234:235], v[2:3] op_sel:[0,1]
	s_delay_alu instid0(VALU_DEP_1) | instskip(SKIP_2) | instid1(VALU_DEP_2)
	v_pk_fma_f32 v[10:11], v[234:235], v[0:1], v[8:9] op_sel:[0,0,1] op_sel_hi:[1,1,0] neg_lo:[0,0,1] neg_hi:[0,0,1]
	v_pk_fma_f32 v[8:9], v[234:235], v[0:1], v[8:9] op_sel:[0,0,1] op_sel_hi:[1,0,0]
	v_dual_mov_b32 v8, v237 :: v_dual_mul_f32 v234, v237, v0
	v_dual_mov_b32 v11, v9 :: v_dual_mov_b32 v9, v236
	s_delay_alu instid0(VALU_DEP_1) | instskip(SKIP_1) | instid1(VALU_DEP_3)
	v_pk_add_f32 v[146:147], v[146:147], v[10:11] neg_lo:[0,1] neg_hi:[0,1]
	v_mul_f32_e32 v10, v237, v3
	v_pk_fma_f32 v[8:9], v[8:9], v[124:125], v[234:235] op_sel_hi:[1,1,0]
	s_delay_alu instid0(VALU_DEP_2) | instskip(SKIP_2) | instid1(VALU_DEP_1)
	v_pk_fma_f32 v[10:11], v[236:237], v[124:125], v[10:11] op_sel_hi:[1,1,0] neg_lo:[0,0,1] neg_hi:[0,0,1]
	ds_load_2addr_b64 v[234:237], v6 offset0:34 offset1:35
	v_mov_b32_e32 v11, v9
	v_pk_add_f32 v[142:143], v[142:143], v[10:11] neg_lo:[0,1] neg_hi:[0,1]
	s_wait_dscnt 0x0
	v_pk_mul_f32 v[8:9], v[234:235], v[2:3] op_sel:[0,1]
	s_delay_alu instid0(VALU_DEP_1) | instskip(SKIP_1) | instid1(VALU_DEP_1)
	v_pk_fma_f32 v[10:11], v[234:235], v[0:1], v[8:9] op_sel:[0,0,1] op_sel_hi:[1,1,0] neg_lo:[0,0,1] neg_hi:[0,0,1]
	v_pk_fma_f32 v[8:9], v[234:235], v[0:1], v[8:9] op_sel:[0,0,1] op_sel_hi:[1,0,0]
	v_mov_b32_e32 v11, v9
	v_pk_mul_f32 v[8:9], v[236:237], v[2:3] op_sel:[0,1]
	s_delay_alu instid0(VALU_DEP_2) | instskip(NEXT) | instid1(VALU_DEP_2)
	v_pk_add_f32 v[144:145], v[144:145], v[10:11] neg_lo:[0,1] neg_hi:[0,1]
	v_pk_fma_f32 v[10:11], v[236:237], v[0:1], v[8:9] op_sel:[0,0,1] op_sel_hi:[1,1,0] neg_lo:[0,0,1] neg_hi:[0,0,1]
	v_pk_fma_f32 v[8:9], v[236:237], v[0:1], v[8:9] op_sel:[0,0,1] op_sel_hi:[1,0,0]
	ds_load_2addr_b64 v[234:237], v6 offset0:36 offset1:37
	v_mov_b32_e32 v11, v9
	s_delay_alu instid0(VALU_DEP_1) | instskip(SKIP_2) | instid1(VALU_DEP_1)
	v_pk_add_f32 v[140:141], v[140:141], v[10:11] neg_lo:[0,1] neg_hi:[0,1]
	s_wait_dscnt 0x0
	v_pk_mul_f32 v[8:9], v[234:235], v[2:3] op_sel:[0,1]
	v_pk_fma_f32 v[10:11], v[234:235], v[0:1], v[8:9] op_sel:[0,0,1] op_sel_hi:[1,1,0] neg_lo:[0,0,1] neg_hi:[0,0,1]
	v_pk_fma_f32 v[8:9], v[234:235], v[0:1], v[8:9] op_sel:[0,0,1] op_sel_hi:[1,0,0]
	s_delay_alu instid0(VALU_DEP_1) | instskip(SKIP_1) | instid1(VALU_DEP_2)
	v_mov_b32_e32 v11, v9
	v_pk_mul_f32 v[8:9], v[236:237], v[2:3] op_sel:[0,1]
	v_pk_add_f32 v[166:167], v[166:167], v[10:11] neg_lo:[0,1] neg_hi:[0,1]
	s_delay_alu instid0(VALU_DEP_2) | instskip(SKIP_3) | instid1(VALU_DEP_1)
	v_pk_fma_f32 v[10:11], v[236:237], v[0:1], v[8:9] op_sel:[0,0,1] op_sel_hi:[1,1,0] neg_lo:[0,0,1] neg_hi:[0,0,1]
	v_pk_fma_f32 v[8:9], v[236:237], v[0:1], v[8:9] op_sel:[0,0,1] op_sel_hi:[1,0,0]
	ds_load_2addr_b64 v[234:237], v6 offset0:38 offset1:39
	v_mov_b32_e32 v11, v9
	v_pk_add_f32 v[160:161], v[160:161], v[10:11] neg_lo:[0,1] neg_hi:[0,1]
	s_wait_dscnt 0x0
	v_dual_mul_f32 v10, v235, v0 :: v_dual_mul_f32 v8, v235, v3
	s_delay_alu instid0(VALU_DEP_1) | instskip(NEXT) | instid1(VALU_DEP_2)
	v_pk_fma_f32 v[10:11], v[234:235], v[124:125], v[10:11] op_sel:[1,0,0] op_sel_hi:[0,1,0]
	v_pk_fma_f32 v[8:9], v[234:235], v[124:125], v[8:9] op_sel_hi:[1,1,0] neg_lo:[0,0,1] neg_hi:[0,0,1]
	s_delay_alu instid0(VALU_DEP_2) | instskip(NEXT) | instid1(VALU_DEP_1)
	v_mov_b32_e32 v9, v11
	v_pk_add_f32 v[164:165], v[164:165], v[8:9] neg_lo:[0,1] neg_hi:[0,1]
	v_pk_mul_f32 v[8:9], v[236:237], v[2:3] op_sel:[0,1]
	s_delay_alu instid0(VALU_DEP_1) | instskip(SKIP_3) | instid1(VALU_DEP_1)
	v_pk_fma_f32 v[10:11], v[236:237], v[0:1], v[8:9] op_sel:[0,0,1] op_sel_hi:[1,1,0] neg_lo:[0,0,1] neg_hi:[0,0,1]
	v_pk_fma_f32 v[8:9], v[236:237], v[0:1], v[8:9] op_sel:[0,0,1] op_sel_hi:[1,0,0]
	ds_load_2addr_b64 v[234:237], v6 offset0:40 offset1:41
	v_mov_b32_e32 v11, v9
	v_pk_add_f32 v[158:159], v[158:159], v[10:11] neg_lo:[0,1] neg_hi:[0,1]
	s_wait_dscnt 0x0
	v_pk_mul_f32 v[8:9], v[234:235], v[2:3] op_sel:[0,1]
	s_delay_alu instid0(VALU_DEP_1) | instskip(SKIP_1) | instid1(VALU_DEP_1)
	v_pk_fma_f32 v[10:11], v[234:235], v[0:1], v[8:9] op_sel:[0,0,1] op_sel_hi:[1,1,0] neg_lo:[0,0,1] neg_hi:[0,0,1]
	v_pk_fma_f32 v[8:9], v[234:235], v[0:1], v[8:9] op_sel:[0,0,1] op_sel_hi:[1,0,0]
	v_mov_b32_e32 v11, v9
	v_pk_mul_f32 v[8:9], v[236:237], v[2:3] op_sel:[0,1]
	s_delay_alu instid0(VALU_DEP_2) | instskip(NEXT) | instid1(VALU_DEP_2)
	v_pk_add_f32 v[162:163], v[162:163], v[10:11] neg_lo:[0,1] neg_hi:[0,1]
	v_pk_fma_f32 v[10:11], v[236:237], v[0:1], v[8:9] op_sel:[0,0,1] op_sel_hi:[1,1,0] neg_lo:[0,0,1] neg_hi:[0,0,1]
	v_pk_fma_f32 v[8:9], v[236:237], v[0:1], v[8:9] op_sel:[0,0,1] op_sel_hi:[1,0,0]
	s_delay_alu instid0(VALU_DEP_1) | instskip(SKIP_4) | instid1(VALU_DEP_1)
	v_mov_b32_e32 v11, v9
	ds_load_b64 v[8:9], v6 offset:336
	v_pk_add_f32 v[168:169], v[168:169], v[10:11] neg_lo:[0,1] neg_hi:[0,1]
	s_wait_dscnt 0x0
	v_pk_mul_f32 v[2:3], v[8:9], v[2:3] op_sel:[0,1]
	v_pk_fma_f32 v[10:11], v[8:9], v[0:1], v[2:3] op_sel:[0,0,1] op_sel_hi:[1,1,0] neg_lo:[0,0,1] neg_hi:[0,0,1]
	v_pk_fma_f32 v[0:1], v[8:9], v[0:1], v[2:3] op_sel:[0,0,1] op_sel_hi:[1,0,0]
	s_delay_alu instid0(VALU_DEP_1) | instskip(NEXT) | instid1(VALU_DEP_1)
	v_mov_b32_e32 v11, v1
	v_pk_add_f32 v[170:171], v[170:171], v[10:11] neg_lo:[0,1] neg_hi:[0,1]
.LBB85_271:
	s_or_b32 exec_lo, exec_lo, s1
	s_delay_alu instid0(SALU_CYCLE_1)
	s_mov_b32 s2, exec_lo
	s_wait_dscnt 0x0
	s_barrier_signal -1
	s_barrier_wait -1
	v_cmpx_eq_u32_e32 30, v32
	s_cbranch_execz .LBB85_278
; %bb.272:
	ds_store_b64 v33, v[126:127]
	ds_store_2addr_b64 v6, v[122:123], v[146:147] offset0:31 offset1:32
	ds_store_2addr_b64 v6, v[142:143], v[144:145] offset0:33 offset1:34
	;; [unrolled: 1-line block ×6, first 2 shown]
	ds_load_b64 v[0:1], v33
	s_wait_dscnt 0x0
	v_cmp_neq_f32_e32 vcc_lo, 0, v0
	v_cmp_neq_f32_e64 s1, 0, v1
	s_or_b32 s1, vcc_lo, s1
	s_delay_alu instid0(SALU_CYCLE_1)
	s_and_b32 exec_lo, exec_lo, s1
	s_cbranch_execz .LBB85_278
; %bb.273:
	v_cmp_ngt_f32_e64 s1, |v0|, |v1|
                                        ; implicit-def: $vgpr2_vgpr3
	s_and_saveexec_b32 s4, s1
	s_delay_alu instid0(SALU_CYCLE_1)
	s_xor_b32 s1, exec_lo, s4
	s_cbranch_execz .LBB85_275
; %bb.274:
	v_div_scale_f32 v2, null, v1, v1, v0
	v_div_scale_f32 v8, vcc_lo, v0, v1, v0
	s_delay_alu instid0(VALU_DEP_2) | instskip(SKIP_1) | instid1(TRANS32_DEP_1)
	v_rcp_f32_e32 v3, v2
	v_nop
	v_fma_f32 v7, -v2, v3, 1.0
	s_delay_alu instid0(VALU_DEP_1) | instskip(NEXT) | instid1(VALU_DEP_1)
	v_fmac_f32_e32 v3, v7, v3
	v_mul_f32_e32 v7, v8, v3
	s_delay_alu instid0(VALU_DEP_1) | instskip(NEXT) | instid1(VALU_DEP_1)
	v_fma_f32 v9, -v2, v7, v8
	v_fmac_f32_e32 v7, v9, v3
	s_delay_alu instid0(VALU_DEP_1) | instskip(NEXT) | instid1(VALU_DEP_1)
	v_fma_f32 v2, -v2, v7, v8
	v_div_fmas_f32 v2, v2, v3, v7
	s_delay_alu instid0(VALU_DEP_1) | instskip(NEXT) | instid1(VALU_DEP_1)
	v_div_fixup_f32 v2, v2, v1, v0
	v_fmac_f32_e32 v1, v0, v2
	s_delay_alu instid0(VALU_DEP_1) | instskip(SKIP_1) | instid1(VALU_DEP_2)
	v_div_scale_f32 v0, null, v1, v1, 1.0
	v_div_scale_f32 v8, vcc_lo, 1.0, v1, 1.0
	v_rcp_f32_e32 v3, v0
	v_nop
	s_delay_alu instid0(TRANS32_DEP_1) | instskip(NEXT) | instid1(VALU_DEP_1)
	v_fma_f32 v7, -v0, v3, 1.0
	v_fmac_f32_e32 v3, v7, v3
	s_delay_alu instid0(VALU_DEP_1) | instskip(NEXT) | instid1(VALU_DEP_1)
	v_mul_f32_e32 v7, v8, v3
	v_fma_f32 v9, -v0, v7, v8
	s_delay_alu instid0(VALU_DEP_1) | instskip(NEXT) | instid1(VALU_DEP_1)
	v_fmac_f32_e32 v7, v9, v3
	v_fma_f32 v0, -v0, v7, v8
	s_delay_alu instid0(VALU_DEP_1) | instskip(NEXT) | instid1(VALU_DEP_1)
	v_div_fmas_f32 v0, v0, v3, v7
	v_div_fixup_f32 v0, v0, v1, 1.0
	s_delay_alu instid0(VALU_DEP_1)
	v_mul_f32_e32 v2, v2, v0
	v_xor_b32_e32 v3, 0x80000000, v0
                                        ; implicit-def: $vgpr0_vgpr1
.LBB85_275:
	s_and_not1_saveexec_b32 s1, s1
	s_cbranch_execz .LBB85_277
; %bb.276:
	v_div_scale_f32 v2, null, v0, v0, v1
	v_div_scale_f32 v8, vcc_lo, v1, v0, v1
	s_delay_alu instid0(VALU_DEP_2) | instskip(SKIP_1) | instid1(TRANS32_DEP_1)
	v_rcp_f32_e32 v3, v2
	v_nop
	v_fma_f32 v7, -v2, v3, 1.0
	s_delay_alu instid0(VALU_DEP_1) | instskip(NEXT) | instid1(VALU_DEP_1)
	v_fmac_f32_e32 v3, v7, v3
	v_mul_f32_e32 v7, v8, v3
	s_delay_alu instid0(VALU_DEP_1) | instskip(NEXT) | instid1(VALU_DEP_1)
	v_fma_f32 v9, -v2, v7, v8
	v_fmac_f32_e32 v7, v9, v3
	s_delay_alu instid0(VALU_DEP_1) | instskip(NEXT) | instid1(VALU_DEP_1)
	v_fma_f32 v2, -v2, v7, v8
	v_div_fmas_f32 v2, v2, v3, v7
	s_delay_alu instid0(VALU_DEP_1) | instskip(NEXT) | instid1(VALU_DEP_1)
	v_div_fixup_f32 v3, v2, v0, v1
	v_fmac_f32_e32 v0, v1, v3
	s_delay_alu instid0(VALU_DEP_1) | instskip(NEXT) | instid1(VALU_DEP_1)
	v_div_scale_f32 v1, null, v0, v0, 1.0
	v_rcp_f32_e32 v2, v1
	v_nop
	s_delay_alu instid0(TRANS32_DEP_1) | instskip(NEXT) | instid1(VALU_DEP_1)
	v_fma_f32 v7, -v1, v2, 1.0
	v_fmac_f32_e32 v2, v7, v2
	v_div_scale_f32 v7, vcc_lo, 1.0, v0, 1.0
	s_delay_alu instid0(VALU_DEP_1) | instskip(NEXT) | instid1(VALU_DEP_1)
	v_mul_f32_e32 v8, v7, v2
	v_fma_f32 v9, -v1, v8, v7
	s_delay_alu instid0(VALU_DEP_1) | instskip(NEXT) | instid1(VALU_DEP_1)
	v_fmac_f32_e32 v8, v9, v2
	v_fma_f32 v1, -v1, v8, v7
	s_delay_alu instid0(VALU_DEP_1) | instskip(NEXT) | instid1(VALU_DEP_1)
	v_div_fmas_f32 v1, v1, v2, v8
	v_div_fixup_f32 v2, v1, v0, 1.0
	s_delay_alu instid0(VALU_DEP_1)
	v_mul_f32_e64 v3, v3, -v2
.LBB85_277:
	s_or_b32 exec_lo, exec_lo, s1
	ds_store_b64 v33, v[2:3]
.LBB85_278:
	s_or_b32 exec_lo, exec_lo, s2
	s_wait_dscnt 0x0
	s_barrier_signal -1
	s_barrier_wait -1
	ds_load_b64 v[234:235], v33
	s_mov_b32 s1, exec_lo
	v_cmpx_lt_u32_e32 30, v32
	s_cbranch_execz .LBB85_280
; %bb.279:
	ds_load_2addr_b64 v[236:239], v6 offset0:31 offset1:32
	s_wait_dscnt 0x1
	v_pk_mul_f32 v[2:3], v[234:235], v[126:127] op_sel:[1,1] op_sel_hi:[0,1]
	s_delay_alu instid0(VALU_DEP_1) | instskip(SKIP_1) | instid1(VALU_DEP_1)
	v_pk_fma_f32 v[0:1], v[234:235], v[126:127], v[2:3] op_sel_hi:[1,0,1] neg_lo:[0,0,1] neg_hi:[0,0,1]
	v_pk_fma_f32 v[2:3], v[234:235], v[126:127], v[2:3] op_sel_hi:[1,0,1]
	v_dual_mov_b32 v126, v0 :: v_dual_mov_b32 v127, v3
	s_wait_dscnt 0x0
	s_delay_alu instid0(VALU_DEP_2) | instskip(NEXT) | instid1(VALU_DEP_1)
	v_pk_mul_f32 v[8:9], v[236:237], v[2:3] op_sel:[0,1]
	v_pk_fma_f32 v[10:11], v[236:237], v[0:1], v[8:9] op_sel:[0,0,1] op_sel_hi:[1,1,0] neg_lo:[0,0,1] neg_hi:[0,0,1]
	v_pk_fma_f32 v[8:9], v[236:237], v[0:1], v[8:9] op_sel:[0,0,1] op_sel_hi:[1,0,0]
	s_delay_alu instid0(VALU_DEP_1) | instskip(SKIP_1) | instid1(VALU_DEP_2)
	v_mov_b32_e32 v11, v9
	v_pk_mul_f32 v[8:9], v[238:239], v[2:3] op_sel:[0,1]
	v_pk_add_f32 v[122:123], v[122:123], v[10:11] neg_lo:[0,1] neg_hi:[0,1]
	s_delay_alu instid0(VALU_DEP_2) | instskip(SKIP_3) | instid1(VALU_DEP_1)
	v_pk_fma_f32 v[10:11], v[238:239], v[0:1], v[8:9] op_sel:[0,0,1] op_sel_hi:[1,1,0] neg_lo:[0,0,1] neg_hi:[0,0,1]
	v_pk_fma_f32 v[8:9], v[238:239], v[0:1], v[8:9] op_sel:[0,0,1] op_sel_hi:[1,0,0]
	ds_load_2addr_b64 v[236:239], v6 offset0:33 offset1:34
	v_mov_b32_e32 v11, v9
	v_pk_add_f32 v[146:147], v[146:147], v[10:11] neg_lo:[0,1] neg_hi:[0,1]
	s_wait_dscnt 0x0
	v_pk_mul_f32 v[8:9], v[236:237], v[2:3] op_sel:[0,1]
	s_delay_alu instid0(VALU_DEP_1) | instskip(SKIP_2) | instid1(VALU_DEP_2)
	v_pk_fma_f32 v[10:11], v[236:237], v[0:1], v[8:9] op_sel:[0,0,1] op_sel_hi:[1,1,0] neg_lo:[0,0,1] neg_hi:[0,0,1]
	v_pk_fma_f32 v[8:9], v[236:237], v[0:1], v[8:9] op_sel:[0,0,1] op_sel_hi:[1,0,0]
	v_dual_mov_b32 v8, v239 :: v_dual_mul_f32 v236, v239, v0
	v_dual_mov_b32 v11, v9 :: v_dual_mov_b32 v9, v238
	s_delay_alu instid0(VALU_DEP_1) | instskip(SKIP_1) | instid1(VALU_DEP_3)
	v_pk_add_f32 v[142:143], v[142:143], v[10:11] neg_lo:[0,1] neg_hi:[0,1]
	v_mul_f32_e32 v10, v239, v3
	v_pk_fma_f32 v[8:9], v[8:9], v[126:127], v[236:237] op_sel_hi:[1,1,0]
	s_delay_alu instid0(VALU_DEP_2) | instskip(SKIP_2) | instid1(VALU_DEP_1)
	v_pk_fma_f32 v[10:11], v[238:239], v[126:127], v[10:11] op_sel_hi:[1,1,0] neg_lo:[0,0,1] neg_hi:[0,0,1]
	ds_load_2addr_b64 v[236:239], v6 offset0:35 offset1:36
	v_mov_b32_e32 v11, v9
	v_pk_add_f32 v[144:145], v[144:145], v[10:11] neg_lo:[0,1] neg_hi:[0,1]
	s_wait_dscnt 0x0
	v_pk_mul_f32 v[8:9], v[236:237], v[2:3] op_sel:[0,1]
	s_delay_alu instid0(VALU_DEP_1) | instskip(SKIP_1) | instid1(VALU_DEP_1)
	v_pk_fma_f32 v[10:11], v[236:237], v[0:1], v[8:9] op_sel:[0,0,1] op_sel_hi:[1,1,0] neg_lo:[0,0,1] neg_hi:[0,0,1]
	v_pk_fma_f32 v[8:9], v[236:237], v[0:1], v[8:9] op_sel:[0,0,1] op_sel_hi:[1,0,0]
	v_mov_b32_e32 v11, v9
	v_pk_mul_f32 v[8:9], v[238:239], v[2:3] op_sel:[0,1]
	s_delay_alu instid0(VALU_DEP_2) | instskip(NEXT) | instid1(VALU_DEP_2)
	v_pk_add_f32 v[140:141], v[140:141], v[10:11] neg_lo:[0,1] neg_hi:[0,1]
	v_pk_fma_f32 v[10:11], v[238:239], v[0:1], v[8:9] op_sel:[0,0,1] op_sel_hi:[1,1,0] neg_lo:[0,0,1] neg_hi:[0,0,1]
	v_pk_fma_f32 v[8:9], v[238:239], v[0:1], v[8:9] op_sel:[0,0,1] op_sel_hi:[1,0,0]
	ds_load_2addr_b64 v[236:239], v6 offset0:37 offset1:38
	v_mov_b32_e32 v11, v9
	s_delay_alu instid0(VALU_DEP_1) | instskip(SKIP_2) | instid1(VALU_DEP_1)
	v_pk_add_f32 v[166:167], v[166:167], v[10:11] neg_lo:[0,1] neg_hi:[0,1]
	s_wait_dscnt 0x0
	v_pk_mul_f32 v[8:9], v[236:237], v[2:3] op_sel:[0,1]
	v_pk_fma_f32 v[10:11], v[236:237], v[0:1], v[8:9] op_sel:[0,0,1] op_sel_hi:[1,1,0] neg_lo:[0,0,1] neg_hi:[0,0,1]
	v_pk_fma_f32 v[8:9], v[236:237], v[0:1], v[8:9] op_sel:[0,0,1] op_sel_hi:[1,0,0]
	s_delay_alu instid0(VALU_DEP_1) | instskip(SKIP_1) | instid1(VALU_DEP_2)
	v_mov_b32_e32 v11, v9
	v_pk_mul_f32 v[8:9], v[238:239], v[2:3] op_sel:[0,1]
	v_pk_add_f32 v[160:161], v[160:161], v[10:11] neg_lo:[0,1] neg_hi:[0,1]
	s_delay_alu instid0(VALU_DEP_2) | instskip(SKIP_3) | instid1(VALU_DEP_1)
	v_pk_fma_f32 v[10:11], v[238:239], v[0:1], v[8:9] op_sel:[0,0,1] op_sel_hi:[1,1,0] neg_lo:[0,0,1] neg_hi:[0,0,1]
	v_pk_fma_f32 v[8:9], v[238:239], v[0:1], v[8:9] op_sel:[0,0,1] op_sel_hi:[1,0,0]
	ds_load_2addr_b64 v[236:239], v6 offset0:39 offset1:40
	v_mov_b32_e32 v11, v9
	v_pk_add_f32 v[164:165], v[164:165], v[10:11] neg_lo:[0,1] neg_hi:[0,1]
	s_wait_dscnt 0x0
	v_dual_mul_f32 v8, v237, v3 :: v_dual_mul_f32 v10, v237, v0
	s_delay_alu instid0(VALU_DEP_1) | instskip(NEXT) | instid1(VALU_DEP_2)
	v_pk_fma_f32 v[8:9], v[236:237], v[126:127], v[8:9] op_sel_hi:[1,1,0] neg_lo:[0,0,1] neg_hi:[0,0,1]
	v_pk_fma_f32 v[10:11], v[236:237], v[126:127], v[10:11] op_sel:[1,0,0] op_sel_hi:[0,1,0]
	s_delay_alu instid0(VALU_DEP_1) | instskip(NEXT) | instid1(VALU_DEP_1)
	v_mov_b32_e32 v9, v11
	v_pk_add_f32 v[158:159], v[158:159], v[8:9] neg_lo:[0,1] neg_hi:[0,1]
	v_pk_mul_f32 v[8:9], v[238:239], v[2:3] op_sel:[0,1]
	s_delay_alu instid0(VALU_DEP_1) | instskip(SKIP_3) | instid1(VALU_DEP_1)
	v_pk_fma_f32 v[10:11], v[238:239], v[0:1], v[8:9] op_sel:[0,0,1] op_sel_hi:[1,1,0] neg_lo:[0,0,1] neg_hi:[0,0,1]
	v_pk_fma_f32 v[8:9], v[238:239], v[0:1], v[8:9] op_sel:[0,0,1] op_sel_hi:[1,0,0]
	ds_load_2addr_b64 v[236:239], v6 offset0:41 offset1:42
	v_mov_b32_e32 v11, v9
	v_pk_add_f32 v[162:163], v[162:163], v[10:11] neg_lo:[0,1] neg_hi:[0,1]
	s_wait_dscnt 0x0
	v_pk_mul_f32 v[8:9], v[236:237], v[2:3] op_sel:[0,1]
	v_mul_f32_e32 v2, v239, v3
	s_delay_alu instid0(VALU_DEP_2) | instskip(SKIP_2) | instid1(VALU_DEP_4)
	v_pk_fma_f32 v[10:11], v[236:237], v[0:1], v[8:9] op_sel:[0,0,1] op_sel_hi:[1,1,0] neg_lo:[0,0,1] neg_hi:[0,0,1]
	v_pk_fma_f32 v[8:9], v[236:237], v[0:1], v[8:9] op_sel:[0,0,1] op_sel_hi:[1,0,0]
	v_dual_mov_b32 v8, v239 :: v_dual_mul_f32 v0, v239, v0
	v_pk_fma_f32 v[2:3], v[238:239], v[126:127], v[2:3] op_sel_hi:[1,1,0] neg_lo:[0,0,1] neg_hi:[0,0,1]
	s_delay_alu instid0(VALU_DEP_3) | instskip(NEXT) | instid1(VALU_DEP_1)
	v_dual_mov_b32 v11, v9 :: v_dual_mov_b32 v9, v238
	v_pk_add_f32 v[168:169], v[168:169], v[10:11] neg_lo:[0,1] neg_hi:[0,1]
	s_delay_alu instid0(VALU_DEP_2) | instskip(NEXT) | instid1(VALU_DEP_1)
	v_pk_fma_f32 v[0:1], v[8:9], v[126:127], v[0:1] op_sel_hi:[1,1,0]
	v_mov_b32_e32 v3, v1
	s_delay_alu instid0(VALU_DEP_1)
	v_pk_add_f32 v[170:171], v[170:171], v[2:3] neg_lo:[0,1] neg_hi:[0,1]
.LBB85_280:
	s_or_b32 exec_lo, exec_lo, s1
	s_delay_alu instid0(SALU_CYCLE_1)
	s_mov_b32 s2, exec_lo
	s_wait_dscnt 0x0
	s_barrier_signal -1
	s_barrier_wait -1
	v_cmpx_eq_u32_e32 31, v32
	s_cbranch_execz .LBB85_287
; %bb.281:
	v_dual_mov_b32 v0, v146 :: v_dual_mov_b32 v1, v147
	v_dual_mov_b32 v2, v142 :: v_dual_mov_b32 v3, v143
	ds_store_b64 v33, v[122:123]
	ds_store_2addr_b64 v6, v[0:1], v[2:3] offset0:32 offset1:33
	v_dual_mov_b32 v0, v144 :: v_dual_mov_b32 v1, v145
	v_dual_mov_b32 v2, v140 :: v_dual_mov_b32 v3, v141
	ds_store_2addr_b64 v6, v[0:1], v[2:3] offset0:34 offset1:35
	v_dual_mov_b32 v0, v166 :: v_dual_mov_b32 v1, v167
	v_dual_mov_b32 v2, v160 :: v_dual_mov_b32 v3, v161
	;; [unrolled: 3-line block ×4, first 2 shown]
	ds_store_2addr_b64 v6, v[0:1], v[2:3] offset0:40 offset1:41
	ds_store_b64 v6, v[170:171] offset:336
	ds_load_b64 v[0:1], v33
	s_wait_dscnt 0x0
	v_cmp_neq_f32_e32 vcc_lo, 0, v0
	v_cmp_neq_f32_e64 s1, 0, v1
	s_or_b32 s1, vcc_lo, s1
	s_delay_alu instid0(SALU_CYCLE_1)
	s_and_b32 exec_lo, exec_lo, s1
	s_cbranch_execz .LBB85_287
; %bb.282:
	v_cmp_ngt_f32_e64 s1, |v0|, |v1|
                                        ; implicit-def: $vgpr2_vgpr3
	s_and_saveexec_b32 s4, s1
	s_delay_alu instid0(SALU_CYCLE_1)
	s_xor_b32 s1, exec_lo, s4
	s_cbranch_execz .LBB85_284
; %bb.283:
	v_div_scale_f32 v2, null, v1, v1, v0
	v_div_scale_f32 v8, vcc_lo, v0, v1, v0
	s_delay_alu instid0(VALU_DEP_2) | instskip(SKIP_1) | instid1(TRANS32_DEP_1)
	v_rcp_f32_e32 v3, v2
	v_nop
	v_fma_f32 v7, -v2, v3, 1.0
	s_delay_alu instid0(VALU_DEP_1) | instskip(NEXT) | instid1(VALU_DEP_1)
	v_fmac_f32_e32 v3, v7, v3
	v_mul_f32_e32 v7, v8, v3
	s_delay_alu instid0(VALU_DEP_1) | instskip(NEXT) | instid1(VALU_DEP_1)
	v_fma_f32 v9, -v2, v7, v8
	v_fmac_f32_e32 v7, v9, v3
	s_delay_alu instid0(VALU_DEP_1) | instskip(NEXT) | instid1(VALU_DEP_1)
	v_fma_f32 v2, -v2, v7, v8
	v_div_fmas_f32 v2, v2, v3, v7
	s_delay_alu instid0(VALU_DEP_1) | instskip(NEXT) | instid1(VALU_DEP_1)
	v_div_fixup_f32 v2, v2, v1, v0
	v_fmac_f32_e32 v1, v0, v2
	s_delay_alu instid0(VALU_DEP_1) | instskip(SKIP_1) | instid1(VALU_DEP_2)
	v_div_scale_f32 v0, null, v1, v1, 1.0
	v_div_scale_f32 v8, vcc_lo, 1.0, v1, 1.0
	v_rcp_f32_e32 v3, v0
	v_nop
	s_delay_alu instid0(TRANS32_DEP_1) | instskip(NEXT) | instid1(VALU_DEP_1)
	v_fma_f32 v7, -v0, v3, 1.0
	v_fmac_f32_e32 v3, v7, v3
	s_delay_alu instid0(VALU_DEP_1) | instskip(NEXT) | instid1(VALU_DEP_1)
	v_mul_f32_e32 v7, v8, v3
	v_fma_f32 v9, -v0, v7, v8
	s_delay_alu instid0(VALU_DEP_1) | instskip(NEXT) | instid1(VALU_DEP_1)
	v_fmac_f32_e32 v7, v9, v3
	v_fma_f32 v0, -v0, v7, v8
	s_delay_alu instid0(VALU_DEP_1) | instskip(NEXT) | instid1(VALU_DEP_1)
	v_div_fmas_f32 v0, v0, v3, v7
	v_div_fixup_f32 v0, v0, v1, 1.0
	s_delay_alu instid0(VALU_DEP_1)
	v_mul_f32_e32 v2, v2, v0
	v_xor_b32_e32 v3, 0x80000000, v0
                                        ; implicit-def: $vgpr0_vgpr1
.LBB85_284:
	s_and_not1_saveexec_b32 s1, s1
	s_cbranch_execz .LBB85_286
; %bb.285:
	v_div_scale_f32 v2, null, v0, v0, v1
	v_div_scale_f32 v8, vcc_lo, v1, v0, v1
	s_delay_alu instid0(VALU_DEP_2) | instskip(SKIP_1) | instid1(TRANS32_DEP_1)
	v_rcp_f32_e32 v3, v2
	v_nop
	v_fma_f32 v7, -v2, v3, 1.0
	s_delay_alu instid0(VALU_DEP_1) | instskip(NEXT) | instid1(VALU_DEP_1)
	v_fmac_f32_e32 v3, v7, v3
	v_mul_f32_e32 v7, v8, v3
	s_delay_alu instid0(VALU_DEP_1) | instskip(NEXT) | instid1(VALU_DEP_1)
	v_fma_f32 v9, -v2, v7, v8
	v_fmac_f32_e32 v7, v9, v3
	s_delay_alu instid0(VALU_DEP_1) | instskip(NEXT) | instid1(VALU_DEP_1)
	v_fma_f32 v2, -v2, v7, v8
	v_div_fmas_f32 v2, v2, v3, v7
	s_delay_alu instid0(VALU_DEP_1) | instskip(NEXT) | instid1(VALU_DEP_1)
	v_div_fixup_f32 v3, v2, v0, v1
	v_fmac_f32_e32 v0, v1, v3
	s_delay_alu instid0(VALU_DEP_1) | instskip(NEXT) | instid1(VALU_DEP_1)
	v_div_scale_f32 v1, null, v0, v0, 1.0
	v_rcp_f32_e32 v2, v1
	v_nop
	s_delay_alu instid0(TRANS32_DEP_1) | instskip(NEXT) | instid1(VALU_DEP_1)
	v_fma_f32 v7, -v1, v2, 1.0
	v_fmac_f32_e32 v2, v7, v2
	v_div_scale_f32 v7, vcc_lo, 1.0, v0, 1.0
	s_delay_alu instid0(VALU_DEP_1) | instskip(NEXT) | instid1(VALU_DEP_1)
	v_mul_f32_e32 v8, v7, v2
	v_fma_f32 v9, -v1, v8, v7
	s_delay_alu instid0(VALU_DEP_1) | instskip(NEXT) | instid1(VALU_DEP_1)
	v_fmac_f32_e32 v8, v9, v2
	v_fma_f32 v1, -v1, v8, v7
	s_delay_alu instid0(VALU_DEP_1) | instskip(NEXT) | instid1(VALU_DEP_1)
	v_div_fmas_f32 v1, v1, v2, v8
	v_div_fixup_f32 v2, v1, v0, 1.0
	s_delay_alu instid0(VALU_DEP_1)
	v_mul_f32_e64 v3, v3, -v2
.LBB85_286:
	s_or_b32 exec_lo, exec_lo, s1
	ds_store_b64 v33, v[2:3]
.LBB85_287:
	s_or_b32 exec_lo, exec_lo, s2
	s_wait_dscnt 0x0
	s_barrier_signal -1
	s_barrier_wait -1
	ds_load_b64 v[236:237], v33
	s_mov_b32 s1, exec_lo
	v_cmpx_lt_u32_e32 31, v32
	s_cbranch_execz .LBB85_289
; %bb.288:
	ds_load_2addr_b64 v[238:241], v6 offset0:32 offset1:33
	s_wait_dscnt 0x1
	v_pk_mul_f32 v[2:3], v[236:237], v[122:123] op_sel:[1,1] op_sel_hi:[0,1]
	s_delay_alu instid0(VALU_DEP_1) | instskip(SKIP_1) | instid1(VALU_DEP_1)
	v_pk_fma_f32 v[0:1], v[236:237], v[122:123], v[2:3] op_sel_hi:[1,0,1] neg_lo:[0,0,1] neg_hi:[0,0,1]
	v_pk_fma_f32 v[2:3], v[236:237], v[122:123], v[2:3] op_sel_hi:[1,0,1]
	v_dual_mov_b32 v122, v0 :: v_dual_mov_b32 v123, v3
	s_wait_dscnt 0x0
	s_delay_alu instid0(VALU_DEP_2) | instskip(NEXT) | instid1(VALU_DEP_1)
	v_pk_mul_f32 v[8:9], v[238:239], v[2:3] op_sel:[0,1]
	v_pk_fma_f32 v[10:11], v[238:239], v[0:1], v[8:9] op_sel:[0,0,1] op_sel_hi:[1,1,0] neg_lo:[0,0,1] neg_hi:[0,0,1]
	v_pk_fma_f32 v[8:9], v[238:239], v[0:1], v[8:9] op_sel:[0,0,1] op_sel_hi:[1,0,0]
	s_delay_alu instid0(VALU_DEP_1) | instskip(SKIP_1) | instid1(VALU_DEP_2)
	v_mov_b32_e32 v11, v9
	v_pk_mul_f32 v[8:9], v[240:241], v[2:3] op_sel:[0,1]
	v_pk_add_f32 v[146:147], v[146:147], v[10:11] neg_lo:[0,1] neg_hi:[0,1]
	s_delay_alu instid0(VALU_DEP_2) | instskip(SKIP_3) | instid1(VALU_DEP_1)
	v_pk_fma_f32 v[10:11], v[240:241], v[0:1], v[8:9] op_sel:[0,0,1] op_sel_hi:[1,1,0] neg_lo:[0,0,1] neg_hi:[0,0,1]
	v_pk_fma_f32 v[8:9], v[240:241], v[0:1], v[8:9] op_sel:[0,0,1] op_sel_hi:[1,0,0]
	ds_load_2addr_b64 v[238:241], v6 offset0:34 offset1:35
	v_mov_b32_e32 v11, v9
	v_pk_add_f32 v[142:143], v[142:143], v[10:11] neg_lo:[0,1] neg_hi:[0,1]
	s_wait_dscnt 0x0
	v_pk_mul_f32 v[8:9], v[238:239], v[2:3] op_sel:[0,1]
	s_delay_alu instid0(VALU_DEP_1) | instskip(SKIP_2) | instid1(VALU_DEP_2)
	v_pk_fma_f32 v[10:11], v[238:239], v[0:1], v[8:9] op_sel:[0,0,1] op_sel_hi:[1,1,0] neg_lo:[0,0,1] neg_hi:[0,0,1]
	v_pk_fma_f32 v[8:9], v[238:239], v[0:1], v[8:9] op_sel:[0,0,1] op_sel_hi:[1,0,0]
	v_dual_mov_b32 v8, v241 :: v_dual_mul_f32 v238, v241, v0
	v_dual_mov_b32 v11, v9 :: v_dual_mov_b32 v9, v240
	s_delay_alu instid0(VALU_DEP_1) | instskip(SKIP_1) | instid1(VALU_DEP_3)
	v_pk_add_f32 v[144:145], v[144:145], v[10:11] neg_lo:[0,1] neg_hi:[0,1]
	v_mul_f32_e32 v10, v241, v3
	v_pk_fma_f32 v[8:9], v[8:9], v[122:123], v[238:239] op_sel_hi:[1,1,0]
	s_delay_alu instid0(VALU_DEP_2) | instskip(SKIP_2) | instid1(VALU_DEP_1)
	v_pk_fma_f32 v[10:11], v[240:241], v[122:123], v[10:11] op_sel_hi:[1,1,0] neg_lo:[0,0,1] neg_hi:[0,0,1]
	ds_load_2addr_b64 v[238:241], v6 offset0:36 offset1:37
	v_mov_b32_e32 v11, v9
	v_pk_add_f32 v[140:141], v[140:141], v[10:11] neg_lo:[0,1] neg_hi:[0,1]
	s_wait_dscnt 0x0
	v_pk_mul_f32 v[8:9], v[238:239], v[2:3] op_sel:[0,1]
	s_delay_alu instid0(VALU_DEP_1) | instskip(SKIP_1) | instid1(VALU_DEP_1)
	v_pk_fma_f32 v[10:11], v[238:239], v[0:1], v[8:9] op_sel:[0,0,1] op_sel_hi:[1,1,0] neg_lo:[0,0,1] neg_hi:[0,0,1]
	v_pk_fma_f32 v[8:9], v[238:239], v[0:1], v[8:9] op_sel:[0,0,1] op_sel_hi:[1,0,0]
	v_mov_b32_e32 v11, v9
	v_pk_mul_f32 v[8:9], v[240:241], v[2:3] op_sel:[0,1]
	s_delay_alu instid0(VALU_DEP_2) | instskip(NEXT) | instid1(VALU_DEP_2)
	v_pk_add_f32 v[166:167], v[166:167], v[10:11] neg_lo:[0,1] neg_hi:[0,1]
	v_pk_fma_f32 v[10:11], v[240:241], v[0:1], v[8:9] op_sel:[0,0,1] op_sel_hi:[1,1,0] neg_lo:[0,0,1] neg_hi:[0,0,1]
	v_pk_fma_f32 v[8:9], v[240:241], v[0:1], v[8:9] op_sel:[0,0,1] op_sel_hi:[1,0,0]
	ds_load_2addr_b64 v[238:241], v6 offset0:38 offset1:39
	v_mov_b32_e32 v11, v9
	s_delay_alu instid0(VALU_DEP_1) | instskip(SKIP_2) | instid1(VALU_DEP_1)
	v_pk_add_f32 v[160:161], v[160:161], v[10:11] neg_lo:[0,1] neg_hi:[0,1]
	s_wait_dscnt 0x0
	v_pk_mul_f32 v[8:9], v[238:239], v[2:3] op_sel:[0,1]
	v_pk_fma_f32 v[10:11], v[238:239], v[0:1], v[8:9] op_sel:[0,0,1] op_sel_hi:[1,1,0] neg_lo:[0,0,1] neg_hi:[0,0,1]
	v_pk_fma_f32 v[8:9], v[238:239], v[0:1], v[8:9] op_sel:[0,0,1] op_sel_hi:[1,0,0]
	s_delay_alu instid0(VALU_DEP_1) | instskip(SKIP_1) | instid1(VALU_DEP_2)
	v_mov_b32_e32 v11, v9
	v_pk_mul_f32 v[8:9], v[240:241], v[2:3] op_sel:[0,1]
	v_pk_add_f32 v[164:165], v[164:165], v[10:11] neg_lo:[0,1] neg_hi:[0,1]
	s_delay_alu instid0(VALU_DEP_2) | instskip(SKIP_3) | instid1(VALU_DEP_1)
	v_pk_fma_f32 v[10:11], v[240:241], v[0:1], v[8:9] op_sel:[0,0,1] op_sel_hi:[1,1,0] neg_lo:[0,0,1] neg_hi:[0,0,1]
	v_pk_fma_f32 v[8:9], v[240:241], v[0:1], v[8:9] op_sel:[0,0,1] op_sel_hi:[1,0,0]
	ds_load_2addr_b64 v[238:241], v6 offset0:40 offset1:41
	v_mov_b32_e32 v11, v9
	v_pk_add_f32 v[158:159], v[158:159], v[10:11] neg_lo:[0,1] neg_hi:[0,1]
	s_wait_dscnt 0x0
	v_dual_mul_f32 v10, v239, v0 :: v_dual_mul_f32 v8, v239, v3
	s_delay_alu instid0(VALU_DEP_1) | instskip(NEXT) | instid1(VALU_DEP_2)
	v_pk_fma_f32 v[10:11], v[238:239], v[122:123], v[10:11] op_sel:[1,0,0] op_sel_hi:[0,1,0]
	v_pk_fma_f32 v[8:9], v[238:239], v[122:123], v[8:9] op_sel_hi:[1,1,0] neg_lo:[0,0,1] neg_hi:[0,0,1]
	s_delay_alu instid0(VALU_DEP_2) | instskip(NEXT) | instid1(VALU_DEP_1)
	v_mov_b32_e32 v9, v11
	v_pk_add_f32 v[162:163], v[162:163], v[8:9] neg_lo:[0,1] neg_hi:[0,1]
	v_pk_mul_f32 v[8:9], v[240:241], v[2:3] op_sel:[0,1]
	s_delay_alu instid0(VALU_DEP_1) | instskip(SKIP_1) | instid1(VALU_DEP_1)
	v_pk_fma_f32 v[10:11], v[240:241], v[0:1], v[8:9] op_sel:[0,0,1] op_sel_hi:[1,1,0] neg_lo:[0,0,1] neg_hi:[0,0,1]
	v_pk_fma_f32 v[8:9], v[240:241], v[0:1], v[8:9] op_sel:[0,0,1] op_sel_hi:[1,0,0]
	v_mov_b32_e32 v11, v9
	ds_load_b64 v[8:9], v6 offset:336
	v_pk_add_f32 v[168:169], v[168:169], v[10:11] neg_lo:[0,1] neg_hi:[0,1]
	s_wait_dscnt 0x0
	v_pk_mul_f32 v[2:3], v[8:9], v[2:3] op_sel:[0,1]
	s_delay_alu instid0(VALU_DEP_1) | instskip(SKIP_1) | instid1(VALU_DEP_1)
	v_pk_fma_f32 v[10:11], v[8:9], v[0:1], v[2:3] op_sel:[0,0,1] op_sel_hi:[1,1,0] neg_lo:[0,0,1] neg_hi:[0,0,1]
	v_pk_fma_f32 v[0:1], v[8:9], v[0:1], v[2:3] op_sel:[0,0,1] op_sel_hi:[1,0,0]
	v_mov_b32_e32 v11, v1
	s_delay_alu instid0(VALU_DEP_1)
	v_pk_add_f32 v[170:171], v[170:171], v[10:11] neg_lo:[0,1] neg_hi:[0,1]
.LBB85_289:
	s_or_b32 exec_lo, exec_lo, s1
	s_delay_alu instid0(SALU_CYCLE_1)
	s_mov_b32 s2, exec_lo
	s_wait_dscnt 0x0
	s_barrier_signal -1
	s_barrier_wait -1
	v_cmpx_eq_u32_e32 32, v32
	s_cbranch_execz .LBB85_296
; %bb.290:
	ds_store_b64 v33, v[146:147]
	ds_store_2addr_b64 v6, v[142:143], v[144:145] offset0:33 offset1:34
	ds_store_2addr_b64 v6, v[140:141], v[166:167] offset0:35 offset1:36
	;; [unrolled: 1-line block ×5, first 2 shown]
	ds_load_b64 v[0:1], v33
	s_wait_dscnt 0x0
	v_cmp_neq_f32_e32 vcc_lo, 0, v0
	v_cmp_neq_f32_e64 s1, 0, v1
	s_or_b32 s1, vcc_lo, s1
	s_delay_alu instid0(SALU_CYCLE_1)
	s_and_b32 exec_lo, exec_lo, s1
	s_cbranch_execz .LBB85_296
; %bb.291:
	v_cmp_ngt_f32_e64 s1, |v0|, |v1|
                                        ; implicit-def: $vgpr2_vgpr3
	s_and_saveexec_b32 s4, s1
	s_delay_alu instid0(SALU_CYCLE_1)
	s_xor_b32 s1, exec_lo, s4
	s_cbranch_execz .LBB85_293
; %bb.292:
	v_div_scale_f32 v2, null, v1, v1, v0
	v_div_scale_f32 v8, vcc_lo, v0, v1, v0
	s_delay_alu instid0(VALU_DEP_2) | instskip(SKIP_1) | instid1(TRANS32_DEP_1)
	v_rcp_f32_e32 v3, v2
	v_nop
	v_fma_f32 v7, -v2, v3, 1.0
	s_delay_alu instid0(VALU_DEP_1) | instskip(NEXT) | instid1(VALU_DEP_1)
	v_fmac_f32_e32 v3, v7, v3
	v_mul_f32_e32 v7, v8, v3
	s_delay_alu instid0(VALU_DEP_1) | instskip(NEXT) | instid1(VALU_DEP_1)
	v_fma_f32 v9, -v2, v7, v8
	v_fmac_f32_e32 v7, v9, v3
	s_delay_alu instid0(VALU_DEP_1) | instskip(NEXT) | instid1(VALU_DEP_1)
	v_fma_f32 v2, -v2, v7, v8
	v_div_fmas_f32 v2, v2, v3, v7
	s_delay_alu instid0(VALU_DEP_1) | instskip(NEXT) | instid1(VALU_DEP_1)
	v_div_fixup_f32 v2, v2, v1, v0
	v_fmac_f32_e32 v1, v0, v2
	s_delay_alu instid0(VALU_DEP_1) | instskip(SKIP_1) | instid1(VALU_DEP_2)
	v_div_scale_f32 v0, null, v1, v1, 1.0
	v_div_scale_f32 v8, vcc_lo, 1.0, v1, 1.0
	v_rcp_f32_e32 v3, v0
	v_nop
	s_delay_alu instid0(TRANS32_DEP_1) | instskip(NEXT) | instid1(VALU_DEP_1)
	v_fma_f32 v7, -v0, v3, 1.0
	v_fmac_f32_e32 v3, v7, v3
	s_delay_alu instid0(VALU_DEP_1) | instskip(NEXT) | instid1(VALU_DEP_1)
	v_mul_f32_e32 v7, v8, v3
	v_fma_f32 v9, -v0, v7, v8
	s_delay_alu instid0(VALU_DEP_1) | instskip(NEXT) | instid1(VALU_DEP_1)
	v_fmac_f32_e32 v7, v9, v3
	v_fma_f32 v0, -v0, v7, v8
	s_delay_alu instid0(VALU_DEP_1) | instskip(NEXT) | instid1(VALU_DEP_1)
	v_div_fmas_f32 v0, v0, v3, v7
	v_div_fixup_f32 v0, v0, v1, 1.0
	s_delay_alu instid0(VALU_DEP_1)
	v_mul_f32_e32 v2, v2, v0
	v_xor_b32_e32 v3, 0x80000000, v0
                                        ; implicit-def: $vgpr0_vgpr1
.LBB85_293:
	s_and_not1_saveexec_b32 s1, s1
	s_cbranch_execz .LBB85_295
; %bb.294:
	v_div_scale_f32 v2, null, v0, v0, v1
	v_div_scale_f32 v8, vcc_lo, v1, v0, v1
	s_delay_alu instid0(VALU_DEP_2) | instskip(SKIP_1) | instid1(TRANS32_DEP_1)
	v_rcp_f32_e32 v3, v2
	v_nop
	v_fma_f32 v7, -v2, v3, 1.0
	s_delay_alu instid0(VALU_DEP_1) | instskip(NEXT) | instid1(VALU_DEP_1)
	v_fmac_f32_e32 v3, v7, v3
	v_mul_f32_e32 v7, v8, v3
	s_delay_alu instid0(VALU_DEP_1) | instskip(NEXT) | instid1(VALU_DEP_1)
	v_fma_f32 v9, -v2, v7, v8
	v_fmac_f32_e32 v7, v9, v3
	s_delay_alu instid0(VALU_DEP_1) | instskip(NEXT) | instid1(VALU_DEP_1)
	v_fma_f32 v2, -v2, v7, v8
	v_div_fmas_f32 v2, v2, v3, v7
	s_delay_alu instid0(VALU_DEP_1) | instskip(NEXT) | instid1(VALU_DEP_1)
	v_div_fixup_f32 v3, v2, v0, v1
	v_fmac_f32_e32 v0, v1, v3
	s_delay_alu instid0(VALU_DEP_1) | instskip(NEXT) | instid1(VALU_DEP_1)
	v_div_scale_f32 v1, null, v0, v0, 1.0
	v_rcp_f32_e32 v2, v1
	v_nop
	s_delay_alu instid0(TRANS32_DEP_1) | instskip(NEXT) | instid1(VALU_DEP_1)
	v_fma_f32 v7, -v1, v2, 1.0
	v_fmac_f32_e32 v2, v7, v2
	v_div_scale_f32 v7, vcc_lo, 1.0, v0, 1.0
	s_delay_alu instid0(VALU_DEP_1) | instskip(NEXT) | instid1(VALU_DEP_1)
	v_mul_f32_e32 v8, v7, v2
	v_fma_f32 v9, -v1, v8, v7
	s_delay_alu instid0(VALU_DEP_1) | instskip(NEXT) | instid1(VALU_DEP_1)
	v_fmac_f32_e32 v8, v9, v2
	v_fma_f32 v1, -v1, v8, v7
	s_delay_alu instid0(VALU_DEP_1) | instskip(NEXT) | instid1(VALU_DEP_1)
	v_div_fmas_f32 v1, v1, v2, v8
	v_div_fixup_f32 v2, v1, v0, 1.0
	s_delay_alu instid0(VALU_DEP_1)
	v_mul_f32_e64 v3, v3, -v2
.LBB85_295:
	s_or_b32 exec_lo, exec_lo, s1
	ds_store_b64 v33, v[2:3]
.LBB85_296:
	s_or_b32 exec_lo, exec_lo, s2
	s_wait_dscnt 0x0
	s_barrier_signal -1
	s_barrier_wait -1
	ds_load_b64 v[238:239], v33
	s_mov_b32 s1, exec_lo
	v_cmpx_lt_u32_e32 32, v32
	s_cbranch_execz .LBB85_298
; %bb.297:
	ds_load_2addr_b64 v[240:243], v6 offset0:33 offset1:34
	s_wait_dscnt 0x1
	v_pk_mul_f32 v[2:3], v[238:239], v[146:147] op_sel:[1,1] op_sel_hi:[0,1]
	s_delay_alu instid0(VALU_DEP_1) | instskip(SKIP_1) | instid1(VALU_DEP_1)
	v_pk_fma_f32 v[0:1], v[238:239], v[146:147], v[2:3] op_sel_hi:[1,0,1] neg_lo:[0,0,1] neg_hi:[0,0,1]
	v_pk_fma_f32 v[2:3], v[238:239], v[146:147], v[2:3] op_sel_hi:[1,0,1]
	v_dual_mov_b32 v146, v0 :: v_dual_mov_b32 v147, v3
	s_wait_dscnt 0x0
	s_delay_alu instid0(VALU_DEP_2) | instskip(NEXT) | instid1(VALU_DEP_1)
	v_pk_mul_f32 v[8:9], v[240:241], v[2:3] op_sel:[0,1]
	v_pk_fma_f32 v[10:11], v[240:241], v[0:1], v[8:9] op_sel:[0,0,1] op_sel_hi:[1,1,0] neg_lo:[0,0,1] neg_hi:[0,0,1]
	v_pk_fma_f32 v[8:9], v[240:241], v[0:1], v[8:9] op_sel:[0,0,1] op_sel_hi:[1,0,0]
	s_delay_alu instid0(VALU_DEP_1) | instskip(SKIP_1) | instid1(VALU_DEP_2)
	v_mov_b32_e32 v11, v9
	v_pk_mul_f32 v[8:9], v[242:243], v[2:3] op_sel:[0,1]
	v_pk_add_f32 v[142:143], v[142:143], v[10:11] neg_lo:[0,1] neg_hi:[0,1]
	s_delay_alu instid0(VALU_DEP_2) | instskip(SKIP_3) | instid1(VALU_DEP_1)
	v_pk_fma_f32 v[10:11], v[242:243], v[0:1], v[8:9] op_sel:[0,0,1] op_sel_hi:[1,1,0] neg_lo:[0,0,1] neg_hi:[0,0,1]
	v_pk_fma_f32 v[8:9], v[242:243], v[0:1], v[8:9] op_sel:[0,0,1] op_sel_hi:[1,0,0]
	ds_load_2addr_b64 v[240:243], v6 offset0:35 offset1:36
	v_mov_b32_e32 v11, v9
	v_pk_add_f32 v[144:145], v[144:145], v[10:11] neg_lo:[0,1] neg_hi:[0,1]
	s_wait_dscnt 0x0
	v_pk_mul_f32 v[8:9], v[240:241], v[2:3] op_sel:[0,1]
	s_delay_alu instid0(VALU_DEP_1) | instskip(SKIP_2) | instid1(VALU_DEP_2)
	v_pk_fma_f32 v[10:11], v[240:241], v[0:1], v[8:9] op_sel:[0,0,1] op_sel_hi:[1,1,0] neg_lo:[0,0,1] neg_hi:[0,0,1]
	v_pk_fma_f32 v[8:9], v[240:241], v[0:1], v[8:9] op_sel:[0,0,1] op_sel_hi:[1,0,0]
	v_dual_mov_b32 v8, v243 :: v_dual_mul_f32 v240, v243, v0
	v_dual_mov_b32 v11, v9 :: v_dual_mov_b32 v9, v242
	s_delay_alu instid0(VALU_DEP_1) | instskip(SKIP_1) | instid1(VALU_DEP_3)
	v_pk_add_f32 v[140:141], v[140:141], v[10:11] neg_lo:[0,1] neg_hi:[0,1]
	v_mul_f32_e32 v10, v243, v3
	v_pk_fma_f32 v[8:9], v[8:9], v[146:147], v[240:241] op_sel_hi:[1,1,0]
	s_delay_alu instid0(VALU_DEP_2) | instskip(SKIP_2) | instid1(VALU_DEP_1)
	v_pk_fma_f32 v[10:11], v[242:243], v[146:147], v[10:11] op_sel_hi:[1,1,0] neg_lo:[0,0,1] neg_hi:[0,0,1]
	ds_load_2addr_b64 v[240:243], v6 offset0:37 offset1:38
	v_mov_b32_e32 v11, v9
	v_pk_add_f32 v[166:167], v[166:167], v[10:11] neg_lo:[0,1] neg_hi:[0,1]
	s_wait_dscnt 0x0
	v_pk_mul_f32 v[8:9], v[240:241], v[2:3] op_sel:[0,1]
	s_delay_alu instid0(VALU_DEP_1) | instskip(SKIP_1) | instid1(VALU_DEP_1)
	v_pk_fma_f32 v[10:11], v[240:241], v[0:1], v[8:9] op_sel:[0,0,1] op_sel_hi:[1,1,0] neg_lo:[0,0,1] neg_hi:[0,0,1]
	v_pk_fma_f32 v[8:9], v[240:241], v[0:1], v[8:9] op_sel:[0,0,1] op_sel_hi:[1,0,0]
	v_mov_b32_e32 v11, v9
	v_pk_mul_f32 v[8:9], v[242:243], v[2:3] op_sel:[0,1]
	s_delay_alu instid0(VALU_DEP_2) | instskip(NEXT) | instid1(VALU_DEP_2)
	v_pk_add_f32 v[160:161], v[160:161], v[10:11] neg_lo:[0,1] neg_hi:[0,1]
	v_pk_fma_f32 v[10:11], v[242:243], v[0:1], v[8:9] op_sel:[0,0,1] op_sel_hi:[1,1,0] neg_lo:[0,0,1] neg_hi:[0,0,1]
	v_pk_fma_f32 v[8:9], v[242:243], v[0:1], v[8:9] op_sel:[0,0,1] op_sel_hi:[1,0,0]
	ds_load_2addr_b64 v[240:243], v6 offset0:39 offset1:40
	v_mov_b32_e32 v11, v9
	s_delay_alu instid0(VALU_DEP_1) | instskip(SKIP_2) | instid1(VALU_DEP_1)
	v_pk_add_f32 v[164:165], v[164:165], v[10:11] neg_lo:[0,1] neg_hi:[0,1]
	s_wait_dscnt 0x0
	v_pk_mul_f32 v[8:9], v[240:241], v[2:3] op_sel:[0,1]
	v_pk_fma_f32 v[10:11], v[240:241], v[0:1], v[8:9] op_sel:[0,0,1] op_sel_hi:[1,1,0] neg_lo:[0,0,1] neg_hi:[0,0,1]
	v_pk_fma_f32 v[8:9], v[240:241], v[0:1], v[8:9] op_sel:[0,0,1] op_sel_hi:[1,0,0]
	s_delay_alu instid0(VALU_DEP_1) | instskip(SKIP_1) | instid1(VALU_DEP_2)
	v_mov_b32_e32 v11, v9
	v_pk_mul_f32 v[8:9], v[242:243], v[2:3] op_sel:[0,1]
	v_pk_add_f32 v[158:159], v[158:159], v[10:11] neg_lo:[0,1] neg_hi:[0,1]
	s_delay_alu instid0(VALU_DEP_2) | instskip(SKIP_3) | instid1(VALU_DEP_1)
	v_pk_fma_f32 v[10:11], v[242:243], v[0:1], v[8:9] op_sel:[0,0,1] op_sel_hi:[1,1,0] neg_lo:[0,0,1] neg_hi:[0,0,1]
	v_pk_fma_f32 v[8:9], v[242:243], v[0:1], v[8:9] op_sel:[0,0,1] op_sel_hi:[1,0,0]
	ds_load_2addr_b64 v[240:243], v6 offset0:41 offset1:42
	v_mov_b32_e32 v11, v9
	v_pk_add_f32 v[162:163], v[162:163], v[10:11] neg_lo:[0,1] neg_hi:[0,1]
	s_wait_dscnt 0x0
	v_dual_mul_f32 v8, v241, v3 :: v_dual_mul_f32 v10, v241, v0
	v_pk_mul_f32 v[2:3], v[242:243], v[2:3] op_sel:[0,1]
	s_delay_alu instid0(VALU_DEP_2) | instskip(NEXT) | instid1(VALU_DEP_3)
	v_pk_fma_f32 v[8:9], v[240:241], v[146:147], v[8:9] op_sel_hi:[1,1,0] neg_lo:[0,0,1] neg_hi:[0,0,1]
	v_pk_fma_f32 v[10:11], v[240:241], v[146:147], v[10:11] op_sel:[1,0,0] op_sel_hi:[0,1,0]
	s_delay_alu instid0(VALU_DEP_1) | instskip(NEXT) | instid1(VALU_DEP_1)
	v_mov_b32_e32 v9, v11
	v_pk_add_f32 v[168:169], v[168:169], v[8:9] neg_lo:[0,1] neg_hi:[0,1]
	v_pk_fma_f32 v[8:9], v[242:243], v[0:1], v[2:3] op_sel:[0,0,1] op_sel_hi:[1,1,0] neg_lo:[0,0,1] neg_hi:[0,0,1]
	v_pk_fma_f32 v[0:1], v[242:243], v[0:1], v[2:3] op_sel:[0,0,1] op_sel_hi:[1,0,0]
	s_delay_alu instid0(VALU_DEP_1) | instskip(NEXT) | instid1(VALU_DEP_1)
	v_mov_b32_e32 v9, v1
	v_pk_add_f32 v[170:171], v[170:171], v[8:9] neg_lo:[0,1] neg_hi:[0,1]
.LBB85_298:
	s_or_b32 exec_lo, exec_lo, s1
	s_delay_alu instid0(SALU_CYCLE_1)
	s_mov_b32 s2, exec_lo
	s_wait_dscnt 0x0
	s_barrier_signal -1
	s_barrier_wait -1
	v_cmpx_eq_u32_e32 33, v32
	s_cbranch_execz .LBB85_305
; %bb.299:
	v_dual_mov_b32 v0, v144 :: v_dual_mov_b32 v1, v145
	v_dual_mov_b32 v2, v140 :: v_dual_mov_b32 v3, v141
	ds_store_b64 v33, v[142:143]
	ds_store_2addr_b64 v6, v[0:1], v[2:3] offset0:34 offset1:35
	v_dual_mov_b32 v0, v166 :: v_dual_mov_b32 v1, v167
	v_dual_mov_b32 v2, v160 :: v_dual_mov_b32 v3, v161
	ds_store_2addr_b64 v6, v[0:1], v[2:3] offset0:36 offset1:37
	v_dual_mov_b32 v0, v164 :: v_dual_mov_b32 v1, v165
	v_dual_mov_b32 v2, v158 :: v_dual_mov_b32 v3, v159
	;; [unrolled: 3-line block ×3, first 2 shown]
	ds_store_2addr_b64 v6, v[0:1], v[2:3] offset0:40 offset1:41
	ds_store_b64 v6, v[170:171] offset:336
	ds_load_b64 v[0:1], v33
	s_wait_dscnt 0x0
	v_cmp_neq_f32_e32 vcc_lo, 0, v0
	v_cmp_neq_f32_e64 s1, 0, v1
	s_or_b32 s1, vcc_lo, s1
	s_delay_alu instid0(SALU_CYCLE_1)
	s_and_b32 exec_lo, exec_lo, s1
	s_cbranch_execz .LBB85_305
; %bb.300:
	v_cmp_ngt_f32_e64 s1, |v0|, |v1|
                                        ; implicit-def: $vgpr2_vgpr3
	s_and_saveexec_b32 s4, s1
	s_delay_alu instid0(SALU_CYCLE_1)
	s_xor_b32 s1, exec_lo, s4
	s_cbranch_execz .LBB85_302
; %bb.301:
	v_div_scale_f32 v2, null, v1, v1, v0
	v_div_scale_f32 v8, vcc_lo, v0, v1, v0
	s_delay_alu instid0(VALU_DEP_2) | instskip(SKIP_1) | instid1(TRANS32_DEP_1)
	v_rcp_f32_e32 v3, v2
	v_nop
	v_fma_f32 v7, -v2, v3, 1.0
	s_delay_alu instid0(VALU_DEP_1) | instskip(NEXT) | instid1(VALU_DEP_1)
	v_fmac_f32_e32 v3, v7, v3
	v_mul_f32_e32 v7, v8, v3
	s_delay_alu instid0(VALU_DEP_1) | instskip(NEXT) | instid1(VALU_DEP_1)
	v_fma_f32 v9, -v2, v7, v8
	v_fmac_f32_e32 v7, v9, v3
	s_delay_alu instid0(VALU_DEP_1) | instskip(NEXT) | instid1(VALU_DEP_1)
	v_fma_f32 v2, -v2, v7, v8
	v_div_fmas_f32 v2, v2, v3, v7
	s_delay_alu instid0(VALU_DEP_1) | instskip(NEXT) | instid1(VALU_DEP_1)
	v_div_fixup_f32 v2, v2, v1, v0
	v_fmac_f32_e32 v1, v0, v2
	s_delay_alu instid0(VALU_DEP_1) | instskip(SKIP_1) | instid1(VALU_DEP_2)
	v_div_scale_f32 v0, null, v1, v1, 1.0
	v_div_scale_f32 v8, vcc_lo, 1.0, v1, 1.0
	v_rcp_f32_e32 v3, v0
	v_nop
	s_delay_alu instid0(TRANS32_DEP_1) | instskip(NEXT) | instid1(VALU_DEP_1)
	v_fma_f32 v7, -v0, v3, 1.0
	v_fmac_f32_e32 v3, v7, v3
	s_delay_alu instid0(VALU_DEP_1) | instskip(NEXT) | instid1(VALU_DEP_1)
	v_mul_f32_e32 v7, v8, v3
	v_fma_f32 v9, -v0, v7, v8
	s_delay_alu instid0(VALU_DEP_1) | instskip(NEXT) | instid1(VALU_DEP_1)
	v_fmac_f32_e32 v7, v9, v3
	v_fma_f32 v0, -v0, v7, v8
	s_delay_alu instid0(VALU_DEP_1) | instskip(NEXT) | instid1(VALU_DEP_1)
	v_div_fmas_f32 v0, v0, v3, v7
	v_div_fixup_f32 v0, v0, v1, 1.0
	s_delay_alu instid0(VALU_DEP_1)
	v_mul_f32_e32 v2, v2, v0
	v_xor_b32_e32 v3, 0x80000000, v0
                                        ; implicit-def: $vgpr0_vgpr1
.LBB85_302:
	s_and_not1_saveexec_b32 s1, s1
	s_cbranch_execz .LBB85_304
; %bb.303:
	v_div_scale_f32 v2, null, v0, v0, v1
	v_div_scale_f32 v8, vcc_lo, v1, v0, v1
	s_delay_alu instid0(VALU_DEP_2) | instskip(SKIP_1) | instid1(TRANS32_DEP_1)
	v_rcp_f32_e32 v3, v2
	v_nop
	v_fma_f32 v7, -v2, v3, 1.0
	s_delay_alu instid0(VALU_DEP_1) | instskip(NEXT) | instid1(VALU_DEP_1)
	v_fmac_f32_e32 v3, v7, v3
	v_mul_f32_e32 v7, v8, v3
	s_delay_alu instid0(VALU_DEP_1) | instskip(NEXT) | instid1(VALU_DEP_1)
	v_fma_f32 v9, -v2, v7, v8
	v_fmac_f32_e32 v7, v9, v3
	s_delay_alu instid0(VALU_DEP_1) | instskip(NEXT) | instid1(VALU_DEP_1)
	v_fma_f32 v2, -v2, v7, v8
	v_div_fmas_f32 v2, v2, v3, v7
	s_delay_alu instid0(VALU_DEP_1) | instskip(NEXT) | instid1(VALU_DEP_1)
	v_div_fixup_f32 v3, v2, v0, v1
	v_fmac_f32_e32 v0, v1, v3
	s_delay_alu instid0(VALU_DEP_1) | instskip(NEXT) | instid1(VALU_DEP_1)
	v_div_scale_f32 v1, null, v0, v0, 1.0
	v_rcp_f32_e32 v2, v1
	v_nop
	s_delay_alu instid0(TRANS32_DEP_1) | instskip(NEXT) | instid1(VALU_DEP_1)
	v_fma_f32 v7, -v1, v2, 1.0
	v_fmac_f32_e32 v2, v7, v2
	v_div_scale_f32 v7, vcc_lo, 1.0, v0, 1.0
	s_delay_alu instid0(VALU_DEP_1) | instskip(NEXT) | instid1(VALU_DEP_1)
	v_mul_f32_e32 v8, v7, v2
	v_fma_f32 v9, -v1, v8, v7
	s_delay_alu instid0(VALU_DEP_1) | instskip(NEXT) | instid1(VALU_DEP_1)
	v_fmac_f32_e32 v8, v9, v2
	v_fma_f32 v1, -v1, v8, v7
	s_delay_alu instid0(VALU_DEP_1) | instskip(NEXT) | instid1(VALU_DEP_1)
	v_div_fmas_f32 v1, v1, v2, v8
	v_div_fixup_f32 v2, v1, v0, 1.0
	s_delay_alu instid0(VALU_DEP_1)
	v_mul_f32_e64 v3, v3, -v2
.LBB85_304:
	s_or_b32 exec_lo, exec_lo, s1
	ds_store_b64 v33, v[2:3]
.LBB85_305:
	s_or_b32 exec_lo, exec_lo, s2
	s_wait_dscnt 0x0
	s_barrier_signal -1
	s_barrier_wait -1
	ds_load_b64 v[240:241], v33
	s_mov_b32 s1, exec_lo
	v_cmpx_lt_u32_e32 33, v32
	s_cbranch_execz .LBB85_307
; %bb.306:
	ds_load_2addr_b64 v[242:245], v6 offset0:34 offset1:35
	s_wait_dscnt 0x1
	v_pk_mul_f32 v[2:3], v[240:241], v[142:143] op_sel:[1,1] op_sel_hi:[0,1]
	s_delay_alu instid0(VALU_DEP_1) | instskip(SKIP_1) | instid1(VALU_DEP_1)
	v_pk_fma_f32 v[0:1], v[240:241], v[142:143], v[2:3] op_sel_hi:[1,0,1] neg_lo:[0,0,1] neg_hi:[0,0,1]
	v_pk_fma_f32 v[2:3], v[240:241], v[142:143], v[2:3] op_sel_hi:[1,0,1]
	v_dual_mov_b32 v142, v0 :: v_dual_mov_b32 v143, v3
	s_wait_dscnt 0x0
	s_delay_alu instid0(VALU_DEP_2) | instskip(NEXT) | instid1(VALU_DEP_1)
	v_pk_mul_f32 v[8:9], v[242:243], v[2:3] op_sel:[0,1]
	v_pk_fma_f32 v[10:11], v[242:243], v[0:1], v[8:9] op_sel:[0,0,1] op_sel_hi:[1,1,0] neg_lo:[0,0,1] neg_hi:[0,0,1]
	v_pk_fma_f32 v[8:9], v[242:243], v[0:1], v[8:9] op_sel:[0,0,1] op_sel_hi:[1,0,0]
	s_delay_alu instid0(VALU_DEP_1) | instskip(SKIP_1) | instid1(VALU_DEP_2)
	v_mov_b32_e32 v11, v9
	v_pk_mul_f32 v[8:9], v[244:245], v[2:3] op_sel:[0,1]
	v_pk_add_f32 v[144:145], v[144:145], v[10:11] neg_lo:[0,1] neg_hi:[0,1]
	s_delay_alu instid0(VALU_DEP_2) | instskip(SKIP_3) | instid1(VALU_DEP_1)
	v_pk_fma_f32 v[10:11], v[244:245], v[0:1], v[8:9] op_sel:[0,0,1] op_sel_hi:[1,1,0] neg_lo:[0,0,1] neg_hi:[0,0,1]
	v_pk_fma_f32 v[8:9], v[244:245], v[0:1], v[8:9] op_sel:[0,0,1] op_sel_hi:[1,0,0]
	ds_load_2addr_b64 v[242:245], v6 offset0:36 offset1:37
	v_mov_b32_e32 v11, v9
	v_pk_add_f32 v[140:141], v[140:141], v[10:11] neg_lo:[0,1] neg_hi:[0,1]
	s_wait_dscnt 0x0
	v_pk_mul_f32 v[8:9], v[242:243], v[2:3] op_sel:[0,1]
	s_delay_alu instid0(VALU_DEP_1) | instskip(SKIP_2) | instid1(VALU_DEP_2)
	v_pk_fma_f32 v[10:11], v[242:243], v[0:1], v[8:9] op_sel:[0,0,1] op_sel_hi:[1,1,0] neg_lo:[0,0,1] neg_hi:[0,0,1]
	v_pk_fma_f32 v[8:9], v[242:243], v[0:1], v[8:9] op_sel:[0,0,1] op_sel_hi:[1,0,0]
	v_dual_mov_b32 v8, v245 :: v_dual_mul_f32 v242, v245, v0
	v_dual_mov_b32 v11, v9 :: v_dual_mov_b32 v9, v244
	s_delay_alu instid0(VALU_DEP_1) | instskip(SKIP_1) | instid1(VALU_DEP_3)
	v_pk_add_f32 v[166:167], v[166:167], v[10:11] neg_lo:[0,1] neg_hi:[0,1]
	v_mul_f32_e32 v10, v245, v3
	v_pk_fma_f32 v[8:9], v[8:9], v[142:143], v[242:243] op_sel_hi:[1,1,0]
	s_delay_alu instid0(VALU_DEP_2) | instskip(SKIP_2) | instid1(VALU_DEP_1)
	v_pk_fma_f32 v[10:11], v[244:245], v[142:143], v[10:11] op_sel_hi:[1,1,0] neg_lo:[0,0,1] neg_hi:[0,0,1]
	ds_load_2addr_b64 v[242:245], v6 offset0:38 offset1:39
	v_mov_b32_e32 v11, v9
	v_pk_add_f32 v[160:161], v[160:161], v[10:11] neg_lo:[0,1] neg_hi:[0,1]
	s_wait_dscnt 0x0
	v_pk_mul_f32 v[8:9], v[242:243], v[2:3] op_sel:[0,1]
	s_delay_alu instid0(VALU_DEP_1) | instskip(SKIP_1) | instid1(VALU_DEP_1)
	v_pk_fma_f32 v[10:11], v[242:243], v[0:1], v[8:9] op_sel:[0,0,1] op_sel_hi:[1,1,0] neg_lo:[0,0,1] neg_hi:[0,0,1]
	v_pk_fma_f32 v[8:9], v[242:243], v[0:1], v[8:9] op_sel:[0,0,1] op_sel_hi:[1,0,0]
	v_mov_b32_e32 v11, v9
	v_pk_mul_f32 v[8:9], v[244:245], v[2:3] op_sel:[0,1]
	s_delay_alu instid0(VALU_DEP_2) | instskip(NEXT) | instid1(VALU_DEP_2)
	v_pk_add_f32 v[164:165], v[164:165], v[10:11] neg_lo:[0,1] neg_hi:[0,1]
	v_pk_fma_f32 v[10:11], v[244:245], v[0:1], v[8:9] op_sel:[0,0,1] op_sel_hi:[1,1,0] neg_lo:[0,0,1] neg_hi:[0,0,1]
	v_pk_fma_f32 v[8:9], v[244:245], v[0:1], v[8:9] op_sel:[0,0,1] op_sel_hi:[1,0,0]
	ds_load_2addr_b64 v[242:245], v6 offset0:40 offset1:41
	v_mov_b32_e32 v11, v9
	s_delay_alu instid0(VALU_DEP_1) | instskip(SKIP_2) | instid1(VALU_DEP_1)
	v_pk_add_f32 v[158:159], v[158:159], v[10:11] neg_lo:[0,1] neg_hi:[0,1]
	s_wait_dscnt 0x0
	v_pk_mul_f32 v[8:9], v[242:243], v[2:3] op_sel:[0,1]
	v_pk_fma_f32 v[10:11], v[242:243], v[0:1], v[8:9] op_sel:[0,0,1] op_sel_hi:[1,1,0] neg_lo:[0,0,1] neg_hi:[0,0,1]
	v_pk_fma_f32 v[8:9], v[242:243], v[0:1], v[8:9] op_sel:[0,0,1] op_sel_hi:[1,0,0]
	s_delay_alu instid0(VALU_DEP_1) | instskip(SKIP_1) | instid1(VALU_DEP_2)
	v_mov_b32_e32 v11, v9
	v_pk_mul_f32 v[8:9], v[244:245], v[2:3] op_sel:[0,1]
	v_pk_add_f32 v[162:163], v[162:163], v[10:11] neg_lo:[0,1] neg_hi:[0,1]
	s_delay_alu instid0(VALU_DEP_2) | instskip(SKIP_1) | instid1(VALU_DEP_1)
	v_pk_fma_f32 v[10:11], v[244:245], v[0:1], v[8:9] op_sel:[0,0,1] op_sel_hi:[1,1,0] neg_lo:[0,0,1] neg_hi:[0,0,1]
	v_pk_fma_f32 v[8:9], v[244:245], v[0:1], v[8:9] op_sel:[0,0,1] op_sel_hi:[1,0,0]
	v_mov_b32_e32 v11, v9
	ds_load_b64 v[8:9], v6 offset:336
	v_pk_add_f32 v[168:169], v[168:169], v[10:11] neg_lo:[0,1] neg_hi:[0,1]
	s_wait_dscnt 0x0
	v_pk_mul_f32 v[2:3], v[8:9], v[2:3] op_sel:[0,1]
	s_delay_alu instid0(VALU_DEP_1) | instskip(SKIP_1) | instid1(VALU_DEP_1)
	v_pk_fma_f32 v[10:11], v[8:9], v[0:1], v[2:3] op_sel:[0,0,1] op_sel_hi:[1,1,0] neg_lo:[0,0,1] neg_hi:[0,0,1]
	v_pk_fma_f32 v[0:1], v[8:9], v[0:1], v[2:3] op_sel:[0,0,1] op_sel_hi:[1,0,0]
	v_mov_b32_e32 v11, v1
	s_delay_alu instid0(VALU_DEP_1)
	v_pk_add_f32 v[170:171], v[170:171], v[10:11] neg_lo:[0,1] neg_hi:[0,1]
.LBB85_307:
	s_or_b32 exec_lo, exec_lo, s1
	s_delay_alu instid0(SALU_CYCLE_1)
	s_mov_b32 s2, exec_lo
	s_wait_dscnt 0x0
	s_barrier_signal -1
	s_barrier_wait -1
	v_cmpx_eq_u32_e32 34, v32
	s_cbranch_execz .LBB85_314
; %bb.308:
	ds_store_b64 v33, v[144:145]
	ds_store_2addr_b64 v6, v[140:141], v[166:167] offset0:35 offset1:36
	ds_store_2addr_b64 v6, v[160:161], v[164:165] offset0:37 offset1:38
	;; [unrolled: 1-line block ×4, first 2 shown]
	ds_load_b64 v[0:1], v33
	s_wait_dscnt 0x0
	v_cmp_neq_f32_e32 vcc_lo, 0, v0
	v_cmp_neq_f32_e64 s1, 0, v1
	s_or_b32 s1, vcc_lo, s1
	s_delay_alu instid0(SALU_CYCLE_1)
	s_and_b32 exec_lo, exec_lo, s1
	s_cbranch_execz .LBB85_314
; %bb.309:
	v_cmp_ngt_f32_e64 s1, |v0|, |v1|
                                        ; implicit-def: $vgpr2_vgpr3
	s_and_saveexec_b32 s4, s1
	s_delay_alu instid0(SALU_CYCLE_1)
	s_xor_b32 s1, exec_lo, s4
	s_cbranch_execz .LBB85_311
; %bb.310:
	v_div_scale_f32 v2, null, v1, v1, v0
	v_div_scale_f32 v8, vcc_lo, v0, v1, v0
	s_delay_alu instid0(VALU_DEP_2) | instskip(SKIP_1) | instid1(TRANS32_DEP_1)
	v_rcp_f32_e32 v3, v2
	v_nop
	v_fma_f32 v7, -v2, v3, 1.0
	s_delay_alu instid0(VALU_DEP_1) | instskip(NEXT) | instid1(VALU_DEP_1)
	v_fmac_f32_e32 v3, v7, v3
	v_mul_f32_e32 v7, v8, v3
	s_delay_alu instid0(VALU_DEP_1) | instskip(NEXT) | instid1(VALU_DEP_1)
	v_fma_f32 v9, -v2, v7, v8
	v_fmac_f32_e32 v7, v9, v3
	s_delay_alu instid0(VALU_DEP_1) | instskip(NEXT) | instid1(VALU_DEP_1)
	v_fma_f32 v2, -v2, v7, v8
	v_div_fmas_f32 v2, v2, v3, v7
	s_delay_alu instid0(VALU_DEP_1) | instskip(NEXT) | instid1(VALU_DEP_1)
	v_div_fixup_f32 v2, v2, v1, v0
	v_fmac_f32_e32 v1, v0, v2
	s_delay_alu instid0(VALU_DEP_1) | instskip(SKIP_1) | instid1(VALU_DEP_2)
	v_div_scale_f32 v0, null, v1, v1, 1.0
	v_div_scale_f32 v8, vcc_lo, 1.0, v1, 1.0
	v_rcp_f32_e32 v3, v0
	v_nop
	s_delay_alu instid0(TRANS32_DEP_1) | instskip(NEXT) | instid1(VALU_DEP_1)
	v_fma_f32 v7, -v0, v3, 1.0
	v_fmac_f32_e32 v3, v7, v3
	s_delay_alu instid0(VALU_DEP_1) | instskip(NEXT) | instid1(VALU_DEP_1)
	v_mul_f32_e32 v7, v8, v3
	v_fma_f32 v9, -v0, v7, v8
	s_delay_alu instid0(VALU_DEP_1) | instskip(NEXT) | instid1(VALU_DEP_1)
	v_fmac_f32_e32 v7, v9, v3
	v_fma_f32 v0, -v0, v7, v8
	s_delay_alu instid0(VALU_DEP_1) | instskip(NEXT) | instid1(VALU_DEP_1)
	v_div_fmas_f32 v0, v0, v3, v7
	v_div_fixup_f32 v0, v0, v1, 1.0
	s_delay_alu instid0(VALU_DEP_1)
	v_mul_f32_e32 v2, v2, v0
	v_xor_b32_e32 v3, 0x80000000, v0
                                        ; implicit-def: $vgpr0_vgpr1
.LBB85_311:
	s_and_not1_saveexec_b32 s1, s1
	s_cbranch_execz .LBB85_313
; %bb.312:
	v_div_scale_f32 v2, null, v0, v0, v1
	v_div_scale_f32 v8, vcc_lo, v1, v0, v1
	s_delay_alu instid0(VALU_DEP_2) | instskip(SKIP_1) | instid1(TRANS32_DEP_1)
	v_rcp_f32_e32 v3, v2
	v_nop
	v_fma_f32 v7, -v2, v3, 1.0
	s_delay_alu instid0(VALU_DEP_1) | instskip(NEXT) | instid1(VALU_DEP_1)
	v_fmac_f32_e32 v3, v7, v3
	v_mul_f32_e32 v7, v8, v3
	s_delay_alu instid0(VALU_DEP_1) | instskip(NEXT) | instid1(VALU_DEP_1)
	v_fma_f32 v9, -v2, v7, v8
	v_fmac_f32_e32 v7, v9, v3
	s_delay_alu instid0(VALU_DEP_1) | instskip(NEXT) | instid1(VALU_DEP_1)
	v_fma_f32 v2, -v2, v7, v8
	v_div_fmas_f32 v2, v2, v3, v7
	s_delay_alu instid0(VALU_DEP_1) | instskip(NEXT) | instid1(VALU_DEP_1)
	v_div_fixup_f32 v3, v2, v0, v1
	v_fmac_f32_e32 v0, v1, v3
	s_delay_alu instid0(VALU_DEP_1) | instskip(NEXT) | instid1(VALU_DEP_1)
	v_div_scale_f32 v1, null, v0, v0, 1.0
	v_rcp_f32_e32 v2, v1
	v_nop
	s_delay_alu instid0(TRANS32_DEP_1) | instskip(NEXT) | instid1(VALU_DEP_1)
	v_fma_f32 v7, -v1, v2, 1.0
	v_fmac_f32_e32 v2, v7, v2
	v_div_scale_f32 v7, vcc_lo, 1.0, v0, 1.0
	s_delay_alu instid0(VALU_DEP_1) | instskip(NEXT) | instid1(VALU_DEP_1)
	v_mul_f32_e32 v8, v7, v2
	v_fma_f32 v9, -v1, v8, v7
	s_delay_alu instid0(VALU_DEP_1) | instskip(NEXT) | instid1(VALU_DEP_1)
	v_fmac_f32_e32 v8, v9, v2
	v_fma_f32 v1, -v1, v8, v7
	s_delay_alu instid0(VALU_DEP_1) | instskip(NEXT) | instid1(VALU_DEP_1)
	v_div_fmas_f32 v1, v1, v2, v8
	v_div_fixup_f32 v2, v1, v0, 1.0
	s_delay_alu instid0(VALU_DEP_1)
	v_mul_f32_e64 v3, v3, -v2
.LBB85_313:
	s_or_b32 exec_lo, exec_lo, s1
	ds_store_b64 v33, v[2:3]
.LBB85_314:
	s_or_b32 exec_lo, exec_lo, s2
	s_wait_dscnt 0x0
	s_barrier_signal -1
	s_barrier_wait -1
	ds_load_b64 v[242:243], v33
	s_mov_b32 s1, exec_lo
	v_cmpx_lt_u32_e32 34, v32
	s_cbranch_execz .LBB85_316
; %bb.315:
	ds_load_2addr_b64 v[244:247], v6 offset0:35 offset1:36
	s_wait_dscnt 0x1
	v_pk_mul_f32 v[2:3], v[242:243], v[144:145] op_sel:[1,1] op_sel_hi:[0,1]
	s_delay_alu instid0(VALU_DEP_1) | instskip(SKIP_1) | instid1(VALU_DEP_1)
	v_pk_fma_f32 v[0:1], v[242:243], v[144:145], v[2:3] op_sel_hi:[1,0,1] neg_lo:[0,0,1] neg_hi:[0,0,1]
	v_pk_fma_f32 v[2:3], v[242:243], v[144:145], v[2:3] op_sel_hi:[1,0,1]
	v_dual_mov_b32 v144, v0 :: v_dual_mov_b32 v145, v3
	s_wait_dscnt 0x0
	s_delay_alu instid0(VALU_DEP_2) | instskip(NEXT) | instid1(VALU_DEP_1)
	v_pk_mul_f32 v[8:9], v[244:245], v[2:3] op_sel:[0,1]
	v_pk_fma_f32 v[10:11], v[244:245], v[0:1], v[8:9] op_sel:[0,0,1] op_sel_hi:[1,1,0] neg_lo:[0,0,1] neg_hi:[0,0,1]
	v_pk_fma_f32 v[8:9], v[244:245], v[0:1], v[8:9] op_sel:[0,0,1] op_sel_hi:[1,0,0]
	s_delay_alu instid0(VALU_DEP_1) | instskip(SKIP_1) | instid1(VALU_DEP_2)
	v_mov_b32_e32 v11, v9
	v_pk_mul_f32 v[8:9], v[246:247], v[2:3] op_sel:[0,1]
	v_pk_add_f32 v[140:141], v[140:141], v[10:11] neg_lo:[0,1] neg_hi:[0,1]
	s_delay_alu instid0(VALU_DEP_2) | instskip(SKIP_3) | instid1(VALU_DEP_1)
	v_pk_fma_f32 v[10:11], v[246:247], v[0:1], v[8:9] op_sel:[0,0,1] op_sel_hi:[1,1,0] neg_lo:[0,0,1] neg_hi:[0,0,1]
	v_pk_fma_f32 v[8:9], v[246:247], v[0:1], v[8:9] op_sel:[0,0,1] op_sel_hi:[1,0,0]
	ds_load_2addr_b64 v[244:247], v6 offset0:37 offset1:38
	v_mov_b32_e32 v11, v9
	v_pk_add_f32 v[166:167], v[166:167], v[10:11] neg_lo:[0,1] neg_hi:[0,1]
	s_wait_dscnt 0x0
	v_pk_mul_f32 v[8:9], v[244:245], v[2:3] op_sel:[0,1]
	s_delay_alu instid0(VALU_DEP_1) | instskip(SKIP_2) | instid1(VALU_DEP_2)
	v_pk_fma_f32 v[10:11], v[244:245], v[0:1], v[8:9] op_sel:[0,0,1] op_sel_hi:[1,1,0] neg_lo:[0,0,1] neg_hi:[0,0,1]
	v_pk_fma_f32 v[8:9], v[244:245], v[0:1], v[8:9] op_sel:[0,0,1] op_sel_hi:[1,0,0]
	v_dual_mov_b32 v8, v247 :: v_dual_mul_f32 v244, v247, v0
	v_dual_mov_b32 v11, v9 :: v_dual_mov_b32 v9, v246
	s_delay_alu instid0(VALU_DEP_1) | instskip(SKIP_1) | instid1(VALU_DEP_3)
	v_pk_add_f32 v[160:161], v[160:161], v[10:11] neg_lo:[0,1] neg_hi:[0,1]
	v_mul_f32_e32 v10, v247, v3
	v_pk_fma_f32 v[8:9], v[8:9], v[144:145], v[244:245] op_sel_hi:[1,1,0]
	s_delay_alu instid0(VALU_DEP_2) | instskip(SKIP_2) | instid1(VALU_DEP_1)
	v_pk_fma_f32 v[10:11], v[246:247], v[144:145], v[10:11] op_sel_hi:[1,1,0] neg_lo:[0,0,1] neg_hi:[0,0,1]
	ds_load_2addr_b64 v[244:247], v6 offset0:39 offset1:40
	v_mov_b32_e32 v11, v9
	v_pk_add_f32 v[164:165], v[164:165], v[10:11] neg_lo:[0,1] neg_hi:[0,1]
	s_wait_dscnt 0x0
	v_pk_mul_f32 v[8:9], v[244:245], v[2:3] op_sel:[0,1]
	s_delay_alu instid0(VALU_DEP_1) | instskip(SKIP_1) | instid1(VALU_DEP_1)
	v_pk_fma_f32 v[10:11], v[244:245], v[0:1], v[8:9] op_sel:[0,0,1] op_sel_hi:[1,1,0] neg_lo:[0,0,1] neg_hi:[0,0,1]
	v_pk_fma_f32 v[8:9], v[244:245], v[0:1], v[8:9] op_sel:[0,0,1] op_sel_hi:[1,0,0]
	v_mov_b32_e32 v11, v9
	v_pk_mul_f32 v[8:9], v[246:247], v[2:3] op_sel:[0,1]
	s_delay_alu instid0(VALU_DEP_2) | instskip(NEXT) | instid1(VALU_DEP_2)
	v_pk_add_f32 v[158:159], v[158:159], v[10:11] neg_lo:[0,1] neg_hi:[0,1]
	v_pk_fma_f32 v[10:11], v[246:247], v[0:1], v[8:9] op_sel:[0,0,1] op_sel_hi:[1,1,0] neg_lo:[0,0,1] neg_hi:[0,0,1]
	v_pk_fma_f32 v[8:9], v[246:247], v[0:1], v[8:9] op_sel:[0,0,1] op_sel_hi:[1,0,0]
	ds_load_2addr_b64 v[244:247], v6 offset0:41 offset1:42
	v_mov_b32_e32 v11, v9
	s_delay_alu instid0(VALU_DEP_1) | instskip(SKIP_3) | instid1(VALU_DEP_2)
	v_pk_add_f32 v[162:163], v[162:163], v[10:11] neg_lo:[0,1] neg_hi:[0,1]
	s_wait_dscnt 0x0
	v_pk_mul_f32 v[8:9], v[244:245], v[2:3] op_sel:[0,1]
	v_pk_mul_f32 v[2:3], v[246:247], v[2:3] op_sel:[0,1]
	v_pk_fma_f32 v[10:11], v[244:245], v[0:1], v[8:9] op_sel:[0,0,1] op_sel_hi:[1,1,0] neg_lo:[0,0,1] neg_hi:[0,0,1]
	v_pk_fma_f32 v[8:9], v[244:245], v[0:1], v[8:9] op_sel:[0,0,1] op_sel_hi:[1,0,0]
	s_delay_alu instid0(VALU_DEP_1) | instskip(NEXT) | instid1(VALU_DEP_4)
	v_mov_b32_e32 v11, v9
	v_pk_fma_f32 v[8:9], v[246:247], v[0:1], v[2:3] op_sel:[0,0,1] op_sel_hi:[1,1,0] neg_lo:[0,0,1] neg_hi:[0,0,1]
	v_pk_fma_f32 v[0:1], v[246:247], v[0:1], v[2:3] op_sel:[0,0,1] op_sel_hi:[1,0,0]
	s_delay_alu instid0(VALU_DEP_3) | instskip(NEXT) | instid1(VALU_DEP_2)
	v_pk_add_f32 v[168:169], v[168:169], v[10:11] neg_lo:[0,1] neg_hi:[0,1]
	v_mov_b32_e32 v9, v1
	s_delay_alu instid0(VALU_DEP_1)
	v_pk_add_f32 v[170:171], v[170:171], v[8:9] neg_lo:[0,1] neg_hi:[0,1]
.LBB85_316:
	s_or_b32 exec_lo, exec_lo, s1
	s_delay_alu instid0(SALU_CYCLE_1)
	s_mov_b32 s2, exec_lo
	s_wait_dscnt 0x0
	s_barrier_signal -1
	s_barrier_wait -1
	v_cmpx_eq_u32_e32 35, v32
	s_cbranch_execz .LBB85_323
; %bb.317:
	v_dual_mov_b32 v0, v166 :: v_dual_mov_b32 v1, v167
	v_dual_mov_b32 v2, v160 :: v_dual_mov_b32 v3, v161
	ds_store_b64 v33, v[140:141]
	ds_store_2addr_b64 v6, v[0:1], v[2:3] offset0:36 offset1:37
	v_dual_mov_b32 v0, v164 :: v_dual_mov_b32 v1, v165
	v_dual_mov_b32 v2, v158 :: v_dual_mov_b32 v3, v159
	ds_store_2addr_b64 v6, v[0:1], v[2:3] offset0:38 offset1:39
	v_dual_mov_b32 v0, v162 :: v_dual_mov_b32 v1, v163
	v_dual_mov_b32 v2, v168 :: v_dual_mov_b32 v3, v169
	ds_store_2addr_b64 v6, v[0:1], v[2:3] offset0:40 offset1:41
	ds_store_b64 v6, v[170:171] offset:336
	ds_load_b64 v[0:1], v33
	s_wait_dscnt 0x0
	v_cmp_neq_f32_e32 vcc_lo, 0, v0
	v_cmp_neq_f32_e64 s1, 0, v1
	s_or_b32 s1, vcc_lo, s1
	s_delay_alu instid0(SALU_CYCLE_1)
	s_and_b32 exec_lo, exec_lo, s1
	s_cbranch_execz .LBB85_323
; %bb.318:
	v_cmp_ngt_f32_e64 s1, |v0|, |v1|
                                        ; implicit-def: $vgpr2_vgpr3
	s_and_saveexec_b32 s4, s1
	s_delay_alu instid0(SALU_CYCLE_1)
	s_xor_b32 s1, exec_lo, s4
	s_cbranch_execz .LBB85_320
; %bb.319:
	v_div_scale_f32 v2, null, v1, v1, v0
	v_div_scale_f32 v8, vcc_lo, v0, v1, v0
	s_delay_alu instid0(VALU_DEP_2) | instskip(SKIP_1) | instid1(TRANS32_DEP_1)
	v_rcp_f32_e32 v3, v2
	v_nop
	v_fma_f32 v7, -v2, v3, 1.0
	s_delay_alu instid0(VALU_DEP_1) | instskip(NEXT) | instid1(VALU_DEP_1)
	v_fmac_f32_e32 v3, v7, v3
	v_mul_f32_e32 v7, v8, v3
	s_delay_alu instid0(VALU_DEP_1) | instskip(NEXT) | instid1(VALU_DEP_1)
	v_fma_f32 v9, -v2, v7, v8
	v_fmac_f32_e32 v7, v9, v3
	s_delay_alu instid0(VALU_DEP_1) | instskip(NEXT) | instid1(VALU_DEP_1)
	v_fma_f32 v2, -v2, v7, v8
	v_div_fmas_f32 v2, v2, v3, v7
	s_delay_alu instid0(VALU_DEP_1) | instskip(NEXT) | instid1(VALU_DEP_1)
	v_div_fixup_f32 v2, v2, v1, v0
	v_fmac_f32_e32 v1, v0, v2
	s_delay_alu instid0(VALU_DEP_1) | instskip(SKIP_1) | instid1(VALU_DEP_2)
	v_div_scale_f32 v0, null, v1, v1, 1.0
	v_div_scale_f32 v8, vcc_lo, 1.0, v1, 1.0
	v_rcp_f32_e32 v3, v0
	v_nop
	s_delay_alu instid0(TRANS32_DEP_1) | instskip(NEXT) | instid1(VALU_DEP_1)
	v_fma_f32 v7, -v0, v3, 1.0
	v_fmac_f32_e32 v3, v7, v3
	s_delay_alu instid0(VALU_DEP_1) | instskip(NEXT) | instid1(VALU_DEP_1)
	v_mul_f32_e32 v7, v8, v3
	v_fma_f32 v9, -v0, v7, v8
	s_delay_alu instid0(VALU_DEP_1) | instskip(NEXT) | instid1(VALU_DEP_1)
	v_fmac_f32_e32 v7, v9, v3
	v_fma_f32 v0, -v0, v7, v8
	s_delay_alu instid0(VALU_DEP_1) | instskip(NEXT) | instid1(VALU_DEP_1)
	v_div_fmas_f32 v0, v0, v3, v7
	v_div_fixup_f32 v0, v0, v1, 1.0
	s_delay_alu instid0(VALU_DEP_1)
	v_mul_f32_e32 v2, v2, v0
	v_xor_b32_e32 v3, 0x80000000, v0
                                        ; implicit-def: $vgpr0_vgpr1
.LBB85_320:
	s_and_not1_saveexec_b32 s1, s1
	s_cbranch_execz .LBB85_322
; %bb.321:
	v_div_scale_f32 v2, null, v0, v0, v1
	v_div_scale_f32 v8, vcc_lo, v1, v0, v1
	s_delay_alu instid0(VALU_DEP_2) | instskip(SKIP_1) | instid1(TRANS32_DEP_1)
	v_rcp_f32_e32 v3, v2
	v_nop
	v_fma_f32 v7, -v2, v3, 1.0
	s_delay_alu instid0(VALU_DEP_1) | instskip(NEXT) | instid1(VALU_DEP_1)
	v_fmac_f32_e32 v3, v7, v3
	v_mul_f32_e32 v7, v8, v3
	s_delay_alu instid0(VALU_DEP_1) | instskip(NEXT) | instid1(VALU_DEP_1)
	v_fma_f32 v9, -v2, v7, v8
	v_fmac_f32_e32 v7, v9, v3
	s_delay_alu instid0(VALU_DEP_1) | instskip(NEXT) | instid1(VALU_DEP_1)
	v_fma_f32 v2, -v2, v7, v8
	v_div_fmas_f32 v2, v2, v3, v7
	s_delay_alu instid0(VALU_DEP_1) | instskip(NEXT) | instid1(VALU_DEP_1)
	v_div_fixup_f32 v3, v2, v0, v1
	v_fmac_f32_e32 v0, v1, v3
	s_delay_alu instid0(VALU_DEP_1) | instskip(NEXT) | instid1(VALU_DEP_1)
	v_div_scale_f32 v1, null, v0, v0, 1.0
	v_rcp_f32_e32 v2, v1
	v_nop
	s_delay_alu instid0(TRANS32_DEP_1) | instskip(NEXT) | instid1(VALU_DEP_1)
	v_fma_f32 v7, -v1, v2, 1.0
	v_fmac_f32_e32 v2, v7, v2
	v_div_scale_f32 v7, vcc_lo, 1.0, v0, 1.0
	s_delay_alu instid0(VALU_DEP_1) | instskip(NEXT) | instid1(VALU_DEP_1)
	v_mul_f32_e32 v8, v7, v2
	v_fma_f32 v9, -v1, v8, v7
	s_delay_alu instid0(VALU_DEP_1) | instskip(NEXT) | instid1(VALU_DEP_1)
	v_fmac_f32_e32 v8, v9, v2
	v_fma_f32 v1, -v1, v8, v7
	s_delay_alu instid0(VALU_DEP_1) | instskip(NEXT) | instid1(VALU_DEP_1)
	v_div_fmas_f32 v1, v1, v2, v8
	v_div_fixup_f32 v2, v1, v0, 1.0
	s_delay_alu instid0(VALU_DEP_1)
	v_mul_f32_e64 v3, v3, -v2
.LBB85_322:
	s_or_b32 exec_lo, exec_lo, s1
	ds_store_b64 v33, v[2:3]
.LBB85_323:
	s_or_b32 exec_lo, exec_lo, s2
	s_wait_dscnt 0x0
	s_barrier_signal -1
	s_barrier_wait -1
	ds_load_b64 v[244:245], v33
	s_mov_b32 s1, exec_lo
	v_cmpx_lt_u32_e32 35, v32
	s_cbranch_execz .LBB85_325
; %bb.324:
	ds_load_2addr_b64 v[246:249], v6 offset0:36 offset1:37
	s_wait_dscnt 0x1
	v_pk_mul_f32 v[2:3], v[244:245], v[140:141] op_sel:[1,1] op_sel_hi:[0,1]
	s_delay_alu instid0(VALU_DEP_1) | instskip(SKIP_1) | instid1(VALU_DEP_1)
	v_pk_fma_f32 v[0:1], v[244:245], v[140:141], v[2:3] op_sel_hi:[1,0,1] neg_lo:[0,0,1] neg_hi:[0,0,1]
	v_pk_fma_f32 v[2:3], v[244:245], v[140:141], v[2:3] op_sel_hi:[1,0,1]
	v_dual_mov_b32 v140, v0 :: v_dual_mov_b32 v141, v3
	s_wait_dscnt 0x0
	s_delay_alu instid0(VALU_DEP_2) | instskip(NEXT) | instid1(VALU_DEP_1)
	v_pk_mul_f32 v[8:9], v[246:247], v[2:3] op_sel:[0,1]
	v_pk_fma_f32 v[10:11], v[246:247], v[0:1], v[8:9] op_sel:[0,0,1] op_sel_hi:[1,1,0] neg_lo:[0,0,1] neg_hi:[0,0,1]
	v_pk_fma_f32 v[8:9], v[246:247], v[0:1], v[8:9] op_sel:[0,0,1] op_sel_hi:[1,0,0]
	s_delay_alu instid0(VALU_DEP_1) | instskip(SKIP_1) | instid1(VALU_DEP_2)
	v_mov_b32_e32 v11, v9
	v_pk_mul_f32 v[8:9], v[248:249], v[2:3] op_sel:[0,1]
	v_pk_add_f32 v[166:167], v[166:167], v[10:11] neg_lo:[0,1] neg_hi:[0,1]
	s_delay_alu instid0(VALU_DEP_2) | instskip(SKIP_3) | instid1(VALU_DEP_1)
	v_pk_fma_f32 v[10:11], v[248:249], v[0:1], v[8:9] op_sel:[0,0,1] op_sel_hi:[1,1,0] neg_lo:[0,0,1] neg_hi:[0,0,1]
	v_pk_fma_f32 v[8:9], v[248:249], v[0:1], v[8:9] op_sel:[0,0,1] op_sel_hi:[1,0,0]
	ds_load_2addr_b64 v[246:249], v6 offset0:38 offset1:39
	v_mov_b32_e32 v11, v9
	v_pk_add_f32 v[160:161], v[160:161], v[10:11] neg_lo:[0,1] neg_hi:[0,1]
	s_wait_dscnt 0x0
	v_pk_mul_f32 v[8:9], v[246:247], v[2:3] op_sel:[0,1]
	s_delay_alu instid0(VALU_DEP_1) | instskip(SKIP_2) | instid1(VALU_DEP_2)
	v_pk_fma_f32 v[10:11], v[246:247], v[0:1], v[8:9] op_sel:[0,0,1] op_sel_hi:[1,1,0] neg_lo:[0,0,1] neg_hi:[0,0,1]
	v_pk_fma_f32 v[8:9], v[246:247], v[0:1], v[8:9] op_sel:[0,0,1] op_sel_hi:[1,0,0]
	v_dual_mov_b32 v8, v249 :: v_dual_mul_f32 v246, v249, v0
	v_dual_mov_b32 v11, v9 :: v_dual_mov_b32 v9, v248
	s_delay_alu instid0(VALU_DEP_1) | instskip(SKIP_1) | instid1(VALU_DEP_3)
	v_pk_add_f32 v[164:165], v[164:165], v[10:11] neg_lo:[0,1] neg_hi:[0,1]
	v_mul_f32_e32 v10, v249, v3
	v_pk_fma_f32 v[8:9], v[8:9], v[140:141], v[246:247] op_sel_hi:[1,1,0]
	s_delay_alu instid0(VALU_DEP_2) | instskip(SKIP_2) | instid1(VALU_DEP_1)
	v_pk_fma_f32 v[10:11], v[248:249], v[140:141], v[10:11] op_sel_hi:[1,1,0] neg_lo:[0,0,1] neg_hi:[0,0,1]
	ds_load_2addr_b64 v[246:249], v6 offset0:40 offset1:41
	v_mov_b32_e32 v11, v9
	v_pk_add_f32 v[158:159], v[158:159], v[10:11] neg_lo:[0,1] neg_hi:[0,1]
	s_wait_dscnt 0x0
	v_pk_mul_f32 v[8:9], v[246:247], v[2:3] op_sel:[0,1]
	s_delay_alu instid0(VALU_DEP_1) | instskip(SKIP_1) | instid1(VALU_DEP_1)
	v_pk_fma_f32 v[10:11], v[246:247], v[0:1], v[8:9] op_sel:[0,0,1] op_sel_hi:[1,1,0] neg_lo:[0,0,1] neg_hi:[0,0,1]
	v_pk_fma_f32 v[8:9], v[246:247], v[0:1], v[8:9] op_sel:[0,0,1] op_sel_hi:[1,0,0]
	v_mov_b32_e32 v11, v9
	v_pk_mul_f32 v[8:9], v[248:249], v[2:3] op_sel:[0,1]
	s_delay_alu instid0(VALU_DEP_2) | instskip(NEXT) | instid1(VALU_DEP_2)
	v_pk_add_f32 v[162:163], v[162:163], v[10:11] neg_lo:[0,1] neg_hi:[0,1]
	v_pk_fma_f32 v[10:11], v[248:249], v[0:1], v[8:9] op_sel:[0,0,1] op_sel_hi:[1,1,0] neg_lo:[0,0,1] neg_hi:[0,0,1]
	v_pk_fma_f32 v[8:9], v[248:249], v[0:1], v[8:9] op_sel:[0,0,1] op_sel_hi:[1,0,0]
	s_delay_alu instid0(VALU_DEP_1) | instskip(SKIP_4) | instid1(VALU_DEP_1)
	v_mov_b32_e32 v11, v9
	ds_load_b64 v[8:9], v6 offset:336
	v_pk_add_f32 v[168:169], v[168:169], v[10:11] neg_lo:[0,1] neg_hi:[0,1]
	s_wait_dscnt 0x0
	v_pk_mul_f32 v[2:3], v[8:9], v[2:3] op_sel:[0,1]
	v_pk_fma_f32 v[10:11], v[8:9], v[0:1], v[2:3] op_sel:[0,0,1] op_sel_hi:[1,1,0] neg_lo:[0,0,1] neg_hi:[0,0,1]
	v_pk_fma_f32 v[0:1], v[8:9], v[0:1], v[2:3] op_sel:[0,0,1] op_sel_hi:[1,0,0]
	s_delay_alu instid0(VALU_DEP_1) | instskip(NEXT) | instid1(VALU_DEP_1)
	v_mov_b32_e32 v11, v1
	v_pk_add_f32 v[170:171], v[170:171], v[10:11] neg_lo:[0,1] neg_hi:[0,1]
.LBB85_325:
	s_or_b32 exec_lo, exec_lo, s1
	s_delay_alu instid0(SALU_CYCLE_1)
	s_mov_b32 s2, exec_lo
	s_wait_dscnt 0x0
	s_barrier_signal -1
	s_barrier_wait -1
	v_cmpx_eq_u32_e32 36, v32
	s_cbranch_execz .LBB85_332
; %bb.326:
	ds_store_b64 v33, v[166:167]
	ds_store_2addr_b64 v6, v[160:161], v[164:165] offset0:37 offset1:38
	ds_store_2addr_b64 v6, v[158:159], v[162:163] offset0:39 offset1:40
	;; [unrolled: 1-line block ×3, first 2 shown]
	ds_load_b64 v[0:1], v33
	s_wait_dscnt 0x0
	v_cmp_neq_f32_e32 vcc_lo, 0, v0
	v_cmp_neq_f32_e64 s1, 0, v1
	s_or_b32 s1, vcc_lo, s1
	s_delay_alu instid0(SALU_CYCLE_1)
	s_and_b32 exec_lo, exec_lo, s1
	s_cbranch_execz .LBB85_332
; %bb.327:
	v_cmp_ngt_f32_e64 s1, |v0|, |v1|
                                        ; implicit-def: $vgpr2_vgpr3
	s_and_saveexec_b32 s4, s1
	s_delay_alu instid0(SALU_CYCLE_1)
	s_xor_b32 s1, exec_lo, s4
	s_cbranch_execz .LBB85_329
; %bb.328:
	v_div_scale_f32 v2, null, v1, v1, v0
	v_div_scale_f32 v8, vcc_lo, v0, v1, v0
	s_delay_alu instid0(VALU_DEP_2) | instskip(SKIP_1) | instid1(TRANS32_DEP_1)
	v_rcp_f32_e32 v3, v2
	v_nop
	v_fma_f32 v7, -v2, v3, 1.0
	s_delay_alu instid0(VALU_DEP_1) | instskip(NEXT) | instid1(VALU_DEP_1)
	v_fmac_f32_e32 v3, v7, v3
	v_mul_f32_e32 v7, v8, v3
	s_delay_alu instid0(VALU_DEP_1) | instskip(NEXT) | instid1(VALU_DEP_1)
	v_fma_f32 v9, -v2, v7, v8
	v_fmac_f32_e32 v7, v9, v3
	s_delay_alu instid0(VALU_DEP_1) | instskip(NEXT) | instid1(VALU_DEP_1)
	v_fma_f32 v2, -v2, v7, v8
	v_div_fmas_f32 v2, v2, v3, v7
	s_delay_alu instid0(VALU_DEP_1) | instskip(NEXT) | instid1(VALU_DEP_1)
	v_div_fixup_f32 v2, v2, v1, v0
	v_fmac_f32_e32 v1, v0, v2
	s_delay_alu instid0(VALU_DEP_1) | instskip(SKIP_1) | instid1(VALU_DEP_2)
	v_div_scale_f32 v0, null, v1, v1, 1.0
	v_div_scale_f32 v8, vcc_lo, 1.0, v1, 1.0
	v_rcp_f32_e32 v3, v0
	v_nop
	s_delay_alu instid0(TRANS32_DEP_1) | instskip(NEXT) | instid1(VALU_DEP_1)
	v_fma_f32 v7, -v0, v3, 1.0
	v_fmac_f32_e32 v3, v7, v3
	s_delay_alu instid0(VALU_DEP_1) | instskip(NEXT) | instid1(VALU_DEP_1)
	v_mul_f32_e32 v7, v8, v3
	v_fma_f32 v9, -v0, v7, v8
	s_delay_alu instid0(VALU_DEP_1) | instskip(NEXT) | instid1(VALU_DEP_1)
	v_fmac_f32_e32 v7, v9, v3
	v_fma_f32 v0, -v0, v7, v8
	s_delay_alu instid0(VALU_DEP_1) | instskip(NEXT) | instid1(VALU_DEP_1)
	v_div_fmas_f32 v0, v0, v3, v7
	v_div_fixup_f32 v0, v0, v1, 1.0
	s_delay_alu instid0(VALU_DEP_1)
	v_mul_f32_e32 v2, v2, v0
	v_xor_b32_e32 v3, 0x80000000, v0
                                        ; implicit-def: $vgpr0_vgpr1
.LBB85_329:
	s_and_not1_saveexec_b32 s1, s1
	s_cbranch_execz .LBB85_331
; %bb.330:
	v_div_scale_f32 v2, null, v0, v0, v1
	v_div_scale_f32 v8, vcc_lo, v1, v0, v1
	s_delay_alu instid0(VALU_DEP_2) | instskip(SKIP_1) | instid1(TRANS32_DEP_1)
	v_rcp_f32_e32 v3, v2
	v_nop
	v_fma_f32 v7, -v2, v3, 1.0
	s_delay_alu instid0(VALU_DEP_1) | instskip(NEXT) | instid1(VALU_DEP_1)
	v_fmac_f32_e32 v3, v7, v3
	v_mul_f32_e32 v7, v8, v3
	s_delay_alu instid0(VALU_DEP_1) | instskip(NEXT) | instid1(VALU_DEP_1)
	v_fma_f32 v9, -v2, v7, v8
	v_fmac_f32_e32 v7, v9, v3
	s_delay_alu instid0(VALU_DEP_1) | instskip(NEXT) | instid1(VALU_DEP_1)
	v_fma_f32 v2, -v2, v7, v8
	v_div_fmas_f32 v2, v2, v3, v7
	s_delay_alu instid0(VALU_DEP_1) | instskip(NEXT) | instid1(VALU_DEP_1)
	v_div_fixup_f32 v3, v2, v0, v1
	v_fmac_f32_e32 v0, v1, v3
	s_delay_alu instid0(VALU_DEP_1) | instskip(NEXT) | instid1(VALU_DEP_1)
	v_div_scale_f32 v1, null, v0, v0, 1.0
	v_rcp_f32_e32 v2, v1
	v_nop
	s_delay_alu instid0(TRANS32_DEP_1) | instskip(NEXT) | instid1(VALU_DEP_1)
	v_fma_f32 v7, -v1, v2, 1.0
	v_fmac_f32_e32 v2, v7, v2
	v_div_scale_f32 v7, vcc_lo, 1.0, v0, 1.0
	s_delay_alu instid0(VALU_DEP_1) | instskip(NEXT) | instid1(VALU_DEP_1)
	v_mul_f32_e32 v8, v7, v2
	v_fma_f32 v9, -v1, v8, v7
	s_delay_alu instid0(VALU_DEP_1) | instskip(NEXT) | instid1(VALU_DEP_1)
	v_fmac_f32_e32 v8, v9, v2
	v_fma_f32 v1, -v1, v8, v7
	s_delay_alu instid0(VALU_DEP_1) | instskip(NEXT) | instid1(VALU_DEP_1)
	v_div_fmas_f32 v1, v1, v2, v8
	v_div_fixup_f32 v2, v1, v0, 1.0
	s_delay_alu instid0(VALU_DEP_1)
	v_mul_f32_e64 v3, v3, -v2
.LBB85_331:
	s_or_b32 exec_lo, exec_lo, s1
	ds_store_b64 v33, v[2:3]
.LBB85_332:
	s_or_b32 exec_lo, exec_lo, s2
	s_wait_dscnt 0x0
	s_barrier_signal -1
	s_barrier_wait -1
	ds_load_b64 v[246:247], v33
	s_mov_b32 s1, exec_lo
	v_cmpx_lt_u32_e32 36, v32
	s_cbranch_execz .LBB85_334
; %bb.333:
	s_wait_dscnt 0x0
	v_pk_mul_f32 v[0:1], v[246:247], v[166:167] op_sel:[1,1] op_sel_hi:[0,1]
	s_delay_alu instid0(VALU_DEP_1)
	v_pk_fma_f32 v[8:9], v[246:247], v[166:167], v[0:1] op_sel_hi:[1,0,1] neg_lo:[0,0,1] neg_hi:[0,0,1]
	v_pk_fma_f32 v[10:11], v[246:247], v[166:167], v[0:1] op_sel_hi:[1,0,1]
	ds_load_2addr_b64 v[0:3], v6 offset0:37 offset1:38
	v_dual_mov_b32 v166, v8 :: v_dual_mov_b32 v167, v11
	s_wait_dscnt 0x0
	v_pk_mul_f32 v[248:249], v[0:1], v[10:11] op_sel:[0,1]
	s_delay_alu instid0(VALU_DEP_1) | instskip(SKIP_1) | instid1(VALU_DEP_1)
	v_pk_fma_f32 v[250:251], v[0:1], v[8:9], v[248:249] op_sel:[0,0,1] op_sel_hi:[1,1,0] neg_lo:[0,0,1] neg_hi:[0,0,1]
	v_pk_fma_f32 v[0:1], v[0:1], v[8:9], v[248:249] op_sel:[0,0,1] op_sel_hi:[1,0,0]
	v_mov_b32_e32 v251, v1
	v_pk_mul_f32 v[0:1], v[2:3], v[10:11] op_sel:[0,1]
	s_delay_alu instid0(VALU_DEP_1) | instskip(SKIP_1) | instid1(VALU_DEP_1)
	v_pk_fma_f32 v[248:249], v[2:3], v[8:9], v[0:1] op_sel:[0,0,1] op_sel_hi:[1,1,0] neg_lo:[0,0,1] neg_hi:[0,0,1]
	v_pk_fma_f32 v[0:1], v[2:3], v[8:9], v[0:1] op_sel:[0,0,1] op_sel_hi:[1,0,0]
	v_mov_b32_e32 v249, v1
	ds_load_2addr_b64 v[0:3], v6 offset0:39 offset1:40
	v_pk_add_f32 v[160:161], v[160:161], v[250:251] neg_lo:[0,1] neg_hi:[0,1]
	v_pk_add_f32 v[164:165], v[164:165], v[248:249] neg_lo:[0,1] neg_hi:[0,1]
	s_wait_dscnt 0x0
	v_pk_mul_f32 v[248:249], v[0:1], v[10:11] op_sel:[0,1]
	s_delay_alu instid0(VALU_DEP_1) | instskip(SKIP_2) | instid1(VALU_DEP_2)
	v_pk_fma_f32 v[250:251], v[0:1], v[8:9], v[248:249] op_sel:[0,0,1] op_sel_hi:[1,1,0] neg_lo:[0,0,1] neg_hi:[0,0,1]
	v_pk_fma_f32 v[0:1], v[0:1], v[8:9], v[248:249] op_sel:[0,0,1] op_sel_hi:[1,0,0]
	v_dual_mul_f32 v248, v3, v11 :: v_dual_mov_b32 v0, v3
	v_dual_mov_b32 v251, v1 :: v_dual_mov_b32 v1, v2
	s_delay_alu instid0(VALU_DEP_2) | instskip(SKIP_1) | instid1(VALU_DEP_3)
	v_pk_fma_f32 v[248:249], v[2:3], v[166:167], v[248:249] op_sel_hi:[1,1,0] neg_lo:[0,0,1] neg_hi:[0,0,1]
	v_mul_f32_e32 v2, v3, v8
	v_pk_add_f32 v[158:159], v[158:159], v[250:251] neg_lo:[0,1] neg_hi:[0,1]
	s_delay_alu instid0(VALU_DEP_2) | instskip(NEXT) | instid1(VALU_DEP_1)
	v_pk_fma_f32 v[0:1], v[0:1], v[166:167], v[2:3] op_sel_hi:[1,1,0]
	v_mov_b32_e32 v249, v1
	ds_load_2addr_b64 v[0:3], v6 offset0:41 offset1:42
	v_pk_add_f32 v[162:163], v[162:163], v[248:249] neg_lo:[0,1] neg_hi:[0,1]
	s_wait_dscnt 0x0
	v_pk_mul_f32 v[248:249], v[0:1], v[10:11] op_sel:[0,1]
	v_mul_f32_e32 v10, v3, v11
	s_delay_alu instid0(VALU_DEP_2) | instskip(SKIP_2) | instid1(VALU_DEP_4)
	v_pk_fma_f32 v[250:251], v[0:1], v[8:9], v[248:249] op_sel:[0,0,1] op_sel_hi:[1,1,0] neg_lo:[0,0,1] neg_hi:[0,0,1]
	v_pk_fma_f32 v[0:1], v[0:1], v[8:9], v[248:249] op_sel:[0,0,1] op_sel_hi:[1,0,0]
	v_mov_b32_e32 v0, v3
	v_pk_fma_f32 v[10:11], v[2:3], v[166:167], v[10:11] op_sel_hi:[1,1,0] neg_lo:[0,0,1] neg_hi:[0,0,1]
	s_delay_alu instid0(VALU_DEP_3) | instskip(SKIP_1) | instid1(VALU_DEP_2)
	v_dual_mov_b32 v251, v1 :: v_dual_mov_b32 v1, v2
	v_mul_f32_e32 v2, v3, v8
	v_pk_add_f32 v[168:169], v[168:169], v[250:251] neg_lo:[0,1] neg_hi:[0,1]
	s_delay_alu instid0(VALU_DEP_2) | instskip(NEXT) | instid1(VALU_DEP_1)
	v_pk_fma_f32 v[0:1], v[0:1], v[166:167], v[2:3] op_sel_hi:[1,1,0]
	v_mov_b32_e32 v11, v1
	s_delay_alu instid0(VALU_DEP_1)
	v_pk_add_f32 v[170:171], v[170:171], v[10:11] neg_lo:[0,1] neg_hi:[0,1]
.LBB85_334:
	s_or_b32 exec_lo, exec_lo, s1
	s_delay_alu instid0(SALU_CYCLE_1)
	s_mov_b32 s2, exec_lo
	s_wait_dscnt 0x0
	s_barrier_signal -1
	s_barrier_wait -1
	v_cmpx_eq_u32_e32 37, v32
	s_cbranch_execz .LBB85_341
; %bb.335:
	v_dual_mov_b32 v0, v164 :: v_dual_mov_b32 v1, v165
	v_dual_mov_b32 v2, v158 :: v_dual_mov_b32 v3, v159
	ds_store_b64 v33, v[160:161]
	ds_store_2addr_b64 v6, v[0:1], v[2:3] offset0:38 offset1:39
	v_dual_mov_b32 v0, v162 :: v_dual_mov_b32 v1, v163
	v_dual_mov_b32 v2, v168 :: v_dual_mov_b32 v3, v169
	ds_store_2addr_b64 v6, v[0:1], v[2:3] offset0:40 offset1:41
	ds_store_b64 v6, v[170:171] offset:336
	ds_load_b64 v[0:1], v33
	s_wait_dscnt 0x0
	v_cmp_neq_f32_e32 vcc_lo, 0, v0
	v_cmp_neq_f32_e64 s1, 0, v1
	s_or_b32 s1, vcc_lo, s1
	s_delay_alu instid0(SALU_CYCLE_1)
	s_and_b32 exec_lo, exec_lo, s1
	s_cbranch_execz .LBB85_341
; %bb.336:
	v_cmp_ngt_f32_e64 s1, |v0|, |v1|
                                        ; implicit-def: $vgpr2_vgpr3
	s_and_saveexec_b32 s4, s1
	s_delay_alu instid0(SALU_CYCLE_1)
	s_xor_b32 s1, exec_lo, s4
	s_cbranch_execz .LBB85_338
; %bb.337:
	v_div_scale_f32 v2, null, v1, v1, v0
	v_div_scale_f32 v8, vcc_lo, v0, v1, v0
	s_delay_alu instid0(VALU_DEP_2) | instskip(SKIP_1) | instid1(TRANS32_DEP_1)
	v_rcp_f32_e32 v3, v2
	v_nop
	v_fma_f32 v7, -v2, v3, 1.0
	s_delay_alu instid0(VALU_DEP_1) | instskip(NEXT) | instid1(VALU_DEP_1)
	v_fmac_f32_e32 v3, v7, v3
	v_mul_f32_e32 v7, v8, v3
	s_delay_alu instid0(VALU_DEP_1) | instskip(NEXT) | instid1(VALU_DEP_1)
	v_fma_f32 v9, -v2, v7, v8
	v_fmac_f32_e32 v7, v9, v3
	s_delay_alu instid0(VALU_DEP_1) | instskip(NEXT) | instid1(VALU_DEP_1)
	v_fma_f32 v2, -v2, v7, v8
	v_div_fmas_f32 v2, v2, v3, v7
	s_delay_alu instid0(VALU_DEP_1) | instskip(NEXT) | instid1(VALU_DEP_1)
	v_div_fixup_f32 v2, v2, v1, v0
	v_fmac_f32_e32 v1, v0, v2
	s_delay_alu instid0(VALU_DEP_1) | instskip(SKIP_1) | instid1(VALU_DEP_2)
	v_div_scale_f32 v0, null, v1, v1, 1.0
	v_div_scale_f32 v8, vcc_lo, 1.0, v1, 1.0
	v_rcp_f32_e32 v3, v0
	v_nop
	s_delay_alu instid0(TRANS32_DEP_1) | instskip(NEXT) | instid1(VALU_DEP_1)
	v_fma_f32 v7, -v0, v3, 1.0
	v_fmac_f32_e32 v3, v7, v3
	s_delay_alu instid0(VALU_DEP_1) | instskip(NEXT) | instid1(VALU_DEP_1)
	v_mul_f32_e32 v7, v8, v3
	v_fma_f32 v9, -v0, v7, v8
	s_delay_alu instid0(VALU_DEP_1) | instskip(NEXT) | instid1(VALU_DEP_1)
	v_fmac_f32_e32 v7, v9, v3
	v_fma_f32 v0, -v0, v7, v8
	s_delay_alu instid0(VALU_DEP_1) | instskip(NEXT) | instid1(VALU_DEP_1)
	v_div_fmas_f32 v0, v0, v3, v7
	v_div_fixup_f32 v0, v0, v1, 1.0
	s_delay_alu instid0(VALU_DEP_1)
	v_mul_f32_e32 v2, v2, v0
	v_xor_b32_e32 v3, 0x80000000, v0
                                        ; implicit-def: $vgpr0_vgpr1
.LBB85_338:
	s_and_not1_saveexec_b32 s1, s1
	s_cbranch_execz .LBB85_340
; %bb.339:
	v_div_scale_f32 v2, null, v0, v0, v1
	v_div_scale_f32 v8, vcc_lo, v1, v0, v1
	s_delay_alu instid0(VALU_DEP_2) | instskip(SKIP_1) | instid1(TRANS32_DEP_1)
	v_rcp_f32_e32 v3, v2
	v_nop
	v_fma_f32 v7, -v2, v3, 1.0
	s_delay_alu instid0(VALU_DEP_1) | instskip(NEXT) | instid1(VALU_DEP_1)
	v_fmac_f32_e32 v3, v7, v3
	v_mul_f32_e32 v7, v8, v3
	s_delay_alu instid0(VALU_DEP_1) | instskip(NEXT) | instid1(VALU_DEP_1)
	v_fma_f32 v9, -v2, v7, v8
	v_fmac_f32_e32 v7, v9, v3
	s_delay_alu instid0(VALU_DEP_1) | instskip(NEXT) | instid1(VALU_DEP_1)
	v_fma_f32 v2, -v2, v7, v8
	v_div_fmas_f32 v2, v2, v3, v7
	s_delay_alu instid0(VALU_DEP_1) | instskip(NEXT) | instid1(VALU_DEP_1)
	v_div_fixup_f32 v3, v2, v0, v1
	v_fmac_f32_e32 v0, v1, v3
	s_delay_alu instid0(VALU_DEP_1) | instskip(NEXT) | instid1(VALU_DEP_1)
	v_div_scale_f32 v1, null, v0, v0, 1.0
	v_rcp_f32_e32 v2, v1
	v_nop
	s_delay_alu instid0(TRANS32_DEP_1) | instskip(NEXT) | instid1(VALU_DEP_1)
	v_fma_f32 v7, -v1, v2, 1.0
	v_fmac_f32_e32 v2, v7, v2
	v_div_scale_f32 v7, vcc_lo, 1.0, v0, 1.0
	s_delay_alu instid0(VALU_DEP_1) | instskip(NEXT) | instid1(VALU_DEP_1)
	v_mul_f32_e32 v8, v7, v2
	v_fma_f32 v9, -v1, v8, v7
	s_delay_alu instid0(VALU_DEP_1) | instskip(NEXT) | instid1(VALU_DEP_1)
	v_fmac_f32_e32 v8, v9, v2
	v_fma_f32 v1, -v1, v8, v7
	s_delay_alu instid0(VALU_DEP_1) | instskip(NEXT) | instid1(VALU_DEP_1)
	v_div_fmas_f32 v1, v1, v2, v8
	v_div_fixup_f32 v2, v1, v0, 1.0
	s_delay_alu instid0(VALU_DEP_1)
	v_mul_f32_e64 v3, v3, -v2
.LBB85_340:
	s_or_b32 exec_lo, exec_lo, s1
	ds_store_b64 v33, v[2:3]
.LBB85_341:
	s_or_b32 exec_lo, exec_lo, s2
	s_wait_dscnt 0x0
	s_barrier_signal -1
	s_barrier_wait -1
	ds_load_b64 v[248:249], v33
	s_mov_b32 s1, exec_lo
	v_cmpx_lt_u32_e32 37, v32
	s_cbranch_execz .LBB85_343
; %bb.342:
	s_wait_dscnt 0x0
	v_pk_mul_f32 v[0:1], v[248:249], v[160:161] op_sel:[1,1] op_sel_hi:[0,1]
	s_delay_alu instid0(VALU_DEP_1)
	v_pk_fma_f32 v[8:9], v[248:249], v[160:161], v[0:1] op_sel_hi:[1,0,1] neg_lo:[0,0,1] neg_hi:[0,0,1]
	v_pk_fma_f32 v[10:11], v[248:249], v[160:161], v[0:1] op_sel_hi:[1,0,1]
	ds_load_2addr_b64 v[0:3], v6 offset0:38 offset1:39
	v_dual_mov_b32 v160, v8 :: v_dual_mov_b32 v161, v11
	s_wait_dscnt 0x0
	v_pk_mul_f32 v[250:251], v[0:1], v[10:11] op_sel:[0,1]
	s_delay_alu instid0(VALU_DEP_1) | instskip(SKIP_1) | instid1(VALU_DEP_1)
	v_pk_fma_f32 v[252:253], v[0:1], v[8:9], v[250:251] op_sel:[0,0,1] op_sel_hi:[1,1,0] neg_lo:[0,0,1] neg_hi:[0,0,1]
	v_pk_fma_f32 v[0:1], v[0:1], v[8:9], v[250:251] op_sel:[0,0,1] op_sel_hi:[1,0,0]
	v_mov_b32_e32 v253, v1
	v_pk_mul_f32 v[0:1], v[2:3], v[10:11] op_sel:[0,1]
	s_delay_alu instid0(VALU_DEP_1) | instskip(SKIP_1) | instid1(VALU_DEP_1)
	v_pk_fma_f32 v[250:251], v[2:3], v[8:9], v[0:1] op_sel:[0,0,1] op_sel_hi:[1,1,0] neg_lo:[0,0,1] neg_hi:[0,0,1]
	v_pk_fma_f32 v[0:1], v[2:3], v[8:9], v[0:1] op_sel:[0,0,1] op_sel_hi:[1,0,0]
	v_mov_b32_e32 v251, v1
	ds_load_2addr_b64 v[0:3], v6 offset0:40 offset1:41
	v_pk_add_f32 v[164:165], v[164:165], v[252:253] neg_lo:[0,1] neg_hi:[0,1]
	v_pk_add_f32 v[158:159], v[158:159], v[250:251] neg_lo:[0,1] neg_hi:[0,1]
	s_wait_dscnt 0x0
	v_pk_mul_f32 v[250:251], v[0:1], v[10:11] op_sel:[0,1]
	s_delay_alu instid0(VALU_DEP_1) | instskip(SKIP_2) | instid1(VALU_DEP_2)
	v_pk_fma_f32 v[252:253], v[0:1], v[8:9], v[250:251] op_sel:[0,0,1] op_sel_hi:[1,1,0] neg_lo:[0,0,1] neg_hi:[0,0,1]
	v_pk_fma_f32 v[0:1], v[0:1], v[8:9], v[250:251] op_sel:[0,0,1] op_sel_hi:[1,0,0]
	v_dual_mul_f32 v250, v3, v11 :: v_dual_mov_b32 v0, v3
	v_dual_mov_b32 v253, v1 :: v_dual_mov_b32 v1, v2
	s_delay_alu instid0(VALU_DEP_2) | instskip(SKIP_1) | instid1(VALU_DEP_3)
	v_pk_fma_f32 v[250:251], v[2:3], v[160:161], v[250:251] op_sel_hi:[1,1,0] neg_lo:[0,0,1] neg_hi:[0,0,1]
	v_mul_f32_e32 v2, v3, v8
	v_pk_add_f32 v[162:163], v[162:163], v[252:253] neg_lo:[0,1] neg_hi:[0,1]
	s_delay_alu instid0(VALU_DEP_2) | instskip(NEXT) | instid1(VALU_DEP_1)
	v_pk_fma_f32 v[0:1], v[0:1], v[160:161], v[2:3] op_sel_hi:[1,1,0]
	v_mov_b32_e32 v251, v1
	ds_load_b64 v[0:1], v6 offset:336
	v_pk_add_f32 v[168:169], v[168:169], v[250:251] neg_lo:[0,1] neg_hi:[0,1]
	s_wait_dscnt 0x0
	v_pk_mul_f32 v[2:3], v[0:1], v[10:11] op_sel:[0,1]
	s_delay_alu instid0(VALU_DEP_1) | instskip(SKIP_1) | instid1(VALU_DEP_1)
	v_pk_fma_f32 v[10:11], v[0:1], v[8:9], v[2:3] op_sel:[0,0,1] op_sel_hi:[1,1,0] neg_lo:[0,0,1] neg_hi:[0,0,1]
	v_pk_fma_f32 v[0:1], v[0:1], v[8:9], v[2:3] op_sel:[0,0,1] op_sel_hi:[1,0,0]
	v_mov_b32_e32 v11, v1
	s_delay_alu instid0(VALU_DEP_1)
	v_pk_add_f32 v[170:171], v[170:171], v[10:11] neg_lo:[0,1] neg_hi:[0,1]
.LBB85_343:
	s_or_b32 exec_lo, exec_lo, s1
	s_delay_alu instid0(SALU_CYCLE_1)
	s_mov_b32 s2, exec_lo
	s_wait_dscnt 0x0
	s_barrier_signal -1
	s_barrier_wait -1
	v_cmpx_eq_u32_e32 38, v32
	s_cbranch_execz .LBB85_350
; %bb.344:
	ds_store_b64 v33, v[164:165]
	ds_store_2addr_b64 v6, v[158:159], v[162:163] offset0:39 offset1:40
	ds_store_2addr_b64 v6, v[168:169], v[170:171] offset0:41 offset1:42
	ds_load_b64 v[0:1], v33
	s_wait_dscnt 0x0
	v_cmp_neq_f32_e32 vcc_lo, 0, v0
	v_cmp_neq_f32_e64 s1, 0, v1
	s_or_b32 s1, vcc_lo, s1
	s_delay_alu instid0(SALU_CYCLE_1)
	s_and_b32 exec_lo, exec_lo, s1
	s_cbranch_execz .LBB85_350
; %bb.345:
	v_cmp_ngt_f32_e64 s1, |v0|, |v1|
                                        ; implicit-def: $vgpr2_vgpr3
	s_and_saveexec_b32 s4, s1
	s_delay_alu instid0(SALU_CYCLE_1)
	s_xor_b32 s1, exec_lo, s4
	s_cbranch_execz .LBB85_347
; %bb.346:
	v_div_scale_f32 v2, null, v1, v1, v0
	v_div_scale_f32 v8, vcc_lo, v0, v1, v0
	s_delay_alu instid0(VALU_DEP_2) | instskip(SKIP_1) | instid1(TRANS32_DEP_1)
	v_rcp_f32_e32 v3, v2
	v_nop
	v_fma_f32 v7, -v2, v3, 1.0
	s_delay_alu instid0(VALU_DEP_1) | instskip(NEXT) | instid1(VALU_DEP_1)
	v_fmac_f32_e32 v3, v7, v3
	v_mul_f32_e32 v7, v8, v3
	s_delay_alu instid0(VALU_DEP_1) | instskip(NEXT) | instid1(VALU_DEP_1)
	v_fma_f32 v9, -v2, v7, v8
	v_fmac_f32_e32 v7, v9, v3
	s_delay_alu instid0(VALU_DEP_1) | instskip(NEXT) | instid1(VALU_DEP_1)
	v_fma_f32 v2, -v2, v7, v8
	v_div_fmas_f32 v2, v2, v3, v7
	s_delay_alu instid0(VALU_DEP_1) | instskip(NEXT) | instid1(VALU_DEP_1)
	v_div_fixup_f32 v2, v2, v1, v0
	v_fmac_f32_e32 v1, v0, v2
	s_delay_alu instid0(VALU_DEP_1) | instskip(SKIP_1) | instid1(VALU_DEP_2)
	v_div_scale_f32 v0, null, v1, v1, 1.0
	v_div_scale_f32 v8, vcc_lo, 1.0, v1, 1.0
	v_rcp_f32_e32 v3, v0
	v_nop
	s_delay_alu instid0(TRANS32_DEP_1) | instskip(NEXT) | instid1(VALU_DEP_1)
	v_fma_f32 v7, -v0, v3, 1.0
	v_fmac_f32_e32 v3, v7, v3
	s_delay_alu instid0(VALU_DEP_1) | instskip(NEXT) | instid1(VALU_DEP_1)
	v_mul_f32_e32 v7, v8, v3
	v_fma_f32 v9, -v0, v7, v8
	s_delay_alu instid0(VALU_DEP_1) | instskip(NEXT) | instid1(VALU_DEP_1)
	v_fmac_f32_e32 v7, v9, v3
	v_fma_f32 v0, -v0, v7, v8
	s_delay_alu instid0(VALU_DEP_1) | instskip(NEXT) | instid1(VALU_DEP_1)
	v_div_fmas_f32 v0, v0, v3, v7
	v_div_fixup_f32 v0, v0, v1, 1.0
	s_delay_alu instid0(VALU_DEP_1)
	v_mul_f32_e32 v2, v2, v0
	v_xor_b32_e32 v3, 0x80000000, v0
                                        ; implicit-def: $vgpr0_vgpr1
.LBB85_347:
	s_and_not1_saveexec_b32 s1, s1
	s_cbranch_execz .LBB85_349
; %bb.348:
	v_div_scale_f32 v2, null, v0, v0, v1
	v_div_scale_f32 v8, vcc_lo, v1, v0, v1
	s_delay_alu instid0(VALU_DEP_2) | instskip(SKIP_1) | instid1(TRANS32_DEP_1)
	v_rcp_f32_e32 v3, v2
	v_nop
	v_fma_f32 v7, -v2, v3, 1.0
	s_delay_alu instid0(VALU_DEP_1) | instskip(NEXT) | instid1(VALU_DEP_1)
	v_fmac_f32_e32 v3, v7, v3
	v_mul_f32_e32 v7, v8, v3
	s_delay_alu instid0(VALU_DEP_1) | instskip(NEXT) | instid1(VALU_DEP_1)
	v_fma_f32 v9, -v2, v7, v8
	v_fmac_f32_e32 v7, v9, v3
	s_delay_alu instid0(VALU_DEP_1) | instskip(NEXT) | instid1(VALU_DEP_1)
	v_fma_f32 v2, -v2, v7, v8
	v_div_fmas_f32 v2, v2, v3, v7
	s_delay_alu instid0(VALU_DEP_1) | instskip(NEXT) | instid1(VALU_DEP_1)
	v_div_fixup_f32 v3, v2, v0, v1
	v_fmac_f32_e32 v0, v1, v3
	s_delay_alu instid0(VALU_DEP_1) | instskip(NEXT) | instid1(VALU_DEP_1)
	v_div_scale_f32 v1, null, v0, v0, 1.0
	v_rcp_f32_e32 v2, v1
	v_nop
	s_delay_alu instid0(TRANS32_DEP_1) | instskip(NEXT) | instid1(VALU_DEP_1)
	v_fma_f32 v7, -v1, v2, 1.0
	v_fmac_f32_e32 v2, v7, v2
	v_div_scale_f32 v7, vcc_lo, 1.0, v0, 1.0
	s_delay_alu instid0(VALU_DEP_1) | instskip(NEXT) | instid1(VALU_DEP_1)
	v_mul_f32_e32 v8, v7, v2
	v_fma_f32 v9, -v1, v8, v7
	s_delay_alu instid0(VALU_DEP_1) | instskip(NEXT) | instid1(VALU_DEP_1)
	v_fmac_f32_e32 v8, v9, v2
	v_fma_f32 v1, -v1, v8, v7
	s_delay_alu instid0(VALU_DEP_1) | instskip(NEXT) | instid1(VALU_DEP_1)
	v_div_fmas_f32 v1, v1, v2, v8
	v_div_fixup_f32 v2, v1, v0, 1.0
	s_delay_alu instid0(VALU_DEP_1)
	v_mul_f32_e64 v3, v3, -v2
.LBB85_349:
	s_or_b32 exec_lo, exec_lo, s1
	ds_store_b64 v33, v[2:3]
.LBB85_350:
	s_or_b32 exec_lo, exec_lo, s2
	s_wait_dscnt 0x0
	s_barrier_signal -1
	s_barrier_wait -1
	ds_load_b64 v[252:253], v33
	s_mov_b32 s1, exec_lo
	v_cmpx_lt_u32_e32 38, v32
	s_cbranch_execz .LBB85_352
; %bb.351:
	s_wait_dscnt 0x0
	v_pk_mul_f32 v[0:1], v[252:253], v[164:165] op_sel:[1,1] op_sel_hi:[0,1]
	s_delay_alu instid0(VALU_DEP_1)
	v_pk_fma_f32 v[8:9], v[252:253], v[164:165], v[0:1] op_sel_hi:[1,0,1] neg_lo:[0,0,1] neg_hi:[0,0,1]
	v_pk_fma_f32 v[10:11], v[252:253], v[164:165], v[0:1] op_sel_hi:[1,0,1]
	ds_load_2addr_b64 v[0:3], v6 offset0:39 offset1:40
	v_dual_mov_b32 v164, v8 :: v_dual_mov_b32 v165, v11
	s_wait_dscnt 0x0
	v_pk_mul_f32 v[250:251], v[0:1], v[10:11] op_sel:[0,1]
	s_delay_alu instid0(VALU_DEP_1) | instskip(SKIP_1) | instid1(VALU_DEP_1)
	v_pk_fma_f32 v[254:255], v[0:1], v[8:9], v[250:251] op_sel:[0,0,1] op_sel_hi:[1,1,0] neg_lo:[0,0,1] neg_hi:[0,0,1]
	v_pk_fma_f32 v[0:1], v[0:1], v[8:9], v[250:251] op_sel:[0,0,1] op_sel_hi:[1,0,0]
	v_mov_b32_e32 v255, v1
	v_pk_mul_f32 v[0:1], v[2:3], v[10:11] op_sel:[0,1]
	s_delay_alu instid0(VALU_DEP_1) | instskip(SKIP_1) | instid1(VALU_DEP_1)
	v_pk_fma_f32 v[250:251], v[2:3], v[8:9], v[0:1] op_sel:[0,0,1] op_sel_hi:[1,1,0] neg_lo:[0,0,1] neg_hi:[0,0,1]
	v_pk_fma_f32 v[0:1], v[2:3], v[8:9], v[0:1] op_sel:[0,0,1] op_sel_hi:[1,0,0]
	v_mov_b32_e32 v251, v1
	ds_load_2addr_b64 v[0:3], v6 offset0:41 offset1:42
	v_pk_add_f32 v[158:159], v[158:159], v[254:255] neg_lo:[0,1] neg_hi:[0,1]
	v_pk_add_f32 v[162:163], v[162:163], v[250:251] neg_lo:[0,1] neg_hi:[0,1]
	s_wait_dscnt 0x0
	v_pk_mul_f32 v[250:251], v[0:1], v[10:11] op_sel:[0,1]
	s_delay_alu instid0(VALU_DEP_1) | instskip(SKIP_1) | instid1(VALU_DEP_1)
	v_pk_fma_f32 v[254:255], v[0:1], v[8:9], v[250:251] op_sel:[0,0,1] op_sel_hi:[1,1,0] neg_lo:[0,0,1] neg_hi:[0,0,1]
	v_pk_fma_f32 v[0:1], v[0:1], v[8:9], v[250:251] op_sel:[0,0,1] op_sel_hi:[1,0,0]
	v_dual_mov_b32 v0, v3 :: v_dual_mov_b32 v255, v1
	v_mov_b32_e32 v1, v2
	s_delay_alu instid0(VALU_DEP_2) | instskip(NEXT) | instid1(VALU_DEP_2)
	v_pk_add_f32 v[168:169], v[168:169], v[254:255] neg_lo:[0,1] neg_hi:[0,1]
	v_pk_mul_f32 v[0:1], v[0:1], v[10:11] op_sel:[0,1]
	s_delay_alu instid0(VALU_DEP_1) | instskip(SKIP_1) | instid1(VALU_DEP_1)
	v_pk_fma_f32 v[10:11], v[2:3], v[8:9], v[0:1] neg_lo:[0,0,1] neg_hi:[0,0,1]
	v_pk_fma_f32 v[0:1], v[2:3], v[8:9], v[0:1] op_sel_hi:[1,0,1]
	v_mov_b32_e32 v11, v1
	s_delay_alu instid0(VALU_DEP_1)
	v_pk_add_f32 v[170:171], v[170:171], v[10:11] neg_lo:[0,1] neg_hi:[0,1]
.LBB85_352:
	s_or_b32 exec_lo, exec_lo, s1
	s_delay_alu instid0(SALU_CYCLE_1)
	s_mov_b32 s2, exec_lo
	s_wait_dscnt 0x0
	s_barrier_signal -1
	s_barrier_wait -1
	v_cmpx_eq_u32_e32 39, v32
	s_cbranch_execz .LBB85_359
; %bb.353:
	v_dual_mov_b32 v0, v162 :: v_dual_mov_b32 v1, v163
	v_dual_mov_b32 v2, v168 :: v_dual_mov_b32 v3, v169
	ds_store_b64 v33, v[158:159]
	ds_store_2addr_b64 v6, v[0:1], v[2:3] offset0:40 offset1:41
	ds_store_b64 v6, v[170:171] offset:336
	ds_load_b64 v[0:1], v33
	s_wait_dscnt 0x0
	v_cmp_neq_f32_e32 vcc_lo, 0, v0
	v_cmp_neq_f32_e64 s1, 0, v1
	s_or_b32 s1, vcc_lo, s1
	s_delay_alu instid0(SALU_CYCLE_1)
	s_and_b32 exec_lo, exec_lo, s1
	s_cbranch_execz .LBB85_359
; %bb.354:
	v_cmp_ngt_f32_e64 s1, |v0|, |v1|
                                        ; implicit-def: $vgpr2_vgpr3
	s_and_saveexec_b32 s4, s1
	s_delay_alu instid0(SALU_CYCLE_1)
	s_xor_b32 s1, exec_lo, s4
	s_cbranch_execz .LBB85_356
; %bb.355:
	v_div_scale_f32 v2, null, v1, v1, v0
	v_div_scale_f32 v8, vcc_lo, v0, v1, v0
	s_delay_alu instid0(VALU_DEP_2) | instskip(SKIP_1) | instid1(TRANS32_DEP_1)
	v_rcp_f32_e32 v3, v2
	v_nop
	v_fma_f32 v7, -v2, v3, 1.0
	s_delay_alu instid0(VALU_DEP_1) | instskip(NEXT) | instid1(VALU_DEP_1)
	v_fmac_f32_e32 v3, v7, v3
	v_mul_f32_e32 v7, v8, v3
	s_delay_alu instid0(VALU_DEP_1) | instskip(NEXT) | instid1(VALU_DEP_1)
	v_fma_f32 v9, -v2, v7, v8
	v_fmac_f32_e32 v7, v9, v3
	s_delay_alu instid0(VALU_DEP_1) | instskip(NEXT) | instid1(VALU_DEP_1)
	v_fma_f32 v2, -v2, v7, v8
	v_div_fmas_f32 v2, v2, v3, v7
	s_delay_alu instid0(VALU_DEP_1) | instskip(NEXT) | instid1(VALU_DEP_1)
	v_div_fixup_f32 v2, v2, v1, v0
	v_fmac_f32_e32 v1, v0, v2
	s_delay_alu instid0(VALU_DEP_1) | instskip(SKIP_1) | instid1(VALU_DEP_2)
	v_div_scale_f32 v0, null, v1, v1, 1.0
	v_div_scale_f32 v8, vcc_lo, 1.0, v1, 1.0
	v_rcp_f32_e32 v3, v0
	v_nop
	s_delay_alu instid0(TRANS32_DEP_1) | instskip(NEXT) | instid1(VALU_DEP_1)
	v_fma_f32 v7, -v0, v3, 1.0
	v_fmac_f32_e32 v3, v7, v3
	s_delay_alu instid0(VALU_DEP_1) | instskip(NEXT) | instid1(VALU_DEP_1)
	v_mul_f32_e32 v7, v8, v3
	v_fma_f32 v9, -v0, v7, v8
	s_delay_alu instid0(VALU_DEP_1) | instskip(NEXT) | instid1(VALU_DEP_1)
	v_fmac_f32_e32 v7, v9, v3
	v_fma_f32 v0, -v0, v7, v8
	s_delay_alu instid0(VALU_DEP_1) | instskip(NEXT) | instid1(VALU_DEP_1)
	v_div_fmas_f32 v0, v0, v3, v7
	v_div_fixup_f32 v0, v0, v1, 1.0
	s_delay_alu instid0(VALU_DEP_1)
	v_mul_f32_e32 v2, v2, v0
	v_xor_b32_e32 v3, 0x80000000, v0
                                        ; implicit-def: $vgpr0_vgpr1
.LBB85_356:
	s_and_not1_saveexec_b32 s1, s1
	s_cbranch_execz .LBB85_358
; %bb.357:
	v_div_scale_f32 v2, null, v0, v0, v1
	v_div_scale_f32 v8, vcc_lo, v1, v0, v1
	s_delay_alu instid0(VALU_DEP_2) | instskip(SKIP_1) | instid1(TRANS32_DEP_1)
	v_rcp_f32_e32 v3, v2
	v_nop
	v_fma_f32 v7, -v2, v3, 1.0
	s_delay_alu instid0(VALU_DEP_1) | instskip(NEXT) | instid1(VALU_DEP_1)
	v_fmac_f32_e32 v3, v7, v3
	v_mul_f32_e32 v7, v8, v3
	s_delay_alu instid0(VALU_DEP_1) | instskip(NEXT) | instid1(VALU_DEP_1)
	v_fma_f32 v9, -v2, v7, v8
	v_fmac_f32_e32 v7, v9, v3
	s_delay_alu instid0(VALU_DEP_1) | instskip(NEXT) | instid1(VALU_DEP_1)
	v_fma_f32 v2, -v2, v7, v8
	v_div_fmas_f32 v2, v2, v3, v7
	s_delay_alu instid0(VALU_DEP_1) | instskip(NEXT) | instid1(VALU_DEP_1)
	v_div_fixup_f32 v3, v2, v0, v1
	v_fmac_f32_e32 v0, v1, v3
	s_delay_alu instid0(VALU_DEP_1) | instskip(NEXT) | instid1(VALU_DEP_1)
	v_div_scale_f32 v1, null, v0, v0, 1.0
	v_rcp_f32_e32 v2, v1
	v_nop
	s_delay_alu instid0(TRANS32_DEP_1) | instskip(NEXT) | instid1(VALU_DEP_1)
	v_fma_f32 v7, -v1, v2, 1.0
	v_fmac_f32_e32 v2, v7, v2
	v_div_scale_f32 v7, vcc_lo, 1.0, v0, 1.0
	s_delay_alu instid0(VALU_DEP_1) | instskip(NEXT) | instid1(VALU_DEP_1)
	v_mul_f32_e32 v8, v7, v2
	v_fma_f32 v9, -v1, v8, v7
	s_delay_alu instid0(VALU_DEP_1) | instskip(NEXT) | instid1(VALU_DEP_1)
	v_fmac_f32_e32 v8, v9, v2
	v_fma_f32 v1, -v1, v8, v7
	s_delay_alu instid0(VALU_DEP_1) | instskip(NEXT) | instid1(VALU_DEP_1)
	v_div_fmas_f32 v1, v1, v2, v8
	v_div_fixup_f32 v2, v1, v0, 1.0
	s_delay_alu instid0(VALU_DEP_1)
	v_mul_f32_e64 v3, v3, -v2
.LBB85_358:
	s_or_b32 exec_lo, exec_lo, s1
	ds_store_b64 v33, v[2:3]
.LBB85_359:
	s_or_b32 exec_lo, exec_lo, s2
	s_wait_dscnt 0x0
	s_barrier_signal -1
	s_barrier_wait -1
	ds_load_b64 v[254:255], v33
	s_mov_b32 s1, exec_lo
	v_cmpx_lt_u32_e32 39, v32
	s_cbranch_execz .LBB85_361
; %bb.360:
	s_wait_dscnt 0x0
	v_pk_mul_f32 v[0:1], v[254:255], v[158:159] op_sel:[1,1] op_sel_hi:[0,1]
	s_delay_alu instid0(VALU_DEP_1)
	v_pk_fma_f32 v[8:9], v[254:255], v[158:159], v[0:1] op_sel_hi:[1,0,1] neg_lo:[0,0,1] neg_hi:[0,0,1]
	v_pk_fma_f32 v[10:11], v[254:255], v[158:159], v[0:1] op_sel_hi:[1,0,1]
	ds_load_2addr_b64 v[0:3], v6 offset0:40 offset1:41
	v_dual_mov_b32 v158, v8 :: v_dual_mov_b32 v159, v11
	s_wait_dscnt 0x0
	v_pk_mul_f32 v[250:251], v[0:1], v[10:11] op_sel:[0,1]
	s_delay_alu instid0(VALU_DEP_1) | instskip(SKIP_1) | instid1(VALU_DEP_1)
	v_pk_fma_f32 v[12:13], v[0:1], v[8:9], v[250:251] op_sel:[0,0,1] op_sel_hi:[1,1,0] neg_lo:[0,0,1] neg_hi:[0,0,1]
	v_pk_fma_f32 v[0:1], v[0:1], v[8:9], v[250:251] op_sel:[0,0,1] op_sel_hi:[1,0,0]
	v_mov_b32_e32 v13, v1
	v_pk_mul_f32 v[0:1], v[2:3], v[10:11] op_sel:[0,1]
	s_delay_alu instid0(VALU_DEP_2) | instskip(NEXT) | instid1(VALU_DEP_2)
	v_pk_add_f32 v[162:163], v[162:163], v[12:13] neg_lo:[0,1] neg_hi:[0,1]
	v_pk_fma_f32 v[12:13], v[2:3], v[8:9], v[0:1] op_sel:[0,0,1] op_sel_hi:[1,1,0] neg_lo:[0,0,1] neg_hi:[0,0,1]
	v_pk_fma_f32 v[0:1], v[2:3], v[8:9], v[0:1] op_sel:[0,0,1] op_sel_hi:[1,0,0]
	s_delay_alu instid0(VALU_DEP_1) | instskip(SKIP_4) | instid1(VALU_DEP_1)
	v_mov_b32_e32 v13, v1
	ds_load_b64 v[0:1], v6 offset:336
	v_pk_add_f32 v[168:169], v[168:169], v[12:13] neg_lo:[0,1] neg_hi:[0,1]
	s_wait_dscnt 0x0
	v_pk_mul_f32 v[2:3], v[0:1], v[10:11] op_sel:[1,1] op_sel_hi:[0,1]
	v_pk_fma_f32 v[10:11], v[0:1], v[8:9], v[2:3] neg_lo:[0,0,1] neg_hi:[0,0,1]
	v_pk_fma_f32 v[0:1], v[0:1], v[8:9], v[2:3] op_sel_hi:[1,0,1]
	s_delay_alu instid0(VALU_DEP_1) | instskip(NEXT) | instid1(VALU_DEP_1)
	v_mov_b32_e32 v11, v1
	v_pk_add_f32 v[170:171], v[170:171], v[10:11] neg_lo:[0,1] neg_hi:[0,1]
.LBB85_361:
	s_or_b32 exec_lo, exec_lo, s1
	s_delay_alu instid0(SALU_CYCLE_1)
	s_mov_b32 s2, exec_lo
	s_wait_dscnt 0x0
	s_barrier_signal -1
	s_barrier_wait -1
	v_cmpx_eq_u32_e32 40, v32
	s_cbranch_execz .LBB85_368
; %bb.362:
	ds_store_b64 v33, v[162:163]
	ds_store_2addr_b64 v6, v[168:169], v[170:171] offset0:41 offset1:42
	ds_load_b64 v[0:1], v33
	s_wait_dscnt 0x0
	v_cmp_neq_f32_e32 vcc_lo, 0, v0
	v_cmp_neq_f32_e64 s1, 0, v1
	s_or_b32 s1, vcc_lo, s1
	s_delay_alu instid0(SALU_CYCLE_1)
	s_and_b32 exec_lo, exec_lo, s1
	s_cbranch_execz .LBB85_368
; %bb.363:
	v_cmp_ngt_f32_e64 s1, |v0|, |v1|
                                        ; implicit-def: $vgpr2_vgpr3
	s_and_saveexec_b32 s4, s1
	s_delay_alu instid0(SALU_CYCLE_1)
	s_xor_b32 s1, exec_lo, s4
	s_cbranch_execz .LBB85_365
; %bb.364:
	v_div_scale_f32 v2, null, v1, v1, v0
	v_div_scale_f32 v8, vcc_lo, v0, v1, v0
	s_delay_alu instid0(VALU_DEP_2) | instskip(SKIP_1) | instid1(TRANS32_DEP_1)
	v_rcp_f32_e32 v3, v2
	v_nop
	v_fma_f32 v7, -v2, v3, 1.0
	s_delay_alu instid0(VALU_DEP_1) | instskip(NEXT) | instid1(VALU_DEP_1)
	v_fmac_f32_e32 v3, v7, v3
	v_mul_f32_e32 v7, v8, v3
	s_delay_alu instid0(VALU_DEP_1) | instskip(NEXT) | instid1(VALU_DEP_1)
	v_fma_f32 v9, -v2, v7, v8
	v_fmac_f32_e32 v7, v9, v3
	s_delay_alu instid0(VALU_DEP_1) | instskip(NEXT) | instid1(VALU_DEP_1)
	v_fma_f32 v2, -v2, v7, v8
	v_div_fmas_f32 v2, v2, v3, v7
	s_delay_alu instid0(VALU_DEP_1) | instskip(NEXT) | instid1(VALU_DEP_1)
	v_div_fixup_f32 v2, v2, v1, v0
	v_fmac_f32_e32 v1, v0, v2
	s_delay_alu instid0(VALU_DEP_1) | instskip(SKIP_1) | instid1(VALU_DEP_2)
	v_div_scale_f32 v0, null, v1, v1, 1.0
	v_div_scale_f32 v8, vcc_lo, 1.0, v1, 1.0
	v_rcp_f32_e32 v3, v0
	v_nop
	s_delay_alu instid0(TRANS32_DEP_1) | instskip(NEXT) | instid1(VALU_DEP_1)
	v_fma_f32 v7, -v0, v3, 1.0
	v_fmac_f32_e32 v3, v7, v3
	s_delay_alu instid0(VALU_DEP_1) | instskip(NEXT) | instid1(VALU_DEP_1)
	v_mul_f32_e32 v7, v8, v3
	v_fma_f32 v9, -v0, v7, v8
	s_delay_alu instid0(VALU_DEP_1) | instskip(NEXT) | instid1(VALU_DEP_1)
	v_fmac_f32_e32 v7, v9, v3
	v_fma_f32 v0, -v0, v7, v8
	s_delay_alu instid0(VALU_DEP_1) | instskip(NEXT) | instid1(VALU_DEP_1)
	v_div_fmas_f32 v0, v0, v3, v7
	v_div_fixup_f32 v0, v0, v1, 1.0
	s_delay_alu instid0(VALU_DEP_1)
	v_mul_f32_e32 v2, v2, v0
	v_xor_b32_e32 v3, 0x80000000, v0
                                        ; implicit-def: $vgpr0_vgpr1
.LBB85_365:
	s_and_not1_saveexec_b32 s1, s1
	s_cbranch_execz .LBB85_367
; %bb.366:
	v_div_scale_f32 v2, null, v0, v0, v1
	v_div_scale_f32 v8, vcc_lo, v1, v0, v1
	s_delay_alu instid0(VALU_DEP_2) | instskip(SKIP_1) | instid1(TRANS32_DEP_1)
	v_rcp_f32_e32 v3, v2
	v_nop
	v_fma_f32 v7, -v2, v3, 1.0
	s_delay_alu instid0(VALU_DEP_1) | instskip(NEXT) | instid1(VALU_DEP_1)
	v_fmac_f32_e32 v3, v7, v3
	v_mul_f32_e32 v7, v8, v3
	s_delay_alu instid0(VALU_DEP_1) | instskip(NEXT) | instid1(VALU_DEP_1)
	v_fma_f32 v9, -v2, v7, v8
	v_fmac_f32_e32 v7, v9, v3
	s_delay_alu instid0(VALU_DEP_1) | instskip(NEXT) | instid1(VALU_DEP_1)
	v_fma_f32 v2, -v2, v7, v8
	v_div_fmas_f32 v2, v2, v3, v7
	s_delay_alu instid0(VALU_DEP_1) | instskip(NEXT) | instid1(VALU_DEP_1)
	v_div_fixup_f32 v3, v2, v0, v1
	v_fmac_f32_e32 v0, v1, v3
	s_delay_alu instid0(VALU_DEP_1) | instskip(NEXT) | instid1(VALU_DEP_1)
	v_div_scale_f32 v1, null, v0, v0, 1.0
	v_rcp_f32_e32 v2, v1
	v_nop
	s_delay_alu instid0(TRANS32_DEP_1) | instskip(NEXT) | instid1(VALU_DEP_1)
	v_fma_f32 v7, -v1, v2, 1.0
	v_fmac_f32_e32 v2, v7, v2
	v_div_scale_f32 v7, vcc_lo, 1.0, v0, 1.0
	s_delay_alu instid0(VALU_DEP_1) | instskip(NEXT) | instid1(VALU_DEP_1)
	v_mul_f32_e32 v8, v7, v2
	v_fma_f32 v9, -v1, v8, v7
	s_delay_alu instid0(VALU_DEP_1) | instskip(NEXT) | instid1(VALU_DEP_1)
	v_fmac_f32_e32 v8, v9, v2
	v_fma_f32 v1, -v1, v8, v7
	s_delay_alu instid0(VALU_DEP_1) | instskip(NEXT) | instid1(VALU_DEP_1)
	v_div_fmas_f32 v1, v1, v2, v8
	v_div_fixup_f32 v2, v1, v0, 1.0
	s_delay_alu instid0(VALU_DEP_1)
	v_mul_f32_e64 v3, v3, -v2
.LBB85_367:
	s_or_b32 exec_lo, exec_lo, s1
	ds_store_b64 v33, v[2:3]
.LBB85_368:
	s_or_b32 exec_lo, exec_lo, s2
	s_wait_dscnt 0x0
	s_barrier_signal -1
	s_barrier_wait -1
	ds_load_b64 v[0:1], v33
	s_mov_b32 s1, exec_lo
	v_cmpx_lt_u32_e32 40, v32
	s_cbranch_execz .LBB85_370
; %bb.369:
	ds_load_2addr_b64 v[8:11], v6 offset0:41 offset1:42
	s_wait_dscnt 0x1
	v_pk_mul_f32 v[2:3], v[0:1], v[162:163] op_sel:[1,1] op_sel_hi:[0,1]
	v_mov_b32_e32 v7, v32
	scratch_store_b64 off, v[0:1], off offset:56 ; 8-byte Folded Spill
	v_pk_fma_f32 v[12:13], v[0:1], v[162:163], v[2:3] op_sel_hi:[1,0,1] neg_lo:[0,0,1] neg_hi:[0,0,1]
	v_pk_fma_f32 v[2:3], v[0:1], v[162:163], v[2:3] op_sel_hi:[1,0,1]
	s_wait_xcnt 0x0
	v_mov_b64_e32 v[0:1], v[254:255]
	v_mov_b32_e32 v254, v33
	v_mov_b64_e32 v[32:33], v[252:253]
	v_mov_b64_e32 v[252:253], v[158:159]
	;; [unrolled: 1-line block ×10, first 2 shown]
	s_wait_dscnt 0x0
	v_pk_mul_f32 v[250:251], v[8:9], v[2:3] op_sel:[0,1]
	v_mov_b64_e32 v[142:143], v[146:147]
	v_mov_b64_e32 v[146:147], v[122:123]
	;; [unrolled: 1-line block ×107, first 2 shown]
	v_pk_fma_f32 v[14:15], v[8:9], v[12:13], v[250:251] op_sel:[0,0,1] op_sel_hi:[1,1,0] neg_lo:[0,0,1] neg_hi:[0,0,1]
	v_pk_fma_f32 v[8:9], v[8:9], v[12:13], v[250:251] op_sel:[0,0,1] op_sel_hi:[1,0,0]
	v_dual_mov_b32 v8, v11 :: v_dual_mov_b32 v162, v12
	s_delay_alu instid0(VALU_DEP_2) | instskip(SKIP_1) | instid1(VALU_DEP_2)
	v_dual_mov_b32 v163, v3 :: v_dual_mov_b32 v15, v9
	v_mov_b32_e32 v9, v10
	v_pk_add_f32 v[168:169], v[168:169], v[14:15] neg_lo:[0,1] neg_hi:[0,1]
	v_mov_b64_e32 v[14:15], v[18:19]
	v_mov_b64_e32 v[18:19], v[20:21]
	;; [unrolled: 1-line block ×117, first 2 shown]
	v_mov_b32_e32 v33, v254
	v_mov_b64_e32 v[254:255], v[0:1]
	scratch_load_b64 v[0:1], off, off offset:56 ; 8-byte Folded Reload
	v_mov_b32_e32 v32, v7
	v_pk_mul_f32 v[2:3], v[8:9], v[2:3] op_sel:[0,1]
	s_delay_alu instid0(VALU_DEP_1) | instskip(SKIP_1) | instid1(VALU_DEP_1)
	v_pk_fma_f32 v[8:9], v[10:11], v[12:13], v[2:3] neg_lo:[0,0,1] neg_hi:[0,0,1]
	v_pk_fma_f32 v[2:3], v[10:11], v[12:13], v[2:3] op_sel_hi:[1,0,1]
	v_mov_b32_e32 v9, v3
	s_delay_alu instid0(VALU_DEP_1)
	v_pk_add_f32 v[170:171], v[170:171], v[8:9] neg_lo:[0,1] neg_hi:[0,1]
.LBB85_370:
	s_wait_xcnt 0x0
	s_or_b32 exec_lo, exec_lo, s1
	s_delay_alu instid0(SALU_CYCLE_1)
	s_mov_b32 s2, exec_lo
	s_wait_storecnt 0x0
	s_wait_loadcnt_dscnt 0x0
	s_barrier_signal -1
	s_barrier_wait -1
	v_cmpx_eq_u32_e32 41, v32
	s_cbranch_execz .LBB85_377
; %bb.371:
	ds_store_b64 v33, v[168:169]
	ds_store_b64 v6, v[170:171] offset:336
	ds_load_b64 v[2:3], v33
	s_wait_dscnt 0x0
	v_cmp_neq_f32_e32 vcc_lo, 0, v2
	v_cmp_neq_f32_e64 s1, 0, v3
	s_or_b32 s1, vcc_lo, s1
	s_delay_alu instid0(SALU_CYCLE_1)
	s_and_b32 exec_lo, exec_lo, s1
	s_cbranch_execz .LBB85_377
; %bb.372:
	v_cmp_ngt_f32_e64 s1, |v2|, |v3|
                                        ; implicit-def: $vgpr250_vgpr251
	s_and_saveexec_b32 s4, s1
	s_delay_alu instid0(SALU_CYCLE_1)
	s_xor_b32 s1, exec_lo, s4
	s_cbranch_execz .LBB85_374
; %bb.373:
	v_div_scale_f32 v7, null, v3, v3, v2
	v_div_scale_f32 v10, vcc_lo, v2, v3, v2
	s_delay_alu instid0(VALU_DEP_2) | instskip(SKIP_1) | instid1(TRANS32_DEP_1)
	v_rcp_f32_e32 v8, v7
	v_nop
	v_fma_f32 v9, -v7, v8, 1.0
	s_delay_alu instid0(VALU_DEP_1) | instskip(NEXT) | instid1(VALU_DEP_1)
	v_fmac_f32_e32 v8, v9, v8
	v_mul_f32_e32 v9, v10, v8
	s_delay_alu instid0(VALU_DEP_1) | instskip(NEXT) | instid1(VALU_DEP_1)
	v_fma_f32 v11, -v7, v9, v10
	v_fmac_f32_e32 v9, v11, v8
	s_delay_alu instid0(VALU_DEP_1) | instskip(NEXT) | instid1(VALU_DEP_1)
	v_fma_f32 v7, -v7, v9, v10
	v_div_fmas_f32 v7, v7, v8, v9
	s_delay_alu instid0(VALU_DEP_1) | instskip(NEXT) | instid1(VALU_DEP_1)
	v_div_fixup_f32 v7, v7, v3, v2
	v_fmac_f32_e32 v3, v2, v7
	s_delay_alu instid0(VALU_DEP_1) | instskip(SKIP_1) | instid1(VALU_DEP_2)
	v_div_scale_f32 v2, null, v3, v3, 1.0
	v_div_scale_f32 v10, vcc_lo, 1.0, v3, 1.0
	v_rcp_f32_e32 v8, v2
	v_nop
	s_delay_alu instid0(TRANS32_DEP_1) | instskip(NEXT) | instid1(VALU_DEP_1)
	v_fma_f32 v9, -v2, v8, 1.0
	v_fmac_f32_e32 v8, v9, v8
	s_delay_alu instid0(VALU_DEP_1) | instskip(NEXT) | instid1(VALU_DEP_1)
	v_mul_f32_e32 v9, v10, v8
	v_fma_f32 v11, -v2, v9, v10
	s_delay_alu instid0(VALU_DEP_1) | instskip(NEXT) | instid1(VALU_DEP_1)
	v_fmac_f32_e32 v9, v11, v8
	v_fma_f32 v2, -v2, v9, v10
	s_delay_alu instid0(VALU_DEP_1) | instskip(NEXT) | instid1(VALU_DEP_1)
	v_div_fmas_f32 v2, v2, v8, v9
	v_div_fixup_f32 v2, v2, v3, 1.0
	s_delay_alu instid0(VALU_DEP_1)
	v_mul_f32_e32 v250, v7, v2
	v_xor_b32_e32 v251, 0x80000000, v2
                                        ; implicit-def: $vgpr2_vgpr3
.LBB85_374:
	s_and_not1_saveexec_b32 s1, s1
	s_cbranch_execz .LBB85_376
; %bb.375:
	v_div_scale_f32 v7, null, v2, v2, v3
	v_div_scale_f32 v10, vcc_lo, v3, v2, v3
	s_delay_alu instid0(VALU_DEP_2) | instskip(SKIP_1) | instid1(TRANS32_DEP_1)
	v_rcp_f32_e32 v8, v7
	v_nop
	v_fma_f32 v9, -v7, v8, 1.0
	s_delay_alu instid0(VALU_DEP_1) | instskip(NEXT) | instid1(VALU_DEP_1)
	v_fmac_f32_e32 v8, v9, v8
	v_mul_f32_e32 v9, v10, v8
	s_delay_alu instid0(VALU_DEP_1) | instskip(NEXT) | instid1(VALU_DEP_1)
	v_fma_f32 v11, -v7, v9, v10
	v_fmac_f32_e32 v9, v11, v8
	s_delay_alu instid0(VALU_DEP_1) | instskip(NEXT) | instid1(VALU_DEP_1)
	v_fma_f32 v7, -v7, v9, v10
	v_div_fmas_f32 v7, v7, v8, v9
	s_delay_alu instid0(VALU_DEP_1) | instskip(NEXT) | instid1(VALU_DEP_1)
	v_div_fixup_f32 v7, v7, v2, v3
	v_fmac_f32_e32 v2, v3, v7
	s_delay_alu instid0(VALU_DEP_1) | instskip(NEXT) | instid1(VALU_DEP_1)
	v_div_scale_f32 v3, null, v2, v2, 1.0
	v_rcp_f32_e32 v8, v3
	v_nop
	s_delay_alu instid0(TRANS32_DEP_1) | instskip(NEXT) | instid1(VALU_DEP_1)
	v_fma_f32 v9, -v3, v8, 1.0
	v_fmac_f32_e32 v8, v9, v8
	v_div_scale_f32 v9, vcc_lo, 1.0, v2, 1.0
	s_delay_alu instid0(VALU_DEP_1) | instskip(NEXT) | instid1(VALU_DEP_1)
	v_mul_f32_e32 v10, v9, v8
	v_fma_f32 v11, -v3, v10, v9
	s_delay_alu instid0(VALU_DEP_1) | instskip(NEXT) | instid1(VALU_DEP_1)
	v_fmac_f32_e32 v10, v11, v8
	v_fma_f32 v3, -v3, v10, v9
	s_delay_alu instid0(VALU_DEP_1) | instskip(NEXT) | instid1(VALU_DEP_1)
	v_div_fmas_f32 v3, v3, v8, v10
	v_div_fixup_f32 v250, v3, v2, 1.0
	s_delay_alu instid0(VALU_DEP_1)
	v_mul_f32_e64 v251, v7, -v250
.LBB85_376:
	s_or_b32 exec_lo, exec_lo, s1
	ds_store_b64 v33, v[250:251]
.LBB85_377:
	s_or_b32 exec_lo, exec_lo, s2
	s_wait_dscnt 0x0
	s_barrier_signal -1
	s_barrier_wait -1
	ds_load_b64 v[2:3], v33
	s_mov_b32 s1, exec_lo
	v_cmpx_lt_u32_e32 41, v32
	s_cbranch_execz .LBB85_379
; %bb.378:
	ds_load_b64 v[6:7], v6 offset:336
	s_wait_dscnt 0x1
	v_pk_mul_f32 v[8:9], v[2:3], v[168:169] op_sel:[1,1] op_sel_hi:[0,1]
	s_delay_alu instid0(VALU_DEP_1) | instskip(SKIP_2) | instid1(VALU_DEP_2)
	v_pk_fma_f32 v[10:11], v[2:3], v[168:169], v[8:9] op_sel_hi:[1,0,1]
	v_pk_fma_f32 v[168:169], v[2:3], v[168:169], v[8:9] op_sel_hi:[1,0,1] neg_lo:[0,0,1] neg_hi:[0,0,1]
	s_wait_dscnt 0x0
	v_pk_mul_f32 v[8:9], v[6:7], v[10:11] op_sel:[1,1] op_sel_hi:[0,1]
	s_delay_alu instid0(VALU_DEP_1) | instskip(SKIP_1) | instid1(VALU_DEP_2)
	v_pk_fma_f32 v[12:13], v[6:7], v[168:169], v[8:9] op_sel_hi:[1,0,1]
	v_pk_fma_f32 v[6:7], v[6:7], v[168:169], v[8:9] neg_lo:[0,0,1] neg_hi:[0,0,1]
	v_dual_mov_b32 v169, v11 :: v_dual_mov_b32 v7, v13
	s_delay_alu instid0(VALU_DEP_1)
	v_pk_add_f32 v[170:171], v[170:171], v[6:7] neg_lo:[0,1] neg_hi:[0,1]
.LBB85_379:
	s_or_b32 exec_lo, exec_lo, s1
	s_delay_alu instid0(SALU_CYCLE_1)
	s_mov_b32 s2, exec_lo
	s_wait_dscnt 0x0
	s_barrier_signal -1
	s_barrier_wait -1
	v_cmpx_eq_u32_e32 42, v32
	s_cbranch_execz .LBB85_386
; %bb.380:
	v_cmp_neq_f32_e32 vcc_lo, 0, v170
	v_cmp_neq_f32_e64 s1, 0, v171
	ds_store_b64 v33, v[170:171]
	s_or_b32 s1, vcc_lo, s1
	s_delay_alu instid0(SALU_CYCLE_1)
	s_and_b32 exec_lo, exec_lo, s1
	s_cbranch_execz .LBB85_386
; %bb.381:
	v_cmp_ngt_f32_e64 s1, |v170|, |v171|
                                        ; implicit-def: $vgpr250_vgpr251
	s_and_saveexec_b32 s4, s1
	s_delay_alu instid0(SALU_CYCLE_1)
	s_xor_b32 s1, exec_lo, s4
	s_cbranch_execz .LBB85_383
; %bb.382:
	v_div_scale_f32 v6, null, v171, v171, v170
	v_div_scale_f32 v9, vcc_lo, v170, v171, v170
	s_delay_alu instid0(VALU_DEP_2) | instskip(SKIP_1) | instid1(TRANS32_DEP_1)
	v_rcp_f32_e32 v7, v6
	v_nop
	v_fma_f32 v8, -v6, v7, 1.0
	s_delay_alu instid0(VALU_DEP_1) | instskip(NEXT) | instid1(VALU_DEP_1)
	v_fmac_f32_e32 v7, v8, v7
	v_mul_f32_e32 v8, v9, v7
	s_delay_alu instid0(VALU_DEP_1) | instskip(NEXT) | instid1(VALU_DEP_1)
	v_fma_f32 v10, -v6, v8, v9
	v_fmac_f32_e32 v8, v10, v7
	s_delay_alu instid0(VALU_DEP_1) | instskip(NEXT) | instid1(VALU_DEP_1)
	v_fma_f32 v6, -v6, v8, v9
	v_div_fmas_f32 v6, v6, v7, v8
	s_delay_alu instid0(VALU_DEP_1) | instskip(NEXT) | instid1(VALU_DEP_1)
	v_div_fixup_f32 v6, v6, v171, v170
	v_fma_f32 v7, v170, v6, v171
	s_delay_alu instid0(VALU_DEP_1) | instskip(SKIP_1) | instid1(VALU_DEP_2)
	v_div_scale_f32 v8, null, v7, v7, 1.0
	v_div_scale_f32 v11, vcc_lo, 1.0, v7, 1.0
	v_rcp_f32_e32 v9, v8
	v_nop
	s_delay_alu instid0(TRANS32_DEP_1) | instskip(NEXT) | instid1(VALU_DEP_1)
	v_fma_f32 v10, -v8, v9, 1.0
	v_fmac_f32_e32 v9, v10, v9
	s_delay_alu instid0(VALU_DEP_1) | instskip(NEXT) | instid1(VALU_DEP_1)
	v_mul_f32_e32 v10, v11, v9
	v_fma_f32 v12, -v8, v10, v11
	s_delay_alu instid0(VALU_DEP_1) | instskip(NEXT) | instid1(VALU_DEP_1)
	v_fmac_f32_e32 v10, v12, v9
	v_fma_f32 v8, -v8, v10, v11
	s_delay_alu instid0(VALU_DEP_1) | instskip(NEXT) | instid1(VALU_DEP_1)
	v_div_fmas_f32 v8, v8, v9, v10
	v_div_fixup_f32 v7, v8, v7, 1.0
	s_delay_alu instid0(VALU_DEP_1)
	v_mul_f32_e32 v250, v6, v7
	v_xor_b32_e32 v251, 0x80000000, v7
.LBB85_383:
	s_and_not1_saveexec_b32 s1, s1
	s_cbranch_execz .LBB85_385
; %bb.384:
	v_div_scale_f32 v6, null, v170, v170, v171
	v_div_scale_f32 v9, vcc_lo, v171, v170, v171
	s_delay_alu instid0(VALU_DEP_2) | instskip(SKIP_1) | instid1(TRANS32_DEP_1)
	v_rcp_f32_e32 v7, v6
	v_nop
	v_fma_f32 v8, -v6, v7, 1.0
	s_delay_alu instid0(VALU_DEP_1) | instskip(NEXT) | instid1(VALU_DEP_1)
	v_fmac_f32_e32 v7, v8, v7
	v_mul_f32_e32 v8, v9, v7
	s_delay_alu instid0(VALU_DEP_1) | instskip(NEXT) | instid1(VALU_DEP_1)
	v_fma_f32 v10, -v6, v8, v9
	v_fmac_f32_e32 v8, v10, v7
	s_delay_alu instid0(VALU_DEP_1) | instskip(NEXT) | instid1(VALU_DEP_1)
	v_fma_f32 v6, -v6, v8, v9
	v_div_fmas_f32 v6, v6, v7, v8
	s_delay_alu instid0(VALU_DEP_1) | instskip(NEXT) | instid1(VALU_DEP_1)
	v_div_fixup_f32 v6, v6, v170, v171
	v_fma_f32 v7, v171, v6, v170
	s_delay_alu instid0(VALU_DEP_1) | instskip(NEXT) | instid1(VALU_DEP_1)
	v_div_scale_f32 v8, null, v7, v7, 1.0
	v_rcp_f32_e32 v9, v8
	v_nop
	s_delay_alu instid0(TRANS32_DEP_1) | instskip(NEXT) | instid1(VALU_DEP_1)
	v_fma_f32 v10, -v8, v9, 1.0
	v_fmac_f32_e32 v9, v10, v9
	v_div_scale_f32 v10, vcc_lo, 1.0, v7, 1.0
	s_delay_alu instid0(VALU_DEP_1) | instskip(NEXT) | instid1(VALU_DEP_1)
	v_mul_f32_e32 v11, v10, v9
	v_fma_f32 v12, -v8, v11, v10
	s_delay_alu instid0(VALU_DEP_1) | instskip(NEXT) | instid1(VALU_DEP_1)
	v_fmac_f32_e32 v11, v12, v9
	v_fma_f32 v8, -v8, v11, v10
	s_delay_alu instid0(VALU_DEP_1) | instskip(NEXT) | instid1(VALU_DEP_1)
	v_div_fmas_f32 v8, v8, v9, v11
	v_div_fixup_f32 v250, v8, v7, 1.0
	s_delay_alu instid0(VALU_DEP_1)
	v_mul_f32_e64 v251, v6, -v250
.LBB85_385:
	s_or_b32 exec_lo, exec_lo, s1
	ds_store_b64 v33, v[250:251]
.LBB85_386:
	s_or_b32 exec_lo, exec_lo, s2
	s_wait_dscnt 0x0
	s_barrier_signal -1
	s_barrier_wait -1
	ds_load_b64 v[250:251], v33
	s_wait_dscnt 0x0
	s_barrier_signal -1
	s_barrier_wait -1
	s_and_saveexec_b32 s2, s0
	s_cbranch_execz .LBB85_389
; %bb.387:
	v_cmp_eq_f32_e32 vcc_lo, 0, v174
	v_cmp_eq_f32_e64 s0, 0, v175
	s_and_b32 s1, vcc_lo, s0
	v_cmp_neq_f32_e32 vcc_lo, 0, v176
	v_cmp_neq_f32_e64 s0, 0, v177
	v_cndmask_b32_e64 v6, 0, 1, s1
	s_or_b32 s0, vcc_lo, s0
	s_delay_alu instid0(SALU_CYCLE_1) | instskip(SKIP_1) | instid1(VALU_DEP_2)
	s_or_b32 vcc_lo, s0, s1
	v_cmp_eq_f32_e64 s0, 0, v179
	v_cndmask_b32_e32 v6, 2, v6, vcc_lo
	v_cmp_eq_f32_e32 vcc_lo, 0, v178
	v_cmp_eq_f32_e64 s1, 0, v251
	s_and_b32 s0, vcc_lo, s0
	v_cmp_eq_u32_e32 vcc_lo, 0, v6
	s_and_b32 s0, s0, vcc_lo
	v_cmp_eq_f32_e32 vcc_lo, 0, v180
	v_cndmask_b32_e64 v6, v6, 3, s0
	v_cmp_eq_f32_e64 s0, 0, v181
	s_and_b32 s0, vcc_lo, s0
	v_cmp_eq_u32_e32 vcc_lo, 0, v6
	s_and_b32 s0, s0, vcc_lo
	v_cmp_eq_f32_e32 vcc_lo, 0, v182
	v_cndmask_b32_e64 v6, v6, 4, s0
	;; [unrolled: 6-line block ×39, first 2 shown]
	v_cmp_eq_f32_e64 s0, 0, v3
	s_and_b32 s0, vcc_lo, s0
	v_cmp_eq_u32_e32 vcc_lo, 0, v0
	s_and_b32 s0, s0, vcc_lo
	s_delay_alu instid0(SALU_CYCLE_1) | instskip(SKIP_1) | instid1(VALU_DEP_2)
	v_cndmask_b32_e64 v0, v0, 42, s0
	v_cmp_eq_f32_e64 s0, 0, v250
	v_cmp_eq_u32_e32 vcc_lo, 0, v0
	s_and_b32 s0, s0, s1
	s_delay_alu instid0(SALU_CYCLE_1) | instskip(NEXT) | instid1(SALU_CYCLE_1)
	s_and_b32 s0, s0, vcc_lo
	v_cndmask_b32_e64 v2, v0, 43, s0
	v_lshl_add_u64 v[0:1], v[172:173], 2, s[6:7]
	s_delay_alu instid0(VALU_DEP_2) | instskip(SKIP_4) | instid1(SALU_CYCLE_1)
	v_cmp_ne_u32_e64 s0, 0, v2
	global_load_b32 v3, v[0:1], off
	s_wait_loadcnt 0x0
	v_cmp_eq_u32_e32 vcc_lo, 0, v3
	s_and_b32 s0, vcc_lo, s0
	s_and_b32 exec_lo, exec_lo, s0
	s_cbranch_execz .LBB85_389
; %bb.388:
	v_add_nc_u32_e32 v2, s3, v2
	global_store_b32 v[0:1], v2, off
.LBB85_389:
	s_wait_xcnt 0x0
	s_or_b32 exec_lo, exec_lo, s2
	s_clause 0x1
	global_store_b64 v[16:17], v[36:37], off
	global_store_b64 v[24:25], v[52:53], off
	scratch_load_b64 v[6:7], off, off offset:8 th:TH_LOAD_LU ; 8-byte Folded Reload
	v_pk_mul_f32 v[0:1], v[250:251], v[170:171] op_sel:[1,1] op_sel_hi:[0,1]
	v_cmp_lt_u32_e32 vcc_lo, 42, v32
	s_delay_alu instid0(VALU_DEP_2) | instskip(SKIP_1) | instid1(VALU_DEP_1)
	v_pk_fma_f32 v[2:3], v[250:251], v[170:171], v[0:1] op_sel_hi:[1,0,1]
	v_pk_fma_f32 v[0:1], v[250:251], v[170:171], v[0:1] neg_lo:[0,0,1] neg_hi:[0,0,1]
	v_dual_cndmask_b32 v1, v171, v3 :: v_dual_cndmask_b32 v0, v170, v0
	scratch_load_b64 v[2:3], off, off th:TH_LOAD_LU ; 8-byte Folded Reload
	s_wait_loadcnt 0x1
	global_store_b64 v[6:7], v[76:77], off
	scratch_load_b64 v[6:7], off, off offset:32 th:TH_LOAD_LU ; 8-byte Folded Reload
	s_wait_loadcnt 0x0
	global_store_b64 v[6:7], v[74:75], off
	scratch_load_b64 v[6:7], off, off offset:40 th:TH_LOAD_LU ; 8-byte Folded Reload
	s_wait_loadcnt 0x0
	s_clause 0x2
	global_store_b64 v[6:7], v[50:51], off
	global_store_b64 v[14:15], v[48:49], off
	;; [unrolled: 1-line block ×3, first 2 shown]
	scratch_load_b64 v[2:3], off, off offset:16 th:TH_LOAD_LU ; 8-byte Folded Reload
	s_wait_loadcnt 0x0
	global_store_b64 v[2:3], v[46:47], off
	scratch_load_b64 v[2:3], off, off offset:24 th:TH_LOAD_LU ; 8-byte Folded Reload
	s_wait_loadcnt 0x0
	global_store_b64 v[2:3], v[72:73], off
	scratch_load_b64 v[2:3], off, off offset:48 th:TH_LOAD_LU ; 8-byte Folded Reload
	s_wait_loadcnt 0x0
	s_clause 0x21
	global_store_b64 v[2:3], v[68:69], off
	global_store_b64 v[18:19], v[70:71], off
	;; [unrolled: 1-line block ×34, first 2 shown]
.LBB85_390:
	s_sendmsg sendmsg(MSG_DEALLOC_VGPRS)
	s_endpgm
	.section	.rodata,"a",@progbits
	.p2align	6, 0x0
	.amdhsa_kernel _ZN9rocsolver6v33100L23getf2_npvt_small_kernelILi43E19rocblas_complex_numIfEiiPS3_EEvT1_T3_lS5_lPT2_S5_S5_
		.amdhsa_group_segment_fixed_size 0
		.amdhsa_private_segment_fixed_size 68
		.amdhsa_kernarg_size 312
		.amdhsa_user_sgpr_count 2
		.amdhsa_user_sgpr_dispatch_ptr 0
		.amdhsa_user_sgpr_queue_ptr 0
		.amdhsa_user_sgpr_kernarg_segment_ptr 1
		.amdhsa_user_sgpr_dispatch_id 0
		.amdhsa_user_sgpr_kernarg_preload_length 0
		.amdhsa_user_sgpr_kernarg_preload_offset 0
		.amdhsa_user_sgpr_private_segment_size 0
		.amdhsa_wavefront_size32 1
		.amdhsa_uses_dynamic_stack 0
		.amdhsa_enable_private_segment 1
		.amdhsa_system_sgpr_workgroup_id_x 1
		.amdhsa_system_sgpr_workgroup_id_y 1
		.amdhsa_system_sgpr_workgroup_id_z 0
		.amdhsa_system_sgpr_workgroup_info 0
		.amdhsa_system_vgpr_workitem_id 1
		.amdhsa_next_free_vgpr 256
		.amdhsa_next_free_sgpr 15
		.amdhsa_named_barrier_count 0
		.amdhsa_reserve_vcc 1
		.amdhsa_float_round_mode_32 0
		.amdhsa_float_round_mode_16_64 0
		.amdhsa_float_denorm_mode_32 3
		.amdhsa_float_denorm_mode_16_64 3
		.amdhsa_fp16_overflow 0
		.amdhsa_memory_ordered 1
		.amdhsa_forward_progress 1
		.amdhsa_inst_pref_size 255
		.amdhsa_round_robin_scheduling 0
		.amdhsa_exception_fp_ieee_invalid_op 0
		.amdhsa_exception_fp_denorm_src 0
		.amdhsa_exception_fp_ieee_div_zero 0
		.amdhsa_exception_fp_ieee_overflow 0
		.amdhsa_exception_fp_ieee_underflow 0
		.amdhsa_exception_fp_ieee_inexact 0
		.amdhsa_exception_int_div_zero 0
	.end_amdhsa_kernel
	.section	.text._ZN9rocsolver6v33100L23getf2_npvt_small_kernelILi43E19rocblas_complex_numIfEiiPS3_EEvT1_T3_lS5_lPT2_S5_S5_,"axG",@progbits,_ZN9rocsolver6v33100L23getf2_npvt_small_kernelILi43E19rocblas_complex_numIfEiiPS3_EEvT1_T3_lS5_lPT2_S5_S5_,comdat
.Lfunc_end85:
	.size	_ZN9rocsolver6v33100L23getf2_npvt_small_kernelILi43E19rocblas_complex_numIfEiiPS3_EEvT1_T3_lS5_lPT2_S5_S5_, .Lfunc_end85-_ZN9rocsolver6v33100L23getf2_npvt_small_kernelILi43E19rocblas_complex_numIfEiiPS3_EEvT1_T3_lS5_lPT2_S5_S5_
                                        ; -- End function
	.set _ZN9rocsolver6v33100L23getf2_npvt_small_kernelILi43E19rocblas_complex_numIfEiiPS3_EEvT1_T3_lS5_lPT2_S5_S5_.num_vgpr, 256
	.set _ZN9rocsolver6v33100L23getf2_npvt_small_kernelILi43E19rocblas_complex_numIfEiiPS3_EEvT1_T3_lS5_lPT2_S5_S5_.num_agpr, 0
	.set _ZN9rocsolver6v33100L23getf2_npvt_small_kernelILi43E19rocblas_complex_numIfEiiPS3_EEvT1_T3_lS5_lPT2_S5_S5_.numbered_sgpr, 15
	.set _ZN9rocsolver6v33100L23getf2_npvt_small_kernelILi43E19rocblas_complex_numIfEiiPS3_EEvT1_T3_lS5_lPT2_S5_S5_.num_named_barrier, 0
	.set _ZN9rocsolver6v33100L23getf2_npvt_small_kernelILi43E19rocblas_complex_numIfEiiPS3_EEvT1_T3_lS5_lPT2_S5_S5_.private_seg_size, 68
	.set _ZN9rocsolver6v33100L23getf2_npvt_small_kernelILi43E19rocblas_complex_numIfEiiPS3_EEvT1_T3_lS5_lPT2_S5_S5_.uses_vcc, 1
	.set _ZN9rocsolver6v33100L23getf2_npvt_small_kernelILi43E19rocblas_complex_numIfEiiPS3_EEvT1_T3_lS5_lPT2_S5_S5_.uses_flat_scratch, 1
	.set _ZN9rocsolver6v33100L23getf2_npvt_small_kernelILi43E19rocblas_complex_numIfEiiPS3_EEvT1_T3_lS5_lPT2_S5_S5_.has_dyn_sized_stack, 0
	.set _ZN9rocsolver6v33100L23getf2_npvt_small_kernelILi43E19rocblas_complex_numIfEiiPS3_EEvT1_T3_lS5_lPT2_S5_S5_.has_recursion, 0
	.set _ZN9rocsolver6v33100L23getf2_npvt_small_kernelILi43E19rocblas_complex_numIfEiiPS3_EEvT1_T3_lS5_lPT2_S5_S5_.has_indirect_call, 0
	.section	.AMDGPU.csdata,"",@progbits
; Kernel info:
; codeLenInByte = 80552
; TotalNumSgprs: 17
; NumVgprs: 256
; ScratchSize: 68
; MemoryBound: 0
; FloatMode: 240
; IeeeMode: 1
; LDSByteSize: 0 bytes/workgroup (compile time only)
; SGPRBlocks: 0
; VGPRBlocks: 15
; NumSGPRsForWavesPerEU: 17
; NumVGPRsForWavesPerEU: 256
; NamedBarCnt: 0
; Occupancy: 4
; WaveLimiterHint : 0
; COMPUTE_PGM_RSRC2:SCRATCH_EN: 1
; COMPUTE_PGM_RSRC2:USER_SGPR: 2
; COMPUTE_PGM_RSRC2:TRAP_HANDLER: 0
; COMPUTE_PGM_RSRC2:TGID_X_EN: 1
; COMPUTE_PGM_RSRC2:TGID_Y_EN: 1
; COMPUTE_PGM_RSRC2:TGID_Z_EN: 0
; COMPUTE_PGM_RSRC2:TIDIG_COMP_CNT: 1
	.section	.text._ZN9rocsolver6v33100L18getf2_small_kernelILi44E19rocblas_complex_numIfEiiPS3_EEvT1_T3_lS5_lPS5_llPT2_S5_S5_S7_l,"axG",@progbits,_ZN9rocsolver6v33100L18getf2_small_kernelILi44E19rocblas_complex_numIfEiiPS3_EEvT1_T3_lS5_lPS5_llPT2_S5_S5_S7_l,comdat
	.globl	_ZN9rocsolver6v33100L18getf2_small_kernelILi44E19rocblas_complex_numIfEiiPS3_EEvT1_T3_lS5_lPS5_llPT2_S5_S5_S7_l ; -- Begin function _ZN9rocsolver6v33100L18getf2_small_kernelILi44E19rocblas_complex_numIfEiiPS3_EEvT1_T3_lS5_lPS5_llPT2_S5_S5_S7_l
	.p2align	8
	.type	_ZN9rocsolver6v33100L18getf2_small_kernelILi44E19rocblas_complex_numIfEiiPS3_EEvT1_T3_lS5_lPS5_llPT2_S5_S5_S7_l,@function
_ZN9rocsolver6v33100L18getf2_small_kernelILi44E19rocblas_complex_numIfEiiPS3_EEvT1_T3_lS5_lPS5_llPT2_S5_S5_S7_l: ; @_ZN9rocsolver6v33100L18getf2_small_kernelILi44E19rocblas_complex_numIfEiiPS3_EEvT1_T3_lS5_lPS5_llPT2_S5_S5_S7_l
; %bb.0:
	s_clause 0x1
	s_load_u16 s2, s[0:1], 0x6e
	s_load_b64 s[16:17], s[0:1], 0x48
	s_bfe_u32 s3, ttmp6, 0x40010
	s_bfe_u32 s4, ttmp6, 0x40004
	s_add_co_i32 s3, s3, 1
	s_getreg_b32 s5, hwreg(HW_REG_IB_STS2, 6, 4)
	s_mul_i32 s3, ttmp7, s3
	v_bfe_u32 v96, v0, 10, 10
	s_add_co_i32 s4, s4, s3
	s_cmp_eq_u32 s5, 0
	s_cselect_b32 s3, ttmp7, s4
	s_wait_kmcnt 0x0
	v_mad_u32 v2, s3, s2, v96
	s_mov_b32 s2, exec_lo
	s_delay_alu instid0(VALU_DEP_1)
	v_cmpx_gt_i32_e64 s16, v2
	s_cbranch_execz .LBB86_925
; %bb.1:
	s_load_b128 s[4:7], s[0:1], 0x50
	v_mov_b64_e32 v[4:5], 0
	v_ashrrev_i32_e32 v3, 31, v2
	s_wait_kmcnt 0x0
	s_cmp_eq_u64 s[4:5], 0
	s_cselect_b32 s16, -1, 0
	s_delay_alu instid0(SALU_CYCLE_1)
	s_and_b32 vcc_lo, exec_lo, s16
	s_cbranch_vccnz .LBB86_3
; %bb.2:
	v_mul_u64_e32 v[4:5], s[6:7], v[2:3]
	s_delay_alu instid0(VALU_DEP_1)
	v_lshl_add_u64 v[4:5], v[4:5], 2, s[4:5]
.LBB86_3:
	s_clause 0x2
	s_load_b32 s2, s[0:1], 0x18
	s_load_b128 s[12:15], s[0:1], 0x8
	s_load_b32 s18, s[0:1], 0x0
	v_and_b32_e32 v101, 0x3ff, v0
	s_load_b256 s[4:11], s[0:1], 0x20
	s_delay_alu instid0(VALU_DEP_1) | instskip(SKIP_4) | instid1(VALU_DEP_2)
	v_dual_mov_b32 v95, 0 :: v_dual_lshlrev_b32 v94, 3, v101
	s_wait_kmcnt 0x0
	v_add3_u32 v6, s2, s2, v101
	s_ashr_i32 s3, s2, 31
	v_mul_u64_e32 v[0:1], s[4:5], v[2:3]
	v_add_nc_u32_e32 v8, s2, v6
	s_max_i32 s4, s18, 44
	s_cmp_lt_i32 s18, 2
	s_delay_alu instid0(VALU_DEP_1) | instskip(NEXT) | instid1(VALU_DEP_1)
	v_add_nc_u32_e32 v10, s2, v8
	v_add_nc_u32_e32 v12, s2, v10
	s_delay_alu instid0(VALU_DEP_1) | instskip(NEXT) | instid1(VALU_DEP_1)
	v_add_nc_u32_e32 v14, s2, v12
	v_dual_ashrrev_i32 v9, 31, v8 :: v_dual_add_nc_u32 v16, s2, v14
	s_delay_alu instid0(VALU_DEP_1) | instskip(SKIP_1) | instid1(VALU_DEP_1)
	v_dual_ashrrev_i32 v15, 31, v14 :: v_dual_ashrrev_i32 v17, 31, v16
	v_dual_add_nc_u32 v18, s2, v16 :: v_dual_ashrrev_i32 v11, 31, v10
	v_dual_ashrrev_i32 v13, 31, v12 :: v_dual_add_nc_u32 v20, s2, v18
	v_lshl_add_u64 v[0:1], v[0:1], 3, s[12:13]
	s_delay_alu instid0(VALU_DEP_2) | instskip(NEXT) | instid1(VALU_DEP_2)
	v_add_nc_u32_e32 v22, s2, v20
	v_lshl_add_u64 v[0:1], s[14:15], 3, v[0:1]
	s_delay_alu instid0(VALU_DEP_2) | instskip(NEXT) | instid1(VALU_DEP_2)
	v_add_nc_u32_e32 v24, s2, v22
	v_lshl_add_u64 v[10:11], v[10:11], 3, v[0:1]
	v_add_nc_u64_e32 v[42:43], v[0:1], v[94:95]
	v_lshl_add_u64 v[12:13], v[12:13], 3, v[0:1]
	v_lshl_add_u64 v[46:47], v[14:15], 3, v[0:1]
	v_add_nc_u32_e32 v26, s2, v24
	v_lshl_add_u64 v[16:17], v[16:17], 3, v[0:1]
	s_clause 0x3
	global_load_b64 v[58:59], v[10:11], off
	global_load_b64 v[50:51], v[12:13], off
	;; [unrolled: 1-line block ×4, first 2 shown]
	v_lshl_add_u64 v[8:9], v[8:9], 3, v[0:1]
	v_add_nc_u32_e32 v28, s2, v26
	s_wait_xcnt 0x3
	v_lshl_add_u64 v[10:11], s[2:3], 3, v[42:43]
	v_dual_ashrrev_i32 v21, 31, v20 :: v_dual_ashrrev_i32 v23, 31, v22
	s_delay_alu instid0(VALU_DEP_3) | instskip(NEXT) | instid1(VALU_DEP_2)
	v_dual_ashrrev_i32 v27, 31, v26 :: v_dual_add_nc_u32 v30, s2, v28
	v_lshl_add_u64 v[20:21], v[20:21], 3, v[0:1]
	s_wait_xcnt 0x2
	s_delay_alu instid0(VALU_DEP_3) | instskip(NEXT) | instid1(VALU_DEP_3)
	v_lshl_add_u64 v[12:13], v[22:23], 3, v[0:1]
	v_dual_add_nc_u32 v32, s2, v30 :: v_dual_ashrrev_i32 v31, 31, v30
	s_delay_alu instid0(VALU_DEP_1) | instskip(NEXT) | instid1(VALU_DEP_2)
	v_add_nc_u32_e32 v34, s2, v32
	v_lshl_add_u64 v[22:23], v[30:31], 3, v[0:1]
	s_delay_alu instid0(VALU_DEP_2) | instskip(SKIP_1) | instid1(VALU_DEP_2)
	v_add_nc_u32_e32 v36, s2, v34
	v_ashrrev_i32_e32 v7, 31, v6
	v_dual_ashrrev_i32 v35, 31, v34 :: v_dual_add_nc_u32 v38, s2, v36
	s_delay_alu instid0(VALU_DEP_2)
	v_lshl_add_u64 v[6:7], v[6:7], 3, v[0:1]
	s_clause 0x3
	global_load_b64 v[86:87], v[6:7], off
	global_load_b64 v[84:85], v[8:9], off
	global_load_b64 v[88:89], v[42:43], off
	global_load_b64 v[90:91], v[10:11], off
	v_add_nc_u32_e32 v40, s2, v38
	v_dual_ashrrev_i32 v19, 31, v18 :: v_dual_ashrrev_i32 v33, 31, v32
	v_ashrrev_i32_e32 v39, 31, v38
	s_wait_xcnt 0x0
	v_lshl_add_u64 v[10:11], v[26:27], 3, v[0:1]
	v_add_nc_u32_e32 v44, s2, v40
	v_lshl_add_u64 v[52:53], v[18:19], 3, v[0:1]
	v_ashrrev_i32_e32 v37, 31, v36
	s_delay_alu instid0(VALU_DEP_3) | instskip(NEXT) | instid1(VALU_DEP_1)
	v_add_nc_u32_e32 v48, s2, v44
	v_add_nc_u32_e32 v54, s2, v48
	v_ashrrev_i32_e32 v25, 31, v24
	s_delay_alu instid0(VALU_DEP_2) | instskip(SKIP_1) | instid1(VALU_DEP_3)
	v_dual_ashrrev_i32 v41, 31, v40 :: v_dual_ashrrev_i32 v55, 31, v54
	v_add_nc_u32_e32 v16, s2, v54
	v_lshl_add_u64 v[6:7], v[24:25], 3, v[0:1]
	s_clause 0x3
	global_load_b64 v[64:65], v[52:53], off
	global_load_b64 v[60:61], v[20:21], off
	global_load_b64 v[62:63], v[12:13], off
	global_load_b64 v[18:19], v[6:7], off
	v_lshl_add_u64 v[24:25], v[32:33], 3, v[0:1]
	v_add_nc_u32_e32 v8, s2, v16
	v_lshl_add_u64 v[32:33], v[38:39], 3, v[0:1]
	v_ashrrev_i32_e32 v17, 31, v16
	s_wait_xcnt 0x0
	s_delay_alu instid0(VALU_DEP_3) | instskip(SKIP_3) | instid1(VALU_DEP_4)
	v_add_nc_u32_e32 v6, s2, v8
	v_ashrrev_i32_e32 v29, 31, v28
	v_ashrrev_i32_e32 v49, 31, v48
	v_lshl_add_u64 v[16:17], v[16:17], 3, v[0:1]
	v_add_nc_u32_e32 v12, s2, v6
	s_delay_alu instid0(VALU_DEP_4)
	v_lshl_add_u64 v[20:21], v[28:29], 3, v[0:1]
	s_clause 0x3
	global_load_b64 v[82:83], v[10:11], off
	global_load_b64 v[78:79], v[20:21], off
	;; [unrolled: 1-line block ×4, first 2 shown]
	v_add_nc_u32_e32 v28, s2, v12
	s_wait_xcnt 0x2
	v_lshl_add_u64 v[20:21], v[34:35], 3, v[0:1]
	s_wait_xcnt 0x1
	v_lshl_add_u64 v[22:23], v[36:37], 3, v[0:1]
	v_lshl_add_u64 v[34:35], v[40:41], 3, v[0:1]
	s_clause 0x3
	global_load_b64 v[76:77], v[20:21], off
	global_load_b64 v[72:73], v[22:23], off
	;; [unrolled: 1-line block ×4, first 2 shown]
	v_dual_add_nc_u32 v10, s2, v28 :: v_dual_ashrrev_i32 v7, 31, v6
	v_lshl_add_u64 v[38:39], v[48:49], 3, v[0:1]
	v_lshl_add_u64 v[40:41], v[54:55], 3, v[0:1]
	s_delay_alu instid0(VALU_DEP_3) | instskip(NEXT) | instid1(VALU_DEP_4)
	v_dual_add_nc_u32 v30, s2, v10 :: v_dual_ashrrev_i32 v29, 31, v28
	v_lshl_add_u64 v[6:7], v[6:7], 3, v[0:1]
	s_delay_alu instid0(VALU_DEP_2) | instskip(NEXT) | instid1(VALU_DEP_3)
	v_add_nc_u32_e32 v36, s2, v30
	v_lshl_add_u64 v[28:29], v[28:29], 3, v[0:1]
	v_ashrrev_i32_e32 v11, 31, v10
	s_wait_xcnt 0x3
	s_delay_alu instid0(VALU_DEP_3) | instskip(NEXT) | instid1(VALU_DEP_1)
	v_dual_ashrrev_i32 v31, 31, v30 :: v_dual_add_nc_u32 v20, s2, v36
	v_lshl_add_u64 v[30:31], v[30:31], 3, v[0:1]
	s_wait_xcnt 0x0
	s_delay_alu instid0(VALU_DEP_2) | instskip(SKIP_2) | instid1(VALU_DEP_3)
	v_add_nc_u32_e32 v34, s2, v20
	v_ashrrev_i32_e32 v45, 31, v44
	v_ashrrev_i32_e32 v13, 31, v12
	v_dual_ashrrev_i32 v21, 31, v20 :: v_dual_add_nc_u32 v92, s2, v34
	s_delay_alu instid0(VALU_DEP_3)
	v_lshl_add_u64 v[32:33], v[44:45], 3, v[0:1]
	s_clause 0x3
	global_load_b64 v[70:71], v[32:33], off
	global_load_b64 v[66:67], v[38:39], off
	;; [unrolled: 1-line block ×4, first 2 shown]
	s_wait_xcnt 0x0
	v_dual_add_nc_u32 v16, s2, v92 :: v_dual_ashrrev_i32 v35, 31, v34
	v_lshl_add_u64 v[38:39], v[12:13], 3, v[0:1]
	v_lshl_add_u64 v[20:21], v[20:21], 3, v[0:1]
	v_ashrrev_i32_e32 v93, 31, v92
	s_delay_alu instid0(VALU_DEP_4) | instskip(NEXT) | instid1(VALU_DEP_1)
	v_add_nc_u32_e32 v32, s2, v16
	v_add_nc_u32_e32 v98, s2, v32
	v_ashrrev_i32_e32 v9, 31, v8
	v_ashrrev_i32_e32 v37, 31, v36
	;; [unrolled: 1-line block ×3, first 2 shown]
	s_delay_alu instid0(VALU_DEP_3)
	v_lshl_add_u64 v[8:9], v[8:9], 3, v[0:1]
	s_clause 0x3
	global_load_b64 v[54:55], v[8:9], off
	global_load_b64 v[48:49], v[6:7], off
	global_load_b64 v[52:53], v[38:39], off
	global_load_b64 v[12:13], v[28:29], off
	s_wait_xcnt 0x3
	v_add_nc_u32_e32 v8, s2, v98
	s_wait_xcnt 0x2
	v_lshl_add_u64 v[6:7], v[10:11], 3, v[0:1]
	v_lshl_add_u64 v[36:37], v[36:37], 3, v[0:1]
	s_clause 0x3
	global_load_b64 v[46:47], v[6:7], off
	global_load_b64 v[42:43], v[30:31], off
	;; [unrolled: 1-line block ×4, first 2 shown]
	s_wait_xcnt 0x4
	v_dual_add_nc_u32 v28, s2, v8 :: v_dual_ashrrev_i32 v9, 31, v8
	s_wait_xcnt 0x2
	v_lshl_add_u64 v[30:31], v[34:35], 3, v[0:1]
	v_lshl_add_u64 v[34:35], v[92:93], 3, v[0:1]
	;; [unrolled: 1-line block ×3, first 2 shown]
	v_add_nc_u32_e32 v102, s2, v28
	v_lshl_add_u64 v[106:107], v[8:9], 3, v[0:1]
	v_ashrrev_i32_e32 v17, 31, v16
	s_wait_xcnt 0x0
	s_delay_alu instid0(VALU_DEP_3) | instskip(SKIP_3) | instid1(VALU_DEP_4)
	v_dual_ashrrev_i32 v29, 31, v28 :: v_dual_add_nc_u32 v20, s2, v102
	v_ashrrev_i32_e32 v99, 31, v98
	v_ashrrev_i32_e32 v103, 31, v102
	v_lshl_add_u64 v[16:17], v[16:17], 3, v[0:1]
	v_lshl_add_u64 v[108:109], v[28:29], 3, v[0:1]
	v_dual_add_nc_u32 v92, s2, v20 :: v_dual_ashrrev_i32 v21, 31, v20
	v_lshl_add_u64 v[98:99], v[98:99], 3, v[0:1]
	v_lshl_add_u64 v[102:103], v[102:103], 3, v[0:1]
	s_clause 0x3
	global_load_b64 v[40:41], v[30:31], off
	global_load_b64 v[36:37], v[34:35], off
	;; [unrolled: 1-line block ×4, first 2 shown]
	v_dual_add_nc_u32 v104, s2, v92 :: v_dual_ashrrev_i32 v93, 31, v92
	v_lshl_add_u64 v[110:111], v[20:21], 3, v[0:1]
	s_delay_alu instid0(VALU_DEP_2) | instskip(NEXT) | instid1(VALU_DEP_3)
	v_dual_add_nc_u32 v8, s2, v104 :: v_dual_ashrrev_i32 v105, 31, v104
	v_lshl_add_u64 v[112:113], v[92:93], 3, v[0:1]
	s_delay_alu instid0(VALU_DEP_2) | instskip(NEXT) | instid1(VALU_DEP_3)
	v_ashrrev_i32_e32 v9, 31, v8
	v_lshl_add_u64 v[104:105], v[104:105], 3, v[0:1]
	s_delay_alu instid0(VALU_DEP_2)
	v_lshl_add_u64 v[114:115], v[8:9], 3, v[0:1]
	s_clause 0x7
	global_load_b64 v[34:35], v[98:99], off
	global_load_b64 v[30:31], v[106:107], off
	;; [unrolled: 1-line block ×8, first 2 shown]
	s_wait_xcnt 0x7
	v_mul_lo_u32 v99, s4, v96
	s_load_b64 s[4:5], s[0:1], 0x40
	s_delay_alu instid0(VALU_DEP_1) | instskip(NEXT) | instid1(VALU_DEP_1)
	v_lshl_add_u32 v98, v99, 3, 0
	v_dual_lshlrev_b32 v99, 3, v99 :: v_dual_add_nc_u32 v94, v98, v94
	s_wait_loadcnt 0x25
	ds_store_b64 v94, v[88:89]
	s_wait_loadcnt_dscnt 0x0
	s_barrier_signal -1
	s_barrier_wait -1
	ds_load_b64 v[96:97], v98
	s_cbranch_scc1 .LBB86_6
; %bb.4:
	v_add3_u32 v94, v99, 0, 8
	v_mov_b32_e32 v95, 0
	s_wait_xcnt 0x0
	s_mov_b32 s0, 1
.LBB86_5:                               ; =>This Inner Loop Header: Depth=1
	ds_load_b64 v[102:103], v94
	s_wait_dscnt 0x1
	v_cmp_gt_f32_e32 vcc_lo, 0, v96
	v_cndmask_b32_e64 v104, v96, -v96, vcc_lo
	v_cmp_gt_f32_e32 vcc_lo, 0, v97
	v_cndmask_b32_e64 v106, v97, -v97, vcc_lo
	s_wait_dscnt 0x0
	v_cmp_gt_f32_e32 vcc_lo, 0, v102
	v_cndmask_b32_e64 v105, v102, -v102, vcc_lo
	v_cmp_gt_f32_e32 vcc_lo, 0, v103
	v_cndmask_b32_e64 v107, v103, -v103, vcc_lo
	s_delay_alu instid0(VALU_DEP_1) | instskip(NEXT) | instid1(VALU_DEP_1)
	v_pk_add_f32 v[104:105], v[104:105], v[106:107]
	v_cmp_lt_f32_e32 vcc_lo, v104, v105
	v_dual_cndmask_b32 v97, v97, v103 :: v_dual_add_nc_u32 v94, 8, v94
	v_cndmask_b32_e32 v96, v96, v102, vcc_lo
	v_cndmask_b32_e64 v95, v95, s0, vcc_lo
	s_add_co_i32 s0, s0, 1
	s_delay_alu instid0(SALU_CYCLE_1)
	s_cmp_eq_u32 s18, s0
	s_cbranch_scc0 .LBB86_5
.LBB86_6:
	s_wait_dscnt 0x0
	v_cmp_neq_f32_e32 vcc_lo, 0, v96
	s_wait_xcnt 0x0
	v_cmp_neq_f32_e64 s0, 0, v97
	v_dual_mov_b32 v100, 1 :: v_dual_mov_b32 v103, 1
	s_or_b32 s1, vcc_lo, s0
	s_delay_alu instid0(SALU_CYCLE_1)
	s_and_saveexec_b32 s0, s1
	s_cbranch_execz .LBB86_12
; %bb.7:
	v_cmp_ngt_f32_e64 s1, |v96|, |v97|
	s_and_saveexec_b32 s12, s1
	s_delay_alu instid0(SALU_CYCLE_1)
	s_xor_b32 s1, exec_lo, s12
	s_cbranch_execz .LBB86_9
; %bb.8:
	v_div_scale_f32 v94, null, v97, v97, v96
	v_div_scale_f32 v103, vcc_lo, v96, v97, v96
	s_delay_alu instid0(VALU_DEP_2) | instskip(SKIP_1) | instid1(TRANS32_DEP_1)
	v_rcp_f32_e32 v100, v94
	v_nop
	v_fma_f32 v102, -v94, v100, 1.0
	s_delay_alu instid0(VALU_DEP_1) | instskip(NEXT) | instid1(VALU_DEP_1)
	v_fmac_f32_e32 v100, v102, v100
	v_mul_f32_e32 v102, v103, v100
	s_delay_alu instid0(VALU_DEP_1) | instskip(NEXT) | instid1(VALU_DEP_1)
	v_fma_f32 v104, -v94, v102, v103
	v_fmac_f32_e32 v102, v104, v100
	s_delay_alu instid0(VALU_DEP_1) | instskip(NEXT) | instid1(VALU_DEP_1)
	v_fma_f32 v94, -v94, v102, v103
	v_div_fmas_f32 v94, v94, v100, v102
	s_delay_alu instid0(VALU_DEP_1) | instskip(NEXT) | instid1(VALU_DEP_1)
	v_div_fixup_f32 v94, v94, v97, v96
	v_fmac_f32_e32 v97, v96, v94
	s_delay_alu instid0(VALU_DEP_1) | instskip(SKIP_1) | instid1(VALU_DEP_2)
	v_div_scale_f32 v96, null, v97, v97, 1.0
	v_div_scale_f32 v103, vcc_lo, 1.0, v97, 1.0
	v_rcp_f32_e32 v100, v96
	v_nop
	s_delay_alu instid0(TRANS32_DEP_1) | instskip(NEXT) | instid1(VALU_DEP_1)
	v_fma_f32 v102, -v96, v100, 1.0
	v_fmac_f32_e32 v100, v102, v100
	s_delay_alu instid0(VALU_DEP_1) | instskip(NEXT) | instid1(VALU_DEP_1)
	v_mul_f32_e32 v102, v103, v100
	v_fma_f32 v104, -v96, v102, v103
	s_delay_alu instid0(VALU_DEP_1) | instskip(NEXT) | instid1(VALU_DEP_1)
	v_fmac_f32_e32 v102, v104, v100
	v_fma_f32 v96, -v96, v102, v103
	s_delay_alu instid0(VALU_DEP_1) | instskip(NEXT) | instid1(VALU_DEP_1)
	v_div_fmas_f32 v96, v96, v100, v102
	v_div_fixup_f32 v97, v96, v97, 1.0
	s_delay_alu instid0(VALU_DEP_1)
	v_mul_f32_e32 v96, v94, v97
	v_xor_b32_e32 v97, 0x80000000, v97
.LBB86_9:
	s_and_not1_saveexec_b32 s1, s1
	s_cbranch_execz .LBB86_11
; %bb.10:
	s_delay_alu instid0(VALU_DEP_1) | instskip(SKIP_1) | instid1(VALU_DEP_2)
	v_div_scale_f32 v94, null, v96, v96, v97
	v_div_scale_f32 v103, vcc_lo, v97, v96, v97
	v_rcp_f32_e32 v100, v94
	v_nop
	s_delay_alu instid0(TRANS32_DEP_1) | instskip(NEXT) | instid1(VALU_DEP_1)
	v_fma_f32 v102, -v94, v100, 1.0
	v_fmac_f32_e32 v100, v102, v100
	s_delay_alu instid0(VALU_DEP_1) | instskip(NEXT) | instid1(VALU_DEP_1)
	v_mul_f32_e32 v102, v103, v100
	v_fma_f32 v104, -v94, v102, v103
	s_delay_alu instid0(VALU_DEP_1) | instskip(NEXT) | instid1(VALU_DEP_1)
	v_fmac_f32_e32 v102, v104, v100
	v_fma_f32 v94, -v94, v102, v103
	s_delay_alu instid0(VALU_DEP_1) | instskip(NEXT) | instid1(VALU_DEP_1)
	v_div_fmas_f32 v94, v94, v100, v102
	v_div_fixup_f32 v94, v94, v96, v97
	s_delay_alu instid0(VALU_DEP_1) | instskip(NEXT) | instid1(VALU_DEP_1)
	v_fmac_f32_e32 v96, v97, v94
	v_div_scale_f32 v97, null, v96, v96, 1.0
	s_delay_alu instid0(VALU_DEP_1) | instskip(SKIP_1) | instid1(TRANS32_DEP_1)
	v_rcp_f32_e32 v100, v97
	v_nop
	v_fma_f32 v102, -v97, v100, 1.0
	s_delay_alu instid0(VALU_DEP_1) | instskip(SKIP_1) | instid1(VALU_DEP_1)
	v_fmac_f32_e32 v100, v102, v100
	v_div_scale_f32 v102, vcc_lo, 1.0, v96, 1.0
	v_mul_f32_e32 v103, v102, v100
	s_delay_alu instid0(VALU_DEP_1) | instskip(NEXT) | instid1(VALU_DEP_1)
	v_fma_f32 v104, -v97, v103, v102
	v_fmac_f32_e32 v103, v104, v100
	s_delay_alu instid0(VALU_DEP_1) | instskip(NEXT) | instid1(VALU_DEP_1)
	v_fma_f32 v97, -v97, v103, v102
	v_div_fmas_f32 v97, v97, v100, v103
	s_delay_alu instid0(VALU_DEP_1) | instskip(NEXT) | instid1(VALU_DEP_1)
	v_div_fixup_f32 v96, v97, v96, 1.0
	v_mul_f32_e64 v97, v94, -v96
.LBB86_11:
	s_or_b32 exec_lo, exec_lo, s1
	v_dual_mov_b32 v103, 0 :: v_dual_mov_b32 v100, 2
.LBB86_12:
	s_or_b32 exec_lo, exec_lo, s0
	s_delay_alu instid0(SALU_CYCLE_1)
	s_mov_b32 s0, exec_lo
	v_cmpx_ne_u32_e64 v101, v95
	s_xor_b32 s0, exec_lo, s0
	s_cbranch_execz .LBB86_18
; %bb.13:
	s_mov_b32 s1, exec_lo
	v_cmpx_eq_u32_e32 0, v101
	s_cbranch_execz .LBB86_17
; %bb.14:
	v_cmp_ne_u32_e32 vcc_lo, 0, v95
	s_xor_b32 s12, s16, -1
	s_delay_alu instid0(SALU_CYCLE_1) | instskip(NEXT) | instid1(SALU_CYCLE_1)
	s_and_b32 s13, s12, vcc_lo
	s_and_saveexec_b32 s12, s13
	s_cbranch_execz .LBB86_16
; %bb.15:
	v_dual_mov_b32 v104, v95 :: v_dual_ashrrev_i32 v105, 31, v95
	s_delay_alu instid0(VALU_DEP_1)
	v_lshl_add_u64 v[104:105], v[104:105], 2, v[4:5]
	s_clause 0x1
	global_load_b32 v94, v[104:105], off
	global_load_b32 v101, v[4:5], off
	s_wait_loadcnt 0x1
	global_store_b32 v[4:5], v94, off
	s_wait_loadcnt 0x0
	global_store_b32 v[104:105], v101, off
.LBB86_16:
	s_wait_xcnt 0x0
	s_or_b32 exec_lo, exec_lo, s12
	v_mov_b32_e32 v101, v95
.LBB86_17:
	s_or_b32 exec_lo, exec_lo, s1
.LBB86_18:
	s_or_saveexec_b32 s0, s0
	s_delay_alu instid0(VALU_DEP_1)
	v_mov_b32_e32 v102, v101
	s_xor_b32 exec_lo, exec_lo, s0
	s_cbranch_execz .LBB86_20
; %bb.19:
	v_mov_b32_e32 v102, 0
	ds_store_2addr_b64 v98, v[90:91], v[86:87] offset0:1 offset1:2
	ds_store_2addr_b64 v98, v[84:85], v[58:59] offset0:3 offset1:4
	;; [unrolled: 1-line block ×21, first 2 shown]
	ds_store_b64 v98, v[92:93] offset:344
.LBB86_20:
	s_or_b32 exec_lo, exec_lo, s0
	s_delay_alu instid0(SALU_CYCLE_1)
	s_mov_b32 s0, exec_lo
	s_wait_storecnt_dscnt 0x0
	s_barrier_signal -1
	s_barrier_wait -1
	v_cmpx_lt_i32_e32 0, v102
	s_cbranch_execz .LBB86_22
; %bb.21:
	v_pk_mul_f32 v[104:105], v[96:97], v[88:89] op_sel:[1,1] op_sel_hi:[0,1]
	s_delay_alu instid0(VALU_DEP_1)
	v_pk_fma_f32 v[94:95], v[96:97], v[88:89], v[104:105] op_sel_hi:[1,0,1] neg_lo:[0,0,1] neg_hi:[0,0,1]
	v_pk_fma_f32 v[96:97], v[96:97], v[88:89], v[104:105] op_sel_hi:[1,0,1]
	ds_load_2addr_b64 v[104:107], v98 offset0:1 offset1:2
	v_dual_mov_b32 v88, v94 :: v_dual_mov_b32 v89, v97
	s_wait_dscnt 0x0
	v_pk_mul_f32 v[108:109], v[104:105], v[96:97] op_sel:[0,1]
	s_delay_alu instid0(VALU_DEP_1) | instskip(SKIP_1) | instid1(VALU_DEP_1)
	v_pk_fma_f32 v[110:111], v[104:105], v[94:95], v[108:109] op_sel:[0,0,1] op_sel_hi:[1,1,0] neg_lo:[0,0,1] neg_hi:[0,0,1]
	v_pk_fma_f32 v[104:105], v[104:105], v[94:95], v[108:109] op_sel:[0,0,1] op_sel_hi:[1,0,0]
	v_mov_b32_e32 v111, v105
	v_pk_mul_f32 v[104:105], v[106:107], v[96:97] op_sel:[0,1]
	s_delay_alu instid0(VALU_DEP_1) | instskip(SKIP_1) | instid1(VALU_DEP_1)
	v_pk_fma_f32 v[108:109], v[106:107], v[94:95], v[104:105] op_sel:[0,0,1] op_sel_hi:[1,1,0] neg_lo:[0,0,1] neg_hi:[0,0,1]
	v_pk_fma_f32 v[104:105], v[106:107], v[94:95], v[104:105] op_sel:[0,0,1] op_sel_hi:[1,0,0]
	v_mov_b32_e32 v109, v105
	ds_load_2addr_b64 v[104:107], v98 offset0:3 offset1:4
	v_pk_add_f32 v[90:91], v[90:91], v[110:111] neg_lo:[0,1] neg_hi:[0,1]
	v_pk_add_f32 v[86:87], v[86:87], v[108:109] neg_lo:[0,1] neg_hi:[0,1]
	s_wait_dscnt 0x0
	v_pk_mul_f32 v[108:109], v[104:105], v[96:97] op_sel:[0,1]
	s_delay_alu instid0(VALU_DEP_1) | instskip(SKIP_2) | instid1(VALU_DEP_2)
	v_pk_fma_f32 v[110:111], v[104:105], v[94:95], v[108:109] op_sel:[0,0,1] op_sel_hi:[1,1,0] neg_lo:[0,0,1] neg_hi:[0,0,1]
	v_pk_fma_f32 v[104:105], v[104:105], v[94:95], v[108:109] op_sel:[0,0,1] op_sel_hi:[1,0,0]
	v_dual_mul_f32 v108, v107, v97 :: v_dual_mov_b32 v104, v107
	v_dual_mov_b32 v111, v105 :: v_dual_mov_b32 v105, v106
	s_delay_alu instid0(VALU_DEP_2) | instskip(SKIP_1) | instid1(VALU_DEP_3)
	v_pk_fma_f32 v[108:109], v[106:107], v[88:89], v[108:109] op_sel_hi:[1,1,0] neg_lo:[0,0,1] neg_hi:[0,0,1]
	v_mul_f32_e32 v106, v107, v94
	v_pk_add_f32 v[84:85], v[84:85], v[110:111] neg_lo:[0,1] neg_hi:[0,1]
	s_delay_alu instid0(VALU_DEP_2) | instskip(NEXT) | instid1(VALU_DEP_1)
	v_pk_fma_f32 v[104:105], v[104:105], v[88:89], v[106:107] op_sel_hi:[1,1,0]
	v_mov_b32_e32 v109, v105
	ds_load_2addr_b64 v[104:107], v98 offset0:5 offset1:6
	v_pk_add_f32 v[58:59], v[58:59], v[108:109] neg_lo:[0,1] neg_hi:[0,1]
	s_wait_dscnt 0x0
	v_pk_mul_f32 v[108:109], v[104:105], v[96:97] op_sel:[0,1]
	s_delay_alu instid0(VALU_DEP_1) | instskip(SKIP_1) | instid1(VALU_DEP_1)
	v_pk_fma_f32 v[110:111], v[104:105], v[94:95], v[108:109] op_sel:[0,0,1] op_sel_hi:[1,1,0] neg_lo:[0,0,1] neg_hi:[0,0,1]
	v_pk_fma_f32 v[104:105], v[104:105], v[94:95], v[108:109] op_sel:[0,0,1] op_sel_hi:[1,0,0]
	v_mov_b32_e32 v111, v105
	v_pk_mul_f32 v[104:105], v[106:107], v[96:97] op_sel:[0,1]
	s_delay_alu instid0(VALU_DEP_1) | instskip(SKIP_1) | instid1(VALU_DEP_1)
	v_pk_fma_f32 v[108:109], v[106:107], v[94:95], v[104:105] op_sel:[0,0,1] op_sel_hi:[1,1,0] neg_lo:[0,0,1] neg_hi:[0,0,1]
	v_pk_fma_f32 v[104:105], v[106:107], v[94:95], v[104:105] op_sel:[0,0,1] op_sel_hi:[1,0,0]
	v_mov_b32_e32 v109, v105
	ds_load_2addr_b64 v[104:107], v98 offset0:7 offset1:8
	v_pk_add_f32 v[50:51], v[50:51], v[110:111] neg_lo:[0,1] neg_hi:[0,1]
	v_pk_add_f32 v[56:57], v[56:57], v[108:109] neg_lo:[0,1] neg_hi:[0,1]
	s_wait_dscnt 0x0
	v_pk_mul_f32 v[108:109], v[104:105], v[96:97] op_sel:[0,1]
	s_delay_alu instid0(VALU_DEP_1) | instskip(SKIP_1) | instid1(VALU_DEP_1)
	v_pk_fma_f32 v[110:111], v[104:105], v[94:95], v[108:109] op_sel:[0,0,1] op_sel_hi:[1,1,0] neg_lo:[0,0,1] neg_hi:[0,0,1]
	v_pk_fma_f32 v[104:105], v[104:105], v[94:95], v[108:109] op_sel:[0,0,1] op_sel_hi:[1,0,0]
	v_mov_b32_e32 v111, v105
	v_pk_mul_f32 v[104:105], v[106:107], v[96:97] op_sel:[0,1]
	s_delay_alu instid0(VALU_DEP_1) | instskip(SKIP_1) | instid1(VALU_DEP_1)
	v_pk_fma_f32 v[108:109], v[106:107], v[94:95], v[104:105] op_sel:[0,0,1] op_sel_hi:[1,1,0] neg_lo:[0,0,1] neg_hi:[0,0,1]
	v_pk_fma_f32 v[104:105], v[106:107], v[94:95], v[104:105] op_sel:[0,0,1] op_sel_hi:[1,0,0]
	v_mov_b32_e32 v109, v105
	ds_load_2addr_b64 v[104:107], v98 offset0:9 offset1:10
	v_pk_add_f32 v[14:15], v[14:15], v[110:111] neg_lo:[0,1] neg_hi:[0,1]
	v_pk_add_f32 v[64:65], v[64:65], v[108:109] neg_lo:[0,1] neg_hi:[0,1]
	s_wait_dscnt 0x0
	v_dual_mul_f32 v108, v105, v97 :: v_dual_mul_f32 v110, v105, v94
	s_delay_alu instid0(VALU_DEP_1) | instskip(NEXT) | instid1(VALU_DEP_2)
	v_pk_fma_f32 v[108:109], v[104:105], v[88:89], v[108:109] op_sel_hi:[1,1,0] neg_lo:[0,0,1] neg_hi:[0,0,1]
	v_pk_fma_f32 v[104:105], v[104:105], v[88:89], v[110:111] op_sel:[1,0,0] op_sel_hi:[0,1,0]
	s_delay_alu instid0(VALU_DEP_1) | instskip(SKIP_1) | instid1(VALU_DEP_2)
	v_mov_b32_e32 v109, v105
	v_pk_mul_f32 v[104:105], v[106:107], v[96:97] op_sel:[0,1]
	v_pk_add_f32 v[60:61], v[60:61], v[108:109] neg_lo:[0,1] neg_hi:[0,1]
	s_delay_alu instid0(VALU_DEP_2) | instskip(SKIP_1) | instid1(VALU_DEP_1)
	v_pk_fma_f32 v[108:109], v[106:107], v[94:95], v[104:105] op_sel:[0,0,1] op_sel_hi:[1,1,0] neg_lo:[0,0,1] neg_hi:[0,0,1]
	v_pk_fma_f32 v[104:105], v[106:107], v[94:95], v[104:105] op_sel:[0,0,1] op_sel_hi:[1,0,0]
	v_mov_b32_e32 v109, v105
	ds_load_2addr_b64 v[104:107], v98 offset0:11 offset1:12
	v_pk_add_f32 v[62:63], v[62:63], v[108:109] neg_lo:[0,1] neg_hi:[0,1]
	s_wait_dscnt 0x0
	v_pk_mul_f32 v[108:109], v[104:105], v[96:97] op_sel:[0,1]
	s_delay_alu instid0(VALU_DEP_1) | instskip(SKIP_1) | instid1(VALU_DEP_1)
	v_pk_fma_f32 v[110:111], v[104:105], v[94:95], v[108:109] op_sel:[0,0,1] op_sel_hi:[1,1,0] neg_lo:[0,0,1] neg_hi:[0,0,1]
	v_pk_fma_f32 v[104:105], v[104:105], v[94:95], v[108:109] op_sel:[0,0,1] op_sel_hi:[1,0,0]
	v_mov_b32_e32 v111, v105
	v_pk_mul_f32 v[104:105], v[106:107], v[96:97] op_sel:[0,1]
	s_delay_alu instid0(VALU_DEP_2) | instskip(NEXT) | instid1(VALU_DEP_2)
	v_pk_add_f32 v[18:19], v[18:19], v[110:111] neg_lo:[0,1] neg_hi:[0,1]
	v_pk_fma_f32 v[108:109], v[106:107], v[94:95], v[104:105] op_sel:[0,0,1] op_sel_hi:[1,1,0] neg_lo:[0,0,1] neg_hi:[0,0,1]
	v_pk_fma_f32 v[104:105], v[106:107], v[94:95], v[104:105] op_sel:[0,0,1] op_sel_hi:[1,0,0]
	s_delay_alu instid0(VALU_DEP_1) | instskip(SKIP_4) | instid1(VALU_DEP_1)
	v_mov_b32_e32 v109, v105
	ds_load_2addr_b64 v[104:107], v98 offset0:13 offset1:14
	v_pk_add_f32 v[82:83], v[82:83], v[108:109] neg_lo:[0,1] neg_hi:[0,1]
	s_wait_dscnt 0x0
	v_pk_mul_f32 v[108:109], v[104:105], v[96:97] op_sel:[0,1]
	v_pk_fma_f32 v[110:111], v[104:105], v[94:95], v[108:109] op_sel:[0,0,1] op_sel_hi:[1,1,0] neg_lo:[0,0,1] neg_hi:[0,0,1]
	v_pk_fma_f32 v[104:105], v[104:105], v[94:95], v[108:109] op_sel:[0,0,1] op_sel_hi:[1,0,0]
	v_dual_mul_f32 v108, v107, v97 :: v_dual_mov_b32 v104, v107
	s_delay_alu instid0(VALU_DEP_2) | instskip(NEXT) | instid1(VALU_DEP_2)
	v_dual_mov_b32 v111, v105 :: v_dual_mov_b32 v105, v106
	v_pk_fma_f32 v[108:109], v[106:107], v[88:89], v[108:109] op_sel_hi:[1,1,0] neg_lo:[0,0,1] neg_hi:[0,0,1]
	v_mul_f32_e32 v106, v107, v94
	s_delay_alu instid0(VALU_DEP_3) | instskip(NEXT) | instid1(VALU_DEP_2)
	v_pk_add_f32 v[78:79], v[78:79], v[110:111] neg_lo:[0,1] neg_hi:[0,1]
	v_pk_fma_f32 v[104:105], v[104:105], v[88:89], v[106:107] op_sel_hi:[1,1,0]
	s_delay_alu instid0(VALU_DEP_1) | instskip(SKIP_4) | instid1(VALU_DEP_1)
	v_mov_b32_e32 v109, v105
	ds_load_2addr_b64 v[104:107], v98 offset0:15 offset1:16
	v_pk_add_f32 v[80:81], v[80:81], v[108:109] neg_lo:[0,1] neg_hi:[0,1]
	s_wait_dscnt 0x0
	v_pk_mul_f32 v[108:109], v[104:105], v[96:97] op_sel:[0,1]
	v_pk_fma_f32 v[110:111], v[104:105], v[94:95], v[108:109] op_sel:[0,0,1] op_sel_hi:[1,1,0] neg_lo:[0,0,1] neg_hi:[0,0,1]
	v_pk_fma_f32 v[104:105], v[104:105], v[94:95], v[108:109] op_sel:[0,0,1] op_sel_hi:[1,0,0]
	s_delay_alu instid0(VALU_DEP_1) | instskip(SKIP_1) | instid1(VALU_DEP_1)
	v_mov_b32_e32 v111, v105
	v_pk_mul_f32 v[104:105], v[106:107], v[96:97] op_sel:[0,1]
	v_pk_fma_f32 v[108:109], v[106:107], v[94:95], v[104:105] op_sel:[0,0,1] op_sel_hi:[1,1,0] neg_lo:[0,0,1] neg_hi:[0,0,1]
	v_pk_fma_f32 v[104:105], v[106:107], v[94:95], v[104:105] op_sel:[0,0,1] op_sel_hi:[1,0,0]
	s_delay_alu instid0(VALU_DEP_1)
	v_mov_b32_e32 v109, v105
	ds_load_2addr_b64 v[104:107], v98 offset0:17 offset1:18
	v_pk_add_f32 v[26:27], v[26:27], v[110:111] neg_lo:[0,1] neg_hi:[0,1]
	v_pk_add_f32 v[76:77], v[76:77], v[108:109] neg_lo:[0,1] neg_hi:[0,1]
	s_wait_dscnt 0x0
	v_pk_mul_f32 v[108:109], v[104:105], v[96:97] op_sel:[0,1]
	s_delay_alu instid0(VALU_DEP_1) | instskip(SKIP_1) | instid1(VALU_DEP_1)
	v_pk_fma_f32 v[110:111], v[104:105], v[94:95], v[108:109] op_sel:[0,0,1] op_sel_hi:[1,1,0] neg_lo:[0,0,1] neg_hi:[0,0,1]
	v_pk_fma_f32 v[104:105], v[104:105], v[94:95], v[108:109] op_sel:[0,0,1] op_sel_hi:[1,0,0]
	v_mov_b32_e32 v111, v105
	v_pk_mul_f32 v[104:105], v[106:107], v[96:97] op_sel:[0,1]
	s_delay_alu instid0(VALU_DEP_1) | instskip(SKIP_1) | instid1(VALU_DEP_1)
	v_pk_fma_f32 v[108:109], v[106:107], v[94:95], v[104:105] op_sel:[0,0,1] op_sel_hi:[1,1,0] neg_lo:[0,0,1] neg_hi:[0,0,1]
	v_pk_fma_f32 v[104:105], v[106:107], v[94:95], v[104:105] op_sel:[0,0,1] op_sel_hi:[1,0,0]
	v_mov_b32_e32 v109, v105
	ds_load_2addr_b64 v[104:107], v98 offset0:19 offset1:20
	v_pk_add_f32 v[72:73], v[72:73], v[110:111] neg_lo:[0,1] neg_hi:[0,1]
	v_pk_add_f32 v[74:75], v[74:75], v[108:109] neg_lo:[0,1] neg_hi:[0,1]
	s_wait_dscnt 0x0
	v_dual_mul_f32 v108, v105, v97 :: v_dual_mul_f32 v110, v105, v94
	s_delay_alu instid0(VALU_DEP_1) | instskip(NEXT) | instid1(VALU_DEP_2)
	v_pk_fma_f32 v[108:109], v[104:105], v[88:89], v[108:109] op_sel_hi:[1,1,0] neg_lo:[0,0,1] neg_hi:[0,0,1]
	v_pk_fma_f32 v[104:105], v[104:105], v[88:89], v[110:111] op_sel:[1,0,0] op_sel_hi:[0,1,0]
	s_delay_alu instid0(VALU_DEP_1) | instskip(SKIP_1) | instid1(VALU_DEP_2)
	v_mov_b32_e32 v109, v105
	v_pk_mul_f32 v[104:105], v[106:107], v[96:97] op_sel:[0,1]
	v_pk_add_f32 v[24:25], v[24:25], v[108:109] neg_lo:[0,1] neg_hi:[0,1]
	s_delay_alu instid0(VALU_DEP_2) | instskip(SKIP_1) | instid1(VALU_DEP_1)
	v_pk_fma_f32 v[108:109], v[106:107], v[94:95], v[104:105] op_sel:[0,0,1] op_sel_hi:[1,1,0] neg_lo:[0,0,1] neg_hi:[0,0,1]
	v_pk_fma_f32 v[104:105], v[106:107], v[94:95], v[104:105] op_sel:[0,0,1] op_sel_hi:[1,0,0]
	v_mov_b32_e32 v109, v105
	ds_load_2addr_b64 v[104:107], v98 offset0:21 offset1:22
	v_pk_add_f32 v[70:71], v[70:71], v[108:109] neg_lo:[0,1] neg_hi:[0,1]
	s_wait_dscnt 0x0
	v_pk_mul_f32 v[108:109], v[104:105], v[96:97] op_sel:[0,1]
	s_delay_alu instid0(VALU_DEP_1) | instskip(SKIP_1) | instid1(VALU_DEP_1)
	v_pk_fma_f32 v[110:111], v[104:105], v[94:95], v[108:109] op_sel:[0,0,1] op_sel_hi:[1,1,0] neg_lo:[0,0,1] neg_hi:[0,0,1]
	v_pk_fma_f32 v[104:105], v[104:105], v[94:95], v[108:109] op_sel:[0,0,1] op_sel_hi:[1,0,0]
	v_mov_b32_e32 v111, v105
	v_pk_mul_f32 v[104:105], v[106:107], v[96:97] op_sel:[0,1]
	s_delay_alu instid0(VALU_DEP_2) | instskip(NEXT) | instid1(VALU_DEP_2)
	v_pk_add_f32 v[66:67], v[66:67], v[110:111] neg_lo:[0,1] neg_hi:[0,1]
	v_pk_fma_f32 v[108:109], v[106:107], v[94:95], v[104:105] op_sel:[0,0,1] op_sel_hi:[1,1,0] neg_lo:[0,0,1] neg_hi:[0,0,1]
	v_pk_fma_f32 v[104:105], v[106:107], v[94:95], v[104:105] op_sel:[0,0,1] op_sel_hi:[1,0,0]
	s_delay_alu instid0(VALU_DEP_1) | instskip(SKIP_4) | instid1(VALU_DEP_1)
	v_mov_b32_e32 v109, v105
	ds_load_2addr_b64 v[104:107], v98 offset0:23 offset1:24
	v_pk_add_f32 v[68:69], v[68:69], v[108:109] neg_lo:[0,1] neg_hi:[0,1]
	s_wait_dscnt 0x0
	v_pk_mul_f32 v[108:109], v[104:105], v[96:97] op_sel:[0,1]
	v_pk_fma_f32 v[110:111], v[104:105], v[94:95], v[108:109] op_sel:[0,0,1] op_sel_hi:[1,1,0] neg_lo:[0,0,1] neg_hi:[0,0,1]
	v_pk_fma_f32 v[104:105], v[104:105], v[94:95], v[108:109] op_sel:[0,0,1] op_sel_hi:[1,0,0]
	v_dual_mul_f32 v108, v107, v97 :: v_dual_mov_b32 v104, v107
	s_delay_alu instid0(VALU_DEP_2) | instskip(NEXT) | instid1(VALU_DEP_2)
	v_dual_mov_b32 v111, v105 :: v_dual_mov_b32 v105, v106
	v_pk_fma_f32 v[108:109], v[106:107], v[88:89], v[108:109] op_sel_hi:[1,1,0] neg_lo:[0,0,1] neg_hi:[0,0,1]
	v_mul_f32_e32 v106, v107, v94
	s_delay_alu instid0(VALU_DEP_3) | instskip(NEXT) | instid1(VALU_DEP_2)
	v_pk_add_f32 v[22:23], v[22:23], v[110:111] neg_lo:[0,1] neg_hi:[0,1]
	v_pk_fma_f32 v[104:105], v[104:105], v[88:89], v[106:107] op_sel_hi:[1,1,0]
	s_delay_alu instid0(VALU_DEP_1) | instskip(SKIP_4) | instid1(VALU_DEP_1)
	v_mov_b32_e32 v109, v105
	ds_load_2addr_b64 v[104:107], v98 offset0:25 offset1:26
	v_pk_add_f32 v[54:55], v[54:55], v[108:109] neg_lo:[0,1] neg_hi:[0,1]
	s_wait_dscnt 0x0
	v_pk_mul_f32 v[108:109], v[104:105], v[96:97] op_sel:[0,1]
	v_pk_fma_f32 v[110:111], v[104:105], v[94:95], v[108:109] op_sel:[0,0,1] op_sel_hi:[1,1,0] neg_lo:[0,0,1] neg_hi:[0,0,1]
	v_pk_fma_f32 v[104:105], v[104:105], v[94:95], v[108:109] op_sel:[0,0,1] op_sel_hi:[1,0,0]
	s_delay_alu instid0(VALU_DEP_1) | instskip(SKIP_1) | instid1(VALU_DEP_1)
	v_mov_b32_e32 v111, v105
	v_pk_mul_f32 v[104:105], v[106:107], v[96:97] op_sel:[0,1]
	v_pk_fma_f32 v[108:109], v[106:107], v[94:95], v[104:105] op_sel:[0,0,1] op_sel_hi:[1,1,0] neg_lo:[0,0,1] neg_hi:[0,0,1]
	v_pk_fma_f32 v[104:105], v[106:107], v[94:95], v[104:105] op_sel:[0,0,1] op_sel_hi:[1,0,0]
	s_delay_alu instid0(VALU_DEP_1)
	v_mov_b32_e32 v109, v105
	ds_load_2addr_b64 v[104:107], v98 offset0:27 offset1:28
	v_pk_add_f32 v[48:49], v[48:49], v[110:111] neg_lo:[0,1] neg_hi:[0,1]
	v_pk_add_f32 v[52:53], v[52:53], v[108:109] neg_lo:[0,1] neg_hi:[0,1]
	s_wait_dscnt 0x0
	v_pk_mul_f32 v[108:109], v[104:105], v[96:97] op_sel:[0,1]
	s_delay_alu instid0(VALU_DEP_1) | instskip(SKIP_1) | instid1(VALU_DEP_1)
	v_pk_fma_f32 v[110:111], v[104:105], v[94:95], v[108:109] op_sel:[0,0,1] op_sel_hi:[1,1,0] neg_lo:[0,0,1] neg_hi:[0,0,1]
	v_pk_fma_f32 v[104:105], v[104:105], v[94:95], v[108:109] op_sel:[0,0,1] op_sel_hi:[1,0,0]
	v_mov_b32_e32 v111, v105
	v_pk_mul_f32 v[104:105], v[106:107], v[96:97] op_sel:[0,1]
	s_delay_alu instid0(VALU_DEP_1) | instskip(SKIP_1) | instid1(VALU_DEP_1)
	v_pk_fma_f32 v[108:109], v[106:107], v[94:95], v[104:105] op_sel:[0,0,1] op_sel_hi:[1,1,0] neg_lo:[0,0,1] neg_hi:[0,0,1]
	v_pk_fma_f32 v[104:105], v[106:107], v[94:95], v[104:105] op_sel:[0,0,1] op_sel_hi:[1,0,0]
	v_mov_b32_e32 v109, v105
	ds_load_2addr_b64 v[104:107], v98 offset0:29 offset1:30
	v_pk_add_f32 v[12:13], v[12:13], v[110:111] neg_lo:[0,1] neg_hi:[0,1]
	v_pk_add_f32 v[46:47], v[46:47], v[108:109] neg_lo:[0,1] neg_hi:[0,1]
	s_wait_dscnt 0x0
	v_dual_mul_f32 v108, v105, v97 :: v_dual_mul_f32 v110, v105, v94
	s_delay_alu instid0(VALU_DEP_1) | instskip(NEXT) | instid1(VALU_DEP_2)
	v_pk_fma_f32 v[108:109], v[104:105], v[88:89], v[108:109] op_sel_hi:[1,1,0] neg_lo:[0,0,1] neg_hi:[0,0,1]
	v_pk_fma_f32 v[104:105], v[104:105], v[88:89], v[110:111] op_sel:[1,0,0] op_sel_hi:[0,1,0]
	s_delay_alu instid0(VALU_DEP_1) | instskip(SKIP_1) | instid1(VALU_DEP_2)
	v_mov_b32_e32 v109, v105
	v_pk_mul_f32 v[104:105], v[106:107], v[96:97] op_sel:[0,1]
	v_pk_add_f32 v[42:43], v[42:43], v[108:109] neg_lo:[0,1] neg_hi:[0,1]
	s_delay_alu instid0(VALU_DEP_2) | instskip(SKIP_1) | instid1(VALU_DEP_1)
	v_pk_fma_f32 v[108:109], v[106:107], v[94:95], v[104:105] op_sel:[0,0,1] op_sel_hi:[1,1,0] neg_lo:[0,0,1] neg_hi:[0,0,1]
	v_pk_fma_f32 v[104:105], v[106:107], v[94:95], v[104:105] op_sel:[0,0,1] op_sel_hi:[1,0,0]
	v_mov_b32_e32 v109, v105
	ds_load_2addr_b64 v[104:107], v98 offset0:31 offset1:32
	v_pk_add_f32 v[44:45], v[44:45], v[108:109] neg_lo:[0,1] neg_hi:[0,1]
	s_wait_dscnt 0x0
	v_pk_mul_f32 v[108:109], v[104:105], v[96:97] op_sel:[0,1]
	s_delay_alu instid0(VALU_DEP_1) | instskip(SKIP_1) | instid1(VALU_DEP_1)
	v_pk_fma_f32 v[110:111], v[104:105], v[94:95], v[108:109] op_sel:[0,0,1] op_sel_hi:[1,1,0] neg_lo:[0,0,1] neg_hi:[0,0,1]
	v_pk_fma_f32 v[104:105], v[104:105], v[94:95], v[108:109] op_sel:[0,0,1] op_sel_hi:[1,0,0]
	v_mov_b32_e32 v111, v105
	v_pk_mul_f32 v[104:105], v[106:107], v[96:97] op_sel:[0,1]
	s_delay_alu instid0(VALU_DEP_2) | instskip(NEXT) | instid1(VALU_DEP_2)
	v_pk_add_f32 v[10:11], v[10:11], v[110:111] neg_lo:[0,1] neg_hi:[0,1]
	v_pk_fma_f32 v[108:109], v[106:107], v[94:95], v[104:105] op_sel:[0,0,1] op_sel_hi:[1,1,0] neg_lo:[0,0,1] neg_hi:[0,0,1]
	v_pk_fma_f32 v[104:105], v[106:107], v[94:95], v[104:105] op_sel:[0,0,1] op_sel_hi:[1,0,0]
	s_delay_alu instid0(VALU_DEP_1) | instskip(SKIP_4) | instid1(VALU_DEP_1)
	v_mov_b32_e32 v109, v105
	ds_load_2addr_b64 v[104:107], v98 offset0:33 offset1:34
	v_pk_add_f32 v[40:41], v[40:41], v[108:109] neg_lo:[0,1] neg_hi:[0,1]
	s_wait_dscnt 0x0
	v_pk_mul_f32 v[108:109], v[104:105], v[96:97] op_sel:[0,1]
	v_pk_fma_f32 v[110:111], v[104:105], v[94:95], v[108:109] op_sel:[0,0,1] op_sel_hi:[1,1,0] neg_lo:[0,0,1] neg_hi:[0,0,1]
	v_pk_fma_f32 v[104:105], v[104:105], v[94:95], v[108:109] op_sel:[0,0,1] op_sel_hi:[1,0,0]
	v_dual_mul_f32 v108, v107, v97 :: v_dual_mov_b32 v104, v107
	s_delay_alu instid0(VALU_DEP_2) | instskip(NEXT) | instid1(VALU_DEP_2)
	v_dual_mov_b32 v111, v105 :: v_dual_mov_b32 v105, v106
	v_pk_fma_f32 v[108:109], v[106:107], v[88:89], v[108:109] op_sel_hi:[1,1,0] neg_lo:[0,0,1] neg_hi:[0,0,1]
	v_mul_f32_e32 v106, v107, v94
	s_delay_alu instid0(VALU_DEP_3) | instskip(NEXT) | instid1(VALU_DEP_2)
	v_pk_add_f32 v[36:37], v[36:37], v[110:111] neg_lo:[0,1] neg_hi:[0,1]
	v_pk_fma_f32 v[104:105], v[104:105], v[88:89], v[106:107] op_sel_hi:[1,1,0]
	s_delay_alu instid0(VALU_DEP_1) | instskip(SKIP_4) | instid1(VALU_DEP_1)
	v_mov_b32_e32 v109, v105
	ds_load_2addr_b64 v[104:107], v98 offset0:35 offset1:36
	v_pk_add_f32 v[38:39], v[38:39], v[108:109] neg_lo:[0,1] neg_hi:[0,1]
	s_wait_dscnt 0x0
	v_pk_mul_f32 v[108:109], v[104:105], v[96:97] op_sel:[0,1]
	v_pk_fma_f32 v[110:111], v[104:105], v[94:95], v[108:109] op_sel:[0,0,1] op_sel_hi:[1,1,0] neg_lo:[0,0,1] neg_hi:[0,0,1]
	v_pk_fma_f32 v[104:105], v[104:105], v[94:95], v[108:109] op_sel:[0,0,1] op_sel_hi:[1,0,0]
	s_delay_alu instid0(VALU_DEP_1) | instskip(SKIP_1) | instid1(VALU_DEP_1)
	v_mov_b32_e32 v111, v105
	v_pk_mul_f32 v[104:105], v[106:107], v[96:97] op_sel:[0,1]
	v_pk_fma_f32 v[108:109], v[106:107], v[94:95], v[104:105] op_sel:[0,0,1] op_sel_hi:[1,1,0] neg_lo:[0,0,1] neg_hi:[0,0,1]
	v_pk_fma_f32 v[104:105], v[106:107], v[94:95], v[104:105] op_sel:[0,0,1] op_sel_hi:[1,0,0]
	s_delay_alu instid0(VALU_DEP_1)
	v_mov_b32_e32 v109, v105
	ds_load_2addr_b64 v[104:107], v98 offset0:37 offset1:38
	v_pk_add_f32 v[6:7], v[6:7], v[110:111] neg_lo:[0,1] neg_hi:[0,1]
	v_pk_add_f32 v[34:35], v[34:35], v[108:109] neg_lo:[0,1] neg_hi:[0,1]
	s_wait_dscnt 0x0
	v_pk_mul_f32 v[108:109], v[104:105], v[96:97] op_sel:[0,1]
	s_delay_alu instid0(VALU_DEP_1) | instskip(SKIP_1) | instid1(VALU_DEP_1)
	v_pk_fma_f32 v[110:111], v[104:105], v[94:95], v[108:109] op_sel:[0,0,1] op_sel_hi:[1,1,0] neg_lo:[0,0,1] neg_hi:[0,0,1]
	v_pk_fma_f32 v[104:105], v[104:105], v[94:95], v[108:109] op_sel:[0,0,1] op_sel_hi:[1,0,0]
	v_mov_b32_e32 v111, v105
	v_pk_mul_f32 v[104:105], v[106:107], v[96:97] op_sel:[0,1]
	s_delay_alu instid0(VALU_DEP_1) | instskip(SKIP_1) | instid1(VALU_DEP_1)
	v_pk_fma_f32 v[108:109], v[106:107], v[94:95], v[104:105] op_sel:[0,0,1] op_sel_hi:[1,1,0] neg_lo:[0,0,1] neg_hi:[0,0,1]
	v_pk_fma_f32 v[104:105], v[106:107], v[94:95], v[104:105] op_sel:[0,0,1] op_sel_hi:[1,0,0]
	v_mov_b32_e32 v109, v105
	ds_load_2addr_b64 v[104:107], v98 offset0:39 offset1:40
	v_pk_add_f32 v[30:31], v[30:31], v[110:111] neg_lo:[0,1] neg_hi:[0,1]
	v_pk_add_f32 v[32:33], v[32:33], v[108:109] neg_lo:[0,1] neg_hi:[0,1]
	s_wait_dscnt 0x0
	v_dual_mul_f32 v108, v105, v97 :: v_dual_mul_f32 v110, v105, v94
	s_delay_alu instid0(VALU_DEP_1) | instskip(NEXT) | instid1(VALU_DEP_2)
	v_pk_fma_f32 v[108:109], v[104:105], v[88:89], v[108:109] op_sel_hi:[1,1,0] neg_lo:[0,0,1] neg_hi:[0,0,1]
	v_pk_fma_f32 v[104:105], v[104:105], v[88:89], v[110:111] op_sel:[1,0,0] op_sel_hi:[0,1,0]
	s_delay_alu instid0(VALU_DEP_1) | instskip(SKIP_1) | instid1(VALU_DEP_2)
	v_mov_b32_e32 v109, v105
	v_pk_mul_f32 v[104:105], v[106:107], v[96:97] op_sel:[0,1]
	v_pk_add_f32 v[8:9], v[8:9], v[108:109] neg_lo:[0,1] neg_hi:[0,1]
	s_delay_alu instid0(VALU_DEP_2) | instskip(SKIP_1) | instid1(VALU_DEP_1)
	v_pk_fma_f32 v[108:109], v[106:107], v[94:95], v[104:105] op_sel:[0,0,1] op_sel_hi:[1,1,0] neg_lo:[0,0,1] neg_hi:[0,0,1]
	v_pk_fma_f32 v[104:105], v[106:107], v[94:95], v[104:105] op_sel:[0,0,1] op_sel_hi:[1,0,0]
	v_mov_b32_e32 v109, v105
	ds_load_2addr_b64 v[104:107], v98 offset0:41 offset1:42
	v_pk_add_f32 v[28:29], v[28:29], v[108:109] neg_lo:[0,1] neg_hi:[0,1]
	s_wait_dscnt 0x0
	v_pk_mul_f32 v[108:109], v[104:105], v[96:97] op_sel:[0,1]
	s_delay_alu instid0(VALU_DEP_1) | instskip(SKIP_1) | instid1(VALU_DEP_1)
	v_pk_fma_f32 v[110:111], v[104:105], v[94:95], v[108:109] op_sel:[0,0,1] op_sel_hi:[1,1,0] neg_lo:[0,0,1] neg_hi:[0,0,1]
	v_pk_fma_f32 v[104:105], v[104:105], v[94:95], v[108:109] op_sel:[0,0,1] op_sel_hi:[1,0,0]
	v_mov_b32_e32 v111, v105
	v_pk_mul_f32 v[104:105], v[106:107], v[96:97] op_sel:[0,1]
	s_delay_alu instid0(VALU_DEP_2) | instskip(NEXT) | instid1(VALU_DEP_2)
	v_pk_add_f32 v[20:21], v[20:21], v[110:111] neg_lo:[0,1] neg_hi:[0,1]
	v_pk_fma_f32 v[108:109], v[106:107], v[94:95], v[104:105] op_sel:[0,0,1] op_sel_hi:[1,1,0] neg_lo:[0,0,1] neg_hi:[0,0,1]
	v_pk_fma_f32 v[104:105], v[106:107], v[94:95], v[104:105] op_sel:[0,0,1] op_sel_hi:[1,0,0]
	s_delay_alu instid0(VALU_DEP_1) | instskip(SKIP_4) | instid1(VALU_DEP_1)
	v_mov_b32_e32 v109, v105
	ds_load_b64 v[104:105], v98 offset:344
	v_pk_add_f32 v[16:17], v[16:17], v[108:109] neg_lo:[0,1] neg_hi:[0,1]
	s_wait_dscnt 0x0
	v_pk_mul_f32 v[96:97], v[104:105], v[96:97] op_sel:[0,1]
	v_pk_fma_f32 v[106:107], v[104:105], v[94:95], v[96:97] op_sel:[0,0,1] op_sel_hi:[1,1,0] neg_lo:[0,0,1] neg_hi:[0,0,1]
	v_pk_fma_f32 v[94:95], v[104:105], v[94:95], v[96:97] op_sel:[0,0,1] op_sel_hi:[1,0,0]
	s_delay_alu instid0(VALU_DEP_1) | instskip(NEXT) | instid1(VALU_DEP_1)
	v_mov_b32_e32 v107, v95
	v_pk_add_f32 v[92:93], v[92:93], v[106:107] neg_lo:[0,1] neg_hi:[0,1]
.LBB86_22:
	s_or_b32 exec_lo, exec_lo, s0
	v_lshl_add_u32 v94, v102, 3, v98
	s_barrier_signal -1
	s_barrier_wait -1
	ds_store_b64 v94, v[90:91]
	s_wait_dscnt 0x0
	s_barrier_signal -1
	s_barrier_wait -1
	ds_load_b64 v[96:97], v98 offset:8
	v_mov_b32_e32 v94, 1
	s_cmp_lt_i32 s18, 3
	s_cbranch_scc1 .LBB86_25
; %bb.23:
	v_add3_u32 v95, v99, 0, 16
	v_mov_b32_e32 v94, 1
	s_mov_b32 s0, 2
.LBB86_24:                              ; =>This Inner Loop Header: Depth=1
	ds_load_b64 v[104:105], v95
	s_wait_dscnt 0x1
	v_cmp_gt_f32_e32 vcc_lo, 0, v96
	v_cndmask_b32_e64 v106, v96, -v96, vcc_lo
	v_cmp_gt_f32_e32 vcc_lo, 0, v97
	v_cndmask_b32_e64 v108, v97, -v97, vcc_lo
	s_wait_dscnt 0x0
	v_cmp_gt_f32_e32 vcc_lo, 0, v104
	v_cndmask_b32_e64 v107, v104, -v104, vcc_lo
	v_cmp_gt_f32_e32 vcc_lo, 0, v105
	v_cndmask_b32_e64 v109, v105, -v105, vcc_lo
	s_delay_alu instid0(VALU_DEP_1) | instskip(NEXT) | instid1(VALU_DEP_1)
	v_pk_add_f32 v[106:107], v[106:107], v[108:109]
	v_cmp_lt_f32_e32 vcc_lo, v106, v107
	v_dual_add_nc_u32 v95, 8, v95 :: v_dual_cndmask_b32 v97, v97, v105, vcc_lo
	v_cndmask_b32_e32 v96, v96, v104, vcc_lo
	v_cndmask_b32_e64 v94, v94, s0, vcc_lo
	s_add_co_i32 s0, s0, 1
	s_delay_alu instid0(SALU_CYCLE_1)
	s_cmp_lg_u32 s18, s0
	s_cbranch_scc1 .LBB86_24
.LBB86_25:
	s_wait_dscnt 0x0
	v_cmp_neq_f32_e32 vcc_lo, 0, v96
	v_cmp_neq_f32_e64 s0, 0, v97
	s_or_b32 s1, vcc_lo, s0
	s_delay_alu instid0(SALU_CYCLE_1)
	s_and_saveexec_b32 s0, s1
	s_cbranch_execz .LBB86_31
; %bb.26:
	v_cmp_ngt_f32_e64 s1, |v96|, |v97|
	s_and_saveexec_b32 s12, s1
	s_delay_alu instid0(SALU_CYCLE_1)
	s_xor_b32 s1, exec_lo, s12
	s_cbranch_execz .LBB86_28
; %bb.27:
	v_div_scale_f32 v95, null, v97, v97, v96
	v_div_scale_f32 v105, vcc_lo, v96, v97, v96
	s_delay_alu instid0(VALU_DEP_2) | instskip(SKIP_1) | instid1(TRANS32_DEP_1)
	v_rcp_f32_e32 v100, v95
	v_nop
	v_fma_f32 v104, -v95, v100, 1.0
	s_delay_alu instid0(VALU_DEP_1) | instskip(NEXT) | instid1(VALU_DEP_1)
	v_fmac_f32_e32 v100, v104, v100
	v_mul_f32_e32 v104, v105, v100
	s_delay_alu instid0(VALU_DEP_1) | instskip(NEXT) | instid1(VALU_DEP_1)
	v_fma_f32 v106, -v95, v104, v105
	v_fmac_f32_e32 v104, v106, v100
	s_delay_alu instid0(VALU_DEP_1) | instskip(NEXT) | instid1(VALU_DEP_1)
	v_fma_f32 v95, -v95, v104, v105
	v_div_fmas_f32 v95, v95, v100, v104
	s_delay_alu instid0(VALU_DEP_1) | instskip(NEXT) | instid1(VALU_DEP_1)
	v_div_fixup_f32 v95, v95, v97, v96
	v_fmac_f32_e32 v97, v96, v95
	s_delay_alu instid0(VALU_DEP_1) | instskip(SKIP_1) | instid1(VALU_DEP_2)
	v_div_scale_f32 v96, null, v97, v97, 1.0
	v_div_scale_f32 v105, vcc_lo, 1.0, v97, 1.0
	v_rcp_f32_e32 v100, v96
	v_nop
	s_delay_alu instid0(TRANS32_DEP_1) | instskip(NEXT) | instid1(VALU_DEP_1)
	v_fma_f32 v104, -v96, v100, 1.0
	v_fmac_f32_e32 v100, v104, v100
	s_delay_alu instid0(VALU_DEP_1) | instskip(NEXT) | instid1(VALU_DEP_1)
	v_mul_f32_e32 v104, v105, v100
	v_fma_f32 v106, -v96, v104, v105
	s_delay_alu instid0(VALU_DEP_1) | instskip(NEXT) | instid1(VALU_DEP_1)
	v_fmac_f32_e32 v104, v106, v100
	v_fma_f32 v96, -v96, v104, v105
	s_delay_alu instid0(VALU_DEP_1) | instskip(NEXT) | instid1(VALU_DEP_1)
	v_div_fmas_f32 v96, v96, v100, v104
	v_div_fixup_f32 v97, v96, v97, 1.0
	s_delay_alu instid0(VALU_DEP_1)
	v_mul_f32_e32 v96, v95, v97
	v_xor_b32_e32 v97, 0x80000000, v97
.LBB86_28:
	s_and_not1_saveexec_b32 s1, s1
	s_cbranch_execz .LBB86_30
; %bb.29:
	s_delay_alu instid0(VALU_DEP_1) | instskip(SKIP_1) | instid1(VALU_DEP_2)
	v_div_scale_f32 v95, null, v96, v96, v97
	v_div_scale_f32 v105, vcc_lo, v97, v96, v97
	v_rcp_f32_e32 v100, v95
	v_nop
	s_delay_alu instid0(TRANS32_DEP_1) | instskip(NEXT) | instid1(VALU_DEP_1)
	v_fma_f32 v104, -v95, v100, 1.0
	v_fmac_f32_e32 v100, v104, v100
	s_delay_alu instid0(VALU_DEP_1) | instskip(NEXT) | instid1(VALU_DEP_1)
	v_mul_f32_e32 v104, v105, v100
	v_fma_f32 v106, -v95, v104, v105
	s_delay_alu instid0(VALU_DEP_1) | instskip(NEXT) | instid1(VALU_DEP_1)
	v_fmac_f32_e32 v104, v106, v100
	v_fma_f32 v95, -v95, v104, v105
	s_delay_alu instid0(VALU_DEP_1) | instskip(NEXT) | instid1(VALU_DEP_1)
	v_div_fmas_f32 v95, v95, v100, v104
	v_div_fixup_f32 v95, v95, v96, v97
	s_delay_alu instid0(VALU_DEP_1) | instskip(NEXT) | instid1(VALU_DEP_1)
	v_fmac_f32_e32 v96, v97, v95
	v_div_scale_f32 v97, null, v96, v96, 1.0
	s_delay_alu instid0(VALU_DEP_1) | instskip(SKIP_1) | instid1(TRANS32_DEP_1)
	v_rcp_f32_e32 v100, v97
	v_nop
	v_fma_f32 v104, -v97, v100, 1.0
	s_delay_alu instid0(VALU_DEP_1) | instskip(SKIP_1) | instid1(VALU_DEP_1)
	v_fmac_f32_e32 v100, v104, v100
	v_div_scale_f32 v104, vcc_lo, 1.0, v96, 1.0
	v_mul_f32_e32 v105, v104, v100
	s_delay_alu instid0(VALU_DEP_1) | instskip(NEXT) | instid1(VALU_DEP_1)
	v_fma_f32 v106, -v97, v105, v104
	v_fmac_f32_e32 v105, v106, v100
	s_delay_alu instid0(VALU_DEP_1) | instskip(NEXT) | instid1(VALU_DEP_1)
	v_fma_f32 v97, -v97, v105, v104
	v_div_fmas_f32 v97, v97, v100, v105
	s_delay_alu instid0(VALU_DEP_1) | instskip(NEXT) | instid1(VALU_DEP_1)
	v_div_fixup_f32 v96, v97, v96, 1.0
	v_mul_f32_e64 v97, v95, -v96
.LBB86_30:
	s_or_b32 exec_lo, exec_lo, s1
	v_mov_b32_e32 v100, v103
.LBB86_31:
	s_or_b32 exec_lo, exec_lo, s0
	s_delay_alu instid0(SALU_CYCLE_1)
	s_mov_b32 s0, exec_lo
	v_cmpx_ne_u32_e64 v102, v94
	s_xor_b32 s0, exec_lo, s0
	s_cbranch_execz .LBB86_37
; %bb.32:
	s_mov_b32 s1, exec_lo
	v_cmpx_eq_u32_e32 1, v102
	s_cbranch_execz .LBB86_36
; %bb.33:
	v_cmp_ne_u32_e32 vcc_lo, 1, v94
	s_xor_b32 s12, s16, -1
	s_delay_alu instid0(SALU_CYCLE_1) | instskip(NEXT) | instid1(SALU_CYCLE_1)
	s_and_b32 s13, s12, vcc_lo
	s_and_saveexec_b32 s12, s13
	s_cbranch_execz .LBB86_35
; %bb.34:
	v_ashrrev_i32_e32 v95, 31, v94
	s_delay_alu instid0(VALU_DEP_1)
	v_lshl_add_u64 v[102:103], v[94:95], 2, v[4:5]
	s_clause 0x1
	global_load_b32 v95, v[102:103], off
	global_load_b32 v101, v[4:5], off offset:4
	s_wait_loadcnt 0x1
	global_store_b32 v[4:5], v95, off offset:4
	s_wait_loadcnt 0x0
	global_store_b32 v[102:103], v101, off
.LBB86_35:
	s_wait_xcnt 0x0
	s_or_b32 exec_lo, exec_lo, s12
	v_dual_mov_b32 v102, v94 :: v_dual_mov_b32 v101, v94
.LBB86_36:
	s_or_b32 exec_lo, exec_lo, s1
.LBB86_37:
	s_and_not1_saveexec_b32 s0, s0
	s_cbranch_execz .LBB86_39
; %bb.38:
	v_dual_mov_b32 v94, v86 :: v_dual_mov_b32 v95, v87
	v_dual_mov_b32 v102, v84 :: v_dual_mov_b32 v103, v85
	;; [unrolled: 1-line block ×8, first 2 shown]
	ds_store_2addr_b64 v98, v[94:95], v[102:103] offset0:2 offset1:3
	ds_store_2addr_b64 v98, v[104:105], v[106:107] offset0:4 offset1:5
	ds_store_2addr_b64 v98, v[108:109], v[110:111] offset0:6 offset1:7
	ds_store_2addr_b64 v98, v[112:113], v[114:115] offset0:8 offset1:9
	v_dual_mov_b32 v94, v62 :: v_dual_mov_b32 v95, v63
	v_dual_mov_b32 v102, v18 :: v_dual_mov_b32 v103, v19
	;; [unrolled: 1-line block ×12, first 2 shown]
	ds_store_2addr_b64 v98, v[94:95], v[102:103] offset0:10 offset1:11
	ds_store_2addr_b64 v98, v[104:105], v[106:107] offset0:12 offset1:13
	;; [unrolled: 1-line block ×6, first 2 shown]
	v_dual_mov_b32 v94, v68 :: v_dual_mov_b32 v95, v69
	v_dual_mov_b32 v102, v22 :: v_dual_mov_b32 v103, v23
	;; [unrolled: 1-line block ×12, first 2 shown]
	ds_store_2addr_b64 v98, v[94:95], v[102:103] offset0:22 offset1:23
	ds_store_2addr_b64 v98, v[104:105], v[106:107] offset0:24 offset1:25
	;; [unrolled: 1-line block ×6, first 2 shown]
	v_dual_mov_b32 v94, v38 :: v_dual_mov_b32 v95, v39
	v_dual_mov_b32 v104, v6 :: v_dual_mov_b32 v105, v7
	;; [unrolled: 1-line block ×9, first 2 shown]
	v_mov_b32_e32 v119, v17
	ds_store_2addr_b64 v98, v[94:95], v[104:105] offset0:34 offset1:35
	ds_store_2addr_b64 v98, v[106:107], v[108:109] offset0:36 offset1:37
	;; [unrolled: 1-line block ×5, first 2 shown]
.LBB86_39:
	s_or_b32 exec_lo, exec_lo, s0
	s_delay_alu instid0(SALU_CYCLE_1)
	s_mov_b32 s0, exec_lo
	s_wait_storecnt_dscnt 0x0
	s_barrier_signal -1
	s_barrier_wait -1
	v_cmpx_lt_i32_e32 1, v102
	s_cbranch_execz .LBB86_41
; %bb.40:
	v_pk_mul_f32 v[104:105], v[96:97], v[90:91] op_sel:[1,1] op_sel_hi:[0,1]
	s_delay_alu instid0(VALU_DEP_1)
	v_pk_fma_f32 v[94:95], v[96:97], v[90:91], v[104:105] op_sel_hi:[1,0,1] neg_lo:[0,0,1] neg_hi:[0,0,1]
	v_pk_fma_f32 v[96:97], v[96:97], v[90:91], v[104:105] op_sel_hi:[1,0,1]
	ds_load_2addr_b64 v[104:107], v98 offset0:2 offset1:3
	v_dual_mov_b32 v90, v94 :: v_dual_mov_b32 v91, v97
	s_wait_dscnt 0x0
	v_pk_mul_f32 v[108:109], v[104:105], v[96:97] op_sel:[0,1]
	s_delay_alu instid0(VALU_DEP_1) | instskip(SKIP_1) | instid1(VALU_DEP_1)
	v_pk_fma_f32 v[110:111], v[104:105], v[94:95], v[108:109] op_sel:[0,0,1] op_sel_hi:[1,1,0] neg_lo:[0,0,1] neg_hi:[0,0,1]
	v_pk_fma_f32 v[104:105], v[104:105], v[94:95], v[108:109] op_sel:[0,0,1] op_sel_hi:[1,0,0]
	v_mov_b32_e32 v111, v105
	v_pk_mul_f32 v[104:105], v[106:107], v[96:97] op_sel:[0,1]
	s_delay_alu instid0(VALU_DEP_1) | instskip(SKIP_1) | instid1(VALU_DEP_1)
	v_pk_fma_f32 v[108:109], v[106:107], v[94:95], v[104:105] op_sel:[0,0,1] op_sel_hi:[1,1,0] neg_lo:[0,0,1] neg_hi:[0,0,1]
	v_pk_fma_f32 v[104:105], v[106:107], v[94:95], v[104:105] op_sel:[0,0,1] op_sel_hi:[1,0,0]
	v_mov_b32_e32 v109, v105
	ds_load_2addr_b64 v[104:107], v98 offset0:4 offset1:5
	v_pk_add_f32 v[86:87], v[86:87], v[110:111] neg_lo:[0,1] neg_hi:[0,1]
	v_pk_add_f32 v[84:85], v[84:85], v[108:109] neg_lo:[0,1] neg_hi:[0,1]
	s_wait_dscnt 0x0
	v_pk_mul_f32 v[108:109], v[104:105], v[96:97] op_sel:[0,1]
	s_delay_alu instid0(VALU_DEP_1) | instskip(SKIP_2) | instid1(VALU_DEP_2)
	v_pk_fma_f32 v[110:111], v[104:105], v[94:95], v[108:109] op_sel:[0,0,1] op_sel_hi:[1,1,0] neg_lo:[0,0,1] neg_hi:[0,0,1]
	v_pk_fma_f32 v[104:105], v[104:105], v[94:95], v[108:109] op_sel:[0,0,1] op_sel_hi:[1,0,0]
	v_dual_mul_f32 v108, v107, v97 :: v_dual_mov_b32 v104, v107
	v_dual_mov_b32 v111, v105 :: v_dual_mov_b32 v105, v106
	s_delay_alu instid0(VALU_DEP_2) | instskip(SKIP_1) | instid1(VALU_DEP_3)
	v_pk_fma_f32 v[108:109], v[106:107], v[90:91], v[108:109] op_sel_hi:[1,1,0] neg_lo:[0,0,1] neg_hi:[0,0,1]
	v_mul_f32_e32 v106, v107, v94
	v_pk_add_f32 v[58:59], v[58:59], v[110:111] neg_lo:[0,1] neg_hi:[0,1]
	s_delay_alu instid0(VALU_DEP_2) | instskip(NEXT) | instid1(VALU_DEP_1)
	v_pk_fma_f32 v[104:105], v[104:105], v[90:91], v[106:107] op_sel_hi:[1,1,0]
	v_mov_b32_e32 v109, v105
	ds_load_2addr_b64 v[104:107], v98 offset0:6 offset1:7
	v_pk_add_f32 v[50:51], v[50:51], v[108:109] neg_lo:[0,1] neg_hi:[0,1]
	s_wait_dscnt 0x0
	v_pk_mul_f32 v[108:109], v[104:105], v[96:97] op_sel:[0,1]
	s_delay_alu instid0(VALU_DEP_1) | instskip(SKIP_1) | instid1(VALU_DEP_1)
	v_pk_fma_f32 v[110:111], v[104:105], v[94:95], v[108:109] op_sel:[0,0,1] op_sel_hi:[1,1,0] neg_lo:[0,0,1] neg_hi:[0,0,1]
	v_pk_fma_f32 v[104:105], v[104:105], v[94:95], v[108:109] op_sel:[0,0,1] op_sel_hi:[1,0,0]
	v_mov_b32_e32 v111, v105
	v_pk_mul_f32 v[104:105], v[106:107], v[96:97] op_sel:[0,1]
	s_delay_alu instid0(VALU_DEP_1) | instskip(SKIP_1) | instid1(VALU_DEP_1)
	v_pk_fma_f32 v[108:109], v[106:107], v[94:95], v[104:105] op_sel:[0,0,1] op_sel_hi:[1,1,0] neg_lo:[0,0,1] neg_hi:[0,0,1]
	v_pk_fma_f32 v[104:105], v[106:107], v[94:95], v[104:105] op_sel:[0,0,1] op_sel_hi:[1,0,0]
	v_mov_b32_e32 v109, v105
	ds_load_2addr_b64 v[104:107], v98 offset0:8 offset1:9
	v_pk_add_f32 v[56:57], v[56:57], v[110:111] neg_lo:[0,1] neg_hi:[0,1]
	v_pk_add_f32 v[14:15], v[14:15], v[108:109] neg_lo:[0,1] neg_hi:[0,1]
	s_wait_dscnt 0x0
	v_pk_mul_f32 v[108:109], v[104:105], v[96:97] op_sel:[0,1]
	s_delay_alu instid0(VALU_DEP_1) | instskip(SKIP_1) | instid1(VALU_DEP_1)
	v_pk_fma_f32 v[110:111], v[104:105], v[94:95], v[108:109] op_sel:[0,0,1] op_sel_hi:[1,1,0] neg_lo:[0,0,1] neg_hi:[0,0,1]
	v_pk_fma_f32 v[104:105], v[104:105], v[94:95], v[108:109] op_sel:[0,0,1] op_sel_hi:[1,0,0]
	v_mov_b32_e32 v111, v105
	v_pk_mul_f32 v[104:105], v[106:107], v[96:97] op_sel:[0,1]
	s_delay_alu instid0(VALU_DEP_1) | instskip(SKIP_1) | instid1(VALU_DEP_1)
	v_pk_fma_f32 v[108:109], v[106:107], v[94:95], v[104:105] op_sel:[0,0,1] op_sel_hi:[1,1,0] neg_lo:[0,0,1] neg_hi:[0,0,1]
	v_pk_fma_f32 v[104:105], v[106:107], v[94:95], v[104:105] op_sel:[0,0,1] op_sel_hi:[1,0,0]
	v_mov_b32_e32 v109, v105
	ds_load_2addr_b64 v[104:107], v98 offset0:10 offset1:11
	v_pk_add_f32 v[64:65], v[64:65], v[110:111] neg_lo:[0,1] neg_hi:[0,1]
	v_pk_add_f32 v[60:61], v[60:61], v[108:109] neg_lo:[0,1] neg_hi:[0,1]
	s_wait_dscnt 0x0
	v_dual_mul_f32 v108, v105, v97 :: v_dual_mul_f32 v110, v105, v94
	s_delay_alu instid0(VALU_DEP_1) | instskip(NEXT) | instid1(VALU_DEP_2)
	v_pk_fma_f32 v[108:109], v[104:105], v[90:91], v[108:109] op_sel_hi:[1,1,0] neg_lo:[0,0,1] neg_hi:[0,0,1]
	v_pk_fma_f32 v[104:105], v[104:105], v[90:91], v[110:111] op_sel:[1,0,0] op_sel_hi:[0,1,0]
	s_delay_alu instid0(VALU_DEP_1) | instskip(SKIP_1) | instid1(VALU_DEP_2)
	v_mov_b32_e32 v109, v105
	v_pk_mul_f32 v[104:105], v[106:107], v[96:97] op_sel:[0,1]
	v_pk_add_f32 v[62:63], v[62:63], v[108:109] neg_lo:[0,1] neg_hi:[0,1]
	s_delay_alu instid0(VALU_DEP_2) | instskip(SKIP_1) | instid1(VALU_DEP_1)
	v_pk_fma_f32 v[108:109], v[106:107], v[94:95], v[104:105] op_sel:[0,0,1] op_sel_hi:[1,1,0] neg_lo:[0,0,1] neg_hi:[0,0,1]
	v_pk_fma_f32 v[104:105], v[106:107], v[94:95], v[104:105] op_sel:[0,0,1] op_sel_hi:[1,0,0]
	v_mov_b32_e32 v109, v105
	ds_load_2addr_b64 v[104:107], v98 offset0:12 offset1:13
	v_pk_add_f32 v[18:19], v[18:19], v[108:109] neg_lo:[0,1] neg_hi:[0,1]
	s_wait_dscnt 0x0
	v_pk_mul_f32 v[108:109], v[104:105], v[96:97] op_sel:[0,1]
	s_delay_alu instid0(VALU_DEP_1) | instskip(SKIP_1) | instid1(VALU_DEP_1)
	v_pk_fma_f32 v[110:111], v[104:105], v[94:95], v[108:109] op_sel:[0,0,1] op_sel_hi:[1,1,0] neg_lo:[0,0,1] neg_hi:[0,0,1]
	v_pk_fma_f32 v[104:105], v[104:105], v[94:95], v[108:109] op_sel:[0,0,1] op_sel_hi:[1,0,0]
	v_mov_b32_e32 v111, v105
	v_pk_mul_f32 v[104:105], v[106:107], v[96:97] op_sel:[0,1]
	s_delay_alu instid0(VALU_DEP_2) | instskip(NEXT) | instid1(VALU_DEP_2)
	v_pk_add_f32 v[82:83], v[82:83], v[110:111] neg_lo:[0,1] neg_hi:[0,1]
	v_pk_fma_f32 v[108:109], v[106:107], v[94:95], v[104:105] op_sel:[0,0,1] op_sel_hi:[1,1,0] neg_lo:[0,0,1] neg_hi:[0,0,1]
	v_pk_fma_f32 v[104:105], v[106:107], v[94:95], v[104:105] op_sel:[0,0,1] op_sel_hi:[1,0,0]
	s_delay_alu instid0(VALU_DEP_1) | instskip(SKIP_4) | instid1(VALU_DEP_1)
	v_mov_b32_e32 v109, v105
	ds_load_2addr_b64 v[104:107], v98 offset0:14 offset1:15
	v_pk_add_f32 v[78:79], v[78:79], v[108:109] neg_lo:[0,1] neg_hi:[0,1]
	s_wait_dscnt 0x0
	v_pk_mul_f32 v[108:109], v[104:105], v[96:97] op_sel:[0,1]
	v_pk_fma_f32 v[110:111], v[104:105], v[94:95], v[108:109] op_sel:[0,0,1] op_sel_hi:[1,1,0] neg_lo:[0,0,1] neg_hi:[0,0,1]
	v_pk_fma_f32 v[104:105], v[104:105], v[94:95], v[108:109] op_sel:[0,0,1] op_sel_hi:[1,0,0]
	v_dual_mul_f32 v108, v107, v97 :: v_dual_mov_b32 v104, v107
	s_delay_alu instid0(VALU_DEP_2) | instskip(NEXT) | instid1(VALU_DEP_2)
	v_dual_mov_b32 v111, v105 :: v_dual_mov_b32 v105, v106
	v_pk_fma_f32 v[108:109], v[106:107], v[90:91], v[108:109] op_sel_hi:[1,1,0] neg_lo:[0,0,1] neg_hi:[0,0,1]
	v_mul_f32_e32 v106, v107, v94
	s_delay_alu instid0(VALU_DEP_3) | instskip(NEXT) | instid1(VALU_DEP_2)
	v_pk_add_f32 v[80:81], v[80:81], v[110:111] neg_lo:[0,1] neg_hi:[0,1]
	v_pk_fma_f32 v[104:105], v[104:105], v[90:91], v[106:107] op_sel_hi:[1,1,0]
	s_delay_alu instid0(VALU_DEP_1) | instskip(SKIP_4) | instid1(VALU_DEP_1)
	v_mov_b32_e32 v109, v105
	ds_load_2addr_b64 v[104:107], v98 offset0:16 offset1:17
	v_pk_add_f32 v[26:27], v[26:27], v[108:109] neg_lo:[0,1] neg_hi:[0,1]
	s_wait_dscnt 0x0
	v_pk_mul_f32 v[108:109], v[104:105], v[96:97] op_sel:[0,1]
	v_pk_fma_f32 v[110:111], v[104:105], v[94:95], v[108:109] op_sel:[0,0,1] op_sel_hi:[1,1,0] neg_lo:[0,0,1] neg_hi:[0,0,1]
	v_pk_fma_f32 v[104:105], v[104:105], v[94:95], v[108:109] op_sel:[0,0,1] op_sel_hi:[1,0,0]
	s_delay_alu instid0(VALU_DEP_1) | instskip(SKIP_1) | instid1(VALU_DEP_1)
	v_mov_b32_e32 v111, v105
	v_pk_mul_f32 v[104:105], v[106:107], v[96:97] op_sel:[0,1]
	v_pk_fma_f32 v[108:109], v[106:107], v[94:95], v[104:105] op_sel:[0,0,1] op_sel_hi:[1,1,0] neg_lo:[0,0,1] neg_hi:[0,0,1]
	v_pk_fma_f32 v[104:105], v[106:107], v[94:95], v[104:105] op_sel:[0,0,1] op_sel_hi:[1,0,0]
	s_delay_alu instid0(VALU_DEP_1)
	v_mov_b32_e32 v109, v105
	ds_load_2addr_b64 v[104:107], v98 offset0:18 offset1:19
	v_pk_add_f32 v[76:77], v[76:77], v[110:111] neg_lo:[0,1] neg_hi:[0,1]
	v_pk_add_f32 v[72:73], v[72:73], v[108:109] neg_lo:[0,1] neg_hi:[0,1]
	s_wait_dscnt 0x0
	v_pk_mul_f32 v[108:109], v[104:105], v[96:97] op_sel:[0,1]
	s_delay_alu instid0(VALU_DEP_1) | instskip(SKIP_1) | instid1(VALU_DEP_1)
	v_pk_fma_f32 v[110:111], v[104:105], v[94:95], v[108:109] op_sel:[0,0,1] op_sel_hi:[1,1,0] neg_lo:[0,0,1] neg_hi:[0,0,1]
	v_pk_fma_f32 v[104:105], v[104:105], v[94:95], v[108:109] op_sel:[0,0,1] op_sel_hi:[1,0,0]
	v_mov_b32_e32 v111, v105
	v_pk_mul_f32 v[104:105], v[106:107], v[96:97] op_sel:[0,1]
	s_delay_alu instid0(VALU_DEP_1) | instskip(SKIP_1) | instid1(VALU_DEP_1)
	v_pk_fma_f32 v[108:109], v[106:107], v[94:95], v[104:105] op_sel:[0,0,1] op_sel_hi:[1,1,0] neg_lo:[0,0,1] neg_hi:[0,0,1]
	v_pk_fma_f32 v[104:105], v[106:107], v[94:95], v[104:105] op_sel:[0,0,1] op_sel_hi:[1,0,0]
	v_mov_b32_e32 v109, v105
	ds_load_2addr_b64 v[104:107], v98 offset0:20 offset1:21
	v_pk_add_f32 v[74:75], v[74:75], v[110:111] neg_lo:[0,1] neg_hi:[0,1]
	v_pk_add_f32 v[24:25], v[24:25], v[108:109] neg_lo:[0,1] neg_hi:[0,1]
	s_wait_dscnt 0x0
	v_dual_mul_f32 v108, v105, v97 :: v_dual_mul_f32 v110, v105, v94
	s_delay_alu instid0(VALU_DEP_1) | instskip(NEXT) | instid1(VALU_DEP_2)
	v_pk_fma_f32 v[108:109], v[104:105], v[90:91], v[108:109] op_sel_hi:[1,1,0] neg_lo:[0,0,1] neg_hi:[0,0,1]
	v_pk_fma_f32 v[104:105], v[104:105], v[90:91], v[110:111] op_sel:[1,0,0] op_sel_hi:[0,1,0]
	s_delay_alu instid0(VALU_DEP_1) | instskip(SKIP_1) | instid1(VALU_DEP_2)
	v_mov_b32_e32 v109, v105
	v_pk_mul_f32 v[104:105], v[106:107], v[96:97] op_sel:[0,1]
	v_pk_add_f32 v[70:71], v[70:71], v[108:109] neg_lo:[0,1] neg_hi:[0,1]
	s_delay_alu instid0(VALU_DEP_2) | instskip(SKIP_1) | instid1(VALU_DEP_1)
	v_pk_fma_f32 v[108:109], v[106:107], v[94:95], v[104:105] op_sel:[0,0,1] op_sel_hi:[1,1,0] neg_lo:[0,0,1] neg_hi:[0,0,1]
	v_pk_fma_f32 v[104:105], v[106:107], v[94:95], v[104:105] op_sel:[0,0,1] op_sel_hi:[1,0,0]
	v_mov_b32_e32 v109, v105
	ds_load_2addr_b64 v[104:107], v98 offset0:22 offset1:23
	v_pk_add_f32 v[66:67], v[66:67], v[108:109] neg_lo:[0,1] neg_hi:[0,1]
	s_wait_dscnt 0x0
	v_pk_mul_f32 v[108:109], v[104:105], v[96:97] op_sel:[0,1]
	s_delay_alu instid0(VALU_DEP_1) | instskip(SKIP_1) | instid1(VALU_DEP_1)
	v_pk_fma_f32 v[110:111], v[104:105], v[94:95], v[108:109] op_sel:[0,0,1] op_sel_hi:[1,1,0] neg_lo:[0,0,1] neg_hi:[0,0,1]
	v_pk_fma_f32 v[104:105], v[104:105], v[94:95], v[108:109] op_sel:[0,0,1] op_sel_hi:[1,0,0]
	v_mov_b32_e32 v111, v105
	v_pk_mul_f32 v[104:105], v[106:107], v[96:97] op_sel:[0,1]
	s_delay_alu instid0(VALU_DEP_2) | instskip(NEXT) | instid1(VALU_DEP_2)
	v_pk_add_f32 v[68:69], v[68:69], v[110:111] neg_lo:[0,1] neg_hi:[0,1]
	v_pk_fma_f32 v[108:109], v[106:107], v[94:95], v[104:105] op_sel:[0,0,1] op_sel_hi:[1,1,0] neg_lo:[0,0,1] neg_hi:[0,0,1]
	v_pk_fma_f32 v[104:105], v[106:107], v[94:95], v[104:105] op_sel:[0,0,1] op_sel_hi:[1,0,0]
	s_delay_alu instid0(VALU_DEP_1) | instskip(SKIP_4) | instid1(VALU_DEP_1)
	v_mov_b32_e32 v109, v105
	ds_load_2addr_b64 v[104:107], v98 offset0:24 offset1:25
	v_pk_add_f32 v[22:23], v[22:23], v[108:109] neg_lo:[0,1] neg_hi:[0,1]
	s_wait_dscnt 0x0
	v_pk_mul_f32 v[108:109], v[104:105], v[96:97] op_sel:[0,1]
	v_pk_fma_f32 v[110:111], v[104:105], v[94:95], v[108:109] op_sel:[0,0,1] op_sel_hi:[1,1,0] neg_lo:[0,0,1] neg_hi:[0,0,1]
	v_pk_fma_f32 v[104:105], v[104:105], v[94:95], v[108:109] op_sel:[0,0,1] op_sel_hi:[1,0,0]
	v_dual_mul_f32 v108, v107, v97 :: v_dual_mov_b32 v104, v107
	s_delay_alu instid0(VALU_DEP_2) | instskip(NEXT) | instid1(VALU_DEP_2)
	v_dual_mov_b32 v111, v105 :: v_dual_mov_b32 v105, v106
	v_pk_fma_f32 v[108:109], v[106:107], v[90:91], v[108:109] op_sel_hi:[1,1,0] neg_lo:[0,0,1] neg_hi:[0,0,1]
	v_mul_f32_e32 v106, v107, v94
	s_delay_alu instid0(VALU_DEP_3) | instskip(NEXT) | instid1(VALU_DEP_2)
	v_pk_add_f32 v[54:55], v[54:55], v[110:111] neg_lo:[0,1] neg_hi:[0,1]
	v_pk_fma_f32 v[104:105], v[104:105], v[90:91], v[106:107] op_sel_hi:[1,1,0]
	s_delay_alu instid0(VALU_DEP_1) | instskip(SKIP_4) | instid1(VALU_DEP_1)
	v_mov_b32_e32 v109, v105
	ds_load_2addr_b64 v[104:107], v98 offset0:26 offset1:27
	v_pk_add_f32 v[48:49], v[48:49], v[108:109] neg_lo:[0,1] neg_hi:[0,1]
	s_wait_dscnt 0x0
	v_pk_mul_f32 v[108:109], v[104:105], v[96:97] op_sel:[0,1]
	v_pk_fma_f32 v[110:111], v[104:105], v[94:95], v[108:109] op_sel:[0,0,1] op_sel_hi:[1,1,0] neg_lo:[0,0,1] neg_hi:[0,0,1]
	v_pk_fma_f32 v[104:105], v[104:105], v[94:95], v[108:109] op_sel:[0,0,1] op_sel_hi:[1,0,0]
	s_delay_alu instid0(VALU_DEP_1) | instskip(SKIP_1) | instid1(VALU_DEP_1)
	v_mov_b32_e32 v111, v105
	v_pk_mul_f32 v[104:105], v[106:107], v[96:97] op_sel:[0,1]
	v_pk_fma_f32 v[108:109], v[106:107], v[94:95], v[104:105] op_sel:[0,0,1] op_sel_hi:[1,1,0] neg_lo:[0,0,1] neg_hi:[0,0,1]
	v_pk_fma_f32 v[104:105], v[106:107], v[94:95], v[104:105] op_sel:[0,0,1] op_sel_hi:[1,0,0]
	s_delay_alu instid0(VALU_DEP_1)
	v_mov_b32_e32 v109, v105
	ds_load_2addr_b64 v[104:107], v98 offset0:28 offset1:29
	v_pk_add_f32 v[52:53], v[52:53], v[110:111] neg_lo:[0,1] neg_hi:[0,1]
	v_pk_add_f32 v[12:13], v[12:13], v[108:109] neg_lo:[0,1] neg_hi:[0,1]
	s_wait_dscnt 0x0
	v_pk_mul_f32 v[108:109], v[104:105], v[96:97] op_sel:[0,1]
	s_delay_alu instid0(VALU_DEP_1) | instskip(SKIP_1) | instid1(VALU_DEP_1)
	v_pk_fma_f32 v[110:111], v[104:105], v[94:95], v[108:109] op_sel:[0,0,1] op_sel_hi:[1,1,0] neg_lo:[0,0,1] neg_hi:[0,0,1]
	v_pk_fma_f32 v[104:105], v[104:105], v[94:95], v[108:109] op_sel:[0,0,1] op_sel_hi:[1,0,0]
	v_mov_b32_e32 v111, v105
	v_pk_mul_f32 v[104:105], v[106:107], v[96:97] op_sel:[0,1]
	s_delay_alu instid0(VALU_DEP_1) | instskip(SKIP_1) | instid1(VALU_DEP_1)
	v_pk_fma_f32 v[108:109], v[106:107], v[94:95], v[104:105] op_sel:[0,0,1] op_sel_hi:[1,1,0] neg_lo:[0,0,1] neg_hi:[0,0,1]
	v_pk_fma_f32 v[104:105], v[106:107], v[94:95], v[104:105] op_sel:[0,0,1] op_sel_hi:[1,0,0]
	v_mov_b32_e32 v109, v105
	ds_load_2addr_b64 v[104:107], v98 offset0:30 offset1:31
	v_pk_add_f32 v[46:47], v[46:47], v[110:111] neg_lo:[0,1] neg_hi:[0,1]
	v_pk_add_f32 v[42:43], v[42:43], v[108:109] neg_lo:[0,1] neg_hi:[0,1]
	s_wait_dscnt 0x0
	v_dual_mul_f32 v108, v105, v97 :: v_dual_mul_f32 v110, v105, v94
	s_delay_alu instid0(VALU_DEP_1) | instskip(NEXT) | instid1(VALU_DEP_2)
	v_pk_fma_f32 v[108:109], v[104:105], v[90:91], v[108:109] op_sel_hi:[1,1,0] neg_lo:[0,0,1] neg_hi:[0,0,1]
	v_pk_fma_f32 v[104:105], v[104:105], v[90:91], v[110:111] op_sel:[1,0,0] op_sel_hi:[0,1,0]
	s_delay_alu instid0(VALU_DEP_1) | instskip(SKIP_1) | instid1(VALU_DEP_2)
	v_mov_b32_e32 v109, v105
	v_pk_mul_f32 v[104:105], v[106:107], v[96:97] op_sel:[0,1]
	v_pk_add_f32 v[44:45], v[44:45], v[108:109] neg_lo:[0,1] neg_hi:[0,1]
	s_delay_alu instid0(VALU_DEP_2) | instskip(SKIP_1) | instid1(VALU_DEP_1)
	v_pk_fma_f32 v[108:109], v[106:107], v[94:95], v[104:105] op_sel:[0,0,1] op_sel_hi:[1,1,0] neg_lo:[0,0,1] neg_hi:[0,0,1]
	v_pk_fma_f32 v[104:105], v[106:107], v[94:95], v[104:105] op_sel:[0,0,1] op_sel_hi:[1,0,0]
	v_mov_b32_e32 v109, v105
	ds_load_2addr_b64 v[104:107], v98 offset0:32 offset1:33
	v_pk_add_f32 v[10:11], v[10:11], v[108:109] neg_lo:[0,1] neg_hi:[0,1]
	s_wait_dscnt 0x0
	v_pk_mul_f32 v[108:109], v[104:105], v[96:97] op_sel:[0,1]
	s_delay_alu instid0(VALU_DEP_1) | instskip(SKIP_1) | instid1(VALU_DEP_1)
	v_pk_fma_f32 v[110:111], v[104:105], v[94:95], v[108:109] op_sel:[0,0,1] op_sel_hi:[1,1,0] neg_lo:[0,0,1] neg_hi:[0,0,1]
	v_pk_fma_f32 v[104:105], v[104:105], v[94:95], v[108:109] op_sel:[0,0,1] op_sel_hi:[1,0,0]
	v_mov_b32_e32 v111, v105
	v_pk_mul_f32 v[104:105], v[106:107], v[96:97] op_sel:[0,1]
	s_delay_alu instid0(VALU_DEP_2) | instskip(NEXT) | instid1(VALU_DEP_2)
	v_pk_add_f32 v[40:41], v[40:41], v[110:111] neg_lo:[0,1] neg_hi:[0,1]
	v_pk_fma_f32 v[108:109], v[106:107], v[94:95], v[104:105] op_sel:[0,0,1] op_sel_hi:[1,1,0] neg_lo:[0,0,1] neg_hi:[0,0,1]
	v_pk_fma_f32 v[104:105], v[106:107], v[94:95], v[104:105] op_sel:[0,0,1] op_sel_hi:[1,0,0]
	s_delay_alu instid0(VALU_DEP_1) | instskip(SKIP_4) | instid1(VALU_DEP_1)
	v_mov_b32_e32 v109, v105
	ds_load_2addr_b64 v[104:107], v98 offset0:34 offset1:35
	v_pk_add_f32 v[36:37], v[36:37], v[108:109] neg_lo:[0,1] neg_hi:[0,1]
	s_wait_dscnt 0x0
	v_pk_mul_f32 v[108:109], v[104:105], v[96:97] op_sel:[0,1]
	v_pk_fma_f32 v[110:111], v[104:105], v[94:95], v[108:109] op_sel:[0,0,1] op_sel_hi:[1,1,0] neg_lo:[0,0,1] neg_hi:[0,0,1]
	v_pk_fma_f32 v[104:105], v[104:105], v[94:95], v[108:109] op_sel:[0,0,1] op_sel_hi:[1,0,0]
	v_dual_mul_f32 v108, v107, v97 :: v_dual_mov_b32 v104, v107
	s_delay_alu instid0(VALU_DEP_2) | instskip(NEXT) | instid1(VALU_DEP_2)
	v_dual_mov_b32 v111, v105 :: v_dual_mov_b32 v105, v106
	v_pk_fma_f32 v[108:109], v[106:107], v[90:91], v[108:109] op_sel_hi:[1,1,0] neg_lo:[0,0,1] neg_hi:[0,0,1]
	v_mul_f32_e32 v106, v107, v94
	s_delay_alu instid0(VALU_DEP_3) | instskip(NEXT) | instid1(VALU_DEP_2)
	v_pk_add_f32 v[38:39], v[38:39], v[110:111] neg_lo:[0,1] neg_hi:[0,1]
	v_pk_fma_f32 v[104:105], v[104:105], v[90:91], v[106:107] op_sel_hi:[1,1,0]
	s_delay_alu instid0(VALU_DEP_1) | instskip(SKIP_4) | instid1(VALU_DEP_1)
	v_mov_b32_e32 v109, v105
	ds_load_2addr_b64 v[104:107], v98 offset0:36 offset1:37
	v_pk_add_f32 v[6:7], v[6:7], v[108:109] neg_lo:[0,1] neg_hi:[0,1]
	s_wait_dscnt 0x0
	v_pk_mul_f32 v[108:109], v[104:105], v[96:97] op_sel:[0,1]
	v_pk_fma_f32 v[110:111], v[104:105], v[94:95], v[108:109] op_sel:[0,0,1] op_sel_hi:[1,1,0] neg_lo:[0,0,1] neg_hi:[0,0,1]
	v_pk_fma_f32 v[104:105], v[104:105], v[94:95], v[108:109] op_sel:[0,0,1] op_sel_hi:[1,0,0]
	s_delay_alu instid0(VALU_DEP_1) | instskip(SKIP_1) | instid1(VALU_DEP_1)
	v_mov_b32_e32 v111, v105
	v_pk_mul_f32 v[104:105], v[106:107], v[96:97] op_sel:[0,1]
	v_pk_fma_f32 v[108:109], v[106:107], v[94:95], v[104:105] op_sel:[0,0,1] op_sel_hi:[1,1,0] neg_lo:[0,0,1] neg_hi:[0,0,1]
	v_pk_fma_f32 v[104:105], v[106:107], v[94:95], v[104:105] op_sel:[0,0,1] op_sel_hi:[1,0,0]
	s_delay_alu instid0(VALU_DEP_1)
	v_mov_b32_e32 v109, v105
	ds_load_2addr_b64 v[104:107], v98 offset0:38 offset1:39
	v_pk_add_f32 v[34:35], v[34:35], v[110:111] neg_lo:[0,1] neg_hi:[0,1]
	v_pk_add_f32 v[30:31], v[30:31], v[108:109] neg_lo:[0,1] neg_hi:[0,1]
	s_wait_dscnt 0x0
	v_pk_mul_f32 v[108:109], v[104:105], v[96:97] op_sel:[0,1]
	s_delay_alu instid0(VALU_DEP_1) | instskip(SKIP_1) | instid1(VALU_DEP_1)
	v_pk_fma_f32 v[110:111], v[104:105], v[94:95], v[108:109] op_sel:[0,0,1] op_sel_hi:[1,1,0] neg_lo:[0,0,1] neg_hi:[0,0,1]
	v_pk_fma_f32 v[104:105], v[104:105], v[94:95], v[108:109] op_sel:[0,0,1] op_sel_hi:[1,0,0]
	v_mov_b32_e32 v111, v105
	v_pk_mul_f32 v[104:105], v[106:107], v[96:97] op_sel:[0,1]
	s_delay_alu instid0(VALU_DEP_1) | instskip(SKIP_1) | instid1(VALU_DEP_1)
	v_pk_fma_f32 v[108:109], v[106:107], v[94:95], v[104:105] op_sel:[0,0,1] op_sel_hi:[1,1,0] neg_lo:[0,0,1] neg_hi:[0,0,1]
	v_pk_fma_f32 v[104:105], v[106:107], v[94:95], v[104:105] op_sel:[0,0,1] op_sel_hi:[1,0,0]
	v_mov_b32_e32 v109, v105
	ds_load_2addr_b64 v[104:107], v98 offset0:40 offset1:41
	v_pk_add_f32 v[32:33], v[32:33], v[110:111] neg_lo:[0,1] neg_hi:[0,1]
	v_pk_add_f32 v[8:9], v[8:9], v[108:109] neg_lo:[0,1] neg_hi:[0,1]
	s_wait_dscnt 0x0
	v_dual_mul_f32 v108, v105, v97 :: v_dual_mul_f32 v110, v105, v94
	s_delay_alu instid0(VALU_DEP_1) | instskip(NEXT) | instid1(VALU_DEP_2)
	v_pk_fma_f32 v[108:109], v[104:105], v[90:91], v[108:109] op_sel_hi:[1,1,0] neg_lo:[0,0,1] neg_hi:[0,0,1]
	v_pk_fma_f32 v[104:105], v[104:105], v[90:91], v[110:111] op_sel:[1,0,0] op_sel_hi:[0,1,0]
	s_delay_alu instid0(VALU_DEP_1) | instskip(SKIP_1) | instid1(VALU_DEP_2)
	v_mov_b32_e32 v109, v105
	v_pk_mul_f32 v[104:105], v[106:107], v[96:97] op_sel:[0,1]
	v_pk_add_f32 v[28:29], v[28:29], v[108:109] neg_lo:[0,1] neg_hi:[0,1]
	s_delay_alu instid0(VALU_DEP_2) | instskip(SKIP_1) | instid1(VALU_DEP_1)
	v_pk_fma_f32 v[108:109], v[106:107], v[94:95], v[104:105] op_sel:[0,0,1] op_sel_hi:[1,1,0] neg_lo:[0,0,1] neg_hi:[0,0,1]
	v_pk_fma_f32 v[104:105], v[106:107], v[94:95], v[104:105] op_sel:[0,0,1] op_sel_hi:[1,0,0]
	v_mov_b32_e32 v109, v105
	ds_load_2addr_b64 v[104:107], v98 offset0:42 offset1:43
	v_pk_add_f32 v[20:21], v[20:21], v[108:109] neg_lo:[0,1] neg_hi:[0,1]
	s_wait_dscnt 0x0
	v_pk_mul_f32 v[108:109], v[104:105], v[96:97] op_sel:[0,1]
	v_mul_f32_e32 v96, v107, v97
	s_delay_alu instid0(VALU_DEP_2) | instskip(SKIP_2) | instid1(VALU_DEP_4)
	v_pk_fma_f32 v[110:111], v[104:105], v[94:95], v[108:109] op_sel:[0,0,1] op_sel_hi:[1,1,0] neg_lo:[0,0,1] neg_hi:[0,0,1]
	v_pk_fma_f32 v[104:105], v[104:105], v[94:95], v[108:109] op_sel:[0,0,1] op_sel_hi:[1,0,0]
	v_dual_mov_b32 v104, v107 :: v_dual_mul_f32 v94, v107, v94
	v_pk_fma_f32 v[96:97], v[106:107], v[90:91], v[96:97] op_sel_hi:[1,1,0] neg_lo:[0,0,1] neg_hi:[0,0,1]
	s_delay_alu instid0(VALU_DEP_3) | instskip(NEXT) | instid1(VALU_DEP_1)
	v_dual_mov_b32 v111, v105 :: v_dual_mov_b32 v105, v106
	v_pk_add_f32 v[16:17], v[16:17], v[110:111] neg_lo:[0,1] neg_hi:[0,1]
	s_delay_alu instid0(VALU_DEP_2) | instskip(NEXT) | instid1(VALU_DEP_1)
	v_pk_fma_f32 v[94:95], v[104:105], v[90:91], v[94:95] op_sel_hi:[1,1,0]
	v_mov_b32_e32 v97, v95
	s_delay_alu instid0(VALU_DEP_1)
	v_pk_add_f32 v[92:93], v[92:93], v[96:97] neg_lo:[0,1] neg_hi:[0,1]
.LBB86_41:
	s_or_b32 exec_lo, exec_lo, s0
	v_lshl_add_u32 v94, v102, 3, v98
	s_barrier_signal -1
	s_barrier_wait -1
	ds_store_b64 v94, v[86:87]
	s_wait_dscnt 0x0
	s_barrier_signal -1
	s_barrier_wait -1
	ds_load_b64 v[96:97], v98 offset:16
	v_mov_b32_e32 v94, 2
	s_cmp_lt_i32 s18, 4
	s_mov_b32 s0, 3
	s_cbranch_scc1 .LBB86_44
; %bb.42:
	v_add3_u32 v95, v99, 0, 24
	v_mov_b32_e32 v94, 2
.LBB86_43:                              ; =>This Inner Loop Header: Depth=1
	ds_load_b64 v[104:105], v95
	s_wait_dscnt 0x1
	v_cmp_gt_f32_e32 vcc_lo, 0, v96
	v_cndmask_b32_e64 v106, v96, -v96, vcc_lo
	v_cmp_gt_f32_e32 vcc_lo, 0, v97
	v_cndmask_b32_e64 v108, v97, -v97, vcc_lo
	s_wait_dscnt 0x0
	v_cmp_gt_f32_e32 vcc_lo, 0, v104
	v_cndmask_b32_e64 v107, v104, -v104, vcc_lo
	v_cmp_gt_f32_e32 vcc_lo, 0, v105
	v_cndmask_b32_e64 v109, v105, -v105, vcc_lo
	s_delay_alu instid0(VALU_DEP_1) | instskip(NEXT) | instid1(VALU_DEP_1)
	v_pk_add_f32 v[106:107], v[106:107], v[108:109]
	v_cmp_lt_f32_e32 vcc_lo, v106, v107
	v_dual_add_nc_u32 v95, 8, v95 :: v_dual_cndmask_b32 v97, v97, v105, vcc_lo
	v_cndmask_b32_e32 v96, v96, v104, vcc_lo
	v_cndmask_b32_e64 v94, v94, s0, vcc_lo
	s_add_co_i32 s0, s0, 1
	s_delay_alu instid0(SALU_CYCLE_1)
	s_cmp_lg_u32 s18, s0
	s_cbranch_scc1 .LBB86_43
.LBB86_44:
	s_wait_dscnt 0x0
	v_cmp_eq_f32_e32 vcc_lo, 0, v96
	v_cmp_eq_f32_e64 s0, 0, v97
	s_and_b32 s0, vcc_lo, s0
	s_delay_alu instid0(SALU_CYCLE_1) | instskip(NEXT) | instid1(SALU_CYCLE_1)
	s_and_saveexec_b32 s1, s0
	s_xor_b32 s0, exec_lo, s1
; %bb.45:
	v_cmp_ne_u32_e32 vcc_lo, 0, v100
	v_cndmask_b32_e32 v100, 3, v100, vcc_lo
; %bb.46:
	s_and_not1_saveexec_b32 s0, s0
	s_cbranch_execz .LBB86_52
; %bb.47:
	v_cmp_ngt_f32_e64 s1, |v96|, |v97|
	s_and_saveexec_b32 s12, s1
	s_delay_alu instid0(SALU_CYCLE_1)
	s_xor_b32 s1, exec_lo, s12
	s_cbranch_execz .LBB86_49
; %bb.48:
	v_div_scale_f32 v95, null, v97, v97, v96
	v_div_scale_f32 v105, vcc_lo, v96, v97, v96
	s_delay_alu instid0(VALU_DEP_2) | instskip(SKIP_1) | instid1(TRANS32_DEP_1)
	v_rcp_f32_e32 v103, v95
	v_nop
	v_fma_f32 v104, -v95, v103, 1.0
	s_delay_alu instid0(VALU_DEP_1) | instskip(NEXT) | instid1(VALU_DEP_1)
	v_fmac_f32_e32 v103, v104, v103
	v_mul_f32_e32 v104, v105, v103
	s_delay_alu instid0(VALU_DEP_1) | instskip(NEXT) | instid1(VALU_DEP_1)
	v_fma_f32 v106, -v95, v104, v105
	v_fmac_f32_e32 v104, v106, v103
	s_delay_alu instid0(VALU_DEP_1) | instskip(NEXT) | instid1(VALU_DEP_1)
	v_fma_f32 v95, -v95, v104, v105
	v_div_fmas_f32 v95, v95, v103, v104
	s_delay_alu instid0(VALU_DEP_1) | instskip(NEXT) | instid1(VALU_DEP_1)
	v_div_fixup_f32 v95, v95, v97, v96
	v_fmac_f32_e32 v97, v96, v95
	s_delay_alu instid0(VALU_DEP_1) | instskip(SKIP_1) | instid1(VALU_DEP_2)
	v_div_scale_f32 v96, null, v97, v97, 1.0
	v_div_scale_f32 v105, vcc_lo, 1.0, v97, 1.0
	v_rcp_f32_e32 v103, v96
	v_nop
	s_delay_alu instid0(TRANS32_DEP_1) | instskip(NEXT) | instid1(VALU_DEP_1)
	v_fma_f32 v104, -v96, v103, 1.0
	v_fmac_f32_e32 v103, v104, v103
	s_delay_alu instid0(VALU_DEP_1) | instskip(NEXT) | instid1(VALU_DEP_1)
	v_mul_f32_e32 v104, v105, v103
	v_fma_f32 v106, -v96, v104, v105
	s_delay_alu instid0(VALU_DEP_1) | instskip(NEXT) | instid1(VALU_DEP_1)
	v_fmac_f32_e32 v104, v106, v103
	v_fma_f32 v96, -v96, v104, v105
	s_delay_alu instid0(VALU_DEP_1) | instskip(NEXT) | instid1(VALU_DEP_1)
	v_div_fmas_f32 v96, v96, v103, v104
	v_div_fixup_f32 v97, v96, v97, 1.0
	s_delay_alu instid0(VALU_DEP_1)
	v_mul_f32_e32 v96, v95, v97
	v_xor_b32_e32 v97, 0x80000000, v97
.LBB86_49:
	s_and_not1_saveexec_b32 s1, s1
	s_cbranch_execz .LBB86_51
; %bb.50:
	s_delay_alu instid0(VALU_DEP_1) | instskip(SKIP_1) | instid1(VALU_DEP_2)
	v_div_scale_f32 v95, null, v96, v96, v97
	v_div_scale_f32 v105, vcc_lo, v97, v96, v97
	v_rcp_f32_e32 v103, v95
	v_nop
	s_delay_alu instid0(TRANS32_DEP_1) | instskip(NEXT) | instid1(VALU_DEP_1)
	v_fma_f32 v104, -v95, v103, 1.0
	v_fmac_f32_e32 v103, v104, v103
	s_delay_alu instid0(VALU_DEP_1) | instskip(NEXT) | instid1(VALU_DEP_1)
	v_mul_f32_e32 v104, v105, v103
	v_fma_f32 v106, -v95, v104, v105
	s_delay_alu instid0(VALU_DEP_1) | instskip(NEXT) | instid1(VALU_DEP_1)
	v_fmac_f32_e32 v104, v106, v103
	v_fma_f32 v95, -v95, v104, v105
	s_delay_alu instid0(VALU_DEP_1) | instskip(NEXT) | instid1(VALU_DEP_1)
	v_div_fmas_f32 v95, v95, v103, v104
	v_div_fixup_f32 v95, v95, v96, v97
	s_delay_alu instid0(VALU_DEP_1) | instskip(NEXT) | instid1(VALU_DEP_1)
	v_fmac_f32_e32 v96, v97, v95
	v_div_scale_f32 v97, null, v96, v96, 1.0
	s_delay_alu instid0(VALU_DEP_1) | instskip(SKIP_1) | instid1(TRANS32_DEP_1)
	v_rcp_f32_e32 v103, v97
	v_nop
	v_fma_f32 v104, -v97, v103, 1.0
	s_delay_alu instid0(VALU_DEP_1) | instskip(SKIP_1) | instid1(VALU_DEP_1)
	v_fmac_f32_e32 v103, v104, v103
	v_div_scale_f32 v104, vcc_lo, 1.0, v96, 1.0
	v_mul_f32_e32 v105, v104, v103
	s_delay_alu instid0(VALU_DEP_1) | instskip(NEXT) | instid1(VALU_DEP_1)
	v_fma_f32 v106, -v97, v105, v104
	v_fmac_f32_e32 v105, v106, v103
	s_delay_alu instid0(VALU_DEP_1) | instskip(NEXT) | instid1(VALU_DEP_1)
	v_fma_f32 v97, -v97, v105, v104
	v_div_fmas_f32 v97, v97, v103, v105
	s_delay_alu instid0(VALU_DEP_1) | instskip(NEXT) | instid1(VALU_DEP_1)
	v_div_fixup_f32 v96, v97, v96, 1.0
	v_mul_f32_e64 v97, v95, -v96
.LBB86_51:
	s_or_b32 exec_lo, exec_lo, s1
.LBB86_52:
	s_delay_alu instid0(SALU_CYCLE_1) | instskip(NEXT) | instid1(SALU_CYCLE_1)
	s_or_b32 exec_lo, exec_lo, s0
	s_mov_b32 s0, exec_lo
	v_cmpx_ne_u32_e64 v102, v94
	s_xor_b32 s0, exec_lo, s0
	s_cbranch_execz .LBB86_58
; %bb.53:
	s_mov_b32 s1, exec_lo
	v_cmpx_eq_u32_e32 2, v102
	s_cbranch_execz .LBB86_57
; %bb.54:
	v_cmp_ne_u32_e32 vcc_lo, 2, v94
	s_xor_b32 s12, s16, -1
	s_delay_alu instid0(SALU_CYCLE_1) | instskip(NEXT) | instid1(SALU_CYCLE_1)
	s_and_b32 s13, s12, vcc_lo
	s_and_saveexec_b32 s12, s13
	s_cbranch_execz .LBB86_56
; %bb.55:
	v_ashrrev_i32_e32 v95, 31, v94
	s_delay_alu instid0(VALU_DEP_1)
	v_lshl_add_u64 v[102:103], v[94:95], 2, v[4:5]
	s_clause 0x1
	global_load_b32 v95, v[102:103], off
	global_load_b32 v101, v[4:5], off offset:8
	s_wait_loadcnt 0x1
	global_store_b32 v[4:5], v95, off offset:8
	s_wait_loadcnt 0x0
	global_store_b32 v[102:103], v101, off
.LBB86_56:
	s_wait_xcnt 0x0
	s_or_b32 exec_lo, exec_lo, s12
	v_dual_mov_b32 v102, v94 :: v_dual_mov_b32 v101, v94
.LBB86_57:
	s_or_b32 exec_lo, exec_lo, s1
.LBB86_58:
	s_and_not1_saveexec_b32 s0, s0
	s_cbranch_execz .LBB86_60
; %bb.59:
	v_mov_b32_e32 v102, 2
	ds_store_2addr_b64 v98, v[84:85], v[58:59] offset0:3 offset1:4
	ds_store_2addr_b64 v98, v[50:51], v[56:57] offset0:5 offset1:6
	;; [unrolled: 1-line block ×20, first 2 shown]
	ds_store_b64 v98, v[92:93] offset:344
.LBB86_60:
	s_or_b32 exec_lo, exec_lo, s0
	s_delay_alu instid0(SALU_CYCLE_1)
	s_mov_b32 s0, exec_lo
	s_wait_storecnt_dscnt 0x0
	s_barrier_signal -1
	s_barrier_wait -1
	v_cmpx_lt_i32_e32 2, v102
	s_cbranch_execz .LBB86_62
; %bb.61:
	v_pk_mul_f32 v[104:105], v[96:97], v[86:87] op_sel:[1,1] op_sel_hi:[0,1]
	s_delay_alu instid0(VALU_DEP_1)
	v_pk_fma_f32 v[94:95], v[96:97], v[86:87], v[104:105] op_sel_hi:[1,0,1] neg_lo:[0,0,1] neg_hi:[0,0,1]
	v_pk_fma_f32 v[96:97], v[96:97], v[86:87], v[104:105] op_sel_hi:[1,0,1]
	ds_load_2addr_b64 v[104:107], v98 offset0:3 offset1:4
	v_dual_mov_b32 v86, v94 :: v_dual_mov_b32 v87, v97
	s_wait_dscnt 0x0
	v_pk_mul_f32 v[108:109], v[104:105], v[96:97] op_sel:[0,1]
	s_delay_alu instid0(VALU_DEP_1) | instskip(SKIP_1) | instid1(VALU_DEP_1)
	v_pk_fma_f32 v[110:111], v[104:105], v[94:95], v[108:109] op_sel:[0,0,1] op_sel_hi:[1,1,0] neg_lo:[0,0,1] neg_hi:[0,0,1]
	v_pk_fma_f32 v[104:105], v[104:105], v[94:95], v[108:109] op_sel:[0,0,1] op_sel_hi:[1,0,0]
	v_mov_b32_e32 v111, v105
	v_pk_mul_f32 v[104:105], v[106:107], v[96:97] op_sel:[0,1]
	s_delay_alu instid0(VALU_DEP_1) | instskip(SKIP_1) | instid1(VALU_DEP_1)
	v_pk_fma_f32 v[108:109], v[106:107], v[94:95], v[104:105] op_sel:[0,0,1] op_sel_hi:[1,1,0] neg_lo:[0,0,1] neg_hi:[0,0,1]
	v_pk_fma_f32 v[104:105], v[106:107], v[94:95], v[104:105] op_sel:[0,0,1] op_sel_hi:[1,0,0]
	v_mov_b32_e32 v109, v105
	ds_load_2addr_b64 v[104:107], v98 offset0:5 offset1:6
	v_pk_add_f32 v[84:85], v[84:85], v[110:111] neg_lo:[0,1] neg_hi:[0,1]
	v_pk_add_f32 v[58:59], v[58:59], v[108:109] neg_lo:[0,1] neg_hi:[0,1]
	s_wait_dscnt 0x0
	v_pk_mul_f32 v[108:109], v[104:105], v[96:97] op_sel:[0,1]
	s_delay_alu instid0(VALU_DEP_1) | instskip(SKIP_2) | instid1(VALU_DEP_2)
	v_pk_fma_f32 v[110:111], v[104:105], v[94:95], v[108:109] op_sel:[0,0,1] op_sel_hi:[1,1,0] neg_lo:[0,0,1] neg_hi:[0,0,1]
	v_pk_fma_f32 v[104:105], v[104:105], v[94:95], v[108:109] op_sel:[0,0,1] op_sel_hi:[1,0,0]
	v_dual_mul_f32 v108, v107, v97 :: v_dual_mov_b32 v104, v107
	v_dual_mov_b32 v111, v105 :: v_dual_mov_b32 v105, v106
	s_delay_alu instid0(VALU_DEP_2) | instskip(SKIP_1) | instid1(VALU_DEP_3)
	v_pk_fma_f32 v[108:109], v[106:107], v[86:87], v[108:109] op_sel_hi:[1,1,0] neg_lo:[0,0,1] neg_hi:[0,0,1]
	v_mul_f32_e32 v106, v107, v94
	v_pk_add_f32 v[50:51], v[50:51], v[110:111] neg_lo:[0,1] neg_hi:[0,1]
	s_delay_alu instid0(VALU_DEP_2) | instskip(NEXT) | instid1(VALU_DEP_1)
	v_pk_fma_f32 v[104:105], v[104:105], v[86:87], v[106:107] op_sel_hi:[1,1,0]
	v_mov_b32_e32 v109, v105
	ds_load_2addr_b64 v[104:107], v98 offset0:7 offset1:8
	v_pk_add_f32 v[56:57], v[56:57], v[108:109] neg_lo:[0,1] neg_hi:[0,1]
	s_wait_dscnt 0x0
	v_pk_mul_f32 v[108:109], v[104:105], v[96:97] op_sel:[0,1]
	s_delay_alu instid0(VALU_DEP_1) | instskip(SKIP_1) | instid1(VALU_DEP_1)
	v_pk_fma_f32 v[110:111], v[104:105], v[94:95], v[108:109] op_sel:[0,0,1] op_sel_hi:[1,1,0] neg_lo:[0,0,1] neg_hi:[0,0,1]
	v_pk_fma_f32 v[104:105], v[104:105], v[94:95], v[108:109] op_sel:[0,0,1] op_sel_hi:[1,0,0]
	v_mov_b32_e32 v111, v105
	v_pk_mul_f32 v[104:105], v[106:107], v[96:97] op_sel:[0,1]
	s_delay_alu instid0(VALU_DEP_1) | instskip(SKIP_1) | instid1(VALU_DEP_1)
	v_pk_fma_f32 v[108:109], v[106:107], v[94:95], v[104:105] op_sel:[0,0,1] op_sel_hi:[1,1,0] neg_lo:[0,0,1] neg_hi:[0,0,1]
	v_pk_fma_f32 v[104:105], v[106:107], v[94:95], v[104:105] op_sel:[0,0,1] op_sel_hi:[1,0,0]
	v_mov_b32_e32 v109, v105
	ds_load_2addr_b64 v[104:107], v98 offset0:9 offset1:10
	v_pk_add_f32 v[14:15], v[14:15], v[110:111] neg_lo:[0,1] neg_hi:[0,1]
	v_pk_add_f32 v[64:65], v[64:65], v[108:109] neg_lo:[0,1] neg_hi:[0,1]
	s_wait_dscnt 0x0
	v_pk_mul_f32 v[108:109], v[104:105], v[96:97] op_sel:[0,1]
	s_delay_alu instid0(VALU_DEP_1) | instskip(SKIP_1) | instid1(VALU_DEP_1)
	v_pk_fma_f32 v[110:111], v[104:105], v[94:95], v[108:109] op_sel:[0,0,1] op_sel_hi:[1,1,0] neg_lo:[0,0,1] neg_hi:[0,0,1]
	v_pk_fma_f32 v[104:105], v[104:105], v[94:95], v[108:109] op_sel:[0,0,1] op_sel_hi:[1,0,0]
	v_mov_b32_e32 v111, v105
	v_pk_mul_f32 v[104:105], v[106:107], v[96:97] op_sel:[0,1]
	s_delay_alu instid0(VALU_DEP_1) | instskip(SKIP_1) | instid1(VALU_DEP_1)
	v_pk_fma_f32 v[108:109], v[106:107], v[94:95], v[104:105] op_sel:[0,0,1] op_sel_hi:[1,1,0] neg_lo:[0,0,1] neg_hi:[0,0,1]
	v_pk_fma_f32 v[104:105], v[106:107], v[94:95], v[104:105] op_sel:[0,0,1] op_sel_hi:[1,0,0]
	v_mov_b32_e32 v109, v105
	ds_load_2addr_b64 v[104:107], v98 offset0:11 offset1:12
	v_pk_add_f32 v[60:61], v[60:61], v[110:111] neg_lo:[0,1] neg_hi:[0,1]
	v_pk_add_f32 v[62:63], v[62:63], v[108:109] neg_lo:[0,1] neg_hi:[0,1]
	s_wait_dscnt 0x0
	v_dual_mul_f32 v108, v105, v97 :: v_dual_mul_f32 v110, v105, v94
	s_delay_alu instid0(VALU_DEP_1) | instskip(NEXT) | instid1(VALU_DEP_2)
	v_pk_fma_f32 v[108:109], v[104:105], v[86:87], v[108:109] op_sel_hi:[1,1,0] neg_lo:[0,0,1] neg_hi:[0,0,1]
	v_pk_fma_f32 v[104:105], v[104:105], v[86:87], v[110:111] op_sel:[1,0,0] op_sel_hi:[0,1,0]
	s_delay_alu instid0(VALU_DEP_1) | instskip(SKIP_1) | instid1(VALU_DEP_2)
	v_mov_b32_e32 v109, v105
	v_pk_mul_f32 v[104:105], v[106:107], v[96:97] op_sel:[0,1]
	v_pk_add_f32 v[18:19], v[18:19], v[108:109] neg_lo:[0,1] neg_hi:[0,1]
	s_delay_alu instid0(VALU_DEP_2) | instskip(SKIP_1) | instid1(VALU_DEP_1)
	v_pk_fma_f32 v[108:109], v[106:107], v[94:95], v[104:105] op_sel:[0,0,1] op_sel_hi:[1,1,0] neg_lo:[0,0,1] neg_hi:[0,0,1]
	v_pk_fma_f32 v[104:105], v[106:107], v[94:95], v[104:105] op_sel:[0,0,1] op_sel_hi:[1,0,0]
	v_mov_b32_e32 v109, v105
	ds_load_2addr_b64 v[104:107], v98 offset0:13 offset1:14
	v_pk_add_f32 v[82:83], v[82:83], v[108:109] neg_lo:[0,1] neg_hi:[0,1]
	s_wait_dscnt 0x0
	v_pk_mul_f32 v[108:109], v[104:105], v[96:97] op_sel:[0,1]
	s_delay_alu instid0(VALU_DEP_1) | instskip(SKIP_1) | instid1(VALU_DEP_1)
	v_pk_fma_f32 v[110:111], v[104:105], v[94:95], v[108:109] op_sel:[0,0,1] op_sel_hi:[1,1,0] neg_lo:[0,0,1] neg_hi:[0,0,1]
	v_pk_fma_f32 v[104:105], v[104:105], v[94:95], v[108:109] op_sel:[0,0,1] op_sel_hi:[1,0,0]
	v_mov_b32_e32 v111, v105
	v_pk_mul_f32 v[104:105], v[106:107], v[96:97] op_sel:[0,1]
	s_delay_alu instid0(VALU_DEP_2) | instskip(NEXT) | instid1(VALU_DEP_2)
	v_pk_add_f32 v[78:79], v[78:79], v[110:111] neg_lo:[0,1] neg_hi:[0,1]
	v_pk_fma_f32 v[108:109], v[106:107], v[94:95], v[104:105] op_sel:[0,0,1] op_sel_hi:[1,1,0] neg_lo:[0,0,1] neg_hi:[0,0,1]
	v_pk_fma_f32 v[104:105], v[106:107], v[94:95], v[104:105] op_sel:[0,0,1] op_sel_hi:[1,0,0]
	s_delay_alu instid0(VALU_DEP_1) | instskip(SKIP_4) | instid1(VALU_DEP_1)
	v_mov_b32_e32 v109, v105
	ds_load_2addr_b64 v[104:107], v98 offset0:15 offset1:16
	v_pk_add_f32 v[80:81], v[80:81], v[108:109] neg_lo:[0,1] neg_hi:[0,1]
	s_wait_dscnt 0x0
	v_pk_mul_f32 v[108:109], v[104:105], v[96:97] op_sel:[0,1]
	v_pk_fma_f32 v[110:111], v[104:105], v[94:95], v[108:109] op_sel:[0,0,1] op_sel_hi:[1,1,0] neg_lo:[0,0,1] neg_hi:[0,0,1]
	v_pk_fma_f32 v[104:105], v[104:105], v[94:95], v[108:109] op_sel:[0,0,1] op_sel_hi:[1,0,0]
	v_dual_mul_f32 v108, v107, v97 :: v_dual_mov_b32 v104, v107
	s_delay_alu instid0(VALU_DEP_2) | instskip(NEXT) | instid1(VALU_DEP_2)
	v_dual_mov_b32 v111, v105 :: v_dual_mov_b32 v105, v106
	v_pk_fma_f32 v[108:109], v[106:107], v[86:87], v[108:109] op_sel_hi:[1,1,0] neg_lo:[0,0,1] neg_hi:[0,0,1]
	v_mul_f32_e32 v106, v107, v94
	s_delay_alu instid0(VALU_DEP_3) | instskip(NEXT) | instid1(VALU_DEP_2)
	v_pk_add_f32 v[26:27], v[26:27], v[110:111] neg_lo:[0,1] neg_hi:[0,1]
	v_pk_fma_f32 v[104:105], v[104:105], v[86:87], v[106:107] op_sel_hi:[1,1,0]
	s_delay_alu instid0(VALU_DEP_1) | instskip(SKIP_4) | instid1(VALU_DEP_1)
	v_mov_b32_e32 v109, v105
	ds_load_2addr_b64 v[104:107], v98 offset0:17 offset1:18
	v_pk_add_f32 v[76:77], v[76:77], v[108:109] neg_lo:[0,1] neg_hi:[0,1]
	s_wait_dscnt 0x0
	v_pk_mul_f32 v[108:109], v[104:105], v[96:97] op_sel:[0,1]
	v_pk_fma_f32 v[110:111], v[104:105], v[94:95], v[108:109] op_sel:[0,0,1] op_sel_hi:[1,1,0] neg_lo:[0,0,1] neg_hi:[0,0,1]
	v_pk_fma_f32 v[104:105], v[104:105], v[94:95], v[108:109] op_sel:[0,0,1] op_sel_hi:[1,0,0]
	s_delay_alu instid0(VALU_DEP_1) | instskip(SKIP_1) | instid1(VALU_DEP_1)
	v_mov_b32_e32 v111, v105
	v_pk_mul_f32 v[104:105], v[106:107], v[96:97] op_sel:[0,1]
	v_pk_fma_f32 v[108:109], v[106:107], v[94:95], v[104:105] op_sel:[0,0,1] op_sel_hi:[1,1,0] neg_lo:[0,0,1] neg_hi:[0,0,1]
	v_pk_fma_f32 v[104:105], v[106:107], v[94:95], v[104:105] op_sel:[0,0,1] op_sel_hi:[1,0,0]
	s_delay_alu instid0(VALU_DEP_1)
	v_mov_b32_e32 v109, v105
	ds_load_2addr_b64 v[104:107], v98 offset0:19 offset1:20
	v_pk_add_f32 v[72:73], v[72:73], v[110:111] neg_lo:[0,1] neg_hi:[0,1]
	v_pk_add_f32 v[74:75], v[74:75], v[108:109] neg_lo:[0,1] neg_hi:[0,1]
	s_wait_dscnt 0x0
	v_pk_mul_f32 v[108:109], v[104:105], v[96:97] op_sel:[0,1]
	s_delay_alu instid0(VALU_DEP_1) | instskip(SKIP_1) | instid1(VALU_DEP_1)
	v_pk_fma_f32 v[110:111], v[104:105], v[94:95], v[108:109] op_sel:[0,0,1] op_sel_hi:[1,1,0] neg_lo:[0,0,1] neg_hi:[0,0,1]
	v_pk_fma_f32 v[104:105], v[104:105], v[94:95], v[108:109] op_sel:[0,0,1] op_sel_hi:[1,0,0]
	v_mov_b32_e32 v111, v105
	v_pk_mul_f32 v[104:105], v[106:107], v[96:97] op_sel:[0,1]
	s_delay_alu instid0(VALU_DEP_1) | instskip(SKIP_1) | instid1(VALU_DEP_1)
	v_pk_fma_f32 v[108:109], v[106:107], v[94:95], v[104:105] op_sel:[0,0,1] op_sel_hi:[1,1,0] neg_lo:[0,0,1] neg_hi:[0,0,1]
	v_pk_fma_f32 v[104:105], v[106:107], v[94:95], v[104:105] op_sel:[0,0,1] op_sel_hi:[1,0,0]
	v_mov_b32_e32 v109, v105
	ds_load_2addr_b64 v[104:107], v98 offset0:21 offset1:22
	v_pk_add_f32 v[24:25], v[24:25], v[110:111] neg_lo:[0,1] neg_hi:[0,1]
	v_pk_add_f32 v[70:71], v[70:71], v[108:109] neg_lo:[0,1] neg_hi:[0,1]
	s_wait_dscnt 0x0
	v_dual_mul_f32 v108, v105, v97 :: v_dual_mul_f32 v110, v105, v94
	s_delay_alu instid0(VALU_DEP_1) | instskip(NEXT) | instid1(VALU_DEP_2)
	v_pk_fma_f32 v[108:109], v[104:105], v[86:87], v[108:109] op_sel_hi:[1,1,0] neg_lo:[0,0,1] neg_hi:[0,0,1]
	v_pk_fma_f32 v[104:105], v[104:105], v[86:87], v[110:111] op_sel:[1,0,0] op_sel_hi:[0,1,0]
	s_delay_alu instid0(VALU_DEP_1) | instskip(SKIP_1) | instid1(VALU_DEP_2)
	v_mov_b32_e32 v109, v105
	v_pk_mul_f32 v[104:105], v[106:107], v[96:97] op_sel:[0,1]
	v_pk_add_f32 v[66:67], v[66:67], v[108:109] neg_lo:[0,1] neg_hi:[0,1]
	s_delay_alu instid0(VALU_DEP_2) | instskip(SKIP_1) | instid1(VALU_DEP_1)
	v_pk_fma_f32 v[108:109], v[106:107], v[94:95], v[104:105] op_sel:[0,0,1] op_sel_hi:[1,1,0] neg_lo:[0,0,1] neg_hi:[0,0,1]
	v_pk_fma_f32 v[104:105], v[106:107], v[94:95], v[104:105] op_sel:[0,0,1] op_sel_hi:[1,0,0]
	v_mov_b32_e32 v109, v105
	ds_load_2addr_b64 v[104:107], v98 offset0:23 offset1:24
	v_pk_add_f32 v[68:69], v[68:69], v[108:109] neg_lo:[0,1] neg_hi:[0,1]
	s_wait_dscnt 0x0
	v_pk_mul_f32 v[108:109], v[104:105], v[96:97] op_sel:[0,1]
	s_delay_alu instid0(VALU_DEP_1) | instskip(SKIP_1) | instid1(VALU_DEP_1)
	v_pk_fma_f32 v[110:111], v[104:105], v[94:95], v[108:109] op_sel:[0,0,1] op_sel_hi:[1,1,0] neg_lo:[0,0,1] neg_hi:[0,0,1]
	v_pk_fma_f32 v[104:105], v[104:105], v[94:95], v[108:109] op_sel:[0,0,1] op_sel_hi:[1,0,0]
	v_mov_b32_e32 v111, v105
	v_pk_mul_f32 v[104:105], v[106:107], v[96:97] op_sel:[0,1]
	s_delay_alu instid0(VALU_DEP_2) | instskip(NEXT) | instid1(VALU_DEP_2)
	v_pk_add_f32 v[22:23], v[22:23], v[110:111] neg_lo:[0,1] neg_hi:[0,1]
	v_pk_fma_f32 v[108:109], v[106:107], v[94:95], v[104:105] op_sel:[0,0,1] op_sel_hi:[1,1,0] neg_lo:[0,0,1] neg_hi:[0,0,1]
	v_pk_fma_f32 v[104:105], v[106:107], v[94:95], v[104:105] op_sel:[0,0,1] op_sel_hi:[1,0,0]
	s_delay_alu instid0(VALU_DEP_1) | instskip(SKIP_4) | instid1(VALU_DEP_1)
	v_mov_b32_e32 v109, v105
	ds_load_2addr_b64 v[104:107], v98 offset0:25 offset1:26
	v_pk_add_f32 v[54:55], v[54:55], v[108:109] neg_lo:[0,1] neg_hi:[0,1]
	s_wait_dscnt 0x0
	v_pk_mul_f32 v[108:109], v[104:105], v[96:97] op_sel:[0,1]
	v_pk_fma_f32 v[110:111], v[104:105], v[94:95], v[108:109] op_sel:[0,0,1] op_sel_hi:[1,1,0] neg_lo:[0,0,1] neg_hi:[0,0,1]
	v_pk_fma_f32 v[104:105], v[104:105], v[94:95], v[108:109] op_sel:[0,0,1] op_sel_hi:[1,0,0]
	v_dual_mul_f32 v108, v107, v97 :: v_dual_mov_b32 v104, v107
	s_delay_alu instid0(VALU_DEP_2) | instskip(NEXT) | instid1(VALU_DEP_2)
	v_dual_mov_b32 v111, v105 :: v_dual_mov_b32 v105, v106
	v_pk_fma_f32 v[108:109], v[106:107], v[86:87], v[108:109] op_sel_hi:[1,1,0] neg_lo:[0,0,1] neg_hi:[0,0,1]
	v_mul_f32_e32 v106, v107, v94
	s_delay_alu instid0(VALU_DEP_3) | instskip(NEXT) | instid1(VALU_DEP_2)
	v_pk_add_f32 v[48:49], v[48:49], v[110:111] neg_lo:[0,1] neg_hi:[0,1]
	v_pk_fma_f32 v[104:105], v[104:105], v[86:87], v[106:107] op_sel_hi:[1,1,0]
	s_delay_alu instid0(VALU_DEP_1) | instskip(SKIP_4) | instid1(VALU_DEP_1)
	v_mov_b32_e32 v109, v105
	ds_load_2addr_b64 v[104:107], v98 offset0:27 offset1:28
	v_pk_add_f32 v[52:53], v[52:53], v[108:109] neg_lo:[0,1] neg_hi:[0,1]
	s_wait_dscnt 0x0
	v_pk_mul_f32 v[108:109], v[104:105], v[96:97] op_sel:[0,1]
	v_pk_fma_f32 v[110:111], v[104:105], v[94:95], v[108:109] op_sel:[0,0,1] op_sel_hi:[1,1,0] neg_lo:[0,0,1] neg_hi:[0,0,1]
	v_pk_fma_f32 v[104:105], v[104:105], v[94:95], v[108:109] op_sel:[0,0,1] op_sel_hi:[1,0,0]
	s_delay_alu instid0(VALU_DEP_1) | instskip(SKIP_1) | instid1(VALU_DEP_1)
	v_mov_b32_e32 v111, v105
	v_pk_mul_f32 v[104:105], v[106:107], v[96:97] op_sel:[0,1]
	v_pk_fma_f32 v[108:109], v[106:107], v[94:95], v[104:105] op_sel:[0,0,1] op_sel_hi:[1,1,0] neg_lo:[0,0,1] neg_hi:[0,0,1]
	v_pk_fma_f32 v[104:105], v[106:107], v[94:95], v[104:105] op_sel:[0,0,1] op_sel_hi:[1,0,0]
	s_delay_alu instid0(VALU_DEP_1)
	v_mov_b32_e32 v109, v105
	ds_load_2addr_b64 v[104:107], v98 offset0:29 offset1:30
	v_pk_add_f32 v[12:13], v[12:13], v[110:111] neg_lo:[0,1] neg_hi:[0,1]
	v_pk_add_f32 v[46:47], v[46:47], v[108:109] neg_lo:[0,1] neg_hi:[0,1]
	s_wait_dscnt 0x0
	v_pk_mul_f32 v[108:109], v[104:105], v[96:97] op_sel:[0,1]
	s_delay_alu instid0(VALU_DEP_1) | instskip(SKIP_1) | instid1(VALU_DEP_1)
	v_pk_fma_f32 v[110:111], v[104:105], v[94:95], v[108:109] op_sel:[0,0,1] op_sel_hi:[1,1,0] neg_lo:[0,0,1] neg_hi:[0,0,1]
	v_pk_fma_f32 v[104:105], v[104:105], v[94:95], v[108:109] op_sel:[0,0,1] op_sel_hi:[1,0,0]
	v_mov_b32_e32 v111, v105
	v_pk_mul_f32 v[104:105], v[106:107], v[96:97] op_sel:[0,1]
	s_delay_alu instid0(VALU_DEP_1) | instskip(SKIP_1) | instid1(VALU_DEP_1)
	v_pk_fma_f32 v[108:109], v[106:107], v[94:95], v[104:105] op_sel:[0,0,1] op_sel_hi:[1,1,0] neg_lo:[0,0,1] neg_hi:[0,0,1]
	v_pk_fma_f32 v[104:105], v[106:107], v[94:95], v[104:105] op_sel:[0,0,1] op_sel_hi:[1,0,0]
	v_mov_b32_e32 v109, v105
	ds_load_2addr_b64 v[104:107], v98 offset0:31 offset1:32
	v_pk_add_f32 v[42:43], v[42:43], v[110:111] neg_lo:[0,1] neg_hi:[0,1]
	v_pk_add_f32 v[44:45], v[44:45], v[108:109] neg_lo:[0,1] neg_hi:[0,1]
	s_wait_dscnt 0x0
	v_dual_mul_f32 v108, v105, v97 :: v_dual_mul_f32 v110, v105, v94
	s_delay_alu instid0(VALU_DEP_1) | instskip(NEXT) | instid1(VALU_DEP_2)
	v_pk_fma_f32 v[108:109], v[104:105], v[86:87], v[108:109] op_sel_hi:[1,1,0] neg_lo:[0,0,1] neg_hi:[0,0,1]
	v_pk_fma_f32 v[104:105], v[104:105], v[86:87], v[110:111] op_sel:[1,0,0] op_sel_hi:[0,1,0]
	s_delay_alu instid0(VALU_DEP_1) | instskip(SKIP_1) | instid1(VALU_DEP_2)
	v_mov_b32_e32 v109, v105
	v_pk_mul_f32 v[104:105], v[106:107], v[96:97] op_sel:[0,1]
	v_pk_add_f32 v[10:11], v[10:11], v[108:109] neg_lo:[0,1] neg_hi:[0,1]
	s_delay_alu instid0(VALU_DEP_2) | instskip(SKIP_1) | instid1(VALU_DEP_1)
	v_pk_fma_f32 v[108:109], v[106:107], v[94:95], v[104:105] op_sel:[0,0,1] op_sel_hi:[1,1,0] neg_lo:[0,0,1] neg_hi:[0,0,1]
	v_pk_fma_f32 v[104:105], v[106:107], v[94:95], v[104:105] op_sel:[0,0,1] op_sel_hi:[1,0,0]
	v_mov_b32_e32 v109, v105
	ds_load_2addr_b64 v[104:107], v98 offset0:33 offset1:34
	v_pk_add_f32 v[40:41], v[40:41], v[108:109] neg_lo:[0,1] neg_hi:[0,1]
	s_wait_dscnt 0x0
	v_pk_mul_f32 v[108:109], v[104:105], v[96:97] op_sel:[0,1]
	s_delay_alu instid0(VALU_DEP_1) | instskip(SKIP_1) | instid1(VALU_DEP_1)
	v_pk_fma_f32 v[110:111], v[104:105], v[94:95], v[108:109] op_sel:[0,0,1] op_sel_hi:[1,1,0] neg_lo:[0,0,1] neg_hi:[0,0,1]
	v_pk_fma_f32 v[104:105], v[104:105], v[94:95], v[108:109] op_sel:[0,0,1] op_sel_hi:[1,0,0]
	v_mov_b32_e32 v111, v105
	v_pk_mul_f32 v[104:105], v[106:107], v[96:97] op_sel:[0,1]
	s_delay_alu instid0(VALU_DEP_2) | instskip(NEXT) | instid1(VALU_DEP_2)
	v_pk_add_f32 v[36:37], v[36:37], v[110:111] neg_lo:[0,1] neg_hi:[0,1]
	v_pk_fma_f32 v[108:109], v[106:107], v[94:95], v[104:105] op_sel:[0,0,1] op_sel_hi:[1,1,0] neg_lo:[0,0,1] neg_hi:[0,0,1]
	v_pk_fma_f32 v[104:105], v[106:107], v[94:95], v[104:105] op_sel:[0,0,1] op_sel_hi:[1,0,0]
	s_delay_alu instid0(VALU_DEP_1) | instskip(SKIP_4) | instid1(VALU_DEP_1)
	v_mov_b32_e32 v109, v105
	ds_load_2addr_b64 v[104:107], v98 offset0:35 offset1:36
	v_pk_add_f32 v[38:39], v[38:39], v[108:109] neg_lo:[0,1] neg_hi:[0,1]
	s_wait_dscnt 0x0
	v_pk_mul_f32 v[108:109], v[104:105], v[96:97] op_sel:[0,1]
	v_pk_fma_f32 v[110:111], v[104:105], v[94:95], v[108:109] op_sel:[0,0,1] op_sel_hi:[1,1,0] neg_lo:[0,0,1] neg_hi:[0,0,1]
	v_pk_fma_f32 v[104:105], v[104:105], v[94:95], v[108:109] op_sel:[0,0,1] op_sel_hi:[1,0,0]
	v_dual_mul_f32 v108, v107, v97 :: v_dual_mov_b32 v104, v107
	s_delay_alu instid0(VALU_DEP_2) | instskip(NEXT) | instid1(VALU_DEP_2)
	v_dual_mov_b32 v111, v105 :: v_dual_mov_b32 v105, v106
	v_pk_fma_f32 v[108:109], v[106:107], v[86:87], v[108:109] op_sel_hi:[1,1,0] neg_lo:[0,0,1] neg_hi:[0,0,1]
	v_mul_f32_e32 v106, v107, v94
	s_delay_alu instid0(VALU_DEP_3) | instskip(NEXT) | instid1(VALU_DEP_2)
	v_pk_add_f32 v[6:7], v[6:7], v[110:111] neg_lo:[0,1] neg_hi:[0,1]
	v_pk_fma_f32 v[104:105], v[104:105], v[86:87], v[106:107] op_sel_hi:[1,1,0]
	s_delay_alu instid0(VALU_DEP_1) | instskip(SKIP_4) | instid1(VALU_DEP_1)
	v_mov_b32_e32 v109, v105
	ds_load_2addr_b64 v[104:107], v98 offset0:37 offset1:38
	v_pk_add_f32 v[34:35], v[34:35], v[108:109] neg_lo:[0,1] neg_hi:[0,1]
	s_wait_dscnt 0x0
	v_pk_mul_f32 v[108:109], v[104:105], v[96:97] op_sel:[0,1]
	v_pk_fma_f32 v[110:111], v[104:105], v[94:95], v[108:109] op_sel:[0,0,1] op_sel_hi:[1,1,0] neg_lo:[0,0,1] neg_hi:[0,0,1]
	v_pk_fma_f32 v[104:105], v[104:105], v[94:95], v[108:109] op_sel:[0,0,1] op_sel_hi:[1,0,0]
	s_delay_alu instid0(VALU_DEP_1) | instskip(SKIP_1) | instid1(VALU_DEP_1)
	v_mov_b32_e32 v111, v105
	v_pk_mul_f32 v[104:105], v[106:107], v[96:97] op_sel:[0,1]
	v_pk_fma_f32 v[108:109], v[106:107], v[94:95], v[104:105] op_sel:[0,0,1] op_sel_hi:[1,1,0] neg_lo:[0,0,1] neg_hi:[0,0,1]
	v_pk_fma_f32 v[104:105], v[106:107], v[94:95], v[104:105] op_sel:[0,0,1] op_sel_hi:[1,0,0]
	s_delay_alu instid0(VALU_DEP_1)
	v_mov_b32_e32 v109, v105
	ds_load_2addr_b64 v[104:107], v98 offset0:39 offset1:40
	v_pk_add_f32 v[30:31], v[30:31], v[110:111] neg_lo:[0,1] neg_hi:[0,1]
	v_pk_add_f32 v[32:33], v[32:33], v[108:109] neg_lo:[0,1] neg_hi:[0,1]
	s_wait_dscnt 0x0
	v_pk_mul_f32 v[108:109], v[104:105], v[96:97] op_sel:[0,1]
	s_delay_alu instid0(VALU_DEP_1) | instskip(SKIP_1) | instid1(VALU_DEP_1)
	v_pk_fma_f32 v[110:111], v[104:105], v[94:95], v[108:109] op_sel:[0,0,1] op_sel_hi:[1,1,0] neg_lo:[0,0,1] neg_hi:[0,0,1]
	v_pk_fma_f32 v[104:105], v[104:105], v[94:95], v[108:109] op_sel:[0,0,1] op_sel_hi:[1,0,0]
	v_mov_b32_e32 v111, v105
	v_pk_mul_f32 v[104:105], v[106:107], v[96:97] op_sel:[0,1]
	s_delay_alu instid0(VALU_DEP_1) | instskip(SKIP_1) | instid1(VALU_DEP_1)
	v_pk_fma_f32 v[108:109], v[106:107], v[94:95], v[104:105] op_sel:[0,0,1] op_sel_hi:[1,1,0] neg_lo:[0,0,1] neg_hi:[0,0,1]
	v_pk_fma_f32 v[104:105], v[106:107], v[94:95], v[104:105] op_sel:[0,0,1] op_sel_hi:[1,0,0]
	v_mov_b32_e32 v109, v105
	ds_load_2addr_b64 v[104:107], v98 offset0:41 offset1:42
	v_pk_add_f32 v[8:9], v[8:9], v[110:111] neg_lo:[0,1] neg_hi:[0,1]
	v_pk_add_f32 v[28:29], v[28:29], v[108:109] neg_lo:[0,1] neg_hi:[0,1]
	s_wait_dscnt 0x0
	v_dual_mul_f32 v108, v105, v97 :: v_dual_mul_f32 v110, v105, v94
	s_delay_alu instid0(VALU_DEP_1) | instskip(NEXT) | instid1(VALU_DEP_2)
	v_pk_fma_f32 v[108:109], v[104:105], v[86:87], v[108:109] op_sel_hi:[1,1,0] neg_lo:[0,0,1] neg_hi:[0,0,1]
	v_pk_fma_f32 v[104:105], v[104:105], v[86:87], v[110:111] op_sel:[1,0,0] op_sel_hi:[0,1,0]
	s_delay_alu instid0(VALU_DEP_1) | instskip(SKIP_1) | instid1(VALU_DEP_2)
	v_mov_b32_e32 v109, v105
	v_pk_mul_f32 v[104:105], v[106:107], v[96:97] op_sel:[0,1]
	v_pk_add_f32 v[20:21], v[20:21], v[108:109] neg_lo:[0,1] neg_hi:[0,1]
	s_delay_alu instid0(VALU_DEP_2) | instskip(SKIP_1) | instid1(VALU_DEP_1)
	v_pk_fma_f32 v[108:109], v[106:107], v[94:95], v[104:105] op_sel:[0,0,1] op_sel_hi:[1,1,0] neg_lo:[0,0,1] neg_hi:[0,0,1]
	v_pk_fma_f32 v[104:105], v[106:107], v[94:95], v[104:105] op_sel:[0,0,1] op_sel_hi:[1,0,0]
	v_mov_b32_e32 v109, v105
	ds_load_b64 v[104:105], v98 offset:344
	v_pk_add_f32 v[16:17], v[16:17], v[108:109] neg_lo:[0,1] neg_hi:[0,1]
	s_wait_dscnt 0x0
	v_pk_mul_f32 v[96:97], v[104:105], v[96:97] op_sel:[0,1]
	s_delay_alu instid0(VALU_DEP_1) | instskip(SKIP_1) | instid1(VALU_DEP_1)
	v_pk_fma_f32 v[106:107], v[104:105], v[94:95], v[96:97] op_sel:[0,0,1] op_sel_hi:[1,1,0] neg_lo:[0,0,1] neg_hi:[0,0,1]
	v_pk_fma_f32 v[94:95], v[104:105], v[94:95], v[96:97] op_sel:[0,0,1] op_sel_hi:[1,0,0]
	v_mov_b32_e32 v107, v95
	s_delay_alu instid0(VALU_DEP_1)
	v_pk_add_f32 v[92:93], v[92:93], v[106:107] neg_lo:[0,1] neg_hi:[0,1]
.LBB86_62:
	s_or_b32 exec_lo, exec_lo, s0
	v_lshl_add_u32 v94, v102, 3, v98
	s_barrier_signal -1
	s_barrier_wait -1
	ds_store_b64 v94, v[84:85]
	s_wait_dscnt 0x0
	s_barrier_signal -1
	s_barrier_wait -1
	ds_load_b64 v[96:97], v98 offset:24
	v_mov_b32_e32 v94, 3
	s_cmp_lt_i32 s18, 5
	s_cbranch_scc1 .LBB86_65
; %bb.63:
	v_mov_b32_e32 v94, 3
	v_add3_u32 v95, v99, 0, 32
	s_mov_b32 s0, 4
.LBB86_64:                              ; =>This Inner Loop Header: Depth=1
	ds_load_b64 v[104:105], v95
	s_wait_dscnt 0x1
	v_cmp_gt_f32_e32 vcc_lo, 0, v96
	v_cndmask_b32_e64 v106, v96, -v96, vcc_lo
	v_cmp_gt_f32_e32 vcc_lo, 0, v97
	v_cndmask_b32_e64 v108, v97, -v97, vcc_lo
	s_wait_dscnt 0x0
	v_cmp_gt_f32_e32 vcc_lo, 0, v104
	v_cndmask_b32_e64 v107, v104, -v104, vcc_lo
	v_cmp_gt_f32_e32 vcc_lo, 0, v105
	v_cndmask_b32_e64 v109, v105, -v105, vcc_lo
	s_delay_alu instid0(VALU_DEP_1) | instskip(NEXT) | instid1(VALU_DEP_1)
	v_pk_add_f32 v[106:107], v[106:107], v[108:109]
	v_cmp_lt_f32_e32 vcc_lo, v106, v107
	v_dual_add_nc_u32 v95, 8, v95 :: v_dual_cndmask_b32 v97, v97, v105, vcc_lo
	v_cndmask_b32_e32 v96, v96, v104, vcc_lo
	v_cndmask_b32_e64 v94, v94, s0, vcc_lo
	s_add_co_i32 s0, s0, 1
	s_delay_alu instid0(SALU_CYCLE_1)
	s_cmp_lg_u32 s18, s0
	s_cbranch_scc1 .LBB86_64
.LBB86_65:
	s_wait_dscnt 0x0
	v_cmp_eq_f32_e32 vcc_lo, 0, v96
	v_cmp_eq_f32_e64 s0, 0, v97
	s_and_b32 s0, vcc_lo, s0
	s_delay_alu instid0(SALU_CYCLE_1) | instskip(NEXT) | instid1(SALU_CYCLE_1)
	s_and_saveexec_b32 s1, s0
	s_xor_b32 s0, exec_lo, s1
; %bb.66:
	v_cmp_ne_u32_e32 vcc_lo, 0, v100
	v_cndmask_b32_e32 v100, 4, v100, vcc_lo
; %bb.67:
	s_and_not1_saveexec_b32 s0, s0
	s_cbranch_execz .LBB86_73
; %bb.68:
	v_cmp_ngt_f32_e64 s1, |v96|, |v97|
	s_and_saveexec_b32 s12, s1
	s_delay_alu instid0(SALU_CYCLE_1)
	s_xor_b32 s1, exec_lo, s12
	s_cbranch_execz .LBB86_70
; %bb.69:
	v_div_scale_f32 v95, null, v97, v97, v96
	v_div_scale_f32 v105, vcc_lo, v96, v97, v96
	s_delay_alu instid0(VALU_DEP_2) | instskip(SKIP_1) | instid1(TRANS32_DEP_1)
	v_rcp_f32_e32 v103, v95
	v_nop
	v_fma_f32 v104, -v95, v103, 1.0
	s_delay_alu instid0(VALU_DEP_1) | instskip(NEXT) | instid1(VALU_DEP_1)
	v_fmac_f32_e32 v103, v104, v103
	v_mul_f32_e32 v104, v105, v103
	s_delay_alu instid0(VALU_DEP_1) | instskip(NEXT) | instid1(VALU_DEP_1)
	v_fma_f32 v106, -v95, v104, v105
	v_fmac_f32_e32 v104, v106, v103
	s_delay_alu instid0(VALU_DEP_1) | instskip(NEXT) | instid1(VALU_DEP_1)
	v_fma_f32 v95, -v95, v104, v105
	v_div_fmas_f32 v95, v95, v103, v104
	s_delay_alu instid0(VALU_DEP_1) | instskip(NEXT) | instid1(VALU_DEP_1)
	v_div_fixup_f32 v95, v95, v97, v96
	v_fmac_f32_e32 v97, v96, v95
	s_delay_alu instid0(VALU_DEP_1) | instskip(SKIP_1) | instid1(VALU_DEP_2)
	v_div_scale_f32 v96, null, v97, v97, 1.0
	v_div_scale_f32 v105, vcc_lo, 1.0, v97, 1.0
	v_rcp_f32_e32 v103, v96
	v_nop
	s_delay_alu instid0(TRANS32_DEP_1) | instskip(NEXT) | instid1(VALU_DEP_1)
	v_fma_f32 v104, -v96, v103, 1.0
	v_fmac_f32_e32 v103, v104, v103
	s_delay_alu instid0(VALU_DEP_1) | instskip(NEXT) | instid1(VALU_DEP_1)
	v_mul_f32_e32 v104, v105, v103
	v_fma_f32 v106, -v96, v104, v105
	s_delay_alu instid0(VALU_DEP_1) | instskip(NEXT) | instid1(VALU_DEP_1)
	v_fmac_f32_e32 v104, v106, v103
	v_fma_f32 v96, -v96, v104, v105
	s_delay_alu instid0(VALU_DEP_1) | instskip(NEXT) | instid1(VALU_DEP_1)
	v_div_fmas_f32 v96, v96, v103, v104
	v_div_fixup_f32 v97, v96, v97, 1.0
	s_delay_alu instid0(VALU_DEP_1)
	v_mul_f32_e32 v96, v95, v97
	v_xor_b32_e32 v97, 0x80000000, v97
.LBB86_70:
	s_and_not1_saveexec_b32 s1, s1
	s_cbranch_execz .LBB86_72
; %bb.71:
	s_delay_alu instid0(VALU_DEP_1) | instskip(SKIP_1) | instid1(VALU_DEP_2)
	v_div_scale_f32 v95, null, v96, v96, v97
	v_div_scale_f32 v105, vcc_lo, v97, v96, v97
	v_rcp_f32_e32 v103, v95
	v_nop
	s_delay_alu instid0(TRANS32_DEP_1) | instskip(NEXT) | instid1(VALU_DEP_1)
	v_fma_f32 v104, -v95, v103, 1.0
	v_fmac_f32_e32 v103, v104, v103
	s_delay_alu instid0(VALU_DEP_1) | instskip(NEXT) | instid1(VALU_DEP_1)
	v_mul_f32_e32 v104, v105, v103
	v_fma_f32 v106, -v95, v104, v105
	s_delay_alu instid0(VALU_DEP_1) | instskip(NEXT) | instid1(VALU_DEP_1)
	v_fmac_f32_e32 v104, v106, v103
	v_fma_f32 v95, -v95, v104, v105
	s_delay_alu instid0(VALU_DEP_1) | instskip(NEXT) | instid1(VALU_DEP_1)
	v_div_fmas_f32 v95, v95, v103, v104
	v_div_fixup_f32 v95, v95, v96, v97
	s_delay_alu instid0(VALU_DEP_1) | instskip(NEXT) | instid1(VALU_DEP_1)
	v_fmac_f32_e32 v96, v97, v95
	v_div_scale_f32 v97, null, v96, v96, 1.0
	s_delay_alu instid0(VALU_DEP_1) | instskip(SKIP_1) | instid1(TRANS32_DEP_1)
	v_rcp_f32_e32 v103, v97
	v_nop
	v_fma_f32 v104, -v97, v103, 1.0
	s_delay_alu instid0(VALU_DEP_1) | instskip(SKIP_1) | instid1(VALU_DEP_1)
	v_fmac_f32_e32 v103, v104, v103
	v_div_scale_f32 v104, vcc_lo, 1.0, v96, 1.0
	v_mul_f32_e32 v105, v104, v103
	s_delay_alu instid0(VALU_DEP_1) | instskip(NEXT) | instid1(VALU_DEP_1)
	v_fma_f32 v106, -v97, v105, v104
	v_fmac_f32_e32 v105, v106, v103
	s_delay_alu instid0(VALU_DEP_1) | instskip(NEXT) | instid1(VALU_DEP_1)
	v_fma_f32 v97, -v97, v105, v104
	v_div_fmas_f32 v97, v97, v103, v105
	s_delay_alu instid0(VALU_DEP_1) | instskip(NEXT) | instid1(VALU_DEP_1)
	v_div_fixup_f32 v96, v97, v96, 1.0
	v_mul_f32_e64 v97, v95, -v96
.LBB86_72:
	s_or_b32 exec_lo, exec_lo, s1
.LBB86_73:
	s_delay_alu instid0(SALU_CYCLE_1) | instskip(NEXT) | instid1(SALU_CYCLE_1)
	s_or_b32 exec_lo, exec_lo, s0
	s_mov_b32 s0, exec_lo
	v_cmpx_ne_u32_e64 v102, v94
	s_xor_b32 s0, exec_lo, s0
	s_cbranch_execz .LBB86_79
; %bb.74:
	s_mov_b32 s1, exec_lo
	v_cmpx_eq_u32_e32 3, v102
	s_cbranch_execz .LBB86_78
; %bb.75:
	v_cmp_ne_u32_e32 vcc_lo, 3, v94
	s_xor_b32 s12, s16, -1
	s_delay_alu instid0(SALU_CYCLE_1) | instskip(NEXT) | instid1(SALU_CYCLE_1)
	s_and_b32 s13, s12, vcc_lo
	s_and_saveexec_b32 s12, s13
	s_cbranch_execz .LBB86_77
; %bb.76:
	v_ashrrev_i32_e32 v95, 31, v94
	s_delay_alu instid0(VALU_DEP_1)
	v_lshl_add_u64 v[102:103], v[94:95], 2, v[4:5]
	s_clause 0x1
	global_load_b32 v95, v[102:103], off
	global_load_b32 v101, v[4:5], off offset:12
	s_wait_loadcnt 0x1
	global_store_b32 v[4:5], v95, off offset:12
	s_wait_loadcnt 0x0
	global_store_b32 v[102:103], v101, off
.LBB86_77:
	s_wait_xcnt 0x0
	s_or_b32 exec_lo, exec_lo, s12
	v_dual_mov_b32 v102, v94 :: v_dual_mov_b32 v101, v94
.LBB86_78:
	s_or_b32 exec_lo, exec_lo, s1
.LBB86_79:
	s_and_not1_saveexec_b32 s0, s0
	s_cbranch_execz .LBB86_81
; %bb.80:
	v_dual_mov_b32 v94, v58 :: v_dual_mov_b32 v95, v59
	v_dual_mov_b32 v102, v50 :: v_dual_mov_b32 v103, v51
	;; [unrolled: 1-line block ×8, first 2 shown]
	ds_store_2addr_b64 v98, v[94:95], v[102:103] offset0:4 offset1:5
	ds_store_2addr_b64 v98, v[104:105], v[106:107] offset0:6 offset1:7
	;; [unrolled: 1-line block ×4, first 2 shown]
	v_dual_mov_b32 v94, v82 :: v_dual_mov_b32 v95, v83
	v_dual_mov_b32 v102, v78 :: v_dual_mov_b32 v103, v79
	;; [unrolled: 1-line block ×12, first 2 shown]
	ds_store_2addr_b64 v98, v[94:95], v[102:103] offset0:12 offset1:13
	ds_store_2addr_b64 v98, v[104:105], v[106:107] offset0:14 offset1:15
	;; [unrolled: 1-line block ×6, first 2 shown]
	v_dual_mov_b32 v94, v54 :: v_dual_mov_b32 v95, v55
	v_dual_mov_b32 v102, v48 :: v_dual_mov_b32 v103, v49
	;; [unrolled: 1-line block ×12, first 2 shown]
	ds_store_2addr_b64 v98, v[94:95], v[102:103] offset0:24 offset1:25
	ds_store_2addr_b64 v98, v[104:105], v[106:107] offset0:26 offset1:27
	;; [unrolled: 1-line block ×6, first 2 shown]
	v_dual_mov_b32 v94, v34 :: v_dual_mov_b32 v95, v35
	v_dual_mov_b32 v104, v30 :: v_dual_mov_b32 v105, v31
	;; [unrolled: 1-line block ×7, first 2 shown]
	v_mov_b32_e32 v115, v17
	ds_store_2addr_b64 v98, v[94:95], v[104:105] offset0:36 offset1:37
	ds_store_2addr_b64 v98, v[106:107], v[108:109] offset0:38 offset1:39
	;; [unrolled: 1-line block ×4, first 2 shown]
.LBB86_81:
	s_or_b32 exec_lo, exec_lo, s0
	s_delay_alu instid0(SALU_CYCLE_1)
	s_mov_b32 s0, exec_lo
	s_wait_storecnt_dscnt 0x0
	s_barrier_signal -1
	s_barrier_wait -1
	v_cmpx_lt_i32_e32 3, v102
	s_cbranch_execz .LBB86_83
; %bb.82:
	v_pk_mul_f32 v[104:105], v[96:97], v[84:85] op_sel:[1,1] op_sel_hi:[0,1]
	s_delay_alu instid0(VALU_DEP_1)
	v_pk_fma_f32 v[94:95], v[96:97], v[84:85], v[104:105] op_sel_hi:[1,0,1] neg_lo:[0,0,1] neg_hi:[0,0,1]
	v_pk_fma_f32 v[96:97], v[96:97], v[84:85], v[104:105] op_sel_hi:[1,0,1]
	ds_load_2addr_b64 v[104:107], v98 offset0:4 offset1:5
	v_dual_mov_b32 v84, v94 :: v_dual_mov_b32 v85, v97
	s_wait_dscnt 0x0
	v_pk_mul_f32 v[108:109], v[104:105], v[96:97] op_sel:[0,1]
	s_delay_alu instid0(VALU_DEP_1) | instskip(SKIP_1) | instid1(VALU_DEP_1)
	v_pk_fma_f32 v[110:111], v[104:105], v[94:95], v[108:109] op_sel:[0,0,1] op_sel_hi:[1,1,0] neg_lo:[0,0,1] neg_hi:[0,0,1]
	v_pk_fma_f32 v[104:105], v[104:105], v[94:95], v[108:109] op_sel:[0,0,1] op_sel_hi:[1,0,0]
	v_mov_b32_e32 v111, v105
	v_pk_mul_f32 v[104:105], v[106:107], v[96:97] op_sel:[0,1]
	s_delay_alu instid0(VALU_DEP_1) | instskip(SKIP_1) | instid1(VALU_DEP_1)
	v_pk_fma_f32 v[108:109], v[106:107], v[94:95], v[104:105] op_sel:[0,0,1] op_sel_hi:[1,1,0] neg_lo:[0,0,1] neg_hi:[0,0,1]
	v_pk_fma_f32 v[104:105], v[106:107], v[94:95], v[104:105] op_sel:[0,0,1] op_sel_hi:[1,0,0]
	v_mov_b32_e32 v109, v105
	ds_load_2addr_b64 v[104:107], v98 offset0:6 offset1:7
	v_pk_add_f32 v[58:59], v[58:59], v[110:111] neg_lo:[0,1] neg_hi:[0,1]
	v_pk_add_f32 v[50:51], v[50:51], v[108:109] neg_lo:[0,1] neg_hi:[0,1]
	s_wait_dscnt 0x0
	v_pk_mul_f32 v[108:109], v[104:105], v[96:97] op_sel:[0,1]
	s_delay_alu instid0(VALU_DEP_1) | instskip(SKIP_2) | instid1(VALU_DEP_2)
	v_pk_fma_f32 v[110:111], v[104:105], v[94:95], v[108:109] op_sel:[0,0,1] op_sel_hi:[1,1,0] neg_lo:[0,0,1] neg_hi:[0,0,1]
	v_pk_fma_f32 v[104:105], v[104:105], v[94:95], v[108:109] op_sel:[0,0,1] op_sel_hi:[1,0,0]
	v_dual_mul_f32 v108, v107, v97 :: v_dual_mov_b32 v104, v107
	v_dual_mov_b32 v111, v105 :: v_dual_mov_b32 v105, v106
	s_delay_alu instid0(VALU_DEP_2) | instskip(SKIP_1) | instid1(VALU_DEP_3)
	v_pk_fma_f32 v[108:109], v[106:107], v[84:85], v[108:109] op_sel_hi:[1,1,0] neg_lo:[0,0,1] neg_hi:[0,0,1]
	v_mul_f32_e32 v106, v107, v94
	v_pk_add_f32 v[56:57], v[56:57], v[110:111] neg_lo:[0,1] neg_hi:[0,1]
	s_delay_alu instid0(VALU_DEP_2) | instskip(NEXT) | instid1(VALU_DEP_1)
	v_pk_fma_f32 v[104:105], v[104:105], v[84:85], v[106:107] op_sel_hi:[1,1,0]
	v_mov_b32_e32 v109, v105
	ds_load_2addr_b64 v[104:107], v98 offset0:8 offset1:9
	v_pk_add_f32 v[14:15], v[14:15], v[108:109] neg_lo:[0,1] neg_hi:[0,1]
	s_wait_dscnt 0x0
	v_pk_mul_f32 v[108:109], v[104:105], v[96:97] op_sel:[0,1]
	s_delay_alu instid0(VALU_DEP_1) | instskip(SKIP_1) | instid1(VALU_DEP_1)
	v_pk_fma_f32 v[110:111], v[104:105], v[94:95], v[108:109] op_sel:[0,0,1] op_sel_hi:[1,1,0] neg_lo:[0,0,1] neg_hi:[0,0,1]
	v_pk_fma_f32 v[104:105], v[104:105], v[94:95], v[108:109] op_sel:[0,0,1] op_sel_hi:[1,0,0]
	v_mov_b32_e32 v111, v105
	v_pk_mul_f32 v[104:105], v[106:107], v[96:97] op_sel:[0,1]
	s_delay_alu instid0(VALU_DEP_1) | instskip(SKIP_1) | instid1(VALU_DEP_1)
	v_pk_fma_f32 v[108:109], v[106:107], v[94:95], v[104:105] op_sel:[0,0,1] op_sel_hi:[1,1,0] neg_lo:[0,0,1] neg_hi:[0,0,1]
	v_pk_fma_f32 v[104:105], v[106:107], v[94:95], v[104:105] op_sel:[0,0,1] op_sel_hi:[1,0,0]
	v_mov_b32_e32 v109, v105
	ds_load_2addr_b64 v[104:107], v98 offset0:10 offset1:11
	v_pk_add_f32 v[64:65], v[64:65], v[110:111] neg_lo:[0,1] neg_hi:[0,1]
	v_pk_add_f32 v[60:61], v[60:61], v[108:109] neg_lo:[0,1] neg_hi:[0,1]
	s_wait_dscnt 0x0
	v_pk_mul_f32 v[108:109], v[104:105], v[96:97] op_sel:[0,1]
	s_delay_alu instid0(VALU_DEP_1) | instskip(SKIP_1) | instid1(VALU_DEP_1)
	v_pk_fma_f32 v[110:111], v[104:105], v[94:95], v[108:109] op_sel:[0,0,1] op_sel_hi:[1,1,0] neg_lo:[0,0,1] neg_hi:[0,0,1]
	v_pk_fma_f32 v[104:105], v[104:105], v[94:95], v[108:109] op_sel:[0,0,1] op_sel_hi:[1,0,0]
	v_mov_b32_e32 v111, v105
	v_pk_mul_f32 v[104:105], v[106:107], v[96:97] op_sel:[0,1]
	s_delay_alu instid0(VALU_DEP_1) | instskip(SKIP_1) | instid1(VALU_DEP_1)
	v_pk_fma_f32 v[108:109], v[106:107], v[94:95], v[104:105] op_sel:[0,0,1] op_sel_hi:[1,1,0] neg_lo:[0,0,1] neg_hi:[0,0,1]
	v_pk_fma_f32 v[104:105], v[106:107], v[94:95], v[104:105] op_sel:[0,0,1] op_sel_hi:[1,0,0]
	v_mov_b32_e32 v109, v105
	ds_load_2addr_b64 v[104:107], v98 offset0:12 offset1:13
	v_pk_add_f32 v[62:63], v[62:63], v[110:111] neg_lo:[0,1] neg_hi:[0,1]
	v_pk_add_f32 v[18:19], v[18:19], v[108:109] neg_lo:[0,1] neg_hi:[0,1]
	s_wait_dscnt 0x0
	v_dual_mul_f32 v108, v105, v97 :: v_dual_mul_f32 v110, v105, v94
	s_delay_alu instid0(VALU_DEP_1) | instskip(NEXT) | instid1(VALU_DEP_2)
	v_pk_fma_f32 v[108:109], v[104:105], v[84:85], v[108:109] op_sel_hi:[1,1,0] neg_lo:[0,0,1] neg_hi:[0,0,1]
	v_pk_fma_f32 v[104:105], v[104:105], v[84:85], v[110:111] op_sel:[1,0,0] op_sel_hi:[0,1,0]
	s_delay_alu instid0(VALU_DEP_1) | instskip(SKIP_1) | instid1(VALU_DEP_2)
	v_mov_b32_e32 v109, v105
	v_pk_mul_f32 v[104:105], v[106:107], v[96:97] op_sel:[0,1]
	v_pk_add_f32 v[82:83], v[82:83], v[108:109] neg_lo:[0,1] neg_hi:[0,1]
	s_delay_alu instid0(VALU_DEP_2) | instskip(SKIP_1) | instid1(VALU_DEP_1)
	v_pk_fma_f32 v[108:109], v[106:107], v[94:95], v[104:105] op_sel:[0,0,1] op_sel_hi:[1,1,0] neg_lo:[0,0,1] neg_hi:[0,0,1]
	v_pk_fma_f32 v[104:105], v[106:107], v[94:95], v[104:105] op_sel:[0,0,1] op_sel_hi:[1,0,0]
	v_mov_b32_e32 v109, v105
	ds_load_2addr_b64 v[104:107], v98 offset0:14 offset1:15
	v_pk_add_f32 v[78:79], v[78:79], v[108:109] neg_lo:[0,1] neg_hi:[0,1]
	s_wait_dscnt 0x0
	v_pk_mul_f32 v[108:109], v[104:105], v[96:97] op_sel:[0,1]
	s_delay_alu instid0(VALU_DEP_1) | instskip(SKIP_1) | instid1(VALU_DEP_1)
	v_pk_fma_f32 v[110:111], v[104:105], v[94:95], v[108:109] op_sel:[0,0,1] op_sel_hi:[1,1,0] neg_lo:[0,0,1] neg_hi:[0,0,1]
	v_pk_fma_f32 v[104:105], v[104:105], v[94:95], v[108:109] op_sel:[0,0,1] op_sel_hi:[1,0,0]
	v_mov_b32_e32 v111, v105
	v_pk_mul_f32 v[104:105], v[106:107], v[96:97] op_sel:[0,1]
	s_delay_alu instid0(VALU_DEP_2) | instskip(NEXT) | instid1(VALU_DEP_2)
	v_pk_add_f32 v[80:81], v[80:81], v[110:111] neg_lo:[0,1] neg_hi:[0,1]
	v_pk_fma_f32 v[108:109], v[106:107], v[94:95], v[104:105] op_sel:[0,0,1] op_sel_hi:[1,1,0] neg_lo:[0,0,1] neg_hi:[0,0,1]
	v_pk_fma_f32 v[104:105], v[106:107], v[94:95], v[104:105] op_sel:[0,0,1] op_sel_hi:[1,0,0]
	s_delay_alu instid0(VALU_DEP_1) | instskip(SKIP_4) | instid1(VALU_DEP_1)
	v_mov_b32_e32 v109, v105
	ds_load_2addr_b64 v[104:107], v98 offset0:16 offset1:17
	v_pk_add_f32 v[26:27], v[26:27], v[108:109] neg_lo:[0,1] neg_hi:[0,1]
	s_wait_dscnt 0x0
	v_pk_mul_f32 v[108:109], v[104:105], v[96:97] op_sel:[0,1]
	v_pk_fma_f32 v[110:111], v[104:105], v[94:95], v[108:109] op_sel:[0,0,1] op_sel_hi:[1,1,0] neg_lo:[0,0,1] neg_hi:[0,0,1]
	v_pk_fma_f32 v[104:105], v[104:105], v[94:95], v[108:109] op_sel:[0,0,1] op_sel_hi:[1,0,0]
	v_dual_mul_f32 v108, v107, v97 :: v_dual_mov_b32 v104, v107
	s_delay_alu instid0(VALU_DEP_2) | instskip(NEXT) | instid1(VALU_DEP_2)
	v_dual_mov_b32 v111, v105 :: v_dual_mov_b32 v105, v106
	v_pk_fma_f32 v[108:109], v[106:107], v[84:85], v[108:109] op_sel_hi:[1,1,0] neg_lo:[0,0,1] neg_hi:[0,0,1]
	v_mul_f32_e32 v106, v107, v94
	s_delay_alu instid0(VALU_DEP_3) | instskip(NEXT) | instid1(VALU_DEP_2)
	v_pk_add_f32 v[76:77], v[76:77], v[110:111] neg_lo:[0,1] neg_hi:[0,1]
	v_pk_fma_f32 v[104:105], v[104:105], v[84:85], v[106:107] op_sel_hi:[1,1,0]
	s_delay_alu instid0(VALU_DEP_1) | instskip(SKIP_4) | instid1(VALU_DEP_1)
	v_mov_b32_e32 v109, v105
	ds_load_2addr_b64 v[104:107], v98 offset0:18 offset1:19
	v_pk_add_f32 v[72:73], v[72:73], v[108:109] neg_lo:[0,1] neg_hi:[0,1]
	s_wait_dscnt 0x0
	v_pk_mul_f32 v[108:109], v[104:105], v[96:97] op_sel:[0,1]
	v_pk_fma_f32 v[110:111], v[104:105], v[94:95], v[108:109] op_sel:[0,0,1] op_sel_hi:[1,1,0] neg_lo:[0,0,1] neg_hi:[0,0,1]
	v_pk_fma_f32 v[104:105], v[104:105], v[94:95], v[108:109] op_sel:[0,0,1] op_sel_hi:[1,0,0]
	s_delay_alu instid0(VALU_DEP_1) | instskip(SKIP_1) | instid1(VALU_DEP_1)
	v_mov_b32_e32 v111, v105
	v_pk_mul_f32 v[104:105], v[106:107], v[96:97] op_sel:[0,1]
	v_pk_fma_f32 v[108:109], v[106:107], v[94:95], v[104:105] op_sel:[0,0,1] op_sel_hi:[1,1,0] neg_lo:[0,0,1] neg_hi:[0,0,1]
	v_pk_fma_f32 v[104:105], v[106:107], v[94:95], v[104:105] op_sel:[0,0,1] op_sel_hi:[1,0,0]
	s_delay_alu instid0(VALU_DEP_1)
	v_mov_b32_e32 v109, v105
	ds_load_2addr_b64 v[104:107], v98 offset0:20 offset1:21
	v_pk_add_f32 v[74:75], v[74:75], v[110:111] neg_lo:[0,1] neg_hi:[0,1]
	v_pk_add_f32 v[24:25], v[24:25], v[108:109] neg_lo:[0,1] neg_hi:[0,1]
	s_wait_dscnt 0x0
	v_pk_mul_f32 v[108:109], v[104:105], v[96:97] op_sel:[0,1]
	s_delay_alu instid0(VALU_DEP_1) | instskip(SKIP_1) | instid1(VALU_DEP_1)
	v_pk_fma_f32 v[110:111], v[104:105], v[94:95], v[108:109] op_sel:[0,0,1] op_sel_hi:[1,1,0] neg_lo:[0,0,1] neg_hi:[0,0,1]
	v_pk_fma_f32 v[104:105], v[104:105], v[94:95], v[108:109] op_sel:[0,0,1] op_sel_hi:[1,0,0]
	v_mov_b32_e32 v111, v105
	v_pk_mul_f32 v[104:105], v[106:107], v[96:97] op_sel:[0,1]
	s_delay_alu instid0(VALU_DEP_1) | instskip(SKIP_1) | instid1(VALU_DEP_1)
	v_pk_fma_f32 v[108:109], v[106:107], v[94:95], v[104:105] op_sel:[0,0,1] op_sel_hi:[1,1,0] neg_lo:[0,0,1] neg_hi:[0,0,1]
	v_pk_fma_f32 v[104:105], v[106:107], v[94:95], v[104:105] op_sel:[0,0,1] op_sel_hi:[1,0,0]
	v_mov_b32_e32 v109, v105
	ds_load_2addr_b64 v[104:107], v98 offset0:22 offset1:23
	v_pk_add_f32 v[70:71], v[70:71], v[110:111] neg_lo:[0,1] neg_hi:[0,1]
	v_pk_add_f32 v[66:67], v[66:67], v[108:109] neg_lo:[0,1] neg_hi:[0,1]
	s_wait_dscnt 0x0
	v_dual_mul_f32 v108, v105, v97 :: v_dual_mul_f32 v110, v105, v94
	s_delay_alu instid0(VALU_DEP_1) | instskip(NEXT) | instid1(VALU_DEP_2)
	v_pk_fma_f32 v[108:109], v[104:105], v[84:85], v[108:109] op_sel_hi:[1,1,0] neg_lo:[0,0,1] neg_hi:[0,0,1]
	v_pk_fma_f32 v[104:105], v[104:105], v[84:85], v[110:111] op_sel:[1,0,0] op_sel_hi:[0,1,0]
	s_delay_alu instid0(VALU_DEP_1) | instskip(SKIP_1) | instid1(VALU_DEP_2)
	v_mov_b32_e32 v109, v105
	v_pk_mul_f32 v[104:105], v[106:107], v[96:97] op_sel:[0,1]
	v_pk_add_f32 v[68:69], v[68:69], v[108:109] neg_lo:[0,1] neg_hi:[0,1]
	s_delay_alu instid0(VALU_DEP_2) | instskip(SKIP_1) | instid1(VALU_DEP_1)
	v_pk_fma_f32 v[108:109], v[106:107], v[94:95], v[104:105] op_sel:[0,0,1] op_sel_hi:[1,1,0] neg_lo:[0,0,1] neg_hi:[0,0,1]
	v_pk_fma_f32 v[104:105], v[106:107], v[94:95], v[104:105] op_sel:[0,0,1] op_sel_hi:[1,0,0]
	v_mov_b32_e32 v109, v105
	ds_load_2addr_b64 v[104:107], v98 offset0:24 offset1:25
	v_pk_add_f32 v[22:23], v[22:23], v[108:109] neg_lo:[0,1] neg_hi:[0,1]
	s_wait_dscnt 0x0
	v_pk_mul_f32 v[108:109], v[104:105], v[96:97] op_sel:[0,1]
	s_delay_alu instid0(VALU_DEP_1) | instskip(SKIP_1) | instid1(VALU_DEP_1)
	v_pk_fma_f32 v[110:111], v[104:105], v[94:95], v[108:109] op_sel:[0,0,1] op_sel_hi:[1,1,0] neg_lo:[0,0,1] neg_hi:[0,0,1]
	v_pk_fma_f32 v[104:105], v[104:105], v[94:95], v[108:109] op_sel:[0,0,1] op_sel_hi:[1,0,0]
	v_mov_b32_e32 v111, v105
	v_pk_mul_f32 v[104:105], v[106:107], v[96:97] op_sel:[0,1]
	s_delay_alu instid0(VALU_DEP_2) | instskip(NEXT) | instid1(VALU_DEP_2)
	v_pk_add_f32 v[54:55], v[54:55], v[110:111] neg_lo:[0,1] neg_hi:[0,1]
	v_pk_fma_f32 v[108:109], v[106:107], v[94:95], v[104:105] op_sel:[0,0,1] op_sel_hi:[1,1,0] neg_lo:[0,0,1] neg_hi:[0,0,1]
	v_pk_fma_f32 v[104:105], v[106:107], v[94:95], v[104:105] op_sel:[0,0,1] op_sel_hi:[1,0,0]
	s_delay_alu instid0(VALU_DEP_1) | instskip(SKIP_4) | instid1(VALU_DEP_1)
	v_mov_b32_e32 v109, v105
	ds_load_2addr_b64 v[104:107], v98 offset0:26 offset1:27
	v_pk_add_f32 v[48:49], v[48:49], v[108:109] neg_lo:[0,1] neg_hi:[0,1]
	s_wait_dscnt 0x0
	v_pk_mul_f32 v[108:109], v[104:105], v[96:97] op_sel:[0,1]
	v_pk_fma_f32 v[110:111], v[104:105], v[94:95], v[108:109] op_sel:[0,0,1] op_sel_hi:[1,1,0] neg_lo:[0,0,1] neg_hi:[0,0,1]
	v_pk_fma_f32 v[104:105], v[104:105], v[94:95], v[108:109] op_sel:[0,0,1] op_sel_hi:[1,0,0]
	v_dual_mul_f32 v108, v107, v97 :: v_dual_mov_b32 v104, v107
	s_delay_alu instid0(VALU_DEP_2) | instskip(NEXT) | instid1(VALU_DEP_2)
	v_dual_mov_b32 v111, v105 :: v_dual_mov_b32 v105, v106
	v_pk_fma_f32 v[108:109], v[106:107], v[84:85], v[108:109] op_sel_hi:[1,1,0] neg_lo:[0,0,1] neg_hi:[0,0,1]
	v_mul_f32_e32 v106, v107, v94
	s_delay_alu instid0(VALU_DEP_3) | instskip(NEXT) | instid1(VALU_DEP_2)
	v_pk_add_f32 v[52:53], v[52:53], v[110:111] neg_lo:[0,1] neg_hi:[0,1]
	v_pk_fma_f32 v[104:105], v[104:105], v[84:85], v[106:107] op_sel_hi:[1,1,0]
	s_delay_alu instid0(VALU_DEP_1) | instskip(SKIP_4) | instid1(VALU_DEP_1)
	v_mov_b32_e32 v109, v105
	ds_load_2addr_b64 v[104:107], v98 offset0:28 offset1:29
	v_pk_add_f32 v[12:13], v[12:13], v[108:109] neg_lo:[0,1] neg_hi:[0,1]
	s_wait_dscnt 0x0
	v_pk_mul_f32 v[108:109], v[104:105], v[96:97] op_sel:[0,1]
	v_pk_fma_f32 v[110:111], v[104:105], v[94:95], v[108:109] op_sel:[0,0,1] op_sel_hi:[1,1,0] neg_lo:[0,0,1] neg_hi:[0,0,1]
	v_pk_fma_f32 v[104:105], v[104:105], v[94:95], v[108:109] op_sel:[0,0,1] op_sel_hi:[1,0,0]
	s_delay_alu instid0(VALU_DEP_1) | instskip(SKIP_1) | instid1(VALU_DEP_1)
	v_mov_b32_e32 v111, v105
	v_pk_mul_f32 v[104:105], v[106:107], v[96:97] op_sel:[0,1]
	v_pk_fma_f32 v[108:109], v[106:107], v[94:95], v[104:105] op_sel:[0,0,1] op_sel_hi:[1,1,0] neg_lo:[0,0,1] neg_hi:[0,0,1]
	v_pk_fma_f32 v[104:105], v[106:107], v[94:95], v[104:105] op_sel:[0,0,1] op_sel_hi:[1,0,0]
	s_delay_alu instid0(VALU_DEP_1)
	v_mov_b32_e32 v109, v105
	ds_load_2addr_b64 v[104:107], v98 offset0:30 offset1:31
	v_pk_add_f32 v[46:47], v[46:47], v[110:111] neg_lo:[0,1] neg_hi:[0,1]
	v_pk_add_f32 v[42:43], v[42:43], v[108:109] neg_lo:[0,1] neg_hi:[0,1]
	s_wait_dscnt 0x0
	v_pk_mul_f32 v[108:109], v[104:105], v[96:97] op_sel:[0,1]
	s_delay_alu instid0(VALU_DEP_1) | instskip(SKIP_1) | instid1(VALU_DEP_1)
	v_pk_fma_f32 v[110:111], v[104:105], v[94:95], v[108:109] op_sel:[0,0,1] op_sel_hi:[1,1,0] neg_lo:[0,0,1] neg_hi:[0,0,1]
	v_pk_fma_f32 v[104:105], v[104:105], v[94:95], v[108:109] op_sel:[0,0,1] op_sel_hi:[1,0,0]
	v_mov_b32_e32 v111, v105
	v_pk_mul_f32 v[104:105], v[106:107], v[96:97] op_sel:[0,1]
	s_delay_alu instid0(VALU_DEP_1) | instskip(SKIP_1) | instid1(VALU_DEP_1)
	v_pk_fma_f32 v[108:109], v[106:107], v[94:95], v[104:105] op_sel:[0,0,1] op_sel_hi:[1,1,0] neg_lo:[0,0,1] neg_hi:[0,0,1]
	v_pk_fma_f32 v[104:105], v[106:107], v[94:95], v[104:105] op_sel:[0,0,1] op_sel_hi:[1,0,0]
	v_mov_b32_e32 v109, v105
	ds_load_2addr_b64 v[104:107], v98 offset0:32 offset1:33
	v_pk_add_f32 v[44:45], v[44:45], v[110:111] neg_lo:[0,1] neg_hi:[0,1]
	v_pk_add_f32 v[10:11], v[10:11], v[108:109] neg_lo:[0,1] neg_hi:[0,1]
	s_wait_dscnt 0x0
	v_dual_mul_f32 v108, v105, v97 :: v_dual_mul_f32 v110, v105, v94
	s_delay_alu instid0(VALU_DEP_1) | instskip(NEXT) | instid1(VALU_DEP_2)
	v_pk_fma_f32 v[108:109], v[104:105], v[84:85], v[108:109] op_sel_hi:[1,1,0] neg_lo:[0,0,1] neg_hi:[0,0,1]
	v_pk_fma_f32 v[104:105], v[104:105], v[84:85], v[110:111] op_sel:[1,0,0] op_sel_hi:[0,1,0]
	s_delay_alu instid0(VALU_DEP_1) | instskip(SKIP_1) | instid1(VALU_DEP_2)
	v_mov_b32_e32 v109, v105
	v_pk_mul_f32 v[104:105], v[106:107], v[96:97] op_sel:[0,1]
	v_pk_add_f32 v[40:41], v[40:41], v[108:109] neg_lo:[0,1] neg_hi:[0,1]
	s_delay_alu instid0(VALU_DEP_2) | instskip(SKIP_1) | instid1(VALU_DEP_1)
	v_pk_fma_f32 v[108:109], v[106:107], v[94:95], v[104:105] op_sel:[0,0,1] op_sel_hi:[1,1,0] neg_lo:[0,0,1] neg_hi:[0,0,1]
	v_pk_fma_f32 v[104:105], v[106:107], v[94:95], v[104:105] op_sel:[0,0,1] op_sel_hi:[1,0,0]
	v_mov_b32_e32 v109, v105
	ds_load_2addr_b64 v[104:107], v98 offset0:34 offset1:35
	v_pk_add_f32 v[36:37], v[36:37], v[108:109] neg_lo:[0,1] neg_hi:[0,1]
	s_wait_dscnt 0x0
	v_pk_mul_f32 v[108:109], v[104:105], v[96:97] op_sel:[0,1]
	s_delay_alu instid0(VALU_DEP_1) | instskip(SKIP_1) | instid1(VALU_DEP_1)
	v_pk_fma_f32 v[110:111], v[104:105], v[94:95], v[108:109] op_sel:[0,0,1] op_sel_hi:[1,1,0] neg_lo:[0,0,1] neg_hi:[0,0,1]
	v_pk_fma_f32 v[104:105], v[104:105], v[94:95], v[108:109] op_sel:[0,0,1] op_sel_hi:[1,0,0]
	v_mov_b32_e32 v111, v105
	v_pk_mul_f32 v[104:105], v[106:107], v[96:97] op_sel:[0,1]
	s_delay_alu instid0(VALU_DEP_2) | instskip(NEXT) | instid1(VALU_DEP_2)
	v_pk_add_f32 v[38:39], v[38:39], v[110:111] neg_lo:[0,1] neg_hi:[0,1]
	v_pk_fma_f32 v[108:109], v[106:107], v[94:95], v[104:105] op_sel:[0,0,1] op_sel_hi:[1,1,0] neg_lo:[0,0,1] neg_hi:[0,0,1]
	v_pk_fma_f32 v[104:105], v[106:107], v[94:95], v[104:105] op_sel:[0,0,1] op_sel_hi:[1,0,0]
	s_delay_alu instid0(VALU_DEP_1) | instskip(SKIP_4) | instid1(VALU_DEP_1)
	v_mov_b32_e32 v109, v105
	ds_load_2addr_b64 v[104:107], v98 offset0:36 offset1:37
	v_pk_add_f32 v[6:7], v[6:7], v[108:109] neg_lo:[0,1] neg_hi:[0,1]
	s_wait_dscnt 0x0
	v_pk_mul_f32 v[108:109], v[104:105], v[96:97] op_sel:[0,1]
	v_pk_fma_f32 v[110:111], v[104:105], v[94:95], v[108:109] op_sel:[0,0,1] op_sel_hi:[1,1,0] neg_lo:[0,0,1] neg_hi:[0,0,1]
	v_pk_fma_f32 v[104:105], v[104:105], v[94:95], v[108:109] op_sel:[0,0,1] op_sel_hi:[1,0,0]
	v_dual_mul_f32 v108, v107, v97 :: v_dual_mov_b32 v104, v107
	s_delay_alu instid0(VALU_DEP_2) | instskip(NEXT) | instid1(VALU_DEP_2)
	v_dual_mov_b32 v111, v105 :: v_dual_mov_b32 v105, v106
	v_pk_fma_f32 v[108:109], v[106:107], v[84:85], v[108:109] op_sel_hi:[1,1,0] neg_lo:[0,0,1] neg_hi:[0,0,1]
	v_mul_f32_e32 v106, v107, v94
	s_delay_alu instid0(VALU_DEP_3) | instskip(NEXT) | instid1(VALU_DEP_2)
	v_pk_add_f32 v[34:35], v[34:35], v[110:111] neg_lo:[0,1] neg_hi:[0,1]
	v_pk_fma_f32 v[104:105], v[104:105], v[84:85], v[106:107] op_sel_hi:[1,1,0]
	s_delay_alu instid0(VALU_DEP_1) | instskip(SKIP_4) | instid1(VALU_DEP_1)
	v_mov_b32_e32 v109, v105
	ds_load_2addr_b64 v[104:107], v98 offset0:38 offset1:39
	v_pk_add_f32 v[30:31], v[30:31], v[108:109] neg_lo:[0,1] neg_hi:[0,1]
	s_wait_dscnt 0x0
	v_pk_mul_f32 v[108:109], v[104:105], v[96:97] op_sel:[0,1]
	v_pk_fma_f32 v[110:111], v[104:105], v[94:95], v[108:109] op_sel:[0,0,1] op_sel_hi:[1,1,0] neg_lo:[0,0,1] neg_hi:[0,0,1]
	v_pk_fma_f32 v[104:105], v[104:105], v[94:95], v[108:109] op_sel:[0,0,1] op_sel_hi:[1,0,0]
	s_delay_alu instid0(VALU_DEP_1) | instskip(SKIP_1) | instid1(VALU_DEP_1)
	v_mov_b32_e32 v111, v105
	v_pk_mul_f32 v[104:105], v[106:107], v[96:97] op_sel:[0,1]
	v_pk_fma_f32 v[108:109], v[106:107], v[94:95], v[104:105] op_sel:[0,0,1] op_sel_hi:[1,1,0] neg_lo:[0,0,1] neg_hi:[0,0,1]
	v_pk_fma_f32 v[104:105], v[106:107], v[94:95], v[104:105] op_sel:[0,0,1] op_sel_hi:[1,0,0]
	s_delay_alu instid0(VALU_DEP_1)
	v_mov_b32_e32 v109, v105
	ds_load_2addr_b64 v[104:107], v98 offset0:40 offset1:41
	v_pk_add_f32 v[32:33], v[32:33], v[110:111] neg_lo:[0,1] neg_hi:[0,1]
	v_pk_add_f32 v[8:9], v[8:9], v[108:109] neg_lo:[0,1] neg_hi:[0,1]
	s_wait_dscnt 0x0
	v_pk_mul_f32 v[108:109], v[104:105], v[96:97] op_sel:[0,1]
	s_delay_alu instid0(VALU_DEP_1) | instskip(SKIP_1) | instid1(VALU_DEP_1)
	v_pk_fma_f32 v[110:111], v[104:105], v[94:95], v[108:109] op_sel:[0,0,1] op_sel_hi:[1,1,0] neg_lo:[0,0,1] neg_hi:[0,0,1]
	v_pk_fma_f32 v[104:105], v[104:105], v[94:95], v[108:109] op_sel:[0,0,1] op_sel_hi:[1,0,0]
	v_mov_b32_e32 v111, v105
	v_pk_mul_f32 v[104:105], v[106:107], v[96:97] op_sel:[0,1]
	s_delay_alu instid0(VALU_DEP_1) | instskip(SKIP_1) | instid1(VALU_DEP_1)
	v_pk_fma_f32 v[108:109], v[106:107], v[94:95], v[104:105] op_sel:[0,0,1] op_sel_hi:[1,1,0] neg_lo:[0,0,1] neg_hi:[0,0,1]
	v_pk_fma_f32 v[104:105], v[106:107], v[94:95], v[104:105] op_sel:[0,0,1] op_sel_hi:[1,0,0]
	v_mov_b32_e32 v109, v105
	ds_load_2addr_b64 v[104:107], v98 offset0:42 offset1:43
	v_pk_add_f32 v[28:29], v[28:29], v[110:111] neg_lo:[0,1] neg_hi:[0,1]
	v_pk_add_f32 v[20:21], v[20:21], v[108:109] neg_lo:[0,1] neg_hi:[0,1]
	s_wait_dscnt 0x0
	v_dual_mul_f32 v108, v105, v97 :: v_dual_mul_f32 v110, v105, v94
	v_pk_mul_f32 v[96:97], v[106:107], v[96:97] op_sel:[0,1]
	s_delay_alu instid0(VALU_DEP_2) | instskip(NEXT) | instid1(VALU_DEP_3)
	v_pk_fma_f32 v[108:109], v[104:105], v[84:85], v[108:109] op_sel_hi:[1,1,0] neg_lo:[0,0,1] neg_hi:[0,0,1]
	v_pk_fma_f32 v[104:105], v[104:105], v[84:85], v[110:111] op_sel:[1,0,0] op_sel_hi:[0,1,0]
	s_delay_alu instid0(VALU_DEP_1) | instskip(NEXT) | instid1(VALU_DEP_4)
	v_mov_b32_e32 v109, v105
	v_pk_fma_f32 v[104:105], v[106:107], v[94:95], v[96:97] op_sel:[0,0,1] op_sel_hi:[1,1,0] neg_lo:[0,0,1] neg_hi:[0,0,1]
	v_pk_fma_f32 v[94:95], v[106:107], v[94:95], v[96:97] op_sel:[0,0,1] op_sel_hi:[1,0,0]
	s_delay_alu instid0(VALU_DEP_1) | instskip(NEXT) | instid1(VALU_DEP_4)
	v_mov_b32_e32 v105, v95
	v_pk_add_f32 v[16:17], v[16:17], v[108:109] neg_lo:[0,1] neg_hi:[0,1]
	s_delay_alu instid0(VALU_DEP_2)
	v_pk_add_f32 v[92:93], v[92:93], v[104:105] neg_lo:[0,1] neg_hi:[0,1]
.LBB86_83:
	s_or_b32 exec_lo, exec_lo, s0
	v_lshl_add_u32 v94, v102, 3, v98
	s_barrier_signal -1
	s_barrier_wait -1
	ds_store_b64 v94, v[58:59]
	s_wait_dscnt 0x0
	s_barrier_signal -1
	s_barrier_wait -1
	ds_load_b64 v[96:97], v98 offset:32
	v_mov_b32_e32 v94, 4
	s_cmp_lt_i32 s18, 6
	s_cbranch_scc1 .LBB86_86
; %bb.84:
	v_add3_u32 v95, v99, 0, 40
	v_mov_b32_e32 v94, 4
	s_mov_b32 s0, 5
.LBB86_85:                              ; =>This Inner Loop Header: Depth=1
	ds_load_b64 v[104:105], v95
	s_wait_dscnt 0x1
	v_cmp_gt_f32_e32 vcc_lo, 0, v96
	v_cndmask_b32_e64 v106, v96, -v96, vcc_lo
	v_cmp_gt_f32_e32 vcc_lo, 0, v97
	v_cndmask_b32_e64 v108, v97, -v97, vcc_lo
	s_wait_dscnt 0x0
	v_cmp_gt_f32_e32 vcc_lo, 0, v104
	v_cndmask_b32_e64 v107, v104, -v104, vcc_lo
	v_cmp_gt_f32_e32 vcc_lo, 0, v105
	v_cndmask_b32_e64 v109, v105, -v105, vcc_lo
	s_delay_alu instid0(VALU_DEP_1) | instskip(NEXT) | instid1(VALU_DEP_1)
	v_pk_add_f32 v[106:107], v[106:107], v[108:109]
	v_cmp_lt_f32_e32 vcc_lo, v106, v107
	v_dual_add_nc_u32 v95, 8, v95 :: v_dual_cndmask_b32 v97, v97, v105, vcc_lo
	v_cndmask_b32_e32 v96, v96, v104, vcc_lo
	v_cndmask_b32_e64 v94, v94, s0, vcc_lo
	s_add_co_i32 s0, s0, 1
	s_delay_alu instid0(SALU_CYCLE_1)
	s_cmp_lg_u32 s18, s0
	s_cbranch_scc1 .LBB86_85
.LBB86_86:
	s_wait_dscnt 0x0
	v_cmp_eq_f32_e32 vcc_lo, 0, v96
	v_cmp_eq_f32_e64 s0, 0, v97
	s_and_b32 s0, vcc_lo, s0
	s_delay_alu instid0(SALU_CYCLE_1) | instskip(NEXT) | instid1(SALU_CYCLE_1)
	s_and_saveexec_b32 s1, s0
	s_xor_b32 s0, exec_lo, s1
; %bb.87:
	v_cmp_ne_u32_e32 vcc_lo, 0, v100
	v_cndmask_b32_e32 v100, 5, v100, vcc_lo
; %bb.88:
	s_and_not1_saveexec_b32 s0, s0
	s_cbranch_execz .LBB86_94
; %bb.89:
	v_cmp_ngt_f32_e64 s1, |v96|, |v97|
	s_and_saveexec_b32 s12, s1
	s_delay_alu instid0(SALU_CYCLE_1)
	s_xor_b32 s1, exec_lo, s12
	s_cbranch_execz .LBB86_91
; %bb.90:
	v_div_scale_f32 v95, null, v97, v97, v96
	v_div_scale_f32 v105, vcc_lo, v96, v97, v96
	s_delay_alu instid0(VALU_DEP_2) | instskip(SKIP_1) | instid1(TRANS32_DEP_1)
	v_rcp_f32_e32 v103, v95
	v_nop
	v_fma_f32 v104, -v95, v103, 1.0
	s_delay_alu instid0(VALU_DEP_1) | instskip(NEXT) | instid1(VALU_DEP_1)
	v_fmac_f32_e32 v103, v104, v103
	v_mul_f32_e32 v104, v105, v103
	s_delay_alu instid0(VALU_DEP_1) | instskip(NEXT) | instid1(VALU_DEP_1)
	v_fma_f32 v106, -v95, v104, v105
	v_fmac_f32_e32 v104, v106, v103
	s_delay_alu instid0(VALU_DEP_1) | instskip(NEXT) | instid1(VALU_DEP_1)
	v_fma_f32 v95, -v95, v104, v105
	v_div_fmas_f32 v95, v95, v103, v104
	s_delay_alu instid0(VALU_DEP_1) | instskip(NEXT) | instid1(VALU_DEP_1)
	v_div_fixup_f32 v95, v95, v97, v96
	v_fmac_f32_e32 v97, v96, v95
	s_delay_alu instid0(VALU_DEP_1) | instskip(SKIP_1) | instid1(VALU_DEP_2)
	v_div_scale_f32 v96, null, v97, v97, 1.0
	v_div_scale_f32 v105, vcc_lo, 1.0, v97, 1.0
	v_rcp_f32_e32 v103, v96
	v_nop
	s_delay_alu instid0(TRANS32_DEP_1) | instskip(NEXT) | instid1(VALU_DEP_1)
	v_fma_f32 v104, -v96, v103, 1.0
	v_fmac_f32_e32 v103, v104, v103
	s_delay_alu instid0(VALU_DEP_1) | instskip(NEXT) | instid1(VALU_DEP_1)
	v_mul_f32_e32 v104, v105, v103
	v_fma_f32 v106, -v96, v104, v105
	s_delay_alu instid0(VALU_DEP_1) | instskip(NEXT) | instid1(VALU_DEP_1)
	v_fmac_f32_e32 v104, v106, v103
	v_fma_f32 v96, -v96, v104, v105
	s_delay_alu instid0(VALU_DEP_1) | instskip(NEXT) | instid1(VALU_DEP_1)
	v_div_fmas_f32 v96, v96, v103, v104
	v_div_fixup_f32 v97, v96, v97, 1.0
	s_delay_alu instid0(VALU_DEP_1)
	v_mul_f32_e32 v96, v95, v97
	v_xor_b32_e32 v97, 0x80000000, v97
.LBB86_91:
	s_and_not1_saveexec_b32 s1, s1
	s_cbranch_execz .LBB86_93
; %bb.92:
	s_delay_alu instid0(VALU_DEP_1) | instskip(SKIP_1) | instid1(VALU_DEP_2)
	v_div_scale_f32 v95, null, v96, v96, v97
	v_div_scale_f32 v105, vcc_lo, v97, v96, v97
	v_rcp_f32_e32 v103, v95
	v_nop
	s_delay_alu instid0(TRANS32_DEP_1) | instskip(NEXT) | instid1(VALU_DEP_1)
	v_fma_f32 v104, -v95, v103, 1.0
	v_fmac_f32_e32 v103, v104, v103
	s_delay_alu instid0(VALU_DEP_1) | instskip(NEXT) | instid1(VALU_DEP_1)
	v_mul_f32_e32 v104, v105, v103
	v_fma_f32 v106, -v95, v104, v105
	s_delay_alu instid0(VALU_DEP_1) | instskip(NEXT) | instid1(VALU_DEP_1)
	v_fmac_f32_e32 v104, v106, v103
	v_fma_f32 v95, -v95, v104, v105
	s_delay_alu instid0(VALU_DEP_1) | instskip(NEXT) | instid1(VALU_DEP_1)
	v_div_fmas_f32 v95, v95, v103, v104
	v_div_fixup_f32 v95, v95, v96, v97
	s_delay_alu instid0(VALU_DEP_1) | instskip(NEXT) | instid1(VALU_DEP_1)
	v_fmac_f32_e32 v96, v97, v95
	v_div_scale_f32 v97, null, v96, v96, 1.0
	s_delay_alu instid0(VALU_DEP_1) | instskip(SKIP_1) | instid1(TRANS32_DEP_1)
	v_rcp_f32_e32 v103, v97
	v_nop
	v_fma_f32 v104, -v97, v103, 1.0
	s_delay_alu instid0(VALU_DEP_1) | instskip(SKIP_1) | instid1(VALU_DEP_1)
	v_fmac_f32_e32 v103, v104, v103
	v_div_scale_f32 v104, vcc_lo, 1.0, v96, 1.0
	v_mul_f32_e32 v105, v104, v103
	s_delay_alu instid0(VALU_DEP_1) | instskip(NEXT) | instid1(VALU_DEP_1)
	v_fma_f32 v106, -v97, v105, v104
	v_fmac_f32_e32 v105, v106, v103
	s_delay_alu instid0(VALU_DEP_1) | instskip(NEXT) | instid1(VALU_DEP_1)
	v_fma_f32 v97, -v97, v105, v104
	v_div_fmas_f32 v97, v97, v103, v105
	s_delay_alu instid0(VALU_DEP_1) | instskip(NEXT) | instid1(VALU_DEP_1)
	v_div_fixup_f32 v96, v97, v96, 1.0
	v_mul_f32_e64 v97, v95, -v96
.LBB86_93:
	s_or_b32 exec_lo, exec_lo, s1
.LBB86_94:
	s_delay_alu instid0(SALU_CYCLE_1) | instskip(NEXT) | instid1(SALU_CYCLE_1)
	s_or_b32 exec_lo, exec_lo, s0
	s_mov_b32 s0, exec_lo
	v_cmpx_ne_u32_e64 v102, v94
	s_xor_b32 s0, exec_lo, s0
	s_cbranch_execz .LBB86_100
; %bb.95:
	s_mov_b32 s1, exec_lo
	v_cmpx_eq_u32_e32 4, v102
	s_cbranch_execz .LBB86_99
; %bb.96:
	v_cmp_ne_u32_e32 vcc_lo, 4, v94
	s_xor_b32 s12, s16, -1
	s_delay_alu instid0(SALU_CYCLE_1) | instskip(NEXT) | instid1(SALU_CYCLE_1)
	s_and_b32 s13, s12, vcc_lo
	s_and_saveexec_b32 s12, s13
	s_cbranch_execz .LBB86_98
; %bb.97:
	v_ashrrev_i32_e32 v95, 31, v94
	s_delay_alu instid0(VALU_DEP_1)
	v_lshl_add_u64 v[102:103], v[94:95], 2, v[4:5]
	s_clause 0x1
	global_load_b32 v95, v[102:103], off
	global_load_b32 v101, v[4:5], off offset:16
	s_wait_loadcnt 0x1
	global_store_b32 v[4:5], v95, off offset:16
	s_wait_loadcnt 0x0
	global_store_b32 v[102:103], v101, off
.LBB86_98:
	s_wait_xcnt 0x0
	s_or_b32 exec_lo, exec_lo, s12
	v_dual_mov_b32 v102, v94 :: v_dual_mov_b32 v101, v94
.LBB86_99:
	s_or_b32 exec_lo, exec_lo, s1
.LBB86_100:
	s_and_not1_saveexec_b32 s0, s0
	s_cbranch_execz .LBB86_102
; %bb.101:
	v_mov_b32_e32 v102, 4
	ds_store_2addr_b64 v98, v[50:51], v[56:57] offset0:5 offset1:6
	ds_store_2addr_b64 v98, v[14:15], v[64:65] offset0:7 offset1:8
	;; [unrolled: 1-line block ×19, first 2 shown]
	ds_store_b64 v98, v[92:93] offset:344
.LBB86_102:
	s_or_b32 exec_lo, exec_lo, s0
	s_delay_alu instid0(SALU_CYCLE_1)
	s_mov_b32 s0, exec_lo
	s_wait_storecnt_dscnt 0x0
	s_barrier_signal -1
	s_barrier_wait -1
	v_cmpx_lt_i32_e32 4, v102
	s_cbranch_execz .LBB86_104
; %bb.103:
	v_pk_mul_f32 v[104:105], v[96:97], v[58:59] op_sel:[1,1] op_sel_hi:[0,1]
	s_delay_alu instid0(VALU_DEP_1)
	v_pk_fma_f32 v[94:95], v[96:97], v[58:59], v[104:105] op_sel_hi:[1,0,1] neg_lo:[0,0,1] neg_hi:[0,0,1]
	v_pk_fma_f32 v[96:97], v[96:97], v[58:59], v[104:105] op_sel_hi:[1,0,1]
	ds_load_2addr_b64 v[104:107], v98 offset0:5 offset1:6
	v_dual_mov_b32 v58, v94 :: v_dual_mov_b32 v59, v97
	s_wait_dscnt 0x0
	v_pk_mul_f32 v[108:109], v[104:105], v[96:97] op_sel:[0,1]
	s_delay_alu instid0(VALU_DEP_1) | instskip(SKIP_1) | instid1(VALU_DEP_1)
	v_pk_fma_f32 v[110:111], v[104:105], v[94:95], v[108:109] op_sel:[0,0,1] op_sel_hi:[1,1,0] neg_lo:[0,0,1] neg_hi:[0,0,1]
	v_pk_fma_f32 v[104:105], v[104:105], v[94:95], v[108:109] op_sel:[0,0,1] op_sel_hi:[1,0,0]
	v_mov_b32_e32 v111, v105
	v_pk_mul_f32 v[104:105], v[106:107], v[96:97] op_sel:[0,1]
	s_delay_alu instid0(VALU_DEP_1) | instskip(SKIP_1) | instid1(VALU_DEP_1)
	v_pk_fma_f32 v[108:109], v[106:107], v[94:95], v[104:105] op_sel:[0,0,1] op_sel_hi:[1,1,0] neg_lo:[0,0,1] neg_hi:[0,0,1]
	v_pk_fma_f32 v[104:105], v[106:107], v[94:95], v[104:105] op_sel:[0,0,1] op_sel_hi:[1,0,0]
	v_mov_b32_e32 v109, v105
	ds_load_2addr_b64 v[104:107], v98 offset0:7 offset1:8
	v_pk_add_f32 v[50:51], v[50:51], v[110:111] neg_lo:[0,1] neg_hi:[0,1]
	v_pk_add_f32 v[56:57], v[56:57], v[108:109] neg_lo:[0,1] neg_hi:[0,1]
	s_wait_dscnt 0x0
	v_pk_mul_f32 v[108:109], v[104:105], v[96:97] op_sel:[0,1]
	s_delay_alu instid0(VALU_DEP_1) | instskip(SKIP_2) | instid1(VALU_DEP_2)
	v_pk_fma_f32 v[110:111], v[104:105], v[94:95], v[108:109] op_sel:[0,0,1] op_sel_hi:[1,1,0] neg_lo:[0,0,1] neg_hi:[0,0,1]
	v_pk_fma_f32 v[104:105], v[104:105], v[94:95], v[108:109] op_sel:[0,0,1] op_sel_hi:[1,0,0]
	v_dual_mul_f32 v108, v107, v97 :: v_dual_mov_b32 v104, v107
	v_dual_mov_b32 v111, v105 :: v_dual_mov_b32 v105, v106
	s_delay_alu instid0(VALU_DEP_2) | instskip(SKIP_1) | instid1(VALU_DEP_3)
	v_pk_fma_f32 v[108:109], v[106:107], v[58:59], v[108:109] op_sel_hi:[1,1,0] neg_lo:[0,0,1] neg_hi:[0,0,1]
	v_mul_f32_e32 v106, v107, v94
	v_pk_add_f32 v[14:15], v[14:15], v[110:111] neg_lo:[0,1] neg_hi:[0,1]
	s_delay_alu instid0(VALU_DEP_2) | instskip(NEXT) | instid1(VALU_DEP_1)
	v_pk_fma_f32 v[104:105], v[104:105], v[58:59], v[106:107] op_sel_hi:[1,1,0]
	v_mov_b32_e32 v109, v105
	ds_load_2addr_b64 v[104:107], v98 offset0:9 offset1:10
	v_pk_add_f32 v[64:65], v[64:65], v[108:109] neg_lo:[0,1] neg_hi:[0,1]
	s_wait_dscnt 0x0
	v_pk_mul_f32 v[108:109], v[104:105], v[96:97] op_sel:[0,1]
	s_delay_alu instid0(VALU_DEP_1) | instskip(SKIP_1) | instid1(VALU_DEP_1)
	v_pk_fma_f32 v[110:111], v[104:105], v[94:95], v[108:109] op_sel:[0,0,1] op_sel_hi:[1,1,0] neg_lo:[0,0,1] neg_hi:[0,0,1]
	v_pk_fma_f32 v[104:105], v[104:105], v[94:95], v[108:109] op_sel:[0,0,1] op_sel_hi:[1,0,0]
	v_mov_b32_e32 v111, v105
	v_pk_mul_f32 v[104:105], v[106:107], v[96:97] op_sel:[0,1]
	s_delay_alu instid0(VALU_DEP_1) | instskip(SKIP_1) | instid1(VALU_DEP_1)
	v_pk_fma_f32 v[108:109], v[106:107], v[94:95], v[104:105] op_sel:[0,0,1] op_sel_hi:[1,1,0] neg_lo:[0,0,1] neg_hi:[0,0,1]
	v_pk_fma_f32 v[104:105], v[106:107], v[94:95], v[104:105] op_sel:[0,0,1] op_sel_hi:[1,0,0]
	v_mov_b32_e32 v109, v105
	ds_load_2addr_b64 v[104:107], v98 offset0:11 offset1:12
	v_pk_add_f32 v[60:61], v[60:61], v[110:111] neg_lo:[0,1] neg_hi:[0,1]
	v_pk_add_f32 v[62:63], v[62:63], v[108:109] neg_lo:[0,1] neg_hi:[0,1]
	s_wait_dscnt 0x0
	v_pk_mul_f32 v[108:109], v[104:105], v[96:97] op_sel:[0,1]
	s_delay_alu instid0(VALU_DEP_1) | instskip(SKIP_1) | instid1(VALU_DEP_1)
	v_pk_fma_f32 v[110:111], v[104:105], v[94:95], v[108:109] op_sel:[0,0,1] op_sel_hi:[1,1,0] neg_lo:[0,0,1] neg_hi:[0,0,1]
	v_pk_fma_f32 v[104:105], v[104:105], v[94:95], v[108:109] op_sel:[0,0,1] op_sel_hi:[1,0,0]
	v_mov_b32_e32 v111, v105
	v_pk_mul_f32 v[104:105], v[106:107], v[96:97] op_sel:[0,1]
	s_delay_alu instid0(VALU_DEP_1) | instskip(SKIP_1) | instid1(VALU_DEP_1)
	v_pk_fma_f32 v[108:109], v[106:107], v[94:95], v[104:105] op_sel:[0,0,1] op_sel_hi:[1,1,0] neg_lo:[0,0,1] neg_hi:[0,0,1]
	v_pk_fma_f32 v[104:105], v[106:107], v[94:95], v[104:105] op_sel:[0,0,1] op_sel_hi:[1,0,0]
	v_mov_b32_e32 v109, v105
	ds_load_2addr_b64 v[104:107], v98 offset0:13 offset1:14
	v_pk_add_f32 v[18:19], v[18:19], v[110:111] neg_lo:[0,1] neg_hi:[0,1]
	v_pk_add_f32 v[82:83], v[82:83], v[108:109] neg_lo:[0,1] neg_hi:[0,1]
	s_wait_dscnt 0x0
	v_dual_mul_f32 v108, v105, v97 :: v_dual_mul_f32 v110, v105, v94
	s_delay_alu instid0(VALU_DEP_1) | instskip(NEXT) | instid1(VALU_DEP_2)
	v_pk_fma_f32 v[108:109], v[104:105], v[58:59], v[108:109] op_sel_hi:[1,1,0] neg_lo:[0,0,1] neg_hi:[0,0,1]
	v_pk_fma_f32 v[104:105], v[104:105], v[58:59], v[110:111] op_sel:[1,0,0] op_sel_hi:[0,1,0]
	s_delay_alu instid0(VALU_DEP_1) | instskip(SKIP_1) | instid1(VALU_DEP_2)
	v_mov_b32_e32 v109, v105
	v_pk_mul_f32 v[104:105], v[106:107], v[96:97] op_sel:[0,1]
	v_pk_add_f32 v[78:79], v[78:79], v[108:109] neg_lo:[0,1] neg_hi:[0,1]
	s_delay_alu instid0(VALU_DEP_2) | instskip(SKIP_1) | instid1(VALU_DEP_1)
	v_pk_fma_f32 v[108:109], v[106:107], v[94:95], v[104:105] op_sel:[0,0,1] op_sel_hi:[1,1,0] neg_lo:[0,0,1] neg_hi:[0,0,1]
	v_pk_fma_f32 v[104:105], v[106:107], v[94:95], v[104:105] op_sel:[0,0,1] op_sel_hi:[1,0,0]
	v_mov_b32_e32 v109, v105
	ds_load_2addr_b64 v[104:107], v98 offset0:15 offset1:16
	v_pk_add_f32 v[80:81], v[80:81], v[108:109] neg_lo:[0,1] neg_hi:[0,1]
	s_wait_dscnt 0x0
	v_pk_mul_f32 v[108:109], v[104:105], v[96:97] op_sel:[0,1]
	s_delay_alu instid0(VALU_DEP_1) | instskip(SKIP_1) | instid1(VALU_DEP_1)
	v_pk_fma_f32 v[110:111], v[104:105], v[94:95], v[108:109] op_sel:[0,0,1] op_sel_hi:[1,1,0] neg_lo:[0,0,1] neg_hi:[0,0,1]
	v_pk_fma_f32 v[104:105], v[104:105], v[94:95], v[108:109] op_sel:[0,0,1] op_sel_hi:[1,0,0]
	v_mov_b32_e32 v111, v105
	v_pk_mul_f32 v[104:105], v[106:107], v[96:97] op_sel:[0,1]
	s_delay_alu instid0(VALU_DEP_2) | instskip(NEXT) | instid1(VALU_DEP_2)
	v_pk_add_f32 v[26:27], v[26:27], v[110:111] neg_lo:[0,1] neg_hi:[0,1]
	v_pk_fma_f32 v[108:109], v[106:107], v[94:95], v[104:105] op_sel:[0,0,1] op_sel_hi:[1,1,0] neg_lo:[0,0,1] neg_hi:[0,0,1]
	v_pk_fma_f32 v[104:105], v[106:107], v[94:95], v[104:105] op_sel:[0,0,1] op_sel_hi:[1,0,0]
	s_delay_alu instid0(VALU_DEP_1) | instskip(SKIP_4) | instid1(VALU_DEP_1)
	v_mov_b32_e32 v109, v105
	ds_load_2addr_b64 v[104:107], v98 offset0:17 offset1:18
	v_pk_add_f32 v[76:77], v[76:77], v[108:109] neg_lo:[0,1] neg_hi:[0,1]
	s_wait_dscnt 0x0
	v_pk_mul_f32 v[108:109], v[104:105], v[96:97] op_sel:[0,1]
	v_pk_fma_f32 v[110:111], v[104:105], v[94:95], v[108:109] op_sel:[0,0,1] op_sel_hi:[1,1,0] neg_lo:[0,0,1] neg_hi:[0,0,1]
	v_pk_fma_f32 v[104:105], v[104:105], v[94:95], v[108:109] op_sel:[0,0,1] op_sel_hi:[1,0,0]
	v_dual_mul_f32 v108, v107, v97 :: v_dual_mov_b32 v104, v107
	s_delay_alu instid0(VALU_DEP_2) | instskip(NEXT) | instid1(VALU_DEP_2)
	v_dual_mov_b32 v111, v105 :: v_dual_mov_b32 v105, v106
	v_pk_fma_f32 v[108:109], v[106:107], v[58:59], v[108:109] op_sel_hi:[1,1,0] neg_lo:[0,0,1] neg_hi:[0,0,1]
	v_mul_f32_e32 v106, v107, v94
	s_delay_alu instid0(VALU_DEP_3) | instskip(NEXT) | instid1(VALU_DEP_2)
	v_pk_add_f32 v[72:73], v[72:73], v[110:111] neg_lo:[0,1] neg_hi:[0,1]
	v_pk_fma_f32 v[104:105], v[104:105], v[58:59], v[106:107] op_sel_hi:[1,1,0]
	s_delay_alu instid0(VALU_DEP_1) | instskip(SKIP_4) | instid1(VALU_DEP_1)
	v_mov_b32_e32 v109, v105
	ds_load_2addr_b64 v[104:107], v98 offset0:19 offset1:20
	v_pk_add_f32 v[74:75], v[74:75], v[108:109] neg_lo:[0,1] neg_hi:[0,1]
	s_wait_dscnt 0x0
	v_pk_mul_f32 v[108:109], v[104:105], v[96:97] op_sel:[0,1]
	v_pk_fma_f32 v[110:111], v[104:105], v[94:95], v[108:109] op_sel:[0,0,1] op_sel_hi:[1,1,0] neg_lo:[0,0,1] neg_hi:[0,0,1]
	v_pk_fma_f32 v[104:105], v[104:105], v[94:95], v[108:109] op_sel:[0,0,1] op_sel_hi:[1,0,0]
	s_delay_alu instid0(VALU_DEP_1) | instskip(SKIP_1) | instid1(VALU_DEP_1)
	v_mov_b32_e32 v111, v105
	v_pk_mul_f32 v[104:105], v[106:107], v[96:97] op_sel:[0,1]
	v_pk_fma_f32 v[108:109], v[106:107], v[94:95], v[104:105] op_sel:[0,0,1] op_sel_hi:[1,1,0] neg_lo:[0,0,1] neg_hi:[0,0,1]
	v_pk_fma_f32 v[104:105], v[106:107], v[94:95], v[104:105] op_sel:[0,0,1] op_sel_hi:[1,0,0]
	s_delay_alu instid0(VALU_DEP_1)
	v_mov_b32_e32 v109, v105
	ds_load_2addr_b64 v[104:107], v98 offset0:21 offset1:22
	v_pk_add_f32 v[24:25], v[24:25], v[110:111] neg_lo:[0,1] neg_hi:[0,1]
	v_pk_add_f32 v[70:71], v[70:71], v[108:109] neg_lo:[0,1] neg_hi:[0,1]
	s_wait_dscnt 0x0
	v_pk_mul_f32 v[108:109], v[104:105], v[96:97] op_sel:[0,1]
	s_delay_alu instid0(VALU_DEP_1) | instskip(SKIP_1) | instid1(VALU_DEP_1)
	v_pk_fma_f32 v[110:111], v[104:105], v[94:95], v[108:109] op_sel:[0,0,1] op_sel_hi:[1,1,0] neg_lo:[0,0,1] neg_hi:[0,0,1]
	v_pk_fma_f32 v[104:105], v[104:105], v[94:95], v[108:109] op_sel:[0,0,1] op_sel_hi:[1,0,0]
	v_mov_b32_e32 v111, v105
	v_pk_mul_f32 v[104:105], v[106:107], v[96:97] op_sel:[0,1]
	s_delay_alu instid0(VALU_DEP_1) | instskip(SKIP_1) | instid1(VALU_DEP_1)
	v_pk_fma_f32 v[108:109], v[106:107], v[94:95], v[104:105] op_sel:[0,0,1] op_sel_hi:[1,1,0] neg_lo:[0,0,1] neg_hi:[0,0,1]
	v_pk_fma_f32 v[104:105], v[106:107], v[94:95], v[104:105] op_sel:[0,0,1] op_sel_hi:[1,0,0]
	v_mov_b32_e32 v109, v105
	ds_load_2addr_b64 v[104:107], v98 offset0:23 offset1:24
	v_pk_add_f32 v[66:67], v[66:67], v[110:111] neg_lo:[0,1] neg_hi:[0,1]
	v_pk_add_f32 v[68:69], v[68:69], v[108:109] neg_lo:[0,1] neg_hi:[0,1]
	s_wait_dscnt 0x0
	v_dual_mul_f32 v108, v105, v97 :: v_dual_mul_f32 v110, v105, v94
	s_delay_alu instid0(VALU_DEP_1) | instskip(NEXT) | instid1(VALU_DEP_2)
	v_pk_fma_f32 v[108:109], v[104:105], v[58:59], v[108:109] op_sel_hi:[1,1,0] neg_lo:[0,0,1] neg_hi:[0,0,1]
	v_pk_fma_f32 v[104:105], v[104:105], v[58:59], v[110:111] op_sel:[1,0,0] op_sel_hi:[0,1,0]
	s_delay_alu instid0(VALU_DEP_1) | instskip(SKIP_1) | instid1(VALU_DEP_2)
	v_mov_b32_e32 v109, v105
	v_pk_mul_f32 v[104:105], v[106:107], v[96:97] op_sel:[0,1]
	v_pk_add_f32 v[22:23], v[22:23], v[108:109] neg_lo:[0,1] neg_hi:[0,1]
	s_delay_alu instid0(VALU_DEP_2) | instskip(SKIP_1) | instid1(VALU_DEP_1)
	v_pk_fma_f32 v[108:109], v[106:107], v[94:95], v[104:105] op_sel:[0,0,1] op_sel_hi:[1,1,0] neg_lo:[0,0,1] neg_hi:[0,0,1]
	v_pk_fma_f32 v[104:105], v[106:107], v[94:95], v[104:105] op_sel:[0,0,1] op_sel_hi:[1,0,0]
	v_mov_b32_e32 v109, v105
	ds_load_2addr_b64 v[104:107], v98 offset0:25 offset1:26
	v_pk_add_f32 v[54:55], v[54:55], v[108:109] neg_lo:[0,1] neg_hi:[0,1]
	s_wait_dscnt 0x0
	v_pk_mul_f32 v[108:109], v[104:105], v[96:97] op_sel:[0,1]
	s_delay_alu instid0(VALU_DEP_1) | instskip(SKIP_1) | instid1(VALU_DEP_1)
	v_pk_fma_f32 v[110:111], v[104:105], v[94:95], v[108:109] op_sel:[0,0,1] op_sel_hi:[1,1,0] neg_lo:[0,0,1] neg_hi:[0,0,1]
	v_pk_fma_f32 v[104:105], v[104:105], v[94:95], v[108:109] op_sel:[0,0,1] op_sel_hi:[1,0,0]
	v_mov_b32_e32 v111, v105
	v_pk_mul_f32 v[104:105], v[106:107], v[96:97] op_sel:[0,1]
	s_delay_alu instid0(VALU_DEP_2) | instskip(NEXT) | instid1(VALU_DEP_2)
	v_pk_add_f32 v[48:49], v[48:49], v[110:111] neg_lo:[0,1] neg_hi:[0,1]
	v_pk_fma_f32 v[108:109], v[106:107], v[94:95], v[104:105] op_sel:[0,0,1] op_sel_hi:[1,1,0] neg_lo:[0,0,1] neg_hi:[0,0,1]
	v_pk_fma_f32 v[104:105], v[106:107], v[94:95], v[104:105] op_sel:[0,0,1] op_sel_hi:[1,0,0]
	s_delay_alu instid0(VALU_DEP_1) | instskip(SKIP_4) | instid1(VALU_DEP_1)
	v_mov_b32_e32 v109, v105
	ds_load_2addr_b64 v[104:107], v98 offset0:27 offset1:28
	v_pk_add_f32 v[52:53], v[52:53], v[108:109] neg_lo:[0,1] neg_hi:[0,1]
	s_wait_dscnt 0x0
	v_pk_mul_f32 v[108:109], v[104:105], v[96:97] op_sel:[0,1]
	v_pk_fma_f32 v[110:111], v[104:105], v[94:95], v[108:109] op_sel:[0,0,1] op_sel_hi:[1,1,0] neg_lo:[0,0,1] neg_hi:[0,0,1]
	v_pk_fma_f32 v[104:105], v[104:105], v[94:95], v[108:109] op_sel:[0,0,1] op_sel_hi:[1,0,0]
	v_dual_mul_f32 v108, v107, v97 :: v_dual_mov_b32 v104, v107
	s_delay_alu instid0(VALU_DEP_2) | instskip(NEXT) | instid1(VALU_DEP_2)
	v_dual_mov_b32 v111, v105 :: v_dual_mov_b32 v105, v106
	v_pk_fma_f32 v[108:109], v[106:107], v[58:59], v[108:109] op_sel_hi:[1,1,0] neg_lo:[0,0,1] neg_hi:[0,0,1]
	v_mul_f32_e32 v106, v107, v94
	s_delay_alu instid0(VALU_DEP_3) | instskip(NEXT) | instid1(VALU_DEP_2)
	v_pk_add_f32 v[12:13], v[12:13], v[110:111] neg_lo:[0,1] neg_hi:[0,1]
	v_pk_fma_f32 v[104:105], v[104:105], v[58:59], v[106:107] op_sel_hi:[1,1,0]
	s_delay_alu instid0(VALU_DEP_1) | instskip(SKIP_4) | instid1(VALU_DEP_1)
	v_mov_b32_e32 v109, v105
	ds_load_2addr_b64 v[104:107], v98 offset0:29 offset1:30
	v_pk_add_f32 v[46:47], v[46:47], v[108:109] neg_lo:[0,1] neg_hi:[0,1]
	s_wait_dscnt 0x0
	v_pk_mul_f32 v[108:109], v[104:105], v[96:97] op_sel:[0,1]
	v_pk_fma_f32 v[110:111], v[104:105], v[94:95], v[108:109] op_sel:[0,0,1] op_sel_hi:[1,1,0] neg_lo:[0,0,1] neg_hi:[0,0,1]
	v_pk_fma_f32 v[104:105], v[104:105], v[94:95], v[108:109] op_sel:[0,0,1] op_sel_hi:[1,0,0]
	s_delay_alu instid0(VALU_DEP_1) | instskip(SKIP_1) | instid1(VALU_DEP_1)
	v_mov_b32_e32 v111, v105
	v_pk_mul_f32 v[104:105], v[106:107], v[96:97] op_sel:[0,1]
	v_pk_fma_f32 v[108:109], v[106:107], v[94:95], v[104:105] op_sel:[0,0,1] op_sel_hi:[1,1,0] neg_lo:[0,0,1] neg_hi:[0,0,1]
	v_pk_fma_f32 v[104:105], v[106:107], v[94:95], v[104:105] op_sel:[0,0,1] op_sel_hi:[1,0,0]
	s_delay_alu instid0(VALU_DEP_1)
	v_mov_b32_e32 v109, v105
	ds_load_2addr_b64 v[104:107], v98 offset0:31 offset1:32
	v_pk_add_f32 v[42:43], v[42:43], v[110:111] neg_lo:[0,1] neg_hi:[0,1]
	v_pk_add_f32 v[44:45], v[44:45], v[108:109] neg_lo:[0,1] neg_hi:[0,1]
	s_wait_dscnt 0x0
	v_pk_mul_f32 v[108:109], v[104:105], v[96:97] op_sel:[0,1]
	s_delay_alu instid0(VALU_DEP_1) | instskip(SKIP_1) | instid1(VALU_DEP_1)
	v_pk_fma_f32 v[110:111], v[104:105], v[94:95], v[108:109] op_sel:[0,0,1] op_sel_hi:[1,1,0] neg_lo:[0,0,1] neg_hi:[0,0,1]
	v_pk_fma_f32 v[104:105], v[104:105], v[94:95], v[108:109] op_sel:[0,0,1] op_sel_hi:[1,0,0]
	v_mov_b32_e32 v111, v105
	v_pk_mul_f32 v[104:105], v[106:107], v[96:97] op_sel:[0,1]
	s_delay_alu instid0(VALU_DEP_1) | instskip(SKIP_1) | instid1(VALU_DEP_1)
	v_pk_fma_f32 v[108:109], v[106:107], v[94:95], v[104:105] op_sel:[0,0,1] op_sel_hi:[1,1,0] neg_lo:[0,0,1] neg_hi:[0,0,1]
	v_pk_fma_f32 v[104:105], v[106:107], v[94:95], v[104:105] op_sel:[0,0,1] op_sel_hi:[1,0,0]
	v_mov_b32_e32 v109, v105
	ds_load_2addr_b64 v[104:107], v98 offset0:33 offset1:34
	v_pk_add_f32 v[10:11], v[10:11], v[110:111] neg_lo:[0,1] neg_hi:[0,1]
	v_pk_add_f32 v[40:41], v[40:41], v[108:109] neg_lo:[0,1] neg_hi:[0,1]
	s_wait_dscnt 0x0
	v_dual_mul_f32 v108, v105, v97 :: v_dual_mul_f32 v110, v105, v94
	s_delay_alu instid0(VALU_DEP_1) | instskip(NEXT) | instid1(VALU_DEP_2)
	v_pk_fma_f32 v[108:109], v[104:105], v[58:59], v[108:109] op_sel_hi:[1,1,0] neg_lo:[0,0,1] neg_hi:[0,0,1]
	v_pk_fma_f32 v[104:105], v[104:105], v[58:59], v[110:111] op_sel:[1,0,0] op_sel_hi:[0,1,0]
	s_delay_alu instid0(VALU_DEP_1) | instskip(SKIP_1) | instid1(VALU_DEP_2)
	v_mov_b32_e32 v109, v105
	v_pk_mul_f32 v[104:105], v[106:107], v[96:97] op_sel:[0,1]
	v_pk_add_f32 v[36:37], v[36:37], v[108:109] neg_lo:[0,1] neg_hi:[0,1]
	s_delay_alu instid0(VALU_DEP_2) | instskip(SKIP_1) | instid1(VALU_DEP_1)
	v_pk_fma_f32 v[108:109], v[106:107], v[94:95], v[104:105] op_sel:[0,0,1] op_sel_hi:[1,1,0] neg_lo:[0,0,1] neg_hi:[0,0,1]
	v_pk_fma_f32 v[104:105], v[106:107], v[94:95], v[104:105] op_sel:[0,0,1] op_sel_hi:[1,0,0]
	v_mov_b32_e32 v109, v105
	ds_load_2addr_b64 v[104:107], v98 offset0:35 offset1:36
	v_pk_add_f32 v[38:39], v[38:39], v[108:109] neg_lo:[0,1] neg_hi:[0,1]
	s_wait_dscnt 0x0
	v_pk_mul_f32 v[108:109], v[104:105], v[96:97] op_sel:[0,1]
	s_delay_alu instid0(VALU_DEP_1) | instskip(SKIP_1) | instid1(VALU_DEP_1)
	v_pk_fma_f32 v[110:111], v[104:105], v[94:95], v[108:109] op_sel:[0,0,1] op_sel_hi:[1,1,0] neg_lo:[0,0,1] neg_hi:[0,0,1]
	v_pk_fma_f32 v[104:105], v[104:105], v[94:95], v[108:109] op_sel:[0,0,1] op_sel_hi:[1,0,0]
	v_mov_b32_e32 v111, v105
	v_pk_mul_f32 v[104:105], v[106:107], v[96:97] op_sel:[0,1]
	s_delay_alu instid0(VALU_DEP_2) | instskip(NEXT) | instid1(VALU_DEP_2)
	v_pk_add_f32 v[6:7], v[6:7], v[110:111] neg_lo:[0,1] neg_hi:[0,1]
	v_pk_fma_f32 v[108:109], v[106:107], v[94:95], v[104:105] op_sel:[0,0,1] op_sel_hi:[1,1,0] neg_lo:[0,0,1] neg_hi:[0,0,1]
	v_pk_fma_f32 v[104:105], v[106:107], v[94:95], v[104:105] op_sel:[0,0,1] op_sel_hi:[1,0,0]
	s_delay_alu instid0(VALU_DEP_1) | instskip(SKIP_4) | instid1(VALU_DEP_1)
	v_mov_b32_e32 v109, v105
	ds_load_2addr_b64 v[104:107], v98 offset0:37 offset1:38
	v_pk_add_f32 v[34:35], v[34:35], v[108:109] neg_lo:[0,1] neg_hi:[0,1]
	s_wait_dscnt 0x0
	v_pk_mul_f32 v[108:109], v[104:105], v[96:97] op_sel:[0,1]
	v_pk_fma_f32 v[110:111], v[104:105], v[94:95], v[108:109] op_sel:[0,0,1] op_sel_hi:[1,1,0] neg_lo:[0,0,1] neg_hi:[0,0,1]
	v_pk_fma_f32 v[104:105], v[104:105], v[94:95], v[108:109] op_sel:[0,0,1] op_sel_hi:[1,0,0]
	v_dual_mul_f32 v108, v107, v97 :: v_dual_mov_b32 v104, v107
	s_delay_alu instid0(VALU_DEP_2) | instskip(NEXT) | instid1(VALU_DEP_2)
	v_dual_mov_b32 v111, v105 :: v_dual_mov_b32 v105, v106
	v_pk_fma_f32 v[108:109], v[106:107], v[58:59], v[108:109] op_sel_hi:[1,1,0] neg_lo:[0,0,1] neg_hi:[0,0,1]
	v_mul_f32_e32 v106, v107, v94
	s_delay_alu instid0(VALU_DEP_3) | instskip(NEXT) | instid1(VALU_DEP_2)
	v_pk_add_f32 v[30:31], v[30:31], v[110:111] neg_lo:[0,1] neg_hi:[0,1]
	v_pk_fma_f32 v[104:105], v[104:105], v[58:59], v[106:107] op_sel_hi:[1,1,0]
	s_delay_alu instid0(VALU_DEP_1) | instskip(SKIP_4) | instid1(VALU_DEP_1)
	v_mov_b32_e32 v109, v105
	ds_load_2addr_b64 v[104:107], v98 offset0:39 offset1:40
	v_pk_add_f32 v[32:33], v[32:33], v[108:109] neg_lo:[0,1] neg_hi:[0,1]
	s_wait_dscnt 0x0
	v_pk_mul_f32 v[108:109], v[104:105], v[96:97] op_sel:[0,1]
	v_pk_fma_f32 v[110:111], v[104:105], v[94:95], v[108:109] op_sel:[0,0,1] op_sel_hi:[1,1,0] neg_lo:[0,0,1] neg_hi:[0,0,1]
	v_pk_fma_f32 v[104:105], v[104:105], v[94:95], v[108:109] op_sel:[0,0,1] op_sel_hi:[1,0,0]
	s_delay_alu instid0(VALU_DEP_1) | instskip(SKIP_1) | instid1(VALU_DEP_1)
	v_mov_b32_e32 v111, v105
	v_pk_mul_f32 v[104:105], v[106:107], v[96:97] op_sel:[0,1]
	v_pk_fma_f32 v[108:109], v[106:107], v[94:95], v[104:105] op_sel:[0,0,1] op_sel_hi:[1,1,0] neg_lo:[0,0,1] neg_hi:[0,0,1]
	v_pk_fma_f32 v[104:105], v[106:107], v[94:95], v[104:105] op_sel:[0,0,1] op_sel_hi:[1,0,0]
	s_delay_alu instid0(VALU_DEP_1)
	v_mov_b32_e32 v109, v105
	ds_load_2addr_b64 v[104:107], v98 offset0:41 offset1:42
	v_pk_add_f32 v[8:9], v[8:9], v[110:111] neg_lo:[0,1] neg_hi:[0,1]
	v_pk_add_f32 v[28:29], v[28:29], v[108:109] neg_lo:[0,1] neg_hi:[0,1]
	s_wait_dscnt 0x0
	v_pk_mul_f32 v[108:109], v[104:105], v[96:97] op_sel:[0,1]
	s_delay_alu instid0(VALU_DEP_1) | instskip(SKIP_1) | instid1(VALU_DEP_1)
	v_pk_fma_f32 v[110:111], v[104:105], v[94:95], v[108:109] op_sel:[0,0,1] op_sel_hi:[1,1,0] neg_lo:[0,0,1] neg_hi:[0,0,1]
	v_pk_fma_f32 v[104:105], v[104:105], v[94:95], v[108:109] op_sel:[0,0,1] op_sel_hi:[1,0,0]
	v_mov_b32_e32 v111, v105
	v_pk_mul_f32 v[104:105], v[106:107], v[96:97] op_sel:[0,1]
	s_delay_alu instid0(VALU_DEP_1) | instskip(SKIP_1) | instid1(VALU_DEP_1)
	v_pk_fma_f32 v[108:109], v[106:107], v[94:95], v[104:105] op_sel:[0,0,1] op_sel_hi:[1,1,0] neg_lo:[0,0,1] neg_hi:[0,0,1]
	v_pk_fma_f32 v[104:105], v[106:107], v[94:95], v[104:105] op_sel:[0,0,1] op_sel_hi:[1,0,0]
	v_mov_b32_e32 v109, v105
	ds_load_b64 v[104:105], v98 offset:344
	v_pk_add_f32 v[20:21], v[20:21], v[110:111] neg_lo:[0,1] neg_hi:[0,1]
	v_pk_add_f32 v[16:17], v[16:17], v[108:109] neg_lo:[0,1] neg_hi:[0,1]
	s_wait_dscnt 0x0
	v_pk_mul_f32 v[96:97], v[104:105], v[96:97] op_sel:[0,1]
	s_delay_alu instid0(VALU_DEP_1) | instskip(SKIP_1) | instid1(VALU_DEP_1)
	v_pk_fma_f32 v[106:107], v[104:105], v[94:95], v[96:97] op_sel:[0,0,1] op_sel_hi:[1,1,0] neg_lo:[0,0,1] neg_hi:[0,0,1]
	v_pk_fma_f32 v[94:95], v[104:105], v[94:95], v[96:97] op_sel:[0,0,1] op_sel_hi:[1,0,0]
	v_mov_b32_e32 v107, v95
	s_delay_alu instid0(VALU_DEP_1)
	v_pk_add_f32 v[92:93], v[92:93], v[106:107] neg_lo:[0,1] neg_hi:[0,1]
.LBB86_104:
	s_or_b32 exec_lo, exec_lo, s0
	v_lshl_add_u32 v94, v102, 3, v98
	s_barrier_signal -1
	s_barrier_wait -1
	ds_store_b64 v94, v[50:51]
	s_wait_dscnt 0x0
	s_barrier_signal -1
	s_barrier_wait -1
	ds_load_b64 v[96:97], v98 offset:40
	v_mov_b32_e32 v94, 5
	s_cmp_lt_i32 s18, 7
	s_cbranch_scc1 .LBB86_107
; %bb.105:
	v_add3_u32 v95, v99, 0, 48
	v_mov_b32_e32 v94, 5
	s_mov_b32 s0, 6
.LBB86_106:                             ; =>This Inner Loop Header: Depth=1
	ds_load_b64 v[104:105], v95
	s_wait_dscnt 0x1
	v_cmp_gt_f32_e32 vcc_lo, 0, v96
	v_cndmask_b32_e64 v106, v96, -v96, vcc_lo
	v_cmp_gt_f32_e32 vcc_lo, 0, v97
	v_cndmask_b32_e64 v108, v97, -v97, vcc_lo
	s_wait_dscnt 0x0
	v_cmp_gt_f32_e32 vcc_lo, 0, v104
	v_cndmask_b32_e64 v107, v104, -v104, vcc_lo
	v_cmp_gt_f32_e32 vcc_lo, 0, v105
	v_cndmask_b32_e64 v109, v105, -v105, vcc_lo
	s_delay_alu instid0(VALU_DEP_1) | instskip(NEXT) | instid1(VALU_DEP_1)
	v_pk_add_f32 v[106:107], v[106:107], v[108:109]
	v_cmp_lt_f32_e32 vcc_lo, v106, v107
	v_dual_add_nc_u32 v95, 8, v95 :: v_dual_cndmask_b32 v97, v97, v105, vcc_lo
	v_cndmask_b32_e32 v96, v96, v104, vcc_lo
	v_cndmask_b32_e64 v94, v94, s0, vcc_lo
	s_add_co_i32 s0, s0, 1
	s_delay_alu instid0(SALU_CYCLE_1)
	s_cmp_lg_u32 s18, s0
	s_cbranch_scc1 .LBB86_106
.LBB86_107:
	s_wait_dscnt 0x0
	v_cmp_eq_f32_e32 vcc_lo, 0, v96
	v_cmp_eq_f32_e64 s0, 0, v97
	s_and_b32 s0, vcc_lo, s0
	s_delay_alu instid0(SALU_CYCLE_1) | instskip(NEXT) | instid1(SALU_CYCLE_1)
	s_and_saveexec_b32 s1, s0
	s_xor_b32 s0, exec_lo, s1
; %bb.108:
	v_cmp_ne_u32_e32 vcc_lo, 0, v100
	v_cndmask_b32_e32 v100, 6, v100, vcc_lo
; %bb.109:
	s_and_not1_saveexec_b32 s0, s0
	s_cbranch_execz .LBB86_115
; %bb.110:
	v_cmp_ngt_f32_e64 s1, |v96|, |v97|
	s_and_saveexec_b32 s12, s1
	s_delay_alu instid0(SALU_CYCLE_1)
	s_xor_b32 s1, exec_lo, s12
	s_cbranch_execz .LBB86_112
; %bb.111:
	v_div_scale_f32 v95, null, v97, v97, v96
	v_div_scale_f32 v105, vcc_lo, v96, v97, v96
	s_delay_alu instid0(VALU_DEP_2) | instskip(SKIP_1) | instid1(TRANS32_DEP_1)
	v_rcp_f32_e32 v103, v95
	v_nop
	v_fma_f32 v104, -v95, v103, 1.0
	s_delay_alu instid0(VALU_DEP_1) | instskip(NEXT) | instid1(VALU_DEP_1)
	v_fmac_f32_e32 v103, v104, v103
	v_mul_f32_e32 v104, v105, v103
	s_delay_alu instid0(VALU_DEP_1) | instskip(NEXT) | instid1(VALU_DEP_1)
	v_fma_f32 v106, -v95, v104, v105
	v_fmac_f32_e32 v104, v106, v103
	s_delay_alu instid0(VALU_DEP_1) | instskip(NEXT) | instid1(VALU_DEP_1)
	v_fma_f32 v95, -v95, v104, v105
	v_div_fmas_f32 v95, v95, v103, v104
	s_delay_alu instid0(VALU_DEP_1) | instskip(NEXT) | instid1(VALU_DEP_1)
	v_div_fixup_f32 v95, v95, v97, v96
	v_fmac_f32_e32 v97, v96, v95
	s_delay_alu instid0(VALU_DEP_1) | instskip(SKIP_1) | instid1(VALU_DEP_2)
	v_div_scale_f32 v96, null, v97, v97, 1.0
	v_div_scale_f32 v105, vcc_lo, 1.0, v97, 1.0
	v_rcp_f32_e32 v103, v96
	v_nop
	s_delay_alu instid0(TRANS32_DEP_1) | instskip(NEXT) | instid1(VALU_DEP_1)
	v_fma_f32 v104, -v96, v103, 1.0
	v_fmac_f32_e32 v103, v104, v103
	s_delay_alu instid0(VALU_DEP_1) | instskip(NEXT) | instid1(VALU_DEP_1)
	v_mul_f32_e32 v104, v105, v103
	v_fma_f32 v106, -v96, v104, v105
	s_delay_alu instid0(VALU_DEP_1) | instskip(NEXT) | instid1(VALU_DEP_1)
	v_fmac_f32_e32 v104, v106, v103
	v_fma_f32 v96, -v96, v104, v105
	s_delay_alu instid0(VALU_DEP_1) | instskip(NEXT) | instid1(VALU_DEP_1)
	v_div_fmas_f32 v96, v96, v103, v104
	v_div_fixup_f32 v97, v96, v97, 1.0
	s_delay_alu instid0(VALU_DEP_1)
	v_mul_f32_e32 v96, v95, v97
	v_xor_b32_e32 v97, 0x80000000, v97
.LBB86_112:
	s_and_not1_saveexec_b32 s1, s1
	s_cbranch_execz .LBB86_114
; %bb.113:
	s_delay_alu instid0(VALU_DEP_1) | instskip(SKIP_1) | instid1(VALU_DEP_2)
	v_div_scale_f32 v95, null, v96, v96, v97
	v_div_scale_f32 v105, vcc_lo, v97, v96, v97
	v_rcp_f32_e32 v103, v95
	v_nop
	s_delay_alu instid0(TRANS32_DEP_1) | instskip(NEXT) | instid1(VALU_DEP_1)
	v_fma_f32 v104, -v95, v103, 1.0
	v_fmac_f32_e32 v103, v104, v103
	s_delay_alu instid0(VALU_DEP_1) | instskip(NEXT) | instid1(VALU_DEP_1)
	v_mul_f32_e32 v104, v105, v103
	v_fma_f32 v106, -v95, v104, v105
	s_delay_alu instid0(VALU_DEP_1) | instskip(NEXT) | instid1(VALU_DEP_1)
	v_fmac_f32_e32 v104, v106, v103
	v_fma_f32 v95, -v95, v104, v105
	s_delay_alu instid0(VALU_DEP_1) | instskip(NEXT) | instid1(VALU_DEP_1)
	v_div_fmas_f32 v95, v95, v103, v104
	v_div_fixup_f32 v95, v95, v96, v97
	s_delay_alu instid0(VALU_DEP_1) | instskip(NEXT) | instid1(VALU_DEP_1)
	v_fmac_f32_e32 v96, v97, v95
	v_div_scale_f32 v97, null, v96, v96, 1.0
	s_delay_alu instid0(VALU_DEP_1) | instskip(SKIP_1) | instid1(TRANS32_DEP_1)
	v_rcp_f32_e32 v103, v97
	v_nop
	v_fma_f32 v104, -v97, v103, 1.0
	s_delay_alu instid0(VALU_DEP_1) | instskip(SKIP_1) | instid1(VALU_DEP_1)
	v_fmac_f32_e32 v103, v104, v103
	v_div_scale_f32 v104, vcc_lo, 1.0, v96, 1.0
	v_mul_f32_e32 v105, v104, v103
	s_delay_alu instid0(VALU_DEP_1) | instskip(NEXT) | instid1(VALU_DEP_1)
	v_fma_f32 v106, -v97, v105, v104
	v_fmac_f32_e32 v105, v106, v103
	s_delay_alu instid0(VALU_DEP_1) | instskip(NEXT) | instid1(VALU_DEP_1)
	v_fma_f32 v97, -v97, v105, v104
	v_div_fmas_f32 v97, v97, v103, v105
	s_delay_alu instid0(VALU_DEP_1) | instskip(NEXT) | instid1(VALU_DEP_1)
	v_div_fixup_f32 v96, v97, v96, 1.0
	v_mul_f32_e64 v97, v95, -v96
.LBB86_114:
	s_or_b32 exec_lo, exec_lo, s1
.LBB86_115:
	s_delay_alu instid0(SALU_CYCLE_1) | instskip(NEXT) | instid1(SALU_CYCLE_1)
	s_or_b32 exec_lo, exec_lo, s0
	s_mov_b32 s0, exec_lo
	v_cmpx_ne_u32_e64 v102, v94
	s_xor_b32 s0, exec_lo, s0
	s_cbranch_execz .LBB86_121
; %bb.116:
	s_mov_b32 s1, exec_lo
	v_cmpx_eq_u32_e32 5, v102
	s_cbranch_execz .LBB86_120
; %bb.117:
	v_cmp_ne_u32_e32 vcc_lo, 5, v94
	s_xor_b32 s12, s16, -1
	s_delay_alu instid0(SALU_CYCLE_1) | instskip(NEXT) | instid1(SALU_CYCLE_1)
	s_and_b32 s13, s12, vcc_lo
	s_and_saveexec_b32 s12, s13
	s_cbranch_execz .LBB86_119
; %bb.118:
	v_ashrrev_i32_e32 v95, 31, v94
	s_delay_alu instid0(VALU_DEP_1)
	v_lshl_add_u64 v[102:103], v[94:95], 2, v[4:5]
	s_clause 0x1
	global_load_b32 v95, v[102:103], off
	global_load_b32 v101, v[4:5], off offset:20
	s_wait_loadcnt 0x1
	global_store_b32 v[4:5], v95, off offset:20
	s_wait_loadcnt 0x0
	global_store_b32 v[102:103], v101, off
.LBB86_119:
	s_wait_xcnt 0x0
	s_or_b32 exec_lo, exec_lo, s12
	v_dual_mov_b32 v102, v94 :: v_dual_mov_b32 v101, v94
.LBB86_120:
	s_or_b32 exec_lo, exec_lo, s1
.LBB86_121:
	s_and_not1_saveexec_b32 s0, s0
	s_cbranch_execz .LBB86_123
; %bb.122:
	v_dual_mov_b32 v94, v56 :: v_dual_mov_b32 v95, v57
	v_dual_mov_b32 v102, v14 :: v_dual_mov_b32 v103, v15
	;; [unrolled: 1-line block ×4, first 2 shown]
	ds_store_2addr_b64 v98, v[94:95], v[102:103] offset0:6 offset1:7
	ds_store_2addr_b64 v98, v[104:105], v[106:107] offset0:8 offset1:9
	v_dual_mov_b32 v94, v62 :: v_dual_mov_b32 v95, v63
	v_dual_mov_b32 v102, v18 :: v_dual_mov_b32 v103, v19
	;; [unrolled: 1-line block ×12, first 2 shown]
	ds_store_2addr_b64 v98, v[94:95], v[102:103] offset0:10 offset1:11
	ds_store_2addr_b64 v98, v[104:105], v[106:107] offset0:12 offset1:13
	;; [unrolled: 1-line block ×6, first 2 shown]
	v_dual_mov_b32 v94, v68 :: v_dual_mov_b32 v95, v69
	v_dual_mov_b32 v102, v22 :: v_dual_mov_b32 v103, v23
	;; [unrolled: 1-line block ×12, first 2 shown]
	ds_store_2addr_b64 v98, v[94:95], v[102:103] offset0:22 offset1:23
	ds_store_2addr_b64 v98, v[104:105], v[106:107] offset0:24 offset1:25
	;; [unrolled: 1-line block ×6, first 2 shown]
	v_dual_mov_b32 v94, v38 :: v_dual_mov_b32 v95, v39
	v_dual_mov_b32 v104, v6 :: v_dual_mov_b32 v105, v7
	;; [unrolled: 1-line block ×9, first 2 shown]
	v_mov_b32_e32 v119, v17
	ds_store_2addr_b64 v98, v[94:95], v[104:105] offset0:34 offset1:35
	ds_store_2addr_b64 v98, v[106:107], v[108:109] offset0:36 offset1:37
	;; [unrolled: 1-line block ×5, first 2 shown]
.LBB86_123:
	s_or_b32 exec_lo, exec_lo, s0
	s_delay_alu instid0(SALU_CYCLE_1)
	s_mov_b32 s0, exec_lo
	s_wait_storecnt_dscnt 0x0
	s_barrier_signal -1
	s_barrier_wait -1
	v_cmpx_lt_i32_e32 5, v102
	s_cbranch_execz .LBB86_125
; %bb.124:
	v_pk_mul_f32 v[104:105], v[96:97], v[50:51] op_sel:[1,1] op_sel_hi:[0,1]
	s_delay_alu instid0(VALU_DEP_1)
	v_pk_fma_f32 v[94:95], v[96:97], v[50:51], v[104:105] op_sel_hi:[1,0,1] neg_lo:[0,0,1] neg_hi:[0,0,1]
	v_pk_fma_f32 v[96:97], v[96:97], v[50:51], v[104:105] op_sel_hi:[1,0,1]
	ds_load_2addr_b64 v[104:107], v98 offset0:6 offset1:7
	v_dual_mov_b32 v50, v94 :: v_dual_mov_b32 v51, v97
	s_wait_dscnt 0x0
	v_pk_mul_f32 v[108:109], v[104:105], v[96:97] op_sel:[0,1]
	s_delay_alu instid0(VALU_DEP_1) | instskip(SKIP_1) | instid1(VALU_DEP_1)
	v_pk_fma_f32 v[110:111], v[104:105], v[94:95], v[108:109] op_sel:[0,0,1] op_sel_hi:[1,1,0] neg_lo:[0,0,1] neg_hi:[0,0,1]
	v_pk_fma_f32 v[104:105], v[104:105], v[94:95], v[108:109] op_sel:[0,0,1] op_sel_hi:[1,0,0]
	v_mov_b32_e32 v111, v105
	v_pk_mul_f32 v[104:105], v[106:107], v[96:97] op_sel:[0,1]
	s_delay_alu instid0(VALU_DEP_1) | instskip(SKIP_1) | instid1(VALU_DEP_1)
	v_pk_fma_f32 v[108:109], v[106:107], v[94:95], v[104:105] op_sel:[0,0,1] op_sel_hi:[1,1,0] neg_lo:[0,0,1] neg_hi:[0,0,1]
	v_pk_fma_f32 v[104:105], v[106:107], v[94:95], v[104:105] op_sel:[0,0,1] op_sel_hi:[1,0,0]
	v_mov_b32_e32 v109, v105
	ds_load_2addr_b64 v[104:107], v98 offset0:8 offset1:9
	v_pk_add_f32 v[56:57], v[56:57], v[110:111] neg_lo:[0,1] neg_hi:[0,1]
	v_pk_add_f32 v[14:15], v[14:15], v[108:109] neg_lo:[0,1] neg_hi:[0,1]
	s_wait_dscnt 0x0
	v_pk_mul_f32 v[108:109], v[104:105], v[96:97] op_sel:[0,1]
	s_delay_alu instid0(VALU_DEP_1) | instskip(SKIP_2) | instid1(VALU_DEP_2)
	v_pk_fma_f32 v[110:111], v[104:105], v[94:95], v[108:109] op_sel:[0,0,1] op_sel_hi:[1,1,0] neg_lo:[0,0,1] neg_hi:[0,0,1]
	v_pk_fma_f32 v[104:105], v[104:105], v[94:95], v[108:109] op_sel:[0,0,1] op_sel_hi:[1,0,0]
	v_dual_mul_f32 v108, v107, v97 :: v_dual_mov_b32 v104, v107
	v_dual_mov_b32 v111, v105 :: v_dual_mov_b32 v105, v106
	s_delay_alu instid0(VALU_DEP_2) | instskip(SKIP_1) | instid1(VALU_DEP_3)
	v_pk_fma_f32 v[108:109], v[106:107], v[50:51], v[108:109] op_sel_hi:[1,1,0] neg_lo:[0,0,1] neg_hi:[0,0,1]
	v_mul_f32_e32 v106, v107, v94
	v_pk_add_f32 v[64:65], v[64:65], v[110:111] neg_lo:[0,1] neg_hi:[0,1]
	s_delay_alu instid0(VALU_DEP_2) | instskip(NEXT) | instid1(VALU_DEP_1)
	v_pk_fma_f32 v[104:105], v[104:105], v[50:51], v[106:107] op_sel_hi:[1,1,0]
	v_mov_b32_e32 v109, v105
	ds_load_2addr_b64 v[104:107], v98 offset0:10 offset1:11
	v_pk_add_f32 v[60:61], v[60:61], v[108:109] neg_lo:[0,1] neg_hi:[0,1]
	s_wait_dscnt 0x0
	v_pk_mul_f32 v[108:109], v[104:105], v[96:97] op_sel:[0,1]
	s_delay_alu instid0(VALU_DEP_1) | instskip(SKIP_1) | instid1(VALU_DEP_1)
	v_pk_fma_f32 v[110:111], v[104:105], v[94:95], v[108:109] op_sel:[0,0,1] op_sel_hi:[1,1,0] neg_lo:[0,0,1] neg_hi:[0,0,1]
	v_pk_fma_f32 v[104:105], v[104:105], v[94:95], v[108:109] op_sel:[0,0,1] op_sel_hi:[1,0,0]
	v_mov_b32_e32 v111, v105
	v_pk_mul_f32 v[104:105], v[106:107], v[96:97] op_sel:[0,1]
	s_delay_alu instid0(VALU_DEP_1) | instskip(SKIP_1) | instid1(VALU_DEP_1)
	v_pk_fma_f32 v[108:109], v[106:107], v[94:95], v[104:105] op_sel:[0,0,1] op_sel_hi:[1,1,0] neg_lo:[0,0,1] neg_hi:[0,0,1]
	v_pk_fma_f32 v[104:105], v[106:107], v[94:95], v[104:105] op_sel:[0,0,1] op_sel_hi:[1,0,0]
	v_mov_b32_e32 v109, v105
	ds_load_2addr_b64 v[104:107], v98 offset0:12 offset1:13
	v_pk_add_f32 v[62:63], v[62:63], v[110:111] neg_lo:[0,1] neg_hi:[0,1]
	v_pk_add_f32 v[18:19], v[18:19], v[108:109] neg_lo:[0,1] neg_hi:[0,1]
	s_wait_dscnt 0x0
	v_pk_mul_f32 v[108:109], v[104:105], v[96:97] op_sel:[0,1]
	s_delay_alu instid0(VALU_DEP_1) | instskip(SKIP_1) | instid1(VALU_DEP_1)
	v_pk_fma_f32 v[110:111], v[104:105], v[94:95], v[108:109] op_sel:[0,0,1] op_sel_hi:[1,1,0] neg_lo:[0,0,1] neg_hi:[0,0,1]
	v_pk_fma_f32 v[104:105], v[104:105], v[94:95], v[108:109] op_sel:[0,0,1] op_sel_hi:[1,0,0]
	v_mov_b32_e32 v111, v105
	v_pk_mul_f32 v[104:105], v[106:107], v[96:97] op_sel:[0,1]
	s_delay_alu instid0(VALU_DEP_1) | instskip(SKIP_1) | instid1(VALU_DEP_1)
	v_pk_fma_f32 v[108:109], v[106:107], v[94:95], v[104:105] op_sel:[0,0,1] op_sel_hi:[1,1,0] neg_lo:[0,0,1] neg_hi:[0,0,1]
	v_pk_fma_f32 v[104:105], v[106:107], v[94:95], v[104:105] op_sel:[0,0,1] op_sel_hi:[1,0,0]
	v_mov_b32_e32 v109, v105
	ds_load_2addr_b64 v[104:107], v98 offset0:14 offset1:15
	v_pk_add_f32 v[82:83], v[82:83], v[110:111] neg_lo:[0,1] neg_hi:[0,1]
	v_pk_add_f32 v[78:79], v[78:79], v[108:109] neg_lo:[0,1] neg_hi:[0,1]
	s_wait_dscnt 0x0
	v_dual_mul_f32 v108, v105, v97 :: v_dual_mul_f32 v110, v105, v94
	s_delay_alu instid0(VALU_DEP_1) | instskip(NEXT) | instid1(VALU_DEP_2)
	v_pk_fma_f32 v[108:109], v[104:105], v[50:51], v[108:109] op_sel_hi:[1,1,0] neg_lo:[0,0,1] neg_hi:[0,0,1]
	v_pk_fma_f32 v[104:105], v[104:105], v[50:51], v[110:111] op_sel:[1,0,0] op_sel_hi:[0,1,0]
	s_delay_alu instid0(VALU_DEP_1) | instskip(SKIP_1) | instid1(VALU_DEP_2)
	v_mov_b32_e32 v109, v105
	v_pk_mul_f32 v[104:105], v[106:107], v[96:97] op_sel:[0,1]
	v_pk_add_f32 v[80:81], v[80:81], v[108:109] neg_lo:[0,1] neg_hi:[0,1]
	s_delay_alu instid0(VALU_DEP_2) | instskip(SKIP_1) | instid1(VALU_DEP_1)
	v_pk_fma_f32 v[108:109], v[106:107], v[94:95], v[104:105] op_sel:[0,0,1] op_sel_hi:[1,1,0] neg_lo:[0,0,1] neg_hi:[0,0,1]
	v_pk_fma_f32 v[104:105], v[106:107], v[94:95], v[104:105] op_sel:[0,0,1] op_sel_hi:[1,0,0]
	v_mov_b32_e32 v109, v105
	ds_load_2addr_b64 v[104:107], v98 offset0:16 offset1:17
	v_pk_add_f32 v[26:27], v[26:27], v[108:109] neg_lo:[0,1] neg_hi:[0,1]
	s_wait_dscnt 0x0
	v_pk_mul_f32 v[108:109], v[104:105], v[96:97] op_sel:[0,1]
	s_delay_alu instid0(VALU_DEP_1) | instskip(SKIP_1) | instid1(VALU_DEP_1)
	v_pk_fma_f32 v[110:111], v[104:105], v[94:95], v[108:109] op_sel:[0,0,1] op_sel_hi:[1,1,0] neg_lo:[0,0,1] neg_hi:[0,0,1]
	v_pk_fma_f32 v[104:105], v[104:105], v[94:95], v[108:109] op_sel:[0,0,1] op_sel_hi:[1,0,0]
	v_mov_b32_e32 v111, v105
	v_pk_mul_f32 v[104:105], v[106:107], v[96:97] op_sel:[0,1]
	s_delay_alu instid0(VALU_DEP_2) | instskip(NEXT) | instid1(VALU_DEP_2)
	v_pk_add_f32 v[76:77], v[76:77], v[110:111] neg_lo:[0,1] neg_hi:[0,1]
	v_pk_fma_f32 v[108:109], v[106:107], v[94:95], v[104:105] op_sel:[0,0,1] op_sel_hi:[1,1,0] neg_lo:[0,0,1] neg_hi:[0,0,1]
	v_pk_fma_f32 v[104:105], v[106:107], v[94:95], v[104:105] op_sel:[0,0,1] op_sel_hi:[1,0,0]
	s_delay_alu instid0(VALU_DEP_1) | instskip(SKIP_4) | instid1(VALU_DEP_1)
	v_mov_b32_e32 v109, v105
	ds_load_2addr_b64 v[104:107], v98 offset0:18 offset1:19
	v_pk_add_f32 v[72:73], v[72:73], v[108:109] neg_lo:[0,1] neg_hi:[0,1]
	s_wait_dscnt 0x0
	v_pk_mul_f32 v[108:109], v[104:105], v[96:97] op_sel:[0,1]
	v_pk_fma_f32 v[110:111], v[104:105], v[94:95], v[108:109] op_sel:[0,0,1] op_sel_hi:[1,1,0] neg_lo:[0,0,1] neg_hi:[0,0,1]
	v_pk_fma_f32 v[104:105], v[104:105], v[94:95], v[108:109] op_sel:[0,0,1] op_sel_hi:[1,0,0]
	v_dual_mul_f32 v108, v107, v97 :: v_dual_mov_b32 v104, v107
	s_delay_alu instid0(VALU_DEP_2) | instskip(NEXT) | instid1(VALU_DEP_2)
	v_dual_mov_b32 v111, v105 :: v_dual_mov_b32 v105, v106
	v_pk_fma_f32 v[108:109], v[106:107], v[50:51], v[108:109] op_sel_hi:[1,1,0] neg_lo:[0,0,1] neg_hi:[0,0,1]
	v_mul_f32_e32 v106, v107, v94
	s_delay_alu instid0(VALU_DEP_3) | instskip(NEXT) | instid1(VALU_DEP_2)
	v_pk_add_f32 v[74:75], v[74:75], v[110:111] neg_lo:[0,1] neg_hi:[0,1]
	v_pk_fma_f32 v[104:105], v[104:105], v[50:51], v[106:107] op_sel_hi:[1,1,0]
	s_delay_alu instid0(VALU_DEP_1) | instskip(SKIP_4) | instid1(VALU_DEP_1)
	v_mov_b32_e32 v109, v105
	ds_load_2addr_b64 v[104:107], v98 offset0:20 offset1:21
	v_pk_add_f32 v[24:25], v[24:25], v[108:109] neg_lo:[0,1] neg_hi:[0,1]
	s_wait_dscnt 0x0
	v_pk_mul_f32 v[108:109], v[104:105], v[96:97] op_sel:[0,1]
	v_pk_fma_f32 v[110:111], v[104:105], v[94:95], v[108:109] op_sel:[0,0,1] op_sel_hi:[1,1,0] neg_lo:[0,0,1] neg_hi:[0,0,1]
	v_pk_fma_f32 v[104:105], v[104:105], v[94:95], v[108:109] op_sel:[0,0,1] op_sel_hi:[1,0,0]
	s_delay_alu instid0(VALU_DEP_1) | instskip(SKIP_1) | instid1(VALU_DEP_1)
	v_mov_b32_e32 v111, v105
	v_pk_mul_f32 v[104:105], v[106:107], v[96:97] op_sel:[0,1]
	v_pk_fma_f32 v[108:109], v[106:107], v[94:95], v[104:105] op_sel:[0,0,1] op_sel_hi:[1,1,0] neg_lo:[0,0,1] neg_hi:[0,0,1]
	v_pk_fma_f32 v[104:105], v[106:107], v[94:95], v[104:105] op_sel:[0,0,1] op_sel_hi:[1,0,0]
	s_delay_alu instid0(VALU_DEP_1)
	v_mov_b32_e32 v109, v105
	ds_load_2addr_b64 v[104:107], v98 offset0:22 offset1:23
	v_pk_add_f32 v[70:71], v[70:71], v[110:111] neg_lo:[0,1] neg_hi:[0,1]
	v_pk_add_f32 v[66:67], v[66:67], v[108:109] neg_lo:[0,1] neg_hi:[0,1]
	s_wait_dscnt 0x0
	v_pk_mul_f32 v[108:109], v[104:105], v[96:97] op_sel:[0,1]
	s_delay_alu instid0(VALU_DEP_1) | instskip(SKIP_1) | instid1(VALU_DEP_1)
	v_pk_fma_f32 v[110:111], v[104:105], v[94:95], v[108:109] op_sel:[0,0,1] op_sel_hi:[1,1,0] neg_lo:[0,0,1] neg_hi:[0,0,1]
	v_pk_fma_f32 v[104:105], v[104:105], v[94:95], v[108:109] op_sel:[0,0,1] op_sel_hi:[1,0,0]
	v_mov_b32_e32 v111, v105
	v_pk_mul_f32 v[104:105], v[106:107], v[96:97] op_sel:[0,1]
	s_delay_alu instid0(VALU_DEP_1) | instskip(SKIP_1) | instid1(VALU_DEP_1)
	v_pk_fma_f32 v[108:109], v[106:107], v[94:95], v[104:105] op_sel:[0,0,1] op_sel_hi:[1,1,0] neg_lo:[0,0,1] neg_hi:[0,0,1]
	v_pk_fma_f32 v[104:105], v[106:107], v[94:95], v[104:105] op_sel:[0,0,1] op_sel_hi:[1,0,0]
	v_mov_b32_e32 v109, v105
	ds_load_2addr_b64 v[104:107], v98 offset0:24 offset1:25
	v_pk_add_f32 v[68:69], v[68:69], v[110:111] neg_lo:[0,1] neg_hi:[0,1]
	v_pk_add_f32 v[22:23], v[22:23], v[108:109] neg_lo:[0,1] neg_hi:[0,1]
	s_wait_dscnt 0x0
	v_dual_mul_f32 v108, v105, v97 :: v_dual_mul_f32 v110, v105, v94
	s_delay_alu instid0(VALU_DEP_1) | instskip(NEXT) | instid1(VALU_DEP_2)
	v_pk_fma_f32 v[108:109], v[104:105], v[50:51], v[108:109] op_sel_hi:[1,1,0] neg_lo:[0,0,1] neg_hi:[0,0,1]
	v_pk_fma_f32 v[104:105], v[104:105], v[50:51], v[110:111] op_sel:[1,0,0] op_sel_hi:[0,1,0]
	s_delay_alu instid0(VALU_DEP_1) | instskip(SKIP_1) | instid1(VALU_DEP_2)
	v_mov_b32_e32 v109, v105
	v_pk_mul_f32 v[104:105], v[106:107], v[96:97] op_sel:[0,1]
	v_pk_add_f32 v[54:55], v[54:55], v[108:109] neg_lo:[0,1] neg_hi:[0,1]
	s_delay_alu instid0(VALU_DEP_2) | instskip(SKIP_1) | instid1(VALU_DEP_1)
	v_pk_fma_f32 v[108:109], v[106:107], v[94:95], v[104:105] op_sel:[0,0,1] op_sel_hi:[1,1,0] neg_lo:[0,0,1] neg_hi:[0,0,1]
	v_pk_fma_f32 v[104:105], v[106:107], v[94:95], v[104:105] op_sel:[0,0,1] op_sel_hi:[1,0,0]
	v_mov_b32_e32 v109, v105
	ds_load_2addr_b64 v[104:107], v98 offset0:26 offset1:27
	v_pk_add_f32 v[48:49], v[48:49], v[108:109] neg_lo:[0,1] neg_hi:[0,1]
	s_wait_dscnt 0x0
	v_pk_mul_f32 v[108:109], v[104:105], v[96:97] op_sel:[0,1]
	s_delay_alu instid0(VALU_DEP_1) | instskip(SKIP_1) | instid1(VALU_DEP_1)
	v_pk_fma_f32 v[110:111], v[104:105], v[94:95], v[108:109] op_sel:[0,0,1] op_sel_hi:[1,1,0] neg_lo:[0,0,1] neg_hi:[0,0,1]
	v_pk_fma_f32 v[104:105], v[104:105], v[94:95], v[108:109] op_sel:[0,0,1] op_sel_hi:[1,0,0]
	v_mov_b32_e32 v111, v105
	v_pk_mul_f32 v[104:105], v[106:107], v[96:97] op_sel:[0,1]
	s_delay_alu instid0(VALU_DEP_2) | instskip(NEXT) | instid1(VALU_DEP_2)
	v_pk_add_f32 v[52:53], v[52:53], v[110:111] neg_lo:[0,1] neg_hi:[0,1]
	v_pk_fma_f32 v[108:109], v[106:107], v[94:95], v[104:105] op_sel:[0,0,1] op_sel_hi:[1,1,0] neg_lo:[0,0,1] neg_hi:[0,0,1]
	v_pk_fma_f32 v[104:105], v[106:107], v[94:95], v[104:105] op_sel:[0,0,1] op_sel_hi:[1,0,0]
	s_delay_alu instid0(VALU_DEP_1) | instskip(SKIP_4) | instid1(VALU_DEP_1)
	v_mov_b32_e32 v109, v105
	ds_load_2addr_b64 v[104:107], v98 offset0:28 offset1:29
	v_pk_add_f32 v[12:13], v[12:13], v[108:109] neg_lo:[0,1] neg_hi:[0,1]
	s_wait_dscnt 0x0
	v_pk_mul_f32 v[108:109], v[104:105], v[96:97] op_sel:[0,1]
	v_pk_fma_f32 v[110:111], v[104:105], v[94:95], v[108:109] op_sel:[0,0,1] op_sel_hi:[1,1,0] neg_lo:[0,0,1] neg_hi:[0,0,1]
	v_pk_fma_f32 v[104:105], v[104:105], v[94:95], v[108:109] op_sel:[0,0,1] op_sel_hi:[1,0,0]
	v_dual_mul_f32 v108, v107, v97 :: v_dual_mov_b32 v104, v107
	s_delay_alu instid0(VALU_DEP_2) | instskip(NEXT) | instid1(VALU_DEP_2)
	v_dual_mov_b32 v111, v105 :: v_dual_mov_b32 v105, v106
	v_pk_fma_f32 v[108:109], v[106:107], v[50:51], v[108:109] op_sel_hi:[1,1,0] neg_lo:[0,0,1] neg_hi:[0,0,1]
	v_mul_f32_e32 v106, v107, v94
	s_delay_alu instid0(VALU_DEP_3) | instskip(NEXT) | instid1(VALU_DEP_2)
	v_pk_add_f32 v[46:47], v[46:47], v[110:111] neg_lo:[0,1] neg_hi:[0,1]
	v_pk_fma_f32 v[104:105], v[104:105], v[50:51], v[106:107] op_sel_hi:[1,1,0]
	s_delay_alu instid0(VALU_DEP_1) | instskip(SKIP_4) | instid1(VALU_DEP_1)
	v_mov_b32_e32 v109, v105
	ds_load_2addr_b64 v[104:107], v98 offset0:30 offset1:31
	v_pk_add_f32 v[42:43], v[42:43], v[108:109] neg_lo:[0,1] neg_hi:[0,1]
	s_wait_dscnt 0x0
	v_pk_mul_f32 v[108:109], v[104:105], v[96:97] op_sel:[0,1]
	v_pk_fma_f32 v[110:111], v[104:105], v[94:95], v[108:109] op_sel:[0,0,1] op_sel_hi:[1,1,0] neg_lo:[0,0,1] neg_hi:[0,0,1]
	v_pk_fma_f32 v[104:105], v[104:105], v[94:95], v[108:109] op_sel:[0,0,1] op_sel_hi:[1,0,0]
	s_delay_alu instid0(VALU_DEP_1) | instskip(SKIP_1) | instid1(VALU_DEP_1)
	v_mov_b32_e32 v111, v105
	v_pk_mul_f32 v[104:105], v[106:107], v[96:97] op_sel:[0,1]
	v_pk_fma_f32 v[108:109], v[106:107], v[94:95], v[104:105] op_sel:[0,0,1] op_sel_hi:[1,1,0] neg_lo:[0,0,1] neg_hi:[0,0,1]
	v_pk_fma_f32 v[104:105], v[106:107], v[94:95], v[104:105] op_sel:[0,0,1] op_sel_hi:[1,0,0]
	s_delay_alu instid0(VALU_DEP_1)
	v_mov_b32_e32 v109, v105
	ds_load_2addr_b64 v[104:107], v98 offset0:32 offset1:33
	v_pk_add_f32 v[44:45], v[44:45], v[110:111] neg_lo:[0,1] neg_hi:[0,1]
	v_pk_add_f32 v[10:11], v[10:11], v[108:109] neg_lo:[0,1] neg_hi:[0,1]
	s_wait_dscnt 0x0
	v_pk_mul_f32 v[108:109], v[104:105], v[96:97] op_sel:[0,1]
	s_delay_alu instid0(VALU_DEP_1) | instskip(SKIP_1) | instid1(VALU_DEP_1)
	v_pk_fma_f32 v[110:111], v[104:105], v[94:95], v[108:109] op_sel:[0,0,1] op_sel_hi:[1,1,0] neg_lo:[0,0,1] neg_hi:[0,0,1]
	v_pk_fma_f32 v[104:105], v[104:105], v[94:95], v[108:109] op_sel:[0,0,1] op_sel_hi:[1,0,0]
	v_mov_b32_e32 v111, v105
	v_pk_mul_f32 v[104:105], v[106:107], v[96:97] op_sel:[0,1]
	s_delay_alu instid0(VALU_DEP_1) | instskip(SKIP_1) | instid1(VALU_DEP_1)
	v_pk_fma_f32 v[108:109], v[106:107], v[94:95], v[104:105] op_sel:[0,0,1] op_sel_hi:[1,1,0] neg_lo:[0,0,1] neg_hi:[0,0,1]
	v_pk_fma_f32 v[104:105], v[106:107], v[94:95], v[104:105] op_sel:[0,0,1] op_sel_hi:[1,0,0]
	v_mov_b32_e32 v109, v105
	ds_load_2addr_b64 v[104:107], v98 offset0:34 offset1:35
	v_pk_add_f32 v[40:41], v[40:41], v[110:111] neg_lo:[0,1] neg_hi:[0,1]
	v_pk_add_f32 v[36:37], v[36:37], v[108:109] neg_lo:[0,1] neg_hi:[0,1]
	s_wait_dscnt 0x0
	v_dual_mul_f32 v108, v105, v97 :: v_dual_mul_f32 v110, v105, v94
	s_delay_alu instid0(VALU_DEP_1) | instskip(NEXT) | instid1(VALU_DEP_2)
	v_pk_fma_f32 v[108:109], v[104:105], v[50:51], v[108:109] op_sel_hi:[1,1,0] neg_lo:[0,0,1] neg_hi:[0,0,1]
	v_pk_fma_f32 v[104:105], v[104:105], v[50:51], v[110:111] op_sel:[1,0,0] op_sel_hi:[0,1,0]
	s_delay_alu instid0(VALU_DEP_1) | instskip(SKIP_1) | instid1(VALU_DEP_2)
	v_mov_b32_e32 v109, v105
	v_pk_mul_f32 v[104:105], v[106:107], v[96:97] op_sel:[0,1]
	v_pk_add_f32 v[38:39], v[38:39], v[108:109] neg_lo:[0,1] neg_hi:[0,1]
	s_delay_alu instid0(VALU_DEP_2) | instskip(SKIP_1) | instid1(VALU_DEP_1)
	v_pk_fma_f32 v[108:109], v[106:107], v[94:95], v[104:105] op_sel:[0,0,1] op_sel_hi:[1,1,0] neg_lo:[0,0,1] neg_hi:[0,0,1]
	v_pk_fma_f32 v[104:105], v[106:107], v[94:95], v[104:105] op_sel:[0,0,1] op_sel_hi:[1,0,0]
	v_mov_b32_e32 v109, v105
	ds_load_2addr_b64 v[104:107], v98 offset0:36 offset1:37
	v_pk_add_f32 v[6:7], v[6:7], v[108:109] neg_lo:[0,1] neg_hi:[0,1]
	s_wait_dscnt 0x0
	v_pk_mul_f32 v[108:109], v[104:105], v[96:97] op_sel:[0,1]
	s_delay_alu instid0(VALU_DEP_1) | instskip(SKIP_1) | instid1(VALU_DEP_1)
	v_pk_fma_f32 v[110:111], v[104:105], v[94:95], v[108:109] op_sel:[0,0,1] op_sel_hi:[1,1,0] neg_lo:[0,0,1] neg_hi:[0,0,1]
	v_pk_fma_f32 v[104:105], v[104:105], v[94:95], v[108:109] op_sel:[0,0,1] op_sel_hi:[1,0,0]
	v_mov_b32_e32 v111, v105
	v_pk_mul_f32 v[104:105], v[106:107], v[96:97] op_sel:[0,1]
	s_delay_alu instid0(VALU_DEP_2) | instskip(NEXT) | instid1(VALU_DEP_2)
	v_pk_add_f32 v[34:35], v[34:35], v[110:111] neg_lo:[0,1] neg_hi:[0,1]
	v_pk_fma_f32 v[108:109], v[106:107], v[94:95], v[104:105] op_sel:[0,0,1] op_sel_hi:[1,1,0] neg_lo:[0,0,1] neg_hi:[0,0,1]
	v_pk_fma_f32 v[104:105], v[106:107], v[94:95], v[104:105] op_sel:[0,0,1] op_sel_hi:[1,0,0]
	s_delay_alu instid0(VALU_DEP_1) | instskip(SKIP_4) | instid1(VALU_DEP_1)
	v_mov_b32_e32 v109, v105
	ds_load_2addr_b64 v[104:107], v98 offset0:38 offset1:39
	v_pk_add_f32 v[30:31], v[30:31], v[108:109] neg_lo:[0,1] neg_hi:[0,1]
	s_wait_dscnt 0x0
	v_pk_mul_f32 v[108:109], v[104:105], v[96:97] op_sel:[0,1]
	v_pk_fma_f32 v[110:111], v[104:105], v[94:95], v[108:109] op_sel:[0,0,1] op_sel_hi:[1,1,0] neg_lo:[0,0,1] neg_hi:[0,0,1]
	v_pk_fma_f32 v[104:105], v[104:105], v[94:95], v[108:109] op_sel:[0,0,1] op_sel_hi:[1,0,0]
	v_dual_mul_f32 v108, v107, v97 :: v_dual_mov_b32 v104, v107
	s_delay_alu instid0(VALU_DEP_2) | instskip(NEXT) | instid1(VALU_DEP_2)
	v_dual_mov_b32 v111, v105 :: v_dual_mov_b32 v105, v106
	v_pk_fma_f32 v[108:109], v[106:107], v[50:51], v[108:109] op_sel_hi:[1,1,0] neg_lo:[0,0,1] neg_hi:[0,0,1]
	v_mul_f32_e32 v106, v107, v94
	s_delay_alu instid0(VALU_DEP_3) | instskip(NEXT) | instid1(VALU_DEP_2)
	v_pk_add_f32 v[32:33], v[32:33], v[110:111] neg_lo:[0,1] neg_hi:[0,1]
	v_pk_fma_f32 v[104:105], v[104:105], v[50:51], v[106:107] op_sel_hi:[1,1,0]
	s_delay_alu instid0(VALU_DEP_1) | instskip(SKIP_4) | instid1(VALU_DEP_1)
	v_mov_b32_e32 v109, v105
	ds_load_2addr_b64 v[104:107], v98 offset0:40 offset1:41
	v_pk_add_f32 v[8:9], v[8:9], v[108:109] neg_lo:[0,1] neg_hi:[0,1]
	s_wait_dscnt 0x0
	v_pk_mul_f32 v[108:109], v[104:105], v[96:97] op_sel:[0,1]
	v_pk_fma_f32 v[110:111], v[104:105], v[94:95], v[108:109] op_sel:[0,0,1] op_sel_hi:[1,1,0] neg_lo:[0,0,1] neg_hi:[0,0,1]
	v_pk_fma_f32 v[104:105], v[104:105], v[94:95], v[108:109] op_sel:[0,0,1] op_sel_hi:[1,0,0]
	s_delay_alu instid0(VALU_DEP_1) | instskip(SKIP_1) | instid1(VALU_DEP_1)
	v_mov_b32_e32 v111, v105
	v_pk_mul_f32 v[104:105], v[106:107], v[96:97] op_sel:[0,1]
	v_pk_fma_f32 v[108:109], v[106:107], v[94:95], v[104:105] op_sel:[0,0,1] op_sel_hi:[1,1,0] neg_lo:[0,0,1] neg_hi:[0,0,1]
	v_pk_fma_f32 v[104:105], v[106:107], v[94:95], v[104:105] op_sel:[0,0,1] op_sel_hi:[1,0,0]
	s_delay_alu instid0(VALU_DEP_1)
	v_mov_b32_e32 v109, v105
	ds_load_2addr_b64 v[104:107], v98 offset0:42 offset1:43
	v_pk_add_f32 v[28:29], v[28:29], v[110:111] neg_lo:[0,1] neg_hi:[0,1]
	v_pk_add_f32 v[20:21], v[20:21], v[108:109] neg_lo:[0,1] neg_hi:[0,1]
	s_wait_dscnt 0x0
	v_pk_mul_f32 v[108:109], v[104:105], v[96:97] op_sel:[0,1]
	v_pk_mul_f32 v[96:97], v[106:107], v[96:97] op_sel:[0,1]
	s_delay_alu instid0(VALU_DEP_2) | instskip(SKIP_1) | instid1(VALU_DEP_1)
	v_pk_fma_f32 v[110:111], v[104:105], v[94:95], v[108:109] op_sel:[0,0,1] op_sel_hi:[1,1,0] neg_lo:[0,0,1] neg_hi:[0,0,1]
	v_pk_fma_f32 v[104:105], v[104:105], v[94:95], v[108:109] op_sel:[0,0,1] op_sel_hi:[1,0,0]
	v_mov_b32_e32 v111, v105
	s_delay_alu instid0(VALU_DEP_4) | instskip(SKIP_1) | instid1(VALU_DEP_1)
	v_pk_fma_f32 v[104:105], v[106:107], v[94:95], v[96:97] op_sel:[0,0,1] op_sel_hi:[1,1,0] neg_lo:[0,0,1] neg_hi:[0,0,1]
	v_pk_fma_f32 v[94:95], v[106:107], v[94:95], v[96:97] op_sel:[0,0,1] op_sel_hi:[1,0,0]
	v_mov_b32_e32 v105, v95
	s_delay_alu instid0(VALU_DEP_4) | instskip(NEXT) | instid1(VALU_DEP_2)
	v_pk_add_f32 v[16:17], v[16:17], v[110:111] neg_lo:[0,1] neg_hi:[0,1]
	v_pk_add_f32 v[92:93], v[92:93], v[104:105] neg_lo:[0,1] neg_hi:[0,1]
.LBB86_125:
	s_or_b32 exec_lo, exec_lo, s0
	v_lshl_add_u32 v94, v102, 3, v98
	s_barrier_signal -1
	s_barrier_wait -1
	ds_store_b64 v94, v[56:57]
	s_wait_dscnt 0x0
	s_barrier_signal -1
	s_barrier_wait -1
	ds_load_b64 v[96:97], v98 offset:48
	v_mov_b32_e32 v94, 6
	s_cmp_lt_i32 s18, 8
	s_cbranch_scc1 .LBB86_128
; %bb.126:
	v_add3_u32 v95, v99, 0, 56
	v_mov_b32_e32 v94, 6
	s_mov_b32 s0, 7
.LBB86_127:                             ; =>This Inner Loop Header: Depth=1
	ds_load_b64 v[104:105], v95
	s_wait_dscnt 0x1
	v_cmp_gt_f32_e32 vcc_lo, 0, v96
	v_cndmask_b32_e64 v106, v96, -v96, vcc_lo
	v_cmp_gt_f32_e32 vcc_lo, 0, v97
	v_cndmask_b32_e64 v108, v97, -v97, vcc_lo
	s_wait_dscnt 0x0
	v_cmp_gt_f32_e32 vcc_lo, 0, v104
	v_cndmask_b32_e64 v107, v104, -v104, vcc_lo
	v_cmp_gt_f32_e32 vcc_lo, 0, v105
	v_cndmask_b32_e64 v109, v105, -v105, vcc_lo
	s_delay_alu instid0(VALU_DEP_1) | instskip(NEXT) | instid1(VALU_DEP_1)
	v_pk_add_f32 v[106:107], v[106:107], v[108:109]
	v_cmp_lt_f32_e32 vcc_lo, v106, v107
	v_dual_add_nc_u32 v95, 8, v95 :: v_dual_cndmask_b32 v97, v97, v105, vcc_lo
	v_cndmask_b32_e32 v96, v96, v104, vcc_lo
	v_cndmask_b32_e64 v94, v94, s0, vcc_lo
	s_add_co_i32 s0, s0, 1
	s_delay_alu instid0(SALU_CYCLE_1)
	s_cmp_lg_u32 s18, s0
	s_cbranch_scc1 .LBB86_127
.LBB86_128:
	s_wait_dscnt 0x0
	v_cmp_eq_f32_e32 vcc_lo, 0, v96
	v_cmp_eq_f32_e64 s0, 0, v97
	s_and_b32 s0, vcc_lo, s0
	s_delay_alu instid0(SALU_CYCLE_1) | instskip(NEXT) | instid1(SALU_CYCLE_1)
	s_and_saveexec_b32 s1, s0
	s_xor_b32 s0, exec_lo, s1
; %bb.129:
	v_cmp_ne_u32_e32 vcc_lo, 0, v100
	v_cndmask_b32_e32 v100, 7, v100, vcc_lo
; %bb.130:
	s_and_not1_saveexec_b32 s0, s0
	s_cbranch_execz .LBB86_136
; %bb.131:
	v_cmp_ngt_f32_e64 s1, |v96|, |v97|
	s_and_saveexec_b32 s12, s1
	s_delay_alu instid0(SALU_CYCLE_1)
	s_xor_b32 s1, exec_lo, s12
	s_cbranch_execz .LBB86_133
; %bb.132:
	v_div_scale_f32 v95, null, v97, v97, v96
	v_div_scale_f32 v105, vcc_lo, v96, v97, v96
	s_delay_alu instid0(VALU_DEP_2) | instskip(SKIP_1) | instid1(TRANS32_DEP_1)
	v_rcp_f32_e32 v103, v95
	v_nop
	v_fma_f32 v104, -v95, v103, 1.0
	s_delay_alu instid0(VALU_DEP_1) | instskip(NEXT) | instid1(VALU_DEP_1)
	v_fmac_f32_e32 v103, v104, v103
	v_mul_f32_e32 v104, v105, v103
	s_delay_alu instid0(VALU_DEP_1) | instskip(NEXT) | instid1(VALU_DEP_1)
	v_fma_f32 v106, -v95, v104, v105
	v_fmac_f32_e32 v104, v106, v103
	s_delay_alu instid0(VALU_DEP_1) | instskip(NEXT) | instid1(VALU_DEP_1)
	v_fma_f32 v95, -v95, v104, v105
	v_div_fmas_f32 v95, v95, v103, v104
	s_delay_alu instid0(VALU_DEP_1) | instskip(NEXT) | instid1(VALU_DEP_1)
	v_div_fixup_f32 v95, v95, v97, v96
	v_fmac_f32_e32 v97, v96, v95
	s_delay_alu instid0(VALU_DEP_1) | instskip(SKIP_1) | instid1(VALU_DEP_2)
	v_div_scale_f32 v96, null, v97, v97, 1.0
	v_div_scale_f32 v105, vcc_lo, 1.0, v97, 1.0
	v_rcp_f32_e32 v103, v96
	v_nop
	s_delay_alu instid0(TRANS32_DEP_1) | instskip(NEXT) | instid1(VALU_DEP_1)
	v_fma_f32 v104, -v96, v103, 1.0
	v_fmac_f32_e32 v103, v104, v103
	s_delay_alu instid0(VALU_DEP_1) | instskip(NEXT) | instid1(VALU_DEP_1)
	v_mul_f32_e32 v104, v105, v103
	v_fma_f32 v106, -v96, v104, v105
	s_delay_alu instid0(VALU_DEP_1) | instskip(NEXT) | instid1(VALU_DEP_1)
	v_fmac_f32_e32 v104, v106, v103
	v_fma_f32 v96, -v96, v104, v105
	s_delay_alu instid0(VALU_DEP_1) | instskip(NEXT) | instid1(VALU_DEP_1)
	v_div_fmas_f32 v96, v96, v103, v104
	v_div_fixup_f32 v97, v96, v97, 1.0
	s_delay_alu instid0(VALU_DEP_1)
	v_mul_f32_e32 v96, v95, v97
	v_xor_b32_e32 v97, 0x80000000, v97
.LBB86_133:
	s_and_not1_saveexec_b32 s1, s1
	s_cbranch_execz .LBB86_135
; %bb.134:
	s_delay_alu instid0(VALU_DEP_1) | instskip(SKIP_1) | instid1(VALU_DEP_2)
	v_div_scale_f32 v95, null, v96, v96, v97
	v_div_scale_f32 v105, vcc_lo, v97, v96, v97
	v_rcp_f32_e32 v103, v95
	v_nop
	s_delay_alu instid0(TRANS32_DEP_1) | instskip(NEXT) | instid1(VALU_DEP_1)
	v_fma_f32 v104, -v95, v103, 1.0
	v_fmac_f32_e32 v103, v104, v103
	s_delay_alu instid0(VALU_DEP_1) | instskip(NEXT) | instid1(VALU_DEP_1)
	v_mul_f32_e32 v104, v105, v103
	v_fma_f32 v106, -v95, v104, v105
	s_delay_alu instid0(VALU_DEP_1) | instskip(NEXT) | instid1(VALU_DEP_1)
	v_fmac_f32_e32 v104, v106, v103
	v_fma_f32 v95, -v95, v104, v105
	s_delay_alu instid0(VALU_DEP_1) | instskip(NEXT) | instid1(VALU_DEP_1)
	v_div_fmas_f32 v95, v95, v103, v104
	v_div_fixup_f32 v95, v95, v96, v97
	s_delay_alu instid0(VALU_DEP_1) | instskip(NEXT) | instid1(VALU_DEP_1)
	v_fmac_f32_e32 v96, v97, v95
	v_div_scale_f32 v97, null, v96, v96, 1.0
	s_delay_alu instid0(VALU_DEP_1) | instskip(SKIP_1) | instid1(TRANS32_DEP_1)
	v_rcp_f32_e32 v103, v97
	v_nop
	v_fma_f32 v104, -v97, v103, 1.0
	s_delay_alu instid0(VALU_DEP_1) | instskip(SKIP_1) | instid1(VALU_DEP_1)
	v_fmac_f32_e32 v103, v104, v103
	v_div_scale_f32 v104, vcc_lo, 1.0, v96, 1.0
	v_mul_f32_e32 v105, v104, v103
	s_delay_alu instid0(VALU_DEP_1) | instskip(NEXT) | instid1(VALU_DEP_1)
	v_fma_f32 v106, -v97, v105, v104
	v_fmac_f32_e32 v105, v106, v103
	s_delay_alu instid0(VALU_DEP_1) | instskip(NEXT) | instid1(VALU_DEP_1)
	v_fma_f32 v97, -v97, v105, v104
	v_div_fmas_f32 v97, v97, v103, v105
	s_delay_alu instid0(VALU_DEP_1) | instskip(NEXT) | instid1(VALU_DEP_1)
	v_div_fixup_f32 v96, v97, v96, 1.0
	v_mul_f32_e64 v97, v95, -v96
.LBB86_135:
	s_or_b32 exec_lo, exec_lo, s1
.LBB86_136:
	s_delay_alu instid0(SALU_CYCLE_1) | instskip(NEXT) | instid1(SALU_CYCLE_1)
	s_or_b32 exec_lo, exec_lo, s0
	s_mov_b32 s0, exec_lo
	v_cmpx_ne_u32_e64 v102, v94
	s_xor_b32 s0, exec_lo, s0
	s_cbranch_execz .LBB86_142
; %bb.137:
	s_mov_b32 s1, exec_lo
	v_cmpx_eq_u32_e32 6, v102
	s_cbranch_execz .LBB86_141
; %bb.138:
	v_cmp_ne_u32_e32 vcc_lo, 6, v94
	s_xor_b32 s12, s16, -1
	s_delay_alu instid0(SALU_CYCLE_1) | instskip(NEXT) | instid1(SALU_CYCLE_1)
	s_and_b32 s13, s12, vcc_lo
	s_and_saveexec_b32 s12, s13
	s_cbranch_execz .LBB86_140
; %bb.139:
	v_ashrrev_i32_e32 v95, 31, v94
	s_delay_alu instid0(VALU_DEP_1)
	v_lshl_add_u64 v[102:103], v[94:95], 2, v[4:5]
	s_clause 0x1
	global_load_b32 v95, v[102:103], off
	global_load_b32 v101, v[4:5], off offset:24
	s_wait_loadcnt 0x1
	global_store_b32 v[4:5], v95, off offset:24
	s_wait_loadcnt 0x0
	global_store_b32 v[102:103], v101, off
.LBB86_140:
	s_wait_xcnt 0x0
	s_or_b32 exec_lo, exec_lo, s12
	v_dual_mov_b32 v102, v94 :: v_dual_mov_b32 v101, v94
.LBB86_141:
	s_or_b32 exec_lo, exec_lo, s1
.LBB86_142:
	s_and_not1_saveexec_b32 s0, s0
	s_cbranch_execz .LBB86_144
; %bb.143:
	v_mov_b32_e32 v102, 6
	ds_store_2addr_b64 v98, v[14:15], v[64:65] offset0:7 offset1:8
	ds_store_2addr_b64 v98, v[60:61], v[62:63] offset0:9 offset1:10
	;; [unrolled: 1-line block ×18, first 2 shown]
	ds_store_b64 v98, v[92:93] offset:344
.LBB86_144:
	s_or_b32 exec_lo, exec_lo, s0
	s_delay_alu instid0(SALU_CYCLE_1)
	s_mov_b32 s0, exec_lo
	s_wait_storecnt_dscnt 0x0
	s_barrier_signal -1
	s_barrier_wait -1
	v_cmpx_lt_i32_e32 6, v102
	s_cbranch_execz .LBB86_146
; %bb.145:
	v_pk_mul_f32 v[104:105], v[96:97], v[56:57] op_sel:[1,1] op_sel_hi:[0,1]
	s_delay_alu instid0(VALU_DEP_1)
	v_pk_fma_f32 v[94:95], v[96:97], v[56:57], v[104:105] op_sel_hi:[1,0,1] neg_lo:[0,0,1] neg_hi:[0,0,1]
	v_pk_fma_f32 v[96:97], v[96:97], v[56:57], v[104:105] op_sel_hi:[1,0,1]
	ds_load_2addr_b64 v[104:107], v98 offset0:7 offset1:8
	v_dual_mov_b32 v56, v94 :: v_dual_mov_b32 v57, v97
	s_wait_dscnt 0x0
	v_pk_mul_f32 v[108:109], v[104:105], v[96:97] op_sel:[0,1]
	s_delay_alu instid0(VALU_DEP_1) | instskip(SKIP_1) | instid1(VALU_DEP_1)
	v_pk_fma_f32 v[110:111], v[104:105], v[94:95], v[108:109] op_sel:[0,0,1] op_sel_hi:[1,1,0] neg_lo:[0,0,1] neg_hi:[0,0,1]
	v_pk_fma_f32 v[104:105], v[104:105], v[94:95], v[108:109] op_sel:[0,0,1] op_sel_hi:[1,0,0]
	v_mov_b32_e32 v111, v105
	v_pk_mul_f32 v[104:105], v[106:107], v[96:97] op_sel:[0,1]
	s_delay_alu instid0(VALU_DEP_1) | instskip(SKIP_1) | instid1(VALU_DEP_1)
	v_pk_fma_f32 v[108:109], v[106:107], v[94:95], v[104:105] op_sel:[0,0,1] op_sel_hi:[1,1,0] neg_lo:[0,0,1] neg_hi:[0,0,1]
	v_pk_fma_f32 v[104:105], v[106:107], v[94:95], v[104:105] op_sel:[0,0,1] op_sel_hi:[1,0,0]
	v_mov_b32_e32 v109, v105
	ds_load_2addr_b64 v[104:107], v98 offset0:9 offset1:10
	v_pk_add_f32 v[14:15], v[14:15], v[110:111] neg_lo:[0,1] neg_hi:[0,1]
	v_pk_add_f32 v[64:65], v[64:65], v[108:109] neg_lo:[0,1] neg_hi:[0,1]
	s_wait_dscnt 0x0
	v_pk_mul_f32 v[108:109], v[104:105], v[96:97] op_sel:[0,1]
	s_delay_alu instid0(VALU_DEP_1) | instskip(SKIP_2) | instid1(VALU_DEP_2)
	v_pk_fma_f32 v[110:111], v[104:105], v[94:95], v[108:109] op_sel:[0,0,1] op_sel_hi:[1,1,0] neg_lo:[0,0,1] neg_hi:[0,0,1]
	v_pk_fma_f32 v[104:105], v[104:105], v[94:95], v[108:109] op_sel:[0,0,1] op_sel_hi:[1,0,0]
	v_dual_mul_f32 v108, v107, v97 :: v_dual_mov_b32 v104, v107
	v_dual_mov_b32 v111, v105 :: v_dual_mov_b32 v105, v106
	s_delay_alu instid0(VALU_DEP_2) | instskip(SKIP_1) | instid1(VALU_DEP_3)
	v_pk_fma_f32 v[108:109], v[106:107], v[56:57], v[108:109] op_sel_hi:[1,1,0] neg_lo:[0,0,1] neg_hi:[0,0,1]
	v_mul_f32_e32 v106, v107, v94
	v_pk_add_f32 v[60:61], v[60:61], v[110:111] neg_lo:[0,1] neg_hi:[0,1]
	s_delay_alu instid0(VALU_DEP_2) | instskip(NEXT) | instid1(VALU_DEP_1)
	v_pk_fma_f32 v[104:105], v[104:105], v[56:57], v[106:107] op_sel_hi:[1,1,0]
	v_mov_b32_e32 v109, v105
	ds_load_2addr_b64 v[104:107], v98 offset0:11 offset1:12
	v_pk_add_f32 v[62:63], v[62:63], v[108:109] neg_lo:[0,1] neg_hi:[0,1]
	s_wait_dscnt 0x0
	v_pk_mul_f32 v[108:109], v[104:105], v[96:97] op_sel:[0,1]
	s_delay_alu instid0(VALU_DEP_1) | instskip(SKIP_1) | instid1(VALU_DEP_1)
	v_pk_fma_f32 v[110:111], v[104:105], v[94:95], v[108:109] op_sel:[0,0,1] op_sel_hi:[1,1,0] neg_lo:[0,0,1] neg_hi:[0,0,1]
	v_pk_fma_f32 v[104:105], v[104:105], v[94:95], v[108:109] op_sel:[0,0,1] op_sel_hi:[1,0,0]
	v_mov_b32_e32 v111, v105
	v_pk_mul_f32 v[104:105], v[106:107], v[96:97] op_sel:[0,1]
	s_delay_alu instid0(VALU_DEP_1) | instskip(SKIP_1) | instid1(VALU_DEP_1)
	v_pk_fma_f32 v[108:109], v[106:107], v[94:95], v[104:105] op_sel:[0,0,1] op_sel_hi:[1,1,0] neg_lo:[0,0,1] neg_hi:[0,0,1]
	v_pk_fma_f32 v[104:105], v[106:107], v[94:95], v[104:105] op_sel:[0,0,1] op_sel_hi:[1,0,0]
	v_mov_b32_e32 v109, v105
	ds_load_2addr_b64 v[104:107], v98 offset0:13 offset1:14
	v_pk_add_f32 v[18:19], v[18:19], v[110:111] neg_lo:[0,1] neg_hi:[0,1]
	v_pk_add_f32 v[82:83], v[82:83], v[108:109] neg_lo:[0,1] neg_hi:[0,1]
	s_wait_dscnt 0x0
	v_pk_mul_f32 v[108:109], v[104:105], v[96:97] op_sel:[0,1]
	s_delay_alu instid0(VALU_DEP_1) | instskip(SKIP_1) | instid1(VALU_DEP_1)
	v_pk_fma_f32 v[110:111], v[104:105], v[94:95], v[108:109] op_sel:[0,0,1] op_sel_hi:[1,1,0] neg_lo:[0,0,1] neg_hi:[0,0,1]
	v_pk_fma_f32 v[104:105], v[104:105], v[94:95], v[108:109] op_sel:[0,0,1] op_sel_hi:[1,0,0]
	v_mov_b32_e32 v111, v105
	v_pk_mul_f32 v[104:105], v[106:107], v[96:97] op_sel:[0,1]
	s_delay_alu instid0(VALU_DEP_1) | instskip(SKIP_1) | instid1(VALU_DEP_1)
	v_pk_fma_f32 v[108:109], v[106:107], v[94:95], v[104:105] op_sel:[0,0,1] op_sel_hi:[1,1,0] neg_lo:[0,0,1] neg_hi:[0,0,1]
	v_pk_fma_f32 v[104:105], v[106:107], v[94:95], v[104:105] op_sel:[0,0,1] op_sel_hi:[1,0,0]
	v_mov_b32_e32 v109, v105
	ds_load_2addr_b64 v[104:107], v98 offset0:15 offset1:16
	v_pk_add_f32 v[78:79], v[78:79], v[110:111] neg_lo:[0,1] neg_hi:[0,1]
	v_pk_add_f32 v[80:81], v[80:81], v[108:109] neg_lo:[0,1] neg_hi:[0,1]
	s_wait_dscnt 0x0
	v_dual_mul_f32 v108, v105, v97 :: v_dual_mul_f32 v110, v105, v94
	s_delay_alu instid0(VALU_DEP_1) | instskip(NEXT) | instid1(VALU_DEP_2)
	v_pk_fma_f32 v[108:109], v[104:105], v[56:57], v[108:109] op_sel_hi:[1,1,0] neg_lo:[0,0,1] neg_hi:[0,0,1]
	v_pk_fma_f32 v[104:105], v[104:105], v[56:57], v[110:111] op_sel:[1,0,0] op_sel_hi:[0,1,0]
	s_delay_alu instid0(VALU_DEP_1) | instskip(SKIP_1) | instid1(VALU_DEP_2)
	v_mov_b32_e32 v109, v105
	v_pk_mul_f32 v[104:105], v[106:107], v[96:97] op_sel:[0,1]
	v_pk_add_f32 v[26:27], v[26:27], v[108:109] neg_lo:[0,1] neg_hi:[0,1]
	s_delay_alu instid0(VALU_DEP_2) | instskip(SKIP_1) | instid1(VALU_DEP_1)
	v_pk_fma_f32 v[108:109], v[106:107], v[94:95], v[104:105] op_sel:[0,0,1] op_sel_hi:[1,1,0] neg_lo:[0,0,1] neg_hi:[0,0,1]
	v_pk_fma_f32 v[104:105], v[106:107], v[94:95], v[104:105] op_sel:[0,0,1] op_sel_hi:[1,0,0]
	v_mov_b32_e32 v109, v105
	ds_load_2addr_b64 v[104:107], v98 offset0:17 offset1:18
	v_pk_add_f32 v[76:77], v[76:77], v[108:109] neg_lo:[0,1] neg_hi:[0,1]
	s_wait_dscnt 0x0
	v_pk_mul_f32 v[108:109], v[104:105], v[96:97] op_sel:[0,1]
	s_delay_alu instid0(VALU_DEP_1) | instskip(SKIP_1) | instid1(VALU_DEP_1)
	v_pk_fma_f32 v[110:111], v[104:105], v[94:95], v[108:109] op_sel:[0,0,1] op_sel_hi:[1,1,0] neg_lo:[0,0,1] neg_hi:[0,0,1]
	v_pk_fma_f32 v[104:105], v[104:105], v[94:95], v[108:109] op_sel:[0,0,1] op_sel_hi:[1,0,0]
	v_mov_b32_e32 v111, v105
	v_pk_mul_f32 v[104:105], v[106:107], v[96:97] op_sel:[0,1]
	s_delay_alu instid0(VALU_DEP_2) | instskip(NEXT) | instid1(VALU_DEP_2)
	v_pk_add_f32 v[72:73], v[72:73], v[110:111] neg_lo:[0,1] neg_hi:[0,1]
	v_pk_fma_f32 v[108:109], v[106:107], v[94:95], v[104:105] op_sel:[0,0,1] op_sel_hi:[1,1,0] neg_lo:[0,0,1] neg_hi:[0,0,1]
	v_pk_fma_f32 v[104:105], v[106:107], v[94:95], v[104:105] op_sel:[0,0,1] op_sel_hi:[1,0,0]
	s_delay_alu instid0(VALU_DEP_1) | instskip(SKIP_4) | instid1(VALU_DEP_1)
	v_mov_b32_e32 v109, v105
	ds_load_2addr_b64 v[104:107], v98 offset0:19 offset1:20
	v_pk_add_f32 v[74:75], v[74:75], v[108:109] neg_lo:[0,1] neg_hi:[0,1]
	s_wait_dscnt 0x0
	v_pk_mul_f32 v[108:109], v[104:105], v[96:97] op_sel:[0,1]
	v_pk_fma_f32 v[110:111], v[104:105], v[94:95], v[108:109] op_sel:[0,0,1] op_sel_hi:[1,1,0] neg_lo:[0,0,1] neg_hi:[0,0,1]
	v_pk_fma_f32 v[104:105], v[104:105], v[94:95], v[108:109] op_sel:[0,0,1] op_sel_hi:[1,0,0]
	v_dual_mul_f32 v108, v107, v97 :: v_dual_mov_b32 v104, v107
	s_delay_alu instid0(VALU_DEP_2) | instskip(NEXT) | instid1(VALU_DEP_2)
	v_dual_mov_b32 v111, v105 :: v_dual_mov_b32 v105, v106
	v_pk_fma_f32 v[108:109], v[106:107], v[56:57], v[108:109] op_sel_hi:[1,1,0] neg_lo:[0,0,1] neg_hi:[0,0,1]
	v_mul_f32_e32 v106, v107, v94
	s_delay_alu instid0(VALU_DEP_3) | instskip(NEXT) | instid1(VALU_DEP_2)
	v_pk_add_f32 v[24:25], v[24:25], v[110:111] neg_lo:[0,1] neg_hi:[0,1]
	v_pk_fma_f32 v[104:105], v[104:105], v[56:57], v[106:107] op_sel_hi:[1,1,0]
	s_delay_alu instid0(VALU_DEP_1) | instskip(SKIP_4) | instid1(VALU_DEP_1)
	v_mov_b32_e32 v109, v105
	ds_load_2addr_b64 v[104:107], v98 offset0:21 offset1:22
	v_pk_add_f32 v[70:71], v[70:71], v[108:109] neg_lo:[0,1] neg_hi:[0,1]
	s_wait_dscnt 0x0
	v_pk_mul_f32 v[108:109], v[104:105], v[96:97] op_sel:[0,1]
	v_pk_fma_f32 v[110:111], v[104:105], v[94:95], v[108:109] op_sel:[0,0,1] op_sel_hi:[1,1,0] neg_lo:[0,0,1] neg_hi:[0,0,1]
	v_pk_fma_f32 v[104:105], v[104:105], v[94:95], v[108:109] op_sel:[0,0,1] op_sel_hi:[1,0,0]
	s_delay_alu instid0(VALU_DEP_1) | instskip(SKIP_1) | instid1(VALU_DEP_1)
	v_mov_b32_e32 v111, v105
	v_pk_mul_f32 v[104:105], v[106:107], v[96:97] op_sel:[0,1]
	v_pk_fma_f32 v[108:109], v[106:107], v[94:95], v[104:105] op_sel:[0,0,1] op_sel_hi:[1,1,0] neg_lo:[0,0,1] neg_hi:[0,0,1]
	v_pk_fma_f32 v[104:105], v[106:107], v[94:95], v[104:105] op_sel:[0,0,1] op_sel_hi:[1,0,0]
	s_delay_alu instid0(VALU_DEP_1)
	v_mov_b32_e32 v109, v105
	ds_load_2addr_b64 v[104:107], v98 offset0:23 offset1:24
	v_pk_add_f32 v[66:67], v[66:67], v[110:111] neg_lo:[0,1] neg_hi:[0,1]
	v_pk_add_f32 v[68:69], v[68:69], v[108:109] neg_lo:[0,1] neg_hi:[0,1]
	s_wait_dscnt 0x0
	v_pk_mul_f32 v[108:109], v[104:105], v[96:97] op_sel:[0,1]
	s_delay_alu instid0(VALU_DEP_1) | instskip(SKIP_1) | instid1(VALU_DEP_1)
	v_pk_fma_f32 v[110:111], v[104:105], v[94:95], v[108:109] op_sel:[0,0,1] op_sel_hi:[1,1,0] neg_lo:[0,0,1] neg_hi:[0,0,1]
	v_pk_fma_f32 v[104:105], v[104:105], v[94:95], v[108:109] op_sel:[0,0,1] op_sel_hi:[1,0,0]
	v_mov_b32_e32 v111, v105
	v_pk_mul_f32 v[104:105], v[106:107], v[96:97] op_sel:[0,1]
	s_delay_alu instid0(VALU_DEP_1) | instskip(SKIP_1) | instid1(VALU_DEP_1)
	v_pk_fma_f32 v[108:109], v[106:107], v[94:95], v[104:105] op_sel:[0,0,1] op_sel_hi:[1,1,0] neg_lo:[0,0,1] neg_hi:[0,0,1]
	v_pk_fma_f32 v[104:105], v[106:107], v[94:95], v[104:105] op_sel:[0,0,1] op_sel_hi:[1,0,0]
	v_mov_b32_e32 v109, v105
	ds_load_2addr_b64 v[104:107], v98 offset0:25 offset1:26
	v_pk_add_f32 v[22:23], v[22:23], v[110:111] neg_lo:[0,1] neg_hi:[0,1]
	v_pk_add_f32 v[54:55], v[54:55], v[108:109] neg_lo:[0,1] neg_hi:[0,1]
	s_wait_dscnt 0x0
	v_dual_mul_f32 v108, v105, v97 :: v_dual_mul_f32 v110, v105, v94
	s_delay_alu instid0(VALU_DEP_1) | instskip(NEXT) | instid1(VALU_DEP_2)
	v_pk_fma_f32 v[108:109], v[104:105], v[56:57], v[108:109] op_sel_hi:[1,1,0] neg_lo:[0,0,1] neg_hi:[0,0,1]
	v_pk_fma_f32 v[104:105], v[104:105], v[56:57], v[110:111] op_sel:[1,0,0] op_sel_hi:[0,1,0]
	s_delay_alu instid0(VALU_DEP_1) | instskip(SKIP_1) | instid1(VALU_DEP_2)
	v_mov_b32_e32 v109, v105
	v_pk_mul_f32 v[104:105], v[106:107], v[96:97] op_sel:[0,1]
	v_pk_add_f32 v[48:49], v[48:49], v[108:109] neg_lo:[0,1] neg_hi:[0,1]
	s_delay_alu instid0(VALU_DEP_2) | instskip(SKIP_1) | instid1(VALU_DEP_1)
	v_pk_fma_f32 v[108:109], v[106:107], v[94:95], v[104:105] op_sel:[0,0,1] op_sel_hi:[1,1,0] neg_lo:[0,0,1] neg_hi:[0,0,1]
	v_pk_fma_f32 v[104:105], v[106:107], v[94:95], v[104:105] op_sel:[0,0,1] op_sel_hi:[1,0,0]
	v_mov_b32_e32 v109, v105
	ds_load_2addr_b64 v[104:107], v98 offset0:27 offset1:28
	v_pk_add_f32 v[52:53], v[52:53], v[108:109] neg_lo:[0,1] neg_hi:[0,1]
	s_wait_dscnt 0x0
	v_pk_mul_f32 v[108:109], v[104:105], v[96:97] op_sel:[0,1]
	s_delay_alu instid0(VALU_DEP_1) | instskip(SKIP_1) | instid1(VALU_DEP_1)
	v_pk_fma_f32 v[110:111], v[104:105], v[94:95], v[108:109] op_sel:[0,0,1] op_sel_hi:[1,1,0] neg_lo:[0,0,1] neg_hi:[0,0,1]
	v_pk_fma_f32 v[104:105], v[104:105], v[94:95], v[108:109] op_sel:[0,0,1] op_sel_hi:[1,0,0]
	v_mov_b32_e32 v111, v105
	v_pk_mul_f32 v[104:105], v[106:107], v[96:97] op_sel:[0,1]
	s_delay_alu instid0(VALU_DEP_2) | instskip(NEXT) | instid1(VALU_DEP_2)
	v_pk_add_f32 v[12:13], v[12:13], v[110:111] neg_lo:[0,1] neg_hi:[0,1]
	v_pk_fma_f32 v[108:109], v[106:107], v[94:95], v[104:105] op_sel:[0,0,1] op_sel_hi:[1,1,0] neg_lo:[0,0,1] neg_hi:[0,0,1]
	v_pk_fma_f32 v[104:105], v[106:107], v[94:95], v[104:105] op_sel:[0,0,1] op_sel_hi:[1,0,0]
	s_delay_alu instid0(VALU_DEP_1) | instskip(SKIP_4) | instid1(VALU_DEP_1)
	v_mov_b32_e32 v109, v105
	ds_load_2addr_b64 v[104:107], v98 offset0:29 offset1:30
	v_pk_add_f32 v[46:47], v[46:47], v[108:109] neg_lo:[0,1] neg_hi:[0,1]
	s_wait_dscnt 0x0
	v_pk_mul_f32 v[108:109], v[104:105], v[96:97] op_sel:[0,1]
	v_pk_fma_f32 v[110:111], v[104:105], v[94:95], v[108:109] op_sel:[0,0,1] op_sel_hi:[1,1,0] neg_lo:[0,0,1] neg_hi:[0,0,1]
	v_pk_fma_f32 v[104:105], v[104:105], v[94:95], v[108:109] op_sel:[0,0,1] op_sel_hi:[1,0,0]
	v_dual_mul_f32 v108, v107, v97 :: v_dual_mov_b32 v104, v107
	s_delay_alu instid0(VALU_DEP_2) | instskip(NEXT) | instid1(VALU_DEP_2)
	v_dual_mov_b32 v111, v105 :: v_dual_mov_b32 v105, v106
	v_pk_fma_f32 v[108:109], v[106:107], v[56:57], v[108:109] op_sel_hi:[1,1,0] neg_lo:[0,0,1] neg_hi:[0,0,1]
	v_mul_f32_e32 v106, v107, v94
	s_delay_alu instid0(VALU_DEP_3) | instskip(NEXT) | instid1(VALU_DEP_2)
	v_pk_add_f32 v[42:43], v[42:43], v[110:111] neg_lo:[0,1] neg_hi:[0,1]
	v_pk_fma_f32 v[104:105], v[104:105], v[56:57], v[106:107] op_sel_hi:[1,1,0]
	s_delay_alu instid0(VALU_DEP_1) | instskip(SKIP_4) | instid1(VALU_DEP_1)
	v_mov_b32_e32 v109, v105
	ds_load_2addr_b64 v[104:107], v98 offset0:31 offset1:32
	v_pk_add_f32 v[44:45], v[44:45], v[108:109] neg_lo:[0,1] neg_hi:[0,1]
	s_wait_dscnt 0x0
	v_pk_mul_f32 v[108:109], v[104:105], v[96:97] op_sel:[0,1]
	v_pk_fma_f32 v[110:111], v[104:105], v[94:95], v[108:109] op_sel:[0,0,1] op_sel_hi:[1,1,0] neg_lo:[0,0,1] neg_hi:[0,0,1]
	v_pk_fma_f32 v[104:105], v[104:105], v[94:95], v[108:109] op_sel:[0,0,1] op_sel_hi:[1,0,0]
	s_delay_alu instid0(VALU_DEP_1) | instskip(SKIP_1) | instid1(VALU_DEP_1)
	v_mov_b32_e32 v111, v105
	v_pk_mul_f32 v[104:105], v[106:107], v[96:97] op_sel:[0,1]
	v_pk_fma_f32 v[108:109], v[106:107], v[94:95], v[104:105] op_sel:[0,0,1] op_sel_hi:[1,1,0] neg_lo:[0,0,1] neg_hi:[0,0,1]
	v_pk_fma_f32 v[104:105], v[106:107], v[94:95], v[104:105] op_sel:[0,0,1] op_sel_hi:[1,0,0]
	s_delay_alu instid0(VALU_DEP_1)
	v_mov_b32_e32 v109, v105
	ds_load_2addr_b64 v[104:107], v98 offset0:33 offset1:34
	v_pk_add_f32 v[10:11], v[10:11], v[110:111] neg_lo:[0,1] neg_hi:[0,1]
	v_pk_add_f32 v[40:41], v[40:41], v[108:109] neg_lo:[0,1] neg_hi:[0,1]
	s_wait_dscnt 0x0
	v_pk_mul_f32 v[108:109], v[104:105], v[96:97] op_sel:[0,1]
	s_delay_alu instid0(VALU_DEP_1) | instskip(SKIP_1) | instid1(VALU_DEP_1)
	v_pk_fma_f32 v[110:111], v[104:105], v[94:95], v[108:109] op_sel:[0,0,1] op_sel_hi:[1,1,0] neg_lo:[0,0,1] neg_hi:[0,0,1]
	v_pk_fma_f32 v[104:105], v[104:105], v[94:95], v[108:109] op_sel:[0,0,1] op_sel_hi:[1,0,0]
	v_mov_b32_e32 v111, v105
	v_pk_mul_f32 v[104:105], v[106:107], v[96:97] op_sel:[0,1]
	s_delay_alu instid0(VALU_DEP_1) | instskip(SKIP_1) | instid1(VALU_DEP_1)
	v_pk_fma_f32 v[108:109], v[106:107], v[94:95], v[104:105] op_sel:[0,0,1] op_sel_hi:[1,1,0] neg_lo:[0,0,1] neg_hi:[0,0,1]
	v_pk_fma_f32 v[104:105], v[106:107], v[94:95], v[104:105] op_sel:[0,0,1] op_sel_hi:[1,0,0]
	v_mov_b32_e32 v109, v105
	ds_load_2addr_b64 v[104:107], v98 offset0:35 offset1:36
	v_pk_add_f32 v[36:37], v[36:37], v[110:111] neg_lo:[0,1] neg_hi:[0,1]
	v_pk_add_f32 v[38:39], v[38:39], v[108:109] neg_lo:[0,1] neg_hi:[0,1]
	s_wait_dscnt 0x0
	v_dual_mul_f32 v108, v105, v97 :: v_dual_mul_f32 v110, v105, v94
	s_delay_alu instid0(VALU_DEP_1) | instskip(NEXT) | instid1(VALU_DEP_2)
	v_pk_fma_f32 v[108:109], v[104:105], v[56:57], v[108:109] op_sel_hi:[1,1,0] neg_lo:[0,0,1] neg_hi:[0,0,1]
	v_pk_fma_f32 v[104:105], v[104:105], v[56:57], v[110:111] op_sel:[1,0,0] op_sel_hi:[0,1,0]
	s_delay_alu instid0(VALU_DEP_1) | instskip(SKIP_1) | instid1(VALU_DEP_2)
	v_mov_b32_e32 v109, v105
	v_pk_mul_f32 v[104:105], v[106:107], v[96:97] op_sel:[0,1]
	v_pk_add_f32 v[6:7], v[6:7], v[108:109] neg_lo:[0,1] neg_hi:[0,1]
	s_delay_alu instid0(VALU_DEP_2) | instskip(SKIP_1) | instid1(VALU_DEP_1)
	v_pk_fma_f32 v[108:109], v[106:107], v[94:95], v[104:105] op_sel:[0,0,1] op_sel_hi:[1,1,0] neg_lo:[0,0,1] neg_hi:[0,0,1]
	v_pk_fma_f32 v[104:105], v[106:107], v[94:95], v[104:105] op_sel:[0,0,1] op_sel_hi:[1,0,0]
	v_mov_b32_e32 v109, v105
	ds_load_2addr_b64 v[104:107], v98 offset0:37 offset1:38
	v_pk_add_f32 v[34:35], v[34:35], v[108:109] neg_lo:[0,1] neg_hi:[0,1]
	s_wait_dscnt 0x0
	v_pk_mul_f32 v[108:109], v[104:105], v[96:97] op_sel:[0,1]
	s_delay_alu instid0(VALU_DEP_1) | instskip(SKIP_1) | instid1(VALU_DEP_1)
	v_pk_fma_f32 v[110:111], v[104:105], v[94:95], v[108:109] op_sel:[0,0,1] op_sel_hi:[1,1,0] neg_lo:[0,0,1] neg_hi:[0,0,1]
	v_pk_fma_f32 v[104:105], v[104:105], v[94:95], v[108:109] op_sel:[0,0,1] op_sel_hi:[1,0,0]
	v_mov_b32_e32 v111, v105
	v_pk_mul_f32 v[104:105], v[106:107], v[96:97] op_sel:[0,1]
	s_delay_alu instid0(VALU_DEP_2) | instskip(NEXT) | instid1(VALU_DEP_2)
	v_pk_add_f32 v[30:31], v[30:31], v[110:111] neg_lo:[0,1] neg_hi:[0,1]
	v_pk_fma_f32 v[108:109], v[106:107], v[94:95], v[104:105] op_sel:[0,0,1] op_sel_hi:[1,1,0] neg_lo:[0,0,1] neg_hi:[0,0,1]
	v_pk_fma_f32 v[104:105], v[106:107], v[94:95], v[104:105] op_sel:[0,0,1] op_sel_hi:[1,0,0]
	s_delay_alu instid0(VALU_DEP_1) | instskip(SKIP_4) | instid1(VALU_DEP_1)
	v_mov_b32_e32 v109, v105
	ds_load_2addr_b64 v[104:107], v98 offset0:39 offset1:40
	v_pk_add_f32 v[32:33], v[32:33], v[108:109] neg_lo:[0,1] neg_hi:[0,1]
	s_wait_dscnt 0x0
	v_pk_mul_f32 v[108:109], v[104:105], v[96:97] op_sel:[0,1]
	v_pk_fma_f32 v[110:111], v[104:105], v[94:95], v[108:109] op_sel:[0,0,1] op_sel_hi:[1,1,0] neg_lo:[0,0,1] neg_hi:[0,0,1]
	v_pk_fma_f32 v[104:105], v[104:105], v[94:95], v[108:109] op_sel:[0,0,1] op_sel_hi:[1,0,0]
	v_dual_mul_f32 v108, v107, v97 :: v_dual_mov_b32 v104, v107
	s_delay_alu instid0(VALU_DEP_2) | instskip(NEXT) | instid1(VALU_DEP_2)
	v_dual_mov_b32 v111, v105 :: v_dual_mov_b32 v105, v106
	v_pk_fma_f32 v[108:109], v[106:107], v[56:57], v[108:109] op_sel_hi:[1,1,0] neg_lo:[0,0,1] neg_hi:[0,0,1]
	v_mul_f32_e32 v106, v107, v94
	s_delay_alu instid0(VALU_DEP_3) | instskip(NEXT) | instid1(VALU_DEP_2)
	v_pk_add_f32 v[8:9], v[8:9], v[110:111] neg_lo:[0,1] neg_hi:[0,1]
	v_pk_fma_f32 v[104:105], v[104:105], v[56:57], v[106:107] op_sel_hi:[1,1,0]
	s_delay_alu instid0(VALU_DEP_1) | instskip(SKIP_4) | instid1(VALU_DEP_1)
	v_mov_b32_e32 v109, v105
	ds_load_2addr_b64 v[104:107], v98 offset0:41 offset1:42
	v_pk_add_f32 v[28:29], v[28:29], v[108:109] neg_lo:[0,1] neg_hi:[0,1]
	s_wait_dscnt 0x0
	v_pk_mul_f32 v[108:109], v[104:105], v[96:97] op_sel:[0,1]
	v_pk_fma_f32 v[110:111], v[104:105], v[94:95], v[108:109] op_sel:[0,0,1] op_sel_hi:[1,1,0] neg_lo:[0,0,1] neg_hi:[0,0,1]
	v_pk_fma_f32 v[104:105], v[104:105], v[94:95], v[108:109] op_sel:[0,0,1] op_sel_hi:[1,0,0]
	s_delay_alu instid0(VALU_DEP_1) | instskip(SKIP_1) | instid1(VALU_DEP_1)
	v_mov_b32_e32 v111, v105
	v_pk_mul_f32 v[104:105], v[106:107], v[96:97] op_sel:[0,1]
	v_pk_fma_f32 v[108:109], v[106:107], v[94:95], v[104:105] op_sel:[0,0,1] op_sel_hi:[1,1,0] neg_lo:[0,0,1] neg_hi:[0,0,1]
	v_pk_fma_f32 v[104:105], v[106:107], v[94:95], v[104:105] op_sel:[0,0,1] op_sel_hi:[1,0,0]
	s_delay_alu instid0(VALU_DEP_1)
	v_mov_b32_e32 v109, v105
	ds_load_b64 v[104:105], v98 offset:344
	v_pk_add_f32 v[20:21], v[20:21], v[110:111] neg_lo:[0,1] neg_hi:[0,1]
	v_pk_add_f32 v[16:17], v[16:17], v[108:109] neg_lo:[0,1] neg_hi:[0,1]
	s_wait_dscnt 0x0
	v_pk_mul_f32 v[96:97], v[104:105], v[96:97] op_sel:[0,1]
	s_delay_alu instid0(VALU_DEP_1) | instskip(SKIP_1) | instid1(VALU_DEP_1)
	v_pk_fma_f32 v[106:107], v[104:105], v[94:95], v[96:97] op_sel:[0,0,1] op_sel_hi:[1,1,0] neg_lo:[0,0,1] neg_hi:[0,0,1]
	v_pk_fma_f32 v[94:95], v[104:105], v[94:95], v[96:97] op_sel:[0,0,1] op_sel_hi:[1,0,0]
	v_mov_b32_e32 v107, v95
	s_delay_alu instid0(VALU_DEP_1)
	v_pk_add_f32 v[92:93], v[92:93], v[106:107] neg_lo:[0,1] neg_hi:[0,1]
.LBB86_146:
	s_or_b32 exec_lo, exec_lo, s0
	v_lshl_add_u32 v94, v102, 3, v98
	s_barrier_signal -1
	s_barrier_wait -1
	ds_store_b64 v94, v[14:15]
	s_wait_dscnt 0x0
	s_barrier_signal -1
	s_barrier_wait -1
	ds_load_b64 v[96:97], v98 offset:56
	v_mov_b32_e32 v94, 7
	s_cmp_lt_i32 s18, 9
	s_cbranch_scc1 .LBB86_149
; %bb.147:
	v_add3_u32 v95, v99, 0, 64
	v_mov_b32_e32 v94, 7
	s_mov_b32 s0, 8
.LBB86_148:                             ; =>This Inner Loop Header: Depth=1
	ds_load_b64 v[104:105], v95
	s_wait_dscnt 0x1
	v_cmp_gt_f32_e32 vcc_lo, 0, v96
	v_cndmask_b32_e64 v106, v96, -v96, vcc_lo
	v_cmp_gt_f32_e32 vcc_lo, 0, v97
	v_cndmask_b32_e64 v108, v97, -v97, vcc_lo
	s_wait_dscnt 0x0
	v_cmp_gt_f32_e32 vcc_lo, 0, v104
	v_cndmask_b32_e64 v107, v104, -v104, vcc_lo
	v_cmp_gt_f32_e32 vcc_lo, 0, v105
	v_cndmask_b32_e64 v109, v105, -v105, vcc_lo
	s_delay_alu instid0(VALU_DEP_1) | instskip(NEXT) | instid1(VALU_DEP_1)
	v_pk_add_f32 v[106:107], v[106:107], v[108:109]
	v_cmp_lt_f32_e32 vcc_lo, v106, v107
	v_dual_add_nc_u32 v95, 8, v95 :: v_dual_cndmask_b32 v97, v97, v105, vcc_lo
	v_cndmask_b32_e32 v96, v96, v104, vcc_lo
	v_cndmask_b32_e64 v94, v94, s0, vcc_lo
	s_add_co_i32 s0, s0, 1
	s_delay_alu instid0(SALU_CYCLE_1)
	s_cmp_lg_u32 s18, s0
	s_cbranch_scc1 .LBB86_148
.LBB86_149:
	s_wait_dscnt 0x0
	v_cmp_eq_f32_e32 vcc_lo, 0, v96
	v_cmp_eq_f32_e64 s0, 0, v97
	s_and_b32 s0, vcc_lo, s0
	s_delay_alu instid0(SALU_CYCLE_1) | instskip(NEXT) | instid1(SALU_CYCLE_1)
	s_and_saveexec_b32 s1, s0
	s_xor_b32 s0, exec_lo, s1
; %bb.150:
	v_cmp_ne_u32_e32 vcc_lo, 0, v100
	v_cndmask_b32_e32 v100, 8, v100, vcc_lo
; %bb.151:
	s_and_not1_saveexec_b32 s0, s0
	s_cbranch_execz .LBB86_157
; %bb.152:
	v_cmp_ngt_f32_e64 s1, |v96|, |v97|
	s_and_saveexec_b32 s12, s1
	s_delay_alu instid0(SALU_CYCLE_1)
	s_xor_b32 s1, exec_lo, s12
	s_cbranch_execz .LBB86_154
; %bb.153:
	v_div_scale_f32 v95, null, v97, v97, v96
	v_div_scale_f32 v105, vcc_lo, v96, v97, v96
	s_delay_alu instid0(VALU_DEP_2) | instskip(SKIP_1) | instid1(TRANS32_DEP_1)
	v_rcp_f32_e32 v103, v95
	v_nop
	v_fma_f32 v104, -v95, v103, 1.0
	s_delay_alu instid0(VALU_DEP_1) | instskip(NEXT) | instid1(VALU_DEP_1)
	v_fmac_f32_e32 v103, v104, v103
	v_mul_f32_e32 v104, v105, v103
	s_delay_alu instid0(VALU_DEP_1) | instskip(NEXT) | instid1(VALU_DEP_1)
	v_fma_f32 v106, -v95, v104, v105
	v_fmac_f32_e32 v104, v106, v103
	s_delay_alu instid0(VALU_DEP_1) | instskip(NEXT) | instid1(VALU_DEP_1)
	v_fma_f32 v95, -v95, v104, v105
	v_div_fmas_f32 v95, v95, v103, v104
	s_delay_alu instid0(VALU_DEP_1) | instskip(NEXT) | instid1(VALU_DEP_1)
	v_div_fixup_f32 v95, v95, v97, v96
	v_fmac_f32_e32 v97, v96, v95
	s_delay_alu instid0(VALU_DEP_1) | instskip(SKIP_1) | instid1(VALU_DEP_2)
	v_div_scale_f32 v96, null, v97, v97, 1.0
	v_div_scale_f32 v105, vcc_lo, 1.0, v97, 1.0
	v_rcp_f32_e32 v103, v96
	v_nop
	s_delay_alu instid0(TRANS32_DEP_1) | instskip(NEXT) | instid1(VALU_DEP_1)
	v_fma_f32 v104, -v96, v103, 1.0
	v_fmac_f32_e32 v103, v104, v103
	s_delay_alu instid0(VALU_DEP_1) | instskip(NEXT) | instid1(VALU_DEP_1)
	v_mul_f32_e32 v104, v105, v103
	v_fma_f32 v106, -v96, v104, v105
	s_delay_alu instid0(VALU_DEP_1) | instskip(NEXT) | instid1(VALU_DEP_1)
	v_fmac_f32_e32 v104, v106, v103
	v_fma_f32 v96, -v96, v104, v105
	s_delay_alu instid0(VALU_DEP_1) | instskip(NEXT) | instid1(VALU_DEP_1)
	v_div_fmas_f32 v96, v96, v103, v104
	v_div_fixup_f32 v97, v96, v97, 1.0
	s_delay_alu instid0(VALU_DEP_1)
	v_mul_f32_e32 v96, v95, v97
	v_xor_b32_e32 v97, 0x80000000, v97
.LBB86_154:
	s_and_not1_saveexec_b32 s1, s1
	s_cbranch_execz .LBB86_156
; %bb.155:
	s_delay_alu instid0(VALU_DEP_1) | instskip(SKIP_1) | instid1(VALU_DEP_2)
	v_div_scale_f32 v95, null, v96, v96, v97
	v_div_scale_f32 v105, vcc_lo, v97, v96, v97
	v_rcp_f32_e32 v103, v95
	v_nop
	s_delay_alu instid0(TRANS32_DEP_1) | instskip(NEXT) | instid1(VALU_DEP_1)
	v_fma_f32 v104, -v95, v103, 1.0
	v_fmac_f32_e32 v103, v104, v103
	s_delay_alu instid0(VALU_DEP_1) | instskip(NEXT) | instid1(VALU_DEP_1)
	v_mul_f32_e32 v104, v105, v103
	v_fma_f32 v106, -v95, v104, v105
	s_delay_alu instid0(VALU_DEP_1) | instskip(NEXT) | instid1(VALU_DEP_1)
	v_fmac_f32_e32 v104, v106, v103
	v_fma_f32 v95, -v95, v104, v105
	s_delay_alu instid0(VALU_DEP_1) | instskip(NEXT) | instid1(VALU_DEP_1)
	v_div_fmas_f32 v95, v95, v103, v104
	v_div_fixup_f32 v95, v95, v96, v97
	s_delay_alu instid0(VALU_DEP_1) | instskip(NEXT) | instid1(VALU_DEP_1)
	v_fmac_f32_e32 v96, v97, v95
	v_div_scale_f32 v97, null, v96, v96, 1.0
	s_delay_alu instid0(VALU_DEP_1) | instskip(SKIP_1) | instid1(TRANS32_DEP_1)
	v_rcp_f32_e32 v103, v97
	v_nop
	v_fma_f32 v104, -v97, v103, 1.0
	s_delay_alu instid0(VALU_DEP_1) | instskip(SKIP_1) | instid1(VALU_DEP_1)
	v_fmac_f32_e32 v103, v104, v103
	v_div_scale_f32 v104, vcc_lo, 1.0, v96, 1.0
	v_mul_f32_e32 v105, v104, v103
	s_delay_alu instid0(VALU_DEP_1) | instskip(NEXT) | instid1(VALU_DEP_1)
	v_fma_f32 v106, -v97, v105, v104
	v_fmac_f32_e32 v105, v106, v103
	s_delay_alu instid0(VALU_DEP_1) | instskip(NEXT) | instid1(VALU_DEP_1)
	v_fma_f32 v97, -v97, v105, v104
	v_div_fmas_f32 v97, v97, v103, v105
	s_delay_alu instid0(VALU_DEP_1) | instskip(NEXT) | instid1(VALU_DEP_1)
	v_div_fixup_f32 v96, v97, v96, 1.0
	v_mul_f32_e64 v97, v95, -v96
.LBB86_156:
	s_or_b32 exec_lo, exec_lo, s1
.LBB86_157:
	s_delay_alu instid0(SALU_CYCLE_1) | instskip(NEXT) | instid1(SALU_CYCLE_1)
	s_or_b32 exec_lo, exec_lo, s0
	s_mov_b32 s0, exec_lo
	v_cmpx_ne_u32_e64 v102, v94
	s_xor_b32 s0, exec_lo, s0
	s_cbranch_execz .LBB86_163
; %bb.158:
	s_mov_b32 s1, exec_lo
	v_cmpx_eq_u32_e32 7, v102
	s_cbranch_execz .LBB86_162
; %bb.159:
	v_cmp_ne_u32_e32 vcc_lo, 7, v94
	s_xor_b32 s12, s16, -1
	s_delay_alu instid0(SALU_CYCLE_1) | instskip(NEXT) | instid1(SALU_CYCLE_1)
	s_and_b32 s13, s12, vcc_lo
	s_and_saveexec_b32 s12, s13
	s_cbranch_execz .LBB86_161
; %bb.160:
	v_ashrrev_i32_e32 v95, 31, v94
	s_delay_alu instid0(VALU_DEP_1)
	v_lshl_add_u64 v[102:103], v[94:95], 2, v[4:5]
	s_clause 0x1
	global_load_b32 v95, v[102:103], off
	global_load_b32 v101, v[4:5], off offset:28
	s_wait_loadcnt 0x1
	global_store_b32 v[4:5], v95, off offset:28
	s_wait_loadcnt 0x0
	global_store_b32 v[102:103], v101, off
.LBB86_161:
	s_wait_xcnt 0x0
	s_or_b32 exec_lo, exec_lo, s12
	v_dual_mov_b32 v102, v94 :: v_dual_mov_b32 v101, v94
.LBB86_162:
	s_or_b32 exec_lo, exec_lo, s1
.LBB86_163:
	s_and_not1_saveexec_b32 s0, s0
	s_cbranch_execz .LBB86_165
; %bb.164:
	v_dual_mov_b32 v94, v64 :: v_dual_mov_b32 v95, v65
	v_dual_mov_b32 v102, v60 :: v_dual_mov_b32 v103, v61
	;; [unrolled: 1-line block ×4, first 2 shown]
	ds_store_2addr_b64 v98, v[94:95], v[102:103] offset0:8 offset1:9
	ds_store_2addr_b64 v98, v[104:105], v[106:107] offset0:10 offset1:11
	v_dual_mov_b32 v94, v82 :: v_dual_mov_b32 v95, v83
	v_dual_mov_b32 v102, v78 :: v_dual_mov_b32 v103, v79
	;; [unrolled: 1-line block ×12, first 2 shown]
	ds_store_2addr_b64 v98, v[94:95], v[102:103] offset0:12 offset1:13
	ds_store_2addr_b64 v98, v[104:105], v[106:107] offset0:14 offset1:15
	;; [unrolled: 1-line block ×6, first 2 shown]
	v_dual_mov_b32 v94, v54 :: v_dual_mov_b32 v95, v55
	v_dual_mov_b32 v102, v48 :: v_dual_mov_b32 v103, v49
	;; [unrolled: 1-line block ×12, first 2 shown]
	ds_store_2addr_b64 v98, v[94:95], v[102:103] offset0:24 offset1:25
	ds_store_2addr_b64 v98, v[104:105], v[106:107] offset0:26 offset1:27
	;; [unrolled: 1-line block ×6, first 2 shown]
	v_dual_mov_b32 v94, v34 :: v_dual_mov_b32 v95, v35
	v_dual_mov_b32 v104, v30 :: v_dual_mov_b32 v105, v31
	;; [unrolled: 1-line block ×7, first 2 shown]
	v_mov_b32_e32 v115, v17
	ds_store_2addr_b64 v98, v[94:95], v[104:105] offset0:36 offset1:37
	ds_store_2addr_b64 v98, v[106:107], v[108:109] offset0:38 offset1:39
	;; [unrolled: 1-line block ×4, first 2 shown]
.LBB86_165:
	s_or_b32 exec_lo, exec_lo, s0
	s_delay_alu instid0(SALU_CYCLE_1)
	s_mov_b32 s0, exec_lo
	s_wait_storecnt_dscnt 0x0
	s_barrier_signal -1
	s_barrier_wait -1
	v_cmpx_lt_i32_e32 7, v102
	s_cbranch_execz .LBB86_167
; %bb.166:
	v_pk_mul_f32 v[104:105], v[96:97], v[14:15] op_sel:[1,1] op_sel_hi:[0,1]
	s_delay_alu instid0(VALU_DEP_1)
	v_pk_fma_f32 v[94:95], v[96:97], v[14:15], v[104:105] op_sel_hi:[1,0,1] neg_lo:[0,0,1] neg_hi:[0,0,1]
	v_pk_fma_f32 v[96:97], v[96:97], v[14:15], v[104:105] op_sel_hi:[1,0,1]
	ds_load_2addr_b64 v[104:107], v98 offset0:8 offset1:9
	v_dual_mov_b32 v14, v94 :: v_dual_mov_b32 v15, v97
	s_wait_dscnt 0x0
	v_pk_mul_f32 v[108:109], v[104:105], v[96:97] op_sel:[0,1]
	s_delay_alu instid0(VALU_DEP_1) | instskip(SKIP_1) | instid1(VALU_DEP_1)
	v_pk_fma_f32 v[110:111], v[104:105], v[94:95], v[108:109] op_sel:[0,0,1] op_sel_hi:[1,1,0] neg_lo:[0,0,1] neg_hi:[0,0,1]
	v_pk_fma_f32 v[104:105], v[104:105], v[94:95], v[108:109] op_sel:[0,0,1] op_sel_hi:[1,0,0]
	v_mov_b32_e32 v111, v105
	v_pk_mul_f32 v[104:105], v[106:107], v[96:97] op_sel:[0,1]
	s_delay_alu instid0(VALU_DEP_1) | instskip(SKIP_1) | instid1(VALU_DEP_1)
	v_pk_fma_f32 v[108:109], v[106:107], v[94:95], v[104:105] op_sel:[0,0,1] op_sel_hi:[1,1,0] neg_lo:[0,0,1] neg_hi:[0,0,1]
	v_pk_fma_f32 v[104:105], v[106:107], v[94:95], v[104:105] op_sel:[0,0,1] op_sel_hi:[1,0,0]
	v_mov_b32_e32 v109, v105
	ds_load_2addr_b64 v[104:107], v98 offset0:10 offset1:11
	v_pk_add_f32 v[64:65], v[64:65], v[110:111] neg_lo:[0,1] neg_hi:[0,1]
	v_pk_add_f32 v[60:61], v[60:61], v[108:109] neg_lo:[0,1] neg_hi:[0,1]
	s_wait_dscnt 0x0
	v_pk_mul_f32 v[108:109], v[104:105], v[96:97] op_sel:[0,1]
	s_delay_alu instid0(VALU_DEP_1) | instskip(SKIP_2) | instid1(VALU_DEP_2)
	v_pk_fma_f32 v[110:111], v[104:105], v[94:95], v[108:109] op_sel:[0,0,1] op_sel_hi:[1,1,0] neg_lo:[0,0,1] neg_hi:[0,0,1]
	v_pk_fma_f32 v[104:105], v[104:105], v[94:95], v[108:109] op_sel:[0,0,1] op_sel_hi:[1,0,0]
	v_dual_mul_f32 v108, v107, v97 :: v_dual_mov_b32 v104, v107
	v_dual_mov_b32 v111, v105 :: v_dual_mov_b32 v105, v106
	s_delay_alu instid0(VALU_DEP_2) | instskip(SKIP_1) | instid1(VALU_DEP_3)
	v_pk_fma_f32 v[108:109], v[106:107], v[14:15], v[108:109] op_sel_hi:[1,1,0] neg_lo:[0,0,1] neg_hi:[0,0,1]
	v_mul_f32_e32 v106, v107, v94
	v_pk_add_f32 v[62:63], v[62:63], v[110:111] neg_lo:[0,1] neg_hi:[0,1]
	s_delay_alu instid0(VALU_DEP_2) | instskip(NEXT) | instid1(VALU_DEP_1)
	v_pk_fma_f32 v[104:105], v[104:105], v[14:15], v[106:107] op_sel_hi:[1,1,0]
	v_mov_b32_e32 v109, v105
	ds_load_2addr_b64 v[104:107], v98 offset0:12 offset1:13
	v_pk_add_f32 v[18:19], v[18:19], v[108:109] neg_lo:[0,1] neg_hi:[0,1]
	s_wait_dscnt 0x0
	v_pk_mul_f32 v[108:109], v[104:105], v[96:97] op_sel:[0,1]
	s_delay_alu instid0(VALU_DEP_1) | instskip(SKIP_1) | instid1(VALU_DEP_1)
	v_pk_fma_f32 v[110:111], v[104:105], v[94:95], v[108:109] op_sel:[0,0,1] op_sel_hi:[1,1,0] neg_lo:[0,0,1] neg_hi:[0,0,1]
	v_pk_fma_f32 v[104:105], v[104:105], v[94:95], v[108:109] op_sel:[0,0,1] op_sel_hi:[1,0,0]
	v_mov_b32_e32 v111, v105
	v_pk_mul_f32 v[104:105], v[106:107], v[96:97] op_sel:[0,1]
	s_delay_alu instid0(VALU_DEP_1) | instskip(SKIP_1) | instid1(VALU_DEP_1)
	v_pk_fma_f32 v[108:109], v[106:107], v[94:95], v[104:105] op_sel:[0,0,1] op_sel_hi:[1,1,0] neg_lo:[0,0,1] neg_hi:[0,0,1]
	v_pk_fma_f32 v[104:105], v[106:107], v[94:95], v[104:105] op_sel:[0,0,1] op_sel_hi:[1,0,0]
	v_mov_b32_e32 v109, v105
	ds_load_2addr_b64 v[104:107], v98 offset0:14 offset1:15
	v_pk_add_f32 v[82:83], v[82:83], v[110:111] neg_lo:[0,1] neg_hi:[0,1]
	v_pk_add_f32 v[78:79], v[78:79], v[108:109] neg_lo:[0,1] neg_hi:[0,1]
	s_wait_dscnt 0x0
	v_pk_mul_f32 v[108:109], v[104:105], v[96:97] op_sel:[0,1]
	s_delay_alu instid0(VALU_DEP_1) | instskip(SKIP_1) | instid1(VALU_DEP_1)
	v_pk_fma_f32 v[110:111], v[104:105], v[94:95], v[108:109] op_sel:[0,0,1] op_sel_hi:[1,1,0] neg_lo:[0,0,1] neg_hi:[0,0,1]
	v_pk_fma_f32 v[104:105], v[104:105], v[94:95], v[108:109] op_sel:[0,0,1] op_sel_hi:[1,0,0]
	v_mov_b32_e32 v111, v105
	v_pk_mul_f32 v[104:105], v[106:107], v[96:97] op_sel:[0,1]
	s_delay_alu instid0(VALU_DEP_1) | instskip(SKIP_1) | instid1(VALU_DEP_1)
	v_pk_fma_f32 v[108:109], v[106:107], v[94:95], v[104:105] op_sel:[0,0,1] op_sel_hi:[1,1,0] neg_lo:[0,0,1] neg_hi:[0,0,1]
	v_pk_fma_f32 v[104:105], v[106:107], v[94:95], v[104:105] op_sel:[0,0,1] op_sel_hi:[1,0,0]
	v_mov_b32_e32 v109, v105
	ds_load_2addr_b64 v[104:107], v98 offset0:16 offset1:17
	v_pk_add_f32 v[80:81], v[80:81], v[110:111] neg_lo:[0,1] neg_hi:[0,1]
	v_pk_add_f32 v[26:27], v[26:27], v[108:109] neg_lo:[0,1] neg_hi:[0,1]
	s_wait_dscnt 0x0
	v_dual_mul_f32 v108, v105, v97 :: v_dual_mul_f32 v110, v105, v94
	s_delay_alu instid0(VALU_DEP_1) | instskip(NEXT) | instid1(VALU_DEP_2)
	v_pk_fma_f32 v[108:109], v[104:105], v[14:15], v[108:109] op_sel_hi:[1,1,0] neg_lo:[0,0,1] neg_hi:[0,0,1]
	v_pk_fma_f32 v[104:105], v[104:105], v[14:15], v[110:111] op_sel:[1,0,0] op_sel_hi:[0,1,0]
	s_delay_alu instid0(VALU_DEP_1) | instskip(SKIP_1) | instid1(VALU_DEP_2)
	v_mov_b32_e32 v109, v105
	v_pk_mul_f32 v[104:105], v[106:107], v[96:97] op_sel:[0,1]
	v_pk_add_f32 v[76:77], v[76:77], v[108:109] neg_lo:[0,1] neg_hi:[0,1]
	s_delay_alu instid0(VALU_DEP_2) | instskip(SKIP_1) | instid1(VALU_DEP_1)
	v_pk_fma_f32 v[108:109], v[106:107], v[94:95], v[104:105] op_sel:[0,0,1] op_sel_hi:[1,1,0] neg_lo:[0,0,1] neg_hi:[0,0,1]
	v_pk_fma_f32 v[104:105], v[106:107], v[94:95], v[104:105] op_sel:[0,0,1] op_sel_hi:[1,0,0]
	v_mov_b32_e32 v109, v105
	ds_load_2addr_b64 v[104:107], v98 offset0:18 offset1:19
	v_pk_add_f32 v[72:73], v[72:73], v[108:109] neg_lo:[0,1] neg_hi:[0,1]
	s_wait_dscnt 0x0
	v_pk_mul_f32 v[108:109], v[104:105], v[96:97] op_sel:[0,1]
	s_delay_alu instid0(VALU_DEP_1) | instskip(SKIP_1) | instid1(VALU_DEP_1)
	v_pk_fma_f32 v[110:111], v[104:105], v[94:95], v[108:109] op_sel:[0,0,1] op_sel_hi:[1,1,0] neg_lo:[0,0,1] neg_hi:[0,0,1]
	v_pk_fma_f32 v[104:105], v[104:105], v[94:95], v[108:109] op_sel:[0,0,1] op_sel_hi:[1,0,0]
	v_mov_b32_e32 v111, v105
	v_pk_mul_f32 v[104:105], v[106:107], v[96:97] op_sel:[0,1]
	s_delay_alu instid0(VALU_DEP_2) | instskip(NEXT) | instid1(VALU_DEP_2)
	v_pk_add_f32 v[74:75], v[74:75], v[110:111] neg_lo:[0,1] neg_hi:[0,1]
	v_pk_fma_f32 v[108:109], v[106:107], v[94:95], v[104:105] op_sel:[0,0,1] op_sel_hi:[1,1,0] neg_lo:[0,0,1] neg_hi:[0,0,1]
	v_pk_fma_f32 v[104:105], v[106:107], v[94:95], v[104:105] op_sel:[0,0,1] op_sel_hi:[1,0,0]
	s_delay_alu instid0(VALU_DEP_1) | instskip(SKIP_4) | instid1(VALU_DEP_1)
	v_mov_b32_e32 v109, v105
	ds_load_2addr_b64 v[104:107], v98 offset0:20 offset1:21
	v_pk_add_f32 v[24:25], v[24:25], v[108:109] neg_lo:[0,1] neg_hi:[0,1]
	s_wait_dscnt 0x0
	v_pk_mul_f32 v[108:109], v[104:105], v[96:97] op_sel:[0,1]
	v_pk_fma_f32 v[110:111], v[104:105], v[94:95], v[108:109] op_sel:[0,0,1] op_sel_hi:[1,1,0] neg_lo:[0,0,1] neg_hi:[0,0,1]
	v_pk_fma_f32 v[104:105], v[104:105], v[94:95], v[108:109] op_sel:[0,0,1] op_sel_hi:[1,0,0]
	v_dual_mul_f32 v108, v107, v97 :: v_dual_mov_b32 v104, v107
	s_delay_alu instid0(VALU_DEP_2) | instskip(NEXT) | instid1(VALU_DEP_2)
	v_dual_mov_b32 v111, v105 :: v_dual_mov_b32 v105, v106
	v_pk_fma_f32 v[108:109], v[106:107], v[14:15], v[108:109] op_sel_hi:[1,1,0] neg_lo:[0,0,1] neg_hi:[0,0,1]
	v_mul_f32_e32 v106, v107, v94
	s_delay_alu instid0(VALU_DEP_3) | instskip(NEXT) | instid1(VALU_DEP_2)
	v_pk_add_f32 v[70:71], v[70:71], v[110:111] neg_lo:[0,1] neg_hi:[0,1]
	v_pk_fma_f32 v[104:105], v[104:105], v[14:15], v[106:107] op_sel_hi:[1,1,0]
	s_delay_alu instid0(VALU_DEP_1) | instskip(SKIP_4) | instid1(VALU_DEP_1)
	v_mov_b32_e32 v109, v105
	ds_load_2addr_b64 v[104:107], v98 offset0:22 offset1:23
	v_pk_add_f32 v[66:67], v[66:67], v[108:109] neg_lo:[0,1] neg_hi:[0,1]
	s_wait_dscnt 0x0
	v_pk_mul_f32 v[108:109], v[104:105], v[96:97] op_sel:[0,1]
	v_pk_fma_f32 v[110:111], v[104:105], v[94:95], v[108:109] op_sel:[0,0,1] op_sel_hi:[1,1,0] neg_lo:[0,0,1] neg_hi:[0,0,1]
	v_pk_fma_f32 v[104:105], v[104:105], v[94:95], v[108:109] op_sel:[0,0,1] op_sel_hi:[1,0,0]
	s_delay_alu instid0(VALU_DEP_1) | instskip(SKIP_1) | instid1(VALU_DEP_1)
	v_mov_b32_e32 v111, v105
	v_pk_mul_f32 v[104:105], v[106:107], v[96:97] op_sel:[0,1]
	v_pk_fma_f32 v[108:109], v[106:107], v[94:95], v[104:105] op_sel:[0,0,1] op_sel_hi:[1,1,0] neg_lo:[0,0,1] neg_hi:[0,0,1]
	v_pk_fma_f32 v[104:105], v[106:107], v[94:95], v[104:105] op_sel:[0,0,1] op_sel_hi:[1,0,0]
	s_delay_alu instid0(VALU_DEP_1)
	v_mov_b32_e32 v109, v105
	ds_load_2addr_b64 v[104:107], v98 offset0:24 offset1:25
	v_pk_add_f32 v[68:69], v[68:69], v[110:111] neg_lo:[0,1] neg_hi:[0,1]
	v_pk_add_f32 v[22:23], v[22:23], v[108:109] neg_lo:[0,1] neg_hi:[0,1]
	s_wait_dscnt 0x0
	v_pk_mul_f32 v[108:109], v[104:105], v[96:97] op_sel:[0,1]
	s_delay_alu instid0(VALU_DEP_1) | instskip(SKIP_1) | instid1(VALU_DEP_1)
	v_pk_fma_f32 v[110:111], v[104:105], v[94:95], v[108:109] op_sel:[0,0,1] op_sel_hi:[1,1,0] neg_lo:[0,0,1] neg_hi:[0,0,1]
	v_pk_fma_f32 v[104:105], v[104:105], v[94:95], v[108:109] op_sel:[0,0,1] op_sel_hi:[1,0,0]
	v_mov_b32_e32 v111, v105
	v_pk_mul_f32 v[104:105], v[106:107], v[96:97] op_sel:[0,1]
	s_delay_alu instid0(VALU_DEP_1) | instskip(SKIP_1) | instid1(VALU_DEP_1)
	v_pk_fma_f32 v[108:109], v[106:107], v[94:95], v[104:105] op_sel:[0,0,1] op_sel_hi:[1,1,0] neg_lo:[0,0,1] neg_hi:[0,0,1]
	v_pk_fma_f32 v[104:105], v[106:107], v[94:95], v[104:105] op_sel:[0,0,1] op_sel_hi:[1,0,0]
	v_mov_b32_e32 v109, v105
	ds_load_2addr_b64 v[104:107], v98 offset0:26 offset1:27
	v_pk_add_f32 v[54:55], v[54:55], v[110:111] neg_lo:[0,1] neg_hi:[0,1]
	v_pk_add_f32 v[48:49], v[48:49], v[108:109] neg_lo:[0,1] neg_hi:[0,1]
	s_wait_dscnt 0x0
	v_dual_mul_f32 v108, v105, v97 :: v_dual_mul_f32 v110, v105, v94
	s_delay_alu instid0(VALU_DEP_1) | instskip(NEXT) | instid1(VALU_DEP_2)
	v_pk_fma_f32 v[108:109], v[104:105], v[14:15], v[108:109] op_sel_hi:[1,1,0] neg_lo:[0,0,1] neg_hi:[0,0,1]
	v_pk_fma_f32 v[104:105], v[104:105], v[14:15], v[110:111] op_sel:[1,0,0] op_sel_hi:[0,1,0]
	s_delay_alu instid0(VALU_DEP_1) | instskip(SKIP_1) | instid1(VALU_DEP_2)
	v_mov_b32_e32 v109, v105
	v_pk_mul_f32 v[104:105], v[106:107], v[96:97] op_sel:[0,1]
	v_pk_add_f32 v[52:53], v[52:53], v[108:109] neg_lo:[0,1] neg_hi:[0,1]
	s_delay_alu instid0(VALU_DEP_2) | instskip(SKIP_1) | instid1(VALU_DEP_1)
	v_pk_fma_f32 v[108:109], v[106:107], v[94:95], v[104:105] op_sel:[0,0,1] op_sel_hi:[1,1,0] neg_lo:[0,0,1] neg_hi:[0,0,1]
	v_pk_fma_f32 v[104:105], v[106:107], v[94:95], v[104:105] op_sel:[0,0,1] op_sel_hi:[1,0,0]
	v_mov_b32_e32 v109, v105
	ds_load_2addr_b64 v[104:107], v98 offset0:28 offset1:29
	v_pk_add_f32 v[12:13], v[12:13], v[108:109] neg_lo:[0,1] neg_hi:[0,1]
	s_wait_dscnt 0x0
	v_pk_mul_f32 v[108:109], v[104:105], v[96:97] op_sel:[0,1]
	s_delay_alu instid0(VALU_DEP_1) | instskip(SKIP_1) | instid1(VALU_DEP_1)
	v_pk_fma_f32 v[110:111], v[104:105], v[94:95], v[108:109] op_sel:[0,0,1] op_sel_hi:[1,1,0] neg_lo:[0,0,1] neg_hi:[0,0,1]
	v_pk_fma_f32 v[104:105], v[104:105], v[94:95], v[108:109] op_sel:[0,0,1] op_sel_hi:[1,0,0]
	v_mov_b32_e32 v111, v105
	v_pk_mul_f32 v[104:105], v[106:107], v[96:97] op_sel:[0,1]
	s_delay_alu instid0(VALU_DEP_2) | instskip(NEXT) | instid1(VALU_DEP_2)
	v_pk_add_f32 v[46:47], v[46:47], v[110:111] neg_lo:[0,1] neg_hi:[0,1]
	v_pk_fma_f32 v[108:109], v[106:107], v[94:95], v[104:105] op_sel:[0,0,1] op_sel_hi:[1,1,0] neg_lo:[0,0,1] neg_hi:[0,0,1]
	v_pk_fma_f32 v[104:105], v[106:107], v[94:95], v[104:105] op_sel:[0,0,1] op_sel_hi:[1,0,0]
	s_delay_alu instid0(VALU_DEP_1) | instskip(SKIP_4) | instid1(VALU_DEP_1)
	v_mov_b32_e32 v109, v105
	ds_load_2addr_b64 v[104:107], v98 offset0:30 offset1:31
	v_pk_add_f32 v[42:43], v[42:43], v[108:109] neg_lo:[0,1] neg_hi:[0,1]
	s_wait_dscnt 0x0
	v_pk_mul_f32 v[108:109], v[104:105], v[96:97] op_sel:[0,1]
	v_pk_fma_f32 v[110:111], v[104:105], v[94:95], v[108:109] op_sel:[0,0,1] op_sel_hi:[1,1,0] neg_lo:[0,0,1] neg_hi:[0,0,1]
	v_pk_fma_f32 v[104:105], v[104:105], v[94:95], v[108:109] op_sel:[0,0,1] op_sel_hi:[1,0,0]
	v_dual_mul_f32 v108, v107, v97 :: v_dual_mov_b32 v104, v107
	s_delay_alu instid0(VALU_DEP_2) | instskip(NEXT) | instid1(VALU_DEP_2)
	v_dual_mov_b32 v111, v105 :: v_dual_mov_b32 v105, v106
	v_pk_fma_f32 v[108:109], v[106:107], v[14:15], v[108:109] op_sel_hi:[1,1,0] neg_lo:[0,0,1] neg_hi:[0,0,1]
	v_mul_f32_e32 v106, v107, v94
	s_delay_alu instid0(VALU_DEP_3) | instskip(NEXT) | instid1(VALU_DEP_2)
	v_pk_add_f32 v[44:45], v[44:45], v[110:111] neg_lo:[0,1] neg_hi:[0,1]
	v_pk_fma_f32 v[104:105], v[104:105], v[14:15], v[106:107] op_sel_hi:[1,1,0]
	s_delay_alu instid0(VALU_DEP_1) | instskip(SKIP_4) | instid1(VALU_DEP_1)
	v_mov_b32_e32 v109, v105
	ds_load_2addr_b64 v[104:107], v98 offset0:32 offset1:33
	v_pk_add_f32 v[10:11], v[10:11], v[108:109] neg_lo:[0,1] neg_hi:[0,1]
	s_wait_dscnt 0x0
	v_pk_mul_f32 v[108:109], v[104:105], v[96:97] op_sel:[0,1]
	v_pk_fma_f32 v[110:111], v[104:105], v[94:95], v[108:109] op_sel:[0,0,1] op_sel_hi:[1,1,0] neg_lo:[0,0,1] neg_hi:[0,0,1]
	v_pk_fma_f32 v[104:105], v[104:105], v[94:95], v[108:109] op_sel:[0,0,1] op_sel_hi:[1,0,0]
	s_delay_alu instid0(VALU_DEP_1) | instskip(SKIP_1) | instid1(VALU_DEP_1)
	v_mov_b32_e32 v111, v105
	v_pk_mul_f32 v[104:105], v[106:107], v[96:97] op_sel:[0,1]
	v_pk_fma_f32 v[108:109], v[106:107], v[94:95], v[104:105] op_sel:[0,0,1] op_sel_hi:[1,1,0] neg_lo:[0,0,1] neg_hi:[0,0,1]
	v_pk_fma_f32 v[104:105], v[106:107], v[94:95], v[104:105] op_sel:[0,0,1] op_sel_hi:[1,0,0]
	s_delay_alu instid0(VALU_DEP_1)
	v_mov_b32_e32 v109, v105
	ds_load_2addr_b64 v[104:107], v98 offset0:34 offset1:35
	v_pk_add_f32 v[40:41], v[40:41], v[110:111] neg_lo:[0,1] neg_hi:[0,1]
	v_pk_add_f32 v[36:37], v[36:37], v[108:109] neg_lo:[0,1] neg_hi:[0,1]
	s_wait_dscnt 0x0
	v_pk_mul_f32 v[108:109], v[104:105], v[96:97] op_sel:[0,1]
	s_delay_alu instid0(VALU_DEP_1) | instskip(SKIP_1) | instid1(VALU_DEP_1)
	v_pk_fma_f32 v[110:111], v[104:105], v[94:95], v[108:109] op_sel:[0,0,1] op_sel_hi:[1,1,0] neg_lo:[0,0,1] neg_hi:[0,0,1]
	v_pk_fma_f32 v[104:105], v[104:105], v[94:95], v[108:109] op_sel:[0,0,1] op_sel_hi:[1,0,0]
	v_mov_b32_e32 v111, v105
	v_pk_mul_f32 v[104:105], v[106:107], v[96:97] op_sel:[0,1]
	s_delay_alu instid0(VALU_DEP_1) | instskip(SKIP_1) | instid1(VALU_DEP_1)
	v_pk_fma_f32 v[108:109], v[106:107], v[94:95], v[104:105] op_sel:[0,0,1] op_sel_hi:[1,1,0] neg_lo:[0,0,1] neg_hi:[0,0,1]
	v_pk_fma_f32 v[104:105], v[106:107], v[94:95], v[104:105] op_sel:[0,0,1] op_sel_hi:[1,0,0]
	v_mov_b32_e32 v109, v105
	ds_load_2addr_b64 v[104:107], v98 offset0:36 offset1:37
	v_pk_add_f32 v[38:39], v[38:39], v[110:111] neg_lo:[0,1] neg_hi:[0,1]
	v_pk_add_f32 v[6:7], v[6:7], v[108:109] neg_lo:[0,1] neg_hi:[0,1]
	s_wait_dscnt 0x0
	v_dual_mul_f32 v108, v105, v97 :: v_dual_mul_f32 v110, v105, v94
	s_delay_alu instid0(VALU_DEP_1) | instskip(NEXT) | instid1(VALU_DEP_2)
	v_pk_fma_f32 v[108:109], v[104:105], v[14:15], v[108:109] op_sel_hi:[1,1,0] neg_lo:[0,0,1] neg_hi:[0,0,1]
	v_pk_fma_f32 v[104:105], v[104:105], v[14:15], v[110:111] op_sel:[1,0,0] op_sel_hi:[0,1,0]
	s_delay_alu instid0(VALU_DEP_1) | instskip(SKIP_1) | instid1(VALU_DEP_2)
	v_mov_b32_e32 v109, v105
	v_pk_mul_f32 v[104:105], v[106:107], v[96:97] op_sel:[0,1]
	v_pk_add_f32 v[34:35], v[34:35], v[108:109] neg_lo:[0,1] neg_hi:[0,1]
	s_delay_alu instid0(VALU_DEP_2) | instskip(SKIP_1) | instid1(VALU_DEP_1)
	v_pk_fma_f32 v[108:109], v[106:107], v[94:95], v[104:105] op_sel:[0,0,1] op_sel_hi:[1,1,0] neg_lo:[0,0,1] neg_hi:[0,0,1]
	v_pk_fma_f32 v[104:105], v[106:107], v[94:95], v[104:105] op_sel:[0,0,1] op_sel_hi:[1,0,0]
	v_mov_b32_e32 v109, v105
	ds_load_2addr_b64 v[104:107], v98 offset0:38 offset1:39
	v_pk_add_f32 v[30:31], v[30:31], v[108:109] neg_lo:[0,1] neg_hi:[0,1]
	s_wait_dscnt 0x0
	v_pk_mul_f32 v[108:109], v[104:105], v[96:97] op_sel:[0,1]
	s_delay_alu instid0(VALU_DEP_1) | instskip(SKIP_1) | instid1(VALU_DEP_1)
	v_pk_fma_f32 v[110:111], v[104:105], v[94:95], v[108:109] op_sel:[0,0,1] op_sel_hi:[1,1,0] neg_lo:[0,0,1] neg_hi:[0,0,1]
	v_pk_fma_f32 v[104:105], v[104:105], v[94:95], v[108:109] op_sel:[0,0,1] op_sel_hi:[1,0,0]
	v_mov_b32_e32 v111, v105
	v_pk_mul_f32 v[104:105], v[106:107], v[96:97] op_sel:[0,1]
	s_delay_alu instid0(VALU_DEP_2) | instskip(NEXT) | instid1(VALU_DEP_2)
	v_pk_add_f32 v[32:33], v[32:33], v[110:111] neg_lo:[0,1] neg_hi:[0,1]
	v_pk_fma_f32 v[108:109], v[106:107], v[94:95], v[104:105] op_sel:[0,0,1] op_sel_hi:[1,1,0] neg_lo:[0,0,1] neg_hi:[0,0,1]
	v_pk_fma_f32 v[104:105], v[106:107], v[94:95], v[104:105] op_sel:[0,0,1] op_sel_hi:[1,0,0]
	s_delay_alu instid0(VALU_DEP_1) | instskip(SKIP_4) | instid1(VALU_DEP_1)
	v_mov_b32_e32 v109, v105
	ds_load_2addr_b64 v[104:107], v98 offset0:40 offset1:41
	v_pk_add_f32 v[8:9], v[8:9], v[108:109] neg_lo:[0,1] neg_hi:[0,1]
	s_wait_dscnt 0x0
	v_pk_mul_f32 v[108:109], v[104:105], v[96:97] op_sel:[0,1]
	v_pk_fma_f32 v[110:111], v[104:105], v[94:95], v[108:109] op_sel:[0,0,1] op_sel_hi:[1,1,0] neg_lo:[0,0,1] neg_hi:[0,0,1]
	v_pk_fma_f32 v[104:105], v[104:105], v[94:95], v[108:109] op_sel:[0,0,1] op_sel_hi:[1,0,0]
	v_dual_mul_f32 v108, v107, v97 :: v_dual_mov_b32 v104, v107
	s_delay_alu instid0(VALU_DEP_2) | instskip(NEXT) | instid1(VALU_DEP_2)
	v_dual_mov_b32 v111, v105 :: v_dual_mov_b32 v105, v106
	v_pk_fma_f32 v[108:109], v[106:107], v[14:15], v[108:109] op_sel_hi:[1,1,0] neg_lo:[0,0,1] neg_hi:[0,0,1]
	v_mul_f32_e32 v106, v107, v94
	s_delay_alu instid0(VALU_DEP_3) | instskip(NEXT) | instid1(VALU_DEP_2)
	v_pk_add_f32 v[28:29], v[28:29], v[110:111] neg_lo:[0,1] neg_hi:[0,1]
	v_pk_fma_f32 v[104:105], v[104:105], v[14:15], v[106:107] op_sel_hi:[1,1,0]
	s_delay_alu instid0(VALU_DEP_1)
	v_mov_b32_e32 v109, v105
	ds_load_2addr_b64 v[104:107], v98 offset0:42 offset1:43
	v_pk_add_f32 v[20:21], v[20:21], v[108:109] neg_lo:[0,1] neg_hi:[0,1]
	s_wait_dscnt 0x0
	v_pk_mul_f32 v[108:109], v[104:105], v[96:97] op_sel:[0,1]
	v_mul_f32_e32 v96, v107, v97
	s_delay_alu instid0(VALU_DEP_2) | instskip(SKIP_2) | instid1(VALU_DEP_4)
	v_pk_fma_f32 v[110:111], v[104:105], v[94:95], v[108:109] op_sel:[0,0,1] op_sel_hi:[1,1,0] neg_lo:[0,0,1] neg_hi:[0,0,1]
	v_pk_fma_f32 v[104:105], v[104:105], v[94:95], v[108:109] op_sel:[0,0,1] op_sel_hi:[1,0,0]
	v_dual_mov_b32 v104, v107 :: v_dual_mul_f32 v94, v107, v94
	v_pk_fma_f32 v[96:97], v[106:107], v[14:15], v[96:97] op_sel_hi:[1,1,0] neg_lo:[0,0,1] neg_hi:[0,0,1]
	s_delay_alu instid0(VALU_DEP_3) | instskip(NEXT) | instid1(VALU_DEP_1)
	v_dual_mov_b32 v111, v105 :: v_dual_mov_b32 v105, v106
	v_pk_add_f32 v[16:17], v[16:17], v[110:111] neg_lo:[0,1] neg_hi:[0,1]
	s_delay_alu instid0(VALU_DEP_2) | instskip(NEXT) | instid1(VALU_DEP_1)
	v_pk_fma_f32 v[94:95], v[104:105], v[14:15], v[94:95] op_sel_hi:[1,1,0]
	v_mov_b32_e32 v97, v95
	s_delay_alu instid0(VALU_DEP_1)
	v_pk_add_f32 v[92:93], v[92:93], v[96:97] neg_lo:[0,1] neg_hi:[0,1]
.LBB86_167:
	s_or_b32 exec_lo, exec_lo, s0
	v_lshl_add_u32 v94, v102, 3, v98
	s_barrier_signal -1
	s_barrier_wait -1
	ds_store_b64 v94, v[64:65]
	s_wait_dscnt 0x0
	s_barrier_signal -1
	s_barrier_wait -1
	ds_load_b64 v[96:97], v98 offset:64
	v_mov_b32_e32 v94, 8
	s_cmp_lt_i32 s18, 10
	s_cbranch_scc1 .LBB86_170
; %bb.168:
	v_add3_u32 v95, v99, 0, 0x48
	v_mov_b32_e32 v94, 8
	s_mov_b32 s0, 9
.LBB86_169:                             ; =>This Inner Loop Header: Depth=1
	ds_load_b64 v[104:105], v95
	s_wait_dscnt 0x1
	v_cmp_gt_f32_e32 vcc_lo, 0, v96
	v_cndmask_b32_e64 v106, v96, -v96, vcc_lo
	v_cmp_gt_f32_e32 vcc_lo, 0, v97
	v_cndmask_b32_e64 v108, v97, -v97, vcc_lo
	s_wait_dscnt 0x0
	v_cmp_gt_f32_e32 vcc_lo, 0, v104
	v_cndmask_b32_e64 v107, v104, -v104, vcc_lo
	v_cmp_gt_f32_e32 vcc_lo, 0, v105
	v_cndmask_b32_e64 v109, v105, -v105, vcc_lo
	s_delay_alu instid0(VALU_DEP_1) | instskip(NEXT) | instid1(VALU_DEP_1)
	v_pk_add_f32 v[106:107], v[106:107], v[108:109]
	v_cmp_lt_f32_e32 vcc_lo, v106, v107
	v_dual_add_nc_u32 v95, 8, v95 :: v_dual_cndmask_b32 v97, v97, v105, vcc_lo
	v_cndmask_b32_e32 v96, v96, v104, vcc_lo
	v_cndmask_b32_e64 v94, v94, s0, vcc_lo
	s_add_co_i32 s0, s0, 1
	s_delay_alu instid0(SALU_CYCLE_1)
	s_cmp_lg_u32 s18, s0
	s_cbranch_scc1 .LBB86_169
.LBB86_170:
	s_wait_dscnt 0x0
	v_cmp_eq_f32_e32 vcc_lo, 0, v96
	v_cmp_eq_f32_e64 s0, 0, v97
	s_and_b32 s0, vcc_lo, s0
	s_delay_alu instid0(SALU_CYCLE_1) | instskip(NEXT) | instid1(SALU_CYCLE_1)
	s_and_saveexec_b32 s1, s0
	s_xor_b32 s0, exec_lo, s1
; %bb.171:
	v_cmp_ne_u32_e32 vcc_lo, 0, v100
	v_cndmask_b32_e32 v100, 9, v100, vcc_lo
; %bb.172:
	s_and_not1_saveexec_b32 s0, s0
	s_cbranch_execz .LBB86_178
; %bb.173:
	v_cmp_ngt_f32_e64 s1, |v96|, |v97|
	s_and_saveexec_b32 s12, s1
	s_delay_alu instid0(SALU_CYCLE_1)
	s_xor_b32 s1, exec_lo, s12
	s_cbranch_execz .LBB86_175
; %bb.174:
	v_div_scale_f32 v95, null, v97, v97, v96
	v_div_scale_f32 v105, vcc_lo, v96, v97, v96
	s_delay_alu instid0(VALU_DEP_2) | instskip(SKIP_1) | instid1(TRANS32_DEP_1)
	v_rcp_f32_e32 v103, v95
	v_nop
	v_fma_f32 v104, -v95, v103, 1.0
	s_delay_alu instid0(VALU_DEP_1) | instskip(NEXT) | instid1(VALU_DEP_1)
	v_fmac_f32_e32 v103, v104, v103
	v_mul_f32_e32 v104, v105, v103
	s_delay_alu instid0(VALU_DEP_1) | instskip(NEXT) | instid1(VALU_DEP_1)
	v_fma_f32 v106, -v95, v104, v105
	v_fmac_f32_e32 v104, v106, v103
	s_delay_alu instid0(VALU_DEP_1) | instskip(NEXT) | instid1(VALU_DEP_1)
	v_fma_f32 v95, -v95, v104, v105
	v_div_fmas_f32 v95, v95, v103, v104
	s_delay_alu instid0(VALU_DEP_1) | instskip(NEXT) | instid1(VALU_DEP_1)
	v_div_fixup_f32 v95, v95, v97, v96
	v_fmac_f32_e32 v97, v96, v95
	s_delay_alu instid0(VALU_DEP_1) | instskip(SKIP_1) | instid1(VALU_DEP_2)
	v_div_scale_f32 v96, null, v97, v97, 1.0
	v_div_scale_f32 v105, vcc_lo, 1.0, v97, 1.0
	v_rcp_f32_e32 v103, v96
	v_nop
	s_delay_alu instid0(TRANS32_DEP_1) | instskip(NEXT) | instid1(VALU_DEP_1)
	v_fma_f32 v104, -v96, v103, 1.0
	v_fmac_f32_e32 v103, v104, v103
	s_delay_alu instid0(VALU_DEP_1) | instskip(NEXT) | instid1(VALU_DEP_1)
	v_mul_f32_e32 v104, v105, v103
	v_fma_f32 v106, -v96, v104, v105
	s_delay_alu instid0(VALU_DEP_1) | instskip(NEXT) | instid1(VALU_DEP_1)
	v_fmac_f32_e32 v104, v106, v103
	v_fma_f32 v96, -v96, v104, v105
	s_delay_alu instid0(VALU_DEP_1) | instskip(NEXT) | instid1(VALU_DEP_1)
	v_div_fmas_f32 v96, v96, v103, v104
	v_div_fixup_f32 v97, v96, v97, 1.0
	s_delay_alu instid0(VALU_DEP_1)
	v_mul_f32_e32 v96, v95, v97
	v_xor_b32_e32 v97, 0x80000000, v97
.LBB86_175:
	s_and_not1_saveexec_b32 s1, s1
	s_cbranch_execz .LBB86_177
; %bb.176:
	s_delay_alu instid0(VALU_DEP_1) | instskip(SKIP_1) | instid1(VALU_DEP_2)
	v_div_scale_f32 v95, null, v96, v96, v97
	v_div_scale_f32 v105, vcc_lo, v97, v96, v97
	v_rcp_f32_e32 v103, v95
	v_nop
	s_delay_alu instid0(TRANS32_DEP_1) | instskip(NEXT) | instid1(VALU_DEP_1)
	v_fma_f32 v104, -v95, v103, 1.0
	v_fmac_f32_e32 v103, v104, v103
	s_delay_alu instid0(VALU_DEP_1) | instskip(NEXT) | instid1(VALU_DEP_1)
	v_mul_f32_e32 v104, v105, v103
	v_fma_f32 v106, -v95, v104, v105
	s_delay_alu instid0(VALU_DEP_1) | instskip(NEXT) | instid1(VALU_DEP_1)
	v_fmac_f32_e32 v104, v106, v103
	v_fma_f32 v95, -v95, v104, v105
	s_delay_alu instid0(VALU_DEP_1) | instskip(NEXT) | instid1(VALU_DEP_1)
	v_div_fmas_f32 v95, v95, v103, v104
	v_div_fixup_f32 v95, v95, v96, v97
	s_delay_alu instid0(VALU_DEP_1) | instskip(NEXT) | instid1(VALU_DEP_1)
	v_fmac_f32_e32 v96, v97, v95
	v_div_scale_f32 v97, null, v96, v96, 1.0
	s_delay_alu instid0(VALU_DEP_1) | instskip(SKIP_1) | instid1(TRANS32_DEP_1)
	v_rcp_f32_e32 v103, v97
	v_nop
	v_fma_f32 v104, -v97, v103, 1.0
	s_delay_alu instid0(VALU_DEP_1) | instskip(SKIP_1) | instid1(VALU_DEP_1)
	v_fmac_f32_e32 v103, v104, v103
	v_div_scale_f32 v104, vcc_lo, 1.0, v96, 1.0
	v_mul_f32_e32 v105, v104, v103
	s_delay_alu instid0(VALU_DEP_1) | instskip(NEXT) | instid1(VALU_DEP_1)
	v_fma_f32 v106, -v97, v105, v104
	v_fmac_f32_e32 v105, v106, v103
	s_delay_alu instid0(VALU_DEP_1) | instskip(NEXT) | instid1(VALU_DEP_1)
	v_fma_f32 v97, -v97, v105, v104
	v_div_fmas_f32 v97, v97, v103, v105
	s_delay_alu instid0(VALU_DEP_1) | instskip(NEXT) | instid1(VALU_DEP_1)
	v_div_fixup_f32 v96, v97, v96, 1.0
	v_mul_f32_e64 v97, v95, -v96
.LBB86_177:
	s_or_b32 exec_lo, exec_lo, s1
.LBB86_178:
	s_delay_alu instid0(SALU_CYCLE_1) | instskip(NEXT) | instid1(SALU_CYCLE_1)
	s_or_b32 exec_lo, exec_lo, s0
	s_mov_b32 s0, exec_lo
	v_cmpx_ne_u32_e64 v102, v94
	s_xor_b32 s0, exec_lo, s0
	s_cbranch_execz .LBB86_184
; %bb.179:
	s_mov_b32 s1, exec_lo
	v_cmpx_eq_u32_e32 8, v102
	s_cbranch_execz .LBB86_183
; %bb.180:
	v_cmp_ne_u32_e32 vcc_lo, 8, v94
	s_xor_b32 s12, s16, -1
	s_delay_alu instid0(SALU_CYCLE_1) | instskip(NEXT) | instid1(SALU_CYCLE_1)
	s_and_b32 s13, s12, vcc_lo
	s_and_saveexec_b32 s12, s13
	s_cbranch_execz .LBB86_182
; %bb.181:
	v_ashrrev_i32_e32 v95, 31, v94
	s_delay_alu instid0(VALU_DEP_1)
	v_lshl_add_u64 v[102:103], v[94:95], 2, v[4:5]
	s_clause 0x1
	global_load_b32 v95, v[102:103], off
	global_load_b32 v101, v[4:5], off offset:32
	s_wait_loadcnt 0x1
	global_store_b32 v[4:5], v95, off offset:32
	s_wait_loadcnt 0x0
	global_store_b32 v[102:103], v101, off
.LBB86_182:
	s_wait_xcnt 0x0
	s_or_b32 exec_lo, exec_lo, s12
	v_dual_mov_b32 v102, v94 :: v_dual_mov_b32 v101, v94
.LBB86_183:
	s_or_b32 exec_lo, exec_lo, s1
.LBB86_184:
	s_and_not1_saveexec_b32 s0, s0
	s_cbranch_execz .LBB86_186
; %bb.185:
	v_mov_b32_e32 v102, 8
	ds_store_2addr_b64 v98, v[60:61], v[62:63] offset0:9 offset1:10
	ds_store_2addr_b64 v98, v[18:19], v[82:83] offset0:11 offset1:12
	;; [unrolled: 1-line block ×17, first 2 shown]
	ds_store_b64 v98, v[92:93] offset:344
.LBB86_186:
	s_or_b32 exec_lo, exec_lo, s0
	s_delay_alu instid0(SALU_CYCLE_1)
	s_mov_b32 s0, exec_lo
	s_wait_storecnt_dscnt 0x0
	s_barrier_signal -1
	s_barrier_wait -1
	v_cmpx_lt_i32_e32 8, v102
	s_cbranch_execz .LBB86_188
; %bb.187:
	v_pk_mul_f32 v[104:105], v[96:97], v[64:65] op_sel:[1,1] op_sel_hi:[0,1]
	s_delay_alu instid0(VALU_DEP_1)
	v_pk_fma_f32 v[94:95], v[96:97], v[64:65], v[104:105] op_sel_hi:[1,0,1] neg_lo:[0,0,1] neg_hi:[0,0,1]
	v_pk_fma_f32 v[96:97], v[96:97], v[64:65], v[104:105] op_sel_hi:[1,0,1]
	ds_load_2addr_b64 v[104:107], v98 offset0:9 offset1:10
	v_dual_mov_b32 v64, v94 :: v_dual_mov_b32 v65, v97
	s_wait_dscnt 0x0
	v_pk_mul_f32 v[108:109], v[104:105], v[96:97] op_sel:[0,1]
	s_delay_alu instid0(VALU_DEP_1) | instskip(SKIP_1) | instid1(VALU_DEP_1)
	v_pk_fma_f32 v[110:111], v[104:105], v[94:95], v[108:109] op_sel:[0,0,1] op_sel_hi:[1,1,0] neg_lo:[0,0,1] neg_hi:[0,0,1]
	v_pk_fma_f32 v[104:105], v[104:105], v[94:95], v[108:109] op_sel:[0,0,1] op_sel_hi:[1,0,0]
	v_mov_b32_e32 v111, v105
	v_pk_mul_f32 v[104:105], v[106:107], v[96:97] op_sel:[0,1]
	s_delay_alu instid0(VALU_DEP_1) | instskip(SKIP_1) | instid1(VALU_DEP_1)
	v_pk_fma_f32 v[108:109], v[106:107], v[94:95], v[104:105] op_sel:[0,0,1] op_sel_hi:[1,1,0] neg_lo:[0,0,1] neg_hi:[0,0,1]
	v_pk_fma_f32 v[104:105], v[106:107], v[94:95], v[104:105] op_sel:[0,0,1] op_sel_hi:[1,0,0]
	v_mov_b32_e32 v109, v105
	ds_load_2addr_b64 v[104:107], v98 offset0:11 offset1:12
	v_pk_add_f32 v[60:61], v[60:61], v[110:111] neg_lo:[0,1] neg_hi:[0,1]
	v_pk_add_f32 v[62:63], v[62:63], v[108:109] neg_lo:[0,1] neg_hi:[0,1]
	s_wait_dscnt 0x0
	v_pk_mul_f32 v[108:109], v[104:105], v[96:97] op_sel:[0,1]
	s_delay_alu instid0(VALU_DEP_1) | instskip(SKIP_2) | instid1(VALU_DEP_2)
	v_pk_fma_f32 v[110:111], v[104:105], v[94:95], v[108:109] op_sel:[0,0,1] op_sel_hi:[1,1,0] neg_lo:[0,0,1] neg_hi:[0,0,1]
	v_pk_fma_f32 v[104:105], v[104:105], v[94:95], v[108:109] op_sel:[0,0,1] op_sel_hi:[1,0,0]
	v_dual_mul_f32 v108, v107, v97 :: v_dual_mov_b32 v104, v107
	v_dual_mov_b32 v111, v105 :: v_dual_mov_b32 v105, v106
	s_delay_alu instid0(VALU_DEP_2) | instskip(SKIP_1) | instid1(VALU_DEP_3)
	v_pk_fma_f32 v[108:109], v[106:107], v[64:65], v[108:109] op_sel_hi:[1,1,0] neg_lo:[0,0,1] neg_hi:[0,0,1]
	v_mul_f32_e32 v106, v107, v94
	v_pk_add_f32 v[18:19], v[18:19], v[110:111] neg_lo:[0,1] neg_hi:[0,1]
	s_delay_alu instid0(VALU_DEP_2) | instskip(NEXT) | instid1(VALU_DEP_1)
	v_pk_fma_f32 v[104:105], v[104:105], v[64:65], v[106:107] op_sel_hi:[1,1,0]
	v_mov_b32_e32 v109, v105
	ds_load_2addr_b64 v[104:107], v98 offset0:13 offset1:14
	v_pk_add_f32 v[82:83], v[82:83], v[108:109] neg_lo:[0,1] neg_hi:[0,1]
	s_wait_dscnt 0x0
	v_pk_mul_f32 v[108:109], v[104:105], v[96:97] op_sel:[0,1]
	s_delay_alu instid0(VALU_DEP_1) | instskip(SKIP_1) | instid1(VALU_DEP_1)
	v_pk_fma_f32 v[110:111], v[104:105], v[94:95], v[108:109] op_sel:[0,0,1] op_sel_hi:[1,1,0] neg_lo:[0,0,1] neg_hi:[0,0,1]
	v_pk_fma_f32 v[104:105], v[104:105], v[94:95], v[108:109] op_sel:[0,0,1] op_sel_hi:[1,0,0]
	v_mov_b32_e32 v111, v105
	v_pk_mul_f32 v[104:105], v[106:107], v[96:97] op_sel:[0,1]
	s_delay_alu instid0(VALU_DEP_1) | instskip(SKIP_1) | instid1(VALU_DEP_1)
	v_pk_fma_f32 v[108:109], v[106:107], v[94:95], v[104:105] op_sel:[0,0,1] op_sel_hi:[1,1,0] neg_lo:[0,0,1] neg_hi:[0,0,1]
	v_pk_fma_f32 v[104:105], v[106:107], v[94:95], v[104:105] op_sel:[0,0,1] op_sel_hi:[1,0,0]
	v_mov_b32_e32 v109, v105
	ds_load_2addr_b64 v[104:107], v98 offset0:15 offset1:16
	v_pk_add_f32 v[78:79], v[78:79], v[110:111] neg_lo:[0,1] neg_hi:[0,1]
	v_pk_add_f32 v[80:81], v[80:81], v[108:109] neg_lo:[0,1] neg_hi:[0,1]
	s_wait_dscnt 0x0
	v_pk_mul_f32 v[108:109], v[104:105], v[96:97] op_sel:[0,1]
	s_delay_alu instid0(VALU_DEP_1) | instskip(SKIP_1) | instid1(VALU_DEP_1)
	v_pk_fma_f32 v[110:111], v[104:105], v[94:95], v[108:109] op_sel:[0,0,1] op_sel_hi:[1,1,0] neg_lo:[0,0,1] neg_hi:[0,0,1]
	v_pk_fma_f32 v[104:105], v[104:105], v[94:95], v[108:109] op_sel:[0,0,1] op_sel_hi:[1,0,0]
	v_mov_b32_e32 v111, v105
	v_pk_mul_f32 v[104:105], v[106:107], v[96:97] op_sel:[0,1]
	s_delay_alu instid0(VALU_DEP_1) | instskip(SKIP_1) | instid1(VALU_DEP_1)
	v_pk_fma_f32 v[108:109], v[106:107], v[94:95], v[104:105] op_sel:[0,0,1] op_sel_hi:[1,1,0] neg_lo:[0,0,1] neg_hi:[0,0,1]
	v_pk_fma_f32 v[104:105], v[106:107], v[94:95], v[104:105] op_sel:[0,0,1] op_sel_hi:[1,0,0]
	v_mov_b32_e32 v109, v105
	ds_load_2addr_b64 v[104:107], v98 offset0:17 offset1:18
	v_pk_add_f32 v[26:27], v[26:27], v[110:111] neg_lo:[0,1] neg_hi:[0,1]
	v_pk_add_f32 v[76:77], v[76:77], v[108:109] neg_lo:[0,1] neg_hi:[0,1]
	s_wait_dscnt 0x0
	v_dual_mul_f32 v108, v105, v97 :: v_dual_mul_f32 v110, v105, v94
	s_delay_alu instid0(VALU_DEP_1) | instskip(NEXT) | instid1(VALU_DEP_2)
	v_pk_fma_f32 v[108:109], v[104:105], v[64:65], v[108:109] op_sel_hi:[1,1,0] neg_lo:[0,0,1] neg_hi:[0,0,1]
	v_pk_fma_f32 v[104:105], v[104:105], v[64:65], v[110:111] op_sel:[1,0,0] op_sel_hi:[0,1,0]
	s_delay_alu instid0(VALU_DEP_1) | instskip(SKIP_1) | instid1(VALU_DEP_2)
	v_mov_b32_e32 v109, v105
	v_pk_mul_f32 v[104:105], v[106:107], v[96:97] op_sel:[0,1]
	v_pk_add_f32 v[72:73], v[72:73], v[108:109] neg_lo:[0,1] neg_hi:[0,1]
	s_delay_alu instid0(VALU_DEP_2) | instskip(SKIP_1) | instid1(VALU_DEP_1)
	v_pk_fma_f32 v[108:109], v[106:107], v[94:95], v[104:105] op_sel:[0,0,1] op_sel_hi:[1,1,0] neg_lo:[0,0,1] neg_hi:[0,0,1]
	v_pk_fma_f32 v[104:105], v[106:107], v[94:95], v[104:105] op_sel:[0,0,1] op_sel_hi:[1,0,0]
	v_mov_b32_e32 v109, v105
	ds_load_2addr_b64 v[104:107], v98 offset0:19 offset1:20
	v_pk_add_f32 v[74:75], v[74:75], v[108:109] neg_lo:[0,1] neg_hi:[0,1]
	s_wait_dscnt 0x0
	v_pk_mul_f32 v[108:109], v[104:105], v[96:97] op_sel:[0,1]
	s_delay_alu instid0(VALU_DEP_1) | instskip(SKIP_1) | instid1(VALU_DEP_1)
	v_pk_fma_f32 v[110:111], v[104:105], v[94:95], v[108:109] op_sel:[0,0,1] op_sel_hi:[1,1,0] neg_lo:[0,0,1] neg_hi:[0,0,1]
	v_pk_fma_f32 v[104:105], v[104:105], v[94:95], v[108:109] op_sel:[0,0,1] op_sel_hi:[1,0,0]
	v_mov_b32_e32 v111, v105
	v_pk_mul_f32 v[104:105], v[106:107], v[96:97] op_sel:[0,1]
	s_delay_alu instid0(VALU_DEP_2) | instskip(NEXT) | instid1(VALU_DEP_2)
	v_pk_add_f32 v[24:25], v[24:25], v[110:111] neg_lo:[0,1] neg_hi:[0,1]
	v_pk_fma_f32 v[108:109], v[106:107], v[94:95], v[104:105] op_sel:[0,0,1] op_sel_hi:[1,1,0] neg_lo:[0,0,1] neg_hi:[0,0,1]
	v_pk_fma_f32 v[104:105], v[106:107], v[94:95], v[104:105] op_sel:[0,0,1] op_sel_hi:[1,0,0]
	s_delay_alu instid0(VALU_DEP_1) | instskip(SKIP_4) | instid1(VALU_DEP_1)
	v_mov_b32_e32 v109, v105
	ds_load_2addr_b64 v[104:107], v98 offset0:21 offset1:22
	v_pk_add_f32 v[70:71], v[70:71], v[108:109] neg_lo:[0,1] neg_hi:[0,1]
	s_wait_dscnt 0x0
	v_pk_mul_f32 v[108:109], v[104:105], v[96:97] op_sel:[0,1]
	v_pk_fma_f32 v[110:111], v[104:105], v[94:95], v[108:109] op_sel:[0,0,1] op_sel_hi:[1,1,0] neg_lo:[0,0,1] neg_hi:[0,0,1]
	v_pk_fma_f32 v[104:105], v[104:105], v[94:95], v[108:109] op_sel:[0,0,1] op_sel_hi:[1,0,0]
	v_dual_mul_f32 v108, v107, v97 :: v_dual_mov_b32 v104, v107
	s_delay_alu instid0(VALU_DEP_2) | instskip(NEXT) | instid1(VALU_DEP_2)
	v_dual_mov_b32 v111, v105 :: v_dual_mov_b32 v105, v106
	v_pk_fma_f32 v[108:109], v[106:107], v[64:65], v[108:109] op_sel_hi:[1,1,0] neg_lo:[0,0,1] neg_hi:[0,0,1]
	v_mul_f32_e32 v106, v107, v94
	s_delay_alu instid0(VALU_DEP_3) | instskip(NEXT) | instid1(VALU_DEP_2)
	v_pk_add_f32 v[66:67], v[66:67], v[110:111] neg_lo:[0,1] neg_hi:[0,1]
	v_pk_fma_f32 v[104:105], v[104:105], v[64:65], v[106:107] op_sel_hi:[1,1,0]
	s_delay_alu instid0(VALU_DEP_1) | instskip(SKIP_4) | instid1(VALU_DEP_1)
	v_mov_b32_e32 v109, v105
	ds_load_2addr_b64 v[104:107], v98 offset0:23 offset1:24
	v_pk_add_f32 v[68:69], v[68:69], v[108:109] neg_lo:[0,1] neg_hi:[0,1]
	s_wait_dscnt 0x0
	v_pk_mul_f32 v[108:109], v[104:105], v[96:97] op_sel:[0,1]
	v_pk_fma_f32 v[110:111], v[104:105], v[94:95], v[108:109] op_sel:[0,0,1] op_sel_hi:[1,1,0] neg_lo:[0,0,1] neg_hi:[0,0,1]
	v_pk_fma_f32 v[104:105], v[104:105], v[94:95], v[108:109] op_sel:[0,0,1] op_sel_hi:[1,0,0]
	s_delay_alu instid0(VALU_DEP_1) | instskip(SKIP_1) | instid1(VALU_DEP_1)
	v_mov_b32_e32 v111, v105
	v_pk_mul_f32 v[104:105], v[106:107], v[96:97] op_sel:[0,1]
	v_pk_fma_f32 v[108:109], v[106:107], v[94:95], v[104:105] op_sel:[0,0,1] op_sel_hi:[1,1,0] neg_lo:[0,0,1] neg_hi:[0,0,1]
	v_pk_fma_f32 v[104:105], v[106:107], v[94:95], v[104:105] op_sel:[0,0,1] op_sel_hi:[1,0,0]
	s_delay_alu instid0(VALU_DEP_1)
	v_mov_b32_e32 v109, v105
	ds_load_2addr_b64 v[104:107], v98 offset0:25 offset1:26
	v_pk_add_f32 v[22:23], v[22:23], v[110:111] neg_lo:[0,1] neg_hi:[0,1]
	v_pk_add_f32 v[54:55], v[54:55], v[108:109] neg_lo:[0,1] neg_hi:[0,1]
	s_wait_dscnt 0x0
	v_pk_mul_f32 v[108:109], v[104:105], v[96:97] op_sel:[0,1]
	s_delay_alu instid0(VALU_DEP_1) | instskip(SKIP_1) | instid1(VALU_DEP_1)
	v_pk_fma_f32 v[110:111], v[104:105], v[94:95], v[108:109] op_sel:[0,0,1] op_sel_hi:[1,1,0] neg_lo:[0,0,1] neg_hi:[0,0,1]
	v_pk_fma_f32 v[104:105], v[104:105], v[94:95], v[108:109] op_sel:[0,0,1] op_sel_hi:[1,0,0]
	v_mov_b32_e32 v111, v105
	v_pk_mul_f32 v[104:105], v[106:107], v[96:97] op_sel:[0,1]
	s_delay_alu instid0(VALU_DEP_1) | instskip(SKIP_1) | instid1(VALU_DEP_1)
	v_pk_fma_f32 v[108:109], v[106:107], v[94:95], v[104:105] op_sel:[0,0,1] op_sel_hi:[1,1,0] neg_lo:[0,0,1] neg_hi:[0,0,1]
	v_pk_fma_f32 v[104:105], v[106:107], v[94:95], v[104:105] op_sel:[0,0,1] op_sel_hi:[1,0,0]
	v_mov_b32_e32 v109, v105
	ds_load_2addr_b64 v[104:107], v98 offset0:27 offset1:28
	v_pk_add_f32 v[48:49], v[48:49], v[110:111] neg_lo:[0,1] neg_hi:[0,1]
	v_pk_add_f32 v[52:53], v[52:53], v[108:109] neg_lo:[0,1] neg_hi:[0,1]
	s_wait_dscnt 0x0
	v_dual_mul_f32 v108, v105, v97 :: v_dual_mul_f32 v110, v105, v94
	s_delay_alu instid0(VALU_DEP_1) | instskip(NEXT) | instid1(VALU_DEP_2)
	v_pk_fma_f32 v[108:109], v[104:105], v[64:65], v[108:109] op_sel_hi:[1,1,0] neg_lo:[0,0,1] neg_hi:[0,0,1]
	v_pk_fma_f32 v[104:105], v[104:105], v[64:65], v[110:111] op_sel:[1,0,0] op_sel_hi:[0,1,0]
	s_delay_alu instid0(VALU_DEP_1) | instskip(SKIP_1) | instid1(VALU_DEP_2)
	v_mov_b32_e32 v109, v105
	v_pk_mul_f32 v[104:105], v[106:107], v[96:97] op_sel:[0,1]
	v_pk_add_f32 v[12:13], v[12:13], v[108:109] neg_lo:[0,1] neg_hi:[0,1]
	s_delay_alu instid0(VALU_DEP_2) | instskip(SKIP_1) | instid1(VALU_DEP_1)
	v_pk_fma_f32 v[108:109], v[106:107], v[94:95], v[104:105] op_sel:[0,0,1] op_sel_hi:[1,1,0] neg_lo:[0,0,1] neg_hi:[0,0,1]
	v_pk_fma_f32 v[104:105], v[106:107], v[94:95], v[104:105] op_sel:[0,0,1] op_sel_hi:[1,0,0]
	v_mov_b32_e32 v109, v105
	ds_load_2addr_b64 v[104:107], v98 offset0:29 offset1:30
	v_pk_add_f32 v[46:47], v[46:47], v[108:109] neg_lo:[0,1] neg_hi:[0,1]
	s_wait_dscnt 0x0
	v_pk_mul_f32 v[108:109], v[104:105], v[96:97] op_sel:[0,1]
	s_delay_alu instid0(VALU_DEP_1) | instskip(SKIP_1) | instid1(VALU_DEP_1)
	v_pk_fma_f32 v[110:111], v[104:105], v[94:95], v[108:109] op_sel:[0,0,1] op_sel_hi:[1,1,0] neg_lo:[0,0,1] neg_hi:[0,0,1]
	v_pk_fma_f32 v[104:105], v[104:105], v[94:95], v[108:109] op_sel:[0,0,1] op_sel_hi:[1,0,0]
	v_mov_b32_e32 v111, v105
	v_pk_mul_f32 v[104:105], v[106:107], v[96:97] op_sel:[0,1]
	s_delay_alu instid0(VALU_DEP_2) | instskip(NEXT) | instid1(VALU_DEP_2)
	v_pk_add_f32 v[42:43], v[42:43], v[110:111] neg_lo:[0,1] neg_hi:[0,1]
	v_pk_fma_f32 v[108:109], v[106:107], v[94:95], v[104:105] op_sel:[0,0,1] op_sel_hi:[1,1,0] neg_lo:[0,0,1] neg_hi:[0,0,1]
	v_pk_fma_f32 v[104:105], v[106:107], v[94:95], v[104:105] op_sel:[0,0,1] op_sel_hi:[1,0,0]
	s_delay_alu instid0(VALU_DEP_1) | instskip(SKIP_4) | instid1(VALU_DEP_1)
	v_mov_b32_e32 v109, v105
	ds_load_2addr_b64 v[104:107], v98 offset0:31 offset1:32
	v_pk_add_f32 v[44:45], v[44:45], v[108:109] neg_lo:[0,1] neg_hi:[0,1]
	s_wait_dscnt 0x0
	v_pk_mul_f32 v[108:109], v[104:105], v[96:97] op_sel:[0,1]
	v_pk_fma_f32 v[110:111], v[104:105], v[94:95], v[108:109] op_sel:[0,0,1] op_sel_hi:[1,1,0] neg_lo:[0,0,1] neg_hi:[0,0,1]
	v_pk_fma_f32 v[104:105], v[104:105], v[94:95], v[108:109] op_sel:[0,0,1] op_sel_hi:[1,0,0]
	v_dual_mul_f32 v108, v107, v97 :: v_dual_mov_b32 v104, v107
	s_delay_alu instid0(VALU_DEP_2) | instskip(NEXT) | instid1(VALU_DEP_2)
	v_dual_mov_b32 v111, v105 :: v_dual_mov_b32 v105, v106
	v_pk_fma_f32 v[108:109], v[106:107], v[64:65], v[108:109] op_sel_hi:[1,1,0] neg_lo:[0,0,1] neg_hi:[0,0,1]
	v_mul_f32_e32 v106, v107, v94
	s_delay_alu instid0(VALU_DEP_3) | instskip(NEXT) | instid1(VALU_DEP_2)
	v_pk_add_f32 v[10:11], v[10:11], v[110:111] neg_lo:[0,1] neg_hi:[0,1]
	v_pk_fma_f32 v[104:105], v[104:105], v[64:65], v[106:107] op_sel_hi:[1,1,0]
	s_delay_alu instid0(VALU_DEP_1) | instskip(SKIP_4) | instid1(VALU_DEP_1)
	v_mov_b32_e32 v109, v105
	ds_load_2addr_b64 v[104:107], v98 offset0:33 offset1:34
	v_pk_add_f32 v[40:41], v[40:41], v[108:109] neg_lo:[0,1] neg_hi:[0,1]
	s_wait_dscnt 0x0
	v_pk_mul_f32 v[108:109], v[104:105], v[96:97] op_sel:[0,1]
	v_pk_fma_f32 v[110:111], v[104:105], v[94:95], v[108:109] op_sel:[0,0,1] op_sel_hi:[1,1,0] neg_lo:[0,0,1] neg_hi:[0,0,1]
	v_pk_fma_f32 v[104:105], v[104:105], v[94:95], v[108:109] op_sel:[0,0,1] op_sel_hi:[1,0,0]
	s_delay_alu instid0(VALU_DEP_1) | instskip(SKIP_1) | instid1(VALU_DEP_1)
	v_mov_b32_e32 v111, v105
	v_pk_mul_f32 v[104:105], v[106:107], v[96:97] op_sel:[0,1]
	v_pk_fma_f32 v[108:109], v[106:107], v[94:95], v[104:105] op_sel:[0,0,1] op_sel_hi:[1,1,0] neg_lo:[0,0,1] neg_hi:[0,0,1]
	v_pk_fma_f32 v[104:105], v[106:107], v[94:95], v[104:105] op_sel:[0,0,1] op_sel_hi:[1,0,0]
	s_delay_alu instid0(VALU_DEP_1)
	v_mov_b32_e32 v109, v105
	ds_load_2addr_b64 v[104:107], v98 offset0:35 offset1:36
	v_pk_add_f32 v[36:37], v[36:37], v[110:111] neg_lo:[0,1] neg_hi:[0,1]
	v_pk_add_f32 v[38:39], v[38:39], v[108:109] neg_lo:[0,1] neg_hi:[0,1]
	s_wait_dscnt 0x0
	v_pk_mul_f32 v[108:109], v[104:105], v[96:97] op_sel:[0,1]
	s_delay_alu instid0(VALU_DEP_1) | instskip(SKIP_1) | instid1(VALU_DEP_1)
	v_pk_fma_f32 v[110:111], v[104:105], v[94:95], v[108:109] op_sel:[0,0,1] op_sel_hi:[1,1,0] neg_lo:[0,0,1] neg_hi:[0,0,1]
	v_pk_fma_f32 v[104:105], v[104:105], v[94:95], v[108:109] op_sel:[0,0,1] op_sel_hi:[1,0,0]
	v_mov_b32_e32 v111, v105
	v_pk_mul_f32 v[104:105], v[106:107], v[96:97] op_sel:[0,1]
	s_delay_alu instid0(VALU_DEP_1) | instskip(SKIP_1) | instid1(VALU_DEP_1)
	v_pk_fma_f32 v[108:109], v[106:107], v[94:95], v[104:105] op_sel:[0,0,1] op_sel_hi:[1,1,0] neg_lo:[0,0,1] neg_hi:[0,0,1]
	v_pk_fma_f32 v[104:105], v[106:107], v[94:95], v[104:105] op_sel:[0,0,1] op_sel_hi:[1,0,0]
	v_mov_b32_e32 v109, v105
	ds_load_2addr_b64 v[104:107], v98 offset0:37 offset1:38
	v_pk_add_f32 v[6:7], v[6:7], v[110:111] neg_lo:[0,1] neg_hi:[0,1]
	v_pk_add_f32 v[34:35], v[34:35], v[108:109] neg_lo:[0,1] neg_hi:[0,1]
	s_wait_dscnt 0x0
	v_dual_mul_f32 v108, v105, v97 :: v_dual_mul_f32 v110, v105, v94
	s_delay_alu instid0(VALU_DEP_1) | instskip(NEXT) | instid1(VALU_DEP_2)
	v_pk_fma_f32 v[108:109], v[104:105], v[64:65], v[108:109] op_sel_hi:[1,1,0] neg_lo:[0,0,1] neg_hi:[0,0,1]
	v_pk_fma_f32 v[104:105], v[104:105], v[64:65], v[110:111] op_sel:[1,0,0] op_sel_hi:[0,1,0]
	s_delay_alu instid0(VALU_DEP_1) | instskip(SKIP_1) | instid1(VALU_DEP_2)
	v_mov_b32_e32 v109, v105
	v_pk_mul_f32 v[104:105], v[106:107], v[96:97] op_sel:[0,1]
	v_pk_add_f32 v[30:31], v[30:31], v[108:109] neg_lo:[0,1] neg_hi:[0,1]
	s_delay_alu instid0(VALU_DEP_2) | instskip(SKIP_1) | instid1(VALU_DEP_1)
	v_pk_fma_f32 v[108:109], v[106:107], v[94:95], v[104:105] op_sel:[0,0,1] op_sel_hi:[1,1,0] neg_lo:[0,0,1] neg_hi:[0,0,1]
	v_pk_fma_f32 v[104:105], v[106:107], v[94:95], v[104:105] op_sel:[0,0,1] op_sel_hi:[1,0,0]
	v_mov_b32_e32 v109, v105
	ds_load_2addr_b64 v[104:107], v98 offset0:39 offset1:40
	v_pk_add_f32 v[32:33], v[32:33], v[108:109] neg_lo:[0,1] neg_hi:[0,1]
	s_wait_dscnt 0x0
	v_pk_mul_f32 v[108:109], v[104:105], v[96:97] op_sel:[0,1]
	s_delay_alu instid0(VALU_DEP_1) | instskip(SKIP_1) | instid1(VALU_DEP_1)
	v_pk_fma_f32 v[110:111], v[104:105], v[94:95], v[108:109] op_sel:[0,0,1] op_sel_hi:[1,1,0] neg_lo:[0,0,1] neg_hi:[0,0,1]
	v_pk_fma_f32 v[104:105], v[104:105], v[94:95], v[108:109] op_sel:[0,0,1] op_sel_hi:[1,0,0]
	v_mov_b32_e32 v111, v105
	v_pk_mul_f32 v[104:105], v[106:107], v[96:97] op_sel:[0,1]
	s_delay_alu instid0(VALU_DEP_2) | instskip(NEXT) | instid1(VALU_DEP_2)
	v_pk_add_f32 v[8:9], v[8:9], v[110:111] neg_lo:[0,1] neg_hi:[0,1]
	v_pk_fma_f32 v[108:109], v[106:107], v[94:95], v[104:105] op_sel:[0,0,1] op_sel_hi:[1,1,0] neg_lo:[0,0,1] neg_hi:[0,0,1]
	v_pk_fma_f32 v[104:105], v[106:107], v[94:95], v[104:105] op_sel:[0,0,1] op_sel_hi:[1,0,0]
	s_delay_alu instid0(VALU_DEP_1) | instskip(SKIP_4) | instid1(VALU_DEP_1)
	v_mov_b32_e32 v109, v105
	ds_load_2addr_b64 v[104:107], v98 offset0:41 offset1:42
	v_pk_add_f32 v[28:29], v[28:29], v[108:109] neg_lo:[0,1] neg_hi:[0,1]
	s_wait_dscnt 0x0
	v_pk_mul_f32 v[108:109], v[104:105], v[96:97] op_sel:[0,1]
	v_pk_fma_f32 v[110:111], v[104:105], v[94:95], v[108:109] op_sel:[0,0,1] op_sel_hi:[1,1,0] neg_lo:[0,0,1] neg_hi:[0,0,1]
	v_pk_fma_f32 v[104:105], v[104:105], v[94:95], v[108:109] op_sel:[0,0,1] op_sel_hi:[1,0,0]
	v_dual_mul_f32 v108, v107, v97 :: v_dual_mov_b32 v104, v107
	s_delay_alu instid0(VALU_DEP_2) | instskip(NEXT) | instid1(VALU_DEP_2)
	v_dual_mov_b32 v111, v105 :: v_dual_mov_b32 v105, v106
	v_pk_fma_f32 v[108:109], v[106:107], v[64:65], v[108:109] op_sel_hi:[1,1,0] neg_lo:[0,0,1] neg_hi:[0,0,1]
	v_mul_f32_e32 v106, v107, v94
	s_delay_alu instid0(VALU_DEP_3) | instskip(NEXT) | instid1(VALU_DEP_2)
	v_pk_add_f32 v[20:21], v[20:21], v[110:111] neg_lo:[0,1] neg_hi:[0,1]
	v_pk_fma_f32 v[104:105], v[104:105], v[64:65], v[106:107] op_sel_hi:[1,1,0]
	s_delay_alu instid0(VALU_DEP_1) | instskip(SKIP_4) | instid1(VALU_DEP_1)
	v_mov_b32_e32 v109, v105
	ds_load_b64 v[104:105], v98 offset:344
	v_pk_add_f32 v[16:17], v[16:17], v[108:109] neg_lo:[0,1] neg_hi:[0,1]
	s_wait_dscnt 0x0
	v_pk_mul_f32 v[96:97], v[104:105], v[96:97] op_sel:[0,1]
	v_pk_fma_f32 v[106:107], v[104:105], v[94:95], v[96:97] op_sel:[0,0,1] op_sel_hi:[1,1,0] neg_lo:[0,0,1] neg_hi:[0,0,1]
	v_pk_fma_f32 v[94:95], v[104:105], v[94:95], v[96:97] op_sel:[0,0,1] op_sel_hi:[1,0,0]
	s_delay_alu instid0(VALU_DEP_1) | instskip(NEXT) | instid1(VALU_DEP_1)
	v_mov_b32_e32 v107, v95
	v_pk_add_f32 v[92:93], v[92:93], v[106:107] neg_lo:[0,1] neg_hi:[0,1]
.LBB86_188:
	s_or_b32 exec_lo, exec_lo, s0
	v_lshl_add_u32 v94, v102, 3, v98
	s_barrier_signal -1
	s_barrier_wait -1
	ds_store_b64 v94, v[60:61]
	s_wait_dscnt 0x0
	s_barrier_signal -1
	s_barrier_wait -1
	ds_load_b64 v[96:97], v98 offset:72
	v_mov_b32_e32 v94, 9
	s_cmp_lt_i32 s18, 11
	s_cbranch_scc1 .LBB86_191
; %bb.189:
	v_add3_u32 v95, v99, 0, 0x50
	v_mov_b32_e32 v94, 9
	s_mov_b32 s0, 10
.LBB86_190:                             ; =>This Inner Loop Header: Depth=1
	ds_load_b64 v[104:105], v95
	s_wait_dscnt 0x1
	v_cmp_gt_f32_e32 vcc_lo, 0, v96
	v_cndmask_b32_e64 v106, v96, -v96, vcc_lo
	v_cmp_gt_f32_e32 vcc_lo, 0, v97
	v_cndmask_b32_e64 v108, v97, -v97, vcc_lo
	s_wait_dscnt 0x0
	v_cmp_gt_f32_e32 vcc_lo, 0, v104
	v_cndmask_b32_e64 v107, v104, -v104, vcc_lo
	v_cmp_gt_f32_e32 vcc_lo, 0, v105
	v_cndmask_b32_e64 v109, v105, -v105, vcc_lo
	s_delay_alu instid0(VALU_DEP_1) | instskip(NEXT) | instid1(VALU_DEP_1)
	v_pk_add_f32 v[106:107], v[106:107], v[108:109]
	v_cmp_lt_f32_e32 vcc_lo, v106, v107
	v_dual_add_nc_u32 v95, 8, v95 :: v_dual_cndmask_b32 v97, v97, v105, vcc_lo
	v_cndmask_b32_e32 v96, v96, v104, vcc_lo
	v_cndmask_b32_e64 v94, v94, s0, vcc_lo
	s_add_co_i32 s0, s0, 1
	s_delay_alu instid0(SALU_CYCLE_1)
	s_cmp_lg_u32 s18, s0
	s_cbranch_scc1 .LBB86_190
.LBB86_191:
	s_wait_dscnt 0x0
	v_cmp_eq_f32_e32 vcc_lo, 0, v96
	v_cmp_eq_f32_e64 s0, 0, v97
	s_and_b32 s0, vcc_lo, s0
	s_delay_alu instid0(SALU_CYCLE_1) | instskip(NEXT) | instid1(SALU_CYCLE_1)
	s_and_saveexec_b32 s1, s0
	s_xor_b32 s0, exec_lo, s1
; %bb.192:
	v_cmp_ne_u32_e32 vcc_lo, 0, v100
	v_cndmask_b32_e32 v100, 10, v100, vcc_lo
; %bb.193:
	s_and_not1_saveexec_b32 s0, s0
	s_cbranch_execz .LBB86_199
; %bb.194:
	v_cmp_ngt_f32_e64 s1, |v96|, |v97|
	s_and_saveexec_b32 s12, s1
	s_delay_alu instid0(SALU_CYCLE_1)
	s_xor_b32 s1, exec_lo, s12
	s_cbranch_execz .LBB86_196
; %bb.195:
	v_div_scale_f32 v95, null, v97, v97, v96
	v_div_scale_f32 v105, vcc_lo, v96, v97, v96
	s_delay_alu instid0(VALU_DEP_2) | instskip(SKIP_1) | instid1(TRANS32_DEP_1)
	v_rcp_f32_e32 v103, v95
	v_nop
	v_fma_f32 v104, -v95, v103, 1.0
	s_delay_alu instid0(VALU_DEP_1) | instskip(NEXT) | instid1(VALU_DEP_1)
	v_fmac_f32_e32 v103, v104, v103
	v_mul_f32_e32 v104, v105, v103
	s_delay_alu instid0(VALU_DEP_1) | instskip(NEXT) | instid1(VALU_DEP_1)
	v_fma_f32 v106, -v95, v104, v105
	v_fmac_f32_e32 v104, v106, v103
	s_delay_alu instid0(VALU_DEP_1) | instskip(NEXT) | instid1(VALU_DEP_1)
	v_fma_f32 v95, -v95, v104, v105
	v_div_fmas_f32 v95, v95, v103, v104
	s_delay_alu instid0(VALU_DEP_1) | instskip(NEXT) | instid1(VALU_DEP_1)
	v_div_fixup_f32 v95, v95, v97, v96
	v_fmac_f32_e32 v97, v96, v95
	s_delay_alu instid0(VALU_DEP_1) | instskip(SKIP_1) | instid1(VALU_DEP_2)
	v_div_scale_f32 v96, null, v97, v97, 1.0
	v_div_scale_f32 v105, vcc_lo, 1.0, v97, 1.0
	v_rcp_f32_e32 v103, v96
	v_nop
	s_delay_alu instid0(TRANS32_DEP_1) | instskip(NEXT) | instid1(VALU_DEP_1)
	v_fma_f32 v104, -v96, v103, 1.0
	v_fmac_f32_e32 v103, v104, v103
	s_delay_alu instid0(VALU_DEP_1) | instskip(NEXT) | instid1(VALU_DEP_1)
	v_mul_f32_e32 v104, v105, v103
	v_fma_f32 v106, -v96, v104, v105
	s_delay_alu instid0(VALU_DEP_1) | instskip(NEXT) | instid1(VALU_DEP_1)
	v_fmac_f32_e32 v104, v106, v103
	v_fma_f32 v96, -v96, v104, v105
	s_delay_alu instid0(VALU_DEP_1) | instskip(NEXT) | instid1(VALU_DEP_1)
	v_div_fmas_f32 v96, v96, v103, v104
	v_div_fixup_f32 v97, v96, v97, 1.0
	s_delay_alu instid0(VALU_DEP_1)
	v_mul_f32_e32 v96, v95, v97
	v_xor_b32_e32 v97, 0x80000000, v97
.LBB86_196:
	s_and_not1_saveexec_b32 s1, s1
	s_cbranch_execz .LBB86_198
; %bb.197:
	s_delay_alu instid0(VALU_DEP_1) | instskip(SKIP_1) | instid1(VALU_DEP_2)
	v_div_scale_f32 v95, null, v96, v96, v97
	v_div_scale_f32 v105, vcc_lo, v97, v96, v97
	v_rcp_f32_e32 v103, v95
	v_nop
	s_delay_alu instid0(TRANS32_DEP_1) | instskip(NEXT) | instid1(VALU_DEP_1)
	v_fma_f32 v104, -v95, v103, 1.0
	v_fmac_f32_e32 v103, v104, v103
	s_delay_alu instid0(VALU_DEP_1) | instskip(NEXT) | instid1(VALU_DEP_1)
	v_mul_f32_e32 v104, v105, v103
	v_fma_f32 v106, -v95, v104, v105
	s_delay_alu instid0(VALU_DEP_1) | instskip(NEXT) | instid1(VALU_DEP_1)
	v_fmac_f32_e32 v104, v106, v103
	v_fma_f32 v95, -v95, v104, v105
	s_delay_alu instid0(VALU_DEP_1) | instskip(NEXT) | instid1(VALU_DEP_1)
	v_div_fmas_f32 v95, v95, v103, v104
	v_div_fixup_f32 v95, v95, v96, v97
	s_delay_alu instid0(VALU_DEP_1) | instskip(NEXT) | instid1(VALU_DEP_1)
	v_fmac_f32_e32 v96, v97, v95
	v_div_scale_f32 v97, null, v96, v96, 1.0
	s_delay_alu instid0(VALU_DEP_1) | instskip(SKIP_1) | instid1(TRANS32_DEP_1)
	v_rcp_f32_e32 v103, v97
	v_nop
	v_fma_f32 v104, -v97, v103, 1.0
	s_delay_alu instid0(VALU_DEP_1) | instskip(SKIP_1) | instid1(VALU_DEP_1)
	v_fmac_f32_e32 v103, v104, v103
	v_div_scale_f32 v104, vcc_lo, 1.0, v96, 1.0
	v_mul_f32_e32 v105, v104, v103
	s_delay_alu instid0(VALU_DEP_1) | instskip(NEXT) | instid1(VALU_DEP_1)
	v_fma_f32 v106, -v97, v105, v104
	v_fmac_f32_e32 v105, v106, v103
	s_delay_alu instid0(VALU_DEP_1) | instskip(NEXT) | instid1(VALU_DEP_1)
	v_fma_f32 v97, -v97, v105, v104
	v_div_fmas_f32 v97, v97, v103, v105
	s_delay_alu instid0(VALU_DEP_1) | instskip(NEXT) | instid1(VALU_DEP_1)
	v_div_fixup_f32 v96, v97, v96, 1.0
	v_mul_f32_e64 v97, v95, -v96
.LBB86_198:
	s_or_b32 exec_lo, exec_lo, s1
.LBB86_199:
	s_delay_alu instid0(SALU_CYCLE_1) | instskip(NEXT) | instid1(SALU_CYCLE_1)
	s_or_b32 exec_lo, exec_lo, s0
	s_mov_b32 s0, exec_lo
	v_cmpx_ne_u32_e64 v102, v94
	s_xor_b32 s0, exec_lo, s0
	s_cbranch_execz .LBB86_205
; %bb.200:
	s_mov_b32 s1, exec_lo
	v_cmpx_eq_u32_e32 9, v102
	s_cbranch_execz .LBB86_204
; %bb.201:
	v_cmp_ne_u32_e32 vcc_lo, 9, v94
	s_xor_b32 s12, s16, -1
	s_delay_alu instid0(SALU_CYCLE_1) | instskip(NEXT) | instid1(SALU_CYCLE_1)
	s_and_b32 s13, s12, vcc_lo
	s_and_saveexec_b32 s12, s13
	s_cbranch_execz .LBB86_203
; %bb.202:
	v_ashrrev_i32_e32 v95, 31, v94
	s_delay_alu instid0(VALU_DEP_1)
	v_lshl_add_u64 v[102:103], v[94:95], 2, v[4:5]
	s_clause 0x1
	global_load_b32 v95, v[102:103], off
	global_load_b32 v101, v[4:5], off offset:36
	s_wait_loadcnt 0x1
	global_store_b32 v[4:5], v95, off offset:36
	s_wait_loadcnt 0x0
	global_store_b32 v[102:103], v101, off
.LBB86_203:
	s_wait_xcnt 0x0
	s_or_b32 exec_lo, exec_lo, s12
	v_dual_mov_b32 v102, v94 :: v_dual_mov_b32 v101, v94
.LBB86_204:
	s_or_b32 exec_lo, exec_lo, s1
.LBB86_205:
	s_and_not1_saveexec_b32 s0, s0
	s_cbranch_execz .LBB86_207
; %bb.206:
	v_dual_mov_b32 v94, v62 :: v_dual_mov_b32 v95, v63
	v_dual_mov_b32 v102, v18 :: v_dual_mov_b32 v103, v19
	;; [unrolled: 1-line block ×12, first 2 shown]
	ds_store_2addr_b64 v98, v[94:95], v[102:103] offset0:10 offset1:11
	ds_store_2addr_b64 v98, v[104:105], v[106:107] offset0:12 offset1:13
	;; [unrolled: 1-line block ×6, first 2 shown]
	v_dual_mov_b32 v94, v68 :: v_dual_mov_b32 v95, v69
	v_dual_mov_b32 v102, v22 :: v_dual_mov_b32 v103, v23
	;; [unrolled: 1-line block ×12, first 2 shown]
	ds_store_2addr_b64 v98, v[94:95], v[102:103] offset0:22 offset1:23
	ds_store_2addr_b64 v98, v[104:105], v[106:107] offset0:24 offset1:25
	;; [unrolled: 1-line block ×6, first 2 shown]
	v_dual_mov_b32 v94, v38 :: v_dual_mov_b32 v95, v39
	v_dual_mov_b32 v104, v6 :: v_dual_mov_b32 v105, v7
	v_dual_mov_b32 v102, 9 :: v_dual_mov_b32 v106, v34
	v_dual_mov_b32 v107, v35 :: v_dual_mov_b32 v108, v30
	v_dual_mov_b32 v109, v31 :: v_dual_mov_b32 v110, v32
	v_dual_mov_b32 v111, v33 :: v_dual_mov_b32 v112, v8
	v_dual_mov_b32 v113, v9 :: v_dual_mov_b32 v114, v28
	v_dual_mov_b32 v115, v29 :: v_dual_mov_b32 v116, v20
	v_dual_mov_b32 v117, v21 :: v_dual_mov_b32 v118, v16
	v_mov_b32_e32 v119, v17
	ds_store_2addr_b64 v98, v[94:95], v[104:105] offset0:34 offset1:35
	ds_store_2addr_b64 v98, v[106:107], v[108:109] offset0:36 offset1:37
	;; [unrolled: 1-line block ×5, first 2 shown]
.LBB86_207:
	s_or_b32 exec_lo, exec_lo, s0
	s_delay_alu instid0(SALU_CYCLE_1)
	s_mov_b32 s0, exec_lo
	s_wait_storecnt_dscnt 0x0
	s_barrier_signal -1
	s_barrier_wait -1
	v_cmpx_lt_i32_e32 9, v102
	s_cbranch_execz .LBB86_209
; %bb.208:
	v_pk_mul_f32 v[104:105], v[96:97], v[60:61] op_sel:[1,1] op_sel_hi:[0,1]
	s_delay_alu instid0(VALU_DEP_1)
	v_pk_fma_f32 v[94:95], v[96:97], v[60:61], v[104:105] op_sel_hi:[1,0,1] neg_lo:[0,0,1] neg_hi:[0,0,1]
	v_pk_fma_f32 v[96:97], v[96:97], v[60:61], v[104:105] op_sel_hi:[1,0,1]
	ds_load_2addr_b64 v[104:107], v98 offset0:10 offset1:11
	v_dual_mov_b32 v60, v94 :: v_dual_mov_b32 v61, v97
	s_wait_dscnt 0x0
	v_pk_mul_f32 v[108:109], v[104:105], v[96:97] op_sel:[0,1]
	s_delay_alu instid0(VALU_DEP_1) | instskip(SKIP_1) | instid1(VALU_DEP_1)
	v_pk_fma_f32 v[110:111], v[104:105], v[94:95], v[108:109] op_sel:[0,0,1] op_sel_hi:[1,1,0] neg_lo:[0,0,1] neg_hi:[0,0,1]
	v_pk_fma_f32 v[104:105], v[104:105], v[94:95], v[108:109] op_sel:[0,0,1] op_sel_hi:[1,0,0]
	v_mov_b32_e32 v111, v105
	v_pk_mul_f32 v[104:105], v[106:107], v[96:97] op_sel:[0,1]
	s_delay_alu instid0(VALU_DEP_1) | instskip(SKIP_1) | instid1(VALU_DEP_1)
	v_pk_fma_f32 v[108:109], v[106:107], v[94:95], v[104:105] op_sel:[0,0,1] op_sel_hi:[1,1,0] neg_lo:[0,0,1] neg_hi:[0,0,1]
	v_pk_fma_f32 v[104:105], v[106:107], v[94:95], v[104:105] op_sel:[0,0,1] op_sel_hi:[1,0,0]
	v_mov_b32_e32 v109, v105
	ds_load_2addr_b64 v[104:107], v98 offset0:12 offset1:13
	v_pk_add_f32 v[62:63], v[62:63], v[110:111] neg_lo:[0,1] neg_hi:[0,1]
	v_pk_add_f32 v[18:19], v[18:19], v[108:109] neg_lo:[0,1] neg_hi:[0,1]
	s_wait_dscnt 0x0
	v_pk_mul_f32 v[108:109], v[104:105], v[96:97] op_sel:[0,1]
	s_delay_alu instid0(VALU_DEP_1) | instskip(SKIP_2) | instid1(VALU_DEP_2)
	v_pk_fma_f32 v[110:111], v[104:105], v[94:95], v[108:109] op_sel:[0,0,1] op_sel_hi:[1,1,0] neg_lo:[0,0,1] neg_hi:[0,0,1]
	v_pk_fma_f32 v[104:105], v[104:105], v[94:95], v[108:109] op_sel:[0,0,1] op_sel_hi:[1,0,0]
	v_dual_mul_f32 v108, v107, v97 :: v_dual_mov_b32 v104, v107
	v_dual_mov_b32 v111, v105 :: v_dual_mov_b32 v105, v106
	s_delay_alu instid0(VALU_DEP_2) | instskip(SKIP_1) | instid1(VALU_DEP_3)
	v_pk_fma_f32 v[108:109], v[106:107], v[60:61], v[108:109] op_sel_hi:[1,1,0] neg_lo:[0,0,1] neg_hi:[0,0,1]
	v_mul_f32_e32 v106, v107, v94
	v_pk_add_f32 v[82:83], v[82:83], v[110:111] neg_lo:[0,1] neg_hi:[0,1]
	s_delay_alu instid0(VALU_DEP_2) | instskip(NEXT) | instid1(VALU_DEP_1)
	v_pk_fma_f32 v[104:105], v[104:105], v[60:61], v[106:107] op_sel_hi:[1,1,0]
	v_mov_b32_e32 v109, v105
	ds_load_2addr_b64 v[104:107], v98 offset0:14 offset1:15
	v_pk_add_f32 v[78:79], v[78:79], v[108:109] neg_lo:[0,1] neg_hi:[0,1]
	s_wait_dscnt 0x0
	v_pk_mul_f32 v[108:109], v[104:105], v[96:97] op_sel:[0,1]
	s_delay_alu instid0(VALU_DEP_1) | instskip(SKIP_1) | instid1(VALU_DEP_1)
	v_pk_fma_f32 v[110:111], v[104:105], v[94:95], v[108:109] op_sel:[0,0,1] op_sel_hi:[1,1,0] neg_lo:[0,0,1] neg_hi:[0,0,1]
	v_pk_fma_f32 v[104:105], v[104:105], v[94:95], v[108:109] op_sel:[0,0,1] op_sel_hi:[1,0,0]
	v_mov_b32_e32 v111, v105
	v_pk_mul_f32 v[104:105], v[106:107], v[96:97] op_sel:[0,1]
	s_delay_alu instid0(VALU_DEP_1) | instskip(SKIP_1) | instid1(VALU_DEP_1)
	v_pk_fma_f32 v[108:109], v[106:107], v[94:95], v[104:105] op_sel:[0,0,1] op_sel_hi:[1,1,0] neg_lo:[0,0,1] neg_hi:[0,0,1]
	v_pk_fma_f32 v[104:105], v[106:107], v[94:95], v[104:105] op_sel:[0,0,1] op_sel_hi:[1,0,0]
	v_mov_b32_e32 v109, v105
	ds_load_2addr_b64 v[104:107], v98 offset0:16 offset1:17
	v_pk_add_f32 v[80:81], v[80:81], v[110:111] neg_lo:[0,1] neg_hi:[0,1]
	v_pk_add_f32 v[26:27], v[26:27], v[108:109] neg_lo:[0,1] neg_hi:[0,1]
	s_wait_dscnt 0x0
	v_pk_mul_f32 v[108:109], v[104:105], v[96:97] op_sel:[0,1]
	s_delay_alu instid0(VALU_DEP_1) | instskip(SKIP_1) | instid1(VALU_DEP_1)
	v_pk_fma_f32 v[110:111], v[104:105], v[94:95], v[108:109] op_sel:[0,0,1] op_sel_hi:[1,1,0] neg_lo:[0,0,1] neg_hi:[0,0,1]
	v_pk_fma_f32 v[104:105], v[104:105], v[94:95], v[108:109] op_sel:[0,0,1] op_sel_hi:[1,0,0]
	v_mov_b32_e32 v111, v105
	v_pk_mul_f32 v[104:105], v[106:107], v[96:97] op_sel:[0,1]
	s_delay_alu instid0(VALU_DEP_1) | instskip(SKIP_1) | instid1(VALU_DEP_1)
	v_pk_fma_f32 v[108:109], v[106:107], v[94:95], v[104:105] op_sel:[0,0,1] op_sel_hi:[1,1,0] neg_lo:[0,0,1] neg_hi:[0,0,1]
	v_pk_fma_f32 v[104:105], v[106:107], v[94:95], v[104:105] op_sel:[0,0,1] op_sel_hi:[1,0,0]
	v_mov_b32_e32 v109, v105
	ds_load_2addr_b64 v[104:107], v98 offset0:18 offset1:19
	v_pk_add_f32 v[76:77], v[76:77], v[110:111] neg_lo:[0,1] neg_hi:[0,1]
	v_pk_add_f32 v[72:73], v[72:73], v[108:109] neg_lo:[0,1] neg_hi:[0,1]
	s_wait_dscnt 0x0
	v_dual_mul_f32 v108, v105, v97 :: v_dual_mul_f32 v110, v105, v94
	s_delay_alu instid0(VALU_DEP_1) | instskip(NEXT) | instid1(VALU_DEP_2)
	v_pk_fma_f32 v[108:109], v[104:105], v[60:61], v[108:109] op_sel_hi:[1,1,0] neg_lo:[0,0,1] neg_hi:[0,0,1]
	v_pk_fma_f32 v[104:105], v[104:105], v[60:61], v[110:111] op_sel:[1,0,0] op_sel_hi:[0,1,0]
	s_delay_alu instid0(VALU_DEP_1) | instskip(SKIP_1) | instid1(VALU_DEP_2)
	v_mov_b32_e32 v109, v105
	v_pk_mul_f32 v[104:105], v[106:107], v[96:97] op_sel:[0,1]
	v_pk_add_f32 v[74:75], v[74:75], v[108:109] neg_lo:[0,1] neg_hi:[0,1]
	s_delay_alu instid0(VALU_DEP_2) | instskip(SKIP_1) | instid1(VALU_DEP_1)
	v_pk_fma_f32 v[108:109], v[106:107], v[94:95], v[104:105] op_sel:[0,0,1] op_sel_hi:[1,1,0] neg_lo:[0,0,1] neg_hi:[0,0,1]
	v_pk_fma_f32 v[104:105], v[106:107], v[94:95], v[104:105] op_sel:[0,0,1] op_sel_hi:[1,0,0]
	v_mov_b32_e32 v109, v105
	ds_load_2addr_b64 v[104:107], v98 offset0:20 offset1:21
	v_pk_add_f32 v[24:25], v[24:25], v[108:109] neg_lo:[0,1] neg_hi:[0,1]
	s_wait_dscnt 0x0
	v_pk_mul_f32 v[108:109], v[104:105], v[96:97] op_sel:[0,1]
	s_delay_alu instid0(VALU_DEP_1) | instskip(SKIP_1) | instid1(VALU_DEP_1)
	v_pk_fma_f32 v[110:111], v[104:105], v[94:95], v[108:109] op_sel:[0,0,1] op_sel_hi:[1,1,0] neg_lo:[0,0,1] neg_hi:[0,0,1]
	v_pk_fma_f32 v[104:105], v[104:105], v[94:95], v[108:109] op_sel:[0,0,1] op_sel_hi:[1,0,0]
	v_mov_b32_e32 v111, v105
	v_pk_mul_f32 v[104:105], v[106:107], v[96:97] op_sel:[0,1]
	s_delay_alu instid0(VALU_DEP_2) | instskip(NEXT) | instid1(VALU_DEP_2)
	v_pk_add_f32 v[70:71], v[70:71], v[110:111] neg_lo:[0,1] neg_hi:[0,1]
	v_pk_fma_f32 v[108:109], v[106:107], v[94:95], v[104:105] op_sel:[0,0,1] op_sel_hi:[1,1,0] neg_lo:[0,0,1] neg_hi:[0,0,1]
	v_pk_fma_f32 v[104:105], v[106:107], v[94:95], v[104:105] op_sel:[0,0,1] op_sel_hi:[1,0,0]
	s_delay_alu instid0(VALU_DEP_1) | instskip(SKIP_4) | instid1(VALU_DEP_1)
	v_mov_b32_e32 v109, v105
	ds_load_2addr_b64 v[104:107], v98 offset0:22 offset1:23
	v_pk_add_f32 v[66:67], v[66:67], v[108:109] neg_lo:[0,1] neg_hi:[0,1]
	s_wait_dscnt 0x0
	v_pk_mul_f32 v[108:109], v[104:105], v[96:97] op_sel:[0,1]
	v_pk_fma_f32 v[110:111], v[104:105], v[94:95], v[108:109] op_sel:[0,0,1] op_sel_hi:[1,1,0] neg_lo:[0,0,1] neg_hi:[0,0,1]
	v_pk_fma_f32 v[104:105], v[104:105], v[94:95], v[108:109] op_sel:[0,0,1] op_sel_hi:[1,0,0]
	v_dual_mul_f32 v108, v107, v97 :: v_dual_mov_b32 v104, v107
	s_delay_alu instid0(VALU_DEP_2) | instskip(NEXT) | instid1(VALU_DEP_2)
	v_dual_mov_b32 v111, v105 :: v_dual_mov_b32 v105, v106
	v_pk_fma_f32 v[108:109], v[106:107], v[60:61], v[108:109] op_sel_hi:[1,1,0] neg_lo:[0,0,1] neg_hi:[0,0,1]
	v_mul_f32_e32 v106, v107, v94
	s_delay_alu instid0(VALU_DEP_3) | instskip(NEXT) | instid1(VALU_DEP_2)
	v_pk_add_f32 v[68:69], v[68:69], v[110:111] neg_lo:[0,1] neg_hi:[0,1]
	v_pk_fma_f32 v[104:105], v[104:105], v[60:61], v[106:107] op_sel_hi:[1,1,0]
	s_delay_alu instid0(VALU_DEP_1) | instskip(SKIP_4) | instid1(VALU_DEP_1)
	v_mov_b32_e32 v109, v105
	ds_load_2addr_b64 v[104:107], v98 offset0:24 offset1:25
	v_pk_add_f32 v[22:23], v[22:23], v[108:109] neg_lo:[0,1] neg_hi:[0,1]
	s_wait_dscnt 0x0
	v_pk_mul_f32 v[108:109], v[104:105], v[96:97] op_sel:[0,1]
	v_pk_fma_f32 v[110:111], v[104:105], v[94:95], v[108:109] op_sel:[0,0,1] op_sel_hi:[1,1,0] neg_lo:[0,0,1] neg_hi:[0,0,1]
	v_pk_fma_f32 v[104:105], v[104:105], v[94:95], v[108:109] op_sel:[0,0,1] op_sel_hi:[1,0,0]
	s_delay_alu instid0(VALU_DEP_1) | instskip(SKIP_1) | instid1(VALU_DEP_1)
	v_mov_b32_e32 v111, v105
	v_pk_mul_f32 v[104:105], v[106:107], v[96:97] op_sel:[0,1]
	v_pk_fma_f32 v[108:109], v[106:107], v[94:95], v[104:105] op_sel:[0,0,1] op_sel_hi:[1,1,0] neg_lo:[0,0,1] neg_hi:[0,0,1]
	v_pk_fma_f32 v[104:105], v[106:107], v[94:95], v[104:105] op_sel:[0,0,1] op_sel_hi:[1,0,0]
	s_delay_alu instid0(VALU_DEP_1)
	v_mov_b32_e32 v109, v105
	ds_load_2addr_b64 v[104:107], v98 offset0:26 offset1:27
	v_pk_add_f32 v[54:55], v[54:55], v[110:111] neg_lo:[0,1] neg_hi:[0,1]
	v_pk_add_f32 v[48:49], v[48:49], v[108:109] neg_lo:[0,1] neg_hi:[0,1]
	s_wait_dscnt 0x0
	v_pk_mul_f32 v[108:109], v[104:105], v[96:97] op_sel:[0,1]
	s_delay_alu instid0(VALU_DEP_1) | instskip(SKIP_1) | instid1(VALU_DEP_1)
	v_pk_fma_f32 v[110:111], v[104:105], v[94:95], v[108:109] op_sel:[0,0,1] op_sel_hi:[1,1,0] neg_lo:[0,0,1] neg_hi:[0,0,1]
	v_pk_fma_f32 v[104:105], v[104:105], v[94:95], v[108:109] op_sel:[0,0,1] op_sel_hi:[1,0,0]
	v_mov_b32_e32 v111, v105
	v_pk_mul_f32 v[104:105], v[106:107], v[96:97] op_sel:[0,1]
	s_delay_alu instid0(VALU_DEP_1) | instskip(SKIP_1) | instid1(VALU_DEP_1)
	v_pk_fma_f32 v[108:109], v[106:107], v[94:95], v[104:105] op_sel:[0,0,1] op_sel_hi:[1,1,0] neg_lo:[0,0,1] neg_hi:[0,0,1]
	v_pk_fma_f32 v[104:105], v[106:107], v[94:95], v[104:105] op_sel:[0,0,1] op_sel_hi:[1,0,0]
	v_mov_b32_e32 v109, v105
	ds_load_2addr_b64 v[104:107], v98 offset0:28 offset1:29
	v_pk_add_f32 v[52:53], v[52:53], v[110:111] neg_lo:[0,1] neg_hi:[0,1]
	v_pk_add_f32 v[12:13], v[12:13], v[108:109] neg_lo:[0,1] neg_hi:[0,1]
	s_wait_dscnt 0x0
	v_dual_mul_f32 v108, v105, v97 :: v_dual_mul_f32 v110, v105, v94
	s_delay_alu instid0(VALU_DEP_1) | instskip(NEXT) | instid1(VALU_DEP_2)
	v_pk_fma_f32 v[108:109], v[104:105], v[60:61], v[108:109] op_sel_hi:[1,1,0] neg_lo:[0,0,1] neg_hi:[0,0,1]
	v_pk_fma_f32 v[104:105], v[104:105], v[60:61], v[110:111] op_sel:[1,0,0] op_sel_hi:[0,1,0]
	s_delay_alu instid0(VALU_DEP_1) | instskip(SKIP_1) | instid1(VALU_DEP_2)
	v_mov_b32_e32 v109, v105
	v_pk_mul_f32 v[104:105], v[106:107], v[96:97] op_sel:[0,1]
	v_pk_add_f32 v[46:47], v[46:47], v[108:109] neg_lo:[0,1] neg_hi:[0,1]
	s_delay_alu instid0(VALU_DEP_2) | instskip(SKIP_1) | instid1(VALU_DEP_1)
	v_pk_fma_f32 v[108:109], v[106:107], v[94:95], v[104:105] op_sel:[0,0,1] op_sel_hi:[1,1,0] neg_lo:[0,0,1] neg_hi:[0,0,1]
	v_pk_fma_f32 v[104:105], v[106:107], v[94:95], v[104:105] op_sel:[0,0,1] op_sel_hi:[1,0,0]
	v_mov_b32_e32 v109, v105
	ds_load_2addr_b64 v[104:107], v98 offset0:30 offset1:31
	v_pk_add_f32 v[42:43], v[42:43], v[108:109] neg_lo:[0,1] neg_hi:[0,1]
	s_wait_dscnt 0x0
	v_pk_mul_f32 v[108:109], v[104:105], v[96:97] op_sel:[0,1]
	s_delay_alu instid0(VALU_DEP_1) | instskip(SKIP_1) | instid1(VALU_DEP_1)
	v_pk_fma_f32 v[110:111], v[104:105], v[94:95], v[108:109] op_sel:[0,0,1] op_sel_hi:[1,1,0] neg_lo:[0,0,1] neg_hi:[0,0,1]
	v_pk_fma_f32 v[104:105], v[104:105], v[94:95], v[108:109] op_sel:[0,0,1] op_sel_hi:[1,0,0]
	v_mov_b32_e32 v111, v105
	v_pk_mul_f32 v[104:105], v[106:107], v[96:97] op_sel:[0,1]
	s_delay_alu instid0(VALU_DEP_2) | instskip(NEXT) | instid1(VALU_DEP_2)
	v_pk_add_f32 v[44:45], v[44:45], v[110:111] neg_lo:[0,1] neg_hi:[0,1]
	v_pk_fma_f32 v[108:109], v[106:107], v[94:95], v[104:105] op_sel:[0,0,1] op_sel_hi:[1,1,0] neg_lo:[0,0,1] neg_hi:[0,0,1]
	v_pk_fma_f32 v[104:105], v[106:107], v[94:95], v[104:105] op_sel:[0,0,1] op_sel_hi:[1,0,0]
	s_delay_alu instid0(VALU_DEP_1) | instskip(SKIP_4) | instid1(VALU_DEP_1)
	v_mov_b32_e32 v109, v105
	ds_load_2addr_b64 v[104:107], v98 offset0:32 offset1:33
	v_pk_add_f32 v[10:11], v[10:11], v[108:109] neg_lo:[0,1] neg_hi:[0,1]
	s_wait_dscnt 0x0
	v_pk_mul_f32 v[108:109], v[104:105], v[96:97] op_sel:[0,1]
	v_pk_fma_f32 v[110:111], v[104:105], v[94:95], v[108:109] op_sel:[0,0,1] op_sel_hi:[1,1,0] neg_lo:[0,0,1] neg_hi:[0,0,1]
	v_pk_fma_f32 v[104:105], v[104:105], v[94:95], v[108:109] op_sel:[0,0,1] op_sel_hi:[1,0,0]
	v_dual_mul_f32 v108, v107, v97 :: v_dual_mov_b32 v104, v107
	s_delay_alu instid0(VALU_DEP_2) | instskip(NEXT) | instid1(VALU_DEP_2)
	v_dual_mov_b32 v111, v105 :: v_dual_mov_b32 v105, v106
	v_pk_fma_f32 v[108:109], v[106:107], v[60:61], v[108:109] op_sel_hi:[1,1,0] neg_lo:[0,0,1] neg_hi:[0,0,1]
	v_mul_f32_e32 v106, v107, v94
	s_delay_alu instid0(VALU_DEP_3) | instskip(NEXT) | instid1(VALU_DEP_2)
	v_pk_add_f32 v[40:41], v[40:41], v[110:111] neg_lo:[0,1] neg_hi:[0,1]
	v_pk_fma_f32 v[104:105], v[104:105], v[60:61], v[106:107] op_sel_hi:[1,1,0]
	s_delay_alu instid0(VALU_DEP_1) | instskip(SKIP_4) | instid1(VALU_DEP_1)
	v_mov_b32_e32 v109, v105
	ds_load_2addr_b64 v[104:107], v98 offset0:34 offset1:35
	v_pk_add_f32 v[36:37], v[36:37], v[108:109] neg_lo:[0,1] neg_hi:[0,1]
	s_wait_dscnt 0x0
	v_pk_mul_f32 v[108:109], v[104:105], v[96:97] op_sel:[0,1]
	v_pk_fma_f32 v[110:111], v[104:105], v[94:95], v[108:109] op_sel:[0,0,1] op_sel_hi:[1,1,0] neg_lo:[0,0,1] neg_hi:[0,0,1]
	v_pk_fma_f32 v[104:105], v[104:105], v[94:95], v[108:109] op_sel:[0,0,1] op_sel_hi:[1,0,0]
	s_delay_alu instid0(VALU_DEP_1) | instskip(SKIP_1) | instid1(VALU_DEP_1)
	v_mov_b32_e32 v111, v105
	v_pk_mul_f32 v[104:105], v[106:107], v[96:97] op_sel:[0,1]
	v_pk_fma_f32 v[108:109], v[106:107], v[94:95], v[104:105] op_sel:[0,0,1] op_sel_hi:[1,1,0] neg_lo:[0,0,1] neg_hi:[0,0,1]
	v_pk_fma_f32 v[104:105], v[106:107], v[94:95], v[104:105] op_sel:[0,0,1] op_sel_hi:[1,0,0]
	s_delay_alu instid0(VALU_DEP_1)
	v_mov_b32_e32 v109, v105
	ds_load_2addr_b64 v[104:107], v98 offset0:36 offset1:37
	v_pk_add_f32 v[38:39], v[38:39], v[110:111] neg_lo:[0,1] neg_hi:[0,1]
	v_pk_add_f32 v[6:7], v[6:7], v[108:109] neg_lo:[0,1] neg_hi:[0,1]
	s_wait_dscnt 0x0
	v_pk_mul_f32 v[108:109], v[104:105], v[96:97] op_sel:[0,1]
	s_delay_alu instid0(VALU_DEP_1) | instskip(SKIP_1) | instid1(VALU_DEP_1)
	v_pk_fma_f32 v[110:111], v[104:105], v[94:95], v[108:109] op_sel:[0,0,1] op_sel_hi:[1,1,0] neg_lo:[0,0,1] neg_hi:[0,0,1]
	v_pk_fma_f32 v[104:105], v[104:105], v[94:95], v[108:109] op_sel:[0,0,1] op_sel_hi:[1,0,0]
	v_mov_b32_e32 v111, v105
	v_pk_mul_f32 v[104:105], v[106:107], v[96:97] op_sel:[0,1]
	s_delay_alu instid0(VALU_DEP_1) | instskip(SKIP_1) | instid1(VALU_DEP_1)
	v_pk_fma_f32 v[108:109], v[106:107], v[94:95], v[104:105] op_sel:[0,0,1] op_sel_hi:[1,1,0] neg_lo:[0,0,1] neg_hi:[0,0,1]
	v_pk_fma_f32 v[104:105], v[106:107], v[94:95], v[104:105] op_sel:[0,0,1] op_sel_hi:[1,0,0]
	v_mov_b32_e32 v109, v105
	ds_load_2addr_b64 v[104:107], v98 offset0:38 offset1:39
	v_pk_add_f32 v[34:35], v[34:35], v[110:111] neg_lo:[0,1] neg_hi:[0,1]
	v_pk_add_f32 v[30:31], v[30:31], v[108:109] neg_lo:[0,1] neg_hi:[0,1]
	s_wait_dscnt 0x0
	v_dual_mul_f32 v108, v105, v97 :: v_dual_mul_f32 v110, v105, v94
	s_delay_alu instid0(VALU_DEP_1) | instskip(NEXT) | instid1(VALU_DEP_2)
	v_pk_fma_f32 v[108:109], v[104:105], v[60:61], v[108:109] op_sel_hi:[1,1,0] neg_lo:[0,0,1] neg_hi:[0,0,1]
	v_pk_fma_f32 v[104:105], v[104:105], v[60:61], v[110:111] op_sel:[1,0,0] op_sel_hi:[0,1,0]
	s_delay_alu instid0(VALU_DEP_1) | instskip(SKIP_1) | instid1(VALU_DEP_2)
	v_mov_b32_e32 v109, v105
	v_pk_mul_f32 v[104:105], v[106:107], v[96:97] op_sel:[0,1]
	v_pk_add_f32 v[32:33], v[32:33], v[108:109] neg_lo:[0,1] neg_hi:[0,1]
	s_delay_alu instid0(VALU_DEP_2) | instskip(SKIP_1) | instid1(VALU_DEP_1)
	v_pk_fma_f32 v[108:109], v[106:107], v[94:95], v[104:105] op_sel:[0,0,1] op_sel_hi:[1,1,0] neg_lo:[0,0,1] neg_hi:[0,0,1]
	v_pk_fma_f32 v[104:105], v[106:107], v[94:95], v[104:105] op_sel:[0,0,1] op_sel_hi:[1,0,0]
	v_mov_b32_e32 v109, v105
	ds_load_2addr_b64 v[104:107], v98 offset0:40 offset1:41
	v_pk_add_f32 v[8:9], v[8:9], v[108:109] neg_lo:[0,1] neg_hi:[0,1]
	s_wait_dscnt 0x0
	v_pk_mul_f32 v[108:109], v[104:105], v[96:97] op_sel:[0,1]
	s_delay_alu instid0(VALU_DEP_1) | instskip(SKIP_1) | instid1(VALU_DEP_1)
	v_pk_fma_f32 v[110:111], v[104:105], v[94:95], v[108:109] op_sel:[0,0,1] op_sel_hi:[1,1,0] neg_lo:[0,0,1] neg_hi:[0,0,1]
	v_pk_fma_f32 v[104:105], v[104:105], v[94:95], v[108:109] op_sel:[0,0,1] op_sel_hi:[1,0,0]
	v_mov_b32_e32 v111, v105
	v_pk_mul_f32 v[104:105], v[106:107], v[96:97] op_sel:[0,1]
	s_delay_alu instid0(VALU_DEP_2) | instskip(NEXT) | instid1(VALU_DEP_2)
	v_pk_add_f32 v[28:29], v[28:29], v[110:111] neg_lo:[0,1] neg_hi:[0,1]
	v_pk_fma_f32 v[108:109], v[106:107], v[94:95], v[104:105] op_sel:[0,0,1] op_sel_hi:[1,1,0] neg_lo:[0,0,1] neg_hi:[0,0,1]
	v_pk_fma_f32 v[104:105], v[106:107], v[94:95], v[104:105] op_sel:[0,0,1] op_sel_hi:[1,0,0]
	s_delay_alu instid0(VALU_DEP_1)
	v_mov_b32_e32 v109, v105
	ds_load_2addr_b64 v[104:107], v98 offset0:42 offset1:43
	v_pk_add_f32 v[20:21], v[20:21], v[108:109] neg_lo:[0,1] neg_hi:[0,1]
	s_wait_dscnt 0x0
	v_pk_mul_f32 v[108:109], v[104:105], v[96:97] op_sel:[0,1]
	v_pk_mul_f32 v[96:97], v[106:107], v[96:97] op_sel:[0,1]
	s_delay_alu instid0(VALU_DEP_2) | instskip(SKIP_1) | instid1(VALU_DEP_1)
	v_pk_fma_f32 v[110:111], v[104:105], v[94:95], v[108:109] op_sel:[0,0,1] op_sel_hi:[1,1,0] neg_lo:[0,0,1] neg_hi:[0,0,1]
	v_pk_fma_f32 v[104:105], v[104:105], v[94:95], v[108:109] op_sel:[0,0,1] op_sel_hi:[1,0,0]
	v_mov_b32_e32 v111, v105
	s_delay_alu instid0(VALU_DEP_4) | instskip(SKIP_1) | instid1(VALU_DEP_3)
	v_pk_fma_f32 v[104:105], v[106:107], v[94:95], v[96:97] op_sel:[0,0,1] op_sel_hi:[1,1,0] neg_lo:[0,0,1] neg_hi:[0,0,1]
	v_pk_fma_f32 v[94:95], v[106:107], v[94:95], v[96:97] op_sel:[0,0,1] op_sel_hi:[1,0,0]
	v_pk_add_f32 v[16:17], v[16:17], v[110:111] neg_lo:[0,1] neg_hi:[0,1]
	s_delay_alu instid0(VALU_DEP_2) | instskip(NEXT) | instid1(VALU_DEP_1)
	v_mov_b32_e32 v105, v95
	v_pk_add_f32 v[92:93], v[92:93], v[104:105] neg_lo:[0,1] neg_hi:[0,1]
.LBB86_209:
	s_or_b32 exec_lo, exec_lo, s0
	v_lshl_add_u32 v94, v102, 3, v98
	s_barrier_signal -1
	s_barrier_wait -1
	ds_store_b64 v94, v[62:63]
	s_wait_dscnt 0x0
	s_barrier_signal -1
	s_barrier_wait -1
	ds_load_b64 v[96:97], v98 offset:80
	v_mov_b32_e32 v94, 10
	s_cmp_lt_i32 s18, 12
	s_cbranch_scc1 .LBB86_212
; %bb.210:
	v_add3_u32 v95, v99, 0, 0x58
	v_mov_b32_e32 v94, 10
	s_mov_b32 s0, 11
.LBB86_211:                             ; =>This Inner Loop Header: Depth=1
	ds_load_b64 v[104:105], v95
	s_wait_dscnt 0x1
	v_cmp_gt_f32_e32 vcc_lo, 0, v96
	v_cndmask_b32_e64 v106, v96, -v96, vcc_lo
	v_cmp_gt_f32_e32 vcc_lo, 0, v97
	v_cndmask_b32_e64 v108, v97, -v97, vcc_lo
	s_wait_dscnt 0x0
	v_cmp_gt_f32_e32 vcc_lo, 0, v104
	v_cndmask_b32_e64 v107, v104, -v104, vcc_lo
	v_cmp_gt_f32_e32 vcc_lo, 0, v105
	v_cndmask_b32_e64 v109, v105, -v105, vcc_lo
	s_delay_alu instid0(VALU_DEP_1) | instskip(NEXT) | instid1(VALU_DEP_1)
	v_pk_add_f32 v[106:107], v[106:107], v[108:109]
	v_cmp_lt_f32_e32 vcc_lo, v106, v107
	v_dual_add_nc_u32 v95, 8, v95 :: v_dual_cndmask_b32 v97, v97, v105, vcc_lo
	v_cndmask_b32_e32 v96, v96, v104, vcc_lo
	v_cndmask_b32_e64 v94, v94, s0, vcc_lo
	s_add_co_i32 s0, s0, 1
	s_delay_alu instid0(SALU_CYCLE_1)
	s_cmp_lg_u32 s18, s0
	s_cbranch_scc1 .LBB86_211
.LBB86_212:
	s_wait_dscnt 0x0
	v_cmp_eq_f32_e32 vcc_lo, 0, v96
	v_cmp_eq_f32_e64 s0, 0, v97
	s_and_b32 s0, vcc_lo, s0
	s_delay_alu instid0(SALU_CYCLE_1) | instskip(NEXT) | instid1(SALU_CYCLE_1)
	s_and_saveexec_b32 s1, s0
	s_xor_b32 s0, exec_lo, s1
; %bb.213:
	v_cmp_ne_u32_e32 vcc_lo, 0, v100
	v_cndmask_b32_e32 v100, 11, v100, vcc_lo
; %bb.214:
	s_and_not1_saveexec_b32 s0, s0
	s_cbranch_execz .LBB86_220
; %bb.215:
	v_cmp_ngt_f32_e64 s1, |v96|, |v97|
	s_and_saveexec_b32 s12, s1
	s_delay_alu instid0(SALU_CYCLE_1)
	s_xor_b32 s1, exec_lo, s12
	s_cbranch_execz .LBB86_217
; %bb.216:
	v_div_scale_f32 v95, null, v97, v97, v96
	v_div_scale_f32 v105, vcc_lo, v96, v97, v96
	s_delay_alu instid0(VALU_DEP_2) | instskip(SKIP_1) | instid1(TRANS32_DEP_1)
	v_rcp_f32_e32 v103, v95
	v_nop
	v_fma_f32 v104, -v95, v103, 1.0
	s_delay_alu instid0(VALU_DEP_1) | instskip(NEXT) | instid1(VALU_DEP_1)
	v_fmac_f32_e32 v103, v104, v103
	v_mul_f32_e32 v104, v105, v103
	s_delay_alu instid0(VALU_DEP_1) | instskip(NEXT) | instid1(VALU_DEP_1)
	v_fma_f32 v106, -v95, v104, v105
	v_fmac_f32_e32 v104, v106, v103
	s_delay_alu instid0(VALU_DEP_1) | instskip(NEXT) | instid1(VALU_DEP_1)
	v_fma_f32 v95, -v95, v104, v105
	v_div_fmas_f32 v95, v95, v103, v104
	s_delay_alu instid0(VALU_DEP_1) | instskip(NEXT) | instid1(VALU_DEP_1)
	v_div_fixup_f32 v95, v95, v97, v96
	v_fmac_f32_e32 v97, v96, v95
	s_delay_alu instid0(VALU_DEP_1) | instskip(SKIP_1) | instid1(VALU_DEP_2)
	v_div_scale_f32 v96, null, v97, v97, 1.0
	v_div_scale_f32 v105, vcc_lo, 1.0, v97, 1.0
	v_rcp_f32_e32 v103, v96
	v_nop
	s_delay_alu instid0(TRANS32_DEP_1) | instskip(NEXT) | instid1(VALU_DEP_1)
	v_fma_f32 v104, -v96, v103, 1.0
	v_fmac_f32_e32 v103, v104, v103
	s_delay_alu instid0(VALU_DEP_1) | instskip(NEXT) | instid1(VALU_DEP_1)
	v_mul_f32_e32 v104, v105, v103
	v_fma_f32 v106, -v96, v104, v105
	s_delay_alu instid0(VALU_DEP_1) | instskip(NEXT) | instid1(VALU_DEP_1)
	v_fmac_f32_e32 v104, v106, v103
	v_fma_f32 v96, -v96, v104, v105
	s_delay_alu instid0(VALU_DEP_1) | instskip(NEXT) | instid1(VALU_DEP_1)
	v_div_fmas_f32 v96, v96, v103, v104
	v_div_fixup_f32 v97, v96, v97, 1.0
	s_delay_alu instid0(VALU_DEP_1)
	v_mul_f32_e32 v96, v95, v97
	v_xor_b32_e32 v97, 0x80000000, v97
.LBB86_217:
	s_and_not1_saveexec_b32 s1, s1
	s_cbranch_execz .LBB86_219
; %bb.218:
	s_delay_alu instid0(VALU_DEP_1) | instskip(SKIP_1) | instid1(VALU_DEP_2)
	v_div_scale_f32 v95, null, v96, v96, v97
	v_div_scale_f32 v105, vcc_lo, v97, v96, v97
	v_rcp_f32_e32 v103, v95
	v_nop
	s_delay_alu instid0(TRANS32_DEP_1) | instskip(NEXT) | instid1(VALU_DEP_1)
	v_fma_f32 v104, -v95, v103, 1.0
	v_fmac_f32_e32 v103, v104, v103
	s_delay_alu instid0(VALU_DEP_1) | instskip(NEXT) | instid1(VALU_DEP_1)
	v_mul_f32_e32 v104, v105, v103
	v_fma_f32 v106, -v95, v104, v105
	s_delay_alu instid0(VALU_DEP_1) | instskip(NEXT) | instid1(VALU_DEP_1)
	v_fmac_f32_e32 v104, v106, v103
	v_fma_f32 v95, -v95, v104, v105
	s_delay_alu instid0(VALU_DEP_1) | instskip(NEXT) | instid1(VALU_DEP_1)
	v_div_fmas_f32 v95, v95, v103, v104
	v_div_fixup_f32 v95, v95, v96, v97
	s_delay_alu instid0(VALU_DEP_1) | instskip(NEXT) | instid1(VALU_DEP_1)
	v_fmac_f32_e32 v96, v97, v95
	v_div_scale_f32 v97, null, v96, v96, 1.0
	s_delay_alu instid0(VALU_DEP_1) | instskip(SKIP_1) | instid1(TRANS32_DEP_1)
	v_rcp_f32_e32 v103, v97
	v_nop
	v_fma_f32 v104, -v97, v103, 1.0
	s_delay_alu instid0(VALU_DEP_1) | instskip(SKIP_1) | instid1(VALU_DEP_1)
	v_fmac_f32_e32 v103, v104, v103
	v_div_scale_f32 v104, vcc_lo, 1.0, v96, 1.0
	v_mul_f32_e32 v105, v104, v103
	s_delay_alu instid0(VALU_DEP_1) | instskip(NEXT) | instid1(VALU_DEP_1)
	v_fma_f32 v106, -v97, v105, v104
	v_fmac_f32_e32 v105, v106, v103
	s_delay_alu instid0(VALU_DEP_1) | instskip(NEXT) | instid1(VALU_DEP_1)
	v_fma_f32 v97, -v97, v105, v104
	v_div_fmas_f32 v97, v97, v103, v105
	s_delay_alu instid0(VALU_DEP_1) | instskip(NEXT) | instid1(VALU_DEP_1)
	v_div_fixup_f32 v96, v97, v96, 1.0
	v_mul_f32_e64 v97, v95, -v96
.LBB86_219:
	s_or_b32 exec_lo, exec_lo, s1
.LBB86_220:
	s_delay_alu instid0(SALU_CYCLE_1) | instskip(NEXT) | instid1(SALU_CYCLE_1)
	s_or_b32 exec_lo, exec_lo, s0
	s_mov_b32 s0, exec_lo
	v_cmpx_ne_u32_e64 v102, v94
	s_xor_b32 s0, exec_lo, s0
	s_cbranch_execz .LBB86_226
; %bb.221:
	s_mov_b32 s1, exec_lo
	v_cmpx_eq_u32_e32 10, v102
	s_cbranch_execz .LBB86_225
; %bb.222:
	v_cmp_ne_u32_e32 vcc_lo, 10, v94
	s_xor_b32 s12, s16, -1
	s_delay_alu instid0(SALU_CYCLE_1) | instskip(NEXT) | instid1(SALU_CYCLE_1)
	s_and_b32 s13, s12, vcc_lo
	s_and_saveexec_b32 s12, s13
	s_cbranch_execz .LBB86_224
; %bb.223:
	v_ashrrev_i32_e32 v95, 31, v94
	s_delay_alu instid0(VALU_DEP_1)
	v_lshl_add_u64 v[102:103], v[94:95], 2, v[4:5]
	s_clause 0x1
	global_load_b32 v95, v[102:103], off
	global_load_b32 v101, v[4:5], off offset:40
	s_wait_loadcnt 0x1
	global_store_b32 v[4:5], v95, off offset:40
	s_wait_loadcnt 0x0
	global_store_b32 v[102:103], v101, off
.LBB86_224:
	s_wait_xcnt 0x0
	s_or_b32 exec_lo, exec_lo, s12
	v_dual_mov_b32 v102, v94 :: v_dual_mov_b32 v101, v94
.LBB86_225:
	s_or_b32 exec_lo, exec_lo, s1
.LBB86_226:
	s_and_not1_saveexec_b32 s0, s0
	s_cbranch_execz .LBB86_228
; %bb.227:
	v_mov_b32_e32 v102, 10
	ds_store_2addr_b64 v98, v[18:19], v[82:83] offset0:11 offset1:12
	ds_store_2addr_b64 v98, v[78:79], v[80:81] offset0:13 offset1:14
	;; [unrolled: 1-line block ×16, first 2 shown]
	ds_store_b64 v98, v[92:93] offset:344
.LBB86_228:
	s_or_b32 exec_lo, exec_lo, s0
	s_delay_alu instid0(SALU_CYCLE_1)
	s_mov_b32 s0, exec_lo
	s_wait_storecnt_dscnt 0x0
	s_barrier_signal -1
	s_barrier_wait -1
	v_cmpx_lt_i32_e32 10, v102
	s_cbranch_execz .LBB86_230
; %bb.229:
	v_pk_mul_f32 v[104:105], v[96:97], v[62:63] op_sel:[1,1] op_sel_hi:[0,1]
	s_delay_alu instid0(VALU_DEP_1)
	v_pk_fma_f32 v[94:95], v[96:97], v[62:63], v[104:105] op_sel_hi:[1,0,1] neg_lo:[0,0,1] neg_hi:[0,0,1]
	v_pk_fma_f32 v[96:97], v[96:97], v[62:63], v[104:105] op_sel_hi:[1,0,1]
	ds_load_2addr_b64 v[104:107], v98 offset0:11 offset1:12
	v_dual_mov_b32 v62, v94 :: v_dual_mov_b32 v63, v97
	s_wait_dscnt 0x0
	v_pk_mul_f32 v[108:109], v[104:105], v[96:97] op_sel:[0,1]
	s_delay_alu instid0(VALU_DEP_1) | instskip(SKIP_1) | instid1(VALU_DEP_1)
	v_pk_fma_f32 v[110:111], v[104:105], v[94:95], v[108:109] op_sel:[0,0,1] op_sel_hi:[1,1,0] neg_lo:[0,0,1] neg_hi:[0,0,1]
	v_pk_fma_f32 v[104:105], v[104:105], v[94:95], v[108:109] op_sel:[0,0,1] op_sel_hi:[1,0,0]
	v_mov_b32_e32 v111, v105
	v_pk_mul_f32 v[104:105], v[106:107], v[96:97] op_sel:[0,1]
	s_delay_alu instid0(VALU_DEP_1) | instskip(SKIP_1) | instid1(VALU_DEP_1)
	v_pk_fma_f32 v[108:109], v[106:107], v[94:95], v[104:105] op_sel:[0,0,1] op_sel_hi:[1,1,0] neg_lo:[0,0,1] neg_hi:[0,0,1]
	v_pk_fma_f32 v[104:105], v[106:107], v[94:95], v[104:105] op_sel:[0,0,1] op_sel_hi:[1,0,0]
	v_mov_b32_e32 v109, v105
	ds_load_2addr_b64 v[104:107], v98 offset0:13 offset1:14
	v_pk_add_f32 v[18:19], v[18:19], v[110:111] neg_lo:[0,1] neg_hi:[0,1]
	v_pk_add_f32 v[82:83], v[82:83], v[108:109] neg_lo:[0,1] neg_hi:[0,1]
	s_wait_dscnt 0x0
	v_pk_mul_f32 v[108:109], v[104:105], v[96:97] op_sel:[0,1]
	s_delay_alu instid0(VALU_DEP_1) | instskip(SKIP_2) | instid1(VALU_DEP_2)
	v_pk_fma_f32 v[110:111], v[104:105], v[94:95], v[108:109] op_sel:[0,0,1] op_sel_hi:[1,1,0] neg_lo:[0,0,1] neg_hi:[0,0,1]
	v_pk_fma_f32 v[104:105], v[104:105], v[94:95], v[108:109] op_sel:[0,0,1] op_sel_hi:[1,0,0]
	v_dual_mul_f32 v108, v107, v97 :: v_dual_mov_b32 v104, v107
	v_dual_mov_b32 v111, v105 :: v_dual_mov_b32 v105, v106
	s_delay_alu instid0(VALU_DEP_2) | instskip(SKIP_1) | instid1(VALU_DEP_3)
	v_pk_fma_f32 v[108:109], v[106:107], v[62:63], v[108:109] op_sel_hi:[1,1,0] neg_lo:[0,0,1] neg_hi:[0,0,1]
	v_mul_f32_e32 v106, v107, v94
	v_pk_add_f32 v[78:79], v[78:79], v[110:111] neg_lo:[0,1] neg_hi:[0,1]
	s_delay_alu instid0(VALU_DEP_2) | instskip(NEXT) | instid1(VALU_DEP_1)
	v_pk_fma_f32 v[104:105], v[104:105], v[62:63], v[106:107] op_sel_hi:[1,1,0]
	v_mov_b32_e32 v109, v105
	ds_load_2addr_b64 v[104:107], v98 offset0:15 offset1:16
	v_pk_add_f32 v[80:81], v[80:81], v[108:109] neg_lo:[0,1] neg_hi:[0,1]
	s_wait_dscnt 0x0
	v_pk_mul_f32 v[108:109], v[104:105], v[96:97] op_sel:[0,1]
	s_delay_alu instid0(VALU_DEP_1) | instskip(SKIP_1) | instid1(VALU_DEP_1)
	v_pk_fma_f32 v[110:111], v[104:105], v[94:95], v[108:109] op_sel:[0,0,1] op_sel_hi:[1,1,0] neg_lo:[0,0,1] neg_hi:[0,0,1]
	v_pk_fma_f32 v[104:105], v[104:105], v[94:95], v[108:109] op_sel:[0,0,1] op_sel_hi:[1,0,0]
	v_mov_b32_e32 v111, v105
	v_pk_mul_f32 v[104:105], v[106:107], v[96:97] op_sel:[0,1]
	s_delay_alu instid0(VALU_DEP_1) | instskip(SKIP_1) | instid1(VALU_DEP_1)
	v_pk_fma_f32 v[108:109], v[106:107], v[94:95], v[104:105] op_sel:[0,0,1] op_sel_hi:[1,1,0] neg_lo:[0,0,1] neg_hi:[0,0,1]
	v_pk_fma_f32 v[104:105], v[106:107], v[94:95], v[104:105] op_sel:[0,0,1] op_sel_hi:[1,0,0]
	v_mov_b32_e32 v109, v105
	ds_load_2addr_b64 v[104:107], v98 offset0:17 offset1:18
	v_pk_add_f32 v[26:27], v[26:27], v[110:111] neg_lo:[0,1] neg_hi:[0,1]
	v_pk_add_f32 v[76:77], v[76:77], v[108:109] neg_lo:[0,1] neg_hi:[0,1]
	s_wait_dscnt 0x0
	v_pk_mul_f32 v[108:109], v[104:105], v[96:97] op_sel:[0,1]
	s_delay_alu instid0(VALU_DEP_1) | instskip(SKIP_1) | instid1(VALU_DEP_1)
	v_pk_fma_f32 v[110:111], v[104:105], v[94:95], v[108:109] op_sel:[0,0,1] op_sel_hi:[1,1,0] neg_lo:[0,0,1] neg_hi:[0,0,1]
	v_pk_fma_f32 v[104:105], v[104:105], v[94:95], v[108:109] op_sel:[0,0,1] op_sel_hi:[1,0,0]
	v_mov_b32_e32 v111, v105
	v_pk_mul_f32 v[104:105], v[106:107], v[96:97] op_sel:[0,1]
	s_delay_alu instid0(VALU_DEP_1) | instskip(SKIP_1) | instid1(VALU_DEP_1)
	v_pk_fma_f32 v[108:109], v[106:107], v[94:95], v[104:105] op_sel:[0,0,1] op_sel_hi:[1,1,0] neg_lo:[0,0,1] neg_hi:[0,0,1]
	v_pk_fma_f32 v[104:105], v[106:107], v[94:95], v[104:105] op_sel:[0,0,1] op_sel_hi:[1,0,0]
	v_mov_b32_e32 v109, v105
	ds_load_2addr_b64 v[104:107], v98 offset0:19 offset1:20
	v_pk_add_f32 v[72:73], v[72:73], v[110:111] neg_lo:[0,1] neg_hi:[0,1]
	v_pk_add_f32 v[74:75], v[74:75], v[108:109] neg_lo:[0,1] neg_hi:[0,1]
	s_wait_dscnt 0x0
	v_dual_mul_f32 v108, v105, v97 :: v_dual_mul_f32 v110, v105, v94
	s_delay_alu instid0(VALU_DEP_1) | instskip(NEXT) | instid1(VALU_DEP_2)
	v_pk_fma_f32 v[108:109], v[104:105], v[62:63], v[108:109] op_sel_hi:[1,1,0] neg_lo:[0,0,1] neg_hi:[0,0,1]
	v_pk_fma_f32 v[104:105], v[104:105], v[62:63], v[110:111] op_sel:[1,0,0] op_sel_hi:[0,1,0]
	s_delay_alu instid0(VALU_DEP_1) | instskip(SKIP_1) | instid1(VALU_DEP_2)
	v_mov_b32_e32 v109, v105
	v_pk_mul_f32 v[104:105], v[106:107], v[96:97] op_sel:[0,1]
	v_pk_add_f32 v[24:25], v[24:25], v[108:109] neg_lo:[0,1] neg_hi:[0,1]
	s_delay_alu instid0(VALU_DEP_2) | instskip(SKIP_1) | instid1(VALU_DEP_1)
	v_pk_fma_f32 v[108:109], v[106:107], v[94:95], v[104:105] op_sel:[0,0,1] op_sel_hi:[1,1,0] neg_lo:[0,0,1] neg_hi:[0,0,1]
	v_pk_fma_f32 v[104:105], v[106:107], v[94:95], v[104:105] op_sel:[0,0,1] op_sel_hi:[1,0,0]
	v_mov_b32_e32 v109, v105
	ds_load_2addr_b64 v[104:107], v98 offset0:21 offset1:22
	v_pk_add_f32 v[70:71], v[70:71], v[108:109] neg_lo:[0,1] neg_hi:[0,1]
	s_wait_dscnt 0x0
	v_pk_mul_f32 v[108:109], v[104:105], v[96:97] op_sel:[0,1]
	s_delay_alu instid0(VALU_DEP_1) | instskip(SKIP_1) | instid1(VALU_DEP_1)
	v_pk_fma_f32 v[110:111], v[104:105], v[94:95], v[108:109] op_sel:[0,0,1] op_sel_hi:[1,1,0] neg_lo:[0,0,1] neg_hi:[0,0,1]
	v_pk_fma_f32 v[104:105], v[104:105], v[94:95], v[108:109] op_sel:[0,0,1] op_sel_hi:[1,0,0]
	v_mov_b32_e32 v111, v105
	v_pk_mul_f32 v[104:105], v[106:107], v[96:97] op_sel:[0,1]
	s_delay_alu instid0(VALU_DEP_2) | instskip(NEXT) | instid1(VALU_DEP_2)
	v_pk_add_f32 v[66:67], v[66:67], v[110:111] neg_lo:[0,1] neg_hi:[0,1]
	v_pk_fma_f32 v[108:109], v[106:107], v[94:95], v[104:105] op_sel:[0,0,1] op_sel_hi:[1,1,0] neg_lo:[0,0,1] neg_hi:[0,0,1]
	v_pk_fma_f32 v[104:105], v[106:107], v[94:95], v[104:105] op_sel:[0,0,1] op_sel_hi:[1,0,0]
	s_delay_alu instid0(VALU_DEP_1) | instskip(SKIP_4) | instid1(VALU_DEP_1)
	v_mov_b32_e32 v109, v105
	ds_load_2addr_b64 v[104:107], v98 offset0:23 offset1:24
	v_pk_add_f32 v[68:69], v[68:69], v[108:109] neg_lo:[0,1] neg_hi:[0,1]
	s_wait_dscnt 0x0
	v_pk_mul_f32 v[108:109], v[104:105], v[96:97] op_sel:[0,1]
	v_pk_fma_f32 v[110:111], v[104:105], v[94:95], v[108:109] op_sel:[0,0,1] op_sel_hi:[1,1,0] neg_lo:[0,0,1] neg_hi:[0,0,1]
	v_pk_fma_f32 v[104:105], v[104:105], v[94:95], v[108:109] op_sel:[0,0,1] op_sel_hi:[1,0,0]
	v_dual_mul_f32 v108, v107, v97 :: v_dual_mov_b32 v104, v107
	s_delay_alu instid0(VALU_DEP_2) | instskip(NEXT) | instid1(VALU_DEP_2)
	v_dual_mov_b32 v111, v105 :: v_dual_mov_b32 v105, v106
	v_pk_fma_f32 v[108:109], v[106:107], v[62:63], v[108:109] op_sel_hi:[1,1,0] neg_lo:[0,0,1] neg_hi:[0,0,1]
	v_mul_f32_e32 v106, v107, v94
	s_delay_alu instid0(VALU_DEP_3) | instskip(NEXT) | instid1(VALU_DEP_2)
	v_pk_add_f32 v[22:23], v[22:23], v[110:111] neg_lo:[0,1] neg_hi:[0,1]
	v_pk_fma_f32 v[104:105], v[104:105], v[62:63], v[106:107] op_sel_hi:[1,1,0]
	s_delay_alu instid0(VALU_DEP_1) | instskip(SKIP_4) | instid1(VALU_DEP_1)
	v_mov_b32_e32 v109, v105
	ds_load_2addr_b64 v[104:107], v98 offset0:25 offset1:26
	v_pk_add_f32 v[54:55], v[54:55], v[108:109] neg_lo:[0,1] neg_hi:[0,1]
	s_wait_dscnt 0x0
	v_pk_mul_f32 v[108:109], v[104:105], v[96:97] op_sel:[0,1]
	v_pk_fma_f32 v[110:111], v[104:105], v[94:95], v[108:109] op_sel:[0,0,1] op_sel_hi:[1,1,0] neg_lo:[0,0,1] neg_hi:[0,0,1]
	v_pk_fma_f32 v[104:105], v[104:105], v[94:95], v[108:109] op_sel:[0,0,1] op_sel_hi:[1,0,0]
	s_delay_alu instid0(VALU_DEP_1) | instskip(SKIP_1) | instid1(VALU_DEP_1)
	v_mov_b32_e32 v111, v105
	v_pk_mul_f32 v[104:105], v[106:107], v[96:97] op_sel:[0,1]
	v_pk_fma_f32 v[108:109], v[106:107], v[94:95], v[104:105] op_sel:[0,0,1] op_sel_hi:[1,1,0] neg_lo:[0,0,1] neg_hi:[0,0,1]
	v_pk_fma_f32 v[104:105], v[106:107], v[94:95], v[104:105] op_sel:[0,0,1] op_sel_hi:[1,0,0]
	s_delay_alu instid0(VALU_DEP_1)
	v_mov_b32_e32 v109, v105
	ds_load_2addr_b64 v[104:107], v98 offset0:27 offset1:28
	v_pk_add_f32 v[48:49], v[48:49], v[110:111] neg_lo:[0,1] neg_hi:[0,1]
	v_pk_add_f32 v[52:53], v[52:53], v[108:109] neg_lo:[0,1] neg_hi:[0,1]
	s_wait_dscnt 0x0
	v_pk_mul_f32 v[108:109], v[104:105], v[96:97] op_sel:[0,1]
	s_delay_alu instid0(VALU_DEP_1) | instskip(SKIP_1) | instid1(VALU_DEP_1)
	v_pk_fma_f32 v[110:111], v[104:105], v[94:95], v[108:109] op_sel:[0,0,1] op_sel_hi:[1,1,0] neg_lo:[0,0,1] neg_hi:[0,0,1]
	v_pk_fma_f32 v[104:105], v[104:105], v[94:95], v[108:109] op_sel:[0,0,1] op_sel_hi:[1,0,0]
	v_mov_b32_e32 v111, v105
	v_pk_mul_f32 v[104:105], v[106:107], v[96:97] op_sel:[0,1]
	s_delay_alu instid0(VALU_DEP_1) | instskip(SKIP_1) | instid1(VALU_DEP_1)
	v_pk_fma_f32 v[108:109], v[106:107], v[94:95], v[104:105] op_sel:[0,0,1] op_sel_hi:[1,1,0] neg_lo:[0,0,1] neg_hi:[0,0,1]
	v_pk_fma_f32 v[104:105], v[106:107], v[94:95], v[104:105] op_sel:[0,0,1] op_sel_hi:[1,0,0]
	v_mov_b32_e32 v109, v105
	ds_load_2addr_b64 v[104:107], v98 offset0:29 offset1:30
	v_pk_add_f32 v[12:13], v[12:13], v[110:111] neg_lo:[0,1] neg_hi:[0,1]
	v_pk_add_f32 v[46:47], v[46:47], v[108:109] neg_lo:[0,1] neg_hi:[0,1]
	s_wait_dscnt 0x0
	v_dual_mul_f32 v108, v105, v97 :: v_dual_mul_f32 v110, v105, v94
	s_delay_alu instid0(VALU_DEP_1) | instskip(NEXT) | instid1(VALU_DEP_2)
	v_pk_fma_f32 v[108:109], v[104:105], v[62:63], v[108:109] op_sel_hi:[1,1,0] neg_lo:[0,0,1] neg_hi:[0,0,1]
	v_pk_fma_f32 v[104:105], v[104:105], v[62:63], v[110:111] op_sel:[1,0,0] op_sel_hi:[0,1,0]
	s_delay_alu instid0(VALU_DEP_1) | instskip(SKIP_1) | instid1(VALU_DEP_2)
	v_mov_b32_e32 v109, v105
	v_pk_mul_f32 v[104:105], v[106:107], v[96:97] op_sel:[0,1]
	v_pk_add_f32 v[42:43], v[42:43], v[108:109] neg_lo:[0,1] neg_hi:[0,1]
	s_delay_alu instid0(VALU_DEP_2) | instskip(SKIP_1) | instid1(VALU_DEP_1)
	v_pk_fma_f32 v[108:109], v[106:107], v[94:95], v[104:105] op_sel:[0,0,1] op_sel_hi:[1,1,0] neg_lo:[0,0,1] neg_hi:[0,0,1]
	v_pk_fma_f32 v[104:105], v[106:107], v[94:95], v[104:105] op_sel:[0,0,1] op_sel_hi:[1,0,0]
	v_mov_b32_e32 v109, v105
	ds_load_2addr_b64 v[104:107], v98 offset0:31 offset1:32
	v_pk_add_f32 v[44:45], v[44:45], v[108:109] neg_lo:[0,1] neg_hi:[0,1]
	s_wait_dscnt 0x0
	v_pk_mul_f32 v[108:109], v[104:105], v[96:97] op_sel:[0,1]
	s_delay_alu instid0(VALU_DEP_1) | instskip(SKIP_1) | instid1(VALU_DEP_1)
	v_pk_fma_f32 v[110:111], v[104:105], v[94:95], v[108:109] op_sel:[0,0,1] op_sel_hi:[1,1,0] neg_lo:[0,0,1] neg_hi:[0,0,1]
	v_pk_fma_f32 v[104:105], v[104:105], v[94:95], v[108:109] op_sel:[0,0,1] op_sel_hi:[1,0,0]
	v_mov_b32_e32 v111, v105
	v_pk_mul_f32 v[104:105], v[106:107], v[96:97] op_sel:[0,1]
	s_delay_alu instid0(VALU_DEP_2) | instskip(NEXT) | instid1(VALU_DEP_2)
	v_pk_add_f32 v[10:11], v[10:11], v[110:111] neg_lo:[0,1] neg_hi:[0,1]
	v_pk_fma_f32 v[108:109], v[106:107], v[94:95], v[104:105] op_sel:[0,0,1] op_sel_hi:[1,1,0] neg_lo:[0,0,1] neg_hi:[0,0,1]
	v_pk_fma_f32 v[104:105], v[106:107], v[94:95], v[104:105] op_sel:[0,0,1] op_sel_hi:[1,0,0]
	s_delay_alu instid0(VALU_DEP_1) | instskip(SKIP_4) | instid1(VALU_DEP_1)
	v_mov_b32_e32 v109, v105
	ds_load_2addr_b64 v[104:107], v98 offset0:33 offset1:34
	v_pk_add_f32 v[40:41], v[40:41], v[108:109] neg_lo:[0,1] neg_hi:[0,1]
	s_wait_dscnt 0x0
	v_pk_mul_f32 v[108:109], v[104:105], v[96:97] op_sel:[0,1]
	v_pk_fma_f32 v[110:111], v[104:105], v[94:95], v[108:109] op_sel:[0,0,1] op_sel_hi:[1,1,0] neg_lo:[0,0,1] neg_hi:[0,0,1]
	v_pk_fma_f32 v[104:105], v[104:105], v[94:95], v[108:109] op_sel:[0,0,1] op_sel_hi:[1,0,0]
	v_dual_mul_f32 v108, v107, v97 :: v_dual_mov_b32 v104, v107
	s_delay_alu instid0(VALU_DEP_2) | instskip(NEXT) | instid1(VALU_DEP_2)
	v_dual_mov_b32 v111, v105 :: v_dual_mov_b32 v105, v106
	v_pk_fma_f32 v[108:109], v[106:107], v[62:63], v[108:109] op_sel_hi:[1,1,0] neg_lo:[0,0,1] neg_hi:[0,0,1]
	v_mul_f32_e32 v106, v107, v94
	s_delay_alu instid0(VALU_DEP_3) | instskip(NEXT) | instid1(VALU_DEP_2)
	v_pk_add_f32 v[36:37], v[36:37], v[110:111] neg_lo:[0,1] neg_hi:[0,1]
	v_pk_fma_f32 v[104:105], v[104:105], v[62:63], v[106:107] op_sel_hi:[1,1,0]
	s_delay_alu instid0(VALU_DEP_1) | instskip(SKIP_4) | instid1(VALU_DEP_1)
	v_mov_b32_e32 v109, v105
	ds_load_2addr_b64 v[104:107], v98 offset0:35 offset1:36
	v_pk_add_f32 v[38:39], v[38:39], v[108:109] neg_lo:[0,1] neg_hi:[0,1]
	s_wait_dscnt 0x0
	v_pk_mul_f32 v[108:109], v[104:105], v[96:97] op_sel:[0,1]
	v_pk_fma_f32 v[110:111], v[104:105], v[94:95], v[108:109] op_sel:[0,0,1] op_sel_hi:[1,1,0] neg_lo:[0,0,1] neg_hi:[0,0,1]
	v_pk_fma_f32 v[104:105], v[104:105], v[94:95], v[108:109] op_sel:[0,0,1] op_sel_hi:[1,0,0]
	s_delay_alu instid0(VALU_DEP_1) | instskip(SKIP_1) | instid1(VALU_DEP_1)
	v_mov_b32_e32 v111, v105
	v_pk_mul_f32 v[104:105], v[106:107], v[96:97] op_sel:[0,1]
	v_pk_fma_f32 v[108:109], v[106:107], v[94:95], v[104:105] op_sel:[0,0,1] op_sel_hi:[1,1,0] neg_lo:[0,0,1] neg_hi:[0,0,1]
	v_pk_fma_f32 v[104:105], v[106:107], v[94:95], v[104:105] op_sel:[0,0,1] op_sel_hi:[1,0,0]
	s_delay_alu instid0(VALU_DEP_1)
	v_mov_b32_e32 v109, v105
	ds_load_2addr_b64 v[104:107], v98 offset0:37 offset1:38
	v_pk_add_f32 v[6:7], v[6:7], v[110:111] neg_lo:[0,1] neg_hi:[0,1]
	v_pk_add_f32 v[34:35], v[34:35], v[108:109] neg_lo:[0,1] neg_hi:[0,1]
	s_wait_dscnt 0x0
	v_pk_mul_f32 v[108:109], v[104:105], v[96:97] op_sel:[0,1]
	s_delay_alu instid0(VALU_DEP_1) | instskip(SKIP_1) | instid1(VALU_DEP_1)
	v_pk_fma_f32 v[110:111], v[104:105], v[94:95], v[108:109] op_sel:[0,0,1] op_sel_hi:[1,1,0] neg_lo:[0,0,1] neg_hi:[0,0,1]
	v_pk_fma_f32 v[104:105], v[104:105], v[94:95], v[108:109] op_sel:[0,0,1] op_sel_hi:[1,0,0]
	v_mov_b32_e32 v111, v105
	v_pk_mul_f32 v[104:105], v[106:107], v[96:97] op_sel:[0,1]
	s_delay_alu instid0(VALU_DEP_1) | instskip(SKIP_1) | instid1(VALU_DEP_1)
	v_pk_fma_f32 v[108:109], v[106:107], v[94:95], v[104:105] op_sel:[0,0,1] op_sel_hi:[1,1,0] neg_lo:[0,0,1] neg_hi:[0,0,1]
	v_pk_fma_f32 v[104:105], v[106:107], v[94:95], v[104:105] op_sel:[0,0,1] op_sel_hi:[1,0,0]
	v_mov_b32_e32 v109, v105
	ds_load_2addr_b64 v[104:107], v98 offset0:39 offset1:40
	v_pk_add_f32 v[30:31], v[30:31], v[110:111] neg_lo:[0,1] neg_hi:[0,1]
	v_pk_add_f32 v[32:33], v[32:33], v[108:109] neg_lo:[0,1] neg_hi:[0,1]
	s_wait_dscnt 0x0
	v_dual_mul_f32 v108, v105, v97 :: v_dual_mul_f32 v110, v105, v94
	s_delay_alu instid0(VALU_DEP_1) | instskip(NEXT) | instid1(VALU_DEP_2)
	v_pk_fma_f32 v[108:109], v[104:105], v[62:63], v[108:109] op_sel_hi:[1,1,0] neg_lo:[0,0,1] neg_hi:[0,0,1]
	v_pk_fma_f32 v[104:105], v[104:105], v[62:63], v[110:111] op_sel:[1,0,0] op_sel_hi:[0,1,0]
	s_delay_alu instid0(VALU_DEP_1) | instskip(SKIP_1) | instid1(VALU_DEP_2)
	v_mov_b32_e32 v109, v105
	v_pk_mul_f32 v[104:105], v[106:107], v[96:97] op_sel:[0,1]
	v_pk_add_f32 v[8:9], v[8:9], v[108:109] neg_lo:[0,1] neg_hi:[0,1]
	s_delay_alu instid0(VALU_DEP_2) | instskip(SKIP_1) | instid1(VALU_DEP_1)
	v_pk_fma_f32 v[108:109], v[106:107], v[94:95], v[104:105] op_sel:[0,0,1] op_sel_hi:[1,1,0] neg_lo:[0,0,1] neg_hi:[0,0,1]
	v_pk_fma_f32 v[104:105], v[106:107], v[94:95], v[104:105] op_sel:[0,0,1] op_sel_hi:[1,0,0]
	v_mov_b32_e32 v109, v105
	ds_load_2addr_b64 v[104:107], v98 offset0:41 offset1:42
	v_pk_add_f32 v[28:29], v[28:29], v[108:109] neg_lo:[0,1] neg_hi:[0,1]
	s_wait_dscnt 0x0
	v_pk_mul_f32 v[108:109], v[104:105], v[96:97] op_sel:[0,1]
	s_delay_alu instid0(VALU_DEP_1) | instskip(SKIP_1) | instid1(VALU_DEP_1)
	v_pk_fma_f32 v[110:111], v[104:105], v[94:95], v[108:109] op_sel:[0,0,1] op_sel_hi:[1,1,0] neg_lo:[0,0,1] neg_hi:[0,0,1]
	v_pk_fma_f32 v[104:105], v[104:105], v[94:95], v[108:109] op_sel:[0,0,1] op_sel_hi:[1,0,0]
	v_mov_b32_e32 v111, v105
	v_pk_mul_f32 v[104:105], v[106:107], v[96:97] op_sel:[0,1]
	s_delay_alu instid0(VALU_DEP_2) | instskip(NEXT) | instid1(VALU_DEP_2)
	v_pk_add_f32 v[20:21], v[20:21], v[110:111] neg_lo:[0,1] neg_hi:[0,1]
	v_pk_fma_f32 v[108:109], v[106:107], v[94:95], v[104:105] op_sel:[0,0,1] op_sel_hi:[1,1,0] neg_lo:[0,0,1] neg_hi:[0,0,1]
	v_pk_fma_f32 v[104:105], v[106:107], v[94:95], v[104:105] op_sel:[0,0,1] op_sel_hi:[1,0,0]
	s_delay_alu instid0(VALU_DEP_1) | instskip(SKIP_4) | instid1(VALU_DEP_1)
	v_mov_b32_e32 v109, v105
	ds_load_b64 v[104:105], v98 offset:344
	v_pk_add_f32 v[16:17], v[16:17], v[108:109] neg_lo:[0,1] neg_hi:[0,1]
	s_wait_dscnt 0x0
	v_pk_mul_f32 v[96:97], v[104:105], v[96:97] op_sel:[0,1]
	v_pk_fma_f32 v[106:107], v[104:105], v[94:95], v[96:97] op_sel:[0,0,1] op_sel_hi:[1,1,0] neg_lo:[0,0,1] neg_hi:[0,0,1]
	v_pk_fma_f32 v[94:95], v[104:105], v[94:95], v[96:97] op_sel:[0,0,1] op_sel_hi:[1,0,0]
	s_delay_alu instid0(VALU_DEP_1) | instskip(NEXT) | instid1(VALU_DEP_1)
	v_mov_b32_e32 v107, v95
	v_pk_add_f32 v[92:93], v[92:93], v[106:107] neg_lo:[0,1] neg_hi:[0,1]
.LBB86_230:
	s_or_b32 exec_lo, exec_lo, s0
	v_lshl_add_u32 v94, v102, 3, v98
	s_barrier_signal -1
	s_barrier_wait -1
	ds_store_b64 v94, v[18:19]
	s_wait_dscnt 0x0
	s_barrier_signal -1
	s_barrier_wait -1
	ds_load_b64 v[96:97], v98 offset:88
	v_mov_b32_e32 v94, 11
	s_cmp_lt_i32 s18, 13
	s_cbranch_scc1 .LBB86_233
; %bb.231:
	v_add3_u32 v95, v99, 0, 0x60
	v_mov_b32_e32 v94, 11
	s_mov_b32 s0, 12
.LBB86_232:                             ; =>This Inner Loop Header: Depth=1
	ds_load_b64 v[104:105], v95
	s_wait_dscnt 0x1
	v_cmp_gt_f32_e32 vcc_lo, 0, v96
	v_cndmask_b32_e64 v106, v96, -v96, vcc_lo
	v_cmp_gt_f32_e32 vcc_lo, 0, v97
	v_cndmask_b32_e64 v108, v97, -v97, vcc_lo
	s_wait_dscnt 0x0
	v_cmp_gt_f32_e32 vcc_lo, 0, v104
	v_cndmask_b32_e64 v107, v104, -v104, vcc_lo
	v_cmp_gt_f32_e32 vcc_lo, 0, v105
	v_cndmask_b32_e64 v109, v105, -v105, vcc_lo
	s_delay_alu instid0(VALU_DEP_1) | instskip(NEXT) | instid1(VALU_DEP_1)
	v_pk_add_f32 v[106:107], v[106:107], v[108:109]
	v_cmp_lt_f32_e32 vcc_lo, v106, v107
	v_dual_add_nc_u32 v95, 8, v95 :: v_dual_cndmask_b32 v97, v97, v105, vcc_lo
	v_cndmask_b32_e32 v96, v96, v104, vcc_lo
	v_cndmask_b32_e64 v94, v94, s0, vcc_lo
	s_add_co_i32 s0, s0, 1
	s_delay_alu instid0(SALU_CYCLE_1)
	s_cmp_lg_u32 s18, s0
	s_cbranch_scc1 .LBB86_232
.LBB86_233:
	s_wait_dscnt 0x0
	v_cmp_eq_f32_e32 vcc_lo, 0, v96
	v_cmp_eq_f32_e64 s0, 0, v97
	s_and_b32 s0, vcc_lo, s0
	s_delay_alu instid0(SALU_CYCLE_1) | instskip(NEXT) | instid1(SALU_CYCLE_1)
	s_and_saveexec_b32 s1, s0
	s_xor_b32 s0, exec_lo, s1
; %bb.234:
	v_cmp_ne_u32_e32 vcc_lo, 0, v100
	v_cndmask_b32_e32 v100, 12, v100, vcc_lo
; %bb.235:
	s_and_not1_saveexec_b32 s0, s0
	s_cbranch_execz .LBB86_241
; %bb.236:
	v_cmp_ngt_f32_e64 s1, |v96|, |v97|
	s_and_saveexec_b32 s12, s1
	s_delay_alu instid0(SALU_CYCLE_1)
	s_xor_b32 s1, exec_lo, s12
	s_cbranch_execz .LBB86_238
; %bb.237:
	v_div_scale_f32 v95, null, v97, v97, v96
	v_div_scale_f32 v105, vcc_lo, v96, v97, v96
	s_delay_alu instid0(VALU_DEP_2) | instskip(SKIP_1) | instid1(TRANS32_DEP_1)
	v_rcp_f32_e32 v103, v95
	v_nop
	v_fma_f32 v104, -v95, v103, 1.0
	s_delay_alu instid0(VALU_DEP_1) | instskip(NEXT) | instid1(VALU_DEP_1)
	v_fmac_f32_e32 v103, v104, v103
	v_mul_f32_e32 v104, v105, v103
	s_delay_alu instid0(VALU_DEP_1) | instskip(NEXT) | instid1(VALU_DEP_1)
	v_fma_f32 v106, -v95, v104, v105
	v_fmac_f32_e32 v104, v106, v103
	s_delay_alu instid0(VALU_DEP_1) | instskip(NEXT) | instid1(VALU_DEP_1)
	v_fma_f32 v95, -v95, v104, v105
	v_div_fmas_f32 v95, v95, v103, v104
	s_delay_alu instid0(VALU_DEP_1) | instskip(NEXT) | instid1(VALU_DEP_1)
	v_div_fixup_f32 v95, v95, v97, v96
	v_fmac_f32_e32 v97, v96, v95
	s_delay_alu instid0(VALU_DEP_1) | instskip(SKIP_1) | instid1(VALU_DEP_2)
	v_div_scale_f32 v96, null, v97, v97, 1.0
	v_div_scale_f32 v105, vcc_lo, 1.0, v97, 1.0
	v_rcp_f32_e32 v103, v96
	v_nop
	s_delay_alu instid0(TRANS32_DEP_1) | instskip(NEXT) | instid1(VALU_DEP_1)
	v_fma_f32 v104, -v96, v103, 1.0
	v_fmac_f32_e32 v103, v104, v103
	s_delay_alu instid0(VALU_DEP_1) | instskip(NEXT) | instid1(VALU_DEP_1)
	v_mul_f32_e32 v104, v105, v103
	v_fma_f32 v106, -v96, v104, v105
	s_delay_alu instid0(VALU_DEP_1) | instskip(NEXT) | instid1(VALU_DEP_1)
	v_fmac_f32_e32 v104, v106, v103
	v_fma_f32 v96, -v96, v104, v105
	s_delay_alu instid0(VALU_DEP_1) | instskip(NEXT) | instid1(VALU_DEP_1)
	v_div_fmas_f32 v96, v96, v103, v104
	v_div_fixup_f32 v97, v96, v97, 1.0
	s_delay_alu instid0(VALU_DEP_1)
	v_mul_f32_e32 v96, v95, v97
	v_xor_b32_e32 v97, 0x80000000, v97
.LBB86_238:
	s_and_not1_saveexec_b32 s1, s1
	s_cbranch_execz .LBB86_240
; %bb.239:
	s_delay_alu instid0(VALU_DEP_1) | instskip(SKIP_1) | instid1(VALU_DEP_2)
	v_div_scale_f32 v95, null, v96, v96, v97
	v_div_scale_f32 v105, vcc_lo, v97, v96, v97
	v_rcp_f32_e32 v103, v95
	v_nop
	s_delay_alu instid0(TRANS32_DEP_1) | instskip(NEXT) | instid1(VALU_DEP_1)
	v_fma_f32 v104, -v95, v103, 1.0
	v_fmac_f32_e32 v103, v104, v103
	s_delay_alu instid0(VALU_DEP_1) | instskip(NEXT) | instid1(VALU_DEP_1)
	v_mul_f32_e32 v104, v105, v103
	v_fma_f32 v106, -v95, v104, v105
	s_delay_alu instid0(VALU_DEP_1) | instskip(NEXT) | instid1(VALU_DEP_1)
	v_fmac_f32_e32 v104, v106, v103
	v_fma_f32 v95, -v95, v104, v105
	s_delay_alu instid0(VALU_DEP_1) | instskip(NEXT) | instid1(VALU_DEP_1)
	v_div_fmas_f32 v95, v95, v103, v104
	v_div_fixup_f32 v95, v95, v96, v97
	s_delay_alu instid0(VALU_DEP_1) | instskip(NEXT) | instid1(VALU_DEP_1)
	v_fmac_f32_e32 v96, v97, v95
	v_div_scale_f32 v97, null, v96, v96, 1.0
	s_delay_alu instid0(VALU_DEP_1) | instskip(SKIP_1) | instid1(TRANS32_DEP_1)
	v_rcp_f32_e32 v103, v97
	v_nop
	v_fma_f32 v104, -v97, v103, 1.0
	s_delay_alu instid0(VALU_DEP_1) | instskip(SKIP_1) | instid1(VALU_DEP_1)
	v_fmac_f32_e32 v103, v104, v103
	v_div_scale_f32 v104, vcc_lo, 1.0, v96, 1.0
	v_mul_f32_e32 v105, v104, v103
	s_delay_alu instid0(VALU_DEP_1) | instskip(NEXT) | instid1(VALU_DEP_1)
	v_fma_f32 v106, -v97, v105, v104
	v_fmac_f32_e32 v105, v106, v103
	s_delay_alu instid0(VALU_DEP_1) | instskip(NEXT) | instid1(VALU_DEP_1)
	v_fma_f32 v97, -v97, v105, v104
	v_div_fmas_f32 v97, v97, v103, v105
	s_delay_alu instid0(VALU_DEP_1) | instskip(NEXT) | instid1(VALU_DEP_1)
	v_div_fixup_f32 v96, v97, v96, 1.0
	v_mul_f32_e64 v97, v95, -v96
.LBB86_240:
	s_or_b32 exec_lo, exec_lo, s1
.LBB86_241:
	s_delay_alu instid0(SALU_CYCLE_1) | instskip(NEXT) | instid1(SALU_CYCLE_1)
	s_or_b32 exec_lo, exec_lo, s0
	s_mov_b32 s0, exec_lo
	v_cmpx_ne_u32_e64 v102, v94
	s_xor_b32 s0, exec_lo, s0
	s_cbranch_execz .LBB86_247
; %bb.242:
	s_mov_b32 s1, exec_lo
	v_cmpx_eq_u32_e32 11, v102
	s_cbranch_execz .LBB86_246
; %bb.243:
	v_cmp_ne_u32_e32 vcc_lo, 11, v94
	s_xor_b32 s12, s16, -1
	s_delay_alu instid0(SALU_CYCLE_1) | instskip(NEXT) | instid1(SALU_CYCLE_1)
	s_and_b32 s13, s12, vcc_lo
	s_and_saveexec_b32 s12, s13
	s_cbranch_execz .LBB86_245
; %bb.244:
	v_ashrrev_i32_e32 v95, 31, v94
	s_delay_alu instid0(VALU_DEP_1)
	v_lshl_add_u64 v[102:103], v[94:95], 2, v[4:5]
	s_clause 0x1
	global_load_b32 v95, v[102:103], off
	global_load_b32 v101, v[4:5], off offset:44
	s_wait_loadcnt 0x1
	global_store_b32 v[4:5], v95, off offset:44
	s_wait_loadcnt 0x0
	global_store_b32 v[102:103], v101, off
.LBB86_245:
	s_wait_xcnt 0x0
	s_or_b32 exec_lo, exec_lo, s12
	v_dual_mov_b32 v102, v94 :: v_dual_mov_b32 v101, v94
.LBB86_246:
	s_or_b32 exec_lo, exec_lo, s1
.LBB86_247:
	s_and_not1_saveexec_b32 s0, s0
	s_cbranch_execz .LBB86_249
; %bb.248:
	v_dual_mov_b32 v94, v82 :: v_dual_mov_b32 v95, v83
	v_dual_mov_b32 v102, v78 :: v_dual_mov_b32 v103, v79
	;; [unrolled: 1-line block ×12, first 2 shown]
	ds_store_2addr_b64 v98, v[94:95], v[102:103] offset0:12 offset1:13
	ds_store_2addr_b64 v98, v[104:105], v[106:107] offset0:14 offset1:15
	;; [unrolled: 1-line block ×6, first 2 shown]
	v_dual_mov_b32 v94, v54 :: v_dual_mov_b32 v95, v55
	v_dual_mov_b32 v102, v48 :: v_dual_mov_b32 v103, v49
	;; [unrolled: 1-line block ×12, first 2 shown]
	ds_store_2addr_b64 v98, v[94:95], v[102:103] offset0:24 offset1:25
	ds_store_2addr_b64 v98, v[104:105], v[106:107] offset0:26 offset1:27
	;; [unrolled: 1-line block ×6, first 2 shown]
	v_dual_mov_b32 v94, v34 :: v_dual_mov_b32 v95, v35
	v_dual_mov_b32 v104, v30 :: v_dual_mov_b32 v105, v31
	;; [unrolled: 1-line block ×7, first 2 shown]
	v_mov_b32_e32 v115, v17
	ds_store_2addr_b64 v98, v[94:95], v[104:105] offset0:36 offset1:37
	ds_store_2addr_b64 v98, v[106:107], v[108:109] offset0:38 offset1:39
	;; [unrolled: 1-line block ×4, first 2 shown]
.LBB86_249:
	s_or_b32 exec_lo, exec_lo, s0
	s_delay_alu instid0(SALU_CYCLE_1)
	s_mov_b32 s0, exec_lo
	s_wait_storecnt_dscnt 0x0
	s_barrier_signal -1
	s_barrier_wait -1
	v_cmpx_lt_i32_e32 11, v102
	s_cbranch_execz .LBB86_251
; %bb.250:
	v_pk_mul_f32 v[104:105], v[96:97], v[18:19] op_sel:[1,1] op_sel_hi:[0,1]
	s_delay_alu instid0(VALU_DEP_1)
	v_pk_fma_f32 v[94:95], v[96:97], v[18:19], v[104:105] op_sel_hi:[1,0,1] neg_lo:[0,0,1] neg_hi:[0,0,1]
	v_pk_fma_f32 v[96:97], v[96:97], v[18:19], v[104:105] op_sel_hi:[1,0,1]
	ds_load_2addr_b64 v[104:107], v98 offset0:12 offset1:13
	v_dual_mov_b32 v18, v94 :: v_dual_mov_b32 v19, v97
	s_wait_dscnt 0x0
	v_pk_mul_f32 v[108:109], v[104:105], v[96:97] op_sel:[0,1]
	s_delay_alu instid0(VALU_DEP_1) | instskip(SKIP_1) | instid1(VALU_DEP_1)
	v_pk_fma_f32 v[110:111], v[104:105], v[94:95], v[108:109] op_sel:[0,0,1] op_sel_hi:[1,1,0] neg_lo:[0,0,1] neg_hi:[0,0,1]
	v_pk_fma_f32 v[104:105], v[104:105], v[94:95], v[108:109] op_sel:[0,0,1] op_sel_hi:[1,0,0]
	v_mov_b32_e32 v111, v105
	v_pk_mul_f32 v[104:105], v[106:107], v[96:97] op_sel:[0,1]
	s_delay_alu instid0(VALU_DEP_1) | instskip(SKIP_1) | instid1(VALU_DEP_1)
	v_pk_fma_f32 v[108:109], v[106:107], v[94:95], v[104:105] op_sel:[0,0,1] op_sel_hi:[1,1,0] neg_lo:[0,0,1] neg_hi:[0,0,1]
	v_pk_fma_f32 v[104:105], v[106:107], v[94:95], v[104:105] op_sel:[0,0,1] op_sel_hi:[1,0,0]
	v_mov_b32_e32 v109, v105
	ds_load_2addr_b64 v[104:107], v98 offset0:14 offset1:15
	v_pk_add_f32 v[82:83], v[82:83], v[110:111] neg_lo:[0,1] neg_hi:[0,1]
	v_pk_add_f32 v[78:79], v[78:79], v[108:109] neg_lo:[0,1] neg_hi:[0,1]
	s_wait_dscnt 0x0
	v_pk_mul_f32 v[108:109], v[104:105], v[96:97] op_sel:[0,1]
	s_delay_alu instid0(VALU_DEP_1) | instskip(SKIP_2) | instid1(VALU_DEP_2)
	v_pk_fma_f32 v[110:111], v[104:105], v[94:95], v[108:109] op_sel:[0,0,1] op_sel_hi:[1,1,0] neg_lo:[0,0,1] neg_hi:[0,0,1]
	v_pk_fma_f32 v[104:105], v[104:105], v[94:95], v[108:109] op_sel:[0,0,1] op_sel_hi:[1,0,0]
	v_dual_mul_f32 v108, v107, v97 :: v_dual_mov_b32 v104, v107
	v_dual_mov_b32 v111, v105 :: v_dual_mov_b32 v105, v106
	s_delay_alu instid0(VALU_DEP_2) | instskip(SKIP_1) | instid1(VALU_DEP_3)
	v_pk_fma_f32 v[108:109], v[106:107], v[18:19], v[108:109] op_sel_hi:[1,1,0] neg_lo:[0,0,1] neg_hi:[0,0,1]
	v_mul_f32_e32 v106, v107, v94
	v_pk_add_f32 v[80:81], v[80:81], v[110:111] neg_lo:[0,1] neg_hi:[0,1]
	s_delay_alu instid0(VALU_DEP_2) | instskip(NEXT) | instid1(VALU_DEP_1)
	v_pk_fma_f32 v[104:105], v[104:105], v[18:19], v[106:107] op_sel_hi:[1,1,0]
	v_mov_b32_e32 v109, v105
	ds_load_2addr_b64 v[104:107], v98 offset0:16 offset1:17
	v_pk_add_f32 v[26:27], v[26:27], v[108:109] neg_lo:[0,1] neg_hi:[0,1]
	s_wait_dscnt 0x0
	v_pk_mul_f32 v[108:109], v[104:105], v[96:97] op_sel:[0,1]
	s_delay_alu instid0(VALU_DEP_1) | instskip(SKIP_1) | instid1(VALU_DEP_1)
	v_pk_fma_f32 v[110:111], v[104:105], v[94:95], v[108:109] op_sel:[0,0,1] op_sel_hi:[1,1,0] neg_lo:[0,0,1] neg_hi:[0,0,1]
	v_pk_fma_f32 v[104:105], v[104:105], v[94:95], v[108:109] op_sel:[0,0,1] op_sel_hi:[1,0,0]
	v_mov_b32_e32 v111, v105
	v_pk_mul_f32 v[104:105], v[106:107], v[96:97] op_sel:[0,1]
	s_delay_alu instid0(VALU_DEP_1) | instskip(SKIP_1) | instid1(VALU_DEP_1)
	v_pk_fma_f32 v[108:109], v[106:107], v[94:95], v[104:105] op_sel:[0,0,1] op_sel_hi:[1,1,0] neg_lo:[0,0,1] neg_hi:[0,0,1]
	v_pk_fma_f32 v[104:105], v[106:107], v[94:95], v[104:105] op_sel:[0,0,1] op_sel_hi:[1,0,0]
	v_mov_b32_e32 v109, v105
	ds_load_2addr_b64 v[104:107], v98 offset0:18 offset1:19
	v_pk_add_f32 v[76:77], v[76:77], v[110:111] neg_lo:[0,1] neg_hi:[0,1]
	v_pk_add_f32 v[72:73], v[72:73], v[108:109] neg_lo:[0,1] neg_hi:[0,1]
	s_wait_dscnt 0x0
	v_pk_mul_f32 v[108:109], v[104:105], v[96:97] op_sel:[0,1]
	s_delay_alu instid0(VALU_DEP_1) | instskip(SKIP_1) | instid1(VALU_DEP_1)
	v_pk_fma_f32 v[110:111], v[104:105], v[94:95], v[108:109] op_sel:[0,0,1] op_sel_hi:[1,1,0] neg_lo:[0,0,1] neg_hi:[0,0,1]
	v_pk_fma_f32 v[104:105], v[104:105], v[94:95], v[108:109] op_sel:[0,0,1] op_sel_hi:[1,0,0]
	v_mov_b32_e32 v111, v105
	v_pk_mul_f32 v[104:105], v[106:107], v[96:97] op_sel:[0,1]
	s_delay_alu instid0(VALU_DEP_1) | instskip(SKIP_1) | instid1(VALU_DEP_1)
	v_pk_fma_f32 v[108:109], v[106:107], v[94:95], v[104:105] op_sel:[0,0,1] op_sel_hi:[1,1,0] neg_lo:[0,0,1] neg_hi:[0,0,1]
	v_pk_fma_f32 v[104:105], v[106:107], v[94:95], v[104:105] op_sel:[0,0,1] op_sel_hi:[1,0,0]
	v_mov_b32_e32 v109, v105
	ds_load_2addr_b64 v[104:107], v98 offset0:20 offset1:21
	v_pk_add_f32 v[74:75], v[74:75], v[110:111] neg_lo:[0,1] neg_hi:[0,1]
	v_pk_add_f32 v[24:25], v[24:25], v[108:109] neg_lo:[0,1] neg_hi:[0,1]
	s_wait_dscnt 0x0
	v_dual_mul_f32 v108, v105, v97 :: v_dual_mul_f32 v110, v105, v94
	s_delay_alu instid0(VALU_DEP_1) | instskip(NEXT) | instid1(VALU_DEP_2)
	v_pk_fma_f32 v[108:109], v[104:105], v[18:19], v[108:109] op_sel_hi:[1,1,0] neg_lo:[0,0,1] neg_hi:[0,0,1]
	v_pk_fma_f32 v[104:105], v[104:105], v[18:19], v[110:111] op_sel:[1,0,0] op_sel_hi:[0,1,0]
	s_delay_alu instid0(VALU_DEP_1) | instskip(SKIP_1) | instid1(VALU_DEP_2)
	v_mov_b32_e32 v109, v105
	v_pk_mul_f32 v[104:105], v[106:107], v[96:97] op_sel:[0,1]
	v_pk_add_f32 v[70:71], v[70:71], v[108:109] neg_lo:[0,1] neg_hi:[0,1]
	s_delay_alu instid0(VALU_DEP_2) | instskip(SKIP_1) | instid1(VALU_DEP_1)
	v_pk_fma_f32 v[108:109], v[106:107], v[94:95], v[104:105] op_sel:[0,0,1] op_sel_hi:[1,1,0] neg_lo:[0,0,1] neg_hi:[0,0,1]
	v_pk_fma_f32 v[104:105], v[106:107], v[94:95], v[104:105] op_sel:[0,0,1] op_sel_hi:[1,0,0]
	v_mov_b32_e32 v109, v105
	ds_load_2addr_b64 v[104:107], v98 offset0:22 offset1:23
	v_pk_add_f32 v[66:67], v[66:67], v[108:109] neg_lo:[0,1] neg_hi:[0,1]
	s_wait_dscnt 0x0
	v_pk_mul_f32 v[108:109], v[104:105], v[96:97] op_sel:[0,1]
	s_delay_alu instid0(VALU_DEP_1) | instskip(SKIP_1) | instid1(VALU_DEP_1)
	v_pk_fma_f32 v[110:111], v[104:105], v[94:95], v[108:109] op_sel:[0,0,1] op_sel_hi:[1,1,0] neg_lo:[0,0,1] neg_hi:[0,0,1]
	v_pk_fma_f32 v[104:105], v[104:105], v[94:95], v[108:109] op_sel:[0,0,1] op_sel_hi:[1,0,0]
	v_mov_b32_e32 v111, v105
	v_pk_mul_f32 v[104:105], v[106:107], v[96:97] op_sel:[0,1]
	s_delay_alu instid0(VALU_DEP_2) | instskip(NEXT) | instid1(VALU_DEP_2)
	v_pk_add_f32 v[68:69], v[68:69], v[110:111] neg_lo:[0,1] neg_hi:[0,1]
	v_pk_fma_f32 v[108:109], v[106:107], v[94:95], v[104:105] op_sel:[0,0,1] op_sel_hi:[1,1,0] neg_lo:[0,0,1] neg_hi:[0,0,1]
	v_pk_fma_f32 v[104:105], v[106:107], v[94:95], v[104:105] op_sel:[0,0,1] op_sel_hi:[1,0,0]
	s_delay_alu instid0(VALU_DEP_1) | instskip(SKIP_4) | instid1(VALU_DEP_1)
	v_mov_b32_e32 v109, v105
	ds_load_2addr_b64 v[104:107], v98 offset0:24 offset1:25
	v_pk_add_f32 v[22:23], v[22:23], v[108:109] neg_lo:[0,1] neg_hi:[0,1]
	s_wait_dscnt 0x0
	v_pk_mul_f32 v[108:109], v[104:105], v[96:97] op_sel:[0,1]
	v_pk_fma_f32 v[110:111], v[104:105], v[94:95], v[108:109] op_sel:[0,0,1] op_sel_hi:[1,1,0] neg_lo:[0,0,1] neg_hi:[0,0,1]
	v_pk_fma_f32 v[104:105], v[104:105], v[94:95], v[108:109] op_sel:[0,0,1] op_sel_hi:[1,0,0]
	v_dual_mul_f32 v108, v107, v97 :: v_dual_mov_b32 v104, v107
	s_delay_alu instid0(VALU_DEP_2) | instskip(NEXT) | instid1(VALU_DEP_2)
	v_dual_mov_b32 v111, v105 :: v_dual_mov_b32 v105, v106
	v_pk_fma_f32 v[108:109], v[106:107], v[18:19], v[108:109] op_sel_hi:[1,1,0] neg_lo:[0,0,1] neg_hi:[0,0,1]
	v_mul_f32_e32 v106, v107, v94
	s_delay_alu instid0(VALU_DEP_3) | instskip(NEXT) | instid1(VALU_DEP_2)
	v_pk_add_f32 v[54:55], v[54:55], v[110:111] neg_lo:[0,1] neg_hi:[0,1]
	v_pk_fma_f32 v[104:105], v[104:105], v[18:19], v[106:107] op_sel_hi:[1,1,0]
	s_delay_alu instid0(VALU_DEP_1) | instskip(SKIP_4) | instid1(VALU_DEP_1)
	v_mov_b32_e32 v109, v105
	ds_load_2addr_b64 v[104:107], v98 offset0:26 offset1:27
	v_pk_add_f32 v[48:49], v[48:49], v[108:109] neg_lo:[0,1] neg_hi:[0,1]
	s_wait_dscnt 0x0
	v_pk_mul_f32 v[108:109], v[104:105], v[96:97] op_sel:[0,1]
	v_pk_fma_f32 v[110:111], v[104:105], v[94:95], v[108:109] op_sel:[0,0,1] op_sel_hi:[1,1,0] neg_lo:[0,0,1] neg_hi:[0,0,1]
	v_pk_fma_f32 v[104:105], v[104:105], v[94:95], v[108:109] op_sel:[0,0,1] op_sel_hi:[1,0,0]
	s_delay_alu instid0(VALU_DEP_1) | instskip(SKIP_1) | instid1(VALU_DEP_1)
	v_mov_b32_e32 v111, v105
	v_pk_mul_f32 v[104:105], v[106:107], v[96:97] op_sel:[0,1]
	v_pk_fma_f32 v[108:109], v[106:107], v[94:95], v[104:105] op_sel:[0,0,1] op_sel_hi:[1,1,0] neg_lo:[0,0,1] neg_hi:[0,0,1]
	v_pk_fma_f32 v[104:105], v[106:107], v[94:95], v[104:105] op_sel:[0,0,1] op_sel_hi:[1,0,0]
	s_delay_alu instid0(VALU_DEP_1)
	v_mov_b32_e32 v109, v105
	ds_load_2addr_b64 v[104:107], v98 offset0:28 offset1:29
	v_pk_add_f32 v[52:53], v[52:53], v[110:111] neg_lo:[0,1] neg_hi:[0,1]
	v_pk_add_f32 v[12:13], v[12:13], v[108:109] neg_lo:[0,1] neg_hi:[0,1]
	s_wait_dscnt 0x0
	v_pk_mul_f32 v[108:109], v[104:105], v[96:97] op_sel:[0,1]
	s_delay_alu instid0(VALU_DEP_1) | instskip(SKIP_1) | instid1(VALU_DEP_1)
	v_pk_fma_f32 v[110:111], v[104:105], v[94:95], v[108:109] op_sel:[0,0,1] op_sel_hi:[1,1,0] neg_lo:[0,0,1] neg_hi:[0,0,1]
	v_pk_fma_f32 v[104:105], v[104:105], v[94:95], v[108:109] op_sel:[0,0,1] op_sel_hi:[1,0,0]
	v_mov_b32_e32 v111, v105
	v_pk_mul_f32 v[104:105], v[106:107], v[96:97] op_sel:[0,1]
	s_delay_alu instid0(VALU_DEP_1) | instskip(SKIP_1) | instid1(VALU_DEP_1)
	v_pk_fma_f32 v[108:109], v[106:107], v[94:95], v[104:105] op_sel:[0,0,1] op_sel_hi:[1,1,0] neg_lo:[0,0,1] neg_hi:[0,0,1]
	v_pk_fma_f32 v[104:105], v[106:107], v[94:95], v[104:105] op_sel:[0,0,1] op_sel_hi:[1,0,0]
	v_mov_b32_e32 v109, v105
	ds_load_2addr_b64 v[104:107], v98 offset0:30 offset1:31
	v_pk_add_f32 v[46:47], v[46:47], v[110:111] neg_lo:[0,1] neg_hi:[0,1]
	v_pk_add_f32 v[42:43], v[42:43], v[108:109] neg_lo:[0,1] neg_hi:[0,1]
	s_wait_dscnt 0x0
	v_dual_mul_f32 v108, v105, v97 :: v_dual_mul_f32 v110, v105, v94
	s_delay_alu instid0(VALU_DEP_1) | instskip(NEXT) | instid1(VALU_DEP_2)
	v_pk_fma_f32 v[108:109], v[104:105], v[18:19], v[108:109] op_sel_hi:[1,1,0] neg_lo:[0,0,1] neg_hi:[0,0,1]
	v_pk_fma_f32 v[104:105], v[104:105], v[18:19], v[110:111] op_sel:[1,0,0] op_sel_hi:[0,1,0]
	s_delay_alu instid0(VALU_DEP_1) | instskip(SKIP_1) | instid1(VALU_DEP_2)
	v_mov_b32_e32 v109, v105
	v_pk_mul_f32 v[104:105], v[106:107], v[96:97] op_sel:[0,1]
	v_pk_add_f32 v[44:45], v[44:45], v[108:109] neg_lo:[0,1] neg_hi:[0,1]
	s_delay_alu instid0(VALU_DEP_2) | instskip(SKIP_1) | instid1(VALU_DEP_1)
	v_pk_fma_f32 v[108:109], v[106:107], v[94:95], v[104:105] op_sel:[0,0,1] op_sel_hi:[1,1,0] neg_lo:[0,0,1] neg_hi:[0,0,1]
	v_pk_fma_f32 v[104:105], v[106:107], v[94:95], v[104:105] op_sel:[0,0,1] op_sel_hi:[1,0,0]
	v_mov_b32_e32 v109, v105
	ds_load_2addr_b64 v[104:107], v98 offset0:32 offset1:33
	v_pk_add_f32 v[10:11], v[10:11], v[108:109] neg_lo:[0,1] neg_hi:[0,1]
	s_wait_dscnt 0x0
	v_pk_mul_f32 v[108:109], v[104:105], v[96:97] op_sel:[0,1]
	s_delay_alu instid0(VALU_DEP_1) | instskip(SKIP_1) | instid1(VALU_DEP_1)
	v_pk_fma_f32 v[110:111], v[104:105], v[94:95], v[108:109] op_sel:[0,0,1] op_sel_hi:[1,1,0] neg_lo:[0,0,1] neg_hi:[0,0,1]
	v_pk_fma_f32 v[104:105], v[104:105], v[94:95], v[108:109] op_sel:[0,0,1] op_sel_hi:[1,0,0]
	v_mov_b32_e32 v111, v105
	v_pk_mul_f32 v[104:105], v[106:107], v[96:97] op_sel:[0,1]
	s_delay_alu instid0(VALU_DEP_2) | instskip(NEXT) | instid1(VALU_DEP_2)
	v_pk_add_f32 v[40:41], v[40:41], v[110:111] neg_lo:[0,1] neg_hi:[0,1]
	v_pk_fma_f32 v[108:109], v[106:107], v[94:95], v[104:105] op_sel:[0,0,1] op_sel_hi:[1,1,0] neg_lo:[0,0,1] neg_hi:[0,0,1]
	v_pk_fma_f32 v[104:105], v[106:107], v[94:95], v[104:105] op_sel:[0,0,1] op_sel_hi:[1,0,0]
	s_delay_alu instid0(VALU_DEP_1) | instskip(SKIP_4) | instid1(VALU_DEP_1)
	v_mov_b32_e32 v109, v105
	ds_load_2addr_b64 v[104:107], v98 offset0:34 offset1:35
	v_pk_add_f32 v[36:37], v[36:37], v[108:109] neg_lo:[0,1] neg_hi:[0,1]
	s_wait_dscnt 0x0
	v_pk_mul_f32 v[108:109], v[104:105], v[96:97] op_sel:[0,1]
	v_pk_fma_f32 v[110:111], v[104:105], v[94:95], v[108:109] op_sel:[0,0,1] op_sel_hi:[1,1,0] neg_lo:[0,0,1] neg_hi:[0,0,1]
	v_pk_fma_f32 v[104:105], v[104:105], v[94:95], v[108:109] op_sel:[0,0,1] op_sel_hi:[1,0,0]
	v_dual_mul_f32 v108, v107, v97 :: v_dual_mov_b32 v104, v107
	s_delay_alu instid0(VALU_DEP_2) | instskip(NEXT) | instid1(VALU_DEP_2)
	v_dual_mov_b32 v111, v105 :: v_dual_mov_b32 v105, v106
	v_pk_fma_f32 v[108:109], v[106:107], v[18:19], v[108:109] op_sel_hi:[1,1,0] neg_lo:[0,0,1] neg_hi:[0,0,1]
	v_mul_f32_e32 v106, v107, v94
	s_delay_alu instid0(VALU_DEP_3) | instskip(NEXT) | instid1(VALU_DEP_2)
	v_pk_add_f32 v[38:39], v[38:39], v[110:111] neg_lo:[0,1] neg_hi:[0,1]
	v_pk_fma_f32 v[104:105], v[104:105], v[18:19], v[106:107] op_sel_hi:[1,1,0]
	s_delay_alu instid0(VALU_DEP_1) | instskip(SKIP_4) | instid1(VALU_DEP_1)
	v_mov_b32_e32 v109, v105
	ds_load_2addr_b64 v[104:107], v98 offset0:36 offset1:37
	v_pk_add_f32 v[6:7], v[6:7], v[108:109] neg_lo:[0,1] neg_hi:[0,1]
	s_wait_dscnt 0x0
	v_pk_mul_f32 v[108:109], v[104:105], v[96:97] op_sel:[0,1]
	v_pk_fma_f32 v[110:111], v[104:105], v[94:95], v[108:109] op_sel:[0,0,1] op_sel_hi:[1,1,0] neg_lo:[0,0,1] neg_hi:[0,0,1]
	v_pk_fma_f32 v[104:105], v[104:105], v[94:95], v[108:109] op_sel:[0,0,1] op_sel_hi:[1,0,0]
	s_delay_alu instid0(VALU_DEP_1) | instskip(SKIP_1) | instid1(VALU_DEP_1)
	v_mov_b32_e32 v111, v105
	v_pk_mul_f32 v[104:105], v[106:107], v[96:97] op_sel:[0,1]
	v_pk_fma_f32 v[108:109], v[106:107], v[94:95], v[104:105] op_sel:[0,0,1] op_sel_hi:[1,1,0] neg_lo:[0,0,1] neg_hi:[0,0,1]
	v_pk_fma_f32 v[104:105], v[106:107], v[94:95], v[104:105] op_sel:[0,0,1] op_sel_hi:[1,0,0]
	s_delay_alu instid0(VALU_DEP_1)
	v_mov_b32_e32 v109, v105
	ds_load_2addr_b64 v[104:107], v98 offset0:38 offset1:39
	v_pk_add_f32 v[34:35], v[34:35], v[110:111] neg_lo:[0,1] neg_hi:[0,1]
	v_pk_add_f32 v[30:31], v[30:31], v[108:109] neg_lo:[0,1] neg_hi:[0,1]
	s_wait_dscnt 0x0
	v_pk_mul_f32 v[108:109], v[104:105], v[96:97] op_sel:[0,1]
	s_delay_alu instid0(VALU_DEP_1) | instskip(SKIP_1) | instid1(VALU_DEP_1)
	v_pk_fma_f32 v[110:111], v[104:105], v[94:95], v[108:109] op_sel:[0,0,1] op_sel_hi:[1,1,0] neg_lo:[0,0,1] neg_hi:[0,0,1]
	v_pk_fma_f32 v[104:105], v[104:105], v[94:95], v[108:109] op_sel:[0,0,1] op_sel_hi:[1,0,0]
	v_mov_b32_e32 v111, v105
	v_pk_mul_f32 v[104:105], v[106:107], v[96:97] op_sel:[0,1]
	s_delay_alu instid0(VALU_DEP_1) | instskip(SKIP_1) | instid1(VALU_DEP_1)
	v_pk_fma_f32 v[108:109], v[106:107], v[94:95], v[104:105] op_sel:[0,0,1] op_sel_hi:[1,1,0] neg_lo:[0,0,1] neg_hi:[0,0,1]
	v_pk_fma_f32 v[104:105], v[106:107], v[94:95], v[104:105] op_sel:[0,0,1] op_sel_hi:[1,0,0]
	v_mov_b32_e32 v109, v105
	ds_load_2addr_b64 v[104:107], v98 offset0:40 offset1:41
	v_pk_add_f32 v[32:33], v[32:33], v[110:111] neg_lo:[0,1] neg_hi:[0,1]
	v_pk_add_f32 v[8:9], v[8:9], v[108:109] neg_lo:[0,1] neg_hi:[0,1]
	s_wait_dscnt 0x0
	v_dual_mul_f32 v108, v105, v97 :: v_dual_mul_f32 v110, v105, v94
	s_delay_alu instid0(VALU_DEP_1) | instskip(NEXT) | instid1(VALU_DEP_2)
	v_pk_fma_f32 v[108:109], v[104:105], v[18:19], v[108:109] op_sel_hi:[1,1,0] neg_lo:[0,0,1] neg_hi:[0,0,1]
	v_pk_fma_f32 v[104:105], v[104:105], v[18:19], v[110:111] op_sel:[1,0,0] op_sel_hi:[0,1,0]
	s_delay_alu instid0(VALU_DEP_1) | instskip(SKIP_1) | instid1(VALU_DEP_2)
	v_mov_b32_e32 v109, v105
	v_pk_mul_f32 v[104:105], v[106:107], v[96:97] op_sel:[0,1]
	v_pk_add_f32 v[28:29], v[28:29], v[108:109] neg_lo:[0,1] neg_hi:[0,1]
	s_delay_alu instid0(VALU_DEP_2) | instskip(SKIP_1) | instid1(VALU_DEP_1)
	v_pk_fma_f32 v[108:109], v[106:107], v[94:95], v[104:105] op_sel:[0,0,1] op_sel_hi:[1,1,0] neg_lo:[0,0,1] neg_hi:[0,0,1]
	v_pk_fma_f32 v[104:105], v[106:107], v[94:95], v[104:105] op_sel:[0,0,1] op_sel_hi:[1,0,0]
	v_mov_b32_e32 v109, v105
	ds_load_2addr_b64 v[104:107], v98 offset0:42 offset1:43
	v_pk_add_f32 v[20:21], v[20:21], v[108:109] neg_lo:[0,1] neg_hi:[0,1]
	s_wait_dscnt 0x0
	v_pk_mul_f32 v[108:109], v[104:105], v[96:97] op_sel:[0,1]
	v_pk_mul_f32 v[96:97], v[106:107], v[96:97] op_sel:[0,1]
	s_delay_alu instid0(VALU_DEP_2) | instskip(SKIP_1) | instid1(VALU_DEP_1)
	v_pk_fma_f32 v[110:111], v[104:105], v[94:95], v[108:109] op_sel:[0,0,1] op_sel_hi:[1,1,0] neg_lo:[0,0,1] neg_hi:[0,0,1]
	v_pk_fma_f32 v[104:105], v[104:105], v[94:95], v[108:109] op_sel:[0,0,1] op_sel_hi:[1,0,0]
	v_mov_b32_e32 v111, v105
	s_delay_alu instid0(VALU_DEP_4) | instskip(SKIP_1) | instid1(VALU_DEP_3)
	v_pk_fma_f32 v[104:105], v[106:107], v[94:95], v[96:97] op_sel:[0,0,1] op_sel_hi:[1,1,0] neg_lo:[0,0,1] neg_hi:[0,0,1]
	v_pk_fma_f32 v[94:95], v[106:107], v[94:95], v[96:97] op_sel:[0,0,1] op_sel_hi:[1,0,0]
	v_pk_add_f32 v[16:17], v[16:17], v[110:111] neg_lo:[0,1] neg_hi:[0,1]
	s_delay_alu instid0(VALU_DEP_2) | instskip(NEXT) | instid1(VALU_DEP_1)
	v_mov_b32_e32 v105, v95
	v_pk_add_f32 v[92:93], v[92:93], v[104:105] neg_lo:[0,1] neg_hi:[0,1]
.LBB86_251:
	s_or_b32 exec_lo, exec_lo, s0
	v_lshl_add_u32 v94, v102, 3, v98
	s_barrier_signal -1
	s_barrier_wait -1
	ds_store_b64 v94, v[82:83]
	s_wait_dscnt 0x0
	s_barrier_signal -1
	s_barrier_wait -1
	ds_load_b64 v[96:97], v98 offset:96
	v_mov_b32_e32 v94, 12
	s_cmp_lt_i32 s18, 14
	s_cbranch_scc1 .LBB86_254
; %bb.252:
	v_add3_u32 v95, v99, 0, 0x68
	v_mov_b32_e32 v94, 12
	s_mov_b32 s0, 13
.LBB86_253:                             ; =>This Inner Loop Header: Depth=1
	ds_load_b64 v[104:105], v95
	s_wait_dscnt 0x1
	v_cmp_gt_f32_e32 vcc_lo, 0, v96
	v_cndmask_b32_e64 v106, v96, -v96, vcc_lo
	v_cmp_gt_f32_e32 vcc_lo, 0, v97
	v_cndmask_b32_e64 v108, v97, -v97, vcc_lo
	s_wait_dscnt 0x0
	v_cmp_gt_f32_e32 vcc_lo, 0, v104
	v_cndmask_b32_e64 v107, v104, -v104, vcc_lo
	v_cmp_gt_f32_e32 vcc_lo, 0, v105
	v_cndmask_b32_e64 v109, v105, -v105, vcc_lo
	s_delay_alu instid0(VALU_DEP_1) | instskip(NEXT) | instid1(VALU_DEP_1)
	v_pk_add_f32 v[106:107], v[106:107], v[108:109]
	v_cmp_lt_f32_e32 vcc_lo, v106, v107
	v_dual_add_nc_u32 v95, 8, v95 :: v_dual_cndmask_b32 v97, v97, v105, vcc_lo
	v_cndmask_b32_e32 v96, v96, v104, vcc_lo
	v_cndmask_b32_e64 v94, v94, s0, vcc_lo
	s_add_co_i32 s0, s0, 1
	s_delay_alu instid0(SALU_CYCLE_1)
	s_cmp_lg_u32 s18, s0
	s_cbranch_scc1 .LBB86_253
.LBB86_254:
	s_wait_dscnt 0x0
	v_cmp_eq_f32_e32 vcc_lo, 0, v96
	v_cmp_eq_f32_e64 s0, 0, v97
	s_and_b32 s0, vcc_lo, s0
	s_delay_alu instid0(SALU_CYCLE_1) | instskip(NEXT) | instid1(SALU_CYCLE_1)
	s_and_saveexec_b32 s1, s0
	s_xor_b32 s0, exec_lo, s1
; %bb.255:
	v_cmp_ne_u32_e32 vcc_lo, 0, v100
	v_cndmask_b32_e32 v100, 13, v100, vcc_lo
; %bb.256:
	s_and_not1_saveexec_b32 s0, s0
	s_cbranch_execz .LBB86_262
; %bb.257:
	v_cmp_ngt_f32_e64 s1, |v96|, |v97|
	s_and_saveexec_b32 s12, s1
	s_delay_alu instid0(SALU_CYCLE_1)
	s_xor_b32 s1, exec_lo, s12
	s_cbranch_execz .LBB86_259
; %bb.258:
	v_div_scale_f32 v95, null, v97, v97, v96
	v_div_scale_f32 v105, vcc_lo, v96, v97, v96
	s_delay_alu instid0(VALU_DEP_2) | instskip(SKIP_1) | instid1(TRANS32_DEP_1)
	v_rcp_f32_e32 v103, v95
	v_nop
	v_fma_f32 v104, -v95, v103, 1.0
	s_delay_alu instid0(VALU_DEP_1) | instskip(NEXT) | instid1(VALU_DEP_1)
	v_fmac_f32_e32 v103, v104, v103
	v_mul_f32_e32 v104, v105, v103
	s_delay_alu instid0(VALU_DEP_1) | instskip(NEXT) | instid1(VALU_DEP_1)
	v_fma_f32 v106, -v95, v104, v105
	v_fmac_f32_e32 v104, v106, v103
	s_delay_alu instid0(VALU_DEP_1) | instskip(NEXT) | instid1(VALU_DEP_1)
	v_fma_f32 v95, -v95, v104, v105
	v_div_fmas_f32 v95, v95, v103, v104
	s_delay_alu instid0(VALU_DEP_1) | instskip(NEXT) | instid1(VALU_DEP_1)
	v_div_fixup_f32 v95, v95, v97, v96
	v_fmac_f32_e32 v97, v96, v95
	s_delay_alu instid0(VALU_DEP_1) | instskip(SKIP_1) | instid1(VALU_DEP_2)
	v_div_scale_f32 v96, null, v97, v97, 1.0
	v_div_scale_f32 v105, vcc_lo, 1.0, v97, 1.0
	v_rcp_f32_e32 v103, v96
	v_nop
	s_delay_alu instid0(TRANS32_DEP_1) | instskip(NEXT) | instid1(VALU_DEP_1)
	v_fma_f32 v104, -v96, v103, 1.0
	v_fmac_f32_e32 v103, v104, v103
	s_delay_alu instid0(VALU_DEP_1) | instskip(NEXT) | instid1(VALU_DEP_1)
	v_mul_f32_e32 v104, v105, v103
	v_fma_f32 v106, -v96, v104, v105
	s_delay_alu instid0(VALU_DEP_1) | instskip(NEXT) | instid1(VALU_DEP_1)
	v_fmac_f32_e32 v104, v106, v103
	v_fma_f32 v96, -v96, v104, v105
	s_delay_alu instid0(VALU_DEP_1) | instskip(NEXT) | instid1(VALU_DEP_1)
	v_div_fmas_f32 v96, v96, v103, v104
	v_div_fixup_f32 v97, v96, v97, 1.0
	s_delay_alu instid0(VALU_DEP_1)
	v_mul_f32_e32 v96, v95, v97
	v_xor_b32_e32 v97, 0x80000000, v97
.LBB86_259:
	s_and_not1_saveexec_b32 s1, s1
	s_cbranch_execz .LBB86_261
; %bb.260:
	s_delay_alu instid0(VALU_DEP_1) | instskip(SKIP_1) | instid1(VALU_DEP_2)
	v_div_scale_f32 v95, null, v96, v96, v97
	v_div_scale_f32 v105, vcc_lo, v97, v96, v97
	v_rcp_f32_e32 v103, v95
	v_nop
	s_delay_alu instid0(TRANS32_DEP_1) | instskip(NEXT) | instid1(VALU_DEP_1)
	v_fma_f32 v104, -v95, v103, 1.0
	v_fmac_f32_e32 v103, v104, v103
	s_delay_alu instid0(VALU_DEP_1) | instskip(NEXT) | instid1(VALU_DEP_1)
	v_mul_f32_e32 v104, v105, v103
	v_fma_f32 v106, -v95, v104, v105
	s_delay_alu instid0(VALU_DEP_1) | instskip(NEXT) | instid1(VALU_DEP_1)
	v_fmac_f32_e32 v104, v106, v103
	v_fma_f32 v95, -v95, v104, v105
	s_delay_alu instid0(VALU_DEP_1) | instskip(NEXT) | instid1(VALU_DEP_1)
	v_div_fmas_f32 v95, v95, v103, v104
	v_div_fixup_f32 v95, v95, v96, v97
	s_delay_alu instid0(VALU_DEP_1) | instskip(NEXT) | instid1(VALU_DEP_1)
	v_fmac_f32_e32 v96, v97, v95
	v_div_scale_f32 v97, null, v96, v96, 1.0
	s_delay_alu instid0(VALU_DEP_1) | instskip(SKIP_1) | instid1(TRANS32_DEP_1)
	v_rcp_f32_e32 v103, v97
	v_nop
	v_fma_f32 v104, -v97, v103, 1.0
	s_delay_alu instid0(VALU_DEP_1) | instskip(SKIP_1) | instid1(VALU_DEP_1)
	v_fmac_f32_e32 v103, v104, v103
	v_div_scale_f32 v104, vcc_lo, 1.0, v96, 1.0
	v_mul_f32_e32 v105, v104, v103
	s_delay_alu instid0(VALU_DEP_1) | instskip(NEXT) | instid1(VALU_DEP_1)
	v_fma_f32 v106, -v97, v105, v104
	v_fmac_f32_e32 v105, v106, v103
	s_delay_alu instid0(VALU_DEP_1) | instskip(NEXT) | instid1(VALU_DEP_1)
	v_fma_f32 v97, -v97, v105, v104
	v_div_fmas_f32 v97, v97, v103, v105
	s_delay_alu instid0(VALU_DEP_1) | instskip(NEXT) | instid1(VALU_DEP_1)
	v_div_fixup_f32 v96, v97, v96, 1.0
	v_mul_f32_e64 v97, v95, -v96
.LBB86_261:
	s_or_b32 exec_lo, exec_lo, s1
.LBB86_262:
	s_delay_alu instid0(SALU_CYCLE_1) | instskip(NEXT) | instid1(SALU_CYCLE_1)
	s_or_b32 exec_lo, exec_lo, s0
	s_mov_b32 s0, exec_lo
	v_cmpx_ne_u32_e64 v102, v94
	s_xor_b32 s0, exec_lo, s0
	s_cbranch_execz .LBB86_268
; %bb.263:
	s_mov_b32 s1, exec_lo
	v_cmpx_eq_u32_e32 12, v102
	s_cbranch_execz .LBB86_267
; %bb.264:
	v_cmp_ne_u32_e32 vcc_lo, 12, v94
	s_xor_b32 s12, s16, -1
	s_delay_alu instid0(SALU_CYCLE_1) | instskip(NEXT) | instid1(SALU_CYCLE_1)
	s_and_b32 s13, s12, vcc_lo
	s_and_saveexec_b32 s12, s13
	s_cbranch_execz .LBB86_266
; %bb.265:
	v_ashrrev_i32_e32 v95, 31, v94
	s_delay_alu instid0(VALU_DEP_1)
	v_lshl_add_u64 v[102:103], v[94:95], 2, v[4:5]
	s_clause 0x1
	global_load_b32 v95, v[102:103], off
	global_load_b32 v101, v[4:5], off offset:48
	s_wait_loadcnt 0x1
	global_store_b32 v[4:5], v95, off offset:48
	s_wait_loadcnt 0x0
	global_store_b32 v[102:103], v101, off
.LBB86_266:
	s_wait_xcnt 0x0
	s_or_b32 exec_lo, exec_lo, s12
	v_dual_mov_b32 v102, v94 :: v_dual_mov_b32 v101, v94
.LBB86_267:
	s_or_b32 exec_lo, exec_lo, s1
.LBB86_268:
	s_and_not1_saveexec_b32 s0, s0
	s_cbranch_execz .LBB86_270
; %bb.269:
	v_mov_b32_e32 v102, 12
	ds_store_2addr_b64 v98, v[78:79], v[80:81] offset0:13 offset1:14
	ds_store_2addr_b64 v98, v[26:27], v[76:77] offset0:15 offset1:16
	;; [unrolled: 1-line block ×15, first 2 shown]
	ds_store_b64 v98, v[92:93] offset:344
.LBB86_270:
	s_or_b32 exec_lo, exec_lo, s0
	s_delay_alu instid0(SALU_CYCLE_1)
	s_mov_b32 s0, exec_lo
	s_wait_storecnt_dscnt 0x0
	s_barrier_signal -1
	s_barrier_wait -1
	v_cmpx_lt_i32_e32 12, v102
	s_cbranch_execz .LBB86_272
; %bb.271:
	v_pk_mul_f32 v[104:105], v[96:97], v[82:83] op_sel:[1,1] op_sel_hi:[0,1]
	s_delay_alu instid0(VALU_DEP_1)
	v_pk_fma_f32 v[94:95], v[96:97], v[82:83], v[104:105] op_sel_hi:[1,0,1] neg_lo:[0,0,1] neg_hi:[0,0,1]
	v_pk_fma_f32 v[96:97], v[96:97], v[82:83], v[104:105] op_sel_hi:[1,0,1]
	ds_load_2addr_b64 v[104:107], v98 offset0:13 offset1:14
	v_dual_mov_b32 v82, v94 :: v_dual_mov_b32 v83, v97
	s_wait_dscnt 0x0
	v_pk_mul_f32 v[108:109], v[104:105], v[96:97] op_sel:[0,1]
	s_delay_alu instid0(VALU_DEP_1) | instskip(SKIP_1) | instid1(VALU_DEP_1)
	v_pk_fma_f32 v[110:111], v[104:105], v[94:95], v[108:109] op_sel:[0,0,1] op_sel_hi:[1,1,0] neg_lo:[0,0,1] neg_hi:[0,0,1]
	v_pk_fma_f32 v[104:105], v[104:105], v[94:95], v[108:109] op_sel:[0,0,1] op_sel_hi:[1,0,0]
	v_mov_b32_e32 v111, v105
	v_pk_mul_f32 v[104:105], v[106:107], v[96:97] op_sel:[0,1]
	s_delay_alu instid0(VALU_DEP_1) | instskip(SKIP_1) | instid1(VALU_DEP_1)
	v_pk_fma_f32 v[108:109], v[106:107], v[94:95], v[104:105] op_sel:[0,0,1] op_sel_hi:[1,1,0] neg_lo:[0,0,1] neg_hi:[0,0,1]
	v_pk_fma_f32 v[104:105], v[106:107], v[94:95], v[104:105] op_sel:[0,0,1] op_sel_hi:[1,0,0]
	v_mov_b32_e32 v109, v105
	ds_load_2addr_b64 v[104:107], v98 offset0:15 offset1:16
	v_pk_add_f32 v[78:79], v[78:79], v[110:111] neg_lo:[0,1] neg_hi:[0,1]
	v_pk_add_f32 v[80:81], v[80:81], v[108:109] neg_lo:[0,1] neg_hi:[0,1]
	s_wait_dscnt 0x0
	v_pk_mul_f32 v[108:109], v[104:105], v[96:97] op_sel:[0,1]
	s_delay_alu instid0(VALU_DEP_1) | instskip(SKIP_2) | instid1(VALU_DEP_2)
	v_pk_fma_f32 v[110:111], v[104:105], v[94:95], v[108:109] op_sel:[0,0,1] op_sel_hi:[1,1,0] neg_lo:[0,0,1] neg_hi:[0,0,1]
	v_pk_fma_f32 v[104:105], v[104:105], v[94:95], v[108:109] op_sel:[0,0,1] op_sel_hi:[1,0,0]
	v_dual_mul_f32 v108, v107, v97 :: v_dual_mov_b32 v104, v107
	v_dual_mov_b32 v111, v105 :: v_dual_mov_b32 v105, v106
	s_delay_alu instid0(VALU_DEP_2) | instskip(SKIP_1) | instid1(VALU_DEP_3)
	v_pk_fma_f32 v[108:109], v[106:107], v[82:83], v[108:109] op_sel_hi:[1,1,0] neg_lo:[0,0,1] neg_hi:[0,0,1]
	v_mul_f32_e32 v106, v107, v94
	v_pk_add_f32 v[26:27], v[26:27], v[110:111] neg_lo:[0,1] neg_hi:[0,1]
	s_delay_alu instid0(VALU_DEP_2) | instskip(NEXT) | instid1(VALU_DEP_1)
	v_pk_fma_f32 v[104:105], v[104:105], v[82:83], v[106:107] op_sel_hi:[1,1,0]
	v_mov_b32_e32 v109, v105
	ds_load_2addr_b64 v[104:107], v98 offset0:17 offset1:18
	v_pk_add_f32 v[76:77], v[76:77], v[108:109] neg_lo:[0,1] neg_hi:[0,1]
	s_wait_dscnt 0x0
	v_pk_mul_f32 v[108:109], v[104:105], v[96:97] op_sel:[0,1]
	s_delay_alu instid0(VALU_DEP_1) | instskip(SKIP_1) | instid1(VALU_DEP_1)
	v_pk_fma_f32 v[110:111], v[104:105], v[94:95], v[108:109] op_sel:[0,0,1] op_sel_hi:[1,1,0] neg_lo:[0,0,1] neg_hi:[0,0,1]
	v_pk_fma_f32 v[104:105], v[104:105], v[94:95], v[108:109] op_sel:[0,0,1] op_sel_hi:[1,0,0]
	v_mov_b32_e32 v111, v105
	v_pk_mul_f32 v[104:105], v[106:107], v[96:97] op_sel:[0,1]
	s_delay_alu instid0(VALU_DEP_1) | instskip(SKIP_1) | instid1(VALU_DEP_1)
	v_pk_fma_f32 v[108:109], v[106:107], v[94:95], v[104:105] op_sel:[0,0,1] op_sel_hi:[1,1,0] neg_lo:[0,0,1] neg_hi:[0,0,1]
	v_pk_fma_f32 v[104:105], v[106:107], v[94:95], v[104:105] op_sel:[0,0,1] op_sel_hi:[1,0,0]
	v_mov_b32_e32 v109, v105
	ds_load_2addr_b64 v[104:107], v98 offset0:19 offset1:20
	v_pk_add_f32 v[72:73], v[72:73], v[110:111] neg_lo:[0,1] neg_hi:[0,1]
	v_pk_add_f32 v[74:75], v[74:75], v[108:109] neg_lo:[0,1] neg_hi:[0,1]
	s_wait_dscnt 0x0
	v_pk_mul_f32 v[108:109], v[104:105], v[96:97] op_sel:[0,1]
	s_delay_alu instid0(VALU_DEP_1) | instskip(SKIP_1) | instid1(VALU_DEP_1)
	v_pk_fma_f32 v[110:111], v[104:105], v[94:95], v[108:109] op_sel:[0,0,1] op_sel_hi:[1,1,0] neg_lo:[0,0,1] neg_hi:[0,0,1]
	v_pk_fma_f32 v[104:105], v[104:105], v[94:95], v[108:109] op_sel:[0,0,1] op_sel_hi:[1,0,0]
	v_mov_b32_e32 v111, v105
	v_pk_mul_f32 v[104:105], v[106:107], v[96:97] op_sel:[0,1]
	s_delay_alu instid0(VALU_DEP_1) | instskip(SKIP_1) | instid1(VALU_DEP_1)
	v_pk_fma_f32 v[108:109], v[106:107], v[94:95], v[104:105] op_sel:[0,0,1] op_sel_hi:[1,1,0] neg_lo:[0,0,1] neg_hi:[0,0,1]
	v_pk_fma_f32 v[104:105], v[106:107], v[94:95], v[104:105] op_sel:[0,0,1] op_sel_hi:[1,0,0]
	v_mov_b32_e32 v109, v105
	ds_load_2addr_b64 v[104:107], v98 offset0:21 offset1:22
	v_pk_add_f32 v[24:25], v[24:25], v[110:111] neg_lo:[0,1] neg_hi:[0,1]
	v_pk_add_f32 v[70:71], v[70:71], v[108:109] neg_lo:[0,1] neg_hi:[0,1]
	s_wait_dscnt 0x0
	v_dual_mul_f32 v108, v105, v97 :: v_dual_mul_f32 v110, v105, v94
	s_delay_alu instid0(VALU_DEP_1) | instskip(NEXT) | instid1(VALU_DEP_2)
	v_pk_fma_f32 v[108:109], v[104:105], v[82:83], v[108:109] op_sel_hi:[1,1,0] neg_lo:[0,0,1] neg_hi:[0,0,1]
	v_pk_fma_f32 v[104:105], v[104:105], v[82:83], v[110:111] op_sel:[1,0,0] op_sel_hi:[0,1,0]
	s_delay_alu instid0(VALU_DEP_1) | instskip(SKIP_1) | instid1(VALU_DEP_2)
	v_mov_b32_e32 v109, v105
	v_pk_mul_f32 v[104:105], v[106:107], v[96:97] op_sel:[0,1]
	v_pk_add_f32 v[66:67], v[66:67], v[108:109] neg_lo:[0,1] neg_hi:[0,1]
	s_delay_alu instid0(VALU_DEP_2) | instskip(SKIP_1) | instid1(VALU_DEP_1)
	v_pk_fma_f32 v[108:109], v[106:107], v[94:95], v[104:105] op_sel:[0,0,1] op_sel_hi:[1,1,0] neg_lo:[0,0,1] neg_hi:[0,0,1]
	v_pk_fma_f32 v[104:105], v[106:107], v[94:95], v[104:105] op_sel:[0,0,1] op_sel_hi:[1,0,0]
	v_mov_b32_e32 v109, v105
	ds_load_2addr_b64 v[104:107], v98 offset0:23 offset1:24
	v_pk_add_f32 v[68:69], v[68:69], v[108:109] neg_lo:[0,1] neg_hi:[0,1]
	s_wait_dscnt 0x0
	v_pk_mul_f32 v[108:109], v[104:105], v[96:97] op_sel:[0,1]
	s_delay_alu instid0(VALU_DEP_1) | instskip(SKIP_1) | instid1(VALU_DEP_1)
	v_pk_fma_f32 v[110:111], v[104:105], v[94:95], v[108:109] op_sel:[0,0,1] op_sel_hi:[1,1,0] neg_lo:[0,0,1] neg_hi:[0,0,1]
	v_pk_fma_f32 v[104:105], v[104:105], v[94:95], v[108:109] op_sel:[0,0,1] op_sel_hi:[1,0,0]
	v_mov_b32_e32 v111, v105
	v_pk_mul_f32 v[104:105], v[106:107], v[96:97] op_sel:[0,1]
	s_delay_alu instid0(VALU_DEP_2) | instskip(NEXT) | instid1(VALU_DEP_2)
	v_pk_add_f32 v[22:23], v[22:23], v[110:111] neg_lo:[0,1] neg_hi:[0,1]
	v_pk_fma_f32 v[108:109], v[106:107], v[94:95], v[104:105] op_sel:[0,0,1] op_sel_hi:[1,1,0] neg_lo:[0,0,1] neg_hi:[0,0,1]
	v_pk_fma_f32 v[104:105], v[106:107], v[94:95], v[104:105] op_sel:[0,0,1] op_sel_hi:[1,0,0]
	s_delay_alu instid0(VALU_DEP_1) | instskip(SKIP_4) | instid1(VALU_DEP_1)
	v_mov_b32_e32 v109, v105
	ds_load_2addr_b64 v[104:107], v98 offset0:25 offset1:26
	v_pk_add_f32 v[54:55], v[54:55], v[108:109] neg_lo:[0,1] neg_hi:[0,1]
	s_wait_dscnt 0x0
	v_pk_mul_f32 v[108:109], v[104:105], v[96:97] op_sel:[0,1]
	v_pk_fma_f32 v[110:111], v[104:105], v[94:95], v[108:109] op_sel:[0,0,1] op_sel_hi:[1,1,0] neg_lo:[0,0,1] neg_hi:[0,0,1]
	v_pk_fma_f32 v[104:105], v[104:105], v[94:95], v[108:109] op_sel:[0,0,1] op_sel_hi:[1,0,0]
	v_dual_mul_f32 v108, v107, v97 :: v_dual_mov_b32 v104, v107
	s_delay_alu instid0(VALU_DEP_2) | instskip(NEXT) | instid1(VALU_DEP_2)
	v_dual_mov_b32 v111, v105 :: v_dual_mov_b32 v105, v106
	v_pk_fma_f32 v[108:109], v[106:107], v[82:83], v[108:109] op_sel_hi:[1,1,0] neg_lo:[0,0,1] neg_hi:[0,0,1]
	v_mul_f32_e32 v106, v107, v94
	s_delay_alu instid0(VALU_DEP_3) | instskip(NEXT) | instid1(VALU_DEP_2)
	v_pk_add_f32 v[48:49], v[48:49], v[110:111] neg_lo:[0,1] neg_hi:[0,1]
	v_pk_fma_f32 v[104:105], v[104:105], v[82:83], v[106:107] op_sel_hi:[1,1,0]
	s_delay_alu instid0(VALU_DEP_1) | instskip(SKIP_4) | instid1(VALU_DEP_1)
	v_mov_b32_e32 v109, v105
	ds_load_2addr_b64 v[104:107], v98 offset0:27 offset1:28
	v_pk_add_f32 v[52:53], v[52:53], v[108:109] neg_lo:[0,1] neg_hi:[0,1]
	s_wait_dscnt 0x0
	v_pk_mul_f32 v[108:109], v[104:105], v[96:97] op_sel:[0,1]
	v_pk_fma_f32 v[110:111], v[104:105], v[94:95], v[108:109] op_sel:[0,0,1] op_sel_hi:[1,1,0] neg_lo:[0,0,1] neg_hi:[0,0,1]
	v_pk_fma_f32 v[104:105], v[104:105], v[94:95], v[108:109] op_sel:[0,0,1] op_sel_hi:[1,0,0]
	s_delay_alu instid0(VALU_DEP_1) | instskip(SKIP_1) | instid1(VALU_DEP_1)
	v_mov_b32_e32 v111, v105
	v_pk_mul_f32 v[104:105], v[106:107], v[96:97] op_sel:[0,1]
	v_pk_fma_f32 v[108:109], v[106:107], v[94:95], v[104:105] op_sel:[0,0,1] op_sel_hi:[1,1,0] neg_lo:[0,0,1] neg_hi:[0,0,1]
	v_pk_fma_f32 v[104:105], v[106:107], v[94:95], v[104:105] op_sel:[0,0,1] op_sel_hi:[1,0,0]
	s_delay_alu instid0(VALU_DEP_1)
	v_mov_b32_e32 v109, v105
	ds_load_2addr_b64 v[104:107], v98 offset0:29 offset1:30
	v_pk_add_f32 v[12:13], v[12:13], v[110:111] neg_lo:[0,1] neg_hi:[0,1]
	v_pk_add_f32 v[46:47], v[46:47], v[108:109] neg_lo:[0,1] neg_hi:[0,1]
	s_wait_dscnt 0x0
	v_pk_mul_f32 v[108:109], v[104:105], v[96:97] op_sel:[0,1]
	s_delay_alu instid0(VALU_DEP_1) | instskip(SKIP_1) | instid1(VALU_DEP_1)
	v_pk_fma_f32 v[110:111], v[104:105], v[94:95], v[108:109] op_sel:[0,0,1] op_sel_hi:[1,1,0] neg_lo:[0,0,1] neg_hi:[0,0,1]
	v_pk_fma_f32 v[104:105], v[104:105], v[94:95], v[108:109] op_sel:[0,0,1] op_sel_hi:[1,0,0]
	v_mov_b32_e32 v111, v105
	v_pk_mul_f32 v[104:105], v[106:107], v[96:97] op_sel:[0,1]
	s_delay_alu instid0(VALU_DEP_1) | instskip(SKIP_1) | instid1(VALU_DEP_1)
	v_pk_fma_f32 v[108:109], v[106:107], v[94:95], v[104:105] op_sel:[0,0,1] op_sel_hi:[1,1,0] neg_lo:[0,0,1] neg_hi:[0,0,1]
	v_pk_fma_f32 v[104:105], v[106:107], v[94:95], v[104:105] op_sel:[0,0,1] op_sel_hi:[1,0,0]
	v_mov_b32_e32 v109, v105
	ds_load_2addr_b64 v[104:107], v98 offset0:31 offset1:32
	v_pk_add_f32 v[42:43], v[42:43], v[110:111] neg_lo:[0,1] neg_hi:[0,1]
	v_pk_add_f32 v[44:45], v[44:45], v[108:109] neg_lo:[0,1] neg_hi:[0,1]
	s_wait_dscnt 0x0
	v_dual_mul_f32 v108, v105, v97 :: v_dual_mul_f32 v110, v105, v94
	s_delay_alu instid0(VALU_DEP_1) | instskip(NEXT) | instid1(VALU_DEP_2)
	v_pk_fma_f32 v[108:109], v[104:105], v[82:83], v[108:109] op_sel_hi:[1,1,0] neg_lo:[0,0,1] neg_hi:[0,0,1]
	v_pk_fma_f32 v[104:105], v[104:105], v[82:83], v[110:111] op_sel:[1,0,0] op_sel_hi:[0,1,0]
	s_delay_alu instid0(VALU_DEP_1) | instskip(SKIP_1) | instid1(VALU_DEP_2)
	v_mov_b32_e32 v109, v105
	v_pk_mul_f32 v[104:105], v[106:107], v[96:97] op_sel:[0,1]
	v_pk_add_f32 v[10:11], v[10:11], v[108:109] neg_lo:[0,1] neg_hi:[0,1]
	s_delay_alu instid0(VALU_DEP_2) | instskip(SKIP_1) | instid1(VALU_DEP_1)
	v_pk_fma_f32 v[108:109], v[106:107], v[94:95], v[104:105] op_sel:[0,0,1] op_sel_hi:[1,1,0] neg_lo:[0,0,1] neg_hi:[0,0,1]
	v_pk_fma_f32 v[104:105], v[106:107], v[94:95], v[104:105] op_sel:[0,0,1] op_sel_hi:[1,0,0]
	v_mov_b32_e32 v109, v105
	ds_load_2addr_b64 v[104:107], v98 offset0:33 offset1:34
	v_pk_add_f32 v[40:41], v[40:41], v[108:109] neg_lo:[0,1] neg_hi:[0,1]
	s_wait_dscnt 0x0
	v_pk_mul_f32 v[108:109], v[104:105], v[96:97] op_sel:[0,1]
	s_delay_alu instid0(VALU_DEP_1) | instskip(SKIP_1) | instid1(VALU_DEP_1)
	v_pk_fma_f32 v[110:111], v[104:105], v[94:95], v[108:109] op_sel:[0,0,1] op_sel_hi:[1,1,0] neg_lo:[0,0,1] neg_hi:[0,0,1]
	v_pk_fma_f32 v[104:105], v[104:105], v[94:95], v[108:109] op_sel:[0,0,1] op_sel_hi:[1,0,0]
	v_mov_b32_e32 v111, v105
	v_pk_mul_f32 v[104:105], v[106:107], v[96:97] op_sel:[0,1]
	s_delay_alu instid0(VALU_DEP_2) | instskip(NEXT) | instid1(VALU_DEP_2)
	v_pk_add_f32 v[36:37], v[36:37], v[110:111] neg_lo:[0,1] neg_hi:[0,1]
	v_pk_fma_f32 v[108:109], v[106:107], v[94:95], v[104:105] op_sel:[0,0,1] op_sel_hi:[1,1,0] neg_lo:[0,0,1] neg_hi:[0,0,1]
	v_pk_fma_f32 v[104:105], v[106:107], v[94:95], v[104:105] op_sel:[0,0,1] op_sel_hi:[1,0,0]
	s_delay_alu instid0(VALU_DEP_1) | instskip(SKIP_4) | instid1(VALU_DEP_1)
	v_mov_b32_e32 v109, v105
	ds_load_2addr_b64 v[104:107], v98 offset0:35 offset1:36
	v_pk_add_f32 v[38:39], v[38:39], v[108:109] neg_lo:[0,1] neg_hi:[0,1]
	s_wait_dscnt 0x0
	v_pk_mul_f32 v[108:109], v[104:105], v[96:97] op_sel:[0,1]
	v_pk_fma_f32 v[110:111], v[104:105], v[94:95], v[108:109] op_sel:[0,0,1] op_sel_hi:[1,1,0] neg_lo:[0,0,1] neg_hi:[0,0,1]
	v_pk_fma_f32 v[104:105], v[104:105], v[94:95], v[108:109] op_sel:[0,0,1] op_sel_hi:[1,0,0]
	v_dual_mul_f32 v108, v107, v97 :: v_dual_mov_b32 v104, v107
	s_delay_alu instid0(VALU_DEP_2) | instskip(NEXT) | instid1(VALU_DEP_2)
	v_dual_mov_b32 v111, v105 :: v_dual_mov_b32 v105, v106
	v_pk_fma_f32 v[108:109], v[106:107], v[82:83], v[108:109] op_sel_hi:[1,1,0] neg_lo:[0,0,1] neg_hi:[0,0,1]
	v_mul_f32_e32 v106, v107, v94
	s_delay_alu instid0(VALU_DEP_3) | instskip(NEXT) | instid1(VALU_DEP_2)
	v_pk_add_f32 v[6:7], v[6:7], v[110:111] neg_lo:[0,1] neg_hi:[0,1]
	v_pk_fma_f32 v[104:105], v[104:105], v[82:83], v[106:107] op_sel_hi:[1,1,0]
	s_delay_alu instid0(VALU_DEP_1) | instskip(SKIP_4) | instid1(VALU_DEP_1)
	v_mov_b32_e32 v109, v105
	ds_load_2addr_b64 v[104:107], v98 offset0:37 offset1:38
	v_pk_add_f32 v[34:35], v[34:35], v[108:109] neg_lo:[0,1] neg_hi:[0,1]
	s_wait_dscnt 0x0
	v_pk_mul_f32 v[108:109], v[104:105], v[96:97] op_sel:[0,1]
	v_pk_fma_f32 v[110:111], v[104:105], v[94:95], v[108:109] op_sel:[0,0,1] op_sel_hi:[1,1,0] neg_lo:[0,0,1] neg_hi:[0,0,1]
	v_pk_fma_f32 v[104:105], v[104:105], v[94:95], v[108:109] op_sel:[0,0,1] op_sel_hi:[1,0,0]
	s_delay_alu instid0(VALU_DEP_1) | instskip(SKIP_1) | instid1(VALU_DEP_1)
	v_mov_b32_e32 v111, v105
	v_pk_mul_f32 v[104:105], v[106:107], v[96:97] op_sel:[0,1]
	v_pk_fma_f32 v[108:109], v[106:107], v[94:95], v[104:105] op_sel:[0,0,1] op_sel_hi:[1,1,0] neg_lo:[0,0,1] neg_hi:[0,0,1]
	v_pk_fma_f32 v[104:105], v[106:107], v[94:95], v[104:105] op_sel:[0,0,1] op_sel_hi:[1,0,0]
	s_delay_alu instid0(VALU_DEP_1)
	v_mov_b32_e32 v109, v105
	ds_load_2addr_b64 v[104:107], v98 offset0:39 offset1:40
	v_pk_add_f32 v[30:31], v[30:31], v[110:111] neg_lo:[0,1] neg_hi:[0,1]
	v_pk_add_f32 v[32:33], v[32:33], v[108:109] neg_lo:[0,1] neg_hi:[0,1]
	s_wait_dscnt 0x0
	v_pk_mul_f32 v[108:109], v[104:105], v[96:97] op_sel:[0,1]
	s_delay_alu instid0(VALU_DEP_1) | instskip(SKIP_1) | instid1(VALU_DEP_1)
	v_pk_fma_f32 v[110:111], v[104:105], v[94:95], v[108:109] op_sel:[0,0,1] op_sel_hi:[1,1,0] neg_lo:[0,0,1] neg_hi:[0,0,1]
	v_pk_fma_f32 v[104:105], v[104:105], v[94:95], v[108:109] op_sel:[0,0,1] op_sel_hi:[1,0,0]
	v_mov_b32_e32 v111, v105
	v_pk_mul_f32 v[104:105], v[106:107], v[96:97] op_sel:[0,1]
	s_delay_alu instid0(VALU_DEP_1) | instskip(SKIP_1) | instid1(VALU_DEP_1)
	v_pk_fma_f32 v[108:109], v[106:107], v[94:95], v[104:105] op_sel:[0,0,1] op_sel_hi:[1,1,0] neg_lo:[0,0,1] neg_hi:[0,0,1]
	v_pk_fma_f32 v[104:105], v[106:107], v[94:95], v[104:105] op_sel:[0,0,1] op_sel_hi:[1,0,0]
	v_mov_b32_e32 v109, v105
	ds_load_2addr_b64 v[104:107], v98 offset0:41 offset1:42
	v_pk_add_f32 v[8:9], v[8:9], v[110:111] neg_lo:[0,1] neg_hi:[0,1]
	v_pk_add_f32 v[28:29], v[28:29], v[108:109] neg_lo:[0,1] neg_hi:[0,1]
	s_wait_dscnt 0x0
	v_dual_mul_f32 v108, v105, v97 :: v_dual_mul_f32 v110, v105, v94
	s_delay_alu instid0(VALU_DEP_1) | instskip(NEXT) | instid1(VALU_DEP_2)
	v_pk_fma_f32 v[108:109], v[104:105], v[82:83], v[108:109] op_sel_hi:[1,1,0] neg_lo:[0,0,1] neg_hi:[0,0,1]
	v_pk_fma_f32 v[104:105], v[104:105], v[82:83], v[110:111] op_sel:[1,0,0] op_sel_hi:[0,1,0]
	s_delay_alu instid0(VALU_DEP_1) | instskip(SKIP_1) | instid1(VALU_DEP_2)
	v_mov_b32_e32 v109, v105
	v_pk_mul_f32 v[104:105], v[106:107], v[96:97] op_sel:[0,1]
	v_pk_add_f32 v[20:21], v[20:21], v[108:109] neg_lo:[0,1] neg_hi:[0,1]
	s_delay_alu instid0(VALU_DEP_2) | instskip(SKIP_1) | instid1(VALU_DEP_1)
	v_pk_fma_f32 v[108:109], v[106:107], v[94:95], v[104:105] op_sel:[0,0,1] op_sel_hi:[1,1,0] neg_lo:[0,0,1] neg_hi:[0,0,1]
	v_pk_fma_f32 v[104:105], v[106:107], v[94:95], v[104:105] op_sel:[0,0,1] op_sel_hi:[1,0,0]
	v_mov_b32_e32 v109, v105
	ds_load_b64 v[104:105], v98 offset:344
	v_pk_add_f32 v[16:17], v[16:17], v[108:109] neg_lo:[0,1] neg_hi:[0,1]
	s_wait_dscnt 0x0
	v_pk_mul_f32 v[96:97], v[104:105], v[96:97] op_sel:[0,1]
	s_delay_alu instid0(VALU_DEP_1) | instskip(SKIP_1) | instid1(VALU_DEP_1)
	v_pk_fma_f32 v[106:107], v[104:105], v[94:95], v[96:97] op_sel:[0,0,1] op_sel_hi:[1,1,0] neg_lo:[0,0,1] neg_hi:[0,0,1]
	v_pk_fma_f32 v[94:95], v[104:105], v[94:95], v[96:97] op_sel:[0,0,1] op_sel_hi:[1,0,0]
	v_mov_b32_e32 v107, v95
	s_delay_alu instid0(VALU_DEP_1)
	v_pk_add_f32 v[92:93], v[92:93], v[106:107] neg_lo:[0,1] neg_hi:[0,1]
.LBB86_272:
	s_or_b32 exec_lo, exec_lo, s0
	v_lshl_add_u32 v94, v102, 3, v98
	s_barrier_signal -1
	s_barrier_wait -1
	ds_store_b64 v94, v[78:79]
	s_wait_dscnt 0x0
	s_barrier_signal -1
	s_barrier_wait -1
	ds_load_b64 v[96:97], v98 offset:104
	v_mov_b32_e32 v94, 13
	s_cmp_lt_i32 s18, 15
	s_cbranch_scc1 .LBB86_275
; %bb.273:
	v_add3_u32 v95, v99, 0, 0x70
	v_mov_b32_e32 v94, 13
	s_mov_b32 s0, 14
.LBB86_274:                             ; =>This Inner Loop Header: Depth=1
	ds_load_b64 v[104:105], v95
	s_wait_dscnt 0x1
	v_cmp_gt_f32_e32 vcc_lo, 0, v96
	v_cndmask_b32_e64 v106, v96, -v96, vcc_lo
	v_cmp_gt_f32_e32 vcc_lo, 0, v97
	v_cndmask_b32_e64 v108, v97, -v97, vcc_lo
	s_wait_dscnt 0x0
	v_cmp_gt_f32_e32 vcc_lo, 0, v104
	v_cndmask_b32_e64 v107, v104, -v104, vcc_lo
	v_cmp_gt_f32_e32 vcc_lo, 0, v105
	v_cndmask_b32_e64 v109, v105, -v105, vcc_lo
	s_delay_alu instid0(VALU_DEP_1) | instskip(NEXT) | instid1(VALU_DEP_1)
	v_pk_add_f32 v[106:107], v[106:107], v[108:109]
	v_cmp_lt_f32_e32 vcc_lo, v106, v107
	v_dual_add_nc_u32 v95, 8, v95 :: v_dual_cndmask_b32 v97, v97, v105, vcc_lo
	v_cndmask_b32_e32 v96, v96, v104, vcc_lo
	v_cndmask_b32_e64 v94, v94, s0, vcc_lo
	s_add_co_i32 s0, s0, 1
	s_delay_alu instid0(SALU_CYCLE_1)
	s_cmp_lg_u32 s18, s0
	s_cbranch_scc1 .LBB86_274
.LBB86_275:
	s_wait_dscnt 0x0
	v_cmp_eq_f32_e32 vcc_lo, 0, v96
	v_cmp_eq_f32_e64 s0, 0, v97
	s_and_b32 s0, vcc_lo, s0
	s_delay_alu instid0(SALU_CYCLE_1) | instskip(NEXT) | instid1(SALU_CYCLE_1)
	s_and_saveexec_b32 s1, s0
	s_xor_b32 s0, exec_lo, s1
; %bb.276:
	v_cmp_ne_u32_e32 vcc_lo, 0, v100
	v_cndmask_b32_e32 v100, 14, v100, vcc_lo
; %bb.277:
	s_and_not1_saveexec_b32 s0, s0
	s_cbranch_execz .LBB86_283
; %bb.278:
	v_cmp_ngt_f32_e64 s1, |v96|, |v97|
	s_and_saveexec_b32 s12, s1
	s_delay_alu instid0(SALU_CYCLE_1)
	s_xor_b32 s1, exec_lo, s12
	s_cbranch_execz .LBB86_280
; %bb.279:
	v_div_scale_f32 v95, null, v97, v97, v96
	v_div_scale_f32 v105, vcc_lo, v96, v97, v96
	s_delay_alu instid0(VALU_DEP_2) | instskip(SKIP_1) | instid1(TRANS32_DEP_1)
	v_rcp_f32_e32 v103, v95
	v_nop
	v_fma_f32 v104, -v95, v103, 1.0
	s_delay_alu instid0(VALU_DEP_1) | instskip(NEXT) | instid1(VALU_DEP_1)
	v_fmac_f32_e32 v103, v104, v103
	v_mul_f32_e32 v104, v105, v103
	s_delay_alu instid0(VALU_DEP_1) | instskip(NEXT) | instid1(VALU_DEP_1)
	v_fma_f32 v106, -v95, v104, v105
	v_fmac_f32_e32 v104, v106, v103
	s_delay_alu instid0(VALU_DEP_1) | instskip(NEXT) | instid1(VALU_DEP_1)
	v_fma_f32 v95, -v95, v104, v105
	v_div_fmas_f32 v95, v95, v103, v104
	s_delay_alu instid0(VALU_DEP_1) | instskip(NEXT) | instid1(VALU_DEP_1)
	v_div_fixup_f32 v95, v95, v97, v96
	v_fmac_f32_e32 v97, v96, v95
	s_delay_alu instid0(VALU_DEP_1) | instskip(SKIP_1) | instid1(VALU_DEP_2)
	v_div_scale_f32 v96, null, v97, v97, 1.0
	v_div_scale_f32 v105, vcc_lo, 1.0, v97, 1.0
	v_rcp_f32_e32 v103, v96
	v_nop
	s_delay_alu instid0(TRANS32_DEP_1) | instskip(NEXT) | instid1(VALU_DEP_1)
	v_fma_f32 v104, -v96, v103, 1.0
	v_fmac_f32_e32 v103, v104, v103
	s_delay_alu instid0(VALU_DEP_1) | instskip(NEXT) | instid1(VALU_DEP_1)
	v_mul_f32_e32 v104, v105, v103
	v_fma_f32 v106, -v96, v104, v105
	s_delay_alu instid0(VALU_DEP_1) | instskip(NEXT) | instid1(VALU_DEP_1)
	v_fmac_f32_e32 v104, v106, v103
	v_fma_f32 v96, -v96, v104, v105
	s_delay_alu instid0(VALU_DEP_1) | instskip(NEXT) | instid1(VALU_DEP_1)
	v_div_fmas_f32 v96, v96, v103, v104
	v_div_fixup_f32 v97, v96, v97, 1.0
	s_delay_alu instid0(VALU_DEP_1)
	v_mul_f32_e32 v96, v95, v97
	v_xor_b32_e32 v97, 0x80000000, v97
.LBB86_280:
	s_and_not1_saveexec_b32 s1, s1
	s_cbranch_execz .LBB86_282
; %bb.281:
	s_delay_alu instid0(VALU_DEP_1) | instskip(SKIP_1) | instid1(VALU_DEP_2)
	v_div_scale_f32 v95, null, v96, v96, v97
	v_div_scale_f32 v105, vcc_lo, v97, v96, v97
	v_rcp_f32_e32 v103, v95
	v_nop
	s_delay_alu instid0(TRANS32_DEP_1) | instskip(NEXT) | instid1(VALU_DEP_1)
	v_fma_f32 v104, -v95, v103, 1.0
	v_fmac_f32_e32 v103, v104, v103
	s_delay_alu instid0(VALU_DEP_1) | instskip(NEXT) | instid1(VALU_DEP_1)
	v_mul_f32_e32 v104, v105, v103
	v_fma_f32 v106, -v95, v104, v105
	s_delay_alu instid0(VALU_DEP_1) | instskip(NEXT) | instid1(VALU_DEP_1)
	v_fmac_f32_e32 v104, v106, v103
	v_fma_f32 v95, -v95, v104, v105
	s_delay_alu instid0(VALU_DEP_1) | instskip(NEXT) | instid1(VALU_DEP_1)
	v_div_fmas_f32 v95, v95, v103, v104
	v_div_fixup_f32 v95, v95, v96, v97
	s_delay_alu instid0(VALU_DEP_1) | instskip(NEXT) | instid1(VALU_DEP_1)
	v_fmac_f32_e32 v96, v97, v95
	v_div_scale_f32 v97, null, v96, v96, 1.0
	s_delay_alu instid0(VALU_DEP_1) | instskip(SKIP_1) | instid1(TRANS32_DEP_1)
	v_rcp_f32_e32 v103, v97
	v_nop
	v_fma_f32 v104, -v97, v103, 1.0
	s_delay_alu instid0(VALU_DEP_1) | instskip(SKIP_1) | instid1(VALU_DEP_1)
	v_fmac_f32_e32 v103, v104, v103
	v_div_scale_f32 v104, vcc_lo, 1.0, v96, 1.0
	v_mul_f32_e32 v105, v104, v103
	s_delay_alu instid0(VALU_DEP_1) | instskip(NEXT) | instid1(VALU_DEP_1)
	v_fma_f32 v106, -v97, v105, v104
	v_fmac_f32_e32 v105, v106, v103
	s_delay_alu instid0(VALU_DEP_1) | instskip(NEXT) | instid1(VALU_DEP_1)
	v_fma_f32 v97, -v97, v105, v104
	v_div_fmas_f32 v97, v97, v103, v105
	s_delay_alu instid0(VALU_DEP_1) | instskip(NEXT) | instid1(VALU_DEP_1)
	v_div_fixup_f32 v96, v97, v96, 1.0
	v_mul_f32_e64 v97, v95, -v96
.LBB86_282:
	s_or_b32 exec_lo, exec_lo, s1
.LBB86_283:
	s_delay_alu instid0(SALU_CYCLE_1) | instskip(NEXT) | instid1(SALU_CYCLE_1)
	s_or_b32 exec_lo, exec_lo, s0
	s_mov_b32 s0, exec_lo
	v_cmpx_ne_u32_e64 v102, v94
	s_xor_b32 s0, exec_lo, s0
	s_cbranch_execz .LBB86_289
; %bb.284:
	s_mov_b32 s1, exec_lo
	v_cmpx_eq_u32_e32 13, v102
	s_cbranch_execz .LBB86_288
; %bb.285:
	v_cmp_ne_u32_e32 vcc_lo, 13, v94
	s_xor_b32 s12, s16, -1
	s_delay_alu instid0(SALU_CYCLE_1) | instskip(NEXT) | instid1(SALU_CYCLE_1)
	s_and_b32 s13, s12, vcc_lo
	s_and_saveexec_b32 s12, s13
	s_cbranch_execz .LBB86_287
; %bb.286:
	v_ashrrev_i32_e32 v95, 31, v94
	s_delay_alu instid0(VALU_DEP_1)
	v_lshl_add_u64 v[102:103], v[94:95], 2, v[4:5]
	s_clause 0x1
	global_load_b32 v95, v[102:103], off
	global_load_b32 v101, v[4:5], off offset:52
	s_wait_loadcnt 0x1
	global_store_b32 v[4:5], v95, off offset:52
	s_wait_loadcnt 0x0
	global_store_b32 v[102:103], v101, off
.LBB86_287:
	s_wait_xcnt 0x0
	s_or_b32 exec_lo, exec_lo, s12
	v_dual_mov_b32 v102, v94 :: v_dual_mov_b32 v101, v94
.LBB86_288:
	s_or_b32 exec_lo, exec_lo, s1
.LBB86_289:
	s_and_not1_saveexec_b32 s0, s0
	s_cbranch_execz .LBB86_291
; %bb.290:
	v_dual_mov_b32 v94, v80 :: v_dual_mov_b32 v95, v81
	v_dual_mov_b32 v102, v26 :: v_dual_mov_b32 v103, v27
	;; [unrolled: 1-line block ×8, first 2 shown]
	ds_store_2addr_b64 v98, v[94:95], v[102:103] offset0:14 offset1:15
	ds_store_2addr_b64 v98, v[104:105], v[106:107] offset0:16 offset1:17
	;; [unrolled: 1-line block ×4, first 2 shown]
	v_dual_mov_b32 v94, v68 :: v_dual_mov_b32 v95, v69
	v_dual_mov_b32 v102, v22 :: v_dual_mov_b32 v103, v23
	;; [unrolled: 1-line block ×12, first 2 shown]
	ds_store_2addr_b64 v98, v[94:95], v[102:103] offset0:22 offset1:23
	ds_store_2addr_b64 v98, v[104:105], v[106:107] offset0:24 offset1:25
	;; [unrolled: 1-line block ×6, first 2 shown]
	v_dual_mov_b32 v94, v38 :: v_dual_mov_b32 v95, v39
	v_dual_mov_b32 v104, v6 :: v_dual_mov_b32 v105, v7
	;; [unrolled: 1-line block ×9, first 2 shown]
	v_mov_b32_e32 v119, v17
	ds_store_2addr_b64 v98, v[94:95], v[104:105] offset0:34 offset1:35
	ds_store_2addr_b64 v98, v[106:107], v[108:109] offset0:36 offset1:37
	;; [unrolled: 1-line block ×5, first 2 shown]
.LBB86_291:
	s_or_b32 exec_lo, exec_lo, s0
	s_delay_alu instid0(SALU_CYCLE_1)
	s_mov_b32 s0, exec_lo
	s_wait_storecnt_dscnt 0x0
	s_barrier_signal -1
	s_barrier_wait -1
	v_cmpx_lt_i32_e32 13, v102
	s_cbranch_execz .LBB86_293
; %bb.292:
	v_pk_mul_f32 v[104:105], v[96:97], v[78:79] op_sel:[1,1] op_sel_hi:[0,1]
	s_delay_alu instid0(VALU_DEP_1)
	v_pk_fma_f32 v[94:95], v[96:97], v[78:79], v[104:105] op_sel_hi:[1,0,1] neg_lo:[0,0,1] neg_hi:[0,0,1]
	v_pk_fma_f32 v[96:97], v[96:97], v[78:79], v[104:105] op_sel_hi:[1,0,1]
	ds_load_2addr_b64 v[104:107], v98 offset0:14 offset1:15
	v_dual_mov_b32 v78, v94 :: v_dual_mov_b32 v79, v97
	s_wait_dscnt 0x0
	v_pk_mul_f32 v[108:109], v[104:105], v[96:97] op_sel:[0,1]
	s_delay_alu instid0(VALU_DEP_1) | instskip(SKIP_1) | instid1(VALU_DEP_1)
	v_pk_fma_f32 v[110:111], v[104:105], v[94:95], v[108:109] op_sel:[0,0,1] op_sel_hi:[1,1,0] neg_lo:[0,0,1] neg_hi:[0,0,1]
	v_pk_fma_f32 v[104:105], v[104:105], v[94:95], v[108:109] op_sel:[0,0,1] op_sel_hi:[1,0,0]
	v_mov_b32_e32 v111, v105
	v_pk_mul_f32 v[104:105], v[106:107], v[96:97] op_sel:[0,1]
	s_delay_alu instid0(VALU_DEP_1) | instskip(SKIP_1) | instid1(VALU_DEP_1)
	v_pk_fma_f32 v[108:109], v[106:107], v[94:95], v[104:105] op_sel:[0,0,1] op_sel_hi:[1,1,0] neg_lo:[0,0,1] neg_hi:[0,0,1]
	v_pk_fma_f32 v[104:105], v[106:107], v[94:95], v[104:105] op_sel:[0,0,1] op_sel_hi:[1,0,0]
	v_mov_b32_e32 v109, v105
	ds_load_2addr_b64 v[104:107], v98 offset0:16 offset1:17
	v_pk_add_f32 v[80:81], v[80:81], v[110:111] neg_lo:[0,1] neg_hi:[0,1]
	v_pk_add_f32 v[26:27], v[26:27], v[108:109] neg_lo:[0,1] neg_hi:[0,1]
	s_wait_dscnt 0x0
	v_pk_mul_f32 v[108:109], v[104:105], v[96:97] op_sel:[0,1]
	s_delay_alu instid0(VALU_DEP_1) | instskip(SKIP_2) | instid1(VALU_DEP_2)
	v_pk_fma_f32 v[110:111], v[104:105], v[94:95], v[108:109] op_sel:[0,0,1] op_sel_hi:[1,1,0] neg_lo:[0,0,1] neg_hi:[0,0,1]
	v_pk_fma_f32 v[104:105], v[104:105], v[94:95], v[108:109] op_sel:[0,0,1] op_sel_hi:[1,0,0]
	v_dual_mul_f32 v108, v107, v97 :: v_dual_mov_b32 v104, v107
	v_dual_mov_b32 v111, v105 :: v_dual_mov_b32 v105, v106
	s_delay_alu instid0(VALU_DEP_2) | instskip(SKIP_1) | instid1(VALU_DEP_3)
	v_pk_fma_f32 v[108:109], v[106:107], v[78:79], v[108:109] op_sel_hi:[1,1,0] neg_lo:[0,0,1] neg_hi:[0,0,1]
	v_mul_f32_e32 v106, v107, v94
	v_pk_add_f32 v[76:77], v[76:77], v[110:111] neg_lo:[0,1] neg_hi:[0,1]
	s_delay_alu instid0(VALU_DEP_2) | instskip(NEXT) | instid1(VALU_DEP_1)
	v_pk_fma_f32 v[104:105], v[104:105], v[78:79], v[106:107] op_sel_hi:[1,1,0]
	v_mov_b32_e32 v109, v105
	ds_load_2addr_b64 v[104:107], v98 offset0:18 offset1:19
	v_pk_add_f32 v[72:73], v[72:73], v[108:109] neg_lo:[0,1] neg_hi:[0,1]
	s_wait_dscnt 0x0
	v_pk_mul_f32 v[108:109], v[104:105], v[96:97] op_sel:[0,1]
	s_delay_alu instid0(VALU_DEP_1) | instskip(SKIP_1) | instid1(VALU_DEP_1)
	v_pk_fma_f32 v[110:111], v[104:105], v[94:95], v[108:109] op_sel:[0,0,1] op_sel_hi:[1,1,0] neg_lo:[0,0,1] neg_hi:[0,0,1]
	v_pk_fma_f32 v[104:105], v[104:105], v[94:95], v[108:109] op_sel:[0,0,1] op_sel_hi:[1,0,0]
	v_mov_b32_e32 v111, v105
	v_pk_mul_f32 v[104:105], v[106:107], v[96:97] op_sel:[0,1]
	s_delay_alu instid0(VALU_DEP_1) | instskip(SKIP_1) | instid1(VALU_DEP_1)
	v_pk_fma_f32 v[108:109], v[106:107], v[94:95], v[104:105] op_sel:[0,0,1] op_sel_hi:[1,1,0] neg_lo:[0,0,1] neg_hi:[0,0,1]
	v_pk_fma_f32 v[104:105], v[106:107], v[94:95], v[104:105] op_sel:[0,0,1] op_sel_hi:[1,0,0]
	v_mov_b32_e32 v109, v105
	ds_load_2addr_b64 v[104:107], v98 offset0:20 offset1:21
	v_pk_add_f32 v[74:75], v[74:75], v[110:111] neg_lo:[0,1] neg_hi:[0,1]
	v_pk_add_f32 v[24:25], v[24:25], v[108:109] neg_lo:[0,1] neg_hi:[0,1]
	s_wait_dscnt 0x0
	v_pk_mul_f32 v[108:109], v[104:105], v[96:97] op_sel:[0,1]
	s_delay_alu instid0(VALU_DEP_1) | instskip(SKIP_1) | instid1(VALU_DEP_1)
	v_pk_fma_f32 v[110:111], v[104:105], v[94:95], v[108:109] op_sel:[0,0,1] op_sel_hi:[1,1,0] neg_lo:[0,0,1] neg_hi:[0,0,1]
	v_pk_fma_f32 v[104:105], v[104:105], v[94:95], v[108:109] op_sel:[0,0,1] op_sel_hi:[1,0,0]
	v_mov_b32_e32 v111, v105
	v_pk_mul_f32 v[104:105], v[106:107], v[96:97] op_sel:[0,1]
	s_delay_alu instid0(VALU_DEP_1) | instskip(SKIP_1) | instid1(VALU_DEP_1)
	v_pk_fma_f32 v[108:109], v[106:107], v[94:95], v[104:105] op_sel:[0,0,1] op_sel_hi:[1,1,0] neg_lo:[0,0,1] neg_hi:[0,0,1]
	v_pk_fma_f32 v[104:105], v[106:107], v[94:95], v[104:105] op_sel:[0,0,1] op_sel_hi:[1,0,0]
	v_mov_b32_e32 v109, v105
	ds_load_2addr_b64 v[104:107], v98 offset0:22 offset1:23
	v_pk_add_f32 v[70:71], v[70:71], v[110:111] neg_lo:[0,1] neg_hi:[0,1]
	v_pk_add_f32 v[66:67], v[66:67], v[108:109] neg_lo:[0,1] neg_hi:[0,1]
	s_wait_dscnt 0x0
	v_dual_mul_f32 v108, v105, v97 :: v_dual_mul_f32 v110, v105, v94
	s_delay_alu instid0(VALU_DEP_1) | instskip(NEXT) | instid1(VALU_DEP_2)
	v_pk_fma_f32 v[108:109], v[104:105], v[78:79], v[108:109] op_sel_hi:[1,1,0] neg_lo:[0,0,1] neg_hi:[0,0,1]
	v_pk_fma_f32 v[104:105], v[104:105], v[78:79], v[110:111] op_sel:[1,0,0] op_sel_hi:[0,1,0]
	s_delay_alu instid0(VALU_DEP_1) | instskip(SKIP_1) | instid1(VALU_DEP_2)
	v_mov_b32_e32 v109, v105
	v_pk_mul_f32 v[104:105], v[106:107], v[96:97] op_sel:[0,1]
	v_pk_add_f32 v[68:69], v[68:69], v[108:109] neg_lo:[0,1] neg_hi:[0,1]
	s_delay_alu instid0(VALU_DEP_2) | instskip(SKIP_1) | instid1(VALU_DEP_1)
	v_pk_fma_f32 v[108:109], v[106:107], v[94:95], v[104:105] op_sel:[0,0,1] op_sel_hi:[1,1,0] neg_lo:[0,0,1] neg_hi:[0,0,1]
	v_pk_fma_f32 v[104:105], v[106:107], v[94:95], v[104:105] op_sel:[0,0,1] op_sel_hi:[1,0,0]
	v_mov_b32_e32 v109, v105
	ds_load_2addr_b64 v[104:107], v98 offset0:24 offset1:25
	v_pk_add_f32 v[22:23], v[22:23], v[108:109] neg_lo:[0,1] neg_hi:[0,1]
	s_wait_dscnt 0x0
	v_pk_mul_f32 v[108:109], v[104:105], v[96:97] op_sel:[0,1]
	s_delay_alu instid0(VALU_DEP_1) | instskip(SKIP_1) | instid1(VALU_DEP_1)
	v_pk_fma_f32 v[110:111], v[104:105], v[94:95], v[108:109] op_sel:[0,0,1] op_sel_hi:[1,1,0] neg_lo:[0,0,1] neg_hi:[0,0,1]
	v_pk_fma_f32 v[104:105], v[104:105], v[94:95], v[108:109] op_sel:[0,0,1] op_sel_hi:[1,0,0]
	v_mov_b32_e32 v111, v105
	v_pk_mul_f32 v[104:105], v[106:107], v[96:97] op_sel:[0,1]
	s_delay_alu instid0(VALU_DEP_2) | instskip(NEXT) | instid1(VALU_DEP_2)
	v_pk_add_f32 v[54:55], v[54:55], v[110:111] neg_lo:[0,1] neg_hi:[0,1]
	v_pk_fma_f32 v[108:109], v[106:107], v[94:95], v[104:105] op_sel:[0,0,1] op_sel_hi:[1,1,0] neg_lo:[0,0,1] neg_hi:[0,0,1]
	v_pk_fma_f32 v[104:105], v[106:107], v[94:95], v[104:105] op_sel:[0,0,1] op_sel_hi:[1,0,0]
	s_delay_alu instid0(VALU_DEP_1) | instskip(SKIP_4) | instid1(VALU_DEP_1)
	v_mov_b32_e32 v109, v105
	ds_load_2addr_b64 v[104:107], v98 offset0:26 offset1:27
	v_pk_add_f32 v[48:49], v[48:49], v[108:109] neg_lo:[0,1] neg_hi:[0,1]
	s_wait_dscnt 0x0
	v_pk_mul_f32 v[108:109], v[104:105], v[96:97] op_sel:[0,1]
	v_pk_fma_f32 v[110:111], v[104:105], v[94:95], v[108:109] op_sel:[0,0,1] op_sel_hi:[1,1,0] neg_lo:[0,0,1] neg_hi:[0,0,1]
	v_pk_fma_f32 v[104:105], v[104:105], v[94:95], v[108:109] op_sel:[0,0,1] op_sel_hi:[1,0,0]
	v_dual_mul_f32 v108, v107, v97 :: v_dual_mov_b32 v104, v107
	s_delay_alu instid0(VALU_DEP_2) | instskip(NEXT) | instid1(VALU_DEP_2)
	v_dual_mov_b32 v111, v105 :: v_dual_mov_b32 v105, v106
	v_pk_fma_f32 v[108:109], v[106:107], v[78:79], v[108:109] op_sel_hi:[1,1,0] neg_lo:[0,0,1] neg_hi:[0,0,1]
	v_mul_f32_e32 v106, v107, v94
	s_delay_alu instid0(VALU_DEP_3) | instskip(NEXT) | instid1(VALU_DEP_2)
	v_pk_add_f32 v[52:53], v[52:53], v[110:111] neg_lo:[0,1] neg_hi:[0,1]
	v_pk_fma_f32 v[104:105], v[104:105], v[78:79], v[106:107] op_sel_hi:[1,1,0]
	s_delay_alu instid0(VALU_DEP_1) | instskip(SKIP_4) | instid1(VALU_DEP_1)
	v_mov_b32_e32 v109, v105
	ds_load_2addr_b64 v[104:107], v98 offset0:28 offset1:29
	v_pk_add_f32 v[12:13], v[12:13], v[108:109] neg_lo:[0,1] neg_hi:[0,1]
	s_wait_dscnt 0x0
	v_pk_mul_f32 v[108:109], v[104:105], v[96:97] op_sel:[0,1]
	v_pk_fma_f32 v[110:111], v[104:105], v[94:95], v[108:109] op_sel:[0,0,1] op_sel_hi:[1,1,0] neg_lo:[0,0,1] neg_hi:[0,0,1]
	v_pk_fma_f32 v[104:105], v[104:105], v[94:95], v[108:109] op_sel:[0,0,1] op_sel_hi:[1,0,0]
	s_delay_alu instid0(VALU_DEP_1) | instskip(SKIP_1) | instid1(VALU_DEP_1)
	v_mov_b32_e32 v111, v105
	v_pk_mul_f32 v[104:105], v[106:107], v[96:97] op_sel:[0,1]
	v_pk_fma_f32 v[108:109], v[106:107], v[94:95], v[104:105] op_sel:[0,0,1] op_sel_hi:[1,1,0] neg_lo:[0,0,1] neg_hi:[0,0,1]
	v_pk_fma_f32 v[104:105], v[106:107], v[94:95], v[104:105] op_sel:[0,0,1] op_sel_hi:[1,0,0]
	s_delay_alu instid0(VALU_DEP_1)
	v_mov_b32_e32 v109, v105
	ds_load_2addr_b64 v[104:107], v98 offset0:30 offset1:31
	v_pk_add_f32 v[46:47], v[46:47], v[110:111] neg_lo:[0,1] neg_hi:[0,1]
	v_pk_add_f32 v[42:43], v[42:43], v[108:109] neg_lo:[0,1] neg_hi:[0,1]
	s_wait_dscnt 0x0
	v_pk_mul_f32 v[108:109], v[104:105], v[96:97] op_sel:[0,1]
	s_delay_alu instid0(VALU_DEP_1) | instskip(SKIP_1) | instid1(VALU_DEP_1)
	v_pk_fma_f32 v[110:111], v[104:105], v[94:95], v[108:109] op_sel:[0,0,1] op_sel_hi:[1,1,0] neg_lo:[0,0,1] neg_hi:[0,0,1]
	v_pk_fma_f32 v[104:105], v[104:105], v[94:95], v[108:109] op_sel:[0,0,1] op_sel_hi:[1,0,0]
	v_mov_b32_e32 v111, v105
	v_pk_mul_f32 v[104:105], v[106:107], v[96:97] op_sel:[0,1]
	s_delay_alu instid0(VALU_DEP_1) | instskip(SKIP_1) | instid1(VALU_DEP_1)
	v_pk_fma_f32 v[108:109], v[106:107], v[94:95], v[104:105] op_sel:[0,0,1] op_sel_hi:[1,1,0] neg_lo:[0,0,1] neg_hi:[0,0,1]
	v_pk_fma_f32 v[104:105], v[106:107], v[94:95], v[104:105] op_sel:[0,0,1] op_sel_hi:[1,0,0]
	v_mov_b32_e32 v109, v105
	ds_load_2addr_b64 v[104:107], v98 offset0:32 offset1:33
	v_pk_add_f32 v[44:45], v[44:45], v[110:111] neg_lo:[0,1] neg_hi:[0,1]
	v_pk_add_f32 v[10:11], v[10:11], v[108:109] neg_lo:[0,1] neg_hi:[0,1]
	s_wait_dscnt 0x0
	v_dual_mul_f32 v108, v105, v97 :: v_dual_mul_f32 v110, v105, v94
	s_delay_alu instid0(VALU_DEP_1) | instskip(NEXT) | instid1(VALU_DEP_2)
	v_pk_fma_f32 v[108:109], v[104:105], v[78:79], v[108:109] op_sel_hi:[1,1,0] neg_lo:[0,0,1] neg_hi:[0,0,1]
	v_pk_fma_f32 v[104:105], v[104:105], v[78:79], v[110:111] op_sel:[1,0,0] op_sel_hi:[0,1,0]
	s_delay_alu instid0(VALU_DEP_1) | instskip(SKIP_1) | instid1(VALU_DEP_2)
	v_mov_b32_e32 v109, v105
	v_pk_mul_f32 v[104:105], v[106:107], v[96:97] op_sel:[0,1]
	v_pk_add_f32 v[40:41], v[40:41], v[108:109] neg_lo:[0,1] neg_hi:[0,1]
	s_delay_alu instid0(VALU_DEP_2) | instskip(SKIP_1) | instid1(VALU_DEP_1)
	v_pk_fma_f32 v[108:109], v[106:107], v[94:95], v[104:105] op_sel:[0,0,1] op_sel_hi:[1,1,0] neg_lo:[0,0,1] neg_hi:[0,0,1]
	v_pk_fma_f32 v[104:105], v[106:107], v[94:95], v[104:105] op_sel:[0,0,1] op_sel_hi:[1,0,0]
	v_mov_b32_e32 v109, v105
	ds_load_2addr_b64 v[104:107], v98 offset0:34 offset1:35
	v_pk_add_f32 v[36:37], v[36:37], v[108:109] neg_lo:[0,1] neg_hi:[0,1]
	s_wait_dscnt 0x0
	v_pk_mul_f32 v[108:109], v[104:105], v[96:97] op_sel:[0,1]
	s_delay_alu instid0(VALU_DEP_1) | instskip(SKIP_1) | instid1(VALU_DEP_1)
	v_pk_fma_f32 v[110:111], v[104:105], v[94:95], v[108:109] op_sel:[0,0,1] op_sel_hi:[1,1,0] neg_lo:[0,0,1] neg_hi:[0,0,1]
	v_pk_fma_f32 v[104:105], v[104:105], v[94:95], v[108:109] op_sel:[0,0,1] op_sel_hi:[1,0,0]
	v_mov_b32_e32 v111, v105
	v_pk_mul_f32 v[104:105], v[106:107], v[96:97] op_sel:[0,1]
	s_delay_alu instid0(VALU_DEP_2) | instskip(NEXT) | instid1(VALU_DEP_2)
	v_pk_add_f32 v[38:39], v[38:39], v[110:111] neg_lo:[0,1] neg_hi:[0,1]
	v_pk_fma_f32 v[108:109], v[106:107], v[94:95], v[104:105] op_sel:[0,0,1] op_sel_hi:[1,1,0] neg_lo:[0,0,1] neg_hi:[0,0,1]
	v_pk_fma_f32 v[104:105], v[106:107], v[94:95], v[104:105] op_sel:[0,0,1] op_sel_hi:[1,0,0]
	s_delay_alu instid0(VALU_DEP_1) | instskip(SKIP_4) | instid1(VALU_DEP_1)
	v_mov_b32_e32 v109, v105
	ds_load_2addr_b64 v[104:107], v98 offset0:36 offset1:37
	v_pk_add_f32 v[6:7], v[6:7], v[108:109] neg_lo:[0,1] neg_hi:[0,1]
	s_wait_dscnt 0x0
	v_pk_mul_f32 v[108:109], v[104:105], v[96:97] op_sel:[0,1]
	v_pk_fma_f32 v[110:111], v[104:105], v[94:95], v[108:109] op_sel:[0,0,1] op_sel_hi:[1,1,0] neg_lo:[0,0,1] neg_hi:[0,0,1]
	v_pk_fma_f32 v[104:105], v[104:105], v[94:95], v[108:109] op_sel:[0,0,1] op_sel_hi:[1,0,0]
	v_dual_mul_f32 v108, v107, v97 :: v_dual_mov_b32 v104, v107
	s_delay_alu instid0(VALU_DEP_2) | instskip(NEXT) | instid1(VALU_DEP_2)
	v_dual_mov_b32 v111, v105 :: v_dual_mov_b32 v105, v106
	v_pk_fma_f32 v[108:109], v[106:107], v[78:79], v[108:109] op_sel_hi:[1,1,0] neg_lo:[0,0,1] neg_hi:[0,0,1]
	v_mul_f32_e32 v106, v107, v94
	s_delay_alu instid0(VALU_DEP_3) | instskip(NEXT) | instid1(VALU_DEP_2)
	v_pk_add_f32 v[34:35], v[34:35], v[110:111] neg_lo:[0,1] neg_hi:[0,1]
	v_pk_fma_f32 v[104:105], v[104:105], v[78:79], v[106:107] op_sel_hi:[1,1,0]
	s_delay_alu instid0(VALU_DEP_1) | instskip(SKIP_4) | instid1(VALU_DEP_1)
	v_mov_b32_e32 v109, v105
	ds_load_2addr_b64 v[104:107], v98 offset0:38 offset1:39
	v_pk_add_f32 v[30:31], v[30:31], v[108:109] neg_lo:[0,1] neg_hi:[0,1]
	s_wait_dscnt 0x0
	v_pk_mul_f32 v[108:109], v[104:105], v[96:97] op_sel:[0,1]
	v_pk_fma_f32 v[110:111], v[104:105], v[94:95], v[108:109] op_sel:[0,0,1] op_sel_hi:[1,1,0] neg_lo:[0,0,1] neg_hi:[0,0,1]
	v_pk_fma_f32 v[104:105], v[104:105], v[94:95], v[108:109] op_sel:[0,0,1] op_sel_hi:[1,0,0]
	s_delay_alu instid0(VALU_DEP_1) | instskip(SKIP_1) | instid1(VALU_DEP_1)
	v_mov_b32_e32 v111, v105
	v_pk_mul_f32 v[104:105], v[106:107], v[96:97] op_sel:[0,1]
	v_pk_fma_f32 v[108:109], v[106:107], v[94:95], v[104:105] op_sel:[0,0,1] op_sel_hi:[1,1,0] neg_lo:[0,0,1] neg_hi:[0,0,1]
	v_pk_fma_f32 v[104:105], v[106:107], v[94:95], v[104:105] op_sel:[0,0,1] op_sel_hi:[1,0,0]
	s_delay_alu instid0(VALU_DEP_1)
	v_mov_b32_e32 v109, v105
	ds_load_2addr_b64 v[104:107], v98 offset0:40 offset1:41
	v_pk_add_f32 v[32:33], v[32:33], v[110:111] neg_lo:[0,1] neg_hi:[0,1]
	v_pk_add_f32 v[8:9], v[8:9], v[108:109] neg_lo:[0,1] neg_hi:[0,1]
	s_wait_dscnt 0x0
	v_pk_mul_f32 v[108:109], v[104:105], v[96:97] op_sel:[0,1]
	s_delay_alu instid0(VALU_DEP_1) | instskip(SKIP_1) | instid1(VALU_DEP_1)
	v_pk_fma_f32 v[110:111], v[104:105], v[94:95], v[108:109] op_sel:[0,0,1] op_sel_hi:[1,1,0] neg_lo:[0,0,1] neg_hi:[0,0,1]
	v_pk_fma_f32 v[104:105], v[104:105], v[94:95], v[108:109] op_sel:[0,0,1] op_sel_hi:[1,0,0]
	v_mov_b32_e32 v111, v105
	v_pk_mul_f32 v[104:105], v[106:107], v[96:97] op_sel:[0,1]
	s_delay_alu instid0(VALU_DEP_1) | instskip(SKIP_1) | instid1(VALU_DEP_1)
	v_pk_fma_f32 v[108:109], v[106:107], v[94:95], v[104:105] op_sel:[0,0,1] op_sel_hi:[1,1,0] neg_lo:[0,0,1] neg_hi:[0,0,1]
	v_pk_fma_f32 v[104:105], v[106:107], v[94:95], v[104:105] op_sel:[0,0,1] op_sel_hi:[1,0,0]
	v_mov_b32_e32 v109, v105
	ds_load_2addr_b64 v[104:107], v98 offset0:42 offset1:43
	v_pk_add_f32 v[28:29], v[28:29], v[110:111] neg_lo:[0,1] neg_hi:[0,1]
	v_pk_add_f32 v[20:21], v[20:21], v[108:109] neg_lo:[0,1] neg_hi:[0,1]
	s_wait_dscnt 0x0
	v_mul_f32_e32 v96, v105, v97
	s_delay_alu instid0(VALU_DEP_1) | instskip(SKIP_1) | instid1(VALU_DEP_1)
	v_pk_fma_f32 v[108:109], v[104:105], v[78:79], v[96:97] op_sel_hi:[1,1,0] neg_lo:[0,0,1] neg_hi:[0,0,1]
	v_dual_mul_f32 v96, v105, v94 :: v_dual_mul_f32 v94, v107, v94
	v_pk_fma_f32 v[104:105], v[104:105], v[78:79], v[96:97] op_sel:[1,0,0] op_sel_hi:[0,1,0]
	v_dual_mov_b32 v104, v107 :: v_dual_mul_f32 v96, v107, v97
	s_delay_alu instid0(VALU_DEP_2) | instskip(NEXT) | instid1(VALU_DEP_2)
	v_dual_mov_b32 v109, v105 :: v_dual_mov_b32 v105, v106
	v_pk_fma_f32 v[96:97], v[106:107], v[78:79], v[96:97] op_sel_hi:[1,1,0] neg_lo:[0,0,1] neg_hi:[0,0,1]
	s_delay_alu instid0(VALU_DEP_2) | instskip(NEXT) | instid1(VALU_DEP_3)
	v_pk_add_f32 v[16:17], v[16:17], v[108:109] neg_lo:[0,1] neg_hi:[0,1]
	v_pk_fma_f32 v[94:95], v[104:105], v[78:79], v[94:95] op_sel_hi:[1,1,0]
	s_delay_alu instid0(VALU_DEP_1) | instskip(NEXT) | instid1(VALU_DEP_1)
	v_mov_b32_e32 v97, v95
	v_pk_add_f32 v[92:93], v[92:93], v[96:97] neg_lo:[0,1] neg_hi:[0,1]
.LBB86_293:
	s_or_b32 exec_lo, exec_lo, s0
	v_lshl_add_u32 v94, v102, 3, v98
	s_barrier_signal -1
	s_barrier_wait -1
	ds_store_b64 v94, v[80:81]
	s_wait_dscnt 0x0
	s_barrier_signal -1
	s_barrier_wait -1
	ds_load_b64 v[96:97], v98 offset:112
	v_mov_b32_e32 v94, 14
	s_cmp_lt_i32 s18, 16
	s_cbranch_scc1 .LBB86_296
; %bb.294:
	v_add3_u32 v95, v99, 0, 0x78
	v_mov_b32_e32 v94, 14
	s_mov_b32 s0, 15
.LBB86_295:                             ; =>This Inner Loop Header: Depth=1
	ds_load_b64 v[104:105], v95
	s_wait_dscnt 0x1
	v_cmp_gt_f32_e32 vcc_lo, 0, v96
	v_cndmask_b32_e64 v106, v96, -v96, vcc_lo
	v_cmp_gt_f32_e32 vcc_lo, 0, v97
	v_cndmask_b32_e64 v108, v97, -v97, vcc_lo
	s_wait_dscnt 0x0
	v_cmp_gt_f32_e32 vcc_lo, 0, v104
	v_cndmask_b32_e64 v107, v104, -v104, vcc_lo
	v_cmp_gt_f32_e32 vcc_lo, 0, v105
	v_cndmask_b32_e64 v109, v105, -v105, vcc_lo
	s_delay_alu instid0(VALU_DEP_1) | instskip(NEXT) | instid1(VALU_DEP_1)
	v_pk_add_f32 v[106:107], v[106:107], v[108:109]
	v_cmp_lt_f32_e32 vcc_lo, v106, v107
	v_dual_add_nc_u32 v95, 8, v95 :: v_dual_cndmask_b32 v97, v97, v105, vcc_lo
	v_cndmask_b32_e32 v96, v96, v104, vcc_lo
	v_cndmask_b32_e64 v94, v94, s0, vcc_lo
	s_add_co_i32 s0, s0, 1
	s_delay_alu instid0(SALU_CYCLE_1)
	s_cmp_lg_u32 s18, s0
	s_cbranch_scc1 .LBB86_295
.LBB86_296:
	s_wait_dscnt 0x0
	v_cmp_eq_f32_e32 vcc_lo, 0, v96
	v_cmp_eq_f32_e64 s0, 0, v97
	s_and_b32 s0, vcc_lo, s0
	s_delay_alu instid0(SALU_CYCLE_1) | instskip(NEXT) | instid1(SALU_CYCLE_1)
	s_and_saveexec_b32 s1, s0
	s_xor_b32 s0, exec_lo, s1
; %bb.297:
	v_cmp_ne_u32_e32 vcc_lo, 0, v100
	v_cndmask_b32_e32 v100, 15, v100, vcc_lo
; %bb.298:
	s_and_not1_saveexec_b32 s0, s0
	s_cbranch_execz .LBB86_304
; %bb.299:
	v_cmp_ngt_f32_e64 s1, |v96|, |v97|
	s_and_saveexec_b32 s12, s1
	s_delay_alu instid0(SALU_CYCLE_1)
	s_xor_b32 s1, exec_lo, s12
	s_cbranch_execz .LBB86_301
; %bb.300:
	v_div_scale_f32 v95, null, v97, v97, v96
	v_div_scale_f32 v105, vcc_lo, v96, v97, v96
	s_delay_alu instid0(VALU_DEP_2) | instskip(SKIP_1) | instid1(TRANS32_DEP_1)
	v_rcp_f32_e32 v103, v95
	v_nop
	v_fma_f32 v104, -v95, v103, 1.0
	s_delay_alu instid0(VALU_DEP_1) | instskip(NEXT) | instid1(VALU_DEP_1)
	v_fmac_f32_e32 v103, v104, v103
	v_mul_f32_e32 v104, v105, v103
	s_delay_alu instid0(VALU_DEP_1) | instskip(NEXT) | instid1(VALU_DEP_1)
	v_fma_f32 v106, -v95, v104, v105
	v_fmac_f32_e32 v104, v106, v103
	s_delay_alu instid0(VALU_DEP_1) | instskip(NEXT) | instid1(VALU_DEP_1)
	v_fma_f32 v95, -v95, v104, v105
	v_div_fmas_f32 v95, v95, v103, v104
	s_delay_alu instid0(VALU_DEP_1) | instskip(NEXT) | instid1(VALU_DEP_1)
	v_div_fixup_f32 v95, v95, v97, v96
	v_fmac_f32_e32 v97, v96, v95
	s_delay_alu instid0(VALU_DEP_1) | instskip(SKIP_1) | instid1(VALU_DEP_2)
	v_div_scale_f32 v96, null, v97, v97, 1.0
	v_div_scale_f32 v105, vcc_lo, 1.0, v97, 1.0
	v_rcp_f32_e32 v103, v96
	v_nop
	s_delay_alu instid0(TRANS32_DEP_1) | instskip(NEXT) | instid1(VALU_DEP_1)
	v_fma_f32 v104, -v96, v103, 1.0
	v_fmac_f32_e32 v103, v104, v103
	s_delay_alu instid0(VALU_DEP_1) | instskip(NEXT) | instid1(VALU_DEP_1)
	v_mul_f32_e32 v104, v105, v103
	v_fma_f32 v106, -v96, v104, v105
	s_delay_alu instid0(VALU_DEP_1) | instskip(NEXT) | instid1(VALU_DEP_1)
	v_fmac_f32_e32 v104, v106, v103
	v_fma_f32 v96, -v96, v104, v105
	s_delay_alu instid0(VALU_DEP_1) | instskip(NEXT) | instid1(VALU_DEP_1)
	v_div_fmas_f32 v96, v96, v103, v104
	v_div_fixup_f32 v97, v96, v97, 1.0
	s_delay_alu instid0(VALU_DEP_1)
	v_mul_f32_e32 v96, v95, v97
	v_xor_b32_e32 v97, 0x80000000, v97
.LBB86_301:
	s_and_not1_saveexec_b32 s1, s1
	s_cbranch_execz .LBB86_303
; %bb.302:
	s_delay_alu instid0(VALU_DEP_1) | instskip(SKIP_1) | instid1(VALU_DEP_2)
	v_div_scale_f32 v95, null, v96, v96, v97
	v_div_scale_f32 v105, vcc_lo, v97, v96, v97
	v_rcp_f32_e32 v103, v95
	v_nop
	s_delay_alu instid0(TRANS32_DEP_1) | instskip(NEXT) | instid1(VALU_DEP_1)
	v_fma_f32 v104, -v95, v103, 1.0
	v_fmac_f32_e32 v103, v104, v103
	s_delay_alu instid0(VALU_DEP_1) | instskip(NEXT) | instid1(VALU_DEP_1)
	v_mul_f32_e32 v104, v105, v103
	v_fma_f32 v106, -v95, v104, v105
	s_delay_alu instid0(VALU_DEP_1) | instskip(NEXT) | instid1(VALU_DEP_1)
	v_fmac_f32_e32 v104, v106, v103
	v_fma_f32 v95, -v95, v104, v105
	s_delay_alu instid0(VALU_DEP_1) | instskip(NEXT) | instid1(VALU_DEP_1)
	v_div_fmas_f32 v95, v95, v103, v104
	v_div_fixup_f32 v95, v95, v96, v97
	s_delay_alu instid0(VALU_DEP_1) | instskip(NEXT) | instid1(VALU_DEP_1)
	v_fmac_f32_e32 v96, v97, v95
	v_div_scale_f32 v97, null, v96, v96, 1.0
	s_delay_alu instid0(VALU_DEP_1) | instskip(SKIP_1) | instid1(TRANS32_DEP_1)
	v_rcp_f32_e32 v103, v97
	v_nop
	v_fma_f32 v104, -v97, v103, 1.0
	s_delay_alu instid0(VALU_DEP_1) | instskip(SKIP_1) | instid1(VALU_DEP_1)
	v_fmac_f32_e32 v103, v104, v103
	v_div_scale_f32 v104, vcc_lo, 1.0, v96, 1.0
	v_mul_f32_e32 v105, v104, v103
	s_delay_alu instid0(VALU_DEP_1) | instskip(NEXT) | instid1(VALU_DEP_1)
	v_fma_f32 v106, -v97, v105, v104
	v_fmac_f32_e32 v105, v106, v103
	s_delay_alu instid0(VALU_DEP_1) | instskip(NEXT) | instid1(VALU_DEP_1)
	v_fma_f32 v97, -v97, v105, v104
	v_div_fmas_f32 v97, v97, v103, v105
	s_delay_alu instid0(VALU_DEP_1) | instskip(NEXT) | instid1(VALU_DEP_1)
	v_div_fixup_f32 v96, v97, v96, 1.0
	v_mul_f32_e64 v97, v95, -v96
.LBB86_303:
	s_or_b32 exec_lo, exec_lo, s1
.LBB86_304:
	s_delay_alu instid0(SALU_CYCLE_1) | instskip(NEXT) | instid1(SALU_CYCLE_1)
	s_or_b32 exec_lo, exec_lo, s0
	s_mov_b32 s0, exec_lo
	v_cmpx_ne_u32_e64 v102, v94
	s_xor_b32 s0, exec_lo, s0
	s_cbranch_execz .LBB86_310
; %bb.305:
	s_mov_b32 s1, exec_lo
	v_cmpx_eq_u32_e32 14, v102
	s_cbranch_execz .LBB86_309
; %bb.306:
	v_cmp_ne_u32_e32 vcc_lo, 14, v94
	s_xor_b32 s12, s16, -1
	s_delay_alu instid0(SALU_CYCLE_1) | instskip(NEXT) | instid1(SALU_CYCLE_1)
	s_and_b32 s13, s12, vcc_lo
	s_and_saveexec_b32 s12, s13
	s_cbranch_execz .LBB86_308
; %bb.307:
	v_ashrrev_i32_e32 v95, 31, v94
	s_delay_alu instid0(VALU_DEP_1)
	v_lshl_add_u64 v[102:103], v[94:95], 2, v[4:5]
	s_clause 0x1
	global_load_b32 v95, v[102:103], off
	global_load_b32 v101, v[4:5], off offset:56
	s_wait_loadcnt 0x1
	global_store_b32 v[4:5], v95, off offset:56
	s_wait_loadcnt 0x0
	global_store_b32 v[102:103], v101, off
.LBB86_308:
	s_wait_xcnt 0x0
	s_or_b32 exec_lo, exec_lo, s12
	v_dual_mov_b32 v102, v94 :: v_dual_mov_b32 v101, v94
.LBB86_309:
	s_or_b32 exec_lo, exec_lo, s1
.LBB86_310:
	s_and_not1_saveexec_b32 s0, s0
	s_cbranch_execz .LBB86_312
; %bb.311:
	v_mov_b32_e32 v102, 14
	ds_store_2addr_b64 v98, v[26:27], v[76:77] offset0:15 offset1:16
	ds_store_2addr_b64 v98, v[72:73], v[74:75] offset0:17 offset1:18
	;; [unrolled: 1-line block ×14, first 2 shown]
	ds_store_b64 v98, v[92:93] offset:344
.LBB86_312:
	s_or_b32 exec_lo, exec_lo, s0
	s_delay_alu instid0(SALU_CYCLE_1)
	s_mov_b32 s0, exec_lo
	s_wait_storecnt_dscnt 0x0
	s_barrier_signal -1
	s_barrier_wait -1
	v_cmpx_lt_i32_e32 14, v102
	s_cbranch_execz .LBB86_314
; %bb.313:
	v_pk_mul_f32 v[104:105], v[96:97], v[80:81] op_sel:[1,1] op_sel_hi:[0,1]
	s_delay_alu instid0(VALU_DEP_1)
	v_pk_fma_f32 v[94:95], v[96:97], v[80:81], v[104:105] op_sel_hi:[1,0,1] neg_lo:[0,0,1] neg_hi:[0,0,1]
	v_pk_fma_f32 v[96:97], v[96:97], v[80:81], v[104:105] op_sel_hi:[1,0,1]
	ds_load_2addr_b64 v[104:107], v98 offset0:15 offset1:16
	v_dual_mov_b32 v80, v94 :: v_dual_mov_b32 v81, v97
	s_wait_dscnt 0x0
	v_pk_mul_f32 v[108:109], v[104:105], v[96:97] op_sel:[0,1]
	s_delay_alu instid0(VALU_DEP_1) | instskip(SKIP_1) | instid1(VALU_DEP_1)
	v_pk_fma_f32 v[110:111], v[104:105], v[94:95], v[108:109] op_sel:[0,0,1] op_sel_hi:[1,1,0] neg_lo:[0,0,1] neg_hi:[0,0,1]
	v_pk_fma_f32 v[104:105], v[104:105], v[94:95], v[108:109] op_sel:[0,0,1] op_sel_hi:[1,0,0]
	v_mov_b32_e32 v111, v105
	v_pk_mul_f32 v[104:105], v[106:107], v[96:97] op_sel:[0,1]
	s_delay_alu instid0(VALU_DEP_1) | instskip(SKIP_1) | instid1(VALU_DEP_1)
	v_pk_fma_f32 v[108:109], v[106:107], v[94:95], v[104:105] op_sel:[0,0,1] op_sel_hi:[1,1,0] neg_lo:[0,0,1] neg_hi:[0,0,1]
	v_pk_fma_f32 v[104:105], v[106:107], v[94:95], v[104:105] op_sel:[0,0,1] op_sel_hi:[1,0,0]
	v_mov_b32_e32 v109, v105
	ds_load_2addr_b64 v[104:107], v98 offset0:17 offset1:18
	v_pk_add_f32 v[26:27], v[26:27], v[110:111] neg_lo:[0,1] neg_hi:[0,1]
	v_pk_add_f32 v[76:77], v[76:77], v[108:109] neg_lo:[0,1] neg_hi:[0,1]
	s_wait_dscnt 0x0
	v_pk_mul_f32 v[108:109], v[104:105], v[96:97] op_sel:[0,1]
	s_delay_alu instid0(VALU_DEP_1) | instskip(SKIP_2) | instid1(VALU_DEP_2)
	v_pk_fma_f32 v[110:111], v[104:105], v[94:95], v[108:109] op_sel:[0,0,1] op_sel_hi:[1,1,0] neg_lo:[0,0,1] neg_hi:[0,0,1]
	v_pk_fma_f32 v[104:105], v[104:105], v[94:95], v[108:109] op_sel:[0,0,1] op_sel_hi:[1,0,0]
	v_dual_mul_f32 v108, v107, v97 :: v_dual_mov_b32 v104, v107
	v_dual_mov_b32 v111, v105 :: v_dual_mov_b32 v105, v106
	s_delay_alu instid0(VALU_DEP_2) | instskip(SKIP_1) | instid1(VALU_DEP_3)
	v_pk_fma_f32 v[108:109], v[106:107], v[80:81], v[108:109] op_sel_hi:[1,1,0] neg_lo:[0,0,1] neg_hi:[0,0,1]
	v_mul_f32_e32 v106, v107, v94
	v_pk_add_f32 v[72:73], v[72:73], v[110:111] neg_lo:[0,1] neg_hi:[0,1]
	s_delay_alu instid0(VALU_DEP_2) | instskip(NEXT) | instid1(VALU_DEP_1)
	v_pk_fma_f32 v[104:105], v[104:105], v[80:81], v[106:107] op_sel_hi:[1,1,0]
	v_mov_b32_e32 v109, v105
	ds_load_2addr_b64 v[104:107], v98 offset0:19 offset1:20
	v_pk_add_f32 v[74:75], v[74:75], v[108:109] neg_lo:[0,1] neg_hi:[0,1]
	s_wait_dscnt 0x0
	v_pk_mul_f32 v[108:109], v[104:105], v[96:97] op_sel:[0,1]
	s_delay_alu instid0(VALU_DEP_1) | instskip(SKIP_1) | instid1(VALU_DEP_1)
	v_pk_fma_f32 v[110:111], v[104:105], v[94:95], v[108:109] op_sel:[0,0,1] op_sel_hi:[1,1,0] neg_lo:[0,0,1] neg_hi:[0,0,1]
	v_pk_fma_f32 v[104:105], v[104:105], v[94:95], v[108:109] op_sel:[0,0,1] op_sel_hi:[1,0,0]
	v_mov_b32_e32 v111, v105
	v_pk_mul_f32 v[104:105], v[106:107], v[96:97] op_sel:[0,1]
	s_delay_alu instid0(VALU_DEP_1) | instskip(SKIP_1) | instid1(VALU_DEP_1)
	v_pk_fma_f32 v[108:109], v[106:107], v[94:95], v[104:105] op_sel:[0,0,1] op_sel_hi:[1,1,0] neg_lo:[0,0,1] neg_hi:[0,0,1]
	v_pk_fma_f32 v[104:105], v[106:107], v[94:95], v[104:105] op_sel:[0,0,1] op_sel_hi:[1,0,0]
	v_mov_b32_e32 v109, v105
	ds_load_2addr_b64 v[104:107], v98 offset0:21 offset1:22
	v_pk_add_f32 v[24:25], v[24:25], v[110:111] neg_lo:[0,1] neg_hi:[0,1]
	v_pk_add_f32 v[70:71], v[70:71], v[108:109] neg_lo:[0,1] neg_hi:[0,1]
	s_wait_dscnt 0x0
	v_pk_mul_f32 v[108:109], v[104:105], v[96:97] op_sel:[0,1]
	s_delay_alu instid0(VALU_DEP_1) | instskip(SKIP_1) | instid1(VALU_DEP_1)
	v_pk_fma_f32 v[110:111], v[104:105], v[94:95], v[108:109] op_sel:[0,0,1] op_sel_hi:[1,1,0] neg_lo:[0,0,1] neg_hi:[0,0,1]
	v_pk_fma_f32 v[104:105], v[104:105], v[94:95], v[108:109] op_sel:[0,0,1] op_sel_hi:[1,0,0]
	v_mov_b32_e32 v111, v105
	v_pk_mul_f32 v[104:105], v[106:107], v[96:97] op_sel:[0,1]
	s_delay_alu instid0(VALU_DEP_1) | instskip(SKIP_1) | instid1(VALU_DEP_1)
	v_pk_fma_f32 v[108:109], v[106:107], v[94:95], v[104:105] op_sel:[0,0,1] op_sel_hi:[1,1,0] neg_lo:[0,0,1] neg_hi:[0,0,1]
	v_pk_fma_f32 v[104:105], v[106:107], v[94:95], v[104:105] op_sel:[0,0,1] op_sel_hi:[1,0,0]
	v_mov_b32_e32 v109, v105
	ds_load_2addr_b64 v[104:107], v98 offset0:23 offset1:24
	v_pk_add_f32 v[66:67], v[66:67], v[110:111] neg_lo:[0,1] neg_hi:[0,1]
	v_pk_add_f32 v[68:69], v[68:69], v[108:109] neg_lo:[0,1] neg_hi:[0,1]
	s_wait_dscnt 0x0
	v_dual_mul_f32 v108, v105, v97 :: v_dual_mul_f32 v110, v105, v94
	s_delay_alu instid0(VALU_DEP_1) | instskip(NEXT) | instid1(VALU_DEP_2)
	v_pk_fma_f32 v[108:109], v[104:105], v[80:81], v[108:109] op_sel_hi:[1,1,0] neg_lo:[0,0,1] neg_hi:[0,0,1]
	v_pk_fma_f32 v[104:105], v[104:105], v[80:81], v[110:111] op_sel:[1,0,0] op_sel_hi:[0,1,0]
	s_delay_alu instid0(VALU_DEP_1) | instskip(SKIP_1) | instid1(VALU_DEP_2)
	v_mov_b32_e32 v109, v105
	v_pk_mul_f32 v[104:105], v[106:107], v[96:97] op_sel:[0,1]
	v_pk_add_f32 v[22:23], v[22:23], v[108:109] neg_lo:[0,1] neg_hi:[0,1]
	s_delay_alu instid0(VALU_DEP_2) | instskip(SKIP_1) | instid1(VALU_DEP_1)
	v_pk_fma_f32 v[108:109], v[106:107], v[94:95], v[104:105] op_sel:[0,0,1] op_sel_hi:[1,1,0] neg_lo:[0,0,1] neg_hi:[0,0,1]
	v_pk_fma_f32 v[104:105], v[106:107], v[94:95], v[104:105] op_sel:[0,0,1] op_sel_hi:[1,0,0]
	v_mov_b32_e32 v109, v105
	ds_load_2addr_b64 v[104:107], v98 offset0:25 offset1:26
	v_pk_add_f32 v[54:55], v[54:55], v[108:109] neg_lo:[0,1] neg_hi:[0,1]
	s_wait_dscnt 0x0
	v_pk_mul_f32 v[108:109], v[104:105], v[96:97] op_sel:[0,1]
	s_delay_alu instid0(VALU_DEP_1) | instskip(SKIP_1) | instid1(VALU_DEP_1)
	v_pk_fma_f32 v[110:111], v[104:105], v[94:95], v[108:109] op_sel:[0,0,1] op_sel_hi:[1,1,0] neg_lo:[0,0,1] neg_hi:[0,0,1]
	v_pk_fma_f32 v[104:105], v[104:105], v[94:95], v[108:109] op_sel:[0,0,1] op_sel_hi:[1,0,0]
	v_mov_b32_e32 v111, v105
	v_pk_mul_f32 v[104:105], v[106:107], v[96:97] op_sel:[0,1]
	s_delay_alu instid0(VALU_DEP_2) | instskip(NEXT) | instid1(VALU_DEP_2)
	v_pk_add_f32 v[48:49], v[48:49], v[110:111] neg_lo:[0,1] neg_hi:[0,1]
	v_pk_fma_f32 v[108:109], v[106:107], v[94:95], v[104:105] op_sel:[0,0,1] op_sel_hi:[1,1,0] neg_lo:[0,0,1] neg_hi:[0,0,1]
	v_pk_fma_f32 v[104:105], v[106:107], v[94:95], v[104:105] op_sel:[0,0,1] op_sel_hi:[1,0,0]
	s_delay_alu instid0(VALU_DEP_1) | instskip(SKIP_4) | instid1(VALU_DEP_1)
	v_mov_b32_e32 v109, v105
	ds_load_2addr_b64 v[104:107], v98 offset0:27 offset1:28
	v_pk_add_f32 v[52:53], v[52:53], v[108:109] neg_lo:[0,1] neg_hi:[0,1]
	s_wait_dscnt 0x0
	v_pk_mul_f32 v[108:109], v[104:105], v[96:97] op_sel:[0,1]
	v_pk_fma_f32 v[110:111], v[104:105], v[94:95], v[108:109] op_sel:[0,0,1] op_sel_hi:[1,1,0] neg_lo:[0,0,1] neg_hi:[0,0,1]
	v_pk_fma_f32 v[104:105], v[104:105], v[94:95], v[108:109] op_sel:[0,0,1] op_sel_hi:[1,0,0]
	v_dual_mul_f32 v108, v107, v97 :: v_dual_mov_b32 v104, v107
	s_delay_alu instid0(VALU_DEP_2) | instskip(NEXT) | instid1(VALU_DEP_2)
	v_dual_mov_b32 v111, v105 :: v_dual_mov_b32 v105, v106
	v_pk_fma_f32 v[108:109], v[106:107], v[80:81], v[108:109] op_sel_hi:[1,1,0] neg_lo:[0,0,1] neg_hi:[0,0,1]
	v_mul_f32_e32 v106, v107, v94
	s_delay_alu instid0(VALU_DEP_3) | instskip(NEXT) | instid1(VALU_DEP_2)
	v_pk_add_f32 v[12:13], v[12:13], v[110:111] neg_lo:[0,1] neg_hi:[0,1]
	v_pk_fma_f32 v[104:105], v[104:105], v[80:81], v[106:107] op_sel_hi:[1,1,0]
	s_delay_alu instid0(VALU_DEP_1) | instskip(SKIP_4) | instid1(VALU_DEP_1)
	v_mov_b32_e32 v109, v105
	ds_load_2addr_b64 v[104:107], v98 offset0:29 offset1:30
	v_pk_add_f32 v[46:47], v[46:47], v[108:109] neg_lo:[0,1] neg_hi:[0,1]
	s_wait_dscnt 0x0
	v_pk_mul_f32 v[108:109], v[104:105], v[96:97] op_sel:[0,1]
	v_pk_fma_f32 v[110:111], v[104:105], v[94:95], v[108:109] op_sel:[0,0,1] op_sel_hi:[1,1,0] neg_lo:[0,0,1] neg_hi:[0,0,1]
	v_pk_fma_f32 v[104:105], v[104:105], v[94:95], v[108:109] op_sel:[0,0,1] op_sel_hi:[1,0,0]
	s_delay_alu instid0(VALU_DEP_1) | instskip(SKIP_1) | instid1(VALU_DEP_1)
	v_mov_b32_e32 v111, v105
	v_pk_mul_f32 v[104:105], v[106:107], v[96:97] op_sel:[0,1]
	v_pk_fma_f32 v[108:109], v[106:107], v[94:95], v[104:105] op_sel:[0,0,1] op_sel_hi:[1,1,0] neg_lo:[0,0,1] neg_hi:[0,0,1]
	v_pk_fma_f32 v[104:105], v[106:107], v[94:95], v[104:105] op_sel:[0,0,1] op_sel_hi:[1,0,0]
	s_delay_alu instid0(VALU_DEP_1)
	v_mov_b32_e32 v109, v105
	ds_load_2addr_b64 v[104:107], v98 offset0:31 offset1:32
	v_pk_add_f32 v[42:43], v[42:43], v[110:111] neg_lo:[0,1] neg_hi:[0,1]
	v_pk_add_f32 v[44:45], v[44:45], v[108:109] neg_lo:[0,1] neg_hi:[0,1]
	s_wait_dscnt 0x0
	v_pk_mul_f32 v[108:109], v[104:105], v[96:97] op_sel:[0,1]
	s_delay_alu instid0(VALU_DEP_1) | instskip(SKIP_1) | instid1(VALU_DEP_1)
	v_pk_fma_f32 v[110:111], v[104:105], v[94:95], v[108:109] op_sel:[0,0,1] op_sel_hi:[1,1,0] neg_lo:[0,0,1] neg_hi:[0,0,1]
	v_pk_fma_f32 v[104:105], v[104:105], v[94:95], v[108:109] op_sel:[0,0,1] op_sel_hi:[1,0,0]
	v_mov_b32_e32 v111, v105
	v_pk_mul_f32 v[104:105], v[106:107], v[96:97] op_sel:[0,1]
	s_delay_alu instid0(VALU_DEP_1) | instskip(SKIP_1) | instid1(VALU_DEP_1)
	v_pk_fma_f32 v[108:109], v[106:107], v[94:95], v[104:105] op_sel:[0,0,1] op_sel_hi:[1,1,0] neg_lo:[0,0,1] neg_hi:[0,0,1]
	v_pk_fma_f32 v[104:105], v[106:107], v[94:95], v[104:105] op_sel:[0,0,1] op_sel_hi:[1,0,0]
	v_mov_b32_e32 v109, v105
	ds_load_2addr_b64 v[104:107], v98 offset0:33 offset1:34
	v_pk_add_f32 v[10:11], v[10:11], v[110:111] neg_lo:[0,1] neg_hi:[0,1]
	v_pk_add_f32 v[40:41], v[40:41], v[108:109] neg_lo:[0,1] neg_hi:[0,1]
	s_wait_dscnt 0x0
	v_dual_mul_f32 v108, v105, v97 :: v_dual_mul_f32 v110, v105, v94
	s_delay_alu instid0(VALU_DEP_1) | instskip(NEXT) | instid1(VALU_DEP_2)
	v_pk_fma_f32 v[108:109], v[104:105], v[80:81], v[108:109] op_sel_hi:[1,1,0] neg_lo:[0,0,1] neg_hi:[0,0,1]
	v_pk_fma_f32 v[104:105], v[104:105], v[80:81], v[110:111] op_sel:[1,0,0] op_sel_hi:[0,1,0]
	s_delay_alu instid0(VALU_DEP_1) | instskip(SKIP_1) | instid1(VALU_DEP_2)
	v_mov_b32_e32 v109, v105
	v_pk_mul_f32 v[104:105], v[106:107], v[96:97] op_sel:[0,1]
	v_pk_add_f32 v[36:37], v[36:37], v[108:109] neg_lo:[0,1] neg_hi:[0,1]
	s_delay_alu instid0(VALU_DEP_2) | instskip(SKIP_1) | instid1(VALU_DEP_1)
	v_pk_fma_f32 v[108:109], v[106:107], v[94:95], v[104:105] op_sel:[0,0,1] op_sel_hi:[1,1,0] neg_lo:[0,0,1] neg_hi:[0,0,1]
	v_pk_fma_f32 v[104:105], v[106:107], v[94:95], v[104:105] op_sel:[0,0,1] op_sel_hi:[1,0,0]
	v_mov_b32_e32 v109, v105
	ds_load_2addr_b64 v[104:107], v98 offset0:35 offset1:36
	v_pk_add_f32 v[38:39], v[38:39], v[108:109] neg_lo:[0,1] neg_hi:[0,1]
	s_wait_dscnt 0x0
	v_pk_mul_f32 v[108:109], v[104:105], v[96:97] op_sel:[0,1]
	s_delay_alu instid0(VALU_DEP_1) | instskip(SKIP_1) | instid1(VALU_DEP_1)
	v_pk_fma_f32 v[110:111], v[104:105], v[94:95], v[108:109] op_sel:[0,0,1] op_sel_hi:[1,1,0] neg_lo:[0,0,1] neg_hi:[0,0,1]
	v_pk_fma_f32 v[104:105], v[104:105], v[94:95], v[108:109] op_sel:[0,0,1] op_sel_hi:[1,0,0]
	v_mov_b32_e32 v111, v105
	v_pk_mul_f32 v[104:105], v[106:107], v[96:97] op_sel:[0,1]
	s_delay_alu instid0(VALU_DEP_2) | instskip(NEXT) | instid1(VALU_DEP_2)
	v_pk_add_f32 v[6:7], v[6:7], v[110:111] neg_lo:[0,1] neg_hi:[0,1]
	v_pk_fma_f32 v[108:109], v[106:107], v[94:95], v[104:105] op_sel:[0,0,1] op_sel_hi:[1,1,0] neg_lo:[0,0,1] neg_hi:[0,0,1]
	v_pk_fma_f32 v[104:105], v[106:107], v[94:95], v[104:105] op_sel:[0,0,1] op_sel_hi:[1,0,0]
	s_delay_alu instid0(VALU_DEP_1) | instskip(SKIP_4) | instid1(VALU_DEP_1)
	v_mov_b32_e32 v109, v105
	ds_load_2addr_b64 v[104:107], v98 offset0:37 offset1:38
	v_pk_add_f32 v[34:35], v[34:35], v[108:109] neg_lo:[0,1] neg_hi:[0,1]
	s_wait_dscnt 0x0
	v_pk_mul_f32 v[108:109], v[104:105], v[96:97] op_sel:[0,1]
	v_pk_fma_f32 v[110:111], v[104:105], v[94:95], v[108:109] op_sel:[0,0,1] op_sel_hi:[1,1,0] neg_lo:[0,0,1] neg_hi:[0,0,1]
	v_pk_fma_f32 v[104:105], v[104:105], v[94:95], v[108:109] op_sel:[0,0,1] op_sel_hi:[1,0,0]
	v_dual_mul_f32 v108, v107, v97 :: v_dual_mov_b32 v104, v107
	s_delay_alu instid0(VALU_DEP_2) | instskip(NEXT) | instid1(VALU_DEP_2)
	v_dual_mov_b32 v111, v105 :: v_dual_mov_b32 v105, v106
	v_pk_fma_f32 v[108:109], v[106:107], v[80:81], v[108:109] op_sel_hi:[1,1,0] neg_lo:[0,0,1] neg_hi:[0,0,1]
	v_mul_f32_e32 v106, v107, v94
	s_delay_alu instid0(VALU_DEP_3) | instskip(NEXT) | instid1(VALU_DEP_2)
	v_pk_add_f32 v[30:31], v[30:31], v[110:111] neg_lo:[0,1] neg_hi:[0,1]
	v_pk_fma_f32 v[104:105], v[104:105], v[80:81], v[106:107] op_sel_hi:[1,1,0]
	s_delay_alu instid0(VALU_DEP_1) | instskip(SKIP_4) | instid1(VALU_DEP_1)
	v_mov_b32_e32 v109, v105
	ds_load_2addr_b64 v[104:107], v98 offset0:39 offset1:40
	v_pk_add_f32 v[32:33], v[32:33], v[108:109] neg_lo:[0,1] neg_hi:[0,1]
	s_wait_dscnt 0x0
	v_pk_mul_f32 v[108:109], v[104:105], v[96:97] op_sel:[0,1]
	v_pk_fma_f32 v[110:111], v[104:105], v[94:95], v[108:109] op_sel:[0,0,1] op_sel_hi:[1,1,0] neg_lo:[0,0,1] neg_hi:[0,0,1]
	v_pk_fma_f32 v[104:105], v[104:105], v[94:95], v[108:109] op_sel:[0,0,1] op_sel_hi:[1,0,0]
	s_delay_alu instid0(VALU_DEP_1) | instskip(SKIP_1) | instid1(VALU_DEP_1)
	v_mov_b32_e32 v111, v105
	v_pk_mul_f32 v[104:105], v[106:107], v[96:97] op_sel:[0,1]
	v_pk_fma_f32 v[108:109], v[106:107], v[94:95], v[104:105] op_sel:[0,0,1] op_sel_hi:[1,1,0] neg_lo:[0,0,1] neg_hi:[0,0,1]
	v_pk_fma_f32 v[104:105], v[106:107], v[94:95], v[104:105] op_sel:[0,0,1] op_sel_hi:[1,0,0]
	s_delay_alu instid0(VALU_DEP_1)
	v_mov_b32_e32 v109, v105
	ds_load_2addr_b64 v[104:107], v98 offset0:41 offset1:42
	v_pk_add_f32 v[8:9], v[8:9], v[110:111] neg_lo:[0,1] neg_hi:[0,1]
	v_pk_add_f32 v[28:29], v[28:29], v[108:109] neg_lo:[0,1] neg_hi:[0,1]
	s_wait_dscnt 0x0
	v_pk_mul_f32 v[108:109], v[104:105], v[96:97] op_sel:[0,1]
	s_delay_alu instid0(VALU_DEP_1) | instskip(SKIP_1) | instid1(VALU_DEP_1)
	v_pk_fma_f32 v[110:111], v[104:105], v[94:95], v[108:109] op_sel:[0,0,1] op_sel_hi:[1,1,0] neg_lo:[0,0,1] neg_hi:[0,0,1]
	v_pk_fma_f32 v[104:105], v[104:105], v[94:95], v[108:109] op_sel:[0,0,1] op_sel_hi:[1,0,0]
	v_mov_b32_e32 v111, v105
	v_pk_mul_f32 v[104:105], v[106:107], v[96:97] op_sel:[0,1]
	s_delay_alu instid0(VALU_DEP_1) | instskip(SKIP_1) | instid1(VALU_DEP_1)
	v_pk_fma_f32 v[108:109], v[106:107], v[94:95], v[104:105] op_sel:[0,0,1] op_sel_hi:[1,1,0] neg_lo:[0,0,1] neg_hi:[0,0,1]
	v_pk_fma_f32 v[104:105], v[106:107], v[94:95], v[104:105] op_sel:[0,0,1] op_sel_hi:[1,0,0]
	v_mov_b32_e32 v109, v105
	ds_load_b64 v[104:105], v98 offset:344
	v_pk_add_f32 v[20:21], v[20:21], v[110:111] neg_lo:[0,1] neg_hi:[0,1]
	v_pk_add_f32 v[16:17], v[16:17], v[108:109] neg_lo:[0,1] neg_hi:[0,1]
	s_wait_dscnt 0x0
	v_pk_mul_f32 v[96:97], v[104:105], v[96:97] op_sel:[0,1]
	s_delay_alu instid0(VALU_DEP_1) | instskip(SKIP_1) | instid1(VALU_DEP_1)
	v_pk_fma_f32 v[106:107], v[104:105], v[94:95], v[96:97] op_sel:[0,0,1] op_sel_hi:[1,1,0] neg_lo:[0,0,1] neg_hi:[0,0,1]
	v_pk_fma_f32 v[94:95], v[104:105], v[94:95], v[96:97] op_sel:[0,0,1] op_sel_hi:[1,0,0]
	v_mov_b32_e32 v107, v95
	s_delay_alu instid0(VALU_DEP_1)
	v_pk_add_f32 v[92:93], v[92:93], v[106:107] neg_lo:[0,1] neg_hi:[0,1]
.LBB86_314:
	s_or_b32 exec_lo, exec_lo, s0
	v_lshl_add_u32 v94, v102, 3, v98
	s_barrier_signal -1
	s_barrier_wait -1
	ds_store_b64 v94, v[26:27]
	s_wait_dscnt 0x0
	s_barrier_signal -1
	s_barrier_wait -1
	ds_load_b64 v[96:97], v98 offset:120
	v_mov_b32_e32 v94, 15
	s_cmp_lt_i32 s18, 17
	s_cbranch_scc1 .LBB86_317
; %bb.315:
	v_add3_u32 v95, v99, 0, 0x80
	v_mov_b32_e32 v94, 15
	s_mov_b32 s0, 16
.LBB86_316:                             ; =>This Inner Loop Header: Depth=1
	ds_load_b64 v[104:105], v95
	s_wait_dscnt 0x1
	v_cmp_gt_f32_e32 vcc_lo, 0, v96
	v_cndmask_b32_e64 v106, v96, -v96, vcc_lo
	v_cmp_gt_f32_e32 vcc_lo, 0, v97
	v_cndmask_b32_e64 v108, v97, -v97, vcc_lo
	s_wait_dscnt 0x0
	v_cmp_gt_f32_e32 vcc_lo, 0, v104
	v_cndmask_b32_e64 v107, v104, -v104, vcc_lo
	v_cmp_gt_f32_e32 vcc_lo, 0, v105
	v_cndmask_b32_e64 v109, v105, -v105, vcc_lo
	s_delay_alu instid0(VALU_DEP_1) | instskip(NEXT) | instid1(VALU_DEP_1)
	v_pk_add_f32 v[106:107], v[106:107], v[108:109]
	v_cmp_lt_f32_e32 vcc_lo, v106, v107
	v_dual_add_nc_u32 v95, 8, v95 :: v_dual_cndmask_b32 v97, v97, v105, vcc_lo
	v_cndmask_b32_e32 v96, v96, v104, vcc_lo
	v_cndmask_b32_e64 v94, v94, s0, vcc_lo
	s_add_co_i32 s0, s0, 1
	s_delay_alu instid0(SALU_CYCLE_1)
	s_cmp_lg_u32 s18, s0
	s_cbranch_scc1 .LBB86_316
.LBB86_317:
	s_wait_dscnt 0x0
	v_cmp_eq_f32_e32 vcc_lo, 0, v96
	v_cmp_eq_f32_e64 s0, 0, v97
	s_and_b32 s0, vcc_lo, s0
	s_delay_alu instid0(SALU_CYCLE_1) | instskip(NEXT) | instid1(SALU_CYCLE_1)
	s_and_saveexec_b32 s1, s0
	s_xor_b32 s0, exec_lo, s1
; %bb.318:
	v_cmp_ne_u32_e32 vcc_lo, 0, v100
	v_cndmask_b32_e32 v100, 16, v100, vcc_lo
; %bb.319:
	s_and_not1_saveexec_b32 s0, s0
	s_cbranch_execz .LBB86_325
; %bb.320:
	v_cmp_ngt_f32_e64 s1, |v96|, |v97|
	s_and_saveexec_b32 s12, s1
	s_delay_alu instid0(SALU_CYCLE_1)
	s_xor_b32 s1, exec_lo, s12
	s_cbranch_execz .LBB86_322
; %bb.321:
	v_div_scale_f32 v95, null, v97, v97, v96
	v_div_scale_f32 v105, vcc_lo, v96, v97, v96
	s_delay_alu instid0(VALU_DEP_2) | instskip(SKIP_1) | instid1(TRANS32_DEP_1)
	v_rcp_f32_e32 v103, v95
	v_nop
	v_fma_f32 v104, -v95, v103, 1.0
	s_delay_alu instid0(VALU_DEP_1) | instskip(NEXT) | instid1(VALU_DEP_1)
	v_fmac_f32_e32 v103, v104, v103
	v_mul_f32_e32 v104, v105, v103
	s_delay_alu instid0(VALU_DEP_1) | instskip(NEXT) | instid1(VALU_DEP_1)
	v_fma_f32 v106, -v95, v104, v105
	v_fmac_f32_e32 v104, v106, v103
	s_delay_alu instid0(VALU_DEP_1) | instskip(NEXT) | instid1(VALU_DEP_1)
	v_fma_f32 v95, -v95, v104, v105
	v_div_fmas_f32 v95, v95, v103, v104
	s_delay_alu instid0(VALU_DEP_1) | instskip(NEXT) | instid1(VALU_DEP_1)
	v_div_fixup_f32 v95, v95, v97, v96
	v_fmac_f32_e32 v97, v96, v95
	s_delay_alu instid0(VALU_DEP_1) | instskip(SKIP_1) | instid1(VALU_DEP_2)
	v_div_scale_f32 v96, null, v97, v97, 1.0
	v_div_scale_f32 v105, vcc_lo, 1.0, v97, 1.0
	v_rcp_f32_e32 v103, v96
	v_nop
	s_delay_alu instid0(TRANS32_DEP_1) | instskip(NEXT) | instid1(VALU_DEP_1)
	v_fma_f32 v104, -v96, v103, 1.0
	v_fmac_f32_e32 v103, v104, v103
	s_delay_alu instid0(VALU_DEP_1) | instskip(NEXT) | instid1(VALU_DEP_1)
	v_mul_f32_e32 v104, v105, v103
	v_fma_f32 v106, -v96, v104, v105
	s_delay_alu instid0(VALU_DEP_1) | instskip(NEXT) | instid1(VALU_DEP_1)
	v_fmac_f32_e32 v104, v106, v103
	v_fma_f32 v96, -v96, v104, v105
	s_delay_alu instid0(VALU_DEP_1) | instskip(NEXT) | instid1(VALU_DEP_1)
	v_div_fmas_f32 v96, v96, v103, v104
	v_div_fixup_f32 v97, v96, v97, 1.0
	s_delay_alu instid0(VALU_DEP_1)
	v_mul_f32_e32 v96, v95, v97
	v_xor_b32_e32 v97, 0x80000000, v97
.LBB86_322:
	s_and_not1_saveexec_b32 s1, s1
	s_cbranch_execz .LBB86_324
; %bb.323:
	s_delay_alu instid0(VALU_DEP_1) | instskip(SKIP_1) | instid1(VALU_DEP_2)
	v_div_scale_f32 v95, null, v96, v96, v97
	v_div_scale_f32 v105, vcc_lo, v97, v96, v97
	v_rcp_f32_e32 v103, v95
	v_nop
	s_delay_alu instid0(TRANS32_DEP_1) | instskip(NEXT) | instid1(VALU_DEP_1)
	v_fma_f32 v104, -v95, v103, 1.0
	v_fmac_f32_e32 v103, v104, v103
	s_delay_alu instid0(VALU_DEP_1) | instskip(NEXT) | instid1(VALU_DEP_1)
	v_mul_f32_e32 v104, v105, v103
	v_fma_f32 v106, -v95, v104, v105
	s_delay_alu instid0(VALU_DEP_1) | instskip(NEXT) | instid1(VALU_DEP_1)
	v_fmac_f32_e32 v104, v106, v103
	v_fma_f32 v95, -v95, v104, v105
	s_delay_alu instid0(VALU_DEP_1) | instskip(NEXT) | instid1(VALU_DEP_1)
	v_div_fmas_f32 v95, v95, v103, v104
	v_div_fixup_f32 v95, v95, v96, v97
	s_delay_alu instid0(VALU_DEP_1) | instskip(NEXT) | instid1(VALU_DEP_1)
	v_fmac_f32_e32 v96, v97, v95
	v_div_scale_f32 v97, null, v96, v96, 1.0
	s_delay_alu instid0(VALU_DEP_1) | instskip(SKIP_1) | instid1(TRANS32_DEP_1)
	v_rcp_f32_e32 v103, v97
	v_nop
	v_fma_f32 v104, -v97, v103, 1.0
	s_delay_alu instid0(VALU_DEP_1) | instskip(SKIP_1) | instid1(VALU_DEP_1)
	v_fmac_f32_e32 v103, v104, v103
	v_div_scale_f32 v104, vcc_lo, 1.0, v96, 1.0
	v_mul_f32_e32 v105, v104, v103
	s_delay_alu instid0(VALU_DEP_1) | instskip(NEXT) | instid1(VALU_DEP_1)
	v_fma_f32 v106, -v97, v105, v104
	v_fmac_f32_e32 v105, v106, v103
	s_delay_alu instid0(VALU_DEP_1) | instskip(NEXT) | instid1(VALU_DEP_1)
	v_fma_f32 v97, -v97, v105, v104
	v_div_fmas_f32 v97, v97, v103, v105
	s_delay_alu instid0(VALU_DEP_1) | instskip(NEXT) | instid1(VALU_DEP_1)
	v_div_fixup_f32 v96, v97, v96, 1.0
	v_mul_f32_e64 v97, v95, -v96
.LBB86_324:
	s_or_b32 exec_lo, exec_lo, s1
.LBB86_325:
	s_delay_alu instid0(SALU_CYCLE_1) | instskip(NEXT) | instid1(SALU_CYCLE_1)
	s_or_b32 exec_lo, exec_lo, s0
	s_mov_b32 s0, exec_lo
	v_cmpx_ne_u32_e64 v102, v94
	s_xor_b32 s0, exec_lo, s0
	s_cbranch_execz .LBB86_331
; %bb.326:
	s_mov_b32 s1, exec_lo
	v_cmpx_eq_u32_e32 15, v102
	s_cbranch_execz .LBB86_330
; %bb.327:
	v_cmp_ne_u32_e32 vcc_lo, 15, v94
	s_xor_b32 s12, s16, -1
	s_delay_alu instid0(SALU_CYCLE_1) | instskip(NEXT) | instid1(SALU_CYCLE_1)
	s_and_b32 s13, s12, vcc_lo
	s_and_saveexec_b32 s12, s13
	s_cbranch_execz .LBB86_329
; %bb.328:
	v_ashrrev_i32_e32 v95, 31, v94
	s_delay_alu instid0(VALU_DEP_1)
	v_lshl_add_u64 v[102:103], v[94:95], 2, v[4:5]
	s_clause 0x1
	global_load_b32 v95, v[102:103], off
	global_load_b32 v101, v[4:5], off offset:60
	s_wait_loadcnt 0x1
	global_store_b32 v[4:5], v95, off offset:60
	s_wait_loadcnt 0x0
	global_store_b32 v[102:103], v101, off
.LBB86_329:
	s_wait_xcnt 0x0
	s_or_b32 exec_lo, exec_lo, s12
	v_dual_mov_b32 v102, v94 :: v_dual_mov_b32 v101, v94
.LBB86_330:
	s_or_b32 exec_lo, exec_lo, s1
.LBB86_331:
	s_and_not1_saveexec_b32 s0, s0
	s_cbranch_execz .LBB86_333
; %bb.332:
	v_dual_mov_b32 v94, v76 :: v_dual_mov_b32 v95, v77
	v_dual_mov_b32 v102, v72 :: v_dual_mov_b32 v103, v73
	;; [unrolled: 1-line block ×8, first 2 shown]
	ds_store_2addr_b64 v98, v[94:95], v[102:103] offset0:16 offset1:17
	ds_store_2addr_b64 v98, v[104:105], v[106:107] offset0:18 offset1:19
	ds_store_2addr_b64 v98, v[108:109], v[110:111] offset0:20 offset1:21
	ds_store_2addr_b64 v98, v[112:113], v[114:115] offset0:22 offset1:23
	v_dual_mov_b32 v94, v54 :: v_dual_mov_b32 v95, v55
	v_dual_mov_b32 v102, v48 :: v_dual_mov_b32 v103, v49
	;; [unrolled: 1-line block ×12, first 2 shown]
	ds_store_2addr_b64 v98, v[94:95], v[102:103] offset0:24 offset1:25
	ds_store_2addr_b64 v98, v[104:105], v[106:107] offset0:26 offset1:27
	;; [unrolled: 1-line block ×6, first 2 shown]
	v_dual_mov_b32 v94, v34 :: v_dual_mov_b32 v95, v35
	v_dual_mov_b32 v104, v30 :: v_dual_mov_b32 v105, v31
	;; [unrolled: 1-line block ×7, first 2 shown]
	v_mov_b32_e32 v115, v17
	ds_store_2addr_b64 v98, v[94:95], v[104:105] offset0:36 offset1:37
	ds_store_2addr_b64 v98, v[106:107], v[108:109] offset0:38 offset1:39
	;; [unrolled: 1-line block ×4, first 2 shown]
.LBB86_333:
	s_or_b32 exec_lo, exec_lo, s0
	s_delay_alu instid0(SALU_CYCLE_1)
	s_mov_b32 s0, exec_lo
	s_wait_storecnt_dscnt 0x0
	s_barrier_signal -1
	s_barrier_wait -1
	v_cmpx_lt_i32_e32 15, v102
	s_cbranch_execz .LBB86_335
; %bb.334:
	v_pk_mul_f32 v[104:105], v[96:97], v[26:27] op_sel:[1,1] op_sel_hi:[0,1]
	s_delay_alu instid0(VALU_DEP_1)
	v_pk_fma_f32 v[94:95], v[96:97], v[26:27], v[104:105] op_sel_hi:[1,0,1] neg_lo:[0,0,1] neg_hi:[0,0,1]
	v_pk_fma_f32 v[96:97], v[96:97], v[26:27], v[104:105] op_sel_hi:[1,0,1]
	ds_load_2addr_b64 v[104:107], v98 offset0:16 offset1:17
	v_dual_mov_b32 v26, v94 :: v_dual_mov_b32 v27, v97
	s_wait_dscnt 0x0
	v_pk_mul_f32 v[108:109], v[104:105], v[96:97] op_sel:[0,1]
	s_delay_alu instid0(VALU_DEP_1) | instskip(SKIP_1) | instid1(VALU_DEP_1)
	v_pk_fma_f32 v[110:111], v[104:105], v[94:95], v[108:109] op_sel:[0,0,1] op_sel_hi:[1,1,0] neg_lo:[0,0,1] neg_hi:[0,0,1]
	v_pk_fma_f32 v[104:105], v[104:105], v[94:95], v[108:109] op_sel:[0,0,1] op_sel_hi:[1,0,0]
	v_mov_b32_e32 v111, v105
	v_pk_mul_f32 v[104:105], v[106:107], v[96:97] op_sel:[0,1]
	s_delay_alu instid0(VALU_DEP_1) | instskip(SKIP_1) | instid1(VALU_DEP_1)
	v_pk_fma_f32 v[108:109], v[106:107], v[94:95], v[104:105] op_sel:[0,0,1] op_sel_hi:[1,1,0] neg_lo:[0,0,1] neg_hi:[0,0,1]
	v_pk_fma_f32 v[104:105], v[106:107], v[94:95], v[104:105] op_sel:[0,0,1] op_sel_hi:[1,0,0]
	v_mov_b32_e32 v109, v105
	ds_load_2addr_b64 v[104:107], v98 offset0:18 offset1:19
	v_pk_add_f32 v[76:77], v[76:77], v[110:111] neg_lo:[0,1] neg_hi:[0,1]
	v_pk_add_f32 v[72:73], v[72:73], v[108:109] neg_lo:[0,1] neg_hi:[0,1]
	s_wait_dscnt 0x0
	v_pk_mul_f32 v[108:109], v[104:105], v[96:97] op_sel:[0,1]
	s_delay_alu instid0(VALU_DEP_1) | instskip(SKIP_2) | instid1(VALU_DEP_2)
	v_pk_fma_f32 v[110:111], v[104:105], v[94:95], v[108:109] op_sel:[0,0,1] op_sel_hi:[1,1,0] neg_lo:[0,0,1] neg_hi:[0,0,1]
	v_pk_fma_f32 v[104:105], v[104:105], v[94:95], v[108:109] op_sel:[0,0,1] op_sel_hi:[1,0,0]
	v_dual_mul_f32 v108, v107, v97 :: v_dual_mov_b32 v104, v107
	v_dual_mov_b32 v111, v105 :: v_dual_mov_b32 v105, v106
	s_delay_alu instid0(VALU_DEP_2) | instskip(SKIP_1) | instid1(VALU_DEP_3)
	v_pk_fma_f32 v[108:109], v[106:107], v[26:27], v[108:109] op_sel_hi:[1,1,0] neg_lo:[0,0,1] neg_hi:[0,0,1]
	v_mul_f32_e32 v106, v107, v94
	v_pk_add_f32 v[74:75], v[74:75], v[110:111] neg_lo:[0,1] neg_hi:[0,1]
	s_delay_alu instid0(VALU_DEP_2) | instskip(NEXT) | instid1(VALU_DEP_1)
	v_pk_fma_f32 v[104:105], v[104:105], v[26:27], v[106:107] op_sel_hi:[1,1,0]
	v_mov_b32_e32 v109, v105
	ds_load_2addr_b64 v[104:107], v98 offset0:20 offset1:21
	v_pk_add_f32 v[24:25], v[24:25], v[108:109] neg_lo:[0,1] neg_hi:[0,1]
	s_wait_dscnt 0x0
	v_pk_mul_f32 v[108:109], v[104:105], v[96:97] op_sel:[0,1]
	s_delay_alu instid0(VALU_DEP_1) | instskip(SKIP_1) | instid1(VALU_DEP_1)
	v_pk_fma_f32 v[110:111], v[104:105], v[94:95], v[108:109] op_sel:[0,0,1] op_sel_hi:[1,1,0] neg_lo:[0,0,1] neg_hi:[0,0,1]
	v_pk_fma_f32 v[104:105], v[104:105], v[94:95], v[108:109] op_sel:[0,0,1] op_sel_hi:[1,0,0]
	v_mov_b32_e32 v111, v105
	v_pk_mul_f32 v[104:105], v[106:107], v[96:97] op_sel:[0,1]
	s_delay_alu instid0(VALU_DEP_1) | instskip(SKIP_1) | instid1(VALU_DEP_1)
	v_pk_fma_f32 v[108:109], v[106:107], v[94:95], v[104:105] op_sel:[0,0,1] op_sel_hi:[1,1,0] neg_lo:[0,0,1] neg_hi:[0,0,1]
	v_pk_fma_f32 v[104:105], v[106:107], v[94:95], v[104:105] op_sel:[0,0,1] op_sel_hi:[1,0,0]
	v_mov_b32_e32 v109, v105
	ds_load_2addr_b64 v[104:107], v98 offset0:22 offset1:23
	v_pk_add_f32 v[70:71], v[70:71], v[110:111] neg_lo:[0,1] neg_hi:[0,1]
	v_pk_add_f32 v[66:67], v[66:67], v[108:109] neg_lo:[0,1] neg_hi:[0,1]
	s_wait_dscnt 0x0
	v_pk_mul_f32 v[108:109], v[104:105], v[96:97] op_sel:[0,1]
	s_delay_alu instid0(VALU_DEP_1) | instskip(SKIP_1) | instid1(VALU_DEP_1)
	v_pk_fma_f32 v[110:111], v[104:105], v[94:95], v[108:109] op_sel:[0,0,1] op_sel_hi:[1,1,0] neg_lo:[0,0,1] neg_hi:[0,0,1]
	v_pk_fma_f32 v[104:105], v[104:105], v[94:95], v[108:109] op_sel:[0,0,1] op_sel_hi:[1,0,0]
	v_mov_b32_e32 v111, v105
	v_pk_mul_f32 v[104:105], v[106:107], v[96:97] op_sel:[0,1]
	s_delay_alu instid0(VALU_DEP_1) | instskip(SKIP_1) | instid1(VALU_DEP_1)
	v_pk_fma_f32 v[108:109], v[106:107], v[94:95], v[104:105] op_sel:[0,0,1] op_sel_hi:[1,1,0] neg_lo:[0,0,1] neg_hi:[0,0,1]
	v_pk_fma_f32 v[104:105], v[106:107], v[94:95], v[104:105] op_sel:[0,0,1] op_sel_hi:[1,0,0]
	v_mov_b32_e32 v109, v105
	ds_load_2addr_b64 v[104:107], v98 offset0:24 offset1:25
	v_pk_add_f32 v[68:69], v[68:69], v[110:111] neg_lo:[0,1] neg_hi:[0,1]
	v_pk_add_f32 v[22:23], v[22:23], v[108:109] neg_lo:[0,1] neg_hi:[0,1]
	s_wait_dscnt 0x0
	v_dual_mul_f32 v108, v105, v97 :: v_dual_mul_f32 v110, v105, v94
	s_delay_alu instid0(VALU_DEP_1) | instskip(NEXT) | instid1(VALU_DEP_2)
	v_pk_fma_f32 v[108:109], v[104:105], v[26:27], v[108:109] op_sel_hi:[1,1,0] neg_lo:[0,0,1] neg_hi:[0,0,1]
	v_pk_fma_f32 v[104:105], v[104:105], v[26:27], v[110:111] op_sel:[1,0,0] op_sel_hi:[0,1,0]
	s_delay_alu instid0(VALU_DEP_1) | instskip(SKIP_1) | instid1(VALU_DEP_2)
	v_mov_b32_e32 v109, v105
	v_pk_mul_f32 v[104:105], v[106:107], v[96:97] op_sel:[0,1]
	v_pk_add_f32 v[54:55], v[54:55], v[108:109] neg_lo:[0,1] neg_hi:[0,1]
	s_delay_alu instid0(VALU_DEP_2) | instskip(SKIP_1) | instid1(VALU_DEP_1)
	v_pk_fma_f32 v[108:109], v[106:107], v[94:95], v[104:105] op_sel:[0,0,1] op_sel_hi:[1,1,0] neg_lo:[0,0,1] neg_hi:[0,0,1]
	v_pk_fma_f32 v[104:105], v[106:107], v[94:95], v[104:105] op_sel:[0,0,1] op_sel_hi:[1,0,0]
	v_mov_b32_e32 v109, v105
	ds_load_2addr_b64 v[104:107], v98 offset0:26 offset1:27
	v_pk_add_f32 v[48:49], v[48:49], v[108:109] neg_lo:[0,1] neg_hi:[0,1]
	s_wait_dscnt 0x0
	v_pk_mul_f32 v[108:109], v[104:105], v[96:97] op_sel:[0,1]
	s_delay_alu instid0(VALU_DEP_1) | instskip(SKIP_1) | instid1(VALU_DEP_1)
	v_pk_fma_f32 v[110:111], v[104:105], v[94:95], v[108:109] op_sel:[0,0,1] op_sel_hi:[1,1,0] neg_lo:[0,0,1] neg_hi:[0,0,1]
	v_pk_fma_f32 v[104:105], v[104:105], v[94:95], v[108:109] op_sel:[0,0,1] op_sel_hi:[1,0,0]
	v_mov_b32_e32 v111, v105
	v_pk_mul_f32 v[104:105], v[106:107], v[96:97] op_sel:[0,1]
	s_delay_alu instid0(VALU_DEP_2) | instskip(NEXT) | instid1(VALU_DEP_2)
	v_pk_add_f32 v[52:53], v[52:53], v[110:111] neg_lo:[0,1] neg_hi:[0,1]
	v_pk_fma_f32 v[108:109], v[106:107], v[94:95], v[104:105] op_sel:[0,0,1] op_sel_hi:[1,1,0] neg_lo:[0,0,1] neg_hi:[0,0,1]
	v_pk_fma_f32 v[104:105], v[106:107], v[94:95], v[104:105] op_sel:[0,0,1] op_sel_hi:[1,0,0]
	s_delay_alu instid0(VALU_DEP_1) | instskip(SKIP_4) | instid1(VALU_DEP_1)
	v_mov_b32_e32 v109, v105
	ds_load_2addr_b64 v[104:107], v98 offset0:28 offset1:29
	v_pk_add_f32 v[12:13], v[12:13], v[108:109] neg_lo:[0,1] neg_hi:[0,1]
	s_wait_dscnt 0x0
	v_pk_mul_f32 v[108:109], v[104:105], v[96:97] op_sel:[0,1]
	v_pk_fma_f32 v[110:111], v[104:105], v[94:95], v[108:109] op_sel:[0,0,1] op_sel_hi:[1,1,0] neg_lo:[0,0,1] neg_hi:[0,0,1]
	v_pk_fma_f32 v[104:105], v[104:105], v[94:95], v[108:109] op_sel:[0,0,1] op_sel_hi:[1,0,0]
	v_dual_mul_f32 v108, v107, v97 :: v_dual_mov_b32 v104, v107
	s_delay_alu instid0(VALU_DEP_2) | instskip(NEXT) | instid1(VALU_DEP_2)
	v_dual_mov_b32 v111, v105 :: v_dual_mov_b32 v105, v106
	v_pk_fma_f32 v[108:109], v[106:107], v[26:27], v[108:109] op_sel_hi:[1,1,0] neg_lo:[0,0,1] neg_hi:[0,0,1]
	v_mul_f32_e32 v106, v107, v94
	s_delay_alu instid0(VALU_DEP_3) | instskip(NEXT) | instid1(VALU_DEP_2)
	v_pk_add_f32 v[46:47], v[46:47], v[110:111] neg_lo:[0,1] neg_hi:[0,1]
	v_pk_fma_f32 v[104:105], v[104:105], v[26:27], v[106:107] op_sel_hi:[1,1,0]
	s_delay_alu instid0(VALU_DEP_1) | instskip(SKIP_4) | instid1(VALU_DEP_1)
	v_mov_b32_e32 v109, v105
	ds_load_2addr_b64 v[104:107], v98 offset0:30 offset1:31
	v_pk_add_f32 v[42:43], v[42:43], v[108:109] neg_lo:[0,1] neg_hi:[0,1]
	s_wait_dscnt 0x0
	v_pk_mul_f32 v[108:109], v[104:105], v[96:97] op_sel:[0,1]
	v_pk_fma_f32 v[110:111], v[104:105], v[94:95], v[108:109] op_sel:[0,0,1] op_sel_hi:[1,1,0] neg_lo:[0,0,1] neg_hi:[0,0,1]
	v_pk_fma_f32 v[104:105], v[104:105], v[94:95], v[108:109] op_sel:[0,0,1] op_sel_hi:[1,0,0]
	s_delay_alu instid0(VALU_DEP_1) | instskip(SKIP_1) | instid1(VALU_DEP_1)
	v_mov_b32_e32 v111, v105
	v_pk_mul_f32 v[104:105], v[106:107], v[96:97] op_sel:[0,1]
	v_pk_fma_f32 v[108:109], v[106:107], v[94:95], v[104:105] op_sel:[0,0,1] op_sel_hi:[1,1,0] neg_lo:[0,0,1] neg_hi:[0,0,1]
	v_pk_fma_f32 v[104:105], v[106:107], v[94:95], v[104:105] op_sel:[0,0,1] op_sel_hi:[1,0,0]
	s_delay_alu instid0(VALU_DEP_1)
	v_mov_b32_e32 v109, v105
	ds_load_2addr_b64 v[104:107], v98 offset0:32 offset1:33
	v_pk_add_f32 v[44:45], v[44:45], v[110:111] neg_lo:[0,1] neg_hi:[0,1]
	v_pk_add_f32 v[10:11], v[10:11], v[108:109] neg_lo:[0,1] neg_hi:[0,1]
	s_wait_dscnt 0x0
	v_pk_mul_f32 v[108:109], v[104:105], v[96:97] op_sel:[0,1]
	s_delay_alu instid0(VALU_DEP_1) | instskip(SKIP_1) | instid1(VALU_DEP_1)
	v_pk_fma_f32 v[110:111], v[104:105], v[94:95], v[108:109] op_sel:[0,0,1] op_sel_hi:[1,1,0] neg_lo:[0,0,1] neg_hi:[0,0,1]
	v_pk_fma_f32 v[104:105], v[104:105], v[94:95], v[108:109] op_sel:[0,0,1] op_sel_hi:[1,0,0]
	v_mov_b32_e32 v111, v105
	v_pk_mul_f32 v[104:105], v[106:107], v[96:97] op_sel:[0,1]
	s_delay_alu instid0(VALU_DEP_1) | instskip(SKIP_1) | instid1(VALU_DEP_1)
	v_pk_fma_f32 v[108:109], v[106:107], v[94:95], v[104:105] op_sel:[0,0,1] op_sel_hi:[1,1,0] neg_lo:[0,0,1] neg_hi:[0,0,1]
	v_pk_fma_f32 v[104:105], v[106:107], v[94:95], v[104:105] op_sel:[0,0,1] op_sel_hi:[1,0,0]
	v_mov_b32_e32 v109, v105
	ds_load_2addr_b64 v[104:107], v98 offset0:34 offset1:35
	v_pk_add_f32 v[40:41], v[40:41], v[110:111] neg_lo:[0,1] neg_hi:[0,1]
	v_pk_add_f32 v[36:37], v[36:37], v[108:109] neg_lo:[0,1] neg_hi:[0,1]
	s_wait_dscnt 0x0
	v_dual_mul_f32 v108, v105, v97 :: v_dual_mul_f32 v110, v105, v94
	s_delay_alu instid0(VALU_DEP_1) | instskip(NEXT) | instid1(VALU_DEP_2)
	v_pk_fma_f32 v[108:109], v[104:105], v[26:27], v[108:109] op_sel_hi:[1,1,0] neg_lo:[0,0,1] neg_hi:[0,0,1]
	v_pk_fma_f32 v[104:105], v[104:105], v[26:27], v[110:111] op_sel:[1,0,0] op_sel_hi:[0,1,0]
	s_delay_alu instid0(VALU_DEP_1) | instskip(SKIP_1) | instid1(VALU_DEP_2)
	v_mov_b32_e32 v109, v105
	v_pk_mul_f32 v[104:105], v[106:107], v[96:97] op_sel:[0,1]
	v_pk_add_f32 v[38:39], v[38:39], v[108:109] neg_lo:[0,1] neg_hi:[0,1]
	s_delay_alu instid0(VALU_DEP_2) | instskip(SKIP_1) | instid1(VALU_DEP_1)
	v_pk_fma_f32 v[108:109], v[106:107], v[94:95], v[104:105] op_sel:[0,0,1] op_sel_hi:[1,1,0] neg_lo:[0,0,1] neg_hi:[0,0,1]
	v_pk_fma_f32 v[104:105], v[106:107], v[94:95], v[104:105] op_sel:[0,0,1] op_sel_hi:[1,0,0]
	v_mov_b32_e32 v109, v105
	ds_load_2addr_b64 v[104:107], v98 offset0:36 offset1:37
	v_pk_add_f32 v[6:7], v[6:7], v[108:109] neg_lo:[0,1] neg_hi:[0,1]
	s_wait_dscnt 0x0
	v_pk_mul_f32 v[108:109], v[104:105], v[96:97] op_sel:[0,1]
	s_delay_alu instid0(VALU_DEP_1) | instskip(SKIP_1) | instid1(VALU_DEP_1)
	v_pk_fma_f32 v[110:111], v[104:105], v[94:95], v[108:109] op_sel:[0,0,1] op_sel_hi:[1,1,0] neg_lo:[0,0,1] neg_hi:[0,0,1]
	v_pk_fma_f32 v[104:105], v[104:105], v[94:95], v[108:109] op_sel:[0,0,1] op_sel_hi:[1,0,0]
	v_mov_b32_e32 v111, v105
	v_pk_mul_f32 v[104:105], v[106:107], v[96:97] op_sel:[0,1]
	s_delay_alu instid0(VALU_DEP_2) | instskip(NEXT) | instid1(VALU_DEP_2)
	v_pk_add_f32 v[34:35], v[34:35], v[110:111] neg_lo:[0,1] neg_hi:[0,1]
	v_pk_fma_f32 v[108:109], v[106:107], v[94:95], v[104:105] op_sel:[0,0,1] op_sel_hi:[1,1,0] neg_lo:[0,0,1] neg_hi:[0,0,1]
	v_pk_fma_f32 v[104:105], v[106:107], v[94:95], v[104:105] op_sel:[0,0,1] op_sel_hi:[1,0,0]
	s_delay_alu instid0(VALU_DEP_1) | instskip(SKIP_4) | instid1(VALU_DEP_1)
	v_mov_b32_e32 v109, v105
	ds_load_2addr_b64 v[104:107], v98 offset0:38 offset1:39
	v_pk_add_f32 v[30:31], v[30:31], v[108:109] neg_lo:[0,1] neg_hi:[0,1]
	s_wait_dscnt 0x0
	v_pk_mul_f32 v[108:109], v[104:105], v[96:97] op_sel:[0,1]
	v_pk_fma_f32 v[110:111], v[104:105], v[94:95], v[108:109] op_sel:[0,0,1] op_sel_hi:[1,1,0] neg_lo:[0,0,1] neg_hi:[0,0,1]
	v_pk_fma_f32 v[104:105], v[104:105], v[94:95], v[108:109] op_sel:[0,0,1] op_sel_hi:[1,0,0]
	v_dual_mul_f32 v108, v107, v97 :: v_dual_mov_b32 v104, v107
	s_delay_alu instid0(VALU_DEP_2) | instskip(NEXT) | instid1(VALU_DEP_2)
	v_dual_mov_b32 v111, v105 :: v_dual_mov_b32 v105, v106
	v_pk_fma_f32 v[108:109], v[106:107], v[26:27], v[108:109] op_sel_hi:[1,1,0] neg_lo:[0,0,1] neg_hi:[0,0,1]
	v_mul_f32_e32 v106, v107, v94
	s_delay_alu instid0(VALU_DEP_3) | instskip(NEXT) | instid1(VALU_DEP_2)
	v_pk_add_f32 v[32:33], v[32:33], v[110:111] neg_lo:[0,1] neg_hi:[0,1]
	v_pk_fma_f32 v[104:105], v[104:105], v[26:27], v[106:107] op_sel_hi:[1,1,0]
	s_delay_alu instid0(VALU_DEP_1) | instskip(SKIP_4) | instid1(VALU_DEP_1)
	v_mov_b32_e32 v109, v105
	ds_load_2addr_b64 v[104:107], v98 offset0:40 offset1:41
	v_pk_add_f32 v[8:9], v[8:9], v[108:109] neg_lo:[0,1] neg_hi:[0,1]
	s_wait_dscnt 0x0
	v_pk_mul_f32 v[108:109], v[104:105], v[96:97] op_sel:[0,1]
	v_pk_fma_f32 v[110:111], v[104:105], v[94:95], v[108:109] op_sel:[0,0,1] op_sel_hi:[1,1,0] neg_lo:[0,0,1] neg_hi:[0,0,1]
	v_pk_fma_f32 v[104:105], v[104:105], v[94:95], v[108:109] op_sel:[0,0,1] op_sel_hi:[1,0,0]
	s_delay_alu instid0(VALU_DEP_1) | instskip(SKIP_1) | instid1(VALU_DEP_1)
	v_mov_b32_e32 v111, v105
	v_pk_mul_f32 v[104:105], v[106:107], v[96:97] op_sel:[0,1]
	v_pk_fma_f32 v[108:109], v[106:107], v[94:95], v[104:105] op_sel:[0,0,1] op_sel_hi:[1,1,0] neg_lo:[0,0,1] neg_hi:[0,0,1]
	v_pk_fma_f32 v[104:105], v[106:107], v[94:95], v[104:105] op_sel:[0,0,1] op_sel_hi:[1,0,0]
	s_delay_alu instid0(VALU_DEP_1)
	v_mov_b32_e32 v109, v105
	ds_load_2addr_b64 v[104:107], v98 offset0:42 offset1:43
	v_pk_add_f32 v[28:29], v[28:29], v[110:111] neg_lo:[0,1] neg_hi:[0,1]
	v_pk_add_f32 v[20:21], v[20:21], v[108:109] neg_lo:[0,1] neg_hi:[0,1]
	s_wait_dscnt 0x0
	v_pk_mul_f32 v[108:109], v[104:105], v[96:97] op_sel:[0,1]
	v_pk_mul_f32 v[96:97], v[106:107], v[96:97] op_sel:[0,1]
	s_delay_alu instid0(VALU_DEP_2) | instskip(SKIP_1) | instid1(VALU_DEP_1)
	v_pk_fma_f32 v[110:111], v[104:105], v[94:95], v[108:109] op_sel:[0,0,1] op_sel_hi:[1,1,0] neg_lo:[0,0,1] neg_hi:[0,0,1]
	v_pk_fma_f32 v[104:105], v[104:105], v[94:95], v[108:109] op_sel:[0,0,1] op_sel_hi:[1,0,0]
	v_mov_b32_e32 v111, v105
	s_delay_alu instid0(VALU_DEP_4) | instskip(SKIP_1) | instid1(VALU_DEP_1)
	v_pk_fma_f32 v[104:105], v[106:107], v[94:95], v[96:97] op_sel:[0,0,1] op_sel_hi:[1,1,0] neg_lo:[0,0,1] neg_hi:[0,0,1]
	v_pk_fma_f32 v[94:95], v[106:107], v[94:95], v[96:97] op_sel:[0,0,1] op_sel_hi:[1,0,0]
	v_mov_b32_e32 v105, v95
	s_delay_alu instid0(VALU_DEP_4) | instskip(NEXT) | instid1(VALU_DEP_2)
	v_pk_add_f32 v[16:17], v[16:17], v[110:111] neg_lo:[0,1] neg_hi:[0,1]
	v_pk_add_f32 v[92:93], v[92:93], v[104:105] neg_lo:[0,1] neg_hi:[0,1]
.LBB86_335:
	s_or_b32 exec_lo, exec_lo, s0
	v_lshl_add_u32 v94, v102, 3, v98
	s_barrier_signal -1
	s_barrier_wait -1
	ds_store_b64 v94, v[76:77]
	s_wait_dscnt 0x0
	s_barrier_signal -1
	s_barrier_wait -1
	ds_load_b64 v[96:97], v98 offset:128
	v_mov_b32_e32 v94, 16
	s_cmp_lt_i32 s18, 18
	s_cbranch_scc1 .LBB86_338
; %bb.336:
	v_add3_u32 v95, v99, 0, 0x88
	v_mov_b32_e32 v94, 16
	s_mov_b32 s0, 17
.LBB86_337:                             ; =>This Inner Loop Header: Depth=1
	ds_load_b64 v[104:105], v95
	s_wait_dscnt 0x1
	v_cmp_gt_f32_e32 vcc_lo, 0, v96
	v_cndmask_b32_e64 v106, v96, -v96, vcc_lo
	v_cmp_gt_f32_e32 vcc_lo, 0, v97
	v_cndmask_b32_e64 v108, v97, -v97, vcc_lo
	s_wait_dscnt 0x0
	v_cmp_gt_f32_e32 vcc_lo, 0, v104
	v_cndmask_b32_e64 v107, v104, -v104, vcc_lo
	v_cmp_gt_f32_e32 vcc_lo, 0, v105
	v_cndmask_b32_e64 v109, v105, -v105, vcc_lo
	s_delay_alu instid0(VALU_DEP_1) | instskip(NEXT) | instid1(VALU_DEP_1)
	v_pk_add_f32 v[106:107], v[106:107], v[108:109]
	v_cmp_lt_f32_e32 vcc_lo, v106, v107
	v_dual_add_nc_u32 v95, 8, v95 :: v_dual_cndmask_b32 v97, v97, v105, vcc_lo
	v_cndmask_b32_e32 v96, v96, v104, vcc_lo
	v_cndmask_b32_e64 v94, v94, s0, vcc_lo
	s_add_co_i32 s0, s0, 1
	s_delay_alu instid0(SALU_CYCLE_1)
	s_cmp_lg_u32 s18, s0
	s_cbranch_scc1 .LBB86_337
.LBB86_338:
	s_wait_dscnt 0x0
	v_cmp_eq_f32_e32 vcc_lo, 0, v96
	v_cmp_eq_f32_e64 s0, 0, v97
	s_and_b32 s0, vcc_lo, s0
	s_delay_alu instid0(SALU_CYCLE_1) | instskip(NEXT) | instid1(SALU_CYCLE_1)
	s_and_saveexec_b32 s1, s0
	s_xor_b32 s0, exec_lo, s1
; %bb.339:
	v_cmp_ne_u32_e32 vcc_lo, 0, v100
	v_cndmask_b32_e32 v100, 17, v100, vcc_lo
; %bb.340:
	s_and_not1_saveexec_b32 s0, s0
	s_cbranch_execz .LBB86_346
; %bb.341:
	v_cmp_ngt_f32_e64 s1, |v96|, |v97|
	s_and_saveexec_b32 s12, s1
	s_delay_alu instid0(SALU_CYCLE_1)
	s_xor_b32 s1, exec_lo, s12
	s_cbranch_execz .LBB86_343
; %bb.342:
	v_div_scale_f32 v95, null, v97, v97, v96
	v_div_scale_f32 v105, vcc_lo, v96, v97, v96
	s_delay_alu instid0(VALU_DEP_2) | instskip(SKIP_1) | instid1(TRANS32_DEP_1)
	v_rcp_f32_e32 v103, v95
	v_nop
	v_fma_f32 v104, -v95, v103, 1.0
	s_delay_alu instid0(VALU_DEP_1) | instskip(NEXT) | instid1(VALU_DEP_1)
	v_fmac_f32_e32 v103, v104, v103
	v_mul_f32_e32 v104, v105, v103
	s_delay_alu instid0(VALU_DEP_1) | instskip(NEXT) | instid1(VALU_DEP_1)
	v_fma_f32 v106, -v95, v104, v105
	v_fmac_f32_e32 v104, v106, v103
	s_delay_alu instid0(VALU_DEP_1) | instskip(NEXT) | instid1(VALU_DEP_1)
	v_fma_f32 v95, -v95, v104, v105
	v_div_fmas_f32 v95, v95, v103, v104
	s_delay_alu instid0(VALU_DEP_1) | instskip(NEXT) | instid1(VALU_DEP_1)
	v_div_fixup_f32 v95, v95, v97, v96
	v_fmac_f32_e32 v97, v96, v95
	s_delay_alu instid0(VALU_DEP_1) | instskip(SKIP_1) | instid1(VALU_DEP_2)
	v_div_scale_f32 v96, null, v97, v97, 1.0
	v_div_scale_f32 v105, vcc_lo, 1.0, v97, 1.0
	v_rcp_f32_e32 v103, v96
	v_nop
	s_delay_alu instid0(TRANS32_DEP_1) | instskip(NEXT) | instid1(VALU_DEP_1)
	v_fma_f32 v104, -v96, v103, 1.0
	v_fmac_f32_e32 v103, v104, v103
	s_delay_alu instid0(VALU_DEP_1) | instskip(NEXT) | instid1(VALU_DEP_1)
	v_mul_f32_e32 v104, v105, v103
	v_fma_f32 v106, -v96, v104, v105
	s_delay_alu instid0(VALU_DEP_1) | instskip(NEXT) | instid1(VALU_DEP_1)
	v_fmac_f32_e32 v104, v106, v103
	v_fma_f32 v96, -v96, v104, v105
	s_delay_alu instid0(VALU_DEP_1) | instskip(NEXT) | instid1(VALU_DEP_1)
	v_div_fmas_f32 v96, v96, v103, v104
	v_div_fixup_f32 v97, v96, v97, 1.0
	s_delay_alu instid0(VALU_DEP_1)
	v_mul_f32_e32 v96, v95, v97
	v_xor_b32_e32 v97, 0x80000000, v97
.LBB86_343:
	s_and_not1_saveexec_b32 s1, s1
	s_cbranch_execz .LBB86_345
; %bb.344:
	s_delay_alu instid0(VALU_DEP_1) | instskip(SKIP_1) | instid1(VALU_DEP_2)
	v_div_scale_f32 v95, null, v96, v96, v97
	v_div_scale_f32 v105, vcc_lo, v97, v96, v97
	v_rcp_f32_e32 v103, v95
	v_nop
	s_delay_alu instid0(TRANS32_DEP_1) | instskip(NEXT) | instid1(VALU_DEP_1)
	v_fma_f32 v104, -v95, v103, 1.0
	v_fmac_f32_e32 v103, v104, v103
	s_delay_alu instid0(VALU_DEP_1) | instskip(NEXT) | instid1(VALU_DEP_1)
	v_mul_f32_e32 v104, v105, v103
	v_fma_f32 v106, -v95, v104, v105
	s_delay_alu instid0(VALU_DEP_1) | instskip(NEXT) | instid1(VALU_DEP_1)
	v_fmac_f32_e32 v104, v106, v103
	v_fma_f32 v95, -v95, v104, v105
	s_delay_alu instid0(VALU_DEP_1) | instskip(NEXT) | instid1(VALU_DEP_1)
	v_div_fmas_f32 v95, v95, v103, v104
	v_div_fixup_f32 v95, v95, v96, v97
	s_delay_alu instid0(VALU_DEP_1) | instskip(NEXT) | instid1(VALU_DEP_1)
	v_fmac_f32_e32 v96, v97, v95
	v_div_scale_f32 v97, null, v96, v96, 1.0
	s_delay_alu instid0(VALU_DEP_1) | instskip(SKIP_1) | instid1(TRANS32_DEP_1)
	v_rcp_f32_e32 v103, v97
	v_nop
	v_fma_f32 v104, -v97, v103, 1.0
	s_delay_alu instid0(VALU_DEP_1) | instskip(SKIP_1) | instid1(VALU_DEP_1)
	v_fmac_f32_e32 v103, v104, v103
	v_div_scale_f32 v104, vcc_lo, 1.0, v96, 1.0
	v_mul_f32_e32 v105, v104, v103
	s_delay_alu instid0(VALU_DEP_1) | instskip(NEXT) | instid1(VALU_DEP_1)
	v_fma_f32 v106, -v97, v105, v104
	v_fmac_f32_e32 v105, v106, v103
	s_delay_alu instid0(VALU_DEP_1) | instskip(NEXT) | instid1(VALU_DEP_1)
	v_fma_f32 v97, -v97, v105, v104
	v_div_fmas_f32 v97, v97, v103, v105
	s_delay_alu instid0(VALU_DEP_1) | instskip(NEXT) | instid1(VALU_DEP_1)
	v_div_fixup_f32 v96, v97, v96, 1.0
	v_mul_f32_e64 v97, v95, -v96
.LBB86_345:
	s_or_b32 exec_lo, exec_lo, s1
.LBB86_346:
	s_delay_alu instid0(SALU_CYCLE_1) | instskip(NEXT) | instid1(SALU_CYCLE_1)
	s_or_b32 exec_lo, exec_lo, s0
	s_mov_b32 s0, exec_lo
	v_cmpx_ne_u32_e64 v102, v94
	s_xor_b32 s0, exec_lo, s0
	s_cbranch_execz .LBB86_352
; %bb.347:
	s_mov_b32 s1, exec_lo
	v_cmpx_eq_u32_e32 16, v102
	s_cbranch_execz .LBB86_351
; %bb.348:
	v_cmp_ne_u32_e32 vcc_lo, 16, v94
	s_xor_b32 s12, s16, -1
	s_delay_alu instid0(SALU_CYCLE_1) | instskip(NEXT) | instid1(SALU_CYCLE_1)
	s_and_b32 s13, s12, vcc_lo
	s_and_saveexec_b32 s12, s13
	s_cbranch_execz .LBB86_350
; %bb.349:
	v_ashrrev_i32_e32 v95, 31, v94
	s_delay_alu instid0(VALU_DEP_1)
	v_lshl_add_u64 v[102:103], v[94:95], 2, v[4:5]
	s_clause 0x1
	global_load_b32 v95, v[102:103], off
	global_load_b32 v101, v[4:5], off offset:64
	s_wait_loadcnt 0x1
	global_store_b32 v[4:5], v95, off offset:64
	s_wait_loadcnt 0x0
	global_store_b32 v[102:103], v101, off
.LBB86_350:
	s_wait_xcnt 0x0
	s_or_b32 exec_lo, exec_lo, s12
	v_dual_mov_b32 v102, v94 :: v_dual_mov_b32 v101, v94
.LBB86_351:
	s_or_b32 exec_lo, exec_lo, s1
.LBB86_352:
	s_and_not1_saveexec_b32 s0, s0
	s_cbranch_execz .LBB86_354
; %bb.353:
	v_mov_b32_e32 v102, 16
	ds_store_2addr_b64 v98, v[72:73], v[74:75] offset0:17 offset1:18
	ds_store_2addr_b64 v98, v[24:25], v[70:71] offset0:19 offset1:20
	;; [unrolled: 1-line block ×13, first 2 shown]
	ds_store_b64 v98, v[92:93] offset:344
.LBB86_354:
	s_or_b32 exec_lo, exec_lo, s0
	s_delay_alu instid0(SALU_CYCLE_1)
	s_mov_b32 s0, exec_lo
	s_wait_storecnt_dscnt 0x0
	s_barrier_signal -1
	s_barrier_wait -1
	v_cmpx_lt_i32_e32 16, v102
	s_cbranch_execz .LBB86_356
; %bb.355:
	v_pk_mul_f32 v[104:105], v[96:97], v[76:77] op_sel:[1,1] op_sel_hi:[0,1]
	s_delay_alu instid0(VALU_DEP_1)
	v_pk_fma_f32 v[94:95], v[96:97], v[76:77], v[104:105] op_sel_hi:[1,0,1] neg_lo:[0,0,1] neg_hi:[0,0,1]
	v_pk_fma_f32 v[96:97], v[96:97], v[76:77], v[104:105] op_sel_hi:[1,0,1]
	ds_load_2addr_b64 v[104:107], v98 offset0:17 offset1:18
	v_dual_mov_b32 v76, v94 :: v_dual_mov_b32 v77, v97
	s_wait_dscnt 0x0
	v_pk_mul_f32 v[108:109], v[104:105], v[96:97] op_sel:[0,1]
	s_delay_alu instid0(VALU_DEP_1) | instskip(SKIP_1) | instid1(VALU_DEP_1)
	v_pk_fma_f32 v[110:111], v[104:105], v[94:95], v[108:109] op_sel:[0,0,1] op_sel_hi:[1,1,0] neg_lo:[0,0,1] neg_hi:[0,0,1]
	v_pk_fma_f32 v[104:105], v[104:105], v[94:95], v[108:109] op_sel:[0,0,1] op_sel_hi:[1,0,0]
	v_mov_b32_e32 v111, v105
	v_pk_mul_f32 v[104:105], v[106:107], v[96:97] op_sel:[0,1]
	s_delay_alu instid0(VALU_DEP_1) | instskip(SKIP_1) | instid1(VALU_DEP_1)
	v_pk_fma_f32 v[108:109], v[106:107], v[94:95], v[104:105] op_sel:[0,0,1] op_sel_hi:[1,1,0] neg_lo:[0,0,1] neg_hi:[0,0,1]
	v_pk_fma_f32 v[104:105], v[106:107], v[94:95], v[104:105] op_sel:[0,0,1] op_sel_hi:[1,0,0]
	v_mov_b32_e32 v109, v105
	ds_load_2addr_b64 v[104:107], v98 offset0:19 offset1:20
	v_pk_add_f32 v[72:73], v[72:73], v[110:111] neg_lo:[0,1] neg_hi:[0,1]
	v_pk_add_f32 v[74:75], v[74:75], v[108:109] neg_lo:[0,1] neg_hi:[0,1]
	s_wait_dscnt 0x0
	v_pk_mul_f32 v[108:109], v[104:105], v[96:97] op_sel:[0,1]
	s_delay_alu instid0(VALU_DEP_1) | instskip(SKIP_2) | instid1(VALU_DEP_2)
	v_pk_fma_f32 v[110:111], v[104:105], v[94:95], v[108:109] op_sel:[0,0,1] op_sel_hi:[1,1,0] neg_lo:[0,0,1] neg_hi:[0,0,1]
	v_pk_fma_f32 v[104:105], v[104:105], v[94:95], v[108:109] op_sel:[0,0,1] op_sel_hi:[1,0,0]
	v_dual_mul_f32 v108, v107, v97 :: v_dual_mov_b32 v104, v107
	v_dual_mov_b32 v111, v105 :: v_dual_mov_b32 v105, v106
	s_delay_alu instid0(VALU_DEP_2) | instskip(SKIP_1) | instid1(VALU_DEP_3)
	v_pk_fma_f32 v[108:109], v[106:107], v[76:77], v[108:109] op_sel_hi:[1,1,0] neg_lo:[0,0,1] neg_hi:[0,0,1]
	v_mul_f32_e32 v106, v107, v94
	v_pk_add_f32 v[24:25], v[24:25], v[110:111] neg_lo:[0,1] neg_hi:[0,1]
	s_delay_alu instid0(VALU_DEP_2) | instskip(NEXT) | instid1(VALU_DEP_1)
	v_pk_fma_f32 v[104:105], v[104:105], v[76:77], v[106:107] op_sel_hi:[1,1,0]
	v_mov_b32_e32 v109, v105
	ds_load_2addr_b64 v[104:107], v98 offset0:21 offset1:22
	v_pk_add_f32 v[70:71], v[70:71], v[108:109] neg_lo:[0,1] neg_hi:[0,1]
	s_wait_dscnt 0x0
	v_pk_mul_f32 v[108:109], v[104:105], v[96:97] op_sel:[0,1]
	s_delay_alu instid0(VALU_DEP_1) | instskip(SKIP_1) | instid1(VALU_DEP_1)
	v_pk_fma_f32 v[110:111], v[104:105], v[94:95], v[108:109] op_sel:[0,0,1] op_sel_hi:[1,1,0] neg_lo:[0,0,1] neg_hi:[0,0,1]
	v_pk_fma_f32 v[104:105], v[104:105], v[94:95], v[108:109] op_sel:[0,0,1] op_sel_hi:[1,0,0]
	v_mov_b32_e32 v111, v105
	v_pk_mul_f32 v[104:105], v[106:107], v[96:97] op_sel:[0,1]
	s_delay_alu instid0(VALU_DEP_1) | instskip(SKIP_1) | instid1(VALU_DEP_1)
	v_pk_fma_f32 v[108:109], v[106:107], v[94:95], v[104:105] op_sel:[0,0,1] op_sel_hi:[1,1,0] neg_lo:[0,0,1] neg_hi:[0,0,1]
	v_pk_fma_f32 v[104:105], v[106:107], v[94:95], v[104:105] op_sel:[0,0,1] op_sel_hi:[1,0,0]
	v_mov_b32_e32 v109, v105
	ds_load_2addr_b64 v[104:107], v98 offset0:23 offset1:24
	v_pk_add_f32 v[66:67], v[66:67], v[110:111] neg_lo:[0,1] neg_hi:[0,1]
	v_pk_add_f32 v[68:69], v[68:69], v[108:109] neg_lo:[0,1] neg_hi:[0,1]
	s_wait_dscnt 0x0
	v_pk_mul_f32 v[108:109], v[104:105], v[96:97] op_sel:[0,1]
	s_delay_alu instid0(VALU_DEP_1) | instskip(SKIP_1) | instid1(VALU_DEP_1)
	v_pk_fma_f32 v[110:111], v[104:105], v[94:95], v[108:109] op_sel:[0,0,1] op_sel_hi:[1,1,0] neg_lo:[0,0,1] neg_hi:[0,0,1]
	v_pk_fma_f32 v[104:105], v[104:105], v[94:95], v[108:109] op_sel:[0,0,1] op_sel_hi:[1,0,0]
	v_mov_b32_e32 v111, v105
	v_pk_mul_f32 v[104:105], v[106:107], v[96:97] op_sel:[0,1]
	s_delay_alu instid0(VALU_DEP_1) | instskip(SKIP_1) | instid1(VALU_DEP_1)
	v_pk_fma_f32 v[108:109], v[106:107], v[94:95], v[104:105] op_sel:[0,0,1] op_sel_hi:[1,1,0] neg_lo:[0,0,1] neg_hi:[0,0,1]
	v_pk_fma_f32 v[104:105], v[106:107], v[94:95], v[104:105] op_sel:[0,0,1] op_sel_hi:[1,0,0]
	v_mov_b32_e32 v109, v105
	ds_load_2addr_b64 v[104:107], v98 offset0:25 offset1:26
	v_pk_add_f32 v[22:23], v[22:23], v[110:111] neg_lo:[0,1] neg_hi:[0,1]
	v_pk_add_f32 v[54:55], v[54:55], v[108:109] neg_lo:[0,1] neg_hi:[0,1]
	s_wait_dscnt 0x0
	v_dual_mul_f32 v108, v105, v97 :: v_dual_mul_f32 v110, v105, v94
	s_delay_alu instid0(VALU_DEP_1) | instskip(NEXT) | instid1(VALU_DEP_2)
	v_pk_fma_f32 v[108:109], v[104:105], v[76:77], v[108:109] op_sel_hi:[1,1,0] neg_lo:[0,0,1] neg_hi:[0,0,1]
	v_pk_fma_f32 v[104:105], v[104:105], v[76:77], v[110:111] op_sel:[1,0,0] op_sel_hi:[0,1,0]
	s_delay_alu instid0(VALU_DEP_1) | instskip(SKIP_1) | instid1(VALU_DEP_2)
	v_mov_b32_e32 v109, v105
	v_pk_mul_f32 v[104:105], v[106:107], v[96:97] op_sel:[0,1]
	v_pk_add_f32 v[48:49], v[48:49], v[108:109] neg_lo:[0,1] neg_hi:[0,1]
	s_delay_alu instid0(VALU_DEP_2) | instskip(SKIP_1) | instid1(VALU_DEP_1)
	v_pk_fma_f32 v[108:109], v[106:107], v[94:95], v[104:105] op_sel:[0,0,1] op_sel_hi:[1,1,0] neg_lo:[0,0,1] neg_hi:[0,0,1]
	v_pk_fma_f32 v[104:105], v[106:107], v[94:95], v[104:105] op_sel:[0,0,1] op_sel_hi:[1,0,0]
	v_mov_b32_e32 v109, v105
	ds_load_2addr_b64 v[104:107], v98 offset0:27 offset1:28
	v_pk_add_f32 v[52:53], v[52:53], v[108:109] neg_lo:[0,1] neg_hi:[0,1]
	s_wait_dscnt 0x0
	v_pk_mul_f32 v[108:109], v[104:105], v[96:97] op_sel:[0,1]
	s_delay_alu instid0(VALU_DEP_1) | instskip(SKIP_1) | instid1(VALU_DEP_1)
	v_pk_fma_f32 v[110:111], v[104:105], v[94:95], v[108:109] op_sel:[0,0,1] op_sel_hi:[1,1,0] neg_lo:[0,0,1] neg_hi:[0,0,1]
	v_pk_fma_f32 v[104:105], v[104:105], v[94:95], v[108:109] op_sel:[0,0,1] op_sel_hi:[1,0,0]
	v_mov_b32_e32 v111, v105
	v_pk_mul_f32 v[104:105], v[106:107], v[96:97] op_sel:[0,1]
	s_delay_alu instid0(VALU_DEP_2) | instskip(NEXT) | instid1(VALU_DEP_2)
	v_pk_add_f32 v[12:13], v[12:13], v[110:111] neg_lo:[0,1] neg_hi:[0,1]
	v_pk_fma_f32 v[108:109], v[106:107], v[94:95], v[104:105] op_sel:[0,0,1] op_sel_hi:[1,1,0] neg_lo:[0,0,1] neg_hi:[0,0,1]
	v_pk_fma_f32 v[104:105], v[106:107], v[94:95], v[104:105] op_sel:[0,0,1] op_sel_hi:[1,0,0]
	s_delay_alu instid0(VALU_DEP_1) | instskip(SKIP_4) | instid1(VALU_DEP_1)
	v_mov_b32_e32 v109, v105
	ds_load_2addr_b64 v[104:107], v98 offset0:29 offset1:30
	v_pk_add_f32 v[46:47], v[46:47], v[108:109] neg_lo:[0,1] neg_hi:[0,1]
	s_wait_dscnt 0x0
	v_pk_mul_f32 v[108:109], v[104:105], v[96:97] op_sel:[0,1]
	v_pk_fma_f32 v[110:111], v[104:105], v[94:95], v[108:109] op_sel:[0,0,1] op_sel_hi:[1,1,0] neg_lo:[0,0,1] neg_hi:[0,0,1]
	v_pk_fma_f32 v[104:105], v[104:105], v[94:95], v[108:109] op_sel:[0,0,1] op_sel_hi:[1,0,0]
	v_dual_mul_f32 v108, v107, v97 :: v_dual_mov_b32 v104, v107
	s_delay_alu instid0(VALU_DEP_2) | instskip(NEXT) | instid1(VALU_DEP_2)
	v_dual_mov_b32 v111, v105 :: v_dual_mov_b32 v105, v106
	v_pk_fma_f32 v[108:109], v[106:107], v[76:77], v[108:109] op_sel_hi:[1,1,0] neg_lo:[0,0,1] neg_hi:[0,0,1]
	v_mul_f32_e32 v106, v107, v94
	s_delay_alu instid0(VALU_DEP_3) | instskip(NEXT) | instid1(VALU_DEP_2)
	v_pk_add_f32 v[42:43], v[42:43], v[110:111] neg_lo:[0,1] neg_hi:[0,1]
	v_pk_fma_f32 v[104:105], v[104:105], v[76:77], v[106:107] op_sel_hi:[1,1,0]
	s_delay_alu instid0(VALU_DEP_1) | instskip(SKIP_4) | instid1(VALU_DEP_1)
	v_mov_b32_e32 v109, v105
	ds_load_2addr_b64 v[104:107], v98 offset0:31 offset1:32
	v_pk_add_f32 v[44:45], v[44:45], v[108:109] neg_lo:[0,1] neg_hi:[0,1]
	s_wait_dscnt 0x0
	v_pk_mul_f32 v[108:109], v[104:105], v[96:97] op_sel:[0,1]
	v_pk_fma_f32 v[110:111], v[104:105], v[94:95], v[108:109] op_sel:[0,0,1] op_sel_hi:[1,1,0] neg_lo:[0,0,1] neg_hi:[0,0,1]
	v_pk_fma_f32 v[104:105], v[104:105], v[94:95], v[108:109] op_sel:[0,0,1] op_sel_hi:[1,0,0]
	s_delay_alu instid0(VALU_DEP_1) | instskip(SKIP_1) | instid1(VALU_DEP_1)
	v_mov_b32_e32 v111, v105
	v_pk_mul_f32 v[104:105], v[106:107], v[96:97] op_sel:[0,1]
	v_pk_fma_f32 v[108:109], v[106:107], v[94:95], v[104:105] op_sel:[0,0,1] op_sel_hi:[1,1,0] neg_lo:[0,0,1] neg_hi:[0,0,1]
	v_pk_fma_f32 v[104:105], v[106:107], v[94:95], v[104:105] op_sel:[0,0,1] op_sel_hi:[1,0,0]
	s_delay_alu instid0(VALU_DEP_1)
	v_mov_b32_e32 v109, v105
	ds_load_2addr_b64 v[104:107], v98 offset0:33 offset1:34
	v_pk_add_f32 v[10:11], v[10:11], v[110:111] neg_lo:[0,1] neg_hi:[0,1]
	v_pk_add_f32 v[40:41], v[40:41], v[108:109] neg_lo:[0,1] neg_hi:[0,1]
	s_wait_dscnt 0x0
	v_pk_mul_f32 v[108:109], v[104:105], v[96:97] op_sel:[0,1]
	s_delay_alu instid0(VALU_DEP_1) | instskip(SKIP_1) | instid1(VALU_DEP_1)
	v_pk_fma_f32 v[110:111], v[104:105], v[94:95], v[108:109] op_sel:[0,0,1] op_sel_hi:[1,1,0] neg_lo:[0,0,1] neg_hi:[0,0,1]
	v_pk_fma_f32 v[104:105], v[104:105], v[94:95], v[108:109] op_sel:[0,0,1] op_sel_hi:[1,0,0]
	v_mov_b32_e32 v111, v105
	v_pk_mul_f32 v[104:105], v[106:107], v[96:97] op_sel:[0,1]
	s_delay_alu instid0(VALU_DEP_1) | instskip(SKIP_1) | instid1(VALU_DEP_1)
	v_pk_fma_f32 v[108:109], v[106:107], v[94:95], v[104:105] op_sel:[0,0,1] op_sel_hi:[1,1,0] neg_lo:[0,0,1] neg_hi:[0,0,1]
	v_pk_fma_f32 v[104:105], v[106:107], v[94:95], v[104:105] op_sel:[0,0,1] op_sel_hi:[1,0,0]
	v_mov_b32_e32 v109, v105
	ds_load_2addr_b64 v[104:107], v98 offset0:35 offset1:36
	v_pk_add_f32 v[36:37], v[36:37], v[110:111] neg_lo:[0,1] neg_hi:[0,1]
	v_pk_add_f32 v[38:39], v[38:39], v[108:109] neg_lo:[0,1] neg_hi:[0,1]
	s_wait_dscnt 0x0
	v_dual_mul_f32 v108, v105, v97 :: v_dual_mul_f32 v110, v105, v94
	s_delay_alu instid0(VALU_DEP_1) | instskip(NEXT) | instid1(VALU_DEP_2)
	v_pk_fma_f32 v[108:109], v[104:105], v[76:77], v[108:109] op_sel_hi:[1,1,0] neg_lo:[0,0,1] neg_hi:[0,0,1]
	v_pk_fma_f32 v[104:105], v[104:105], v[76:77], v[110:111] op_sel:[1,0,0] op_sel_hi:[0,1,0]
	s_delay_alu instid0(VALU_DEP_1) | instskip(SKIP_1) | instid1(VALU_DEP_2)
	v_mov_b32_e32 v109, v105
	v_pk_mul_f32 v[104:105], v[106:107], v[96:97] op_sel:[0,1]
	v_pk_add_f32 v[6:7], v[6:7], v[108:109] neg_lo:[0,1] neg_hi:[0,1]
	s_delay_alu instid0(VALU_DEP_2) | instskip(SKIP_1) | instid1(VALU_DEP_1)
	v_pk_fma_f32 v[108:109], v[106:107], v[94:95], v[104:105] op_sel:[0,0,1] op_sel_hi:[1,1,0] neg_lo:[0,0,1] neg_hi:[0,0,1]
	v_pk_fma_f32 v[104:105], v[106:107], v[94:95], v[104:105] op_sel:[0,0,1] op_sel_hi:[1,0,0]
	v_mov_b32_e32 v109, v105
	ds_load_2addr_b64 v[104:107], v98 offset0:37 offset1:38
	v_pk_add_f32 v[34:35], v[34:35], v[108:109] neg_lo:[0,1] neg_hi:[0,1]
	s_wait_dscnt 0x0
	v_pk_mul_f32 v[108:109], v[104:105], v[96:97] op_sel:[0,1]
	s_delay_alu instid0(VALU_DEP_1) | instskip(SKIP_1) | instid1(VALU_DEP_1)
	v_pk_fma_f32 v[110:111], v[104:105], v[94:95], v[108:109] op_sel:[0,0,1] op_sel_hi:[1,1,0] neg_lo:[0,0,1] neg_hi:[0,0,1]
	v_pk_fma_f32 v[104:105], v[104:105], v[94:95], v[108:109] op_sel:[0,0,1] op_sel_hi:[1,0,0]
	v_mov_b32_e32 v111, v105
	v_pk_mul_f32 v[104:105], v[106:107], v[96:97] op_sel:[0,1]
	s_delay_alu instid0(VALU_DEP_2) | instskip(NEXT) | instid1(VALU_DEP_2)
	v_pk_add_f32 v[30:31], v[30:31], v[110:111] neg_lo:[0,1] neg_hi:[0,1]
	v_pk_fma_f32 v[108:109], v[106:107], v[94:95], v[104:105] op_sel:[0,0,1] op_sel_hi:[1,1,0] neg_lo:[0,0,1] neg_hi:[0,0,1]
	v_pk_fma_f32 v[104:105], v[106:107], v[94:95], v[104:105] op_sel:[0,0,1] op_sel_hi:[1,0,0]
	s_delay_alu instid0(VALU_DEP_1) | instskip(SKIP_4) | instid1(VALU_DEP_1)
	v_mov_b32_e32 v109, v105
	ds_load_2addr_b64 v[104:107], v98 offset0:39 offset1:40
	v_pk_add_f32 v[32:33], v[32:33], v[108:109] neg_lo:[0,1] neg_hi:[0,1]
	s_wait_dscnt 0x0
	v_pk_mul_f32 v[108:109], v[104:105], v[96:97] op_sel:[0,1]
	v_pk_fma_f32 v[110:111], v[104:105], v[94:95], v[108:109] op_sel:[0,0,1] op_sel_hi:[1,1,0] neg_lo:[0,0,1] neg_hi:[0,0,1]
	v_pk_fma_f32 v[104:105], v[104:105], v[94:95], v[108:109] op_sel:[0,0,1] op_sel_hi:[1,0,0]
	v_dual_mul_f32 v108, v107, v97 :: v_dual_mov_b32 v104, v107
	s_delay_alu instid0(VALU_DEP_2) | instskip(NEXT) | instid1(VALU_DEP_2)
	v_dual_mov_b32 v111, v105 :: v_dual_mov_b32 v105, v106
	v_pk_fma_f32 v[108:109], v[106:107], v[76:77], v[108:109] op_sel_hi:[1,1,0] neg_lo:[0,0,1] neg_hi:[0,0,1]
	v_mul_f32_e32 v106, v107, v94
	s_delay_alu instid0(VALU_DEP_3) | instskip(NEXT) | instid1(VALU_DEP_2)
	v_pk_add_f32 v[8:9], v[8:9], v[110:111] neg_lo:[0,1] neg_hi:[0,1]
	v_pk_fma_f32 v[104:105], v[104:105], v[76:77], v[106:107] op_sel_hi:[1,1,0]
	s_delay_alu instid0(VALU_DEP_1) | instskip(SKIP_4) | instid1(VALU_DEP_1)
	v_mov_b32_e32 v109, v105
	ds_load_2addr_b64 v[104:107], v98 offset0:41 offset1:42
	v_pk_add_f32 v[28:29], v[28:29], v[108:109] neg_lo:[0,1] neg_hi:[0,1]
	s_wait_dscnt 0x0
	v_pk_mul_f32 v[108:109], v[104:105], v[96:97] op_sel:[0,1]
	v_pk_fma_f32 v[110:111], v[104:105], v[94:95], v[108:109] op_sel:[0,0,1] op_sel_hi:[1,1,0] neg_lo:[0,0,1] neg_hi:[0,0,1]
	v_pk_fma_f32 v[104:105], v[104:105], v[94:95], v[108:109] op_sel:[0,0,1] op_sel_hi:[1,0,0]
	s_delay_alu instid0(VALU_DEP_1) | instskip(SKIP_1) | instid1(VALU_DEP_1)
	v_mov_b32_e32 v111, v105
	v_pk_mul_f32 v[104:105], v[106:107], v[96:97] op_sel:[0,1]
	v_pk_fma_f32 v[108:109], v[106:107], v[94:95], v[104:105] op_sel:[0,0,1] op_sel_hi:[1,1,0] neg_lo:[0,0,1] neg_hi:[0,0,1]
	v_pk_fma_f32 v[104:105], v[106:107], v[94:95], v[104:105] op_sel:[0,0,1] op_sel_hi:[1,0,0]
	s_delay_alu instid0(VALU_DEP_1)
	v_mov_b32_e32 v109, v105
	ds_load_b64 v[104:105], v98 offset:344
	v_pk_add_f32 v[20:21], v[20:21], v[110:111] neg_lo:[0,1] neg_hi:[0,1]
	v_pk_add_f32 v[16:17], v[16:17], v[108:109] neg_lo:[0,1] neg_hi:[0,1]
	s_wait_dscnt 0x0
	v_pk_mul_f32 v[96:97], v[104:105], v[96:97] op_sel:[0,1]
	s_delay_alu instid0(VALU_DEP_1) | instskip(SKIP_1) | instid1(VALU_DEP_1)
	v_pk_fma_f32 v[106:107], v[104:105], v[94:95], v[96:97] op_sel:[0,0,1] op_sel_hi:[1,1,0] neg_lo:[0,0,1] neg_hi:[0,0,1]
	v_pk_fma_f32 v[94:95], v[104:105], v[94:95], v[96:97] op_sel:[0,0,1] op_sel_hi:[1,0,0]
	v_mov_b32_e32 v107, v95
	s_delay_alu instid0(VALU_DEP_1)
	v_pk_add_f32 v[92:93], v[92:93], v[106:107] neg_lo:[0,1] neg_hi:[0,1]
.LBB86_356:
	s_or_b32 exec_lo, exec_lo, s0
	v_lshl_add_u32 v94, v102, 3, v98
	s_barrier_signal -1
	s_barrier_wait -1
	ds_store_b64 v94, v[72:73]
	s_wait_dscnt 0x0
	s_barrier_signal -1
	s_barrier_wait -1
	ds_load_b64 v[96:97], v98 offset:136
	v_mov_b32_e32 v94, 17
	s_cmp_lt_i32 s18, 19
	s_cbranch_scc1 .LBB86_359
; %bb.357:
	v_add3_u32 v95, v99, 0, 0x90
	v_mov_b32_e32 v94, 17
	s_mov_b32 s0, 18
.LBB86_358:                             ; =>This Inner Loop Header: Depth=1
	ds_load_b64 v[104:105], v95
	s_wait_dscnt 0x1
	v_cmp_gt_f32_e32 vcc_lo, 0, v96
	v_cndmask_b32_e64 v106, v96, -v96, vcc_lo
	v_cmp_gt_f32_e32 vcc_lo, 0, v97
	v_cndmask_b32_e64 v108, v97, -v97, vcc_lo
	s_wait_dscnt 0x0
	v_cmp_gt_f32_e32 vcc_lo, 0, v104
	v_cndmask_b32_e64 v107, v104, -v104, vcc_lo
	v_cmp_gt_f32_e32 vcc_lo, 0, v105
	v_cndmask_b32_e64 v109, v105, -v105, vcc_lo
	s_delay_alu instid0(VALU_DEP_1) | instskip(NEXT) | instid1(VALU_DEP_1)
	v_pk_add_f32 v[106:107], v[106:107], v[108:109]
	v_cmp_lt_f32_e32 vcc_lo, v106, v107
	v_dual_add_nc_u32 v95, 8, v95 :: v_dual_cndmask_b32 v97, v97, v105, vcc_lo
	v_cndmask_b32_e32 v96, v96, v104, vcc_lo
	v_cndmask_b32_e64 v94, v94, s0, vcc_lo
	s_add_co_i32 s0, s0, 1
	s_delay_alu instid0(SALU_CYCLE_1)
	s_cmp_lg_u32 s18, s0
	s_cbranch_scc1 .LBB86_358
.LBB86_359:
	s_wait_dscnt 0x0
	v_cmp_eq_f32_e32 vcc_lo, 0, v96
	v_cmp_eq_f32_e64 s0, 0, v97
	s_and_b32 s0, vcc_lo, s0
	s_delay_alu instid0(SALU_CYCLE_1) | instskip(NEXT) | instid1(SALU_CYCLE_1)
	s_and_saveexec_b32 s1, s0
	s_xor_b32 s0, exec_lo, s1
; %bb.360:
	v_cmp_ne_u32_e32 vcc_lo, 0, v100
	v_cndmask_b32_e32 v100, 18, v100, vcc_lo
; %bb.361:
	s_and_not1_saveexec_b32 s0, s0
	s_cbranch_execz .LBB86_367
; %bb.362:
	v_cmp_ngt_f32_e64 s1, |v96|, |v97|
	s_and_saveexec_b32 s12, s1
	s_delay_alu instid0(SALU_CYCLE_1)
	s_xor_b32 s1, exec_lo, s12
	s_cbranch_execz .LBB86_364
; %bb.363:
	v_div_scale_f32 v95, null, v97, v97, v96
	v_div_scale_f32 v105, vcc_lo, v96, v97, v96
	s_delay_alu instid0(VALU_DEP_2) | instskip(SKIP_1) | instid1(TRANS32_DEP_1)
	v_rcp_f32_e32 v103, v95
	v_nop
	v_fma_f32 v104, -v95, v103, 1.0
	s_delay_alu instid0(VALU_DEP_1) | instskip(NEXT) | instid1(VALU_DEP_1)
	v_fmac_f32_e32 v103, v104, v103
	v_mul_f32_e32 v104, v105, v103
	s_delay_alu instid0(VALU_DEP_1) | instskip(NEXT) | instid1(VALU_DEP_1)
	v_fma_f32 v106, -v95, v104, v105
	v_fmac_f32_e32 v104, v106, v103
	s_delay_alu instid0(VALU_DEP_1) | instskip(NEXT) | instid1(VALU_DEP_1)
	v_fma_f32 v95, -v95, v104, v105
	v_div_fmas_f32 v95, v95, v103, v104
	s_delay_alu instid0(VALU_DEP_1) | instskip(NEXT) | instid1(VALU_DEP_1)
	v_div_fixup_f32 v95, v95, v97, v96
	v_fmac_f32_e32 v97, v96, v95
	s_delay_alu instid0(VALU_DEP_1) | instskip(SKIP_1) | instid1(VALU_DEP_2)
	v_div_scale_f32 v96, null, v97, v97, 1.0
	v_div_scale_f32 v105, vcc_lo, 1.0, v97, 1.0
	v_rcp_f32_e32 v103, v96
	v_nop
	s_delay_alu instid0(TRANS32_DEP_1) | instskip(NEXT) | instid1(VALU_DEP_1)
	v_fma_f32 v104, -v96, v103, 1.0
	v_fmac_f32_e32 v103, v104, v103
	s_delay_alu instid0(VALU_DEP_1) | instskip(NEXT) | instid1(VALU_DEP_1)
	v_mul_f32_e32 v104, v105, v103
	v_fma_f32 v106, -v96, v104, v105
	s_delay_alu instid0(VALU_DEP_1) | instskip(NEXT) | instid1(VALU_DEP_1)
	v_fmac_f32_e32 v104, v106, v103
	v_fma_f32 v96, -v96, v104, v105
	s_delay_alu instid0(VALU_DEP_1) | instskip(NEXT) | instid1(VALU_DEP_1)
	v_div_fmas_f32 v96, v96, v103, v104
	v_div_fixup_f32 v97, v96, v97, 1.0
	s_delay_alu instid0(VALU_DEP_1)
	v_mul_f32_e32 v96, v95, v97
	v_xor_b32_e32 v97, 0x80000000, v97
.LBB86_364:
	s_and_not1_saveexec_b32 s1, s1
	s_cbranch_execz .LBB86_366
; %bb.365:
	s_delay_alu instid0(VALU_DEP_1) | instskip(SKIP_1) | instid1(VALU_DEP_2)
	v_div_scale_f32 v95, null, v96, v96, v97
	v_div_scale_f32 v105, vcc_lo, v97, v96, v97
	v_rcp_f32_e32 v103, v95
	v_nop
	s_delay_alu instid0(TRANS32_DEP_1) | instskip(NEXT) | instid1(VALU_DEP_1)
	v_fma_f32 v104, -v95, v103, 1.0
	v_fmac_f32_e32 v103, v104, v103
	s_delay_alu instid0(VALU_DEP_1) | instskip(NEXT) | instid1(VALU_DEP_1)
	v_mul_f32_e32 v104, v105, v103
	v_fma_f32 v106, -v95, v104, v105
	s_delay_alu instid0(VALU_DEP_1) | instskip(NEXT) | instid1(VALU_DEP_1)
	v_fmac_f32_e32 v104, v106, v103
	v_fma_f32 v95, -v95, v104, v105
	s_delay_alu instid0(VALU_DEP_1) | instskip(NEXT) | instid1(VALU_DEP_1)
	v_div_fmas_f32 v95, v95, v103, v104
	v_div_fixup_f32 v95, v95, v96, v97
	s_delay_alu instid0(VALU_DEP_1) | instskip(NEXT) | instid1(VALU_DEP_1)
	v_fmac_f32_e32 v96, v97, v95
	v_div_scale_f32 v97, null, v96, v96, 1.0
	s_delay_alu instid0(VALU_DEP_1) | instskip(SKIP_1) | instid1(TRANS32_DEP_1)
	v_rcp_f32_e32 v103, v97
	v_nop
	v_fma_f32 v104, -v97, v103, 1.0
	s_delay_alu instid0(VALU_DEP_1) | instskip(SKIP_1) | instid1(VALU_DEP_1)
	v_fmac_f32_e32 v103, v104, v103
	v_div_scale_f32 v104, vcc_lo, 1.0, v96, 1.0
	v_mul_f32_e32 v105, v104, v103
	s_delay_alu instid0(VALU_DEP_1) | instskip(NEXT) | instid1(VALU_DEP_1)
	v_fma_f32 v106, -v97, v105, v104
	v_fmac_f32_e32 v105, v106, v103
	s_delay_alu instid0(VALU_DEP_1) | instskip(NEXT) | instid1(VALU_DEP_1)
	v_fma_f32 v97, -v97, v105, v104
	v_div_fmas_f32 v97, v97, v103, v105
	s_delay_alu instid0(VALU_DEP_1) | instskip(NEXT) | instid1(VALU_DEP_1)
	v_div_fixup_f32 v96, v97, v96, 1.0
	v_mul_f32_e64 v97, v95, -v96
.LBB86_366:
	s_or_b32 exec_lo, exec_lo, s1
.LBB86_367:
	s_delay_alu instid0(SALU_CYCLE_1) | instskip(NEXT) | instid1(SALU_CYCLE_1)
	s_or_b32 exec_lo, exec_lo, s0
	s_mov_b32 s0, exec_lo
	v_cmpx_ne_u32_e64 v102, v94
	s_xor_b32 s0, exec_lo, s0
	s_cbranch_execz .LBB86_373
; %bb.368:
	s_mov_b32 s1, exec_lo
	v_cmpx_eq_u32_e32 17, v102
	s_cbranch_execz .LBB86_372
; %bb.369:
	v_cmp_ne_u32_e32 vcc_lo, 17, v94
	s_xor_b32 s12, s16, -1
	s_delay_alu instid0(SALU_CYCLE_1) | instskip(NEXT) | instid1(SALU_CYCLE_1)
	s_and_b32 s13, s12, vcc_lo
	s_and_saveexec_b32 s12, s13
	s_cbranch_execz .LBB86_371
; %bb.370:
	v_ashrrev_i32_e32 v95, 31, v94
	s_delay_alu instid0(VALU_DEP_1)
	v_lshl_add_u64 v[102:103], v[94:95], 2, v[4:5]
	s_clause 0x1
	global_load_b32 v95, v[102:103], off
	global_load_b32 v101, v[4:5], off offset:68
	s_wait_loadcnt 0x1
	global_store_b32 v[4:5], v95, off offset:68
	s_wait_loadcnt 0x0
	global_store_b32 v[102:103], v101, off
.LBB86_371:
	s_wait_xcnt 0x0
	s_or_b32 exec_lo, exec_lo, s12
	v_dual_mov_b32 v102, v94 :: v_dual_mov_b32 v101, v94
.LBB86_372:
	s_or_b32 exec_lo, exec_lo, s1
.LBB86_373:
	s_and_not1_saveexec_b32 s0, s0
	s_cbranch_execz .LBB86_375
; %bb.374:
	v_dual_mov_b32 v94, v74 :: v_dual_mov_b32 v95, v75
	v_dual_mov_b32 v102, v24 :: v_dual_mov_b32 v103, v25
	;; [unrolled: 1-line block ×4, first 2 shown]
	ds_store_2addr_b64 v98, v[94:95], v[102:103] offset0:18 offset1:19
	ds_store_2addr_b64 v98, v[104:105], v[106:107] offset0:20 offset1:21
	v_dual_mov_b32 v94, v68 :: v_dual_mov_b32 v95, v69
	v_dual_mov_b32 v102, v22 :: v_dual_mov_b32 v103, v23
	;; [unrolled: 1-line block ×12, first 2 shown]
	ds_store_2addr_b64 v98, v[94:95], v[102:103] offset0:22 offset1:23
	ds_store_2addr_b64 v98, v[104:105], v[106:107] offset0:24 offset1:25
	;; [unrolled: 1-line block ×6, first 2 shown]
	v_dual_mov_b32 v94, v38 :: v_dual_mov_b32 v95, v39
	v_dual_mov_b32 v104, v6 :: v_dual_mov_b32 v105, v7
	v_dual_mov_b32 v102, 17 :: v_dual_mov_b32 v106, v34
	v_dual_mov_b32 v107, v35 :: v_dual_mov_b32 v108, v30
	v_dual_mov_b32 v109, v31 :: v_dual_mov_b32 v110, v32
	v_dual_mov_b32 v111, v33 :: v_dual_mov_b32 v112, v8
	v_dual_mov_b32 v113, v9 :: v_dual_mov_b32 v114, v28
	v_dual_mov_b32 v115, v29 :: v_dual_mov_b32 v116, v20
	v_dual_mov_b32 v117, v21 :: v_dual_mov_b32 v118, v16
	v_mov_b32_e32 v119, v17
	ds_store_2addr_b64 v98, v[94:95], v[104:105] offset0:34 offset1:35
	ds_store_2addr_b64 v98, v[106:107], v[108:109] offset0:36 offset1:37
	;; [unrolled: 1-line block ×5, first 2 shown]
.LBB86_375:
	s_or_b32 exec_lo, exec_lo, s0
	s_delay_alu instid0(SALU_CYCLE_1)
	s_mov_b32 s0, exec_lo
	s_wait_storecnt_dscnt 0x0
	s_barrier_signal -1
	s_barrier_wait -1
	v_cmpx_lt_i32_e32 17, v102
	s_cbranch_execz .LBB86_377
; %bb.376:
	v_pk_mul_f32 v[104:105], v[96:97], v[72:73] op_sel:[1,1] op_sel_hi:[0,1]
	s_delay_alu instid0(VALU_DEP_1)
	v_pk_fma_f32 v[94:95], v[96:97], v[72:73], v[104:105] op_sel_hi:[1,0,1] neg_lo:[0,0,1] neg_hi:[0,0,1]
	v_pk_fma_f32 v[96:97], v[96:97], v[72:73], v[104:105] op_sel_hi:[1,0,1]
	ds_load_2addr_b64 v[104:107], v98 offset0:18 offset1:19
	v_dual_mov_b32 v72, v94 :: v_dual_mov_b32 v73, v97
	s_wait_dscnt 0x0
	v_pk_mul_f32 v[108:109], v[104:105], v[96:97] op_sel:[0,1]
	s_delay_alu instid0(VALU_DEP_1) | instskip(SKIP_1) | instid1(VALU_DEP_1)
	v_pk_fma_f32 v[110:111], v[104:105], v[94:95], v[108:109] op_sel:[0,0,1] op_sel_hi:[1,1,0] neg_lo:[0,0,1] neg_hi:[0,0,1]
	v_pk_fma_f32 v[104:105], v[104:105], v[94:95], v[108:109] op_sel:[0,0,1] op_sel_hi:[1,0,0]
	v_mov_b32_e32 v111, v105
	v_pk_mul_f32 v[104:105], v[106:107], v[96:97] op_sel:[0,1]
	s_delay_alu instid0(VALU_DEP_1) | instskip(SKIP_1) | instid1(VALU_DEP_1)
	v_pk_fma_f32 v[108:109], v[106:107], v[94:95], v[104:105] op_sel:[0,0,1] op_sel_hi:[1,1,0] neg_lo:[0,0,1] neg_hi:[0,0,1]
	v_pk_fma_f32 v[104:105], v[106:107], v[94:95], v[104:105] op_sel:[0,0,1] op_sel_hi:[1,0,0]
	v_mov_b32_e32 v109, v105
	ds_load_2addr_b64 v[104:107], v98 offset0:20 offset1:21
	v_pk_add_f32 v[74:75], v[74:75], v[110:111] neg_lo:[0,1] neg_hi:[0,1]
	v_pk_add_f32 v[24:25], v[24:25], v[108:109] neg_lo:[0,1] neg_hi:[0,1]
	s_wait_dscnt 0x0
	v_pk_mul_f32 v[108:109], v[104:105], v[96:97] op_sel:[0,1]
	s_delay_alu instid0(VALU_DEP_1) | instskip(SKIP_2) | instid1(VALU_DEP_2)
	v_pk_fma_f32 v[110:111], v[104:105], v[94:95], v[108:109] op_sel:[0,0,1] op_sel_hi:[1,1,0] neg_lo:[0,0,1] neg_hi:[0,0,1]
	v_pk_fma_f32 v[104:105], v[104:105], v[94:95], v[108:109] op_sel:[0,0,1] op_sel_hi:[1,0,0]
	v_dual_mul_f32 v108, v107, v97 :: v_dual_mov_b32 v104, v107
	v_dual_mov_b32 v111, v105 :: v_dual_mov_b32 v105, v106
	s_delay_alu instid0(VALU_DEP_2) | instskip(SKIP_1) | instid1(VALU_DEP_3)
	v_pk_fma_f32 v[108:109], v[106:107], v[72:73], v[108:109] op_sel_hi:[1,1,0] neg_lo:[0,0,1] neg_hi:[0,0,1]
	v_mul_f32_e32 v106, v107, v94
	v_pk_add_f32 v[70:71], v[70:71], v[110:111] neg_lo:[0,1] neg_hi:[0,1]
	s_delay_alu instid0(VALU_DEP_2) | instskip(NEXT) | instid1(VALU_DEP_1)
	v_pk_fma_f32 v[104:105], v[104:105], v[72:73], v[106:107] op_sel_hi:[1,1,0]
	v_mov_b32_e32 v109, v105
	ds_load_2addr_b64 v[104:107], v98 offset0:22 offset1:23
	v_pk_add_f32 v[66:67], v[66:67], v[108:109] neg_lo:[0,1] neg_hi:[0,1]
	s_wait_dscnt 0x0
	v_pk_mul_f32 v[108:109], v[104:105], v[96:97] op_sel:[0,1]
	s_delay_alu instid0(VALU_DEP_1) | instskip(SKIP_1) | instid1(VALU_DEP_1)
	v_pk_fma_f32 v[110:111], v[104:105], v[94:95], v[108:109] op_sel:[0,0,1] op_sel_hi:[1,1,0] neg_lo:[0,0,1] neg_hi:[0,0,1]
	v_pk_fma_f32 v[104:105], v[104:105], v[94:95], v[108:109] op_sel:[0,0,1] op_sel_hi:[1,0,0]
	v_mov_b32_e32 v111, v105
	v_pk_mul_f32 v[104:105], v[106:107], v[96:97] op_sel:[0,1]
	s_delay_alu instid0(VALU_DEP_1) | instskip(SKIP_1) | instid1(VALU_DEP_1)
	v_pk_fma_f32 v[108:109], v[106:107], v[94:95], v[104:105] op_sel:[0,0,1] op_sel_hi:[1,1,0] neg_lo:[0,0,1] neg_hi:[0,0,1]
	v_pk_fma_f32 v[104:105], v[106:107], v[94:95], v[104:105] op_sel:[0,0,1] op_sel_hi:[1,0,0]
	v_mov_b32_e32 v109, v105
	ds_load_2addr_b64 v[104:107], v98 offset0:24 offset1:25
	v_pk_add_f32 v[68:69], v[68:69], v[110:111] neg_lo:[0,1] neg_hi:[0,1]
	v_pk_add_f32 v[22:23], v[22:23], v[108:109] neg_lo:[0,1] neg_hi:[0,1]
	s_wait_dscnt 0x0
	v_pk_mul_f32 v[108:109], v[104:105], v[96:97] op_sel:[0,1]
	s_delay_alu instid0(VALU_DEP_1) | instskip(SKIP_1) | instid1(VALU_DEP_1)
	v_pk_fma_f32 v[110:111], v[104:105], v[94:95], v[108:109] op_sel:[0,0,1] op_sel_hi:[1,1,0] neg_lo:[0,0,1] neg_hi:[0,0,1]
	v_pk_fma_f32 v[104:105], v[104:105], v[94:95], v[108:109] op_sel:[0,0,1] op_sel_hi:[1,0,0]
	v_mov_b32_e32 v111, v105
	v_pk_mul_f32 v[104:105], v[106:107], v[96:97] op_sel:[0,1]
	s_delay_alu instid0(VALU_DEP_1) | instskip(SKIP_1) | instid1(VALU_DEP_1)
	v_pk_fma_f32 v[108:109], v[106:107], v[94:95], v[104:105] op_sel:[0,0,1] op_sel_hi:[1,1,0] neg_lo:[0,0,1] neg_hi:[0,0,1]
	v_pk_fma_f32 v[104:105], v[106:107], v[94:95], v[104:105] op_sel:[0,0,1] op_sel_hi:[1,0,0]
	v_mov_b32_e32 v109, v105
	ds_load_2addr_b64 v[104:107], v98 offset0:26 offset1:27
	v_pk_add_f32 v[54:55], v[54:55], v[110:111] neg_lo:[0,1] neg_hi:[0,1]
	v_pk_add_f32 v[48:49], v[48:49], v[108:109] neg_lo:[0,1] neg_hi:[0,1]
	s_wait_dscnt 0x0
	v_dual_mul_f32 v108, v105, v97 :: v_dual_mul_f32 v110, v105, v94
	s_delay_alu instid0(VALU_DEP_1) | instskip(NEXT) | instid1(VALU_DEP_2)
	v_pk_fma_f32 v[108:109], v[104:105], v[72:73], v[108:109] op_sel_hi:[1,1,0] neg_lo:[0,0,1] neg_hi:[0,0,1]
	v_pk_fma_f32 v[104:105], v[104:105], v[72:73], v[110:111] op_sel:[1,0,0] op_sel_hi:[0,1,0]
	s_delay_alu instid0(VALU_DEP_1) | instskip(SKIP_1) | instid1(VALU_DEP_2)
	v_mov_b32_e32 v109, v105
	v_pk_mul_f32 v[104:105], v[106:107], v[96:97] op_sel:[0,1]
	v_pk_add_f32 v[52:53], v[52:53], v[108:109] neg_lo:[0,1] neg_hi:[0,1]
	s_delay_alu instid0(VALU_DEP_2) | instskip(SKIP_1) | instid1(VALU_DEP_1)
	v_pk_fma_f32 v[108:109], v[106:107], v[94:95], v[104:105] op_sel:[0,0,1] op_sel_hi:[1,1,0] neg_lo:[0,0,1] neg_hi:[0,0,1]
	v_pk_fma_f32 v[104:105], v[106:107], v[94:95], v[104:105] op_sel:[0,0,1] op_sel_hi:[1,0,0]
	v_mov_b32_e32 v109, v105
	ds_load_2addr_b64 v[104:107], v98 offset0:28 offset1:29
	v_pk_add_f32 v[12:13], v[12:13], v[108:109] neg_lo:[0,1] neg_hi:[0,1]
	s_wait_dscnt 0x0
	v_pk_mul_f32 v[108:109], v[104:105], v[96:97] op_sel:[0,1]
	s_delay_alu instid0(VALU_DEP_1) | instskip(SKIP_1) | instid1(VALU_DEP_1)
	v_pk_fma_f32 v[110:111], v[104:105], v[94:95], v[108:109] op_sel:[0,0,1] op_sel_hi:[1,1,0] neg_lo:[0,0,1] neg_hi:[0,0,1]
	v_pk_fma_f32 v[104:105], v[104:105], v[94:95], v[108:109] op_sel:[0,0,1] op_sel_hi:[1,0,0]
	v_mov_b32_e32 v111, v105
	v_pk_mul_f32 v[104:105], v[106:107], v[96:97] op_sel:[0,1]
	s_delay_alu instid0(VALU_DEP_2) | instskip(NEXT) | instid1(VALU_DEP_2)
	v_pk_add_f32 v[46:47], v[46:47], v[110:111] neg_lo:[0,1] neg_hi:[0,1]
	v_pk_fma_f32 v[108:109], v[106:107], v[94:95], v[104:105] op_sel:[0,0,1] op_sel_hi:[1,1,0] neg_lo:[0,0,1] neg_hi:[0,0,1]
	v_pk_fma_f32 v[104:105], v[106:107], v[94:95], v[104:105] op_sel:[0,0,1] op_sel_hi:[1,0,0]
	s_delay_alu instid0(VALU_DEP_1) | instskip(SKIP_4) | instid1(VALU_DEP_1)
	v_mov_b32_e32 v109, v105
	ds_load_2addr_b64 v[104:107], v98 offset0:30 offset1:31
	v_pk_add_f32 v[42:43], v[42:43], v[108:109] neg_lo:[0,1] neg_hi:[0,1]
	s_wait_dscnt 0x0
	v_pk_mul_f32 v[108:109], v[104:105], v[96:97] op_sel:[0,1]
	v_pk_fma_f32 v[110:111], v[104:105], v[94:95], v[108:109] op_sel:[0,0,1] op_sel_hi:[1,1,0] neg_lo:[0,0,1] neg_hi:[0,0,1]
	v_pk_fma_f32 v[104:105], v[104:105], v[94:95], v[108:109] op_sel:[0,0,1] op_sel_hi:[1,0,0]
	v_dual_mul_f32 v108, v107, v97 :: v_dual_mov_b32 v104, v107
	s_delay_alu instid0(VALU_DEP_2) | instskip(NEXT) | instid1(VALU_DEP_2)
	v_dual_mov_b32 v111, v105 :: v_dual_mov_b32 v105, v106
	v_pk_fma_f32 v[108:109], v[106:107], v[72:73], v[108:109] op_sel_hi:[1,1,0] neg_lo:[0,0,1] neg_hi:[0,0,1]
	v_mul_f32_e32 v106, v107, v94
	s_delay_alu instid0(VALU_DEP_3) | instskip(NEXT) | instid1(VALU_DEP_2)
	v_pk_add_f32 v[44:45], v[44:45], v[110:111] neg_lo:[0,1] neg_hi:[0,1]
	v_pk_fma_f32 v[104:105], v[104:105], v[72:73], v[106:107] op_sel_hi:[1,1,0]
	s_delay_alu instid0(VALU_DEP_1) | instskip(SKIP_4) | instid1(VALU_DEP_1)
	v_mov_b32_e32 v109, v105
	ds_load_2addr_b64 v[104:107], v98 offset0:32 offset1:33
	v_pk_add_f32 v[10:11], v[10:11], v[108:109] neg_lo:[0,1] neg_hi:[0,1]
	s_wait_dscnt 0x0
	v_pk_mul_f32 v[108:109], v[104:105], v[96:97] op_sel:[0,1]
	v_pk_fma_f32 v[110:111], v[104:105], v[94:95], v[108:109] op_sel:[0,0,1] op_sel_hi:[1,1,0] neg_lo:[0,0,1] neg_hi:[0,0,1]
	v_pk_fma_f32 v[104:105], v[104:105], v[94:95], v[108:109] op_sel:[0,0,1] op_sel_hi:[1,0,0]
	s_delay_alu instid0(VALU_DEP_1) | instskip(SKIP_1) | instid1(VALU_DEP_1)
	v_mov_b32_e32 v111, v105
	v_pk_mul_f32 v[104:105], v[106:107], v[96:97] op_sel:[0,1]
	v_pk_fma_f32 v[108:109], v[106:107], v[94:95], v[104:105] op_sel:[0,0,1] op_sel_hi:[1,1,0] neg_lo:[0,0,1] neg_hi:[0,0,1]
	v_pk_fma_f32 v[104:105], v[106:107], v[94:95], v[104:105] op_sel:[0,0,1] op_sel_hi:[1,0,0]
	s_delay_alu instid0(VALU_DEP_1)
	v_mov_b32_e32 v109, v105
	ds_load_2addr_b64 v[104:107], v98 offset0:34 offset1:35
	v_pk_add_f32 v[40:41], v[40:41], v[110:111] neg_lo:[0,1] neg_hi:[0,1]
	v_pk_add_f32 v[36:37], v[36:37], v[108:109] neg_lo:[0,1] neg_hi:[0,1]
	s_wait_dscnt 0x0
	v_pk_mul_f32 v[108:109], v[104:105], v[96:97] op_sel:[0,1]
	s_delay_alu instid0(VALU_DEP_1) | instskip(SKIP_1) | instid1(VALU_DEP_1)
	v_pk_fma_f32 v[110:111], v[104:105], v[94:95], v[108:109] op_sel:[0,0,1] op_sel_hi:[1,1,0] neg_lo:[0,0,1] neg_hi:[0,0,1]
	v_pk_fma_f32 v[104:105], v[104:105], v[94:95], v[108:109] op_sel:[0,0,1] op_sel_hi:[1,0,0]
	v_mov_b32_e32 v111, v105
	v_pk_mul_f32 v[104:105], v[106:107], v[96:97] op_sel:[0,1]
	s_delay_alu instid0(VALU_DEP_1) | instskip(SKIP_1) | instid1(VALU_DEP_1)
	v_pk_fma_f32 v[108:109], v[106:107], v[94:95], v[104:105] op_sel:[0,0,1] op_sel_hi:[1,1,0] neg_lo:[0,0,1] neg_hi:[0,0,1]
	v_pk_fma_f32 v[104:105], v[106:107], v[94:95], v[104:105] op_sel:[0,0,1] op_sel_hi:[1,0,0]
	v_mov_b32_e32 v109, v105
	ds_load_2addr_b64 v[104:107], v98 offset0:36 offset1:37
	v_pk_add_f32 v[38:39], v[38:39], v[110:111] neg_lo:[0,1] neg_hi:[0,1]
	v_pk_add_f32 v[6:7], v[6:7], v[108:109] neg_lo:[0,1] neg_hi:[0,1]
	s_wait_dscnt 0x0
	v_dual_mul_f32 v108, v105, v97 :: v_dual_mul_f32 v110, v105, v94
	s_delay_alu instid0(VALU_DEP_1) | instskip(NEXT) | instid1(VALU_DEP_2)
	v_pk_fma_f32 v[108:109], v[104:105], v[72:73], v[108:109] op_sel_hi:[1,1,0] neg_lo:[0,0,1] neg_hi:[0,0,1]
	v_pk_fma_f32 v[104:105], v[104:105], v[72:73], v[110:111] op_sel:[1,0,0] op_sel_hi:[0,1,0]
	s_delay_alu instid0(VALU_DEP_1) | instskip(SKIP_1) | instid1(VALU_DEP_2)
	v_mov_b32_e32 v109, v105
	v_pk_mul_f32 v[104:105], v[106:107], v[96:97] op_sel:[0,1]
	v_pk_add_f32 v[34:35], v[34:35], v[108:109] neg_lo:[0,1] neg_hi:[0,1]
	s_delay_alu instid0(VALU_DEP_2) | instskip(SKIP_1) | instid1(VALU_DEP_1)
	v_pk_fma_f32 v[108:109], v[106:107], v[94:95], v[104:105] op_sel:[0,0,1] op_sel_hi:[1,1,0] neg_lo:[0,0,1] neg_hi:[0,0,1]
	v_pk_fma_f32 v[104:105], v[106:107], v[94:95], v[104:105] op_sel:[0,0,1] op_sel_hi:[1,0,0]
	v_mov_b32_e32 v109, v105
	ds_load_2addr_b64 v[104:107], v98 offset0:38 offset1:39
	v_pk_add_f32 v[30:31], v[30:31], v[108:109] neg_lo:[0,1] neg_hi:[0,1]
	s_wait_dscnt 0x0
	v_pk_mul_f32 v[108:109], v[104:105], v[96:97] op_sel:[0,1]
	s_delay_alu instid0(VALU_DEP_1) | instskip(SKIP_1) | instid1(VALU_DEP_1)
	v_pk_fma_f32 v[110:111], v[104:105], v[94:95], v[108:109] op_sel:[0,0,1] op_sel_hi:[1,1,0] neg_lo:[0,0,1] neg_hi:[0,0,1]
	v_pk_fma_f32 v[104:105], v[104:105], v[94:95], v[108:109] op_sel:[0,0,1] op_sel_hi:[1,0,0]
	v_mov_b32_e32 v111, v105
	v_pk_mul_f32 v[104:105], v[106:107], v[96:97] op_sel:[0,1]
	s_delay_alu instid0(VALU_DEP_2) | instskip(NEXT) | instid1(VALU_DEP_2)
	v_pk_add_f32 v[32:33], v[32:33], v[110:111] neg_lo:[0,1] neg_hi:[0,1]
	v_pk_fma_f32 v[108:109], v[106:107], v[94:95], v[104:105] op_sel:[0,0,1] op_sel_hi:[1,1,0] neg_lo:[0,0,1] neg_hi:[0,0,1]
	v_pk_fma_f32 v[104:105], v[106:107], v[94:95], v[104:105] op_sel:[0,0,1] op_sel_hi:[1,0,0]
	s_delay_alu instid0(VALU_DEP_1) | instskip(SKIP_4) | instid1(VALU_DEP_1)
	v_mov_b32_e32 v109, v105
	ds_load_2addr_b64 v[104:107], v98 offset0:40 offset1:41
	v_pk_add_f32 v[8:9], v[8:9], v[108:109] neg_lo:[0,1] neg_hi:[0,1]
	s_wait_dscnt 0x0
	v_pk_mul_f32 v[108:109], v[104:105], v[96:97] op_sel:[0,1]
	v_pk_fma_f32 v[110:111], v[104:105], v[94:95], v[108:109] op_sel:[0,0,1] op_sel_hi:[1,1,0] neg_lo:[0,0,1] neg_hi:[0,0,1]
	v_pk_fma_f32 v[104:105], v[104:105], v[94:95], v[108:109] op_sel:[0,0,1] op_sel_hi:[1,0,0]
	v_dual_mul_f32 v108, v107, v97 :: v_dual_mov_b32 v104, v107
	s_delay_alu instid0(VALU_DEP_2) | instskip(NEXT) | instid1(VALU_DEP_2)
	v_dual_mov_b32 v111, v105 :: v_dual_mov_b32 v105, v106
	v_pk_fma_f32 v[108:109], v[106:107], v[72:73], v[108:109] op_sel_hi:[1,1,0] neg_lo:[0,0,1] neg_hi:[0,0,1]
	v_mul_f32_e32 v106, v107, v94
	s_delay_alu instid0(VALU_DEP_3) | instskip(NEXT) | instid1(VALU_DEP_2)
	v_pk_add_f32 v[28:29], v[28:29], v[110:111] neg_lo:[0,1] neg_hi:[0,1]
	v_pk_fma_f32 v[104:105], v[104:105], v[72:73], v[106:107] op_sel_hi:[1,1,0]
	s_delay_alu instid0(VALU_DEP_1)
	v_mov_b32_e32 v109, v105
	ds_load_2addr_b64 v[104:107], v98 offset0:42 offset1:43
	v_pk_add_f32 v[20:21], v[20:21], v[108:109] neg_lo:[0,1] neg_hi:[0,1]
	s_wait_dscnt 0x0
	v_pk_mul_f32 v[108:109], v[104:105], v[96:97] op_sel:[0,1]
	v_pk_mul_f32 v[96:97], v[106:107], v[96:97] op_sel:[0,1]
	s_delay_alu instid0(VALU_DEP_2) | instskip(SKIP_1) | instid1(VALU_DEP_1)
	v_pk_fma_f32 v[110:111], v[104:105], v[94:95], v[108:109] op_sel:[0,0,1] op_sel_hi:[1,1,0] neg_lo:[0,0,1] neg_hi:[0,0,1]
	v_pk_fma_f32 v[104:105], v[104:105], v[94:95], v[108:109] op_sel:[0,0,1] op_sel_hi:[1,0,0]
	v_mov_b32_e32 v111, v105
	s_delay_alu instid0(VALU_DEP_4) | instskip(SKIP_1) | instid1(VALU_DEP_1)
	v_pk_fma_f32 v[104:105], v[106:107], v[94:95], v[96:97] op_sel:[0,0,1] op_sel_hi:[1,1,0] neg_lo:[0,0,1] neg_hi:[0,0,1]
	v_pk_fma_f32 v[94:95], v[106:107], v[94:95], v[96:97] op_sel:[0,0,1] op_sel_hi:[1,0,0]
	v_mov_b32_e32 v105, v95
	s_delay_alu instid0(VALU_DEP_4) | instskip(NEXT) | instid1(VALU_DEP_2)
	v_pk_add_f32 v[16:17], v[16:17], v[110:111] neg_lo:[0,1] neg_hi:[0,1]
	v_pk_add_f32 v[92:93], v[92:93], v[104:105] neg_lo:[0,1] neg_hi:[0,1]
.LBB86_377:
	s_or_b32 exec_lo, exec_lo, s0
	v_lshl_add_u32 v94, v102, 3, v98
	s_barrier_signal -1
	s_barrier_wait -1
	ds_store_b64 v94, v[74:75]
	s_wait_dscnt 0x0
	s_barrier_signal -1
	s_barrier_wait -1
	ds_load_b64 v[96:97], v98 offset:144
	v_mov_b32_e32 v94, 18
	s_cmp_lt_i32 s18, 20
	s_cbranch_scc1 .LBB86_380
; %bb.378:
	v_add3_u32 v95, v99, 0, 0x98
	v_mov_b32_e32 v94, 18
	s_mov_b32 s0, 19
.LBB86_379:                             ; =>This Inner Loop Header: Depth=1
	ds_load_b64 v[104:105], v95
	s_wait_dscnt 0x1
	v_cmp_gt_f32_e32 vcc_lo, 0, v96
	v_cndmask_b32_e64 v106, v96, -v96, vcc_lo
	v_cmp_gt_f32_e32 vcc_lo, 0, v97
	v_cndmask_b32_e64 v108, v97, -v97, vcc_lo
	s_wait_dscnt 0x0
	v_cmp_gt_f32_e32 vcc_lo, 0, v104
	v_cndmask_b32_e64 v107, v104, -v104, vcc_lo
	v_cmp_gt_f32_e32 vcc_lo, 0, v105
	v_cndmask_b32_e64 v109, v105, -v105, vcc_lo
	s_delay_alu instid0(VALU_DEP_1) | instskip(NEXT) | instid1(VALU_DEP_1)
	v_pk_add_f32 v[106:107], v[106:107], v[108:109]
	v_cmp_lt_f32_e32 vcc_lo, v106, v107
	v_dual_add_nc_u32 v95, 8, v95 :: v_dual_cndmask_b32 v97, v97, v105, vcc_lo
	v_cndmask_b32_e32 v96, v96, v104, vcc_lo
	v_cndmask_b32_e64 v94, v94, s0, vcc_lo
	s_add_co_i32 s0, s0, 1
	s_delay_alu instid0(SALU_CYCLE_1)
	s_cmp_lg_u32 s18, s0
	s_cbranch_scc1 .LBB86_379
.LBB86_380:
	s_wait_dscnt 0x0
	v_cmp_eq_f32_e32 vcc_lo, 0, v96
	v_cmp_eq_f32_e64 s0, 0, v97
	s_and_b32 s0, vcc_lo, s0
	s_delay_alu instid0(SALU_CYCLE_1) | instskip(NEXT) | instid1(SALU_CYCLE_1)
	s_and_saveexec_b32 s1, s0
	s_xor_b32 s0, exec_lo, s1
; %bb.381:
	v_cmp_ne_u32_e32 vcc_lo, 0, v100
	v_cndmask_b32_e32 v100, 19, v100, vcc_lo
; %bb.382:
	s_and_not1_saveexec_b32 s0, s0
	s_cbranch_execz .LBB86_388
; %bb.383:
	v_cmp_ngt_f32_e64 s1, |v96|, |v97|
	s_and_saveexec_b32 s12, s1
	s_delay_alu instid0(SALU_CYCLE_1)
	s_xor_b32 s1, exec_lo, s12
	s_cbranch_execz .LBB86_385
; %bb.384:
	v_div_scale_f32 v95, null, v97, v97, v96
	v_div_scale_f32 v105, vcc_lo, v96, v97, v96
	s_delay_alu instid0(VALU_DEP_2) | instskip(SKIP_1) | instid1(TRANS32_DEP_1)
	v_rcp_f32_e32 v103, v95
	v_nop
	v_fma_f32 v104, -v95, v103, 1.0
	s_delay_alu instid0(VALU_DEP_1) | instskip(NEXT) | instid1(VALU_DEP_1)
	v_fmac_f32_e32 v103, v104, v103
	v_mul_f32_e32 v104, v105, v103
	s_delay_alu instid0(VALU_DEP_1) | instskip(NEXT) | instid1(VALU_DEP_1)
	v_fma_f32 v106, -v95, v104, v105
	v_fmac_f32_e32 v104, v106, v103
	s_delay_alu instid0(VALU_DEP_1) | instskip(NEXT) | instid1(VALU_DEP_1)
	v_fma_f32 v95, -v95, v104, v105
	v_div_fmas_f32 v95, v95, v103, v104
	s_delay_alu instid0(VALU_DEP_1) | instskip(NEXT) | instid1(VALU_DEP_1)
	v_div_fixup_f32 v95, v95, v97, v96
	v_fmac_f32_e32 v97, v96, v95
	s_delay_alu instid0(VALU_DEP_1) | instskip(SKIP_1) | instid1(VALU_DEP_2)
	v_div_scale_f32 v96, null, v97, v97, 1.0
	v_div_scale_f32 v105, vcc_lo, 1.0, v97, 1.0
	v_rcp_f32_e32 v103, v96
	v_nop
	s_delay_alu instid0(TRANS32_DEP_1) | instskip(NEXT) | instid1(VALU_DEP_1)
	v_fma_f32 v104, -v96, v103, 1.0
	v_fmac_f32_e32 v103, v104, v103
	s_delay_alu instid0(VALU_DEP_1) | instskip(NEXT) | instid1(VALU_DEP_1)
	v_mul_f32_e32 v104, v105, v103
	v_fma_f32 v106, -v96, v104, v105
	s_delay_alu instid0(VALU_DEP_1) | instskip(NEXT) | instid1(VALU_DEP_1)
	v_fmac_f32_e32 v104, v106, v103
	v_fma_f32 v96, -v96, v104, v105
	s_delay_alu instid0(VALU_DEP_1) | instskip(NEXT) | instid1(VALU_DEP_1)
	v_div_fmas_f32 v96, v96, v103, v104
	v_div_fixup_f32 v97, v96, v97, 1.0
	s_delay_alu instid0(VALU_DEP_1)
	v_mul_f32_e32 v96, v95, v97
	v_xor_b32_e32 v97, 0x80000000, v97
.LBB86_385:
	s_and_not1_saveexec_b32 s1, s1
	s_cbranch_execz .LBB86_387
; %bb.386:
	s_delay_alu instid0(VALU_DEP_1) | instskip(SKIP_1) | instid1(VALU_DEP_2)
	v_div_scale_f32 v95, null, v96, v96, v97
	v_div_scale_f32 v105, vcc_lo, v97, v96, v97
	v_rcp_f32_e32 v103, v95
	v_nop
	s_delay_alu instid0(TRANS32_DEP_1) | instskip(NEXT) | instid1(VALU_DEP_1)
	v_fma_f32 v104, -v95, v103, 1.0
	v_fmac_f32_e32 v103, v104, v103
	s_delay_alu instid0(VALU_DEP_1) | instskip(NEXT) | instid1(VALU_DEP_1)
	v_mul_f32_e32 v104, v105, v103
	v_fma_f32 v106, -v95, v104, v105
	s_delay_alu instid0(VALU_DEP_1) | instskip(NEXT) | instid1(VALU_DEP_1)
	v_fmac_f32_e32 v104, v106, v103
	v_fma_f32 v95, -v95, v104, v105
	s_delay_alu instid0(VALU_DEP_1) | instskip(NEXT) | instid1(VALU_DEP_1)
	v_div_fmas_f32 v95, v95, v103, v104
	v_div_fixup_f32 v95, v95, v96, v97
	s_delay_alu instid0(VALU_DEP_1) | instskip(NEXT) | instid1(VALU_DEP_1)
	v_fmac_f32_e32 v96, v97, v95
	v_div_scale_f32 v97, null, v96, v96, 1.0
	s_delay_alu instid0(VALU_DEP_1) | instskip(SKIP_1) | instid1(TRANS32_DEP_1)
	v_rcp_f32_e32 v103, v97
	v_nop
	v_fma_f32 v104, -v97, v103, 1.0
	s_delay_alu instid0(VALU_DEP_1) | instskip(SKIP_1) | instid1(VALU_DEP_1)
	v_fmac_f32_e32 v103, v104, v103
	v_div_scale_f32 v104, vcc_lo, 1.0, v96, 1.0
	v_mul_f32_e32 v105, v104, v103
	s_delay_alu instid0(VALU_DEP_1) | instskip(NEXT) | instid1(VALU_DEP_1)
	v_fma_f32 v106, -v97, v105, v104
	v_fmac_f32_e32 v105, v106, v103
	s_delay_alu instid0(VALU_DEP_1) | instskip(NEXT) | instid1(VALU_DEP_1)
	v_fma_f32 v97, -v97, v105, v104
	v_div_fmas_f32 v97, v97, v103, v105
	s_delay_alu instid0(VALU_DEP_1) | instskip(NEXT) | instid1(VALU_DEP_1)
	v_div_fixup_f32 v96, v97, v96, 1.0
	v_mul_f32_e64 v97, v95, -v96
.LBB86_387:
	s_or_b32 exec_lo, exec_lo, s1
.LBB86_388:
	s_delay_alu instid0(SALU_CYCLE_1) | instskip(NEXT) | instid1(SALU_CYCLE_1)
	s_or_b32 exec_lo, exec_lo, s0
	s_mov_b32 s0, exec_lo
	v_cmpx_ne_u32_e64 v102, v94
	s_xor_b32 s0, exec_lo, s0
	s_cbranch_execz .LBB86_394
; %bb.389:
	s_mov_b32 s1, exec_lo
	v_cmpx_eq_u32_e32 18, v102
	s_cbranch_execz .LBB86_393
; %bb.390:
	v_cmp_ne_u32_e32 vcc_lo, 18, v94
	s_xor_b32 s12, s16, -1
	s_delay_alu instid0(SALU_CYCLE_1) | instskip(NEXT) | instid1(SALU_CYCLE_1)
	s_and_b32 s13, s12, vcc_lo
	s_and_saveexec_b32 s12, s13
	s_cbranch_execz .LBB86_392
; %bb.391:
	v_ashrrev_i32_e32 v95, 31, v94
	s_delay_alu instid0(VALU_DEP_1)
	v_lshl_add_u64 v[102:103], v[94:95], 2, v[4:5]
	s_clause 0x1
	global_load_b32 v95, v[102:103], off
	global_load_b32 v101, v[4:5], off offset:72
	s_wait_loadcnt 0x1
	global_store_b32 v[4:5], v95, off offset:72
	s_wait_loadcnt 0x0
	global_store_b32 v[102:103], v101, off
.LBB86_392:
	s_wait_xcnt 0x0
	s_or_b32 exec_lo, exec_lo, s12
	v_dual_mov_b32 v102, v94 :: v_dual_mov_b32 v101, v94
.LBB86_393:
	s_or_b32 exec_lo, exec_lo, s1
.LBB86_394:
	s_and_not1_saveexec_b32 s0, s0
	s_cbranch_execz .LBB86_396
; %bb.395:
	v_mov_b32_e32 v102, 18
	ds_store_2addr_b64 v98, v[24:25], v[70:71] offset0:19 offset1:20
	ds_store_2addr_b64 v98, v[66:67], v[68:69] offset0:21 offset1:22
	;; [unrolled: 1-line block ×12, first 2 shown]
	ds_store_b64 v98, v[92:93] offset:344
.LBB86_396:
	s_or_b32 exec_lo, exec_lo, s0
	s_delay_alu instid0(SALU_CYCLE_1)
	s_mov_b32 s0, exec_lo
	s_wait_storecnt_dscnt 0x0
	s_barrier_signal -1
	s_barrier_wait -1
	v_cmpx_lt_i32_e32 18, v102
	s_cbranch_execz .LBB86_398
; %bb.397:
	v_pk_mul_f32 v[104:105], v[96:97], v[74:75] op_sel:[1,1] op_sel_hi:[0,1]
	s_delay_alu instid0(VALU_DEP_1)
	v_pk_fma_f32 v[94:95], v[96:97], v[74:75], v[104:105] op_sel_hi:[1,0,1] neg_lo:[0,0,1] neg_hi:[0,0,1]
	v_pk_fma_f32 v[96:97], v[96:97], v[74:75], v[104:105] op_sel_hi:[1,0,1]
	ds_load_2addr_b64 v[104:107], v98 offset0:19 offset1:20
	v_dual_mov_b32 v74, v94 :: v_dual_mov_b32 v75, v97
	s_wait_dscnt 0x0
	v_pk_mul_f32 v[108:109], v[104:105], v[96:97] op_sel:[0,1]
	s_delay_alu instid0(VALU_DEP_1) | instskip(SKIP_1) | instid1(VALU_DEP_1)
	v_pk_fma_f32 v[110:111], v[104:105], v[94:95], v[108:109] op_sel:[0,0,1] op_sel_hi:[1,1,0] neg_lo:[0,0,1] neg_hi:[0,0,1]
	v_pk_fma_f32 v[104:105], v[104:105], v[94:95], v[108:109] op_sel:[0,0,1] op_sel_hi:[1,0,0]
	v_mov_b32_e32 v111, v105
	v_pk_mul_f32 v[104:105], v[106:107], v[96:97] op_sel:[0,1]
	s_delay_alu instid0(VALU_DEP_1) | instskip(SKIP_1) | instid1(VALU_DEP_1)
	v_pk_fma_f32 v[108:109], v[106:107], v[94:95], v[104:105] op_sel:[0,0,1] op_sel_hi:[1,1,0] neg_lo:[0,0,1] neg_hi:[0,0,1]
	v_pk_fma_f32 v[104:105], v[106:107], v[94:95], v[104:105] op_sel:[0,0,1] op_sel_hi:[1,0,0]
	v_mov_b32_e32 v109, v105
	ds_load_2addr_b64 v[104:107], v98 offset0:21 offset1:22
	v_pk_add_f32 v[24:25], v[24:25], v[110:111] neg_lo:[0,1] neg_hi:[0,1]
	v_pk_add_f32 v[70:71], v[70:71], v[108:109] neg_lo:[0,1] neg_hi:[0,1]
	s_wait_dscnt 0x0
	v_pk_mul_f32 v[108:109], v[104:105], v[96:97] op_sel:[0,1]
	s_delay_alu instid0(VALU_DEP_1) | instskip(SKIP_2) | instid1(VALU_DEP_2)
	v_pk_fma_f32 v[110:111], v[104:105], v[94:95], v[108:109] op_sel:[0,0,1] op_sel_hi:[1,1,0] neg_lo:[0,0,1] neg_hi:[0,0,1]
	v_pk_fma_f32 v[104:105], v[104:105], v[94:95], v[108:109] op_sel:[0,0,1] op_sel_hi:[1,0,0]
	v_dual_mul_f32 v108, v107, v97 :: v_dual_mov_b32 v104, v107
	v_dual_mov_b32 v111, v105 :: v_dual_mov_b32 v105, v106
	s_delay_alu instid0(VALU_DEP_2) | instskip(SKIP_1) | instid1(VALU_DEP_3)
	v_pk_fma_f32 v[108:109], v[106:107], v[74:75], v[108:109] op_sel_hi:[1,1,0] neg_lo:[0,0,1] neg_hi:[0,0,1]
	v_mul_f32_e32 v106, v107, v94
	v_pk_add_f32 v[66:67], v[66:67], v[110:111] neg_lo:[0,1] neg_hi:[0,1]
	s_delay_alu instid0(VALU_DEP_2) | instskip(NEXT) | instid1(VALU_DEP_1)
	v_pk_fma_f32 v[104:105], v[104:105], v[74:75], v[106:107] op_sel_hi:[1,1,0]
	v_mov_b32_e32 v109, v105
	ds_load_2addr_b64 v[104:107], v98 offset0:23 offset1:24
	v_pk_add_f32 v[68:69], v[68:69], v[108:109] neg_lo:[0,1] neg_hi:[0,1]
	s_wait_dscnt 0x0
	v_pk_mul_f32 v[108:109], v[104:105], v[96:97] op_sel:[0,1]
	s_delay_alu instid0(VALU_DEP_1) | instskip(SKIP_1) | instid1(VALU_DEP_1)
	v_pk_fma_f32 v[110:111], v[104:105], v[94:95], v[108:109] op_sel:[0,0,1] op_sel_hi:[1,1,0] neg_lo:[0,0,1] neg_hi:[0,0,1]
	v_pk_fma_f32 v[104:105], v[104:105], v[94:95], v[108:109] op_sel:[0,0,1] op_sel_hi:[1,0,0]
	v_mov_b32_e32 v111, v105
	v_pk_mul_f32 v[104:105], v[106:107], v[96:97] op_sel:[0,1]
	s_delay_alu instid0(VALU_DEP_1) | instskip(SKIP_1) | instid1(VALU_DEP_1)
	v_pk_fma_f32 v[108:109], v[106:107], v[94:95], v[104:105] op_sel:[0,0,1] op_sel_hi:[1,1,0] neg_lo:[0,0,1] neg_hi:[0,0,1]
	v_pk_fma_f32 v[104:105], v[106:107], v[94:95], v[104:105] op_sel:[0,0,1] op_sel_hi:[1,0,0]
	v_mov_b32_e32 v109, v105
	ds_load_2addr_b64 v[104:107], v98 offset0:25 offset1:26
	v_pk_add_f32 v[22:23], v[22:23], v[110:111] neg_lo:[0,1] neg_hi:[0,1]
	v_pk_add_f32 v[54:55], v[54:55], v[108:109] neg_lo:[0,1] neg_hi:[0,1]
	s_wait_dscnt 0x0
	v_pk_mul_f32 v[108:109], v[104:105], v[96:97] op_sel:[0,1]
	s_delay_alu instid0(VALU_DEP_1) | instskip(SKIP_1) | instid1(VALU_DEP_1)
	v_pk_fma_f32 v[110:111], v[104:105], v[94:95], v[108:109] op_sel:[0,0,1] op_sel_hi:[1,1,0] neg_lo:[0,0,1] neg_hi:[0,0,1]
	v_pk_fma_f32 v[104:105], v[104:105], v[94:95], v[108:109] op_sel:[0,0,1] op_sel_hi:[1,0,0]
	v_mov_b32_e32 v111, v105
	v_pk_mul_f32 v[104:105], v[106:107], v[96:97] op_sel:[0,1]
	s_delay_alu instid0(VALU_DEP_1) | instskip(SKIP_1) | instid1(VALU_DEP_1)
	v_pk_fma_f32 v[108:109], v[106:107], v[94:95], v[104:105] op_sel:[0,0,1] op_sel_hi:[1,1,0] neg_lo:[0,0,1] neg_hi:[0,0,1]
	v_pk_fma_f32 v[104:105], v[106:107], v[94:95], v[104:105] op_sel:[0,0,1] op_sel_hi:[1,0,0]
	v_mov_b32_e32 v109, v105
	ds_load_2addr_b64 v[104:107], v98 offset0:27 offset1:28
	v_pk_add_f32 v[48:49], v[48:49], v[110:111] neg_lo:[0,1] neg_hi:[0,1]
	v_pk_add_f32 v[52:53], v[52:53], v[108:109] neg_lo:[0,1] neg_hi:[0,1]
	s_wait_dscnt 0x0
	v_dual_mul_f32 v108, v105, v97 :: v_dual_mul_f32 v110, v105, v94
	s_delay_alu instid0(VALU_DEP_1) | instskip(NEXT) | instid1(VALU_DEP_2)
	v_pk_fma_f32 v[108:109], v[104:105], v[74:75], v[108:109] op_sel_hi:[1,1,0] neg_lo:[0,0,1] neg_hi:[0,0,1]
	v_pk_fma_f32 v[104:105], v[104:105], v[74:75], v[110:111] op_sel:[1,0,0] op_sel_hi:[0,1,0]
	s_delay_alu instid0(VALU_DEP_1) | instskip(SKIP_1) | instid1(VALU_DEP_2)
	v_mov_b32_e32 v109, v105
	v_pk_mul_f32 v[104:105], v[106:107], v[96:97] op_sel:[0,1]
	v_pk_add_f32 v[12:13], v[12:13], v[108:109] neg_lo:[0,1] neg_hi:[0,1]
	s_delay_alu instid0(VALU_DEP_2) | instskip(SKIP_1) | instid1(VALU_DEP_1)
	v_pk_fma_f32 v[108:109], v[106:107], v[94:95], v[104:105] op_sel:[0,0,1] op_sel_hi:[1,1,0] neg_lo:[0,0,1] neg_hi:[0,0,1]
	v_pk_fma_f32 v[104:105], v[106:107], v[94:95], v[104:105] op_sel:[0,0,1] op_sel_hi:[1,0,0]
	v_mov_b32_e32 v109, v105
	ds_load_2addr_b64 v[104:107], v98 offset0:29 offset1:30
	v_pk_add_f32 v[46:47], v[46:47], v[108:109] neg_lo:[0,1] neg_hi:[0,1]
	s_wait_dscnt 0x0
	v_pk_mul_f32 v[108:109], v[104:105], v[96:97] op_sel:[0,1]
	s_delay_alu instid0(VALU_DEP_1) | instskip(SKIP_1) | instid1(VALU_DEP_1)
	v_pk_fma_f32 v[110:111], v[104:105], v[94:95], v[108:109] op_sel:[0,0,1] op_sel_hi:[1,1,0] neg_lo:[0,0,1] neg_hi:[0,0,1]
	v_pk_fma_f32 v[104:105], v[104:105], v[94:95], v[108:109] op_sel:[0,0,1] op_sel_hi:[1,0,0]
	v_mov_b32_e32 v111, v105
	v_pk_mul_f32 v[104:105], v[106:107], v[96:97] op_sel:[0,1]
	s_delay_alu instid0(VALU_DEP_2) | instskip(NEXT) | instid1(VALU_DEP_2)
	v_pk_add_f32 v[42:43], v[42:43], v[110:111] neg_lo:[0,1] neg_hi:[0,1]
	v_pk_fma_f32 v[108:109], v[106:107], v[94:95], v[104:105] op_sel:[0,0,1] op_sel_hi:[1,1,0] neg_lo:[0,0,1] neg_hi:[0,0,1]
	v_pk_fma_f32 v[104:105], v[106:107], v[94:95], v[104:105] op_sel:[0,0,1] op_sel_hi:[1,0,0]
	s_delay_alu instid0(VALU_DEP_1) | instskip(SKIP_4) | instid1(VALU_DEP_1)
	v_mov_b32_e32 v109, v105
	ds_load_2addr_b64 v[104:107], v98 offset0:31 offset1:32
	v_pk_add_f32 v[44:45], v[44:45], v[108:109] neg_lo:[0,1] neg_hi:[0,1]
	s_wait_dscnt 0x0
	v_pk_mul_f32 v[108:109], v[104:105], v[96:97] op_sel:[0,1]
	v_pk_fma_f32 v[110:111], v[104:105], v[94:95], v[108:109] op_sel:[0,0,1] op_sel_hi:[1,1,0] neg_lo:[0,0,1] neg_hi:[0,0,1]
	v_pk_fma_f32 v[104:105], v[104:105], v[94:95], v[108:109] op_sel:[0,0,1] op_sel_hi:[1,0,0]
	v_dual_mul_f32 v108, v107, v97 :: v_dual_mov_b32 v104, v107
	s_delay_alu instid0(VALU_DEP_2) | instskip(NEXT) | instid1(VALU_DEP_2)
	v_dual_mov_b32 v111, v105 :: v_dual_mov_b32 v105, v106
	v_pk_fma_f32 v[108:109], v[106:107], v[74:75], v[108:109] op_sel_hi:[1,1,0] neg_lo:[0,0,1] neg_hi:[0,0,1]
	v_mul_f32_e32 v106, v107, v94
	s_delay_alu instid0(VALU_DEP_3) | instskip(NEXT) | instid1(VALU_DEP_2)
	v_pk_add_f32 v[10:11], v[10:11], v[110:111] neg_lo:[0,1] neg_hi:[0,1]
	v_pk_fma_f32 v[104:105], v[104:105], v[74:75], v[106:107] op_sel_hi:[1,1,0]
	s_delay_alu instid0(VALU_DEP_1) | instskip(SKIP_4) | instid1(VALU_DEP_1)
	v_mov_b32_e32 v109, v105
	ds_load_2addr_b64 v[104:107], v98 offset0:33 offset1:34
	v_pk_add_f32 v[40:41], v[40:41], v[108:109] neg_lo:[0,1] neg_hi:[0,1]
	s_wait_dscnt 0x0
	v_pk_mul_f32 v[108:109], v[104:105], v[96:97] op_sel:[0,1]
	v_pk_fma_f32 v[110:111], v[104:105], v[94:95], v[108:109] op_sel:[0,0,1] op_sel_hi:[1,1,0] neg_lo:[0,0,1] neg_hi:[0,0,1]
	v_pk_fma_f32 v[104:105], v[104:105], v[94:95], v[108:109] op_sel:[0,0,1] op_sel_hi:[1,0,0]
	s_delay_alu instid0(VALU_DEP_1) | instskip(SKIP_1) | instid1(VALU_DEP_1)
	v_mov_b32_e32 v111, v105
	v_pk_mul_f32 v[104:105], v[106:107], v[96:97] op_sel:[0,1]
	v_pk_fma_f32 v[108:109], v[106:107], v[94:95], v[104:105] op_sel:[0,0,1] op_sel_hi:[1,1,0] neg_lo:[0,0,1] neg_hi:[0,0,1]
	v_pk_fma_f32 v[104:105], v[106:107], v[94:95], v[104:105] op_sel:[0,0,1] op_sel_hi:[1,0,0]
	s_delay_alu instid0(VALU_DEP_1)
	v_mov_b32_e32 v109, v105
	ds_load_2addr_b64 v[104:107], v98 offset0:35 offset1:36
	v_pk_add_f32 v[36:37], v[36:37], v[110:111] neg_lo:[0,1] neg_hi:[0,1]
	v_pk_add_f32 v[38:39], v[38:39], v[108:109] neg_lo:[0,1] neg_hi:[0,1]
	s_wait_dscnt 0x0
	v_pk_mul_f32 v[108:109], v[104:105], v[96:97] op_sel:[0,1]
	s_delay_alu instid0(VALU_DEP_1) | instskip(SKIP_1) | instid1(VALU_DEP_1)
	v_pk_fma_f32 v[110:111], v[104:105], v[94:95], v[108:109] op_sel:[0,0,1] op_sel_hi:[1,1,0] neg_lo:[0,0,1] neg_hi:[0,0,1]
	v_pk_fma_f32 v[104:105], v[104:105], v[94:95], v[108:109] op_sel:[0,0,1] op_sel_hi:[1,0,0]
	v_mov_b32_e32 v111, v105
	v_pk_mul_f32 v[104:105], v[106:107], v[96:97] op_sel:[0,1]
	s_delay_alu instid0(VALU_DEP_1) | instskip(SKIP_1) | instid1(VALU_DEP_1)
	v_pk_fma_f32 v[108:109], v[106:107], v[94:95], v[104:105] op_sel:[0,0,1] op_sel_hi:[1,1,0] neg_lo:[0,0,1] neg_hi:[0,0,1]
	v_pk_fma_f32 v[104:105], v[106:107], v[94:95], v[104:105] op_sel:[0,0,1] op_sel_hi:[1,0,0]
	v_mov_b32_e32 v109, v105
	ds_load_2addr_b64 v[104:107], v98 offset0:37 offset1:38
	v_pk_add_f32 v[6:7], v[6:7], v[110:111] neg_lo:[0,1] neg_hi:[0,1]
	v_pk_add_f32 v[34:35], v[34:35], v[108:109] neg_lo:[0,1] neg_hi:[0,1]
	s_wait_dscnt 0x0
	v_dual_mul_f32 v108, v105, v97 :: v_dual_mul_f32 v110, v105, v94
	s_delay_alu instid0(VALU_DEP_1) | instskip(NEXT) | instid1(VALU_DEP_2)
	v_pk_fma_f32 v[108:109], v[104:105], v[74:75], v[108:109] op_sel_hi:[1,1,0] neg_lo:[0,0,1] neg_hi:[0,0,1]
	v_pk_fma_f32 v[104:105], v[104:105], v[74:75], v[110:111] op_sel:[1,0,0] op_sel_hi:[0,1,0]
	s_delay_alu instid0(VALU_DEP_1) | instskip(SKIP_1) | instid1(VALU_DEP_2)
	v_mov_b32_e32 v109, v105
	v_pk_mul_f32 v[104:105], v[106:107], v[96:97] op_sel:[0,1]
	v_pk_add_f32 v[30:31], v[30:31], v[108:109] neg_lo:[0,1] neg_hi:[0,1]
	s_delay_alu instid0(VALU_DEP_2) | instskip(SKIP_1) | instid1(VALU_DEP_1)
	v_pk_fma_f32 v[108:109], v[106:107], v[94:95], v[104:105] op_sel:[0,0,1] op_sel_hi:[1,1,0] neg_lo:[0,0,1] neg_hi:[0,0,1]
	v_pk_fma_f32 v[104:105], v[106:107], v[94:95], v[104:105] op_sel:[0,0,1] op_sel_hi:[1,0,0]
	v_mov_b32_e32 v109, v105
	ds_load_2addr_b64 v[104:107], v98 offset0:39 offset1:40
	v_pk_add_f32 v[32:33], v[32:33], v[108:109] neg_lo:[0,1] neg_hi:[0,1]
	s_wait_dscnt 0x0
	v_pk_mul_f32 v[108:109], v[104:105], v[96:97] op_sel:[0,1]
	s_delay_alu instid0(VALU_DEP_1) | instskip(SKIP_1) | instid1(VALU_DEP_1)
	v_pk_fma_f32 v[110:111], v[104:105], v[94:95], v[108:109] op_sel:[0,0,1] op_sel_hi:[1,1,0] neg_lo:[0,0,1] neg_hi:[0,0,1]
	v_pk_fma_f32 v[104:105], v[104:105], v[94:95], v[108:109] op_sel:[0,0,1] op_sel_hi:[1,0,0]
	v_mov_b32_e32 v111, v105
	v_pk_mul_f32 v[104:105], v[106:107], v[96:97] op_sel:[0,1]
	s_delay_alu instid0(VALU_DEP_2) | instskip(NEXT) | instid1(VALU_DEP_2)
	v_pk_add_f32 v[8:9], v[8:9], v[110:111] neg_lo:[0,1] neg_hi:[0,1]
	v_pk_fma_f32 v[108:109], v[106:107], v[94:95], v[104:105] op_sel:[0,0,1] op_sel_hi:[1,1,0] neg_lo:[0,0,1] neg_hi:[0,0,1]
	v_pk_fma_f32 v[104:105], v[106:107], v[94:95], v[104:105] op_sel:[0,0,1] op_sel_hi:[1,0,0]
	s_delay_alu instid0(VALU_DEP_1) | instskip(SKIP_4) | instid1(VALU_DEP_1)
	v_mov_b32_e32 v109, v105
	ds_load_2addr_b64 v[104:107], v98 offset0:41 offset1:42
	v_pk_add_f32 v[28:29], v[28:29], v[108:109] neg_lo:[0,1] neg_hi:[0,1]
	s_wait_dscnt 0x0
	v_pk_mul_f32 v[108:109], v[104:105], v[96:97] op_sel:[0,1]
	v_pk_fma_f32 v[110:111], v[104:105], v[94:95], v[108:109] op_sel:[0,0,1] op_sel_hi:[1,1,0] neg_lo:[0,0,1] neg_hi:[0,0,1]
	v_pk_fma_f32 v[104:105], v[104:105], v[94:95], v[108:109] op_sel:[0,0,1] op_sel_hi:[1,0,0]
	v_dual_mul_f32 v108, v107, v97 :: v_dual_mov_b32 v104, v107
	s_delay_alu instid0(VALU_DEP_2) | instskip(NEXT) | instid1(VALU_DEP_2)
	v_dual_mov_b32 v111, v105 :: v_dual_mov_b32 v105, v106
	v_pk_fma_f32 v[108:109], v[106:107], v[74:75], v[108:109] op_sel_hi:[1,1,0] neg_lo:[0,0,1] neg_hi:[0,0,1]
	v_mul_f32_e32 v106, v107, v94
	s_delay_alu instid0(VALU_DEP_3) | instskip(NEXT) | instid1(VALU_DEP_2)
	v_pk_add_f32 v[20:21], v[20:21], v[110:111] neg_lo:[0,1] neg_hi:[0,1]
	v_pk_fma_f32 v[104:105], v[104:105], v[74:75], v[106:107] op_sel_hi:[1,1,0]
	s_delay_alu instid0(VALU_DEP_1) | instskip(SKIP_4) | instid1(VALU_DEP_1)
	v_mov_b32_e32 v109, v105
	ds_load_b64 v[104:105], v98 offset:344
	v_pk_add_f32 v[16:17], v[16:17], v[108:109] neg_lo:[0,1] neg_hi:[0,1]
	s_wait_dscnt 0x0
	v_pk_mul_f32 v[96:97], v[104:105], v[96:97] op_sel:[0,1]
	v_pk_fma_f32 v[106:107], v[104:105], v[94:95], v[96:97] op_sel:[0,0,1] op_sel_hi:[1,1,0] neg_lo:[0,0,1] neg_hi:[0,0,1]
	v_pk_fma_f32 v[94:95], v[104:105], v[94:95], v[96:97] op_sel:[0,0,1] op_sel_hi:[1,0,0]
	s_delay_alu instid0(VALU_DEP_1) | instskip(NEXT) | instid1(VALU_DEP_1)
	v_mov_b32_e32 v107, v95
	v_pk_add_f32 v[92:93], v[92:93], v[106:107] neg_lo:[0,1] neg_hi:[0,1]
.LBB86_398:
	s_or_b32 exec_lo, exec_lo, s0
	v_lshl_add_u32 v94, v102, 3, v98
	s_barrier_signal -1
	s_barrier_wait -1
	ds_store_b64 v94, v[24:25]
	s_wait_dscnt 0x0
	s_barrier_signal -1
	s_barrier_wait -1
	ds_load_b64 v[96:97], v98 offset:152
	v_mov_b32_e32 v94, 19
	s_cmp_lt_i32 s18, 21
	s_cbranch_scc1 .LBB86_401
; %bb.399:
	v_add3_u32 v95, v99, 0, 0xa0
	v_mov_b32_e32 v94, 19
	s_mov_b32 s0, 20
.LBB86_400:                             ; =>This Inner Loop Header: Depth=1
	ds_load_b64 v[104:105], v95
	s_wait_dscnt 0x1
	v_cmp_gt_f32_e32 vcc_lo, 0, v96
	v_cndmask_b32_e64 v106, v96, -v96, vcc_lo
	v_cmp_gt_f32_e32 vcc_lo, 0, v97
	v_cndmask_b32_e64 v108, v97, -v97, vcc_lo
	s_wait_dscnt 0x0
	v_cmp_gt_f32_e32 vcc_lo, 0, v104
	v_cndmask_b32_e64 v107, v104, -v104, vcc_lo
	v_cmp_gt_f32_e32 vcc_lo, 0, v105
	v_cndmask_b32_e64 v109, v105, -v105, vcc_lo
	s_delay_alu instid0(VALU_DEP_1) | instskip(NEXT) | instid1(VALU_DEP_1)
	v_pk_add_f32 v[106:107], v[106:107], v[108:109]
	v_cmp_lt_f32_e32 vcc_lo, v106, v107
	v_dual_add_nc_u32 v95, 8, v95 :: v_dual_cndmask_b32 v97, v97, v105, vcc_lo
	v_cndmask_b32_e32 v96, v96, v104, vcc_lo
	v_cndmask_b32_e64 v94, v94, s0, vcc_lo
	s_add_co_i32 s0, s0, 1
	s_delay_alu instid0(SALU_CYCLE_1)
	s_cmp_lg_u32 s18, s0
	s_cbranch_scc1 .LBB86_400
.LBB86_401:
	s_wait_dscnt 0x0
	v_cmp_eq_f32_e32 vcc_lo, 0, v96
	v_cmp_eq_f32_e64 s0, 0, v97
	s_and_b32 s0, vcc_lo, s0
	s_delay_alu instid0(SALU_CYCLE_1) | instskip(NEXT) | instid1(SALU_CYCLE_1)
	s_and_saveexec_b32 s1, s0
	s_xor_b32 s0, exec_lo, s1
; %bb.402:
	v_cmp_ne_u32_e32 vcc_lo, 0, v100
	v_cndmask_b32_e32 v100, 20, v100, vcc_lo
; %bb.403:
	s_and_not1_saveexec_b32 s0, s0
	s_cbranch_execz .LBB86_409
; %bb.404:
	v_cmp_ngt_f32_e64 s1, |v96|, |v97|
	s_and_saveexec_b32 s12, s1
	s_delay_alu instid0(SALU_CYCLE_1)
	s_xor_b32 s1, exec_lo, s12
	s_cbranch_execz .LBB86_406
; %bb.405:
	v_div_scale_f32 v95, null, v97, v97, v96
	v_div_scale_f32 v105, vcc_lo, v96, v97, v96
	s_delay_alu instid0(VALU_DEP_2) | instskip(SKIP_1) | instid1(TRANS32_DEP_1)
	v_rcp_f32_e32 v103, v95
	v_nop
	v_fma_f32 v104, -v95, v103, 1.0
	s_delay_alu instid0(VALU_DEP_1) | instskip(NEXT) | instid1(VALU_DEP_1)
	v_fmac_f32_e32 v103, v104, v103
	v_mul_f32_e32 v104, v105, v103
	s_delay_alu instid0(VALU_DEP_1) | instskip(NEXT) | instid1(VALU_DEP_1)
	v_fma_f32 v106, -v95, v104, v105
	v_fmac_f32_e32 v104, v106, v103
	s_delay_alu instid0(VALU_DEP_1) | instskip(NEXT) | instid1(VALU_DEP_1)
	v_fma_f32 v95, -v95, v104, v105
	v_div_fmas_f32 v95, v95, v103, v104
	s_delay_alu instid0(VALU_DEP_1) | instskip(NEXT) | instid1(VALU_DEP_1)
	v_div_fixup_f32 v95, v95, v97, v96
	v_fmac_f32_e32 v97, v96, v95
	s_delay_alu instid0(VALU_DEP_1) | instskip(SKIP_1) | instid1(VALU_DEP_2)
	v_div_scale_f32 v96, null, v97, v97, 1.0
	v_div_scale_f32 v105, vcc_lo, 1.0, v97, 1.0
	v_rcp_f32_e32 v103, v96
	v_nop
	s_delay_alu instid0(TRANS32_DEP_1) | instskip(NEXT) | instid1(VALU_DEP_1)
	v_fma_f32 v104, -v96, v103, 1.0
	v_fmac_f32_e32 v103, v104, v103
	s_delay_alu instid0(VALU_DEP_1) | instskip(NEXT) | instid1(VALU_DEP_1)
	v_mul_f32_e32 v104, v105, v103
	v_fma_f32 v106, -v96, v104, v105
	s_delay_alu instid0(VALU_DEP_1) | instskip(NEXT) | instid1(VALU_DEP_1)
	v_fmac_f32_e32 v104, v106, v103
	v_fma_f32 v96, -v96, v104, v105
	s_delay_alu instid0(VALU_DEP_1) | instskip(NEXT) | instid1(VALU_DEP_1)
	v_div_fmas_f32 v96, v96, v103, v104
	v_div_fixup_f32 v97, v96, v97, 1.0
	s_delay_alu instid0(VALU_DEP_1)
	v_mul_f32_e32 v96, v95, v97
	v_xor_b32_e32 v97, 0x80000000, v97
.LBB86_406:
	s_and_not1_saveexec_b32 s1, s1
	s_cbranch_execz .LBB86_408
; %bb.407:
	s_delay_alu instid0(VALU_DEP_1) | instskip(SKIP_1) | instid1(VALU_DEP_2)
	v_div_scale_f32 v95, null, v96, v96, v97
	v_div_scale_f32 v105, vcc_lo, v97, v96, v97
	v_rcp_f32_e32 v103, v95
	v_nop
	s_delay_alu instid0(TRANS32_DEP_1) | instskip(NEXT) | instid1(VALU_DEP_1)
	v_fma_f32 v104, -v95, v103, 1.0
	v_fmac_f32_e32 v103, v104, v103
	s_delay_alu instid0(VALU_DEP_1) | instskip(NEXT) | instid1(VALU_DEP_1)
	v_mul_f32_e32 v104, v105, v103
	v_fma_f32 v106, -v95, v104, v105
	s_delay_alu instid0(VALU_DEP_1) | instskip(NEXT) | instid1(VALU_DEP_1)
	v_fmac_f32_e32 v104, v106, v103
	v_fma_f32 v95, -v95, v104, v105
	s_delay_alu instid0(VALU_DEP_1) | instskip(NEXT) | instid1(VALU_DEP_1)
	v_div_fmas_f32 v95, v95, v103, v104
	v_div_fixup_f32 v95, v95, v96, v97
	s_delay_alu instid0(VALU_DEP_1) | instskip(NEXT) | instid1(VALU_DEP_1)
	v_fmac_f32_e32 v96, v97, v95
	v_div_scale_f32 v97, null, v96, v96, 1.0
	s_delay_alu instid0(VALU_DEP_1) | instskip(SKIP_1) | instid1(TRANS32_DEP_1)
	v_rcp_f32_e32 v103, v97
	v_nop
	v_fma_f32 v104, -v97, v103, 1.0
	s_delay_alu instid0(VALU_DEP_1) | instskip(SKIP_1) | instid1(VALU_DEP_1)
	v_fmac_f32_e32 v103, v104, v103
	v_div_scale_f32 v104, vcc_lo, 1.0, v96, 1.0
	v_mul_f32_e32 v105, v104, v103
	s_delay_alu instid0(VALU_DEP_1) | instskip(NEXT) | instid1(VALU_DEP_1)
	v_fma_f32 v106, -v97, v105, v104
	v_fmac_f32_e32 v105, v106, v103
	s_delay_alu instid0(VALU_DEP_1) | instskip(NEXT) | instid1(VALU_DEP_1)
	v_fma_f32 v97, -v97, v105, v104
	v_div_fmas_f32 v97, v97, v103, v105
	s_delay_alu instid0(VALU_DEP_1) | instskip(NEXT) | instid1(VALU_DEP_1)
	v_div_fixup_f32 v96, v97, v96, 1.0
	v_mul_f32_e64 v97, v95, -v96
.LBB86_408:
	s_or_b32 exec_lo, exec_lo, s1
.LBB86_409:
	s_delay_alu instid0(SALU_CYCLE_1) | instskip(NEXT) | instid1(SALU_CYCLE_1)
	s_or_b32 exec_lo, exec_lo, s0
	s_mov_b32 s0, exec_lo
	v_cmpx_ne_u32_e64 v102, v94
	s_xor_b32 s0, exec_lo, s0
	s_cbranch_execz .LBB86_415
; %bb.410:
	s_mov_b32 s1, exec_lo
	v_cmpx_eq_u32_e32 19, v102
	s_cbranch_execz .LBB86_414
; %bb.411:
	v_cmp_ne_u32_e32 vcc_lo, 19, v94
	s_xor_b32 s12, s16, -1
	s_delay_alu instid0(SALU_CYCLE_1) | instskip(NEXT) | instid1(SALU_CYCLE_1)
	s_and_b32 s13, s12, vcc_lo
	s_and_saveexec_b32 s12, s13
	s_cbranch_execz .LBB86_413
; %bb.412:
	v_ashrrev_i32_e32 v95, 31, v94
	s_delay_alu instid0(VALU_DEP_1)
	v_lshl_add_u64 v[102:103], v[94:95], 2, v[4:5]
	s_clause 0x1
	global_load_b32 v95, v[102:103], off
	global_load_b32 v101, v[4:5], off offset:76
	s_wait_loadcnt 0x1
	global_store_b32 v[4:5], v95, off offset:76
	s_wait_loadcnt 0x0
	global_store_b32 v[102:103], v101, off
.LBB86_413:
	s_wait_xcnt 0x0
	s_or_b32 exec_lo, exec_lo, s12
	v_dual_mov_b32 v102, v94 :: v_dual_mov_b32 v101, v94
.LBB86_414:
	s_or_b32 exec_lo, exec_lo, s1
.LBB86_415:
	s_and_not1_saveexec_b32 s0, s0
	s_cbranch_execz .LBB86_417
; %bb.416:
	v_dual_mov_b32 v94, v70 :: v_dual_mov_b32 v95, v71
	v_dual_mov_b32 v102, v66 :: v_dual_mov_b32 v103, v67
	v_dual_mov_b32 v104, v68 :: v_dual_mov_b32 v105, v69
	v_dual_mov_b32 v106, v22 :: v_dual_mov_b32 v107, v23
	ds_store_2addr_b64 v98, v[94:95], v[102:103] offset0:20 offset1:21
	ds_store_2addr_b64 v98, v[104:105], v[106:107] offset0:22 offset1:23
	v_dual_mov_b32 v94, v54 :: v_dual_mov_b32 v95, v55
	v_dual_mov_b32 v102, v48 :: v_dual_mov_b32 v103, v49
	;; [unrolled: 1-line block ×12, first 2 shown]
	ds_store_2addr_b64 v98, v[94:95], v[102:103] offset0:24 offset1:25
	ds_store_2addr_b64 v98, v[104:105], v[106:107] offset0:26 offset1:27
	;; [unrolled: 1-line block ×6, first 2 shown]
	v_dual_mov_b32 v94, v34 :: v_dual_mov_b32 v95, v35
	v_dual_mov_b32 v104, v30 :: v_dual_mov_b32 v105, v31
	;; [unrolled: 1-line block ×7, first 2 shown]
	v_mov_b32_e32 v115, v17
	ds_store_2addr_b64 v98, v[94:95], v[104:105] offset0:36 offset1:37
	ds_store_2addr_b64 v98, v[106:107], v[108:109] offset0:38 offset1:39
	;; [unrolled: 1-line block ×4, first 2 shown]
.LBB86_417:
	s_or_b32 exec_lo, exec_lo, s0
	s_delay_alu instid0(SALU_CYCLE_1)
	s_mov_b32 s0, exec_lo
	s_wait_storecnt_dscnt 0x0
	s_barrier_signal -1
	s_barrier_wait -1
	v_cmpx_lt_i32_e32 19, v102
	s_cbranch_execz .LBB86_419
; %bb.418:
	v_pk_mul_f32 v[104:105], v[96:97], v[24:25] op_sel:[1,1] op_sel_hi:[0,1]
	s_delay_alu instid0(VALU_DEP_1)
	v_pk_fma_f32 v[94:95], v[96:97], v[24:25], v[104:105] op_sel_hi:[1,0,1] neg_lo:[0,0,1] neg_hi:[0,0,1]
	v_pk_fma_f32 v[96:97], v[96:97], v[24:25], v[104:105] op_sel_hi:[1,0,1]
	ds_load_2addr_b64 v[104:107], v98 offset0:20 offset1:21
	v_dual_mov_b32 v24, v94 :: v_dual_mov_b32 v25, v97
	s_wait_dscnt 0x0
	v_pk_mul_f32 v[108:109], v[104:105], v[96:97] op_sel:[0,1]
	s_delay_alu instid0(VALU_DEP_1) | instskip(SKIP_1) | instid1(VALU_DEP_1)
	v_pk_fma_f32 v[110:111], v[104:105], v[94:95], v[108:109] op_sel:[0,0,1] op_sel_hi:[1,1,0] neg_lo:[0,0,1] neg_hi:[0,0,1]
	v_pk_fma_f32 v[104:105], v[104:105], v[94:95], v[108:109] op_sel:[0,0,1] op_sel_hi:[1,0,0]
	v_mov_b32_e32 v111, v105
	v_pk_mul_f32 v[104:105], v[106:107], v[96:97] op_sel:[0,1]
	s_delay_alu instid0(VALU_DEP_1) | instskip(SKIP_1) | instid1(VALU_DEP_1)
	v_pk_fma_f32 v[108:109], v[106:107], v[94:95], v[104:105] op_sel:[0,0,1] op_sel_hi:[1,1,0] neg_lo:[0,0,1] neg_hi:[0,0,1]
	v_pk_fma_f32 v[104:105], v[106:107], v[94:95], v[104:105] op_sel:[0,0,1] op_sel_hi:[1,0,0]
	v_mov_b32_e32 v109, v105
	ds_load_2addr_b64 v[104:107], v98 offset0:22 offset1:23
	v_pk_add_f32 v[70:71], v[70:71], v[110:111] neg_lo:[0,1] neg_hi:[0,1]
	v_pk_add_f32 v[66:67], v[66:67], v[108:109] neg_lo:[0,1] neg_hi:[0,1]
	s_wait_dscnt 0x0
	v_pk_mul_f32 v[108:109], v[104:105], v[96:97] op_sel:[0,1]
	s_delay_alu instid0(VALU_DEP_1) | instskip(SKIP_2) | instid1(VALU_DEP_2)
	v_pk_fma_f32 v[110:111], v[104:105], v[94:95], v[108:109] op_sel:[0,0,1] op_sel_hi:[1,1,0] neg_lo:[0,0,1] neg_hi:[0,0,1]
	v_pk_fma_f32 v[104:105], v[104:105], v[94:95], v[108:109] op_sel:[0,0,1] op_sel_hi:[1,0,0]
	v_dual_mul_f32 v108, v107, v97 :: v_dual_mov_b32 v104, v107
	v_dual_mov_b32 v111, v105 :: v_dual_mov_b32 v105, v106
	s_delay_alu instid0(VALU_DEP_2) | instskip(SKIP_1) | instid1(VALU_DEP_3)
	v_pk_fma_f32 v[108:109], v[106:107], v[24:25], v[108:109] op_sel_hi:[1,1,0] neg_lo:[0,0,1] neg_hi:[0,0,1]
	v_mul_f32_e32 v106, v107, v94
	v_pk_add_f32 v[68:69], v[68:69], v[110:111] neg_lo:[0,1] neg_hi:[0,1]
	s_delay_alu instid0(VALU_DEP_2) | instskip(NEXT) | instid1(VALU_DEP_1)
	v_pk_fma_f32 v[104:105], v[104:105], v[24:25], v[106:107] op_sel_hi:[1,1,0]
	v_mov_b32_e32 v109, v105
	ds_load_2addr_b64 v[104:107], v98 offset0:24 offset1:25
	v_pk_add_f32 v[22:23], v[22:23], v[108:109] neg_lo:[0,1] neg_hi:[0,1]
	s_wait_dscnt 0x0
	v_pk_mul_f32 v[108:109], v[104:105], v[96:97] op_sel:[0,1]
	s_delay_alu instid0(VALU_DEP_1) | instskip(SKIP_1) | instid1(VALU_DEP_1)
	v_pk_fma_f32 v[110:111], v[104:105], v[94:95], v[108:109] op_sel:[0,0,1] op_sel_hi:[1,1,0] neg_lo:[0,0,1] neg_hi:[0,0,1]
	v_pk_fma_f32 v[104:105], v[104:105], v[94:95], v[108:109] op_sel:[0,0,1] op_sel_hi:[1,0,0]
	v_mov_b32_e32 v111, v105
	v_pk_mul_f32 v[104:105], v[106:107], v[96:97] op_sel:[0,1]
	s_delay_alu instid0(VALU_DEP_1) | instskip(SKIP_1) | instid1(VALU_DEP_1)
	v_pk_fma_f32 v[108:109], v[106:107], v[94:95], v[104:105] op_sel:[0,0,1] op_sel_hi:[1,1,0] neg_lo:[0,0,1] neg_hi:[0,0,1]
	v_pk_fma_f32 v[104:105], v[106:107], v[94:95], v[104:105] op_sel:[0,0,1] op_sel_hi:[1,0,0]
	v_mov_b32_e32 v109, v105
	ds_load_2addr_b64 v[104:107], v98 offset0:26 offset1:27
	v_pk_add_f32 v[54:55], v[54:55], v[110:111] neg_lo:[0,1] neg_hi:[0,1]
	v_pk_add_f32 v[48:49], v[48:49], v[108:109] neg_lo:[0,1] neg_hi:[0,1]
	s_wait_dscnt 0x0
	v_pk_mul_f32 v[108:109], v[104:105], v[96:97] op_sel:[0,1]
	s_delay_alu instid0(VALU_DEP_1) | instskip(SKIP_1) | instid1(VALU_DEP_1)
	v_pk_fma_f32 v[110:111], v[104:105], v[94:95], v[108:109] op_sel:[0,0,1] op_sel_hi:[1,1,0] neg_lo:[0,0,1] neg_hi:[0,0,1]
	v_pk_fma_f32 v[104:105], v[104:105], v[94:95], v[108:109] op_sel:[0,0,1] op_sel_hi:[1,0,0]
	v_mov_b32_e32 v111, v105
	v_pk_mul_f32 v[104:105], v[106:107], v[96:97] op_sel:[0,1]
	s_delay_alu instid0(VALU_DEP_1) | instskip(SKIP_1) | instid1(VALU_DEP_1)
	v_pk_fma_f32 v[108:109], v[106:107], v[94:95], v[104:105] op_sel:[0,0,1] op_sel_hi:[1,1,0] neg_lo:[0,0,1] neg_hi:[0,0,1]
	v_pk_fma_f32 v[104:105], v[106:107], v[94:95], v[104:105] op_sel:[0,0,1] op_sel_hi:[1,0,0]
	v_mov_b32_e32 v109, v105
	ds_load_2addr_b64 v[104:107], v98 offset0:28 offset1:29
	v_pk_add_f32 v[52:53], v[52:53], v[110:111] neg_lo:[0,1] neg_hi:[0,1]
	v_pk_add_f32 v[12:13], v[12:13], v[108:109] neg_lo:[0,1] neg_hi:[0,1]
	s_wait_dscnt 0x0
	v_dual_mul_f32 v108, v105, v97 :: v_dual_mul_f32 v110, v105, v94
	s_delay_alu instid0(VALU_DEP_1) | instskip(NEXT) | instid1(VALU_DEP_2)
	v_pk_fma_f32 v[108:109], v[104:105], v[24:25], v[108:109] op_sel_hi:[1,1,0] neg_lo:[0,0,1] neg_hi:[0,0,1]
	v_pk_fma_f32 v[104:105], v[104:105], v[24:25], v[110:111] op_sel:[1,0,0] op_sel_hi:[0,1,0]
	s_delay_alu instid0(VALU_DEP_1) | instskip(SKIP_1) | instid1(VALU_DEP_2)
	v_mov_b32_e32 v109, v105
	v_pk_mul_f32 v[104:105], v[106:107], v[96:97] op_sel:[0,1]
	v_pk_add_f32 v[46:47], v[46:47], v[108:109] neg_lo:[0,1] neg_hi:[0,1]
	s_delay_alu instid0(VALU_DEP_2) | instskip(SKIP_1) | instid1(VALU_DEP_1)
	v_pk_fma_f32 v[108:109], v[106:107], v[94:95], v[104:105] op_sel:[0,0,1] op_sel_hi:[1,1,0] neg_lo:[0,0,1] neg_hi:[0,0,1]
	v_pk_fma_f32 v[104:105], v[106:107], v[94:95], v[104:105] op_sel:[0,0,1] op_sel_hi:[1,0,0]
	v_mov_b32_e32 v109, v105
	ds_load_2addr_b64 v[104:107], v98 offset0:30 offset1:31
	v_pk_add_f32 v[42:43], v[42:43], v[108:109] neg_lo:[0,1] neg_hi:[0,1]
	s_wait_dscnt 0x0
	v_pk_mul_f32 v[108:109], v[104:105], v[96:97] op_sel:[0,1]
	s_delay_alu instid0(VALU_DEP_1) | instskip(SKIP_1) | instid1(VALU_DEP_1)
	v_pk_fma_f32 v[110:111], v[104:105], v[94:95], v[108:109] op_sel:[0,0,1] op_sel_hi:[1,1,0] neg_lo:[0,0,1] neg_hi:[0,0,1]
	v_pk_fma_f32 v[104:105], v[104:105], v[94:95], v[108:109] op_sel:[0,0,1] op_sel_hi:[1,0,0]
	v_mov_b32_e32 v111, v105
	v_pk_mul_f32 v[104:105], v[106:107], v[96:97] op_sel:[0,1]
	s_delay_alu instid0(VALU_DEP_2) | instskip(NEXT) | instid1(VALU_DEP_2)
	v_pk_add_f32 v[44:45], v[44:45], v[110:111] neg_lo:[0,1] neg_hi:[0,1]
	v_pk_fma_f32 v[108:109], v[106:107], v[94:95], v[104:105] op_sel:[0,0,1] op_sel_hi:[1,1,0] neg_lo:[0,0,1] neg_hi:[0,0,1]
	v_pk_fma_f32 v[104:105], v[106:107], v[94:95], v[104:105] op_sel:[0,0,1] op_sel_hi:[1,0,0]
	s_delay_alu instid0(VALU_DEP_1) | instskip(SKIP_4) | instid1(VALU_DEP_1)
	v_mov_b32_e32 v109, v105
	ds_load_2addr_b64 v[104:107], v98 offset0:32 offset1:33
	v_pk_add_f32 v[10:11], v[10:11], v[108:109] neg_lo:[0,1] neg_hi:[0,1]
	s_wait_dscnt 0x0
	v_pk_mul_f32 v[108:109], v[104:105], v[96:97] op_sel:[0,1]
	v_pk_fma_f32 v[110:111], v[104:105], v[94:95], v[108:109] op_sel:[0,0,1] op_sel_hi:[1,1,0] neg_lo:[0,0,1] neg_hi:[0,0,1]
	v_pk_fma_f32 v[104:105], v[104:105], v[94:95], v[108:109] op_sel:[0,0,1] op_sel_hi:[1,0,0]
	v_dual_mul_f32 v108, v107, v97 :: v_dual_mov_b32 v104, v107
	s_delay_alu instid0(VALU_DEP_2) | instskip(NEXT) | instid1(VALU_DEP_2)
	v_dual_mov_b32 v111, v105 :: v_dual_mov_b32 v105, v106
	v_pk_fma_f32 v[108:109], v[106:107], v[24:25], v[108:109] op_sel_hi:[1,1,0] neg_lo:[0,0,1] neg_hi:[0,0,1]
	v_mul_f32_e32 v106, v107, v94
	s_delay_alu instid0(VALU_DEP_3) | instskip(NEXT) | instid1(VALU_DEP_2)
	v_pk_add_f32 v[40:41], v[40:41], v[110:111] neg_lo:[0,1] neg_hi:[0,1]
	v_pk_fma_f32 v[104:105], v[104:105], v[24:25], v[106:107] op_sel_hi:[1,1,0]
	s_delay_alu instid0(VALU_DEP_1) | instskip(SKIP_4) | instid1(VALU_DEP_1)
	v_mov_b32_e32 v109, v105
	ds_load_2addr_b64 v[104:107], v98 offset0:34 offset1:35
	v_pk_add_f32 v[36:37], v[36:37], v[108:109] neg_lo:[0,1] neg_hi:[0,1]
	s_wait_dscnt 0x0
	v_pk_mul_f32 v[108:109], v[104:105], v[96:97] op_sel:[0,1]
	v_pk_fma_f32 v[110:111], v[104:105], v[94:95], v[108:109] op_sel:[0,0,1] op_sel_hi:[1,1,0] neg_lo:[0,0,1] neg_hi:[0,0,1]
	v_pk_fma_f32 v[104:105], v[104:105], v[94:95], v[108:109] op_sel:[0,0,1] op_sel_hi:[1,0,0]
	s_delay_alu instid0(VALU_DEP_1) | instskip(SKIP_1) | instid1(VALU_DEP_1)
	v_mov_b32_e32 v111, v105
	v_pk_mul_f32 v[104:105], v[106:107], v[96:97] op_sel:[0,1]
	v_pk_fma_f32 v[108:109], v[106:107], v[94:95], v[104:105] op_sel:[0,0,1] op_sel_hi:[1,1,0] neg_lo:[0,0,1] neg_hi:[0,0,1]
	v_pk_fma_f32 v[104:105], v[106:107], v[94:95], v[104:105] op_sel:[0,0,1] op_sel_hi:[1,0,0]
	s_delay_alu instid0(VALU_DEP_1)
	v_mov_b32_e32 v109, v105
	ds_load_2addr_b64 v[104:107], v98 offset0:36 offset1:37
	v_pk_add_f32 v[38:39], v[38:39], v[110:111] neg_lo:[0,1] neg_hi:[0,1]
	v_pk_add_f32 v[6:7], v[6:7], v[108:109] neg_lo:[0,1] neg_hi:[0,1]
	s_wait_dscnt 0x0
	v_pk_mul_f32 v[108:109], v[104:105], v[96:97] op_sel:[0,1]
	s_delay_alu instid0(VALU_DEP_1) | instskip(SKIP_1) | instid1(VALU_DEP_1)
	v_pk_fma_f32 v[110:111], v[104:105], v[94:95], v[108:109] op_sel:[0,0,1] op_sel_hi:[1,1,0] neg_lo:[0,0,1] neg_hi:[0,0,1]
	v_pk_fma_f32 v[104:105], v[104:105], v[94:95], v[108:109] op_sel:[0,0,1] op_sel_hi:[1,0,0]
	v_mov_b32_e32 v111, v105
	v_pk_mul_f32 v[104:105], v[106:107], v[96:97] op_sel:[0,1]
	s_delay_alu instid0(VALU_DEP_1) | instskip(SKIP_1) | instid1(VALU_DEP_1)
	v_pk_fma_f32 v[108:109], v[106:107], v[94:95], v[104:105] op_sel:[0,0,1] op_sel_hi:[1,1,0] neg_lo:[0,0,1] neg_hi:[0,0,1]
	v_pk_fma_f32 v[104:105], v[106:107], v[94:95], v[104:105] op_sel:[0,0,1] op_sel_hi:[1,0,0]
	v_mov_b32_e32 v109, v105
	ds_load_2addr_b64 v[104:107], v98 offset0:38 offset1:39
	v_pk_add_f32 v[34:35], v[34:35], v[110:111] neg_lo:[0,1] neg_hi:[0,1]
	v_pk_add_f32 v[30:31], v[30:31], v[108:109] neg_lo:[0,1] neg_hi:[0,1]
	s_wait_dscnt 0x0
	v_dual_mul_f32 v108, v105, v97 :: v_dual_mul_f32 v110, v105, v94
	s_delay_alu instid0(VALU_DEP_1) | instskip(NEXT) | instid1(VALU_DEP_2)
	v_pk_fma_f32 v[108:109], v[104:105], v[24:25], v[108:109] op_sel_hi:[1,1,0] neg_lo:[0,0,1] neg_hi:[0,0,1]
	v_pk_fma_f32 v[104:105], v[104:105], v[24:25], v[110:111] op_sel:[1,0,0] op_sel_hi:[0,1,0]
	s_delay_alu instid0(VALU_DEP_1) | instskip(SKIP_1) | instid1(VALU_DEP_2)
	v_mov_b32_e32 v109, v105
	v_pk_mul_f32 v[104:105], v[106:107], v[96:97] op_sel:[0,1]
	v_pk_add_f32 v[32:33], v[32:33], v[108:109] neg_lo:[0,1] neg_hi:[0,1]
	s_delay_alu instid0(VALU_DEP_2) | instskip(SKIP_1) | instid1(VALU_DEP_1)
	v_pk_fma_f32 v[108:109], v[106:107], v[94:95], v[104:105] op_sel:[0,0,1] op_sel_hi:[1,1,0] neg_lo:[0,0,1] neg_hi:[0,0,1]
	v_pk_fma_f32 v[104:105], v[106:107], v[94:95], v[104:105] op_sel:[0,0,1] op_sel_hi:[1,0,0]
	v_mov_b32_e32 v109, v105
	ds_load_2addr_b64 v[104:107], v98 offset0:40 offset1:41
	v_pk_add_f32 v[8:9], v[8:9], v[108:109] neg_lo:[0,1] neg_hi:[0,1]
	s_wait_dscnt 0x0
	v_pk_mul_f32 v[108:109], v[104:105], v[96:97] op_sel:[0,1]
	s_delay_alu instid0(VALU_DEP_1) | instskip(SKIP_1) | instid1(VALU_DEP_1)
	v_pk_fma_f32 v[110:111], v[104:105], v[94:95], v[108:109] op_sel:[0,0,1] op_sel_hi:[1,1,0] neg_lo:[0,0,1] neg_hi:[0,0,1]
	v_pk_fma_f32 v[104:105], v[104:105], v[94:95], v[108:109] op_sel:[0,0,1] op_sel_hi:[1,0,0]
	v_mov_b32_e32 v111, v105
	v_pk_mul_f32 v[104:105], v[106:107], v[96:97] op_sel:[0,1]
	s_delay_alu instid0(VALU_DEP_2) | instskip(NEXT) | instid1(VALU_DEP_2)
	v_pk_add_f32 v[28:29], v[28:29], v[110:111] neg_lo:[0,1] neg_hi:[0,1]
	v_pk_fma_f32 v[108:109], v[106:107], v[94:95], v[104:105] op_sel:[0,0,1] op_sel_hi:[1,1,0] neg_lo:[0,0,1] neg_hi:[0,0,1]
	v_pk_fma_f32 v[104:105], v[106:107], v[94:95], v[104:105] op_sel:[0,0,1] op_sel_hi:[1,0,0]
	s_delay_alu instid0(VALU_DEP_1)
	v_mov_b32_e32 v109, v105
	ds_load_2addr_b64 v[104:107], v98 offset0:42 offset1:43
	v_pk_add_f32 v[20:21], v[20:21], v[108:109] neg_lo:[0,1] neg_hi:[0,1]
	s_wait_dscnt 0x0
	v_pk_mul_f32 v[108:109], v[104:105], v[96:97] op_sel:[0,1]
	v_mul_f32_e32 v96, v107, v97
	s_delay_alu instid0(VALU_DEP_2) | instskip(SKIP_2) | instid1(VALU_DEP_4)
	v_pk_fma_f32 v[110:111], v[104:105], v[94:95], v[108:109] op_sel:[0,0,1] op_sel_hi:[1,1,0] neg_lo:[0,0,1] neg_hi:[0,0,1]
	v_pk_fma_f32 v[104:105], v[104:105], v[94:95], v[108:109] op_sel:[0,0,1] op_sel_hi:[1,0,0]
	v_dual_mov_b32 v104, v107 :: v_dual_mul_f32 v94, v107, v94
	v_pk_fma_f32 v[96:97], v[106:107], v[24:25], v[96:97] op_sel_hi:[1,1,0] neg_lo:[0,0,1] neg_hi:[0,0,1]
	s_delay_alu instid0(VALU_DEP_3) | instskip(NEXT) | instid1(VALU_DEP_1)
	v_dual_mov_b32 v111, v105 :: v_dual_mov_b32 v105, v106
	v_pk_add_f32 v[16:17], v[16:17], v[110:111] neg_lo:[0,1] neg_hi:[0,1]
	s_delay_alu instid0(VALU_DEP_2) | instskip(NEXT) | instid1(VALU_DEP_1)
	v_pk_fma_f32 v[94:95], v[104:105], v[24:25], v[94:95] op_sel_hi:[1,1,0]
	v_mov_b32_e32 v97, v95
	s_delay_alu instid0(VALU_DEP_1)
	v_pk_add_f32 v[92:93], v[92:93], v[96:97] neg_lo:[0,1] neg_hi:[0,1]
.LBB86_419:
	s_or_b32 exec_lo, exec_lo, s0
	v_lshl_add_u32 v94, v102, 3, v98
	s_barrier_signal -1
	s_barrier_wait -1
	ds_store_b64 v94, v[70:71]
	s_wait_dscnt 0x0
	s_barrier_signal -1
	s_barrier_wait -1
	ds_load_b64 v[96:97], v98 offset:160
	v_mov_b32_e32 v94, 20
	s_cmp_lt_i32 s18, 22
	s_cbranch_scc1 .LBB86_422
; %bb.420:
	v_add3_u32 v95, v99, 0, 0xa8
	v_mov_b32_e32 v94, 20
	s_mov_b32 s0, 21
.LBB86_421:                             ; =>This Inner Loop Header: Depth=1
	ds_load_b64 v[104:105], v95
	s_wait_dscnt 0x1
	v_cmp_gt_f32_e32 vcc_lo, 0, v96
	v_cndmask_b32_e64 v106, v96, -v96, vcc_lo
	v_cmp_gt_f32_e32 vcc_lo, 0, v97
	v_cndmask_b32_e64 v108, v97, -v97, vcc_lo
	s_wait_dscnt 0x0
	v_cmp_gt_f32_e32 vcc_lo, 0, v104
	v_cndmask_b32_e64 v107, v104, -v104, vcc_lo
	v_cmp_gt_f32_e32 vcc_lo, 0, v105
	v_cndmask_b32_e64 v109, v105, -v105, vcc_lo
	s_delay_alu instid0(VALU_DEP_1) | instskip(NEXT) | instid1(VALU_DEP_1)
	v_pk_add_f32 v[106:107], v[106:107], v[108:109]
	v_cmp_lt_f32_e32 vcc_lo, v106, v107
	v_dual_add_nc_u32 v95, 8, v95 :: v_dual_cndmask_b32 v97, v97, v105, vcc_lo
	v_cndmask_b32_e32 v96, v96, v104, vcc_lo
	v_cndmask_b32_e64 v94, v94, s0, vcc_lo
	s_add_co_i32 s0, s0, 1
	s_delay_alu instid0(SALU_CYCLE_1)
	s_cmp_lg_u32 s18, s0
	s_cbranch_scc1 .LBB86_421
.LBB86_422:
	s_wait_dscnt 0x0
	v_cmp_eq_f32_e32 vcc_lo, 0, v96
	v_cmp_eq_f32_e64 s0, 0, v97
	s_and_b32 s0, vcc_lo, s0
	s_delay_alu instid0(SALU_CYCLE_1) | instskip(NEXT) | instid1(SALU_CYCLE_1)
	s_and_saveexec_b32 s1, s0
	s_xor_b32 s0, exec_lo, s1
; %bb.423:
	v_cmp_ne_u32_e32 vcc_lo, 0, v100
	v_cndmask_b32_e32 v100, 21, v100, vcc_lo
; %bb.424:
	s_and_not1_saveexec_b32 s0, s0
	s_cbranch_execz .LBB86_430
; %bb.425:
	v_cmp_ngt_f32_e64 s1, |v96|, |v97|
	s_and_saveexec_b32 s12, s1
	s_delay_alu instid0(SALU_CYCLE_1)
	s_xor_b32 s1, exec_lo, s12
	s_cbranch_execz .LBB86_427
; %bb.426:
	v_div_scale_f32 v95, null, v97, v97, v96
	v_div_scale_f32 v105, vcc_lo, v96, v97, v96
	s_delay_alu instid0(VALU_DEP_2) | instskip(SKIP_1) | instid1(TRANS32_DEP_1)
	v_rcp_f32_e32 v103, v95
	v_nop
	v_fma_f32 v104, -v95, v103, 1.0
	s_delay_alu instid0(VALU_DEP_1) | instskip(NEXT) | instid1(VALU_DEP_1)
	v_fmac_f32_e32 v103, v104, v103
	v_mul_f32_e32 v104, v105, v103
	s_delay_alu instid0(VALU_DEP_1) | instskip(NEXT) | instid1(VALU_DEP_1)
	v_fma_f32 v106, -v95, v104, v105
	v_fmac_f32_e32 v104, v106, v103
	s_delay_alu instid0(VALU_DEP_1) | instskip(NEXT) | instid1(VALU_DEP_1)
	v_fma_f32 v95, -v95, v104, v105
	v_div_fmas_f32 v95, v95, v103, v104
	s_delay_alu instid0(VALU_DEP_1) | instskip(NEXT) | instid1(VALU_DEP_1)
	v_div_fixup_f32 v95, v95, v97, v96
	v_fmac_f32_e32 v97, v96, v95
	s_delay_alu instid0(VALU_DEP_1) | instskip(SKIP_1) | instid1(VALU_DEP_2)
	v_div_scale_f32 v96, null, v97, v97, 1.0
	v_div_scale_f32 v105, vcc_lo, 1.0, v97, 1.0
	v_rcp_f32_e32 v103, v96
	v_nop
	s_delay_alu instid0(TRANS32_DEP_1) | instskip(NEXT) | instid1(VALU_DEP_1)
	v_fma_f32 v104, -v96, v103, 1.0
	v_fmac_f32_e32 v103, v104, v103
	s_delay_alu instid0(VALU_DEP_1) | instskip(NEXT) | instid1(VALU_DEP_1)
	v_mul_f32_e32 v104, v105, v103
	v_fma_f32 v106, -v96, v104, v105
	s_delay_alu instid0(VALU_DEP_1) | instskip(NEXT) | instid1(VALU_DEP_1)
	v_fmac_f32_e32 v104, v106, v103
	v_fma_f32 v96, -v96, v104, v105
	s_delay_alu instid0(VALU_DEP_1) | instskip(NEXT) | instid1(VALU_DEP_1)
	v_div_fmas_f32 v96, v96, v103, v104
	v_div_fixup_f32 v97, v96, v97, 1.0
	s_delay_alu instid0(VALU_DEP_1)
	v_mul_f32_e32 v96, v95, v97
	v_xor_b32_e32 v97, 0x80000000, v97
.LBB86_427:
	s_and_not1_saveexec_b32 s1, s1
	s_cbranch_execz .LBB86_429
; %bb.428:
	s_delay_alu instid0(VALU_DEP_1) | instskip(SKIP_1) | instid1(VALU_DEP_2)
	v_div_scale_f32 v95, null, v96, v96, v97
	v_div_scale_f32 v105, vcc_lo, v97, v96, v97
	v_rcp_f32_e32 v103, v95
	v_nop
	s_delay_alu instid0(TRANS32_DEP_1) | instskip(NEXT) | instid1(VALU_DEP_1)
	v_fma_f32 v104, -v95, v103, 1.0
	v_fmac_f32_e32 v103, v104, v103
	s_delay_alu instid0(VALU_DEP_1) | instskip(NEXT) | instid1(VALU_DEP_1)
	v_mul_f32_e32 v104, v105, v103
	v_fma_f32 v106, -v95, v104, v105
	s_delay_alu instid0(VALU_DEP_1) | instskip(NEXT) | instid1(VALU_DEP_1)
	v_fmac_f32_e32 v104, v106, v103
	v_fma_f32 v95, -v95, v104, v105
	s_delay_alu instid0(VALU_DEP_1) | instskip(NEXT) | instid1(VALU_DEP_1)
	v_div_fmas_f32 v95, v95, v103, v104
	v_div_fixup_f32 v95, v95, v96, v97
	s_delay_alu instid0(VALU_DEP_1) | instskip(NEXT) | instid1(VALU_DEP_1)
	v_fmac_f32_e32 v96, v97, v95
	v_div_scale_f32 v97, null, v96, v96, 1.0
	s_delay_alu instid0(VALU_DEP_1) | instskip(SKIP_1) | instid1(TRANS32_DEP_1)
	v_rcp_f32_e32 v103, v97
	v_nop
	v_fma_f32 v104, -v97, v103, 1.0
	s_delay_alu instid0(VALU_DEP_1) | instskip(SKIP_1) | instid1(VALU_DEP_1)
	v_fmac_f32_e32 v103, v104, v103
	v_div_scale_f32 v104, vcc_lo, 1.0, v96, 1.0
	v_mul_f32_e32 v105, v104, v103
	s_delay_alu instid0(VALU_DEP_1) | instskip(NEXT) | instid1(VALU_DEP_1)
	v_fma_f32 v106, -v97, v105, v104
	v_fmac_f32_e32 v105, v106, v103
	s_delay_alu instid0(VALU_DEP_1) | instskip(NEXT) | instid1(VALU_DEP_1)
	v_fma_f32 v97, -v97, v105, v104
	v_div_fmas_f32 v97, v97, v103, v105
	s_delay_alu instid0(VALU_DEP_1) | instskip(NEXT) | instid1(VALU_DEP_1)
	v_div_fixup_f32 v96, v97, v96, 1.0
	v_mul_f32_e64 v97, v95, -v96
.LBB86_429:
	s_or_b32 exec_lo, exec_lo, s1
.LBB86_430:
	s_delay_alu instid0(SALU_CYCLE_1) | instskip(NEXT) | instid1(SALU_CYCLE_1)
	s_or_b32 exec_lo, exec_lo, s0
	s_mov_b32 s0, exec_lo
	v_cmpx_ne_u32_e64 v102, v94
	s_xor_b32 s0, exec_lo, s0
	s_cbranch_execz .LBB86_436
; %bb.431:
	s_mov_b32 s1, exec_lo
	v_cmpx_eq_u32_e32 20, v102
	s_cbranch_execz .LBB86_435
; %bb.432:
	v_cmp_ne_u32_e32 vcc_lo, 20, v94
	s_xor_b32 s12, s16, -1
	s_delay_alu instid0(SALU_CYCLE_1) | instskip(NEXT) | instid1(SALU_CYCLE_1)
	s_and_b32 s13, s12, vcc_lo
	s_and_saveexec_b32 s12, s13
	s_cbranch_execz .LBB86_434
; %bb.433:
	v_ashrrev_i32_e32 v95, 31, v94
	s_delay_alu instid0(VALU_DEP_1)
	v_lshl_add_u64 v[102:103], v[94:95], 2, v[4:5]
	s_clause 0x1
	global_load_b32 v95, v[102:103], off
	global_load_b32 v101, v[4:5], off offset:80
	s_wait_loadcnt 0x1
	global_store_b32 v[4:5], v95, off offset:80
	s_wait_loadcnt 0x0
	global_store_b32 v[102:103], v101, off
.LBB86_434:
	s_wait_xcnt 0x0
	s_or_b32 exec_lo, exec_lo, s12
	v_dual_mov_b32 v102, v94 :: v_dual_mov_b32 v101, v94
.LBB86_435:
	s_or_b32 exec_lo, exec_lo, s1
.LBB86_436:
	s_and_not1_saveexec_b32 s0, s0
	s_cbranch_execz .LBB86_438
; %bb.437:
	v_mov_b32_e32 v102, 20
	ds_store_2addr_b64 v98, v[66:67], v[68:69] offset0:21 offset1:22
	ds_store_2addr_b64 v98, v[22:23], v[54:55] offset0:23 offset1:24
	ds_store_2addr_b64 v98, v[48:49], v[52:53] offset0:25 offset1:26
	ds_store_2addr_b64 v98, v[12:13], v[46:47] offset0:27 offset1:28
	ds_store_2addr_b64 v98, v[42:43], v[44:45] offset0:29 offset1:30
	ds_store_2addr_b64 v98, v[10:11], v[40:41] offset0:31 offset1:32
	ds_store_2addr_b64 v98, v[36:37], v[38:39] offset0:33 offset1:34
	ds_store_2addr_b64 v98, v[6:7], v[34:35] offset0:35 offset1:36
	ds_store_2addr_b64 v98, v[30:31], v[32:33] offset0:37 offset1:38
	ds_store_2addr_b64 v98, v[8:9], v[28:29] offset0:39 offset1:40
	ds_store_2addr_b64 v98, v[20:21], v[16:17] offset0:41 offset1:42
	ds_store_b64 v98, v[92:93] offset:344
.LBB86_438:
	s_or_b32 exec_lo, exec_lo, s0
	s_delay_alu instid0(SALU_CYCLE_1)
	s_mov_b32 s0, exec_lo
	s_wait_storecnt_dscnt 0x0
	s_barrier_signal -1
	s_barrier_wait -1
	v_cmpx_lt_i32_e32 20, v102
	s_cbranch_execz .LBB86_440
; %bb.439:
	v_pk_mul_f32 v[104:105], v[96:97], v[70:71] op_sel:[1,1] op_sel_hi:[0,1]
	s_delay_alu instid0(VALU_DEP_1)
	v_pk_fma_f32 v[94:95], v[96:97], v[70:71], v[104:105] op_sel_hi:[1,0,1] neg_lo:[0,0,1] neg_hi:[0,0,1]
	v_pk_fma_f32 v[96:97], v[96:97], v[70:71], v[104:105] op_sel_hi:[1,0,1]
	ds_load_2addr_b64 v[104:107], v98 offset0:21 offset1:22
	v_dual_mov_b32 v70, v94 :: v_dual_mov_b32 v71, v97
	s_wait_dscnt 0x0
	v_pk_mul_f32 v[108:109], v[104:105], v[96:97] op_sel:[0,1]
	s_delay_alu instid0(VALU_DEP_1) | instskip(SKIP_1) | instid1(VALU_DEP_1)
	v_pk_fma_f32 v[110:111], v[104:105], v[94:95], v[108:109] op_sel:[0,0,1] op_sel_hi:[1,1,0] neg_lo:[0,0,1] neg_hi:[0,0,1]
	v_pk_fma_f32 v[104:105], v[104:105], v[94:95], v[108:109] op_sel:[0,0,1] op_sel_hi:[1,0,0]
	v_mov_b32_e32 v111, v105
	v_pk_mul_f32 v[104:105], v[106:107], v[96:97] op_sel:[0,1]
	s_delay_alu instid0(VALU_DEP_1) | instskip(SKIP_1) | instid1(VALU_DEP_1)
	v_pk_fma_f32 v[108:109], v[106:107], v[94:95], v[104:105] op_sel:[0,0,1] op_sel_hi:[1,1,0] neg_lo:[0,0,1] neg_hi:[0,0,1]
	v_pk_fma_f32 v[104:105], v[106:107], v[94:95], v[104:105] op_sel:[0,0,1] op_sel_hi:[1,0,0]
	v_mov_b32_e32 v109, v105
	ds_load_2addr_b64 v[104:107], v98 offset0:23 offset1:24
	v_pk_add_f32 v[66:67], v[66:67], v[110:111] neg_lo:[0,1] neg_hi:[0,1]
	v_pk_add_f32 v[68:69], v[68:69], v[108:109] neg_lo:[0,1] neg_hi:[0,1]
	s_wait_dscnt 0x0
	v_pk_mul_f32 v[108:109], v[104:105], v[96:97] op_sel:[0,1]
	s_delay_alu instid0(VALU_DEP_1) | instskip(SKIP_2) | instid1(VALU_DEP_2)
	v_pk_fma_f32 v[110:111], v[104:105], v[94:95], v[108:109] op_sel:[0,0,1] op_sel_hi:[1,1,0] neg_lo:[0,0,1] neg_hi:[0,0,1]
	v_pk_fma_f32 v[104:105], v[104:105], v[94:95], v[108:109] op_sel:[0,0,1] op_sel_hi:[1,0,0]
	v_dual_mul_f32 v108, v107, v97 :: v_dual_mov_b32 v104, v107
	v_dual_mov_b32 v111, v105 :: v_dual_mov_b32 v105, v106
	s_delay_alu instid0(VALU_DEP_2) | instskip(SKIP_1) | instid1(VALU_DEP_3)
	v_pk_fma_f32 v[108:109], v[106:107], v[70:71], v[108:109] op_sel_hi:[1,1,0] neg_lo:[0,0,1] neg_hi:[0,0,1]
	v_mul_f32_e32 v106, v107, v94
	v_pk_add_f32 v[22:23], v[22:23], v[110:111] neg_lo:[0,1] neg_hi:[0,1]
	s_delay_alu instid0(VALU_DEP_2) | instskip(NEXT) | instid1(VALU_DEP_1)
	v_pk_fma_f32 v[104:105], v[104:105], v[70:71], v[106:107] op_sel_hi:[1,1,0]
	v_mov_b32_e32 v109, v105
	ds_load_2addr_b64 v[104:107], v98 offset0:25 offset1:26
	v_pk_add_f32 v[54:55], v[54:55], v[108:109] neg_lo:[0,1] neg_hi:[0,1]
	s_wait_dscnt 0x0
	v_pk_mul_f32 v[108:109], v[104:105], v[96:97] op_sel:[0,1]
	s_delay_alu instid0(VALU_DEP_1) | instskip(SKIP_1) | instid1(VALU_DEP_1)
	v_pk_fma_f32 v[110:111], v[104:105], v[94:95], v[108:109] op_sel:[0,0,1] op_sel_hi:[1,1,0] neg_lo:[0,0,1] neg_hi:[0,0,1]
	v_pk_fma_f32 v[104:105], v[104:105], v[94:95], v[108:109] op_sel:[0,0,1] op_sel_hi:[1,0,0]
	v_mov_b32_e32 v111, v105
	v_pk_mul_f32 v[104:105], v[106:107], v[96:97] op_sel:[0,1]
	s_delay_alu instid0(VALU_DEP_1) | instskip(SKIP_1) | instid1(VALU_DEP_1)
	v_pk_fma_f32 v[108:109], v[106:107], v[94:95], v[104:105] op_sel:[0,0,1] op_sel_hi:[1,1,0] neg_lo:[0,0,1] neg_hi:[0,0,1]
	v_pk_fma_f32 v[104:105], v[106:107], v[94:95], v[104:105] op_sel:[0,0,1] op_sel_hi:[1,0,0]
	v_mov_b32_e32 v109, v105
	ds_load_2addr_b64 v[104:107], v98 offset0:27 offset1:28
	v_pk_add_f32 v[48:49], v[48:49], v[110:111] neg_lo:[0,1] neg_hi:[0,1]
	v_pk_add_f32 v[52:53], v[52:53], v[108:109] neg_lo:[0,1] neg_hi:[0,1]
	s_wait_dscnt 0x0
	v_pk_mul_f32 v[108:109], v[104:105], v[96:97] op_sel:[0,1]
	s_delay_alu instid0(VALU_DEP_1) | instskip(SKIP_1) | instid1(VALU_DEP_1)
	v_pk_fma_f32 v[110:111], v[104:105], v[94:95], v[108:109] op_sel:[0,0,1] op_sel_hi:[1,1,0] neg_lo:[0,0,1] neg_hi:[0,0,1]
	v_pk_fma_f32 v[104:105], v[104:105], v[94:95], v[108:109] op_sel:[0,0,1] op_sel_hi:[1,0,0]
	v_mov_b32_e32 v111, v105
	v_pk_mul_f32 v[104:105], v[106:107], v[96:97] op_sel:[0,1]
	s_delay_alu instid0(VALU_DEP_1) | instskip(SKIP_1) | instid1(VALU_DEP_1)
	v_pk_fma_f32 v[108:109], v[106:107], v[94:95], v[104:105] op_sel:[0,0,1] op_sel_hi:[1,1,0] neg_lo:[0,0,1] neg_hi:[0,0,1]
	v_pk_fma_f32 v[104:105], v[106:107], v[94:95], v[104:105] op_sel:[0,0,1] op_sel_hi:[1,0,0]
	v_mov_b32_e32 v109, v105
	ds_load_2addr_b64 v[104:107], v98 offset0:29 offset1:30
	v_pk_add_f32 v[12:13], v[12:13], v[110:111] neg_lo:[0,1] neg_hi:[0,1]
	v_pk_add_f32 v[46:47], v[46:47], v[108:109] neg_lo:[0,1] neg_hi:[0,1]
	s_wait_dscnt 0x0
	v_dual_mul_f32 v108, v105, v97 :: v_dual_mul_f32 v110, v105, v94
	s_delay_alu instid0(VALU_DEP_1) | instskip(NEXT) | instid1(VALU_DEP_2)
	v_pk_fma_f32 v[108:109], v[104:105], v[70:71], v[108:109] op_sel_hi:[1,1,0] neg_lo:[0,0,1] neg_hi:[0,0,1]
	v_pk_fma_f32 v[104:105], v[104:105], v[70:71], v[110:111] op_sel:[1,0,0] op_sel_hi:[0,1,0]
	s_delay_alu instid0(VALU_DEP_1) | instskip(SKIP_1) | instid1(VALU_DEP_2)
	v_mov_b32_e32 v109, v105
	v_pk_mul_f32 v[104:105], v[106:107], v[96:97] op_sel:[0,1]
	v_pk_add_f32 v[42:43], v[42:43], v[108:109] neg_lo:[0,1] neg_hi:[0,1]
	s_delay_alu instid0(VALU_DEP_2) | instskip(SKIP_1) | instid1(VALU_DEP_1)
	v_pk_fma_f32 v[108:109], v[106:107], v[94:95], v[104:105] op_sel:[0,0,1] op_sel_hi:[1,1,0] neg_lo:[0,0,1] neg_hi:[0,0,1]
	v_pk_fma_f32 v[104:105], v[106:107], v[94:95], v[104:105] op_sel:[0,0,1] op_sel_hi:[1,0,0]
	v_mov_b32_e32 v109, v105
	ds_load_2addr_b64 v[104:107], v98 offset0:31 offset1:32
	v_pk_add_f32 v[44:45], v[44:45], v[108:109] neg_lo:[0,1] neg_hi:[0,1]
	s_wait_dscnt 0x0
	v_pk_mul_f32 v[108:109], v[104:105], v[96:97] op_sel:[0,1]
	s_delay_alu instid0(VALU_DEP_1) | instskip(SKIP_1) | instid1(VALU_DEP_1)
	v_pk_fma_f32 v[110:111], v[104:105], v[94:95], v[108:109] op_sel:[0,0,1] op_sel_hi:[1,1,0] neg_lo:[0,0,1] neg_hi:[0,0,1]
	v_pk_fma_f32 v[104:105], v[104:105], v[94:95], v[108:109] op_sel:[0,0,1] op_sel_hi:[1,0,0]
	v_mov_b32_e32 v111, v105
	v_pk_mul_f32 v[104:105], v[106:107], v[96:97] op_sel:[0,1]
	s_delay_alu instid0(VALU_DEP_2) | instskip(NEXT) | instid1(VALU_DEP_2)
	v_pk_add_f32 v[10:11], v[10:11], v[110:111] neg_lo:[0,1] neg_hi:[0,1]
	v_pk_fma_f32 v[108:109], v[106:107], v[94:95], v[104:105] op_sel:[0,0,1] op_sel_hi:[1,1,0] neg_lo:[0,0,1] neg_hi:[0,0,1]
	v_pk_fma_f32 v[104:105], v[106:107], v[94:95], v[104:105] op_sel:[0,0,1] op_sel_hi:[1,0,0]
	s_delay_alu instid0(VALU_DEP_1) | instskip(SKIP_4) | instid1(VALU_DEP_1)
	v_mov_b32_e32 v109, v105
	ds_load_2addr_b64 v[104:107], v98 offset0:33 offset1:34
	v_pk_add_f32 v[40:41], v[40:41], v[108:109] neg_lo:[0,1] neg_hi:[0,1]
	s_wait_dscnt 0x0
	v_pk_mul_f32 v[108:109], v[104:105], v[96:97] op_sel:[0,1]
	v_pk_fma_f32 v[110:111], v[104:105], v[94:95], v[108:109] op_sel:[0,0,1] op_sel_hi:[1,1,0] neg_lo:[0,0,1] neg_hi:[0,0,1]
	v_pk_fma_f32 v[104:105], v[104:105], v[94:95], v[108:109] op_sel:[0,0,1] op_sel_hi:[1,0,0]
	v_dual_mul_f32 v108, v107, v97 :: v_dual_mov_b32 v104, v107
	s_delay_alu instid0(VALU_DEP_2) | instskip(NEXT) | instid1(VALU_DEP_2)
	v_dual_mov_b32 v111, v105 :: v_dual_mov_b32 v105, v106
	v_pk_fma_f32 v[108:109], v[106:107], v[70:71], v[108:109] op_sel_hi:[1,1,0] neg_lo:[0,0,1] neg_hi:[0,0,1]
	v_mul_f32_e32 v106, v107, v94
	s_delay_alu instid0(VALU_DEP_3) | instskip(NEXT) | instid1(VALU_DEP_2)
	v_pk_add_f32 v[36:37], v[36:37], v[110:111] neg_lo:[0,1] neg_hi:[0,1]
	v_pk_fma_f32 v[104:105], v[104:105], v[70:71], v[106:107] op_sel_hi:[1,1,0]
	s_delay_alu instid0(VALU_DEP_1) | instskip(SKIP_4) | instid1(VALU_DEP_1)
	v_mov_b32_e32 v109, v105
	ds_load_2addr_b64 v[104:107], v98 offset0:35 offset1:36
	v_pk_add_f32 v[38:39], v[38:39], v[108:109] neg_lo:[0,1] neg_hi:[0,1]
	s_wait_dscnt 0x0
	v_pk_mul_f32 v[108:109], v[104:105], v[96:97] op_sel:[0,1]
	v_pk_fma_f32 v[110:111], v[104:105], v[94:95], v[108:109] op_sel:[0,0,1] op_sel_hi:[1,1,0] neg_lo:[0,0,1] neg_hi:[0,0,1]
	v_pk_fma_f32 v[104:105], v[104:105], v[94:95], v[108:109] op_sel:[0,0,1] op_sel_hi:[1,0,0]
	s_delay_alu instid0(VALU_DEP_1) | instskip(SKIP_1) | instid1(VALU_DEP_1)
	v_mov_b32_e32 v111, v105
	v_pk_mul_f32 v[104:105], v[106:107], v[96:97] op_sel:[0,1]
	v_pk_fma_f32 v[108:109], v[106:107], v[94:95], v[104:105] op_sel:[0,0,1] op_sel_hi:[1,1,0] neg_lo:[0,0,1] neg_hi:[0,0,1]
	v_pk_fma_f32 v[104:105], v[106:107], v[94:95], v[104:105] op_sel:[0,0,1] op_sel_hi:[1,0,0]
	s_delay_alu instid0(VALU_DEP_1)
	v_mov_b32_e32 v109, v105
	ds_load_2addr_b64 v[104:107], v98 offset0:37 offset1:38
	v_pk_add_f32 v[6:7], v[6:7], v[110:111] neg_lo:[0,1] neg_hi:[0,1]
	v_pk_add_f32 v[34:35], v[34:35], v[108:109] neg_lo:[0,1] neg_hi:[0,1]
	s_wait_dscnt 0x0
	v_pk_mul_f32 v[108:109], v[104:105], v[96:97] op_sel:[0,1]
	s_delay_alu instid0(VALU_DEP_1) | instskip(SKIP_1) | instid1(VALU_DEP_1)
	v_pk_fma_f32 v[110:111], v[104:105], v[94:95], v[108:109] op_sel:[0,0,1] op_sel_hi:[1,1,0] neg_lo:[0,0,1] neg_hi:[0,0,1]
	v_pk_fma_f32 v[104:105], v[104:105], v[94:95], v[108:109] op_sel:[0,0,1] op_sel_hi:[1,0,0]
	v_mov_b32_e32 v111, v105
	v_pk_mul_f32 v[104:105], v[106:107], v[96:97] op_sel:[0,1]
	s_delay_alu instid0(VALU_DEP_1) | instskip(SKIP_1) | instid1(VALU_DEP_1)
	v_pk_fma_f32 v[108:109], v[106:107], v[94:95], v[104:105] op_sel:[0,0,1] op_sel_hi:[1,1,0] neg_lo:[0,0,1] neg_hi:[0,0,1]
	v_pk_fma_f32 v[104:105], v[106:107], v[94:95], v[104:105] op_sel:[0,0,1] op_sel_hi:[1,0,0]
	v_mov_b32_e32 v109, v105
	ds_load_2addr_b64 v[104:107], v98 offset0:39 offset1:40
	v_pk_add_f32 v[30:31], v[30:31], v[110:111] neg_lo:[0,1] neg_hi:[0,1]
	v_pk_add_f32 v[32:33], v[32:33], v[108:109] neg_lo:[0,1] neg_hi:[0,1]
	s_wait_dscnt 0x0
	v_dual_mul_f32 v108, v105, v97 :: v_dual_mul_f32 v110, v105, v94
	s_delay_alu instid0(VALU_DEP_1) | instskip(NEXT) | instid1(VALU_DEP_2)
	v_pk_fma_f32 v[108:109], v[104:105], v[70:71], v[108:109] op_sel_hi:[1,1,0] neg_lo:[0,0,1] neg_hi:[0,0,1]
	v_pk_fma_f32 v[104:105], v[104:105], v[70:71], v[110:111] op_sel:[1,0,0] op_sel_hi:[0,1,0]
	s_delay_alu instid0(VALU_DEP_1) | instskip(SKIP_1) | instid1(VALU_DEP_2)
	v_mov_b32_e32 v109, v105
	v_pk_mul_f32 v[104:105], v[106:107], v[96:97] op_sel:[0,1]
	v_pk_add_f32 v[8:9], v[8:9], v[108:109] neg_lo:[0,1] neg_hi:[0,1]
	s_delay_alu instid0(VALU_DEP_2) | instskip(SKIP_1) | instid1(VALU_DEP_1)
	v_pk_fma_f32 v[108:109], v[106:107], v[94:95], v[104:105] op_sel:[0,0,1] op_sel_hi:[1,1,0] neg_lo:[0,0,1] neg_hi:[0,0,1]
	v_pk_fma_f32 v[104:105], v[106:107], v[94:95], v[104:105] op_sel:[0,0,1] op_sel_hi:[1,0,0]
	v_mov_b32_e32 v109, v105
	ds_load_2addr_b64 v[104:107], v98 offset0:41 offset1:42
	v_pk_add_f32 v[28:29], v[28:29], v[108:109] neg_lo:[0,1] neg_hi:[0,1]
	s_wait_dscnt 0x0
	v_pk_mul_f32 v[108:109], v[104:105], v[96:97] op_sel:[0,1]
	s_delay_alu instid0(VALU_DEP_1) | instskip(SKIP_1) | instid1(VALU_DEP_1)
	v_pk_fma_f32 v[110:111], v[104:105], v[94:95], v[108:109] op_sel:[0,0,1] op_sel_hi:[1,1,0] neg_lo:[0,0,1] neg_hi:[0,0,1]
	v_pk_fma_f32 v[104:105], v[104:105], v[94:95], v[108:109] op_sel:[0,0,1] op_sel_hi:[1,0,0]
	v_mov_b32_e32 v111, v105
	v_pk_mul_f32 v[104:105], v[106:107], v[96:97] op_sel:[0,1]
	s_delay_alu instid0(VALU_DEP_2) | instskip(NEXT) | instid1(VALU_DEP_2)
	v_pk_add_f32 v[20:21], v[20:21], v[110:111] neg_lo:[0,1] neg_hi:[0,1]
	v_pk_fma_f32 v[108:109], v[106:107], v[94:95], v[104:105] op_sel:[0,0,1] op_sel_hi:[1,1,0] neg_lo:[0,0,1] neg_hi:[0,0,1]
	v_pk_fma_f32 v[104:105], v[106:107], v[94:95], v[104:105] op_sel:[0,0,1] op_sel_hi:[1,0,0]
	s_delay_alu instid0(VALU_DEP_1) | instskip(SKIP_4) | instid1(VALU_DEP_1)
	v_mov_b32_e32 v109, v105
	ds_load_b64 v[104:105], v98 offset:344
	v_pk_add_f32 v[16:17], v[16:17], v[108:109] neg_lo:[0,1] neg_hi:[0,1]
	s_wait_dscnt 0x0
	v_pk_mul_f32 v[96:97], v[104:105], v[96:97] op_sel:[0,1]
	v_pk_fma_f32 v[106:107], v[104:105], v[94:95], v[96:97] op_sel:[0,0,1] op_sel_hi:[1,1,0] neg_lo:[0,0,1] neg_hi:[0,0,1]
	v_pk_fma_f32 v[94:95], v[104:105], v[94:95], v[96:97] op_sel:[0,0,1] op_sel_hi:[1,0,0]
	s_delay_alu instid0(VALU_DEP_1) | instskip(NEXT) | instid1(VALU_DEP_1)
	v_mov_b32_e32 v107, v95
	v_pk_add_f32 v[92:93], v[92:93], v[106:107] neg_lo:[0,1] neg_hi:[0,1]
.LBB86_440:
	s_or_b32 exec_lo, exec_lo, s0
	v_lshl_add_u32 v94, v102, 3, v98
	s_barrier_signal -1
	s_barrier_wait -1
	ds_store_b64 v94, v[66:67]
	s_wait_dscnt 0x0
	s_barrier_signal -1
	s_barrier_wait -1
	ds_load_b64 v[96:97], v98 offset:168
	v_mov_b32_e32 v94, 21
	s_cmp_lt_i32 s18, 23
	s_cbranch_scc1 .LBB86_443
; %bb.441:
	v_add3_u32 v95, v99, 0, 0xb0
	v_mov_b32_e32 v94, 21
	s_mov_b32 s0, 22
.LBB86_442:                             ; =>This Inner Loop Header: Depth=1
	ds_load_b64 v[104:105], v95
	s_wait_dscnt 0x1
	v_cmp_gt_f32_e32 vcc_lo, 0, v96
	v_cndmask_b32_e64 v106, v96, -v96, vcc_lo
	v_cmp_gt_f32_e32 vcc_lo, 0, v97
	v_cndmask_b32_e64 v108, v97, -v97, vcc_lo
	s_wait_dscnt 0x0
	v_cmp_gt_f32_e32 vcc_lo, 0, v104
	v_cndmask_b32_e64 v107, v104, -v104, vcc_lo
	v_cmp_gt_f32_e32 vcc_lo, 0, v105
	v_cndmask_b32_e64 v109, v105, -v105, vcc_lo
	s_delay_alu instid0(VALU_DEP_1) | instskip(NEXT) | instid1(VALU_DEP_1)
	v_pk_add_f32 v[106:107], v[106:107], v[108:109]
	v_cmp_lt_f32_e32 vcc_lo, v106, v107
	v_dual_add_nc_u32 v95, 8, v95 :: v_dual_cndmask_b32 v97, v97, v105, vcc_lo
	v_cndmask_b32_e32 v96, v96, v104, vcc_lo
	v_cndmask_b32_e64 v94, v94, s0, vcc_lo
	s_add_co_i32 s0, s0, 1
	s_delay_alu instid0(SALU_CYCLE_1)
	s_cmp_lg_u32 s18, s0
	s_cbranch_scc1 .LBB86_442
.LBB86_443:
	s_wait_dscnt 0x0
	v_cmp_eq_f32_e32 vcc_lo, 0, v96
	v_cmp_eq_f32_e64 s0, 0, v97
	s_and_b32 s0, vcc_lo, s0
	s_delay_alu instid0(SALU_CYCLE_1) | instskip(NEXT) | instid1(SALU_CYCLE_1)
	s_and_saveexec_b32 s1, s0
	s_xor_b32 s0, exec_lo, s1
; %bb.444:
	v_cmp_ne_u32_e32 vcc_lo, 0, v100
	v_cndmask_b32_e32 v100, 22, v100, vcc_lo
; %bb.445:
	s_and_not1_saveexec_b32 s0, s0
	s_cbranch_execz .LBB86_451
; %bb.446:
	v_cmp_ngt_f32_e64 s1, |v96|, |v97|
	s_and_saveexec_b32 s12, s1
	s_delay_alu instid0(SALU_CYCLE_1)
	s_xor_b32 s1, exec_lo, s12
	s_cbranch_execz .LBB86_448
; %bb.447:
	v_div_scale_f32 v95, null, v97, v97, v96
	v_div_scale_f32 v105, vcc_lo, v96, v97, v96
	s_delay_alu instid0(VALU_DEP_2) | instskip(SKIP_1) | instid1(TRANS32_DEP_1)
	v_rcp_f32_e32 v103, v95
	v_nop
	v_fma_f32 v104, -v95, v103, 1.0
	s_delay_alu instid0(VALU_DEP_1) | instskip(NEXT) | instid1(VALU_DEP_1)
	v_fmac_f32_e32 v103, v104, v103
	v_mul_f32_e32 v104, v105, v103
	s_delay_alu instid0(VALU_DEP_1) | instskip(NEXT) | instid1(VALU_DEP_1)
	v_fma_f32 v106, -v95, v104, v105
	v_fmac_f32_e32 v104, v106, v103
	s_delay_alu instid0(VALU_DEP_1) | instskip(NEXT) | instid1(VALU_DEP_1)
	v_fma_f32 v95, -v95, v104, v105
	v_div_fmas_f32 v95, v95, v103, v104
	s_delay_alu instid0(VALU_DEP_1) | instskip(NEXT) | instid1(VALU_DEP_1)
	v_div_fixup_f32 v95, v95, v97, v96
	v_fmac_f32_e32 v97, v96, v95
	s_delay_alu instid0(VALU_DEP_1) | instskip(SKIP_1) | instid1(VALU_DEP_2)
	v_div_scale_f32 v96, null, v97, v97, 1.0
	v_div_scale_f32 v105, vcc_lo, 1.0, v97, 1.0
	v_rcp_f32_e32 v103, v96
	v_nop
	s_delay_alu instid0(TRANS32_DEP_1) | instskip(NEXT) | instid1(VALU_DEP_1)
	v_fma_f32 v104, -v96, v103, 1.0
	v_fmac_f32_e32 v103, v104, v103
	s_delay_alu instid0(VALU_DEP_1) | instskip(NEXT) | instid1(VALU_DEP_1)
	v_mul_f32_e32 v104, v105, v103
	v_fma_f32 v106, -v96, v104, v105
	s_delay_alu instid0(VALU_DEP_1) | instskip(NEXT) | instid1(VALU_DEP_1)
	v_fmac_f32_e32 v104, v106, v103
	v_fma_f32 v96, -v96, v104, v105
	s_delay_alu instid0(VALU_DEP_1) | instskip(NEXT) | instid1(VALU_DEP_1)
	v_div_fmas_f32 v96, v96, v103, v104
	v_div_fixup_f32 v97, v96, v97, 1.0
	s_delay_alu instid0(VALU_DEP_1)
	v_mul_f32_e32 v96, v95, v97
	v_xor_b32_e32 v97, 0x80000000, v97
.LBB86_448:
	s_and_not1_saveexec_b32 s1, s1
	s_cbranch_execz .LBB86_450
; %bb.449:
	s_delay_alu instid0(VALU_DEP_1) | instskip(SKIP_1) | instid1(VALU_DEP_2)
	v_div_scale_f32 v95, null, v96, v96, v97
	v_div_scale_f32 v105, vcc_lo, v97, v96, v97
	v_rcp_f32_e32 v103, v95
	v_nop
	s_delay_alu instid0(TRANS32_DEP_1) | instskip(NEXT) | instid1(VALU_DEP_1)
	v_fma_f32 v104, -v95, v103, 1.0
	v_fmac_f32_e32 v103, v104, v103
	s_delay_alu instid0(VALU_DEP_1) | instskip(NEXT) | instid1(VALU_DEP_1)
	v_mul_f32_e32 v104, v105, v103
	v_fma_f32 v106, -v95, v104, v105
	s_delay_alu instid0(VALU_DEP_1) | instskip(NEXT) | instid1(VALU_DEP_1)
	v_fmac_f32_e32 v104, v106, v103
	v_fma_f32 v95, -v95, v104, v105
	s_delay_alu instid0(VALU_DEP_1) | instskip(NEXT) | instid1(VALU_DEP_1)
	v_div_fmas_f32 v95, v95, v103, v104
	v_div_fixup_f32 v95, v95, v96, v97
	s_delay_alu instid0(VALU_DEP_1) | instskip(NEXT) | instid1(VALU_DEP_1)
	v_fmac_f32_e32 v96, v97, v95
	v_div_scale_f32 v97, null, v96, v96, 1.0
	s_delay_alu instid0(VALU_DEP_1) | instskip(SKIP_1) | instid1(TRANS32_DEP_1)
	v_rcp_f32_e32 v103, v97
	v_nop
	v_fma_f32 v104, -v97, v103, 1.0
	s_delay_alu instid0(VALU_DEP_1) | instskip(SKIP_1) | instid1(VALU_DEP_1)
	v_fmac_f32_e32 v103, v104, v103
	v_div_scale_f32 v104, vcc_lo, 1.0, v96, 1.0
	v_mul_f32_e32 v105, v104, v103
	s_delay_alu instid0(VALU_DEP_1) | instskip(NEXT) | instid1(VALU_DEP_1)
	v_fma_f32 v106, -v97, v105, v104
	v_fmac_f32_e32 v105, v106, v103
	s_delay_alu instid0(VALU_DEP_1) | instskip(NEXT) | instid1(VALU_DEP_1)
	v_fma_f32 v97, -v97, v105, v104
	v_div_fmas_f32 v97, v97, v103, v105
	s_delay_alu instid0(VALU_DEP_1) | instskip(NEXT) | instid1(VALU_DEP_1)
	v_div_fixup_f32 v96, v97, v96, 1.0
	v_mul_f32_e64 v97, v95, -v96
.LBB86_450:
	s_or_b32 exec_lo, exec_lo, s1
.LBB86_451:
	s_delay_alu instid0(SALU_CYCLE_1) | instskip(NEXT) | instid1(SALU_CYCLE_1)
	s_or_b32 exec_lo, exec_lo, s0
	s_mov_b32 s0, exec_lo
	v_cmpx_ne_u32_e64 v102, v94
	s_xor_b32 s0, exec_lo, s0
	s_cbranch_execz .LBB86_457
; %bb.452:
	s_mov_b32 s1, exec_lo
	v_cmpx_eq_u32_e32 21, v102
	s_cbranch_execz .LBB86_456
; %bb.453:
	v_cmp_ne_u32_e32 vcc_lo, 21, v94
	s_xor_b32 s12, s16, -1
	s_delay_alu instid0(SALU_CYCLE_1) | instskip(NEXT) | instid1(SALU_CYCLE_1)
	s_and_b32 s13, s12, vcc_lo
	s_and_saveexec_b32 s12, s13
	s_cbranch_execz .LBB86_455
; %bb.454:
	v_ashrrev_i32_e32 v95, 31, v94
	s_delay_alu instid0(VALU_DEP_1)
	v_lshl_add_u64 v[102:103], v[94:95], 2, v[4:5]
	s_clause 0x1
	global_load_b32 v95, v[102:103], off
	global_load_b32 v101, v[4:5], off offset:84
	s_wait_loadcnt 0x1
	global_store_b32 v[4:5], v95, off offset:84
	s_wait_loadcnt 0x0
	global_store_b32 v[102:103], v101, off
.LBB86_455:
	s_wait_xcnt 0x0
	s_or_b32 exec_lo, exec_lo, s12
	v_dual_mov_b32 v102, v94 :: v_dual_mov_b32 v101, v94
.LBB86_456:
	s_or_b32 exec_lo, exec_lo, s1
.LBB86_457:
	s_and_not1_saveexec_b32 s0, s0
	s_cbranch_execz .LBB86_459
; %bb.458:
	v_dual_mov_b32 v94, v68 :: v_dual_mov_b32 v95, v69
	v_dual_mov_b32 v102, v22 :: v_dual_mov_b32 v103, v23
	;; [unrolled: 1-line block ×12, first 2 shown]
	ds_store_2addr_b64 v98, v[94:95], v[102:103] offset0:22 offset1:23
	ds_store_2addr_b64 v98, v[104:105], v[106:107] offset0:24 offset1:25
	;; [unrolled: 1-line block ×6, first 2 shown]
	v_dual_mov_b32 v94, v38 :: v_dual_mov_b32 v95, v39
	v_dual_mov_b32 v104, v6 :: v_dual_mov_b32 v105, v7
	v_dual_mov_b32 v102, 21 :: v_dual_mov_b32 v106, v34
	v_dual_mov_b32 v107, v35 :: v_dual_mov_b32 v108, v30
	v_dual_mov_b32 v109, v31 :: v_dual_mov_b32 v110, v32
	v_dual_mov_b32 v111, v33 :: v_dual_mov_b32 v112, v8
	v_dual_mov_b32 v113, v9 :: v_dual_mov_b32 v114, v28
	v_dual_mov_b32 v115, v29 :: v_dual_mov_b32 v116, v20
	v_dual_mov_b32 v117, v21 :: v_dual_mov_b32 v118, v16
	v_mov_b32_e32 v119, v17
	ds_store_2addr_b64 v98, v[94:95], v[104:105] offset0:34 offset1:35
	ds_store_2addr_b64 v98, v[106:107], v[108:109] offset0:36 offset1:37
	;; [unrolled: 1-line block ×5, first 2 shown]
.LBB86_459:
	s_or_b32 exec_lo, exec_lo, s0
	s_delay_alu instid0(SALU_CYCLE_1)
	s_mov_b32 s0, exec_lo
	s_wait_storecnt_dscnt 0x0
	s_barrier_signal -1
	s_barrier_wait -1
	v_cmpx_lt_i32_e32 21, v102
	s_cbranch_execz .LBB86_461
; %bb.460:
	v_pk_mul_f32 v[104:105], v[96:97], v[66:67] op_sel:[1,1] op_sel_hi:[0,1]
	s_delay_alu instid0(VALU_DEP_1)
	v_pk_fma_f32 v[94:95], v[96:97], v[66:67], v[104:105] op_sel_hi:[1,0,1] neg_lo:[0,0,1] neg_hi:[0,0,1]
	v_pk_fma_f32 v[96:97], v[96:97], v[66:67], v[104:105] op_sel_hi:[1,0,1]
	ds_load_2addr_b64 v[104:107], v98 offset0:22 offset1:23
	v_dual_mov_b32 v66, v94 :: v_dual_mov_b32 v67, v97
	s_wait_dscnt 0x0
	v_pk_mul_f32 v[108:109], v[104:105], v[96:97] op_sel:[0,1]
	s_delay_alu instid0(VALU_DEP_1) | instskip(SKIP_1) | instid1(VALU_DEP_1)
	v_pk_fma_f32 v[110:111], v[104:105], v[94:95], v[108:109] op_sel:[0,0,1] op_sel_hi:[1,1,0] neg_lo:[0,0,1] neg_hi:[0,0,1]
	v_pk_fma_f32 v[104:105], v[104:105], v[94:95], v[108:109] op_sel:[0,0,1] op_sel_hi:[1,0,0]
	v_mov_b32_e32 v111, v105
	v_pk_mul_f32 v[104:105], v[106:107], v[96:97] op_sel:[0,1]
	s_delay_alu instid0(VALU_DEP_1) | instskip(SKIP_1) | instid1(VALU_DEP_1)
	v_pk_fma_f32 v[108:109], v[106:107], v[94:95], v[104:105] op_sel:[0,0,1] op_sel_hi:[1,1,0] neg_lo:[0,0,1] neg_hi:[0,0,1]
	v_pk_fma_f32 v[104:105], v[106:107], v[94:95], v[104:105] op_sel:[0,0,1] op_sel_hi:[1,0,0]
	v_mov_b32_e32 v109, v105
	ds_load_2addr_b64 v[104:107], v98 offset0:24 offset1:25
	v_pk_add_f32 v[68:69], v[68:69], v[110:111] neg_lo:[0,1] neg_hi:[0,1]
	v_pk_add_f32 v[22:23], v[22:23], v[108:109] neg_lo:[0,1] neg_hi:[0,1]
	s_wait_dscnt 0x0
	v_pk_mul_f32 v[108:109], v[104:105], v[96:97] op_sel:[0,1]
	s_delay_alu instid0(VALU_DEP_1) | instskip(SKIP_2) | instid1(VALU_DEP_2)
	v_pk_fma_f32 v[110:111], v[104:105], v[94:95], v[108:109] op_sel:[0,0,1] op_sel_hi:[1,1,0] neg_lo:[0,0,1] neg_hi:[0,0,1]
	v_pk_fma_f32 v[104:105], v[104:105], v[94:95], v[108:109] op_sel:[0,0,1] op_sel_hi:[1,0,0]
	v_dual_mul_f32 v108, v107, v97 :: v_dual_mov_b32 v104, v107
	v_dual_mov_b32 v111, v105 :: v_dual_mov_b32 v105, v106
	s_delay_alu instid0(VALU_DEP_2) | instskip(SKIP_1) | instid1(VALU_DEP_3)
	v_pk_fma_f32 v[108:109], v[106:107], v[66:67], v[108:109] op_sel_hi:[1,1,0] neg_lo:[0,0,1] neg_hi:[0,0,1]
	v_mul_f32_e32 v106, v107, v94
	v_pk_add_f32 v[54:55], v[54:55], v[110:111] neg_lo:[0,1] neg_hi:[0,1]
	s_delay_alu instid0(VALU_DEP_2) | instskip(NEXT) | instid1(VALU_DEP_1)
	v_pk_fma_f32 v[104:105], v[104:105], v[66:67], v[106:107] op_sel_hi:[1,1,0]
	v_mov_b32_e32 v109, v105
	ds_load_2addr_b64 v[104:107], v98 offset0:26 offset1:27
	v_pk_add_f32 v[48:49], v[48:49], v[108:109] neg_lo:[0,1] neg_hi:[0,1]
	s_wait_dscnt 0x0
	v_pk_mul_f32 v[108:109], v[104:105], v[96:97] op_sel:[0,1]
	s_delay_alu instid0(VALU_DEP_1) | instskip(SKIP_1) | instid1(VALU_DEP_1)
	v_pk_fma_f32 v[110:111], v[104:105], v[94:95], v[108:109] op_sel:[0,0,1] op_sel_hi:[1,1,0] neg_lo:[0,0,1] neg_hi:[0,0,1]
	v_pk_fma_f32 v[104:105], v[104:105], v[94:95], v[108:109] op_sel:[0,0,1] op_sel_hi:[1,0,0]
	v_mov_b32_e32 v111, v105
	v_pk_mul_f32 v[104:105], v[106:107], v[96:97] op_sel:[0,1]
	s_delay_alu instid0(VALU_DEP_1) | instskip(SKIP_1) | instid1(VALU_DEP_1)
	v_pk_fma_f32 v[108:109], v[106:107], v[94:95], v[104:105] op_sel:[0,0,1] op_sel_hi:[1,1,0] neg_lo:[0,0,1] neg_hi:[0,0,1]
	v_pk_fma_f32 v[104:105], v[106:107], v[94:95], v[104:105] op_sel:[0,0,1] op_sel_hi:[1,0,0]
	v_mov_b32_e32 v109, v105
	ds_load_2addr_b64 v[104:107], v98 offset0:28 offset1:29
	v_pk_add_f32 v[52:53], v[52:53], v[110:111] neg_lo:[0,1] neg_hi:[0,1]
	v_pk_add_f32 v[12:13], v[12:13], v[108:109] neg_lo:[0,1] neg_hi:[0,1]
	s_wait_dscnt 0x0
	v_pk_mul_f32 v[108:109], v[104:105], v[96:97] op_sel:[0,1]
	s_delay_alu instid0(VALU_DEP_1) | instskip(SKIP_1) | instid1(VALU_DEP_1)
	v_pk_fma_f32 v[110:111], v[104:105], v[94:95], v[108:109] op_sel:[0,0,1] op_sel_hi:[1,1,0] neg_lo:[0,0,1] neg_hi:[0,0,1]
	v_pk_fma_f32 v[104:105], v[104:105], v[94:95], v[108:109] op_sel:[0,0,1] op_sel_hi:[1,0,0]
	v_mov_b32_e32 v111, v105
	v_pk_mul_f32 v[104:105], v[106:107], v[96:97] op_sel:[0,1]
	s_delay_alu instid0(VALU_DEP_1) | instskip(SKIP_1) | instid1(VALU_DEP_1)
	v_pk_fma_f32 v[108:109], v[106:107], v[94:95], v[104:105] op_sel:[0,0,1] op_sel_hi:[1,1,0] neg_lo:[0,0,1] neg_hi:[0,0,1]
	v_pk_fma_f32 v[104:105], v[106:107], v[94:95], v[104:105] op_sel:[0,0,1] op_sel_hi:[1,0,0]
	v_mov_b32_e32 v109, v105
	ds_load_2addr_b64 v[104:107], v98 offset0:30 offset1:31
	v_pk_add_f32 v[46:47], v[46:47], v[110:111] neg_lo:[0,1] neg_hi:[0,1]
	v_pk_add_f32 v[42:43], v[42:43], v[108:109] neg_lo:[0,1] neg_hi:[0,1]
	s_wait_dscnt 0x0
	v_dual_mul_f32 v108, v105, v97 :: v_dual_mul_f32 v110, v105, v94
	s_delay_alu instid0(VALU_DEP_1) | instskip(NEXT) | instid1(VALU_DEP_2)
	v_pk_fma_f32 v[108:109], v[104:105], v[66:67], v[108:109] op_sel_hi:[1,1,0] neg_lo:[0,0,1] neg_hi:[0,0,1]
	v_pk_fma_f32 v[104:105], v[104:105], v[66:67], v[110:111] op_sel:[1,0,0] op_sel_hi:[0,1,0]
	s_delay_alu instid0(VALU_DEP_1) | instskip(SKIP_1) | instid1(VALU_DEP_2)
	v_mov_b32_e32 v109, v105
	v_pk_mul_f32 v[104:105], v[106:107], v[96:97] op_sel:[0,1]
	v_pk_add_f32 v[44:45], v[44:45], v[108:109] neg_lo:[0,1] neg_hi:[0,1]
	s_delay_alu instid0(VALU_DEP_2) | instskip(SKIP_1) | instid1(VALU_DEP_1)
	v_pk_fma_f32 v[108:109], v[106:107], v[94:95], v[104:105] op_sel:[0,0,1] op_sel_hi:[1,1,0] neg_lo:[0,0,1] neg_hi:[0,0,1]
	v_pk_fma_f32 v[104:105], v[106:107], v[94:95], v[104:105] op_sel:[0,0,1] op_sel_hi:[1,0,0]
	v_mov_b32_e32 v109, v105
	ds_load_2addr_b64 v[104:107], v98 offset0:32 offset1:33
	v_pk_add_f32 v[10:11], v[10:11], v[108:109] neg_lo:[0,1] neg_hi:[0,1]
	s_wait_dscnt 0x0
	v_pk_mul_f32 v[108:109], v[104:105], v[96:97] op_sel:[0,1]
	s_delay_alu instid0(VALU_DEP_1) | instskip(SKIP_1) | instid1(VALU_DEP_1)
	v_pk_fma_f32 v[110:111], v[104:105], v[94:95], v[108:109] op_sel:[0,0,1] op_sel_hi:[1,1,0] neg_lo:[0,0,1] neg_hi:[0,0,1]
	v_pk_fma_f32 v[104:105], v[104:105], v[94:95], v[108:109] op_sel:[0,0,1] op_sel_hi:[1,0,0]
	v_mov_b32_e32 v111, v105
	v_pk_mul_f32 v[104:105], v[106:107], v[96:97] op_sel:[0,1]
	s_delay_alu instid0(VALU_DEP_2) | instskip(NEXT) | instid1(VALU_DEP_2)
	v_pk_add_f32 v[40:41], v[40:41], v[110:111] neg_lo:[0,1] neg_hi:[0,1]
	v_pk_fma_f32 v[108:109], v[106:107], v[94:95], v[104:105] op_sel:[0,0,1] op_sel_hi:[1,1,0] neg_lo:[0,0,1] neg_hi:[0,0,1]
	v_pk_fma_f32 v[104:105], v[106:107], v[94:95], v[104:105] op_sel:[0,0,1] op_sel_hi:[1,0,0]
	s_delay_alu instid0(VALU_DEP_1) | instskip(SKIP_4) | instid1(VALU_DEP_1)
	v_mov_b32_e32 v109, v105
	ds_load_2addr_b64 v[104:107], v98 offset0:34 offset1:35
	v_pk_add_f32 v[36:37], v[36:37], v[108:109] neg_lo:[0,1] neg_hi:[0,1]
	s_wait_dscnt 0x0
	v_pk_mul_f32 v[108:109], v[104:105], v[96:97] op_sel:[0,1]
	v_pk_fma_f32 v[110:111], v[104:105], v[94:95], v[108:109] op_sel:[0,0,1] op_sel_hi:[1,1,0] neg_lo:[0,0,1] neg_hi:[0,0,1]
	v_pk_fma_f32 v[104:105], v[104:105], v[94:95], v[108:109] op_sel:[0,0,1] op_sel_hi:[1,0,0]
	v_dual_mul_f32 v108, v107, v97 :: v_dual_mov_b32 v104, v107
	s_delay_alu instid0(VALU_DEP_2) | instskip(NEXT) | instid1(VALU_DEP_2)
	v_dual_mov_b32 v111, v105 :: v_dual_mov_b32 v105, v106
	v_pk_fma_f32 v[108:109], v[106:107], v[66:67], v[108:109] op_sel_hi:[1,1,0] neg_lo:[0,0,1] neg_hi:[0,0,1]
	v_mul_f32_e32 v106, v107, v94
	s_delay_alu instid0(VALU_DEP_3) | instskip(NEXT) | instid1(VALU_DEP_2)
	v_pk_add_f32 v[38:39], v[38:39], v[110:111] neg_lo:[0,1] neg_hi:[0,1]
	v_pk_fma_f32 v[104:105], v[104:105], v[66:67], v[106:107] op_sel_hi:[1,1,0]
	s_delay_alu instid0(VALU_DEP_1) | instskip(SKIP_4) | instid1(VALU_DEP_1)
	v_mov_b32_e32 v109, v105
	ds_load_2addr_b64 v[104:107], v98 offset0:36 offset1:37
	v_pk_add_f32 v[6:7], v[6:7], v[108:109] neg_lo:[0,1] neg_hi:[0,1]
	s_wait_dscnt 0x0
	v_pk_mul_f32 v[108:109], v[104:105], v[96:97] op_sel:[0,1]
	v_pk_fma_f32 v[110:111], v[104:105], v[94:95], v[108:109] op_sel:[0,0,1] op_sel_hi:[1,1,0] neg_lo:[0,0,1] neg_hi:[0,0,1]
	v_pk_fma_f32 v[104:105], v[104:105], v[94:95], v[108:109] op_sel:[0,0,1] op_sel_hi:[1,0,0]
	s_delay_alu instid0(VALU_DEP_1) | instskip(SKIP_1) | instid1(VALU_DEP_1)
	v_mov_b32_e32 v111, v105
	v_pk_mul_f32 v[104:105], v[106:107], v[96:97] op_sel:[0,1]
	v_pk_fma_f32 v[108:109], v[106:107], v[94:95], v[104:105] op_sel:[0,0,1] op_sel_hi:[1,1,0] neg_lo:[0,0,1] neg_hi:[0,0,1]
	v_pk_fma_f32 v[104:105], v[106:107], v[94:95], v[104:105] op_sel:[0,0,1] op_sel_hi:[1,0,0]
	s_delay_alu instid0(VALU_DEP_1)
	v_mov_b32_e32 v109, v105
	ds_load_2addr_b64 v[104:107], v98 offset0:38 offset1:39
	v_pk_add_f32 v[34:35], v[34:35], v[110:111] neg_lo:[0,1] neg_hi:[0,1]
	v_pk_add_f32 v[30:31], v[30:31], v[108:109] neg_lo:[0,1] neg_hi:[0,1]
	s_wait_dscnt 0x0
	v_pk_mul_f32 v[108:109], v[104:105], v[96:97] op_sel:[0,1]
	s_delay_alu instid0(VALU_DEP_1) | instskip(SKIP_1) | instid1(VALU_DEP_1)
	v_pk_fma_f32 v[110:111], v[104:105], v[94:95], v[108:109] op_sel:[0,0,1] op_sel_hi:[1,1,0] neg_lo:[0,0,1] neg_hi:[0,0,1]
	v_pk_fma_f32 v[104:105], v[104:105], v[94:95], v[108:109] op_sel:[0,0,1] op_sel_hi:[1,0,0]
	v_mov_b32_e32 v111, v105
	v_pk_mul_f32 v[104:105], v[106:107], v[96:97] op_sel:[0,1]
	s_delay_alu instid0(VALU_DEP_1) | instskip(SKIP_1) | instid1(VALU_DEP_1)
	v_pk_fma_f32 v[108:109], v[106:107], v[94:95], v[104:105] op_sel:[0,0,1] op_sel_hi:[1,1,0] neg_lo:[0,0,1] neg_hi:[0,0,1]
	v_pk_fma_f32 v[104:105], v[106:107], v[94:95], v[104:105] op_sel:[0,0,1] op_sel_hi:[1,0,0]
	v_mov_b32_e32 v109, v105
	ds_load_2addr_b64 v[104:107], v98 offset0:40 offset1:41
	v_pk_add_f32 v[32:33], v[32:33], v[110:111] neg_lo:[0,1] neg_hi:[0,1]
	v_pk_add_f32 v[8:9], v[8:9], v[108:109] neg_lo:[0,1] neg_hi:[0,1]
	s_wait_dscnt 0x0
	v_dual_mul_f32 v108, v105, v97 :: v_dual_mul_f32 v110, v105, v94
	s_delay_alu instid0(VALU_DEP_1) | instskip(NEXT) | instid1(VALU_DEP_2)
	v_pk_fma_f32 v[108:109], v[104:105], v[66:67], v[108:109] op_sel_hi:[1,1,0] neg_lo:[0,0,1] neg_hi:[0,0,1]
	v_pk_fma_f32 v[104:105], v[104:105], v[66:67], v[110:111] op_sel:[1,0,0] op_sel_hi:[0,1,0]
	s_delay_alu instid0(VALU_DEP_1) | instskip(SKIP_1) | instid1(VALU_DEP_2)
	v_mov_b32_e32 v109, v105
	v_pk_mul_f32 v[104:105], v[106:107], v[96:97] op_sel:[0,1]
	v_pk_add_f32 v[28:29], v[28:29], v[108:109] neg_lo:[0,1] neg_hi:[0,1]
	s_delay_alu instid0(VALU_DEP_2) | instskip(SKIP_1) | instid1(VALU_DEP_1)
	v_pk_fma_f32 v[108:109], v[106:107], v[94:95], v[104:105] op_sel:[0,0,1] op_sel_hi:[1,1,0] neg_lo:[0,0,1] neg_hi:[0,0,1]
	v_pk_fma_f32 v[104:105], v[106:107], v[94:95], v[104:105] op_sel:[0,0,1] op_sel_hi:[1,0,0]
	v_mov_b32_e32 v109, v105
	ds_load_2addr_b64 v[104:107], v98 offset0:42 offset1:43
	v_pk_add_f32 v[20:21], v[20:21], v[108:109] neg_lo:[0,1] neg_hi:[0,1]
	s_wait_dscnt 0x0
	v_pk_mul_f32 v[108:109], v[104:105], v[96:97] op_sel:[0,1]
	v_pk_mul_f32 v[96:97], v[106:107], v[96:97] op_sel:[0,1]
	s_delay_alu instid0(VALU_DEP_2) | instskip(SKIP_1) | instid1(VALU_DEP_1)
	v_pk_fma_f32 v[110:111], v[104:105], v[94:95], v[108:109] op_sel:[0,0,1] op_sel_hi:[1,1,0] neg_lo:[0,0,1] neg_hi:[0,0,1]
	v_pk_fma_f32 v[104:105], v[104:105], v[94:95], v[108:109] op_sel:[0,0,1] op_sel_hi:[1,0,0]
	v_mov_b32_e32 v111, v105
	s_delay_alu instid0(VALU_DEP_4) | instskip(SKIP_1) | instid1(VALU_DEP_3)
	v_pk_fma_f32 v[104:105], v[106:107], v[94:95], v[96:97] op_sel:[0,0,1] op_sel_hi:[1,1,0] neg_lo:[0,0,1] neg_hi:[0,0,1]
	v_pk_fma_f32 v[94:95], v[106:107], v[94:95], v[96:97] op_sel:[0,0,1] op_sel_hi:[1,0,0]
	v_pk_add_f32 v[16:17], v[16:17], v[110:111] neg_lo:[0,1] neg_hi:[0,1]
	s_delay_alu instid0(VALU_DEP_2) | instskip(NEXT) | instid1(VALU_DEP_1)
	v_mov_b32_e32 v105, v95
	v_pk_add_f32 v[92:93], v[92:93], v[104:105] neg_lo:[0,1] neg_hi:[0,1]
.LBB86_461:
	s_or_b32 exec_lo, exec_lo, s0
	v_lshl_add_u32 v94, v102, 3, v98
	s_barrier_signal -1
	s_barrier_wait -1
	ds_store_b64 v94, v[68:69]
	s_wait_dscnt 0x0
	s_barrier_signal -1
	s_barrier_wait -1
	ds_load_b64 v[96:97], v98 offset:176
	v_mov_b32_e32 v94, 22
	s_cmp_lt_i32 s18, 24
	s_cbranch_scc1 .LBB86_464
; %bb.462:
	v_add3_u32 v95, v99, 0, 0xb8
	v_mov_b32_e32 v94, 22
	s_mov_b32 s0, 23
.LBB86_463:                             ; =>This Inner Loop Header: Depth=1
	ds_load_b64 v[104:105], v95
	s_wait_dscnt 0x1
	v_cmp_gt_f32_e32 vcc_lo, 0, v96
	v_cndmask_b32_e64 v106, v96, -v96, vcc_lo
	v_cmp_gt_f32_e32 vcc_lo, 0, v97
	v_cndmask_b32_e64 v108, v97, -v97, vcc_lo
	s_wait_dscnt 0x0
	v_cmp_gt_f32_e32 vcc_lo, 0, v104
	v_cndmask_b32_e64 v107, v104, -v104, vcc_lo
	v_cmp_gt_f32_e32 vcc_lo, 0, v105
	v_cndmask_b32_e64 v109, v105, -v105, vcc_lo
	s_delay_alu instid0(VALU_DEP_1) | instskip(NEXT) | instid1(VALU_DEP_1)
	v_pk_add_f32 v[106:107], v[106:107], v[108:109]
	v_cmp_lt_f32_e32 vcc_lo, v106, v107
	v_dual_add_nc_u32 v95, 8, v95 :: v_dual_cndmask_b32 v97, v97, v105, vcc_lo
	v_cndmask_b32_e32 v96, v96, v104, vcc_lo
	v_cndmask_b32_e64 v94, v94, s0, vcc_lo
	s_add_co_i32 s0, s0, 1
	s_delay_alu instid0(SALU_CYCLE_1)
	s_cmp_lg_u32 s18, s0
	s_cbranch_scc1 .LBB86_463
.LBB86_464:
	s_wait_dscnt 0x0
	v_cmp_eq_f32_e32 vcc_lo, 0, v96
	v_cmp_eq_f32_e64 s0, 0, v97
	s_and_b32 s0, vcc_lo, s0
	s_delay_alu instid0(SALU_CYCLE_1) | instskip(NEXT) | instid1(SALU_CYCLE_1)
	s_and_saveexec_b32 s1, s0
	s_xor_b32 s0, exec_lo, s1
; %bb.465:
	v_cmp_ne_u32_e32 vcc_lo, 0, v100
	v_cndmask_b32_e32 v100, 23, v100, vcc_lo
; %bb.466:
	s_and_not1_saveexec_b32 s0, s0
	s_cbranch_execz .LBB86_472
; %bb.467:
	v_cmp_ngt_f32_e64 s1, |v96|, |v97|
	s_and_saveexec_b32 s12, s1
	s_delay_alu instid0(SALU_CYCLE_1)
	s_xor_b32 s1, exec_lo, s12
	s_cbranch_execz .LBB86_469
; %bb.468:
	v_div_scale_f32 v95, null, v97, v97, v96
	v_div_scale_f32 v105, vcc_lo, v96, v97, v96
	s_delay_alu instid0(VALU_DEP_2) | instskip(SKIP_1) | instid1(TRANS32_DEP_1)
	v_rcp_f32_e32 v103, v95
	v_nop
	v_fma_f32 v104, -v95, v103, 1.0
	s_delay_alu instid0(VALU_DEP_1) | instskip(NEXT) | instid1(VALU_DEP_1)
	v_fmac_f32_e32 v103, v104, v103
	v_mul_f32_e32 v104, v105, v103
	s_delay_alu instid0(VALU_DEP_1) | instskip(NEXT) | instid1(VALU_DEP_1)
	v_fma_f32 v106, -v95, v104, v105
	v_fmac_f32_e32 v104, v106, v103
	s_delay_alu instid0(VALU_DEP_1) | instskip(NEXT) | instid1(VALU_DEP_1)
	v_fma_f32 v95, -v95, v104, v105
	v_div_fmas_f32 v95, v95, v103, v104
	s_delay_alu instid0(VALU_DEP_1) | instskip(NEXT) | instid1(VALU_DEP_1)
	v_div_fixup_f32 v95, v95, v97, v96
	v_fmac_f32_e32 v97, v96, v95
	s_delay_alu instid0(VALU_DEP_1) | instskip(SKIP_1) | instid1(VALU_DEP_2)
	v_div_scale_f32 v96, null, v97, v97, 1.0
	v_div_scale_f32 v105, vcc_lo, 1.0, v97, 1.0
	v_rcp_f32_e32 v103, v96
	v_nop
	s_delay_alu instid0(TRANS32_DEP_1) | instskip(NEXT) | instid1(VALU_DEP_1)
	v_fma_f32 v104, -v96, v103, 1.0
	v_fmac_f32_e32 v103, v104, v103
	s_delay_alu instid0(VALU_DEP_1) | instskip(NEXT) | instid1(VALU_DEP_1)
	v_mul_f32_e32 v104, v105, v103
	v_fma_f32 v106, -v96, v104, v105
	s_delay_alu instid0(VALU_DEP_1) | instskip(NEXT) | instid1(VALU_DEP_1)
	v_fmac_f32_e32 v104, v106, v103
	v_fma_f32 v96, -v96, v104, v105
	s_delay_alu instid0(VALU_DEP_1) | instskip(NEXT) | instid1(VALU_DEP_1)
	v_div_fmas_f32 v96, v96, v103, v104
	v_div_fixup_f32 v97, v96, v97, 1.0
	s_delay_alu instid0(VALU_DEP_1)
	v_mul_f32_e32 v96, v95, v97
	v_xor_b32_e32 v97, 0x80000000, v97
.LBB86_469:
	s_and_not1_saveexec_b32 s1, s1
	s_cbranch_execz .LBB86_471
; %bb.470:
	s_delay_alu instid0(VALU_DEP_1) | instskip(SKIP_1) | instid1(VALU_DEP_2)
	v_div_scale_f32 v95, null, v96, v96, v97
	v_div_scale_f32 v105, vcc_lo, v97, v96, v97
	v_rcp_f32_e32 v103, v95
	v_nop
	s_delay_alu instid0(TRANS32_DEP_1) | instskip(NEXT) | instid1(VALU_DEP_1)
	v_fma_f32 v104, -v95, v103, 1.0
	v_fmac_f32_e32 v103, v104, v103
	s_delay_alu instid0(VALU_DEP_1) | instskip(NEXT) | instid1(VALU_DEP_1)
	v_mul_f32_e32 v104, v105, v103
	v_fma_f32 v106, -v95, v104, v105
	s_delay_alu instid0(VALU_DEP_1) | instskip(NEXT) | instid1(VALU_DEP_1)
	v_fmac_f32_e32 v104, v106, v103
	v_fma_f32 v95, -v95, v104, v105
	s_delay_alu instid0(VALU_DEP_1) | instskip(NEXT) | instid1(VALU_DEP_1)
	v_div_fmas_f32 v95, v95, v103, v104
	v_div_fixup_f32 v95, v95, v96, v97
	s_delay_alu instid0(VALU_DEP_1) | instskip(NEXT) | instid1(VALU_DEP_1)
	v_fmac_f32_e32 v96, v97, v95
	v_div_scale_f32 v97, null, v96, v96, 1.0
	s_delay_alu instid0(VALU_DEP_1) | instskip(SKIP_1) | instid1(TRANS32_DEP_1)
	v_rcp_f32_e32 v103, v97
	v_nop
	v_fma_f32 v104, -v97, v103, 1.0
	s_delay_alu instid0(VALU_DEP_1) | instskip(SKIP_1) | instid1(VALU_DEP_1)
	v_fmac_f32_e32 v103, v104, v103
	v_div_scale_f32 v104, vcc_lo, 1.0, v96, 1.0
	v_mul_f32_e32 v105, v104, v103
	s_delay_alu instid0(VALU_DEP_1) | instskip(NEXT) | instid1(VALU_DEP_1)
	v_fma_f32 v106, -v97, v105, v104
	v_fmac_f32_e32 v105, v106, v103
	s_delay_alu instid0(VALU_DEP_1) | instskip(NEXT) | instid1(VALU_DEP_1)
	v_fma_f32 v97, -v97, v105, v104
	v_div_fmas_f32 v97, v97, v103, v105
	s_delay_alu instid0(VALU_DEP_1) | instskip(NEXT) | instid1(VALU_DEP_1)
	v_div_fixup_f32 v96, v97, v96, 1.0
	v_mul_f32_e64 v97, v95, -v96
.LBB86_471:
	s_or_b32 exec_lo, exec_lo, s1
.LBB86_472:
	s_delay_alu instid0(SALU_CYCLE_1) | instskip(NEXT) | instid1(SALU_CYCLE_1)
	s_or_b32 exec_lo, exec_lo, s0
	s_mov_b32 s0, exec_lo
	v_cmpx_ne_u32_e64 v102, v94
	s_xor_b32 s0, exec_lo, s0
	s_cbranch_execz .LBB86_478
; %bb.473:
	s_mov_b32 s1, exec_lo
	v_cmpx_eq_u32_e32 22, v102
	s_cbranch_execz .LBB86_477
; %bb.474:
	v_cmp_ne_u32_e32 vcc_lo, 22, v94
	s_xor_b32 s12, s16, -1
	s_delay_alu instid0(SALU_CYCLE_1) | instskip(NEXT) | instid1(SALU_CYCLE_1)
	s_and_b32 s13, s12, vcc_lo
	s_and_saveexec_b32 s12, s13
	s_cbranch_execz .LBB86_476
; %bb.475:
	v_ashrrev_i32_e32 v95, 31, v94
	s_delay_alu instid0(VALU_DEP_1)
	v_lshl_add_u64 v[102:103], v[94:95], 2, v[4:5]
	s_clause 0x1
	global_load_b32 v95, v[102:103], off
	global_load_b32 v101, v[4:5], off offset:88
	s_wait_loadcnt 0x1
	global_store_b32 v[4:5], v95, off offset:88
	s_wait_loadcnt 0x0
	global_store_b32 v[102:103], v101, off
.LBB86_476:
	s_wait_xcnt 0x0
	s_or_b32 exec_lo, exec_lo, s12
	v_dual_mov_b32 v102, v94 :: v_dual_mov_b32 v101, v94
.LBB86_477:
	s_or_b32 exec_lo, exec_lo, s1
.LBB86_478:
	s_and_not1_saveexec_b32 s0, s0
	s_cbranch_execz .LBB86_480
; %bb.479:
	v_mov_b32_e32 v102, 22
	ds_store_2addr_b64 v98, v[22:23], v[54:55] offset0:23 offset1:24
	ds_store_2addr_b64 v98, v[48:49], v[52:53] offset0:25 offset1:26
	;; [unrolled: 1-line block ×10, first 2 shown]
	ds_store_b64 v98, v[92:93] offset:344
.LBB86_480:
	s_or_b32 exec_lo, exec_lo, s0
	s_delay_alu instid0(SALU_CYCLE_1)
	s_mov_b32 s0, exec_lo
	s_wait_storecnt_dscnt 0x0
	s_barrier_signal -1
	s_barrier_wait -1
	v_cmpx_lt_i32_e32 22, v102
	s_cbranch_execz .LBB86_482
; %bb.481:
	v_pk_mul_f32 v[104:105], v[96:97], v[68:69] op_sel:[1,1] op_sel_hi:[0,1]
	s_delay_alu instid0(VALU_DEP_1)
	v_pk_fma_f32 v[94:95], v[96:97], v[68:69], v[104:105] op_sel_hi:[1,0,1] neg_lo:[0,0,1] neg_hi:[0,0,1]
	v_pk_fma_f32 v[96:97], v[96:97], v[68:69], v[104:105] op_sel_hi:[1,0,1]
	ds_load_2addr_b64 v[104:107], v98 offset0:23 offset1:24
	v_dual_mov_b32 v68, v94 :: v_dual_mov_b32 v69, v97
	s_wait_dscnt 0x0
	v_pk_mul_f32 v[108:109], v[104:105], v[96:97] op_sel:[0,1]
	s_delay_alu instid0(VALU_DEP_1) | instskip(SKIP_1) | instid1(VALU_DEP_1)
	v_pk_fma_f32 v[110:111], v[104:105], v[94:95], v[108:109] op_sel:[0,0,1] op_sel_hi:[1,1,0] neg_lo:[0,0,1] neg_hi:[0,0,1]
	v_pk_fma_f32 v[104:105], v[104:105], v[94:95], v[108:109] op_sel:[0,0,1] op_sel_hi:[1,0,0]
	v_mov_b32_e32 v111, v105
	v_pk_mul_f32 v[104:105], v[106:107], v[96:97] op_sel:[0,1]
	s_delay_alu instid0(VALU_DEP_1) | instskip(SKIP_1) | instid1(VALU_DEP_1)
	v_pk_fma_f32 v[108:109], v[106:107], v[94:95], v[104:105] op_sel:[0,0,1] op_sel_hi:[1,1,0] neg_lo:[0,0,1] neg_hi:[0,0,1]
	v_pk_fma_f32 v[104:105], v[106:107], v[94:95], v[104:105] op_sel:[0,0,1] op_sel_hi:[1,0,0]
	v_mov_b32_e32 v109, v105
	ds_load_2addr_b64 v[104:107], v98 offset0:25 offset1:26
	v_pk_add_f32 v[22:23], v[22:23], v[110:111] neg_lo:[0,1] neg_hi:[0,1]
	v_pk_add_f32 v[54:55], v[54:55], v[108:109] neg_lo:[0,1] neg_hi:[0,1]
	s_wait_dscnt 0x0
	v_pk_mul_f32 v[108:109], v[104:105], v[96:97] op_sel:[0,1]
	s_delay_alu instid0(VALU_DEP_1) | instskip(SKIP_2) | instid1(VALU_DEP_2)
	v_pk_fma_f32 v[110:111], v[104:105], v[94:95], v[108:109] op_sel:[0,0,1] op_sel_hi:[1,1,0] neg_lo:[0,0,1] neg_hi:[0,0,1]
	v_pk_fma_f32 v[104:105], v[104:105], v[94:95], v[108:109] op_sel:[0,0,1] op_sel_hi:[1,0,0]
	v_dual_mul_f32 v108, v107, v97 :: v_dual_mov_b32 v104, v107
	v_dual_mov_b32 v111, v105 :: v_dual_mov_b32 v105, v106
	s_delay_alu instid0(VALU_DEP_2) | instskip(SKIP_1) | instid1(VALU_DEP_3)
	v_pk_fma_f32 v[108:109], v[106:107], v[68:69], v[108:109] op_sel_hi:[1,1,0] neg_lo:[0,0,1] neg_hi:[0,0,1]
	v_mul_f32_e32 v106, v107, v94
	v_pk_add_f32 v[48:49], v[48:49], v[110:111] neg_lo:[0,1] neg_hi:[0,1]
	s_delay_alu instid0(VALU_DEP_2) | instskip(NEXT) | instid1(VALU_DEP_1)
	v_pk_fma_f32 v[104:105], v[104:105], v[68:69], v[106:107] op_sel_hi:[1,1,0]
	v_mov_b32_e32 v109, v105
	ds_load_2addr_b64 v[104:107], v98 offset0:27 offset1:28
	v_pk_add_f32 v[52:53], v[52:53], v[108:109] neg_lo:[0,1] neg_hi:[0,1]
	s_wait_dscnt 0x0
	v_pk_mul_f32 v[108:109], v[104:105], v[96:97] op_sel:[0,1]
	s_delay_alu instid0(VALU_DEP_1) | instskip(SKIP_1) | instid1(VALU_DEP_1)
	v_pk_fma_f32 v[110:111], v[104:105], v[94:95], v[108:109] op_sel:[0,0,1] op_sel_hi:[1,1,0] neg_lo:[0,0,1] neg_hi:[0,0,1]
	v_pk_fma_f32 v[104:105], v[104:105], v[94:95], v[108:109] op_sel:[0,0,1] op_sel_hi:[1,0,0]
	v_mov_b32_e32 v111, v105
	v_pk_mul_f32 v[104:105], v[106:107], v[96:97] op_sel:[0,1]
	s_delay_alu instid0(VALU_DEP_1) | instskip(SKIP_1) | instid1(VALU_DEP_1)
	v_pk_fma_f32 v[108:109], v[106:107], v[94:95], v[104:105] op_sel:[0,0,1] op_sel_hi:[1,1,0] neg_lo:[0,0,1] neg_hi:[0,0,1]
	v_pk_fma_f32 v[104:105], v[106:107], v[94:95], v[104:105] op_sel:[0,0,1] op_sel_hi:[1,0,0]
	v_mov_b32_e32 v109, v105
	ds_load_2addr_b64 v[104:107], v98 offset0:29 offset1:30
	v_pk_add_f32 v[12:13], v[12:13], v[110:111] neg_lo:[0,1] neg_hi:[0,1]
	v_pk_add_f32 v[46:47], v[46:47], v[108:109] neg_lo:[0,1] neg_hi:[0,1]
	s_wait_dscnt 0x0
	v_pk_mul_f32 v[108:109], v[104:105], v[96:97] op_sel:[0,1]
	s_delay_alu instid0(VALU_DEP_1) | instskip(SKIP_1) | instid1(VALU_DEP_1)
	v_pk_fma_f32 v[110:111], v[104:105], v[94:95], v[108:109] op_sel:[0,0,1] op_sel_hi:[1,1,0] neg_lo:[0,0,1] neg_hi:[0,0,1]
	v_pk_fma_f32 v[104:105], v[104:105], v[94:95], v[108:109] op_sel:[0,0,1] op_sel_hi:[1,0,0]
	v_mov_b32_e32 v111, v105
	v_pk_mul_f32 v[104:105], v[106:107], v[96:97] op_sel:[0,1]
	s_delay_alu instid0(VALU_DEP_1) | instskip(SKIP_1) | instid1(VALU_DEP_1)
	v_pk_fma_f32 v[108:109], v[106:107], v[94:95], v[104:105] op_sel:[0,0,1] op_sel_hi:[1,1,0] neg_lo:[0,0,1] neg_hi:[0,0,1]
	v_pk_fma_f32 v[104:105], v[106:107], v[94:95], v[104:105] op_sel:[0,0,1] op_sel_hi:[1,0,0]
	v_mov_b32_e32 v109, v105
	ds_load_2addr_b64 v[104:107], v98 offset0:31 offset1:32
	v_pk_add_f32 v[42:43], v[42:43], v[110:111] neg_lo:[0,1] neg_hi:[0,1]
	v_pk_add_f32 v[44:45], v[44:45], v[108:109] neg_lo:[0,1] neg_hi:[0,1]
	s_wait_dscnt 0x0
	v_dual_mul_f32 v108, v105, v97 :: v_dual_mul_f32 v110, v105, v94
	s_delay_alu instid0(VALU_DEP_1) | instskip(NEXT) | instid1(VALU_DEP_2)
	v_pk_fma_f32 v[108:109], v[104:105], v[68:69], v[108:109] op_sel_hi:[1,1,0] neg_lo:[0,0,1] neg_hi:[0,0,1]
	v_pk_fma_f32 v[104:105], v[104:105], v[68:69], v[110:111] op_sel:[1,0,0] op_sel_hi:[0,1,0]
	s_delay_alu instid0(VALU_DEP_1) | instskip(SKIP_1) | instid1(VALU_DEP_2)
	v_mov_b32_e32 v109, v105
	v_pk_mul_f32 v[104:105], v[106:107], v[96:97] op_sel:[0,1]
	v_pk_add_f32 v[10:11], v[10:11], v[108:109] neg_lo:[0,1] neg_hi:[0,1]
	s_delay_alu instid0(VALU_DEP_2) | instskip(SKIP_1) | instid1(VALU_DEP_1)
	v_pk_fma_f32 v[108:109], v[106:107], v[94:95], v[104:105] op_sel:[0,0,1] op_sel_hi:[1,1,0] neg_lo:[0,0,1] neg_hi:[0,0,1]
	v_pk_fma_f32 v[104:105], v[106:107], v[94:95], v[104:105] op_sel:[0,0,1] op_sel_hi:[1,0,0]
	v_mov_b32_e32 v109, v105
	ds_load_2addr_b64 v[104:107], v98 offset0:33 offset1:34
	v_pk_add_f32 v[40:41], v[40:41], v[108:109] neg_lo:[0,1] neg_hi:[0,1]
	s_wait_dscnt 0x0
	v_pk_mul_f32 v[108:109], v[104:105], v[96:97] op_sel:[0,1]
	s_delay_alu instid0(VALU_DEP_1) | instskip(SKIP_1) | instid1(VALU_DEP_1)
	v_pk_fma_f32 v[110:111], v[104:105], v[94:95], v[108:109] op_sel:[0,0,1] op_sel_hi:[1,1,0] neg_lo:[0,0,1] neg_hi:[0,0,1]
	v_pk_fma_f32 v[104:105], v[104:105], v[94:95], v[108:109] op_sel:[0,0,1] op_sel_hi:[1,0,0]
	v_mov_b32_e32 v111, v105
	v_pk_mul_f32 v[104:105], v[106:107], v[96:97] op_sel:[0,1]
	s_delay_alu instid0(VALU_DEP_2) | instskip(NEXT) | instid1(VALU_DEP_2)
	v_pk_add_f32 v[36:37], v[36:37], v[110:111] neg_lo:[0,1] neg_hi:[0,1]
	v_pk_fma_f32 v[108:109], v[106:107], v[94:95], v[104:105] op_sel:[0,0,1] op_sel_hi:[1,1,0] neg_lo:[0,0,1] neg_hi:[0,0,1]
	v_pk_fma_f32 v[104:105], v[106:107], v[94:95], v[104:105] op_sel:[0,0,1] op_sel_hi:[1,0,0]
	s_delay_alu instid0(VALU_DEP_1) | instskip(SKIP_4) | instid1(VALU_DEP_1)
	v_mov_b32_e32 v109, v105
	ds_load_2addr_b64 v[104:107], v98 offset0:35 offset1:36
	v_pk_add_f32 v[38:39], v[38:39], v[108:109] neg_lo:[0,1] neg_hi:[0,1]
	s_wait_dscnt 0x0
	v_pk_mul_f32 v[108:109], v[104:105], v[96:97] op_sel:[0,1]
	v_pk_fma_f32 v[110:111], v[104:105], v[94:95], v[108:109] op_sel:[0,0,1] op_sel_hi:[1,1,0] neg_lo:[0,0,1] neg_hi:[0,0,1]
	v_pk_fma_f32 v[104:105], v[104:105], v[94:95], v[108:109] op_sel:[0,0,1] op_sel_hi:[1,0,0]
	v_dual_mul_f32 v108, v107, v97 :: v_dual_mov_b32 v104, v107
	s_delay_alu instid0(VALU_DEP_2) | instskip(NEXT) | instid1(VALU_DEP_2)
	v_dual_mov_b32 v111, v105 :: v_dual_mov_b32 v105, v106
	v_pk_fma_f32 v[108:109], v[106:107], v[68:69], v[108:109] op_sel_hi:[1,1,0] neg_lo:[0,0,1] neg_hi:[0,0,1]
	v_mul_f32_e32 v106, v107, v94
	s_delay_alu instid0(VALU_DEP_3) | instskip(NEXT) | instid1(VALU_DEP_2)
	v_pk_add_f32 v[6:7], v[6:7], v[110:111] neg_lo:[0,1] neg_hi:[0,1]
	v_pk_fma_f32 v[104:105], v[104:105], v[68:69], v[106:107] op_sel_hi:[1,1,0]
	s_delay_alu instid0(VALU_DEP_1) | instskip(SKIP_4) | instid1(VALU_DEP_1)
	v_mov_b32_e32 v109, v105
	ds_load_2addr_b64 v[104:107], v98 offset0:37 offset1:38
	v_pk_add_f32 v[34:35], v[34:35], v[108:109] neg_lo:[0,1] neg_hi:[0,1]
	s_wait_dscnt 0x0
	v_pk_mul_f32 v[108:109], v[104:105], v[96:97] op_sel:[0,1]
	v_pk_fma_f32 v[110:111], v[104:105], v[94:95], v[108:109] op_sel:[0,0,1] op_sel_hi:[1,1,0] neg_lo:[0,0,1] neg_hi:[0,0,1]
	v_pk_fma_f32 v[104:105], v[104:105], v[94:95], v[108:109] op_sel:[0,0,1] op_sel_hi:[1,0,0]
	s_delay_alu instid0(VALU_DEP_1) | instskip(SKIP_1) | instid1(VALU_DEP_1)
	v_mov_b32_e32 v111, v105
	v_pk_mul_f32 v[104:105], v[106:107], v[96:97] op_sel:[0,1]
	v_pk_fma_f32 v[108:109], v[106:107], v[94:95], v[104:105] op_sel:[0,0,1] op_sel_hi:[1,1,0] neg_lo:[0,0,1] neg_hi:[0,0,1]
	v_pk_fma_f32 v[104:105], v[106:107], v[94:95], v[104:105] op_sel:[0,0,1] op_sel_hi:[1,0,0]
	s_delay_alu instid0(VALU_DEP_1)
	v_mov_b32_e32 v109, v105
	ds_load_2addr_b64 v[104:107], v98 offset0:39 offset1:40
	v_pk_add_f32 v[30:31], v[30:31], v[110:111] neg_lo:[0,1] neg_hi:[0,1]
	v_pk_add_f32 v[32:33], v[32:33], v[108:109] neg_lo:[0,1] neg_hi:[0,1]
	s_wait_dscnt 0x0
	v_pk_mul_f32 v[108:109], v[104:105], v[96:97] op_sel:[0,1]
	s_delay_alu instid0(VALU_DEP_1) | instskip(SKIP_1) | instid1(VALU_DEP_1)
	v_pk_fma_f32 v[110:111], v[104:105], v[94:95], v[108:109] op_sel:[0,0,1] op_sel_hi:[1,1,0] neg_lo:[0,0,1] neg_hi:[0,0,1]
	v_pk_fma_f32 v[104:105], v[104:105], v[94:95], v[108:109] op_sel:[0,0,1] op_sel_hi:[1,0,0]
	v_mov_b32_e32 v111, v105
	v_pk_mul_f32 v[104:105], v[106:107], v[96:97] op_sel:[0,1]
	s_delay_alu instid0(VALU_DEP_1) | instskip(SKIP_1) | instid1(VALU_DEP_1)
	v_pk_fma_f32 v[108:109], v[106:107], v[94:95], v[104:105] op_sel:[0,0,1] op_sel_hi:[1,1,0] neg_lo:[0,0,1] neg_hi:[0,0,1]
	v_pk_fma_f32 v[104:105], v[106:107], v[94:95], v[104:105] op_sel:[0,0,1] op_sel_hi:[1,0,0]
	v_mov_b32_e32 v109, v105
	ds_load_2addr_b64 v[104:107], v98 offset0:41 offset1:42
	v_pk_add_f32 v[8:9], v[8:9], v[110:111] neg_lo:[0,1] neg_hi:[0,1]
	v_pk_add_f32 v[28:29], v[28:29], v[108:109] neg_lo:[0,1] neg_hi:[0,1]
	s_wait_dscnt 0x0
	v_dual_mul_f32 v108, v105, v97 :: v_dual_mul_f32 v110, v105, v94
	s_delay_alu instid0(VALU_DEP_1) | instskip(NEXT) | instid1(VALU_DEP_2)
	v_pk_fma_f32 v[108:109], v[104:105], v[68:69], v[108:109] op_sel_hi:[1,1,0] neg_lo:[0,0,1] neg_hi:[0,0,1]
	v_pk_fma_f32 v[104:105], v[104:105], v[68:69], v[110:111] op_sel:[1,0,0] op_sel_hi:[0,1,0]
	s_delay_alu instid0(VALU_DEP_1) | instskip(SKIP_1) | instid1(VALU_DEP_2)
	v_mov_b32_e32 v109, v105
	v_pk_mul_f32 v[104:105], v[106:107], v[96:97] op_sel:[0,1]
	v_pk_add_f32 v[20:21], v[20:21], v[108:109] neg_lo:[0,1] neg_hi:[0,1]
	s_delay_alu instid0(VALU_DEP_2) | instskip(SKIP_1) | instid1(VALU_DEP_1)
	v_pk_fma_f32 v[108:109], v[106:107], v[94:95], v[104:105] op_sel:[0,0,1] op_sel_hi:[1,1,0] neg_lo:[0,0,1] neg_hi:[0,0,1]
	v_pk_fma_f32 v[104:105], v[106:107], v[94:95], v[104:105] op_sel:[0,0,1] op_sel_hi:[1,0,0]
	v_mov_b32_e32 v109, v105
	ds_load_b64 v[104:105], v98 offset:344
	v_pk_add_f32 v[16:17], v[16:17], v[108:109] neg_lo:[0,1] neg_hi:[0,1]
	s_wait_dscnt 0x0
	v_pk_mul_f32 v[96:97], v[104:105], v[96:97] op_sel:[0,1]
	s_delay_alu instid0(VALU_DEP_1) | instskip(SKIP_1) | instid1(VALU_DEP_1)
	v_pk_fma_f32 v[106:107], v[104:105], v[94:95], v[96:97] op_sel:[0,0,1] op_sel_hi:[1,1,0] neg_lo:[0,0,1] neg_hi:[0,0,1]
	v_pk_fma_f32 v[94:95], v[104:105], v[94:95], v[96:97] op_sel:[0,0,1] op_sel_hi:[1,0,0]
	v_mov_b32_e32 v107, v95
	s_delay_alu instid0(VALU_DEP_1)
	v_pk_add_f32 v[92:93], v[92:93], v[106:107] neg_lo:[0,1] neg_hi:[0,1]
.LBB86_482:
	s_or_b32 exec_lo, exec_lo, s0
	v_lshl_add_u32 v94, v102, 3, v98
	s_barrier_signal -1
	s_barrier_wait -1
	ds_store_b64 v94, v[22:23]
	s_wait_dscnt 0x0
	s_barrier_signal -1
	s_barrier_wait -1
	ds_load_b64 v[96:97], v98 offset:184
	v_mov_b32_e32 v94, 23
	s_cmp_lt_i32 s18, 25
	s_cbranch_scc1 .LBB86_485
; %bb.483:
	v_add3_u32 v95, v99, 0, 0xc0
	v_mov_b32_e32 v94, 23
	s_mov_b32 s0, 24
.LBB86_484:                             ; =>This Inner Loop Header: Depth=1
	ds_load_b64 v[104:105], v95
	s_wait_dscnt 0x1
	v_cmp_gt_f32_e32 vcc_lo, 0, v96
	v_cndmask_b32_e64 v106, v96, -v96, vcc_lo
	v_cmp_gt_f32_e32 vcc_lo, 0, v97
	v_cndmask_b32_e64 v108, v97, -v97, vcc_lo
	s_wait_dscnt 0x0
	v_cmp_gt_f32_e32 vcc_lo, 0, v104
	v_cndmask_b32_e64 v107, v104, -v104, vcc_lo
	v_cmp_gt_f32_e32 vcc_lo, 0, v105
	v_cndmask_b32_e64 v109, v105, -v105, vcc_lo
	s_delay_alu instid0(VALU_DEP_1) | instskip(NEXT) | instid1(VALU_DEP_1)
	v_pk_add_f32 v[106:107], v[106:107], v[108:109]
	v_cmp_lt_f32_e32 vcc_lo, v106, v107
	v_dual_add_nc_u32 v95, 8, v95 :: v_dual_cndmask_b32 v97, v97, v105, vcc_lo
	v_cndmask_b32_e32 v96, v96, v104, vcc_lo
	v_cndmask_b32_e64 v94, v94, s0, vcc_lo
	s_add_co_i32 s0, s0, 1
	s_delay_alu instid0(SALU_CYCLE_1)
	s_cmp_lg_u32 s18, s0
	s_cbranch_scc1 .LBB86_484
.LBB86_485:
	s_wait_dscnt 0x0
	v_cmp_eq_f32_e32 vcc_lo, 0, v96
	v_cmp_eq_f32_e64 s0, 0, v97
	s_and_b32 s0, vcc_lo, s0
	s_delay_alu instid0(SALU_CYCLE_1) | instskip(NEXT) | instid1(SALU_CYCLE_1)
	s_and_saveexec_b32 s1, s0
	s_xor_b32 s0, exec_lo, s1
; %bb.486:
	v_cmp_ne_u32_e32 vcc_lo, 0, v100
	v_cndmask_b32_e32 v100, 24, v100, vcc_lo
; %bb.487:
	s_and_not1_saveexec_b32 s0, s0
	s_cbranch_execz .LBB86_493
; %bb.488:
	v_cmp_ngt_f32_e64 s1, |v96|, |v97|
	s_and_saveexec_b32 s12, s1
	s_delay_alu instid0(SALU_CYCLE_1)
	s_xor_b32 s1, exec_lo, s12
	s_cbranch_execz .LBB86_490
; %bb.489:
	v_div_scale_f32 v95, null, v97, v97, v96
	v_div_scale_f32 v105, vcc_lo, v96, v97, v96
	s_delay_alu instid0(VALU_DEP_2) | instskip(SKIP_1) | instid1(TRANS32_DEP_1)
	v_rcp_f32_e32 v103, v95
	v_nop
	v_fma_f32 v104, -v95, v103, 1.0
	s_delay_alu instid0(VALU_DEP_1) | instskip(NEXT) | instid1(VALU_DEP_1)
	v_fmac_f32_e32 v103, v104, v103
	v_mul_f32_e32 v104, v105, v103
	s_delay_alu instid0(VALU_DEP_1) | instskip(NEXT) | instid1(VALU_DEP_1)
	v_fma_f32 v106, -v95, v104, v105
	v_fmac_f32_e32 v104, v106, v103
	s_delay_alu instid0(VALU_DEP_1) | instskip(NEXT) | instid1(VALU_DEP_1)
	v_fma_f32 v95, -v95, v104, v105
	v_div_fmas_f32 v95, v95, v103, v104
	s_delay_alu instid0(VALU_DEP_1) | instskip(NEXT) | instid1(VALU_DEP_1)
	v_div_fixup_f32 v95, v95, v97, v96
	v_fmac_f32_e32 v97, v96, v95
	s_delay_alu instid0(VALU_DEP_1) | instskip(SKIP_1) | instid1(VALU_DEP_2)
	v_div_scale_f32 v96, null, v97, v97, 1.0
	v_div_scale_f32 v105, vcc_lo, 1.0, v97, 1.0
	v_rcp_f32_e32 v103, v96
	v_nop
	s_delay_alu instid0(TRANS32_DEP_1) | instskip(NEXT) | instid1(VALU_DEP_1)
	v_fma_f32 v104, -v96, v103, 1.0
	v_fmac_f32_e32 v103, v104, v103
	s_delay_alu instid0(VALU_DEP_1) | instskip(NEXT) | instid1(VALU_DEP_1)
	v_mul_f32_e32 v104, v105, v103
	v_fma_f32 v106, -v96, v104, v105
	s_delay_alu instid0(VALU_DEP_1) | instskip(NEXT) | instid1(VALU_DEP_1)
	v_fmac_f32_e32 v104, v106, v103
	v_fma_f32 v96, -v96, v104, v105
	s_delay_alu instid0(VALU_DEP_1) | instskip(NEXT) | instid1(VALU_DEP_1)
	v_div_fmas_f32 v96, v96, v103, v104
	v_div_fixup_f32 v97, v96, v97, 1.0
	s_delay_alu instid0(VALU_DEP_1)
	v_mul_f32_e32 v96, v95, v97
	v_xor_b32_e32 v97, 0x80000000, v97
.LBB86_490:
	s_and_not1_saveexec_b32 s1, s1
	s_cbranch_execz .LBB86_492
; %bb.491:
	s_delay_alu instid0(VALU_DEP_1) | instskip(SKIP_1) | instid1(VALU_DEP_2)
	v_div_scale_f32 v95, null, v96, v96, v97
	v_div_scale_f32 v105, vcc_lo, v97, v96, v97
	v_rcp_f32_e32 v103, v95
	v_nop
	s_delay_alu instid0(TRANS32_DEP_1) | instskip(NEXT) | instid1(VALU_DEP_1)
	v_fma_f32 v104, -v95, v103, 1.0
	v_fmac_f32_e32 v103, v104, v103
	s_delay_alu instid0(VALU_DEP_1) | instskip(NEXT) | instid1(VALU_DEP_1)
	v_mul_f32_e32 v104, v105, v103
	v_fma_f32 v106, -v95, v104, v105
	s_delay_alu instid0(VALU_DEP_1) | instskip(NEXT) | instid1(VALU_DEP_1)
	v_fmac_f32_e32 v104, v106, v103
	v_fma_f32 v95, -v95, v104, v105
	s_delay_alu instid0(VALU_DEP_1) | instskip(NEXT) | instid1(VALU_DEP_1)
	v_div_fmas_f32 v95, v95, v103, v104
	v_div_fixup_f32 v95, v95, v96, v97
	s_delay_alu instid0(VALU_DEP_1) | instskip(NEXT) | instid1(VALU_DEP_1)
	v_fmac_f32_e32 v96, v97, v95
	v_div_scale_f32 v97, null, v96, v96, 1.0
	s_delay_alu instid0(VALU_DEP_1) | instskip(SKIP_1) | instid1(TRANS32_DEP_1)
	v_rcp_f32_e32 v103, v97
	v_nop
	v_fma_f32 v104, -v97, v103, 1.0
	s_delay_alu instid0(VALU_DEP_1) | instskip(SKIP_1) | instid1(VALU_DEP_1)
	v_fmac_f32_e32 v103, v104, v103
	v_div_scale_f32 v104, vcc_lo, 1.0, v96, 1.0
	v_mul_f32_e32 v105, v104, v103
	s_delay_alu instid0(VALU_DEP_1) | instskip(NEXT) | instid1(VALU_DEP_1)
	v_fma_f32 v106, -v97, v105, v104
	v_fmac_f32_e32 v105, v106, v103
	s_delay_alu instid0(VALU_DEP_1) | instskip(NEXT) | instid1(VALU_DEP_1)
	v_fma_f32 v97, -v97, v105, v104
	v_div_fmas_f32 v97, v97, v103, v105
	s_delay_alu instid0(VALU_DEP_1) | instskip(NEXT) | instid1(VALU_DEP_1)
	v_div_fixup_f32 v96, v97, v96, 1.0
	v_mul_f32_e64 v97, v95, -v96
.LBB86_492:
	s_or_b32 exec_lo, exec_lo, s1
.LBB86_493:
	s_delay_alu instid0(SALU_CYCLE_1) | instskip(NEXT) | instid1(SALU_CYCLE_1)
	s_or_b32 exec_lo, exec_lo, s0
	s_mov_b32 s0, exec_lo
	v_cmpx_ne_u32_e64 v102, v94
	s_xor_b32 s0, exec_lo, s0
	s_cbranch_execz .LBB86_499
; %bb.494:
	s_mov_b32 s1, exec_lo
	v_cmpx_eq_u32_e32 23, v102
	s_cbranch_execz .LBB86_498
; %bb.495:
	v_cmp_ne_u32_e32 vcc_lo, 23, v94
	s_xor_b32 s12, s16, -1
	s_delay_alu instid0(SALU_CYCLE_1) | instskip(NEXT) | instid1(SALU_CYCLE_1)
	s_and_b32 s13, s12, vcc_lo
	s_and_saveexec_b32 s12, s13
	s_cbranch_execz .LBB86_497
; %bb.496:
	v_ashrrev_i32_e32 v95, 31, v94
	s_delay_alu instid0(VALU_DEP_1)
	v_lshl_add_u64 v[102:103], v[94:95], 2, v[4:5]
	s_clause 0x1
	global_load_b32 v95, v[102:103], off
	global_load_b32 v101, v[4:5], off offset:92
	s_wait_loadcnt 0x1
	global_store_b32 v[4:5], v95, off offset:92
	s_wait_loadcnt 0x0
	global_store_b32 v[102:103], v101, off
.LBB86_497:
	s_wait_xcnt 0x0
	s_or_b32 exec_lo, exec_lo, s12
	v_dual_mov_b32 v102, v94 :: v_dual_mov_b32 v101, v94
.LBB86_498:
	s_or_b32 exec_lo, exec_lo, s1
.LBB86_499:
	s_and_not1_saveexec_b32 s0, s0
	s_cbranch_execz .LBB86_501
; %bb.500:
	v_dual_mov_b32 v94, v54 :: v_dual_mov_b32 v95, v55
	v_dual_mov_b32 v102, v48 :: v_dual_mov_b32 v103, v49
	;; [unrolled: 1-line block ×12, first 2 shown]
	ds_store_2addr_b64 v98, v[94:95], v[102:103] offset0:24 offset1:25
	ds_store_2addr_b64 v98, v[104:105], v[106:107] offset0:26 offset1:27
	;; [unrolled: 1-line block ×6, first 2 shown]
	v_dual_mov_b32 v94, v34 :: v_dual_mov_b32 v95, v35
	v_dual_mov_b32 v104, v30 :: v_dual_mov_b32 v105, v31
	;; [unrolled: 1-line block ×7, first 2 shown]
	v_mov_b32_e32 v115, v17
	ds_store_2addr_b64 v98, v[94:95], v[104:105] offset0:36 offset1:37
	ds_store_2addr_b64 v98, v[106:107], v[108:109] offset0:38 offset1:39
	;; [unrolled: 1-line block ×4, first 2 shown]
.LBB86_501:
	s_or_b32 exec_lo, exec_lo, s0
	s_delay_alu instid0(SALU_CYCLE_1)
	s_mov_b32 s0, exec_lo
	s_wait_storecnt_dscnt 0x0
	s_barrier_signal -1
	s_barrier_wait -1
	v_cmpx_lt_i32_e32 23, v102
	s_cbranch_execz .LBB86_503
; %bb.502:
	v_pk_mul_f32 v[104:105], v[96:97], v[22:23] op_sel:[1,1] op_sel_hi:[0,1]
	s_delay_alu instid0(VALU_DEP_1)
	v_pk_fma_f32 v[94:95], v[96:97], v[22:23], v[104:105] op_sel_hi:[1,0,1] neg_lo:[0,0,1] neg_hi:[0,0,1]
	v_pk_fma_f32 v[96:97], v[96:97], v[22:23], v[104:105] op_sel_hi:[1,0,1]
	ds_load_2addr_b64 v[104:107], v98 offset0:24 offset1:25
	v_dual_mov_b32 v22, v94 :: v_dual_mov_b32 v23, v97
	s_wait_dscnt 0x0
	v_pk_mul_f32 v[108:109], v[104:105], v[96:97] op_sel:[0,1]
	s_delay_alu instid0(VALU_DEP_1) | instskip(SKIP_1) | instid1(VALU_DEP_1)
	v_pk_fma_f32 v[110:111], v[104:105], v[94:95], v[108:109] op_sel:[0,0,1] op_sel_hi:[1,1,0] neg_lo:[0,0,1] neg_hi:[0,0,1]
	v_pk_fma_f32 v[104:105], v[104:105], v[94:95], v[108:109] op_sel:[0,0,1] op_sel_hi:[1,0,0]
	v_mov_b32_e32 v111, v105
	v_pk_mul_f32 v[104:105], v[106:107], v[96:97] op_sel:[0,1]
	s_delay_alu instid0(VALU_DEP_1) | instskip(SKIP_1) | instid1(VALU_DEP_1)
	v_pk_fma_f32 v[108:109], v[106:107], v[94:95], v[104:105] op_sel:[0,0,1] op_sel_hi:[1,1,0] neg_lo:[0,0,1] neg_hi:[0,0,1]
	v_pk_fma_f32 v[104:105], v[106:107], v[94:95], v[104:105] op_sel:[0,0,1] op_sel_hi:[1,0,0]
	v_mov_b32_e32 v109, v105
	ds_load_2addr_b64 v[104:107], v98 offset0:26 offset1:27
	v_pk_add_f32 v[54:55], v[54:55], v[110:111] neg_lo:[0,1] neg_hi:[0,1]
	v_pk_add_f32 v[48:49], v[48:49], v[108:109] neg_lo:[0,1] neg_hi:[0,1]
	s_wait_dscnt 0x0
	v_pk_mul_f32 v[108:109], v[104:105], v[96:97] op_sel:[0,1]
	s_delay_alu instid0(VALU_DEP_1) | instskip(SKIP_2) | instid1(VALU_DEP_2)
	v_pk_fma_f32 v[110:111], v[104:105], v[94:95], v[108:109] op_sel:[0,0,1] op_sel_hi:[1,1,0] neg_lo:[0,0,1] neg_hi:[0,0,1]
	v_pk_fma_f32 v[104:105], v[104:105], v[94:95], v[108:109] op_sel:[0,0,1] op_sel_hi:[1,0,0]
	v_dual_mul_f32 v108, v107, v97 :: v_dual_mov_b32 v104, v107
	v_dual_mov_b32 v111, v105 :: v_dual_mov_b32 v105, v106
	s_delay_alu instid0(VALU_DEP_2) | instskip(SKIP_1) | instid1(VALU_DEP_3)
	v_pk_fma_f32 v[108:109], v[106:107], v[22:23], v[108:109] op_sel_hi:[1,1,0] neg_lo:[0,0,1] neg_hi:[0,0,1]
	v_mul_f32_e32 v106, v107, v94
	v_pk_add_f32 v[52:53], v[52:53], v[110:111] neg_lo:[0,1] neg_hi:[0,1]
	s_delay_alu instid0(VALU_DEP_2) | instskip(NEXT) | instid1(VALU_DEP_1)
	v_pk_fma_f32 v[104:105], v[104:105], v[22:23], v[106:107] op_sel_hi:[1,1,0]
	v_mov_b32_e32 v109, v105
	ds_load_2addr_b64 v[104:107], v98 offset0:28 offset1:29
	v_pk_add_f32 v[12:13], v[12:13], v[108:109] neg_lo:[0,1] neg_hi:[0,1]
	s_wait_dscnt 0x0
	v_pk_mul_f32 v[108:109], v[104:105], v[96:97] op_sel:[0,1]
	s_delay_alu instid0(VALU_DEP_1) | instskip(SKIP_1) | instid1(VALU_DEP_1)
	v_pk_fma_f32 v[110:111], v[104:105], v[94:95], v[108:109] op_sel:[0,0,1] op_sel_hi:[1,1,0] neg_lo:[0,0,1] neg_hi:[0,0,1]
	v_pk_fma_f32 v[104:105], v[104:105], v[94:95], v[108:109] op_sel:[0,0,1] op_sel_hi:[1,0,0]
	v_mov_b32_e32 v111, v105
	v_pk_mul_f32 v[104:105], v[106:107], v[96:97] op_sel:[0,1]
	s_delay_alu instid0(VALU_DEP_1) | instskip(SKIP_1) | instid1(VALU_DEP_1)
	v_pk_fma_f32 v[108:109], v[106:107], v[94:95], v[104:105] op_sel:[0,0,1] op_sel_hi:[1,1,0] neg_lo:[0,0,1] neg_hi:[0,0,1]
	v_pk_fma_f32 v[104:105], v[106:107], v[94:95], v[104:105] op_sel:[0,0,1] op_sel_hi:[1,0,0]
	v_mov_b32_e32 v109, v105
	ds_load_2addr_b64 v[104:107], v98 offset0:30 offset1:31
	v_pk_add_f32 v[46:47], v[46:47], v[110:111] neg_lo:[0,1] neg_hi:[0,1]
	v_pk_add_f32 v[42:43], v[42:43], v[108:109] neg_lo:[0,1] neg_hi:[0,1]
	s_wait_dscnt 0x0
	v_pk_mul_f32 v[108:109], v[104:105], v[96:97] op_sel:[0,1]
	s_delay_alu instid0(VALU_DEP_1) | instskip(SKIP_1) | instid1(VALU_DEP_1)
	v_pk_fma_f32 v[110:111], v[104:105], v[94:95], v[108:109] op_sel:[0,0,1] op_sel_hi:[1,1,0] neg_lo:[0,0,1] neg_hi:[0,0,1]
	v_pk_fma_f32 v[104:105], v[104:105], v[94:95], v[108:109] op_sel:[0,0,1] op_sel_hi:[1,0,0]
	v_mov_b32_e32 v111, v105
	v_pk_mul_f32 v[104:105], v[106:107], v[96:97] op_sel:[0,1]
	s_delay_alu instid0(VALU_DEP_1) | instskip(SKIP_1) | instid1(VALU_DEP_1)
	v_pk_fma_f32 v[108:109], v[106:107], v[94:95], v[104:105] op_sel:[0,0,1] op_sel_hi:[1,1,0] neg_lo:[0,0,1] neg_hi:[0,0,1]
	v_pk_fma_f32 v[104:105], v[106:107], v[94:95], v[104:105] op_sel:[0,0,1] op_sel_hi:[1,0,0]
	v_mov_b32_e32 v109, v105
	ds_load_2addr_b64 v[104:107], v98 offset0:32 offset1:33
	v_pk_add_f32 v[44:45], v[44:45], v[110:111] neg_lo:[0,1] neg_hi:[0,1]
	v_pk_add_f32 v[10:11], v[10:11], v[108:109] neg_lo:[0,1] neg_hi:[0,1]
	s_wait_dscnt 0x0
	v_dual_mul_f32 v108, v105, v97 :: v_dual_mul_f32 v110, v105, v94
	s_delay_alu instid0(VALU_DEP_1) | instskip(NEXT) | instid1(VALU_DEP_2)
	v_pk_fma_f32 v[108:109], v[104:105], v[22:23], v[108:109] op_sel_hi:[1,1,0] neg_lo:[0,0,1] neg_hi:[0,0,1]
	v_pk_fma_f32 v[104:105], v[104:105], v[22:23], v[110:111] op_sel:[1,0,0] op_sel_hi:[0,1,0]
	s_delay_alu instid0(VALU_DEP_1) | instskip(SKIP_1) | instid1(VALU_DEP_2)
	v_mov_b32_e32 v109, v105
	v_pk_mul_f32 v[104:105], v[106:107], v[96:97] op_sel:[0,1]
	v_pk_add_f32 v[40:41], v[40:41], v[108:109] neg_lo:[0,1] neg_hi:[0,1]
	s_delay_alu instid0(VALU_DEP_2) | instskip(SKIP_1) | instid1(VALU_DEP_1)
	v_pk_fma_f32 v[108:109], v[106:107], v[94:95], v[104:105] op_sel:[0,0,1] op_sel_hi:[1,1,0] neg_lo:[0,0,1] neg_hi:[0,0,1]
	v_pk_fma_f32 v[104:105], v[106:107], v[94:95], v[104:105] op_sel:[0,0,1] op_sel_hi:[1,0,0]
	v_mov_b32_e32 v109, v105
	ds_load_2addr_b64 v[104:107], v98 offset0:34 offset1:35
	v_pk_add_f32 v[36:37], v[36:37], v[108:109] neg_lo:[0,1] neg_hi:[0,1]
	s_wait_dscnt 0x0
	v_pk_mul_f32 v[108:109], v[104:105], v[96:97] op_sel:[0,1]
	s_delay_alu instid0(VALU_DEP_1) | instskip(SKIP_1) | instid1(VALU_DEP_1)
	v_pk_fma_f32 v[110:111], v[104:105], v[94:95], v[108:109] op_sel:[0,0,1] op_sel_hi:[1,1,0] neg_lo:[0,0,1] neg_hi:[0,0,1]
	v_pk_fma_f32 v[104:105], v[104:105], v[94:95], v[108:109] op_sel:[0,0,1] op_sel_hi:[1,0,0]
	v_mov_b32_e32 v111, v105
	v_pk_mul_f32 v[104:105], v[106:107], v[96:97] op_sel:[0,1]
	s_delay_alu instid0(VALU_DEP_2) | instskip(NEXT) | instid1(VALU_DEP_2)
	v_pk_add_f32 v[38:39], v[38:39], v[110:111] neg_lo:[0,1] neg_hi:[0,1]
	v_pk_fma_f32 v[108:109], v[106:107], v[94:95], v[104:105] op_sel:[0,0,1] op_sel_hi:[1,1,0] neg_lo:[0,0,1] neg_hi:[0,0,1]
	v_pk_fma_f32 v[104:105], v[106:107], v[94:95], v[104:105] op_sel:[0,0,1] op_sel_hi:[1,0,0]
	s_delay_alu instid0(VALU_DEP_1) | instskip(SKIP_4) | instid1(VALU_DEP_1)
	v_mov_b32_e32 v109, v105
	ds_load_2addr_b64 v[104:107], v98 offset0:36 offset1:37
	v_pk_add_f32 v[6:7], v[6:7], v[108:109] neg_lo:[0,1] neg_hi:[0,1]
	s_wait_dscnt 0x0
	v_pk_mul_f32 v[108:109], v[104:105], v[96:97] op_sel:[0,1]
	v_pk_fma_f32 v[110:111], v[104:105], v[94:95], v[108:109] op_sel:[0,0,1] op_sel_hi:[1,1,0] neg_lo:[0,0,1] neg_hi:[0,0,1]
	v_pk_fma_f32 v[104:105], v[104:105], v[94:95], v[108:109] op_sel:[0,0,1] op_sel_hi:[1,0,0]
	v_dual_mul_f32 v108, v107, v97 :: v_dual_mov_b32 v104, v107
	s_delay_alu instid0(VALU_DEP_2) | instskip(NEXT) | instid1(VALU_DEP_2)
	v_dual_mov_b32 v111, v105 :: v_dual_mov_b32 v105, v106
	v_pk_fma_f32 v[108:109], v[106:107], v[22:23], v[108:109] op_sel_hi:[1,1,0] neg_lo:[0,0,1] neg_hi:[0,0,1]
	v_mul_f32_e32 v106, v107, v94
	s_delay_alu instid0(VALU_DEP_3) | instskip(NEXT) | instid1(VALU_DEP_2)
	v_pk_add_f32 v[34:35], v[34:35], v[110:111] neg_lo:[0,1] neg_hi:[0,1]
	v_pk_fma_f32 v[104:105], v[104:105], v[22:23], v[106:107] op_sel_hi:[1,1,0]
	s_delay_alu instid0(VALU_DEP_1) | instskip(SKIP_4) | instid1(VALU_DEP_1)
	v_mov_b32_e32 v109, v105
	ds_load_2addr_b64 v[104:107], v98 offset0:38 offset1:39
	v_pk_add_f32 v[30:31], v[30:31], v[108:109] neg_lo:[0,1] neg_hi:[0,1]
	s_wait_dscnt 0x0
	v_pk_mul_f32 v[108:109], v[104:105], v[96:97] op_sel:[0,1]
	v_pk_fma_f32 v[110:111], v[104:105], v[94:95], v[108:109] op_sel:[0,0,1] op_sel_hi:[1,1,0] neg_lo:[0,0,1] neg_hi:[0,0,1]
	v_pk_fma_f32 v[104:105], v[104:105], v[94:95], v[108:109] op_sel:[0,0,1] op_sel_hi:[1,0,0]
	s_delay_alu instid0(VALU_DEP_1) | instskip(SKIP_1) | instid1(VALU_DEP_1)
	v_mov_b32_e32 v111, v105
	v_pk_mul_f32 v[104:105], v[106:107], v[96:97] op_sel:[0,1]
	v_pk_fma_f32 v[108:109], v[106:107], v[94:95], v[104:105] op_sel:[0,0,1] op_sel_hi:[1,1,0] neg_lo:[0,0,1] neg_hi:[0,0,1]
	v_pk_fma_f32 v[104:105], v[106:107], v[94:95], v[104:105] op_sel:[0,0,1] op_sel_hi:[1,0,0]
	s_delay_alu instid0(VALU_DEP_1)
	v_mov_b32_e32 v109, v105
	ds_load_2addr_b64 v[104:107], v98 offset0:40 offset1:41
	v_pk_add_f32 v[32:33], v[32:33], v[110:111] neg_lo:[0,1] neg_hi:[0,1]
	v_pk_add_f32 v[8:9], v[8:9], v[108:109] neg_lo:[0,1] neg_hi:[0,1]
	s_wait_dscnt 0x0
	v_pk_mul_f32 v[108:109], v[104:105], v[96:97] op_sel:[0,1]
	s_delay_alu instid0(VALU_DEP_1) | instskip(SKIP_1) | instid1(VALU_DEP_1)
	v_pk_fma_f32 v[110:111], v[104:105], v[94:95], v[108:109] op_sel:[0,0,1] op_sel_hi:[1,1,0] neg_lo:[0,0,1] neg_hi:[0,0,1]
	v_pk_fma_f32 v[104:105], v[104:105], v[94:95], v[108:109] op_sel:[0,0,1] op_sel_hi:[1,0,0]
	v_mov_b32_e32 v111, v105
	v_pk_mul_f32 v[104:105], v[106:107], v[96:97] op_sel:[0,1]
	s_delay_alu instid0(VALU_DEP_1) | instskip(SKIP_1) | instid1(VALU_DEP_1)
	v_pk_fma_f32 v[108:109], v[106:107], v[94:95], v[104:105] op_sel:[0,0,1] op_sel_hi:[1,1,0] neg_lo:[0,0,1] neg_hi:[0,0,1]
	v_pk_fma_f32 v[104:105], v[106:107], v[94:95], v[104:105] op_sel:[0,0,1] op_sel_hi:[1,0,0]
	v_mov_b32_e32 v109, v105
	ds_load_2addr_b64 v[104:107], v98 offset0:42 offset1:43
	v_pk_add_f32 v[28:29], v[28:29], v[110:111] neg_lo:[0,1] neg_hi:[0,1]
	v_pk_add_f32 v[20:21], v[20:21], v[108:109] neg_lo:[0,1] neg_hi:[0,1]
	s_wait_dscnt 0x0
	v_dual_mul_f32 v108, v105, v97 :: v_dual_mul_f32 v110, v105, v94
	v_pk_mul_f32 v[96:97], v[106:107], v[96:97] op_sel:[0,1]
	s_delay_alu instid0(VALU_DEP_2) | instskip(NEXT) | instid1(VALU_DEP_3)
	v_pk_fma_f32 v[108:109], v[104:105], v[22:23], v[108:109] op_sel_hi:[1,1,0] neg_lo:[0,0,1] neg_hi:[0,0,1]
	v_pk_fma_f32 v[104:105], v[104:105], v[22:23], v[110:111] op_sel:[1,0,0] op_sel_hi:[0,1,0]
	s_delay_alu instid0(VALU_DEP_1) | instskip(NEXT) | instid1(VALU_DEP_4)
	v_mov_b32_e32 v109, v105
	v_pk_fma_f32 v[104:105], v[106:107], v[94:95], v[96:97] op_sel:[0,0,1] op_sel_hi:[1,1,0] neg_lo:[0,0,1] neg_hi:[0,0,1]
	v_pk_fma_f32 v[94:95], v[106:107], v[94:95], v[96:97] op_sel:[0,0,1] op_sel_hi:[1,0,0]
	s_delay_alu instid0(VALU_DEP_1) | instskip(NEXT) | instid1(VALU_DEP_4)
	v_mov_b32_e32 v105, v95
	v_pk_add_f32 v[16:17], v[16:17], v[108:109] neg_lo:[0,1] neg_hi:[0,1]
	s_delay_alu instid0(VALU_DEP_2)
	v_pk_add_f32 v[92:93], v[92:93], v[104:105] neg_lo:[0,1] neg_hi:[0,1]
.LBB86_503:
	s_or_b32 exec_lo, exec_lo, s0
	v_lshl_add_u32 v94, v102, 3, v98
	s_barrier_signal -1
	s_barrier_wait -1
	ds_store_b64 v94, v[54:55]
	s_wait_dscnt 0x0
	s_barrier_signal -1
	s_barrier_wait -1
	ds_load_b64 v[96:97], v98 offset:192
	v_mov_b32_e32 v94, 24
	s_cmp_lt_i32 s18, 26
	s_cbranch_scc1 .LBB86_506
; %bb.504:
	v_add3_u32 v95, v99, 0, 0xc8
	v_mov_b32_e32 v94, 24
	s_mov_b32 s0, 25
.LBB86_505:                             ; =>This Inner Loop Header: Depth=1
	ds_load_b64 v[104:105], v95
	s_wait_dscnt 0x1
	v_cmp_gt_f32_e32 vcc_lo, 0, v96
	v_cndmask_b32_e64 v106, v96, -v96, vcc_lo
	v_cmp_gt_f32_e32 vcc_lo, 0, v97
	v_cndmask_b32_e64 v108, v97, -v97, vcc_lo
	s_wait_dscnt 0x0
	v_cmp_gt_f32_e32 vcc_lo, 0, v104
	v_cndmask_b32_e64 v107, v104, -v104, vcc_lo
	v_cmp_gt_f32_e32 vcc_lo, 0, v105
	v_cndmask_b32_e64 v109, v105, -v105, vcc_lo
	s_delay_alu instid0(VALU_DEP_1) | instskip(NEXT) | instid1(VALU_DEP_1)
	v_pk_add_f32 v[106:107], v[106:107], v[108:109]
	v_cmp_lt_f32_e32 vcc_lo, v106, v107
	v_dual_add_nc_u32 v95, 8, v95 :: v_dual_cndmask_b32 v97, v97, v105, vcc_lo
	v_cndmask_b32_e32 v96, v96, v104, vcc_lo
	v_cndmask_b32_e64 v94, v94, s0, vcc_lo
	s_add_co_i32 s0, s0, 1
	s_delay_alu instid0(SALU_CYCLE_1)
	s_cmp_lg_u32 s18, s0
	s_cbranch_scc1 .LBB86_505
.LBB86_506:
	s_wait_dscnt 0x0
	v_cmp_eq_f32_e32 vcc_lo, 0, v96
	v_cmp_eq_f32_e64 s0, 0, v97
	s_and_b32 s0, vcc_lo, s0
	s_delay_alu instid0(SALU_CYCLE_1) | instskip(NEXT) | instid1(SALU_CYCLE_1)
	s_and_saveexec_b32 s1, s0
	s_xor_b32 s0, exec_lo, s1
; %bb.507:
	v_cmp_ne_u32_e32 vcc_lo, 0, v100
	v_cndmask_b32_e32 v100, 25, v100, vcc_lo
; %bb.508:
	s_and_not1_saveexec_b32 s0, s0
	s_cbranch_execz .LBB86_514
; %bb.509:
	v_cmp_ngt_f32_e64 s1, |v96|, |v97|
	s_and_saveexec_b32 s12, s1
	s_delay_alu instid0(SALU_CYCLE_1)
	s_xor_b32 s1, exec_lo, s12
	s_cbranch_execz .LBB86_511
; %bb.510:
	v_div_scale_f32 v95, null, v97, v97, v96
	v_div_scale_f32 v105, vcc_lo, v96, v97, v96
	s_delay_alu instid0(VALU_DEP_2) | instskip(SKIP_1) | instid1(TRANS32_DEP_1)
	v_rcp_f32_e32 v103, v95
	v_nop
	v_fma_f32 v104, -v95, v103, 1.0
	s_delay_alu instid0(VALU_DEP_1) | instskip(NEXT) | instid1(VALU_DEP_1)
	v_fmac_f32_e32 v103, v104, v103
	v_mul_f32_e32 v104, v105, v103
	s_delay_alu instid0(VALU_DEP_1) | instskip(NEXT) | instid1(VALU_DEP_1)
	v_fma_f32 v106, -v95, v104, v105
	v_fmac_f32_e32 v104, v106, v103
	s_delay_alu instid0(VALU_DEP_1) | instskip(NEXT) | instid1(VALU_DEP_1)
	v_fma_f32 v95, -v95, v104, v105
	v_div_fmas_f32 v95, v95, v103, v104
	s_delay_alu instid0(VALU_DEP_1) | instskip(NEXT) | instid1(VALU_DEP_1)
	v_div_fixup_f32 v95, v95, v97, v96
	v_fmac_f32_e32 v97, v96, v95
	s_delay_alu instid0(VALU_DEP_1) | instskip(SKIP_1) | instid1(VALU_DEP_2)
	v_div_scale_f32 v96, null, v97, v97, 1.0
	v_div_scale_f32 v105, vcc_lo, 1.0, v97, 1.0
	v_rcp_f32_e32 v103, v96
	v_nop
	s_delay_alu instid0(TRANS32_DEP_1) | instskip(NEXT) | instid1(VALU_DEP_1)
	v_fma_f32 v104, -v96, v103, 1.0
	v_fmac_f32_e32 v103, v104, v103
	s_delay_alu instid0(VALU_DEP_1) | instskip(NEXT) | instid1(VALU_DEP_1)
	v_mul_f32_e32 v104, v105, v103
	v_fma_f32 v106, -v96, v104, v105
	s_delay_alu instid0(VALU_DEP_1) | instskip(NEXT) | instid1(VALU_DEP_1)
	v_fmac_f32_e32 v104, v106, v103
	v_fma_f32 v96, -v96, v104, v105
	s_delay_alu instid0(VALU_DEP_1) | instskip(NEXT) | instid1(VALU_DEP_1)
	v_div_fmas_f32 v96, v96, v103, v104
	v_div_fixup_f32 v97, v96, v97, 1.0
	s_delay_alu instid0(VALU_DEP_1)
	v_mul_f32_e32 v96, v95, v97
	v_xor_b32_e32 v97, 0x80000000, v97
.LBB86_511:
	s_and_not1_saveexec_b32 s1, s1
	s_cbranch_execz .LBB86_513
; %bb.512:
	s_delay_alu instid0(VALU_DEP_1) | instskip(SKIP_1) | instid1(VALU_DEP_2)
	v_div_scale_f32 v95, null, v96, v96, v97
	v_div_scale_f32 v105, vcc_lo, v97, v96, v97
	v_rcp_f32_e32 v103, v95
	v_nop
	s_delay_alu instid0(TRANS32_DEP_1) | instskip(NEXT) | instid1(VALU_DEP_1)
	v_fma_f32 v104, -v95, v103, 1.0
	v_fmac_f32_e32 v103, v104, v103
	s_delay_alu instid0(VALU_DEP_1) | instskip(NEXT) | instid1(VALU_DEP_1)
	v_mul_f32_e32 v104, v105, v103
	v_fma_f32 v106, -v95, v104, v105
	s_delay_alu instid0(VALU_DEP_1) | instskip(NEXT) | instid1(VALU_DEP_1)
	v_fmac_f32_e32 v104, v106, v103
	v_fma_f32 v95, -v95, v104, v105
	s_delay_alu instid0(VALU_DEP_1) | instskip(NEXT) | instid1(VALU_DEP_1)
	v_div_fmas_f32 v95, v95, v103, v104
	v_div_fixup_f32 v95, v95, v96, v97
	s_delay_alu instid0(VALU_DEP_1) | instskip(NEXT) | instid1(VALU_DEP_1)
	v_fmac_f32_e32 v96, v97, v95
	v_div_scale_f32 v97, null, v96, v96, 1.0
	s_delay_alu instid0(VALU_DEP_1) | instskip(SKIP_1) | instid1(TRANS32_DEP_1)
	v_rcp_f32_e32 v103, v97
	v_nop
	v_fma_f32 v104, -v97, v103, 1.0
	s_delay_alu instid0(VALU_DEP_1) | instskip(SKIP_1) | instid1(VALU_DEP_1)
	v_fmac_f32_e32 v103, v104, v103
	v_div_scale_f32 v104, vcc_lo, 1.0, v96, 1.0
	v_mul_f32_e32 v105, v104, v103
	s_delay_alu instid0(VALU_DEP_1) | instskip(NEXT) | instid1(VALU_DEP_1)
	v_fma_f32 v106, -v97, v105, v104
	v_fmac_f32_e32 v105, v106, v103
	s_delay_alu instid0(VALU_DEP_1) | instskip(NEXT) | instid1(VALU_DEP_1)
	v_fma_f32 v97, -v97, v105, v104
	v_div_fmas_f32 v97, v97, v103, v105
	s_delay_alu instid0(VALU_DEP_1) | instskip(NEXT) | instid1(VALU_DEP_1)
	v_div_fixup_f32 v96, v97, v96, 1.0
	v_mul_f32_e64 v97, v95, -v96
.LBB86_513:
	s_or_b32 exec_lo, exec_lo, s1
.LBB86_514:
	s_delay_alu instid0(SALU_CYCLE_1) | instskip(NEXT) | instid1(SALU_CYCLE_1)
	s_or_b32 exec_lo, exec_lo, s0
	s_mov_b32 s0, exec_lo
	v_cmpx_ne_u32_e64 v102, v94
	s_xor_b32 s0, exec_lo, s0
	s_cbranch_execz .LBB86_520
; %bb.515:
	s_mov_b32 s1, exec_lo
	v_cmpx_eq_u32_e32 24, v102
	s_cbranch_execz .LBB86_519
; %bb.516:
	v_cmp_ne_u32_e32 vcc_lo, 24, v94
	s_xor_b32 s12, s16, -1
	s_delay_alu instid0(SALU_CYCLE_1) | instskip(NEXT) | instid1(SALU_CYCLE_1)
	s_and_b32 s13, s12, vcc_lo
	s_and_saveexec_b32 s12, s13
	s_cbranch_execz .LBB86_518
; %bb.517:
	v_ashrrev_i32_e32 v95, 31, v94
	s_delay_alu instid0(VALU_DEP_1)
	v_lshl_add_u64 v[102:103], v[94:95], 2, v[4:5]
	s_clause 0x1
	global_load_b32 v95, v[102:103], off
	global_load_b32 v101, v[4:5], off offset:96
	s_wait_loadcnt 0x1
	global_store_b32 v[4:5], v95, off offset:96
	s_wait_loadcnt 0x0
	global_store_b32 v[102:103], v101, off
.LBB86_518:
	s_wait_xcnt 0x0
	s_or_b32 exec_lo, exec_lo, s12
	v_dual_mov_b32 v102, v94 :: v_dual_mov_b32 v101, v94
.LBB86_519:
	s_or_b32 exec_lo, exec_lo, s1
.LBB86_520:
	s_and_not1_saveexec_b32 s0, s0
	s_cbranch_execz .LBB86_522
; %bb.521:
	v_mov_b32_e32 v102, 24
	ds_store_2addr_b64 v98, v[48:49], v[52:53] offset0:25 offset1:26
	ds_store_2addr_b64 v98, v[12:13], v[46:47] offset0:27 offset1:28
	;; [unrolled: 1-line block ×9, first 2 shown]
	ds_store_b64 v98, v[92:93] offset:344
.LBB86_522:
	s_or_b32 exec_lo, exec_lo, s0
	s_delay_alu instid0(SALU_CYCLE_1)
	s_mov_b32 s0, exec_lo
	s_wait_storecnt_dscnt 0x0
	s_barrier_signal -1
	s_barrier_wait -1
	v_cmpx_lt_i32_e32 24, v102
	s_cbranch_execz .LBB86_524
; %bb.523:
	v_pk_mul_f32 v[104:105], v[96:97], v[54:55] op_sel:[1,1] op_sel_hi:[0,1]
	s_delay_alu instid0(VALU_DEP_1)
	v_pk_fma_f32 v[94:95], v[96:97], v[54:55], v[104:105] op_sel_hi:[1,0,1] neg_lo:[0,0,1] neg_hi:[0,0,1]
	v_pk_fma_f32 v[96:97], v[96:97], v[54:55], v[104:105] op_sel_hi:[1,0,1]
	ds_load_2addr_b64 v[104:107], v98 offset0:25 offset1:26
	v_dual_mov_b32 v54, v94 :: v_dual_mov_b32 v55, v97
	s_wait_dscnt 0x0
	v_pk_mul_f32 v[108:109], v[104:105], v[96:97] op_sel:[0,1]
	s_delay_alu instid0(VALU_DEP_1) | instskip(SKIP_1) | instid1(VALU_DEP_1)
	v_pk_fma_f32 v[110:111], v[104:105], v[94:95], v[108:109] op_sel:[0,0,1] op_sel_hi:[1,1,0] neg_lo:[0,0,1] neg_hi:[0,0,1]
	v_pk_fma_f32 v[104:105], v[104:105], v[94:95], v[108:109] op_sel:[0,0,1] op_sel_hi:[1,0,0]
	v_mov_b32_e32 v111, v105
	v_pk_mul_f32 v[104:105], v[106:107], v[96:97] op_sel:[0,1]
	s_delay_alu instid0(VALU_DEP_1) | instskip(SKIP_1) | instid1(VALU_DEP_1)
	v_pk_fma_f32 v[108:109], v[106:107], v[94:95], v[104:105] op_sel:[0,0,1] op_sel_hi:[1,1,0] neg_lo:[0,0,1] neg_hi:[0,0,1]
	v_pk_fma_f32 v[104:105], v[106:107], v[94:95], v[104:105] op_sel:[0,0,1] op_sel_hi:[1,0,0]
	v_mov_b32_e32 v109, v105
	ds_load_2addr_b64 v[104:107], v98 offset0:27 offset1:28
	v_pk_add_f32 v[48:49], v[48:49], v[110:111] neg_lo:[0,1] neg_hi:[0,1]
	v_pk_add_f32 v[52:53], v[52:53], v[108:109] neg_lo:[0,1] neg_hi:[0,1]
	s_wait_dscnt 0x0
	v_pk_mul_f32 v[108:109], v[104:105], v[96:97] op_sel:[0,1]
	s_delay_alu instid0(VALU_DEP_1) | instskip(SKIP_2) | instid1(VALU_DEP_2)
	v_pk_fma_f32 v[110:111], v[104:105], v[94:95], v[108:109] op_sel:[0,0,1] op_sel_hi:[1,1,0] neg_lo:[0,0,1] neg_hi:[0,0,1]
	v_pk_fma_f32 v[104:105], v[104:105], v[94:95], v[108:109] op_sel:[0,0,1] op_sel_hi:[1,0,0]
	v_dual_mul_f32 v108, v107, v97 :: v_dual_mov_b32 v104, v107
	v_dual_mov_b32 v111, v105 :: v_dual_mov_b32 v105, v106
	s_delay_alu instid0(VALU_DEP_2) | instskip(SKIP_1) | instid1(VALU_DEP_3)
	v_pk_fma_f32 v[108:109], v[106:107], v[54:55], v[108:109] op_sel_hi:[1,1,0] neg_lo:[0,0,1] neg_hi:[0,0,1]
	v_mul_f32_e32 v106, v107, v94
	v_pk_add_f32 v[12:13], v[12:13], v[110:111] neg_lo:[0,1] neg_hi:[0,1]
	s_delay_alu instid0(VALU_DEP_2) | instskip(NEXT) | instid1(VALU_DEP_1)
	v_pk_fma_f32 v[104:105], v[104:105], v[54:55], v[106:107] op_sel_hi:[1,1,0]
	v_mov_b32_e32 v109, v105
	ds_load_2addr_b64 v[104:107], v98 offset0:29 offset1:30
	v_pk_add_f32 v[46:47], v[46:47], v[108:109] neg_lo:[0,1] neg_hi:[0,1]
	s_wait_dscnt 0x0
	v_pk_mul_f32 v[108:109], v[104:105], v[96:97] op_sel:[0,1]
	s_delay_alu instid0(VALU_DEP_1) | instskip(SKIP_1) | instid1(VALU_DEP_1)
	v_pk_fma_f32 v[110:111], v[104:105], v[94:95], v[108:109] op_sel:[0,0,1] op_sel_hi:[1,1,0] neg_lo:[0,0,1] neg_hi:[0,0,1]
	v_pk_fma_f32 v[104:105], v[104:105], v[94:95], v[108:109] op_sel:[0,0,1] op_sel_hi:[1,0,0]
	v_mov_b32_e32 v111, v105
	v_pk_mul_f32 v[104:105], v[106:107], v[96:97] op_sel:[0,1]
	s_delay_alu instid0(VALU_DEP_1) | instskip(SKIP_1) | instid1(VALU_DEP_1)
	v_pk_fma_f32 v[108:109], v[106:107], v[94:95], v[104:105] op_sel:[0,0,1] op_sel_hi:[1,1,0] neg_lo:[0,0,1] neg_hi:[0,0,1]
	v_pk_fma_f32 v[104:105], v[106:107], v[94:95], v[104:105] op_sel:[0,0,1] op_sel_hi:[1,0,0]
	v_mov_b32_e32 v109, v105
	ds_load_2addr_b64 v[104:107], v98 offset0:31 offset1:32
	v_pk_add_f32 v[42:43], v[42:43], v[110:111] neg_lo:[0,1] neg_hi:[0,1]
	v_pk_add_f32 v[44:45], v[44:45], v[108:109] neg_lo:[0,1] neg_hi:[0,1]
	s_wait_dscnt 0x0
	v_pk_mul_f32 v[108:109], v[104:105], v[96:97] op_sel:[0,1]
	s_delay_alu instid0(VALU_DEP_1) | instskip(SKIP_1) | instid1(VALU_DEP_1)
	v_pk_fma_f32 v[110:111], v[104:105], v[94:95], v[108:109] op_sel:[0,0,1] op_sel_hi:[1,1,0] neg_lo:[0,0,1] neg_hi:[0,0,1]
	v_pk_fma_f32 v[104:105], v[104:105], v[94:95], v[108:109] op_sel:[0,0,1] op_sel_hi:[1,0,0]
	v_mov_b32_e32 v111, v105
	v_pk_mul_f32 v[104:105], v[106:107], v[96:97] op_sel:[0,1]
	s_delay_alu instid0(VALU_DEP_1) | instskip(SKIP_1) | instid1(VALU_DEP_1)
	v_pk_fma_f32 v[108:109], v[106:107], v[94:95], v[104:105] op_sel:[0,0,1] op_sel_hi:[1,1,0] neg_lo:[0,0,1] neg_hi:[0,0,1]
	v_pk_fma_f32 v[104:105], v[106:107], v[94:95], v[104:105] op_sel:[0,0,1] op_sel_hi:[1,0,0]
	v_mov_b32_e32 v109, v105
	ds_load_2addr_b64 v[104:107], v98 offset0:33 offset1:34
	v_pk_add_f32 v[10:11], v[10:11], v[110:111] neg_lo:[0,1] neg_hi:[0,1]
	v_pk_add_f32 v[40:41], v[40:41], v[108:109] neg_lo:[0,1] neg_hi:[0,1]
	s_wait_dscnt 0x0
	v_dual_mul_f32 v108, v105, v97 :: v_dual_mul_f32 v110, v105, v94
	s_delay_alu instid0(VALU_DEP_1) | instskip(NEXT) | instid1(VALU_DEP_2)
	v_pk_fma_f32 v[108:109], v[104:105], v[54:55], v[108:109] op_sel_hi:[1,1,0] neg_lo:[0,0,1] neg_hi:[0,0,1]
	v_pk_fma_f32 v[104:105], v[104:105], v[54:55], v[110:111] op_sel:[1,0,0] op_sel_hi:[0,1,0]
	s_delay_alu instid0(VALU_DEP_1) | instskip(SKIP_1) | instid1(VALU_DEP_2)
	v_mov_b32_e32 v109, v105
	v_pk_mul_f32 v[104:105], v[106:107], v[96:97] op_sel:[0,1]
	v_pk_add_f32 v[36:37], v[36:37], v[108:109] neg_lo:[0,1] neg_hi:[0,1]
	s_delay_alu instid0(VALU_DEP_2) | instskip(SKIP_1) | instid1(VALU_DEP_1)
	v_pk_fma_f32 v[108:109], v[106:107], v[94:95], v[104:105] op_sel:[0,0,1] op_sel_hi:[1,1,0] neg_lo:[0,0,1] neg_hi:[0,0,1]
	v_pk_fma_f32 v[104:105], v[106:107], v[94:95], v[104:105] op_sel:[0,0,1] op_sel_hi:[1,0,0]
	v_mov_b32_e32 v109, v105
	ds_load_2addr_b64 v[104:107], v98 offset0:35 offset1:36
	v_pk_add_f32 v[38:39], v[38:39], v[108:109] neg_lo:[0,1] neg_hi:[0,1]
	s_wait_dscnt 0x0
	v_pk_mul_f32 v[108:109], v[104:105], v[96:97] op_sel:[0,1]
	s_delay_alu instid0(VALU_DEP_1) | instskip(SKIP_1) | instid1(VALU_DEP_1)
	v_pk_fma_f32 v[110:111], v[104:105], v[94:95], v[108:109] op_sel:[0,0,1] op_sel_hi:[1,1,0] neg_lo:[0,0,1] neg_hi:[0,0,1]
	v_pk_fma_f32 v[104:105], v[104:105], v[94:95], v[108:109] op_sel:[0,0,1] op_sel_hi:[1,0,0]
	v_mov_b32_e32 v111, v105
	v_pk_mul_f32 v[104:105], v[106:107], v[96:97] op_sel:[0,1]
	s_delay_alu instid0(VALU_DEP_2) | instskip(NEXT) | instid1(VALU_DEP_2)
	v_pk_add_f32 v[6:7], v[6:7], v[110:111] neg_lo:[0,1] neg_hi:[0,1]
	v_pk_fma_f32 v[108:109], v[106:107], v[94:95], v[104:105] op_sel:[0,0,1] op_sel_hi:[1,1,0] neg_lo:[0,0,1] neg_hi:[0,0,1]
	v_pk_fma_f32 v[104:105], v[106:107], v[94:95], v[104:105] op_sel:[0,0,1] op_sel_hi:[1,0,0]
	s_delay_alu instid0(VALU_DEP_1) | instskip(SKIP_4) | instid1(VALU_DEP_1)
	v_mov_b32_e32 v109, v105
	ds_load_2addr_b64 v[104:107], v98 offset0:37 offset1:38
	v_pk_add_f32 v[34:35], v[34:35], v[108:109] neg_lo:[0,1] neg_hi:[0,1]
	s_wait_dscnt 0x0
	v_pk_mul_f32 v[108:109], v[104:105], v[96:97] op_sel:[0,1]
	v_pk_fma_f32 v[110:111], v[104:105], v[94:95], v[108:109] op_sel:[0,0,1] op_sel_hi:[1,1,0] neg_lo:[0,0,1] neg_hi:[0,0,1]
	v_pk_fma_f32 v[104:105], v[104:105], v[94:95], v[108:109] op_sel:[0,0,1] op_sel_hi:[1,0,0]
	v_dual_mul_f32 v108, v107, v97 :: v_dual_mov_b32 v104, v107
	s_delay_alu instid0(VALU_DEP_2) | instskip(NEXT) | instid1(VALU_DEP_2)
	v_dual_mov_b32 v111, v105 :: v_dual_mov_b32 v105, v106
	v_pk_fma_f32 v[108:109], v[106:107], v[54:55], v[108:109] op_sel_hi:[1,1,0] neg_lo:[0,0,1] neg_hi:[0,0,1]
	v_mul_f32_e32 v106, v107, v94
	s_delay_alu instid0(VALU_DEP_3) | instskip(NEXT) | instid1(VALU_DEP_2)
	v_pk_add_f32 v[30:31], v[30:31], v[110:111] neg_lo:[0,1] neg_hi:[0,1]
	v_pk_fma_f32 v[104:105], v[104:105], v[54:55], v[106:107] op_sel_hi:[1,1,0]
	s_delay_alu instid0(VALU_DEP_1) | instskip(SKIP_4) | instid1(VALU_DEP_1)
	v_mov_b32_e32 v109, v105
	ds_load_2addr_b64 v[104:107], v98 offset0:39 offset1:40
	v_pk_add_f32 v[32:33], v[32:33], v[108:109] neg_lo:[0,1] neg_hi:[0,1]
	s_wait_dscnt 0x0
	v_pk_mul_f32 v[108:109], v[104:105], v[96:97] op_sel:[0,1]
	v_pk_fma_f32 v[110:111], v[104:105], v[94:95], v[108:109] op_sel:[0,0,1] op_sel_hi:[1,1,0] neg_lo:[0,0,1] neg_hi:[0,0,1]
	v_pk_fma_f32 v[104:105], v[104:105], v[94:95], v[108:109] op_sel:[0,0,1] op_sel_hi:[1,0,0]
	s_delay_alu instid0(VALU_DEP_1) | instskip(SKIP_1) | instid1(VALU_DEP_1)
	v_mov_b32_e32 v111, v105
	v_pk_mul_f32 v[104:105], v[106:107], v[96:97] op_sel:[0,1]
	v_pk_fma_f32 v[108:109], v[106:107], v[94:95], v[104:105] op_sel:[0,0,1] op_sel_hi:[1,1,0] neg_lo:[0,0,1] neg_hi:[0,0,1]
	v_pk_fma_f32 v[104:105], v[106:107], v[94:95], v[104:105] op_sel:[0,0,1] op_sel_hi:[1,0,0]
	s_delay_alu instid0(VALU_DEP_1)
	v_mov_b32_e32 v109, v105
	ds_load_2addr_b64 v[104:107], v98 offset0:41 offset1:42
	v_pk_add_f32 v[8:9], v[8:9], v[110:111] neg_lo:[0,1] neg_hi:[0,1]
	v_pk_add_f32 v[28:29], v[28:29], v[108:109] neg_lo:[0,1] neg_hi:[0,1]
	s_wait_dscnt 0x0
	v_pk_mul_f32 v[108:109], v[104:105], v[96:97] op_sel:[0,1]
	s_delay_alu instid0(VALU_DEP_1) | instskip(SKIP_1) | instid1(VALU_DEP_1)
	v_pk_fma_f32 v[110:111], v[104:105], v[94:95], v[108:109] op_sel:[0,0,1] op_sel_hi:[1,1,0] neg_lo:[0,0,1] neg_hi:[0,0,1]
	v_pk_fma_f32 v[104:105], v[104:105], v[94:95], v[108:109] op_sel:[0,0,1] op_sel_hi:[1,0,0]
	v_mov_b32_e32 v111, v105
	v_pk_mul_f32 v[104:105], v[106:107], v[96:97] op_sel:[0,1]
	s_delay_alu instid0(VALU_DEP_1) | instskip(SKIP_1) | instid1(VALU_DEP_1)
	v_pk_fma_f32 v[108:109], v[106:107], v[94:95], v[104:105] op_sel:[0,0,1] op_sel_hi:[1,1,0] neg_lo:[0,0,1] neg_hi:[0,0,1]
	v_pk_fma_f32 v[104:105], v[106:107], v[94:95], v[104:105] op_sel:[0,0,1] op_sel_hi:[1,0,0]
	v_mov_b32_e32 v109, v105
	ds_load_b64 v[104:105], v98 offset:344
	v_pk_add_f32 v[20:21], v[20:21], v[110:111] neg_lo:[0,1] neg_hi:[0,1]
	v_pk_add_f32 v[16:17], v[16:17], v[108:109] neg_lo:[0,1] neg_hi:[0,1]
	s_wait_dscnt 0x0
	v_pk_mul_f32 v[96:97], v[104:105], v[96:97] op_sel:[0,1]
	s_delay_alu instid0(VALU_DEP_1) | instskip(SKIP_1) | instid1(VALU_DEP_1)
	v_pk_fma_f32 v[106:107], v[104:105], v[94:95], v[96:97] op_sel:[0,0,1] op_sel_hi:[1,1,0] neg_lo:[0,0,1] neg_hi:[0,0,1]
	v_pk_fma_f32 v[94:95], v[104:105], v[94:95], v[96:97] op_sel:[0,0,1] op_sel_hi:[1,0,0]
	v_mov_b32_e32 v107, v95
	s_delay_alu instid0(VALU_DEP_1)
	v_pk_add_f32 v[92:93], v[92:93], v[106:107] neg_lo:[0,1] neg_hi:[0,1]
.LBB86_524:
	s_or_b32 exec_lo, exec_lo, s0
	v_lshl_add_u32 v94, v102, 3, v98
	s_barrier_signal -1
	s_barrier_wait -1
	ds_store_b64 v94, v[48:49]
	s_wait_dscnt 0x0
	s_barrier_signal -1
	s_barrier_wait -1
	ds_load_b64 v[94:95], v98 offset:200
	v_mov_b32_e32 v96, 25
	s_cmp_lt_i32 s18, 27
	s_cbranch_scc1 .LBB86_527
; %bb.525:
	v_add3_u32 v97, v99, 0, 0xd0
	v_mov_b32_e32 v96, 25
	s_mov_b32 s0, 26
.LBB86_526:                             ; =>This Inner Loop Header: Depth=1
	ds_load_b64 v[104:105], v97
	s_wait_dscnt 0x1
	v_cmp_gt_f32_e32 vcc_lo, 0, v94
	v_cndmask_b32_e64 v106, v94, -v94, vcc_lo
	v_cmp_gt_f32_e32 vcc_lo, 0, v95
	v_cndmask_b32_e64 v108, v95, -v95, vcc_lo
	s_wait_dscnt 0x0
	v_cmp_gt_f32_e32 vcc_lo, 0, v104
	v_cndmask_b32_e64 v107, v104, -v104, vcc_lo
	v_cmp_gt_f32_e32 vcc_lo, 0, v105
	v_cndmask_b32_e64 v109, v105, -v105, vcc_lo
	s_delay_alu instid0(VALU_DEP_1) | instskip(NEXT) | instid1(VALU_DEP_1)
	v_pk_add_f32 v[106:107], v[106:107], v[108:109]
	v_cmp_lt_f32_e32 vcc_lo, v106, v107
	v_dual_cndmask_b32 v94, v94, v104 :: v_dual_add_nc_u32 v97, 8, v97
	v_cndmask_b32_e32 v95, v95, v105, vcc_lo
	v_cndmask_b32_e64 v96, v96, s0, vcc_lo
	s_add_co_i32 s0, s0, 1
	s_delay_alu instid0(SALU_CYCLE_1)
	s_cmp_lg_u32 s18, s0
	s_cbranch_scc1 .LBB86_526
.LBB86_527:
	s_wait_dscnt 0x0
	v_cmp_eq_f32_e32 vcc_lo, 0, v94
	v_cmp_eq_f32_e64 s0, 0, v95
	s_and_b32 s0, vcc_lo, s0
	s_delay_alu instid0(SALU_CYCLE_1) | instskip(NEXT) | instid1(SALU_CYCLE_1)
	s_and_saveexec_b32 s1, s0
	s_xor_b32 s0, exec_lo, s1
; %bb.528:
	v_cmp_ne_u32_e32 vcc_lo, 0, v100
	v_cndmask_b32_e32 v100, 26, v100, vcc_lo
; %bb.529:
	s_and_not1_saveexec_b32 s0, s0
	s_cbranch_execz .LBB86_535
; %bb.530:
	v_cmp_ngt_f32_e64 s1, |v94|, |v95|
	s_and_saveexec_b32 s12, s1
	s_delay_alu instid0(SALU_CYCLE_1)
	s_xor_b32 s1, exec_lo, s12
	s_cbranch_execz .LBB86_532
; %bb.531:
	v_div_scale_f32 v97, null, v95, v95, v94
	v_div_scale_f32 v105, vcc_lo, v94, v95, v94
	s_delay_alu instid0(VALU_DEP_2) | instskip(SKIP_1) | instid1(TRANS32_DEP_1)
	v_rcp_f32_e32 v103, v97
	v_nop
	v_fma_f32 v104, -v97, v103, 1.0
	s_delay_alu instid0(VALU_DEP_1) | instskip(NEXT) | instid1(VALU_DEP_1)
	v_fmac_f32_e32 v103, v104, v103
	v_mul_f32_e32 v104, v105, v103
	s_delay_alu instid0(VALU_DEP_1) | instskip(NEXT) | instid1(VALU_DEP_1)
	v_fma_f32 v106, -v97, v104, v105
	v_fmac_f32_e32 v104, v106, v103
	s_delay_alu instid0(VALU_DEP_1) | instskip(NEXT) | instid1(VALU_DEP_1)
	v_fma_f32 v97, -v97, v104, v105
	v_div_fmas_f32 v97, v97, v103, v104
	s_delay_alu instid0(VALU_DEP_1) | instskip(NEXT) | instid1(VALU_DEP_1)
	v_div_fixup_f32 v97, v97, v95, v94
	v_fmac_f32_e32 v95, v94, v97
	s_delay_alu instid0(VALU_DEP_1) | instskip(SKIP_1) | instid1(VALU_DEP_2)
	v_div_scale_f32 v94, null, v95, v95, 1.0
	v_div_scale_f32 v105, vcc_lo, 1.0, v95, 1.0
	v_rcp_f32_e32 v103, v94
	v_nop
	s_delay_alu instid0(TRANS32_DEP_1) | instskip(NEXT) | instid1(VALU_DEP_1)
	v_fma_f32 v104, -v94, v103, 1.0
	v_fmac_f32_e32 v103, v104, v103
	s_delay_alu instid0(VALU_DEP_1) | instskip(NEXT) | instid1(VALU_DEP_1)
	v_mul_f32_e32 v104, v105, v103
	v_fma_f32 v106, -v94, v104, v105
	s_delay_alu instid0(VALU_DEP_1) | instskip(NEXT) | instid1(VALU_DEP_1)
	v_fmac_f32_e32 v104, v106, v103
	v_fma_f32 v94, -v94, v104, v105
	s_delay_alu instid0(VALU_DEP_1) | instskip(NEXT) | instid1(VALU_DEP_1)
	v_div_fmas_f32 v94, v94, v103, v104
	v_div_fixup_f32 v95, v94, v95, 1.0
	s_delay_alu instid0(VALU_DEP_1)
	v_mul_f32_e32 v94, v97, v95
	v_xor_b32_e32 v95, 0x80000000, v95
.LBB86_532:
	s_and_not1_saveexec_b32 s1, s1
	s_cbranch_execz .LBB86_534
; %bb.533:
	s_delay_alu instid0(VALU_DEP_1) | instskip(SKIP_1) | instid1(VALU_DEP_2)
	v_div_scale_f32 v97, null, v94, v94, v95
	v_div_scale_f32 v105, vcc_lo, v95, v94, v95
	v_rcp_f32_e32 v103, v97
	v_nop
	s_delay_alu instid0(TRANS32_DEP_1) | instskip(NEXT) | instid1(VALU_DEP_1)
	v_fma_f32 v104, -v97, v103, 1.0
	v_fmac_f32_e32 v103, v104, v103
	s_delay_alu instid0(VALU_DEP_1) | instskip(NEXT) | instid1(VALU_DEP_1)
	v_mul_f32_e32 v104, v105, v103
	v_fma_f32 v106, -v97, v104, v105
	s_delay_alu instid0(VALU_DEP_1) | instskip(NEXT) | instid1(VALU_DEP_1)
	v_fmac_f32_e32 v104, v106, v103
	v_fma_f32 v97, -v97, v104, v105
	s_delay_alu instid0(VALU_DEP_1) | instskip(NEXT) | instid1(VALU_DEP_1)
	v_div_fmas_f32 v97, v97, v103, v104
	v_div_fixup_f32 v97, v97, v94, v95
	s_delay_alu instid0(VALU_DEP_1) | instskip(NEXT) | instid1(VALU_DEP_1)
	v_fmac_f32_e32 v94, v95, v97
	v_div_scale_f32 v95, null, v94, v94, 1.0
	s_delay_alu instid0(VALU_DEP_1) | instskip(SKIP_1) | instid1(TRANS32_DEP_1)
	v_rcp_f32_e32 v103, v95
	v_nop
	v_fma_f32 v104, -v95, v103, 1.0
	s_delay_alu instid0(VALU_DEP_1) | instskip(SKIP_1) | instid1(VALU_DEP_1)
	v_fmac_f32_e32 v103, v104, v103
	v_div_scale_f32 v104, vcc_lo, 1.0, v94, 1.0
	v_mul_f32_e32 v105, v104, v103
	s_delay_alu instid0(VALU_DEP_1) | instskip(NEXT) | instid1(VALU_DEP_1)
	v_fma_f32 v106, -v95, v105, v104
	v_fmac_f32_e32 v105, v106, v103
	s_delay_alu instid0(VALU_DEP_1) | instskip(NEXT) | instid1(VALU_DEP_1)
	v_fma_f32 v95, -v95, v105, v104
	v_div_fmas_f32 v95, v95, v103, v105
	s_delay_alu instid0(VALU_DEP_1) | instskip(NEXT) | instid1(VALU_DEP_1)
	v_div_fixup_f32 v94, v95, v94, 1.0
	v_mul_f32_e64 v95, v97, -v94
.LBB86_534:
	s_or_b32 exec_lo, exec_lo, s1
.LBB86_535:
	s_delay_alu instid0(SALU_CYCLE_1) | instskip(NEXT) | instid1(SALU_CYCLE_1)
	s_or_b32 exec_lo, exec_lo, s0
	s_mov_b32 s0, exec_lo
	v_cmpx_ne_u32_e64 v102, v96
	s_xor_b32 s0, exec_lo, s0
	s_cbranch_execz .LBB86_541
; %bb.536:
	s_mov_b32 s1, exec_lo
	v_cmpx_eq_u32_e32 25, v102
	s_cbranch_execz .LBB86_540
; %bb.537:
	v_cmp_ne_u32_e32 vcc_lo, 25, v96
	s_xor_b32 s12, s16, -1
	s_delay_alu instid0(SALU_CYCLE_1) | instskip(NEXT) | instid1(SALU_CYCLE_1)
	s_and_b32 s13, s12, vcc_lo
	s_and_saveexec_b32 s12, s13
	s_cbranch_execz .LBB86_539
; %bb.538:
	v_ashrrev_i32_e32 v97, 31, v96
	s_delay_alu instid0(VALU_DEP_1)
	v_lshl_add_u64 v[102:103], v[96:97], 2, v[4:5]
	s_clause 0x1
	global_load_b32 v97, v[102:103], off
	global_load_b32 v101, v[4:5], off offset:100
	s_wait_loadcnt 0x1
	global_store_b32 v[4:5], v97, off offset:100
	s_wait_loadcnt 0x0
	global_store_b32 v[102:103], v101, off
.LBB86_539:
	s_wait_xcnt 0x0
	s_or_b32 exec_lo, exec_lo, s12
	v_dual_mov_b32 v102, v96 :: v_dual_mov_b32 v101, v96
.LBB86_540:
	s_or_b32 exec_lo, exec_lo, s1
.LBB86_541:
	s_and_not1_saveexec_b32 s0, s0
	s_cbranch_execz .LBB86_543
; %bb.542:
	v_dual_mov_b32 v96, v52 :: v_dual_mov_b32 v97, v53
	v_dual_mov_b32 v102, v12 :: v_dual_mov_b32 v103, v13
	;; [unrolled: 1-line block ×8, first 2 shown]
	ds_store_2addr_b64 v98, v[96:97], v[102:103] offset0:26 offset1:27
	ds_store_2addr_b64 v98, v[104:105], v[106:107] offset0:28 offset1:29
	;; [unrolled: 1-line block ×4, first 2 shown]
	v_dual_mov_b32 v96, v38 :: v_dual_mov_b32 v97, v39
	v_dual_mov_b32 v104, v6 :: v_dual_mov_b32 v105, v7
	v_dual_mov_b32 v102, 25 :: v_dual_mov_b32 v106, v34
	v_dual_mov_b32 v107, v35 :: v_dual_mov_b32 v108, v30
	v_dual_mov_b32 v109, v31 :: v_dual_mov_b32 v110, v32
	v_dual_mov_b32 v111, v33 :: v_dual_mov_b32 v112, v8
	v_dual_mov_b32 v113, v9 :: v_dual_mov_b32 v114, v28
	v_dual_mov_b32 v115, v29 :: v_dual_mov_b32 v116, v20
	v_dual_mov_b32 v117, v21 :: v_dual_mov_b32 v118, v16
	v_mov_b32_e32 v119, v17
	ds_store_2addr_b64 v98, v[96:97], v[104:105] offset0:34 offset1:35
	ds_store_2addr_b64 v98, v[106:107], v[108:109] offset0:36 offset1:37
	;; [unrolled: 1-line block ×5, first 2 shown]
.LBB86_543:
	s_or_b32 exec_lo, exec_lo, s0
	s_delay_alu instid0(SALU_CYCLE_1)
	s_mov_b32 s0, exec_lo
	s_wait_storecnt_dscnt 0x0
	s_barrier_signal -1
	s_barrier_wait -1
	v_cmpx_lt_i32_e32 25, v102
	s_cbranch_execz .LBB86_545
; %bb.544:
	v_pk_mul_f32 v[104:105], v[94:95], v[48:49] op_sel:[1,1] op_sel_hi:[0,1]
	s_delay_alu instid0(VALU_DEP_1)
	v_pk_fma_f32 v[96:97], v[94:95], v[48:49], v[104:105] op_sel_hi:[1,0,1] neg_lo:[0,0,1] neg_hi:[0,0,1]
	v_pk_fma_f32 v[94:95], v[94:95], v[48:49], v[104:105] op_sel_hi:[1,0,1]
	ds_load_2addr_b64 v[104:107], v98 offset0:26 offset1:27
	v_dual_mov_b32 v48, v96 :: v_dual_mov_b32 v49, v95
	s_wait_dscnt 0x0
	v_pk_mul_f32 v[108:109], v[104:105], v[94:95] op_sel:[0,1]
	s_delay_alu instid0(VALU_DEP_1) | instskip(SKIP_1) | instid1(VALU_DEP_1)
	v_pk_fma_f32 v[110:111], v[104:105], v[96:97], v[108:109] op_sel:[0,0,1] op_sel_hi:[1,1,0] neg_lo:[0,0,1] neg_hi:[0,0,1]
	v_pk_fma_f32 v[104:105], v[104:105], v[96:97], v[108:109] op_sel:[0,0,1] op_sel_hi:[1,0,0]
	v_mov_b32_e32 v111, v105
	v_pk_mul_f32 v[104:105], v[106:107], v[94:95] op_sel:[0,1]
	s_delay_alu instid0(VALU_DEP_1) | instskip(SKIP_1) | instid1(VALU_DEP_1)
	v_pk_fma_f32 v[108:109], v[106:107], v[96:97], v[104:105] op_sel:[0,0,1] op_sel_hi:[1,1,0] neg_lo:[0,0,1] neg_hi:[0,0,1]
	v_pk_fma_f32 v[104:105], v[106:107], v[96:97], v[104:105] op_sel:[0,0,1] op_sel_hi:[1,0,0]
	v_mov_b32_e32 v109, v105
	ds_load_2addr_b64 v[104:107], v98 offset0:28 offset1:29
	v_pk_add_f32 v[52:53], v[52:53], v[110:111] neg_lo:[0,1] neg_hi:[0,1]
	v_pk_add_f32 v[12:13], v[12:13], v[108:109] neg_lo:[0,1] neg_hi:[0,1]
	s_wait_dscnt 0x0
	v_pk_mul_f32 v[108:109], v[104:105], v[94:95] op_sel:[0,1]
	s_delay_alu instid0(VALU_DEP_1) | instskip(SKIP_2) | instid1(VALU_DEP_2)
	v_pk_fma_f32 v[110:111], v[104:105], v[96:97], v[108:109] op_sel:[0,0,1] op_sel_hi:[1,1,0] neg_lo:[0,0,1] neg_hi:[0,0,1]
	v_pk_fma_f32 v[104:105], v[104:105], v[96:97], v[108:109] op_sel:[0,0,1] op_sel_hi:[1,0,0]
	v_dual_mul_f32 v108, v107, v95 :: v_dual_mov_b32 v104, v107
	v_dual_mov_b32 v111, v105 :: v_dual_mov_b32 v105, v106
	s_delay_alu instid0(VALU_DEP_2) | instskip(SKIP_1) | instid1(VALU_DEP_3)
	v_pk_fma_f32 v[108:109], v[106:107], v[48:49], v[108:109] op_sel_hi:[1,1,0] neg_lo:[0,0,1] neg_hi:[0,0,1]
	v_mul_f32_e32 v106, v107, v96
	v_pk_add_f32 v[46:47], v[46:47], v[110:111] neg_lo:[0,1] neg_hi:[0,1]
	s_delay_alu instid0(VALU_DEP_2) | instskip(NEXT) | instid1(VALU_DEP_1)
	v_pk_fma_f32 v[104:105], v[104:105], v[48:49], v[106:107] op_sel_hi:[1,1,0]
	v_mov_b32_e32 v109, v105
	ds_load_2addr_b64 v[104:107], v98 offset0:30 offset1:31
	v_pk_add_f32 v[42:43], v[42:43], v[108:109] neg_lo:[0,1] neg_hi:[0,1]
	s_wait_dscnt 0x0
	v_pk_mul_f32 v[108:109], v[104:105], v[94:95] op_sel:[0,1]
	s_delay_alu instid0(VALU_DEP_1) | instskip(SKIP_1) | instid1(VALU_DEP_1)
	v_pk_fma_f32 v[110:111], v[104:105], v[96:97], v[108:109] op_sel:[0,0,1] op_sel_hi:[1,1,0] neg_lo:[0,0,1] neg_hi:[0,0,1]
	v_pk_fma_f32 v[104:105], v[104:105], v[96:97], v[108:109] op_sel:[0,0,1] op_sel_hi:[1,0,0]
	v_mov_b32_e32 v111, v105
	v_pk_mul_f32 v[104:105], v[106:107], v[94:95] op_sel:[0,1]
	s_delay_alu instid0(VALU_DEP_1) | instskip(SKIP_1) | instid1(VALU_DEP_1)
	v_pk_fma_f32 v[108:109], v[106:107], v[96:97], v[104:105] op_sel:[0,0,1] op_sel_hi:[1,1,0] neg_lo:[0,0,1] neg_hi:[0,0,1]
	v_pk_fma_f32 v[104:105], v[106:107], v[96:97], v[104:105] op_sel:[0,0,1] op_sel_hi:[1,0,0]
	v_mov_b32_e32 v109, v105
	ds_load_2addr_b64 v[104:107], v98 offset0:32 offset1:33
	v_pk_add_f32 v[44:45], v[44:45], v[110:111] neg_lo:[0,1] neg_hi:[0,1]
	v_pk_add_f32 v[10:11], v[10:11], v[108:109] neg_lo:[0,1] neg_hi:[0,1]
	s_wait_dscnt 0x0
	v_pk_mul_f32 v[108:109], v[104:105], v[94:95] op_sel:[0,1]
	s_delay_alu instid0(VALU_DEP_1) | instskip(SKIP_1) | instid1(VALU_DEP_1)
	v_pk_fma_f32 v[110:111], v[104:105], v[96:97], v[108:109] op_sel:[0,0,1] op_sel_hi:[1,1,0] neg_lo:[0,0,1] neg_hi:[0,0,1]
	v_pk_fma_f32 v[104:105], v[104:105], v[96:97], v[108:109] op_sel:[0,0,1] op_sel_hi:[1,0,0]
	v_mov_b32_e32 v111, v105
	v_pk_mul_f32 v[104:105], v[106:107], v[94:95] op_sel:[0,1]
	s_delay_alu instid0(VALU_DEP_1) | instskip(SKIP_1) | instid1(VALU_DEP_1)
	v_pk_fma_f32 v[108:109], v[106:107], v[96:97], v[104:105] op_sel:[0,0,1] op_sel_hi:[1,1,0] neg_lo:[0,0,1] neg_hi:[0,0,1]
	v_pk_fma_f32 v[104:105], v[106:107], v[96:97], v[104:105] op_sel:[0,0,1] op_sel_hi:[1,0,0]
	v_mov_b32_e32 v109, v105
	ds_load_2addr_b64 v[104:107], v98 offset0:34 offset1:35
	v_pk_add_f32 v[40:41], v[40:41], v[110:111] neg_lo:[0,1] neg_hi:[0,1]
	v_pk_add_f32 v[36:37], v[36:37], v[108:109] neg_lo:[0,1] neg_hi:[0,1]
	s_wait_dscnt 0x0
	v_dual_mul_f32 v108, v105, v95 :: v_dual_mul_f32 v110, v105, v96
	s_delay_alu instid0(VALU_DEP_1) | instskip(NEXT) | instid1(VALU_DEP_2)
	v_pk_fma_f32 v[108:109], v[104:105], v[48:49], v[108:109] op_sel_hi:[1,1,0] neg_lo:[0,0,1] neg_hi:[0,0,1]
	v_pk_fma_f32 v[104:105], v[104:105], v[48:49], v[110:111] op_sel:[1,0,0] op_sel_hi:[0,1,0]
	s_delay_alu instid0(VALU_DEP_1) | instskip(SKIP_1) | instid1(VALU_DEP_2)
	v_mov_b32_e32 v109, v105
	v_pk_mul_f32 v[104:105], v[106:107], v[94:95] op_sel:[0,1]
	v_pk_add_f32 v[38:39], v[38:39], v[108:109] neg_lo:[0,1] neg_hi:[0,1]
	s_delay_alu instid0(VALU_DEP_2) | instskip(SKIP_1) | instid1(VALU_DEP_1)
	v_pk_fma_f32 v[108:109], v[106:107], v[96:97], v[104:105] op_sel:[0,0,1] op_sel_hi:[1,1,0] neg_lo:[0,0,1] neg_hi:[0,0,1]
	v_pk_fma_f32 v[104:105], v[106:107], v[96:97], v[104:105] op_sel:[0,0,1] op_sel_hi:[1,0,0]
	v_mov_b32_e32 v109, v105
	ds_load_2addr_b64 v[104:107], v98 offset0:36 offset1:37
	v_pk_add_f32 v[6:7], v[6:7], v[108:109] neg_lo:[0,1] neg_hi:[0,1]
	s_wait_dscnt 0x0
	v_pk_mul_f32 v[108:109], v[104:105], v[94:95] op_sel:[0,1]
	s_delay_alu instid0(VALU_DEP_1) | instskip(SKIP_1) | instid1(VALU_DEP_1)
	v_pk_fma_f32 v[110:111], v[104:105], v[96:97], v[108:109] op_sel:[0,0,1] op_sel_hi:[1,1,0] neg_lo:[0,0,1] neg_hi:[0,0,1]
	v_pk_fma_f32 v[104:105], v[104:105], v[96:97], v[108:109] op_sel:[0,0,1] op_sel_hi:[1,0,0]
	v_mov_b32_e32 v111, v105
	v_pk_mul_f32 v[104:105], v[106:107], v[94:95] op_sel:[0,1]
	s_delay_alu instid0(VALU_DEP_2) | instskip(NEXT) | instid1(VALU_DEP_2)
	v_pk_add_f32 v[34:35], v[34:35], v[110:111] neg_lo:[0,1] neg_hi:[0,1]
	v_pk_fma_f32 v[108:109], v[106:107], v[96:97], v[104:105] op_sel:[0,0,1] op_sel_hi:[1,1,0] neg_lo:[0,0,1] neg_hi:[0,0,1]
	v_pk_fma_f32 v[104:105], v[106:107], v[96:97], v[104:105] op_sel:[0,0,1] op_sel_hi:[1,0,0]
	s_delay_alu instid0(VALU_DEP_1) | instskip(SKIP_4) | instid1(VALU_DEP_1)
	v_mov_b32_e32 v109, v105
	ds_load_2addr_b64 v[104:107], v98 offset0:38 offset1:39
	v_pk_add_f32 v[30:31], v[30:31], v[108:109] neg_lo:[0,1] neg_hi:[0,1]
	s_wait_dscnt 0x0
	v_pk_mul_f32 v[108:109], v[104:105], v[94:95] op_sel:[0,1]
	v_pk_fma_f32 v[110:111], v[104:105], v[96:97], v[108:109] op_sel:[0,0,1] op_sel_hi:[1,1,0] neg_lo:[0,0,1] neg_hi:[0,0,1]
	v_pk_fma_f32 v[104:105], v[104:105], v[96:97], v[108:109] op_sel:[0,0,1] op_sel_hi:[1,0,0]
	v_dual_mul_f32 v108, v107, v95 :: v_dual_mov_b32 v104, v107
	s_delay_alu instid0(VALU_DEP_2) | instskip(NEXT) | instid1(VALU_DEP_2)
	v_dual_mov_b32 v111, v105 :: v_dual_mov_b32 v105, v106
	v_pk_fma_f32 v[108:109], v[106:107], v[48:49], v[108:109] op_sel_hi:[1,1,0] neg_lo:[0,0,1] neg_hi:[0,0,1]
	v_mul_f32_e32 v106, v107, v96
	s_delay_alu instid0(VALU_DEP_3) | instskip(NEXT) | instid1(VALU_DEP_2)
	v_pk_add_f32 v[32:33], v[32:33], v[110:111] neg_lo:[0,1] neg_hi:[0,1]
	v_pk_fma_f32 v[104:105], v[104:105], v[48:49], v[106:107] op_sel_hi:[1,1,0]
	s_delay_alu instid0(VALU_DEP_1) | instskip(SKIP_4) | instid1(VALU_DEP_1)
	v_mov_b32_e32 v109, v105
	ds_load_2addr_b64 v[104:107], v98 offset0:40 offset1:41
	v_pk_add_f32 v[8:9], v[8:9], v[108:109] neg_lo:[0,1] neg_hi:[0,1]
	s_wait_dscnt 0x0
	v_pk_mul_f32 v[108:109], v[104:105], v[94:95] op_sel:[0,1]
	v_pk_fma_f32 v[110:111], v[104:105], v[96:97], v[108:109] op_sel:[0,0,1] op_sel_hi:[1,1,0] neg_lo:[0,0,1] neg_hi:[0,0,1]
	v_pk_fma_f32 v[104:105], v[104:105], v[96:97], v[108:109] op_sel:[0,0,1] op_sel_hi:[1,0,0]
	s_delay_alu instid0(VALU_DEP_1) | instskip(SKIP_1) | instid1(VALU_DEP_1)
	v_mov_b32_e32 v111, v105
	v_pk_mul_f32 v[104:105], v[106:107], v[94:95] op_sel:[0,1]
	v_pk_fma_f32 v[108:109], v[106:107], v[96:97], v[104:105] op_sel:[0,0,1] op_sel_hi:[1,1,0] neg_lo:[0,0,1] neg_hi:[0,0,1]
	v_pk_fma_f32 v[104:105], v[106:107], v[96:97], v[104:105] op_sel:[0,0,1] op_sel_hi:[1,0,0]
	s_delay_alu instid0(VALU_DEP_1)
	v_mov_b32_e32 v109, v105
	ds_load_2addr_b64 v[104:107], v98 offset0:42 offset1:43
	v_pk_add_f32 v[28:29], v[28:29], v[110:111] neg_lo:[0,1] neg_hi:[0,1]
	v_pk_add_f32 v[20:21], v[20:21], v[108:109] neg_lo:[0,1] neg_hi:[0,1]
	s_wait_dscnt 0x0
	v_pk_mul_f32 v[108:109], v[104:105], v[94:95] op_sel:[0,1]
	v_mul_f32_e32 v94, v107, v95
	s_delay_alu instid0(VALU_DEP_2) | instskip(SKIP_2) | instid1(VALU_DEP_4)
	v_pk_fma_f32 v[110:111], v[104:105], v[96:97], v[108:109] op_sel:[0,0,1] op_sel_hi:[1,1,0] neg_lo:[0,0,1] neg_hi:[0,0,1]
	v_pk_fma_f32 v[104:105], v[104:105], v[96:97], v[108:109] op_sel:[0,0,1] op_sel_hi:[1,0,0]
	v_dual_mov_b32 v104, v107 :: v_dual_mul_f32 v96, v107, v96
	v_pk_fma_f32 v[94:95], v[106:107], v[48:49], v[94:95] op_sel_hi:[1,1,0] neg_lo:[0,0,1] neg_hi:[0,0,1]
	s_delay_alu instid0(VALU_DEP_3) | instskip(NEXT) | instid1(VALU_DEP_1)
	v_dual_mov_b32 v111, v105 :: v_dual_mov_b32 v105, v106
	v_pk_add_f32 v[16:17], v[16:17], v[110:111] neg_lo:[0,1] neg_hi:[0,1]
	s_delay_alu instid0(VALU_DEP_2) | instskip(NEXT) | instid1(VALU_DEP_1)
	v_pk_fma_f32 v[96:97], v[104:105], v[48:49], v[96:97] op_sel_hi:[1,1,0]
	v_mov_b32_e32 v95, v97
	s_delay_alu instid0(VALU_DEP_1)
	v_pk_add_f32 v[92:93], v[92:93], v[94:95] neg_lo:[0,1] neg_hi:[0,1]
.LBB86_545:
	s_or_b32 exec_lo, exec_lo, s0
	v_lshl_add_u32 v94, v102, 3, v98
	s_barrier_signal -1
	s_barrier_wait -1
	ds_store_b64 v94, v[52:53]
	s_wait_dscnt 0x0
	s_barrier_signal -1
	s_barrier_wait -1
	ds_load_b64 v[94:95], v98 offset:208
	v_mov_b32_e32 v96, 26
	s_cmp_lt_i32 s18, 28
	s_cbranch_scc1 .LBB86_548
; %bb.546:
	v_add3_u32 v97, v99, 0, 0xd8
	v_mov_b32_e32 v96, 26
	s_mov_b32 s0, 27
.LBB86_547:                             ; =>This Inner Loop Header: Depth=1
	ds_load_b64 v[104:105], v97
	s_wait_dscnt 0x1
	v_cmp_gt_f32_e32 vcc_lo, 0, v94
	v_cndmask_b32_e64 v106, v94, -v94, vcc_lo
	v_cmp_gt_f32_e32 vcc_lo, 0, v95
	v_cndmask_b32_e64 v108, v95, -v95, vcc_lo
	s_wait_dscnt 0x0
	v_cmp_gt_f32_e32 vcc_lo, 0, v104
	v_cndmask_b32_e64 v107, v104, -v104, vcc_lo
	v_cmp_gt_f32_e32 vcc_lo, 0, v105
	v_cndmask_b32_e64 v109, v105, -v105, vcc_lo
	s_delay_alu instid0(VALU_DEP_1) | instskip(NEXT) | instid1(VALU_DEP_1)
	v_pk_add_f32 v[106:107], v[106:107], v[108:109]
	v_cmp_lt_f32_e32 vcc_lo, v106, v107
	v_dual_cndmask_b32 v94, v94, v104 :: v_dual_add_nc_u32 v97, 8, v97
	v_cndmask_b32_e32 v95, v95, v105, vcc_lo
	v_cndmask_b32_e64 v96, v96, s0, vcc_lo
	s_add_co_i32 s0, s0, 1
	s_delay_alu instid0(SALU_CYCLE_1)
	s_cmp_lg_u32 s18, s0
	s_cbranch_scc1 .LBB86_547
.LBB86_548:
	s_wait_dscnt 0x0
	v_cmp_eq_f32_e32 vcc_lo, 0, v94
	v_cmp_eq_f32_e64 s0, 0, v95
	s_and_b32 s0, vcc_lo, s0
	s_delay_alu instid0(SALU_CYCLE_1) | instskip(NEXT) | instid1(SALU_CYCLE_1)
	s_and_saveexec_b32 s1, s0
	s_xor_b32 s0, exec_lo, s1
; %bb.549:
	v_cmp_ne_u32_e32 vcc_lo, 0, v100
	v_cndmask_b32_e32 v100, 27, v100, vcc_lo
; %bb.550:
	s_and_not1_saveexec_b32 s0, s0
	s_cbranch_execz .LBB86_556
; %bb.551:
	v_cmp_ngt_f32_e64 s1, |v94|, |v95|
	s_and_saveexec_b32 s12, s1
	s_delay_alu instid0(SALU_CYCLE_1)
	s_xor_b32 s1, exec_lo, s12
	s_cbranch_execz .LBB86_553
; %bb.552:
	v_div_scale_f32 v97, null, v95, v95, v94
	v_div_scale_f32 v105, vcc_lo, v94, v95, v94
	s_delay_alu instid0(VALU_DEP_2) | instskip(SKIP_1) | instid1(TRANS32_DEP_1)
	v_rcp_f32_e32 v103, v97
	v_nop
	v_fma_f32 v104, -v97, v103, 1.0
	s_delay_alu instid0(VALU_DEP_1) | instskip(NEXT) | instid1(VALU_DEP_1)
	v_fmac_f32_e32 v103, v104, v103
	v_mul_f32_e32 v104, v105, v103
	s_delay_alu instid0(VALU_DEP_1) | instskip(NEXT) | instid1(VALU_DEP_1)
	v_fma_f32 v106, -v97, v104, v105
	v_fmac_f32_e32 v104, v106, v103
	s_delay_alu instid0(VALU_DEP_1) | instskip(NEXT) | instid1(VALU_DEP_1)
	v_fma_f32 v97, -v97, v104, v105
	v_div_fmas_f32 v97, v97, v103, v104
	s_delay_alu instid0(VALU_DEP_1) | instskip(NEXT) | instid1(VALU_DEP_1)
	v_div_fixup_f32 v97, v97, v95, v94
	v_fmac_f32_e32 v95, v94, v97
	s_delay_alu instid0(VALU_DEP_1) | instskip(SKIP_1) | instid1(VALU_DEP_2)
	v_div_scale_f32 v94, null, v95, v95, 1.0
	v_div_scale_f32 v105, vcc_lo, 1.0, v95, 1.0
	v_rcp_f32_e32 v103, v94
	v_nop
	s_delay_alu instid0(TRANS32_DEP_1) | instskip(NEXT) | instid1(VALU_DEP_1)
	v_fma_f32 v104, -v94, v103, 1.0
	v_fmac_f32_e32 v103, v104, v103
	s_delay_alu instid0(VALU_DEP_1) | instskip(NEXT) | instid1(VALU_DEP_1)
	v_mul_f32_e32 v104, v105, v103
	v_fma_f32 v106, -v94, v104, v105
	s_delay_alu instid0(VALU_DEP_1) | instskip(NEXT) | instid1(VALU_DEP_1)
	v_fmac_f32_e32 v104, v106, v103
	v_fma_f32 v94, -v94, v104, v105
	s_delay_alu instid0(VALU_DEP_1) | instskip(NEXT) | instid1(VALU_DEP_1)
	v_div_fmas_f32 v94, v94, v103, v104
	v_div_fixup_f32 v95, v94, v95, 1.0
	s_delay_alu instid0(VALU_DEP_1)
	v_mul_f32_e32 v94, v97, v95
	v_xor_b32_e32 v95, 0x80000000, v95
.LBB86_553:
	s_and_not1_saveexec_b32 s1, s1
	s_cbranch_execz .LBB86_555
; %bb.554:
	s_delay_alu instid0(VALU_DEP_1) | instskip(SKIP_1) | instid1(VALU_DEP_2)
	v_div_scale_f32 v97, null, v94, v94, v95
	v_div_scale_f32 v105, vcc_lo, v95, v94, v95
	v_rcp_f32_e32 v103, v97
	v_nop
	s_delay_alu instid0(TRANS32_DEP_1) | instskip(NEXT) | instid1(VALU_DEP_1)
	v_fma_f32 v104, -v97, v103, 1.0
	v_fmac_f32_e32 v103, v104, v103
	s_delay_alu instid0(VALU_DEP_1) | instskip(NEXT) | instid1(VALU_DEP_1)
	v_mul_f32_e32 v104, v105, v103
	v_fma_f32 v106, -v97, v104, v105
	s_delay_alu instid0(VALU_DEP_1) | instskip(NEXT) | instid1(VALU_DEP_1)
	v_fmac_f32_e32 v104, v106, v103
	v_fma_f32 v97, -v97, v104, v105
	s_delay_alu instid0(VALU_DEP_1) | instskip(NEXT) | instid1(VALU_DEP_1)
	v_div_fmas_f32 v97, v97, v103, v104
	v_div_fixup_f32 v97, v97, v94, v95
	s_delay_alu instid0(VALU_DEP_1) | instskip(NEXT) | instid1(VALU_DEP_1)
	v_fmac_f32_e32 v94, v95, v97
	v_div_scale_f32 v95, null, v94, v94, 1.0
	s_delay_alu instid0(VALU_DEP_1) | instskip(SKIP_1) | instid1(TRANS32_DEP_1)
	v_rcp_f32_e32 v103, v95
	v_nop
	v_fma_f32 v104, -v95, v103, 1.0
	s_delay_alu instid0(VALU_DEP_1) | instskip(SKIP_1) | instid1(VALU_DEP_1)
	v_fmac_f32_e32 v103, v104, v103
	v_div_scale_f32 v104, vcc_lo, 1.0, v94, 1.0
	v_mul_f32_e32 v105, v104, v103
	s_delay_alu instid0(VALU_DEP_1) | instskip(NEXT) | instid1(VALU_DEP_1)
	v_fma_f32 v106, -v95, v105, v104
	v_fmac_f32_e32 v105, v106, v103
	s_delay_alu instid0(VALU_DEP_1) | instskip(NEXT) | instid1(VALU_DEP_1)
	v_fma_f32 v95, -v95, v105, v104
	v_div_fmas_f32 v95, v95, v103, v105
	s_delay_alu instid0(VALU_DEP_1) | instskip(NEXT) | instid1(VALU_DEP_1)
	v_div_fixup_f32 v94, v95, v94, 1.0
	v_mul_f32_e64 v95, v97, -v94
.LBB86_555:
	s_or_b32 exec_lo, exec_lo, s1
.LBB86_556:
	s_delay_alu instid0(SALU_CYCLE_1) | instskip(NEXT) | instid1(SALU_CYCLE_1)
	s_or_b32 exec_lo, exec_lo, s0
	s_mov_b32 s0, exec_lo
	v_cmpx_ne_u32_e64 v102, v96
	s_xor_b32 s0, exec_lo, s0
	s_cbranch_execz .LBB86_562
; %bb.557:
	s_mov_b32 s1, exec_lo
	v_cmpx_eq_u32_e32 26, v102
	s_cbranch_execz .LBB86_561
; %bb.558:
	v_cmp_ne_u32_e32 vcc_lo, 26, v96
	s_xor_b32 s12, s16, -1
	s_delay_alu instid0(SALU_CYCLE_1) | instskip(NEXT) | instid1(SALU_CYCLE_1)
	s_and_b32 s13, s12, vcc_lo
	s_and_saveexec_b32 s12, s13
	s_cbranch_execz .LBB86_560
; %bb.559:
	v_ashrrev_i32_e32 v97, 31, v96
	s_delay_alu instid0(VALU_DEP_1)
	v_lshl_add_u64 v[102:103], v[96:97], 2, v[4:5]
	s_clause 0x1
	global_load_b32 v97, v[102:103], off
	global_load_b32 v101, v[4:5], off offset:104
	s_wait_loadcnt 0x1
	global_store_b32 v[4:5], v97, off offset:104
	s_wait_loadcnt 0x0
	global_store_b32 v[102:103], v101, off
.LBB86_560:
	s_wait_xcnt 0x0
	s_or_b32 exec_lo, exec_lo, s12
	v_dual_mov_b32 v102, v96 :: v_dual_mov_b32 v101, v96
.LBB86_561:
	s_or_b32 exec_lo, exec_lo, s1
.LBB86_562:
	s_and_not1_saveexec_b32 s0, s0
	s_cbranch_execz .LBB86_564
; %bb.563:
	v_mov_b32_e32 v102, 26
	ds_store_2addr_b64 v98, v[12:13], v[46:47] offset0:27 offset1:28
	ds_store_2addr_b64 v98, v[42:43], v[44:45] offset0:29 offset1:30
	;; [unrolled: 1-line block ×8, first 2 shown]
	ds_store_b64 v98, v[92:93] offset:344
.LBB86_564:
	s_or_b32 exec_lo, exec_lo, s0
	s_delay_alu instid0(SALU_CYCLE_1)
	s_mov_b32 s0, exec_lo
	s_wait_storecnt_dscnt 0x0
	s_barrier_signal -1
	s_barrier_wait -1
	v_cmpx_lt_i32_e32 26, v102
	s_cbranch_execz .LBB86_566
; %bb.565:
	v_pk_mul_f32 v[104:105], v[94:95], v[52:53] op_sel:[1,1] op_sel_hi:[0,1]
	s_delay_alu instid0(VALU_DEP_1)
	v_pk_fma_f32 v[96:97], v[94:95], v[52:53], v[104:105] op_sel_hi:[1,0,1] neg_lo:[0,0,1] neg_hi:[0,0,1]
	v_pk_fma_f32 v[94:95], v[94:95], v[52:53], v[104:105] op_sel_hi:[1,0,1]
	ds_load_2addr_b64 v[104:107], v98 offset0:27 offset1:28
	v_dual_mov_b32 v52, v96 :: v_dual_mov_b32 v53, v95
	s_wait_dscnt 0x0
	v_pk_mul_f32 v[108:109], v[104:105], v[94:95] op_sel:[0,1]
	s_delay_alu instid0(VALU_DEP_1) | instskip(SKIP_1) | instid1(VALU_DEP_1)
	v_pk_fma_f32 v[110:111], v[104:105], v[96:97], v[108:109] op_sel:[0,0,1] op_sel_hi:[1,1,0] neg_lo:[0,0,1] neg_hi:[0,0,1]
	v_pk_fma_f32 v[104:105], v[104:105], v[96:97], v[108:109] op_sel:[0,0,1] op_sel_hi:[1,0,0]
	v_mov_b32_e32 v111, v105
	v_pk_mul_f32 v[104:105], v[106:107], v[94:95] op_sel:[0,1]
	s_delay_alu instid0(VALU_DEP_1) | instskip(SKIP_1) | instid1(VALU_DEP_1)
	v_pk_fma_f32 v[108:109], v[106:107], v[96:97], v[104:105] op_sel:[0,0,1] op_sel_hi:[1,1,0] neg_lo:[0,0,1] neg_hi:[0,0,1]
	v_pk_fma_f32 v[104:105], v[106:107], v[96:97], v[104:105] op_sel:[0,0,1] op_sel_hi:[1,0,0]
	v_mov_b32_e32 v109, v105
	ds_load_2addr_b64 v[104:107], v98 offset0:29 offset1:30
	v_pk_add_f32 v[12:13], v[12:13], v[110:111] neg_lo:[0,1] neg_hi:[0,1]
	v_pk_add_f32 v[46:47], v[46:47], v[108:109] neg_lo:[0,1] neg_hi:[0,1]
	s_wait_dscnt 0x0
	v_pk_mul_f32 v[108:109], v[104:105], v[94:95] op_sel:[0,1]
	s_delay_alu instid0(VALU_DEP_1) | instskip(SKIP_2) | instid1(VALU_DEP_2)
	v_pk_fma_f32 v[110:111], v[104:105], v[96:97], v[108:109] op_sel:[0,0,1] op_sel_hi:[1,1,0] neg_lo:[0,0,1] neg_hi:[0,0,1]
	v_pk_fma_f32 v[104:105], v[104:105], v[96:97], v[108:109] op_sel:[0,0,1] op_sel_hi:[1,0,0]
	v_dual_mul_f32 v108, v107, v95 :: v_dual_mov_b32 v104, v107
	v_dual_mov_b32 v111, v105 :: v_dual_mov_b32 v105, v106
	s_delay_alu instid0(VALU_DEP_2) | instskip(SKIP_1) | instid1(VALU_DEP_3)
	v_pk_fma_f32 v[108:109], v[106:107], v[52:53], v[108:109] op_sel_hi:[1,1,0] neg_lo:[0,0,1] neg_hi:[0,0,1]
	v_mul_f32_e32 v106, v107, v96
	v_pk_add_f32 v[42:43], v[42:43], v[110:111] neg_lo:[0,1] neg_hi:[0,1]
	s_delay_alu instid0(VALU_DEP_2) | instskip(NEXT) | instid1(VALU_DEP_1)
	v_pk_fma_f32 v[104:105], v[104:105], v[52:53], v[106:107] op_sel_hi:[1,1,0]
	v_mov_b32_e32 v109, v105
	ds_load_2addr_b64 v[104:107], v98 offset0:31 offset1:32
	v_pk_add_f32 v[44:45], v[44:45], v[108:109] neg_lo:[0,1] neg_hi:[0,1]
	s_wait_dscnt 0x0
	v_pk_mul_f32 v[108:109], v[104:105], v[94:95] op_sel:[0,1]
	s_delay_alu instid0(VALU_DEP_1) | instskip(SKIP_1) | instid1(VALU_DEP_1)
	v_pk_fma_f32 v[110:111], v[104:105], v[96:97], v[108:109] op_sel:[0,0,1] op_sel_hi:[1,1,0] neg_lo:[0,0,1] neg_hi:[0,0,1]
	v_pk_fma_f32 v[104:105], v[104:105], v[96:97], v[108:109] op_sel:[0,0,1] op_sel_hi:[1,0,0]
	v_mov_b32_e32 v111, v105
	v_pk_mul_f32 v[104:105], v[106:107], v[94:95] op_sel:[0,1]
	s_delay_alu instid0(VALU_DEP_1) | instskip(SKIP_1) | instid1(VALU_DEP_1)
	v_pk_fma_f32 v[108:109], v[106:107], v[96:97], v[104:105] op_sel:[0,0,1] op_sel_hi:[1,1,0] neg_lo:[0,0,1] neg_hi:[0,0,1]
	v_pk_fma_f32 v[104:105], v[106:107], v[96:97], v[104:105] op_sel:[0,0,1] op_sel_hi:[1,0,0]
	v_mov_b32_e32 v109, v105
	ds_load_2addr_b64 v[104:107], v98 offset0:33 offset1:34
	v_pk_add_f32 v[10:11], v[10:11], v[110:111] neg_lo:[0,1] neg_hi:[0,1]
	v_pk_add_f32 v[40:41], v[40:41], v[108:109] neg_lo:[0,1] neg_hi:[0,1]
	s_wait_dscnt 0x0
	v_pk_mul_f32 v[108:109], v[104:105], v[94:95] op_sel:[0,1]
	s_delay_alu instid0(VALU_DEP_1) | instskip(SKIP_1) | instid1(VALU_DEP_1)
	v_pk_fma_f32 v[110:111], v[104:105], v[96:97], v[108:109] op_sel:[0,0,1] op_sel_hi:[1,1,0] neg_lo:[0,0,1] neg_hi:[0,0,1]
	v_pk_fma_f32 v[104:105], v[104:105], v[96:97], v[108:109] op_sel:[0,0,1] op_sel_hi:[1,0,0]
	v_mov_b32_e32 v111, v105
	v_pk_mul_f32 v[104:105], v[106:107], v[94:95] op_sel:[0,1]
	s_delay_alu instid0(VALU_DEP_1) | instskip(SKIP_1) | instid1(VALU_DEP_1)
	v_pk_fma_f32 v[108:109], v[106:107], v[96:97], v[104:105] op_sel:[0,0,1] op_sel_hi:[1,1,0] neg_lo:[0,0,1] neg_hi:[0,0,1]
	v_pk_fma_f32 v[104:105], v[106:107], v[96:97], v[104:105] op_sel:[0,0,1] op_sel_hi:[1,0,0]
	v_mov_b32_e32 v109, v105
	ds_load_2addr_b64 v[104:107], v98 offset0:35 offset1:36
	v_pk_add_f32 v[36:37], v[36:37], v[110:111] neg_lo:[0,1] neg_hi:[0,1]
	v_pk_add_f32 v[38:39], v[38:39], v[108:109] neg_lo:[0,1] neg_hi:[0,1]
	s_wait_dscnt 0x0
	v_dual_mul_f32 v108, v105, v95 :: v_dual_mul_f32 v110, v105, v96
	s_delay_alu instid0(VALU_DEP_1) | instskip(NEXT) | instid1(VALU_DEP_2)
	v_pk_fma_f32 v[108:109], v[104:105], v[52:53], v[108:109] op_sel_hi:[1,1,0] neg_lo:[0,0,1] neg_hi:[0,0,1]
	v_pk_fma_f32 v[104:105], v[104:105], v[52:53], v[110:111] op_sel:[1,0,0] op_sel_hi:[0,1,0]
	s_delay_alu instid0(VALU_DEP_1) | instskip(SKIP_1) | instid1(VALU_DEP_2)
	v_mov_b32_e32 v109, v105
	v_pk_mul_f32 v[104:105], v[106:107], v[94:95] op_sel:[0,1]
	v_pk_add_f32 v[6:7], v[6:7], v[108:109] neg_lo:[0,1] neg_hi:[0,1]
	s_delay_alu instid0(VALU_DEP_2) | instskip(SKIP_1) | instid1(VALU_DEP_1)
	v_pk_fma_f32 v[108:109], v[106:107], v[96:97], v[104:105] op_sel:[0,0,1] op_sel_hi:[1,1,0] neg_lo:[0,0,1] neg_hi:[0,0,1]
	v_pk_fma_f32 v[104:105], v[106:107], v[96:97], v[104:105] op_sel:[0,0,1] op_sel_hi:[1,0,0]
	v_mov_b32_e32 v109, v105
	ds_load_2addr_b64 v[104:107], v98 offset0:37 offset1:38
	v_pk_add_f32 v[34:35], v[34:35], v[108:109] neg_lo:[0,1] neg_hi:[0,1]
	s_wait_dscnt 0x0
	v_pk_mul_f32 v[108:109], v[104:105], v[94:95] op_sel:[0,1]
	s_delay_alu instid0(VALU_DEP_1) | instskip(SKIP_1) | instid1(VALU_DEP_1)
	v_pk_fma_f32 v[110:111], v[104:105], v[96:97], v[108:109] op_sel:[0,0,1] op_sel_hi:[1,1,0] neg_lo:[0,0,1] neg_hi:[0,0,1]
	v_pk_fma_f32 v[104:105], v[104:105], v[96:97], v[108:109] op_sel:[0,0,1] op_sel_hi:[1,0,0]
	v_mov_b32_e32 v111, v105
	v_pk_mul_f32 v[104:105], v[106:107], v[94:95] op_sel:[0,1]
	s_delay_alu instid0(VALU_DEP_2) | instskip(NEXT) | instid1(VALU_DEP_2)
	v_pk_add_f32 v[30:31], v[30:31], v[110:111] neg_lo:[0,1] neg_hi:[0,1]
	v_pk_fma_f32 v[108:109], v[106:107], v[96:97], v[104:105] op_sel:[0,0,1] op_sel_hi:[1,1,0] neg_lo:[0,0,1] neg_hi:[0,0,1]
	v_pk_fma_f32 v[104:105], v[106:107], v[96:97], v[104:105] op_sel:[0,0,1] op_sel_hi:[1,0,0]
	s_delay_alu instid0(VALU_DEP_1) | instskip(SKIP_4) | instid1(VALU_DEP_1)
	v_mov_b32_e32 v109, v105
	ds_load_2addr_b64 v[104:107], v98 offset0:39 offset1:40
	v_pk_add_f32 v[32:33], v[32:33], v[108:109] neg_lo:[0,1] neg_hi:[0,1]
	s_wait_dscnt 0x0
	v_pk_mul_f32 v[108:109], v[104:105], v[94:95] op_sel:[0,1]
	v_pk_fma_f32 v[110:111], v[104:105], v[96:97], v[108:109] op_sel:[0,0,1] op_sel_hi:[1,1,0] neg_lo:[0,0,1] neg_hi:[0,0,1]
	v_pk_fma_f32 v[104:105], v[104:105], v[96:97], v[108:109] op_sel:[0,0,1] op_sel_hi:[1,0,0]
	v_dual_mul_f32 v108, v107, v95 :: v_dual_mov_b32 v104, v107
	s_delay_alu instid0(VALU_DEP_2) | instskip(NEXT) | instid1(VALU_DEP_2)
	v_dual_mov_b32 v111, v105 :: v_dual_mov_b32 v105, v106
	v_pk_fma_f32 v[108:109], v[106:107], v[52:53], v[108:109] op_sel_hi:[1,1,0] neg_lo:[0,0,1] neg_hi:[0,0,1]
	v_mul_f32_e32 v106, v107, v96
	s_delay_alu instid0(VALU_DEP_3) | instskip(NEXT) | instid1(VALU_DEP_2)
	v_pk_add_f32 v[8:9], v[8:9], v[110:111] neg_lo:[0,1] neg_hi:[0,1]
	v_pk_fma_f32 v[104:105], v[104:105], v[52:53], v[106:107] op_sel_hi:[1,1,0]
	s_delay_alu instid0(VALU_DEP_1) | instskip(SKIP_4) | instid1(VALU_DEP_1)
	v_mov_b32_e32 v109, v105
	ds_load_2addr_b64 v[104:107], v98 offset0:41 offset1:42
	v_pk_add_f32 v[28:29], v[28:29], v[108:109] neg_lo:[0,1] neg_hi:[0,1]
	s_wait_dscnt 0x0
	v_pk_mul_f32 v[108:109], v[104:105], v[94:95] op_sel:[0,1]
	v_pk_fma_f32 v[110:111], v[104:105], v[96:97], v[108:109] op_sel:[0,0,1] op_sel_hi:[1,1,0] neg_lo:[0,0,1] neg_hi:[0,0,1]
	v_pk_fma_f32 v[104:105], v[104:105], v[96:97], v[108:109] op_sel:[0,0,1] op_sel_hi:[1,0,0]
	s_delay_alu instid0(VALU_DEP_1) | instskip(SKIP_1) | instid1(VALU_DEP_1)
	v_mov_b32_e32 v111, v105
	v_pk_mul_f32 v[104:105], v[106:107], v[94:95] op_sel:[0,1]
	v_pk_fma_f32 v[108:109], v[106:107], v[96:97], v[104:105] op_sel:[0,0,1] op_sel_hi:[1,1,0] neg_lo:[0,0,1] neg_hi:[0,0,1]
	v_pk_fma_f32 v[104:105], v[106:107], v[96:97], v[104:105] op_sel:[0,0,1] op_sel_hi:[1,0,0]
	s_delay_alu instid0(VALU_DEP_1)
	v_mov_b32_e32 v109, v105
	ds_load_b64 v[104:105], v98 offset:344
	v_pk_add_f32 v[20:21], v[20:21], v[110:111] neg_lo:[0,1] neg_hi:[0,1]
	v_pk_add_f32 v[16:17], v[16:17], v[108:109] neg_lo:[0,1] neg_hi:[0,1]
	s_wait_dscnt 0x0
	v_pk_mul_f32 v[94:95], v[104:105], v[94:95] op_sel:[0,1]
	s_delay_alu instid0(VALU_DEP_1) | instskip(SKIP_1) | instid1(VALU_DEP_1)
	v_pk_fma_f32 v[106:107], v[104:105], v[96:97], v[94:95] op_sel:[0,0,1] op_sel_hi:[1,1,0] neg_lo:[0,0,1] neg_hi:[0,0,1]
	v_pk_fma_f32 v[94:95], v[104:105], v[96:97], v[94:95] op_sel:[0,0,1] op_sel_hi:[1,0,0]
	v_mov_b32_e32 v107, v95
	s_delay_alu instid0(VALU_DEP_1)
	v_pk_add_f32 v[92:93], v[92:93], v[106:107] neg_lo:[0,1] neg_hi:[0,1]
.LBB86_566:
	s_or_b32 exec_lo, exec_lo, s0
	v_lshl_add_u32 v94, v102, 3, v98
	s_barrier_signal -1
	s_barrier_wait -1
	ds_store_b64 v94, v[12:13]
	s_wait_dscnt 0x0
	s_barrier_signal -1
	s_barrier_wait -1
	ds_load_b64 v[94:95], v98 offset:216
	v_mov_b32_e32 v96, 27
	s_cmp_lt_i32 s18, 29
	s_cbranch_scc1 .LBB86_569
; %bb.567:
	v_add3_u32 v97, v99, 0, 0xe0
	v_mov_b32_e32 v96, 27
	s_mov_b32 s0, 28
.LBB86_568:                             ; =>This Inner Loop Header: Depth=1
	ds_load_b64 v[104:105], v97
	s_wait_dscnt 0x1
	v_cmp_gt_f32_e32 vcc_lo, 0, v94
	v_cndmask_b32_e64 v106, v94, -v94, vcc_lo
	v_cmp_gt_f32_e32 vcc_lo, 0, v95
	v_cndmask_b32_e64 v108, v95, -v95, vcc_lo
	s_wait_dscnt 0x0
	v_cmp_gt_f32_e32 vcc_lo, 0, v104
	v_cndmask_b32_e64 v107, v104, -v104, vcc_lo
	v_cmp_gt_f32_e32 vcc_lo, 0, v105
	v_cndmask_b32_e64 v109, v105, -v105, vcc_lo
	s_delay_alu instid0(VALU_DEP_1) | instskip(NEXT) | instid1(VALU_DEP_1)
	v_pk_add_f32 v[106:107], v[106:107], v[108:109]
	v_cmp_lt_f32_e32 vcc_lo, v106, v107
	v_dual_cndmask_b32 v94, v94, v104 :: v_dual_add_nc_u32 v97, 8, v97
	v_cndmask_b32_e32 v95, v95, v105, vcc_lo
	v_cndmask_b32_e64 v96, v96, s0, vcc_lo
	s_add_co_i32 s0, s0, 1
	s_delay_alu instid0(SALU_CYCLE_1)
	s_cmp_lg_u32 s18, s0
	s_cbranch_scc1 .LBB86_568
.LBB86_569:
	s_wait_dscnt 0x0
	v_cmp_eq_f32_e32 vcc_lo, 0, v94
	v_cmp_eq_f32_e64 s0, 0, v95
	s_and_b32 s0, vcc_lo, s0
	s_delay_alu instid0(SALU_CYCLE_1) | instskip(NEXT) | instid1(SALU_CYCLE_1)
	s_and_saveexec_b32 s1, s0
	s_xor_b32 s0, exec_lo, s1
; %bb.570:
	v_cmp_ne_u32_e32 vcc_lo, 0, v100
	v_cndmask_b32_e32 v100, 28, v100, vcc_lo
; %bb.571:
	s_and_not1_saveexec_b32 s0, s0
	s_cbranch_execz .LBB86_577
; %bb.572:
	v_cmp_ngt_f32_e64 s1, |v94|, |v95|
	s_and_saveexec_b32 s12, s1
	s_delay_alu instid0(SALU_CYCLE_1)
	s_xor_b32 s1, exec_lo, s12
	s_cbranch_execz .LBB86_574
; %bb.573:
	v_div_scale_f32 v97, null, v95, v95, v94
	v_div_scale_f32 v105, vcc_lo, v94, v95, v94
	s_delay_alu instid0(VALU_DEP_2) | instskip(SKIP_1) | instid1(TRANS32_DEP_1)
	v_rcp_f32_e32 v103, v97
	v_nop
	v_fma_f32 v104, -v97, v103, 1.0
	s_delay_alu instid0(VALU_DEP_1) | instskip(NEXT) | instid1(VALU_DEP_1)
	v_fmac_f32_e32 v103, v104, v103
	v_mul_f32_e32 v104, v105, v103
	s_delay_alu instid0(VALU_DEP_1) | instskip(NEXT) | instid1(VALU_DEP_1)
	v_fma_f32 v106, -v97, v104, v105
	v_fmac_f32_e32 v104, v106, v103
	s_delay_alu instid0(VALU_DEP_1) | instskip(NEXT) | instid1(VALU_DEP_1)
	v_fma_f32 v97, -v97, v104, v105
	v_div_fmas_f32 v97, v97, v103, v104
	s_delay_alu instid0(VALU_DEP_1) | instskip(NEXT) | instid1(VALU_DEP_1)
	v_div_fixup_f32 v97, v97, v95, v94
	v_fmac_f32_e32 v95, v94, v97
	s_delay_alu instid0(VALU_DEP_1) | instskip(SKIP_1) | instid1(VALU_DEP_2)
	v_div_scale_f32 v94, null, v95, v95, 1.0
	v_div_scale_f32 v105, vcc_lo, 1.0, v95, 1.0
	v_rcp_f32_e32 v103, v94
	v_nop
	s_delay_alu instid0(TRANS32_DEP_1) | instskip(NEXT) | instid1(VALU_DEP_1)
	v_fma_f32 v104, -v94, v103, 1.0
	v_fmac_f32_e32 v103, v104, v103
	s_delay_alu instid0(VALU_DEP_1) | instskip(NEXT) | instid1(VALU_DEP_1)
	v_mul_f32_e32 v104, v105, v103
	v_fma_f32 v106, -v94, v104, v105
	s_delay_alu instid0(VALU_DEP_1) | instskip(NEXT) | instid1(VALU_DEP_1)
	v_fmac_f32_e32 v104, v106, v103
	v_fma_f32 v94, -v94, v104, v105
	s_delay_alu instid0(VALU_DEP_1) | instskip(NEXT) | instid1(VALU_DEP_1)
	v_div_fmas_f32 v94, v94, v103, v104
	v_div_fixup_f32 v95, v94, v95, 1.0
	s_delay_alu instid0(VALU_DEP_1)
	v_mul_f32_e32 v94, v97, v95
	v_xor_b32_e32 v95, 0x80000000, v95
.LBB86_574:
	s_and_not1_saveexec_b32 s1, s1
	s_cbranch_execz .LBB86_576
; %bb.575:
	s_delay_alu instid0(VALU_DEP_1) | instskip(SKIP_1) | instid1(VALU_DEP_2)
	v_div_scale_f32 v97, null, v94, v94, v95
	v_div_scale_f32 v105, vcc_lo, v95, v94, v95
	v_rcp_f32_e32 v103, v97
	v_nop
	s_delay_alu instid0(TRANS32_DEP_1) | instskip(NEXT) | instid1(VALU_DEP_1)
	v_fma_f32 v104, -v97, v103, 1.0
	v_fmac_f32_e32 v103, v104, v103
	s_delay_alu instid0(VALU_DEP_1) | instskip(NEXT) | instid1(VALU_DEP_1)
	v_mul_f32_e32 v104, v105, v103
	v_fma_f32 v106, -v97, v104, v105
	s_delay_alu instid0(VALU_DEP_1) | instskip(NEXT) | instid1(VALU_DEP_1)
	v_fmac_f32_e32 v104, v106, v103
	v_fma_f32 v97, -v97, v104, v105
	s_delay_alu instid0(VALU_DEP_1) | instskip(NEXT) | instid1(VALU_DEP_1)
	v_div_fmas_f32 v97, v97, v103, v104
	v_div_fixup_f32 v97, v97, v94, v95
	s_delay_alu instid0(VALU_DEP_1) | instskip(NEXT) | instid1(VALU_DEP_1)
	v_fmac_f32_e32 v94, v95, v97
	v_div_scale_f32 v95, null, v94, v94, 1.0
	s_delay_alu instid0(VALU_DEP_1) | instskip(SKIP_1) | instid1(TRANS32_DEP_1)
	v_rcp_f32_e32 v103, v95
	v_nop
	v_fma_f32 v104, -v95, v103, 1.0
	s_delay_alu instid0(VALU_DEP_1) | instskip(SKIP_1) | instid1(VALU_DEP_1)
	v_fmac_f32_e32 v103, v104, v103
	v_div_scale_f32 v104, vcc_lo, 1.0, v94, 1.0
	v_mul_f32_e32 v105, v104, v103
	s_delay_alu instid0(VALU_DEP_1) | instskip(NEXT) | instid1(VALU_DEP_1)
	v_fma_f32 v106, -v95, v105, v104
	v_fmac_f32_e32 v105, v106, v103
	s_delay_alu instid0(VALU_DEP_1) | instskip(NEXT) | instid1(VALU_DEP_1)
	v_fma_f32 v95, -v95, v105, v104
	v_div_fmas_f32 v95, v95, v103, v105
	s_delay_alu instid0(VALU_DEP_1) | instskip(NEXT) | instid1(VALU_DEP_1)
	v_div_fixup_f32 v94, v95, v94, 1.0
	v_mul_f32_e64 v95, v97, -v94
.LBB86_576:
	s_or_b32 exec_lo, exec_lo, s1
.LBB86_577:
	s_delay_alu instid0(SALU_CYCLE_1) | instskip(NEXT) | instid1(SALU_CYCLE_1)
	s_or_b32 exec_lo, exec_lo, s0
	s_mov_b32 s0, exec_lo
	v_cmpx_ne_u32_e64 v102, v96
	s_xor_b32 s0, exec_lo, s0
	s_cbranch_execz .LBB86_583
; %bb.578:
	s_mov_b32 s1, exec_lo
	v_cmpx_eq_u32_e32 27, v102
	s_cbranch_execz .LBB86_582
; %bb.579:
	v_cmp_ne_u32_e32 vcc_lo, 27, v96
	s_xor_b32 s12, s16, -1
	s_delay_alu instid0(SALU_CYCLE_1) | instskip(NEXT) | instid1(SALU_CYCLE_1)
	s_and_b32 s13, s12, vcc_lo
	s_and_saveexec_b32 s12, s13
	s_cbranch_execz .LBB86_581
; %bb.580:
	v_ashrrev_i32_e32 v97, 31, v96
	s_delay_alu instid0(VALU_DEP_1)
	v_lshl_add_u64 v[102:103], v[96:97], 2, v[4:5]
	s_clause 0x1
	global_load_b32 v97, v[102:103], off
	global_load_b32 v101, v[4:5], off offset:108
	s_wait_loadcnt 0x1
	global_store_b32 v[4:5], v97, off offset:108
	s_wait_loadcnt 0x0
	global_store_b32 v[102:103], v101, off
.LBB86_581:
	s_wait_xcnt 0x0
	s_or_b32 exec_lo, exec_lo, s12
	v_dual_mov_b32 v102, v96 :: v_dual_mov_b32 v101, v96
.LBB86_582:
	s_or_b32 exec_lo, exec_lo, s1
.LBB86_583:
	s_and_not1_saveexec_b32 s0, s0
	s_cbranch_execz .LBB86_585
; %bb.584:
	v_dual_mov_b32 v96, v46 :: v_dual_mov_b32 v97, v47
	v_dual_mov_b32 v102, v42 :: v_dual_mov_b32 v103, v43
	;; [unrolled: 1-line block ×8, first 2 shown]
	ds_store_2addr_b64 v98, v[96:97], v[102:103] offset0:28 offset1:29
	ds_store_2addr_b64 v98, v[104:105], v[106:107] offset0:30 offset1:31
	;; [unrolled: 1-line block ×4, first 2 shown]
	v_dual_mov_b32 v96, v34 :: v_dual_mov_b32 v97, v35
	v_dual_mov_b32 v104, v30 :: v_dual_mov_b32 v105, v31
	;; [unrolled: 1-line block ×7, first 2 shown]
	v_mov_b32_e32 v115, v17
	ds_store_2addr_b64 v98, v[96:97], v[104:105] offset0:36 offset1:37
	ds_store_2addr_b64 v98, v[106:107], v[108:109] offset0:38 offset1:39
	;; [unrolled: 1-line block ×4, first 2 shown]
.LBB86_585:
	s_or_b32 exec_lo, exec_lo, s0
	s_delay_alu instid0(SALU_CYCLE_1)
	s_mov_b32 s0, exec_lo
	s_wait_storecnt_dscnt 0x0
	s_barrier_signal -1
	s_barrier_wait -1
	v_cmpx_lt_i32_e32 27, v102
	s_cbranch_execz .LBB86_587
; %bb.586:
	v_pk_mul_f32 v[104:105], v[94:95], v[12:13] op_sel:[1,1] op_sel_hi:[0,1]
	s_delay_alu instid0(VALU_DEP_1)
	v_pk_fma_f32 v[96:97], v[94:95], v[12:13], v[104:105] op_sel_hi:[1,0,1] neg_lo:[0,0,1] neg_hi:[0,0,1]
	v_pk_fma_f32 v[94:95], v[94:95], v[12:13], v[104:105] op_sel_hi:[1,0,1]
	ds_load_2addr_b64 v[104:107], v98 offset0:28 offset1:29
	v_dual_mov_b32 v12, v96 :: v_dual_mov_b32 v13, v95
	s_wait_dscnt 0x0
	v_pk_mul_f32 v[108:109], v[104:105], v[94:95] op_sel:[0,1]
	s_delay_alu instid0(VALU_DEP_1) | instskip(SKIP_1) | instid1(VALU_DEP_1)
	v_pk_fma_f32 v[110:111], v[104:105], v[96:97], v[108:109] op_sel:[0,0,1] op_sel_hi:[1,1,0] neg_lo:[0,0,1] neg_hi:[0,0,1]
	v_pk_fma_f32 v[104:105], v[104:105], v[96:97], v[108:109] op_sel:[0,0,1] op_sel_hi:[1,0,0]
	v_mov_b32_e32 v111, v105
	v_pk_mul_f32 v[104:105], v[106:107], v[94:95] op_sel:[0,1]
	s_delay_alu instid0(VALU_DEP_1) | instskip(SKIP_1) | instid1(VALU_DEP_1)
	v_pk_fma_f32 v[108:109], v[106:107], v[96:97], v[104:105] op_sel:[0,0,1] op_sel_hi:[1,1,0] neg_lo:[0,0,1] neg_hi:[0,0,1]
	v_pk_fma_f32 v[104:105], v[106:107], v[96:97], v[104:105] op_sel:[0,0,1] op_sel_hi:[1,0,0]
	v_mov_b32_e32 v109, v105
	ds_load_2addr_b64 v[104:107], v98 offset0:30 offset1:31
	v_pk_add_f32 v[46:47], v[46:47], v[110:111] neg_lo:[0,1] neg_hi:[0,1]
	v_pk_add_f32 v[42:43], v[42:43], v[108:109] neg_lo:[0,1] neg_hi:[0,1]
	s_wait_dscnt 0x0
	v_pk_mul_f32 v[108:109], v[104:105], v[94:95] op_sel:[0,1]
	s_delay_alu instid0(VALU_DEP_1) | instskip(SKIP_2) | instid1(VALU_DEP_2)
	v_pk_fma_f32 v[110:111], v[104:105], v[96:97], v[108:109] op_sel:[0,0,1] op_sel_hi:[1,1,0] neg_lo:[0,0,1] neg_hi:[0,0,1]
	v_pk_fma_f32 v[104:105], v[104:105], v[96:97], v[108:109] op_sel:[0,0,1] op_sel_hi:[1,0,0]
	v_dual_mul_f32 v108, v107, v95 :: v_dual_mov_b32 v104, v107
	v_dual_mov_b32 v111, v105 :: v_dual_mov_b32 v105, v106
	s_delay_alu instid0(VALU_DEP_2) | instskip(SKIP_1) | instid1(VALU_DEP_3)
	v_pk_fma_f32 v[108:109], v[106:107], v[12:13], v[108:109] op_sel_hi:[1,1,0] neg_lo:[0,0,1] neg_hi:[0,0,1]
	v_mul_f32_e32 v106, v107, v96
	v_pk_add_f32 v[44:45], v[44:45], v[110:111] neg_lo:[0,1] neg_hi:[0,1]
	s_delay_alu instid0(VALU_DEP_2) | instskip(NEXT) | instid1(VALU_DEP_1)
	v_pk_fma_f32 v[104:105], v[104:105], v[12:13], v[106:107] op_sel_hi:[1,1,0]
	v_mov_b32_e32 v109, v105
	ds_load_2addr_b64 v[104:107], v98 offset0:32 offset1:33
	v_pk_add_f32 v[10:11], v[10:11], v[108:109] neg_lo:[0,1] neg_hi:[0,1]
	s_wait_dscnt 0x0
	v_pk_mul_f32 v[108:109], v[104:105], v[94:95] op_sel:[0,1]
	s_delay_alu instid0(VALU_DEP_1) | instskip(SKIP_1) | instid1(VALU_DEP_1)
	v_pk_fma_f32 v[110:111], v[104:105], v[96:97], v[108:109] op_sel:[0,0,1] op_sel_hi:[1,1,0] neg_lo:[0,0,1] neg_hi:[0,0,1]
	v_pk_fma_f32 v[104:105], v[104:105], v[96:97], v[108:109] op_sel:[0,0,1] op_sel_hi:[1,0,0]
	v_mov_b32_e32 v111, v105
	v_pk_mul_f32 v[104:105], v[106:107], v[94:95] op_sel:[0,1]
	s_delay_alu instid0(VALU_DEP_1) | instskip(SKIP_1) | instid1(VALU_DEP_1)
	v_pk_fma_f32 v[108:109], v[106:107], v[96:97], v[104:105] op_sel:[0,0,1] op_sel_hi:[1,1,0] neg_lo:[0,0,1] neg_hi:[0,0,1]
	v_pk_fma_f32 v[104:105], v[106:107], v[96:97], v[104:105] op_sel:[0,0,1] op_sel_hi:[1,0,0]
	v_mov_b32_e32 v109, v105
	ds_load_2addr_b64 v[104:107], v98 offset0:34 offset1:35
	v_pk_add_f32 v[40:41], v[40:41], v[110:111] neg_lo:[0,1] neg_hi:[0,1]
	v_pk_add_f32 v[36:37], v[36:37], v[108:109] neg_lo:[0,1] neg_hi:[0,1]
	s_wait_dscnt 0x0
	v_pk_mul_f32 v[108:109], v[104:105], v[94:95] op_sel:[0,1]
	s_delay_alu instid0(VALU_DEP_1) | instskip(SKIP_1) | instid1(VALU_DEP_1)
	v_pk_fma_f32 v[110:111], v[104:105], v[96:97], v[108:109] op_sel:[0,0,1] op_sel_hi:[1,1,0] neg_lo:[0,0,1] neg_hi:[0,0,1]
	v_pk_fma_f32 v[104:105], v[104:105], v[96:97], v[108:109] op_sel:[0,0,1] op_sel_hi:[1,0,0]
	v_mov_b32_e32 v111, v105
	v_pk_mul_f32 v[104:105], v[106:107], v[94:95] op_sel:[0,1]
	s_delay_alu instid0(VALU_DEP_1) | instskip(SKIP_1) | instid1(VALU_DEP_1)
	v_pk_fma_f32 v[108:109], v[106:107], v[96:97], v[104:105] op_sel:[0,0,1] op_sel_hi:[1,1,0] neg_lo:[0,0,1] neg_hi:[0,0,1]
	v_pk_fma_f32 v[104:105], v[106:107], v[96:97], v[104:105] op_sel:[0,0,1] op_sel_hi:[1,0,0]
	v_mov_b32_e32 v109, v105
	ds_load_2addr_b64 v[104:107], v98 offset0:36 offset1:37
	v_pk_add_f32 v[38:39], v[38:39], v[110:111] neg_lo:[0,1] neg_hi:[0,1]
	v_pk_add_f32 v[6:7], v[6:7], v[108:109] neg_lo:[0,1] neg_hi:[0,1]
	s_wait_dscnt 0x0
	v_dual_mul_f32 v108, v105, v95 :: v_dual_mul_f32 v110, v105, v96
	s_delay_alu instid0(VALU_DEP_1) | instskip(NEXT) | instid1(VALU_DEP_2)
	v_pk_fma_f32 v[108:109], v[104:105], v[12:13], v[108:109] op_sel_hi:[1,1,0] neg_lo:[0,0,1] neg_hi:[0,0,1]
	v_pk_fma_f32 v[104:105], v[104:105], v[12:13], v[110:111] op_sel:[1,0,0] op_sel_hi:[0,1,0]
	s_delay_alu instid0(VALU_DEP_1) | instskip(SKIP_1) | instid1(VALU_DEP_2)
	v_mov_b32_e32 v109, v105
	v_pk_mul_f32 v[104:105], v[106:107], v[94:95] op_sel:[0,1]
	v_pk_add_f32 v[34:35], v[34:35], v[108:109] neg_lo:[0,1] neg_hi:[0,1]
	s_delay_alu instid0(VALU_DEP_2) | instskip(SKIP_1) | instid1(VALU_DEP_1)
	v_pk_fma_f32 v[108:109], v[106:107], v[96:97], v[104:105] op_sel:[0,0,1] op_sel_hi:[1,1,0] neg_lo:[0,0,1] neg_hi:[0,0,1]
	v_pk_fma_f32 v[104:105], v[106:107], v[96:97], v[104:105] op_sel:[0,0,1] op_sel_hi:[1,0,0]
	v_mov_b32_e32 v109, v105
	ds_load_2addr_b64 v[104:107], v98 offset0:38 offset1:39
	v_pk_add_f32 v[30:31], v[30:31], v[108:109] neg_lo:[0,1] neg_hi:[0,1]
	s_wait_dscnt 0x0
	v_pk_mul_f32 v[108:109], v[104:105], v[94:95] op_sel:[0,1]
	s_delay_alu instid0(VALU_DEP_1) | instskip(SKIP_1) | instid1(VALU_DEP_1)
	v_pk_fma_f32 v[110:111], v[104:105], v[96:97], v[108:109] op_sel:[0,0,1] op_sel_hi:[1,1,0] neg_lo:[0,0,1] neg_hi:[0,0,1]
	v_pk_fma_f32 v[104:105], v[104:105], v[96:97], v[108:109] op_sel:[0,0,1] op_sel_hi:[1,0,0]
	v_mov_b32_e32 v111, v105
	v_pk_mul_f32 v[104:105], v[106:107], v[94:95] op_sel:[0,1]
	s_delay_alu instid0(VALU_DEP_2) | instskip(NEXT) | instid1(VALU_DEP_2)
	v_pk_add_f32 v[32:33], v[32:33], v[110:111] neg_lo:[0,1] neg_hi:[0,1]
	v_pk_fma_f32 v[108:109], v[106:107], v[96:97], v[104:105] op_sel:[0,0,1] op_sel_hi:[1,1,0] neg_lo:[0,0,1] neg_hi:[0,0,1]
	v_pk_fma_f32 v[104:105], v[106:107], v[96:97], v[104:105] op_sel:[0,0,1] op_sel_hi:[1,0,0]
	s_delay_alu instid0(VALU_DEP_1) | instskip(SKIP_4) | instid1(VALU_DEP_1)
	v_mov_b32_e32 v109, v105
	ds_load_2addr_b64 v[104:107], v98 offset0:40 offset1:41
	v_pk_add_f32 v[8:9], v[8:9], v[108:109] neg_lo:[0,1] neg_hi:[0,1]
	s_wait_dscnt 0x0
	v_pk_mul_f32 v[108:109], v[104:105], v[94:95] op_sel:[0,1]
	v_pk_fma_f32 v[110:111], v[104:105], v[96:97], v[108:109] op_sel:[0,0,1] op_sel_hi:[1,1,0] neg_lo:[0,0,1] neg_hi:[0,0,1]
	v_pk_fma_f32 v[104:105], v[104:105], v[96:97], v[108:109] op_sel:[0,0,1] op_sel_hi:[1,0,0]
	v_dual_mul_f32 v108, v107, v95 :: v_dual_mov_b32 v104, v107
	s_delay_alu instid0(VALU_DEP_2) | instskip(NEXT) | instid1(VALU_DEP_2)
	v_dual_mov_b32 v111, v105 :: v_dual_mov_b32 v105, v106
	v_pk_fma_f32 v[108:109], v[106:107], v[12:13], v[108:109] op_sel_hi:[1,1,0] neg_lo:[0,0,1] neg_hi:[0,0,1]
	v_mul_f32_e32 v106, v107, v96
	s_delay_alu instid0(VALU_DEP_3) | instskip(NEXT) | instid1(VALU_DEP_2)
	v_pk_add_f32 v[28:29], v[28:29], v[110:111] neg_lo:[0,1] neg_hi:[0,1]
	v_pk_fma_f32 v[104:105], v[104:105], v[12:13], v[106:107] op_sel_hi:[1,1,0]
	s_delay_alu instid0(VALU_DEP_1)
	v_mov_b32_e32 v109, v105
	ds_load_2addr_b64 v[104:107], v98 offset0:42 offset1:43
	v_pk_add_f32 v[20:21], v[20:21], v[108:109] neg_lo:[0,1] neg_hi:[0,1]
	s_wait_dscnt 0x0
	v_pk_mul_f32 v[108:109], v[104:105], v[94:95] op_sel:[0,1]
	v_pk_mul_f32 v[94:95], v[106:107], v[94:95] op_sel:[0,1]
	s_delay_alu instid0(VALU_DEP_2) | instskip(SKIP_1) | instid1(VALU_DEP_1)
	v_pk_fma_f32 v[110:111], v[104:105], v[96:97], v[108:109] op_sel:[0,0,1] op_sel_hi:[1,1,0] neg_lo:[0,0,1] neg_hi:[0,0,1]
	v_pk_fma_f32 v[104:105], v[104:105], v[96:97], v[108:109] op_sel:[0,0,1] op_sel_hi:[1,0,0]
	v_mov_b32_e32 v111, v105
	s_delay_alu instid0(VALU_DEP_4) | instskip(SKIP_1) | instid1(VALU_DEP_1)
	v_pk_fma_f32 v[104:105], v[106:107], v[96:97], v[94:95] op_sel:[0,0,1] op_sel_hi:[1,1,0] neg_lo:[0,0,1] neg_hi:[0,0,1]
	v_pk_fma_f32 v[94:95], v[106:107], v[96:97], v[94:95] op_sel:[0,0,1] op_sel_hi:[1,0,0]
	v_mov_b32_e32 v105, v95
	s_delay_alu instid0(VALU_DEP_4) | instskip(NEXT) | instid1(VALU_DEP_2)
	v_pk_add_f32 v[16:17], v[16:17], v[110:111] neg_lo:[0,1] neg_hi:[0,1]
	v_pk_add_f32 v[92:93], v[92:93], v[104:105] neg_lo:[0,1] neg_hi:[0,1]
.LBB86_587:
	s_or_b32 exec_lo, exec_lo, s0
	v_lshl_add_u32 v94, v102, 3, v98
	s_barrier_signal -1
	s_barrier_wait -1
	ds_store_b64 v94, v[46:47]
	s_wait_dscnt 0x0
	s_barrier_signal -1
	s_barrier_wait -1
	ds_load_b64 v[94:95], v98 offset:224
	v_mov_b32_e32 v96, 28
	s_cmp_lt_i32 s18, 30
	s_cbranch_scc1 .LBB86_590
; %bb.588:
	v_add3_u32 v97, v99, 0, 0xe8
	v_mov_b32_e32 v96, 28
	s_mov_b32 s0, 29
.LBB86_589:                             ; =>This Inner Loop Header: Depth=1
	ds_load_b64 v[104:105], v97
	s_wait_dscnt 0x1
	v_cmp_gt_f32_e32 vcc_lo, 0, v94
	v_cndmask_b32_e64 v106, v94, -v94, vcc_lo
	v_cmp_gt_f32_e32 vcc_lo, 0, v95
	v_cndmask_b32_e64 v108, v95, -v95, vcc_lo
	s_wait_dscnt 0x0
	v_cmp_gt_f32_e32 vcc_lo, 0, v104
	v_cndmask_b32_e64 v107, v104, -v104, vcc_lo
	v_cmp_gt_f32_e32 vcc_lo, 0, v105
	v_cndmask_b32_e64 v109, v105, -v105, vcc_lo
	s_delay_alu instid0(VALU_DEP_1) | instskip(NEXT) | instid1(VALU_DEP_1)
	v_pk_add_f32 v[106:107], v[106:107], v[108:109]
	v_cmp_lt_f32_e32 vcc_lo, v106, v107
	v_dual_cndmask_b32 v94, v94, v104 :: v_dual_add_nc_u32 v97, 8, v97
	v_cndmask_b32_e32 v95, v95, v105, vcc_lo
	v_cndmask_b32_e64 v96, v96, s0, vcc_lo
	s_add_co_i32 s0, s0, 1
	s_delay_alu instid0(SALU_CYCLE_1)
	s_cmp_lg_u32 s18, s0
	s_cbranch_scc1 .LBB86_589
.LBB86_590:
	s_wait_dscnt 0x0
	v_cmp_eq_f32_e32 vcc_lo, 0, v94
	v_cmp_eq_f32_e64 s0, 0, v95
	s_and_b32 s0, vcc_lo, s0
	s_delay_alu instid0(SALU_CYCLE_1) | instskip(NEXT) | instid1(SALU_CYCLE_1)
	s_and_saveexec_b32 s1, s0
	s_xor_b32 s0, exec_lo, s1
; %bb.591:
	v_cmp_ne_u32_e32 vcc_lo, 0, v100
	v_cndmask_b32_e32 v100, 29, v100, vcc_lo
; %bb.592:
	s_and_not1_saveexec_b32 s0, s0
	s_cbranch_execz .LBB86_598
; %bb.593:
	v_cmp_ngt_f32_e64 s1, |v94|, |v95|
	s_and_saveexec_b32 s12, s1
	s_delay_alu instid0(SALU_CYCLE_1)
	s_xor_b32 s1, exec_lo, s12
	s_cbranch_execz .LBB86_595
; %bb.594:
	v_div_scale_f32 v97, null, v95, v95, v94
	v_div_scale_f32 v105, vcc_lo, v94, v95, v94
	s_delay_alu instid0(VALU_DEP_2) | instskip(SKIP_1) | instid1(TRANS32_DEP_1)
	v_rcp_f32_e32 v103, v97
	v_nop
	v_fma_f32 v104, -v97, v103, 1.0
	s_delay_alu instid0(VALU_DEP_1) | instskip(NEXT) | instid1(VALU_DEP_1)
	v_fmac_f32_e32 v103, v104, v103
	v_mul_f32_e32 v104, v105, v103
	s_delay_alu instid0(VALU_DEP_1) | instskip(NEXT) | instid1(VALU_DEP_1)
	v_fma_f32 v106, -v97, v104, v105
	v_fmac_f32_e32 v104, v106, v103
	s_delay_alu instid0(VALU_DEP_1) | instskip(NEXT) | instid1(VALU_DEP_1)
	v_fma_f32 v97, -v97, v104, v105
	v_div_fmas_f32 v97, v97, v103, v104
	s_delay_alu instid0(VALU_DEP_1) | instskip(NEXT) | instid1(VALU_DEP_1)
	v_div_fixup_f32 v97, v97, v95, v94
	v_fmac_f32_e32 v95, v94, v97
	s_delay_alu instid0(VALU_DEP_1) | instskip(SKIP_1) | instid1(VALU_DEP_2)
	v_div_scale_f32 v94, null, v95, v95, 1.0
	v_div_scale_f32 v105, vcc_lo, 1.0, v95, 1.0
	v_rcp_f32_e32 v103, v94
	v_nop
	s_delay_alu instid0(TRANS32_DEP_1) | instskip(NEXT) | instid1(VALU_DEP_1)
	v_fma_f32 v104, -v94, v103, 1.0
	v_fmac_f32_e32 v103, v104, v103
	s_delay_alu instid0(VALU_DEP_1) | instskip(NEXT) | instid1(VALU_DEP_1)
	v_mul_f32_e32 v104, v105, v103
	v_fma_f32 v106, -v94, v104, v105
	s_delay_alu instid0(VALU_DEP_1) | instskip(NEXT) | instid1(VALU_DEP_1)
	v_fmac_f32_e32 v104, v106, v103
	v_fma_f32 v94, -v94, v104, v105
	s_delay_alu instid0(VALU_DEP_1) | instskip(NEXT) | instid1(VALU_DEP_1)
	v_div_fmas_f32 v94, v94, v103, v104
	v_div_fixup_f32 v95, v94, v95, 1.0
	s_delay_alu instid0(VALU_DEP_1)
	v_mul_f32_e32 v94, v97, v95
	v_xor_b32_e32 v95, 0x80000000, v95
.LBB86_595:
	s_and_not1_saveexec_b32 s1, s1
	s_cbranch_execz .LBB86_597
; %bb.596:
	s_delay_alu instid0(VALU_DEP_1) | instskip(SKIP_1) | instid1(VALU_DEP_2)
	v_div_scale_f32 v97, null, v94, v94, v95
	v_div_scale_f32 v105, vcc_lo, v95, v94, v95
	v_rcp_f32_e32 v103, v97
	v_nop
	s_delay_alu instid0(TRANS32_DEP_1) | instskip(NEXT) | instid1(VALU_DEP_1)
	v_fma_f32 v104, -v97, v103, 1.0
	v_fmac_f32_e32 v103, v104, v103
	s_delay_alu instid0(VALU_DEP_1) | instskip(NEXT) | instid1(VALU_DEP_1)
	v_mul_f32_e32 v104, v105, v103
	v_fma_f32 v106, -v97, v104, v105
	s_delay_alu instid0(VALU_DEP_1) | instskip(NEXT) | instid1(VALU_DEP_1)
	v_fmac_f32_e32 v104, v106, v103
	v_fma_f32 v97, -v97, v104, v105
	s_delay_alu instid0(VALU_DEP_1) | instskip(NEXT) | instid1(VALU_DEP_1)
	v_div_fmas_f32 v97, v97, v103, v104
	v_div_fixup_f32 v97, v97, v94, v95
	s_delay_alu instid0(VALU_DEP_1) | instskip(NEXT) | instid1(VALU_DEP_1)
	v_fmac_f32_e32 v94, v95, v97
	v_div_scale_f32 v95, null, v94, v94, 1.0
	s_delay_alu instid0(VALU_DEP_1) | instskip(SKIP_1) | instid1(TRANS32_DEP_1)
	v_rcp_f32_e32 v103, v95
	v_nop
	v_fma_f32 v104, -v95, v103, 1.0
	s_delay_alu instid0(VALU_DEP_1) | instskip(SKIP_1) | instid1(VALU_DEP_1)
	v_fmac_f32_e32 v103, v104, v103
	v_div_scale_f32 v104, vcc_lo, 1.0, v94, 1.0
	v_mul_f32_e32 v105, v104, v103
	s_delay_alu instid0(VALU_DEP_1) | instskip(NEXT) | instid1(VALU_DEP_1)
	v_fma_f32 v106, -v95, v105, v104
	v_fmac_f32_e32 v105, v106, v103
	s_delay_alu instid0(VALU_DEP_1) | instskip(NEXT) | instid1(VALU_DEP_1)
	v_fma_f32 v95, -v95, v105, v104
	v_div_fmas_f32 v95, v95, v103, v105
	s_delay_alu instid0(VALU_DEP_1) | instskip(NEXT) | instid1(VALU_DEP_1)
	v_div_fixup_f32 v94, v95, v94, 1.0
	v_mul_f32_e64 v95, v97, -v94
.LBB86_597:
	s_or_b32 exec_lo, exec_lo, s1
.LBB86_598:
	s_delay_alu instid0(SALU_CYCLE_1) | instskip(NEXT) | instid1(SALU_CYCLE_1)
	s_or_b32 exec_lo, exec_lo, s0
	s_mov_b32 s0, exec_lo
	v_cmpx_ne_u32_e64 v102, v96
	s_xor_b32 s0, exec_lo, s0
	s_cbranch_execz .LBB86_604
; %bb.599:
	s_mov_b32 s1, exec_lo
	v_cmpx_eq_u32_e32 28, v102
	s_cbranch_execz .LBB86_603
; %bb.600:
	v_cmp_ne_u32_e32 vcc_lo, 28, v96
	s_xor_b32 s12, s16, -1
	s_delay_alu instid0(SALU_CYCLE_1) | instskip(NEXT) | instid1(SALU_CYCLE_1)
	s_and_b32 s13, s12, vcc_lo
	s_and_saveexec_b32 s12, s13
	s_cbranch_execz .LBB86_602
; %bb.601:
	v_ashrrev_i32_e32 v97, 31, v96
	s_delay_alu instid0(VALU_DEP_1)
	v_lshl_add_u64 v[102:103], v[96:97], 2, v[4:5]
	s_clause 0x1
	global_load_b32 v97, v[102:103], off
	global_load_b32 v101, v[4:5], off offset:112
	s_wait_loadcnt 0x1
	global_store_b32 v[4:5], v97, off offset:112
	s_wait_loadcnt 0x0
	global_store_b32 v[102:103], v101, off
.LBB86_602:
	s_wait_xcnt 0x0
	s_or_b32 exec_lo, exec_lo, s12
	v_dual_mov_b32 v102, v96 :: v_dual_mov_b32 v101, v96
.LBB86_603:
	s_or_b32 exec_lo, exec_lo, s1
.LBB86_604:
	s_and_not1_saveexec_b32 s0, s0
	s_cbranch_execz .LBB86_606
; %bb.605:
	v_mov_b32_e32 v102, 28
	ds_store_2addr_b64 v98, v[42:43], v[44:45] offset0:29 offset1:30
	ds_store_2addr_b64 v98, v[10:11], v[40:41] offset0:31 offset1:32
	;; [unrolled: 1-line block ×7, first 2 shown]
	ds_store_b64 v98, v[92:93] offset:344
.LBB86_606:
	s_or_b32 exec_lo, exec_lo, s0
	s_delay_alu instid0(SALU_CYCLE_1)
	s_mov_b32 s0, exec_lo
	s_wait_storecnt_dscnt 0x0
	s_barrier_signal -1
	s_barrier_wait -1
	v_cmpx_lt_i32_e32 28, v102
	s_cbranch_execz .LBB86_608
; %bb.607:
	v_pk_mul_f32 v[104:105], v[94:95], v[46:47] op_sel:[1,1] op_sel_hi:[0,1]
	s_delay_alu instid0(VALU_DEP_1)
	v_pk_fma_f32 v[96:97], v[94:95], v[46:47], v[104:105] op_sel_hi:[1,0,1] neg_lo:[0,0,1] neg_hi:[0,0,1]
	v_pk_fma_f32 v[94:95], v[94:95], v[46:47], v[104:105] op_sel_hi:[1,0,1]
	ds_load_2addr_b64 v[104:107], v98 offset0:29 offset1:30
	v_dual_mov_b32 v46, v96 :: v_dual_mov_b32 v47, v95
	s_wait_dscnt 0x0
	v_pk_mul_f32 v[108:109], v[104:105], v[94:95] op_sel:[0,1]
	s_delay_alu instid0(VALU_DEP_1) | instskip(SKIP_1) | instid1(VALU_DEP_1)
	v_pk_fma_f32 v[110:111], v[104:105], v[96:97], v[108:109] op_sel:[0,0,1] op_sel_hi:[1,1,0] neg_lo:[0,0,1] neg_hi:[0,0,1]
	v_pk_fma_f32 v[104:105], v[104:105], v[96:97], v[108:109] op_sel:[0,0,1] op_sel_hi:[1,0,0]
	v_mov_b32_e32 v111, v105
	v_pk_mul_f32 v[104:105], v[106:107], v[94:95] op_sel:[0,1]
	s_delay_alu instid0(VALU_DEP_1) | instskip(SKIP_1) | instid1(VALU_DEP_1)
	v_pk_fma_f32 v[108:109], v[106:107], v[96:97], v[104:105] op_sel:[0,0,1] op_sel_hi:[1,1,0] neg_lo:[0,0,1] neg_hi:[0,0,1]
	v_pk_fma_f32 v[104:105], v[106:107], v[96:97], v[104:105] op_sel:[0,0,1] op_sel_hi:[1,0,0]
	v_mov_b32_e32 v109, v105
	ds_load_2addr_b64 v[104:107], v98 offset0:31 offset1:32
	v_pk_add_f32 v[42:43], v[42:43], v[110:111] neg_lo:[0,1] neg_hi:[0,1]
	v_pk_add_f32 v[44:45], v[44:45], v[108:109] neg_lo:[0,1] neg_hi:[0,1]
	s_wait_dscnt 0x0
	v_pk_mul_f32 v[108:109], v[104:105], v[94:95] op_sel:[0,1]
	s_delay_alu instid0(VALU_DEP_1) | instskip(SKIP_2) | instid1(VALU_DEP_2)
	v_pk_fma_f32 v[110:111], v[104:105], v[96:97], v[108:109] op_sel:[0,0,1] op_sel_hi:[1,1,0] neg_lo:[0,0,1] neg_hi:[0,0,1]
	v_pk_fma_f32 v[104:105], v[104:105], v[96:97], v[108:109] op_sel:[0,0,1] op_sel_hi:[1,0,0]
	v_dual_mul_f32 v108, v107, v95 :: v_dual_mov_b32 v104, v107
	v_dual_mov_b32 v111, v105 :: v_dual_mov_b32 v105, v106
	s_delay_alu instid0(VALU_DEP_2) | instskip(SKIP_1) | instid1(VALU_DEP_3)
	v_pk_fma_f32 v[108:109], v[106:107], v[46:47], v[108:109] op_sel_hi:[1,1,0] neg_lo:[0,0,1] neg_hi:[0,0,1]
	v_mul_f32_e32 v106, v107, v96
	v_pk_add_f32 v[10:11], v[10:11], v[110:111] neg_lo:[0,1] neg_hi:[0,1]
	s_delay_alu instid0(VALU_DEP_2) | instskip(NEXT) | instid1(VALU_DEP_1)
	v_pk_fma_f32 v[104:105], v[104:105], v[46:47], v[106:107] op_sel_hi:[1,1,0]
	v_mov_b32_e32 v109, v105
	ds_load_2addr_b64 v[104:107], v98 offset0:33 offset1:34
	v_pk_add_f32 v[40:41], v[40:41], v[108:109] neg_lo:[0,1] neg_hi:[0,1]
	s_wait_dscnt 0x0
	v_pk_mul_f32 v[108:109], v[104:105], v[94:95] op_sel:[0,1]
	s_delay_alu instid0(VALU_DEP_1) | instskip(SKIP_1) | instid1(VALU_DEP_1)
	v_pk_fma_f32 v[110:111], v[104:105], v[96:97], v[108:109] op_sel:[0,0,1] op_sel_hi:[1,1,0] neg_lo:[0,0,1] neg_hi:[0,0,1]
	v_pk_fma_f32 v[104:105], v[104:105], v[96:97], v[108:109] op_sel:[0,0,1] op_sel_hi:[1,0,0]
	v_mov_b32_e32 v111, v105
	v_pk_mul_f32 v[104:105], v[106:107], v[94:95] op_sel:[0,1]
	s_delay_alu instid0(VALU_DEP_1) | instskip(SKIP_1) | instid1(VALU_DEP_1)
	v_pk_fma_f32 v[108:109], v[106:107], v[96:97], v[104:105] op_sel:[0,0,1] op_sel_hi:[1,1,0] neg_lo:[0,0,1] neg_hi:[0,0,1]
	v_pk_fma_f32 v[104:105], v[106:107], v[96:97], v[104:105] op_sel:[0,0,1] op_sel_hi:[1,0,0]
	v_mov_b32_e32 v109, v105
	ds_load_2addr_b64 v[104:107], v98 offset0:35 offset1:36
	v_pk_add_f32 v[36:37], v[36:37], v[110:111] neg_lo:[0,1] neg_hi:[0,1]
	v_pk_add_f32 v[38:39], v[38:39], v[108:109] neg_lo:[0,1] neg_hi:[0,1]
	s_wait_dscnt 0x0
	v_pk_mul_f32 v[108:109], v[104:105], v[94:95] op_sel:[0,1]
	s_delay_alu instid0(VALU_DEP_1) | instskip(SKIP_1) | instid1(VALU_DEP_1)
	v_pk_fma_f32 v[110:111], v[104:105], v[96:97], v[108:109] op_sel:[0,0,1] op_sel_hi:[1,1,0] neg_lo:[0,0,1] neg_hi:[0,0,1]
	v_pk_fma_f32 v[104:105], v[104:105], v[96:97], v[108:109] op_sel:[0,0,1] op_sel_hi:[1,0,0]
	v_mov_b32_e32 v111, v105
	v_pk_mul_f32 v[104:105], v[106:107], v[94:95] op_sel:[0,1]
	s_delay_alu instid0(VALU_DEP_1) | instskip(SKIP_1) | instid1(VALU_DEP_1)
	v_pk_fma_f32 v[108:109], v[106:107], v[96:97], v[104:105] op_sel:[0,0,1] op_sel_hi:[1,1,0] neg_lo:[0,0,1] neg_hi:[0,0,1]
	v_pk_fma_f32 v[104:105], v[106:107], v[96:97], v[104:105] op_sel:[0,0,1] op_sel_hi:[1,0,0]
	v_mov_b32_e32 v109, v105
	ds_load_2addr_b64 v[104:107], v98 offset0:37 offset1:38
	v_pk_add_f32 v[6:7], v[6:7], v[110:111] neg_lo:[0,1] neg_hi:[0,1]
	v_pk_add_f32 v[34:35], v[34:35], v[108:109] neg_lo:[0,1] neg_hi:[0,1]
	s_wait_dscnt 0x0
	v_dual_mul_f32 v108, v105, v95 :: v_dual_mul_f32 v110, v105, v96
	s_delay_alu instid0(VALU_DEP_1) | instskip(NEXT) | instid1(VALU_DEP_2)
	v_pk_fma_f32 v[108:109], v[104:105], v[46:47], v[108:109] op_sel_hi:[1,1,0] neg_lo:[0,0,1] neg_hi:[0,0,1]
	v_pk_fma_f32 v[104:105], v[104:105], v[46:47], v[110:111] op_sel:[1,0,0] op_sel_hi:[0,1,0]
	s_delay_alu instid0(VALU_DEP_1) | instskip(SKIP_1) | instid1(VALU_DEP_2)
	v_mov_b32_e32 v109, v105
	v_pk_mul_f32 v[104:105], v[106:107], v[94:95] op_sel:[0,1]
	v_pk_add_f32 v[30:31], v[30:31], v[108:109] neg_lo:[0,1] neg_hi:[0,1]
	s_delay_alu instid0(VALU_DEP_2) | instskip(SKIP_1) | instid1(VALU_DEP_1)
	v_pk_fma_f32 v[108:109], v[106:107], v[96:97], v[104:105] op_sel:[0,0,1] op_sel_hi:[1,1,0] neg_lo:[0,0,1] neg_hi:[0,0,1]
	v_pk_fma_f32 v[104:105], v[106:107], v[96:97], v[104:105] op_sel:[0,0,1] op_sel_hi:[1,0,0]
	v_mov_b32_e32 v109, v105
	ds_load_2addr_b64 v[104:107], v98 offset0:39 offset1:40
	v_pk_add_f32 v[32:33], v[32:33], v[108:109] neg_lo:[0,1] neg_hi:[0,1]
	s_wait_dscnt 0x0
	v_pk_mul_f32 v[108:109], v[104:105], v[94:95] op_sel:[0,1]
	s_delay_alu instid0(VALU_DEP_1) | instskip(SKIP_1) | instid1(VALU_DEP_1)
	v_pk_fma_f32 v[110:111], v[104:105], v[96:97], v[108:109] op_sel:[0,0,1] op_sel_hi:[1,1,0] neg_lo:[0,0,1] neg_hi:[0,0,1]
	v_pk_fma_f32 v[104:105], v[104:105], v[96:97], v[108:109] op_sel:[0,0,1] op_sel_hi:[1,0,0]
	v_mov_b32_e32 v111, v105
	v_pk_mul_f32 v[104:105], v[106:107], v[94:95] op_sel:[0,1]
	s_delay_alu instid0(VALU_DEP_2) | instskip(NEXT) | instid1(VALU_DEP_2)
	v_pk_add_f32 v[8:9], v[8:9], v[110:111] neg_lo:[0,1] neg_hi:[0,1]
	v_pk_fma_f32 v[108:109], v[106:107], v[96:97], v[104:105] op_sel:[0,0,1] op_sel_hi:[1,1,0] neg_lo:[0,0,1] neg_hi:[0,0,1]
	v_pk_fma_f32 v[104:105], v[106:107], v[96:97], v[104:105] op_sel:[0,0,1] op_sel_hi:[1,0,0]
	s_delay_alu instid0(VALU_DEP_1) | instskip(SKIP_4) | instid1(VALU_DEP_1)
	v_mov_b32_e32 v109, v105
	ds_load_2addr_b64 v[104:107], v98 offset0:41 offset1:42
	v_pk_add_f32 v[28:29], v[28:29], v[108:109] neg_lo:[0,1] neg_hi:[0,1]
	s_wait_dscnt 0x0
	v_pk_mul_f32 v[108:109], v[104:105], v[94:95] op_sel:[0,1]
	v_pk_fma_f32 v[110:111], v[104:105], v[96:97], v[108:109] op_sel:[0,0,1] op_sel_hi:[1,1,0] neg_lo:[0,0,1] neg_hi:[0,0,1]
	v_pk_fma_f32 v[104:105], v[104:105], v[96:97], v[108:109] op_sel:[0,0,1] op_sel_hi:[1,0,0]
	v_dual_mul_f32 v108, v107, v95 :: v_dual_mov_b32 v104, v107
	s_delay_alu instid0(VALU_DEP_2) | instskip(NEXT) | instid1(VALU_DEP_2)
	v_dual_mov_b32 v111, v105 :: v_dual_mov_b32 v105, v106
	v_pk_fma_f32 v[108:109], v[106:107], v[46:47], v[108:109] op_sel_hi:[1,1,0] neg_lo:[0,0,1] neg_hi:[0,0,1]
	v_mul_f32_e32 v106, v107, v96
	s_delay_alu instid0(VALU_DEP_3) | instskip(NEXT) | instid1(VALU_DEP_2)
	v_pk_add_f32 v[20:21], v[20:21], v[110:111] neg_lo:[0,1] neg_hi:[0,1]
	v_pk_fma_f32 v[104:105], v[104:105], v[46:47], v[106:107] op_sel_hi:[1,1,0]
	s_delay_alu instid0(VALU_DEP_1) | instskip(SKIP_4) | instid1(VALU_DEP_1)
	v_mov_b32_e32 v109, v105
	ds_load_b64 v[104:105], v98 offset:344
	v_pk_add_f32 v[16:17], v[16:17], v[108:109] neg_lo:[0,1] neg_hi:[0,1]
	s_wait_dscnt 0x0
	v_pk_mul_f32 v[94:95], v[104:105], v[94:95] op_sel:[0,1]
	v_pk_fma_f32 v[106:107], v[104:105], v[96:97], v[94:95] op_sel:[0,0,1] op_sel_hi:[1,1,0] neg_lo:[0,0,1] neg_hi:[0,0,1]
	v_pk_fma_f32 v[94:95], v[104:105], v[96:97], v[94:95] op_sel:[0,0,1] op_sel_hi:[1,0,0]
	s_delay_alu instid0(VALU_DEP_1) | instskip(NEXT) | instid1(VALU_DEP_1)
	v_mov_b32_e32 v107, v95
	v_pk_add_f32 v[92:93], v[92:93], v[106:107] neg_lo:[0,1] neg_hi:[0,1]
.LBB86_608:
	s_or_b32 exec_lo, exec_lo, s0
	v_lshl_add_u32 v94, v102, 3, v98
	s_barrier_signal -1
	s_barrier_wait -1
	ds_store_b64 v94, v[42:43]
	s_wait_dscnt 0x0
	s_barrier_signal -1
	s_barrier_wait -1
	ds_load_b64 v[94:95], v98 offset:232
	v_mov_b32_e32 v96, 29
	s_cmp_lt_i32 s18, 31
	s_cbranch_scc1 .LBB86_611
; %bb.609:
	v_add3_u32 v97, v99, 0, 0xf0
	v_mov_b32_e32 v96, 29
	s_mov_b32 s0, 30
.LBB86_610:                             ; =>This Inner Loop Header: Depth=1
	ds_load_b64 v[104:105], v97
	s_wait_dscnt 0x1
	v_cmp_gt_f32_e32 vcc_lo, 0, v94
	v_cndmask_b32_e64 v106, v94, -v94, vcc_lo
	v_cmp_gt_f32_e32 vcc_lo, 0, v95
	v_cndmask_b32_e64 v108, v95, -v95, vcc_lo
	s_wait_dscnt 0x0
	v_cmp_gt_f32_e32 vcc_lo, 0, v104
	v_cndmask_b32_e64 v107, v104, -v104, vcc_lo
	v_cmp_gt_f32_e32 vcc_lo, 0, v105
	v_cndmask_b32_e64 v109, v105, -v105, vcc_lo
	s_delay_alu instid0(VALU_DEP_1) | instskip(NEXT) | instid1(VALU_DEP_1)
	v_pk_add_f32 v[106:107], v[106:107], v[108:109]
	v_cmp_lt_f32_e32 vcc_lo, v106, v107
	v_dual_cndmask_b32 v94, v94, v104 :: v_dual_add_nc_u32 v97, 8, v97
	v_cndmask_b32_e32 v95, v95, v105, vcc_lo
	v_cndmask_b32_e64 v96, v96, s0, vcc_lo
	s_add_co_i32 s0, s0, 1
	s_delay_alu instid0(SALU_CYCLE_1)
	s_cmp_lg_u32 s18, s0
	s_cbranch_scc1 .LBB86_610
.LBB86_611:
	s_wait_dscnt 0x0
	v_cmp_eq_f32_e32 vcc_lo, 0, v94
	v_cmp_eq_f32_e64 s0, 0, v95
	s_and_b32 s0, vcc_lo, s0
	s_delay_alu instid0(SALU_CYCLE_1) | instskip(NEXT) | instid1(SALU_CYCLE_1)
	s_and_saveexec_b32 s1, s0
	s_xor_b32 s0, exec_lo, s1
; %bb.612:
	v_cmp_ne_u32_e32 vcc_lo, 0, v100
	v_cndmask_b32_e32 v100, 30, v100, vcc_lo
; %bb.613:
	s_and_not1_saveexec_b32 s0, s0
	s_cbranch_execz .LBB86_619
; %bb.614:
	v_cmp_ngt_f32_e64 s1, |v94|, |v95|
	s_and_saveexec_b32 s12, s1
	s_delay_alu instid0(SALU_CYCLE_1)
	s_xor_b32 s1, exec_lo, s12
	s_cbranch_execz .LBB86_616
; %bb.615:
	v_div_scale_f32 v97, null, v95, v95, v94
	v_div_scale_f32 v105, vcc_lo, v94, v95, v94
	s_delay_alu instid0(VALU_DEP_2) | instskip(SKIP_1) | instid1(TRANS32_DEP_1)
	v_rcp_f32_e32 v103, v97
	v_nop
	v_fma_f32 v104, -v97, v103, 1.0
	s_delay_alu instid0(VALU_DEP_1) | instskip(NEXT) | instid1(VALU_DEP_1)
	v_fmac_f32_e32 v103, v104, v103
	v_mul_f32_e32 v104, v105, v103
	s_delay_alu instid0(VALU_DEP_1) | instskip(NEXT) | instid1(VALU_DEP_1)
	v_fma_f32 v106, -v97, v104, v105
	v_fmac_f32_e32 v104, v106, v103
	s_delay_alu instid0(VALU_DEP_1) | instskip(NEXT) | instid1(VALU_DEP_1)
	v_fma_f32 v97, -v97, v104, v105
	v_div_fmas_f32 v97, v97, v103, v104
	s_delay_alu instid0(VALU_DEP_1) | instskip(NEXT) | instid1(VALU_DEP_1)
	v_div_fixup_f32 v97, v97, v95, v94
	v_fmac_f32_e32 v95, v94, v97
	s_delay_alu instid0(VALU_DEP_1) | instskip(SKIP_1) | instid1(VALU_DEP_2)
	v_div_scale_f32 v94, null, v95, v95, 1.0
	v_div_scale_f32 v105, vcc_lo, 1.0, v95, 1.0
	v_rcp_f32_e32 v103, v94
	v_nop
	s_delay_alu instid0(TRANS32_DEP_1) | instskip(NEXT) | instid1(VALU_DEP_1)
	v_fma_f32 v104, -v94, v103, 1.0
	v_fmac_f32_e32 v103, v104, v103
	s_delay_alu instid0(VALU_DEP_1) | instskip(NEXT) | instid1(VALU_DEP_1)
	v_mul_f32_e32 v104, v105, v103
	v_fma_f32 v106, -v94, v104, v105
	s_delay_alu instid0(VALU_DEP_1) | instskip(NEXT) | instid1(VALU_DEP_1)
	v_fmac_f32_e32 v104, v106, v103
	v_fma_f32 v94, -v94, v104, v105
	s_delay_alu instid0(VALU_DEP_1) | instskip(NEXT) | instid1(VALU_DEP_1)
	v_div_fmas_f32 v94, v94, v103, v104
	v_div_fixup_f32 v95, v94, v95, 1.0
	s_delay_alu instid0(VALU_DEP_1)
	v_mul_f32_e32 v94, v97, v95
	v_xor_b32_e32 v95, 0x80000000, v95
.LBB86_616:
	s_and_not1_saveexec_b32 s1, s1
	s_cbranch_execz .LBB86_618
; %bb.617:
	s_delay_alu instid0(VALU_DEP_1) | instskip(SKIP_1) | instid1(VALU_DEP_2)
	v_div_scale_f32 v97, null, v94, v94, v95
	v_div_scale_f32 v105, vcc_lo, v95, v94, v95
	v_rcp_f32_e32 v103, v97
	v_nop
	s_delay_alu instid0(TRANS32_DEP_1) | instskip(NEXT) | instid1(VALU_DEP_1)
	v_fma_f32 v104, -v97, v103, 1.0
	v_fmac_f32_e32 v103, v104, v103
	s_delay_alu instid0(VALU_DEP_1) | instskip(NEXT) | instid1(VALU_DEP_1)
	v_mul_f32_e32 v104, v105, v103
	v_fma_f32 v106, -v97, v104, v105
	s_delay_alu instid0(VALU_DEP_1) | instskip(NEXT) | instid1(VALU_DEP_1)
	v_fmac_f32_e32 v104, v106, v103
	v_fma_f32 v97, -v97, v104, v105
	s_delay_alu instid0(VALU_DEP_1) | instskip(NEXT) | instid1(VALU_DEP_1)
	v_div_fmas_f32 v97, v97, v103, v104
	v_div_fixup_f32 v97, v97, v94, v95
	s_delay_alu instid0(VALU_DEP_1) | instskip(NEXT) | instid1(VALU_DEP_1)
	v_fmac_f32_e32 v94, v95, v97
	v_div_scale_f32 v95, null, v94, v94, 1.0
	s_delay_alu instid0(VALU_DEP_1) | instskip(SKIP_1) | instid1(TRANS32_DEP_1)
	v_rcp_f32_e32 v103, v95
	v_nop
	v_fma_f32 v104, -v95, v103, 1.0
	s_delay_alu instid0(VALU_DEP_1) | instskip(SKIP_1) | instid1(VALU_DEP_1)
	v_fmac_f32_e32 v103, v104, v103
	v_div_scale_f32 v104, vcc_lo, 1.0, v94, 1.0
	v_mul_f32_e32 v105, v104, v103
	s_delay_alu instid0(VALU_DEP_1) | instskip(NEXT) | instid1(VALU_DEP_1)
	v_fma_f32 v106, -v95, v105, v104
	v_fmac_f32_e32 v105, v106, v103
	s_delay_alu instid0(VALU_DEP_1) | instskip(NEXT) | instid1(VALU_DEP_1)
	v_fma_f32 v95, -v95, v105, v104
	v_div_fmas_f32 v95, v95, v103, v105
	s_delay_alu instid0(VALU_DEP_1) | instskip(NEXT) | instid1(VALU_DEP_1)
	v_div_fixup_f32 v94, v95, v94, 1.0
	v_mul_f32_e64 v95, v97, -v94
.LBB86_618:
	s_or_b32 exec_lo, exec_lo, s1
.LBB86_619:
	s_delay_alu instid0(SALU_CYCLE_1) | instskip(NEXT) | instid1(SALU_CYCLE_1)
	s_or_b32 exec_lo, exec_lo, s0
	s_mov_b32 s0, exec_lo
	v_cmpx_ne_u32_e64 v102, v96
	s_xor_b32 s0, exec_lo, s0
	s_cbranch_execz .LBB86_625
; %bb.620:
	s_mov_b32 s1, exec_lo
	v_cmpx_eq_u32_e32 29, v102
	s_cbranch_execz .LBB86_624
; %bb.621:
	v_cmp_ne_u32_e32 vcc_lo, 29, v96
	s_xor_b32 s12, s16, -1
	s_delay_alu instid0(SALU_CYCLE_1) | instskip(NEXT) | instid1(SALU_CYCLE_1)
	s_and_b32 s13, s12, vcc_lo
	s_and_saveexec_b32 s12, s13
	s_cbranch_execz .LBB86_623
; %bb.622:
	v_ashrrev_i32_e32 v97, 31, v96
	s_delay_alu instid0(VALU_DEP_1)
	v_lshl_add_u64 v[102:103], v[96:97], 2, v[4:5]
	s_clause 0x1
	global_load_b32 v97, v[102:103], off
	global_load_b32 v101, v[4:5], off offset:116
	s_wait_loadcnt 0x1
	global_store_b32 v[4:5], v97, off offset:116
	s_wait_loadcnt 0x0
	global_store_b32 v[102:103], v101, off
.LBB86_623:
	s_wait_xcnt 0x0
	s_or_b32 exec_lo, exec_lo, s12
	v_dual_mov_b32 v102, v96 :: v_dual_mov_b32 v101, v96
.LBB86_624:
	s_or_b32 exec_lo, exec_lo, s1
.LBB86_625:
	s_and_not1_saveexec_b32 s0, s0
	s_cbranch_execz .LBB86_627
; %bb.626:
	v_dual_mov_b32 v96, v44 :: v_dual_mov_b32 v97, v45
	v_dual_mov_b32 v102, v10 :: v_dual_mov_b32 v103, v11
	;; [unrolled: 1-line block ×4, first 2 shown]
	ds_store_2addr_b64 v98, v[96:97], v[102:103] offset0:30 offset1:31
	ds_store_2addr_b64 v98, v[104:105], v[106:107] offset0:32 offset1:33
	v_dual_mov_b32 v96, v38 :: v_dual_mov_b32 v97, v39
	v_dual_mov_b32 v104, v6 :: v_dual_mov_b32 v105, v7
	;; [unrolled: 1-line block ×9, first 2 shown]
	v_mov_b32_e32 v119, v17
	ds_store_2addr_b64 v98, v[96:97], v[104:105] offset0:34 offset1:35
	ds_store_2addr_b64 v98, v[106:107], v[108:109] offset0:36 offset1:37
	;; [unrolled: 1-line block ×5, first 2 shown]
.LBB86_627:
	s_or_b32 exec_lo, exec_lo, s0
	s_delay_alu instid0(SALU_CYCLE_1)
	s_mov_b32 s0, exec_lo
	s_wait_storecnt_dscnt 0x0
	s_barrier_signal -1
	s_barrier_wait -1
	v_cmpx_lt_i32_e32 29, v102
	s_cbranch_execz .LBB86_629
; %bb.628:
	v_pk_mul_f32 v[96:97], v[94:95], v[42:43] op_sel:[1,1] op_sel_hi:[0,1]
	s_delay_alu instid0(VALU_DEP_1)
	v_pk_fma_f32 v[104:105], v[94:95], v[42:43], v[96:97] op_sel_hi:[1,0,1] neg_lo:[0,0,1] neg_hi:[0,0,1]
	v_pk_fma_f32 v[106:107], v[94:95], v[42:43], v[96:97] op_sel_hi:[1,0,1]
	ds_load_2addr_b64 v[94:97], v98 offset0:30 offset1:31
	v_dual_mov_b32 v42, v104 :: v_dual_mov_b32 v43, v107
	s_wait_dscnt 0x0
	v_pk_mul_f32 v[108:109], v[94:95], v[106:107] op_sel:[0,1]
	s_delay_alu instid0(VALU_DEP_1) | instskip(SKIP_1) | instid1(VALU_DEP_1)
	v_pk_fma_f32 v[110:111], v[94:95], v[104:105], v[108:109] op_sel:[0,0,1] op_sel_hi:[1,1,0] neg_lo:[0,0,1] neg_hi:[0,0,1]
	v_pk_fma_f32 v[94:95], v[94:95], v[104:105], v[108:109] op_sel:[0,0,1] op_sel_hi:[1,0,0]
	v_mov_b32_e32 v111, v95
	v_pk_mul_f32 v[94:95], v[96:97], v[106:107] op_sel:[0,1]
	s_delay_alu instid0(VALU_DEP_1) | instskip(SKIP_1) | instid1(VALU_DEP_1)
	v_pk_fma_f32 v[108:109], v[96:97], v[104:105], v[94:95] op_sel:[0,0,1] op_sel_hi:[1,1,0] neg_lo:[0,0,1] neg_hi:[0,0,1]
	v_pk_fma_f32 v[94:95], v[96:97], v[104:105], v[94:95] op_sel:[0,0,1] op_sel_hi:[1,0,0]
	v_mov_b32_e32 v109, v95
	ds_load_2addr_b64 v[94:97], v98 offset0:32 offset1:33
	v_pk_add_f32 v[44:45], v[44:45], v[110:111] neg_lo:[0,1] neg_hi:[0,1]
	v_pk_add_f32 v[10:11], v[10:11], v[108:109] neg_lo:[0,1] neg_hi:[0,1]
	s_wait_dscnt 0x0
	v_pk_mul_f32 v[108:109], v[94:95], v[106:107] op_sel:[0,1]
	s_delay_alu instid0(VALU_DEP_1) | instskip(SKIP_2) | instid1(VALU_DEP_2)
	v_pk_fma_f32 v[110:111], v[94:95], v[104:105], v[108:109] op_sel:[0,0,1] op_sel_hi:[1,1,0] neg_lo:[0,0,1] neg_hi:[0,0,1]
	v_pk_fma_f32 v[94:95], v[94:95], v[104:105], v[108:109] op_sel:[0,0,1] op_sel_hi:[1,0,0]
	v_dual_mul_f32 v108, v97, v107 :: v_dual_mov_b32 v94, v97
	v_dual_mov_b32 v111, v95 :: v_dual_mov_b32 v95, v96
	s_delay_alu instid0(VALU_DEP_2) | instskip(SKIP_1) | instid1(VALU_DEP_3)
	v_pk_fma_f32 v[108:109], v[96:97], v[42:43], v[108:109] op_sel_hi:[1,1,0] neg_lo:[0,0,1] neg_hi:[0,0,1]
	v_mul_f32_e32 v96, v97, v104
	v_pk_add_f32 v[40:41], v[40:41], v[110:111] neg_lo:[0,1] neg_hi:[0,1]
	s_delay_alu instid0(VALU_DEP_2) | instskip(NEXT) | instid1(VALU_DEP_1)
	v_pk_fma_f32 v[94:95], v[94:95], v[42:43], v[96:97] op_sel_hi:[1,1,0]
	v_mov_b32_e32 v109, v95
	ds_load_2addr_b64 v[94:97], v98 offset0:34 offset1:35
	v_pk_add_f32 v[36:37], v[36:37], v[108:109] neg_lo:[0,1] neg_hi:[0,1]
	s_wait_dscnt 0x0
	v_pk_mul_f32 v[108:109], v[94:95], v[106:107] op_sel:[0,1]
	s_delay_alu instid0(VALU_DEP_1) | instskip(SKIP_1) | instid1(VALU_DEP_1)
	v_pk_fma_f32 v[110:111], v[94:95], v[104:105], v[108:109] op_sel:[0,0,1] op_sel_hi:[1,1,0] neg_lo:[0,0,1] neg_hi:[0,0,1]
	v_pk_fma_f32 v[94:95], v[94:95], v[104:105], v[108:109] op_sel:[0,0,1] op_sel_hi:[1,0,0]
	v_mov_b32_e32 v111, v95
	v_pk_mul_f32 v[94:95], v[96:97], v[106:107] op_sel:[0,1]
	s_delay_alu instid0(VALU_DEP_1) | instskip(SKIP_1) | instid1(VALU_DEP_1)
	v_pk_fma_f32 v[108:109], v[96:97], v[104:105], v[94:95] op_sel:[0,0,1] op_sel_hi:[1,1,0] neg_lo:[0,0,1] neg_hi:[0,0,1]
	v_pk_fma_f32 v[94:95], v[96:97], v[104:105], v[94:95] op_sel:[0,0,1] op_sel_hi:[1,0,0]
	v_mov_b32_e32 v109, v95
	ds_load_2addr_b64 v[94:97], v98 offset0:36 offset1:37
	v_pk_add_f32 v[38:39], v[38:39], v[110:111] neg_lo:[0,1] neg_hi:[0,1]
	v_pk_add_f32 v[6:7], v[6:7], v[108:109] neg_lo:[0,1] neg_hi:[0,1]
	s_wait_dscnt 0x0
	v_pk_mul_f32 v[108:109], v[94:95], v[106:107] op_sel:[0,1]
	s_delay_alu instid0(VALU_DEP_1) | instskip(SKIP_1) | instid1(VALU_DEP_1)
	v_pk_fma_f32 v[110:111], v[94:95], v[104:105], v[108:109] op_sel:[0,0,1] op_sel_hi:[1,1,0] neg_lo:[0,0,1] neg_hi:[0,0,1]
	v_pk_fma_f32 v[94:95], v[94:95], v[104:105], v[108:109] op_sel:[0,0,1] op_sel_hi:[1,0,0]
	v_mov_b32_e32 v111, v95
	v_pk_mul_f32 v[94:95], v[96:97], v[106:107] op_sel:[0,1]
	s_delay_alu instid0(VALU_DEP_1) | instskip(SKIP_1) | instid1(VALU_DEP_1)
	v_pk_fma_f32 v[108:109], v[96:97], v[104:105], v[94:95] op_sel:[0,0,1] op_sel_hi:[1,1,0] neg_lo:[0,0,1] neg_hi:[0,0,1]
	v_pk_fma_f32 v[94:95], v[96:97], v[104:105], v[94:95] op_sel:[0,0,1] op_sel_hi:[1,0,0]
	v_mov_b32_e32 v109, v95
	ds_load_2addr_b64 v[94:97], v98 offset0:38 offset1:39
	v_pk_add_f32 v[34:35], v[34:35], v[110:111] neg_lo:[0,1] neg_hi:[0,1]
	v_pk_add_f32 v[30:31], v[30:31], v[108:109] neg_lo:[0,1] neg_hi:[0,1]
	s_wait_dscnt 0x0
	v_dual_mul_f32 v108, v95, v107 :: v_dual_mul_f32 v110, v95, v104
	s_delay_alu instid0(VALU_DEP_1) | instskip(NEXT) | instid1(VALU_DEP_2)
	v_pk_fma_f32 v[108:109], v[94:95], v[42:43], v[108:109] op_sel_hi:[1,1,0] neg_lo:[0,0,1] neg_hi:[0,0,1]
	v_pk_fma_f32 v[94:95], v[94:95], v[42:43], v[110:111] op_sel:[1,0,0] op_sel_hi:[0,1,0]
	s_delay_alu instid0(VALU_DEP_1) | instskip(SKIP_1) | instid1(VALU_DEP_2)
	v_mov_b32_e32 v109, v95
	v_pk_mul_f32 v[94:95], v[96:97], v[106:107] op_sel:[0,1]
	v_pk_add_f32 v[32:33], v[32:33], v[108:109] neg_lo:[0,1] neg_hi:[0,1]
	s_delay_alu instid0(VALU_DEP_2) | instskip(SKIP_1) | instid1(VALU_DEP_1)
	v_pk_fma_f32 v[108:109], v[96:97], v[104:105], v[94:95] op_sel:[0,0,1] op_sel_hi:[1,1,0] neg_lo:[0,0,1] neg_hi:[0,0,1]
	v_pk_fma_f32 v[94:95], v[96:97], v[104:105], v[94:95] op_sel:[0,0,1] op_sel_hi:[1,0,0]
	v_mov_b32_e32 v109, v95
	ds_load_2addr_b64 v[94:97], v98 offset0:40 offset1:41
	v_pk_add_f32 v[8:9], v[8:9], v[108:109] neg_lo:[0,1] neg_hi:[0,1]
	s_wait_dscnt 0x0
	v_pk_mul_f32 v[108:109], v[94:95], v[106:107] op_sel:[0,1]
	s_delay_alu instid0(VALU_DEP_1) | instskip(SKIP_1) | instid1(VALU_DEP_1)
	v_pk_fma_f32 v[110:111], v[94:95], v[104:105], v[108:109] op_sel:[0,0,1] op_sel_hi:[1,1,0] neg_lo:[0,0,1] neg_hi:[0,0,1]
	v_pk_fma_f32 v[94:95], v[94:95], v[104:105], v[108:109] op_sel:[0,0,1] op_sel_hi:[1,0,0]
	v_mov_b32_e32 v111, v95
	v_pk_mul_f32 v[94:95], v[96:97], v[106:107] op_sel:[0,1]
	s_delay_alu instid0(VALU_DEP_2) | instskip(NEXT) | instid1(VALU_DEP_2)
	v_pk_add_f32 v[28:29], v[28:29], v[110:111] neg_lo:[0,1] neg_hi:[0,1]
	v_pk_fma_f32 v[108:109], v[96:97], v[104:105], v[94:95] op_sel:[0,0,1] op_sel_hi:[1,1,0] neg_lo:[0,0,1] neg_hi:[0,0,1]
	v_pk_fma_f32 v[94:95], v[96:97], v[104:105], v[94:95] op_sel:[0,0,1] op_sel_hi:[1,0,0]
	s_delay_alu instid0(VALU_DEP_1) | instskip(SKIP_4) | instid1(VALU_DEP_1)
	v_mov_b32_e32 v109, v95
	ds_load_2addr_b64 v[94:97], v98 offset0:42 offset1:43
	v_pk_add_f32 v[20:21], v[20:21], v[108:109] neg_lo:[0,1] neg_hi:[0,1]
	s_wait_dscnt 0x0
	v_pk_mul_f32 v[108:109], v[94:95], v[106:107] op_sel:[0,1]
	v_pk_fma_f32 v[110:111], v[94:95], v[104:105], v[108:109] op_sel:[0,0,1] op_sel_hi:[1,1,0] neg_lo:[0,0,1] neg_hi:[0,0,1]
	v_pk_fma_f32 v[94:95], v[94:95], v[104:105], v[108:109] op_sel:[0,0,1] op_sel_hi:[1,0,0]
	s_delay_alu instid0(VALU_DEP_1) | instskip(SKIP_1) | instid1(VALU_DEP_2)
	v_mov_b32_e32 v111, v95
	v_pk_mul_f32 v[94:95], v[96:97], v[106:107] op_sel:[0,1]
	v_pk_add_f32 v[16:17], v[16:17], v[110:111] neg_lo:[0,1] neg_hi:[0,1]
	s_delay_alu instid0(VALU_DEP_2) | instskip(SKIP_1) | instid1(VALU_DEP_1)
	v_pk_fma_f32 v[106:107], v[96:97], v[104:105], v[94:95] op_sel:[0,0,1] op_sel_hi:[1,1,0] neg_lo:[0,0,1] neg_hi:[0,0,1]
	v_pk_fma_f32 v[94:95], v[96:97], v[104:105], v[94:95] op_sel:[0,0,1] op_sel_hi:[1,0,0]
	v_mov_b32_e32 v107, v95
	s_delay_alu instid0(VALU_DEP_1)
	v_pk_add_f32 v[92:93], v[92:93], v[106:107] neg_lo:[0,1] neg_hi:[0,1]
.LBB86_629:
	s_or_b32 exec_lo, exec_lo, s0
	v_lshl_add_u32 v94, v102, 3, v98
	s_barrier_signal -1
	s_barrier_wait -1
	ds_store_b64 v94, v[44:45]
	s_wait_dscnt 0x0
	s_barrier_signal -1
	s_barrier_wait -1
	ds_load_b64 v[94:95], v98 offset:240
	v_mov_b32_e32 v96, 30
	s_cmp_lt_i32 s18, 32
	s_cbranch_scc1 .LBB86_632
; %bb.630:
	v_add3_u32 v97, v99, 0, 0xf8
	v_mov_b32_e32 v96, 30
	s_mov_b32 s0, 31
.LBB86_631:                             ; =>This Inner Loop Header: Depth=1
	ds_load_b64 v[104:105], v97
	s_wait_dscnt 0x1
	v_cmp_gt_f32_e32 vcc_lo, 0, v94
	v_cndmask_b32_e64 v106, v94, -v94, vcc_lo
	v_cmp_gt_f32_e32 vcc_lo, 0, v95
	v_cndmask_b32_e64 v108, v95, -v95, vcc_lo
	s_wait_dscnt 0x0
	v_cmp_gt_f32_e32 vcc_lo, 0, v104
	v_cndmask_b32_e64 v107, v104, -v104, vcc_lo
	v_cmp_gt_f32_e32 vcc_lo, 0, v105
	v_cndmask_b32_e64 v109, v105, -v105, vcc_lo
	s_delay_alu instid0(VALU_DEP_1) | instskip(NEXT) | instid1(VALU_DEP_1)
	v_pk_add_f32 v[106:107], v[106:107], v[108:109]
	v_cmp_lt_f32_e32 vcc_lo, v106, v107
	v_dual_cndmask_b32 v94, v94, v104 :: v_dual_add_nc_u32 v97, 8, v97
	v_cndmask_b32_e32 v95, v95, v105, vcc_lo
	v_cndmask_b32_e64 v96, v96, s0, vcc_lo
	s_add_co_i32 s0, s0, 1
	s_delay_alu instid0(SALU_CYCLE_1)
	s_cmp_lg_u32 s18, s0
	s_cbranch_scc1 .LBB86_631
.LBB86_632:
	s_wait_dscnt 0x0
	v_cmp_eq_f32_e32 vcc_lo, 0, v94
	v_cmp_eq_f32_e64 s0, 0, v95
	s_and_b32 s0, vcc_lo, s0
	s_delay_alu instid0(SALU_CYCLE_1) | instskip(NEXT) | instid1(SALU_CYCLE_1)
	s_and_saveexec_b32 s1, s0
	s_xor_b32 s0, exec_lo, s1
; %bb.633:
	v_cmp_ne_u32_e32 vcc_lo, 0, v100
	v_cndmask_b32_e32 v100, 31, v100, vcc_lo
; %bb.634:
	s_and_not1_saveexec_b32 s0, s0
	s_cbranch_execz .LBB86_640
; %bb.635:
	v_cmp_ngt_f32_e64 s1, |v94|, |v95|
	s_and_saveexec_b32 s12, s1
	s_delay_alu instid0(SALU_CYCLE_1)
	s_xor_b32 s1, exec_lo, s12
	s_cbranch_execz .LBB86_637
; %bb.636:
	v_div_scale_f32 v97, null, v95, v95, v94
	v_div_scale_f32 v105, vcc_lo, v94, v95, v94
	s_delay_alu instid0(VALU_DEP_2) | instskip(SKIP_1) | instid1(TRANS32_DEP_1)
	v_rcp_f32_e32 v103, v97
	v_nop
	v_fma_f32 v104, -v97, v103, 1.0
	s_delay_alu instid0(VALU_DEP_1) | instskip(NEXT) | instid1(VALU_DEP_1)
	v_fmac_f32_e32 v103, v104, v103
	v_mul_f32_e32 v104, v105, v103
	s_delay_alu instid0(VALU_DEP_1) | instskip(NEXT) | instid1(VALU_DEP_1)
	v_fma_f32 v106, -v97, v104, v105
	v_fmac_f32_e32 v104, v106, v103
	s_delay_alu instid0(VALU_DEP_1) | instskip(NEXT) | instid1(VALU_DEP_1)
	v_fma_f32 v97, -v97, v104, v105
	v_div_fmas_f32 v97, v97, v103, v104
	s_delay_alu instid0(VALU_DEP_1) | instskip(NEXT) | instid1(VALU_DEP_1)
	v_div_fixup_f32 v97, v97, v95, v94
	v_fmac_f32_e32 v95, v94, v97
	s_delay_alu instid0(VALU_DEP_1) | instskip(SKIP_1) | instid1(VALU_DEP_2)
	v_div_scale_f32 v94, null, v95, v95, 1.0
	v_div_scale_f32 v105, vcc_lo, 1.0, v95, 1.0
	v_rcp_f32_e32 v103, v94
	v_nop
	s_delay_alu instid0(TRANS32_DEP_1) | instskip(NEXT) | instid1(VALU_DEP_1)
	v_fma_f32 v104, -v94, v103, 1.0
	v_fmac_f32_e32 v103, v104, v103
	s_delay_alu instid0(VALU_DEP_1) | instskip(NEXT) | instid1(VALU_DEP_1)
	v_mul_f32_e32 v104, v105, v103
	v_fma_f32 v106, -v94, v104, v105
	s_delay_alu instid0(VALU_DEP_1) | instskip(NEXT) | instid1(VALU_DEP_1)
	v_fmac_f32_e32 v104, v106, v103
	v_fma_f32 v94, -v94, v104, v105
	s_delay_alu instid0(VALU_DEP_1) | instskip(NEXT) | instid1(VALU_DEP_1)
	v_div_fmas_f32 v94, v94, v103, v104
	v_div_fixup_f32 v95, v94, v95, 1.0
	s_delay_alu instid0(VALU_DEP_1)
	v_mul_f32_e32 v94, v97, v95
	v_xor_b32_e32 v95, 0x80000000, v95
.LBB86_637:
	s_and_not1_saveexec_b32 s1, s1
	s_cbranch_execz .LBB86_639
; %bb.638:
	s_delay_alu instid0(VALU_DEP_1) | instskip(SKIP_1) | instid1(VALU_DEP_2)
	v_div_scale_f32 v97, null, v94, v94, v95
	v_div_scale_f32 v105, vcc_lo, v95, v94, v95
	v_rcp_f32_e32 v103, v97
	v_nop
	s_delay_alu instid0(TRANS32_DEP_1) | instskip(NEXT) | instid1(VALU_DEP_1)
	v_fma_f32 v104, -v97, v103, 1.0
	v_fmac_f32_e32 v103, v104, v103
	s_delay_alu instid0(VALU_DEP_1) | instskip(NEXT) | instid1(VALU_DEP_1)
	v_mul_f32_e32 v104, v105, v103
	v_fma_f32 v106, -v97, v104, v105
	s_delay_alu instid0(VALU_DEP_1) | instskip(NEXT) | instid1(VALU_DEP_1)
	v_fmac_f32_e32 v104, v106, v103
	v_fma_f32 v97, -v97, v104, v105
	s_delay_alu instid0(VALU_DEP_1) | instskip(NEXT) | instid1(VALU_DEP_1)
	v_div_fmas_f32 v97, v97, v103, v104
	v_div_fixup_f32 v97, v97, v94, v95
	s_delay_alu instid0(VALU_DEP_1) | instskip(NEXT) | instid1(VALU_DEP_1)
	v_fmac_f32_e32 v94, v95, v97
	v_div_scale_f32 v95, null, v94, v94, 1.0
	s_delay_alu instid0(VALU_DEP_1) | instskip(SKIP_1) | instid1(TRANS32_DEP_1)
	v_rcp_f32_e32 v103, v95
	v_nop
	v_fma_f32 v104, -v95, v103, 1.0
	s_delay_alu instid0(VALU_DEP_1) | instskip(SKIP_1) | instid1(VALU_DEP_1)
	v_fmac_f32_e32 v103, v104, v103
	v_div_scale_f32 v104, vcc_lo, 1.0, v94, 1.0
	v_mul_f32_e32 v105, v104, v103
	s_delay_alu instid0(VALU_DEP_1) | instskip(NEXT) | instid1(VALU_DEP_1)
	v_fma_f32 v106, -v95, v105, v104
	v_fmac_f32_e32 v105, v106, v103
	s_delay_alu instid0(VALU_DEP_1) | instskip(NEXT) | instid1(VALU_DEP_1)
	v_fma_f32 v95, -v95, v105, v104
	v_div_fmas_f32 v95, v95, v103, v105
	s_delay_alu instid0(VALU_DEP_1) | instskip(NEXT) | instid1(VALU_DEP_1)
	v_div_fixup_f32 v94, v95, v94, 1.0
	v_mul_f32_e64 v95, v97, -v94
.LBB86_639:
	s_or_b32 exec_lo, exec_lo, s1
.LBB86_640:
	s_delay_alu instid0(SALU_CYCLE_1) | instskip(NEXT) | instid1(SALU_CYCLE_1)
	s_or_b32 exec_lo, exec_lo, s0
	s_mov_b32 s0, exec_lo
	v_cmpx_ne_u32_e64 v102, v96
	s_xor_b32 s0, exec_lo, s0
	s_cbranch_execz .LBB86_646
; %bb.641:
	s_mov_b32 s1, exec_lo
	v_cmpx_eq_u32_e32 30, v102
	s_cbranch_execz .LBB86_645
; %bb.642:
	v_cmp_ne_u32_e32 vcc_lo, 30, v96
	s_xor_b32 s12, s16, -1
	s_delay_alu instid0(SALU_CYCLE_1) | instskip(NEXT) | instid1(SALU_CYCLE_1)
	s_and_b32 s13, s12, vcc_lo
	s_and_saveexec_b32 s12, s13
	s_cbranch_execz .LBB86_644
; %bb.643:
	v_ashrrev_i32_e32 v97, 31, v96
	s_delay_alu instid0(VALU_DEP_1)
	v_lshl_add_u64 v[102:103], v[96:97], 2, v[4:5]
	s_clause 0x1
	global_load_b32 v97, v[102:103], off
	global_load_b32 v101, v[4:5], off offset:120
	s_wait_loadcnt 0x1
	global_store_b32 v[4:5], v97, off offset:120
	s_wait_loadcnt 0x0
	global_store_b32 v[102:103], v101, off
.LBB86_644:
	s_wait_xcnt 0x0
	s_or_b32 exec_lo, exec_lo, s12
	v_dual_mov_b32 v102, v96 :: v_dual_mov_b32 v101, v96
.LBB86_645:
	s_or_b32 exec_lo, exec_lo, s1
.LBB86_646:
	s_and_not1_saveexec_b32 s0, s0
	s_cbranch_execz .LBB86_648
; %bb.647:
	v_mov_b32_e32 v102, 30
	ds_store_2addr_b64 v98, v[10:11], v[40:41] offset0:31 offset1:32
	ds_store_2addr_b64 v98, v[36:37], v[38:39] offset0:33 offset1:34
	;; [unrolled: 1-line block ×6, first 2 shown]
	ds_store_b64 v98, v[92:93] offset:344
.LBB86_648:
	s_or_b32 exec_lo, exec_lo, s0
	s_delay_alu instid0(SALU_CYCLE_1)
	s_mov_b32 s0, exec_lo
	s_wait_storecnt_dscnt 0x0
	s_barrier_signal -1
	s_barrier_wait -1
	v_cmpx_lt_i32_e32 30, v102
	s_cbranch_execz .LBB86_650
; %bb.649:
	v_pk_mul_f32 v[96:97], v[94:95], v[44:45] op_sel:[1,1] op_sel_hi:[0,1]
	s_delay_alu instid0(VALU_DEP_1)
	v_pk_fma_f32 v[104:105], v[94:95], v[44:45], v[96:97] op_sel_hi:[1,0,1] neg_lo:[0,0,1] neg_hi:[0,0,1]
	v_pk_fma_f32 v[106:107], v[94:95], v[44:45], v[96:97] op_sel_hi:[1,0,1]
	ds_load_2addr_b64 v[94:97], v98 offset0:31 offset1:32
	v_dual_mov_b32 v44, v104 :: v_dual_mov_b32 v45, v107
	s_wait_dscnt 0x0
	v_pk_mul_f32 v[108:109], v[94:95], v[106:107] op_sel:[0,1]
	s_delay_alu instid0(VALU_DEP_1) | instskip(SKIP_1) | instid1(VALU_DEP_1)
	v_pk_fma_f32 v[110:111], v[94:95], v[104:105], v[108:109] op_sel:[0,0,1] op_sel_hi:[1,1,0] neg_lo:[0,0,1] neg_hi:[0,0,1]
	v_pk_fma_f32 v[94:95], v[94:95], v[104:105], v[108:109] op_sel:[0,0,1] op_sel_hi:[1,0,0]
	v_mov_b32_e32 v111, v95
	v_pk_mul_f32 v[94:95], v[96:97], v[106:107] op_sel:[0,1]
	s_delay_alu instid0(VALU_DEP_1) | instskip(SKIP_1) | instid1(VALU_DEP_1)
	v_pk_fma_f32 v[108:109], v[96:97], v[104:105], v[94:95] op_sel:[0,0,1] op_sel_hi:[1,1,0] neg_lo:[0,0,1] neg_hi:[0,0,1]
	v_pk_fma_f32 v[94:95], v[96:97], v[104:105], v[94:95] op_sel:[0,0,1] op_sel_hi:[1,0,0]
	v_mov_b32_e32 v109, v95
	ds_load_2addr_b64 v[94:97], v98 offset0:33 offset1:34
	v_pk_add_f32 v[10:11], v[10:11], v[110:111] neg_lo:[0,1] neg_hi:[0,1]
	v_pk_add_f32 v[40:41], v[40:41], v[108:109] neg_lo:[0,1] neg_hi:[0,1]
	s_wait_dscnt 0x0
	v_pk_mul_f32 v[108:109], v[94:95], v[106:107] op_sel:[0,1]
	s_delay_alu instid0(VALU_DEP_1) | instskip(SKIP_2) | instid1(VALU_DEP_2)
	v_pk_fma_f32 v[110:111], v[94:95], v[104:105], v[108:109] op_sel:[0,0,1] op_sel_hi:[1,1,0] neg_lo:[0,0,1] neg_hi:[0,0,1]
	v_pk_fma_f32 v[94:95], v[94:95], v[104:105], v[108:109] op_sel:[0,0,1] op_sel_hi:[1,0,0]
	v_dual_mul_f32 v108, v97, v107 :: v_dual_mov_b32 v94, v97
	v_dual_mov_b32 v111, v95 :: v_dual_mov_b32 v95, v96
	s_delay_alu instid0(VALU_DEP_2) | instskip(SKIP_1) | instid1(VALU_DEP_3)
	v_pk_fma_f32 v[108:109], v[96:97], v[44:45], v[108:109] op_sel_hi:[1,1,0] neg_lo:[0,0,1] neg_hi:[0,0,1]
	v_mul_f32_e32 v96, v97, v104
	v_pk_add_f32 v[36:37], v[36:37], v[110:111] neg_lo:[0,1] neg_hi:[0,1]
	s_delay_alu instid0(VALU_DEP_2) | instskip(NEXT) | instid1(VALU_DEP_1)
	v_pk_fma_f32 v[94:95], v[94:95], v[44:45], v[96:97] op_sel_hi:[1,1,0]
	v_mov_b32_e32 v109, v95
	ds_load_2addr_b64 v[94:97], v98 offset0:35 offset1:36
	v_pk_add_f32 v[38:39], v[38:39], v[108:109] neg_lo:[0,1] neg_hi:[0,1]
	s_wait_dscnt 0x0
	v_pk_mul_f32 v[108:109], v[94:95], v[106:107] op_sel:[0,1]
	s_delay_alu instid0(VALU_DEP_1) | instskip(SKIP_1) | instid1(VALU_DEP_1)
	v_pk_fma_f32 v[110:111], v[94:95], v[104:105], v[108:109] op_sel:[0,0,1] op_sel_hi:[1,1,0] neg_lo:[0,0,1] neg_hi:[0,0,1]
	v_pk_fma_f32 v[94:95], v[94:95], v[104:105], v[108:109] op_sel:[0,0,1] op_sel_hi:[1,0,0]
	v_mov_b32_e32 v111, v95
	v_pk_mul_f32 v[94:95], v[96:97], v[106:107] op_sel:[0,1]
	s_delay_alu instid0(VALU_DEP_1) | instskip(SKIP_1) | instid1(VALU_DEP_1)
	v_pk_fma_f32 v[108:109], v[96:97], v[104:105], v[94:95] op_sel:[0,0,1] op_sel_hi:[1,1,0] neg_lo:[0,0,1] neg_hi:[0,0,1]
	v_pk_fma_f32 v[94:95], v[96:97], v[104:105], v[94:95] op_sel:[0,0,1] op_sel_hi:[1,0,0]
	v_mov_b32_e32 v109, v95
	ds_load_2addr_b64 v[94:97], v98 offset0:37 offset1:38
	v_pk_add_f32 v[6:7], v[6:7], v[110:111] neg_lo:[0,1] neg_hi:[0,1]
	v_pk_add_f32 v[34:35], v[34:35], v[108:109] neg_lo:[0,1] neg_hi:[0,1]
	s_wait_dscnt 0x0
	v_pk_mul_f32 v[108:109], v[94:95], v[106:107] op_sel:[0,1]
	s_delay_alu instid0(VALU_DEP_1) | instskip(SKIP_1) | instid1(VALU_DEP_1)
	v_pk_fma_f32 v[110:111], v[94:95], v[104:105], v[108:109] op_sel:[0,0,1] op_sel_hi:[1,1,0] neg_lo:[0,0,1] neg_hi:[0,0,1]
	v_pk_fma_f32 v[94:95], v[94:95], v[104:105], v[108:109] op_sel:[0,0,1] op_sel_hi:[1,0,0]
	v_mov_b32_e32 v111, v95
	v_pk_mul_f32 v[94:95], v[96:97], v[106:107] op_sel:[0,1]
	s_delay_alu instid0(VALU_DEP_1) | instskip(SKIP_1) | instid1(VALU_DEP_1)
	v_pk_fma_f32 v[108:109], v[96:97], v[104:105], v[94:95] op_sel:[0,0,1] op_sel_hi:[1,1,0] neg_lo:[0,0,1] neg_hi:[0,0,1]
	v_pk_fma_f32 v[94:95], v[96:97], v[104:105], v[94:95] op_sel:[0,0,1] op_sel_hi:[1,0,0]
	v_mov_b32_e32 v109, v95
	ds_load_2addr_b64 v[94:97], v98 offset0:39 offset1:40
	v_pk_add_f32 v[30:31], v[30:31], v[110:111] neg_lo:[0,1] neg_hi:[0,1]
	v_pk_add_f32 v[32:33], v[32:33], v[108:109] neg_lo:[0,1] neg_hi:[0,1]
	s_wait_dscnt 0x0
	v_dual_mul_f32 v108, v95, v107 :: v_dual_mul_f32 v110, v95, v104
	s_delay_alu instid0(VALU_DEP_1) | instskip(NEXT) | instid1(VALU_DEP_2)
	v_pk_fma_f32 v[108:109], v[94:95], v[44:45], v[108:109] op_sel_hi:[1,1,0] neg_lo:[0,0,1] neg_hi:[0,0,1]
	v_pk_fma_f32 v[94:95], v[94:95], v[44:45], v[110:111] op_sel:[1,0,0] op_sel_hi:[0,1,0]
	s_delay_alu instid0(VALU_DEP_1) | instskip(SKIP_1) | instid1(VALU_DEP_2)
	v_mov_b32_e32 v109, v95
	v_pk_mul_f32 v[94:95], v[96:97], v[106:107] op_sel:[0,1]
	v_pk_add_f32 v[8:9], v[8:9], v[108:109] neg_lo:[0,1] neg_hi:[0,1]
	s_delay_alu instid0(VALU_DEP_2) | instskip(SKIP_1) | instid1(VALU_DEP_1)
	v_pk_fma_f32 v[108:109], v[96:97], v[104:105], v[94:95] op_sel:[0,0,1] op_sel_hi:[1,1,0] neg_lo:[0,0,1] neg_hi:[0,0,1]
	v_pk_fma_f32 v[94:95], v[96:97], v[104:105], v[94:95] op_sel:[0,0,1] op_sel_hi:[1,0,0]
	v_mov_b32_e32 v109, v95
	ds_load_2addr_b64 v[94:97], v98 offset0:41 offset1:42
	v_pk_add_f32 v[28:29], v[28:29], v[108:109] neg_lo:[0,1] neg_hi:[0,1]
	s_wait_dscnt 0x0
	v_pk_mul_f32 v[108:109], v[94:95], v[106:107] op_sel:[0,1]
	s_delay_alu instid0(VALU_DEP_1) | instskip(SKIP_1) | instid1(VALU_DEP_1)
	v_pk_fma_f32 v[110:111], v[94:95], v[104:105], v[108:109] op_sel:[0,0,1] op_sel_hi:[1,1,0] neg_lo:[0,0,1] neg_hi:[0,0,1]
	v_pk_fma_f32 v[94:95], v[94:95], v[104:105], v[108:109] op_sel:[0,0,1] op_sel_hi:[1,0,0]
	v_mov_b32_e32 v111, v95
	v_pk_mul_f32 v[94:95], v[96:97], v[106:107] op_sel:[0,1]
	s_delay_alu instid0(VALU_DEP_2) | instskip(NEXT) | instid1(VALU_DEP_2)
	v_pk_add_f32 v[20:21], v[20:21], v[110:111] neg_lo:[0,1] neg_hi:[0,1]
	v_pk_fma_f32 v[108:109], v[96:97], v[104:105], v[94:95] op_sel:[0,0,1] op_sel_hi:[1,1,0] neg_lo:[0,0,1] neg_hi:[0,0,1]
	v_pk_fma_f32 v[94:95], v[96:97], v[104:105], v[94:95] op_sel:[0,0,1] op_sel_hi:[1,0,0]
	s_delay_alu instid0(VALU_DEP_1) | instskip(SKIP_4) | instid1(VALU_DEP_1)
	v_mov_b32_e32 v109, v95
	ds_load_b64 v[94:95], v98 offset:344
	v_pk_add_f32 v[16:17], v[16:17], v[108:109] neg_lo:[0,1] neg_hi:[0,1]
	s_wait_dscnt 0x0
	v_pk_mul_f32 v[96:97], v[94:95], v[106:107] op_sel:[0,1]
	v_pk_fma_f32 v[106:107], v[94:95], v[104:105], v[96:97] op_sel:[0,0,1] op_sel_hi:[1,1,0] neg_lo:[0,0,1] neg_hi:[0,0,1]
	v_pk_fma_f32 v[94:95], v[94:95], v[104:105], v[96:97] op_sel:[0,0,1] op_sel_hi:[1,0,0]
	s_delay_alu instid0(VALU_DEP_1) | instskip(NEXT) | instid1(VALU_DEP_1)
	v_mov_b32_e32 v107, v95
	v_pk_add_f32 v[92:93], v[92:93], v[106:107] neg_lo:[0,1] neg_hi:[0,1]
.LBB86_650:
	s_or_b32 exec_lo, exec_lo, s0
	v_lshl_add_u32 v94, v102, 3, v98
	s_barrier_signal -1
	s_barrier_wait -1
	ds_store_b64 v94, v[10:11]
	s_wait_dscnt 0x0
	s_barrier_signal -1
	s_barrier_wait -1
	ds_load_b64 v[94:95], v98 offset:248
	v_mov_b32_e32 v96, 31
	s_cmp_lt_i32 s18, 33
	s_cbranch_scc1 .LBB86_653
; %bb.651:
	v_add3_u32 v97, v99, 0, 0x100
	v_mov_b32_e32 v96, 31
	s_mov_b32 s0, 32
.LBB86_652:                             ; =>This Inner Loop Header: Depth=1
	ds_load_b64 v[104:105], v97
	s_wait_dscnt 0x1
	v_cmp_gt_f32_e32 vcc_lo, 0, v94
	v_cndmask_b32_e64 v106, v94, -v94, vcc_lo
	v_cmp_gt_f32_e32 vcc_lo, 0, v95
	v_cndmask_b32_e64 v108, v95, -v95, vcc_lo
	s_wait_dscnt 0x0
	v_cmp_gt_f32_e32 vcc_lo, 0, v104
	v_cndmask_b32_e64 v107, v104, -v104, vcc_lo
	v_cmp_gt_f32_e32 vcc_lo, 0, v105
	v_cndmask_b32_e64 v109, v105, -v105, vcc_lo
	s_delay_alu instid0(VALU_DEP_1) | instskip(NEXT) | instid1(VALU_DEP_1)
	v_pk_add_f32 v[106:107], v[106:107], v[108:109]
	v_cmp_lt_f32_e32 vcc_lo, v106, v107
	v_dual_cndmask_b32 v94, v94, v104 :: v_dual_add_nc_u32 v97, 8, v97
	v_cndmask_b32_e32 v95, v95, v105, vcc_lo
	v_cndmask_b32_e64 v96, v96, s0, vcc_lo
	s_add_co_i32 s0, s0, 1
	s_delay_alu instid0(SALU_CYCLE_1)
	s_cmp_lg_u32 s18, s0
	s_cbranch_scc1 .LBB86_652
.LBB86_653:
	s_wait_dscnt 0x0
	v_cmp_eq_f32_e32 vcc_lo, 0, v94
	v_cmp_eq_f32_e64 s0, 0, v95
	s_and_b32 s0, vcc_lo, s0
	s_delay_alu instid0(SALU_CYCLE_1) | instskip(NEXT) | instid1(SALU_CYCLE_1)
	s_and_saveexec_b32 s1, s0
	s_xor_b32 s0, exec_lo, s1
; %bb.654:
	v_cmp_ne_u32_e32 vcc_lo, 0, v100
	v_cndmask_b32_e32 v100, 32, v100, vcc_lo
; %bb.655:
	s_and_not1_saveexec_b32 s0, s0
	s_cbranch_execz .LBB86_661
; %bb.656:
	v_cmp_ngt_f32_e64 s1, |v94|, |v95|
	s_and_saveexec_b32 s12, s1
	s_delay_alu instid0(SALU_CYCLE_1)
	s_xor_b32 s1, exec_lo, s12
	s_cbranch_execz .LBB86_658
; %bb.657:
	v_div_scale_f32 v97, null, v95, v95, v94
	v_div_scale_f32 v105, vcc_lo, v94, v95, v94
	s_delay_alu instid0(VALU_DEP_2) | instskip(SKIP_1) | instid1(TRANS32_DEP_1)
	v_rcp_f32_e32 v103, v97
	v_nop
	v_fma_f32 v104, -v97, v103, 1.0
	s_delay_alu instid0(VALU_DEP_1) | instskip(NEXT) | instid1(VALU_DEP_1)
	v_fmac_f32_e32 v103, v104, v103
	v_mul_f32_e32 v104, v105, v103
	s_delay_alu instid0(VALU_DEP_1) | instskip(NEXT) | instid1(VALU_DEP_1)
	v_fma_f32 v106, -v97, v104, v105
	v_fmac_f32_e32 v104, v106, v103
	s_delay_alu instid0(VALU_DEP_1) | instskip(NEXT) | instid1(VALU_DEP_1)
	v_fma_f32 v97, -v97, v104, v105
	v_div_fmas_f32 v97, v97, v103, v104
	s_delay_alu instid0(VALU_DEP_1) | instskip(NEXT) | instid1(VALU_DEP_1)
	v_div_fixup_f32 v97, v97, v95, v94
	v_fmac_f32_e32 v95, v94, v97
	s_delay_alu instid0(VALU_DEP_1) | instskip(SKIP_1) | instid1(VALU_DEP_2)
	v_div_scale_f32 v94, null, v95, v95, 1.0
	v_div_scale_f32 v105, vcc_lo, 1.0, v95, 1.0
	v_rcp_f32_e32 v103, v94
	v_nop
	s_delay_alu instid0(TRANS32_DEP_1) | instskip(NEXT) | instid1(VALU_DEP_1)
	v_fma_f32 v104, -v94, v103, 1.0
	v_fmac_f32_e32 v103, v104, v103
	s_delay_alu instid0(VALU_DEP_1) | instskip(NEXT) | instid1(VALU_DEP_1)
	v_mul_f32_e32 v104, v105, v103
	v_fma_f32 v106, -v94, v104, v105
	s_delay_alu instid0(VALU_DEP_1) | instskip(NEXT) | instid1(VALU_DEP_1)
	v_fmac_f32_e32 v104, v106, v103
	v_fma_f32 v94, -v94, v104, v105
	s_delay_alu instid0(VALU_DEP_1) | instskip(NEXT) | instid1(VALU_DEP_1)
	v_div_fmas_f32 v94, v94, v103, v104
	v_div_fixup_f32 v95, v94, v95, 1.0
	s_delay_alu instid0(VALU_DEP_1)
	v_mul_f32_e32 v94, v97, v95
	v_xor_b32_e32 v95, 0x80000000, v95
.LBB86_658:
	s_and_not1_saveexec_b32 s1, s1
	s_cbranch_execz .LBB86_660
; %bb.659:
	s_delay_alu instid0(VALU_DEP_1) | instskip(SKIP_1) | instid1(VALU_DEP_2)
	v_div_scale_f32 v97, null, v94, v94, v95
	v_div_scale_f32 v105, vcc_lo, v95, v94, v95
	v_rcp_f32_e32 v103, v97
	v_nop
	s_delay_alu instid0(TRANS32_DEP_1) | instskip(NEXT) | instid1(VALU_DEP_1)
	v_fma_f32 v104, -v97, v103, 1.0
	v_fmac_f32_e32 v103, v104, v103
	s_delay_alu instid0(VALU_DEP_1) | instskip(NEXT) | instid1(VALU_DEP_1)
	v_mul_f32_e32 v104, v105, v103
	v_fma_f32 v106, -v97, v104, v105
	s_delay_alu instid0(VALU_DEP_1) | instskip(NEXT) | instid1(VALU_DEP_1)
	v_fmac_f32_e32 v104, v106, v103
	v_fma_f32 v97, -v97, v104, v105
	s_delay_alu instid0(VALU_DEP_1) | instskip(NEXT) | instid1(VALU_DEP_1)
	v_div_fmas_f32 v97, v97, v103, v104
	v_div_fixup_f32 v97, v97, v94, v95
	s_delay_alu instid0(VALU_DEP_1) | instskip(NEXT) | instid1(VALU_DEP_1)
	v_fmac_f32_e32 v94, v95, v97
	v_div_scale_f32 v95, null, v94, v94, 1.0
	s_delay_alu instid0(VALU_DEP_1) | instskip(SKIP_1) | instid1(TRANS32_DEP_1)
	v_rcp_f32_e32 v103, v95
	v_nop
	v_fma_f32 v104, -v95, v103, 1.0
	s_delay_alu instid0(VALU_DEP_1) | instskip(SKIP_1) | instid1(VALU_DEP_1)
	v_fmac_f32_e32 v103, v104, v103
	v_div_scale_f32 v104, vcc_lo, 1.0, v94, 1.0
	v_mul_f32_e32 v105, v104, v103
	s_delay_alu instid0(VALU_DEP_1) | instskip(NEXT) | instid1(VALU_DEP_1)
	v_fma_f32 v106, -v95, v105, v104
	v_fmac_f32_e32 v105, v106, v103
	s_delay_alu instid0(VALU_DEP_1) | instskip(NEXT) | instid1(VALU_DEP_1)
	v_fma_f32 v95, -v95, v105, v104
	v_div_fmas_f32 v95, v95, v103, v105
	s_delay_alu instid0(VALU_DEP_1) | instskip(NEXT) | instid1(VALU_DEP_1)
	v_div_fixup_f32 v94, v95, v94, 1.0
	v_mul_f32_e64 v95, v97, -v94
.LBB86_660:
	s_or_b32 exec_lo, exec_lo, s1
.LBB86_661:
	s_delay_alu instid0(SALU_CYCLE_1) | instskip(NEXT) | instid1(SALU_CYCLE_1)
	s_or_b32 exec_lo, exec_lo, s0
	s_mov_b32 s0, exec_lo
	v_cmpx_ne_u32_e64 v102, v96
	s_xor_b32 s0, exec_lo, s0
	s_cbranch_execz .LBB86_667
; %bb.662:
	s_mov_b32 s1, exec_lo
	v_cmpx_eq_u32_e32 31, v102
	s_cbranch_execz .LBB86_666
; %bb.663:
	v_cmp_ne_u32_e32 vcc_lo, 31, v96
	s_xor_b32 s12, s16, -1
	s_delay_alu instid0(SALU_CYCLE_1) | instskip(NEXT) | instid1(SALU_CYCLE_1)
	s_and_b32 s13, s12, vcc_lo
	s_and_saveexec_b32 s12, s13
	s_cbranch_execz .LBB86_665
; %bb.664:
	v_ashrrev_i32_e32 v97, 31, v96
	s_delay_alu instid0(VALU_DEP_1)
	v_lshl_add_u64 v[102:103], v[96:97], 2, v[4:5]
	s_clause 0x1
	global_load_b32 v97, v[102:103], off
	global_load_b32 v101, v[4:5], off offset:124
	s_wait_loadcnt 0x1
	global_store_b32 v[4:5], v97, off offset:124
	s_wait_loadcnt 0x0
	global_store_b32 v[102:103], v101, off
.LBB86_665:
	s_wait_xcnt 0x0
	s_or_b32 exec_lo, exec_lo, s12
	v_dual_mov_b32 v102, v96 :: v_dual_mov_b32 v101, v96
.LBB86_666:
	s_or_b32 exec_lo, exec_lo, s1
.LBB86_667:
	s_and_not1_saveexec_b32 s0, s0
	s_cbranch_execz .LBB86_669
; %bb.668:
	v_dual_mov_b32 v96, v40 :: v_dual_mov_b32 v97, v41
	v_dual_mov_b32 v102, v36 :: v_dual_mov_b32 v103, v37
	;; [unrolled: 1-line block ×4, first 2 shown]
	ds_store_2addr_b64 v98, v[96:97], v[102:103] offset0:32 offset1:33
	ds_store_2addr_b64 v98, v[104:105], v[106:107] offset0:34 offset1:35
	v_dual_mov_b32 v96, v34 :: v_dual_mov_b32 v97, v35
	v_dual_mov_b32 v104, v30 :: v_dual_mov_b32 v105, v31
	;; [unrolled: 1-line block ×7, first 2 shown]
	v_mov_b32_e32 v115, v17
	ds_store_2addr_b64 v98, v[96:97], v[104:105] offset0:36 offset1:37
	ds_store_2addr_b64 v98, v[106:107], v[108:109] offset0:38 offset1:39
	;; [unrolled: 1-line block ×4, first 2 shown]
.LBB86_669:
	s_or_b32 exec_lo, exec_lo, s0
	s_delay_alu instid0(SALU_CYCLE_1)
	s_mov_b32 s0, exec_lo
	s_wait_storecnt_dscnt 0x0
	s_barrier_signal -1
	s_barrier_wait -1
	v_cmpx_lt_i32_e32 31, v102
	s_cbranch_execz .LBB86_671
; %bb.670:
	v_pk_mul_f32 v[96:97], v[94:95], v[10:11] op_sel:[1,1] op_sel_hi:[0,1]
	s_delay_alu instid0(VALU_DEP_1)
	v_pk_fma_f32 v[104:105], v[94:95], v[10:11], v[96:97] op_sel_hi:[1,0,1] neg_lo:[0,0,1] neg_hi:[0,0,1]
	v_pk_fma_f32 v[106:107], v[94:95], v[10:11], v[96:97] op_sel_hi:[1,0,1]
	ds_load_2addr_b64 v[94:97], v98 offset0:32 offset1:33
	v_dual_mov_b32 v10, v104 :: v_dual_mov_b32 v11, v107
	s_wait_dscnt 0x0
	v_pk_mul_f32 v[108:109], v[94:95], v[106:107] op_sel:[0,1]
	s_delay_alu instid0(VALU_DEP_1) | instskip(SKIP_1) | instid1(VALU_DEP_1)
	v_pk_fma_f32 v[110:111], v[94:95], v[104:105], v[108:109] op_sel:[0,0,1] op_sel_hi:[1,1,0] neg_lo:[0,0,1] neg_hi:[0,0,1]
	v_pk_fma_f32 v[94:95], v[94:95], v[104:105], v[108:109] op_sel:[0,0,1] op_sel_hi:[1,0,0]
	v_mov_b32_e32 v111, v95
	v_pk_mul_f32 v[94:95], v[96:97], v[106:107] op_sel:[0,1]
	s_delay_alu instid0(VALU_DEP_1) | instskip(SKIP_1) | instid1(VALU_DEP_1)
	v_pk_fma_f32 v[108:109], v[96:97], v[104:105], v[94:95] op_sel:[0,0,1] op_sel_hi:[1,1,0] neg_lo:[0,0,1] neg_hi:[0,0,1]
	v_pk_fma_f32 v[94:95], v[96:97], v[104:105], v[94:95] op_sel:[0,0,1] op_sel_hi:[1,0,0]
	v_mov_b32_e32 v109, v95
	ds_load_2addr_b64 v[94:97], v98 offset0:34 offset1:35
	v_pk_add_f32 v[40:41], v[40:41], v[110:111] neg_lo:[0,1] neg_hi:[0,1]
	v_pk_add_f32 v[36:37], v[36:37], v[108:109] neg_lo:[0,1] neg_hi:[0,1]
	s_wait_dscnt 0x0
	v_pk_mul_f32 v[108:109], v[94:95], v[106:107] op_sel:[0,1]
	s_delay_alu instid0(VALU_DEP_1) | instskip(SKIP_2) | instid1(VALU_DEP_2)
	v_pk_fma_f32 v[110:111], v[94:95], v[104:105], v[108:109] op_sel:[0,0,1] op_sel_hi:[1,1,0] neg_lo:[0,0,1] neg_hi:[0,0,1]
	v_pk_fma_f32 v[94:95], v[94:95], v[104:105], v[108:109] op_sel:[0,0,1] op_sel_hi:[1,0,0]
	v_dual_mul_f32 v108, v97, v107 :: v_dual_mov_b32 v94, v97
	v_dual_mov_b32 v111, v95 :: v_dual_mov_b32 v95, v96
	s_delay_alu instid0(VALU_DEP_2) | instskip(SKIP_1) | instid1(VALU_DEP_3)
	v_pk_fma_f32 v[108:109], v[96:97], v[10:11], v[108:109] op_sel_hi:[1,1,0] neg_lo:[0,0,1] neg_hi:[0,0,1]
	v_mul_f32_e32 v96, v97, v104
	v_pk_add_f32 v[38:39], v[38:39], v[110:111] neg_lo:[0,1] neg_hi:[0,1]
	s_delay_alu instid0(VALU_DEP_2) | instskip(NEXT) | instid1(VALU_DEP_1)
	v_pk_fma_f32 v[94:95], v[94:95], v[10:11], v[96:97] op_sel_hi:[1,1,0]
	v_mov_b32_e32 v109, v95
	ds_load_2addr_b64 v[94:97], v98 offset0:36 offset1:37
	v_pk_add_f32 v[6:7], v[6:7], v[108:109] neg_lo:[0,1] neg_hi:[0,1]
	s_wait_dscnt 0x0
	v_pk_mul_f32 v[108:109], v[94:95], v[106:107] op_sel:[0,1]
	s_delay_alu instid0(VALU_DEP_1) | instskip(SKIP_1) | instid1(VALU_DEP_1)
	v_pk_fma_f32 v[110:111], v[94:95], v[104:105], v[108:109] op_sel:[0,0,1] op_sel_hi:[1,1,0] neg_lo:[0,0,1] neg_hi:[0,0,1]
	v_pk_fma_f32 v[94:95], v[94:95], v[104:105], v[108:109] op_sel:[0,0,1] op_sel_hi:[1,0,0]
	v_mov_b32_e32 v111, v95
	v_pk_mul_f32 v[94:95], v[96:97], v[106:107] op_sel:[0,1]
	s_delay_alu instid0(VALU_DEP_1) | instskip(SKIP_1) | instid1(VALU_DEP_1)
	v_pk_fma_f32 v[108:109], v[96:97], v[104:105], v[94:95] op_sel:[0,0,1] op_sel_hi:[1,1,0] neg_lo:[0,0,1] neg_hi:[0,0,1]
	v_pk_fma_f32 v[94:95], v[96:97], v[104:105], v[94:95] op_sel:[0,0,1] op_sel_hi:[1,0,0]
	v_mov_b32_e32 v109, v95
	ds_load_2addr_b64 v[94:97], v98 offset0:38 offset1:39
	v_pk_add_f32 v[34:35], v[34:35], v[110:111] neg_lo:[0,1] neg_hi:[0,1]
	v_pk_add_f32 v[30:31], v[30:31], v[108:109] neg_lo:[0,1] neg_hi:[0,1]
	s_wait_dscnt 0x0
	v_pk_mul_f32 v[108:109], v[94:95], v[106:107] op_sel:[0,1]
	s_delay_alu instid0(VALU_DEP_1) | instskip(SKIP_1) | instid1(VALU_DEP_1)
	v_pk_fma_f32 v[110:111], v[94:95], v[104:105], v[108:109] op_sel:[0,0,1] op_sel_hi:[1,1,0] neg_lo:[0,0,1] neg_hi:[0,0,1]
	v_pk_fma_f32 v[94:95], v[94:95], v[104:105], v[108:109] op_sel:[0,0,1] op_sel_hi:[1,0,0]
	v_mov_b32_e32 v111, v95
	v_pk_mul_f32 v[94:95], v[96:97], v[106:107] op_sel:[0,1]
	s_delay_alu instid0(VALU_DEP_1) | instskip(SKIP_1) | instid1(VALU_DEP_1)
	v_pk_fma_f32 v[108:109], v[96:97], v[104:105], v[94:95] op_sel:[0,0,1] op_sel_hi:[1,1,0] neg_lo:[0,0,1] neg_hi:[0,0,1]
	v_pk_fma_f32 v[94:95], v[96:97], v[104:105], v[94:95] op_sel:[0,0,1] op_sel_hi:[1,0,0]
	v_mov_b32_e32 v109, v95
	ds_load_2addr_b64 v[94:97], v98 offset0:40 offset1:41
	v_pk_add_f32 v[32:33], v[32:33], v[110:111] neg_lo:[0,1] neg_hi:[0,1]
	v_pk_add_f32 v[8:9], v[8:9], v[108:109] neg_lo:[0,1] neg_hi:[0,1]
	s_wait_dscnt 0x0
	v_dual_mul_f32 v108, v95, v107 :: v_dual_mul_f32 v110, v95, v104
	s_delay_alu instid0(VALU_DEP_1) | instskip(NEXT) | instid1(VALU_DEP_2)
	v_pk_fma_f32 v[108:109], v[94:95], v[10:11], v[108:109] op_sel_hi:[1,1,0] neg_lo:[0,0,1] neg_hi:[0,0,1]
	v_pk_fma_f32 v[94:95], v[94:95], v[10:11], v[110:111] op_sel:[1,0,0] op_sel_hi:[0,1,0]
	s_delay_alu instid0(VALU_DEP_1) | instskip(SKIP_1) | instid1(VALU_DEP_2)
	v_mov_b32_e32 v109, v95
	v_pk_mul_f32 v[94:95], v[96:97], v[106:107] op_sel:[0,1]
	v_pk_add_f32 v[28:29], v[28:29], v[108:109] neg_lo:[0,1] neg_hi:[0,1]
	s_delay_alu instid0(VALU_DEP_2) | instskip(SKIP_1) | instid1(VALU_DEP_1)
	v_pk_fma_f32 v[108:109], v[96:97], v[104:105], v[94:95] op_sel:[0,0,1] op_sel_hi:[1,1,0] neg_lo:[0,0,1] neg_hi:[0,0,1]
	v_pk_fma_f32 v[94:95], v[96:97], v[104:105], v[94:95] op_sel:[0,0,1] op_sel_hi:[1,0,0]
	v_mov_b32_e32 v109, v95
	ds_load_2addr_b64 v[94:97], v98 offset0:42 offset1:43
	v_pk_add_f32 v[20:21], v[20:21], v[108:109] neg_lo:[0,1] neg_hi:[0,1]
	s_wait_dscnt 0x0
	v_pk_mul_f32 v[108:109], v[94:95], v[106:107] op_sel:[0,1]
	v_mul_f32_e32 v106, v97, v107
	s_delay_alu instid0(VALU_DEP_2) | instskip(SKIP_2) | instid1(VALU_DEP_4)
	v_pk_fma_f32 v[110:111], v[94:95], v[104:105], v[108:109] op_sel:[0,0,1] op_sel_hi:[1,1,0] neg_lo:[0,0,1] neg_hi:[0,0,1]
	v_pk_fma_f32 v[94:95], v[94:95], v[104:105], v[108:109] op_sel:[0,0,1] op_sel_hi:[1,0,0]
	v_mov_b32_e32 v94, v97
	v_pk_fma_f32 v[106:107], v[96:97], v[10:11], v[106:107] op_sel_hi:[1,1,0] neg_lo:[0,0,1] neg_hi:[0,0,1]
	s_delay_alu instid0(VALU_DEP_3) | instskip(SKIP_1) | instid1(VALU_DEP_2)
	v_dual_mov_b32 v111, v95 :: v_dual_mov_b32 v95, v96
	v_mul_f32_e32 v96, v97, v104
	v_pk_add_f32 v[16:17], v[16:17], v[110:111] neg_lo:[0,1] neg_hi:[0,1]
	s_delay_alu instid0(VALU_DEP_2) | instskip(NEXT) | instid1(VALU_DEP_1)
	v_pk_fma_f32 v[94:95], v[94:95], v[10:11], v[96:97] op_sel_hi:[1,1,0]
	v_mov_b32_e32 v107, v95
	s_delay_alu instid0(VALU_DEP_1)
	v_pk_add_f32 v[92:93], v[92:93], v[106:107] neg_lo:[0,1] neg_hi:[0,1]
.LBB86_671:
	s_or_b32 exec_lo, exec_lo, s0
	v_lshl_add_u32 v94, v102, 3, v98
	s_barrier_signal -1
	s_barrier_wait -1
	ds_store_b64 v94, v[40:41]
	s_wait_dscnt 0x0
	s_barrier_signal -1
	s_barrier_wait -1
	ds_load_b64 v[94:95], v98 offset:256
	v_mov_b32_e32 v96, 32
	s_cmp_lt_i32 s18, 34
	s_cbranch_scc1 .LBB86_674
; %bb.672:
	v_add3_u32 v97, v99, 0, 0x108
	v_mov_b32_e32 v96, 32
	s_mov_b32 s0, 33
.LBB86_673:                             ; =>This Inner Loop Header: Depth=1
	ds_load_b64 v[104:105], v97
	s_wait_dscnt 0x1
	v_cmp_gt_f32_e32 vcc_lo, 0, v94
	v_cndmask_b32_e64 v106, v94, -v94, vcc_lo
	v_cmp_gt_f32_e32 vcc_lo, 0, v95
	v_cndmask_b32_e64 v108, v95, -v95, vcc_lo
	s_wait_dscnt 0x0
	v_cmp_gt_f32_e32 vcc_lo, 0, v104
	v_cndmask_b32_e64 v107, v104, -v104, vcc_lo
	v_cmp_gt_f32_e32 vcc_lo, 0, v105
	v_cndmask_b32_e64 v109, v105, -v105, vcc_lo
	s_delay_alu instid0(VALU_DEP_1) | instskip(NEXT) | instid1(VALU_DEP_1)
	v_pk_add_f32 v[106:107], v[106:107], v[108:109]
	v_cmp_lt_f32_e32 vcc_lo, v106, v107
	v_dual_cndmask_b32 v94, v94, v104 :: v_dual_add_nc_u32 v97, 8, v97
	v_cndmask_b32_e32 v95, v95, v105, vcc_lo
	v_cndmask_b32_e64 v96, v96, s0, vcc_lo
	s_add_co_i32 s0, s0, 1
	s_delay_alu instid0(SALU_CYCLE_1)
	s_cmp_lg_u32 s18, s0
	s_cbranch_scc1 .LBB86_673
.LBB86_674:
	s_wait_dscnt 0x0
	v_cmp_eq_f32_e32 vcc_lo, 0, v94
	v_cmp_eq_f32_e64 s0, 0, v95
	s_and_b32 s0, vcc_lo, s0
	s_delay_alu instid0(SALU_CYCLE_1) | instskip(NEXT) | instid1(SALU_CYCLE_1)
	s_and_saveexec_b32 s1, s0
	s_xor_b32 s0, exec_lo, s1
; %bb.675:
	v_cmp_ne_u32_e32 vcc_lo, 0, v100
	v_cndmask_b32_e32 v100, 33, v100, vcc_lo
; %bb.676:
	s_and_not1_saveexec_b32 s0, s0
	s_cbranch_execz .LBB86_682
; %bb.677:
	v_cmp_ngt_f32_e64 s1, |v94|, |v95|
	s_and_saveexec_b32 s12, s1
	s_delay_alu instid0(SALU_CYCLE_1)
	s_xor_b32 s1, exec_lo, s12
	s_cbranch_execz .LBB86_679
; %bb.678:
	v_div_scale_f32 v97, null, v95, v95, v94
	v_div_scale_f32 v105, vcc_lo, v94, v95, v94
	s_delay_alu instid0(VALU_DEP_2) | instskip(SKIP_1) | instid1(TRANS32_DEP_1)
	v_rcp_f32_e32 v103, v97
	v_nop
	v_fma_f32 v104, -v97, v103, 1.0
	s_delay_alu instid0(VALU_DEP_1) | instskip(NEXT) | instid1(VALU_DEP_1)
	v_fmac_f32_e32 v103, v104, v103
	v_mul_f32_e32 v104, v105, v103
	s_delay_alu instid0(VALU_DEP_1) | instskip(NEXT) | instid1(VALU_DEP_1)
	v_fma_f32 v106, -v97, v104, v105
	v_fmac_f32_e32 v104, v106, v103
	s_delay_alu instid0(VALU_DEP_1) | instskip(NEXT) | instid1(VALU_DEP_1)
	v_fma_f32 v97, -v97, v104, v105
	v_div_fmas_f32 v97, v97, v103, v104
	s_delay_alu instid0(VALU_DEP_1) | instskip(NEXT) | instid1(VALU_DEP_1)
	v_div_fixup_f32 v97, v97, v95, v94
	v_fmac_f32_e32 v95, v94, v97
	s_delay_alu instid0(VALU_DEP_1) | instskip(SKIP_1) | instid1(VALU_DEP_2)
	v_div_scale_f32 v94, null, v95, v95, 1.0
	v_div_scale_f32 v105, vcc_lo, 1.0, v95, 1.0
	v_rcp_f32_e32 v103, v94
	v_nop
	s_delay_alu instid0(TRANS32_DEP_1) | instskip(NEXT) | instid1(VALU_DEP_1)
	v_fma_f32 v104, -v94, v103, 1.0
	v_fmac_f32_e32 v103, v104, v103
	s_delay_alu instid0(VALU_DEP_1) | instskip(NEXT) | instid1(VALU_DEP_1)
	v_mul_f32_e32 v104, v105, v103
	v_fma_f32 v106, -v94, v104, v105
	s_delay_alu instid0(VALU_DEP_1) | instskip(NEXT) | instid1(VALU_DEP_1)
	v_fmac_f32_e32 v104, v106, v103
	v_fma_f32 v94, -v94, v104, v105
	s_delay_alu instid0(VALU_DEP_1) | instskip(NEXT) | instid1(VALU_DEP_1)
	v_div_fmas_f32 v94, v94, v103, v104
	v_div_fixup_f32 v95, v94, v95, 1.0
	s_delay_alu instid0(VALU_DEP_1)
	v_mul_f32_e32 v94, v97, v95
	v_xor_b32_e32 v95, 0x80000000, v95
.LBB86_679:
	s_and_not1_saveexec_b32 s1, s1
	s_cbranch_execz .LBB86_681
; %bb.680:
	s_delay_alu instid0(VALU_DEP_1) | instskip(SKIP_1) | instid1(VALU_DEP_2)
	v_div_scale_f32 v97, null, v94, v94, v95
	v_div_scale_f32 v105, vcc_lo, v95, v94, v95
	v_rcp_f32_e32 v103, v97
	v_nop
	s_delay_alu instid0(TRANS32_DEP_1) | instskip(NEXT) | instid1(VALU_DEP_1)
	v_fma_f32 v104, -v97, v103, 1.0
	v_fmac_f32_e32 v103, v104, v103
	s_delay_alu instid0(VALU_DEP_1) | instskip(NEXT) | instid1(VALU_DEP_1)
	v_mul_f32_e32 v104, v105, v103
	v_fma_f32 v106, -v97, v104, v105
	s_delay_alu instid0(VALU_DEP_1) | instskip(NEXT) | instid1(VALU_DEP_1)
	v_fmac_f32_e32 v104, v106, v103
	v_fma_f32 v97, -v97, v104, v105
	s_delay_alu instid0(VALU_DEP_1) | instskip(NEXT) | instid1(VALU_DEP_1)
	v_div_fmas_f32 v97, v97, v103, v104
	v_div_fixup_f32 v97, v97, v94, v95
	s_delay_alu instid0(VALU_DEP_1) | instskip(NEXT) | instid1(VALU_DEP_1)
	v_fmac_f32_e32 v94, v95, v97
	v_div_scale_f32 v95, null, v94, v94, 1.0
	s_delay_alu instid0(VALU_DEP_1) | instskip(SKIP_1) | instid1(TRANS32_DEP_1)
	v_rcp_f32_e32 v103, v95
	v_nop
	v_fma_f32 v104, -v95, v103, 1.0
	s_delay_alu instid0(VALU_DEP_1) | instskip(SKIP_1) | instid1(VALU_DEP_1)
	v_fmac_f32_e32 v103, v104, v103
	v_div_scale_f32 v104, vcc_lo, 1.0, v94, 1.0
	v_mul_f32_e32 v105, v104, v103
	s_delay_alu instid0(VALU_DEP_1) | instskip(NEXT) | instid1(VALU_DEP_1)
	v_fma_f32 v106, -v95, v105, v104
	v_fmac_f32_e32 v105, v106, v103
	s_delay_alu instid0(VALU_DEP_1) | instskip(NEXT) | instid1(VALU_DEP_1)
	v_fma_f32 v95, -v95, v105, v104
	v_div_fmas_f32 v95, v95, v103, v105
	s_delay_alu instid0(VALU_DEP_1) | instskip(NEXT) | instid1(VALU_DEP_1)
	v_div_fixup_f32 v94, v95, v94, 1.0
	v_mul_f32_e64 v95, v97, -v94
.LBB86_681:
	s_or_b32 exec_lo, exec_lo, s1
.LBB86_682:
	s_delay_alu instid0(SALU_CYCLE_1) | instskip(NEXT) | instid1(SALU_CYCLE_1)
	s_or_b32 exec_lo, exec_lo, s0
	s_mov_b32 s0, exec_lo
	v_cmpx_ne_u32_e64 v102, v96
	s_xor_b32 s0, exec_lo, s0
	s_cbranch_execz .LBB86_688
; %bb.683:
	s_mov_b32 s1, exec_lo
	v_cmpx_eq_u32_e32 32, v102
	s_cbranch_execz .LBB86_687
; %bb.684:
	v_cmp_ne_u32_e32 vcc_lo, 32, v96
	s_xor_b32 s12, s16, -1
	s_delay_alu instid0(SALU_CYCLE_1) | instskip(NEXT) | instid1(SALU_CYCLE_1)
	s_and_b32 s13, s12, vcc_lo
	s_and_saveexec_b32 s12, s13
	s_cbranch_execz .LBB86_686
; %bb.685:
	v_ashrrev_i32_e32 v97, 31, v96
	s_delay_alu instid0(VALU_DEP_1)
	v_lshl_add_u64 v[102:103], v[96:97], 2, v[4:5]
	s_clause 0x1
	global_load_b32 v97, v[102:103], off
	global_load_b32 v101, v[4:5], off offset:128
	s_wait_loadcnt 0x1
	global_store_b32 v[4:5], v97, off offset:128
	s_wait_loadcnt 0x0
	global_store_b32 v[102:103], v101, off
.LBB86_686:
	s_wait_xcnt 0x0
	s_or_b32 exec_lo, exec_lo, s12
	v_dual_mov_b32 v102, v96 :: v_dual_mov_b32 v101, v96
.LBB86_687:
	s_or_b32 exec_lo, exec_lo, s1
.LBB86_688:
	s_and_not1_saveexec_b32 s0, s0
	s_cbranch_execz .LBB86_690
; %bb.689:
	v_mov_b32_e32 v102, 32
	ds_store_2addr_b64 v98, v[36:37], v[38:39] offset0:33 offset1:34
	ds_store_2addr_b64 v98, v[6:7], v[34:35] offset0:35 offset1:36
	;; [unrolled: 1-line block ×5, first 2 shown]
	ds_store_b64 v98, v[92:93] offset:344
.LBB86_690:
	s_or_b32 exec_lo, exec_lo, s0
	s_delay_alu instid0(SALU_CYCLE_1)
	s_mov_b32 s0, exec_lo
	s_wait_storecnt_dscnt 0x0
	s_barrier_signal -1
	s_barrier_wait -1
	v_cmpx_lt_i32_e32 32, v102
	s_cbranch_execz .LBB86_692
; %bb.691:
	v_pk_mul_f32 v[96:97], v[94:95], v[40:41] op_sel:[1,1] op_sel_hi:[0,1]
	s_delay_alu instid0(VALU_DEP_1)
	v_pk_fma_f32 v[104:105], v[94:95], v[40:41], v[96:97] op_sel_hi:[1,0,1] neg_lo:[0,0,1] neg_hi:[0,0,1]
	v_pk_fma_f32 v[106:107], v[94:95], v[40:41], v[96:97] op_sel_hi:[1,0,1]
	ds_load_2addr_b64 v[94:97], v98 offset0:33 offset1:34
	v_dual_mov_b32 v40, v104 :: v_dual_mov_b32 v41, v107
	s_wait_dscnt 0x0
	v_pk_mul_f32 v[108:109], v[94:95], v[106:107] op_sel:[0,1]
	s_delay_alu instid0(VALU_DEP_1) | instskip(SKIP_1) | instid1(VALU_DEP_1)
	v_pk_fma_f32 v[110:111], v[94:95], v[104:105], v[108:109] op_sel:[0,0,1] op_sel_hi:[1,1,0] neg_lo:[0,0,1] neg_hi:[0,0,1]
	v_pk_fma_f32 v[94:95], v[94:95], v[104:105], v[108:109] op_sel:[0,0,1] op_sel_hi:[1,0,0]
	v_mov_b32_e32 v111, v95
	v_pk_mul_f32 v[94:95], v[96:97], v[106:107] op_sel:[0,1]
	s_delay_alu instid0(VALU_DEP_1) | instskip(SKIP_1) | instid1(VALU_DEP_1)
	v_pk_fma_f32 v[108:109], v[96:97], v[104:105], v[94:95] op_sel:[0,0,1] op_sel_hi:[1,1,0] neg_lo:[0,0,1] neg_hi:[0,0,1]
	v_pk_fma_f32 v[94:95], v[96:97], v[104:105], v[94:95] op_sel:[0,0,1] op_sel_hi:[1,0,0]
	v_mov_b32_e32 v109, v95
	ds_load_2addr_b64 v[94:97], v98 offset0:35 offset1:36
	v_pk_add_f32 v[36:37], v[36:37], v[110:111] neg_lo:[0,1] neg_hi:[0,1]
	v_pk_add_f32 v[38:39], v[38:39], v[108:109] neg_lo:[0,1] neg_hi:[0,1]
	s_wait_dscnt 0x0
	v_pk_mul_f32 v[108:109], v[94:95], v[106:107] op_sel:[0,1]
	s_delay_alu instid0(VALU_DEP_1) | instskip(SKIP_2) | instid1(VALU_DEP_2)
	v_pk_fma_f32 v[110:111], v[94:95], v[104:105], v[108:109] op_sel:[0,0,1] op_sel_hi:[1,1,0] neg_lo:[0,0,1] neg_hi:[0,0,1]
	v_pk_fma_f32 v[94:95], v[94:95], v[104:105], v[108:109] op_sel:[0,0,1] op_sel_hi:[1,0,0]
	v_dual_mul_f32 v108, v97, v107 :: v_dual_mov_b32 v94, v97
	v_dual_mov_b32 v111, v95 :: v_dual_mov_b32 v95, v96
	s_delay_alu instid0(VALU_DEP_2) | instskip(SKIP_1) | instid1(VALU_DEP_3)
	v_pk_fma_f32 v[108:109], v[96:97], v[40:41], v[108:109] op_sel_hi:[1,1,0] neg_lo:[0,0,1] neg_hi:[0,0,1]
	v_mul_f32_e32 v96, v97, v104
	v_pk_add_f32 v[6:7], v[6:7], v[110:111] neg_lo:[0,1] neg_hi:[0,1]
	s_delay_alu instid0(VALU_DEP_2) | instskip(NEXT) | instid1(VALU_DEP_1)
	v_pk_fma_f32 v[94:95], v[94:95], v[40:41], v[96:97] op_sel_hi:[1,1,0]
	v_mov_b32_e32 v109, v95
	ds_load_2addr_b64 v[94:97], v98 offset0:37 offset1:38
	v_pk_add_f32 v[34:35], v[34:35], v[108:109] neg_lo:[0,1] neg_hi:[0,1]
	s_wait_dscnt 0x0
	v_pk_mul_f32 v[108:109], v[94:95], v[106:107] op_sel:[0,1]
	s_delay_alu instid0(VALU_DEP_1) | instskip(SKIP_1) | instid1(VALU_DEP_1)
	v_pk_fma_f32 v[110:111], v[94:95], v[104:105], v[108:109] op_sel:[0,0,1] op_sel_hi:[1,1,0] neg_lo:[0,0,1] neg_hi:[0,0,1]
	v_pk_fma_f32 v[94:95], v[94:95], v[104:105], v[108:109] op_sel:[0,0,1] op_sel_hi:[1,0,0]
	v_mov_b32_e32 v111, v95
	v_pk_mul_f32 v[94:95], v[96:97], v[106:107] op_sel:[0,1]
	s_delay_alu instid0(VALU_DEP_1) | instskip(SKIP_1) | instid1(VALU_DEP_1)
	v_pk_fma_f32 v[108:109], v[96:97], v[104:105], v[94:95] op_sel:[0,0,1] op_sel_hi:[1,1,0] neg_lo:[0,0,1] neg_hi:[0,0,1]
	v_pk_fma_f32 v[94:95], v[96:97], v[104:105], v[94:95] op_sel:[0,0,1] op_sel_hi:[1,0,0]
	v_mov_b32_e32 v109, v95
	ds_load_2addr_b64 v[94:97], v98 offset0:39 offset1:40
	v_pk_add_f32 v[30:31], v[30:31], v[110:111] neg_lo:[0,1] neg_hi:[0,1]
	v_pk_add_f32 v[32:33], v[32:33], v[108:109] neg_lo:[0,1] neg_hi:[0,1]
	s_wait_dscnt 0x0
	v_pk_mul_f32 v[108:109], v[94:95], v[106:107] op_sel:[0,1]
	s_delay_alu instid0(VALU_DEP_1) | instskip(SKIP_1) | instid1(VALU_DEP_1)
	v_pk_fma_f32 v[110:111], v[94:95], v[104:105], v[108:109] op_sel:[0,0,1] op_sel_hi:[1,1,0] neg_lo:[0,0,1] neg_hi:[0,0,1]
	v_pk_fma_f32 v[94:95], v[94:95], v[104:105], v[108:109] op_sel:[0,0,1] op_sel_hi:[1,0,0]
	v_mov_b32_e32 v111, v95
	v_pk_mul_f32 v[94:95], v[96:97], v[106:107] op_sel:[0,1]
	s_delay_alu instid0(VALU_DEP_1) | instskip(SKIP_1) | instid1(VALU_DEP_1)
	v_pk_fma_f32 v[108:109], v[96:97], v[104:105], v[94:95] op_sel:[0,0,1] op_sel_hi:[1,1,0] neg_lo:[0,0,1] neg_hi:[0,0,1]
	v_pk_fma_f32 v[94:95], v[96:97], v[104:105], v[94:95] op_sel:[0,0,1] op_sel_hi:[1,0,0]
	v_mov_b32_e32 v109, v95
	ds_load_2addr_b64 v[94:97], v98 offset0:41 offset1:42
	v_pk_add_f32 v[8:9], v[8:9], v[110:111] neg_lo:[0,1] neg_hi:[0,1]
	v_pk_add_f32 v[28:29], v[28:29], v[108:109] neg_lo:[0,1] neg_hi:[0,1]
	s_wait_dscnt 0x0
	v_dual_mul_f32 v108, v95, v107 :: v_dual_mul_f32 v110, v95, v104
	s_delay_alu instid0(VALU_DEP_1) | instskip(NEXT) | instid1(VALU_DEP_2)
	v_pk_fma_f32 v[108:109], v[94:95], v[40:41], v[108:109] op_sel_hi:[1,1,0] neg_lo:[0,0,1] neg_hi:[0,0,1]
	v_pk_fma_f32 v[94:95], v[94:95], v[40:41], v[110:111] op_sel:[1,0,0] op_sel_hi:[0,1,0]
	s_delay_alu instid0(VALU_DEP_1) | instskip(SKIP_1) | instid1(VALU_DEP_2)
	v_mov_b32_e32 v109, v95
	v_pk_mul_f32 v[94:95], v[96:97], v[106:107] op_sel:[0,1]
	v_pk_add_f32 v[20:21], v[20:21], v[108:109] neg_lo:[0,1] neg_hi:[0,1]
	s_delay_alu instid0(VALU_DEP_2) | instskip(SKIP_1) | instid1(VALU_DEP_1)
	v_pk_fma_f32 v[108:109], v[96:97], v[104:105], v[94:95] op_sel:[0,0,1] op_sel_hi:[1,1,0] neg_lo:[0,0,1] neg_hi:[0,0,1]
	v_pk_fma_f32 v[94:95], v[96:97], v[104:105], v[94:95] op_sel:[0,0,1] op_sel_hi:[1,0,0]
	v_mov_b32_e32 v109, v95
	ds_load_b64 v[94:95], v98 offset:344
	v_pk_add_f32 v[16:17], v[16:17], v[108:109] neg_lo:[0,1] neg_hi:[0,1]
	s_wait_dscnt 0x0
	v_pk_mul_f32 v[96:97], v[94:95], v[106:107] op_sel:[0,1]
	s_delay_alu instid0(VALU_DEP_1) | instskip(SKIP_1) | instid1(VALU_DEP_1)
	v_pk_fma_f32 v[106:107], v[94:95], v[104:105], v[96:97] op_sel:[0,0,1] op_sel_hi:[1,1,0] neg_lo:[0,0,1] neg_hi:[0,0,1]
	v_pk_fma_f32 v[94:95], v[94:95], v[104:105], v[96:97] op_sel:[0,0,1] op_sel_hi:[1,0,0]
	v_mov_b32_e32 v107, v95
	s_delay_alu instid0(VALU_DEP_1)
	v_pk_add_f32 v[92:93], v[92:93], v[106:107] neg_lo:[0,1] neg_hi:[0,1]
.LBB86_692:
	s_or_b32 exec_lo, exec_lo, s0
	v_lshl_add_u32 v94, v102, 3, v98
	s_barrier_signal -1
	s_barrier_wait -1
	ds_store_b64 v94, v[36:37]
	s_wait_dscnt 0x0
	s_barrier_signal -1
	s_barrier_wait -1
	ds_load_b64 v[94:95], v98 offset:264
	v_mov_b32_e32 v96, 33
	s_cmp_lt_i32 s18, 35
	s_cbranch_scc1 .LBB86_695
; %bb.693:
	v_add3_u32 v97, v99, 0, 0x110
	v_mov_b32_e32 v96, 33
	s_mov_b32 s0, 34
.LBB86_694:                             ; =>This Inner Loop Header: Depth=1
	ds_load_b64 v[104:105], v97
	s_wait_dscnt 0x1
	v_cmp_gt_f32_e32 vcc_lo, 0, v94
	v_cndmask_b32_e64 v106, v94, -v94, vcc_lo
	v_cmp_gt_f32_e32 vcc_lo, 0, v95
	v_cndmask_b32_e64 v108, v95, -v95, vcc_lo
	s_wait_dscnt 0x0
	v_cmp_gt_f32_e32 vcc_lo, 0, v104
	v_cndmask_b32_e64 v107, v104, -v104, vcc_lo
	v_cmp_gt_f32_e32 vcc_lo, 0, v105
	v_cndmask_b32_e64 v109, v105, -v105, vcc_lo
	s_delay_alu instid0(VALU_DEP_1) | instskip(NEXT) | instid1(VALU_DEP_1)
	v_pk_add_f32 v[106:107], v[106:107], v[108:109]
	v_cmp_lt_f32_e32 vcc_lo, v106, v107
	v_dual_cndmask_b32 v94, v94, v104 :: v_dual_add_nc_u32 v97, 8, v97
	v_cndmask_b32_e32 v95, v95, v105, vcc_lo
	v_cndmask_b32_e64 v96, v96, s0, vcc_lo
	s_add_co_i32 s0, s0, 1
	s_delay_alu instid0(SALU_CYCLE_1)
	s_cmp_lg_u32 s18, s0
	s_cbranch_scc1 .LBB86_694
.LBB86_695:
	s_wait_dscnt 0x0
	v_cmp_eq_f32_e32 vcc_lo, 0, v94
	v_cmp_eq_f32_e64 s0, 0, v95
	s_and_b32 s0, vcc_lo, s0
	s_delay_alu instid0(SALU_CYCLE_1) | instskip(NEXT) | instid1(SALU_CYCLE_1)
	s_and_saveexec_b32 s1, s0
	s_xor_b32 s0, exec_lo, s1
; %bb.696:
	v_cmp_ne_u32_e32 vcc_lo, 0, v100
	v_cndmask_b32_e32 v100, 34, v100, vcc_lo
; %bb.697:
	s_and_not1_saveexec_b32 s0, s0
	s_cbranch_execz .LBB86_703
; %bb.698:
	v_cmp_ngt_f32_e64 s1, |v94|, |v95|
	s_and_saveexec_b32 s12, s1
	s_delay_alu instid0(SALU_CYCLE_1)
	s_xor_b32 s1, exec_lo, s12
	s_cbranch_execz .LBB86_700
; %bb.699:
	v_div_scale_f32 v97, null, v95, v95, v94
	v_div_scale_f32 v105, vcc_lo, v94, v95, v94
	s_delay_alu instid0(VALU_DEP_2) | instskip(SKIP_1) | instid1(TRANS32_DEP_1)
	v_rcp_f32_e32 v103, v97
	v_nop
	v_fma_f32 v104, -v97, v103, 1.0
	s_delay_alu instid0(VALU_DEP_1) | instskip(NEXT) | instid1(VALU_DEP_1)
	v_fmac_f32_e32 v103, v104, v103
	v_mul_f32_e32 v104, v105, v103
	s_delay_alu instid0(VALU_DEP_1) | instskip(NEXT) | instid1(VALU_DEP_1)
	v_fma_f32 v106, -v97, v104, v105
	v_fmac_f32_e32 v104, v106, v103
	s_delay_alu instid0(VALU_DEP_1) | instskip(NEXT) | instid1(VALU_DEP_1)
	v_fma_f32 v97, -v97, v104, v105
	v_div_fmas_f32 v97, v97, v103, v104
	s_delay_alu instid0(VALU_DEP_1) | instskip(NEXT) | instid1(VALU_DEP_1)
	v_div_fixup_f32 v97, v97, v95, v94
	v_fmac_f32_e32 v95, v94, v97
	s_delay_alu instid0(VALU_DEP_1) | instskip(SKIP_1) | instid1(VALU_DEP_2)
	v_div_scale_f32 v94, null, v95, v95, 1.0
	v_div_scale_f32 v105, vcc_lo, 1.0, v95, 1.0
	v_rcp_f32_e32 v103, v94
	v_nop
	s_delay_alu instid0(TRANS32_DEP_1) | instskip(NEXT) | instid1(VALU_DEP_1)
	v_fma_f32 v104, -v94, v103, 1.0
	v_fmac_f32_e32 v103, v104, v103
	s_delay_alu instid0(VALU_DEP_1) | instskip(NEXT) | instid1(VALU_DEP_1)
	v_mul_f32_e32 v104, v105, v103
	v_fma_f32 v106, -v94, v104, v105
	s_delay_alu instid0(VALU_DEP_1) | instskip(NEXT) | instid1(VALU_DEP_1)
	v_fmac_f32_e32 v104, v106, v103
	v_fma_f32 v94, -v94, v104, v105
	s_delay_alu instid0(VALU_DEP_1) | instskip(NEXT) | instid1(VALU_DEP_1)
	v_div_fmas_f32 v94, v94, v103, v104
	v_div_fixup_f32 v95, v94, v95, 1.0
	s_delay_alu instid0(VALU_DEP_1)
	v_mul_f32_e32 v94, v97, v95
	v_xor_b32_e32 v95, 0x80000000, v95
.LBB86_700:
	s_and_not1_saveexec_b32 s1, s1
	s_cbranch_execz .LBB86_702
; %bb.701:
	s_delay_alu instid0(VALU_DEP_1) | instskip(SKIP_1) | instid1(VALU_DEP_2)
	v_div_scale_f32 v97, null, v94, v94, v95
	v_div_scale_f32 v105, vcc_lo, v95, v94, v95
	v_rcp_f32_e32 v103, v97
	v_nop
	s_delay_alu instid0(TRANS32_DEP_1) | instskip(NEXT) | instid1(VALU_DEP_1)
	v_fma_f32 v104, -v97, v103, 1.0
	v_fmac_f32_e32 v103, v104, v103
	s_delay_alu instid0(VALU_DEP_1) | instskip(NEXT) | instid1(VALU_DEP_1)
	v_mul_f32_e32 v104, v105, v103
	v_fma_f32 v106, -v97, v104, v105
	s_delay_alu instid0(VALU_DEP_1) | instskip(NEXT) | instid1(VALU_DEP_1)
	v_fmac_f32_e32 v104, v106, v103
	v_fma_f32 v97, -v97, v104, v105
	s_delay_alu instid0(VALU_DEP_1) | instskip(NEXT) | instid1(VALU_DEP_1)
	v_div_fmas_f32 v97, v97, v103, v104
	v_div_fixup_f32 v97, v97, v94, v95
	s_delay_alu instid0(VALU_DEP_1) | instskip(NEXT) | instid1(VALU_DEP_1)
	v_fmac_f32_e32 v94, v95, v97
	v_div_scale_f32 v95, null, v94, v94, 1.0
	s_delay_alu instid0(VALU_DEP_1) | instskip(SKIP_1) | instid1(TRANS32_DEP_1)
	v_rcp_f32_e32 v103, v95
	v_nop
	v_fma_f32 v104, -v95, v103, 1.0
	s_delay_alu instid0(VALU_DEP_1) | instskip(SKIP_1) | instid1(VALU_DEP_1)
	v_fmac_f32_e32 v103, v104, v103
	v_div_scale_f32 v104, vcc_lo, 1.0, v94, 1.0
	v_mul_f32_e32 v105, v104, v103
	s_delay_alu instid0(VALU_DEP_1) | instskip(NEXT) | instid1(VALU_DEP_1)
	v_fma_f32 v106, -v95, v105, v104
	v_fmac_f32_e32 v105, v106, v103
	s_delay_alu instid0(VALU_DEP_1) | instskip(NEXT) | instid1(VALU_DEP_1)
	v_fma_f32 v95, -v95, v105, v104
	v_div_fmas_f32 v95, v95, v103, v105
	s_delay_alu instid0(VALU_DEP_1) | instskip(NEXT) | instid1(VALU_DEP_1)
	v_div_fixup_f32 v94, v95, v94, 1.0
	v_mul_f32_e64 v95, v97, -v94
.LBB86_702:
	s_or_b32 exec_lo, exec_lo, s1
.LBB86_703:
	s_delay_alu instid0(SALU_CYCLE_1) | instskip(NEXT) | instid1(SALU_CYCLE_1)
	s_or_b32 exec_lo, exec_lo, s0
	s_mov_b32 s0, exec_lo
	v_cmpx_ne_u32_e64 v102, v96
	s_xor_b32 s0, exec_lo, s0
	s_cbranch_execz .LBB86_709
; %bb.704:
	s_mov_b32 s1, exec_lo
	v_cmpx_eq_u32_e32 33, v102
	s_cbranch_execz .LBB86_708
; %bb.705:
	v_cmp_ne_u32_e32 vcc_lo, 33, v96
	s_xor_b32 s12, s16, -1
	s_delay_alu instid0(SALU_CYCLE_1) | instskip(NEXT) | instid1(SALU_CYCLE_1)
	s_and_b32 s13, s12, vcc_lo
	s_and_saveexec_b32 s12, s13
	s_cbranch_execz .LBB86_707
; %bb.706:
	v_ashrrev_i32_e32 v97, 31, v96
	s_delay_alu instid0(VALU_DEP_1)
	v_lshl_add_u64 v[102:103], v[96:97], 2, v[4:5]
	s_clause 0x1
	global_load_b32 v97, v[102:103], off
	global_load_b32 v101, v[4:5], off offset:132
	s_wait_loadcnt 0x1
	global_store_b32 v[4:5], v97, off offset:132
	s_wait_loadcnt 0x0
	global_store_b32 v[102:103], v101, off
.LBB86_707:
	s_wait_xcnt 0x0
	s_or_b32 exec_lo, exec_lo, s12
	v_dual_mov_b32 v102, v96 :: v_dual_mov_b32 v101, v96
.LBB86_708:
	s_or_b32 exec_lo, exec_lo, s1
.LBB86_709:
	s_and_not1_saveexec_b32 s0, s0
	s_cbranch_execz .LBB86_711
; %bb.710:
	v_dual_mov_b32 v96, v38 :: v_dual_mov_b32 v97, v39
	v_dual_mov_b32 v104, v6 :: v_dual_mov_b32 v105, v7
	;; [unrolled: 1-line block ×9, first 2 shown]
	v_mov_b32_e32 v119, v17
	ds_store_2addr_b64 v98, v[96:97], v[104:105] offset0:34 offset1:35
	ds_store_2addr_b64 v98, v[106:107], v[108:109] offset0:36 offset1:37
	;; [unrolled: 1-line block ×5, first 2 shown]
.LBB86_711:
	s_or_b32 exec_lo, exec_lo, s0
	s_delay_alu instid0(SALU_CYCLE_1)
	s_mov_b32 s0, exec_lo
	s_wait_storecnt_dscnt 0x0
	s_barrier_signal -1
	s_barrier_wait -1
	v_cmpx_lt_i32_e32 33, v102
	s_cbranch_execz .LBB86_713
; %bb.712:
	v_pk_mul_f32 v[96:97], v[94:95], v[36:37] op_sel:[1,1] op_sel_hi:[0,1]
	s_delay_alu instid0(VALU_DEP_1)
	v_pk_fma_f32 v[104:105], v[94:95], v[36:37], v[96:97] op_sel_hi:[1,0,1] neg_lo:[0,0,1] neg_hi:[0,0,1]
	v_pk_fma_f32 v[106:107], v[94:95], v[36:37], v[96:97] op_sel_hi:[1,0,1]
	ds_load_2addr_b64 v[94:97], v98 offset0:34 offset1:35
	v_dual_mov_b32 v36, v104 :: v_dual_mov_b32 v37, v107
	s_wait_dscnt 0x0
	v_pk_mul_f32 v[108:109], v[94:95], v[106:107] op_sel:[0,1]
	s_delay_alu instid0(VALU_DEP_1) | instskip(SKIP_1) | instid1(VALU_DEP_1)
	v_pk_fma_f32 v[110:111], v[94:95], v[104:105], v[108:109] op_sel:[0,0,1] op_sel_hi:[1,1,0] neg_lo:[0,0,1] neg_hi:[0,0,1]
	v_pk_fma_f32 v[94:95], v[94:95], v[104:105], v[108:109] op_sel:[0,0,1] op_sel_hi:[1,0,0]
	v_mov_b32_e32 v111, v95
	v_pk_mul_f32 v[94:95], v[96:97], v[106:107] op_sel:[0,1]
	s_delay_alu instid0(VALU_DEP_1) | instskip(SKIP_1) | instid1(VALU_DEP_1)
	v_pk_fma_f32 v[108:109], v[96:97], v[104:105], v[94:95] op_sel:[0,0,1] op_sel_hi:[1,1,0] neg_lo:[0,0,1] neg_hi:[0,0,1]
	v_pk_fma_f32 v[94:95], v[96:97], v[104:105], v[94:95] op_sel:[0,0,1] op_sel_hi:[1,0,0]
	v_mov_b32_e32 v109, v95
	ds_load_2addr_b64 v[94:97], v98 offset0:36 offset1:37
	v_pk_add_f32 v[38:39], v[38:39], v[110:111] neg_lo:[0,1] neg_hi:[0,1]
	v_pk_add_f32 v[6:7], v[6:7], v[108:109] neg_lo:[0,1] neg_hi:[0,1]
	s_wait_dscnt 0x0
	v_pk_mul_f32 v[108:109], v[94:95], v[106:107] op_sel:[0,1]
	s_delay_alu instid0(VALU_DEP_1) | instskip(SKIP_2) | instid1(VALU_DEP_2)
	v_pk_fma_f32 v[110:111], v[94:95], v[104:105], v[108:109] op_sel:[0,0,1] op_sel_hi:[1,1,0] neg_lo:[0,0,1] neg_hi:[0,0,1]
	v_pk_fma_f32 v[94:95], v[94:95], v[104:105], v[108:109] op_sel:[0,0,1] op_sel_hi:[1,0,0]
	v_dual_mul_f32 v108, v97, v107 :: v_dual_mov_b32 v94, v97
	v_dual_mov_b32 v111, v95 :: v_dual_mov_b32 v95, v96
	s_delay_alu instid0(VALU_DEP_2) | instskip(SKIP_1) | instid1(VALU_DEP_3)
	v_pk_fma_f32 v[108:109], v[96:97], v[36:37], v[108:109] op_sel_hi:[1,1,0] neg_lo:[0,0,1] neg_hi:[0,0,1]
	v_mul_f32_e32 v96, v97, v104
	v_pk_add_f32 v[34:35], v[34:35], v[110:111] neg_lo:[0,1] neg_hi:[0,1]
	s_delay_alu instid0(VALU_DEP_2) | instskip(NEXT) | instid1(VALU_DEP_1)
	v_pk_fma_f32 v[94:95], v[94:95], v[36:37], v[96:97] op_sel_hi:[1,1,0]
	v_mov_b32_e32 v109, v95
	ds_load_2addr_b64 v[94:97], v98 offset0:38 offset1:39
	v_pk_add_f32 v[30:31], v[30:31], v[108:109] neg_lo:[0,1] neg_hi:[0,1]
	s_wait_dscnt 0x0
	v_pk_mul_f32 v[108:109], v[94:95], v[106:107] op_sel:[0,1]
	s_delay_alu instid0(VALU_DEP_1) | instskip(SKIP_1) | instid1(VALU_DEP_1)
	v_pk_fma_f32 v[110:111], v[94:95], v[104:105], v[108:109] op_sel:[0,0,1] op_sel_hi:[1,1,0] neg_lo:[0,0,1] neg_hi:[0,0,1]
	v_pk_fma_f32 v[94:95], v[94:95], v[104:105], v[108:109] op_sel:[0,0,1] op_sel_hi:[1,0,0]
	v_mov_b32_e32 v111, v95
	v_pk_mul_f32 v[94:95], v[96:97], v[106:107] op_sel:[0,1]
	s_delay_alu instid0(VALU_DEP_1) | instskip(SKIP_1) | instid1(VALU_DEP_1)
	v_pk_fma_f32 v[108:109], v[96:97], v[104:105], v[94:95] op_sel:[0,0,1] op_sel_hi:[1,1,0] neg_lo:[0,0,1] neg_hi:[0,0,1]
	v_pk_fma_f32 v[94:95], v[96:97], v[104:105], v[94:95] op_sel:[0,0,1] op_sel_hi:[1,0,0]
	v_mov_b32_e32 v109, v95
	ds_load_2addr_b64 v[94:97], v98 offset0:40 offset1:41
	v_pk_add_f32 v[32:33], v[32:33], v[110:111] neg_lo:[0,1] neg_hi:[0,1]
	v_pk_add_f32 v[8:9], v[8:9], v[108:109] neg_lo:[0,1] neg_hi:[0,1]
	s_wait_dscnt 0x0
	v_pk_mul_f32 v[108:109], v[94:95], v[106:107] op_sel:[0,1]
	s_delay_alu instid0(VALU_DEP_1) | instskip(SKIP_1) | instid1(VALU_DEP_1)
	v_pk_fma_f32 v[110:111], v[94:95], v[104:105], v[108:109] op_sel:[0,0,1] op_sel_hi:[1,1,0] neg_lo:[0,0,1] neg_hi:[0,0,1]
	v_pk_fma_f32 v[94:95], v[94:95], v[104:105], v[108:109] op_sel:[0,0,1] op_sel_hi:[1,0,0]
	v_mov_b32_e32 v111, v95
	v_pk_mul_f32 v[94:95], v[96:97], v[106:107] op_sel:[0,1]
	s_delay_alu instid0(VALU_DEP_1) | instskip(SKIP_1) | instid1(VALU_DEP_1)
	v_pk_fma_f32 v[108:109], v[96:97], v[104:105], v[94:95] op_sel:[0,0,1] op_sel_hi:[1,1,0] neg_lo:[0,0,1] neg_hi:[0,0,1]
	v_pk_fma_f32 v[94:95], v[96:97], v[104:105], v[94:95] op_sel:[0,0,1] op_sel_hi:[1,0,0]
	v_mov_b32_e32 v109, v95
	ds_load_2addr_b64 v[94:97], v98 offset0:42 offset1:43
	v_pk_add_f32 v[28:29], v[28:29], v[110:111] neg_lo:[0,1] neg_hi:[0,1]
	v_pk_add_f32 v[20:21], v[20:21], v[108:109] neg_lo:[0,1] neg_hi:[0,1]
	s_wait_dscnt 0x0
	v_dual_mul_f32 v108, v95, v107 :: v_dual_mul_f32 v110, v95, v104
	s_delay_alu instid0(VALU_DEP_1) | instskip(NEXT) | instid1(VALU_DEP_2)
	v_pk_fma_f32 v[108:109], v[94:95], v[36:37], v[108:109] op_sel_hi:[1,1,0] neg_lo:[0,0,1] neg_hi:[0,0,1]
	v_pk_fma_f32 v[94:95], v[94:95], v[36:37], v[110:111] op_sel:[1,0,0] op_sel_hi:[0,1,0]
	s_delay_alu instid0(VALU_DEP_1) | instskip(SKIP_1) | instid1(VALU_DEP_1)
	v_mov_b32_e32 v109, v95
	v_pk_mul_f32 v[94:95], v[96:97], v[106:107] op_sel:[0,1]
	v_pk_fma_f32 v[106:107], v[96:97], v[104:105], v[94:95] op_sel:[0,0,1] op_sel_hi:[1,1,0] neg_lo:[0,0,1] neg_hi:[0,0,1]
	v_pk_fma_f32 v[94:95], v[96:97], v[104:105], v[94:95] op_sel:[0,0,1] op_sel_hi:[1,0,0]
	s_delay_alu instid0(VALU_DEP_1) | instskip(SKIP_1) | instid1(VALU_DEP_2)
	v_mov_b32_e32 v107, v95
	v_pk_add_f32 v[16:17], v[16:17], v[108:109] neg_lo:[0,1] neg_hi:[0,1]
	v_pk_add_f32 v[92:93], v[92:93], v[106:107] neg_lo:[0,1] neg_hi:[0,1]
.LBB86_713:
	s_or_b32 exec_lo, exec_lo, s0
	v_lshl_add_u32 v94, v102, 3, v98
	s_barrier_signal -1
	s_barrier_wait -1
	ds_store_b64 v94, v[38:39]
	s_wait_dscnt 0x0
	s_barrier_signal -1
	s_barrier_wait -1
	ds_load_b64 v[94:95], v98 offset:272
	v_mov_b32_e32 v96, 34
	s_cmp_lt_i32 s18, 36
	s_cbranch_scc1 .LBB86_716
; %bb.714:
	v_add3_u32 v97, v99, 0, 0x118
	v_mov_b32_e32 v96, 34
	s_mov_b32 s0, 35
.LBB86_715:                             ; =>This Inner Loop Header: Depth=1
	ds_load_b64 v[104:105], v97
	s_wait_dscnt 0x1
	v_cmp_gt_f32_e32 vcc_lo, 0, v94
	v_cndmask_b32_e64 v106, v94, -v94, vcc_lo
	v_cmp_gt_f32_e32 vcc_lo, 0, v95
	v_cndmask_b32_e64 v108, v95, -v95, vcc_lo
	s_wait_dscnt 0x0
	v_cmp_gt_f32_e32 vcc_lo, 0, v104
	v_cndmask_b32_e64 v107, v104, -v104, vcc_lo
	v_cmp_gt_f32_e32 vcc_lo, 0, v105
	v_cndmask_b32_e64 v109, v105, -v105, vcc_lo
	s_delay_alu instid0(VALU_DEP_1) | instskip(NEXT) | instid1(VALU_DEP_1)
	v_pk_add_f32 v[106:107], v[106:107], v[108:109]
	v_cmp_lt_f32_e32 vcc_lo, v106, v107
	v_dual_cndmask_b32 v94, v94, v104 :: v_dual_add_nc_u32 v97, 8, v97
	v_cndmask_b32_e32 v95, v95, v105, vcc_lo
	v_cndmask_b32_e64 v96, v96, s0, vcc_lo
	s_add_co_i32 s0, s0, 1
	s_delay_alu instid0(SALU_CYCLE_1)
	s_cmp_lg_u32 s18, s0
	s_cbranch_scc1 .LBB86_715
.LBB86_716:
	s_wait_dscnt 0x0
	v_cmp_eq_f32_e32 vcc_lo, 0, v94
	v_cmp_eq_f32_e64 s0, 0, v95
	s_and_b32 s0, vcc_lo, s0
	s_delay_alu instid0(SALU_CYCLE_1) | instskip(NEXT) | instid1(SALU_CYCLE_1)
	s_and_saveexec_b32 s1, s0
	s_xor_b32 s0, exec_lo, s1
; %bb.717:
	v_cmp_ne_u32_e32 vcc_lo, 0, v100
	v_cndmask_b32_e32 v100, 35, v100, vcc_lo
; %bb.718:
	s_and_not1_saveexec_b32 s0, s0
	s_cbranch_execz .LBB86_724
; %bb.719:
	v_cmp_ngt_f32_e64 s1, |v94|, |v95|
	s_and_saveexec_b32 s12, s1
	s_delay_alu instid0(SALU_CYCLE_1)
	s_xor_b32 s1, exec_lo, s12
	s_cbranch_execz .LBB86_721
; %bb.720:
	v_div_scale_f32 v97, null, v95, v95, v94
	v_div_scale_f32 v105, vcc_lo, v94, v95, v94
	s_delay_alu instid0(VALU_DEP_2) | instskip(SKIP_1) | instid1(TRANS32_DEP_1)
	v_rcp_f32_e32 v103, v97
	v_nop
	v_fma_f32 v104, -v97, v103, 1.0
	s_delay_alu instid0(VALU_DEP_1) | instskip(NEXT) | instid1(VALU_DEP_1)
	v_fmac_f32_e32 v103, v104, v103
	v_mul_f32_e32 v104, v105, v103
	s_delay_alu instid0(VALU_DEP_1) | instskip(NEXT) | instid1(VALU_DEP_1)
	v_fma_f32 v106, -v97, v104, v105
	v_fmac_f32_e32 v104, v106, v103
	s_delay_alu instid0(VALU_DEP_1) | instskip(NEXT) | instid1(VALU_DEP_1)
	v_fma_f32 v97, -v97, v104, v105
	v_div_fmas_f32 v97, v97, v103, v104
	s_delay_alu instid0(VALU_DEP_1) | instskip(NEXT) | instid1(VALU_DEP_1)
	v_div_fixup_f32 v97, v97, v95, v94
	v_fmac_f32_e32 v95, v94, v97
	s_delay_alu instid0(VALU_DEP_1) | instskip(SKIP_1) | instid1(VALU_DEP_2)
	v_div_scale_f32 v94, null, v95, v95, 1.0
	v_div_scale_f32 v105, vcc_lo, 1.0, v95, 1.0
	v_rcp_f32_e32 v103, v94
	v_nop
	s_delay_alu instid0(TRANS32_DEP_1) | instskip(NEXT) | instid1(VALU_DEP_1)
	v_fma_f32 v104, -v94, v103, 1.0
	v_fmac_f32_e32 v103, v104, v103
	s_delay_alu instid0(VALU_DEP_1) | instskip(NEXT) | instid1(VALU_DEP_1)
	v_mul_f32_e32 v104, v105, v103
	v_fma_f32 v106, -v94, v104, v105
	s_delay_alu instid0(VALU_DEP_1) | instskip(NEXT) | instid1(VALU_DEP_1)
	v_fmac_f32_e32 v104, v106, v103
	v_fma_f32 v94, -v94, v104, v105
	s_delay_alu instid0(VALU_DEP_1) | instskip(NEXT) | instid1(VALU_DEP_1)
	v_div_fmas_f32 v94, v94, v103, v104
	v_div_fixup_f32 v95, v94, v95, 1.0
	s_delay_alu instid0(VALU_DEP_1)
	v_mul_f32_e32 v94, v97, v95
	v_xor_b32_e32 v95, 0x80000000, v95
.LBB86_721:
	s_and_not1_saveexec_b32 s1, s1
	s_cbranch_execz .LBB86_723
; %bb.722:
	s_delay_alu instid0(VALU_DEP_1) | instskip(SKIP_1) | instid1(VALU_DEP_2)
	v_div_scale_f32 v97, null, v94, v94, v95
	v_div_scale_f32 v105, vcc_lo, v95, v94, v95
	v_rcp_f32_e32 v103, v97
	v_nop
	s_delay_alu instid0(TRANS32_DEP_1) | instskip(NEXT) | instid1(VALU_DEP_1)
	v_fma_f32 v104, -v97, v103, 1.0
	v_fmac_f32_e32 v103, v104, v103
	s_delay_alu instid0(VALU_DEP_1) | instskip(NEXT) | instid1(VALU_DEP_1)
	v_mul_f32_e32 v104, v105, v103
	v_fma_f32 v106, -v97, v104, v105
	s_delay_alu instid0(VALU_DEP_1) | instskip(NEXT) | instid1(VALU_DEP_1)
	v_fmac_f32_e32 v104, v106, v103
	v_fma_f32 v97, -v97, v104, v105
	s_delay_alu instid0(VALU_DEP_1) | instskip(NEXT) | instid1(VALU_DEP_1)
	v_div_fmas_f32 v97, v97, v103, v104
	v_div_fixup_f32 v97, v97, v94, v95
	s_delay_alu instid0(VALU_DEP_1) | instskip(NEXT) | instid1(VALU_DEP_1)
	v_fmac_f32_e32 v94, v95, v97
	v_div_scale_f32 v95, null, v94, v94, 1.0
	s_delay_alu instid0(VALU_DEP_1) | instskip(SKIP_1) | instid1(TRANS32_DEP_1)
	v_rcp_f32_e32 v103, v95
	v_nop
	v_fma_f32 v104, -v95, v103, 1.0
	s_delay_alu instid0(VALU_DEP_1) | instskip(SKIP_1) | instid1(VALU_DEP_1)
	v_fmac_f32_e32 v103, v104, v103
	v_div_scale_f32 v104, vcc_lo, 1.0, v94, 1.0
	v_mul_f32_e32 v105, v104, v103
	s_delay_alu instid0(VALU_DEP_1) | instskip(NEXT) | instid1(VALU_DEP_1)
	v_fma_f32 v106, -v95, v105, v104
	v_fmac_f32_e32 v105, v106, v103
	s_delay_alu instid0(VALU_DEP_1) | instskip(NEXT) | instid1(VALU_DEP_1)
	v_fma_f32 v95, -v95, v105, v104
	v_div_fmas_f32 v95, v95, v103, v105
	s_delay_alu instid0(VALU_DEP_1) | instskip(NEXT) | instid1(VALU_DEP_1)
	v_div_fixup_f32 v94, v95, v94, 1.0
	v_mul_f32_e64 v95, v97, -v94
.LBB86_723:
	s_or_b32 exec_lo, exec_lo, s1
.LBB86_724:
	s_delay_alu instid0(SALU_CYCLE_1) | instskip(NEXT) | instid1(SALU_CYCLE_1)
	s_or_b32 exec_lo, exec_lo, s0
	s_mov_b32 s0, exec_lo
	v_cmpx_ne_u32_e64 v102, v96
	s_xor_b32 s0, exec_lo, s0
	s_cbranch_execz .LBB86_730
; %bb.725:
	s_mov_b32 s1, exec_lo
	v_cmpx_eq_u32_e32 34, v102
	s_cbranch_execz .LBB86_729
; %bb.726:
	v_cmp_ne_u32_e32 vcc_lo, 34, v96
	s_xor_b32 s12, s16, -1
	s_delay_alu instid0(SALU_CYCLE_1) | instskip(NEXT) | instid1(SALU_CYCLE_1)
	s_and_b32 s13, s12, vcc_lo
	s_and_saveexec_b32 s12, s13
	s_cbranch_execz .LBB86_728
; %bb.727:
	v_ashrrev_i32_e32 v97, 31, v96
	s_delay_alu instid0(VALU_DEP_1)
	v_lshl_add_u64 v[102:103], v[96:97], 2, v[4:5]
	s_clause 0x1
	global_load_b32 v97, v[102:103], off
	global_load_b32 v101, v[4:5], off offset:136
	s_wait_loadcnt 0x1
	global_store_b32 v[4:5], v97, off offset:136
	s_wait_loadcnt 0x0
	global_store_b32 v[102:103], v101, off
.LBB86_728:
	s_wait_xcnt 0x0
	s_or_b32 exec_lo, exec_lo, s12
	v_dual_mov_b32 v102, v96 :: v_dual_mov_b32 v101, v96
.LBB86_729:
	s_or_b32 exec_lo, exec_lo, s1
.LBB86_730:
	s_and_not1_saveexec_b32 s0, s0
	s_cbranch_execz .LBB86_732
; %bb.731:
	v_mov_b32_e32 v102, 34
	ds_store_2addr_b64 v98, v[6:7], v[34:35] offset0:35 offset1:36
	ds_store_2addr_b64 v98, v[30:31], v[32:33] offset0:37 offset1:38
	;; [unrolled: 1-line block ×4, first 2 shown]
	ds_store_b64 v98, v[92:93] offset:344
.LBB86_732:
	s_or_b32 exec_lo, exec_lo, s0
	s_delay_alu instid0(SALU_CYCLE_1)
	s_mov_b32 s0, exec_lo
	s_wait_storecnt_dscnt 0x0
	s_barrier_signal -1
	s_barrier_wait -1
	v_cmpx_lt_i32_e32 34, v102
	s_cbranch_execz .LBB86_734
; %bb.733:
	v_pk_mul_f32 v[96:97], v[94:95], v[38:39] op_sel:[1,1] op_sel_hi:[0,1]
	s_delay_alu instid0(VALU_DEP_1)
	v_pk_fma_f32 v[104:105], v[94:95], v[38:39], v[96:97] op_sel_hi:[1,0,1] neg_lo:[0,0,1] neg_hi:[0,0,1]
	v_pk_fma_f32 v[106:107], v[94:95], v[38:39], v[96:97] op_sel_hi:[1,0,1]
	ds_load_2addr_b64 v[94:97], v98 offset0:35 offset1:36
	v_dual_mov_b32 v38, v104 :: v_dual_mov_b32 v39, v107
	s_wait_dscnt 0x0
	v_pk_mul_f32 v[108:109], v[94:95], v[106:107] op_sel:[0,1]
	s_delay_alu instid0(VALU_DEP_1) | instskip(SKIP_1) | instid1(VALU_DEP_1)
	v_pk_fma_f32 v[110:111], v[94:95], v[104:105], v[108:109] op_sel:[0,0,1] op_sel_hi:[1,1,0] neg_lo:[0,0,1] neg_hi:[0,0,1]
	v_pk_fma_f32 v[94:95], v[94:95], v[104:105], v[108:109] op_sel:[0,0,1] op_sel_hi:[1,0,0]
	v_mov_b32_e32 v111, v95
	v_pk_mul_f32 v[94:95], v[96:97], v[106:107] op_sel:[0,1]
	s_delay_alu instid0(VALU_DEP_1) | instskip(SKIP_1) | instid1(VALU_DEP_1)
	v_pk_fma_f32 v[108:109], v[96:97], v[104:105], v[94:95] op_sel:[0,0,1] op_sel_hi:[1,1,0] neg_lo:[0,0,1] neg_hi:[0,0,1]
	v_pk_fma_f32 v[94:95], v[96:97], v[104:105], v[94:95] op_sel:[0,0,1] op_sel_hi:[1,0,0]
	v_mov_b32_e32 v109, v95
	ds_load_2addr_b64 v[94:97], v98 offset0:37 offset1:38
	v_pk_add_f32 v[6:7], v[6:7], v[110:111] neg_lo:[0,1] neg_hi:[0,1]
	v_pk_add_f32 v[34:35], v[34:35], v[108:109] neg_lo:[0,1] neg_hi:[0,1]
	s_wait_dscnt 0x0
	v_pk_mul_f32 v[108:109], v[94:95], v[106:107] op_sel:[0,1]
	s_delay_alu instid0(VALU_DEP_1) | instskip(SKIP_2) | instid1(VALU_DEP_2)
	v_pk_fma_f32 v[110:111], v[94:95], v[104:105], v[108:109] op_sel:[0,0,1] op_sel_hi:[1,1,0] neg_lo:[0,0,1] neg_hi:[0,0,1]
	v_pk_fma_f32 v[94:95], v[94:95], v[104:105], v[108:109] op_sel:[0,0,1] op_sel_hi:[1,0,0]
	v_dual_mul_f32 v108, v97, v107 :: v_dual_mov_b32 v94, v97
	v_dual_mov_b32 v111, v95 :: v_dual_mov_b32 v95, v96
	s_delay_alu instid0(VALU_DEP_2) | instskip(SKIP_1) | instid1(VALU_DEP_3)
	v_pk_fma_f32 v[108:109], v[96:97], v[38:39], v[108:109] op_sel_hi:[1,1,0] neg_lo:[0,0,1] neg_hi:[0,0,1]
	v_mul_f32_e32 v96, v97, v104
	v_pk_add_f32 v[30:31], v[30:31], v[110:111] neg_lo:[0,1] neg_hi:[0,1]
	s_delay_alu instid0(VALU_DEP_2) | instskip(NEXT) | instid1(VALU_DEP_1)
	v_pk_fma_f32 v[94:95], v[94:95], v[38:39], v[96:97] op_sel_hi:[1,1,0]
	v_mov_b32_e32 v109, v95
	ds_load_2addr_b64 v[94:97], v98 offset0:39 offset1:40
	v_pk_add_f32 v[32:33], v[32:33], v[108:109] neg_lo:[0,1] neg_hi:[0,1]
	s_wait_dscnt 0x0
	v_pk_mul_f32 v[108:109], v[94:95], v[106:107] op_sel:[0,1]
	s_delay_alu instid0(VALU_DEP_1) | instskip(SKIP_1) | instid1(VALU_DEP_1)
	v_pk_fma_f32 v[110:111], v[94:95], v[104:105], v[108:109] op_sel:[0,0,1] op_sel_hi:[1,1,0] neg_lo:[0,0,1] neg_hi:[0,0,1]
	v_pk_fma_f32 v[94:95], v[94:95], v[104:105], v[108:109] op_sel:[0,0,1] op_sel_hi:[1,0,0]
	v_mov_b32_e32 v111, v95
	v_pk_mul_f32 v[94:95], v[96:97], v[106:107] op_sel:[0,1]
	s_delay_alu instid0(VALU_DEP_1) | instskip(SKIP_1) | instid1(VALU_DEP_1)
	v_pk_fma_f32 v[108:109], v[96:97], v[104:105], v[94:95] op_sel:[0,0,1] op_sel_hi:[1,1,0] neg_lo:[0,0,1] neg_hi:[0,0,1]
	v_pk_fma_f32 v[94:95], v[96:97], v[104:105], v[94:95] op_sel:[0,0,1] op_sel_hi:[1,0,0]
	v_mov_b32_e32 v109, v95
	ds_load_2addr_b64 v[94:97], v98 offset0:41 offset1:42
	v_pk_add_f32 v[8:9], v[8:9], v[110:111] neg_lo:[0,1] neg_hi:[0,1]
	v_pk_add_f32 v[28:29], v[28:29], v[108:109] neg_lo:[0,1] neg_hi:[0,1]
	s_wait_dscnt 0x0
	v_pk_mul_f32 v[108:109], v[94:95], v[106:107] op_sel:[0,1]
	s_delay_alu instid0(VALU_DEP_1) | instskip(SKIP_1) | instid1(VALU_DEP_1)
	v_pk_fma_f32 v[110:111], v[94:95], v[104:105], v[108:109] op_sel:[0,0,1] op_sel_hi:[1,1,0] neg_lo:[0,0,1] neg_hi:[0,0,1]
	v_pk_fma_f32 v[94:95], v[94:95], v[104:105], v[108:109] op_sel:[0,0,1] op_sel_hi:[1,0,0]
	v_mov_b32_e32 v111, v95
	v_pk_mul_f32 v[94:95], v[96:97], v[106:107] op_sel:[0,1]
	s_delay_alu instid0(VALU_DEP_1) | instskip(SKIP_1) | instid1(VALU_DEP_1)
	v_pk_fma_f32 v[108:109], v[96:97], v[104:105], v[94:95] op_sel:[0,0,1] op_sel_hi:[1,1,0] neg_lo:[0,0,1] neg_hi:[0,0,1]
	v_pk_fma_f32 v[94:95], v[96:97], v[104:105], v[94:95] op_sel:[0,0,1] op_sel_hi:[1,0,0]
	v_mov_b32_e32 v109, v95
	ds_load_b64 v[94:95], v98 offset:344
	v_pk_add_f32 v[20:21], v[20:21], v[110:111] neg_lo:[0,1] neg_hi:[0,1]
	v_pk_add_f32 v[16:17], v[16:17], v[108:109] neg_lo:[0,1] neg_hi:[0,1]
	s_wait_dscnt 0x0
	v_pk_mul_f32 v[96:97], v[94:95], v[106:107] op_sel:[0,1]
	s_delay_alu instid0(VALU_DEP_1) | instskip(SKIP_1) | instid1(VALU_DEP_1)
	v_pk_fma_f32 v[106:107], v[94:95], v[104:105], v[96:97] op_sel:[0,0,1] op_sel_hi:[1,1,0] neg_lo:[0,0,1] neg_hi:[0,0,1]
	v_pk_fma_f32 v[94:95], v[94:95], v[104:105], v[96:97] op_sel:[0,0,1] op_sel_hi:[1,0,0]
	v_mov_b32_e32 v107, v95
	s_delay_alu instid0(VALU_DEP_1)
	v_pk_add_f32 v[92:93], v[92:93], v[106:107] neg_lo:[0,1] neg_hi:[0,1]
.LBB86_734:
	s_or_b32 exec_lo, exec_lo, s0
	v_lshl_add_u32 v94, v102, 3, v98
	s_barrier_signal -1
	s_barrier_wait -1
	ds_store_b64 v94, v[6:7]
	s_wait_dscnt 0x0
	s_barrier_signal -1
	s_barrier_wait -1
	ds_load_b64 v[94:95], v98 offset:280
	v_mov_b32_e32 v96, 35
	s_cmp_lt_i32 s18, 37
	s_cbranch_scc1 .LBB86_737
; %bb.735:
	v_add3_u32 v97, v99, 0, 0x120
	v_mov_b32_e32 v96, 35
	s_mov_b32 s0, 36
.LBB86_736:                             ; =>This Inner Loop Header: Depth=1
	ds_load_b64 v[104:105], v97
	s_wait_dscnt 0x1
	v_cmp_gt_f32_e32 vcc_lo, 0, v94
	v_cndmask_b32_e64 v106, v94, -v94, vcc_lo
	v_cmp_gt_f32_e32 vcc_lo, 0, v95
	v_cndmask_b32_e64 v108, v95, -v95, vcc_lo
	s_wait_dscnt 0x0
	v_cmp_gt_f32_e32 vcc_lo, 0, v104
	v_cndmask_b32_e64 v107, v104, -v104, vcc_lo
	v_cmp_gt_f32_e32 vcc_lo, 0, v105
	v_cndmask_b32_e64 v109, v105, -v105, vcc_lo
	s_delay_alu instid0(VALU_DEP_1) | instskip(NEXT) | instid1(VALU_DEP_1)
	v_pk_add_f32 v[106:107], v[106:107], v[108:109]
	v_cmp_lt_f32_e32 vcc_lo, v106, v107
	v_dual_cndmask_b32 v94, v94, v104 :: v_dual_add_nc_u32 v97, 8, v97
	v_cndmask_b32_e32 v95, v95, v105, vcc_lo
	v_cndmask_b32_e64 v96, v96, s0, vcc_lo
	s_add_co_i32 s0, s0, 1
	s_delay_alu instid0(SALU_CYCLE_1)
	s_cmp_lg_u32 s18, s0
	s_cbranch_scc1 .LBB86_736
.LBB86_737:
	s_wait_dscnt 0x0
	v_cmp_eq_f32_e32 vcc_lo, 0, v94
	v_cmp_eq_f32_e64 s0, 0, v95
	s_and_b32 s0, vcc_lo, s0
	s_delay_alu instid0(SALU_CYCLE_1) | instskip(NEXT) | instid1(SALU_CYCLE_1)
	s_and_saveexec_b32 s1, s0
	s_xor_b32 s0, exec_lo, s1
; %bb.738:
	v_cmp_ne_u32_e32 vcc_lo, 0, v100
	v_cndmask_b32_e32 v100, 36, v100, vcc_lo
; %bb.739:
	s_and_not1_saveexec_b32 s0, s0
	s_cbranch_execz .LBB86_745
; %bb.740:
	v_cmp_ngt_f32_e64 s1, |v94|, |v95|
	s_and_saveexec_b32 s12, s1
	s_delay_alu instid0(SALU_CYCLE_1)
	s_xor_b32 s1, exec_lo, s12
	s_cbranch_execz .LBB86_742
; %bb.741:
	v_div_scale_f32 v97, null, v95, v95, v94
	v_div_scale_f32 v105, vcc_lo, v94, v95, v94
	s_delay_alu instid0(VALU_DEP_2) | instskip(SKIP_1) | instid1(TRANS32_DEP_1)
	v_rcp_f32_e32 v103, v97
	v_nop
	v_fma_f32 v104, -v97, v103, 1.0
	s_delay_alu instid0(VALU_DEP_1) | instskip(NEXT) | instid1(VALU_DEP_1)
	v_fmac_f32_e32 v103, v104, v103
	v_mul_f32_e32 v104, v105, v103
	s_delay_alu instid0(VALU_DEP_1) | instskip(NEXT) | instid1(VALU_DEP_1)
	v_fma_f32 v106, -v97, v104, v105
	v_fmac_f32_e32 v104, v106, v103
	s_delay_alu instid0(VALU_DEP_1) | instskip(NEXT) | instid1(VALU_DEP_1)
	v_fma_f32 v97, -v97, v104, v105
	v_div_fmas_f32 v97, v97, v103, v104
	s_delay_alu instid0(VALU_DEP_1) | instskip(NEXT) | instid1(VALU_DEP_1)
	v_div_fixup_f32 v97, v97, v95, v94
	v_fmac_f32_e32 v95, v94, v97
	s_delay_alu instid0(VALU_DEP_1) | instskip(SKIP_1) | instid1(VALU_DEP_2)
	v_div_scale_f32 v94, null, v95, v95, 1.0
	v_div_scale_f32 v105, vcc_lo, 1.0, v95, 1.0
	v_rcp_f32_e32 v103, v94
	v_nop
	s_delay_alu instid0(TRANS32_DEP_1) | instskip(NEXT) | instid1(VALU_DEP_1)
	v_fma_f32 v104, -v94, v103, 1.0
	v_fmac_f32_e32 v103, v104, v103
	s_delay_alu instid0(VALU_DEP_1) | instskip(NEXT) | instid1(VALU_DEP_1)
	v_mul_f32_e32 v104, v105, v103
	v_fma_f32 v106, -v94, v104, v105
	s_delay_alu instid0(VALU_DEP_1) | instskip(NEXT) | instid1(VALU_DEP_1)
	v_fmac_f32_e32 v104, v106, v103
	v_fma_f32 v94, -v94, v104, v105
	s_delay_alu instid0(VALU_DEP_1) | instskip(NEXT) | instid1(VALU_DEP_1)
	v_div_fmas_f32 v94, v94, v103, v104
	v_div_fixup_f32 v95, v94, v95, 1.0
	s_delay_alu instid0(VALU_DEP_1)
	v_mul_f32_e32 v94, v97, v95
	v_xor_b32_e32 v95, 0x80000000, v95
.LBB86_742:
	s_and_not1_saveexec_b32 s1, s1
	s_cbranch_execz .LBB86_744
; %bb.743:
	s_delay_alu instid0(VALU_DEP_1) | instskip(SKIP_1) | instid1(VALU_DEP_2)
	v_div_scale_f32 v97, null, v94, v94, v95
	v_div_scale_f32 v105, vcc_lo, v95, v94, v95
	v_rcp_f32_e32 v103, v97
	v_nop
	s_delay_alu instid0(TRANS32_DEP_1) | instskip(NEXT) | instid1(VALU_DEP_1)
	v_fma_f32 v104, -v97, v103, 1.0
	v_fmac_f32_e32 v103, v104, v103
	s_delay_alu instid0(VALU_DEP_1) | instskip(NEXT) | instid1(VALU_DEP_1)
	v_mul_f32_e32 v104, v105, v103
	v_fma_f32 v106, -v97, v104, v105
	s_delay_alu instid0(VALU_DEP_1) | instskip(NEXT) | instid1(VALU_DEP_1)
	v_fmac_f32_e32 v104, v106, v103
	v_fma_f32 v97, -v97, v104, v105
	s_delay_alu instid0(VALU_DEP_1) | instskip(NEXT) | instid1(VALU_DEP_1)
	v_div_fmas_f32 v97, v97, v103, v104
	v_div_fixup_f32 v97, v97, v94, v95
	s_delay_alu instid0(VALU_DEP_1) | instskip(NEXT) | instid1(VALU_DEP_1)
	v_fmac_f32_e32 v94, v95, v97
	v_div_scale_f32 v95, null, v94, v94, 1.0
	s_delay_alu instid0(VALU_DEP_1) | instskip(SKIP_1) | instid1(TRANS32_DEP_1)
	v_rcp_f32_e32 v103, v95
	v_nop
	v_fma_f32 v104, -v95, v103, 1.0
	s_delay_alu instid0(VALU_DEP_1) | instskip(SKIP_1) | instid1(VALU_DEP_1)
	v_fmac_f32_e32 v103, v104, v103
	v_div_scale_f32 v104, vcc_lo, 1.0, v94, 1.0
	v_mul_f32_e32 v105, v104, v103
	s_delay_alu instid0(VALU_DEP_1) | instskip(NEXT) | instid1(VALU_DEP_1)
	v_fma_f32 v106, -v95, v105, v104
	v_fmac_f32_e32 v105, v106, v103
	s_delay_alu instid0(VALU_DEP_1) | instskip(NEXT) | instid1(VALU_DEP_1)
	v_fma_f32 v95, -v95, v105, v104
	v_div_fmas_f32 v95, v95, v103, v105
	s_delay_alu instid0(VALU_DEP_1) | instskip(NEXT) | instid1(VALU_DEP_1)
	v_div_fixup_f32 v94, v95, v94, 1.0
	v_mul_f32_e64 v95, v97, -v94
.LBB86_744:
	s_or_b32 exec_lo, exec_lo, s1
.LBB86_745:
	s_delay_alu instid0(SALU_CYCLE_1) | instskip(NEXT) | instid1(SALU_CYCLE_1)
	s_or_b32 exec_lo, exec_lo, s0
	s_mov_b32 s0, exec_lo
	v_cmpx_ne_u32_e64 v102, v96
	s_xor_b32 s0, exec_lo, s0
	s_cbranch_execz .LBB86_751
; %bb.746:
	s_mov_b32 s1, exec_lo
	v_cmpx_eq_u32_e32 35, v102
	s_cbranch_execz .LBB86_750
; %bb.747:
	v_cmp_ne_u32_e32 vcc_lo, 35, v96
	s_xor_b32 s12, s16, -1
	s_delay_alu instid0(SALU_CYCLE_1) | instskip(NEXT) | instid1(SALU_CYCLE_1)
	s_and_b32 s13, s12, vcc_lo
	s_and_saveexec_b32 s12, s13
	s_cbranch_execz .LBB86_749
; %bb.748:
	v_ashrrev_i32_e32 v97, 31, v96
	s_delay_alu instid0(VALU_DEP_1)
	v_lshl_add_u64 v[102:103], v[96:97], 2, v[4:5]
	s_clause 0x1
	global_load_b32 v97, v[102:103], off
	global_load_b32 v101, v[4:5], off offset:140
	s_wait_loadcnt 0x1
	global_store_b32 v[4:5], v97, off offset:140
	s_wait_loadcnt 0x0
	global_store_b32 v[102:103], v101, off
.LBB86_749:
	s_wait_xcnt 0x0
	s_or_b32 exec_lo, exec_lo, s12
	v_dual_mov_b32 v102, v96 :: v_dual_mov_b32 v101, v96
.LBB86_750:
	s_or_b32 exec_lo, exec_lo, s1
.LBB86_751:
	s_and_not1_saveexec_b32 s0, s0
	s_cbranch_execz .LBB86_753
; %bb.752:
	v_dual_mov_b32 v96, v34 :: v_dual_mov_b32 v97, v35
	v_dual_mov_b32 v104, v30 :: v_dual_mov_b32 v105, v31
	;; [unrolled: 1-line block ×7, first 2 shown]
	v_mov_b32_e32 v115, v17
	ds_store_2addr_b64 v98, v[96:97], v[104:105] offset0:36 offset1:37
	ds_store_2addr_b64 v98, v[106:107], v[108:109] offset0:38 offset1:39
	;; [unrolled: 1-line block ×4, first 2 shown]
.LBB86_753:
	s_or_b32 exec_lo, exec_lo, s0
	s_delay_alu instid0(SALU_CYCLE_1)
	s_mov_b32 s0, exec_lo
	s_wait_storecnt_dscnt 0x0
	s_barrier_signal -1
	s_barrier_wait -1
	v_cmpx_lt_i32_e32 35, v102
	s_cbranch_execz .LBB86_755
; %bb.754:
	v_pk_mul_f32 v[96:97], v[94:95], v[6:7] op_sel:[1,1] op_sel_hi:[0,1]
	s_delay_alu instid0(VALU_DEP_1)
	v_pk_fma_f32 v[104:105], v[94:95], v[6:7], v[96:97] op_sel_hi:[1,0,1] neg_lo:[0,0,1] neg_hi:[0,0,1]
	v_pk_fma_f32 v[106:107], v[94:95], v[6:7], v[96:97] op_sel_hi:[1,0,1]
	ds_load_2addr_b64 v[94:97], v98 offset0:36 offset1:37
	v_dual_mov_b32 v6, v104 :: v_dual_mov_b32 v7, v107
	s_wait_dscnt 0x0
	v_pk_mul_f32 v[108:109], v[94:95], v[106:107] op_sel:[0,1]
	s_delay_alu instid0(VALU_DEP_1) | instskip(SKIP_1) | instid1(VALU_DEP_1)
	v_pk_fma_f32 v[110:111], v[94:95], v[104:105], v[108:109] op_sel:[0,0,1] op_sel_hi:[1,1,0] neg_lo:[0,0,1] neg_hi:[0,0,1]
	v_pk_fma_f32 v[94:95], v[94:95], v[104:105], v[108:109] op_sel:[0,0,1] op_sel_hi:[1,0,0]
	v_mov_b32_e32 v111, v95
	v_pk_mul_f32 v[94:95], v[96:97], v[106:107] op_sel:[0,1]
	s_delay_alu instid0(VALU_DEP_1) | instskip(SKIP_1) | instid1(VALU_DEP_1)
	v_pk_fma_f32 v[108:109], v[96:97], v[104:105], v[94:95] op_sel:[0,0,1] op_sel_hi:[1,1,0] neg_lo:[0,0,1] neg_hi:[0,0,1]
	v_pk_fma_f32 v[94:95], v[96:97], v[104:105], v[94:95] op_sel:[0,0,1] op_sel_hi:[1,0,0]
	v_mov_b32_e32 v109, v95
	ds_load_2addr_b64 v[94:97], v98 offset0:38 offset1:39
	v_pk_add_f32 v[34:35], v[34:35], v[110:111] neg_lo:[0,1] neg_hi:[0,1]
	v_pk_add_f32 v[30:31], v[30:31], v[108:109] neg_lo:[0,1] neg_hi:[0,1]
	s_wait_dscnt 0x0
	v_pk_mul_f32 v[108:109], v[94:95], v[106:107] op_sel:[0,1]
	s_delay_alu instid0(VALU_DEP_1) | instskip(SKIP_2) | instid1(VALU_DEP_2)
	v_pk_fma_f32 v[110:111], v[94:95], v[104:105], v[108:109] op_sel:[0,0,1] op_sel_hi:[1,1,0] neg_lo:[0,0,1] neg_hi:[0,0,1]
	v_pk_fma_f32 v[94:95], v[94:95], v[104:105], v[108:109] op_sel:[0,0,1] op_sel_hi:[1,0,0]
	v_dual_mul_f32 v108, v97, v107 :: v_dual_mov_b32 v94, v97
	v_dual_mov_b32 v111, v95 :: v_dual_mov_b32 v95, v96
	s_delay_alu instid0(VALU_DEP_2) | instskip(SKIP_1) | instid1(VALU_DEP_3)
	v_pk_fma_f32 v[108:109], v[96:97], v[6:7], v[108:109] op_sel_hi:[1,1,0] neg_lo:[0,0,1] neg_hi:[0,0,1]
	v_mul_f32_e32 v96, v97, v104
	v_pk_add_f32 v[32:33], v[32:33], v[110:111] neg_lo:[0,1] neg_hi:[0,1]
	s_delay_alu instid0(VALU_DEP_2) | instskip(NEXT) | instid1(VALU_DEP_1)
	v_pk_fma_f32 v[94:95], v[94:95], v[6:7], v[96:97] op_sel_hi:[1,1,0]
	v_mov_b32_e32 v109, v95
	ds_load_2addr_b64 v[94:97], v98 offset0:40 offset1:41
	v_pk_add_f32 v[8:9], v[8:9], v[108:109] neg_lo:[0,1] neg_hi:[0,1]
	s_wait_dscnt 0x0
	v_pk_mul_f32 v[108:109], v[94:95], v[106:107] op_sel:[0,1]
	s_delay_alu instid0(VALU_DEP_1) | instskip(SKIP_1) | instid1(VALU_DEP_1)
	v_pk_fma_f32 v[110:111], v[94:95], v[104:105], v[108:109] op_sel:[0,0,1] op_sel_hi:[1,1,0] neg_lo:[0,0,1] neg_hi:[0,0,1]
	v_pk_fma_f32 v[94:95], v[94:95], v[104:105], v[108:109] op_sel:[0,0,1] op_sel_hi:[1,0,0]
	v_mov_b32_e32 v111, v95
	v_pk_mul_f32 v[94:95], v[96:97], v[106:107] op_sel:[0,1]
	s_delay_alu instid0(VALU_DEP_1) | instskip(SKIP_1) | instid1(VALU_DEP_1)
	v_pk_fma_f32 v[108:109], v[96:97], v[104:105], v[94:95] op_sel:[0,0,1] op_sel_hi:[1,1,0] neg_lo:[0,0,1] neg_hi:[0,0,1]
	v_pk_fma_f32 v[94:95], v[96:97], v[104:105], v[94:95] op_sel:[0,0,1] op_sel_hi:[1,0,0]
	v_mov_b32_e32 v109, v95
	ds_load_2addr_b64 v[94:97], v98 offset0:42 offset1:43
	v_pk_add_f32 v[28:29], v[28:29], v[110:111] neg_lo:[0,1] neg_hi:[0,1]
	v_pk_add_f32 v[20:21], v[20:21], v[108:109] neg_lo:[0,1] neg_hi:[0,1]
	s_wait_dscnt 0x0
	v_pk_mul_f32 v[108:109], v[94:95], v[106:107] op_sel:[0,1]
	s_delay_alu instid0(VALU_DEP_1) | instskip(SKIP_1) | instid1(VALU_DEP_1)
	v_pk_fma_f32 v[110:111], v[94:95], v[104:105], v[108:109] op_sel:[0,0,1] op_sel_hi:[1,1,0] neg_lo:[0,0,1] neg_hi:[0,0,1]
	v_pk_fma_f32 v[94:95], v[94:95], v[104:105], v[108:109] op_sel:[0,0,1] op_sel_hi:[1,0,0]
	v_mov_b32_e32 v111, v95
	v_pk_mul_f32 v[94:95], v[96:97], v[106:107] op_sel:[0,1]
	s_delay_alu instid0(VALU_DEP_1) | instskip(SKIP_1) | instid1(VALU_DEP_1)
	v_pk_fma_f32 v[106:107], v[96:97], v[104:105], v[94:95] op_sel:[0,0,1] op_sel_hi:[1,1,0] neg_lo:[0,0,1] neg_hi:[0,0,1]
	v_pk_fma_f32 v[94:95], v[96:97], v[104:105], v[94:95] op_sel:[0,0,1] op_sel_hi:[1,0,0]
	v_mov_b32_e32 v107, v95
	v_pk_add_f32 v[16:17], v[16:17], v[110:111] neg_lo:[0,1] neg_hi:[0,1]
	s_delay_alu instid0(VALU_DEP_2)
	v_pk_add_f32 v[92:93], v[92:93], v[106:107] neg_lo:[0,1] neg_hi:[0,1]
.LBB86_755:
	s_or_b32 exec_lo, exec_lo, s0
	v_lshl_add_u32 v94, v102, 3, v98
	s_barrier_signal -1
	s_barrier_wait -1
	ds_store_b64 v94, v[34:35]
	s_wait_dscnt 0x0
	s_barrier_signal -1
	s_barrier_wait -1
	ds_load_b64 v[94:95], v98 offset:288
	v_mov_b32_e32 v96, 36
	s_cmp_lt_i32 s18, 38
	s_cbranch_scc1 .LBB86_758
; %bb.756:
	v_add3_u32 v97, v99, 0, 0x128
	v_mov_b32_e32 v96, 36
	s_mov_b32 s0, 37
.LBB86_757:                             ; =>This Inner Loop Header: Depth=1
	ds_load_b64 v[104:105], v97
	s_wait_dscnt 0x1
	v_cmp_gt_f32_e32 vcc_lo, 0, v94
	v_cndmask_b32_e64 v106, v94, -v94, vcc_lo
	v_cmp_gt_f32_e32 vcc_lo, 0, v95
	v_cndmask_b32_e64 v108, v95, -v95, vcc_lo
	s_wait_dscnt 0x0
	v_cmp_gt_f32_e32 vcc_lo, 0, v104
	v_cndmask_b32_e64 v107, v104, -v104, vcc_lo
	v_cmp_gt_f32_e32 vcc_lo, 0, v105
	v_cndmask_b32_e64 v109, v105, -v105, vcc_lo
	s_delay_alu instid0(VALU_DEP_1) | instskip(NEXT) | instid1(VALU_DEP_1)
	v_pk_add_f32 v[106:107], v[106:107], v[108:109]
	v_cmp_lt_f32_e32 vcc_lo, v106, v107
	v_dual_cndmask_b32 v94, v94, v104 :: v_dual_add_nc_u32 v97, 8, v97
	v_cndmask_b32_e32 v95, v95, v105, vcc_lo
	v_cndmask_b32_e64 v96, v96, s0, vcc_lo
	s_add_co_i32 s0, s0, 1
	s_delay_alu instid0(SALU_CYCLE_1)
	s_cmp_lg_u32 s18, s0
	s_cbranch_scc1 .LBB86_757
.LBB86_758:
	s_wait_dscnt 0x0
	v_cmp_eq_f32_e32 vcc_lo, 0, v94
	v_cmp_eq_f32_e64 s0, 0, v95
	s_and_b32 s0, vcc_lo, s0
	s_delay_alu instid0(SALU_CYCLE_1) | instskip(NEXT) | instid1(SALU_CYCLE_1)
	s_and_saveexec_b32 s1, s0
	s_xor_b32 s0, exec_lo, s1
; %bb.759:
	v_cmp_ne_u32_e32 vcc_lo, 0, v100
	v_cndmask_b32_e32 v100, 37, v100, vcc_lo
; %bb.760:
	s_and_not1_saveexec_b32 s0, s0
	s_cbranch_execz .LBB86_766
; %bb.761:
	v_cmp_ngt_f32_e64 s1, |v94|, |v95|
	s_and_saveexec_b32 s12, s1
	s_delay_alu instid0(SALU_CYCLE_1)
	s_xor_b32 s1, exec_lo, s12
	s_cbranch_execz .LBB86_763
; %bb.762:
	v_div_scale_f32 v97, null, v95, v95, v94
	v_div_scale_f32 v105, vcc_lo, v94, v95, v94
	s_delay_alu instid0(VALU_DEP_2) | instskip(SKIP_1) | instid1(TRANS32_DEP_1)
	v_rcp_f32_e32 v103, v97
	v_nop
	v_fma_f32 v104, -v97, v103, 1.0
	s_delay_alu instid0(VALU_DEP_1) | instskip(NEXT) | instid1(VALU_DEP_1)
	v_fmac_f32_e32 v103, v104, v103
	v_mul_f32_e32 v104, v105, v103
	s_delay_alu instid0(VALU_DEP_1) | instskip(NEXT) | instid1(VALU_DEP_1)
	v_fma_f32 v106, -v97, v104, v105
	v_fmac_f32_e32 v104, v106, v103
	s_delay_alu instid0(VALU_DEP_1) | instskip(NEXT) | instid1(VALU_DEP_1)
	v_fma_f32 v97, -v97, v104, v105
	v_div_fmas_f32 v97, v97, v103, v104
	s_delay_alu instid0(VALU_DEP_1) | instskip(NEXT) | instid1(VALU_DEP_1)
	v_div_fixup_f32 v97, v97, v95, v94
	v_fmac_f32_e32 v95, v94, v97
	s_delay_alu instid0(VALU_DEP_1) | instskip(SKIP_1) | instid1(VALU_DEP_2)
	v_div_scale_f32 v94, null, v95, v95, 1.0
	v_div_scale_f32 v105, vcc_lo, 1.0, v95, 1.0
	v_rcp_f32_e32 v103, v94
	v_nop
	s_delay_alu instid0(TRANS32_DEP_1) | instskip(NEXT) | instid1(VALU_DEP_1)
	v_fma_f32 v104, -v94, v103, 1.0
	v_fmac_f32_e32 v103, v104, v103
	s_delay_alu instid0(VALU_DEP_1) | instskip(NEXT) | instid1(VALU_DEP_1)
	v_mul_f32_e32 v104, v105, v103
	v_fma_f32 v106, -v94, v104, v105
	s_delay_alu instid0(VALU_DEP_1) | instskip(NEXT) | instid1(VALU_DEP_1)
	v_fmac_f32_e32 v104, v106, v103
	v_fma_f32 v94, -v94, v104, v105
	s_delay_alu instid0(VALU_DEP_1) | instskip(NEXT) | instid1(VALU_DEP_1)
	v_div_fmas_f32 v94, v94, v103, v104
	v_div_fixup_f32 v95, v94, v95, 1.0
	s_delay_alu instid0(VALU_DEP_1)
	v_mul_f32_e32 v94, v97, v95
	v_xor_b32_e32 v95, 0x80000000, v95
.LBB86_763:
	s_and_not1_saveexec_b32 s1, s1
	s_cbranch_execz .LBB86_765
; %bb.764:
	s_delay_alu instid0(VALU_DEP_1) | instskip(SKIP_1) | instid1(VALU_DEP_2)
	v_div_scale_f32 v97, null, v94, v94, v95
	v_div_scale_f32 v105, vcc_lo, v95, v94, v95
	v_rcp_f32_e32 v103, v97
	v_nop
	s_delay_alu instid0(TRANS32_DEP_1) | instskip(NEXT) | instid1(VALU_DEP_1)
	v_fma_f32 v104, -v97, v103, 1.0
	v_fmac_f32_e32 v103, v104, v103
	s_delay_alu instid0(VALU_DEP_1) | instskip(NEXT) | instid1(VALU_DEP_1)
	v_mul_f32_e32 v104, v105, v103
	v_fma_f32 v106, -v97, v104, v105
	s_delay_alu instid0(VALU_DEP_1) | instskip(NEXT) | instid1(VALU_DEP_1)
	v_fmac_f32_e32 v104, v106, v103
	v_fma_f32 v97, -v97, v104, v105
	s_delay_alu instid0(VALU_DEP_1) | instskip(NEXT) | instid1(VALU_DEP_1)
	v_div_fmas_f32 v97, v97, v103, v104
	v_div_fixup_f32 v97, v97, v94, v95
	s_delay_alu instid0(VALU_DEP_1) | instskip(NEXT) | instid1(VALU_DEP_1)
	v_fmac_f32_e32 v94, v95, v97
	v_div_scale_f32 v95, null, v94, v94, 1.0
	s_delay_alu instid0(VALU_DEP_1) | instskip(SKIP_1) | instid1(TRANS32_DEP_1)
	v_rcp_f32_e32 v103, v95
	v_nop
	v_fma_f32 v104, -v95, v103, 1.0
	s_delay_alu instid0(VALU_DEP_1) | instskip(SKIP_1) | instid1(VALU_DEP_1)
	v_fmac_f32_e32 v103, v104, v103
	v_div_scale_f32 v104, vcc_lo, 1.0, v94, 1.0
	v_mul_f32_e32 v105, v104, v103
	s_delay_alu instid0(VALU_DEP_1) | instskip(NEXT) | instid1(VALU_DEP_1)
	v_fma_f32 v106, -v95, v105, v104
	v_fmac_f32_e32 v105, v106, v103
	s_delay_alu instid0(VALU_DEP_1) | instskip(NEXT) | instid1(VALU_DEP_1)
	v_fma_f32 v95, -v95, v105, v104
	v_div_fmas_f32 v95, v95, v103, v105
	s_delay_alu instid0(VALU_DEP_1) | instskip(NEXT) | instid1(VALU_DEP_1)
	v_div_fixup_f32 v94, v95, v94, 1.0
	v_mul_f32_e64 v95, v97, -v94
.LBB86_765:
	s_or_b32 exec_lo, exec_lo, s1
.LBB86_766:
	s_delay_alu instid0(SALU_CYCLE_1) | instskip(NEXT) | instid1(SALU_CYCLE_1)
	s_or_b32 exec_lo, exec_lo, s0
	s_mov_b32 s0, exec_lo
	v_cmpx_ne_u32_e64 v102, v96
	s_xor_b32 s0, exec_lo, s0
	s_cbranch_execz .LBB86_772
; %bb.767:
	s_mov_b32 s1, exec_lo
	v_cmpx_eq_u32_e32 36, v102
	s_cbranch_execz .LBB86_771
; %bb.768:
	v_cmp_ne_u32_e32 vcc_lo, 36, v96
	s_xor_b32 s12, s16, -1
	s_delay_alu instid0(SALU_CYCLE_1) | instskip(NEXT) | instid1(SALU_CYCLE_1)
	s_and_b32 s13, s12, vcc_lo
	s_and_saveexec_b32 s12, s13
	s_cbranch_execz .LBB86_770
; %bb.769:
	v_ashrrev_i32_e32 v97, 31, v96
	s_delay_alu instid0(VALU_DEP_1)
	v_lshl_add_u64 v[102:103], v[96:97], 2, v[4:5]
	s_clause 0x1
	global_load_b32 v97, v[102:103], off
	global_load_b32 v101, v[4:5], off offset:144
	s_wait_loadcnt 0x1
	global_store_b32 v[4:5], v97, off offset:144
	s_wait_loadcnt 0x0
	global_store_b32 v[102:103], v101, off
.LBB86_770:
	s_wait_xcnt 0x0
	s_or_b32 exec_lo, exec_lo, s12
	v_dual_mov_b32 v102, v96 :: v_dual_mov_b32 v101, v96
.LBB86_771:
	s_or_b32 exec_lo, exec_lo, s1
.LBB86_772:
	s_and_not1_saveexec_b32 s0, s0
	s_cbranch_execz .LBB86_774
; %bb.773:
	v_mov_b32_e32 v102, 36
	ds_store_2addr_b64 v98, v[30:31], v[32:33] offset0:37 offset1:38
	ds_store_2addr_b64 v98, v[8:9], v[28:29] offset0:39 offset1:40
	;; [unrolled: 1-line block ×3, first 2 shown]
	ds_store_b64 v98, v[92:93] offset:344
.LBB86_774:
	s_or_b32 exec_lo, exec_lo, s0
	s_delay_alu instid0(SALU_CYCLE_1)
	s_mov_b32 s0, exec_lo
	s_wait_storecnt_dscnt 0x0
	s_barrier_signal -1
	s_barrier_wait -1
	v_cmpx_lt_i32_e32 36, v102
	s_cbranch_execz .LBB86_776
; %bb.775:
	v_pk_mul_f32 v[96:97], v[94:95], v[34:35] op_sel:[1,1] op_sel_hi:[0,1]
	s_delay_alu instid0(VALU_DEP_1)
	v_pk_fma_f32 v[104:105], v[94:95], v[34:35], v[96:97] op_sel_hi:[1,0,1] neg_lo:[0,0,1] neg_hi:[0,0,1]
	v_pk_fma_f32 v[106:107], v[94:95], v[34:35], v[96:97] op_sel_hi:[1,0,1]
	ds_load_2addr_b64 v[94:97], v98 offset0:37 offset1:38
	v_dual_mov_b32 v34, v104 :: v_dual_mov_b32 v35, v107
	s_wait_dscnt 0x0
	v_pk_mul_f32 v[108:109], v[94:95], v[106:107] op_sel:[0,1]
	s_delay_alu instid0(VALU_DEP_1) | instskip(SKIP_1) | instid1(VALU_DEP_1)
	v_pk_fma_f32 v[110:111], v[94:95], v[104:105], v[108:109] op_sel:[0,0,1] op_sel_hi:[1,1,0] neg_lo:[0,0,1] neg_hi:[0,0,1]
	v_pk_fma_f32 v[94:95], v[94:95], v[104:105], v[108:109] op_sel:[0,0,1] op_sel_hi:[1,0,0]
	v_mov_b32_e32 v111, v95
	v_pk_mul_f32 v[94:95], v[96:97], v[106:107] op_sel:[0,1]
	s_delay_alu instid0(VALU_DEP_1) | instskip(SKIP_1) | instid1(VALU_DEP_1)
	v_pk_fma_f32 v[108:109], v[96:97], v[104:105], v[94:95] op_sel:[0,0,1] op_sel_hi:[1,1,0] neg_lo:[0,0,1] neg_hi:[0,0,1]
	v_pk_fma_f32 v[94:95], v[96:97], v[104:105], v[94:95] op_sel:[0,0,1] op_sel_hi:[1,0,0]
	v_mov_b32_e32 v109, v95
	ds_load_2addr_b64 v[94:97], v98 offset0:39 offset1:40
	v_pk_add_f32 v[30:31], v[30:31], v[110:111] neg_lo:[0,1] neg_hi:[0,1]
	v_pk_add_f32 v[32:33], v[32:33], v[108:109] neg_lo:[0,1] neg_hi:[0,1]
	s_wait_dscnt 0x0
	v_pk_mul_f32 v[108:109], v[94:95], v[106:107] op_sel:[0,1]
	s_delay_alu instid0(VALU_DEP_1) | instskip(SKIP_2) | instid1(VALU_DEP_2)
	v_pk_fma_f32 v[110:111], v[94:95], v[104:105], v[108:109] op_sel:[0,0,1] op_sel_hi:[1,1,0] neg_lo:[0,0,1] neg_hi:[0,0,1]
	v_pk_fma_f32 v[94:95], v[94:95], v[104:105], v[108:109] op_sel:[0,0,1] op_sel_hi:[1,0,0]
	v_dual_mul_f32 v108, v97, v107 :: v_dual_mov_b32 v94, v97
	v_dual_mov_b32 v111, v95 :: v_dual_mov_b32 v95, v96
	s_delay_alu instid0(VALU_DEP_2) | instskip(SKIP_1) | instid1(VALU_DEP_3)
	v_pk_fma_f32 v[108:109], v[96:97], v[34:35], v[108:109] op_sel_hi:[1,1,0] neg_lo:[0,0,1] neg_hi:[0,0,1]
	v_mul_f32_e32 v96, v97, v104
	v_pk_add_f32 v[8:9], v[8:9], v[110:111] neg_lo:[0,1] neg_hi:[0,1]
	s_delay_alu instid0(VALU_DEP_2) | instskip(NEXT) | instid1(VALU_DEP_1)
	v_pk_fma_f32 v[94:95], v[94:95], v[34:35], v[96:97] op_sel_hi:[1,1,0]
	v_mov_b32_e32 v109, v95
	ds_load_2addr_b64 v[94:97], v98 offset0:41 offset1:42
	v_pk_add_f32 v[28:29], v[28:29], v[108:109] neg_lo:[0,1] neg_hi:[0,1]
	s_wait_dscnt 0x0
	v_pk_mul_f32 v[108:109], v[94:95], v[106:107] op_sel:[0,1]
	s_delay_alu instid0(VALU_DEP_1) | instskip(SKIP_1) | instid1(VALU_DEP_1)
	v_pk_fma_f32 v[110:111], v[94:95], v[104:105], v[108:109] op_sel:[0,0,1] op_sel_hi:[1,1,0] neg_lo:[0,0,1] neg_hi:[0,0,1]
	v_pk_fma_f32 v[94:95], v[94:95], v[104:105], v[108:109] op_sel:[0,0,1] op_sel_hi:[1,0,0]
	v_mov_b32_e32 v111, v95
	v_pk_mul_f32 v[94:95], v[96:97], v[106:107] op_sel:[0,1]
	s_delay_alu instid0(VALU_DEP_1) | instskip(SKIP_1) | instid1(VALU_DEP_1)
	v_pk_fma_f32 v[108:109], v[96:97], v[104:105], v[94:95] op_sel:[0,0,1] op_sel_hi:[1,1,0] neg_lo:[0,0,1] neg_hi:[0,0,1]
	v_pk_fma_f32 v[94:95], v[96:97], v[104:105], v[94:95] op_sel:[0,0,1] op_sel_hi:[1,0,0]
	v_mov_b32_e32 v109, v95
	ds_load_b64 v[94:95], v98 offset:344
	v_pk_add_f32 v[20:21], v[20:21], v[110:111] neg_lo:[0,1] neg_hi:[0,1]
	v_pk_add_f32 v[16:17], v[16:17], v[108:109] neg_lo:[0,1] neg_hi:[0,1]
	s_wait_dscnt 0x0
	v_pk_mul_f32 v[96:97], v[94:95], v[106:107] op_sel:[0,1]
	s_delay_alu instid0(VALU_DEP_1) | instskip(SKIP_1) | instid1(VALU_DEP_1)
	v_pk_fma_f32 v[106:107], v[94:95], v[104:105], v[96:97] op_sel:[0,0,1] op_sel_hi:[1,1,0] neg_lo:[0,0,1] neg_hi:[0,0,1]
	v_pk_fma_f32 v[94:95], v[94:95], v[104:105], v[96:97] op_sel:[0,0,1] op_sel_hi:[1,0,0]
	v_mov_b32_e32 v107, v95
	s_delay_alu instid0(VALU_DEP_1)
	v_pk_add_f32 v[92:93], v[92:93], v[106:107] neg_lo:[0,1] neg_hi:[0,1]
.LBB86_776:
	s_or_b32 exec_lo, exec_lo, s0
	v_lshl_add_u32 v94, v102, 3, v98
	s_barrier_signal -1
	s_barrier_wait -1
	ds_store_b64 v94, v[30:31]
	s_wait_dscnt 0x0
	s_barrier_signal -1
	s_barrier_wait -1
	ds_load_b64 v[94:95], v98 offset:296
	v_mov_b32_e32 v96, 37
	s_cmp_lt_i32 s18, 39
	s_cbranch_scc1 .LBB86_779
; %bb.777:
	v_add3_u32 v97, v99, 0, 0x130
	v_mov_b32_e32 v96, 37
	s_mov_b32 s0, 38
.LBB86_778:                             ; =>This Inner Loop Header: Depth=1
	ds_load_b64 v[104:105], v97
	s_wait_dscnt 0x1
	v_cmp_gt_f32_e32 vcc_lo, 0, v94
	v_cndmask_b32_e64 v106, v94, -v94, vcc_lo
	v_cmp_gt_f32_e32 vcc_lo, 0, v95
	v_cndmask_b32_e64 v108, v95, -v95, vcc_lo
	s_wait_dscnt 0x0
	v_cmp_gt_f32_e32 vcc_lo, 0, v104
	v_cndmask_b32_e64 v107, v104, -v104, vcc_lo
	v_cmp_gt_f32_e32 vcc_lo, 0, v105
	v_cndmask_b32_e64 v109, v105, -v105, vcc_lo
	s_delay_alu instid0(VALU_DEP_1) | instskip(NEXT) | instid1(VALU_DEP_1)
	v_pk_add_f32 v[106:107], v[106:107], v[108:109]
	v_cmp_lt_f32_e32 vcc_lo, v106, v107
	v_dual_cndmask_b32 v94, v94, v104 :: v_dual_add_nc_u32 v97, 8, v97
	v_cndmask_b32_e32 v95, v95, v105, vcc_lo
	v_cndmask_b32_e64 v96, v96, s0, vcc_lo
	s_add_co_i32 s0, s0, 1
	s_delay_alu instid0(SALU_CYCLE_1)
	s_cmp_lg_u32 s18, s0
	s_cbranch_scc1 .LBB86_778
.LBB86_779:
	s_wait_dscnt 0x0
	v_cmp_eq_f32_e32 vcc_lo, 0, v94
	v_cmp_eq_f32_e64 s0, 0, v95
	s_and_b32 s0, vcc_lo, s0
	s_delay_alu instid0(SALU_CYCLE_1) | instskip(NEXT) | instid1(SALU_CYCLE_1)
	s_and_saveexec_b32 s1, s0
	s_xor_b32 s0, exec_lo, s1
; %bb.780:
	v_cmp_ne_u32_e32 vcc_lo, 0, v100
	v_cndmask_b32_e32 v100, 38, v100, vcc_lo
; %bb.781:
	s_and_not1_saveexec_b32 s0, s0
	s_cbranch_execz .LBB86_787
; %bb.782:
	v_cmp_ngt_f32_e64 s1, |v94|, |v95|
	s_and_saveexec_b32 s12, s1
	s_delay_alu instid0(SALU_CYCLE_1)
	s_xor_b32 s1, exec_lo, s12
	s_cbranch_execz .LBB86_784
; %bb.783:
	v_div_scale_f32 v97, null, v95, v95, v94
	v_div_scale_f32 v105, vcc_lo, v94, v95, v94
	s_delay_alu instid0(VALU_DEP_2) | instskip(SKIP_1) | instid1(TRANS32_DEP_1)
	v_rcp_f32_e32 v103, v97
	v_nop
	v_fma_f32 v104, -v97, v103, 1.0
	s_delay_alu instid0(VALU_DEP_1) | instskip(NEXT) | instid1(VALU_DEP_1)
	v_fmac_f32_e32 v103, v104, v103
	v_mul_f32_e32 v104, v105, v103
	s_delay_alu instid0(VALU_DEP_1) | instskip(NEXT) | instid1(VALU_DEP_1)
	v_fma_f32 v106, -v97, v104, v105
	v_fmac_f32_e32 v104, v106, v103
	s_delay_alu instid0(VALU_DEP_1) | instskip(NEXT) | instid1(VALU_DEP_1)
	v_fma_f32 v97, -v97, v104, v105
	v_div_fmas_f32 v97, v97, v103, v104
	s_delay_alu instid0(VALU_DEP_1) | instskip(NEXT) | instid1(VALU_DEP_1)
	v_div_fixup_f32 v97, v97, v95, v94
	v_fmac_f32_e32 v95, v94, v97
	s_delay_alu instid0(VALU_DEP_1) | instskip(SKIP_1) | instid1(VALU_DEP_2)
	v_div_scale_f32 v94, null, v95, v95, 1.0
	v_div_scale_f32 v105, vcc_lo, 1.0, v95, 1.0
	v_rcp_f32_e32 v103, v94
	v_nop
	s_delay_alu instid0(TRANS32_DEP_1) | instskip(NEXT) | instid1(VALU_DEP_1)
	v_fma_f32 v104, -v94, v103, 1.0
	v_fmac_f32_e32 v103, v104, v103
	s_delay_alu instid0(VALU_DEP_1) | instskip(NEXT) | instid1(VALU_DEP_1)
	v_mul_f32_e32 v104, v105, v103
	v_fma_f32 v106, -v94, v104, v105
	s_delay_alu instid0(VALU_DEP_1) | instskip(NEXT) | instid1(VALU_DEP_1)
	v_fmac_f32_e32 v104, v106, v103
	v_fma_f32 v94, -v94, v104, v105
	s_delay_alu instid0(VALU_DEP_1) | instskip(NEXT) | instid1(VALU_DEP_1)
	v_div_fmas_f32 v94, v94, v103, v104
	v_div_fixup_f32 v95, v94, v95, 1.0
	s_delay_alu instid0(VALU_DEP_1)
	v_mul_f32_e32 v94, v97, v95
	v_xor_b32_e32 v95, 0x80000000, v95
.LBB86_784:
	s_and_not1_saveexec_b32 s1, s1
	s_cbranch_execz .LBB86_786
; %bb.785:
	s_delay_alu instid0(VALU_DEP_1) | instskip(SKIP_1) | instid1(VALU_DEP_2)
	v_div_scale_f32 v97, null, v94, v94, v95
	v_div_scale_f32 v105, vcc_lo, v95, v94, v95
	v_rcp_f32_e32 v103, v97
	v_nop
	s_delay_alu instid0(TRANS32_DEP_1) | instskip(NEXT) | instid1(VALU_DEP_1)
	v_fma_f32 v104, -v97, v103, 1.0
	v_fmac_f32_e32 v103, v104, v103
	s_delay_alu instid0(VALU_DEP_1) | instskip(NEXT) | instid1(VALU_DEP_1)
	v_mul_f32_e32 v104, v105, v103
	v_fma_f32 v106, -v97, v104, v105
	s_delay_alu instid0(VALU_DEP_1) | instskip(NEXT) | instid1(VALU_DEP_1)
	v_fmac_f32_e32 v104, v106, v103
	v_fma_f32 v97, -v97, v104, v105
	s_delay_alu instid0(VALU_DEP_1) | instskip(NEXT) | instid1(VALU_DEP_1)
	v_div_fmas_f32 v97, v97, v103, v104
	v_div_fixup_f32 v97, v97, v94, v95
	s_delay_alu instid0(VALU_DEP_1) | instskip(NEXT) | instid1(VALU_DEP_1)
	v_fmac_f32_e32 v94, v95, v97
	v_div_scale_f32 v95, null, v94, v94, 1.0
	s_delay_alu instid0(VALU_DEP_1) | instskip(SKIP_1) | instid1(TRANS32_DEP_1)
	v_rcp_f32_e32 v103, v95
	v_nop
	v_fma_f32 v104, -v95, v103, 1.0
	s_delay_alu instid0(VALU_DEP_1) | instskip(SKIP_1) | instid1(VALU_DEP_1)
	v_fmac_f32_e32 v103, v104, v103
	v_div_scale_f32 v104, vcc_lo, 1.0, v94, 1.0
	v_mul_f32_e32 v105, v104, v103
	s_delay_alu instid0(VALU_DEP_1) | instskip(NEXT) | instid1(VALU_DEP_1)
	v_fma_f32 v106, -v95, v105, v104
	v_fmac_f32_e32 v105, v106, v103
	s_delay_alu instid0(VALU_DEP_1) | instskip(NEXT) | instid1(VALU_DEP_1)
	v_fma_f32 v95, -v95, v105, v104
	v_div_fmas_f32 v95, v95, v103, v105
	s_delay_alu instid0(VALU_DEP_1) | instskip(NEXT) | instid1(VALU_DEP_1)
	v_div_fixup_f32 v94, v95, v94, 1.0
	v_mul_f32_e64 v95, v97, -v94
.LBB86_786:
	s_or_b32 exec_lo, exec_lo, s1
.LBB86_787:
	s_delay_alu instid0(SALU_CYCLE_1) | instskip(NEXT) | instid1(SALU_CYCLE_1)
	s_or_b32 exec_lo, exec_lo, s0
	s_mov_b32 s0, exec_lo
	v_cmpx_ne_u32_e64 v102, v96
	s_xor_b32 s0, exec_lo, s0
	s_cbranch_execz .LBB86_793
; %bb.788:
	s_mov_b32 s1, exec_lo
	v_cmpx_eq_u32_e32 37, v102
	s_cbranch_execz .LBB86_792
; %bb.789:
	v_cmp_ne_u32_e32 vcc_lo, 37, v96
	s_xor_b32 s12, s16, -1
	s_delay_alu instid0(SALU_CYCLE_1) | instskip(NEXT) | instid1(SALU_CYCLE_1)
	s_and_b32 s13, s12, vcc_lo
	s_and_saveexec_b32 s12, s13
	s_cbranch_execz .LBB86_791
; %bb.790:
	v_ashrrev_i32_e32 v97, 31, v96
	s_delay_alu instid0(VALU_DEP_1)
	v_lshl_add_u64 v[102:103], v[96:97], 2, v[4:5]
	s_clause 0x1
	global_load_b32 v97, v[102:103], off
	global_load_b32 v101, v[4:5], off offset:148
	s_wait_loadcnt 0x1
	global_store_b32 v[4:5], v97, off offset:148
	s_wait_loadcnt 0x0
	global_store_b32 v[102:103], v101, off
.LBB86_791:
	s_wait_xcnt 0x0
	s_or_b32 exec_lo, exec_lo, s12
	v_dual_mov_b32 v102, v96 :: v_dual_mov_b32 v101, v96
.LBB86_792:
	s_or_b32 exec_lo, exec_lo, s1
.LBB86_793:
	s_and_not1_saveexec_b32 s0, s0
	s_cbranch_execz .LBB86_795
; %bb.794:
	v_dual_mov_b32 v96, v32 :: v_dual_mov_b32 v97, v33
	v_dual_mov_b32 v104, v8 :: v_dual_mov_b32 v105, v9
	;; [unrolled: 1-line block ×5, first 2 shown]
	v_mov_b32_e32 v111, v17
	ds_store_2addr_b64 v98, v[96:97], v[104:105] offset0:38 offset1:39
	ds_store_2addr_b64 v98, v[106:107], v[108:109] offset0:40 offset1:41
	;; [unrolled: 1-line block ×3, first 2 shown]
.LBB86_795:
	s_or_b32 exec_lo, exec_lo, s0
	s_delay_alu instid0(SALU_CYCLE_1)
	s_mov_b32 s0, exec_lo
	s_wait_storecnt_dscnt 0x0
	s_barrier_signal -1
	s_barrier_wait -1
	v_cmpx_lt_i32_e32 37, v102
	s_cbranch_execz .LBB86_797
; %bb.796:
	v_pk_mul_f32 v[96:97], v[94:95], v[30:31] op_sel:[1,1] op_sel_hi:[0,1]
	s_delay_alu instid0(VALU_DEP_1)
	v_pk_fma_f32 v[104:105], v[94:95], v[30:31], v[96:97] op_sel_hi:[1,0,1] neg_lo:[0,0,1] neg_hi:[0,0,1]
	v_pk_fma_f32 v[106:107], v[94:95], v[30:31], v[96:97] op_sel_hi:[1,0,1]
	ds_load_2addr_b64 v[94:97], v98 offset0:38 offset1:39
	v_dual_mov_b32 v30, v104 :: v_dual_mov_b32 v31, v107
	s_wait_dscnt 0x0
	v_pk_mul_f32 v[108:109], v[94:95], v[106:107] op_sel:[0,1]
	s_delay_alu instid0(VALU_DEP_1) | instskip(SKIP_1) | instid1(VALU_DEP_1)
	v_pk_fma_f32 v[110:111], v[94:95], v[104:105], v[108:109] op_sel:[0,0,1] op_sel_hi:[1,1,0] neg_lo:[0,0,1] neg_hi:[0,0,1]
	v_pk_fma_f32 v[94:95], v[94:95], v[104:105], v[108:109] op_sel:[0,0,1] op_sel_hi:[1,0,0]
	v_mov_b32_e32 v111, v95
	v_pk_mul_f32 v[94:95], v[96:97], v[106:107] op_sel:[0,1]
	s_delay_alu instid0(VALU_DEP_1) | instskip(SKIP_1) | instid1(VALU_DEP_1)
	v_pk_fma_f32 v[108:109], v[96:97], v[104:105], v[94:95] op_sel:[0,0,1] op_sel_hi:[1,1,0] neg_lo:[0,0,1] neg_hi:[0,0,1]
	v_pk_fma_f32 v[94:95], v[96:97], v[104:105], v[94:95] op_sel:[0,0,1] op_sel_hi:[1,0,0]
	v_mov_b32_e32 v109, v95
	ds_load_2addr_b64 v[94:97], v98 offset0:40 offset1:41
	v_pk_add_f32 v[32:33], v[32:33], v[110:111] neg_lo:[0,1] neg_hi:[0,1]
	v_pk_add_f32 v[8:9], v[8:9], v[108:109] neg_lo:[0,1] neg_hi:[0,1]
	s_wait_dscnt 0x0
	v_pk_mul_f32 v[108:109], v[94:95], v[106:107] op_sel:[0,1]
	s_delay_alu instid0(VALU_DEP_1) | instskip(SKIP_2) | instid1(VALU_DEP_2)
	v_pk_fma_f32 v[110:111], v[94:95], v[104:105], v[108:109] op_sel:[0,0,1] op_sel_hi:[1,1,0] neg_lo:[0,0,1] neg_hi:[0,0,1]
	v_pk_fma_f32 v[94:95], v[94:95], v[104:105], v[108:109] op_sel:[0,0,1] op_sel_hi:[1,0,0]
	v_dual_mul_f32 v108, v97, v107 :: v_dual_mov_b32 v94, v97
	v_dual_mov_b32 v111, v95 :: v_dual_mov_b32 v95, v96
	s_delay_alu instid0(VALU_DEP_2) | instskip(SKIP_1) | instid1(VALU_DEP_3)
	v_pk_fma_f32 v[108:109], v[96:97], v[30:31], v[108:109] op_sel_hi:[1,1,0] neg_lo:[0,0,1] neg_hi:[0,0,1]
	v_mul_f32_e32 v96, v97, v104
	v_pk_add_f32 v[28:29], v[28:29], v[110:111] neg_lo:[0,1] neg_hi:[0,1]
	s_delay_alu instid0(VALU_DEP_2) | instskip(NEXT) | instid1(VALU_DEP_1)
	v_pk_fma_f32 v[94:95], v[94:95], v[30:31], v[96:97] op_sel_hi:[1,1,0]
	v_mov_b32_e32 v109, v95
	ds_load_2addr_b64 v[94:97], v98 offset0:42 offset1:43
	v_pk_add_f32 v[20:21], v[20:21], v[108:109] neg_lo:[0,1] neg_hi:[0,1]
	s_wait_dscnt 0x0
	v_pk_mul_f32 v[108:109], v[94:95], v[106:107] op_sel:[0,1]
	v_mul_f32_e32 v106, v97, v107
	s_delay_alu instid0(VALU_DEP_2) | instskip(SKIP_2) | instid1(VALU_DEP_4)
	v_pk_fma_f32 v[110:111], v[94:95], v[104:105], v[108:109] op_sel:[0,0,1] op_sel_hi:[1,1,0] neg_lo:[0,0,1] neg_hi:[0,0,1]
	v_pk_fma_f32 v[94:95], v[94:95], v[104:105], v[108:109] op_sel:[0,0,1] op_sel_hi:[1,0,0]
	v_mov_b32_e32 v94, v97
	v_pk_fma_f32 v[106:107], v[96:97], v[30:31], v[106:107] op_sel_hi:[1,1,0] neg_lo:[0,0,1] neg_hi:[0,0,1]
	s_delay_alu instid0(VALU_DEP_3) | instskip(SKIP_1) | instid1(VALU_DEP_2)
	v_dual_mov_b32 v111, v95 :: v_dual_mov_b32 v95, v96
	v_mul_f32_e32 v96, v97, v104
	v_pk_add_f32 v[16:17], v[16:17], v[110:111] neg_lo:[0,1] neg_hi:[0,1]
	s_delay_alu instid0(VALU_DEP_2) | instskip(NEXT) | instid1(VALU_DEP_1)
	v_pk_fma_f32 v[94:95], v[94:95], v[30:31], v[96:97] op_sel_hi:[1,1,0]
	v_mov_b32_e32 v107, v95
	s_delay_alu instid0(VALU_DEP_1)
	v_pk_add_f32 v[92:93], v[92:93], v[106:107] neg_lo:[0,1] neg_hi:[0,1]
.LBB86_797:
	s_or_b32 exec_lo, exec_lo, s0
	v_lshl_add_u32 v94, v102, 3, v98
	s_barrier_signal -1
	s_barrier_wait -1
	ds_store_b64 v94, v[32:33]
	s_wait_dscnt 0x0
	s_barrier_signal -1
	s_barrier_wait -1
	ds_load_b64 v[94:95], v98 offset:304
	v_mov_b32_e32 v96, 38
	s_cmp_lt_i32 s18, 40
	s_cbranch_scc1 .LBB86_800
; %bb.798:
	v_add3_u32 v97, v99, 0, 0x138
	v_mov_b32_e32 v96, 38
	s_mov_b32 s0, 39
.LBB86_799:                             ; =>This Inner Loop Header: Depth=1
	ds_load_b64 v[104:105], v97
	s_wait_dscnt 0x1
	v_cmp_gt_f32_e32 vcc_lo, 0, v94
	v_cndmask_b32_e64 v106, v94, -v94, vcc_lo
	v_cmp_gt_f32_e32 vcc_lo, 0, v95
	v_cndmask_b32_e64 v108, v95, -v95, vcc_lo
	s_wait_dscnt 0x0
	v_cmp_gt_f32_e32 vcc_lo, 0, v104
	v_cndmask_b32_e64 v107, v104, -v104, vcc_lo
	v_cmp_gt_f32_e32 vcc_lo, 0, v105
	v_cndmask_b32_e64 v109, v105, -v105, vcc_lo
	s_delay_alu instid0(VALU_DEP_1) | instskip(NEXT) | instid1(VALU_DEP_1)
	v_pk_add_f32 v[106:107], v[106:107], v[108:109]
	v_cmp_lt_f32_e32 vcc_lo, v106, v107
	v_dual_cndmask_b32 v94, v94, v104 :: v_dual_add_nc_u32 v97, 8, v97
	v_cndmask_b32_e32 v95, v95, v105, vcc_lo
	v_cndmask_b32_e64 v96, v96, s0, vcc_lo
	s_add_co_i32 s0, s0, 1
	s_delay_alu instid0(SALU_CYCLE_1)
	s_cmp_lg_u32 s18, s0
	s_cbranch_scc1 .LBB86_799
.LBB86_800:
	s_wait_dscnt 0x0
	v_cmp_eq_f32_e32 vcc_lo, 0, v94
	v_cmp_eq_f32_e64 s0, 0, v95
	s_and_b32 s0, vcc_lo, s0
	s_delay_alu instid0(SALU_CYCLE_1) | instskip(NEXT) | instid1(SALU_CYCLE_1)
	s_and_saveexec_b32 s1, s0
	s_xor_b32 s0, exec_lo, s1
; %bb.801:
	v_cmp_ne_u32_e32 vcc_lo, 0, v100
	v_cndmask_b32_e32 v100, 39, v100, vcc_lo
; %bb.802:
	s_and_not1_saveexec_b32 s0, s0
	s_cbranch_execz .LBB86_808
; %bb.803:
	v_cmp_ngt_f32_e64 s1, |v94|, |v95|
	s_and_saveexec_b32 s12, s1
	s_delay_alu instid0(SALU_CYCLE_1)
	s_xor_b32 s1, exec_lo, s12
	s_cbranch_execz .LBB86_805
; %bb.804:
	v_div_scale_f32 v97, null, v95, v95, v94
	v_div_scale_f32 v105, vcc_lo, v94, v95, v94
	s_delay_alu instid0(VALU_DEP_2) | instskip(SKIP_1) | instid1(TRANS32_DEP_1)
	v_rcp_f32_e32 v103, v97
	v_nop
	v_fma_f32 v104, -v97, v103, 1.0
	s_delay_alu instid0(VALU_DEP_1) | instskip(NEXT) | instid1(VALU_DEP_1)
	v_fmac_f32_e32 v103, v104, v103
	v_mul_f32_e32 v104, v105, v103
	s_delay_alu instid0(VALU_DEP_1) | instskip(NEXT) | instid1(VALU_DEP_1)
	v_fma_f32 v106, -v97, v104, v105
	v_fmac_f32_e32 v104, v106, v103
	s_delay_alu instid0(VALU_DEP_1) | instskip(NEXT) | instid1(VALU_DEP_1)
	v_fma_f32 v97, -v97, v104, v105
	v_div_fmas_f32 v97, v97, v103, v104
	s_delay_alu instid0(VALU_DEP_1) | instskip(NEXT) | instid1(VALU_DEP_1)
	v_div_fixup_f32 v97, v97, v95, v94
	v_fmac_f32_e32 v95, v94, v97
	s_delay_alu instid0(VALU_DEP_1) | instskip(SKIP_1) | instid1(VALU_DEP_2)
	v_div_scale_f32 v94, null, v95, v95, 1.0
	v_div_scale_f32 v105, vcc_lo, 1.0, v95, 1.0
	v_rcp_f32_e32 v103, v94
	v_nop
	s_delay_alu instid0(TRANS32_DEP_1) | instskip(NEXT) | instid1(VALU_DEP_1)
	v_fma_f32 v104, -v94, v103, 1.0
	v_fmac_f32_e32 v103, v104, v103
	s_delay_alu instid0(VALU_DEP_1) | instskip(NEXT) | instid1(VALU_DEP_1)
	v_mul_f32_e32 v104, v105, v103
	v_fma_f32 v106, -v94, v104, v105
	s_delay_alu instid0(VALU_DEP_1) | instskip(NEXT) | instid1(VALU_DEP_1)
	v_fmac_f32_e32 v104, v106, v103
	v_fma_f32 v94, -v94, v104, v105
	s_delay_alu instid0(VALU_DEP_1) | instskip(NEXT) | instid1(VALU_DEP_1)
	v_div_fmas_f32 v94, v94, v103, v104
	v_div_fixup_f32 v95, v94, v95, 1.0
	s_delay_alu instid0(VALU_DEP_1)
	v_mul_f32_e32 v94, v97, v95
	v_xor_b32_e32 v95, 0x80000000, v95
.LBB86_805:
	s_and_not1_saveexec_b32 s1, s1
	s_cbranch_execz .LBB86_807
; %bb.806:
	s_delay_alu instid0(VALU_DEP_1) | instskip(SKIP_1) | instid1(VALU_DEP_2)
	v_div_scale_f32 v97, null, v94, v94, v95
	v_div_scale_f32 v105, vcc_lo, v95, v94, v95
	v_rcp_f32_e32 v103, v97
	v_nop
	s_delay_alu instid0(TRANS32_DEP_1) | instskip(NEXT) | instid1(VALU_DEP_1)
	v_fma_f32 v104, -v97, v103, 1.0
	v_fmac_f32_e32 v103, v104, v103
	s_delay_alu instid0(VALU_DEP_1) | instskip(NEXT) | instid1(VALU_DEP_1)
	v_mul_f32_e32 v104, v105, v103
	v_fma_f32 v106, -v97, v104, v105
	s_delay_alu instid0(VALU_DEP_1) | instskip(NEXT) | instid1(VALU_DEP_1)
	v_fmac_f32_e32 v104, v106, v103
	v_fma_f32 v97, -v97, v104, v105
	s_delay_alu instid0(VALU_DEP_1) | instskip(NEXT) | instid1(VALU_DEP_1)
	v_div_fmas_f32 v97, v97, v103, v104
	v_div_fixup_f32 v97, v97, v94, v95
	s_delay_alu instid0(VALU_DEP_1) | instskip(NEXT) | instid1(VALU_DEP_1)
	v_fmac_f32_e32 v94, v95, v97
	v_div_scale_f32 v95, null, v94, v94, 1.0
	s_delay_alu instid0(VALU_DEP_1) | instskip(SKIP_1) | instid1(TRANS32_DEP_1)
	v_rcp_f32_e32 v103, v95
	v_nop
	v_fma_f32 v104, -v95, v103, 1.0
	s_delay_alu instid0(VALU_DEP_1) | instskip(SKIP_1) | instid1(VALU_DEP_1)
	v_fmac_f32_e32 v103, v104, v103
	v_div_scale_f32 v104, vcc_lo, 1.0, v94, 1.0
	v_mul_f32_e32 v105, v104, v103
	s_delay_alu instid0(VALU_DEP_1) | instskip(NEXT) | instid1(VALU_DEP_1)
	v_fma_f32 v106, -v95, v105, v104
	v_fmac_f32_e32 v105, v106, v103
	s_delay_alu instid0(VALU_DEP_1) | instskip(NEXT) | instid1(VALU_DEP_1)
	v_fma_f32 v95, -v95, v105, v104
	v_div_fmas_f32 v95, v95, v103, v105
	s_delay_alu instid0(VALU_DEP_1) | instskip(NEXT) | instid1(VALU_DEP_1)
	v_div_fixup_f32 v94, v95, v94, 1.0
	v_mul_f32_e64 v95, v97, -v94
.LBB86_807:
	s_or_b32 exec_lo, exec_lo, s1
.LBB86_808:
	s_delay_alu instid0(SALU_CYCLE_1) | instskip(NEXT) | instid1(SALU_CYCLE_1)
	s_or_b32 exec_lo, exec_lo, s0
	s_mov_b32 s0, exec_lo
	v_cmpx_ne_u32_e64 v102, v96
	s_xor_b32 s0, exec_lo, s0
	s_cbranch_execz .LBB86_814
; %bb.809:
	s_mov_b32 s1, exec_lo
	v_cmpx_eq_u32_e32 38, v102
	s_cbranch_execz .LBB86_813
; %bb.810:
	v_cmp_ne_u32_e32 vcc_lo, 38, v96
	s_xor_b32 s12, s16, -1
	s_delay_alu instid0(SALU_CYCLE_1) | instskip(NEXT) | instid1(SALU_CYCLE_1)
	s_and_b32 s13, s12, vcc_lo
	s_and_saveexec_b32 s12, s13
	s_cbranch_execz .LBB86_812
; %bb.811:
	v_ashrrev_i32_e32 v97, 31, v96
	s_delay_alu instid0(VALU_DEP_1)
	v_lshl_add_u64 v[102:103], v[96:97], 2, v[4:5]
	s_clause 0x1
	global_load_b32 v97, v[102:103], off
	global_load_b32 v101, v[4:5], off offset:152
	s_wait_loadcnt 0x1
	global_store_b32 v[4:5], v97, off offset:152
	s_wait_loadcnt 0x0
	global_store_b32 v[102:103], v101, off
.LBB86_812:
	s_wait_xcnt 0x0
	s_or_b32 exec_lo, exec_lo, s12
	v_dual_mov_b32 v102, v96 :: v_dual_mov_b32 v101, v96
.LBB86_813:
	s_or_b32 exec_lo, exec_lo, s1
.LBB86_814:
	s_and_not1_saveexec_b32 s0, s0
	s_cbranch_execz .LBB86_816
; %bb.815:
	v_mov_b32_e32 v102, 38
	ds_store_2addr_b64 v98, v[8:9], v[28:29] offset0:39 offset1:40
	ds_store_2addr_b64 v98, v[20:21], v[16:17] offset0:41 offset1:42
	ds_store_b64 v98, v[92:93] offset:344
.LBB86_816:
	s_or_b32 exec_lo, exec_lo, s0
	s_delay_alu instid0(SALU_CYCLE_1)
	s_mov_b32 s0, exec_lo
	s_wait_storecnt_dscnt 0x0
	s_barrier_signal -1
	s_barrier_wait -1
	v_cmpx_lt_i32_e32 38, v102
	s_cbranch_execz .LBB86_818
; %bb.817:
	ds_load_2addr_b64 v[104:107], v98 offset0:39 offset1:40
	ds_load_2addr_b64 v[108:111], v98 offset0:41 offset1:42
	ds_load_b64 v[96:97], v98 offset:344
	v_pk_mul_f32 v[112:113], v[94:95], v[32:33] op_sel:[1,1] op_sel_hi:[0,1]
	s_delay_alu instid0(VALU_DEP_1) | instskip(SKIP_1) | instid1(VALU_DEP_1)
	v_pk_fma_f32 v[114:115], v[94:95], v[32:33], v[112:113] op_sel_hi:[1,0,1] neg_lo:[0,0,1] neg_hi:[0,0,1]
	v_pk_fma_f32 v[94:95], v[94:95], v[32:33], v[112:113] op_sel_hi:[1,0,1]
	v_dual_mov_b32 v32, v114 :: v_dual_mov_b32 v33, v95
	s_wait_dscnt 0x2
	s_delay_alu instid0(VALU_DEP_2)
	v_pk_mul_f32 v[112:113], v[104:105], v[94:95] op_sel:[0,1]
	v_pk_mul_f32 v[116:117], v[106:107], v[94:95] op_sel:[0,1]
	s_wait_dscnt 0x1
	v_pk_mul_f32 v[118:119], v[108:109], v[94:95] op_sel:[0,1]
	v_dual_mov_b32 v120, v111 :: v_dual_mov_b32 v121, v110
	v_dual_mul_f32 v122, v111, v95 :: v_dual_mul_f32 v124, v111, v114
	s_wait_dscnt 0x0
	v_pk_mul_f32 v[94:95], v[96:97], v[94:95] op_sel:[0,1]
	v_pk_fma_f32 v[126:127], v[104:105], v[114:115], v[112:113] op_sel:[0,0,1] op_sel_hi:[1,1,0] neg_lo:[0,0,1] neg_hi:[0,0,1]
	v_pk_fma_f32 v[104:105], v[104:105], v[114:115], v[112:113] op_sel:[0,0,1] op_sel_hi:[1,0,0]
	v_pk_fma_f32 v[112:113], v[106:107], v[114:115], v[116:117] op_sel:[0,0,1] op_sel_hi:[1,1,0] neg_lo:[0,0,1] neg_hi:[0,0,1]
	v_pk_fma_f32 v[106:107], v[106:107], v[114:115], v[116:117] op_sel:[0,0,1] op_sel_hi:[1,0,0]
	;; [unrolled: 2-line block ×3, first 2 shown]
	v_pk_fma_f32 v[118:119], v[120:121], v[32:33], v[124:125] op_sel_hi:[1,1,0]
	v_pk_fma_f32 v[120:121], v[96:97], v[114:115], v[94:95] op_sel:[0,0,1] op_sel_hi:[1,1,0] neg_lo:[0,0,1] neg_hi:[0,0,1]
	v_pk_fma_f32 v[94:95], v[96:97], v[114:115], v[94:95] op_sel:[0,0,1] op_sel_hi:[1,0,0]
	v_pk_fma_f32 v[110:111], v[110:111], v[32:33], v[122:123] op_sel_hi:[1,1,0] neg_lo:[0,0,1] neg_hi:[0,0,1]
	v_dual_mov_b32 v127, v105 :: v_dual_mov_b32 v113, v107
	v_dual_mov_b32 v117, v109 :: v_dual_mov_b32 v111, v119
	s_delay_alu instid0(VALU_DEP_4) | instskip(NEXT) | instid1(VALU_DEP_3)
	v_mov_b32_e32 v121, v95
	v_pk_add_f32 v[8:9], v[8:9], v[126:127] neg_lo:[0,1] neg_hi:[0,1]
	s_delay_alu instid0(VALU_DEP_4) | instskip(NEXT) | instid1(VALU_DEP_4)
	v_pk_add_f32 v[28:29], v[28:29], v[112:113] neg_lo:[0,1] neg_hi:[0,1]
	v_pk_add_f32 v[20:21], v[20:21], v[116:117] neg_lo:[0,1] neg_hi:[0,1]
	;; [unrolled: 1-line block ×4, first 2 shown]
.LBB86_818:
	s_or_b32 exec_lo, exec_lo, s0
	v_lshl_add_u32 v94, v102, 3, v98
	s_barrier_signal -1
	s_barrier_wait -1
	ds_store_b64 v94, v[8:9]
	s_wait_dscnt 0x0
	s_barrier_signal -1
	s_barrier_wait -1
	ds_load_b64 v[94:95], v98 offset:312
	v_mov_b32_e32 v96, 39
	s_cmp_lt_i32 s18, 41
	s_cbranch_scc1 .LBB86_821
; %bb.819:
	v_add3_u32 v97, v99, 0, 0x140
	v_mov_b32_e32 v96, 39
	s_mov_b32 s0, 40
.LBB86_820:                             ; =>This Inner Loop Header: Depth=1
	ds_load_b64 v[104:105], v97
	s_wait_dscnt 0x1
	v_cmp_gt_f32_e32 vcc_lo, 0, v94
	v_cndmask_b32_e64 v106, v94, -v94, vcc_lo
	v_cmp_gt_f32_e32 vcc_lo, 0, v95
	v_cndmask_b32_e64 v108, v95, -v95, vcc_lo
	s_wait_dscnt 0x0
	v_cmp_gt_f32_e32 vcc_lo, 0, v104
	v_cndmask_b32_e64 v107, v104, -v104, vcc_lo
	v_cmp_gt_f32_e32 vcc_lo, 0, v105
	v_cndmask_b32_e64 v109, v105, -v105, vcc_lo
	s_delay_alu instid0(VALU_DEP_1) | instskip(NEXT) | instid1(VALU_DEP_1)
	v_pk_add_f32 v[106:107], v[106:107], v[108:109]
	v_cmp_lt_f32_e32 vcc_lo, v106, v107
	v_dual_cndmask_b32 v94, v94, v104 :: v_dual_add_nc_u32 v97, 8, v97
	v_cndmask_b32_e32 v95, v95, v105, vcc_lo
	v_cndmask_b32_e64 v96, v96, s0, vcc_lo
	s_add_co_i32 s0, s0, 1
	s_delay_alu instid0(SALU_CYCLE_1)
	s_cmp_lg_u32 s18, s0
	s_cbranch_scc1 .LBB86_820
.LBB86_821:
	s_wait_dscnt 0x0
	v_cmp_eq_f32_e32 vcc_lo, 0, v94
	v_cmp_eq_f32_e64 s0, 0, v95
	s_and_b32 s0, vcc_lo, s0
	s_delay_alu instid0(SALU_CYCLE_1) | instskip(NEXT) | instid1(SALU_CYCLE_1)
	s_and_saveexec_b32 s1, s0
	s_xor_b32 s0, exec_lo, s1
; %bb.822:
	v_cmp_ne_u32_e32 vcc_lo, 0, v100
	v_cndmask_b32_e32 v100, 40, v100, vcc_lo
; %bb.823:
	s_and_not1_saveexec_b32 s0, s0
	s_cbranch_execz .LBB86_829
; %bb.824:
	v_cmp_ngt_f32_e64 s1, |v94|, |v95|
	s_and_saveexec_b32 s12, s1
	s_delay_alu instid0(SALU_CYCLE_1)
	s_xor_b32 s1, exec_lo, s12
	s_cbranch_execz .LBB86_826
; %bb.825:
	v_div_scale_f32 v97, null, v95, v95, v94
	v_div_scale_f32 v105, vcc_lo, v94, v95, v94
	s_delay_alu instid0(VALU_DEP_2) | instskip(SKIP_1) | instid1(TRANS32_DEP_1)
	v_rcp_f32_e32 v103, v97
	v_nop
	v_fma_f32 v104, -v97, v103, 1.0
	s_delay_alu instid0(VALU_DEP_1) | instskip(NEXT) | instid1(VALU_DEP_1)
	v_fmac_f32_e32 v103, v104, v103
	v_mul_f32_e32 v104, v105, v103
	s_delay_alu instid0(VALU_DEP_1) | instskip(NEXT) | instid1(VALU_DEP_1)
	v_fma_f32 v106, -v97, v104, v105
	v_fmac_f32_e32 v104, v106, v103
	s_delay_alu instid0(VALU_DEP_1) | instskip(NEXT) | instid1(VALU_DEP_1)
	v_fma_f32 v97, -v97, v104, v105
	v_div_fmas_f32 v97, v97, v103, v104
	s_delay_alu instid0(VALU_DEP_1) | instskip(NEXT) | instid1(VALU_DEP_1)
	v_div_fixup_f32 v97, v97, v95, v94
	v_fmac_f32_e32 v95, v94, v97
	s_delay_alu instid0(VALU_DEP_1) | instskip(SKIP_1) | instid1(VALU_DEP_2)
	v_div_scale_f32 v94, null, v95, v95, 1.0
	v_div_scale_f32 v105, vcc_lo, 1.0, v95, 1.0
	v_rcp_f32_e32 v103, v94
	v_nop
	s_delay_alu instid0(TRANS32_DEP_1) | instskip(NEXT) | instid1(VALU_DEP_1)
	v_fma_f32 v104, -v94, v103, 1.0
	v_fmac_f32_e32 v103, v104, v103
	s_delay_alu instid0(VALU_DEP_1) | instskip(NEXT) | instid1(VALU_DEP_1)
	v_mul_f32_e32 v104, v105, v103
	v_fma_f32 v106, -v94, v104, v105
	s_delay_alu instid0(VALU_DEP_1) | instskip(NEXT) | instid1(VALU_DEP_1)
	v_fmac_f32_e32 v104, v106, v103
	v_fma_f32 v94, -v94, v104, v105
	s_delay_alu instid0(VALU_DEP_1) | instskip(NEXT) | instid1(VALU_DEP_1)
	v_div_fmas_f32 v94, v94, v103, v104
	v_div_fixup_f32 v95, v94, v95, 1.0
	s_delay_alu instid0(VALU_DEP_1)
	v_mul_f32_e32 v94, v97, v95
	v_xor_b32_e32 v95, 0x80000000, v95
.LBB86_826:
	s_and_not1_saveexec_b32 s1, s1
	s_cbranch_execz .LBB86_828
; %bb.827:
	s_delay_alu instid0(VALU_DEP_1) | instskip(SKIP_1) | instid1(VALU_DEP_2)
	v_div_scale_f32 v97, null, v94, v94, v95
	v_div_scale_f32 v105, vcc_lo, v95, v94, v95
	v_rcp_f32_e32 v103, v97
	v_nop
	s_delay_alu instid0(TRANS32_DEP_1) | instskip(NEXT) | instid1(VALU_DEP_1)
	v_fma_f32 v104, -v97, v103, 1.0
	v_fmac_f32_e32 v103, v104, v103
	s_delay_alu instid0(VALU_DEP_1) | instskip(NEXT) | instid1(VALU_DEP_1)
	v_mul_f32_e32 v104, v105, v103
	v_fma_f32 v106, -v97, v104, v105
	s_delay_alu instid0(VALU_DEP_1) | instskip(NEXT) | instid1(VALU_DEP_1)
	v_fmac_f32_e32 v104, v106, v103
	v_fma_f32 v97, -v97, v104, v105
	s_delay_alu instid0(VALU_DEP_1) | instskip(NEXT) | instid1(VALU_DEP_1)
	v_div_fmas_f32 v97, v97, v103, v104
	v_div_fixup_f32 v97, v97, v94, v95
	s_delay_alu instid0(VALU_DEP_1) | instskip(NEXT) | instid1(VALU_DEP_1)
	v_fmac_f32_e32 v94, v95, v97
	v_div_scale_f32 v95, null, v94, v94, 1.0
	s_delay_alu instid0(VALU_DEP_1) | instskip(SKIP_1) | instid1(TRANS32_DEP_1)
	v_rcp_f32_e32 v103, v95
	v_nop
	v_fma_f32 v104, -v95, v103, 1.0
	s_delay_alu instid0(VALU_DEP_1) | instskip(SKIP_1) | instid1(VALU_DEP_1)
	v_fmac_f32_e32 v103, v104, v103
	v_div_scale_f32 v104, vcc_lo, 1.0, v94, 1.0
	v_mul_f32_e32 v105, v104, v103
	s_delay_alu instid0(VALU_DEP_1) | instskip(NEXT) | instid1(VALU_DEP_1)
	v_fma_f32 v106, -v95, v105, v104
	v_fmac_f32_e32 v105, v106, v103
	s_delay_alu instid0(VALU_DEP_1) | instskip(NEXT) | instid1(VALU_DEP_1)
	v_fma_f32 v95, -v95, v105, v104
	v_div_fmas_f32 v95, v95, v103, v105
	s_delay_alu instid0(VALU_DEP_1) | instskip(NEXT) | instid1(VALU_DEP_1)
	v_div_fixup_f32 v94, v95, v94, 1.0
	v_mul_f32_e64 v95, v97, -v94
.LBB86_828:
	s_or_b32 exec_lo, exec_lo, s1
.LBB86_829:
	s_delay_alu instid0(SALU_CYCLE_1) | instskip(NEXT) | instid1(SALU_CYCLE_1)
	s_or_b32 exec_lo, exec_lo, s0
	s_mov_b32 s0, exec_lo
	v_cmpx_ne_u32_e64 v102, v96
	s_xor_b32 s0, exec_lo, s0
	s_cbranch_execz .LBB86_835
; %bb.830:
	s_mov_b32 s1, exec_lo
	v_cmpx_eq_u32_e32 39, v102
	s_cbranch_execz .LBB86_834
; %bb.831:
	v_cmp_ne_u32_e32 vcc_lo, 39, v96
	s_xor_b32 s12, s16, -1
	s_delay_alu instid0(SALU_CYCLE_1) | instskip(NEXT) | instid1(SALU_CYCLE_1)
	s_and_b32 s13, s12, vcc_lo
	s_and_saveexec_b32 s12, s13
	s_cbranch_execz .LBB86_833
; %bb.832:
	v_ashrrev_i32_e32 v97, 31, v96
	s_delay_alu instid0(VALU_DEP_1)
	v_lshl_add_u64 v[102:103], v[96:97], 2, v[4:5]
	s_clause 0x1
	global_load_b32 v97, v[102:103], off
	global_load_b32 v101, v[4:5], off offset:156
	s_wait_loadcnt 0x1
	global_store_b32 v[4:5], v97, off offset:156
	s_wait_loadcnt 0x0
	global_store_b32 v[102:103], v101, off
.LBB86_833:
	s_wait_xcnt 0x0
	s_or_b32 exec_lo, exec_lo, s12
	v_dual_mov_b32 v102, v96 :: v_dual_mov_b32 v101, v96
.LBB86_834:
	s_or_b32 exec_lo, exec_lo, s1
.LBB86_835:
	s_and_not1_saveexec_b32 s0, s0
	s_cbranch_execz .LBB86_837
; %bb.836:
	v_dual_mov_b32 v96, v28 :: v_dual_mov_b32 v97, v29
	v_dual_mov_b32 v104, v20 :: v_dual_mov_b32 v105, v21
	;; [unrolled: 1-line block ×3, first 2 shown]
	v_mov_b32_e32 v107, v17
	ds_store_2addr_b64 v98, v[96:97], v[104:105] offset0:40 offset1:41
	ds_store_2addr_b64 v98, v[106:107], v[92:93] offset0:42 offset1:43
.LBB86_837:
	s_or_b32 exec_lo, exec_lo, s0
	s_delay_alu instid0(SALU_CYCLE_1)
	s_mov_b32 s0, exec_lo
	s_wait_storecnt_dscnt 0x0
	s_barrier_signal -1
	s_barrier_wait -1
	v_cmpx_lt_i32_e32 39, v102
	s_cbranch_execz .LBB86_839
; %bb.838:
	ds_load_2addr_b64 v[104:107], v98 offset0:40 offset1:41
	ds_load_2addr_b64 v[108:111], v98 offset0:42 offset1:43
	v_pk_mul_f32 v[96:97], v[94:95], v[8:9] op_sel:[1,1] op_sel_hi:[0,1]
	s_delay_alu instid0(VALU_DEP_1) | instskip(SKIP_1) | instid1(VALU_DEP_1)
	v_pk_fma_f32 v[112:113], v[94:95], v[8:9], v[96:97] op_sel_hi:[1,0,1] neg_lo:[0,0,1] neg_hi:[0,0,1]
	v_pk_fma_f32 v[94:95], v[94:95], v[8:9], v[96:97] op_sel_hi:[1,0,1]
	v_dual_mov_b32 v8, v112 :: v_dual_mov_b32 v9, v95
	s_wait_dscnt 0x1
	s_delay_alu instid0(VALU_DEP_2)
	v_pk_mul_f32 v[96:97], v[104:105], v[94:95] op_sel:[0,1]
	s_wait_dscnt 0x0
	v_mov_b32_e32 v114, v111
	v_pk_mul_f32 v[116:117], v[106:107], v[94:95] op_sel:[0,1]
	v_pk_mul_f32 v[118:119], v[108:109], v[94:95] op_sel:[0,1]
	v_pk_fma_f32 v[120:121], v[104:105], v[112:113], v[96:97] op_sel:[0,0,1] op_sel_hi:[1,1,0] neg_lo:[0,0,1] neg_hi:[0,0,1]
	v_pk_fma_f32 v[96:97], v[104:105], v[112:113], v[96:97] op_sel:[0,0,1] op_sel_hi:[1,0,0]
	s_delay_alu instid0(VALU_DEP_1) | instskip(NEXT) | instid1(VALU_DEP_1)
	v_dual_mov_b32 v115, v110 :: v_dual_mov_b32 v121, v97
	v_pk_mul_f32 v[104:105], v[114:115], v[94:95] op_sel:[0,1]
	v_pk_fma_f32 v[114:115], v[106:107], v[112:113], v[116:117] op_sel:[0,0,1] op_sel_hi:[1,0,0]
	v_pk_fma_f32 v[106:107], v[106:107], v[112:113], v[116:117] op_sel:[0,0,1] op_sel_hi:[1,1,0] neg_lo:[0,0,1] neg_hi:[0,0,1]
	v_pk_fma_f32 v[116:117], v[108:109], v[112:113], v[118:119] op_sel:[0,0,1] op_sel_hi:[1,0,0]
	v_pk_fma_f32 v[108:109], v[108:109], v[112:113], v[118:119] op_sel:[0,0,1] op_sel_hi:[1,1,0] neg_lo:[0,0,1] neg_hi:[0,0,1]
	v_pk_fma_f32 v[96:97], v[110:111], v[112:113], v[104:105] op_sel_hi:[1,0,1]
	v_pk_fma_f32 v[104:105], v[110:111], v[112:113], v[104:105] neg_lo:[0,0,1] neg_hi:[0,0,1]
	s_delay_alu instid0(VALU_DEP_4) | instskip(SKIP_1) | instid1(VALU_DEP_4)
	v_dual_mov_b32 v107, v115 :: v_dual_mov_b32 v109, v117
	v_pk_add_f32 v[28:29], v[28:29], v[120:121] neg_lo:[0,1] neg_hi:[0,1]
	v_mov_b32_e32 v105, v97
	s_delay_alu instid0(VALU_DEP_3) | instskip(NEXT) | instid1(VALU_DEP_4)
	v_pk_add_f32 v[20:21], v[20:21], v[106:107] neg_lo:[0,1] neg_hi:[0,1]
	v_pk_add_f32 v[16:17], v[16:17], v[108:109] neg_lo:[0,1] neg_hi:[0,1]
	s_delay_alu instid0(VALU_DEP_3)
	v_pk_add_f32 v[92:93], v[92:93], v[104:105] neg_lo:[0,1] neg_hi:[0,1]
.LBB86_839:
	s_or_b32 exec_lo, exec_lo, s0
	v_lshl_add_u32 v94, v102, 3, v98
	s_barrier_signal -1
	s_barrier_wait -1
	ds_store_b64 v94, v[28:29]
	s_wait_dscnt 0x0
	s_barrier_signal -1
	s_barrier_wait -1
	ds_load_b64 v[94:95], v98 offset:320
	v_mov_b32_e32 v96, 40
	s_cmp_lt_i32 s18, 42
	s_cbranch_scc1 .LBB86_842
; %bb.840:
	v_add3_u32 v97, v99, 0, 0x148
	v_mov_b32_e32 v96, 40
	s_mov_b32 s0, 41
.LBB86_841:                             ; =>This Inner Loop Header: Depth=1
	ds_load_b64 v[104:105], v97
	s_wait_dscnt 0x1
	v_cmp_gt_f32_e32 vcc_lo, 0, v94
	v_cndmask_b32_e64 v106, v94, -v94, vcc_lo
	v_cmp_gt_f32_e32 vcc_lo, 0, v95
	v_cndmask_b32_e64 v108, v95, -v95, vcc_lo
	s_wait_dscnt 0x0
	v_cmp_gt_f32_e32 vcc_lo, 0, v104
	v_cndmask_b32_e64 v107, v104, -v104, vcc_lo
	v_cmp_gt_f32_e32 vcc_lo, 0, v105
	v_cndmask_b32_e64 v109, v105, -v105, vcc_lo
	s_delay_alu instid0(VALU_DEP_1) | instskip(NEXT) | instid1(VALU_DEP_1)
	v_pk_add_f32 v[106:107], v[106:107], v[108:109]
	v_cmp_lt_f32_e32 vcc_lo, v106, v107
	v_dual_cndmask_b32 v94, v94, v104 :: v_dual_add_nc_u32 v97, 8, v97
	v_cndmask_b32_e32 v95, v95, v105, vcc_lo
	v_cndmask_b32_e64 v96, v96, s0, vcc_lo
	s_add_co_i32 s0, s0, 1
	s_delay_alu instid0(SALU_CYCLE_1)
	s_cmp_lg_u32 s18, s0
	s_cbranch_scc1 .LBB86_841
.LBB86_842:
	s_wait_dscnt 0x0
	v_cmp_eq_f32_e32 vcc_lo, 0, v94
	v_cmp_eq_f32_e64 s0, 0, v95
	s_and_b32 s0, vcc_lo, s0
	s_delay_alu instid0(SALU_CYCLE_1) | instskip(NEXT) | instid1(SALU_CYCLE_1)
	s_and_saveexec_b32 s1, s0
	s_xor_b32 s0, exec_lo, s1
; %bb.843:
	v_cmp_ne_u32_e32 vcc_lo, 0, v100
	v_cndmask_b32_e32 v100, 41, v100, vcc_lo
; %bb.844:
	s_and_not1_saveexec_b32 s0, s0
	s_cbranch_execz .LBB86_850
; %bb.845:
	v_cmp_ngt_f32_e64 s1, |v94|, |v95|
	s_and_saveexec_b32 s12, s1
	s_delay_alu instid0(SALU_CYCLE_1)
	s_xor_b32 s1, exec_lo, s12
	s_cbranch_execz .LBB86_847
; %bb.846:
	v_div_scale_f32 v97, null, v95, v95, v94
	v_div_scale_f32 v105, vcc_lo, v94, v95, v94
	s_delay_alu instid0(VALU_DEP_2) | instskip(SKIP_1) | instid1(TRANS32_DEP_1)
	v_rcp_f32_e32 v103, v97
	v_nop
	v_fma_f32 v104, -v97, v103, 1.0
	s_delay_alu instid0(VALU_DEP_1) | instskip(NEXT) | instid1(VALU_DEP_1)
	v_fmac_f32_e32 v103, v104, v103
	v_mul_f32_e32 v104, v105, v103
	s_delay_alu instid0(VALU_DEP_1) | instskip(NEXT) | instid1(VALU_DEP_1)
	v_fma_f32 v106, -v97, v104, v105
	v_fmac_f32_e32 v104, v106, v103
	s_delay_alu instid0(VALU_DEP_1) | instskip(NEXT) | instid1(VALU_DEP_1)
	v_fma_f32 v97, -v97, v104, v105
	v_div_fmas_f32 v97, v97, v103, v104
	s_delay_alu instid0(VALU_DEP_1) | instskip(NEXT) | instid1(VALU_DEP_1)
	v_div_fixup_f32 v97, v97, v95, v94
	v_fmac_f32_e32 v95, v94, v97
	s_delay_alu instid0(VALU_DEP_1) | instskip(SKIP_1) | instid1(VALU_DEP_2)
	v_div_scale_f32 v94, null, v95, v95, 1.0
	v_div_scale_f32 v105, vcc_lo, 1.0, v95, 1.0
	v_rcp_f32_e32 v103, v94
	v_nop
	s_delay_alu instid0(TRANS32_DEP_1) | instskip(NEXT) | instid1(VALU_DEP_1)
	v_fma_f32 v104, -v94, v103, 1.0
	v_fmac_f32_e32 v103, v104, v103
	s_delay_alu instid0(VALU_DEP_1) | instskip(NEXT) | instid1(VALU_DEP_1)
	v_mul_f32_e32 v104, v105, v103
	v_fma_f32 v106, -v94, v104, v105
	s_delay_alu instid0(VALU_DEP_1) | instskip(NEXT) | instid1(VALU_DEP_1)
	v_fmac_f32_e32 v104, v106, v103
	v_fma_f32 v94, -v94, v104, v105
	s_delay_alu instid0(VALU_DEP_1) | instskip(NEXT) | instid1(VALU_DEP_1)
	v_div_fmas_f32 v94, v94, v103, v104
	v_div_fixup_f32 v95, v94, v95, 1.0
	s_delay_alu instid0(VALU_DEP_1)
	v_mul_f32_e32 v94, v97, v95
	v_xor_b32_e32 v95, 0x80000000, v95
.LBB86_847:
	s_and_not1_saveexec_b32 s1, s1
	s_cbranch_execz .LBB86_849
; %bb.848:
	s_delay_alu instid0(VALU_DEP_1) | instskip(SKIP_1) | instid1(VALU_DEP_2)
	v_div_scale_f32 v97, null, v94, v94, v95
	v_div_scale_f32 v105, vcc_lo, v95, v94, v95
	v_rcp_f32_e32 v103, v97
	v_nop
	s_delay_alu instid0(TRANS32_DEP_1) | instskip(NEXT) | instid1(VALU_DEP_1)
	v_fma_f32 v104, -v97, v103, 1.0
	v_fmac_f32_e32 v103, v104, v103
	s_delay_alu instid0(VALU_DEP_1) | instskip(NEXT) | instid1(VALU_DEP_1)
	v_mul_f32_e32 v104, v105, v103
	v_fma_f32 v106, -v97, v104, v105
	s_delay_alu instid0(VALU_DEP_1) | instskip(NEXT) | instid1(VALU_DEP_1)
	v_fmac_f32_e32 v104, v106, v103
	v_fma_f32 v97, -v97, v104, v105
	s_delay_alu instid0(VALU_DEP_1) | instskip(NEXT) | instid1(VALU_DEP_1)
	v_div_fmas_f32 v97, v97, v103, v104
	v_div_fixup_f32 v97, v97, v94, v95
	s_delay_alu instid0(VALU_DEP_1) | instskip(NEXT) | instid1(VALU_DEP_1)
	v_fmac_f32_e32 v94, v95, v97
	v_div_scale_f32 v95, null, v94, v94, 1.0
	s_delay_alu instid0(VALU_DEP_1) | instskip(SKIP_1) | instid1(TRANS32_DEP_1)
	v_rcp_f32_e32 v103, v95
	v_nop
	v_fma_f32 v104, -v95, v103, 1.0
	s_delay_alu instid0(VALU_DEP_1) | instskip(SKIP_1) | instid1(VALU_DEP_1)
	v_fmac_f32_e32 v103, v104, v103
	v_div_scale_f32 v104, vcc_lo, 1.0, v94, 1.0
	v_mul_f32_e32 v105, v104, v103
	s_delay_alu instid0(VALU_DEP_1) | instskip(NEXT) | instid1(VALU_DEP_1)
	v_fma_f32 v106, -v95, v105, v104
	v_fmac_f32_e32 v105, v106, v103
	s_delay_alu instid0(VALU_DEP_1) | instskip(NEXT) | instid1(VALU_DEP_1)
	v_fma_f32 v95, -v95, v105, v104
	v_div_fmas_f32 v95, v95, v103, v105
	s_delay_alu instid0(VALU_DEP_1) | instskip(NEXT) | instid1(VALU_DEP_1)
	v_div_fixup_f32 v94, v95, v94, 1.0
	v_mul_f32_e64 v95, v97, -v94
.LBB86_849:
	s_or_b32 exec_lo, exec_lo, s1
.LBB86_850:
	s_delay_alu instid0(SALU_CYCLE_1) | instskip(NEXT) | instid1(SALU_CYCLE_1)
	s_or_b32 exec_lo, exec_lo, s0
	s_mov_b32 s0, exec_lo
	v_cmpx_ne_u32_e64 v102, v96
	s_xor_b32 s0, exec_lo, s0
	s_cbranch_execz .LBB86_856
; %bb.851:
	s_mov_b32 s1, exec_lo
	v_cmpx_eq_u32_e32 40, v102
	s_cbranch_execz .LBB86_855
; %bb.852:
	v_cmp_ne_u32_e32 vcc_lo, 40, v96
	s_xor_b32 s12, s16, -1
	s_delay_alu instid0(SALU_CYCLE_1) | instskip(NEXT) | instid1(SALU_CYCLE_1)
	s_and_b32 s13, s12, vcc_lo
	s_and_saveexec_b32 s12, s13
	s_cbranch_execz .LBB86_854
; %bb.853:
	v_ashrrev_i32_e32 v97, 31, v96
	s_delay_alu instid0(VALU_DEP_1)
	v_lshl_add_u64 v[102:103], v[96:97], 2, v[4:5]
	s_clause 0x1
	global_load_b32 v97, v[102:103], off
	global_load_b32 v101, v[4:5], off offset:160
	s_wait_loadcnt 0x1
	global_store_b32 v[4:5], v97, off offset:160
	s_wait_loadcnt 0x0
	global_store_b32 v[102:103], v101, off
.LBB86_854:
	s_wait_xcnt 0x0
	s_or_b32 exec_lo, exec_lo, s12
	v_dual_mov_b32 v102, v96 :: v_dual_mov_b32 v101, v96
.LBB86_855:
	s_or_b32 exec_lo, exec_lo, s1
.LBB86_856:
	s_and_not1_saveexec_b32 s0, s0
	s_cbranch_execz .LBB86_858
; %bb.857:
	v_mov_b32_e32 v102, 40
	ds_store_2addr_b64 v98, v[20:21], v[16:17] offset0:41 offset1:42
	ds_store_b64 v98, v[92:93] offset:344
.LBB86_858:
	s_or_b32 exec_lo, exec_lo, s0
	s_delay_alu instid0(SALU_CYCLE_1)
	s_mov_b32 s0, exec_lo
	s_wait_storecnt_dscnt 0x0
	s_barrier_signal -1
	s_barrier_wait -1
	v_cmpx_lt_i32_e32 40, v102
	s_cbranch_execz .LBB86_860
; %bb.859:
	ds_load_2addr_b64 v[104:107], v98 offset0:41 offset1:42
	ds_load_b64 v[96:97], v98 offset:344
	v_pk_mul_f32 v[108:109], v[94:95], v[28:29] op_sel:[1,1] op_sel_hi:[0,1]
	s_delay_alu instid0(VALU_DEP_1) | instskip(SKIP_2) | instid1(VALU_DEP_2)
	v_pk_fma_f32 v[110:111], v[94:95], v[28:29], v[108:109] op_sel_hi:[1,0,1]
	v_pk_fma_f32 v[28:29], v[94:95], v[28:29], v[108:109] op_sel_hi:[1,0,1] neg_lo:[0,0,1] neg_hi:[0,0,1]
	s_wait_dscnt 0x1
	v_pk_mul_f32 v[94:95], v[104:105], v[110:111] op_sel:[0,1]
	v_pk_mul_f32 v[108:109], v[106:107], v[110:111] op_sel:[0,1]
	s_wait_dscnt 0x0
	v_pk_mul_f32 v[112:113], v[96:97], v[110:111] op_sel:[1,1] op_sel_hi:[0,1]
	s_delay_alu instid0(VALU_DEP_3) | instskip(SKIP_2) | instid1(VALU_DEP_4)
	v_pk_fma_f32 v[114:115], v[104:105], v[28:29], v[94:95] op_sel:[0,0,1] op_sel_hi:[1,1,0] neg_lo:[0,0,1] neg_hi:[0,0,1]
	v_pk_fma_f32 v[94:95], v[104:105], v[28:29], v[94:95] op_sel:[0,0,1] op_sel_hi:[1,0,0]
	v_pk_fma_f32 v[104:105], v[106:107], v[28:29], v[108:109] op_sel:[0,0,1] op_sel_hi:[1,0,0]
	v_pk_fma_f32 v[116:117], v[96:97], v[28:29], v[112:113] op_sel_hi:[1,0,1]
	v_pk_fma_f32 v[106:107], v[106:107], v[28:29], v[108:109] op_sel:[0,0,1] op_sel_hi:[1,1,0] neg_lo:[0,0,1] neg_hi:[0,0,1]
	v_pk_fma_f32 v[96:97], v[96:97], v[28:29], v[112:113] neg_lo:[0,0,1] neg_hi:[0,0,1]
	s_delay_alu instid0(VALU_DEP_4) | instskip(NEXT) | instid1(VALU_DEP_4)
	v_dual_mov_b32 v115, v95 :: v_dual_mov_b32 v107, v105
	v_dual_mov_b32 v97, v117 :: v_dual_mov_b32 v29, v111
	s_delay_alu instid0(VALU_DEP_2) | instskip(NEXT) | instid1(VALU_DEP_3)
	v_pk_add_f32 v[20:21], v[20:21], v[114:115] neg_lo:[0,1] neg_hi:[0,1]
	v_pk_add_f32 v[16:17], v[16:17], v[106:107] neg_lo:[0,1] neg_hi:[0,1]
	s_delay_alu instid0(VALU_DEP_3)
	v_pk_add_f32 v[92:93], v[92:93], v[96:97] neg_lo:[0,1] neg_hi:[0,1]
.LBB86_860:
	s_or_b32 exec_lo, exec_lo, s0
	v_lshl_add_u32 v94, v102, 3, v98
	s_barrier_signal -1
	s_barrier_wait -1
	ds_store_b64 v94, v[20:21]
	s_wait_dscnt 0x0
	s_barrier_signal -1
	s_barrier_wait -1
	ds_load_b64 v[94:95], v98 offset:328
	v_mov_b32_e32 v96, 41
	s_cmp_lt_i32 s18, 43
	s_cbranch_scc1 .LBB86_863
; %bb.861:
	v_add3_u32 v97, v99, 0, 0x150
	v_mov_b32_e32 v96, 41
	s_mov_b32 s0, 42
.LBB86_862:                             ; =>This Inner Loop Header: Depth=1
	ds_load_b64 v[104:105], v97
	s_wait_dscnt 0x1
	v_cmp_gt_f32_e32 vcc_lo, 0, v94
	v_cndmask_b32_e64 v106, v94, -v94, vcc_lo
	v_cmp_gt_f32_e32 vcc_lo, 0, v95
	v_cndmask_b32_e64 v108, v95, -v95, vcc_lo
	s_wait_dscnt 0x0
	v_cmp_gt_f32_e32 vcc_lo, 0, v104
	v_cndmask_b32_e64 v107, v104, -v104, vcc_lo
	v_cmp_gt_f32_e32 vcc_lo, 0, v105
	v_cndmask_b32_e64 v109, v105, -v105, vcc_lo
	s_delay_alu instid0(VALU_DEP_1) | instskip(NEXT) | instid1(VALU_DEP_1)
	v_pk_add_f32 v[106:107], v[106:107], v[108:109]
	v_cmp_lt_f32_e32 vcc_lo, v106, v107
	v_dual_cndmask_b32 v94, v94, v104 :: v_dual_add_nc_u32 v97, 8, v97
	v_cndmask_b32_e32 v95, v95, v105, vcc_lo
	v_cndmask_b32_e64 v96, v96, s0, vcc_lo
	s_add_co_i32 s0, s0, 1
	s_delay_alu instid0(SALU_CYCLE_1)
	s_cmp_lg_u32 s18, s0
	s_cbranch_scc1 .LBB86_862
.LBB86_863:
	s_wait_dscnt 0x0
	v_cmp_eq_f32_e32 vcc_lo, 0, v94
	v_cmp_eq_f32_e64 s0, 0, v95
	s_and_b32 s0, vcc_lo, s0
	s_delay_alu instid0(SALU_CYCLE_1) | instskip(NEXT) | instid1(SALU_CYCLE_1)
	s_and_saveexec_b32 s1, s0
	s_xor_b32 s0, exec_lo, s1
; %bb.864:
	v_cmp_ne_u32_e32 vcc_lo, 0, v100
	v_cndmask_b32_e32 v100, 42, v100, vcc_lo
; %bb.865:
	s_and_not1_saveexec_b32 s0, s0
	s_cbranch_execz .LBB86_871
; %bb.866:
	v_cmp_ngt_f32_e64 s1, |v94|, |v95|
	s_and_saveexec_b32 s12, s1
	s_delay_alu instid0(SALU_CYCLE_1)
	s_xor_b32 s1, exec_lo, s12
	s_cbranch_execz .LBB86_868
; %bb.867:
	v_div_scale_f32 v97, null, v95, v95, v94
	v_div_scale_f32 v105, vcc_lo, v94, v95, v94
	s_delay_alu instid0(VALU_DEP_2) | instskip(SKIP_1) | instid1(TRANS32_DEP_1)
	v_rcp_f32_e32 v103, v97
	v_nop
	v_fma_f32 v104, -v97, v103, 1.0
	s_delay_alu instid0(VALU_DEP_1) | instskip(NEXT) | instid1(VALU_DEP_1)
	v_fmac_f32_e32 v103, v104, v103
	v_mul_f32_e32 v104, v105, v103
	s_delay_alu instid0(VALU_DEP_1) | instskip(NEXT) | instid1(VALU_DEP_1)
	v_fma_f32 v106, -v97, v104, v105
	v_fmac_f32_e32 v104, v106, v103
	s_delay_alu instid0(VALU_DEP_1) | instskip(NEXT) | instid1(VALU_DEP_1)
	v_fma_f32 v97, -v97, v104, v105
	v_div_fmas_f32 v97, v97, v103, v104
	s_delay_alu instid0(VALU_DEP_1) | instskip(NEXT) | instid1(VALU_DEP_1)
	v_div_fixup_f32 v97, v97, v95, v94
	v_fmac_f32_e32 v95, v94, v97
	s_delay_alu instid0(VALU_DEP_1) | instskip(SKIP_1) | instid1(VALU_DEP_2)
	v_div_scale_f32 v94, null, v95, v95, 1.0
	v_div_scale_f32 v105, vcc_lo, 1.0, v95, 1.0
	v_rcp_f32_e32 v103, v94
	v_nop
	s_delay_alu instid0(TRANS32_DEP_1) | instskip(NEXT) | instid1(VALU_DEP_1)
	v_fma_f32 v104, -v94, v103, 1.0
	v_fmac_f32_e32 v103, v104, v103
	s_delay_alu instid0(VALU_DEP_1) | instskip(NEXT) | instid1(VALU_DEP_1)
	v_mul_f32_e32 v104, v105, v103
	v_fma_f32 v106, -v94, v104, v105
	s_delay_alu instid0(VALU_DEP_1) | instskip(NEXT) | instid1(VALU_DEP_1)
	v_fmac_f32_e32 v104, v106, v103
	v_fma_f32 v94, -v94, v104, v105
	s_delay_alu instid0(VALU_DEP_1) | instskip(NEXT) | instid1(VALU_DEP_1)
	v_div_fmas_f32 v94, v94, v103, v104
	v_div_fixup_f32 v95, v94, v95, 1.0
	s_delay_alu instid0(VALU_DEP_1)
	v_mul_f32_e32 v94, v97, v95
	v_xor_b32_e32 v95, 0x80000000, v95
.LBB86_868:
	s_and_not1_saveexec_b32 s1, s1
	s_cbranch_execz .LBB86_870
; %bb.869:
	s_delay_alu instid0(VALU_DEP_1) | instskip(SKIP_1) | instid1(VALU_DEP_2)
	v_div_scale_f32 v97, null, v94, v94, v95
	v_div_scale_f32 v105, vcc_lo, v95, v94, v95
	v_rcp_f32_e32 v103, v97
	v_nop
	s_delay_alu instid0(TRANS32_DEP_1) | instskip(NEXT) | instid1(VALU_DEP_1)
	v_fma_f32 v104, -v97, v103, 1.0
	v_fmac_f32_e32 v103, v104, v103
	s_delay_alu instid0(VALU_DEP_1) | instskip(NEXT) | instid1(VALU_DEP_1)
	v_mul_f32_e32 v104, v105, v103
	v_fma_f32 v106, -v97, v104, v105
	s_delay_alu instid0(VALU_DEP_1) | instskip(NEXT) | instid1(VALU_DEP_1)
	v_fmac_f32_e32 v104, v106, v103
	v_fma_f32 v97, -v97, v104, v105
	s_delay_alu instid0(VALU_DEP_1) | instskip(NEXT) | instid1(VALU_DEP_1)
	v_div_fmas_f32 v97, v97, v103, v104
	v_div_fixup_f32 v97, v97, v94, v95
	s_delay_alu instid0(VALU_DEP_1) | instskip(NEXT) | instid1(VALU_DEP_1)
	v_fmac_f32_e32 v94, v95, v97
	v_div_scale_f32 v95, null, v94, v94, 1.0
	s_delay_alu instid0(VALU_DEP_1) | instskip(SKIP_1) | instid1(TRANS32_DEP_1)
	v_rcp_f32_e32 v103, v95
	v_nop
	v_fma_f32 v104, -v95, v103, 1.0
	s_delay_alu instid0(VALU_DEP_1) | instskip(SKIP_1) | instid1(VALU_DEP_1)
	v_fmac_f32_e32 v103, v104, v103
	v_div_scale_f32 v104, vcc_lo, 1.0, v94, 1.0
	v_mul_f32_e32 v105, v104, v103
	s_delay_alu instid0(VALU_DEP_1) | instskip(NEXT) | instid1(VALU_DEP_1)
	v_fma_f32 v106, -v95, v105, v104
	v_fmac_f32_e32 v105, v106, v103
	s_delay_alu instid0(VALU_DEP_1) | instskip(NEXT) | instid1(VALU_DEP_1)
	v_fma_f32 v95, -v95, v105, v104
	v_div_fmas_f32 v95, v95, v103, v105
	s_delay_alu instid0(VALU_DEP_1) | instskip(NEXT) | instid1(VALU_DEP_1)
	v_div_fixup_f32 v94, v95, v94, 1.0
	v_mul_f32_e64 v95, v97, -v94
.LBB86_870:
	s_or_b32 exec_lo, exec_lo, s1
.LBB86_871:
	s_delay_alu instid0(SALU_CYCLE_1) | instskip(NEXT) | instid1(SALU_CYCLE_1)
	s_or_b32 exec_lo, exec_lo, s0
	s_mov_b32 s0, exec_lo
	v_cmpx_ne_u32_e64 v102, v96
	s_xor_b32 s0, exec_lo, s0
	s_cbranch_execz .LBB86_877
; %bb.872:
	s_mov_b32 s1, exec_lo
	v_cmpx_eq_u32_e32 41, v102
	s_cbranch_execz .LBB86_876
; %bb.873:
	v_cmp_ne_u32_e32 vcc_lo, 41, v96
	s_xor_b32 s12, s16, -1
	s_delay_alu instid0(SALU_CYCLE_1) | instskip(NEXT) | instid1(SALU_CYCLE_1)
	s_and_b32 s13, s12, vcc_lo
	s_and_saveexec_b32 s12, s13
	s_cbranch_execz .LBB86_875
; %bb.874:
	v_ashrrev_i32_e32 v97, 31, v96
	s_delay_alu instid0(VALU_DEP_1)
	v_lshl_add_u64 v[102:103], v[96:97], 2, v[4:5]
	s_clause 0x1
	global_load_b32 v97, v[102:103], off
	global_load_b32 v101, v[4:5], off offset:164
	s_wait_loadcnt 0x1
	global_store_b32 v[4:5], v97, off offset:164
	s_wait_loadcnt 0x0
	global_store_b32 v[102:103], v101, off
.LBB86_875:
	s_wait_xcnt 0x0
	s_or_b32 exec_lo, exec_lo, s12
	v_dual_mov_b32 v102, v96 :: v_dual_mov_b32 v101, v96
.LBB86_876:
	s_or_b32 exec_lo, exec_lo, s1
.LBB86_877:
	s_and_not1_saveexec_b32 s0, s0
; %bb.878:
	v_dual_mov_b32 v96, v16 :: v_dual_mov_b32 v97, v17
	v_mov_b32_e32 v102, 41
	ds_store_2addr_b64 v98, v[96:97], v[92:93] offset0:42 offset1:43
; %bb.879:
	s_or_b32 exec_lo, exec_lo, s0
	s_delay_alu instid0(SALU_CYCLE_1)
	s_mov_b32 s0, exec_lo
	s_wait_storecnt_dscnt 0x0
	s_barrier_signal -1
	s_barrier_wait -1
	v_cmpx_lt_i32_e32 41, v102
	s_cbranch_execz .LBB86_881
; %bb.880:
	ds_load_2addr_b64 v[104:107], v98 offset0:42 offset1:43
	v_pk_mul_f32 v[96:97], v[94:95], v[20:21] op_sel:[1,1] op_sel_hi:[0,1]
	s_delay_alu instid0(VALU_DEP_1) | instskip(SKIP_3) | instid1(VALU_DEP_3)
	v_pk_fma_f32 v[108:109], v[94:95], v[20:21], v[96:97] op_sel_hi:[1,0,1]
	v_pk_fma_f32 v[20:21], v[94:95], v[20:21], v[96:97] op_sel_hi:[1,0,1] neg_lo:[0,0,1] neg_hi:[0,0,1]
	s_wait_dscnt 0x0
	v_dual_mov_b32 v110, v107 :: v_dual_mov_b32 v111, v106
	v_pk_mul_f32 v[94:95], v[104:105], v[108:109] op_sel:[0,1]
	s_delay_alu instid0(VALU_DEP_2) | instskip(NEXT) | instid1(VALU_DEP_2)
	v_pk_mul_f32 v[96:97], v[110:111], v[108:109] op_sel:[0,1]
	v_pk_fma_f32 v[110:111], v[104:105], v[20:21], v[94:95] op_sel:[0,0,1] op_sel_hi:[1,0,0]
	v_pk_fma_f32 v[94:95], v[104:105], v[20:21], v[94:95] op_sel:[0,0,1] op_sel_hi:[1,1,0] neg_lo:[0,0,1] neg_hi:[0,0,1]
	s_delay_alu instid0(VALU_DEP_3) | instskip(SKIP_1) | instid1(VALU_DEP_4)
	v_pk_fma_f32 v[112:113], v[106:107], v[20:21], v[96:97] op_sel_hi:[1,0,1]
	v_pk_fma_f32 v[96:97], v[106:107], v[20:21], v[96:97] neg_lo:[0,0,1] neg_hi:[0,0,1]
	v_dual_mov_b32 v95, v111 :: v_dual_mov_b32 v21, v109
	s_delay_alu instid0(VALU_DEP_3) | instskip(NEXT) | instid1(VALU_DEP_2)
	v_mov_b32_e32 v97, v113
	v_pk_add_f32 v[16:17], v[16:17], v[94:95] neg_lo:[0,1] neg_hi:[0,1]
	s_delay_alu instid0(VALU_DEP_2)
	v_pk_add_f32 v[92:93], v[92:93], v[96:97] neg_lo:[0,1] neg_hi:[0,1]
.LBB86_881:
	s_or_b32 exec_lo, exec_lo, s0
	v_lshl_add_u32 v94, v102, 3, v98
	s_barrier_signal -1
	s_barrier_wait -1
	ds_store_b64 v94, v[16:17]
	s_wait_dscnt 0x0
	s_barrier_signal -1
	s_barrier_wait -1
	ds_load_b64 v[94:95], v98 offset:336
	v_mov_b32_e32 v96, 42
	s_cmp_lt_i32 s18, 44
	s_cbranch_scc1 .LBB86_884
; %bb.882:
	v_add3_u32 v97, v99, 0, 0x158
	v_mov_b32_e32 v96, 42
	s_mov_b32 s0, 43
.LBB86_883:                             ; =>This Inner Loop Header: Depth=1
	ds_load_b64 v[104:105], v97
	s_wait_dscnt 0x1
	v_cmp_gt_f32_e32 vcc_lo, 0, v94
	v_cndmask_b32_e64 v106, v94, -v94, vcc_lo
	v_cmp_gt_f32_e32 vcc_lo, 0, v95
	v_cndmask_b32_e64 v108, v95, -v95, vcc_lo
	s_wait_dscnt 0x0
	v_cmp_gt_f32_e32 vcc_lo, 0, v104
	v_cndmask_b32_e64 v107, v104, -v104, vcc_lo
	v_cmp_gt_f32_e32 vcc_lo, 0, v105
	v_cndmask_b32_e64 v109, v105, -v105, vcc_lo
	s_delay_alu instid0(VALU_DEP_1) | instskip(NEXT) | instid1(VALU_DEP_1)
	v_pk_add_f32 v[106:107], v[106:107], v[108:109]
	v_cmp_lt_f32_e32 vcc_lo, v106, v107
	v_dual_cndmask_b32 v94, v94, v104 :: v_dual_add_nc_u32 v97, 8, v97
	v_cndmask_b32_e32 v95, v95, v105, vcc_lo
	v_cndmask_b32_e64 v96, v96, s0, vcc_lo
	s_add_co_i32 s0, s0, 1
	s_delay_alu instid0(SALU_CYCLE_1)
	s_cmp_lg_u32 s18, s0
	s_cbranch_scc1 .LBB86_883
.LBB86_884:
	s_wait_dscnt 0x0
	v_cmp_eq_f32_e32 vcc_lo, 0, v94
	v_cmp_eq_f32_e64 s0, 0, v95
	s_and_b32 s0, vcc_lo, s0
	s_delay_alu instid0(SALU_CYCLE_1) | instskip(NEXT) | instid1(SALU_CYCLE_1)
	s_and_saveexec_b32 s1, s0
	s_xor_b32 s0, exec_lo, s1
; %bb.885:
	v_cmp_ne_u32_e32 vcc_lo, 0, v100
	v_cndmask_b32_e32 v100, 43, v100, vcc_lo
; %bb.886:
	s_and_not1_saveexec_b32 s0, s0
	s_cbranch_execz .LBB86_892
; %bb.887:
	v_cmp_ngt_f32_e64 s1, |v94|, |v95|
	s_and_saveexec_b32 s12, s1
	s_delay_alu instid0(SALU_CYCLE_1)
	s_xor_b32 s1, exec_lo, s12
	s_cbranch_execz .LBB86_889
; %bb.888:
	v_div_scale_f32 v97, null, v95, v95, v94
	v_div_scale_f32 v105, vcc_lo, v94, v95, v94
	s_delay_alu instid0(VALU_DEP_2) | instskip(SKIP_1) | instid1(TRANS32_DEP_1)
	v_rcp_f32_e32 v103, v97
	v_nop
	v_fma_f32 v104, -v97, v103, 1.0
	s_delay_alu instid0(VALU_DEP_1) | instskip(NEXT) | instid1(VALU_DEP_1)
	v_fmac_f32_e32 v103, v104, v103
	v_mul_f32_e32 v104, v105, v103
	s_delay_alu instid0(VALU_DEP_1) | instskip(NEXT) | instid1(VALU_DEP_1)
	v_fma_f32 v106, -v97, v104, v105
	v_fmac_f32_e32 v104, v106, v103
	s_delay_alu instid0(VALU_DEP_1) | instskip(NEXT) | instid1(VALU_DEP_1)
	v_fma_f32 v97, -v97, v104, v105
	v_div_fmas_f32 v97, v97, v103, v104
	s_delay_alu instid0(VALU_DEP_1) | instskip(NEXT) | instid1(VALU_DEP_1)
	v_div_fixup_f32 v97, v97, v95, v94
	v_fmac_f32_e32 v95, v94, v97
	s_delay_alu instid0(VALU_DEP_1) | instskip(SKIP_1) | instid1(VALU_DEP_2)
	v_div_scale_f32 v94, null, v95, v95, 1.0
	v_div_scale_f32 v105, vcc_lo, 1.0, v95, 1.0
	v_rcp_f32_e32 v103, v94
	v_nop
	s_delay_alu instid0(TRANS32_DEP_1) | instskip(NEXT) | instid1(VALU_DEP_1)
	v_fma_f32 v104, -v94, v103, 1.0
	v_fmac_f32_e32 v103, v104, v103
	s_delay_alu instid0(VALU_DEP_1) | instskip(NEXT) | instid1(VALU_DEP_1)
	v_mul_f32_e32 v104, v105, v103
	v_fma_f32 v106, -v94, v104, v105
	s_delay_alu instid0(VALU_DEP_1) | instskip(NEXT) | instid1(VALU_DEP_1)
	v_fmac_f32_e32 v104, v106, v103
	v_fma_f32 v94, -v94, v104, v105
	s_delay_alu instid0(VALU_DEP_1) | instskip(NEXT) | instid1(VALU_DEP_1)
	v_div_fmas_f32 v94, v94, v103, v104
	v_div_fixup_f32 v95, v94, v95, 1.0
	s_delay_alu instid0(VALU_DEP_1)
	v_mul_f32_e32 v94, v97, v95
	v_xor_b32_e32 v95, 0x80000000, v95
.LBB86_889:
	s_and_not1_saveexec_b32 s1, s1
	s_cbranch_execz .LBB86_891
; %bb.890:
	s_delay_alu instid0(VALU_DEP_1) | instskip(SKIP_1) | instid1(VALU_DEP_2)
	v_div_scale_f32 v97, null, v94, v94, v95
	v_div_scale_f32 v105, vcc_lo, v95, v94, v95
	v_rcp_f32_e32 v103, v97
	v_nop
	s_delay_alu instid0(TRANS32_DEP_1) | instskip(NEXT) | instid1(VALU_DEP_1)
	v_fma_f32 v104, -v97, v103, 1.0
	v_fmac_f32_e32 v103, v104, v103
	s_delay_alu instid0(VALU_DEP_1) | instskip(NEXT) | instid1(VALU_DEP_1)
	v_mul_f32_e32 v104, v105, v103
	v_fma_f32 v106, -v97, v104, v105
	s_delay_alu instid0(VALU_DEP_1) | instskip(NEXT) | instid1(VALU_DEP_1)
	v_fmac_f32_e32 v104, v106, v103
	v_fma_f32 v97, -v97, v104, v105
	s_delay_alu instid0(VALU_DEP_1) | instskip(NEXT) | instid1(VALU_DEP_1)
	v_div_fmas_f32 v97, v97, v103, v104
	v_div_fixup_f32 v97, v97, v94, v95
	s_delay_alu instid0(VALU_DEP_1) | instskip(NEXT) | instid1(VALU_DEP_1)
	v_fmac_f32_e32 v94, v95, v97
	v_div_scale_f32 v95, null, v94, v94, 1.0
	s_delay_alu instid0(VALU_DEP_1) | instskip(SKIP_1) | instid1(TRANS32_DEP_1)
	v_rcp_f32_e32 v103, v95
	v_nop
	v_fma_f32 v104, -v95, v103, 1.0
	s_delay_alu instid0(VALU_DEP_1) | instskip(SKIP_1) | instid1(VALU_DEP_1)
	v_fmac_f32_e32 v103, v104, v103
	v_div_scale_f32 v104, vcc_lo, 1.0, v94, 1.0
	v_mul_f32_e32 v105, v104, v103
	s_delay_alu instid0(VALU_DEP_1) | instskip(NEXT) | instid1(VALU_DEP_1)
	v_fma_f32 v106, -v95, v105, v104
	v_fmac_f32_e32 v105, v106, v103
	s_delay_alu instid0(VALU_DEP_1) | instskip(NEXT) | instid1(VALU_DEP_1)
	v_fma_f32 v95, -v95, v105, v104
	v_div_fmas_f32 v95, v95, v103, v105
	s_delay_alu instid0(VALU_DEP_1) | instskip(NEXT) | instid1(VALU_DEP_1)
	v_div_fixup_f32 v94, v95, v94, 1.0
	v_mul_f32_e64 v95, v97, -v94
.LBB86_891:
	s_or_b32 exec_lo, exec_lo, s1
.LBB86_892:
	s_delay_alu instid0(SALU_CYCLE_1) | instskip(NEXT) | instid1(SALU_CYCLE_1)
	s_or_b32 exec_lo, exec_lo, s0
	s_mov_b32 s0, exec_lo
	v_cmpx_ne_u32_e64 v102, v96
	s_xor_b32 s0, exec_lo, s0
	s_cbranch_execz .LBB86_898
; %bb.893:
	s_mov_b32 s1, exec_lo
	v_cmpx_eq_u32_e32 42, v102
	s_cbranch_execz .LBB86_897
; %bb.894:
	v_cmp_ne_u32_e32 vcc_lo, 42, v96
	s_xor_b32 s12, s16, -1
	s_delay_alu instid0(SALU_CYCLE_1) | instskip(NEXT) | instid1(SALU_CYCLE_1)
	s_and_b32 s13, s12, vcc_lo
	s_and_saveexec_b32 s12, s13
	s_cbranch_execz .LBB86_896
; %bb.895:
	v_ashrrev_i32_e32 v97, 31, v96
	s_delay_alu instid0(VALU_DEP_1)
	v_lshl_add_u64 v[102:103], v[96:97], 2, v[4:5]
	s_clause 0x1
	global_load_b32 v97, v[102:103], off
	global_load_b32 v101, v[4:5], off offset:168
	s_wait_loadcnt 0x1
	global_store_b32 v[4:5], v97, off offset:168
	s_wait_loadcnt 0x0
	global_store_b32 v[102:103], v101, off
.LBB86_896:
	s_wait_xcnt 0x0
	s_or_b32 exec_lo, exec_lo, s12
	v_dual_mov_b32 v102, v96 :: v_dual_mov_b32 v101, v96
.LBB86_897:
	s_or_b32 exec_lo, exec_lo, s1
.LBB86_898:
	s_and_not1_saveexec_b32 s0, s0
; %bb.899:
	v_mov_b32_e32 v102, 42
	ds_store_b64 v98, v[92:93] offset:344
; %bb.900:
	s_or_b32 exec_lo, exec_lo, s0
	s_delay_alu instid0(SALU_CYCLE_1)
	s_mov_b32 s0, exec_lo
	s_wait_storecnt_dscnt 0x0
	s_barrier_signal -1
	s_barrier_wait -1
	v_cmpx_lt_i32_e32 42, v102
	s_cbranch_execz .LBB86_902
; %bb.901:
	ds_load_b64 v[96:97], v98 offset:344
	v_pk_mul_f32 v[104:105], v[94:95], v[16:17] op_sel:[1,1] op_sel_hi:[0,1]
	s_delay_alu instid0(VALU_DEP_1) | instskip(SKIP_2) | instid1(VALU_DEP_2)
	v_pk_fma_f32 v[106:107], v[94:95], v[16:17], v[104:105] op_sel_hi:[1,0,1]
	v_pk_fma_f32 v[16:17], v[94:95], v[16:17], v[104:105] op_sel_hi:[1,0,1] neg_lo:[0,0,1] neg_hi:[0,0,1]
	s_wait_dscnt 0x0
	v_pk_mul_f32 v[94:95], v[96:97], v[106:107] op_sel:[1,1] op_sel_hi:[0,1]
	s_delay_alu instid0(VALU_DEP_1) | instskip(SKIP_1) | instid1(VALU_DEP_2)
	v_pk_fma_f32 v[104:105], v[96:97], v[16:17], v[94:95] op_sel_hi:[1,0,1]
	v_pk_fma_f32 v[94:95], v[96:97], v[16:17], v[94:95] neg_lo:[0,0,1] neg_hi:[0,0,1]
	v_dual_mov_b32 v17, v107 :: v_dual_mov_b32 v95, v105
	s_delay_alu instid0(VALU_DEP_1)
	v_pk_add_f32 v[92:93], v[92:93], v[94:95] neg_lo:[0,1] neg_hi:[0,1]
.LBB86_902:
	s_or_b32 exec_lo, exec_lo, s0
	v_lshl_add_u32 v94, v102, 3, v98
	s_barrier_signal -1
	s_barrier_wait -1
	ds_store_b64 v94, v[92:93]
	s_wait_dscnt 0x0
	s_barrier_signal -1
	s_barrier_wait -1
	ds_load_b64 v[94:95], v98 offset:344
	v_mov_b32_e32 v96, 43
	s_cmp_lt_i32 s18, 45
	s_cbranch_scc1 .LBB86_905
; %bb.903:
	v_add3_u32 v97, v99, 0, 0x160
	v_mov_b32_e32 v96, 43
	s_mov_b32 s0, 44
.LBB86_904:                             ; =>This Inner Loop Header: Depth=1
	ds_load_b64 v[98:99], v97
	s_wait_dscnt 0x1
	v_cmp_gt_f32_e32 vcc_lo, 0, v94
	v_cndmask_b32_e64 v104, v94, -v94, vcc_lo
	v_cmp_gt_f32_e32 vcc_lo, 0, v95
	v_cndmask_b32_e64 v106, v95, -v95, vcc_lo
	s_wait_dscnt 0x0
	v_cmp_gt_f32_e32 vcc_lo, 0, v98
	v_cndmask_b32_e64 v105, v98, -v98, vcc_lo
	v_cmp_gt_f32_e32 vcc_lo, 0, v99
	v_cndmask_b32_e64 v107, v99, -v99, vcc_lo
	s_delay_alu instid0(VALU_DEP_1) | instskip(NEXT) | instid1(VALU_DEP_1)
	v_pk_add_f32 v[104:105], v[104:105], v[106:107]
	v_cmp_lt_f32_e32 vcc_lo, v104, v105
	v_dual_add_nc_u32 v97, 8, v97 :: v_dual_cndmask_b32 v95, v95, v99, vcc_lo
	v_cndmask_b32_e32 v94, v94, v98, vcc_lo
	v_cndmask_b32_e64 v96, v96, s0, vcc_lo
	s_add_co_i32 s0, s0, 1
	s_delay_alu instid0(SALU_CYCLE_1)
	s_cmp_lg_u32 s18, s0
	s_cbranch_scc1 .LBB86_904
.LBB86_905:
	s_wait_dscnt 0x0
	v_cmp_eq_f32_e32 vcc_lo, 0, v94
	v_cmp_eq_f32_e64 s0, 0, v95
	s_and_b32 s0, vcc_lo, s0
	s_delay_alu instid0(SALU_CYCLE_1) | instskip(NEXT) | instid1(SALU_CYCLE_1)
	s_and_saveexec_b32 s1, s0
	s_xor_b32 s0, exec_lo, s1
; %bb.906:
	v_cmp_ne_u32_e32 vcc_lo, 0, v100
	v_cndmask_b32_e32 v100, 44, v100, vcc_lo
; %bb.907:
	s_and_not1_saveexec_b32 s0, s0
	s_cbranch_execz .LBB86_913
; %bb.908:
	v_cmp_ngt_f32_e64 s1, |v94|, |v95|
	s_and_saveexec_b32 s12, s1
	s_delay_alu instid0(SALU_CYCLE_1)
	s_xor_b32 s1, exec_lo, s12
	s_cbranch_execz .LBB86_910
; %bb.909:
	v_div_scale_f32 v97, null, v95, v95, v94
	v_div_scale_f32 v103, vcc_lo, v94, v95, v94
	s_delay_alu instid0(VALU_DEP_2) | instskip(SKIP_1) | instid1(TRANS32_DEP_1)
	v_rcp_f32_e32 v98, v97
	v_nop
	v_fma_f32 v99, -v97, v98, 1.0
	s_delay_alu instid0(VALU_DEP_1) | instskip(NEXT) | instid1(VALU_DEP_1)
	v_fmac_f32_e32 v98, v99, v98
	v_mul_f32_e32 v99, v103, v98
	s_delay_alu instid0(VALU_DEP_1) | instskip(NEXT) | instid1(VALU_DEP_1)
	v_fma_f32 v104, -v97, v99, v103
	v_fmac_f32_e32 v99, v104, v98
	s_delay_alu instid0(VALU_DEP_1) | instskip(NEXT) | instid1(VALU_DEP_1)
	v_fma_f32 v97, -v97, v99, v103
	v_div_fmas_f32 v97, v97, v98, v99
	s_delay_alu instid0(VALU_DEP_1) | instskip(NEXT) | instid1(VALU_DEP_1)
	v_div_fixup_f32 v97, v97, v95, v94
	v_fmac_f32_e32 v95, v94, v97
	s_delay_alu instid0(VALU_DEP_1) | instskip(SKIP_1) | instid1(VALU_DEP_2)
	v_div_scale_f32 v94, null, v95, v95, 1.0
	v_div_scale_f32 v103, vcc_lo, 1.0, v95, 1.0
	v_rcp_f32_e32 v98, v94
	v_nop
	s_delay_alu instid0(TRANS32_DEP_1) | instskip(NEXT) | instid1(VALU_DEP_1)
	v_fma_f32 v99, -v94, v98, 1.0
	v_fmac_f32_e32 v98, v99, v98
	s_delay_alu instid0(VALU_DEP_1) | instskip(NEXT) | instid1(VALU_DEP_1)
	v_mul_f32_e32 v99, v103, v98
	v_fma_f32 v104, -v94, v99, v103
	s_delay_alu instid0(VALU_DEP_1) | instskip(NEXT) | instid1(VALU_DEP_1)
	v_fmac_f32_e32 v99, v104, v98
	v_fma_f32 v94, -v94, v99, v103
	s_delay_alu instid0(VALU_DEP_1) | instskip(NEXT) | instid1(VALU_DEP_1)
	v_div_fmas_f32 v94, v94, v98, v99
	v_div_fixup_f32 v95, v94, v95, 1.0
	s_delay_alu instid0(VALU_DEP_1)
	v_mul_f32_e32 v94, v97, v95
	v_xor_b32_e32 v95, 0x80000000, v95
.LBB86_910:
	s_and_not1_saveexec_b32 s1, s1
	s_cbranch_execz .LBB86_912
; %bb.911:
	s_delay_alu instid0(VALU_DEP_1) | instskip(SKIP_1) | instid1(VALU_DEP_2)
	v_div_scale_f32 v97, null, v94, v94, v95
	v_div_scale_f32 v103, vcc_lo, v95, v94, v95
	v_rcp_f32_e32 v98, v97
	v_nop
	s_delay_alu instid0(TRANS32_DEP_1) | instskip(NEXT) | instid1(VALU_DEP_1)
	v_fma_f32 v99, -v97, v98, 1.0
	v_fmac_f32_e32 v98, v99, v98
	s_delay_alu instid0(VALU_DEP_1) | instskip(NEXT) | instid1(VALU_DEP_1)
	v_mul_f32_e32 v99, v103, v98
	v_fma_f32 v104, -v97, v99, v103
	s_delay_alu instid0(VALU_DEP_1) | instskip(NEXT) | instid1(VALU_DEP_1)
	v_fmac_f32_e32 v99, v104, v98
	v_fma_f32 v97, -v97, v99, v103
	s_delay_alu instid0(VALU_DEP_1) | instskip(NEXT) | instid1(VALU_DEP_1)
	v_div_fmas_f32 v97, v97, v98, v99
	v_div_fixup_f32 v97, v97, v94, v95
	s_delay_alu instid0(VALU_DEP_1) | instskip(NEXT) | instid1(VALU_DEP_1)
	v_fmac_f32_e32 v94, v95, v97
	v_div_scale_f32 v95, null, v94, v94, 1.0
	s_delay_alu instid0(VALU_DEP_1) | instskip(SKIP_1) | instid1(TRANS32_DEP_1)
	v_rcp_f32_e32 v98, v95
	v_nop
	v_fma_f32 v99, -v95, v98, 1.0
	s_delay_alu instid0(VALU_DEP_1) | instskip(SKIP_1) | instid1(VALU_DEP_1)
	v_fmac_f32_e32 v98, v99, v98
	v_div_scale_f32 v99, vcc_lo, 1.0, v94, 1.0
	v_mul_f32_e32 v103, v99, v98
	s_delay_alu instid0(VALU_DEP_1) | instskip(NEXT) | instid1(VALU_DEP_1)
	v_fma_f32 v104, -v95, v103, v99
	v_fmac_f32_e32 v103, v104, v98
	s_delay_alu instid0(VALU_DEP_1) | instskip(NEXT) | instid1(VALU_DEP_1)
	v_fma_f32 v95, -v95, v103, v99
	v_div_fmas_f32 v95, v95, v98, v103
	s_delay_alu instid0(VALU_DEP_1) | instskip(NEXT) | instid1(VALU_DEP_1)
	v_div_fixup_f32 v94, v95, v94, 1.0
	v_mul_f32_e64 v95, v97, -v94
.LBB86_912:
	s_or_b32 exec_lo, exec_lo, s1
.LBB86_913:
	s_delay_alu instid0(SALU_CYCLE_1)
	s_or_b32 exec_lo, exec_lo, s0
	v_mov_b32_e32 v98, 43
	s_mov_b32 s0, exec_lo
	v_cmpx_ne_u32_e64 v102, v96
	s_cbranch_execz .LBB86_919
; %bb.914:
	s_mov_b32 s1, exec_lo
	v_cmpx_eq_u32_e32 43, v102
	s_cbranch_execz .LBB86_918
; %bb.915:
	v_cmp_ne_u32_e32 vcc_lo, 43, v96
	s_xor_b32 s12, s16, -1
	s_delay_alu instid0(SALU_CYCLE_1) | instskip(NEXT) | instid1(SALU_CYCLE_1)
	s_and_b32 s13, s12, vcc_lo
	s_and_saveexec_b32 s12, s13
	s_cbranch_execz .LBB86_917
; %bb.916:
	v_ashrrev_i32_e32 v97, 31, v96
	s_delay_alu instid0(VALU_DEP_1)
	v_lshl_add_u64 v[98:99], v[96:97], 2, v[4:5]
	s_clause 0x1
	global_load_b32 v97, v[98:99], off
	global_load_b32 v101, v[4:5], off offset:172
	s_wait_loadcnt 0x1
	global_store_b32 v[4:5], v97, off offset:172
	s_wait_loadcnt 0x0
	global_store_b32 v[98:99], v101, off
.LBB86_917:
	s_wait_xcnt 0x0
	s_or_b32 exec_lo, exec_lo, s12
	v_dual_mov_b32 v102, v96 :: v_dual_mov_b32 v101, v96
.LBB86_918:
	s_or_b32 exec_lo, exec_lo, s1
	s_delay_alu instid0(VALU_DEP_1)
	v_mov_b32_e32 v98, v102
.LBB86_919:
	s_or_b32 exec_lo, exec_lo, s0
	s_delay_alu instid0(VALU_DEP_1)
	v_ashrrev_i32_e32 v99, 31, v98
	s_mov_b32 s0, exec_lo
	s_wait_storecnt 0x0
	s_barrier_signal -1
	s_barrier_wait -1
	s_barrier_signal -1
	s_barrier_wait -1
	v_cmpx_gt_i32_e32 44, v98
	s_cbranch_execz .LBB86_921
; %bb.920:
	v_mul_u64_e32 v[4:5], s[10:11], v[2:3]
	v_add3_u32 v96, v101, s17, 1
	s_delay_alu instid0(VALU_DEP_2) | instskip(NEXT) | instid1(VALU_DEP_1)
	v_lshl_add_u64 v[4:5], v[4:5], 2, s[6:7]
	v_lshl_add_u64 v[4:5], s[8:9], 2, v[4:5]
	s_delay_alu instid0(VALU_DEP_1)
	v_lshl_add_u64 v[4:5], v[98:99], 2, v[4:5]
	global_store_b32 v[4:5], v96, off
.LBB86_921:
	s_wait_xcnt 0x0
	s_or_b32 exec_lo, exec_lo, s0
	s_delay_alu instid0(SALU_CYCLE_1)
	s_mov_b32 s1, exec_lo
	v_cmpx_eq_u32_e32 0, v98
	s_cbranch_execz .LBB86_924
; %bb.922:
	s_wait_kmcnt 0x0
	v_lshl_add_u64 v[2:3], v[2:3], 2, s[4:5]
	v_cmp_ne_u32_e64 s0, 0, v100
	global_load_b32 v4, v[2:3], off
	s_wait_loadcnt 0x0
	v_cmp_eq_u32_e32 vcc_lo, 0, v4
	s_and_b32 s0, vcc_lo, s0
	s_wait_xcnt 0x0
	s_and_b32 exec_lo, exec_lo, s0
	s_cbranch_execz .LBB86_924
; %bb.923:
	v_add_nc_u32_e32 v4, s17, v100
	global_store_b32 v[2:3], v4, off
.LBB86_924:
	s_wait_xcnt 0x0
	s_or_b32 exec_lo, exec_lo, s1
	v_add3_u32 v4, s2, s2, v98
	v_pk_mul_f32 v[2:3], v[94:95], v[92:93] op_sel:[1,1] op_sel_hi:[0,1]
	v_cmp_lt_i32_e32 vcc_lo, 43, v98
	s_delay_alu instid0(VALU_DEP_3) | instskip(NEXT) | instid1(VALU_DEP_3)
	v_add_nc_u32_e32 v96, s2, v4
	v_pk_fma_f32 v[118:119], v[94:95], v[92:93], v[2:3] op_sel_hi:[1,0,1]
	v_pk_fma_f32 v[2:3], v[94:95], v[92:93], v[2:3] neg_lo:[0,0,1] neg_hi:[0,0,1]
	v_lshl_add_u64 v[94:95], v[98:99], 3, v[0:1]
	s_delay_alu instid0(VALU_DEP_3) | instskip(NEXT) | instid1(VALU_DEP_3)
	v_dual_cndmask_b32 v3, v93, v119 :: v_dual_add_nc_u32 v100, s2, v96
	v_cndmask_b32_e32 v2, v92, v2, vcc_lo
	s_delay_alu instid0(VALU_DEP_3) | instskip(NEXT) | instid1(VALU_DEP_3)
	v_lshl_add_u64 v[92:93], s[2:3], 3, v[94:95]
	v_add_nc_u32_e32 v102, s2, v100
	s_delay_alu instid0(VALU_DEP_1) | instskip(NEXT) | instid1(VALU_DEP_1)
	v_add_nc_u32_e32 v104, s2, v102
	v_add_nc_u32_e32 v106, s2, v104
	s_delay_alu instid0(VALU_DEP_1) | instskip(NEXT) | instid1(VALU_DEP_1)
	v_add_nc_u32_e32 v108, s2, v106
	;; [unrolled: 3-line block ×3, first 2 shown]
	v_dual_ashrrev_i32 v103, 31, v102 :: v_dual_add_nc_u32 v114, s2, v112
	s_delay_alu instid0(VALU_DEP_1) | instskip(SKIP_1) | instid1(VALU_DEP_2)
	v_dual_add_nc_u32 v116, s2, v114 :: v_dual_ashrrev_i32 v101, 31, v100
	v_ashrrev_i32_e32 v107, 31, v106
	v_dual_ashrrev_i32 v115, 31, v114 :: v_dual_add_nc_u32 v118, s2, v116
	s_delay_alu instid0(VALU_DEP_1) | instskip(SKIP_2) | instid1(VALU_DEP_2)
	v_dual_ashrrev_i32 v109, 31, v108 :: v_dual_ashrrev_i32 v119, 31, v118
	v_dual_add_nc_u32 v98, s2, v118 :: v_dual_ashrrev_i32 v5, 31, v4
	v_dual_ashrrev_i32 v105, 31, v104 :: v_dual_ashrrev_i32 v111, 31, v110
	v_dual_ashrrev_i32 v113, 31, v112 :: v_dual_ashrrev_i32 v99, 31, v98
	v_add_nc_u32_e32 v120, s2, v98
	s_delay_alu instid0(VALU_DEP_4)
	v_lshl_add_u64 v[4:5], v[4:5], 3, v[0:1]
	s_clause 0x2
	global_store_b64 v[94:95], v[88:89], off
	global_store_b64 v[92:93], v[90:91], off
	;; [unrolled: 1-line block ×3, first 2 shown]
	s_wait_xcnt 0x0
	v_add_nc_u32_e32 v4, s2, v120
	v_lshl_add_u64 v[90:91], v[100:101], 3, v[0:1]
	v_lshl_add_u64 v[92:93], v[102:103], 3, v[0:1]
	;; [unrolled: 1-line block ×3, first 2 shown]
	s_delay_alu instid0(VALU_DEP_4) | instskip(SKIP_1) | instid1(VALU_DEP_1)
	v_add_nc_u32_e32 v86, s2, v4
	v_ashrrev_i32_e32 v97, 31, v96
	v_lshl_add_u64 v[88:89], v[96:97], 3, v[0:1]
	s_delay_alu instid0(VALU_DEP_3)
	v_add_nc_u32_e32 v96, s2, v86
	s_clause 0x3
	global_store_b64 v[88:89], v[84:85], off
	global_store_b64 v[90:91], v[58:59], off
	;; [unrolled: 1-line block ×4, first 2 shown]
	s_wait_xcnt 0x1
	v_add_nc_u32_e32 v50, s2, v96
	v_lshl_add_u64 v[58:59], v[106:107], 3, v[0:1]
	v_lshl_add_u64 v[84:85], v[108:109], 3, v[0:1]
	;; [unrolled: 1-line block ×4, first 2 shown]
	s_wait_xcnt 0x0
	v_add_nc_u32_e32 v56, s2, v50
	s_clause 0x3
	global_store_b64 v[58:59], v[14:15], off
	global_store_b64 v[84:85], v[64:65], off
	;; [unrolled: 1-line block ×4, first 2 shown]
	v_dual_ashrrev_i32 v117, 31, v116 :: v_dual_ashrrev_i32 v87, 31, v86
	s_wait_xcnt 0x1
	v_lshl_add_u64 v[60:61], v[114:115], 3, v[0:1]
	v_add_nc_u32_e32 v92, s2, v56
	v_lshl_add_u64 v[64:65], v[118:119], 3, v[0:1]
	s_wait_xcnt 0x0
	v_lshl_add_u64 v[62:63], v[116:117], 3, v[0:1]
	v_lshl_add_u64 v[84:85], v[98:99], 3, v[0:1]
	s_clause 0x3
	global_store_b64 v[60:61], v[18:19], off
	global_store_b64 v[62:63], v[82:83], off
	;; [unrolled: 1-line block ×4, first 2 shown]
	v_add_nc_u32_e32 v14, s2, v92
	v_ashrrev_i32_e32 v97, 31, v96
	s_wait_xcnt 0x1
	v_lshl_add_u64 v[64:65], v[86:87], 3, v[0:1]
	v_dual_ashrrev_i32 v57, 31, v56 :: v_dual_ashrrev_i32 v51, 31, v50
	v_add_nc_u32_e32 v58, s2, v14
	v_lshl_add_u64 v[78:79], v[96:97], 3, v[0:1]
	s_delay_alu instid0(VALU_DEP_3) | instskip(NEXT) | instid1(VALU_DEP_4)
	v_lshl_add_u64 v[56:57], v[56:57], 3, v[0:1]
	v_lshl_add_u64 v[50:51], v[50:51], 3, v[0:1]
	s_delay_alu instid0(VALU_DEP_4) | instskip(SKIP_1) | instid1(VALU_DEP_2)
	v_dual_add_nc_u32 v88, s2, v58 :: v_dual_ashrrev_i32 v5, 31, v4
	v_ashrrev_i32_e32 v15, 31, v14
	v_dual_ashrrev_i32 v59, 31, v58 :: v_dual_add_nc_u32 v18, s2, v88
	v_ashrrev_i32_e32 v121, 31, v120
	s_delay_alu instid0(VALU_DEP_4) | instskip(NEXT) | instid1(VALU_DEP_4)
	v_lshl_add_u64 v[4:5], v[4:5], 3, v[0:1]
	v_lshl_add_u64 v[14:15], v[14:15], 3, v[0:1]
	s_delay_alu instid0(VALU_DEP_4) | instskip(NEXT) | instid1(VALU_DEP_4)
	v_dual_ashrrev_i32 v89, 31, v88 :: v_dual_add_nc_u32 v60, s2, v18
	v_lshl_add_u64 v[62:63], v[120:121], 3, v[0:1]
	s_clause 0x3
	global_store_b64 v[62:63], v[26:27], off
	global_store_b64 v[4:5], v[76:77], off
	;; [unrolled: 1-line block ×4, first 2 shown]
	s_wait_xcnt 0x4
	v_dual_add_nc_u32 v80, s2, v60 :: v_dual_ashrrev_i32 v19, 31, v18
	v_ashrrev_i32_e32 v61, 31, v60
	s_wait_xcnt 0x2
	s_delay_alu instid0(VALU_DEP_2) | instskip(NEXT) | instid1(VALU_DEP_3)
	v_add_nc_u32_e32 v4, s2, v80
	v_lshl_add_u64 v[18:19], v[18:19], 3, v[0:1]
	s_delay_alu instid0(VALU_DEP_2) | instskip(NEXT) | instid1(VALU_DEP_1)
	v_dual_add_nc_u32 v26, s2, v4 :: v_dual_ashrrev_i32 v5, 31, v4
	v_dual_ashrrev_i32 v93, 31, v92 :: v_dual_ashrrev_i32 v27, 31, v26
	s_wait_xcnt 0x1
	v_add_nc_u32_e32 v64, s2, v26
	s_delay_alu instid0(VALU_DEP_2)
	v_lshl_add_u64 v[62:63], v[92:93], 3, v[0:1]
	s_clause 0x3
	global_store_b64 v[50:51], v[24:25], off
	global_store_b64 v[56:57], v[70:71], off
	global_store_b64 v[62:63], v[66:67], off
	global_store_b64 v[14:15], v[68:69], off
	s_wait_xcnt 0x0
	v_dual_add_nc_u32 v14, s2, v64 :: v_dual_ashrrev_i32 v65, 31, v64
	v_lshl_add_u64 v[50:51], v[58:59], 3, v[0:1]
	v_lshl_add_u64 v[58:59], v[60:61], 3, v[0:1]
	;; [unrolled: 1-line block ×3, first 2 shown]
	s_delay_alu instid0(VALU_DEP_4)
	v_add_nc_u32_e32 v24, s2, v14
	s_clause 0x3
	global_store_b64 v[50:51], v[22:23], off
	global_store_b64 v[56:57], v[54:55], off
	;; [unrolled: 1-line block ×4, first 2 shown]
	v_dual_ashrrev_i32 v81, 31, v80 :: v_dual_ashrrev_i32 v15, 31, v14
	v_add_nc_u32_e32 v60, s2, v24
	v_lshl_add_u64 v[4:5], v[4:5], 3, v[0:1]
	v_lshl_add_u64 v[26:27], v[26:27], 3, v[0:1]
	s_wait_xcnt 0x1
	v_lshl_add_u64 v[48:49], v[80:81], 3, v[0:1]
	v_lshl_add_u64 v[50:51], v[64:65], 3, v[0:1]
	v_add_nc_u32_e32 v18, s2, v60
	s_clause 0x3
	global_store_b64 v[48:49], v[12:13], off
	global_store_b64 v[4:5], v[46:47], off
	;; [unrolled: 1-line block ×4, first 2 shown]
	v_lshl_add_u64 v[14:15], v[14:15], 3, v[0:1]
	v_dual_add_nc_u32 v22, s2, v18 :: v_dual_ashrrev_i32 v19, 31, v18
	s_wait_xcnt 0x4
	s_delay_alu instid0(VALU_DEP_1) | instskip(SKIP_1) | instid1(VALU_DEP_3)
	v_dual_add_nc_u32 v52, s2, v22 :: v_dual_ashrrev_i32 v61, 31, v60
	v_ashrrev_i32_e32 v23, 31, v22
	v_lshl_add_u64 v[18:19], v[18:19], 3, v[0:1]
	s_wait_xcnt 0x2
	s_delay_alu instid0(VALU_DEP_3) | instskip(SKIP_2) | instid1(VALU_DEP_2)
	v_add_nc_u32_e32 v4, s2, v52
	s_wait_xcnt 0x1
	v_lshl_add_u64 v[26:27], v[60:61], 3, v[0:1]
	v_dual_add_nc_u32 v12, s2, v4 :: v_dual_ashrrev_i32 v5, 31, v4
	s_delay_alu instid0(VALU_DEP_1) | instskip(SKIP_1) | instid1(VALU_DEP_3)
	v_dual_add_nc_u32 v42, s2, v12 :: v_dual_ashrrev_i32 v13, 31, v12
	v_ashrrev_i32_e32 v25, 31, v24
	v_lshl_add_u64 v[4:5], v[4:5], 3, v[0:1]
	s_delay_alu instid0(VALU_DEP_3) | instskip(NEXT) | instid1(VALU_DEP_4)
	v_ashrrev_i32_e32 v43, 31, v42
	v_lshl_add_u64 v[12:13], v[12:13], 3, v[0:1]
	s_delay_alu instid0(VALU_DEP_4)
	v_lshl_add_u64 v[24:25], v[24:25], 3, v[0:1]
	s_clause 0x3
	global_store_b64 v[14:15], v[10:11], off
	global_store_b64 v[24:25], v[40:41], off
	;; [unrolled: 1-line block ×4, first 2 shown]
	s_wait_xcnt 0x3
	v_dual_add_nc_u32 v10, s2, v42 :: v_dual_ashrrev_i32 v53, 31, v52
	s_wait_xcnt 0x0
	v_lshl_add_u64 v[18:19], v[22:23], 3, v[0:1]
	s_delay_alu instid0(VALU_DEP_2) | instskip(NEXT) | instid1(VALU_DEP_3)
	v_add_nc_u32_e32 v14, s2, v10
	v_lshl_add_u64 v[22:23], v[52:53], 3, v[0:1]
	s_clause 0x3
	global_store_b64 v[18:19], v[6:7], off
	global_store_b64 v[22:23], v[34:35], off
	;; [unrolled: 1-line block ×4, first 2 shown]
	v_dual_add_nc_u32 v24, s2, v14 :: v_dual_ashrrev_i32 v15, 31, v14
	v_ashrrev_i32_e32 v11, 31, v10
	s_wait_xcnt 0x3
	v_lshl_add_u64 v[6:7], v[42:43], 3, v[0:1]
	s_wait_xcnt 0x1
	v_dual_add_nc_u32 v4, s2, v24 :: v_dual_ashrrev_i32 v25, 31, v24
	v_lshl_add_u64 v[10:11], v[10:11], 3, v[0:1]
	s_wait_xcnt 0x0
	v_lshl_add_u64 v[12:13], v[14:15], 3, v[0:1]
	s_delay_alu instid0(VALU_DEP_3) | instskip(SKIP_1) | instid1(VALU_DEP_2)
	v_ashrrev_i32_e32 v5, 31, v4
	v_lshl_add_u64 v[14:15], v[24:25], 3, v[0:1]
	v_lshl_add_u64 v[0:1], v[4:5], 3, v[0:1]
	s_clause 0x4
	global_store_b64 v[6:7], v[8:9], off
	global_store_b64 v[10:11], v[28:29], off
	;; [unrolled: 1-line block ×5, first 2 shown]
.LBB86_925:
	s_sendmsg sendmsg(MSG_DEALLOC_VGPRS)
	s_endpgm
	.section	.rodata,"a",@progbits
	.p2align	6, 0x0
	.amdhsa_kernel _ZN9rocsolver6v33100L18getf2_small_kernelILi44E19rocblas_complex_numIfEiiPS3_EEvT1_T3_lS5_lPS5_llPT2_S5_S5_S7_l
		.amdhsa_group_segment_fixed_size 0
		.amdhsa_private_segment_fixed_size 0
		.amdhsa_kernarg_size 352
		.amdhsa_user_sgpr_count 2
		.amdhsa_user_sgpr_dispatch_ptr 0
		.amdhsa_user_sgpr_queue_ptr 0
		.amdhsa_user_sgpr_kernarg_segment_ptr 1
		.amdhsa_user_sgpr_dispatch_id 0
		.amdhsa_user_sgpr_kernarg_preload_length 0
		.amdhsa_user_sgpr_kernarg_preload_offset 0
		.amdhsa_user_sgpr_private_segment_size 0
		.amdhsa_wavefront_size32 1
		.amdhsa_uses_dynamic_stack 0
		.amdhsa_enable_private_segment 0
		.amdhsa_system_sgpr_workgroup_id_x 1
		.amdhsa_system_sgpr_workgroup_id_y 1
		.amdhsa_system_sgpr_workgroup_id_z 0
		.amdhsa_system_sgpr_workgroup_info 0
		.amdhsa_system_vgpr_workitem_id 1
		.amdhsa_next_free_vgpr 128
		.amdhsa_next_free_sgpr 19
		.amdhsa_named_barrier_count 0
		.amdhsa_reserve_vcc 1
		.amdhsa_float_round_mode_32 0
		.amdhsa_float_round_mode_16_64 0
		.amdhsa_float_denorm_mode_32 3
		.amdhsa_float_denorm_mode_16_64 3
		.amdhsa_fp16_overflow 0
		.amdhsa_memory_ordered 1
		.amdhsa_forward_progress 1
		.amdhsa_inst_pref_size 255
		.amdhsa_round_robin_scheduling 0
		.amdhsa_exception_fp_ieee_invalid_op 0
		.amdhsa_exception_fp_denorm_src 0
		.amdhsa_exception_fp_ieee_div_zero 0
		.amdhsa_exception_fp_ieee_overflow 0
		.amdhsa_exception_fp_ieee_underflow 0
		.amdhsa_exception_fp_ieee_inexact 0
		.amdhsa_exception_int_div_zero 0
	.end_amdhsa_kernel
	.section	.text._ZN9rocsolver6v33100L18getf2_small_kernelILi44E19rocblas_complex_numIfEiiPS3_EEvT1_T3_lS5_lPS5_llPT2_S5_S5_S7_l,"axG",@progbits,_ZN9rocsolver6v33100L18getf2_small_kernelILi44E19rocblas_complex_numIfEiiPS3_EEvT1_T3_lS5_lPS5_llPT2_S5_S5_S7_l,comdat
.Lfunc_end86:
	.size	_ZN9rocsolver6v33100L18getf2_small_kernelILi44E19rocblas_complex_numIfEiiPS3_EEvT1_T3_lS5_lPS5_llPT2_S5_S5_S7_l, .Lfunc_end86-_ZN9rocsolver6v33100L18getf2_small_kernelILi44E19rocblas_complex_numIfEiiPS3_EEvT1_T3_lS5_lPS5_llPT2_S5_S5_S7_l
                                        ; -- End function
	.set _ZN9rocsolver6v33100L18getf2_small_kernelILi44E19rocblas_complex_numIfEiiPS3_EEvT1_T3_lS5_lPS5_llPT2_S5_S5_S7_l.num_vgpr, 128
	.set _ZN9rocsolver6v33100L18getf2_small_kernelILi44E19rocblas_complex_numIfEiiPS3_EEvT1_T3_lS5_lPS5_llPT2_S5_S5_S7_l.num_agpr, 0
	.set _ZN9rocsolver6v33100L18getf2_small_kernelILi44E19rocblas_complex_numIfEiiPS3_EEvT1_T3_lS5_lPS5_llPT2_S5_S5_S7_l.numbered_sgpr, 19
	.set _ZN9rocsolver6v33100L18getf2_small_kernelILi44E19rocblas_complex_numIfEiiPS3_EEvT1_T3_lS5_lPS5_llPT2_S5_S5_S7_l.num_named_barrier, 0
	.set _ZN9rocsolver6v33100L18getf2_small_kernelILi44E19rocblas_complex_numIfEiiPS3_EEvT1_T3_lS5_lPS5_llPT2_S5_S5_S7_l.private_seg_size, 0
	.set _ZN9rocsolver6v33100L18getf2_small_kernelILi44E19rocblas_complex_numIfEiiPS3_EEvT1_T3_lS5_lPS5_llPT2_S5_S5_S7_l.uses_vcc, 1
	.set _ZN9rocsolver6v33100L18getf2_small_kernelILi44E19rocblas_complex_numIfEiiPS3_EEvT1_T3_lS5_lPS5_llPT2_S5_S5_S7_l.uses_flat_scratch, 0
	.set _ZN9rocsolver6v33100L18getf2_small_kernelILi44E19rocblas_complex_numIfEiiPS3_EEvT1_T3_lS5_lPS5_llPT2_S5_S5_S7_l.has_dyn_sized_stack, 0
	.set _ZN9rocsolver6v33100L18getf2_small_kernelILi44E19rocblas_complex_numIfEiiPS3_EEvT1_T3_lS5_lPS5_llPT2_S5_S5_S7_l.has_recursion, 0
	.set _ZN9rocsolver6v33100L18getf2_small_kernelILi44E19rocblas_complex_numIfEiiPS3_EEvT1_T3_lS5_lPS5_llPT2_S5_S5_S7_l.has_indirect_call, 0
	.section	.AMDGPU.csdata,"",@progbits
; Kernel info:
; codeLenInByte = 99104
; TotalNumSgprs: 21
; NumVgprs: 128
; ScratchSize: 0
; MemoryBound: 0
; FloatMode: 240
; IeeeMode: 1
; LDSByteSize: 0 bytes/workgroup (compile time only)
; SGPRBlocks: 0
; VGPRBlocks: 7
; NumSGPRsForWavesPerEU: 21
; NumVGPRsForWavesPerEU: 128
; NamedBarCnt: 0
; Occupancy: 8
; WaveLimiterHint : 0
; COMPUTE_PGM_RSRC2:SCRATCH_EN: 0
; COMPUTE_PGM_RSRC2:USER_SGPR: 2
; COMPUTE_PGM_RSRC2:TRAP_HANDLER: 0
; COMPUTE_PGM_RSRC2:TGID_X_EN: 1
; COMPUTE_PGM_RSRC2:TGID_Y_EN: 1
; COMPUTE_PGM_RSRC2:TGID_Z_EN: 0
; COMPUTE_PGM_RSRC2:TIDIG_COMP_CNT: 1
	.section	.text._ZN9rocsolver6v33100L23getf2_npvt_small_kernelILi44E19rocblas_complex_numIfEiiPS3_EEvT1_T3_lS5_lPT2_S5_S5_,"axG",@progbits,_ZN9rocsolver6v33100L23getf2_npvt_small_kernelILi44E19rocblas_complex_numIfEiiPS3_EEvT1_T3_lS5_lPT2_S5_S5_,comdat
	.globl	_ZN9rocsolver6v33100L23getf2_npvt_small_kernelILi44E19rocblas_complex_numIfEiiPS3_EEvT1_T3_lS5_lPT2_S5_S5_ ; -- Begin function _ZN9rocsolver6v33100L23getf2_npvt_small_kernelILi44E19rocblas_complex_numIfEiiPS3_EEvT1_T3_lS5_lPT2_S5_S5_
	.p2align	8
	.type	_ZN9rocsolver6v33100L23getf2_npvt_small_kernelILi44E19rocblas_complex_numIfEiiPS3_EEvT1_T3_lS5_lPT2_S5_S5_,@function
_ZN9rocsolver6v33100L23getf2_npvt_small_kernelILi44E19rocblas_complex_numIfEiiPS3_EEvT1_T3_lS5_lPT2_S5_S5_: ; @_ZN9rocsolver6v33100L23getf2_npvt_small_kernelILi44E19rocblas_complex_numIfEiiPS3_EEvT1_T3_lS5_lPT2_S5_S5_
; %bb.0:
	s_clause 0x1
	s_load_u16 s14, s[0:1], 0x46
	s_load_b64 s[2:3], s[0:1], 0x30
	s_bfe_u32 s4, ttmp6, 0x40010
	s_bfe_u32 s5, ttmp6, 0x40004
	s_add_co_i32 s4, s4, 1
	s_getreg_b32 s6, hwreg(HW_REG_IB_STS2, 6, 4)
	s_mul_i32 s4, ttmp7, s4
	v_bfe_u32 v31, v0, 10, 10
	s_add_co_i32 s5, s5, s4
	s_cmp_eq_u32 s6, 0
	s_cselect_b32 s4, ttmp7, s5
	s_wait_kmcnt 0x0
	v_mad_u32 v174, s4, s14, v31
	s_delay_alu instid0(VALU_DEP_1)
	v_cmp_gt_i32_e32 vcc_lo, s2, v174
	s_and_saveexec_b32 s2, vcc_lo
	s_cbranch_execz .LBB87_399
; %bb.1:
	s_clause 0x1
	s_load_b32 s12, s[0:1], 0x18
	s_load_b128 s[8:11], s[0:1], 0x8
	v_and_b32_e32 v30, 0x3ff, v0
	s_load_b128 s[4:7], s[0:1], 0x20
	s_mulk_i32 s14, 0x160
	v_mov_b32_e32 v29, 0
	s_wait_xcnt 0x0
	v_cmp_ne_u32_e64 s1, 0, v30
	v_cmp_eq_u32_e64 s0, 0, v30
	s_wait_kmcnt 0x0
	v_add3_u32 v26, s12, s12, v30
	s_ashr_i32 s13, s12, 31
	s_delay_alu instid0(VALU_DEP_1) | instskip(NEXT) | instid1(VALU_DEP_1)
	v_add_nc_u32_e32 v10, s12, v26
	v_add_nc_u32_e32 v12, s12, v10
	s_delay_alu instid0(VALU_DEP_1) | instskip(NEXT) | instid1(VALU_DEP_1)
	v_add_nc_u32_e32 v18, s12, v12
	v_add_nc_u32_e32 v20, s12, v18
	s_delay_alu instid0(VALU_DEP_1) | instskip(NEXT) | instid1(VALU_DEP_1)
	v_add_nc_u32_e32 v22, s12, v20
	v_dual_ashrrev_i32 v13, 31, v12 :: v_dual_add_nc_u32 v24, s12, v22
	s_delay_alu instid0(VALU_DEP_1) | instskip(NEXT) | instid1(VALU_DEP_1)
	v_dual_add_nc_u32 v14, s12, v24 :: v_dual_ashrrev_i32 v27, 31, v26
	v_dual_ashrrev_i32 v21, 31, v20 :: v_dual_add_nc_u32 v8, s12, v14
	s_delay_alu instid0(VALU_DEP_1) | instskip(SKIP_1) | instid1(VALU_DEP_2)
	v_dual_add_nc_u32 v0, s12, v8 :: v_dual_ashrrev_i32 v175, 31, v174
	v_ashrrev_i32_e32 v25, 31, v24
	v_add_nc_u32_e32 v4, s12, v0
	s_delay_alu instid0(VALU_DEP_3) | instskip(SKIP_1) | instid1(VALU_DEP_3)
	v_mul_u64_e32 v[16:17], s[4:5], v[174:175]
	v_ashrrev_i32_e32 v1, 31, v0
	v_dual_add_nc_u32 v2, s12, v4 :: v_dual_ashrrev_i32 v23, 31, v22
	v_ashrrev_i32_e32 v9, 31, v8
	s_delay_alu instid0(VALU_DEP_2) | instskip(SKIP_1) | instid1(VALU_DEP_2)
	v_dual_ashrrev_i32 v5, 31, v4 :: v_dual_add_nc_u32 v6, s12, v2
	v_ashrrev_i32_e32 v3, 31, v2
	v_add_nc_u32_e32 v32, s12, v6
	v_lshlrev_b32_e32 v28, 3, v30
	s_delay_alu instid0(VALU_DEP_2) | instskip(NEXT) | instid1(VALU_DEP_1)
	v_dual_ashrrev_i32 v7, 31, v6 :: v_dual_add_nc_u32 v34, s12, v32
	v_add_nc_u32_e32 v36, s12, v34
	v_ashrrev_i32_e32 v11, 31, v10
	s_delay_alu instid0(VALU_DEP_2) | instskip(SKIP_2) | instid1(VALU_DEP_3)
	v_dual_ashrrev_i32 v35, 31, v34 :: v_dual_add_nc_u32 v38, s12, v36
	v_ashrrev_i32_e32 v37, 31, v36
	v_lshl_add_u64 v[16:17], v[16:17], 3, s[8:9]
	v_add_nc_u32_e32 v40, s12, v38
	v_ashrrev_i32_e32 v19, 31, v18
	v_ashrrev_i32_e32 v39, 31, v38
	s_delay_alu instid0(VALU_DEP_4) | instskip(NEXT) | instid1(VALU_DEP_1)
	v_lshl_add_u64 v[150:151], s[10:11], 3, v[16:17]
	v_add_nc_u64_e32 v[16:17], v[150:151], v[28:29]
	v_lshl_add_u64 v[28:29], v[12:13], 3, v[150:151]
	v_add_nc_u32_e32 v12, s12, v40
	v_lshl_add_u64 v[42:43], v[10:11], 3, v[150:151]
	v_lshl_add_u64 v[10:11], v[18:19], 3, v[150:151]
	;; [unrolled: 1-line block ×3, first 2 shown]
	s_delay_alu instid0(VALU_DEP_4)
	v_dual_ashrrev_i32 v15, 31, v14 :: v_dual_add_nc_u32 v18, s12, v12
	v_lshl_add_u64 v[22:23], v[22:23], 3, v[150:151]
	s_clause 0x2
	scratch_store_b64 off, v[10:11], off
	scratch_store_b64 off, v[28:29], off offset:32
	scratch_store_b64 off, v[20:21], off offset:8
	s_clause 0x3
	global_load_b64 v[50:51], v[28:29], off
	global_load_b64 v[44:45], v[10:11], off
	;; [unrolled: 1-line block ×4, first 2 shown]
	s_wait_xcnt 0x1
	v_add_nc_u32_e32 v20, s12, v18
	v_lshl_add_u64 v[26:27], v[26:27], 3, v[150:151]
	v_lshl_add_u64 v[24:25], v[24:25], 3, v[150:151]
	;; [unrolled: 1-line block ×4, first 2 shown]
	v_add_nc_u32_e32 v8, s12, v20
	s_clause 0x1
	global_load_b64 v[90:91], v[16:17], off
	global_load_b64 v[76:77], v[24:25], off
	scratch_store_b64 off, v[48:49], off offset:64 ; 8-byte Folded Spill
	s_clause 0x1
	global_load_b64 v[52:53], v[48:49], off
	global_load_b64 v[78:79], v[42:43], off
	s_clause 0x1
	scratch_store_b64 off, v[26:27], off offset:16
	scratch_store_b64 off, v[10:11], off offset:48
	global_load_b64 v[48:49], v[26:27], off
	s_wait_xcnt 0x0
	v_lshl_add_u64 v[26:27], v[0:1], 3, v[150:151]
	v_add_nc_u32_e32 v0, s12, v8
	v_lshl_add_u64 v[14:15], v[14:15], 3, v[150:151]
	scratch_store_b64 off, v[42:43], off offset:24 ; 8-byte Folded Spill
	s_wait_xcnt 0x0
	v_lshl_add_u64 v[42:43], v[4:5], 3, v[150:151]
	v_ashrrev_i32_e32 v13, 31, v12
	v_add_nc_u32_e32 v4, s12, v0
	scratch_store_b64 off, v[14:15], off offset:40 ; 8-byte Folded Spill
	s_clause 0x2
	global_load_b64 v[72:73], v[14:15], off
	global_load_b64 v[74:75], v[10:11], off
	;; [unrolled: 1-line block ×3, first 2 shown]
	s_wait_xcnt 0x1
	v_lshl_add_u64 v[10:11], v[2:3], 3, v[150:151]
	v_add_nc_u32_e32 v2, s12, v4
	v_ashrrev_i32_e32 v33, 31, v32
	v_lshl_add_u64 v[14:15], v[6:7], 3, v[150:151]
	scratch_store_b64 off, v[42:43], off offset:56 ; 8-byte Folded Spill
	s_clause 0x1
	global_load_b64 v[102:103], v[42:43], off
	global_load_b64 v[68:69], v[10:11], off
	v_add_nc_u32_e32 v6, s12, v2
	s_wait_xcnt 0x1
	v_lshl_add_u64 v[42:43], v[12:13], 3, v[150:151]
	v_dual_ashrrev_i32 v41, 31, v40 :: v_dual_ashrrev_i32 v19, 31, v18
	s_delay_alu instid0(VALU_DEP_3) | instskip(SKIP_1) | instid1(VALU_DEP_3)
	v_dual_ashrrev_i32 v1, 31, v0 :: v_dual_add_nc_u32 v96, s12, v6
	v_dual_ashrrev_i32 v3, 31, v2 :: v_dual_ashrrev_i32 v9, 31, v8
	v_lshl_add_u64 v[60:61], v[18:19], 3, v[150:151]
	s_delay_alu instid0(VALU_DEP_3) | instskip(NEXT) | instid1(VALU_DEP_4)
	v_lshl_add_u64 v[66:67], v[0:1], 3, v[150:151]
	v_add_nc_u32_e32 v112, s12, v96
	v_ashrrev_i32_e32 v5, 31, v4
	v_lshl_add_u64 v[64:65], v[8:9], 3, v[150:151]
	v_dual_ashrrev_i32 v21, 31, v20 :: v_dual_ashrrev_i32 v7, 31, v6
	s_delay_alu instid0(VALU_DEP_4) | instskip(NEXT) | instid1(VALU_DEP_4)
	v_add_nc_u32_e32 v12, s12, v112
	v_lshl_add_u64 v[88:89], v[4:5], 3, v[150:151]
	v_lshl_add_u64 v[92:93], v[2:3], 3, v[150:151]
	s_delay_alu instid0(VALU_DEP_4)
	v_lshl_add_u64 v[62:63], v[20:21], 3, v[150:151]
	v_lshl_add_u64 v[94:95], v[6:7], 3, v[150:151]
	v_dual_add_nc_u32 v116, s12, v12 :: v_dual_ashrrev_i32 v13, 31, v12
	v_lshl_add_u64 v[34:35], v[34:35], 3, v[150:151]
	v_lshl_add_u64 v[32:33], v[32:33], 3, v[150:151]
	;; [unrolled: 1-line block ×3, first 2 shown]
	s_delay_alu instid0(VALU_DEP_4)
	v_add_nc_u32_e32 v18, s12, v116
	v_lshl_add_u64 v[114:115], v[12:13], 3, v[150:151]
	v_lshl_add_u64 v[38:39], v[38:39], 3, v[150:151]
	v_lshl_add_u64 v[40:41], v[40:41], 3, v[150:151]
	scratch_store_b64 off, v[14:15], off offset:72 ; 8-byte Folded Spill
	v_add_nc_u32_e32 v0, s12, v18
	s_clause 0xd
	global_load_b64 v[100:101], v[14:15], off
	global_load_b64 v[98:99], v[32:33], off
	;; [unrolled: 1-line block ×14, first 2 shown]
	v_add_nc_u32_e32 v8, s12, v0
	s_delay_alu instid0(VALU_DEP_1) | instskip(NEXT) | instid1(VALU_DEP_1)
	v_add_nc_u32_e32 v4, s12, v8
	v_add_nc_u32_e32 v2, s12, v4
	s_delay_alu instid0(VALU_DEP_1) | instskip(SKIP_2) | instid1(VALU_DEP_3)
	v_dual_ashrrev_i32 v117, 31, v116 :: v_dual_ashrrev_i32 v3, 31, v2
	v_dual_add_nc_u32 v6, s12, v2 :: v_dual_ashrrev_i32 v113, 31, v112
	v_dual_ashrrev_i32 v97, 31, v96 :: v_dual_ashrrev_i32 v19, 31, v18
	v_lshl_add_u64 v[136:137], v[2:3], 3, v[150:151]
	s_delay_alu instid0(VALU_DEP_3) | instskip(NEXT) | instid1(VALU_DEP_3)
	v_dual_add_nc_u32 v20, s12, v6 :: v_dual_ashrrev_i32 v7, 31, v6
	v_lshl_add_u64 v[96:97], v[96:97], 3, v[150:151]
	s_delay_alu instid0(VALU_DEP_4) | instskip(SKIP_1) | instid1(VALU_DEP_4)
	v_lshl_add_u64 v[118:119], v[18:19], 3, v[150:151]
	v_lshl_add_u64 v[112:113], v[112:113], 3, v[150:151]
	v_add_nc_u32_e32 v12, s12, v20
	v_lshl_add_u64 v[138:139], v[6:7], 3, v[150:151]
	v_lshl_add_u64 v[116:117], v[116:117], 3, v[150:151]
	s_clause 0x3
	global_load_b64 v[128:129], v[96:97], off
	global_load_b64 v[124:125], v[112:113], off
	global_load_b64 v[126:127], v[114:115], off
	global_load_b64 v[122:123], v[116:117], off
	v_add_nc_u32_e32 v18, s12, v12
	v_ashrrev_i32_e32 v1, 31, v0
	v_ashrrev_i32_e32 v5, 31, v4
	s_delay_alu instid0(VALU_DEP_3) | instskip(NEXT) | instid1(VALU_DEP_3)
	v_dual_ashrrev_i32 v13, 31, v12 :: v_dual_ashrrev_i32 v19, 31, v18
	v_lshl_add_u64 v[130:131], v[0:1], 3, v[150:151]
	v_add_nc_u32_e32 v0, s12, v18
	s_delay_alu instid0(VALU_DEP_4) | instskip(NEXT) | instid1(VALU_DEP_4)
	v_lshl_add_u64 v[134:135], v[4:5], 3, v[150:151]
	v_lshl_add_u64 v[154:155], v[18:19], 3, v[150:151]
	s_delay_alu instid0(VALU_DEP_3) | instskip(SKIP_1) | instid1(VALU_DEP_2)
	v_dual_add_nc_u32 v2, s12, v0 :: v_dual_ashrrev_i32 v1, 31, v0
	v_ashrrev_i32_e32 v9, 31, v8
	v_dual_ashrrev_i32 v21, 31, v20 :: v_dual_ashrrev_i32 v3, 31, v2
	v_add_nc_u32_e32 v4, s12, v2
	s_delay_alu instid0(VALU_DEP_3) | instskip(NEXT) | instid1(VALU_DEP_3)
	v_lshl_add_u64 v[132:133], v[8:9], 3, v[150:151]
	v_lshl_add_u64 v[140:141], v[20:21], 3, v[150:151]
	;; [unrolled: 1-line block ×3, first 2 shown]
	s_delay_alu instid0(VALU_DEP_4)
	v_dual_lshlrev_b32 v0, 3, v31 :: v_dual_ashrrev_i32 v5, 31, v4
	v_lshl_add_u64 v[152:153], v[12:13], 3, v[150:151]
	s_clause 0x3
	global_load_b64 v[148:149], v[118:119], off
	global_load_b64 v[144:145], v[130:131], off
	;; [unrolled: 1-line block ×4, first 2 shown]
	v_lshl_add_u64 v[158:159], v[2:3], 3, v[150:151]
	v_mad_u32_u24 v12, 0x160, v31, 0
	v_lshl_add_u64 v[150:151], v[4:5], 3, v[150:151]
	s_clause 0x7
	global_load_b64 v[170:171], v[136:137], off
	global_load_b64 v[164:165], v[138:139], off
	;; [unrolled: 1-line block ×8, first 2 shown]
	v_add3_u32 v31, 0, s14, v0
	s_wait_xcnt 0x0
	s_and_saveexec_b32 s4, s0
	s_cbranch_execz .LBB87_8
; %bb.2:
	s_wait_loadcnt 0x27
	ds_store_b64 v31, v[90:91]
	s_wait_loadcnt 0x23
	ds_store_2addr_b64 v12, v[52:53], v[48:49] offset0:1 offset1:2
	ds_store_2addr_b64 v12, v[78:79], v[50:51] offset0:3 offset1:4
	;; [unrolled: 1-line block ×4, first 2 shown]
	s_wait_loadcnt 0x21
	ds_store_2addr_b64 v12, v[72:73], v[74:75] offset0:9 offset1:10
	s_wait_loadcnt 0x1f
	ds_store_2addr_b64 v12, v[70:71], v[102:103] offset0:11 offset1:12
	;; [unrolled: 2-line block ×17, first 2 shown]
	s_wait_loadcnt 0x0
	ds_store_b64 v12, v[176:177] offset:344
	ds_load_b64 v[0:1], v31
	s_wait_dscnt 0x0
	v_cmp_neq_f32_e32 vcc_lo, 0, v0
	v_cmp_neq_f32_e64 s2, 0, v1
	s_or_b32 s2, vcc_lo, s2
	s_delay_alu instid0(SALU_CYCLE_1)
	s_and_b32 exec_lo, exec_lo, s2
	s_cbranch_execz .LBB87_8
; %bb.3:
	v_cmp_ngt_f32_e64 s2, |v0|, |v1|
                                        ; implicit-def: $vgpr2_vgpr3
	s_and_saveexec_b32 s5, s2
	s_delay_alu instid0(SALU_CYCLE_1)
	s_xor_b32 s2, exec_lo, s5
	s_cbranch_execz .LBB87_5
; %bb.4:
	v_div_scale_f32 v2, null, v1, v1, v0
	v_div_scale_f32 v5, vcc_lo, v0, v1, v0
	s_delay_alu instid0(VALU_DEP_2) | instskip(SKIP_1) | instid1(TRANS32_DEP_1)
	v_rcp_f32_e32 v3, v2
	v_nop
	v_fma_f32 v4, -v2, v3, 1.0
	s_delay_alu instid0(VALU_DEP_1) | instskip(NEXT) | instid1(VALU_DEP_1)
	v_fmac_f32_e32 v3, v4, v3
	v_mul_f32_e32 v4, v5, v3
	s_delay_alu instid0(VALU_DEP_1) | instskip(NEXT) | instid1(VALU_DEP_1)
	v_fma_f32 v6, -v2, v4, v5
	v_fmac_f32_e32 v4, v6, v3
	s_delay_alu instid0(VALU_DEP_1) | instskip(NEXT) | instid1(VALU_DEP_1)
	v_fma_f32 v2, -v2, v4, v5
	v_div_fmas_f32 v2, v2, v3, v4
	s_delay_alu instid0(VALU_DEP_1) | instskip(NEXT) | instid1(VALU_DEP_1)
	v_div_fixup_f32 v2, v2, v1, v0
	v_fmac_f32_e32 v1, v0, v2
	s_delay_alu instid0(VALU_DEP_1) | instskip(SKIP_1) | instid1(VALU_DEP_2)
	v_div_scale_f32 v0, null, v1, v1, 1.0
	v_div_scale_f32 v5, vcc_lo, 1.0, v1, 1.0
	v_rcp_f32_e32 v3, v0
	v_nop
	s_delay_alu instid0(TRANS32_DEP_1) | instskip(NEXT) | instid1(VALU_DEP_1)
	v_fma_f32 v4, -v0, v3, 1.0
	v_fmac_f32_e32 v3, v4, v3
	s_delay_alu instid0(VALU_DEP_1) | instskip(NEXT) | instid1(VALU_DEP_1)
	v_mul_f32_e32 v4, v5, v3
	v_fma_f32 v6, -v0, v4, v5
	s_delay_alu instid0(VALU_DEP_1) | instskip(NEXT) | instid1(VALU_DEP_1)
	v_fmac_f32_e32 v4, v6, v3
	v_fma_f32 v0, -v0, v4, v5
	s_delay_alu instid0(VALU_DEP_1) | instskip(NEXT) | instid1(VALU_DEP_1)
	v_div_fmas_f32 v0, v0, v3, v4
	v_div_fixup_f32 v0, v0, v1, 1.0
	s_delay_alu instid0(VALU_DEP_1)
	v_mul_f32_e32 v2, v2, v0
	v_xor_b32_e32 v3, 0x80000000, v0
                                        ; implicit-def: $vgpr0_vgpr1
.LBB87_5:
	s_and_not1_saveexec_b32 s2, s2
	s_cbranch_execz .LBB87_7
; %bb.6:
	v_div_scale_f32 v2, null, v0, v0, v1
	v_div_scale_f32 v5, vcc_lo, v1, v0, v1
	s_delay_alu instid0(VALU_DEP_2) | instskip(SKIP_1) | instid1(TRANS32_DEP_1)
	v_rcp_f32_e32 v3, v2
	v_nop
	v_fma_f32 v4, -v2, v3, 1.0
	s_delay_alu instid0(VALU_DEP_1) | instskip(NEXT) | instid1(VALU_DEP_1)
	v_fmac_f32_e32 v3, v4, v3
	v_mul_f32_e32 v4, v5, v3
	s_delay_alu instid0(VALU_DEP_1) | instskip(NEXT) | instid1(VALU_DEP_1)
	v_fma_f32 v6, -v2, v4, v5
	v_fmac_f32_e32 v4, v6, v3
	s_delay_alu instid0(VALU_DEP_1) | instskip(NEXT) | instid1(VALU_DEP_1)
	v_fma_f32 v2, -v2, v4, v5
	v_div_fmas_f32 v2, v2, v3, v4
	s_delay_alu instid0(VALU_DEP_1) | instskip(NEXT) | instid1(VALU_DEP_1)
	v_div_fixup_f32 v3, v2, v0, v1
	v_fmac_f32_e32 v0, v1, v3
	s_delay_alu instid0(VALU_DEP_1) | instskip(NEXT) | instid1(VALU_DEP_1)
	v_div_scale_f32 v1, null, v0, v0, 1.0
	v_rcp_f32_e32 v2, v1
	v_nop
	s_delay_alu instid0(TRANS32_DEP_1) | instskip(NEXT) | instid1(VALU_DEP_1)
	v_fma_f32 v4, -v1, v2, 1.0
	v_fmac_f32_e32 v2, v4, v2
	v_div_scale_f32 v4, vcc_lo, 1.0, v0, 1.0
	s_delay_alu instid0(VALU_DEP_1) | instskip(NEXT) | instid1(VALU_DEP_1)
	v_mul_f32_e32 v5, v4, v2
	v_fma_f32 v6, -v1, v5, v4
	s_delay_alu instid0(VALU_DEP_1) | instskip(NEXT) | instid1(VALU_DEP_1)
	v_fmac_f32_e32 v5, v6, v2
	v_fma_f32 v1, -v1, v5, v4
	s_delay_alu instid0(VALU_DEP_1) | instskip(NEXT) | instid1(VALU_DEP_1)
	v_div_fmas_f32 v1, v1, v2, v5
	v_div_fixup_f32 v2, v1, v0, 1.0
	s_delay_alu instid0(VALU_DEP_1)
	v_mul_f32_e64 v3, v3, -v2
.LBB87_7:
	s_or_b32 exec_lo, exec_lo, s2
	ds_store_b64 v31, v[2:3]
.LBB87_8:
	s_or_b32 exec_lo, exec_lo, s4
	s_wait_storecnt 0x0
	s_wait_loadcnt_dscnt 0x0
	s_barrier_signal -1
	s_barrier_wait -1
	ds_load_b64 v[178:179], v31
	s_and_saveexec_b32 s2, s1
	s_cbranch_execz .LBB87_10
; %bb.9:
	ds_load_2addr_b64 v[4:7], v12 offset0:1 offset1:2
	ds_load_2addr_b64 v[180:183], v12 offset0:3 offset1:4
	ds_load_2addr_b64 v[184:187], v12 offset0:5 offset1:6
	s_wait_dscnt 0x3
	v_pk_mul_f32 v[2:3], v[178:179], v[90:91] op_sel:[1,1] op_sel_hi:[0,1]
	ds_load_2addr_b64 v[188:191], v12 offset0:7 offset1:8
	ds_load_2addr_b64 v[192:195], v12 offset0:9 offset1:10
	v_pk_fma_f32 v[0:1], v[178:179], v[90:91], v[2:3] op_sel_hi:[1,0,1] neg_lo:[0,0,1] neg_hi:[0,0,1]
	v_pk_fma_f32 v[2:3], v[178:179], v[90:91], v[2:3] op_sel_hi:[1,0,1]
	s_delay_alu instid0(VALU_DEP_1) | instskip(SKIP_1) | instid1(VALU_DEP_2)
	v_dual_mov_b32 v90, v0 :: v_dual_mov_b32 v91, v3
	s_wait_dscnt 0x4
	v_pk_mul_f32 v[8:9], v[4:5], v[2:3] op_sel:[0,1]
	v_pk_mul_f32 v[18:19], v[6:7], v[2:3] op_sel:[0,1]
	s_wait_dscnt 0x3
	v_pk_mul_f32 v[20:21], v[180:181], v[2:3] op_sel:[0,1]
	v_dual_mov_b32 v196, v183 :: v_dual_mov_b32 v197, v182
	v_dual_mul_f32 v198, v183, v3 :: v_dual_mul_f32 v200, v183, v0
	v_pk_fma_f32 v[206:207], v[4:5], v[0:1], v[8:9] op_sel:[0,0,1] op_sel_hi:[1,1,0] neg_lo:[0,0,1] neg_hi:[0,0,1]
	v_pk_fma_f32 v[4:5], v[4:5], v[0:1], v[8:9] op_sel:[0,0,1] op_sel_hi:[1,0,0]
	v_pk_fma_f32 v[8:9], v[6:7], v[0:1], v[18:19] op_sel:[0,0,1] op_sel_hi:[1,1,0] neg_lo:[0,0,1] neg_hi:[0,0,1]
	v_pk_fma_f32 v[6:7], v[6:7], v[0:1], v[18:19] op_sel:[0,0,1] op_sel_hi:[1,0,0]
	;; [unrolled: 2-line block ×3, first 2 shown]
	v_pk_fma_f32 v[180:181], v[196:197], v[90:91], v[200:201] op_sel_hi:[1,1,0]
	s_wait_dscnt 0x2
	v_pk_mul_f32 v[202:203], v[184:185], v[2:3] op_sel:[0,1]
	v_pk_mul_f32 v[204:205], v[186:187], v[2:3] op_sel:[0,1]
	v_dual_mov_b32 v207, v5 :: v_dual_mov_b32 v9, v7
	v_pk_fma_f32 v[182:183], v[182:183], v[90:91], v[198:199] op_sel_hi:[1,1,0] neg_lo:[0,0,1] neg_hi:[0,0,1]
	v_dual_mov_b32 v19, v21 :: v_dual_mov_b32 v183, v181
	v_pk_fma_f32 v[20:21], v[184:185], v[0:1], v[202:203] op_sel:[0,0,1] op_sel_hi:[1,0,0]
	s_delay_alu instid0(VALU_DEP_4)
	v_pk_add_f32 v[48:49], v[48:49], v[8:9] neg_lo:[0,1] neg_hi:[0,1]
	s_wait_dscnt 0x1
	v_pk_mul_f32 v[8:9], v[188:189], v[2:3] op_sel:[0,1]
	v_pk_fma_f32 v[180:181], v[186:187], v[0:1], v[204:205] op_sel:[0,0,1] op_sel_hi:[1,0,0]
	ds_load_2addr_b64 v[4:7], v12 offset0:11 offset1:12
	v_pk_add_f32 v[78:79], v[78:79], v[18:19] neg_lo:[0,1] neg_hi:[0,1]
	v_pk_add_f32 v[50:51], v[50:51], v[182:183] neg_lo:[0,1] neg_hi:[0,1]
	v_pk_fma_f32 v[18:19], v[184:185], v[0:1], v[202:203] op_sel:[0,0,1] op_sel_hi:[1,1,0] neg_lo:[0,0,1] neg_hi:[0,0,1]
	v_pk_fma_f32 v[182:183], v[186:187], v[0:1], v[204:205] op_sel:[0,0,1] op_sel_hi:[1,1,0] neg_lo:[0,0,1] neg_hi:[0,0,1]
	v_dual_mov_b32 v19, v21 :: v_dual_mov_b32 v183, v181
	v_pk_fma_f32 v[20:21], v[188:189], v[0:1], v[8:9] op_sel:[0,0,1] op_sel_hi:[1,0,0]
	v_pk_mul_f32 v[180:181], v[190:191], v[2:3] op_sel:[0,1]
	v_pk_fma_f32 v[8:9], v[188:189], v[0:1], v[8:9] op_sel:[0,0,1] op_sel_hi:[1,1,0] neg_lo:[0,0,1] neg_hi:[0,0,1]
	s_delay_alu instid0(VALU_DEP_4)
	v_pk_add_f32 v[44:45], v[44:45], v[18:19] neg_lo:[0,1] neg_hi:[0,1]
	s_wait_dscnt 0x1
	v_pk_mul_f32 v[184:185], v[194:195], v[2:3] op_sel:[0,1]
	v_mov_b32_e32 v9, v21
	v_pk_fma_f32 v[18:19], v[190:191], v[0:1], v[180:181] op_sel:[0,0,1] op_sel_hi:[1,0,0]
	v_dual_mul_f32 v18, v193, v0 :: v_dual_mul_f32 v20, v193, v3
	v_pk_add_f32 v[46:47], v[46:47], v[182:183] neg_lo:[0,1] neg_hi:[0,1]
	s_delay_alu instid0(VALU_DEP_4)
	v_pk_add_f32 v[28:29], v[28:29], v[8:9] neg_lo:[0,1] neg_hi:[0,1]
	v_pk_fma_f32 v[8:9], v[190:191], v[0:1], v[180:181] op_sel:[0,0,1] op_sel_hi:[1,1,0] neg_lo:[0,0,1] neg_hi:[0,0,1]
	v_pk_fma_f32 v[190:191], v[194:195], v[0:1], v[184:185] op_sel:[0,0,1] op_sel_hi:[1,0,0]
	v_mov_b32_e32 v9, v19
	v_pk_fma_f32 v[18:19], v[192:193], v[90:91], v[18:19] op_sel:[1,0,0] op_sel_hi:[0,1,0]
	v_pk_fma_f32 v[20:21], v[192:193], v[90:91], v[20:21] op_sel_hi:[1,1,0] neg_lo:[0,0,1] neg_hi:[0,0,1]
	ds_load_2addr_b64 v[180:183], v12 offset0:13 offset1:14
	s_wait_dscnt 0x1
	v_pk_mul_f32 v[188:189], v[4:5], v[2:3] op_sel:[0,1]
	v_pk_fma_f32 v[192:193], v[194:195], v[0:1], v[184:185] op_sel:[0,0,1] op_sel_hi:[1,1,0] neg_lo:[0,0,1] neg_hi:[0,0,1]
	v_mov_b32_e32 v21, v19
	v_pk_mul_f32 v[18:19], v[6:7], v[2:3] op_sel:[0,1]
	ds_load_2addr_b64 v[184:187], v12 offset0:15 offset1:16
	v_pk_fma_f32 v[194:195], v[4:5], v[0:1], v[188:189] op_sel:[0,0,1] op_sel_hi:[1,0,0]
	v_pk_fma_f32 v[4:5], v[4:5], v[0:1], v[188:189] op_sel:[0,0,1] op_sel_hi:[1,1,0] neg_lo:[0,0,1] neg_hi:[0,0,1]
	v_mov_b32_e32 v193, v191
	v_pk_fma_f32 v[196:197], v[6:7], v[0:1], v[18:19] op_sel:[0,0,1] op_sel_hi:[1,0,0]
	v_pk_fma_f32 v[6:7], v[6:7], v[0:1], v[18:19] op_sel:[0,0,1] op_sel_hi:[1,1,0] neg_lo:[0,0,1] neg_hi:[0,0,1]
	v_mov_b32_e32 v5, v195
	v_pk_add_f32 v[76:77], v[76:77], v[8:9] neg_lo:[0,1] neg_hi:[0,1]
	ds_load_2addr_b64 v[188:191], v12 offset0:19 offset1:20
	v_mov_b32_e32 v7, v197
	v_pk_add_f32 v[72:73], v[72:73], v[20:21] neg_lo:[0,1] neg_hi:[0,1]
	v_pk_add_f32 v[70:71], v[70:71], v[4:5] neg_lo:[0,1] neg_hi:[0,1]
	;; [unrolled: 1-line block ×5, first 2 shown]
	ds_load_2addr_b64 v[4:7], v12 offset0:17 offset1:18
	s_wait_dscnt 0x3
	v_pk_mul_f32 v[8:9], v[180:181], v[2:3] op_sel:[0,1]
	v_dual_mov_b32 v18, v183 :: v_dual_mov_b32 v19, v182
	v_mul_f32_e32 v20, v183, v0
	s_delay_alu instid0(VALU_DEP_3)
	v_pk_fma_f32 v[192:193], v[180:181], v[0:1], v[8:9] op_sel:[0,0,1] op_sel_hi:[1,1,0] neg_lo:[0,0,1] neg_hi:[0,0,1]
	v_pk_fma_f32 v[8:9], v[180:181], v[0:1], v[8:9] op_sel:[0,0,1] op_sel_hi:[1,0,0]
	s_wait_dscnt 0x2
	v_pk_mul_f32 v[180:181], v[184:185], v[2:3] op_sel:[0,1]
	v_mul_f32_e32 v8, v183, v3
	v_pk_fma_f32 v[18:19], v[18:19], v[90:91], v[20:21] op_sel_hi:[1,1,0]
	v_pk_mul_f32 v[20:21], v[186:187], v[2:3] op_sel:[0,1]
	v_mov_b32_e32 v193, v9
	v_pk_fma_f32 v[194:195], v[184:185], v[0:1], v[180:181] op_sel:[0,0,1] op_sel_hi:[1,0,0]
	v_pk_fma_f32 v[8:9], v[182:183], v[90:91], v[8:9] op_sel_hi:[1,1,0] neg_lo:[0,0,1] neg_hi:[0,0,1]
	v_mov_b32_e32 v9, v19
	v_pk_fma_f32 v[182:183], v[186:187], v[0:1], v[20:21] op_sel:[0,0,1] op_sel_hi:[1,0,0]
	v_pk_fma_f32 v[18:19], v[184:185], v[0:1], v[180:181] op_sel:[0,0,1] op_sel_hi:[1,1,0] neg_lo:[0,0,1] neg_hi:[0,0,1]
	v_mov_b32_e32 v19, v195
	v_pk_fma_f32 v[20:21], v[186:187], v[0:1], v[20:21] op_sel:[0,0,1] op_sel_hi:[1,1,0] neg_lo:[0,0,1] neg_hi:[0,0,1]
	s_wait_dscnt 0x0
	v_pk_mul_f32 v[184:185], v[4:5], v[2:3] op_sel:[0,1]
	v_mov_b32_e32 v21, v183
	v_pk_add_f32 v[100:101], v[100:101], v[8:9] neg_lo:[0,1] neg_hi:[0,1]
	ds_load_2addr_b64 v[180:183], v12 offset0:21 offset1:22
	v_pk_add_f32 v[98:99], v[98:99], v[18:19] neg_lo:[0,1] neg_hi:[0,1]
	v_pk_fma_f32 v[8:9], v[4:5], v[0:1], v[184:185] op_sel:[0,0,1] op_sel_hi:[1,0,0]
	v_pk_fma_f32 v[4:5], v[4:5], v[0:1], v[184:185] op_sel:[0,0,1] op_sel_hi:[1,1,0] neg_lo:[0,0,1] neg_hi:[0,0,1]
	ds_load_2addr_b64 v[184:187], v12 offset0:23 offset1:24
	v_pk_mul_f32 v[18:19], v[6:7], v[2:3] op_sel:[0,1]
	v_mul_f32_e32 v8, v189, v0
	v_pk_add_f32 v[120:121], v[120:121], v[20:21] neg_lo:[0,1] neg_hi:[0,1]
	v_pk_mul_f32 v[20:21], v[190:191], v[2:3] op_sel:[0,1]
	v_pk_add_f32 v[68:69], v[68:69], v[192:193] neg_lo:[0,1] neg_hi:[0,1]
	v_pk_fma_f32 v[192:193], v[6:7], v[0:1], v[18:19] op_sel:[0,0,1] op_sel_hi:[1,0,0]
	v_mul_f32_e32 v192, v189, v3
	v_mov_b32_e32 v5, v9
	v_pk_fma_f32 v[8:9], v[188:189], v[90:91], v[8:9] op_sel:[1,0,0] op_sel_hi:[0,1,0]
	v_pk_fma_f32 v[6:7], v[6:7], v[0:1], v[18:19] op_sel:[0,0,1] op_sel_hi:[1,1,0] neg_lo:[0,0,1] neg_hi:[0,0,1]
	v_pk_fma_f32 v[18:19], v[190:191], v[0:1], v[20:21] op_sel:[0,0,1] op_sel_hi:[1,0,0]
	v_pk_fma_f32 v[188:189], v[188:189], v[90:91], v[192:193] op_sel_hi:[1,1,0] neg_lo:[0,0,1] neg_hi:[0,0,1]
	s_delay_alu instid0(VALU_DEP_4) | instskip(SKIP_1) | instid1(VALU_DEP_4)
	v_dual_mov_b32 v7, v193 :: v_dual_mov_b32 v189, v9
	v_pk_fma_f32 v[8:9], v[190:191], v[0:1], v[20:21] op_sel:[0,0,1] op_sel_hi:[1,1,0] neg_lo:[0,0,1] neg_hi:[0,0,1]
	v_mov_b32_e32 v9, v19
	v_pk_add_f32 v[56:57], v[56:57], v[4:5] neg_lo:[0,1] neg_hi:[0,1]
	s_delay_alu instid0(VALU_DEP_4)
	v_pk_add_f32 v[58:59], v[58:59], v[6:7] neg_lo:[0,1] neg_hi:[0,1]
	s_wait_dscnt 0x1
	v_pk_mul_f32 v[18:19], v[180:181], v[2:3] op_sel:[0,1]
	ds_load_2addr_b64 v[4:7], v12 offset0:25 offset1:26
	v_pk_add_f32 v[86:87], v[86:87], v[8:9] neg_lo:[0,1] neg_hi:[0,1]
	v_pk_mul_f32 v[8:9], v[182:183], v[2:3] op_sel:[0,1]
	s_wait_dscnt 0x1
	v_pk_mul_f32 v[20:21], v[184:185], v[2:3] op_sel:[0,1]
	v_pk_add_f32 v[54:55], v[54:55], v[188:189] neg_lo:[0,1] neg_hi:[0,1]
	ds_load_2addr_b64 v[188:191], v12 offset0:27 offset1:28
	v_pk_fma_f32 v[192:193], v[180:181], v[0:1], v[18:19] op_sel:[0,0,1] op_sel_hi:[1,0,0]
	v_pk_fma_f32 v[18:19], v[180:181], v[0:1], v[18:19] op_sel:[0,0,1] op_sel_hi:[1,1,0] neg_lo:[0,0,1] neg_hi:[0,0,1]
	v_pk_fma_f32 v[180:181], v[182:183], v[0:1], v[8:9] op_sel:[0,0,1] op_sel_hi:[1,0,0]
	v_pk_fma_f32 v[194:195], v[184:185], v[0:1], v[20:21] op_sel:[0,0,1] op_sel_hi:[1,0,0]
	v_pk_fma_f32 v[8:9], v[182:183], v[0:1], v[8:9] op_sel:[0,0,1] op_sel_hi:[1,1,0] neg_lo:[0,0,1] neg_hi:[0,0,1]
	v_pk_fma_f32 v[20:21], v[184:185], v[0:1], v[20:21] op_sel:[0,0,1] op_sel_hi:[1,1,0] neg_lo:[0,0,1] neg_hi:[0,0,1]
	s_delay_alu instid0(VALU_DEP_4) | instskip(NEXT) | instid1(VALU_DEP_4)
	v_dual_mov_b32 v19, v193 :: v_dual_mov_b32 v9, v181
	v_dual_mov_b32 v21, v195 :: v_dual_mov_b32 v180, v187
	v_dual_mov_b32 v181, v186 :: v_dual_mul_f32 v182, v187, v0
	s_delay_alu instid0(VALU_DEP_3) | instskip(NEXT) | instid1(VALU_DEP_4)
	v_pk_add_f32 v[84:85], v[84:85], v[8:9] neg_lo:[0,1] neg_hi:[0,1]
	v_pk_add_f32 v[82:83], v[82:83], v[18:19] neg_lo:[0,1] neg_hi:[0,1]
	s_delay_alu instid0(VALU_DEP_4)
	v_pk_add_f32 v[80:81], v[80:81], v[20:21] neg_lo:[0,1] neg_hi:[0,1]
	s_wait_dscnt 0x1
	v_pk_mul_f32 v[20:21], v[4:5], v[2:3] op_sel:[0,1]
	v_pk_fma_f32 v[8:9], v[180:181], v[90:91], v[182:183] op_sel_hi:[1,1,0]
	v_mul_f32_e32 v184, v187, v3
	ds_load_2addr_b64 v[180:183], v12 offset0:29 offset1:30
	v_pk_mul_f32 v[192:193], v[6:7], v[2:3] op_sel:[0,1]
	v_pk_fma_f32 v[194:195], v[4:5], v[0:1], v[20:21] op_sel:[0,0,1] op_sel_hi:[1,0,0]
	v_pk_fma_f32 v[4:5], v[4:5], v[0:1], v[20:21] op_sel:[0,0,1] op_sel_hi:[1,1,0] neg_lo:[0,0,1] neg_hi:[0,0,1]
	v_pk_fma_f32 v[18:19], v[186:187], v[90:91], v[184:185] op_sel_hi:[1,1,0] neg_lo:[0,0,1] neg_hi:[0,0,1]
	ds_load_2addr_b64 v[184:187], v12 offset0:31 offset1:32
	v_mov_b32_e32 v19, v9
	s_wait_dscnt 0x2
	v_pk_mul_f32 v[8:9], v[188:189], v[2:3] op_sel:[0,1]
	v_pk_fma_f32 v[196:197], v[6:7], v[0:1], v[192:193] op_sel:[0,0,1] op_sel_hi:[1,0,0]
	v_pk_fma_f32 v[6:7], v[6:7], v[0:1], v[192:193] op_sel:[0,0,1] op_sel_hi:[1,1,0] neg_lo:[0,0,1] neg_hi:[0,0,1]
	v_mov_b32_e32 v5, v195
	v_pk_add_f32 v[110:111], v[110:111], v[18:19] neg_lo:[0,1] neg_hi:[0,1]
	v_pk_fma_f32 v[20:21], v[188:189], v[0:1], v[8:9] op_sel:[0,0,1] op_sel_hi:[1,0,0]
	v_pk_fma_f32 v[8:9], v[188:189], v[0:1], v[8:9] op_sel:[0,0,1] op_sel_hi:[1,1,0] neg_lo:[0,0,1] neg_hi:[0,0,1]
	v_mov_b32_e32 v7, v197
	v_pk_add_f32 v[106:107], v[106:107], v[4:5] neg_lo:[0,1] neg_hi:[0,1]
	s_delay_alu instid0(VALU_DEP_4) | instskip(SKIP_1) | instid1(VALU_DEP_4)
	v_mov_b32_e32 v9, v21
	v_pk_mul_f32 v[20:21], v[190:191], v[2:3] op_sel:[0,1]
	v_pk_add_f32 v[108:109], v[108:109], v[6:7] neg_lo:[0,1] neg_hi:[0,1]
	s_wait_dscnt 0x1
	v_pk_mul_f32 v[188:189], v[182:183], v[2:3] op_sel:[0,1]
	ds_load_2addr_b64 v[4:7], v12 offset0:33 offset1:34
	v_pk_add_f32 v[104:105], v[104:105], v[8:9] neg_lo:[0,1] neg_hi:[0,1]
	v_pk_fma_f32 v[18:19], v[190:191], v[0:1], v[20:21] op_sel:[0,0,1] op_sel_hi:[1,0,0]
	v_mul_f32_e32 v18, v181, v0
	v_pk_fma_f32 v[8:9], v[190:191], v[0:1], v[20:21] op_sel:[0,0,1] op_sel_hi:[1,1,0] neg_lo:[0,0,1] neg_hi:[0,0,1]
	v_mul_f32_e32 v20, v181, v3
	s_wait_dscnt 0x1
	v_pk_mul_f32 v[190:191], v[184:185], v[2:3] op_sel:[0,1]
	v_mov_b32_e32 v9, v19
	v_pk_fma_f32 v[192:193], v[180:181], v[90:91], v[18:19] op_sel:[1,0,0] op_sel_hi:[0,1,0]
	v_pk_fma_f32 v[18:19], v[182:183], v[0:1], v[188:189] op_sel:[0,0,1] op_sel_hi:[1,0,0]
	v_pk_fma_f32 v[20:21], v[180:181], v[90:91], v[20:21] op_sel_hi:[1,1,0] neg_lo:[0,0,1] neg_hi:[0,0,1]
	v_pk_fma_f32 v[180:181], v[184:185], v[0:1], v[190:191] op_sel:[0,0,1] op_sel_hi:[1,0,0]
	v_pk_fma_f32 v[188:189], v[182:183], v[0:1], v[188:189] op_sel:[0,0,1] op_sel_hi:[1,1,0] neg_lo:[0,0,1] neg_hi:[0,0,1]
	s_delay_alu instid0(VALU_DEP_4) | instskip(SKIP_1) | instid1(VALU_DEP_4)
	v_dual_mov_b32 v21, v193 :: v_dual_mov_b32 v189, v19
	v_pk_fma_f32 v[18:19], v[184:185], v[0:1], v[190:191] op_sel:[0,0,1] op_sel_hi:[1,1,0] neg_lo:[0,0,1] neg_hi:[0,0,1]
	v_mov_b32_e32 v19, v181
	ds_load_2addr_b64 v[180:183], v12 offset0:35 offset1:36
	v_pk_mul_f32 v[184:185], v[186:187], v[2:3] op_sel:[0,1]
	v_pk_add_f32 v[124:125], v[124:125], v[20:21] neg_lo:[0,1] neg_hi:[0,1]
	s_wait_dscnt 0x1
	v_pk_mul_f32 v[20:21], v[4:5], v[2:3] op_sel:[0,1]
	v_pk_add_f32 v[126:127], v[126:127], v[188:189] neg_lo:[0,1] neg_hi:[0,1]
	v_mov_b32_e32 v188, v7
	v_pk_add_f32 v[122:123], v[122:123], v[18:19] neg_lo:[0,1] neg_hi:[0,1]
	v_pk_fma_f32 v[18:19], v[186:187], v[0:1], v[184:185] op_sel:[0,0,1] op_sel_hi:[1,0,0]
	v_pk_fma_f32 v[190:191], v[4:5], v[0:1], v[20:21] op_sel:[0,0,1] op_sel_hi:[1,0,0]
	v_pk_add_f32 v[128:129], v[128:129], v[8:9] neg_lo:[0,1] neg_hi:[0,1]
	v_pk_fma_f32 v[8:9], v[186:187], v[0:1], v[184:185] op_sel:[0,0,1] op_sel_hi:[1,1,0] neg_lo:[0,0,1] neg_hi:[0,0,1]
	v_dual_mov_b32 v189, v6 :: v_dual_mul_f32 v18, v7, v0
	ds_load_2addr_b64 v[184:187], v12 offset0:37 offset1:38
	v_mul_f32_e32 v190, v7, v3
	v_pk_fma_f32 v[20:21], v[4:5], v[0:1], v[20:21] op_sel:[0,0,1] op_sel_hi:[1,1,0] neg_lo:[0,0,1] neg_hi:[0,0,1]
	v_dual_mov_b32 v9, v19 :: v_dual_mov_b32 v21, v191
	v_pk_fma_f32 v[18:19], v[188:189], v[90:91], v[18:19] op_sel_hi:[1,1,0]
	s_delay_alu instid0(VALU_DEP_4)
	v_pk_fma_f32 v[188:189], v[6:7], v[90:91], v[190:191] op_sel_hi:[1,1,0] neg_lo:[0,0,1] neg_hi:[0,0,1]
	s_wait_dscnt 0x1
	v_pk_mul_f32 v[190:191], v[180:181], v[2:3] op_sel:[0,1]
	ds_load_2addr_b64 v[4:7], v12 offset0:39 offset1:40
	v_pk_add_f32 v[148:149], v[148:149], v[8:9] neg_lo:[0,1] neg_hi:[0,1]
	v_mov_b32_e32 v189, v19
	v_pk_mul_f32 v[8:9], v[182:183], v[2:3] op_sel:[0,1]
	v_pk_fma_f32 v[18:19], v[180:181], v[0:1], v[190:191] op_sel:[0,0,1] op_sel_hi:[1,0,0]
	v_pk_add_f32 v[144:145], v[144:145], v[20:21] neg_lo:[0,1] neg_hi:[0,1]
	v_pk_fma_f32 v[20:21], v[180:181], v[0:1], v[190:191] op_sel:[0,0,1] op_sel_hi:[1,1,0] neg_lo:[0,0,1] neg_hi:[0,0,1]
	s_delay_alu instid0(VALU_DEP_3)
	v_mov_b32_e32 v21, v19
	v_pk_add_f32 v[146:147], v[146:147], v[188:189] neg_lo:[0,1] neg_hi:[0,1]
	v_pk_fma_f32 v[188:189], v[182:183], v[0:1], v[8:9] op_sel:[0,0,1] op_sel_hi:[1,0,0]
	v_pk_fma_f32 v[8:9], v[182:183], v[0:1], v[8:9] op_sel:[0,0,1] op_sel_hi:[1,1,0] neg_lo:[0,0,1] neg_hi:[0,0,1]
	ds_load_2addr_b64 v[180:183], v12 offset0:41 offset1:42
	s_wait_dscnt 0x2
	v_pk_mul_f32 v[18:19], v[184:185], v[2:3] op_sel:[0,1]
	v_pk_add_f32 v[142:143], v[142:143], v[20:21] neg_lo:[0,1] neg_hi:[0,1]
	ds_load_b64 v[20:21], v12 offset:344
	v_mov_b32_e32 v9, v189
	v_pk_mul_f32 v[188:189], v[186:187], v[2:3] op_sel:[0,1]
	v_pk_fma_f32 v[190:191], v[184:185], v[0:1], v[18:19] op_sel:[0,0,1] op_sel_hi:[1,0,0]
	v_pk_fma_f32 v[18:19], v[184:185], v[0:1], v[18:19] op_sel:[0,0,1] op_sel_hi:[1,1,0] neg_lo:[0,0,1] neg_hi:[0,0,1]
	s_delay_alu instid0(VALU_DEP_4) | instskip(NEXT) | instid1(VALU_DEP_4)
	v_pk_add_f32 v[170:171], v[170:171], v[8:9] neg_lo:[0,1] neg_hi:[0,1]
	v_pk_fma_f32 v[8:9], v[186:187], v[0:1], v[188:189] op_sel:[0,0,1] op_sel_hi:[1,0,0]
	s_wait_dscnt 0x2
	v_dual_mul_f32 v8, v5, v0 :: v_dual_mov_b32 v19, v191
	v_pk_fma_f32 v[184:185], v[186:187], v[0:1], v[188:189] op_sel:[0,0,1] op_sel_hi:[1,1,0] neg_lo:[0,0,1] neg_hi:[0,0,1]
	v_mul_f32_e32 v186, v5, v3
	v_mov_b32_e32 v185, v9
	s_delay_alu instid0(VALU_DEP_4)
	v_pk_fma_f32 v[8:9], v[4:5], v[90:91], v[8:9] op_sel:[1,0,0] op_sel_hi:[0,1,0]
	v_pk_add_f32 v[164:165], v[164:165], v[18:19] neg_lo:[0,1] neg_hi:[0,1]
	v_pk_mul_f32 v[18:19], v[6:7], v[2:3] op_sel:[0,1]
	v_pk_fma_f32 v[4:5], v[4:5], v[90:91], v[186:187] op_sel_hi:[1,1,0] neg_lo:[0,0,1] neg_hi:[0,0,1]
	s_wait_dscnt 0x1
	v_pk_mul_f32 v[186:187], v[182:183], v[2:3] op_sel:[0,1]
	v_mov_b32_e32 v5, v9
	v_pk_mul_f32 v[8:9], v[180:181], v[2:3] op_sel:[0,1]
	v_pk_add_f32 v[168:169], v[168:169], v[184:185] neg_lo:[0,1] neg_hi:[0,1]
	v_pk_fma_f32 v[184:185], v[6:7], v[0:1], v[18:19] op_sel:[0,0,1] op_sel_hi:[1,0,0]
	s_wait_dscnt 0x0
	v_pk_mul_f32 v[2:3], v[20:21], v[2:3] op_sel:[0,1]
	v_pk_fma_f32 v[6:7], v[6:7], v[0:1], v[18:19] op_sel:[0,0,1] op_sel_hi:[1,1,0] neg_lo:[0,0,1] neg_hi:[0,0,1]
	v_pk_fma_f32 v[18:19], v[180:181], v[0:1], v[8:9] op_sel:[0,0,1] op_sel_hi:[1,0,0]
	v_pk_fma_f32 v[8:9], v[180:181], v[0:1], v[8:9] op_sel:[0,0,1] op_sel_hi:[1,1,0] neg_lo:[0,0,1] neg_hi:[0,0,1]
	v_mov_b32_e32 v7, v185
	v_pk_fma_f32 v[184:185], v[182:183], v[0:1], v[186:187] op_sel:[0,0,1] op_sel_hi:[1,0,0]
	v_pk_fma_f32 v[180:181], v[20:21], v[0:1], v[2:3] op_sel:[0,0,1] op_sel_hi:[1,0,0]
	v_mov_b32_e32 v9, v19
	v_pk_fma_f32 v[18:19], v[182:183], v[0:1], v[186:187] op_sel:[0,0,1] op_sel_hi:[1,1,0] neg_lo:[0,0,1] neg_hi:[0,0,1]
	v_pk_fma_f32 v[0:1], v[20:21], v[0:1], v[2:3] op_sel:[0,0,1] op_sel_hi:[1,1,0] neg_lo:[0,0,1] neg_hi:[0,0,1]
	s_delay_alu instid0(VALU_DEP_4) | instskip(SKIP_3) | instid1(VALU_DEP_4)
	v_dual_mov_b32 v19, v185 :: v_dual_mov_b32 v1, v181
	v_pk_add_f32 v[162:163], v[162:163], v[4:5] neg_lo:[0,1] neg_hi:[0,1]
	v_pk_add_f32 v[166:167], v[166:167], v[6:7] neg_lo:[0,1] neg_hi:[0,1]
	;; [unrolled: 1-line block ×5, first 2 shown]
.LBB87_10:
	s_or_b32 exec_lo, exec_lo, s2
	s_delay_alu instid0(SALU_CYCLE_1)
	s_mov_b32 s2, exec_lo
	s_wait_dscnt 0x0
	s_barrier_signal -1
	s_barrier_wait -1
	v_cmpx_eq_u32_e32 1, v30
	s_cbranch_execz .LBB87_17
; %bb.11:
	v_dual_mov_b32 v0, v48 :: v_dual_mov_b32 v1, v49
	v_dual_mov_b32 v2, v78 :: v_dual_mov_b32 v3, v79
	;; [unrolled: 1-line block ×8, first 2 shown]
	ds_store_b64 v31, v[52:53]
	ds_store_2addr_b64 v12, v[0:1], v[2:3] offset0:2 offset1:3
	ds_store_2addr_b64 v12, v[4:5], v[6:7] offset0:4 offset1:5
	;; [unrolled: 1-line block ×4, first 2 shown]
	v_dual_mov_b32 v0, v74 :: v_dual_mov_b32 v1, v75
	v_dual_mov_b32 v2, v70 :: v_dual_mov_b32 v3, v71
	;; [unrolled: 1-line block ×12, first 2 shown]
	ds_store_2addr_b64 v12, v[0:1], v[2:3] offset0:10 offset1:11
	ds_store_2addr_b64 v12, v[4:5], v[6:7] offset0:12 offset1:13
	;; [unrolled: 1-line block ×6, first 2 shown]
	v_dual_mov_b32 v0, v84 :: v_dual_mov_b32 v1, v85
	v_dual_mov_b32 v2, v80 :: v_dual_mov_b32 v3, v81
	;; [unrolled: 1-line block ×12, first 2 shown]
	ds_store_2addr_b64 v12, v[0:1], v[2:3] offset0:22 offset1:23
	ds_store_2addr_b64 v12, v[4:5], v[6:7] offset0:24 offset1:25
	;; [unrolled: 1-line block ×6, first 2 shown]
	v_dual_mov_b32 v0, v146 :: v_dual_mov_b32 v1, v147
	v_dual_mov_b32 v2, v142 :: v_dual_mov_b32 v3, v143
	;; [unrolled: 1-line block ×9, first 2 shown]
	ds_store_2addr_b64 v12, v[0:1], v[2:3] offset0:34 offset1:35
	ds_store_2addr_b64 v12, v[4:5], v[6:7] offset0:36 offset1:37
	;; [unrolled: 1-line block ×5, first 2 shown]
	ds_load_b64 v[0:1], v31
	s_wait_dscnt 0x0
	v_cmp_neq_f32_e32 vcc_lo, 0, v0
	v_cmp_neq_f32_e64 s1, 0, v1
	s_or_b32 s1, vcc_lo, s1
	s_delay_alu instid0(SALU_CYCLE_1)
	s_and_b32 exec_lo, exec_lo, s1
	s_cbranch_execz .LBB87_17
; %bb.12:
	v_cmp_ngt_f32_e64 s1, |v0|, |v1|
                                        ; implicit-def: $vgpr2_vgpr3
	s_and_saveexec_b32 s4, s1
	s_delay_alu instid0(SALU_CYCLE_1)
	s_xor_b32 s1, exec_lo, s4
	s_cbranch_execz .LBB87_14
; %bb.13:
	v_div_scale_f32 v2, null, v1, v1, v0
	v_div_scale_f32 v5, vcc_lo, v0, v1, v0
	s_delay_alu instid0(VALU_DEP_2) | instskip(SKIP_1) | instid1(TRANS32_DEP_1)
	v_rcp_f32_e32 v3, v2
	v_nop
	v_fma_f32 v4, -v2, v3, 1.0
	s_delay_alu instid0(VALU_DEP_1) | instskip(NEXT) | instid1(VALU_DEP_1)
	v_fmac_f32_e32 v3, v4, v3
	v_mul_f32_e32 v4, v5, v3
	s_delay_alu instid0(VALU_DEP_1) | instskip(NEXT) | instid1(VALU_DEP_1)
	v_fma_f32 v6, -v2, v4, v5
	v_fmac_f32_e32 v4, v6, v3
	s_delay_alu instid0(VALU_DEP_1) | instskip(NEXT) | instid1(VALU_DEP_1)
	v_fma_f32 v2, -v2, v4, v5
	v_div_fmas_f32 v2, v2, v3, v4
	s_delay_alu instid0(VALU_DEP_1) | instskip(NEXT) | instid1(VALU_DEP_1)
	v_div_fixup_f32 v2, v2, v1, v0
	v_fmac_f32_e32 v1, v0, v2
	s_delay_alu instid0(VALU_DEP_1) | instskip(SKIP_1) | instid1(VALU_DEP_2)
	v_div_scale_f32 v0, null, v1, v1, 1.0
	v_div_scale_f32 v5, vcc_lo, 1.0, v1, 1.0
	v_rcp_f32_e32 v3, v0
	v_nop
	s_delay_alu instid0(TRANS32_DEP_1) | instskip(NEXT) | instid1(VALU_DEP_1)
	v_fma_f32 v4, -v0, v3, 1.0
	v_fmac_f32_e32 v3, v4, v3
	s_delay_alu instid0(VALU_DEP_1) | instskip(NEXT) | instid1(VALU_DEP_1)
	v_mul_f32_e32 v4, v5, v3
	v_fma_f32 v6, -v0, v4, v5
	s_delay_alu instid0(VALU_DEP_1) | instskip(NEXT) | instid1(VALU_DEP_1)
	v_fmac_f32_e32 v4, v6, v3
	v_fma_f32 v0, -v0, v4, v5
	s_delay_alu instid0(VALU_DEP_1) | instskip(NEXT) | instid1(VALU_DEP_1)
	v_div_fmas_f32 v0, v0, v3, v4
	v_div_fixup_f32 v0, v0, v1, 1.0
	s_delay_alu instid0(VALU_DEP_1)
	v_mul_f32_e32 v2, v2, v0
	v_xor_b32_e32 v3, 0x80000000, v0
                                        ; implicit-def: $vgpr0_vgpr1
.LBB87_14:
	s_and_not1_saveexec_b32 s1, s1
	s_cbranch_execz .LBB87_16
; %bb.15:
	v_div_scale_f32 v2, null, v0, v0, v1
	v_div_scale_f32 v5, vcc_lo, v1, v0, v1
	s_delay_alu instid0(VALU_DEP_2) | instskip(SKIP_1) | instid1(TRANS32_DEP_1)
	v_rcp_f32_e32 v3, v2
	v_nop
	v_fma_f32 v4, -v2, v3, 1.0
	s_delay_alu instid0(VALU_DEP_1) | instskip(NEXT) | instid1(VALU_DEP_1)
	v_fmac_f32_e32 v3, v4, v3
	v_mul_f32_e32 v4, v5, v3
	s_delay_alu instid0(VALU_DEP_1) | instskip(NEXT) | instid1(VALU_DEP_1)
	v_fma_f32 v6, -v2, v4, v5
	v_fmac_f32_e32 v4, v6, v3
	s_delay_alu instid0(VALU_DEP_1) | instskip(NEXT) | instid1(VALU_DEP_1)
	v_fma_f32 v2, -v2, v4, v5
	v_div_fmas_f32 v2, v2, v3, v4
	s_delay_alu instid0(VALU_DEP_1) | instskip(NEXT) | instid1(VALU_DEP_1)
	v_div_fixup_f32 v3, v2, v0, v1
	v_fmac_f32_e32 v0, v1, v3
	s_delay_alu instid0(VALU_DEP_1) | instskip(NEXT) | instid1(VALU_DEP_1)
	v_div_scale_f32 v1, null, v0, v0, 1.0
	v_rcp_f32_e32 v2, v1
	v_nop
	s_delay_alu instid0(TRANS32_DEP_1) | instskip(NEXT) | instid1(VALU_DEP_1)
	v_fma_f32 v4, -v1, v2, 1.0
	v_fmac_f32_e32 v2, v4, v2
	v_div_scale_f32 v4, vcc_lo, 1.0, v0, 1.0
	s_delay_alu instid0(VALU_DEP_1) | instskip(NEXT) | instid1(VALU_DEP_1)
	v_mul_f32_e32 v5, v4, v2
	v_fma_f32 v6, -v1, v5, v4
	s_delay_alu instid0(VALU_DEP_1) | instskip(NEXT) | instid1(VALU_DEP_1)
	v_fmac_f32_e32 v5, v6, v2
	v_fma_f32 v1, -v1, v5, v4
	s_delay_alu instid0(VALU_DEP_1) | instskip(NEXT) | instid1(VALU_DEP_1)
	v_div_fmas_f32 v1, v1, v2, v5
	v_div_fixup_f32 v2, v1, v0, 1.0
	s_delay_alu instid0(VALU_DEP_1)
	v_mul_f32_e64 v3, v3, -v2
.LBB87_16:
	s_or_b32 exec_lo, exec_lo, s1
	ds_store_b64 v31, v[2:3]
.LBB87_17:
	s_or_b32 exec_lo, exec_lo, s2
	s_wait_dscnt 0x0
	s_barrier_signal -1
	s_barrier_wait -1
	ds_load_b64 v[180:181], v31
	s_mov_b32 s1, exec_lo
	v_cmpx_lt_u32_e32 1, v30
	s_cbranch_execz .LBB87_19
; %bb.18:
	ds_load_2addr_b64 v[4:7], v12 offset0:2 offset1:3
	ds_load_2addr_b64 v[182:185], v12 offset0:4 offset1:5
	;; [unrolled: 1-line block ×3, first 2 shown]
	s_wait_dscnt 0x3
	v_pk_mul_f32 v[2:3], v[180:181], v[52:53] op_sel:[1,1] op_sel_hi:[0,1]
	ds_load_2addr_b64 v[190:193], v12 offset0:8 offset1:9
	ds_load_2addr_b64 v[194:197], v12 offset0:10 offset1:11
	v_pk_fma_f32 v[0:1], v[180:181], v[52:53], v[2:3] op_sel_hi:[1,0,1] neg_lo:[0,0,1] neg_hi:[0,0,1]
	v_pk_fma_f32 v[2:3], v[180:181], v[52:53], v[2:3] op_sel_hi:[1,0,1]
	s_delay_alu instid0(VALU_DEP_1) | instskip(SKIP_1) | instid1(VALU_DEP_2)
	v_dual_mov_b32 v52, v0 :: v_dual_mov_b32 v53, v3
	s_wait_dscnt 0x4
	v_pk_mul_f32 v[8:9], v[4:5], v[2:3] op_sel:[0,1]
	v_pk_mul_f32 v[18:19], v[6:7], v[2:3] op_sel:[0,1]
	s_wait_dscnt 0x3
	v_pk_mul_f32 v[20:21], v[182:183], v[2:3] op_sel:[0,1]
	v_dual_mov_b32 v198, v185 :: v_dual_mov_b32 v199, v184
	v_pk_fma_f32 v[210:211], v[4:5], v[0:1], v[8:9] op_sel:[0,0,1] op_sel_hi:[1,1,0] neg_lo:[0,0,1] neg_hi:[0,0,1]
	v_pk_fma_f32 v[4:5], v[4:5], v[0:1], v[8:9] op_sel:[0,0,1] op_sel_hi:[1,0,0]
	v_pk_fma_f32 v[8:9], v[6:7], v[0:1], v[18:19] op_sel:[0,0,1] op_sel_hi:[1,1,0] neg_lo:[0,0,1] neg_hi:[0,0,1]
	v_pk_fma_f32 v[6:7], v[6:7], v[0:1], v[18:19] op_sel:[0,0,1] op_sel_hi:[1,0,0]
	v_dual_mul_f32 v200, v185, v3 :: v_dual_mul_f32 v202, v185, v0
	s_wait_dscnt 0x2
	v_pk_mul_f32 v[204:205], v[186:187], v[2:3] op_sel:[0,1]
	v_pk_fma_f32 v[18:19], v[182:183], v[0:1], v[20:21] op_sel:[0,0,1] op_sel_hi:[1,1,0] neg_lo:[0,0,1] neg_hi:[0,0,1]
	v_pk_fma_f32 v[20:21], v[182:183], v[0:1], v[20:21] op_sel:[0,0,1] op_sel_hi:[1,0,0]
	v_dual_mov_b32 v211, v5 :: v_dual_mov_b32 v9, v7
	v_pk_mul_f32 v[206:207], v[188:189], v[2:3] op_sel:[0,1]
	v_pk_fma_f32 v[182:183], v[184:185], v[52:53], v[200:201] op_sel_hi:[1,1,0] neg_lo:[0,0,1] neg_hi:[0,0,1]
	v_pk_fma_f32 v[184:185], v[198:199], v[52:53], v[202:203] op_sel_hi:[1,1,0]
	v_mov_b32_e32 v19, v21
	v_pk_fma_f32 v[4:5], v[186:187], v[0:1], v[204:205] op_sel:[0,0,1] op_sel_hi:[1,0,0]
	s_wait_dscnt 0x1
	v_pk_mul_f32 v[208:209], v[190:191], v[2:3] op_sel:[0,1]
	v_pk_add_f32 v[78:79], v[78:79], v[8:9] neg_lo:[0,1] neg_hi:[0,1]
	v_pk_fma_f32 v[8:9], v[186:187], v[0:1], v[204:205] op_sel:[0,0,1] op_sel_hi:[1,1,0] neg_lo:[0,0,1] neg_hi:[0,0,1]
	v_mov_b32_e32 v183, v185
	v_pk_add_f32 v[50:51], v[50:51], v[18:19] neg_lo:[0,1] neg_hi:[0,1]
	v_pk_fma_f32 v[18:19], v[188:189], v[0:1], v[206:207] op_sel:[0,0,1] op_sel_hi:[1,0,0]
	v_mov_b32_e32 v9, v5
	ds_load_2addr_b64 v[4:7], v12 offset0:12 offset1:13
	v_pk_fma_f32 v[20:21], v[190:191], v[0:1], v[208:209] op_sel:[0,0,1] op_sel_hi:[1,0,0]
	v_pk_fma_f32 v[184:185], v[188:189], v[0:1], v[206:207] op_sel:[0,0,1] op_sel_hi:[1,1,0] neg_lo:[0,0,1] neg_hi:[0,0,1]
	v_mov_b32_e32 v185, v19
	v_pk_fma_f32 v[18:19], v[190:191], v[0:1], v[208:209] op_sel:[0,0,1] op_sel_hi:[1,1,0] neg_lo:[0,0,1] neg_hi:[0,0,1]
	v_pk_add_f32 v[46:47], v[46:47], v[8:9] neg_lo:[0,1] neg_hi:[0,1]
	s_wait_dscnt 0x1
	v_dual_mov_b32 v19, v21 :: v_dual_mul_f32 v8, v195, v0
	v_pk_mul_f32 v[20:21], v[192:193], v[2:3] op_sel:[0,1]
	v_pk_add_f32 v[44:45], v[44:45], v[182:183] neg_lo:[0,1] neg_hi:[0,1]
	v_pk_add_f32 v[28:29], v[28:29], v[184:185] neg_lo:[0,1] neg_hi:[0,1]
	v_pk_mul_f32 v[186:187], v[196:197], v[2:3] op_sel:[0,1]
	ds_load_2addr_b64 v[182:185], v12 offset0:14 offset1:15
	v_pk_add_f32 v[76:77], v[76:77], v[18:19] neg_lo:[0,1] neg_hi:[0,1]
	v_pk_fma_f32 v[18:19], v[192:193], v[0:1], v[20:21] op_sel:[0,0,1] op_sel_hi:[1,0,0]
	v_pk_fma_f32 v[8:9], v[194:195], v[52:53], v[8:9] op_sel:[1,0,0] op_sel_hi:[0,1,0]
	v_mul_f32_e32 v18, v195, v3
	v_pk_fma_f32 v[188:189], v[196:197], v[0:1], v[186:187] op_sel:[0,0,1] op_sel_hi:[1,0,0]
	v_pk_fma_f32 v[20:21], v[192:193], v[0:1], v[20:21] op_sel:[0,0,1] op_sel_hi:[1,1,0] neg_lo:[0,0,1] neg_hi:[0,0,1]
	v_mov_b32_e32 v21, v19
	v_pk_fma_f32 v[186:187], v[196:197], v[0:1], v[186:187] op_sel:[0,0,1] op_sel_hi:[1,1,0] neg_lo:[0,0,1] neg_hi:[0,0,1]
	v_pk_fma_f32 v[18:19], v[194:195], v[52:53], v[18:19] op_sel_hi:[1,1,0] neg_lo:[0,0,1] neg_hi:[0,0,1]
	v_mov_b32_e32 v19, v9
	s_wait_dscnt 0x1
	v_pk_mul_f32 v[8:9], v[4:5], v[2:3] op_sel:[0,1]
	v_mov_b32_e32 v187, v189
	v_pk_add_f32 v[72:73], v[72:73], v[20:21] neg_lo:[0,1] neg_hi:[0,1]
	v_pk_mul_f32 v[20:21], v[6:7], v[2:3] op_sel:[0,1]
	v_pk_add_f32 v[74:75], v[74:75], v[18:19] neg_lo:[0,1] neg_hi:[0,1]
	v_pk_fma_f32 v[18:19], v[4:5], v[0:1], v[8:9] op_sel:[0,0,1] op_sel_hi:[1,0,0]
	v_pk_add_f32 v[70:71], v[70:71], v[186:187] neg_lo:[0,1] neg_hi:[0,1]
	ds_load_2addr_b64 v[186:189], v12 offset0:16 offset1:17
	v_pk_fma_f32 v[8:9], v[4:5], v[0:1], v[8:9] op_sel:[0,0,1] op_sel_hi:[1,1,0] neg_lo:[0,0,1] neg_hi:[0,0,1]
	s_wait_dscnt 0x1
	v_pk_mul_f32 v[190:191], v[182:183], v[2:3] op_sel:[0,1]
	v_dual_mov_b32 v9, v19 :: v_dual_mov_b32 v192, v185
	v_pk_fma_f32 v[18:19], v[6:7], v[0:1], v[20:21] op_sel:[0,0,1] op_sel_hi:[1,1,0] neg_lo:[0,0,1] neg_hi:[0,0,1]
	v_pk_fma_f32 v[20:21], v[6:7], v[0:1], v[20:21] op_sel:[0,0,1] op_sel_hi:[1,0,0]
	ds_load_2addr_b64 v[4:7], v12 offset0:18 offset1:19
	v_dual_mov_b32 v193, v184 :: v_dual_mul_f32 v20, v185, v0
	v_pk_add_f32 v[102:103], v[102:103], v[8:9] neg_lo:[0,1] neg_hi:[0,1]
	v_mov_b32_e32 v19, v21
	v_pk_fma_f32 v[8:9], v[182:183], v[0:1], v[190:191] op_sel:[0,0,1] op_sel_hi:[1,0,0]
	v_mul_f32_e32 v8, v185, v3
	v_pk_fma_f32 v[20:21], v[192:193], v[52:53], v[20:21] op_sel_hi:[1,1,0]
	v_pk_add_f32 v[48:49], v[48:49], v[210:211] neg_lo:[0,1] neg_hi:[0,1]
	v_pk_add_f32 v[68:69], v[68:69], v[18:19] neg_lo:[0,1] neg_hi:[0,1]
	v_pk_fma_f32 v[18:19], v[182:183], v[0:1], v[190:191] op_sel:[0,0,1] op_sel_hi:[1,1,0] neg_lo:[0,0,1] neg_hi:[0,0,1]
	v_mov_b32_e32 v19, v9
	v_pk_fma_f32 v[8:9], v[184:185], v[52:53], v[8:9] op_sel_hi:[1,1,0] neg_lo:[0,0,1] neg_hi:[0,0,1]
	ds_load_2addr_b64 v[182:185], v12 offset0:20 offset1:21
	ds_load_2addr_b64 v[190:193], v12 offset0:22 offset1:23
	v_mov_b32_e32 v9, v21
	s_wait_dscnt 0x3
	v_pk_mul_f32 v[20:21], v[186:187], v[2:3] op_sel:[0,1]
	v_pk_mul_f32 v[194:195], v[188:189], v[2:3] op_sel:[0,1]
	v_pk_add_f32 v[100:101], v[100:101], v[18:19] neg_lo:[0,1] neg_hi:[0,1]
	v_pk_add_f32 v[98:99], v[98:99], v[8:9] neg_lo:[0,1] neg_hi:[0,1]
	s_delay_alu instid0(VALU_DEP_4)
	v_pk_fma_f32 v[8:9], v[186:187], v[0:1], v[20:21] op_sel:[0,0,1] op_sel_hi:[1,0,0]
	v_pk_fma_f32 v[18:19], v[186:187], v[0:1], v[20:21] op_sel:[0,0,1] op_sel_hi:[1,1,0] neg_lo:[0,0,1] neg_hi:[0,0,1]
	s_wait_dscnt 0x2
	v_pk_mul_f32 v[186:187], v[4:5], v[2:3] op_sel:[0,1]
	v_pk_fma_f32 v[20:21], v[188:189], v[0:1], v[194:195] op_sel:[0,0,1] op_sel_hi:[1,0,0]
	v_mov_b32_e32 v19, v9
	v_pk_fma_f32 v[8:9], v[188:189], v[0:1], v[194:195] op_sel:[0,0,1] op_sel_hi:[1,1,0] neg_lo:[0,0,1] neg_hi:[0,0,1]
	v_pk_mul_f32 v[188:189], v[6:7], v[2:3] op_sel:[0,1]
	v_pk_fma_f32 v[194:195], v[4:5], v[0:1], v[186:187] op_sel:[0,0,1] op_sel_hi:[1,0,0]
	v_mov_b32_e32 v9, v21
	v_pk_add_f32 v[120:121], v[120:121], v[18:19] neg_lo:[0,1] neg_hi:[0,1]
	v_pk_fma_f32 v[4:5], v[4:5], v[0:1], v[186:187] op_sel:[0,0,1] op_sel_hi:[1,1,0] neg_lo:[0,0,1] neg_hi:[0,0,1]
	v_pk_fma_f32 v[18:19], v[6:7], v[0:1], v[188:189] op_sel:[0,0,1] op_sel_hi:[1,0,0]
	s_wait_dscnt 0x1
	v_mul_f32_e32 v18, v183, v0
	v_mov_b32_e32 v5, v195
	v_pk_add_f32 v[56:57], v[56:57], v[8:9] neg_lo:[0,1] neg_hi:[0,1]
	v_pk_fma_f32 v[8:9], v[6:7], v[0:1], v[188:189] op_sel:[0,0,1] op_sel_hi:[1,1,0] neg_lo:[0,0,1] neg_hi:[0,0,1]
	v_mul_f32_e32 v20, v183, v3
	v_mov_b32_e32 v9, v19
	v_pk_fma_f32 v[18:19], v[182:183], v[52:53], v[18:19] op_sel:[1,0,0] op_sel_hi:[0,1,0]
	v_pk_add_f32 v[58:59], v[58:59], v[4:5] neg_lo:[0,1] neg_hi:[0,1]
	ds_load_2addr_b64 v[4:7], v12 offset0:24 offset1:25
	ds_load_2addr_b64 v[186:189], v12 offset0:26 offset1:27
	v_pk_fma_f32 v[20:21], v[182:183], v[52:53], v[20:21] op_sel_hi:[1,1,0] neg_lo:[0,0,1] neg_hi:[0,0,1]
	v_mov_b32_e32 v21, v19
	v_pk_add_f32 v[54:55], v[54:55], v[8:9] neg_lo:[0,1] neg_hi:[0,1]
	v_pk_mul_f32 v[8:9], v[184:185], v[2:3] op_sel:[0,1]
	s_wait_dscnt 0x2
	v_pk_mul_f32 v[194:195], v[190:191], v[2:3] op_sel:[0,1]
	v_pk_mul_f32 v[18:19], v[192:193], v[2:3] op_sel:[0,1]
	v_pk_add_f32 v[86:87], v[86:87], v[20:21] neg_lo:[0,1] neg_hi:[0,1]
	v_pk_fma_f32 v[182:183], v[184:185], v[0:1], v[8:9] op_sel:[0,0,1] op_sel_hi:[1,0,0]
	s_delay_alu instid0(VALU_DEP_4)
	v_pk_fma_f32 v[196:197], v[190:191], v[0:1], v[194:195] op_sel:[0,0,1] op_sel_hi:[1,0,0]
	v_pk_fma_f32 v[8:9], v[184:185], v[0:1], v[8:9] op_sel:[0,0,1] op_sel_hi:[1,1,0] neg_lo:[0,0,1] neg_hi:[0,0,1]
	v_pk_fma_f32 v[184:185], v[192:193], v[0:1], v[18:19] op_sel:[0,0,1] op_sel_hi:[1,0,0]
	v_pk_fma_f32 v[18:19], v[192:193], v[0:1], v[18:19] op_sel:[0,0,1] op_sel_hi:[1,1,0] neg_lo:[0,0,1] neg_hi:[0,0,1]
	v_mov_b32_e32 v9, v183
	v_pk_fma_f32 v[182:183], v[190:191], v[0:1], v[194:195] op_sel:[0,0,1] op_sel_hi:[1,1,0] neg_lo:[0,0,1] neg_hi:[0,0,1]
	s_delay_alu instid0(VALU_DEP_4)
	v_dual_mov_b32 v183, v197 :: v_dual_mov_b32 v19, v185
	ds_load_2addr_b64 v[190:193], v12 offset0:30 offset1:31
	s_wait_dscnt 0x2
	v_pk_mul_f32 v[20:21], v[4:5], v[2:3] op_sel:[0,1]
	v_pk_add_f32 v[82:83], v[82:83], v[8:9] neg_lo:[0,1] neg_hi:[0,1]
	v_pk_add_f32 v[84:85], v[84:85], v[182:183] neg_lo:[0,1] neg_hi:[0,1]
	ds_load_2addr_b64 v[182:185], v12 offset0:28 offset1:29
	v_pk_add_f32 v[80:81], v[80:81], v[18:19] neg_lo:[0,1] neg_hi:[0,1]
	v_pk_fma_f32 v[8:9], v[4:5], v[0:1], v[20:21] op_sel:[0,0,1] op_sel_hi:[1,0,0]
	v_dual_mov_b32 v18, v7 :: v_dual_mov_b32 v19, v6
	v_mul_f32_e32 v8, v7, v0
	v_pk_fma_f32 v[4:5], v[4:5], v[0:1], v[20:21] op_sel:[0,0,1] op_sel_hi:[1,1,0] neg_lo:[0,0,1] neg_hi:[0,0,1]
	s_delay_alu instid0(VALU_DEP_4)
	v_mov_b32_e32 v5, v9
	s_wait_dscnt 0x2
	v_pk_mul_f32 v[20:21], v[186:187], v[2:3] op_sel:[0,1]
	v_pk_fma_f32 v[8:9], v[18:19], v[52:53], v[8:9] op_sel_hi:[1,1,0]
	v_mul_f32_e32 v194, v7, v3
	v_pk_mul_f32 v[18:19], v[188:189], v[2:3] op_sel:[0,1]
	v_pk_add_f32 v[110:111], v[110:111], v[4:5] neg_lo:[0,1] neg_hi:[0,1]
	v_pk_fma_f32 v[4:5], v[186:187], v[0:1], v[20:21] op_sel:[0,0,1] op_sel_hi:[1,0,0]
	s_delay_alu instid0(VALU_DEP_4) | instskip(NEXT) | instid1(VALU_DEP_4)
	v_pk_fma_f32 v[194:195], v[6:7], v[52:53], v[194:195] op_sel_hi:[1,1,0] neg_lo:[0,0,1] neg_hi:[0,0,1]
	v_pk_fma_f32 v[6:7], v[188:189], v[0:1], v[18:19] op_sel:[0,0,1] op_sel_hi:[1,0,0]
	v_mov_b32_e32 v195, v9
	v_pk_fma_f32 v[8:9], v[186:187], v[0:1], v[20:21] op_sel:[0,0,1] op_sel_hi:[1,1,0] neg_lo:[0,0,1] neg_hi:[0,0,1]
	v_mov_b32_e32 v9, v5
	v_pk_fma_f32 v[18:19], v[188:189], v[0:1], v[18:19] op_sel:[0,0,1] op_sel_hi:[1,1,0] neg_lo:[0,0,1] neg_hi:[0,0,1]
	s_wait_dscnt 0x0
	v_pk_mul_f32 v[20:21], v[182:183], v[2:3] op_sel:[0,1]
	v_mov_b32_e32 v19, v7
	ds_load_2addr_b64 v[4:7], v12 offset0:32 offset1:33
	v_pk_mul_f32 v[186:187], v[184:185], v[2:3] op_sel:[0,1]
	v_pk_add_f32 v[108:109], v[108:109], v[8:9] neg_lo:[0,1] neg_hi:[0,1]
	v_pk_fma_f32 v[8:9], v[182:183], v[0:1], v[20:21] op_sel:[0,0,1] op_sel_hi:[1,0,0]
	v_mul_f32_e32 v8, v191, v0
	v_pk_add_f32 v[104:105], v[104:105], v[18:19] neg_lo:[0,1] neg_hi:[0,1]
	v_pk_fma_f32 v[18:19], v[182:183], v[0:1], v[20:21] op_sel:[0,0,1] op_sel_hi:[1,1,0] neg_lo:[0,0,1] neg_hi:[0,0,1]
	v_pk_fma_f32 v[20:21], v[184:185], v[0:1], v[186:187] op_sel:[0,0,1] op_sel_hi:[1,0,0]
	v_dual_mul_f32 v20, v191, v3 :: v_dual_mov_b32 v19, v9
	v_pk_fma_f32 v[8:9], v[190:191], v[52:53], v[8:9] op_sel:[1,0,0] op_sel_hi:[0,1,0]
	v_pk_fma_f32 v[186:187], v[184:185], v[0:1], v[186:187] op_sel:[0,0,1] op_sel_hi:[1,1,0] neg_lo:[0,0,1] neg_hi:[0,0,1]
	ds_load_2addr_b64 v[182:185], v12 offset0:34 offset1:35
	v_mov_b32_e32 v187, v21
	v_pk_fma_f32 v[20:21], v[190:191], v[52:53], v[20:21] op_sel_hi:[1,1,0] neg_lo:[0,0,1] neg_hi:[0,0,1]
	v_mov_b32_e32 v21, v9
	v_pk_mul_f32 v[8:9], v[192:193], v[2:3] op_sel:[0,1]
	v_pk_add_f32 v[128:129], v[128:129], v[18:19] neg_lo:[0,1] neg_hi:[0,1]
	v_pk_add_f32 v[106:107], v[106:107], v[194:195] neg_lo:[0,1] neg_hi:[0,1]
	;; [unrolled: 1-line block ×3, first 2 shown]
	s_wait_dscnt 0x1
	v_pk_mul_f32 v[18:19], v[4:5], v[2:3] op_sel:[0,1]
	v_pk_fma_f32 v[190:191], v[192:193], v[0:1], v[8:9] op_sel:[0,0,1] op_sel_hi:[1,0,0]
	v_pk_fma_f32 v[8:9], v[192:193], v[0:1], v[8:9] op_sel:[0,0,1] op_sel_hi:[1,1,0] neg_lo:[0,0,1] neg_hi:[0,0,1]
	ds_load_2addr_b64 v[186:189], v12 offset0:36 offset1:37
	v_pk_fma_f32 v[194:195], v[4:5], v[0:1], v[18:19] op_sel:[0,0,1] op_sel_hi:[1,0,0]
	v_mov_b32_e32 v9, v191
	v_pk_add_f32 v[126:127], v[126:127], v[20:21] neg_lo:[0,1] neg_hi:[0,1]
	v_pk_mul_f32 v[20:21], v[6:7], v[2:3] op_sel:[0,1]
	v_pk_fma_f32 v[4:5], v[4:5], v[0:1], v[18:19] op_sel:[0,0,1] op_sel_hi:[1,1,0] neg_lo:[0,0,1] neg_hi:[0,0,1]
	s_delay_alu instid0(VALU_DEP_4)
	v_pk_add_f32 v[122:123], v[122:123], v[8:9] neg_lo:[0,1] neg_hi:[0,1]
	s_wait_dscnt 0x1
	v_mul_f32_e32 v194, v185, v3
	v_pk_fma_f32 v[192:193], v[6:7], v[0:1], v[20:21] op_sel:[0,0,1] op_sel_hi:[1,0,0]
	v_mov_b32_e32 v5, v195
	v_pk_fma_f32 v[18:19], v[6:7], v[0:1], v[20:21] op_sel:[0,0,1] op_sel_hi:[1,1,0] neg_lo:[0,0,1] neg_hi:[0,0,1]
	v_pk_mul_f32 v[20:21], v[182:183], v[2:3] op_sel:[0,1]
	v_pk_fma_f32 v[194:195], v[184:185], v[52:53], v[194:195] op_sel_hi:[1,1,0] neg_lo:[0,0,1] neg_hi:[0,0,1]
	v_mov_b32_e32 v19, v193
	v_pk_add_f32 v[148:149], v[148:149], v[4:5] neg_lo:[0,1] neg_hi:[0,1]
	ds_load_2addr_b64 v[4:7], v12 offset0:38 offset1:39
	v_pk_fma_f32 v[8:9], v[182:183], v[0:1], v[20:21] op_sel:[0,0,1] op_sel_hi:[1,0,0]
	v_mul_f32_e32 v8, v185, v0
	v_pk_add_f32 v[144:145], v[144:145], v[18:19] neg_lo:[0,1] neg_hi:[0,1]
	v_pk_fma_f32 v[18:19], v[182:183], v[0:1], v[20:21] op_sel:[0,0,1] op_sel_hi:[1,1,0] neg_lo:[0,0,1] neg_hi:[0,0,1]
	v_dual_mov_b32 v20, v185 :: v_dual_mov_b32 v21, v184
	ds_load_2addr_b64 v[190:193], v12 offset0:40 offset1:41
	v_mov_b32_e32 v19, v9
	s_wait_dscnt 0x2
	v_pk_mul_f32 v[182:183], v[186:187], v[2:3] op_sel:[0,1]
	v_pk_fma_f32 v[8:9], v[20:21], v[52:53], v[8:9] op_sel_hi:[1,1,0]
	v_pk_mul_f32 v[20:21], v[188:189], v[2:3] op_sel:[0,1]
	s_delay_alu instid0(VALU_DEP_2)
	v_mov_b32_e32 v195, v9
	v_pk_add_f32 v[146:147], v[146:147], v[18:19] neg_lo:[0,1] neg_hi:[0,1]
	v_pk_fma_f32 v[18:19], v[186:187], v[0:1], v[182:183] op_sel:[0,0,1] op_sel_hi:[1,0,0]
	v_pk_fma_f32 v[8:9], v[186:187], v[0:1], v[182:183] op_sel:[0,0,1] op_sel_hi:[1,1,0] neg_lo:[0,0,1] neg_hi:[0,0,1]
	s_wait_dscnt 0x1
	v_pk_mul_f32 v[186:187], v[4:5], v[2:3] op_sel:[0,1]
	ds_load_2addr_b64 v[182:185], v12 offset0:42 offset1:43
	v_pk_add_f32 v[142:143], v[142:143], v[194:195] neg_lo:[0,1] neg_hi:[0,1]
	v_mov_b32_e32 v9, v19
	v_pk_fma_f32 v[18:19], v[188:189], v[0:1], v[20:21] op_sel:[0,0,1] op_sel_hi:[1,0,0]
	s_delay_alu instid0(VALU_DEP_2)
	v_pk_add_f32 v[170:171], v[170:171], v[8:9] neg_lo:[0,1] neg_hi:[0,1]
	v_pk_fma_f32 v[8:9], v[188:189], v[0:1], v[20:21] op_sel:[0,0,1] op_sel_hi:[1,1,0] neg_lo:[0,0,1] neg_hi:[0,0,1]
	v_pk_fma_f32 v[20:21], v[4:5], v[0:1], v[186:187] op_sel:[0,0,1] op_sel_hi:[1,0,0]
	s_wait_dscnt 0x1
	v_mul_f32_e32 v20, v191, v0
	v_pk_fma_f32 v[4:5], v[4:5], v[0:1], v[186:187] op_sel:[0,0,1] op_sel_hi:[1,1,0] neg_lo:[0,0,1] neg_hi:[0,0,1]
	s_delay_alu instid0(VALU_DEP_3) | instskip(NEXT) | instid1(VALU_DEP_3)
	v_mov_b32_e32 v5, v21
	v_pk_fma_f32 v[20:21], v[190:191], v[52:53], v[20:21] op_sel:[1,0,0] op_sel_hi:[0,1,0]
	v_mov_b32_e32 v9, v19
	v_pk_mul_f32 v[18:19], v[6:7], v[2:3] op_sel:[0,1]
	s_delay_alu instid0(VALU_DEP_4)
	v_pk_add_f32 v[168:169], v[168:169], v[4:5] neg_lo:[0,1] neg_hi:[0,1]
	s_wait_dscnt 0x0
	v_mov_b32_e32 v20, v185
	v_pk_add_f32 v[164:165], v[164:165], v[8:9] neg_lo:[0,1] neg_hi:[0,1]
	v_pk_fma_f32 v[8:9], v[6:7], v[0:1], v[18:19] op_sel:[0,0,1] op_sel_hi:[1,0,0]
	v_mul_f32_e32 v8, v191, v3
	v_pk_fma_f32 v[4:5], v[6:7], v[0:1], v[18:19] op_sel:[0,0,1] op_sel_hi:[1,1,0] neg_lo:[0,0,1] neg_hi:[0,0,1]
	v_pk_mul_f32 v[18:19], v[182:183], v[2:3] op_sel:[0,1]
	s_delay_alu instid0(VALU_DEP_4) | instskip(NEXT) | instid1(VALU_DEP_4)
	v_mov_b32_e32 v5, v9
	v_pk_fma_f32 v[6:7], v[190:191], v[52:53], v[8:9] op_sel_hi:[1,1,0] neg_lo:[0,0,1] neg_hi:[0,0,1]
	v_pk_mul_f32 v[8:9], v[192:193], v[2:3] op_sel:[0,1]
	v_dual_mov_b32 v7, v21 :: v_dual_mov_b32 v21, v184
	v_mul_f32_e32 v2, v185, v0
	v_pk_fma_f32 v[188:189], v[182:183], v[0:1], v[18:19] op_sel:[0,0,1] op_sel_hi:[1,0,0]
	s_delay_alu instid0(VALU_DEP_4)
	v_pk_fma_f32 v[186:187], v[192:193], v[0:1], v[8:9] op_sel:[0,0,1] op_sel_hi:[1,0,0]
	v_mul_f32_e32 v186, v185, v3
	v_pk_fma_f32 v[8:9], v[192:193], v[0:1], v[8:9] op_sel:[0,0,1] op_sel_hi:[1,1,0] neg_lo:[0,0,1] neg_hi:[0,0,1]
	v_pk_fma_f32 v[2:3], v[20:21], v[52:53], v[2:3] op_sel_hi:[1,1,0]
	v_pk_fma_f32 v[0:1], v[182:183], v[0:1], v[18:19] op_sel:[0,0,1] op_sel_hi:[1,1,0] neg_lo:[0,0,1] neg_hi:[0,0,1]
	v_mov_b32_e32 v9, v187
	v_pk_fma_f32 v[18:19], v[184:185], v[52:53], v[186:187] op_sel_hi:[1,1,0] neg_lo:[0,0,1] neg_hi:[0,0,1]
	s_delay_alu instid0(VALU_DEP_4) | instskip(SKIP_3) | instid1(VALU_DEP_4)
	v_dual_mov_b32 v1, v189 :: v_dual_mov_b32 v19, v3
	v_pk_add_f32 v[162:163], v[162:163], v[4:5] neg_lo:[0,1] neg_hi:[0,1]
	v_pk_add_f32 v[166:167], v[166:167], v[6:7] neg_lo:[0,1] neg_hi:[0,1]
	;; [unrolled: 1-line block ×5, first 2 shown]
.LBB87_19:
	s_or_b32 exec_lo, exec_lo, s1
	s_delay_alu instid0(SALU_CYCLE_1)
	s_mov_b32 s2, exec_lo
	s_wait_dscnt 0x0
	s_barrier_signal -1
	s_barrier_wait -1
	v_cmpx_eq_u32_e32 2, v30
	s_cbranch_execz .LBB87_26
; %bb.20:
	ds_store_b64 v31, v[48:49]
	ds_store_2addr_b64 v12, v[78:79], v[50:51] offset0:3 offset1:4
	ds_store_2addr_b64 v12, v[44:45], v[46:47] offset0:5 offset1:6
	;; [unrolled: 1-line block ×20, first 2 shown]
	ds_store_b64 v12, v[176:177] offset:344
	ds_load_b64 v[0:1], v31
	s_wait_dscnt 0x0
	v_cmp_neq_f32_e32 vcc_lo, 0, v0
	v_cmp_neq_f32_e64 s1, 0, v1
	s_or_b32 s1, vcc_lo, s1
	s_delay_alu instid0(SALU_CYCLE_1)
	s_and_b32 exec_lo, exec_lo, s1
	s_cbranch_execz .LBB87_26
; %bb.21:
	v_cmp_ngt_f32_e64 s1, |v0|, |v1|
                                        ; implicit-def: $vgpr2_vgpr3
	s_and_saveexec_b32 s4, s1
	s_delay_alu instid0(SALU_CYCLE_1)
	s_xor_b32 s1, exec_lo, s4
	s_cbranch_execz .LBB87_23
; %bb.22:
	v_div_scale_f32 v2, null, v1, v1, v0
	v_div_scale_f32 v5, vcc_lo, v0, v1, v0
	s_delay_alu instid0(VALU_DEP_2) | instskip(SKIP_1) | instid1(TRANS32_DEP_1)
	v_rcp_f32_e32 v3, v2
	v_nop
	v_fma_f32 v4, -v2, v3, 1.0
	s_delay_alu instid0(VALU_DEP_1) | instskip(NEXT) | instid1(VALU_DEP_1)
	v_fmac_f32_e32 v3, v4, v3
	v_mul_f32_e32 v4, v5, v3
	s_delay_alu instid0(VALU_DEP_1) | instskip(NEXT) | instid1(VALU_DEP_1)
	v_fma_f32 v6, -v2, v4, v5
	v_fmac_f32_e32 v4, v6, v3
	s_delay_alu instid0(VALU_DEP_1) | instskip(NEXT) | instid1(VALU_DEP_1)
	v_fma_f32 v2, -v2, v4, v5
	v_div_fmas_f32 v2, v2, v3, v4
	s_delay_alu instid0(VALU_DEP_1) | instskip(NEXT) | instid1(VALU_DEP_1)
	v_div_fixup_f32 v2, v2, v1, v0
	v_fmac_f32_e32 v1, v0, v2
	s_delay_alu instid0(VALU_DEP_1) | instskip(SKIP_1) | instid1(VALU_DEP_2)
	v_div_scale_f32 v0, null, v1, v1, 1.0
	v_div_scale_f32 v5, vcc_lo, 1.0, v1, 1.0
	v_rcp_f32_e32 v3, v0
	v_nop
	s_delay_alu instid0(TRANS32_DEP_1) | instskip(NEXT) | instid1(VALU_DEP_1)
	v_fma_f32 v4, -v0, v3, 1.0
	v_fmac_f32_e32 v3, v4, v3
	s_delay_alu instid0(VALU_DEP_1) | instskip(NEXT) | instid1(VALU_DEP_1)
	v_mul_f32_e32 v4, v5, v3
	v_fma_f32 v6, -v0, v4, v5
	s_delay_alu instid0(VALU_DEP_1) | instskip(NEXT) | instid1(VALU_DEP_1)
	v_fmac_f32_e32 v4, v6, v3
	v_fma_f32 v0, -v0, v4, v5
	s_delay_alu instid0(VALU_DEP_1) | instskip(NEXT) | instid1(VALU_DEP_1)
	v_div_fmas_f32 v0, v0, v3, v4
	v_div_fixup_f32 v0, v0, v1, 1.0
	s_delay_alu instid0(VALU_DEP_1)
	v_mul_f32_e32 v2, v2, v0
	v_xor_b32_e32 v3, 0x80000000, v0
                                        ; implicit-def: $vgpr0_vgpr1
.LBB87_23:
	s_and_not1_saveexec_b32 s1, s1
	s_cbranch_execz .LBB87_25
; %bb.24:
	v_div_scale_f32 v2, null, v0, v0, v1
	v_div_scale_f32 v5, vcc_lo, v1, v0, v1
	s_delay_alu instid0(VALU_DEP_2) | instskip(SKIP_1) | instid1(TRANS32_DEP_1)
	v_rcp_f32_e32 v3, v2
	v_nop
	v_fma_f32 v4, -v2, v3, 1.0
	s_delay_alu instid0(VALU_DEP_1) | instskip(NEXT) | instid1(VALU_DEP_1)
	v_fmac_f32_e32 v3, v4, v3
	v_mul_f32_e32 v4, v5, v3
	s_delay_alu instid0(VALU_DEP_1) | instskip(NEXT) | instid1(VALU_DEP_1)
	v_fma_f32 v6, -v2, v4, v5
	v_fmac_f32_e32 v4, v6, v3
	s_delay_alu instid0(VALU_DEP_1) | instskip(NEXT) | instid1(VALU_DEP_1)
	v_fma_f32 v2, -v2, v4, v5
	v_div_fmas_f32 v2, v2, v3, v4
	s_delay_alu instid0(VALU_DEP_1) | instskip(NEXT) | instid1(VALU_DEP_1)
	v_div_fixup_f32 v3, v2, v0, v1
	v_fmac_f32_e32 v0, v1, v3
	s_delay_alu instid0(VALU_DEP_1) | instskip(NEXT) | instid1(VALU_DEP_1)
	v_div_scale_f32 v1, null, v0, v0, 1.0
	v_rcp_f32_e32 v2, v1
	v_nop
	s_delay_alu instid0(TRANS32_DEP_1) | instskip(NEXT) | instid1(VALU_DEP_1)
	v_fma_f32 v4, -v1, v2, 1.0
	v_fmac_f32_e32 v2, v4, v2
	v_div_scale_f32 v4, vcc_lo, 1.0, v0, 1.0
	s_delay_alu instid0(VALU_DEP_1) | instskip(NEXT) | instid1(VALU_DEP_1)
	v_mul_f32_e32 v5, v4, v2
	v_fma_f32 v6, -v1, v5, v4
	s_delay_alu instid0(VALU_DEP_1) | instskip(NEXT) | instid1(VALU_DEP_1)
	v_fmac_f32_e32 v5, v6, v2
	v_fma_f32 v1, -v1, v5, v4
	s_delay_alu instid0(VALU_DEP_1) | instskip(NEXT) | instid1(VALU_DEP_1)
	v_div_fmas_f32 v1, v1, v2, v5
	v_div_fixup_f32 v2, v1, v0, 1.0
	s_delay_alu instid0(VALU_DEP_1)
	v_mul_f32_e64 v3, v3, -v2
.LBB87_25:
	s_or_b32 exec_lo, exec_lo, s1
	ds_store_b64 v31, v[2:3]
.LBB87_26:
	s_or_b32 exec_lo, exec_lo, s2
	s_wait_dscnt 0x0
	s_barrier_signal -1
	s_barrier_wait -1
	ds_load_b64 v[182:183], v31
	s_mov_b32 s1, exec_lo
	v_cmpx_lt_u32_e32 2, v30
	s_cbranch_execz .LBB87_28
; %bb.27:
	ds_load_2addr_b64 v[4:7], v12 offset0:3 offset1:4
	ds_load_2addr_b64 v[184:187], v12 offset0:5 offset1:6
	;; [unrolled: 1-line block ×3, first 2 shown]
	s_wait_dscnt 0x3
	v_pk_mul_f32 v[2:3], v[182:183], v[48:49] op_sel:[1,1] op_sel_hi:[0,1]
	ds_load_2addr_b64 v[192:195], v12 offset0:9 offset1:10
	ds_load_2addr_b64 v[196:199], v12 offset0:11 offset1:12
	v_pk_fma_f32 v[0:1], v[182:183], v[48:49], v[2:3] op_sel_hi:[1,0,1] neg_lo:[0,0,1] neg_hi:[0,0,1]
	v_pk_fma_f32 v[2:3], v[182:183], v[48:49], v[2:3] op_sel_hi:[1,0,1]
	s_delay_alu instid0(VALU_DEP_1) | instskip(SKIP_1) | instid1(VALU_DEP_2)
	v_dual_mov_b32 v48, v0 :: v_dual_mov_b32 v49, v3
	s_wait_dscnt 0x4
	v_pk_mul_f32 v[8:9], v[4:5], v[2:3] op_sel:[0,1]
	v_pk_mul_f32 v[18:19], v[6:7], v[2:3] op_sel:[0,1]
	s_wait_dscnt 0x3
	v_pk_mul_f32 v[20:21], v[184:185], v[2:3] op_sel:[0,1]
	v_dual_mov_b32 v200, v187 :: v_dual_mov_b32 v201, v186
	v_pk_fma_f32 v[212:213], v[4:5], v[0:1], v[8:9] op_sel:[0,0,1] op_sel_hi:[1,1,0] neg_lo:[0,0,1] neg_hi:[0,0,1]
	v_pk_fma_f32 v[4:5], v[4:5], v[0:1], v[8:9] op_sel:[0,0,1] op_sel_hi:[1,0,0]
	v_pk_fma_f32 v[8:9], v[6:7], v[0:1], v[18:19] op_sel:[0,0,1] op_sel_hi:[1,1,0] neg_lo:[0,0,1] neg_hi:[0,0,1]
	v_pk_fma_f32 v[6:7], v[6:7], v[0:1], v[18:19] op_sel:[0,0,1] op_sel_hi:[1,0,0]
	v_dual_mul_f32 v202, v187, v3 :: v_dual_mul_f32 v204, v187, v0
	s_wait_dscnt 0x2
	v_pk_mul_f32 v[206:207], v[188:189], v[2:3] op_sel:[0,1]
	v_pk_fma_f32 v[18:19], v[184:185], v[0:1], v[20:21] op_sel:[0,0,1] op_sel_hi:[1,1,0] neg_lo:[0,0,1] neg_hi:[0,0,1]
	v_pk_fma_f32 v[20:21], v[184:185], v[0:1], v[20:21] op_sel:[0,0,1] op_sel_hi:[1,0,0]
	v_dual_mov_b32 v213, v5 :: v_dual_mov_b32 v9, v7
	v_pk_mul_f32 v[208:209], v[190:191], v[2:3] op_sel:[0,1]
	v_pk_fma_f32 v[184:185], v[186:187], v[48:49], v[202:203] op_sel_hi:[1,1,0] neg_lo:[0,0,1] neg_hi:[0,0,1]
	v_pk_fma_f32 v[186:187], v[200:201], v[48:49], v[204:205] op_sel_hi:[1,1,0]
	v_mov_b32_e32 v19, v21
	v_pk_fma_f32 v[4:5], v[188:189], v[0:1], v[206:207] op_sel:[0,0,1] op_sel_hi:[1,0,0]
	s_wait_dscnt 0x1
	v_pk_mul_f32 v[210:211], v[192:193], v[2:3] op_sel:[0,1]
	v_pk_add_f32 v[50:51], v[50:51], v[8:9] neg_lo:[0,1] neg_hi:[0,1]
	v_pk_fma_f32 v[8:9], v[188:189], v[0:1], v[206:207] op_sel:[0,0,1] op_sel_hi:[1,1,0] neg_lo:[0,0,1] neg_hi:[0,0,1]
	v_mov_b32_e32 v185, v187
	v_pk_add_f32 v[44:45], v[44:45], v[18:19] neg_lo:[0,1] neg_hi:[0,1]
	v_pk_fma_f32 v[18:19], v[190:191], v[0:1], v[208:209] op_sel:[0,0,1] op_sel_hi:[1,0,0]
	v_mov_b32_e32 v9, v5
	ds_load_2addr_b64 v[4:7], v12 offset0:13 offset1:14
	v_pk_fma_f32 v[20:21], v[192:193], v[0:1], v[210:211] op_sel:[0,0,1] op_sel_hi:[1,0,0]
	s_wait_dscnt 0x1
	v_pk_mul_f32 v[188:189], v[198:199], v[2:3] op_sel:[0,1]
	v_pk_fma_f32 v[186:187], v[190:191], v[0:1], v[208:209] op_sel:[0,0,1] op_sel_hi:[1,1,0] neg_lo:[0,0,1] neg_hi:[0,0,1]
	v_mov_b32_e32 v187, v19
	v_pk_fma_f32 v[18:19], v[192:193], v[0:1], v[210:211] op_sel:[0,0,1] op_sel_hi:[1,1,0] neg_lo:[0,0,1] neg_hi:[0,0,1]
	v_pk_add_f32 v[46:47], v[46:47], v[184:185] neg_lo:[0,1] neg_hi:[0,1]
	v_pk_fma_f32 v[190:191], v[198:199], v[0:1], v[188:189] op_sel:[0,0,1] op_sel_hi:[1,0,0]
	v_mov_b32_e32 v19, v21
	v_pk_mul_f32 v[20:21], v[194:195], v[2:3] op_sel:[0,1]
	v_pk_add_f32 v[28:29], v[28:29], v[8:9] neg_lo:[0,1] neg_hi:[0,1]
	v_pk_add_f32 v[76:77], v[76:77], v[186:187] neg_lo:[0,1] neg_hi:[0,1]
	v_mul_f32_e32 v8, v197, v0
	ds_load_2addr_b64 v[184:187], v12 offset0:15 offset1:16
	v_pk_fma_f32 v[188:189], v[198:199], v[0:1], v[188:189] op_sel:[0,0,1] op_sel_hi:[1,1,0] neg_lo:[0,0,1] neg_hi:[0,0,1]
	v_mov_b32_e32 v189, v191
	v_pk_add_f32 v[72:73], v[72:73], v[18:19] neg_lo:[0,1] neg_hi:[0,1]
	v_pk_fma_f32 v[18:19], v[194:195], v[0:1], v[20:21] op_sel:[0,0,1] op_sel_hi:[1,0,0]
	v_mul_f32_e32 v18, v197, v3
	v_pk_fma_f32 v[8:9], v[196:197], v[48:49], v[8:9] op_sel:[1,0,0] op_sel_hi:[0,1,0]
	v_pk_fma_f32 v[20:21], v[194:195], v[0:1], v[20:21] op_sel:[0,0,1] op_sel_hi:[1,1,0] neg_lo:[0,0,1] neg_hi:[0,0,1]
	v_pk_add_f32 v[102:103], v[102:103], v[188:189] neg_lo:[0,1] neg_hi:[0,1]
	v_mov_b32_e32 v21, v19
	v_pk_fma_f32 v[18:19], v[196:197], v[48:49], v[18:19] op_sel_hi:[1,1,0] neg_lo:[0,0,1] neg_hi:[0,0,1]
	v_mov_b32_e32 v19, v9
	s_wait_dscnt 0x1
	v_pk_mul_f32 v[8:9], v[4:5], v[2:3] op_sel:[0,1]
	ds_load_2addr_b64 v[188:191], v12 offset0:17 offset1:18
	v_pk_add_f32 v[74:75], v[74:75], v[20:21] neg_lo:[0,1] neg_hi:[0,1]
	v_pk_mul_f32 v[20:21], v[6:7], v[2:3] op_sel:[0,1]
	v_pk_add_f32 v[70:71], v[70:71], v[18:19] neg_lo:[0,1] neg_hi:[0,1]
	v_pk_fma_f32 v[18:19], v[4:5], v[0:1], v[8:9] op_sel:[0,0,1] op_sel_hi:[1,0,0]
	v_pk_fma_f32 v[8:9], v[4:5], v[0:1], v[8:9] op_sel:[0,0,1] op_sel_hi:[1,1,0] neg_lo:[0,0,1] neg_hi:[0,0,1]
	v_pk_add_f32 v[78:79], v[78:79], v[212:213] neg_lo:[0,1] neg_hi:[0,1]
	s_wait_dscnt 0x1
	v_pk_mul_f32 v[192:193], v[184:185], v[2:3] op_sel:[0,1]
	v_dual_mov_b32 v194, v187 :: v_dual_mov_b32 v9, v19
	v_pk_fma_f32 v[18:19], v[6:7], v[0:1], v[20:21] op_sel:[0,0,1] op_sel_hi:[1,1,0] neg_lo:[0,0,1] neg_hi:[0,0,1]
	v_pk_fma_f32 v[20:21], v[6:7], v[0:1], v[20:21] op_sel:[0,0,1] op_sel_hi:[1,0,0]
	ds_load_2addr_b64 v[4:7], v12 offset0:19 offset1:20
	v_dual_mov_b32 v195, v186 :: v_dual_mul_f32 v20, v187, v0
	v_pk_add_f32 v[68:69], v[68:69], v[8:9] neg_lo:[0,1] neg_hi:[0,1]
	v_mov_b32_e32 v19, v21
	v_pk_fma_f32 v[8:9], v[184:185], v[0:1], v[192:193] op_sel:[0,0,1] op_sel_hi:[1,0,0]
	v_mul_f32_e32 v8, v187, v3
	v_pk_fma_f32 v[20:21], v[194:195], v[48:49], v[20:21] op_sel_hi:[1,1,0]
	s_wait_dscnt 0x1
	v_pk_mul_f32 v[196:197], v[190:191], v[2:3] op_sel:[0,1]
	v_pk_add_f32 v[100:101], v[100:101], v[18:19] neg_lo:[0,1] neg_hi:[0,1]
	v_pk_fma_f32 v[18:19], v[184:185], v[0:1], v[192:193] op_sel:[0,0,1] op_sel_hi:[1,1,0] neg_lo:[0,0,1] neg_hi:[0,0,1]
	v_mov_b32_e32 v19, v9
	v_pk_fma_f32 v[8:9], v[186:187], v[48:49], v[8:9] op_sel_hi:[1,1,0] neg_lo:[0,0,1] neg_hi:[0,0,1]
	v_mov_b32_e32 v9, v21
	v_pk_mul_f32 v[20:21], v[188:189], v[2:3] op_sel:[0,1]
	ds_load_2addr_b64 v[184:187], v12 offset0:21 offset1:22
	ds_load_2addr_b64 v[192:195], v12 offset0:23 offset1:24
	v_pk_fma_f32 v[198:199], v[190:191], v[0:1], v[196:197] op_sel:[0,0,1] op_sel_hi:[1,0,0]
	v_pk_add_f32 v[120:121], v[120:121], v[8:9] neg_lo:[0,1] neg_hi:[0,1]
	v_pk_fma_f32 v[8:9], v[188:189], v[0:1], v[20:21] op_sel:[0,0,1] op_sel_hi:[1,0,0]
	v_pk_add_f32 v[98:99], v[98:99], v[18:19] neg_lo:[0,1] neg_hi:[0,1]
	s_wait_dscnt 0x2
	v_pk_mul_f32 v[18:19], v[4:5], v[2:3] op_sel:[0,1]
	v_pk_fma_f32 v[20:21], v[188:189], v[0:1], v[20:21] op_sel:[0,0,1] op_sel_hi:[1,1,0] neg_lo:[0,0,1] neg_hi:[0,0,1]
	v_pk_fma_f32 v[188:189], v[190:191], v[0:1], v[196:197] op_sel:[0,0,1] op_sel_hi:[1,1,0] neg_lo:[0,0,1] neg_hi:[0,0,1]
	v_dual_mov_b32 v21, v9 :: v_dual_mov_b32 v189, v199
	s_delay_alu instid0(VALU_DEP_4) | instskip(SKIP_2) | instid1(VALU_DEP_4)
	v_pk_fma_f32 v[8:9], v[4:5], v[0:1], v[18:19] op_sel:[0,0,1] op_sel_hi:[1,0,0]
	v_pk_mul_f32 v[196:197], v[6:7], v[2:3] op_sel:[0,1]
	v_pk_fma_f32 v[4:5], v[4:5], v[0:1], v[18:19] op_sel:[0,0,1] op_sel_hi:[1,1,0] neg_lo:[0,0,1] neg_hi:[0,0,1]
	v_pk_add_f32 v[56:57], v[56:57], v[20:21] neg_lo:[0,1] neg_hi:[0,1]
	v_pk_add_f32 v[58:59], v[58:59], v[188:189] neg_lo:[0,1] neg_hi:[0,1]
	ds_load_2addr_b64 v[188:191], v12 offset0:25 offset1:26
	v_mov_b32_e32 v5, v9
	v_pk_fma_f32 v[8:9], v[6:7], v[0:1], v[196:197] op_sel:[0,0,1] op_sel_hi:[1,0,0]
	v_pk_fma_f32 v[6:7], v[6:7], v[0:1], v[196:197] op_sel:[0,0,1] op_sel_hi:[1,1,0] neg_lo:[0,0,1] neg_hi:[0,0,1]
	s_wait_dscnt 0x2
	v_mul_f32_e32 v8, v185, v3
	v_pk_mul_f32 v[18:19], v[186:187], v[2:3] op_sel:[0,1]
	s_wait_dscnt 0x1
	v_pk_mul_f32 v[20:21], v[192:193], v[2:3] op_sel:[0,1]
	v_mov_b32_e32 v7, v9
	v_pk_add_f32 v[54:55], v[54:55], v[4:5] neg_lo:[0,1] neg_hi:[0,1]
	v_mul_f32_e32 v4, v185, v0
	v_pk_fma_f32 v[8:9], v[184:185], v[48:49], v[8:9] op_sel_hi:[1,1,0] neg_lo:[0,0,1] neg_hi:[0,0,1]
	v_pk_fma_f32 v[196:197], v[192:193], v[0:1], v[20:21] op_sel:[0,0,1] op_sel_hi:[1,0,0]
	v_pk_add_f32 v[86:87], v[86:87], v[6:7] neg_lo:[0,1] neg_hi:[0,1]
	v_pk_fma_f32 v[20:21], v[192:193], v[0:1], v[20:21] op_sel:[0,0,1] op_sel_hi:[1,1,0] neg_lo:[0,0,1] neg_hi:[0,0,1]
	v_pk_fma_f32 v[4:5], v[184:185], v[48:49], v[4:5] op_sel:[1,0,0] op_sel_hi:[0,1,0]
	v_pk_fma_f32 v[184:185], v[186:187], v[0:1], v[18:19] op_sel:[0,0,1] op_sel_hi:[1,0,0]
	v_pk_fma_f32 v[18:19], v[186:187], v[0:1], v[18:19] op_sel:[0,0,1] op_sel_hi:[1,1,0] neg_lo:[0,0,1] neg_hi:[0,0,1]
	s_delay_alu instid0(VALU_DEP_2)
	v_dual_mov_b32 v9, v5 :: v_dual_mov_b32 v19, v185
	ds_load_2addr_b64 v[4:7], v12 offset0:27 offset1:28
	s_wait_dscnt 0x1
	v_pk_mul_f32 v[192:193], v[188:189], v[2:3] op_sel:[0,1]
	v_pk_mul_f32 v[184:185], v[194:195], v[2:3] op_sel:[0,1]
	v_pk_add_f32 v[82:83], v[82:83], v[8:9] neg_lo:[0,1] neg_hi:[0,1]
	v_pk_add_f32 v[84:85], v[84:85], v[18:19] neg_lo:[0,1] neg_hi:[0,1]
	s_delay_alu instid0(VALU_DEP_4) | instskip(SKIP_3) | instid1(VALU_DEP_3)
	v_pk_fma_f32 v[18:19], v[188:189], v[0:1], v[192:193] op_sel:[0,0,1] op_sel_hi:[1,0,0]
	v_mov_b32_e32 v21, v197
	v_pk_fma_f32 v[8:9], v[194:195], v[0:1], v[184:185] op_sel:[0,0,1] op_sel_hi:[1,0,0]
	v_mov_b32_e32 v18, v191
	v_pk_add_f32 v[80:81], v[80:81], v[20:21] neg_lo:[0,1] neg_hi:[0,1]
	v_pk_fma_f32 v[20:21], v[194:195], v[0:1], v[184:185] op_sel:[0,0,1] op_sel_hi:[1,1,0] neg_lo:[0,0,1] neg_hi:[0,0,1]
	ds_load_2addr_b64 v[184:187], v12 offset0:29 offset1:30
	v_mov_b32_e32 v21, v9
	v_pk_fma_f32 v[8:9], v[188:189], v[0:1], v[192:193] op_sel:[0,0,1] op_sel_hi:[1,1,0] neg_lo:[0,0,1] neg_hi:[0,0,1]
	v_dual_mov_b32 v9, v19 :: v_dual_mov_b32 v19, v190
	v_mul_f32_e32 v188, v191, v0
	s_wait_dscnt 0x1
	v_pk_mul_f32 v[196:197], v[4:5], v[2:3] op_sel:[0,1]
	v_pk_add_f32 v[110:111], v[110:111], v[20:21] neg_lo:[0,1] neg_hi:[0,1]
	v_pk_add_f32 v[106:107], v[106:107], v[8:9] neg_lo:[0,1] neg_hi:[0,1]
	v_pk_mul_f32 v[198:199], v[6:7], v[2:3] op_sel:[0,1]
	v_pk_fma_f32 v[18:19], v[18:19], v[48:49], v[188:189] op_sel_hi:[1,1,0]
	v_pk_fma_f32 v[20:21], v[4:5], v[0:1], v[196:197] op_sel:[0,0,1] op_sel_hi:[1,0,0]
	v_mul_f32_e32 v8, v191, v3
	ds_load_2addr_b64 v[192:195], v12 offset0:31 offset1:32
	v_pk_fma_f32 v[4:5], v[4:5], v[0:1], v[196:197] op_sel:[0,0,1] op_sel_hi:[1,1,0] neg_lo:[0,0,1] neg_hi:[0,0,1]
	ds_load_b64 v[196:197], v12 offset:344
	v_mov_b32_e32 v5, v21
	v_pk_fma_f32 v[8:9], v[190:191], v[48:49], v[8:9] op_sel_hi:[1,1,0] neg_lo:[0,0,1] neg_hi:[0,0,1]
	v_mov_b32_e32 v9, v19
	v_pk_fma_f32 v[18:19], v[6:7], v[0:1], v[198:199] op_sel:[0,0,1] op_sel_hi:[1,0,0]
	s_wait_dscnt 0x2
	v_pk_mul_f32 v[20:21], v[184:185], v[2:3] op_sel:[0,1]
	v_pk_fma_f32 v[6:7], v[6:7], v[0:1], v[198:199] op_sel:[0,0,1] op_sel_hi:[1,1,0] neg_lo:[0,0,1] neg_hi:[0,0,1]
	ds_load_2addr_b64 v[188:191], v12 offset0:33 offset1:34
	v_pk_add_f32 v[104:105], v[104:105], v[4:5] neg_lo:[0,1] neg_hi:[0,1]
	v_mov_b32_e32 v7, v19
	v_pk_fma_f32 v[18:19], v[184:185], v[0:1], v[20:21] op_sel:[0,0,1] op_sel_hi:[1,0,0]
	v_pk_fma_f32 v[20:21], v[184:185], v[0:1], v[20:21] op_sel:[0,0,1] op_sel_hi:[1,1,0] neg_lo:[0,0,1] neg_hi:[0,0,1]
	v_pk_add_f32 v[108:109], v[108:109], v[8:9] neg_lo:[0,1] neg_hi:[0,1]
	v_pk_mul_f32 v[8:9], v[186:187], v[2:3] op_sel:[0,1]
	v_pk_add_f32 v[128:129], v[128:129], v[6:7] neg_lo:[0,1] neg_hi:[0,1]
	v_mov_b32_e32 v21, v19
	ds_load_2addr_b64 v[4:7], v12 offset0:35 offset1:36
	s_wait_dscnt 0x3
	v_mul_f32_e32 v18, v193, v0
	v_pk_fma_f32 v[184:185], v[186:187], v[0:1], v[8:9] op_sel:[0,0,1] op_sel_hi:[1,0,0]
	v_pk_add_f32 v[124:125], v[124:125], v[20:21] neg_lo:[0,1] neg_hi:[0,1]
	v_pk_mul_f32 v[20:21], v[194:195], v[2:3] op_sel:[0,1]
	v_pk_fma_f32 v[8:9], v[186:187], v[0:1], v[8:9] op_sel:[0,0,1] op_sel_hi:[1,1,0] neg_lo:[0,0,1] neg_hi:[0,0,1]
	v_pk_fma_f32 v[18:19], v[192:193], v[48:49], v[18:19] op_sel:[1,0,0] op_sel_hi:[0,1,0]
	v_mov_b32_e32 v9, v185
	s_delay_alu instid0(VALU_DEP_4) | instskip(SKIP_1) | instid1(VALU_DEP_1)
	v_pk_fma_f32 v[186:187], v[194:195], v[0:1], v[20:21] op_sel:[0,0,1] op_sel_hi:[1,0,0]
	v_mul_f32_e32 v184, v193, v3
	v_pk_fma_f32 v[192:193], v[192:193], v[48:49], v[184:185] op_sel_hi:[1,1,0] neg_lo:[0,0,1] neg_hi:[0,0,1]
	v_mov_b32_e32 v193, v19
	v_pk_add_f32 v[126:127], v[126:127], v[8:9] neg_lo:[0,1] neg_hi:[0,1]
	s_wait_dscnt 0x1
	v_pk_mul_f32 v[8:9], v[188:189], v[2:3] op_sel:[0,1]
	v_pk_fma_f32 v[18:19], v[194:195], v[0:1], v[20:21] op_sel:[0,0,1] op_sel_hi:[1,1,0] neg_lo:[0,0,1] neg_hi:[0,0,1]
	v_mov_b32_e32 v19, v187
	ds_load_2addr_b64 v[184:187], v12 offset0:37 offset1:38
	v_pk_add_f32 v[122:123], v[122:123], v[192:193] neg_lo:[0,1] neg_hi:[0,1]
	v_pk_fma_f32 v[20:21], v[188:189], v[0:1], v[8:9] op_sel:[0,0,1] op_sel_hi:[1,0,0]
	v_pk_fma_f32 v[8:9], v[188:189], v[0:1], v[8:9] op_sel:[0,0,1] op_sel_hi:[1,1,0] neg_lo:[0,0,1] neg_hi:[0,0,1]
	v_pk_mul_f32 v[188:189], v[190:191], v[2:3] op_sel:[0,1]
	v_pk_add_f32 v[148:149], v[148:149], v[18:19] neg_lo:[0,1] neg_hi:[0,1]
	s_delay_alu instid0(VALU_DEP_2)
	v_pk_fma_f32 v[18:19], v[190:191], v[0:1], v[188:189] op_sel:[0,0,1] op_sel_hi:[1,0,0]
	v_mov_b32_e32 v9, v21
	s_wait_dscnt 0x1
	v_pk_mul_f32 v[20:21], v[4:5], v[2:3] op_sel:[0,1]
	v_pk_fma_f32 v[192:193], v[190:191], v[0:1], v[188:189] op_sel:[0,0,1] op_sel_hi:[1,1,0] neg_lo:[0,0,1] neg_hi:[0,0,1]
	ds_load_2addr_b64 v[188:191], v12 offset0:39 offset1:40
	v_mov_b32_e32 v193, v19
	v_pk_add_f32 v[144:145], v[144:145], v[8:9] neg_lo:[0,1] neg_hi:[0,1]
	v_pk_fma_f32 v[8:9], v[4:5], v[0:1], v[20:21] op_sel:[0,0,1] op_sel_hi:[1,0,0]
	v_pk_fma_f32 v[4:5], v[4:5], v[0:1], v[20:21] op_sel:[0,0,1] op_sel_hi:[1,1,0] neg_lo:[0,0,1] neg_hi:[0,0,1]
	v_dual_mov_b32 v8, v7 :: v_dual_mul_f32 v18, v7, v0
	v_pk_add_f32 v[146:147], v[146:147], v[192:193] neg_lo:[0,1] neg_hi:[0,1]
	s_delay_alu instid0(VALU_DEP_4)
	v_dual_mov_b32 v5, v9 :: v_dual_mov_b32 v9, v6
	ds_load_2addr_b64 v[192:195], v12 offset0:41 offset1:42
	s_wait_dscnt 0x2
	v_pk_mul_f32 v[20:21], v[184:185], v[2:3] op_sel:[0,1]
	v_pk_add_f32 v[142:143], v[142:143], v[4:5] neg_lo:[0,1] neg_hi:[0,1]
	v_pk_fma_f32 v[8:9], v[8:9], v[48:49], v[18:19] op_sel_hi:[1,1,0]
	v_mul_f32_e32 v4, v7, v3
	v_pk_mul_f32 v[18:19], v[186:187], v[2:3] op_sel:[0,1]
	s_delay_alu instid0(VALU_DEP_2) | instskip(SKIP_2) | instid1(VALU_DEP_4)
	v_pk_fma_f32 v[4:5], v[6:7], v[48:49], v[4:5] op_sel_hi:[1,1,0] neg_lo:[0,0,1] neg_hi:[0,0,1]
	v_pk_fma_f32 v[6:7], v[184:185], v[0:1], v[20:21] op_sel:[0,0,1] op_sel_hi:[1,0,0]
	v_mov_b32_e32 v5, v9
	v_pk_fma_f32 v[8:9], v[186:187], v[0:1], v[18:19] op_sel:[0,0,1] op_sel_hi:[1,0,0]
	v_pk_fma_f32 v[20:21], v[184:185], v[0:1], v[20:21] op_sel:[0,0,1] op_sel_hi:[1,1,0] neg_lo:[0,0,1] neg_hi:[0,0,1]
	s_wait_dscnt 0x1
	v_pk_mul_f32 v[184:185], v[188:189], v[2:3] op_sel:[0,1]
	v_mov_b32_e32 v21, v7
	v_pk_fma_f32 v[6:7], v[186:187], v[0:1], v[18:19] op_sel:[0,0,1] op_sel_hi:[1,1,0] neg_lo:[0,0,1] neg_hi:[0,0,1]
	v_mov_b32_e32 v7, v9
	v_pk_add_f32 v[170:171], v[170:171], v[4:5] neg_lo:[0,1] neg_hi:[0,1]
	v_pk_fma_f32 v[4:5], v[188:189], v[0:1], v[184:185] op_sel:[0,0,1] op_sel_hi:[1,0,0]
	v_pk_mul_f32 v[8:9], v[190:191], v[2:3] op_sel:[0,1]
	s_wait_dscnt 0x0
	v_mul_f32_e32 v18, v193, v0
	v_pk_add_f32 v[168:169], v[168:169], v[6:7] neg_lo:[0,1] neg_hi:[0,1]
	v_pk_fma_f32 v[6:7], v[188:189], v[0:1], v[184:185] op_sel:[0,0,1] op_sel_hi:[1,1,0] neg_lo:[0,0,1] neg_hi:[0,0,1]
	v_mov_b32_e32 v7, v5
	v_pk_fma_f32 v[4:5], v[190:191], v[0:1], v[8:9] op_sel:[0,0,1] op_sel_hi:[1,1,0] neg_lo:[0,0,1] neg_hi:[0,0,1]
	v_pk_fma_f32 v[8:9], v[190:191], v[0:1], v[8:9] op_sel:[0,0,1] op_sel_hi:[1,0,0]
	v_pk_add_f32 v[164:165], v[164:165], v[20:21] neg_lo:[0,1] neg_hi:[0,1]
	v_pk_mul_f32 v[20:21], v[194:195], v[2:3] op_sel:[0,1]
	v_mul_f32_e32 v8, v193, v3
	v_pk_mul_f32 v[2:3], v[196:197], v[2:3] op_sel:[0,1]
	v_pk_fma_f32 v[18:19], v[192:193], v[48:49], v[18:19] op_sel:[1,0,0] op_sel_hi:[0,1,0]
	v_mov_b32_e32 v5, v9
	v_pk_fma_f32 v[184:185], v[194:195], v[0:1], v[20:21] op_sel:[0,0,1] op_sel_hi:[1,0,0]
	v_pk_fma_f32 v[8:9], v[192:193], v[48:49], v[8:9] op_sel_hi:[1,1,0] neg_lo:[0,0,1] neg_hi:[0,0,1]
	v_pk_fma_f32 v[186:187], v[196:197], v[0:1], v[2:3] op_sel:[0,0,1] op_sel_hi:[1,0,0]
	v_mov_b32_e32 v9, v19
	v_pk_fma_f32 v[18:19], v[194:195], v[0:1], v[20:21] op_sel:[0,0,1] op_sel_hi:[1,1,0] neg_lo:[0,0,1] neg_hi:[0,0,1]
	v_pk_fma_f32 v[0:1], v[196:197], v[0:1], v[2:3] op_sel:[0,0,1] op_sel_hi:[1,1,0] neg_lo:[0,0,1] neg_hi:[0,0,1]
	s_delay_alu instid0(VALU_DEP_4) | instskip(SKIP_3) | instid1(VALU_DEP_4)
	v_dual_mov_b32 v19, v185 :: v_dual_mov_b32 v1, v187
	v_pk_add_f32 v[162:163], v[162:163], v[6:7] neg_lo:[0,1] neg_hi:[0,1]
	v_pk_add_f32 v[166:167], v[166:167], v[4:5] neg_lo:[0,1] neg_hi:[0,1]
	;; [unrolled: 1-line block ×5, first 2 shown]
.LBB87_28:
	s_or_b32 exec_lo, exec_lo, s1
	s_delay_alu instid0(SALU_CYCLE_1)
	s_mov_b32 s2, exec_lo
	s_wait_dscnt 0x0
	s_barrier_signal -1
	s_barrier_wait -1
	v_cmpx_eq_u32_e32 3, v30
	s_cbranch_execz .LBB87_35
; %bb.29:
	v_dual_mov_b32 v0, v50 :: v_dual_mov_b32 v1, v51
	v_dual_mov_b32 v2, v44 :: v_dual_mov_b32 v3, v45
	;; [unrolled: 1-line block ×4, first 2 shown]
	ds_store_b64 v31, v[78:79]
	ds_store_2addr_b64 v12, v[0:1], v[2:3] offset0:4 offset1:5
	ds_store_2addr_b64 v12, v[4:5], v[6:7] offset0:6 offset1:7
	v_dual_mov_b32 v0, v76 :: v_dual_mov_b32 v1, v77
	v_dual_mov_b32 v2, v72 :: v_dual_mov_b32 v3, v73
	;; [unrolled: 1-line block ×12, first 2 shown]
	ds_store_2addr_b64 v12, v[0:1], v[2:3] offset0:8 offset1:9
	ds_store_2addr_b64 v12, v[4:5], v[6:7] offset0:10 offset1:11
	;; [unrolled: 1-line block ×6, first 2 shown]
	v_dual_mov_b32 v0, v86 :: v_dual_mov_b32 v1, v87
	v_dual_mov_b32 v2, v82 :: v_dual_mov_b32 v3, v83
	;; [unrolled: 1-line block ×12, first 2 shown]
	ds_store_2addr_b64 v12, v[0:1], v[2:3] offset0:20 offset1:21
	ds_store_2addr_b64 v12, v[4:5], v[6:7] offset0:22 offset1:23
	;; [unrolled: 1-line block ×6, first 2 shown]
	v_dual_mov_b32 v0, v148 :: v_dual_mov_b32 v1, v149
	v_dual_mov_b32 v2, v144 :: v_dual_mov_b32 v3, v145
	;; [unrolled: 1-line block ×11, first 2 shown]
	ds_store_2addr_b64 v12, v[0:1], v[2:3] offset0:32 offset1:33
	ds_store_2addr_b64 v12, v[4:5], v[6:7] offset0:34 offset1:35
	;; [unrolled: 1-line block ×6, first 2 shown]
	ds_load_b64 v[0:1], v31
	s_wait_dscnt 0x0
	v_cmp_neq_f32_e32 vcc_lo, 0, v0
	v_cmp_neq_f32_e64 s1, 0, v1
	s_or_b32 s1, vcc_lo, s1
	s_delay_alu instid0(SALU_CYCLE_1)
	s_and_b32 exec_lo, exec_lo, s1
	s_cbranch_execz .LBB87_35
; %bb.30:
	v_cmp_ngt_f32_e64 s1, |v0|, |v1|
                                        ; implicit-def: $vgpr2_vgpr3
	s_and_saveexec_b32 s4, s1
	s_delay_alu instid0(SALU_CYCLE_1)
	s_xor_b32 s1, exec_lo, s4
	s_cbranch_execz .LBB87_32
; %bb.31:
	v_div_scale_f32 v2, null, v1, v1, v0
	v_div_scale_f32 v5, vcc_lo, v0, v1, v0
	s_delay_alu instid0(VALU_DEP_2) | instskip(SKIP_1) | instid1(TRANS32_DEP_1)
	v_rcp_f32_e32 v3, v2
	v_nop
	v_fma_f32 v4, -v2, v3, 1.0
	s_delay_alu instid0(VALU_DEP_1) | instskip(NEXT) | instid1(VALU_DEP_1)
	v_fmac_f32_e32 v3, v4, v3
	v_mul_f32_e32 v4, v5, v3
	s_delay_alu instid0(VALU_DEP_1) | instskip(NEXT) | instid1(VALU_DEP_1)
	v_fma_f32 v6, -v2, v4, v5
	v_fmac_f32_e32 v4, v6, v3
	s_delay_alu instid0(VALU_DEP_1) | instskip(NEXT) | instid1(VALU_DEP_1)
	v_fma_f32 v2, -v2, v4, v5
	v_div_fmas_f32 v2, v2, v3, v4
	s_delay_alu instid0(VALU_DEP_1) | instskip(NEXT) | instid1(VALU_DEP_1)
	v_div_fixup_f32 v2, v2, v1, v0
	v_fmac_f32_e32 v1, v0, v2
	s_delay_alu instid0(VALU_DEP_1) | instskip(SKIP_1) | instid1(VALU_DEP_2)
	v_div_scale_f32 v0, null, v1, v1, 1.0
	v_div_scale_f32 v5, vcc_lo, 1.0, v1, 1.0
	v_rcp_f32_e32 v3, v0
	v_nop
	s_delay_alu instid0(TRANS32_DEP_1) | instskip(NEXT) | instid1(VALU_DEP_1)
	v_fma_f32 v4, -v0, v3, 1.0
	v_fmac_f32_e32 v3, v4, v3
	s_delay_alu instid0(VALU_DEP_1) | instskip(NEXT) | instid1(VALU_DEP_1)
	v_mul_f32_e32 v4, v5, v3
	v_fma_f32 v6, -v0, v4, v5
	s_delay_alu instid0(VALU_DEP_1) | instskip(NEXT) | instid1(VALU_DEP_1)
	v_fmac_f32_e32 v4, v6, v3
	v_fma_f32 v0, -v0, v4, v5
	s_delay_alu instid0(VALU_DEP_1) | instskip(NEXT) | instid1(VALU_DEP_1)
	v_div_fmas_f32 v0, v0, v3, v4
	v_div_fixup_f32 v0, v0, v1, 1.0
	s_delay_alu instid0(VALU_DEP_1)
	v_mul_f32_e32 v2, v2, v0
	v_xor_b32_e32 v3, 0x80000000, v0
                                        ; implicit-def: $vgpr0_vgpr1
.LBB87_32:
	s_and_not1_saveexec_b32 s1, s1
	s_cbranch_execz .LBB87_34
; %bb.33:
	v_div_scale_f32 v2, null, v0, v0, v1
	v_div_scale_f32 v5, vcc_lo, v1, v0, v1
	s_delay_alu instid0(VALU_DEP_2) | instskip(SKIP_1) | instid1(TRANS32_DEP_1)
	v_rcp_f32_e32 v3, v2
	v_nop
	v_fma_f32 v4, -v2, v3, 1.0
	s_delay_alu instid0(VALU_DEP_1) | instskip(NEXT) | instid1(VALU_DEP_1)
	v_fmac_f32_e32 v3, v4, v3
	v_mul_f32_e32 v4, v5, v3
	s_delay_alu instid0(VALU_DEP_1) | instskip(NEXT) | instid1(VALU_DEP_1)
	v_fma_f32 v6, -v2, v4, v5
	v_fmac_f32_e32 v4, v6, v3
	s_delay_alu instid0(VALU_DEP_1) | instskip(NEXT) | instid1(VALU_DEP_1)
	v_fma_f32 v2, -v2, v4, v5
	v_div_fmas_f32 v2, v2, v3, v4
	s_delay_alu instid0(VALU_DEP_1) | instskip(NEXT) | instid1(VALU_DEP_1)
	v_div_fixup_f32 v3, v2, v0, v1
	v_fmac_f32_e32 v0, v1, v3
	s_delay_alu instid0(VALU_DEP_1) | instskip(NEXT) | instid1(VALU_DEP_1)
	v_div_scale_f32 v1, null, v0, v0, 1.0
	v_rcp_f32_e32 v2, v1
	v_nop
	s_delay_alu instid0(TRANS32_DEP_1) | instskip(NEXT) | instid1(VALU_DEP_1)
	v_fma_f32 v4, -v1, v2, 1.0
	v_fmac_f32_e32 v2, v4, v2
	v_div_scale_f32 v4, vcc_lo, 1.0, v0, 1.0
	s_delay_alu instid0(VALU_DEP_1) | instskip(NEXT) | instid1(VALU_DEP_1)
	v_mul_f32_e32 v5, v4, v2
	v_fma_f32 v6, -v1, v5, v4
	s_delay_alu instid0(VALU_DEP_1) | instskip(NEXT) | instid1(VALU_DEP_1)
	v_fmac_f32_e32 v5, v6, v2
	v_fma_f32 v1, -v1, v5, v4
	s_delay_alu instid0(VALU_DEP_1) | instskip(NEXT) | instid1(VALU_DEP_1)
	v_div_fmas_f32 v1, v1, v2, v5
	v_div_fixup_f32 v2, v1, v0, 1.0
	s_delay_alu instid0(VALU_DEP_1)
	v_mul_f32_e64 v3, v3, -v2
.LBB87_34:
	s_or_b32 exec_lo, exec_lo, s1
	ds_store_b64 v31, v[2:3]
.LBB87_35:
	s_or_b32 exec_lo, exec_lo, s2
	s_wait_dscnt 0x0
	s_barrier_signal -1
	s_barrier_wait -1
	ds_load_b64 v[184:185], v31
	s_mov_b32 s1, exec_lo
	v_cmpx_lt_u32_e32 3, v30
	s_cbranch_execz .LBB87_37
; %bb.36:
	ds_load_2addr_b64 v[4:7], v12 offset0:4 offset1:5
	ds_load_2addr_b64 v[186:189], v12 offset0:6 offset1:7
	;; [unrolled: 1-line block ×3, first 2 shown]
	s_wait_dscnt 0x3
	v_pk_mul_f32 v[2:3], v[184:185], v[78:79] op_sel:[1,1] op_sel_hi:[0,1]
	ds_load_2addr_b64 v[194:197], v12 offset0:10 offset1:11
	ds_load_2addr_b64 v[198:201], v12 offset0:12 offset1:13
	v_pk_fma_f32 v[0:1], v[184:185], v[78:79], v[2:3] op_sel_hi:[1,0,1] neg_lo:[0,0,1] neg_hi:[0,0,1]
	v_pk_fma_f32 v[2:3], v[184:185], v[78:79], v[2:3] op_sel_hi:[1,0,1]
	s_delay_alu instid0(VALU_DEP_1) | instskip(SKIP_1) | instid1(VALU_DEP_2)
	v_dual_mov_b32 v78, v0 :: v_dual_mov_b32 v79, v3
	s_wait_dscnt 0x4
	v_pk_mul_f32 v[8:9], v[4:5], v[2:3] op_sel:[0,1]
	v_pk_mul_f32 v[18:19], v[6:7], v[2:3] op_sel:[0,1]
	s_wait_dscnt 0x3
	v_pk_mul_f32 v[20:21], v[186:187], v[2:3] op_sel:[0,1]
	v_dual_mov_b32 v202, v189 :: v_dual_mov_b32 v203, v188
	v_pk_fma_f32 v[212:213], v[4:5], v[0:1], v[8:9] op_sel:[0,0,1] op_sel_hi:[1,1,0] neg_lo:[0,0,1] neg_hi:[0,0,1]
	v_pk_fma_f32 v[4:5], v[4:5], v[0:1], v[8:9] op_sel:[0,0,1] op_sel_hi:[1,0,0]
	v_pk_fma_f32 v[8:9], v[6:7], v[0:1], v[18:19] op_sel:[0,0,1] op_sel_hi:[1,1,0] neg_lo:[0,0,1] neg_hi:[0,0,1]
	v_pk_fma_f32 v[6:7], v[6:7], v[0:1], v[18:19] op_sel:[0,0,1] op_sel_hi:[1,0,0]
	v_dual_mul_f32 v204, v189, v3 :: v_dual_mul_f32 v206, v189, v0
	v_pk_fma_f32 v[18:19], v[186:187], v[0:1], v[20:21] op_sel:[0,0,1] op_sel_hi:[1,1,0] neg_lo:[0,0,1] neg_hi:[0,0,1]
	v_pk_fma_f32 v[20:21], v[186:187], v[0:1], v[20:21] op_sel:[0,0,1] op_sel_hi:[1,0,0]
	s_delay_alu instid0(VALU_DEP_4)
	v_dual_mov_b32 v213, v5 :: v_dual_mov_b32 v9, v7
	s_wait_dscnt 0x2
	v_pk_mul_f32 v[208:209], v[190:191], v[2:3] op_sel:[0,1]
	v_pk_mul_f32 v[210:211], v[192:193], v[2:3] op_sel:[0,1]
	v_pk_fma_f32 v[186:187], v[188:189], v[78:79], v[204:205] op_sel_hi:[1,1,0] neg_lo:[0,0,1] neg_hi:[0,0,1]
	v_pk_fma_f32 v[188:189], v[202:203], v[78:79], v[206:207] op_sel_hi:[1,1,0]
	v_mov_b32_e32 v19, v21
	v_pk_add_f32 v[44:45], v[44:45], v[8:9] neg_lo:[0,1] neg_hi:[0,1]
	s_wait_dscnt 0x1
	v_pk_mul_f32 v[8:9], v[194:195], v[2:3] op_sel:[0,1]
	v_pk_fma_f32 v[202:203], v[190:191], v[0:1], v[208:209] op_sel:[0,0,1] op_sel_hi:[1,1,0] neg_lo:[0,0,1] neg_hi:[0,0,1]
	v_pk_fma_f32 v[190:191], v[190:191], v[0:1], v[208:209] op_sel:[0,0,1] op_sel_hi:[1,0,0]
	v_pk_fma_f32 v[4:5], v[192:193], v[0:1], v[210:211] op_sel:[0,0,1] op_sel_hi:[1,0,0]
	v_pk_mul_f32 v[20:21], v[196:197], v[2:3] op_sel:[0,1]
	v_mov_b32_e32 v187, v189
	v_pk_fma_f32 v[6:7], v[192:193], v[0:1], v[210:211] op_sel:[0,0,1] op_sel_hi:[1,1,0] neg_lo:[0,0,1] neg_hi:[0,0,1]
	v_pk_add_f32 v[46:47], v[46:47], v[18:19] neg_lo:[0,1] neg_hi:[0,1]
	v_pk_fma_f32 v[18:19], v[194:195], v[0:1], v[8:9] op_sel:[0,0,1] op_sel_hi:[1,0,0]
	v_dual_mov_b32 v203, v191 :: v_dual_mov_b32 v7, v5
	s_wait_dscnt 0x0
	v_mul_f32_e32 v18, v199, v0
	v_pk_fma_f32 v[192:193], v[196:197], v[0:1], v[20:21] op_sel:[0,0,1] op_sel_hi:[1,0,0]
	v_pk_fma_f32 v[8:9], v[194:195], v[0:1], v[8:9] op_sel:[0,0,1] op_sel_hi:[1,1,0] neg_lo:[0,0,1] neg_hi:[0,0,1]
	v_mul_f32_e32 v192, v199, v3
	v_pk_add_f32 v[72:73], v[72:73], v[6:7] neg_lo:[0,1] neg_hi:[0,1]
	ds_load_2addr_b64 v[4:7], v12 offset0:14 offset1:15
	v_mov_b32_e32 v9, v19
	v_pk_mul_f32 v[190:191], v[200:201], v[2:3] op_sel:[0,1]
	v_pk_fma_f32 v[18:19], v[198:199], v[78:79], v[18:19] op_sel:[1,0,0] op_sel_hi:[0,1,0]
	v_pk_add_f32 v[28:29], v[28:29], v[186:187] neg_lo:[0,1] neg_hi:[0,1]
	ds_load_2addr_b64 v[186:189], v12 offset0:16 offset1:17
	v_pk_fma_f32 v[20:21], v[196:197], v[0:1], v[20:21] op_sel:[0,0,1] op_sel_hi:[1,1,0] neg_lo:[0,0,1] neg_hi:[0,0,1]
	v_mov_b32_e32 v21, v193
	v_pk_fma_f32 v[192:193], v[198:199], v[78:79], v[192:193] op_sel_hi:[1,1,0] neg_lo:[0,0,1] neg_hi:[0,0,1]
	v_pk_fma_f32 v[194:195], v[200:201], v[0:1], v[190:191] op_sel:[0,0,1] op_sel_hi:[1,0,0]
	v_mov_b32_e32 v193, v19
	v_pk_fma_f32 v[18:19], v[200:201], v[0:1], v[190:191] op_sel:[0,0,1] op_sel_hi:[1,1,0] neg_lo:[0,0,1] neg_hi:[0,0,1]
	v_pk_add_f32 v[74:75], v[74:75], v[8:9] neg_lo:[0,1] neg_hi:[0,1]
	v_pk_add_f32 v[70:71], v[70:71], v[20:21] neg_lo:[0,1] neg_hi:[0,1]
	v_mov_b32_e32 v19, v195
	v_pk_add_f32 v[102:103], v[102:103], v[192:193] neg_lo:[0,1] neg_hi:[0,1]
	ds_load_2addr_b64 v[190:193], v12 offset0:18 offset1:19
	ds_load_2addr_b64 v[194:197], v12 offset0:20 offset1:21
	v_pk_add_f32 v[76:77], v[76:77], v[202:203] neg_lo:[0,1] neg_hi:[0,1]
	v_pk_add_f32 v[68:69], v[68:69], v[18:19] neg_lo:[0,1] neg_hi:[0,1]
	s_wait_dscnt 0x3
	v_pk_mul_f32 v[8:9], v[4:5], v[2:3] op_sel:[0,1]
	v_pk_mul_f32 v[18:19], v[6:7], v[2:3] op_sel:[0,1]
	v_pk_add_f32 v[50:51], v[50:51], v[212:213] neg_lo:[0,1] neg_hi:[0,1]
	s_wait_dscnt 0x2
	v_pk_mul_f32 v[20:21], v[186:187], v[2:3] op_sel:[0,1]
	v_pk_fma_f32 v[198:199], v[4:5], v[0:1], v[8:9] op_sel:[0,0,1] op_sel_hi:[1,0,0]
	v_pk_fma_f32 v[4:5], v[4:5], v[0:1], v[8:9] op_sel:[0,0,1] op_sel_hi:[1,1,0] neg_lo:[0,0,1] neg_hi:[0,0,1]
	v_pk_fma_f32 v[8:9], v[6:7], v[0:1], v[18:19] op_sel:[0,0,1] op_sel_hi:[1,0,0]
	v_pk_fma_f32 v[6:7], v[6:7], v[0:1], v[18:19] op_sel:[0,0,1] op_sel_hi:[1,1,0] neg_lo:[0,0,1] neg_hi:[0,0,1]
	v_pk_fma_f32 v[200:201], v[186:187], v[0:1], v[20:21] op_sel:[0,0,1] op_sel_hi:[1,0,0]
	v_dual_mov_b32 v5, v199 :: v_dual_mov_b32 v18, v189
	s_delay_alu instid0(VALU_DEP_4) | instskip(SKIP_1) | instid1(VALU_DEP_4)
	v_mov_b32_e32 v7, v9
	v_pk_fma_f32 v[8:9], v[186:187], v[0:1], v[20:21] op_sel:[0,0,1] op_sel_hi:[1,1,0] neg_lo:[0,0,1] neg_hi:[0,0,1]
	v_mov_b32_e32 v9, v201
	s_wait_dscnt 0x1
	v_pk_mul_f32 v[198:199], v[192:193], v[2:3] op_sel:[0,1]
	v_dual_mov_b32 v19, v188 :: v_dual_mul_f32 v20, v189, v0
	v_pk_add_f32 v[100:101], v[100:101], v[4:5] neg_lo:[0,1] neg_hi:[0,1]
	v_pk_add_f32 v[120:121], v[120:121], v[8:9] neg_lo:[0,1] neg_hi:[0,1]
	s_delay_alu instid0(VALU_DEP_4)
	v_pk_fma_f32 v[202:203], v[192:193], v[0:1], v[198:199] op_sel:[0,0,1] op_sel_hi:[1,0,0]
	v_mul_f32_e32 v186, v189, v3
	v_pk_fma_f32 v[8:9], v[18:19], v[78:79], v[20:21] op_sel_hi:[1,1,0]
	v_pk_mul_f32 v[20:21], v[190:191], v[2:3] op_sel:[0,1]
	v_pk_add_f32 v[98:99], v[98:99], v[6:7] neg_lo:[0,1] neg_hi:[0,1]
	ds_load_2addr_b64 v[4:7], v12 offset0:22 offset1:23
	v_pk_fma_f32 v[192:193], v[192:193], v[0:1], v[198:199] op_sel:[0,0,1] op_sel_hi:[1,1,0] neg_lo:[0,0,1] neg_hi:[0,0,1]
	v_mov_b32_e32 v193, v203
	v_pk_fma_f32 v[18:19], v[188:189], v[78:79], v[186:187] op_sel_hi:[1,1,0] neg_lo:[0,0,1] neg_hi:[0,0,1]
	v_pk_fma_f32 v[200:201], v[190:191], v[0:1], v[20:21] op_sel:[0,0,1] op_sel_hi:[1,0,0]
	v_mov_b32_e32 v19, v9
	s_wait_dscnt 0x1
	v_pk_mul_f32 v[8:9], v[194:195], v[2:3] op_sel:[0,1]
	ds_load_2addr_b64 v[186:189], v12 offset0:24 offset1:25
	v_pk_fma_f32 v[20:21], v[190:191], v[0:1], v[20:21] op_sel:[0,0,1] op_sel_hi:[1,1,0] neg_lo:[0,0,1] neg_hi:[0,0,1]
	v_mov_b32_e32 v21, v201
	v_pk_add_f32 v[56:57], v[56:57], v[18:19] neg_lo:[0,1] neg_hi:[0,1]
	v_pk_fma_f32 v[190:191], v[194:195], v[0:1], v[8:9] op_sel:[0,0,1] op_sel_hi:[1,0,0]
	v_pk_fma_f32 v[8:9], v[194:195], v[0:1], v[8:9] op_sel:[0,0,1] op_sel_hi:[1,1,0] neg_lo:[0,0,1] neg_hi:[0,0,1]
	v_pk_add_f32 v[54:55], v[54:55], v[192:193] neg_lo:[0,1] neg_hi:[0,1]
	v_pk_add_f32 v[58:59], v[58:59], v[20:21] neg_lo:[0,1] neg_hi:[0,1]
	s_delay_alu instid0(VALU_DEP_4) | instskip(SKIP_3) | instid1(VALU_DEP_2)
	v_mov_b32_e32 v9, v191
	v_pk_mul_f32 v[190:191], v[196:197], v[2:3] op_sel:[0,1]
	s_wait_dscnt 0x1
	v_pk_mul_f32 v[20:21], v[6:7], v[2:3] op_sel:[0,1]
	v_pk_fma_f32 v[18:19], v[196:197], v[0:1], v[190:191] op_sel:[0,0,1] op_sel_hi:[1,0,0]
	v_mul_f32_e32 v18, v5, v0
	v_pk_add_f32 v[86:87], v[86:87], v[8:9] neg_lo:[0,1] neg_hi:[0,1]
	v_pk_fma_f32 v[8:9], v[196:197], v[0:1], v[190:191] op_sel:[0,0,1] op_sel_hi:[1,1,0] neg_lo:[0,0,1] neg_hi:[0,0,1]
	ds_load_2addr_b64 v[190:193], v12 offset0:26 offset1:27
	v_dual_mul_f32 v194, v5, v3 :: v_dual_mov_b32 v9, v19
	s_wait_dscnt 0x1
	v_pk_mul_f32 v[196:197], v[186:187], v[2:3] op_sel:[0,1]
	v_pk_fma_f32 v[198:199], v[4:5], v[78:79], v[18:19] op_sel:[1,0,0] op_sel_hi:[0,1,0]
	v_pk_fma_f32 v[18:19], v[6:7], v[0:1], v[20:21] op_sel:[0,0,1] op_sel_hi:[1,0,0]
	v_pk_fma_f32 v[194:195], v[4:5], v[78:79], v[194:195] op_sel_hi:[1,1,0] neg_lo:[0,0,1] neg_hi:[0,0,1]
	v_pk_fma_f32 v[20:21], v[6:7], v[0:1], v[20:21] op_sel:[0,0,1] op_sel_hi:[1,1,0] neg_lo:[0,0,1] neg_hi:[0,0,1]
	v_pk_fma_f32 v[4:5], v[186:187], v[0:1], v[196:197] op_sel:[0,0,1] op_sel_hi:[1,0,0]
	s_delay_alu instid0(VALU_DEP_4) | instskip(SKIP_2) | instid1(VALU_DEP_4)
	v_dual_mov_b32 v195, v199 :: v_dual_mov_b32 v21, v19
	v_pk_fma_f32 v[18:19], v[186:187], v[0:1], v[196:197] op_sel:[0,0,1] op_sel_hi:[1,1,0] neg_lo:[0,0,1] neg_hi:[0,0,1]
	v_pk_mul_f32 v[186:187], v[188:189], v[2:3] op_sel:[0,1]
	v_mov_b32_e32 v19, v5
	ds_load_2addr_b64 v[4:7], v12 offset0:28 offset1:29
	v_pk_add_f32 v[84:85], v[84:85], v[194:195] neg_lo:[0,1] neg_hi:[0,1]
	v_pk_add_f32 v[80:81], v[80:81], v[20:21] neg_lo:[0,1] neg_hi:[0,1]
	ds_load_2addr_b64 v[194:197], v12 offset0:30 offset1:31
	v_pk_add_f32 v[82:83], v[82:83], v[8:9] neg_lo:[0,1] neg_hi:[0,1]
	v_pk_fma_f32 v[8:9], v[188:189], v[0:1], v[186:187] op_sel:[0,0,1] op_sel_hi:[1,0,0]
	s_wait_dscnt 0x2
	v_mov_b32_e32 v20, v193
	v_pk_add_f32 v[110:111], v[110:111], v[18:19] neg_lo:[0,1] neg_hi:[0,1]
	v_pk_mul_f32 v[18:19], v[190:191], v[2:3] op_sel:[0,1]
	v_dual_mov_b32 v21, v192 :: v_dual_mul_f32 v8, v193, v0
	v_pk_fma_f32 v[198:199], v[188:189], v[0:1], v[186:187] op_sel:[0,0,1] op_sel_hi:[1,1,0] neg_lo:[0,0,1] neg_hi:[0,0,1]
	v_mov_b32_e32 v199, v9
	s_delay_alu instid0(VALU_DEP_4) | instskip(SKIP_3) | instid1(VALU_DEP_4)
	v_pk_fma_f32 v[186:187], v[190:191], v[0:1], v[18:19] op_sel:[0,0,1] op_sel_hi:[1,0,0]
	v_mul_f32_e32 v186, v193, v3
	v_pk_fma_f32 v[8:9], v[20:21], v[78:79], v[8:9] op_sel_hi:[1,1,0]
	v_pk_fma_f32 v[18:19], v[190:191], v[0:1], v[18:19] op_sel:[0,0,1] op_sel_hi:[1,1,0] neg_lo:[0,0,1] neg_hi:[0,0,1]
	v_mov_b32_e32 v19, v187
	s_delay_alu instid0(VALU_DEP_4)
	v_pk_fma_f32 v[20:21], v[192:193], v[78:79], v[186:187] op_sel_hi:[1,1,0] neg_lo:[0,0,1] neg_hi:[0,0,1]
	ds_load_2addr_b64 v[186:189], v12 offset0:32 offset1:33
	s_wait_dscnt 0x2
	v_pk_mul_f32 v[190:191], v[4:5], v[2:3] op_sel:[0,1]
	v_mov_b32_e32 v21, v9
	v_pk_add_f32 v[108:109], v[108:109], v[18:19] neg_lo:[0,1] neg_hi:[0,1]
	v_pk_mul_f32 v[18:19], v[6:7], v[2:3] op_sel:[0,1]
	v_pk_add_f32 v[106:107], v[106:107], v[198:199] neg_lo:[0,1] neg_hi:[0,1]
	v_pk_fma_f32 v[8:9], v[4:5], v[0:1], v[190:191] op_sel:[0,0,1] op_sel_hi:[1,0,0]
	v_pk_add_f32 v[104:105], v[104:105], v[20:21] neg_lo:[0,1] neg_hi:[0,1]
	s_wait_dscnt 0x1
	v_pk_mul_f32 v[20:21], v[194:195], v[2:3] op_sel:[0,1]
	v_pk_fma_f32 v[4:5], v[4:5], v[0:1], v[190:191] op_sel:[0,0,1] op_sel_hi:[1,1,0] neg_lo:[0,0,1] neg_hi:[0,0,1]
	ds_load_2addr_b64 v[190:193], v12 offset0:34 offset1:35
	v_mov_b32_e32 v5, v9
	v_pk_fma_f32 v[8:9], v[6:7], v[0:1], v[18:19] op_sel:[0,0,1] op_sel_hi:[1,0,0]
	v_pk_fma_f32 v[198:199], v[194:195], v[0:1], v[20:21] op_sel:[0,0,1] op_sel_hi:[1,0,0]
	v_pk_fma_f32 v[6:7], v[6:7], v[0:1], v[18:19] op_sel:[0,0,1] op_sel_hi:[1,1,0] neg_lo:[0,0,1] neg_hi:[0,0,1]
	v_pk_mul_f32 v[18:19], v[196:197], v[2:3] op_sel:[0,1]
	s_delay_alu instid0(VALU_DEP_4)
	v_mov_b32_e32 v7, v9
	v_pk_fma_f32 v[8:9], v[194:195], v[0:1], v[20:21] op_sel:[0,0,1] op_sel_hi:[1,1,0] neg_lo:[0,0,1] neg_hi:[0,0,1]
	v_mov_b32_e32 v9, v199
	v_pk_add_f32 v[128:129], v[128:129], v[4:5] neg_lo:[0,1] neg_hi:[0,1]
	v_pk_fma_f32 v[4:5], v[196:197], v[0:1], v[18:19] op_sel:[0,0,1] op_sel_hi:[1,0,0]
	s_wait_dscnt 0x1
	v_mul_f32_e32 v4, v187, v0
	v_pk_add_f32 v[124:125], v[124:125], v[6:7] neg_lo:[0,1] neg_hi:[0,1]
	v_pk_add_f32 v[126:127], v[126:127], v[8:9] neg_lo:[0,1] neg_hi:[0,1]
	v_pk_fma_f32 v[8:9], v[196:197], v[0:1], v[18:19] op_sel:[0,0,1] op_sel_hi:[1,1,0] neg_lo:[0,0,1] neg_hi:[0,0,1]
	v_mov_b32_e32 v9, v5
	v_pk_fma_f32 v[20:21], v[186:187], v[78:79], v[4:5] op_sel:[1,0,0] op_sel_hi:[0,1,0]
	v_mul_f32_e32 v18, v187, v3
	v_pk_mul_f32 v[198:199], v[188:189], v[2:3] op_sel:[0,1]
	ds_load_2addr_b64 v[4:7], v12 offset0:36 offset1:37
	v_pk_add_f32 v[122:123], v[122:123], v[8:9] neg_lo:[0,1] neg_hi:[0,1]
	ds_load_2addr_b64 v[194:197], v12 offset0:38 offset1:39
	v_pk_fma_f32 v[8:9], v[186:187], v[78:79], v[18:19] op_sel_hi:[1,1,0] neg_lo:[0,0,1] neg_hi:[0,0,1]
	s_wait_dscnt 0x2
	v_pk_mul_f32 v[18:19], v[190:191], v[2:3] op_sel:[0,1]
	v_mov_b32_e32 v9, v21
	v_pk_fma_f32 v[20:21], v[188:189], v[0:1], v[198:199] op_sel:[0,0,1] op_sel_hi:[1,0,0]
	v_pk_mul_f32 v[186:187], v[192:193], v[2:3] op_sel:[0,1]
	v_pk_fma_f32 v[188:189], v[188:189], v[0:1], v[198:199] op_sel:[0,0,1] op_sel_hi:[1,1,0] neg_lo:[0,0,1] neg_hi:[0,0,1]
	v_pk_fma_f32 v[200:201], v[190:191], v[0:1], v[18:19] op_sel:[0,0,1] op_sel_hi:[1,0,0]
	v_pk_fma_f32 v[18:19], v[190:191], v[0:1], v[18:19] op_sel:[0,0,1] op_sel_hi:[1,1,0] neg_lo:[0,0,1] neg_hi:[0,0,1]
	v_mov_b32_e32 v189, v21
	v_pk_fma_f32 v[20:21], v[192:193], v[0:1], v[186:187] op_sel:[0,0,1] op_sel_hi:[1,0,0]
	v_pk_add_f32 v[148:149], v[148:149], v[8:9] neg_lo:[0,1] neg_hi:[0,1]
	v_mov_b32_e32 v19, v201
	v_pk_fma_f32 v[8:9], v[192:193], v[0:1], v[186:187] op_sel:[0,0,1] op_sel_hi:[1,1,0] neg_lo:[0,0,1] neg_hi:[0,0,1]
	v_pk_add_f32 v[144:145], v[144:145], v[188:189] neg_lo:[0,1] neg_hi:[0,1]
	ds_load_2addr_b64 v[186:189], v12 offset0:40 offset1:41
	v_mov_b32_e32 v9, v21
	v_pk_add_f32 v[146:147], v[146:147], v[18:19] neg_lo:[0,1] neg_hi:[0,1]
	s_wait_dscnt 0x2
	v_pk_mul_f32 v[18:19], v[4:5], v[2:3] op_sel:[0,1]
	ds_load_2addr_b64 v[190:193], v12 offset0:42 offset1:43
	v_mul_f32_e32 v20, v7, v0
	v_pk_add_f32 v[142:143], v[142:143], v[8:9] neg_lo:[0,1] neg_hi:[0,1]
	v_dual_mov_b32 v8, v7 :: v_dual_mov_b32 v9, v6
	v_pk_fma_f32 v[198:199], v[4:5], v[0:1], v[18:19] op_sel:[0,0,1] op_sel_hi:[1,0,0]
	v_mul_f32_e32 v198, v7, v3
	s_wait_dscnt 0x2
	v_pk_mul_f32 v[200:201], v[194:195], v[2:3] op_sel:[0,1]
	v_pk_fma_f32 v[4:5], v[4:5], v[0:1], v[18:19] op_sel:[0,0,1] op_sel_hi:[1,1,0] neg_lo:[0,0,1] neg_hi:[0,0,1]
	v_pk_fma_f32 v[8:9], v[8:9], v[78:79], v[20:21] op_sel_hi:[1,1,0]
	v_mov_b32_e32 v5, v199
	v_pk_fma_f32 v[6:7], v[6:7], v[78:79], v[198:199] op_sel_hi:[1,1,0] neg_lo:[0,0,1] neg_hi:[0,0,1]
	v_pk_fma_f32 v[18:19], v[194:195], v[0:1], v[200:201] op_sel:[0,0,1] op_sel_hi:[1,0,0]
	v_pk_fma_f32 v[20:21], v[194:195], v[0:1], v[200:201] op_sel:[0,0,1] op_sel_hi:[1,1,0] neg_lo:[0,0,1] neg_hi:[0,0,1]
	v_mov_b32_e32 v7, v9
	v_pk_mul_f32 v[8:9], v[196:197], v[2:3] op_sel:[0,1]
	v_pk_add_f32 v[170:171], v[170:171], v[4:5] neg_lo:[0,1] neg_hi:[0,1]
	s_wait_dscnt 0x1
	v_pk_mul_f32 v[4:5], v[186:187], v[2:3] op_sel:[0,1]
	v_mov_b32_e32 v21, v19
	v_pk_add_f32 v[164:165], v[164:165], v[6:7] neg_lo:[0,1] neg_hi:[0,1]
	v_pk_fma_f32 v[18:19], v[196:197], v[0:1], v[8:9] op_sel:[0,0,1] op_sel_hi:[1,0,0]
	v_pk_fma_f32 v[6:7], v[196:197], v[0:1], v[8:9] op_sel:[0,0,1] op_sel_hi:[1,1,0] neg_lo:[0,0,1] neg_hi:[0,0,1]
	v_pk_fma_f32 v[8:9], v[186:187], v[0:1], v[4:5] op_sel:[0,0,1] op_sel_hi:[1,0,0]
	s_wait_dscnt 0x0
	v_mul_f32_e32 v8, v191, v0
	v_pk_fma_f32 v[4:5], v[186:187], v[0:1], v[4:5] op_sel:[0,0,1] op_sel_hi:[1,1,0] neg_lo:[0,0,1] neg_hi:[0,0,1]
	v_mov_b32_e32 v7, v19
	v_pk_add_f32 v[168:169], v[168:169], v[20:21] neg_lo:[0,1] neg_hi:[0,1]
	v_pk_mul_f32 v[18:19], v[188:189], v[2:3] op_sel:[0,1]
	v_pk_mul_f32 v[20:21], v[192:193], v[2:3] op_sel:[0,1]
	v_mov_b32_e32 v5, v9
	v_pk_fma_f32 v[8:9], v[190:191], v[78:79], v[8:9] op_sel:[1,0,0] op_sel_hi:[0,1,0]
	v_mul_f32_e32 v2, v191, v3
	v_pk_fma_f32 v[186:187], v[188:189], v[0:1], v[18:19] op_sel:[0,0,1] op_sel_hi:[1,0,0]
	v_pk_fma_f32 v[18:19], v[188:189], v[0:1], v[18:19] op_sel:[0,0,1] op_sel_hi:[1,1,0] neg_lo:[0,0,1] neg_hi:[0,0,1]
	v_pk_fma_f32 v[188:189], v[192:193], v[0:1], v[20:21] op_sel:[0,0,1] op_sel_hi:[1,0,0]
	v_pk_fma_f32 v[0:1], v[192:193], v[0:1], v[20:21] op_sel:[0,0,1] op_sel_hi:[1,1,0] neg_lo:[0,0,1] neg_hi:[0,0,1]
	v_pk_fma_f32 v[2:3], v[190:191], v[78:79], v[2:3] op_sel_hi:[1,1,0] neg_lo:[0,0,1] neg_hi:[0,0,1]
	v_dual_mov_b32 v19, v187 :: v_dual_mov_b32 v3, v9
	s_delay_alu instid0(VALU_DEP_4) | instskip(SKIP_2) | instid1(VALU_DEP_4)
	v_mov_b32_e32 v1, v189
	v_pk_add_f32 v[162:163], v[162:163], v[6:7] neg_lo:[0,1] neg_hi:[0,1]
	v_pk_add_f32 v[166:167], v[166:167], v[4:5] neg_lo:[0,1] neg_hi:[0,1]
	;; [unrolled: 1-line block ×5, first 2 shown]
.LBB87_37:
	s_or_b32 exec_lo, exec_lo, s1
	s_delay_alu instid0(SALU_CYCLE_1)
	s_mov_b32 s2, exec_lo
	s_wait_dscnt 0x0
	s_barrier_signal -1
	s_barrier_wait -1
	v_cmpx_eq_u32_e32 4, v30
	s_cbranch_execz .LBB87_44
; %bb.38:
	ds_store_b64 v31, v[50:51]
	ds_store_2addr_b64 v12, v[44:45], v[46:47] offset0:5 offset1:6
	ds_store_2addr_b64 v12, v[28:29], v[76:77] offset0:7 offset1:8
	ds_store_2addr_b64 v12, v[72:73], v[74:75] offset0:9 offset1:10
	ds_store_2addr_b64 v12, v[70:71], v[102:103] offset0:11 offset1:12
	ds_store_2addr_b64 v12, v[68:69], v[100:101] offset0:13 offset1:14
	ds_store_2addr_b64 v12, v[98:99], v[120:121] offset0:15 offset1:16
	ds_store_2addr_b64 v12, v[56:57], v[58:59] offset0:17 offset1:18
	ds_store_2addr_b64 v12, v[54:55], v[86:87] offset0:19 offset1:20
	ds_store_2addr_b64 v12, v[82:83], v[84:85] offset0:21 offset1:22
	ds_store_2addr_b64 v12, v[80:81], v[110:111] offset0:23 offset1:24
	ds_store_2addr_b64 v12, v[106:107], v[108:109] offset0:25 offset1:26
	ds_store_2addr_b64 v12, v[104:105], v[128:129] offset0:27 offset1:28
	ds_store_2addr_b64 v12, v[124:125], v[126:127] offset0:29 offset1:30
	ds_store_2addr_b64 v12, v[122:123], v[148:149] offset0:31 offset1:32
	ds_store_2addr_b64 v12, v[144:145], v[146:147] offset0:33 offset1:34
	ds_store_2addr_b64 v12, v[142:143], v[170:171] offset0:35 offset1:36
	ds_store_2addr_b64 v12, v[164:165], v[168:169] offset0:37 offset1:38
	ds_store_2addr_b64 v12, v[162:163], v[166:167] offset0:39 offset1:40
	ds_store_2addr_b64 v12, v[160:161], v[172:173] offset0:41 offset1:42
	ds_store_b64 v12, v[176:177] offset:344
	ds_load_b64 v[0:1], v31
	s_wait_dscnt 0x0
	v_cmp_neq_f32_e32 vcc_lo, 0, v0
	v_cmp_neq_f32_e64 s1, 0, v1
	s_or_b32 s1, vcc_lo, s1
	s_delay_alu instid0(SALU_CYCLE_1)
	s_and_b32 exec_lo, exec_lo, s1
	s_cbranch_execz .LBB87_44
; %bb.39:
	v_cmp_ngt_f32_e64 s1, |v0|, |v1|
                                        ; implicit-def: $vgpr2_vgpr3
	s_and_saveexec_b32 s4, s1
	s_delay_alu instid0(SALU_CYCLE_1)
	s_xor_b32 s1, exec_lo, s4
	s_cbranch_execz .LBB87_41
; %bb.40:
	v_div_scale_f32 v2, null, v1, v1, v0
	v_div_scale_f32 v5, vcc_lo, v0, v1, v0
	s_delay_alu instid0(VALU_DEP_2) | instskip(SKIP_1) | instid1(TRANS32_DEP_1)
	v_rcp_f32_e32 v3, v2
	v_nop
	v_fma_f32 v4, -v2, v3, 1.0
	s_delay_alu instid0(VALU_DEP_1) | instskip(NEXT) | instid1(VALU_DEP_1)
	v_fmac_f32_e32 v3, v4, v3
	v_mul_f32_e32 v4, v5, v3
	s_delay_alu instid0(VALU_DEP_1) | instskip(NEXT) | instid1(VALU_DEP_1)
	v_fma_f32 v6, -v2, v4, v5
	v_fmac_f32_e32 v4, v6, v3
	s_delay_alu instid0(VALU_DEP_1) | instskip(NEXT) | instid1(VALU_DEP_1)
	v_fma_f32 v2, -v2, v4, v5
	v_div_fmas_f32 v2, v2, v3, v4
	s_delay_alu instid0(VALU_DEP_1) | instskip(NEXT) | instid1(VALU_DEP_1)
	v_div_fixup_f32 v2, v2, v1, v0
	v_fmac_f32_e32 v1, v0, v2
	s_delay_alu instid0(VALU_DEP_1) | instskip(SKIP_1) | instid1(VALU_DEP_2)
	v_div_scale_f32 v0, null, v1, v1, 1.0
	v_div_scale_f32 v5, vcc_lo, 1.0, v1, 1.0
	v_rcp_f32_e32 v3, v0
	v_nop
	s_delay_alu instid0(TRANS32_DEP_1) | instskip(NEXT) | instid1(VALU_DEP_1)
	v_fma_f32 v4, -v0, v3, 1.0
	v_fmac_f32_e32 v3, v4, v3
	s_delay_alu instid0(VALU_DEP_1) | instskip(NEXT) | instid1(VALU_DEP_1)
	v_mul_f32_e32 v4, v5, v3
	v_fma_f32 v6, -v0, v4, v5
	s_delay_alu instid0(VALU_DEP_1) | instskip(NEXT) | instid1(VALU_DEP_1)
	v_fmac_f32_e32 v4, v6, v3
	v_fma_f32 v0, -v0, v4, v5
	s_delay_alu instid0(VALU_DEP_1) | instskip(NEXT) | instid1(VALU_DEP_1)
	v_div_fmas_f32 v0, v0, v3, v4
	v_div_fixup_f32 v0, v0, v1, 1.0
	s_delay_alu instid0(VALU_DEP_1)
	v_mul_f32_e32 v2, v2, v0
	v_xor_b32_e32 v3, 0x80000000, v0
                                        ; implicit-def: $vgpr0_vgpr1
.LBB87_41:
	s_and_not1_saveexec_b32 s1, s1
	s_cbranch_execz .LBB87_43
; %bb.42:
	v_div_scale_f32 v2, null, v0, v0, v1
	v_div_scale_f32 v5, vcc_lo, v1, v0, v1
	s_delay_alu instid0(VALU_DEP_2) | instskip(SKIP_1) | instid1(TRANS32_DEP_1)
	v_rcp_f32_e32 v3, v2
	v_nop
	v_fma_f32 v4, -v2, v3, 1.0
	s_delay_alu instid0(VALU_DEP_1) | instskip(NEXT) | instid1(VALU_DEP_1)
	v_fmac_f32_e32 v3, v4, v3
	v_mul_f32_e32 v4, v5, v3
	s_delay_alu instid0(VALU_DEP_1) | instskip(NEXT) | instid1(VALU_DEP_1)
	v_fma_f32 v6, -v2, v4, v5
	v_fmac_f32_e32 v4, v6, v3
	s_delay_alu instid0(VALU_DEP_1) | instskip(NEXT) | instid1(VALU_DEP_1)
	v_fma_f32 v2, -v2, v4, v5
	v_div_fmas_f32 v2, v2, v3, v4
	s_delay_alu instid0(VALU_DEP_1) | instskip(NEXT) | instid1(VALU_DEP_1)
	v_div_fixup_f32 v3, v2, v0, v1
	v_fmac_f32_e32 v0, v1, v3
	s_delay_alu instid0(VALU_DEP_1) | instskip(NEXT) | instid1(VALU_DEP_1)
	v_div_scale_f32 v1, null, v0, v0, 1.0
	v_rcp_f32_e32 v2, v1
	v_nop
	s_delay_alu instid0(TRANS32_DEP_1) | instskip(NEXT) | instid1(VALU_DEP_1)
	v_fma_f32 v4, -v1, v2, 1.0
	v_fmac_f32_e32 v2, v4, v2
	v_div_scale_f32 v4, vcc_lo, 1.0, v0, 1.0
	s_delay_alu instid0(VALU_DEP_1) | instskip(NEXT) | instid1(VALU_DEP_1)
	v_mul_f32_e32 v5, v4, v2
	v_fma_f32 v6, -v1, v5, v4
	s_delay_alu instid0(VALU_DEP_1) | instskip(NEXT) | instid1(VALU_DEP_1)
	v_fmac_f32_e32 v5, v6, v2
	v_fma_f32 v1, -v1, v5, v4
	s_delay_alu instid0(VALU_DEP_1) | instskip(NEXT) | instid1(VALU_DEP_1)
	v_div_fmas_f32 v1, v1, v2, v5
	v_div_fixup_f32 v2, v1, v0, 1.0
	s_delay_alu instid0(VALU_DEP_1)
	v_mul_f32_e64 v3, v3, -v2
.LBB87_43:
	s_or_b32 exec_lo, exec_lo, s1
	ds_store_b64 v31, v[2:3]
.LBB87_44:
	s_or_b32 exec_lo, exec_lo, s2
	s_wait_dscnt 0x0
	s_barrier_signal -1
	s_barrier_wait -1
	ds_load_b64 v[186:187], v31
	s_mov_b32 s1, exec_lo
	v_cmpx_lt_u32_e32 4, v30
	s_cbranch_execz .LBB87_46
; %bb.45:
	ds_load_2addr_b64 v[4:7], v12 offset0:5 offset1:6
	ds_load_2addr_b64 v[188:191], v12 offset0:7 offset1:8
	;; [unrolled: 1-line block ×3, first 2 shown]
	s_wait_dscnt 0x3
	v_pk_mul_f32 v[2:3], v[186:187], v[50:51] op_sel:[1,1] op_sel_hi:[0,1]
	ds_load_2addr_b64 v[196:199], v12 offset0:11 offset1:12
	ds_load_2addr_b64 v[200:203], v12 offset0:13 offset1:14
	v_pk_fma_f32 v[0:1], v[186:187], v[50:51], v[2:3] op_sel_hi:[1,0,1] neg_lo:[0,0,1] neg_hi:[0,0,1]
	v_pk_fma_f32 v[2:3], v[186:187], v[50:51], v[2:3] op_sel_hi:[1,0,1]
	s_delay_alu instid0(VALU_DEP_1) | instskip(SKIP_1) | instid1(VALU_DEP_2)
	v_dual_mov_b32 v50, v0 :: v_dual_mov_b32 v51, v3
	s_wait_dscnt 0x4
	v_pk_mul_f32 v[8:9], v[4:5], v[2:3] op_sel:[0,1]
	v_pk_mul_f32 v[18:19], v[6:7], v[2:3] op_sel:[0,1]
	s_wait_dscnt 0x3
	v_pk_mul_f32 v[20:21], v[188:189], v[2:3] op_sel:[0,1]
	v_dual_mov_b32 v204, v191 :: v_dual_mov_b32 v205, v190
	v_dual_mul_f32 v206, v191, v3 :: v_dual_mul_f32 v208, v191, v0
	v_pk_fma_f32 v[214:215], v[4:5], v[0:1], v[8:9] op_sel:[0,0,1] op_sel_hi:[1,1,0] neg_lo:[0,0,1] neg_hi:[0,0,1]
	v_pk_fma_f32 v[4:5], v[4:5], v[0:1], v[8:9] op_sel:[0,0,1] op_sel_hi:[1,0,0]
	v_pk_fma_f32 v[8:9], v[6:7], v[0:1], v[18:19] op_sel:[0,0,1] op_sel_hi:[1,1,0] neg_lo:[0,0,1] neg_hi:[0,0,1]
	v_pk_fma_f32 v[6:7], v[6:7], v[0:1], v[18:19] op_sel:[0,0,1] op_sel_hi:[1,0,0]
	;; [unrolled: 2-line block ×3, first 2 shown]
	v_pk_fma_f32 v[188:189], v[204:205], v[50:51], v[208:209] op_sel_hi:[1,1,0]
	s_wait_dscnt 0x2
	v_pk_mul_f32 v[210:211], v[192:193], v[2:3] op_sel:[0,1]
	v_pk_mul_f32 v[212:213], v[194:195], v[2:3] op_sel:[0,1]
	v_pk_fma_f32 v[190:191], v[190:191], v[50:51], v[206:207] op_sel_hi:[1,1,0] neg_lo:[0,0,1] neg_hi:[0,0,1]
	v_dual_mov_b32 v19, v21 :: v_dual_mov_b32 v191, v189
	v_dual_mov_b32 v215, v5 :: v_dual_mov_b32 v9, v7
	v_pk_fma_f32 v[20:21], v[192:193], v[0:1], v[210:211] op_sel:[0,0,1] op_sel_hi:[1,0,0]
	s_delay_alu instid0(VALU_DEP_3)
	v_pk_add_f32 v[28:29], v[28:29], v[18:19] neg_lo:[0,1] neg_hi:[0,1]
	v_pk_fma_f32 v[18:19], v[194:195], v[0:1], v[212:213] op_sel:[0,0,1] op_sel_hi:[1,0,0]
	s_wait_dscnt 0x1
	v_pk_mul_f32 v[188:189], v[196:197], v[2:3] op_sel:[0,1]
	v_pk_add_f32 v[76:77], v[76:77], v[190:191] neg_lo:[0,1] neg_hi:[0,1]
	ds_load_2addr_b64 v[4:7], v12 offset0:15 offset1:16
	v_pk_mul_f32 v[190:191], v[198:199], v[2:3] op_sel:[0,1]
	v_pk_add_f32 v[46:47], v[46:47], v[8:9] neg_lo:[0,1] neg_hi:[0,1]
	v_pk_fma_f32 v[8:9], v[192:193], v[0:1], v[210:211] op_sel:[0,0,1] op_sel_hi:[1,1,0] neg_lo:[0,0,1] neg_hi:[0,0,1]
	v_mov_b32_e32 v9, v21
	v_pk_fma_f32 v[20:21], v[194:195], v[0:1], v[212:213] op_sel:[0,0,1] op_sel_hi:[1,1,0] neg_lo:[0,0,1] neg_hi:[0,0,1]
	v_pk_fma_f32 v[192:193], v[196:197], v[0:1], v[188:189] op_sel:[0,0,1] op_sel_hi:[1,0,0]
	v_mov_b32_e32 v21, v19
	v_pk_fma_f32 v[18:19], v[198:199], v[0:1], v[190:191] op_sel:[0,0,1] op_sel_hi:[1,0,0]
	v_pk_add_f32 v[72:73], v[72:73], v[8:9] neg_lo:[0,1] neg_hi:[0,1]
	v_pk_fma_f32 v[8:9], v[196:197], v[0:1], v[188:189] op_sel:[0,0,1] op_sel_hi:[1,1,0] neg_lo:[0,0,1] neg_hi:[0,0,1]
	v_mov_b32_e32 v9, v193
	v_pk_add_f32 v[74:75], v[74:75], v[20:21] neg_lo:[0,1] neg_hi:[0,1]
	v_pk_fma_f32 v[20:21], v[198:199], v[0:1], v[190:191] op_sel:[0,0,1] op_sel_hi:[1,1,0] neg_lo:[0,0,1] neg_hi:[0,0,1]
	s_wait_dscnt 0x1
	v_dual_mul_f32 v18, v201, v0 :: v_dual_mov_b32 v21, v19
	v_pk_add_f32 v[70:71], v[70:71], v[8:9] neg_lo:[0,1] neg_hi:[0,1]
	v_mul_f32_e32 v8, v201, v3
	ds_load_2addr_b64 v[188:191], v12 offset0:17 offset1:18
	v_pk_fma_f32 v[18:19], v[200:201], v[50:51], v[18:19] op_sel:[1,0,0] op_sel_hi:[0,1,0]
	v_pk_add_f32 v[102:103], v[102:103], v[20:21] neg_lo:[0,1] neg_hi:[0,1]
	v_pk_mul_f32 v[20:21], v[202:203], v[2:3] op_sel:[0,1]
	v_pk_fma_f32 v[8:9], v[200:201], v[50:51], v[8:9] op_sel_hi:[1,1,0] neg_lo:[0,0,1] neg_hi:[0,0,1]
	s_wait_dscnt 0x1
	v_pk_mul_f32 v[196:197], v[4:5], v[2:3] op_sel:[0,1]
	ds_load_2addr_b64 v[192:195], v12 offset0:19 offset1:20
	v_pk_add_f32 v[44:45], v[44:45], v[214:215] neg_lo:[0,1] neg_hi:[0,1]
	v_pk_fma_f32 v[198:199], v[202:203], v[0:1], v[20:21] op_sel:[0,0,1] op_sel_hi:[1,0,0]
	v_mov_b32_e32 v9, v19
	v_pk_mul_f32 v[18:19], v[6:7], v[2:3] op_sel:[0,1]
	v_pk_fma_f32 v[200:201], v[4:5], v[0:1], v[196:197] op_sel:[0,0,1] op_sel_hi:[1,0,0]
	v_pk_fma_f32 v[20:21], v[202:203], v[0:1], v[20:21] op_sel:[0,0,1] op_sel_hi:[1,1,0] neg_lo:[0,0,1] neg_hi:[0,0,1]
	v_pk_fma_f32 v[4:5], v[4:5], v[0:1], v[196:197] op_sel:[0,0,1] op_sel_hi:[1,1,0] neg_lo:[0,0,1] neg_hi:[0,0,1]
	v_mov_b32_e32 v21, v199
	v_pk_fma_f32 v[202:203], v[6:7], v[0:1], v[18:19] op_sel:[0,0,1] op_sel_hi:[1,0,0]
	v_pk_fma_f32 v[6:7], v[6:7], v[0:1], v[18:19] op_sel:[0,0,1] op_sel_hi:[1,1,0] neg_lo:[0,0,1] neg_hi:[0,0,1]
	v_mov_b32_e32 v5, v201
	v_pk_add_f32 v[68:69], v[68:69], v[8:9] neg_lo:[0,1] neg_hi:[0,1]
	v_pk_add_f32 v[100:101], v[100:101], v[20:21] neg_lo:[0,1] neg_hi:[0,1]
	v_mov_b32_e32 v7, v203
	s_wait_dscnt 0x1
	v_pk_mul_f32 v[8:9], v[188:189], v[2:3] op_sel:[0,1]
	v_pk_add_f32 v[98:99], v[98:99], v[4:5] neg_lo:[0,1] neg_hi:[0,1]
	v_dual_mov_b32 v20, v191 :: v_dual_mov_b32 v21, v190
	v_pk_add_f32 v[120:121], v[120:121], v[6:7] neg_lo:[0,1] neg_hi:[0,1]
	ds_load_2addr_b64 v[4:7], v12 offset0:21 offset1:22
	v_pk_fma_f32 v[18:19], v[188:189], v[0:1], v[8:9] op_sel:[0,0,1] op_sel_hi:[1,1,0] neg_lo:[0,0,1] neg_hi:[0,0,1]
	v_pk_fma_f32 v[8:9], v[188:189], v[0:1], v[8:9] op_sel:[0,0,1] op_sel_hi:[1,0,0]
	v_dual_mul_f32 v8, v191, v0 :: v_dual_mul_f32 v188, v191, v3
	s_wait_dscnt 0x1
	v_pk_mul_f32 v[200:201], v[192:193], v[2:3] op_sel:[0,1]
	ds_load_2addr_b64 v[196:199], v12 offset0:23 offset1:24
	v_pk_mul_f32 v[202:203], v[194:195], v[2:3] op_sel:[0,1]
	v_pk_fma_f32 v[20:21], v[20:21], v[50:51], v[8:9] op_sel_hi:[1,1,0]
	v_mov_b32_e32 v19, v9
	v_pk_fma_f32 v[8:9], v[192:193], v[0:1], v[200:201] op_sel:[0,0,1] op_sel_hi:[1,0,0]
	v_pk_fma_f32 v[188:189], v[190:191], v[50:51], v[188:189] op_sel_hi:[1,1,0] neg_lo:[0,0,1] neg_hi:[0,0,1]
	v_pk_fma_f32 v[190:191], v[194:195], v[0:1], v[202:203] op_sel:[0,0,1] op_sel_hi:[1,0,0]
	v_mov_b32_e32 v189, v21
	v_pk_fma_f32 v[20:21], v[192:193], v[0:1], v[200:201] op_sel:[0,0,1] op_sel_hi:[1,1,0] neg_lo:[0,0,1] neg_hi:[0,0,1]
	v_mov_b32_e32 v21, v9
	v_pk_fma_f32 v[8:9], v[194:195], v[0:1], v[202:203] op_sel:[0,0,1] op_sel_hi:[1,1,0] neg_lo:[0,0,1] neg_hi:[0,0,1]
	v_mov_b32_e32 v9, v191
	v_pk_add_f32 v[56:57], v[56:57], v[18:19] neg_lo:[0,1] neg_hi:[0,1]
	v_pk_add_f32 v[58:59], v[58:59], v[188:189] neg_lo:[0,1] neg_hi:[0,1]
	s_wait_dscnt 0x1
	v_pk_mul_f32 v[192:193], v[4:5], v[2:3] op_sel:[0,1]
	v_pk_mul_f32 v[18:19], v[6:7], v[2:3] op_sel:[0,1]
	v_pk_add_f32 v[86:87], v[86:87], v[8:9] neg_lo:[0,1] neg_hi:[0,1]
	ds_load_2addr_b64 v[188:191], v12 offset0:25 offset1:26
	v_pk_add_f32 v[54:55], v[54:55], v[20:21] neg_lo:[0,1] neg_hi:[0,1]
	v_pk_fma_f32 v[8:9], v[4:5], v[0:1], v[192:193] op_sel:[0,0,1] op_sel_hi:[1,0,0]
	v_pk_fma_f32 v[200:201], v[6:7], v[0:1], v[18:19] op_sel:[0,0,1] op_sel_hi:[1,0,0]
	v_pk_fma_f32 v[4:5], v[4:5], v[0:1], v[192:193] op_sel:[0,0,1] op_sel_hi:[1,1,0] neg_lo:[0,0,1] neg_hi:[0,0,1]
	ds_load_2addr_b64 v[192:195], v12 offset0:27 offset1:28
	s_wait_dscnt 0x2
	v_dual_mul_f32 v8, v197, v0 :: v_dual_mul_f32 v200, v197, v3
	v_pk_fma_f32 v[6:7], v[6:7], v[0:1], v[18:19] op_sel:[0,0,1] op_sel_hi:[1,1,0] neg_lo:[0,0,1] neg_hi:[0,0,1]
	v_dual_mov_b32 v5, v9 :: v_dual_mov_b32 v7, v201
	v_pk_mul_f32 v[20:21], v[198:199], v[2:3] op_sel:[0,1]
	s_delay_alu instid0(VALU_DEP_4) | instskip(SKIP_1) | instid1(VALU_DEP_4)
	v_pk_fma_f32 v[8:9], v[196:197], v[50:51], v[8:9] op_sel:[1,0,0] op_sel_hi:[0,1,0]
	v_pk_fma_f32 v[196:197], v[196:197], v[50:51], v[200:201] op_sel_hi:[1,1,0] neg_lo:[0,0,1] neg_hi:[0,0,1]
	v_pk_add_f32 v[82:83], v[82:83], v[4:5] neg_lo:[0,1] neg_hi:[0,1]
	v_pk_add_f32 v[84:85], v[84:85], v[6:7] neg_lo:[0,1] neg_hi:[0,1]
	v_pk_fma_f32 v[18:19], v[198:199], v[0:1], v[20:21] op_sel:[0,0,1] op_sel_hi:[1,0,0]
	ds_load_2addr_b64 v[4:7], v12 offset0:29 offset1:30
	v_mov_b32_e32 v197, v9
	v_pk_fma_f32 v[8:9], v[198:199], v[0:1], v[20:21] op_sel:[0,0,1] op_sel_hi:[1,1,0] neg_lo:[0,0,1] neg_hi:[0,0,1]
	v_mov_b32_e32 v9, v19
	s_wait_dscnt 0x2
	v_pk_mul_f32 v[18:19], v[188:189], v[2:3] op_sel:[0,1]
	v_pk_add_f32 v[80:81], v[80:81], v[196:197] neg_lo:[0,1] neg_hi:[0,1]
	ds_load_2addr_b64 v[196:199], v12 offset0:31 offset1:32
	s_wait_dscnt 0x2
	v_pk_mul_f32 v[20:21], v[192:193], v[2:3] op_sel:[0,1]
	v_pk_add_f32 v[110:111], v[110:111], v[8:9] neg_lo:[0,1] neg_hi:[0,1]
	v_pk_mul_f32 v[8:9], v[190:191], v[2:3] op_sel:[0,1]
	v_pk_fma_f32 v[200:201], v[188:189], v[0:1], v[18:19] op_sel:[0,0,1] op_sel_hi:[1,0,0]
	v_pk_fma_f32 v[18:19], v[188:189], v[0:1], v[18:19] op_sel:[0,0,1] op_sel_hi:[1,1,0] neg_lo:[0,0,1] neg_hi:[0,0,1]
	v_pk_fma_f32 v[202:203], v[192:193], v[0:1], v[20:21] op_sel:[0,0,1] op_sel_hi:[1,0,0]
	v_pk_fma_f32 v[20:21], v[192:193], v[0:1], v[20:21] op_sel:[0,0,1] op_sel_hi:[1,1,0] neg_lo:[0,0,1] neg_hi:[0,0,1]
	;; [unrolled: 2-line block ×3, first 2 shown]
	s_delay_alu instid0(VALU_DEP_4) | instskip(NEXT) | instid1(VALU_DEP_3)
	v_dual_mov_b32 v19, v201 :: v_dual_mov_b32 v21, v203
	v_dual_mov_b32 v188, v195 :: v_dual_mov_b32 v9, v189
	s_wait_dscnt 0x1
	v_pk_mul_f32 v[200:201], v[6:7], v[2:3] op_sel:[0,1]
	v_dual_mov_b32 v189, v194 :: v_dual_mul_f32 v190, v195, v0
	v_pk_add_f32 v[106:107], v[106:107], v[18:19] neg_lo:[0,1] neg_hi:[0,1]
	v_pk_add_f32 v[108:109], v[108:109], v[8:9] neg_lo:[0,1] neg_hi:[0,1]
	s_delay_alu instid0(VALU_DEP_4)
	v_pk_fma_f32 v[204:205], v[6:7], v[0:1], v[200:201] op_sel:[0,0,1] op_sel_hi:[1,0,0]
	v_mul_f32_e32 v8, v195, v3
	v_pk_add_f32 v[104:105], v[104:105], v[20:21] neg_lo:[0,1] neg_hi:[0,1]
	v_pk_fma_f32 v[18:19], v[188:189], v[50:51], v[190:191] op_sel_hi:[1,1,0]
	v_pk_mul_f32 v[20:21], v[4:5], v[2:3] op_sel:[0,1]
	v_pk_fma_f32 v[6:7], v[6:7], v[0:1], v[200:201] op_sel:[0,0,1] op_sel_hi:[1,1,0] neg_lo:[0,0,1] neg_hi:[0,0,1]
	v_mov_b32_e32 v7, v205
	v_pk_fma_f32 v[8:9], v[194:195], v[50:51], v[8:9] op_sel_hi:[1,1,0] neg_lo:[0,0,1] neg_hi:[0,0,1]
	ds_load_2addr_b64 v[188:191], v12 offset0:33 offset1:34
	v_pk_fma_f32 v[202:203], v[4:5], v[0:1], v[20:21] op_sel:[0,0,1] op_sel_hi:[1,0,0]
	v_mov_b32_e32 v9, v19
	s_wait_dscnt 0x1
	v_pk_mul_f32 v[18:19], v[196:197], v[2:3] op_sel:[0,1]
	ds_load_2addr_b64 v[192:195], v12 offset0:35 offset1:36
	v_pk_fma_f32 v[4:5], v[4:5], v[0:1], v[20:21] op_sel:[0,0,1] op_sel_hi:[1,1,0] neg_lo:[0,0,1] neg_hi:[0,0,1]
	v_mov_b32_e32 v5, v203
	v_pk_add_f32 v[128:129], v[128:129], v[8:9] neg_lo:[0,1] neg_hi:[0,1]
	v_pk_fma_f32 v[20:21], v[196:197], v[0:1], v[18:19] op_sel:[0,0,1] op_sel_hi:[1,0,0]
	v_pk_fma_f32 v[18:19], v[196:197], v[0:1], v[18:19] op_sel:[0,0,1] op_sel_hi:[1,1,0] neg_lo:[0,0,1] neg_hi:[0,0,1]
	v_pk_add_f32 v[126:127], v[126:127], v[6:7] neg_lo:[0,1] neg_hi:[0,1]
	v_pk_add_f32 v[124:125], v[124:125], v[4:5] neg_lo:[0,1] neg_hi:[0,1]
	ds_load_2addr_b64 v[4:7], v12 offset0:37 offset1:38
	v_mov_b32_e32 v19, v21
	v_pk_mul_f32 v[20:21], v[198:199], v[2:3] op_sel:[0,1]
	s_delay_alu instid0(VALU_DEP_1)
	v_pk_fma_f32 v[8:9], v[198:199], v[0:1], v[20:21] op_sel:[0,0,1] op_sel_hi:[1,1,0] neg_lo:[0,0,1] neg_hi:[0,0,1]
	v_pk_fma_f32 v[20:21], v[198:199], v[0:1], v[20:21] op_sel:[0,0,1] op_sel_hi:[1,0,0]
	s_wait_dscnt 0x2
	v_mul_f32_e32 v20, v189, v3
	v_pk_mul_f32 v[196:197], v[190:191], v[2:3] op_sel:[0,1]
	s_wait_dscnt 0x1
	v_pk_mul_f32 v[198:199], v[192:193], v[2:3] op_sel:[0,1]
	v_mov_b32_e32 v9, v21
	v_pk_add_f32 v[122:123], v[122:123], v[18:19] neg_lo:[0,1] neg_hi:[0,1]
	v_mul_f32_e32 v18, v189, v0
	v_pk_fma_f32 v[200:201], v[190:191], v[0:1], v[196:197] op_sel:[0,0,1] op_sel_hi:[1,0,0]
	v_pk_fma_f32 v[20:21], v[188:189], v[50:51], v[20:21] op_sel_hi:[1,1,0] neg_lo:[0,0,1] neg_hi:[0,0,1]
	v_pk_fma_f32 v[196:197], v[190:191], v[0:1], v[196:197] op_sel:[0,0,1] op_sel_hi:[1,1,0] neg_lo:[0,0,1] neg_hi:[0,0,1]
	v_pk_add_f32 v[148:149], v[148:149], v[8:9] neg_lo:[0,1] neg_hi:[0,1]
	v_pk_fma_f32 v[18:19], v[188:189], v[50:51], v[18:19] op_sel:[1,0,0] op_sel_hi:[0,1,0]
	ds_load_2addr_b64 v[188:191], v12 offset0:39 offset1:40
	v_dual_mov_b32 v197, v201 :: v_dual_mov_b32 v21, v19
	v_pk_fma_f32 v[18:19], v[192:193], v[0:1], v[198:199] op_sel:[0,0,1] op_sel_hi:[1,0,0]
	v_pk_fma_f32 v[192:193], v[192:193], v[0:1], v[198:199] op_sel:[0,0,1] op_sel_hi:[1,1,0] neg_lo:[0,0,1] neg_hi:[0,0,1]
	s_delay_alu instid0(VALU_DEP_3)
	v_pk_add_f32 v[146:147], v[146:147], v[196:197] neg_lo:[0,1] neg_hi:[0,1]
	s_wait_dscnt 0x1
	v_mov_b32_e32 v196, v7
	v_pk_add_f32 v[144:145], v[144:145], v[20:21] neg_lo:[0,1] neg_hi:[0,1]
	v_mov_b32_e32 v193, v19
	v_pk_mul_f32 v[18:19], v[194:195], v[2:3] op_sel:[0,1]
	v_pk_mul_f32 v[20:21], v[4:5], v[2:3] op_sel:[0,1]
	ds_load_b64 v[198:199], v12 offset:344
	v_mov_b32_e32 v197, v6
	v_pk_add_f32 v[142:143], v[142:143], v[192:193] neg_lo:[0,1] neg_hi:[0,1]
	v_pk_fma_f32 v[8:9], v[194:195], v[0:1], v[18:19] op_sel:[0,0,1] op_sel_hi:[1,1,0] neg_lo:[0,0,1] neg_hi:[0,0,1]
	v_pk_fma_f32 v[18:19], v[194:195], v[0:1], v[18:19] op_sel:[0,0,1] op_sel_hi:[1,0,0]
	v_pk_fma_f32 v[200:201], v[4:5], v[0:1], v[20:21] op_sel:[0,0,1] op_sel_hi:[1,0,0]
	ds_load_2addr_b64 v[192:195], v12 offset0:41 offset1:42
	v_pk_fma_f32 v[4:5], v[4:5], v[0:1], v[20:21] op_sel:[0,0,1] op_sel_hi:[1,1,0] neg_lo:[0,0,1] neg_hi:[0,0,1]
	s_wait_dscnt 0x2
	v_pk_mul_f32 v[20:21], v[188:189], v[2:3] op_sel:[0,1]
	v_dual_mov_b32 v9, v19 :: v_dual_mov_b32 v5, v201
	v_mul_f32_e32 v18, v7, v0
	s_delay_alu instid0(VALU_DEP_2) | instskip(NEXT) | instid1(VALU_DEP_4)
	v_pk_add_f32 v[170:171], v[170:171], v[8:9] neg_lo:[0,1] neg_hi:[0,1]
	v_pk_fma_f32 v[8:9], v[188:189], v[0:1], v[20:21] op_sel:[0,0,1] op_sel_hi:[1,0,0]
	v_mul_f32_e32 v200, v7, v3
	s_delay_alu instid0(VALU_DEP_4) | instskip(SKIP_2) | instid1(VALU_DEP_4)
	v_pk_fma_f32 v[18:19], v[196:197], v[50:51], v[18:19] op_sel_hi:[1,1,0]
	v_pk_add_f32 v[164:165], v[164:165], v[4:5] neg_lo:[0,1] neg_hi:[0,1]
	v_pk_mul_f32 v[4:5], v[190:191], v[2:3] op_sel:[0,1]
	v_pk_fma_f32 v[6:7], v[6:7], v[50:51], v[200:201] op_sel_hi:[1,1,0] neg_lo:[0,0,1] neg_hi:[0,0,1]
	s_delay_alu instid0(VALU_DEP_4) | instskip(NEXT) | instid1(VALU_DEP_3)
	v_mov_b32_e32 v7, v19
	v_pk_fma_f32 v[18:19], v[190:191], v[0:1], v[4:5] op_sel:[0,0,1] op_sel_hi:[1,0,0]
	v_pk_fma_f32 v[4:5], v[190:191], v[0:1], v[4:5] op_sel:[0,0,1] op_sel_hi:[1,1,0] neg_lo:[0,0,1] neg_hi:[0,0,1]
	s_delay_alu instid0(VALU_DEP_2) | instskip(NEXT) | instid1(VALU_DEP_4)
	v_mov_b32_e32 v5, v19
	v_pk_add_f32 v[168:169], v[168:169], v[6:7] neg_lo:[0,1] neg_hi:[0,1]
	v_pk_fma_f32 v[6:7], v[188:189], v[0:1], v[20:21] op_sel:[0,0,1] op_sel_hi:[1,1,0] neg_lo:[0,0,1] neg_hi:[0,0,1]
	v_mov_b32_e32 v7, v9
	s_wait_dscnt 0x0
	v_pk_mul_f32 v[8:9], v[192:193], v[2:3] op_sel:[0,1]
	v_pk_mul_f32 v[20:21], v[194:195], v[2:3] op_sel:[0,1]
	;; [unrolled: 1-line block ×3, first 2 shown]
	v_pk_add_f32 v[166:167], v[166:167], v[4:5] neg_lo:[0,1] neg_hi:[0,1]
	v_pk_add_f32 v[162:163], v[162:163], v[6:7] neg_lo:[0,1] neg_hi:[0,1]
	v_pk_fma_f32 v[188:189], v[192:193], v[0:1], v[8:9] op_sel:[0,0,1] op_sel_hi:[1,0,0]
	v_pk_fma_f32 v[18:19], v[194:195], v[0:1], v[20:21] op_sel:[0,0,1] op_sel_hi:[1,0,0]
	;; [unrolled: 1-line block ×3, first 2 shown]
	v_pk_fma_f32 v[8:9], v[192:193], v[0:1], v[8:9] op_sel:[0,0,1] op_sel_hi:[1,1,0] neg_lo:[0,0,1] neg_hi:[0,0,1]
	v_pk_fma_f32 v[20:21], v[194:195], v[0:1], v[20:21] op_sel:[0,0,1] op_sel_hi:[1,1,0] neg_lo:[0,0,1] neg_hi:[0,0,1]
	;; [unrolled: 1-line block ×3, first 2 shown]
	v_dual_mov_b32 v9, v189 :: v_dual_mov_b32 v21, v19
	v_mov_b32_e32 v1, v191
	s_delay_alu instid0(VALU_DEP_2) | instskip(NEXT) | instid1(VALU_DEP_3)
	v_pk_add_f32 v[160:161], v[160:161], v[8:9] neg_lo:[0,1] neg_hi:[0,1]
	v_pk_add_f32 v[172:173], v[172:173], v[20:21] neg_lo:[0,1] neg_hi:[0,1]
	s_delay_alu instid0(VALU_DEP_3)
	v_pk_add_f32 v[176:177], v[176:177], v[0:1] neg_lo:[0,1] neg_hi:[0,1]
.LBB87_46:
	s_or_b32 exec_lo, exec_lo, s1
	s_delay_alu instid0(SALU_CYCLE_1)
	s_mov_b32 s2, exec_lo
	s_wait_dscnt 0x0
	s_barrier_signal -1
	s_barrier_wait -1
	v_cmpx_eq_u32_e32 5, v30
	s_cbranch_execz .LBB87_53
; %bb.47:
	v_dual_mov_b32 v0, v46 :: v_dual_mov_b32 v1, v47
	v_dual_mov_b32 v2, v28 :: v_dual_mov_b32 v3, v29
	;; [unrolled: 1-line block ×4, first 2 shown]
	ds_store_b64 v31, v[44:45]
	ds_store_2addr_b64 v12, v[0:1], v[2:3] offset0:6 offset1:7
	ds_store_2addr_b64 v12, v[4:5], v[6:7] offset0:8 offset1:9
	v_dual_mov_b32 v0, v74 :: v_dual_mov_b32 v1, v75
	v_dual_mov_b32 v2, v70 :: v_dual_mov_b32 v3, v71
	;; [unrolled: 1-line block ×12, first 2 shown]
	ds_store_2addr_b64 v12, v[0:1], v[2:3] offset0:10 offset1:11
	ds_store_2addr_b64 v12, v[4:5], v[6:7] offset0:12 offset1:13
	;; [unrolled: 1-line block ×6, first 2 shown]
	v_dual_mov_b32 v0, v84 :: v_dual_mov_b32 v1, v85
	v_dual_mov_b32 v2, v80 :: v_dual_mov_b32 v3, v81
	;; [unrolled: 1-line block ×12, first 2 shown]
	ds_store_2addr_b64 v12, v[0:1], v[2:3] offset0:22 offset1:23
	ds_store_2addr_b64 v12, v[4:5], v[6:7] offset0:24 offset1:25
	;; [unrolled: 1-line block ×6, first 2 shown]
	v_dual_mov_b32 v0, v146 :: v_dual_mov_b32 v1, v147
	v_dual_mov_b32 v2, v142 :: v_dual_mov_b32 v3, v143
	;; [unrolled: 1-line block ×9, first 2 shown]
	ds_store_2addr_b64 v12, v[0:1], v[2:3] offset0:34 offset1:35
	ds_store_2addr_b64 v12, v[4:5], v[6:7] offset0:36 offset1:37
	;; [unrolled: 1-line block ×5, first 2 shown]
	ds_load_b64 v[0:1], v31
	s_wait_dscnt 0x0
	v_cmp_neq_f32_e32 vcc_lo, 0, v0
	v_cmp_neq_f32_e64 s1, 0, v1
	s_or_b32 s1, vcc_lo, s1
	s_delay_alu instid0(SALU_CYCLE_1)
	s_and_b32 exec_lo, exec_lo, s1
	s_cbranch_execz .LBB87_53
; %bb.48:
	v_cmp_ngt_f32_e64 s1, |v0|, |v1|
                                        ; implicit-def: $vgpr2_vgpr3
	s_and_saveexec_b32 s4, s1
	s_delay_alu instid0(SALU_CYCLE_1)
	s_xor_b32 s1, exec_lo, s4
	s_cbranch_execz .LBB87_50
; %bb.49:
	v_div_scale_f32 v2, null, v1, v1, v0
	v_div_scale_f32 v5, vcc_lo, v0, v1, v0
	s_delay_alu instid0(VALU_DEP_2) | instskip(SKIP_1) | instid1(TRANS32_DEP_1)
	v_rcp_f32_e32 v3, v2
	v_nop
	v_fma_f32 v4, -v2, v3, 1.0
	s_delay_alu instid0(VALU_DEP_1) | instskip(NEXT) | instid1(VALU_DEP_1)
	v_fmac_f32_e32 v3, v4, v3
	v_mul_f32_e32 v4, v5, v3
	s_delay_alu instid0(VALU_DEP_1) | instskip(NEXT) | instid1(VALU_DEP_1)
	v_fma_f32 v6, -v2, v4, v5
	v_fmac_f32_e32 v4, v6, v3
	s_delay_alu instid0(VALU_DEP_1) | instskip(NEXT) | instid1(VALU_DEP_1)
	v_fma_f32 v2, -v2, v4, v5
	v_div_fmas_f32 v2, v2, v3, v4
	s_delay_alu instid0(VALU_DEP_1) | instskip(NEXT) | instid1(VALU_DEP_1)
	v_div_fixup_f32 v2, v2, v1, v0
	v_fmac_f32_e32 v1, v0, v2
	s_delay_alu instid0(VALU_DEP_1) | instskip(SKIP_1) | instid1(VALU_DEP_2)
	v_div_scale_f32 v0, null, v1, v1, 1.0
	v_div_scale_f32 v5, vcc_lo, 1.0, v1, 1.0
	v_rcp_f32_e32 v3, v0
	v_nop
	s_delay_alu instid0(TRANS32_DEP_1) | instskip(NEXT) | instid1(VALU_DEP_1)
	v_fma_f32 v4, -v0, v3, 1.0
	v_fmac_f32_e32 v3, v4, v3
	s_delay_alu instid0(VALU_DEP_1) | instskip(NEXT) | instid1(VALU_DEP_1)
	v_mul_f32_e32 v4, v5, v3
	v_fma_f32 v6, -v0, v4, v5
	s_delay_alu instid0(VALU_DEP_1) | instskip(NEXT) | instid1(VALU_DEP_1)
	v_fmac_f32_e32 v4, v6, v3
	v_fma_f32 v0, -v0, v4, v5
	s_delay_alu instid0(VALU_DEP_1) | instskip(NEXT) | instid1(VALU_DEP_1)
	v_div_fmas_f32 v0, v0, v3, v4
	v_div_fixup_f32 v0, v0, v1, 1.0
	s_delay_alu instid0(VALU_DEP_1)
	v_mul_f32_e32 v2, v2, v0
	v_xor_b32_e32 v3, 0x80000000, v0
                                        ; implicit-def: $vgpr0_vgpr1
.LBB87_50:
	s_and_not1_saveexec_b32 s1, s1
	s_cbranch_execz .LBB87_52
; %bb.51:
	v_div_scale_f32 v2, null, v0, v0, v1
	v_div_scale_f32 v5, vcc_lo, v1, v0, v1
	s_delay_alu instid0(VALU_DEP_2) | instskip(SKIP_1) | instid1(TRANS32_DEP_1)
	v_rcp_f32_e32 v3, v2
	v_nop
	v_fma_f32 v4, -v2, v3, 1.0
	s_delay_alu instid0(VALU_DEP_1) | instskip(NEXT) | instid1(VALU_DEP_1)
	v_fmac_f32_e32 v3, v4, v3
	v_mul_f32_e32 v4, v5, v3
	s_delay_alu instid0(VALU_DEP_1) | instskip(NEXT) | instid1(VALU_DEP_1)
	v_fma_f32 v6, -v2, v4, v5
	v_fmac_f32_e32 v4, v6, v3
	s_delay_alu instid0(VALU_DEP_1) | instskip(NEXT) | instid1(VALU_DEP_1)
	v_fma_f32 v2, -v2, v4, v5
	v_div_fmas_f32 v2, v2, v3, v4
	s_delay_alu instid0(VALU_DEP_1) | instskip(NEXT) | instid1(VALU_DEP_1)
	v_div_fixup_f32 v3, v2, v0, v1
	v_fmac_f32_e32 v0, v1, v3
	s_delay_alu instid0(VALU_DEP_1) | instskip(NEXT) | instid1(VALU_DEP_1)
	v_div_scale_f32 v1, null, v0, v0, 1.0
	v_rcp_f32_e32 v2, v1
	v_nop
	s_delay_alu instid0(TRANS32_DEP_1) | instskip(NEXT) | instid1(VALU_DEP_1)
	v_fma_f32 v4, -v1, v2, 1.0
	v_fmac_f32_e32 v2, v4, v2
	v_div_scale_f32 v4, vcc_lo, 1.0, v0, 1.0
	s_delay_alu instid0(VALU_DEP_1) | instskip(NEXT) | instid1(VALU_DEP_1)
	v_mul_f32_e32 v5, v4, v2
	v_fma_f32 v6, -v1, v5, v4
	s_delay_alu instid0(VALU_DEP_1) | instskip(NEXT) | instid1(VALU_DEP_1)
	v_fmac_f32_e32 v5, v6, v2
	v_fma_f32 v1, -v1, v5, v4
	s_delay_alu instid0(VALU_DEP_1) | instskip(NEXT) | instid1(VALU_DEP_1)
	v_div_fmas_f32 v1, v1, v2, v5
	v_div_fixup_f32 v2, v1, v0, 1.0
	s_delay_alu instid0(VALU_DEP_1)
	v_mul_f32_e64 v3, v3, -v2
.LBB87_52:
	s_or_b32 exec_lo, exec_lo, s1
	ds_store_b64 v31, v[2:3]
.LBB87_53:
	s_or_b32 exec_lo, exec_lo, s2
	s_wait_dscnt 0x0
	s_barrier_signal -1
	s_barrier_wait -1
	ds_load_b64 v[188:189], v31
	s_mov_b32 s1, exec_lo
	v_cmpx_lt_u32_e32 5, v30
	s_cbranch_execz .LBB87_55
; %bb.54:
	ds_load_2addr_b64 v[4:7], v12 offset0:6 offset1:7
	ds_load_2addr_b64 v[190:193], v12 offset0:8 offset1:9
	ds_load_2addr_b64 v[194:197], v12 offset0:10 offset1:11
	s_wait_dscnt 0x3
	v_pk_mul_f32 v[2:3], v[188:189], v[44:45] op_sel:[1,1] op_sel_hi:[0,1]
	ds_load_2addr_b64 v[198:201], v12 offset0:12 offset1:13
	ds_load_2addr_b64 v[202:205], v12 offset0:14 offset1:15
	v_pk_fma_f32 v[0:1], v[188:189], v[44:45], v[2:3] op_sel_hi:[1,0,1] neg_lo:[0,0,1] neg_hi:[0,0,1]
	v_pk_fma_f32 v[2:3], v[188:189], v[44:45], v[2:3] op_sel_hi:[1,0,1]
	s_delay_alu instid0(VALU_DEP_1) | instskip(SKIP_1) | instid1(VALU_DEP_2)
	v_dual_mov_b32 v44, v0 :: v_dual_mov_b32 v45, v3
	s_wait_dscnt 0x4
	v_pk_mul_f32 v[8:9], v[4:5], v[2:3] op_sel:[0,1]
	v_pk_mul_f32 v[18:19], v[6:7], v[2:3] op_sel:[0,1]
	s_wait_dscnt 0x3
	v_pk_mul_f32 v[20:21], v[190:191], v[2:3] op_sel:[0,1]
	v_dual_mov_b32 v206, v193 :: v_dual_mov_b32 v207, v192
	v_dual_mul_f32 v208, v193, v3 :: v_dual_mul_f32 v210, v193, v0
	v_pk_fma_f32 v[216:217], v[4:5], v[0:1], v[8:9] op_sel:[0,0,1] op_sel_hi:[1,1,0] neg_lo:[0,0,1] neg_hi:[0,0,1]
	v_pk_fma_f32 v[4:5], v[4:5], v[0:1], v[8:9] op_sel:[0,0,1] op_sel_hi:[1,0,0]
	v_pk_fma_f32 v[8:9], v[6:7], v[0:1], v[18:19] op_sel:[0,0,1] op_sel_hi:[1,1,0] neg_lo:[0,0,1] neg_hi:[0,0,1]
	v_pk_fma_f32 v[6:7], v[6:7], v[0:1], v[18:19] op_sel:[0,0,1] op_sel_hi:[1,0,0]
	;; [unrolled: 2-line block ×3, first 2 shown]
	v_pk_fma_f32 v[190:191], v[206:207], v[44:45], v[210:211] op_sel_hi:[1,1,0]
	s_wait_dscnt 0x2
	v_pk_mul_f32 v[212:213], v[194:195], v[2:3] op_sel:[0,1]
	v_pk_mul_f32 v[214:215], v[196:197], v[2:3] op_sel:[0,1]
	v_pk_fma_f32 v[192:193], v[192:193], v[44:45], v[208:209] op_sel_hi:[1,1,0] neg_lo:[0,0,1] neg_hi:[0,0,1]
	v_dual_mov_b32 v19, v21 :: v_dual_mov_b32 v193, v191
	v_dual_mov_b32 v217, v5 :: v_dual_mov_b32 v9, v7
	v_pk_fma_f32 v[20:21], v[194:195], v[0:1], v[212:213] op_sel:[0,0,1] op_sel_hi:[1,0,0]
	s_delay_alu instid0(VALU_DEP_3)
	v_pk_add_f32 v[76:77], v[76:77], v[18:19] neg_lo:[0,1] neg_hi:[0,1]
	v_pk_fma_f32 v[18:19], v[196:197], v[0:1], v[214:215] op_sel:[0,0,1] op_sel_hi:[1,0,0]
	s_wait_dscnt 0x1
	v_pk_mul_f32 v[190:191], v[198:199], v[2:3] op_sel:[0,1]
	v_pk_add_f32 v[72:73], v[72:73], v[192:193] neg_lo:[0,1] neg_hi:[0,1]
	ds_load_2addr_b64 v[4:7], v12 offset0:16 offset1:17
	v_pk_mul_f32 v[192:193], v[200:201], v[2:3] op_sel:[0,1]
	v_pk_add_f32 v[28:29], v[28:29], v[8:9] neg_lo:[0,1] neg_hi:[0,1]
	v_pk_fma_f32 v[8:9], v[194:195], v[0:1], v[212:213] op_sel:[0,0,1] op_sel_hi:[1,1,0] neg_lo:[0,0,1] neg_hi:[0,0,1]
	v_mov_b32_e32 v9, v21
	v_pk_fma_f32 v[20:21], v[196:197], v[0:1], v[214:215] op_sel:[0,0,1] op_sel_hi:[1,1,0] neg_lo:[0,0,1] neg_hi:[0,0,1]
	v_pk_fma_f32 v[194:195], v[198:199], v[0:1], v[190:191] op_sel:[0,0,1] op_sel_hi:[1,0,0]
	v_mov_b32_e32 v21, v19
	v_pk_fma_f32 v[18:19], v[200:201], v[0:1], v[192:193] op_sel:[0,0,1] op_sel_hi:[1,0,0]
	v_pk_add_f32 v[74:75], v[74:75], v[8:9] neg_lo:[0,1] neg_hi:[0,1]
	v_pk_fma_f32 v[8:9], v[198:199], v[0:1], v[190:191] op_sel:[0,0,1] op_sel_hi:[1,1,0] neg_lo:[0,0,1] neg_hi:[0,0,1]
	v_mov_b32_e32 v9, v195
	v_pk_add_f32 v[70:71], v[70:71], v[20:21] neg_lo:[0,1] neg_hi:[0,1]
	v_pk_fma_f32 v[20:21], v[200:201], v[0:1], v[192:193] op_sel:[0,0,1] op_sel_hi:[1,1,0] neg_lo:[0,0,1] neg_hi:[0,0,1]
	s_wait_dscnt 0x1
	v_mul_f32_e32 v18, v203, v0
	v_mov_b32_e32 v21, v19
	ds_load_2addr_b64 v[190:193], v12 offset0:18 offset1:19
	v_pk_add_f32 v[102:103], v[102:103], v[8:9] neg_lo:[0,1] neg_hi:[0,1]
	v_mul_f32_e32 v8, v203, v3
	v_pk_fma_f32 v[18:19], v[202:203], v[44:45], v[18:19] op_sel:[1,0,0] op_sel_hi:[0,1,0]
	v_pk_add_f32 v[68:69], v[68:69], v[20:21] neg_lo:[0,1] neg_hi:[0,1]
	v_pk_mul_f32 v[20:21], v[204:205], v[2:3] op_sel:[0,1]
	s_wait_dscnt 0x1
	v_pk_mul_f32 v[198:199], v[4:5], v[2:3] op_sel:[0,1]
	v_pk_fma_f32 v[8:9], v[202:203], v[44:45], v[8:9] op_sel_hi:[1,1,0] neg_lo:[0,0,1] neg_hi:[0,0,1]
	ds_load_2addr_b64 v[194:197], v12 offset0:20 offset1:21
	v_pk_add_f32 v[46:47], v[46:47], v[216:217] neg_lo:[0,1] neg_hi:[0,1]
	v_pk_fma_f32 v[200:201], v[204:205], v[0:1], v[20:21] op_sel:[0,0,1] op_sel_hi:[1,0,0]
	v_mov_b32_e32 v9, v19
	v_pk_mul_f32 v[18:19], v[6:7], v[2:3] op_sel:[0,1]
	v_pk_fma_f32 v[202:203], v[4:5], v[0:1], v[198:199] op_sel:[0,0,1] op_sel_hi:[1,0,0]
	v_pk_fma_f32 v[20:21], v[204:205], v[0:1], v[20:21] op_sel:[0,0,1] op_sel_hi:[1,1,0] neg_lo:[0,0,1] neg_hi:[0,0,1]
	v_pk_fma_f32 v[4:5], v[4:5], v[0:1], v[198:199] op_sel:[0,0,1] op_sel_hi:[1,1,0] neg_lo:[0,0,1] neg_hi:[0,0,1]
	v_mov_b32_e32 v21, v201
	v_pk_fma_f32 v[204:205], v[6:7], v[0:1], v[18:19] op_sel:[0,0,1] op_sel_hi:[1,0,0]
	v_pk_fma_f32 v[6:7], v[6:7], v[0:1], v[18:19] op_sel:[0,0,1] op_sel_hi:[1,1,0] neg_lo:[0,0,1] neg_hi:[0,0,1]
	v_mov_b32_e32 v5, v203
	v_pk_add_f32 v[100:101], v[100:101], v[8:9] neg_lo:[0,1] neg_hi:[0,1]
	s_wait_dscnt 0x1
	v_pk_mul_f32 v[8:9], v[190:191], v[2:3] op_sel:[0,1]
	v_mov_b32_e32 v7, v205
	v_pk_add_f32 v[98:99], v[98:99], v[20:21] neg_lo:[0,1] neg_hi:[0,1]
	v_pk_add_f32 v[120:121], v[120:121], v[4:5] neg_lo:[0,1] neg_hi:[0,1]
	v_dual_mov_b32 v20, v193 :: v_dual_mov_b32 v21, v192
	s_delay_alu instid0(VALU_DEP_4)
	v_pk_add_f32 v[56:57], v[56:57], v[6:7] neg_lo:[0,1] neg_hi:[0,1]
	ds_load_2addr_b64 v[4:7], v12 offset0:22 offset1:23
	v_pk_fma_f32 v[18:19], v[190:191], v[0:1], v[8:9] op_sel:[0,0,1] op_sel_hi:[1,0,0]
	v_pk_fma_f32 v[8:9], v[190:191], v[0:1], v[8:9] op_sel:[0,0,1] op_sel_hi:[1,1,0] neg_lo:[0,0,1] neg_hi:[0,0,1]
	v_mul_f32_e32 v18, v193, v0
	ds_load_2addr_b64 v[198:201], v12 offset0:24 offset1:25
	s_wait_dscnt 0x2
	v_pk_mul_f32 v[190:191], v[194:195], v[2:3] op_sel:[0,1]
	v_mov_b32_e32 v9, v19
	v_pk_fma_f32 v[18:19], v[20:21], v[44:45], v[18:19] op_sel_hi:[1,1,0]
	v_mul_f32_e32 v202, v193, v3
	s_delay_alu instid0(VALU_DEP_4) | instskip(NEXT) | instid1(VALU_DEP_4)
	v_pk_fma_f32 v[20:21], v[194:195], v[0:1], v[190:191] op_sel:[0,0,1] op_sel_hi:[1,0,0]
	v_pk_add_f32 v[58:59], v[58:59], v[8:9] neg_lo:[0,1] neg_hi:[0,1]
	v_pk_mul_f32 v[8:9], v[196:197], v[2:3] op_sel:[0,1]
	s_delay_alu instid0(VALU_DEP_4) | instskip(SKIP_2) | instid1(VALU_DEP_4)
	v_pk_fma_f32 v[202:203], v[192:193], v[44:45], v[202:203] op_sel_hi:[1,1,0] neg_lo:[0,0,1] neg_hi:[0,0,1]
	v_mov_b32_e32 v203, v19
	v_pk_fma_f32 v[18:19], v[194:195], v[0:1], v[190:191] op_sel:[0,0,1] op_sel_hi:[1,1,0] neg_lo:[0,0,1] neg_hi:[0,0,1]
	v_pk_fma_f32 v[194:195], v[196:197], v[0:1], v[8:9] op_sel:[0,0,1] op_sel_hi:[1,0,0]
	v_mov_b32_e32 v19, v21
	v_pk_fma_f32 v[8:9], v[196:197], v[0:1], v[8:9] op_sel:[0,0,1] op_sel_hi:[1,1,0] neg_lo:[0,0,1] neg_hi:[0,0,1]
	s_wait_dscnt 0x1
	v_pk_mul_f32 v[20:21], v[4:5], v[2:3] op_sel:[0,1]
	ds_load_2addr_b64 v[190:193], v12 offset0:26 offset1:27
	v_mov_b32_e32 v9, v195
	v_pk_add_f32 v[86:87], v[86:87], v[18:19] neg_lo:[0,1] neg_hi:[0,1]
	v_pk_mul_f32 v[194:195], v[6:7], v[2:3] op_sel:[0,1]
	v_pk_fma_f32 v[18:19], v[4:5], v[0:1], v[20:21] op_sel:[0,0,1] op_sel_hi:[1,0,0]
	v_pk_fma_f32 v[20:21], v[4:5], v[0:1], v[20:21] op_sel:[0,0,1] op_sel_hi:[1,1,0] neg_lo:[0,0,1] neg_hi:[0,0,1]
	v_pk_add_f32 v[82:83], v[82:83], v[8:9] neg_lo:[0,1] neg_hi:[0,1]
	s_wait_dscnt 0x1
	v_mul_f32_e32 v8, v199, v0
	v_pk_add_f32 v[54:55], v[54:55], v[202:203] neg_lo:[0,1] neg_hi:[0,1]
	v_mov_b32_e32 v21, v19
	v_pk_fma_f32 v[18:19], v[6:7], v[0:1], v[194:195] op_sel:[0,0,1] op_sel_hi:[1,0,0]
	v_mul_f32_e32 v18, v199, v3
	v_pk_fma_f32 v[8:9], v[198:199], v[44:45], v[8:9] op_sel:[1,0,0] op_sel_hi:[0,1,0]
	v_pk_fma_f32 v[194:195], v[6:7], v[0:1], v[194:195] op_sel:[0,0,1] op_sel_hi:[1,1,0] neg_lo:[0,0,1] neg_hi:[0,0,1]
	ds_load_2addr_b64 v[4:7], v12 offset0:28 offset1:29
	v_mov_b32_e32 v195, v19
	v_pk_fma_f32 v[18:19], v[198:199], v[44:45], v[18:19] op_sel_hi:[1,1,0] neg_lo:[0,0,1] neg_hi:[0,0,1]
	v_mov_b32_e32 v19, v9
	v_pk_mul_f32 v[8:9], v[200:201], v[2:3] op_sel:[0,1]
	v_pk_add_f32 v[84:85], v[84:85], v[20:21] neg_lo:[0,1] neg_hi:[0,1]
	v_pk_add_f32 v[80:81], v[80:81], v[194:195] neg_lo:[0,1] neg_hi:[0,1]
	ds_load_2addr_b64 v[194:197], v12 offset0:30 offset1:31
	s_wait_dscnt 0x2
	v_pk_mul_f32 v[20:21], v[190:191], v[2:3] op_sel:[0,1]
	v_pk_fma_f32 v[198:199], v[200:201], v[0:1], v[8:9] op_sel:[0,0,1] op_sel_hi:[1,0,0]
	v_pk_fma_f32 v[8:9], v[200:201], v[0:1], v[8:9] op_sel:[0,0,1] op_sel_hi:[1,1,0] neg_lo:[0,0,1] neg_hi:[0,0,1]
	s_delay_alu instid0(VALU_DEP_3) | instskip(NEXT) | instid1(VALU_DEP_3)
	v_pk_fma_f32 v[202:203], v[190:191], v[0:1], v[20:21] op_sel:[0,0,1] op_sel_hi:[1,0,0]
	v_mov_b32_e32 v9, v199
	v_pk_add_f32 v[110:111], v[110:111], v[18:19] neg_lo:[0,1] neg_hi:[0,1]
	v_pk_mul_f32 v[18:19], v[192:193], v[2:3] op_sel:[0,1]
	v_pk_fma_f32 v[20:21], v[190:191], v[0:1], v[20:21] op_sel:[0,0,1] op_sel_hi:[1,1,0] neg_lo:[0,0,1] neg_hi:[0,0,1]
	s_delay_alu instid0(VALU_DEP_4)
	v_pk_add_f32 v[106:107], v[106:107], v[8:9] neg_lo:[0,1] neg_hi:[0,1]
	s_wait_dscnt 0x1
	v_pk_mul_f32 v[198:199], v[4:5], v[2:3] op_sel:[0,1]
	v_pk_fma_f32 v[200:201], v[192:193], v[0:1], v[18:19] op_sel:[0,0,1] op_sel_hi:[1,0,0]
	v_pk_fma_f32 v[18:19], v[192:193], v[0:1], v[18:19] op_sel:[0,0,1] op_sel_hi:[1,1,0] neg_lo:[0,0,1] neg_hi:[0,0,1]
	v_mov_b32_e32 v21, v203
	ds_load_2addr_b64 v[190:193], v12 offset0:32 offset1:33
	v_pk_fma_f32 v[8:9], v[4:5], v[0:1], v[198:199] op_sel:[0,0,1] op_sel_hi:[1,0,0]
	v_dual_mov_b32 v19, v201 :: v_dual_mul_f32 v8, v7, v0
	v_pk_fma_f32 v[4:5], v[4:5], v[0:1], v[198:199] op_sel:[0,0,1] op_sel_hi:[1,1,0] neg_lo:[0,0,1] neg_hi:[0,0,1]
	ds_load_2addr_b64 v[198:201], v12 offset0:34 offset1:35
	v_mov_b32_e32 v5, v9
	v_pk_add_f32 v[104:105], v[104:105], v[18:19] neg_lo:[0,1] neg_hi:[0,1]
	v_dual_mov_b32 v18, v7 :: v_dual_mov_b32 v19, v6
	s_wait_dscnt 0x2
	v_pk_mul_f32 v[202:203], v[194:195], v[2:3] op_sel:[0,1]
	v_pk_add_f32 v[108:109], v[108:109], v[20:21] neg_lo:[0,1] neg_hi:[0,1]
	v_pk_add_f32 v[128:129], v[128:129], v[4:5] neg_lo:[0,1] neg_hi:[0,1]
	v_pk_fma_f32 v[8:9], v[18:19], v[44:45], v[8:9] op_sel_hi:[1,1,0]
	v_mul_f32_e32 v20, v7, v3
	v_pk_mul_f32 v[18:19], v[196:197], v[2:3] op_sel:[0,1]
	v_pk_fma_f32 v[4:5], v[194:195], v[0:1], v[202:203] op_sel:[0,0,1] op_sel_hi:[1,0,0]
	s_delay_alu instid0(VALU_DEP_3)
	v_pk_fma_f32 v[20:21], v[6:7], v[44:45], v[20:21] op_sel_hi:[1,1,0] neg_lo:[0,0,1] neg_hi:[0,0,1]
	v_mov_b32_e32 v21, v9
	v_pk_fma_f32 v[8:9], v[194:195], v[0:1], v[202:203] op_sel:[0,0,1] op_sel_hi:[1,1,0] neg_lo:[0,0,1] neg_hi:[0,0,1]
	v_pk_fma_f32 v[194:195], v[196:197], v[0:1], v[18:19] op_sel:[0,0,1] op_sel_hi:[1,0,0]
	v_mov_b32_e32 v9, v5
	ds_load_2addr_b64 v[4:7], v12 offset0:36 offset1:37
	s_wait_dscnt 0x2
	v_pk_mul_f32 v[202:203], v[190:191], v[2:3] op_sel:[0,1]
	v_pk_fma_f32 v[18:19], v[196:197], v[0:1], v[18:19] op_sel:[0,0,1] op_sel_hi:[1,1,0] neg_lo:[0,0,1] neg_hi:[0,0,1]
	v_mov_b32_e32 v19, v195
	v_pk_add_f32 v[124:125], v[124:125], v[20:21] neg_lo:[0,1] neg_hi:[0,1]
	v_pk_add_f32 v[126:127], v[126:127], v[8:9] neg_lo:[0,1] neg_hi:[0,1]
	v_pk_fma_f32 v[8:9], v[190:191], v[0:1], v[202:203] op_sel:[0,0,1] op_sel_hi:[1,0,0]
	v_pk_mul_f32 v[20:21], v[192:193], v[2:3] op_sel:[0,1]
	s_wait_dscnt 0x1
	v_mul_f32_e32 v8, v199, v0
	v_pk_add_f32 v[122:123], v[122:123], v[18:19] neg_lo:[0,1] neg_hi:[0,1]
	v_pk_fma_f32 v[18:19], v[190:191], v[0:1], v[202:203] op_sel:[0,0,1] op_sel_hi:[1,1,0] neg_lo:[0,0,1] neg_hi:[0,0,1]
	v_mov_b32_e32 v19, v9
	v_pk_fma_f32 v[190:191], v[192:193], v[0:1], v[20:21] op_sel:[0,0,1] op_sel_hi:[1,0,0]
	v_pk_fma_f32 v[8:9], v[198:199], v[44:45], v[8:9] op_sel:[1,0,0] op_sel_hi:[0,1,0]
	v_mul_f32_e32 v190, v199, v3
	v_pk_fma_f32 v[20:21], v[192:193], v[0:1], v[20:21] op_sel:[0,0,1] op_sel_hi:[1,1,0] neg_lo:[0,0,1] neg_hi:[0,0,1]
	v_pk_mul_f32 v[192:193], v[200:201], v[2:3] op_sel:[0,1]
	ds_load_2addr_b64 v[194:197], v12 offset0:38 offset1:39
	v_pk_add_f32 v[148:149], v[148:149], v[18:19] neg_lo:[0,1] neg_hi:[0,1]
	v_pk_fma_f32 v[18:19], v[200:201], v[0:1], v[192:193] op_sel:[0,0,1] op_sel_hi:[1,0,0]
	v_mov_b32_e32 v21, v191
	v_pk_fma_f32 v[190:191], v[198:199], v[44:45], v[190:191] op_sel_hi:[1,1,0] neg_lo:[0,0,1] neg_hi:[0,0,1]
	v_mov_b32_e32 v191, v9
	s_wait_dscnt 0x1
	v_pk_mul_f32 v[8:9], v[4:5], v[2:3] op_sel:[0,1]
	v_pk_fma_f32 v[198:199], v[200:201], v[0:1], v[192:193] op_sel:[0,0,1] op_sel_hi:[1,1,0] neg_lo:[0,0,1] neg_hi:[0,0,1]
	v_mov_b32_e32 v199, v19
	v_pk_add_f32 v[144:145], v[144:145], v[20:21] neg_lo:[0,1] neg_hi:[0,1]
	v_pk_add_f32 v[146:147], v[146:147], v[190:191] neg_lo:[0,1] neg_hi:[0,1]
	v_pk_fma_f32 v[20:21], v[4:5], v[0:1], v[8:9] op_sel:[0,0,1] op_sel_hi:[1,0,0]
	ds_load_2addr_b64 v[190:193], v12 offset0:40 offset1:41
	v_pk_fma_f32 v[4:5], v[4:5], v[0:1], v[8:9] op_sel:[0,0,1] op_sel_hi:[1,1,0] neg_lo:[0,0,1] neg_hi:[0,0,1]
	v_pk_mul_f32 v[8:9], v[6:7], v[2:3] op_sel:[0,1]
	v_pk_add_f32 v[142:143], v[142:143], v[198:199] neg_lo:[0,1] neg_hi:[0,1]
	v_mov_b32_e32 v5, v21
	ds_load_2addr_b64 v[198:201], v12 offset0:42 offset1:43
	s_wait_dscnt 0x2
	v_pk_mul_f32 v[18:19], v[194:195], v[2:3] op_sel:[0,1]
	v_dual_mov_b32 v20, v197 :: v_dual_mov_b32 v21, v196
	v_pk_add_f32 v[170:171], v[170:171], v[4:5] neg_lo:[0,1] neg_hi:[0,1]
	v_pk_fma_f32 v[4:5], v[6:7], v[0:1], v[8:9] op_sel:[0,0,1] op_sel_hi:[1,1,0] neg_lo:[0,0,1] neg_hi:[0,0,1]
	v_pk_fma_f32 v[6:7], v[6:7], v[0:1], v[8:9] op_sel:[0,0,1] op_sel_hi:[1,0,0]
	v_mul_f32_e32 v6, v197, v0
	v_pk_fma_f32 v[8:9], v[194:195], v[0:1], v[18:19] op_sel:[0,0,1] op_sel_hi:[1,0,0]
	v_pk_fma_f32 v[18:19], v[194:195], v[0:1], v[18:19] op_sel:[0,0,1] op_sel_hi:[1,1,0] neg_lo:[0,0,1] neg_hi:[0,0,1]
	s_delay_alu instid0(VALU_DEP_4) | instskip(NEXT) | instid1(VALU_DEP_4)
	v_mov_b32_e32 v5, v7
	v_pk_fma_f32 v[6:7], v[20:21], v[44:45], v[6:7] op_sel_hi:[1,1,0]
	v_mul_f32_e32 v8, v197, v3
	v_mov_b32_e32 v19, v9
	s_delay_alu instid0(VALU_DEP_4)
	v_pk_add_f32 v[164:165], v[164:165], v[4:5] neg_lo:[0,1] neg_hi:[0,1]
	s_wait_dscnt 0x1
	v_pk_mul_f32 v[4:5], v[190:191], v[2:3] op_sel:[0,1]
	v_pk_fma_f32 v[8:9], v[196:197], v[44:45], v[8:9] op_sel_hi:[1,1,0] neg_lo:[0,0,1] neg_hi:[0,0,1]
	v_pk_add_f32 v[168:169], v[168:169], v[18:19] neg_lo:[0,1] neg_hi:[0,1]
	v_mov_b32_e32 v9, v7
	v_pk_mul_f32 v[6:7], v[192:193], v[2:3] op_sel:[0,1]
	v_pk_fma_f32 v[18:19], v[190:191], v[0:1], v[4:5] op_sel:[0,0,1] op_sel_hi:[1,0,0]
	s_wait_dscnt 0x0
	v_pk_mul_f32 v[20:21], v[198:199], v[2:3] op_sel:[0,1]
	v_pk_mul_f32 v[2:3], v[200:201], v[2:3] op_sel:[0,1]
	v_pk_fma_f32 v[4:5], v[190:191], v[0:1], v[4:5] op_sel:[0,0,1] op_sel_hi:[1,1,0] neg_lo:[0,0,1] neg_hi:[0,0,1]
	v_pk_fma_f32 v[190:191], v[192:193], v[0:1], v[6:7] op_sel:[0,0,1] op_sel_hi:[1,0,0]
	v_mov_b32_e32 v5, v19
	v_pk_fma_f32 v[18:19], v[198:199], v[0:1], v[20:21] op_sel:[0,0,1] op_sel_hi:[1,0,0]
	v_pk_fma_f32 v[6:7], v[192:193], v[0:1], v[6:7] op_sel:[0,0,1] op_sel_hi:[1,1,0] neg_lo:[0,0,1] neg_hi:[0,0,1]
	v_pk_fma_f32 v[192:193], v[200:201], v[0:1], v[2:3] op_sel:[0,0,1] op_sel_hi:[1,0,0]
	v_pk_fma_f32 v[20:21], v[198:199], v[0:1], v[20:21] op_sel:[0,0,1] op_sel_hi:[1,1,0] neg_lo:[0,0,1] neg_hi:[0,0,1]
	v_pk_fma_f32 v[0:1], v[200:201], v[0:1], v[2:3] op_sel:[0,0,1] op_sel_hi:[1,1,0] neg_lo:[0,0,1] neg_hi:[0,0,1]
	v_dual_mov_b32 v7, v191 :: v_dual_mov_b32 v21, v19
	s_delay_alu instid0(VALU_DEP_4) | instskip(SKIP_2) | instid1(VALU_DEP_4)
	v_mov_b32_e32 v1, v193
	v_pk_add_f32 v[162:163], v[162:163], v[8:9] neg_lo:[0,1] neg_hi:[0,1]
	v_pk_add_f32 v[166:167], v[166:167], v[4:5] neg_lo:[0,1] neg_hi:[0,1]
	;; [unrolled: 1-line block ×5, first 2 shown]
.LBB87_55:
	s_or_b32 exec_lo, exec_lo, s1
	s_delay_alu instid0(SALU_CYCLE_1)
	s_mov_b32 s2, exec_lo
	s_wait_dscnt 0x0
	s_barrier_signal -1
	s_barrier_wait -1
	v_cmpx_eq_u32_e32 6, v30
	s_cbranch_execz .LBB87_62
; %bb.56:
	ds_store_b64 v31, v[46:47]
	ds_store_2addr_b64 v12, v[28:29], v[76:77] offset0:7 offset1:8
	ds_store_2addr_b64 v12, v[72:73], v[74:75] offset0:9 offset1:10
	;; [unrolled: 1-line block ×18, first 2 shown]
	ds_store_b64 v12, v[176:177] offset:344
	ds_load_b64 v[0:1], v31
	s_wait_dscnt 0x0
	v_cmp_neq_f32_e32 vcc_lo, 0, v0
	v_cmp_neq_f32_e64 s1, 0, v1
	s_or_b32 s1, vcc_lo, s1
	s_delay_alu instid0(SALU_CYCLE_1)
	s_and_b32 exec_lo, exec_lo, s1
	s_cbranch_execz .LBB87_62
; %bb.57:
	v_cmp_ngt_f32_e64 s1, |v0|, |v1|
                                        ; implicit-def: $vgpr2_vgpr3
	s_and_saveexec_b32 s4, s1
	s_delay_alu instid0(SALU_CYCLE_1)
	s_xor_b32 s1, exec_lo, s4
	s_cbranch_execz .LBB87_59
; %bb.58:
	v_div_scale_f32 v2, null, v1, v1, v0
	v_div_scale_f32 v5, vcc_lo, v0, v1, v0
	s_delay_alu instid0(VALU_DEP_2) | instskip(SKIP_1) | instid1(TRANS32_DEP_1)
	v_rcp_f32_e32 v3, v2
	v_nop
	v_fma_f32 v4, -v2, v3, 1.0
	s_delay_alu instid0(VALU_DEP_1) | instskip(NEXT) | instid1(VALU_DEP_1)
	v_fmac_f32_e32 v3, v4, v3
	v_mul_f32_e32 v4, v5, v3
	s_delay_alu instid0(VALU_DEP_1) | instskip(NEXT) | instid1(VALU_DEP_1)
	v_fma_f32 v6, -v2, v4, v5
	v_fmac_f32_e32 v4, v6, v3
	s_delay_alu instid0(VALU_DEP_1) | instskip(NEXT) | instid1(VALU_DEP_1)
	v_fma_f32 v2, -v2, v4, v5
	v_div_fmas_f32 v2, v2, v3, v4
	s_delay_alu instid0(VALU_DEP_1) | instskip(NEXT) | instid1(VALU_DEP_1)
	v_div_fixup_f32 v2, v2, v1, v0
	v_fmac_f32_e32 v1, v0, v2
	s_delay_alu instid0(VALU_DEP_1) | instskip(SKIP_1) | instid1(VALU_DEP_2)
	v_div_scale_f32 v0, null, v1, v1, 1.0
	v_div_scale_f32 v5, vcc_lo, 1.0, v1, 1.0
	v_rcp_f32_e32 v3, v0
	v_nop
	s_delay_alu instid0(TRANS32_DEP_1) | instskip(NEXT) | instid1(VALU_DEP_1)
	v_fma_f32 v4, -v0, v3, 1.0
	v_fmac_f32_e32 v3, v4, v3
	s_delay_alu instid0(VALU_DEP_1) | instskip(NEXT) | instid1(VALU_DEP_1)
	v_mul_f32_e32 v4, v5, v3
	v_fma_f32 v6, -v0, v4, v5
	s_delay_alu instid0(VALU_DEP_1) | instskip(NEXT) | instid1(VALU_DEP_1)
	v_fmac_f32_e32 v4, v6, v3
	v_fma_f32 v0, -v0, v4, v5
	s_delay_alu instid0(VALU_DEP_1) | instskip(NEXT) | instid1(VALU_DEP_1)
	v_div_fmas_f32 v0, v0, v3, v4
	v_div_fixup_f32 v0, v0, v1, 1.0
	s_delay_alu instid0(VALU_DEP_1)
	v_mul_f32_e32 v2, v2, v0
	v_xor_b32_e32 v3, 0x80000000, v0
                                        ; implicit-def: $vgpr0_vgpr1
.LBB87_59:
	s_and_not1_saveexec_b32 s1, s1
	s_cbranch_execz .LBB87_61
; %bb.60:
	v_div_scale_f32 v2, null, v0, v0, v1
	v_div_scale_f32 v5, vcc_lo, v1, v0, v1
	s_delay_alu instid0(VALU_DEP_2) | instskip(SKIP_1) | instid1(TRANS32_DEP_1)
	v_rcp_f32_e32 v3, v2
	v_nop
	v_fma_f32 v4, -v2, v3, 1.0
	s_delay_alu instid0(VALU_DEP_1) | instskip(NEXT) | instid1(VALU_DEP_1)
	v_fmac_f32_e32 v3, v4, v3
	v_mul_f32_e32 v4, v5, v3
	s_delay_alu instid0(VALU_DEP_1) | instskip(NEXT) | instid1(VALU_DEP_1)
	v_fma_f32 v6, -v2, v4, v5
	v_fmac_f32_e32 v4, v6, v3
	s_delay_alu instid0(VALU_DEP_1) | instskip(NEXT) | instid1(VALU_DEP_1)
	v_fma_f32 v2, -v2, v4, v5
	v_div_fmas_f32 v2, v2, v3, v4
	s_delay_alu instid0(VALU_DEP_1) | instskip(NEXT) | instid1(VALU_DEP_1)
	v_div_fixup_f32 v3, v2, v0, v1
	v_fmac_f32_e32 v0, v1, v3
	s_delay_alu instid0(VALU_DEP_1) | instskip(NEXT) | instid1(VALU_DEP_1)
	v_div_scale_f32 v1, null, v0, v0, 1.0
	v_rcp_f32_e32 v2, v1
	v_nop
	s_delay_alu instid0(TRANS32_DEP_1) | instskip(NEXT) | instid1(VALU_DEP_1)
	v_fma_f32 v4, -v1, v2, 1.0
	v_fmac_f32_e32 v2, v4, v2
	v_div_scale_f32 v4, vcc_lo, 1.0, v0, 1.0
	s_delay_alu instid0(VALU_DEP_1) | instskip(NEXT) | instid1(VALU_DEP_1)
	v_mul_f32_e32 v5, v4, v2
	v_fma_f32 v6, -v1, v5, v4
	s_delay_alu instid0(VALU_DEP_1) | instskip(NEXT) | instid1(VALU_DEP_1)
	v_fmac_f32_e32 v5, v6, v2
	v_fma_f32 v1, -v1, v5, v4
	s_delay_alu instid0(VALU_DEP_1) | instskip(NEXT) | instid1(VALU_DEP_1)
	v_div_fmas_f32 v1, v1, v2, v5
	v_div_fixup_f32 v2, v1, v0, 1.0
	s_delay_alu instid0(VALU_DEP_1)
	v_mul_f32_e64 v3, v3, -v2
.LBB87_61:
	s_or_b32 exec_lo, exec_lo, s1
	ds_store_b64 v31, v[2:3]
.LBB87_62:
	s_or_b32 exec_lo, exec_lo, s2
	s_wait_dscnt 0x0
	s_barrier_signal -1
	s_barrier_wait -1
	ds_load_b64 v[190:191], v31
	s_mov_b32 s1, exec_lo
	v_cmpx_lt_u32_e32 6, v30
	s_cbranch_execz .LBB87_64
; %bb.63:
	ds_load_2addr_b64 v[4:7], v12 offset0:7 offset1:8
	ds_load_2addr_b64 v[192:195], v12 offset0:9 offset1:10
	;; [unrolled: 1-line block ×3, first 2 shown]
	s_wait_dscnt 0x3
	v_pk_mul_f32 v[2:3], v[190:191], v[46:47] op_sel:[1,1] op_sel_hi:[0,1]
	ds_load_2addr_b64 v[200:203], v12 offset0:13 offset1:14
	ds_load_2addr_b64 v[204:207], v12 offset0:15 offset1:16
	v_pk_fma_f32 v[0:1], v[190:191], v[46:47], v[2:3] op_sel_hi:[1,0,1] neg_lo:[0,0,1] neg_hi:[0,0,1]
	v_pk_fma_f32 v[2:3], v[190:191], v[46:47], v[2:3] op_sel_hi:[1,0,1]
	s_delay_alu instid0(VALU_DEP_1) | instskip(SKIP_1) | instid1(VALU_DEP_2)
	v_dual_mov_b32 v46, v0 :: v_dual_mov_b32 v47, v3
	s_wait_dscnt 0x4
	v_pk_mul_f32 v[8:9], v[4:5], v[2:3] op_sel:[0,1]
	v_pk_mul_f32 v[18:19], v[6:7], v[2:3] op_sel:[0,1]
	s_wait_dscnt 0x3
	v_pk_mul_f32 v[20:21], v[192:193], v[2:3] op_sel:[0,1]
	v_dual_mov_b32 v208, v195 :: v_dual_mov_b32 v209, v194
	v_dual_mul_f32 v210, v195, v3 :: v_dual_mul_f32 v212, v195, v0
	v_pk_fma_f32 v[218:219], v[4:5], v[0:1], v[8:9] op_sel:[0,0,1] op_sel_hi:[1,1,0] neg_lo:[0,0,1] neg_hi:[0,0,1]
	v_pk_fma_f32 v[4:5], v[4:5], v[0:1], v[8:9] op_sel:[0,0,1] op_sel_hi:[1,0,0]
	v_pk_fma_f32 v[8:9], v[6:7], v[0:1], v[18:19] op_sel:[0,0,1] op_sel_hi:[1,1,0] neg_lo:[0,0,1] neg_hi:[0,0,1]
	v_pk_fma_f32 v[6:7], v[6:7], v[0:1], v[18:19] op_sel:[0,0,1] op_sel_hi:[1,0,0]
	;; [unrolled: 2-line block ×3, first 2 shown]
	v_pk_fma_f32 v[192:193], v[208:209], v[46:47], v[212:213] op_sel_hi:[1,1,0]
	s_wait_dscnt 0x2
	v_pk_mul_f32 v[214:215], v[196:197], v[2:3] op_sel:[0,1]
	v_pk_mul_f32 v[216:217], v[198:199], v[2:3] op_sel:[0,1]
	v_dual_mov_b32 v219, v5 :: v_dual_mov_b32 v9, v7
	v_mov_b32_e32 v19, v21
	v_pk_fma_f32 v[194:195], v[194:195], v[46:47], v[210:211] op_sel_hi:[1,1,0] neg_lo:[0,0,1] neg_hi:[0,0,1]
	v_mov_b32_e32 v195, v193
	v_pk_fma_f32 v[20:21], v[196:197], v[0:1], v[214:215] op_sel:[0,0,1] op_sel_hi:[1,0,0]
	v_pk_add_f32 v[76:77], v[76:77], v[8:9] neg_lo:[0,1] neg_hi:[0,1]
	v_pk_add_f32 v[72:73], v[72:73], v[18:19] neg_lo:[0,1] neg_hi:[0,1]
	s_wait_dscnt 0x1
	v_pk_mul_f32 v[8:9], v[200:201], v[2:3] op_sel:[0,1]
	v_pk_fma_f32 v[18:19], v[198:199], v[0:1], v[216:217] op_sel:[0,0,1] op_sel_hi:[1,0,0]
	ds_load_2addr_b64 v[4:7], v12 offset0:17 offset1:18
	v_pk_add_f32 v[74:75], v[74:75], v[194:195] neg_lo:[0,1] neg_hi:[0,1]
	v_pk_fma_f32 v[192:193], v[196:197], v[0:1], v[214:215] op_sel:[0,0,1] op_sel_hi:[1,1,0] neg_lo:[0,0,1] neg_hi:[0,0,1]
	v_pk_fma_f32 v[194:195], v[198:199], v[0:1], v[216:217] op_sel:[0,0,1] op_sel_hi:[1,1,0] neg_lo:[0,0,1] neg_hi:[0,0,1]
	v_dual_mov_b32 v193, v21 :: v_dual_mov_b32 v195, v19
	v_pk_fma_f32 v[20:21], v[200:201], v[0:1], v[8:9] op_sel:[0,0,1] op_sel_hi:[1,0,0]
	v_pk_mul_f32 v[18:19], v[202:203], v[2:3] op_sel:[0,1]
	v_pk_fma_f32 v[8:9], v[200:201], v[0:1], v[8:9] op_sel:[0,0,1] op_sel_hi:[1,1,0] neg_lo:[0,0,1] neg_hi:[0,0,1]
	s_delay_alu instid0(VALU_DEP_4)
	v_pk_add_f32 v[70:71], v[70:71], v[192:193] neg_lo:[0,1] neg_hi:[0,1]
	v_pk_add_f32 v[102:103], v[102:103], v[194:195] neg_lo:[0,1] neg_hi:[0,1]
	v_mov_b32_e32 v9, v21
	v_pk_fma_f32 v[20:21], v[202:203], v[0:1], v[18:19] op_sel:[0,0,1] op_sel_hi:[1,0,0]
	ds_load_2addr_b64 v[192:195], v12 offset0:19 offset1:20
	v_pk_fma_f32 v[18:19], v[202:203], v[0:1], v[18:19] op_sel:[0,0,1] op_sel_hi:[1,1,0] neg_lo:[0,0,1] neg_hi:[0,0,1]
	s_wait_dscnt 0x2
	v_mul_f32_e32 v20, v205, v3
	v_pk_mul_f32 v[200:201], v[206:207], v[2:3] op_sel:[0,1]
	v_mov_b32_e32 v19, v21
	v_pk_add_f32 v[68:69], v[68:69], v[8:9] neg_lo:[0,1] neg_hi:[0,1]
	v_mul_f32_e32 v8, v205, v0
	s_wait_dscnt 0x1
	v_pk_mul_f32 v[202:203], v[4:5], v[2:3] op_sel:[0,1]
	ds_load_2addr_b64 v[196:199], v12 offset0:21 offset1:22
	v_pk_add_f32 v[100:101], v[100:101], v[18:19] neg_lo:[0,1] neg_hi:[0,1]
	v_pk_fma_f32 v[18:19], v[204:205], v[46:47], v[20:21] op_sel_hi:[1,1,0] neg_lo:[0,0,1] neg_hi:[0,0,1]
	v_pk_fma_f32 v[8:9], v[204:205], v[46:47], v[8:9] op_sel:[1,0,0] op_sel_hi:[0,1,0]
	v_pk_fma_f32 v[20:21], v[206:207], v[0:1], v[200:201] op_sel:[0,0,1] op_sel_hi:[1,0,0]
	v_pk_fma_f32 v[200:201], v[206:207], v[0:1], v[200:201] op_sel:[0,0,1] op_sel_hi:[1,1,0] neg_lo:[0,0,1] neg_hi:[0,0,1]
	v_pk_add_f32 v[28:29], v[28:29], v[218:219] neg_lo:[0,1] neg_hi:[0,1]
	s_delay_alu instid0(VALU_DEP_3) | instskip(SKIP_3) | instid1(VALU_DEP_4)
	v_dual_mov_b32 v19, v9 :: v_dual_mov_b32 v201, v21
	v_pk_fma_f32 v[8:9], v[4:5], v[0:1], v[202:203] op_sel:[0,0,1] op_sel_hi:[1,0,0]
	v_pk_mul_f32 v[20:21], v[6:7], v[2:3] op_sel:[0,1]
	v_pk_fma_f32 v[4:5], v[4:5], v[0:1], v[202:203] op_sel:[0,0,1] op_sel_hi:[1,1,0] neg_lo:[0,0,1] neg_hi:[0,0,1]
	v_pk_add_f32 v[98:99], v[98:99], v[18:19] neg_lo:[0,1] neg_hi:[0,1]
	v_pk_add_f32 v[120:121], v[120:121], v[200:201] neg_lo:[0,1] neg_hi:[0,1]
	s_delay_alu instid0(VALU_DEP_4)
	v_pk_fma_f32 v[18:19], v[6:7], v[0:1], v[20:21] op_sel:[0,0,1] op_sel_hi:[1,0,0]
	v_mov_b32_e32 v5, v9
	s_wait_dscnt 0x1
	v_pk_mul_f32 v[8:9], v[192:193], v[2:3] op_sel:[0,1]
	v_pk_fma_f32 v[20:21], v[6:7], v[0:1], v[20:21] op_sel:[0,0,1] op_sel_hi:[1,1,0] neg_lo:[0,0,1] neg_hi:[0,0,1]
	v_dual_mov_b32 v18, v195 :: v_dual_mov_b32 v21, v19
	v_pk_add_f32 v[56:57], v[56:57], v[4:5] neg_lo:[0,1] neg_hi:[0,1]
	ds_load_2addr_b64 v[4:7], v12 offset0:23 offset1:24
	v_pk_fma_f32 v[200:201], v[192:193], v[0:1], v[8:9] op_sel:[0,0,1] op_sel_hi:[1,0,0]
	v_pk_fma_f32 v[8:9], v[192:193], v[0:1], v[8:9] op_sel:[0,0,1] op_sel_hi:[1,1,0] neg_lo:[0,0,1] neg_hi:[0,0,1]
	s_wait_dscnt 0x1
	v_pk_mul_f32 v[204:205], v[196:197], v[2:3] op_sel:[0,1]
	v_dual_mov_b32 v19, v194 :: v_dual_mul_f32 v192, v195, v0
	v_mov_b32_e32 v9, v201
	v_pk_add_f32 v[58:59], v[58:59], v[20:21] neg_lo:[0,1] neg_hi:[0,1]
	s_delay_alu instid0(VALU_DEP_4)
	v_pk_fma_f32 v[20:21], v[196:197], v[0:1], v[204:205] op_sel:[0,0,1] op_sel_hi:[1,0,0]
	v_pk_mul_f32 v[206:207], v[198:199], v[2:3] op_sel:[0,1]
	v_pk_fma_f32 v[18:19], v[18:19], v[46:47], v[192:193] op_sel_hi:[1,1,0]
	v_pk_add_f32 v[54:55], v[54:55], v[8:9] neg_lo:[0,1] neg_hi:[0,1]
	v_mul_f32_e32 v8, v195, v3
	ds_load_2addr_b64 v[200:203], v12 offset0:25 offset1:26
	v_pk_fma_f32 v[8:9], v[194:195], v[46:47], v[8:9] op_sel_hi:[1,1,0] neg_lo:[0,0,1] neg_hi:[0,0,1]
	v_mov_b32_e32 v9, v19
	v_pk_fma_f32 v[18:19], v[196:197], v[0:1], v[204:205] op_sel:[0,0,1] op_sel_hi:[1,1,0] neg_lo:[0,0,1] neg_hi:[0,0,1]
	v_pk_fma_f32 v[196:197], v[198:199], v[0:1], v[206:207] op_sel:[0,0,1] op_sel_hi:[1,0,0]
	v_mov_b32_e32 v19, v21
	s_wait_dscnt 0x1
	v_pk_mul_f32 v[20:21], v[4:5], v[2:3] op_sel:[0,1]
	ds_load_2addr_b64 v[192:195], v12 offset0:27 offset1:28
	v_pk_fma_f32 v[198:199], v[198:199], v[0:1], v[206:207] op_sel:[0,0,1] op_sel_hi:[1,1,0] neg_lo:[0,0,1] neg_hi:[0,0,1]
	v_mov_b32_e32 v199, v197
	v_pk_add_f32 v[86:87], v[86:87], v[8:9] neg_lo:[0,1] neg_hi:[0,1]
	v_pk_mul_f32 v[8:9], v[6:7], v[2:3] op_sel:[0,1]
	v_pk_fma_f32 v[196:197], v[4:5], v[0:1], v[20:21] op_sel:[0,0,1] op_sel_hi:[1,0,0]
	v_pk_fma_f32 v[4:5], v[4:5], v[0:1], v[20:21] op_sel:[0,0,1] op_sel_hi:[1,1,0] neg_lo:[0,0,1] neg_hi:[0,0,1]
	v_pk_add_f32 v[82:83], v[82:83], v[18:19] neg_lo:[0,1] neg_hi:[0,1]
	v_pk_add_f32 v[84:85], v[84:85], v[198:199] neg_lo:[0,1] neg_hi:[0,1]
	v_pk_fma_f32 v[18:19], v[6:7], v[0:1], v[8:9] op_sel:[0,0,1] op_sel_hi:[1,0,0]
	v_mov_b32_e32 v5, v197
	ds_load_2addr_b64 v[196:199], v12 offset0:29 offset1:30
	v_pk_fma_f32 v[6:7], v[6:7], v[0:1], v[8:9] op_sel:[0,0,1] op_sel_hi:[1,1,0] neg_lo:[0,0,1] neg_hi:[0,0,1]
	s_wait_dscnt 0x2
	v_dual_mul_f32 v8, v201, v0 :: v_dual_mul_f32 v18, v201, v3
	v_mov_b32_e32 v7, v19
	v_pk_add_f32 v[80:81], v[80:81], v[4:5] neg_lo:[0,1] neg_hi:[0,1]
	v_pk_mul_f32 v[4:5], v[202:203], v[2:3] op_sel:[0,1]
	s_delay_alu instid0(VALU_DEP_4)
	v_pk_fma_f32 v[8:9], v[200:201], v[46:47], v[8:9] op_sel:[1,0,0] op_sel_hi:[0,1,0]
	v_pk_fma_f32 v[18:19], v[200:201], v[46:47], v[18:19] op_sel_hi:[1,1,0] neg_lo:[0,0,1] neg_hi:[0,0,1]
	s_wait_dscnt 0x1
	v_pk_mul_f32 v[20:21], v[192:193], v[2:3] op_sel:[0,1]
	v_pk_add_f32 v[110:111], v[110:111], v[6:7] neg_lo:[0,1] neg_hi:[0,1]
	v_pk_fma_f32 v[6:7], v[202:203], v[0:1], v[4:5] op_sel:[0,0,1] op_sel_hi:[1,0,0]
	v_mov_b32_e32 v19, v9
	v_pk_fma_f32 v[8:9], v[202:203], v[0:1], v[4:5] op_sel:[0,0,1] op_sel_hi:[1,1,0] neg_lo:[0,0,1] neg_hi:[0,0,1]
	v_pk_fma_f32 v[200:201], v[192:193], v[0:1], v[20:21] op_sel:[0,0,1] op_sel_hi:[1,0,0]
	v_pk_mul_f32 v[202:203], v[194:195], v[2:3] op_sel:[0,1]
	v_mov_b32_e32 v9, v7
	ds_load_2addr_b64 v[4:7], v12 offset0:31 offset1:32
	v_pk_fma_f32 v[20:21], v[192:193], v[0:1], v[20:21] op_sel:[0,0,1] op_sel_hi:[1,1,0] neg_lo:[0,0,1] neg_hi:[0,0,1]
	v_mov_b32_e32 v21, v201
	s_wait_dscnt 0x1
	v_pk_mul_f32 v[200:201], v[196:197], v[2:3] op_sel:[0,1]
	v_pk_add_f32 v[106:107], v[106:107], v[18:19] neg_lo:[0,1] neg_hi:[0,1]
	v_pk_fma_f32 v[18:19], v[194:195], v[0:1], v[202:203] op_sel:[0,0,1] op_sel_hi:[1,0,0]
	v_pk_add_f32 v[108:109], v[108:109], v[8:9] neg_lo:[0,1] neg_hi:[0,1]
	v_pk_add_f32 v[104:105], v[104:105], v[20:21] neg_lo:[0,1] neg_hi:[0,1]
	v_pk_fma_f32 v[8:9], v[196:197], v[0:1], v[200:201] op_sel:[0,0,1] op_sel_hi:[1,0,0]
	v_pk_fma_f32 v[20:21], v[194:195], v[0:1], v[202:203] op_sel:[0,0,1] op_sel_hi:[1,1,0] neg_lo:[0,0,1] neg_hi:[0,0,1]
	ds_load_2addr_b64 v[192:195], v12 offset0:33 offset1:34
	v_dual_mov_b32 v21, v19 :: v_dual_mov_b32 v8, v199
	v_pk_fma_f32 v[18:19], v[196:197], v[0:1], v[200:201] op_sel:[0,0,1] op_sel_hi:[1,1,0] neg_lo:[0,0,1] neg_hi:[0,0,1]
	v_dual_mov_b32 v19, v9 :: v_dual_mov_b32 v9, v198
	v_mul_f32_e32 v196, v199, v0
	s_delay_alu instid0(VALU_DEP_4)
	v_pk_add_f32 v[128:129], v[128:129], v[20:21] neg_lo:[0,1] neg_hi:[0,1]
	ds_load_2addr_b64 v[200:203], v12 offset0:35 offset1:36
	v_pk_add_f32 v[124:125], v[124:125], v[18:19] neg_lo:[0,1] neg_hi:[0,1]
	s_wait_dscnt 0x2
	v_pk_mul_f32 v[18:19], v[4:5], v[2:3] op_sel:[0,1]
	v_pk_fma_f32 v[8:9], v[8:9], v[46:47], v[196:197] op_sel_hi:[1,1,0]
	v_mul_f32_e32 v20, v199, v3
	v_pk_mul_f32 v[196:197], v[6:7], v[2:3] op_sel:[0,1]
	s_delay_alu instid0(VALU_DEP_4) | instskip(NEXT) | instid1(VALU_DEP_3)
	v_pk_fma_f32 v[204:205], v[4:5], v[0:1], v[18:19] op_sel:[0,0,1] op_sel_hi:[1,0,0]
	v_pk_fma_f32 v[20:21], v[198:199], v[46:47], v[20:21] op_sel_hi:[1,1,0] neg_lo:[0,0,1] neg_hi:[0,0,1]
	v_mov_b32_e32 v21, v9
	v_pk_fma_f32 v[8:9], v[4:5], v[0:1], v[18:19] op_sel:[0,0,1] op_sel_hi:[1,1,0] neg_lo:[0,0,1] neg_hi:[0,0,1]
	v_pk_fma_f32 v[18:19], v[6:7], v[0:1], v[196:197] op_sel:[0,0,1] op_sel_hi:[1,0,0]
	v_pk_fma_f32 v[196:197], v[6:7], v[0:1], v[196:197] op_sel:[0,0,1] op_sel_hi:[1,1,0] neg_lo:[0,0,1] neg_hi:[0,0,1]
	ds_load_2addr_b64 v[4:7], v12 offset0:37 offset1:38
	s_wait_dscnt 0x2
	v_pk_mul_f32 v[198:199], v[192:193], v[2:3] op_sel:[0,1]
	v_dual_mov_b32 v9, v205 :: v_dual_mov_b32 v197, v19
	v_pk_mul_f32 v[18:19], v[194:195], v[2:3] op_sel:[0,1]
	v_pk_add_f32 v[126:127], v[126:127], v[20:21] neg_lo:[0,1] neg_hi:[0,1]
	s_delay_alu instid0(VALU_DEP_4) | instskip(NEXT) | instid1(VALU_DEP_4)
	v_pk_fma_f32 v[20:21], v[192:193], v[0:1], v[198:199] op_sel:[0,0,1] op_sel_hi:[1,0,0]
	v_pk_add_f32 v[122:123], v[122:123], v[8:9] neg_lo:[0,1] neg_hi:[0,1]
	v_pk_add_f32 v[148:149], v[148:149], v[196:197] neg_lo:[0,1] neg_hi:[0,1]
	v_pk_fma_f32 v[8:9], v[194:195], v[0:1], v[18:19] op_sel:[0,0,1] op_sel_hi:[1,0,0]
	v_pk_fma_f32 v[196:197], v[192:193], v[0:1], v[198:199] op_sel:[0,0,1] op_sel_hi:[1,1,0] neg_lo:[0,0,1] neg_hi:[0,0,1]
	v_mov_b32_e32 v197, v21
	v_pk_fma_f32 v[18:19], v[194:195], v[0:1], v[18:19] op_sel:[0,0,1] op_sel_hi:[1,1,0] neg_lo:[0,0,1] neg_hi:[0,0,1]
	s_wait_dscnt 0x1
	v_dual_mul_f32 v8, v201, v0 :: v_dual_mul_f32 v20, v201, v3
	ds_load_2addr_b64 v[192:195], v12 offset0:39 offset1:40
	v_mov_b32_e32 v19, v9
	v_pk_add_f32 v[144:145], v[144:145], v[196:197] neg_lo:[0,1] neg_hi:[0,1]
	v_pk_fma_f32 v[8:9], v[200:201], v[46:47], v[8:9] op_sel:[1,0,0] op_sel_hi:[0,1,0]
	v_pk_mul_f32 v[196:197], v[202:203], v[2:3] op_sel:[0,1]
	s_delay_alu instid0(VALU_DEP_4)
	v_pk_add_f32 v[146:147], v[146:147], v[18:19] neg_lo:[0,1] neg_hi:[0,1]
	v_pk_fma_f32 v[18:19], v[200:201], v[46:47], v[20:21] op_sel_hi:[1,1,0] neg_lo:[0,0,1] neg_hi:[0,0,1]
	s_wait_dscnt 0x1
	v_pk_mul_f32 v[20:21], v[4:5], v[2:3] op_sel:[0,1]
	v_mov_b32_e32 v19, v9
	v_pk_fma_f32 v[8:9], v[202:203], v[0:1], v[196:197] op_sel:[0,0,1] op_sel_hi:[1,0,0]
	v_pk_mul_f32 v[200:201], v[6:7], v[2:3] op_sel:[0,1]
	v_pk_fma_f32 v[202:203], v[202:203], v[0:1], v[196:197] op_sel:[0,0,1] op_sel_hi:[1,1,0] neg_lo:[0,0,1] neg_hi:[0,0,1]
	v_pk_fma_f32 v[204:205], v[4:5], v[0:1], v[20:21] op_sel:[0,0,1] op_sel_hi:[1,0,0]
	ds_load_2addr_b64 v[196:199], v12 offset0:41 offset1:42
	v_pk_fma_f32 v[4:5], v[4:5], v[0:1], v[20:21] op_sel:[0,0,1] op_sel_hi:[1,1,0] neg_lo:[0,0,1] neg_hi:[0,0,1]
	ds_load_b64 v[20:21], v12 offset:344
	v_mov_b32_e32 v203, v9
	v_pk_fma_f32 v[8:9], v[6:7], v[0:1], v[200:201] op_sel:[0,0,1] op_sel_hi:[1,0,0]
	v_pk_fma_f32 v[6:7], v[6:7], v[0:1], v[200:201] op_sel:[0,0,1] op_sel_hi:[1,1,0] neg_lo:[0,0,1] neg_hi:[0,0,1]
	v_mov_b32_e32 v5, v205
	v_pk_add_f32 v[142:143], v[142:143], v[18:19] neg_lo:[0,1] neg_hi:[0,1]
	s_wait_dscnt 0x2
	v_dual_mul_f32 v18, v195, v3 :: v_dual_mov_b32 v7, v9
	v_pk_mul_f32 v[8:9], v[192:193], v[2:3] op_sel:[0,1]
	v_pk_add_f32 v[164:165], v[164:165], v[4:5] neg_lo:[0,1] neg_hi:[0,1]
	v_pk_add_f32 v[170:171], v[170:171], v[202:203] neg_lo:[0,1] neg_hi:[0,1]
	s_delay_alu instid0(VALU_DEP_4)
	v_pk_fma_f32 v[18:19], v[194:195], v[46:47], v[18:19] op_sel_hi:[1,1,0] neg_lo:[0,0,1] neg_hi:[0,0,1]
	v_pk_add_f32 v[168:169], v[168:169], v[6:7] neg_lo:[0,1] neg_hi:[0,1]
	v_pk_fma_f32 v[4:5], v[192:193], v[0:1], v[8:9] op_sel:[0,0,1] op_sel_hi:[1,0,0]
	v_dual_mov_b32 v6, v195 :: v_dual_mov_b32 v7, v194
	v_mul_f32_e32 v4, v195, v0
	v_pk_fma_f32 v[8:9], v[192:193], v[0:1], v[8:9] op_sel:[0,0,1] op_sel_hi:[1,1,0] neg_lo:[0,0,1] neg_hi:[0,0,1]
	s_delay_alu instid0(VALU_DEP_4)
	v_mov_b32_e32 v9, v5
	s_wait_dscnt 0x1
	v_pk_mul_f32 v[192:193], v[196:197], v[2:3] op_sel:[0,1]
	v_pk_fma_f32 v[4:5], v[6:7], v[46:47], v[4:5] op_sel_hi:[1,1,0]
	v_pk_mul_f32 v[6:7], v[198:199], v[2:3] op_sel:[0,1]
	s_wait_dscnt 0x0
	v_pk_mul_f32 v[2:3], v[20:21], v[2:3] op_sel:[0,1]
	v_pk_fma_f32 v[194:195], v[196:197], v[0:1], v[192:193] op_sel:[0,0,1] op_sel_hi:[1,0,0]
	v_pk_fma_f32 v[192:193], v[196:197], v[0:1], v[192:193] op_sel:[0,0,1] op_sel_hi:[1,1,0] neg_lo:[0,0,1] neg_hi:[0,0,1]
	v_mov_b32_e32 v19, v5
	v_pk_fma_f32 v[4:5], v[198:199], v[0:1], v[6:7] op_sel:[0,0,1] op_sel_hi:[1,0,0]
	v_pk_fma_f32 v[196:197], v[20:21], v[0:1], v[2:3] op_sel:[0,0,1] op_sel_hi:[1,0,0]
	v_pk_fma_f32 v[6:7], v[198:199], v[0:1], v[6:7] op_sel:[0,0,1] op_sel_hi:[1,1,0] neg_lo:[0,0,1] neg_hi:[0,0,1]
	v_pk_fma_f32 v[0:1], v[20:21], v[0:1], v[2:3] op_sel:[0,0,1] op_sel_hi:[1,1,0] neg_lo:[0,0,1] neg_hi:[0,0,1]
	s_delay_alu instid0(VALU_DEP_4) | instskip(NEXT) | instid1(VALU_DEP_4)
	v_dual_mov_b32 v193, v195 :: v_dual_mov_b32 v7, v5
	v_mov_b32_e32 v1, v197
	v_pk_add_f32 v[162:163], v[162:163], v[8:9] neg_lo:[0,1] neg_hi:[0,1]
	v_pk_add_f32 v[166:167], v[166:167], v[18:19] neg_lo:[0,1] neg_hi:[0,1]
	s_delay_alu instid0(VALU_DEP_4)
	v_pk_add_f32 v[160:161], v[160:161], v[192:193] neg_lo:[0,1] neg_hi:[0,1]
	v_pk_add_f32 v[172:173], v[172:173], v[6:7] neg_lo:[0,1] neg_hi:[0,1]
	;; [unrolled: 1-line block ×3, first 2 shown]
.LBB87_64:
	s_or_b32 exec_lo, exec_lo, s1
	s_delay_alu instid0(SALU_CYCLE_1)
	s_mov_b32 s2, exec_lo
	s_wait_dscnt 0x0
	s_barrier_signal -1
	s_barrier_wait -1
	v_cmpx_eq_u32_e32 7, v30
	s_cbranch_execz .LBB87_71
; %bb.65:
	v_dual_mov_b32 v0, v76 :: v_dual_mov_b32 v1, v77
	v_dual_mov_b32 v2, v72 :: v_dual_mov_b32 v3, v73
	v_dual_mov_b32 v4, v74 :: v_dual_mov_b32 v5, v75
	v_dual_mov_b32 v6, v70 :: v_dual_mov_b32 v7, v71
	v_dual_mov_b32 v8, v102 :: v_dual_mov_b32 v9, v103
	v_dual_mov_b32 v18, v68 :: v_dual_mov_b32 v19, v69
	v_dual_mov_b32 v20, v100 :: v_dual_mov_b32 v21, v101
	v_dual_mov_b32 v192, v98 :: v_dual_mov_b32 v193, v99
	v_dual_mov_b32 v194, v120 :: v_dual_mov_b32 v195, v121
	v_dual_mov_b32 v196, v56 :: v_dual_mov_b32 v197, v57
	ds_store_b64 v31, v[28:29]
	v_dual_mov_b32 v198, v58 :: v_dual_mov_b32 v199, v59
	v_dual_mov_b32 v200, v54 :: v_dual_mov_b32 v201, v55
	ds_store_2addr_b64 v12, v[0:1], v[2:3] offset0:8 offset1:9
	ds_store_2addr_b64 v12, v[4:5], v[6:7] offset0:10 offset1:11
	;; [unrolled: 1-line block ×6, first 2 shown]
	v_dual_mov_b32 v0, v86 :: v_dual_mov_b32 v1, v87
	v_dual_mov_b32 v2, v82 :: v_dual_mov_b32 v3, v83
	;; [unrolled: 1-line block ×12, first 2 shown]
	ds_store_2addr_b64 v12, v[0:1], v[2:3] offset0:20 offset1:21
	ds_store_2addr_b64 v12, v[4:5], v[6:7] offset0:22 offset1:23
	;; [unrolled: 1-line block ×6, first 2 shown]
	v_dual_mov_b32 v0, v148 :: v_dual_mov_b32 v1, v149
	v_dual_mov_b32 v2, v144 :: v_dual_mov_b32 v3, v145
	;; [unrolled: 1-line block ×11, first 2 shown]
	ds_store_2addr_b64 v12, v[0:1], v[2:3] offset0:32 offset1:33
	ds_store_2addr_b64 v12, v[4:5], v[6:7] offset0:34 offset1:35
	;; [unrolled: 1-line block ×6, first 2 shown]
	ds_load_b64 v[0:1], v31
	s_wait_dscnt 0x0
	v_cmp_neq_f32_e32 vcc_lo, 0, v0
	v_cmp_neq_f32_e64 s1, 0, v1
	s_or_b32 s1, vcc_lo, s1
	s_delay_alu instid0(SALU_CYCLE_1)
	s_and_b32 exec_lo, exec_lo, s1
	s_cbranch_execz .LBB87_71
; %bb.66:
	v_cmp_ngt_f32_e64 s1, |v0|, |v1|
                                        ; implicit-def: $vgpr2_vgpr3
	s_and_saveexec_b32 s4, s1
	s_delay_alu instid0(SALU_CYCLE_1)
	s_xor_b32 s1, exec_lo, s4
	s_cbranch_execz .LBB87_68
; %bb.67:
	v_div_scale_f32 v2, null, v1, v1, v0
	v_div_scale_f32 v5, vcc_lo, v0, v1, v0
	s_delay_alu instid0(VALU_DEP_2) | instskip(SKIP_1) | instid1(TRANS32_DEP_1)
	v_rcp_f32_e32 v3, v2
	v_nop
	v_fma_f32 v4, -v2, v3, 1.0
	s_delay_alu instid0(VALU_DEP_1) | instskip(NEXT) | instid1(VALU_DEP_1)
	v_fmac_f32_e32 v3, v4, v3
	v_mul_f32_e32 v4, v5, v3
	s_delay_alu instid0(VALU_DEP_1) | instskip(NEXT) | instid1(VALU_DEP_1)
	v_fma_f32 v6, -v2, v4, v5
	v_fmac_f32_e32 v4, v6, v3
	s_delay_alu instid0(VALU_DEP_1) | instskip(NEXT) | instid1(VALU_DEP_1)
	v_fma_f32 v2, -v2, v4, v5
	v_div_fmas_f32 v2, v2, v3, v4
	s_delay_alu instid0(VALU_DEP_1) | instskip(NEXT) | instid1(VALU_DEP_1)
	v_div_fixup_f32 v2, v2, v1, v0
	v_fmac_f32_e32 v1, v0, v2
	s_delay_alu instid0(VALU_DEP_1) | instskip(SKIP_1) | instid1(VALU_DEP_2)
	v_div_scale_f32 v0, null, v1, v1, 1.0
	v_div_scale_f32 v5, vcc_lo, 1.0, v1, 1.0
	v_rcp_f32_e32 v3, v0
	v_nop
	s_delay_alu instid0(TRANS32_DEP_1) | instskip(NEXT) | instid1(VALU_DEP_1)
	v_fma_f32 v4, -v0, v3, 1.0
	v_fmac_f32_e32 v3, v4, v3
	s_delay_alu instid0(VALU_DEP_1) | instskip(NEXT) | instid1(VALU_DEP_1)
	v_mul_f32_e32 v4, v5, v3
	v_fma_f32 v6, -v0, v4, v5
	s_delay_alu instid0(VALU_DEP_1) | instskip(NEXT) | instid1(VALU_DEP_1)
	v_fmac_f32_e32 v4, v6, v3
	v_fma_f32 v0, -v0, v4, v5
	s_delay_alu instid0(VALU_DEP_1) | instskip(NEXT) | instid1(VALU_DEP_1)
	v_div_fmas_f32 v0, v0, v3, v4
	v_div_fixup_f32 v0, v0, v1, 1.0
	s_delay_alu instid0(VALU_DEP_1)
	v_mul_f32_e32 v2, v2, v0
	v_xor_b32_e32 v3, 0x80000000, v0
                                        ; implicit-def: $vgpr0_vgpr1
.LBB87_68:
	s_and_not1_saveexec_b32 s1, s1
	s_cbranch_execz .LBB87_70
; %bb.69:
	v_div_scale_f32 v2, null, v0, v0, v1
	v_div_scale_f32 v5, vcc_lo, v1, v0, v1
	s_delay_alu instid0(VALU_DEP_2) | instskip(SKIP_1) | instid1(TRANS32_DEP_1)
	v_rcp_f32_e32 v3, v2
	v_nop
	v_fma_f32 v4, -v2, v3, 1.0
	s_delay_alu instid0(VALU_DEP_1) | instskip(NEXT) | instid1(VALU_DEP_1)
	v_fmac_f32_e32 v3, v4, v3
	v_mul_f32_e32 v4, v5, v3
	s_delay_alu instid0(VALU_DEP_1) | instskip(NEXT) | instid1(VALU_DEP_1)
	v_fma_f32 v6, -v2, v4, v5
	v_fmac_f32_e32 v4, v6, v3
	s_delay_alu instid0(VALU_DEP_1) | instskip(NEXT) | instid1(VALU_DEP_1)
	v_fma_f32 v2, -v2, v4, v5
	v_div_fmas_f32 v2, v2, v3, v4
	s_delay_alu instid0(VALU_DEP_1) | instskip(NEXT) | instid1(VALU_DEP_1)
	v_div_fixup_f32 v3, v2, v0, v1
	v_fmac_f32_e32 v0, v1, v3
	s_delay_alu instid0(VALU_DEP_1) | instskip(NEXT) | instid1(VALU_DEP_1)
	v_div_scale_f32 v1, null, v0, v0, 1.0
	v_rcp_f32_e32 v2, v1
	v_nop
	s_delay_alu instid0(TRANS32_DEP_1) | instskip(NEXT) | instid1(VALU_DEP_1)
	v_fma_f32 v4, -v1, v2, 1.0
	v_fmac_f32_e32 v2, v4, v2
	v_div_scale_f32 v4, vcc_lo, 1.0, v0, 1.0
	s_delay_alu instid0(VALU_DEP_1) | instskip(NEXT) | instid1(VALU_DEP_1)
	v_mul_f32_e32 v5, v4, v2
	v_fma_f32 v6, -v1, v5, v4
	s_delay_alu instid0(VALU_DEP_1) | instskip(NEXT) | instid1(VALU_DEP_1)
	v_fmac_f32_e32 v5, v6, v2
	v_fma_f32 v1, -v1, v5, v4
	s_delay_alu instid0(VALU_DEP_1) | instskip(NEXT) | instid1(VALU_DEP_1)
	v_div_fmas_f32 v1, v1, v2, v5
	v_div_fixup_f32 v2, v1, v0, 1.0
	s_delay_alu instid0(VALU_DEP_1)
	v_mul_f32_e64 v3, v3, -v2
.LBB87_70:
	s_or_b32 exec_lo, exec_lo, s1
	ds_store_b64 v31, v[2:3]
.LBB87_71:
	s_or_b32 exec_lo, exec_lo, s2
	s_wait_dscnt 0x0
	s_barrier_signal -1
	s_barrier_wait -1
	ds_load_b64 v[192:193], v31
	s_mov_b32 s1, exec_lo
	v_cmpx_lt_u32_e32 7, v30
	s_cbranch_execz .LBB87_73
; %bb.72:
	ds_load_2addr_b64 v[4:7], v12 offset0:8 offset1:9
	ds_load_2addr_b64 v[194:197], v12 offset0:10 offset1:11
	;; [unrolled: 1-line block ×3, first 2 shown]
	s_wait_dscnt 0x3
	v_pk_mul_f32 v[2:3], v[192:193], v[28:29] op_sel:[1,1] op_sel_hi:[0,1]
	ds_load_2addr_b64 v[202:205], v12 offset0:14 offset1:15
	ds_load_2addr_b64 v[206:209], v12 offset0:16 offset1:17
	v_pk_fma_f32 v[0:1], v[192:193], v[28:29], v[2:3] op_sel_hi:[1,0,1] neg_lo:[0,0,1] neg_hi:[0,0,1]
	v_pk_fma_f32 v[2:3], v[192:193], v[28:29], v[2:3] op_sel_hi:[1,0,1]
	s_delay_alu instid0(VALU_DEP_1) | instskip(SKIP_1) | instid1(VALU_DEP_2)
	v_dual_mov_b32 v28, v0 :: v_dual_mov_b32 v29, v3
	s_wait_dscnt 0x4
	v_pk_mul_f32 v[8:9], v[4:5], v[2:3] op_sel:[0,1]
	v_pk_mul_f32 v[18:19], v[6:7], v[2:3] op_sel:[0,1]
	s_wait_dscnt 0x3
	v_pk_mul_f32 v[20:21], v[194:195], v[2:3] op_sel:[0,1]
	v_dual_mov_b32 v210, v197 :: v_dual_mov_b32 v211, v196
	v_pk_fma_f32 v[222:223], v[4:5], v[0:1], v[8:9] op_sel:[0,0,1] op_sel_hi:[1,1,0] neg_lo:[0,0,1] neg_hi:[0,0,1]
	v_pk_fma_f32 v[4:5], v[4:5], v[0:1], v[8:9] op_sel:[0,0,1] op_sel_hi:[1,0,0]
	v_pk_fma_f32 v[8:9], v[6:7], v[0:1], v[18:19] op_sel:[0,0,1] op_sel_hi:[1,1,0] neg_lo:[0,0,1] neg_hi:[0,0,1]
	v_pk_fma_f32 v[6:7], v[6:7], v[0:1], v[18:19] op_sel:[0,0,1] op_sel_hi:[1,0,0]
	v_dual_mul_f32 v212, v197, v3 :: v_dual_mul_f32 v214, v197, v0
	s_wait_dscnt 0x2
	v_pk_mul_f32 v[216:217], v[198:199], v[2:3] op_sel:[0,1]
	v_pk_fma_f32 v[18:19], v[194:195], v[0:1], v[20:21] op_sel:[0,0,1] op_sel_hi:[1,1,0] neg_lo:[0,0,1] neg_hi:[0,0,1]
	v_pk_fma_f32 v[20:21], v[194:195], v[0:1], v[20:21] op_sel:[0,0,1] op_sel_hi:[1,0,0]
	v_dual_mov_b32 v223, v5 :: v_dual_mov_b32 v9, v7
	v_pk_mul_f32 v[218:219], v[200:201], v[2:3] op_sel:[0,1]
	v_pk_fma_f32 v[194:195], v[196:197], v[28:29], v[212:213] op_sel_hi:[1,1,0] neg_lo:[0,0,1] neg_hi:[0,0,1]
	v_pk_fma_f32 v[196:197], v[210:211], v[28:29], v[214:215] op_sel_hi:[1,1,0]
	v_mov_b32_e32 v19, v21
	v_pk_fma_f32 v[4:5], v[198:199], v[0:1], v[216:217] op_sel:[0,0,1] op_sel_hi:[1,0,0]
	s_wait_dscnt 0x1
	v_pk_mul_f32 v[220:221], v[202:203], v[2:3] op_sel:[0,1]
	v_pk_add_f32 v[72:73], v[72:73], v[8:9] neg_lo:[0,1] neg_hi:[0,1]
	v_pk_fma_f32 v[8:9], v[198:199], v[0:1], v[216:217] op_sel:[0,0,1] op_sel_hi:[1,1,0] neg_lo:[0,0,1] neg_hi:[0,0,1]
	v_mov_b32_e32 v195, v197
	v_pk_add_f32 v[74:75], v[74:75], v[18:19] neg_lo:[0,1] neg_hi:[0,1]
	v_pk_fma_f32 v[18:19], v[200:201], v[0:1], v[218:219] op_sel:[0,0,1] op_sel_hi:[1,0,0]
	v_mov_b32_e32 v9, v5
	ds_load_2addr_b64 v[4:7], v12 offset0:18 offset1:19
	v_pk_fma_f32 v[20:21], v[202:203], v[0:1], v[220:221] op_sel:[0,0,1] op_sel_hi:[1,0,0]
	v_pk_fma_f32 v[196:197], v[200:201], v[0:1], v[218:219] op_sel:[0,0,1] op_sel_hi:[1,1,0] neg_lo:[0,0,1] neg_hi:[0,0,1]
	v_mov_b32_e32 v197, v19
	v_pk_fma_f32 v[18:19], v[202:203], v[0:1], v[220:221] op_sel:[0,0,1] op_sel_hi:[1,1,0] neg_lo:[0,0,1] neg_hi:[0,0,1]
	s_wait_dscnt 0x1
	v_pk_mul_f32 v[198:199], v[208:209], v[2:3] op_sel:[0,1]
	v_mov_b32_e32 v19, v21
	v_pk_mul_f32 v[20:21], v[204:205], v[2:3] op_sel:[0,1]
	v_pk_add_f32 v[102:103], v[102:103], v[8:9] neg_lo:[0,1] neg_hi:[0,1]
	v_mul_f32_e32 v8, v207, v0
	v_pk_add_f32 v[70:71], v[70:71], v[194:195] neg_lo:[0,1] neg_hi:[0,1]
	v_pk_add_f32 v[68:69], v[68:69], v[196:197] neg_lo:[0,1] neg_hi:[0,1]
	ds_load_2addr_b64 v[194:197], v12 offset0:20 offset1:21
	v_pk_add_f32 v[100:101], v[100:101], v[18:19] neg_lo:[0,1] neg_hi:[0,1]
	v_pk_fma_f32 v[18:19], v[204:205], v[0:1], v[20:21] op_sel:[0,0,1] op_sel_hi:[1,0,0]
	v_pk_fma_f32 v[200:201], v[208:209], v[0:1], v[198:199] op_sel:[0,0,1] op_sel_hi:[1,0,0]
	;; [unrolled: 1-line block ×3, first 2 shown]
	v_mul_f32_e32 v18, v207, v3
	v_pk_fma_f32 v[20:21], v[204:205], v[0:1], v[20:21] op_sel:[0,0,1] op_sel_hi:[1,1,0] neg_lo:[0,0,1] neg_hi:[0,0,1]
	v_pk_fma_f32 v[198:199], v[208:209], v[0:1], v[198:199] op_sel:[0,0,1] op_sel_hi:[1,1,0] neg_lo:[0,0,1] neg_hi:[0,0,1]
	v_dual_mov_b32 v21, v19 :: v_dual_mov_b32 v199, v201
	s_delay_alu instid0(VALU_DEP_4)
	v_pk_fma_f32 v[18:19], v[206:207], v[28:29], v[18:19] op_sel_hi:[1,1,0] neg_lo:[0,0,1] neg_hi:[0,0,1]
	v_mov_b32_e32 v19, v9
	s_wait_dscnt 0x1
	v_pk_mul_f32 v[8:9], v[4:5], v[2:3] op_sel:[0,1]
	v_pk_add_f32 v[98:99], v[98:99], v[20:21] neg_lo:[0,1] neg_hi:[0,1]
	v_pk_add_f32 v[56:57], v[56:57], v[198:199] neg_lo:[0,1] neg_hi:[0,1]
	ds_load_2addr_b64 v[198:201], v12 offset0:22 offset1:23
	v_pk_add_f32 v[120:121], v[120:121], v[18:19] neg_lo:[0,1] neg_hi:[0,1]
	v_pk_fma_f32 v[18:19], v[4:5], v[0:1], v[8:9] op_sel:[0,0,1] op_sel_hi:[1,0,0]
	v_pk_mul_f32 v[20:21], v[6:7], v[2:3] op_sel:[0,1]
	v_pk_fma_f32 v[8:9], v[4:5], v[0:1], v[8:9] op_sel:[0,0,1] op_sel_hi:[1,1,0] neg_lo:[0,0,1] neg_hi:[0,0,1]
	s_wait_dscnt 0x1
	v_pk_mul_f32 v[202:203], v[194:195], v[2:3] op_sel:[0,1]
	v_dual_mov_b32 v204, v197 :: v_dual_mov_b32 v9, v19
	v_pk_fma_f32 v[18:19], v[6:7], v[0:1], v[20:21] op_sel:[0,0,1] op_sel_hi:[1,1,0] neg_lo:[0,0,1] neg_hi:[0,0,1]
	v_pk_fma_f32 v[20:21], v[6:7], v[0:1], v[20:21] op_sel:[0,0,1] op_sel_hi:[1,0,0]
	ds_load_2addr_b64 v[4:7], v12 offset0:24 offset1:25
	v_dual_mov_b32 v205, v196 :: v_dual_mul_f32 v20, v197, v0
	v_pk_add_f32 v[58:59], v[58:59], v[8:9] neg_lo:[0,1] neg_hi:[0,1]
	v_mov_b32_e32 v19, v21
	v_pk_fma_f32 v[8:9], v[194:195], v[0:1], v[202:203] op_sel:[0,0,1] op_sel_hi:[1,0,0]
	v_mul_f32_e32 v8, v197, v3
	v_pk_fma_f32 v[20:21], v[204:205], v[28:29], v[20:21] op_sel_hi:[1,1,0]
	v_pk_add_f32 v[76:77], v[76:77], v[222:223] neg_lo:[0,1] neg_hi:[0,1]
	v_pk_add_f32 v[54:55], v[54:55], v[18:19] neg_lo:[0,1] neg_hi:[0,1]
	v_pk_fma_f32 v[18:19], v[194:195], v[0:1], v[202:203] op_sel:[0,0,1] op_sel_hi:[1,1,0] neg_lo:[0,0,1] neg_hi:[0,0,1]
	v_mov_b32_e32 v19, v9
	v_pk_fma_f32 v[8:9], v[196:197], v[28:29], v[8:9] op_sel_hi:[1,1,0] neg_lo:[0,0,1] neg_hi:[0,0,1]
	v_mov_b32_e32 v9, v21
	s_wait_dscnt 0x1
	v_pk_mul_f32 v[20:21], v[198:199], v[2:3] op_sel:[0,1]
	v_pk_mul_f32 v[206:207], v[200:201], v[2:3] op_sel:[0,1]
	ds_load_2addr_b64 v[194:197], v12 offset0:26 offset1:27
	ds_load_2addr_b64 v[202:205], v12 offset0:28 offset1:29
	v_pk_add_f32 v[82:83], v[82:83], v[8:9] neg_lo:[0,1] neg_hi:[0,1]
	v_pk_fma_f32 v[8:9], v[198:199], v[0:1], v[20:21] op_sel:[0,0,1] op_sel_hi:[1,0,0]
	v_pk_fma_f32 v[20:21], v[198:199], v[0:1], v[20:21] op_sel:[0,0,1] op_sel_hi:[1,1,0] neg_lo:[0,0,1] neg_hi:[0,0,1]
	v_pk_fma_f32 v[208:209], v[200:201], v[0:1], v[206:207] op_sel:[0,0,1] op_sel_hi:[1,0,0]
	v_pk_fma_f32 v[198:199], v[200:201], v[0:1], v[206:207] op_sel:[0,0,1] op_sel_hi:[1,1,0] neg_lo:[0,0,1] neg_hi:[0,0,1]
	s_wait_dscnt 0x2
	v_pk_mul_f32 v[206:207], v[6:7], v[2:3] op_sel:[0,1]
	v_mov_b32_e32 v21, v9
	v_pk_add_f32 v[86:87], v[86:87], v[18:19] neg_lo:[0,1] neg_hi:[0,1]
	v_pk_mul_f32 v[18:19], v[4:5], v[2:3] op_sel:[0,1]
	s_delay_alu instid0(VALU_DEP_3) | instskip(NEXT) | instid1(VALU_DEP_2)
	v_pk_add_f32 v[84:85], v[84:85], v[20:21] neg_lo:[0,1] neg_hi:[0,1]
	v_pk_fma_f32 v[8:9], v[4:5], v[0:1], v[18:19] op_sel:[0,0,1] op_sel_hi:[1,0,0]
	v_mov_b32_e32 v199, v209
	v_pk_fma_f32 v[4:5], v[4:5], v[0:1], v[18:19] op_sel:[0,0,1] op_sel_hi:[1,1,0] neg_lo:[0,0,1] neg_hi:[0,0,1]
	s_delay_alu instid0(VALU_DEP_3) | instskip(NEXT) | instid1(VALU_DEP_3)
	v_mov_b32_e32 v5, v9
	v_pk_add_f32 v[80:81], v[80:81], v[198:199] neg_lo:[0,1] neg_hi:[0,1]
	ds_load_2addr_b64 v[198:201], v12 offset0:30 offset1:31
	v_pk_fma_f32 v[8:9], v[6:7], v[0:1], v[206:207] op_sel:[0,0,1] op_sel_hi:[1,0,0]
	v_pk_fma_f32 v[6:7], v[6:7], v[0:1], v[206:207] op_sel:[0,0,1] op_sel_hi:[1,1,0] neg_lo:[0,0,1] neg_hi:[0,0,1]
	v_pk_add_f32 v[110:111], v[110:111], v[4:5] neg_lo:[0,1] neg_hi:[0,1]
	s_wait_dscnt 0x2
	v_dual_mul_f32 v4, v195, v0 :: v_dual_mul_f32 v8, v195, v3
	v_mov_b32_e32 v7, v9
	v_pk_mul_f32 v[18:19], v[196:197], v[2:3] op_sel:[0,1]
	s_wait_dscnt 0x1
	v_pk_mul_f32 v[20:21], v[202:203], v[2:3] op_sel:[0,1]
	v_pk_fma_f32 v[4:5], v[194:195], v[28:29], v[4:5] op_sel:[1,0,0] op_sel_hi:[0,1,0]
	v_pk_fma_f32 v[8:9], v[194:195], v[28:29], v[8:9] op_sel_hi:[1,1,0] neg_lo:[0,0,1] neg_hi:[0,0,1]
	v_pk_add_f32 v[106:107], v[106:107], v[6:7] neg_lo:[0,1] neg_hi:[0,1]
	v_pk_fma_f32 v[194:195], v[196:197], v[0:1], v[18:19] op_sel:[0,0,1] op_sel_hi:[1,0,0]
	v_pk_fma_f32 v[18:19], v[196:197], v[0:1], v[18:19] op_sel:[0,0,1] op_sel_hi:[1,1,0] neg_lo:[0,0,1] neg_hi:[0,0,1]
	v_mov_b32_e32 v9, v5
	ds_load_2addr_b64 v[4:7], v12 offset0:32 offset1:33
	v_pk_fma_f32 v[206:207], v[202:203], v[0:1], v[20:21] op_sel:[0,0,1] op_sel_hi:[1,0,0]
	v_mov_b32_e32 v19, v195
	v_pk_fma_f32 v[20:21], v[202:203], v[0:1], v[20:21] op_sel:[0,0,1] op_sel_hi:[1,1,0] neg_lo:[0,0,1] neg_hi:[0,0,1]
	v_pk_mul_f32 v[194:195], v[204:205], v[2:3] op_sel:[0,1]
	s_wait_dscnt 0x1
	v_pk_mul_f32 v[202:203], v[198:199], v[2:3] op_sel:[0,1]
	v_pk_add_f32 v[108:109], v[108:109], v[8:9] neg_lo:[0,1] neg_hi:[0,1]
	v_pk_add_f32 v[104:105], v[104:105], v[18:19] neg_lo:[0,1] neg_hi:[0,1]
	v_pk_fma_f32 v[8:9], v[204:205], v[0:1], v[194:195] op_sel:[0,0,1] op_sel_hi:[1,0,0]
	s_delay_alu instid0(VALU_DEP_4) | instskip(SKIP_1) | instid1(VALU_DEP_1)
	v_pk_fma_f32 v[18:19], v[198:199], v[0:1], v[202:203] op_sel:[0,0,1] op_sel_hi:[1,0,0]
	v_dual_mov_b32 v21, v207 :: v_dual_mov_b32 v18, v201
	v_pk_add_f32 v[128:129], v[128:129], v[20:21] neg_lo:[0,1] neg_hi:[0,1]
	v_pk_fma_f32 v[20:21], v[204:205], v[0:1], v[194:195] op_sel:[0,0,1] op_sel_hi:[1,1,0] neg_lo:[0,0,1] neg_hi:[0,0,1]
	ds_load_2addr_b64 v[194:197], v12 offset0:34 offset1:35
	v_mov_b32_e32 v21, v9
	v_pk_fma_f32 v[8:9], v[198:199], v[0:1], v[202:203] op_sel:[0,0,1] op_sel_hi:[1,1,0] neg_lo:[0,0,1] neg_hi:[0,0,1]
	v_dual_mov_b32 v9, v19 :: v_dual_mov_b32 v19, v200
	v_mul_f32_e32 v198, v201, v0
	s_wait_dscnt 0x1
	v_pk_mul_f32 v[206:207], v[4:5], v[2:3] op_sel:[0,1]
	ds_load_2addr_b64 v[202:205], v12 offset0:36 offset1:37
	v_pk_add_f32 v[126:127], v[126:127], v[8:9] neg_lo:[0,1] neg_hi:[0,1]
	v_pk_add_f32 v[124:125], v[124:125], v[20:21] neg_lo:[0,1] neg_hi:[0,1]
	v_pk_fma_f32 v[18:19], v[18:19], v[28:29], v[198:199] op_sel_hi:[1,1,0]
	v_mul_f32_e32 v8, v201, v3
	v_pk_mul_f32 v[198:199], v[6:7], v[2:3] op_sel:[0,1]
	v_pk_fma_f32 v[20:21], v[4:5], v[0:1], v[206:207] op_sel:[0,0,1] op_sel_hi:[1,0,0]
	s_delay_alu instid0(VALU_DEP_3) | instskip(NEXT) | instid1(VALU_DEP_3)
	v_pk_fma_f32 v[8:9], v[200:201], v[28:29], v[8:9] op_sel_hi:[1,1,0] neg_lo:[0,0,1] neg_hi:[0,0,1]
	v_pk_fma_f32 v[200:201], v[6:7], v[0:1], v[198:199] op_sel:[0,0,1] op_sel_hi:[1,0,0]
	v_mov_b32_e32 v9, v19
	v_pk_fma_f32 v[18:19], v[4:5], v[0:1], v[206:207] op_sel:[0,0,1] op_sel_hi:[1,1,0] neg_lo:[0,0,1] neg_hi:[0,0,1]
	v_mov_b32_e32 v19, v21
	v_pk_fma_f32 v[20:21], v[6:7], v[0:1], v[198:199] op_sel:[0,0,1] op_sel_hi:[1,1,0] neg_lo:[0,0,1] neg_hi:[0,0,1]
	s_wait_dscnt 0x1
	v_pk_mul_f32 v[198:199], v[194:195], v[2:3] op_sel:[0,1]
	ds_load_2addr_b64 v[4:7], v12 offset0:38 offset1:39
	v_mov_b32_e32 v21, v201
	v_pk_add_f32 v[122:123], v[122:123], v[8:9] neg_lo:[0,1] neg_hi:[0,1]
	v_pk_mul_f32 v[8:9], v[196:197], v[2:3] op_sel:[0,1]
	v_pk_add_f32 v[148:149], v[148:149], v[18:19] neg_lo:[0,1] neg_hi:[0,1]
	v_pk_fma_f32 v[18:19], v[194:195], v[0:1], v[198:199] op_sel:[0,0,1] op_sel_hi:[1,0,0]
	v_pk_add_f32 v[144:145], v[144:145], v[20:21] neg_lo:[0,1] neg_hi:[0,1]
	v_pk_fma_f32 v[20:21], v[194:195], v[0:1], v[198:199] op_sel:[0,0,1] op_sel_hi:[1,1,0] neg_lo:[0,0,1] neg_hi:[0,0,1]
	ds_load_2addr_b64 v[198:201], v12 offset0:40 offset1:41
	v_pk_fma_f32 v[194:195], v[196:197], v[0:1], v[8:9] op_sel:[0,0,1] op_sel_hi:[1,0,0]
	v_mov_b32_e32 v21, v19
	v_pk_fma_f32 v[8:9], v[196:197], v[0:1], v[8:9] op_sel:[0,0,1] op_sel_hi:[1,1,0] neg_lo:[0,0,1] neg_hi:[0,0,1]
	s_wait_dscnt 0x2
	v_dual_mul_f32 v18, v203, v0 :: v_dual_mul_f32 v194, v203, v3
	v_mov_b32_e32 v9, v195
	v_pk_add_f32 v[146:147], v[146:147], v[20:21] neg_lo:[0,1] neg_hi:[0,1]
	v_pk_mul_f32 v[20:21], v[204:205], v[2:3] op_sel:[0,1]
	s_delay_alu instid0(VALU_DEP_4) | instskip(NEXT) | instid1(VALU_DEP_4)
	v_pk_fma_f32 v[18:19], v[202:203], v[28:29], v[18:19] op_sel:[1,0,0] op_sel_hi:[0,1,0]
	v_pk_add_f32 v[142:143], v[142:143], v[8:9] neg_lo:[0,1] neg_hi:[0,1]
	v_pk_fma_f32 v[8:9], v[202:203], v[28:29], v[194:195] op_sel_hi:[1,1,0] neg_lo:[0,0,1] neg_hi:[0,0,1]
	ds_load_2addr_b64 v[194:197], v12 offset0:42 offset1:43
	s_wait_dscnt 0x2
	v_pk_mul_f32 v[202:203], v[4:5], v[2:3] op_sel:[0,1]
	v_pk_fma_f32 v[206:207], v[204:205], v[0:1], v[20:21] op_sel:[0,0,1] op_sel_hi:[1,0,0]
	v_mov_b32_e32 v9, v19
	v_pk_fma_f32 v[18:19], v[204:205], v[0:1], v[20:21] op_sel:[0,0,1] op_sel_hi:[1,1,0] neg_lo:[0,0,1] neg_hi:[0,0,1]
	v_pk_mul_f32 v[204:205], v[6:7], v[2:3] op_sel:[0,1]
	v_pk_fma_f32 v[20:21], v[4:5], v[0:1], v[202:203] op_sel:[0,0,1] op_sel_hi:[1,0,0]
	v_mov_b32_e32 v19, v207
	v_pk_fma_f32 v[4:5], v[4:5], v[0:1], v[202:203] op_sel:[0,0,1] op_sel_hi:[1,1,0] neg_lo:[0,0,1] neg_hi:[0,0,1]
	s_wait_dscnt 0x1
	v_pk_mul_f32 v[202:203], v[198:199], v[2:3] op_sel:[0,1]
	v_pk_add_f32 v[170:171], v[170:171], v[8:9] neg_lo:[0,1] neg_hi:[0,1]
	v_pk_fma_f32 v[8:9], v[6:7], v[0:1], v[204:205] op_sel:[0,0,1] op_sel_hi:[1,0,0]
	v_pk_add_f32 v[164:165], v[164:165], v[18:19] neg_lo:[0,1] neg_hi:[0,1]
	v_mov_b32_e32 v8, v201
	v_pk_fma_f32 v[18:19], v[198:199], v[0:1], v[202:203] op_sel:[0,0,1] op_sel_hi:[1,0,0]
	v_mov_b32_e32 v5, v21
	v_dual_mul_f32 v20, v201, v0 :: v_dual_mul_f32 v18, v201, v3
	s_delay_alu instid0(VALU_DEP_2)
	v_pk_add_f32 v[168:169], v[168:169], v[4:5] neg_lo:[0,1] neg_hi:[0,1]
	v_pk_fma_f32 v[4:5], v[6:7], v[0:1], v[204:205] op_sel:[0,0,1] op_sel_hi:[1,1,0] neg_lo:[0,0,1] neg_hi:[0,0,1]
	v_dual_mov_b32 v5, v9 :: v_dual_mov_b32 v9, v200
	v_pk_fma_f32 v[6:7], v[198:199], v[0:1], v[202:203] op_sel:[0,0,1] op_sel_hi:[1,1,0] neg_lo:[0,0,1] neg_hi:[0,0,1]
	s_wait_dscnt 0x0
	v_pk_mul_f32 v[198:199], v[194:195], v[2:3] op_sel:[0,1]
	v_dual_mov_b32 v202, v197 :: v_dual_mul_f32 v2, v197, v0
	v_mov_b32_e32 v203, v196
	v_pk_fma_f32 v[8:9], v[8:9], v[28:29], v[20:21] op_sel_hi:[1,1,0]
	v_mul_f32_e32 v8, v197, v3
	v_pk_fma_f32 v[20:21], v[194:195], v[0:1], v[198:199] op_sel:[0,0,1] op_sel_hi:[1,0,0]
	v_mov_b32_e32 v7, v19
	v_pk_fma_f32 v[2:3], v[202:203], v[28:29], v[2:3] op_sel_hi:[1,1,0]
	v_pk_fma_f32 v[18:19], v[200:201], v[28:29], v[18:19] op_sel_hi:[1,1,0] neg_lo:[0,0,1] neg_hi:[0,0,1]
	v_mov_b32_e32 v19, v9
	v_pk_fma_f32 v[0:1], v[194:195], v[0:1], v[198:199] op_sel:[0,0,1] op_sel_hi:[1,1,0] neg_lo:[0,0,1] neg_hi:[0,0,1]
	v_pk_fma_f32 v[8:9], v[196:197], v[28:29], v[8:9] op_sel_hi:[1,1,0] neg_lo:[0,0,1] neg_hi:[0,0,1]
	v_dual_mov_b32 v1, v21 :: v_dual_mov_b32 v9, v3
	v_pk_add_f32 v[162:163], v[162:163], v[4:5] neg_lo:[0,1] neg_hi:[0,1]
	v_pk_add_f32 v[166:167], v[166:167], v[6:7] neg_lo:[0,1] neg_hi:[0,1]
	;; [unrolled: 1-line block ×3, first 2 shown]
	s_delay_alu instid0(VALU_DEP_4)
	v_pk_add_f32 v[172:173], v[172:173], v[0:1] neg_lo:[0,1] neg_hi:[0,1]
	v_pk_add_f32 v[176:177], v[176:177], v[8:9] neg_lo:[0,1] neg_hi:[0,1]
.LBB87_73:
	s_or_b32 exec_lo, exec_lo, s1
	s_delay_alu instid0(SALU_CYCLE_1)
	s_mov_b32 s2, exec_lo
	s_wait_dscnt 0x0
	s_barrier_signal -1
	s_barrier_wait -1
	v_cmpx_eq_u32_e32 8, v30
	s_cbranch_execz .LBB87_80
; %bb.74:
	ds_store_b64 v31, v[76:77]
	ds_store_2addr_b64 v12, v[72:73], v[74:75] offset0:9 offset1:10
	ds_store_2addr_b64 v12, v[70:71], v[102:103] offset0:11 offset1:12
	;; [unrolled: 1-line block ×17, first 2 shown]
	ds_store_b64 v12, v[176:177] offset:344
	ds_load_b64 v[0:1], v31
	s_wait_dscnt 0x0
	v_cmp_neq_f32_e32 vcc_lo, 0, v0
	v_cmp_neq_f32_e64 s1, 0, v1
	s_or_b32 s1, vcc_lo, s1
	s_delay_alu instid0(SALU_CYCLE_1)
	s_and_b32 exec_lo, exec_lo, s1
	s_cbranch_execz .LBB87_80
; %bb.75:
	v_cmp_ngt_f32_e64 s1, |v0|, |v1|
                                        ; implicit-def: $vgpr2_vgpr3
	s_and_saveexec_b32 s4, s1
	s_delay_alu instid0(SALU_CYCLE_1)
	s_xor_b32 s1, exec_lo, s4
	s_cbranch_execz .LBB87_77
; %bb.76:
	v_div_scale_f32 v2, null, v1, v1, v0
	v_div_scale_f32 v5, vcc_lo, v0, v1, v0
	s_delay_alu instid0(VALU_DEP_2) | instskip(SKIP_1) | instid1(TRANS32_DEP_1)
	v_rcp_f32_e32 v3, v2
	v_nop
	v_fma_f32 v4, -v2, v3, 1.0
	s_delay_alu instid0(VALU_DEP_1) | instskip(NEXT) | instid1(VALU_DEP_1)
	v_fmac_f32_e32 v3, v4, v3
	v_mul_f32_e32 v4, v5, v3
	s_delay_alu instid0(VALU_DEP_1) | instskip(NEXT) | instid1(VALU_DEP_1)
	v_fma_f32 v6, -v2, v4, v5
	v_fmac_f32_e32 v4, v6, v3
	s_delay_alu instid0(VALU_DEP_1) | instskip(NEXT) | instid1(VALU_DEP_1)
	v_fma_f32 v2, -v2, v4, v5
	v_div_fmas_f32 v2, v2, v3, v4
	s_delay_alu instid0(VALU_DEP_1) | instskip(NEXT) | instid1(VALU_DEP_1)
	v_div_fixup_f32 v2, v2, v1, v0
	v_fmac_f32_e32 v1, v0, v2
	s_delay_alu instid0(VALU_DEP_1) | instskip(SKIP_1) | instid1(VALU_DEP_2)
	v_div_scale_f32 v0, null, v1, v1, 1.0
	v_div_scale_f32 v5, vcc_lo, 1.0, v1, 1.0
	v_rcp_f32_e32 v3, v0
	v_nop
	s_delay_alu instid0(TRANS32_DEP_1) | instskip(NEXT) | instid1(VALU_DEP_1)
	v_fma_f32 v4, -v0, v3, 1.0
	v_fmac_f32_e32 v3, v4, v3
	s_delay_alu instid0(VALU_DEP_1) | instskip(NEXT) | instid1(VALU_DEP_1)
	v_mul_f32_e32 v4, v5, v3
	v_fma_f32 v6, -v0, v4, v5
	s_delay_alu instid0(VALU_DEP_1) | instskip(NEXT) | instid1(VALU_DEP_1)
	v_fmac_f32_e32 v4, v6, v3
	v_fma_f32 v0, -v0, v4, v5
	s_delay_alu instid0(VALU_DEP_1) | instskip(NEXT) | instid1(VALU_DEP_1)
	v_div_fmas_f32 v0, v0, v3, v4
	v_div_fixup_f32 v0, v0, v1, 1.0
	s_delay_alu instid0(VALU_DEP_1)
	v_mul_f32_e32 v2, v2, v0
	v_xor_b32_e32 v3, 0x80000000, v0
                                        ; implicit-def: $vgpr0_vgpr1
.LBB87_77:
	s_and_not1_saveexec_b32 s1, s1
	s_cbranch_execz .LBB87_79
; %bb.78:
	v_div_scale_f32 v2, null, v0, v0, v1
	v_div_scale_f32 v5, vcc_lo, v1, v0, v1
	s_delay_alu instid0(VALU_DEP_2) | instskip(SKIP_1) | instid1(TRANS32_DEP_1)
	v_rcp_f32_e32 v3, v2
	v_nop
	v_fma_f32 v4, -v2, v3, 1.0
	s_delay_alu instid0(VALU_DEP_1) | instskip(NEXT) | instid1(VALU_DEP_1)
	v_fmac_f32_e32 v3, v4, v3
	v_mul_f32_e32 v4, v5, v3
	s_delay_alu instid0(VALU_DEP_1) | instskip(NEXT) | instid1(VALU_DEP_1)
	v_fma_f32 v6, -v2, v4, v5
	v_fmac_f32_e32 v4, v6, v3
	s_delay_alu instid0(VALU_DEP_1) | instskip(NEXT) | instid1(VALU_DEP_1)
	v_fma_f32 v2, -v2, v4, v5
	v_div_fmas_f32 v2, v2, v3, v4
	s_delay_alu instid0(VALU_DEP_1) | instskip(NEXT) | instid1(VALU_DEP_1)
	v_div_fixup_f32 v3, v2, v0, v1
	v_fmac_f32_e32 v0, v1, v3
	s_delay_alu instid0(VALU_DEP_1) | instskip(NEXT) | instid1(VALU_DEP_1)
	v_div_scale_f32 v1, null, v0, v0, 1.0
	v_rcp_f32_e32 v2, v1
	v_nop
	s_delay_alu instid0(TRANS32_DEP_1) | instskip(NEXT) | instid1(VALU_DEP_1)
	v_fma_f32 v4, -v1, v2, 1.0
	v_fmac_f32_e32 v2, v4, v2
	v_div_scale_f32 v4, vcc_lo, 1.0, v0, 1.0
	s_delay_alu instid0(VALU_DEP_1) | instskip(NEXT) | instid1(VALU_DEP_1)
	v_mul_f32_e32 v5, v4, v2
	v_fma_f32 v6, -v1, v5, v4
	s_delay_alu instid0(VALU_DEP_1) | instskip(NEXT) | instid1(VALU_DEP_1)
	v_fmac_f32_e32 v5, v6, v2
	v_fma_f32 v1, -v1, v5, v4
	s_delay_alu instid0(VALU_DEP_1) | instskip(NEXT) | instid1(VALU_DEP_1)
	v_div_fmas_f32 v1, v1, v2, v5
	v_div_fixup_f32 v2, v1, v0, 1.0
	s_delay_alu instid0(VALU_DEP_1)
	v_mul_f32_e64 v3, v3, -v2
.LBB87_79:
	s_or_b32 exec_lo, exec_lo, s1
	ds_store_b64 v31, v[2:3]
.LBB87_80:
	s_or_b32 exec_lo, exec_lo, s2
	s_wait_dscnt 0x0
	s_barrier_signal -1
	s_barrier_wait -1
	ds_load_b64 v[194:195], v31
	s_mov_b32 s1, exec_lo
	v_cmpx_lt_u32_e32 8, v30
	s_cbranch_execz .LBB87_82
; %bb.81:
	ds_load_2addr_b64 v[4:7], v12 offset0:9 offset1:10
	ds_load_2addr_b64 v[196:199], v12 offset0:11 offset1:12
	;; [unrolled: 1-line block ×3, first 2 shown]
	s_wait_dscnt 0x3
	v_pk_mul_f32 v[2:3], v[194:195], v[76:77] op_sel:[1,1] op_sel_hi:[0,1]
	ds_load_2addr_b64 v[204:207], v12 offset0:15 offset1:16
	ds_load_2addr_b64 v[208:211], v12 offset0:17 offset1:18
	v_pk_fma_f32 v[0:1], v[194:195], v[76:77], v[2:3] op_sel_hi:[1,0,1] neg_lo:[0,0,1] neg_hi:[0,0,1]
	v_pk_fma_f32 v[2:3], v[194:195], v[76:77], v[2:3] op_sel_hi:[1,0,1]
	s_delay_alu instid0(VALU_DEP_1) | instskip(SKIP_1) | instid1(VALU_DEP_2)
	v_dual_mov_b32 v76, v0 :: v_dual_mov_b32 v77, v3
	s_wait_dscnt 0x4
	v_pk_mul_f32 v[8:9], v[4:5], v[2:3] op_sel:[0,1]
	v_pk_mul_f32 v[18:19], v[6:7], v[2:3] op_sel:[0,1]
	s_wait_dscnt 0x3
	v_pk_mul_f32 v[20:21], v[196:197], v[2:3] op_sel:[0,1]
	v_dual_mov_b32 v212, v199 :: v_dual_mov_b32 v213, v198
	v_dual_mul_f32 v214, v199, v3 :: v_dual_mul_f32 v216, v199, v0
	v_pk_fma_f32 v[222:223], v[4:5], v[0:1], v[8:9] op_sel:[0,0,1] op_sel_hi:[1,1,0] neg_lo:[0,0,1] neg_hi:[0,0,1]
	v_pk_fma_f32 v[4:5], v[4:5], v[0:1], v[8:9] op_sel:[0,0,1] op_sel_hi:[1,0,0]
	v_pk_fma_f32 v[8:9], v[6:7], v[0:1], v[18:19] op_sel:[0,0,1] op_sel_hi:[1,1,0] neg_lo:[0,0,1] neg_hi:[0,0,1]
	v_pk_fma_f32 v[6:7], v[6:7], v[0:1], v[18:19] op_sel:[0,0,1] op_sel_hi:[1,0,0]
	;; [unrolled: 2-line block ×3, first 2 shown]
	s_wait_dscnt 0x2
	v_pk_mul_f32 v[218:219], v[200:201], v[2:3] op_sel:[0,1]
	v_pk_mul_f32 v[220:221], v[202:203], v[2:3] op_sel:[0,1]
	v_pk_fma_f32 v[196:197], v[198:199], v[76:77], v[214:215] op_sel_hi:[1,1,0] neg_lo:[0,0,1] neg_hi:[0,0,1]
	v_pk_fma_f32 v[198:199], v[212:213], v[76:77], v[216:217] op_sel_hi:[1,1,0]
	v_dual_mov_b32 v223, v5 :: v_dual_mov_b32 v9, v7
	v_mov_b32_e32 v19, v21
	v_pk_fma_f32 v[4:5], v[200:201], v[0:1], v[218:219] op_sel:[0,0,1] op_sel_hi:[1,0,0]
	v_pk_fma_f32 v[212:213], v[200:201], v[0:1], v[218:219] op_sel:[0,0,1] op_sel_hi:[1,1,0] neg_lo:[0,0,1] neg_hi:[0,0,1]
	v_mov_b32_e32 v197, v199
	v_pk_add_f32 v[74:75], v[74:75], v[8:9] neg_lo:[0,1] neg_hi:[0,1]
	v_pk_add_f32 v[70:71], v[70:71], v[18:19] neg_lo:[0,1] neg_hi:[0,1]
	v_pk_fma_f32 v[8:9], v[202:203], v[0:1], v[220:221] op_sel:[0,0,1] op_sel_hi:[1,0,0]
	s_wait_dscnt 0x1
	v_pk_mul_f32 v[18:19], v[204:205], v[2:3] op_sel:[0,1]
	v_mov_b32_e32 v213, v5
	ds_load_2addr_b64 v[4:7], v12 offset0:19 offset1:20
	v_pk_fma_f32 v[20:21], v[202:203], v[0:1], v[220:221] op_sel:[0,0,1] op_sel_hi:[1,1,0] neg_lo:[0,0,1] neg_hi:[0,0,1]
	v_mov_b32_e32 v21, v9
	v_pk_add_f32 v[102:103], v[102:103], v[196:197] neg_lo:[0,1] neg_hi:[0,1]
	v_pk_mul_f32 v[8:9], v[206:207], v[2:3] op_sel:[0,1]
	v_pk_fma_f32 v[196:197], v[204:205], v[0:1], v[18:19] op_sel:[0,0,1] op_sel_hi:[1,0,0]
	v_pk_fma_f32 v[18:19], v[204:205], v[0:1], v[18:19] op_sel:[0,0,1] op_sel_hi:[1,1,0] neg_lo:[0,0,1] neg_hi:[0,0,1]
	v_pk_add_f32 v[100:101], v[100:101], v[20:21] neg_lo:[0,1] neg_hi:[0,1]
	s_wait_dscnt 0x1
	v_pk_mul_f32 v[204:205], v[210:211], v[2:3] op_sel:[0,1]
	v_pk_fma_f32 v[20:21], v[206:207], v[0:1], v[8:9] op_sel:[0,0,1] op_sel_hi:[1,0,0]
	v_mov_b32_e32 v19, v197
	v_mul_f32_e32 v20, v209, v0
	ds_load_2addr_b64 v[196:199], v12 offset0:21 offset1:22
	v_pk_fma_f32 v[8:9], v[206:207], v[0:1], v[8:9] op_sel:[0,0,1] op_sel_hi:[1,1,0] neg_lo:[0,0,1] neg_hi:[0,0,1]
	v_mov_b32_e32 v9, v21
	v_pk_add_f32 v[98:99], v[98:99], v[18:19] neg_lo:[0,1] neg_hi:[0,1]
	v_mul_f32_e32 v18, v209, v3
	v_pk_fma_f32 v[20:21], v[208:209], v[76:77], v[20:21] op_sel:[1,0,0] op_sel_hi:[0,1,0]
	ds_load_2addr_b64 v[200:203], v12 offset0:23 offset1:24
	v_pk_add_f32 v[120:121], v[120:121], v[8:9] neg_lo:[0,1] neg_hi:[0,1]
	s_wait_dscnt 0x2
	v_pk_mul_f32 v[8:9], v[4:5], v[2:3] op_sel:[0,1]
	v_pk_fma_f32 v[18:19], v[208:209], v[76:77], v[18:19] op_sel_hi:[1,1,0] neg_lo:[0,0,1] neg_hi:[0,0,1]
	v_mov_b32_e32 v19, v21
	v_pk_fma_f32 v[20:21], v[210:211], v[0:1], v[204:205] op_sel:[0,0,1] op_sel_hi:[1,0,0]
	v_pk_mul_f32 v[206:207], v[6:7], v[2:3] op_sel:[0,1]
	v_pk_fma_f32 v[204:205], v[210:211], v[0:1], v[204:205] op_sel:[0,0,1] op_sel_hi:[1,1,0] neg_lo:[0,0,1] neg_hi:[0,0,1]
	v_pk_fma_f32 v[208:209], v[4:5], v[0:1], v[8:9] op_sel:[0,0,1] op_sel_hi:[1,0,0]
	v_pk_fma_f32 v[4:5], v[4:5], v[0:1], v[8:9] op_sel:[0,0,1] op_sel_hi:[1,1,0] neg_lo:[0,0,1] neg_hi:[0,0,1]
	v_mov_b32_e32 v205, v21
	v_pk_fma_f32 v[20:21], v[6:7], v[0:1], v[206:207] op_sel:[0,0,1] op_sel_hi:[1,0,0]
	v_pk_fma_f32 v[6:7], v[6:7], v[0:1], v[206:207] op_sel:[0,0,1] op_sel_hi:[1,1,0] neg_lo:[0,0,1] neg_hi:[0,0,1]
	v_mov_b32_e32 v5, v209
	s_wait_dscnt 0x1
	v_pk_mul_f32 v[8:9], v[196:197], v[2:3] op_sel:[0,1]
	v_pk_add_f32 v[56:57], v[56:57], v[18:19] neg_lo:[0,1] neg_hi:[0,1]
	v_mov_b32_e32 v7, v21
	v_pk_add_f32 v[58:59], v[58:59], v[204:205] neg_lo:[0,1] neg_hi:[0,1]
	v_pk_add_f32 v[54:55], v[54:55], v[4:5] neg_lo:[0,1] neg_hi:[0,1]
	v_pk_fma_f32 v[18:19], v[196:197], v[0:1], v[8:9] op_sel:[0,0,1] op_sel_hi:[1,0,0]
	v_pk_fma_f32 v[8:9], v[196:197], v[0:1], v[8:9] op_sel:[0,0,1] op_sel_hi:[1,1,0] neg_lo:[0,0,1] neg_hi:[0,0,1]
	v_pk_add_f32 v[86:87], v[86:87], v[6:7] neg_lo:[0,1] neg_hi:[0,1]
	ds_load_2addr_b64 v[4:7], v12 offset0:25 offset1:26
	s_wait_dscnt 0x1
	v_pk_mul_f32 v[196:197], v[200:201], v[2:3] op_sel:[0,1]
	v_dual_mov_b32 v9, v19 :: v_dual_mov_b32 v18, v199
	ds_load_2addr_b64 v[204:207], v12 offset0:27 offset1:28
	v_dual_mov_b32 v19, v198 :: v_dual_mul_f32 v20, v199, v0
	v_pk_mul_f32 v[210:211], v[202:203], v[2:3] op_sel:[0,1]
	v_pk_add_f32 v[82:83], v[82:83], v[8:9] neg_lo:[0,1] neg_hi:[0,1]
	v_pk_fma_f32 v[8:9], v[200:201], v[0:1], v[196:197] op_sel:[0,0,1] op_sel_hi:[1,0,0]
	v_mul_f32_e32 v208, v199, v3
	v_pk_fma_f32 v[18:19], v[18:19], v[76:77], v[20:21] op_sel_hi:[1,1,0]
	v_pk_add_f32 v[72:73], v[72:73], v[222:223] neg_lo:[0,1] neg_hi:[0,1]
	v_pk_add_f32 v[68:69], v[68:69], v[212:213] neg_lo:[0,1] neg_hi:[0,1]
	s_delay_alu instid0(VALU_DEP_4)
	v_pk_fma_f32 v[20:21], v[198:199], v[76:77], v[208:209] op_sel_hi:[1,1,0] neg_lo:[0,0,1] neg_hi:[0,0,1]
	v_pk_fma_f32 v[198:199], v[202:203], v[0:1], v[210:211] op_sel:[0,0,1] op_sel_hi:[1,0,0]
	v_mov_b32_e32 v21, v19
	v_pk_fma_f32 v[18:19], v[200:201], v[0:1], v[196:197] op_sel:[0,0,1] op_sel_hi:[1,1,0] neg_lo:[0,0,1] neg_hi:[0,0,1]
	v_mov_b32_e32 v19, v9
	v_pk_fma_f32 v[8:9], v[202:203], v[0:1], v[210:211] op_sel:[0,0,1] op_sel_hi:[1,1,0] neg_lo:[0,0,1] neg_hi:[0,0,1]
	v_mov_b32_e32 v9, v199
	ds_load_2addr_b64 v[196:199], v12 offset0:29 offset1:30
	s_wait_dscnt 0x2
	v_pk_mul_f32 v[200:201], v[4:5], v[2:3] op_sel:[0,1]
	v_pk_add_f32 v[84:85], v[84:85], v[20:21] neg_lo:[0,1] neg_hi:[0,1]
	v_pk_add_f32 v[80:81], v[80:81], v[18:19] neg_lo:[0,1] neg_hi:[0,1]
	;; [unrolled: 1-line block ×3, first 2 shown]
	v_pk_mul_f32 v[18:19], v[6:7], v[2:3] op_sel:[0,1]
	v_pk_fma_f32 v[8:9], v[4:5], v[0:1], v[200:201] op_sel:[0,0,1] op_sel_hi:[1,1,0] neg_lo:[0,0,1] neg_hi:[0,0,1]
	v_pk_fma_f32 v[4:5], v[4:5], v[0:1], v[200:201] op_sel:[0,0,1] op_sel_hi:[1,0,0]
	ds_load_2addr_b64 v[200:203], v12 offset0:31 offset1:32
	s_wait_dscnt 0x2
	v_dual_mul_f32 v20, v205, v0 :: v_dual_mul_f32 v4, v205, v3
	v_pk_fma_f32 v[208:209], v[6:7], v[0:1], v[18:19] op_sel:[0,0,1] op_sel_hi:[1,0,0]
	v_pk_fma_f32 v[6:7], v[6:7], v[0:1], v[18:19] op_sel:[0,0,1] op_sel_hi:[1,1,0] neg_lo:[0,0,1] neg_hi:[0,0,1]
	v_pk_mul_f32 v[18:19], v[206:207], v[2:3] op_sel:[0,1]
	s_delay_alu instid0(VALU_DEP_4) | instskip(NEXT) | instid1(VALU_DEP_4)
	v_pk_fma_f32 v[20:21], v[204:205], v[76:77], v[20:21] op_sel:[1,0,0] op_sel_hi:[0,1,0]
	v_dual_mov_b32 v9, v5 :: v_dual_mov_b32 v7, v209
	v_pk_fma_f32 v[4:5], v[204:205], v[76:77], v[4:5] op_sel_hi:[1,1,0] neg_lo:[0,0,1] neg_hi:[0,0,1]
	s_delay_alu instid0(VALU_DEP_3) | instskip(SKIP_1) | instid1(VALU_DEP_4)
	v_mov_b32_e32 v5, v21
	v_pk_fma_f32 v[20:21], v[206:207], v[0:1], v[18:19] op_sel:[0,0,1] op_sel_hi:[1,0,0]
	v_pk_add_f32 v[106:107], v[106:107], v[8:9] neg_lo:[0,1] neg_hi:[0,1]
	s_wait_dscnt 0x1
	v_pk_mul_f32 v[8:9], v[196:197], v[2:3] op_sel:[0,1]
	v_pk_fma_f32 v[18:19], v[206:207], v[0:1], v[18:19] op_sel:[0,0,1] op_sel_hi:[1,1,0] neg_lo:[0,0,1] neg_hi:[0,0,1]
	v_pk_add_f32 v[108:109], v[108:109], v[6:7] neg_lo:[0,1] neg_hi:[0,1]
	v_mov_b32_e32 v19, v21
	v_pk_add_f32 v[104:105], v[104:105], v[4:5] neg_lo:[0,1] neg_hi:[0,1]
	ds_load_2addr_b64 v[4:7], v12 offset0:33 offset1:34
	v_pk_fma_f32 v[204:205], v[196:197], v[0:1], v[8:9] op_sel:[0,0,1] op_sel_hi:[1,0,0]
	s_wait_dscnt 0x1
	v_pk_mul_f32 v[20:21], v[200:201], v[2:3] op_sel:[0,1]
	v_pk_mul_f32 v[208:209], v[198:199], v[2:3] op_sel:[0,1]
	v_pk_fma_f32 v[8:9], v[196:197], v[0:1], v[8:9] op_sel:[0,0,1] op_sel_hi:[1,1,0] neg_lo:[0,0,1] neg_hi:[0,0,1]
	v_pk_add_f32 v[128:129], v[128:129], v[18:19] neg_lo:[0,1] neg_hi:[0,1]
	s_delay_alu instid0(VALU_DEP_4)
	v_pk_fma_f32 v[18:19], v[200:201], v[0:1], v[20:21] op_sel:[0,0,1] op_sel_hi:[1,0,0]
	v_mov_b32_e32 v9, v205
	v_pk_fma_f32 v[196:197], v[198:199], v[0:1], v[208:209] op_sel:[0,0,1] op_sel_hi:[1,0,0]
	ds_load_2addr_b64 v[204:207], v12 offset0:35 offset1:36
	v_pk_fma_f32 v[20:21], v[200:201], v[0:1], v[20:21] op_sel:[0,0,1] op_sel_hi:[1,1,0] neg_lo:[0,0,1] neg_hi:[0,0,1]
	v_mov_b32_e32 v21, v19
	v_pk_add_f32 v[124:125], v[124:125], v[8:9] neg_lo:[0,1] neg_hi:[0,1]
	v_pk_fma_f32 v[8:9], v[198:199], v[0:1], v[208:209] op_sel:[0,0,1] op_sel_hi:[1,1,0] neg_lo:[0,0,1] neg_hi:[0,0,1]
	v_dual_mov_b32 v9, v197 :: v_dual_mov_b32 v18, v203
	v_dual_mov_b32 v19, v202 :: v_dual_mul_f32 v196, v203, v3
	v_mul_f32_e32 v198, v203, v0
	s_delay_alu instid0(VALU_DEP_3)
	v_pk_add_f32 v[126:127], v[126:127], v[8:9] neg_lo:[0,1] neg_hi:[0,1]
	s_wait_dscnt 0x1
	v_pk_mul_f32 v[8:9], v[4:5], v[2:3] op_sel:[0,1]
	v_pk_add_f32 v[122:123], v[122:123], v[20:21] neg_lo:[0,1] neg_hi:[0,1]
	v_pk_fma_f32 v[20:21], v[202:203], v[76:77], v[196:197] op_sel_hi:[1,1,0] neg_lo:[0,0,1] neg_hi:[0,0,1]
	v_pk_mul_f32 v[200:201], v[6:7], v[2:3] op_sel:[0,1]
	s_delay_alu instid0(VALU_DEP_4) | instskip(SKIP_1) | instid1(VALU_DEP_2)
	v_pk_fma_f32 v[202:203], v[4:5], v[0:1], v[8:9] op_sel:[0,0,1] op_sel_hi:[1,0,0]
	v_pk_fma_f32 v[8:9], v[4:5], v[0:1], v[8:9] op_sel:[0,0,1] op_sel_hi:[1,1,0] neg_lo:[0,0,1] neg_hi:[0,0,1]
	v_mov_b32_e32 v9, v203
	v_pk_fma_f32 v[18:19], v[18:19], v[76:77], v[198:199] op_sel_hi:[1,1,0]
	ds_load_2addr_b64 v[196:199], v12 offset0:37 offset1:38
	s_wait_dscnt 0x1
	v_pk_mul_f32 v[208:209], v[204:205], v[2:3] op_sel:[0,1]
	v_pk_add_f32 v[144:145], v[144:145], v[8:9] neg_lo:[0,1] neg_hi:[0,1]
	v_mov_b32_e32 v21, v19
	v_pk_fma_f32 v[18:19], v[6:7], v[0:1], v[200:201] op_sel:[0,0,1] op_sel_hi:[1,0,0]
	v_pk_fma_f32 v[200:201], v[6:7], v[0:1], v[200:201] op_sel:[0,0,1] op_sel_hi:[1,1,0] neg_lo:[0,0,1] neg_hi:[0,0,1]
	ds_load_2addr_b64 v[4:7], v12 offset0:39 offset1:40
	v_pk_fma_f32 v[202:203], v[204:205], v[0:1], v[208:209] op_sel:[0,0,1] op_sel_hi:[1,0,0]
	v_mov_b32_e32 v201, v19
	v_pk_fma_f32 v[18:19], v[204:205], v[0:1], v[208:209] op_sel:[0,0,1] op_sel_hi:[1,1,0] neg_lo:[0,0,1] neg_hi:[0,0,1]
	ds_load_b64 v[208:209], v12 offset:344
	v_mov_b32_e32 v19, v203
	v_pk_mul_f32 v[202:203], v[206:207], v[2:3] op_sel:[0,1]
	v_pk_add_f32 v[146:147], v[146:147], v[200:201] neg_lo:[0,1] neg_hi:[0,1]
	v_pk_add_f32 v[148:149], v[148:149], v[20:21] neg_lo:[0,1] neg_hi:[0,1]
	s_delay_alu instid0(VALU_DEP_4) | instskip(NEXT) | instid1(VALU_DEP_4)
	v_pk_add_f32 v[142:143], v[142:143], v[18:19] neg_lo:[0,1] neg_hi:[0,1]
	v_pk_fma_f32 v[8:9], v[206:207], v[0:1], v[202:203] op_sel:[0,0,1] op_sel_hi:[1,1,0] neg_lo:[0,0,1] neg_hi:[0,0,1]
	v_pk_fma_f32 v[18:19], v[206:207], v[0:1], v[202:203] op_sel:[0,0,1] op_sel_hi:[1,0,0]
	ds_load_2addr_b64 v[200:203], v12 offset0:41 offset1:42
	s_wait_dscnt 0x3
	v_dual_mul_f32 v18, v197, v0 :: v_dual_mul_f32 v204, v197, v3
	v_pk_mul_f32 v[20:21], v[198:199], v[2:3] op_sel:[0,1]
	v_mov_b32_e32 v9, v19
	s_delay_alu instid0(VALU_DEP_3) | instskip(NEXT) | instid1(VALU_DEP_4)
	v_pk_fma_f32 v[18:19], v[196:197], v[76:77], v[18:19] op_sel:[1,0,0] op_sel_hi:[0,1,0]
	v_pk_fma_f32 v[196:197], v[196:197], v[76:77], v[204:205] op_sel_hi:[1,1,0] neg_lo:[0,0,1] neg_hi:[0,0,1]
	s_wait_dscnt 0x2
	v_pk_mul_f32 v[204:205], v[4:5], v[2:3] op_sel:[0,1]
	v_pk_fma_f32 v[206:207], v[198:199], v[0:1], v[20:21] op_sel:[0,0,1] op_sel_hi:[1,0,0]
	v_pk_add_f32 v[170:171], v[170:171], v[8:9] neg_lo:[0,1] neg_hi:[0,1]
	v_mov_b32_e32 v197, v19
	v_pk_fma_f32 v[18:19], v[198:199], v[0:1], v[20:21] op_sel:[0,0,1] op_sel_hi:[1,1,0] neg_lo:[0,0,1] neg_hi:[0,0,1]
	v_pk_fma_f32 v[8:9], v[4:5], v[0:1], v[204:205] op_sel:[0,0,1] op_sel_hi:[1,0,0]
	v_pk_mul_f32 v[20:21], v[6:7], v[2:3] op_sel:[0,1]
	v_mov_b32_e32 v19, v207
	v_pk_fma_f32 v[4:5], v[4:5], v[0:1], v[204:205] op_sel:[0,0,1] op_sel_hi:[1,1,0] neg_lo:[0,0,1] neg_hi:[0,0,1]
	v_pk_add_f32 v[164:165], v[164:165], v[196:197] neg_lo:[0,1] neg_hi:[0,1]
	v_mov_b32_e32 v5, v9
	v_pk_fma_f32 v[8:9], v[6:7], v[0:1], v[20:21] op_sel:[0,0,1] op_sel_hi:[1,1,0] neg_lo:[0,0,1] neg_hi:[0,0,1]
	v_pk_fma_f32 v[6:7], v[6:7], v[0:1], v[20:21] op_sel:[0,0,1] op_sel_hi:[1,0,0]
	v_pk_add_f32 v[168:169], v[168:169], v[18:19] neg_lo:[0,1] neg_hi:[0,1]
	s_wait_dscnt 0x0
	v_pk_mul_f32 v[18:19], v[200:201], v[2:3] op_sel:[0,1]
	v_dual_mov_b32 v20, v203 :: v_dual_mov_b32 v21, v202
	v_mul_f32_e32 v6, v203, v0
	v_pk_mul_f32 v[196:197], v[208:209], v[2:3] op_sel:[0,1]
	s_delay_alu instid0(VALU_DEP_4)
	v_pk_fma_f32 v[198:199], v[200:201], v[0:1], v[18:19] op_sel:[0,0,1] op_sel_hi:[1,0,0]
	v_mov_b32_e32 v9, v7
	v_pk_fma_f32 v[18:19], v[200:201], v[0:1], v[18:19] op_sel:[0,0,1] op_sel_hi:[1,1,0] neg_lo:[0,0,1] neg_hi:[0,0,1]
	v_pk_fma_f32 v[6:7], v[20:21], v[76:77], v[6:7] op_sel_hi:[1,1,0]
	v_pk_fma_f32 v[20:21], v[208:209], v[0:1], v[196:197] op_sel:[0,0,1] op_sel_hi:[1,0,0]
	v_mul_f32_e32 v2, v203, v3
	v_pk_fma_f32 v[0:1], v[208:209], v[0:1], v[196:197] op_sel:[0,0,1] op_sel_hi:[1,1,0] neg_lo:[0,0,1] neg_hi:[0,0,1]
	v_mov_b32_e32 v19, v199
	v_pk_add_f32 v[162:163], v[162:163], v[4:5] neg_lo:[0,1] neg_hi:[0,1]
	v_mov_b32_e32 v1, v21
	v_pk_fma_f32 v[2:3], v[202:203], v[76:77], v[2:3] op_sel_hi:[1,1,0] neg_lo:[0,0,1] neg_hi:[0,0,1]
	v_mov_b32_e32 v3, v7
	v_pk_add_f32 v[166:167], v[166:167], v[8:9] neg_lo:[0,1] neg_hi:[0,1]
	v_pk_add_f32 v[160:161], v[160:161], v[18:19] neg_lo:[0,1] neg_hi:[0,1]
	;; [unrolled: 1-line block ×3, first 2 shown]
	s_delay_alu instid0(VALU_DEP_4)
	v_pk_add_f32 v[172:173], v[172:173], v[2:3] neg_lo:[0,1] neg_hi:[0,1]
.LBB87_82:
	s_or_b32 exec_lo, exec_lo, s1
	s_delay_alu instid0(SALU_CYCLE_1)
	s_mov_b32 s2, exec_lo
	s_wait_dscnt 0x0
	s_barrier_signal -1
	s_barrier_wait -1
	v_cmpx_eq_u32_e32 9, v30
	s_cbranch_execz .LBB87_89
; %bb.83:
	v_dual_mov_b32 v0, v74 :: v_dual_mov_b32 v1, v75
	v_dual_mov_b32 v2, v70 :: v_dual_mov_b32 v3, v71
	v_dual_mov_b32 v4, v102 :: v_dual_mov_b32 v5, v103
	v_dual_mov_b32 v6, v68 :: v_dual_mov_b32 v7, v69
	v_dual_mov_b32 v8, v100 :: v_dual_mov_b32 v9, v101
	v_dual_mov_b32 v18, v98 :: v_dual_mov_b32 v19, v99
	v_dual_mov_b32 v20, v120 :: v_dual_mov_b32 v21, v121
	v_dual_mov_b32 v196, v56 :: v_dual_mov_b32 v197, v57
	v_dual_mov_b32 v198, v58 :: v_dual_mov_b32 v199, v59
	v_dual_mov_b32 v200, v54 :: v_dual_mov_b32 v201, v55
	ds_store_b64 v31, v[72:73]
	v_dual_mov_b32 v202, v86 :: v_dual_mov_b32 v203, v87
	v_dual_mov_b32 v204, v82 :: v_dual_mov_b32 v205, v83
	ds_store_2addr_b64 v12, v[0:1], v[2:3] offset0:10 offset1:11
	ds_store_2addr_b64 v12, v[4:5], v[6:7] offset0:12 offset1:13
	;; [unrolled: 1-line block ×6, first 2 shown]
	v_dual_mov_b32 v0, v84 :: v_dual_mov_b32 v1, v85
	v_dual_mov_b32 v2, v80 :: v_dual_mov_b32 v3, v81
	v_dual_mov_b32 v4, v110 :: v_dual_mov_b32 v5, v111
	v_dual_mov_b32 v6, v106 :: v_dual_mov_b32 v7, v107
	v_dual_mov_b32 v8, v108 :: v_dual_mov_b32 v9, v109
	v_dual_mov_b32 v18, v104 :: v_dual_mov_b32 v19, v105
	v_dual_mov_b32 v20, v128 :: v_dual_mov_b32 v21, v129
	v_dual_mov_b32 v196, v124 :: v_dual_mov_b32 v197, v125
	v_dual_mov_b32 v198, v126 :: v_dual_mov_b32 v199, v127
	v_dual_mov_b32 v200, v122 :: v_dual_mov_b32 v201, v123
	v_dual_mov_b32 v202, v148 :: v_dual_mov_b32 v203, v149
	v_dual_mov_b32 v204, v144 :: v_dual_mov_b32 v205, v145
	ds_store_2addr_b64 v12, v[0:1], v[2:3] offset0:22 offset1:23
	ds_store_2addr_b64 v12, v[4:5], v[6:7] offset0:24 offset1:25
	;; [unrolled: 1-line block ×6, first 2 shown]
	v_dual_mov_b32 v0, v146 :: v_dual_mov_b32 v1, v147
	v_dual_mov_b32 v2, v142 :: v_dual_mov_b32 v3, v143
	;; [unrolled: 1-line block ×9, first 2 shown]
	ds_store_2addr_b64 v12, v[0:1], v[2:3] offset0:34 offset1:35
	ds_store_2addr_b64 v12, v[4:5], v[6:7] offset0:36 offset1:37
	;; [unrolled: 1-line block ×5, first 2 shown]
	ds_load_b64 v[0:1], v31
	s_wait_dscnt 0x0
	v_cmp_neq_f32_e32 vcc_lo, 0, v0
	v_cmp_neq_f32_e64 s1, 0, v1
	s_or_b32 s1, vcc_lo, s1
	s_delay_alu instid0(SALU_CYCLE_1)
	s_and_b32 exec_lo, exec_lo, s1
	s_cbranch_execz .LBB87_89
; %bb.84:
	v_cmp_ngt_f32_e64 s1, |v0|, |v1|
                                        ; implicit-def: $vgpr2_vgpr3
	s_and_saveexec_b32 s4, s1
	s_delay_alu instid0(SALU_CYCLE_1)
	s_xor_b32 s1, exec_lo, s4
	s_cbranch_execz .LBB87_86
; %bb.85:
	v_div_scale_f32 v2, null, v1, v1, v0
	v_div_scale_f32 v5, vcc_lo, v0, v1, v0
	s_delay_alu instid0(VALU_DEP_2) | instskip(SKIP_1) | instid1(TRANS32_DEP_1)
	v_rcp_f32_e32 v3, v2
	v_nop
	v_fma_f32 v4, -v2, v3, 1.0
	s_delay_alu instid0(VALU_DEP_1) | instskip(NEXT) | instid1(VALU_DEP_1)
	v_fmac_f32_e32 v3, v4, v3
	v_mul_f32_e32 v4, v5, v3
	s_delay_alu instid0(VALU_DEP_1) | instskip(NEXT) | instid1(VALU_DEP_1)
	v_fma_f32 v6, -v2, v4, v5
	v_fmac_f32_e32 v4, v6, v3
	s_delay_alu instid0(VALU_DEP_1) | instskip(NEXT) | instid1(VALU_DEP_1)
	v_fma_f32 v2, -v2, v4, v5
	v_div_fmas_f32 v2, v2, v3, v4
	s_delay_alu instid0(VALU_DEP_1) | instskip(NEXT) | instid1(VALU_DEP_1)
	v_div_fixup_f32 v2, v2, v1, v0
	v_fmac_f32_e32 v1, v0, v2
	s_delay_alu instid0(VALU_DEP_1) | instskip(SKIP_1) | instid1(VALU_DEP_2)
	v_div_scale_f32 v0, null, v1, v1, 1.0
	v_div_scale_f32 v5, vcc_lo, 1.0, v1, 1.0
	v_rcp_f32_e32 v3, v0
	v_nop
	s_delay_alu instid0(TRANS32_DEP_1) | instskip(NEXT) | instid1(VALU_DEP_1)
	v_fma_f32 v4, -v0, v3, 1.0
	v_fmac_f32_e32 v3, v4, v3
	s_delay_alu instid0(VALU_DEP_1) | instskip(NEXT) | instid1(VALU_DEP_1)
	v_mul_f32_e32 v4, v5, v3
	v_fma_f32 v6, -v0, v4, v5
	s_delay_alu instid0(VALU_DEP_1) | instskip(NEXT) | instid1(VALU_DEP_1)
	v_fmac_f32_e32 v4, v6, v3
	v_fma_f32 v0, -v0, v4, v5
	s_delay_alu instid0(VALU_DEP_1) | instskip(NEXT) | instid1(VALU_DEP_1)
	v_div_fmas_f32 v0, v0, v3, v4
	v_div_fixup_f32 v0, v0, v1, 1.0
	s_delay_alu instid0(VALU_DEP_1)
	v_mul_f32_e32 v2, v2, v0
	v_xor_b32_e32 v3, 0x80000000, v0
                                        ; implicit-def: $vgpr0_vgpr1
.LBB87_86:
	s_and_not1_saveexec_b32 s1, s1
	s_cbranch_execz .LBB87_88
; %bb.87:
	v_div_scale_f32 v2, null, v0, v0, v1
	v_div_scale_f32 v5, vcc_lo, v1, v0, v1
	s_delay_alu instid0(VALU_DEP_2) | instskip(SKIP_1) | instid1(TRANS32_DEP_1)
	v_rcp_f32_e32 v3, v2
	v_nop
	v_fma_f32 v4, -v2, v3, 1.0
	s_delay_alu instid0(VALU_DEP_1) | instskip(NEXT) | instid1(VALU_DEP_1)
	v_fmac_f32_e32 v3, v4, v3
	v_mul_f32_e32 v4, v5, v3
	s_delay_alu instid0(VALU_DEP_1) | instskip(NEXT) | instid1(VALU_DEP_1)
	v_fma_f32 v6, -v2, v4, v5
	v_fmac_f32_e32 v4, v6, v3
	s_delay_alu instid0(VALU_DEP_1) | instskip(NEXT) | instid1(VALU_DEP_1)
	v_fma_f32 v2, -v2, v4, v5
	v_div_fmas_f32 v2, v2, v3, v4
	s_delay_alu instid0(VALU_DEP_1) | instskip(NEXT) | instid1(VALU_DEP_1)
	v_div_fixup_f32 v3, v2, v0, v1
	v_fmac_f32_e32 v0, v1, v3
	s_delay_alu instid0(VALU_DEP_1) | instskip(NEXT) | instid1(VALU_DEP_1)
	v_div_scale_f32 v1, null, v0, v0, 1.0
	v_rcp_f32_e32 v2, v1
	v_nop
	s_delay_alu instid0(TRANS32_DEP_1) | instskip(NEXT) | instid1(VALU_DEP_1)
	v_fma_f32 v4, -v1, v2, 1.0
	v_fmac_f32_e32 v2, v4, v2
	v_div_scale_f32 v4, vcc_lo, 1.0, v0, 1.0
	s_delay_alu instid0(VALU_DEP_1) | instskip(NEXT) | instid1(VALU_DEP_1)
	v_mul_f32_e32 v5, v4, v2
	v_fma_f32 v6, -v1, v5, v4
	s_delay_alu instid0(VALU_DEP_1) | instskip(NEXT) | instid1(VALU_DEP_1)
	v_fmac_f32_e32 v5, v6, v2
	v_fma_f32 v1, -v1, v5, v4
	s_delay_alu instid0(VALU_DEP_1) | instskip(NEXT) | instid1(VALU_DEP_1)
	v_div_fmas_f32 v1, v1, v2, v5
	v_div_fixup_f32 v2, v1, v0, 1.0
	s_delay_alu instid0(VALU_DEP_1)
	v_mul_f32_e64 v3, v3, -v2
.LBB87_88:
	s_or_b32 exec_lo, exec_lo, s1
	ds_store_b64 v31, v[2:3]
.LBB87_89:
	s_or_b32 exec_lo, exec_lo, s2
	s_wait_dscnt 0x0
	s_barrier_signal -1
	s_barrier_wait -1
	ds_load_b64 v[196:197], v31
	s_mov_b32 s1, exec_lo
	v_cmpx_lt_u32_e32 9, v30
	s_cbranch_execz .LBB87_91
; %bb.90:
	ds_load_2addr_b64 v[4:7], v12 offset0:10 offset1:11
	ds_load_2addr_b64 v[198:201], v12 offset0:12 offset1:13
	;; [unrolled: 1-line block ×3, first 2 shown]
	s_wait_dscnt 0x3
	v_pk_mul_f32 v[2:3], v[196:197], v[72:73] op_sel:[1,1] op_sel_hi:[0,1]
	ds_load_2addr_b64 v[206:209], v12 offset0:16 offset1:17
	ds_load_2addr_b64 v[210:213], v12 offset0:18 offset1:19
	v_pk_fma_f32 v[0:1], v[196:197], v[72:73], v[2:3] op_sel_hi:[1,0,1] neg_lo:[0,0,1] neg_hi:[0,0,1]
	v_pk_fma_f32 v[2:3], v[196:197], v[72:73], v[2:3] op_sel_hi:[1,0,1]
	s_delay_alu instid0(VALU_DEP_1) | instskip(SKIP_1) | instid1(VALU_DEP_2)
	v_dual_mov_b32 v72, v0 :: v_dual_mov_b32 v73, v3
	s_wait_dscnt 0x4
	v_pk_mul_f32 v[8:9], v[4:5], v[2:3] op_sel:[0,1]
	v_pk_mul_f32 v[18:19], v[6:7], v[2:3] op_sel:[0,1]
	s_wait_dscnt 0x3
	v_pk_mul_f32 v[20:21], v[198:199], v[2:3] op_sel:[0,1]
	v_dual_mov_b32 v214, v201 :: v_dual_mov_b32 v215, v200
	v_dual_mul_f32 v216, v201, v3 :: v_dual_mul_f32 v218, v201, v0
	v_pk_fma_f32 v[224:225], v[4:5], v[0:1], v[8:9] op_sel:[0,0,1] op_sel_hi:[1,1,0] neg_lo:[0,0,1] neg_hi:[0,0,1]
	v_pk_fma_f32 v[4:5], v[4:5], v[0:1], v[8:9] op_sel:[0,0,1] op_sel_hi:[1,0,0]
	v_pk_fma_f32 v[8:9], v[6:7], v[0:1], v[18:19] op_sel:[0,0,1] op_sel_hi:[1,1,0] neg_lo:[0,0,1] neg_hi:[0,0,1]
	v_pk_fma_f32 v[6:7], v[6:7], v[0:1], v[18:19] op_sel:[0,0,1] op_sel_hi:[1,0,0]
	;; [unrolled: 2-line block ×3, first 2 shown]
	s_wait_dscnt 0x2
	v_pk_mul_f32 v[220:221], v[202:203], v[2:3] op_sel:[0,1]
	v_pk_mul_f32 v[222:223], v[204:205], v[2:3] op_sel:[0,1]
	v_pk_fma_f32 v[198:199], v[200:201], v[72:73], v[216:217] op_sel_hi:[1,1,0] neg_lo:[0,0,1] neg_hi:[0,0,1]
	v_pk_fma_f32 v[200:201], v[214:215], v[72:73], v[218:219] op_sel_hi:[1,1,0]
	v_dual_mov_b32 v225, v5 :: v_dual_mov_b32 v9, v7
	v_mov_b32_e32 v19, v21
	v_pk_fma_f32 v[4:5], v[202:203], v[0:1], v[220:221] op_sel:[0,0,1] op_sel_hi:[1,0,0]
	v_pk_fma_f32 v[214:215], v[202:203], v[0:1], v[220:221] op_sel:[0,0,1] op_sel_hi:[1,1,0] neg_lo:[0,0,1] neg_hi:[0,0,1]
	v_mov_b32_e32 v199, v201
	v_pk_add_f32 v[70:71], v[70:71], v[8:9] neg_lo:[0,1] neg_hi:[0,1]
	v_pk_add_f32 v[102:103], v[102:103], v[18:19] neg_lo:[0,1] neg_hi:[0,1]
	v_pk_fma_f32 v[8:9], v[204:205], v[0:1], v[222:223] op_sel:[0,0,1] op_sel_hi:[1,0,0]
	s_wait_dscnt 0x1
	v_pk_mul_f32 v[18:19], v[206:207], v[2:3] op_sel:[0,1]
	v_mov_b32_e32 v215, v5
	ds_load_2addr_b64 v[4:7], v12 offset0:20 offset1:21
	v_pk_fma_f32 v[20:21], v[204:205], v[0:1], v[222:223] op_sel:[0,0,1] op_sel_hi:[1,1,0] neg_lo:[0,0,1] neg_hi:[0,0,1]
	v_mov_b32_e32 v21, v9
	v_pk_add_f32 v[68:69], v[68:69], v[198:199] neg_lo:[0,1] neg_hi:[0,1]
	v_pk_mul_f32 v[8:9], v[208:209], v[2:3] op_sel:[0,1]
	v_pk_fma_f32 v[198:199], v[206:207], v[0:1], v[18:19] op_sel:[0,0,1] op_sel_hi:[1,0,0]
	v_pk_fma_f32 v[18:19], v[206:207], v[0:1], v[18:19] op_sel:[0,0,1] op_sel_hi:[1,1,0] neg_lo:[0,0,1] neg_hi:[0,0,1]
	v_pk_add_f32 v[98:99], v[98:99], v[20:21] neg_lo:[0,1] neg_hi:[0,1]
	s_wait_dscnt 0x1
	v_mul_f32_e32 v202, v211, v3
	v_pk_fma_f32 v[20:21], v[208:209], v[0:1], v[8:9] op_sel:[0,0,1] op_sel_hi:[1,0,0]
	v_mov_b32_e32 v19, v199
	v_pk_fma_f32 v[8:9], v[208:209], v[0:1], v[8:9] op_sel:[0,0,1] op_sel_hi:[1,1,0] neg_lo:[0,0,1] neg_hi:[0,0,1]
	ds_load_2addr_b64 v[198:201], v12 offset0:22 offset1:23
	v_dual_mul_f32 v20, v211, v0 :: v_dual_mov_b32 v9, v21
	v_pk_add_f32 v[120:121], v[120:121], v[18:19] neg_lo:[0,1] neg_hi:[0,1]
	v_pk_mul_f32 v[18:19], v[212:213], v[2:3] op_sel:[0,1]
	v_pk_fma_f32 v[206:207], v[210:211], v[72:73], v[202:203] op_sel_hi:[1,1,0] neg_lo:[0,0,1] neg_hi:[0,0,1]
	s_delay_alu instid0(VALU_DEP_4)
	v_pk_fma_f32 v[20:21], v[210:211], v[72:73], v[20:21] op_sel:[1,0,0] op_sel_hi:[0,1,0]
	v_pk_add_f32 v[56:57], v[56:57], v[8:9] neg_lo:[0,1] neg_hi:[0,1]
	s_wait_dscnt 0x1
	v_pk_mul_f32 v[8:9], v[4:5], v[2:3] op_sel:[0,1]
	v_pk_fma_f32 v[204:205], v[212:213], v[0:1], v[18:19] op_sel:[0,0,1] op_sel_hi:[1,0,0]
	v_pk_fma_f32 v[18:19], v[212:213], v[0:1], v[18:19] op_sel:[0,0,1] op_sel_hi:[1,1,0] neg_lo:[0,0,1] neg_hi:[0,0,1]
	v_mov_b32_e32 v207, v21
	v_pk_add_f32 v[74:75], v[74:75], v[224:225] neg_lo:[0,1] neg_hi:[0,1]
	v_pk_fma_f32 v[20:21], v[4:5], v[0:1], v[8:9] op_sel:[0,0,1] op_sel_hi:[1,0,0]
	v_mov_b32_e32 v19, v205
	ds_load_2addr_b64 v[202:205], v12 offset0:24 offset1:25
	v_pk_fma_f32 v[4:5], v[4:5], v[0:1], v[8:9] op_sel:[0,0,1] op_sel_hi:[1,1,0] neg_lo:[0,0,1] neg_hi:[0,0,1]
	v_pk_mul_f32 v[8:9], v[6:7], v[2:3] op_sel:[0,1]
	v_pk_add_f32 v[58:59], v[58:59], v[206:207] neg_lo:[0,1] neg_hi:[0,1]
	v_pk_add_f32 v[54:55], v[54:55], v[18:19] neg_lo:[0,1] neg_hi:[0,1]
	;; [unrolled: 1-line block ×3, first 2 shown]
	s_delay_alu instid0(VALU_DEP_4)
	v_pk_fma_f32 v[18:19], v[6:7], v[0:1], v[8:9] op_sel:[0,0,1] op_sel_hi:[1,0,0]
	v_mov_b32_e32 v5, v21
	s_wait_dscnt 0x1
	v_pk_mul_f32 v[20:21], v[198:199], v[2:3] op_sel:[0,1]
	v_pk_fma_f32 v[8:9], v[6:7], v[0:1], v[8:9] op_sel:[0,0,1] op_sel_hi:[1,1,0] neg_lo:[0,0,1] neg_hi:[0,0,1]
	v_mov_b32_e32 v9, v19
	v_pk_add_f32 v[86:87], v[86:87], v[4:5] neg_lo:[0,1] neg_hi:[0,1]
	ds_load_2addr_b64 v[4:7], v12 offset0:26 offset1:27
	v_pk_fma_f32 v[206:207], v[198:199], v[0:1], v[20:21] op_sel:[0,0,1] op_sel_hi:[1,0,0]
	v_pk_fma_f32 v[18:19], v[198:199], v[0:1], v[20:21] op_sel:[0,0,1] op_sel_hi:[1,1,0] neg_lo:[0,0,1] neg_hi:[0,0,1]
	v_dual_mov_b32 v20, v201 :: v_dual_mov_b32 v21, v200
	s_delay_alu instid0(VALU_DEP_3)
	v_dual_mul_f32 v198, v201, v0 :: v_dual_mov_b32 v19, v207
	v_pk_add_f32 v[82:83], v[82:83], v[8:9] neg_lo:[0,1] neg_hi:[0,1]
	s_wait_dscnt 0x1
	v_pk_mul_f32 v[8:9], v[202:203], v[2:3] op_sel:[0,1]
	ds_load_2addr_b64 v[206:209], v12 offset0:28 offset1:29
	v_pk_fma_f32 v[20:21], v[20:21], v[72:73], v[198:199] op_sel_hi:[1,1,0]
	v_pk_add_f32 v[84:85], v[84:85], v[18:19] neg_lo:[0,1] neg_hi:[0,1]
	v_pk_mul_f32 v[210:211], v[204:205], v[2:3] op_sel:[0,1]
	v_pk_fma_f32 v[198:199], v[202:203], v[0:1], v[8:9] op_sel:[0,0,1] op_sel_hi:[1,0,0]
	v_mul_f32_e32 v18, v201, v3
	v_pk_fma_f32 v[8:9], v[202:203], v[0:1], v[8:9] op_sel:[0,0,1] op_sel_hi:[1,1,0] neg_lo:[0,0,1] neg_hi:[0,0,1]
	s_delay_alu instid0(VALU_DEP_3) | instskip(NEXT) | instid1(VALU_DEP_3)
	v_mov_b32_e32 v9, v199
	v_pk_fma_f32 v[18:19], v[200:201], v[72:73], v[18:19] op_sel_hi:[1,1,0] neg_lo:[0,0,1] neg_hi:[0,0,1]
	v_mov_b32_e32 v19, v21
	v_pk_fma_f32 v[20:21], v[204:205], v[0:1], v[210:211] op_sel:[0,0,1] op_sel_hi:[1,0,0]
	s_wait_dscnt 0x1
	v_pk_mul_f32 v[202:203], v[4:5], v[2:3] op_sel:[0,1]
	ds_load_2addr_b64 v[198:201], v12 offset0:30 offset1:31
	v_pk_fma_f32 v[204:205], v[204:205], v[0:1], v[210:211] op_sel:[0,0,1] op_sel_hi:[1,1,0] neg_lo:[0,0,1] neg_hi:[0,0,1]
	v_pk_add_f32 v[110:111], v[110:111], v[8:9] neg_lo:[0,1] neg_hi:[0,1]
	v_mov_b32_e32 v205, v21
	v_pk_add_f32 v[80:81], v[80:81], v[18:19] neg_lo:[0,1] neg_hi:[0,1]
	v_pk_mul_f32 v[18:19], v[6:7], v[2:3] op_sel:[0,1]
	v_pk_fma_f32 v[20:21], v[4:5], v[0:1], v[202:203] op_sel:[0,0,1] op_sel_hi:[1,0,0]
	v_pk_fma_f32 v[4:5], v[4:5], v[0:1], v[202:203] op_sel:[0,0,1] op_sel_hi:[1,1,0] neg_lo:[0,0,1] neg_hi:[0,0,1]
	v_pk_add_f32 v[106:107], v[106:107], v[204:205] neg_lo:[0,1] neg_hi:[0,1]
	ds_load_2addr_b64 v[202:205], v12 offset0:32 offset1:33
	v_pk_fma_f32 v[8:9], v[6:7], v[0:1], v[18:19] op_sel:[0,0,1] op_sel_hi:[1,0,0]
	s_wait_dscnt 0x2
	v_dual_mov_b32 v5, v21 :: v_dual_mul_f32 v8, v207, v0
	v_pk_fma_f32 v[6:7], v[6:7], v[0:1], v[18:19] op_sel:[0,0,1] op_sel_hi:[1,1,0] neg_lo:[0,0,1] neg_hi:[0,0,1]
	v_pk_mul_f32 v[18:19], v[208:209], v[2:3] op_sel:[0,1]
	v_mov_b32_e32 v7, v9
	s_delay_alu instid0(VALU_DEP_4) | instskip(SKIP_2) | instid1(VALU_DEP_4)
	v_pk_add_f32 v[108:109], v[108:109], v[4:5] neg_lo:[0,1] neg_hi:[0,1]
	v_mul_f32_e32 v4, v207, v3
	v_pk_fma_f32 v[8:9], v[206:207], v[72:73], v[8:9] op_sel:[1,0,0] op_sel_hi:[0,1,0]
	v_pk_add_f32 v[104:105], v[104:105], v[6:7] neg_lo:[0,1] neg_hi:[0,1]
	s_wait_dscnt 0x1
	v_pk_mul_f32 v[20:21], v[198:199], v[2:3] op_sel:[0,1]
	v_pk_fma_f32 v[206:207], v[206:207], v[72:73], v[4:5] op_sel_hi:[1,1,0] neg_lo:[0,0,1] neg_hi:[0,0,1]
	v_mov_b32_e32 v207, v9
	v_pk_fma_f32 v[8:9], v[208:209], v[0:1], v[18:19] op_sel:[0,0,1] op_sel_hi:[1,0,0]
	v_pk_mul_f32 v[210:211], v[200:201], v[2:3] op_sel:[0,1]
	ds_load_2addr_b64 v[4:7], v12 offset0:34 offset1:35
	v_pk_fma_f32 v[18:19], v[208:209], v[0:1], v[18:19] op_sel:[0,0,1] op_sel_hi:[1,1,0] neg_lo:[0,0,1] neg_hi:[0,0,1]
	v_pk_fma_f32 v[212:213], v[198:199], v[0:1], v[20:21] op_sel:[0,0,1] op_sel_hi:[1,0,0]
	v_mov_b32_e32 v19, v9
	v_pk_fma_f32 v[8:9], v[200:201], v[0:1], v[210:211] op_sel:[0,0,1] op_sel_hi:[1,0,0]
	v_pk_fma_f32 v[20:21], v[198:199], v[0:1], v[20:21] op_sel:[0,0,1] op_sel_hi:[1,1,0] neg_lo:[0,0,1] neg_hi:[0,0,1]
	v_pk_fma_f32 v[198:199], v[200:201], v[0:1], v[210:211] op_sel:[0,0,1] op_sel_hi:[1,1,0] neg_lo:[0,0,1] neg_hi:[0,0,1]
	v_mov_b32_e32 v21, v213
	s_wait_dscnt 0x1
	v_pk_mul_f32 v[208:209], v[202:203], v[2:3] op_sel:[0,1]
	v_mov_b32_e32 v199, v9
	v_pk_add_f32 v[124:125], v[124:125], v[18:19] neg_lo:[0,1] neg_hi:[0,1]
	v_pk_add_f32 v[128:129], v[128:129], v[206:207] neg_lo:[0,1] neg_hi:[0,1]
	;; [unrolled: 1-line block ×3, first 2 shown]
	v_pk_fma_f32 v[8:9], v[202:203], v[0:1], v[208:209] op_sel:[0,0,1] op_sel_hi:[1,0,0]
	v_pk_add_f32 v[122:123], v[122:123], v[198:199] neg_lo:[0,1] neg_hi:[0,1]
	ds_load_2addr_b64 v[198:201], v12 offset0:36 offset1:37
	v_pk_fma_f32 v[18:19], v[202:203], v[0:1], v[208:209] op_sel:[0,0,1] op_sel_hi:[1,1,0] neg_lo:[0,0,1] neg_hi:[0,0,1]
	ds_load_2addr_b64 v[206:209], v12 offset0:38 offset1:39
	v_dual_mov_b32 v19, v9 :: v_dual_mov_b32 v8, v205
	s_wait_dscnt 0x2
	v_pk_mul_f32 v[202:203], v[4:5], v[2:3] op_sel:[0,1]
	v_dual_mov_b32 v9, v204 :: v_dual_mul_f32 v20, v205, v0
	v_pk_mul_f32 v[212:213], v[6:7], v[2:3] op_sel:[0,1]
	v_pk_add_f32 v[148:149], v[148:149], v[18:19] neg_lo:[0,1] neg_hi:[0,1]
	s_delay_alu instid0(VALU_DEP_4) | instskip(SKIP_2) | instid1(VALU_DEP_2)
	v_pk_fma_f32 v[18:19], v[4:5], v[0:1], v[202:203] op_sel:[0,0,1] op_sel_hi:[1,0,0]
	v_mul_f32_e32 v210, v205, v3
	v_pk_fma_f32 v[8:9], v[8:9], v[72:73], v[20:21] op_sel_hi:[1,1,0]
	v_pk_fma_f32 v[20:21], v[204:205], v[72:73], v[210:211] op_sel_hi:[1,1,0] neg_lo:[0,0,1] neg_hi:[0,0,1]
	v_pk_fma_f32 v[204:205], v[6:7], v[0:1], v[212:213] op_sel:[0,0,1] op_sel_hi:[1,0,0]
	s_delay_alu instid0(VALU_DEP_3)
	v_mov_b32_e32 v21, v9
	v_pk_fma_f32 v[8:9], v[4:5], v[0:1], v[202:203] op_sel:[0,0,1] op_sel_hi:[1,1,0] neg_lo:[0,0,1] neg_hi:[0,0,1]
	v_mov_b32_e32 v9, v19
	v_pk_fma_f32 v[18:19], v[6:7], v[0:1], v[212:213] op_sel:[0,0,1] op_sel_hi:[1,1,0] neg_lo:[0,0,1] neg_hi:[0,0,1]
	v_mov_b32_e32 v19, v205
	s_wait_dscnt 0x1
	v_pk_mul_f32 v[210:211], v[198:199], v[2:3] op_sel:[0,1]
	ds_load_2addr_b64 v[4:7], v12 offset0:40 offset1:41
	ds_load_2addr_b64 v[202:205], v12 offset0:42 offset1:43
	v_pk_add_f32 v[146:147], v[146:147], v[8:9] neg_lo:[0,1] neg_hi:[0,1]
	v_pk_add_f32 v[142:143], v[142:143], v[18:19] neg_lo:[0,1] neg_hi:[0,1]
	v_pk_fma_f32 v[8:9], v[198:199], v[0:1], v[210:211] op_sel:[0,0,1] op_sel_hi:[1,0,0]
	v_pk_mul_f32 v[18:19], v[200:201], v[2:3] op_sel:[0,1]
	s_wait_dscnt 0x2
	v_mul_f32_e32 v8, v207, v0
	v_pk_add_f32 v[144:145], v[144:145], v[20:21] neg_lo:[0,1] neg_hi:[0,1]
	v_pk_fma_f32 v[20:21], v[198:199], v[0:1], v[210:211] op_sel:[0,0,1] op_sel_hi:[1,1,0] neg_lo:[0,0,1] neg_hi:[0,0,1]
	v_mov_b32_e32 v21, v9
	v_pk_fma_f32 v[198:199], v[200:201], v[0:1], v[18:19] op_sel:[0,0,1] op_sel_hi:[1,0,0]
	v_pk_fma_f32 v[8:9], v[206:207], v[72:73], v[8:9] op_sel:[1,0,0] op_sel_hi:[0,1,0]
	v_mul_f32_e32 v198, v207, v3
	v_pk_fma_f32 v[18:19], v[200:201], v[0:1], v[18:19] op_sel:[0,0,1] op_sel_hi:[1,1,0] neg_lo:[0,0,1] neg_hi:[0,0,1]
	v_pk_mul_f32 v[200:201], v[208:209], v[2:3] op_sel:[0,1]
	v_mov_b32_e32 v19, v199
	v_pk_add_f32 v[170:171], v[170:171], v[20:21] neg_lo:[0,1] neg_hi:[0,1]
	v_pk_fma_f32 v[198:199], v[206:207], v[72:73], v[198:199] op_sel_hi:[1,1,0] neg_lo:[0,0,1] neg_hi:[0,0,1]
	v_mov_b32_e32 v199, v9
	v_pk_fma_f32 v[8:9], v[208:209], v[0:1], v[200:201] op_sel:[0,0,1] op_sel_hi:[1,0,0]
	v_pk_fma_f32 v[20:21], v[208:209], v[0:1], v[200:201] op_sel:[0,0,1] op_sel_hi:[1,1,0] neg_lo:[0,0,1] neg_hi:[0,0,1]
	s_wait_dscnt 0x0
	v_pk_mul_f32 v[200:201], v[202:203], v[2:3] op_sel:[0,1]
	v_pk_add_f32 v[168:169], v[168:169], v[198:199] neg_lo:[0,1] neg_hi:[0,1]
	v_mov_b32_e32 v21, v9
	v_pk_add_f32 v[164:165], v[164:165], v[18:19] neg_lo:[0,1] neg_hi:[0,1]
	v_pk_mul_f32 v[18:19], v[4:5], v[2:3] op_sel:[0,1]
	v_pk_mul_f32 v[8:9], v[6:7], v[2:3] op_sel:[0,1]
	;; [unrolled: 1-line block ×3, first 2 shown]
	v_pk_add_f32 v[162:163], v[162:163], v[20:21] neg_lo:[0,1] neg_hi:[0,1]
	s_delay_alu instid0(VALU_DEP_4)
	v_pk_fma_f32 v[198:199], v[4:5], v[0:1], v[18:19] op_sel:[0,0,1] op_sel_hi:[1,0,0]
	v_pk_fma_f32 v[4:5], v[4:5], v[0:1], v[18:19] op_sel:[0,0,1] op_sel_hi:[1,1,0] neg_lo:[0,0,1] neg_hi:[0,0,1]
	v_pk_fma_f32 v[18:19], v[6:7], v[0:1], v[8:9] op_sel:[0,0,1] op_sel_hi:[1,0,0]
	v_pk_fma_f32 v[6:7], v[6:7], v[0:1], v[8:9] op_sel:[0,0,1] op_sel_hi:[1,1,0] neg_lo:[0,0,1] neg_hi:[0,0,1]
	v_pk_fma_f32 v[8:9], v[204:205], v[0:1], v[2:3] op_sel:[0,0,1] op_sel_hi:[1,0,0]
	v_mov_b32_e32 v5, v199
	v_pk_fma_f32 v[198:199], v[202:203], v[0:1], v[200:201] op_sel:[0,0,1] op_sel_hi:[1,0,0]
	v_mov_b32_e32 v7, v19
	v_pk_fma_f32 v[18:19], v[202:203], v[0:1], v[200:201] op_sel:[0,0,1] op_sel_hi:[1,1,0] neg_lo:[0,0,1] neg_hi:[0,0,1]
	v_pk_fma_f32 v[0:1], v[204:205], v[0:1], v[2:3] op_sel:[0,0,1] op_sel_hi:[1,1,0] neg_lo:[0,0,1] neg_hi:[0,0,1]
	s_delay_alu instid0(VALU_DEP_4) | instskip(SKIP_2) | instid1(VALU_DEP_3)
	v_dual_mov_b32 v1, v9 :: v_dual_mov_b32 v19, v199
	v_pk_add_f32 v[166:167], v[166:167], v[4:5] neg_lo:[0,1] neg_hi:[0,1]
	v_pk_add_f32 v[160:161], v[160:161], v[6:7] neg_lo:[0,1] neg_hi:[0,1]
	;; [unrolled: 1-line block ×3, first 2 shown]
	s_delay_alu instid0(VALU_DEP_4)
	v_pk_add_f32 v[172:173], v[172:173], v[18:19] neg_lo:[0,1] neg_hi:[0,1]
.LBB87_91:
	s_or_b32 exec_lo, exec_lo, s1
	s_delay_alu instid0(SALU_CYCLE_1)
	s_mov_b32 s2, exec_lo
	s_wait_dscnt 0x0
	s_barrier_signal -1
	s_barrier_wait -1
	v_cmpx_eq_u32_e32 10, v30
	s_cbranch_execz .LBB87_98
; %bb.92:
	ds_store_b64 v31, v[74:75]
	ds_store_2addr_b64 v12, v[70:71], v[102:103] offset0:11 offset1:12
	ds_store_2addr_b64 v12, v[68:69], v[100:101] offset0:13 offset1:14
	;; [unrolled: 1-line block ×16, first 2 shown]
	ds_store_b64 v12, v[176:177] offset:344
	ds_load_b64 v[0:1], v31
	s_wait_dscnt 0x0
	v_cmp_neq_f32_e32 vcc_lo, 0, v0
	v_cmp_neq_f32_e64 s1, 0, v1
	s_or_b32 s1, vcc_lo, s1
	s_delay_alu instid0(SALU_CYCLE_1)
	s_and_b32 exec_lo, exec_lo, s1
	s_cbranch_execz .LBB87_98
; %bb.93:
	v_cmp_ngt_f32_e64 s1, |v0|, |v1|
                                        ; implicit-def: $vgpr2_vgpr3
	s_and_saveexec_b32 s4, s1
	s_delay_alu instid0(SALU_CYCLE_1)
	s_xor_b32 s1, exec_lo, s4
	s_cbranch_execz .LBB87_95
; %bb.94:
	v_div_scale_f32 v2, null, v1, v1, v0
	v_div_scale_f32 v5, vcc_lo, v0, v1, v0
	s_delay_alu instid0(VALU_DEP_2) | instskip(SKIP_1) | instid1(TRANS32_DEP_1)
	v_rcp_f32_e32 v3, v2
	v_nop
	v_fma_f32 v4, -v2, v3, 1.0
	s_delay_alu instid0(VALU_DEP_1) | instskip(NEXT) | instid1(VALU_DEP_1)
	v_fmac_f32_e32 v3, v4, v3
	v_mul_f32_e32 v4, v5, v3
	s_delay_alu instid0(VALU_DEP_1) | instskip(NEXT) | instid1(VALU_DEP_1)
	v_fma_f32 v6, -v2, v4, v5
	v_fmac_f32_e32 v4, v6, v3
	s_delay_alu instid0(VALU_DEP_1) | instskip(NEXT) | instid1(VALU_DEP_1)
	v_fma_f32 v2, -v2, v4, v5
	v_div_fmas_f32 v2, v2, v3, v4
	s_delay_alu instid0(VALU_DEP_1) | instskip(NEXT) | instid1(VALU_DEP_1)
	v_div_fixup_f32 v2, v2, v1, v0
	v_fmac_f32_e32 v1, v0, v2
	s_delay_alu instid0(VALU_DEP_1) | instskip(SKIP_1) | instid1(VALU_DEP_2)
	v_div_scale_f32 v0, null, v1, v1, 1.0
	v_div_scale_f32 v5, vcc_lo, 1.0, v1, 1.0
	v_rcp_f32_e32 v3, v0
	v_nop
	s_delay_alu instid0(TRANS32_DEP_1) | instskip(NEXT) | instid1(VALU_DEP_1)
	v_fma_f32 v4, -v0, v3, 1.0
	v_fmac_f32_e32 v3, v4, v3
	s_delay_alu instid0(VALU_DEP_1) | instskip(NEXT) | instid1(VALU_DEP_1)
	v_mul_f32_e32 v4, v5, v3
	v_fma_f32 v6, -v0, v4, v5
	s_delay_alu instid0(VALU_DEP_1) | instskip(NEXT) | instid1(VALU_DEP_1)
	v_fmac_f32_e32 v4, v6, v3
	v_fma_f32 v0, -v0, v4, v5
	s_delay_alu instid0(VALU_DEP_1) | instskip(NEXT) | instid1(VALU_DEP_1)
	v_div_fmas_f32 v0, v0, v3, v4
	v_div_fixup_f32 v0, v0, v1, 1.0
	s_delay_alu instid0(VALU_DEP_1)
	v_mul_f32_e32 v2, v2, v0
	v_xor_b32_e32 v3, 0x80000000, v0
                                        ; implicit-def: $vgpr0_vgpr1
.LBB87_95:
	s_and_not1_saveexec_b32 s1, s1
	s_cbranch_execz .LBB87_97
; %bb.96:
	v_div_scale_f32 v2, null, v0, v0, v1
	v_div_scale_f32 v5, vcc_lo, v1, v0, v1
	s_delay_alu instid0(VALU_DEP_2) | instskip(SKIP_1) | instid1(TRANS32_DEP_1)
	v_rcp_f32_e32 v3, v2
	v_nop
	v_fma_f32 v4, -v2, v3, 1.0
	s_delay_alu instid0(VALU_DEP_1) | instskip(NEXT) | instid1(VALU_DEP_1)
	v_fmac_f32_e32 v3, v4, v3
	v_mul_f32_e32 v4, v5, v3
	s_delay_alu instid0(VALU_DEP_1) | instskip(NEXT) | instid1(VALU_DEP_1)
	v_fma_f32 v6, -v2, v4, v5
	v_fmac_f32_e32 v4, v6, v3
	s_delay_alu instid0(VALU_DEP_1) | instskip(NEXT) | instid1(VALU_DEP_1)
	v_fma_f32 v2, -v2, v4, v5
	v_div_fmas_f32 v2, v2, v3, v4
	s_delay_alu instid0(VALU_DEP_1) | instskip(NEXT) | instid1(VALU_DEP_1)
	v_div_fixup_f32 v3, v2, v0, v1
	v_fmac_f32_e32 v0, v1, v3
	s_delay_alu instid0(VALU_DEP_1) | instskip(NEXT) | instid1(VALU_DEP_1)
	v_div_scale_f32 v1, null, v0, v0, 1.0
	v_rcp_f32_e32 v2, v1
	v_nop
	s_delay_alu instid0(TRANS32_DEP_1) | instskip(NEXT) | instid1(VALU_DEP_1)
	v_fma_f32 v4, -v1, v2, 1.0
	v_fmac_f32_e32 v2, v4, v2
	v_div_scale_f32 v4, vcc_lo, 1.0, v0, 1.0
	s_delay_alu instid0(VALU_DEP_1) | instskip(NEXT) | instid1(VALU_DEP_1)
	v_mul_f32_e32 v5, v4, v2
	v_fma_f32 v6, -v1, v5, v4
	s_delay_alu instid0(VALU_DEP_1) | instskip(NEXT) | instid1(VALU_DEP_1)
	v_fmac_f32_e32 v5, v6, v2
	v_fma_f32 v1, -v1, v5, v4
	s_delay_alu instid0(VALU_DEP_1) | instskip(NEXT) | instid1(VALU_DEP_1)
	v_div_fmas_f32 v1, v1, v2, v5
	v_div_fixup_f32 v2, v1, v0, 1.0
	s_delay_alu instid0(VALU_DEP_1)
	v_mul_f32_e64 v3, v3, -v2
.LBB87_97:
	s_or_b32 exec_lo, exec_lo, s1
	ds_store_b64 v31, v[2:3]
.LBB87_98:
	s_or_b32 exec_lo, exec_lo, s2
	s_wait_dscnt 0x0
	s_barrier_signal -1
	s_barrier_wait -1
	ds_load_b64 v[198:199], v31
	s_mov_b32 s1, exec_lo
	v_cmpx_lt_u32_e32 10, v30
	s_cbranch_execz .LBB87_100
; %bb.99:
	ds_load_2addr_b64 v[4:7], v12 offset0:11 offset1:12
	ds_load_2addr_b64 v[200:203], v12 offset0:13 offset1:14
	;; [unrolled: 1-line block ×3, first 2 shown]
	s_wait_dscnt 0x3
	v_pk_mul_f32 v[2:3], v[198:199], v[74:75] op_sel:[1,1] op_sel_hi:[0,1]
	ds_load_2addr_b64 v[208:211], v12 offset0:17 offset1:18
	ds_load_2addr_b64 v[212:215], v12 offset0:19 offset1:20
	v_pk_fma_f32 v[0:1], v[198:199], v[74:75], v[2:3] op_sel_hi:[1,0,1] neg_lo:[0,0,1] neg_hi:[0,0,1]
	v_pk_fma_f32 v[2:3], v[198:199], v[74:75], v[2:3] op_sel_hi:[1,0,1]
	s_delay_alu instid0(VALU_DEP_1) | instskip(SKIP_1) | instid1(VALU_DEP_2)
	v_dual_mov_b32 v74, v0 :: v_dual_mov_b32 v75, v3
	s_wait_dscnt 0x4
	v_pk_mul_f32 v[8:9], v[4:5], v[2:3] op_sel:[0,1]
	v_pk_mul_f32 v[18:19], v[6:7], v[2:3] op_sel:[0,1]
	s_wait_dscnt 0x3
	v_pk_mul_f32 v[20:21], v[200:201], v[2:3] op_sel:[0,1]
	v_dual_mov_b32 v216, v203 :: v_dual_mov_b32 v217, v202
	v_dual_mul_f32 v218, v203, v3 :: v_dual_mul_f32 v220, v203, v0
	s_wait_dscnt 0x2
	v_pk_mul_f32 v[222:223], v[204:205], v[2:3] op_sel:[0,1]
	v_pk_mul_f32 v[224:225], v[206:207], v[2:3] op_sel:[0,1]
	v_pk_fma_f32 v[226:227], v[4:5], v[0:1], v[8:9] op_sel:[0,0,1] op_sel_hi:[1,1,0] neg_lo:[0,0,1] neg_hi:[0,0,1]
	v_pk_fma_f32 v[4:5], v[4:5], v[0:1], v[8:9] op_sel:[0,0,1] op_sel_hi:[1,0,0]
	v_pk_fma_f32 v[8:9], v[6:7], v[0:1], v[18:19] op_sel:[0,0,1] op_sel_hi:[1,1,0] neg_lo:[0,0,1] neg_hi:[0,0,1]
	v_pk_fma_f32 v[6:7], v[6:7], v[0:1], v[18:19] op_sel:[0,0,1] op_sel_hi:[1,0,0]
	;; [unrolled: 2-line block ×3, first 2 shown]
	v_pk_fma_f32 v[200:201], v[202:203], v[74:75], v[218:219] op_sel_hi:[1,1,0] neg_lo:[0,0,1] neg_hi:[0,0,1]
	v_pk_fma_f32 v[202:203], v[216:217], v[74:75], v[220:221] op_sel_hi:[1,1,0]
	v_pk_fma_f32 v[216:217], v[204:205], v[0:1], v[222:223] op_sel:[0,0,1] op_sel_hi:[1,1,0] neg_lo:[0,0,1] neg_hi:[0,0,1]
	v_pk_fma_f32 v[204:205], v[204:205], v[0:1], v[222:223] op_sel:[0,0,1] op_sel_hi:[1,0,0]
	v_dual_mov_b32 v227, v5 :: v_dual_mov_b32 v9, v7
	v_pk_fma_f32 v[4:5], v[206:207], v[0:1], v[224:225] op_sel:[0,0,1] op_sel_hi:[1,0,0]
	v_pk_fma_f32 v[6:7], v[206:207], v[0:1], v[224:225] op_sel:[0,0,1] op_sel_hi:[1,1,0] neg_lo:[0,0,1] neg_hi:[0,0,1]
	s_delay_alu instid0(VALU_DEP_4) | instskip(NEXT) | instid1(VALU_DEP_3)
	v_dual_mov_b32 v217, v205 :: v_dual_mov_b32 v19, v21
	v_dual_mov_b32 v201, v203 :: v_dual_mov_b32 v7, v5
	v_pk_add_f32 v[102:103], v[102:103], v[8:9] neg_lo:[0,1] neg_hi:[0,1]
	s_wait_dscnt 0x1
	v_pk_mul_f32 v[8:9], v[208:209], v[2:3] op_sel:[0,1]
	v_pk_mul_f32 v[20:21], v[210:211], v[2:3] op_sel:[0,1]
	v_pk_add_f32 v[100:101], v[100:101], v[200:201] neg_lo:[0,1] neg_hi:[0,1]
	v_pk_add_f32 v[120:121], v[120:121], v[6:7] neg_lo:[0,1] neg_hi:[0,1]
	ds_load_2addr_b64 v[4:7], v12 offset0:21 offset1:22
	ds_load_2addr_b64 v[200:203], v12 offset0:23 offset1:24
	v_pk_add_f32 v[68:69], v[68:69], v[18:19] neg_lo:[0,1] neg_hi:[0,1]
	v_pk_fma_f32 v[18:19], v[208:209], v[0:1], v[8:9] op_sel:[0,0,1] op_sel_hi:[1,0,0]
	s_wait_dscnt 0x2
	v_mul_f32_e32 v18, v213, v0
	v_pk_mul_f32 v[204:205], v[214:215], v[2:3] op_sel:[0,1]
	v_pk_fma_f32 v[206:207], v[210:211], v[0:1], v[20:21] op_sel:[0,0,1] op_sel_hi:[1,0,0]
	v_pk_fma_f32 v[8:9], v[208:209], v[0:1], v[8:9] op_sel:[0,0,1] op_sel_hi:[1,1,0] neg_lo:[0,0,1] neg_hi:[0,0,1]
	v_dual_mul_f32 v206, v213, v3 :: v_dual_mov_b32 v9, v19
	v_pk_fma_f32 v[18:19], v[212:213], v[74:75], v[18:19] op_sel:[1,0,0] op_sel_hi:[0,1,0]
	v_pk_fma_f32 v[208:209], v[214:215], v[0:1], v[204:205] op_sel:[0,0,1] op_sel_hi:[1,0,0]
	v_pk_fma_f32 v[20:21], v[210:211], v[0:1], v[20:21] op_sel:[0,0,1] op_sel_hi:[1,1,0] neg_lo:[0,0,1] neg_hi:[0,0,1]
	v_mov_b32_e32 v21, v207
	v_pk_fma_f32 v[206:207], v[212:213], v[74:75], v[206:207] op_sel_hi:[1,1,0] neg_lo:[0,0,1] neg_hi:[0,0,1]
	v_mov_b32_e32 v207, v19
	v_pk_fma_f32 v[18:19], v[214:215], v[0:1], v[204:205] op_sel:[0,0,1] op_sel_hi:[1,1,0] neg_lo:[0,0,1] neg_hi:[0,0,1]
	v_mov_b32_e32 v19, v209
	v_pk_add_f32 v[56:57], v[56:57], v[8:9] neg_lo:[0,1] neg_hi:[0,1]
	v_pk_add_f32 v[58:59], v[58:59], v[20:21] neg_lo:[0,1] neg_hi:[0,1]
	s_wait_dscnt 0x1
	v_pk_mul_f32 v[8:9], v[4:5], v[2:3] op_sel:[0,1]
	s_wait_dscnt 0x0
	v_pk_mul_f32 v[20:21], v[200:201], v[2:3] op_sel:[0,1]
	v_pk_add_f32 v[86:87], v[86:87], v[18:19] neg_lo:[0,1] neg_hi:[0,1]
	v_pk_mul_f32 v[18:19], v[6:7], v[2:3] op_sel:[0,1]
	v_pk_add_f32 v[54:55], v[54:55], v[206:207] neg_lo:[0,1] neg_hi:[0,1]
	ds_load_2addr_b64 v[204:207], v12 offset0:25 offset1:26
	ds_load_2addr_b64 v[208:211], v12 offset0:27 offset1:28
	v_pk_fma_f32 v[212:213], v[4:5], v[0:1], v[8:9] op_sel:[0,0,1] op_sel_hi:[1,0,0]
	v_pk_fma_f32 v[4:5], v[4:5], v[0:1], v[8:9] op_sel:[0,0,1] op_sel_hi:[1,1,0] neg_lo:[0,0,1] neg_hi:[0,0,1]
	v_pk_fma_f32 v[8:9], v[6:7], v[0:1], v[18:19] op_sel:[0,0,1] op_sel_hi:[1,0,0]
	v_pk_fma_f32 v[214:215], v[200:201], v[0:1], v[20:21] op_sel:[0,0,1] op_sel_hi:[1,0,0]
	v_pk_fma_f32 v[6:7], v[6:7], v[0:1], v[18:19] op_sel:[0,0,1] op_sel_hi:[1,1,0] neg_lo:[0,0,1] neg_hi:[0,0,1]
	v_dual_mov_b32 v5, v213 :: v_dual_mov_b32 v18, v203
	s_delay_alu instid0(VALU_DEP_4)
	v_mov_b32_e32 v7, v9
	v_pk_fma_f32 v[8:9], v[200:201], v[0:1], v[20:21] op_sel:[0,0,1] op_sel_hi:[1,1,0] neg_lo:[0,0,1] neg_hi:[0,0,1]
	v_dual_mov_b32 v9, v215 :: v_dual_mov_b32 v19, v202
	v_mul_f32_e32 v20, v203, v0
	v_pk_add_f32 v[82:83], v[82:83], v[4:5] neg_lo:[0,1] neg_hi:[0,1]
	v_pk_add_f32 v[84:85], v[84:85], v[6:7] neg_lo:[0,1] neg_hi:[0,1]
	s_delay_alu instid0(VALU_DEP_4)
	v_pk_add_f32 v[80:81], v[80:81], v[8:9] neg_lo:[0,1] neg_hi:[0,1]
	ds_load_2addr_b64 v[4:7], v12 offset0:29 offset1:30
	v_pk_fma_f32 v[8:9], v[18:19], v[74:75], v[20:21] op_sel_hi:[1,1,0]
	v_mul_f32_e32 v200, v203, v3
	s_wait_dscnt 0x2
	v_pk_mul_f32 v[20:21], v[204:205], v[2:3] op_sel:[0,1]
	v_pk_mul_f32 v[212:213], v[206:207], v[2:3] op_sel:[0,1]
	v_pk_add_f32 v[98:99], v[98:99], v[216:217] neg_lo:[0,1] neg_hi:[0,1]
	v_pk_add_f32 v[70:71], v[70:71], v[226:227] neg_lo:[0,1] neg_hi:[0,1]
	v_pk_fma_f32 v[18:19], v[202:203], v[74:75], v[200:201] op_sel_hi:[1,1,0] neg_lo:[0,0,1] neg_hi:[0,0,1]
	v_mov_b32_e32 v19, v9
	s_wait_dscnt 0x1
	v_pk_mul_f32 v[8:9], v[208:209], v[2:3] op_sel:[0,1]
	v_pk_fma_f32 v[214:215], v[204:205], v[0:1], v[20:21] op_sel:[0,0,1] op_sel_hi:[1,0,0]
	v_pk_fma_f32 v[20:21], v[204:205], v[0:1], v[20:21] op_sel:[0,0,1] op_sel_hi:[1,1,0] neg_lo:[0,0,1] neg_hi:[0,0,1]
	ds_load_2addr_b64 v[200:203], v12 offset0:31 offset1:32
	v_pk_fma_f32 v[216:217], v[206:207], v[0:1], v[212:213] op_sel:[0,0,1] op_sel_hi:[1,0,0]
	v_pk_fma_f32 v[204:205], v[208:209], v[0:1], v[8:9] op_sel:[0,0,1] op_sel_hi:[1,0,0]
	v_pk_fma_f32 v[8:9], v[208:209], v[0:1], v[8:9] op_sel:[0,0,1] op_sel_hi:[1,1,0] neg_lo:[0,0,1] neg_hi:[0,0,1]
	v_mov_b32_e32 v21, v215
	v_pk_add_f32 v[110:111], v[110:111], v[18:19] neg_lo:[0,1] neg_hi:[0,1]
	v_pk_fma_f32 v[206:207], v[206:207], v[0:1], v[212:213] op_sel:[0,0,1] op_sel_hi:[1,1,0] neg_lo:[0,0,1] neg_hi:[0,0,1]
	v_mov_b32_e32 v9, v205
	v_pk_mul_f32 v[204:205], v[210:211], v[2:3] op_sel:[0,1]
	v_mov_b32_e32 v207, v217
	v_pk_add_f32 v[106:107], v[106:107], v[20:21] neg_lo:[0,1] neg_hi:[0,1]
	s_wait_dscnt 0x1
	v_mul_f32_e32 v20, v5, v3
	v_pk_mul_f32 v[208:209], v[6:7], v[2:3] op_sel:[0,1]
	v_pk_fma_f32 v[18:19], v[210:211], v[0:1], v[204:205] op_sel:[0,0,1] op_sel_hi:[1,0,0]
	v_mul_f32_e32 v18, v5, v0
	v_pk_add_f32 v[108:109], v[108:109], v[206:207] neg_lo:[0,1] neg_hi:[0,1]
	v_pk_fma_f32 v[20:21], v[4:5], v[74:75], v[20:21] op_sel_hi:[1,1,0] neg_lo:[0,0,1] neg_hi:[0,0,1]
	s_delay_alu instid0(VALU_DEP_3) | instskip(NEXT) | instid1(VALU_DEP_1)
	v_pk_fma_f32 v[212:213], v[4:5], v[74:75], v[18:19] op_sel:[1,0,0] op_sel_hi:[0,1,0]
	v_mov_b32_e32 v21, v213
	v_pk_add_f32 v[104:105], v[104:105], v[8:9] neg_lo:[0,1] neg_hi:[0,1]
	v_pk_fma_f32 v[8:9], v[210:211], v[0:1], v[204:205] op_sel:[0,0,1] op_sel_hi:[1,1,0] neg_lo:[0,0,1] neg_hi:[0,0,1]
	ds_load_2addr_b64 v[204:207], v12 offset0:33 offset1:34
	s_wait_dscnt 0x1
	v_pk_mul_f32 v[210:211], v[200:201], v[2:3] op_sel:[0,1]
	v_mov_b32_e32 v9, v19
	v_pk_fma_f32 v[18:19], v[6:7], v[0:1], v[208:209] op_sel:[0,0,1] op_sel_hi:[1,0,0]
	v_pk_fma_f32 v[208:209], v[6:7], v[0:1], v[208:209] op_sel:[0,0,1] op_sel_hi:[1,1,0] neg_lo:[0,0,1] neg_hi:[0,0,1]
	v_pk_add_f32 v[124:125], v[124:125], v[20:21] neg_lo:[0,1] neg_hi:[0,1]
	v_pk_fma_f32 v[4:5], v[200:201], v[0:1], v[210:211] op_sel:[0,0,1] op_sel_hi:[1,0,0]
	s_delay_alu instid0(VALU_DEP_4) | instskip(SKIP_2) | instid1(VALU_DEP_4)
	v_mov_b32_e32 v209, v19
	v_pk_fma_f32 v[18:19], v[200:201], v[0:1], v[210:211] op_sel:[0,0,1] op_sel_hi:[1,1,0] neg_lo:[0,0,1] neg_hi:[0,0,1]
	v_pk_mul_f32 v[200:201], v[202:203], v[2:3] op_sel:[0,1]
	v_mov_b32_e32 v19, v5
	ds_load_2addr_b64 v[4:7], v12 offset0:35 offset1:36
	v_pk_add_f32 v[128:129], v[128:129], v[8:9] neg_lo:[0,1] neg_hi:[0,1]
	v_pk_add_f32 v[126:127], v[126:127], v[208:209] neg_lo:[0,1] neg_hi:[0,1]
	v_pk_fma_f32 v[8:9], v[202:203], v[0:1], v[200:201] op_sel:[0,0,1] op_sel_hi:[1,1,0] neg_lo:[0,0,1] neg_hi:[0,0,1]
	s_wait_dscnt 0x1
	v_pk_mul_f32 v[20:21], v[204:205], v[2:3] op_sel:[0,1]
	v_mov_b32_e32 v208, v207
	v_pk_add_f32 v[122:123], v[122:123], v[18:19] neg_lo:[0,1] neg_hi:[0,1]
	v_pk_fma_f32 v[18:19], v[202:203], v[0:1], v[200:201] op_sel:[0,0,1] op_sel_hi:[1,0,0]
	ds_load_2addr_b64 v[200:203], v12 offset0:37 offset1:38
	v_pk_fma_f32 v[210:211], v[204:205], v[0:1], v[20:21] op_sel:[0,0,1] op_sel_hi:[1,0,0]
	v_dual_mov_b32 v209, v206 :: v_dual_mul_f32 v18, v207, v0
	v_mul_f32_e32 v210, v207, v3
	v_pk_fma_f32 v[20:21], v[204:205], v[0:1], v[20:21] op_sel:[0,0,1] op_sel_hi:[1,1,0] neg_lo:[0,0,1] neg_hi:[0,0,1]
	s_delay_alu instid0(VALU_DEP_4) | instskip(NEXT) | instid1(VALU_DEP_4)
	v_dual_mov_b32 v9, v19 :: v_dual_mov_b32 v21, v211
	v_pk_fma_f32 v[18:19], v[208:209], v[74:75], v[18:19] op_sel_hi:[1,1,0]
	s_delay_alu instid0(VALU_DEP_4)
	v_pk_fma_f32 v[208:209], v[206:207], v[74:75], v[210:211] op_sel_hi:[1,1,0] neg_lo:[0,0,1] neg_hi:[0,0,1]
	s_wait_dscnt 0x1
	v_pk_mul_f32 v[210:211], v[4:5], v[2:3] op_sel:[0,1]
	ds_load_2addr_b64 v[204:207], v12 offset0:39 offset1:40
	v_pk_add_f32 v[148:149], v[148:149], v[8:9] neg_lo:[0,1] neg_hi:[0,1]
	v_mov_b32_e32 v209, v19
	v_pk_mul_f32 v[8:9], v[6:7], v[2:3] op_sel:[0,1]
	v_pk_fma_f32 v[18:19], v[4:5], v[0:1], v[210:211] op_sel:[0,0,1] op_sel_hi:[1,0,0]
	v_pk_add_f32 v[144:145], v[144:145], v[20:21] neg_lo:[0,1] neg_hi:[0,1]
	v_pk_fma_f32 v[20:21], v[4:5], v[0:1], v[210:211] op_sel:[0,0,1] op_sel_hi:[1,1,0] neg_lo:[0,0,1] neg_hi:[0,0,1]
	s_delay_alu instid0(VALU_DEP_3)
	v_mov_b32_e32 v21, v19
	v_pk_add_f32 v[146:147], v[146:147], v[208:209] neg_lo:[0,1] neg_hi:[0,1]
	v_pk_fma_f32 v[208:209], v[6:7], v[0:1], v[8:9] op_sel:[0,0,1] op_sel_hi:[1,0,0]
	v_pk_fma_f32 v[8:9], v[6:7], v[0:1], v[8:9] op_sel:[0,0,1] op_sel_hi:[1,1,0] neg_lo:[0,0,1] neg_hi:[0,0,1]
	s_wait_dscnt 0x1
	v_pk_mul_f32 v[18:19], v[200:201], v[2:3] op_sel:[0,1]
	ds_load_2addr_b64 v[4:7], v12 offset0:41 offset1:42
	v_pk_add_f32 v[142:143], v[142:143], v[20:21] neg_lo:[0,1] neg_hi:[0,1]
	v_mov_b32_e32 v9, v209
	v_pk_mul_f32 v[208:209], v[202:203], v[2:3] op_sel:[0,1]
	ds_load_b64 v[20:21], v12 offset:344
	v_pk_fma_f32 v[210:211], v[200:201], v[0:1], v[18:19] op_sel:[0,0,1] op_sel_hi:[1,0,0]
	v_pk_fma_f32 v[18:19], v[200:201], v[0:1], v[18:19] op_sel:[0,0,1] op_sel_hi:[1,1,0] neg_lo:[0,0,1] neg_hi:[0,0,1]
	v_pk_add_f32 v[170:171], v[170:171], v[8:9] neg_lo:[0,1] neg_hi:[0,1]
	v_pk_fma_f32 v[8:9], v[202:203], v[0:1], v[208:209] op_sel:[0,0,1] op_sel_hi:[1,0,0]
	s_wait_dscnt 0x2
	v_dual_mul_f32 v8, v205, v0 :: v_dual_mov_b32 v19, v211
	v_pk_fma_f32 v[200:201], v[202:203], v[0:1], v[208:209] op_sel:[0,0,1] op_sel_hi:[1,1,0] neg_lo:[0,0,1] neg_hi:[0,0,1]
	v_mul_f32_e32 v202, v205, v3
	v_mov_b32_e32 v201, v9
	s_delay_alu instid0(VALU_DEP_4) | instskip(SKIP_2) | instid1(VALU_DEP_4)
	v_pk_fma_f32 v[8:9], v[204:205], v[74:75], v[8:9] op_sel:[1,0,0] op_sel_hi:[0,1,0]
	v_pk_add_f32 v[164:165], v[164:165], v[18:19] neg_lo:[0,1] neg_hi:[0,1]
	v_pk_mul_f32 v[18:19], v[206:207], v[2:3] op_sel:[0,1]
	v_pk_add_f32 v[168:169], v[168:169], v[200:201] neg_lo:[0,1] neg_hi:[0,1]
	v_pk_fma_f32 v[200:201], v[204:205], v[74:75], v[202:203] op_sel_hi:[1,1,0] neg_lo:[0,0,1] neg_hi:[0,0,1]
	s_wait_dscnt 0x1
	v_pk_mul_f32 v[204:205], v[6:7], v[2:3] op_sel:[0,1]
	v_pk_fma_f32 v[202:203], v[206:207], v[0:1], v[18:19] op_sel:[0,0,1] op_sel_hi:[1,0,0]
	v_pk_fma_f32 v[18:19], v[206:207], v[0:1], v[18:19] op_sel:[0,0,1] op_sel_hi:[1,1,0] neg_lo:[0,0,1] neg_hi:[0,0,1]
	s_delay_alu instid0(VALU_DEP_2) | instskip(NEXT) | instid1(VALU_DEP_4)
	v_mov_b32_e32 v19, v203
	v_pk_fma_f32 v[202:203], v[6:7], v[0:1], v[204:205] op_sel:[0,0,1] op_sel_hi:[1,0,0]
	v_mov_b32_e32 v201, v9
	v_pk_mul_f32 v[8:9], v[4:5], v[2:3] op_sel:[0,1]
	s_wait_dscnt 0x0
	v_pk_mul_f32 v[2:3], v[20:21], v[2:3] op_sel:[0,1]
	v_pk_fma_f32 v[6:7], v[6:7], v[0:1], v[204:205] op_sel:[0,0,1] op_sel_hi:[1,1,0] neg_lo:[0,0,1] neg_hi:[0,0,1]
	v_mov_b32_e32 v7, v203
	v_pk_add_f32 v[162:163], v[162:163], v[200:201] neg_lo:[0,1] neg_hi:[0,1]
	v_pk_fma_f32 v[206:207], v[4:5], v[0:1], v[8:9] op_sel:[0,0,1] op_sel_hi:[1,0,0]
	v_pk_fma_f32 v[4:5], v[4:5], v[0:1], v[8:9] op_sel:[0,0,1] op_sel_hi:[1,1,0] neg_lo:[0,0,1] neg_hi:[0,0,1]
	v_pk_fma_f32 v[8:9], v[20:21], v[0:1], v[2:3] op_sel:[0,0,1] op_sel_hi:[1,0,0]
	v_pk_fma_f32 v[0:1], v[20:21], v[0:1], v[2:3] op_sel:[0,0,1] op_sel_hi:[1,1,0] neg_lo:[0,0,1] neg_hi:[0,0,1]
	v_pk_add_f32 v[166:167], v[166:167], v[18:19] neg_lo:[0,1] neg_hi:[0,1]
	v_mov_b32_e32 v5, v207
	v_pk_add_f32 v[172:173], v[172:173], v[6:7] neg_lo:[0,1] neg_hi:[0,1]
	v_mov_b32_e32 v1, v9
	s_delay_alu instid0(VALU_DEP_3) | instskip(NEXT) | instid1(VALU_DEP_2)
	v_pk_add_f32 v[160:161], v[160:161], v[4:5] neg_lo:[0,1] neg_hi:[0,1]
	v_pk_add_f32 v[176:177], v[176:177], v[0:1] neg_lo:[0,1] neg_hi:[0,1]
.LBB87_100:
	s_or_b32 exec_lo, exec_lo, s1
	s_delay_alu instid0(SALU_CYCLE_1)
	s_mov_b32 s2, exec_lo
	s_wait_dscnt 0x0
	s_barrier_signal -1
	s_barrier_wait -1
	v_cmpx_eq_u32_e32 11, v30
	s_cbranch_execz .LBB87_107
; %bb.101:
	v_dual_mov_b32 v0, v102 :: v_dual_mov_b32 v1, v103
	v_dual_mov_b32 v2, v68 :: v_dual_mov_b32 v3, v69
	;; [unrolled: 1-line block ×8, first 2 shown]
	ds_store_b64 v31, v[70:71]
	ds_store_2addr_b64 v12, v[0:1], v[2:3] offset0:12 offset1:13
	ds_store_2addr_b64 v12, v[4:5], v[6:7] offset0:14 offset1:15
	;; [unrolled: 1-line block ×4, first 2 shown]
	v_dual_mov_b32 v0, v86 :: v_dual_mov_b32 v1, v87
	v_dual_mov_b32 v2, v82 :: v_dual_mov_b32 v3, v83
	;; [unrolled: 1-line block ×12, first 2 shown]
	ds_store_2addr_b64 v12, v[0:1], v[2:3] offset0:20 offset1:21
	ds_store_2addr_b64 v12, v[4:5], v[6:7] offset0:22 offset1:23
	;; [unrolled: 1-line block ×6, first 2 shown]
	v_dual_mov_b32 v0, v148 :: v_dual_mov_b32 v1, v149
	v_dual_mov_b32 v2, v144 :: v_dual_mov_b32 v3, v145
	;; [unrolled: 1-line block ×11, first 2 shown]
	ds_store_2addr_b64 v12, v[0:1], v[2:3] offset0:32 offset1:33
	ds_store_2addr_b64 v12, v[4:5], v[6:7] offset0:34 offset1:35
	;; [unrolled: 1-line block ×6, first 2 shown]
	ds_load_b64 v[0:1], v31
	s_wait_dscnt 0x0
	v_cmp_neq_f32_e32 vcc_lo, 0, v0
	v_cmp_neq_f32_e64 s1, 0, v1
	s_or_b32 s1, vcc_lo, s1
	s_delay_alu instid0(SALU_CYCLE_1)
	s_and_b32 exec_lo, exec_lo, s1
	s_cbranch_execz .LBB87_107
; %bb.102:
	v_cmp_ngt_f32_e64 s1, |v0|, |v1|
                                        ; implicit-def: $vgpr2_vgpr3
	s_and_saveexec_b32 s4, s1
	s_delay_alu instid0(SALU_CYCLE_1)
	s_xor_b32 s1, exec_lo, s4
	s_cbranch_execz .LBB87_104
; %bb.103:
	v_div_scale_f32 v2, null, v1, v1, v0
	v_div_scale_f32 v5, vcc_lo, v0, v1, v0
	s_delay_alu instid0(VALU_DEP_2) | instskip(SKIP_1) | instid1(TRANS32_DEP_1)
	v_rcp_f32_e32 v3, v2
	v_nop
	v_fma_f32 v4, -v2, v3, 1.0
	s_delay_alu instid0(VALU_DEP_1) | instskip(NEXT) | instid1(VALU_DEP_1)
	v_fmac_f32_e32 v3, v4, v3
	v_mul_f32_e32 v4, v5, v3
	s_delay_alu instid0(VALU_DEP_1) | instskip(NEXT) | instid1(VALU_DEP_1)
	v_fma_f32 v6, -v2, v4, v5
	v_fmac_f32_e32 v4, v6, v3
	s_delay_alu instid0(VALU_DEP_1) | instskip(NEXT) | instid1(VALU_DEP_1)
	v_fma_f32 v2, -v2, v4, v5
	v_div_fmas_f32 v2, v2, v3, v4
	s_delay_alu instid0(VALU_DEP_1) | instskip(NEXT) | instid1(VALU_DEP_1)
	v_div_fixup_f32 v2, v2, v1, v0
	v_fmac_f32_e32 v1, v0, v2
	s_delay_alu instid0(VALU_DEP_1) | instskip(SKIP_1) | instid1(VALU_DEP_2)
	v_div_scale_f32 v0, null, v1, v1, 1.0
	v_div_scale_f32 v5, vcc_lo, 1.0, v1, 1.0
	v_rcp_f32_e32 v3, v0
	v_nop
	s_delay_alu instid0(TRANS32_DEP_1) | instskip(NEXT) | instid1(VALU_DEP_1)
	v_fma_f32 v4, -v0, v3, 1.0
	v_fmac_f32_e32 v3, v4, v3
	s_delay_alu instid0(VALU_DEP_1) | instskip(NEXT) | instid1(VALU_DEP_1)
	v_mul_f32_e32 v4, v5, v3
	v_fma_f32 v6, -v0, v4, v5
	s_delay_alu instid0(VALU_DEP_1) | instskip(NEXT) | instid1(VALU_DEP_1)
	v_fmac_f32_e32 v4, v6, v3
	v_fma_f32 v0, -v0, v4, v5
	s_delay_alu instid0(VALU_DEP_1) | instskip(NEXT) | instid1(VALU_DEP_1)
	v_div_fmas_f32 v0, v0, v3, v4
	v_div_fixup_f32 v0, v0, v1, 1.0
	s_delay_alu instid0(VALU_DEP_1)
	v_mul_f32_e32 v2, v2, v0
	v_xor_b32_e32 v3, 0x80000000, v0
                                        ; implicit-def: $vgpr0_vgpr1
.LBB87_104:
	s_and_not1_saveexec_b32 s1, s1
	s_cbranch_execz .LBB87_106
; %bb.105:
	v_div_scale_f32 v2, null, v0, v0, v1
	v_div_scale_f32 v5, vcc_lo, v1, v0, v1
	s_delay_alu instid0(VALU_DEP_2) | instskip(SKIP_1) | instid1(TRANS32_DEP_1)
	v_rcp_f32_e32 v3, v2
	v_nop
	v_fma_f32 v4, -v2, v3, 1.0
	s_delay_alu instid0(VALU_DEP_1) | instskip(NEXT) | instid1(VALU_DEP_1)
	v_fmac_f32_e32 v3, v4, v3
	v_mul_f32_e32 v4, v5, v3
	s_delay_alu instid0(VALU_DEP_1) | instskip(NEXT) | instid1(VALU_DEP_1)
	v_fma_f32 v6, -v2, v4, v5
	v_fmac_f32_e32 v4, v6, v3
	s_delay_alu instid0(VALU_DEP_1) | instskip(NEXT) | instid1(VALU_DEP_1)
	v_fma_f32 v2, -v2, v4, v5
	v_div_fmas_f32 v2, v2, v3, v4
	s_delay_alu instid0(VALU_DEP_1) | instskip(NEXT) | instid1(VALU_DEP_1)
	v_div_fixup_f32 v3, v2, v0, v1
	v_fmac_f32_e32 v0, v1, v3
	s_delay_alu instid0(VALU_DEP_1) | instskip(NEXT) | instid1(VALU_DEP_1)
	v_div_scale_f32 v1, null, v0, v0, 1.0
	v_rcp_f32_e32 v2, v1
	v_nop
	s_delay_alu instid0(TRANS32_DEP_1) | instskip(NEXT) | instid1(VALU_DEP_1)
	v_fma_f32 v4, -v1, v2, 1.0
	v_fmac_f32_e32 v2, v4, v2
	v_div_scale_f32 v4, vcc_lo, 1.0, v0, 1.0
	s_delay_alu instid0(VALU_DEP_1) | instskip(NEXT) | instid1(VALU_DEP_1)
	v_mul_f32_e32 v5, v4, v2
	v_fma_f32 v6, -v1, v5, v4
	s_delay_alu instid0(VALU_DEP_1) | instskip(NEXT) | instid1(VALU_DEP_1)
	v_fmac_f32_e32 v5, v6, v2
	v_fma_f32 v1, -v1, v5, v4
	s_delay_alu instid0(VALU_DEP_1) | instskip(NEXT) | instid1(VALU_DEP_1)
	v_div_fmas_f32 v1, v1, v2, v5
	v_div_fixup_f32 v2, v1, v0, 1.0
	s_delay_alu instid0(VALU_DEP_1)
	v_mul_f32_e64 v3, v3, -v2
.LBB87_106:
	s_or_b32 exec_lo, exec_lo, s1
	ds_store_b64 v31, v[2:3]
.LBB87_107:
	s_or_b32 exec_lo, exec_lo, s2
	s_wait_dscnt 0x0
	s_barrier_signal -1
	s_barrier_wait -1
	ds_load_b64 v[200:201], v31
	s_mov_b32 s1, exec_lo
	v_cmpx_lt_u32_e32 11, v30
	s_cbranch_execz .LBB87_109
; %bb.108:
	ds_load_2addr_b64 v[4:7], v12 offset0:12 offset1:13
	ds_load_2addr_b64 v[202:205], v12 offset0:14 offset1:15
	;; [unrolled: 1-line block ×3, first 2 shown]
	s_wait_dscnt 0x3
	v_pk_mul_f32 v[2:3], v[200:201], v[70:71] op_sel:[1,1] op_sel_hi:[0,1]
	ds_load_2addr_b64 v[210:213], v12 offset0:18 offset1:19
	ds_load_2addr_b64 v[214:217], v12 offset0:20 offset1:21
	v_pk_fma_f32 v[0:1], v[200:201], v[70:71], v[2:3] op_sel_hi:[1,0,1] neg_lo:[0,0,1] neg_hi:[0,0,1]
	v_pk_fma_f32 v[2:3], v[200:201], v[70:71], v[2:3] op_sel_hi:[1,0,1]
	s_delay_alu instid0(VALU_DEP_1) | instskip(SKIP_1) | instid1(VALU_DEP_2)
	v_dual_mov_b32 v70, v0 :: v_dual_mov_b32 v71, v3
	s_wait_dscnt 0x4
	v_pk_mul_f32 v[8:9], v[4:5], v[2:3] op_sel:[0,1]
	v_pk_mul_f32 v[18:19], v[6:7], v[2:3] op_sel:[0,1]
	s_wait_dscnt 0x3
	v_pk_mul_f32 v[20:21], v[202:203], v[2:3] op_sel:[0,1]
	v_dual_mov_b32 v218, v205 :: v_dual_mov_b32 v219, v204
	v_dual_mul_f32 v220, v205, v3 :: v_dual_mul_f32 v222, v205, v0
	v_pk_fma_f32 v[228:229], v[4:5], v[0:1], v[8:9] op_sel:[0,0,1] op_sel_hi:[1,1,0] neg_lo:[0,0,1] neg_hi:[0,0,1]
	v_pk_fma_f32 v[4:5], v[4:5], v[0:1], v[8:9] op_sel:[0,0,1] op_sel_hi:[1,0,0]
	v_pk_fma_f32 v[8:9], v[6:7], v[0:1], v[18:19] op_sel:[0,0,1] op_sel_hi:[1,1,0] neg_lo:[0,0,1] neg_hi:[0,0,1]
	v_pk_fma_f32 v[6:7], v[6:7], v[0:1], v[18:19] op_sel:[0,0,1] op_sel_hi:[1,0,0]
	;; [unrolled: 2-line block ×3, first 2 shown]
	s_wait_dscnt 0x2
	v_pk_mul_f32 v[224:225], v[206:207], v[2:3] op_sel:[0,1]
	v_pk_mul_f32 v[226:227], v[208:209], v[2:3] op_sel:[0,1]
	v_pk_fma_f32 v[202:203], v[204:205], v[70:71], v[220:221] op_sel_hi:[1,1,0] neg_lo:[0,0,1] neg_hi:[0,0,1]
	v_pk_fma_f32 v[204:205], v[218:219], v[70:71], v[222:223] op_sel_hi:[1,1,0]
	v_dual_mov_b32 v229, v5 :: v_dual_mov_b32 v9, v7
	v_mov_b32_e32 v19, v21
	v_pk_fma_f32 v[218:219], v[206:207], v[0:1], v[224:225] op_sel:[0,0,1] op_sel_hi:[1,0,0]
	v_pk_fma_f32 v[4:5], v[208:209], v[0:1], v[226:227] op_sel:[0,0,1] op_sel_hi:[1,0,0]
	v_mov_b32_e32 v203, v205
	v_pk_add_f32 v[68:69], v[68:69], v[8:9] neg_lo:[0,1] neg_hi:[0,1]
	v_pk_add_f32 v[100:101], v[100:101], v[18:19] neg_lo:[0,1] neg_hi:[0,1]
	v_pk_fma_f32 v[8:9], v[206:207], v[0:1], v[224:225] op_sel:[0,0,1] op_sel_hi:[1,1,0] neg_lo:[0,0,1] neg_hi:[0,0,1]
	v_pk_fma_f32 v[18:19], v[208:209], v[0:1], v[226:227] op_sel:[0,0,1] op_sel_hi:[1,1,0] neg_lo:[0,0,1] neg_hi:[0,0,1]
	v_dual_mov_b32 v9, v219 :: v_dual_mov_b32 v19, v5
	s_wait_dscnt 0x1
	v_pk_mul_f32 v[20:21], v[210:211], v[2:3] op_sel:[0,1]
	ds_load_2addr_b64 v[4:7], v12 offset0:22 offset1:23
	v_pk_mul_f32 v[204:205], v[212:213], v[2:3] op_sel:[0,1]
	v_pk_add_f32 v[98:99], v[98:99], v[202:203] neg_lo:[0,1] neg_hi:[0,1]
	v_pk_add_f32 v[120:121], v[120:121], v[8:9] neg_lo:[0,1] neg_hi:[0,1]
	v_pk_fma_f32 v[202:203], v[210:211], v[0:1], v[20:21] op_sel:[0,0,1] op_sel_hi:[1,0,0]
	v_pk_add_f32 v[56:57], v[56:57], v[18:19] neg_lo:[0,1] neg_hi:[0,1]
	v_pk_fma_f32 v[8:9], v[212:213], v[0:1], v[204:205] op_sel:[0,0,1] op_sel_hi:[1,0,0]
	v_pk_fma_f32 v[18:19], v[210:211], v[0:1], v[20:21] op_sel:[0,0,1] op_sel_hi:[1,1,0] neg_lo:[0,0,1] neg_hi:[0,0,1]
	s_wait_dscnt 0x1
	v_dual_mul_f32 v8, v215, v0 :: v_dual_mul_f32 v206, v215, v3
	v_mov_b32_e32 v19, v203
	v_pk_fma_f32 v[20:21], v[212:213], v[0:1], v[204:205] op_sel:[0,0,1] op_sel_hi:[1,1,0] neg_lo:[0,0,1] neg_hi:[0,0,1]
	v_mov_b32_e32 v21, v9
	ds_load_2addr_b64 v[202:205], v12 offset0:24 offset1:25
	v_pk_fma_f32 v[8:9], v[214:215], v[70:71], v[8:9] op_sel:[1,0,0] op_sel_hi:[0,1,0]
	v_pk_add_f32 v[58:59], v[58:59], v[18:19] neg_lo:[0,1] neg_hi:[0,1]
	v_pk_mul_f32 v[18:19], v[216:217], v[2:3] op_sel:[0,1]
	v_pk_add_f32 v[54:55], v[54:55], v[20:21] neg_lo:[0,1] neg_hi:[0,1]
	v_pk_fma_f32 v[20:21], v[214:215], v[70:71], v[206:207] op_sel_hi:[1,1,0] neg_lo:[0,0,1] neg_hi:[0,0,1]
	ds_load_2addr_b64 v[206:209], v12 offset0:26 offset1:27
	s_wait_dscnt 0x2
	v_pk_mul_f32 v[212:213], v[6:7], v[2:3] op_sel:[0,1]
	v_pk_fma_f32 v[210:211], v[216:217], v[0:1], v[18:19] op_sel:[0,0,1] op_sel_hi:[1,0,0]
	v_mov_b32_e32 v21, v9
	v_pk_mul_f32 v[8:9], v[4:5], v[2:3] op_sel:[0,1]
	v_pk_fma_f32 v[18:19], v[216:217], v[0:1], v[18:19] op_sel:[0,0,1] op_sel_hi:[1,1,0] neg_lo:[0,0,1] neg_hi:[0,0,1]
	v_pk_fma_f32 v[214:215], v[6:7], v[0:1], v[212:213] op_sel:[0,0,1] op_sel_hi:[1,0,0]
	v_mov_b32_e32 v19, v211
	v_pk_add_f32 v[86:87], v[86:87], v[20:21] neg_lo:[0,1] neg_hi:[0,1]
	v_pk_fma_f32 v[20:21], v[4:5], v[0:1], v[8:9] op_sel:[0,0,1] op_sel_hi:[1,0,0]
	v_pk_fma_f32 v[4:5], v[4:5], v[0:1], v[8:9] op_sel:[0,0,1] op_sel_hi:[1,1,0] neg_lo:[0,0,1] neg_hi:[0,0,1]
	v_pk_fma_f32 v[8:9], v[6:7], v[0:1], v[212:213] op_sel:[0,0,1] op_sel_hi:[1,1,0] neg_lo:[0,0,1] neg_hi:[0,0,1]
	v_mov_b32_e32 v9, v215
	v_pk_add_f32 v[82:83], v[82:83], v[18:19] neg_lo:[0,1] neg_hi:[0,1]
	v_mov_b32_e32 v5, v21
	s_wait_dscnt 0x1
	v_pk_mul_f32 v[20:21], v[202:203], v[2:3] op_sel:[0,1]
	v_dual_mov_b32 v18, v205 :: v_dual_mov_b32 v19, v204
	v_pk_add_f32 v[80:81], v[80:81], v[8:9] neg_lo:[0,1] neg_hi:[0,1]
	v_pk_add_f32 v[84:85], v[84:85], v[4:5] neg_lo:[0,1] neg_hi:[0,1]
	ds_load_2addr_b64 v[4:7], v12 offset0:28 offset1:29
	v_pk_fma_f32 v[8:9], v[202:203], v[0:1], v[20:21] op_sel:[0,0,1] op_sel_hi:[1,0,0]
	v_dual_mul_f32 v8, v205, v0 :: v_dual_mul_f32 v214, v205, v3
	s_wait_dscnt 0x1
	v_pk_mul_f32 v[216:217], v[206:207], v[2:3] op_sel:[0,1]
	ds_load_2addr_b64 v[210:213], v12 offset0:30 offset1:31
	v_pk_fma_f32 v[20:21], v[202:203], v[0:1], v[20:21] op_sel:[0,0,1] op_sel_hi:[1,1,0] neg_lo:[0,0,1] neg_hi:[0,0,1]
	v_pk_fma_f32 v[18:19], v[18:19], v[70:71], v[8:9] op_sel_hi:[1,1,0]
	v_mov_b32_e32 v21, v9
	v_pk_fma_f32 v[8:9], v[206:207], v[0:1], v[216:217] op_sel:[0,0,1] op_sel_hi:[1,0,0]
	v_pk_fma_f32 v[202:203], v[204:205], v[70:71], v[214:215] op_sel_hi:[1,1,0] neg_lo:[0,0,1] neg_hi:[0,0,1]
	v_pk_mul_f32 v[204:205], v[208:209], v[2:3] op_sel:[0,1]
	v_mov_b32_e32 v203, v19
	v_pk_fma_f32 v[18:19], v[206:207], v[0:1], v[216:217] op_sel:[0,0,1] op_sel_hi:[1,1,0] neg_lo:[0,0,1] neg_hi:[0,0,1]
	v_mov_b32_e32 v19, v9
	v_pk_add_f32 v[110:111], v[110:111], v[20:21] neg_lo:[0,1] neg_hi:[0,1]
	v_pk_fma_f32 v[8:9], v[208:209], v[0:1], v[204:205] op_sel:[0,0,1] op_sel_hi:[1,0,0]
	v_pk_add_f32 v[106:107], v[106:107], v[202:203] neg_lo:[0,1] neg_hi:[0,1]
	v_pk_add_f32 v[102:103], v[102:103], v[228:229] neg_lo:[0,1] neg_hi:[0,1]
	;; [unrolled: 1-line block ×3, first 2 shown]
	s_wait_dscnt 0x1
	v_pk_mul_f32 v[20:21], v[4:5], v[2:3] op_sel:[0,1]
	v_pk_fma_f32 v[18:19], v[208:209], v[0:1], v[204:205] op_sel:[0,0,1] op_sel_hi:[1,1,0] neg_lo:[0,0,1] neg_hi:[0,0,1]
	ds_load_2addr_b64 v[202:205], v12 offset0:32 offset1:33
	ds_load_2addr_b64 v[206:209], v12 offset0:34 offset1:35
	v_pk_mul_f32 v[214:215], v[6:7], v[2:3] op_sel:[0,1]
	v_mov_b32_e32 v19, v9
	v_pk_fma_f32 v[8:9], v[4:5], v[0:1], v[20:21] op_sel:[0,0,1] op_sel_hi:[1,0,0]
	s_wait_dscnt 0x2
	v_mul_f32_e32 v8, v211, v0
	v_pk_fma_f32 v[4:5], v[4:5], v[0:1], v[20:21] op_sel:[0,0,1] op_sel_hi:[1,1,0] neg_lo:[0,0,1] neg_hi:[0,0,1]
	v_pk_fma_f32 v[20:21], v[6:7], v[0:1], v[214:215] op_sel:[0,0,1] op_sel_hi:[1,0,0]
	v_dual_mul_f32 v20, v211, v3 :: v_dual_mov_b32 v5, v9
	s_delay_alu instid0(VALU_DEP_4)
	v_pk_fma_f32 v[8:9], v[210:211], v[70:71], v[8:9] op_sel:[1,0,0] op_sel_hi:[0,1,0]
	v_pk_fma_f32 v[6:7], v[6:7], v[0:1], v[214:215] op_sel:[0,0,1] op_sel_hi:[1,1,0] neg_lo:[0,0,1] neg_hi:[0,0,1]
	v_pk_mul_f32 v[214:215], v[212:213], v[2:3] op_sel:[0,1]
	v_mov_b32_e32 v7, v21
	v_pk_fma_f32 v[20:21], v[210:211], v[70:71], v[20:21] op_sel_hi:[1,1,0] neg_lo:[0,0,1] neg_hi:[0,0,1]
	v_mov_b32_e32 v21, v9
	v_pk_add_f32 v[104:105], v[104:105], v[18:19] neg_lo:[0,1] neg_hi:[0,1]
	v_pk_fma_f32 v[8:9], v[212:213], v[0:1], v[214:215] op_sel:[0,0,1] op_sel_hi:[1,0,0]
	v_pk_fma_f32 v[18:19], v[212:213], v[0:1], v[214:215] op_sel:[0,0,1] op_sel_hi:[1,1,0] neg_lo:[0,0,1] neg_hi:[0,0,1]
	v_pk_add_f32 v[128:129], v[128:129], v[4:5] neg_lo:[0,1] neg_hi:[0,1]
	v_pk_add_f32 v[124:125], v[124:125], v[6:7] neg_lo:[0,1] neg_hi:[0,1]
	ds_load_2addr_b64 v[4:7], v12 offset0:36 offset1:37
	v_mov_b32_e32 v19, v9
	s_wait_dscnt 0x2
	v_pk_mul_f32 v[8:9], v[202:203], v[2:3] op_sel:[0,1]
	v_pk_add_f32 v[126:127], v[126:127], v[20:21] neg_lo:[0,1] neg_hi:[0,1]
	v_pk_mul_f32 v[20:21], v[204:205], v[2:3] op_sel:[0,1]
	s_wait_dscnt 0x1
	v_pk_mul_f32 v[214:215], v[206:207], v[2:3] op_sel:[0,1]
	v_pk_add_f32 v[122:123], v[122:123], v[18:19] neg_lo:[0,1] neg_hi:[0,1]
	v_pk_fma_f32 v[18:19], v[202:203], v[0:1], v[8:9] op_sel:[0,0,1] op_sel_hi:[1,0,0]
	ds_load_2addr_b64 v[210:213], v12 offset0:38 offset1:39
	v_pk_fma_f32 v[8:9], v[202:203], v[0:1], v[8:9] op_sel:[0,0,1] op_sel_hi:[1,1,0] neg_lo:[0,0,1] neg_hi:[0,0,1]
	v_pk_fma_f32 v[202:203], v[204:205], v[0:1], v[20:21] op_sel:[0,0,1] op_sel_hi:[1,0,0]
	v_pk_fma_f32 v[216:217], v[206:207], v[0:1], v[214:215] op_sel:[0,0,1] op_sel_hi:[1,0,0]
	v_mov_b32_e32 v9, v19
	v_pk_fma_f32 v[18:19], v[204:205], v[0:1], v[20:21] op_sel:[0,0,1] op_sel_hi:[1,1,0] neg_lo:[0,0,1] neg_hi:[0,0,1]
	v_pk_fma_f32 v[20:21], v[206:207], v[0:1], v[214:215] op_sel:[0,0,1] op_sel_hi:[1,1,0] neg_lo:[0,0,1] neg_hi:[0,0,1]
	s_delay_alu instid0(VALU_DEP_4) | instskip(SKIP_3) | instid1(VALU_DEP_4)
	v_dual_mov_b32 v19, v203 :: v_dual_mov_b32 v21, v217
	v_dual_mov_b32 v202, v209 :: v_dual_mov_b32 v203, v208
	v_mul_f32_e32 v204, v209, v0
	v_pk_add_f32 v[148:149], v[148:149], v[8:9] neg_lo:[0,1] neg_hi:[0,1]
	v_pk_add_f32 v[144:145], v[144:145], v[18:19] neg_lo:[0,1] neg_hi:[0,1]
	;; [unrolled: 1-line block ×3, first 2 shown]
	s_wait_dscnt 0x1
	v_pk_mul_f32 v[20:21], v[4:5], v[2:3] op_sel:[0,1]
	v_pk_fma_f32 v[18:19], v[202:203], v[70:71], v[204:205] op_sel_hi:[1,1,0]
	v_mul_f32_e32 v8, v209, v3
	ds_load_2addr_b64 v[202:205], v12 offset0:40 offset1:41
	v_pk_mul_f32 v[214:215], v[6:7], v[2:3] op_sel:[0,1]
	s_wait_dscnt 0x1
	v_pk_mul_f32 v[216:217], v[210:211], v[2:3] op_sel:[0,1]
	v_pk_fma_f32 v[8:9], v[208:209], v[70:71], v[8:9] op_sel_hi:[1,1,0] neg_lo:[0,0,1] neg_hi:[0,0,1]
	ds_load_2addr_b64 v[206:209], v12 offset0:42 offset1:43
	v_mov_b32_e32 v9, v19
	v_pk_fma_f32 v[18:19], v[4:5], v[0:1], v[20:21] op_sel:[0,0,1] op_sel_hi:[1,0,0]
	v_pk_fma_f32 v[4:5], v[4:5], v[0:1], v[20:21] op_sel:[0,0,1] op_sel_hi:[1,1,0] neg_lo:[0,0,1] neg_hi:[0,0,1]
	v_pk_fma_f32 v[218:219], v[6:7], v[0:1], v[214:215] op_sel:[0,0,1] op_sel_hi:[1,0,0]
	v_pk_fma_f32 v[20:21], v[210:211], v[0:1], v[216:217] op_sel:[0,0,1] op_sel_hi:[1,1,0] neg_lo:[0,0,1] neg_hi:[0,0,1]
	v_pk_fma_f32 v[6:7], v[6:7], v[0:1], v[214:215] op_sel:[0,0,1] op_sel_hi:[1,1,0] neg_lo:[0,0,1] neg_hi:[0,0,1]
	v_mov_b32_e32 v5, v19
	v_pk_fma_f32 v[18:19], v[210:211], v[0:1], v[216:217] op_sel:[0,0,1] op_sel_hi:[1,0,0]
	v_pk_mul_f32 v[210:211], v[212:213], v[2:3] op_sel:[0,1]
	v_mov_b32_e32 v7, v219
	v_pk_add_f32 v[142:143], v[142:143], v[8:9] neg_lo:[0,1] neg_hi:[0,1]
	v_pk_add_f32 v[170:171], v[170:171], v[4:5] neg_lo:[0,1] neg_hi:[0,1]
	s_delay_alu instid0(VALU_DEP_4)
	v_pk_fma_f32 v[4:5], v[212:213], v[0:1], v[210:211] op_sel:[0,0,1] op_sel_hi:[1,0,0]
	v_mov_b32_e32 v21, v19
	s_wait_dscnt 0x1
	v_dual_mul_f32 v4, v203, v0 :: v_dual_mul_f32 v8, v203, v3
	v_pk_add_f32 v[164:165], v[164:165], v[6:7] neg_lo:[0,1] neg_hi:[0,1]
	v_pk_fma_f32 v[6:7], v[212:213], v[0:1], v[210:211] op_sel:[0,0,1] op_sel_hi:[1,1,0] neg_lo:[0,0,1] neg_hi:[0,0,1]
	v_mov_b32_e32 v7, v5
	v_pk_add_f32 v[168:169], v[168:169], v[20:21] neg_lo:[0,1] neg_hi:[0,1]
	v_pk_mul_f32 v[18:19], v[204:205], v[2:3] op_sel:[0,1]
	v_pk_fma_f32 v[4:5], v[202:203], v[70:71], v[4:5] op_sel:[1,0,0] op_sel_hi:[0,1,0]
	s_wait_dscnt 0x0
	v_pk_mul_f32 v[20:21], v[206:207], v[2:3] op_sel:[0,1]
	v_pk_mul_f32 v[2:3], v[208:209], v[2:3] op_sel:[0,1]
	v_pk_fma_f32 v[8:9], v[202:203], v[70:71], v[8:9] op_sel_hi:[1,1,0] neg_lo:[0,0,1] neg_hi:[0,0,1]
	v_pk_fma_f32 v[202:203], v[204:205], v[0:1], v[18:19] op_sel:[0,0,1] op_sel_hi:[1,0,0]
	v_mov_b32_e32 v9, v5
	v_pk_fma_f32 v[4:5], v[206:207], v[0:1], v[20:21] op_sel:[0,0,1] op_sel_hi:[1,0,0]
	v_pk_fma_f32 v[18:19], v[204:205], v[0:1], v[18:19] op_sel:[0,0,1] op_sel_hi:[1,1,0] neg_lo:[0,0,1] neg_hi:[0,0,1]
	v_pk_fma_f32 v[204:205], v[208:209], v[0:1], v[2:3] op_sel:[0,0,1] op_sel_hi:[1,0,0]
	v_pk_fma_f32 v[20:21], v[206:207], v[0:1], v[20:21] op_sel:[0,0,1] op_sel_hi:[1,1,0] neg_lo:[0,0,1] neg_hi:[0,0,1]
	v_pk_fma_f32 v[0:1], v[208:209], v[0:1], v[2:3] op_sel:[0,0,1] op_sel_hi:[1,1,0] neg_lo:[0,0,1] neg_hi:[0,0,1]
	v_dual_mov_b32 v19, v203 :: v_dual_mov_b32 v21, v5
	s_delay_alu instid0(VALU_DEP_4) | instskip(SKIP_2) | instid1(VALU_DEP_4)
	v_mov_b32_e32 v1, v205
	v_pk_add_f32 v[162:163], v[162:163], v[6:7] neg_lo:[0,1] neg_hi:[0,1]
	v_pk_add_f32 v[166:167], v[166:167], v[8:9] neg_lo:[0,1] neg_hi:[0,1]
	v_pk_add_f32 v[160:161], v[160:161], v[18:19] neg_lo:[0,1] neg_hi:[0,1]
	v_pk_add_f32 v[172:173], v[172:173], v[20:21] neg_lo:[0,1] neg_hi:[0,1]
	v_pk_add_f32 v[176:177], v[176:177], v[0:1] neg_lo:[0,1] neg_hi:[0,1]
.LBB87_109:
	s_or_b32 exec_lo, exec_lo, s1
	s_delay_alu instid0(SALU_CYCLE_1)
	s_mov_b32 s2, exec_lo
	s_wait_dscnt 0x0
	s_barrier_signal -1
	s_barrier_wait -1
	v_cmpx_eq_u32_e32 12, v30
	s_cbranch_execz .LBB87_116
; %bb.110:
	ds_store_b64 v31, v[102:103]
	ds_store_2addr_b64 v12, v[68:69], v[100:101] offset0:13 offset1:14
	ds_store_2addr_b64 v12, v[98:99], v[120:121] offset0:15 offset1:16
	;; [unrolled: 1-line block ×15, first 2 shown]
	ds_store_b64 v12, v[176:177] offset:344
	ds_load_b64 v[0:1], v31
	s_wait_dscnt 0x0
	v_cmp_neq_f32_e32 vcc_lo, 0, v0
	v_cmp_neq_f32_e64 s1, 0, v1
	s_or_b32 s1, vcc_lo, s1
	s_delay_alu instid0(SALU_CYCLE_1)
	s_and_b32 exec_lo, exec_lo, s1
	s_cbranch_execz .LBB87_116
; %bb.111:
	v_cmp_ngt_f32_e64 s1, |v0|, |v1|
                                        ; implicit-def: $vgpr2_vgpr3
	s_and_saveexec_b32 s4, s1
	s_delay_alu instid0(SALU_CYCLE_1)
	s_xor_b32 s1, exec_lo, s4
	s_cbranch_execz .LBB87_113
; %bb.112:
	v_div_scale_f32 v2, null, v1, v1, v0
	v_div_scale_f32 v5, vcc_lo, v0, v1, v0
	s_delay_alu instid0(VALU_DEP_2) | instskip(SKIP_1) | instid1(TRANS32_DEP_1)
	v_rcp_f32_e32 v3, v2
	v_nop
	v_fma_f32 v4, -v2, v3, 1.0
	s_delay_alu instid0(VALU_DEP_1) | instskip(NEXT) | instid1(VALU_DEP_1)
	v_fmac_f32_e32 v3, v4, v3
	v_mul_f32_e32 v4, v5, v3
	s_delay_alu instid0(VALU_DEP_1) | instskip(NEXT) | instid1(VALU_DEP_1)
	v_fma_f32 v6, -v2, v4, v5
	v_fmac_f32_e32 v4, v6, v3
	s_delay_alu instid0(VALU_DEP_1) | instskip(NEXT) | instid1(VALU_DEP_1)
	v_fma_f32 v2, -v2, v4, v5
	v_div_fmas_f32 v2, v2, v3, v4
	s_delay_alu instid0(VALU_DEP_1) | instskip(NEXT) | instid1(VALU_DEP_1)
	v_div_fixup_f32 v2, v2, v1, v0
	v_fmac_f32_e32 v1, v0, v2
	s_delay_alu instid0(VALU_DEP_1) | instskip(SKIP_1) | instid1(VALU_DEP_2)
	v_div_scale_f32 v0, null, v1, v1, 1.0
	v_div_scale_f32 v5, vcc_lo, 1.0, v1, 1.0
	v_rcp_f32_e32 v3, v0
	v_nop
	s_delay_alu instid0(TRANS32_DEP_1) | instskip(NEXT) | instid1(VALU_DEP_1)
	v_fma_f32 v4, -v0, v3, 1.0
	v_fmac_f32_e32 v3, v4, v3
	s_delay_alu instid0(VALU_DEP_1) | instskip(NEXT) | instid1(VALU_DEP_1)
	v_mul_f32_e32 v4, v5, v3
	v_fma_f32 v6, -v0, v4, v5
	s_delay_alu instid0(VALU_DEP_1) | instskip(NEXT) | instid1(VALU_DEP_1)
	v_fmac_f32_e32 v4, v6, v3
	v_fma_f32 v0, -v0, v4, v5
	s_delay_alu instid0(VALU_DEP_1) | instskip(NEXT) | instid1(VALU_DEP_1)
	v_div_fmas_f32 v0, v0, v3, v4
	v_div_fixup_f32 v0, v0, v1, 1.0
	s_delay_alu instid0(VALU_DEP_1)
	v_mul_f32_e32 v2, v2, v0
	v_xor_b32_e32 v3, 0x80000000, v0
                                        ; implicit-def: $vgpr0_vgpr1
.LBB87_113:
	s_and_not1_saveexec_b32 s1, s1
	s_cbranch_execz .LBB87_115
; %bb.114:
	v_div_scale_f32 v2, null, v0, v0, v1
	v_div_scale_f32 v5, vcc_lo, v1, v0, v1
	s_delay_alu instid0(VALU_DEP_2) | instskip(SKIP_1) | instid1(TRANS32_DEP_1)
	v_rcp_f32_e32 v3, v2
	v_nop
	v_fma_f32 v4, -v2, v3, 1.0
	s_delay_alu instid0(VALU_DEP_1) | instskip(NEXT) | instid1(VALU_DEP_1)
	v_fmac_f32_e32 v3, v4, v3
	v_mul_f32_e32 v4, v5, v3
	s_delay_alu instid0(VALU_DEP_1) | instskip(NEXT) | instid1(VALU_DEP_1)
	v_fma_f32 v6, -v2, v4, v5
	v_fmac_f32_e32 v4, v6, v3
	s_delay_alu instid0(VALU_DEP_1) | instskip(NEXT) | instid1(VALU_DEP_1)
	v_fma_f32 v2, -v2, v4, v5
	v_div_fmas_f32 v2, v2, v3, v4
	s_delay_alu instid0(VALU_DEP_1) | instskip(NEXT) | instid1(VALU_DEP_1)
	v_div_fixup_f32 v3, v2, v0, v1
	v_fmac_f32_e32 v0, v1, v3
	s_delay_alu instid0(VALU_DEP_1) | instskip(NEXT) | instid1(VALU_DEP_1)
	v_div_scale_f32 v1, null, v0, v0, 1.0
	v_rcp_f32_e32 v2, v1
	v_nop
	s_delay_alu instid0(TRANS32_DEP_1) | instskip(NEXT) | instid1(VALU_DEP_1)
	v_fma_f32 v4, -v1, v2, 1.0
	v_fmac_f32_e32 v2, v4, v2
	v_div_scale_f32 v4, vcc_lo, 1.0, v0, 1.0
	s_delay_alu instid0(VALU_DEP_1) | instskip(NEXT) | instid1(VALU_DEP_1)
	v_mul_f32_e32 v5, v4, v2
	v_fma_f32 v6, -v1, v5, v4
	s_delay_alu instid0(VALU_DEP_1) | instskip(NEXT) | instid1(VALU_DEP_1)
	v_fmac_f32_e32 v5, v6, v2
	v_fma_f32 v1, -v1, v5, v4
	s_delay_alu instid0(VALU_DEP_1) | instskip(NEXT) | instid1(VALU_DEP_1)
	v_div_fmas_f32 v1, v1, v2, v5
	v_div_fixup_f32 v2, v1, v0, 1.0
	s_delay_alu instid0(VALU_DEP_1)
	v_mul_f32_e64 v3, v3, -v2
.LBB87_115:
	s_or_b32 exec_lo, exec_lo, s1
	ds_store_b64 v31, v[2:3]
.LBB87_116:
	s_or_b32 exec_lo, exec_lo, s2
	s_wait_dscnt 0x0
	s_barrier_signal -1
	s_barrier_wait -1
	ds_load_b64 v[202:203], v31
	s_mov_b32 s1, exec_lo
	v_cmpx_lt_u32_e32 12, v30
	s_cbranch_execz .LBB87_118
; %bb.117:
	ds_load_2addr_b64 v[4:7], v12 offset0:13 offset1:14
	ds_load_2addr_b64 v[204:207], v12 offset0:15 offset1:16
	;; [unrolled: 1-line block ×3, first 2 shown]
	s_wait_dscnt 0x3
	v_pk_mul_f32 v[2:3], v[202:203], v[102:103] op_sel:[1,1] op_sel_hi:[0,1]
	ds_load_2addr_b64 v[212:215], v12 offset0:19 offset1:20
	ds_load_2addr_b64 v[216:219], v12 offset0:21 offset1:22
	v_pk_fma_f32 v[0:1], v[202:203], v[102:103], v[2:3] op_sel_hi:[1,0,1] neg_lo:[0,0,1] neg_hi:[0,0,1]
	v_pk_fma_f32 v[2:3], v[202:203], v[102:103], v[2:3] op_sel_hi:[1,0,1]
	s_delay_alu instid0(VALU_DEP_1) | instskip(SKIP_1) | instid1(VALU_DEP_2)
	v_dual_mov_b32 v102, v0 :: v_dual_mov_b32 v103, v3
	s_wait_dscnt 0x4
	v_pk_mul_f32 v[8:9], v[4:5], v[2:3] op_sel:[0,1]
	v_pk_mul_f32 v[18:19], v[6:7], v[2:3] op_sel:[0,1]
	s_wait_dscnt 0x3
	v_pk_mul_f32 v[20:21], v[204:205], v[2:3] op_sel:[0,1]
	v_dual_mov_b32 v220, v207 :: v_dual_mov_b32 v221, v206
	v_dual_mul_f32 v222, v207, v3 :: v_dual_mul_f32 v224, v207, v0
	v_pk_fma_f32 v[230:231], v[4:5], v[0:1], v[8:9] op_sel:[0,0,1] op_sel_hi:[1,1,0] neg_lo:[0,0,1] neg_hi:[0,0,1]
	v_pk_fma_f32 v[4:5], v[4:5], v[0:1], v[8:9] op_sel:[0,0,1] op_sel_hi:[1,0,0]
	v_pk_fma_f32 v[8:9], v[6:7], v[0:1], v[18:19] op_sel:[0,0,1] op_sel_hi:[1,1,0] neg_lo:[0,0,1] neg_hi:[0,0,1]
	v_pk_fma_f32 v[6:7], v[6:7], v[0:1], v[18:19] op_sel:[0,0,1] op_sel_hi:[1,0,0]
	v_pk_fma_f32 v[18:19], v[204:205], v[0:1], v[20:21] op_sel:[0,0,1] op_sel_hi:[1,1,0] neg_lo:[0,0,1] neg_hi:[0,0,1]
	v_pk_fma_f32 v[20:21], v[204:205], v[0:1], v[20:21] op_sel:[0,0,1] op_sel_hi:[1,0,0]
	v_pk_fma_f32 v[204:205], v[220:221], v[102:103], v[224:225] op_sel_hi:[1,1,0]
	s_wait_dscnt 0x2
	v_pk_mul_f32 v[226:227], v[208:209], v[2:3] op_sel:[0,1]
	v_pk_mul_f32 v[228:229], v[210:211], v[2:3] op_sel:[0,1]
	v_dual_mov_b32 v231, v5 :: v_dual_mov_b32 v9, v7
	v_mov_b32_e32 v19, v21
	v_pk_fma_f32 v[206:207], v[206:207], v[102:103], v[222:223] op_sel_hi:[1,1,0] neg_lo:[0,0,1] neg_hi:[0,0,1]
	v_mov_b32_e32 v207, v205
	v_pk_fma_f32 v[20:21], v[208:209], v[0:1], v[226:227] op_sel:[0,0,1] op_sel_hi:[1,0,0]
	v_pk_add_f32 v[100:101], v[100:101], v[8:9] neg_lo:[0,1] neg_hi:[0,1]
	v_pk_add_f32 v[98:99], v[98:99], v[18:19] neg_lo:[0,1] neg_hi:[0,1]
	s_wait_dscnt 0x1
	v_pk_mul_f32 v[8:9], v[212:213], v[2:3] op_sel:[0,1]
	v_pk_fma_f32 v[18:19], v[210:211], v[0:1], v[228:229] op_sel:[0,0,1] op_sel_hi:[1,0,0]
	ds_load_2addr_b64 v[4:7], v12 offset0:23 offset1:24
	v_pk_add_f32 v[120:121], v[120:121], v[206:207] neg_lo:[0,1] neg_hi:[0,1]
	v_pk_fma_f32 v[204:205], v[208:209], v[0:1], v[226:227] op_sel:[0,0,1] op_sel_hi:[1,1,0] neg_lo:[0,0,1] neg_hi:[0,0,1]
	v_pk_fma_f32 v[206:207], v[210:211], v[0:1], v[228:229] op_sel:[0,0,1] op_sel_hi:[1,1,0] neg_lo:[0,0,1] neg_hi:[0,0,1]
	v_dual_mov_b32 v205, v21 :: v_dual_mov_b32 v207, v19
	v_pk_fma_f32 v[20:21], v[212:213], v[0:1], v[8:9] op_sel:[0,0,1] op_sel_hi:[1,0,0]
	v_pk_mul_f32 v[18:19], v[214:215], v[2:3] op_sel:[0,1]
	v_pk_fma_f32 v[8:9], v[212:213], v[0:1], v[8:9] op_sel:[0,0,1] op_sel_hi:[1,1,0] neg_lo:[0,0,1] neg_hi:[0,0,1]
	s_delay_alu instid0(VALU_DEP_4)
	v_pk_add_f32 v[56:57], v[56:57], v[204:205] neg_lo:[0,1] neg_hi:[0,1]
	v_pk_add_f32 v[58:59], v[58:59], v[206:207] neg_lo:[0,1] neg_hi:[0,1]
	v_mov_b32_e32 v9, v21
	v_pk_fma_f32 v[20:21], v[214:215], v[0:1], v[18:19] op_sel:[0,0,1] op_sel_hi:[1,0,0]
	ds_load_2addr_b64 v[204:207], v12 offset0:25 offset1:26
	v_pk_fma_f32 v[18:19], v[214:215], v[0:1], v[18:19] op_sel:[0,0,1] op_sel_hi:[1,1,0] neg_lo:[0,0,1] neg_hi:[0,0,1]
	s_wait_dscnt 0x2
	v_mul_f32_e32 v20, v217, v3
	v_pk_mul_f32 v[212:213], v[218:219], v[2:3] op_sel:[0,1]
	v_mov_b32_e32 v19, v21
	v_pk_add_f32 v[54:55], v[54:55], v[8:9] neg_lo:[0,1] neg_hi:[0,1]
	v_mul_f32_e32 v8, v217, v0
	s_wait_dscnt 0x1
	v_pk_mul_f32 v[214:215], v[4:5], v[2:3] op_sel:[0,1]
	ds_load_2addr_b64 v[208:211], v12 offset0:27 offset1:28
	v_pk_add_f32 v[86:87], v[86:87], v[18:19] neg_lo:[0,1] neg_hi:[0,1]
	v_pk_fma_f32 v[18:19], v[216:217], v[102:103], v[20:21] op_sel_hi:[1,1,0] neg_lo:[0,0,1] neg_hi:[0,0,1]
	v_pk_fma_f32 v[8:9], v[216:217], v[102:103], v[8:9] op_sel:[1,0,0] op_sel_hi:[0,1,0]
	v_pk_fma_f32 v[20:21], v[218:219], v[0:1], v[212:213] op_sel:[0,0,1] op_sel_hi:[1,0,0]
	v_pk_fma_f32 v[212:213], v[218:219], v[0:1], v[212:213] op_sel:[0,0,1] op_sel_hi:[1,1,0] neg_lo:[0,0,1] neg_hi:[0,0,1]
	v_pk_add_f32 v[68:69], v[68:69], v[230:231] neg_lo:[0,1] neg_hi:[0,1]
	s_delay_alu instid0(VALU_DEP_3) | instskip(SKIP_3) | instid1(VALU_DEP_4)
	v_dual_mov_b32 v19, v9 :: v_dual_mov_b32 v213, v21
	v_pk_fma_f32 v[8:9], v[4:5], v[0:1], v[214:215] op_sel:[0,0,1] op_sel_hi:[1,0,0]
	v_pk_mul_f32 v[20:21], v[6:7], v[2:3] op_sel:[0,1]
	v_pk_fma_f32 v[4:5], v[4:5], v[0:1], v[214:215] op_sel:[0,0,1] op_sel_hi:[1,1,0] neg_lo:[0,0,1] neg_hi:[0,0,1]
	v_pk_add_f32 v[82:83], v[82:83], v[18:19] neg_lo:[0,1] neg_hi:[0,1]
	v_pk_add_f32 v[84:85], v[84:85], v[212:213] neg_lo:[0,1] neg_hi:[0,1]
	s_delay_alu instid0(VALU_DEP_4)
	v_pk_fma_f32 v[18:19], v[6:7], v[0:1], v[20:21] op_sel:[0,0,1] op_sel_hi:[1,0,0]
	v_mov_b32_e32 v5, v9
	s_wait_dscnt 0x1
	v_pk_mul_f32 v[8:9], v[204:205], v[2:3] op_sel:[0,1]
	v_pk_fma_f32 v[20:21], v[6:7], v[0:1], v[20:21] op_sel:[0,0,1] op_sel_hi:[1,1,0] neg_lo:[0,0,1] neg_hi:[0,0,1]
	v_dual_mov_b32 v18, v207 :: v_dual_mov_b32 v21, v19
	v_pk_add_f32 v[80:81], v[80:81], v[4:5] neg_lo:[0,1] neg_hi:[0,1]
	ds_load_2addr_b64 v[4:7], v12 offset0:29 offset1:30
	v_pk_fma_f32 v[212:213], v[204:205], v[0:1], v[8:9] op_sel:[0,0,1] op_sel_hi:[1,0,0]
	v_pk_fma_f32 v[8:9], v[204:205], v[0:1], v[8:9] op_sel:[0,0,1] op_sel_hi:[1,1,0] neg_lo:[0,0,1] neg_hi:[0,0,1]
	s_wait_dscnt 0x1
	v_pk_mul_f32 v[216:217], v[208:209], v[2:3] op_sel:[0,1]
	v_dual_mov_b32 v19, v206 :: v_dual_mul_f32 v204, v207, v0
	v_mov_b32_e32 v9, v213
	v_pk_add_f32 v[110:111], v[110:111], v[20:21] neg_lo:[0,1] neg_hi:[0,1]
	s_delay_alu instid0(VALU_DEP_4)
	v_pk_fma_f32 v[20:21], v[208:209], v[0:1], v[216:217] op_sel:[0,0,1] op_sel_hi:[1,0,0]
	v_pk_mul_f32 v[218:219], v[210:211], v[2:3] op_sel:[0,1]
	v_pk_fma_f32 v[18:19], v[18:19], v[102:103], v[204:205] op_sel_hi:[1,1,0]
	v_pk_add_f32 v[106:107], v[106:107], v[8:9] neg_lo:[0,1] neg_hi:[0,1]
	v_mul_f32_e32 v8, v207, v3
	ds_load_2addr_b64 v[212:215], v12 offset0:31 offset1:32
	v_pk_fma_f32 v[8:9], v[206:207], v[102:103], v[8:9] op_sel_hi:[1,1,0] neg_lo:[0,0,1] neg_hi:[0,0,1]
	v_mov_b32_e32 v9, v19
	v_pk_fma_f32 v[18:19], v[208:209], v[0:1], v[216:217] op_sel:[0,0,1] op_sel_hi:[1,1,0] neg_lo:[0,0,1] neg_hi:[0,0,1]
	v_pk_fma_f32 v[208:209], v[210:211], v[0:1], v[218:219] op_sel:[0,0,1] op_sel_hi:[1,0,0]
	v_mov_b32_e32 v19, v21
	s_wait_dscnt 0x1
	v_pk_mul_f32 v[20:21], v[4:5], v[2:3] op_sel:[0,1]
	ds_load_2addr_b64 v[204:207], v12 offset0:33 offset1:34
	v_pk_fma_f32 v[210:211], v[210:211], v[0:1], v[218:219] op_sel:[0,0,1] op_sel_hi:[1,1,0] neg_lo:[0,0,1] neg_hi:[0,0,1]
	v_mov_b32_e32 v211, v209
	v_pk_add_f32 v[108:109], v[108:109], v[8:9] neg_lo:[0,1] neg_hi:[0,1]
	v_pk_mul_f32 v[8:9], v[6:7], v[2:3] op_sel:[0,1]
	v_pk_fma_f32 v[208:209], v[4:5], v[0:1], v[20:21] op_sel:[0,0,1] op_sel_hi:[1,0,0]
	v_pk_fma_f32 v[4:5], v[4:5], v[0:1], v[20:21] op_sel:[0,0,1] op_sel_hi:[1,1,0] neg_lo:[0,0,1] neg_hi:[0,0,1]
	v_pk_add_f32 v[104:105], v[104:105], v[18:19] neg_lo:[0,1] neg_hi:[0,1]
	v_pk_add_f32 v[128:129], v[128:129], v[210:211] neg_lo:[0,1] neg_hi:[0,1]
	v_pk_fma_f32 v[18:19], v[6:7], v[0:1], v[8:9] op_sel:[0,0,1] op_sel_hi:[1,0,0]
	v_mov_b32_e32 v5, v209
	ds_load_2addr_b64 v[208:211], v12 offset0:35 offset1:36
	v_pk_fma_f32 v[6:7], v[6:7], v[0:1], v[8:9] op_sel:[0,0,1] op_sel_hi:[1,1,0] neg_lo:[0,0,1] neg_hi:[0,0,1]
	s_wait_dscnt 0x2
	v_dual_mul_f32 v8, v213, v0 :: v_dual_mul_f32 v18, v213, v3
	v_mov_b32_e32 v7, v19
	v_pk_add_f32 v[124:125], v[124:125], v[4:5] neg_lo:[0,1] neg_hi:[0,1]
	v_pk_mul_f32 v[4:5], v[214:215], v[2:3] op_sel:[0,1]
	s_delay_alu instid0(VALU_DEP_4)
	v_pk_fma_f32 v[8:9], v[212:213], v[102:103], v[8:9] op_sel:[1,0,0] op_sel_hi:[0,1,0]
	v_pk_fma_f32 v[18:19], v[212:213], v[102:103], v[18:19] op_sel_hi:[1,1,0] neg_lo:[0,0,1] neg_hi:[0,0,1]
	v_pk_add_f32 v[126:127], v[126:127], v[6:7] neg_lo:[0,1] neg_hi:[0,1]
	s_wait_dscnt 0x1
	v_pk_mul_f32 v[6:7], v[204:205], v[2:3] op_sel:[0,1]
	v_pk_fma_f32 v[20:21], v[214:215], v[0:1], v[4:5] op_sel:[0,0,1] op_sel_hi:[1,0,0]
	v_mov_b32_e32 v19, v9
	v_pk_fma_f32 v[8:9], v[214:215], v[0:1], v[4:5] op_sel:[0,0,1] op_sel_hi:[1,1,0] neg_lo:[0,0,1] neg_hi:[0,0,1]
	ds_load_b64 v[216:217], v12 offset:344
	v_pk_fma_f32 v[212:213], v[204:205], v[0:1], v[6:7] op_sel:[0,0,1] op_sel_hi:[1,0,0]
	v_mov_b32_e32 v9, v21
	v_pk_fma_f32 v[20:21], v[204:205], v[0:1], v[6:7] op_sel:[0,0,1] op_sel_hi:[1,1,0] neg_lo:[0,0,1] neg_hi:[0,0,1]
	ds_load_2addr_b64 v[4:7], v12 offset0:37 offset1:38
	v_pk_mul_f32 v[204:205], v[206:207], v[2:3] op_sel:[0,1]
	v_mov_b32_e32 v21, v213
	s_wait_dscnt 0x2
	v_pk_mul_f32 v[212:213], v[208:209], v[2:3] op_sel:[0,1]
	v_pk_add_f32 v[148:149], v[148:149], v[8:9] neg_lo:[0,1] neg_hi:[0,1]
	v_pk_add_f32 v[122:123], v[122:123], v[18:19] neg_lo:[0,1] neg_hi:[0,1]
	v_pk_fma_f32 v[8:9], v[206:207], v[0:1], v[204:205] op_sel:[0,0,1] op_sel_hi:[1,0,0]
	v_pk_add_f32 v[144:145], v[144:145], v[20:21] neg_lo:[0,1] neg_hi:[0,1]
	v_pk_fma_f32 v[18:19], v[208:209], v[0:1], v[212:213] op_sel:[0,0,1] op_sel_hi:[1,0,0]
	v_pk_fma_f32 v[20:21], v[206:207], v[0:1], v[204:205] op_sel:[0,0,1] op_sel_hi:[1,1,0] neg_lo:[0,0,1] neg_hi:[0,0,1]
	ds_load_2addr_b64 v[204:207], v12 offset0:39 offset1:40
	v_dual_mov_b32 v21, v9 :: v_dual_mov_b32 v18, v211
	v_pk_fma_f32 v[8:9], v[208:209], v[0:1], v[212:213] op_sel:[0,0,1] op_sel_hi:[1,1,0] neg_lo:[0,0,1] neg_hi:[0,0,1]
	v_dual_mov_b32 v9, v19 :: v_dual_mov_b32 v19, v210
	v_mul_f32_e32 v208, v211, v0
	ds_load_2addr_b64 v[212:215], v12 offset0:41 offset1:42
	v_pk_add_f32 v[146:147], v[146:147], v[20:21] neg_lo:[0,1] neg_hi:[0,1]
	v_pk_add_f32 v[142:143], v[142:143], v[8:9] neg_lo:[0,1] neg_hi:[0,1]
	v_mul_f32_e32 v8, v211, v3
	v_pk_fma_f32 v[18:19], v[18:19], v[102:103], v[208:209] op_sel_hi:[1,1,0]
	s_wait_dscnt 0x2
	v_pk_mul_f32 v[208:209], v[6:7], v[2:3] op_sel:[0,1]
	v_pk_mul_f32 v[20:21], v[4:5], v[2:3] op_sel:[0,1]
	v_pk_fma_f32 v[8:9], v[210:211], v[102:103], v[8:9] op_sel_hi:[1,1,0] neg_lo:[0,0,1] neg_hi:[0,0,1]
	v_mov_b32_e32 v9, v19
	s_delay_alu instid0(VALU_DEP_4) | instskip(NEXT) | instid1(VALU_DEP_4)
	v_pk_fma_f32 v[18:19], v[6:7], v[0:1], v[208:209] op_sel:[0,0,1] op_sel_hi:[1,0,0]
	v_pk_fma_f32 v[210:211], v[4:5], v[0:1], v[20:21] op_sel:[0,0,1] op_sel_hi:[1,0,0]
	v_pk_fma_f32 v[4:5], v[4:5], v[0:1], v[20:21] op_sel:[0,0,1] op_sel_hi:[1,1,0] neg_lo:[0,0,1] neg_hi:[0,0,1]
	s_wait_dscnt 0x1
	v_pk_mul_f32 v[20:21], v[204:205], v[2:3] op_sel:[0,1]
	v_pk_fma_f32 v[6:7], v[6:7], v[0:1], v[208:209] op_sel:[0,0,1] op_sel_hi:[1,1,0] neg_lo:[0,0,1] neg_hi:[0,0,1]
	v_mov_b32_e32 v7, v19
	v_pk_mul_f32 v[18:19], v[206:207], v[2:3] op_sel:[0,1]
	v_mov_b32_e32 v5, v211
	v_pk_add_f32 v[170:171], v[170:171], v[8:9] neg_lo:[0,1] neg_hi:[0,1]
	v_pk_fma_f32 v[8:9], v[204:205], v[0:1], v[20:21] op_sel:[0,0,1] op_sel_hi:[1,0,0]
	v_pk_add_f32 v[168:169], v[168:169], v[6:7] neg_lo:[0,1] neg_hi:[0,1]
	v_pk_fma_f32 v[6:7], v[206:207], v[0:1], v[18:19] op_sel:[0,0,1] op_sel_hi:[1,1,0] neg_lo:[0,0,1] neg_hi:[0,0,1]
	s_wait_dscnt 0x0
	v_mul_f32_e32 v8, v213, v0
	v_pk_fma_f32 v[18:19], v[206:207], v[0:1], v[18:19] op_sel:[0,0,1] op_sel_hi:[1,0,0]
	v_pk_add_f32 v[164:165], v[164:165], v[4:5] neg_lo:[0,1] neg_hi:[0,1]
	v_pk_fma_f32 v[4:5], v[204:205], v[0:1], v[20:21] op_sel:[0,0,1] op_sel_hi:[1,1,0] neg_lo:[0,0,1] neg_hi:[0,0,1]
	v_pk_mul_f32 v[20:21], v[214:215], v[2:3] op_sel:[0,1]
	v_mul_f32_e32 v18, v213, v3
	v_pk_mul_f32 v[2:3], v[216:217], v[2:3] op_sel:[0,1]
	v_dual_mov_b32 v5, v9 :: v_dual_mov_b32 v7, v19
	v_pk_fma_f32 v[8:9], v[212:213], v[102:103], v[8:9] op_sel:[1,0,0] op_sel_hi:[0,1,0]
	v_pk_fma_f32 v[204:205], v[214:215], v[0:1], v[20:21] op_sel:[0,0,1] op_sel_hi:[1,0,0]
	s_delay_alu instid0(VALU_DEP_4)
	v_pk_fma_f32 v[206:207], v[216:217], v[0:1], v[2:3] op_sel:[0,0,1] op_sel_hi:[1,0,0]
	v_pk_fma_f32 v[18:19], v[212:213], v[102:103], v[18:19] op_sel_hi:[1,1,0] neg_lo:[0,0,1] neg_hi:[0,0,1]
	v_pk_add_f32 v[162:163], v[162:163], v[4:5] neg_lo:[0,1] neg_hi:[0,1]
	v_mov_b32_e32 v19, v9
	v_pk_fma_f32 v[8:9], v[214:215], v[0:1], v[20:21] op_sel:[0,0,1] op_sel_hi:[1,1,0] neg_lo:[0,0,1] neg_hi:[0,0,1]
	v_pk_fma_f32 v[0:1], v[216:217], v[0:1], v[2:3] op_sel:[0,0,1] op_sel_hi:[1,1,0] neg_lo:[0,0,1] neg_hi:[0,0,1]
	v_dual_mov_b32 v9, v205 :: v_dual_mov_b32 v1, v207
	v_pk_add_f32 v[166:167], v[166:167], v[6:7] neg_lo:[0,1] neg_hi:[0,1]
	v_pk_add_f32 v[160:161], v[160:161], v[18:19] neg_lo:[0,1] neg_hi:[0,1]
	s_delay_alu instid0(VALU_DEP_3) | instskip(NEXT) | instid1(VALU_DEP_4)
	v_pk_add_f32 v[172:173], v[172:173], v[8:9] neg_lo:[0,1] neg_hi:[0,1]
	v_pk_add_f32 v[176:177], v[176:177], v[0:1] neg_lo:[0,1] neg_hi:[0,1]
.LBB87_118:
	s_or_b32 exec_lo, exec_lo, s1
	s_delay_alu instid0(SALU_CYCLE_1)
	s_mov_b32 s2, exec_lo
	s_wait_dscnt 0x0
	s_barrier_signal -1
	s_barrier_wait -1
	v_cmpx_eq_u32_e32 13, v30
	s_cbranch_execz .LBB87_125
; %bb.119:
	v_dual_mov_b32 v0, v100 :: v_dual_mov_b32 v1, v101
	v_dual_mov_b32 v2, v98 :: v_dual_mov_b32 v3, v99
	;; [unrolled: 1-line block ×8, first 2 shown]
	ds_store_b64 v31, v[68:69]
	ds_store_2addr_b64 v12, v[0:1], v[2:3] offset0:14 offset1:15
	ds_store_2addr_b64 v12, v[4:5], v[6:7] offset0:16 offset1:17
	;; [unrolled: 1-line block ×4, first 2 shown]
	v_dual_mov_b32 v0, v84 :: v_dual_mov_b32 v1, v85
	v_dual_mov_b32 v2, v80 :: v_dual_mov_b32 v3, v81
	;; [unrolled: 1-line block ×12, first 2 shown]
	ds_store_2addr_b64 v12, v[0:1], v[2:3] offset0:22 offset1:23
	ds_store_2addr_b64 v12, v[4:5], v[6:7] offset0:24 offset1:25
	;; [unrolled: 1-line block ×6, first 2 shown]
	v_dual_mov_b32 v0, v146 :: v_dual_mov_b32 v1, v147
	v_dual_mov_b32 v2, v142 :: v_dual_mov_b32 v3, v143
	;; [unrolled: 1-line block ×9, first 2 shown]
	ds_store_2addr_b64 v12, v[0:1], v[2:3] offset0:34 offset1:35
	ds_store_2addr_b64 v12, v[4:5], v[6:7] offset0:36 offset1:37
	ds_store_2addr_b64 v12, v[8:9], v[18:19] offset0:38 offset1:39
	ds_store_2addr_b64 v12, v[20:21], v[204:205] offset0:40 offset1:41
	ds_store_2addr_b64 v12, v[206:207], v[176:177] offset0:42 offset1:43
	ds_load_b64 v[0:1], v31
	s_wait_dscnt 0x0
	v_cmp_neq_f32_e32 vcc_lo, 0, v0
	v_cmp_neq_f32_e64 s1, 0, v1
	s_or_b32 s1, vcc_lo, s1
	s_delay_alu instid0(SALU_CYCLE_1)
	s_and_b32 exec_lo, exec_lo, s1
	s_cbranch_execz .LBB87_125
; %bb.120:
	v_cmp_ngt_f32_e64 s1, |v0|, |v1|
                                        ; implicit-def: $vgpr2_vgpr3
	s_and_saveexec_b32 s4, s1
	s_delay_alu instid0(SALU_CYCLE_1)
	s_xor_b32 s1, exec_lo, s4
	s_cbranch_execz .LBB87_122
; %bb.121:
	v_div_scale_f32 v2, null, v1, v1, v0
	v_div_scale_f32 v5, vcc_lo, v0, v1, v0
	s_delay_alu instid0(VALU_DEP_2) | instskip(SKIP_1) | instid1(TRANS32_DEP_1)
	v_rcp_f32_e32 v3, v2
	v_nop
	v_fma_f32 v4, -v2, v3, 1.0
	s_delay_alu instid0(VALU_DEP_1) | instskip(NEXT) | instid1(VALU_DEP_1)
	v_fmac_f32_e32 v3, v4, v3
	v_mul_f32_e32 v4, v5, v3
	s_delay_alu instid0(VALU_DEP_1) | instskip(NEXT) | instid1(VALU_DEP_1)
	v_fma_f32 v6, -v2, v4, v5
	v_fmac_f32_e32 v4, v6, v3
	s_delay_alu instid0(VALU_DEP_1) | instskip(NEXT) | instid1(VALU_DEP_1)
	v_fma_f32 v2, -v2, v4, v5
	v_div_fmas_f32 v2, v2, v3, v4
	s_delay_alu instid0(VALU_DEP_1) | instskip(NEXT) | instid1(VALU_DEP_1)
	v_div_fixup_f32 v2, v2, v1, v0
	v_fmac_f32_e32 v1, v0, v2
	s_delay_alu instid0(VALU_DEP_1) | instskip(SKIP_1) | instid1(VALU_DEP_2)
	v_div_scale_f32 v0, null, v1, v1, 1.0
	v_div_scale_f32 v5, vcc_lo, 1.0, v1, 1.0
	v_rcp_f32_e32 v3, v0
	v_nop
	s_delay_alu instid0(TRANS32_DEP_1) | instskip(NEXT) | instid1(VALU_DEP_1)
	v_fma_f32 v4, -v0, v3, 1.0
	v_fmac_f32_e32 v3, v4, v3
	s_delay_alu instid0(VALU_DEP_1) | instskip(NEXT) | instid1(VALU_DEP_1)
	v_mul_f32_e32 v4, v5, v3
	v_fma_f32 v6, -v0, v4, v5
	s_delay_alu instid0(VALU_DEP_1) | instskip(NEXT) | instid1(VALU_DEP_1)
	v_fmac_f32_e32 v4, v6, v3
	v_fma_f32 v0, -v0, v4, v5
	s_delay_alu instid0(VALU_DEP_1) | instskip(NEXT) | instid1(VALU_DEP_1)
	v_div_fmas_f32 v0, v0, v3, v4
	v_div_fixup_f32 v0, v0, v1, 1.0
	s_delay_alu instid0(VALU_DEP_1)
	v_mul_f32_e32 v2, v2, v0
	v_xor_b32_e32 v3, 0x80000000, v0
                                        ; implicit-def: $vgpr0_vgpr1
.LBB87_122:
	s_and_not1_saveexec_b32 s1, s1
	s_cbranch_execz .LBB87_124
; %bb.123:
	v_div_scale_f32 v2, null, v0, v0, v1
	v_div_scale_f32 v5, vcc_lo, v1, v0, v1
	s_delay_alu instid0(VALU_DEP_2) | instskip(SKIP_1) | instid1(TRANS32_DEP_1)
	v_rcp_f32_e32 v3, v2
	v_nop
	v_fma_f32 v4, -v2, v3, 1.0
	s_delay_alu instid0(VALU_DEP_1) | instskip(NEXT) | instid1(VALU_DEP_1)
	v_fmac_f32_e32 v3, v4, v3
	v_mul_f32_e32 v4, v5, v3
	s_delay_alu instid0(VALU_DEP_1) | instskip(NEXT) | instid1(VALU_DEP_1)
	v_fma_f32 v6, -v2, v4, v5
	v_fmac_f32_e32 v4, v6, v3
	s_delay_alu instid0(VALU_DEP_1) | instskip(NEXT) | instid1(VALU_DEP_1)
	v_fma_f32 v2, -v2, v4, v5
	v_div_fmas_f32 v2, v2, v3, v4
	s_delay_alu instid0(VALU_DEP_1) | instskip(NEXT) | instid1(VALU_DEP_1)
	v_div_fixup_f32 v3, v2, v0, v1
	v_fmac_f32_e32 v0, v1, v3
	s_delay_alu instid0(VALU_DEP_1) | instskip(NEXT) | instid1(VALU_DEP_1)
	v_div_scale_f32 v1, null, v0, v0, 1.0
	v_rcp_f32_e32 v2, v1
	v_nop
	s_delay_alu instid0(TRANS32_DEP_1) | instskip(NEXT) | instid1(VALU_DEP_1)
	v_fma_f32 v4, -v1, v2, 1.0
	v_fmac_f32_e32 v2, v4, v2
	v_div_scale_f32 v4, vcc_lo, 1.0, v0, 1.0
	s_delay_alu instid0(VALU_DEP_1) | instskip(NEXT) | instid1(VALU_DEP_1)
	v_mul_f32_e32 v5, v4, v2
	v_fma_f32 v6, -v1, v5, v4
	s_delay_alu instid0(VALU_DEP_1) | instskip(NEXT) | instid1(VALU_DEP_1)
	v_fmac_f32_e32 v5, v6, v2
	v_fma_f32 v1, -v1, v5, v4
	s_delay_alu instid0(VALU_DEP_1) | instskip(NEXT) | instid1(VALU_DEP_1)
	v_div_fmas_f32 v1, v1, v2, v5
	v_div_fixup_f32 v2, v1, v0, 1.0
	s_delay_alu instid0(VALU_DEP_1)
	v_mul_f32_e64 v3, v3, -v2
.LBB87_124:
	s_or_b32 exec_lo, exec_lo, s1
	ds_store_b64 v31, v[2:3]
.LBB87_125:
	s_or_b32 exec_lo, exec_lo, s2
	s_wait_dscnt 0x0
	s_barrier_signal -1
	s_barrier_wait -1
	ds_load_b64 v[204:205], v31
	s_mov_b32 s1, exec_lo
	v_cmpx_lt_u32_e32 13, v30
	s_cbranch_execz .LBB87_127
; %bb.126:
	ds_load_2addr_b64 v[4:7], v12 offset0:14 offset1:15
	ds_load_2addr_b64 v[206:209], v12 offset0:16 offset1:17
	;; [unrolled: 1-line block ×3, first 2 shown]
	s_wait_dscnt 0x3
	v_pk_mul_f32 v[0:1], v[204:205], v[68:69] op_sel:[1,1] op_sel_hi:[0,1]
	ds_load_2addr_b64 v[214:217], v12 offset0:20 offset1:21
	ds_load_2addr_b64 v[218:221], v12 offset0:22 offset1:23
	v_pk_fma_f32 v[2:3], v[204:205], v[68:69], v[0:1] op_sel_hi:[1,0,1] neg_lo:[0,0,1] neg_hi:[0,0,1]
	v_pk_fma_f32 v[0:1], v[204:205], v[68:69], v[0:1] op_sel_hi:[1,0,1]
	s_delay_alu instid0(VALU_DEP_1) | instskip(SKIP_1) | instid1(VALU_DEP_2)
	v_dual_mov_b32 v68, v2 :: v_dual_mov_b32 v69, v1
	s_wait_dscnt 0x4
	v_pk_mul_f32 v[8:9], v[4:5], v[0:1] op_sel:[0,1]
	v_pk_mul_f32 v[18:19], v[6:7], v[0:1] op_sel:[0,1]
	s_wait_dscnt 0x3
	v_pk_mul_f32 v[20:21], v[206:207], v[0:1] op_sel:[0,1]
	v_dual_mov_b32 v222, v209 :: v_dual_mov_b32 v223, v208
	v_dual_mul_f32 v224, v209, v1 :: v_dual_mul_f32 v226, v209, v2
	v_pk_fma_f32 v[234:235], v[4:5], v[2:3], v[8:9] op_sel:[0,0,1] op_sel_hi:[1,1,0] neg_lo:[0,0,1] neg_hi:[0,0,1]
	v_pk_fma_f32 v[4:5], v[4:5], v[2:3], v[8:9] op_sel:[0,0,1] op_sel_hi:[1,0,0]
	v_pk_fma_f32 v[8:9], v[6:7], v[2:3], v[18:19] op_sel:[0,0,1] op_sel_hi:[1,1,0] neg_lo:[0,0,1] neg_hi:[0,0,1]
	v_pk_fma_f32 v[6:7], v[6:7], v[2:3], v[18:19] op_sel:[0,0,1] op_sel_hi:[1,0,0]
	;; [unrolled: 2-line block ×3, first 2 shown]
	s_wait_dscnt 0x2
	v_pk_mul_f32 v[228:229], v[210:211], v[0:1] op_sel:[0,1]
	v_pk_mul_f32 v[230:231], v[212:213], v[0:1] op_sel:[0,1]
	v_pk_fma_f32 v[206:207], v[208:209], v[68:69], v[224:225] op_sel_hi:[1,1,0] neg_lo:[0,0,1] neg_hi:[0,0,1]
	v_pk_fma_f32 v[208:209], v[222:223], v[68:69], v[226:227] op_sel_hi:[1,1,0]
	v_mov_b32_e32 v19, v21
	s_wait_dscnt 0x1
	v_pk_mul_f32 v[232:233], v[214:215], v[0:1] op_sel:[0,1]
	v_dual_mov_b32 v235, v5 :: v_dual_mov_b32 v9, v7
	ds_load_2addr_b64 v[4:7], v12 offset0:24 offset1:25
	v_pk_fma_f32 v[20:21], v[210:211], v[2:3], v[228:229] op_sel:[0,0,1] op_sel_hi:[1,0,0]
	v_mov_b32_e32 v207, v209
	v_pk_add_f32 v[120:121], v[120:121], v[18:19] neg_lo:[0,1] neg_hi:[0,1]
	v_pk_fma_f32 v[18:19], v[212:213], v[2:3], v[230:231] op_sel:[0,0,1] op_sel_hi:[1,0,0]
	v_pk_fma_f32 v[208:209], v[214:215], v[2:3], v[232:233] op_sel:[0,0,1] op_sel_hi:[1,0,0]
	v_pk_add_f32 v[98:99], v[98:99], v[8:9] neg_lo:[0,1] neg_hi:[0,1]
	v_pk_fma_f32 v[8:9], v[210:211], v[2:3], v[228:229] op_sel:[0,0,1] op_sel_hi:[1,1,0] neg_lo:[0,0,1] neg_hi:[0,0,1]
	v_mov_b32_e32 v9, v21
	v_pk_fma_f32 v[20:21], v[212:213], v[2:3], v[230:231] op_sel:[0,0,1] op_sel_hi:[1,1,0] neg_lo:[0,0,1] neg_hi:[0,0,1]
	v_mov_b32_e32 v21, v19
	;; [unrolled: 2-line block ×3, first 2 shown]
	v_pk_add_f32 v[56:57], v[56:57], v[206:207] neg_lo:[0,1] neg_hi:[0,1]
	v_pk_mul_f32 v[206:207], v[216:217], v[0:1] op_sel:[0,1]
	v_pk_add_f32 v[58:59], v[58:59], v[8:9] neg_lo:[0,1] neg_hi:[0,1]
	v_pk_add_f32 v[54:55], v[54:55], v[20:21] neg_lo:[0,1] neg_hi:[0,1]
	s_wait_dscnt 0x1
	v_mul_f32_e32 v8, v219, v2
	v_pk_add_f32 v[86:87], v[86:87], v[18:19] neg_lo:[0,1] neg_hi:[0,1]
	v_pk_fma_f32 v[18:19], v[216:217], v[2:3], v[206:207] op_sel:[0,0,1] op_sel_hi:[1,1,0] neg_lo:[0,0,1] neg_hi:[0,0,1]
	v_pk_fma_f32 v[20:21], v[216:217], v[2:3], v[206:207] op_sel:[0,0,1] op_sel_hi:[1,0,0]
	ds_load_2addr_b64 v[206:209], v12 offset0:26 offset1:27
	v_pk_mul_f32 v[210:211], v[220:221], v[0:1] op_sel:[0,1]
	v_mul_f32_e32 v20, v219, v1
	v_pk_fma_f32 v[8:9], v[218:219], v[68:69], v[8:9] op_sel:[1,0,0] op_sel_hi:[0,1,0]
	s_wait_dscnt 0x1
	v_pk_mul_f32 v[212:213], v[4:5], v[0:1] op_sel:[0,1]
	v_mov_b32_e32 v19, v21
	v_pk_fma_f32 v[214:215], v[220:221], v[2:3], v[210:211] op_sel:[0,0,1] op_sel_hi:[1,0,0]
	v_pk_fma_f32 v[20:21], v[218:219], v[68:69], v[20:21] op_sel_hi:[1,1,0] neg_lo:[0,0,1] neg_hi:[0,0,1]
	v_mov_b32_e32 v21, v9
	v_pk_fma_f32 v[8:9], v[220:221], v[2:3], v[210:211] op_sel:[0,0,1] op_sel_hi:[1,1,0] neg_lo:[0,0,1] neg_hi:[0,0,1]
	v_pk_fma_f32 v[216:217], v[4:5], v[2:3], v[212:213] op_sel:[0,0,1] op_sel_hi:[1,0,0]
	v_mov_b32_e32 v9, v215
	v_pk_mul_f32 v[218:219], v[6:7], v[0:1] op_sel:[0,1]
	v_pk_fma_f32 v[4:5], v[4:5], v[2:3], v[212:213] op_sel:[0,0,1] op_sel_hi:[1,1,0] neg_lo:[0,0,1] neg_hi:[0,0,1]
	ds_load_2addr_b64 v[210:213], v12 offset0:28 offset1:29
	v_mov_b32_e32 v5, v217
	v_pk_add_f32 v[80:81], v[80:81], v[8:9] neg_lo:[0,1] neg_hi:[0,1]
	v_pk_fma_f32 v[8:9], v[6:7], v[2:3], v[218:219] op_sel:[0,0,1] op_sel_hi:[1,0,0]
	ds_load_2addr_b64 v[214:217], v12 offset0:30 offset1:31
	v_pk_add_f32 v[82:83], v[82:83], v[18:19] neg_lo:[0,1] neg_hi:[0,1]
	s_wait_dscnt 0x2
	v_mov_b32_e32 v8, v209
	v_pk_add_f32 v[110:111], v[110:111], v[4:5] neg_lo:[0,1] neg_hi:[0,1]
	v_pk_fma_f32 v[4:5], v[6:7], v[2:3], v[218:219] op_sel:[0,0,1] op_sel_hi:[1,1,0] neg_lo:[0,0,1] neg_hi:[0,0,1]
	v_pk_mul_f32 v[6:7], v[206:207], v[0:1] op_sel:[0,1]
	v_dual_mov_b32 v5, v9 :: v_dual_mov_b32 v9, v208
	v_pk_add_f32 v[84:85], v[84:85], v[20:21] neg_lo:[0,1] neg_hi:[0,1]
	v_mul_f32_e32 v18, v209, v2
	s_delay_alu instid0(VALU_DEP_4) | instskip(NEXT) | instid1(VALU_DEP_4)
	v_pk_fma_f32 v[20:21], v[206:207], v[2:3], v[6:7] op_sel:[0,0,1] op_sel_hi:[1,0,0]
	v_pk_add_f32 v[106:107], v[106:107], v[4:5] neg_lo:[0,1] neg_hi:[0,1]
	v_mul_f32_e32 v4, v209, v1
	v_pk_fma_f32 v[206:207], v[206:207], v[2:3], v[6:7] op_sel:[0,0,1] op_sel_hi:[1,1,0] neg_lo:[0,0,1] neg_hi:[0,0,1]
	v_pk_fma_f32 v[8:9], v[8:9], v[68:69], v[18:19] op_sel_hi:[1,1,0]
	v_mov_b32_e32 v207, v21
	s_wait_dscnt 0x1
	v_pk_mul_f32 v[18:19], v[210:211], v[0:1] op_sel:[0,1]
	v_pk_fma_f32 v[20:21], v[208:209], v[68:69], v[4:5] op_sel_hi:[1,1,0] neg_lo:[0,0,1] neg_hi:[0,0,1]
	ds_load_2addr_b64 v[4:7], v12 offset0:32 offset1:33
	v_mov_b32_e32 v21, v9
	v_pk_mul_f32 v[218:219], v[212:213], v[0:1] op_sel:[0,1]
	v_pk_fma_f32 v[8:9], v[210:211], v[2:3], v[18:19] op_sel:[0,0,1] op_sel_hi:[1,0,0]
	s_wait_dscnt 0x1
	v_pk_mul_f32 v[220:221], v[214:215], v[0:1] op_sel:[0,1]
	v_pk_add_f32 v[108:109], v[108:109], v[206:207] neg_lo:[0,1] neg_hi:[0,1]
	ds_load_2addr_b64 v[206:209], v12 offset0:34 offset1:35
	v_pk_fma_f32 v[18:19], v[210:211], v[2:3], v[18:19] op_sel:[0,0,1] op_sel_hi:[1,1,0] neg_lo:[0,0,1] neg_hi:[0,0,1]
	v_mov_b32_e32 v19, v9
	v_pk_fma_f32 v[8:9], v[212:213], v[2:3], v[218:219] op_sel:[0,0,1] op_sel_hi:[1,0,0]
	v_pk_add_f32 v[104:105], v[104:105], v[20:21] neg_lo:[0,1] neg_hi:[0,1]
	v_pk_fma_f32 v[20:21], v[214:215], v[2:3], v[220:221] op_sel:[0,0,1] op_sel_hi:[1,0,0]
	v_pk_fma_f32 v[210:211], v[212:213], v[2:3], v[218:219] op_sel:[0,0,1] op_sel_hi:[1,1,0] neg_lo:[0,0,1] neg_hi:[0,0,1]
	v_pk_mul_f32 v[212:213], v[216:217], v[0:1] op_sel:[0,1]
	v_mov_b32_e32 v211, v9
	v_pk_fma_f32 v[8:9], v[214:215], v[2:3], v[220:221] op_sel:[0,0,1] op_sel_hi:[1,1,0] neg_lo:[0,0,1] neg_hi:[0,0,1]
	v_mov_b32_e32 v9, v21
	v_pk_add_f32 v[128:129], v[128:129], v[18:19] neg_lo:[0,1] neg_hi:[0,1]
	v_pk_fma_f32 v[18:19], v[216:217], v[2:3], v[212:213] op_sel:[0,0,1] op_sel_hi:[1,0,0]
	v_pk_add_f32 v[124:125], v[124:125], v[210:211] neg_lo:[0,1] neg_hi:[0,1]
	s_wait_dscnt 0x1
	v_mul_f32_e32 v18, v5, v2
	v_pk_add_f32 v[126:127], v[126:127], v[8:9] neg_lo:[0,1] neg_hi:[0,1]
	v_pk_fma_f32 v[8:9], v[216:217], v[2:3], v[212:213] op_sel:[0,0,1] op_sel_hi:[1,1,0] neg_lo:[0,0,1] neg_hi:[0,0,1]
	v_dual_mul_f32 v20, v5, v1 :: v_dual_mov_b32 v9, v19
	s_delay_alu instid0(VALU_DEP_4)
	v_pk_fma_f32 v[18:19], v[4:5], v[68:69], v[18:19] op_sel:[1,0,0] op_sel_hi:[0,1,0]
	ds_load_2addr_b64 v[210:213], v12 offset0:36 offset1:37
	ds_load_2addr_b64 v[214:217], v12 offset0:38 offset1:39
	v_pk_mul_f32 v[218:219], v[6:7], v[0:1] op_sel:[0,1]
	v_pk_fma_f32 v[4:5], v[4:5], v[68:69], v[20:21] op_sel_hi:[1,1,0] neg_lo:[0,0,1] neg_hi:[0,0,1]
	v_pk_add_f32 v[122:123], v[122:123], v[8:9] neg_lo:[0,1] neg_hi:[0,1]
	v_mov_b32_e32 v5, v19
	s_wait_dscnt 0x2
	v_pk_mul_f32 v[8:9], v[206:207], v[0:1] op_sel:[0,1]
	v_pk_fma_f32 v[18:19], v[6:7], v[2:3], v[218:219] op_sel:[0,0,1] op_sel_hi:[1,0,0]
	v_pk_mul_f32 v[20:21], v[208:209], v[0:1] op_sel:[0,1]
	v_pk_fma_f32 v[6:7], v[6:7], v[2:3], v[218:219] op_sel:[0,0,1] op_sel_hi:[1,1,0] neg_lo:[0,0,1] neg_hi:[0,0,1]
	v_pk_add_f32 v[148:149], v[148:149], v[4:5] neg_lo:[0,1] neg_hi:[0,1]
	v_pk_fma_f32 v[4:5], v[206:207], v[2:3], v[8:9] op_sel:[0,0,1] op_sel_hi:[1,0,0]
	v_mov_b32_e32 v7, v19
	v_pk_fma_f32 v[218:219], v[208:209], v[2:3], v[20:21] op_sel:[0,0,1] op_sel_hi:[1,0,0]
	v_pk_fma_f32 v[8:9], v[206:207], v[2:3], v[8:9] op_sel:[0,0,1] op_sel_hi:[1,1,0] neg_lo:[0,0,1] neg_hi:[0,0,1]
	v_pk_fma_f32 v[18:19], v[208:209], v[2:3], v[20:21] op_sel:[0,0,1] op_sel_hi:[1,1,0] neg_lo:[0,0,1] neg_hi:[0,0,1]
	v_mov_b32_e32 v9, v5
	v_pk_add_f32 v[144:145], v[144:145], v[6:7] neg_lo:[0,1] neg_hi:[0,1]
	v_mov_b32_e32 v19, v219
	ds_load_2addr_b64 v[4:7], v12 offset0:40 offset1:41
	ds_load_2addr_b64 v[206:209], v12 offset0:42 offset1:43
	v_pk_add_f32 v[146:147], v[146:147], v[8:9] neg_lo:[0,1] neg_hi:[0,1]
	s_wait_dscnt 0x3
	v_pk_mul_f32 v[8:9], v[210:211], v[0:1] op_sel:[0,1]
	v_pk_add_f32 v[142:143], v[142:143], v[18:19] neg_lo:[0,1] neg_hi:[0,1]
	v_dual_mov_b32 v18, v213 :: v_dual_mov_b32 v19, v212
	v_mul_f32_e32 v20, v213, v2
	s_delay_alu instid0(VALU_DEP_4)
	v_pk_fma_f32 v[218:219], v[210:211], v[2:3], v[8:9] op_sel:[0,0,1] op_sel_hi:[1,1,0] neg_lo:[0,0,1] neg_hi:[0,0,1]
	v_pk_fma_f32 v[8:9], v[210:211], v[2:3], v[8:9] op_sel:[0,0,1] op_sel_hi:[1,0,0]
	v_mul_f32_e32 v8, v213, v1
	s_wait_dscnt 0x2
	v_pk_mul_f32 v[210:211], v[214:215], v[0:1] op_sel:[0,1]
	v_pk_fma_f32 v[18:19], v[18:19], v[68:69], v[20:21] op_sel_hi:[1,1,0]
	v_pk_add_f32 v[100:101], v[100:101], v[234:235] neg_lo:[0,1] neg_hi:[0,1]
	v_mov_b32_e32 v219, v9
	v_pk_fma_f32 v[8:9], v[212:213], v[68:69], v[8:9] op_sel_hi:[1,1,0] neg_lo:[0,0,1] neg_hi:[0,0,1]
	v_pk_fma_f32 v[20:21], v[214:215], v[2:3], v[210:211] op_sel:[0,0,1] op_sel_hi:[1,0,0]
	v_mov_b32_e32 v9, v19
	v_pk_fma_f32 v[18:19], v[214:215], v[2:3], v[210:211] op_sel:[0,0,1] op_sel_hi:[1,1,0] neg_lo:[0,0,1] neg_hi:[0,0,1]
	v_pk_mul_f32 v[210:211], v[216:217], v[0:1] op_sel:[0,1]
	s_wait_dscnt 0x1
	v_pk_mul_f32 v[212:213], v[6:7], v[0:1] op_sel:[0,1]
	v_pk_add_f32 v[170:171], v[170:171], v[218:219] neg_lo:[0,1] neg_hi:[0,1]
	v_pk_add_f32 v[164:165], v[164:165], v[8:9] neg_lo:[0,1] neg_hi:[0,1]
	v_pk_fma_f32 v[8:9], v[216:217], v[2:3], v[210:211] op_sel:[0,0,1] op_sel_hi:[1,0,0]
	v_mov_b32_e32 v19, v21
	v_pk_mul_f32 v[20:21], v[4:5], v[0:1] op_sel:[0,1]
	v_pk_fma_f32 v[210:211], v[216:217], v[2:3], v[210:211] op_sel:[0,0,1] op_sel_hi:[1,1,0] neg_lo:[0,0,1] neg_hi:[0,0,1]
	s_wait_dscnt 0x0
	v_dual_mul_f32 v0, v207, v2 :: v_dual_mov_b32 v211, v9
	v_pk_add_f32 v[168:169], v[168:169], v[18:19] neg_lo:[0,1] neg_hi:[0,1]
	v_pk_fma_f32 v[18:19], v[4:5], v[2:3], v[20:21] op_sel:[0,0,1] op_sel_hi:[1,0,0]
	v_pk_fma_f32 v[4:5], v[4:5], v[2:3], v[20:21] op_sel:[0,0,1] op_sel_hi:[1,1,0] neg_lo:[0,0,1] neg_hi:[0,0,1]
	v_dual_mov_b32 v18, v209 :: v_dual_mul_f32 v20, v209, v2
	v_pk_fma_f32 v[8:9], v[6:7], v[2:3], v[212:213] op_sel:[0,0,1] op_sel_hi:[1,1,0] neg_lo:[0,0,1] neg_hi:[0,0,1]
	s_delay_alu instid0(VALU_DEP_4)
	v_dual_mov_b32 v5, v19 :: v_dual_mov_b32 v19, v208
	v_pk_fma_f32 v[2:3], v[6:7], v[2:3], v[212:213] op_sel:[0,0,1] op_sel_hi:[1,0,0]
	v_mul_f32_e32 v2, v207, v1
	v_pk_fma_f32 v[6:7], v[206:207], v[68:69], v[0:1] op_sel:[1,0,0] op_sel_hi:[0,1,0]
	v_mul_f32_e32 v0, v209, v1
	v_pk_fma_f32 v[18:19], v[18:19], v[68:69], v[20:21] op_sel_hi:[1,1,0]
	v_mov_b32_e32 v9, v3
	v_pk_fma_f32 v[2:3], v[206:207], v[68:69], v[2:3] op_sel_hi:[1,1,0] neg_lo:[0,0,1] neg_hi:[0,0,1]
	v_mov_b32_e32 v3, v7
	v_pk_fma_f32 v[0:1], v[208:209], v[68:69], v[0:1] op_sel_hi:[1,1,0] neg_lo:[0,0,1] neg_hi:[0,0,1]
	v_mov_b32_e32 v1, v19
	v_pk_add_f32 v[162:163], v[162:163], v[210:211] neg_lo:[0,1] neg_hi:[0,1]
	v_pk_add_f32 v[166:167], v[166:167], v[4:5] neg_lo:[0,1] neg_hi:[0,1]
	v_pk_add_f32 v[160:161], v[160:161], v[8:9] neg_lo:[0,1] neg_hi:[0,1]
	v_pk_add_f32 v[172:173], v[172:173], v[2:3] neg_lo:[0,1] neg_hi:[0,1]
	v_pk_add_f32 v[176:177], v[176:177], v[0:1] neg_lo:[0,1] neg_hi:[0,1]
.LBB87_127:
	s_or_b32 exec_lo, exec_lo, s1
	s_delay_alu instid0(SALU_CYCLE_1)
	s_mov_b32 s2, exec_lo
	s_wait_dscnt 0x0
	s_barrier_signal -1
	s_barrier_wait -1
	v_cmpx_eq_u32_e32 14, v30
	s_cbranch_execz .LBB87_134
; %bb.128:
	ds_store_b64 v31, v[100:101]
	ds_store_2addr_b64 v12, v[98:99], v[120:121] offset0:15 offset1:16
	ds_store_2addr_b64 v12, v[56:57], v[58:59] offset0:17 offset1:18
	;; [unrolled: 1-line block ×14, first 2 shown]
	ds_store_b64 v12, v[176:177] offset:344
	ds_load_b64 v[0:1], v31
	s_wait_dscnt 0x0
	v_cmp_neq_f32_e32 vcc_lo, 0, v0
	v_cmp_neq_f32_e64 s1, 0, v1
	s_or_b32 s1, vcc_lo, s1
	s_delay_alu instid0(SALU_CYCLE_1)
	s_and_b32 exec_lo, exec_lo, s1
	s_cbranch_execz .LBB87_134
; %bb.129:
	v_cmp_ngt_f32_e64 s1, |v0|, |v1|
                                        ; implicit-def: $vgpr2_vgpr3
	s_and_saveexec_b32 s4, s1
	s_delay_alu instid0(SALU_CYCLE_1)
	s_xor_b32 s1, exec_lo, s4
	s_cbranch_execz .LBB87_131
; %bb.130:
	v_div_scale_f32 v2, null, v1, v1, v0
	v_div_scale_f32 v5, vcc_lo, v0, v1, v0
	s_delay_alu instid0(VALU_DEP_2) | instskip(SKIP_1) | instid1(TRANS32_DEP_1)
	v_rcp_f32_e32 v3, v2
	v_nop
	v_fma_f32 v4, -v2, v3, 1.0
	s_delay_alu instid0(VALU_DEP_1) | instskip(NEXT) | instid1(VALU_DEP_1)
	v_fmac_f32_e32 v3, v4, v3
	v_mul_f32_e32 v4, v5, v3
	s_delay_alu instid0(VALU_DEP_1) | instskip(NEXT) | instid1(VALU_DEP_1)
	v_fma_f32 v6, -v2, v4, v5
	v_fmac_f32_e32 v4, v6, v3
	s_delay_alu instid0(VALU_DEP_1) | instskip(NEXT) | instid1(VALU_DEP_1)
	v_fma_f32 v2, -v2, v4, v5
	v_div_fmas_f32 v2, v2, v3, v4
	s_delay_alu instid0(VALU_DEP_1) | instskip(NEXT) | instid1(VALU_DEP_1)
	v_div_fixup_f32 v2, v2, v1, v0
	v_fmac_f32_e32 v1, v0, v2
	s_delay_alu instid0(VALU_DEP_1) | instskip(SKIP_1) | instid1(VALU_DEP_2)
	v_div_scale_f32 v0, null, v1, v1, 1.0
	v_div_scale_f32 v5, vcc_lo, 1.0, v1, 1.0
	v_rcp_f32_e32 v3, v0
	v_nop
	s_delay_alu instid0(TRANS32_DEP_1) | instskip(NEXT) | instid1(VALU_DEP_1)
	v_fma_f32 v4, -v0, v3, 1.0
	v_fmac_f32_e32 v3, v4, v3
	s_delay_alu instid0(VALU_DEP_1) | instskip(NEXT) | instid1(VALU_DEP_1)
	v_mul_f32_e32 v4, v5, v3
	v_fma_f32 v6, -v0, v4, v5
	s_delay_alu instid0(VALU_DEP_1) | instskip(NEXT) | instid1(VALU_DEP_1)
	v_fmac_f32_e32 v4, v6, v3
	v_fma_f32 v0, -v0, v4, v5
	s_delay_alu instid0(VALU_DEP_1) | instskip(NEXT) | instid1(VALU_DEP_1)
	v_div_fmas_f32 v0, v0, v3, v4
	v_div_fixup_f32 v0, v0, v1, 1.0
	s_delay_alu instid0(VALU_DEP_1)
	v_mul_f32_e32 v2, v2, v0
	v_xor_b32_e32 v3, 0x80000000, v0
                                        ; implicit-def: $vgpr0_vgpr1
.LBB87_131:
	s_and_not1_saveexec_b32 s1, s1
	s_cbranch_execz .LBB87_133
; %bb.132:
	v_div_scale_f32 v2, null, v0, v0, v1
	v_div_scale_f32 v5, vcc_lo, v1, v0, v1
	s_delay_alu instid0(VALU_DEP_2) | instskip(SKIP_1) | instid1(TRANS32_DEP_1)
	v_rcp_f32_e32 v3, v2
	v_nop
	v_fma_f32 v4, -v2, v3, 1.0
	s_delay_alu instid0(VALU_DEP_1) | instskip(NEXT) | instid1(VALU_DEP_1)
	v_fmac_f32_e32 v3, v4, v3
	v_mul_f32_e32 v4, v5, v3
	s_delay_alu instid0(VALU_DEP_1) | instskip(NEXT) | instid1(VALU_DEP_1)
	v_fma_f32 v6, -v2, v4, v5
	v_fmac_f32_e32 v4, v6, v3
	s_delay_alu instid0(VALU_DEP_1) | instskip(NEXT) | instid1(VALU_DEP_1)
	v_fma_f32 v2, -v2, v4, v5
	v_div_fmas_f32 v2, v2, v3, v4
	s_delay_alu instid0(VALU_DEP_1) | instskip(NEXT) | instid1(VALU_DEP_1)
	v_div_fixup_f32 v3, v2, v0, v1
	v_fmac_f32_e32 v0, v1, v3
	s_delay_alu instid0(VALU_DEP_1) | instskip(NEXT) | instid1(VALU_DEP_1)
	v_div_scale_f32 v1, null, v0, v0, 1.0
	v_rcp_f32_e32 v2, v1
	v_nop
	s_delay_alu instid0(TRANS32_DEP_1) | instskip(NEXT) | instid1(VALU_DEP_1)
	v_fma_f32 v4, -v1, v2, 1.0
	v_fmac_f32_e32 v2, v4, v2
	v_div_scale_f32 v4, vcc_lo, 1.0, v0, 1.0
	s_delay_alu instid0(VALU_DEP_1) | instskip(NEXT) | instid1(VALU_DEP_1)
	v_mul_f32_e32 v5, v4, v2
	v_fma_f32 v6, -v1, v5, v4
	s_delay_alu instid0(VALU_DEP_1) | instskip(NEXT) | instid1(VALU_DEP_1)
	v_fmac_f32_e32 v5, v6, v2
	v_fma_f32 v1, -v1, v5, v4
	s_delay_alu instid0(VALU_DEP_1) | instskip(NEXT) | instid1(VALU_DEP_1)
	v_div_fmas_f32 v1, v1, v2, v5
	v_div_fixup_f32 v2, v1, v0, 1.0
	s_delay_alu instid0(VALU_DEP_1)
	v_mul_f32_e64 v3, v3, -v2
.LBB87_133:
	s_or_b32 exec_lo, exec_lo, s1
	ds_store_b64 v31, v[2:3]
.LBB87_134:
	s_or_b32 exec_lo, exec_lo, s2
	s_wait_dscnt 0x0
	s_barrier_signal -1
	s_barrier_wait -1
	ds_load_b64 v[206:207], v31
	s_mov_b32 s1, exec_lo
	v_cmpx_lt_u32_e32 14, v30
	s_cbranch_execz .LBB87_136
; %bb.135:
	ds_load_2addr_b64 v[4:7], v12 offset0:15 offset1:16
	ds_load_2addr_b64 v[208:211], v12 offset0:17 offset1:18
	;; [unrolled: 1-line block ×3, first 2 shown]
	s_wait_dscnt 0x3
	v_pk_mul_f32 v[2:3], v[206:207], v[100:101] op_sel:[1,1] op_sel_hi:[0,1]
	ds_load_2addr_b64 v[216:219], v12 offset0:21 offset1:22
	ds_load_2addr_b64 v[220:223], v12 offset0:23 offset1:24
	v_pk_fma_f32 v[0:1], v[206:207], v[100:101], v[2:3] op_sel_hi:[1,0,1] neg_lo:[0,0,1] neg_hi:[0,0,1]
	v_pk_fma_f32 v[2:3], v[206:207], v[100:101], v[2:3] op_sel_hi:[1,0,1]
	s_delay_alu instid0(VALU_DEP_1) | instskip(SKIP_1) | instid1(VALU_DEP_2)
	v_dual_mov_b32 v100, v0 :: v_dual_mov_b32 v101, v3
	s_wait_dscnt 0x4
	v_pk_mul_f32 v[8:9], v[4:5], v[2:3] op_sel:[0,1]
	v_pk_mul_f32 v[18:19], v[6:7], v[2:3] op_sel:[0,1]
	s_wait_dscnt 0x3
	v_pk_mul_f32 v[20:21], v[208:209], v[2:3] op_sel:[0,1]
	v_dual_mov_b32 v224, v211 :: v_dual_mov_b32 v225, v210
	v_pk_fma_f32 v[234:235], v[4:5], v[0:1], v[8:9] op_sel:[0,0,1] op_sel_hi:[1,1,0] neg_lo:[0,0,1] neg_hi:[0,0,1]
	v_pk_fma_f32 v[4:5], v[4:5], v[0:1], v[8:9] op_sel:[0,0,1] op_sel_hi:[1,0,0]
	v_pk_fma_f32 v[8:9], v[6:7], v[0:1], v[18:19] op_sel:[0,0,1] op_sel_hi:[1,1,0] neg_lo:[0,0,1] neg_hi:[0,0,1]
	v_pk_fma_f32 v[6:7], v[6:7], v[0:1], v[18:19] op_sel:[0,0,1] op_sel_hi:[1,0,0]
	v_dual_mul_f32 v226, v211, v3 :: v_dual_mul_f32 v228, v211, v0
	s_wait_dscnt 0x2
	v_pk_mul_f32 v[230:231], v[212:213], v[2:3] op_sel:[0,1]
	v_pk_mul_f32 v[232:233], v[214:215], v[2:3] op_sel:[0,1]
	v_pk_fma_f32 v[18:19], v[208:209], v[0:1], v[20:21] op_sel:[0,0,1] op_sel_hi:[1,1,0] neg_lo:[0,0,1] neg_hi:[0,0,1]
	v_pk_fma_f32 v[20:21], v[208:209], v[0:1], v[20:21] op_sel:[0,0,1] op_sel_hi:[1,0,0]
	v_dual_mov_b32 v235, v5 :: v_dual_mov_b32 v9, v7
	v_pk_fma_f32 v[208:209], v[210:211], v[100:101], v[226:227] op_sel_hi:[1,1,0] neg_lo:[0,0,1] neg_hi:[0,0,1]
	v_pk_fma_f32 v[210:211], v[224:225], v[100:101], v[228:229] op_sel_hi:[1,1,0]
	v_pk_fma_f32 v[224:225], v[212:213], v[0:1], v[230:231] op_sel:[0,0,1] op_sel_hi:[1,1,0] neg_lo:[0,0,1] neg_hi:[0,0,1]
	v_pk_fma_f32 v[212:213], v[212:213], v[0:1], v[230:231] op_sel:[0,0,1] op_sel_hi:[1,0,0]
	v_pk_fma_f32 v[4:5], v[214:215], v[0:1], v[232:233] op_sel:[0,0,1] op_sel_hi:[1,0,0]
	s_delay_alu instid0(VALU_DEP_4)
	v_dual_mov_b32 v19, v21 :: v_dual_mov_b32 v209, v211
	v_pk_add_f32 v[120:121], v[120:121], v[8:9] neg_lo:[0,1] neg_hi:[0,1]
	s_wait_dscnt 0x1
	v_pk_mul_f32 v[8:9], v[216:217], v[2:3] op_sel:[0,1]
	v_pk_fma_f32 v[6:7], v[214:215], v[0:1], v[232:233] op_sel:[0,0,1] op_sel_hi:[1,1,0] neg_lo:[0,0,1] neg_hi:[0,0,1]
	v_pk_mul_f32 v[20:21], v[218:219], v[2:3] op_sel:[0,1]
	v_dual_mov_b32 v225, v213 :: v_dual_mov_b32 v7, v5
	v_pk_add_f32 v[56:57], v[56:57], v[18:19] neg_lo:[0,1] neg_hi:[0,1]
	v_pk_fma_f32 v[18:19], v[216:217], v[0:1], v[8:9] op_sel:[0,0,1] op_sel_hi:[1,0,0]
	s_wait_dscnt 0x0
	v_mul_f32_e32 v18, v221, v0
	v_pk_fma_f32 v[214:215], v[218:219], v[0:1], v[20:21] op_sel:[0,0,1] op_sel_hi:[1,0,0]
	v_pk_add_f32 v[86:87], v[86:87], v[6:7] neg_lo:[0,1] neg_hi:[0,1]
	ds_load_2addr_b64 v[4:7], v12 offset0:25 offset1:26
	v_pk_fma_f32 v[8:9], v[216:217], v[0:1], v[8:9] op_sel:[0,0,1] op_sel_hi:[1,1,0] neg_lo:[0,0,1] neg_hi:[0,0,1]
	v_mul_f32_e32 v214, v221, v3
	v_pk_add_f32 v[58:59], v[58:59], v[208:209] neg_lo:[0,1] neg_hi:[0,1]
	ds_load_2addr_b64 v[208:211], v12 offset0:27 offset1:28
	v_mov_b32_e32 v9, v19
	v_pk_mul_f32 v[212:213], v[222:223], v[2:3] op_sel:[0,1]
	v_pk_fma_f32 v[18:19], v[220:221], v[100:101], v[18:19] op_sel:[1,0,0] op_sel_hi:[0,1,0]
	v_pk_fma_f32 v[20:21], v[218:219], v[0:1], v[20:21] op_sel:[0,0,1] op_sel_hi:[1,1,0] neg_lo:[0,0,1] neg_hi:[0,0,1]
	v_mov_b32_e32 v21, v215
	v_pk_fma_f32 v[214:215], v[220:221], v[100:101], v[214:215] op_sel_hi:[1,1,0] neg_lo:[0,0,1] neg_hi:[0,0,1]
	v_pk_fma_f32 v[216:217], v[222:223], v[0:1], v[212:213] op_sel:[0,0,1] op_sel_hi:[1,0,0]
	v_mov_b32_e32 v215, v19
	v_pk_fma_f32 v[18:19], v[222:223], v[0:1], v[212:213] op_sel:[0,0,1] op_sel_hi:[1,1,0] neg_lo:[0,0,1] neg_hi:[0,0,1]
	v_pk_add_f32 v[82:83], v[82:83], v[8:9] neg_lo:[0,1] neg_hi:[0,1]
	v_pk_add_f32 v[84:85], v[84:85], v[20:21] neg_lo:[0,1] neg_hi:[0,1]
	v_mov_b32_e32 v19, v217
	v_pk_add_f32 v[80:81], v[80:81], v[214:215] neg_lo:[0,1] neg_hi:[0,1]
	ds_load_2addr_b64 v[212:215], v12 offset0:29 offset1:30
	ds_load_2addr_b64 v[216:219], v12 offset0:31 offset1:32
	s_wait_dscnt 0x3
	v_pk_mul_f32 v[8:9], v[4:5], v[2:3] op_sel:[0,1]
	v_pk_add_f32 v[110:111], v[110:111], v[18:19] neg_lo:[0,1] neg_hi:[0,1]
	v_pk_mul_f32 v[18:19], v[6:7], v[2:3] op_sel:[0,1]
	v_pk_add_f32 v[54:55], v[54:55], v[224:225] neg_lo:[0,1] neg_hi:[0,1]
	s_wait_dscnt 0x2
	v_pk_mul_f32 v[20:21], v[208:209], v[2:3] op_sel:[0,1]
	v_pk_fma_f32 v[220:221], v[4:5], v[0:1], v[8:9] op_sel:[0,0,1] op_sel_hi:[1,0,0]
	v_pk_fma_f32 v[4:5], v[4:5], v[0:1], v[8:9] op_sel:[0,0,1] op_sel_hi:[1,1,0] neg_lo:[0,0,1] neg_hi:[0,0,1]
	v_pk_fma_f32 v[8:9], v[6:7], v[0:1], v[18:19] op_sel:[0,0,1] op_sel_hi:[1,0,0]
	v_pk_fma_f32 v[6:7], v[6:7], v[0:1], v[18:19] op_sel:[0,0,1] op_sel_hi:[1,1,0] neg_lo:[0,0,1] neg_hi:[0,0,1]
	v_pk_fma_f32 v[222:223], v[208:209], v[0:1], v[20:21] op_sel:[0,0,1] op_sel_hi:[1,0,0]
	v_dual_mov_b32 v5, v221 :: v_dual_mov_b32 v18, v211
	s_delay_alu instid0(VALU_DEP_4) | instskip(SKIP_1) | instid1(VALU_DEP_4)
	v_mov_b32_e32 v7, v9
	v_pk_fma_f32 v[8:9], v[208:209], v[0:1], v[20:21] op_sel:[0,0,1] op_sel_hi:[1,1,0] neg_lo:[0,0,1] neg_hi:[0,0,1]
	v_dual_mov_b32 v9, v223 :: v_dual_mov_b32 v19, v210
	v_mul_f32_e32 v20, v211, v0
	v_pk_add_f32 v[106:107], v[106:107], v[4:5] neg_lo:[0,1] neg_hi:[0,1]
	s_wait_dscnt 0x1
	v_pk_mul_f32 v[220:221], v[214:215], v[2:3] op_sel:[0,1]
	v_pk_add_f32 v[104:105], v[104:105], v[8:9] neg_lo:[0,1] neg_hi:[0,1]
	v_pk_add_f32 v[108:109], v[108:109], v[6:7] neg_lo:[0,1] neg_hi:[0,1]
	v_pk_fma_f32 v[18:19], v[18:19], v[100:101], v[20:21] op_sel_hi:[1,1,0]
	v_pk_mul_f32 v[20:21], v[212:213], v[2:3] op_sel:[0,1]
	v_pk_fma_f32 v[224:225], v[214:215], v[0:1], v[220:221] op_sel:[0,0,1] op_sel_hi:[1,0,0]
	v_mul_f32_e32 v8, v211, v3
	v_pk_fma_f32 v[214:215], v[214:215], v[0:1], v[220:221] op_sel:[0,0,1] op_sel_hi:[1,1,0] neg_lo:[0,0,1] neg_hi:[0,0,1]
	ds_load_2addr_b64 v[4:7], v12 offset0:33 offset1:34
	v_pk_fma_f32 v[222:223], v[212:213], v[0:1], v[20:21] op_sel:[0,0,1] op_sel_hi:[1,0,0]
	v_mov_b32_e32 v215, v225
	v_pk_fma_f32 v[8:9], v[210:211], v[100:101], v[8:9] op_sel_hi:[1,1,0] neg_lo:[0,0,1] neg_hi:[0,0,1]
	v_mov_b32_e32 v9, v19
	s_wait_dscnt 0x1
	v_pk_mul_f32 v[18:19], v[216:217], v[2:3] op_sel:[0,1]
	ds_load_2addr_b64 v[208:211], v12 offset0:35 offset1:36
	v_pk_fma_f32 v[20:21], v[212:213], v[0:1], v[20:21] op_sel:[0,0,1] op_sel_hi:[1,1,0] neg_lo:[0,0,1] neg_hi:[0,0,1]
	v_mov_b32_e32 v21, v223
	v_pk_add_f32 v[128:129], v[128:129], v[8:9] neg_lo:[0,1] neg_hi:[0,1]
	v_pk_fma_f32 v[212:213], v[216:217], v[0:1], v[18:19] op_sel:[0,0,1] op_sel_hi:[1,0,0]
	v_pk_fma_f32 v[18:19], v[216:217], v[0:1], v[18:19] op_sel:[0,0,1] op_sel_hi:[1,1,0] neg_lo:[0,0,1] neg_hi:[0,0,1]
	v_pk_add_f32 v[126:127], v[126:127], v[214:215] neg_lo:[0,1] neg_hi:[0,1]
	v_pk_add_f32 v[124:125], v[124:125], v[20:21] neg_lo:[0,1] neg_hi:[0,1]
	;; [unrolled: 1-line block ×3, first 2 shown]
	v_mov_b32_e32 v19, v213
	v_pk_mul_f32 v[212:213], v[218:219], v[2:3] op_sel:[0,1]
	s_wait_dscnt 0x1
	v_pk_mul_f32 v[216:217], v[6:7], v[2:3] op_sel:[0,1]
	s_delay_alu instid0(VALU_DEP_2)
	v_pk_fma_f32 v[20:21], v[218:219], v[0:1], v[212:213] op_sel:[0,0,1] op_sel_hi:[1,0,0]
	v_pk_fma_f32 v[8:9], v[218:219], v[0:1], v[212:213] op_sel:[0,0,1] op_sel_hi:[1,1,0] neg_lo:[0,0,1] neg_hi:[0,0,1]
	v_mul_f32_e32 v20, v5, v3
	ds_load_2addr_b64 v[212:215], v12 offset0:37 offset1:38
	v_pk_fma_f32 v[220:221], v[6:7], v[0:1], v[216:217] op_sel:[0,0,1] op_sel_hi:[1,0,0]
	v_mov_b32_e32 v9, v21
	v_pk_add_f32 v[122:123], v[122:123], v[18:19] neg_lo:[0,1] neg_hi:[0,1]
	v_mul_f32_e32 v18, v5, v0
	s_wait_dscnt 0x1
	v_pk_mul_f32 v[218:219], v[208:209], v[2:3] op_sel:[0,1]
	v_pk_fma_f32 v[20:21], v[4:5], v[100:101], v[20:21] op_sel_hi:[1,1,0] neg_lo:[0,0,1] neg_hi:[0,0,1]
	v_pk_fma_f32 v[216:217], v[6:7], v[0:1], v[216:217] op_sel:[0,0,1] op_sel_hi:[1,1,0] neg_lo:[0,0,1] neg_hi:[0,0,1]
	v_mov_b32_e32 v217, v221
	v_pk_fma_f32 v[18:19], v[4:5], v[100:101], v[18:19] op_sel:[1,0,0] op_sel_hi:[0,1,0]
	ds_load_2addr_b64 v[4:7], v12 offset0:39 offset1:40
	v_pk_add_f32 v[148:149], v[148:149], v[8:9] neg_lo:[0,1] neg_hi:[0,1]
	v_pk_add_f32 v[146:147], v[146:147], v[216:217] neg_lo:[0,1] neg_hi:[0,1]
	v_mov_b32_e32 v21, v19
	v_pk_fma_f32 v[18:19], v[208:209], v[0:1], v[218:219] op_sel:[0,0,1] op_sel_hi:[1,0,0]
	v_pk_fma_f32 v[208:209], v[208:209], v[0:1], v[218:219] op_sel:[0,0,1] op_sel_hi:[1,1,0] neg_lo:[0,0,1] neg_hi:[0,0,1]
	ds_load_b64 v[218:219], v12 offset:344
	v_pk_add_f32 v[144:145], v[144:145], v[20:21] neg_lo:[0,1] neg_hi:[0,1]
	s_wait_dscnt 0x2
	v_dual_mov_b32 v209, v19 :: v_dual_mov_b32 v216, v215
	v_pk_mul_f32 v[18:19], v[210:211], v[2:3] op_sel:[0,1]
	v_pk_mul_f32 v[20:21], v[212:213], v[2:3] op_sel:[0,1]
	v_mov_b32_e32 v217, v214
	s_delay_alu instid0(VALU_DEP_4) | instskip(NEXT) | instid1(VALU_DEP_4)
	v_pk_add_f32 v[142:143], v[142:143], v[208:209] neg_lo:[0,1] neg_hi:[0,1]
	v_pk_fma_f32 v[8:9], v[210:211], v[0:1], v[18:19] op_sel:[0,0,1] op_sel_hi:[1,1,0] neg_lo:[0,0,1] neg_hi:[0,0,1]
	v_pk_fma_f32 v[18:19], v[210:211], v[0:1], v[18:19] op_sel:[0,0,1] op_sel_hi:[1,0,0]
	ds_load_2addr_b64 v[208:211], v12 offset0:41 offset1:42
	v_pk_fma_f32 v[220:221], v[212:213], v[0:1], v[20:21] op_sel:[0,0,1] op_sel_hi:[1,0,0]
	v_pk_fma_f32 v[20:21], v[212:213], v[0:1], v[20:21] op_sel:[0,0,1] op_sel_hi:[1,1,0] neg_lo:[0,0,1] neg_hi:[0,0,1]
	s_wait_dscnt 0x2
	v_pk_mul_f32 v[212:213], v[4:5], v[2:3] op_sel:[0,1]
	v_mov_b32_e32 v9, v19
	v_dual_mul_f32 v18, v215, v0 :: v_dual_mov_b32 v21, v221
	s_delay_alu instid0(VALU_DEP_2) | instskip(NEXT) | instid1(VALU_DEP_4)
	v_pk_add_f32 v[170:171], v[170:171], v[8:9] neg_lo:[0,1] neg_hi:[0,1]
	v_pk_fma_f32 v[8:9], v[4:5], v[0:1], v[212:213] op_sel:[0,0,1] op_sel_hi:[1,0,0]
	v_mul_f32_e32 v220, v215, v3
	s_delay_alu instid0(VALU_DEP_4)
	v_pk_fma_f32 v[18:19], v[216:217], v[100:101], v[18:19] op_sel_hi:[1,1,0]
	v_pk_fma_f32 v[4:5], v[4:5], v[0:1], v[212:213] op_sel:[0,0,1] op_sel_hi:[1,1,0] neg_lo:[0,0,1] neg_hi:[0,0,1]
	v_pk_add_f32 v[164:165], v[164:165], v[20:21] neg_lo:[0,1] neg_hi:[0,1]
	v_mov_b32_e32 v5, v9
	v_pk_fma_f32 v[214:215], v[214:215], v[100:101], v[220:221] op_sel_hi:[1,1,0] neg_lo:[0,0,1] neg_hi:[0,0,1]
	v_mov_b32_e32 v215, v19
	v_pk_mul_f32 v[18:19], v[6:7], v[2:3] op_sel:[0,1]
	s_wait_dscnt 0x0
	v_pk_mul_f32 v[8:9], v[208:209], v[2:3] op_sel:[0,1]
	v_pk_mul_f32 v[212:213], v[210:211], v[2:3] op_sel:[0,1]
	;; [unrolled: 1-line block ×3, first 2 shown]
	v_pk_fma_f32 v[20:21], v[6:7], v[0:1], v[18:19] op_sel:[0,0,1] op_sel_hi:[1,0,0]
	v_pk_fma_f32 v[6:7], v[6:7], v[0:1], v[18:19] op_sel:[0,0,1] op_sel_hi:[1,1,0] neg_lo:[0,0,1] neg_hi:[0,0,1]
	v_pk_fma_f32 v[18:19], v[208:209], v[0:1], v[8:9] op_sel:[0,0,1] op_sel_hi:[1,0,0]
	v_pk_fma_f32 v[8:9], v[208:209], v[0:1], v[8:9] op_sel:[0,0,1] op_sel_hi:[1,1,0] neg_lo:[0,0,1] neg_hi:[0,0,1]
	v_pk_fma_f32 v[208:209], v[218:219], v[0:1], v[2:3] op_sel:[0,0,1] op_sel_hi:[1,0,0]
	v_mov_b32_e32 v7, v21
	v_pk_fma_f32 v[20:21], v[210:211], v[0:1], v[212:213] op_sel:[0,0,1] op_sel_hi:[1,0,0]
	v_mov_b32_e32 v9, v19
	v_pk_fma_f32 v[18:19], v[210:211], v[0:1], v[212:213] op_sel:[0,0,1] op_sel_hi:[1,1,0] neg_lo:[0,0,1] neg_hi:[0,0,1]
	v_pk_fma_f32 v[0:1], v[218:219], v[0:1], v[2:3] op_sel:[0,0,1] op_sel_hi:[1,1,0] neg_lo:[0,0,1] neg_hi:[0,0,1]
	s_delay_alu instid0(VALU_DEP_4)
	v_dual_mov_b32 v1, v209 :: v_dual_mov_b32 v19, v21
	v_pk_add_f32 v[168:169], v[168:169], v[214:215] neg_lo:[0,1] neg_hi:[0,1]
	v_pk_add_f32 v[162:163], v[162:163], v[4:5] neg_lo:[0,1] neg_hi:[0,1]
	;; [unrolled: 1-line block ×6, first 2 shown]
.LBB87_136:
	s_or_b32 exec_lo, exec_lo, s1
	s_delay_alu instid0(SALU_CYCLE_1)
	s_mov_b32 s2, exec_lo
	s_wait_dscnt 0x0
	s_barrier_signal -1
	s_barrier_wait -1
	v_cmpx_eq_u32_e32 15, v30
	s_cbranch_execz .LBB87_143
; %bb.137:
	v_dual_mov_b32 v0, v120 :: v_dual_mov_b32 v1, v121
	v_dual_mov_b32 v2, v56 :: v_dual_mov_b32 v3, v57
	;; [unrolled: 1-line block ×4, first 2 shown]
	ds_store_b64 v31, v[98:99]
	ds_store_2addr_b64 v12, v[0:1], v[2:3] offset0:16 offset1:17
	ds_store_2addr_b64 v12, v[4:5], v[6:7] offset0:18 offset1:19
	v_dual_mov_b32 v0, v86 :: v_dual_mov_b32 v1, v87
	v_dual_mov_b32 v2, v82 :: v_dual_mov_b32 v3, v83
	;; [unrolled: 1-line block ×12, first 2 shown]
	ds_store_2addr_b64 v12, v[0:1], v[2:3] offset0:20 offset1:21
	ds_store_2addr_b64 v12, v[4:5], v[6:7] offset0:22 offset1:23
	;; [unrolled: 1-line block ×6, first 2 shown]
	v_dual_mov_b32 v0, v148 :: v_dual_mov_b32 v1, v149
	v_dual_mov_b32 v2, v144 :: v_dual_mov_b32 v3, v145
	;; [unrolled: 1-line block ×11, first 2 shown]
	ds_store_2addr_b64 v12, v[0:1], v[2:3] offset0:32 offset1:33
	ds_store_2addr_b64 v12, v[4:5], v[6:7] offset0:34 offset1:35
	ds_store_2addr_b64 v12, v[8:9], v[18:19] offset0:36 offset1:37
	ds_store_2addr_b64 v12, v[20:21], v[208:209] offset0:38 offset1:39
	ds_store_2addr_b64 v12, v[210:211], v[212:213] offset0:40 offset1:41
	ds_store_2addr_b64 v12, v[214:215], v[176:177] offset0:42 offset1:43
	ds_load_b64 v[0:1], v31
	s_wait_dscnt 0x0
	v_cmp_neq_f32_e32 vcc_lo, 0, v0
	v_cmp_neq_f32_e64 s1, 0, v1
	s_or_b32 s1, vcc_lo, s1
	s_delay_alu instid0(SALU_CYCLE_1)
	s_and_b32 exec_lo, exec_lo, s1
	s_cbranch_execz .LBB87_143
; %bb.138:
	v_cmp_ngt_f32_e64 s1, |v0|, |v1|
                                        ; implicit-def: $vgpr2_vgpr3
	s_and_saveexec_b32 s4, s1
	s_delay_alu instid0(SALU_CYCLE_1)
	s_xor_b32 s1, exec_lo, s4
	s_cbranch_execz .LBB87_140
; %bb.139:
	v_div_scale_f32 v2, null, v1, v1, v0
	v_div_scale_f32 v5, vcc_lo, v0, v1, v0
	s_delay_alu instid0(VALU_DEP_2) | instskip(SKIP_1) | instid1(TRANS32_DEP_1)
	v_rcp_f32_e32 v3, v2
	v_nop
	v_fma_f32 v4, -v2, v3, 1.0
	s_delay_alu instid0(VALU_DEP_1) | instskip(NEXT) | instid1(VALU_DEP_1)
	v_fmac_f32_e32 v3, v4, v3
	v_mul_f32_e32 v4, v5, v3
	s_delay_alu instid0(VALU_DEP_1) | instskip(NEXT) | instid1(VALU_DEP_1)
	v_fma_f32 v6, -v2, v4, v5
	v_fmac_f32_e32 v4, v6, v3
	s_delay_alu instid0(VALU_DEP_1) | instskip(NEXT) | instid1(VALU_DEP_1)
	v_fma_f32 v2, -v2, v4, v5
	v_div_fmas_f32 v2, v2, v3, v4
	s_delay_alu instid0(VALU_DEP_1) | instskip(NEXT) | instid1(VALU_DEP_1)
	v_div_fixup_f32 v2, v2, v1, v0
	v_fmac_f32_e32 v1, v0, v2
	s_delay_alu instid0(VALU_DEP_1) | instskip(SKIP_1) | instid1(VALU_DEP_2)
	v_div_scale_f32 v0, null, v1, v1, 1.0
	v_div_scale_f32 v5, vcc_lo, 1.0, v1, 1.0
	v_rcp_f32_e32 v3, v0
	v_nop
	s_delay_alu instid0(TRANS32_DEP_1) | instskip(NEXT) | instid1(VALU_DEP_1)
	v_fma_f32 v4, -v0, v3, 1.0
	v_fmac_f32_e32 v3, v4, v3
	s_delay_alu instid0(VALU_DEP_1) | instskip(NEXT) | instid1(VALU_DEP_1)
	v_mul_f32_e32 v4, v5, v3
	v_fma_f32 v6, -v0, v4, v5
	s_delay_alu instid0(VALU_DEP_1) | instskip(NEXT) | instid1(VALU_DEP_1)
	v_fmac_f32_e32 v4, v6, v3
	v_fma_f32 v0, -v0, v4, v5
	s_delay_alu instid0(VALU_DEP_1) | instskip(NEXT) | instid1(VALU_DEP_1)
	v_div_fmas_f32 v0, v0, v3, v4
	v_div_fixup_f32 v0, v0, v1, 1.0
	s_delay_alu instid0(VALU_DEP_1)
	v_mul_f32_e32 v2, v2, v0
	v_xor_b32_e32 v3, 0x80000000, v0
                                        ; implicit-def: $vgpr0_vgpr1
.LBB87_140:
	s_and_not1_saveexec_b32 s1, s1
	s_cbranch_execz .LBB87_142
; %bb.141:
	v_div_scale_f32 v2, null, v0, v0, v1
	v_div_scale_f32 v5, vcc_lo, v1, v0, v1
	s_delay_alu instid0(VALU_DEP_2) | instskip(SKIP_1) | instid1(TRANS32_DEP_1)
	v_rcp_f32_e32 v3, v2
	v_nop
	v_fma_f32 v4, -v2, v3, 1.0
	s_delay_alu instid0(VALU_DEP_1) | instskip(NEXT) | instid1(VALU_DEP_1)
	v_fmac_f32_e32 v3, v4, v3
	v_mul_f32_e32 v4, v5, v3
	s_delay_alu instid0(VALU_DEP_1) | instskip(NEXT) | instid1(VALU_DEP_1)
	v_fma_f32 v6, -v2, v4, v5
	v_fmac_f32_e32 v4, v6, v3
	s_delay_alu instid0(VALU_DEP_1) | instskip(NEXT) | instid1(VALU_DEP_1)
	v_fma_f32 v2, -v2, v4, v5
	v_div_fmas_f32 v2, v2, v3, v4
	s_delay_alu instid0(VALU_DEP_1) | instskip(NEXT) | instid1(VALU_DEP_1)
	v_div_fixup_f32 v3, v2, v0, v1
	v_fmac_f32_e32 v0, v1, v3
	s_delay_alu instid0(VALU_DEP_1) | instskip(NEXT) | instid1(VALU_DEP_1)
	v_div_scale_f32 v1, null, v0, v0, 1.0
	v_rcp_f32_e32 v2, v1
	v_nop
	s_delay_alu instid0(TRANS32_DEP_1) | instskip(NEXT) | instid1(VALU_DEP_1)
	v_fma_f32 v4, -v1, v2, 1.0
	v_fmac_f32_e32 v2, v4, v2
	v_div_scale_f32 v4, vcc_lo, 1.0, v0, 1.0
	s_delay_alu instid0(VALU_DEP_1) | instskip(NEXT) | instid1(VALU_DEP_1)
	v_mul_f32_e32 v5, v4, v2
	v_fma_f32 v6, -v1, v5, v4
	s_delay_alu instid0(VALU_DEP_1) | instskip(NEXT) | instid1(VALU_DEP_1)
	v_fmac_f32_e32 v5, v6, v2
	v_fma_f32 v1, -v1, v5, v4
	s_delay_alu instid0(VALU_DEP_1) | instskip(NEXT) | instid1(VALU_DEP_1)
	v_div_fmas_f32 v1, v1, v2, v5
	v_div_fixup_f32 v2, v1, v0, 1.0
	s_delay_alu instid0(VALU_DEP_1)
	v_mul_f32_e64 v3, v3, -v2
.LBB87_142:
	s_or_b32 exec_lo, exec_lo, s1
	ds_store_b64 v31, v[2:3]
.LBB87_143:
	s_or_b32 exec_lo, exec_lo, s2
	s_wait_dscnt 0x0
	s_barrier_signal -1
	s_barrier_wait -1
	ds_load_b64 v[208:209], v31
	s_mov_b32 s1, exec_lo
	v_cmpx_lt_u32_e32 15, v30
	s_cbranch_execz .LBB87_145
; %bb.144:
	ds_load_2addr_b64 v[4:7], v12 offset0:16 offset1:17
	ds_load_2addr_b64 v[210:213], v12 offset0:18 offset1:19
	;; [unrolled: 1-line block ×3, first 2 shown]
	s_wait_dscnt 0x3
	v_pk_mul_f32 v[2:3], v[208:209], v[98:99] op_sel:[1,1] op_sel_hi:[0,1]
	ds_load_2addr_b64 v[218:221], v12 offset0:22 offset1:23
	ds_load_2addr_b64 v[222:225], v12 offset0:24 offset1:25
	v_pk_fma_f32 v[0:1], v[208:209], v[98:99], v[2:3] op_sel_hi:[1,0,1] neg_lo:[0,0,1] neg_hi:[0,0,1]
	v_pk_fma_f32 v[2:3], v[208:209], v[98:99], v[2:3] op_sel_hi:[1,0,1]
	s_delay_alu instid0(VALU_DEP_1) | instskip(SKIP_1) | instid1(VALU_DEP_2)
	v_dual_mov_b32 v98, v0 :: v_dual_mov_b32 v99, v3
	s_wait_dscnt 0x4
	v_pk_mul_f32 v[8:9], v[4:5], v[2:3] op_sel:[0,1]
	v_pk_mul_f32 v[18:19], v[6:7], v[2:3] op_sel:[0,1]
	s_wait_dscnt 0x3
	v_pk_mul_f32 v[20:21], v[210:211], v[2:3] op_sel:[0,1]
	v_dual_mov_b32 v226, v213 :: v_dual_mov_b32 v227, v212
	v_dual_mul_f32 v228, v213, v3 :: v_dual_mul_f32 v230, v213, v0
	v_pk_fma_f32 v[236:237], v[4:5], v[0:1], v[8:9] op_sel:[0,0,1] op_sel_hi:[1,1,0] neg_lo:[0,0,1] neg_hi:[0,0,1]
	v_pk_fma_f32 v[4:5], v[4:5], v[0:1], v[8:9] op_sel:[0,0,1] op_sel_hi:[1,0,0]
	v_pk_fma_f32 v[8:9], v[6:7], v[0:1], v[18:19] op_sel:[0,0,1] op_sel_hi:[1,1,0] neg_lo:[0,0,1] neg_hi:[0,0,1]
	v_pk_fma_f32 v[6:7], v[6:7], v[0:1], v[18:19] op_sel:[0,0,1] op_sel_hi:[1,0,0]
	s_wait_dscnt 0x2
	v_pk_mul_f32 v[232:233], v[214:215], v[2:3] op_sel:[0,1]
	v_pk_fma_f32 v[18:19], v[210:211], v[0:1], v[20:21] op_sel:[0,0,1] op_sel_hi:[1,1,0] neg_lo:[0,0,1] neg_hi:[0,0,1]
	v_pk_fma_f32 v[20:21], v[210:211], v[0:1], v[20:21] op_sel:[0,0,1] op_sel_hi:[1,0,0]
	v_pk_mul_f32 v[234:235], v[216:217], v[2:3] op_sel:[0,1]
	v_pk_fma_f32 v[210:211], v[212:213], v[98:99], v[228:229] op_sel_hi:[1,1,0] neg_lo:[0,0,1] neg_hi:[0,0,1]
	v_pk_fma_f32 v[212:213], v[226:227], v[98:99], v[230:231] op_sel_hi:[1,1,0]
	v_dual_mov_b32 v237, v5 :: v_dual_mov_b32 v9, v7
	v_pk_fma_f32 v[4:5], v[214:215], v[0:1], v[232:233] op_sel:[0,0,1] op_sel_hi:[1,0,0]
	s_delay_alu instid0(VALU_DEP_3) | instskip(SKIP_1) | instid1(VALU_DEP_4)
	v_dual_mov_b32 v19, v21 :: v_dual_mov_b32 v211, v213
	v_pk_fma_f32 v[226:227], v[214:215], v[0:1], v[232:233] op_sel:[0,0,1] op_sel_hi:[1,1,0] neg_lo:[0,0,1] neg_hi:[0,0,1]
	v_pk_add_f32 v[56:57], v[56:57], v[8:9] neg_lo:[0,1] neg_hi:[0,1]
	v_pk_fma_f32 v[8:9], v[216:217], v[0:1], v[234:235] op_sel:[0,0,1] op_sel_hi:[1,0,0]
	s_wait_dscnt 0x1
	v_pk_mul_f32 v[20:21], v[218:219], v[2:3] op_sel:[0,1]
	v_mov_b32_e32 v227, v5
	ds_load_2addr_b64 v[4:7], v12 offset0:26 offset1:27
	v_pk_add_f32 v[58:59], v[58:59], v[18:19] neg_lo:[0,1] neg_hi:[0,1]
	v_pk_fma_f32 v[18:19], v[216:217], v[0:1], v[234:235] op_sel:[0,0,1] op_sel_hi:[1,1,0] neg_lo:[0,0,1] neg_hi:[0,0,1]
	v_mov_b32_e32 v19, v9
	v_pk_add_f32 v[54:55], v[54:55], v[210:211] neg_lo:[0,1] neg_hi:[0,1]
	v_pk_mul_f32 v[210:211], v[220:221], v[2:3] op_sel:[0,1]
	v_pk_fma_f32 v[8:9], v[218:219], v[0:1], v[20:21] op_sel:[0,0,1] op_sel_hi:[1,0,0]
	s_wait_dscnt 0x1
	v_mul_f32_e32 v8, v223, v0
	v_pk_add_f32 v[82:83], v[82:83], v[18:19] neg_lo:[0,1] neg_hi:[0,1]
	v_pk_fma_f32 v[18:19], v[218:219], v[0:1], v[20:21] op_sel:[0,0,1] op_sel_hi:[1,1,0] neg_lo:[0,0,1] neg_hi:[0,0,1]
	v_pk_fma_f32 v[20:21], v[220:221], v[0:1], v[210:211] op_sel:[0,0,1] op_sel_hi:[1,0,0]
	v_dual_mul_f32 v20, v223, v3 :: v_dual_mov_b32 v19, v9
	v_pk_fma_f32 v[8:9], v[222:223], v[98:99], v[8:9] op_sel:[1,0,0] op_sel_hi:[0,1,0]
	v_pk_fma_f32 v[214:215], v[220:221], v[0:1], v[210:211] op_sel:[0,0,1] op_sel_hi:[1,1,0] neg_lo:[0,0,1] neg_hi:[0,0,1]
	ds_load_2addr_b64 v[210:213], v12 offset0:28 offset1:29
	v_mov_b32_e32 v215, v21
	v_pk_fma_f32 v[20:21], v[222:223], v[98:99], v[20:21] op_sel_hi:[1,1,0] neg_lo:[0,0,1] neg_hi:[0,0,1]
	v_mov_b32_e32 v21, v9
	v_pk_mul_f32 v[8:9], v[224:225], v[2:3] op_sel:[0,1]
	v_pk_add_f32 v[84:85], v[84:85], v[18:19] neg_lo:[0,1] neg_hi:[0,1]
	s_wait_dscnt 0x1
	v_pk_mul_f32 v[18:19], v[4:5], v[2:3] op_sel:[0,1]
	v_pk_add_f32 v[80:81], v[80:81], v[214:215] neg_lo:[0,1] neg_hi:[0,1]
	ds_load_2addr_b64 v[214:217], v12 offset0:30 offset1:31
	v_pk_fma_f32 v[218:219], v[224:225], v[0:1], v[8:9] op_sel:[0,0,1] op_sel_hi:[1,0,0]
	v_pk_fma_f32 v[8:9], v[224:225], v[0:1], v[8:9] op_sel:[0,0,1] op_sel_hi:[1,1,0] neg_lo:[0,0,1] neg_hi:[0,0,1]
	v_pk_fma_f32 v[220:221], v[4:5], v[0:1], v[18:19] op_sel:[0,0,1] op_sel_hi:[1,0,0]
	v_pk_fma_f32 v[4:5], v[4:5], v[0:1], v[18:19] op_sel:[0,0,1] op_sel_hi:[1,1,0] neg_lo:[0,0,1] neg_hi:[0,0,1]
	v_pk_add_f32 v[120:121], v[120:121], v[236:237] neg_lo:[0,1] neg_hi:[0,1]
	v_mov_b32_e32 v9, v219
	v_pk_add_f32 v[110:111], v[110:111], v[20:21] neg_lo:[0,1] neg_hi:[0,1]
	v_pk_mul_f32 v[20:21], v[6:7], v[2:3] op_sel:[0,1]
	v_pk_add_f32 v[86:87], v[86:87], v[226:227] neg_lo:[0,1] neg_hi:[0,1]
	s_delay_alu instid0(VALU_DEP_4) | instskip(NEXT) | instid1(VALU_DEP_3)
	v_pk_add_f32 v[106:107], v[106:107], v[8:9] neg_lo:[0,1] neg_hi:[0,1]
	v_pk_fma_f32 v[222:223], v[6:7], v[0:1], v[20:21] op_sel:[0,0,1] op_sel_hi:[1,0,0]
	v_mov_b32_e32 v5, v221
	v_pk_fma_f32 v[18:19], v[6:7], v[0:1], v[20:21] op_sel:[0,0,1] op_sel_hi:[1,1,0] neg_lo:[0,0,1] neg_hi:[0,0,1]
	s_wait_dscnt 0x1
	v_pk_mul_f32 v[20:21], v[210:211], v[2:3] op_sel:[0,1]
	ds_load_2addr_b64 v[218:221], v12 offset0:34 offset1:35
	v_mov_b32_e32 v19, v223
	v_pk_add_f32 v[108:109], v[108:109], v[4:5] neg_lo:[0,1] neg_hi:[0,1]
	ds_load_2addr_b64 v[4:7], v12 offset0:32 offset1:33
	v_pk_fma_f32 v[8:9], v[210:211], v[0:1], v[20:21] op_sel:[0,0,1] op_sel_hi:[1,0,0]
	v_mul_f32_e32 v8, v213, v0
	v_pk_add_f32 v[104:105], v[104:105], v[18:19] neg_lo:[0,1] neg_hi:[0,1]
	v_pk_fma_f32 v[18:19], v[210:211], v[0:1], v[20:21] op_sel:[0,0,1] op_sel_hi:[1,1,0] neg_lo:[0,0,1] neg_hi:[0,0,1]
	v_dual_mov_b32 v20, v213 :: v_dual_mov_b32 v21, v212
	v_mul_f32_e32 v210, v213, v3
	v_mov_b32_e32 v19, v9
	s_wait_dscnt 0x2
	v_pk_mul_f32 v[222:223], v[214:215], v[2:3] op_sel:[0,1]
	v_pk_fma_f32 v[8:9], v[20:21], v[98:99], v[8:9] op_sel_hi:[1,1,0]
	v_pk_fma_f32 v[224:225], v[212:213], v[98:99], v[210:211] op_sel_hi:[1,1,0] neg_lo:[0,0,1] neg_hi:[0,0,1]
	ds_load_2addr_b64 v[210:213], v12 offset0:36 offset1:37
	v_pk_fma_f32 v[20:21], v[214:215], v[0:1], v[222:223] op_sel:[0,0,1] op_sel_hi:[1,0,0]
	v_mov_b32_e32 v225, v9
	v_pk_add_f32 v[128:129], v[128:129], v[18:19] neg_lo:[0,1] neg_hi:[0,1]
	v_pk_mul_f32 v[18:19], v[216:217], v[2:3] op_sel:[0,1]
	v_pk_fma_f32 v[8:9], v[214:215], v[0:1], v[222:223] op_sel:[0,0,1] op_sel_hi:[1,1,0] neg_lo:[0,0,1] neg_hi:[0,0,1]
	s_wait_dscnt 0x1
	v_pk_mul_f32 v[222:223], v[6:7], v[2:3] op_sel:[0,1]
	v_pk_add_f32 v[124:125], v[124:125], v[224:225] neg_lo:[0,1] neg_hi:[0,1]
	v_pk_fma_f32 v[214:215], v[216:217], v[0:1], v[18:19] op_sel:[0,0,1] op_sel_hi:[1,0,0]
	v_mov_b32_e32 v9, v21
	v_pk_mul_f32 v[20:21], v[4:5], v[2:3] op_sel:[0,1]
	v_pk_fma_f32 v[18:19], v[216:217], v[0:1], v[18:19] op_sel:[0,0,1] op_sel_hi:[1,1,0] neg_lo:[0,0,1] neg_hi:[0,0,1]
	s_delay_alu instid0(VALU_DEP_4) | instskip(NEXT) | instid1(VALU_DEP_4)
	v_mov_b32_e32 v19, v215
	v_pk_add_f32 v[126:127], v[126:127], v[8:9] neg_lo:[0,1] neg_hi:[0,1]
	s_delay_alu instid0(VALU_DEP_4)
	v_pk_fma_f32 v[8:9], v[4:5], v[0:1], v[20:21] op_sel:[0,0,1] op_sel_hi:[1,0,0]
	v_mul_f32_e32 v8, v219, v0
	v_pk_fma_f32 v[4:5], v[4:5], v[0:1], v[20:21] op_sel:[0,0,1] op_sel_hi:[1,1,0] neg_lo:[0,0,1] neg_hi:[0,0,1]
	v_pk_add_f32 v[122:123], v[122:123], v[18:19] neg_lo:[0,1] neg_hi:[0,1]
	v_pk_fma_f32 v[18:19], v[6:7], v[0:1], v[222:223] op_sel:[0,0,1] op_sel_hi:[1,0,0]
	ds_load_2addr_b64 v[214:217], v12 offset0:38 offset1:39
	v_mov_b32_e32 v5, v9
	v_pk_fma_f32 v[8:9], v[218:219], v[98:99], v[8:9] op_sel:[1,0,0] op_sel_hi:[0,1,0]
	v_mul_f32_e32 v18, v219, v3
	v_pk_mul_f32 v[20:21], v[220:221], v[2:3] op_sel:[0,1]
	v_pk_fma_f32 v[6:7], v[6:7], v[0:1], v[222:223] op_sel:[0,0,1] op_sel_hi:[1,1,0] neg_lo:[0,0,1] neg_hi:[0,0,1]
	v_pk_add_f32 v[148:149], v[148:149], v[4:5] neg_lo:[0,1] neg_hi:[0,1]
	s_delay_alu instid0(VALU_DEP_3)
	v_pk_fma_f32 v[4:5], v[220:221], v[0:1], v[20:21] op_sel:[0,0,1] op_sel_hi:[1,0,0]
	v_mov_b32_e32 v7, v19
	v_pk_fma_f32 v[18:19], v[218:219], v[98:99], v[18:19] op_sel_hi:[1,1,0] neg_lo:[0,0,1] neg_hi:[0,0,1]
	v_mov_b32_e32 v19, v9
	s_wait_dscnt 0x1
	v_pk_mul_f32 v[8:9], v[210:211], v[2:3] op_sel:[0,1]
	v_pk_fma_f32 v[20:21], v[220:221], v[0:1], v[20:21] op_sel:[0,0,1] op_sel_hi:[1,1,0] neg_lo:[0,0,1] neg_hi:[0,0,1]
	v_mov_b32_e32 v21, v5
	v_pk_add_f32 v[144:145], v[144:145], v[6:7] neg_lo:[0,1] neg_hi:[0,1]
	v_pk_add_f32 v[146:147], v[146:147], v[18:19] neg_lo:[0,1] neg_hi:[0,1]
	v_pk_fma_f32 v[18:19], v[210:211], v[0:1], v[8:9] op_sel:[0,0,1] op_sel_hi:[1,0,0]
	ds_load_2addr_b64 v[4:7], v12 offset0:40 offset1:41
	v_pk_fma_f32 v[8:9], v[210:211], v[0:1], v[8:9] op_sel:[0,0,1] op_sel_hi:[1,1,0] neg_lo:[0,0,1] neg_hi:[0,0,1]
	ds_load_2addr_b64 v[218:221], v12 offset0:42 offset1:43
	v_pk_add_f32 v[142:143], v[142:143], v[20:21] neg_lo:[0,1] neg_hi:[0,1]
	v_mov_b32_e32 v9, v19
	v_pk_mul_f32 v[18:19], v[212:213], v[2:3] op_sel:[0,1]
	s_wait_dscnt 0x2
	v_pk_mul_f32 v[20:21], v[214:215], v[2:3] op_sel:[0,1]
	s_delay_alu instid0(VALU_DEP_3) | instskip(NEXT) | instid1(VALU_DEP_3)
	v_pk_add_f32 v[170:171], v[170:171], v[8:9] neg_lo:[0,1] neg_hi:[0,1]
	v_pk_fma_f32 v[8:9], v[212:213], v[0:1], v[18:19] op_sel:[0,0,1] op_sel_hi:[1,1,0] neg_lo:[0,0,1] neg_hi:[0,0,1]
	v_pk_fma_f32 v[18:19], v[212:213], v[0:1], v[18:19] op_sel:[0,0,1] op_sel_hi:[1,0,0]
	s_delay_alu instid0(VALU_DEP_4) | instskip(SKIP_1) | instid1(VALU_DEP_3)
	v_pk_fma_f32 v[210:211], v[214:215], v[0:1], v[20:21] op_sel:[0,0,1] op_sel_hi:[1,0,0]
	v_dual_mov_b32 v212, v217 :: v_dual_mov_b32 v213, v216
	v_dual_mul_f32 v18, v217, v0 :: v_dual_mov_b32 v9, v19
	v_pk_fma_f32 v[20:21], v[214:215], v[0:1], v[20:21] op_sel:[0,0,1] op_sel_hi:[1,1,0] neg_lo:[0,0,1] neg_hi:[0,0,1]
	s_delay_alu instid0(VALU_DEP_4) | instskip(NEXT) | instid1(VALU_DEP_3)
	v_mov_b32_e32 v21, v211
	v_pk_fma_f32 v[18:19], v[212:213], v[98:99], v[18:19] op_sel_hi:[1,1,0]
	v_mul_f32_e32 v210, v217, v3
	v_pk_add_f32 v[164:165], v[164:165], v[8:9] neg_lo:[0,1] neg_hi:[0,1]
	s_wait_dscnt 0x1
	v_pk_mul_f32 v[8:9], v[4:5], v[2:3] op_sel:[0,1]
	v_pk_add_f32 v[168:169], v[168:169], v[20:21] neg_lo:[0,1] neg_hi:[0,1]
	s_wait_dscnt 0x0
	v_pk_mul_f32 v[212:213], v[218:219], v[2:3] op_sel:[0,1]
	v_pk_fma_f32 v[20:21], v[216:217], v[98:99], v[210:211] op_sel_hi:[1,1,0] neg_lo:[0,0,1] neg_hi:[0,0,1]
	v_mov_b32_e32 v21, v19
	v_pk_mul_f32 v[18:19], v[6:7], v[2:3] op_sel:[0,1]
	v_pk_fma_f32 v[210:211], v[4:5], v[0:1], v[8:9] op_sel:[0,0,1] op_sel_hi:[1,0,0]
	v_pk_mul_f32 v[2:3], v[220:221], v[2:3] op_sel:[0,1]
	v_pk_fma_f32 v[4:5], v[4:5], v[0:1], v[8:9] op_sel:[0,0,1] op_sel_hi:[1,1,0] neg_lo:[0,0,1] neg_hi:[0,0,1]
	v_pk_add_f32 v[162:163], v[162:163], v[20:21] neg_lo:[0,1] neg_hi:[0,1]
	v_pk_fma_f32 v[8:9], v[6:7], v[0:1], v[18:19] op_sel:[0,0,1] op_sel_hi:[1,0,0]
	v_mov_b32_e32 v5, v211
	v_pk_fma_f32 v[210:211], v[218:219], v[0:1], v[212:213] op_sel:[0,0,1] op_sel_hi:[1,0,0]
	v_pk_fma_f32 v[6:7], v[6:7], v[0:1], v[18:19] op_sel:[0,0,1] op_sel_hi:[1,1,0] neg_lo:[0,0,1] neg_hi:[0,0,1]
	v_pk_fma_f32 v[18:19], v[220:221], v[0:1], v[2:3] op_sel:[0,0,1] op_sel_hi:[1,0,0]
	v_mov_b32_e32 v7, v9
	v_pk_fma_f32 v[8:9], v[218:219], v[0:1], v[212:213] op_sel:[0,0,1] op_sel_hi:[1,1,0] neg_lo:[0,0,1] neg_hi:[0,0,1]
	v_pk_fma_f32 v[0:1], v[220:221], v[0:1], v[2:3] op_sel:[0,0,1] op_sel_hi:[1,1,0] neg_lo:[0,0,1] neg_hi:[0,0,1]
	s_delay_alu instid0(VALU_DEP_4) | instskip(SKIP_2) | instid1(VALU_DEP_3)
	v_dual_mov_b32 v9, v211 :: v_dual_mov_b32 v1, v19
	v_pk_add_f32 v[166:167], v[166:167], v[4:5] neg_lo:[0,1] neg_hi:[0,1]
	v_pk_add_f32 v[160:161], v[160:161], v[6:7] neg_lo:[0,1] neg_hi:[0,1]
	;; [unrolled: 1-line block ×3, first 2 shown]
	s_delay_alu instid0(VALU_DEP_4)
	v_pk_add_f32 v[176:177], v[176:177], v[0:1] neg_lo:[0,1] neg_hi:[0,1]
.LBB87_145:
	s_or_b32 exec_lo, exec_lo, s1
	s_delay_alu instid0(SALU_CYCLE_1)
	s_mov_b32 s2, exec_lo
	s_wait_dscnt 0x0
	s_barrier_signal -1
	s_barrier_wait -1
	v_cmpx_eq_u32_e32 16, v30
	s_cbranch_execz .LBB87_152
; %bb.146:
	ds_store_b64 v31, v[120:121]
	ds_store_2addr_b64 v12, v[56:57], v[58:59] offset0:17 offset1:18
	ds_store_2addr_b64 v12, v[54:55], v[86:87] offset0:19 offset1:20
	;; [unrolled: 1-line block ×13, first 2 shown]
	ds_store_b64 v12, v[176:177] offset:344
	ds_load_b64 v[0:1], v31
	s_wait_dscnt 0x0
	v_cmp_neq_f32_e32 vcc_lo, 0, v0
	v_cmp_neq_f32_e64 s1, 0, v1
	s_or_b32 s1, vcc_lo, s1
	s_delay_alu instid0(SALU_CYCLE_1)
	s_and_b32 exec_lo, exec_lo, s1
	s_cbranch_execz .LBB87_152
; %bb.147:
	v_cmp_ngt_f32_e64 s1, |v0|, |v1|
                                        ; implicit-def: $vgpr2_vgpr3
	s_and_saveexec_b32 s4, s1
	s_delay_alu instid0(SALU_CYCLE_1)
	s_xor_b32 s1, exec_lo, s4
	s_cbranch_execz .LBB87_149
; %bb.148:
	v_div_scale_f32 v2, null, v1, v1, v0
	v_div_scale_f32 v5, vcc_lo, v0, v1, v0
	s_delay_alu instid0(VALU_DEP_2) | instskip(SKIP_1) | instid1(TRANS32_DEP_1)
	v_rcp_f32_e32 v3, v2
	v_nop
	v_fma_f32 v4, -v2, v3, 1.0
	s_delay_alu instid0(VALU_DEP_1) | instskip(NEXT) | instid1(VALU_DEP_1)
	v_fmac_f32_e32 v3, v4, v3
	v_mul_f32_e32 v4, v5, v3
	s_delay_alu instid0(VALU_DEP_1) | instskip(NEXT) | instid1(VALU_DEP_1)
	v_fma_f32 v6, -v2, v4, v5
	v_fmac_f32_e32 v4, v6, v3
	s_delay_alu instid0(VALU_DEP_1) | instskip(NEXT) | instid1(VALU_DEP_1)
	v_fma_f32 v2, -v2, v4, v5
	v_div_fmas_f32 v2, v2, v3, v4
	s_delay_alu instid0(VALU_DEP_1) | instskip(NEXT) | instid1(VALU_DEP_1)
	v_div_fixup_f32 v2, v2, v1, v0
	v_fmac_f32_e32 v1, v0, v2
	s_delay_alu instid0(VALU_DEP_1) | instskip(SKIP_1) | instid1(VALU_DEP_2)
	v_div_scale_f32 v0, null, v1, v1, 1.0
	v_div_scale_f32 v5, vcc_lo, 1.0, v1, 1.0
	v_rcp_f32_e32 v3, v0
	v_nop
	s_delay_alu instid0(TRANS32_DEP_1) | instskip(NEXT) | instid1(VALU_DEP_1)
	v_fma_f32 v4, -v0, v3, 1.0
	v_fmac_f32_e32 v3, v4, v3
	s_delay_alu instid0(VALU_DEP_1) | instskip(NEXT) | instid1(VALU_DEP_1)
	v_mul_f32_e32 v4, v5, v3
	v_fma_f32 v6, -v0, v4, v5
	s_delay_alu instid0(VALU_DEP_1) | instskip(NEXT) | instid1(VALU_DEP_1)
	v_fmac_f32_e32 v4, v6, v3
	v_fma_f32 v0, -v0, v4, v5
	s_delay_alu instid0(VALU_DEP_1) | instskip(NEXT) | instid1(VALU_DEP_1)
	v_div_fmas_f32 v0, v0, v3, v4
	v_div_fixup_f32 v0, v0, v1, 1.0
	s_delay_alu instid0(VALU_DEP_1)
	v_mul_f32_e32 v2, v2, v0
	v_xor_b32_e32 v3, 0x80000000, v0
                                        ; implicit-def: $vgpr0_vgpr1
.LBB87_149:
	s_and_not1_saveexec_b32 s1, s1
	s_cbranch_execz .LBB87_151
; %bb.150:
	v_div_scale_f32 v2, null, v0, v0, v1
	v_div_scale_f32 v5, vcc_lo, v1, v0, v1
	s_delay_alu instid0(VALU_DEP_2) | instskip(SKIP_1) | instid1(TRANS32_DEP_1)
	v_rcp_f32_e32 v3, v2
	v_nop
	v_fma_f32 v4, -v2, v3, 1.0
	s_delay_alu instid0(VALU_DEP_1) | instskip(NEXT) | instid1(VALU_DEP_1)
	v_fmac_f32_e32 v3, v4, v3
	v_mul_f32_e32 v4, v5, v3
	s_delay_alu instid0(VALU_DEP_1) | instskip(NEXT) | instid1(VALU_DEP_1)
	v_fma_f32 v6, -v2, v4, v5
	v_fmac_f32_e32 v4, v6, v3
	s_delay_alu instid0(VALU_DEP_1) | instskip(NEXT) | instid1(VALU_DEP_1)
	v_fma_f32 v2, -v2, v4, v5
	v_div_fmas_f32 v2, v2, v3, v4
	s_delay_alu instid0(VALU_DEP_1) | instskip(NEXT) | instid1(VALU_DEP_1)
	v_div_fixup_f32 v3, v2, v0, v1
	v_fmac_f32_e32 v0, v1, v3
	s_delay_alu instid0(VALU_DEP_1) | instskip(NEXT) | instid1(VALU_DEP_1)
	v_div_scale_f32 v1, null, v0, v0, 1.0
	v_rcp_f32_e32 v2, v1
	v_nop
	s_delay_alu instid0(TRANS32_DEP_1) | instskip(NEXT) | instid1(VALU_DEP_1)
	v_fma_f32 v4, -v1, v2, 1.0
	v_fmac_f32_e32 v2, v4, v2
	v_div_scale_f32 v4, vcc_lo, 1.0, v0, 1.0
	s_delay_alu instid0(VALU_DEP_1) | instskip(NEXT) | instid1(VALU_DEP_1)
	v_mul_f32_e32 v5, v4, v2
	v_fma_f32 v6, -v1, v5, v4
	s_delay_alu instid0(VALU_DEP_1) | instskip(NEXT) | instid1(VALU_DEP_1)
	v_fmac_f32_e32 v5, v6, v2
	v_fma_f32 v1, -v1, v5, v4
	s_delay_alu instid0(VALU_DEP_1) | instskip(NEXT) | instid1(VALU_DEP_1)
	v_div_fmas_f32 v1, v1, v2, v5
	v_div_fixup_f32 v2, v1, v0, 1.0
	s_delay_alu instid0(VALU_DEP_1)
	v_mul_f32_e64 v3, v3, -v2
.LBB87_151:
	s_or_b32 exec_lo, exec_lo, s1
	ds_store_b64 v31, v[2:3]
.LBB87_152:
	s_or_b32 exec_lo, exec_lo, s2
	s_wait_dscnt 0x0
	s_barrier_signal -1
	s_barrier_wait -1
	ds_load_b64 v[210:211], v31
	s_mov_b32 s1, exec_lo
	v_cmpx_lt_u32_e32 16, v30
	s_cbranch_execz .LBB87_154
; %bb.153:
	ds_load_2addr_b64 v[4:7], v12 offset0:17 offset1:18
	ds_load_2addr_b64 v[212:215], v12 offset0:19 offset1:20
	;; [unrolled: 1-line block ×3, first 2 shown]
	s_wait_dscnt 0x3
	v_pk_mul_f32 v[2:3], v[210:211], v[120:121] op_sel:[1,1] op_sel_hi:[0,1]
	ds_load_2addr_b64 v[220:223], v12 offset0:23 offset1:24
	ds_load_2addr_b64 v[224:227], v12 offset0:25 offset1:26
	v_pk_fma_f32 v[0:1], v[210:211], v[120:121], v[2:3] op_sel_hi:[1,0,1] neg_lo:[0,0,1] neg_hi:[0,0,1]
	v_pk_fma_f32 v[2:3], v[210:211], v[120:121], v[2:3] op_sel_hi:[1,0,1]
	s_delay_alu instid0(VALU_DEP_1) | instskip(SKIP_1) | instid1(VALU_DEP_2)
	v_dual_mov_b32 v120, v0 :: v_dual_mov_b32 v121, v3
	s_wait_dscnt 0x4
	v_pk_mul_f32 v[8:9], v[4:5], v[2:3] op_sel:[0,1]
	v_pk_mul_f32 v[18:19], v[6:7], v[2:3] op_sel:[0,1]
	s_wait_dscnt 0x3
	v_pk_mul_f32 v[20:21], v[212:213], v[2:3] op_sel:[0,1]
	v_dual_mov_b32 v228, v215 :: v_dual_mov_b32 v229, v214
	v_dual_mul_f32 v230, v215, v3 :: v_dual_mul_f32 v232, v215, v0
	v_pk_fma_f32 v[238:239], v[4:5], v[0:1], v[8:9] op_sel:[0,0,1] op_sel_hi:[1,1,0] neg_lo:[0,0,1] neg_hi:[0,0,1]
	v_pk_fma_f32 v[4:5], v[4:5], v[0:1], v[8:9] op_sel:[0,0,1] op_sel_hi:[1,0,0]
	v_pk_fma_f32 v[8:9], v[6:7], v[0:1], v[18:19] op_sel:[0,0,1] op_sel_hi:[1,1,0] neg_lo:[0,0,1] neg_hi:[0,0,1]
	v_pk_fma_f32 v[6:7], v[6:7], v[0:1], v[18:19] op_sel:[0,0,1] op_sel_hi:[1,0,0]
	;; [unrolled: 2-line block ×3, first 2 shown]
	s_wait_dscnt 0x2
	v_pk_mul_f32 v[234:235], v[216:217], v[2:3] op_sel:[0,1]
	v_pk_mul_f32 v[236:237], v[218:219], v[2:3] op_sel:[0,1]
	v_pk_fma_f32 v[212:213], v[214:215], v[120:121], v[230:231] op_sel_hi:[1,1,0] neg_lo:[0,0,1] neg_hi:[0,0,1]
	v_pk_fma_f32 v[214:215], v[228:229], v[120:121], v[232:233] op_sel_hi:[1,1,0]
	v_dual_mov_b32 v239, v5 :: v_dual_mov_b32 v9, v7
	v_mov_b32_e32 v19, v21
	v_pk_fma_f32 v[4:5], v[216:217], v[0:1], v[234:235] op_sel:[0,0,1] op_sel_hi:[1,0,0]
	s_delay_alu instid0(VALU_DEP_4)
	v_mov_b32_e32 v213, v215
	v_pk_fma_f32 v[228:229], v[216:217], v[0:1], v[234:235] op_sel:[0,0,1] op_sel_hi:[1,1,0] neg_lo:[0,0,1] neg_hi:[0,0,1]
	v_pk_add_f32 v[58:59], v[58:59], v[8:9] neg_lo:[0,1] neg_hi:[0,1]
	v_pk_add_f32 v[54:55], v[54:55], v[18:19] neg_lo:[0,1] neg_hi:[0,1]
	v_pk_fma_f32 v[8:9], v[218:219], v[0:1], v[236:237] op_sel:[0,0,1] op_sel_hi:[1,0,0]
	s_wait_dscnt 0x1
	v_pk_mul_f32 v[18:19], v[220:221], v[2:3] op_sel:[0,1]
	v_pk_fma_f32 v[20:21], v[218:219], v[0:1], v[236:237] op_sel:[0,0,1] op_sel_hi:[1,1,0] neg_lo:[0,0,1] neg_hi:[0,0,1]
	v_mov_b32_e32 v229, v5
	ds_load_2addr_b64 v[4:7], v12 offset0:27 offset1:28
	v_mov_b32_e32 v21, v9
	v_pk_add_f32 v[86:87], v[86:87], v[212:213] neg_lo:[0,1] neg_hi:[0,1]
	v_pk_mul_f32 v[8:9], v[222:223], v[2:3] op_sel:[0,1]
	v_pk_fma_f32 v[212:213], v[220:221], v[0:1], v[18:19] op_sel:[0,0,1] op_sel_hi:[1,0,0]
	v_pk_fma_f32 v[18:19], v[220:221], v[0:1], v[18:19] op_sel:[0,0,1] op_sel_hi:[1,1,0] neg_lo:[0,0,1] neg_hi:[0,0,1]
	v_pk_add_f32 v[84:85], v[84:85], v[20:21] neg_lo:[0,1] neg_hi:[0,1]
	s_wait_dscnt 0x1
	v_mul_f32_e32 v216, v225, v3
	v_pk_fma_f32 v[20:21], v[222:223], v[0:1], v[8:9] op_sel:[0,0,1] op_sel_hi:[1,0,0]
	v_mov_b32_e32 v19, v213
	ds_load_2addr_b64 v[212:215], v12 offset0:29 offset1:30
	v_pk_fma_f32 v[8:9], v[222:223], v[0:1], v[8:9] op_sel:[0,0,1] op_sel_hi:[1,1,0] neg_lo:[0,0,1] neg_hi:[0,0,1]
	v_mul_f32_e32 v20, v225, v0
	v_mov_b32_e32 v9, v21
	v_pk_add_f32 v[80:81], v[80:81], v[18:19] neg_lo:[0,1] neg_hi:[0,1]
	v_pk_mul_f32 v[18:19], v[226:227], v[2:3] op_sel:[0,1]
	v_pk_fma_f32 v[220:221], v[224:225], v[120:121], v[216:217] op_sel_hi:[1,1,0] neg_lo:[0,0,1] neg_hi:[0,0,1]
	v_pk_fma_f32 v[20:21], v[224:225], v[120:121], v[20:21] op_sel:[1,0,0] op_sel_hi:[0,1,0]
	v_pk_add_f32 v[110:111], v[110:111], v[8:9] neg_lo:[0,1] neg_hi:[0,1]
	v_pk_add_f32 v[56:57], v[56:57], v[238:239] neg_lo:[0,1] neg_hi:[0,1]
	v_pk_fma_f32 v[218:219], v[226:227], v[0:1], v[18:19] op_sel:[0,0,1] op_sel_hi:[1,0,0]
	v_pk_fma_f32 v[18:19], v[226:227], v[0:1], v[18:19] op_sel:[0,0,1] op_sel_hi:[1,1,0] neg_lo:[0,0,1] neg_hi:[0,0,1]
	s_wait_dscnt 0x1
	v_pk_mul_f32 v[8:9], v[4:5], v[2:3] op_sel:[0,1]
	v_mov_b32_e32 v221, v21
	v_pk_mul_f32 v[222:223], v[6:7], v[2:3] op_sel:[0,1]
	v_mov_b32_e32 v19, v219
	ds_load_2addr_b64 v[216:219], v12 offset0:31 offset1:32
	v_pk_fma_f32 v[20:21], v[4:5], v[0:1], v[8:9] op_sel:[0,0,1] op_sel_hi:[1,0,0]
	v_pk_fma_f32 v[4:5], v[4:5], v[0:1], v[8:9] op_sel:[0,0,1] op_sel_hi:[1,1,0] neg_lo:[0,0,1] neg_hi:[0,0,1]
	v_pk_add_f32 v[106:107], v[106:107], v[220:221] neg_lo:[0,1] neg_hi:[0,1]
	s_wait_dscnt 0x1
	v_pk_mul_f32 v[8:9], v[212:213], v[2:3] op_sel:[0,1]
	v_pk_add_f32 v[108:109], v[108:109], v[18:19] neg_lo:[0,1] neg_hi:[0,1]
	v_mov_b32_e32 v5, v21
	v_pk_fma_f32 v[20:21], v[6:7], v[0:1], v[222:223] op_sel:[0,0,1] op_sel_hi:[1,0,0]
	v_pk_fma_f32 v[220:221], v[6:7], v[0:1], v[222:223] op_sel:[0,0,1] op_sel_hi:[1,1,0] neg_lo:[0,0,1] neg_hi:[0,0,1]
	v_pk_fma_f32 v[18:19], v[212:213], v[0:1], v[8:9] op_sel:[0,0,1] op_sel_hi:[1,0,0]
	v_pk_fma_f32 v[8:9], v[212:213], v[0:1], v[8:9] op_sel:[0,0,1] op_sel_hi:[1,1,0] neg_lo:[0,0,1] neg_hi:[0,0,1]
	s_delay_alu instid0(VALU_DEP_4)
	v_dual_mov_b32 v18, v215 :: v_dual_mov_b32 v221, v21
	v_pk_add_f32 v[104:105], v[104:105], v[4:5] neg_lo:[0,1] neg_hi:[0,1]
	ds_load_2addr_b64 v[4:7], v12 offset0:33 offset1:34
	v_dual_mov_b32 v9, v19 :: v_dual_mov_b32 v19, v214
	v_mul_f32_e32 v20, v215, v0
	v_pk_add_f32 v[128:129], v[128:129], v[220:221] neg_lo:[0,1] neg_hi:[0,1]
	ds_load_2addr_b64 v[220:223], v12 offset0:35 offset1:36
	v_pk_add_f32 v[124:125], v[124:125], v[8:9] neg_lo:[0,1] neg_hi:[0,1]
	s_wait_dscnt 0x2
	v_pk_mul_f32 v[8:9], v[216:217], v[2:3] op_sel:[0,1]
	v_pk_fma_f32 v[18:19], v[18:19], v[120:121], v[20:21] op_sel_hi:[1,1,0]
	v_pk_mul_f32 v[20:21], v[218:219], v[2:3] op_sel:[0,1]
	v_pk_add_f32 v[82:83], v[82:83], v[228:229] neg_lo:[0,1] neg_hi:[0,1]
	s_delay_alu instid0(VALU_DEP_4) | instskip(SKIP_2) | instid1(VALU_DEP_3)
	v_pk_fma_f32 v[224:225], v[216:217], v[0:1], v[8:9] op_sel:[0,0,1] op_sel_hi:[1,0,0]
	v_mul_f32_e32 v212, v215, v3
	v_pk_fma_f32 v[8:9], v[216:217], v[0:1], v[8:9] op_sel:[0,0,1] op_sel_hi:[1,1,0] neg_lo:[0,0,1] neg_hi:[0,0,1]
	v_mov_b32_e32 v9, v225
	s_delay_alu instid0(VALU_DEP_3)
	v_pk_fma_f32 v[226:227], v[214:215], v[120:121], v[212:213] op_sel_hi:[1,1,0] neg_lo:[0,0,1] neg_hi:[0,0,1]
	v_mov_b32_e32 v227, v19
	v_pk_fma_f32 v[18:19], v[218:219], v[0:1], v[20:21] op_sel:[0,0,1] op_sel_hi:[1,0,0]
	ds_load_2addr_b64 v[212:215], v12 offset0:37 offset1:38
	v_pk_fma_f32 v[20:21], v[218:219], v[0:1], v[20:21] op_sel:[0,0,1] op_sel_hi:[1,1,0] neg_lo:[0,0,1] neg_hi:[0,0,1]
	s_wait_dscnt 0x2
	v_pk_mul_f32 v[216:217], v[4:5], v[2:3] op_sel:[0,1]
	v_pk_add_f32 v[122:123], v[122:123], v[8:9] neg_lo:[0,1] neg_hi:[0,1]
	v_mov_b32_e32 v21, v19
	v_pk_mul_f32 v[18:19], v[6:7], v[2:3] op_sel:[0,1]
	v_pk_add_f32 v[126:127], v[126:127], v[226:227] neg_lo:[0,1] neg_hi:[0,1]
	v_pk_fma_f32 v[218:219], v[4:5], v[0:1], v[216:217] op_sel:[0,0,1] op_sel_hi:[1,0,0]
	s_delay_alu instid0(VALU_DEP_4) | instskip(NEXT) | instid1(VALU_DEP_4)
	v_pk_add_f32 v[148:149], v[148:149], v[20:21] neg_lo:[0,1] neg_hi:[0,1]
	v_pk_fma_f32 v[8:9], v[6:7], v[0:1], v[18:19] op_sel:[0,0,1] op_sel_hi:[1,0,0]
	v_pk_fma_f32 v[20:21], v[4:5], v[0:1], v[216:217] op_sel:[0,0,1] op_sel_hi:[1,1,0] neg_lo:[0,0,1] neg_hi:[0,0,1]
	s_wait_dscnt 0x1
	v_dual_mov_b32 v21, v219 :: v_dual_mul_f32 v8, v221, v0
	v_pk_fma_f32 v[18:19], v[6:7], v[0:1], v[18:19] op_sel:[0,0,1] op_sel_hi:[1,1,0] neg_lo:[0,0,1] neg_hi:[0,0,1]
	ds_load_2addr_b64 v[4:7], v12 offset0:39 offset1:40
	v_mov_b32_e32 v19, v9
	v_mul_f32_e32 v216, v221, v3
	v_pk_add_f32 v[144:145], v[144:145], v[20:21] neg_lo:[0,1] neg_hi:[0,1]
	v_pk_fma_f32 v[8:9], v[220:221], v[120:121], v[8:9] op_sel:[1,0,0] op_sel_hi:[0,1,0]
	v_pk_mul_f32 v[20:21], v[222:223], v[2:3] op_sel:[0,1]
	v_pk_add_f32 v[146:147], v[146:147], v[18:19] neg_lo:[0,1] neg_hi:[0,1]
	v_pk_fma_f32 v[18:19], v[220:221], v[120:121], v[216:217] op_sel_hi:[1,1,0] neg_lo:[0,0,1] neg_hi:[0,0,1]
	s_wait_dscnt 0x1
	v_pk_mul_f32 v[220:221], v[212:213], v[2:3] op_sel:[0,1]
	v_mov_b32_e32 v19, v9
	v_pk_fma_f32 v[8:9], v[222:223], v[0:1], v[20:21] op_sel:[0,0,1] op_sel_hi:[1,0,0]
	v_pk_mul_f32 v[224:225], v[214:215], v[2:3] op_sel:[0,1]
	ds_load_2addr_b64 v[216:219], v12 offset0:41 offset1:42
	v_pk_fma_f32 v[20:21], v[222:223], v[0:1], v[20:21] op_sel:[0,0,1] op_sel_hi:[1,1,0] neg_lo:[0,0,1] neg_hi:[0,0,1]
	v_pk_fma_f32 v[222:223], v[212:213], v[0:1], v[220:221] op_sel:[0,0,1] op_sel_hi:[1,0,0]
	v_pk_fma_f32 v[212:213], v[212:213], v[0:1], v[220:221] op_sel:[0,0,1] op_sel_hi:[1,1,0] neg_lo:[0,0,1] neg_hi:[0,0,1]
	ds_load_b64 v[220:221], v12 offset:344
	v_mov_b32_e32 v21, v9
	v_pk_fma_f32 v[8:9], v[214:215], v[0:1], v[224:225] op_sel:[0,0,1] op_sel_hi:[1,0,0]
	v_pk_fma_f32 v[214:215], v[214:215], v[0:1], v[224:225] op_sel:[0,0,1] op_sel_hi:[1,1,0] neg_lo:[0,0,1] neg_hi:[0,0,1]
	v_mov_b32_e32 v213, v223
	s_delay_alu instid0(VALU_DEP_4) | instskip(NEXT) | instid1(VALU_DEP_4)
	v_pk_add_f32 v[170:171], v[170:171], v[20:21] neg_lo:[0,1] neg_hi:[0,1]
	v_mov_b32_e32 v215, v9
	s_wait_dscnt 0x2
	v_pk_mul_f32 v[8:9], v[4:5], v[2:3] op_sel:[0,1]
	v_pk_add_f32 v[142:143], v[142:143], v[18:19] neg_lo:[0,1] neg_hi:[0,1]
	v_dual_mov_b32 v20, v7 :: v_dual_mov_b32 v21, v6
	v_pk_add_f32 v[164:165], v[164:165], v[212:213] neg_lo:[0,1] neg_hi:[0,1]
	s_delay_alu instid0(VALU_DEP_4)
	v_pk_fma_f32 v[18:19], v[4:5], v[0:1], v[8:9] op_sel:[0,0,1] op_sel_hi:[1,0,0]
	v_mul_f32_e32 v18, v7, v0
	v_pk_fma_f32 v[4:5], v[4:5], v[0:1], v[8:9] op_sel:[0,0,1] op_sel_hi:[1,1,0] neg_lo:[0,0,1] neg_hi:[0,0,1]
	v_mul_f32_e32 v8, v7, v3
	s_wait_dscnt 0x1
	v_pk_mul_f32 v[212:213], v[216:217], v[2:3] op_sel:[0,1]
	v_mov_b32_e32 v5, v19
	v_pk_fma_f32 v[18:19], v[20:21], v[120:121], v[18:19] op_sel_hi:[1,1,0]
	v_pk_mul_f32 v[20:21], v[218:219], v[2:3] op_sel:[0,1]
	s_wait_dscnt 0x0
	v_pk_mul_f32 v[2:3], v[220:221], v[2:3] op_sel:[0,1]
	v_pk_fma_f32 v[6:7], v[6:7], v[120:121], v[8:9] op_sel_hi:[1,1,0] neg_lo:[0,0,1] neg_hi:[0,0,1]
	v_pk_fma_f32 v[8:9], v[216:217], v[0:1], v[212:213] op_sel:[0,0,1] op_sel_hi:[1,0,0]
	v_pk_add_f32 v[168:169], v[168:169], v[214:215] neg_lo:[0,1] neg_hi:[0,1]
	v_mov_b32_e32 v7, v19
	v_pk_fma_f32 v[18:19], v[218:219], v[0:1], v[20:21] op_sel:[0,0,1] op_sel_hi:[1,0,0]
	v_pk_fma_f32 v[214:215], v[220:221], v[0:1], v[2:3] op_sel:[0,0,1] op_sel_hi:[1,0,0]
	v_pk_fma_f32 v[212:213], v[216:217], v[0:1], v[212:213] op_sel:[0,0,1] op_sel_hi:[1,1,0] neg_lo:[0,0,1] neg_hi:[0,0,1]
	v_mov_b32_e32 v213, v9
	v_pk_fma_f32 v[8:9], v[218:219], v[0:1], v[20:21] op_sel:[0,0,1] op_sel_hi:[1,1,0] neg_lo:[0,0,1] neg_hi:[0,0,1]
	v_pk_fma_f32 v[0:1], v[220:221], v[0:1], v[2:3] op_sel:[0,0,1] op_sel_hi:[1,1,0] neg_lo:[0,0,1] neg_hi:[0,0,1]
	v_dual_mov_b32 v9, v19 :: v_dual_mov_b32 v1, v215
	v_pk_add_f32 v[162:163], v[162:163], v[4:5] neg_lo:[0,1] neg_hi:[0,1]
	v_pk_add_f32 v[166:167], v[166:167], v[6:7] neg_lo:[0,1] neg_hi:[0,1]
	;; [unrolled: 1-line block ×3, first 2 shown]
	s_delay_alu instid0(VALU_DEP_4)
	v_pk_add_f32 v[172:173], v[172:173], v[8:9] neg_lo:[0,1] neg_hi:[0,1]
	v_pk_add_f32 v[176:177], v[176:177], v[0:1] neg_lo:[0,1] neg_hi:[0,1]
.LBB87_154:
	s_or_b32 exec_lo, exec_lo, s1
	s_delay_alu instid0(SALU_CYCLE_1)
	s_mov_b32 s2, exec_lo
	s_wait_dscnt 0x0
	s_barrier_signal -1
	s_barrier_wait -1
	v_cmpx_eq_u32_e32 17, v30
	s_cbranch_execz .LBB87_161
; %bb.155:
	v_dual_mov_b32 v0, v58 :: v_dual_mov_b32 v1, v59
	v_dual_mov_b32 v2, v54 :: v_dual_mov_b32 v3, v55
	v_dual_mov_b32 v4, v86 :: v_dual_mov_b32 v5, v87
	v_dual_mov_b32 v6, v82 :: v_dual_mov_b32 v7, v83
	ds_store_b64 v31, v[56:57]
	ds_store_2addr_b64 v12, v[0:1], v[2:3] offset0:18 offset1:19
	ds_store_2addr_b64 v12, v[4:5], v[6:7] offset0:20 offset1:21
	v_dual_mov_b32 v0, v84 :: v_dual_mov_b32 v1, v85
	v_dual_mov_b32 v2, v80 :: v_dual_mov_b32 v3, v81
	;; [unrolled: 1-line block ×12, first 2 shown]
	ds_store_2addr_b64 v12, v[0:1], v[2:3] offset0:22 offset1:23
	ds_store_2addr_b64 v12, v[4:5], v[6:7] offset0:24 offset1:25
	;; [unrolled: 1-line block ×6, first 2 shown]
	v_dual_mov_b32 v0, v146 :: v_dual_mov_b32 v1, v147
	v_dual_mov_b32 v2, v142 :: v_dual_mov_b32 v3, v143
	v_dual_mov_b32 v4, v170 :: v_dual_mov_b32 v5, v171
	v_dual_mov_b32 v6, v164 :: v_dual_mov_b32 v7, v165
	v_dual_mov_b32 v8, v168 :: v_dual_mov_b32 v9, v169
	v_dual_mov_b32 v18, v162 :: v_dual_mov_b32 v19, v163
	v_dual_mov_b32 v20, v166 :: v_dual_mov_b32 v21, v167
	v_dual_mov_b32 v212, v160 :: v_dual_mov_b32 v213, v161
	v_dual_mov_b32 v214, v172 :: v_dual_mov_b32 v215, v173
	ds_store_2addr_b64 v12, v[0:1], v[2:3] offset0:34 offset1:35
	ds_store_2addr_b64 v12, v[4:5], v[6:7] offset0:36 offset1:37
	;; [unrolled: 1-line block ×5, first 2 shown]
	ds_load_b64 v[0:1], v31
	s_wait_dscnt 0x0
	v_cmp_neq_f32_e32 vcc_lo, 0, v0
	v_cmp_neq_f32_e64 s1, 0, v1
	s_or_b32 s1, vcc_lo, s1
	s_delay_alu instid0(SALU_CYCLE_1)
	s_and_b32 exec_lo, exec_lo, s1
	s_cbranch_execz .LBB87_161
; %bb.156:
	v_cmp_ngt_f32_e64 s1, |v0|, |v1|
                                        ; implicit-def: $vgpr2_vgpr3
	s_and_saveexec_b32 s4, s1
	s_delay_alu instid0(SALU_CYCLE_1)
	s_xor_b32 s1, exec_lo, s4
	s_cbranch_execz .LBB87_158
; %bb.157:
	v_div_scale_f32 v2, null, v1, v1, v0
	v_div_scale_f32 v5, vcc_lo, v0, v1, v0
	s_delay_alu instid0(VALU_DEP_2) | instskip(SKIP_1) | instid1(TRANS32_DEP_1)
	v_rcp_f32_e32 v3, v2
	v_nop
	v_fma_f32 v4, -v2, v3, 1.0
	s_delay_alu instid0(VALU_DEP_1) | instskip(NEXT) | instid1(VALU_DEP_1)
	v_fmac_f32_e32 v3, v4, v3
	v_mul_f32_e32 v4, v5, v3
	s_delay_alu instid0(VALU_DEP_1) | instskip(NEXT) | instid1(VALU_DEP_1)
	v_fma_f32 v6, -v2, v4, v5
	v_fmac_f32_e32 v4, v6, v3
	s_delay_alu instid0(VALU_DEP_1) | instskip(NEXT) | instid1(VALU_DEP_1)
	v_fma_f32 v2, -v2, v4, v5
	v_div_fmas_f32 v2, v2, v3, v4
	s_delay_alu instid0(VALU_DEP_1) | instskip(NEXT) | instid1(VALU_DEP_1)
	v_div_fixup_f32 v2, v2, v1, v0
	v_fmac_f32_e32 v1, v0, v2
	s_delay_alu instid0(VALU_DEP_1) | instskip(SKIP_1) | instid1(VALU_DEP_2)
	v_div_scale_f32 v0, null, v1, v1, 1.0
	v_div_scale_f32 v5, vcc_lo, 1.0, v1, 1.0
	v_rcp_f32_e32 v3, v0
	v_nop
	s_delay_alu instid0(TRANS32_DEP_1) | instskip(NEXT) | instid1(VALU_DEP_1)
	v_fma_f32 v4, -v0, v3, 1.0
	v_fmac_f32_e32 v3, v4, v3
	s_delay_alu instid0(VALU_DEP_1) | instskip(NEXT) | instid1(VALU_DEP_1)
	v_mul_f32_e32 v4, v5, v3
	v_fma_f32 v6, -v0, v4, v5
	s_delay_alu instid0(VALU_DEP_1) | instskip(NEXT) | instid1(VALU_DEP_1)
	v_fmac_f32_e32 v4, v6, v3
	v_fma_f32 v0, -v0, v4, v5
	s_delay_alu instid0(VALU_DEP_1) | instskip(NEXT) | instid1(VALU_DEP_1)
	v_div_fmas_f32 v0, v0, v3, v4
	v_div_fixup_f32 v0, v0, v1, 1.0
	s_delay_alu instid0(VALU_DEP_1)
	v_mul_f32_e32 v2, v2, v0
	v_xor_b32_e32 v3, 0x80000000, v0
                                        ; implicit-def: $vgpr0_vgpr1
.LBB87_158:
	s_and_not1_saveexec_b32 s1, s1
	s_cbranch_execz .LBB87_160
; %bb.159:
	v_div_scale_f32 v2, null, v0, v0, v1
	v_div_scale_f32 v5, vcc_lo, v1, v0, v1
	s_delay_alu instid0(VALU_DEP_2) | instskip(SKIP_1) | instid1(TRANS32_DEP_1)
	v_rcp_f32_e32 v3, v2
	v_nop
	v_fma_f32 v4, -v2, v3, 1.0
	s_delay_alu instid0(VALU_DEP_1) | instskip(NEXT) | instid1(VALU_DEP_1)
	v_fmac_f32_e32 v3, v4, v3
	v_mul_f32_e32 v4, v5, v3
	s_delay_alu instid0(VALU_DEP_1) | instskip(NEXT) | instid1(VALU_DEP_1)
	v_fma_f32 v6, -v2, v4, v5
	v_fmac_f32_e32 v4, v6, v3
	s_delay_alu instid0(VALU_DEP_1) | instskip(NEXT) | instid1(VALU_DEP_1)
	v_fma_f32 v2, -v2, v4, v5
	v_div_fmas_f32 v2, v2, v3, v4
	s_delay_alu instid0(VALU_DEP_1) | instskip(NEXT) | instid1(VALU_DEP_1)
	v_div_fixup_f32 v3, v2, v0, v1
	v_fmac_f32_e32 v0, v1, v3
	s_delay_alu instid0(VALU_DEP_1) | instskip(NEXT) | instid1(VALU_DEP_1)
	v_div_scale_f32 v1, null, v0, v0, 1.0
	v_rcp_f32_e32 v2, v1
	v_nop
	s_delay_alu instid0(TRANS32_DEP_1) | instskip(NEXT) | instid1(VALU_DEP_1)
	v_fma_f32 v4, -v1, v2, 1.0
	v_fmac_f32_e32 v2, v4, v2
	v_div_scale_f32 v4, vcc_lo, 1.0, v0, 1.0
	s_delay_alu instid0(VALU_DEP_1) | instskip(NEXT) | instid1(VALU_DEP_1)
	v_mul_f32_e32 v5, v4, v2
	v_fma_f32 v6, -v1, v5, v4
	s_delay_alu instid0(VALU_DEP_1) | instskip(NEXT) | instid1(VALU_DEP_1)
	v_fmac_f32_e32 v5, v6, v2
	v_fma_f32 v1, -v1, v5, v4
	s_delay_alu instid0(VALU_DEP_1) | instskip(NEXT) | instid1(VALU_DEP_1)
	v_div_fmas_f32 v1, v1, v2, v5
	v_div_fixup_f32 v2, v1, v0, 1.0
	s_delay_alu instid0(VALU_DEP_1)
	v_mul_f32_e64 v3, v3, -v2
.LBB87_160:
	s_or_b32 exec_lo, exec_lo, s1
	ds_store_b64 v31, v[2:3]
.LBB87_161:
	s_or_b32 exec_lo, exec_lo, s2
	s_wait_dscnt 0x0
	s_barrier_signal -1
	s_barrier_wait -1
	ds_load_b64 v[212:213], v31
	s_mov_b32 s1, exec_lo
	v_cmpx_lt_u32_e32 17, v30
	s_cbranch_execz .LBB87_163
; %bb.162:
	ds_load_2addr_b64 v[4:7], v12 offset0:18 offset1:19
	s_wait_dscnt 0x1
	v_pk_mul_f32 v[2:3], v[212:213], v[56:57] op_sel:[1,1] op_sel_hi:[0,1]
	s_delay_alu instid0(VALU_DEP_1) | instskip(SKIP_1) | instid1(VALU_DEP_1)
	v_pk_fma_f32 v[0:1], v[212:213], v[56:57], v[2:3] op_sel_hi:[1,0,1] neg_lo:[0,0,1] neg_hi:[0,0,1]
	v_pk_fma_f32 v[2:3], v[212:213], v[56:57], v[2:3] op_sel_hi:[1,0,1]
	v_dual_mov_b32 v56, v0 :: v_dual_mov_b32 v57, v3
	s_wait_dscnt 0x0
	s_delay_alu instid0(VALU_DEP_2) | instskip(NEXT) | instid1(VALU_DEP_1)
	v_pk_mul_f32 v[8:9], v[4:5], v[2:3] op_sel:[0,1]
	v_pk_fma_f32 v[18:19], v[4:5], v[0:1], v[8:9] op_sel:[0,0,1] op_sel_hi:[1,1,0] neg_lo:[0,0,1] neg_hi:[0,0,1]
	v_pk_fma_f32 v[4:5], v[4:5], v[0:1], v[8:9] op_sel:[0,0,1] op_sel_hi:[1,0,0]
	s_delay_alu instid0(VALU_DEP_1) | instskip(SKIP_1) | instid1(VALU_DEP_1)
	v_mov_b32_e32 v19, v5
	v_pk_mul_f32 v[4:5], v[6:7], v[2:3] op_sel:[0,1]
	v_pk_fma_f32 v[8:9], v[6:7], v[0:1], v[4:5] op_sel:[0,0,1] op_sel_hi:[1,1,0] neg_lo:[0,0,1] neg_hi:[0,0,1]
	v_pk_fma_f32 v[4:5], v[6:7], v[0:1], v[4:5] op_sel:[0,0,1] op_sel_hi:[1,0,0]
	s_delay_alu instid0(VALU_DEP_1)
	v_mov_b32_e32 v9, v5
	ds_load_2addr_b64 v[4:7], v12 offset0:20 offset1:21
	v_pk_add_f32 v[58:59], v[58:59], v[18:19] neg_lo:[0,1] neg_hi:[0,1]
	v_pk_add_f32 v[54:55], v[54:55], v[8:9] neg_lo:[0,1] neg_hi:[0,1]
	s_wait_dscnt 0x0
	v_pk_mul_f32 v[8:9], v[4:5], v[2:3] op_sel:[0,1]
	s_delay_alu instid0(VALU_DEP_1) | instskip(SKIP_2) | instid1(VALU_DEP_2)
	v_pk_fma_f32 v[18:19], v[4:5], v[0:1], v[8:9] op_sel:[0,0,1] op_sel_hi:[1,1,0] neg_lo:[0,0,1] neg_hi:[0,0,1]
	v_pk_fma_f32 v[4:5], v[4:5], v[0:1], v[8:9] op_sel:[0,0,1] op_sel_hi:[1,0,0]
	v_dual_mul_f32 v8, v7, v3 :: v_dual_mov_b32 v4, v7
	v_dual_mov_b32 v19, v5 :: v_dual_mov_b32 v5, v6
	s_delay_alu instid0(VALU_DEP_2) | instskip(SKIP_1) | instid1(VALU_DEP_3)
	v_pk_fma_f32 v[8:9], v[6:7], v[56:57], v[8:9] op_sel_hi:[1,1,0] neg_lo:[0,0,1] neg_hi:[0,0,1]
	v_mul_f32_e32 v6, v7, v0
	v_pk_add_f32 v[86:87], v[86:87], v[18:19] neg_lo:[0,1] neg_hi:[0,1]
	s_delay_alu instid0(VALU_DEP_2) | instskip(NEXT) | instid1(VALU_DEP_1)
	v_pk_fma_f32 v[4:5], v[4:5], v[56:57], v[6:7] op_sel_hi:[1,1,0]
	v_mov_b32_e32 v9, v5
	ds_load_2addr_b64 v[4:7], v12 offset0:22 offset1:23
	v_pk_add_f32 v[82:83], v[82:83], v[8:9] neg_lo:[0,1] neg_hi:[0,1]
	s_wait_dscnt 0x0
	v_pk_mul_f32 v[8:9], v[4:5], v[2:3] op_sel:[0,1]
	s_delay_alu instid0(VALU_DEP_1) | instskip(SKIP_1) | instid1(VALU_DEP_1)
	v_pk_fma_f32 v[18:19], v[4:5], v[0:1], v[8:9] op_sel:[0,0,1] op_sel_hi:[1,1,0] neg_lo:[0,0,1] neg_hi:[0,0,1]
	v_pk_fma_f32 v[4:5], v[4:5], v[0:1], v[8:9] op_sel:[0,0,1] op_sel_hi:[1,0,0]
	v_mov_b32_e32 v19, v5
	v_pk_mul_f32 v[4:5], v[6:7], v[2:3] op_sel:[0,1]
	s_delay_alu instid0(VALU_DEP_1) | instskip(SKIP_1) | instid1(VALU_DEP_1)
	v_pk_fma_f32 v[8:9], v[6:7], v[0:1], v[4:5] op_sel:[0,0,1] op_sel_hi:[1,1,0] neg_lo:[0,0,1] neg_hi:[0,0,1]
	v_pk_fma_f32 v[4:5], v[6:7], v[0:1], v[4:5] op_sel:[0,0,1] op_sel_hi:[1,0,0]
	v_mov_b32_e32 v9, v5
	ds_load_2addr_b64 v[4:7], v12 offset0:24 offset1:25
	v_pk_add_f32 v[84:85], v[84:85], v[18:19] neg_lo:[0,1] neg_hi:[0,1]
	v_pk_add_f32 v[80:81], v[80:81], v[8:9] neg_lo:[0,1] neg_hi:[0,1]
	s_wait_dscnt 0x0
	v_pk_mul_f32 v[8:9], v[4:5], v[2:3] op_sel:[0,1]
	s_delay_alu instid0(VALU_DEP_1) | instskip(SKIP_1) | instid1(VALU_DEP_1)
	v_pk_fma_f32 v[18:19], v[4:5], v[0:1], v[8:9] op_sel:[0,0,1] op_sel_hi:[1,1,0] neg_lo:[0,0,1] neg_hi:[0,0,1]
	v_pk_fma_f32 v[4:5], v[4:5], v[0:1], v[8:9] op_sel:[0,0,1] op_sel_hi:[1,0,0]
	v_mov_b32_e32 v19, v5
	v_pk_mul_f32 v[4:5], v[6:7], v[2:3] op_sel:[0,1]
	s_delay_alu instid0(VALU_DEP_1) | instskip(SKIP_1) | instid1(VALU_DEP_1)
	v_pk_fma_f32 v[8:9], v[6:7], v[0:1], v[4:5] op_sel:[0,0,1] op_sel_hi:[1,1,0] neg_lo:[0,0,1] neg_hi:[0,0,1]
	v_pk_fma_f32 v[4:5], v[6:7], v[0:1], v[4:5] op_sel:[0,0,1] op_sel_hi:[1,0,0]
	v_mov_b32_e32 v9, v5
	ds_load_2addr_b64 v[4:7], v12 offset0:26 offset1:27
	v_pk_add_f32 v[110:111], v[110:111], v[18:19] neg_lo:[0,1] neg_hi:[0,1]
	v_pk_add_f32 v[106:107], v[106:107], v[8:9] neg_lo:[0,1] neg_hi:[0,1]
	s_wait_dscnt 0x0
	v_dual_mul_f32 v8, v5, v3 :: v_dual_mul_f32 v18, v5, v0
	s_delay_alu instid0(VALU_DEP_1) | instskip(NEXT) | instid1(VALU_DEP_2)
	v_pk_fma_f32 v[8:9], v[4:5], v[56:57], v[8:9] op_sel_hi:[1,1,0] neg_lo:[0,0,1] neg_hi:[0,0,1]
	v_pk_fma_f32 v[4:5], v[4:5], v[56:57], v[18:19] op_sel:[1,0,0] op_sel_hi:[0,1,0]
	s_delay_alu instid0(VALU_DEP_1) | instskip(SKIP_1) | instid1(VALU_DEP_2)
	v_mov_b32_e32 v9, v5
	v_pk_mul_f32 v[4:5], v[6:7], v[2:3] op_sel:[0,1]
	v_pk_add_f32 v[108:109], v[108:109], v[8:9] neg_lo:[0,1] neg_hi:[0,1]
	s_delay_alu instid0(VALU_DEP_2) | instskip(SKIP_1) | instid1(VALU_DEP_1)
	v_pk_fma_f32 v[8:9], v[6:7], v[0:1], v[4:5] op_sel:[0,0,1] op_sel_hi:[1,1,0] neg_lo:[0,0,1] neg_hi:[0,0,1]
	v_pk_fma_f32 v[4:5], v[6:7], v[0:1], v[4:5] op_sel:[0,0,1] op_sel_hi:[1,0,0]
	v_mov_b32_e32 v9, v5
	ds_load_2addr_b64 v[4:7], v12 offset0:28 offset1:29
	v_pk_add_f32 v[104:105], v[104:105], v[8:9] neg_lo:[0,1] neg_hi:[0,1]
	s_wait_dscnt 0x0
	v_pk_mul_f32 v[8:9], v[4:5], v[2:3] op_sel:[0,1]
	s_delay_alu instid0(VALU_DEP_1) | instskip(SKIP_1) | instid1(VALU_DEP_1)
	v_pk_fma_f32 v[18:19], v[4:5], v[0:1], v[8:9] op_sel:[0,0,1] op_sel_hi:[1,1,0] neg_lo:[0,0,1] neg_hi:[0,0,1]
	v_pk_fma_f32 v[4:5], v[4:5], v[0:1], v[8:9] op_sel:[0,0,1] op_sel_hi:[1,0,0]
	v_mov_b32_e32 v19, v5
	v_pk_mul_f32 v[4:5], v[6:7], v[2:3] op_sel:[0,1]
	s_delay_alu instid0(VALU_DEP_2) | instskip(NEXT) | instid1(VALU_DEP_2)
	v_pk_add_f32 v[128:129], v[128:129], v[18:19] neg_lo:[0,1] neg_hi:[0,1]
	v_pk_fma_f32 v[8:9], v[6:7], v[0:1], v[4:5] op_sel:[0,0,1] op_sel_hi:[1,1,0] neg_lo:[0,0,1] neg_hi:[0,0,1]
	v_pk_fma_f32 v[4:5], v[6:7], v[0:1], v[4:5] op_sel:[0,0,1] op_sel_hi:[1,0,0]
	s_delay_alu instid0(VALU_DEP_1) | instskip(SKIP_4) | instid1(VALU_DEP_1)
	v_mov_b32_e32 v9, v5
	ds_load_2addr_b64 v[4:7], v12 offset0:30 offset1:31
	v_pk_add_f32 v[124:125], v[124:125], v[8:9] neg_lo:[0,1] neg_hi:[0,1]
	s_wait_dscnt 0x0
	v_pk_mul_f32 v[8:9], v[4:5], v[2:3] op_sel:[0,1]
	v_pk_fma_f32 v[18:19], v[4:5], v[0:1], v[8:9] op_sel:[0,0,1] op_sel_hi:[1,1,0] neg_lo:[0,0,1] neg_hi:[0,0,1]
	v_pk_fma_f32 v[4:5], v[4:5], v[0:1], v[8:9] op_sel:[0,0,1] op_sel_hi:[1,0,0]
	v_dual_mul_f32 v8, v7, v3 :: v_dual_mov_b32 v4, v7
	s_delay_alu instid0(VALU_DEP_2) | instskip(NEXT) | instid1(VALU_DEP_2)
	v_dual_mov_b32 v19, v5 :: v_dual_mov_b32 v5, v6
	v_pk_fma_f32 v[8:9], v[6:7], v[56:57], v[8:9] op_sel_hi:[1,1,0] neg_lo:[0,0,1] neg_hi:[0,0,1]
	v_mul_f32_e32 v6, v7, v0
	s_delay_alu instid0(VALU_DEP_3) | instskip(NEXT) | instid1(VALU_DEP_2)
	v_pk_add_f32 v[126:127], v[126:127], v[18:19] neg_lo:[0,1] neg_hi:[0,1]
	v_pk_fma_f32 v[4:5], v[4:5], v[56:57], v[6:7] op_sel_hi:[1,1,0]
	s_delay_alu instid0(VALU_DEP_1) | instskip(SKIP_4) | instid1(VALU_DEP_1)
	v_mov_b32_e32 v9, v5
	ds_load_2addr_b64 v[4:7], v12 offset0:32 offset1:33
	v_pk_add_f32 v[122:123], v[122:123], v[8:9] neg_lo:[0,1] neg_hi:[0,1]
	s_wait_dscnt 0x0
	v_pk_mul_f32 v[8:9], v[4:5], v[2:3] op_sel:[0,1]
	v_pk_fma_f32 v[18:19], v[4:5], v[0:1], v[8:9] op_sel:[0,0,1] op_sel_hi:[1,1,0] neg_lo:[0,0,1] neg_hi:[0,0,1]
	v_pk_fma_f32 v[4:5], v[4:5], v[0:1], v[8:9] op_sel:[0,0,1] op_sel_hi:[1,0,0]
	s_delay_alu instid0(VALU_DEP_1) | instskip(SKIP_1) | instid1(VALU_DEP_1)
	v_mov_b32_e32 v19, v5
	v_pk_mul_f32 v[4:5], v[6:7], v[2:3] op_sel:[0,1]
	v_pk_fma_f32 v[8:9], v[6:7], v[0:1], v[4:5] op_sel:[0,0,1] op_sel_hi:[1,1,0] neg_lo:[0,0,1] neg_hi:[0,0,1]
	v_pk_fma_f32 v[4:5], v[6:7], v[0:1], v[4:5] op_sel:[0,0,1] op_sel_hi:[1,0,0]
	s_delay_alu instid0(VALU_DEP_1)
	v_mov_b32_e32 v9, v5
	ds_load_2addr_b64 v[4:7], v12 offset0:34 offset1:35
	v_pk_add_f32 v[148:149], v[148:149], v[18:19] neg_lo:[0,1] neg_hi:[0,1]
	v_pk_add_f32 v[144:145], v[144:145], v[8:9] neg_lo:[0,1] neg_hi:[0,1]
	s_wait_dscnt 0x0
	v_pk_mul_f32 v[8:9], v[4:5], v[2:3] op_sel:[0,1]
	s_delay_alu instid0(VALU_DEP_1) | instskip(SKIP_1) | instid1(VALU_DEP_1)
	v_pk_fma_f32 v[18:19], v[4:5], v[0:1], v[8:9] op_sel:[0,0,1] op_sel_hi:[1,1,0] neg_lo:[0,0,1] neg_hi:[0,0,1]
	v_pk_fma_f32 v[4:5], v[4:5], v[0:1], v[8:9] op_sel:[0,0,1] op_sel_hi:[1,0,0]
	v_mov_b32_e32 v19, v5
	v_pk_mul_f32 v[4:5], v[6:7], v[2:3] op_sel:[0,1]
	s_delay_alu instid0(VALU_DEP_1) | instskip(SKIP_1) | instid1(VALU_DEP_1)
	v_pk_fma_f32 v[8:9], v[6:7], v[0:1], v[4:5] op_sel:[0,0,1] op_sel_hi:[1,1,0] neg_lo:[0,0,1] neg_hi:[0,0,1]
	v_pk_fma_f32 v[4:5], v[6:7], v[0:1], v[4:5] op_sel:[0,0,1] op_sel_hi:[1,0,0]
	v_mov_b32_e32 v9, v5
	ds_load_2addr_b64 v[4:7], v12 offset0:36 offset1:37
	v_pk_add_f32 v[146:147], v[146:147], v[18:19] neg_lo:[0,1] neg_hi:[0,1]
	v_pk_add_f32 v[142:143], v[142:143], v[8:9] neg_lo:[0,1] neg_hi:[0,1]
	s_wait_dscnt 0x0
	v_dual_mul_f32 v8, v5, v3 :: v_dual_mul_f32 v18, v5, v0
	s_delay_alu instid0(VALU_DEP_1) | instskip(NEXT) | instid1(VALU_DEP_2)
	v_pk_fma_f32 v[8:9], v[4:5], v[56:57], v[8:9] op_sel_hi:[1,1,0] neg_lo:[0,0,1] neg_hi:[0,0,1]
	v_pk_fma_f32 v[4:5], v[4:5], v[56:57], v[18:19] op_sel:[1,0,0] op_sel_hi:[0,1,0]
	s_delay_alu instid0(VALU_DEP_1) | instskip(SKIP_1) | instid1(VALU_DEP_2)
	v_mov_b32_e32 v9, v5
	v_pk_mul_f32 v[4:5], v[6:7], v[2:3] op_sel:[0,1]
	v_pk_add_f32 v[170:171], v[170:171], v[8:9] neg_lo:[0,1] neg_hi:[0,1]
	s_delay_alu instid0(VALU_DEP_2) | instskip(SKIP_1) | instid1(VALU_DEP_1)
	v_pk_fma_f32 v[8:9], v[6:7], v[0:1], v[4:5] op_sel:[0,0,1] op_sel_hi:[1,1,0] neg_lo:[0,0,1] neg_hi:[0,0,1]
	v_pk_fma_f32 v[4:5], v[6:7], v[0:1], v[4:5] op_sel:[0,0,1] op_sel_hi:[1,0,0]
	v_mov_b32_e32 v9, v5
	ds_load_2addr_b64 v[4:7], v12 offset0:38 offset1:39
	v_pk_add_f32 v[164:165], v[164:165], v[8:9] neg_lo:[0,1] neg_hi:[0,1]
	s_wait_dscnt 0x0
	v_pk_mul_f32 v[8:9], v[4:5], v[2:3] op_sel:[0,1]
	s_delay_alu instid0(VALU_DEP_1) | instskip(SKIP_1) | instid1(VALU_DEP_1)
	v_pk_fma_f32 v[18:19], v[4:5], v[0:1], v[8:9] op_sel:[0,0,1] op_sel_hi:[1,1,0] neg_lo:[0,0,1] neg_hi:[0,0,1]
	v_pk_fma_f32 v[4:5], v[4:5], v[0:1], v[8:9] op_sel:[0,0,1] op_sel_hi:[1,0,0]
	v_mov_b32_e32 v19, v5
	v_pk_mul_f32 v[4:5], v[6:7], v[2:3] op_sel:[0,1]
	s_delay_alu instid0(VALU_DEP_2) | instskip(NEXT) | instid1(VALU_DEP_2)
	v_pk_add_f32 v[168:169], v[168:169], v[18:19] neg_lo:[0,1] neg_hi:[0,1]
	v_pk_fma_f32 v[8:9], v[6:7], v[0:1], v[4:5] op_sel:[0,0,1] op_sel_hi:[1,1,0] neg_lo:[0,0,1] neg_hi:[0,0,1]
	v_pk_fma_f32 v[4:5], v[6:7], v[0:1], v[4:5] op_sel:[0,0,1] op_sel_hi:[1,0,0]
	s_delay_alu instid0(VALU_DEP_1) | instskip(SKIP_4) | instid1(VALU_DEP_1)
	v_mov_b32_e32 v9, v5
	ds_load_2addr_b64 v[4:7], v12 offset0:40 offset1:41
	v_pk_add_f32 v[162:163], v[162:163], v[8:9] neg_lo:[0,1] neg_hi:[0,1]
	s_wait_dscnt 0x0
	v_pk_mul_f32 v[8:9], v[4:5], v[2:3] op_sel:[0,1]
	v_pk_fma_f32 v[18:19], v[4:5], v[0:1], v[8:9] op_sel:[0,0,1] op_sel_hi:[1,1,0] neg_lo:[0,0,1] neg_hi:[0,0,1]
	v_pk_fma_f32 v[4:5], v[4:5], v[0:1], v[8:9] op_sel:[0,0,1] op_sel_hi:[1,0,0]
	v_dual_mul_f32 v8, v7, v3 :: v_dual_mov_b32 v4, v7
	s_delay_alu instid0(VALU_DEP_2) | instskip(NEXT) | instid1(VALU_DEP_2)
	v_dual_mov_b32 v19, v5 :: v_dual_mov_b32 v5, v6
	v_pk_fma_f32 v[8:9], v[6:7], v[56:57], v[8:9] op_sel_hi:[1,1,0] neg_lo:[0,0,1] neg_hi:[0,0,1]
	v_mul_f32_e32 v6, v7, v0
	s_delay_alu instid0(VALU_DEP_3) | instskip(NEXT) | instid1(VALU_DEP_2)
	v_pk_add_f32 v[166:167], v[166:167], v[18:19] neg_lo:[0,1] neg_hi:[0,1]
	v_pk_fma_f32 v[4:5], v[4:5], v[56:57], v[6:7] op_sel_hi:[1,1,0]
	s_delay_alu instid0(VALU_DEP_1)
	v_mov_b32_e32 v9, v5
	ds_load_2addr_b64 v[4:7], v12 offset0:42 offset1:43
	v_pk_add_f32 v[160:161], v[160:161], v[8:9] neg_lo:[0,1] neg_hi:[0,1]
	s_wait_dscnt 0x0
	v_pk_mul_f32 v[8:9], v[4:5], v[2:3] op_sel:[0,1]
	v_pk_mul_f32 v[2:3], v[6:7], v[2:3] op_sel:[0,1]
	s_delay_alu instid0(VALU_DEP_2) | instskip(SKIP_1) | instid1(VALU_DEP_1)
	v_pk_fma_f32 v[18:19], v[4:5], v[0:1], v[8:9] op_sel:[0,0,1] op_sel_hi:[1,1,0] neg_lo:[0,0,1] neg_hi:[0,0,1]
	v_pk_fma_f32 v[4:5], v[4:5], v[0:1], v[8:9] op_sel:[0,0,1] op_sel_hi:[1,0,0]
	v_mov_b32_e32 v19, v5
	s_delay_alu instid0(VALU_DEP_4) | instskip(SKIP_1) | instid1(VALU_DEP_1)
	v_pk_fma_f32 v[4:5], v[6:7], v[0:1], v[2:3] op_sel:[0,0,1] op_sel_hi:[1,1,0] neg_lo:[0,0,1] neg_hi:[0,0,1]
	v_pk_fma_f32 v[0:1], v[6:7], v[0:1], v[2:3] op_sel:[0,0,1] op_sel_hi:[1,0,0]
	v_mov_b32_e32 v5, v1
	s_delay_alu instid0(VALU_DEP_4) | instskip(NEXT) | instid1(VALU_DEP_2)
	v_pk_add_f32 v[172:173], v[172:173], v[18:19] neg_lo:[0,1] neg_hi:[0,1]
	v_pk_add_f32 v[176:177], v[176:177], v[4:5] neg_lo:[0,1] neg_hi:[0,1]
.LBB87_163:
	s_or_b32 exec_lo, exec_lo, s1
	s_delay_alu instid0(SALU_CYCLE_1)
	s_mov_b32 s2, exec_lo
	s_wait_dscnt 0x0
	s_barrier_signal -1
	s_barrier_wait -1
	v_cmpx_eq_u32_e32 18, v30
	s_cbranch_execz .LBB87_170
; %bb.164:
	ds_store_b64 v31, v[58:59]
	ds_store_2addr_b64 v12, v[54:55], v[86:87] offset0:19 offset1:20
	ds_store_2addr_b64 v12, v[82:83], v[84:85] offset0:21 offset1:22
	;; [unrolled: 1-line block ×12, first 2 shown]
	ds_store_b64 v12, v[176:177] offset:344
	ds_load_b64 v[0:1], v31
	s_wait_dscnt 0x0
	v_cmp_neq_f32_e32 vcc_lo, 0, v0
	v_cmp_neq_f32_e64 s1, 0, v1
	s_or_b32 s1, vcc_lo, s1
	s_delay_alu instid0(SALU_CYCLE_1)
	s_and_b32 exec_lo, exec_lo, s1
	s_cbranch_execz .LBB87_170
; %bb.165:
	v_cmp_ngt_f32_e64 s1, |v0|, |v1|
                                        ; implicit-def: $vgpr2_vgpr3
	s_and_saveexec_b32 s4, s1
	s_delay_alu instid0(SALU_CYCLE_1)
	s_xor_b32 s1, exec_lo, s4
	s_cbranch_execz .LBB87_167
; %bb.166:
	v_div_scale_f32 v2, null, v1, v1, v0
	v_div_scale_f32 v5, vcc_lo, v0, v1, v0
	s_delay_alu instid0(VALU_DEP_2) | instskip(SKIP_1) | instid1(TRANS32_DEP_1)
	v_rcp_f32_e32 v3, v2
	v_nop
	v_fma_f32 v4, -v2, v3, 1.0
	s_delay_alu instid0(VALU_DEP_1) | instskip(NEXT) | instid1(VALU_DEP_1)
	v_fmac_f32_e32 v3, v4, v3
	v_mul_f32_e32 v4, v5, v3
	s_delay_alu instid0(VALU_DEP_1) | instskip(NEXT) | instid1(VALU_DEP_1)
	v_fma_f32 v6, -v2, v4, v5
	v_fmac_f32_e32 v4, v6, v3
	s_delay_alu instid0(VALU_DEP_1) | instskip(NEXT) | instid1(VALU_DEP_1)
	v_fma_f32 v2, -v2, v4, v5
	v_div_fmas_f32 v2, v2, v3, v4
	s_delay_alu instid0(VALU_DEP_1) | instskip(NEXT) | instid1(VALU_DEP_1)
	v_div_fixup_f32 v2, v2, v1, v0
	v_fmac_f32_e32 v1, v0, v2
	s_delay_alu instid0(VALU_DEP_1) | instskip(SKIP_1) | instid1(VALU_DEP_2)
	v_div_scale_f32 v0, null, v1, v1, 1.0
	v_div_scale_f32 v5, vcc_lo, 1.0, v1, 1.0
	v_rcp_f32_e32 v3, v0
	v_nop
	s_delay_alu instid0(TRANS32_DEP_1) | instskip(NEXT) | instid1(VALU_DEP_1)
	v_fma_f32 v4, -v0, v3, 1.0
	v_fmac_f32_e32 v3, v4, v3
	s_delay_alu instid0(VALU_DEP_1) | instskip(NEXT) | instid1(VALU_DEP_1)
	v_mul_f32_e32 v4, v5, v3
	v_fma_f32 v6, -v0, v4, v5
	s_delay_alu instid0(VALU_DEP_1) | instskip(NEXT) | instid1(VALU_DEP_1)
	v_fmac_f32_e32 v4, v6, v3
	v_fma_f32 v0, -v0, v4, v5
	s_delay_alu instid0(VALU_DEP_1) | instskip(NEXT) | instid1(VALU_DEP_1)
	v_div_fmas_f32 v0, v0, v3, v4
	v_div_fixup_f32 v0, v0, v1, 1.0
	s_delay_alu instid0(VALU_DEP_1)
	v_mul_f32_e32 v2, v2, v0
	v_xor_b32_e32 v3, 0x80000000, v0
                                        ; implicit-def: $vgpr0_vgpr1
.LBB87_167:
	s_and_not1_saveexec_b32 s1, s1
	s_cbranch_execz .LBB87_169
; %bb.168:
	v_div_scale_f32 v2, null, v0, v0, v1
	v_div_scale_f32 v5, vcc_lo, v1, v0, v1
	s_delay_alu instid0(VALU_DEP_2) | instskip(SKIP_1) | instid1(TRANS32_DEP_1)
	v_rcp_f32_e32 v3, v2
	v_nop
	v_fma_f32 v4, -v2, v3, 1.0
	s_delay_alu instid0(VALU_DEP_1) | instskip(NEXT) | instid1(VALU_DEP_1)
	v_fmac_f32_e32 v3, v4, v3
	v_mul_f32_e32 v4, v5, v3
	s_delay_alu instid0(VALU_DEP_1) | instskip(NEXT) | instid1(VALU_DEP_1)
	v_fma_f32 v6, -v2, v4, v5
	v_fmac_f32_e32 v4, v6, v3
	s_delay_alu instid0(VALU_DEP_1) | instskip(NEXT) | instid1(VALU_DEP_1)
	v_fma_f32 v2, -v2, v4, v5
	v_div_fmas_f32 v2, v2, v3, v4
	s_delay_alu instid0(VALU_DEP_1) | instskip(NEXT) | instid1(VALU_DEP_1)
	v_div_fixup_f32 v3, v2, v0, v1
	v_fmac_f32_e32 v0, v1, v3
	s_delay_alu instid0(VALU_DEP_1) | instskip(NEXT) | instid1(VALU_DEP_1)
	v_div_scale_f32 v1, null, v0, v0, 1.0
	v_rcp_f32_e32 v2, v1
	v_nop
	s_delay_alu instid0(TRANS32_DEP_1) | instskip(NEXT) | instid1(VALU_DEP_1)
	v_fma_f32 v4, -v1, v2, 1.0
	v_fmac_f32_e32 v2, v4, v2
	v_div_scale_f32 v4, vcc_lo, 1.0, v0, 1.0
	s_delay_alu instid0(VALU_DEP_1) | instskip(NEXT) | instid1(VALU_DEP_1)
	v_mul_f32_e32 v5, v4, v2
	v_fma_f32 v6, -v1, v5, v4
	s_delay_alu instid0(VALU_DEP_1) | instskip(NEXT) | instid1(VALU_DEP_1)
	v_fmac_f32_e32 v5, v6, v2
	v_fma_f32 v1, -v1, v5, v4
	s_delay_alu instid0(VALU_DEP_1) | instskip(NEXT) | instid1(VALU_DEP_1)
	v_div_fmas_f32 v1, v1, v2, v5
	v_div_fixup_f32 v2, v1, v0, 1.0
	s_delay_alu instid0(VALU_DEP_1)
	v_mul_f32_e64 v3, v3, -v2
.LBB87_169:
	s_or_b32 exec_lo, exec_lo, s1
	ds_store_b64 v31, v[2:3]
.LBB87_170:
	s_or_b32 exec_lo, exec_lo, s2
	s_wait_dscnt 0x0
	s_barrier_signal -1
	s_barrier_wait -1
	ds_load_b64 v[214:215], v31
	s_mov_b32 s1, exec_lo
	v_cmpx_lt_u32_e32 18, v30
	s_cbranch_execz .LBB87_172
; %bb.171:
	ds_load_2addr_b64 v[4:7], v12 offset0:19 offset1:20
	s_wait_dscnt 0x1
	v_pk_mul_f32 v[2:3], v[214:215], v[58:59] op_sel:[1,1] op_sel_hi:[0,1]
	s_delay_alu instid0(VALU_DEP_1) | instskip(SKIP_1) | instid1(VALU_DEP_1)
	v_pk_fma_f32 v[0:1], v[214:215], v[58:59], v[2:3] op_sel_hi:[1,0,1] neg_lo:[0,0,1] neg_hi:[0,0,1]
	v_pk_fma_f32 v[2:3], v[214:215], v[58:59], v[2:3] op_sel_hi:[1,0,1]
	v_dual_mov_b32 v58, v0 :: v_dual_mov_b32 v59, v3
	s_wait_dscnt 0x0
	s_delay_alu instid0(VALU_DEP_2) | instskip(NEXT) | instid1(VALU_DEP_1)
	v_pk_mul_f32 v[8:9], v[4:5], v[2:3] op_sel:[0,1]
	v_pk_fma_f32 v[18:19], v[4:5], v[0:1], v[8:9] op_sel:[0,0,1] op_sel_hi:[1,1,0] neg_lo:[0,0,1] neg_hi:[0,0,1]
	v_pk_fma_f32 v[4:5], v[4:5], v[0:1], v[8:9] op_sel:[0,0,1] op_sel_hi:[1,0,0]
	s_delay_alu instid0(VALU_DEP_1) | instskip(SKIP_1) | instid1(VALU_DEP_1)
	v_mov_b32_e32 v19, v5
	v_pk_mul_f32 v[4:5], v[6:7], v[2:3] op_sel:[0,1]
	v_pk_fma_f32 v[8:9], v[6:7], v[0:1], v[4:5] op_sel:[0,0,1] op_sel_hi:[1,1,0] neg_lo:[0,0,1] neg_hi:[0,0,1]
	v_pk_fma_f32 v[4:5], v[6:7], v[0:1], v[4:5] op_sel:[0,0,1] op_sel_hi:[1,0,0]
	s_delay_alu instid0(VALU_DEP_1)
	v_mov_b32_e32 v9, v5
	ds_load_2addr_b64 v[4:7], v12 offset0:21 offset1:22
	v_pk_add_f32 v[54:55], v[54:55], v[18:19] neg_lo:[0,1] neg_hi:[0,1]
	v_pk_add_f32 v[86:87], v[86:87], v[8:9] neg_lo:[0,1] neg_hi:[0,1]
	s_wait_dscnt 0x0
	v_pk_mul_f32 v[8:9], v[4:5], v[2:3] op_sel:[0,1]
	s_delay_alu instid0(VALU_DEP_1) | instskip(SKIP_2) | instid1(VALU_DEP_2)
	v_pk_fma_f32 v[18:19], v[4:5], v[0:1], v[8:9] op_sel:[0,0,1] op_sel_hi:[1,1,0] neg_lo:[0,0,1] neg_hi:[0,0,1]
	v_pk_fma_f32 v[4:5], v[4:5], v[0:1], v[8:9] op_sel:[0,0,1] op_sel_hi:[1,0,0]
	v_dual_mul_f32 v8, v7, v3 :: v_dual_mov_b32 v4, v7
	v_dual_mov_b32 v19, v5 :: v_dual_mov_b32 v5, v6
	s_delay_alu instid0(VALU_DEP_2) | instskip(SKIP_1) | instid1(VALU_DEP_3)
	v_pk_fma_f32 v[8:9], v[6:7], v[58:59], v[8:9] op_sel_hi:[1,1,0] neg_lo:[0,0,1] neg_hi:[0,0,1]
	v_mul_f32_e32 v6, v7, v0
	v_pk_add_f32 v[82:83], v[82:83], v[18:19] neg_lo:[0,1] neg_hi:[0,1]
	s_delay_alu instid0(VALU_DEP_2) | instskip(NEXT) | instid1(VALU_DEP_1)
	v_pk_fma_f32 v[4:5], v[4:5], v[58:59], v[6:7] op_sel_hi:[1,1,0]
	v_mov_b32_e32 v9, v5
	ds_load_2addr_b64 v[4:7], v12 offset0:23 offset1:24
	v_pk_add_f32 v[84:85], v[84:85], v[8:9] neg_lo:[0,1] neg_hi:[0,1]
	s_wait_dscnt 0x0
	v_pk_mul_f32 v[8:9], v[4:5], v[2:3] op_sel:[0,1]
	s_delay_alu instid0(VALU_DEP_1) | instskip(SKIP_1) | instid1(VALU_DEP_1)
	v_pk_fma_f32 v[18:19], v[4:5], v[0:1], v[8:9] op_sel:[0,0,1] op_sel_hi:[1,1,0] neg_lo:[0,0,1] neg_hi:[0,0,1]
	v_pk_fma_f32 v[4:5], v[4:5], v[0:1], v[8:9] op_sel:[0,0,1] op_sel_hi:[1,0,0]
	v_mov_b32_e32 v19, v5
	v_pk_mul_f32 v[4:5], v[6:7], v[2:3] op_sel:[0,1]
	s_delay_alu instid0(VALU_DEP_1) | instskip(SKIP_1) | instid1(VALU_DEP_1)
	v_pk_fma_f32 v[8:9], v[6:7], v[0:1], v[4:5] op_sel:[0,0,1] op_sel_hi:[1,1,0] neg_lo:[0,0,1] neg_hi:[0,0,1]
	v_pk_fma_f32 v[4:5], v[6:7], v[0:1], v[4:5] op_sel:[0,0,1] op_sel_hi:[1,0,0]
	v_mov_b32_e32 v9, v5
	ds_load_2addr_b64 v[4:7], v12 offset0:25 offset1:26
	v_pk_add_f32 v[80:81], v[80:81], v[18:19] neg_lo:[0,1] neg_hi:[0,1]
	v_pk_add_f32 v[110:111], v[110:111], v[8:9] neg_lo:[0,1] neg_hi:[0,1]
	s_wait_dscnt 0x0
	v_pk_mul_f32 v[8:9], v[4:5], v[2:3] op_sel:[0,1]
	s_delay_alu instid0(VALU_DEP_1) | instskip(SKIP_1) | instid1(VALU_DEP_1)
	v_pk_fma_f32 v[18:19], v[4:5], v[0:1], v[8:9] op_sel:[0,0,1] op_sel_hi:[1,1,0] neg_lo:[0,0,1] neg_hi:[0,0,1]
	v_pk_fma_f32 v[4:5], v[4:5], v[0:1], v[8:9] op_sel:[0,0,1] op_sel_hi:[1,0,0]
	v_mov_b32_e32 v19, v5
	v_pk_mul_f32 v[4:5], v[6:7], v[2:3] op_sel:[0,1]
	s_delay_alu instid0(VALU_DEP_1) | instskip(SKIP_1) | instid1(VALU_DEP_1)
	v_pk_fma_f32 v[8:9], v[6:7], v[0:1], v[4:5] op_sel:[0,0,1] op_sel_hi:[1,1,0] neg_lo:[0,0,1] neg_hi:[0,0,1]
	v_pk_fma_f32 v[4:5], v[6:7], v[0:1], v[4:5] op_sel:[0,0,1] op_sel_hi:[1,0,0]
	v_mov_b32_e32 v9, v5
	ds_load_2addr_b64 v[4:7], v12 offset0:27 offset1:28
	v_pk_add_f32 v[106:107], v[106:107], v[18:19] neg_lo:[0,1] neg_hi:[0,1]
	v_pk_add_f32 v[108:109], v[108:109], v[8:9] neg_lo:[0,1] neg_hi:[0,1]
	s_wait_dscnt 0x0
	v_dual_mul_f32 v8, v5, v3 :: v_dual_mul_f32 v18, v5, v0
	s_delay_alu instid0(VALU_DEP_1) | instskip(NEXT) | instid1(VALU_DEP_2)
	v_pk_fma_f32 v[8:9], v[4:5], v[58:59], v[8:9] op_sel_hi:[1,1,0] neg_lo:[0,0,1] neg_hi:[0,0,1]
	v_pk_fma_f32 v[4:5], v[4:5], v[58:59], v[18:19] op_sel:[1,0,0] op_sel_hi:[0,1,0]
	s_delay_alu instid0(VALU_DEP_1) | instskip(SKIP_1) | instid1(VALU_DEP_2)
	v_mov_b32_e32 v9, v5
	v_pk_mul_f32 v[4:5], v[6:7], v[2:3] op_sel:[0,1]
	v_pk_add_f32 v[104:105], v[104:105], v[8:9] neg_lo:[0,1] neg_hi:[0,1]
	s_delay_alu instid0(VALU_DEP_2) | instskip(SKIP_1) | instid1(VALU_DEP_1)
	v_pk_fma_f32 v[8:9], v[6:7], v[0:1], v[4:5] op_sel:[0,0,1] op_sel_hi:[1,1,0] neg_lo:[0,0,1] neg_hi:[0,0,1]
	v_pk_fma_f32 v[4:5], v[6:7], v[0:1], v[4:5] op_sel:[0,0,1] op_sel_hi:[1,0,0]
	v_mov_b32_e32 v9, v5
	ds_load_2addr_b64 v[4:7], v12 offset0:29 offset1:30
	v_pk_add_f32 v[128:129], v[128:129], v[8:9] neg_lo:[0,1] neg_hi:[0,1]
	s_wait_dscnt 0x0
	v_pk_mul_f32 v[8:9], v[4:5], v[2:3] op_sel:[0,1]
	s_delay_alu instid0(VALU_DEP_1) | instskip(SKIP_1) | instid1(VALU_DEP_1)
	v_pk_fma_f32 v[18:19], v[4:5], v[0:1], v[8:9] op_sel:[0,0,1] op_sel_hi:[1,1,0] neg_lo:[0,0,1] neg_hi:[0,0,1]
	v_pk_fma_f32 v[4:5], v[4:5], v[0:1], v[8:9] op_sel:[0,0,1] op_sel_hi:[1,0,0]
	v_mov_b32_e32 v19, v5
	v_pk_mul_f32 v[4:5], v[6:7], v[2:3] op_sel:[0,1]
	s_delay_alu instid0(VALU_DEP_2) | instskip(NEXT) | instid1(VALU_DEP_2)
	v_pk_add_f32 v[124:125], v[124:125], v[18:19] neg_lo:[0,1] neg_hi:[0,1]
	v_pk_fma_f32 v[8:9], v[6:7], v[0:1], v[4:5] op_sel:[0,0,1] op_sel_hi:[1,1,0] neg_lo:[0,0,1] neg_hi:[0,0,1]
	v_pk_fma_f32 v[4:5], v[6:7], v[0:1], v[4:5] op_sel:[0,0,1] op_sel_hi:[1,0,0]
	s_delay_alu instid0(VALU_DEP_1) | instskip(SKIP_4) | instid1(VALU_DEP_1)
	v_mov_b32_e32 v9, v5
	ds_load_2addr_b64 v[4:7], v12 offset0:31 offset1:32
	v_pk_add_f32 v[126:127], v[126:127], v[8:9] neg_lo:[0,1] neg_hi:[0,1]
	s_wait_dscnt 0x0
	v_pk_mul_f32 v[8:9], v[4:5], v[2:3] op_sel:[0,1]
	v_pk_fma_f32 v[18:19], v[4:5], v[0:1], v[8:9] op_sel:[0,0,1] op_sel_hi:[1,1,0] neg_lo:[0,0,1] neg_hi:[0,0,1]
	v_pk_fma_f32 v[4:5], v[4:5], v[0:1], v[8:9] op_sel:[0,0,1] op_sel_hi:[1,0,0]
	v_dual_mul_f32 v8, v7, v3 :: v_dual_mov_b32 v4, v7
	s_delay_alu instid0(VALU_DEP_2) | instskip(NEXT) | instid1(VALU_DEP_2)
	v_dual_mov_b32 v19, v5 :: v_dual_mov_b32 v5, v6
	v_pk_fma_f32 v[8:9], v[6:7], v[58:59], v[8:9] op_sel_hi:[1,1,0] neg_lo:[0,0,1] neg_hi:[0,0,1]
	v_mul_f32_e32 v6, v7, v0
	s_delay_alu instid0(VALU_DEP_3) | instskip(NEXT) | instid1(VALU_DEP_2)
	v_pk_add_f32 v[122:123], v[122:123], v[18:19] neg_lo:[0,1] neg_hi:[0,1]
	v_pk_fma_f32 v[4:5], v[4:5], v[58:59], v[6:7] op_sel_hi:[1,1,0]
	s_delay_alu instid0(VALU_DEP_1) | instskip(SKIP_4) | instid1(VALU_DEP_1)
	v_mov_b32_e32 v9, v5
	ds_load_2addr_b64 v[4:7], v12 offset0:33 offset1:34
	v_pk_add_f32 v[148:149], v[148:149], v[8:9] neg_lo:[0,1] neg_hi:[0,1]
	s_wait_dscnt 0x0
	v_pk_mul_f32 v[8:9], v[4:5], v[2:3] op_sel:[0,1]
	v_pk_fma_f32 v[18:19], v[4:5], v[0:1], v[8:9] op_sel:[0,0,1] op_sel_hi:[1,1,0] neg_lo:[0,0,1] neg_hi:[0,0,1]
	v_pk_fma_f32 v[4:5], v[4:5], v[0:1], v[8:9] op_sel:[0,0,1] op_sel_hi:[1,0,0]
	s_delay_alu instid0(VALU_DEP_1) | instskip(SKIP_1) | instid1(VALU_DEP_1)
	v_mov_b32_e32 v19, v5
	v_pk_mul_f32 v[4:5], v[6:7], v[2:3] op_sel:[0,1]
	v_pk_fma_f32 v[8:9], v[6:7], v[0:1], v[4:5] op_sel:[0,0,1] op_sel_hi:[1,1,0] neg_lo:[0,0,1] neg_hi:[0,0,1]
	v_pk_fma_f32 v[4:5], v[6:7], v[0:1], v[4:5] op_sel:[0,0,1] op_sel_hi:[1,0,0]
	s_delay_alu instid0(VALU_DEP_1)
	v_mov_b32_e32 v9, v5
	ds_load_2addr_b64 v[4:7], v12 offset0:35 offset1:36
	v_pk_add_f32 v[144:145], v[144:145], v[18:19] neg_lo:[0,1] neg_hi:[0,1]
	v_pk_add_f32 v[146:147], v[146:147], v[8:9] neg_lo:[0,1] neg_hi:[0,1]
	s_wait_dscnt 0x0
	v_pk_mul_f32 v[8:9], v[4:5], v[2:3] op_sel:[0,1]
	s_delay_alu instid0(VALU_DEP_1) | instskip(SKIP_1) | instid1(VALU_DEP_1)
	v_pk_fma_f32 v[18:19], v[4:5], v[0:1], v[8:9] op_sel:[0,0,1] op_sel_hi:[1,1,0] neg_lo:[0,0,1] neg_hi:[0,0,1]
	v_pk_fma_f32 v[4:5], v[4:5], v[0:1], v[8:9] op_sel:[0,0,1] op_sel_hi:[1,0,0]
	v_mov_b32_e32 v19, v5
	v_pk_mul_f32 v[4:5], v[6:7], v[2:3] op_sel:[0,1]
	s_delay_alu instid0(VALU_DEP_1) | instskip(SKIP_1) | instid1(VALU_DEP_1)
	v_pk_fma_f32 v[8:9], v[6:7], v[0:1], v[4:5] op_sel:[0,0,1] op_sel_hi:[1,1,0] neg_lo:[0,0,1] neg_hi:[0,0,1]
	v_pk_fma_f32 v[4:5], v[6:7], v[0:1], v[4:5] op_sel:[0,0,1] op_sel_hi:[1,0,0]
	v_mov_b32_e32 v9, v5
	ds_load_2addr_b64 v[4:7], v12 offset0:37 offset1:38
	v_pk_add_f32 v[142:143], v[142:143], v[18:19] neg_lo:[0,1] neg_hi:[0,1]
	v_pk_add_f32 v[170:171], v[170:171], v[8:9] neg_lo:[0,1] neg_hi:[0,1]
	s_wait_dscnt 0x0
	v_dual_mul_f32 v8, v5, v3 :: v_dual_mul_f32 v18, v5, v0
	s_delay_alu instid0(VALU_DEP_1) | instskip(NEXT) | instid1(VALU_DEP_2)
	v_pk_fma_f32 v[8:9], v[4:5], v[58:59], v[8:9] op_sel_hi:[1,1,0] neg_lo:[0,0,1] neg_hi:[0,0,1]
	v_pk_fma_f32 v[4:5], v[4:5], v[58:59], v[18:19] op_sel:[1,0,0] op_sel_hi:[0,1,0]
	s_delay_alu instid0(VALU_DEP_1) | instskip(SKIP_1) | instid1(VALU_DEP_2)
	v_mov_b32_e32 v9, v5
	v_pk_mul_f32 v[4:5], v[6:7], v[2:3] op_sel:[0,1]
	v_pk_add_f32 v[164:165], v[164:165], v[8:9] neg_lo:[0,1] neg_hi:[0,1]
	s_delay_alu instid0(VALU_DEP_2) | instskip(SKIP_1) | instid1(VALU_DEP_1)
	v_pk_fma_f32 v[8:9], v[6:7], v[0:1], v[4:5] op_sel:[0,0,1] op_sel_hi:[1,1,0] neg_lo:[0,0,1] neg_hi:[0,0,1]
	v_pk_fma_f32 v[4:5], v[6:7], v[0:1], v[4:5] op_sel:[0,0,1] op_sel_hi:[1,0,0]
	v_mov_b32_e32 v9, v5
	ds_load_2addr_b64 v[4:7], v12 offset0:39 offset1:40
	v_pk_add_f32 v[168:169], v[168:169], v[8:9] neg_lo:[0,1] neg_hi:[0,1]
	s_wait_dscnt 0x0
	v_pk_mul_f32 v[8:9], v[4:5], v[2:3] op_sel:[0,1]
	s_delay_alu instid0(VALU_DEP_1) | instskip(SKIP_1) | instid1(VALU_DEP_1)
	v_pk_fma_f32 v[18:19], v[4:5], v[0:1], v[8:9] op_sel:[0,0,1] op_sel_hi:[1,1,0] neg_lo:[0,0,1] neg_hi:[0,0,1]
	v_pk_fma_f32 v[4:5], v[4:5], v[0:1], v[8:9] op_sel:[0,0,1] op_sel_hi:[1,0,0]
	v_mov_b32_e32 v19, v5
	v_pk_mul_f32 v[4:5], v[6:7], v[2:3] op_sel:[0,1]
	s_delay_alu instid0(VALU_DEP_2) | instskip(NEXT) | instid1(VALU_DEP_2)
	v_pk_add_f32 v[162:163], v[162:163], v[18:19] neg_lo:[0,1] neg_hi:[0,1]
	v_pk_fma_f32 v[8:9], v[6:7], v[0:1], v[4:5] op_sel:[0,0,1] op_sel_hi:[1,1,0] neg_lo:[0,0,1] neg_hi:[0,0,1]
	v_pk_fma_f32 v[4:5], v[6:7], v[0:1], v[4:5] op_sel:[0,0,1] op_sel_hi:[1,0,0]
	s_delay_alu instid0(VALU_DEP_1) | instskip(SKIP_4) | instid1(VALU_DEP_1)
	v_mov_b32_e32 v9, v5
	ds_load_2addr_b64 v[4:7], v12 offset0:41 offset1:42
	v_pk_add_f32 v[166:167], v[166:167], v[8:9] neg_lo:[0,1] neg_hi:[0,1]
	s_wait_dscnt 0x0
	v_pk_mul_f32 v[8:9], v[4:5], v[2:3] op_sel:[0,1]
	v_pk_fma_f32 v[18:19], v[4:5], v[0:1], v[8:9] op_sel:[0,0,1] op_sel_hi:[1,1,0] neg_lo:[0,0,1] neg_hi:[0,0,1]
	v_pk_fma_f32 v[4:5], v[4:5], v[0:1], v[8:9] op_sel:[0,0,1] op_sel_hi:[1,0,0]
	v_dual_mul_f32 v8, v7, v3 :: v_dual_mov_b32 v4, v7
	s_delay_alu instid0(VALU_DEP_2) | instskip(NEXT) | instid1(VALU_DEP_2)
	v_dual_mov_b32 v19, v5 :: v_dual_mov_b32 v5, v6
	v_pk_fma_f32 v[8:9], v[6:7], v[58:59], v[8:9] op_sel_hi:[1,1,0] neg_lo:[0,0,1] neg_hi:[0,0,1]
	v_mul_f32_e32 v6, v7, v0
	s_delay_alu instid0(VALU_DEP_3) | instskip(NEXT) | instid1(VALU_DEP_2)
	v_pk_add_f32 v[160:161], v[160:161], v[18:19] neg_lo:[0,1] neg_hi:[0,1]
	v_pk_fma_f32 v[4:5], v[4:5], v[58:59], v[6:7] op_sel_hi:[1,1,0]
	s_delay_alu instid0(VALU_DEP_1) | instskip(SKIP_4) | instid1(VALU_DEP_1)
	v_mov_b32_e32 v9, v5
	ds_load_b64 v[4:5], v12 offset:344
	v_pk_add_f32 v[172:173], v[172:173], v[8:9] neg_lo:[0,1] neg_hi:[0,1]
	s_wait_dscnt 0x0
	v_pk_mul_f32 v[2:3], v[4:5], v[2:3] op_sel:[0,1]
	v_pk_fma_f32 v[6:7], v[4:5], v[0:1], v[2:3] op_sel:[0,0,1] op_sel_hi:[1,1,0] neg_lo:[0,0,1] neg_hi:[0,0,1]
	v_pk_fma_f32 v[0:1], v[4:5], v[0:1], v[2:3] op_sel:[0,0,1] op_sel_hi:[1,0,0]
	s_delay_alu instid0(VALU_DEP_1) | instskip(NEXT) | instid1(VALU_DEP_1)
	v_mov_b32_e32 v7, v1
	v_pk_add_f32 v[176:177], v[176:177], v[6:7] neg_lo:[0,1] neg_hi:[0,1]
.LBB87_172:
	s_or_b32 exec_lo, exec_lo, s1
	s_delay_alu instid0(SALU_CYCLE_1)
	s_mov_b32 s2, exec_lo
	s_wait_dscnt 0x0
	s_barrier_signal -1
	s_barrier_wait -1
	v_cmpx_eq_u32_e32 19, v30
	s_cbranch_execz .LBB87_179
; %bb.173:
	v_dual_mov_b32 v0, v86 :: v_dual_mov_b32 v1, v87
	v_dual_mov_b32 v2, v82 :: v_dual_mov_b32 v3, v83
	;; [unrolled: 1-line block ×10, first 2 shown]
	ds_store_b64 v31, v[54:55]
	v_dual_mov_b32 v222, v126 :: v_dual_mov_b32 v223, v127
	v_dual_mov_b32 v224, v122 :: v_dual_mov_b32 v225, v123
	ds_store_2addr_b64 v12, v[0:1], v[2:3] offset0:20 offset1:21
	ds_store_2addr_b64 v12, v[4:5], v[6:7] offset0:22 offset1:23
	;; [unrolled: 1-line block ×6, first 2 shown]
	v_dual_mov_b32 v0, v148 :: v_dual_mov_b32 v1, v149
	v_dual_mov_b32 v2, v144 :: v_dual_mov_b32 v3, v145
	;; [unrolled: 1-line block ×11, first 2 shown]
	ds_store_2addr_b64 v12, v[0:1], v[2:3] offset0:32 offset1:33
	ds_store_2addr_b64 v12, v[4:5], v[6:7] offset0:34 offset1:35
	;; [unrolled: 1-line block ×6, first 2 shown]
	ds_load_b64 v[0:1], v31
	s_wait_dscnt 0x0
	v_cmp_neq_f32_e32 vcc_lo, 0, v0
	v_cmp_neq_f32_e64 s1, 0, v1
	s_or_b32 s1, vcc_lo, s1
	s_delay_alu instid0(SALU_CYCLE_1)
	s_and_b32 exec_lo, exec_lo, s1
	s_cbranch_execz .LBB87_179
; %bb.174:
	v_cmp_ngt_f32_e64 s1, |v0|, |v1|
                                        ; implicit-def: $vgpr2_vgpr3
	s_and_saveexec_b32 s4, s1
	s_delay_alu instid0(SALU_CYCLE_1)
	s_xor_b32 s1, exec_lo, s4
	s_cbranch_execz .LBB87_176
; %bb.175:
	v_div_scale_f32 v2, null, v1, v1, v0
	v_div_scale_f32 v5, vcc_lo, v0, v1, v0
	s_delay_alu instid0(VALU_DEP_2) | instskip(SKIP_1) | instid1(TRANS32_DEP_1)
	v_rcp_f32_e32 v3, v2
	v_nop
	v_fma_f32 v4, -v2, v3, 1.0
	s_delay_alu instid0(VALU_DEP_1) | instskip(NEXT) | instid1(VALU_DEP_1)
	v_fmac_f32_e32 v3, v4, v3
	v_mul_f32_e32 v4, v5, v3
	s_delay_alu instid0(VALU_DEP_1) | instskip(NEXT) | instid1(VALU_DEP_1)
	v_fma_f32 v6, -v2, v4, v5
	v_fmac_f32_e32 v4, v6, v3
	s_delay_alu instid0(VALU_DEP_1) | instskip(NEXT) | instid1(VALU_DEP_1)
	v_fma_f32 v2, -v2, v4, v5
	v_div_fmas_f32 v2, v2, v3, v4
	s_delay_alu instid0(VALU_DEP_1) | instskip(NEXT) | instid1(VALU_DEP_1)
	v_div_fixup_f32 v2, v2, v1, v0
	v_fmac_f32_e32 v1, v0, v2
	s_delay_alu instid0(VALU_DEP_1) | instskip(SKIP_1) | instid1(VALU_DEP_2)
	v_div_scale_f32 v0, null, v1, v1, 1.0
	v_div_scale_f32 v5, vcc_lo, 1.0, v1, 1.0
	v_rcp_f32_e32 v3, v0
	v_nop
	s_delay_alu instid0(TRANS32_DEP_1) | instskip(NEXT) | instid1(VALU_DEP_1)
	v_fma_f32 v4, -v0, v3, 1.0
	v_fmac_f32_e32 v3, v4, v3
	s_delay_alu instid0(VALU_DEP_1) | instskip(NEXT) | instid1(VALU_DEP_1)
	v_mul_f32_e32 v4, v5, v3
	v_fma_f32 v6, -v0, v4, v5
	s_delay_alu instid0(VALU_DEP_1) | instskip(NEXT) | instid1(VALU_DEP_1)
	v_fmac_f32_e32 v4, v6, v3
	v_fma_f32 v0, -v0, v4, v5
	s_delay_alu instid0(VALU_DEP_1) | instskip(NEXT) | instid1(VALU_DEP_1)
	v_div_fmas_f32 v0, v0, v3, v4
	v_div_fixup_f32 v0, v0, v1, 1.0
	s_delay_alu instid0(VALU_DEP_1)
	v_mul_f32_e32 v2, v2, v0
	v_xor_b32_e32 v3, 0x80000000, v0
                                        ; implicit-def: $vgpr0_vgpr1
.LBB87_176:
	s_and_not1_saveexec_b32 s1, s1
	s_cbranch_execz .LBB87_178
; %bb.177:
	v_div_scale_f32 v2, null, v0, v0, v1
	v_div_scale_f32 v5, vcc_lo, v1, v0, v1
	s_delay_alu instid0(VALU_DEP_2) | instskip(SKIP_1) | instid1(TRANS32_DEP_1)
	v_rcp_f32_e32 v3, v2
	v_nop
	v_fma_f32 v4, -v2, v3, 1.0
	s_delay_alu instid0(VALU_DEP_1) | instskip(NEXT) | instid1(VALU_DEP_1)
	v_fmac_f32_e32 v3, v4, v3
	v_mul_f32_e32 v4, v5, v3
	s_delay_alu instid0(VALU_DEP_1) | instskip(NEXT) | instid1(VALU_DEP_1)
	v_fma_f32 v6, -v2, v4, v5
	v_fmac_f32_e32 v4, v6, v3
	s_delay_alu instid0(VALU_DEP_1) | instskip(NEXT) | instid1(VALU_DEP_1)
	v_fma_f32 v2, -v2, v4, v5
	v_div_fmas_f32 v2, v2, v3, v4
	s_delay_alu instid0(VALU_DEP_1) | instskip(NEXT) | instid1(VALU_DEP_1)
	v_div_fixup_f32 v3, v2, v0, v1
	v_fmac_f32_e32 v0, v1, v3
	s_delay_alu instid0(VALU_DEP_1) | instskip(NEXT) | instid1(VALU_DEP_1)
	v_div_scale_f32 v1, null, v0, v0, 1.0
	v_rcp_f32_e32 v2, v1
	v_nop
	s_delay_alu instid0(TRANS32_DEP_1) | instskip(NEXT) | instid1(VALU_DEP_1)
	v_fma_f32 v4, -v1, v2, 1.0
	v_fmac_f32_e32 v2, v4, v2
	v_div_scale_f32 v4, vcc_lo, 1.0, v0, 1.0
	s_delay_alu instid0(VALU_DEP_1) | instskip(NEXT) | instid1(VALU_DEP_1)
	v_mul_f32_e32 v5, v4, v2
	v_fma_f32 v6, -v1, v5, v4
	s_delay_alu instid0(VALU_DEP_1) | instskip(NEXT) | instid1(VALU_DEP_1)
	v_fmac_f32_e32 v5, v6, v2
	v_fma_f32 v1, -v1, v5, v4
	s_delay_alu instid0(VALU_DEP_1) | instskip(NEXT) | instid1(VALU_DEP_1)
	v_div_fmas_f32 v1, v1, v2, v5
	v_div_fixup_f32 v2, v1, v0, 1.0
	s_delay_alu instid0(VALU_DEP_1)
	v_mul_f32_e64 v3, v3, -v2
.LBB87_178:
	s_or_b32 exec_lo, exec_lo, s1
	ds_store_b64 v31, v[2:3]
.LBB87_179:
	s_or_b32 exec_lo, exec_lo, s2
	s_wait_dscnt 0x0
	s_barrier_signal -1
	s_barrier_wait -1
	ds_load_b64 v[216:217], v31
	s_mov_b32 s1, exec_lo
	v_cmpx_lt_u32_e32 19, v30
	s_cbranch_execz .LBB87_181
; %bb.180:
	ds_load_2addr_b64 v[4:7], v12 offset0:20 offset1:21
	s_wait_dscnt 0x1
	v_pk_mul_f32 v[2:3], v[216:217], v[54:55] op_sel:[1,1] op_sel_hi:[0,1]
	s_delay_alu instid0(VALU_DEP_1) | instskip(SKIP_1) | instid1(VALU_DEP_1)
	v_pk_fma_f32 v[0:1], v[216:217], v[54:55], v[2:3] op_sel_hi:[1,0,1] neg_lo:[0,0,1] neg_hi:[0,0,1]
	v_pk_fma_f32 v[2:3], v[216:217], v[54:55], v[2:3] op_sel_hi:[1,0,1]
	v_dual_mov_b32 v54, v0 :: v_dual_mov_b32 v55, v3
	s_wait_dscnt 0x0
	s_delay_alu instid0(VALU_DEP_2) | instskip(NEXT) | instid1(VALU_DEP_1)
	v_pk_mul_f32 v[8:9], v[4:5], v[2:3] op_sel:[0,1]
	v_pk_fma_f32 v[18:19], v[4:5], v[0:1], v[8:9] op_sel:[0,0,1] op_sel_hi:[1,1,0] neg_lo:[0,0,1] neg_hi:[0,0,1]
	v_pk_fma_f32 v[4:5], v[4:5], v[0:1], v[8:9] op_sel:[0,0,1] op_sel_hi:[1,0,0]
	s_delay_alu instid0(VALU_DEP_1) | instskip(SKIP_1) | instid1(VALU_DEP_1)
	v_mov_b32_e32 v19, v5
	v_pk_mul_f32 v[4:5], v[6:7], v[2:3] op_sel:[0,1]
	v_pk_fma_f32 v[8:9], v[6:7], v[0:1], v[4:5] op_sel:[0,0,1] op_sel_hi:[1,1,0] neg_lo:[0,0,1] neg_hi:[0,0,1]
	v_pk_fma_f32 v[4:5], v[6:7], v[0:1], v[4:5] op_sel:[0,0,1] op_sel_hi:[1,0,0]
	s_delay_alu instid0(VALU_DEP_1)
	v_mov_b32_e32 v9, v5
	ds_load_2addr_b64 v[4:7], v12 offset0:22 offset1:23
	v_pk_add_f32 v[86:87], v[86:87], v[18:19] neg_lo:[0,1] neg_hi:[0,1]
	v_pk_add_f32 v[82:83], v[82:83], v[8:9] neg_lo:[0,1] neg_hi:[0,1]
	s_wait_dscnt 0x0
	v_pk_mul_f32 v[8:9], v[4:5], v[2:3] op_sel:[0,1]
	s_delay_alu instid0(VALU_DEP_1) | instskip(SKIP_2) | instid1(VALU_DEP_2)
	v_pk_fma_f32 v[18:19], v[4:5], v[0:1], v[8:9] op_sel:[0,0,1] op_sel_hi:[1,1,0] neg_lo:[0,0,1] neg_hi:[0,0,1]
	v_pk_fma_f32 v[4:5], v[4:5], v[0:1], v[8:9] op_sel:[0,0,1] op_sel_hi:[1,0,0]
	v_dual_mul_f32 v8, v7, v3 :: v_dual_mov_b32 v4, v7
	v_dual_mov_b32 v19, v5 :: v_dual_mov_b32 v5, v6
	s_delay_alu instid0(VALU_DEP_2) | instskip(SKIP_1) | instid1(VALU_DEP_3)
	v_pk_fma_f32 v[8:9], v[6:7], v[54:55], v[8:9] op_sel_hi:[1,1,0] neg_lo:[0,0,1] neg_hi:[0,0,1]
	v_mul_f32_e32 v6, v7, v0
	v_pk_add_f32 v[84:85], v[84:85], v[18:19] neg_lo:[0,1] neg_hi:[0,1]
	s_delay_alu instid0(VALU_DEP_2) | instskip(NEXT) | instid1(VALU_DEP_1)
	v_pk_fma_f32 v[4:5], v[4:5], v[54:55], v[6:7] op_sel_hi:[1,1,0]
	v_mov_b32_e32 v9, v5
	ds_load_2addr_b64 v[4:7], v12 offset0:24 offset1:25
	v_pk_add_f32 v[80:81], v[80:81], v[8:9] neg_lo:[0,1] neg_hi:[0,1]
	s_wait_dscnt 0x0
	v_pk_mul_f32 v[8:9], v[4:5], v[2:3] op_sel:[0,1]
	s_delay_alu instid0(VALU_DEP_1) | instskip(SKIP_1) | instid1(VALU_DEP_1)
	v_pk_fma_f32 v[18:19], v[4:5], v[0:1], v[8:9] op_sel:[0,0,1] op_sel_hi:[1,1,0] neg_lo:[0,0,1] neg_hi:[0,0,1]
	v_pk_fma_f32 v[4:5], v[4:5], v[0:1], v[8:9] op_sel:[0,0,1] op_sel_hi:[1,0,0]
	v_mov_b32_e32 v19, v5
	v_pk_mul_f32 v[4:5], v[6:7], v[2:3] op_sel:[0,1]
	s_delay_alu instid0(VALU_DEP_1) | instskip(SKIP_1) | instid1(VALU_DEP_1)
	v_pk_fma_f32 v[8:9], v[6:7], v[0:1], v[4:5] op_sel:[0,0,1] op_sel_hi:[1,1,0] neg_lo:[0,0,1] neg_hi:[0,0,1]
	v_pk_fma_f32 v[4:5], v[6:7], v[0:1], v[4:5] op_sel:[0,0,1] op_sel_hi:[1,0,0]
	v_mov_b32_e32 v9, v5
	ds_load_2addr_b64 v[4:7], v12 offset0:26 offset1:27
	v_pk_add_f32 v[110:111], v[110:111], v[18:19] neg_lo:[0,1] neg_hi:[0,1]
	v_pk_add_f32 v[106:107], v[106:107], v[8:9] neg_lo:[0,1] neg_hi:[0,1]
	s_wait_dscnt 0x0
	v_pk_mul_f32 v[8:9], v[4:5], v[2:3] op_sel:[0,1]
	s_delay_alu instid0(VALU_DEP_1) | instskip(SKIP_1) | instid1(VALU_DEP_1)
	v_pk_fma_f32 v[18:19], v[4:5], v[0:1], v[8:9] op_sel:[0,0,1] op_sel_hi:[1,1,0] neg_lo:[0,0,1] neg_hi:[0,0,1]
	v_pk_fma_f32 v[4:5], v[4:5], v[0:1], v[8:9] op_sel:[0,0,1] op_sel_hi:[1,0,0]
	v_mov_b32_e32 v19, v5
	v_pk_mul_f32 v[4:5], v[6:7], v[2:3] op_sel:[0,1]
	s_delay_alu instid0(VALU_DEP_1) | instskip(SKIP_1) | instid1(VALU_DEP_1)
	v_pk_fma_f32 v[8:9], v[6:7], v[0:1], v[4:5] op_sel:[0,0,1] op_sel_hi:[1,1,0] neg_lo:[0,0,1] neg_hi:[0,0,1]
	v_pk_fma_f32 v[4:5], v[6:7], v[0:1], v[4:5] op_sel:[0,0,1] op_sel_hi:[1,0,0]
	v_mov_b32_e32 v9, v5
	ds_load_2addr_b64 v[4:7], v12 offset0:28 offset1:29
	v_pk_add_f32 v[108:109], v[108:109], v[18:19] neg_lo:[0,1] neg_hi:[0,1]
	v_pk_add_f32 v[104:105], v[104:105], v[8:9] neg_lo:[0,1] neg_hi:[0,1]
	s_wait_dscnt 0x0
	v_dual_mul_f32 v8, v5, v3 :: v_dual_mul_f32 v18, v5, v0
	s_delay_alu instid0(VALU_DEP_1) | instskip(NEXT) | instid1(VALU_DEP_2)
	v_pk_fma_f32 v[8:9], v[4:5], v[54:55], v[8:9] op_sel_hi:[1,1,0] neg_lo:[0,0,1] neg_hi:[0,0,1]
	v_pk_fma_f32 v[4:5], v[4:5], v[54:55], v[18:19] op_sel:[1,0,0] op_sel_hi:[0,1,0]
	s_delay_alu instid0(VALU_DEP_1) | instskip(SKIP_1) | instid1(VALU_DEP_2)
	v_mov_b32_e32 v9, v5
	v_pk_mul_f32 v[4:5], v[6:7], v[2:3] op_sel:[0,1]
	v_pk_add_f32 v[128:129], v[128:129], v[8:9] neg_lo:[0,1] neg_hi:[0,1]
	s_delay_alu instid0(VALU_DEP_2) | instskip(SKIP_1) | instid1(VALU_DEP_1)
	v_pk_fma_f32 v[8:9], v[6:7], v[0:1], v[4:5] op_sel:[0,0,1] op_sel_hi:[1,1,0] neg_lo:[0,0,1] neg_hi:[0,0,1]
	v_pk_fma_f32 v[4:5], v[6:7], v[0:1], v[4:5] op_sel:[0,0,1] op_sel_hi:[1,0,0]
	v_mov_b32_e32 v9, v5
	ds_load_2addr_b64 v[4:7], v12 offset0:30 offset1:31
	v_pk_add_f32 v[124:125], v[124:125], v[8:9] neg_lo:[0,1] neg_hi:[0,1]
	s_wait_dscnt 0x0
	v_pk_mul_f32 v[8:9], v[4:5], v[2:3] op_sel:[0,1]
	s_delay_alu instid0(VALU_DEP_1) | instskip(SKIP_1) | instid1(VALU_DEP_1)
	v_pk_fma_f32 v[18:19], v[4:5], v[0:1], v[8:9] op_sel:[0,0,1] op_sel_hi:[1,1,0] neg_lo:[0,0,1] neg_hi:[0,0,1]
	v_pk_fma_f32 v[4:5], v[4:5], v[0:1], v[8:9] op_sel:[0,0,1] op_sel_hi:[1,0,0]
	v_mov_b32_e32 v19, v5
	v_pk_mul_f32 v[4:5], v[6:7], v[2:3] op_sel:[0,1]
	s_delay_alu instid0(VALU_DEP_2) | instskip(NEXT) | instid1(VALU_DEP_2)
	v_pk_add_f32 v[126:127], v[126:127], v[18:19] neg_lo:[0,1] neg_hi:[0,1]
	v_pk_fma_f32 v[8:9], v[6:7], v[0:1], v[4:5] op_sel:[0,0,1] op_sel_hi:[1,1,0] neg_lo:[0,0,1] neg_hi:[0,0,1]
	v_pk_fma_f32 v[4:5], v[6:7], v[0:1], v[4:5] op_sel:[0,0,1] op_sel_hi:[1,0,0]
	s_delay_alu instid0(VALU_DEP_1) | instskip(SKIP_4) | instid1(VALU_DEP_1)
	v_mov_b32_e32 v9, v5
	ds_load_2addr_b64 v[4:7], v12 offset0:32 offset1:33
	v_pk_add_f32 v[122:123], v[122:123], v[8:9] neg_lo:[0,1] neg_hi:[0,1]
	s_wait_dscnt 0x0
	v_pk_mul_f32 v[8:9], v[4:5], v[2:3] op_sel:[0,1]
	v_pk_fma_f32 v[18:19], v[4:5], v[0:1], v[8:9] op_sel:[0,0,1] op_sel_hi:[1,1,0] neg_lo:[0,0,1] neg_hi:[0,0,1]
	v_pk_fma_f32 v[4:5], v[4:5], v[0:1], v[8:9] op_sel:[0,0,1] op_sel_hi:[1,0,0]
	v_dual_mul_f32 v8, v7, v3 :: v_dual_mov_b32 v4, v7
	s_delay_alu instid0(VALU_DEP_2) | instskip(NEXT) | instid1(VALU_DEP_2)
	v_dual_mov_b32 v19, v5 :: v_dual_mov_b32 v5, v6
	v_pk_fma_f32 v[8:9], v[6:7], v[54:55], v[8:9] op_sel_hi:[1,1,0] neg_lo:[0,0,1] neg_hi:[0,0,1]
	v_mul_f32_e32 v6, v7, v0
	s_delay_alu instid0(VALU_DEP_3) | instskip(NEXT) | instid1(VALU_DEP_2)
	v_pk_add_f32 v[148:149], v[148:149], v[18:19] neg_lo:[0,1] neg_hi:[0,1]
	v_pk_fma_f32 v[4:5], v[4:5], v[54:55], v[6:7] op_sel_hi:[1,1,0]
	s_delay_alu instid0(VALU_DEP_1) | instskip(SKIP_4) | instid1(VALU_DEP_1)
	v_mov_b32_e32 v9, v5
	ds_load_2addr_b64 v[4:7], v12 offset0:34 offset1:35
	v_pk_add_f32 v[144:145], v[144:145], v[8:9] neg_lo:[0,1] neg_hi:[0,1]
	s_wait_dscnt 0x0
	v_pk_mul_f32 v[8:9], v[4:5], v[2:3] op_sel:[0,1]
	v_pk_fma_f32 v[18:19], v[4:5], v[0:1], v[8:9] op_sel:[0,0,1] op_sel_hi:[1,1,0] neg_lo:[0,0,1] neg_hi:[0,0,1]
	v_pk_fma_f32 v[4:5], v[4:5], v[0:1], v[8:9] op_sel:[0,0,1] op_sel_hi:[1,0,0]
	s_delay_alu instid0(VALU_DEP_1) | instskip(SKIP_1) | instid1(VALU_DEP_1)
	v_mov_b32_e32 v19, v5
	v_pk_mul_f32 v[4:5], v[6:7], v[2:3] op_sel:[0,1]
	v_pk_fma_f32 v[8:9], v[6:7], v[0:1], v[4:5] op_sel:[0,0,1] op_sel_hi:[1,1,0] neg_lo:[0,0,1] neg_hi:[0,0,1]
	v_pk_fma_f32 v[4:5], v[6:7], v[0:1], v[4:5] op_sel:[0,0,1] op_sel_hi:[1,0,0]
	s_delay_alu instid0(VALU_DEP_1)
	v_mov_b32_e32 v9, v5
	ds_load_2addr_b64 v[4:7], v12 offset0:36 offset1:37
	v_pk_add_f32 v[146:147], v[146:147], v[18:19] neg_lo:[0,1] neg_hi:[0,1]
	v_pk_add_f32 v[142:143], v[142:143], v[8:9] neg_lo:[0,1] neg_hi:[0,1]
	s_wait_dscnt 0x0
	v_pk_mul_f32 v[8:9], v[4:5], v[2:3] op_sel:[0,1]
	s_delay_alu instid0(VALU_DEP_1) | instskip(SKIP_1) | instid1(VALU_DEP_1)
	v_pk_fma_f32 v[18:19], v[4:5], v[0:1], v[8:9] op_sel:[0,0,1] op_sel_hi:[1,1,0] neg_lo:[0,0,1] neg_hi:[0,0,1]
	v_pk_fma_f32 v[4:5], v[4:5], v[0:1], v[8:9] op_sel:[0,0,1] op_sel_hi:[1,0,0]
	v_mov_b32_e32 v19, v5
	v_pk_mul_f32 v[4:5], v[6:7], v[2:3] op_sel:[0,1]
	s_delay_alu instid0(VALU_DEP_1) | instskip(SKIP_1) | instid1(VALU_DEP_1)
	v_pk_fma_f32 v[8:9], v[6:7], v[0:1], v[4:5] op_sel:[0,0,1] op_sel_hi:[1,1,0] neg_lo:[0,0,1] neg_hi:[0,0,1]
	v_pk_fma_f32 v[4:5], v[6:7], v[0:1], v[4:5] op_sel:[0,0,1] op_sel_hi:[1,0,0]
	v_mov_b32_e32 v9, v5
	ds_load_2addr_b64 v[4:7], v12 offset0:38 offset1:39
	v_pk_add_f32 v[170:171], v[170:171], v[18:19] neg_lo:[0,1] neg_hi:[0,1]
	v_pk_add_f32 v[164:165], v[164:165], v[8:9] neg_lo:[0,1] neg_hi:[0,1]
	s_wait_dscnt 0x0
	v_dual_mul_f32 v8, v5, v3 :: v_dual_mul_f32 v18, v5, v0
	s_delay_alu instid0(VALU_DEP_1) | instskip(NEXT) | instid1(VALU_DEP_2)
	v_pk_fma_f32 v[8:9], v[4:5], v[54:55], v[8:9] op_sel_hi:[1,1,0] neg_lo:[0,0,1] neg_hi:[0,0,1]
	v_pk_fma_f32 v[4:5], v[4:5], v[54:55], v[18:19] op_sel:[1,0,0] op_sel_hi:[0,1,0]
	s_delay_alu instid0(VALU_DEP_1) | instskip(SKIP_1) | instid1(VALU_DEP_2)
	v_mov_b32_e32 v9, v5
	v_pk_mul_f32 v[4:5], v[6:7], v[2:3] op_sel:[0,1]
	v_pk_add_f32 v[168:169], v[168:169], v[8:9] neg_lo:[0,1] neg_hi:[0,1]
	s_delay_alu instid0(VALU_DEP_2) | instskip(SKIP_1) | instid1(VALU_DEP_1)
	v_pk_fma_f32 v[8:9], v[6:7], v[0:1], v[4:5] op_sel:[0,0,1] op_sel_hi:[1,1,0] neg_lo:[0,0,1] neg_hi:[0,0,1]
	v_pk_fma_f32 v[4:5], v[6:7], v[0:1], v[4:5] op_sel:[0,0,1] op_sel_hi:[1,0,0]
	v_mov_b32_e32 v9, v5
	ds_load_2addr_b64 v[4:7], v12 offset0:40 offset1:41
	v_pk_add_f32 v[162:163], v[162:163], v[8:9] neg_lo:[0,1] neg_hi:[0,1]
	s_wait_dscnt 0x0
	v_pk_mul_f32 v[8:9], v[4:5], v[2:3] op_sel:[0,1]
	s_delay_alu instid0(VALU_DEP_1) | instskip(SKIP_1) | instid1(VALU_DEP_1)
	v_pk_fma_f32 v[18:19], v[4:5], v[0:1], v[8:9] op_sel:[0,0,1] op_sel_hi:[1,1,0] neg_lo:[0,0,1] neg_hi:[0,0,1]
	v_pk_fma_f32 v[4:5], v[4:5], v[0:1], v[8:9] op_sel:[0,0,1] op_sel_hi:[1,0,0]
	v_mov_b32_e32 v19, v5
	v_pk_mul_f32 v[4:5], v[6:7], v[2:3] op_sel:[0,1]
	s_delay_alu instid0(VALU_DEP_2) | instskip(NEXT) | instid1(VALU_DEP_2)
	v_pk_add_f32 v[166:167], v[166:167], v[18:19] neg_lo:[0,1] neg_hi:[0,1]
	v_pk_fma_f32 v[8:9], v[6:7], v[0:1], v[4:5] op_sel:[0,0,1] op_sel_hi:[1,1,0] neg_lo:[0,0,1] neg_hi:[0,0,1]
	v_pk_fma_f32 v[4:5], v[6:7], v[0:1], v[4:5] op_sel:[0,0,1] op_sel_hi:[1,0,0]
	s_delay_alu instid0(VALU_DEP_1)
	v_mov_b32_e32 v9, v5
	ds_load_2addr_b64 v[4:7], v12 offset0:42 offset1:43
	v_pk_add_f32 v[160:161], v[160:161], v[8:9] neg_lo:[0,1] neg_hi:[0,1]
	s_wait_dscnt 0x0
	v_pk_mul_f32 v[8:9], v[4:5], v[2:3] op_sel:[0,1]
	v_mul_f32_e32 v2, v7, v3
	s_delay_alu instid0(VALU_DEP_2) | instskip(SKIP_2) | instid1(VALU_DEP_4)
	v_pk_fma_f32 v[18:19], v[4:5], v[0:1], v[8:9] op_sel:[0,0,1] op_sel_hi:[1,1,0] neg_lo:[0,0,1] neg_hi:[0,0,1]
	v_pk_fma_f32 v[4:5], v[4:5], v[0:1], v[8:9] op_sel:[0,0,1] op_sel_hi:[1,0,0]
	v_dual_mov_b32 v4, v7 :: v_dual_mul_f32 v0, v7, v0
	v_pk_fma_f32 v[2:3], v[6:7], v[54:55], v[2:3] op_sel_hi:[1,1,0] neg_lo:[0,0,1] neg_hi:[0,0,1]
	s_delay_alu instid0(VALU_DEP_3) | instskip(NEXT) | instid1(VALU_DEP_1)
	v_dual_mov_b32 v19, v5 :: v_dual_mov_b32 v5, v6
	v_pk_add_f32 v[172:173], v[172:173], v[18:19] neg_lo:[0,1] neg_hi:[0,1]
	s_delay_alu instid0(VALU_DEP_2) | instskip(NEXT) | instid1(VALU_DEP_1)
	v_pk_fma_f32 v[0:1], v[4:5], v[54:55], v[0:1] op_sel_hi:[1,1,0]
	v_mov_b32_e32 v3, v1
	s_delay_alu instid0(VALU_DEP_1)
	v_pk_add_f32 v[176:177], v[176:177], v[2:3] neg_lo:[0,1] neg_hi:[0,1]
.LBB87_181:
	s_or_b32 exec_lo, exec_lo, s1
	s_delay_alu instid0(SALU_CYCLE_1)
	s_mov_b32 s2, exec_lo
	s_wait_dscnt 0x0
	s_barrier_signal -1
	s_barrier_wait -1
	v_cmpx_eq_u32_e32 20, v30
	s_cbranch_execz .LBB87_188
; %bb.182:
	ds_store_b64 v31, v[86:87]
	ds_store_2addr_b64 v12, v[82:83], v[84:85] offset0:21 offset1:22
	ds_store_2addr_b64 v12, v[80:81], v[110:111] offset0:23 offset1:24
	ds_store_2addr_b64 v12, v[106:107], v[108:109] offset0:25 offset1:26
	ds_store_2addr_b64 v12, v[104:105], v[128:129] offset0:27 offset1:28
	ds_store_2addr_b64 v12, v[124:125], v[126:127] offset0:29 offset1:30
	ds_store_2addr_b64 v12, v[122:123], v[148:149] offset0:31 offset1:32
	ds_store_2addr_b64 v12, v[144:145], v[146:147] offset0:33 offset1:34
	ds_store_2addr_b64 v12, v[142:143], v[170:171] offset0:35 offset1:36
	ds_store_2addr_b64 v12, v[164:165], v[168:169] offset0:37 offset1:38
	ds_store_2addr_b64 v12, v[162:163], v[166:167] offset0:39 offset1:40
	ds_store_2addr_b64 v12, v[160:161], v[172:173] offset0:41 offset1:42
	ds_store_b64 v12, v[176:177] offset:344
	ds_load_b64 v[0:1], v31
	s_wait_dscnt 0x0
	v_cmp_neq_f32_e32 vcc_lo, 0, v0
	v_cmp_neq_f32_e64 s1, 0, v1
	s_or_b32 s1, vcc_lo, s1
	s_delay_alu instid0(SALU_CYCLE_1)
	s_and_b32 exec_lo, exec_lo, s1
	s_cbranch_execz .LBB87_188
; %bb.183:
	v_cmp_ngt_f32_e64 s1, |v0|, |v1|
                                        ; implicit-def: $vgpr2_vgpr3
	s_and_saveexec_b32 s4, s1
	s_delay_alu instid0(SALU_CYCLE_1)
	s_xor_b32 s1, exec_lo, s4
	s_cbranch_execz .LBB87_185
; %bb.184:
	v_div_scale_f32 v2, null, v1, v1, v0
	v_div_scale_f32 v5, vcc_lo, v0, v1, v0
	s_delay_alu instid0(VALU_DEP_2) | instskip(SKIP_1) | instid1(TRANS32_DEP_1)
	v_rcp_f32_e32 v3, v2
	v_nop
	v_fma_f32 v4, -v2, v3, 1.0
	s_delay_alu instid0(VALU_DEP_1) | instskip(NEXT) | instid1(VALU_DEP_1)
	v_fmac_f32_e32 v3, v4, v3
	v_mul_f32_e32 v4, v5, v3
	s_delay_alu instid0(VALU_DEP_1) | instskip(NEXT) | instid1(VALU_DEP_1)
	v_fma_f32 v6, -v2, v4, v5
	v_fmac_f32_e32 v4, v6, v3
	s_delay_alu instid0(VALU_DEP_1) | instskip(NEXT) | instid1(VALU_DEP_1)
	v_fma_f32 v2, -v2, v4, v5
	v_div_fmas_f32 v2, v2, v3, v4
	s_delay_alu instid0(VALU_DEP_1) | instskip(NEXT) | instid1(VALU_DEP_1)
	v_div_fixup_f32 v2, v2, v1, v0
	v_fmac_f32_e32 v1, v0, v2
	s_delay_alu instid0(VALU_DEP_1) | instskip(SKIP_1) | instid1(VALU_DEP_2)
	v_div_scale_f32 v0, null, v1, v1, 1.0
	v_div_scale_f32 v5, vcc_lo, 1.0, v1, 1.0
	v_rcp_f32_e32 v3, v0
	v_nop
	s_delay_alu instid0(TRANS32_DEP_1) | instskip(NEXT) | instid1(VALU_DEP_1)
	v_fma_f32 v4, -v0, v3, 1.0
	v_fmac_f32_e32 v3, v4, v3
	s_delay_alu instid0(VALU_DEP_1) | instskip(NEXT) | instid1(VALU_DEP_1)
	v_mul_f32_e32 v4, v5, v3
	v_fma_f32 v6, -v0, v4, v5
	s_delay_alu instid0(VALU_DEP_1) | instskip(NEXT) | instid1(VALU_DEP_1)
	v_fmac_f32_e32 v4, v6, v3
	v_fma_f32 v0, -v0, v4, v5
	s_delay_alu instid0(VALU_DEP_1) | instskip(NEXT) | instid1(VALU_DEP_1)
	v_div_fmas_f32 v0, v0, v3, v4
	v_div_fixup_f32 v0, v0, v1, 1.0
	s_delay_alu instid0(VALU_DEP_1)
	v_mul_f32_e32 v2, v2, v0
	v_xor_b32_e32 v3, 0x80000000, v0
                                        ; implicit-def: $vgpr0_vgpr1
.LBB87_185:
	s_and_not1_saveexec_b32 s1, s1
	s_cbranch_execz .LBB87_187
; %bb.186:
	v_div_scale_f32 v2, null, v0, v0, v1
	v_div_scale_f32 v5, vcc_lo, v1, v0, v1
	s_delay_alu instid0(VALU_DEP_2) | instskip(SKIP_1) | instid1(TRANS32_DEP_1)
	v_rcp_f32_e32 v3, v2
	v_nop
	v_fma_f32 v4, -v2, v3, 1.0
	s_delay_alu instid0(VALU_DEP_1) | instskip(NEXT) | instid1(VALU_DEP_1)
	v_fmac_f32_e32 v3, v4, v3
	v_mul_f32_e32 v4, v5, v3
	s_delay_alu instid0(VALU_DEP_1) | instskip(NEXT) | instid1(VALU_DEP_1)
	v_fma_f32 v6, -v2, v4, v5
	v_fmac_f32_e32 v4, v6, v3
	s_delay_alu instid0(VALU_DEP_1) | instskip(NEXT) | instid1(VALU_DEP_1)
	v_fma_f32 v2, -v2, v4, v5
	v_div_fmas_f32 v2, v2, v3, v4
	s_delay_alu instid0(VALU_DEP_1) | instskip(NEXT) | instid1(VALU_DEP_1)
	v_div_fixup_f32 v3, v2, v0, v1
	v_fmac_f32_e32 v0, v1, v3
	s_delay_alu instid0(VALU_DEP_1) | instskip(NEXT) | instid1(VALU_DEP_1)
	v_div_scale_f32 v1, null, v0, v0, 1.0
	v_rcp_f32_e32 v2, v1
	v_nop
	s_delay_alu instid0(TRANS32_DEP_1) | instskip(NEXT) | instid1(VALU_DEP_1)
	v_fma_f32 v4, -v1, v2, 1.0
	v_fmac_f32_e32 v2, v4, v2
	v_div_scale_f32 v4, vcc_lo, 1.0, v0, 1.0
	s_delay_alu instid0(VALU_DEP_1) | instskip(NEXT) | instid1(VALU_DEP_1)
	v_mul_f32_e32 v5, v4, v2
	v_fma_f32 v6, -v1, v5, v4
	s_delay_alu instid0(VALU_DEP_1) | instskip(NEXT) | instid1(VALU_DEP_1)
	v_fmac_f32_e32 v5, v6, v2
	v_fma_f32 v1, -v1, v5, v4
	s_delay_alu instid0(VALU_DEP_1) | instskip(NEXT) | instid1(VALU_DEP_1)
	v_div_fmas_f32 v1, v1, v2, v5
	v_div_fixup_f32 v2, v1, v0, 1.0
	s_delay_alu instid0(VALU_DEP_1)
	v_mul_f32_e64 v3, v3, -v2
.LBB87_187:
	s_or_b32 exec_lo, exec_lo, s1
	ds_store_b64 v31, v[2:3]
.LBB87_188:
	s_or_b32 exec_lo, exec_lo, s2
	s_wait_dscnt 0x0
	s_barrier_signal -1
	s_barrier_wait -1
	ds_load_b64 v[218:219], v31
	s_mov_b32 s1, exec_lo
	v_cmpx_lt_u32_e32 20, v30
	s_cbranch_execz .LBB87_190
; %bb.189:
	ds_load_2addr_b64 v[4:7], v12 offset0:21 offset1:22
	s_wait_dscnt 0x1
	v_pk_mul_f32 v[2:3], v[218:219], v[86:87] op_sel:[1,1] op_sel_hi:[0,1]
	s_delay_alu instid0(VALU_DEP_1) | instskip(SKIP_1) | instid1(VALU_DEP_1)
	v_pk_fma_f32 v[0:1], v[218:219], v[86:87], v[2:3] op_sel_hi:[1,0,1] neg_lo:[0,0,1] neg_hi:[0,0,1]
	v_pk_fma_f32 v[2:3], v[218:219], v[86:87], v[2:3] op_sel_hi:[1,0,1]
	v_dual_mov_b32 v86, v0 :: v_dual_mov_b32 v87, v3
	s_wait_dscnt 0x0
	s_delay_alu instid0(VALU_DEP_2) | instskip(NEXT) | instid1(VALU_DEP_1)
	v_pk_mul_f32 v[8:9], v[4:5], v[2:3] op_sel:[0,1]
	v_pk_fma_f32 v[18:19], v[4:5], v[0:1], v[8:9] op_sel:[0,0,1] op_sel_hi:[1,1,0] neg_lo:[0,0,1] neg_hi:[0,0,1]
	v_pk_fma_f32 v[4:5], v[4:5], v[0:1], v[8:9] op_sel:[0,0,1] op_sel_hi:[1,0,0]
	s_delay_alu instid0(VALU_DEP_1) | instskip(SKIP_1) | instid1(VALU_DEP_1)
	v_mov_b32_e32 v19, v5
	v_pk_mul_f32 v[4:5], v[6:7], v[2:3] op_sel:[0,1]
	v_pk_fma_f32 v[8:9], v[6:7], v[0:1], v[4:5] op_sel:[0,0,1] op_sel_hi:[1,1,0] neg_lo:[0,0,1] neg_hi:[0,0,1]
	v_pk_fma_f32 v[4:5], v[6:7], v[0:1], v[4:5] op_sel:[0,0,1] op_sel_hi:[1,0,0]
	s_delay_alu instid0(VALU_DEP_1)
	v_mov_b32_e32 v9, v5
	ds_load_2addr_b64 v[4:7], v12 offset0:23 offset1:24
	v_pk_add_f32 v[82:83], v[82:83], v[18:19] neg_lo:[0,1] neg_hi:[0,1]
	v_pk_add_f32 v[84:85], v[84:85], v[8:9] neg_lo:[0,1] neg_hi:[0,1]
	s_wait_dscnt 0x0
	v_pk_mul_f32 v[8:9], v[4:5], v[2:3] op_sel:[0,1]
	s_delay_alu instid0(VALU_DEP_1) | instskip(SKIP_2) | instid1(VALU_DEP_2)
	v_pk_fma_f32 v[18:19], v[4:5], v[0:1], v[8:9] op_sel:[0,0,1] op_sel_hi:[1,1,0] neg_lo:[0,0,1] neg_hi:[0,0,1]
	v_pk_fma_f32 v[4:5], v[4:5], v[0:1], v[8:9] op_sel:[0,0,1] op_sel_hi:[1,0,0]
	v_dual_mul_f32 v8, v7, v3 :: v_dual_mov_b32 v4, v7
	v_dual_mov_b32 v19, v5 :: v_dual_mov_b32 v5, v6
	s_delay_alu instid0(VALU_DEP_2) | instskip(SKIP_1) | instid1(VALU_DEP_3)
	v_pk_fma_f32 v[8:9], v[6:7], v[86:87], v[8:9] op_sel_hi:[1,1,0] neg_lo:[0,0,1] neg_hi:[0,0,1]
	v_mul_f32_e32 v6, v7, v0
	v_pk_add_f32 v[80:81], v[80:81], v[18:19] neg_lo:[0,1] neg_hi:[0,1]
	s_delay_alu instid0(VALU_DEP_2) | instskip(NEXT) | instid1(VALU_DEP_1)
	v_pk_fma_f32 v[4:5], v[4:5], v[86:87], v[6:7] op_sel_hi:[1,1,0]
	v_mov_b32_e32 v9, v5
	ds_load_2addr_b64 v[4:7], v12 offset0:25 offset1:26
	v_pk_add_f32 v[110:111], v[110:111], v[8:9] neg_lo:[0,1] neg_hi:[0,1]
	s_wait_dscnt 0x0
	v_pk_mul_f32 v[8:9], v[4:5], v[2:3] op_sel:[0,1]
	s_delay_alu instid0(VALU_DEP_1) | instskip(SKIP_1) | instid1(VALU_DEP_1)
	v_pk_fma_f32 v[18:19], v[4:5], v[0:1], v[8:9] op_sel:[0,0,1] op_sel_hi:[1,1,0] neg_lo:[0,0,1] neg_hi:[0,0,1]
	v_pk_fma_f32 v[4:5], v[4:5], v[0:1], v[8:9] op_sel:[0,0,1] op_sel_hi:[1,0,0]
	v_mov_b32_e32 v19, v5
	v_pk_mul_f32 v[4:5], v[6:7], v[2:3] op_sel:[0,1]
	s_delay_alu instid0(VALU_DEP_1) | instskip(SKIP_1) | instid1(VALU_DEP_1)
	v_pk_fma_f32 v[8:9], v[6:7], v[0:1], v[4:5] op_sel:[0,0,1] op_sel_hi:[1,1,0] neg_lo:[0,0,1] neg_hi:[0,0,1]
	v_pk_fma_f32 v[4:5], v[6:7], v[0:1], v[4:5] op_sel:[0,0,1] op_sel_hi:[1,0,0]
	v_mov_b32_e32 v9, v5
	ds_load_2addr_b64 v[4:7], v12 offset0:27 offset1:28
	v_pk_add_f32 v[106:107], v[106:107], v[18:19] neg_lo:[0,1] neg_hi:[0,1]
	v_pk_add_f32 v[108:109], v[108:109], v[8:9] neg_lo:[0,1] neg_hi:[0,1]
	s_wait_dscnt 0x0
	v_pk_mul_f32 v[8:9], v[4:5], v[2:3] op_sel:[0,1]
	s_delay_alu instid0(VALU_DEP_1) | instskip(SKIP_1) | instid1(VALU_DEP_1)
	v_pk_fma_f32 v[18:19], v[4:5], v[0:1], v[8:9] op_sel:[0,0,1] op_sel_hi:[1,1,0] neg_lo:[0,0,1] neg_hi:[0,0,1]
	v_pk_fma_f32 v[4:5], v[4:5], v[0:1], v[8:9] op_sel:[0,0,1] op_sel_hi:[1,0,0]
	v_mov_b32_e32 v19, v5
	v_pk_mul_f32 v[4:5], v[6:7], v[2:3] op_sel:[0,1]
	s_delay_alu instid0(VALU_DEP_1) | instskip(SKIP_1) | instid1(VALU_DEP_1)
	v_pk_fma_f32 v[8:9], v[6:7], v[0:1], v[4:5] op_sel:[0,0,1] op_sel_hi:[1,1,0] neg_lo:[0,0,1] neg_hi:[0,0,1]
	v_pk_fma_f32 v[4:5], v[6:7], v[0:1], v[4:5] op_sel:[0,0,1] op_sel_hi:[1,0,0]
	v_mov_b32_e32 v9, v5
	ds_load_2addr_b64 v[4:7], v12 offset0:29 offset1:30
	v_pk_add_f32 v[104:105], v[104:105], v[18:19] neg_lo:[0,1] neg_hi:[0,1]
	v_pk_add_f32 v[128:129], v[128:129], v[8:9] neg_lo:[0,1] neg_hi:[0,1]
	s_wait_dscnt 0x0
	v_dual_mul_f32 v8, v5, v3 :: v_dual_mul_f32 v18, v5, v0
	s_delay_alu instid0(VALU_DEP_1) | instskip(NEXT) | instid1(VALU_DEP_2)
	v_pk_fma_f32 v[8:9], v[4:5], v[86:87], v[8:9] op_sel_hi:[1,1,0] neg_lo:[0,0,1] neg_hi:[0,0,1]
	v_pk_fma_f32 v[4:5], v[4:5], v[86:87], v[18:19] op_sel:[1,0,0] op_sel_hi:[0,1,0]
	s_delay_alu instid0(VALU_DEP_1) | instskip(SKIP_1) | instid1(VALU_DEP_2)
	v_mov_b32_e32 v9, v5
	v_pk_mul_f32 v[4:5], v[6:7], v[2:3] op_sel:[0,1]
	v_pk_add_f32 v[124:125], v[124:125], v[8:9] neg_lo:[0,1] neg_hi:[0,1]
	s_delay_alu instid0(VALU_DEP_2) | instskip(SKIP_1) | instid1(VALU_DEP_1)
	v_pk_fma_f32 v[8:9], v[6:7], v[0:1], v[4:5] op_sel:[0,0,1] op_sel_hi:[1,1,0] neg_lo:[0,0,1] neg_hi:[0,0,1]
	v_pk_fma_f32 v[4:5], v[6:7], v[0:1], v[4:5] op_sel:[0,0,1] op_sel_hi:[1,0,0]
	v_mov_b32_e32 v9, v5
	ds_load_2addr_b64 v[4:7], v12 offset0:31 offset1:32
	v_pk_add_f32 v[126:127], v[126:127], v[8:9] neg_lo:[0,1] neg_hi:[0,1]
	s_wait_dscnt 0x0
	v_pk_mul_f32 v[8:9], v[4:5], v[2:3] op_sel:[0,1]
	s_delay_alu instid0(VALU_DEP_1) | instskip(SKIP_1) | instid1(VALU_DEP_1)
	v_pk_fma_f32 v[18:19], v[4:5], v[0:1], v[8:9] op_sel:[0,0,1] op_sel_hi:[1,1,0] neg_lo:[0,0,1] neg_hi:[0,0,1]
	v_pk_fma_f32 v[4:5], v[4:5], v[0:1], v[8:9] op_sel:[0,0,1] op_sel_hi:[1,0,0]
	v_mov_b32_e32 v19, v5
	v_pk_mul_f32 v[4:5], v[6:7], v[2:3] op_sel:[0,1]
	s_delay_alu instid0(VALU_DEP_2) | instskip(NEXT) | instid1(VALU_DEP_2)
	v_pk_add_f32 v[122:123], v[122:123], v[18:19] neg_lo:[0,1] neg_hi:[0,1]
	v_pk_fma_f32 v[8:9], v[6:7], v[0:1], v[4:5] op_sel:[0,0,1] op_sel_hi:[1,1,0] neg_lo:[0,0,1] neg_hi:[0,0,1]
	v_pk_fma_f32 v[4:5], v[6:7], v[0:1], v[4:5] op_sel:[0,0,1] op_sel_hi:[1,0,0]
	s_delay_alu instid0(VALU_DEP_1) | instskip(SKIP_4) | instid1(VALU_DEP_1)
	v_mov_b32_e32 v9, v5
	ds_load_2addr_b64 v[4:7], v12 offset0:33 offset1:34
	v_pk_add_f32 v[148:149], v[148:149], v[8:9] neg_lo:[0,1] neg_hi:[0,1]
	s_wait_dscnt 0x0
	v_pk_mul_f32 v[8:9], v[4:5], v[2:3] op_sel:[0,1]
	v_pk_fma_f32 v[18:19], v[4:5], v[0:1], v[8:9] op_sel:[0,0,1] op_sel_hi:[1,1,0] neg_lo:[0,0,1] neg_hi:[0,0,1]
	v_pk_fma_f32 v[4:5], v[4:5], v[0:1], v[8:9] op_sel:[0,0,1] op_sel_hi:[1,0,0]
	v_dual_mul_f32 v8, v7, v3 :: v_dual_mov_b32 v4, v7
	s_delay_alu instid0(VALU_DEP_2) | instskip(NEXT) | instid1(VALU_DEP_2)
	v_dual_mov_b32 v19, v5 :: v_dual_mov_b32 v5, v6
	v_pk_fma_f32 v[8:9], v[6:7], v[86:87], v[8:9] op_sel_hi:[1,1,0] neg_lo:[0,0,1] neg_hi:[0,0,1]
	v_mul_f32_e32 v6, v7, v0
	s_delay_alu instid0(VALU_DEP_3) | instskip(NEXT) | instid1(VALU_DEP_2)
	v_pk_add_f32 v[144:145], v[144:145], v[18:19] neg_lo:[0,1] neg_hi:[0,1]
	v_pk_fma_f32 v[4:5], v[4:5], v[86:87], v[6:7] op_sel_hi:[1,1,0]
	s_delay_alu instid0(VALU_DEP_1) | instskip(SKIP_4) | instid1(VALU_DEP_1)
	v_mov_b32_e32 v9, v5
	ds_load_2addr_b64 v[4:7], v12 offset0:35 offset1:36
	v_pk_add_f32 v[146:147], v[146:147], v[8:9] neg_lo:[0,1] neg_hi:[0,1]
	s_wait_dscnt 0x0
	v_pk_mul_f32 v[8:9], v[4:5], v[2:3] op_sel:[0,1]
	v_pk_fma_f32 v[18:19], v[4:5], v[0:1], v[8:9] op_sel:[0,0,1] op_sel_hi:[1,1,0] neg_lo:[0,0,1] neg_hi:[0,0,1]
	v_pk_fma_f32 v[4:5], v[4:5], v[0:1], v[8:9] op_sel:[0,0,1] op_sel_hi:[1,0,0]
	s_delay_alu instid0(VALU_DEP_1) | instskip(SKIP_1) | instid1(VALU_DEP_1)
	v_mov_b32_e32 v19, v5
	v_pk_mul_f32 v[4:5], v[6:7], v[2:3] op_sel:[0,1]
	v_pk_fma_f32 v[8:9], v[6:7], v[0:1], v[4:5] op_sel:[0,0,1] op_sel_hi:[1,1,0] neg_lo:[0,0,1] neg_hi:[0,0,1]
	v_pk_fma_f32 v[4:5], v[6:7], v[0:1], v[4:5] op_sel:[0,0,1] op_sel_hi:[1,0,0]
	s_delay_alu instid0(VALU_DEP_1)
	v_mov_b32_e32 v9, v5
	ds_load_2addr_b64 v[4:7], v12 offset0:37 offset1:38
	v_pk_add_f32 v[142:143], v[142:143], v[18:19] neg_lo:[0,1] neg_hi:[0,1]
	v_pk_add_f32 v[170:171], v[170:171], v[8:9] neg_lo:[0,1] neg_hi:[0,1]
	s_wait_dscnt 0x0
	v_pk_mul_f32 v[8:9], v[4:5], v[2:3] op_sel:[0,1]
	s_delay_alu instid0(VALU_DEP_1) | instskip(SKIP_1) | instid1(VALU_DEP_1)
	v_pk_fma_f32 v[18:19], v[4:5], v[0:1], v[8:9] op_sel:[0,0,1] op_sel_hi:[1,1,0] neg_lo:[0,0,1] neg_hi:[0,0,1]
	v_pk_fma_f32 v[4:5], v[4:5], v[0:1], v[8:9] op_sel:[0,0,1] op_sel_hi:[1,0,0]
	v_mov_b32_e32 v19, v5
	v_pk_mul_f32 v[4:5], v[6:7], v[2:3] op_sel:[0,1]
	s_delay_alu instid0(VALU_DEP_1) | instskip(SKIP_1) | instid1(VALU_DEP_1)
	v_pk_fma_f32 v[8:9], v[6:7], v[0:1], v[4:5] op_sel:[0,0,1] op_sel_hi:[1,1,0] neg_lo:[0,0,1] neg_hi:[0,0,1]
	v_pk_fma_f32 v[4:5], v[6:7], v[0:1], v[4:5] op_sel:[0,0,1] op_sel_hi:[1,0,0]
	v_mov_b32_e32 v9, v5
	ds_load_2addr_b64 v[4:7], v12 offset0:39 offset1:40
	v_pk_add_f32 v[164:165], v[164:165], v[18:19] neg_lo:[0,1] neg_hi:[0,1]
	v_pk_add_f32 v[168:169], v[168:169], v[8:9] neg_lo:[0,1] neg_hi:[0,1]
	s_wait_dscnt 0x0
	v_dual_mul_f32 v8, v5, v3 :: v_dual_mul_f32 v18, v5, v0
	s_delay_alu instid0(VALU_DEP_1) | instskip(NEXT) | instid1(VALU_DEP_2)
	v_pk_fma_f32 v[8:9], v[4:5], v[86:87], v[8:9] op_sel_hi:[1,1,0] neg_lo:[0,0,1] neg_hi:[0,0,1]
	v_pk_fma_f32 v[4:5], v[4:5], v[86:87], v[18:19] op_sel:[1,0,0] op_sel_hi:[0,1,0]
	s_delay_alu instid0(VALU_DEP_1) | instskip(SKIP_1) | instid1(VALU_DEP_2)
	v_mov_b32_e32 v9, v5
	v_pk_mul_f32 v[4:5], v[6:7], v[2:3] op_sel:[0,1]
	v_pk_add_f32 v[162:163], v[162:163], v[8:9] neg_lo:[0,1] neg_hi:[0,1]
	s_delay_alu instid0(VALU_DEP_2) | instskip(SKIP_1) | instid1(VALU_DEP_1)
	v_pk_fma_f32 v[8:9], v[6:7], v[0:1], v[4:5] op_sel:[0,0,1] op_sel_hi:[1,1,0] neg_lo:[0,0,1] neg_hi:[0,0,1]
	v_pk_fma_f32 v[4:5], v[6:7], v[0:1], v[4:5] op_sel:[0,0,1] op_sel_hi:[1,0,0]
	v_mov_b32_e32 v9, v5
	ds_load_2addr_b64 v[4:7], v12 offset0:41 offset1:42
	v_pk_add_f32 v[166:167], v[166:167], v[8:9] neg_lo:[0,1] neg_hi:[0,1]
	s_wait_dscnt 0x0
	v_pk_mul_f32 v[8:9], v[4:5], v[2:3] op_sel:[0,1]
	s_delay_alu instid0(VALU_DEP_1) | instskip(SKIP_1) | instid1(VALU_DEP_1)
	v_pk_fma_f32 v[18:19], v[4:5], v[0:1], v[8:9] op_sel:[0,0,1] op_sel_hi:[1,1,0] neg_lo:[0,0,1] neg_hi:[0,0,1]
	v_pk_fma_f32 v[4:5], v[4:5], v[0:1], v[8:9] op_sel:[0,0,1] op_sel_hi:[1,0,0]
	v_mov_b32_e32 v19, v5
	v_pk_mul_f32 v[4:5], v[6:7], v[2:3] op_sel:[0,1]
	s_delay_alu instid0(VALU_DEP_2) | instskip(NEXT) | instid1(VALU_DEP_2)
	v_pk_add_f32 v[160:161], v[160:161], v[18:19] neg_lo:[0,1] neg_hi:[0,1]
	v_pk_fma_f32 v[8:9], v[6:7], v[0:1], v[4:5] op_sel:[0,0,1] op_sel_hi:[1,1,0] neg_lo:[0,0,1] neg_hi:[0,0,1]
	v_pk_fma_f32 v[4:5], v[6:7], v[0:1], v[4:5] op_sel:[0,0,1] op_sel_hi:[1,0,0]
	s_delay_alu instid0(VALU_DEP_1) | instskip(SKIP_4) | instid1(VALU_DEP_1)
	v_mov_b32_e32 v9, v5
	ds_load_b64 v[4:5], v12 offset:344
	v_pk_add_f32 v[172:173], v[172:173], v[8:9] neg_lo:[0,1] neg_hi:[0,1]
	s_wait_dscnt 0x0
	v_pk_mul_f32 v[2:3], v[4:5], v[2:3] op_sel:[0,1]
	v_pk_fma_f32 v[6:7], v[4:5], v[0:1], v[2:3] op_sel:[0,0,1] op_sel_hi:[1,1,0] neg_lo:[0,0,1] neg_hi:[0,0,1]
	v_pk_fma_f32 v[0:1], v[4:5], v[0:1], v[2:3] op_sel:[0,0,1] op_sel_hi:[1,0,0]
	s_delay_alu instid0(VALU_DEP_1) | instskip(NEXT) | instid1(VALU_DEP_1)
	v_mov_b32_e32 v7, v1
	v_pk_add_f32 v[176:177], v[176:177], v[6:7] neg_lo:[0,1] neg_hi:[0,1]
.LBB87_190:
	s_or_b32 exec_lo, exec_lo, s1
	s_delay_alu instid0(SALU_CYCLE_1)
	s_mov_b32 s2, exec_lo
	s_wait_dscnt 0x0
	s_barrier_signal -1
	s_barrier_wait -1
	v_cmpx_eq_u32_e32 21, v30
	s_cbranch_execz .LBB87_197
; %bb.191:
	v_dual_mov_b32 v0, v84 :: v_dual_mov_b32 v1, v85
	v_dual_mov_b32 v2, v80 :: v_dual_mov_b32 v3, v81
	;; [unrolled: 1-line block ×10, first 2 shown]
	ds_store_b64 v31, v[82:83]
	v_dual_mov_b32 v226, v148 :: v_dual_mov_b32 v227, v149
	v_dual_mov_b32 v228, v144 :: v_dual_mov_b32 v229, v145
	ds_store_2addr_b64 v12, v[0:1], v[2:3] offset0:22 offset1:23
	ds_store_2addr_b64 v12, v[4:5], v[6:7] offset0:24 offset1:25
	;; [unrolled: 1-line block ×6, first 2 shown]
	v_dual_mov_b32 v0, v146 :: v_dual_mov_b32 v1, v147
	v_dual_mov_b32 v2, v142 :: v_dual_mov_b32 v3, v143
	;; [unrolled: 1-line block ×9, first 2 shown]
	ds_store_2addr_b64 v12, v[0:1], v[2:3] offset0:34 offset1:35
	ds_store_2addr_b64 v12, v[4:5], v[6:7] offset0:36 offset1:37
	;; [unrolled: 1-line block ×5, first 2 shown]
	ds_load_b64 v[0:1], v31
	s_wait_dscnt 0x0
	v_cmp_neq_f32_e32 vcc_lo, 0, v0
	v_cmp_neq_f32_e64 s1, 0, v1
	s_or_b32 s1, vcc_lo, s1
	s_delay_alu instid0(SALU_CYCLE_1)
	s_and_b32 exec_lo, exec_lo, s1
	s_cbranch_execz .LBB87_197
; %bb.192:
	v_cmp_ngt_f32_e64 s1, |v0|, |v1|
                                        ; implicit-def: $vgpr2_vgpr3
	s_and_saveexec_b32 s4, s1
	s_delay_alu instid0(SALU_CYCLE_1)
	s_xor_b32 s1, exec_lo, s4
	s_cbranch_execz .LBB87_194
; %bb.193:
	v_div_scale_f32 v2, null, v1, v1, v0
	v_div_scale_f32 v5, vcc_lo, v0, v1, v0
	s_delay_alu instid0(VALU_DEP_2) | instskip(SKIP_1) | instid1(TRANS32_DEP_1)
	v_rcp_f32_e32 v3, v2
	v_nop
	v_fma_f32 v4, -v2, v3, 1.0
	s_delay_alu instid0(VALU_DEP_1) | instskip(NEXT) | instid1(VALU_DEP_1)
	v_fmac_f32_e32 v3, v4, v3
	v_mul_f32_e32 v4, v5, v3
	s_delay_alu instid0(VALU_DEP_1) | instskip(NEXT) | instid1(VALU_DEP_1)
	v_fma_f32 v6, -v2, v4, v5
	v_fmac_f32_e32 v4, v6, v3
	s_delay_alu instid0(VALU_DEP_1) | instskip(NEXT) | instid1(VALU_DEP_1)
	v_fma_f32 v2, -v2, v4, v5
	v_div_fmas_f32 v2, v2, v3, v4
	s_delay_alu instid0(VALU_DEP_1) | instskip(NEXT) | instid1(VALU_DEP_1)
	v_div_fixup_f32 v2, v2, v1, v0
	v_fmac_f32_e32 v1, v0, v2
	s_delay_alu instid0(VALU_DEP_1) | instskip(SKIP_1) | instid1(VALU_DEP_2)
	v_div_scale_f32 v0, null, v1, v1, 1.0
	v_div_scale_f32 v5, vcc_lo, 1.0, v1, 1.0
	v_rcp_f32_e32 v3, v0
	v_nop
	s_delay_alu instid0(TRANS32_DEP_1) | instskip(NEXT) | instid1(VALU_DEP_1)
	v_fma_f32 v4, -v0, v3, 1.0
	v_fmac_f32_e32 v3, v4, v3
	s_delay_alu instid0(VALU_DEP_1) | instskip(NEXT) | instid1(VALU_DEP_1)
	v_mul_f32_e32 v4, v5, v3
	v_fma_f32 v6, -v0, v4, v5
	s_delay_alu instid0(VALU_DEP_1) | instskip(NEXT) | instid1(VALU_DEP_1)
	v_fmac_f32_e32 v4, v6, v3
	v_fma_f32 v0, -v0, v4, v5
	s_delay_alu instid0(VALU_DEP_1) | instskip(NEXT) | instid1(VALU_DEP_1)
	v_div_fmas_f32 v0, v0, v3, v4
	v_div_fixup_f32 v0, v0, v1, 1.0
	s_delay_alu instid0(VALU_DEP_1)
	v_mul_f32_e32 v2, v2, v0
	v_xor_b32_e32 v3, 0x80000000, v0
                                        ; implicit-def: $vgpr0_vgpr1
.LBB87_194:
	s_and_not1_saveexec_b32 s1, s1
	s_cbranch_execz .LBB87_196
; %bb.195:
	v_div_scale_f32 v2, null, v0, v0, v1
	v_div_scale_f32 v5, vcc_lo, v1, v0, v1
	s_delay_alu instid0(VALU_DEP_2) | instskip(SKIP_1) | instid1(TRANS32_DEP_1)
	v_rcp_f32_e32 v3, v2
	v_nop
	v_fma_f32 v4, -v2, v3, 1.0
	s_delay_alu instid0(VALU_DEP_1) | instskip(NEXT) | instid1(VALU_DEP_1)
	v_fmac_f32_e32 v3, v4, v3
	v_mul_f32_e32 v4, v5, v3
	s_delay_alu instid0(VALU_DEP_1) | instskip(NEXT) | instid1(VALU_DEP_1)
	v_fma_f32 v6, -v2, v4, v5
	v_fmac_f32_e32 v4, v6, v3
	s_delay_alu instid0(VALU_DEP_1) | instskip(NEXT) | instid1(VALU_DEP_1)
	v_fma_f32 v2, -v2, v4, v5
	v_div_fmas_f32 v2, v2, v3, v4
	s_delay_alu instid0(VALU_DEP_1) | instskip(NEXT) | instid1(VALU_DEP_1)
	v_div_fixup_f32 v3, v2, v0, v1
	v_fmac_f32_e32 v0, v1, v3
	s_delay_alu instid0(VALU_DEP_1) | instskip(NEXT) | instid1(VALU_DEP_1)
	v_div_scale_f32 v1, null, v0, v0, 1.0
	v_rcp_f32_e32 v2, v1
	v_nop
	s_delay_alu instid0(TRANS32_DEP_1) | instskip(NEXT) | instid1(VALU_DEP_1)
	v_fma_f32 v4, -v1, v2, 1.0
	v_fmac_f32_e32 v2, v4, v2
	v_div_scale_f32 v4, vcc_lo, 1.0, v0, 1.0
	s_delay_alu instid0(VALU_DEP_1) | instskip(NEXT) | instid1(VALU_DEP_1)
	v_mul_f32_e32 v5, v4, v2
	v_fma_f32 v6, -v1, v5, v4
	s_delay_alu instid0(VALU_DEP_1) | instskip(NEXT) | instid1(VALU_DEP_1)
	v_fmac_f32_e32 v5, v6, v2
	v_fma_f32 v1, -v1, v5, v4
	s_delay_alu instid0(VALU_DEP_1) | instskip(NEXT) | instid1(VALU_DEP_1)
	v_div_fmas_f32 v1, v1, v2, v5
	v_div_fixup_f32 v2, v1, v0, 1.0
	s_delay_alu instid0(VALU_DEP_1)
	v_mul_f32_e64 v3, v3, -v2
.LBB87_196:
	s_or_b32 exec_lo, exec_lo, s1
	ds_store_b64 v31, v[2:3]
.LBB87_197:
	s_or_b32 exec_lo, exec_lo, s2
	s_wait_dscnt 0x0
	s_barrier_signal -1
	s_barrier_wait -1
	ds_load_b64 v[220:221], v31
	s_mov_b32 s1, exec_lo
	v_cmpx_lt_u32_e32 21, v30
	s_cbranch_execz .LBB87_199
; %bb.198:
	ds_load_2addr_b64 v[4:7], v12 offset0:22 offset1:23
	s_wait_dscnt 0x1
	v_pk_mul_f32 v[2:3], v[220:221], v[82:83] op_sel:[1,1] op_sel_hi:[0,1]
	s_delay_alu instid0(VALU_DEP_1) | instskip(SKIP_1) | instid1(VALU_DEP_1)
	v_pk_fma_f32 v[0:1], v[220:221], v[82:83], v[2:3] op_sel_hi:[1,0,1] neg_lo:[0,0,1] neg_hi:[0,0,1]
	v_pk_fma_f32 v[2:3], v[220:221], v[82:83], v[2:3] op_sel_hi:[1,0,1]
	v_dual_mov_b32 v82, v0 :: v_dual_mov_b32 v83, v3
	s_wait_dscnt 0x0
	s_delay_alu instid0(VALU_DEP_2) | instskip(NEXT) | instid1(VALU_DEP_1)
	v_pk_mul_f32 v[8:9], v[4:5], v[2:3] op_sel:[0,1]
	v_pk_fma_f32 v[18:19], v[4:5], v[0:1], v[8:9] op_sel:[0,0,1] op_sel_hi:[1,1,0] neg_lo:[0,0,1] neg_hi:[0,0,1]
	v_pk_fma_f32 v[4:5], v[4:5], v[0:1], v[8:9] op_sel:[0,0,1] op_sel_hi:[1,0,0]
	s_delay_alu instid0(VALU_DEP_1) | instskip(SKIP_1) | instid1(VALU_DEP_1)
	v_mov_b32_e32 v19, v5
	v_pk_mul_f32 v[4:5], v[6:7], v[2:3] op_sel:[0,1]
	v_pk_fma_f32 v[8:9], v[6:7], v[0:1], v[4:5] op_sel:[0,0,1] op_sel_hi:[1,1,0] neg_lo:[0,0,1] neg_hi:[0,0,1]
	v_pk_fma_f32 v[4:5], v[6:7], v[0:1], v[4:5] op_sel:[0,0,1] op_sel_hi:[1,0,0]
	s_delay_alu instid0(VALU_DEP_1)
	v_mov_b32_e32 v9, v5
	ds_load_2addr_b64 v[4:7], v12 offset0:24 offset1:25
	v_pk_add_f32 v[84:85], v[84:85], v[18:19] neg_lo:[0,1] neg_hi:[0,1]
	v_pk_add_f32 v[80:81], v[80:81], v[8:9] neg_lo:[0,1] neg_hi:[0,1]
	s_wait_dscnt 0x0
	v_pk_mul_f32 v[8:9], v[4:5], v[2:3] op_sel:[0,1]
	s_delay_alu instid0(VALU_DEP_1) | instskip(SKIP_2) | instid1(VALU_DEP_2)
	v_pk_fma_f32 v[18:19], v[4:5], v[0:1], v[8:9] op_sel:[0,0,1] op_sel_hi:[1,1,0] neg_lo:[0,0,1] neg_hi:[0,0,1]
	v_pk_fma_f32 v[4:5], v[4:5], v[0:1], v[8:9] op_sel:[0,0,1] op_sel_hi:[1,0,0]
	v_dual_mul_f32 v8, v7, v3 :: v_dual_mov_b32 v4, v7
	v_dual_mov_b32 v19, v5 :: v_dual_mov_b32 v5, v6
	s_delay_alu instid0(VALU_DEP_2) | instskip(SKIP_1) | instid1(VALU_DEP_3)
	v_pk_fma_f32 v[8:9], v[6:7], v[82:83], v[8:9] op_sel_hi:[1,1,0] neg_lo:[0,0,1] neg_hi:[0,0,1]
	v_mul_f32_e32 v6, v7, v0
	v_pk_add_f32 v[110:111], v[110:111], v[18:19] neg_lo:[0,1] neg_hi:[0,1]
	s_delay_alu instid0(VALU_DEP_2) | instskip(NEXT) | instid1(VALU_DEP_1)
	v_pk_fma_f32 v[4:5], v[4:5], v[82:83], v[6:7] op_sel_hi:[1,1,0]
	v_mov_b32_e32 v9, v5
	ds_load_2addr_b64 v[4:7], v12 offset0:26 offset1:27
	v_pk_add_f32 v[106:107], v[106:107], v[8:9] neg_lo:[0,1] neg_hi:[0,1]
	s_wait_dscnt 0x0
	v_pk_mul_f32 v[8:9], v[4:5], v[2:3] op_sel:[0,1]
	s_delay_alu instid0(VALU_DEP_1) | instskip(SKIP_1) | instid1(VALU_DEP_1)
	v_pk_fma_f32 v[18:19], v[4:5], v[0:1], v[8:9] op_sel:[0,0,1] op_sel_hi:[1,1,0] neg_lo:[0,0,1] neg_hi:[0,0,1]
	v_pk_fma_f32 v[4:5], v[4:5], v[0:1], v[8:9] op_sel:[0,0,1] op_sel_hi:[1,0,0]
	v_mov_b32_e32 v19, v5
	v_pk_mul_f32 v[4:5], v[6:7], v[2:3] op_sel:[0,1]
	s_delay_alu instid0(VALU_DEP_1) | instskip(SKIP_1) | instid1(VALU_DEP_1)
	v_pk_fma_f32 v[8:9], v[6:7], v[0:1], v[4:5] op_sel:[0,0,1] op_sel_hi:[1,1,0] neg_lo:[0,0,1] neg_hi:[0,0,1]
	v_pk_fma_f32 v[4:5], v[6:7], v[0:1], v[4:5] op_sel:[0,0,1] op_sel_hi:[1,0,0]
	v_mov_b32_e32 v9, v5
	ds_load_2addr_b64 v[4:7], v12 offset0:28 offset1:29
	v_pk_add_f32 v[108:109], v[108:109], v[18:19] neg_lo:[0,1] neg_hi:[0,1]
	v_pk_add_f32 v[104:105], v[104:105], v[8:9] neg_lo:[0,1] neg_hi:[0,1]
	s_wait_dscnt 0x0
	v_pk_mul_f32 v[8:9], v[4:5], v[2:3] op_sel:[0,1]
	s_delay_alu instid0(VALU_DEP_1) | instskip(SKIP_1) | instid1(VALU_DEP_1)
	v_pk_fma_f32 v[18:19], v[4:5], v[0:1], v[8:9] op_sel:[0,0,1] op_sel_hi:[1,1,0] neg_lo:[0,0,1] neg_hi:[0,0,1]
	v_pk_fma_f32 v[4:5], v[4:5], v[0:1], v[8:9] op_sel:[0,0,1] op_sel_hi:[1,0,0]
	v_mov_b32_e32 v19, v5
	v_pk_mul_f32 v[4:5], v[6:7], v[2:3] op_sel:[0,1]
	s_delay_alu instid0(VALU_DEP_1) | instskip(SKIP_1) | instid1(VALU_DEP_1)
	v_pk_fma_f32 v[8:9], v[6:7], v[0:1], v[4:5] op_sel:[0,0,1] op_sel_hi:[1,1,0] neg_lo:[0,0,1] neg_hi:[0,0,1]
	v_pk_fma_f32 v[4:5], v[6:7], v[0:1], v[4:5] op_sel:[0,0,1] op_sel_hi:[1,0,0]
	v_mov_b32_e32 v9, v5
	ds_load_2addr_b64 v[4:7], v12 offset0:30 offset1:31
	v_pk_add_f32 v[128:129], v[128:129], v[18:19] neg_lo:[0,1] neg_hi:[0,1]
	v_pk_add_f32 v[124:125], v[124:125], v[8:9] neg_lo:[0,1] neg_hi:[0,1]
	s_wait_dscnt 0x0
	v_dual_mul_f32 v8, v5, v3 :: v_dual_mul_f32 v18, v5, v0
	s_delay_alu instid0(VALU_DEP_1) | instskip(NEXT) | instid1(VALU_DEP_2)
	v_pk_fma_f32 v[8:9], v[4:5], v[82:83], v[8:9] op_sel_hi:[1,1,0] neg_lo:[0,0,1] neg_hi:[0,0,1]
	v_pk_fma_f32 v[4:5], v[4:5], v[82:83], v[18:19] op_sel:[1,0,0] op_sel_hi:[0,1,0]
	s_delay_alu instid0(VALU_DEP_1) | instskip(SKIP_1) | instid1(VALU_DEP_2)
	v_mov_b32_e32 v9, v5
	v_pk_mul_f32 v[4:5], v[6:7], v[2:3] op_sel:[0,1]
	v_pk_add_f32 v[126:127], v[126:127], v[8:9] neg_lo:[0,1] neg_hi:[0,1]
	s_delay_alu instid0(VALU_DEP_2) | instskip(SKIP_1) | instid1(VALU_DEP_1)
	v_pk_fma_f32 v[8:9], v[6:7], v[0:1], v[4:5] op_sel:[0,0,1] op_sel_hi:[1,1,0] neg_lo:[0,0,1] neg_hi:[0,0,1]
	v_pk_fma_f32 v[4:5], v[6:7], v[0:1], v[4:5] op_sel:[0,0,1] op_sel_hi:[1,0,0]
	v_mov_b32_e32 v9, v5
	ds_load_2addr_b64 v[4:7], v12 offset0:32 offset1:33
	v_pk_add_f32 v[122:123], v[122:123], v[8:9] neg_lo:[0,1] neg_hi:[0,1]
	s_wait_dscnt 0x0
	v_pk_mul_f32 v[8:9], v[4:5], v[2:3] op_sel:[0,1]
	s_delay_alu instid0(VALU_DEP_1) | instskip(SKIP_1) | instid1(VALU_DEP_1)
	v_pk_fma_f32 v[18:19], v[4:5], v[0:1], v[8:9] op_sel:[0,0,1] op_sel_hi:[1,1,0] neg_lo:[0,0,1] neg_hi:[0,0,1]
	v_pk_fma_f32 v[4:5], v[4:5], v[0:1], v[8:9] op_sel:[0,0,1] op_sel_hi:[1,0,0]
	v_mov_b32_e32 v19, v5
	v_pk_mul_f32 v[4:5], v[6:7], v[2:3] op_sel:[0,1]
	s_delay_alu instid0(VALU_DEP_2) | instskip(NEXT) | instid1(VALU_DEP_2)
	v_pk_add_f32 v[148:149], v[148:149], v[18:19] neg_lo:[0,1] neg_hi:[0,1]
	v_pk_fma_f32 v[8:9], v[6:7], v[0:1], v[4:5] op_sel:[0,0,1] op_sel_hi:[1,1,0] neg_lo:[0,0,1] neg_hi:[0,0,1]
	v_pk_fma_f32 v[4:5], v[6:7], v[0:1], v[4:5] op_sel:[0,0,1] op_sel_hi:[1,0,0]
	s_delay_alu instid0(VALU_DEP_1) | instskip(SKIP_4) | instid1(VALU_DEP_1)
	v_mov_b32_e32 v9, v5
	ds_load_2addr_b64 v[4:7], v12 offset0:34 offset1:35
	v_pk_add_f32 v[144:145], v[144:145], v[8:9] neg_lo:[0,1] neg_hi:[0,1]
	s_wait_dscnt 0x0
	v_pk_mul_f32 v[8:9], v[4:5], v[2:3] op_sel:[0,1]
	v_pk_fma_f32 v[18:19], v[4:5], v[0:1], v[8:9] op_sel:[0,0,1] op_sel_hi:[1,1,0] neg_lo:[0,0,1] neg_hi:[0,0,1]
	v_pk_fma_f32 v[4:5], v[4:5], v[0:1], v[8:9] op_sel:[0,0,1] op_sel_hi:[1,0,0]
	v_dual_mul_f32 v8, v7, v3 :: v_dual_mov_b32 v4, v7
	s_delay_alu instid0(VALU_DEP_2) | instskip(NEXT) | instid1(VALU_DEP_2)
	v_dual_mov_b32 v19, v5 :: v_dual_mov_b32 v5, v6
	v_pk_fma_f32 v[8:9], v[6:7], v[82:83], v[8:9] op_sel_hi:[1,1,0] neg_lo:[0,0,1] neg_hi:[0,0,1]
	v_mul_f32_e32 v6, v7, v0
	s_delay_alu instid0(VALU_DEP_3) | instskip(NEXT) | instid1(VALU_DEP_2)
	v_pk_add_f32 v[146:147], v[146:147], v[18:19] neg_lo:[0,1] neg_hi:[0,1]
	v_pk_fma_f32 v[4:5], v[4:5], v[82:83], v[6:7] op_sel_hi:[1,1,0]
	s_delay_alu instid0(VALU_DEP_1) | instskip(SKIP_4) | instid1(VALU_DEP_1)
	v_mov_b32_e32 v9, v5
	ds_load_2addr_b64 v[4:7], v12 offset0:36 offset1:37
	v_pk_add_f32 v[142:143], v[142:143], v[8:9] neg_lo:[0,1] neg_hi:[0,1]
	s_wait_dscnt 0x0
	v_pk_mul_f32 v[8:9], v[4:5], v[2:3] op_sel:[0,1]
	v_pk_fma_f32 v[18:19], v[4:5], v[0:1], v[8:9] op_sel:[0,0,1] op_sel_hi:[1,1,0] neg_lo:[0,0,1] neg_hi:[0,0,1]
	v_pk_fma_f32 v[4:5], v[4:5], v[0:1], v[8:9] op_sel:[0,0,1] op_sel_hi:[1,0,0]
	s_delay_alu instid0(VALU_DEP_1) | instskip(SKIP_1) | instid1(VALU_DEP_1)
	v_mov_b32_e32 v19, v5
	v_pk_mul_f32 v[4:5], v[6:7], v[2:3] op_sel:[0,1]
	v_pk_fma_f32 v[8:9], v[6:7], v[0:1], v[4:5] op_sel:[0,0,1] op_sel_hi:[1,1,0] neg_lo:[0,0,1] neg_hi:[0,0,1]
	v_pk_fma_f32 v[4:5], v[6:7], v[0:1], v[4:5] op_sel:[0,0,1] op_sel_hi:[1,0,0]
	s_delay_alu instid0(VALU_DEP_1)
	v_mov_b32_e32 v9, v5
	ds_load_2addr_b64 v[4:7], v12 offset0:38 offset1:39
	v_pk_add_f32 v[170:171], v[170:171], v[18:19] neg_lo:[0,1] neg_hi:[0,1]
	v_pk_add_f32 v[164:165], v[164:165], v[8:9] neg_lo:[0,1] neg_hi:[0,1]
	s_wait_dscnt 0x0
	v_pk_mul_f32 v[8:9], v[4:5], v[2:3] op_sel:[0,1]
	s_delay_alu instid0(VALU_DEP_1) | instskip(SKIP_1) | instid1(VALU_DEP_1)
	v_pk_fma_f32 v[18:19], v[4:5], v[0:1], v[8:9] op_sel:[0,0,1] op_sel_hi:[1,1,0] neg_lo:[0,0,1] neg_hi:[0,0,1]
	v_pk_fma_f32 v[4:5], v[4:5], v[0:1], v[8:9] op_sel:[0,0,1] op_sel_hi:[1,0,0]
	v_mov_b32_e32 v19, v5
	v_pk_mul_f32 v[4:5], v[6:7], v[2:3] op_sel:[0,1]
	s_delay_alu instid0(VALU_DEP_1) | instskip(SKIP_1) | instid1(VALU_DEP_1)
	v_pk_fma_f32 v[8:9], v[6:7], v[0:1], v[4:5] op_sel:[0,0,1] op_sel_hi:[1,1,0] neg_lo:[0,0,1] neg_hi:[0,0,1]
	v_pk_fma_f32 v[4:5], v[6:7], v[0:1], v[4:5] op_sel:[0,0,1] op_sel_hi:[1,0,0]
	v_mov_b32_e32 v9, v5
	ds_load_2addr_b64 v[4:7], v12 offset0:40 offset1:41
	v_pk_add_f32 v[168:169], v[168:169], v[18:19] neg_lo:[0,1] neg_hi:[0,1]
	v_pk_add_f32 v[162:163], v[162:163], v[8:9] neg_lo:[0,1] neg_hi:[0,1]
	s_wait_dscnt 0x0
	v_dual_mul_f32 v8, v5, v3 :: v_dual_mul_f32 v18, v5, v0
	s_delay_alu instid0(VALU_DEP_1) | instskip(NEXT) | instid1(VALU_DEP_2)
	v_pk_fma_f32 v[8:9], v[4:5], v[82:83], v[8:9] op_sel_hi:[1,1,0] neg_lo:[0,0,1] neg_hi:[0,0,1]
	v_pk_fma_f32 v[4:5], v[4:5], v[82:83], v[18:19] op_sel:[1,0,0] op_sel_hi:[0,1,0]
	s_delay_alu instid0(VALU_DEP_1) | instskip(SKIP_1) | instid1(VALU_DEP_2)
	v_mov_b32_e32 v9, v5
	v_pk_mul_f32 v[4:5], v[6:7], v[2:3] op_sel:[0,1]
	v_pk_add_f32 v[166:167], v[166:167], v[8:9] neg_lo:[0,1] neg_hi:[0,1]
	s_delay_alu instid0(VALU_DEP_2) | instskip(SKIP_1) | instid1(VALU_DEP_1)
	v_pk_fma_f32 v[8:9], v[6:7], v[0:1], v[4:5] op_sel:[0,0,1] op_sel_hi:[1,1,0] neg_lo:[0,0,1] neg_hi:[0,0,1]
	v_pk_fma_f32 v[4:5], v[6:7], v[0:1], v[4:5] op_sel:[0,0,1] op_sel_hi:[1,0,0]
	v_mov_b32_e32 v9, v5
	ds_load_2addr_b64 v[4:7], v12 offset0:42 offset1:43
	v_pk_add_f32 v[160:161], v[160:161], v[8:9] neg_lo:[0,1] neg_hi:[0,1]
	s_wait_dscnt 0x0
	v_pk_mul_f32 v[8:9], v[4:5], v[2:3] op_sel:[0,1]
	v_pk_mul_f32 v[2:3], v[6:7], v[2:3] op_sel:[0,1]
	s_delay_alu instid0(VALU_DEP_2) | instskip(SKIP_1) | instid1(VALU_DEP_1)
	v_pk_fma_f32 v[18:19], v[4:5], v[0:1], v[8:9] op_sel:[0,0,1] op_sel_hi:[1,1,0] neg_lo:[0,0,1] neg_hi:[0,0,1]
	v_pk_fma_f32 v[4:5], v[4:5], v[0:1], v[8:9] op_sel:[0,0,1] op_sel_hi:[1,0,0]
	v_mov_b32_e32 v19, v5
	s_delay_alu instid0(VALU_DEP_4) | instskip(SKIP_1) | instid1(VALU_DEP_3)
	v_pk_fma_f32 v[4:5], v[6:7], v[0:1], v[2:3] op_sel:[0,0,1] op_sel_hi:[1,1,0] neg_lo:[0,0,1] neg_hi:[0,0,1]
	v_pk_fma_f32 v[0:1], v[6:7], v[0:1], v[2:3] op_sel:[0,0,1] op_sel_hi:[1,0,0]
	v_pk_add_f32 v[172:173], v[172:173], v[18:19] neg_lo:[0,1] neg_hi:[0,1]
	s_delay_alu instid0(VALU_DEP_2) | instskip(NEXT) | instid1(VALU_DEP_1)
	v_mov_b32_e32 v5, v1
	v_pk_add_f32 v[176:177], v[176:177], v[4:5] neg_lo:[0,1] neg_hi:[0,1]
.LBB87_199:
	s_or_b32 exec_lo, exec_lo, s1
	s_delay_alu instid0(SALU_CYCLE_1)
	s_mov_b32 s2, exec_lo
	s_wait_dscnt 0x0
	s_barrier_signal -1
	s_barrier_wait -1
	v_cmpx_eq_u32_e32 22, v30
	s_cbranch_execz .LBB87_206
; %bb.200:
	ds_store_b64 v31, v[84:85]
	ds_store_2addr_b64 v12, v[80:81], v[110:111] offset0:23 offset1:24
	ds_store_2addr_b64 v12, v[106:107], v[108:109] offset0:25 offset1:26
	;; [unrolled: 1-line block ×10, first 2 shown]
	ds_store_b64 v12, v[176:177] offset:344
	ds_load_b64 v[0:1], v31
	s_wait_dscnt 0x0
	v_cmp_neq_f32_e32 vcc_lo, 0, v0
	v_cmp_neq_f32_e64 s1, 0, v1
	s_or_b32 s1, vcc_lo, s1
	s_delay_alu instid0(SALU_CYCLE_1)
	s_and_b32 exec_lo, exec_lo, s1
	s_cbranch_execz .LBB87_206
; %bb.201:
	v_cmp_ngt_f32_e64 s1, |v0|, |v1|
                                        ; implicit-def: $vgpr2_vgpr3
	s_and_saveexec_b32 s4, s1
	s_delay_alu instid0(SALU_CYCLE_1)
	s_xor_b32 s1, exec_lo, s4
	s_cbranch_execz .LBB87_203
; %bb.202:
	v_div_scale_f32 v2, null, v1, v1, v0
	v_div_scale_f32 v5, vcc_lo, v0, v1, v0
	s_delay_alu instid0(VALU_DEP_2) | instskip(SKIP_1) | instid1(TRANS32_DEP_1)
	v_rcp_f32_e32 v3, v2
	v_nop
	v_fma_f32 v4, -v2, v3, 1.0
	s_delay_alu instid0(VALU_DEP_1) | instskip(NEXT) | instid1(VALU_DEP_1)
	v_fmac_f32_e32 v3, v4, v3
	v_mul_f32_e32 v4, v5, v3
	s_delay_alu instid0(VALU_DEP_1) | instskip(NEXT) | instid1(VALU_DEP_1)
	v_fma_f32 v6, -v2, v4, v5
	v_fmac_f32_e32 v4, v6, v3
	s_delay_alu instid0(VALU_DEP_1) | instskip(NEXT) | instid1(VALU_DEP_1)
	v_fma_f32 v2, -v2, v4, v5
	v_div_fmas_f32 v2, v2, v3, v4
	s_delay_alu instid0(VALU_DEP_1) | instskip(NEXT) | instid1(VALU_DEP_1)
	v_div_fixup_f32 v2, v2, v1, v0
	v_fmac_f32_e32 v1, v0, v2
	s_delay_alu instid0(VALU_DEP_1) | instskip(SKIP_1) | instid1(VALU_DEP_2)
	v_div_scale_f32 v0, null, v1, v1, 1.0
	v_div_scale_f32 v5, vcc_lo, 1.0, v1, 1.0
	v_rcp_f32_e32 v3, v0
	v_nop
	s_delay_alu instid0(TRANS32_DEP_1) | instskip(NEXT) | instid1(VALU_DEP_1)
	v_fma_f32 v4, -v0, v3, 1.0
	v_fmac_f32_e32 v3, v4, v3
	s_delay_alu instid0(VALU_DEP_1) | instskip(NEXT) | instid1(VALU_DEP_1)
	v_mul_f32_e32 v4, v5, v3
	v_fma_f32 v6, -v0, v4, v5
	s_delay_alu instid0(VALU_DEP_1) | instskip(NEXT) | instid1(VALU_DEP_1)
	v_fmac_f32_e32 v4, v6, v3
	v_fma_f32 v0, -v0, v4, v5
	s_delay_alu instid0(VALU_DEP_1) | instskip(NEXT) | instid1(VALU_DEP_1)
	v_div_fmas_f32 v0, v0, v3, v4
	v_div_fixup_f32 v0, v0, v1, 1.0
	s_delay_alu instid0(VALU_DEP_1)
	v_mul_f32_e32 v2, v2, v0
	v_xor_b32_e32 v3, 0x80000000, v0
                                        ; implicit-def: $vgpr0_vgpr1
.LBB87_203:
	s_and_not1_saveexec_b32 s1, s1
	s_cbranch_execz .LBB87_205
; %bb.204:
	v_div_scale_f32 v2, null, v0, v0, v1
	v_div_scale_f32 v5, vcc_lo, v1, v0, v1
	s_delay_alu instid0(VALU_DEP_2) | instskip(SKIP_1) | instid1(TRANS32_DEP_1)
	v_rcp_f32_e32 v3, v2
	v_nop
	v_fma_f32 v4, -v2, v3, 1.0
	s_delay_alu instid0(VALU_DEP_1) | instskip(NEXT) | instid1(VALU_DEP_1)
	v_fmac_f32_e32 v3, v4, v3
	v_mul_f32_e32 v4, v5, v3
	s_delay_alu instid0(VALU_DEP_1) | instskip(NEXT) | instid1(VALU_DEP_1)
	v_fma_f32 v6, -v2, v4, v5
	v_fmac_f32_e32 v4, v6, v3
	s_delay_alu instid0(VALU_DEP_1) | instskip(NEXT) | instid1(VALU_DEP_1)
	v_fma_f32 v2, -v2, v4, v5
	v_div_fmas_f32 v2, v2, v3, v4
	s_delay_alu instid0(VALU_DEP_1) | instskip(NEXT) | instid1(VALU_DEP_1)
	v_div_fixup_f32 v3, v2, v0, v1
	v_fmac_f32_e32 v0, v1, v3
	s_delay_alu instid0(VALU_DEP_1) | instskip(NEXT) | instid1(VALU_DEP_1)
	v_div_scale_f32 v1, null, v0, v0, 1.0
	v_rcp_f32_e32 v2, v1
	v_nop
	s_delay_alu instid0(TRANS32_DEP_1) | instskip(NEXT) | instid1(VALU_DEP_1)
	v_fma_f32 v4, -v1, v2, 1.0
	v_fmac_f32_e32 v2, v4, v2
	v_div_scale_f32 v4, vcc_lo, 1.0, v0, 1.0
	s_delay_alu instid0(VALU_DEP_1) | instskip(NEXT) | instid1(VALU_DEP_1)
	v_mul_f32_e32 v5, v4, v2
	v_fma_f32 v6, -v1, v5, v4
	s_delay_alu instid0(VALU_DEP_1) | instskip(NEXT) | instid1(VALU_DEP_1)
	v_fmac_f32_e32 v5, v6, v2
	v_fma_f32 v1, -v1, v5, v4
	s_delay_alu instid0(VALU_DEP_1) | instskip(NEXT) | instid1(VALU_DEP_1)
	v_div_fmas_f32 v1, v1, v2, v5
	v_div_fixup_f32 v2, v1, v0, 1.0
	s_delay_alu instid0(VALU_DEP_1)
	v_mul_f32_e64 v3, v3, -v2
.LBB87_205:
	s_or_b32 exec_lo, exec_lo, s1
	ds_store_b64 v31, v[2:3]
.LBB87_206:
	s_or_b32 exec_lo, exec_lo, s2
	s_wait_dscnt 0x0
	s_barrier_signal -1
	s_barrier_wait -1
	ds_load_b64 v[222:223], v31
	s_mov_b32 s1, exec_lo
	v_cmpx_lt_u32_e32 22, v30
	s_cbranch_execz .LBB87_208
; %bb.207:
	ds_load_2addr_b64 v[4:7], v12 offset0:23 offset1:24
	s_wait_dscnt 0x1
	v_pk_mul_f32 v[2:3], v[222:223], v[84:85] op_sel:[1,1] op_sel_hi:[0,1]
	s_delay_alu instid0(VALU_DEP_1) | instskip(SKIP_1) | instid1(VALU_DEP_1)
	v_pk_fma_f32 v[0:1], v[222:223], v[84:85], v[2:3] op_sel_hi:[1,0,1] neg_lo:[0,0,1] neg_hi:[0,0,1]
	v_pk_fma_f32 v[2:3], v[222:223], v[84:85], v[2:3] op_sel_hi:[1,0,1]
	v_dual_mov_b32 v84, v0 :: v_dual_mov_b32 v85, v3
	s_wait_dscnt 0x0
	s_delay_alu instid0(VALU_DEP_2) | instskip(NEXT) | instid1(VALU_DEP_1)
	v_pk_mul_f32 v[8:9], v[4:5], v[2:3] op_sel:[0,1]
	v_pk_fma_f32 v[18:19], v[4:5], v[0:1], v[8:9] op_sel:[0,0,1] op_sel_hi:[1,1,0] neg_lo:[0,0,1] neg_hi:[0,0,1]
	v_pk_fma_f32 v[4:5], v[4:5], v[0:1], v[8:9] op_sel:[0,0,1] op_sel_hi:[1,0,0]
	s_delay_alu instid0(VALU_DEP_1) | instskip(SKIP_1) | instid1(VALU_DEP_1)
	v_mov_b32_e32 v19, v5
	v_pk_mul_f32 v[4:5], v[6:7], v[2:3] op_sel:[0,1]
	v_pk_fma_f32 v[8:9], v[6:7], v[0:1], v[4:5] op_sel:[0,0,1] op_sel_hi:[1,1,0] neg_lo:[0,0,1] neg_hi:[0,0,1]
	v_pk_fma_f32 v[4:5], v[6:7], v[0:1], v[4:5] op_sel:[0,0,1] op_sel_hi:[1,0,0]
	s_delay_alu instid0(VALU_DEP_1)
	v_mov_b32_e32 v9, v5
	ds_load_2addr_b64 v[4:7], v12 offset0:25 offset1:26
	v_pk_add_f32 v[80:81], v[80:81], v[18:19] neg_lo:[0,1] neg_hi:[0,1]
	v_pk_add_f32 v[110:111], v[110:111], v[8:9] neg_lo:[0,1] neg_hi:[0,1]
	s_wait_dscnt 0x0
	v_pk_mul_f32 v[8:9], v[4:5], v[2:3] op_sel:[0,1]
	s_delay_alu instid0(VALU_DEP_1) | instskip(SKIP_2) | instid1(VALU_DEP_2)
	v_pk_fma_f32 v[18:19], v[4:5], v[0:1], v[8:9] op_sel:[0,0,1] op_sel_hi:[1,1,0] neg_lo:[0,0,1] neg_hi:[0,0,1]
	v_pk_fma_f32 v[4:5], v[4:5], v[0:1], v[8:9] op_sel:[0,0,1] op_sel_hi:[1,0,0]
	v_dual_mul_f32 v8, v7, v3 :: v_dual_mov_b32 v4, v7
	v_dual_mov_b32 v19, v5 :: v_dual_mov_b32 v5, v6
	s_delay_alu instid0(VALU_DEP_2) | instskip(SKIP_1) | instid1(VALU_DEP_3)
	v_pk_fma_f32 v[8:9], v[6:7], v[84:85], v[8:9] op_sel_hi:[1,1,0] neg_lo:[0,0,1] neg_hi:[0,0,1]
	v_mul_f32_e32 v6, v7, v0
	v_pk_add_f32 v[106:107], v[106:107], v[18:19] neg_lo:[0,1] neg_hi:[0,1]
	s_delay_alu instid0(VALU_DEP_2) | instskip(NEXT) | instid1(VALU_DEP_1)
	v_pk_fma_f32 v[4:5], v[4:5], v[84:85], v[6:7] op_sel_hi:[1,1,0]
	v_mov_b32_e32 v9, v5
	ds_load_2addr_b64 v[4:7], v12 offset0:27 offset1:28
	v_pk_add_f32 v[108:109], v[108:109], v[8:9] neg_lo:[0,1] neg_hi:[0,1]
	s_wait_dscnt 0x0
	v_pk_mul_f32 v[8:9], v[4:5], v[2:3] op_sel:[0,1]
	s_delay_alu instid0(VALU_DEP_1) | instskip(SKIP_1) | instid1(VALU_DEP_1)
	v_pk_fma_f32 v[18:19], v[4:5], v[0:1], v[8:9] op_sel:[0,0,1] op_sel_hi:[1,1,0] neg_lo:[0,0,1] neg_hi:[0,0,1]
	v_pk_fma_f32 v[4:5], v[4:5], v[0:1], v[8:9] op_sel:[0,0,1] op_sel_hi:[1,0,0]
	v_mov_b32_e32 v19, v5
	v_pk_mul_f32 v[4:5], v[6:7], v[2:3] op_sel:[0,1]
	s_delay_alu instid0(VALU_DEP_1) | instskip(SKIP_1) | instid1(VALU_DEP_1)
	v_pk_fma_f32 v[8:9], v[6:7], v[0:1], v[4:5] op_sel:[0,0,1] op_sel_hi:[1,1,0] neg_lo:[0,0,1] neg_hi:[0,0,1]
	v_pk_fma_f32 v[4:5], v[6:7], v[0:1], v[4:5] op_sel:[0,0,1] op_sel_hi:[1,0,0]
	v_mov_b32_e32 v9, v5
	ds_load_2addr_b64 v[4:7], v12 offset0:29 offset1:30
	v_pk_add_f32 v[104:105], v[104:105], v[18:19] neg_lo:[0,1] neg_hi:[0,1]
	v_pk_add_f32 v[128:129], v[128:129], v[8:9] neg_lo:[0,1] neg_hi:[0,1]
	s_wait_dscnt 0x0
	v_pk_mul_f32 v[8:9], v[4:5], v[2:3] op_sel:[0,1]
	s_delay_alu instid0(VALU_DEP_1) | instskip(SKIP_1) | instid1(VALU_DEP_1)
	v_pk_fma_f32 v[18:19], v[4:5], v[0:1], v[8:9] op_sel:[0,0,1] op_sel_hi:[1,1,0] neg_lo:[0,0,1] neg_hi:[0,0,1]
	v_pk_fma_f32 v[4:5], v[4:5], v[0:1], v[8:9] op_sel:[0,0,1] op_sel_hi:[1,0,0]
	v_mov_b32_e32 v19, v5
	v_pk_mul_f32 v[4:5], v[6:7], v[2:3] op_sel:[0,1]
	s_delay_alu instid0(VALU_DEP_1) | instskip(SKIP_1) | instid1(VALU_DEP_1)
	v_pk_fma_f32 v[8:9], v[6:7], v[0:1], v[4:5] op_sel:[0,0,1] op_sel_hi:[1,1,0] neg_lo:[0,0,1] neg_hi:[0,0,1]
	v_pk_fma_f32 v[4:5], v[6:7], v[0:1], v[4:5] op_sel:[0,0,1] op_sel_hi:[1,0,0]
	v_mov_b32_e32 v9, v5
	ds_load_2addr_b64 v[4:7], v12 offset0:31 offset1:32
	v_pk_add_f32 v[124:125], v[124:125], v[18:19] neg_lo:[0,1] neg_hi:[0,1]
	v_pk_add_f32 v[126:127], v[126:127], v[8:9] neg_lo:[0,1] neg_hi:[0,1]
	s_wait_dscnt 0x0
	v_dual_mul_f32 v8, v5, v3 :: v_dual_mul_f32 v18, v5, v0
	s_delay_alu instid0(VALU_DEP_1) | instskip(NEXT) | instid1(VALU_DEP_2)
	v_pk_fma_f32 v[8:9], v[4:5], v[84:85], v[8:9] op_sel_hi:[1,1,0] neg_lo:[0,0,1] neg_hi:[0,0,1]
	v_pk_fma_f32 v[4:5], v[4:5], v[84:85], v[18:19] op_sel:[1,0,0] op_sel_hi:[0,1,0]
	s_delay_alu instid0(VALU_DEP_1) | instskip(SKIP_1) | instid1(VALU_DEP_2)
	v_mov_b32_e32 v9, v5
	v_pk_mul_f32 v[4:5], v[6:7], v[2:3] op_sel:[0,1]
	v_pk_add_f32 v[122:123], v[122:123], v[8:9] neg_lo:[0,1] neg_hi:[0,1]
	s_delay_alu instid0(VALU_DEP_2) | instskip(SKIP_1) | instid1(VALU_DEP_1)
	v_pk_fma_f32 v[8:9], v[6:7], v[0:1], v[4:5] op_sel:[0,0,1] op_sel_hi:[1,1,0] neg_lo:[0,0,1] neg_hi:[0,0,1]
	v_pk_fma_f32 v[4:5], v[6:7], v[0:1], v[4:5] op_sel:[0,0,1] op_sel_hi:[1,0,0]
	v_mov_b32_e32 v9, v5
	ds_load_2addr_b64 v[4:7], v12 offset0:33 offset1:34
	v_pk_add_f32 v[148:149], v[148:149], v[8:9] neg_lo:[0,1] neg_hi:[0,1]
	s_wait_dscnt 0x0
	v_pk_mul_f32 v[8:9], v[4:5], v[2:3] op_sel:[0,1]
	s_delay_alu instid0(VALU_DEP_1) | instskip(SKIP_1) | instid1(VALU_DEP_1)
	v_pk_fma_f32 v[18:19], v[4:5], v[0:1], v[8:9] op_sel:[0,0,1] op_sel_hi:[1,1,0] neg_lo:[0,0,1] neg_hi:[0,0,1]
	v_pk_fma_f32 v[4:5], v[4:5], v[0:1], v[8:9] op_sel:[0,0,1] op_sel_hi:[1,0,0]
	v_mov_b32_e32 v19, v5
	v_pk_mul_f32 v[4:5], v[6:7], v[2:3] op_sel:[0,1]
	s_delay_alu instid0(VALU_DEP_2) | instskip(NEXT) | instid1(VALU_DEP_2)
	v_pk_add_f32 v[144:145], v[144:145], v[18:19] neg_lo:[0,1] neg_hi:[0,1]
	v_pk_fma_f32 v[8:9], v[6:7], v[0:1], v[4:5] op_sel:[0,0,1] op_sel_hi:[1,1,0] neg_lo:[0,0,1] neg_hi:[0,0,1]
	v_pk_fma_f32 v[4:5], v[6:7], v[0:1], v[4:5] op_sel:[0,0,1] op_sel_hi:[1,0,0]
	s_delay_alu instid0(VALU_DEP_1) | instskip(SKIP_4) | instid1(VALU_DEP_1)
	v_mov_b32_e32 v9, v5
	ds_load_2addr_b64 v[4:7], v12 offset0:35 offset1:36
	v_pk_add_f32 v[146:147], v[146:147], v[8:9] neg_lo:[0,1] neg_hi:[0,1]
	s_wait_dscnt 0x0
	v_pk_mul_f32 v[8:9], v[4:5], v[2:3] op_sel:[0,1]
	v_pk_fma_f32 v[18:19], v[4:5], v[0:1], v[8:9] op_sel:[0,0,1] op_sel_hi:[1,1,0] neg_lo:[0,0,1] neg_hi:[0,0,1]
	v_pk_fma_f32 v[4:5], v[4:5], v[0:1], v[8:9] op_sel:[0,0,1] op_sel_hi:[1,0,0]
	v_dual_mul_f32 v8, v7, v3 :: v_dual_mov_b32 v4, v7
	s_delay_alu instid0(VALU_DEP_2) | instskip(NEXT) | instid1(VALU_DEP_2)
	v_dual_mov_b32 v19, v5 :: v_dual_mov_b32 v5, v6
	v_pk_fma_f32 v[8:9], v[6:7], v[84:85], v[8:9] op_sel_hi:[1,1,0] neg_lo:[0,0,1] neg_hi:[0,0,1]
	v_mul_f32_e32 v6, v7, v0
	s_delay_alu instid0(VALU_DEP_3) | instskip(NEXT) | instid1(VALU_DEP_2)
	v_pk_add_f32 v[142:143], v[142:143], v[18:19] neg_lo:[0,1] neg_hi:[0,1]
	v_pk_fma_f32 v[4:5], v[4:5], v[84:85], v[6:7] op_sel_hi:[1,1,0]
	s_delay_alu instid0(VALU_DEP_1) | instskip(SKIP_4) | instid1(VALU_DEP_1)
	v_mov_b32_e32 v9, v5
	ds_load_2addr_b64 v[4:7], v12 offset0:37 offset1:38
	v_pk_add_f32 v[170:171], v[170:171], v[8:9] neg_lo:[0,1] neg_hi:[0,1]
	s_wait_dscnt 0x0
	v_pk_mul_f32 v[8:9], v[4:5], v[2:3] op_sel:[0,1]
	v_pk_fma_f32 v[18:19], v[4:5], v[0:1], v[8:9] op_sel:[0,0,1] op_sel_hi:[1,1,0] neg_lo:[0,0,1] neg_hi:[0,0,1]
	v_pk_fma_f32 v[4:5], v[4:5], v[0:1], v[8:9] op_sel:[0,0,1] op_sel_hi:[1,0,0]
	s_delay_alu instid0(VALU_DEP_1) | instskip(SKIP_1) | instid1(VALU_DEP_1)
	v_mov_b32_e32 v19, v5
	v_pk_mul_f32 v[4:5], v[6:7], v[2:3] op_sel:[0,1]
	v_pk_fma_f32 v[8:9], v[6:7], v[0:1], v[4:5] op_sel:[0,0,1] op_sel_hi:[1,1,0] neg_lo:[0,0,1] neg_hi:[0,0,1]
	v_pk_fma_f32 v[4:5], v[6:7], v[0:1], v[4:5] op_sel:[0,0,1] op_sel_hi:[1,0,0]
	s_delay_alu instid0(VALU_DEP_1)
	v_mov_b32_e32 v9, v5
	ds_load_2addr_b64 v[4:7], v12 offset0:39 offset1:40
	v_pk_add_f32 v[164:165], v[164:165], v[18:19] neg_lo:[0,1] neg_hi:[0,1]
	v_pk_add_f32 v[168:169], v[168:169], v[8:9] neg_lo:[0,1] neg_hi:[0,1]
	s_wait_dscnt 0x0
	v_pk_mul_f32 v[8:9], v[4:5], v[2:3] op_sel:[0,1]
	s_delay_alu instid0(VALU_DEP_1) | instskip(SKIP_1) | instid1(VALU_DEP_1)
	v_pk_fma_f32 v[18:19], v[4:5], v[0:1], v[8:9] op_sel:[0,0,1] op_sel_hi:[1,1,0] neg_lo:[0,0,1] neg_hi:[0,0,1]
	v_pk_fma_f32 v[4:5], v[4:5], v[0:1], v[8:9] op_sel:[0,0,1] op_sel_hi:[1,0,0]
	v_mov_b32_e32 v19, v5
	v_pk_mul_f32 v[4:5], v[6:7], v[2:3] op_sel:[0,1]
	s_delay_alu instid0(VALU_DEP_1) | instskip(SKIP_1) | instid1(VALU_DEP_1)
	v_pk_fma_f32 v[8:9], v[6:7], v[0:1], v[4:5] op_sel:[0,0,1] op_sel_hi:[1,1,0] neg_lo:[0,0,1] neg_hi:[0,0,1]
	v_pk_fma_f32 v[4:5], v[6:7], v[0:1], v[4:5] op_sel:[0,0,1] op_sel_hi:[1,0,0]
	v_mov_b32_e32 v9, v5
	ds_load_2addr_b64 v[4:7], v12 offset0:41 offset1:42
	v_pk_add_f32 v[162:163], v[162:163], v[18:19] neg_lo:[0,1] neg_hi:[0,1]
	v_pk_add_f32 v[166:167], v[166:167], v[8:9] neg_lo:[0,1] neg_hi:[0,1]
	s_wait_dscnt 0x0
	v_dual_mul_f32 v8, v5, v3 :: v_dual_mul_f32 v18, v5, v0
	s_delay_alu instid0(VALU_DEP_1) | instskip(NEXT) | instid1(VALU_DEP_2)
	v_pk_fma_f32 v[8:9], v[4:5], v[84:85], v[8:9] op_sel_hi:[1,1,0] neg_lo:[0,0,1] neg_hi:[0,0,1]
	v_pk_fma_f32 v[4:5], v[4:5], v[84:85], v[18:19] op_sel:[1,0,0] op_sel_hi:[0,1,0]
	s_delay_alu instid0(VALU_DEP_1) | instskip(SKIP_1) | instid1(VALU_DEP_2)
	v_mov_b32_e32 v9, v5
	v_pk_mul_f32 v[4:5], v[6:7], v[2:3] op_sel:[0,1]
	v_pk_add_f32 v[160:161], v[160:161], v[8:9] neg_lo:[0,1] neg_hi:[0,1]
	s_delay_alu instid0(VALU_DEP_2) | instskip(SKIP_1) | instid1(VALU_DEP_1)
	v_pk_fma_f32 v[8:9], v[6:7], v[0:1], v[4:5] op_sel:[0,0,1] op_sel_hi:[1,1,0] neg_lo:[0,0,1] neg_hi:[0,0,1]
	v_pk_fma_f32 v[4:5], v[6:7], v[0:1], v[4:5] op_sel:[0,0,1] op_sel_hi:[1,0,0]
	v_mov_b32_e32 v9, v5
	ds_load_b64 v[4:5], v12 offset:344
	v_pk_add_f32 v[172:173], v[172:173], v[8:9] neg_lo:[0,1] neg_hi:[0,1]
	s_wait_dscnt 0x0
	v_pk_mul_f32 v[2:3], v[4:5], v[2:3] op_sel:[0,1]
	s_delay_alu instid0(VALU_DEP_1) | instskip(SKIP_1) | instid1(VALU_DEP_1)
	v_pk_fma_f32 v[6:7], v[4:5], v[0:1], v[2:3] op_sel:[0,0,1] op_sel_hi:[1,1,0] neg_lo:[0,0,1] neg_hi:[0,0,1]
	v_pk_fma_f32 v[0:1], v[4:5], v[0:1], v[2:3] op_sel:[0,0,1] op_sel_hi:[1,0,0]
	v_mov_b32_e32 v7, v1
	s_delay_alu instid0(VALU_DEP_1)
	v_pk_add_f32 v[176:177], v[176:177], v[6:7] neg_lo:[0,1] neg_hi:[0,1]
.LBB87_208:
	s_or_b32 exec_lo, exec_lo, s1
	s_delay_alu instid0(SALU_CYCLE_1)
	s_mov_b32 s2, exec_lo
	s_wait_dscnt 0x0
	s_barrier_signal -1
	s_barrier_wait -1
	v_cmpx_eq_u32_e32 23, v30
	s_cbranch_execz .LBB87_215
; %bb.209:
	v_dual_mov_b32 v0, v110 :: v_dual_mov_b32 v1, v111
	v_dual_mov_b32 v2, v106 :: v_dual_mov_b32 v3, v107
	;; [unrolled: 1-line block ×8, first 2 shown]
	ds_store_b64 v31, v[80:81]
	ds_store_2addr_b64 v12, v[0:1], v[2:3] offset0:24 offset1:25
	ds_store_2addr_b64 v12, v[4:5], v[6:7] offset0:26 offset1:27
	;; [unrolled: 1-line block ×4, first 2 shown]
	v_dual_mov_b32 v0, v148 :: v_dual_mov_b32 v1, v149
	v_dual_mov_b32 v2, v144 :: v_dual_mov_b32 v3, v145
	;; [unrolled: 1-line block ×11, first 2 shown]
	ds_store_2addr_b64 v12, v[0:1], v[2:3] offset0:32 offset1:33
	ds_store_2addr_b64 v12, v[4:5], v[6:7] offset0:34 offset1:35
	;; [unrolled: 1-line block ×6, first 2 shown]
	ds_load_b64 v[0:1], v31
	s_wait_dscnt 0x0
	v_cmp_neq_f32_e32 vcc_lo, 0, v0
	v_cmp_neq_f32_e64 s1, 0, v1
	s_or_b32 s1, vcc_lo, s1
	s_delay_alu instid0(SALU_CYCLE_1)
	s_and_b32 exec_lo, exec_lo, s1
	s_cbranch_execz .LBB87_215
; %bb.210:
	v_cmp_ngt_f32_e64 s1, |v0|, |v1|
                                        ; implicit-def: $vgpr2_vgpr3
	s_and_saveexec_b32 s4, s1
	s_delay_alu instid0(SALU_CYCLE_1)
	s_xor_b32 s1, exec_lo, s4
	s_cbranch_execz .LBB87_212
; %bb.211:
	v_div_scale_f32 v2, null, v1, v1, v0
	v_div_scale_f32 v5, vcc_lo, v0, v1, v0
	s_delay_alu instid0(VALU_DEP_2) | instskip(SKIP_1) | instid1(TRANS32_DEP_1)
	v_rcp_f32_e32 v3, v2
	v_nop
	v_fma_f32 v4, -v2, v3, 1.0
	s_delay_alu instid0(VALU_DEP_1) | instskip(NEXT) | instid1(VALU_DEP_1)
	v_fmac_f32_e32 v3, v4, v3
	v_mul_f32_e32 v4, v5, v3
	s_delay_alu instid0(VALU_DEP_1) | instskip(NEXT) | instid1(VALU_DEP_1)
	v_fma_f32 v6, -v2, v4, v5
	v_fmac_f32_e32 v4, v6, v3
	s_delay_alu instid0(VALU_DEP_1) | instskip(NEXT) | instid1(VALU_DEP_1)
	v_fma_f32 v2, -v2, v4, v5
	v_div_fmas_f32 v2, v2, v3, v4
	s_delay_alu instid0(VALU_DEP_1) | instskip(NEXT) | instid1(VALU_DEP_1)
	v_div_fixup_f32 v2, v2, v1, v0
	v_fmac_f32_e32 v1, v0, v2
	s_delay_alu instid0(VALU_DEP_1) | instskip(SKIP_1) | instid1(VALU_DEP_2)
	v_div_scale_f32 v0, null, v1, v1, 1.0
	v_div_scale_f32 v5, vcc_lo, 1.0, v1, 1.0
	v_rcp_f32_e32 v3, v0
	v_nop
	s_delay_alu instid0(TRANS32_DEP_1) | instskip(NEXT) | instid1(VALU_DEP_1)
	v_fma_f32 v4, -v0, v3, 1.0
	v_fmac_f32_e32 v3, v4, v3
	s_delay_alu instid0(VALU_DEP_1) | instskip(NEXT) | instid1(VALU_DEP_1)
	v_mul_f32_e32 v4, v5, v3
	v_fma_f32 v6, -v0, v4, v5
	s_delay_alu instid0(VALU_DEP_1) | instskip(NEXT) | instid1(VALU_DEP_1)
	v_fmac_f32_e32 v4, v6, v3
	v_fma_f32 v0, -v0, v4, v5
	s_delay_alu instid0(VALU_DEP_1) | instskip(NEXT) | instid1(VALU_DEP_1)
	v_div_fmas_f32 v0, v0, v3, v4
	v_div_fixup_f32 v0, v0, v1, 1.0
	s_delay_alu instid0(VALU_DEP_1)
	v_mul_f32_e32 v2, v2, v0
	v_xor_b32_e32 v3, 0x80000000, v0
                                        ; implicit-def: $vgpr0_vgpr1
.LBB87_212:
	s_and_not1_saveexec_b32 s1, s1
	s_cbranch_execz .LBB87_214
; %bb.213:
	v_div_scale_f32 v2, null, v0, v0, v1
	v_div_scale_f32 v5, vcc_lo, v1, v0, v1
	s_delay_alu instid0(VALU_DEP_2) | instskip(SKIP_1) | instid1(TRANS32_DEP_1)
	v_rcp_f32_e32 v3, v2
	v_nop
	v_fma_f32 v4, -v2, v3, 1.0
	s_delay_alu instid0(VALU_DEP_1) | instskip(NEXT) | instid1(VALU_DEP_1)
	v_fmac_f32_e32 v3, v4, v3
	v_mul_f32_e32 v4, v5, v3
	s_delay_alu instid0(VALU_DEP_1) | instskip(NEXT) | instid1(VALU_DEP_1)
	v_fma_f32 v6, -v2, v4, v5
	v_fmac_f32_e32 v4, v6, v3
	s_delay_alu instid0(VALU_DEP_1) | instskip(NEXT) | instid1(VALU_DEP_1)
	v_fma_f32 v2, -v2, v4, v5
	v_div_fmas_f32 v2, v2, v3, v4
	s_delay_alu instid0(VALU_DEP_1) | instskip(NEXT) | instid1(VALU_DEP_1)
	v_div_fixup_f32 v3, v2, v0, v1
	v_fmac_f32_e32 v0, v1, v3
	s_delay_alu instid0(VALU_DEP_1) | instskip(NEXT) | instid1(VALU_DEP_1)
	v_div_scale_f32 v1, null, v0, v0, 1.0
	v_rcp_f32_e32 v2, v1
	v_nop
	s_delay_alu instid0(TRANS32_DEP_1) | instskip(NEXT) | instid1(VALU_DEP_1)
	v_fma_f32 v4, -v1, v2, 1.0
	v_fmac_f32_e32 v2, v4, v2
	v_div_scale_f32 v4, vcc_lo, 1.0, v0, 1.0
	s_delay_alu instid0(VALU_DEP_1) | instskip(NEXT) | instid1(VALU_DEP_1)
	v_mul_f32_e32 v5, v4, v2
	v_fma_f32 v6, -v1, v5, v4
	s_delay_alu instid0(VALU_DEP_1) | instskip(NEXT) | instid1(VALU_DEP_1)
	v_fmac_f32_e32 v5, v6, v2
	v_fma_f32 v1, -v1, v5, v4
	s_delay_alu instid0(VALU_DEP_1) | instskip(NEXT) | instid1(VALU_DEP_1)
	v_div_fmas_f32 v1, v1, v2, v5
	v_div_fixup_f32 v2, v1, v0, 1.0
	s_delay_alu instid0(VALU_DEP_1)
	v_mul_f32_e64 v3, v3, -v2
.LBB87_214:
	s_or_b32 exec_lo, exec_lo, s1
	ds_store_b64 v31, v[2:3]
.LBB87_215:
	s_or_b32 exec_lo, exec_lo, s2
	s_wait_dscnt 0x0
	s_barrier_signal -1
	s_barrier_wait -1
	ds_load_b64 v[224:225], v31
	s_mov_b32 s1, exec_lo
	v_cmpx_lt_u32_e32 23, v30
	s_cbranch_execz .LBB87_217
; %bb.216:
	ds_load_2addr_b64 v[4:7], v12 offset0:24 offset1:25
	s_wait_dscnt 0x1
	v_pk_mul_f32 v[2:3], v[224:225], v[80:81] op_sel:[1,1] op_sel_hi:[0,1]
	s_delay_alu instid0(VALU_DEP_1) | instskip(SKIP_1) | instid1(VALU_DEP_1)
	v_pk_fma_f32 v[0:1], v[224:225], v[80:81], v[2:3] op_sel_hi:[1,0,1] neg_lo:[0,0,1] neg_hi:[0,0,1]
	v_pk_fma_f32 v[2:3], v[224:225], v[80:81], v[2:3] op_sel_hi:[1,0,1]
	v_dual_mov_b32 v80, v0 :: v_dual_mov_b32 v81, v3
	s_wait_dscnt 0x0
	s_delay_alu instid0(VALU_DEP_2) | instskip(NEXT) | instid1(VALU_DEP_1)
	v_pk_mul_f32 v[8:9], v[4:5], v[2:3] op_sel:[0,1]
	v_pk_fma_f32 v[18:19], v[4:5], v[0:1], v[8:9] op_sel:[0,0,1] op_sel_hi:[1,1,0] neg_lo:[0,0,1] neg_hi:[0,0,1]
	v_pk_fma_f32 v[4:5], v[4:5], v[0:1], v[8:9] op_sel:[0,0,1] op_sel_hi:[1,0,0]
	s_delay_alu instid0(VALU_DEP_1) | instskip(SKIP_1) | instid1(VALU_DEP_1)
	v_mov_b32_e32 v19, v5
	v_pk_mul_f32 v[4:5], v[6:7], v[2:3] op_sel:[0,1]
	v_pk_fma_f32 v[8:9], v[6:7], v[0:1], v[4:5] op_sel:[0,0,1] op_sel_hi:[1,1,0] neg_lo:[0,0,1] neg_hi:[0,0,1]
	v_pk_fma_f32 v[4:5], v[6:7], v[0:1], v[4:5] op_sel:[0,0,1] op_sel_hi:[1,0,0]
	s_delay_alu instid0(VALU_DEP_1)
	v_mov_b32_e32 v9, v5
	ds_load_2addr_b64 v[4:7], v12 offset0:26 offset1:27
	v_pk_add_f32 v[110:111], v[110:111], v[18:19] neg_lo:[0,1] neg_hi:[0,1]
	v_pk_add_f32 v[106:107], v[106:107], v[8:9] neg_lo:[0,1] neg_hi:[0,1]
	s_wait_dscnt 0x0
	v_pk_mul_f32 v[8:9], v[4:5], v[2:3] op_sel:[0,1]
	s_delay_alu instid0(VALU_DEP_1) | instskip(SKIP_2) | instid1(VALU_DEP_2)
	v_pk_fma_f32 v[18:19], v[4:5], v[0:1], v[8:9] op_sel:[0,0,1] op_sel_hi:[1,1,0] neg_lo:[0,0,1] neg_hi:[0,0,1]
	v_pk_fma_f32 v[4:5], v[4:5], v[0:1], v[8:9] op_sel:[0,0,1] op_sel_hi:[1,0,0]
	v_dual_mul_f32 v8, v7, v3 :: v_dual_mov_b32 v4, v7
	v_dual_mov_b32 v19, v5 :: v_dual_mov_b32 v5, v6
	s_delay_alu instid0(VALU_DEP_2) | instskip(SKIP_1) | instid1(VALU_DEP_3)
	v_pk_fma_f32 v[8:9], v[6:7], v[80:81], v[8:9] op_sel_hi:[1,1,0] neg_lo:[0,0,1] neg_hi:[0,0,1]
	v_mul_f32_e32 v6, v7, v0
	v_pk_add_f32 v[108:109], v[108:109], v[18:19] neg_lo:[0,1] neg_hi:[0,1]
	s_delay_alu instid0(VALU_DEP_2) | instskip(NEXT) | instid1(VALU_DEP_1)
	v_pk_fma_f32 v[4:5], v[4:5], v[80:81], v[6:7] op_sel_hi:[1,1,0]
	v_mov_b32_e32 v9, v5
	ds_load_2addr_b64 v[4:7], v12 offset0:28 offset1:29
	v_pk_add_f32 v[104:105], v[104:105], v[8:9] neg_lo:[0,1] neg_hi:[0,1]
	s_wait_dscnt 0x0
	v_pk_mul_f32 v[8:9], v[4:5], v[2:3] op_sel:[0,1]
	s_delay_alu instid0(VALU_DEP_1) | instskip(SKIP_1) | instid1(VALU_DEP_1)
	v_pk_fma_f32 v[18:19], v[4:5], v[0:1], v[8:9] op_sel:[0,0,1] op_sel_hi:[1,1,0] neg_lo:[0,0,1] neg_hi:[0,0,1]
	v_pk_fma_f32 v[4:5], v[4:5], v[0:1], v[8:9] op_sel:[0,0,1] op_sel_hi:[1,0,0]
	v_mov_b32_e32 v19, v5
	v_pk_mul_f32 v[4:5], v[6:7], v[2:3] op_sel:[0,1]
	s_delay_alu instid0(VALU_DEP_1) | instskip(SKIP_1) | instid1(VALU_DEP_1)
	v_pk_fma_f32 v[8:9], v[6:7], v[0:1], v[4:5] op_sel:[0,0,1] op_sel_hi:[1,1,0] neg_lo:[0,0,1] neg_hi:[0,0,1]
	v_pk_fma_f32 v[4:5], v[6:7], v[0:1], v[4:5] op_sel:[0,0,1] op_sel_hi:[1,0,0]
	v_mov_b32_e32 v9, v5
	ds_load_2addr_b64 v[4:7], v12 offset0:30 offset1:31
	v_pk_add_f32 v[128:129], v[128:129], v[18:19] neg_lo:[0,1] neg_hi:[0,1]
	v_pk_add_f32 v[124:125], v[124:125], v[8:9] neg_lo:[0,1] neg_hi:[0,1]
	s_wait_dscnt 0x0
	v_pk_mul_f32 v[8:9], v[4:5], v[2:3] op_sel:[0,1]
	s_delay_alu instid0(VALU_DEP_1) | instskip(SKIP_1) | instid1(VALU_DEP_1)
	v_pk_fma_f32 v[18:19], v[4:5], v[0:1], v[8:9] op_sel:[0,0,1] op_sel_hi:[1,1,0] neg_lo:[0,0,1] neg_hi:[0,0,1]
	v_pk_fma_f32 v[4:5], v[4:5], v[0:1], v[8:9] op_sel:[0,0,1] op_sel_hi:[1,0,0]
	v_mov_b32_e32 v19, v5
	v_pk_mul_f32 v[4:5], v[6:7], v[2:3] op_sel:[0,1]
	s_delay_alu instid0(VALU_DEP_1) | instskip(SKIP_1) | instid1(VALU_DEP_1)
	v_pk_fma_f32 v[8:9], v[6:7], v[0:1], v[4:5] op_sel:[0,0,1] op_sel_hi:[1,1,0] neg_lo:[0,0,1] neg_hi:[0,0,1]
	v_pk_fma_f32 v[4:5], v[6:7], v[0:1], v[4:5] op_sel:[0,0,1] op_sel_hi:[1,0,0]
	v_mov_b32_e32 v9, v5
	ds_load_2addr_b64 v[4:7], v12 offset0:32 offset1:33
	v_pk_add_f32 v[126:127], v[126:127], v[18:19] neg_lo:[0,1] neg_hi:[0,1]
	v_pk_add_f32 v[122:123], v[122:123], v[8:9] neg_lo:[0,1] neg_hi:[0,1]
	s_wait_dscnt 0x0
	v_dual_mul_f32 v8, v5, v3 :: v_dual_mul_f32 v18, v5, v0
	s_delay_alu instid0(VALU_DEP_1) | instskip(NEXT) | instid1(VALU_DEP_2)
	v_pk_fma_f32 v[8:9], v[4:5], v[80:81], v[8:9] op_sel_hi:[1,1,0] neg_lo:[0,0,1] neg_hi:[0,0,1]
	v_pk_fma_f32 v[4:5], v[4:5], v[80:81], v[18:19] op_sel:[1,0,0] op_sel_hi:[0,1,0]
	s_delay_alu instid0(VALU_DEP_1) | instskip(SKIP_1) | instid1(VALU_DEP_2)
	v_mov_b32_e32 v9, v5
	v_pk_mul_f32 v[4:5], v[6:7], v[2:3] op_sel:[0,1]
	v_pk_add_f32 v[148:149], v[148:149], v[8:9] neg_lo:[0,1] neg_hi:[0,1]
	s_delay_alu instid0(VALU_DEP_2) | instskip(SKIP_1) | instid1(VALU_DEP_1)
	v_pk_fma_f32 v[8:9], v[6:7], v[0:1], v[4:5] op_sel:[0,0,1] op_sel_hi:[1,1,0] neg_lo:[0,0,1] neg_hi:[0,0,1]
	v_pk_fma_f32 v[4:5], v[6:7], v[0:1], v[4:5] op_sel:[0,0,1] op_sel_hi:[1,0,0]
	v_mov_b32_e32 v9, v5
	ds_load_2addr_b64 v[4:7], v12 offset0:34 offset1:35
	v_pk_add_f32 v[144:145], v[144:145], v[8:9] neg_lo:[0,1] neg_hi:[0,1]
	s_wait_dscnt 0x0
	v_pk_mul_f32 v[8:9], v[4:5], v[2:3] op_sel:[0,1]
	s_delay_alu instid0(VALU_DEP_1) | instskip(SKIP_1) | instid1(VALU_DEP_1)
	v_pk_fma_f32 v[18:19], v[4:5], v[0:1], v[8:9] op_sel:[0,0,1] op_sel_hi:[1,1,0] neg_lo:[0,0,1] neg_hi:[0,0,1]
	v_pk_fma_f32 v[4:5], v[4:5], v[0:1], v[8:9] op_sel:[0,0,1] op_sel_hi:[1,0,0]
	v_mov_b32_e32 v19, v5
	v_pk_mul_f32 v[4:5], v[6:7], v[2:3] op_sel:[0,1]
	s_delay_alu instid0(VALU_DEP_2) | instskip(NEXT) | instid1(VALU_DEP_2)
	v_pk_add_f32 v[146:147], v[146:147], v[18:19] neg_lo:[0,1] neg_hi:[0,1]
	v_pk_fma_f32 v[8:9], v[6:7], v[0:1], v[4:5] op_sel:[0,0,1] op_sel_hi:[1,1,0] neg_lo:[0,0,1] neg_hi:[0,0,1]
	v_pk_fma_f32 v[4:5], v[6:7], v[0:1], v[4:5] op_sel:[0,0,1] op_sel_hi:[1,0,0]
	s_delay_alu instid0(VALU_DEP_1) | instskip(SKIP_4) | instid1(VALU_DEP_1)
	v_mov_b32_e32 v9, v5
	ds_load_2addr_b64 v[4:7], v12 offset0:36 offset1:37
	v_pk_add_f32 v[142:143], v[142:143], v[8:9] neg_lo:[0,1] neg_hi:[0,1]
	s_wait_dscnt 0x0
	v_pk_mul_f32 v[8:9], v[4:5], v[2:3] op_sel:[0,1]
	v_pk_fma_f32 v[18:19], v[4:5], v[0:1], v[8:9] op_sel:[0,0,1] op_sel_hi:[1,1,0] neg_lo:[0,0,1] neg_hi:[0,0,1]
	v_pk_fma_f32 v[4:5], v[4:5], v[0:1], v[8:9] op_sel:[0,0,1] op_sel_hi:[1,0,0]
	v_dual_mul_f32 v8, v7, v3 :: v_dual_mov_b32 v4, v7
	s_delay_alu instid0(VALU_DEP_2) | instskip(NEXT) | instid1(VALU_DEP_2)
	v_dual_mov_b32 v19, v5 :: v_dual_mov_b32 v5, v6
	v_pk_fma_f32 v[8:9], v[6:7], v[80:81], v[8:9] op_sel_hi:[1,1,0] neg_lo:[0,0,1] neg_hi:[0,0,1]
	v_mul_f32_e32 v6, v7, v0
	s_delay_alu instid0(VALU_DEP_3) | instskip(NEXT) | instid1(VALU_DEP_2)
	v_pk_add_f32 v[170:171], v[170:171], v[18:19] neg_lo:[0,1] neg_hi:[0,1]
	v_pk_fma_f32 v[4:5], v[4:5], v[80:81], v[6:7] op_sel_hi:[1,1,0]
	s_delay_alu instid0(VALU_DEP_1) | instskip(SKIP_4) | instid1(VALU_DEP_1)
	v_mov_b32_e32 v9, v5
	ds_load_2addr_b64 v[4:7], v12 offset0:38 offset1:39
	v_pk_add_f32 v[164:165], v[164:165], v[8:9] neg_lo:[0,1] neg_hi:[0,1]
	s_wait_dscnt 0x0
	v_pk_mul_f32 v[8:9], v[4:5], v[2:3] op_sel:[0,1]
	v_pk_fma_f32 v[18:19], v[4:5], v[0:1], v[8:9] op_sel:[0,0,1] op_sel_hi:[1,1,0] neg_lo:[0,0,1] neg_hi:[0,0,1]
	v_pk_fma_f32 v[4:5], v[4:5], v[0:1], v[8:9] op_sel:[0,0,1] op_sel_hi:[1,0,0]
	s_delay_alu instid0(VALU_DEP_1) | instskip(SKIP_1) | instid1(VALU_DEP_1)
	v_mov_b32_e32 v19, v5
	v_pk_mul_f32 v[4:5], v[6:7], v[2:3] op_sel:[0,1]
	v_pk_fma_f32 v[8:9], v[6:7], v[0:1], v[4:5] op_sel:[0,0,1] op_sel_hi:[1,1,0] neg_lo:[0,0,1] neg_hi:[0,0,1]
	v_pk_fma_f32 v[4:5], v[6:7], v[0:1], v[4:5] op_sel:[0,0,1] op_sel_hi:[1,0,0]
	s_delay_alu instid0(VALU_DEP_1)
	v_mov_b32_e32 v9, v5
	ds_load_2addr_b64 v[4:7], v12 offset0:40 offset1:41
	v_pk_add_f32 v[168:169], v[168:169], v[18:19] neg_lo:[0,1] neg_hi:[0,1]
	v_pk_add_f32 v[162:163], v[162:163], v[8:9] neg_lo:[0,1] neg_hi:[0,1]
	s_wait_dscnt 0x0
	v_pk_mul_f32 v[8:9], v[4:5], v[2:3] op_sel:[0,1]
	s_delay_alu instid0(VALU_DEP_1) | instskip(SKIP_1) | instid1(VALU_DEP_1)
	v_pk_fma_f32 v[18:19], v[4:5], v[0:1], v[8:9] op_sel:[0,0,1] op_sel_hi:[1,1,0] neg_lo:[0,0,1] neg_hi:[0,0,1]
	v_pk_fma_f32 v[4:5], v[4:5], v[0:1], v[8:9] op_sel:[0,0,1] op_sel_hi:[1,0,0]
	v_mov_b32_e32 v19, v5
	v_pk_mul_f32 v[4:5], v[6:7], v[2:3] op_sel:[0,1]
	s_delay_alu instid0(VALU_DEP_1) | instskip(SKIP_1) | instid1(VALU_DEP_1)
	v_pk_fma_f32 v[8:9], v[6:7], v[0:1], v[4:5] op_sel:[0,0,1] op_sel_hi:[1,1,0] neg_lo:[0,0,1] neg_hi:[0,0,1]
	v_pk_fma_f32 v[4:5], v[6:7], v[0:1], v[4:5] op_sel:[0,0,1] op_sel_hi:[1,0,0]
	v_mov_b32_e32 v9, v5
	ds_load_2addr_b64 v[4:7], v12 offset0:42 offset1:43
	v_pk_add_f32 v[166:167], v[166:167], v[18:19] neg_lo:[0,1] neg_hi:[0,1]
	v_pk_add_f32 v[160:161], v[160:161], v[8:9] neg_lo:[0,1] neg_hi:[0,1]
	s_wait_dscnt 0x0
	v_dual_mul_f32 v8, v5, v3 :: v_dual_mul_f32 v18, v5, v0
	v_pk_mul_f32 v[2:3], v[6:7], v[2:3] op_sel:[0,1]
	s_delay_alu instid0(VALU_DEP_2) | instskip(NEXT) | instid1(VALU_DEP_3)
	v_pk_fma_f32 v[8:9], v[4:5], v[80:81], v[8:9] op_sel_hi:[1,1,0] neg_lo:[0,0,1] neg_hi:[0,0,1]
	v_pk_fma_f32 v[4:5], v[4:5], v[80:81], v[18:19] op_sel:[1,0,0] op_sel_hi:[0,1,0]
	s_delay_alu instid0(VALU_DEP_1) | instskip(NEXT) | instid1(VALU_DEP_4)
	v_mov_b32_e32 v9, v5
	v_pk_fma_f32 v[4:5], v[6:7], v[0:1], v[2:3] op_sel:[0,0,1] op_sel_hi:[1,1,0] neg_lo:[0,0,1] neg_hi:[0,0,1]
	v_pk_fma_f32 v[0:1], v[6:7], v[0:1], v[2:3] op_sel:[0,0,1] op_sel_hi:[1,0,0]
	s_delay_alu instid0(VALU_DEP_1) | instskip(NEXT) | instid1(VALU_DEP_4)
	v_mov_b32_e32 v5, v1
	v_pk_add_f32 v[172:173], v[172:173], v[8:9] neg_lo:[0,1] neg_hi:[0,1]
	s_delay_alu instid0(VALU_DEP_2)
	v_pk_add_f32 v[176:177], v[176:177], v[4:5] neg_lo:[0,1] neg_hi:[0,1]
.LBB87_217:
	s_or_b32 exec_lo, exec_lo, s1
	s_delay_alu instid0(SALU_CYCLE_1)
	s_mov_b32 s2, exec_lo
	s_wait_dscnt 0x0
	s_barrier_signal -1
	s_barrier_wait -1
	v_cmpx_eq_u32_e32 24, v30
	s_cbranch_execz .LBB87_224
; %bb.218:
	ds_store_b64 v31, v[110:111]
	ds_store_2addr_b64 v12, v[106:107], v[108:109] offset0:25 offset1:26
	ds_store_2addr_b64 v12, v[104:105], v[128:129] offset0:27 offset1:28
	;; [unrolled: 1-line block ×9, first 2 shown]
	ds_store_b64 v12, v[176:177] offset:344
	ds_load_b64 v[0:1], v31
	s_wait_dscnt 0x0
	v_cmp_neq_f32_e32 vcc_lo, 0, v0
	v_cmp_neq_f32_e64 s1, 0, v1
	s_or_b32 s1, vcc_lo, s1
	s_delay_alu instid0(SALU_CYCLE_1)
	s_and_b32 exec_lo, exec_lo, s1
	s_cbranch_execz .LBB87_224
; %bb.219:
	v_cmp_ngt_f32_e64 s1, |v0|, |v1|
                                        ; implicit-def: $vgpr2_vgpr3
	s_and_saveexec_b32 s4, s1
	s_delay_alu instid0(SALU_CYCLE_1)
	s_xor_b32 s1, exec_lo, s4
	s_cbranch_execz .LBB87_221
; %bb.220:
	v_div_scale_f32 v2, null, v1, v1, v0
	v_div_scale_f32 v5, vcc_lo, v0, v1, v0
	s_delay_alu instid0(VALU_DEP_2) | instskip(SKIP_1) | instid1(TRANS32_DEP_1)
	v_rcp_f32_e32 v3, v2
	v_nop
	v_fma_f32 v4, -v2, v3, 1.0
	s_delay_alu instid0(VALU_DEP_1) | instskip(NEXT) | instid1(VALU_DEP_1)
	v_fmac_f32_e32 v3, v4, v3
	v_mul_f32_e32 v4, v5, v3
	s_delay_alu instid0(VALU_DEP_1) | instskip(NEXT) | instid1(VALU_DEP_1)
	v_fma_f32 v6, -v2, v4, v5
	v_fmac_f32_e32 v4, v6, v3
	s_delay_alu instid0(VALU_DEP_1) | instskip(NEXT) | instid1(VALU_DEP_1)
	v_fma_f32 v2, -v2, v4, v5
	v_div_fmas_f32 v2, v2, v3, v4
	s_delay_alu instid0(VALU_DEP_1) | instskip(NEXT) | instid1(VALU_DEP_1)
	v_div_fixup_f32 v2, v2, v1, v0
	v_fmac_f32_e32 v1, v0, v2
	s_delay_alu instid0(VALU_DEP_1) | instskip(SKIP_1) | instid1(VALU_DEP_2)
	v_div_scale_f32 v0, null, v1, v1, 1.0
	v_div_scale_f32 v5, vcc_lo, 1.0, v1, 1.0
	v_rcp_f32_e32 v3, v0
	v_nop
	s_delay_alu instid0(TRANS32_DEP_1) | instskip(NEXT) | instid1(VALU_DEP_1)
	v_fma_f32 v4, -v0, v3, 1.0
	v_fmac_f32_e32 v3, v4, v3
	s_delay_alu instid0(VALU_DEP_1) | instskip(NEXT) | instid1(VALU_DEP_1)
	v_mul_f32_e32 v4, v5, v3
	v_fma_f32 v6, -v0, v4, v5
	s_delay_alu instid0(VALU_DEP_1) | instskip(NEXT) | instid1(VALU_DEP_1)
	v_fmac_f32_e32 v4, v6, v3
	v_fma_f32 v0, -v0, v4, v5
	s_delay_alu instid0(VALU_DEP_1) | instskip(NEXT) | instid1(VALU_DEP_1)
	v_div_fmas_f32 v0, v0, v3, v4
	v_div_fixup_f32 v0, v0, v1, 1.0
	s_delay_alu instid0(VALU_DEP_1)
	v_mul_f32_e32 v2, v2, v0
	v_xor_b32_e32 v3, 0x80000000, v0
                                        ; implicit-def: $vgpr0_vgpr1
.LBB87_221:
	s_and_not1_saveexec_b32 s1, s1
	s_cbranch_execz .LBB87_223
; %bb.222:
	v_div_scale_f32 v2, null, v0, v0, v1
	v_div_scale_f32 v5, vcc_lo, v1, v0, v1
	s_delay_alu instid0(VALU_DEP_2) | instskip(SKIP_1) | instid1(TRANS32_DEP_1)
	v_rcp_f32_e32 v3, v2
	v_nop
	v_fma_f32 v4, -v2, v3, 1.0
	s_delay_alu instid0(VALU_DEP_1) | instskip(NEXT) | instid1(VALU_DEP_1)
	v_fmac_f32_e32 v3, v4, v3
	v_mul_f32_e32 v4, v5, v3
	s_delay_alu instid0(VALU_DEP_1) | instskip(NEXT) | instid1(VALU_DEP_1)
	v_fma_f32 v6, -v2, v4, v5
	v_fmac_f32_e32 v4, v6, v3
	s_delay_alu instid0(VALU_DEP_1) | instskip(NEXT) | instid1(VALU_DEP_1)
	v_fma_f32 v2, -v2, v4, v5
	v_div_fmas_f32 v2, v2, v3, v4
	s_delay_alu instid0(VALU_DEP_1) | instskip(NEXT) | instid1(VALU_DEP_1)
	v_div_fixup_f32 v3, v2, v0, v1
	v_fmac_f32_e32 v0, v1, v3
	s_delay_alu instid0(VALU_DEP_1) | instskip(NEXT) | instid1(VALU_DEP_1)
	v_div_scale_f32 v1, null, v0, v0, 1.0
	v_rcp_f32_e32 v2, v1
	v_nop
	s_delay_alu instid0(TRANS32_DEP_1) | instskip(NEXT) | instid1(VALU_DEP_1)
	v_fma_f32 v4, -v1, v2, 1.0
	v_fmac_f32_e32 v2, v4, v2
	v_div_scale_f32 v4, vcc_lo, 1.0, v0, 1.0
	s_delay_alu instid0(VALU_DEP_1) | instskip(NEXT) | instid1(VALU_DEP_1)
	v_mul_f32_e32 v5, v4, v2
	v_fma_f32 v6, -v1, v5, v4
	s_delay_alu instid0(VALU_DEP_1) | instskip(NEXT) | instid1(VALU_DEP_1)
	v_fmac_f32_e32 v5, v6, v2
	v_fma_f32 v1, -v1, v5, v4
	s_delay_alu instid0(VALU_DEP_1) | instskip(NEXT) | instid1(VALU_DEP_1)
	v_div_fmas_f32 v1, v1, v2, v5
	v_div_fixup_f32 v2, v1, v0, 1.0
	s_delay_alu instid0(VALU_DEP_1)
	v_mul_f32_e64 v3, v3, -v2
.LBB87_223:
	s_or_b32 exec_lo, exec_lo, s1
	ds_store_b64 v31, v[2:3]
.LBB87_224:
	s_or_b32 exec_lo, exec_lo, s2
	s_wait_dscnt 0x0
	s_barrier_signal -1
	s_barrier_wait -1
	ds_load_b64 v[226:227], v31
	s_mov_b32 s1, exec_lo
	v_cmpx_lt_u32_e32 24, v30
	s_cbranch_execz .LBB87_226
; %bb.225:
	ds_load_2addr_b64 v[4:7], v12 offset0:25 offset1:26
	s_wait_dscnt 0x1
	v_pk_mul_f32 v[2:3], v[226:227], v[110:111] op_sel:[1,1] op_sel_hi:[0,1]
	s_delay_alu instid0(VALU_DEP_1) | instskip(SKIP_1) | instid1(VALU_DEP_1)
	v_pk_fma_f32 v[0:1], v[226:227], v[110:111], v[2:3] op_sel_hi:[1,0,1] neg_lo:[0,0,1] neg_hi:[0,0,1]
	v_pk_fma_f32 v[2:3], v[226:227], v[110:111], v[2:3] op_sel_hi:[1,0,1]
	v_dual_mov_b32 v110, v0 :: v_dual_mov_b32 v111, v3
	s_wait_dscnt 0x0
	s_delay_alu instid0(VALU_DEP_2) | instskip(NEXT) | instid1(VALU_DEP_1)
	v_pk_mul_f32 v[8:9], v[4:5], v[2:3] op_sel:[0,1]
	v_pk_fma_f32 v[18:19], v[4:5], v[0:1], v[8:9] op_sel:[0,0,1] op_sel_hi:[1,1,0] neg_lo:[0,0,1] neg_hi:[0,0,1]
	v_pk_fma_f32 v[4:5], v[4:5], v[0:1], v[8:9] op_sel:[0,0,1] op_sel_hi:[1,0,0]
	s_delay_alu instid0(VALU_DEP_1) | instskip(SKIP_1) | instid1(VALU_DEP_1)
	v_mov_b32_e32 v19, v5
	v_pk_mul_f32 v[4:5], v[6:7], v[2:3] op_sel:[0,1]
	v_pk_fma_f32 v[8:9], v[6:7], v[0:1], v[4:5] op_sel:[0,0,1] op_sel_hi:[1,1,0] neg_lo:[0,0,1] neg_hi:[0,0,1]
	v_pk_fma_f32 v[4:5], v[6:7], v[0:1], v[4:5] op_sel:[0,0,1] op_sel_hi:[1,0,0]
	s_delay_alu instid0(VALU_DEP_1)
	v_mov_b32_e32 v9, v5
	ds_load_2addr_b64 v[4:7], v12 offset0:27 offset1:28
	v_pk_add_f32 v[106:107], v[106:107], v[18:19] neg_lo:[0,1] neg_hi:[0,1]
	v_pk_add_f32 v[108:109], v[108:109], v[8:9] neg_lo:[0,1] neg_hi:[0,1]
	s_wait_dscnt 0x0
	v_pk_mul_f32 v[8:9], v[4:5], v[2:3] op_sel:[0,1]
	s_delay_alu instid0(VALU_DEP_1) | instskip(SKIP_2) | instid1(VALU_DEP_2)
	v_pk_fma_f32 v[18:19], v[4:5], v[0:1], v[8:9] op_sel:[0,0,1] op_sel_hi:[1,1,0] neg_lo:[0,0,1] neg_hi:[0,0,1]
	v_pk_fma_f32 v[4:5], v[4:5], v[0:1], v[8:9] op_sel:[0,0,1] op_sel_hi:[1,0,0]
	v_dual_mul_f32 v8, v7, v3 :: v_dual_mov_b32 v4, v7
	v_dual_mov_b32 v19, v5 :: v_dual_mov_b32 v5, v6
	s_delay_alu instid0(VALU_DEP_2) | instskip(SKIP_1) | instid1(VALU_DEP_3)
	v_pk_fma_f32 v[8:9], v[6:7], v[110:111], v[8:9] op_sel_hi:[1,1,0] neg_lo:[0,0,1] neg_hi:[0,0,1]
	v_mul_f32_e32 v6, v7, v0
	v_pk_add_f32 v[104:105], v[104:105], v[18:19] neg_lo:[0,1] neg_hi:[0,1]
	s_delay_alu instid0(VALU_DEP_2) | instskip(NEXT) | instid1(VALU_DEP_1)
	v_pk_fma_f32 v[4:5], v[4:5], v[110:111], v[6:7] op_sel_hi:[1,1,0]
	v_mov_b32_e32 v9, v5
	ds_load_2addr_b64 v[4:7], v12 offset0:29 offset1:30
	v_pk_add_f32 v[128:129], v[128:129], v[8:9] neg_lo:[0,1] neg_hi:[0,1]
	s_wait_dscnt 0x0
	v_pk_mul_f32 v[8:9], v[4:5], v[2:3] op_sel:[0,1]
	s_delay_alu instid0(VALU_DEP_1) | instskip(SKIP_1) | instid1(VALU_DEP_1)
	v_pk_fma_f32 v[18:19], v[4:5], v[0:1], v[8:9] op_sel:[0,0,1] op_sel_hi:[1,1,0] neg_lo:[0,0,1] neg_hi:[0,0,1]
	v_pk_fma_f32 v[4:5], v[4:5], v[0:1], v[8:9] op_sel:[0,0,1] op_sel_hi:[1,0,0]
	v_mov_b32_e32 v19, v5
	v_pk_mul_f32 v[4:5], v[6:7], v[2:3] op_sel:[0,1]
	s_delay_alu instid0(VALU_DEP_1) | instskip(SKIP_1) | instid1(VALU_DEP_1)
	v_pk_fma_f32 v[8:9], v[6:7], v[0:1], v[4:5] op_sel:[0,0,1] op_sel_hi:[1,1,0] neg_lo:[0,0,1] neg_hi:[0,0,1]
	v_pk_fma_f32 v[4:5], v[6:7], v[0:1], v[4:5] op_sel:[0,0,1] op_sel_hi:[1,0,0]
	v_mov_b32_e32 v9, v5
	ds_load_2addr_b64 v[4:7], v12 offset0:31 offset1:32
	v_pk_add_f32 v[124:125], v[124:125], v[18:19] neg_lo:[0,1] neg_hi:[0,1]
	v_pk_add_f32 v[126:127], v[126:127], v[8:9] neg_lo:[0,1] neg_hi:[0,1]
	s_wait_dscnt 0x0
	v_pk_mul_f32 v[8:9], v[4:5], v[2:3] op_sel:[0,1]
	s_delay_alu instid0(VALU_DEP_1) | instskip(SKIP_1) | instid1(VALU_DEP_1)
	v_pk_fma_f32 v[18:19], v[4:5], v[0:1], v[8:9] op_sel:[0,0,1] op_sel_hi:[1,1,0] neg_lo:[0,0,1] neg_hi:[0,0,1]
	v_pk_fma_f32 v[4:5], v[4:5], v[0:1], v[8:9] op_sel:[0,0,1] op_sel_hi:[1,0,0]
	v_mov_b32_e32 v19, v5
	v_pk_mul_f32 v[4:5], v[6:7], v[2:3] op_sel:[0,1]
	s_delay_alu instid0(VALU_DEP_1) | instskip(SKIP_1) | instid1(VALU_DEP_1)
	v_pk_fma_f32 v[8:9], v[6:7], v[0:1], v[4:5] op_sel:[0,0,1] op_sel_hi:[1,1,0] neg_lo:[0,0,1] neg_hi:[0,0,1]
	v_pk_fma_f32 v[4:5], v[6:7], v[0:1], v[4:5] op_sel:[0,0,1] op_sel_hi:[1,0,0]
	v_mov_b32_e32 v9, v5
	ds_load_2addr_b64 v[4:7], v12 offset0:33 offset1:34
	v_pk_add_f32 v[122:123], v[122:123], v[18:19] neg_lo:[0,1] neg_hi:[0,1]
	v_pk_add_f32 v[148:149], v[148:149], v[8:9] neg_lo:[0,1] neg_hi:[0,1]
	s_wait_dscnt 0x0
	v_dual_mul_f32 v8, v5, v3 :: v_dual_mul_f32 v18, v5, v0
	s_delay_alu instid0(VALU_DEP_1) | instskip(NEXT) | instid1(VALU_DEP_2)
	v_pk_fma_f32 v[8:9], v[4:5], v[110:111], v[8:9] op_sel_hi:[1,1,0] neg_lo:[0,0,1] neg_hi:[0,0,1]
	v_pk_fma_f32 v[4:5], v[4:5], v[110:111], v[18:19] op_sel:[1,0,0] op_sel_hi:[0,1,0]
	s_delay_alu instid0(VALU_DEP_1) | instskip(SKIP_1) | instid1(VALU_DEP_2)
	v_mov_b32_e32 v9, v5
	v_pk_mul_f32 v[4:5], v[6:7], v[2:3] op_sel:[0,1]
	v_pk_add_f32 v[144:145], v[144:145], v[8:9] neg_lo:[0,1] neg_hi:[0,1]
	s_delay_alu instid0(VALU_DEP_2) | instskip(SKIP_1) | instid1(VALU_DEP_1)
	v_pk_fma_f32 v[8:9], v[6:7], v[0:1], v[4:5] op_sel:[0,0,1] op_sel_hi:[1,1,0] neg_lo:[0,0,1] neg_hi:[0,0,1]
	v_pk_fma_f32 v[4:5], v[6:7], v[0:1], v[4:5] op_sel:[0,0,1] op_sel_hi:[1,0,0]
	v_mov_b32_e32 v9, v5
	ds_load_2addr_b64 v[4:7], v12 offset0:35 offset1:36
	v_pk_add_f32 v[146:147], v[146:147], v[8:9] neg_lo:[0,1] neg_hi:[0,1]
	s_wait_dscnt 0x0
	v_pk_mul_f32 v[8:9], v[4:5], v[2:3] op_sel:[0,1]
	s_delay_alu instid0(VALU_DEP_1) | instskip(SKIP_1) | instid1(VALU_DEP_1)
	v_pk_fma_f32 v[18:19], v[4:5], v[0:1], v[8:9] op_sel:[0,0,1] op_sel_hi:[1,1,0] neg_lo:[0,0,1] neg_hi:[0,0,1]
	v_pk_fma_f32 v[4:5], v[4:5], v[0:1], v[8:9] op_sel:[0,0,1] op_sel_hi:[1,0,0]
	v_mov_b32_e32 v19, v5
	v_pk_mul_f32 v[4:5], v[6:7], v[2:3] op_sel:[0,1]
	s_delay_alu instid0(VALU_DEP_2) | instskip(NEXT) | instid1(VALU_DEP_2)
	v_pk_add_f32 v[142:143], v[142:143], v[18:19] neg_lo:[0,1] neg_hi:[0,1]
	v_pk_fma_f32 v[8:9], v[6:7], v[0:1], v[4:5] op_sel:[0,0,1] op_sel_hi:[1,1,0] neg_lo:[0,0,1] neg_hi:[0,0,1]
	v_pk_fma_f32 v[4:5], v[6:7], v[0:1], v[4:5] op_sel:[0,0,1] op_sel_hi:[1,0,0]
	s_delay_alu instid0(VALU_DEP_1) | instskip(SKIP_4) | instid1(VALU_DEP_1)
	v_mov_b32_e32 v9, v5
	ds_load_2addr_b64 v[4:7], v12 offset0:37 offset1:38
	v_pk_add_f32 v[170:171], v[170:171], v[8:9] neg_lo:[0,1] neg_hi:[0,1]
	s_wait_dscnt 0x0
	v_pk_mul_f32 v[8:9], v[4:5], v[2:3] op_sel:[0,1]
	v_pk_fma_f32 v[18:19], v[4:5], v[0:1], v[8:9] op_sel:[0,0,1] op_sel_hi:[1,1,0] neg_lo:[0,0,1] neg_hi:[0,0,1]
	v_pk_fma_f32 v[4:5], v[4:5], v[0:1], v[8:9] op_sel:[0,0,1] op_sel_hi:[1,0,0]
	v_dual_mul_f32 v8, v7, v3 :: v_dual_mov_b32 v4, v7
	s_delay_alu instid0(VALU_DEP_2) | instskip(NEXT) | instid1(VALU_DEP_2)
	v_dual_mov_b32 v19, v5 :: v_dual_mov_b32 v5, v6
	v_pk_fma_f32 v[8:9], v[6:7], v[110:111], v[8:9] op_sel_hi:[1,1,0] neg_lo:[0,0,1] neg_hi:[0,0,1]
	v_mul_f32_e32 v6, v7, v0
	s_delay_alu instid0(VALU_DEP_3) | instskip(NEXT) | instid1(VALU_DEP_2)
	v_pk_add_f32 v[164:165], v[164:165], v[18:19] neg_lo:[0,1] neg_hi:[0,1]
	v_pk_fma_f32 v[4:5], v[4:5], v[110:111], v[6:7] op_sel_hi:[1,1,0]
	s_delay_alu instid0(VALU_DEP_1) | instskip(SKIP_4) | instid1(VALU_DEP_1)
	v_mov_b32_e32 v9, v5
	ds_load_2addr_b64 v[4:7], v12 offset0:39 offset1:40
	v_pk_add_f32 v[168:169], v[168:169], v[8:9] neg_lo:[0,1] neg_hi:[0,1]
	s_wait_dscnt 0x0
	v_pk_mul_f32 v[8:9], v[4:5], v[2:3] op_sel:[0,1]
	v_pk_fma_f32 v[18:19], v[4:5], v[0:1], v[8:9] op_sel:[0,0,1] op_sel_hi:[1,1,0] neg_lo:[0,0,1] neg_hi:[0,0,1]
	v_pk_fma_f32 v[4:5], v[4:5], v[0:1], v[8:9] op_sel:[0,0,1] op_sel_hi:[1,0,0]
	s_delay_alu instid0(VALU_DEP_1) | instskip(SKIP_1) | instid1(VALU_DEP_1)
	v_mov_b32_e32 v19, v5
	v_pk_mul_f32 v[4:5], v[6:7], v[2:3] op_sel:[0,1]
	v_pk_fma_f32 v[8:9], v[6:7], v[0:1], v[4:5] op_sel:[0,0,1] op_sel_hi:[1,1,0] neg_lo:[0,0,1] neg_hi:[0,0,1]
	v_pk_fma_f32 v[4:5], v[6:7], v[0:1], v[4:5] op_sel:[0,0,1] op_sel_hi:[1,0,0]
	s_delay_alu instid0(VALU_DEP_1)
	v_mov_b32_e32 v9, v5
	ds_load_2addr_b64 v[4:7], v12 offset0:41 offset1:42
	v_pk_add_f32 v[162:163], v[162:163], v[18:19] neg_lo:[0,1] neg_hi:[0,1]
	v_pk_add_f32 v[166:167], v[166:167], v[8:9] neg_lo:[0,1] neg_hi:[0,1]
	s_wait_dscnt 0x0
	v_pk_mul_f32 v[8:9], v[4:5], v[2:3] op_sel:[0,1]
	s_delay_alu instid0(VALU_DEP_1) | instskip(SKIP_1) | instid1(VALU_DEP_1)
	v_pk_fma_f32 v[18:19], v[4:5], v[0:1], v[8:9] op_sel:[0,0,1] op_sel_hi:[1,1,0] neg_lo:[0,0,1] neg_hi:[0,0,1]
	v_pk_fma_f32 v[4:5], v[4:5], v[0:1], v[8:9] op_sel:[0,0,1] op_sel_hi:[1,0,0]
	v_mov_b32_e32 v19, v5
	v_pk_mul_f32 v[4:5], v[6:7], v[2:3] op_sel:[0,1]
	s_delay_alu instid0(VALU_DEP_1) | instskip(SKIP_1) | instid1(VALU_DEP_1)
	v_pk_fma_f32 v[8:9], v[6:7], v[0:1], v[4:5] op_sel:[0,0,1] op_sel_hi:[1,1,0] neg_lo:[0,0,1] neg_hi:[0,0,1]
	v_pk_fma_f32 v[4:5], v[6:7], v[0:1], v[4:5] op_sel:[0,0,1] op_sel_hi:[1,0,0]
	v_mov_b32_e32 v9, v5
	ds_load_b64 v[4:5], v12 offset:344
	v_pk_add_f32 v[160:161], v[160:161], v[18:19] neg_lo:[0,1] neg_hi:[0,1]
	v_pk_add_f32 v[172:173], v[172:173], v[8:9] neg_lo:[0,1] neg_hi:[0,1]
	s_wait_dscnt 0x0
	v_pk_mul_f32 v[2:3], v[4:5], v[2:3] op_sel:[0,1]
	s_delay_alu instid0(VALU_DEP_1) | instskip(SKIP_1) | instid1(VALU_DEP_1)
	v_pk_fma_f32 v[6:7], v[4:5], v[0:1], v[2:3] op_sel:[0,0,1] op_sel_hi:[1,1,0] neg_lo:[0,0,1] neg_hi:[0,0,1]
	v_pk_fma_f32 v[0:1], v[4:5], v[0:1], v[2:3] op_sel:[0,0,1] op_sel_hi:[1,0,0]
	v_mov_b32_e32 v7, v1
	s_delay_alu instid0(VALU_DEP_1)
	v_pk_add_f32 v[176:177], v[176:177], v[6:7] neg_lo:[0,1] neg_hi:[0,1]
.LBB87_226:
	s_or_b32 exec_lo, exec_lo, s1
	s_delay_alu instid0(SALU_CYCLE_1)
	s_mov_b32 s2, exec_lo
	s_wait_dscnt 0x0
	s_barrier_signal -1
	s_barrier_wait -1
	v_cmpx_eq_u32_e32 25, v30
	s_cbranch_execz .LBB87_233
; %bb.227:
	v_dual_mov_b32 v0, v108 :: v_dual_mov_b32 v1, v109
	v_dual_mov_b32 v2, v104 :: v_dual_mov_b32 v3, v105
	;; [unrolled: 1-line block ×8, first 2 shown]
	ds_store_b64 v31, v[106:107]
	ds_store_2addr_b64 v12, v[0:1], v[2:3] offset0:26 offset1:27
	ds_store_2addr_b64 v12, v[4:5], v[6:7] offset0:28 offset1:29
	;; [unrolled: 1-line block ×4, first 2 shown]
	v_dual_mov_b32 v0, v146 :: v_dual_mov_b32 v1, v147
	v_dual_mov_b32 v2, v142 :: v_dual_mov_b32 v3, v143
	;; [unrolled: 1-line block ×9, first 2 shown]
	ds_store_2addr_b64 v12, v[0:1], v[2:3] offset0:34 offset1:35
	ds_store_2addr_b64 v12, v[4:5], v[6:7] offset0:36 offset1:37
	;; [unrolled: 1-line block ×5, first 2 shown]
	ds_load_b64 v[0:1], v31
	s_wait_dscnt 0x0
	v_cmp_neq_f32_e32 vcc_lo, 0, v0
	v_cmp_neq_f32_e64 s1, 0, v1
	s_or_b32 s1, vcc_lo, s1
	s_delay_alu instid0(SALU_CYCLE_1)
	s_and_b32 exec_lo, exec_lo, s1
	s_cbranch_execz .LBB87_233
; %bb.228:
	v_cmp_ngt_f32_e64 s1, |v0|, |v1|
                                        ; implicit-def: $vgpr2_vgpr3
	s_and_saveexec_b32 s4, s1
	s_delay_alu instid0(SALU_CYCLE_1)
	s_xor_b32 s1, exec_lo, s4
	s_cbranch_execz .LBB87_230
; %bb.229:
	v_div_scale_f32 v2, null, v1, v1, v0
	v_div_scale_f32 v5, vcc_lo, v0, v1, v0
	s_delay_alu instid0(VALU_DEP_2) | instskip(SKIP_1) | instid1(TRANS32_DEP_1)
	v_rcp_f32_e32 v3, v2
	v_nop
	v_fma_f32 v4, -v2, v3, 1.0
	s_delay_alu instid0(VALU_DEP_1) | instskip(NEXT) | instid1(VALU_DEP_1)
	v_fmac_f32_e32 v3, v4, v3
	v_mul_f32_e32 v4, v5, v3
	s_delay_alu instid0(VALU_DEP_1) | instskip(NEXT) | instid1(VALU_DEP_1)
	v_fma_f32 v6, -v2, v4, v5
	v_fmac_f32_e32 v4, v6, v3
	s_delay_alu instid0(VALU_DEP_1) | instskip(NEXT) | instid1(VALU_DEP_1)
	v_fma_f32 v2, -v2, v4, v5
	v_div_fmas_f32 v2, v2, v3, v4
	s_delay_alu instid0(VALU_DEP_1) | instskip(NEXT) | instid1(VALU_DEP_1)
	v_div_fixup_f32 v2, v2, v1, v0
	v_fmac_f32_e32 v1, v0, v2
	s_delay_alu instid0(VALU_DEP_1) | instskip(SKIP_1) | instid1(VALU_DEP_2)
	v_div_scale_f32 v0, null, v1, v1, 1.0
	v_div_scale_f32 v5, vcc_lo, 1.0, v1, 1.0
	v_rcp_f32_e32 v3, v0
	v_nop
	s_delay_alu instid0(TRANS32_DEP_1) | instskip(NEXT) | instid1(VALU_DEP_1)
	v_fma_f32 v4, -v0, v3, 1.0
	v_fmac_f32_e32 v3, v4, v3
	s_delay_alu instid0(VALU_DEP_1) | instskip(NEXT) | instid1(VALU_DEP_1)
	v_mul_f32_e32 v4, v5, v3
	v_fma_f32 v6, -v0, v4, v5
	s_delay_alu instid0(VALU_DEP_1) | instskip(NEXT) | instid1(VALU_DEP_1)
	v_fmac_f32_e32 v4, v6, v3
	v_fma_f32 v0, -v0, v4, v5
	s_delay_alu instid0(VALU_DEP_1) | instskip(NEXT) | instid1(VALU_DEP_1)
	v_div_fmas_f32 v0, v0, v3, v4
	v_div_fixup_f32 v0, v0, v1, 1.0
	s_delay_alu instid0(VALU_DEP_1)
	v_mul_f32_e32 v2, v2, v0
	v_xor_b32_e32 v3, 0x80000000, v0
                                        ; implicit-def: $vgpr0_vgpr1
.LBB87_230:
	s_and_not1_saveexec_b32 s1, s1
	s_cbranch_execz .LBB87_232
; %bb.231:
	v_div_scale_f32 v2, null, v0, v0, v1
	v_div_scale_f32 v5, vcc_lo, v1, v0, v1
	s_delay_alu instid0(VALU_DEP_2) | instskip(SKIP_1) | instid1(TRANS32_DEP_1)
	v_rcp_f32_e32 v3, v2
	v_nop
	v_fma_f32 v4, -v2, v3, 1.0
	s_delay_alu instid0(VALU_DEP_1) | instskip(NEXT) | instid1(VALU_DEP_1)
	v_fmac_f32_e32 v3, v4, v3
	v_mul_f32_e32 v4, v5, v3
	s_delay_alu instid0(VALU_DEP_1) | instskip(NEXT) | instid1(VALU_DEP_1)
	v_fma_f32 v6, -v2, v4, v5
	v_fmac_f32_e32 v4, v6, v3
	s_delay_alu instid0(VALU_DEP_1) | instskip(NEXT) | instid1(VALU_DEP_1)
	v_fma_f32 v2, -v2, v4, v5
	v_div_fmas_f32 v2, v2, v3, v4
	s_delay_alu instid0(VALU_DEP_1) | instskip(NEXT) | instid1(VALU_DEP_1)
	v_div_fixup_f32 v3, v2, v0, v1
	v_fmac_f32_e32 v0, v1, v3
	s_delay_alu instid0(VALU_DEP_1) | instskip(NEXT) | instid1(VALU_DEP_1)
	v_div_scale_f32 v1, null, v0, v0, 1.0
	v_rcp_f32_e32 v2, v1
	v_nop
	s_delay_alu instid0(TRANS32_DEP_1) | instskip(NEXT) | instid1(VALU_DEP_1)
	v_fma_f32 v4, -v1, v2, 1.0
	v_fmac_f32_e32 v2, v4, v2
	v_div_scale_f32 v4, vcc_lo, 1.0, v0, 1.0
	s_delay_alu instid0(VALU_DEP_1) | instskip(NEXT) | instid1(VALU_DEP_1)
	v_mul_f32_e32 v5, v4, v2
	v_fma_f32 v6, -v1, v5, v4
	s_delay_alu instid0(VALU_DEP_1) | instskip(NEXT) | instid1(VALU_DEP_1)
	v_fmac_f32_e32 v5, v6, v2
	v_fma_f32 v1, -v1, v5, v4
	s_delay_alu instid0(VALU_DEP_1) | instskip(NEXT) | instid1(VALU_DEP_1)
	v_div_fmas_f32 v1, v1, v2, v5
	v_div_fixup_f32 v2, v1, v0, 1.0
	s_delay_alu instid0(VALU_DEP_1)
	v_mul_f32_e64 v3, v3, -v2
.LBB87_232:
	s_or_b32 exec_lo, exec_lo, s1
	ds_store_b64 v31, v[2:3]
.LBB87_233:
	s_or_b32 exec_lo, exec_lo, s2
	s_wait_dscnt 0x0
	s_barrier_signal -1
	s_barrier_wait -1
	ds_load_b64 v[228:229], v31
	s_mov_b32 s1, exec_lo
	v_cmpx_lt_u32_e32 25, v30
	s_cbranch_execz .LBB87_235
; %bb.234:
	ds_load_2addr_b64 v[4:7], v12 offset0:26 offset1:27
	s_wait_dscnt 0x1
	v_pk_mul_f32 v[2:3], v[228:229], v[106:107] op_sel:[1,1] op_sel_hi:[0,1]
	s_delay_alu instid0(VALU_DEP_1) | instskip(SKIP_1) | instid1(VALU_DEP_1)
	v_pk_fma_f32 v[0:1], v[228:229], v[106:107], v[2:3] op_sel_hi:[1,0,1] neg_lo:[0,0,1] neg_hi:[0,0,1]
	v_pk_fma_f32 v[2:3], v[228:229], v[106:107], v[2:3] op_sel_hi:[1,0,1]
	v_dual_mov_b32 v106, v0 :: v_dual_mov_b32 v107, v3
	s_wait_dscnt 0x0
	s_delay_alu instid0(VALU_DEP_2) | instskip(NEXT) | instid1(VALU_DEP_1)
	v_pk_mul_f32 v[8:9], v[4:5], v[2:3] op_sel:[0,1]
	v_pk_fma_f32 v[18:19], v[4:5], v[0:1], v[8:9] op_sel:[0,0,1] op_sel_hi:[1,1,0] neg_lo:[0,0,1] neg_hi:[0,0,1]
	v_pk_fma_f32 v[4:5], v[4:5], v[0:1], v[8:9] op_sel:[0,0,1] op_sel_hi:[1,0,0]
	s_delay_alu instid0(VALU_DEP_1) | instskip(SKIP_1) | instid1(VALU_DEP_1)
	v_mov_b32_e32 v19, v5
	v_pk_mul_f32 v[4:5], v[6:7], v[2:3] op_sel:[0,1]
	v_pk_fma_f32 v[8:9], v[6:7], v[0:1], v[4:5] op_sel:[0,0,1] op_sel_hi:[1,1,0] neg_lo:[0,0,1] neg_hi:[0,0,1]
	v_pk_fma_f32 v[4:5], v[6:7], v[0:1], v[4:5] op_sel:[0,0,1] op_sel_hi:[1,0,0]
	s_delay_alu instid0(VALU_DEP_1)
	v_mov_b32_e32 v9, v5
	ds_load_2addr_b64 v[4:7], v12 offset0:28 offset1:29
	v_pk_add_f32 v[108:109], v[108:109], v[18:19] neg_lo:[0,1] neg_hi:[0,1]
	v_pk_add_f32 v[104:105], v[104:105], v[8:9] neg_lo:[0,1] neg_hi:[0,1]
	s_wait_dscnt 0x0
	v_pk_mul_f32 v[8:9], v[4:5], v[2:3] op_sel:[0,1]
	s_delay_alu instid0(VALU_DEP_1) | instskip(SKIP_2) | instid1(VALU_DEP_2)
	v_pk_fma_f32 v[18:19], v[4:5], v[0:1], v[8:9] op_sel:[0,0,1] op_sel_hi:[1,1,0] neg_lo:[0,0,1] neg_hi:[0,0,1]
	v_pk_fma_f32 v[4:5], v[4:5], v[0:1], v[8:9] op_sel:[0,0,1] op_sel_hi:[1,0,0]
	v_dual_mul_f32 v8, v7, v3 :: v_dual_mov_b32 v4, v7
	v_dual_mov_b32 v19, v5 :: v_dual_mov_b32 v5, v6
	s_delay_alu instid0(VALU_DEP_2) | instskip(SKIP_1) | instid1(VALU_DEP_3)
	v_pk_fma_f32 v[8:9], v[6:7], v[106:107], v[8:9] op_sel_hi:[1,1,0] neg_lo:[0,0,1] neg_hi:[0,0,1]
	v_mul_f32_e32 v6, v7, v0
	v_pk_add_f32 v[128:129], v[128:129], v[18:19] neg_lo:[0,1] neg_hi:[0,1]
	s_delay_alu instid0(VALU_DEP_2) | instskip(NEXT) | instid1(VALU_DEP_1)
	v_pk_fma_f32 v[4:5], v[4:5], v[106:107], v[6:7] op_sel_hi:[1,1,0]
	v_mov_b32_e32 v9, v5
	ds_load_2addr_b64 v[4:7], v12 offset0:30 offset1:31
	v_pk_add_f32 v[124:125], v[124:125], v[8:9] neg_lo:[0,1] neg_hi:[0,1]
	s_wait_dscnt 0x0
	v_pk_mul_f32 v[8:9], v[4:5], v[2:3] op_sel:[0,1]
	s_delay_alu instid0(VALU_DEP_1) | instskip(SKIP_1) | instid1(VALU_DEP_1)
	v_pk_fma_f32 v[18:19], v[4:5], v[0:1], v[8:9] op_sel:[0,0,1] op_sel_hi:[1,1,0] neg_lo:[0,0,1] neg_hi:[0,0,1]
	v_pk_fma_f32 v[4:5], v[4:5], v[0:1], v[8:9] op_sel:[0,0,1] op_sel_hi:[1,0,0]
	v_mov_b32_e32 v19, v5
	v_pk_mul_f32 v[4:5], v[6:7], v[2:3] op_sel:[0,1]
	s_delay_alu instid0(VALU_DEP_1) | instskip(SKIP_1) | instid1(VALU_DEP_1)
	v_pk_fma_f32 v[8:9], v[6:7], v[0:1], v[4:5] op_sel:[0,0,1] op_sel_hi:[1,1,0] neg_lo:[0,0,1] neg_hi:[0,0,1]
	v_pk_fma_f32 v[4:5], v[6:7], v[0:1], v[4:5] op_sel:[0,0,1] op_sel_hi:[1,0,0]
	v_mov_b32_e32 v9, v5
	ds_load_2addr_b64 v[4:7], v12 offset0:32 offset1:33
	v_pk_add_f32 v[126:127], v[126:127], v[18:19] neg_lo:[0,1] neg_hi:[0,1]
	v_pk_add_f32 v[122:123], v[122:123], v[8:9] neg_lo:[0,1] neg_hi:[0,1]
	s_wait_dscnt 0x0
	v_pk_mul_f32 v[8:9], v[4:5], v[2:3] op_sel:[0,1]
	s_delay_alu instid0(VALU_DEP_1) | instskip(SKIP_1) | instid1(VALU_DEP_1)
	v_pk_fma_f32 v[18:19], v[4:5], v[0:1], v[8:9] op_sel:[0,0,1] op_sel_hi:[1,1,0] neg_lo:[0,0,1] neg_hi:[0,0,1]
	v_pk_fma_f32 v[4:5], v[4:5], v[0:1], v[8:9] op_sel:[0,0,1] op_sel_hi:[1,0,0]
	v_mov_b32_e32 v19, v5
	v_pk_mul_f32 v[4:5], v[6:7], v[2:3] op_sel:[0,1]
	s_delay_alu instid0(VALU_DEP_1) | instskip(SKIP_1) | instid1(VALU_DEP_1)
	v_pk_fma_f32 v[8:9], v[6:7], v[0:1], v[4:5] op_sel:[0,0,1] op_sel_hi:[1,1,0] neg_lo:[0,0,1] neg_hi:[0,0,1]
	v_pk_fma_f32 v[4:5], v[6:7], v[0:1], v[4:5] op_sel:[0,0,1] op_sel_hi:[1,0,0]
	v_mov_b32_e32 v9, v5
	ds_load_2addr_b64 v[4:7], v12 offset0:34 offset1:35
	v_pk_add_f32 v[148:149], v[148:149], v[18:19] neg_lo:[0,1] neg_hi:[0,1]
	v_pk_add_f32 v[144:145], v[144:145], v[8:9] neg_lo:[0,1] neg_hi:[0,1]
	s_wait_dscnt 0x0
	v_dual_mul_f32 v8, v5, v3 :: v_dual_mul_f32 v18, v5, v0
	s_delay_alu instid0(VALU_DEP_1) | instskip(NEXT) | instid1(VALU_DEP_2)
	v_pk_fma_f32 v[8:9], v[4:5], v[106:107], v[8:9] op_sel_hi:[1,1,0] neg_lo:[0,0,1] neg_hi:[0,0,1]
	v_pk_fma_f32 v[4:5], v[4:5], v[106:107], v[18:19] op_sel:[1,0,0] op_sel_hi:[0,1,0]
	s_delay_alu instid0(VALU_DEP_1) | instskip(SKIP_1) | instid1(VALU_DEP_2)
	v_mov_b32_e32 v9, v5
	v_pk_mul_f32 v[4:5], v[6:7], v[2:3] op_sel:[0,1]
	v_pk_add_f32 v[146:147], v[146:147], v[8:9] neg_lo:[0,1] neg_hi:[0,1]
	s_delay_alu instid0(VALU_DEP_2) | instskip(SKIP_1) | instid1(VALU_DEP_1)
	v_pk_fma_f32 v[8:9], v[6:7], v[0:1], v[4:5] op_sel:[0,0,1] op_sel_hi:[1,1,0] neg_lo:[0,0,1] neg_hi:[0,0,1]
	v_pk_fma_f32 v[4:5], v[6:7], v[0:1], v[4:5] op_sel:[0,0,1] op_sel_hi:[1,0,0]
	v_mov_b32_e32 v9, v5
	ds_load_2addr_b64 v[4:7], v12 offset0:36 offset1:37
	v_pk_add_f32 v[142:143], v[142:143], v[8:9] neg_lo:[0,1] neg_hi:[0,1]
	s_wait_dscnt 0x0
	v_pk_mul_f32 v[8:9], v[4:5], v[2:3] op_sel:[0,1]
	s_delay_alu instid0(VALU_DEP_1) | instskip(SKIP_1) | instid1(VALU_DEP_1)
	v_pk_fma_f32 v[18:19], v[4:5], v[0:1], v[8:9] op_sel:[0,0,1] op_sel_hi:[1,1,0] neg_lo:[0,0,1] neg_hi:[0,0,1]
	v_pk_fma_f32 v[4:5], v[4:5], v[0:1], v[8:9] op_sel:[0,0,1] op_sel_hi:[1,0,0]
	v_mov_b32_e32 v19, v5
	v_pk_mul_f32 v[4:5], v[6:7], v[2:3] op_sel:[0,1]
	s_delay_alu instid0(VALU_DEP_2) | instskip(NEXT) | instid1(VALU_DEP_2)
	v_pk_add_f32 v[170:171], v[170:171], v[18:19] neg_lo:[0,1] neg_hi:[0,1]
	v_pk_fma_f32 v[8:9], v[6:7], v[0:1], v[4:5] op_sel:[0,0,1] op_sel_hi:[1,1,0] neg_lo:[0,0,1] neg_hi:[0,0,1]
	v_pk_fma_f32 v[4:5], v[6:7], v[0:1], v[4:5] op_sel:[0,0,1] op_sel_hi:[1,0,0]
	s_delay_alu instid0(VALU_DEP_1) | instskip(SKIP_4) | instid1(VALU_DEP_1)
	v_mov_b32_e32 v9, v5
	ds_load_2addr_b64 v[4:7], v12 offset0:38 offset1:39
	v_pk_add_f32 v[164:165], v[164:165], v[8:9] neg_lo:[0,1] neg_hi:[0,1]
	s_wait_dscnt 0x0
	v_pk_mul_f32 v[8:9], v[4:5], v[2:3] op_sel:[0,1]
	v_pk_fma_f32 v[18:19], v[4:5], v[0:1], v[8:9] op_sel:[0,0,1] op_sel_hi:[1,1,0] neg_lo:[0,0,1] neg_hi:[0,0,1]
	v_pk_fma_f32 v[4:5], v[4:5], v[0:1], v[8:9] op_sel:[0,0,1] op_sel_hi:[1,0,0]
	v_dual_mul_f32 v8, v7, v3 :: v_dual_mov_b32 v4, v7
	s_delay_alu instid0(VALU_DEP_2) | instskip(NEXT) | instid1(VALU_DEP_2)
	v_dual_mov_b32 v19, v5 :: v_dual_mov_b32 v5, v6
	v_pk_fma_f32 v[8:9], v[6:7], v[106:107], v[8:9] op_sel_hi:[1,1,0] neg_lo:[0,0,1] neg_hi:[0,0,1]
	v_mul_f32_e32 v6, v7, v0
	s_delay_alu instid0(VALU_DEP_3) | instskip(NEXT) | instid1(VALU_DEP_2)
	v_pk_add_f32 v[168:169], v[168:169], v[18:19] neg_lo:[0,1] neg_hi:[0,1]
	v_pk_fma_f32 v[4:5], v[4:5], v[106:107], v[6:7] op_sel_hi:[1,1,0]
	s_delay_alu instid0(VALU_DEP_1) | instskip(SKIP_4) | instid1(VALU_DEP_1)
	v_mov_b32_e32 v9, v5
	ds_load_2addr_b64 v[4:7], v12 offset0:40 offset1:41
	v_pk_add_f32 v[162:163], v[162:163], v[8:9] neg_lo:[0,1] neg_hi:[0,1]
	s_wait_dscnt 0x0
	v_pk_mul_f32 v[8:9], v[4:5], v[2:3] op_sel:[0,1]
	v_pk_fma_f32 v[18:19], v[4:5], v[0:1], v[8:9] op_sel:[0,0,1] op_sel_hi:[1,1,0] neg_lo:[0,0,1] neg_hi:[0,0,1]
	v_pk_fma_f32 v[4:5], v[4:5], v[0:1], v[8:9] op_sel:[0,0,1] op_sel_hi:[1,0,0]
	s_delay_alu instid0(VALU_DEP_1) | instskip(SKIP_1) | instid1(VALU_DEP_1)
	v_mov_b32_e32 v19, v5
	v_pk_mul_f32 v[4:5], v[6:7], v[2:3] op_sel:[0,1]
	v_pk_fma_f32 v[8:9], v[6:7], v[0:1], v[4:5] op_sel:[0,0,1] op_sel_hi:[1,1,0] neg_lo:[0,0,1] neg_hi:[0,0,1]
	v_pk_fma_f32 v[4:5], v[6:7], v[0:1], v[4:5] op_sel:[0,0,1] op_sel_hi:[1,0,0]
	s_delay_alu instid0(VALU_DEP_1)
	v_mov_b32_e32 v9, v5
	ds_load_2addr_b64 v[4:7], v12 offset0:42 offset1:43
	v_pk_add_f32 v[166:167], v[166:167], v[18:19] neg_lo:[0,1] neg_hi:[0,1]
	v_pk_add_f32 v[160:161], v[160:161], v[8:9] neg_lo:[0,1] neg_hi:[0,1]
	s_wait_dscnt 0x0
	v_pk_mul_f32 v[8:9], v[4:5], v[2:3] op_sel:[0,1]
	v_mul_f32_e32 v2, v7, v3
	s_delay_alu instid0(VALU_DEP_2) | instskip(SKIP_2) | instid1(VALU_DEP_4)
	v_pk_fma_f32 v[18:19], v[4:5], v[0:1], v[8:9] op_sel:[0,0,1] op_sel_hi:[1,1,0] neg_lo:[0,0,1] neg_hi:[0,0,1]
	v_pk_fma_f32 v[4:5], v[4:5], v[0:1], v[8:9] op_sel:[0,0,1] op_sel_hi:[1,0,0]
	v_dual_mov_b32 v4, v7 :: v_dual_mul_f32 v0, v7, v0
	v_pk_fma_f32 v[2:3], v[6:7], v[106:107], v[2:3] op_sel_hi:[1,1,0] neg_lo:[0,0,1] neg_hi:[0,0,1]
	s_delay_alu instid0(VALU_DEP_3) | instskip(NEXT) | instid1(VALU_DEP_1)
	v_dual_mov_b32 v19, v5 :: v_dual_mov_b32 v5, v6
	v_pk_add_f32 v[172:173], v[172:173], v[18:19] neg_lo:[0,1] neg_hi:[0,1]
	s_delay_alu instid0(VALU_DEP_2) | instskip(NEXT) | instid1(VALU_DEP_1)
	v_pk_fma_f32 v[0:1], v[4:5], v[106:107], v[0:1] op_sel_hi:[1,1,0]
	v_mov_b32_e32 v3, v1
	s_delay_alu instid0(VALU_DEP_1)
	v_pk_add_f32 v[176:177], v[176:177], v[2:3] neg_lo:[0,1] neg_hi:[0,1]
.LBB87_235:
	s_or_b32 exec_lo, exec_lo, s1
	s_delay_alu instid0(SALU_CYCLE_1)
	s_mov_b32 s2, exec_lo
	s_wait_dscnt 0x0
	s_barrier_signal -1
	s_barrier_wait -1
	v_cmpx_eq_u32_e32 26, v30
	s_cbranch_execz .LBB87_242
; %bb.236:
	ds_store_b64 v31, v[108:109]
	ds_store_2addr_b64 v12, v[104:105], v[128:129] offset0:27 offset1:28
	ds_store_2addr_b64 v12, v[124:125], v[126:127] offset0:29 offset1:30
	;; [unrolled: 1-line block ×8, first 2 shown]
	ds_store_b64 v12, v[176:177] offset:344
	ds_load_b64 v[0:1], v31
	s_wait_dscnt 0x0
	v_cmp_neq_f32_e32 vcc_lo, 0, v0
	v_cmp_neq_f32_e64 s1, 0, v1
	s_or_b32 s1, vcc_lo, s1
	s_delay_alu instid0(SALU_CYCLE_1)
	s_and_b32 exec_lo, exec_lo, s1
	s_cbranch_execz .LBB87_242
; %bb.237:
	v_cmp_ngt_f32_e64 s1, |v0|, |v1|
                                        ; implicit-def: $vgpr2_vgpr3
	s_and_saveexec_b32 s4, s1
	s_delay_alu instid0(SALU_CYCLE_1)
	s_xor_b32 s1, exec_lo, s4
	s_cbranch_execz .LBB87_239
; %bb.238:
	v_div_scale_f32 v2, null, v1, v1, v0
	v_div_scale_f32 v5, vcc_lo, v0, v1, v0
	s_delay_alu instid0(VALU_DEP_2) | instskip(SKIP_1) | instid1(TRANS32_DEP_1)
	v_rcp_f32_e32 v3, v2
	v_nop
	v_fma_f32 v4, -v2, v3, 1.0
	s_delay_alu instid0(VALU_DEP_1) | instskip(NEXT) | instid1(VALU_DEP_1)
	v_fmac_f32_e32 v3, v4, v3
	v_mul_f32_e32 v4, v5, v3
	s_delay_alu instid0(VALU_DEP_1) | instskip(NEXT) | instid1(VALU_DEP_1)
	v_fma_f32 v6, -v2, v4, v5
	v_fmac_f32_e32 v4, v6, v3
	s_delay_alu instid0(VALU_DEP_1) | instskip(NEXT) | instid1(VALU_DEP_1)
	v_fma_f32 v2, -v2, v4, v5
	v_div_fmas_f32 v2, v2, v3, v4
	s_delay_alu instid0(VALU_DEP_1) | instskip(NEXT) | instid1(VALU_DEP_1)
	v_div_fixup_f32 v2, v2, v1, v0
	v_fmac_f32_e32 v1, v0, v2
	s_delay_alu instid0(VALU_DEP_1) | instskip(SKIP_1) | instid1(VALU_DEP_2)
	v_div_scale_f32 v0, null, v1, v1, 1.0
	v_div_scale_f32 v5, vcc_lo, 1.0, v1, 1.0
	v_rcp_f32_e32 v3, v0
	v_nop
	s_delay_alu instid0(TRANS32_DEP_1) | instskip(NEXT) | instid1(VALU_DEP_1)
	v_fma_f32 v4, -v0, v3, 1.0
	v_fmac_f32_e32 v3, v4, v3
	s_delay_alu instid0(VALU_DEP_1) | instskip(NEXT) | instid1(VALU_DEP_1)
	v_mul_f32_e32 v4, v5, v3
	v_fma_f32 v6, -v0, v4, v5
	s_delay_alu instid0(VALU_DEP_1) | instskip(NEXT) | instid1(VALU_DEP_1)
	v_fmac_f32_e32 v4, v6, v3
	v_fma_f32 v0, -v0, v4, v5
	s_delay_alu instid0(VALU_DEP_1) | instskip(NEXT) | instid1(VALU_DEP_1)
	v_div_fmas_f32 v0, v0, v3, v4
	v_div_fixup_f32 v0, v0, v1, 1.0
	s_delay_alu instid0(VALU_DEP_1)
	v_mul_f32_e32 v2, v2, v0
	v_xor_b32_e32 v3, 0x80000000, v0
                                        ; implicit-def: $vgpr0_vgpr1
.LBB87_239:
	s_and_not1_saveexec_b32 s1, s1
	s_cbranch_execz .LBB87_241
; %bb.240:
	v_div_scale_f32 v2, null, v0, v0, v1
	v_div_scale_f32 v5, vcc_lo, v1, v0, v1
	s_delay_alu instid0(VALU_DEP_2) | instskip(SKIP_1) | instid1(TRANS32_DEP_1)
	v_rcp_f32_e32 v3, v2
	v_nop
	v_fma_f32 v4, -v2, v3, 1.0
	s_delay_alu instid0(VALU_DEP_1) | instskip(NEXT) | instid1(VALU_DEP_1)
	v_fmac_f32_e32 v3, v4, v3
	v_mul_f32_e32 v4, v5, v3
	s_delay_alu instid0(VALU_DEP_1) | instskip(NEXT) | instid1(VALU_DEP_1)
	v_fma_f32 v6, -v2, v4, v5
	v_fmac_f32_e32 v4, v6, v3
	s_delay_alu instid0(VALU_DEP_1) | instskip(NEXT) | instid1(VALU_DEP_1)
	v_fma_f32 v2, -v2, v4, v5
	v_div_fmas_f32 v2, v2, v3, v4
	s_delay_alu instid0(VALU_DEP_1) | instskip(NEXT) | instid1(VALU_DEP_1)
	v_div_fixup_f32 v3, v2, v0, v1
	v_fmac_f32_e32 v0, v1, v3
	s_delay_alu instid0(VALU_DEP_1) | instskip(NEXT) | instid1(VALU_DEP_1)
	v_div_scale_f32 v1, null, v0, v0, 1.0
	v_rcp_f32_e32 v2, v1
	v_nop
	s_delay_alu instid0(TRANS32_DEP_1) | instskip(NEXT) | instid1(VALU_DEP_1)
	v_fma_f32 v4, -v1, v2, 1.0
	v_fmac_f32_e32 v2, v4, v2
	v_div_scale_f32 v4, vcc_lo, 1.0, v0, 1.0
	s_delay_alu instid0(VALU_DEP_1) | instskip(NEXT) | instid1(VALU_DEP_1)
	v_mul_f32_e32 v5, v4, v2
	v_fma_f32 v6, -v1, v5, v4
	s_delay_alu instid0(VALU_DEP_1) | instskip(NEXT) | instid1(VALU_DEP_1)
	v_fmac_f32_e32 v5, v6, v2
	v_fma_f32 v1, -v1, v5, v4
	s_delay_alu instid0(VALU_DEP_1) | instskip(NEXT) | instid1(VALU_DEP_1)
	v_div_fmas_f32 v1, v1, v2, v5
	v_div_fixup_f32 v2, v1, v0, 1.0
	s_delay_alu instid0(VALU_DEP_1)
	v_mul_f32_e64 v3, v3, -v2
.LBB87_241:
	s_or_b32 exec_lo, exec_lo, s1
	ds_store_b64 v31, v[2:3]
.LBB87_242:
	s_or_b32 exec_lo, exec_lo, s2
	s_wait_dscnt 0x0
	s_barrier_signal -1
	s_barrier_wait -1
	ds_load_b64 v[230:231], v31
	s_mov_b32 s1, exec_lo
	v_cmpx_lt_u32_e32 26, v30
	s_cbranch_execz .LBB87_244
; %bb.243:
	ds_load_2addr_b64 v[4:7], v12 offset0:27 offset1:28
	s_wait_dscnt 0x1
	v_pk_mul_f32 v[2:3], v[230:231], v[108:109] op_sel:[1,1] op_sel_hi:[0,1]
	s_delay_alu instid0(VALU_DEP_1) | instskip(SKIP_1) | instid1(VALU_DEP_1)
	v_pk_fma_f32 v[0:1], v[230:231], v[108:109], v[2:3] op_sel_hi:[1,0,1] neg_lo:[0,0,1] neg_hi:[0,0,1]
	v_pk_fma_f32 v[2:3], v[230:231], v[108:109], v[2:3] op_sel_hi:[1,0,1]
	v_dual_mov_b32 v108, v0 :: v_dual_mov_b32 v109, v3
	s_wait_dscnt 0x0
	s_delay_alu instid0(VALU_DEP_2) | instskip(NEXT) | instid1(VALU_DEP_1)
	v_pk_mul_f32 v[8:9], v[4:5], v[2:3] op_sel:[0,1]
	v_pk_fma_f32 v[18:19], v[4:5], v[0:1], v[8:9] op_sel:[0,0,1] op_sel_hi:[1,1,0] neg_lo:[0,0,1] neg_hi:[0,0,1]
	v_pk_fma_f32 v[4:5], v[4:5], v[0:1], v[8:9] op_sel:[0,0,1] op_sel_hi:[1,0,0]
	s_delay_alu instid0(VALU_DEP_1) | instskip(SKIP_1) | instid1(VALU_DEP_1)
	v_mov_b32_e32 v19, v5
	v_pk_mul_f32 v[4:5], v[6:7], v[2:3] op_sel:[0,1]
	v_pk_fma_f32 v[8:9], v[6:7], v[0:1], v[4:5] op_sel:[0,0,1] op_sel_hi:[1,1,0] neg_lo:[0,0,1] neg_hi:[0,0,1]
	v_pk_fma_f32 v[4:5], v[6:7], v[0:1], v[4:5] op_sel:[0,0,1] op_sel_hi:[1,0,0]
	s_delay_alu instid0(VALU_DEP_1)
	v_mov_b32_e32 v9, v5
	ds_load_2addr_b64 v[4:7], v12 offset0:29 offset1:30
	v_pk_add_f32 v[104:105], v[104:105], v[18:19] neg_lo:[0,1] neg_hi:[0,1]
	v_pk_add_f32 v[128:129], v[128:129], v[8:9] neg_lo:[0,1] neg_hi:[0,1]
	s_wait_dscnt 0x0
	v_pk_mul_f32 v[8:9], v[4:5], v[2:3] op_sel:[0,1]
	s_delay_alu instid0(VALU_DEP_1) | instskip(SKIP_2) | instid1(VALU_DEP_2)
	v_pk_fma_f32 v[18:19], v[4:5], v[0:1], v[8:9] op_sel:[0,0,1] op_sel_hi:[1,1,0] neg_lo:[0,0,1] neg_hi:[0,0,1]
	v_pk_fma_f32 v[4:5], v[4:5], v[0:1], v[8:9] op_sel:[0,0,1] op_sel_hi:[1,0,0]
	v_dual_mul_f32 v8, v7, v3 :: v_dual_mov_b32 v4, v7
	v_dual_mov_b32 v19, v5 :: v_dual_mov_b32 v5, v6
	s_delay_alu instid0(VALU_DEP_2) | instskip(SKIP_1) | instid1(VALU_DEP_3)
	v_pk_fma_f32 v[8:9], v[6:7], v[108:109], v[8:9] op_sel_hi:[1,1,0] neg_lo:[0,0,1] neg_hi:[0,0,1]
	v_mul_f32_e32 v6, v7, v0
	v_pk_add_f32 v[124:125], v[124:125], v[18:19] neg_lo:[0,1] neg_hi:[0,1]
	s_delay_alu instid0(VALU_DEP_2) | instskip(NEXT) | instid1(VALU_DEP_1)
	v_pk_fma_f32 v[4:5], v[4:5], v[108:109], v[6:7] op_sel_hi:[1,1,0]
	v_mov_b32_e32 v9, v5
	ds_load_2addr_b64 v[4:7], v12 offset0:31 offset1:32
	v_pk_add_f32 v[126:127], v[126:127], v[8:9] neg_lo:[0,1] neg_hi:[0,1]
	s_wait_dscnt 0x0
	v_pk_mul_f32 v[8:9], v[4:5], v[2:3] op_sel:[0,1]
	s_delay_alu instid0(VALU_DEP_1) | instskip(SKIP_1) | instid1(VALU_DEP_1)
	v_pk_fma_f32 v[18:19], v[4:5], v[0:1], v[8:9] op_sel:[0,0,1] op_sel_hi:[1,1,0] neg_lo:[0,0,1] neg_hi:[0,0,1]
	v_pk_fma_f32 v[4:5], v[4:5], v[0:1], v[8:9] op_sel:[0,0,1] op_sel_hi:[1,0,0]
	v_mov_b32_e32 v19, v5
	v_pk_mul_f32 v[4:5], v[6:7], v[2:3] op_sel:[0,1]
	s_delay_alu instid0(VALU_DEP_1) | instskip(SKIP_1) | instid1(VALU_DEP_1)
	v_pk_fma_f32 v[8:9], v[6:7], v[0:1], v[4:5] op_sel:[0,0,1] op_sel_hi:[1,1,0] neg_lo:[0,0,1] neg_hi:[0,0,1]
	v_pk_fma_f32 v[4:5], v[6:7], v[0:1], v[4:5] op_sel:[0,0,1] op_sel_hi:[1,0,0]
	v_mov_b32_e32 v9, v5
	ds_load_2addr_b64 v[4:7], v12 offset0:33 offset1:34
	v_pk_add_f32 v[122:123], v[122:123], v[18:19] neg_lo:[0,1] neg_hi:[0,1]
	v_pk_add_f32 v[148:149], v[148:149], v[8:9] neg_lo:[0,1] neg_hi:[0,1]
	s_wait_dscnt 0x0
	v_pk_mul_f32 v[8:9], v[4:5], v[2:3] op_sel:[0,1]
	s_delay_alu instid0(VALU_DEP_1) | instskip(SKIP_1) | instid1(VALU_DEP_1)
	v_pk_fma_f32 v[18:19], v[4:5], v[0:1], v[8:9] op_sel:[0,0,1] op_sel_hi:[1,1,0] neg_lo:[0,0,1] neg_hi:[0,0,1]
	v_pk_fma_f32 v[4:5], v[4:5], v[0:1], v[8:9] op_sel:[0,0,1] op_sel_hi:[1,0,0]
	v_mov_b32_e32 v19, v5
	v_pk_mul_f32 v[4:5], v[6:7], v[2:3] op_sel:[0,1]
	s_delay_alu instid0(VALU_DEP_1) | instskip(SKIP_1) | instid1(VALU_DEP_1)
	v_pk_fma_f32 v[8:9], v[6:7], v[0:1], v[4:5] op_sel:[0,0,1] op_sel_hi:[1,1,0] neg_lo:[0,0,1] neg_hi:[0,0,1]
	v_pk_fma_f32 v[4:5], v[6:7], v[0:1], v[4:5] op_sel:[0,0,1] op_sel_hi:[1,0,0]
	v_mov_b32_e32 v9, v5
	ds_load_2addr_b64 v[4:7], v12 offset0:35 offset1:36
	v_pk_add_f32 v[144:145], v[144:145], v[18:19] neg_lo:[0,1] neg_hi:[0,1]
	v_pk_add_f32 v[146:147], v[146:147], v[8:9] neg_lo:[0,1] neg_hi:[0,1]
	s_wait_dscnt 0x0
	v_dual_mul_f32 v8, v5, v3 :: v_dual_mul_f32 v18, v5, v0
	s_delay_alu instid0(VALU_DEP_1) | instskip(NEXT) | instid1(VALU_DEP_2)
	v_pk_fma_f32 v[8:9], v[4:5], v[108:109], v[8:9] op_sel_hi:[1,1,0] neg_lo:[0,0,1] neg_hi:[0,0,1]
	v_pk_fma_f32 v[4:5], v[4:5], v[108:109], v[18:19] op_sel:[1,0,0] op_sel_hi:[0,1,0]
	s_delay_alu instid0(VALU_DEP_1) | instskip(SKIP_1) | instid1(VALU_DEP_2)
	v_mov_b32_e32 v9, v5
	v_pk_mul_f32 v[4:5], v[6:7], v[2:3] op_sel:[0,1]
	v_pk_add_f32 v[142:143], v[142:143], v[8:9] neg_lo:[0,1] neg_hi:[0,1]
	s_delay_alu instid0(VALU_DEP_2) | instskip(SKIP_1) | instid1(VALU_DEP_1)
	v_pk_fma_f32 v[8:9], v[6:7], v[0:1], v[4:5] op_sel:[0,0,1] op_sel_hi:[1,1,0] neg_lo:[0,0,1] neg_hi:[0,0,1]
	v_pk_fma_f32 v[4:5], v[6:7], v[0:1], v[4:5] op_sel:[0,0,1] op_sel_hi:[1,0,0]
	v_mov_b32_e32 v9, v5
	ds_load_2addr_b64 v[4:7], v12 offset0:37 offset1:38
	v_pk_add_f32 v[170:171], v[170:171], v[8:9] neg_lo:[0,1] neg_hi:[0,1]
	s_wait_dscnt 0x0
	v_pk_mul_f32 v[8:9], v[4:5], v[2:3] op_sel:[0,1]
	s_delay_alu instid0(VALU_DEP_1) | instskip(SKIP_1) | instid1(VALU_DEP_1)
	v_pk_fma_f32 v[18:19], v[4:5], v[0:1], v[8:9] op_sel:[0,0,1] op_sel_hi:[1,1,0] neg_lo:[0,0,1] neg_hi:[0,0,1]
	v_pk_fma_f32 v[4:5], v[4:5], v[0:1], v[8:9] op_sel:[0,0,1] op_sel_hi:[1,0,0]
	v_mov_b32_e32 v19, v5
	v_pk_mul_f32 v[4:5], v[6:7], v[2:3] op_sel:[0,1]
	s_delay_alu instid0(VALU_DEP_2) | instskip(NEXT) | instid1(VALU_DEP_2)
	v_pk_add_f32 v[164:165], v[164:165], v[18:19] neg_lo:[0,1] neg_hi:[0,1]
	v_pk_fma_f32 v[8:9], v[6:7], v[0:1], v[4:5] op_sel:[0,0,1] op_sel_hi:[1,1,0] neg_lo:[0,0,1] neg_hi:[0,0,1]
	v_pk_fma_f32 v[4:5], v[6:7], v[0:1], v[4:5] op_sel:[0,0,1] op_sel_hi:[1,0,0]
	s_delay_alu instid0(VALU_DEP_1) | instskip(SKIP_4) | instid1(VALU_DEP_1)
	v_mov_b32_e32 v9, v5
	ds_load_2addr_b64 v[4:7], v12 offset0:39 offset1:40
	v_pk_add_f32 v[168:169], v[168:169], v[8:9] neg_lo:[0,1] neg_hi:[0,1]
	s_wait_dscnt 0x0
	v_pk_mul_f32 v[8:9], v[4:5], v[2:3] op_sel:[0,1]
	v_pk_fma_f32 v[18:19], v[4:5], v[0:1], v[8:9] op_sel:[0,0,1] op_sel_hi:[1,1,0] neg_lo:[0,0,1] neg_hi:[0,0,1]
	v_pk_fma_f32 v[4:5], v[4:5], v[0:1], v[8:9] op_sel:[0,0,1] op_sel_hi:[1,0,0]
	v_dual_mul_f32 v8, v7, v3 :: v_dual_mov_b32 v4, v7
	s_delay_alu instid0(VALU_DEP_2) | instskip(NEXT) | instid1(VALU_DEP_2)
	v_dual_mov_b32 v19, v5 :: v_dual_mov_b32 v5, v6
	v_pk_fma_f32 v[8:9], v[6:7], v[108:109], v[8:9] op_sel_hi:[1,1,0] neg_lo:[0,0,1] neg_hi:[0,0,1]
	v_mul_f32_e32 v6, v7, v0
	s_delay_alu instid0(VALU_DEP_3) | instskip(NEXT) | instid1(VALU_DEP_2)
	v_pk_add_f32 v[162:163], v[162:163], v[18:19] neg_lo:[0,1] neg_hi:[0,1]
	v_pk_fma_f32 v[4:5], v[4:5], v[108:109], v[6:7] op_sel_hi:[1,1,0]
	s_delay_alu instid0(VALU_DEP_1) | instskip(SKIP_4) | instid1(VALU_DEP_1)
	v_mov_b32_e32 v9, v5
	ds_load_2addr_b64 v[4:7], v12 offset0:41 offset1:42
	v_pk_add_f32 v[166:167], v[166:167], v[8:9] neg_lo:[0,1] neg_hi:[0,1]
	s_wait_dscnt 0x0
	v_pk_mul_f32 v[8:9], v[4:5], v[2:3] op_sel:[0,1]
	v_pk_fma_f32 v[18:19], v[4:5], v[0:1], v[8:9] op_sel:[0,0,1] op_sel_hi:[1,1,0] neg_lo:[0,0,1] neg_hi:[0,0,1]
	v_pk_fma_f32 v[4:5], v[4:5], v[0:1], v[8:9] op_sel:[0,0,1] op_sel_hi:[1,0,0]
	s_delay_alu instid0(VALU_DEP_1) | instskip(SKIP_1) | instid1(VALU_DEP_1)
	v_mov_b32_e32 v19, v5
	v_pk_mul_f32 v[4:5], v[6:7], v[2:3] op_sel:[0,1]
	v_pk_fma_f32 v[8:9], v[6:7], v[0:1], v[4:5] op_sel:[0,0,1] op_sel_hi:[1,1,0] neg_lo:[0,0,1] neg_hi:[0,0,1]
	v_pk_fma_f32 v[4:5], v[6:7], v[0:1], v[4:5] op_sel:[0,0,1] op_sel_hi:[1,0,0]
	s_delay_alu instid0(VALU_DEP_1)
	v_mov_b32_e32 v9, v5
	ds_load_b64 v[4:5], v12 offset:344
	v_pk_add_f32 v[160:161], v[160:161], v[18:19] neg_lo:[0,1] neg_hi:[0,1]
	v_pk_add_f32 v[172:173], v[172:173], v[8:9] neg_lo:[0,1] neg_hi:[0,1]
	s_wait_dscnt 0x0
	v_pk_mul_f32 v[2:3], v[4:5], v[2:3] op_sel:[0,1]
	s_delay_alu instid0(VALU_DEP_1) | instskip(SKIP_1) | instid1(VALU_DEP_1)
	v_pk_fma_f32 v[6:7], v[4:5], v[0:1], v[2:3] op_sel:[0,0,1] op_sel_hi:[1,1,0] neg_lo:[0,0,1] neg_hi:[0,0,1]
	v_pk_fma_f32 v[0:1], v[4:5], v[0:1], v[2:3] op_sel:[0,0,1] op_sel_hi:[1,0,0]
	v_mov_b32_e32 v7, v1
	s_delay_alu instid0(VALU_DEP_1)
	v_pk_add_f32 v[176:177], v[176:177], v[6:7] neg_lo:[0,1] neg_hi:[0,1]
.LBB87_244:
	s_or_b32 exec_lo, exec_lo, s1
	s_delay_alu instid0(SALU_CYCLE_1)
	s_mov_b32 s2, exec_lo
	s_wait_dscnt 0x0
	s_barrier_signal -1
	s_barrier_wait -1
	v_cmpx_eq_u32_e32 27, v30
	s_cbranch_execz .LBB87_251
; %bb.245:
	v_dual_mov_b32 v0, v128 :: v_dual_mov_b32 v1, v129
	v_dual_mov_b32 v2, v124 :: v_dual_mov_b32 v3, v125
	ds_store_b64 v31, v[104:105]
	ds_store_2addr_b64 v12, v[0:1], v[2:3] offset0:28 offset1:29
	v_dual_mov_b32 v0, v126 :: v_dual_mov_b32 v1, v127
	v_dual_mov_b32 v2, v122 :: v_dual_mov_b32 v3, v123
	ds_store_2addr_b64 v12, v[0:1], v[2:3] offset0:30 offset1:31
	v_dual_mov_b32 v0, v148 :: v_dual_mov_b32 v1, v149
	v_dual_mov_b32 v2, v144 :: v_dual_mov_b32 v3, v145
	;; [unrolled: 3-line block ×6, first 2 shown]
	ds_store_2addr_b64 v12, v[0:1], v[2:3] offset0:40 offset1:41
	v_dual_mov_b32 v0, v172 :: v_dual_mov_b32 v1, v173
	ds_store_2addr_b64 v12, v[0:1], v[176:177] offset0:42 offset1:43
	ds_load_b64 v[0:1], v31
	s_wait_dscnt 0x0
	v_cmp_neq_f32_e32 vcc_lo, 0, v0
	v_cmp_neq_f32_e64 s1, 0, v1
	s_or_b32 s1, vcc_lo, s1
	s_delay_alu instid0(SALU_CYCLE_1)
	s_and_b32 exec_lo, exec_lo, s1
	s_cbranch_execz .LBB87_251
; %bb.246:
	v_cmp_ngt_f32_e64 s1, |v0|, |v1|
                                        ; implicit-def: $vgpr2_vgpr3
	s_and_saveexec_b32 s4, s1
	s_delay_alu instid0(SALU_CYCLE_1)
	s_xor_b32 s1, exec_lo, s4
	s_cbranch_execz .LBB87_248
; %bb.247:
	v_div_scale_f32 v2, null, v1, v1, v0
	v_div_scale_f32 v5, vcc_lo, v0, v1, v0
	s_delay_alu instid0(VALU_DEP_2) | instskip(SKIP_1) | instid1(TRANS32_DEP_1)
	v_rcp_f32_e32 v3, v2
	v_nop
	v_fma_f32 v4, -v2, v3, 1.0
	s_delay_alu instid0(VALU_DEP_1) | instskip(NEXT) | instid1(VALU_DEP_1)
	v_fmac_f32_e32 v3, v4, v3
	v_mul_f32_e32 v4, v5, v3
	s_delay_alu instid0(VALU_DEP_1) | instskip(NEXT) | instid1(VALU_DEP_1)
	v_fma_f32 v6, -v2, v4, v5
	v_fmac_f32_e32 v4, v6, v3
	s_delay_alu instid0(VALU_DEP_1) | instskip(NEXT) | instid1(VALU_DEP_1)
	v_fma_f32 v2, -v2, v4, v5
	v_div_fmas_f32 v2, v2, v3, v4
	s_delay_alu instid0(VALU_DEP_1) | instskip(NEXT) | instid1(VALU_DEP_1)
	v_div_fixup_f32 v2, v2, v1, v0
	v_fmac_f32_e32 v1, v0, v2
	s_delay_alu instid0(VALU_DEP_1) | instskip(SKIP_1) | instid1(VALU_DEP_2)
	v_div_scale_f32 v0, null, v1, v1, 1.0
	v_div_scale_f32 v5, vcc_lo, 1.0, v1, 1.0
	v_rcp_f32_e32 v3, v0
	v_nop
	s_delay_alu instid0(TRANS32_DEP_1) | instskip(NEXT) | instid1(VALU_DEP_1)
	v_fma_f32 v4, -v0, v3, 1.0
	v_fmac_f32_e32 v3, v4, v3
	s_delay_alu instid0(VALU_DEP_1) | instskip(NEXT) | instid1(VALU_DEP_1)
	v_mul_f32_e32 v4, v5, v3
	v_fma_f32 v6, -v0, v4, v5
	s_delay_alu instid0(VALU_DEP_1) | instskip(NEXT) | instid1(VALU_DEP_1)
	v_fmac_f32_e32 v4, v6, v3
	v_fma_f32 v0, -v0, v4, v5
	s_delay_alu instid0(VALU_DEP_1) | instskip(NEXT) | instid1(VALU_DEP_1)
	v_div_fmas_f32 v0, v0, v3, v4
	v_div_fixup_f32 v0, v0, v1, 1.0
	s_delay_alu instid0(VALU_DEP_1)
	v_mul_f32_e32 v2, v2, v0
	v_xor_b32_e32 v3, 0x80000000, v0
                                        ; implicit-def: $vgpr0_vgpr1
.LBB87_248:
	s_and_not1_saveexec_b32 s1, s1
	s_cbranch_execz .LBB87_250
; %bb.249:
	v_div_scale_f32 v2, null, v0, v0, v1
	v_div_scale_f32 v5, vcc_lo, v1, v0, v1
	s_delay_alu instid0(VALU_DEP_2) | instskip(SKIP_1) | instid1(TRANS32_DEP_1)
	v_rcp_f32_e32 v3, v2
	v_nop
	v_fma_f32 v4, -v2, v3, 1.0
	s_delay_alu instid0(VALU_DEP_1) | instskip(NEXT) | instid1(VALU_DEP_1)
	v_fmac_f32_e32 v3, v4, v3
	v_mul_f32_e32 v4, v5, v3
	s_delay_alu instid0(VALU_DEP_1) | instskip(NEXT) | instid1(VALU_DEP_1)
	v_fma_f32 v6, -v2, v4, v5
	v_fmac_f32_e32 v4, v6, v3
	s_delay_alu instid0(VALU_DEP_1) | instskip(NEXT) | instid1(VALU_DEP_1)
	v_fma_f32 v2, -v2, v4, v5
	v_div_fmas_f32 v2, v2, v3, v4
	s_delay_alu instid0(VALU_DEP_1) | instskip(NEXT) | instid1(VALU_DEP_1)
	v_div_fixup_f32 v3, v2, v0, v1
	v_fmac_f32_e32 v0, v1, v3
	s_delay_alu instid0(VALU_DEP_1) | instskip(NEXT) | instid1(VALU_DEP_1)
	v_div_scale_f32 v1, null, v0, v0, 1.0
	v_rcp_f32_e32 v2, v1
	v_nop
	s_delay_alu instid0(TRANS32_DEP_1) | instskip(NEXT) | instid1(VALU_DEP_1)
	v_fma_f32 v4, -v1, v2, 1.0
	v_fmac_f32_e32 v2, v4, v2
	v_div_scale_f32 v4, vcc_lo, 1.0, v0, 1.0
	s_delay_alu instid0(VALU_DEP_1) | instskip(NEXT) | instid1(VALU_DEP_1)
	v_mul_f32_e32 v5, v4, v2
	v_fma_f32 v6, -v1, v5, v4
	s_delay_alu instid0(VALU_DEP_1) | instskip(NEXT) | instid1(VALU_DEP_1)
	v_fmac_f32_e32 v5, v6, v2
	v_fma_f32 v1, -v1, v5, v4
	s_delay_alu instid0(VALU_DEP_1) | instskip(NEXT) | instid1(VALU_DEP_1)
	v_div_fmas_f32 v1, v1, v2, v5
	v_div_fixup_f32 v2, v1, v0, 1.0
	s_delay_alu instid0(VALU_DEP_1)
	v_mul_f32_e64 v3, v3, -v2
.LBB87_250:
	s_or_b32 exec_lo, exec_lo, s1
	ds_store_b64 v31, v[2:3]
.LBB87_251:
	s_or_b32 exec_lo, exec_lo, s2
	s_wait_dscnt 0x0
	s_barrier_signal -1
	s_barrier_wait -1
	ds_load_b64 v[232:233], v31
	s_mov_b32 s1, exec_lo
	v_cmpx_lt_u32_e32 27, v30
	s_cbranch_execz .LBB87_253
; %bb.252:
	ds_load_2addr_b64 v[4:7], v12 offset0:28 offset1:29
	s_wait_dscnt 0x1
	v_pk_mul_f32 v[2:3], v[232:233], v[104:105] op_sel:[1,1] op_sel_hi:[0,1]
	s_delay_alu instid0(VALU_DEP_1) | instskip(SKIP_1) | instid1(VALU_DEP_1)
	v_pk_fma_f32 v[0:1], v[232:233], v[104:105], v[2:3] op_sel_hi:[1,0,1] neg_lo:[0,0,1] neg_hi:[0,0,1]
	v_pk_fma_f32 v[2:3], v[232:233], v[104:105], v[2:3] op_sel_hi:[1,0,1]
	v_dual_mov_b32 v104, v0 :: v_dual_mov_b32 v105, v3
	s_wait_dscnt 0x0
	s_delay_alu instid0(VALU_DEP_2) | instskip(NEXT) | instid1(VALU_DEP_1)
	v_pk_mul_f32 v[8:9], v[4:5], v[2:3] op_sel:[0,1]
	v_pk_fma_f32 v[18:19], v[4:5], v[0:1], v[8:9] op_sel:[0,0,1] op_sel_hi:[1,1,0] neg_lo:[0,0,1] neg_hi:[0,0,1]
	v_pk_fma_f32 v[4:5], v[4:5], v[0:1], v[8:9] op_sel:[0,0,1] op_sel_hi:[1,0,0]
	s_delay_alu instid0(VALU_DEP_1) | instskip(SKIP_1) | instid1(VALU_DEP_1)
	v_mov_b32_e32 v19, v5
	v_pk_mul_f32 v[4:5], v[6:7], v[2:3] op_sel:[0,1]
	v_pk_fma_f32 v[8:9], v[6:7], v[0:1], v[4:5] op_sel:[0,0,1] op_sel_hi:[1,1,0] neg_lo:[0,0,1] neg_hi:[0,0,1]
	v_pk_fma_f32 v[4:5], v[6:7], v[0:1], v[4:5] op_sel:[0,0,1] op_sel_hi:[1,0,0]
	s_delay_alu instid0(VALU_DEP_1)
	v_mov_b32_e32 v9, v5
	ds_load_2addr_b64 v[4:7], v12 offset0:30 offset1:31
	v_pk_add_f32 v[128:129], v[128:129], v[18:19] neg_lo:[0,1] neg_hi:[0,1]
	v_pk_add_f32 v[124:125], v[124:125], v[8:9] neg_lo:[0,1] neg_hi:[0,1]
	s_wait_dscnt 0x0
	v_pk_mul_f32 v[8:9], v[4:5], v[2:3] op_sel:[0,1]
	s_delay_alu instid0(VALU_DEP_1) | instskip(SKIP_2) | instid1(VALU_DEP_2)
	v_pk_fma_f32 v[18:19], v[4:5], v[0:1], v[8:9] op_sel:[0,0,1] op_sel_hi:[1,1,0] neg_lo:[0,0,1] neg_hi:[0,0,1]
	v_pk_fma_f32 v[4:5], v[4:5], v[0:1], v[8:9] op_sel:[0,0,1] op_sel_hi:[1,0,0]
	v_dual_mul_f32 v8, v7, v3 :: v_dual_mov_b32 v4, v7
	v_dual_mov_b32 v19, v5 :: v_dual_mov_b32 v5, v6
	s_delay_alu instid0(VALU_DEP_2) | instskip(SKIP_1) | instid1(VALU_DEP_3)
	v_pk_fma_f32 v[8:9], v[6:7], v[104:105], v[8:9] op_sel_hi:[1,1,0] neg_lo:[0,0,1] neg_hi:[0,0,1]
	v_mul_f32_e32 v6, v7, v0
	v_pk_add_f32 v[126:127], v[126:127], v[18:19] neg_lo:[0,1] neg_hi:[0,1]
	s_delay_alu instid0(VALU_DEP_2) | instskip(NEXT) | instid1(VALU_DEP_1)
	v_pk_fma_f32 v[4:5], v[4:5], v[104:105], v[6:7] op_sel_hi:[1,1,0]
	v_mov_b32_e32 v9, v5
	ds_load_2addr_b64 v[4:7], v12 offset0:32 offset1:33
	v_pk_add_f32 v[122:123], v[122:123], v[8:9] neg_lo:[0,1] neg_hi:[0,1]
	s_wait_dscnt 0x0
	v_pk_mul_f32 v[8:9], v[4:5], v[2:3] op_sel:[0,1]
	s_delay_alu instid0(VALU_DEP_1) | instskip(SKIP_1) | instid1(VALU_DEP_1)
	v_pk_fma_f32 v[18:19], v[4:5], v[0:1], v[8:9] op_sel:[0,0,1] op_sel_hi:[1,1,0] neg_lo:[0,0,1] neg_hi:[0,0,1]
	v_pk_fma_f32 v[4:5], v[4:5], v[0:1], v[8:9] op_sel:[0,0,1] op_sel_hi:[1,0,0]
	v_mov_b32_e32 v19, v5
	v_pk_mul_f32 v[4:5], v[6:7], v[2:3] op_sel:[0,1]
	s_delay_alu instid0(VALU_DEP_1) | instskip(SKIP_1) | instid1(VALU_DEP_1)
	v_pk_fma_f32 v[8:9], v[6:7], v[0:1], v[4:5] op_sel:[0,0,1] op_sel_hi:[1,1,0] neg_lo:[0,0,1] neg_hi:[0,0,1]
	v_pk_fma_f32 v[4:5], v[6:7], v[0:1], v[4:5] op_sel:[0,0,1] op_sel_hi:[1,0,0]
	v_mov_b32_e32 v9, v5
	ds_load_2addr_b64 v[4:7], v12 offset0:34 offset1:35
	v_pk_add_f32 v[148:149], v[148:149], v[18:19] neg_lo:[0,1] neg_hi:[0,1]
	v_pk_add_f32 v[144:145], v[144:145], v[8:9] neg_lo:[0,1] neg_hi:[0,1]
	s_wait_dscnt 0x0
	v_pk_mul_f32 v[8:9], v[4:5], v[2:3] op_sel:[0,1]
	s_delay_alu instid0(VALU_DEP_1) | instskip(SKIP_1) | instid1(VALU_DEP_1)
	v_pk_fma_f32 v[18:19], v[4:5], v[0:1], v[8:9] op_sel:[0,0,1] op_sel_hi:[1,1,0] neg_lo:[0,0,1] neg_hi:[0,0,1]
	v_pk_fma_f32 v[4:5], v[4:5], v[0:1], v[8:9] op_sel:[0,0,1] op_sel_hi:[1,0,0]
	v_mov_b32_e32 v19, v5
	v_pk_mul_f32 v[4:5], v[6:7], v[2:3] op_sel:[0,1]
	s_delay_alu instid0(VALU_DEP_1) | instskip(SKIP_1) | instid1(VALU_DEP_1)
	v_pk_fma_f32 v[8:9], v[6:7], v[0:1], v[4:5] op_sel:[0,0,1] op_sel_hi:[1,1,0] neg_lo:[0,0,1] neg_hi:[0,0,1]
	v_pk_fma_f32 v[4:5], v[6:7], v[0:1], v[4:5] op_sel:[0,0,1] op_sel_hi:[1,0,0]
	v_mov_b32_e32 v9, v5
	ds_load_2addr_b64 v[4:7], v12 offset0:36 offset1:37
	v_pk_add_f32 v[146:147], v[146:147], v[18:19] neg_lo:[0,1] neg_hi:[0,1]
	v_pk_add_f32 v[142:143], v[142:143], v[8:9] neg_lo:[0,1] neg_hi:[0,1]
	s_wait_dscnt 0x0
	v_dual_mul_f32 v8, v5, v3 :: v_dual_mul_f32 v18, v5, v0
	s_delay_alu instid0(VALU_DEP_1) | instskip(NEXT) | instid1(VALU_DEP_2)
	v_pk_fma_f32 v[8:9], v[4:5], v[104:105], v[8:9] op_sel_hi:[1,1,0] neg_lo:[0,0,1] neg_hi:[0,0,1]
	v_pk_fma_f32 v[4:5], v[4:5], v[104:105], v[18:19] op_sel:[1,0,0] op_sel_hi:[0,1,0]
	s_delay_alu instid0(VALU_DEP_1) | instskip(SKIP_1) | instid1(VALU_DEP_2)
	v_mov_b32_e32 v9, v5
	v_pk_mul_f32 v[4:5], v[6:7], v[2:3] op_sel:[0,1]
	v_pk_add_f32 v[170:171], v[170:171], v[8:9] neg_lo:[0,1] neg_hi:[0,1]
	s_delay_alu instid0(VALU_DEP_2) | instskip(SKIP_1) | instid1(VALU_DEP_1)
	v_pk_fma_f32 v[8:9], v[6:7], v[0:1], v[4:5] op_sel:[0,0,1] op_sel_hi:[1,1,0] neg_lo:[0,0,1] neg_hi:[0,0,1]
	v_pk_fma_f32 v[4:5], v[6:7], v[0:1], v[4:5] op_sel:[0,0,1] op_sel_hi:[1,0,0]
	v_mov_b32_e32 v9, v5
	ds_load_2addr_b64 v[4:7], v12 offset0:38 offset1:39
	v_pk_add_f32 v[164:165], v[164:165], v[8:9] neg_lo:[0,1] neg_hi:[0,1]
	s_wait_dscnt 0x0
	v_pk_mul_f32 v[8:9], v[4:5], v[2:3] op_sel:[0,1]
	s_delay_alu instid0(VALU_DEP_1) | instskip(SKIP_1) | instid1(VALU_DEP_1)
	v_pk_fma_f32 v[18:19], v[4:5], v[0:1], v[8:9] op_sel:[0,0,1] op_sel_hi:[1,1,0] neg_lo:[0,0,1] neg_hi:[0,0,1]
	v_pk_fma_f32 v[4:5], v[4:5], v[0:1], v[8:9] op_sel:[0,0,1] op_sel_hi:[1,0,0]
	v_mov_b32_e32 v19, v5
	v_pk_mul_f32 v[4:5], v[6:7], v[2:3] op_sel:[0,1]
	s_delay_alu instid0(VALU_DEP_2) | instskip(NEXT) | instid1(VALU_DEP_2)
	v_pk_add_f32 v[168:169], v[168:169], v[18:19] neg_lo:[0,1] neg_hi:[0,1]
	v_pk_fma_f32 v[8:9], v[6:7], v[0:1], v[4:5] op_sel:[0,0,1] op_sel_hi:[1,1,0] neg_lo:[0,0,1] neg_hi:[0,0,1]
	v_pk_fma_f32 v[4:5], v[6:7], v[0:1], v[4:5] op_sel:[0,0,1] op_sel_hi:[1,0,0]
	s_delay_alu instid0(VALU_DEP_1) | instskip(SKIP_4) | instid1(VALU_DEP_1)
	v_mov_b32_e32 v9, v5
	ds_load_2addr_b64 v[4:7], v12 offset0:40 offset1:41
	v_pk_add_f32 v[162:163], v[162:163], v[8:9] neg_lo:[0,1] neg_hi:[0,1]
	s_wait_dscnt 0x0
	v_pk_mul_f32 v[8:9], v[4:5], v[2:3] op_sel:[0,1]
	v_pk_fma_f32 v[18:19], v[4:5], v[0:1], v[8:9] op_sel:[0,0,1] op_sel_hi:[1,1,0] neg_lo:[0,0,1] neg_hi:[0,0,1]
	v_pk_fma_f32 v[4:5], v[4:5], v[0:1], v[8:9] op_sel:[0,0,1] op_sel_hi:[1,0,0]
	v_dual_mul_f32 v8, v7, v3 :: v_dual_mov_b32 v4, v7
	s_delay_alu instid0(VALU_DEP_2) | instskip(NEXT) | instid1(VALU_DEP_2)
	v_dual_mov_b32 v19, v5 :: v_dual_mov_b32 v5, v6
	v_pk_fma_f32 v[8:9], v[6:7], v[104:105], v[8:9] op_sel_hi:[1,1,0] neg_lo:[0,0,1] neg_hi:[0,0,1]
	v_mul_f32_e32 v6, v7, v0
	s_delay_alu instid0(VALU_DEP_3) | instskip(NEXT) | instid1(VALU_DEP_2)
	v_pk_add_f32 v[166:167], v[166:167], v[18:19] neg_lo:[0,1] neg_hi:[0,1]
	v_pk_fma_f32 v[4:5], v[4:5], v[104:105], v[6:7] op_sel_hi:[1,1,0]
	s_delay_alu instid0(VALU_DEP_1)
	v_mov_b32_e32 v9, v5
	ds_load_2addr_b64 v[4:7], v12 offset0:42 offset1:43
	v_pk_add_f32 v[160:161], v[160:161], v[8:9] neg_lo:[0,1] neg_hi:[0,1]
	s_wait_dscnt 0x0
	v_pk_mul_f32 v[8:9], v[4:5], v[2:3] op_sel:[0,1]
	v_pk_mul_f32 v[2:3], v[6:7], v[2:3] op_sel:[0,1]
	s_delay_alu instid0(VALU_DEP_2) | instskip(SKIP_1) | instid1(VALU_DEP_1)
	v_pk_fma_f32 v[18:19], v[4:5], v[0:1], v[8:9] op_sel:[0,0,1] op_sel_hi:[1,1,0] neg_lo:[0,0,1] neg_hi:[0,0,1]
	v_pk_fma_f32 v[4:5], v[4:5], v[0:1], v[8:9] op_sel:[0,0,1] op_sel_hi:[1,0,0]
	v_mov_b32_e32 v19, v5
	s_delay_alu instid0(VALU_DEP_4) | instskip(SKIP_1) | instid1(VALU_DEP_1)
	v_pk_fma_f32 v[4:5], v[6:7], v[0:1], v[2:3] op_sel:[0,0,1] op_sel_hi:[1,1,0] neg_lo:[0,0,1] neg_hi:[0,0,1]
	v_pk_fma_f32 v[0:1], v[6:7], v[0:1], v[2:3] op_sel:[0,0,1] op_sel_hi:[1,0,0]
	v_mov_b32_e32 v5, v1
	s_delay_alu instid0(VALU_DEP_4) | instskip(NEXT) | instid1(VALU_DEP_2)
	v_pk_add_f32 v[172:173], v[172:173], v[18:19] neg_lo:[0,1] neg_hi:[0,1]
	v_pk_add_f32 v[176:177], v[176:177], v[4:5] neg_lo:[0,1] neg_hi:[0,1]
.LBB87_253:
	s_or_b32 exec_lo, exec_lo, s1
	s_delay_alu instid0(SALU_CYCLE_1)
	s_mov_b32 s2, exec_lo
	s_wait_dscnt 0x0
	s_barrier_signal -1
	s_barrier_wait -1
	v_cmpx_eq_u32_e32 28, v30
	s_cbranch_execz .LBB87_260
; %bb.254:
	ds_store_b64 v31, v[128:129]
	ds_store_2addr_b64 v12, v[124:125], v[126:127] offset0:29 offset1:30
	ds_store_2addr_b64 v12, v[122:123], v[148:149] offset0:31 offset1:32
	;; [unrolled: 1-line block ×7, first 2 shown]
	ds_store_b64 v12, v[176:177] offset:344
	ds_load_b64 v[0:1], v31
	s_wait_dscnt 0x0
	v_cmp_neq_f32_e32 vcc_lo, 0, v0
	v_cmp_neq_f32_e64 s1, 0, v1
	s_or_b32 s1, vcc_lo, s1
	s_delay_alu instid0(SALU_CYCLE_1)
	s_and_b32 exec_lo, exec_lo, s1
	s_cbranch_execz .LBB87_260
; %bb.255:
	v_cmp_ngt_f32_e64 s1, |v0|, |v1|
                                        ; implicit-def: $vgpr2_vgpr3
	s_and_saveexec_b32 s4, s1
	s_delay_alu instid0(SALU_CYCLE_1)
	s_xor_b32 s1, exec_lo, s4
	s_cbranch_execz .LBB87_257
; %bb.256:
	v_div_scale_f32 v2, null, v1, v1, v0
	v_div_scale_f32 v5, vcc_lo, v0, v1, v0
	s_delay_alu instid0(VALU_DEP_2) | instskip(SKIP_1) | instid1(TRANS32_DEP_1)
	v_rcp_f32_e32 v3, v2
	v_nop
	v_fma_f32 v4, -v2, v3, 1.0
	s_delay_alu instid0(VALU_DEP_1) | instskip(NEXT) | instid1(VALU_DEP_1)
	v_fmac_f32_e32 v3, v4, v3
	v_mul_f32_e32 v4, v5, v3
	s_delay_alu instid0(VALU_DEP_1) | instskip(NEXT) | instid1(VALU_DEP_1)
	v_fma_f32 v6, -v2, v4, v5
	v_fmac_f32_e32 v4, v6, v3
	s_delay_alu instid0(VALU_DEP_1) | instskip(NEXT) | instid1(VALU_DEP_1)
	v_fma_f32 v2, -v2, v4, v5
	v_div_fmas_f32 v2, v2, v3, v4
	s_delay_alu instid0(VALU_DEP_1) | instskip(NEXT) | instid1(VALU_DEP_1)
	v_div_fixup_f32 v2, v2, v1, v0
	v_fmac_f32_e32 v1, v0, v2
	s_delay_alu instid0(VALU_DEP_1) | instskip(SKIP_1) | instid1(VALU_DEP_2)
	v_div_scale_f32 v0, null, v1, v1, 1.0
	v_div_scale_f32 v5, vcc_lo, 1.0, v1, 1.0
	v_rcp_f32_e32 v3, v0
	v_nop
	s_delay_alu instid0(TRANS32_DEP_1) | instskip(NEXT) | instid1(VALU_DEP_1)
	v_fma_f32 v4, -v0, v3, 1.0
	v_fmac_f32_e32 v3, v4, v3
	s_delay_alu instid0(VALU_DEP_1) | instskip(NEXT) | instid1(VALU_DEP_1)
	v_mul_f32_e32 v4, v5, v3
	v_fma_f32 v6, -v0, v4, v5
	s_delay_alu instid0(VALU_DEP_1) | instskip(NEXT) | instid1(VALU_DEP_1)
	v_fmac_f32_e32 v4, v6, v3
	v_fma_f32 v0, -v0, v4, v5
	s_delay_alu instid0(VALU_DEP_1) | instskip(NEXT) | instid1(VALU_DEP_1)
	v_div_fmas_f32 v0, v0, v3, v4
	v_div_fixup_f32 v0, v0, v1, 1.0
	s_delay_alu instid0(VALU_DEP_1)
	v_mul_f32_e32 v2, v2, v0
	v_xor_b32_e32 v3, 0x80000000, v0
                                        ; implicit-def: $vgpr0_vgpr1
.LBB87_257:
	s_and_not1_saveexec_b32 s1, s1
	s_cbranch_execz .LBB87_259
; %bb.258:
	v_div_scale_f32 v2, null, v0, v0, v1
	v_div_scale_f32 v5, vcc_lo, v1, v0, v1
	s_delay_alu instid0(VALU_DEP_2) | instskip(SKIP_1) | instid1(TRANS32_DEP_1)
	v_rcp_f32_e32 v3, v2
	v_nop
	v_fma_f32 v4, -v2, v3, 1.0
	s_delay_alu instid0(VALU_DEP_1) | instskip(NEXT) | instid1(VALU_DEP_1)
	v_fmac_f32_e32 v3, v4, v3
	v_mul_f32_e32 v4, v5, v3
	s_delay_alu instid0(VALU_DEP_1) | instskip(NEXT) | instid1(VALU_DEP_1)
	v_fma_f32 v6, -v2, v4, v5
	v_fmac_f32_e32 v4, v6, v3
	s_delay_alu instid0(VALU_DEP_1) | instskip(NEXT) | instid1(VALU_DEP_1)
	v_fma_f32 v2, -v2, v4, v5
	v_div_fmas_f32 v2, v2, v3, v4
	s_delay_alu instid0(VALU_DEP_1) | instskip(NEXT) | instid1(VALU_DEP_1)
	v_div_fixup_f32 v3, v2, v0, v1
	v_fmac_f32_e32 v0, v1, v3
	s_delay_alu instid0(VALU_DEP_1) | instskip(NEXT) | instid1(VALU_DEP_1)
	v_div_scale_f32 v1, null, v0, v0, 1.0
	v_rcp_f32_e32 v2, v1
	v_nop
	s_delay_alu instid0(TRANS32_DEP_1) | instskip(NEXT) | instid1(VALU_DEP_1)
	v_fma_f32 v4, -v1, v2, 1.0
	v_fmac_f32_e32 v2, v4, v2
	v_div_scale_f32 v4, vcc_lo, 1.0, v0, 1.0
	s_delay_alu instid0(VALU_DEP_1) | instskip(NEXT) | instid1(VALU_DEP_1)
	v_mul_f32_e32 v5, v4, v2
	v_fma_f32 v6, -v1, v5, v4
	s_delay_alu instid0(VALU_DEP_1) | instskip(NEXT) | instid1(VALU_DEP_1)
	v_fmac_f32_e32 v5, v6, v2
	v_fma_f32 v1, -v1, v5, v4
	s_delay_alu instid0(VALU_DEP_1) | instskip(NEXT) | instid1(VALU_DEP_1)
	v_div_fmas_f32 v1, v1, v2, v5
	v_div_fixup_f32 v2, v1, v0, 1.0
	s_delay_alu instid0(VALU_DEP_1)
	v_mul_f32_e64 v3, v3, -v2
.LBB87_259:
	s_or_b32 exec_lo, exec_lo, s1
	ds_store_b64 v31, v[2:3]
.LBB87_260:
	s_or_b32 exec_lo, exec_lo, s2
	s_wait_dscnt 0x0
	s_barrier_signal -1
	s_barrier_wait -1
	ds_load_b64 v[234:235], v31
	s_mov_b32 s1, exec_lo
	v_cmpx_lt_u32_e32 28, v30
	s_cbranch_execz .LBB87_262
; %bb.261:
	ds_load_2addr_b64 v[4:7], v12 offset0:29 offset1:30
	s_wait_dscnt 0x1
	v_pk_mul_f32 v[2:3], v[234:235], v[128:129] op_sel:[1,1] op_sel_hi:[0,1]
	s_delay_alu instid0(VALU_DEP_1) | instskip(SKIP_1) | instid1(VALU_DEP_1)
	v_pk_fma_f32 v[0:1], v[234:235], v[128:129], v[2:3] op_sel_hi:[1,0,1] neg_lo:[0,0,1] neg_hi:[0,0,1]
	v_pk_fma_f32 v[2:3], v[234:235], v[128:129], v[2:3] op_sel_hi:[1,0,1]
	v_dual_mov_b32 v128, v0 :: v_dual_mov_b32 v129, v3
	s_wait_dscnt 0x0
	s_delay_alu instid0(VALU_DEP_2) | instskip(NEXT) | instid1(VALU_DEP_1)
	v_pk_mul_f32 v[8:9], v[4:5], v[2:3] op_sel:[0,1]
	v_pk_fma_f32 v[18:19], v[4:5], v[0:1], v[8:9] op_sel:[0,0,1] op_sel_hi:[1,1,0] neg_lo:[0,0,1] neg_hi:[0,0,1]
	v_pk_fma_f32 v[4:5], v[4:5], v[0:1], v[8:9] op_sel:[0,0,1] op_sel_hi:[1,0,0]
	s_delay_alu instid0(VALU_DEP_1) | instskip(SKIP_1) | instid1(VALU_DEP_1)
	v_mov_b32_e32 v19, v5
	v_pk_mul_f32 v[4:5], v[6:7], v[2:3] op_sel:[0,1]
	v_pk_fma_f32 v[8:9], v[6:7], v[0:1], v[4:5] op_sel:[0,0,1] op_sel_hi:[1,1,0] neg_lo:[0,0,1] neg_hi:[0,0,1]
	v_pk_fma_f32 v[4:5], v[6:7], v[0:1], v[4:5] op_sel:[0,0,1] op_sel_hi:[1,0,0]
	s_delay_alu instid0(VALU_DEP_1)
	v_mov_b32_e32 v9, v5
	ds_load_2addr_b64 v[4:7], v12 offset0:31 offset1:32
	v_pk_add_f32 v[124:125], v[124:125], v[18:19] neg_lo:[0,1] neg_hi:[0,1]
	v_pk_add_f32 v[126:127], v[126:127], v[8:9] neg_lo:[0,1] neg_hi:[0,1]
	s_wait_dscnt 0x0
	v_pk_mul_f32 v[8:9], v[4:5], v[2:3] op_sel:[0,1]
	s_delay_alu instid0(VALU_DEP_1) | instskip(SKIP_2) | instid1(VALU_DEP_2)
	v_pk_fma_f32 v[18:19], v[4:5], v[0:1], v[8:9] op_sel:[0,0,1] op_sel_hi:[1,1,0] neg_lo:[0,0,1] neg_hi:[0,0,1]
	v_pk_fma_f32 v[4:5], v[4:5], v[0:1], v[8:9] op_sel:[0,0,1] op_sel_hi:[1,0,0]
	v_dual_mul_f32 v8, v7, v3 :: v_dual_mov_b32 v4, v7
	v_dual_mov_b32 v19, v5 :: v_dual_mov_b32 v5, v6
	s_delay_alu instid0(VALU_DEP_2) | instskip(SKIP_1) | instid1(VALU_DEP_3)
	v_pk_fma_f32 v[8:9], v[6:7], v[128:129], v[8:9] op_sel_hi:[1,1,0] neg_lo:[0,0,1] neg_hi:[0,0,1]
	v_mul_f32_e32 v6, v7, v0
	v_pk_add_f32 v[122:123], v[122:123], v[18:19] neg_lo:[0,1] neg_hi:[0,1]
	s_delay_alu instid0(VALU_DEP_2) | instskip(NEXT) | instid1(VALU_DEP_1)
	v_pk_fma_f32 v[4:5], v[4:5], v[128:129], v[6:7] op_sel_hi:[1,1,0]
	v_mov_b32_e32 v9, v5
	ds_load_2addr_b64 v[4:7], v12 offset0:33 offset1:34
	v_pk_add_f32 v[148:149], v[148:149], v[8:9] neg_lo:[0,1] neg_hi:[0,1]
	s_wait_dscnt 0x0
	v_pk_mul_f32 v[8:9], v[4:5], v[2:3] op_sel:[0,1]
	s_delay_alu instid0(VALU_DEP_1) | instskip(SKIP_1) | instid1(VALU_DEP_1)
	v_pk_fma_f32 v[18:19], v[4:5], v[0:1], v[8:9] op_sel:[0,0,1] op_sel_hi:[1,1,0] neg_lo:[0,0,1] neg_hi:[0,0,1]
	v_pk_fma_f32 v[4:5], v[4:5], v[0:1], v[8:9] op_sel:[0,0,1] op_sel_hi:[1,0,0]
	v_mov_b32_e32 v19, v5
	v_pk_mul_f32 v[4:5], v[6:7], v[2:3] op_sel:[0,1]
	s_delay_alu instid0(VALU_DEP_1) | instskip(SKIP_1) | instid1(VALU_DEP_1)
	v_pk_fma_f32 v[8:9], v[6:7], v[0:1], v[4:5] op_sel:[0,0,1] op_sel_hi:[1,1,0] neg_lo:[0,0,1] neg_hi:[0,0,1]
	v_pk_fma_f32 v[4:5], v[6:7], v[0:1], v[4:5] op_sel:[0,0,1] op_sel_hi:[1,0,0]
	v_mov_b32_e32 v9, v5
	ds_load_2addr_b64 v[4:7], v12 offset0:35 offset1:36
	v_pk_add_f32 v[144:145], v[144:145], v[18:19] neg_lo:[0,1] neg_hi:[0,1]
	v_pk_add_f32 v[146:147], v[146:147], v[8:9] neg_lo:[0,1] neg_hi:[0,1]
	s_wait_dscnt 0x0
	v_pk_mul_f32 v[8:9], v[4:5], v[2:3] op_sel:[0,1]
	s_delay_alu instid0(VALU_DEP_1) | instskip(SKIP_1) | instid1(VALU_DEP_1)
	v_pk_fma_f32 v[18:19], v[4:5], v[0:1], v[8:9] op_sel:[0,0,1] op_sel_hi:[1,1,0] neg_lo:[0,0,1] neg_hi:[0,0,1]
	v_pk_fma_f32 v[4:5], v[4:5], v[0:1], v[8:9] op_sel:[0,0,1] op_sel_hi:[1,0,0]
	v_mov_b32_e32 v19, v5
	v_pk_mul_f32 v[4:5], v[6:7], v[2:3] op_sel:[0,1]
	s_delay_alu instid0(VALU_DEP_1) | instskip(SKIP_1) | instid1(VALU_DEP_1)
	v_pk_fma_f32 v[8:9], v[6:7], v[0:1], v[4:5] op_sel:[0,0,1] op_sel_hi:[1,1,0] neg_lo:[0,0,1] neg_hi:[0,0,1]
	v_pk_fma_f32 v[4:5], v[6:7], v[0:1], v[4:5] op_sel:[0,0,1] op_sel_hi:[1,0,0]
	v_mov_b32_e32 v9, v5
	ds_load_2addr_b64 v[4:7], v12 offset0:37 offset1:38
	v_pk_add_f32 v[142:143], v[142:143], v[18:19] neg_lo:[0,1] neg_hi:[0,1]
	v_pk_add_f32 v[170:171], v[170:171], v[8:9] neg_lo:[0,1] neg_hi:[0,1]
	s_wait_dscnt 0x0
	v_dual_mul_f32 v8, v5, v3 :: v_dual_mul_f32 v18, v5, v0
	s_delay_alu instid0(VALU_DEP_1) | instskip(NEXT) | instid1(VALU_DEP_2)
	v_pk_fma_f32 v[8:9], v[4:5], v[128:129], v[8:9] op_sel_hi:[1,1,0] neg_lo:[0,0,1] neg_hi:[0,0,1]
	v_pk_fma_f32 v[4:5], v[4:5], v[128:129], v[18:19] op_sel:[1,0,0] op_sel_hi:[0,1,0]
	s_delay_alu instid0(VALU_DEP_1) | instskip(SKIP_1) | instid1(VALU_DEP_2)
	v_mov_b32_e32 v9, v5
	v_pk_mul_f32 v[4:5], v[6:7], v[2:3] op_sel:[0,1]
	v_pk_add_f32 v[164:165], v[164:165], v[8:9] neg_lo:[0,1] neg_hi:[0,1]
	s_delay_alu instid0(VALU_DEP_2) | instskip(SKIP_1) | instid1(VALU_DEP_1)
	v_pk_fma_f32 v[8:9], v[6:7], v[0:1], v[4:5] op_sel:[0,0,1] op_sel_hi:[1,1,0] neg_lo:[0,0,1] neg_hi:[0,0,1]
	v_pk_fma_f32 v[4:5], v[6:7], v[0:1], v[4:5] op_sel:[0,0,1] op_sel_hi:[1,0,0]
	v_mov_b32_e32 v9, v5
	ds_load_2addr_b64 v[4:7], v12 offset0:39 offset1:40
	v_pk_add_f32 v[168:169], v[168:169], v[8:9] neg_lo:[0,1] neg_hi:[0,1]
	s_wait_dscnt 0x0
	v_pk_mul_f32 v[8:9], v[4:5], v[2:3] op_sel:[0,1]
	s_delay_alu instid0(VALU_DEP_1) | instskip(SKIP_1) | instid1(VALU_DEP_1)
	v_pk_fma_f32 v[18:19], v[4:5], v[0:1], v[8:9] op_sel:[0,0,1] op_sel_hi:[1,1,0] neg_lo:[0,0,1] neg_hi:[0,0,1]
	v_pk_fma_f32 v[4:5], v[4:5], v[0:1], v[8:9] op_sel:[0,0,1] op_sel_hi:[1,0,0]
	v_mov_b32_e32 v19, v5
	v_pk_mul_f32 v[4:5], v[6:7], v[2:3] op_sel:[0,1]
	s_delay_alu instid0(VALU_DEP_2) | instskip(NEXT) | instid1(VALU_DEP_2)
	v_pk_add_f32 v[162:163], v[162:163], v[18:19] neg_lo:[0,1] neg_hi:[0,1]
	v_pk_fma_f32 v[8:9], v[6:7], v[0:1], v[4:5] op_sel:[0,0,1] op_sel_hi:[1,1,0] neg_lo:[0,0,1] neg_hi:[0,0,1]
	v_pk_fma_f32 v[4:5], v[6:7], v[0:1], v[4:5] op_sel:[0,0,1] op_sel_hi:[1,0,0]
	s_delay_alu instid0(VALU_DEP_1) | instskip(SKIP_4) | instid1(VALU_DEP_1)
	v_mov_b32_e32 v9, v5
	ds_load_2addr_b64 v[4:7], v12 offset0:41 offset1:42
	v_pk_add_f32 v[166:167], v[166:167], v[8:9] neg_lo:[0,1] neg_hi:[0,1]
	s_wait_dscnt 0x0
	v_pk_mul_f32 v[8:9], v[4:5], v[2:3] op_sel:[0,1]
	v_pk_fma_f32 v[18:19], v[4:5], v[0:1], v[8:9] op_sel:[0,0,1] op_sel_hi:[1,1,0] neg_lo:[0,0,1] neg_hi:[0,0,1]
	v_pk_fma_f32 v[4:5], v[4:5], v[0:1], v[8:9] op_sel:[0,0,1] op_sel_hi:[1,0,0]
	v_dual_mul_f32 v8, v7, v3 :: v_dual_mov_b32 v4, v7
	s_delay_alu instid0(VALU_DEP_2) | instskip(NEXT) | instid1(VALU_DEP_2)
	v_dual_mov_b32 v19, v5 :: v_dual_mov_b32 v5, v6
	v_pk_fma_f32 v[8:9], v[6:7], v[128:129], v[8:9] op_sel_hi:[1,1,0] neg_lo:[0,0,1] neg_hi:[0,0,1]
	v_mul_f32_e32 v6, v7, v0
	s_delay_alu instid0(VALU_DEP_3) | instskip(NEXT) | instid1(VALU_DEP_2)
	v_pk_add_f32 v[160:161], v[160:161], v[18:19] neg_lo:[0,1] neg_hi:[0,1]
	v_pk_fma_f32 v[4:5], v[4:5], v[128:129], v[6:7] op_sel_hi:[1,1,0]
	s_delay_alu instid0(VALU_DEP_1) | instskip(SKIP_4) | instid1(VALU_DEP_1)
	v_mov_b32_e32 v9, v5
	ds_load_b64 v[4:5], v12 offset:344
	v_pk_add_f32 v[172:173], v[172:173], v[8:9] neg_lo:[0,1] neg_hi:[0,1]
	s_wait_dscnt 0x0
	v_pk_mul_f32 v[2:3], v[4:5], v[2:3] op_sel:[0,1]
	v_pk_fma_f32 v[6:7], v[4:5], v[0:1], v[2:3] op_sel:[0,0,1] op_sel_hi:[1,1,0] neg_lo:[0,0,1] neg_hi:[0,0,1]
	v_pk_fma_f32 v[0:1], v[4:5], v[0:1], v[2:3] op_sel:[0,0,1] op_sel_hi:[1,0,0]
	s_delay_alu instid0(VALU_DEP_1) | instskip(NEXT) | instid1(VALU_DEP_1)
	v_mov_b32_e32 v7, v1
	v_pk_add_f32 v[176:177], v[176:177], v[6:7] neg_lo:[0,1] neg_hi:[0,1]
.LBB87_262:
	s_or_b32 exec_lo, exec_lo, s1
	s_delay_alu instid0(SALU_CYCLE_1)
	s_mov_b32 s2, exec_lo
	s_wait_dscnt 0x0
	s_barrier_signal -1
	s_barrier_wait -1
	v_cmpx_eq_u32_e32 29, v30
	s_cbranch_execz .LBB87_269
; %bb.263:
	v_dual_mov_b32 v0, v126 :: v_dual_mov_b32 v1, v127
	v_dual_mov_b32 v2, v122 :: v_dual_mov_b32 v3, v123
	ds_store_b64 v31, v[124:125]
	ds_store_2addr_b64 v12, v[0:1], v[2:3] offset0:30 offset1:31
	v_dual_mov_b32 v0, v148 :: v_dual_mov_b32 v1, v149
	v_dual_mov_b32 v2, v144 :: v_dual_mov_b32 v3, v145
	ds_store_2addr_b64 v12, v[0:1], v[2:3] offset0:32 offset1:33
	v_dual_mov_b32 v0, v146 :: v_dual_mov_b32 v1, v147
	v_dual_mov_b32 v2, v142 :: v_dual_mov_b32 v3, v143
	;; [unrolled: 3-line block ×5, first 2 shown]
	ds_store_2addr_b64 v12, v[0:1], v[2:3] offset0:40 offset1:41
	v_dual_mov_b32 v0, v172 :: v_dual_mov_b32 v1, v173
	ds_store_2addr_b64 v12, v[0:1], v[176:177] offset0:42 offset1:43
	ds_load_b64 v[0:1], v31
	s_wait_dscnt 0x0
	v_cmp_neq_f32_e32 vcc_lo, 0, v0
	v_cmp_neq_f32_e64 s1, 0, v1
	s_or_b32 s1, vcc_lo, s1
	s_delay_alu instid0(SALU_CYCLE_1)
	s_and_b32 exec_lo, exec_lo, s1
	s_cbranch_execz .LBB87_269
; %bb.264:
	v_cmp_ngt_f32_e64 s1, |v0|, |v1|
                                        ; implicit-def: $vgpr2_vgpr3
	s_and_saveexec_b32 s4, s1
	s_delay_alu instid0(SALU_CYCLE_1)
	s_xor_b32 s1, exec_lo, s4
	s_cbranch_execz .LBB87_266
; %bb.265:
	v_div_scale_f32 v2, null, v1, v1, v0
	v_div_scale_f32 v5, vcc_lo, v0, v1, v0
	s_delay_alu instid0(VALU_DEP_2) | instskip(SKIP_1) | instid1(TRANS32_DEP_1)
	v_rcp_f32_e32 v3, v2
	v_nop
	v_fma_f32 v4, -v2, v3, 1.0
	s_delay_alu instid0(VALU_DEP_1) | instskip(NEXT) | instid1(VALU_DEP_1)
	v_fmac_f32_e32 v3, v4, v3
	v_mul_f32_e32 v4, v5, v3
	s_delay_alu instid0(VALU_DEP_1) | instskip(NEXT) | instid1(VALU_DEP_1)
	v_fma_f32 v6, -v2, v4, v5
	v_fmac_f32_e32 v4, v6, v3
	s_delay_alu instid0(VALU_DEP_1) | instskip(NEXT) | instid1(VALU_DEP_1)
	v_fma_f32 v2, -v2, v4, v5
	v_div_fmas_f32 v2, v2, v3, v4
	s_delay_alu instid0(VALU_DEP_1) | instskip(NEXT) | instid1(VALU_DEP_1)
	v_div_fixup_f32 v2, v2, v1, v0
	v_fmac_f32_e32 v1, v0, v2
	s_delay_alu instid0(VALU_DEP_1) | instskip(SKIP_1) | instid1(VALU_DEP_2)
	v_div_scale_f32 v0, null, v1, v1, 1.0
	v_div_scale_f32 v5, vcc_lo, 1.0, v1, 1.0
	v_rcp_f32_e32 v3, v0
	v_nop
	s_delay_alu instid0(TRANS32_DEP_1) | instskip(NEXT) | instid1(VALU_DEP_1)
	v_fma_f32 v4, -v0, v3, 1.0
	v_fmac_f32_e32 v3, v4, v3
	s_delay_alu instid0(VALU_DEP_1) | instskip(NEXT) | instid1(VALU_DEP_1)
	v_mul_f32_e32 v4, v5, v3
	v_fma_f32 v6, -v0, v4, v5
	s_delay_alu instid0(VALU_DEP_1) | instskip(NEXT) | instid1(VALU_DEP_1)
	v_fmac_f32_e32 v4, v6, v3
	v_fma_f32 v0, -v0, v4, v5
	s_delay_alu instid0(VALU_DEP_1) | instskip(NEXT) | instid1(VALU_DEP_1)
	v_div_fmas_f32 v0, v0, v3, v4
	v_div_fixup_f32 v0, v0, v1, 1.0
	s_delay_alu instid0(VALU_DEP_1)
	v_mul_f32_e32 v2, v2, v0
	v_xor_b32_e32 v3, 0x80000000, v0
                                        ; implicit-def: $vgpr0_vgpr1
.LBB87_266:
	s_and_not1_saveexec_b32 s1, s1
	s_cbranch_execz .LBB87_268
; %bb.267:
	v_div_scale_f32 v2, null, v0, v0, v1
	v_div_scale_f32 v5, vcc_lo, v1, v0, v1
	s_delay_alu instid0(VALU_DEP_2) | instskip(SKIP_1) | instid1(TRANS32_DEP_1)
	v_rcp_f32_e32 v3, v2
	v_nop
	v_fma_f32 v4, -v2, v3, 1.0
	s_delay_alu instid0(VALU_DEP_1) | instskip(NEXT) | instid1(VALU_DEP_1)
	v_fmac_f32_e32 v3, v4, v3
	v_mul_f32_e32 v4, v5, v3
	s_delay_alu instid0(VALU_DEP_1) | instskip(NEXT) | instid1(VALU_DEP_1)
	v_fma_f32 v6, -v2, v4, v5
	v_fmac_f32_e32 v4, v6, v3
	s_delay_alu instid0(VALU_DEP_1) | instskip(NEXT) | instid1(VALU_DEP_1)
	v_fma_f32 v2, -v2, v4, v5
	v_div_fmas_f32 v2, v2, v3, v4
	s_delay_alu instid0(VALU_DEP_1) | instskip(NEXT) | instid1(VALU_DEP_1)
	v_div_fixup_f32 v3, v2, v0, v1
	v_fmac_f32_e32 v0, v1, v3
	s_delay_alu instid0(VALU_DEP_1) | instskip(NEXT) | instid1(VALU_DEP_1)
	v_div_scale_f32 v1, null, v0, v0, 1.0
	v_rcp_f32_e32 v2, v1
	v_nop
	s_delay_alu instid0(TRANS32_DEP_1) | instskip(NEXT) | instid1(VALU_DEP_1)
	v_fma_f32 v4, -v1, v2, 1.0
	v_fmac_f32_e32 v2, v4, v2
	v_div_scale_f32 v4, vcc_lo, 1.0, v0, 1.0
	s_delay_alu instid0(VALU_DEP_1) | instskip(NEXT) | instid1(VALU_DEP_1)
	v_mul_f32_e32 v5, v4, v2
	v_fma_f32 v6, -v1, v5, v4
	s_delay_alu instid0(VALU_DEP_1) | instskip(NEXT) | instid1(VALU_DEP_1)
	v_fmac_f32_e32 v5, v6, v2
	v_fma_f32 v1, -v1, v5, v4
	s_delay_alu instid0(VALU_DEP_1) | instskip(NEXT) | instid1(VALU_DEP_1)
	v_div_fmas_f32 v1, v1, v2, v5
	v_div_fixup_f32 v2, v1, v0, 1.0
	s_delay_alu instid0(VALU_DEP_1)
	v_mul_f32_e64 v3, v3, -v2
.LBB87_268:
	s_or_b32 exec_lo, exec_lo, s1
	ds_store_b64 v31, v[2:3]
.LBB87_269:
	s_or_b32 exec_lo, exec_lo, s2
	s_wait_dscnt 0x0
	s_barrier_signal -1
	s_barrier_wait -1
	ds_load_b64 v[236:237], v31
	s_mov_b32 s1, exec_lo
	v_cmpx_lt_u32_e32 29, v30
	s_cbranch_execz .LBB87_271
; %bb.270:
	ds_load_2addr_b64 v[4:7], v12 offset0:30 offset1:31
	s_wait_dscnt 0x1
	v_pk_mul_f32 v[2:3], v[236:237], v[124:125] op_sel:[1,1] op_sel_hi:[0,1]
	s_delay_alu instid0(VALU_DEP_1) | instskip(SKIP_1) | instid1(VALU_DEP_1)
	v_pk_fma_f32 v[0:1], v[236:237], v[124:125], v[2:3] op_sel_hi:[1,0,1] neg_lo:[0,0,1] neg_hi:[0,0,1]
	v_pk_fma_f32 v[2:3], v[236:237], v[124:125], v[2:3] op_sel_hi:[1,0,1]
	v_dual_mov_b32 v124, v0 :: v_dual_mov_b32 v125, v3
	s_wait_dscnt 0x0
	s_delay_alu instid0(VALU_DEP_2) | instskip(NEXT) | instid1(VALU_DEP_1)
	v_pk_mul_f32 v[8:9], v[4:5], v[2:3] op_sel:[0,1]
	v_pk_fma_f32 v[18:19], v[4:5], v[0:1], v[8:9] op_sel:[0,0,1] op_sel_hi:[1,1,0] neg_lo:[0,0,1] neg_hi:[0,0,1]
	v_pk_fma_f32 v[4:5], v[4:5], v[0:1], v[8:9] op_sel:[0,0,1] op_sel_hi:[1,0,0]
	s_delay_alu instid0(VALU_DEP_1) | instskip(SKIP_1) | instid1(VALU_DEP_1)
	v_mov_b32_e32 v19, v5
	v_pk_mul_f32 v[4:5], v[6:7], v[2:3] op_sel:[0,1]
	v_pk_fma_f32 v[8:9], v[6:7], v[0:1], v[4:5] op_sel:[0,0,1] op_sel_hi:[1,1,0] neg_lo:[0,0,1] neg_hi:[0,0,1]
	v_pk_fma_f32 v[4:5], v[6:7], v[0:1], v[4:5] op_sel:[0,0,1] op_sel_hi:[1,0,0]
	s_delay_alu instid0(VALU_DEP_1)
	v_mov_b32_e32 v9, v5
	ds_load_2addr_b64 v[4:7], v12 offset0:32 offset1:33
	v_pk_add_f32 v[126:127], v[126:127], v[18:19] neg_lo:[0,1] neg_hi:[0,1]
	v_pk_add_f32 v[122:123], v[122:123], v[8:9] neg_lo:[0,1] neg_hi:[0,1]
	s_wait_dscnt 0x0
	v_pk_mul_f32 v[8:9], v[4:5], v[2:3] op_sel:[0,1]
	s_delay_alu instid0(VALU_DEP_1) | instskip(SKIP_2) | instid1(VALU_DEP_2)
	v_pk_fma_f32 v[18:19], v[4:5], v[0:1], v[8:9] op_sel:[0,0,1] op_sel_hi:[1,1,0] neg_lo:[0,0,1] neg_hi:[0,0,1]
	v_pk_fma_f32 v[4:5], v[4:5], v[0:1], v[8:9] op_sel:[0,0,1] op_sel_hi:[1,0,0]
	v_dual_mul_f32 v8, v7, v3 :: v_dual_mov_b32 v4, v7
	v_dual_mov_b32 v19, v5 :: v_dual_mov_b32 v5, v6
	s_delay_alu instid0(VALU_DEP_2) | instskip(SKIP_1) | instid1(VALU_DEP_3)
	v_pk_fma_f32 v[8:9], v[6:7], v[124:125], v[8:9] op_sel_hi:[1,1,0] neg_lo:[0,0,1] neg_hi:[0,0,1]
	v_mul_f32_e32 v6, v7, v0
	v_pk_add_f32 v[148:149], v[148:149], v[18:19] neg_lo:[0,1] neg_hi:[0,1]
	s_delay_alu instid0(VALU_DEP_2) | instskip(NEXT) | instid1(VALU_DEP_1)
	v_pk_fma_f32 v[4:5], v[4:5], v[124:125], v[6:7] op_sel_hi:[1,1,0]
	v_mov_b32_e32 v9, v5
	ds_load_2addr_b64 v[4:7], v12 offset0:34 offset1:35
	v_pk_add_f32 v[144:145], v[144:145], v[8:9] neg_lo:[0,1] neg_hi:[0,1]
	s_wait_dscnt 0x0
	v_pk_mul_f32 v[8:9], v[4:5], v[2:3] op_sel:[0,1]
	s_delay_alu instid0(VALU_DEP_1) | instskip(SKIP_1) | instid1(VALU_DEP_1)
	v_pk_fma_f32 v[18:19], v[4:5], v[0:1], v[8:9] op_sel:[0,0,1] op_sel_hi:[1,1,0] neg_lo:[0,0,1] neg_hi:[0,0,1]
	v_pk_fma_f32 v[4:5], v[4:5], v[0:1], v[8:9] op_sel:[0,0,1] op_sel_hi:[1,0,0]
	v_mov_b32_e32 v19, v5
	v_pk_mul_f32 v[4:5], v[6:7], v[2:3] op_sel:[0,1]
	s_delay_alu instid0(VALU_DEP_1) | instskip(SKIP_1) | instid1(VALU_DEP_1)
	v_pk_fma_f32 v[8:9], v[6:7], v[0:1], v[4:5] op_sel:[0,0,1] op_sel_hi:[1,1,0] neg_lo:[0,0,1] neg_hi:[0,0,1]
	v_pk_fma_f32 v[4:5], v[6:7], v[0:1], v[4:5] op_sel:[0,0,1] op_sel_hi:[1,0,0]
	v_mov_b32_e32 v9, v5
	ds_load_2addr_b64 v[4:7], v12 offset0:36 offset1:37
	v_pk_add_f32 v[146:147], v[146:147], v[18:19] neg_lo:[0,1] neg_hi:[0,1]
	v_pk_add_f32 v[142:143], v[142:143], v[8:9] neg_lo:[0,1] neg_hi:[0,1]
	s_wait_dscnt 0x0
	v_pk_mul_f32 v[8:9], v[4:5], v[2:3] op_sel:[0,1]
	s_delay_alu instid0(VALU_DEP_1) | instskip(SKIP_1) | instid1(VALU_DEP_1)
	v_pk_fma_f32 v[18:19], v[4:5], v[0:1], v[8:9] op_sel:[0,0,1] op_sel_hi:[1,1,0] neg_lo:[0,0,1] neg_hi:[0,0,1]
	v_pk_fma_f32 v[4:5], v[4:5], v[0:1], v[8:9] op_sel:[0,0,1] op_sel_hi:[1,0,0]
	v_mov_b32_e32 v19, v5
	v_pk_mul_f32 v[4:5], v[6:7], v[2:3] op_sel:[0,1]
	s_delay_alu instid0(VALU_DEP_1) | instskip(SKIP_1) | instid1(VALU_DEP_1)
	v_pk_fma_f32 v[8:9], v[6:7], v[0:1], v[4:5] op_sel:[0,0,1] op_sel_hi:[1,1,0] neg_lo:[0,0,1] neg_hi:[0,0,1]
	v_pk_fma_f32 v[4:5], v[6:7], v[0:1], v[4:5] op_sel:[0,0,1] op_sel_hi:[1,0,0]
	v_mov_b32_e32 v9, v5
	ds_load_2addr_b64 v[4:7], v12 offset0:38 offset1:39
	v_pk_add_f32 v[170:171], v[170:171], v[18:19] neg_lo:[0,1] neg_hi:[0,1]
	v_pk_add_f32 v[164:165], v[164:165], v[8:9] neg_lo:[0,1] neg_hi:[0,1]
	s_wait_dscnt 0x0
	v_dual_mul_f32 v8, v5, v3 :: v_dual_mul_f32 v18, v5, v0
	s_delay_alu instid0(VALU_DEP_1) | instskip(NEXT) | instid1(VALU_DEP_2)
	v_pk_fma_f32 v[8:9], v[4:5], v[124:125], v[8:9] op_sel_hi:[1,1,0] neg_lo:[0,0,1] neg_hi:[0,0,1]
	v_pk_fma_f32 v[4:5], v[4:5], v[124:125], v[18:19] op_sel:[1,0,0] op_sel_hi:[0,1,0]
	s_delay_alu instid0(VALU_DEP_1) | instskip(SKIP_1) | instid1(VALU_DEP_2)
	v_mov_b32_e32 v9, v5
	v_pk_mul_f32 v[4:5], v[6:7], v[2:3] op_sel:[0,1]
	v_pk_add_f32 v[168:169], v[168:169], v[8:9] neg_lo:[0,1] neg_hi:[0,1]
	s_delay_alu instid0(VALU_DEP_2) | instskip(SKIP_1) | instid1(VALU_DEP_1)
	v_pk_fma_f32 v[8:9], v[6:7], v[0:1], v[4:5] op_sel:[0,0,1] op_sel_hi:[1,1,0] neg_lo:[0,0,1] neg_hi:[0,0,1]
	v_pk_fma_f32 v[4:5], v[6:7], v[0:1], v[4:5] op_sel:[0,0,1] op_sel_hi:[1,0,0]
	v_mov_b32_e32 v9, v5
	ds_load_2addr_b64 v[4:7], v12 offset0:40 offset1:41
	v_pk_add_f32 v[162:163], v[162:163], v[8:9] neg_lo:[0,1] neg_hi:[0,1]
	s_wait_dscnt 0x0
	v_pk_mul_f32 v[8:9], v[4:5], v[2:3] op_sel:[0,1]
	s_delay_alu instid0(VALU_DEP_1) | instskip(SKIP_1) | instid1(VALU_DEP_1)
	v_pk_fma_f32 v[18:19], v[4:5], v[0:1], v[8:9] op_sel:[0,0,1] op_sel_hi:[1,1,0] neg_lo:[0,0,1] neg_hi:[0,0,1]
	v_pk_fma_f32 v[4:5], v[4:5], v[0:1], v[8:9] op_sel:[0,0,1] op_sel_hi:[1,0,0]
	v_mov_b32_e32 v19, v5
	v_pk_mul_f32 v[4:5], v[6:7], v[2:3] op_sel:[0,1]
	s_delay_alu instid0(VALU_DEP_2) | instskip(NEXT) | instid1(VALU_DEP_2)
	v_pk_add_f32 v[166:167], v[166:167], v[18:19] neg_lo:[0,1] neg_hi:[0,1]
	v_pk_fma_f32 v[8:9], v[6:7], v[0:1], v[4:5] op_sel:[0,0,1] op_sel_hi:[1,1,0] neg_lo:[0,0,1] neg_hi:[0,0,1]
	v_pk_fma_f32 v[4:5], v[6:7], v[0:1], v[4:5] op_sel:[0,0,1] op_sel_hi:[1,0,0]
	s_delay_alu instid0(VALU_DEP_1)
	v_mov_b32_e32 v9, v5
	ds_load_2addr_b64 v[4:7], v12 offset0:42 offset1:43
	v_pk_add_f32 v[160:161], v[160:161], v[8:9] neg_lo:[0,1] neg_hi:[0,1]
	s_wait_dscnt 0x0
	v_pk_mul_f32 v[8:9], v[4:5], v[2:3] op_sel:[0,1]
	v_pk_mul_f32 v[2:3], v[6:7], v[2:3] op_sel:[0,1]
	s_delay_alu instid0(VALU_DEP_2) | instskip(SKIP_1) | instid1(VALU_DEP_1)
	v_pk_fma_f32 v[18:19], v[4:5], v[0:1], v[8:9] op_sel:[0,0,1] op_sel_hi:[1,1,0] neg_lo:[0,0,1] neg_hi:[0,0,1]
	v_pk_fma_f32 v[4:5], v[4:5], v[0:1], v[8:9] op_sel:[0,0,1] op_sel_hi:[1,0,0]
	v_mov_b32_e32 v19, v5
	s_delay_alu instid0(VALU_DEP_4) | instskip(SKIP_1) | instid1(VALU_DEP_3)
	v_pk_fma_f32 v[4:5], v[6:7], v[0:1], v[2:3] op_sel:[0,0,1] op_sel_hi:[1,1,0] neg_lo:[0,0,1] neg_hi:[0,0,1]
	v_pk_fma_f32 v[0:1], v[6:7], v[0:1], v[2:3] op_sel:[0,0,1] op_sel_hi:[1,0,0]
	v_pk_add_f32 v[172:173], v[172:173], v[18:19] neg_lo:[0,1] neg_hi:[0,1]
	s_delay_alu instid0(VALU_DEP_2) | instskip(NEXT) | instid1(VALU_DEP_1)
	v_mov_b32_e32 v5, v1
	v_pk_add_f32 v[176:177], v[176:177], v[4:5] neg_lo:[0,1] neg_hi:[0,1]
.LBB87_271:
	s_or_b32 exec_lo, exec_lo, s1
	s_delay_alu instid0(SALU_CYCLE_1)
	s_mov_b32 s2, exec_lo
	s_wait_dscnt 0x0
	s_barrier_signal -1
	s_barrier_wait -1
	v_cmpx_eq_u32_e32 30, v30
	s_cbranch_execz .LBB87_278
; %bb.272:
	ds_store_b64 v31, v[126:127]
	ds_store_2addr_b64 v12, v[122:123], v[148:149] offset0:31 offset1:32
	ds_store_2addr_b64 v12, v[144:145], v[146:147] offset0:33 offset1:34
	;; [unrolled: 1-line block ×6, first 2 shown]
	ds_store_b64 v12, v[176:177] offset:344
	ds_load_b64 v[0:1], v31
	s_wait_dscnt 0x0
	v_cmp_neq_f32_e32 vcc_lo, 0, v0
	v_cmp_neq_f32_e64 s1, 0, v1
	s_or_b32 s1, vcc_lo, s1
	s_delay_alu instid0(SALU_CYCLE_1)
	s_and_b32 exec_lo, exec_lo, s1
	s_cbranch_execz .LBB87_278
; %bb.273:
	v_cmp_ngt_f32_e64 s1, |v0|, |v1|
                                        ; implicit-def: $vgpr2_vgpr3
	s_and_saveexec_b32 s4, s1
	s_delay_alu instid0(SALU_CYCLE_1)
	s_xor_b32 s1, exec_lo, s4
	s_cbranch_execz .LBB87_275
; %bb.274:
	v_div_scale_f32 v2, null, v1, v1, v0
	v_div_scale_f32 v5, vcc_lo, v0, v1, v0
	s_delay_alu instid0(VALU_DEP_2) | instskip(SKIP_1) | instid1(TRANS32_DEP_1)
	v_rcp_f32_e32 v3, v2
	v_nop
	v_fma_f32 v4, -v2, v3, 1.0
	s_delay_alu instid0(VALU_DEP_1) | instskip(NEXT) | instid1(VALU_DEP_1)
	v_fmac_f32_e32 v3, v4, v3
	v_mul_f32_e32 v4, v5, v3
	s_delay_alu instid0(VALU_DEP_1) | instskip(NEXT) | instid1(VALU_DEP_1)
	v_fma_f32 v6, -v2, v4, v5
	v_fmac_f32_e32 v4, v6, v3
	s_delay_alu instid0(VALU_DEP_1) | instskip(NEXT) | instid1(VALU_DEP_1)
	v_fma_f32 v2, -v2, v4, v5
	v_div_fmas_f32 v2, v2, v3, v4
	s_delay_alu instid0(VALU_DEP_1) | instskip(NEXT) | instid1(VALU_DEP_1)
	v_div_fixup_f32 v2, v2, v1, v0
	v_fmac_f32_e32 v1, v0, v2
	s_delay_alu instid0(VALU_DEP_1) | instskip(SKIP_1) | instid1(VALU_DEP_2)
	v_div_scale_f32 v0, null, v1, v1, 1.0
	v_div_scale_f32 v5, vcc_lo, 1.0, v1, 1.0
	v_rcp_f32_e32 v3, v0
	v_nop
	s_delay_alu instid0(TRANS32_DEP_1) | instskip(NEXT) | instid1(VALU_DEP_1)
	v_fma_f32 v4, -v0, v3, 1.0
	v_fmac_f32_e32 v3, v4, v3
	s_delay_alu instid0(VALU_DEP_1) | instskip(NEXT) | instid1(VALU_DEP_1)
	v_mul_f32_e32 v4, v5, v3
	v_fma_f32 v6, -v0, v4, v5
	s_delay_alu instid0(VALU_DEP_1) | instskip(NEXT) | instid1(VALU_DEP_1)
	v_fmac_f32_e32 v4, v6, v3
	v_fma_f32 v0, -v0, v4, v5
	s_delay_alu instid0(VALU_DEP_1) | instskip(NEXT) | instid1(VALU_DEP_1)
	v_div_fmas_f32 v0, v0, v3, v4
	v_div_fixup_f32 v0, v0, v1, 1.0
	s_delay_alu instid0(VALU_DEP_1)
	v_mul_f32_e32 v2, v2, v0
	v_xor_b32_e32 v3, 0x80000000, v0
                                        ; implicit-def: $vgpr0_vgpr1
.LBB87_275:
	s_and_not1_saveexec_b32 s1, s1
	s_cbranch_execz .LBB87_277
; %bb.276:
	v_div_scale_f32 v2, null, v0, v0, v1
	v_div_scale_f32 v5, vcc_lo, v1, v0, v1
	s_delay_alu instid0(VALU_DEP_2) | instskip(SKIP_1) | instid1(TRANS32_DEP_1)
	v_rcp_f32_e32 v3, v2
	v_nop
	v_fma_f32 v4, -v2, v3, 1.0
	s_delay_alu instid0(VALU_DEP_1) | instskip(NEXT) | instid1(VALU_DEP_1)
	v_fmac_f32_e32 v3, v4, v3
	v_mul_f32_e32 v4, v5, v3
	s_delay_alu instid0(VALU_DEP_1) | instskip(NEXT) | instid1(VALU_DEP_1)
	v_fma_f32 v6, -v2, v4, v5
	v_fmac_f32_e32 v4, v6, v3
	s_delay_alu instid0(VALU_DEP_1) | instskip(NEXT) | instid1(VALU_DEP_1)
	v_fma_f32 v2, -v2, v4, v5
	v_div_fmas_f32 v2, v2, v3, v4
	s_delay_alu instid0(VALU_DEP_1) | instskip(NEXT) | instid1(VALU_DEP_1)
	v_div_fixup_f32 v3, v2, v0, v1
	v_fmac_f32_e32 v0, v1, v3
	s_delay_alu instid0(VALU_DEP_1) | instskip(NEXT) | instid1(VALU_DEP_1)
	v_div_scale_f32 v1, null, v0, v0, 1.0
	v_rcp_f32_e32 v2, v1
	v_nop
	s_delay_alu instid0(TRANS32_DEP_1) | instskip(NEXT) | instid1(VALU_DEP_1)
	v_fma_f32 v4, -v1, v2, 1.0
	v_fmac_f32_e32 v2, v4, v2
	v_div_scale_f32 v4, vcc_lo, 1.0, v0, 1.0
	s_delay_alu instid0(VALU_DEP_1) | instskip(NEXT) | instid1(VALU_DEP_1)
	v_mul_f32_e32 v5, v4, v2
	v_fma_f32 v6, -v1, v5, v4
	s_delay_alu instid0(VALU_DEP_1) | instskip(NEXT) | instid1(VALU_DEP_1)
	v_fmac_f32_e32 v5, v6, v2
	v_fma_f32 v1, -v1, v5, v4
	s_delay_alu instid0(VALU_DEP_1) | instskip(NEXT) | instid1(VALU_DEP_1)
	v_div_fmas_f32 v1, v1, v2, v5
	v_div_fixup_f32 v2, v1, v0, 1.0
	s_delay_alu instid0(VALU_DEP_1)
	v_mul_f32_e64 v3, v3, -v2
.LBB87_277:
	s_or_b32 exec_lo, exec_lo, s1
	ds_store_b64 v31, v[2:3]
.LBB87_278:
	s_or_b32 exec_lo, exec_lo, s2
	s_wait_dscnt 0x0
	s_barrier_signal -1
	s_barrier_wait -1
	ds_load_b64 v[238:239], v31
	s_mov_b32 s1, exec_lo
	v_cmpx_lt_u32_e32 30, v30
	s_cbranch_execz .LBB87_280
; %bb.279:
	ds_load_2addr_b64 v[4:7], v12 offset0:31 offset1:32
	s_wait_dscnt 0x1
	v_pk_mul_f32 v[2:3], v[238:239], v[126:127] op_sel:[1,1] op_sel_hi:[0,1]
	s_delay_alu instid0(VALU_DEP_1) | instskip(SKIP_1) | instid1(VALU_DEP_1)
	v_pk_fma_f32 v[0:1], v[238:239], v[126:127], v[2:3] op_sel_hi:[1,0,1] neg_lo:[0,0,1] neg_hi:[0,0,1]
	v_pk_fma_f32 v[2:3], v[238:239], v[126:127], v[2:3] op_sel_hi:[1,0,1]
	v_dual_mov_b32 v126, v0 :: v_dual_mov_b32 v127, v3
	s_wait_dscnt 0x0
	s_delay_alu instid0(VALU_DEP_2) | instskip(NEXT) | instid1(VALU_DEP_1)
	v_pk_mul_f32 v[8:9], v[4:5], v[2:3] op_sel:[0,1]
	v_pk_fma_f32 v[18:19], v[4:5], v[0:1], v[8:9] op_sel:[0,0,1] op_sel_hi:[1,1,0] neg_lo:[0,0,1] neg_hi:[0,0,1]
	v_pk_fma_f32 v[4:5], v[4:5], v[0:1], v[8:9] op_sel:[0,0,1] op_sel_hi:[1,0,0]
	s_delay_alu instid0(VALU_DEP_1) | instskip(SKIP_1) | instid1(VALU_DEP_1)
	v_mov_b32_e32 v19, v5
	v_pk_mul_f32 v[4:5], v[6:7], v[2:3] op_sel:[0,1]
	v_pk_fma_f32 v[8:9], v[6:7], v[0:1], v[4:5] op_sel:[0,0,1] op_sel_hi:[1,1,0] neg_lo:[0,0,1] neg_hi:[0,0,1]
	v_pk_fma_f32 v[4:5], v[6:7], v[0:1], v[4:5] op_sel:[0,0,1] op_sel_hi:[1,0,0]
	s_delay_alu instid0(VALU_DEP_1)
	v_mov_b32_e32 v9, v5
	ds_load_2addr_b64 v[4:7], v12 offset0:33 offset1:34
	v_pk_add_f32 v[122:123], v[122:123], v[18:19] neg_lo:[0,1] neg_hi:[0,1]
	v_pk_add_f32 v[148:149], v[148:149], v[8:9] neg_lo:[0,1] neg_hi:[0,1]
	s_wait_dscnt 0x0
	v_pk_mul_f32 v[8:9], v[4:5], v[2:3] op_sel:[0,1]
	s_delay_alu instid0(VALU_DEP_1) | instskip(SKIP_2) | instid1(VALU_DEP_2)
	v_pk_fma_f32 v[18:19], v[4:5], v[0:1], v[8:9] op_sel:[0,0,1] op_sel_hi:[1,1,0] neg_lo:[0,0,1] neg_hi:[0,0,1]
	v_pk_fma_f32 v[4:5], v[4:5], v[0:1], v[8:9] op_sel:[0,0,1] op_sel_hi:[1,0,0]
	v_dual_mul_f32 v8, v7, v3 :: v_dual_mov_b32 v4, v7
	v_dual_mov_b32 v19, v5 :: v_dual_mov_b32 v5, v6
	s_delay_alu instid0(VALU_DEP_2) | instskip(SKIP_1) | instid1(VALU_DEP_3)
	v_pk_fma_f32 v[8:9], v[6:7], v[126:127], v[8:9] op_sel_hi:[1,1,0] neg_lo:[0,0,1] neg_hi:[0,0,1]
	v_mul_f32_e32 v6, v7, v0
	v_pk_add_f32 v[144:145], v[144:145], v[18:19] neg_lo:[0,1] neg_hi:[0,1]
	s_delay_alu instid0(VALU_DEP_2) | instskip(NEXT) | instid1(VALU_DEP_1)
	v_pk_fma_f32 v[4:5], v[4:5], v[126:127], v[6:7] op_sel_hi:[1,1,0]
	v_mov_b32_e32 v9, v5
	ds_load_2addr_b64 v[4:7], v12 offset0:35 offset1:36
	v_pk_add_f32 v[146:147], v[146:147], v[8:9] neg_lo:[0,1] neg_hi:[0,1]
	s_wait_dscnt 0x0
	v_pk_mul_f32 v[8:9], v[4:5], v[2:3] op_sel:[0,1]
	s_delay_alu instid0(VALU_DEP_1) | instskip(SKIP_1) | instid1(VALU_DEP_1)
	v_pk_fma_f32 v[18:19], v[4:5], v[0:1], v[8:9] op_sel:[0,0,1] op_sel_hi:[1,1,0] neg_lo:[0,0,1] neg_hi:[0,0,1]
	v_pk_fma_f32 v[4:5], v[4:5], v[0:1], v[8:9] op_sel:[0,0,1] op_sel_hi:[1,0,0]
	v_mov_b32_e32 v19, v5
	v_pk_mul_f32 v[4:5], v[6:7], v[2:3] op_sel:[0,1]
	s_delay_alu instid0(VALU_DEP_1) | instskip(SKIP_1) | instid1(VALU_DEP_1)
	v_pk_fma_f32 v[8:9], v[6:7], v[0:1], v[4:5] op_sel:[0,0,1] op_sel_hi:[1,1,0] neg_lo:[0,0,1] neg_hi:[0,0,1]
	v_pk_fma_f32 v[4:5], v[6:7], v[0:1], v[4:5] op_sel:[0,0,1] op_sel_hi:[1,0,0]
	v_mov_b32_e32 v9, v5
	ds_load_2addr_b64 v[4:7], v12 offset0:37 offset1:38
	v_pk_add_f32 v[142:143], v[142:143], v[18:19] neg_lo:[0,1] neg_hi:[0,1]
	v_pk_add_f32 v[170:171], v[170:171], v[8:9] neg_lo:[0,1] neg_hi:[0,1]
	s_wait_dscnt 0x0
	v_pk_mul_f32 v[8:9], v[4:5], v[2:3] op_sel:[0,1]
	s_delay_alu instid0(VALU_DEP_1) | instskip(SKIP_1) | instid1(VALU_DEP_1)
	v_pk_fma_f32 v[18:19], v[4:5], v[0:1], v[8:9] op_sel:[0,0,1] op_sel_hi:[1,1,0] neg_lo:[0,0,1] neg_hi:[0,0,1]
	v_pk_fma_f32 v[4:5], v[4:5], v[0:1], v[8:9] op_sel:[0,0,1] op_sel_hi:[1,0,0]
	v_mov_b32_e32 v19, v5
	v_pk_mul_f32 v[4:5], v[6:7], v[2:3] op_sel:[0,1]
	s_delay_alu instid0(VALU_DEP_1) | instskip(SKIP_1) | instid1(VALU_DEP_1)
	v_pk_fma_f32 v[8:9], v[6:7], v[0:1], v[4:5] op_sel:[0,0,1] op_sel_hi:[1,1,0] neg_lo:[0,0,1] neg_hi:[0,0,1]
	v_pk_fma_f32 v[4:5], v[6:7], v[0:1], v[4:5] op_sel:[0,0,1] op_sel_hi:[1,0,0]
	v_mov_b32_e32 v9, v5
	ds_load_2addr_b64 v[4:7], v12 offset0:39 offset1:40
	v_pk_add_f32 v[164:165], v[164:165], v[18:19] neg_lo:[0,1] neg_hi:[0,1]
	v_pk_add_f32 v[168:169], v[168:169], v[8:9] neg_lo:[0,1] neg_hi:[0,1]
	s_wait_dscnt 0x0
	v_dual_mul_f32 v8, v5, v3 :: v_dual_mul_f32 v18, v5, v0
	s_delay_alu instid0(VALU_DEP_1) | instskip(NEXT) | instid1(VALU_DEP_2)
	v_pk_fma_f32 v[8:9], v[4:5], v[126:127], v[8:9] op_sel_hi:[1,1,0] neg_lo:[0,0,1] neg_hi:[0,0,1]
	v_pk_fma_f32 v[4:5], v[4:5], v[126:127], v[18:19] op_sel:[1,0,0] op_sel_hi:[0,1,0]
	s_delay_alu instid0(VALU_DEP_1) | instskip(SKIP_1) | instid1(VALU_DEP_2)
	v_mov_b32_e32 v9, v5
	v_pk_mul_f32 v[4:5], v[6:7], v[2:3] op_sel:[0,1]
	v_pk_add_f32 v[162:163], v[162:163], v[8:9] neg_lo:[0,1] neg_hi:[0,1]
	s_delay_alu instid0(VALU_DEP_2) | instskip(SKIP_1) | instid1(VALU_DEP_1)
	v_pk_fma_f32 v[8:9], v[6:7], v[0:1], v[4:5] op_sel:[0,0,1] op_sel_hi:[1,1,0] neg_lo:[0,0,1] neg_hi:[0,0,1]
	v_pk_fma_f32 v[4:5], v[6:7], v[0:1], v[4:5] op_sel:[0,0,1] op_sel_hi:[1,0,0]
	v_mov_b32_e32 v9, v5
	ds_load_2addr_b64 v[4:7], v12 offset0:41 offset1:42
	v_pk_add_f32 v[166:167], v[166:167], v[8:9] neg_lo:[0,1] neg_hi:[0,1]
	s_wait_dscnt 0x0
	v_pk_mul_f32 v[8:9], v[4:5], v[2:3] op_sel:[0,1]
	s_delay_alu instid0(VALU_DEP_1) | instskip(SKIP_1) | instid1(VALU_DEP_1)
	v_pk_fma_f32 v[18:19], v[4:5], v[0:1], v[8:9] op_sel:[0,0,1] op_sel_hi:[1,1,0] neg_lo:[0,0,1] neg_hi:[0,0,1]
	v_pk_fma_f32 v[4:5], v[4:5], v[0:1], v[8:9] op_sel:[0,0,1] op_sel_hi:[1,0,0]
	v_mov_b32_e32 v19, v5
	v_pk_mul_f32 v[4:5], v[6:7], v[2:3] op_sel:[0,1]
	s_delay_alu instid0(VALU_DEP_2) | instskip(NEXT) | instid1(VALU_DEP_2)
	v_pk_add_f32 v[160:161], v[160:161], v[18:19] neg_lo:[0,1] neg_hi:[0,1]
	v_pk_fma_f32 v[8:9], v[6:7], v[0:1], v[4:5] op_sel:[0,0,1] op_sel_hi:[1,1,0] neg_lo:[0,0,1] neg_hi:[0,0,1]
	v_pk_fma_f32 v[4:5], v[6:7], v[0:1], v[4:5] op_sel:[0,0,1] op_sel_hi:[1,0,0]
	s_delay_alu instid0(VALU_DEP_1) | instskip(SKIP_4) | instid1(VALU_DEP_1)
	v_mov_b32_e32 v9, v5
	ds_load_b64 v[4:5], v12 offset:344
	v_pk_add_f32 v[172:173], v[172:173], v[8:9] neg_lo:[0,1] neg_hi:[0,1]
	s_wait_dscnt 0x0
	v_pk_mul_f32 v[2:3], v[4:5], v[2:3] op_sel:[0,1]
	v_pk_fma_f32 v[6:7], v[4:5], v[0:1], v[2:3] op_sel:[0,0,1] op_sel_hi:[1,1,0] neg_lo:[0,0,1] neg_hi:[0,0,1]
	v_pk_fma_f32 v[0:1], v[4:5], v[0:1], v[2:3] op_sel:[0,0,1] op_sel_hi:[1,0,0]
	s_delay_alu instid0(VALU_DEP_1) | instskip(NEXT) | instid1(VALU_DEP_1)
	v_mov_b32_e32 v7, v1
	v_pk_add_f32 v[176:177], v[176:177], v[6:7] neg_lo:[0,1] neg_hi:[0,1]
.LBB87_280:
	s_or_b32 exec_lo, exec_lo, s1
	s_delay_alu instid0(SALU_CYCLE_1)
	s_mov_b32 s2, exec_lo
	s_wait_dscnt 0x0
	s_barrier_signal -1
	s_barrier_wait -1
	v_cmpx_eq_u32_e32 31, v30
	s_cbranch_execz .LBB87_287
; %bb.281:
	v_dual_mov_b32 v0, v148 :: v_dual_mov_b32 v1, v149
	v_dual_mov_b32 v2, v144 :: v_dual_mov_b32 v3, v145
	ds_store_b64 v31, v[122:123]
	ds_store_2addr_b64 v12, v[0:1], v[2:3] offset0:32 offset1:33
	v_dual_mov_b32 v0, v146 :: v_dual_mov_b32 v1, v147
	v_dual_mov_b32 v2, v142 :: v_dual_mov_b32 v3, v143
	ds_store_2addr_b64 v12, v[0:1], v[2:3] offset0:34 offset1:35
	v_dual_mov_b32 v0, v170 :: v_dual_mov_b32 v1, v171
	v_dual_mov_b32 v2, v164 :: v_dual_mov_b32 v3, v165
	;; [unrolled: 3-line block ×4, first 2 shown]
	ds_store_2addr_b64 v12, v[0:1], v[2:3] offset0:40 offset1:41
	v_dual_mov_b32 v0, v172 :: v_dual_mov_b32 v1, v173
	ds_store_2addr_b64 v12, v[0:1], v[176:177] offset0:42 offset1:43
	ds_load_b64 v[0:1], v31
	s_wait_dscnt 0x0
	v_cmp_neq_f32_e32 vcc_lo, 0, v0
	v_cmp_neq_f32_e64 s1, 0, v1
	s_or_b32 s1, vcc_lo, s1
	s_delay_alu instid0(SALU_CYCLE_1)
	s_and_b32 exec_lo, exec_lo, s1
	s_cbranch_execz .LBB87_287
; %bb.282:
	v_cmp_ngt_f32_e64 s1, |v0|, |v1|
                                        ; implicit-def: $vgpr2_vgpr3
	s_and_saveexec_b32 s4, s1
	s_delay_alu instid0(SALU_CYCLE_1)
	s_xor_b32 s1, exec_lo, s4
	s_cbranch_execz .LBB87_284
; %bb.283:
	v_div_scale_f32 v2, null, v1, v1, v0
	v_div_scale_f32 v5, vcc_lo, v0, v1, v0
	s_delay_alu instid0(VALU_DEP_2) | instskip(SKIP_1) | instid1(TRANS32_DEP_1)
	v_rcp_f32_e32 v3, v2
	v_nop
	v_fma_f32 v4, -v2, v3, 1.0
	s_delay_alu instid0(VALU_DEP_1) | instskip(NEXT) | instid1(VALU_DEP_1)
	v_fmac_f32_e32 v3, v4, v3
	v_mul_f32_e32 v4, v5, v3
	s_delay_alu instid0(VALU_DEP_1) | instskip(NEXT) | instid1(VALU_DEP_1)
	v_fma_f32 v6, -v2, v4, v5
	v_fmac_f32_e32 v4, v6, v3
	s_delay_alu instid0(VALU_DEP_1) | instskip(NEXT) | instid1(VALU_DEP_1)
	v_fma_f32 v2, -v2, v4, v5
	v_div_fmas_f32 v2, v2, v3, v4
	s_delay_alu instid0(VALU_DEP_1) | instskip(NEXT) | instid1(VALU_DEP_1)
	v_div_fixup_f32 v2, v2, v1, v0
	v_fmac_f32_e32 v1, v0, v2
	s_delay_alu instid0(VALU_DEP_1) | instskip(SKIP_1) | instid1(VALU_DEP_2)
	v_div_scale_f32 v0, null, v1, v1, 1.0
	v_div_scale_f32 v5, vcc_lo, 1.0, v1, 1.0
	v_rcp_f32_e32 v3, v0
	v_nop
	s_delay_alu instid0(TRANS32_DEP_1) | instskip(NEXT) | instid1(VALU_DEP_1)
	v_fma_f32 v4, -v0, v3, 1.0
	v_fmac_f32_e32 v3, v4, v3
	s_delay_alu instid0(VALU_DEP_1) | instskip(NEXT) | instid1(VALU_DEP_1)
	v_mul_f32_e32 v4, v5, v3
	v_fma_f32 v6, -v0, v4, v5
	s_delay_alu instid0(VALU_DEP_1) | instskip(NEXT) | instid1(VALU_DEP_1)
	v_fmac_f32_e32 v4, v6, v3
	v_fma_f32 v0, -v0, v4, v5
	s_delay_alu instid0(VALU_DEP_1) | instskip(NEXT) | instid1(VALU_DEP_1)
	v_div_fmas_f32 v0, v0, v3, v4
	v_div_fixup_f32 v0, v0, v1, 1.0
	s_delay_alu instid0(VALU_DEP_1)
	v_mul_f32_e32 v2, v2, v0
	v_xor_b32_e32 v3, 0x80000000, v0
                                        ; implicit-def: $vgpr0_vgpr1
.LBB87_284:
	s_and_not1_saveexec_b32 s1, s1
	s_cbranch_execz .LBB87_286
; %bb.285:
	v_div_scale_f32 v2, null, v0, v0, v1
	v_div_scale_f32 v5, vcc_lo, v1, v0, v1
	s_delay_alu instid0(VALU_DEP_2) | instskip(SKIP_1) | instid1(TRANS32_DEP_1)
	v_rcp_f32_e32 v3, v2
	v_nop
	v_fma_f32 v4, -v2, v3, 1.0
	s_delay_alu instid0(VALU_DEP_1) | instskip(NEXT) | instid1(VALU_DEP_1)
	v_fmac_f32_e32 v3, v4, v3
	v_mul_f32_e32 v4, v5, v3
	s_delay_alu instid0(VALU_DEP_1) | instskip(NEXT) | instid1(VALU_DEP_1)
	v_fma_f32 v6, -v2, v4, v5
	v_fmac_f32_e32 v4, v6, v3
	s_delay_alu instid0(VALU_DEP_1) | instskip(NEXT) | instid1(VALU_DEP_1)
	v_fma_f32 v2, -v2, v4, v5
	v_div_fmas_f32 v2, v2, v3, v4
	s_delay_alu instid0(VALU_DEP_1) | instskip(NEXT) | instid1(VALU_DEP_1)
	v_div_fixup_f32 v3, v2, v0, v1
	v_fmac_f32_e32 v0, v1, v3
	s_delay_alu instid0(VALU_DEP_1) | instskip(NEXT) | instid1(VALU_DEP_1)
	v_div_scale_f32 v1, null, v0, v0, 1.0
	v_rcp_f32_e32 v2, v1
	v_nop
	s_delay_alu instid0(TRANS32_DEP_1) | instskip(NEXT) | instid1(VALU_DEP_1)
	v_fma_f32 v4, -v1, v2, 1.0
	v_fmac_f32_e32 v2, v4, v2
	v_div_scale_f32 v4, vcc_lo, 1.0, v0, 1.0
	s_delay_alu instid0(VALU_DEP_1) | instskip(NEXT) | instid1(VALU_DEP_1)
	v_mul_f32_e32 v5, v4, v2
	v_fma_f32 v6, -v1, v5, v4
	s_delay_alu instid0(VALU_DEP_1) | instskip(NEXT) | instid1(VALU_DEP_1)
	v_fmac_f32_e32 v5, v6, v2
	v_fma_f32 v1, -v1, v5, v4
	s_delay_alu instid0(VALU_DEP_1) | instskip(NEXT) | instid1(VALU_DEP_1)
	v_div_fmas_f32 v1, v1, v2, v5
	v_div_fixup_f32 v2, v1, v0, 1.0
	s_delay_alu instid0(VALU_DEP_1)
	v_mul_f32_e64 v3, v3, -v2
.LBB87_286:
	s_or_b32 exec_lo, exec_lo, s1
	ds_store_b64 v31, v[2:3]
.LBB87_287:
	s_or_b32 exec_lo, exec_lo, s2
	s_wait_dscnt 0x0
	s_barrier_signal -1
	s_barrier_wait -1
	ds_load_b64 v[240:241], v31
	s_mov_b32 s1, exec_lo
	v_cmpx_lt_u32_e32 31, v30
	s_cbranch_execz .LBB87_289
; %bb.288:
	ds_load_2addr_b64 v[4:7], v12 offset0:32 offset1:33
	s_wait_dscnt 0x1
	v_pk_mul_f32 v[2:3], v[240:241], v[122:123] op_sel:[1,1] op_sel_hi:[0,1]
	s_delay_alu instid0(VALU_DEP_1) | instskip(SKIP_1) | instid1(VALU_DEP_1)
	v_pk_fma_f32 v[0:1], v[240:241], v[122:123], v[2:3] op_sel_hi:[1,0,1] neg_lo:[0,0,1] neg_hi:[0,0,1]
	v_pk_fma_f32 v[2:3], v[240:241], v[122:123], v[2:3] op_sel_hi:[1,0,1]
	v_dual_mov_b32 v122, v0 :: v_dual_mov_b32 v123, v3
	s_wait_dscnt 0x0
	s_delay_alu instid0(VALU_DEP_2) | instskip(NEXT) | instid1(VALU_DEP_1)
	v_pk_mul_f32 v[8:9], v[4:5], v[2:3] op_sel:[0,1]
	v_pk_fma_f32 v[18:19], v[4:5], v[0:1], v[8:9] op_sel:[0,0,1] op_sel_hi:[1,1,0] neg_lo:[0,0,1] neg_hi:[0,0,1]
	v_pk_fma_f32 v[4:5], v[4:5], v[0:1], v[8:9] op_sel:[0,0,1] op_sel_hi:[1,0,0]
	s_delay_alu instid0(VALU_DEP_1) | instskip(SKIP_1) | instid1(VALU_DEP_1)
	v_mov_b32_e32 v19, v5
	v_pk_mul_f32 v[4:5], v[6:7], v[2:3] op_sel:[0,1]
	v_pk_fma_f32 v[8:9], v[6:7], v[0:1], v[4:5] op_sel:[0,0,1] op_sel_hi:[1,1,0] neg_lo:[0,0,1] neg_hi:[0,0,1]
	v_pk_fma_f32 v[4:5], v[6:7], v[0:1], v[4:5] op_sel:[0,0,1] op_sel_hi:[1,0,0]
	s_delay_alu instid0(VALU_DEP_1)
	v_mov_b32_e32 v9, v5
	ds_load_2addr_b64 v[4:7], v12 offset0:34 offset1:35
	v_pk_add_f32 v[148:149], v[148:149], v[18:19] neg_lo:[0,1] neg_hi:[0,1]
	v_pk_add_f32 v[144:145], v[144:145], v[8:9] neg_lo:[0,1] neg_hi:[0,1]
	s_wait_dscnt 0x0
	v_pk_mul_f32 v[8:9], v[4:5], v[2:3] op_sel:[0,1]
	s_delay_alu instid0(VALU_DEP_1) | instskip(SKIP_2) | instid1(VALU_DEP_2)
	v_pk_fma_f32 v[18:19], v[4:5], v[0:1], v[8:9] op_sel:[0,0,1] op_sel_hi:[1,1,0] neg_lo:[0,0,1] neg_hi:[0,0,1]
	v_pk_fma_f32 v[4:5], v[4:5], v[0:1], v[8:9] op_sel:[0,0,1] op_sel_hi:[1,0,0]
	v_dual_mul_f32 v8, v7, v3 :: v_dual_mov_b32 v4, v7
	v_dual_mov_b32 v19, v5 :: v_dual_mov_b32 v5, v6
	s_delay_alu instid0(VALU_DEP_2) | instskip(SKIP_1) | instid1(VALU_DEP_3)
	v_pk_fma_f32 v[8:9], v[6:7], v[122:123], v[8:9] op_sel_hi:[1,1,0] neg_lo:[0,0,1] neg_hi:[0,0,1]
	v_mul_f32_e32 v6, v7, v0
	v_pk_add_f32 v[146:147], v[146:147], v[18:19] neg_lo:[0,1] neg_hi:[0,1]
	s_delay_alu instid0(VALU_DEP_2) | instskip(NEXT) | instid1(VALU_DEP_1)
	v_pk_fma_f32 v[4:5], v[4:5], v[122:123], v[6:7] op_sel_hi:[1,1,0]
	v_mov_b32_e32 v9, v5
	ds_load_2addr_b64 v[4:7], v12 offset0:36 offset1:37
	v_pk_add_f32 v[142:143], v[142:143], v[8:9] neg_lo:[0,1] neg_hi:[0,1]
	s_wait_dscnt 0x0
	v_pk_mul_f32 v[8:9], v[4:5], v[2:3] op_sel:[0,1]
	s_delay_alu instid0(VALU_DEP_1) | instskip(SKIP_1) | instid1(VALU_DEP_1)
	v_pk_fma_f32 v[18:19], v[4:5], v[0:1], v[8:9] op_sel:[0,0,1] op_sel_hi:[1,1,0] neg_lo:[0,0,1] neg_hi:[0,0,1]
	v_pk_fma_f32 v[4:5], v[4:5], v[0:1], v[8:9] op_sel:[0,0,1] op_sel_hi:[1,0,0]
	v_mov_b32_e32 v19, v5
	v_pk_mul_f32 v[4:5], v[6:7], v[2:3] op_sel:[0,1]
	s_delay_alu instid0(VALU_DEP_1) | instskip(SKIP_1) | instid1(VALU_DEP_1)
	v_pk_fma_f32 v[8:9], v[6:7], v[0:1], v[4:5] op_sel:[0,0,1] op_sel_hi:[1,1,0] neg_lo:[0,0,1] neg_hi:[0,0,1]
	v_pk_fma_f32 v[4:5], v[6:7], v[0:1], v[4:5] op_sel:[0,0,1] op_sel_hi:[1,0,0]
	v_mov_b32_e32 v9, v5
	ds_load_2addr_b64 v[4:7], v12 offset0:38 offset1:39
	v_pk_add_f32 v[170:171], v[170:171], v[18:19] neg_lo:[0,1] neg_hi:[0,1]
	v_pk_add_f32 v[164:165], v[164:165], v[8:9] neg_lo:[0,1] neg_hi:[0,1]
	s_wait_dscnt 0x0
	v_pk_mul_f32 v[8:9], v[4:5], v[2:3] op_sel:[0,1]
	s_delay_alu instid0(VALU_DEP_1) | instskip(SKIP_1) | instid1(VALU_DEP_1)
	v_pk_fma_f32 v[18:19], v[4:5], v[0:1], v[8:9] op_sel:[0,0,1] op_sel_hi:[1,1,0] neg_lo:[0,0,1] neg_hi:[0,0,1]
	v_pk_fma_f32 v[4:5], v[4:5], v[0:1], v[8:9] op_sel:[0,0,1] op_sel_hi:[1,0,0]
	v_mov_b32_e32 v19, v5
	v_pk_mul_f32 v[4:5], v[6:7], v[2:3] op_sel:[0,1]
	s_delay_alu instid0(VALU_DEP_1) | instskip(SKIP_1) | instid1(VALU_DEP_1)
	v_pk_fma_f32 v[8:9], v[6:7], v[0:1], v[4:5] op_sel:[0,0,1] op_sel_hi:[1,1,0] neg_lo:[0,0,1] neg_hi:[0,0,1]
	v_pk_fma_f32 v[4:5], v[6:7], v[0:1], v[4:5] op_sel:[0,0,1] op_sel_hi:[1,0,0]
	v_mov_b32_e32 v9, v5
	ds_load_2addr_b64 v[4:7], v12 offset0:40 offset1:41
	v_pk_add_f32 v[168:169], v[168:169], v[18:19] neg_lo:[0,1] neg_hi:[0,1]
	v_pk_add_f32 v[162:163], v[162:163], v[8:9] neg_lo:[0,1] neg_hi:[0,1]
	s_wait_dscnt 0x0
	v_dual_mul_f32 v8, v5, v3 :: v_dual_mul_f32 v18, v5, v0
	s_delay_alu instid0(VALU_DEP_1) | instskip(NEXT) | instid1(VALU_DEP_2)
	v_pk_fma_f32 v[8:9], v[4:5], v[122:123], v[8:9] op_sel_hi:[1,1,0] neg_lo:[0,0,1] neg_hi:[0,0,1]
	v_pk_fma_f32 v[4:5], v[4:5], v[122:123], v[18:19] op_sel:[1,0,0] op_sel_hi:[0,1,0]
	s_delay_alu instid0(VALU_DEP_1) | instskip(SKIP_1) | instid1(VALU_DEP_2)
	v_mov_b32_e32 v9, v5
	v_pk_mul_f32 v[4:5], v[6:7], v[2:3] op_sel:[0,1]
	v_pk_add_f32 v[166:167], v[166:167], v[8:9] neg_lo:[0,1] neg_hi:[0,1]
	s_delay_alu instid0(VALU_DEP_2) | instskip(SKIP_1) | instid1(VALU_DEP_1)
	v_pk_fma_f32 v[8:9], v[6:7], v[0:1], v[4:5] op_sel:[0,0,1] op_sel_hi:[1,1,0] neg_lo:[0,0,1] neg_hi:[0,0,1]
	v_pk_fma_f32 v[4:5], v[6:7], v[0:1], v[4:5] op_sel:[0,0,1] op_sel_hi:[1,0,0]
	v_mov_b32_e32 v9, v5
	ds_load_2addr_b64 v[4:7], v12 offset0:42 offset1:43
	v_pk_add_f32 v[160:161], v[160:161], v[8:9] neg_lo:[0,1] neg_hi:[0,1]
	s_wait_dscnt 0x0
	v_pk_mul_f32 v[8:9], v[4:5], v[2:3] op_sel:[0,1]
	v_mul_f32_e32 v2, v7, v3
	s_delay_alu instid0(VALU_DEP_2) | instskip(SKIP_2) | instid1(VALU_DEP_4)
	v_pk_fma_f32 v[18:19], v[4:5], v[0:1], v[8:9] op_sel:[0,0,1] op_sel_hi:[1,1,0] neg_lo:[0,0,1] neg_hi:[0,0,1]
	v_pk_fma_f32 v[4:5], v[4:5], v[0:1], v[8:9] op_sel:[0,0,1] op_sel_hi:[1,0,0]
	v_dual_mov_b32 v4, v7 :: v_dual_mul_f32 v0, v7, v0
	v_pk_fma_f32 v[2:3], v[6:7], v[122:123], v[2:3] op_sel_hi:[1,1,0] neg_lo:[0,0,1] neg_hi:[0,0,1]
	s_delay_alu instid0(VALU_DEP_3) | instskip(NEXT) | instid1(VALU_DEP_1)
	v_dual_mov_b32 v19, v5 :: v_dual_mov_b32 v5, v6
	v_pk_add_f32 v[172:173], v[172:173], v[18:19] neg_lo:[0,1] neg_hi:[0,1]
	s_delay_alu instid0(VALU_DEP_2) | instskip(NEXT) | instid1(VALU_DEP_1)
	v_pk_fma_f32 v[0:1], v[4:5], v[122:123], v[0:1] op_sel_hi:[1,1,0]
	v_mov_b32_e32 v3, v1
	s_delay_alu instid0(VALU_DEP_1)
	v_pk_add_f32 v[176:177], v[176:177], v[2:3] neg_lo:[0,1] neg_hi:[0,1]
.LBB87_289:
	s_or_b32 exec_lo, exec_lo, s1
	s_delay_alu instid0(SALU_CYCLE_1)
	s_mov_b32 s2, exec_lo
	s_wait_dscnt 0x0
	s_barrier_signal -1
	s_barrier_wait -1
	v_cmpx_eq_u32_e32 32, v30
	s_cbranch_execz .LBB87_296
; %bb.290:
	ds_store_b64 v31, v[148:149]
	ds_store_2addr_b64 v12, v[144:145], v[146:147] offset0:33 offset1:34
	ds_store_2addr_b64 v12, v[142:143], v[170:171] offset0:35 offset1:36
	;; [unrolled: 1-line block ×5, first 2 shown]
	ds_store_b64 v12, v[176:177] offset:344
	ds_load_b64 v[0:1], v31
	s_wait_dscnt 0x0
	v_cmp_neq_f32_e32 vcc_lo, 0, v0
	v_cmp_neq_f32_e64 s1, 0, v1
	s_or_b32 s1, vcc_lo, s1
	s_delay_alu instid0(SALU_CYCLE_1)
	s_and_b32 exec_lo, exec_lo, s1
	s_cbranch_execz .LBB87_296
; %bb.291:
	v_cmp_ngt_f32_e64 s1, |v0|, |v1|
                                        ; implicit-def: $vgpr2_vgpr3
	s_and_saveexec_b32 s4, s1
	s_delay_alu instid0(SALU_CYCLE_1)
	s_xor_b32 s1, exec_lo, s4
	s_cbranch_execz .LBB87_293
; %bb.292:
	v_div_scale_f32 v2, null, v1, v1, v0
	v_div_scale_f32 v5, vcc_lo, v0, v1, v0
	s_delay_alu instid0(VALU_DEP_2) | instskip(SKIP_1) | instid1(TRANS32_DEP_1)
	v_rcp_f32_e32 v3, v2
	v_nop
	v_fma_f32 v4, -v2, v3, 1.0
	s_delay_alu instid0(VALU_DEP_1) | instskip(NEXT) | instid1(VALU_DEP_1)
	v_fmac_f32_e32 v3, v4, v3
	v_mul_f32_e32 v4, v5, v3
	s_delay_alu instid0(VALU_DEP_1) | instskip(NEXT) | instid1(VALU_DEP_1)
	v_fma_f32 v6, -v2, v4, v5
	v_fmac_f32_e32 v4, v6, v3
	s_delay_alu instid0(VALU_DEP_1) | instskip(NEXT) | instid1(VALU_DEP_1)
	v_fma_f32 v2, -v2, v4, v5
	v_div_fmas_f32 v2, v2, v3, v4
	s_delay_alu instid0(VALU_DEP_1) | instskip(NEXT) | instid1(VALU_DEP_1)
	v_div_fixup_f32 v2, v2, v1, v0
	v_fmac_f32_e32 v1, v0, v2
	s_delay_alu instid0(VALU_DEP_1) | instskip(SKIP_1) | instid1(VALU_DEP_2)
	v_div_scale_f32 v0, null, v1, v1, 1.0
	v_div_scale_f32 v5, vcc_lo, 1.0, v1, 1.0
	v_rcp_f32_e32 v3, v0
	v_nop
	s_delay_alu instid0(TRANS32_DEP_1) | instskip(NEXT) | instid1(VALU_DEP_1)
	v_fma_f32 v4, -v0, v3, 1.0
	v_fmac_f32_e32 v3, v4, v3
	s_delay_alu instid0(VALU_DEP_1) | instskip(NEXT) | instid1(VALU_DEP_1)
	v_mul_f32_e32 v4, v5, v3
	v_fma_f32 v6, -v0, v4, v5
	s_delay_alu instid0(VALU_DEP_1) | instskip(NEXT) | instid1(VALU_DEP_1)
	v_fmac_f32_e32 v4, v6, v3
	v_fma_f32 v0, -v0, v4, v5
	s_delay_alu instid0(VALU_DEP_1) | instskip(NEXT) | instid1(VALU_DEP_1)
	v_div_fmas_f32 v0, v0, v3, v4
	v_div_fixup_f32 v0, v0, v1, 1.0
	s_delay_alu instid0(VALU_DEP_1)
	v_mul_f32_e32 v2, v2, v0
	v_xor_b32_e32 v3, 0x80000000, v0
                                        ; implicit-def: $vgpr0_vgpr1
.LBB87_293:
	s_and_not1_saveexec_b32 s1, s1
	s_cbranch_execz .LBB87_295
; %bb.294:
	v_div_scale_f32 v2, null, v0, v0, v1
	v_div_scale_f32 v5, vcc_lo, v1, v0, v1
	s_delay_alu instid0(VALU_DEP_2) | instskip(SKIP_1) | instid1(TRANS32_DEP_1)
	v_rcp_f32_e32 v3, v2
	v_nop
	v_fma_f32 v4, -v2, v3, 1.0
	s_delay_alu instid0(VALU_DEP_1) | instskip(NEXT) | instid1(VALU_DEP_1)
	v_fmac_f32_e32 v3, v4, v3
	v_mul_f32_e32 v4, v5, v3
	s_delay_alu instid0(VALU_DEP_1) | instskip(NEXT) | instid1(VALU_DEP_1)
	v_fma_f32 v6, -v2, v4, v5
	v_fmac_f32_e32 v4, v6, v3
	s_delay_alu instid0(VALU_DEP_1) | instskip(NEXT) | instid1(VALU_DEP_1)
	v_fma_f32 v2, -v2, v4, v5
	v_div_fmas_f32 v2, v2, v3, v4
	s_delay_alu instid0(VALU_DEP_1) | instskip(NEXT) | instid1(VALU_DEP_1)
	v_div_fixup_f32 v3, v2, v0, v1
	v_fmac_f32_e32 v0, v1, v3
	s_delay_alu instid0(VALU_DEP_1) | instskip(NEXT) | instid1(VALU_DEP_1)
	v_div_scale_f32 v1, null, v0, v0, 1.0
	v_rcp_f32_e32 v2, v1
	v_nop
	s_delay_alu instid0(TRANS32_DEP_1) | instskip(NEXT) | instid1(VALU_DEP_1)
	v_fma_f32 v4, -v1, v2, 1.0
	v_fmac_f32_e32 v2, v4, v2
	v_div_scale_f32 v4, vcc_lo, 1.0, v0, 1.0
	s_delay_alu instid0(VALU_DEP_1) | instskip(NEXT) | instid1(VALU_DEP_1)
	v_mul_f32_e32 v5, v4, v2
	v_fma_f32 v6, -v1, v5, v4
	s_delay_alu instid0(VALU_DEP_1) | instskip(NEXT) | instid1(VALU_DEP_1)
	v_fmac_f32_e32 v5, v6, v2
	v_fma_f32 v1, -v1, v5, v4
	s_delay_alu instid0(VALU_DEP_1) | instskip(NEXT) | instid1(VALU_DEP_1)
	v_div_fmas_f32 v1, v1, v2, v5
	v_div_fixup_f32 v2, v1, v0, 1.0
	s_delay_alu instid0(VALU_DEP_1)
	v_mul_f32_e64 v3, v3, -v2
.LBB87_295:
	s_or_b32 exec_lo, exec_lo, s1
	ds_store_b64 v31, v[2:3]
.LBB87_296:
	s_or_b32 exec_lo, exec_lo, s2
	s_wait_dscnt 0x0
	s_barrier_signal -1
	s_barrier_wait -1
	ds_load_b64 v[242:243], v31
	s_mov_b32 s1, exec_lo
	v_cmpx_lt_u32_e32 32, v30
	s_cbranch_execz .LBB87_298
; %bb.297:
	ds_load_2addr_b64 v[4:7], v12 offset0:33 offset1:34
	s_wait_dscnt 0x1
	v_pk_mul_f32 v[2:3], v[242:243], v[148:149] op_sel:[1,1] op_sel_hi:[0,1]
	s_delay_alu instid0(VALU_DEP_1) | instskip(SKIP_1) | instid1(VALU_DEP_1)
	v_pk_fma_f32 v[0:1], v[242:243], v[148:149], v[2:3] op_sel_hi:[1,0,1] neg_lo:[0,0,1] neg_hi:[0,0,1]
	v_pk_fma_f32 v[2:3], v[242:243], v[148:149], v[2:3] op_sel_hi:[1,0,1]
	v_dual_mov_b32 v148, v0 :: v_dual_mov_b32 v149, v3
	s_wait_dscnt 0x0
	s_delay_alu instid0(VALU_DEP_2) | instskip(NEXT) | instid1(VALU_DEP_1)
	v_pk_mul_f32 v[8:9], v[4:5], v[2:3] op_sel:[0,1]
	v_pk_fma_f32 v[18:19], v[4:5], v[0:1], v[8:9] op_sel:[0,0,1] op_sel_hi:[1,1,0] neg_lo:[0,0,1] neg_hi:[0,0,1]
	v_pk_fma_f32 v[4:5], v[4:5], v[0:1], v[8:9] op_sel:[0,0,1] op_sel_hi:[1,0,0]
	s_delay_alu instid0(VALU_DEP_1) | instskip(SKIP_1) | instid1(VALU_DEP_1)
	v_mov_b32_e32 v19, v5
	v_pk_mul_f32 v[4:5], v[6:7], v[2:3] op_sel:[0,1]
	v_pk_fma_f32 v[8:9], v[6:7], v[0:1], v[4:5] op_sel:[0,0,1] op_sel_hi:[1,1,0] neg_lo:[0,0,1] neg_hi:[0,0,1]
	v_pk_fma_f32 v[4:5], v[6:7], v[0:1], v[4:5] op_sel:[0,0,1] op_sel_hi:[1,0,0]
	s_delay_alu instid0(VALU_DEP_1)
	v_mov_b32_e32 v9, v5
	ds_load_2addr_b64 v[4:7], v12 offset0:35 offset1:36
	v_pk_add_f32 v[144:145], v[144:145], v[18:19] neg_lo:[0,1] neg_hi:[0,1]
	v_pk_add_f32 v[146:147], v[146:147], v[8:9] neg_lo:[0,1] neg_hi:[0,1]
	s_wait_dscnt 0x0
	v_pk_mul_f32 v[8:9], v[4:5], v[2:3] op_sel:[0,1]
	s_delay_alu instid0(VALU_DEP_1) | instskip(SKIP_2) | instid1(VALU_DEP_2)
	v_pk_fma_f32 v[18:19], v[4:5], v[0:1], v[8:9] op_sel:[0,0,1] op_sel_hi:[1,1,0] neg_lo:[0,0,1] neg_hi:[0,0,1]
	v_pk_fma_f32 v[4:5], v[4:5], v[0:1], v[8:9] op_sel:[0,0,1] op_sel_hi:[1,0,0]
	v_dual_mul_f32 v8, v7, v3 :: v_dual_mov_b32 v4, v7
	v_dual_mov_b32 v19, v5 :: v_dual_mov_b32 v5, v6
	s_delay_alu instid0(VALU_DEP_2) | instskip(SKIP_1) | instid1(VALU_DEP_3)
	v_pk_fma_f32 v[8:9], v[6:7], v[148:149], v[8:9] op_sel_hi:[1,1,0] neg_lo:[0,0,1] neg_hi:[0,0,1]
	v_mul_f32_e32 v6, v7, v0
	v_pk_add_f32 v[142:143], v[142:143], v[18:19] neg_lo:[0,1] neg_hi:[0,1]
	s_delay_alu instid0(VALU_DEP_2) | instskip(NEXT) | instid1(VALU_DEP_1)
	v_pk_fma_f32 v[4:5], v[4:5], v[148:149], v[6:7] op_sel_hi:[1,1,0]
	v_mov_b32_e32 v9, v5
	ds_load_2addr_b64 v[4:7], v12 offset0:37 offset1:38
	v_pk_add_f32 v[170:171], v[170:171], v[8:9] neg_lo:[0,1] neg_hi:[0,1]
	s_wait_dscnt 0x0
	v_pk_mul_f32 v[8:9], v[4:5], v[2:3] op_sel:[0,1]
	s_delay_alu instid0(VALU_DEP_1) | instskip(SKIP_1) | instid1(VALU_DEP_1)
	v_pk_fma_f32 v[18:19], v[4:5], v[0:1], v[8:9] op_sel:[0,0,1] op_sel_hi:[1,1,0] neg_lo:[0,0,1] neg_hi:[0,0,1]
	v_pk_fma_f32 v[4:5], v[4:5], v[0:1], v[8:9] op_sel:[0,0,1] op_sel_hi:[1,0,0]
	v_mov_b32_e32 v19, v5
	v_pk_mul_f32 v[4:5], v[6:7], v[2:3] op_sel:[0,1]
	s_delay_alu instid0(VALU_DEP_1) | instskip(SKIP_1) | instid1(VALU_DEP_1)
	v_pk_fma_f32 v[8:9], v[6:7], v[0:1], v[4:5] op_sel:[0,0,1] op_sel_hi:[1,1,0] neg_lo:[0,0,1] neg_hi:[0,0,1]
	v_pk_fma_f32 v[4:5], v[6:7], v[0:1], v[4:5] op_sel:[0,0,1] op_sel_hi:[1,0,0]
	v_mov_b32_e32 v9, v5
	ds_load_2addr_b64 v[4:7], v12 offset0:39 offset1:40
	v_pk_add_f32 v[164:165], v[164:165], v[18:19] neg_lo:[0,1] neg_hi:[0,1]
	v_pk_add_f32 v[168:169], v[168:169], v[8:9] neg_lo:[0,1] neg_hi:[0,1]
	s_wait_dscnt 0x0
	v_pk_mul_f32 v[8:9], v[4:5], v[2:3] op_sel:[0,1]
	s_delay_alu instid0(VALU_DEP_1) | instskip(SKIP_1) | instid1(VALU_DEP_1)
	v_pk_fma_f32 v[18:19], v[4:5], v[0:1], v[8:9] op_sel:[0,0,1] op_sel_hi:[1,1,0] neg_lo:[0,0,1] neg_hi:[0,0,1]
	v_pk_fma_f32 v[4:5], v[4:5], v[0:1], v[8:9] op_sel:[0,0,1] op_sel_hi:[1,0,0]
	v_mov_b32_e32 v19, v5
	v_pk_mul_f32 v[4:5], v[6:7], v[2:3] op_sel:[0,1]
	s_delay_alu instid0(VALU_DEP_1) | instskip(SKIP_1) | instid1(VALU_DEP_1)
	v_pk_fma_f32 v[8:9], v[6:7], v[0:1], v[4:5] op_sel:[0,0,1] op_sel_hi:[1,1,0] neg_lo:[0,0,1] neg_hi:[0,0,1]
	v_pk_fma_f32 v[4:5], v[6:7], v[0:1], v[4:5] op_sel:[0,0,1] op_sel_hi:[1,0,0]
	v_mov_b32_e32 v9, v5
	ds_load_2addr_b64 v[4:7], v12 offset0:41 offset1:42
	v_pk_add_f32 v[162:163], v[162:163], v[18:19] neg_lo:[0,1] neg_hi:[0,1]
	v_pk_add_f32 v[166:167], v[166:167], v[8:9] neg_lo:[0,1] neg_hi:[0,1]
	s_wait_dscnt 0x0
	v_dual_mul_f32 v8, v5, v3 :: v_dual_mul_f32 v18, v5, v0
	s_delay_alu instid0(VALU_DEP_1) | instskip(NEXT) | instid1(VALU_DEP_2)
	v_pk_fma_f32 v[8:9], v[4:5], v[148:149], v[8:9] op_sel_hi:[1,1,0] neg_lo:[0,0,1] neg_hi:[0,0,1]
	v_pk_fma_f32 v[4:5], v[4:5], v[148:149], v[18:19] op_sel:[1,0,0] op_sel_hi:[0,1,0]
	s_delay_alu instid0(VALU_DEP_1) | instskip(SKIP_1) | instid1(VALU_DEP_2)
	v_mov_b32_e32 v9, v5
	v_pk_mul_f32 v[4:5], v[6:7], v[2:3] op_sel:[0,1]
	v_pk_add_f32 v[160:161], v[160:161], v[8:9] neg_lo:[0,1] neg_hi:[0,1]
	s_delay_alu instid0(VALU_DEP_2) | instskip(SKIP_1) | instid1(VALU_DEP_1)
	v_pk_fma_f32 v[8:9], v[6:7], v[0:1], v[4:5] op_sel:[0,0,1] op_sel_hi:[1,1,0] neg_lo:[0,0,1] neg_hi:[0,0,1]
	v_pk_fma_f32 v[4:5], v[6:7], v[0:1], v[4:5] op_sel:[0,0,1] op_sel_hi:[1,0,0]
	v_mov_b32_e32 v9, v5
	ds_load_b64 v[4:5], v12 offset:344
	v_pk_add_f32 v[172:173], v[172:173], v[8:9] neg_lo:[0,1] neg_hi:[0,1]
	s_wait_dscnt 0x0
	v_pk_mul_f32 v[2:3], v[4:5], v[2:3] op_sel:[0,1]
	s_delay_alu instid0(VALU_DEP_1) | instskip(SKIP_1) | instid1(VALU_DEP_1)
	v_pk_fma_f32 v[6:7], v[4:5], v[0:1], v[2:3] op_sel:[0,0,1] op_sel_hi:[1,1,0] neg_lo:[0,0,1] neg_hi:[0,0,1]
	v_pk_fma_f32 v[0:1], v[4:5], v[0:1], v[2:3] op_sel:[0,0,1] op_sel_hi:[1,0,0]
	v_mov_b32_e32 v7, v1
	s_delay_alu instid0(VALU_DEP_1)
	v_pk_add_f32 v[176:177], v[176:177], v[6:7] neg_lo:[0,1] neg_hi:[0,1]
.LBB87_298:
	s_or_b32 exec_lo, exec_lo, s1
	s_delay_alu instid0(SALU_CYCLE_1)
	s_mov_b32 s2, exec_lo
	s_wait_dscnt 0x0
	s_barrier_signal -1
	s_barrier_wait -1
	v_cmpx_eq_u32_e32 33, v30
	s_cbranch_execz .LBB87_305
; %bb.299:
	v_dual_mov_b32 v0, v146 :: v_dual_mov_b32 v1, v147
	v_dual_mov_b32 v2, v142 :: v_dual_mov_b32 v3, v143
	ds_store_b64 v31, v[144:145]
	ds_store_2addr_b64 v12, v[0:1], v[2:3] offset0:34 offset1:35
	v_dual_mov_b32 v0, v170 :: v_dual_mov_b32 v1, v171
	v_dual_mov_b32 v2, v164 :: v_dual_mov_b32 v3, v165
	ds_store_2addr_b64 v12, v[0:1], v[2:3] offset0:36 offset1:37
	v_dual_mov_b32 v0, v168 :: v_dual_mov_b32 v1, v169
	v_dual_mov_b32 v2, v162 :: v_dual_mov_b32 v3, v163
	;; [unrolled: 3-line block ×3, first 2 shown]
	ds_store_2addr_b64 v12, v[0:1], v[2:3] offset0:40 offset1:41
	v_dual_mov_b32 v0, v172 :: v_dual_mov_b32 v1, v173
	ds_store_2addr_b64 v12, v[0:1], v[176:177] offset0:42 offset1:43
	ds_load_b64 v[0:1], v31
	s_wait_dscnt 0x0
	v_cmp_neq_f32_e32 vcc_lo, 0, v0
	v_cmp_neq_f32_e64 s1, 0, v1
	s_or_b32 s1, vcc_lo, s1
	s_delay_alu instid0(SALU_CYCLE_1)
	s_and_b32 exec_lo, exec_lo, s1
	s_cbranch_execz .LBB87_305
; %bb.300:
	v_cmp_ngt_f32_e64 s1, |v0|, |v1|
                                        ; implicit-def: $vgpr2_vgpr3
	s_and_saveexec_b32 s4, s1
	s_delay_alu instid0(SALU_CYCLE_1)
	s_xor_b32 s1, exec_lo, s4
	s_cbranch_execz .LBB87_302
; %bb.301:
	v_div_scale_f32 v2, null, v1, v1, v0
	v_div_scale_f32 v5, vcc_lo, v0, v1, v0
	s_delay_alu instid0(VALU_DEP_2) | instskip(SKIP_1) | instid1(TRANS32_DEP_1)
	v_rcp_f32_e32 v3, v2
	v_nop
	v_fma_f32 v4, -v2, v3, 1.0
	s_delay_alu instid0(VALU_DEP_1) | instskip(NEXT) | instid1(VALU_DEP_1)
	v_fmac_f32_e32 v3, v4, v3
	v_mul_f32_e32 v4, v5, v3
	s_delay_alu instid0(VALU_DEP_1) | instskip(NEXT) | instid1(VALU_DEP_1)
	v_fma_f32 v6, -v2, v4, v5
	v_fmac_f32_e32 v4, v6, v3
	s_delay_alu instid0(VALU_DEP_1) | instskip(NEXT) | instid1(VALU_DEP_1)
	v_fma_f32 v2, -v2, v4, v5
	v_div_fmas_f32 v2, v2, v3, v4
	s_delay_alu instid0(VALU_DEP_1) | instskip(NEXT) | instid1(VALU_DEP_1)
	v_div_fixup_f32 v2, v2, v1, v0
	v_fmac_f32_e32 v1, v0, v2
	s_delay_alu instid0(VALU_DEP_1) | instskip(SKIP_1) | instid1(VALU_DEP_2)
	v_div_scale_f32 v0, null, v1, v1, 1.0
	v_div_scale_f32 v5, vcc_lo, 1.0, v1, 1.0
	v_rcp_f32_e32 v3, v0
	v_nop
	s_delay_alu instid0(TRANS32_DEP_1) | instskip(NEXT) | instid1(VALU_DEP_1)
	v_fma_f32 v4, -v0, v3, 1.0
	v_fmac_f32_e32 v3, v4, v3
	s_delay_alu instid0(VALU_DEP_1) | instskip(NEXT) | instid1(VALU_DEP_1)
	v_mul_f32_e32 v4, v5, v3
	v_fma_f32 v6, -v0, v4, v5
	s_delay_alu instid0(VALU_DEP_1) | instskip(NEXT) | instid1(VALU_DEP_1)
	v_fmac_f32_e32 v4, v6, v3
	v_fma_f32 v0, -v0, v4, v5
	s_delay_alu instid0(VALU_DEP_1) | instskip(NEXT) | instid1(VALU_DEP_1)
	v_div_fmas_f32 v0, v0, v3, v4
	v_div_fixup_f32 v0, v0, v1, 1.0
	s_delay_alu instid0(VALU_DEP_1)
	v_mul_f32_e32 v2, v2, v0
	v_xor_b32_e32 v3, 0x80000000, v0
                                        ; implicit-def: $vgpr0_vgpr1
.LBB87_302:
	s_and_not1_saveexec_b32 s1, s1
	s_cbranch_execz .LBB87_304
; %bb.303:
	v_div_scale_f32 v2, null, v0, v0, v1
	v_div_scale_f32 v5, vcc_lo, v1, v0, v1
	s_delay_alu instid0(VALU_DEP_2) | instskip(SKIP_1) | instid1(TRANS32_DEP_1)
	v_rcp_f32_e32 v3, v2
	v_nop
	v_fma_f32 v4, -v2, v3, 1.0
	s_delay_alu instid0(VALU_DEP_1) | instskip(NEXT) | instid1(VALU_DEP_1)
	v_fmac_f32_e32 v3, v4, v3
	v_mul_f32_e32 v4, v5, v3
	s_delay_alu instid0(VALU_DEP_1) | instskip(NEXT) | instid1(VALU_DEP_1)
	v_fma_f32 v6, -v2, v4, v5
	v_fmac_f32_e32 v4, v6, v3
	s_delay_alu instid0(VALU_DEP_1) | instskip(NEXT) | instid1(VALU_DEP_1)
	v_fma_f32 v2, -v2, v4, v5
	v_div_fmas_f32 v2, v2, v3, v4
	s_delay_alu instid0(VALU_DEP_1) | instskip(NEXT) | instid1(VALU_DEP_1)
	v_div_fixup_f32 v3, v2, v0, v1
	v_fmac_f32_e32 v0, v1, v3
	s_delay_alu instid0(VALU_DEP_1) | instskip(NEXT) | instid1(VALU_DEP_1)
	v_div_scale_f32 v1, null, v0, v0, 1.0
	v_rcp_f32_e32 v2, v1
	v_nop
	s_delay_alu instid0(TRANS32_DEP_1) | instskip(NEXT) | instid1(VALU_DEP_1)
	v_fma_f32 v4, -v1, v2, 1.0
	v_fmac_f32_e32 v2, v4, v2
	v_div_scale_f32 v4, vcc_lo, 1.0, v0, 1.0
	s_delay_alu instid0(VALU_DEP_1) | instskip(NEXT) | instid1(VALU_DEP_1)
	v_mul_f32_e32 v5, v4, v2
	v_fma_f32 v6, -v1, v5, v4
	s_delay_alu instid0(VALU_DEP_1) | instskip(NEXT) | instid1(VALU_DEP_1)
	v_fmac_f32_e32 v5, v6, v2
	v_fma_f32 v1, -v1, v5, v4
	s_delay_alu instid0(VALU_DEP_1) | instskip(NEXT) | instid1(VALU_DEP_1)
	v_div_fmas_f32 v1, v1, v2, v5
	v_div_fixup_f32 v2, v1, v0, 1.0
	s_delay_alu instid0(VALU_DEP_1)
	v_mul_f32_e64 v3, v3, -v2
.LBB87_304:
	s_or_b32 exec_lo, exec_lo, s1
	ds_store_b64 v31, v[2:3]
.LBB87_305:
	s_or_b32 exec_lo, exec_lo, s2
	s_wait_dscnt 0x0
	s_barrier_signal -1
	s_barrier_wait -1
	ds_load_b64 v[244:245], v31
	s_mov_b32 s1, exec_lo
	v_cmpx_lt_u32_e32 33, v30
	s_cbranch_execz .LBB87_307
; %bb.306:
	ds_load_2addr_b64 v[4:7], v12 offset0:34 offset1:35
	s_wait_dscnt 0x1
	v_pk_mul_f32 v[2:3], v[244:245], v[144:145] op_sel:[1,1] op_sel_hi:[0,1]
	s_delay_alu instid0(VALU_DEP_1) | instskip(SKIP_1) | instid1(VALU_DEP_1)
	v_pk_fma_f32 v[0:1], v[244:245], v[144:145], v[2:3] op_sel_hi:[1,0,1] neg_lo:[0,0,1] neg_hi:[0,0,1]
	v_pk_fma_f32 v[2:3], v[244:245], v[144:145], v[2:3] op_sel_hi:[1,0,1]
	v_dual_mov_b32 v144, v0 :: v_dual_mov_b32 v145, v3
	s_wait_dscnt 0x0
	s_delay_alu instid0(VALU_DEP_2) | instskip(NEXT) | instid1(VALU_DEP_1)
	v_pk_mul_f32 v[8:9], v[4:5], v[2:3] op_sel:[0,1]
	v_pk_fma_f32 v[18:19], v[4:5], v[0:1], v[8:9] op_sel:[0,0,1] op_sel_hi:[1,1,0] neg_lo:[0,0,1] neg_hi:[0,0,1]
	v_pk_fma_f32 v[4:5], v[4:5], v[0:1], v[8:9] op_sel:[0,0,1] op_sel_hi:[1,0,0]
	s_delay_alu instid0(VALU_DEP_1) | instskip(SKIP_1) | instid1(VALU_DEP_1)
	v_mov_b32_e32 v19, v5
	v_pk_mul_f32 v[4:5], v[6:7], v[2:3] op_sel:[0,1]
	v_pk_fma_f32 v[8:9], v[6:7], v[0:1], v[4:5] op_sel:[0,0,1] op_sel_hi:[1,1,0] neg_lo:[0,0,1] neg_hi:[0,0,1]
	v_pk_fma_f32 v[4:5], v[6:7], v[0:1], v[4:5] op_sel:[0,0,1] op_sel_hi:[1,0,0]
	s_delay_alu instid0(VALU_DEP_1)
	v_mov_b32_e32 v9, v5
	ds_load_2addr_b64 v[4:7], v12 offset0:36 offset1:37
	v_pk_add_f32 v[146:147], v[146:147], v[18:19] neg_lo:[0,1] neg_hi:[0,1]
	v_pk_add_f32 v[142:143], v[142:143], v[8:9] neg_lo:[0,1] neg_hi:[0,1]
	s_wait_dscnt 0x0
	v_pk_mul_f32 v[8:9], v[4:5], v[2:3] op_sel:[0,1]
	s_delay_alu instid0(VALU_DEP_1) | instskip(SKIP_2) | instid1(VALU_DEP_2)
	v_pk_fma_f32 v[18:19], v[4:5], v[0:1], v[8:9] op_sel:[0,0,1] op_sel_hi:[1,1,0] neg_lo:[0,0,1] neg_hi:[0,0,1]
	v_pk_fma_f32 v[4:5], v[4:5], v[0:1], v[8:9] op_sel:[0,0,1] op_sel_hi:[1,0,0]
	v_dual_mul_f32 v8, v7, v3 :: v_dual_mov_b32 v4, v7
	v_dual_mov_b32 v19, v5 :: v_dual_mov_b32 v5, v6
	s_delay_alu instid0(VALU_DEP_2) | instskip(SKIP_1) | instid1(VALU_DEP_3)
	v_pk_fma_f32 v[8:9], v[6:7], v[144:145], v[8:9] op_sel_hi:[1,1,0] neg_lo:[0,0,1] neg_hi:[0,0,1]
	v_mul_f32_e32 v6, v7, v0
	v_pk_add_f32 v[170:171], v[170:171], v[18:19] neg_lo:[0,1] neg_hi:[0,1]
	s_delay_alu instid0(VALU_DEP_2) | instskip(NEXT) | instid1(VALU_DEP_1)
	v_pk_fma_f32 v[4:5], v[4:5], v[144:145], v[6:7] op_sel_hi:[1,1,0]
	v_mov_b32_e32 v9, v5
	ds_load_2addr_b64 v[4:7], v12 offset0:38 offset1:39
	v_pk_add_f32 v[164:165], v[164:165], v[8:9] neg_lo:[0,1] neg_hi:[0,1]
	s_wait_dscnt 0x0
	v_pk_mul_f32 v[8:9], v[4:5], v[2:3] op_sel:[0,1]
	s_delay_alu instid0(VALU_DEP_1) | instskip(SKIP_1) | instid1(VALU_DEP_1)
	v_pk_fma_f32 v[18:19], v[4:5], v[0:1], v[8:9] op_sel:[0,0,1] op_sel_hi:[1,1,0] neg_lo:[0,0,1] neg_hi:[0,0,1]
	v_pk_fma_f32 v[4:5], v[4:5], v[0:1], v[8:9] op_sel:[0,0,1] op_sel_hi:[1,0,0]
	v_mov_b32_e32 v19, v5
	v_pk_mul_f32 v[4:5], v[6:7], v[2:3] op_sel:[0,1]
	s_delay_alu instid0(VALU_DEP_1) | instskip(SKIP_1) | instid1(VALU_DEP_1)
	v_pk_fma_f32 v[8:9], v[6:7], v[0:1], v[4:5] op_sel:[0,0,1] op_sel_hi:[1,1,0] neg_lo:[0,0,1] neg_hi:[0,0,1]
	v_pk_fma_f32 v[4:5], v[6:7], v[0:1], v[4:5] op_sel:[0,0,1] op_sel_hi:[1,0,0]
	v_mov_b32_e32 v9, v5
	ds_load_2addr_b64 v[4:7], v12 offset0:40 offset1:41
	v_pk_add_f32 v[168:169], v[168:169], v[18:19] neg_lo:[0,1] neg_hi:[0,1]
	v_pk_add_f32 v[162:163], v[162:163], v[8:9] neg_lo:[0,1] neg_hi:[0,1]
	s_wait_dscnt 0x0
	v_pk_mul_f32 v[8:9], v[4:5], v[2:3] op_sel:[0,1]
	s_delay_alu instid0(VALU_DEP_1) | instskip(SKIP_1) | instid1(VALU_DEP_1)
	v_pk_fma_f32 v[18:19], v[4:5], v[0:1], v[8:9] op_sel:[0,0,1] op_sel_hi:[1,1,0] neg_lo:[0,0,1] neg_hi:[0,0,1]
	v_pk_fma_f32 v[4:5], v[4:5], v[0:1], v[8:9] op_sel:[0,0,1] op_sel_hi:[1,0,0]
	v_mov_b32_e32 v19, v5
	v_pk_mul_f32 v[4:5], v[6:7], v[2:3] op_sel:[0,1]
	s_delay_alu instid0(VALU_DEP_1) | instskip(SKIP_1) | instid1(VALU_DEP_1)
	v_pk_fma_f32 v[8:9], v[6:7], v[0:1], v[4:5] op_sel:[0,0,1] op_sel_hi:[1,1,0] neg_lo:[0,0,1] neg_hi:[0,0,1]
	v_pk_fma_f32 v[4:5], v[6:7], v[0:1], v[4:5] op_sel:[0,0,1] op_sel_hi:[1,0,0]
	v_mov_b32_e32 v9, v5
	ds_load_2addr_b64 v[4:7], v12 offset0:42 offset1:43
	v_pk_add_f32 v[166:167], v[166:167], v[18:19] neg_lo:[0,1] neg_hi:[0,1]
	v_pk_add_f32 v[160:161], v[160:161], v[8:9] neg_lo:[0,1] neg_hi:[0,1]
	s_wait_dscnt 0x0
	v_dual_mul_f32 v8, v5, v3 :: v_dual_mul_f32 v18, v5, v0
	v_pk_mul_f32 v[2:3], v[6:7], v[2:3] op_sel:[0,1]
	s_delay_alu instid0(VALU_DEP_2) | instskip(NEXT) | instid1(VALU_DEP_3)
	v_pk_fma_f32 v[8:9], v[4:5], v[144:145], v[8:9] op_sel_hi:[1,1,0] neg_lo:[0,0,1] neg_hi:[0,0,1]
	v_pk_fma_f32 v[4:5], v[4:5], v[144:145], v[18:19] op_sel:[1,0,0] op_sel_hi:[0,1,0]
	s_delay_alu instid0(VALU_DEP_1) | instskip(NEXT) | instid1(VALU_DEP_4)
	v_mov_b32_e32 v9, v5
	v_pk_fma_f32 v[4:5], v[6:7], v[0:1], v[2:3] op_sel:[0,0,1] op_sel_hi:[1,1,0] neg_lo:[0,0,1] neg_hi:[0,0,1]
	v_pk_fma_f32 v[0:1], v[6:7], v[0:1], v[2:3] op_sel:[0,0,1] op_sel_hi:[1,0,0]
	s_delay_alu instid0(VALU_DEP_1) | instskip(NEXT) | instid1(VALU_DEP_4)
	v_mov_b32_e32 v5, v1
	v_pk_add_f32 v[172:173], v[172:173], v[8:9] neg_lo:[0,1] neg_hi:[0,1]
	s_delay_alu instid0(VALU_DEP_2)
	v_pk_add_f32 v[176:177], v[176:177], v[4:5] neg_lo:[0,1] neg_hi:[0,1]
.LBB87_307:
	s_or_b32 exec_lo, exec_lo, s1
	s_delay_alu instid0(SALU_CYCLE_1)
	s_mov_b32 s2, exec_lo
	s_wait_dscnt 0x0
	s_barrier_signal -1
	s_barrier_wait -1
	v_cmpx_eq_u32_e32 34, v30
	s_cbranch_execz .LBB87_314
; %bb.308:
	ds_store_b64 v31, v[146:147]
	ds_store_2addr_b64 v12, v[142:143], v[170:171] offset0:35 offset1:36
	ds_store_2addr_b64 v12, v[164:165], v[168:169] offset0:37 offset1:38
	;; [unrolled: 1-line block ×4, first 2 shown]
	ds_store_b64 v12, v[176:177] offset:344
	ds_load_b64 v[0:1], v31
	s_wait_dscnt 0x0
	v_cmp_neq_f32_e32 vcc_lo, 0, v0
	v_cmp_neq_f32_e64 s1, 0, v1
	s_or_b32 s1, vcc_lo, s1
	s_delay_alu instid0(SALU_CYCLE_1)
	s_and_b32 exec_lo, exec_lo, s1
	s_cbranch_execz .LBB87_314
; %bb.309:
	v_cmp_ngt_f32_e64 s1, |v0|, |v1|
                                        ; implicit-def: $vgpr2_vgpr3
	s_and_saveexec_b32 s4, s1
	s_delay_alu instid0(SALU_CYCLE_1)
	s_xor_b32 s1, exec_lo, s4
	s_cbranch_execz .LBB87_311
; %bb.310:
	v_div_scale_f32 v2, null, v1, v1, v0
	v_div_scale_f32 v5, vcc_lo, v0, v1, v0
	s_delay_alu instid0(VALU_DEP_2) | instskip(SKIP_1) | instid1(TRANS32_DEP_1)
	v_rcp_f32_e32 v3, v2
	v_nop
	v_fma_f32 v4, -v2, v3, 1.0
	s_delay_alu instid0(VALU_DEP_1) | instskip(NEXT) | instid1(VALU_DEP_1)
	v_fmac_f32_e32 v3, v4, v3
	v_mul_f32_e32 v4, v5, v3
	s_delay_alu instid0(VALU_DEP_1) | instskip(NEXT) | instid1(VALU_DEP_1)
	v_fma_f32 v6, -v2, v4, v5
	v_fmac_f32_e32 v4, v6, v3
	s_delay_alu instid0(VALU_DEP_1) | instskip(NEXT) | instid1(VALU_DEP_1)
	v_fma_f32 v2, -v2, v4, v5
	v_div_fmas_f32 v2, v2, v3, v4
	s_delay_alu instid0(VALU_DEP_1) | instskip(NEXT) | instid1(VALU_DEP_1)
	v_div_fixup_f32 v2, v2, v1, v0
	v_fmac_f32_e32 v1, v0, v2
	s_delay_alu instid0(VALU_DEP_1) | instskip(SKIP_1) | instid1(VALU_DEP_2)
	v_div_scale_f32 v0, null, v1, v1, 1.0
	v_div_scale_f32 v5, vcc_lo, 1.0, v1, 1.0
	v_rcp_f32_e32 v3, v0
	v_nop
	s_delay_alu instid0(TRANS32_DEP_1) | instskip(NEXT) | instid1(VALU_DEP_1)
	v_fma_f32 v4, -v0, v3, 1.0
	v_fmac_f32_e32 v3, v4, v3
	s_delay_alu instid0(VALU_DEP_1) | instskip(NEXT) | instid1(VALU_DEP_1)
	v_mul_f32_e32 v4, v5, v3
	v_fma_f32 v6, -v0, v4, v5
	s_delay_alu instid0(VALU_DEP_1) | instskip(NEXT) | instid1(VALU_DEP_1)
	v_fmac_f32_e32 v4, v6, v3
	v_fma_f32 v0, -v0, v4, v5
	s_delay_alu instid0(VALU_DEP_1) | instskip(NEXT) | instid1(VALU_DEP_1)
	v_div_fmas_f32 v0, v0, v3, v4
	v_div_fixup_f32 v0, v0, v1, 1.0
	s_delay_alu instid0(VALU_DEP_1)
	v_mul_f32_e32 v2, v2, v0
	v_xor_b32_e32 v3, 0x80000000, v0
                                        ; implicit-def: $vgpr0_vgpr1
.LBB87_311:
	s_and_not1_saveexec_b32 s1, s1
	s_cbranch_execz .LBB87_313
; %bb.312:
	v_div_scale_f32 v2, null, v0, v0, v1
	v_div_scale_f32 v5, vcc_lo, v1, v0, v1
	s_delay_alu instid0(VALU_DEP_2) | instskip(SKIP_1) | instid1(TRANS32_DEP_1)
	v_rcp_f32_e32 v3, v2
	v_nop
	v_fma_f32 v4, -v2, v3, 1.0
	s_delay_alu instid0(VALU_DEP_1) | instskip(NEXT) | instid1(VALU_DEP_1)
	v_fmac_f32_e32 v3, v4, v3
	v_mul_f32_e32 v4, v5, v3
	s_delay_alu instid0(VALU_DEP_1) | instskip(NEXT) | instid1(VALU_DEP_1)
	v_fma_f32 v6, -v2, v4, v5
	v_fmac_f32_e32 v4, v6, v3
	s_delay_alu instid0(VALU_DEP_1) | instskip(NEXT) | instid1(VALU_DEP_1)
	v_fma_f32 v2, -v2, v4, v5
	v_div_fmas_f32 v2, v2, v3, v4
	s_delay_alu instid0(VALU_DEP_1) | instskip(NEXT) | instid1(VALU_DEP_1)
	v_div_fixup_f32 v3, v2, v0, v1
	v_fmac_f32_e32 v0, v1, v3
	s_delay_alu instid0(VALU_DEP_1) | instskip(NEXT) | instid1(VALU_DEP_1)
	v_div_scale_f32 v1, null, v0, v0, 1.0
	v_rcp_f32_e32 v2, v1
	v_nop
	s_delay_alu instid0(TRANS32_DEP_1) | instskip(NEXT) | instid1(VALU_DEP_1)
	v_fma_f32 v4, -v1, v2, 1.0
	v_fmac_f32_e32 v2, v4, v2
	v_div_scale_f32 v4, vcc_lo, 1.0, v0, 1.0
	s_delay_alu instid0(VALU_DEP_1) | instskip(NEXT) | instid1(VALU_DEP_1)
	v_mul_f32_e32 v5, v4, v2
	v_fma_f32 v6, -v1, v5, v4
	s_delay_alu instid0(VALU_DEP_1) | instskip(NEXT) | instid1(VALU_DEP_1)
	v_fmac_f32_e32 v5, v6, v2
	v_fma_f32 v1, -v1, v5, v4
	s_delay_alu instid0(VALU_DEP_1) | instskip(NEXT) | instid1(VALU_DEP_1)
	v_div_fmas_f32 v1, v1, v2, v5
	v_div_fixup_f32 v2, v1, v0, 1.0
	s_delay_alu instid0(VALU_DEP_1)
	v_mul_f32_e64 v3, v3, -v2
.LBB87_313:
	s_or_b32 exec_lo, exec_lo, s1
	ds_store_b64 v31, v[2:3]
.LBB87_314:
	s_or_b32 exec_lo, exec_lo, s2
	s_wait_dscnt 0x0
	s_barrier_signal -1
	s_barrier_wait -1
	ds_load_b64 v[246:247], v31
	s_mov_b32 s1, exec_lo
	v_cmpx_lt_u32_e32 34, v30
	s_cbranch_execz .LBB87_316
; %bb.315:
	ds_load_2addr_b64 v[4:7], v12 offset0:35 offset1:36
	s_wait_dscnt 0x1
	v_pk_mul_f32 v[2:3], v[246:247], v[146:147] op_sel:[1,1] op_sel_hi:[0,1]
	s_delay_alu instid0(VALU_DEP_1) | instskip(SKIP_1) | instid1(VALU_DEP_1)
	v_pk_fma_f32 v[0:1], v[246:247], v[146:147], v[2:3] op_sel_hi:[1,0,1] neg_lo:[0,0,1] neg_hi:[0,0,1]
	v_pk_fma_f32 v[2:3], v[246:247], v[146:147], v[2:3] op_sel_hi:[1,0,1]
	v_dual_mov_b32 v146, v0 :: v_dual_mov_b32 v147, v3
	s_wait_dscnt 0x0
	s_delay_alu instid0(VALU_DEP_2) | instskip(NEXT) | instid1(VALU_DEP_1)
	v_pk_mul_f32 v[8:9], v[4:5], v[2:3] op_sel:[0,1]
	v_pk_fma_f32 v[18:19], v[4:5], v[0:1], v[8:9] op_sel:[0,0,1] op_sel_hi:[1,1,0] neg_lo:[0,0,1] neg_hi:[0,0,1]
	v_pk_fma_f32 v[4:5], v[4:5], v[0:1], v[8:9] op_sel:[0,0,1] op_sel_hi:[1,0,0]
	s_delay_alu instid0(VALU_DEP_1) | instskip(SKIP_1) | instid1(VALU_DEP_1)
	v_mov_b32_e32 v19, v5
	v_pk_mul_f32 v[4:5], v[6:7], v[2:3] op_sel:[0,1]
	v_pk_fma_f32 v[8:9], v[6:7], v[0:1], v[4:5] op_sel:[0,0,1] op_sel_hi:[1,1,0] neg_lo:[0,0,1] neg_hi:[0,0,1]
	v_pk_fma_f32 v[4:5], v[6:7], v[0:1], v[4:5] op_sel:[0,0,1] op_sel_hi:[1,0,0]
	s_delay_alu instid0(VALU_DEP_1)
	v_mov_b32_e32 v9, v5
	ds_load_2addr_b64 v[4:7], v12 offset0:37 offset1:38
	v_pk_add_f32 v[142:143], v[142:143], v[18:19] neg_lo:[0,1] neg_hi:[0,1]
	v_pk_add_f32 v[170:171], v[170:171], v[8:9] neg_lo:[0,1] neg_hi:[0,1]
	s_wait_dscnt 0x0
	v_pk_mul_f32 v[8:9], v[4:5], v[2:3] op_sel:[0,1]
	s_delay_alu instid0(VALU_DEP_1) | instskip(SKIP_2) | instid1(VALU_DEP_2)
	v_pk_fma_f32 v[18:19], v[4:5], v[0:1], v[8:9] op_sel:[0,0,1] op_sel_hi:[1,1,0] neg_lo:[0,0,1] neg_hi:[0,0,1]
	v_pk_fma_f32 v[4:5], v[4:5], v[0:1], v[8:9] op_sel:[0,0,1] op_sel_hi:[1,0,0]
	v_dual_mul_f32 v8, v7, v3 :: v_dual_mov_b32 v4, v7
	v_dual_mov_b32 v19, v5 :: v_dual_mov_b32 v5, v6
	s_delay_alu instid0(VALU_DEP_2) | instskip(SKIP_1) | instid1(VALU_DEP_3)
	v_pk_fma_f32 v[8:9], v[6:7], v[146:147], v[8:9] op_sel_hi:[1,1,0] neg_lo:[0,0,1] neg_hi:[0,0,1]
	v_mul_f32_e32 v6, v7, v0
	v_pk_add_f32 v[164:165], v[164:165], v[18:19] neg_lo:[0,1] neg_hi:[0,1]
	s_delay_alu instid0(VALU_DEP_2) | instskip(NEXT) | instid1(VALU_DEP_1)
	v_pk_fma_f32 v[4:5], v[4:5], v[146:147], v[6:7] op_sel_hi:[1,1,0]
	v_mov_b32_e32 v9, v5
	ds_load_2addr_b64 v[4:7], v12 offset0:39 offset1:40
	v_pk_add_f32 v[168:169], v[168:169], v[8:9] neg_lo:[0,1] neg_hi:[0,1]
	s_wait_dscnt 0x0
	v_pk_mul_f32 v[8:9], v[4:5], v[2:3] op_sel:[0,1]
	s_delay_alu instid0(VALU_DEP_1) | instskip(SKIP_1) | instid1(VALU_DEP_1)
	v_pk_fma_f32 v[18:19], v[4:5], v[0:1], v[8:9] op_sel:[0,0,1] op_sel_hi:[1,1,0] neg_lo:[0,0,1] neg_hi:[0,0,1]
	v_pk_fma_f32 v[4:5], v[4:5], v[0:1], v[8:9] op_sel:[0,0,1] op_sel_hi:[1,0,0]
	v_mov_b32_e32 v19, v5
	v_pk_mul_f32 v[4:5], v[6:7], v[2:3] op_sel:[0,1]
	s_delay_alu instid0(VALU_DEP_1) | instskip(SKIP_1) | instid1(VALU_DEP_1)
	v_pk_fma_f32 v[8:9], v[6:7], v[0:1], v[4:5] op_sel:[0,0,1] op_sel_hi:[1,1,0] neg_lo:[0,0,1] neg_hi:[0,0,1]
	v_pk_fma_f32 v[4:5], v[6:7], v[0:1], v[4:5] op_sel:[0,0,1] op_sel_hi:[1,0,0]
	v_mov_b32_e32 v9, v5
	ds_load_2addr_b64 v[4:7], v12 offset0:41 offset1:42
	v_pk_add_f32 v[162:163], v[162:163], v[18:19] neg_lo:[0,1] neg_hi:[0,1]
	v_pk_add_f32 v[166:167], v[166:167], v[8:9] neg_lo:[0,1] neg_hi:[0,1]
	s_wait_dscnt 0x0
	v_pk_mul_f32 v[8:9], v[4:5], v[2:3] op_sel:[0,1]
	s_delay_alu instid0(VALU_DEP_1) | instskip(SKIP_1) | instid1(VALU_DEP_1)
	v_pk_fma_f32 v[18:19], v[4:5], v[0:1], v[8:9] op_sel:[0,0,1] op_sel_hi:[1,1,0] neg_lo:[0,0,1] neg_hi:[0,0,1]
	v_pk_fma_f32 v[4:5], v[4:5], v[0:1], v[8:9] op_sel:[0,0,1] op_sel_hi:[1,0,0]
	v_mov_b32_e32 v19, v5
	v_pk_mul_f32 v[4:5], v[6:7], v[2:3] op_sel:[0,1]
	s_delay_alu instid0(VALU_DEP_1) | instskip(SKIP_1) | instid1(VALU_DEP_1)
	v_pk_fma_f32 v[8:9], v[6:7], v[0:1], v[4:5] op_sel:[0,0,1] op_sel_hi:[1,1,0] neg_lo:[0,0,1] neg_hi:[0,0,1]
	v_pk_fma_f32 v[4:5], v[6:7], v[0:1], v[4:5] op_sel:[0,0,1] op_sel_hi:[1,0,0]
	v_mov_b32_e32 v9, v5
	ds_load_b64 v[4:5], v12 offset:344
	v_pk_add_f32 v[160:161], v[160:161], v[18:19] neg_lo:[0,1] neg_hi:[0,1]
	v_pk_add_f32 v[172:173], v[172:173], v[8:9] neg_lo:[0,1] neg_hi:[0,1]
	s_wait_dscnt 0x0
	v_pk_mul_f32 v[2:3], v[4:5], v[2:3] op_sel:[0,1]
	s_delay_alu instid0(VALU_DEP_1) | instskip(SKIP_1) | instid1(VALU_DEP_1)
	v_pk_fma_f32 v[6:7], v[4:5], v[0:1], v[2:3] op_sel:[0,0,1] op_sel_hi:[1,1,0] neg_lo:[0,0,1] neg_hi:[0,0,1]
	v_pk_fma_f32 v[0:1], v[4:5], v[0:1], v[2:3] op_sel:[0,0,1] op_sel_hi:[1,0,0]
	v_mov_b32_e32 v7, v1
	s_delay_alu instid0(VALU_DEP_1)
	v_pk_add_f32 v[176:177], v[176:177], v[6:7] neg_lo:[0,1] neg_hi:[0,1]
.LBB87_316:
	s_or_b32 exec_lo, exec_lo, s1
	s_delay_alu instid0(SALU_CYCLE_1)
	s_mov_b32 s2, exec_lo
	s_wait_dscnt 0x0
	s_barrier_signal -1
	s_barrier_wait -1
	v_cmpx_eq_u32_e32 35, v30
	s_cbranch_execz .LBB87_323
; %bb.317:
	v_dual_mov_b32 v0, v170 :: v_dual_mov_b32 v1, v171
	v_dual_mov_b32 v2, v164 :: v_dual_mov_b32 v3, v165
	ds_store_b64 v31, v[142:143]
	ds_store_2addr_b64 v12, v[0:1], v[2:3] offset0:36 offset1:37
	v_dual_mov_b32 v0, v168 :: v_dual_mov_b32 v1, v169
	v_dual_mov_b32 v2, v162 :: v_dual_mov_b32 v3, v163
	ds_store_2addr_b64 v12, v[0:1], v[2:3] offset0:38 offset1:39
	v_dual_mov_b32 v0, v166 :: v_dual_mov_b32 v1, v167
	v_dual_mov_b32 v2, v160 :: v_dual_mov_b32 v3, v161
	ds_store_2addr_b64 v12, v[0:1], v[2:3] offset0:40 offset1:41
	v_dual_mov_b32 v0, v172 :: v_dual_mov_b32 v1, v173
	ds_store_2addr_b64 v12, v[0:1], v[176:177] offset0:42 offset1:43
	ds_load_b64 v[0:1], v31
	s_wait_dscnt 0x0
	v_cmp_neq_f32_e32 vcc_lo, 0, v0
	v_cmp_neq_f32_e64 s1, 0, v1
	s_or_b32 s1, vcc_lo, s1
	s_delay_alu instid0(SALU_CYCLE_1)
	s_and_b32 exec_lo, exec_lo, s1
	s_cbranch_execz .LBB87_323
; %bb.318:
	v_cmp_ngt_f32_e64 s1, |v0|, |v1|
                                        ; implicit-def: $vgpr2_vgpr3
	s_and_saveexec_b32 s4, s1
	s_delay_alu instid0(SALU_CYCLE_1)
	s_xor_b32 s1, exec_lo, s4
	s_cbranch_execz .LBB87_320
; %bb.319:
	v_div_scale_f32 v2, null, v1, v1, v0
	v_div_scale_f32 v5, vcc_lo, v0, v1, v0
	s_delay_alu instid0(VALU_DEP_2) | instskip(SKIP_1) | instid1(TRANS32_DEP_1)
	v_rcp_f32_e32 v3, v2
	v_nop
	v_fma_f32 v4, -v2, v3, 1.0
	s_delay_alu instid0(VALU_DEP_1) | instskip(NEXT) | instid1(VALU_DEP_1)
	v_fmac_f32_e32 v3, v4, v3
	v_mul_f32_e32 v4, v5, v3
	s_delay_alu instid0(VALU_DEP_1) | instskip(NEXT) | instid1(VALU_DEP_1)
	v_fma_f32 v6, -v2, v4, v5
	v_fmac_f32_e32 v4, v6, v3
	s_delay_alu instid0(VALU_DEP_1) | instskip(NEXT) | instid1(VALU_DEP_1)
	v_fma_f32 v2, -v2, v4, v5
	v_div_fmas_f32 v2, v2, v3, v4
	s_delay_alu instid0(VALU_DEP_1) | instskip(NEXT) | instid1(VALU_DEP_1)
	v_div_fixup_f32 v2, v2, v1, v0
	v_fmac_f32_e32 v1, v0, v2
	s_delay_alu instid0(VALU_DEP_1) | instskip(SKIP_1) | instid1(VALU_DEP_2)
	v_div_scale_f32 v0, null, v1, v1, 1.0
	v_div_scale_f32 v5, vcc_lo, 1.0, v1, 1.0
	v_rcp_f32_e32 v3, v0
	v_nop
	s_delay_alu instid0(TRANS32_DEP_1) | instskip(NEXT) | instid1(VALU_DEP_1)
	v_fma_f32 v4, -v0, v3, 1.0
	v_fmac_f32_e32 v3, v4, v3
	s_delay_alu instid0(VALU_DEP_1) | instskip(NEXT) | instid1(VALU_DEP_1)
	v_mul_f32_e32 v4, v5, v3
	v_fma_f32 v6, -v0, v4, v5
	s_delay_alu instid0(VALU_DEP_1) | instskip(NEXT) | instid1(VALU_DEP_1)
	v_fmac_f32_e32 v4, v6, v3
	v_fma_f32 v0, -v0, v4, v5
	s_delay_alu instid0(VALU_DEP_1) | instskip(NEXT) | instid1(VALU_DEP_1)
	v_div_fmas_f32 v0, v0, v3, v4
	v_div_fixup_f32 v0, v0, v1, 1.0
	s_delay_alu instid0(VALU_DEP_1)
	v_mul_f32_e32 v2, v2, v0
	v_xor_b32_e32 v3, 0x80000000, v0
                                        ; implicit-def: $vgpr0_vgpr1
.LBB87_320:
	s_and_not1_saveexec_b32 s1, s1
	s_cbranch_execz .LBB87_322
; %bb.321:
	v_div_scale_f32 v2, null, v0, v0, v1
	v_div_scale_f32 v5, vcc_lo, v1, v0, v1
	s_delay_alu instid0(VALU_DEP_2) | instskip(SKIP_1) | instid1(TRANS32_DEP_1)
	v_rcp_f32_e32 v3, v2
	v_nop
	v_fma_f32 v4, -v2, v3, 1.0
	s_delay_alu instid0(VALU_DEP_1) | instskip(NEXT) | instid1(VALU_DEP_1)
	v_fmac_f32_e32 v3, v4, v3
	v_mul_f32_e32 v4, v5, v3
	s_delay_alu instid0(VALU_DEP_1) | instskip(NEXT) | instid1(VALU_DEP_1)
	v_fma_f32 v6, -v2, v4, v5
	v_fmac_f32_e32 v4, v6, v3
	s_delay_alu instid0(VALU_DEP_1) | instskip(NEXT) | instid1(VALU_DEP_1)
	v_fma_f32 v2, -v2, v4, v5
	v_div_fmas_f32 v2, v2, v3, v4
	s_delay_alu instid0(VALU_DEP_1) | instskip(NEXT) | instid1(VALU_DEP_1)
	v_div_fixup_f32 v3, v2, v0, v1
	v_fmac_f32_e32 v0, v1, v3
	s_delay_alu instid0(VALU_DEP_1) | instskip(NEXT) | instid1(VALU_DEP_1)
	v_div_scale_f32 v1, null, v0, v0, 1.0
	v_rcp_f32_e32 v2, v1
	v_nop
	s_delay_alu instid0(TRANS32_DEP_1) | instskip(NEXT) | instid1(VALU_DEP_1)
	v_fma_f32 v4, -v1, v2, 1.0
	v_fmac_f32_e32 v2, v4, v2
	v_div_scale_f32 v4, vcc_lo, 1.0, v0, 1.0
	s_delay_alu instid0(VALU_DEP_1) | instskip(NEXT) | instid1(VALU_DEP_1)
	v_mul_f32_e32 v5, v4, v2
	v_fma_f32 v6, -v1, v5, v4
	s_delay_alu instid0(VALU_DEP_1) | instskip(NEXT) | instid1(VALU_DEP_1)
	v_fmac_f32_e32 v5, v6, v2
	v_fma_f32 v1, -v1, v5, v4
	s_delay_alu instid0(VALU_DEP_1) | instskip(NEXT) | instid1(VALU_DEP_1)
	v_div_fmas_f32 v1, v1, v2, v5
	v_div_fixup_f32 v2, v1, v0, 1.0
	s_delay_alu instid0(VALU_DEP_1)
	v_mul_f32_e64 v3, v3, -v2
.LBB87_322:
	s_or_b32 exec_lo, exec_lo, s1
	ds_store_b64 v31, v[2:3]
.LBB87_323:
	s_or_b32 exec_lo, exec_lo, s2
	s_wait_dscnt 0x0
	s_barrier_signal -1
	s_barrier_wait -1
	ds_load_b64 v[248:249], v31
	s_mov_b32 s1, exec_lo
	v_cmpx_lt_u32_e32 35, v30
	s_cbranch_execz .LBB87_325
; %bb.324:
	ds_load_2addr_b64 v[4:7], v12 offset0:36 offset1:37
	s_wait_dscnt 0x1
	v_pk_mul_f32 v[2:3], v[248:249], v[142:143] op_sel:[1,1] op_sel_hi:[0,1]
	s_delay_alu instid0(VALU_DEP_1) | instskip(SKIP_1) | instid1(VALU_DEP_1)
	v_pk_fma_f32 v[0:1], v[248:249], v[142:143], v[2:3] op_sel_hi:[1,0,1] neg_lo:[0,0,1] neg_hi:[0,0,1]
	v_pk_fma_f32 v[2:3], v[248:249], v[142:143], v[2:3] op_sel_hi:[1,0,1]
	v_dual_mov_b32 v142, v0 :: v_dual_mov_b32 v143, v3
	s_wait_dscnt 0x0
	s_delay_alu instid0(VALU_DEP_2) | instskip(NEXT) | instid1(VALU_DEP_1)
	v_pk_mul_f32 v[8:9], v[4:5], v[2:3] op_sel:[0,1]
	v_pk_fma_f32 v[18:19], v[4:5], v[0:1], v[8:9] op_sel:[0,0,1] op_sel_hi:[1,1,0] neg_lo:[0,0,1] neg_hi:[0,0,1]
	v_pk_fma_f32 v[4:5], v[4:5], v[0:1], v[8:9] op_sel:[0,0,1] op_sel_hi:[1,0,0]
	s_delay_alu instid0(VALU_DEP_1) | instskip(SKIP_1) | instid1(VALU_DEP_1)
	v_mov_b32_e32 v19, v5
	v_pk_mul_f32 v[4:5], v[6:7], v[2:3] op_sel:[0,1]
	v_pk_fma_f32 v[8:9], v[6:7], v[0:1], v[4:5] op_sel:[0,0,1] op_sel_hi:[1,1,0] neg_lo:[0,0,1] neg_hi:[0,0,1]
	v_pk_fma_f32 v[4:5], v[6:7], v[0:1], v[4:5] op_sel:[0,0,1] op_sel_hi:[1,0,0]
	s_delay_alu instid0(VALU_DEP_1)
	v_mov_b32_e32 v9, v5
	ds_load_2addr_b64 v[4:7], v12 offset0:38 offset1:39
	v_pk_add_f32 v[170:171], v[170:171], v[18:19] neg_lo:[0,1] neg_hi:[0,1]
	v_pk_add_f32 v[164:165], v[164:165], v[8:9] neg_lo:[0,1] neg_hi:[0,1]
	s_wait_dscnt 0x0
	v_pk_mul_f32 v[8:9], v[4:5], v[2:3] op_sel:[0,1]
	s_delay_alu instid0(VALU_DEP_1) | instskip(SKIP_2) | instid1(VALU_DEP_2)
	v_pk_fma_f32 v[18:19], v[4:5], v[0:1], v[8:9] op_sel:[0,0,1] op_sel_hi:[1,1,0] neg_lo:[0,0,1] neg_hi:[0,0,1]
	v_pk_fma_f32 v[4:5], v[4:5], v[0:1], v[8:9] op_sel:[0,0,1] op_sel_hi:[1,0,0]
	v_dual_mul_f32 v8, v7, v3 :: v_dual_mov_b32 v4, v7
	v_dual_mov_b32 v19, v5 :: v_dual_mov_b32 v5, v6
	s_delay_alu instid0(VALU_DEP_2) | instskip(SKIP_1) | instid1(VALU_DEP_3)
	v_pk_fma_f32 v[8:9], v[6:7], v[142:143], v[8:9] op_sel_hi:[1,1,0] neg_lo:[0,0,1] neg_hi:[0,0,1]
	v_mul_f32_e32 v6, v7, v0
	v_pk_add_f32 v[168:169], v[168:169], v[18:19] neg_lo:[0,1] neg_hi:[0,1]
	s_delay_alu instid0(VALU_DEP_2) | instskip(NEXT) | instid1(VALU_DEP_1)
	v_pk_fma_f32 v[4:5], v[4:5], v[142:143], v[6:7] op_sel_hi:[1,1,0]
	v_mov_b32_e32 v9, v5
	ds_load_2addr_b64 v[4:7], v12 offset0:40 offset1:41
	v_pk_add_f32 v[162:163], v[162:163], v[8:9] neg_lo:[0,1] neg_hi:[0,1]
	s_wait_dscnt 0x0
	v_pk_mul_f32 v[8:9], v[4:5], v[2:3] op_sel:[0,1]
	s_delay_alu instid0(VALU_DEP_1) | instskip(SKIP_1) | instid1(VALU_DEP_1)
	v_pk_fma_f32 v[18:19], v[4:5], v[0:1], v[8:9] op_sel:[0,0,1] op_sel_hi:[1,1,0] neg_lo:[0,0,1] neg_hi:[0,0,1]
	v_pk_fma_f32 v[4:5], v[4:5], v[0:1], v[8:9] op_sel:[0,0,1] op_sel_hi:[1,0,0]
	v_mov_b32_e32 v19, v5
	v_pk_mul_f32 v[4:5], v[6:7], v[2:3] op_sel:[0,1]
	s_delay_alu instid0(VALU_DEP_1) | instskip(SKIP_1) | instid1(VALU_DEP_1)
	v_pk_fma_f32 v[8:9], v[6:7], v[0:1], v[4:5] op_sel:[0,0,1] op_sel_hi:[1,1,0] neg_lo:[0,0,1] neg_hi:[0,0,1]
	v_pk_fma_f32 v[4:5], v[6:7], v[0:1], v[4:5] op_sel:[0,0,1] op_sel_hi:[1,0,0]
	v_mov_b32_e32 v9, v5
	ds_load_2addr_b64 v[4:7], v12 offset0:42 offset1:43
	v_pk_add_f32 v[166:167], v[166:167], v[18:19] neg_lo:[0,1] neg_hi:[0,1]
	v_pk_add_f32 v[160:161], v[160:161], v[8:9] neg_lo:[0,1] neg_hi:[0,1]
	s_wait_dscnt 0x0
	v_pk_mul_f32 v[8:9], v[4:5], v[2:3] op_sel:[0,1]
	v_pk_mul_f32 v[2:3], v[6:7], v[2:3] op_sel:[0,1]
	s_delay_alu instid0(VALU_DEP_2) | instskip(SKIP_1) | instid1(VALU_DEP_1)
	v_pk_fma_f32 v[18:19], v[4:5], v[0:1], v[8:9] op_sel:[0,0,1] op_sel_hi:[1,1,0] neg_lo:[0,0,1] neg_hi:[0,0,1]
	v_pk_fma_f32 v[4:5], v[4:5], v[0:1], v[8:9] op_sel:[0,0,1] op_sel_hi:[1,0,0]
	v_mov_b32_e32 v19, v5
	s_delay_alu instid0(VALU_DEP_4) | instskip(SKIP_1) | instid1(VALU_DEP_1)
	v_pk_fma_f32 v[4:5], v[6:7], v[0:1], v[2:3] op_sel:[0,0,1] op_sel_hi:[1,1,0] neg_lo:[0,0,1] neg_hi:[0,0,1]
	v_pk_fma_f32 v[0:1], v[6:7], v[0:1], v[2:3] op_sel:[0,0,1] op_sel_hi:[1,0,0]
	v_mov_b32_e32 v5, v1
	s_delay_alu instid0(VALU_DEP_4) | instskip(NEXT) | instid1(VALU_DEP_2)
	v_pk_add_f32 v[172:173], v[172:173], v[18:19] neg_lo:[0,1] neg_hi:[0,1]
	v_pk_add_f32 v[176:177], v[176:177], v[4:5] neg_lo:[0,1] neg_hi:[0,1]
.LBB87_325:
	s_or_b32 exec_lo, exec_lo, s1
	s_delay_alu instid0(SALU_CYCLE_1)
	s_mov_b32 s2, exec_lo
	s_wait_dscnt 0x0
	s_barrier_signal -1
	s_barrier_wait -1
	v_cmpx_eq_u32_e32 36, v30
	s_cbranch_execz .LBB87_332
; %bb.326:
	ds_store_b64 v31, v[170:171]
	ds_store_2addr_b64 v12, v[164:165], v[168:169] offset0:37 offset1:38
	ds_store_2addr_b64 v12, v[162:163], v[166:167] offset0:39 offset1:40
	;; [unrolled: 1-line block ×3, first 2 shown]
	ds_store_b64 v12, v[176:177] offset:344
	ds_load_b64 v[0:1], v31
	s_wait_dscnt 0x0
	v_cmp_neq_f32_e32 vcc_lo, 0, v0
	v_cmp_neq_f32_e64 s1, 0, v1
	s_or_b32 s1, vcc_lo, s1
	s_delay_alu instid0(SALU_CYCLE_1)
	s_and_b32 exec_lo, exec_lo, s1
	s_cbranch_execz .LBB87_332
; %bb.327:
	v_cmp_ngt_f32_e64 s1, |v0|, |v1|
                                        ; implicit-def: $vgpr2_vgpr3
	s_and_saveexec_b32 s4, s1
	s_delay_alu instid0(SALU_CYCLE_1)
	s_xor_b32 s1, exec_lo, s4
	s_cbranch_execz .LBB87_329
; %bb.328:
	v_div_scale_f32 v2, null, v1, v1, v0
	v_div_scale_f32 v5, vcc_lo, v0, v1, v0
	s_delay_alu instid0(VALU_DEP_2) | instskip(SKIP_1) | instid1(TRANS32_DEP_1)
	v_rcp_f32_e32 v3, v2
	v_nop
	v_fma_f32 v4, -v2, v3, 1.0
	s_delay_alu instid0(VALU_DEP_1) | instskip(NEXT) | instid1(VALU_DEP_1)
	v_fmac_f32_e32 v3, v4, v3
	v_mul_f32_e32 v4, v5, v3
	s_delay_alu instid0(VALU_DEP_1) | instskip(NEXT) | instid1(VALU_DEP_1)
	v_fma_f32 v6, -v2, v4, v5
	v_fmac_f32_e32 v4, v6, v3
	s_delay_alu instid0(VALU_DEP_1) | instskip(NEXT) | instid1(VALU_DEP_1)
	v_fma_f32 v2, -v2, v4, v5
	v_div_fmas_f32 v2, v2, v3, v4
	s_delay_alu instid0(VALU_DEP_1) | instskip(NEXT) | instid1(VALU_DEP_1)
	v_div_fixup_f32 v2, v2, v1, v0
	v_fmac_f32_e32 v1, v0, v2
	s_delay_alu instid0(VALU_DEP_1) | instskip(SKIP_1) | instid1(VALU_DEP_2)
	v_div_scale_f32 v0, null, v1, v1, 1.0
	v_div_scale_f32 v5, vcc_lo, 1.0, v1, 1.0
	v_rcp_f32_e32 v3, v0
	v_nop
	s_delay_alu instid0(TRANS32_DEP_1) | instskip(NEXT) | instid1(VALU_DEP_1)
	v_fma_f32 v4, -v0, v3, 1.0
	v_fmac_f32_e32 v3, v4, v3
	s_delay_alu instid0(VALU_DEP_1) | instskip(NEXT) | instid1(VALU_DEP_1)
	v_mul_f32_e32 v4, v5, v3
	v_fma_f32 v6, -v0, v4, v5
	s_delay_alu instid0(VALU_DEP_1) | instskip(NEXT) | instid1(VALU_DEP_1)
	v_fmac_f32_e32 v4, v6, v3
	v_fma_f32 v0, -v0, v4, v5
	s_delay_alu instid0(VALU_DEP_1) | instskip(NEXT) | instid1(VALU_DEP_1)
	v_div_fmas_f32 v0, v0, v3, v4
	v_div_fixup_f32 v0, v0, v1, 1.0
	s_delay_alu instid0(VALU_DEP_1)
	v_mul_f32_e32 v2, v2, v0
	v_xor_b32_e32 v3, 0x80000000, v0
                                        ; implicit-def: $vgpr0_vgpr1
.LBB87_329:
	s_and_not1_saveexec_b32 s1, s1
	s_cbranch_execz .LBB87_331
; %bb.330:
	v_div_scale_f32 v2, null, v0, v0, v1
	v_div_scale_f32 v5, vcc_lo, v1, v0, v1
	s_delay_alu instid0(VALU_DEP_2) | instskip(SKIP_1) | instid1(TRANS32_DEP_1)
	v_rcp_f32_e32 v3, v2
	v_nop
	v_fma_f32 v4, -v2, v3, 1.0
	s_delay_alu instid0(VALU_DEP_1) | instskip(NEXT) | instid1(VALU_DEP_1)
	v_fmac_f32_e32 v3, v4, v3
	v_mul_f32_e32 v4, v5, v3
	s_delay_alu instid0(VALU_DEP_1) | instskip(NEXT) | instid1(VALU_DEP_1)
	v_fma_f32 v6, -v2, v4, v5
	v_fmac_f32_e32 v4, v6, v3
	s_delay_alu instid0(VALU_DEP_1) | instskip(NEXT) | instid1(VALU_DEP_1)
	v_fma_f32 v2, -v2, v4, v5
	v_div_fmas_f32 v2, v2, v3, v4
	s_delay_alu instid0(VALU_DEP_1) | instskip(NEXT) | instid1(VALU_DEP_1)
	v_div_fixup_f32 v3, v2, v0, v1
	v_fmac_f32_e32 v0, v1, v3
	s_delay_alu instid0(VALU_DEP_1) | instskip(NEXT) | instid1(VALU_DEP_1)
	v_div_scale_f32 v1, null, v0, v0, 1.0
	v_rcp_f32_e32 v2, v1
	v_nop
	s_delay_alu instid0(TRANS32_DEP_1) | instskip(NEXT) | instid1(VALU_DEP_1)
	v_fma_f32 v4, -v1, v2, 1.0
	v_fmac_f32_e32 v2, v4, v2
	v_div_scale_f32 v4, vcc_lo, 1.0, v0, 1.0
	s_delay_alu instid0(VALU_DEP_1) | instskip(NEXT) | instid1(VALU_DEP_1)
	v_mul_f32_e32 v5, v4, v2
	v_fma_f32 v6, -v1, v5, v4
	s_delay_alu instid0(VALU_DEP_1) | instskip(NEXT) | instid1(VALU_DEP_1)
	v_fmac_f32_e32 v5, v6, v2
	v_fma_f32 v1, -v1, v5, v4
	s_delay_alu instid0(VALU_DEP_1) | instskip(NEXT) | instid1(VALU_DEP_1)
	v_div_fmas_f32 v1, v1, v2, v5
	v_div_fixup_f32 v2, v1, v0, 1.0
	s_delay_alu instid0(VALU_DEP_1)
	v_mul_f32_e64 v3, v3, -v2
.LBB87_331:
	s_or_b32 exec_lo, exec_lo, s1
	ds_store_b64 v31, v[2:3]
.LBB87_332:
	s_or_b32 exec_lo, exec_lo, s2
	s_wait_dscnt 0x0
	s_barrier_signal -1
	s_barrier_wait -1
	ds_load_b64 v[250:251], v31
	s_mov_b32 s1, exec_lo
	v_cmpx_lt_u32_e32 36, v30
	s_cbranch_execz .LBB87_334
; %bb.333:
	s_wait_dscnt 0x0
	v_pk_mul_f32 v[2:3], v[250:251], v[170:171] op_sel:[1,1] op_sel_hi:[0,1]
	s_delay_alu instid0(VALU_DEP_1)
	v_pk_fma_f32 v[0:1], v[250:251], v[170:171], v[2:3] op_sel_hi:[1,0,1] neg_lo:[0,0,1] neg_hi:[0,0,1]
	v_pk_fma_f32 v[6:7], v[250:251], v[170:171], v[2:3] op_sel_hi:[1,0,1]
	ds_load_2addr_b64 v[2:5], v12 offset0:37 offset1:38
	v_dual_mov_b32 v170, v0 :: v_dual_mov_b32 v171, v7
	s_wait_dscnt 0x0
	v_pk_mul_f32 v[8:9], v[2:3], v[6:7] op_sel:[0,1]
	s_delay_alu instid0(VALU_DEP_1) | instskip(SKIP_1) | instid1(VALU_DEP_1)
	v_pk_fma_f32 v[18:19], v[2:3], v[0:1], v[8:9] op_sel:[0,0,1] op_sel_hi:[1,1,0] neg_lo:[0,0,1] neg_hi:[0,0,1]
	v_pk_fma_f32 v[2:3], v[2:3], v[0:1], v[8:9] op_sel:[0,0,1] op_sel_hi:[1,0,0]
	v_mov_b32_e32 v19, v3
	v_pk_mul_f32 v[2:3], v[4:5], v[6:7] op_sel:[0,1]
	s_delay_alu instid0(VALU_DEP_1) | instskip(SKIP_1) | instid1(VALU_DEP_1)
	v_pk_fma_f32 v[8:9], v[4:5], v[0:1], v[2:3] op_sel:[0,0,1] op_sel_hi:[1,1,0] neg_lo:[0,0,1] neg_hi:[0,0,1]
	v_pk_fma_f32 v[2:3], v[4:5], v[0:1], v[2:3] op_sel:[0,0,1] op_sel_hi:[1,0,0]
	v_mov_b32_e32 v9, v3
	ds_load_2addr_b64 v[2:5], v12 offset0:39 offset1:40
	v_pk_add_f32 v[164:165], v[164:165], v[18:19] neg_lo:[0,1] neg_hi:[0,1]
	v_pk_add_f32 v[168:169], v[168:169], v[8:9] neg_lo:[0,1] neg_hi:[0,1]
	s_wait_dscnt 0x0
	v_pk_mul_f32 v[8:9], v[2:3], v[6:7] op_sel:[0,1]
	s_delay_alu instid0(VALU_DEP_1) | instskip(SKIP_2) | instid1(VALU_DEP_2)
	v_pk_fma_f32 v[18:19], v[2:3], v[0:1], v[8:9] op_sel:[0,0,1] op_sel_hi:[1,1,0] neg_lo:[0,0,1] neg_hi:[0,0,1]
	v_pk_fma_f32 v[2:3], v[2:3], v[0:1], v[8:9] op_sel:[0,0,1] op_sel_hi:[1,0,0]
	v_dual_mul_f32 v8, v5, v7 :: v_dual_mov_b32 v2, v5
	v_dual_mov_b32 v19, v3 :: v_dual_mov_b32 v3, v4
	s_delay_alu instid0(VALU_DEP_2) | instskip(SKIP_1) | instid1(VALU_DEP_3)
	v_pk_fma_f32 v[8:9], v[4:5], v[170:171], v[8:9] op_sel_hi:[1,1,0] neg_lo:[0,0,1] neg_hi:[0,0,1]
	v_mul_f32_e32 v4, v5, v0
	v_pk_add_f32 v[162:163], v[162:163], v[18:19] neg_lo:[0,1] neg_hi:[0,1]
	s_delay_alu instid0(VALU_DEP_2) | instskip(NEXT) | instid1(VALU_DEP_1)
	v_pk_fma_f32 v[2:3], v[2:3], v[170:171], v[4:5] op_sel_hi:[1,1,0]
	v_mov_b32_e32 v9, v3
	ds_load_2addr_b64 v[2:5], v12 offset0:41 offset1:42
	v_pk_add_f32 v[166:167], v[166:167], v[8:9] neg_lo:[0,1] neg_hi:[0,1]
	s_wait_dscnt 0x0
	v_pk_mul_f32 v[8:9], v[2:3], v[6:7] op_sel:[0,1]
	s_delay_alu instid0(VALU_DEP_1) | instskip(SKIP_1) | instid1(VALU_DEP_1)
	v_pk_fma_f32 v[18:19], v[2:3], v[0:1], v[8:9] op_sel:[0,0,1] op_sel_hi:[1,1,0] neg_lo:[0,0,1] neg_hi:[0,0,1]
	v_pk_fma_f32 v[2:3], v[2:3], v[0:1], v[8:9] op_sel:[0,0,1] op_sel_hi:[1,0,0]
	v_mov_b32_e32 v19, v3
	v_pk_mul_f32 v[2:3], v[4:5], v[6:7] op_sel:[0,1]
	s_delay_alu instid0(VALU_DEP_1) | instskip(SKIP_1) | instid1(VALU_DEP_1)
	v_pk_fma_f32 v[8:9], v[4:5], v[0:1], v[2:3] op_sel:[0,0,1] op_sel_hi:[1,1,0] neg_lo:[0,0,1] neg_hi:[0,0,1]
	v_pk_fma_f32 v[2:3], v[4:5], v[0:1], v[2:3] op_sel:[0,0,1] op_sel_hi:[1,0,0]
	v_mov_b32_e32 v9, v3
	ds_load_b64 v[2:3], v12 offset:344
	v_pk_add_f32 v[160:161], v[160:161], v[18:19] neg_lo:[0,1] neg_hi:[0,1]
	v_pk_add_f32 v[172:173], v[172:173], v[8:9] neg_lo:[0,1] neg_hi:[0,1]
	s_wait_dscnt 0x0
	v_pk_mul_f32 v[4:5], v[2:3], v[6:7] op_sel:[0,1]
	s_delay_alu instid0(VALU_DEP_1) | instskip(SKIP_1) | instid1(VALU_DEP_1)
	v_pk_fma_f32 v[6:7], v[2:3], v[0:1], v[4:5] op_sel:[0,0,1] op_sel_hi:[1,1,0] neg_lo:[0,0,1] neg_hi:[0,0,1]
	v_pk_fma_f32 v[0:1], v[2:3], v[0:1], v[4:5] op_sel:[0,0,1] op_sel_hi:[1,0,0]
	v_mov_b32_e32 v7, v1
	s_delay_alu instid0(VALU_DEP_1)
	v_pk_add_f32 v[176:177], v[176:177], v[6:7] neg_lo:[0,1] neg_hi:[0,1]
.LBB87_334:
	s_or_b32 exec_lo, exec_lo, s1
	s_delay_alu instid0(SALU_CYCLE_1)
	s_mov_b32 s2, exec_lo
	s_wait_dscnt 0x0
	s_barrier_signal -1
	s_barrier_wait -1
	v_cmpx_eq_u32_e32 37, v30
	s_cbranch_execz .LBB87_341
; %bb.335:
	v_dual_mov_b32 v0, v168 :: v_dual_mov_b32 v1, v169
	v_dual_mov_b32 v2, v162 :: v_dual_mov_b32 v3, v163
	ds_store_b64 v31, v[164:165]
	ds_store_2addr_b64 v12, v[0:1], v[2:3] offset0:38 offset1:39
	v_dual_mov_b32 v0, v166 :: v_dual_mov_b32 v1, v167
	v_dual_mov_b32 v2, v160 :: v_dual_mov_b32 v3, v161
	ds_store_2addr_b64 v12, v[0:1], v[2:3] offset0:40 offset1:41
	v_dual_mov_b32 v0, v172 :: v_dual_mov_b32 v1, v173
	ds_store_2addr_b64 v12, v[0:1], v[176:177] offset0:42 offset1:43
	ds_load_b64 v[0:1], v31
	s_wait_dscnt 0x0
	v_cmp_neq_f32_e32 vcc_lo, 0, v0
	v_cmp_neq_f32_e64 s1, 0, v1
	s_or_b32 s1, vcc_lo, s1
	s_delay_alu instid0(SALU_CYCLE_1)
	s_and_b32 exec_lo, exec_lo, s1
	s_cbranch_execz .LBB87_341
; %bb.336:
	v_cmp_ngt_f32_e64 s1, |v0|, |v1|
                                        ; implicit-def: $vgpr2_vgpr3
	s_and_saveexec_b32 s4, s1
	s_delay_alu instid0(SALU_CYCLE_1)
	s_xor_b32 s1, exec_lo, s4
	s_cbranch_execz .LBB87_338
; %bb.337:
	v_div_scale_f32 v2, null, v1, v1, v0
	v_div_scale_f32 v5, vcc_lo, v0, v1, v0
	s_delay_alu instid0(VALU_DEP_2) | instskip(SKIP_1) | instid1(TRANS32_DEP_1)
	v_rcp_f32_e32 v3, v2
	v_nop
	v_fma_f32 v4, -v2, v3, 1.0
	s_delay_alu instid0(VALU_DEP_1) | instskip(NEXT) | instid1(VALU_DEP_1)
	v_fmac_f32_e32 v3, v4, v3
	v_mul_f32_e32 v4, v5, v3
	s_delay_alu instid0(VALU_DEP_1) | instskip(NEXT) | instid1(VALU_DEP_1)
	v_fma_f32 v6, -v2, v4, v5
	v_fmac_f32_e32 v4, v6, v3
	s_delay_alu instid0(VALU_DEP_1) | instskip(NEXT) | instid1(VALU_DEP_1)
	v_fma_f32 v2, -v2, v4, v5
	v_div_fmas_f32 v2, v2, v3, v4
	s_delay_alu instid0(VALU_DEP_1) | instskip(NEXT) | instid1(VALU_DEP_1)
	v_div_fixup_f32 v2, v2, v1, v0
	v_fmac_f32_e32 v1, v0, v2
	s_delay_alu instid0(VALU_DEP_1) | instskip(SKIP_1) | instid1(VALU_DEP_2)
	v_div_scale_f32 v0, null, v1, v1, 1.0
	v_div_scale_f32 v5, vcc_lo, 1.0, v1, 1.0
	v_rcp_f32_e32 v3, v0
	v_nop
	s_delay_alu instid0(TRANS32_DEP_1) | instskip(NEXT) | instid1(VALU_DEP_1)
	v_fma_f32 v4, -v0, v3, 1.0
	v_fmac_f32_e32 v3, v4, v3
	s_delay_alu instid0(VALU_DEP_1) | instskip(NEXT) | instid1(VALU_DEP_1)
	v_mul_f32_e32 v4, v5, v3
	v_fma_f32 v6, -v0, v4, v5
	s_delay_alu instid0(VALU_DEP_1) | instskip(NEXT) | instid1(VALU_DEP_1)
	v_fmac_f32_e32 v4, v6, v3
	v_fma_f32 v0, -v0, v4, v5
	s_delay_alu instid0(VALU_DEP_1) | instskip(NEXT) | instid1(VALU_DEP_1)
	v_div_fmas_f32 v0, v0, v3, v4
	v_div_fixup_f32 v0, v0, v1, 1.0
	s_delay_alu instid0(VALU_DEP_1)
	v_mul_f32_e32 v2, v2, v0
	v_xor_b32_e32 v3, 0x80000000, v0
                                        ; implicit-def: $vgpr0_vgpr1
.LBB87_338:
	s_and_not1_saveexec_b32 s1, s1
	s_cbranch_execz .LBB87_340
; %bb.339:
	v_div_scale_f32 v2, null, v0, v0, v1
	v_div_scale_f32 v5, vcc_lo, v1, v0, v1
	s_delay_alu instid0(VALU_DEP_2) | instskip(SKIP_1) | instid1(TRANS32_DEP_1)
	v_rcp_f32_e32 v3, v2
	v_nop
	v_fma_f32 v4, -v2, v3, 1.0
	s_delay_alu instid0(VALU_DEP_1) | instskip(NEXT) | instid1(VALU_DEP_1)
	v_fmac_f32_e32 v3, v4, v3
	v_mul_f32_e32 v4, v5, v3
	s_delay_alu instid0(VALU_DEP_1) | instskip(NEXT) | instid1(VALU_DEP_1)
	v_fma_f32 v6, -v2, v4, v5
	v_fmac_f32_e32 v4, v6, v3
	s_delay_alu instid0(VALU_DEP_1) | instskip(NEXT) | instid1(VALU_DEP_1)
	v_fma_f32 v2, -v2, v4, v5
	v_div_fmas_f32 v2, v2, v3, v4
	s_delay_alu instid0(VALU_DEP_1) | instskip(NEXT) | instid1(VALU_DEP_1)
	v_div_fixup_f32 v3, v2, v0, v1
	v_fmac_f32_e32 v0, v1, v3
	s_delay_alu instid0(VALU_DEP_1) | instskip(NEXT) | instid1(VALU_DEP_1)
	v_div_scale_f32 v1, null, v0, v0, 1.0
	v_rcp_f32_e32 v2, v1
	v_nop
	s_delay_alu instid0(TRANS32_DEP_1) | instskip(NEXT) | instid1(VALU_DEP_1)
	v_fma_f32 v4, -v1, v2, 1.0
	v_fmac_f32_e32 v2, v4, v2
	v_div_scale_f32 v4, vcc_lo, 1.0, v0, 1.0
	s_delay_alu instid0(VALU_DEP_1) | instskip(NEXT) | instid1(VALU_DEP_1)
	v_mul_f32_e32 v5, v4, v2
	v_fma_f32 v6, -v1, v5, v4
	s_delay_alu instid0(VALU_DEP_1) | instskip(NEXT) | instid1(VALU_DEP_1)
	v_fmac_f32_e32 v5, v6, v2
	v_fma_f32 v1, -v1, v5, v4
	s_delay_alu instid0(VALU_DEP_1) | instskip(NEXT) | instid1(VALU_DEP_1)
	v_div_fmas_f32 v1, v1, v2, v5
	v_div_fixup_f32 v2, v1, v0, 1.0
	s_delay_alu instid0(VALU_DEP_1)
	v_mul_f32_e64 v3, v3, -v2
.LBB87_340:
	s_or_b32 exec_lo, exec_lo, s1
	ds_store_b64 v31, v[2:3]
.LBB87_341:
	s_or_b32 exec_lo, exec_lo, s2
	s_wait_dscnt 0x0
	s_barrier_signal -1
	s_barrier_wait -1
	ds_load_b64 v[252:253], v31
	s_mov_b32 s1, exec_lo
	v_cmpx_lt_u32_e32 37, v30
	s_cbranch_execz .LBB87_343
; %bb.342:
	s_wait_dscnt 0x0
	v_pk_mul_f32 v[0:1], v[252:253], v[164:165] op_sel:[1,1] op_sel_hi:[0,1]
	s_delay_alu instid0(VALU_DEP_1)
	v_pk_fma_f32 v[4:5], v[252:253], v[164:165], v[0:1] op_sel_hi:[1,0,1] neg_lo:[0,0,1] neg_hi:[0,0,1]
	v_pk_fma_f32 v[6:7], v[252:253], v[164:165], v[0:1] op_sel_hi:[1,0,1]
	ds_load_2addr_b64 v[0:3], v12 offset0:38 offset1:39
	v_dual_mov_b32 v164, v4 :: v_dual_mov_b32 v165, v7
	s_wait_dscnt 0x0
	v_pk_mul_f32 v[8:9], v[0:1], v[6:7] op_sel:[0,1]
	s_delay_alu instid0(VALU_DEP_1) | instskip(SKIP_1) | instid1(VALU_DEP_1)
	v_pk_fma_f32 v[18:19], v[0:1], v[4:5], v[8:9] op_sel:[0,0,1] op_sel_hi:[1,1,0] neg_lo:[0,0,1] neg_hi:[0,0,1]
	v_pk_fma_f32 v[0:1], v[0:1], v[4:5], v[8:9] op_sel:[0,0,1] op_sel_hi:[1,0,0]
	v_mov_b32_e32 v19, v1
	v_pk_mul_f32 v[0:1], v[2:3], v[6:7] op_sel:[0,1]
	s_delay_alu instid0(VALU_DEP_1) | instskip(SKIP_1) | instid1(VALU_DEP_1)
	v_pk_fma_f32 v[8:9], v[2:3], v[4:5], v[0:1] op_sel:[0,0,1] op_sel_hi:[1,1,0] neg_lo:[0,0,1] neg_hi:[0,0,1]
	v_pk_fma_f32 v[0:1], v[2:3], v[4:5], v[0:1] op_sel:[0,0,1] op_sel_hi:[1,0,0]
	v_mov_b32_e32 v9, v1
	ds_load_2addr_b64 v[0:3], v12 offset0:40 offset1:41
	v_pk_add_f32 v[168:169], v[168:169], v[18:19] neg_lo:[0,1] neg_hi:[0,1]
	v_pk_add_f32 v[162:163], v[162:163], v[8:9] neg_lo:[0,1] neg_hi:[0,1]
	s_wait_dscnt 0x0
	v_pk_mul_f32 v[8:9], v[0:1], v[6:7] op_sel:[0,1]
	s_delay_alu instid0(VALU_DEP_1) | instskip(SKIP_2) | instid1(VALU_DEP_2)
	v_pk_fma_f32 v[18:19], v[0:1], v[4:5], v[8:9] op_sel:[0,0,1] op_sel_hi:[1,1,0] neg_lo:[0,0,1] neg_hi:[0,0,1]
	v_pk_fma_f32 v[0:1], v[0:1], v[4:5], v[8:9] op_sel:[0,0,1] op_sel_hi:[1,0,0]
	v_dual_mul_f32 v8, v3, v7 :: v_dual_mov_b32 v0, v3
	v_dual_mov_b32 v19, v1 :: v_dual_mov_b32 v1, v2
	s_delay_alu instid0(VALU_DEP_2) | instskip(SKIP_1) | instid1(VALU_DEP_3)
	v_pk_fma_f32 v[8:9], v[2:3], v[164:165], v[8:9] op_sel_hi:[1,1,0] neg_lo:[0,0,1] neg_hi:[0,0,1]
	v_mul_f32_e32 v2, v3, v4
	v_pk_add_f32 v[166:167], v[166:167], v[18:19] neg_lo:[0,1] neg_hi:[0,1]
	s_delay_alu instid0(VALU_DEP_2) | instskip(NEXT) | instid1(VALU_DEP_1)
	v_pk_fma_f32 v[0:1], v[0:1], v[164:165], v[2:3] op_sel_hi:[1,1,0]
	v_mov_b32_e32 v9, v1
	ds_load_2addr_b64 v[0:3], v12 offset0:42 offset1:43
	v_pk_add_f32 v[160:161], v[160:161], v[8:9] neg_lo:[0,1] neg_hi:[0,1]
	s_wait_dscnt 0x0
	v_pk_mul_f32 v[8:9], v[0:1], v[6:7] op_sel:[0,1]
	v_mul_f32_e32 v6, v3, v7
	s_delay_alu instid0(VALU_DEP_2) | instskip(SKIP_2) | instid1(VALU_DEP_4)
	v_pk_fma_f32 v[18:19], v[0:1], v[4:5], v[8:9] op_sel:[0,0,1] op_sel_hi:[1,1,0] neg_lo:[0,0,1] neg_hi:[0,0,1]
	v_pk_fma_f32 v[0:1], v[0:1], v[4:5], v[8:9] op_sel:[0,0,1] op_sel_hi:[1,0,0]
	v_mov_b32_e32 v0, v3
	v_pk_fma_f32 v[6:7], v[2:3], v[164:165], v[6:7] op_sel_hi:[1,1,0] neg_lo:[0,0,1] neg_hi:[0,0,1]
	s_delay_alu instid0(VALU_DEP_3) | instskip(SKIP_1) | instid1(VALU_DEP_2)
	v_dual_mov_b32 v19, v1 :: v_dual_mov_b32 v1, v2
	v_mul_f32_e32 v2, v3, v4
	v_pk_add_f32 v[172:173], v[172:173], v[18:19] neg_lo:[0,1] neg_hi:[0,1]
	s_delay_alu instid0(VALU_DEP_2) | instskip(NEXT) | instid1(VALU_DEP_1)
	v_pk_fma_f32 v[0:1], v[0:1], v[164:165], v[2:3] op_sel_hi:[1,1,0]
	v_mov_b32_e32 v7, v1
	s_delay_alu instid0(VALU_DEP_1)
	v_pk_add_f32 v[176:177], v[176:177], v[6:7] neg_lo:[0,1] neg_hi:[0,1]
.LBB87_343:
	s_or_b32 exec_lo, exec_lo, s1
	s_delay_alu instid0(SALU_CYCLE_1)
	s_mov_b32 s2, exec_lo
	s_wait_dscnt 0x0
	s_barrier_signal -1
	s_barrier_wait -1
	v_cmpx_eq_u32_e32 38, v30
	s_cbranch_execz .LBB87_350
; %bb.344:
	ds_store_b64 v31, v[168:169]
	ds_store_2addr_b64 v12, v[162:163], v[166:167] offset0:39 offset1:40
	ds_store_2addr_b64 v12, v[160:161], v[172:173] offset0:41 offset1:42
	ds_store_b64 v12, v[176:177] offset:344
	ds_load_b64 v[0:1], v31
	s_wait_dscnt 0x0
	v_cmp_neq_f32_e32 vcc_lo, 0, v0
	v_cmp_neq_f32_e64 s1, 0, v1
	s_or_b32 s1, vcc_lo, s1
	s_delay_alu instid0(SALU_CYCLE_1)
	s_and_b32 exec_lo, exec_lo, s1
	s_cbranch_execz .LBB87_350
; %bb.345:
	v_cmp_ngt_f32_e64 s1, |v0|, |v1|
                                        ; implicit-def: $vgpr2_vgpr3
	s_and_saveexec_b32 s4, s1
	s_delay_alu instid0(SALU_CYCLE_1)
	s_xor_b32 s1, exec_lo, s4
	s_cbranch_execz .LBB87_347
; %bb.346:
	v_div_scale_f32 v2, null, v1, v1, v0
	v_div_scale_f32 v5, vcc_lo, v0, v1, v0
	s_delay_alu instid0(VALU_DEP_2) | instskip(SKIP_1) | instid1(TRANS32_DEP_1)
	v_rcp_f32_e32 v3, v2
	v_nop
	v_fma_f32 v4, -v2, v3, 1.0
	s_delay_alu instid0(VALU_DEP_1) | instskip(NEXT) | instid1(VALU_DEP_1)
	v_fmac_f32_e32 v3, v4, v3
	v_mul_f32_e32 v4, v5, v3
	s_delay_alu instid0(VALU_DEP_1) | instskip(NEXT) | instid1(VALU_DEP_1)
	v_fma_f32 v6, -v2, v4, v5
	v_fmac_f32_e32 v4, v6, v3
	s_delay_alu instid0(VALU_DEP_1) | instskip(NEXT) | instid1(VALU_DEP_1)
	v_fma_f32 v2, -v2, v4, v5
	v_div_fmas_f32 v2, v2, v3, v4
	s_delay_alu instid0(VALU_DEP_1) | instskip(NEXT) | instid1(VALU_DEP_1)
	v_div_fixup_f32 v2, v2, v1, v0
	v_fmac_f32_e32 v1, v0, v2
	s_delay_alu instid0(VALU_DEP_1) | instskip(SKIP_1) | instid1(VALU_DEP_2)
	v_div_scale_f32 v0, null, v1, v1, 1.0
	v_div_scale_f32 v5, vcc_lo, 1.0, v1, 1.0
	v_rcp_f32_e32 v3, v0
	v_nop
	s_delay_alu instid0(TRANS32_DEP_1) | instskip(NEXT) | instid1(VALU_DEP_1)
	v_fma_f32 v4, -v0, v3, 1.0
	v_fmac_f32_e32 v3, v4, v3
	s_delay_alu instid0(VALU_DEP_1) | instskip(NEXT) | instid1(VALU_DEP_1)
	v_mul_f32_e32 v4, v5, v3
	v_fma_f32 v6, -v0, v4, v5
	s_delay_alu instid0(VALU_DEP_1) | instskip(NEXT) | instid1(VALU_DEP_1)
	v_fmac_f32_e32 v4, v6, v3
	v_fma_f32 v0, -v0, v4, v5
	s_delay_alu instid0(VALU_DEP_1) | instskip(NEXT) | instid1(VALU_DEP_1)
	v_div_fmas_f32 v0, v0, v3, v4
	v_div_fixup_f32 v0, v0, v1, 1.0
	s_delay_alu instid0(VALU_DEP_1)
	v_mul_f32_e32 v2, v2, v0
	v_xor_b32_e32 v3, 0x80000000, v0
                                        ; implicit-def: $vgpr0_vgpr1
.LBB87_347:
	s_and_not1_saveexec_b32 s1, s1
	s_cbranch_execz .LBB87_349
; %bb.348:
	v_div_scale_f32 v2, null, v0, v0, v1
	v_div_scale_f32 v5, vcc_lo, v1, v0, v1
	s_delay_alu instid0(VALU_DEP_2) | instskip(SKIP_1) | instid1(TRANS32_DEP_1)
	v_rcp_f32_e32 v3, v2
	v_nop
	v_fma_f32 v4, -v2, v3, 1.0
	s_delay_alu instid0(VALU_DEP_1) | instskip(NEXT) | instid1(VALU_DEP_1)
	v_fmac_f32_e32 v3, v4, v3
	v_mul_f32_e32 v4, v5, v3
	s_delay_alu instid0(VALU_DEP_1) | instskip(NEXT) | instid1(VALU_DEP_1)
	v_fma_f32 v6, -v2, v4, v5
	v_fmac_f32_e32 v4, v6, v3
	s_delay_alu instid0(VALU_DEP_1) | instskip(NEXT) | instid1(VALU_DEP_1)
	v_fma_f32 v2, -v2, v4, v5
	v_div_fmas_f32 v2, v2, v3, v4
	s_delay_alu instid0(VALU_DEP_1) | instskip(NEXT) | instid1(VALU_DEP_1)
	v_div_fixup_f32 v3, v2, v0, v1
	v_fmac_f32_e32 v0, v1, v3
	s_delay_alu instid0(VALU_DEP_1) | instskip(NEXT) | instid1(VALU_DEP_1)
	v_div_scale_f32 v1, null, v0, v0, 1.0
	v_rcp_f32_e32 v2, v1
	v_nop
	s_delay_alu instid0(TRANS32_DEP_1) | instskip(NEXT) | instid1(VALU_DEP_1)
	v_fma_f32 v4, -v1, v2, 1.0
	v_fmac_f32_e32 v2, v4, v2
	v_div_scale_f32 v4, vcc_lo, 1.0, v0, 1.0
	s_delay_alu instid0(VALU_DEP_1) | instskip(NEXT) | instid1(VALU_DEP_1)
	v_mul_f32_e32 v5, v4, v2
	v_fma_f32 v6, -v1, v5, v4
	s_delay_alu instid0(VALU_DEP_1) | instskip(NEXT) | instid1(VALU_DEP_1)
	v_fmac_f32_e32 v5, v6, v2
	v_fma_f32 v1, -v1, v5, v4
	s_delay_alu instid0(VALU_DEP_1) | instskip(NEXT) | instid1(VALU_DEP_1)
	v_div_fmas_f32 v1, v1, v2, v5
	v_div_fixup_f32 v2, v1, v0, 1.0
	s_delay_alu instid0(VALU_DEP_1)
	v_mul_f32_e64 v3, v3, -v2
.LBB87_349:
	s_or_b32 exec_lo, exec_lo, s1
	ds_store_b64 v31, v[2:3]
.LBB87_350:
	s_or_b32 exec_lo, exec_lo, s2
	s_wait_dscnt 0x0
	s_barrier_signal -1
	s_barrier_wait -1
	ds_load_b64 v[254:255], v31
	s_mov_b32 s1, exec_lo
	v_cmpx_lt_u32_e32 38, v30
	s_cbranch_execz .LBB87_352
; %bb.351:
	s_wait_dscnt 0x0
	v_pk_mul_f32 v[0:1], v[254:255], v[168:169] op_sel:[1,1] op_sel_hi:[0,1]
	s_delay_alu instid0(VALU_DEP_1)
	v_pk_fma_f32 v[4:5], v[254:255], v[168:169], v[0:1] op_sel_hi:[1,0,1] neg_lo:[0,0,1] neg_hi:[0,0,1]
	v_pk_fma_f32 v[6:7], v[254:255], v[168:169], v[0:1] op_sel_hi:[1,0,1]
	ds_load_2addr_b64 v[0:3], v12 offset0:39 offset1:40
	v_dual_mov_b32 v168, v4 :: v_dual_mov_b32 v169, v7
	s_wait_dscnt 0x0
	v_pk_mul_f32 v[8:9], v[0:1], v[6:7] op_sel:[0,1]
	s_delay_alu instid0(VALU_DEP_1) | instskip(SKIP_1) | instid1(VALU_DEP_1)
	v_pk_fma_f32 v[18:19], v[0:1], v[4:5], v[8:9] op_sel:[0,0,1] op_sel_hi:[1,1,0] neg_lo:[0,0,1] neg_hi:[0,0,1]
	v_pk_fma_f32 v[0:1], v[0:1], v[4:5], v[8:9] op_sel:[0,0,1] op_sel_hi:[1,0,0]
	v_mov_b32_e32 v19, v1
	v_pk_mul_f32 v[0:1], v[2:3], v[6:7] op_sel:[0,1]
	s_delay_alu instid0(VALU_DEP_1) | instskip(SKIP_1) | instid1(VALU_DEP_1)
	v_pk_fma_f32 v[8:9], v[2:3], v[4:5], v[0:1] op_sel:[0,0,1] op_sel_hi:[1,1,0] neg_lo:[0,0,1] neg_hi:[0,0,1]
	v_pk_fma_f32 v[0:1], v[2:3], v[4:5], v[0:1] op_sel:[0,0,1] op_sel_hi:[1,0,0]
	v_mov_b32_e32 v9, v1
	ds_load_2addr_b64 v[0:3], v12 offset0:41 offset1:42
	v_pk_add_f32 v[162:163], v[162:163], v[18:19] neg_lo:[0,1] neg_hi:[0,1]
	v_pk_add_f32 v[166:167], v[166:167], v[8:9] neg_lo:[0,1] neg_hi:[0,1]
	s_wait_dscnt 0x0
	v_pk_mul_f32 v[8:9], v[0:1], v[6:7] op_sel:[0,1]
	s_delay_alu instid0(VALU_DEP_1) | instskip(SKIP_2) | instid1(VALU_DEP_2)
	v_pk_fma_f32 v[18:19], v[0:1], v[4:5], v[8:9] op_sel:[0,0,1] op_sel_hi:[1,1,0] neg_lo:[0,0,1] neg_hi:[0,0,1]
	v_pk_fma_f32 v[0:1], v[0:1], v[4:5], v[8:9] op_sel:[0,0,1] op_sel_hi:[1,0,0]
	v_dual_mul_f32 v8, v3, v7 :: v_dual_mov_b32 v0, v3
	v_dual_mov_b32 v19, v1 :: v_dual_mov_b32 v1, v2
	s_delay_alu instid0(VALU_DEP_2) | instskip(SKIP_1) | instid1(VALU_DEP_3)
	v_pk_fma_f32 v[8:9], v[2:3], v[168:169], v[8:9] op_sel_hi:[1,1,0] neg_lo:[0,0,1] neg_hi:[0,0,1]
	v_mul_f32_e32 v2, v3, v4
	v_pk_add_f32 v[160:161], v[160:161], v[18:19] neg_lo:[0,1] neg_hi:[0,1]
	s_delay_alu instid0(VALU_DEP_2) | instskip(NEXT) | instid1(VALU_DEP_1)
	v_pk_fma_f32 v[0:1], v[0:1], v[168:169], v[2:3] op_sel_hi:[1,1,0]
	v_mov_b32_e32 v9, v1
	ds_load_b64 v[0:1], v12 offset:344
	v_pk_add_f32 v[172:173], v[172:173], v[8:9] neg_lo:[0,1] neg_hi:[0,1]
	s_wait_dscnt 0x0
	v_pk_mul_f32 v[2:3], v[0:1], v[6:7] op_sel:[0,1]
	s_delay_alu instid0(VALU_DEP_1) | instskip(SKIP_1) | instid1(VALU_DEP_1)
	v_pk_fma_f32 v[6:7], v[0:1], v[4:5], v[2:3] op_sel:[0,0,1] op_sel_hi:[1,1,0] neg_lo:[0,0,1] neg_hi:[0,0,1]
	v_pk_fma_f32 v[0:1], v[0:1], v[4:5], v[2:3] op_sel:[0,0,1] op_sel_hi:[1,0,0]
	v_mov_b32_e32 v7, v1
	s_delay_alu instid0(VALU_DEP_1)
	v_pk_add_f32 v[176:177], v[176:177], v[6:7] neg_lo:[0,1] neg_hi:[0,1]
.LBB87_352:
	s_or_b32 exec_lo, exec_lo, s1
	s_delay_alu instid0(SALU_CYCLE_1)
	s_mov_b32 s2, exec_lo
	s_wait_dscnt 0x0
	s_barrier_signal -1
	s_barrier_wait -1
	v_cmpx_eq_u32_e32 39, v30
	s_cbranch_execz .LBB87_359
; %bb.353:
	v_dual_mov_b32 v0, v166 :: v_dual_mov_b32 v1, v167
	v_dual_mov_b32 v2, v160 :: v_dual_mov_b32 v3, v161
	ds_store_b64 v31, v[162:163]
	ds_store_2addr_b64 v12, v[0:1], v[2:3] offset0:40 offset1:41
	v_dual_mov_b32 v0, v172 :: v_dual_mov_b32 v1, v173
	ds_store_2addr_b64 v12, v[0:1], v[176:177] offset0:42 offset1:43
	ds_load_b64 v[0:1], v31
	s_wait_dscnt 0x0
	v_cmp_neq_f32_e32 vcc_lo, 0, v0
	v_cmp_neq_f32_e64 s1, 0, v1
	s_or_b32 s1, vcc_lo, s1
	s_delay_alu instid0(SALU_CYCLE_1)
	s_and_b32 exec_lo, exec_lo, s1
	s_cbranch_execz .LBB87_359
; %bb.354:
	v_cmp_ngt_f32_e64 s1, |v0|, |v1|
                                        ; implicit-def: $vgpr2_vgpr3
	s_and_saveexec_b32 s4, s1
	s_delay_alu instid0(SALU_CYCLE_1)
	s_xor_b32 s1, exec_lo, s4
	s_cbranch_execz .LBB87_356
; %bb.355:
	v_div_scale_f32 v2, null, v1, v1, v0
	v_div_scale_f32 v5, vcc_lo, v0, v1, v0
	s_delay_alu instid0(VALU_DEP_2) | instskip(SKIP_1) | instid1(TRANS32_DEP_1)
	v_rcp_f32_e32 v3, v2
	v_nop
	v_fma_f32 v4, -v2, v3, 1.0
	s_delay_alu instid0(VALU_DEP_1) | instskip(NEXT) | instid1(VALU_DEP_1)
	v_fmac_f32_e32 v3, v4, v3
	v_mul_f32_e32 v4, v5, v3
	s_delay_alu instid0(VALU_DEP_1) | instskip(NEXT) | instid1(VALU_DEP_1)
	v_fma_f32 v6, -v2, v4, v5
	v_fmac_f32_e32 v4, v6, v3
	s_delay_alu instid0(VALU_DEP_1) | instskip(NEXT) | instid1(VALU_DEP_1)
	v_fma_f32 v2, -v2, v4, v5
	v_div_fmas_f32 v2, v2, v3, v4
	s_delay_alu instid0(VALU_DEP_1) | instskip(NEXT) | instid1(VALU_DEP_1)
	v_div_fixup_f32 v2, v2, v1, v0
	v_fmac_f32_e32 v1, v0, v2
	s_delay_alu instid0(VALU_DEP_1) | instskip(SKIP_1) | instid1(VALU_DEP_2)
	v_div_scale_f32 v0, null, v1, v1, 1.0
	v_div_scale_f32 v5, vcc_lo, 1.0, v1, 1.0
	v_rcp_f32_e32 v3, v0
	v_nop
	s_delay_alu instid0(TRANS32_DEP_1) | instskip(NEXT) | instid1(VALU_DEP_1)
	v_fma_f32 v4, -v0, v3, 1.0
	v_fmac_f32_e32 v3, v4, v3
	s_delay_alu instid0(VALU_DEP_1) | instskip(NEXT) | instid1(VALU_DEP_1)
	v_mul_f32_e32 v4, v5, v3
	v_fma_f32 v6, -v0, v4, v5
	s_delay_alu instid0(VALU_DEP_1) | instskip(NEXT) | instid1(VALU_DEP_1)
	v_fmac_f32_e32 v4, v6, v3
	v_fma_f32 v0, -v0, v4, v5
	s_delay_alu instid0(VALU_DEP_1) | instskip(NEXT) | instid1(VALU_DEP_1)
	v_div_fmas_f32 v0, v0, v3, v4
	v_div_fixup_f32 v0, v0, v1, 1.0
	s_delay_alu instid0(VALU_DEP_1)
	v_mul_f32_e32 v2, v2, v0
	v_xor_b32_e32 v3, 0x80000000, v0
                                        ; implicit-def: $vgpr0_vgpr1
.LBB87_356:
	s_and_not1_saveexec_b32 s1, s1
	s_cbranch_execz .LBB87_358
; %bb.357:
	v_div_scale_f32 v2, null, v0, v0, v1
	v_div_scale_f32 v5, vcc_lo, v1, v0, v1
	s_delay_alu instid0(VALU_DEP_2) | instskip(SKIP_1) | instid1(TRANS32_DEP_1)
	v_rcp_f32_e32 v3, v2
	v_nop
	v_fma_f32 v4, -v2, v3, 1.0
	s_delay_alu instid0(VALU_DEP_1) | instskip(NEXT) | instid1(VALU_DEP_1)
	v_fmac_f32_e32 v3, v4, v3
	v_mul_f32_e32 v4, v5, v3
	s_delay_alu instid0(VALU_DEP_1) | instskip(NEXT) | instid1(VALU_DEP_1)
	v_fma_f32 v6, -v2, v4, v5
	v_fmac_f32_e32 v4, v6, v3
	s_delay_alu instid0(VALU_DEP_1) | instskip(NEXT) | instid1(VALU_DEP_1)
	v_fma_f32 v2, -v2, v4, v5
	v_div_fmas_f32 v2, v2, v3, v4
	s_delay_alu instid0(VALU_DEP_1) | instskip(NEXT) | instid1(VALU_DEP_1)
	v_div_fixup_f32 v3, v2, v0, v1
	v_fmac_f32_e32 v0, v1, v3
	s_delay_alu instid0(VALU_DEP_1) | instskip(NEXT) | instid1(VALU_DEP_1)
	v_div_scale_f32 v1, null, v0, v0, 1.0
	v_rcp_f32_e32 v2, v1
	v_nop
	s_delay_alu instid0(TRANS32_DEP_1) | instskip(NEXT) | instid1(VALU_DEP_1)
	v_fma_f32 v4, -v1, v2, 1.0
	v_fmac_f32_e32 v2, v4, v2
	v_div_scale_f32 v4, vcc_lo, 1.0, v0, 1.0
	s_delay_alu instid0(VALU_DEP_1) | instskip(NEXT) | instid1(VALU_DEP_1)
	v_mul_f32_e32 v5, v4, v2
	v_fma_f32 v6, -v1, v5, v4
	s_delay_alu instid0(VALU_DEP_1) | instskip(NEXT) | instid1(VALU_DEP_1)
	v_fmac_f32_e32 v5, v6, v2
	v_fma_f32 v1, -v1, v5, v4
	s_delay_alu instid0(VALU_DEP_1) | instskip(NEXT) | instid1(VALU_DEP_1)
	v_div_fmas_f32 v1, v1, v2, v5
	v_div_fixup_f32 v2, v1, v0, 1.0
	s_delay_alu instid0(VALU_DEP_1)
	v_mul_f32_e64 v3, v3, -v2
.LBB87_358:
	s_or_b32 exec_lo, exec_lo, s1
	ds_store_b64 v31, v[2:3]
.LBB87_359:
	s_or_b32 exec_lo, exec_lo, s2
	s_wait_dscnt 0x0
	s_barrier_signal -1
	s_barrier_wait -1
	ds_load_b64 v[2:3], v31
	s_mov_b32 s1, exec_lo
	v_cmpx_lt_u32_e32 39, v30
	s_cbranch_execz .LBB87_361
; %bb.360:
	ds_load_2addr_b64 v[4:7], v12 offset0:40 offset1:41
	s_wait_dscnt 0x1
	v_pk_mul_f32 v[0:1], v[2:3], v[162:163] op_sel:[1,1] op_sel_hi:[0,1]
	s_delay_alu instid0(VALU_DEP_1) | instskip(SKIP_1) | instid1(VALU_DEP_1)
	v_pk_fma_f32 v[8:9], v[2:3], v[162:163], v[0:1] op_sel_hi:[1,0,1] neg_lo:[0,0,1] neg_hi:[0,0,1]
	v_pk_fma_f32 v[0:1], v[2:3], v[162:163], v[0:1] op_sel_hi:[1,0,1]
	v_dual_mov_b32 v162, v8 :: v_dual_mov_b32 v163, v1
	s_wait_dscnt 0x0
	s_delay_alu instid0(VALU_DEP_2) | instskip(NEXT) | instid1(VALU_DEP_1)
	v_pk_mul_f32 v[18:19], v[4:5], v[0:1] op_sel:[0,1]
	v_pk_fma_f32 v[20:21], v[4:5], v[8:9], v[18:19] op_sel:[0,0,1] op_sel_hi:[1,1,0] neg_lo:[0,0,1] neg_hi:[0,0,1]
	v_pk_fma_f32 v[4:5], v[4:5], v[8:9], v[18:19] op_sel:[0,0,1] op_sel_hi:[1,0,0]
	s_delay_alu instid0(VALU_DEP_1) | instskip(SKIP_1) | instid1(VALU_DEP_1)
	v_mov_b32_e32 v21, v5
	v_pk_mul_f32 v[4:5], v[6:7], v[0:1] op_sel:[0,1]
	v_pk_fma_f32 v[18:19], v[6:7], v[8:9], v[4:5] op_sel:[0,0,1] op_sel_hi:[1,1,0] neg_lo:[0,0,1] neg_hi:[0,0,1]
	v_pk_fma_f32 v[4:5], v[6:7], v[8:9], v[4:5] op_sel:[0,0,1] op_sel_hi:[1,0,0]
	s_delay_alu instid0(VALU_DEP_1)
	v_mov_b32_e32 v19, v5
	ds_load_2addr_b64 v[4:7], v12 offset0:42 offset1:43
	v_pk_add_f32 v[166:167], v[166:167], v[20:21] neg_lo:[0,1] neg_hi:[0,1]
	v_pk_add_f32 v[160:161], v[160:161], v[18:19] neg_lo:[0,1] neg_hi:[0,1]
	s_wait_dscnt 0x0
	v_pk_mul_f32 v[18:19], v[4:5], v[0:1] op_sel:[0,1]
	s_delay_alu instid0(VALU_DEP_1) | instskip(SKIP_1) | instid1(VALU_DEP_1)
	v_pk_fma_f32 v[20:21], v[4:5], v[8:9], v[18:19] op_sel:[0,0,1] op_sel_hi:[1,1,0] neg_lo:[0,0,1] neg_hi:[0,0,1]
	v_pk_fma_f32 v[4:5], v[4:5], v[8:9], v[18:19] op_sel:[0,0,1] op_sel_hi:[1,0,0]
	v_dual_mov_b32 v4, v7 :: v_dual_mov_b32 v21, v5
	v_mov_b32_e32 v5, v6
	s_delay_alu instid0(VALU_DEP_2) | instskip(NEXT) | instid1(VALU_DEP_2)
	v_pk_add_f32 v[172:173], v[172:173], v[20:21] neg_lo:[0,1] neg_hi:[0,1]
	v_pk_mul_f32 v[0:1], v[4:5], v[0:1] op_sel:[0,1]
	s_delay_alu instid0(VALU_DEP_1) | instskip(SKIP_1) | instid1(VALU_DEP_1)
	v_pk_fma_f32 v[4:5], v[6:7], v[8:9], v[0:1] neg_lo:[0,0,1] neg_hi:[0,0,1]
	v_pk_fma_f32 v[0:1], v[6:7], v[8:9], v[0:1] op_sel_hi:[1,0,1]
	v_mov_b32_e32 v5, v1
	s_delay_alu instid0(VALU_DEP_1)
	v_pk_add_f32 v[176:177], v[176:177], v[4:5] neg_lo:[0,1] neg_hi:[0,1]
.LBB87_361:
	s_or_b32 exec_lo, exec_lo, s1
	s_delay_alu instid0(SALU_CYCLE_1)
	s_mov_b32 s2, exec_lo
	s_wait_dscnt 0x0
	s_barrier_signal -1
	s_barrier_wait -1
	v_cmpx_eq_u32_e32 40, v30
	s_cbranch_execz .LBB87_368
; %bb.362:
	ds_store_b64 v31, v[166:167]
	ds_store_2addr_b64 v12, v[160:161], v[172:173] offset0:41 offset1:42
	ds_store_b64 v12, v[176:177] offset:344
	ds_load_b64 v[0:1], v31
	s_wait_dscnt 0x0
	v_cmp_neq_f32_e32 vcc_lo, 0, v0
	v_cmp_neq_f32_e64 s1, 0, v1
	s_or_b32 s1, vcc_lo, s1
	s_delay_alu instid0(SALU_CYCLE_1)
	s_and_b32 exec_lo, exec_lo, s1
	s_cbranch_execz .LBB87_368
; %bb.363:
	v_cmp_ngt_f32_e64 s1, |v0|, |v1|
                                        ; implicit-def: $vgpr4_vgpr5
	s_and_saveexec_b32 s4, s1
	s_delay_alu instid0(SALU_CYCLE_1)
	s_xor_b32 s1, exec_lo, s4
	s_cbranch_execz .LBB87_365
; %bb.364:
	v_div_scale_f32 v4, null, v1, v1, v0
	v_div_scale_f32 v7, vcc_lo, v0, v1, v0
	s_delay_alu instid0(VALU_DEP_2) | instskip(SKIP_1) | instid1(TRANS32_DEP_1)
	v_rcp_f32_e32 v5, v4
	v_nop
	v_fma_f32 v6, -v4, v5, 1.0
	s_delay_alu instid0(VALU_DEP_1) | instskip(NEXT) | instid1(VALU_DEP_1)
	v_fmac_f32_e32 v5, v6, v5
	v_mul_f32_e32 v6, v7, v5
	s_delay_alu instid0(VALU_DEP_1) | instskip(NEXT) | instid1(VALU_DEP_1)
	v_fma_f32 v8, -v4, v6, v7
	v_fmac_f32_e32 v6, v8, v5
	s_delay_alu instid0(VALU_DEP_1) | instskip(NEXT) | instid1(VALU_DEP_1)
	v_fma_f32 v4, -v4, v6, v7
	v_div_fmas_f32 v4, v4, v5, v6
	s_delay_alu instid0(VALU_DEP_1) | instskip(NEXT) | instid1(VALU_DEP_1)
	v_div_fixup_f32 v4, v4, v1, v0
	v_fmac_f32_e32 v1, v0, v4
	s_delay_alu instid0(VALU_DEP_1) | instskip(SKIP_1) | instid1(VALU_DEP_2)
	v_div_scale_f32 v0, null, v1, v1, 1.0
	v_div_scale_f32 v7, vcc_lo, 1.0, v1, 1.0
	v_rcp_f32_e32 v5, v0
	v_nop
	s_delay_alu instid0(TRANS32_DEP_1) | instskip(NEXT) | instid1(VALU_DEP_1)
	v_fma_f32 v6, -v0, v5, 1.0
	v_fmac_f32_e32 v5, v6, v5
	s_delay_alu instid0(VALU_DEP_1) | instskip(NEXT) | instid1(VALU_DEP_1)
	v_mul_f32_e32 v6, v7, v5
	v_fma_f32 v8, -v0, v6, v7
	s_delay_alu instid0(VALU_DEP_1) | instskip(NEXT) | instid1(VALU_DEP_1)
	v_fmac_f32_e32 v6, v8, v5
	v_fma_f32 v0, -v0, v6, v7
	s_delay_alu instid0(VALU_DEP_1) | instskip(NEXT) | instid1(VALU_DEP_1)
	v_div_fmas_f32 v0, v0, v5, v6
	v_div_fixup_f32 v0, v0, v1, 1.0
	s_delay_alu instid0(VALU_DEP_1)
	v_mul_f32_e32 v4, v4, v0
	v_xor_b32_e32 v5, 0x80000000, v0
                                        ; implicit-def: $vgpr0_vgpr1
.LBB87_365:
	s_and_not1_saveexec_b32 s1, s1
	s_cbranch_execz .LBB87_367
; %bb.366:
	v_div_scale_f32 v4, null, v0, v0, v1
	v_div_scale_f32 v7, vcc_lo, v1, v0, v1
	s_delay_alu instid0(VALU_DEP_2) | instskip(SKIP_1) | instid1(TRANS32_DEP_1)
	v_rcp_f32_e32 v5, v4
	v_nop
	v_fma_f32 v6, -v4, v5, 1.0
	s_delay_alu instid0(VALU_DEP_1) | instskip(NEXT) | instid1(VALU_DEP_1)
	v_fmac_f32_e32 v5, v6, v5
	v_mul_f32_e32 v6, v7, v5
	s_delay_alu instid0(VALU_DEP_1) | instskip(NEXT) | instid1(VALU_DEP_1)
	v_fma_f32 v8, -v4, v6, v7
	v_fmac_f32_e32 v6, v8, v5
	s_delay_alu instid0(VALU_DEP_1) | instskip(NEXT) | instid1(VALU_DEP_1)
	v_fma_f32 v4, -v4, v6, v7
	v_div_fmas_f32 v4, v4, v5, v6
	s_delay_alu instid0(VALU_DEP_1) | instskip(NEXT) | instid1(VALU_DEP_1)
	v_div_fixup_f32 v5, v4, v0, v1
	v_fmac_f32_e32 v0, v1, v5
	s_delay_alu instid0(VALU_DEP_1) | instskip(NEXT) | instid1(VALU_DEP_1)
	v_div_scale_f32 v1, null, v0, v0, 1.0
	v_rcp_f32_e32 v4, v1
	v_nop
	s_delay_alu instid0(TRANS32_DEP_1) | instskip(NEXT) | instid1(VALU_DEP_1)
	v_fma_f32 v6, -v1, v4, 1.0
	v_fmac_f32_e32 v4, v6, v4
	v_div_scale_f32 v6, vcc_lo, 1.0, v0, 1.0
	s_delay_alu instid0(VALU_DEP_1) | instskip(NEXT) | instid1(VALU_DEP_1)
	v_mul_f32_e32 v7, v6, v4
	v_fma_f32 v8, -v1, v7, v6
	s_delay_alu instid0(VALU_DEP_1) | instskip(NEXT) | instid1(VALU_DEP_1)
	v_fmac_f32_e32 v7, v8, v4
	v_fma_f32 v1, -v1, v7, v6
	s_delay_alu instid0(VALU_DEP_1) | instskip(NEXT) | instid1(VALU_DEP_1)
	v_div_fmas_f32 v1, v1, v4, v7
	v_div_fixup_f32 v4, v1, v0, 1.0
	s_delay_alu instid0(VALU_DEP_1)
	v_mul_f32_e64 v5, v5, -v4
.LBB87_367:
	s_or_b32 exec_lo, exec_lo, s1
	ds_store_b64 v31, v[4:5]
.LBB87_368:
	s_or_b32 exec_lo, exec_lo, s2
	s_wait_dscnt 0x0
	s_barrier_signal -1
	s_barrier_wait -1
	ds_load_b64 v[4:5], v31
	s_mov_b32 s1, exec_lo
	v_cmpx_lt_u32_e32 40, v30
	s_cbranch_execz .LBB87_370
; %bb.369:
	ds_load_2addr_b64 v[6:9], v12 offset0:41 offset1:42
	s_wait_dscnt 0x1
	v_pk_mul_f32 v[0:1], v[4:5], v[166:167] op_sel:[1,1] op_sel_hi:[0,1]
	s_delay_alu instid0(VALU_DEP_1) | instskip(SKIP_1) | instid1(VALU_DEP_1)
	v_pk_fma_f32 v[18:19], v[4:5], v[166:167], v[0:1] op_sel_hi:[1,0,1] neg_lo:[0,0,1] neg_hi:[0,0,1]
	v_pk_fma_f32 v[0:1], v[4:5], v[166:167], v[0:1] op_sel_hi:[1,0,1]
	v_dual_mov_b32 v166, v18 :: v_dual_mov_b32 v167, v1
	s_wait_dscnt 0x0
	s_delay_alu instid0(VALU_DEP_2) | instskip(NEXT) | instid1(VALU_DEP_1)
	v_pk_mul_f32 v[20:21], v[6:7], v[0:1] op_sel:[0,1]
	v_pk_fma_f32 v[14:15], v[6:7], v[18:19], v[20:21] op_sel:[0,0,1] op_sel_hi:[1,1,0] neg_lo:[0,0,1] neg_hi:[0,0,1]
	v_pk_fma_f32 v[6:7], v[6:7], v[18:19], v[20:21] op_sel:[0,0,1] op_sel_hi:[1,0,0]
	s_delay_alu instid0(VALU_DEP_1) | instskip(SKIP_1) | instid1(VALU_DEP_2)
	v_mov_b32_e32 v15, v7
	v_pk_mul_f32 v[6:7], v[8:9], v[0:1] op_sel:[0,1]
	v_pk_add_f32 v[160:161], v[160:161], v[14:15] neg_lo:[0,1] neg_hi:[0,1]
	s_delay_alu instid0(VALU_DEP_2) | instskip(SKIP_1) | instid1(VALU_DEP_1)
	v_pk_fma_f32 v[14:15], v[8:9], v[18:19], v[6:7] op_sel:[0,0,1] op_sel_hi:[1,1,0] neg_lo:[0,0,1] neg_hi:[0,0,1]
	v_pk_fma_f32 v[6:7], v[8:9], v[18:19], v[6:7] op_sel:[0,0,1] op_sel_hi:[1,0,0]
	v_mov_b32_e32 v15, v7
	ds_load_b64 v[6:7], v12 offset:344
	v_pk_add_f32 v[172:173], v[172:173], v[14:15] neg_lo:[0,1] neg_hi:[0,1]
	s_wait_dscnt 0x0
	v_pk_mul_f32 v[0:1], v[6:7], v[0:1] op_sel:[1,1] op_sel_hi:[0,1]
	s_delay_alu instid0(VALU_DEP_1) | instskip(SKIP_1) | instid1(VALU_DEP_1)
	v_pk_fma_f32 v[8:9], v[6:7], v[18:19], v[0:1] neg_lo:[0,0,1] neg_hi:[0,0,1]
	v_pk_fma_f32 v[0:1], v[6:7], v[18:19], v[0:1] op_sel_hi:[1,0,1]
	v_mov_b32_e32 v9, v1
	s_delay_alu instid0(VALU_DEP_1)
	v_pk_add_f32 v[176:177], v[176:177], v[8:9] neg_lo:[0,1] neg_hi:[0,1]
.LBB87_370:
	s_or_b32 exec_lo, exec_lo, s1
	s_delay_alu instid0(SALU_CYCLE_1)
	s_mov_b32 s2, exec_lo
	s_wait_dscnt 0x0
	s_barrier_signal -1
	s_barrier_wait -1
	v_cmpx_eq_u32_e32 41, v30
	s_cbranch_execz .LBB87_377
; %bb.371:
	v_dual_mov_b32 v0, v172 :: v_dual_mov_b32 v1, v173
	ds_store_b64 v31, v[160:161]
	ds_store_2addr_b64 v12, v[0:1], v[176:177] offset0:42 offset1:43
	ds_load_b64 v[0:1], v31
	s_wait_dscnt 0x0
	v_cmp_neq_f32_e32 vcc_lo, 0, v0
	v_cmp_neq_f32_e64 s1, 0, v1
	s_or_b32 s1, vcc_lo, s1
	s_delay_alu instid0(SALU_CYCLE_1)
	s_and_b32 exec_lo, exec_lo, s1
	s_cbranch_execz .LBB87_377
; %bb.372:
	v_cmp_ngt_f32_e64 s1, |v0|, |v1|
                                        ; implicit-def: $vgpr6_vgpr7
	s_and_saveexec_b32 s4, s1
	s_delay_alu instid0(SALU_CYCLE_1)
	s_xor_b32 s1, exec_lo, s4
	s_cbranch_execz .LBB87_374
; %bb.373:
	v_div_scale_f32 v6, null, v1, v1, v0
	v_div_scale_f32 v9, vcc_lo, v0, v1, v0
	s_delay_alu instid0(VALU_DEP_2) | instskip(SKIP_1) | instid1(TRANS32_DEP_1)
	v_rcp_f32_e32 v7, v6
	v_nop
	v_fma_f32 v8, -v6, v7, 1.0
	s_delay_alu instid0(VALU_DEP_1) | instskip(NEXT) | instid1(VALU_DEP_1)
	v_fmac_f32_e32 v7, v8, v7
	v_mul_f32_e32 v8, v9, v7
	s_delay_alu instid0(VALU_DEP_1) | instskip(NEXT) | instid1(VALU_DEP_1)
	v_fma_f32 v13, -v6, v8, v9
	v_fmac_f32_e32 v8, v13, v7
	s_delay_alu instid0(VALU_DEP_1) | instskip(NEXT) | instid1(VALU_DEP_1)
	v_fma_f32 v6, -v6, v8, v9
	v_div_fmas_f32 v6, v6, v7, v8
	s_delay_alu instid0(VALU_DEP_1) | instskip(NEXT) | instid1(VALU_DEP_1)
	v_div_fixup_f32 v6, v6, v1, v0
	v_fmac_f32_e32 v1, v0, v6
	s_delay_alu instid0(VALU_DEP_1) | instskip(SKIP_1) | instid1(VALU_DEP_2)
	v_div_scale_f32 v0, null, v1, v1, 1.0
	v_div_scale_f32 v9, vcc_lo, 1.0, v1, 1.0
	v_rcp_f32_e32 v7, v0
	v_nop
	s_delay_alu instid0(TRANS32_DEP_1) | instskip(NEXT) | instid1(VALU_DEP_1)
	v_fma_f32 v8, -v0, v7, 1.0
	v_fmac_f32_e32 v7, v8, v7
	s_delay_alu instid0(VALU_DEP_1) | instskip(NEXT) | instid1(VALU_DEP_1)
	v_mul_f32_e32 v8, v9, v7
	v_fma_f32 v13, -v0, v8, v9
	s_delay_alu instid0(VALU_DEP_1) | instskip(NEXT) | instid1(VALU_DEP_1)
	v_fmac_f32_e32 v8, v13, v7
	v_fma_f32 v0, -v0, v8, v9
	s_delay_alu instid0(VALU_DEP_1) | instskip(NEXT) | instid1(VALU_DEP_1)
	v_div_fmas_f32 v0, v0, v7, v8
	v_div_fixup_f32 v0, v0, v1, 1.0
	s_delay_alu instid0(VALU_DEP_1)
	v_mul_f32_e32 v6, v6, v0
	v_xor_b32_e32 v7, 0x80000000, v0
                                        ; implicit-def: $vgpr0_vgpr1
.LBB87_374:
	s_and_not1_saveexec_b32 s1, s1
	s_cbranch_execz .LBB87_376
; %bb.375:
	v_div_scale_f32 v6, null, v0, v0, v1
	v_div_scale_f32 v9, vcc_lo, v1, v0, v1
	s_delay_alu instid0(VALU_DEP_2) | instskip(SKIP_1) | instid1(TRANS32_DEP_1)
	v_rcp_f32_e32 v7, v6
	v_nop
	v_fma_f32 v8, -v6, v7, 1.0
	s_delay_alu instid0(VALU_DEP_1) | instskip(NEXT) | instid1(VALU_DEP_1)
	v_fmac_f32_e32 v7, v8, v7
	v_mul_f32_e32 v8, v9, v7
	s_delay_alu instid0(VALU_DEP_1) | instskip(NEXT) | instid1(VALU_DEP_1)
	v_fma_f32 v13, -v6, v8, v9
	v_fmac_f32_e32 v8, v13, v7
	s_delay_alu instid0(VALU_DEP_1) | instskip(NEXT) | instid1(VALU_DEP_1)
	v_fma_f32 v6, -v6, v8, v9
	v_div_fmas_f32 v6, v6, v7, v8
	s_delay_alu instid0(VALU_DEP_1) | instskip(NEXT) | instid1(VALU_DEP_1)
	v_div_fixup_f32 v7, v6, v0, v1
	v_fmac_f32_e32 v0, v1, v7
	s_delay_alu instid0(VALU_DEP_1) | instskip(NEXT) | instid1(VALU_DEP_1)
	v_div_scale_f32 v1, null, v0, v0, 1.0
	v_rcp_f32_e32 v6, v1
	v_nop
	s_delay_alu instid0(TRANS32_DEP_1) | instskip(NEXT) | instid1(VALU_DEP_1)
	v_fma_f32 v8, -v1, v6, 1.0
	v_fmac_f32_e32 v6, v8, v6
	v_div_scale_f32 v8, vcc_lo, 1.0, v0, 1.0
	s_delay_alu instid0(VALU_DEP_1) | instskip(NEXT) | instid1(VALU_DEP_1)
	v_mul_f32_e32 v9, v8, v6
	v_fma_f32 v13, -v1, v9, v8
	s_delay_alu instid0(VALU_DEP_1) | instskip(NEXT) | instid1(VALU_DEP_1)
	v_fmac_f32_e32 v9, v13, v6
	v_fma_f32 v1, -v1, v9, v8
	s_delay_alu instid0(VALU_DEP_1) | instskip(NEXT) | instid1(VALU_DEP_1)
	v_div_fmas_f32 v1, v1, v6, v9
	v_div_fixup_f32 v6, v1, v0, 1.0
	s_delay_alu instid0(VALU_DEP_1)
	v_mul_f32_e64 v7, v7, -v6
.LBB87_376:
	s_or_b32 exec_lo, exec_lo, s1
	ds_store_b64 v31, v[6:7]
.LBB87_377:
	s_or_b32 exec_lo, exec_lo, s2
	s_wait_dscnt 0x0
	s_barrier_signal -1
	s_barrier_wait -1
	ds_load_b64 v[6:7], v31
	s_mov_b32 s1, exec_lo
	v_cmpx_lt_u32_e32 41, v30
	s_cbranch_execz .LBB87_379
; %bb.378:
	ds_load_2addr_b64 v[18:21], v12 offset0:42 offset1:43
	s_wait_dscnt 0x1
	v_pk_mul_f32 v[0:1], v[6:7], v[160:161] op_sel:[1,1] op_sel_hi:[0,1]
	v_mov_b32_e32 v13, v30
	scratch_store_b64 off, v[6:7], off offset:80 ; 8-byte Folded Spill
	v_pk_fma_f32 v[8:9], v[6:7], v[160:161], v[0:1] op_sel_hi:[1,0,1] neg_lo:[0,0,1] neg_hi:[0,0,1]
	v_pk_fma_f32 v[0:1], v[6:7], v[160:161], v[0:1] op_sel_hi:[1,0,1]
	s_wait_xcnt 0x0
	v_mov_b64_e32 v[6:7], v[4:5]
	v_mov_b32_e32 v4, v31
	v_mov_b64_e32 v[30:31], v[2:3]
	v_mov_b64_e32 v[2:3], v[166:167]
	v_mov_b64_e32 v[166:167], v[162:163]
	v_mov_b64_e32 v[162:163], v[168:169]
	v_mov_b64_e32 v[168:169], v[176:177]
	v_mov_b64_e32 v[176:177], v[164:165]
	v_mov_b64_e32 v[164:165], v[254:255]
	v_mov_b64_e32 v[254:255], v[170:171]
	v_mov_b64_e32 v[170:171], v[142:143]
	v_mov_b64_e32 v[142:143], v[146:147]
	s_wait_dscnt 0x0
	v_pk_mul_f32 v[14:15], v[18:19], v[0:1] op_sel:[0,1]
	v_mov_b64_e32 v[146:147], v[144:145]
	v_mov_b64_e32 v[144:145], v[148:149]
	;; [unrolled: 1-line block ×107, first 2 shown]
	v_pk_fma_f32 v[22:23], v[18:19], v[8:9], v[14:15] op_sel:[0,0,1] op_sel_hi:[1,1,0] neg_lo:[0,0,1] neg_hi:[0,0,1]
	v_pk_fma_f32 v[14:15], v[18:19], v[8:9], v[14:15] op_sel:[0,0,1] op_sel_hi:[1,0,0]
	v_dual_mov_b32 v14, v21 :: v_dual_mov_b32 v160, v8
	s_delay_alu instid0(VALU_DEP_2) | instskip(SKIP_1) | instid1(VALU_DEP_2)
	v_dual_mov_b32 v161, v1 :: v_dual_mov_b32 v23, v15
	v_mov_b32_e32 v15, v20
	v_pk_add_f32 v[172:173], v[172:173], v[22:23] neg_lo:[0,1] neg_hi:[0,1]
	v_mov_b64_e32 v[22:23], v[24:25]
	v_mov_b64_e32 v[24:25], v[26:27]
	;; [unrolled: 1-line block ×117, first 2 shown]
	v_mov_b32_e32 v31, v4
	v_mov_b64_e32 v[4:5], v[6:7]
	scratch_load_b64 v[6:7], off, off offset:80 ; 8-byte Folded Reload
	v_mov_b32_e32 v30, v13
	v_pk_mul_f32 v[0:1], v[14:15], v[0:1] op_sel:[0,1]
	s_delay_alu instid0(VALU_DEP_1) | instskip(SKIP_1) | instid1(VALU_DEP_1)
	v_pk_fma_f32 v[14:15], v[20:21], v[8:9], v[0:1] neg_lo:[0,0,1] neg_hi:[0,0,1]
	v_pk_fma_f32 v[0:1], v[20:21], v[8:9], v[0:1] op_sel_hi:[1,0,1]
	v_mov_b32_e32 v15, v1
	s_delay_alu instid0(VALU_DEP_1)
	v_pk_add_f32 v[176:177], v[176:177], v[14:15] neg_lo:[0,1] neg_hi:[0,1]
.LBB87_379:
	s_wait_xcnt 0x0
	s_or_b32 exec_lo, exec_lo, s1
	s_delay_alu instid0(SALU_CYCLE_1)
	s_mov_b32 s2, exec_lo
	s_wait_storecnt 0x0
	s_wait_loadcnt_dscnt 0x0
	s_barrier_signal -1
	s_barrier_wait -1
	v_cmpx_eq_u32_e32 42, v30
	s_cbranch_execz .LBB87_386
; %bb.380:
	ds_store_b64 v31, v[172:173]
	ds_store_b64 v12, v[176:177] offset:344
	ds_load_b64 v[0:1], v31
	s_wait_dscnt 0x0
	v_cmp_neq_f32_e32 vcc_lo, 0, v0
	v_cmp_neq_f32_e64 s1, 0, v1
	s_or_b32 s1, vcc_lo, s1
	s_delay_alu instid0(SALU_CYCLE_1)
	s_and_b32 exec_lo, exec_lo, s1
	s_cbranch_execz .LBB87_386
; %bb.381:
	v_cmp_ngt_f32_e64 s1, |v0|, |v1|
                                        ; implicit-def: $vgpr8_vgpr9
	s_and_saveexec_b32 s4, s1
	s_delay_alu instid0(SALU_CYCLE_1)
	s_xor_b32 s1, exec_lo, s4
	s_cbranch_execz .LBB87_383
; %bb.382:
	v_div_scale_f32 v8, null, v1, v1, v0
	v_div_scale_f32 v14, vcc_lo, v0, v1, v0
	s_delay_alu instid0(VALU_DEP_2) | instskip(SKIP_1) | instid1(TRANS32_DEP_1)
	v_rcp_f32_e32 v9, v8
	v_nop
	v_fma_f32 v13, -v8, v9, 1.0
	s_delay_alu instid0(VALU_DEP_1) | instskip(NEXT) | instid1(VALU_DEP_1)
	v_fmac_f32_e32 v9, v13, v9
	v_mul_f32_e32 v13, v14, v9
	s_delay_alu instid0(VALU_DEP_1) | instskip(NEXT) | instid1(VALU_DEP_1)
	v_fma_f32 v15, -v8, v13, v14
	v_fmac_f32_e32 v13, v15, v9
	s_delay_alu instid0(VALU_DEP_1) | instskip(NEXT) | instid1(VALU_DEP_1)
	v_fma_f32 v8, -v8, v13, v14
	v_div_fmas_f32 v8, v8, v9, v13
	s_delay_alu instid0(VALU_DEP_1) | instskip(NEXT) | instid1(VALU_DEP_1)
	v_div_fixup_f32 v8, v8, v1, v0
	v_fmac_f32_e32 v1, v0, v8
	s_delay_alu instid0(VALU_DEP_1) | instskip(SKIP_1) | instid1(VALU_DEP_2)
	v_div_scale_f32 v0, null, v1, v1, 1.0
	v_div_scale_f32 v14, vcc_lo, 1.0, v1, 1.0
	v_rcp_f32_e32 v9, v0
	v_nop
	s_delay_alu instid0(TRANS32_DEP_1) | instskip(NEXT) | instid1(VALU_DEP_1)
	v_fma_f32 v13, -v0, v9, 1.0
	v_fmac_f32_e32 v9, v13, v9
	s_delay_alu instid0(VALU_DEP_1) | instskip(NEXT) | instid1(VALU_DEP_1)
	v_mul_f32_e32 v13, v14, v9
	v_fma_f32 v15, -v0, v13, v14
	s_delay_alu instid0(VALU_DEP_1) | instskip(NEXT) | instid1(VALU_DEP_1)
	v_fmac_f32_e32 v13, v15, v9
	v_fma_f32 v0, -v0, v13, v14
	s_delay_alu instid0(VALU_DEP_1) | instskip(NEXT) | instid1(VALU_DEP_1)
	v_div_fmas_f32 v0, v0, v9, v13
	v_div_fixup_f32 v0, v0, v1, 1.0
	s_delay_alu instid0(VALU_DEP_1)
	v_mul_f32_e32 v8, v8, v0
	v_xor_b32_e32 v9, 0x80000000, v0
                                        ; implicit-def: $vgpr0_vgpr1
.LBB87_383:
	s_and_not1_saveexec_b32 s1, s1
	s_cbranch_execz .LBB87_385
; %bb.384:
	v_div_scale_f32 v8, null, v0, v0, v1
	v_div_scale_f32 v14, vcc_lo, v1, v0, v1
	s_delay_alu instid0(VALU_DEP_2) | instskip(SKIP_1) | instid1(TRANS32_DEP_1)
	v_rcp_f32_e32 v9, v8
	v_nop
	v_fma_f32 v13, -v8, v9, 1.0
	s_delay_alu instid0(VALU_DEP_1) | instskip(NEXT) | instid1(VALU_DEP_1)
	v_fmac_f32_e32 v9, v13, v9
	v_mul_f32_e32 v13, v14, v9
	s_delay_alu instid0(VALU_DEP_1) | instskip(NEXT) | instid1(VALU_DEP_1)
	v_fma_f32 v15, -v8, v13, v14
	v_fmac_f32_e32 v13, v15, v9
	s_delay_alu instid0(VALU_DEP_1) | instskip(NEXT) | instid1(VALU_DEP_1)
	v_fma_f32 v8, -v8, v13, v14
	v_div_fmas_f32 v8, v8, v9, v13
	s_delay_alu instid0(VALU_DEP_1) | instskip(NEXT) | instid1(VALU_DEP_1)
	v_div_fixup_f32 v9, v8, v0, v1
	v_fmac_f32_e32 v0, v1, v9
	s_delay_alu instid0(VALU_DEP_1) | instskip(NEXT) | instid1(VALU_DEP_1)
	v_div_scale_f32 v1, null, v0, v0, 1.0
	v_rcp_f32_e32 v8, v1
	v_nop
	s_delay_alu instid0(TRANS32_DEP_1) | instskip(NEXT) | instid1(VALU_DEP_1)
	v_fma_f32 v13, -v1, v8, 1.0
	v_fmac_f32_e32 v8, v13, v8
	v_div_scale_f32 v13, vcc_lo, 1.0, v0, 1.0
	s_delay_alu instid0(VALU_DEP_1) | instskip(NEXT) | instid1(VALU_DEP_1)
	v_mul_f32_e32 v14, v13, v8
	v_fma_f32 v15, -v1, v14, v13
	s_delay_alu instid0(VALU_DEP_1) | instskip(NEXT) | instid1(VALU_DEP_1)
	v_fmac_f32_e32 v14, v15, v8
	v_fma_f32 v1, -v1, v14, v13
	s_delay_alu instid0(VALU_DEP_1) | instskip(NEXT) | instid1(VALU_DEP_1)
	v_div_fmas_f32 v1, v1, v8, v14
	v_div_fixup_f32 v8, v1, v0, 1.0
	s_delay_alu instid0(VALU_DEP_1)
	v_mul_f32_e64 v9, v9, -v8
.LBB87_385:
	s_or_b32 exec_lo, exec_lo, s1
	ds_store_b64 v31, v[8:9]
.LBB87_386:
	s_or_b32 exec_lo, exec_lo, s2
	s_wait_dscnt 0x0
	s_barrier_signal -1
	s_barrier_wait -1
	ds_load_b64 v[8:9], v31
	s_mov_b32 s1, exec_lo
	v_cmpx_lt_u32_e32 42, v30
	s_cbranch_execz .LBB87_388
; %bb.387:
	ds_load_b64 v[0:1], v12 offset:344
	s_wait_dscnt 0x1
	v_pk_mul_f32 v[12:13], v[8:9], v[172:173] op_sel:[1,1] op_sel_hi:[0,1]
	s_delay_alu instid0(VALU_DEP_1) | instskip(SKIP_2) | instid1(VALU_DEP_2)
	v_pk_fma_f32 v[14:15], v[8:9], v[172:173], v[12:13] op_sel_hi:[1,0,1]
	v_pk_fma_f32 v[172:173], v[8:9], v[172:173], v[12:13] op_sel_hi:[1,0,1] neg_lo:[0,0,1] neg_hi:[0,0,1]
	s_wait_dscnt 0x0
	v_pk_mul_f32 v[12:13], v[0:1], v[14:15] op_sel:[1,1] op_sel_hi:[0,1]
	s_delay_alu instid0(VALU_DEP_1) | instskip(SKIP_1) | instid1(VALU_DEP_2)
	v_pk_fma_f32 v[18:19], v[0:1], v[172:173], v[12:13] op_sel_hi:[1,0,1]
	v_pk_fma_f32 v[0:1], v[0:1], v[172:173], v[12:13] neg_lo:[0,0,1] neg_hi:[0,0,1]
	v_dual_mov_b32 v173, v15 :: v_dual_mov_b32 v1, v19
	s_delay_alu instid0(VALU_DEP_1)
	v_pk_add_f32 v[176:177], v[176:177], v[0:1] neg_lo:[0,1] neg_hi:[0,1]
.LBB87_388:
	s_or_b32 exec_lo, exec_lo, s1
	s_delay_alu instid0(SALU_CYCLE_1)
	s_mov_b32 s2, exec_lo
	s_wait_dscnt 0x0
	s_barrier_signal -1
	s_barrier_wait -1
	v_cmpx_eq_u32_e32 43, v30
	s_cbranch_execz .LBB87_395
; %bb.389:
	v_cmp_neq_f32_e32 vcc_lo, 0, v176
	v_cmp_neq_f32_e64 s1, 0, v177
	ds_store_b64 v31, v[176:177]
	s_or_b32 s1, vcc_lo, s1
	s_delay_alu instid0(SALU_CYCLE_1)
	s_and_b32 exec_lo, exec_lo, s1
	s_cbranch_execz .LBB87_395
; %bb.390:
	v_cmp_ngt_f32_e64 s1, |v176|, |v177|
                                        ; implicit-def: $vgpr0_vgpr1
	s_and_saveexec_b32 s4, s1
	s_delay_alu instid0(SALU_CYCLE_1)
	s_xor_b32 s1, exec_lo, s4
	s_cbranch_execz .LBB87_392
; %bb.391:
	v_div_scale_f32 v0, null, v177, v177, v176
	v_div_scale_f32 v13, vcc_lo, v176, v177, v176
	s_delay_alu instid0(VALU_DEP_2) | instskip(SKIP_1) | instid1(TRANS32_DEP_1)
	v_rcp_f32_e32 v1, v0
	v_nop
	v_fma_f32 v12, -v0, v1, 1.0
	s_delay_alu instid0(VALU_DEP_1) | instskip(NEXT) | instid1(VALU_DEP_1)
	v_fmac_f32_e32 v1, v12, v1
	v_mul_f32_e32 v12, v13, v1
	s_delay_alu instid0(VALU_DEP_1) | instskip(NEXT) | instid1(VALU_DEP_1)
	v_fma_f32 v14, -v0, v12, v13
	v_fmac_f32_e32 v12, v14, v1
	s_delay_alu instid0(VALU_DEP_1) | instskip(NEXT) | instid1(VALU_DEP_1)
	v_fma_f32 v0, -v0, v12, v13
	v_div_fmas_f32 v0, v0, v1, v12
	s_delay_alu instid0(VALU_DEP_1) | instskip(NEXT) | instid1(VALU_DEP_1)
	v_div_fixup_f32 v0, v0, v177, v176
	v_fma_f32 v1, v176, v0, v177
	s_delay_alu instid0(VALU_DEP_1) | instskip(SKIP_1) | instid1(VALU_DEP_2)
	v_div_scale_f32 v12, null, v1, v1, 1.0
	v_div_scale_f32 v15, vcc_lo, 1.0, v1, 1.0
	v_rcp_f32_e32 v13, v12
	v_nop
	s_delay_alu instid0(TRANS32_DEP_1) | instskip(NEXT) | instid1(VALU_DEP_1)
	v_fma_f32 v14, -v12, v13, 1.0
	v_fmac_f32_e32 v13, v14, v13
	s_delay_alu instid0(VALU_DEP_1) | instskip(NEXT) | instid1(VALU_DEP_1)
	v_mul_f32_e32 v14, v15, v13
	v_fma_f32 v18, -v12, v14, v15
	s_delay_alu instid0(VALU_DEP_1) | instskip(NEXT) | instid1(VALU_DEP_1)
	v_fmac_f32_e32 v14, v18, v13
	v_fma_f32 v12, -v12, v14, v15
	s_delay_alu instid0(VALU_DEP_1) | instskip(NEXT) | instid1(VALU_DEP_1)
	v_div_fmas_f32 v12, v12, v13, v14
	v_div_fixup_f32 v1, v12, v1, 1.0
	s_delay_alu instid0(VALU_DEP_1)
	v_mul_f32_e32 v0, v0, v1
	v_xor_b32_e32 v1, 0x80000000, v1
.LBB87_392:
	s_and_not1_saveexec_b32 s1, s1
	s_cbranch_execz .LBB87_394
; %bb.393:
	v_div_scale_f32 v0, null, v176, v176, v177
	v_div_scale_f32 v13, vcc_lo, v177, v176, v177
	s_delay_alu instid0(VALU_DEP_2) | instskip(SKIP_1) | instid1(TRANS32_DEP_1)
	v_rcp_f32_e32 v1, v0
	v_nop
	v_fma_f32 v12, -v0, v1, 1.0
	s_delay_alu instid0(VALU_DEP_1) | instskip(NEXT) | instid1(VALU_DEP_1)
	v_fmac_f32_e32 v1, v12, v1
	v_mul_f32_e32 v12, v13, v1
	s_delay_alu instid0(VALU_DEP_1) | instskip(NEXT) | instid1(VALU_DEP_1)
	v_fma_f32 v14, -v0, v12, v13
	v_fmac_f32_e32 v12, v14, v1
	s_delay_alu instid0(VALU_DEP_1) | instskip(NEXT) | instid1(VALU_DEP_1)
	v_fma_f32 v0, -v0, v12, v13
	v_div_fmas_f32 v0, v0, v1, v12
	s_delay_alu instid0(VALU_DEP_1) | instskip(NEXT) | instid1(VALU_DEP_1)
	v_div_fixup_f32 v1, v0, v176, v177
	v_fma_f32 v0, v177, v1, v176
	s_delay_alu instid0(VALU_DEP_1) | instskip(NEXT) | instid1(VALU_DEP_1)
	v_div_scale_f32 v12, null, v0, v0, 1.0
	v_rcp_f32_e32 v13, v12
	v_nop
	s_delay_alu instid0(TRANS32_DEP_1) | instskip(NEXT) | instid1(VALU_DEP_1)
	v_fma_f32 v14, -v12, v13, 1.0
	v_fmac_f32_e32 v13, v14, v13
	v_div_scale_f32 v14, vcc_lo, 1.0, v0, 1.0
	s_delay_alu instid0(VALU_DEP_1) | instskip(NEXT) | instid1(VALU_DEP_1)
	v_mul_f32_e32 v15, v14, v13
	v_fma_f32 v18, -v12, v15, v14
	s_delay_alu instid0(VALU_DEP_1) | instskip(NEXT) | instid1(VALU_DEP_1)
	v_fmac_f32_e32 v15, v18, v13
	v_fma_f32 v12, -v12, v15, v14
	s_delay_alu instid0(VALU_DEP_1) | instskip(NEXT) | instid1(VALU_DEP_1)
	v_div_fmas_f32 v12, v12, v13, v15
	v_div_fixup_f32 v0, v12, v0, 1.0
	s_delay_alu instid0(VALU_DEP_1)
	v_mul_f32_e64 v1, v1, -v0
.LBB87_394:
	s_or_b32 exec_lo, exec_lo, s1
	ds_store_b64 v31, v[0:1]
.LBB87_395:
	s_or_b32 exec_lo, exec_lo, s2
	s_wait_dscnt 0x0
	s_barrier_signal -1
	s_barrier_wait -1
	ds_load_b64 v[0:1], v31
	s_wait_dscnt 0x0
	s_barrier_signal -1
	s_barrier_wait -1
	s_and_saveexec_b32 s2, s0
	s_cbranch_execz .LBB87_398
; %bb.396:
	v_cmp_eq_f32_e32 vcc_lo, 0, v178
	v_cmp_eq_f32_e64 s0, 0, v179
	s_and_b32 s1, vcc_lo, s0
	v_cmp_neq_f32_e32 vcc_lo, 0, v180
	v_cmp_neq_f32_e64 s0, 0, v181
	v_cndmask_b32_e64 v12, 0, 1, s1
	s_or_b32 s0, vcc_lo, s0
	s_delay_alu instid0(SALU_CYCLE_1) | instskip(SKIP_1) | instid1(VALU_DEP_2)
	s_or_b32 vcc_lo, s0, s1
	v_cmp_eq_f32_e64 s0, 0, v183
	v_cndmask_b32_e32 v12, 2, v12, vcc_lo
	v_cmp_eq_f32_e32 vcc_lo, 0, v182
	v_cmp_eq_f32_e64 s1, 0, v1
	s_and_b32 s0, vcc_lo, s0
	v_cmp_eq_u32_e32 vcc_lo, 0, v12
	s_and_b32 s0, s0, vcc_lo
	v_cmp_eq_f32_e32 vcc_lo, 0, v184
	v_cndmask_b32_e64 v12, v12, 3, s0
	v_cmp_eq_f32_e64 s0, 0, v185
	s_and_b32 s0, vcc_lo, s0
	v_cmp_eq_u32_e32 vcc_lo, 0, v12
	s_and_b32 s0, s0, vcc_lo
	v_cmp_eq_f32_e32 vcc_lo, 0, v186
	v_cndmask_b32_e64 v12, v12, 4, s0
	;; [unrolled: 6-line block ×40, first 2 shown]
	v_cmp_eq_f32_e64 s0, 0, v9
	s_and_b32 s0, vcc_lo, s0
	v_cmp_eq_u32_e32 vcc_lo, 0, v2
	s_and_b32 s0, s0, vcc_lo
	s_delay_alu instid0(SALU_CYCLE_1) | instskip(SKIP_1) | instid1(VALU_DEP_2)
	v_cndmask_b32_e64 v2, v2, 43, s0
	v_cmp_eq_f32_e64 s0, 0, v0
	v_cmp_eq_u32_e32 vcc_lo, 0, v2
	s_and_b32 s0, s0, s1
	s_delay_alu instid0(SALU_CYCLE_1) | instskip(NEXT) | instid1(SALU_CYCLE_1)
	s_and_b32 s0, s0, vcc_lo
	v_cndmask_b32_e64 v4, v2, 44, s0
	v_lshl_add_u64 v[2:3], v[174:175], 2, s[6:7]
	s_delay_alu instid0(VALU_DEP_2) | instskip(SKIP_4) | instid1(SALU_CYCLE_1)
	v_cmp_ne_u32_e64 s0, 0, v4
	global_load_b32 v5, v[2:3], off
	s_wait_loadcnt 0x0
	v_cmp_eq_u32_e32 vcc_lo, 0, v5
	s_and_b32 s0, vcc_lo, s0
	s_and_b32 exec_lo, exec_lo, s0
	s_cbranch_execz .LBB87_398
; %bb.397:
	v_add_nc_u32_e32 v4, s3, v4
	global_store_b32 v[2:3], v4, off
.LBB87_398:
	s_wait_xcnt 0x0
	s_or_b32 exec_lo, exec_lo, s2
	scratch_load_b64 v[4:5], off, off offset:64 th:TH_LOAD_LU ; 8-byte Folded Reload
	v_pk_mul_f32 v[2:3], v[0:1], v[176:177] op_sel:[1,1] op_sel_hi:[0,1]
	global_store_b64 v[16:17], v[90:91], off
	v_cmp_lt_u32_e32 vcc_lo, 43, v30
	s_wait_loadcnt 0x0
	global_store_b64 v[4:5], v[52:53], off
	s_wait_xcnt 0x0
	v_pk_fma_f32 v[4:5], v[0:1], v[176:177], v[2:3] op_sel_hi:[1,0,1]
	v_pk_fma_f32 v[0:1], v[0:1], v[176:177], v[2:3] neg_lo:[0,0,1] neg_hi:[0,0,1]
	scratch_load_b64 v[2:3], off, off offset:16 th:TH_LOAD_LU ; 8-byte Folded Reload
	v_dual_cndmask_b32 v1, v177, v5 :: v_dual_cndmask_b32 v0, v176, v0
	s_wait_loadcnt 0x0
	global_store_b64 v[2:3], v[48:49], off
	scratch_load_b64 v[2:3], off, off offset:24 th:TH_LOAD_LU ; 8-byte Folded Reload
	s_wait_loadcnt 0x0
	global_store_b64 v[2:3], v[78:79], off
	scratch_load_b64 v[2:3], off, off offset:32 th:TH_LOAD_LU ; 8-byte Folded Reload
	s_wait_loadcnt 0x0
	global_store_b64 v[2:3], v[50:51], off
	scratch_load_b64 v[2:3], off, off th:TH_LOAD_LU ; 8-byte Folded Reload
	s_wait_loadcnt 0x0
	global_store_b64 v[2:3], v[44:45], off
	scratch_load_b64 v[2:3], off, off offset:8 th:TH_LOAD_LU ; 8-byte Folded Reload
	s_wait_loadcnt 0x0
	s_clause 0x2
	global_store_b64 v[2:3], v[46:47], off
	global_store_b64 v[22:23], v[28:29], off
	;; [unrolled: 1-line block ×3, first 2 shown]
	scratch_load_b64 v[2:3], off, off offset:40 th:TH_LOAD_LU ; 8-byte Folded Reload
	s_wait_loadcnt 0x0
	global_store_b64 v[2:3], v[72:73], off
	scratch_load_b64 v[2:3], off, off offset:48 th:TH_LOAD_LU ; 8-byte Folded Reload
	s_wait_loadcnt 0x0
	s_clause 0x1
	global_store_b64 v[2:3], v[74:75], off
	global_store_b64 v[26:27], v[70:71], off
	scratch_load_b64 v[2:3], off, off offset:56 th:TH_LOAD_LU ; 8-byte Folded Reload
	s_wait_loadcnt 0x0
	s_clause 0x1
	global_store_b64 v[2:3], v[102:103], off
	;; [unrolled: 5-line block ×3, first 2 shown]
	global_store_b64 v[32:33], v[98:99], off
	global_store_b64 v[34:35], v[120:121], off
	;; [unrolled: 1-line block ×29, first 2 shown]
.LBB87_399:
	s_sendmsg sendmsg(MSG_DEALLOC_VGPRS)
	s_endpgm
	.section	.rodata,"a",@progbits
	.p2align	6, 0x0
	.amdhsa_kernel _ZN9rocsolver6v33100L23getf2_npvt_small_kernelILi44E19rocblas_complex_numIfEiiPS3_EEvT1_T3_lS5_lPT2_S5_S5_
		.amdhsa_group_segment_fixed_size 0
		.amdhsa_private_segment_fixed_size 92
		.amdhsa_kernarg_size 312
		.amdhsa_user_sgpr_count 2
		.amdhsa_user_sgpr_dispatch_ptr 0
		.amdhsa_user_sgpr_queue_ptr 0
		.amdhsa_user_sgpr_kernarg_segment_ptr 1
		.amdhsa_user_sgpr_dispatch_id 0
		.amdhsa_user_sgpr_kernarg_preload_length 0
		.amdhsa_user_sgpr_kernarg_preload_offset 0
		.amdhsa_user_sgpr_private_segment_size 0
		.amdhsa_wavefront_size32 1
		.amdhsa_uses_dynamic_stack 0
		.amdhsa_enable_private_segment 1
		.amdhsa_system_sgpr_workgroup_id_x 1
		.amdhsa_system_sgpr_workgroup_id_y 1
		.amdhsa_system_sgpr_workgroup_id_z 0
		.amdhsa_system_sgpr_workgroup_info 0
		.amdhsa_system_vgpr_workitem_id 1
		.amdhsa_next_free_vgpr 256
		.amdhsa_next_free_sgpr 15
		.amdhsa_named_barrier_count 0
		.amdhsa_reserve_vcc 1
		.amdhsa_float_round_mode_32 0
		.amdhsa_float_round_mode_16_64 0
		.amdhsa_float_denorm_mode_32 3
		.amdhsa_float_denorm_mode_16_64 3
		.amdhsa_fp16_overflow 0
		.amdhsa_memory_ordered 1
		.amdhsa_forward_progress 1
		.amdhsa_inst_pref_size 255
		.amdhsa_round_robin_scheduling 0
		.amdhsa_exception_fp_ieee_invalid_op 0
		.amdhsa_exception_fp_denorm_src 0
		.amdhsa_exception_fp_ieee_div_zero 0
		.amdhsa_exception_fp_ieee_overflow 0
		.amdhsa_exception_fp_ieee_underflow 0
		.amdhsa_exception_fp_ieee_inexact 0
		.amdhsa_exception_int_div_zero 0
	.end_amdhsa_kernel
	.section	.text._ZN9rocsolver6v33100L23getf2_npvt_small_kernelILi44E19rocblas_complex_numIfEiiPS3_EEvT1_T3_lS5_lPT2_S5_S5_,"axG",@progbits,_ZN9rocsolver6v33100L23getf2_npvt_small_kernelILi44E19rocblas_complex_numIfEiiPS3_EEvT1_T3_lS5_lPT2_S5_S5_,comdat
.Lfunc_end87:
	.size	_ZN9rocsolver6v33100L23getf2_npvt_small_kernelILi44E19rocblas_complex_numIfEiiPS3_EEvT1_T3_lS5_lPT2_S5_S5_, .Lfunc_end87-_ZN9rocsolver6v33100L23getf2_npvt_small_kernelILi44E19rocblas_complex_numIfEiiPS3_EEvT1_T3_lS5_lPT2_S5_S5_
                                        ; -- End function
	.set _ZN9rocsolver6v33100L23getf2_npvt_small_kernelILi44E19rocblas_complex_numIfEiiPS3_EEvT1_T3_lS5_lPT2_S5_S5_.num_vgpr, 256
	.set _ZN9rocsolver6v33100L23getf2_npvt_small_kernelILi44E19rocblas_complex_numIfEiiPS3_EEvT1_T3_lS5_lPT2_S5_S5_.num_agpr, 0
	.set _ZN9rocsolver6v33100L23getf2_npvt_small_kernelILi44E19rocblas_complex_numIfEiiPS3_EEvT1_T3_lS5_lPT2_S5_S5_.numbered_sgpr, 15
	.set _ZN9rocsolver6v33100L23getf2_npvt_small_kernelILi44E19rocblas_complex_numIfEiiPS3_EEvT1_T3_lS5_lPT2_S5_S5_.num_named_barrier, 0
	.set _ZN9rocsolver6v33100L23getf2_npvt_small_kernelILi44E19rocblas_complex_numIfEiiPS3_EEvT1_T3_lS5_lPT2_S5_S5_.private_seg_size, 92
	.set _ZN9rocsolver6v33100L23getf2_npvt_small_kernelILi44E19rocblas_complex_numIfEiiPS3_EEvT1_T3_lS5_lPT2_S5_S5_.uses_vcc, 1
	.set _ZN9rocsolver6v33100L23getf2_npvt_small_kernelILi44E19rocblas_complex_numIfEiiPS3_EEvT1_T3_lS5_lPT2_S5_S5_.uses_flat_scratch, 1
	.set _ZN9rocsolver6v33100L23getf2_npvt_small_kernelILi44E19rocblas_complex_numIfEiiPS3_EEvT1_T3_lS5_lPT2_S5_S5_.has_dyn_sized_stack, 0
	.set _ZN9rocsolver6v33100L23getf2_npvt_small_kernelILi44E19rocblas_complex_numIfEiiPS3_EEvT1_T3_lS5_lPT2_S5_S5_.has_recursion, 0
	.set _ZN9rocsolver6v33100L23getf2_npvt_small_kernelILi44E19rocblas_complex_numIfEiiPS3_EEvT1_T3_lS5_lPT2_S5_S5_.has_indirect_call, 0
	.section	.AMDGPU.csdata,"",@progbits
; Kernel info:
; codeLenInByte = 83820
; TotalNumSgprs: 17
; NumVgprs: 256
; ScratchSize: 92
; MemoryBound: 0
; FloatMode: 240
; IeeeMode: 1
; LDSByteSize: 0 bytes/workgroup (compile time only)
; SGPRBlocks: 0
; VGPRBlocks: 15
; NumSGPRsForWavesPerEU: 17
; NumVGPRsForWavesPerEU: 256
; NamedBarCnt: 0
; Occupancy: 4
; WaveLimiterHint : 0
; COMPUTE_PGM_RSRC2:SCRATCH_EN: 1
; COMPUTE_PGM_RSRC2:USER_SGPR: 2
; COMPUTE_PGM_RSRC2:TRAP_HANDLER: 0
; COMPUTE_PGM_RSRC2:TGID_X_EN: 1
; COMPUTE_PGM_RSRC2:TGID_Y_EN: 1
; COMPUTE_PGM_RSRC2:TGID_Z_EN: 0
; COMPUTE_PGM_RSRC2:TIDIG_COMP_CNT: 1
	.section	.text._ZN9rocsolver6v33100L18getf2_small_kernelILi45E19rocblas_complex_numIfEiiPS3_EEvT1_T3_lS5_lPS5_llPT2_S5_S5_S7_l,"axG",@progbits,_ZN9rocsolver6v33100L18getf2_small_kernelILi45E19rocblas_complex_numIfEiiPS3_EEvT1_T3_lS5_lPS5_llPT2_S5_S5_S7_l,comdat
	.globl	_ZN9rocsolver6v33100L18getf2_small_kernelILi45E19rocblas_complex_numIfEiiPS3_EEvT1_T3_lS5_lPS5_llPT2_S5_S5_S7_l ; -- Begin function _ZN9rocsolver6v33100L18getf2_small_kernelILi45E19rocblas_complex_numIfEiiPS3_EEvT1_T3_lS5_lPS5_llPT2_S5_S5_S7_l
	.p2align	8
	.type	_ZN9rocsolver6v33100L18getf2_small_kernelILi45E19rocblas_complex_numIfEiiPS3_EEvT1_T3_lS5_lPS5_llPT2_S5_S5_S7_l,@function
_ZN9rocsolver6v33100L18getf2_small_kernelILi45E19rocblas_complex_numIfEiiPS3_EEvT1_T3_lS5_lPS5_llPT2_S5_S5_S7_l: ; @_ZN9rocsolver6v33100L18getf2_small_kernelILi45E19rocblas_complex_numIfEiiPS3_EEvT1_T3_lS5_lPS5_llPT2_S5_S5_S7_l
; %bb.0:
	s_clause 0x1
	s_load_u16 s2, s[0:1], 0x6e
	s_load_b64 s[16:17], s[0:1], 0x48
	s_bfe_u32 s3, ttmp6, 0x40010
	s_bfe_u32 s4, ttmp6, 0x40004
	s_add_co_i32 s3, s3, 1
	s_getreg_b32 s5, hwreg(HW_REG_IB_STS2, 6, 4)
	s_mul_i32 s3, ttmp7, s3
	v_bfe_u32 v98, v0, 10, 10
	s_add_co_i32 s4, s4, s3
	s_cmp_eq_u32 s5, 0
	s_cselect_b32 s3, ttmp7, s4
	s_wait_kmcnt 0x0
	v_mad_u32 v2, s3, s2, v98
	s_mov_b32 s2, exec_lo
	s_delay_alu instid0(VALU_DEP_1)
	v_cmpx_gt_i32_e64 s16, v2
	s_cbranch_execz .LBB88_946
; %bb.1:
	s_load_b128 s[4:7], s[0:1], 0x50
	v_mov_b64_e32 v[4:5], 0
	v_ashrrev_i32_e32 v3, 31, v2
	s_wait_kmcnt 0x0
	s_cmp_eq_u64 s[4:5], 0
	s_cselect_b32 s16, -1, 0
	s_delay_alu instid0(SALU_CYCLE_1)
	s_and_b32 vcc_lo, exec_lo, s16
	s_cbranch_vccnz .LBB88_3
; %bb.2:
	v_mul_u64_e32 v[4:5], s[6:7], v[2:3]
	s_delay_alu instid0(VALU_DEP_1)
	v_lshl_add_u64 v[4:5], v[4:5], 2, s[4:5]
.LBB88_3:
	s_clause 0x2
	s_load_b32 s2, s[0:1], 0x18
	s_load_b128 s[12:15], s[0:1], 0x8
	s_load_b32 s18, s[0:1], 0x0
	v_and_b32_e32 v103, 0x3ff, v0
	s_load_b256 s[4:11], s[0:1], 0x20
	v_mov_b32_e32 v97, 0
	s_wait_kmcnt 0x0
	s_delay_alu instid0(VALU_DEP_2) | instskip(SKIP_2) | instid1(VALU_DEP_2)
	v_add3_u32 v6, s2, s2, v103
	s_ashr_i32 s3, s2, 31
	v_mul_u64_e32 v[0:1], s[4:5], v[2:3]
	v_add_nc_u32_e32 v8, s2, v6
	s_max_i32 s4, s18, 45
	s_cmp_lt_i32 s18, 2
	s_delay_alu instid0(VALU_DEP_1) | instskip(NEXT) | instid1(VALU_DEP_1)
	v_add_nc_u32_e32 v10, s2, v8
	v_add_nc_u32_e32 v12, s2, v10
	s_delay_alu instid0(VALU_DEP_1) | instskip(NEXT) | instid1(VALU_DEP_1)
	v_dual_add_nc_u32 v14, s2, v12 :: v_dual_ashrrev_i32 v7, 31, v6
	v_dual_ashrrev_i32 v9, 31, v8 :: v_dual_add_nc_u32 v16, s2, v14
	s_delay_alu instid0(VALU_DEP_1) | instskip(SKIP_1) | instid1(VALU_DEP_2)
	v_dual_add_nc_u32 v18, s2, v16 :: v_dual_ashrrev_i32 v11, 31, v10
	v_ashrrev_i32_e32 v13, 31, v12
	v_dual_ashrrev_i32 v17, 31, v16 :: v_dual_add_nc_u32 v20, s2, v18
	v_lshl_add_u64 v[0:1], v[0:1], 3, s[12:13]
	s_delay_alu instid0(VALU_DEP_2) | instskip(NEXT) | instid1(VALU_DEP_2)
	v_add_nc_u32_e32 v22, s2, v20
	v_lshl_add_u64 v[0:1], s[14:15], 3, v[0:1]
	s_delay_alu instid0(VALU_DEP_2) | instskip(NEXT) | instid1(VALU_DEP_2)
	v_add_nc_u32_e32 v28, s2, v22
	v_lshl_add_u64 v[10:11], v[10:11], 3, v[0:1]
	v_lshl_add_u64 v[12:13], v[12:13], 3, v[0:1]
	;; [unrolled: 1-line block ×4, first 2 shown]
	v_dual_add_nc_u32 v30, s2, v28 :: v_dual_ashrrev_i32 v19, 31, v18
	v_ashrrev_i32_e32 v21, 31, v20
	v_lshl_add_u64 v[16:17], v[16:17], 3, v[0:1]
	s_delay_alu instid0(VALU_DEP_3) | instskip(NEXT) | instid1(VALU_DEP_4)
	v_add_nc_u32_e32 v36, s2, v30
	v_lshl_add_u64 v[18:19], v[18:19], 3, v[0:1]
	s_delay_alu instid0(VALU_DEP_4) | instskip(SKIP_1) | instid1(VALU_DEP_4)
	v_lshl_add_u64 v[20:21], v[20:21], 3, v[0:1]
	v_ashrrev_i32_e32 v23, 31, v22
	v_dual_ashrrev_i32 v31, 31, v30 :: v_dual_add_nc_u32 v38, s2, v36
	v_ashrrev_i32_e32 v29, 31, v28
	s_delay_alu instid0(VALU_DEP_2) | instskip(SKIP_1) | instid1(VALU_DEP_2)
	v_dual_ashrrev_i32 v37, 31, v36 :: v_dual_add_nc_u32 v40, s2, v38
	v_dual_lshlrev_b32 v96, 3, v103 :: v_dual_ashrrev_i32 v39, 31, v38
	v_dual_ashrrev_i32 v41, 31, v40 :: v_dual_add_nc_u32 v46, s2, v40
	s_delay_alu instid0(VALU_DEP_2) | instskip(NEXT) | instid1(VALU_DEP_2)
	v_add_nc_u64_e32 v[42:43], v[0:1], v[96:97]
	v_add_nc_u32_e32 v48, s2, v46
	s_delay_alu instid0(VALU_DEP_1) | instskip(NEXT) | instid1(VALU_DEP_1)
	v_dual_ashrrev_i32 v15, 31, v14 :: v_dual_add_nc_u32 v54, s2, v48
	v_lshl_add_u64 v[14:15], v[14:15], 3, v[0:1]
	s_clause 0x3
	global_load_b64 v[34:35], v[10:11], off
	global_load_b64 v[26:27], v[12:13], off
	;; [unrolled: 1-line block ×4, first 2 shown]
	v_add_nc_u32_e32 v56, s2, v54
	s_wait_xcnt 0x3
	v_lshl_add_u64 v[10:11], s[2:3], 3, v[42:43]
	s_clause 0x3
	global_load_b64 v[88:89], v[6:7], off
	global_load_b64 v[86:87], v[8:9], off
	;; [unrolled: 1-line block ×4, first 2 shown]
	s_wait_xcnt 0x6
	v_lshl_add_u64 v[12:13], v[22:23], 3, v[0:1]
	v_add_nc_u32_e32 v58, s2, v56
	s_wait_xcnt 0x3
	v_lshl_add_u64 v[6:7], v[28:29], 3, v[0:1]
	s_clause 0x3
	global_load_b64 v[52:53], v[18:19], off
	global_load_b64 v[44:45], v[20:21], off
	;; [unrolled: 1-line block ×4, first 2 shown]
	s_wait_xcnt 0x4
	v_lshl_add_u64 v[10:11], v[30:31], 3, v[0:1]
	v_add_nc_u32_e32 v60, s2, v58
	s_wait_xcnt 0x3
	v_lshl_add_u64 v[18:19], v[38:39], 3, v[0:1]
	s_wait_xcnt 0x2
	v_lshl_add_u64 v[20:21], v[40:41], 3, v[0:1]
	v_lshl_add_u64 v[16:17], v[36:37], 3, v[0:1]
	s_clause 0x3
	global_load_b64 v[84:85], v[10:11], off
	global_load_b64 v[80:81], v[16:17], off
	;; [unrolled: 1-line block ×4, first 2 shown]
	v_add_nc_u32_e32 v14, s2, v60
	v_ashrrev_i32_e32 v49, 31, v48
	s_delay_alu instid0(VALU_DEP_2) | instskip(SKIP_1) | instid1(VALU_DEP_2)
	v_dual_ashrrev_i32 v57, 31, v56 :: v_dual_add_nc_u32 v8, s2, v14
	s_wait_xcnt 0x0
	v_lshl_add_u64 v[20:21], v[48:49], 3, v[0:1]
	v_ashrrev_i32_e32 v59, 31, v58
	s_delay_alu instid0(VALU_DEP_3) | instskip(SKIP_2) | instid1(VALU_DEP_2)
	v_lshl_add_u64 v[30:31], v[56:57], 3, v[0:1]
	v_add_nc_u32_e32 v6, s2, v8
	v_ashrrev_i32_e32 v61, 31, v60
	v_dual_ashrrev_i32 v9, 31, v8 :: v_dual_add_nc_u32 v12, s2, v6
	v_ashrrev_i32_e32 v47, 31, v46
	s_delay_alu instid0(VALU_DEP_2) | instskip(NEXT) | instid1(VALU_DEP_3)
	v_lshl_add_u64 v[8:9], v[8:9], 3, v[0:1]
	v_dual_ashrrev_i32 v7, 31, v6 :: v_dual_ashrrev_i32 v13, 31, v12
	v_add_nc_u32_e32 v22, s2, v12
	s_delay_alu instid0(VALU_DEP_4) | instskip(NEXT) | instid1(VALU_DEP_3)
	v_lshl_add_u64 v[16:17], v[46:47], 3, v[0:1]
	v_lshl_add_u64 v[6:7], v[6:7], 3, v[0:1]
	s_delay_alu instid0(VALU_DEP_4) | instskip(NEXT) | instid1(VALU_DEP_4)
	v_lshl_add_u64 v[12:13], v[12:13], 3, v[0:1]
	v_add_nc_u32_e32 v10, s2, v22
	s_delay_alu instid0(VALU_DEP_1) | instskip(NEXT) | instid1(VALU_DEP_1)
	v_add_nc_u32_e32 v18, s2, v10
	v_add_nc_u32_e32 v36, s2, v18
	v_ashrrev_i32_e32 v55, 31, v54
	s_delay_alu instid0(VALU_DEP_1)
	v_lshl_add_u64 v[28:29], v[54:55], 3, v[0:1]
	s_clause 0x3
	global_load_b64 v[76:77], v[16:17], off
	global_load_b64 v[72:73], v[20:21], off
	;; [unrolled: 1-line block ×4, first 2 shown]
	s_wait_xcnt 0x3
	v_add_nc_u32_e32 v16, s2, v36
	s_wait_xcnt 0x2
	v_lshl_add_u64 v[20:21], v[58:59], 3, v[0:1]
	s_wait_xcnt 0x0
	v_lshl_add_u64 v[30:31], v[60:61], 3, v[0:1]
	v_dual_ashrrev_i32 v11, 31, v10 :: v_dual_ashrrev_i32 v17, 31, v16
	v_dual_add_nc_u32 v28, s2, v16 :: v_dual_ashrrev_i32 v15, 31, v14
	v_ashrrev_i32_e32 v37, 31, v36
	s_delay_alu instid0(VALU_DEP_3) | instskip(NEXT) | instid1(VALU_DEP_3)
	v_lshl_add_u64 v[10:11], v[10:11], 3, v[0:1]
	v_dual_ashrrev_i32 v19, 31, v18 :: v_dual_ashrrev_i32 v29, 31, v28
	v_add_nc_u32_e32 v94, s2, v28
	v_lshl_add_u64 v[14:15], v[14:15], 3, v[0:1]
	s_clause 0x3
	global_load_b64 v[68:69], v[20:21], off
	global_load_b64 v[64:65], v[30:31], off
	;; [unrolled: 1-line block ×4, first 2 shown]
	s_wait_xcnt 0x0
	v_add_nc_u32_e32 v8, s2, v94
	v_ashrrev_i32_e32 v23, 31, v22
	v_lshl_add_u64 v[16:17], v[16:17], 3, v[0:1]
	s_delay_alu instid0(VALU_DEP_3) | instskip(NEXT) | instid1(VALU_DEP_3)
	v_add_nc_u32_e32 v14, s2, v8
	v_lshl_add_u64 v[20:21], v[22:23], 3, v[0:1]
	s_clause 0x3
	global_load_b64 v[60:61], v[6:7], off
	global_load_b64 v[56:57], v[12:13], off
	;; [unrolled: 1-line block ×4, first 2 shown]
	v_add_nc_u32_e32 v22, s2, v14
	s_wait_xcnt 0x0
	v_lshl_add_u64 v[10:11], v[18:19], 3, v[0:1]
	v_lshl_add_u64 v[18:19], v[36:37], 3, v[0:1]
	v_ashrrev_i32_e32 v9, 31, v8
	v_lshl_add_u64 v[20:21], v[28:29], 3, v[0:1]
	v_add_nc_u32_e32 v6, s2, v22
	s_clause 0x3
	global_load_b64 v[48:49], v[10:11], off
	global_load_b64 v[40:41], v[18:19], off
	;; [unrolled: 1-line block ×4, first 2 shown]
	v_lshl_add_u64 v[8:9], v[8:9], 3, v[0:1]
	v_add_nc_u32_e32 v12, s2, v6
	s_delay_alu instid0(VALU_DEP_1) | instskip(SKIP_1) | instid1(VALU_DEP_2)
	v_dual_ashrrev_i32 v15, 31, v14 :: v_dual_ashrrev_i32 v13, 31, v12
	v_dual_add_nc_u32 v36, s2, v12 :: v_dual_ashrrev_i32 v23, 31, v22
	v_lshl_add_u64 v[14:15], v[14:15], 3, v[0:1]
	s_delay_alu instid0(VALU_DEP_3) | instskip(SKIP_1) | instid1(VALU_DEP_3)
	v_lshl_add_u64 v[104:105], v[12:13], 3, v[0:1]
	s_wait_xcnt 0x3
	v_dual_add_nc_u32 v10, s2, v36 :: v_dual_ashrrev_i32 v37, 31, v36
	s_wait_xcnt 0x2
	s_delay_alu instid0(VALU_DEP_1) | instskip(NEXT) | instid1(VALU_DEP_2)
	v_dual_add_nc_u32 v18, s2, v10 :: v_dual_ashrrev_i32 v11, 31, v10
	v_lshl_add_u64 v[36:37], v[36:37], 3, v[0:1]
	s_delay_alu instid0(VALU_DEP_2) | instskip(SKIP_1) | instid1(VALU_DEP_4)
	v_dual_add_nc_u32 v100, s2, v18 :: v_dual_ashrrev_i32 v19, 31, v18
	v_ashrrev_i32_e32 v95, 31, v94
	v_lshl_add_u64 v[106:107], v[10:11], 3, v[0:1]
	s_delay_alu instid0(VALU_DEP_3) | instskip(SKIP_1) | instid1(VALU_DEP_3)
	v_ashrrev_i32_e32 v101, 31, v100
	s_wait_xcnt 0x1
	v_lshl_add_u64 v[16:17], v[94:95], 3, v[0:1]
	v_lshl_add_u64 v[94:95], v[22:23], 3, v[0:1]
	s_clause 0x3
	global_load_b64 v[30:31], v[16:17], off
	global_load_b64 v[22:23], v[8:9], off
	;; [unrolled: 1-line block ×4, first 2 shown]
	s_wait_xcnt 0x3
	v_dual_add_nc_u32 v16, s2, v100 :: v_dual_ashrrev_i32 v7, 31, v6
	v_lshl_add_u64 v[100:101], v[100:101], 3, v[0:1]
	s_wait_xcnt 0x0
	s_delay_alu instid0(VALU_DEP_2) | instskip(NEXT) | instid1(VALU_DEP_3)
	v_add_nc_u32_e32 v94, s2, v16
	v_lshl_add_u64 v[6:7], v[6:7], 3, v[0:1]
	v_ashrrev_i32_e32 v17, 31, v16
	s_clause 0x3
	global_load_b64 v[14:15], v[6:7], off
	global_load_b64 v[10:11], v[104:105], off
	;; [unrolled: 1-line block ×4, first 2 shown]
	v_dual_add_nc_u32 v108, s2, v94 :: v_dual_ashrrev_i32 v95, 31, v94
	s_wait_xcnt 0x2
	v_lshl_add_u64 v[104:105], v[18:19], 3, v[0:1]
	s_wait_xcnt 0x0
	v_lshl_add_u64 v[106:107], v[16:17], 3, v[0:1]
	v_ashrrev_i32_e32 v109, 31, v108
	v_lshl_add_u64 v[110:111], v[94:95], 3, v[0:1]
	s_delay_alu instid0(VALU_DEP_2)
	v_lshl_add_u64 v[108:109], v[108:109], 3, v[0:1]
	s_clause 0x4
	global_load_b64 v[6:7], v[104:105], off
	global_load_b64 v[36:37], v[100:101], off
	global_load_b64 v[18:19], v[106:107], off
	global_load_b64 v[16:17], v[110:111], off
	global_load_b64 v[94:95], v[108:109], off
	s_wait_xcnt 0x3
	v_mul_lo_u32 v101, s4, v98
	s_load_b64 s[4:5], s[0:1], 0x40
	s_delay_alu instid0(VALU_DEP_1) | instskip(NEXT) | instid1(VALU_DEP_1)
	v_lshl_add_u32 v100, v101, 3, 0
	v_dual_lshlrev_b32 v101, 3, v101 :: v_dual_add_nc_u32 v96, v100, v96
	s_wait_loadcnt 0x26
	ds_store_b64 v96, v[92:93]
	s_wait_loadcnt_dscnt 0x0
	s_barrier_signal -1
	s_barrier_wait -1
	ds_load_b64 v[98:99], v100
	s_cbranch_scc1 .LBB88_6
; %bb.4:
	v_add3_u32 v96, v101, 0, 8
	v_mov_b32_e32 v97, 0
	s_wait_xcnt 0x0
	s_mov_b32 s0, 1
.LBB88_5:                               ; =>This Inner Loop Header: Depth=1
	ds_load_b64 v[104:105], v96
	s_wait_dscnt 0x1
	v_cmp_gt_f32_e32 vcc_lo, 0, v98
	v_cndmask_b32_e64 v106, v98, -v98, vcc_lo
	v_cmp_gt_f32_e32 vcc_lo, 0, v99
	v_cndmask_b32_e64 v108, v99, -v99, vcc_lo
	s_wait_dscnt 0x0
	v_cmp_gt_f32_e32 vcc_lo, 0, v104
	v_cndmask_b32_e64 v107, v104, -v104, vcc_lo
	v_cmp_gt_f32_e32 vcc_lo, 0, v105
	v_cndmask_b32_e64 v109, v105, -v105, vcc_lo
	s_delay_alu instid0(VALU_DEP_1) | instskip(NEXT) | instid1(VALU_DEP_1)
	v_pk_add_f32 v[106:107], v[106:107], v[108:109]
	v_cmp_lt_f32_e32 vcc_lo, v106, v107
	v_dual_cndmask_b32 v99, v99, v105 :: v_dual_add_nc_u32 v96, 8, v96
	v_cndmask_b32_e32 v98, v98, v104, vcc_lo
	v_cndmask_b32_e64 v97, v97, s0, vcc_lo
	s_add_co_i32 s0, s0, 1
	s_delay_alu instid0(SALU_CYCLE_1)
	s_cmp_eq_u32 s18, s0
	s_cbranch_scc0 .LBB88_5
.LBB88_6:
	s_wait_dscnt 0x0
	v_cmp_neq_f32_e32 vcc_lo, 0, v98
	s_wait_xcnt 0x0
	v_cmp_neq_f32_e64 s0, 0, v99
	v_dual_mov_b32 v102, 1 :: v_dual_mov_b32 v105, 1
	s_or_b32 s1, vcc_lo, s0
	s_delay_alu instid0(SALU_CYCLE_1)
	s_and_saveexec_b32 s0, s1
	s_cbranch_execz .LBB88_12
; %bb.7:
	v_cmp_ngt_f32_e64 s1, |v98|, |v99|
	s_and_saveexec_b32 s12, s1
	s_delay_alu instid0(SALU_CYCLE_1)
	s_xor_b32 s1, exec_lo, s12
	s_cbranch_execz .LBB88_9
; %bb.8:
	v_div_scale_f32 v96, null, v99, v99, v98
	v_div_scale_f32 v105, vcc_lo, v98, v99, v98
	s_delay_alu instid0(VALU_DEP_2) | instskip(SKIP_1) | instid1(TRANS32_DEP_1)
	v_rcp_f32_e32 v102, v96
	v_nop
	v_fma_f32 v104, -v96, v102, 1.0
	s_delay_alu instid0(VALU_DEP_1) | instskip(NEXT) | instid1(VALU_DEP_1)
	v_fmac_f32_e32 v102, v104, v102
	v_mul_f32_e32 v104, v105, v102
	s_delay_alu instid0(VALU_DEP_1) | instskip(NEXT) | instid1(VALU_DEP_1)
	v_fma_f32 v106, -v96, v104, v105
	v_fmac_f32_e32 v104, v106, v102
	s_delay_alu instid0(VALU_DEP_1) | instskip(NEXT) | instid1(VALU_DEP_1)
	v_fma_f32 v96, -v96, v104, v105
	v_div_fmas_f32 v96, v96, v102, v104
	s_delay_alu instid0(VALU_DEP_1) | instskip(NEXT) | instid1(VALU_DEP_1)
	v_div_fixup_f32 v96, v96, v99, v98
	v_fmac_f32_e32 v99, v98, v96
	s_delay_alu instid0(VALU_DEP_1) | instskip(SKIP_1) | instid1(VALU_DEP_2)
	v_div_scale_f32 v98, null, v99, v99, 1.0
	v_div_scale_f32 v105, vcc_lo, 1.0, v99, 1.0
	v_rcp_f32_e32 v102, v98
	v_nop
	s_delay_alu instid0(TRANS32_DEP_1) | instskip(NEXT) | instid1(VALU_DEP_1)
	v_fma_f32 v104, -v98, v102, 1.0
	v_fmac_f32_e32 v102, v104, v102
	s_delay_alu instid0(VALU_DEP_1) | instskip(NEXT) | instid1(VALU_DEP_1)
	v_mul_f32_e32 v104, v105, v102
	v_fma_f32 v106, -v98, v104, v105
	s_delay_alu instid0(VALU_DEP_1) | instskip(NEXT) | instid1(VALU_DEP_1)
	v_fmac_f32_e32 v104, v106, v102
	v_fma_f32 v98, -v98, v104, v105
	s_delay_alu instid0(VALU_DEP_1) | instskip(NEXT) | instid1(VALU_DEP_1)
	v_div_fmas_f32 v98, v98, v102, v104
	v_div_fixup_f32 v99, v98, v99, 1.0
	s_delay_alu instid0(VALU_DEP_1)
	v_mul_f32_e32 v98, v96, v99
	v_xor_b32_e32 v99, 0x80000000, v99
.LBB88_9:
	s_and_not1_saveexec_b32 s1, s1
	s_cbranch_execz .LBB88_11
; %bb.10:
	s_delay_alu instid0(VALU_DEP_1) | instskip(SKIP_1) | instid1(VALU_DEP_2)
	v_div_scale_f32 v96, null, v98, v98, v99
	v_div_scale_f32 v105, vcc_lo, v99, v98, v99
	v_rcp_f32_e32 v102, v96
	v_nop
	s_delay_alu instid0(TRANS32_DEP_1) | instskip(NEXT) | instid1(VALU_DEP_1)
	v_fma_f32 v104, -v96, v102, 1.0
	v_fmac_f32_e32 v102, v104, v102
	s_delay_alu instid0(VALU_DEP_1) | instskip(NEXT) | instid1(VALU_DEP_1)
	v_mul_f32_e32 v104, v105, v102
	v_fma_f32 v106, -v96, v104, v105
	s_delay_alu instid0(VALU_DEP_1) | instskip(NEXT) | instid1(VALU_DEP_1)
	v_fmac_f32_e32 v104, v106, v102
	v_fma_f32 v96, -v96, v104, v105
	s_delay_alu instid0(VALU_DEP_1) | instskip(NEXT) | instid1(VALU_DEP_1)
	v_div_fmas_f32 v96, v96, v102, v104
	v_div_fixup_f32 v96, v96, v98, v99
	s_delay_alu instid0(VALU_DEP_1) | instskip(NEXT) | instid1(VALU_DEP_1)
	v_fmac_f32_e32 v98, v99, v96
	v_div_scale_f32 v99, null, v98, v98, 1.0
	s_delay_alu instid0(VALU_DEP_1) | instskip(SKIP_1) | instid1(TRANS32_DEP_1)
	v_rcp_f32_e32 v102, v99
	v_nop
	v_fma_f32 v104, -v99, v102, 1.0
	s_delay_alu instid0(VALU_DEP_1) | instskip(SKIP_1) | instid1(VALU_DEP_1)
	v_fmac_f32_e32 v102, v104, v102
	v_div_scale_f32 v104, vcc_lo, 1.0, v98, 1.0
	v_mul_f32_e32 v105, v104, v102
	s_delay_alu instid0(VALU_DEP_1) | instskip(NEXT) | instid1(VALU_DEP_1)
	v_fma_f32 v106, -v99, v105, v104
	v_fmac_f32_e32 v105, v106, v102
	s_delay_alu instid0(VALU_DEP_1) | instskip(NEXT) | instid1(VALU_DEP_1)
	v_fma_f32 v99, -v99, v105, v104
	v_div_fmas_f32 v99, v99, v102, v105
	s_delay_alu instid0(VALU_DEP_1) | instskip(NEXT) | instid1(VALU_DEP_1)
	v_div_fixup_f32 v98, v99, v98, 1.0
	v_mul_f32_e64 v99, v96, -v98
.LBB88_11:
	s_or_b32 exec_lo, exec_lo, s1
	v_dual_mov_b32 v105, 0 :: v_dual_mov_b32 v102, 2
.LBB88_12:
	s_or_b32 exec_lo, exec_lo, s0
	s_delay_alu instid0(SALU_CYCLE_1)
	s_mov_b32 s0, exec_lo
	v_cmpx_ne_u32_e64 v103, v97
	s_xor_b32 s0, exec_lo, s0
	s_cbranch_execz .LBB88_18
; %bb.13:
	s_mov_b32 s1, exec_lo
	v_cmpx_eq_u32_e32 0, v103
	s_cbranch_execz .LBB88_17
; %bb.14:
	v_cmp_ne_u32_e32 vcc_lo, 0, v97
	s_xor_b32 s12, s16, -1
	s_delay_alu instid0(SALU_CYCLE_1) | instskip(NEXT) | instid1(SALU_CYCLE_1)
	s_and_b32 s13, s12, vcc_lo
	s_and_saveexec_b32 s12, s13
	s_cbranch_execz .LBB88_16
; %bb.15:
	v_dual_mov_b32 v106, v97 :: v_dual_ashrrev_i32 v107, 31, v97
	s_delay_alu instid0(VALU_DEP_1)
	v_lshl_add_u64 v[106:107], v[106:107], 2, v[4:5]
	s_clause 0x1
	global_load_b32 v96, v[106:107], off
	global_load_b32 v103, v[4:5], off
	s_wait_loadcnt 0x1
	global_store_b32 v[4:5], v96, off
	s_wait_loadcnt 0x0
	global_store_b32 v[106:107], v103, off
.LBB88_16:
	s_wait_xcnt 0x0
	s_or_b32 exec_lo, exec_lo, s12
	v_mov_b32_e32 v103, v97
.LBB88_17:
	s_or_b32 exec_lo, exec_lo, s1
.LBB88_18:
	s_or_saveexec_b32 s0, s0
	s_delay_alu instid0(VALU_DEP_1)
	v_mov_b32_e32 v104, v103
	s_xor_b32 exec_lo, exec_lo, s0
	s_cbranch_execz .LBB88_20
; %bb.19:
	v_mov_b32_e32 v104, 0
	ds_store_2addr_b64 v100, v[90:91], v[88:89] offset0:1 offset1:2
	ds_store_2addr_b64 v100, v[86:87], v[34:35] offset0:3 offset1:4
	;; [unrolled: 1-line block ×22, first 2 shown]
.LBB88_20:
	s_or_b32 exec_lo, exec_lo, s0
	s_delay_alu instid0(SALU_CYCLE_1)
	s_mov_b32 s0, exec_lo
	s_wait_storecnt_dscnt 0x0
	s_barrier_signal -1
	s_barrier_wait -1
	v_cmpx_lt_i32_e32 0, v104
	s_cbranch_execz .LBB88_22
; %bb.21:
	v_pk_mul_f32 v[106:107], v[98:99], v[92:93] op_sel:[1,1] op_sel_hi:[0,1]
	s_delay_alu instid0(VALU_DEP_1)
	v_pk_fma_f32 v[96:97], v[98:99], v[92:93], v[106:107] op_sel_hi:[1,0,1] neg_lo:[0,0,1] neg_hi:[0,0,1]
	v_pk_fma_f32 v[98:99], v[98:99], v[92:93], v[106:107] op_sel_hi:[1,0,1]
	ds_load_2addr_b64 v[106:109], v100 offset0:1 offset1:2
	v_dual_mov_b32 v92, v96 :: v_dual_mov_b32 v93, v99
	s_wait_dscnt 0x0
	v_pk_mul_f32 v[110:111], v[106:107], v[98:99] op_sel:[0,1]
	s_delay_alu instid0(VALU_DEP_1) | instskip(SKIP_1) | instid1(VALU_DEP_1)
	v_pk_fma_f32 v[112:113], v[106:107], v[96:97], v[110:111] op_sel:[0,0,1] op_sel_hi:[1,1,0] neg_lo:[0,0,1] neg_hi:[0,0,1]
	v_pk_fma_f32 v[106:107], v[106:107], v[96:97], v[110:111] op_sel:[0,0,1] op_sel_hi:[1,0,0]
	v_mov_b32_e32 v113, v107
	v_pk_mul_f32 v[106:107], v[108:109], v[98:99] op_sel:[0,1]
	s_delay_alu instid0(VALU_DEP_1) | instskip(SKIP_1) | instid1(VALU_DEP_1)
	v_pk_fma_f32 v[110:111], v[108:109], v[96:97], v[106:107] op_sel:[0,0,1] op_sel_hi:[1,1,0] neg_lo:[0,0,1] neg_hi:[0,0,1]
	v_pk_fma_f32 v[106:107], v[108:109], v[96:97], v[106:107] op_sel:[0,0,1] op_sel_hi:[1,0,0]
	v_mov_b32_e32 v111, v107
	ds_load_2addr_b64 v[106:109], v100 offset0:3 offset1:4
	v_pk_add_f32 v[90:91], v[90:91], v[112:113] neg_lo:[0,1] neg_hi:[0,1]
	v_pk_add_f32 v[88:89], v[88:89], v[110:111] neg_lo:[0,1] neg_hi:[0,1]
	s_wait_dscnt 0x0
	v_pk_mul_f32 v[110:111], v[106:107], v[98:99] op_sel:[0,1]
	s_delay_alu instid0(VALU_DEP_1) | instskip(SKIP_2) | instid1(VALU_DEP_2)
	v_pk_fma_f32 v[112:113], v[106:107], v[96:97], v[110:111] op_sel:[0,0,1] op_sel_hi:[1,1,0] neg_lo:[0,0,1] neg_hi:[0,0,1]
	v_pk_fma_f32 v[106:107], v[106:107], v[96:97], v[110:111] op_sel:[0,0,1] op_sel_hi:[1,0,0]
	v_dual_mul_f32 v110, v109, v99 :: v_dual_mov_b32 v106, v109
	v_dual_mov_b32 v113, v107 :: v_dual_mov_b32 v107, v108
	s_delay_alu instid0(VALU_DEP_2) | instskip(SKIP_1) | instid1(VALU_DEP_3)
	v_pk_fma_f32 v[110:111], v[108:109], v[92:93], v[110:111] op_sel_hi:[1,1,0] neg_lo:[0,0,1] neg_hi:[0,0,1]
	v_mul_f32_e32 v108, v109, v96
	v_pk_add_f32 v[86:87], v[86:87], v[112:113] neg_lo:[0,1] neg_hi:[0,1]
	s_delay_alu instid0(VALU_DEP_2) | instskip(NEXT) | instid1(VALU_DEP_1)
	v_pk_fma_f32 v[106:107], v[106:107], v[92:93], v[108:109] op_sel_hi:[1,1,0]
	v_mov_b32_e32 v111, v107
	ds_load_2addr_b64 v[106:109], v100 offset0:5 offset1:6
	v_pk_add_f32 v[34:35], v[34:35], v[110:111] neg_lo:[0,1] neg_hi:[0,1]
	s_wait_dscnt 0x0
	v_pk_mul_f32 v[110:111], v[106:107], v[98:99] op_sel:[0,1]
	s_delay_alu instid0(VALU_DEP_1) | instskip(SKIP_1) | instid1(VALU_DEP_1)
	v_pk_fma_f32 v[112:113], v[106:107], v[96:97], v[110:111] op_sel:[0,0,1] op_sel_hi:[1,1,0] neg_lo:[0,0,1] neg_hi:[0,0,1]
	v_pk_fma_f32 v[106:107], v[106:107], v[96:97], v[110:111] op_sel:[0,0,1] op_sel_hi:[1,0,0]
	v_mov_b32_e32 v113, v107
	v_pk_mul_f32 v[106:107], v[108:109], v[98:99] op_sel:[0,1]
	s_delay_alu instid0(VALU_DEP_1) | instskip(SKIP_1) | instid1(VALU_DEP_1)
	v_pk_fma_f32 v[110:111], v[108:109], v[96:97], v[106:107] op_sel:[0,0,1] op_sel_hi:[1,1,0] neg_lo:[0,0,1] neg_hi:[0,0,1]
	v_pk_fma_f32 v[106:107], v[108:109], v[96:97], v[106:107] op_sel:[0,0,1] op_sel_hi:[1,0,0]
	v_mov_b32_e32 v111, v107
	ds_load_2addr_b64 v[106:109], v100 offset0:7 offset1:8
	v_pk_add_f32 v[26:27], v[26:27], v[112:113] neg_lo:[0,1] neg_hi:[0,1]
	v_pk_add_f32 v[32:33], v[32:33], v[110:111] neg_lo:[0,1] neg_hi:[0,1]
	s_wait_dscnt 0x0
	v_pk_mul_f32 v[110:111], v[106:107], v[98:99] op_sel:[0,1]
	s_delay_alu instid0(VALU_DEP_1) | instskip(SKIP_1) | instid1(VALU_DEP_1)
	v_pk_fma_f32 v[112:113], v[106:107], v[96:97], v[110:111] op_sel:[0,0,1] op_sel_hi:[1,1,0] neg_lo:[0,0,1] neg_hi:[0,0,1]
	v_pk_fma_f32 v[106:107], v[106:107], v[96:97], v[110:111] op_sel:[0,0,1] op_sel_hi:[1,0,0]
	v_mov_b32_e32 v113, v107
	v_pk_mul_f32 v[106:107], v[108:109], v[98:99] op_sel:[0,1]
	s_delay_alu instid0(VALU_DEP_1) | instskip(SKIP_1) | instid1(VALU_DEP_1)
	v_pk_fma_f32 v[110:111], v[108:109], v[96:97], v[106:107] op_sel:[0,0,1] op_sel_hi:[1,1,0] neg_lo:[0,0,1] neg_hi:[0,0,1]
	v_pk_fma_f32 v[106:107], v[108:109], v[96:97], v[106:107] op_sel:[0,0,1] op_sel_hi:[1,0,0]
	v_mov_b32_e32 v111, v107
	ds_load_2addr_b64 v[106:109], v100 offset0:9 offset1:10
	v_pk_add_f32 v[24:25], v[24:25], v[112:113] neg_lo:[0,1] neg_hi:[0,1]
	v_pk_add_f32 v[52:53], v[52:53], v[110:111] neg_lo:[0,1] neg_hi:[0,1]
	s_wait_dscnt 0x0
	v_dual_mul_f32 v110, v107, v99 :: v_dual_mul_f32 v112, v107, v96
	s_delay_alu instid0(VALU_DEP_1) | instskip(NEXT) | instid1(VALU_DEP_2)
	v_pk_fma_f32 v[110:111], v[106:107], v[92:93], v[110:111] op_sel_hi:[1,1,0] neg_lo:[0,0,1] neg_hi:[0,0,1]
	v_pk_fma_f32 v[106:107], v[106:107], v[92:93], v[112:113] op_sel:[1,0,0] op_sel_hi:[0,1,0]
	s_delay_alu instid0(VALU_DEP_1) | instskip(SKIP_1) | instid1(VALU_DEP_2)
	v_mov_b32_e32 v111, v107
	v_pk_mul_f32 v[106:107], v[108:109], v[98:99] op_sel:[0,1]
	v_pk_add_f32 v[44:45], v[44:45], v[110:111] neg_lo:[0,1] neg_hi:[0,1]
	s_delay_alu instid0(VALU_DEP_2) | instskip(SKIP_1) | instid1(VALU_DEP_1)
	v_pk_fma_f32 v[110:111], v[108:109], v[96:97], v[106:107] op_sel:[0,0,1] op_sel_hi:[1,1,0] neg_lo:[0,0,1] neg_hi:[0,0,1]
	v_pk_fma_f32 v[106:107], v[108:109], v[96:97], v[106:107] op_sel:[0,0,1] op_sel_hi:[1,0,0]
	v_mov_b32_e32 v111, v107
	ds_load_2addr_b64 v[106:109], v100 offset0:11 offset1:12
	v_pk_add_f32 v[50:51], v[50:51], v[110:111] neg_lo:[0,1] neg_hi:[0,1]
	s_wait_dscnt 0x0
	v_pk_mul_f32 v[110:111], v[106:107], v[98:99] op_sel:[0,1]
	s_delay_alu instid0(VALU_DEP_1) | instskip(SKIP_1) | instid1(VALU_DEP_1)
	v_pk_fma_f32 v[112:113], v[106:107], v[96:97], v[110:111] op_sel:[0,0,1] op_sel_hi:[1,1,0] neg_lo:[0,0,1] neg_hi:[0,0,1]
	v_pk_fma_f32 v[106:107], v[106:107], v[96:97], v[110:111] op_sel:[0,0,1] op_sel_hi:[1,0,0]
	v_mov_b32_e32 v113, v107
	v_pk_mul_f32 v[106:107], v[108:109], v[98:99] op_sel:[0,1]
	s_delay_alu instid0(VALU_DEP_2) | instskip(NEXT) | instid1(VALU_DEP_2)
	v_pk_add_f32 v[42:43], v[42:43], v[112:113] neg_lo:[0,1] neg_hi:[0,1]
	v_pk_fma_f32 v[110:111], v[108:109], v[96:97], v[106:107] op_sel:[0,0,1] op_sel_hi:[1,1,0] neg_lo:[0,0,1] neg_hi:[0,0,1]
	v_pk_fma_f32 v[106:107], v[108:109], v[96:97], v[106:107] op_sel:[0,0,1] op_sel_hi:[1,0,0]
	s_delay_alu instid0(VALU_DEP_1) | instskip(SKIP_4) | instid1(VALU_DEP_1)
	v_mov_b32_e32 v111, v107
	ds_load_2addr_b64 v[106:109], v100 offset0:13 offset1:14
	v_pk_add_f32 v[84:85], v[84:85], v[110:111] neg_lo:[0,1] neg_hi:[0,1]
	s_wait_dscnt 0x0
	v_pk_mul_f32 v[110:111], v[106:107], v[98:99] op_sel:[0,1]
	v_pk_fma_f32 v[112:113], v[106:107], v[96:97], v[110:111] op_sel:[0,0,1] op_sel_hi:[1,1,0] neg_lo:[0,0,1] neg_hi:[0,0,1]
	v_pk_fma_f32 v[106:107], v[106:107], v[96:97], v[110:111] op_sel:[0,0,1] op_sel_hi:[1,0,0]
	v_dual_mul_f32 v110, v109, v99 :: v_dual_mov_b32 v106, v109
	s_delay_alu instid0(VALU_DEP_2) | instskip(NEXT) | instid1(VALU_DEP_2)
	v_dual_mov_b32 v113, v107 :: v_dual_mov_b32 v107, v108
	v_pk_fma_f32 v[110:111], v[108:109], v[92:93], v[110:111] op_sel_hi:[1,1,0] neg_lo:[0,0,1] neg_hi:[0,0,1]
	v_mul_f32_e32 v108, v109, v96
	s_delay_alu instid0(VALU_DEP_3) | instskip(NEXT) | instid1(VALU_DEP_2)
	v_pk_add_f32 v[80:81], v[80:81], v[112:113] neg_lo:[0,1] neg_hi:[0,1]
	v_pk_fma_f32 v[106:107], v[106:107], v[92:93], v[108:109] op_sel_hi:[1,1,0]
	s_delay_alu instid0(VALU_DEP_1) | instskip(SKIP_4) | instid1(VALU_DEP_1)
	v_mov_b32_e32 v111, v107
	ds_load_2addr_b64 v[106:109], v100 offset0:15 offset1:16
	v_pk_add_f32 v[82:83], v[82:83], v[110:111] neg_lo:[0,1] neg_hi:[0,1]
	s_wait_dscnt 0x0
	v_pk_mul_f32 v[110:111], v[106:107], v[98:99] op_sel:[0,1]
	v_pk_fma_f32 v[112:113], v[106:107], v[96:97], v[110:111] op_sel:[0,0,1] op_sel_hi:[1,1,0] neg_lo:[0,0,1] neg_hi:[0,0,1]
	v_pk_fma_f32 v[106:107], v[106:107], v[96:97], v[110:111] op_sel:[0,0,1] op_sel_hi:[1,0,0]
	s_delay_alu instid0(VALU_DEP_1) | instskip(SKIP_1) | instid1(VALU_DEP_1)
	v_mov_b32_e32 v113, v107
	v_pk_mul_f32 v[106:107], v[108:109], v[98:99] op_sel:[0,1]
	v_pk_fma_f32 v[110:111], v[108:109], v[96:97], v[106:107] op_sel:[0,0,1] op_sel_hi:[1,1,0] neg_lo:[0,0,1] neg_hi:[0,0,1]
	v_pk_fma_f32 v[106:107], v[108:109], v[96:97], v[106:107] op_sel:[0,0,1] op_sel_hi:[1,0,0]
	s_delay_alu instid0(VALU_DEP_1)
	v_mov_b32_e32 v111, v107
	ds_load_2addr_b64 v[106:109], v100 offset0:17 offset1:18
	v_pk_add_f32 v[78:79], v[78:79], v[112:113] neg_lo:[0,1] neg_hi:[0,1]
	v_pk_add_f32 v[76:77], v[76:77], v[110:111] neg_lo:[0,1] neg_hi:[0,1]
	s_wait_dscnt 0x0
	v_pk_mul_f32 v[110:111], v[106:107], v[98:99] op_sel:[0,1]
	s_delay_alu instid0(VALU_DEP_1) | instskip(SKIP_1) | instid1(VALU_DEP_1)
	v_pk_fma_f32 v[112:113], v[106:107], v[96:97], v[110:111] op_sel:[0,0,1] op_sel_hi:[1,1,0] neg_lo:[0,0,1] neg_hi:[0,0,1]
	v_pk_fma_f32 v[106:107], v[106:107], v[96:97], v[110:111] op_sel:[0,0,1] op_sel_hi:[1,0,0]
	v_mov_b32_e32 v113, v107
	v_pk_mul_f32 v[106:107], v[108:109], v[98:99] op_sel:[0,1]
	s_delay_alu instid0(VALU_DEP_1) | instskip(SKIP_1) | instid1(VALU_DEP_1)
	v_pk_fma_f32 v[110:111], v[108:109], v[96:97], v[106:107] op_sel:[0,0,1] op_sel_hi:[1,1,0] neg_lo:[0,0,1] neg_hi:[0,0,1]
	v_pk_fma_f32 v[106:107], v[108:109], v[96:97], v[106:107] op_sel:[0,0,1] op_sel_hi:[1,0,0]
	v_mov_b32_e32 v111, v107
	ds_load_2addr_b64 v[106:109], v100 offset0:19 offset1:20
	v_pk_add_f32 v[72:73], v[72:73], v[112:113] neg_lo:[0,1] neg_hi:[0,1]
	v_pk_add_f32 v[74:75], v[74:75], v[110:111] neg_lo:[0,1] neg_hi:[0,1]
	s_wait_dscnt 0x0
	v_dual_mul_f32 v110, v107, v99 :: v_dual_mul_f32 v112, v107, v96
	s_delay_alu instid0(VALU_DEP_1) | instskip(NEXT) | instid1(VALU_DEP_2)
	v_pk_fma_f32 v[110:111], v[106:107], v[92:93], v[110:111] op_sel_hi:[1,1,0] neg_lo:[0,0,1] neg_hi:[0,0,1]
	v_pk_fma_f32 v[106:107], v[106:107], v[92:93], v[112:113] op_sel:[1,0,0] op_sel_hi:[0,1,0]
	s_delay_alu instid0(VALU_DEP_1) | instskip(SKIP_1) | instid1(VALU_DEP_2)
	v_mov_b32_e32 v111, v107
	v_pk_mul_f32 v[106:107], v[108:109], v[98:99] op_sel:[0,1]
	v_pk_add_f32 v[70:71], v[70:71], v[110:111] neg_lo:[0,1] neg_hi:[0,1]
	s_delay_alu instid0(VALU_DEP_2) | instskip(SKIP_1) | instid1(VALU_DEP_1)
	v_pk_fma_f32 v[110:111], v[108:109], v[96:97], v[106:107] op_sel:[0,0,1] op_sel_hi:[1,1,0] neg_lo:[0,0,1] neg_hi:[0,0,1]
	v_pk_fma_f32 v[106:107], v[108:109], v[96:97], v[106:107] op_sel:[0,0,1] op_sel_hi:[1,0,0]
	v_mov_b32_e32 v111, v107
	ds_load_2addr_b64 v[106:109], v100 offset0:21 offset1:22
	v_pk_add_f32 v[68:69], v[68:69], v[110:111] neg_lo:[0,1] neg_hi:[0,1]
	s_wait_dscnt 0x0
	v_pk_mul_f32 v[110:111], v[106:107], v[98:99] op_sel:[0,1]
	s_delay_alu instid0(VALU_DEP_1) | instskip(SKIP_1) | instid1(VALU_DEP_1)
	v_pk_fma_f32 v[112:113], v[106:107], v[96:97], v[110:111] op_sel:[0,0,1] op_sel_hi:[1,1,0] neg_lo:[0,0,1] neg_hi:[0,0,1]
	v_pk_fma_f32 v[106:107], v[106:107], v[96:97], v[110:111] op_sel:[0,0,1] op_sel_hi:[1,0,0]
	v_mov_b32_e32 v113, v107
	v_pk_mul_f32 v[106:107], v[108:109], v[98:99] op_sel:[0,1]
	s_delay_alu instid0(VALU_DEP_2) | instskip(NEXT) | instid1(VALU_DEP_2)
	v_pk_add_f32 v[64:65], v[64:65], v[112:113] neg_lo:[0,1] neg_hi:[0,1]
	v_pk_fma_f32 v[110:111], v[108:109], v[96:97], v[106:107] op_sel:[0,0,1] op_sel_hi:[1,1,0] neg_lo:[0,0,1] neg_hi:[0,0,1]
	v_pk_fma_f32 v[106:107], v[108:109], v[96:97], v[106:107] op_sel:[0,0,1] op_sel_hi:[1,0,0]
	s_delay_alu instid0(VALU_DEP_1) | instskip(SKIP_4) | instid1(VALU_DEP_1)
	v_mov_b32_e32 v111, v107
	ds_load_2addr_b64 v[106:109], v100 offset0:23 offset1:24
	v_pk_add_f32 v[66:67], v[66:67], v[110:111] neg_lo:[0,1] neg_hi:[0,1]
	s_wait_dscnt 0x0
	v_pk_mul_f32 v[110:111], v[106:107], v[98:99] op_sel:[0,1]
	v_pk_fma_f32 v[112:113], v[106:107], v[96:97], v[110:111] op_sel:[0,0,1] op_sel_hi:[1,1,0] neg_lo:[0,0,1] neg_hi:[0,0,1]
	v_pk_fma_f32 v[106:107], v[106:107], v[96:97], v[110:111] op_sel:[0,0,1] op_sel_hi:[1,0,0]
	v_dual_mul_f32 v110, v109, v99 :: v_dual_mov_b32 v106, v109
	s_delay_alu instid0(VALU_DEP_2) | instskip(NEXT) | instid1(VALU_DEP_2)
	v_dual_mov_b32 v113, v107 :: v_dual_mov_b32 v107, v108
	v_pk_fma_f32 v[110:111], v[108:109], v[92:93], v[110:111] op_sel_hi:[1,1,0] neg_lo:[0,0,1] neg_hi:[0,0,1]
	v_mul_f32_e32 v108, v109, v96
	s_delay_alu instid0(VALU_DEP_3) | instskip(NEXT) | instid1(VALU_DEP_2)
	v_pk_add_f32 v[62:63], v[62:63], v[112:113] neg_lo:[0,1] neg_hi:[0,1]
	v_pk_fma_f32 v[106:107], v[106:107], v[92:93], v[108:109] op_sel_hi:[1,1,0]
	s_delay_alu instid0(VALU_DEP_1) | instskip(SKIP_4) | instid1(VALU_DEP_1)
	v_mov_b32_e32 v111, v107
	ds_load_2addr_b64 v[106:109], v100 offset0:25 offset1:26
	v_pk_add_f32 v[60:61], v[60:61], v[110:111] neg_lo:[0,1] neg_hi:[0,1]
	s_wait_dscnt 0x0
	v_pk_mul_f32 v[110:111], v[106:107], v[98:99] op_sel:[0,1]
	v_pk_fma_f32 v[112:113], v[106:107], v[96:97], v[110:111] op_sel:[0,0,1] op_sel_hi:[1,1,0] neg_lo:[0,0,1] neg_hi:[0,0,1]
	v_pk_fma_f32 v[106:107], v[106:107], v[96:97], v[110:111] op_sel:[0,0,1] op_sel_hi:[1,0,0]
	s_delay_alu instid0(VALU_DEP_1) | instskip(SKIP_1) | instid1(VALU_DEP_1)
	v_mov_b32_e32 v113, v107
	v_pk_mul_f32 v[106:107], v[108:109], v[98:99] op_sel:[0,1]
	v_pk_fma_f32 v[110:111], v[108:109], v[96:97], v[106:107] op_sel:[0,0,1] op_sel_hi:[1,1,0] neg_lo:[0,0,1] neg_hi:[0,0,1]
	v_pk_fma_f32 v[106:107], v[108:109], v[96:97], v[106:107] op_sel:[0,0,1] op_sel_hi:[1,0,0]
	s_delay_alu instid0(VALU_DEP_1)
	v_mov_b32_e32 v111, v107
	ds_load_2addr_b64 v[106:109], v100 offset0:27 offset1:28
	v_pk_add_f32 v[56:57], v[56:57], v[112:113] neg_lo:[0,1] neg_hi:[0,1]
	v_pk_add_f32 v[58:59], v[58:59], v[110:111] neg_lo:[0,1] neg_hi:[0,1]
	s_wait_dscnt 0x0
	v_pk_mul_f32 v[110:111], v[106:107], v[98:99] op_sel:[0,1]
	s_delay_alu instid0(VALU_DEP_1) | instskip(SKIP_1) | instid1(VALU_DEP_1)
	v_pk_fma_f32 v[112:113], v[106:107], v[96:97], v[110:111] op_sel:[0,0,1] op_sel_hi:[1,1,0] neg_lo:[0,0,1] neg_hi:[0,0,1]
	v_pk_fma_f32 v[106:107], v[106:107], v[96:97], v[110:111] op_sel:[0,0,1] op_sel_hi:[1,0,0]
	v_mov_b32_e32 v113, v107
	v_pk_mul_f32 v[106:107], v[108:109], v[98:99] op_sel:[0,1]
	s_delay_alu instid0(VALU_DEP_1) | instskip(SKIP_1) | instid1(VALU_DEP_1)
	v_pk_fma_f32 v[110:111], v[108:109], v[96:97], v[106:107] op_sel:[0,0,1] op_sel_hi:[1,1,0] neg_lo:[0,0,1] neg_hi:[0,0,1]
	v_pk_fma_f32 v[106:107], v[108:109], v[96:97], v[106:107] op_sel:[0,0,1] op_sel_hi:[1,0,0]
	v_mov_b32_e32 v111, v107
	ds_load_2addr_b64 v[106:109], v100 offset0:29 offset1:30
	v_pk_add_f32 v[54:55], v[54:55], v[112:113] neg_lo:[0,1] neg_hi:[0,1]
	v_pk_add_f32 v[48:49], v[48:49], v[110:111] neg_lo:[0,1] neg_hi:[0,1]
	s_wait_dscnt 0x0
	v_dual_mul_f32 v110, v107, v99 :: v_dual_mul_f32 v112, v107, v96
	s_delay_alu instid0(VALU_DEP_1) | instskip(NEXT) | instid1(VALU_DEP_2)
	v_pk_fma_f32 v[110:111], v[106:107], v[92:93], v[110:111] op_sel_hi:[1,1,0] neg_lo:[0,0,1] neg_hi:[0,0,1]
	v_pk_fma_f32 v[106:107], v[106:107], v[92:93], v[112:113] op_sel:[1,0,0] op_sel_hi:[0,1,0]
	s_delay_alu instid0(VALU_DEP_1) | instskip(SKIP_1) | instid1(VALU_DEP_2)
	v_mov_b32_e32 v111, v107
	v_pk_mul_f32 v[106:107], v[108:109], v[98:99] op_sel:[0,1]
	v_pk_add_f32 v[40:41], v[40:41], v[110:111] neg_lo:[0,1] neg_hi:[0,1]
	s_delay_alu instid0(VALU_DEP_2) | instskip(SKIP_1) | instid1(VALU_DEP_1)
	v_pk_fma_f32 v[110:111], v[108:109], v[96:97], v[106:107] op_sel:[0,0,1] op_sel_hi:[1,1,0] neg_lo:[0,0,1] neg_hi:[0,0,1]
	v_pk_fma_f32 v[106:107], v[108:109], v[96:97], v[106:107] op_sel:[0,0,1] op_sel_hi:[1,0,0]
	v_mov_b32_e32 v111, v107
	ds_load_2addr_b64 v[106:109], v100 offset0:31 offset1:32
	v_pk_add_f32 v[46:47], v[46:47], v[110:111] neg_lo:[0,1] neg_hi:[0,1]
	s_wait_dscnt 0x0
	v_pk_mul_f32 v[110:111], v[106:107], v[98:99] op_sel:[0,1]
	s_delay_alu instid0(VALU_DEP_1) | instskip(SKIP_1) | instid1(VALU_DEP_1)
	v_pk_fma_f32 v[112:113], v[106:107], v[96:97], v[110:111] op_sel:[0,0,1] op_sel_hi:[1,1,0] neg_lo:[0,0,1] neg_hi:[0,0,1]
	v_pk_fma_f32 v[106:107], v[106:107], v[96:97], v[110:111] op_sel:[0,0,1] op_sel_hi:[1,0,0]
	v_mov_b32_e32 v113, v107
	v_pk_mul_f32 v[106:107], v[108:109], v[98:99] op_sel:[0,1]
	s_delay_alu instid0(VALU_DEP_2) | instskip(NEXT) | instid1(VALU_DEP_2)
	v_pk_add_f32 v[38:39], v[38:39], v[112:113] neg_lo:[0,1] neg_hi:[0,1]
	v_pk_fma_f32 v[110:111], v[108:109], v[96:97], v[106:107] op_sel:[0,0,1] op_sel_hi:[1,1,0] neg_lo:[0,0,1] neg_hi:[0,0,1]
	v_pk_fma_f32 v[106:107], v[108:109], v[96:97], v[106:107] op_sel:[0,0,1] op_sel_hi:[1,0,0]
	s_delay_alu instid0(VALU_DEP_1) | instskip(SKIP_4) | instid1(VALU_DEP_1)
	v_mov_b32_e32 v111, v107
	ds_load_2addr_b64 v[106:109], v100 offset0:33 offset1:34
	v_pk_add_f32 v[30:31], v[30:31], v[110:111] neg_lo:[0,1] neg_hi:[0,1]
	s_wait_dscnt 0x0
	v_pk_mul_f32 v[110:111], v[106:107], v[98:99] op_sel:[0,1]
	v_pk_fma_f32 v[112:113], v[106:107], v[96:97], v[110:111] op_sel:[0,0,1] op_sel_hi:[1,1,0] neg_lo:[0,0,1] neg_hi:[0,0,1]
	v_pk_fma_f32 v[106:107], v[106:107], v[96:97], v[110:111] op_sel:[0,0,1] op_sel_hi:[1,0,0]
	v_dual_mul_f32 v110, v109, v99 :: v_dual_mov_b32 v106, v109
	s_delay_alu instid0(VALU_DEP_2) | instskip(NEXT) | instid1(VALU_DEP_2)
	v_dual_mov_b32 v113, v107 :: v_dual_mov_b32 v107, v108
	v_pk_fma_f32 v[110:111], v[108:109], v[92:93], v[110:111] op_sel_hi:[1,1,0] neg_lo:[0,0,1] neg_hi:[0,0,1]
	v_mul_f32_e32 v108, v109, v96
	s_delay_alu instid0(VALU_DEP_3) | instskip(NEXT) | instid1(VALU_DEP_2)
	v_pk_add_f32 v[22:23], v[22:23], v[112:113] neg_lo:[0,1] neg_hi:[0,1]
	v_pk_fma_f32 v[106:107], v[106:107], v[92:93], v[108:109] op_sel_hi:[1,1,0]
	s_delay_alu instid0(VALU_DEP_1) | instskip(SKIP_4) | instid1(VALU_DEP_1)
	v_mov_b32_e32 v111, v107
	ds_load_2addr_b64 v[106:109], v100 offset0:35 offset1:36
	v_pk_add_f32 v[28:29], v[28:29], v[110:111] neg_lo:[0,1] neg_hi:[0,1]
	s_wait_dscnt 0x0
	v_pk_mul_f32 v[110:111], v[106:107], v[98:99] op_sel:[0,1]
	v_pk_fma_f32 v[112:113], v[106:107], v[96:97], v[110:111] op_sel:[0,0,1] op_sel_hi:[1,1,0] neg_lo:[0,0,1] neg_hi:[0,0,1]
	v_pk_fma_f32 v[106:107], v[106:107], v[96:97], v[110:111] op_sel:[0,0,1] op_sel_hi:[1,0,0]
	s_delay_alu instid0(VALU_DEP_1) | instskip(SKIP_1) | instid1(VALU_DEP_1)
	v_mov_b32_e32 v113, v107
	v_pk_mul_f32 v[106:107], v[108:109], v[98:99] op_sel:[0,1]
	v_pk_fma_f32 v[110:111], v[108:109], v[96:97], v[106:107] op_sel:[0,0,1] op_sel_hi:[1,1,0] neg_lo:[0,0,1] neg_hi:[0,0,1]
	v_pk_fma_f32 v[106:107], v[108:109], v[96:97], v[106:107] op_sel:[0,0,1] op_sel_hi:[1,0,0]
	s_delay_alu instid0(VALU_DEP_1)
	v_mov_b32_e32 v111, v107
	ds_load_2addr_b64 v[106:109], v100 offset0:37 offset1:38
	v_pk_add_f32 v[20:21], v[20:21], v[112:113] neg_lo:[0,1] neg_hi:[0,1]
	v_pk_add_f32 v[14:15], v[14:15], v[110:111] neg_lo:[0,1] neg_hi:[0,1]
	s_wait_dscnt 0x0
	v_pk_mul_f32 v[110:111], v[106:107], v[98:99] op_sel:[0,1]
	s_delay_alu instid0(VALU_DEP_1) | instskip(SKIP_1) | instid1(VALU_DEP_1)
	v_pk_fma_f32 v[112:113], v[106:107], v[96:97], v[110:111] op_sel:[0,0,1] op_sel_hi:[1,1,0] neg_lo:[0,0,1] neg_hi:[0,0,1]
	v_pk_fma_f32 v[106:107], v[106:107], v[96:97], v[110:111] op_sel:[0,0,1] op_sel_hi:[1,0,0]
	v_mov_b32_e32 v113, v107
	v_pk_mul_f32 v[106:107], v[108:109], v[98:99] op_sel:[0,1]
	s_delay_alu instid0(VALU_DEP_1) | instskip(SKIP_1) | instid1(VALU_DEP_1)
	v_pk_fma_f32 v[110:111], v[108:109], v[96:97], v[106:107] op_sel:[0,0,1] op_sel_hi:[1,1,0] neg_lo:[0,0,1] neg_hi:[0,0,1]
	v_pk_fma_f32 v[106:107], v[108:109], v[96:97], v[106:107] op_sel:[0,0,1] op_sel_hi:[1,0,0]
	v_mov_b32_e32 v111, v107
	ds_load_2addr_b64 v[106:109], v100 offset0:39 offset1:40
	v_pk_add_f32 v[10:11], v[10:11], v[112:113] neg_lo:[0,1] neg_hi:[0,1]
	v_pk_add_f32 v[12:13], v[12:13], v[110:111] neg_lo:[0,1] neg_hi:[0,1]
	s_wait_dscnt 0x0
	v_dual_mul_f32 v110, v107, v99 :: v_dual_mul_f32 v112, v107, v96
	s_delay_alu instid0(VALU_DEP_1) | instskip(NEXT) | instid1(VALU_DEP_2)
	v_pk_fma_f32 v[110:111], v[106:107], v[92:93], v[110:111] op_sel_hi:[1,1,0] neg_lo:[0,0,1] neg_hi:[0,0,1]
	v_pk_fma_f32 v[106:107], v[106:107], v[92:93], v[112:113] op_sel:[1,0,0] op_sel_hi:[0,1,0]
	s_delay_alu instid0(VALU_DEP_1) | instskip(SKIP_1) | instid1(VALU_DEP_2)
	v_mov_b32_e32 v111, v107
	v_pk_mul_f32 v[106:107], v[108:109], v[98:99] op_sel:[0,1]
	v_pk_add_f32 v[8:9], v[8:9], v[110:111] neg_lo:[0,1] neg_hi:[0,1]
	s_delay_alu instid0(VALU_DEP_2) | instskip(SKIP_1) | instid1(VALU_DEP_1)
	v_pk_fma_f32 v[110:111], v[108:109], v[96:97], v[106:107] op_sel:[0,0,1] op_sel_hi:[1,1,0] neg_lo:[0,0,1] neg_hi:[0,0,1]
	v_pk_fma_f32 v[106:107], v[108:109], v[96:97], v[106:107] op_sel:[0,0,1] op_sel_hi:[1,0,0]
	v_mov_b32_e32 v111, v107
	ds_load_2addr_b64 v[106:109], v100 offset0:41 offset1:42
	v_pk_add_f32 v[6:7], v[6:7], v[110:111] neg_lo:[0,1] neg_hi:[0,1]
	s_wait_dscnt 0x0
	v_pk_mul_f32 v[110:111], v[106:107], v[98:99] op_sel:[0,1]
	s_delay_alu instid0(VALU_DEP_1) | instskip(SKIP_1) | instid1(VALU_DEP_1)
	v_pk_fma_f32 v[112:113], v[106:107], v[96:97], v[110:111] op_sel:[0,0,1] op_sel_hi:[1,1,0] neg_lo:[0,0,1] neg_hi:[0,0,1]
	v_pk_fma_f32 v[106:107], v[106:107], v[96:97], v[110:111] op_sel:[0,0,1] op_sel_hi:[1,0,0]
	v_mov_b32_e32 v113, v107
	v_pk_mul_f32 v[106:107], v[108:109], v[98:99] op_sel:[0,1]
	s_delay_alu instid0(VALU_DEP_2) | instskip(NEXT) | instid1(VALU_DEP_2)
	v_pk_add_f32 v[36:37], v[36:37], v[112:113] neg_lo:[0,1] neg_hi:[0,1]
	v_pk_fma_f32 v[110:111], v[108:109], v[96:97], v[106:107] op_sel:[0,0,1] op_sel_hi:[1,1,0] neg_lo:[0,0,1] neg_hi:[0,0,1]
	v_pk_fma_f32 v[106:107], v[108:109], v[96:97], v[106:107] op_sel:[0,0,1] op_sel_hi:[1,0,0]
	s_delay_alu instid0(VALU_DEP_1) | instskip(SKIP_4) | instid1(VALU_DEP_1)
	v_mov_b32_e32 v111, v107
	ds_load_2addr_b64 v[106:109], v100 offset0:43 offset1:44
	v_pk_add_f32 v[18:19], v[18:19], v[110:111] neg_lo:[0,1] neg_hi:[0,1]
	s_wait_dscnt 0x0
	v_pk_mul_f32 v[110:111], v[106:107], v[98:99] op_sel:[0,1]
	v_pk_fma_f32 v[112:113], v[106:107], v[96:97], v[110:111] op_sel:[0,0,1] op_sel_hi:[1,1,0] neg_lo:[0,0,1] neg_hi:[0,0,1]
	v_pk_fma_f32 v[106:107], v[106:107], v[96:97], v[110:111] op_sel:[0,0,1] op_sel_hi:[1,0,0]
	s_delay_alu instid0(VALU_DEP_1) | instskip(SKIP_1) | instid1(VALU_DEP_2)
	v_mov_b32_e32 v113, v107
	v_pk_mul_f32 v[106:107], v[108:109], v[98:99] op_sel:[0,1]
	v_pk_add_f32 v[16:17], v[16:17], v[112:113] neg_lo:[0,1] neg_hi:[0,1]
	s_delay_alu instid0(VALU_DEP_2) | instskip(SKIP_1) | instid1(VALU_DEP_1)
	v_pk_fma_f32 v[98:99], v[108:109], v[96:97], v[106:107] op_sel:[0,0,1] op_sel_hi:[1,1,0] neg_lo:[0,0,1] neg_hi:[0,0,1]
	v_pk_fma_f32 v[96:97], v[108:109], v[96:97], v[106:107] op_sel:[0,0,1] op_sel_hi:[1,0,0]
	v_mov_b32_e32 v99, v97
	s_delay_alu instid0(VALU_DEP_1)
	v_pk_add_f32 v[94:95], v[94:95], v[98:99] neg_lo:[0,1] neg_hi:[0,1]
.LBB88_22:
	s_or_b32 exec_lo, exec_lo, s0
	v_lshl_add_u32 v96, v104, 3, v100
	s_barrier_signal -1
	s_barrier_wait -1
	ds_store_b64 v96, v[90:91]
	s_wait_dscnt 0x0
	s_barrier_signal -1
	s_barrier_wait -1
	ds_load_b64 v[98:99], v100 offset:8
	v_mov_b32_e32 v96, 1
	s_cmp_lt_i32 s18, 3
	s_cbranch_scc1 .LBB88_25
; %bb.23:
	v_add3_u32 v97, v101, 0, 16
	v_mov_b32_e32 v96, 1
	s_mov_b32 s0, 2
.LBB88_24:                              ; =>This Inner Loop Header: Depth=1
	ds_load_b64 v[106:107], v97
	s_wait_dscnt 0x1
	v_cmp_gt_f32_e32 vcc_lo, 0, v98
	v_cndmask_b32_e64 v108, v98, -v98, vcc_lo
	v_cmp_gt_f32_e32 vcc_lo, 0, v99
	v_cndmask_b32_e64 v110, v99, -v99, vcc_lo
	s_wait_dscnt 0x0
	v_cmp_gt_f32_e32 vcc_lo, 0, v106
	v_cndmask_b32_e64 v109, v106, -v106, vcc_lo
	v_cmp_gt_f32_e32 vcc_lo, 0, v107
	v_cndmask_b32_e64 v111, v107, -v107, vcc_lo
	s_delay_alu instid0(VALU_DEP_1) | instskip(NEXT) | instid1(VALU_DEP_1)
	v_pk_add_f32 v[108:109], v[108:109], v[110:111]
	v_cmp_lt_f32_e32 vcc_lo, v108, v109
	v_dual_add_nc_u32 v97, 8, v97 :: v_dual_cndmask_b32 v99, v99, v107, vcc_lo
	v_cndmask_b32_e32 v98, v98, v106, vcc_lo
	v_cndmask_b32_e64 v96, v96, s0, vcc_lo
	s_add_co_i32 s0, s0, 1
	s_delay_alu instid0(SALU_CYCLE_1)
	s_cmp_lg_u32 s18, s0
	s_cbranch_scc1 .LBB88_24
.LBB88_25:
	s_wait_dscnt 0x0
	v_cmp_neq_f32_e32 vcc_lo, 0, v98
	v_cmp_neq_f32_e64 s0, 0, v99
	s_or_b32 s1, vcc_lo, s0
	s_delay_alu instid0(SALU_CYCLE_1)
	s_and_saveexec_b32 s0, s1
	s_cbranch_execz .LBB88_31
; %bb.26:
	v_cmp_ngt_f32_e64 s1, |v98|, |v99|
	s_and_saveexec_b32 s12, s1
	s_delay_alu instid0(SALU_CYCLE_1)
	s_xor_b32 s1, exec_lo, s12
	s_cbranch_execz .LBB88_28
; %bb.27:
	v_div_scale_f32 v97, null, v99, v99, v98
	v_div_scale_f32 v107, vcc_lo, v98, v99, v98
	s_delay_alu instid0(VALU_DEP_2) | instskip(SKIP_1) | instid1(TRANS32_DEP_1)
	v_rcp_f32_e32 v102, v97
	v_nop
	v_fma_f32 v106, -v97, v102, 1.0
	s_delay_alu instid0(VALU_DEP_1) | instskip(NEXT) | instid1(VALU_DEP_1)
	v_fmac_f32_e32 v102, v106, v102
	v_mul_f32_e32 v106, v107, v102
	s_delay_alu instid0(VALU_DEP_1) | instskip(NEXT) | instid1(VALU_DEP_1)
	v_fma_f32 v108, -v97, v106, v107
	v_fmac_f32_e32 v106, v108, v102
	s_delay_alu instid0(VALU_DEP_1) | instskip(NEXT) | instid1(VALU_DEP_1)
	v_fma_f32 v97, -v97, v106, v107
	v_div_fmas_f32 v97, v97, v102, v106
	s_delay_alu instid0(VALU_DEP_1) | instskip(NEXT) | instid1(VALU_DEP_1)
	v_div_fixup_f32 v97, v97, v99, v98
	v_fmac_f32_e32 v99, v98, v97
	s_delay_alu instid0(VALU_DEP_1) | instskip(SKIP_1) | instid1(VALU_DEP_2)
	v_div_scale_f32 v98, null, v99, v99, 1.0
	v_div_scale_f32 v107, vcc_lo, 1.0, v99, 1.0
	v_rcp_f32_e32 v102, v98
	v_nop
	s_delay_alu instid0(TRANS32_DEP_1) | instskip(NEXT) | instid1(VALU_DEP_1)
	v_fma_f32 v106, -v98, v102, 1.0
	v_fmac_f32_e32 v102, v106, v102
	s_delay_alu instid0(VALU_DEP_1) | instskip(NEXT) | instid1(VALU_DEP_1)
	v_mul_f32_e32 v106, v107, v102
	v_fma_f32 v108, -v98, v106, v107
	s_delay_alu instid0(VALU_DEP_1) | instskip(NEXT) | instid1(VALU_DEP_1)
	v_fmac_f32_e32 v106, v108, v102
	v_fma_f32 v98, -v98, v106, v107
	s_delay_alu instid0(VALU_DEP_1) | instskip(NEXT) | instid1(VALU_DEP_1)
	v_div_fmas_f32 v98, v98, v102, v106
	v_div_fixup_f32 v99, v98, v99, 1.0
	s_delay_alu instid0(VALU_DEP_1)
	v_mul_f32_e32 v98, v97, v99
	v_xor_b32_e32 v99, 0x80000000, v99
.LBB88_28:
	s_and_not1_saveexec_b32 s1, s1
	s_cbranch_execz .LBB88_30
; %bb.29:
	s_delay_alu instid0(VALU_DEP_1) | instskip(SKIP_1) | instid1(VALU_DEP_2)
	v_div_scale_f32 v97, null, v98, v98, v99
	v_div_scale_f32 v107, vcc_lo, v99, v98, v99
	v_rcp_f32_e32 v102, v97
	v_nop
	s_delay_alu instid0(TRANS32_DEP_1) | instskip(NEXT) | instid1(VALU_DEP_1)
	v_fma_f32 v106, -v97, v102, 1.0
	v_fmac_f32_e32 v102, v106, v102
	s_delay_alu instid0(VALU_DEP_1) | instskip(NEXT) | instid1(VALU_DEP_1)
	v_mul_f32_e32 v106, v107, v102
	v_fma_f32 v108, -v97, v106, v107
	s_delay_alu instid0(VALU_DEP_1) | instskip(NEXT) | instid1(VALU_DEP_1)
	v_fmac_f32_e32 v106, v108, v102
	v_fma_f32 v97, -v97, v106, v107
	s_delay_alu instid0(VALU_DEP_1) | instskip(NEXT) | instid1(VALU_DEP_1)
	v_div_fmas_f32 v97, v97, v102, v106
	v_div_fixup_f32 v97, v97, v98, v99
	s_delay_alu instid0(VALU_DEP_1) | instskip(NEXT) | instid1(VALU_DEP_1)
	v_fmac_f32_e32 v98, v99, v97
	v_div_scale_f32 v99, null, v98, v98, 1.0
	s_delay_alu instid0(VALU_DEP_1) | instskip(SKIP_1) | instid1(TRANS32_DEP_1)
	v_rcp_f32_e32 v102, v99
	v_nop
	v_fma_f32 v106, -v99, v102, 1.0
	s_delay_alu instid0(VALU_DEP_1) | instskip(SKIP_1) | instid1(VALU_DEP_1)
	v_fmac_f32_e32 v102, v106, v102
	v_div_scale_f32 v106, vcc_lo, 1.0, v98, 1.0
	v_mul_f32_e32 v107, v106, v102
	s_delay_alu instid0(VALU_DEP_1) | instskip(NEXT) | instid1(VALU_DEP_1)
	v_fma_f32 v108, -v99, v107, v106
	v_fmac_f32_e32 v107, v108, v102
	s_delay_alu instid0(VALU_DEP_1) | instskip(NEXT) | instid1(VALU_DEP_1)
	v_fma_f32 v99, -v99, v107, v106
	v_div_fmas_f32 v99, v99, v102, v107
	s_delay_alu instid0(VALU_DEP_1) | instskip(NEXT) | instid1(VALU_DEP_1)
	v_div_fixup_f32 v98, v99, v98, 1.0
	v_mul_f32_e64 v99, v97, -v98
.LBB88_30:
	s_or_b32 exec_lo, exec_lo, s1
	v_mov_b32_e32 v102, v105
.LBB88_31:
	s_or_b32 exec_lo, exec_lo, s0
	s_delay_alu instid0(SALU_CYCLE_1)
	s_mov_b32 s0, exec_lo
	v_cmpx_ne_u32_e64 v104, v96
	s_xor_b32 s0, exec_lo, s0
	s_cbranch_execz .LBB88_37
; %bb.32:
	s_mov_b32 s1, exec_lo
	v_cmpx_eq_u32_e32 1, v104
	s_cbranch_execz .LBB88_36
; %bb.33:
	v_cmp_ne_u32_e32 vcc_lo, 1, v96
	s_xor_b32 s12, s16, -1
	s_delay_alu instid0(SALU_CYCLE_1) | instskip(NEXT) | instid1(SALU_CYCLE_1)
	s_and_b32 s13, s12, vcc_lo
	s_and_saveexec_b32 s12, s13
	s_cbranch_execz .LBB88_35
; %bb.34:
	v_ashrrev_i32_e32 v97, 31, v96
	s_delay_alu instid0(VALU_DEP_1)
	v_lshl_add_u64 v[104:105], v[96:97], 2, v[4:5]
	s_clause 0x1
	global_load_b32 v97, v[104:105], off
	global_load_b32 v103, v[4:5], off offset:4
	s_wait_loadcnt 0x1
	global_store_b32 v[4:5], v97, off offset:4
	s_wait_loadcnt 0x0
	global_store_b32 v[104:105], v103, off
.LBB88_35:
	s_wait_xcnt 0x0
	s_or_b32 exec_lo, exec_lo, s12
	v_dual_mov_b32 v104, v96 :: v_dual_mov_b32 v103, v96
.LBB88_36:
	s_or_b32 exec_lo, exec_lo, s1
.LBB88_37:
	s_and_not1_saveexec_b32 s0, s0
	s_cbranch_execz .LBB88_39
; %bb.38:
	v_dual_mov_b32 v96, v88 :: v_dual_mov_b32 v97, v89
	v_dual_mov_b32 v104, v86 :: v_dual_mov_b32 v105, v87
	;; [unrolled: 1-line block ×8, first 2 shown]
	ds_store_2addr_b64 v100, v[96:97], v[104:105] offset0:2 offset1:3
	ds_store_2addr_b64 v100, v[106:107], v[108:109] offset0:4 offset1:5
	;; [unrolled: 1-line block ×4, first 2 shown]
	v_dual_mov_b32 v96, v50 :: v_dual_mov_b32 v97, v51
	v_dual_mov_b32 v104, v42 :: v_dual_mov_b32 v105, v43
	;; [unrolled: 1-line block ×12, first 2 shown]
	ds_store_2addr_b64 v100, v[96:97], v[104:105] offset0:10 offset1:11
	ds_store_2addr_b64 v100, v[106:107], v[108:109] offset0:12 offset1:13
	;; [unrolled: 1-line block ×6, first 2 shown]
	v_dual_mov_b32 v96, v66 :: v_dual_mov_b32 v97, v67
	v_dual_mov_b32 v104, v62 :: v_dual_mov_b32 v105, v63
	;; [unrolled: 1-line block ×12, first 2 shown]
	ds_store_2addr_b64 v100, v[96:97], v[104:105] offset0:22 offset1:23
	ds_store_2addr_b64 v100, v[106:107], v[108:109] offset0:24 offset1:25
	ds_store_2addr_b64 v100, v[110:111], v[112:113] offset0:26 offset1:27
	ds_store_2addr_b64 v100, v[114:115], v[116:117] offset0:28 offset1:29
	ds_store_2addr_b64 v100, v[118:119], v[120:121] offset0:30 offset1:31
	ds_store_2addr_b64 v100, v[122:123], v[124:125] offset0:32 offset1:33
	v_dual_mov_b32 v96, v28 :: v_dual_mov_b32 v97, v29
	v_dual_mov_b32 v104, v20 :: v_dual_mov_b32 v105, v21
	;; [unrolled: 1-line block ×6, first 2 shown]
	ds_store_2addr_b64 v100, v[96:97], v[104:105] offset0:34 offset1:35
	ds_store_2addr_b64 v100, v[106:107], v[108:109] offset0:36 offset1:37
	v_dual_mov_b32 v104, 1 :: v_dual_mov_b32 v114, v6
	v_dual_mov_b32 v115, v7 :: v_dual_mov_b32 v116, v36
	;; [unrolled: 1-line block ×4, first 2 shown]
	v_mov_b32_e32 v121, v17
	ds_store_2addr_b64 v100, v[110:111], v[112:113] offset0:38 offset1:39
	ds_store_2addr_b64 v100, v[114:115], v[116:117] offset0:40 offset1:41
	;; [unrolled: 1-line block ×3, first 2 shown]
	ds_store_b64 v100, v[94:95] offset:352
.LBB88_39:
	s_or_b32 exec_lo, exec_lo, s0
	s_delay_alu instid0(SALU_CYCLE_1)
	s_mov_b32 s0, exec_lo
	s_wait_storecnt_dscnt 0x0
	s_barrier_signal -1
	s_barrier_wait -1
	v_cmpx_lt_i32_e32 1, v104
	s_cbranch_execz .LBB88_41
; %bb.40:
	v_pk_mul_f32 v[106:107], v[98:99], v[90:91] op_sel:[1,1] op_sel_hi:[0,1]
	s_delay_alu instid0(VALU_DEP_1)
	v_pk_fma_f32 v[96:97], v[98:99], v[90:91], v[106:107] op_sel_hi:[1,0,1] neg_lo:[0,0,1] neg_hi:[0,0,1]
	v_pk_fma_f32 v[98:99], v[98:99], v[90:91], v[106:107] op_sel_hi:[1,0,1]
	ds_load_2addr_b64 v[106:109], v100 offset0:2 offset1:3
	v_dual_mov_b32 v90, v96 :: v_dual_mov_b32 v91, v99
	s_wait_dscnt 0x0
	v_pk_mul_f32 v[110:111], v[106:107], v[98:99] op_sel:[0,1]
	s_delay_alu instid0(VALU_DEP_1) | instskip(SKIP_1) | instid1(VALU_DEP_1)
	v_pk_fma_f32 v[112:113], v[106:107], v[96:97], v[110:111] op_sel:[0,0,1] op_sel_hi:[1,1,0] neg_lo:[0,0,1] neg_hi:[0,0,1]
	v_pk_fma_f32 v[106:107], v[106:107], v[96:97], v[110:111] op_sel:[0,0,1] op_sel_hi:[1,0,0]
	v_mov_b32_e32 v113, v107
	v_pk_mul_f32 v[106:107], v[108:109], v[98:99] op_sel:[0,1]
	s_delay_alu instid0(VALU_DEP_1) | instskip(SKIP_1) | instid1(VALU_DEP_1)
	v_pk_fma_f32 v[110:111], v[108:109], v[96:97], v[106:107] op_sel:[0,0,1] op_sel_hi:[1,1,0] neg_lo:[0,0,1] neg_hi:[0,0,1]
	v_pk_fma_f32 v[106:107], v[108:109], v[96:97], v[106:107] op_sel:[0,0,1] op_sel_hi:[1,0,0]
	v_mov_b32_e32 v111, v107
	ds_load_2addr_b64 v[106:109], v100 offset0:4 offset1:5
	v_pk_add_f32 v[88:89], v[88:89], v[112:113] neg_lo:[0,1] neg_hi:[0,1]
	v_pk_add_f32 v[86:87], v[86:87], v[110:111] neg_lo:[0,1] neg_hi:[0,1]
	s_wait_dscnt 0x0
	v_pk_mul_f32 v[110:111], v[106:107], v[98:99] op_sel:[0,1]
	s_delay_alu instid0(VALU_DEP_1) | instskip(SKIP_2) | instid1(VALU_DEP_2)
	v_pk_fma_f32 v[112:113], v[106:107], v[96:97], v[110:111] op_sel:[0,0,1] op_sel_hi:[1,1,0] neg_lo:[0,0,1] neg_hi:[0,0,1]
	v_pk_fma_f32 v[106:107], v[106:107], v[96:97], v[110:111] op_sel:[0,0,1] op_sel_hi:[1,0,0]
	v_dual_mul_f32 v110, v109, v99 :: v_dual_mov_b32 v106, v109
	v_dual_mov_b32 v113, v107 :: v_dual_mov_b32 v107, v108
	s_delay_alu instid0(VALU_DEP_2) | instskip(SKIP_1) | instid1(VALU_DEP_3)
	v_pk_fma_f32 v[110:111], v[108:109], v[90:91], v[110:111] op_sel_hi:[1,1,0] neg_lo:[0,0,1] neg_hi:[0,0,1]
	v_mul_f32_e32 v108, v109, v96
	v_pk_add_f32 v[34:35], v[34:35], v[112:113] neg_lo:[0,1] neg_hi:[0,1]
	s_delay_alu instid0(VALU_DEP_2) | instskip(NEXT) | instid1(VALU_DEP_1)
	v_pk_fma_f32 v[106:107], v[106:107], v[90:91], v[108:109] op_sel_hi:[1,1,0]
	v_mov_b32_e32 v111, v107
	ds_load_2addr_b64 v[106:109], v100 offset0:6 offset1:7
	v_pk_add_f32 v[26:27], v[26:27], v[110:111] neg_lo:[0,1] neg_hi:[0,1]
	s_wait_dscnt 0x0
	v_pk_mul_f32 v[110:111], v[106:107], v[98:99] op_sel:[0,1]
	s_delay_alu instid0(VALU_DEP_1) | instskip(SKIP_1) | instid1(VALU_DEP_1)
	v_pk_fma_f32 v[112:113], v[106:107], v[96:97], v[110:111] op_sel:[0,0,1] op_sel_hi:[1,1,0] neg_lo:[0,0,1] neg_hi:[0,0,1]
	v_pk_fma_f32 v[106:107], v[106:107], v[96:97], v[110:111] op_sel:[0,0,1] op_sel_hi:[1,0,0]
	v_mov_b32_e32 v113, v107
	v_pk_mul_f32 v[106:107], v[108:109], v[98:99] op_sel:[0,1]
	s_delay_alu instid0(VALU_DEP_1) | instskip(SKIP_1) | instid1(VALU_DEP_1)
	v_pk_fma_f32 v[110:111], v[108:109], v[96:97], v[106:107] op_sel:[0,0,1] op_sel_hi:[1,1,0] neg_lo:[0,0,1] neg_hi:[0,0,1]
	v_pk_fma_f32 v[106:107], v[108:109], v[96:97], v[106:107] op_sel:[0,0,1] op_sel_hi:[1,0,0]
	v_mov_b32_e32 v111, v107
	ds_load_2addr_b64 v[106:109], v100 offset0:8 offset1:9
	v_pk_add_f32 v[32:33], v[32:33], v[112:113] neg_lo:[0,1] neg_hi:[0,1]
	v_pk_add_f32 v[24:25], v[24:25], v[110:111] neg_lo:[0,1] neg_hi:[0,1]
	s_wait_dscnt 0x0
	v_pk_mul_f32 v[110:111], v[106:107], v[98:99] op_sel:[0,1]
	s_delay_alu instid0(VALU_DEP_1) | instskip(SKIP_1) | instid1(VALU_DEP_1)
	v_pk_fma_f32 v[112:113], v[106:107], v[96:97], v[110:111] op_sel:[0,0,1] op_sel_hi:[1,1,0] neg_lo:[0,0,1] neg_hi:[0,0,1]
	v_pk_fma_f32 v[106:107], v[106:107], v[96:97], v[110:111] op_sel:[0,0,1] op_sel_hi:[1,0,0]
	v_mov_b32_e32 v113, v107
	v_pk_mul_f32 v[106:107], v[108:109], v[98:99] op_sel:[0,1]
	s_delay_alu instid0(VALU_DEP_1) | instskip(SKIP_1) | instid1(VALU_DEP_1)
	v_pk_fma_f32 v[110:111], v[108:109], v[96:97], v[106:107] op_sel:[0,0,1] op_sel_hi:[1,1,0] neg_lo:[0,0,1] neg_hi:[0,0,1]
	v_pk_fma_f32 v[106:107], v[108:109], v[96:97], v[106:107] op_sel:[0,0,1] op_sel_hi:[1,0,0]
	v_mov_b32_e32 v111, v107
	ds_load_2addr_b64 v[106:109], v100 offset0:10 offset1:11
	v_pk_add_f32 v[52:53], v[52:53], v[112:113] neg_lo:[0,1] neg_hi:[0,1]
	v_pk_add_f32 v[44:45], v[44:45], v[110:111] neg_lo:[0,1] neg_hi:[0,1]
	s_wait_dscnt 0x0
	v_dual_mul_f32 v110, v107, v99 :: v_dual_mul_f32 v112, v107, v96
	s_delay_alu instid0(VALU_DEP_1) | instskip(NEXT) | instid1(VALU_DEP_2)
	v_pk_fma_f32 v[110:111], v[106:107], v[90:91], v[110:111] op_sel_hi:[1,1,0] neg_lo:[0,0,1] neg_hi:[0,0,1]
	v_pk_fma_f32 v[106:107], v[106:107], v[90:91], v[112:113] op_sel:[1,0,0] op_sel_hi:[0,1,0]
	s_delay_alu instid0(VALU_DEP_1) | instskip(SKIP_1) | instid1(VALU_DEP_2)
	v_mov_b32_e32 v111, v107
	v_pk_mul_f32 v[106:107], v[108:109], v[98:99] op_sel:[0,1]
	v_pk_add_f32 v[50:51], v[50:51], v[110:111] neg_lo:[0,1] neg_hi:[0,1]
	s_delay_alu instid0(VALU_DEP_2) | instskip(SKIP_1) | instid1(VALU_DEP_1)
	v_pk_fma_f32 v[110:111], v[108:109], v[96:97], v[106:107] op_sel:[0,0,1] op_sel_hi:[1,1,0] neg_lo:[0,0,1] neg_hi:[0,0,1]
	v_pk_fma_f32 v[106:107], v[108:109], v[96:97], v[106:107] op_sel:[0,0,1] op_sel_hi:[1,0,0]
	v_mov_b32_e32 v111, v107
	ds_load_2addr_b64 v[106:109], v100 offset0:12 offset1:13
	v_pk_add_f32 v[42:43], v[42:43], v[110:111] neg_lo:[0,1] neg_hi:[0,1]
	s_wait_dscnt 0x0
	v_pk_mul_f32 v[110:111], v[106:107], v[98:99] op_sel:[0,1]
	s_delay_alu instid0(VALU_DEP_1) | instskip(SKIP_1) | instid1(VALU_DEP_1)
	v_pk_fma_f32 v[112:113], v[106:107], v[96:97], v[110:111] op_sel:[0,0,1] op_sel_hi:[1,1,0] neg_lo:[0,0,1] neg_hi:[0,0,1]
	v_pk_fma_f32 v[106:107], v[106:107], v[96:97], v[110:111] op_sel:[0,0,1] op_sel_hi:[1,0,0]
	v_mov_b32_e32 v113, v107
	v_pk_mul_f32 v[106:107], v[108:109], v[98:99] op_sel:[0,1]
	s_delay_alu instid0(VALU_DEP_2) | instskip(NEXT) | instid1(VALU_DEP_2)
	v_pk_add_f32 v[84:85], v[84:85], v[112:113] neg_lo:[0,1] neg_hi:[0,1]
	v_pk_fma_f32 v[110:111], v[108:109], v[96:97], v[106:107] op_sel:[0,0,1] op_sel_hi:[1,1,0] neg_lo:[0,0,1] neg_hi:[0,0,1]
	v_pk_fma_f32 v[106:107], v[108:109], v[96:97], v[106:107] op_sel:[0,0,1] op_sel_hi:[1,0,0]
	s_delay_alu instid0(VALU_DEP_1) | instskip(SKIP_4) | instid1(VALU_DEP_1)
	v_mov_b32_e32 v111, v107
	ds_load_2addr_b64 v[106:109], v100 offset0:14 offset1:15
	v_pk_add_f32 v[80:81], v[80:81], v[110:111] neg_lo:[0,1] neg_hi:[0,1]
	s_wait_dscnt 0x0
	v_pk_mul_f32 v[110:111], v[106:107], v[98:99] op_sel:[0,1]
	v_pk_fma_f32 v[112:113], v[106:107], v[96:97], v[110:111] op_sel:[0,0,1] op_sel_hi:[1,1,0] neg_lo:[0,0,1] neg_hi:[0,0,1]
	v_pk_fma_f32 v[106:107], v[106:107], v[96:97], v[110:111] op_sel:[0,0,1] op_sel_hi:[1,0,0]
	v_dual_mul_f32 v110, v109, v99 :: v_dual_mov_b32 v106, v109
	s_delay_alu instid0(VALU_DEP_2) | instskip(NEXT) | instid1(VALU_DEP_2)
	v_dual_mov_b32 v113, v107 :: v_dual_mov_b32 v107, v108
	v_pk_fma_f32 v[110:111], v[108:109], v[90:91], v[110:111] op_sel_hi:[1,1,0] neg_lo:[0,0,1] neg_hi:[0,0,1]
	v_mul_f32_e32 v108, v109, v96
	s_delay_alu instid0(VALU_DEP_3) | instskip(NEXT) | instid1(VALU_DEP_2)
	v_pk_add_f32 v[82:83], v[82:83], v[112:113] neg_lo:[0,1] neg_hi:[0,1]
	v_pk_fma_f32 v[106:107], v[106:107], v[90:91], v[108:109] op_sel_hi:[1,1,0]
	s_delay_alu instid0(VALU_DEP_1) | instskip(SKIP_4) | instid1(VALU_DEP_1)
	v_mov_b32_e32 v111, v107
	ds_load_2addr_b64 v[106:109], v100 offset0:16 offset1:17
	v_pk_add_f32 v[78:79], v[78:79], v[110:111] neg_lo:[0,1] neg_hi:[0,1]
	s_wait_dscnt 0x0
	v_pk_mul_f32 v[110:111], v[106:107], v[98:99] op_sel:[0,1]
	v_pk_fma_f32 v[112:113], v[106:107], v[96:97], v[110:111] op_sel:[0,0,1] op_sel_hi:[1,1,0] neg_lo:[0,0,1] neg_hi:[0,0,1]
	v_pk_fma_f32 v[106:107], v[106:107], v[96:97], v[110:111] op_sel:[0,0,1] op_sel_hi:[1,0,0]
	s_delay_alu instid0(VALU_DEP_1) | instskip(SKIP_1) | instid1(VALU_DEP_1)
	v_mov_b32_e32 v113, v107
	v_pk_mul_f32 v[106:107], v[108:109], v[98:99] op_sel:[0,1]
	v_pk_fma_f32 v[110:111], v[108:109], v[96:97], v[106:107] op_sel:[0,0,1] op_sel_hi:[1,1,0] neg_lo:[0,0,1] neg_hi:[0,0,1]
	v_pk_fma_f32 v[106:107], v[108:109], v[96:97], v[106:107] op_sel:[0,0,1] op_sel_hi:[1,0,0]
	s_delay_alu instid0(VALU_DEP_1)
	v_mov_b32_e32 v111, v107
	ds_load_2addr_b64 v[106:109], v100 offset0:18 offset1:19
	v_pk_add_f32 v[76:77], v[76:77], v[112:113] neg_lo:[0,1] neg_hi:[0,1]
	v_pk_add_f32 v[72:73], v[72:73], v[110:111] neg_lo:[0,1] neg_hi:[0,1]
	s_wait_dscnt 0x0
	v_pk_mul_f32 v[110:111], v[106:107], v[98:99] op_sel:[0,1]
	s_delay_alu instid0(VALU_DEP_1) | instskip(SKIP_1) | instid1(VALU_DEP_1)
	v_pk_fma_f32 v[112:113], v[106:107], v[96:97], v[110:111] op_sel:[0,0,1] op_sel_hi:[1,1,0] neg_lo:[0,0,1] neg_hi:[0,0,1]
	v_pk_fma_f32 v[106:107], v[106:107], v[96:97], v[110:111] op_sel:[0,0,1] op_sel_hi:[1,0,0]
	v_mov_b32_e32 v113, v107
	v_pk_mul_f32 v[106:107], v[108:109], v[98:99] op_sel:[0,1]
	s_delay_alu instid0(VALU_DEP_1) | instskip(SKIP_1) | instid1(VALU_DEP_1)
	v_pk_fma_f32 v[110:111], v[108:109], v[96:97], v[106:107] op_sel:[0,0,1] op_sel_hi:[1,1,0] neg_lo:[0,0,1] neg_hi:[0,0,1]
	v_pk_fma_f32 v[106:107], v[108:109], v[96:97], v[106:107] op_sel:[0,0,1] op_sel_hi:[1,0,0]
	v_mov_b32_e32 v111, v107
	ds_load_2addr_b64 v[106:109], v100 offset0:20 offset1:21
	v_pk_add_f32 v[74:75], v[74:75], v[112:113] neg_lo:[0,1] neg_hi:[0,1]
	v_pk_add_f32 v[70:71], v[70:71], v[110:111] neg_lo:[0,1] neg_hi:[0,1]
	s_wait_dscnt 0x0
	v_dual_mul_f32 v110, v107, v99 :: v_dual_mul_f32 v112, v107, v96
	s_delay_alu instid0(VALU_DEP_1) | instskip(NEXT) | instid1(VALU_DEP_2)
	v_pk_fma_f32 v[110:111], v[106:107], v[90:91], v[110:111] op_sel_hi:[1,1,0] neg_lo:[0,0,1] neg_hi:[0,0,1]
	v_pk_fma_f32 v[106:107], v[106:107], v[90:91], v[112:113] op_sel:[1,0,0] op_sel_hi:[0,1,0]
	s_delay_alu instid0(VALU_DEP_1) | instskip(SKIP_1) | instid1(VALU_DEP_2)
	v_mov_b32_e32 v111, v107
	v_pk_mul_f32 v[106:107], v[108:109], v[98:99] op_sel:[0,1]
	v_pk_add_f32 v[68:69], v[68:69], v[110:111] neg_lo:[0,1] neg_hi:[0,1]
	s_delay_alu instid0(VALU_DEP_2) | instskip(SKIP_1) | instid1(VALU_DEP_1)
	v_pk_fma_f32 v[110:111], v[108:109], v[96:97], v[106:107] op_sel:[0,0,1] op_sel_hi:[1,1,0] neg_lo:[0,0,1] neg_hi:[0,0,1]
	v_pk_fma_f32 v[106:107], v[108:109], v[96:97], v[106:107] op_sel:[0,0,1] op_sel_hi:[1,0,0]
	v_mov_b32_e32 v111, v107
	ds_load_2addr_b64 v[106:109], v100 offset0:22 offset1:23
	v_pk_add_f32 v[64:65], v[64:65], v[110:111] neg_lo:[0,1] neg_hi:[0,1]
	s_wait_dscnt 0x0
	v_pk_mul_f32 v[110:111], v[106:107], v[98:99] op_sel:[0,1]
	s_delay_alu instid0(VALU_DEP_1) | instskip(SKIP_1) | instid1(VALU_DEP_1)
	v_pk_fma_f32 v[112:113], v[106:107], v[96:97], v[110:111] op_sel:[0,0,1] op_sel_hi:[1,1,0] neg_lo:[0,0,1] neg_hi:[0,0,1]
	v_pk_fma_f32 v[106:107], v[106:107], v[96:97], v[110:111] op_sel:[0,0,1] op_sel_hi:[1,0,0]
	v_mov_b32_e32 v113, v107
	v_pk_mul_f32 v[106:107], v[108:109], v[98:99] op_sel:[0,1]
	s_delay_alu instid0(VALU_DEP_2) | instskip(NEXT) | instid1(VALU_DEP_2)
	v_pk_add_f32 v[66:67], v[66:67], v[112:113] neg_lo:[0,1] neg_hi:[0,1]
	v_pk_fma_f32 v[110:111], v[108:109], v[96:97], v[106:107] op_sel:[0,0,1] op_sel_hi:[1,1,0] neg_lo:[0,0,1] neg_hi:[0,0,1]
	v_pk_fma_f32 v[106:107], v[108:109], v[96:97], v[106:107] op_sel:[0,0,1] op_sel_hi:[1,0,0]
	s_delay_alu instid0(VALU_DEP_1) | instskip(SKIP_4) | instid1(VALU_DEP_1)
	v_mov_b32_e32 v111, v107
	ds_load_2addr_b64 v[106:109], v100 offset0:24 offset1:25
	v_pk_add_f32 v[62:63], v[62:63], v[110:111] neg_lo:[0,1] neg_hi:[0,1]
	s_wait_dscnt 0x0
	v_pk_mul_f32 v[110:111], v[106:107], v[98:99] op_sel:[0,1]
	v_pk_fma_f32 v[112:113], v[106:107], v[96:97], v[110:111] op_sel:[0,0,1] op_sel_hi:[1,1,0] neg_lo:[0,0,1] neg_hi:[0,0,1]
	v_pk_fma_f32 v[106:107], v[106:107], v[96:97], v[110:111] op_sel:[0,0,1] op_sel_hi:[1,0,0]
	v_dual_mul_f32 v110, v109, v99 :: v_dual_mov_b32 v106, v109
	s_delay_alu instid0(VALU_DEP_2) | instskip(NEXT) | instid1(VALU_DEP_2)
	v_dual_mov_b32 v113, v107 :: v_dual_mov_b32 v107, v108
	v_pk_fma_f32 v[110:111], v[108:109], v[90:91], v[110:111] op_sel_hi:[1,1,0] neg_lo:[0,0,1] neg_hi:[0,0,1]
	v_mul_f32_e32 v108, v109, v96
	s_delay_alu instid0(VALU_DEP_3) | instskip(NEXT) | instid1(VALU_DEP_2)
	v_pk_add_f32 v[60:61], v[60:61], v[112:113] neg_lo:[0,1] neg_hi:[0,1]
	v_pk_fma_f32 v[106:107], v[106:107], v[90:91], v[108:109] op_sel_hi:[1,1,0]
	s_delay_alu instid0(VALU_DEP_1) | instskip(SKIP_4) | instid1(VALU_DEP_1)
	v_mov_b32_e32 v111, v107
	ds_load_2addr_b64 v[106:109], v100 offset0:26 offset1:27
	v_pk_add_f32 v[56:57], v[56:57], v[110:111] neg_lo:[0,1] neg_hi:[0,1]
	s_wait_dscnt 0x0
	v_pk_mul_f32 v[110:111], v[106:107], v[98:99] op_sel:[0,1]
	v_pk_fma_f32 v[112:113], v[106:107], v[96:97], v[110:111] op_sel:[0,0,1] op_sel_hi:[1,1,0] neg_lo:[0,0,1] neg_hi:[0,0,1]
	v_pk_fma_f32 v[106:107], v[106:107], v[96:97], v[110:111] op_sel:[0,0,1] op_sel_hi:[1,0,0]
	s_delay_alu instid0(VALU_DEP_1) | instskip(SKIP_1) | instid1(VALU_DEP_1)
	v_mov_b32_e32 v113, v107
	v_pk_mul_f32 v[106:107], v[108:109], v[98:99] op_sel:[0,1]
	v_pk_fma_f32 v[110:111], v[108:109], v[96:97], v[106:107] op_sel:[0,0,1] op_sel_hi:[1,1,0] neg_lo:[0,0,1] neg_hi:[0,0,1]
	v_pk_fma_f32 v[106:107], v[108:109], v[96:97], v[106:107] op_sel:[0,0,1] op_sel_hi:[1,0,0]
	s_delay_alu instid0(VALU_DEP_1)
	v_mov_b32_e32 v111, v107
	ds_load_2addr_b64 v[106:109], v100 offset0:28 offset1:29
	v_pk_add_f32 v[58:59], v[58:59], v[112:113] neg_lo:[0,1] neg_hi:[0,1]
	v_pk_add_f32 v[54:55], v[54:55], v[110:111] neg_lo:[0,1] neg_hi:[0,1]
	s_wait_dscnt 0x0
	v_pk_mul_f32 v[110:111], v[106:107], v[98:99] op_sel:[0,1]
	s_delay_alu instid0(VALU_DEP_1) | instskip(SKIP_1) | instid1(VALU_DEP_1)
	v_pk_fma_f32 v[112:113], v[106:107], v[96:97], v[110:111] op_sel:[0,0,1] op_sel_hi:[1,1,0] neg_lo:[0,0,1] neg_hi:[0,0,1]
	v_pk_fma_f32 v[106:107], v[106:107], v[96:97], v[110:111] op_sel:[0,0,1] op_sel_hi:[1,0,0]
	v_mov_b32_e32 v113, v107
	v_pk_mul_f32 v[106:107], v[108:109], v[98:99] op_sel:[0,1]
	s_delay_alu instid0(VALU_DEP_1) | instskip(SKIP_1) | instid1(VALU_DEP_1)
	v_pk_fma_f32 v[110:111], v[108:109], v[96:97], v[106:107] op_sel:[0,0,1] op_sel_hi:[1,1,0] neg_lo:[0,0,1] neg_hi:[0,0,1]
	v_pk_fma_f32 v[106:107], v[108:109], v[96:97], v[106:107] op_sel:[0,0,1] op_sel_hi:[1,0,0]
	v_mov_b32_e32 v111, v107
	ds_load_2addr_b64 v[106:109], v100 offset0:30 offset1:31
	v_pk_add_f32 v[48:49], v[48:49], v[112:113] neg_lo:[0,1] neg_hi:[0,1]
	v_pk_add_f32 v[40:41], v[40:41], v[110:111] neg_lo:[0,1] neg_hi:[0,1]
	s_wait_dscnt 0x0
	v_dual_mul_f32 v110, v107, v99 :: v_dual_mul_f32 v112, v107, v96
	s_delay_alu instid0(VALU_DEP_1) | instskip(NEXT) | instid1(VALU_DEP_2)
	v_pk_fma_f32 v[110:111], v[106:107], v[90:91], v[110:111] op_sel_hi:[1,1,0] neg_lo:[0,0,1] neg_hi:[0,0,1]
	v_pk_fma_f32 v[106:107], v[106:107], v[90:91], v[112:113] op_sel:[1,0,0] op_sel_hi:[0,1,0]
	s_delay_alu instid0(VALU_DEP_1) | instskip(SKIP_1) | instid1(VALU_DEP_2)
	v_mov_b32_e32 v111, v107
	v_pk_mul_f32 v[106:107], v[108:109], v[98:99] op_sel:[0,1]
	v_pk_add_f32 v[46:47], v[46:47], v[110:111] neg_lo:[0,1] neg_hi:[0,1]
	s_delay_alu instid0(VALU_DEP_2) | instskip(SKIP_1) | instid1(VALU_DEP_1)
	v_pk_fma_f32 v[110:111], v[108:109], v[96:97], v[106:107] op_sel:[0,0,1] op_sel_hi:[1,1,0] neg_lo:[0,0,1] neg_hi:[0,0,1]
	v_pk_fma_f32 v[106:107], v[108:109], v[96:97], v[106:107] op_sel:[0,0,1] op_sel_hi:[1,0,0]
	v_mov_b32_e32 v111, v107
	ds_load_2addr_b64 v[106:109], v100 offset0:32 offset1:33
	v_pk_add_f32 v[38:39], v[38:39], v[110:111] neg_lo:[0,1] neg_hi:[0,1]
	s_wait_dscnt 0x0
	v_pk_mul_f32 v[110:111], v[106:107], v[98:99] op_sel:[0,1]
	s_delay_alu instid0(VALU_DEP_1) | instskip(SKIP_1) | instid1(VALU_DEP_1)
	v_pk_fma_f32 v[112:113], v[106:107], v[96:97], v[110:111] op_sel:[0,0,1] op_sel_hi:[1,1,0] neg_lo:[0,0,1] neg_hi:[0,0,1]
	v_pk_fma_f32 v[106:107], v[106:107], v[96:97], v[110:111] op_sel:[0,0,1] op_sel_hi:[1,0,0]
	v_mov_b32_e32 v113, v107
	v_pk_mul_f32 v[106:107], v[108:109], v[98:99] op_sel:[0,1]
	s_delay_alu instid0(VALU_DEP_2) | instskip(NEXT) | instid1(VALU_DEP_2)
	v_pk_add_f32 v[30:31], v[30:31], v[112:113] neg_lo:[0,1] neg_hi:[0,1]
	v_pk_fma_f32 v[110:111], v[108:109], v[96:97], v[106:107] op_sel:[0,0,1] op_sel_hi:[1,1,0] neg_lo:[0,0,1] neg_hi:[0,0,1]
	v_pk_fma_f32 v[106:107], v[108:109], v[96:97], v[106:107] op_sel:[0,0,1] op_sel_hi:[1,0,0]
	s_delay_alu instid0(VALU_DEP_1) | instskip(SKIP_4) | instid1(VALU_DEP_1)
	v_mov_b32_e32 v111, v107
	ds_load_2addr_b64 v[106:109], v100 offset0:34 offset1:35
	v_pk_add_f32 v[22:23], v[22:23], v[110:111] neg_lo:[0,1] neg_hi:[0,1]
	s_wait_dscnt 0x0
	v_pk_mul_f32 v[110:111], v[106:107], v[98:99] op_sel:[0,1]
	v_pk_fma_f32 v[112:113], v[106:107], v[96:97], v[110:111] op_sel:[0,0,1] op_sel_hi:[1,1,0] neg_lo:[0,0,1] neg_hi:[0,0,1]
	v_pk_fma_f32 v[106:107], v[106:107], v[96:97], v[110:111] op_sel:[0,0,1] op_sel_hi:[1,0,0]
	v_dual_mul_f32 v110, v109, v99 :: v_dual_mov_b32 v106, v109
	s_delay_alu instid0(VALU_DEP_2) | instskip(NEXT) | instid1(VALU_DEP_2)
	v_dual_mov_b32 v113, v107 :: v_dual_mov_b32 v107, v108
	v_pk_fma_f32 v[110:111], v[108:109], v[90:91], v[110:111] op_sel_hi:[1,1,0] neg_lo:[0,0,1] neg_hi:[0,0,1]
	v_mul_f32_e32 v108, v109, v96
	s_delay_alu instid0(VALU_DEP_3) | instskip(NEXT) | instid1(VALU_DEP_2)
	v_pk_add_f32 v[28:29], v[28:29], v[112:113] neg_lo:[0,1] neg_hi:[0,1]
	v_pk_fma_f32 v[106:107], v[106:107], v[90:91], v[108:109] op_sel_hi:[1,1,0]
	s_delay_alu instid0(VALU_DEP_1) | instskip(SKIP_4) | instid1(VALU_DEP_1)
	v_mov_b32_e32 v111, v107
	ds_load_2addr_b64 v[106:109], v100 offset0:36 offset1:37
	v_pk_add_f32 v[20:21], v[20:21], v[110:111] neg_lo:[0,1] neg_hi:[0,1]
	s_wait_dscnt 0x0
	v_pk_mul_f32 v[110:111], v[106:107], v[98:99] op_sel:[0,1]
	v_pk_fma_f32 v[112:113], v[106:107], v[96:97], v[110:111] op_sel:[0,0,1] op_sel_hi:[1,1,0] neg_lo:[0,0,1] neg_hi:[0,0,1]
	v_pk_fma_f32 v[106:107], v[106:107], v[96:97], v[110:111] op_sel:[0,0,1] op_sel_hi:[1,0,0]
	s_delay_alu instid0(VALU_DEP_1) | instskip(SKIP_1) | instid1(VALU_DEP_1)
	v_mov_b32_e32 v113, v107
	v_pk_mul_f32 v[106:107], v[108:109], v[98:99] op_sel:[0,1]
	v_pk_fma_f32 v[110:111], v[108:109], v[96:97], v[106:107] op_sel:[0,0,1] op_sel_hi:[1,1,0] neg_lo:[0,0,1] neg_hi:[0,0,1]
	v_pk_fma_f32 v[106:107], v[108:109], v[96:97], v[106:107] op_sel:[0,0,1] op_sel_hi:[1,0,0]
	s_delay_alu instid0(VALU_DEP_1)
	v_mov_b32_e32 v111, v107
	ds_load_2addr_b64 v[106:109], v100 offset0:38 offset1:39
	v_pk_add_f32 v[14:15], v[14:15], v[112:113] neg_lo:[0,1] neg_hi:[0,1]
	v_pk_add_f32 v[10:11], v[10:11], v[110:111] neg_lo:[0,1] neg_hi:[0,1]
	s_wait_dscnt 0x0
	v_pk_mul_f32 v[110:111], v[106:107], v[98:99] op_sel:[0,1]
	s_delay_alu instid0(VALU_DEP_1) | instskip(SKIP_1) | instid1(VALU_DEP_1)
	v_pk_fma_f32 v[112:113], v[106:107], v[96:97], v[110:111] op_sel:[0,0,1] op_sel_hi:[1,1,0] neg_lo:[0,0,1] neg_hi:[0,0,1]
	v_pk_fma_f32 v[106:107], v[106:107], v[96:97], v[110:111] op_sel:[0,0,1] op_sel_hi:[1,0,0]
	v_mov_b32_e32 v113, v107
	v_pk_mul_f32 v[106:107], v[108:109], v[98:99] op_sel:[0,1]
	s_delay_alu instid0(VALU_DEP_1) | instskip(SKIP_1) | instid1(VALU_DEP_1)
	v_pk_fma_f32 v[110:111], v[108:109], v[96:97], v[106:107] op_sel:[0,0,1] op_sel_hi:[1,1,0] neg_lo:[0,0,1] neg_hi:[0,0,1]
	v_pk_fma_f32 v[106:107], v[108:109], v[96:97], v[106:107] op_sel:[0,0,1] op_sel_hi:[1,0,0]
	v_mov_b32_e32 v111, v107
	ds_load_2addr_b64 v[106:109], v100 offset0:40 offset1:41
	v_pk_add_f32 v[12:13], v[12:13], v[112:113] neg_lo:[0,1] neg_hi:[0,1]
	v_pk_add_f32 v[8:9], v[8:9], v[110:111] neg_lo:[0,1] neg_hi:[0,1]
	s_wait_dscnt 0x0
	v_dual_mul_f32 v110, v107, v99 :: v_dual_mul_f32 v112, v107, v96
	s_delay_alu instid0(VALU_DEP_1) | instskip(NEXT) | instid1(VALU_DEP_2)
	v_pk_fma_f32 v[110:111], v[106:107], v[90:91], v[110:111] op_sel_hi:[1,1,0] neg_lo:[0,0,1] neg_hi:[0,0,1]
	v_pk_fma_f32 v[106:107], v[106:107], v[90:91], v[112:113] op_sel:[1,0,0] op_sel_hi:[0,1,0]
	s_delay_alu instid0(VALU_DEP_1) | instskip(SKIP_1) | instid1(VALU_DEP_2)
	v_mov_b32_e32 v111, v107
	v_pk_mul_f32 v[106:107], v[108:109], v[98:99] op_sel:[0,1]
	v_pk_add_f32 v[6:7], v[6:7], v[110:111] neg_lo:[0,1] neg_hi:[0,1]
	s_delay_alu instid0(VALU_DEP_2) | instskip(SKIP_1) | instid1(VALU_DEP_1)
	v_pk_fma_f32 v[110:111], v[108:109], v[96:97], v[106:107] op_sel:[0,0,1] op_sel_hi:[1,1,0] neg_lo:[0,0,1] neg_hi:[0,0,1]
	v_pk_fma_f32 v[106:107], v[108:109], v[96:97], v[106:107] op_sel:[0,0,1] op_sel_hi:[1,0,0]
	v_mov_b32_e32 v111, v107
	ds_load_2addr_b64 v[106:109], v100 offset0:42 offset1:43
	v_pk_add_f32 v[36:37], v[36:37], v[110:111] neg_lo:[0,1] neg_hi:[0,1]
	s_wait_dscnt 0x0
	v_pk_mul_f32 v[110:111], v[106:107], v[98:99] op_sel:[0,1]
	s_delay_alu instid0(VALU_DEP_1) | instskip(SKIP_1) | instid1(VALU_DEP_1)
	v_pk_fma_f32 v[112:113], v[106:107], v[96:97], v[110:111] op_sel:[0,0,1] op_sel_hi:[1,1,0] neg_lo:[0,0,1] neg_hi:[0,0,1]
	v_pk_fma_f32 v[106:107], v[106:107], v[96:97], v[110:111] op_sel:[0,0,1] op_sel_hi:[1,0,0]
	v_mov_b32_e32 v113, v107
	v_pk_mul_f32 v[106:107], v[108:109], v[98:99] op_sel:[0,1]
	s_delay_alu instid0(VALU_DEP_2) | instskip(NEXT) | instid1(VALU_DEP_2)
	v_pk_add_f32 v[18:19], v[18:19], v[112:113] neg_lo:[0,1] neg_hi:[0,1]
	v_pk_fma_f32 v[110:111], v[108:109], v[96:97], v[106:107] op_sel:[0,0,1] op_sel_hi:[1,1,0] neg_lo:[0,0,1] neg_hi:[0,0,1]
	v_pk_fma_f32 v[106:107], v[108:109], v[96:97], v[106:107] op_sel:[0,0,1] op_sel_hi:[1,0,0]
	s_delay_alu instid0(VALU_DEP_1) | instskip(SKIP_4) | instid1(VALU_DEP_1)
	v_mov_b32_e32 v111, v107
	ds_load_b64 v[106:107], v100 offset:352
	v_pk_add_f32 v[16:17], v[16:17], v[110:111] neg_lo:[0,1] neg_hi:[0,1]
	s_wait_dscnt 0x0
	v_pk_mul_f32 v[98:99], v[106:107], v[98:99] op_sel:[0,1]
	v_pk_fma_f32 v[108:109], v[106:107], v[96:97], v[98:99] op_sel:[0,0,1] op_sel_hi:[1,1,0] neg_lo:[0,0,1] neg_hi:[0,0,1]
	v_pk_fma_f32 v[96:97], v[106:107], v[96:97], v[98:99] op_sel:[0,0,1] op_sel_hi:[1,0,0]
	s_delay_alu instid0(VALU_DEP_1) | instskip(NEXT) | instid1(VALU_DEP_1)
	v_mov_b32_e32 v109, v97
	v_pk_add_f32 v[94:95], v[94:95], v[108:109] neg_lo:[0,1] neg_hi:[0,1]
.LBB88_41:
	s_or_b32 exec_lo, exec_lo, s0
	v_lshl_add_u32 v96, v104, 3, v100
	s_barrier_signal -1
	s_barrier_wait -1
	ds_store_b64 v96, v[88:89]
	s_wait_dscnt 0x0
	s_barrier_signal -1
	s_barrier_wait -1
	ds_load_b64 v[98:99], v100 offset:16
	v_mov_b32_e32 v96, 2
	s_cmp_lt_i32 s18, 4
	s_mov_b32 s0, 3
	s_cbranch_scc1 .LBB88_44
; %bb.42:
	v_add3_u32 v97, v101, 0, 24
	v_mov_b32_e32 v96, 2
.LBB88_43:                              ; =>This Inner Loop Header: Depth=1
	ds_load_b64 v[106:107], v97
	s_wait_dscnt 0x1
	v_cmp_gt_f32_e32 vcc_lo, 0, v98
	v_cndmask_b32_e64 v108, v98, -v98, vcc_lo
	v_cmp_gt_f32_e32 vcc_lo, 0, v99
	v_cndmask_b32_e64 v110, v99, -v99, vcc_lo
	s_wait_dscnt 0x0
	v_cmp_gt_f32_e32 vcc_lo, 0, v106
	v_cndmask_b32_e64 v109, v106, -v106, vcc_lo
	v_cmp_gt_f32_e32 vcc_lo, 0, v107
	v_cndmask_b32_e64 v111, v107, -v107, vcc_lo
	s_delay_alu instid0(VALU_DEP_1) | instskip(NEXT) | instid1(VALU_DEP_1)
	v_pk_add_f32 v[108:109], v[108:109], v[110:111]
	v_cmp_lt_f32_e32 vcc_lo, v108, v109
	v_dual_add_nc_u32 v97, 8, v97 :: v_dual_cndmask_b32 v99, v99, v107, vcc_lo
	v_cndmask_b32_e32 v98, v98, v106, vcc_lo
	v_cndmask_b32_e64 v96, v96, s0, vcc_lo
	s_add_co_i32 s0, s0, 1
	s_delay_alu instid0(SALU_CYCLE_1)
	s_cmp_lg_u32 s18, s0
	s_cbranch_scc1 .LBB88_43
.LBB88_44:
	s_wait_dscnt 0x0
	v_cmp_eq_f32_e32 vcc_lo, 0, v98
	v_cmp_eq_f32_e64 s0, 0, v99
	s_and_b32 s0, vcc_lo, s0
	s_delay_alu instid0(SALU_CYCLE_1) | instskip(NEXT) | instid1(SALU_CYCLE_1)
	s_and_saveexec_b32 s1, s0
	s_xor_b32 s0, exec_lo, s1
; %bb.45:
	v_cmp_ne_u32_e32 vcc_lo, 0, v102
	v_cndmask_b32_e32 v102, 3, v102, vcc_lo
; %bb.46:
	s_and_not1_saveexec_b32 s0, s0
	s_cbranch_execz .LBB88_52
; %bb.47:
	v_cmp_ngt_f32_e64 s1, |v98|, |v99|
	s_and_saveexec_b32 s12, s1
	s_delay_alu instid0(SALU_CYCLE_1)
	s_xor_b32 s1, exec_lo, s12
	s_cbranch_execz .LBB88_49
; %bb.48:
	v_div_scale_f32 v97, null, v99, v99, v98
	v_div_scale_f32 v107, vcc_lo, v98, v99, v98
	s_delay_alu instid0(VALU_DEP_2) | instskip(SKIP_1) | instid1(TRANS32_DEP_1)
	v_rcp_f32_e32 v105, v97
	v_nop
	v_fma_f32 v106, -v97, v105, 1.0
	s_delay_alu instid0(VALU_DEP_1) | instskip(NEXT) | instid1(VALU_DEP_1)
	v_fmac_f32_e32 v105, v106, v105
	v_mul_f32_e32 v106, v107, v105
	s_delay_alu instid0(VALU_DEP_1) | instskip(NEXT) | instid1(VALU_DEP_1)
	v_fma_f32 v108, -v97, v106, v107
	v_fmac_f32_e32 v106, v108, v105
	s_delay_alu instid0(VALU_DEP_1) | instskip(NEXT) | instid1(VALU_DEP_1)
	v_fma_f32 v97, -v97, v106, v107
	v_div_fmas_f32 v97, v97, v105, v106
	s_delay_alu instid0(VALU_DEP_1) | instskip(NEXT) | instid1(VALU_DEP_1)
	v_div_fixup_f32 v97, v97, v99, v98
	v_fmac_f32_e32 v99, v98, v97
	s_delay_alu instid0(VALU_DEP_1) | instskip(SKIP_1) | instid1(VALU_DEP_2)
	v_div_scale_f32 v98, null, v99, v99, 1.0
	v_div_scale_f32 v107, vcc_lo, 1.0, v99, 1.0
	v_rcp_f32_e32 v105, v98
	v_nop
	s_delay_alu instid0(TRANS32_DEP_1) | instskip(NEXT) | instid1(VALU_DEP_1)
	v_fma_f32 v106, -v98, v105, 1.0
	v_fmac_f32_e32 v105, v106, v105
	s_delay_alu instid0(VALU_DEP_1) | instskip(NEXT) | instid1(VALU_DEP_1)
	v_mul_f32_e32 v106, v107, v105
	v_fma_f32 v108, -v98, v106, v107
	s_delay_alu instid0(VALU_DEP_1) | instskip(NEXT) | instid1(VALU_DEP_1)
	v_fmac_f32_e32 v106, v108, v105
	v_fma_f32 v98, -v98, v106, v107
	s_delay_alu instid0(VALU_DEP_1) | instskip(NEXT) | instid1(VALU_DEP_1)
	v_div_fmas_f32 v98, v98, v105, v106
	v_div_fixup_f32 v99, v98, v99, 1.0
	s_delay_alu instid0(VALU_DEP_1)
	v_mul_f32_e32 v98, v97, v99
	v_xor_b32_e32 v99, 0x80000000, v99
.LBB88_49:
	s_and_not1_saveexec_b32 s1, s1
	s_cbranch_execz .LBB88_51
; %bb.50:
	s_delay_alu instid0(VALU_DEP_1) | instskip(SKIP_1) | instid1(VALU_DEP_2)
	v_div_scale_f32 v97, null, v98, v98, v99
	v_div_scale_f32 v107, vcc_lo, v99, v98, v99
	v_rcp_f32_e32 v105, v97
	v_nop
	s_delay_alu instid0(TRANS32_DEP_1) | instskip(NEXT) | instid1(VALU_DEP_1)
	v_fma_f32 v106, -v97, v105, 1.0
	v_fmac_f32_e32 v105, v106, v105
	s_delay_alu instid0(VALU_DEP_1) | instskip(NEXT) | instid1(VALU_DEP_1)
	v_mul_f32_e32 v106, v107, v105
	v_fma_f32 v108, -v97, v106, v107
	s_delay_alu instid0(VALU_DEP_1) | instskip(NEXT) | instid1(VALU_DEP_1)
	v_fmac_f32_e32 v106, v108, v105
	v_fma_f32 v97, -v97, v106, v107
	s_delay_alu instid0(VALU_DEP_1) | instskip(NEXT) | instid1(VALU_DEP_1)
	v_div_fmas_f32 v97, v97, v105, v106
	v_div_fixup_f32 v97, v97, v98, v99
	s_delay_alu instid0(VALU_DEP_1) | instskip(NEXT) | instid1(VALU_DEP_1)
	v_fmac_f32_e32 v98, v99, v97
	v_div_scale_f32 v99, null, v98, v98, 1.0
	s_delay_alu instid0(VALU_DEP_1) | instskip(SKIP_1) | instid1(TRANS32_DEP_1)
	v_rcp_f32_e32 v105, v99
	v_nop
	v_fma_f32 v106, -v99, v105, 1.0
	s_delay_alu instid0(VALU_DEP_1) | instskip(SKIP_1) | instid1(VALU_DEP_1)
	v_fmac_f32_e32 v105, v106, v105
	v_div_scale_f32 v106, vcc_lo, 1.0, v98, 1.0
	v_mul_f32_e32 v107, v106, v105
	s_delay_alu instid0(VALU_DEP_1) | instskip(NEXT) | instid1(VALU_DEP_1)
	v_fma_f32 v108, -v99, v107, v106
	v_fmac_f32_e32 v107, v108, v105
	s_delay_alu instid0(VALU_DEP_1) | instskip(NEXT) | instid1(VALU_DEP_1)
	v_fma_f32 v99, -v99, v107, v106
	v_div_fmas_f32 v99, v99, v105, v107
	s_delay_alu instid0(VALU_DEP_1) | instskip(NEXT) | instid1(VALU_DEP_1)
	v_div_fixup_f32 v98, v99, v98, 1.0
	v_mul_f32_e64 v99, v97, -v98
.LBB88_51:
	s_or_b32 exec_lo, exec_lo, s1
.LBB88_52:
	s_delay_alu instid0(SALU_CYCLE_1) | instskip(NEXT) | instid1(SALU_CYCLE_1)
	s_or_b32 exec_lo, exec_lo, s0
	s_mov_b32 s0, exec_lo
	v_cmpx_ne_u32_e64 v104, v96
	s_xor_b32 s0, exec_lo, s0
	s_cbranch_execz .LBB88_58
; %bb.53:
	s_mov_b32 s1, exec_lo
	v_cmpx_eq_u32_e32 2, v104
	s_cbranch_execz .LBB88_57
; %bb.54:
	v_cmp_ne_u32_e32 vcc_lo, 2, v96
	s_xor_b32 s12, s16, -1
	s_delay_alu instid0(SALU_CYCLE_1) | instskip(NEXT) | instid1(SALU_CYCLE_1)
	s_and_b32 s13, s12, vcc_lo
	s_and_saveexec_b32 s12, s13
	s_cbranch_execz .LBB88_56
; %bb.55:
	v_ashrrev_i32_e32 v97, 31, v96
	s_delay_alu instid0(VALU_DEP_1)
	v_lshl_add_u64 v[104:105], v[96:97], 2, v[4:5]
	s_clause 0x1
	global_load_b32 v97, v[104:105], off
	global_load_b32 v103, v[4:5], off offset:8
	s_wait_loadcnt 0x1
	global_store_b32 v[4:5], v97, off offset:8
	s_wait_loadcnt 0x0
	global_store_b32 v[104:105], v103, off
.LBB88_56:
	s_wait_xcnt 0x0
	s_or_b32 exec_lo, exec_lo, s12
	v_dual_mov_b32 v104, v96 :: v_dual_mov_b32 v103, v96
.LBB88_57:
	s_or_b32 exec_lo, exec_lo, s1
.LBB88_58:
	s_and_not1_saveexec_b32 s0, s0
	s_cbranch_execz .LBB88_60
; %bb.59:
	v_mov_b32_e32 v104, 2
	ds_store_2addr_b64 v100, v[86:87], v[34:35] offset0:3 offset1:4
	ds_store_2addr_b64 v100, v[26:27], v[32:33] offset0:5 offset1:6
	;; [unrolled: 1-line block ×21, first 2 shown]
.LBB88_60:
	s_or_b32 exec_lo, exec_lo, s0
	s_delay_alu instid0(SALU_CYCLE_1)
	s_mov_b32 s0, exec_lo
	s_wait_storecnt_dscnt 0x0
	s_barrier_signal -1
	s_barrier_wait -1
	v_cmpx_lt_i32_e32 2, v104
	s_cbranch_execz .LBB88_62
; %bb.61:
	v_pk_mul_f32 v[106:107], v[98:99], v[88:89] op_sel:[1,1] op_sel_hi:[0,1]
	s_delay_alu instid0(VALU_DEP_1)
	v_pk_fma_f32 v[96:97], v[98:99], v[88:89], v[106:107] op_sel_hi:[1,0,1] neg_lo:[0,0,1] neg_hi:[0,0,1]
	v_pk_fma_f32 v[98:99], v[98:99], v[88:89], v[106:107] op_sel_hi:[1,0,1]
	ds_load_2addr_b64 v[106:109], v100 offset0:3 offset1:4
	v_dual_mov_b32 v88, v96 :: v_dual_mov_b32 v89, v99
	s_wait_dscnt 0x0
	v_pk_mul_f32 v[110:111], v[106:107], v[98:99] op_sel:[0,1]
	s_delay_alu instid0(VALU_DEP_1) | instskip(SKIP_1) | instid1(VALU_DEP_1)
	v_pk_fma_f32 v[112:113], v[106:107], v[96:97], v[110:111] op_sel:[0,0,1] op_sel_hi:[1,1,0] neg_lo:[0,0,1] neg_hi:[0,0,1]
	v_pk_fma_f32 v[106:107], v[106:107], v[96:97], v[110:111] op_sel:[0,0,1] op_sel_hi:[1,0,0]
	v_mov_b32_e32 v113, v107
	v_pk_mul_f32 v[106:107], v[108:109], v[98:99] op_sel:[0,1]
	s_delay_alu instid0(VALU_DEP_1) | instskip(SKIP_1) | instid1(VALU_DEP_1)
	v_pk_fma_f32 v[110:111], v[108:109], v[96:97], v[106:107] op_sel:[0,0,1] op_sel_hi:[1,1,0] neg_lo:[0,0,1] neg_hi:[0,0,1]
	v_pk_fma_f32 v[106:107], v[108:109], v[96:97], v[106:107] op_sel:[0,0,1] op_sel_hi:[1,0,0]
	v_mov_b32_e32 v111, v107
	ds_load_2addr_b64 v[106:109], v100 offset0:5 offset1:6
	v_pk_add_f32 v[86:87], v[86:87], v[112:113] neg_lo:[0,1] neg_hi:[0,1]
	v_pk_add_f32 v[34:35], v[34:35], v[110:111] neg_lo:[0,1] neg_hi:[0,1]
	s_wait_dscnt 0x0
	v_pk_mul_f32 v[110:111], v[106:107], v[98:99] op_sel:[0,1]
	s_delay_alu instid0(VALU_DEP_1) | instskip(SKIP_2) | instid1(VALU_DEP_2)
	v_pk_fma_f32 v[112:113], v[106:107], v[96:97], v[110:111] op_sel:[0,0,1] op_sel_hi:[1,1,0] neg_lo:[0,0,1] neg_hi:[0,0,1]
	v_pk_fma_f32 v[106:107], v[106:107], v[96:97], v[110:111] op_sel:[0,0,1] op_sel_hi:[1,0,0]
	v_dual_mul_f32 v110, v109, v99 :: v_dual_mov_b32 v106, v109
	v_dual_mov_b32 v113, v107 :: v_dual_mov_b32 v107, v108
	s_delay_alu instid0(VALU_DEP_2) | instskip(SKIP_1) | instid1(VALU_DEP_3)
	v_pk_fma_f32 v[110:111], v[108:109], v[88:89], v[110:111] op_sel_hi:[1,1,0] neg_lo:[0,0,1] neg_hi:[0,0,1]
	v_mul_f32_e32 v108, v109, v96
	v_pk_add_f32 v[26:27], v[26:27], v[112:113] neg_lo:[0,1] neg_hi:[0,1]
	s_delay_alu instid0(VALU_DEP_2) | instskip(NEXT) | instid1(VALU_DEP_1)
	v_pk_fma_f32 v[106:107], v[106:107], v[88:89], v[108:109] op_sel_hi:[1,1,0]
	v_mov_b32_e32 v111, v107
	ds_load_2addr_b64 v[106:109], v100 offset0:7 offset1:8
	v_pk_add_f32 v[32:33], v[32:33], v[110:111] neg_lo:[0,1] neg_hi:[0,1]
	s_wait_dscnt 0x0
	v_pk_mul_f32 v[110:111], v[106:107], v[98:99] op_sel:[0,1]
	s_delay_alu instid0(VALU_DEP_1) | instskip(SKIP_1) | instid1(VALU_DEP_1)
	v_pk_fma_f32 v[112:113], v[106:107], v[96:97], v[110:111] op_sel:[0,0,1] op_sel_hi:[1,1,0] neg_lo:[0,0,1] neg_hi:[0,0,1]
	v_pk_fma_f32 v[106:107], v[106:107], v[96:97], v[110:111] op_sel:[0,0,1] op_sel_hi:[1,0,0]
	v_mov_b32_e32 v113, v107
	v_pk_mul_f32 v[106:107], v[108:109], v[98:99] op_sel:[0,1]
	s_delay_alu instid0(VALU_DEP_1) | instskip(SKIP_1) | instid1(VALU_DEP_1)
	v_pk_fma_f32 v[110:111], v[108:109], v[96:97], v[106:107] op_sel:[0,0,1] op_sel_hi:[1,1,0] neg_lo:[0,0,1] neg_hi:[0,0,1]
	v_pk_fma_f32 v[106:107], v[108:109], v[96:97], v[106:107] op_sel:[0,0,1] op_sel_hi:[1,0,0]
	v_mov_b32_e32 v111, v107
	ds_load_2addr_b64 v[106:109], v100 offset0:9 offset1:10
	v_pk_add_f32 v[24:25], v[24:25], v[112:113] neg_lo:[0,1] neg_hi:[0,1]
	v_pk_add_f32 v[52:53], v[52:53], v[110:111] neg_lo:[0,1] neg_hi:[0,1]
	s_wait_dscnt 0x0
	v_pk_mul_f32 v[110:111], v[106:107], v[98:99] op_sel:[0,1]
	s_delay_alu instid0(VALU_DEP_1) | instskip(SKIP_1) | instid1(VALU_DEP_1)
	v_pk_fma_f32 v[112:113], v[106:107], v[96:97], v[110:111] op_sel:[0,0,1] op_sel_hi:[1,1,0] neg_lo:[0,0,1] neg_hi:[0,0,1]
	v_pk_fma_f32 v[106:107], v[106:107], v[96:97], v[110:111] op_sel:[0,0,1] op_sel_hi:[1,0,0]
	v_mov_b32_e32 v113, v107
	v_pk_mul_f32 v[106:107], v[108:109], v[98:99] op_sel:[0,1]
	s_delay_alu instid0(VALU_DEP_1) | instskip(SKIP_1) | instid1(VALU_DEP_1)
	v_pk_fma_f32 v[110:111], v[108:109], v[96:97], v[106:107] op_sel:[0,0,1] op_sel_hi:[1,1,0] neg_lo:[0,0,1] neg_hi:[0,0,1]
	v_pk_fma_f32 v[106:107], v[108:109], v[96:97], v[106:107] op_sel:[0,0,1] op_sel_hi:[1,0,0]
	v_mov_b32_e32 v111, v107
	ds_load_2addr_b64 v[106:109], v100 offset0:11 offset1:12
	v_pk_add_f32 v[44:45], v[44:45], v[112:113] neg_lo:[0,1] neg_hi:[0,1]
	v_pk_add_f32 v[50:51], v[50:51], v[110:111] neg_lo:[0,1] neg_hi:[0,1]
	s_wait_dscnt 0x0
	v_dual_mul_f32 v110, v107, v99 :: v_dual_mul_f32 v112, v107, v96
	s_delay_alu instid0(VALU_DEP_1) | instskip(NEXT) | instid1(VALU_DEP_2)
	v_pk_fma_f32 v[110:111], v[106:107], v[88:89], v[110:111] op_sel_hi:[1,1,0] neg_lo:[0,0,1] neg_hi:[0,0,1]
	v_pk_fma_f32 v[106:107], v[106:107], v[88:89], v[112:113] op_sel:[1,0,0] op_sel_hi:[0,1,0]
	s_delay_alu instid0(VALU_DEP_1) | instskip(SKIP_1) | instid1(VALU_DEP_2)
	v_mov_b32_e32 v111, v107
	v_pk_mul_f32 v[106:107], v[108:109], v[98:99] op_sel:[0,1]
	v_pk_add_f32 v[42:43], v[42:43], v[110:111] neg_lo:[0,1] neg_hi:[0,1]
	s_delay_alu instid0(VALU_DEP_2) | instskip(SKIP_1) | instid1(VALU_DEP_1)
	v_pk_fma_f32 v[110:111], v[108:109], v[96:97], v[106:107] op_sel:[0,0,1] op_sel_hi:[1,1,0] neg_lo:[0,0,1] neg_hi:[0,0,1]
	v_pk_fma_f32 v[106:107], v[108:109], v[96:97], v[106:107] op_sel:[0,0,1] op_sel_hi:[1,0,0]
	v_mov_b32_e32 v111, v107
	ds_load_2addr_b64 v[106:109], v100 offset0:13 offset1:14
	v_pk_add_f32 v[84:85], v[84:85], v[110:111] neg_lo:[0,1] neg_hi:[0,1]
	s_wait_dscnt 0x0
	v_pk_mul_f32 v[110:111], v[106:107], v[98:99] op_sel:[0,1]
	s_delay_alu instid0(VALU_DEP_1) | instskip(SKIP_1) | instid1(VALU_DEP_1)
	v_pk_fma_f32 v[112:113], v[106:107], v[96:97], v[110:111] op_sel:[0,0,1] op_sel_hi:[1,1,0] neg_lo:[0,0,1] neg_hi:[0,0,1]
	v_pk_fma_f32 v[106:107], v[106:107], v[96:97], v[110:111] op_sel:[0,0,1] op_sel_hi:[1,0,0]
	v_mov_b32_e32 v113, v107
	v_pk_mul_f32 v[106:107], v[108:109], v[98:99] op_sel:[0,1]
	s_delay_alu instid0(VALU_DEP_2) | instskip(NEXT) | instid1(VALU_DEP_2)
	v_pk_add_f32 v[80:81], v[80:81], v[112:113] neg_lo:[0,1] neg_hi:[0,1]
	v_pk_fma_f32 v[110:111], v[108:109], v[96:97], v[106:107] op_sel:[0,0,1] op_sel_hi:[1,1,0] neg_lo:[0,0,1] neg_hi:[0,0,1]
	v_pk_fma_f32 v[106:107], v[108:109], v[96:97], v[106:107] op_sel:[0,0,1] op_sel_hi:[1,0,0]
	s_delay_alu instid0(VALU_DEP_1) | instskip(SKIP_4) | instid1(VALU_DEP_1)
	v_mov_b32_e32 v111, v107
	ds_load_2addr_b64 v[106:109], v100 offset0:15 offset1:16
	v_pk_add_f32 v[82:83], v[82:83], v[110:111] neg_lo:[0,1] neg_hi:[0,1]
	s_wait_dscnt 0x0
	v_pk_mul_f32 v[110:111], v[106:107], v[98:99] op_sel:[0,1]
	v_pk_fma_f32 v[112:113], v[106:107], v[96:97], v[110:111] op_sel:[0,0,1] op_sel_hi:[1,1,0] neg_lo:[0,0,1] neg_hi:[0,0,1]
	v_pk_fma_f32 v[106:107], v[106:107], v[96:97], v[110:111] op_sel:[0,0,1] op_sel_hi:[1,0,0]
	v_dual_mul_f32 v110, v109, v99 :: v_dual_mov_b32 v106, v109
	s_delay_alu instid0(VALU_DEP_2) | instskip(NEXT) | instid1(VALU_DEP_2)
	v_dual_mov_b32 v113, v107 :: v_dual_mov_b32 v107, v108
	v_pk_fma_f32 v[110:111], v[108:109], v[88:89], v[110:111] op_sel_hi:[1,1,0] neg_lo:[0,0,1] neg_hi:[0,0,1]
	v_mul_f32_e32 v108, v109, v96
	s_delay_alu instid0(VALU_DEP_3) | instskip(NEXT) | instid1(VALU_DEP_2)
	v_pk_add_f32 v[78:79], v[78:79], v[112:113] neg_lo:[0,1] neg_hi:[0,1]
	v_pk_fma_f32 v[106:107], v[106:107], v[88:89], v[108:109] op_sel_hi:[1,1,0]
	s_delay_alu instid0(VALU_DEP_1) | instskip(SKIP_4) | instid1(VALU_DEP_1)
	v_mov_b32_e32 v111, v107
	ds_load_2addr_b64 v[106:109], v100 offset0:17 offset1:18
	v_pk_add_f32 v[76:77], v[76:77], v[110:111] neg_lo:[0,1] neg_hi:[0,1]
	s_wait_dscnt 0x0
	v_pk_mul_f32 v[110:111], v[106:107], v[98:99] op_sel:[0,1]
	v_pk_fma_f32 v[112:113], v[106:107], v[96:97], v[110:111] op_sel:[0,0,1] op_sel_hi:[1,1,0] neg_lo:[0,0,1] neg_hi:[0,0,1]
	v_pk_fma_f32 v[106:107], v[106:107], v[96:97], v[110:111] op_sel:[0,0,1] op_sel_hi:[1,0,0]
	s_delay_alu instid0(VALU_DEP_1) | instskip(SKIP_1) | instid1(VALU_DEP_1)
	v_mov_b32_e32 v113, v107
	v_pk_mul_f32 v[106:107], v[108:109], v[98:99] op_sel:[0,1]
	v_pk_fma_f32 v[110:111], v[108:109], v[96:97], v[106:107] op_sel:[0,0,1] op_sel_hi:[1,1,0] neg_lo:[0,0,1] neg_hi:[0,0,1]
	v_pk_fma_f32 v[106:107], v[108:109], v[96:97], v[106:107] op_sel:[0,0,1] op_sel_hi:[1,0,0]
	s_delay_alu instid0(VALU_DEP_1)
	v_mov_b32_e32 v111, v107
	ds_load_2addr_b64 v[106:109], v100 offset0:19 offset1:20
	v_pk_add_f32 v[72:73], v[72:73], v[112:113] neg_lo:[0,1] neg_hi:[0,1]
	v_pk_add_f32 v[74:75], v[74:75], v[110:111] neg_lo:[0,1] neg_hi:[0,1]
	s_wait_dscnt 0x0
	v_pk_mul_f32 v[110:111], v[106:107], v[98:99] op_sel:[0,1]
	s_delay_alu instid0(VALU_DEP_1) | instskip(SKIP_1) | instid1(VALU_DEP_1)
	v_pk_fma_f32 v[112:113], v[106:107], v[96:97], v[110:111] op_sel:[0,0,1] op_sel_hi:[1,1,0] neg_lo:[0,0,1] neg_hi:[0,0,1]
	v_pk_fma_f32 v[106:107], v[106:107], v[96:97], v[110:111] op_sel:[0,0,1] op_sel_hi:[1,0,0]
	v_mov_b32_e32 v113, v107
	v_pk_mul_f32 v[106:107], v[108:109], v[98:99] op_sel:[0,1]
	s_delay_alu instid0(VALU_DEP_1) | instskip(SKIP_1) | instid1(VALU_DEP_1)
	v_pk_fma_f32 v[110:111], v[108:109], v[96:97], v[106:107] op_sel:[0,0,1] op_sel_hi:[1,1,0] neg_lo:[0,0,1] neg_hi:[0,0,1]
	v_pk_fma_f32 v[106:107], v[108:109], v[96:97], v[106:107] op_sel:[0,0,1] op_sel_hi:[1,0,0]
	v_mov_b32_e32 v111, v107
	ds_load_2addr_b64 v[106:109], v100 offset0:21 offset1:22
	v_pk_add_f32 v[70:71], v[70:71], v[112:113] neg_lo:[0,1] neg_hi:[0,1]
	v_pk_add_f32 v[68:69], v[68:69], v[110:111] neg_lo:[0,1] neg_hi:[0,1]
	s_wait_dscnt 0x0
	v_dual_mul_f32 v110, v107, v99 :: v_dual_mul_f32 v112, v107, v96
	s_delay_alu instid0(VALU_DEP_1) | instskip(NEXT) | instid1(VALU_DEP_2)
	v_pk_fma_f32 v[110:111], v[106:107], v[88:89], v[110:111] op_sel_hi:[1,1,0] neg_lo:[0,0,1] neg_hi:[0,0,1]
	v_pk_fma_f32 v[106:107], v[106:107], v[88:89], v[112:113] op_sel:[1,0,0] op_sel_hi:[0,1,0]
	s_delay_alu instid0(VALU_DEP_1) | instskip(SKIP_1) | instid1(VALU_DEP_2)
	v_mov_b32_e32 v111, v107
	v_pk_mul_f32 v[106:107], v[108:109], v[98:99] op_sel:[0,1]
	v_pk_add_f32 v[64:65], v[64:65], v[110:111] neg_lo:[0,1] neg_hi:[0,1]
	s_delay_alu instid0(VALU_DEP_2) | instskip(SKIP_1) | instid1(VALU_DEP_1)
	v_pk_fma_f32 v[110:111], v[108:109], v[96:97], v[106:107] op_sel:[0,0,1] op_sel_hi:[1,1,0] neg_lo:[0,0,1] neg_hi:[0,0,1]
	v_pk_fma_f32 v[106:107], v[108:109], v[96:97], v[106:107] op_sel:[0,0,1] op_sel_hi:[1,0,0]
	v_mov_b32_e32 v111, v107
	ds_load_2addr_b64 v[106:109], v100 offset0:23 offset1:24
	v_pk_add_f32 v[66:67], v[66:67], v[110:111] neg_lo:[0,1] neg_hi:[0,1]
	s_wait_dscnt 0x0
	v_pk_mul_f32 v[110:111], v[106:107], v[98:99] op_sel:[0,1]
	s_delay_alu instid0(VALU_DEP_1) | instskip(SKIP_1) | instid1(VALU_DEP_1)
	v_pk_fma_f32 v[112:113], v[106:107], v[96:97], v[110:111] op_sel:[0,0,1] op_sel_hi:[1,1,0] neg_lo:[0,0,1] neg_hi:[0,0,1]
	v_pk_fma_f32 v[106:107], v[106:107], v[96:97], v[110:111] op_sel:[0,0,1] op_sel_hi:[1,0,0]
	v_mov_b32_e32 v113, v107
	v_pk_mul_f32 v[106:107], v[108:109], v[98:99] op_sel:[0,1]
	s_delay_alu instid0(VALU_DEP_2) | instskip(NEXT) | instid1(VALU_DEP_2)
	v_pk_add_f32 v[62:63], v[62:63], v[112:113] neg_lo:[0,1] neg_hi:[0,1]
	v_pk_fma_f32 v[110:111], v[108:109], v[96:97], v[106:107] op_sel:[0,0,1] op_sel_hi:[1,1,0] neg_lo:[0,0,1] neg_hi:[0,0,1]
	v_pk_fma_f32 v[106:107], v[108:109], v[96:97], v[106:107] op_sel:[0,0,1] op_sel_hi:[1,0,0]
	s_delay_alu instid0(VALU_DEP_1) | instskip(SKIP_4) | instid1(VALU_DEP_1)
	v_mov_b32_e32 v111, v107
	ds_load_2addr_b64 v[106:109], v100 offset0:25 offset1:26
	v_pk_add_f32 v[60:61], v[60:61], v[110:111] neg_lo:[0,1] neg_hi:[0,1]
	s_wait_dscnt 0x0
	v_pk_mul_f32 v[110:111], v[106:107], v[98:99] op_sel:[0,1]
	v_pk_fma_f32 v[112:113], v[106:107], v[96:97], v[110:111] op_sel:[0,0,1] op_sel_hi:[1,1,0] neg_lo:[0,0,1] neg_hi:[0,0,1]
	v_pk_fma_f32 v[106:107], v[106:107], v[96:97], v[110:111] op_sel:[0,0,1] op_sel_hi:[1,0,0]
	v_dual_mul_f32 v110, v109, v99 :: v_dual_mov_b32 v106, v109
	s_delay_alu instid0(VALU_DEP_2) | instskip(NEXT) | instid1(VALU_DEP_2)
	v_dual_mov_b32 v113, v107 :: v_dual_mov_b32 v107, v108
	v_pk_fma_f32 v[110:111], v[108:109], v[88:89], v[110:111] op_sel_hi:[1,1,0] neg_lo:[0,0,1] neg_hi:[0,0,1]
	v_mul_f32_e32 v108, v109, v96
	s_delay_alu instid0(VALU_DEP_3) | instskip(NEXT) | instid1(VALU_DEP_2)
	v_pk_add_f32 v[56:57], v[56:57], v[112:113] neg_lo:[0,1] neg_hi:[0,1]
	v_pk_fma_f32 v[106:107], v[106:107], v[88:89], v[108:109] op_sel_hi:[1,1,0]
	s_delay_alu instid0(VALU_DEP_1) | instskip(SKIP_4) | instid1(VALU_DEP_1)
	v_mov_b32_e32 v111, v107
	ds_load_2addr_b64 v[106:109], v100 offset0:27 offset1:28
	v_pk_add_f32 v[58:59], v[58:59], v[110:111] neg_lo:[0,1] neg_hi:[0,1]
	s_wait_dscnt 0x0
	v_pk_mul_f32 v[110:111], v[106:107], v[98:99] op_sel:[0,1]
	v_pk_fma_f32 v[112:113], v[106:107], v[96:97], v[110:111] op_sel:[0,0,1] op_sel_hi:[1,1,0] neg_lo:[0,0,1] neg_hi:[0,0,1]
	v_pk_fma_f32 v[106:107], v[106:107], v[96:97], v[110:111] op_sel:[0,0,1] op_sel_hi:[1,0,0]
	s_delay_alu instid0(VALU_DEP_1) | instskip(SKIP_1) | instid1(VALU_DEP_1)
	v_mov_b32_e32 v113, v107
	v_pk_mul_f32 v[106:107], v[108:109], v[98:99] op_sel:[0,1]
	v_pk_fma_f32 v[110:111], v[108:109], v[96:97], v[106:107] op_sel:[0,0,1] op_sel_hi:[1,1,0] neg_lo:[0,0,1] neg_hi:[0,0,1]
	v_pk_fma_f32 v[106:107], v[108:109], v[96:97], v[106:107] op_sel:[0,0,1] op_sel_hi:[1,0,0]
	s_delay_alu instid0(VALU_DEP_1)
	v_mov_b32_e32 v111, v107
	ds_load_2addr_b64 v[106:109], v100 offset0:29 offset1:30
	v_pk_add_f32 v[54:55], v[54:55], v[112:113] neg_lo:[0,1] neg_hi:[0,1]
	v_pk_add_f32 v[48:49], v[48:49], v[110:111] neg_lo:[0,1] neg_hi:[0,1]
	s_wait_dscnt 0x0
	v_pk_mul_f32 v[110:111], v[106:107], v[98:99] op_sel:[0,1]
	s_delay_alu instid0(VALU_DEP_1) | instskip(SKIP_1) | instid1(VALU_DEP_1)
	v_pk_fma_f32 v[112:113], v[106:107], v[96:97], v[110:111] op_sel:[0,0,1] op_sel_hi:[1,1,0] neg_lo:[0,0,1] neg_hi:[0,0,1]
	v_pk_fma_f32 v[106:107], v[106:107], v[96:97], v[110:111] op_sel:[0,0,1] op_sel_hi:[1,0,0]
	v_mov_b32_e32 v113, v107
	v_pk_mul_f32 v[106:107], v[108:109], v[98:99] op_sel:[0,1]
	s_delay_alu instid0(VALU_DEP_1) | instskip(SKIP_1) | instid1(VALU_DEP_1)
	v_pk_fma_f32 v[110:111], v[108:109], v[96:97], v[106:107] op_sel:[0,0,1] op_sel_hi:[1,1,0] neg_lo:[0,0,1] neg_hi:[0,0,1]
	v_pk_fma_f32 v[106:107], v[108:109], v[96:97], v[106:107] op_sel:[0,0,1] op_sel_hi:[1,0,0]
	v_mov_b32_e32 v111, v107
	ds_load_2addr_b64 v[106:109], v100 offset0:31 offset1:32
	v_pk_add_f32 v[40:41], v[40:41], v[112:113] neg_lo:[0,1] neg_hi:[0,1]
	v_pk_add_f32 v[46:47], v[46:47], v[110:111] neg_lo:[0,1] neg_hi:[0,1]
	s_wait_dscnt 0x0
	v_dual_mul_f32 v110, v107, v99 :: v_dual_mul_f32 v112, v107, v96
	s_delay_alu instid0(VALU_DEP_1) | instskip(NEXT) | instid1(VALU_DEP_2)
	v_pk_fma_f32 v[110:111], v[106:107], v[88:89], v[110:111] op_sel_hi:[1,1,0] neg_lo:[0,0,1] neg_hi:[0,0,1]
	v_pk_fma_f32 v[106:107], v[106:107], v[88:89], v[112:113] op_sel:[1,0,0] op_sel_hi:[0,1,0]
	s_delay_alu instid0(VALU_DEP_1) | instskip(SKIP_1) | instid1(VALU_DEP_2)
	v_mov_b32_e32 v111, v107
	v_pk_mul_f32 v[106:107], v[108:109], v[98:99] op_sel:[0,1]
	v_pk_add_f32 v[38:39], v[38:39], v[110:111] neg_lo:[0,1] neg_hi:[0,1]
	s_delay_alu instid0(VALU_DEP_2) | instskip(SKIP_1) | instid1(VALU_DEP_1)
	v_pk_fma_f32 v[110:111], v[108:109], v[96:97], v[106:107] op_sel:[0,0,1] op_sel_hi:[1,1,0] neg_lo:[0,0,1] neg_hi:[0,0,1]
	v_pk_fma_f32 v[106:107], v[108:109], v[96:97], v[106:107] op_sel:[0,0,1] op_sel_hi:[1,0,0]
	v_mov_b32_e32 v111, v107
	ds_load_2addr_b64 v[106:109], v100 offset0:33 offset1:34
	v_pk_add_f32 v[30:31], v[30:31], v[110:111] neg_lo:[0,1] neg_hi:[0,1]
	s_wait_dscnt 0x0
	v_pk_mul_f32 v[110:111], v[106:107], v[98:99] op_sel:[0,1]
	s_delay_alu instid0(VALU_DEP_1) | instskip(SKIP_1) | instid1(VALU_DEP_1)
	v_pk_fma_f32 v[112:113], v[106:107], v[96:97], v[110:111] op_sel:[0,0,1] op_sel_hi:[1,1,0] neg_lo:[0,0,1] neg_hi:[0,0,1]
	v_pk_fma_f32 v[106:107], v[106:107], v[96:97], v[110:111] op_sel:[0,0,1] op_sel_hi:[1,0,0]
	v_mov_b32_e32 v113, v107
	v_pk_mul_f32 v[106:107], v[108:109], v[98:99] op_sel:[0,1]
	s_delay_alu instid0(VALU_DEP_2) | instskip(NEXT) | instid1(VALU_DEP_2)
	v_pk_add_f32 v[22:23], v[22:23], v[112:113] neg_lo:[0,1] neg_hi:[0,1]
	v_pk_fma_f32 v[110:111], v[108:109], v[96:97], v[106:107] op_sel:[0,0,1] op_sel_hi:[1,1,0] neg_lo:[0,0,1] neg_hi:[0,0,1]
	v_pk_fma_f32 v[106:107], v[108:109], v[96:97], v[106:107] op_sel:[0,0,1] op_sel_hi:[1,0,0]
	s_delay_alu instid0(VALU_DEP_1) | instskip(SKIP_4) | instid1(VALU_DEP_1)
	v_mov_b32_e32 v111, v107
	ds_load_2addr_b64 v[106:109], v100 offset0:35 offset1:36
	v_pk_add_f32 v[28:29], v[28:29], v[110:111] neg_lo:[0,1] neg_hi:[0,1]
	s_wait_dscnt 0x0
	v_pk_mul_f32 v[110:111], v[106:107], v[98:99] op_sel:[0,1]
	v_pk_fma_f32 v[112:113], v[106:107], v[96:97], v[110:111] op_sel:[0,0,1] op_sel_hi:[1,1,0] neg_lo:[0,0,1] neg_hi:[0,0,1]
	v_pk_fma_f32 v[106:107], v[106:107], v[96:97], v[110:111] op_sel:[0,0,1] op_sel_hi:[1,0,0]
	v_dual_mul_f32 v110, v109, v99 :: v_dual_mov_b32 v106, v109
	s_delay_alu instid0(VALU_DEP_2) | instskip(NEXT) | instid1(VALU_DEP_2)
	v_dual_mov_b32 v113, v107 :: v_dual_mov_b32 v107, v108
	v_pk_fma_f32 v[110:111], v[108:109], v[88:89], v[110:111] op_sel_hi:[1,1,0] neg_lo:[0,0,1] neg_hi:[0,0,1]
	v_mul_f32_e32 v108, v109, v96
	s_delay_alu instid0(VALU_DEP_3) | instskip(NEXT) | instid1(VALU_DEP_2)
	v_pk_add_f32 v[20:21], v[20:21], v[112:113] neg_lo:[0,1] neg_hi:[0,1]
	v_pk_fma_f32 v[106:107], v[106:107], v[88:89], v[108:109] op_sel_hi:[1,1,0]
	s_delay_alu instid0(VALU_DEP_1) | instskip(SKIP_4) | instid1(VALU_DEP_1)
	v_mov_b32_e32 v111, v107
	ds_load_2addr_b64 v[106:109], v100 offset0:37 offset1:38
	v_pk_add_f32 v[14:15], v[14:15], v[110:111] neg_lo:[0,1] neg_hi:[0,1]
	s_wait_dscnt 0x0
	v_pk_mul_f32 v[110:111], v[106:107], v[98:99] op_sel:[0,1]
	v_pk_fma_f32 v[112:113], v[106:107], v[96:97], v[110:111] op_sel:[0,0,1] op_sel_hi:[1,1,0] neg_lo:[0,0,1] neg_hi:[0,0,1]
	v_pk_fma_f32 v[106:107], v[106:107], v[96:97], v[110:111] op_sel:[0,0,1] op_sel_hi:[1,0,0]
	s_delay_alu instid0(VALU_DEP_1) | instskip(SKIP_1) | instid1(VALU_DEP_1)
	v_mov_b32_e32 v113, v107
	v_pk_mul_f32 v[106:107], v[108:109], v[98:99] op_sel:[0,1]
	v_pk_fma_f32 v[110:111], v[108:109], v[96:97], v[106:107] op_sel:[0,0,1] op_sel_hi:[1,1,0] neg_lo:[0,0,1] neg_hi:[0,0,1]
	v_pk_fma_f32 v[106:107], v[108:109], v[96:97], v[106:107] op_sel:[0,0,1] op_sel_hi:[1,0,0]
	s_delay_alu instid0(VALU_DEP_1)
	v_mov_b32_e32 v111, v107
	ds_load_2addr_b64 v[106:109], v100 offset0:39 offset1:40
	v_pk_add_f32 v[10:11], v[10:11], v[112:113] neg_lo:[0,1] neg_hi:[0,1]
	v_pk_add_f32 v[12:13], v[12:13], v[110:111] neg_lo:[0,1] neg_hi:[0,1]
	s_wait_dscnt 0x0
	v_pk_mul_f32 v[110:111], v[106:107], v[98:99] op_sel:[0,1]
	s_delay_alu instid0(VALU_DEP_1) | instskip(SKIP_1) | instid1(VALU_DEP_1)
	v_pk_fma_f32 v[112:113], v[106:107], v[96:97], v[110:111] op_sel:[0,0,1] op_sel_hi:[1,1,0] neg_lo:[0,0,1] neg_hi:[0,0,1]
	v_pk_fma_f32 v[106:107], v[106:107], v[96:97], v[110:111] op_sel:[0,0,1] op_sel_hi:[1,0,0]
	v_mov_b32_e32 v113, v107
	v_pk_mul_f32 v[106:107], v[108:109], v[98:99] op_sel:[0,1]
	s_delay_alu instid0(VALU_DEP_1) | instskip(SKIP_1) | instid1(VALU_DEP_1)
	v_pk_fma_f32 v[110:111], v[108:109], v[96:97], v[106:107] op_sel:[0,0,1] op_sel_hi:[1,1,0] neg_lo:[0,0,1] neg_hi:[0,0,1]
	v_pk_fma_f32 v[106:107], v[108:109], v[96:97], v[106:107] op_sel:[0,0,1] op_sel_hi:[1,0,0]
	v_mov_b32_e32 v111, v107
	ds_load_2addr_b64 v[106:109], v100 offset0:41 offset1:42
	v_pk_add_f32 v[8:9], v[8:9], v[112:113] neg_lo:[0,1] neg_hi:[0,1]
	v_pk_add_f32 v[6:7], v[6:7], v[110:111] neg_lo:[0,1] neg_hi:[0,1]
	s_wait_dscnt 0x0
	v_dual_mul_f32 v110, v107, v99 :: v_dual_mul_f32 v112, v107, v96
	s_delay_alu instid0(VALU_DEP_1) | instskip(NEXT) | instid1(VALU_DEP_2)
	v_pk_fma_f32 v[110:111], v[106:107], v[88:89], v[110:111] op_sel_hi:[1,1,0] neg_lo:[0,0,1] neg_hi:[0,0,1]
	v_pk_fma_f32 v[106:107], v[106:107], v[88:89], v[112:113] op_sel:[1,0,0] op_sel_hi:[0,1,0]
	s_delay_alu instid0(VALU_DEP_1) | instskip(SKIP_1) | instid1(VALU_DEP_2)
	v_mov_b32_e32 v111, v107
	v_pk_mul_f32 v[106:107], v[108:109], v[98:99] op_sel:[0,1]
	v_pk_add_f32 v[36:37], v[36:37], v[110:111] neg_lo:[0,1] neg_hi:[0,1]
	s_delay_alu instid0(VALU_DEP_2) | instskip(SKIP_1) | instid1(VALU_DEP_1)
	v_pk_fma_f32 v[110:111], v[108:109], v[96:97], v[106:107] op_sel:[0,0,1] op_sel_hi:[1,1,0] neg_lo:[0,0,1] neg_hi:[0,0,1]
	v_pk_fma_f32 v[106:107], v[108:109], v[96:97], v[106:107] op_sel:[0,0,1] op_sel_hi:[1,0,0]
	v_mov_b32_e32 v111, v107
	ds_load_2addr_b64 v[106:109], v100 offset0:43 offset1:44
	v_pk_add_f32 v[18:19], v[18:19], v[110:111] neg_lo:[0,1] neg_hi:[0,1]
	s_wait_dscnt 0x0
	v_pk_mul_f32 v[110:111], v[106:107], v[98:99] op_sel:[0,1]
	v_mul_f32_e32 v98, v109, v99
	s_delay_alu instid0(VALU_DEP_2) | instskip(SKIP_2) | instid1(VALU_DEP_4)
	v_pk_fma_f32 v[112:113], v[106:107], v[96:97], v[110:111] op_sel:[0,0,1] op_sel_hi:[1,1,0] neg_lo:[0,0,1] neg_hi:[0,0,1]
	v_pk_fma_f32 v[106:107], v[106:107], v[96:97], v[110:111] op_sel:[0,0,1] op_sel_hi:[1,0,0]
	v_dual_mov_b32 v106, v109 :: v_dual_mul_f32 v96, v109, v96
	v_pk_fma_f32 v[98:99], v[108:109], v[88:89], v[98:99] op_sel_hi:[1,1,0] neg_lo:[0,0,1] neg_hi:[0,0,1]
	s_delay_alu instid0(VALU_DEP_3) | instskip(NEXT) | instid1(VALU_DEP_1)
	v_dual_mov_b32 v113, v107 :: v_dual_mov_b32 v107, v108
	v_pk_add_f32 v[16:17], v[16:17], v[112:113] neg_lo:[0,1] neg_hi:[0,1]
	s_delay_alu instid0(VALU_DEP_2) | instskip(NEXT) | instid1(VALU_DEP_1)
	v_pk_fma_f32 v[96:97], v[106:107], v[88:89], v[96:97] op_sel_hi:[1,1,0]
	v_mov_b32_e32 v99, v97
	s_delay_alu instid0(VALU_DEP_1)
	v_pk_add_f32 v[94:95], v[94:95], v[98:99] neg_lo:[0,1] neg_hi:[0,1]
.LBB88_62:
	s_or_b32 exec_lo, exec_lo, s0
	v_lshl_add_u32 v96, v104, 3, v100
	s_barrier_signal -1
	s_barrier_wait -1
	ds_store_b64 v96, v[86:87]
	s_wait_dscnt 0x0
	s_barrier_signal -1
	s_barrier_wait -1
	ds_load_b64 v[98:99], v100 offset:24
	v_mov_b32_e32 v96, 3
	s_cmp_lt_i32 s18, 5
	s_cbranch_scc1 .LBB88_65
; %bb.63:
	v_mov_b32_e32 v96, 3
	v_add3_u32 v97, v101, 0, 32
	s_mov_b32 s0, 4
.LBB88_64:                              ; =>This Inner Loop Header: Depth=1
	ds_load_b64 v[106:107], v97
	s_wait_dscnt 0x1
	v_cmp_gt_f32_e32 vcc_lo, 0, v98
	v_cndmask_b32_e64 v108, v98, -v98, vcc_lo
	v_cmp_gt_f32_e32 vcc_lo, 0, v99
	v_cndmask_b32_e64 v110, v99, -v99, vcc_lo
	s_wait_dscnt 0x0
	v_cmp_gt_f32_e32 vcc_lo, 0, v106
	v_cndmask_b32_e64 v109, v106, -v106, vcc_lo
	v_cmp_gt_f32_e32 vcc_lo, 0, v107
	v_cndmask_b32_e64 v111, v107, -v107, vcc_lo
	s_delay_alu instid0(VALU_DEP_1) | instskip(NEXT) | instid1(VALU_DEP_1)
	v_pk_add_f32 v[108:109], v[108:109], v[110:111]
	v_cmp_lt_f32_e32 vcc_lo, v108, v109
	v_dual_add_nc_u32 v97, 8, v97 :: v_dual_cndmask_b32 v99, v99, v107, vcc_lo
	v_cndmask_b32_e32 v98, v98, v106, vcc_lo
	v_cndmask_b32_e64 v96, v96, s0, vcc_lo
	s_add_co_i32 s0, s0, 1
	s_delay_alu instid0(SALU_CYCLE_1)
	s_cmp_lg_u32 s18, s0
	s_cbranch_scc1 .LBB88_64
.LBB88_65:
	s_wait_dscnt 0x0
	v_cmp_eq_f32_e32 vcc_lo, 0, v98
	v_cmp_eq_f32_e64 s0, 0, v99
	s_and_b32 s0, vcc_lo, s0
	s_delay_alu instid0(SALU_CYCLE_1) | instskip(NEXT) | instid1(SALU_CYCLE_1)
	s_and_saveexec_b32 s1, s0
	s_xor_b32 s0, exec_lo, s1
; %bb.66:
	v_cmp_ne_u32_e32 vcc_lo, 0, v102
	v_cndmask_b32_e32 v102, 4, v102, vcc_lo
; %bb.67:
	s_and_not1_saveexec_b32 s0, s0
	s_cbranch_execz .LBB88_73
; %bb.68:
	v_cmp_ngt_f32_e64 s1, |v98|, |v99|
	s_and_saveexec_b32 s12, s1
	s_delay_alu instid0(SALU_CYCLE_1)
	s_xor_b32 s1, exec_lo, s12
	s_cbranch_execz .LBB88_70
; %bb.69:
	v_div_scale_f32 v97, null, v99, v99, v98
	v_div_scale_f32 v107, vcc_lo, v98, v99, v98
	s_delay_alu instid0(VALU_DEP_2) | instskip(SKIP_1) | instid1(TRANS32_DEP_1)
	v_rcp_f32_e32 v105, v97
	v_nop
	v_fma_f32 v106, -v97, v105, 1.0
	s_delay_alu instid0(VALU_DEP_1) | instskip(NEXT) | instid1(VALU_DEP_1)
	v_fmac_f32_e32 v105, v106, v105
	v_mul_f32_e32 v106, v107, v105
	s_delay_alu instid0(VALU_DEP_1) | instskip(NEXT) | instid1(VALU_DEP_1)
	v_fma_f32 v108, -v97, v106, v107
	v_fmac_f32_e32 v106, v108, v105
	s_delay_alu instid0(VALU_DEP_1) | instskip(NEXT) | instid1(VALU_DEP_1)
	v_fma_f32 v97, -v97, v106, v107
	v_div_fmas_f32 v97, v97, v105, v106
	s_delay_alu instid0(VALU_DEP_1) | instskip(NEXT) | instid1(VALU_DEP_1)
	v_div_fixup_f32 v97, v97, v99, v98
	v_fmac_f32_e32 v99, v98, v97
	s_delay_alu instid0(VALU_DEP_1) | instskip(SKIP_1) | instid1(VALU_DEP_2)
	v_div_scale_f32 v98, null, v99, v99, 1.0
	v_div_scale_f32 v107, vcc_lo, 1.0, v99, 1.0
	v_rcp_f32_e32 v105, v98
	v_nop
	s_delay_alu instid0(TRANS32_DEP_1) | instskip(NEXT) | instid1(VALU_DEP_1)
	v_fma_f32 v106, -v98, v105, 1.0
	v_fmac_f32_e32 v105, v106, v105
	s_delay_alu instid0(VALU_DEP_1) | instskip(NEXT) | instid1(VALU_DEP_1)
	v_mul_f32_e32 v106, v107, v105
	v_fma_f32 v108, -v98, v106, v107
	s_delay_alu instid0(VALU_DEP_1) | instskip(NEXT) | instid1(VALU_DEP_1)
	v_fmac_f32_e32 v106, v108, v105
	v_fma_f32 v98, -v98, v106, v107
	s_delay_alu instid0(VALU_DEP_1) | instskip(NEXT) | instid1(VALU_DEP_1)
	v_div_fmas_f32 v98, v98, v105, v106
	v_div_fixup_f32 v99, v98, v99, 1.0
	s_delay_alu instid0(VALU_DEP_1)
	v_mul_f32_e32 v98, v97, v99
	v_xor_b32_e32 v99, 0x80000000, v99
.LBB88_70:
	s_and_not1_saveexec_b32 s1, s1
	s_cbranch_execz .LBB88_72
; %bb.71:
	s_delay_alu instid0(VALU_DEP_1) | instskip(SKIP_1) | instid1(VALU_DEP_2)
	v_div_scale_f32 v97, null, v98, v98, v99
	v_div_scale_f32 v107, vcc_lo, v99, v98, v99
	v_rcp_f32_e32 v105, v97
	v_nop
	s_delay_alu instid0(TRANS32_DEP_1) | instskip(NEXT) | instid1(VALU_DEP_1)
	v_fma_f32 v106, -v97, v105, 1.0
	v_fmac_f32_e32 v105, v106, v105
	s_delay_alu instid0(VALU_DEP_1) | instskip(NEXT) | instid1(VALU_DEP_1)
	v_mul_f32_e32 v106, v107, v105
	v_fma_f32 v108, -v97, v106, v107
	s_delay_alu instid0(VALU_DEP_1) | instskip(NEXT) | instid1(VALU_DEP_1)
	v_fmac_f32_e32 v106, v108, v105
	v_fma_f32 v97, -v97, v106, v107
	s_delay_alu instid0(VALU_DEP_1) | instskip(NEXT) | instid1(VALU_DEP_1)
	v_div_fmas_f32 v97, v97, v105, v106
	v_div_fixup_f32 v97, v97, v98, v99
	s_delay_alu instid0(VALU_DEP_1) | instskip(NEXT) | instid1(VALU_DEP_1)
	v_fmac_f32_e32 v98, v99, v97
	v_div_scale_f32 v99, null, v98, v98, 1.0
	s_delay_alu instid0(VALU_DEP_1) | instskip(SKIP_1) | instid1(TRANS32_DEP_1)
	v_rcp_f32_e32 v105, v99
	v_nop
	v_fma_f32 v106, -v99, v105, 1.0
	s_delay_alu instid0(VALU_DEP_1) | instskip(SKIP_1) | instid1(VALU_DEP_1)
	v_fmac_f32_e32 v105, v106, v105
	v_div_scale_f32 v106, vcc_lo, 1.0, v98, 1.0
	v_mul_f32_e32 v107, v106, v105
	s_delay_alu instid0(VALU_DEP_1) | instskip(NEXT) | instid1(VALU_DEP_1)
	v_fma_f32 v108, -v99, v107, v106
	v_fmac_f32_e32 v107, v108, v105
	s_delay_alu instid0(VALU_DEP_1) | instskip(NEXT) | instid1(VALU_DEP_1)
	v_fma_f32 v99, -v99, v107, v106
	v_div_fmas_f32 v99, v99, v105, v107
	s_delay_alu instid0(VALU_DEP_1) | instskip(NEXT) | instid1(VALU_DEP_1)
	v_div_fixup_f32 v98, v99, v98, 1.0
	v_mul_f32_e64 v99, v97, -v98
.LBB88_72:
	s_or_b32 exec_lo, exec_lo, s1
.LBB88_73:
	s_delay_alu instid0(SALU_CYCLE_1) | instskip(NEXT) | instid1(SALU_CYCLE_1)
	s_or_b32 exec_lo, exec_lo, s0
	s_mov_b32 s0, exec_lo
	v_cmpx_ne_u32_e64 v104, v96
	s_xor_b32 s0, exec_lo, s0
	s_cbranch_execz .LBB88_79
; %bb.74:
	s_mov_b32 s1, exec_lo
	v_cmpx_eq_u32_e32 3, v104
	s_cbranch_execz .LBB88_78
; %bb.75:
	v_cmp_ne_u32_e32 vcc_lo, 3, v96
	s_xor_b32 s12, s16, -1
	s_delay_alu instid0(SALU_CYCLE_1) | instskip(NEXT) | instid1(SALU_CYCLE_1)
	s_and_b32 s13, s12, vcc_lo
	s_and_saveexec_b32 s12, s13
	s_cbranch_execz .LBB88_77
; %bb.76:
	v_ashrrev_i32_e32 v97, 31, v96
	s_delay_alu instid0(VALU_DEP_1)
	v_lshl_add_u64 v[104:105], v[96:97], 2, v[4:5]
	s_clause 0x1
	global_load_b32 v97, v[104:105], off
	global_load_b32 v103, v[4:5], off offset:12
	s_wait_loadcnt 0x1
	global_store_b32 v[4:5], v97, off offset:12
	s_wait_loadcnt 0x0
	global_store_b32 v[104:105], v103, off
.LBB88_77:
	s_wait_xcnt 0x0
	s_or_b32 exec_lo, exec_lo, s12
	v_dual_mov_b32 v104, v96 :: v_dual_mov_b32 v103, v96
.LBB88_78:
	s_or_b32 exec_lo, exec_lo, s1
.LBB88_79:
	s_and_not1_saveexec_b32 s0, s0
	s_cbranch_execz .LBB88_81
; %bb.80:
	v_dual_mov_b32 v96, v34 :: v_dual_mov_b32 v97, v35
	v_dual_mov_b32 v104, v26 :: v_dual_mov_b32 v105, v27
	v_dual_mov_b32 v106, v32 :: v_dual_mov_b32 v107, v33
	v_dual_mov_b32 v108, v24 :: v_dual_mov_b32 v109, v25
	v_dual_mov_b32 v110, v52 :: v_dual_mov_b32 v111, v53
	v_dual_mov_b32 v112, v44 :: v_dual_mov_b32 v113, v45
	v_dual_mov_b32 v114, v50 :: v_dual_mov_b32 v115, v51
	v_dual_mov_b32 v116, v42 :: v_dual_mov_b32 v117, v43
	ds_store_2addr_b64 v100, v[96:97], v[104:105] offset0:4 offset1:5
	ds_store_2addr_b64 v100, v[106:107], v[108:109] offset0:6 offset1:7
	;; [unrolled: 1-line block ×4, first 2 shown]
	v_dual_mov_b32 v96, v84 :: v_dual_mov_b32 v97, v85
	v_dual_mov_b32 v104, v80 :: v_dual_mov_b32 v105, v81
	;; [unrolled: 1-line block ×12, first 2 shown]
	ds_store_2addr_b64 v100, v[96:97], v[104:105] offset0:12 offset1:13
	ds_store_2addr_b64 v100, v[106:107], v[108:109] offset0:14 offset1:15
	;; [unrolled: 1-line block ×6, first 2 shown]
	v_dual_mov_b32 v96, v60 :: v_dual_mov_b32 v97, v61
	v_dual_mov_b32 v104, v56 :: v_dual_mov_b32 v105, v57
	;; [unrolled: 1-line block ×12, first 2 shown]
	ds_store_2addr_b64 v100, v[96:97], v[104:105] offset0:24 offset1:25
	ds_store_2addr_b64 v100, v[106:107], v[108:109] offset0:26 offset1:27
	;; [unrolled: 1-line block ×6, first 2 shown]
	v_dual_mov_b32 v96, v14 :: v_dual_mov_b32 v97, v15
	v_dual_mov_b32 v106, v10 :: v_dual_mov_b32 v107, v11
	;; [unrolled: 1-line block ×8, first 2 shown]
	v_mov_b32_e32 v119, v17
	ds_store_2addr_b64 v100, v[96:97], v[106:107] offset0:36 offset1:37
	ds_store_2addr_b64 v100, v[108:109], v[110:111] offset0:38 offset1:39
	;; [unrolled: 1-line block ×4, first 2 shown]
	ds_store_b64 v100, v[94:95] offset:352
.LBB88_81:
	s_or_b32 exec_lo, exec_lo, s0
	s_delay_alu instid0(SALU_CYCLE_1)
	s_mov_b32 s0, exec_lo
	s_wait_storecnt_dscnt 0x0
	s_barrier_signal -1
	s_barrier_wait -1
	v_cmpx_lt_i32_e32 3, v104
	s_cbranch_execz .LBB88_83
; %bb.82:
	v_pk_mul_f32 v[106:107], v[98:99], v[86:87] op_sel:[1,1] op_sel_hi:[0,1]
	s_delay_alu instid0(VALU_DEP_1)
	v_pk_fma_f32 v[96:97], v[98:99], v[86:87], v[106:107] op_sel_hi:[1,0,1] neg_lo:[0,0,1] neg_hi:[0,0,1]
	v_pk_fma_f32 v[98:99], v[98:99], v[86:87], v[106:107] op_sel_hi:[1,0,1]
	ds_load_2addr_b64 v[106:109], v100 offset0:4 offset1:5
	v_dual_mov_b32 v86, v96 :: v_dual_mov_b32 v87, v99
	s_wait_dscnt 0x0
	v_pk_mul_f32 v[110:111], v[106:107], v[98:99] op_sel:[0,1]
	s_delay_alu instid0(VALU_DEP_1) | instskip(SKIP_1) | instid1(VALU_DEP_1)
	v_pk_fma_f32 v[112:113], v[106:107], v[96:97], v[110:111] op_sel:[0,0,1] op_sel_hi:[1,1,0] neg_lo:[0,0,1] neg_hi:[0,0,1]
	v_pk_fma_f32 v[106:107], v[106:107], v[96:97], v[110:111] op_sel:[0,0,1] op_sel_hi:[1,0,0]
	v_mov_b32_e32 v113, v107
	v_pk_mul_f32 v[106:107], v[108:109], v[98:99] op_sel:[0,1]
	s_delay_alu instid0(VALU_DEP_1) | instskip(SKIP_1) | instid1(VALU_DEP_1)
	v_pk_fma_f32 v[110:111], v[108:109], v[96:97], v[106:107] op_sel:[0,0,1] op_sel_hi:[1,1,0] neg_lo:[0,0,1] neg_hi:[0,0,1]
	v_pk_fma_f32 v[106:107], v[108:109], v[96:97], v[106:107] op_sel:[0,0,1] op_sel_hi:[1,0,0]
	v_mov_b32_e32 v111, v107
	ds_load_2addr_b64 v[106:109], v100 offset0:6 offset1:7
	v_pk_add_f32 v[34:35], v[34:35], v[112:113] neg_lo:[0,1] neg_hi:[0,1]
	v_pk_add_f32 v[26:27], v[26:27], v[110:111] neg_lo:[0,1] neg_hi:[0,1]
	s_wait_dscnt 0x0
	v_pk_mul_f32 v[110:111], v[106:107], v[98:99] op_sel:[0,1]
	s_delay_alu instid0(VALU_DEP_1) | instskip(SKIP_2) | instid1(VALU_DEP_2)
	v_pk_fma_f32 v[112:113], v[106:107], v[96:97], v[110:111] op_sel:[0,0,1] op_sel_hi:[1,1,0] neg_lo:[0,0,1] neg_hi:[0,0,1]
	v_pk_fma_f32 v[106:107], v[106:107], v[96:97], v[110:111] op_sel:[0,0,1] op_sel_hi:[1,0,0]
	v_dual_mul_f32 v110, v109, v99 :: v_dual_mov_b32 v106, v109
	v_dual_mov_b32 v113, v107 :: v_dual_mov_b32 v107, v108
	s_delay_alu instid0(VALU_DEP_2) | instskip(SKIP_1) | instid1(VALU_DEP_3)
	v_pk_fma_f32 v[110:111], v[108:109], v[86:87], v[110:111] op_sel_hi:[1,1,0] neg_lo:[0,0,1] neg_hi:[0,0,1]
	v_mul_f32_e32 v108, v109, v96
	v_pk_add_f32 v[32:33], v[32:33], v[112:113] neg_lo:[0,1] neg_hi:[0,1]
	s_delay_alu instid0(VALU_DEP_2) | instskip(NEXT) | instid1(VALU_DEP_1)
	v_pk_fma_f32 v[106:107], v[106:107], v[86:87], v[108:109] op_sel_hi:[1,1,0]
	v_mov_b32_e32 v111, v107
	ds_load_2addr_b64 v[106:109], v100 offset0:8 offset1:9
	v_pk_add_f32 v[24:25], v[24:25], v[110:111] neg_lo:[0,1] neg_hi:[0,1]
	s_wait_dscnt 0x0
	v_pk_mul_f32 v[110:111], v[106:107], v[98:99] op_sel:[0,1]
	s_delay_alu instid0(VALU_DEP_1) | instskip(SKIP_1) | instid1(VALU_DEP_1)
	v_pk_fma_f32 v[112:113], v[106:107], v[96:97], v[110:111] op_sel:[0,0,1] op_sel_hi:[1,1,0] neg_lo:[0,0,1] neg_hi:[0,0,1]
	v_pk_fma_f32 v[106:107], v[106:107], v[96:97], v[110:111] op_sel:[0,0,1] op_sel_hi:[1,0,0]
	v_mov_b32_e32 v113, v107
	v_pk_mul_f32 v[106:107], v[108:109], v[98:99] op_sel:[0,1]
	s_delay_alu instid0(VALU_DEP_1) | instskip(SKIP_1) | instid1(VALU_DEP_1)
	v_pk_fma_f32 v[110:111], v[108:109], v[96:97], v[106:107] op_sel:[0,0,1] op_sel_hi:[1,1,0] neg_lo:[0,0,1] neg_hi:[0,0,1]
	v_pk_fma_f32 v[106:107], v[108:109], v[96:97], v[106:107] op_sel:[0,0,1] op_sel_hi:[1,0,0]
	v_mov_b32_e32 v111, v107
	ds_load_2addr_b64 v[106:109], v100 offset0:10 offset1:11
	v_pk_add_f32 v[52:53], v[52:53], v[112:113] neg_lo:[0,1] neg_hi:[0,1]
	v_pk_add_f32 v[44:45], v[44:45], v[110:111] neg_lo:[0,1] neg_hi:[0,1]
	s_wait_dscnt 0x0
	v_pk_mul_f32 v[110:111], v[106:107], v[98:99] op_sel:[0,1]
	s_delay_alu instid0(VALU_DEP_1) | instskip(SKIP_1) | instid1(VALU_DEP_1)
	v_pk_fma_f32 v[112:113], v[106:107], v[96:97], v[110:111] op_sel:[0,0,1] op_sel_hi:[1,1,0] neg_lo:[0,0,1] neg_hi:[0,0,1]
	v_pk_fma_f32 v[106:107], v[106:107], v[96:97], v[110:111] op_sel:[0,0,1] op_sel_hi:[1,0,0]
	v_mov_b32_e32 v113, v107
	v_pk_mul_f32 v[106:107], v[108:109], v[98:99] op_sel:[0,1]
	s_delay_alu instid0(VALU_DEP_1) | instskip(SKIP_1) | instid1(VALU_DEP_1)
	v_pk_fma_f32 v[110:111], v[108:109], v[96:97], v[106:107] op_sel:[0,0,1] op_sel_hi:[1,1,0] neg_lo:[0,0,1] neg_hi:[0,0,1]
	v_pk_fma_f32 v[106:107], v[108:109], v[96:97], v[106:107] op_sel:[0,0,1] op_sel_hi:[1,0,0]
	v_mov_b32_e32 v111, v107
	ds_load_2addr_b64 v[106:109], v100 offset0:12 offset1:13
	v_pk_add_f32 v[50:51], v[50:51], v[112:113] neg_lo:[0,1] neg_hi:[0,1]
	v_pk_add_f32 v[42:43], v[42:43], v[110:111] neg_lo:[0,1] neg_hi:[0,1]
	s_wait_dscnt 0x0
	v_dual_mul_f32 v110, v107, v99 :: v_dual_mul_f32 v112, v107, v96
	s_delay_alu instid0(VALU_DEP_1) | instskip(NEXT) | instid1(VALU_DEP_2)
	v_pk_fma_f32 v[110:111], v[106:107], v[86:87], v[110:111] op_sel_hi:[1,1,0] neg_lo:[0,0,1] neg_hi:[0,0,1]
	v_pk_fma_f32 v[106:107], v[106:107], v[86:87], v[112:113] op_sel:[1,0,0] op_sel_hi:[0,1,0]
	s_delay_alu instid0(VALU_DEP_1) | instskip(SKIP_1) | instid1(VALU_DEP_2)
	v_mov_b32_e32 v111, v107
	v_pk_mul_f32 v[106:107], v[108:109], v[98:99] op_sel:[0,1]
	v_pk_add_f32 v[84:85], v[84:85], v[110:111] neg_lo:[0,1] neg_hi:[0,1]
	s_delay_alu instid0(VALU_DEP_2) | instskip(SKIP_1) | instid1(VALU_DEP_1)
	v_pk_fma_f32 v[110:111], v[108:109], v[96:97], v[106:107] op_sel:[0,0,1] op_sel_hi:[1,1,0] neg_lo:[0,0,1] neg_hi:[0,0,1]
	v_pk_fma_f32 v[106:107], v[108:109], v[96:97], v[106:107] op_sel:[0,0,1] op_sel_hi:[1,0,0]
	v_mov_b32_e32 v111, v107
	ds_load_2addr_b64 v[106:109], v100 offset0:14 offset1:15
	v_pk_add_f32 v[80:81], v[80:81], v[110:111] neg_lo:[0,1] neg_hi:[0,1]
	s_wait_dscnt 0x0
	v_pk_mul_f32 v[110:111], v[106:107], v[98:99] op_sel:[0,1]
	s_delay_alu instid0(VALU_DEP_1) | instskip(SKIP_1) | instid1(VALU_DEP_1)
	v_pk_fma_f32 v[112:113], v[106:107], v[96:97], v[110:111] op_sel:[0,0,1] op_sel_hi:[1,1,0] neg_lo:[0,0,1] neg_hi:[0,0,1]
	v_pk_fma_f32 v[106:107], v[106:107], v[96:97], v[110:111] op_sel:[0,0,1] op_sel_hi:[1,0,0]
	v_mov_b32_e32 v113, v107
	v_pk_mul_f32 v[106:107], v[108:109], v[98:99] op_sel:[0,1]
	s_delay_alu instid0(VALU_DEP_2) | instskip(NEXT) | instid1(VALU_DEP_2)
	v_pk_add_f32 v[82:83], v[82:83], v[112:113] neg_lo:[0,1] neg_hi:[0,1]
	v_pk_fma_f32 v[110:111], v[108:109], v[96:97], v[106:107] op_sel:[0,0,1] op_sel_hi:[1,1,0] neg_lo:[0,0,1] neg_hi:[0,0,1]
	v_pk_fma_f32 v[106:107], v[108:109], v[96:97], v[106:107] op_sel:[0,0,1] op_sel_hi:[1,0,0]
	s_delay_alu instid0(VALU_DEP_1) | instskip(SKIP_4) | instid1(VALU_DEP_1)
	v_mov_b32_e32 v111, v107
	ds_load_2addr_b64 v[106:109], v100 offset0:16 offset1:17
	v_pk_add_f32 v[78:79], v[78:79], v[110:111] neg_lo:[0,1] neg_hi:[0,1]
	s_wait_dscnt 0x0
	v_pk_mul_f32 v[110:111], v[106:107], v[98:99] op_sel:[0,1]
	v_pk_fma_f32 v[112:113], v[106:107], v[96:97], v[110:111] op_sel:[0,0,1] op_sel_hi:[1,1,0] neg_lo:[0,0,1] neg_hi:[0,0,1]
	v_pk_fma_f32 v[106:107], v[106:107], v[96:97], v[110:111] op_sel:[0,0,1] op_sel_hi:[1,0,0]
	v_dual_mul_f32 v110, v109, v99 :: v_dual_mov_b32 v106, v109
	s_delay_alu instid0(VALU_DEP_2) | instskip(NEXT) | instid1(VALU_DEP_2)
	v_dual_mov_b32 v113, v107 :: v_dual_mov_b32 v107, v108
	v_pk_fma_f32 v[110:111], v[108:109], v[86:87], v[110:111] op_sel_hi:[1,1,0] neg_lo:[0,0,1] neg_hi:[0,0,1]
	v_mul_f32_e32 v108, v109, v96
	s_delay_alu instid0(VALU_DEP_3) | instskip(NEXT) | instid1(VALU_DEP_2)
	v_pk_add_f32 v[76:77], v[76:77], v[112:113] neg_lo:[0,1] neg_hi:[0,1]
	v_pk_fma_f32 v[106:107], v[106:107], v[86:87], v[108:109] op_sel_hi:[1,1,0]
	s_delay_alu instid0(VALU_DEP_1) | instskip(SKIP_4) | instid1(VALU_DEP_1)
	v_mov_b32_e32 v111, v107
	ds_load_2addr_b64 v[106:109], v100 offset0:18 offset1:19
	v_pk_add_f32 v[72:73], v[72:73], v[110:111] neg_lo:[0,1] neg_hi:[0,1]
	s_wait_dscnt 0x0
	v_pk_mul_f32 v[110:111], v[106:107], v[98:99] op_sel:[0,1]
	v_pk_fma_f32 v[112:113], v[106:107], v[96:97], v[110:111] op_sel:[0,0,1] op_sel_hi:[1,1,0] neg_lo:[0,0,1] neg_hi:[0,0,1]
	v_pk_fma_f32 v[106:107], v[106:107], v[96:97], v[110:111] op_sel:[0,0,1] op_sel_hi:[1,0,0]
	s_delay_alu instid0(VALU_DEP_1) | instskip(SKIP_1) | instid1(VALU_DEP_1)
	v_mov_b32_e32 v113, v107
	v_pk_mul_f32 v[106:107], v[108:109], v[98:99] op_sel:[0,1]
	v_pk_fma_f32 v[110:111], v[108:109], v[96:97], v[106:107] op_sel:[0,0,1] op_sel_hi:[1,1,0] neg_lo:[0,0,1] neg_hi:[0,0,1]
	v_pk_fma_f32 v[106:107], v[108:109], v[96:97], v[106:107] op_sel:[0,0,1] op_sel_hi:[1,0,0]
	s_delay_alu instid0(VALU_DEP_1)
	v_mov_b32_e32 v111, v107
	ds_load_2addr_b64 v[106:109], v100 offset0:20 offset1:21
	v_pk_add_f32 v[74:75], v[74:75], v[112:113] neg_lo:[0,1] neg_hi:[0,1]
	v_pk_add_f32 v[70:71], v[70:71], v[110:111] neg_lo:[0,1] neg_hi:[0,1]
	s_wait_dscnt 0x0
	v_pk_mul_f32 v[110:111], v[106:107], v[98:99] op_sel:[0,1]
	s_delay_alu instid0(VALU_DEP_1) | instskip(SKIP_1) | instid1(VALU_DEP_1)
	v_pk_fma_f32 v[112:113], v[106:107], v[96:97], v[110:111] op_sel:[0,0,1] op_sel_hi:[1,1,0] neg_lo:[0,0,1] neg_hi:[0,0,1]
	v_pk_fma_f32 v[106:107], v[106:107], v[96:97], v[110:111] op_sel:[0,0,1] op_sel_hi:[1,0,0]
	v_mov_b32_e32 v113, v107
	v_pk_mul_f32 v[106:107], v[108:109], v[98:99] op_sel:[0,1]
	s_delay_alu instid0(VALU_DEP_1) | instskip(SKIP_1) | instid1(VALU_DEP_1)
	v_pk_fma_f32 v[110:111], v[108:109], v[96:97], v[106:107] op_sel:[0,0,1] op_sel_hi:[1,1,0] neg_lo:[0,0,1] neg_hi:[0,0,1]
	v_pk_fma_f32 v[106:107], v[108:109], v[96:97], v[106:107] op_sel:[0,0,1] op_sel_hi:[1,0,0]
	v_mov_b32_e32 v111, v107
	ds_load_2addr_b64 v[106:109], v100 offset0:22 offset1:23
	v_pk_add_f32 v[68:69], v[68:69], v[112:113] neg_lo:[0,1] neg_hi:[0,1]
	v_pk_add_f32 v[64:65], v[64:65], v[110:111] neg_lo:[0,1] neg_hi:[0,1]
	s_wait_dscnt 0x0
	v_dual_mul_f32 v110, v107, v99 :: v_dual_mul_f32 v112, v107, v96
	s_delay_alu instid0(VALU_DEP_1) | instskip(NEXT) | instid1(VALU_DEP_2)
	v_pk_fma_f32 v[110:111], v[106:107], v[86:87], v[110:111] op_sel_hi:[1,1,0] neg_lo:[0,0,1] neg_hi:[0,0,1]
	v_pk_fma_f32 v[106:107], v[106:107], v[86:87], v[112:113] op_sel:[1,0,0] op_sel_hi:[0,1,0]
	s_delay_alu instid0(VALU_DEP_1) | instskip(SKIP_1) | instid1(VALU_DEP_2)
	v_mov_b32_e32 v111, v107
	v_pk_mul_f32 v[106:107], v[108:109], v[98:99] op_sel:[0,1]
	v_pk_add_f32 v[66:67], v[66:67], v[110:111] neg_lo:[0,1] neg_hi:[0,1]
	s_delay_alu instid0(VALU_DEP_2) | instskip(SKIP_1) | instid1(VALU_DEP_1)
	v_pk_fma_f32 v[110:111], v[108:109], v[96:97], v[106:107] op_sel:[0,0,1] op_sel_hi:[1,1,0] neg_lo:[0,0,1] neg_hi:[0,0,1]
	v_pk_fma_f32 v[106:107], v[108:109], v[96:97], v[106:107] op_sel:[0,0,1] op_sel_hi:[1,0,0]
	v_mov_b32_e32 v111, v107
	ds_load_2addr_b64 v[106:109], v100 offset0:24 offset1:25
	v_pk_add_f32 v[62:63], v[62:63], v[110:111] neg_lo:[0,1] neg_hi:[0,1]
	s_wait_dscnt 0x0
	v_pk_mul_f32 v[110:111], v[106:107], v[98:99] op_sel:[0,1]
	s_delay_alu instid0(VALU_DEP_1) | instskip(SKIP_1) | instid1(VALU_DEP_1)
	v_pk_fma_f32 v[112:113], v[106:107], v[96:97], v[110:111] op_sel:[0,0,1] op_sel_hi:[1,1,0] neg_lo:[0,0,1] neg_hi:[0,0,1]
	v_pk_fma_f32 v[106:107], v[106:107], v[96:97], v[110:111] op_sel:[0,0,1] op_sel_hi:[1,0,0]
	v_mov_b32_e32 v113, v107
	v_pk_mul_f32 v[106:107], v[108:109], v[98:99] op_sel:[0,1]
	s_delay_alu instid0(VALU_DEP_2) | instskip(NEXT) | instid1(VALU_DEP_2)
	v_pk_add_f32 v[60:61], v[60:61], v[112:113] neg_lo:[0,1] neg_hi:[0,1]
	v_pk_fma_f32 v[110:111], v[108:109], v[96:97], v[106:107] op_sel:[0,0,1] op_sel_hi:[1,1,0] neg_lo:[0,0,1] neg_hi:[0,0,1]
	v_pk_fma_f32 v[106:107], v[108:109], v[96:97], v[106:107] op_sel:[0,0,1] op_sel_hi:[1,0,0]
	s_delay_alu instid0(VALU_DEP_1) | instskip(SKIP_4) | instid1(VALU_DEP_1)
	v_mov_b32_e32 v111, v107
	ds_load_2addr_b64 v[106:109], v100 offset0:26 offset1:27
	v_pk_add_f32 v[56:57], v[56:57], v[110:111] neg_lo:[0,1] neg_hi:[0,1]
	s_wait_dscnt 0x0
	v_pk_mul_f32 v[110:111], v[106:107], v[98:99] op_sel:[0,1]
	v_pk_fma_f32 v[112:113], v[106:107], v[96:97], v[110:111] op_sel:[0,0,1] op_sel_hi:[1,1,0] neg_lo:[0,0,1] neg_hi:[0,0,1]
	v_pk_fma_f32 v[106:107], v[106:107], v[96:97], v[110:111] op_sel:[0,0,1] op_sel_hi:[1,0,0]
	v_dual_mul_f32 v110, v109, v99 :: v_dual_mov_b32 v106, v109
	s_delay_alu instid0(VALU_DEP_2) | instskip(NEXT) | instid1(VALU_DEP_2)
	v_dual_mov_b32 v113, v107 :: v_dual_mov_b32 v107, v108
	v_pk_fma_f32 v[110:111], v[108:109], v[86:87], v[110:111] op_sel_hi:[1,1,0] neg_lo:[0,0,1] neg_hi:[0,0,1]
	v_mul_f32_e32 v108, v109, v96
	s_delay_alu instid0(VALU_DEP_3) | instskip(NEXT) | instid1(VALU_DEP_2)
	v_pk_add_f32 v[58:59], v[58:59], v[112:113] neg_lo:[0,1] neg_hi:[0,1]
	v_pk_fma_f32 v[106:107], v[106:107], v[86:87], v[108:109] op_sel_hi:[1,1,0]
	s_delay_alu instid0(VALU_DEP_1) | instskip(SKIP_4) | instid1(VALU_DEP_1)
	v_mov_b32_e32 v111, v107
	ds_load_2addr_b64 v[106:109], v100 offset0:28 offset1:29
	v_pk_add_f32 v[54:55], v[54:55], v[110:111] neg_lo:[0,1] neg_hi:[0,1]
	s_wait_dscnt 0x0
	v_pk_mul_f32 v[110:111], v[106:107], v[98:99] op_sel:[0,1]
	v_pk_fma_f32 v[112:113], v[106:107], v[96:97], v[110:111] op_sel:[0,0,1] op_sel_hi:[1,1,0] neg_lo:[0,0,1] neg_hi:[0,0,1]
	v_pk_fma_f32 v[106:107], v[106:107], v[96:97], v[110:111] op_sel:[0,0,1] op_sel_hi:[1,0,0]
	s_delay_alu instid0(VALU_DEP_1) | instskip(SKIP_1) | instid1(VALU_DEP_1)
	v_mov_b32_e32 v113, v107
	v_pk_mul_f32 v[106:107], v[108:109], v[98:99] op_sel:[0,1]
	v_pk_fma_f32 v[110:111], v[108:109], v[96:97], v[106:107] op_sel:[0,0,1] op_sel_hi:[1,1,0] neg_lo:[0,0,1] neg_hi:[0,0,1]
	v_pk_fma_f32 v[106:107], v[108:109], v[96:97], v[106:107] op_sel:[0,0,1] op_sel_hi:[1,0,0]
	s_delay_alu instid0(VALU_DEP_1)
	v_mov_b32_e32 v111, v107
	ds_load_2addr_b64 v[106:109], v100 offset0:30 offset1:31
	v_pk_add_f32 v[48:49], v[48:49], v[112:113] neg_lo:[0,1] neg_hi:[0,1]
	v_pk_add_f32 v[40:41], v[40:41], v[110:111] neg_lo:[0,1] neg_hi:[0,1]
	s_wait_dscnt 0x0
	v_pk_mul_f32 v[110:111], v[106:107], v[98:99] op_sel:[0,1]
	s_delay_alu instid0(VALU_DEP_1) | instskip(SKIP_1) | instid1(VALU_DEP_1)
	v_pk_fma_f32 v[112:113], v[106:107], v[96:97], v[110:111] op_sel:[0,0,1] op_sel_hi:[1,1,0] neg_lo:[0,0,1] neg_hi:[0,0,1]
	v_pk_fma_f32 v[106:107], v[106:107], v[96:97], v[110:111] op_sel:[0,0,1] op_sel_hi:[1,0,0]
	v_mov_b32_e32 v113, v107
	v_pk_mul_f32 v[106:107], v[108:109], v[98:99] op_sel:[0,1]
	s_delay_alu instid0(VALU_DEP_1) | instskip(SKIP_1) | instid1(VALU_DEP_1)
	v_pk_fma_f32 v[110:111], v[108:109], v[96:97], v[106:107] op_sel:[0,0,1] op_sel_hi:[1,1,0] neg_lo:[0,0,1] neg_hi:[0,0,1]
	v_pk_fma_f32 v[106:107], v[108:109], v[96:97], v[106:107] op_sel:[0,0,1] op_sel_hi:[1,0,0]
	v_mov_b32_e32 v111, v107
	ds_load_2addr_b64 v[106:109], v100 offset0:32 offset1:33
	v_pk_add_f32 v[46:47], v[46:47], v[112:113] neg_lo:[0,1] neg_hi:[0,1]
	v_pk_add_f32 v[38:39], v[38:39], v[110:111] neg_lo:[0,1] neg_hi:[0,1]
	s_wait_dscnt 0x0
	v_dual_mul_f32 v110, v107, v99 :: v_dual_mul_f32 v112, v107, v96
	s_delay_alu instid0(VALU_DEP_1) | instskip(NEXT) | instid1(VALU_DEP_2)
	v_pk_fma_f32 v[110:111], v[106:107], v[86:87], v[110:111] op_sel_hi:[1,1,0] neg_lo:[0,0,1] neg_hi:[0,0,1]
	v_pk_fma_f32 v[106:107], v[106:107], v[86:87], v[112:113] op_sel:[1,0,0] op_sel_hi:[0,1,0]
	s_delay_alu instid0(VALU_DEP_1) | instskip(SKIP_1) | instid1(VALU_DEP_2)
	v_mov_b32_e32 v111, v107
	v_pk_mul_f32 v[106:107], v[108:109], v[98:99] op_sel:[0,1]
	v_pk_add_f32 v[30:31], v[30:31], v[110:111] neg_lo:[0,1] neg_hi:[0,1]
	s_delay_alu instid0(VALU_DEP_2) | instskip(SKIP_1) | instid1(VALU_DEP_1)
	v_pk_fma_f32 v[110:111], v[108:109], v[96:97], v[106:107] op_sel:[0,0,1] op_sel_hi:[1,1,0] neg_lo:[0,0,1] neg_hi:[0,0,1]
	v_pk_fma_f32 v[106:107], v[108:109], v[96:97], v[106:107] op_sel:[0,0,1] op_sel_hi:[1,0,0]
	v_mov_b32_e32 v111, v107
	ds_load_2addr_b64 v[106:109], v100 offset0:34 offset1:35
	v_pk_add_f32 v[22:23], v[22:23], v[110:111] neg_lo:[0,1] neg_hi:[0,1]
	s_wait_dscnt 0x0
	v_pk_mul_f32 v[110:111], v[106:107], v[98:99] op_sel:[0,1]
	s_delay_alu instid0(VALU_DEP_1) | instskip(SKIP_1) | instid1(VALU_DEP_1)
	v_pk_fma_f32 v[112:113], v[106:107], v[96:97], v[110:111] op_sel:[0,0,1] op_sel_hi:[1,1,0] neg_lo:[0,0,1] neg_hi:[0,0,1]
	v_pk_fma_f32 v[106:107], v[106:107], v[96:97], v[110:111] op_sel:[0,0,1] op_sel_hi:[1,0,0]
	v_mov_b32_e32 v113, v107
	v_pk_mul_f32 v[106:107], v[108:109], v[98:99] op_sel:[0,1]
	s_delay_alu instid0(VALU_DEP_2) | instskip(NEXT) | instid1(VALU_DEP_2)
	v_pk_add_f32 v[28:29], v[28:29], v[112:113] neg_lo:[0,1] neg_hi:[0,1]
	v_pk_fma_f32 v[110:111], v[108:109], v[96:97], v[106:107] op_sel:[0,0,1] op_sel_hi:[1,1,0] neg_lo:[0,0,1] neg_hi:[0,0,1]
	v_pk_fma_f32 v[106:107], v[108:109], v[96:97], v[106:107] op_sel:[0,0,1] op_sel_hi:[1,0,0]
	s_delay_alu instid0(VALU_DEP_1) | instskip(SKIP_4) | instid1(VALU_DEP_1)
	v_mov_b32_e32 v111, v107
	ds_load_2addr_b64 v[106:109], v100 offset0:36 offset1:37
	v_pk_add_f32 v[20:21], v[20:21], v[110:111] neg_lo:[0,1] neg_hi:[0,1]
	s_wait_dscnt 0x0
	v_pk_mul_f32 v[110:111], v[106:107], v[98:99] op_sel:[0,1]
	v_pk_fma_f32 v[112:113], v[106:107], v[96:97], v[110:111] op_sel:[0,0,1] op_sel_hi:[1,1,0] neg_lo:[0,0,1] neg_hi:[0,0,1]
	v_pk_fma_f32 v[106:107], v[106:107], v[96:97], v[110:111] op_sel:[0,0,1] op_sel_hi:[1,0,0]
	v_dual_mul_f32 v110, v109, v99 :: v_dual_mov_b32 v106, v109
	s_delay_alu instid0(VALU_DEP_2) | instskip(NEXT) | instid1(VALU_DEP_2)
	v_dual_mov_b32 v113, v107 :: v_dual_mov_b32 v107, v108
	v_pk_fma_f32 v[110:111], v[108:109], v[86:87], v[110:111] op_sel_hi:[1,1,0] neg_lo:[0,0,1] neg_hi:[0,0,1]
	v_mul_f32_e32 v108, v109, v96
	s_delay_alu instid0(VALU_DEP_3) | instskip(NEXT) | instid1(VALU_DEP_2)
	v_pk_add_f32 v[14:15], v[14:15], v[112:113] neg_lo:[0,1] neg_hi:[0,1]
	v_pk_fma_f32 v[106:107], v[106:107], v[86:87], v[108:109] op_sel_hi:[1,1,0]
	s_delay_alu instid0(VALU_DEP_1) | instskip(SKIP_4) | instid1(VALU_DEP_1)
	v_mov_b32_e32 v111, v107
	ds_load_2addr_b64 v[106:109], v100 offset0:38 offset1:39
	v_pk_add_f32 v[10:11], v[10:11], v[110:111] neg_lo:[0,1] neg_hi:[0,1]
	s_wait_dscnt 0x0
	v_pk_mul_f32 v[110:111], v[106:107], v[98:99] op_sel:[0,1]
	v_pk_fma_f32 v[112:113], v[106:107], v[96:97], v[110:111] op_sel:[0,0,1] op_sel_hi:[1,1,0] neg_lo:[0,0,1] neg_hi:[0,0,1]
	v_pk_fma_f32 v[106:107], v[106:107], v[96:97], v[110:111] op_sel:[0,0,1] op_sel_hi:[1,0,0]
	s_delay_alu instid0(VALU_DEP_1) | instskip(SKIP_1) | instid1(VALU_DEP_1)
	v_mov_b32_e32 v113, v107
	v_pk_mul_f32 v[106:107], v[108:109], v[98:99] op_sel:[0,1]
	v_pk_fma_f32 v[110:111], v[108:109], v[96:97], v[106:107] op_sel:[0,0,1] op_sel_hi:[1,1,0] neg_lo:[0,0,1] neg_hi:[0,0,1]
	v_pk_fma_f32 v[106:107], v[108:109], v[96:97], v[106:107] op_sel:[0,0,1] op_sel_hi:[1,0,0]
	s_delay_alu instid0(VALU_DEP_1)
	v_mov_b32_e32 v111, v107
	ds_load_2addr_b64 v[106:109], v100 offset0:40 offset1:41
	v_pk_add_f32 v[12:13], v[12:13], v[112:113] neg_lo:[0,1] neg_hi:[0,1]
	v_pk_add_f32 v[8:9], v[8:9], v[110:111] neg_lo:[0,1] neg_hi:[0,1]
	s_wait_dscnt 0x0
	v_pk_mul_f32 v[110:111], v[106:107], v[98:99] op_sel:[0,1]
	s_delay_alu instid0(VALU_DEP_1) | instskip(SKIP_1) | instid1(VALU_DEP_1)
	v_pk_fma_f32 v[112:113], v[106:107], v[96:97], v[110:111] op_sel:[0,0,1] op_sel_hi:[1,1,0] neg_lo:[0,0,1] neg_hi:[0,0,1]
	v_pk_fma_f32 v[106:107], v[106:107], v[96:97], v[110:111] op_sel:[0,0,1] op_sel_hi:[1,0,0]
	v_mov_b32_e32 v113, v107
	v_pk_mul_f32 v[106:107], v[108:109], v[98:99] op_sel:[0,1]
	s_delay_alu instid0(VALU_DEP_1) | instskip(SKIP_1) | instid1(VALU_DEP_1)
	v_pk_fma_f32 v[110:111], v[108:109], v[96:97], v[106:107] op_sel:[0,0,1] op_sel_hi:[1,1,0] neg_lo:[0,0,1] neg_hi:[0,0,1]
	v_pk_fma_f32 v[106:107], v[108:109], v[96:97], v[106:107] op_sel:[0,0,1] op_sel_hi:[1,0,0]
	v_mov_b32_e32 v111, v107
	ds_load_2addr_b64 v[106:109], v100 offset0:42 offset1:43
	v_pk_add_f32 v[6:7], v[6:7], v[112:113] neg_lo:[0,1] neg_hi:[0,1]
	v_pk_add_f32 v[36:37], v[36:37], v[110:111] neg_lo:[0,1] neg_hi:[0,1]
	s_wait_dscnt 0x0
	v_dual_mul_f32 v110, v107, v99 :: v_dual_mul_f32 v112, v107, v96
	s_delay_alu instid0(VALU_DEP_1) | instskip(NEXT) | instid1(VALU_DEP_2)
	v_pk_fma_f32 v[110:111], v[106:107], v[86:87], v[110:111] op_sel_hi:[1,1,0] neg_lo:[0,0,1] neg_hi:[0,0,1]
	v_pk_fma_f32 v[106:107], v[106:107], v[86:87], v[112:113] op_sel:[1,0,0] op_sel_hi:[0,1,0]
	s_delay_alu instid0(VALU_DEP_1) | instskip(SKIP_1) | instid1(VALU_DEP_2)
	v_mov_b32_e32 v111, v107
	v_pk_mul_f32 v[106:107], v[108:109], v[98:99] op_sel:[0,1]
	v_pk_add_f32 v[18:19], v[18:19], v[110:111] neg_lo:[0,1] neg_hi:[0,1]
	s_delay_alu instid0(VALU_DEP_2) | instskip(SKIP_1) | instid1(VALU_DEP_1)
	v_pk_fma_f32 v[110:111], v[108:109], v[96:97], v[106:107] op_sel:[0,0,1] op_sel_hi:[1,1,0] neg_lo:[0,0,1] neg_hi:[0,0,1]
	v_pk_fma_f32 v[106:107], v[108:109], v[96:97], v[106:107] op_sel:[0,0,1] op_sel_hi:[1,0,0]
	v_mov_b32_e32 v111, v107
	ds_load_b64 v[106:107], v100 offset:352
	v_pk_add_f32 v[16:17], v[16:17], v[110:111] neg_lo:[0,1] neg_hi:[0,1]
	s_wait_dscnt 0x0
	v_pk_mul_f32 v[98:99], v[106:107], v[98:99] op_sel:[0,1]
	s_delay_alu instid0(VALU_DEP_1) | instskip(SKIP_1) | instid1(VALU_DEP_1)
	v_pk_fma_f32 v[108:109], v[106:107], v[96:97], v[98:99] op_sel:[0,0,1] op_sel_hi:[1,1,0] neg_lo:[0,0,1] neg_hi:[0,0,1]
	v_pk_fma_f32 v[96:97], v[106:107], v[96:97], v[98:99] op_sel:[0,0,1] op_sel_hi:[1,0,0]
	v_mov_b32_e32 v109, v97
	s_delay_alu instid0(VALU_DEP_1)
	v_pk_add_f32 v[94:95], v[94:95], v[108:109] neg_lo:[0,1] neg_hi:[0,1]
.LBB88_83:
	s_or_b32 exec_lo, exec_lo, s0
	v_lshl_add_u32 v96, v104, 3, v100
	s_barrier_signal -1
	s_barrier_wait -1
	ds_store_b64 v96, v[34:35]
	s_wait_dscnt 0x0
	s_barrier_signal -1
	s_barrier_wait -1
	ds_load_b64 v[98:99], v100 offset:32
	v_mov_b32_e32 v96, 4
	s_cmp_lt_i32 s18, 6
	s_cbranch_scc1 .LBB88_86
; %bb.84:
	v_add3_u32 v97, v101, 0, 40
	v_mov_b32_e32 v96, 4
	s_mov_b32 s0, 5
.LBB88_85:                              ; =>This Inner Loop Header: Depth=1
	ds_load_b64 v[106:107], v97
	s_wait_dscnt 0x1
	v_cmp_gt_f32_e32 vcc_lo, 0, v98
	v_cndmask_b32_e64 v108, v98, -v98, vcc_lo
	v_cmp_gt_f32_e32 vcc_lo, 0, v99
	v_cndmask_b32_e64 v110, v99, -v99, vcc_lo
	s_wait_dscnt 0x0
	v_cmp_gt_f32_e32 vcc_lo, 0, v106
	v_cndmask_b32_e64 v109, v106, -v106, vcc_lo
	v_cmp_gt_f32_e32 vcc_lo, 0, v107
	v_cndmask_b32_e64 v111, v107, -v107, vcc_lo
	s_delay_alu instid0(VALU_DEP_1) | instskip(NEXT) | instid1(VALU_DEP_1)
	v_pk_add_f32 v[108:109], v[108:109], v[110:111]
	v_cmp_lt_f32_e32 vcc_lo, v108, v109
	v_dual_add_nc_u32 v97, 8, v97 :: v_dual_cndmask_b32 v99, v99, v107, vcc_lo
	v_cndmask_b32_e32 v98, v98, v106, vcc_lo
	v_cndmask_b32_e64 v96, v96, s0, vcc_lo
	s_add_co_i32 s0, s0, 1
	s_delay_alu instid0(SALU_CYCLE_1)
	s_cmp_lg_u32 s18, s0
	s_cbranch_scc1 .LBB88_85
.LBB88_86:
	s_wait_dscnt 0x0
	v_cmp_eq_f32_e32 vcc_lo, 0, v98
	v_cmp_eq_f32_e64 s0, 0, v99
	s_and_b32 s0, vcc_lo, s0
	s_delay_alu instid0(SALU_CYCLE_1) | instskip(NEXT) | instid1(SALU_CYCLE_1)
	s_and_saveexec_b32 s1, s0
	s_xor_b32 s0, exec_lo, s1
; %bb.87:
	v_cmp_ne_u32_e32 vcc_lo, 0, v102
	v_cndmask_b32_e32 v102, 5, v102, vcc_lo
; %bb.88:
	s_and_not1_saveexec_b32 s0, s0
	s_cbranch_execz .LBB88_94
; %bb.89:
	v_cmp_ngt_f32_e64 s1, |v98|, |v99|
	s_and_saveexec_b32 s12, s1
	s_delay_alu instid0(SALU_CYCLE_1)
	s_xor_b32 s1, exec_lo, s12
	s_cbranch_execz .LBB88_91
; %bb.90:
	v_div_scale_f32 v97, null, v99, v99, v98
	v_div_scale_f32 v107, vcc_lo, v98, v99, v98
	s_delay_alu instid0(VALU_DEP_2) | instskip(SKIP_1) | instid1(TRANS32_DEP_1)
	v_rcp_f32_e32 v105, v97
	v_nop
	v_fma_f32 v106, -v97, v105, 1.0
	s_delay_alu instid0(VALU_DEP_1) | instskip(NEXT) | instid1(VALU_DEP_1)
	v_fmac_f32_e32 v105, v106, v105
	v_mul_f32_e32 v106, v107, v105
	s_delay_alu instid0(VALU_DEP_1) | instskip(NEXT) | instid1(VALU_DEP_1)
	v_fma_f32 v108, -v97, v106, v107
	v_fmac_f32_e32 v106, v108, v105
	s_delay_alu instid0(VALU_DEP_1) | instskip(NEXT) | instid1(VALU_DEP_1)
	v_fma_f32 v97, -v97, v106, v107
	v_div_fmas_f32 v97, v97, v105, v106
	s_delay_alu instid0(VALU_DEP_1) | instskip(NEXT) | instid1(VALU_DEP_1)
	v_div_fixup_f32 v97, v97, v99, v98
	v_fmac_f32_e32 v99, v98, v97
	s_delay_alu instid0(VALU_DEP_1) | instskip(SKIP_1) | instid1(VALU_DEP_2)
	v_div_scale_f32 v98, null, v99, v99, 1.0
	v_div_scale_f32 v107, vcc_lo, 1.0, v99, 1.0
	v_rcp_f32_e32 v105, v98
	v_nop
	s_delay_alu instid0(TRANS32_DEP_1) | instskip(NEXT) | instid1(VALU_DEP_1)
	v_fma_f32 v106, -v98, v105, 1.0
	v_fmac_f32_e32 v105, v106, v105
	s_delay_alu instid0(VALU_DEP_1) | instskip(NEXT) | instid1(VALU_DEP_1)
	v_mul_f32_e32 v106, v107, v105
	v_fma_f32 v108, -v98, v106, v107
	s_delay_alu instid0(VALU_DEP_1) | instskip(NEXT) | instid1(VALU_DEP_1)
	v_fmac_f32_e32 v106, v108, v105
	v_fma_f32 v98, -v98, v106, v107
	s_delay_alu instid0(VALU_DEP_1) | instskip(NEXT) | instid1(VALU_DEP_1)
	v_div_fmas_f32 v98, v98, v105, v106
	v_div_fixup_f32 v99, v98, v99, 1.0
	s_delay_alu instid0(VALU_DEP_1)
	v_mul_f32_e32 v98, v97, v99
	v_xor_b32_e32 v99, 0x80000000, v99
.LBB88_91:
	s_and_not1_saveexec_b32 s1, s1
	s_cbranch_execz .LBB88_93
; %bb.92:
	s_delay_alu instid0(VALU_DEP_1) | instskip(SKIP_1) | instid1(VALU_DEP_2)
	v_div_scale_f32 v97, null, v98, v98, v99
	v_div_scale_f32 v107, vcc_lo, v99, v98, v99
	v_rcp_f32_e32 v105, v97
	v_nop
	s_delay_alu instid0(TRANS32_DEP_1) | instskip(NEXT) | instid1(VALU_DEP_1)
	v_fma_f32 v106, -v97, v105, 1.0
	v_fmac_f32_e32 v105, v106, v105
	s_delay_alu instid0(VALU_DEP_1) | instskip(NEXT) | instid1(VALU_DEP_1)
	v_mul_f32_e32 v106, v107, v105
	v_fma_f32 v108, -v97, v106, v107
	s_delay_alu instid0(VALU_DEP_1) | instskip(NEXT) | instid1(VALU_DEP_1)
	v_fmac_f32_e32 v106, v108, v105
	v_fma_f32 v97, -v97, v106, v107
	s_delay_alu instid0(VALU_DEP_1) | instskip(NEXT) | instid1(VALU_DEP_1)
	v_div_fmas_f32 v97, v97, v105, v106
	v_div_fixup_f32 v97, v97, v98, v99
	s_delay_alu instid0(VALU_DEP_1) | instskip(NEXT) | instid1(VALU_DEP_1)
	v_fmac_f32_e32 v98, v99, v97
	v_div_scale_f32 v99, null, v98, v98, 1.0
	s_delay_alu instid0(VALU_DEP_1) | instskip(SKIP_1) | instid1(TRANS32_DEP_1)
	v_rcp_f32_e32 v105, v99
	v_nop
	v_fma_f32 v106, -v99, v105, 1.0
	s_delay_alu instid0(VALU_DEP_1) | instskip(SKIP_1) | instid1(VALU_DEP_1)
	v_fmac_f32_e32 v105, v106, v105
	v_div_scale_f32 v106, vcc_lo, 1.0, v98, 1.0
	v_mul_f32_e32 v107, v106, v105
	s_delay_alu instid0(VALU_DEP_1) | instskip(NEXT) | instid1(VALU_DEP_1)
	v_fma_f32 v108, -v99, v107, v106
	v_fmac_f32_e32 v107, v108, v105
	s_delay_alu instid0(VALU_DEP_1) | instskip(NEXT) | instid1(VALU_DEP_1)
	v_fma_f32 v99, -v99, v107, v106
	v_div_fmas_f32 v99, v99, v105, v107
	s_delay_alu instid0(VALU_DEP_1) | instskip(NEXT) | instid1(VALU_DEP_1)
	v_div_fixup_f32 v98, v99, v98, 1.0
	v_mul_f32_e64 v99, v97, -v98
.LBB88_93:
	s_or_b32 exec_lo, exec_lo, s1
.LBB88_94:
	s_delay_alu instid0(SALU_CYCLE_1) | instskip(NEXT) | instid1(SALU_CYCLE_1)
	s_or_b32 exec_lo, exec_lo, s0
	s_mov_b32 s0, exec_lo
	v_cmpx_ne_u32_e64 v104, v96
	s_xor_b32 s0, exec_lo, s0
	s_cbranch_execz .LBB88_100
; %bb.95:
	s_mov_b32 s1, exec_lo
	v_cmpx_eq_u32_e32 4, v104
	s_cbranch_execz .LBB88_99
; %bb.96:
	v_cmp_ne_u32_e32 vcc_lo, 4, v96
	s_xor_b32 s12, s16, -1
	s_delay_alu instid0(SALU_CYCLE_1) | instskip(NEXT) | instid1(SALU_CYCLE_1)
	s_and_b32 s13, s12, vcc_lo
	s_and_saveexec_b32 s12, s13
	s_cbranch_execz .LBB88_98
; %bb.97:
	v_ashrrev_i32_e32 v97, 31, v96
	s_delay_alu instid0(VALU_DEP_1)
	v_lshl_add_u64 v[104:105], v[96:97], 2, v[4:5]
	s_clause 0x1
	global_load_b32 v97, v[104:105], off
	global_load_b32 v103, v[4:5], off offset:16
	s_wait_loadcnt 0x1
	global_store_b32 v[4:5], v97, off offset:16
	s_wait_loadcnt 0x0
	global_store_b32 v[104:105], v103, off
.LBB88_98:
	s_wait_xcnt 0x0
	s_or_b32 exec_lo, exec_lo, s12
	v_dual_mov_b32 v104, v96 :: v_dual_mov_b32 v103, v96
.LBB88_99:
	s_or_b32 exec_lo, exec_lo, s1
.LBB88_100:
	s_and_not1_saveexec_b32 s0, s0
	s_cbranch_execz .LBB88_102
; %bb.101:
	v_mov_b32_e32 v104, 4
	ds_store_2addr_b64 v100, v[26:27], v[32:33] offset0:5 offset1:6
	ds_store_2addr_b64 v100, v[24:25], v[52:53] offset0:7 offset1:8
	;; [unrolled: 1-line block ×20, first 2 shown]
.LBB88_102:
	s_or_b32 exec_lo, exec_lo, s0
	s_delay_alu instid0(SALU_CYCLE_1)
	s_mov_b32 s0, exec_lo
	s_wait_storecnt_dscnt 0x0
	s_barrier_signal -1
	s_barrier_wait -1
	v_cmpx_lt_i32_e32 4, v104
	s_cbranch_execz .LBB88_104
; %bb.103:
	v_pk_mul_f32 v[106:107], v[98:99], v[34:35] op_sel:[1,1] op_sel_hi:[0,1]
	s_delay_alu instid0(VALU_DEP_1)
	v_pk_fma_f32 v[96:97], v[98:99], v[34:35], v[106:107] op_sel_hi:[1,0,1] neg_lo:[0,0,1] neg_hi:[0,0,1]
	v_pk_fma_f32 v[98:99], v[98:99], v[34:35], v[106:107] op_sel_hi:[1,0,1]
	ds_load_2addr_b64 v[106:109], v100 offset0:5 offset1:6
	v_dual_mov_b32 v34, v96 :: v_dual_mov_b32 v35, v99
	s_wait_dscnt 0x0
	v_pk_mul_f32 v[110:111], v[106:107], v[98:99] op_sel:[0,1]
	s_delay_alu instid0(VALU_DEP_1) | instskip(SKIP_1) | instid1(VALU_DEP_1)
	v_pk_fma_f32 v[112:113], v[106:107], v[96:97], v[110:111] op_sel:[0,0,1] op_sel_hi:[1,1,0] neg_lo:[0,0,1] neg_hi:[0,0,1]
	v_pk_fma_f32 v[106:107], v[106:107], v[96:97], v[110:111] op_sel:[0,0,1] op_sel_hi:[1,0,0]
	v_mov_b32_e32 v113, v107
	v_pk_mul_f32 v[106:107], v[108:109], v[98:99] op_sel:[0,1]
	s_delay_alu instid0(VALU_DEP_1) | instskip(SKIP_1) | instid1(VALU_DEP_1)
	v_pk_fma_f32 v[110:111], v[108:109], v[96:97], v[106:107] op_sel:[0,0,1] op_sel_hi:[1,1,0] neg_lo:[0,0,1] neg_hi:[0,0,1]
	v_pk_fma_f32 v[106:107], v[108:109], v[96:97], v[106:107] op_sel:[0,0,1] op_sel_hi:[1,0,0]
	v_mov_b32_e32 v111, v107
	ds_load_2addr_b64 v[106:109], v100 offset0:7 offset1:8
	v_pk_add_f32 v[26:27], v[26:27], v[112:113] neg_lo:[0,1] neg_hi:[0,1]
	v_pk_add_f32 v[32:33], v[32:33], v[110:111] neg_lo:[0,1] neg_hi:[0,1]
	s_wait_dscnt 0x0
	v_pk_mul_f32 v[110:111], v[106:107], v[98:99] op_sel:[0,1]
	s_delay_alu instid0(VALU_DEP_1) | instskip(SKIP_2) | instid1(VALU_DEP_2)
	v_pk_fma_f32 v[112:113], v[106:107], v[96:97], v[110:111] op_sel:[0,0,1] op_sel_hi:[1,1,0] neg_lo:[0,0,1] neg_hi:[0,0,1]
	v_pk_fma_f32 v[106:107], v[106:107], v[96:97], v[110:111] op_sel:[0,0,1] op_sel_hi:[1,0,0]
	v_dual_mul_f32 v110, v109, v99 :: v_dual_mov_b32 v106, v109
	v_dual_mov_b32 v113, v107 :: v_dual_mov_b32 v107, v108
	s_delay_alu instid0(VALU_DEP_2) | instskip(SKIP_1) | instid1(VALU_DEP_3)
	v_pk_fma_f32 v[110:111], v[108:109], v[34:35], v[110:111] op_sel_hi:[1,1,0] neg_lo:[0,0,1] neg_hi:[0,0,1]
	v_mul_f32_e32 v108, v109, v96
	v_pk_add_f32 v[24:25], v[24:25], v[112:113] neg_lo:[0,1] neg_hi:[0,1]
	s_delay_alu instid0(VALU_DEP_2) | instskip(NEXT) | instid1(VALU_DEP_1)
	v_pk_fma_f32 v[106:107], v[106:107], v[34:35], v[108:109] op_sel_hi:[1,1,0]
	v_mov_b32_e32 v111, v107
	ds_load_2addr_b64 v[106:109], v100 offset0:9 offset1:10
	v_pk_add_f32 v[52:53], v[52:53], v[110:111] neg_lo:[0,1] neg_hi:[0,1]
	s_wait_dscnt 0x0
	v_pk_mul_f32 v[110:111], v[106:107], v[98:99] op_sel:[0,1]
	s_delay_alu instid0(VALU_DEP_1) | instskip(SKIP_1) | instid1(VALU_DEP_1)
	v_pk_fma_f32 v[112:113], v[106:107], v[96:97], v[110:111] op_sel:[0,0,1] op_sel_hi:[1,1,0] neg_lo:[0,0,1] neg_hi:[0,0,1]
	v_pk_fma_f32 v[106:107], v[106:107], v[96:97], v[110:111] op_sel:[0,0,1] op_sel_hi:[1,0,0]
	v_mov_b32_e32 v113, v107
	v_pk_mul_f32 v[106:107], v[108:109], v[98:99] op_sel:[0,1]
	s_delay_alu instid0(VALU_DEP_1) | instskip(SKIP_1) | instid1(VALU_DEP_1)
	v_pk_fma_f32 v[110:111], v[108:109], v[96:97], v[106:107] op_sel:[0,0,1] op_sel_hi:[1,1,0] neg_lo:[0,0,1] neg_hi:[0,0,1]
	v_pk_fma_f32 v[106:107], v[108:109], v[96:97], v[106:107] op_sel:[0,0,1] op_sel_hi:[1,0,0]
	v_mov_b32_e32 v111, v107
	ds_load_2addr_b64 v[106:109], v100 offset0:11 offset1:12
	v_pk_add_f32 v[44:45], v[44:45], v[112:113] neg_lo:[0,1] neg_hi:[0,1]
	v_pk_add_f32 v[50:51], v[50:51], v[110:111] neg_lo:[0,1] neg_hi:[0,1]
	s_wait_dscnt 0x0
	v_pk_mul_f32 v[110:111], v[106:107], v[98:99] op_sel:[0,1]
	s_delay_alu instid0(VALU_DEP_1) | instskip(SKIP_1) | instid1(VALU_DEP_1)
	v_pk_fma_f32 v[112:113], v[106:107], v[96:97], v[110:111] op_sel:[0,0,1] op_sel_hi:[1,1,0] neg_lo:[0,0,1] neg_hi:[0,0,1]
	v_pk_fma_f32 v[106:107], v[106:107], v[96:97], v[110:111] op_sel:[0,0,1] op_sel_hi:[1,0,0]
	v_mov_b32_e32 v113, v107
	v_pk_mul_f32 v[106:107], v[108:109], v[98:99] op_sel:[0,1]
	s_delay_alu instid0(VALU_DEP_1) | instskip(SKIP_1) | instid1(VALU_DEP_1)
	v_pk_fma_f32 v[110:111], v[108:109], v[96:97], v[106:107] op_sel:[0,0,1] op_sel_hi:[1,1,0] neg_lo:[0,0,1] neg_hi:[0,0,1]
	v_pk_fma_f32 v[106:107], v[108:109], v[96:97], v[106:107] op_sel:[0,0,1] op_sel_hi:[1,0,0]
	v_mov_b32_e32 v111, v107
	ds_load_2addr_b64 v[106:109], v100 offset0:13 offset1:14
	v_pk_add_f32 v[42:43], v[42:43], v[112:113] neg_lo:[0,1] neg_hi:[0,1]
	v_pk_add_f32 v[84:85], v[84:85], v[110:111] neg_lo:[0,1] neg_hi:[0,1]
	s_wait_dscnt 0x0
	v_dual_mul_f32 v110, v107, v99 :: v_dual_mul_f32 v112, v107, v96
	s_delay_alu instid0(VALU_DEP_1) | instskip(NEXT) | instid1(VALU_DEP_2)
	v_pk_fma_f32 v[110:111], v[106:107], v[34:35], v[110:111] op_sel_hi:[1,1,0] neg_lo:[0,0,1] neg_hi:[0,0,1]
	v_pk_fma_f32 v[106:107], v[106:107], v[34:35], v[112:113] op_sel:[1,0,0] op_sel_hi:[0,1,0]
	s_delay_alu instid0(VALU_DEP_1) | instskip(SKIP_1) | instid1(VALU_DEP_2)
	v_mov_b32_e32 v111, v107
	v_pk_mul_f32 v[106:107], v[108:109], v[98:99] op_sel:[0,1]
	v_pk_add_f32 v[80:81], v[80:81], v[110:111] neg_lo:[0,1] neg_hi:[0,1]
	s_delay_alu instid0(VALU_DEP_2) | instskip(SKIP_1) | instid1(VALU_DEP_1)
	v_pk_fma_f32 v[110:111], v[108:109], v[96:97], v[106:107] op_sel:[0,0,1] op_sel_hi:[1,1,0] neg_lo:[0,0,1] neg_hi:[0,0,1]
	v_pk_fma_f32 v[106:107], v[108:109], v[96:97], v[106:107] op_sel:[0,0,1] op_sel_hi:[1,0,0]
	v_mov_b32_e32 v111, v107
	ds_load_2addr_b64 v[106:109], v100 offset0:15 offset1:16
	v_pk_add_f32 v[82:83], v[82:83], v[110:111] neg_lo:[0,1] neg_hi:[0,1]
	s_wait_dscnt 0x0
	v_pk_mul_f32 v[110:111], v[106:107], v[98:99] op_sel:[0,1]
	s_delay_alu instid0(VALU_DEP_1) | instskip(SKIP_1) | instid1(VALU_DEP_1)
	v_pk_fma_f32 v[112:113], v[106:107], v[96:97], v[110:111] op_sel:[0,0,1] op_sel_hi:[1,1,0] neg_lo:[0,0,1] neg_hi:[0,0,1]
	v_pk_fma_f32 v[106:107], v[106:107], v[96:97], v[110:111] op_sel:[0,0,1] op_sel_hi:[1,0,0]
	v_mov_b32_e32 v113, v107
	v_pk_mul_f32 v[106:107], v[108:109], v[98:99] op_sel:[0,1]
	s_delay_alu instid0(VALU_DEP_2) | instskip(NEXT) | instid1(VALU_DEP_2)
	v_pk_add_f32 v[78:79], v[78:79], v[112:113] neg_lo:[0,1] neg_hi:[0,1]
	v_pk_fma_f32 v[110:111], v[108:109], v[96:97], v[106:107] op_sel:[0,0,1] op_sel_hi:[1,1,0] neg_lo:[0,0,1] neg_hi:[0,0,1]
	v_pk_fma_f32 v[106:107], v[108:109], v[96:97], v[106:107] op_sel:[0,0,1] op_sel_hi:[1,0,0]
	s_delay_alu instid0(VALU_DEP_1) | instskip(SKIP_4) | instid1(VALU_DEP_1)
	v_mov_b32_e32 v111, v107
	ds_load_2addr_b64 v[106:109], v100 offset0:17 offset1:18
	v_pk_add_f32 v[76:77], v[76:77], v[110:111] neg_lo:[0,1] neg_hi:[0,1]
	s_wait_dscnt 0x0
	v_pk_mul_f32 v[110:111], v[106:107], v[98:99] op_sel:[0,1]
	v_pk_fma_f32 v[112:113], v[106:107], v[96:97], v[110:111] op_sel:[0,0,1] op_sel_hi:[1,1,0] neg_lo:[0,0,1] neg_hi:[0,0,1]
	v_pk_fma_f32 v[106:107], v[106:107], v[96:97], v[110:111] op_sel:[0,0,1] op_sel_hi:[1,0,0]
	v_dual_mul_f32 v110, v109, v99 :: v_dual_mov_b32 v106, v109
	s_delay_alu instid0(VALU_DEP_2) | instskip(NEXT) | instid1(VALU_DEP_2)
	v_dual_mov_b32 v113, v107 :: v_dual_mov_b32 v107, v108
	v_pk_fma_f32 v[110:111], v[108:109], v[34:35], v[110:111] op_sel_hi:[1,1,0] neg_lo:[0,0,1] neg_hi:[0,0,1]
	v_mul_f32_e32 v108, v109, v96
	s_delay_alu instid0(VALU_DEP_3) | instskip(NEXT) | instid1(VALU_DEP_2)
	v_pk_add_f32 v[72:73], v[72:73], v[112:113] neg_lo:[0,1] neg_hi:[0,1]
	v_pk_fma_f32 v[106:107], v[106:107], v[34:35], v[108:109] op_sel_hi:[1,1,0]
	s_delay_alu instid0(VALU_DEP_1) | instskip(SKIP_4) | instid1(VALU_DEP_1)
	v_mov_b32_e32 v111, v107
	ds_load_2addr_b64 v[106:109], v100 offset0:19 offset1:20
	v_pk_add_f32 v[74:75], v[74:75], v[110:111] neg_lo:[0,1] neg_hi:[0,1]
	s_wait_dscnt 0x0
	v_pk_mul_f32 v[110:111], v[106:107], v[98:99] op_sel:[0,1]
	v_pk_fma_f32 v[112:113], v[106:107], v[96:97], v[110:111] op_sel:[0,0,1] op_sel_hi:[1,1,0] neg_lo:[0,0,1] neg_hi:[0,0,1]
	v_pk_fma_f32 v[106:107], v[106:107], v[96:97], v[110:111] op_sel:[0,0,1] op_sel_hi:[1,0,0]
	s_delay_alu instid0(VALU_DEP_1) | instskip(SKIP_1) | instid1(VALU_DEP_1)
	v_mov_b32_e32 v113, v107
	v_pk_mul_f32 v[106:107], v[108:109], v[98:99] op_sel:[0,1]
	v_pk_fma_f32 v[110:111], v[108:109], v[96:97], v[106:107] op_sel:[0,0,1] op_sel_hi:[1,1,0] neg_lo:[0,0,1] neg_hi:[0,0,1]
	v_pk_fma_f32 v[106:107], v[108:109], v[96:97], v[106:107] op_sel:[0,0,1] op_sel_hi:[1,0,0]
	s_delay_alu instid0(VALU_DEP_1)
	v_mov_b32_e32 v111, v107
	ds_load_2addr_b64 v[106:109], v100 offset0:21 offset1:22
	v_pk_add_f32 v[70:71], v[70:71], v[112:113] neg_lo:[0,1] neg_hi:[0,1]
	v_pk_add_f32 v[68:69], v[68:69], v[110:111] neg_lo:[0,1] neg_hi:[0,1]
	s_wait_dscnt 0x0
	v_pk_mul_f32 v[110:111], v[106:107], v[98:99] op_sel:[0,1]
	s_delay_alu instid0(VALU_DEP_1) | instskip(SKIP_1) | instid1(VALU_DEP_1)
	v_pk_fma_f32 v[112:113], v[106:107], v[96:97], v[110:111] op_sel:[0,0,1] op_sel_hi:[1,1,0] neg_lo:[0,0,1] neg_hi:[0,0,1]
	v_pk_fma_f32 v[106:107], v[106:107], v[96:97], v[110:111] op_sel:[0,0,1] op_sel_hi:[1,0,0]
	v_mov_b32_e32 v113, v107
	v_pk_mul_f32 v[106:107], v[108:109], v[98:99] op_sel:[0,1]
	s_delay_alu instid0(VALU_DEP_1) | instskip(SKIP_1) | instid1(VALU_DEP_1)
	v_pk_fma_f32 v[110:111], v[108:109], v[96:97], v[106:107] op_sel:[0,0,1] op_sel_hi:[1,1,0] neg_lo:[0,0,1] neg_hi:[0,0,1]
	v_pk_fma_f32 v[106:107], v[108:109], v[96:97], v[106:107] op_sel:[0,0,1] op_sel_hi:[1,0,0]
	v_mov_b32_e32 v111, v107
	ds_load_2addr_b64 v[106:109], v100 offset0:23 offset1:24
	v_pk_add_f32 v[64:65], v[64:65], v[112:113] neg_lo:[0,1] neg_hi:[0,1]
	v_pk_add_f32 v[66:67], v[66:67], v[110:111] neg_lo:[0,1] neg_hi:[0,1]
	s_wait_dscnt 0x0
	v_dual_mul_f32 v110, v107, v99 :: v_dual_mul_f32 v112, v107, v96
	s_delay_alu instid0(VALU_DEP_1) | instskip(NEXT) | instid1(VALU_DEP_2)
	v_pk_fma_f32 v[110:111], v[106:107], v[34:35], v[110:111] op_sel_hi:[1,1,0] neg_lo:[0,0,1] neg_hi:[0,0,1]
	v_pk_fma_f32 v[106:107], v[106:107], v[34:35], v[112:113] op_sel:[1,0,0] op_sel_hi:[0,1,0]
	s_delay_alu instid0(VALU_DEP_1) | instskip(SKIP_1) | instid1(VALU_DEP_2)
	v_mov_b32_e32 v111, v107
	v_pk_mul_f32 v[106:107], v[108:109], v[98:99] op_sel:[0,1]
	v_pk_add_f32 v[62:63], v[62:63], v[110:111] neg_lo:[0,1] neg_hi:[0,1]
	s_delay_alu instid0(VALU_DEP_2) | instskip(SKIP_1) | instid1(VALU_DEP_1)
	v_pk_fma_f32 v[110:111], v[108:109], v[96:97], v[106:107] op_sel:[0,0,1] op_sel_hi:[1,1,0] neg_lo:[0,0,1] neg_hi:[0,0,1]
	v_pk_fma_f32 v[106:107], v[108:109], v[96:97], v[106:107] op_sel:[0,0,1] op_sel_hi:[1,0,0]
	v_mov_b32_e32 v111, v107
	ds_load_2addr_b64 v[106:109], v100 offset0:25 offset1:26
	v_pk_add_f32 v[60:61], v[60:61], v[110:111] neg_lo:[0,1] neg_hi:[0,1]
	s_wait_dscnt 0x0
	v_pk_mul_f32 v[110:111], v[106:107], v[98:99] op_sel:[0,1]
	s_delay_alu instid0(VALU_DEP_1) | instskip(SKIP_1) | instid1(VALU_DEP_1)
	v_pk_fma_f32 v[112:113], v[106:107], v[96:97], v[110:111] op_sel:[0,0,1] op_sel_hi:[1,1,0] neg_lo:[0,0,1] neg_hi:[0,0,1]
	v_pk_fma_f32 v[106:107], v[106:107], v[96:97], v[110:111] op_sel:[0,0,1] op_sel_hi:[1,0,0]
	v_mov_b32_e32 v113, v107
	v_pk_mul_f32 v[106:107], v[108:109], v[98:99] op_sel:[0,1]
	s_delay_alu instid0(VALU_DEP_2) | instskip(NEXT) | instid1(VALU_DEP_2)
	v_pk_add_f32 v[56:57], v[56:57], v[112:113] neg_lo:[0,1] neg_hi:[0,1]
	v_pk_fma_f32 v[110:111], v[108:109], v[96:97], v[106:107] op_sel:[0,0,1] op_sel_hi:[1,1,0] neg_lo:[0,0,1] neg_hi:[0,0,1]
	v_pk_fma_f32 v[106:107], v[108:109], v[96:97], v[106:107] op_sel:[0,0,1] op_sel_hi:[1,0,0]
	s_delay_alu instid0(VALU_DEP_1) | instskip(SKIP_4) | instid1(VALU_DEP_1)
	v_mov_b32_e32 v111, v107
	ds_load_2addr_b64 v[106:109], v100 offset0:27 offset1:28
	v_pk_add_f32 v[58:59], v[58:59], v[110:111] neg_lo:[0,1] neg_hi:[0,1]
	s_wait_dscnt 0x0
	v_pk_mul_f32 v[110:111], v[106:107], v[98:99] op_sel:[0,1]
	v_pk_fma_f32 v[112:113], v[106:107], v[96:97], v[110:111] op_sel:[0,0,1] op_sel_hi:[1,1,0] neg_lo:[0,0,1] neg_hi:[0,0,1]
	v_pk_fma_f32 v[106:107], v[106:107], v[96:97], v[110:111] op_sel:[0,0,1] op_sel_hi:[1,0,0]
	v_dual_mul_f32 v110, v109, v99 :: v_dual_mov_b32 v106, v109
	s_delay_alu instid0(VALU_DEP_2) | instskip(NEXT) | instid1(VALU_DEP_2)
	v_dual_mov_b32 v113, v107 :: v_dual_mov_b32 v107, v108
	v_pk_fma_f32 v[110:111], v[108:109], v[34:35], v[110:111] op_sel_hi:[1,1,0] neg_lo:[0,0,1] neg_hi:[0,0,1]
	v_mul_f32_e32 v108, v109, v96
	s_delay_alu instid0(VALU_DEP_3) | instskip(NEXT) | instid1(VALU_DEP_2)
	v_pk_add_f32 v[54:55], v[54:55], v[112:113] neg_lo:[0,1] neg_hi:[0,1]
	v_pk_fma_f32 v[106:107], v[106:107], v[34:35], v[108:109] op_sel_hi:[1,1,0]
	s_delay_alu instid0(VALU_DEP_1) | instskip(SKIP_4) | instid1(VALU_DEP_1)
	v_mov_b32_e32 v111, v107
	ds_load_2addr_b64 v[106:109], v100 offset0:29 offset1:30
	v_pk_add_f32 v[48:49], v[48:49], v[110:111] neg_lo:[0,1] neg_hi:[0,1]
	s_wait_dscnt 0x0
	v_pk_mul_f32 v[110:111], v[106:107], v[98:99] op_sel:[0,1]
	v_pk_fma_f32 v[112:113], v[106:107], v[96:97], v[110:111] op_sel:[0,0,1] op_sel_hi:[1,1,0] neg_lo:[0,0,1] neg_hi:[0,0,1]
	v_pk_fma_f32 v[106:107], v[106:107], v[96:97], v[110:111] op_sel:[0,0,1] op_sel_hi:[1,0,0]
	s_delay_alu instid0(VALU_DEP_1) | instskip(SKIP_1) | instid1(VALU_DEP_1)
	v_mov_b32_e32 v113, v107
	v_pk_mul_f32 v[106:107], v[108:109], v[98:99] op_sel:[0,1]
	v_pk_fma_f32 v[110:111], v[108:109], v[96:97], v[106:107] op_sel:[0,0,1] op_sel_hi:[1,1,0] neg_lo:[0,0,1] neg_hi:[0,0,1]
	v_pk_fma_f32 v[106:107], v[108:109], v[96:97], v[106:107] op_sel:[0,0,1] op_sel_hi:[1,0,0]
	s_delay_alu instid0(VALU_DEP_1)
	v_mov_b32_e32 v111, v107
	ds_load_2addr_b64 v[106:109], v100 offset0:31 offset1:32
	v_pk_add_f32 v[40:41], v[40:41], v[112:113] neg_lo:[0,1] neg_hi:[0,1]
	v_pk_add_f32 v[46:47], v[46:47], v[110:111] neg_lo:[0,1] neg_hi:[0,1]
	s_wait_dscnt 0x0
	v_pk_mul_f32 v[110:111], v[106:107], v[98:99] op_sel:[0,1]
	s_delay_alu instid0(VALU_DEP_1) | instskip(SKIP_1) | instid1(VALU_DEP_1)
	v_pk_fma_f32 v[112:113], v[106:107], v[96:97], v[110:111] op_sel:[0,0,1] op_sel_hi:[1,1,0] neg_lo:[0,0,1] neg_hi:[0,0,1]
	v_pk_fma_f32 v[106:107], v[106:107], v[96:97], v[110:111] op_sel:[0,0,1] op_sel_hi:[1,0,0]
	v_mov_b32_e32 v113, v107
	v_pk_mul_f32 v[106:107], v[108:109], v[98:99] op_sel:[0,1]
	s_delay_alu instid0(VALU_DEP_1) | instskip(SKIP_1) | instid1(VALU_DEP_1)
	v_pk_fma_f32 v[110:111], v[108:109], v[96:97], v[106:107] op_sel:[0,0,1] op_sel_hi:[1,1,0] neg_lo:[0,0,1] neg_hi:[0,0,1]
	v_pk_fma_f32 v[106:107], v[108:109], v[96:97], v[106:107] op_sel:[0,0,1] op_sel_hi:[1,0,0]
	v_mov_b32_e32 v111, v107
	ds_load_2addr_b64 v[106:109], v100 offset0:33 offset1:34
	v_pk_add_f32 v[38:39], v[38:39], v[112:113] neg_lo:[0,1] neg_hi:[0,1]
	v_pk_add_f32 v[30:31], v[30:31], v[110:111] neg_lo:[0,1] neg_hi:[0,1]
	s_wait_dscnt 0x0
	v_dual_mul_f32 v110, v107, v99 :: v_dual_mul_f32 v112, v107, v96
	s_delay_alu instid0(VALU_DEP_1) | instskip(NEXT) | instid1(VALU_DEP_2)
	v_pk_fma_f32 v[110:111], v[106:107], v[34:35], v[110:111] op_sel_hi:[1,1,0] neg_lo:[0,0,1] neg_hi:[0,0,1]
	v_pk_fma_f32 v[106:107], v[106:107], v[34:35], v[112:113] op_sel:[1,0,0] op_sel_hi:[0,1,0]
	s_delay_alu instid0(VALU_DEP_1) | instskip(SKIP_1) | instid1(VALU_DEP_2)
	v_mov_b32_e32 v111, v107
	v_pk_mul_f32 v[106:107], v[108:109], v[98:99] op_sel:[0,1]
	v_pk_add_f32 v[22:23], v[22:23], v[110:111] neg_lo:[0,1] neg_hi:[0,1]
	s_delay_alu instid0(VALU_DEP_2) | instskip(SKIP_1) | instid1(VALU_DEP_1)
	v_pk_fma_f32 v[110:111], v[108:109], v[96:97], v[106:107] op_sel:[0,0,1] op_sel_hi:[1,1,0] neg_lo:[0,0,1] neg_hi:[0,0,1]
	v_pk_fma_f32 v[106:107], v[108:109], v[96:97], v[106:107] op_sel:[0,0,1] op_sel_hi:[1,0,0]
	v_mov_b32_e32 v111, v107
	ds_load_2addr_b64 v[106:109], v100 offset0:35 offset1:36
	v_pk_add_f32 v[28:29], v[28:29], v[110:111] neg_lo:[0,1] neg_hi:[0,1]
	s_wait_dscnt 0x0
	v_pk_mul_f32 v[110:111], v[106:107], v[98:99] op_sel:[0,1]
	s_delay_alu instid0(VALU_DEP_1) | instskip(SKIP_1) | instid1(VALU_DEP_1)
	v_pk_fma_f32 v[112:113], v[106:107], v[96:97], v[110:111] op_sel:[0,0,1] op_sel_hi:[1,1,0] neg_lo:[0,0,1] neg_hi:[0,0,1]
	v_pk_fma_f32 v[106:107], v[106:107], v[96:97], v[110:111] op_sel:[0,0,1] op_sel_hi:[1,0,0]
	v_mov_b32_e32 v113, v107
	v_pk_mul_f32 v[106:107], v[108:109], v[98:99] op_sel:[0,1]
	s_delay_alu instid0(VALU_DEP_2) | instskip(NEXT) | instid1(VALU_DEP_2)
	v_pk_add_f32 v[20:21], v[20:21], v[112:113] neg_lo:[0,1] neg_hi:[0,1]
	v_pk_fma_f32 v[110:111], v[108:109], v[96:97], v[106:107] op_sel:[0,0,1] op_sel_hi:[1,1,0] neg_lo:[0,0,1] neg_hi:[0,0,1]
	v_pk_fma_f32 v[106:107], v[108:109], v[96:97], v[106:107] op_sel:[0,0,1] op_sel_hi:[1,0,0]
	s_delay_alu instid0(VALU_DEP_1) | instskip(SKIP_4) | instid1(VALU_DEP_1)
	v_mov_b32_e32 v111, v107
	ds_load_2addr_b64 v[106:109], v100 offset0:37 offset1:38
	v_pk_add_f32 v[14:15], v[14:15], v[110:111] neg_lo:[0,1] neg_hi:[0,1]
	s_wait_dscnt 0x0
	v_pk_mul_f32 v[110:111], v[106:107], v[98:99] op_sel:[0,1]
	v_pk_fma_f32 v[112:113], v[106:107], v[96:97], v[110:111] op_sel:[0,0,1] op_sel_hi:[1,1,0] neg_lo:[0,0,1] neg_hi:[0,0,1]
	v_pk_fma_f32 v[106:107], v[106:107], v[96:97], v[110:111] op_sel:[0,0,1] op_sel_hi:[1,0,0]
	v_dual_mul_f32 v110, v109, v99 :: v_dual_mov_b32 v106, v109
	s_delay_alu instid0(VALU_DEP_2) | instskip(NEXT) | instid1(VALU_DEP_2)
	v_dual_mov_b32 v113, v107 :: v_dual_mov_b32 v107, v108
	v_pk_fma_f32 v[110:111], v[108:109], v[34:35], v[110:111] op_sel_hi:[1,1,0] neg_lo:[0,0,1] neg_hi:[0,0,1]
	v_mul_f32_e32 v108, v109, v96
	s_delay_alu instid0(VALU_DEP_3) | instskip(NEXT) | instid1(VALU_DEP_2)
	v_pk_add_f32 v[10:11], v[10:11], v[112:113] neg_lo:[0,1] neg_hi:[0,1]
	v_pk_fma_f32 v[106:107], v[106:107], v[34:35], v[108:109] op_sel_hi:[1,1,0]
	s_delay_alu instid0(VALU_DEP_1) | instskip(SKIP_4) | instid1(VALU_DEP_1)
	v_mov_b32_e32 v111, v107
	ds_load_2addr_b64 v[106:109], v100 offset0:39 offset1:40
	v_pk_add_f32 v[12:13], v[12:13], v[110:111] neg_lo:[0,1] neg_hi:[0,1]
	s_wait_dscnt 0x0
	v_pk_mul_f32 v[110:111], v[106:107], v[98:99] op_sel:[0,1]
	v_pk_fma_f32 v[112:113], v[106:107], v[96:97], v[110:111] op_sel:[0,0,1] op_sel_hi:[1,1,0] neg_lo:[0,0,1] neg_hi:[0,0,1]
	v_pk_fma_f32 v[106:107], v[106:107], v[96:97], v[110:111] op_sel:[0,0,1] op_sel_hi:[1,0,0]
	s_delay_alu instid0(VALU_DEP_1) | instskip(SKIP_1) | instid1(VALU_DEP_1)
	v_mov_b32_e32 v113, v107
	v_pk_mul_f32 v[106:107], v[108:109], v[98:99] op_sel:[0,1]
	v_pk_fma_f32 v[110:111], v[108:109], v[96:97], v[106:107] op_sel:[0,0,1] op_sel_hi:[1,1,0] neg_lo:[0,0,1] neg_hi:[0,0,1]
	v_pk_fma_f32 v[106:107], v[108:109], v[96:97], v[106:107] op_sel:[0,0,1] op_sel_hi:[1,0,0]
	s_delay_alu instid0(VALU_DEP_1)
	v_mov_b32_e32 v111, v107
	ds_load_2addr_b64 v[106:109], v100 offset0:41 offset1:42
	v_pk_add_f32 v[8:9], v[8:9], v[112:113] neg_lo:[0,1] neg_hi:[0,1]
	v_pk_add_f32 v[6:7], v[6:7], v[110:111] neg_lo:[0,1] neg_hi:[0,1]
	s_wait_dscnt 0x0
	v_pk_mul_f32 v[110:111], v[106:107], v[98:99] op_sel:[0,1]
	s_delay_alu instid0(VALU_DEP_1) | instskip(SKIP_1) | instid1(VALU_DEP_1)
	v_pk_fma_f32 v[112:113], v[106:107], v[96:97], v[110:111] op_sel:[0,0,1] op_sel_hi:[1,1,0] neg_lo:[0,0,1] neg_hi:[0,0,1]
	v_pk_fma_f32 v[106:107], v[106:107], v[96:97], v[110:111] op_sel:[0,0,1] op_sel_hi:[1,0,0]
	v_mov_b32_e32 v113, v107
	v_pk_mul_f32 v[106:107], v[108:109], v[98:99] op_sel:[0,1]
	s_delay_alu instid0(VALU_DEP_1) | instskip(SKIP_1) | instid1(VALU_DEP_1)
	v_pk_fma_f32 v[110:111], v[108:109], v[96:97], v[106:107] op_sel:[0,0,1] op_sel_hi:[1,1,0] neg_lo:[0,0,1] neg_hi:[0,0,1]
	v_pk_fma_f32 v[106:107], v[108:109], v[96:97], v[106:107] op_sel:[0,0,1] op_sel_hi:[1,0,0]
	v_mov_b32_e32 v111, v107
	ds_load_2addr_b64 v[106:109], v100 offset0:43 offset1:44
	v_pk_add_f32 v[36:37], v[36:37], v[112:113] neg_lo:[0,1] neg_hi:[0,1]
	v_pk_add_f32 v[18:19], v[18:19], v[110:111] neg_lo:[0,1] neg_hi:[0,1]
	s_wait_dscnt 0x0
	v_dual_mul_f32 v110, v107, v99 :: v_dual_mul_f32 v112, v107, v96
	v_pk_mul_f32 v[98:99], v[108:109], v[98:99] op_sel:[0,1]
	s_delay_alu instid0(VALU_DEP_2) | instskip(NEXT) | instid1(VALU_DEP_3)
	v_pk_fma_f32 v[110:111], v[106:107], v[34:35], v[110:111] op_sel_hi:[1,1,0] neg_lo:[0,0,1] neg_hi:[0,0,1]
	v_pk_fma_f32 v[106:107], v[106:107], v[34:35], v[112:113] op_sel:[1,0,0] op_sel_hi:[0,1,0]
	s_delay_alu instid0(VALU_DEP_1) | instskip(NEXT) | instid1(VALU_DEP_4)
	v_mov_b32_e32 v111, v107
	v_pk_fma_f32 v[106:107], v[108:109], v[96:97], v[98:99] op_sel:[0,0,1] op_sel_hi:[1,1,0] neg_lo:[0,0,1] neg_hi:[0,0,1]
	v_pk_fma_f32 v[96:97], v[108:109], v[96:97], v[98:99] op_sel:[0,0,1] op_sel_hi:[1,0,0]
	s_delay_alu instid0(VALU_DEP_1) | instskip(NEXT) | instid1(VALU_DEP_4)
	v_mov_b32_e32 v107, v97
	v_pk_add_f32 v[16:17], v[16:17], v[110:111] neg_lo:[0,1] neg_hi:[0,1]
	s_delay_alu instid0(VALU_DEP_2)
	v_pk_add_f32 v[94:95], v[94:95], v[106:107] neg_lo:[0,1] neg_hi:[0,1]
.LBB88_104:
	s_or_b32 exec_lo, exec_lo, s0
	v_lshl_add_u32 v96, v104, 3, v100
	s_barrier_signal -1
	s_barrier_wait -1
	ds_store_b64 v96, v[26:27]
	s_wait_dscnt 0x0
	s_barrier_signal -1
	s_barrier_wait -1
	ds_load_b64 v[98:99], v100 offset:40
	v_mov_b32_e32 v96, 5
	s_cmp_lt_i32 s18, 7
	s_cbranch_scc1 .LBB88_107
; %bb.105:
	v_add3_u32 v97, v101, 0, 48
	v_mov_b32_e32 v96, 5
	s_mov_b32 s0, 6
.LBB88_106:                             ; =>This Inner Loop Header: Depth=1
	ds_load_b64 v[106:107], v97
	s_wait_dscnt 0x1
	v_cmp_gt_f32_e32 vcc_lo, 0, v98
	v_cndmask_b32_e64 v108, v98, -v98, vcc_lo
	v_cmp_gt_f32_e32 vcc_lo, 0, v99
	v_cndmask_b32_e64 v110, v99, -v99, vcc_lo
	s_wait_dscnt 0x0
	v_cmp_gt_f32_e32 vcc_lo, 0, v106
	v_cndmask_b32_e64 v109, v106, -v106, vcc_lo
	v_cmp_gt_f32_e32 vcc_lo, 0, v107
	v_cndmask_b32_e64 v111, v107, -v107, vcc_lo
	s_delay_alu instid0(VALU_DEP_1) | instskip(NEXT) | instid1(VALU_DEP_1)
	v_pk_add_f32 v[108:109], v[108:109], v[110:111]
	v_cmp_lt_f32_e32 vcc_lo, v108, v109
	v_dual_add_nc_u32 v97, 8, v97 :: v_dual_cndmask_b32 v99, v99, v107, vcc_lo
	v_cndmask_b32_e32 v98, v98, v106, vcc_lo
	v_cndmask_b32_e64 v96, v96, s0, vcc_lo
	s_add_co_i32 s0, s0, 1
	s_delay_alu instid0(SALU_CYCLE_1)
	s_cmp_lg_u32 s18, s0
	s_cbranch_scc1 .LBB88_106
.LBB88_107:
	s_wait_dscnt 0x0
	v_cmp_eq_f32_e32 vcc_lo, 0, v98
	v_cmp_eq_f32_e64 s0, 0, v99
	s_and_b32 s0, vcc_lo, s0
	s_delay_alu instid0(SALU_CYCLE_1) | instskip(NEXT) | instid1(SALU_CYCLE_1)
	s_and_saveexec_b32 s1, s0
	s_xor_b32 s0, exec_lo, s1
; %bb.108:
	v_cmp_ne_u32_e32 vcc_lo, 0, v102
	v_cndmask_b32_e32 v102, 6, v102, vcc_lo
; %bb.109:
	s_and_not1_saveexec_b32 s0, s0
	s_cbranch_execz .LBB88_115
; %bb.110:
	v_cmp_ngt_f32_e64 s1, |v98|, |v99|
	s_and_saveexec_b32 s12, s1
	s_delay_alu instid0(SALU_CYCLE_1)
	s_xor_b32 s1, exec_lo, s12
	s_cbranch_execz .LBB88_112
; %bb.111:
	v_div_scale_f32 v97, null, v99, v99, v98
	v_div_scale_f32 v107, vcc_lo, v98, v99, v98
	s_delay_alu instid0(VALU_DEP_2) | instskip(SKIP_1) | instid1(TRANS32_DEP_1)
	v_rcp_f32_e32 v105, v97
	v_nop
	v_fma_f32 v106, -v97, v105, 1.0
	s_delay_alu instid0(VALU_DEP_1) | instskip(NEXT) | instid1(VALU_DEP_1)
	v_fmac_f32_e32 v105, v106, v105
	v_mul_f32_e32 v106, v107, v105
	s_delay_alu instid0(VALU_DEP_1) | instskip(NEXT) | instid1(VALU_DEP_1)
	v_fma_f32 v108, -v97, v106, v107
	v_fmac_f32_e32 v106, v108, v105
	s_delay_alu instid0(VALU_DEP_1) | instskip(NEXT) | instid1(VALU_DEP_1)
	v_fma_f32 v97, -v97, v106, v107
	v_div_fmas_f32 v97, v97, v105, v106
	s_delay_alu instid0(VALU_DEP_1) | instskip(NEXT) | instid1(VALU_DEP_1)
	v_div_fixup_f32 v97, v97, v99, v98
	v_fmac_f32_e32 v99, v98, v97
	s_delay_alu instid0(VALU_DEP_1) | instskip(SKIP_1) | instid1(VALU_DEP_2)
	v_div_scale_f32 v98, null, v99, v99, 1.0
	v_div_scale_f32 v107, vcc_lo, 1.0, v99, 1.0
	v_rcp_f32_e32 v105, v98
	v_nop
	s_delay_alu instid0(TRANS32_DEP_1) | instskip(NEXT) | instid1(VALU_DEP_1)
	v_fma_f32 v106, -v98, v105, 1.0
	v_fmac_f32_e32 v105, v106, v105
	s_delay_alu instid0(VALU_DEP_1) | instskip(NEXT) | instid1(VALU_DEP_1)
	v_mul_f32_e32 v106, v107, v105
	v_fma_f32 v108, -v98, v106, v107
	s_delay_alu instid0(VALU_DEP_1) | instskip(NEXT) | instid1(VALU_DEP_1)
	v_fmac_f32_e32 v106, v108, v105
	v_fma_f32 v98, -v98, v106, v107
	s_delay_alu instid0(VALU_DEP_1) | instskip(NEXT) | instid1(VALU_DEP_1)
	v_div_fmas_f32 v98, v98, v105, v106
	v_div_fixup_f32 v99, v98, v99, 1.0
	s_delay_alu instid0(VALU_DEP_1)
	v_mul_f32_e32 v98, v97, v99
	v_xor_b32_e32 v99, 0x80000000, v99
.LBB88_112:
	s_and_not1_saveexec_b32 s1, s1
	s_cbranch_execz .LBB88_114
; %bb.113:
	s_delay_alu instid0(VALU_DEP_1) | instskip(SKIP_1) | instid1(VALU_DEP_2)
	v_div_scale_f32 v97, null, v98, v98, v99
	v_div_scale_f32 v107, vcc_lo, v99, v98, v99
	v_rcp_f32_e32 v105, v97
	v_nop
	s_delay_alu instid0(TRANS32_DEP_1) | instskip(NEXT) | instid1(VALU_DEP_1)
	v_fma_f32 v106, -v97, v105, 1.0
	v_fmac_f32_e32 v105, v106, v105
	s_delay_alu instid0(VALU_DEP_1) | instskip(NEXT) | instid1(VALU_DEP_1)
	v_mul_f32_e32 v106, v107, v105
	v_fma_f32 v108, -v97, v106, v107
	s_delay_alu instid0(VALU_DEP_1) | instskip(NEXT) | instid1(VALU_DEP_1)
	v_fmac_f32_e32 v106, v108, v105
	v_fma_f32 v97, -v97, v106, v107
	s_delay_alu instid0(VALU_DEP_1) | instskip(NEXT) | instid1(VALU_DEP_1)
	v_div_fmas_f32 v97, v97, v105, v106
	v_div_fixup_f32 v97, v97, v98, v99
	s_delay_alu instid0(VALU_DEP_1) | instskip(NEXT) | instid1(VALU_DEP_1)
	v_fmac_f32_e32 v98, v99, v97
	v_div_scale_f32 v99, null, v98, v98, 1.0
	s_delay_alu instid0(VALU_DEP_1) | instskip(SKIP_1) | instid1(TRANS32_DEP_1)
	v_rcp_f32_e32 v105, v99
	v_nop
	v_fma_f32 v106, -v99, v105, 1.0
	s_delay_alu instid0(VALU_DEP_1) | instskip(SKIP_1) | instid1(VALU_DEP_1)
	v_fmac_f32_e32 v105, v106, v105
	v_div_scale_f32 v106, vcc_lo, 1.0, v98, 1.0
	v_mul_f32_e32 v107, v106, v105
	s_delay_alu instid0(VALU_DEP_1) | instskip(NEXT) | instid1(VALU_DEP_1)
	v_fma_f32 v108, -v99, v107, v106
	v_fmac_f32_e32 v107, v108, v105
	s_delay_alu instid0(VALU_DEP_1) | instskip(NEXT) | instid1(VALU_DEP_1)
	v_fma_f32 v99, -v99, v107, v106
	v_div_fmas_f32 v99, v99, v105, v107
	s_delay_alu instid0(VALU_DEP_1) | instskip(NEXT) | instid1(VALU_DEP_1)
	v_div_fixup_f32 v98, v99, v98, 1.0
	v_mul_f32_e64 v99, v97, -v98
.LBB88_114:
	s_or_b32 exec_lo, exec_lo, s1
.LBB88_115:
	s_delay_alu instid0(SALU_CYCLE_1) | instskip(NEXT) | instid1(SALU_CYCLE_1)
	s_or_b32 exec_lo, exec_lo, s0
	s_mov_b32 s0, exec_lo
	v_cmpx_ne_u32_e64 v104, v96
	s_xor_b32 s0, exec_lo, s0
	s_cbranch_execz .LBB88_121
; %bb.116:
	s_mov_b32 s1, exec_lo
	v_cmpx_eq_u32_e32 5, v104
	s_cbranch_execz .LBB88_120
; %bb.117:
	v_cmp_ne_u32_e32 vcc_lo, 5, v96
	s_xor_b32 s12, s16, -1
	s_delay_alu instid0(SALU_CYCLE_1) | instskip(NEXT) | instid1(SALU_CYCLE_1)
	s_and_b32 s13, s12, vcc_lo
	s_and_saveexec_b32 s12, s13
	s_cbranch_execz .LBB88_119
; %bb.118:
	v_ashrrev_i32_e32 v97, 31, v96
	s_delay_alu instid0(VALU_DEP_1)
	v_lshl_add_u64 v[104:105], v[96:97], 2, v[4:5]
	s_clause 0x1
	global_load_b32 v97, v[104:105], off
	global_load_b32 v103, v[4:5], off offset:20
	s_wait_loadcnt 0x1
	global_store_b32 v[4:5], v97, off offset:20
	s_wait_loadcnt 0x0
	global_store_b32 v[104:105], v103, off
.LBB88_119:
	s_wait_xcnt 0x0
	s_or_b32 exec_lo, exec_lo, s12
	v_dual_mov_b32 v104, v96 :: v_dual_mov_b32 v103, v96
.LBB88_120:
	s_or_b32 exec_lo, exec_lo, s1
.LBB88_121:
	s_and_not1_saveexec_b32 s0, s0
	s_cbranch_execz .LBB88_123
; %bb.122:
	v_dual_mov_b32 v96, v32 :: v_dual_mov_b32 v97, v33
	v_dual_mov_b32 v104, v24 :: v_dual_mov_b32 v105, v25
	;; [unrolled: 1-line block ×4, first 2 shown]
	ds_store_2addr_b64 v100, v[96:97], v[104:105] offset0:6 offset1:7
	ds_store_2addr_b64 v100, v[106:107], v[108:109] offset0:8 offset1:9
	v_dual_mov_b32 v96, v50 :: v_dual_mov_b32 v97, v51
	v_dual_mov_b32 v104, v42 :: v_dual_mov_b32 v105, v43
	;; [unrolled: 1-line block ×12, first 2 shown]
	ds_store_2addr_b64 v100, v[96:97], v[104:105] offset0:10 offset1:11
	ds_store_2addr_b64 v100, v[106:107], v[108:109] offset0:12 offset1:13
	;; [unrolled: 1-line block ×6, first 2 shown]
	v_dual_mov_b32 v96, v66 :: v_dual_mov_b32 v97, v67
	v_dual_mov_b32 v104, v62 :: v_dual_mov_b32 v105, v63
	v_dual_mov_b32 v106, v60 :: v_dual_mov_b32 v107, v61
	v_dual_mov_b32 v108, v56 :: v_dual_mov_b32 v109, v57
	v_dual_mov_b32 v110, v58 :: v_dual_mov_b32 v111, v59
	v_dual_mov_b32 v112, v54 :: v_dual_mov_b32 v113, v55
	v_dual_mov_b32 v114, v48 :: v_dual_mov_b32 v115, v49
	v_dual_mov_b32 v116, v40 :: v_dual_mov_b32 v117, v41
	v_dual_mov_b32 v118, v46 :: v_dual_mov_b32 v119, v47
	v_dual_mov_b32 v120, v38 :: v_dual_mov_b32 v121, v39
	v_dual_mov_b32 v122, v30 :: v_dual_mov_b32 v123, v31
	v_dual_mov_b32 v124, v22 :: v_dual_mov_b32 v125, v23
	ds_store_2addr_b64 v100, v[96:97], v[104:105] offset0:22 offset1:23
	ds_store_2addr_b64 v100, v[106:107], v[108:109] offset0:24 offset1:25
	;; [unrolled: 1-line block ×6, first 2 shown]
	v_dual_mov_b32 v96, v28 :: v_dual_mov_b32 v97, v29
	v_dual_mov_b32 v104, v20 :: v_dual_mov_b32 v105, v21
	;; [unrolled: 1-line block ×6, first 2 shown]
	ds_store_2addr_b64 v100, v[96:97], v[104:105] offset0:34 offset1:35
	ds_store_2addr_b64 v100, v[106:107], v[108:109] offset0:36 offset1:37
	v_dual_mov_b32 v104, 5 :: v_dual_mov_b32 v114, v6
	v_dual_mov_b32 v115, v7 :: v_dual_mov_b32 v116, v36
	v_dual_mov_b32 v117, v37 :: v_dual_mov_b32 v118, v18
	v_dual_mov_b32 v119, v19 :: v_dual_mov_b32 v120, v16
	v_mov_b32_e32 v121, v17
	ds_store_2addr_b64 v100, v[110:111], v[112:113] offset0:38 offset1:39
	ds_store_2addr_b64 v100, v[114:115], v[116:117] offset0:40 offset1:41
	;; [unrolled: 1-line block ×3, first 2 shown]
	ds_store_b64 v100, v[94:95] offset:352
.LBB88_123:
	s_or_b32 exec_lo, exec_lo, s0
	s_delay_alu instid0(SALU_CYCLE_1)
	s_mov_b32 s0, exec_lo
	s_wait_storecnt_dscnt 0x0
	s_barrier_signal -1
	s_barrier_wait -1
	v_cmpx_lt_i32_e32 5, v104
	s_cbranch_execz .LBB88_125
; %bb.124:
	v_pk_mul_f32 v[106:107], v[98:99], v[26:27] op_sel:[1,1] op_sel_hi:[0,1]
	s_delay_alu instid0(VALU_DEP_1)
	v_pk_fma_f32 v[96:97], v[98:99], v[26:27], v[106:107] op_sel_hi:[1,0,1] neg_lo:[0,0,1] neg_hi:[0,0,1]
	v_pk_fma_f32 v[98:99], v[98:99], v[26:27], v[106:107] op_sel_hi:[1,0,1]
	ds_load_2addr_b64 v[106:109], v100 offset0:6 offset1:7
	v_dual_mov_b32 v26, v96 :: v_dual_mov_b32 v27, v99
	s_wait_dscnt 0x0
	v_pk_mul_f32 v[110:111], v[106:107], v[98:99] op_sel:[0,1]
	s_delay_alu instid0(VALU_DEP_1) | instskip(SKIP_1) | instid1(VALU_DEP_1)
	v_pk_fma_f32 v[112:113], v[106:107], v[96:97], v[110:111] op_sel:[0,0,1] op_sel_hi:[1,1,0] neg_lo:[0,0,1] neg_hi:[0,0,1]
	v_pk_fma_f32 v[106:107], v[106:107], v[96:97], v[110:111] op_sel:[0,0,1] op_sel_hi:[1,0,0]
	v_mov_b32_e32 v113, v107
	v_pk_mul_f32 v[106:107], v[108:109], v[98:99] op_sel:[0,1]
	s_delay_alu instid0(VALU_DEP_1) | instskip(SKIP_1) | instid1(VALU_DEP_1)
	v_pk_fma_f32 v[110:111], v[108:109], v[96:97], v[106:107] op_sel:[0,0,1] op_sel_hi:[1,1,0] neg_lo:[0,0,1] neg_hi:[0,0,1]
	v_pk_fma_f32 v[106:107], v[108:109], v[96:97], v[106:107] op_sel:[0,0,1] op_sel_hi:[1,0,0]
	v_mov_b32_e32 v111, v107
	ds_load_2addr_b64 v[106:109], v100 offset0:8 offset1:9
	v_pk_add_f32 v[32:33], v[32:33], v[112:113] neg_lo:[0,1] neg_hi:[0,1]
	v_pk_add_f32 v[24:25], v[24:25], v[110:111] neg_lo:[0,1] neg_hi:[0,1]
	s_wait_dscnt 0x0
	v_pk_mul_f32 v[110:111], v[106:107], v[98:99] op_sel:[0,1]
	s_delay_alu instid0(VALU_DEP_1) | instskip(SKIP_2) | instid1(VALU_DEP_2)
	v_pk_fma_f32 v[112:113], v[106:107], v[96:97], v[110:111] op_sel:[0,0,1] op_sel_hi:[1,1,0] neg_lo:[0,0,1] neg_hi:[0,0,1]
	v_pk_fma_f32 v[106:107], v[106:107], v[96:97], v[110:111] op_sel:[0,0,1] op_sel_hi:[1,0,0]
	v_dual_mul_f32 v110, v109, v99 :: v_dual_mov_b32 v106, v109
	v_dual_mov_b32 v113, v107 :: v_dual_mov_b32 v107, v108
	s_delay_alu instid0(VALU_DEP_2) | instskip(SKIP_1) | instid1(VALU_DEP_3)
	v_pk_fma_f32 v[110:111], v[108:109], v[26:27], v[110:111] op_sel_hi:[1,1,0] neg_lo:[0,0,1] neg_hi:[0,0,1]
	v_mul_f32_e32 v108, v109, v96
	v_pk_add_f32 v[52:53], v[52:53], v[112:113] neg_lo:[0,1] neg_hi:[0,1]
	s_delay_alu instid0(VALU_DEP_2) | instskip(NEXT) | instid1(VALU_DEP_1)
	v_pk_fma_f32 v[106:107], v[106:107], v[26:27], v[108:109] op_sel_hi:[1,1,0]
	v_mov_b32_e32 v111, v107
	ds_load_2addr_b64 v[106:109], v100 offset0:10 offset1:11
	v_pk_add_f32 v[44:45], v[44:45], v[110:111] neg_lo:[0,1] neg_hi:[0,1]
	s_wait_dscnt 0x0
	v_pk_mul_f32 v[110:111], v[106:107], v[98:99] op_sel:[0,1]
	s_delay_alu instid0(VALU_DEP_1) | instskip(SKIP_1) | instid1(VALU_DEP_1)
	v_pk_fma_f32 v[112:113], v[106:107], v[96:97], v[110:111] op_sel:[0,0,1] op_sel_hi:[1,1,0] neg_lo:[0,0,1] neg_hi:[0,0,1]
	v_pk_fma_f32 v[106:107], v[106:107], v[96:97], v[110:111] op_sel:[0,0,1] op_sel_hi:[1,0,0]
	v_mov_b32_e32 v113, v107
	v_pk_mul_f32 v[106:107], v[108:109], v[98:99] op_sel:[0,1]
	s_delay_alu instid0(VALU_DEP_1) | instskip(SKIP_1) | instid1(VALU_DEP_1)
	v_pk_fma_f32 v[110:111], v[108:109], v[96:97], v[106:107] op_sel:[0,0,1] op_sel_hi:[1,1,0] neg_lo:[0,0,1] neg_hi:[0,0,1]
	v_pk_fma_f32 v[106:107], v[108:109], v[96:97], v[106:107] op_sel:[0,0,1] op_sel_hi:[1,0,0]
	v_mov_b32_e32 v111, v107
	ds_load_2addr_b64 v[106:109], v100 offset0:12 offset1:13
	v_pk_add_f32 v[50:51], v[50:51], v[112:113] neg_lo:[0,1] neg_hi:[0,1]
	v_pk_add_f32 v[42:43], v[42:43], v[110:111] neg_lo:[0,1] neg_hi:[0,1]
	s_wait_dscnt 0x0
	v_pk_mul_f32 v[110:111], v[106:107], v[98:99] op_sel:[0,1]
	s_delay_alu instid0(VALU_DEP_1) | instskip(SKIP_1) | instid1(VALU_DEP_1)
	v_pk_fma_f32 v[112:113], v[106:107], v[96:97], v[110:111] op_sel:[0,0,1] op_sel_hi:[1,1,0] neg_lo:[0,0,1] neg_hi:[0,0,1]
	v_pk_fma_f32 v[106:107], v[106:107], v[96:97], v[110:111] op_sel:[0,0,1] op_sel_hi:[1,0,0]
	v_mov_b32_e32 v113, v107
	v_pk_mul_f32 v[106:107], v[108:109], v[98:99] op_sel:[0,1]
	s_delay_alu instid0(VALU_DEP_1) | instskip(SKIP_1) | instid1(VALU_DEP_1)
	v_pk_fma_f32 v[110:111], v[108:109], v[96:97], v[106:107] op_sel:[0,0,1] op_sel_hi:[1,1,0] neg_lo:[0,0,1] neg_hi:[0,0,1]
	v_pk_fma_f32 v[106:107], v[108:109], v[96:97], v[106:107] op_sel:[0,0,1] op_sel_hi:[1,0,0]
	v_mov_b32_e32 v111, v107
	ds_load_2addr_b64 v[106:109], v100 offset0:14 offset1:15
	v_pk_add_f32 v[84:85], v[84:85], v[112:113] neg_lo:[0,1] neg_hi:[0,1]
	v_pk_add_f32 v[80:81], v[80:81], v[110:111] neg_lo:[0,1] neg_hi:[0,1]
	s_wait_dscnt 0x0
	v_dual_mul_f32 v110, v107, v99 :: v_dual_mul_f32 v112, v107, v96
	s_delay_alu instid0(VALU_DEP_1) | instskip(NEXT) | instid1(VALU_DEP_2)
	v_pk_fma_f32 v[110:111], v[106:107], v[26:27], v[110:111] op_sel_hi:[1,1,0] neg_lo:[0,0,1] neg_hi:[0,0,1]
	v_pk_fma_f32 v[106:107], v[106:107], v[26:27], v[112:113] op_sel:[1,0,0] op_sel_hi:[0,1,0]
	s_delay_alu instid0(VALU_DEP_1) | instskip(SKIP_1) | instid1(VALU_DEP_2)
	v_mov_b32_e32 v111, v107
	v_pk_mul_f32 v[106:107], v[108:109], v[98:99] op_sel:[0,1]
	v_pk_add_f32 v[82:83], v[82:83], v[110:111] neg_lo:[0,1] neg_hi:[0,1]
	s_delay_alu instid0(VALU_DEP_2) | instskip(SKIP_1) | instid1(VALU_DEP_1)
	v_pk_fma_f32 v[110:111], v[108:109], v[96:97], v[106:107] op_sel:[0,0,1] op_sel_hi:[1,1,0] neg_lo:[0,0,1] neg_hi:[0,0,1]
	v_pk_fma_f32 v[106:107], v[108:109], v[96:97], v[106:107] op_sel:[0,0,1] op_sel_hi:[1,0,0]
	v_mov_b32_e32 v111, v107
	ds_load_2addr_b64 v[106:109], v100 offset0:16 offset1:17
	v_pk_add_f32 v[78:79], v[78:79], v[110:111] neg_lo:[0,1] neg_hi:[0,1]
	s_wait_dscnt 0x0
	v_pk_mul_f32 v[110:111], v[106:107], v[98:99] op_sel:[0,1]
	s_delay_alu instid0(VALU_DEP_1) | instskip(SKIP_1) | instid1(VALU_DEP_1)
	v_pk_fma_f32 v[112:113], v[106:107], v[96:97], v[110:111] op_sel:[0,0,1] op_sel_hi:[1,1,0] neg_lo:[0,0,1] neg_hi:[0,0,1]
	v_pk_fma_f32 v[106:107], v[106:107], v[96:97], v[110:111] op_sel:[0,0,1] op_sel_hi:[1,0,0]
	v_mov_b32_e32 v113, v107
	v_pk_mul_f32 v[106:107], v[108:109], v[98:99] op_sel:[0,1]
	s_delay_alu instid0(VALU_DEP_2) | instskip(NEXT) | instid1(VALU_DEP_2)
	v_pk_add_f32 v[76:77], v[76:77], v[112:113] neg_lo:[0,1] neg_hi:[0,1]
	v_pk_fma_f32 v[110:111], v[108:109], v[96:97], v[106:107] op_sel:[0,0,1] op_sel_hi:[1,1,0] neg_lo:[0,0,1] neg_hi:[0,0,1]
	v_pk_fma_f32 v[106:107], v[108:109], v[96:97], v[106:107] op_sel:[0,0,1] op_sel_hi:[1,0,0]
	s_delay_alu instid0(VALU_DEP_1) | instskip(SKIP_4) | instid1(VALU_DEP_1)
	v_mov_b32_e32 v111, v107
	ds_load_2addr_b64 v[106:109], v100 offset0:18 offset1:19
	v_pk_add_f32 v[72:73], v[72:73], v[110:111] neg_lo:[0,1] neg_hi:[0,1]
	s_wait_dscnt 0x0
	v_pk_mul_f32 v[110:111], v[106:107], v[98:99] op_sel:[0,1]
	v_pk_fma_f32 v[112:113], v[106:107], v[96:97], v[110:111] op_sel:[0,0,1] op_sel_hi:[1,1,0] neg_lo:[0,0,1] neg_hi:[0,0,1]
	v_pk_fma_f32 v[106:107], v[106:107], v[96:97], v[110:111] op_sel:[0,0,1] op_sel_hi:[1,0,0]
	v_dual_mul_f32 v110, v109, v99 :: v_dual_mov_b32 v106, v109
	s_delay_alu instid0(VALU_DEP_2) | instskip(NEXT) | instid1(VALU_DEP_2)
	v_dual_mov_b32 v113, v107 :: v_dual_mov_b32 v107, v108
	v_pk_fma_f32 v[110:111], v[108:109], v[26:27], v[110:111] op_sel_hi:[1,1,0] neg_lo:[0,0,1] neg_hi:[0,0,1]
	v_mul_f32_e32 v108, v109, v96
	s_delay_alu instid0(VALU_DEP_3) | instskip(NEXT) | instid1(VALU_DEP_2)
	v_pk_add_f32 v[74:75], v[74:75], v[112:113] neg_lo:[0,1] neg_hi:[0,1]
	v_pk_fma_f32 v[106:107], v[106:107], v[26:27], v[108:109] op_sel_hi:[1,1,0]
	s_delay_alu instid0(VALU_DEP_1) | instskip(SKIP_4) | instid1(VALU_DEP_1)
	v_mov_b32_e32 v111, v107
	ds_load_2addr_b64 v[106:109], v100 offset0:20 offset1:21
	v_pk_add_f32 v[70:71], v[70:71], v[110:111] neg_lo:[0,1] neg_hi:[0,1]
	s_wait_dscnt 0x0
	v_pk_mul_f32 v[110:111], v[106:107], v[98:99] op_sel:[0,1]
	v_pk_fma_f32 v[112:113], v[106:107], v[96:97], v[110:111] op_sel:[0,0,1] op_sel_hi:[1,1,0] neg_lo:[0,0,1] neg_hi:[0,0,1]
	v_pk_fma_f32 v[106:107], v[106:107], v[96:97], v[110:111] op_sel:[0,0,1] op_sel_hi:[1,0,0]
	s_delay_alu instid0(VALU_DEP_1) | instskip(SKIP_1) | instid1(VALU_DEP_1)
	v_mov_b32_e32 v113, v107
	v_pk_mul_f32 v[106:107], v[108:109], v[98:99] op_sel:[0,1]
	v_pk_fma_f32 v[110:111], v[108:109], v[96:97], v[106:107] op_sel:[0,0,1] op_sel_hi:[1,1,0] neg_lo:[0,0,1] neg_hi:[0,0,1]
	v_pk_fma_f32 v[106:107], v[108:109], v[96:97], v[106:107] op_sel:[0,0,1] op_sel_hi:[1,0,0]
	s_delay_alu instid0(VALU_DEP_1)
	v_mov_b32_e32 v111, v107
	ds_load_2addr_b64 v[106:109], v100 offset0:22 offset1:23
	v_pk_add_f32 v[68:69], v[68:69], v[112:113] neg_lo:[0,1] neg_hi:[0,1]
	v_pk_add_f32 v[64:65], v[64:65], v[110:111] neg_lo:[0,1] neg_hi:[0,1]
	s_wait_dscnt 0x0
	v_pk_mul_f32 v[110:111], v[106:107], v[98:99] op_sel:[0,1]
	s_delay_alu instid0(VALU_DEP_1) | instskip(SKIP_1) | instid1(VALU_DEP_1)
	v_pk_fma_f32 v[112:113], v[106:107], v[96:97], v[110:111] op_sel:[0,0,1] op_sel_hi:[1,1,0] neg_lo:[0,0,1] neg_hi:[0,0,1]
	v_pk_fma_f32 v[106:107], v[106:107], v[96:97], v[110:111] op_sel:[0,0,1] op_sel_hi:[1,0,0]
	v_mov_b32_e32 v113, v107
	v_pk_mul_f32 v[106:107], v[108:109], v[98:99] op_sel:[0,1]
	s_delay_alu instid0(VALU_DEP_1) | instskip(SKIP_1) | instid1(VALU_DEP_1)
	v_pk_fma_f32 v[110:111], v[108:109], v[96:97], v[106:107] op_sel:[0,0,1] op_sel_hi:[1,1,0] neg_lo:[0,0,1] neg_hi:[0,0,1]
	v_pk_fma_f32 v[106:107], v[108:109], v[96:97], v[106:107] op_sel:[0,0,1] op_sel_hi:[1,0,0]
	v_mov_b32_e32 v111, v107
	ds_load_2addr_b64 v[106:109], v100 offset0:24 offset1:25
	v_pk_add_f32 v[66:67], v[66:67], v[112:113] neg_lo:[0,1] neg_hi:[0,1]
	v_pk_add_f32 v[62:63], v[62:63], v[110:111] neg_lo:[0,1] neg_hi:[0,1]
	s_wait_dscnt 0x0
	v_dual_mul_f32 v110, v107, v99 :: v_dual_mul_f32 v112, v107, v96
	s_delay_alu instid0(VALU_DEP_1) | instskip(NEXT) | instid1(VALU_DEP_2)
	v_pk_fma_f32 v[110:111], v[106:107], v[26:27], v[110:111] op_sel_hi:[1,1,0] neg_lo:[0,0,1] neg_hi:[0,0,1]
	v_pk_fma_f32 v[106:107], v[106:107], v[26:27], v[112:113] op_sel:[1,0,0] op_sel_hi:[0,1,0]
	s_delay_alu instid0(VALU_DEP_1) | instskip(SKIP_1) | instid1(VALU_DEP_2)
	v_mov_b32_e32 v111, v107
	v_pk_mul_f32 v[106:107], v[108:109], v[98:99] op_sel:[0,1]
	v_pk_add_f32 v[60:61], v[60:61], v[110:111] neg_lo:[0,1] neg_hi:[0,1]
	s_delay_alu instid0(VALU_DEP_2) | instskip(SKIP_1) | instid1(VALU_DEP_1)
	v_pk_fma_f32 v[110:111], v[108:109], v[96:97], v[106:107] op_sel:[0,0,1] op_sel_hi:[1,1,0] neg_lo:[0,0,1] neg_hi:[0,0,1]
	v_pk_fma_f32 v[106:107], v[108:109], v[96:97], v[106:107] op_sel:[0,0,1] op_sel_hi:[1,0,0]
	v_mov_b32_e32 v111, v107
	ds_load_2addr_b64 v[106:109], v100 offset0:26 offset1:27
	v_pk_add_f32 v[56:57], v[56:57], v[110:111] neg_lo:[0,1] neg_hi:[0,1]
	s_wait_dscnt 0x0
	v_pk_mul_f32 v[110:111], v[106:107], v[98:99] op_sel:[0,1]
	s_delay_alu instid0(VALU_DEP_1) | instskip(SKIP_1) | instid1(VALU_DEP_1)
	v_pk_fma_f32 v[112:113], v[106:107], v[96:97], v[110:111] op_sel:[0,0,1] op_sel_hi:[1,1,0] neg_lo:[0,0,1] neg_hi:[0,0,1]
	v_pk_fma_f32 v[106:107], v[106:107], v[96:97], v[110:111] op_sel:[0,0,1] op_sel_hi:[1,0,0]
	v_mov_b32_e32 v113, v107
	v_pk_mul_f32 v[106:107], v[108:109], v[98:99] op_sel:[0,1]
	s_delay_alu instid0(VALU_DEP_2) | instskip(NEXT) | instid1(VALU_DEP_2)
	v_pk_add_f32 v[58:59], v[58:59], v[112:113] neg_lo:[0,1] neg_hi:[0,1]
	v_pk_fma_f32 v[110:111], v[108:109], v[96:97], v[106:107] op_sel:[0,0,1] op_sel_hi:[1,1,0] neg_lo:[0,0,1] neg_hi:[0,0,1]
	v_pk_fma_f32 v[106:107], v[108:109], v[96:97], v[106:107] op_sel:[0,0,1] op_sel_hi:[1,0,0]
	s_delay_alu instid0(VALU_DEP_1) | instskip(SKIP_4) | instid1(VALU_DEP_1)
	v_mov_b32_e32 v111, v107
	ds_load_2addr_b64 v[106:109], v100 offset0:28 offset1:29
	v_pk_add_f32 v[54:55], v[54:55], v[110:111] neg_lo:[0,1] neg_hi:[0,1]
	s_wait_dscnt 0x0
	v_pk_mul_f32 v[110:111], v[106:107], v[98:99] op_sel:[0,1]
	v_pk_fma_f32 v[112:113], v[106:107], v[96:97], v[110:111] op_sel:[0,0,1] op_sel_hi:[1,1,0] neg_lo:[0,0,1] neg_hi:[0,0,1]
	v_pk_fma_f32 v[106:107], v[106:107], v[96:97], v[110:111] op_sel:[0,0,1] op_sel_hi:[1,0,0]
	v_dual_mul_f32 v110, v109, v99 :: v_dual_mov_b32 v106, v109
	s_delay_alu instid0(VALU_DEP_2) | instskip(NEXT) | instid1(VALU_DEP_2)
	v_dual_mov_b32 v113, v107 :: v_dual_mov_b32 v107, v108
	v_pk_fma_f32 v[110:111], v[108:109], v[26:27], v[110:111] op_sel_hi:[1,1,0] neg_lo:[0,0,1] neg_hi:[0,0,1]
	v_mul_f32_e32 v108, v109, v96
	s_delay_alu instid0(VALU_DEP_3) | instskip(NEXT) | instid1(VALU_DEP_2)
	v_pk_add_f32 v[48:49], v[48:49], v[112:113] neg_lo:[0,1] neg_hi:[0,1]
	v_pk_fma_f32 v[106:107], v[106:107], v[26:27], v[108:109] op_sel_hi:[1,1,0]
	s_delay_alu instid0(VALU_DEP_1) | instskip(SKIP_4) | instid1(VALU_DEP_1)
	v_mov_b32_e32 v111, v107
	ds_load_2addr_b64 v[106:109], v100 offset0:30 offset1:31
	v_pk_add_f32 v[40:41], v[40:41], v[110:111] neg_lo:[0,1] neg_hi:[0,1]
	s_wait_dscnt 0x0
	v_pk_mul_f32 v[110:111], v[106:107], v[98:99] op_sel:[0,1]
	v_pk_fma_f32 v[112:113], v[106:107], v[96:97], v[110:111] op_sel:[0,0,1] op_sel_hi:[1,1,0] neg_lo:[0,0,1] neg_hi:[0,0,1]
	v_pk_fma_f32 v[106:107], v[106:107], v[96:97], v[110:111] op_sel:[0,0,1] op_sel_hi:[1,0,0]
	s_delay_alu instid0(VALU_DEP_1) | instskip(SKIP_1) | instid1(VALU_DEP_1)
	v_mov_b32_e32 v113, v107
	v_pk_mul_f32 v[106:107], v[108:109], v[98:99] op_sel:[0,1]
	v_pk_fma_f32 v[110:111], v[108:109], v[96:97], v[106:107] op_sel:[0,0,1] op_sel_hi:[1,1,0] neg_lo:[0,0,1] neg_hi:[0,0,1]
	v_pk_fma_f32 v[106:107], v[108:109], v[96:97], v[106:107] op_sel:[0,0,1] op_sel_hi:[1,0,0]
	s_delay_alu instid0(VALU_DEP_1)
	v_mov_b32_e32 v111, v107
	ds_load_2addr_b64 v[106:109], v100 offset0:32 offset1:33
	v_pk_add_f32 v[46:47], v[46:47], v[112:113] neg_lo:[0,1] neg_hi:[0,1]
	v_pk_add_f32 v[38:39], v[38:39], v[110:111] neg_lo:[0,1] neg_hi:[0,1]
	s_wait_dscnt 0x0
	v_pk_mul_f32 v[110:111], v[106:107], v[98:99] op_sel:[0,1]
	s_delay_alu instid0(VALU_DEP_1) | instskip(SKIP_1) | instid1(VALU_DEP_1)
	v_pk_fma_f32 v[112:113], v[106:107], v[96:97], v[110:111] op_sel:[0,0,1] op_sel_hi:[1,1,0] neg_lo:[0,0,1] neg_hi:[0,0,1]
	v_pk_fma_f32 v[106:107], v[106:107], v[96:97], v[110:111] op_sel:[0,0,1] op_sel_hi:[1,0,0]
	v_mov_b32_e32 v113, v107
	v_pk_mul_f32 v[106:107], v[108:109], v[98:99] op_sel:[0,1]
	s_delay_alu instid0(VALU_DEP_1) | instskip(SKIP_1) | instid1(VALU_DEP_1)
	v_pk_fma_f32 v[110:111], v[108:109], v[96:97], v[106:107] op_sel:[0,0,1] op_sel_hi:[1,1,0] neg_lo:[0,0,1] neg_hi:[0,0,1]
	v_pk_fma_f32 v[106:107], v[108:109], v[96:97], v[106:107] op_sel:[0,0,1] op_sel_hi:[1,0,0]
	v_mov_b32_e32 v111, v107
	ds_load_2addr_b64 v[106:109], v100 offset0:34 offset1:35
	v_pk_add_f32 v[30:31], v[30:31], v[112:113] neg_lo:[0,1] neg_hi:[0,1]
	v_pk_add_f32 v[22:23], v[22:23], v[110:111] neg_lo:[0,1] neg_hi:[0,1]
	s_wait_dscnt 0x0
	v_dual_mul_f32 v110, v107, v99 :: v_dual_mul_f32 v112, v107, v96
	s_delay_alu instid0(VALU_DEP_1) | instskip(NEXT) | instid1(VALU_DEP_2)
	v_pk_fma_f32 v[110:111], v[106:107], v[26:27], v[110:111] op_sel_hi:[1,1,0] neg_lo:[0,0,1] neg_hi:[0,0,1]
	v_pk_fma_f32 v[106:107], v[106:107], v[26:27], v[112:113] op_sel:[1,0,0] op_sel_hi:[0,1,0]
	s_delay_alu instid0(VALU_DEP_1) | instskip(SKIP_1) | instid1(VALU_DEP_2)
	v_mov_b32_e32 v111, v107
	v_pk_mul_f32 v[106:107], v[108:109], v[98:99] op_sel:[0,1]
	v_pk_add_f32 v[28:29], v[28:29], v[110:111] neg_lo:[0,1] neg_hi:[0,1]
	s_delay_alu instid0(VALU_DEP_2) | instskip(SKIP_1) | instid1(VALU_DEP_1)
	v_pk_fma_f32 v[110:111], v[108:109], v[96:97], v[106:107] op_sel:[0,0,1] op_sel_hi:[1,1,0] neg_lo:[0,0,1] neg_hi:[0,0,1]
	v_pk_fma_f32 v[106:107], v[108:109], v[96:97], v[106:107] op_sel:[0,0,1] op_sel_hi:[1,0,0]
	v_mov_b32_e32 v111, v107
	ds_load_2addr_b64 v[106:109], v100 offset0:36 offset1:37
	v_pk_add_f32 v[20:21], v[20:21], v[110:111] neg_lo:[0,1] neg_hi:[0,1]
	s_wait_dscnt 0x0
	v_pk_mul_f32 v[110:111], v[106:107], v[98:99] op_sel:[0,1]
	s_delay_alu instid0(VALU_DEP_1) | instskip(SKIP_1) | instid1(VALU_DEP_1)
	v_pk_fma_f32 v[112:113], v[106:107], v[96:97], v[110:111] op_sel:[0,0,1] op_sel_hi:[1,1,0] neg_lo:[0,0,1] neg_hi:[0,0,1]
	v_pk_fma_f32 v[106:107], v[106:107], v[96:97], v[110:111] op_sel:[0,0,1] op_sel_hi:[1,0,0]
	v_mov_b32_e32 v113, v107
	v_pk_mul_f32 v[106:107], v[108:109], v[98:99] op_sel:[0,1]
	s_delay_alu instid0(VALU_DEP_2) | instskip(NEXT) | instid1(VALU_DEP_2)
	v_pk_add_f32 v[14:15], v[14:15], v[112:113] neg_lo:[0,1] neg_hi:[0,1]
	v_pk_fma_f32 v[110:111], v[108:109], v[96:97], v[106:107] op_sel:[0,0,1] op_sel_hi:[1,1,0] neg_lo:[0,0,1] neg_hi:[0,0,1]
	v_pk_fma_f32 v[106:107], v[108:109], v[96:97], v[106:107] op_sel:[0,0,1] op_sel_hi:[1,0,0]
	s_delay_alu instid0(VALU_DEP_1) | instskip(SKIP_4) | instid1(VALU_DEP_1)
	v_mov_b32_e32 v111, v107
	ds_load_2addr_b64 v[106:109], v100 offset0:38 offset1:39
	v_pk_add_f32 v[10:11], v[10:11], v[110:111] neg_lo:[0,1] neg_hi:[0,1]
	s_wait_dscnt 0x0
	v_pk_mul_f32 v[110:111], v[106:107], v[98:99] op_sel:[0,1]
	v_pk_fma_f32 v[112:113], v[106:107], v[96:97], v[110:111] op_sel:[0,0,1] op_sel_hi:[1,1,0] neg_lo:[0,0,1] neg_hi:[0,0,1]
	v_pk_fma_f32 v[106:107], v[106:107], v[96:97], v[110:111] op_sel:[0,0,1] op_sel_hi:[1,0,0]
	v_dual_mul_f32 v110, v109, v99 :: v_dual_mov_b32 v106, v109
	s_delay_alu instid0(VALU_DEP_2) | instskip(NEXT) | instid1(VALU_DEP_2)
	v_dual_mov_b32 v113, v107 :: v_dual_mov_b32 v107, v108
	v_pk_fma_f32 v[110:111], v[108:109], v[26:27], v[110:111] op_sel_hi:[1,1,0] neg_lo:[0,0,1] neg_hi:[0,0,1]
	v_mul_f32_e32 v108, v109, v96
	s_delay_alu instid0(VALU_DEP_3) | instskip(NEXT) | instid1(VALU_DEP_2)
	v_pk_add_f32 v[12:13], v[12:13], v[112:113] neg_lo:[0,1] neg_hi:[0,1]
	v_pk_fma_f32 v[106:107], v[106:107], v[26:27], v[108:109] op_sel_hi:[1,1,0]
	s_delay_alu instid0(VALU_DEP_1) | instskip(SKIP_4) | instid1(VALU_DEP_1)
	v_mov_b32_e32 v111, v107
	ds_load_2addr_b64 v[106:109], v100 offset0:40 offset1:41
	v_pk_add_f32 v[8:9], v[8:9], v[110:111] neg_lo:[0,1] neg_hi:[0,1]
	s_wait_dscnt 0x0
	v_pk_mul_f32 v[110:111], v[106:107], v[98:99] op_sel:[0,1]
	v_pk_fma_f32 v[112:113], v[106:107], v[96:97], v[110:111] op_sel:[0,0,1] op_sel_hi:[1,1,0] neg_lo:[0,0,1] neg_hi:[0,0,1]
	v_pk_fma_f32 v[106:107], v[106:107], v[96:97], v[110:111] op_sel:[0,0,1] op_sel_hi:[1,0,0]
	s_delay_alu instid0(VALU_DEP_1) | instskip(SKIP_1) | instid1(VALU_DEP_1)
	v_mov_b32_e32 v113, v107
	v_pk_mul_f32 v[106:107], v[108:109], v[98:99] op_sel:[0,1]
	v_pk_fma_f32 v[110:111], v[108:109], v[96:97], v[106:107] op_sel:[0,0,1] op_sel_hi:[1,1,0] neg_lo:[0,0,1] neg_hi:[0,0,1]
	v_pk_fma_f32 v[106:107], v[108:109], v[96:97], v[106:107] op_sel:[0,0,1] op_sel_hi:[1,0,0]
	s_delay_alu instid0(VALU_DEP_1)
	v_mov_b32_e32 v111, v107
	ds_load_2addr_b64 v[106:109], v100 offset0:42 offset1:43
	v_pk_add_f32 v[6:7], v[6:7], v[112:113] neg_lo:[0,1] neg_hi:[0,1]
	v_pk_add_f32 v[36:37], v[36:37], v[110:111] neg_lo:[0,1] neg_hi:[0,1]
	s_wait_dscnt 0x0
	v_pk_mul_f32 v[110:111], v[106:107], v[98:99] op_sel:[0,1]
	s_delay_alu instid0(VALU_DEP_1) | instskip(SKIP_1) | instid1(VALU_DEP_1)
	v_pk_fma_f32 v[112:113], v[106:107], v[96:97], v[110:111] op_sel:[0,0,1] op_sel_hi:[1,1,0] neg_lo:[0,0,1] neg_hi:[0,0,1]
	v_pk_fma_f32 v[106:107], v[106:107], v[96:97], v[110:111] op_sel:[0,0,1] op_sel_hi:[1,0,0]
	v_mov_b32_e32 v113, v107
	v_pk_mul_f32 v[106:107], v[108:109], v[98:99] op_sel:[0,1]
	s_delay_alu instid0(VALU_DEP_1) | instskip(SKIP_1) | instid1(VALU_DEP_1)
	v_pk_fma_f32 v[110:111], v[108:109], v[96:97], v[106:107] op_sel:[0,0,1] op_sel_hi:[1,1,0] neg_lo:[0,0,1] neg_hi:[0,0,1]
	v_pk_fma_f32 v[106:107], v[108:109], v[96:97], v[106:107] op_sel:[0,0,1] op_sel_hi:[1,0,0]
	v_mov_b32_e32 v111, v107
	ds_load_b64 v[106:107], v100 offset:352
	v_pk_add_f32 v[18:19], v[18:19], v[112:113] neg_lo:[0,1] neg_hi:[0,1]
	v_pk_add_f32 v[16:17], v[16:17], v[110:111] neg_lo:[0,1] neg_hi:[0,1]
	s_wait_dscnt 0x0
	v_pk_mul_f32 v[98:99], v[106:107], v[98:99] op_sel:[0,1]
	s_delay_alu instid0(VALU_DEP_1) | instskip(SKIP_1) | instid1(VALU_DEP_1)
	v_pk_fma_f32 v[108:109], v[106:107], v[96:97], v[98:99] op_sel:[0,0,1] op_sel_hi:[1,1,0] neg_lo:[0,0,1] neg_hi:[0,0,1]
	v_pk_fma_f32 v[96:97], v[106:107], v[96:97], v[98:99] op_sel:[0,0,1] op_sel_hi:[1,0,0]
	v_mov_b32_e32 v109, v97
	s_delay_alu instid0(VALU_DEP_1)
	v_pk_add_f32 v[94:95], v[94:95], v[108:109] neg_lo:[0,1] neg_hi:[0,1]
.LBB88_125:
	s_or_b32 exec_lo, exec_lo, s0
	v_lshl_add_u32 v96, v104, 3, v100
	s_barrier_signal -1
	s_barrier_wait -1
	ds_store_b64 v96, v[32:33]
	s_wait_dscnt 0x0
	s_barrier_signal -1
	s_barrier_wait -1
	ds_load_b64 v[98:99], v100 offset:48
	v_mov_b32_e32 v96, 6
	s_cmp_lt_i32 s18, 8
	s_cbranch_scc1 .LBB88_128
; %bb.126:
	v_add3_u32 v97, v101, 0, 56
	v_mov_b32_e32 v96, 6
	s_mov_b32 s0, 7
.LBB88_127:                             ; =>This Inner Loop Header: Depth=1
	ds_load_b64 v[106:107], v97
	s_wait_dscnt 0x1
	v_cmp_gt_f32_e32 vcc_lo, 0, v98
	v_cndmask_b32_e64 v108, v98, -v98, vcc_lo
	v_cmp_gt_f32_e32 vcc_lo, 0, v99
	v_cndmask_b32_e64 v110, v99, -v99, vcc_lo
	s_wait_dscnt 0x0
	v_cmp_gt_f32_e32 vcc_lo, 0, v106
	v_cndmask_b32_e64 v109, v106, -v106, vcc_lo
	v_cmp_gt_f32_e32 vcc_lo, 0, v107
	v_cndmask_b32_e64 v111, v107, -v107, vcc_lo
	s_delay_alu instid0(VALU_DEP_1) | instskip(NEXT) | instid1(VALU_DEP_1)
	v_pk_add_f32 v[108:109], v[108:109], v[110:111]
	v_cmp_lt_f32_e32 vcc_lo, v108, v109
	v_dual_add_nc_u32 v97, 8, v97 :: v_dual_cndmask_b32 v99, v99, v107, vcc_lo
	v_cndmask_b32_e32 v98, v98, v106, vcc_lo
	v_cndmask_b32_e64 v96, v96, s0, vcc_lo
	s_add_co_i32 s0, s0, 1
	s_delay_alu instid0(SALU_CYCLE_1)
	s_cmp_lg_u32 s18, s0
	s_cbranch_scc1 .LBB88_127
.LBB88_128:
	s_wait_dscnt 0x0
	v_cmp_eq_f32_e32 vcc_lo, 0, v98
	v_cmp_eq_f32_e64 s0, 0, v99
	s_and_b32 s0, vcc_lo, s0
	s_delay_alu instid0(SALU_CYCLE_1) | instskip(NEXT) | instid1(SALU_CYCLE_1)
	s_and_saveexec_b32 s1, s0
	s_xor_b32 s0, exec_lo, s1
; %bb.129:
	v_cmp_ne_u32_e32 vcc_lo, 0, v102
	v_cndmask_b32_e32 v102, 7, v102, vcc_lo
; %bb.130:
	s_and_not1_saveexec_b32 s0, s0
	s_cbranch_execz .LBB88_136
; %bb.131:
	v_cmp_ngt_f32_e64 s1, |v98|, |v99|
	s_and_saveexec_b32 s12, s1
	s_delay_alu instid0(SALU_CYCLE_1)
	s_xor_b32 s1, exec_lo, s12
	s_cbranch_execz .LBB88_133
; %bb.132:
	v_div_scale_f32 v97, null, v99, v99, v98
	v_div_scale_f32 v107, vcc_lo, v98, v99, v98
	s_delay_alu instid0(VALU_DEP_2) | instskip(SKIP_1) | instid1(TRANS32_DEP_1)
	v_rcp_f32_e32 v105, v97
	v_nop
	v_fma_f32 v106, -v97, v105, 1.0
	s_delay_alu instid0(VALU_DEP_1) | instskip(NEXT) | instid1(VALU_DEP_1)
	v_fmac_f32_e32 v105, v106, v105
	v_mul_f32_e32 v106, v107, v105
	s_delay_alu instid0(VALU_DEP_1) | instskip(NEXT) | instid1(VALU_DEP_1)
	v_fma_f32 v108, -v97, v106, v107
	v_fmac_f32_e32 v106, v108, v105
	s_delay_alu instid0(VALU_DEP_1) | instskip(NEXT) | instid1(VALU_DEP_1)
	v_fma_f32 v97, -v97, v106, v107
	v_div_fmas_f32 v97, v97, v105, v106
	s_delay_alu instid0(VALU_DEP_1) | instskip(NEXT) | instid1(VALU_DEP_1)
	v_div_fixup_f32 v97, v97, v99, v98
	v_fmac_f32_e32 v99, v98, v97
	s_delay_alu instid0(VALU_DEP_1) | instskip(SKIP_1) | instid1(VALU_DEP_2)
	v_div_scale_f32 v98, null, v99, v99, 1.0
	v_div_scale_f32 v107, vcc_lo, 1.0, v99, 1.0
	v_rcp_f32_e32 v105, v98
	v_nop
	s_delay_alu instid0(TRANS32_DEP_1) | instskip(NEXT) | instid1(VALU_DEP_1)
	v_fma_f32 v106, -v98, v105, 1.0
	v_fmac_f32_e32 v105, v106, v105
	s_delay_alu instid0(VALU_DEP_1) | instskip(NEXT) | instid1(VALU_DEP_1)
	v_mul_f32_e32 v106, v107, v105
	v_fma_f32 v108, -v98, v106, v107
	s_delay_alu instid0(VALU_DEP_1) | instskip(NEXT) | instid1(VALU_DEP_1)
	v_fmac_f32_e32 v106, v108, v105
	v_fma_f32 v98, -v98, v106, v107
	s_delay_alu instid0(VALU_DEP_1) | instskip(NEXT) | instid1(VALU_DEP_1)
	v_div_fmas_f32 v98, v98, v105, v106
	v_div_fixup_f32 v99, v98, v99, 1.0
	s_delay_alu instid0(VALU_DEP_1)
	v_mul_f32_e32 v98, v97, v99
	v_xor_b32_e32 v99, 0x80000000, v99
.LBB88_133:
	s_and_not1_saveexec_b32 s1, s1
	s_cbranch_execz .LBB88_135
; %bb.134:
	s_delay_alu instid0(VALU_DEP_1) | instskip(SKIP_1) | instid1(VALU_DEP_2)
	v_div_scale_f32 v97, null, v98, v98, v99
	v_div_scale_f32 v107, vcc_lo, v99, v98, v99
	v_rcp_f32_e32 v105, v97
	v_nop
	s_delay_alu instid0(TRANS32_DEP_1) | instskip(NEXT) | instid1(VALU_DEP_1)
	v_fma_f32 v106, -v97, v105, 1.0
	v_fmac_f32_e32 v105, v106, v105
	s_delay_alu instid0(VALU_DEP_1) | instskip(NEXT) | instid1(VALU_DEP_1)
	v_mul_f32_e32 v106, v107, v105
	v_fma_f32 v108, -v97, v106, v107
	s_delay_alu instid0(VALU_DEP_1) | instskip(NEXT) | instid1(VALU_DEP_1)
	v_fmac_f32_e32 v106, v108, v105
	v_fma_f32 v97, -v97, v106, v107
	s_delay_alu instid0(VALU_DEP_1) | instskip(NEXT) | instid1(VALU_DEP_1)
	v_div_fmas_f32 v97, v97, v105, v106
	v_div_fixup_f32 v97, v97, v98, v99
	s_delay_alu instid0(VALU_DEP_1) | instskip(NEXT) | instid1(VALU_DEP_1)
	v_fmac_f32_e32 v98, v99, v97
	v_div_scale_f32 v99, null, v98, v98, 1.0
	s_delay_alu instid0(VALU_DEP_1) | instskip(SKIP_1) | instid1(TRANS32_DEP_1)
	v_rcp_f32_e32 v105, v99
	v_nop
	v_fma_f32 v106, -v99, v105, 1.0
	s_delay_alu instid0(VALU_DEP_1) | instskip(SKIP_1) | instid1(VALU_DEP_1)
	v_fmac_f32_e32 v105, v106, v105
	v_div_scale_f32 v106, vcc_lo, 1.0, v98, 1.0
	v_mul_f32_e32 v107, v106, v105
	s_delay_alu instid0(VALU_DEP_1) | instskip(NEXT) | instid1(VALU_DEP_1)
	v_fma_f32 v108, -v99, v107, v106
	v_fmac_f32_e32 v107, v108, v105
	s_delay_alu instid0(VALU_DEP_1) | instskip(NEXT) | instid1(VALU_DEP_1)
	v_fma_f32 v99, -v99, v107, v106
	v_div_fmas_f32 v99, v99, v105, v107
	s_delay_alu instid0(VALU_DEP_1) | instskip(NEXT) | instid1(VALU_DEP_1)
	v_div_fixup_f32 v98, v99, v98, 1.0
	v_mul_f32_e64 v99, v97, -v98
.LBB88_135:
	s_or_b32 exec_lo, exec_lo, s1
.LBB88_136:
	s_delay_alu instid0(SALU_CYCLE_1) | instskip(NEXT) | instid1(SALU_CYCLE_1)
	s_or_b32 exec_lo, exec_lo, s0
	s_mov_b32 s0, exec_lo
	v_cmpx_ne_u32_e64 v104, v96
	s_xor_b32 s0, exec_lo, s0
	s_cbranch_execz .LBB88_142
; %bb.137:
	s_mov_b32 s1, exec_lo
	v_cmpx_eq_u32_e32 6, v104
	s_cbranch_execz .LBB88_141
; %bb.138:
	v_cmp_ne_u32_e32 vcc_lo, 6, v96
	s_xor_b32 s12, s16, -1
	s_delay_alu instid0(SALU_CYCLE_1) | instskip(NEXT) | instid1(SALU_CYCLE_1)
	s_and_b32 s13, s12, vcc_lo
	s_and_saveexec_b32 s12, s13
	s_cbranch_execz .LBB88_140
; %bb.139:
	v_ashrrev_i32_e32 v97, 31, v96
	s_delay_alu instid0(VALU_DEP_1)
	v_lshl_add_u64 v[104:105], v[96:97], 2, v[4:5]
	s_clause 0x1
	global_load_b32 v97, v[104:105], off
	global_load_b32 v103, v[4:5], off offset:24
	s_wait_loadcnt 0x1
	global_store_b32 v[4:5], v97, off offset:24
	s_wait_loadcnt 0x0
	global_store_b32 v[104:105], v103, off
.LBB88_140:
	s_wait_xcnt 0x0
	s_or_b32 exec_lo, exec_lo, s12
	v_dual_mov_b32 v104, v96 :: v_dual_mov_b32 v103, v96
.LBB88_141:
	s_or_b32 exec_lo, exec_lo, s1
.LBB88_142:
	s_and_not1_saveexec_b32 s0, s0
	s_cbranch_execz .LBB88_144
; %bb.143:
	v_mov_b32_e32 v104, 6
	ds_store_2addr_b64 v100, v[24:25], v[52:53] offset0:7 offset1:8
	ds_store_2addr_b64 v100, v[44:45], v[50:51] offset0:9 offset1:10
	;; [unrolled: 1-line block ×19, first 2 shown]
.LBB88_144:
	s_or_b32 exec_lo, exec_lo, s0
	s_delay_alu instid0(SALU_CYCLE_1)
	s_mov_b32 s0, exec_lo
	s_wait_storecnt_dscnt 0x0
	s_barrier_signal -1
	s_barrier_wait -1
	v_cmpx_lt_i32_e32 6, v104
	s_cbranch_execz .LBB88_146
; %bb.145:
	v_pk_mul_f32 v[106:107], v[98:99], v[32:33] op_sel:[1,1] op_sel_hi:[0,1]
	s_delay_alu instid0(VALU_DEP_1)
	v_pk_fma_f32 v[96:97], v[98:99], v[32:33], v[106:107] op_sel_hi:[1,0,1] neg_lo:[0,0,1] neg_hi:[0,0,1]
	v_pk_fma_f32 v[98:99], v[98:99], v[32:33], v[106:107] op_sel_hi:[1,0,1]
	ds_load_2addr_b64 v[106:109], v100 offset0:7 offset1:8
	v_dual_mov_b32 v32, v96 :: v_dual_mov_b32 v33, v99
	s_wait_dscnt 0x0
	v_pk_mul_f32 v[110:111], v[106:107], v[98:99] op_sel:[0,1]
	s_delay_alu instid0(VALU_DEP_1) | instskip(SKIP_1) | instid1(VALU_DEP_1)
	v_pk_fma_f32 v[112:113], v[106:107], v[96:97], v[110:111] op_sel:[0,0,1] op_sel_hi:[1,1,0] neg_lo:[0,0,1] neg_hi:[0,0,1]
	v_pk_fma_f32 v[106:107], v[106:107], v[96:97], v[110:111] op_sel:[0,0,1] op_sel_hi:[1,0,0]
	v_mov_b32_e32 v113, v107
	v_pk_mul_f32 v[106:107], v[108:109], v[98:99] op_sel:[0,1]
	s_delay_alu instid0(VALU_DEP_1) | instskip(SKIP_1) | instid1(VALU_DEP_1)
	v_pk_fma_f32 v[110:111], v[108:109], v[96:97], v[106:107] op_sel:[0,0,1] op_sel_hi:[1,1,0] neg_lo:[0,0,1] neg_hi:[0,0,1]
	v_pk_fma_f32 v[106:107], v[108:109], v[96:97], v[106:107] op_sel:[0,0,1] op_sel_hi:[1,0,0]
	v_mov_b32_e32 v111, v107
	ds_load_2addr_b64 v[106:109], v100 offset0:9 offset1:10
	v_pk_add_f32 v[24:25], v[24:25], v[112:113] neg_lo:[0,1] neg_hi:[0,1]
	v_pk_add_f32 v[52:53], v[52:53], v[110:111] neg_lo:[0,1] neg_hi:[0,1]
	s_wait_dscnt 0x0
	v_pk_mul_f32 v[110:111], v[106:107], v[98:99] op_sel:[0,1]
	s_delay_alu instid0(VALU_DEP_1) | instskip(SKIP_2) | instid1(VALU_DEP_2)
	v_pk_fma_f32 v[112:113], v[106:107], v[96:97], v[110:111] op_sel:[0,0,1] op_sel_hi:[1,1,0] neg_lo:[0,0,1] neg_hi:[0,0,1]
	v_pk_fma_f32 v[106:107], v[106:107], v[96:97], v[110:111] op_sel:[0,0,1] op_sel_hi:[1,0,0]
	v_dual_mul_f32 v110, v109, v99 :: v_dual_mov_b32 v106, v109
	v_dual_mov_b32 v113, v107 :: v_dual_mov_b32 v107, v108
	s_delay_alu instid0(VALU_DEP_2) | instskip(SKIP_1) | instid1(VALU_DEP_3)
	v_pk_fma_f32 v[110:111], v[108:109], v[32:33], v[110:111] op_sel_hi:[1,1,0] neg_lo:[0,0,1] neg_hi:[0,0,1]
	v_mul_f32_e32 v108, v109, v96
	v_pk_add_f32 v[44:45], v[44:45], v[112:113] neg_lo:[0,1] neg_hi:[0,1]
	s_delay_alu instid0(VALU_DEP_2) | instskip(NEXT) | instid1(VALU_DEP_1)
	v_pk_fma_f32 v[106:107], v[106:107], v[32:33], v[108:109] op_sel_hi:[1,1,0]
	v_mov_b32_e32 v111, v107
	ds_load_2addr_b64 v[106:109], v100 offset0:11 offset1:12
	v_pk_add_f32 v[50:51], v[50:51], v[110:111] neg_lo:[0,1] neg_hi:[0,1]
	s_wait_dscnt 0x0
	v_pk_mul_f32 v[110:111], v[106:107], v[98:99] op_sel:[0,1]
	s_delay_alu instid0(VALU_DEP_1) | instskip(SKIP_1) | instid1(VALU_DEP_1)
	v_pk_fma_f32 v[112:113], v[106:107], v[96:97], v[110:111] op_sel:[0,0,1] op_sel_hi:[1,1,0] neg_lo:[0,0,1] neg_hi:[0,0,1]
	v_pk_fma_f32 v[106:107], v[106:107], v[96:97], v[110:111] op_sel:[0,0,1] op_sel_hi:[1,0,0]
	v_mov_b32_e32 v113, v107
	v_pk_mul_f32 v[106:107], v[108:109], v[98:99] op_sel:[0,1]
	s_delay_alu instid0(VALU_DEP_1) | instskip(SKIP_1) | instid1(VALU_DEP_1)
	v_pk_fma_f32 v[110:111], v[108:109], v[96:97], v[106:107] op_sel:[0,0,1] op_sel_hi:[1,1,0] neg_lo:[0,0,1] neg_hi:[0,0,1]
	v_pk_fma_f32 v[106:107], v[108:109], v[96:97], v[106:107] op_sel:[0,0,1] op_sel_hi:[1,0,0]
	v_mov_b32_e32 v111, v107
	ds_load_2addr_b64 v[106:109], v100 offset0:13 offset1:14
	v_pk_add_f32 v[42:43], v[42:43], v[112:113] neg_lo:[0,1] neg_hi:[0,1]
	v_pk_add_f32 v[84:85], v[84:85], v[110:111] neg_lo:[0,1] neg_hi:[0,1]
	s_wait_dscnt 0x0
	v_pk_mul_f32 v[110:111], v[106:107], v[98:99] op_sel:[0,1]
	s_delay_alu instid0(VALU_DEP_1) | instskip(SKIP_1) | instid1(VALU_DEP_1)
	v_pk_fma_f32 v[112:113], v[106:107], v[96:97], v[110:111] op_sel:[0,0,1] op_sel_hi:[1,1,0] neg_lo:[0,0,1] neg_hi:[0,0,1]
	v_pk_fma_f32 v[106:107], v[106:107], v[96:97], v[110:111] op_sel:[0,0,1] op_sel_hi:[1,0,0]
	v_mov_b32_e32 v113, v107
	v_pk_mul_f32 v[106:107], v[108:109], v[98:99] op_sel:[0,1]
	s_delay_alu instid0(VALU_DEP_1) | instskip(SKIP_1) | instid1(VALU_DEP_1)
	v_pk_fma_f32 v[110:111], v[108:109], v[96:97], v[106:107] op_sel:[0,0,1] op_sel_hi:[1,1,0] neg_lo:[0,0,1] neg_hi:[0,0,1]
	v_pk_fma_f32 v[106:107], v[108:109], v[96:97], v[106:107] op_sel:[0,0,1] op_sel_hi:[1,0,0]
	v_mov_b32_e32 v111, v107
	ds_load_2addr_b64 v[106:109], v100 offset0:15 offset1:16
	v_pk_add_f32 v[80:81], v[80:81], v[112:113] neg_lo:[0,1] neg_hi:[0,1]
	v_pk_add_f32 v[82:83], v[82:83], v[110:111] neg_lo:[0,1] neg_hi:[0,1]
	s_wait_dscnt 0x0
	v_dual_mul_f32 v110, v107, v99 :: v_dual_mul_f32 v112, v107, v96
	s_delay_alu instid0(VALU_DEP_1) | instskip(NEXT) | instid1(VALU_DEP_2)
	v_pk_fma_f32 v[110:111], v[106:107], v[32:33], v[110:111] op_sel_hi:[1,1,0] neg_lo:[0,0,1] neg_hi:[0,0,1]
	v_pk_fma_f32 v[106:107], v[106:107], v[32:33], v[112:113] op_sel:[1,0,0] op_sel_hi:[0,1,0]
	s_delay_alu instid0(VALU_DEP_1) | instskip(SKIP_1) | instid1(VALU_DEP_2)
	v_mov_b32_e32 v111, v107
	v_pk_mul_f32 v[106:107], v[108:109], v[98:99] op_sel:[0,1]
	v_pk_add_f32 v[78:79], v[78:79], v[110:111] neg_lo:[0,1] neg_hi:[0,1]
	s_delay_alu instid0(VALU_DEP_2) | instskip(SKIP_1) | instid1(VALU_DEP_1)
	v_pk_fma_f32 v[110:111], v[108:109], v[96:97], v[106:107] op_sel:[0,0,1] op_sel_hi:[1,1,0] neg_lo:[0,0,1] neg_hi:[0,0,1]
	v_pk_fma_f32 v[106:107], v[108:109], v[96:97], v[106:107] op_sel:[0,0,1] op_sel_hi:[1,0,0]
	v_mov_b32_e32 v111, v107
	ds_load_2addr_b64 v[106:109], v100 offset0:17 offset1:18
	v_pk_add_f32 v[76:77], v[76:77], v[110:111] neg_lo:[0,1] neg_hi:[0,1]
	s_wait_dscnt 0x0
	v_pk_mul_f32 v[110:111], v[106:107], v[98:99] op_sel:[0,1]
	s_delay_alu instid0(VALU_DEP_1) | instskip(SKIP_1) | instid1(VALU_DEP_1)
	v_pk_fma_f32 v[112:113], v[106:107], v[96:97], v[110:111] op_sel:[0,0,1] op_sel_hi:[1,1,0] neg_lo:[0,0,1] neg_hi:[0,0,1]
	v_pk_fma_f32 v[106:107], v[106:107], v[96:97], v[110:111] op_sel:[0,0,1] op_sel_hi:[1,0,0]
	v_mov_b32_e32 v113, v107
	v_pk_mul_f32 v[106:107], v[108:109], v[98:99] op_sel:[0,1]
	s_delay_alu instid0(VALU_DEP_2) | instskip(NEXT) | instid1(VALU_DEP_2)
	v_pk_add_f32 v[72:73], v[72:73], v[112:113] neg_lo:[0,1] neg_hi:[0,1]
	v_pk_fma_f32 v[110:111], v[108:109], v[96:97], v[106:107] op_sel:[0,0,1] op_sel_hi:[1,1,0] neg_lo:[0,0,1] neg_hi:[0,0,1]
	v_pk_fma_f32 v[106:107], v[108:109], v[96:97], v[106:107] op_sel:[0,0,1] op_sel_hi:[1,0,0]
	s_delay_alu instid0(VALU_DEP_1) | instskip(SKIP_4) | instid1(VALU_DEP_1)
	v_mov_b32_e32 v111, v107
	ds_load_2addr_b64 v[106:109], v100 offset0:19 offset1:20
	v_pk_add_f32 v[74:75], v[74:75], v[110:111] neg_lo:[0,1] neg_hi:[0,1]
	s_wait_dscnt 0x0
	v_pk_mul_f32 v[110:111], v[106:107], v[98:99] op_sel:[0,1]
	v_pk_fma_f32 v[112:113], v[106:107], v[96:97], v[110:111] op_sel:[0,0,1] op_sel_hi:[1,1,0] neg_lo:[0,0,1] neg_hi:[0,0,1]
	v_pk_fma_f32 v[106:107], v[106:107], v[96:97], v[110:111] op_sel:[0,0,1] op_sel_hi:[1,0,0]
	v_dual_mul_f32 v110, v109, v99 :: v_dual_mov_b32 v106, v109
	s_delay_alu instid0(VALU_DEP_2) | instskip(NEXT) | instid1(VALU_DEP_2)
	v_dual_mov_b32 v113, v107 :: v_dual_mov_b32 v107, v108
	v_pk_fma_f32 v[110:111], v[108:109], v[32:33], v[110:111] op_sel_hi:[1,1,0] neg_lo:[0,0,1] neg_hi:[0,0,1]
	v_mul_f32_e32 v108, v109, v96
	s_delay_alu instid0(VALU_DEP_3) | instskip(NEXT) | instid1(VALU_DEP_2)
	v_pk_add_f32 v[70:71], v[70:71], v[112:113] neg_lo:[0,1] neg_hi:[0,1]
	v_pk_fma_f32 v[106:107], v[106:107], v[32:33], v[108:109] op_sel_hi:[1,1,0]
	s_delay_alu instid0(VALU_DEP_1) | instskip(SKIP_4) | instid1(VALU_DEP_1)
	v_mov_b32_e32 v111, v107
	ds_load_2addr_b64 v[106:109], v100 offset0:21 offset1:22
	v_pk_add_f32 v[68:69], v[68:69], v[110:111] neg_lo:[0,1] neg_hi:[0,1]
	s_wait_dscnt 0x0
	v_pk_mul_f32 v[110:111], v[106:107], v[98:99] op_sel:[0,1]
	v_pk_fma_f32 v[112:113], v[106:107], v[96:97], v[110:111] op_sel:[0,0,1] op_sel_hi:[1,1,0] neg_lo:[0,0,1] neg_hi:[0,0,1]
	v_pk_fma_f32 v[106:107], v[106:107], v[96:97], v[110:111] op_sel:[0,0,1] op_sel_hi:[1,0,0]
	s_delay_alu instid0(VALU_DEP_1) | instskip(SKIP_1) | instid1(VALU_DEP_1)
	v_mov_b32_e32 v113, v107
	v_pk_mul_f32 v[106:107], v[108:109], v[98:99] op_sel:[0,1]
	v_pk_fma_f32 v[110:111], v[108:109], v[96:97], v[106:107] op_sel:[0,0,1] op_sel_hi:[1,1,0] neg_lo:[0,0,1] neg_hi:[0,0,1]
	v_pk_fma_f32 v[106:107], v[108:109], v[96:97], v[106:107] op_sel:[0,0,1] op_sel_hi:[1,0,0]
	s_delay_alu instid0(VALU_DEP_1)
	v_mov_b32_e32 v111, v107
	ds_load_2addr_b64 v[106:109], v100 offset0:23 offset1:24
	v_pk_add_f32 v[64:65], v[64:65], v[112:113] neg_lo:[0,1] neg_hi:[0,1]
	v_pk_add_f32 v[66:67], v[66:67], v[110:111] neg_lo:[0,1] neg_hi:[0,1]
	s_wait_dscnt 0x0
	v_pk_mul_f32 v[110:111], v[106:107], v[98:99] op_sel:[0,1]
	s_delay_alu instid0(VALU_DEP_1) | instskip(SKIP_1) | instid1(VALU_DEP_1)
	v_pk_fma_f32 v[112:113], v[106:107], v[96:97], v[110:111] op_sel:[0,0,1] op_sel_hi:[1,1,0] neg_lo:[0,0,1] neg_hi:[0,0,1]
	v_pk_fma_f32 v[106:107], v[106:107], v[96:97], v[110:111] op_sel:[0,0,1] op_sel_hi:[1,0,0]
	v_mov_b32_e32 v113, v107
	v_pk_mul_f32 v[106:107], v[108:109], v[98:99] op_sel:[0,1]
	s_delay_alu instid0(VALU_DEP_1) | instskip(SKIP_1) | instid1(VALU_DEP_1)
	v_pk_fma_f32 v[110:111], v[108:109], v[96:97], v[106:107] op_sel:[0,0,1] op_sel_hi:[1,1,0] neg_lo:[0,0,1] neg_hi:[0,0,1]
	v_pk_fma_f32 v[106:107], v[108:109], v[96:97], v[106:107] op_sel:[0,0,1] op_sel_hi:[1,0,0]
	v_mov_b32_e32 v111, v107
	ds_load_2addr_b64 v[106:109], v100 offset0:25 offset1:26
	v_pk_add_f32 v[62:63], v[62:63], v[112:113] neg_lo:[0,1] neg_hi:[0,1]
	v_pk_add_f32 v[60:61], v[60:61], v[110:111] neg_lo:[0,1] neg_hi:[0,1]
	s_wait_dscnt 0x0
	v_dual_mul_f32 v110, v107, v99 :: v_dual_mul_f32 v112, v107, v96
	s_delay_alu instid0(VALU_DEP_1) | instskip(NEXT) | instid1(VALU_DEP_2)
	v_pk_fma_f32 v[110:111], v[106:107], v[32:33], v[110:111] op_sel_hi:[1,1,0] neg_lo:[0,0,1] neg_hi:[0,0,1]
	v_pk_fma_f32 v[106:107], v[106:107], v[32:33], v[112:113] op_sel:[1,0,0] op_sel_hi:[0,1,0]
	s_delay_alu instid0(VALU_DEP_1) | instskip(SKIP_1) | instid1(VALU_DEP_2)
	v_mov_b32_e32 v111, v107
	v_pk_mul_f32 v[106:107], v[108:109], v[98:99] op_sel:[0,1]
	v_pk_add_f32 v[56:57], v[56:57], v[110:111] neg_lo:[0,1] neg_hi:[0,1]
	s_delay_alu instid0(VALU_DEP_2) | instskip(SKIP_1) | instid1(VALU_DEP_1)
	v_pk_fma_f32 v[110:111], v[108:109], v[96:97], v[106:107] op_sel:[0,0,1] op_sel_hi:[1,1,0] neg_lo:[0,0,1] neg_hi:[0,0,1]
	v_pk_fma_f32 v[106:107], v[108:109], v[96:97], v[106:107] op_sel:[0,0,1] op_sel_hi:[1,0,0]
	v_mov_b32_e32 v111, v107
	ds_load_2addr_b64 v[106:109], v100 offset0:27 offset1:28
	v_pk_add_f32 v[58:59], v[58:59], v[110:111] neg_lo:[0,1] neg_hi:[0,1]
	s_wait_dscnt 0x0
	v_pk_mul_f32 v[110:111], v[106:107], v[98:99] op_sel:[0,1]
	s_delay_alu instid0(VALU_DEP_1) | instskip(SKIP_1) | instid1(VALU_DEP_1)
	v_pk_fma_f32 v[112:113], v[106:107], v[96:97], v[110:111] op_sel:[0,0,1] op_sel_hi:[1,1,0] neg_lo:[0,0,1] neg_hi:[0,0,1]
	v_pk_fma_f32 v[106:107], v[106:107], v[96:97], v[110:111] op_sel:[0,0,1] op_sel_hi:[1,0,0]
	v_mov_b32_e32 v113, v107
	v_pk_mul_f32 v[106:107], v[108:109], v[98:99] op_sel:[0,1]
	s_delay_alu instid0(VALU_DEP_2) | instskip(NEXT) | instid1(VALU_DEP_2)
	v_pk_add_f32 v[54:55], v[54:55], v[112:113] neg_lo:[0,1] neg_hi:[0,1]
	v_pk_fma_f32 v[110:111], v[108:109], v[96:97], v[106:107] op_sel:[0,0,1] op_sel_hi:[1,1,0] neg_lo:[0,0,1] neg_hi:[0,0,1]
	v_pk_fma_f32 v[106:107], v[108:109], v[96:97], v[106:107] op_sel:[0,0,1] op_sel_hi:[1,0,0]
	s_delay_alu instid0(VALU_DEP_1) | instskip(SKIP_4) | instid1(VALU_DEP_1)
	v_mov_b32_e32 v111, v107
	ds_load_2addr_b64 v[106:109], v100 offset0:29 offset1:30
	v_pk_add_f32 v[48:49], v[48:49], v[110:111] neg_lo:[0,1] neg_hi:[0,1]
	s_wait_dscnt 0x0
	v_pk_mul_f32 v[110:111], v[106:107], v[98:99] op_sel:[0,1]
	v_pk_fma_f32 v[112:113], v[106:107], v[96:97], v[110:111] op_sel:[0,0,1] op_sel_hi:[1,1,0] neg_lo:[0,0,1] neg_hi:[0,0,1]
	v_pk_fma_f32 v[106:107], v[106:107], v[96:97], v[110:111] op_sel:[0,0,1] op_sel_hi:[1,0,0]
	v_dual_mul_f32 v110, v109, v99 :: v_dual_mov_b32 v106, v109
	s_delay_alu instid0(VALU_DEP_2) | instskip(NEXT) | instid1(VALU_DEP_2)
	v_dual_mov_b32 v113, v107 :: v_dual_mov_b32 v107, v108
	v_pk_fma_f32 v[110:111], v[108:109], v[32:33], v[110:111] op_sel_hi:[1,1,0] neg_lo:[0,0,1] neg_hi:[0,0,1]
	v_mul_f32_e32 v108, v109, v96
	s_delay_alu instid0(VALU_DEP_3) | instskip(NEXT) | instid1(VALU_DEP_2)
	v_pk_add_f32 v[40:41], v[40:41], v[112:113] neg_lo:[0,1] neg_hi:[0,1]
	v_pk_fma_f32 v[106:107], v[106:107], v[32:33], v[108:109] op_sel_hi:[1,1,0]
	s_delay_alu instid0(VALU_DEP_1) | instskip(SKIP_4) | instid1(VALU_DEP_1)
	v_mov_b32_e32 v111, v107
	ds_load_2addr_b64 v[106:109], v100 offset0:31 offset1:32
	v_pk_add_f32 v[46:47], v[46:47], v[110:111] neg_lo:[0,1] neg_hi:[0,1]
	s_wait_dscnt 0x0
	v_pk_mul_f32 v[110:111], v[106:107], v[98:99] op_sel:[0,1]
	v_pk_fma_f32 v[112:113], v[106:107], v[96:97], v[110:111] op_sel:[0,0,1] op_sel_hi:[1,1,0] neg_lo:[0,0,1] neg_hi:[0,0,1]
	v_pk_fma_f32 v[106:107], v[106:107], v[96:97], v[110:111] op_sel:[0,0,1] op_sel_hi:[1,0,0]
	s_delay_alu instid0(VALU_DEP_1) | instskip(SKIP_1) | instid1(VALU_DEP_1)
	v_mov_b32_e32 v113, v107
	v_pk_mul_f32 v[106:107], v[108:109], v[98:99] op_sel:[0,1]
	v_pk_fma_f32 v[110:111], v[108:109], v[96:97], v[106:107] op_sel:[0,0,1] op_sel_hi:[1,1,0] neg_lo:[0,0,1] neg_hi:[0,0,1]
	v_pk_fma_f32 v[106:107], v[108:109], v[96:97], v[106:107] op_sel:[0,0,1] op_sel_hi:[1,0,0]
	s_delay_alu instid0(VALU_DEP_1)
	v_mov_b32_e32 v111, v107
	ds_load_2addr_b64 v[106:109], v100 offset0:33 offset1:34
	v_pk_add_f32 v[38:39], v[38:39], v[112:113] neg_lo:[0,1] neg_hi:[0,1]
	v_pk_add_f32 v[30:31], v[30:31], v[110:111] neg_lo:[0,1] neg_hi:[0,1]
	s_wait_dscnt 0x0
	v_pk_mul_f32 v[110:111], v[106:107], v[98:99] op_sel:[0,1]
	s_delay_alu instid0(VALU_DEP_1) | instskip(SKIP_1) | instid1(VALU_DEP_1)
	v_pk_fma_f32 v[112:113], v[106:107], v[96:97], v[110:111] op_sel:[0,0,1] op_sel_hi:[1,1,0] neg_lo:[0,0,1] neg_hi:[0,0,1]
	v_pk_fma_f32 v[106:107], v[106:107], v[96:97], v[110:111] op_sel:[0,0,1] op_sel_hi:[1,0,0]
	v_mov_b32_e32 v113, v107
	v_pk_mul_f32 v[106:107], v[108:109], v[98:99] op_sel:[0,1]
	s_delay_alu instid0(VALU_DEP_1) | instskip(SKIP_1) | instid1(VALU_DEP_1)
	v_pk_fma_f32 v[110:111], v[108:109], v[96:97], v[106:107] op_sel:[0,0,1] op_sel_hi:[1,1,0] neg_lo:[0,0,1] neg_hi:[0,0,1]
	v_pk_fma_f32 v[106:107], v[108:109], v[96:97], v[106:107] op_sel:[0,0,1] op_sel_hi:[1,0,0]
	v_mov_b32_e32 v111, v107
	ds_load_2addr_b64 v[106:109], v100 offset0:35 offset1:36
	v_pk_add_f32 v[22:23], v[22:23], v[112:113] neg_lo:[0,1] neg_hi:[0,1]
	v_pk_add_f32 v[28:29], v[28:29], v[110:111] neg_lo:[0,1] neg_hi:[0,1]
	s_wait_dscnt 0x0
	v_dual_mul_f32 v110, v107, v99 :: v_dual_mul_f32 v112, v107, v96
	s_delay_alu instid0(VALU_DEP_1) | instskip(NEXT) | instid1(VALU_DEP_2)
	v_pk_fma_f32 v[110:111], v[106:107], v[32:33], v[110:111] op_sel_hi:[1,1,0] neg_lo:[0,0,1] neg_hi:[0,0,1]
	v_pk_fma_f32 v[106:107], v[106:107], v[32:33], v[112:113] op_sel:[1,0,0] op_sel_hi:[0,1,0]
	s_delay_alu instid0(VALU_DEP_1) | instskip(SKIP_1) | instid1(VALU_DEP_2)
	v_mov_b32_e32 v111, v107
	v_pk_mul_f32 v[106:107], v[108:109], v[98:99] op_sel:[0,1]
	v_pk_add_f32 v[20:21], v[20:21], v[110:111] neg_lo:[0,1] neg_hi:[0,1]
	s_delay_alu instid0(VALU_DEP_2) | instskip(SKIP_1) | instid1(VALU_DEP_1)
	v_pk_fma_f32 v[110:111], v[108:109], v[96:97], v[106:107] op_sel:[0,0,1] op_sel_hi:[1,1,0] neg_lo:[0,0,1] neg_hi:[0,0,1]
	v_pk_fma_f32 v[106:107], v[108:109], v[96:97], v[106:107] op_sel:[0,0,1] op_sel_hi:[1,0,0]
	v_mov_b32_e32 v111, v107
	ds_load_2addr_b64 v[106:109], v100 offset0:37 offset1:38
	v_pk_add_f32 v[14:15], v[14:15], v[110:111] neg_lo:[0,1] neg_hi:[0,1]
	s_wait_dscnt 0x0
	v_pk_mul_f32 v[110:111], v[106:107], v[98:99] op_sel:[0,1]
	s_delay_alu instid0(VALU_DEP_1) | instskip(SKIP_1) | instid1(VALU_DEP_1)
	v_pk_fma_f32 v[112:113], v[106:107], v[96:97], v[110:111] op_sel:[0,0,1] op_sel_hi:[1,1,0] neg_lo:[0,0,1] neg_hi:[0,0,1]
	v_pk_fma_f32 v[106:107], v[106:107], v[96:97], v[110:111] op_sel:[0,0,1] op_sel_hi:[1,0,0]
	v_mov_b32_e32 v113, v107
	v_pk_mul_f32 v[106:107], v[108:109], v[98:99] op_sel:[0,1]
	s_delay_alu instid0(VALU_DEP_2) | instskip(NEXT) | instid1(VALU_DEP_2)
	v_pk_add_f32 v[10:11], v[10:11], v[112:113] neg_lo:[0,1] neg_hi:[0,1]
	v_pk_fma_f32 v[110:111], v[108:109], v[96:97], v[106:107] op_sel:[0,0,1] op_sel_hi:[1,1,0] neg_lo:[0,0,1] neg_hi:[0,0,1]
	v_pk_fma_f32 v[106:107], v[108:109], v[96:97], v[106:107] op_sel:[0,0,1] op_sel_hi:[1,0,0]
	s_delay_alu instid0(VALU_DEP_1) | instskip(SKIP_4) | instid1(VALU_DEP_1)
	v_mov_b32_e32 v111, v107
	ds_load_2addr_b64 v[106:109], v100 offset0:39 offset1:40
	v_pk_add_f32 v[12:13], v[12:13], v[110:111] neg_lo:[0,1] neg_hi:[0,1]
	s_wait_dscnt 0x0
	v_pk_mul_f32 v[110:111], v[106:107], v[98:99] op_sel:[0,1]
	v_pk_fma_f32 v[112:113], v[106:107], v[96:97], v[110:111] op_sel:[0,0,1] op_sel_hi:[1,1,0] neg_lo:[0,0,1] neg_hi:[0,0,1]
	v_pk_fma_f32 v[106:107], v[106:107], v[96:97], v[110:111] op_sel:[0,0,1] op_sel_hi:[1,0,0]
	v_dual_mul_f32 v110, v109, v99 :: v_dual_mov_b32 v106, v109
	s_delay_alu instid0(VALU_DEP_2) | instskip(NEXT) | instid1(VALU_DEP_2)
	v_dual_mov_b32 v113, v107 :: v_dual_mov_b32 v107, v108
	v_pk_fma_f32 v[110:111], v[108:109], v[32:33], v[110:111] op_sel_hi:[1,1,0] neg_lo:[0,0,1] neg_hi:[0,0,1]
	v_mul_f32_e32 v108, v109, v96
	s_delay_alu instid0(VALU_DEP_3) | instskip(NEXT) | instid1(VALU_DEP_2)
	v_pk_add_f32 v[8:9], v[8:9], v[112:113] neg_lo:[0,1] neg_hi:[0,1]
	v_pk_fma_f32 v[106:107], v[106:107], v[32:33], v[108:109] op_sel_hi:[1,1,0]
	s_delay_alu instid0(VALU_DEP_1) | instskip(SKIP_4) | instid1(VALU_DEP_1)
	v_mov_b32_e32 v111, v107
	ds_load_2addr_b64 v[106:109], v100 offset0:41 offset1:42
	v_pk_add_f32 v[6:7], v[6:7], v[110:111] neg_lo:[0,1] neg_hi:[0,1]
	s_wait_dscnt 0x0
	v_pk_mul_f32 v[110:111], v[106:107], v[98:99] op_sel:[0,1]
	v_pk_fma_f32 v[112:113], v[106:107], v[96:97], v[110:111] op_sel:[0,0,1] op_sel_hi:[1,1,0] neg_lo:[0,0,1] neg_hi:[0,0,1]
	v_pk_fma_f32 v[106:107], v[106:107], v[96:97], v[110:111] op_sel:[0,0,1] op_sel_hi:[1,0,0]
	s_delay_alu instid0(VALU_DEP_1) | instskip(SKIP_1) | instid1(VALU_DEP_1)
	v_mov_b32_e32 v113, v107
	v_pk_mul_f32 v[106:107], v[108:109], v[98:99] op_sel:[0,1]
	v_pk_fma_f32 v[110:111], v[108:109], v[96:97], v[106:107] op_sel:[0,0,1] op_sel_hi:[1,1,0] neg_lo:[0,0,1] neg_hi:[0,0,1]
	v_pk_fma_f32 v[106:107], v[108:109], v[96:97], v[106:107] op_sel:[0,0,1] op_sel_hi:[1,0,0]
	s_delay_alu instid0(VALU_DEP_1)
	v_mov_b32_e32 v111, v107
	ds_load_2addr_b64 v[106:109], v100 offset0:43 offset1:44
	v_pk_add_f32 v[36:37], v[36:37], v[112:113] neg_lo:[0,1] neg_hi:[0,1]
	v_pk_add_f32 v[18:19], v[18:19], v[110:111] neg_lo:[0,1] neg_hi:[0,1]
	s_wait_dscnt 0x0
	v_pk_mul_f32 v[110:111], v[106:107], v[98:99] op_sel:[0,1]
	v_pk_mul_f32 v[98:99], v[108:109], v[98:99] op_sel:[0,1]
	s_delay_alu instid0(VALU_DEP_2) | instskip(SKIP_1) | instid1(VALU_DEP_1)
	v_pk_fma_f32 v[112:113], v[106:107], v[96:97], v[110:111] op_sel:[0,0,1] op_sel_hi:[1,1,0] neg_lo:[0,0,1] neg_hi:[0,0,1]
	v_pk_fma_f32 v[106:107], v[106:107], v[96:97], v[110:111] op_sel:[0,0,1] op_sel_hi:[1,0,0]
	v_mov_b32_e32 v113, v107
	s_delay_alu instid0(VALU_DEP_4) | instskip(SKIP_1) | instid1(VALU_DEP_1)
	v_pk_fma_f32 v[106:107], v[108:109], v[96:97], v[98:99] op_sel:[0,0,1] op_sel_hi:[1,1,0] neg_lo:[0,0,1] neg_hi:[0,0,1]
	v_pk_fma_f32 v[96:97], v[108:109], v[96:97], v[98:99] op_sel:[0,0,1] op_sel_hi:[1,0,0]
	v_mov_b32_e32 v107, v97
	s_delay_alu instid0(VALU_DEP_4) | instskip(NEXT) | instid1(VALU_DEP_2)
	v_pk_add_f32 v[16:17], v[16:17], v[112:113] neg_lo:[0,1] neg_hi:[0,1]
	v_pk_add_f32 v[94:95], v[94:95], v[106:107] neg_lo:[0,1] neg_hi:[0,1]
.LBB88_146:
	s_or_b32 exec_lo, exec_lo, s0
	v_lshl_add_u32 v96, v104, 3, v100
	s_barrier_signal -1
	s_barrier_wait -1
	ds_store_b64 v96, v[24:25]
	s_wait_dscnt 0x0
	s_barrier_signal -1
	s_barrier_wait -1
	ds_load_b64 v[98:99], v100 offset:56
	v_mov_b32_e32 v96, 7
	s_cmp_lt_i32 s18, 9
	s_cbranch_scc1 .LBB88_149
; %bb.147:
	v_add3_u32 v97, v101, 0, 64
	v_mov_b32_e32 v96, 7
	s_mov_b32 s0, 8
.LBB88_148:                             ; =>This Inner Loop Header: Depth=1
	ds_load_b64 v[106:107], v97
	s_wait_dscnt 0x1
	v_cmp_gt_f32_e32 vcc_lo, 0, v98
	v_cndmask_b32_e64 v108, v98, -v98, vcc_lo
	v_cmp_gt_f32_e32 vcc_lo, 0, v99
	v_cndmask_b32_e64 v110, v99, -v99, vcc_lo
	s_wait_dscnt 0x0
	v_cmp_gt_f32_e32 vcc_lo, 0, v106
	v_cndmask_b32_e64 v109, v106, -v106, vcc_lo
	v_cmp_gt_f32_e32 vcc_lo, 0, v107
	v_cndmask_b32_e64 v111, v107, -v107, vcc_lo
	s_delay_alu instid0(VALU_DEP_1) | instskip(NEXT) | instid1(VALU_DEP_1)
	v_pk_add_f32 v[108:109], v[108:109], v[110:111]
	v_cmp_lt_f32_e32 vcc_lo, v108, v109
	v_dual_add_nc_u32 v97, 8, v97 :: v_dual_cndmask_b32 v99, v99, v107, vcc_lo
	v_cndmask_b32_e32 v98, v98, v106, vcc_lo
	v_cndmask_b32_e64 v96, v96, s0, vcc_lo
	s_add_co_i32 s0, s0, 1
	s_delay_alu instid0(SALU_CYCLE_1)
	s_cmp_lg_u32 s18, s0
	s_cbranch_scc1 .LBB88_148
.LBB88_149:
	s_wait_dscnt 0x0
	v_cmp_eq_f32_e32 vcc_lo, 0, v98
	v_cmp_eq_f32_e64 s0, 0, v99
	s_and_b32 s0, vcc_lo, s0
	s_delay_alu instid0(SALU_CYCLE_1) | instskip(NEXT) | instid1(SALU_CYCLE_1)
	s_and_saveexec_b32 s1, s0
	s_xor_b32 s0, exec_lo, s1
; %bb.150:
	v_cmp_ne_u32_e32 vcc_lo, 0, v102
	v_cndmask_b32_e32 v102, 8, v102, vcc_lo
; %bb.151:
	s_and_not1_saveexec_b32 s0, s0
	s_cbranch_execz .LBB88_157
; %bb.152:
	v_cmp_ngt_f32_e64 s1, |v98|, |v99|
	s_and_saveexec_b32 s12, s1
	s_delay_alu instid0(SALU_CYCLE_1)
	s_xor_b32 s1, exec_lo, s12
	s_cbranch_execz .LBB88_154
; %bb.153:
	v_div_scale_f32 v97, null, v99, v99, v98
	v_div_scale_f32 v107, vcc_lo, v98, v99, v98
	s_delay_alu instid0(VALU_DEP_2) | instskip(SKIP_1) | instid1(TRANS32_DEP_1)
	v_rcp_f32_e32 v105, v97
	v_nop
	v_fma_f32 v106, -v97, v105, 1.0
	s_delay_alu instid0(VALU_DEP_1) | instskip(NEXT) | instid1(VALU_DEP_1)
	v_fmac_f32_e32 v105, v106, v105
	v_mul_f32_e32 v106, v107, v105
	s_delay_alu instid0(VALU_DEP_1) | instskip(NEXT) | instid1(VALU_DEP_1)
	v_fma_f32 v108, -v97, v106, v107
	v_fmac_f32_e32 v106, v108, v105
	s_delay_alu instid0(VALU_DEP_1) | instskip(NEXT) | instid1(VALU_DEP_1)
	v_fma_f32 v97, -v97, v106, v107
	v_div_fmas_f32 v97, v97, v105, v106
	s_delay_alu instid0(VALU_DEP_1) | instskip(NEXT) | instid1(VALU_DEP_1)
	v_div_fixup_f32 v97, v97, v99, v98
	v_fmac_f32_e32 v99, v98, v97
	s_delay_alu instid0(VALU_DEP_1) | instskip(SKIP_1) | instid1(VALU_DEP_2)
	v_div_scale_f32 v98, null, v99, v99, 1.0
	v_div_scale_f32 v107, vcc_lo, 1.0, v99, 1.0
	v_rcp_f32_e32 v105, v98
	v_nop
	s_delay_alu instid0(TRANS32_DEP_1) | instskip(NEXT) | instid1(VALU_DEP_1)
	v_fma_f32 v106, -v98, v105, 1.0
	v_fmac_f32_e32 v105, v106, v105
	s_delay_alu instid0(VALU_DEP_1) | instskip(NEXT) | instid1(VALU_DEP_1)
	v_mul_f32_e32 v106, v107, v105
	v_fma_f32 v108, -v98, v106, v107
	s_delay_alu instid0(VALU_DEP_1) | instskip(NEXT) | instid1(VALU_DEP_1)
	v_fmac_f32_e32 v106, v108, v105
	v_fma_f32 v98, -v98, v106, v107
	s_delay_alu instid0(VALU_DEP_1) | instskip(NEXT) | instid1(VALU_DEP_1)
	v_div_fmas_f32 v98, v98, v105, v106
	v_div_fixup_f32 v99, v98, v99, 1.0
	s_delay_alu instid0(VALU_DEP_1)
	v_mul_f32_e32 v98, v97, v99
	v_xor_b32_e32 v99, 0x80000000, v99
.LBB88_154:
	s_and_not1_saveexec_b32 s1, s1
	s_cbranch_execz .LBB88_156
; %bb.155:
	s_delay_alu instid0(VALU_DEP_1) | instskip(SKIP_1) | instid1(VALU_DEP_2)
	v_div_scale_f32 v97, null, v98, v98, v99
	v_div_scale_f32 v107, vcc_lo, v99, v98, v99
	v_rcp_f32_e32 v105, v97
	v_nop
	s_delay_alu instid0(TRANS32_DEP_1) | instskip(NEXT) | instid1(VALU_DEP_1)
	v_fma_f32 v106, -v97, v105, 1.0
	v_fmac_f32_e32 v105, v106, v105
	s_delay_alu instid0(VALU_DEP_1) | instskip(NEXT) | instid1(VALU_DEP_1)
	v_mul_f32_e32 v106, v107, v105
	v_fma_f32 v108, -v97, v106, v107
	s_delay_alu instid0(VALU_DEP_1) | instskip(NEXT) | instid1(VALU_DEP_1)
	v_fmac_f32_e32 v106, v108, v105
	v_fma_f32 v97, -v97, v106, v107
	s_delay_alu instid0(VALU_DEP_1) | instskip(NEXT) | instid1(VALU_DEP_1)
	v_div_fmas_f32 v97, v97, v105, v106
	v_div_fixup_f32 v97, v97, v98, v99
	s_delay_alu instid0(VALU_DEP_1) | instskip(NEXT) | instid1(VALU_DEP_1)
	v_fmac_f32_e32 v98, v99, v97
	v_div_scale_f32 v99, null, v98, v98, 1.0
	s_delay_alu instid0(VALU_DEP_1) | instskip(SKIP_1) | instid1(TRANS32_DEP_1)
	v_rcp_f32_e32 v105, v99
	v_nop
	v_fma_f32 v106, -v99, v105, 1.0
	s_delay_alu instid0(VALU_DEP_1) | instskip(SKIP_1) | instid1(VALU_DEP_1)
	v_fmac_f32_e32 v105, v106, v105
	v_div_scale_f32 v106, vcc_lo, 1.0, v98, 1.0
	v_mul_f32_e32 v107, v106, v105
	s_delay_alu instid0(VALU_DEP_1) | instskip(NEXT) | instid1(VALU_DEP_1)
	v_fma_f32 v108, -v99, v107, v106
	v_fmac_f32_e32 v107, v108, v105
	s_delay_alu instid0(VALU_DEP_1) | instskip(NEXT) | instid1(VALU_DEP_1)
	v_fma_f32 v99, -v99, v107, v106
	v_div_fmas_f32 v99, v99, v105, v107
	s_delay_alu instid0(VALU_DEP_1) | instskip(NEXT) | instid1(VALU_DEP_1)
	v_div_fixup_f32 v98, v99, v98, 1.0
	v_mul_f32_e64 v99, v97, -v98
.LBB88_156:
	s_or_b32 exec_lo, exec_lo, s1
.LBB88_157:
	s_delay_alu instid0(SALU_CYCLE_1) | instskip(NEXT) | instid1(SALU_CYCLE_1)
	s_or_b32 exec_lo, exec_lo, s0
	s_mov_b32 s0, exec_lo
	v_cmpx_ne_u32_e64 v104, v96
	s_xor_b32 s0, exec_lo, s0
	s_cbranch_execz .LBB88_163
; %bb.158:
	s_mov_b32 s1, exec_lo
	v_cmpx_eq_u32_e32 7, v104
	s_cbranch_execz .LBB88_162
; %bb.159:
	v_cmp_ne_u32_e32 vcc_lo, 7, v96
	s_xor_b32 s12, s16, -1
	s_delay_alu instid0(SALU_CYCLE_1) | instskip(NEXT) | instid1(SALU_CYCLE_1)
	s_and_b32 s13, s12, vcc_lo
	s_and_saveexec_b32 s12, s13
	s_cbranch_execz .LBB88_161
; %bb.160:
	v_ashrrev_i32_e32 v97, 31, v96
	s_delay_alu instid0(VALU_DEP_1)
	v_lshl_add_u64 v[104:105], v[96:97], 2, v[4:5]
	s_clause 0x1
	global_load_b32 v97, v[104:105], off
	global_load_b32 v103, v[4:5], off offset:28
	s_wait_loadcnt 0x1
	global_store_b32 v[4:5], v97, off offset:28
	s_wait_loadcnt 0x0
	global_store_b32 v[104:105], v103, off
.LBB88_161:
	s_wait_xcnt 0x0
	s_or_b32 exec_lo, exec_lo, s12
	v_dual_mov_b32 v104, v96 :: v_dual_mov_b32 v103, v96
.LBB88_162:
	s_or_b32 exec_lo, exec_lo, s1
.LBB88_163:
	s_and_not1_saveexec_b32 s0, s0
	s_cbranch_execz .LBB88_165
; %bb.164:
	v_dual_mov_b32 v96, v52 :: v_dual_mov_b32 v97, v53
	v_dual_mov_b32 v104, v44 :: v_dual_mov_b32 v105, v45
	;; [unrolled: 1-line block ×4, first 2 shown]
	ds_store_2addr_b64 v100, v[96:97], v[104:105] offset0:8 offset1:9
	ds_store_2addr_b64 v100, v[106:107], v[108:109] offset0:10 offset1:11
	v_dual_mov_b32 v96, v84 :: v_dual_mov_b32 v97, v85
	v_dual_mov_b32 v104, v80 :: v_dual_mov_b32 v105, v81
	;; [unrolled: 1-line block ×12, first 2 shown]
	ds_store_2addr_b64 v100, v[96:97], v[104:105] offset0:12 offset1:13
	ds_store_2addr_b64 v100, v[106:107], v[108:109] offset0:14 offset1:15
	;; [unrolled: 1-line block ×6, first 2 shown]
	v_dual_mov_b32 v96, v60 :: v_dual_mov_b32 v97, v61
	v_dual_mov_b32 v104, v56 :: v_dual_mov_b32 v105, v57
	;; [unrolled: 1-line block ×12, first 2 shown]
	ds_store_2addr_b64 v100, v[96:97], v[104:105] offset0:24 offset1:25
	ds_store_2addr_b64 v100, v[106:107], v[108:109] offset0:26 offset1:27
	;; [unrolled: 1-line block ×6, first 2 shown]
	v_dual_mov_b32 v96, v14 :: v_dual_mov_b32 v97, v15
	v_dual_mov_b32 v106, v10 :: v_dual_mov_b32 v107, v11
	v_dual_mov_b32 v104, 7 :: v_dual_mov_b32 v108, v12
	v_dual_mov_b32 v109, v13 :: v_dual_mov_b32 v110, v8
	v_dual_mov_b32 v111, v9 :: v_dual_mov_b32 v112, v6
	v_dual_mov_b32 v113, v7 :: v_dual_mov_b32 v114, v36
	v_dual_mov_b32 v115, v37 :: v_dual_mov_b32 v116, v18
	v_dual_mov_b32 v117, v19 :: v_dual_mov_b32 v118, v16
	v_mov_b32_e32 v119, v17
	ds_store_2addr_b64 v100, v[96:97], v[106:107] offset0:36 offset1:37
	ds_store_2addr_b64 v100, v[108:109], v[110:111] offset0:38 offset1:39
	;; [unrolled: 1-line block ×4, first 2 shown]
	ds_store_b64 v100, v[94:95] offset:352
.LBB88_165:
	s_or_b32 exec_lo, exec_lo, s0
	s_delay_alu instid0(SALU_CYCLE_1)
	s_mov_b32 s0, exec_lo
	s_wait_storecnt_dscnt 0x0
	s_barrier_signal -1
	s_barrier_wait -1
	v_cmpx_lt_i32_e32 7, v104
	s_cbranch_execz .LBB88_167
; %bb.166:
	v_pk_mul_f32 v[106:107], v[98:99], v[24:25] op_sel:[1,1] op_sel_hi:[0,1]
	s_delay_alu instid0(VALU_DEP_1)
	v_pk_fma_f32 v[96:97], v[98:99], v[24:25], v[106:107] op_sel_hi:[1,0,1] neg_lo:[0,0,1] neg_hi:[0,0,1]
	v_pk_fma_f32 v[98:99], v[98:99], v[24:25], v[106:107] op_sel_hi:[1,0,1]
	ds_load_2addr_b64 v[106:109], v100 offset0:8 offset1:9
	v_dual_mov_b32 v24, v96 :: v_dual_mov_b32 v25, v99
	s_wait_dscnt 0x0
	v_pk_mul_f32 v[110:111], v[106:107], v[98:99] op_sel:[0,1]
	s_delay_alu instid0(VALU_DEP_1) | instskip(SKIP_1) | instid1(VALU_DEP_1)
	v_pk_fma_f32 v[112:113], v[106:107], v[96:97], v[110:111] op_sel:[0,0,1] op_sel_hi:[1,1,0] neg_lo:[0,0,1] neg_hi:[0,0,1]
	v_pk_fma_f32 v[106:107], v[106:107], v[96:97], v[110:111] op_sel:[0,0,1] op_sel_hi:[1,0,0]
	v_mov_b32_e32 v113, v107
	v_pk_mul_f32 v[106:107], v[108:109], v[98:99] op_sel:[0,1]
	s_delay_alu instid0(VALU_DEP_1) | instskip(SKIP_1) | instid1(VALU_DEP_1)
	v_pk_fma_f32 v[110:111], v[108:109], v[96:97], v[106:107] op_sel:[0,0,1] op_sel_hi:[1,1,0] neg_lo:[0,0,1] neg_hi:[0,0,1]
	v_pk_fma_f32 v[106:107], v[108:109], v[96:97], v[106:107] op_sel:[0,0,1] op_sel_hi:[1,0,0]
	v_mov_b32_e32 v111, v107
	ds_load_2addr_b64 v[106:109], v100 offset0:10 offset1:11
	v_pk_add_f32 v[52:53], v[52:53], v[112:113] neg_lo:[0,1] neg_hi:[0,1]
	v_pk_add_f32 v[44:45], v[44:45], v[110:111] neg_lo:[0,1] neg_hi:[0,1]
	s_wait_dscnt 0x0
	v_pk_mul_f32 v[110:111], v[106:107], v[98:99] op_sel:[0,1]
	s_delay_alu instid0(VALU_DEP_1) | instskip(SKIP_2) | instid1(VALU_DEP_2)
	v_pk_fma_f32 v[112:113], v[106:107], v[96:97], v[110:111] op_sel:[0,0,1] op_sel_hi:[1,1,0] neg_lo:[0,0,1] neg_hi:[0,0,1]
	v_pk_fma_f32 v[106:107], v[106:107], v[96:97], v[110:111] op_sel:[0,0,1] op_sel_hi:[1,0,0]
	v_dual_mul_f32 v110, v109, v99 :: v_dual_mov_b32 v106, v109
	v_dual_mov_b32 v113, v107 :: v_dual_mov_b32 v107, v108
	s_delay_alu instid0(VALU_DEP_2) | instskip(SKIP_1) | instid1(VALU_DEP_3)
	v_pk_fma_f32 v[110:111], v[108:109], v[24:25], v[110:111] op_sel_hi:[1,1,0] neg_lo:[0,0,1] neg_hi:[0,0,1]
	v_mul_f32_e32 v108, v109, v96
	v_pk_add_f32 v[50:51], v[50:51], v[112:113] neg_lo:[0,1] neg_hi:[0,1]
	s_delay_alu instid0(VALU_DEP_2) | instskip(NEXT) | instid1(VALU_DEP_1)
	v_pk_fma_f32 v[106:107], v[106:107], v[24:25], v[108:109] op_sel_hi:[1,1,0]
	v_mov_b32_e32 v111, v107
	ds_load_2addr_b64 v[106:109], v100 offset0:12 offset1:13
	v_pk_add_f32 v[42:43], v[42:43], v[110:111] neg_lo:[0,1] neg_hi:[0,1]
	s_wait_dscnt 0x0
	v_pk_mul_f32 v[110:111], v[106:107], v[98:99] op_sel:[0,1]
	s_delay_alu instid0(VALU_DEP_1) | instskip(SKIP_1) | instid1(VALU_DEP_1)
	v_pk_fma_f32 v[112:113], v[106:107], v[96:97], v[110:111] op_sel:[0,0,1] op_sel_hi:[1,1,0] neg_lo:[0,0,1] neg_hi:[0,0,1]
	v_pk_fma_f32 v[106:107], v[106:107], v[96:97], v[110:111] op_sel:[0,0,1] op_sel_hi:[1,0,0]
	v_mov_b32_e32 v113, v107
	v_pk_mul_f32 v[106:107], v[108:109], v[98:99] op_sel:[0,1]
	s_delay_alu instid0(VALU_DEP_1) | instskip(SKIP_1) | instid1(VALU_DEP_1)
	v_pk_fma_f32 v[110:111], v[108:109], v[96:97], v[106:107] op_sel:[0,0,1] op_sel_hi:[1,1,0] neg_lo:[0,0,1] neg_hi:[0,0,1]
	v_pk_fma_f32 v[106:107], v[108:109], v[96:97], v[106:107] op_sel:[0,0,1] op_sel_hi:[1,0,0]
	v_mov_b32_e32 v111, v107
	ds_load_2addr_b64 v[106:109], v100 offset0:14 offset1:15
	v_pk_add_f32 v[84:85], v[84:85], v[112:113] neg_lo:[0,1] neg_hi:[0,1]
	v_pk_add_f32 v[80:81], v[80:81], v[110:111] neg_lo:[0,1] neg_hi:[0,1]
	s_wait_dscnt 0x0
	v_pk_mul_f32 v[110:111], v[106:107], v[98:99] op_sel:[0,1]
	s_delay_alu instid0(VALU_DEP_1) | instskip(SKIP_1) | instid1(VALU_DEP_1)
	v_pk_fma_f32 v[112:113], v[106:107], v[96:97], v[110:111] op_sel:[0,0,1] op_sel_hi:[1,1,0] neg_lo:[0,0,1] neg_hi:[0,0,1]
	v_pk_fma_f32 v[106:107], v[106:107], v[96:97], v[110:111] op_sel:[0,0,1] op_sel_hi:[1,0,0]
	v_mov_b32_e32 v113, v107
	v_pk_mul_f32 v[106:107], v[108:109], v[98:99] op_sel:[0,1]
	s_delay_alu instid0(VALU_DEP_1) | instskip(SKIP_1) | instid1(VALU_DEP_1)
	v_pk_fma_f32 v[110:111], v[108:109], v[96:97], v[106:107] op_sel:[0,0,1] op_sel_hi:[1,1,0] neg_lo:[0,0,1] neg_hi:[0,0,1]
	v_pk_fma_f32 v[106:107], v[108:109], v[96:97], v[106:107] op_sel:[0,0,1] op_sel_hi:[1,0,0]
	v_mov_b32_e32 v111, v107
	ds_load_2addr_b64 v[106:109], v100 offset0:16 offset1:17
	v_pk_add_f32 v[82:83], v[82:83], v[112:113] neg_lo:[0,1] neg_hi:[0,1]
	v_pk_add_f32 v[78:79], v[78:79], v[110:111] neg_lo:[0,1] neg_hi:[0,1]
	s_wait_dscnt 0x0
	v_dual_mul_f32 v110, v107, v99 :: v_dual_mul_f32 v112, v107, v96
	s_delay_alu instid0(VALU_DEP_1) | instskip(NEXT) | instid1(VALU_DEP_2)
	v_pk_fma_f32 v[110:111], v[106:107], v[24:25], v[110:111] op_sel_hi:[1,1,0] neg_lo:[0,0,1] neg_hi:[0,0,1]
	v_pk_fma_f32 v[106:107], v[106:107], v[24:25], v[112:113] op_sel:[1,0,0] op_sel_hi:[0,1,0]
	s_delay_alu instid0(VALU_DEP_1) | instskip(SKIP_1) | instid1(VALU_DEP_2)
	v_mov_b32_e32 v111, v107
	v_pk_mul_f32 v[106:107], v[108:109], v[98:99] op_sel:[0,1]
	v_pk_add_f32 v[76:77], v[76:77], v[110:111] neg_lo:[0,1] neg_hi:[0,1]
	s_delay_alu instid0(VALU_DEP_2) | instskip(SKIP_1) | instid1(VALU_DEP_1)
	v_pk_fma_f32 v[110:111], v[108:109], v[96:97], v[106:107] op_sel:[0,0,1] op_sel_hi:[1,1,0] neg_lo:[0,0,1] neg_hi:[0,0,1]
	v_pk_fma_f32 v[106:107], v[108:109], v[96:97], v[106:107] op_sel:[0,0,1] op_sel_hi:[1,0,0]
	v_mov_b32_e32 v111, v107
	ds_load_2addr_b64 v[106:109], v100 offset0:18 offset1:19
	v_pk_add_f32 v[72:73], v[72:73], v[110:111] neg_lo:[0,1] neg_hi:[0,1]
	s_wait_dscnt 0x0
	v_pk_mul_f32 v[110:111], v[106:107], v[98:99] op_sel:[0,1]
	s_delay_alu instid0(VALU_DEP_1) | instskip(SKIP_1) | instid1(VALU_DEP_1)
	v_pk_fma_f32 v[112:113], v[106:107], v[96:97], v[110:111] op_sel:[0,0,1] op_sel_hi:[1,1,0] neg_lo:[0,0,1] neg_hi:[0,0,1]
	v_pk_fma_f32 v[106:107], v[106:107], v[96:97], v[110:111] op_sel:[0,0,1] op_sel_hi:[1,0,0]
	v_mov_b32_e32 v113, v107
	v_pk_mul_f32 v[106:107], v[108:109], v[98:99] op_sel:[0,1]
	s_delay_alu instid0(VALU_DEP_2) | instskip(NEXT) | instid1(VALU_DEP_2)
	v_pk_add_f32 v[74:75], v[74:75], v[112:113] neg_lo:[0,1] neg_hi:[0,1]
	v_pk_fma_f32 v[110:111], v[108:109], v[96:97], v[106:107] op_sel:[0,0,1] op_sel_hi:[1,1,0] neg_lo:[0,0,1] neg_hi:[0,0,1]
	v_pk_fma_f32 v[106:107], v[108:109], v[96:97], v[106:107] op_sel:[0,0,1] op_sel_hi:[1,0,0]
	s_delay_alu instid0(VALU_DEP_1) | instskip(SKIP_4) | instid1(VALU_DEP_1)
	v_mov_b32_e32 v111, v107
	ds_load_2addr_b64 v[106:109], v100 offset0:20 offset1:21
	v_pk_add_f32 v[70:71], v[70:71], v[110:111] neg_lo:[0,1] neg_hi:[0,1]
	s_wait_dscnt 0x0
	v_pk_mul_f32 v[110:111], v[106:107], v[98:99] op_sel:[0,1]
	v_pk_fma_f32 v[112:113], v[106:107], v[96:97], v[110:111] op_sel:[0,0,1] op_sel_hi:[1,1,0] neg_lo:[0,0,1] neg_hi:[0,0,1]
	v_pk_fma_f32 v[106:107], v[106:107], v[96:97], v[110:111] op_sel:[0,0,1] op_sel_hi:[1,0,0]
	v_dual_mul_f32 v110, v109, v99 :: v_dual_mov_b32 v106, v109
	s_delay_alu instid0(VALU_DEP_2) | instskip(NEXT) | instid1(VALU_DEP_2)
	v_dual_mov_b32 v113, v107 :: v_dual_mov_b32 v107, v108
	v_pk_fma_f32 v[110:111], v[108:109], v[24:25], v[110:111] op_sel_hi:[1,1,0] neg_lo:[0,0,1] neg_hi:[0,0,1]
	v_mul_f32_e32 v108, v109, v96
	s_delay_alu instid0(VALU_DEP_3) | instskip(NEXT) | instid1(VALU_DEP_2)
	v_pk_add_f32 v[68:69], v[68:69], v[112:113] neg_lo:[0,1] neg_hi:[0,1]
	v_pk_fma_f32 v[106:107], v[106:107], v[24:25], v[108:109] op_sel_hi:[1,1,0]
	s_delay_alu instid0(VALU_DEP_1) | instskip(SKIP_4) | instid1(VALU_DEP_1)
	v_mov_b32_e32 v111, v107
	ds_load_2addr_b64 v[106:109], v100 offset0:22 offset1:23
	v_pk_add_f32 v[64:65], v[64:65], v[110:111] neg_lo:[0,1] neg_hi:[0,1]
	s_wait_dscnt 0x0
	v_pk_mul_f32 v[110:111], v[106:107], v[98:99] op_sel:[0,1]
	v_pk_fma_f32 v[112:113], v[106:107], v[96:97], v[110:111] op_sel:[0,0,1] op_sel_hi:[1,1,0] neg_lo:[0,0,1] neg_hi:[0,0,1]
	v_pk_fma_f32 v[106:107], v[106:107], v[96:97], v[110:111] op_sel:[0,0,1] op_sel_hi:[1,0,0]
	s_delay_alu instid0(VALU_DEP_1) | instskip(SKIP_1) | instid1(VALU_DEP_1)
	v_mov_b32_e32 v113, v107
	v_pk_mul_f32 v[106:107], v[108:109], v[98:99] op_sel:[0,1]
	v_pk_fma_f32 v[110:111], v[108:109], v[96:97], v[106:107] op_sel:[0,0,1] op_sel_hi:[1,1,0] neg_lo:[0,0,1] neg_hi:[0,0,1]
	v_pk_fma_f32 v[106:107], v[108:109], v[96:97], v[106:107] op_sel:[0,0,1] op_sel_hi:[1,0,0]
	s_delay_alu instid0(VALU_DEP_1)
	v_mov_b32_e32 v111, v107
	ds_load_2addr_b64 v[106:109], v100 offset0:24 offset1:25
	v_pk_add_f32 v[66:67], v[66:67], v[112:113] neg_lo:[0,1] neg_hi:[0,1]
	v_pk_add_f32 v[62:63], v[62:63], v[110:111] neg_lo:[0,1] neg_hi:[0,1]
	s_wait_dscnt 0x0
	v_pk_mul_f32 v[110:111], v[106:107], v[98:99] op_sel:[0,1]
	s_delay_alu instid0(VALU_DEP_1) | instskip(SKIP_1) | instid1(VALU_DEP_1)
	v_pk_fma_f32 v[112:113], v[106:107], v[96:97], v[110:111] op_sel:[0,0,1] op_sel_hi:[1,1,0] neg_lo:[0,0,1] neg_hi:[0,0,1]
	v_pk_fma_f32 v[106:107], v[106:107], v[96:97], v[110:111] op_sel:[0,0,1] op_sel_hi:[1,0,0]
	v_mov_b32_e32 v113, v107
	v_pk_mul_f32 v[106:107], v[108:109], v[98:99] op_sel:[0,1]
	s_delay_alu instid0(VALU_DEP_1) | instskip(SKIP_1) | instid1(VALU_DEP_1)
	v_pk_fma_f32 v[110:111], v[108:109], v[96:97], v[106:107] op_sel:[0,0,1] op_sel_hi:[1,1,0] neg_lo:[0,0,1] neg_hi:[0,0,1]
	v_pk_fma_f32 v[106:107], v[108:109], v[96:97], v[106:107] op_sel:[0,0,1] op_sel_hi:[1,0,0]
	v_mov_b32_e32 v111, v107
	ds_load_2addr_b64 v[106:109], v100 offset0:26 offset1:27
	v_pk_add_f32 v[60:61], v[60:61], v[112:113] neg_lo:[0,1] neg_hi:[0,1]
	v_pk_add_f32 v[56:57], v[56:57], v[110:111] neg_lo:[0,1] neg_hi:[0,1]
	s_wait_dscnt 0x0
	v_dual_mul_f32 v110, v107, v99 :: v_dual_mul_f32 v112, v107, v96
	s_delay_alu instid0(VALU_DEP_1) | instskip(NEXT) | instid1(VALU_DEP_2)
	v_pk_fma_f32 v[110:111], v[106:107], v[24:25], v[110:111] op_sel_hi:[1,1,0] neg_lo:[0,0,1] neg_hi:[0,0,1]
	v_pk_fma_f32 v[106:107], v[106:107], v[24:25], v[112:113] op_sel:[1,0,0] op_sel_hi:[0,1,0]
	s_delay_alu instid0(VALU_DEP_1) | instskip(SKIP_1) | instid1(VALU_DEP_2)
	v_mov_b32_e32 v111, v107
	v_pk_mul_f32 v[106:107], v[108:109], v[98:99] op_sel:[0,1]
	v_pk_add_f32 v[58:59], v[58:59], v[110:111] neg_lo:[0,1] neg_hi:[0,1]
	s_delay_alu instid0(VALU_DEP_2) | instskip(SKIP_1) | instid1(VALU_DEP_1)
	v_pk_fma_f32 v[110:111], v[108:109], v[96:97], v[106:107] op_sel:[0,0,1] op_sel_hi:[1,1,0] neg_lo:[0,0,1] neg_hi:[0,0,1]
	v_pk_fma_f32 v[106:107], v[108:109], v[96:97], v[106:107] op_sel:[0,0,1] op_sel_hi:[1,0,0]
	v_mov_b32_e32 v111, v107
	ds_load_2addr_b64 v[106:109], v100 offset0:28 offset1:29
	v_pk_add_f32 v[54:55], v[54:55], v[110:111] neg_lo:[0,1] neg_hi:[0,1]
	s_wait_dscnt 0x0
	v_pk_mul_f32 v[110:111], v[106:107], v[98:99] op_sel:[0,1]
	s_delay_alu instid0(VALU_DEP_1) | instskip(SKIP_1) | instid1(VALU_DEP_1)
	v_pk_fma_f32 v[112:113], v[106:107], v[96:97], v[110:111] op_sel:[0,0,1] op_sel_hi:[1,1,0] neg_lo:[0,0,1] neg_hi:[0,0,1]
	v_pk_fma_f32 v[106:107], v[106:107], v[96:97], v[110:111] op_sel:[0,0,1] op_sel_hi:[1,0,0]
	v_mov_b32_e32 v113, v107
	v_pk_mul_f32 v[106:107], v[108:109], v[98:99] op_sel:[0,1]
	s_delay_alu instid0(VALU_DEP_2) | instskip(NEXT) | instid1(VALU_DEP_2)
	v_pk_add_f32 v[48:49], v[48:49], v[112:113] neg_lo:[0,1] neg_hi:[0,1]
	v_pk_fma_f32 v[110:111], v[108:109], v[96:97], v[106:107] op_sel:[0,0,1] op_sel_hi:[1,1,0] neg_lo:[0,0,1] neg_hi:[0,0,1]
	v_pk_fma_f32 v[106:107], v[108:109], v[96:97], v[106:107] op_sel:[0,0,1] op_sel_hi:[1,0,0]
	s_delay_alu instid0(VALU_DEP_1) | instskip(SKIP_4) | instid1(VALU_DEP_1)
	v_mov_b32_e32 v111, v107
	ds_load_2addr_b64 v[106:109], v100 offset0:30 offset1:31
	v_pk_add_f32 v[40:41], v[40:41], v[110:111] neg_lo:[0,1] neg_hi:[0,1]
	s_wait_dscnt 0x0
	v_pk_mul_f32 v[110:111], v[106:107], v[98:99] op_sel:[0,1]
	v_pk_fma_f32 v[112:113], v[106:107], v[96:97], v[110:111] op_sel:[0,0,1] op_sel_hi:[1,1,0] neg_lo:[0,0,1] neg_hi:[0,0,1]
	v_pk_fma_f32 v[106:107], v[106:107], v[96:97], v[110:111] op_sel:[0,0,1] op_sel_hi:[1,0,0]
	v_dual_mul_f32 v110, v109, v99 :: v_dual_mov_b32 v106, v109
	s_delay_alu instid0(VALU_DEP_2) | instskip(NEXT) | instid1(VALU_DEP_2)
	v_dual_mov_b32 v113, v107 :: v_dual_mov_b32 v107, v108
	v_pk_fma_f32 v[110:111], v[108:109], v[24:25], v[110:111] op_sel_hi:[1,1,0] neg_lo:[0,0,1] neg_hi:[0,0,1]
	v_mul_f32_e32 v108, v109, v96
	s_delay_alu instid0(VALU_DEP_3) | instskip(NEXT) | instid1(VALU_DEP_2)
	v_pk_add_f32 v[46:47], v[46:47], v[112:113] neg_lo:[0,1] neg_hi:[0,1]
	v_pk_fma_f32 v[106:107], v[106:107], v[24:25], v[108:109] op_sel_hi:[1,1,0]
	s_delay_alu instid0(VALU_DEP_1) | instskip(SKIP_4) | instid1(VALU_DEP_1)
	v_mov_b32_e32 v111, v107
	ds_load_2addr_b64 v[106:109], v100 offset0:32 offset1:33
	v_pk_add_f32 v[38:39], v[38:39], v[110:111] neg_lo:[0,1] neg_hi:[0,1]
	s_wait_dscnt 0x0
	v_pk_mul_f32 v[110:111], v[106:107], v[98:99] op_sel:[0,1]
	v_pk_fma_f32 v[112:113], v[106:107], v[96:97], v[110:111] op_sel:[0,0,1] op_sel_hi:[1,1,0] neg_lo:[0,0,1] neg_hi:[0,0,1]
	v_pk_fma_f32 v[106:107], v[106:107], v[96:97], v[110:111] op_sel:[0,0,1] op_sel_hi:[1,0,0]
	s_delay_alu instid0(VALU_DEP_1) | instskip(SKIP_1) | instid1(VALU_DEP_1)
	v_mov_b32_e32 v113, v107
	v_pk_mul_f32 v[106:107], v[108:109], v[98:99] op_sel:[0,1]
	v_pk_fma_f32 v[110:111], v[108:109], v[96:97], v[106:107] op_sel:[0,0,1] op_sel_hi:[1,1,0] neg_lo:[0,0,1] neg_hi:[0,0,1]
	v_pk_fma_f32 v[106:107], v[108:109], v[96:97], v[106:107] op_sel:[0,0,1] op_sel_hi:[1,0,0]
	s_delay_alu instid0(VALU_DEP_1)
	v_mov_b32_e32 v111, v107
	ds_load_2addr_b64 v[106:109], v100 offset0:34 offset1:35
	v_pk_add_f32 v[30:31], v[30:31], v[112:113] neg_lo:[0,1] neg_hi:[0,1]
	v_pk_add_f32 v[22:23], v[22:23], v[110:111] neg_lo:[0,1] neg_hi:[0,1]
	s_wait_dscnt 0x0
	v_pk_mul_f32 v[110:111], v[106:107], v[98:99] op_sel:[0,1]
	s_delay_alu instid0(VALU_DEP_1) | instskip(SKIP_1) | instid1(VALU_DEP_1)
	v_pk_fma_f32 v[112:113], v[106:107], v[96:97], v[110:111] op_sel:[0,0,1] op_sel_hi:[1,1,0] neg_lo:[0,0,1] neg_hi:[0,0,1]
	v_pk_fma_f32 v[106:107], v[106:107], v[96:97], v[110:111] op_sel:[0,0,1] op_sel_hi:[1,0,0]
	v_mov_b32_e32 v113, v107
	v_pk_mul_f32 v[106:107], v[108:109], v[98:99] op_sel:[0,1]
	s_delay_alu instid0(VALU_DEP_1) | instskip(SKIP_1) | instid1(VALU_DEP_1)
	v_pk_fma_f32 v[110:111], v[108:109], v[96:97], v[106:107] op_sel:[0,0,1] op_sel_hi:[1,1,0] neg_lo:[0,0,1] neg_hi:[0,0,1]
	v_pk_fma_f32 v[106:107], v[108:109], v[96:97], v[106:107] op_sel:[0,0,1] op_sel_hi:[1,0,0]
	v_mov_b32_e32 v111, v107
	ds_load_2addr_b64 v[106:109], v100 offset0:36 offset1:37
	v_pk_add_f32 v[28:29], v[28:29], v[112:113] neg_lo:[0,1] neg_hi:[0,1]
	v_pk_add_f32 v[20:21], v[20:21], v[110:111] neg_lo:[0,1] neg_hi:[0,1]
	s_wait_dscnt 0x0
	v_dual_mul_f32 v110, v107, v99 :: v_dual_mul_f32 v112, v107, v96
	s_delay_alu instid0(VALU_DEP_1) | instskip(NEXT) | instid1(VALU_DEP_2)
	v_pk_fma_f32 v[110:111], v[106:107], v[24:25], v[110:111] op_sel_hi:[1,1,0] neg_lo:[0,0,1] neg_hi:[0,0,1]
	v_pk_fma_f32 v[106:107], v[106:107], v[24:25], v[112:113] op_sel:[1,0,0] op_sel_hi:[0,1,0]
	s_delay_alu instid0(VALU_DEP_1) | instskip(SKIP_1) | instid1(VALU_DEP_2)
	v_mov_b32_e32 v111, v107
	v_pk_mul_f32 v[106:107], v[108:109], v[98:99] op_sel:[0,1]
	v_pk_add_f32 v[14:15], v[14:15], v[110:111] neg_lo:[0,1] neg_hi:[0,1]
	s_delay_alu instid0(VALU_DEP_2) | instskip(SKIP_1) | instid1(VALU_DEP_1)
	v_pk_fma_f32 v[110:111], v[108:109], v[96:97], v[106:107] op_sel:[0,0,1] op_sel_hi:[1,1,0] neg_lo:[0,0,1] neg_hi:[0,0,1]
	v_pk_fma_f32 v[106:107], v[108:109], v[96:97], v[106:107] op_sel:[0,0,1] op_sel_hi:[1,0,0]
	v_mov_b32_e32 v111, v107
	ds_load_2addr_b64 v[106:109], v100 offset0:38 offset1:39
	v_pk_add_f32 v[10:11], v[10:11], v[110:111] neg_lo:[0,1] neg_hi:[0,1]
	s_wait_dscnt 0x0
	v_pk_mul_f32 v[110:111], v[106:107], v[98:99] op_sel:[0,1]
	s_delay_alu instid0(VALU_DEP_1) | instskip(SKIP_1) | instid1(VALU_DEP_1)
	v_pk_fma_f32 v[112:113], v[106:107], v[96:97], v[110:111] op_sel:[0,0,1] op_sel_hi:[1,1,0] neg_lo:[0,0,1] neg_hi:[0,0,1]
	v_pk_fma_f32 v[106:107], v[106:107], v[96:97], v[110:111] op_sel:[0,0,1] op_sel_hi:[1,0,0]
	v_mov_b32_e32 v113, v107
	v_pk_mul_f32 v[106:107], v[108:109], v[98:99] op_sel:[0,1]
	s_delay_alu instid0(VALU_DEP_2) | instskip(NEXT) | instid1(VALU_DEP_2)
	v_pk_add_f32 v[12:13], v[12:13], v[112:113] neg_lo:[0,1] neg_hi:[0,1]
	v_pk_fma_f32 v[110:111], v[108:109], v[96:97], v[106:107] op_sel:[0,0,1] op_sel_hi:[1,1,0] neg_lo:[0,0,1] neg_hi:[0,0,1]
	v_pk_fma_f32 v[106:107], v[108:109], v[96:97], v[106:107] op_sel:[0,0,1] op_sel_hi:[1,0,0]
	s_delay_alu instid0(VALU_DEP_1) | instskip(SKIP_4) | instid1(VALU_DEP_1)
	v_mov_b32_e32 v111, v107
	ds_load_2addr_b64 v[106:109], v100 offset0:40 offset1:41
	v_pk_add_f32 v[8:9], v[8:9], v[110:111] neg_lo:[0,1] neg_hi:[0,1]
	s_wait_dscnt 0x0
	v_pk_mul_f32 v[110:111], v[106:107], v[98:99] op_sel:[0,1]
	v_pk_fma_f32 v[112:113], v[106:107], v[96:97], v[110:111] op_sel:[0,0,1] op_sel_hi:[1,1,0] neg_lo:[0,0,1] neg_hi:[0,0,1]
	v_pk_fma_f32 v[106:107], v[106:107], v[96:97], v[110:111] op_sel:[0,0,1] op_sel_hi:[1,0,0]
	v_dual_mul_f32 v110, v109, v99 :: v_dual_mov_b32 v106, v109
	s_delay_alu instid0(VALU_DEP_2) | instskip(NEXT) | instid1(VALU_DEP_2)
	v_dual_mov_b32 v113, v107 :: v_dual_mov_b32 v107, v108
	v_pk_fma_f32 v[110:111], v[108:109], v[24:25], v[110:111] op_sel_hi:[1,1,0] neg_lo:[0,0,1] neg_hi:[0,0,1]
	v_mul_f32_e32 v108, v109, v96
	s_delay_alu instid0(VALU_DEP_3) | instskip(NEXT) | instid1(VALU_DEP_2)
	v_pk_add_f32 v[6:7], v[6:7], v[112:113] neg_lo:[0,1] neg_hi:[0,1]
	v_pk_fma_f32 v[106:107], v[106:107], v[24:25], v[108:109] op_sel_hi:[1,1,0]
	s_delay_alu instid0(VALU_DEP_1) | instskip(SKIP_4) | instid1(VALU_DEP_1)
	v_mov_b32_e32 v111, v107
	ds_load_2addr_b64 v[106:109], v100 offset0:42 offset1:43
	v_pk_add_f32 v[36:37], v[36:37], v[110:111] neg_lo:[0,1] neg_hi:[0,1]
	s_wait_dscnt 0x0
	v_pk_mul_f32 v[110:111], v[106:107], v[98:99] op_sel:[0,1]
	v_pk_fma_f32 v[112:113], v[106:107], v[96:97], v[110:111] op_sel:[0,0,1] op_sel_hi:[1,1,0] neg_lo:[0,0,1] neg_hi:[0,0,1]
	v_pk_fma_f32 v[106:107], v[106:107], v[96:97], v[110:111] op_sel:[0,0,1] op_sel_hi:[1,0,0]
	s_delay_alu instid0(VALU_DEP_1) | instskip(SKIP_1) | instid1(VALU_DEP_1)
	v_mov_b32_e32 v113, v107
	v_pk_mul_f32 v[106:107], v[108:109], v[98:99] op_sel:[0,1]
	v_pk_fma_f32 v[110:111], v[108:109], v[96:97], v[106:107] op_sel:[0,0,1] op_sel_hi:[1,1,0] neg_lo:[0,0,1] neg_hi:[0,0,1]
	v_pk_fma_f32 v[106:107], v[108:109], v[96:97], v[106:107] op_sel:[0,0,1] op_sel_hi:[1,0,0]
	s_delay_alu instid0(VALU_DEP_1)
	v_mov_b32_e32 v111, v107
	ds_load_b64 v[106:107], v100 offset:352
	v_pk_add_f32 v[18:19], v[18:19], v[112:113] neg_lo:[0,1] neg_hi:[0,1]
	v_pk_add_f32 v[16:17], v[16:17], v[110:111] neg_lo:[0,1] neg_hi:[0,1]
	s_wait_dscnt 0x0
	v_pk_mul_f32 v[98:99], v[106:107], v[98:99] op_sel:[0,1]
	s_delay_alu instid0(VALU_DEP_1) | instskip(SKIP_1) | instid1(VALU_DEP_1)
	v_pk_fma_f32 v[108:109], v[106:107], v[96:97], v[98:99] op_sel:[0,0,1] op_sel_hi:[1,1,0] neg_lo:[0,0,1] neg_hi:[0,0,1]
	v_pk_fma_f32 v[96:97], v[106:107], v[96:97], v[98:99] op_sel:[0,0,1] op_sel_hi:[1,0,0]
	v_mov_b32_e32 v109, v97
	s_delay_alu instid0(VALU_DEP_1)
	v_pk_add_f32 v[94:95], v[94:95], v[108:109] neg_lo:[0,1] neg_hi:[0,1]
.LBB88_167:
	s_or_b32 exec_lo, exec_lo, s0
	v_lshl_add_u32 v96, v104, 3, v100
	s_barrier_signal -1
	s_barrier_wait -1
	ds_store_b64 v96, v[52:53]
	s_wait_dscnt 0x0
	s_barrier_signal -1
	s_barrier_wait -1
	ds_load_b64 v[98:99], v100 offset:64
	v_mov_b32_e32 v96, 8
	s_cmp_lt_i32 s18, 10
	s_cbranch_scc1 .LBB88_170
; %bb.168:
	v_add3_u32 v97, v101, 0, 0x48
	v_mov_b32_e32 v96, 8
	s_mov_b32 s0, 9
.LBB88_169:                             ; =>This Inner Loop Header: Depth=1
	ds_load_b64 v[106:107], v97
	s_wait_dscnt 0x1
	v_cmp_gt_f32_e32 vcc_lo, 0, v98
	v_cndmask_b32_e64 v108, v98, -v98, vcc_lo
	v_cmp_gt_f32_e32 vcc_lo, 0, v99
	v_cndmask_b32_e64 v110, v99, -v99, vcc_lo
	s_wait_dscnt 0x0
	v_cmp_gt_f32_e32 vcc_lo, 0, v106
	v_cndmask_b32_e64 v109, v106, -v106, vcc_lo
	v_cmp_gt_f32_e32 vcc_lo, 0, v107
	v_cndmask_b32_e64 v111, v107, -v107, vcc_lo
	s_delay_alu instid0(VALU_DEP_1) | instskip(NEXT) | instid1(VALU_DEP_1)
	v_pk_add_f32 v[108:109], v[108:109], v[110:111]
	v_cmp_lt_f32_e32 vcc_lo, v108, v109
	v_dual_add_nc_u32 v97, 8, v97 :: v_dual_cndmask_b32 v99, v99, v107, vcc_lo
	v_cndmask_b32_e32 v98, v98, v106, vcc_lo
	v_cndmask_b32_e64 v96, v96, s0, vcc_lo
	s_add_co_i32 s0, s0, 1
	s_delay_alu instid0(SALU_CYCLE_1)
	s_cmp_lg_u32 s18, s0
	s_cbranch_scc1 .LBB88_169
.LBB88_170:
	s_wait_dscnt 0x0
	v_cmp_eq_f32_e32 vcc_lo, 0, v98
	v_cmp_eq_f32_e64 s0, 0, v99
	s_and_b32 s0, vcc_lo, s0
	s_delay_alu instid0(SALU_CYCLE_1) | instskip(NEXT) | instid1(SALU_CYCLE_1)
	s_and_saveexec_b32 s1, s0
	s_xor_b32 s0, exec_lo, s1
; %bb.171:
	v_cmp_ne_u32_e32 vcc_lo, 0, v102
	v_cndmask_b32_e32 v102, 9, v102, vcc_lo
; %bb.172:
	s_and_not1_saveexec_b32 s0, s0
	s_cbranch_execz .LBB88_178
; %bb.173:
	v_cmp_ngt_f32_e64 s1, |v98|, |v99|
	s_and_saveexec_b32 s12, s1
	s_delay_alu instid0(SALU_CYCLE_1)
	s_xor_b32 s1, exec_lo, s12
	s_cbranch_execz .LBB88_175
; %bb.174:
	v_div_scale_f32 v97, null, v99, v99, v98
	v_div_scale_f32 v107, vcc_lo, v98, v99, v98
	s_delay_alu instid0(VALU_DEP_2) | instskip(SKIP_1) | instid1(TRANS32_DEP_1)
	v_rcp_f32_e32 v105, v97
	v_nop
	v_fma_f32 v106, -v97, v105, 1.0
	s_delay_alu instid0(VALU_DEP_1) | instskip(NEXT) | instid1(VALU_DEP_1)
	v_fmac_f32_e32 v105, v106, v105
	v_mul_f32_e32 v106, v107, v105
	s_delay_alu instid0(VALU_DEP_1) | instskip(NEXT) | instid1(VALU_DEP_1)
	v_fma_f32 v108, -v97, v106, v107
	v_fmac_f32_e32 v106, v108, v105
	s_delay_alu instid0(VALU_DEP_1) | instskip(NEXT) | instid1(VALU_DEP_1)
	v_fma_f32 v97, -v97, v106, v107
	v_div_fmas_f32 v97, v97, v105, v106
	s_delay_alu instid0(VALU_DEP_1) | instskip(NEXT) | instid1(VALU_DEP_1)
	v_div_fixup_f32 v97, v97, v99, v98
	v_fmac_f32_e32 v99, v98, v97
	s_delay_alu instid0(VALU_DEP_1) | instskip(SKIP_1) | instid1(VALU_DEP_2)
	v_div_scale_f32 v98, null, v99, v99, 1.0
	v_div_scale_f32 v107, vcc_lo, 1.0, v99, 1.0
	v_rcp_f32_e32 v105, v98
	v_nop
	s_delay_alu instid0(TRANS32_DEP_1) | instskip(NEXT) | instid1(VALU_DEP_1)
	v_fma_f32 v106, -v98, v105, 1.0
	v_fmac_f32_e32 v105, v106, v105
	s_delay_alu instid0(VALU_DEP_1) | instskip(NEXT) | instid1(VALU_DEP_1)
	v_mul_f32_e32 v106, v107, v105
	v_fma_f32 v108, -v98, v106, v107
	s_delay_alu instid0(VALU_DEP_1) | instskip(NEXT) | instid1(VALU_DEP_1)
	v_fmac_f32_e32 v106, v108, v105
	v_fma_f32 v98, -v98, v106, v107
	s_delay_alu instid0(VALU_DEP_1) | instskip(NEXT) | instid1(VALU_DEP_1)
	v_div_fmas_f32 v98, v98, v105, v106
	v_div_fixup_f32 v99, v98, v99, 1.0
	s_delay_alu instid0(VALU_DEP_1)
	v_mul_f32_e32 v98, v97, v99
	v_xor_b32_e32 v99, 0x80000000, v99
.LBB88_175:
	s_and_not1_saveexec_b32 s1, s1
	s_cbranch_execz .LBB88_177
; %bb.176:
	s_delay_alu instid0(VALU_DEP_1) | instskip(SKIP_1) | instid1(VALU_DEP_2)
	v_div_scale_f32 v97, null, v98, v98, v99
	v_div_scale_f32 v107, vcc_lo, v99, v98, v99
	v_rcp_f32_e32 v105, v97
	v_nop
	s_delay_alu instid0(TRANS32_DEP_1) | instskip(NEXT) | instid1(VALU_DEP_1)
	v_fma_f32 v106, -v97, v105, 1.0
	v_fmac_f32_e32 v105, v106, v105
	s_delay_alu instid0(VALU_DEP_1) | instskip(NEXT) | instid1(VALU_DEP_1)
	v_mul_f32_e32 v106, v107, v105
	v_fma_f32 v108, -v97, v106, v107
	s_delay_alu instid0(VALU_DEP_1) | instskip(NEXT) | instid1(VALU_DEP_1)
	v_fmac_f32_e32 v106, v108, v105
	v_fma_f32 v97, -v97, v106, v107
	s_delay_alu instid0(VALU_DEP_1) | instskip(NEXT) | instid1(VALU_DEP_1)
	v_div_fmas_f32 v97, v97, v105, v106
	v_div_fixup_f32 v97, v97, v98, v99
	s_delay_alu instid0(VALU_DEP_1) | instskip(NEXT) | instid1(VALU_DEP_1)
	v_fmac_f32_e32 v98, v99, v97
	v_div_scale_f32 v99, null, v98, v98, 1.0
	s_delay_alu instid0(VALU_DEP_1) | instskip(SKIP_1) | instid1(TRANS32_DEP_1)
	v_rcp_f32_e32 v105, v99
	v_nop
	v_fma_f32 v106, -v99, v105, 1.0
	s_delay_alu instid0(VALU_DEP_1) | instskip(SKIP_1) | instid1(VALU_DEP_1)
	v_fmac_f32_e32 v105, v106, v105
	v_div_scale_f32 v106, vcc_lo, 1.0, v98, 1.0
	v_mul_f32_e32 v107, v106, v105
	s_delay_alu instid0(VALU_DEP_1) | instskip(NEXT) | instid1(VALU_DEP_1)
	v_fma_f32 v108, -v99, v107, v106
	v_fmac_f32_e32 v107, v108, v105
	s_delay_alu instid0(VALU_DEP_1) | instskip(NEXT) | instid1(VALU_DEP_1)
	v_fma_f32 v99, -v99, v107, v106
	v_div_fmas_f32 v99, v99, v105, v107
	s_delay_alu instid0(VALU_DEP_1) | instskip(NEXT) | instid1(VALU_DEP_1)
	v_div_fixup_f32 v98, v99, v98, 1.0
	v_mul_f32_e64 v99, v97, -v98
.LBB88_177:
	s_or_b32 exec_lo, exec_lo, s1
.LBB88_178:
	s_delay_alu instid0(SALU_CYCLE_1) | instskip(NEXT) | instid1(SALU_CYCLE_1)
	s_or_b32 exec_lo, exec_lo, s0
	s_mov_b32 s0, exec_lo
	v_cmpx_ne_u32_e64 v104, v96
	s_xor_b32 s0, exec_lo, s0
	s_cbranch_execz .LBB88_184
; %bb.179:
	s_mov_b32 s1, exec_lo
	v_cmpx_eq_u32_e32 8, v104
	s_cbranch_execz .LBB88_183
; %bb.180:
	v_cmp_ne_u32_e32 vcc_lo, 8, v96
	s_xor_b32 s12, s16, -1
	s_delay_alu instid0(SALU_CYCLE_1) | instskip(NEXT) | instid1(SALU_CYCLE_1)
	s_and_b32 s13, s12, vcc_lo
	s_and_saveexec_b32 s12, s13
	s_cbranch_execz .LBB88_182
; %bb.181:
	v_ashrrev_i32_e32 v97, 31, v96
	s_delay_alu instid0(VALU_DEP_1)
	v_lshl_add_u64 v[104:105], v[96:97], 2, v[4:5]
	s_clause 0x1
	global_load_b32 v97, v[104:105], off
	global_load_b32 v103, v[4:5], off offset:32
	s_wait_loadcnt 0x1
	global_store_b32 v[4:5], v97, off offset:32
	s_wait_loadcnt 0x0
	global_store_b32 v[104:105], v103, off
.LBB88_182:
	s_wait_xcnt 0x0
	s_or_b32 exec_lo, exec_lo, s12
	v_dual_mov_b32 v104, v96 :: v_dual_mov_b32 v103, v96
.LBB88_183:
	s_or_b32 exec_lo, exec_lo, s1
.LBB88_184:
	s_and_not1_saveexec_b32 s0, s0
	s_cbranch_execz .LBB88_186
; %bb.185:
	v_mov_b32_e32 v104, 8
	ds_store_2addr_b64 v100, v[44:45], v[50:51] offset0:9 offset1:10
	ds_store_2addr_b64 v100, v[42:43], v[84:85] offset0:11 offset1:12
	;; [unrolled: 1-line block ×18, first 2 shown]
.LBB88_186:
	s_or_b32 exec_lo, exec_lo, s0
	s_delay_alu instid0(SALU_CYCLE_1)
	s_mov_b32 s0, exec_lo
	s_wait_storecnt_dscnt 0x0
	s_barrier_signal -1
	s_barrier_wait -1
	v_cmpx_lt_i32_e32 8, v104
	s_cbranch_execz .LBB88_188
; %bb.187:
	v_pk_mul_f32 v[106:107], v[98:99], v[52:53] op_sel:[1,1] op_sel_hi:[0,1]
	s_delay_alu instid0(VALU_DEP_1)
	v_pk_fma_f32 v[96:97], v[98:99], v[52:53], v[106:107] op_sel_hi:[1,0,1] neg_lo:[0,0,1] neg_hi:[0,0,1]
	v_pk_fma_f32 v[98:99], v[98:99], v[52:53], v[106:107] op_sel_hi:[1,0,1]
	ds_load_2addr_b64 v[106:109], v100 offset0:9 offset1:10
	v_dual_mov_b32 v52, v96 :: v_dual_mov_b32 v53, v99
	s_wait_dscnt 0x0
	v_pk_mul_f32 v[110:111], v[106:107], v[98:99] op_sel:[0,1]
	s_delay_alu instid0(VALU_DEP_1) | instskip(SKIP_1) | instid1(VALU_DEP_1)
	v_pk_fma_f32 v[112:113], v[106:107], v[96:97], v[110:111] op_sel:[0,0,1] op_sel_hi:[1,1,0] neg_lo:[0,0,1] neg_hi:[0,0,1]
	v_pk_fma_f32 v[106:107], v[106:107], v[96:97], v[110:111] op_sel:[0,0,1] op_sel_hi:[1,0,0]
	v_mov_b32_e32 v113, v107
	v_pk_mul_f32 v[106:107], v[108:109], v[98:99] op_sel:[0,1]
	s_delay_alu instid0(VALU_DEP_1) | instskip(SKIP_1) | instid1(VALU_DEP_1)
	v_pk_fma_f32 v[110:111], v[108:109], v[96:97], v[106:107] op_sel:[0,0,1] op_sel_hi:[1,1,0] neg_lo:[0,0,1] neg_hi:[0,0,1]
	v_pk_fma_f32 v[106:107], v[108:109], v[96:97], v[106:107] op_sel:[0,0,1] op_sel_hi:[1,0,0]
	v_mov_b32_e32 v111, v107
	ds_load_2addr_b64 v[106:109], v100 offset0:11 offset1:12
	v_pk_add_f32 v[44:45], v[44:45], v[112:113] neg_lo:[0,1] neg_hi:[0,1]
	v_pk_add_f32 v[50:51], v[50:51], v[110:111] neg_lo:[0,1] neg_hi:[0,1]
	s_wait_dscnt 0x0
	v_pk_mul_f32 v[110:111], v[106:107], v[98:99] op_sel:[0,1]
	s_delay_alu instid0(VALU_DEP_1) | instskip(SKIP_2) | instid1(VALU_DEP_2)
	v_pk_fma_f32 v[112:113], v[106:107], v[96:97], v[110:111] op_sel:[0,0,1] op_sel_hi:[1,1,0] neg_lo:[0,0,1] neg_hi:[0,0,1]
	v_pk_fma_f32 v[106:107], v[106:107], v[96:97], v[110:111] op_sel:[0,0,1] op_sel_hi:[1,0,0]
	v_dual_mul_f32 v110, v109, v99 :: v_dual_mov_b32 v106, v109
	v_dual_mov_b32 v113, v107 :: v_dual_mov_b32 v107, v108
	s_delay_alu instid0(VALU_DEP_2) | instskip(SKIP_1) | instid1(VALU_DEP_3)
	v_pk_fma_f32 v[110:111], v[108:109], v[52:53], v[110:111] op_sel_hi:[1,1,0] neg_lo:[0,0,1] neg_hi:[0,0,1]
	v_mul_f32_e32 v108, v109, v96
	v_pk_add_f32 v[42:43], v[42:43], v[112:113] neg_lo:[0,1] neg_hi:[0,1]
	s_delay_alu instid0(VALU_DEP_2) | instskip(NEXT) | instid1(VALU_DEP_1)
	v_pk_fma_f32 v[106:107], v[106:107], v[52:53], v[108:109] op_sel_hi:[1,1,0]
	v_mov_b32_e32 v111, v107
	ds_load_2addr_b64 v[106:109], v100 offset0:13 offset1:14
	v_pk_add_f32 v[84:85], v[84:85], v[110:111] neg_lo:[0,1] neg_hi:[0,1]
	s_wait_dscnt 0x0
	v_pk_mul_f32 v[110:111], v[106:107], v[98:99] op_sel:[0,1]
	s_delay_alu instid0(VALU_DEP_1) | instskip(SKIP_1) | instid1(VALU_DEP_1)
	v_pk_fma_f32 v[112:113], v[106:107], v[96:97], v[110:111] op_sel:[0,0,1] op_sel_hi:[1,1,0] neg_lo:[0,0,1] neg_hi:[0,0,1]
	v_pk_fma_f32 v[106:107], v[106:107], v[96:97], v[110:111] op_sel:[0,0,1] op_sel_hi:[1,0,0]
	v_mov_b32_e32 v113, v107
	v_pk_mul_f32 v[106:107], v[108:109], v[98:99] op_sel:[0,1]
	s_delay_alu instid0(VALU_DEP_1) | instskip(SKIP_1) | instid1(VALU_DEP_1)
	v_pk_fma_f32 v[110:111], v[108:109], v[96:97], v[106:107] op_sel:[0,0,1] op_sel_hi:[1,1,0] neg_lo:[0,0,1] neg_hi:[0,0,1]
	v_pk_fma_f32 v[106:107], v[108:109], v[96:97], v[106:107] op_sel:[0,0,1] op_sel_hi:[1,0,0]
	v_mov_b32_e32 v111, v107
	ds_load_2addr_b64 v[106:109], v100 offset0:15 offset1:16
	v_pk_add_f32 v[80:81], v[80:81], v[112:113] neg_lo:[0,1] neg_hi:[0,1]
	v_pk_add_f32 v[82:83], v[82:83], v[110:111] neg_lo:[0,1] neg_hi:[0,1]
	s_wait_dscnt 0x0
	v_pk_mul_f32 v[110:111], v[106:107], v[98:99] op_sel:[0,1]
	s_delay_alu instid0(VALU_DEP_1) | instskip(SKIP_1) | instid1(VALU_DEP_1)
	v_pk_fma_f32 v[112:113], v[106:107], v[96:97], v[110:111] op_sel:[0,0,1] op_sel_hi:[1,1,0] neg_lo:[0,0,1] neg_hi:[0,0,1]
	v_pk_fma_f32 v[106:107], v[106:107], v[96:97], v[110:111] op_sel:[0,0,1] op_sel_hi:[1,0,0]
	v_mov_b32_e32 v113, v107
	v_pk_mul_f32 v[106:107], v[108:109], v[98:99] op_sel:[0,1]
	s_delay_alu instid0(VALU_DEP_1) | instskip(SKIP_1) | instid1(VALU_DEP_1)
	v_pk_fma_f32 v[110:111], v[108:109], v[96:97], v[106:107] op_sel:[0,0,1] op_sel_hi:[1,1,0] neg_lo:[0,0,1] neg_hi:[0,0,1]
	v_pk_fma_f32 v[106:107], v[108:109], v[96:97], v[106:107] op_sel:[0,0,1] op_sel_hi:[1,0,0]
	v_mov_b32_e32 v111, v107
	ds_load_2addr_b64 v[106:109], v100 offset0:17 offset1:18
	v_pk_add_f32 v[78:79], v[78:79], v[112:113] neg_lo:[0,1] neg_hi:[0,1]
	v_pk_add_f32 v[76:77], v[76:77], v[110:111] neg_lo:[0,1] neg_hi:[0,1]
	s_wait_dscnt 0x0
	v_dual_mul_f32 v110, v107, v99 :: v_dual_mul_f32 v112, v107, v96
	s_delay_alu instid0(VALU_DEP_1) | instskip(NEXT) | instid1(VALU_DEP_2)
	v_pk_fma_f32 v[110:111], v[106:107], v[52:53], v[110:111] op_sel_hi:[1,1,0] neg_lo:[0,0,1] neg_hi:[0,0,1]
	v_pk_fma_f32 v[106:107], v[106:107], v[52:53], v[112:113] op_sel:[1,0,0] op_sel_hi:[0,1,0]
	s_delay_alu instid0(VALU_DEP_1) | instskip(SKIP_1) | instid1(VALU_DEP_2)
	v_mov_b32_e32 v111, v107
	v_pk_mul_f32 v[106:107], v[108:109], v[98:99] op_sel:[0,1]
	v_pk_add_f32 v[72:73], v[72:73], v[110:111] neg_lo:[0,1] neg_hi:[0,1]
	s_delay_alu instid0(VALU_DEP_2) | instskip(SKIP_1) | instid1(VALU_DEP_1)
	v_pk_fma_f32 v[110:111], v[108:109], v[96:97], v[106:107] op_sel:[0,0,1] op_sel_hi:[1,1,0] neg_lo:[0,0,1] neg_hi:[0,0,1]
	v_pk_fma_f32 v[106:107], v[108:109], v[96:97], v[106:107] op_sel:[0,0,1] op_sel_hi:[1,0,0]
	v_mov_b32_e32 v111, v107
	ds_load_2addr_b64 v[106:109], v100 offset0:19 offset1:20
	v_pk_add_f32 v[74:75], v[74:75], v[110:111] neg_lo:[0,1] neg_hi:[0,1]
	s_wait_dscnt 0x0
	v_pk_mul_f32 v[110:111], v[106:107], v[98:99] op_sel:[0,1]
	s_delay_alu instid0(VALU_DEP_1) | instskip(SKIP_1) | instid1(VALU_DEP_1)
	v_pk_fma_f32 v[112:113], v[106:107], v[96:97], v[110:111] op_sel:[0,0,1] op_sel_hi:[1,1,0] neg_lo:[0,0,1] neg_hi:[0,0,1]
	v_pk_fma_f32 v[106:107], v[106:107], v[96:97], v[110:111] op_sel:[0,0,1] op_sel_hi:[1,0,0]
	v_mov_b32_e32 v113, v107
	v_pk_mul_f32 v[106:107], v[108:109], v[98:99] op_sel:[0,1]
	s_delay_alu instid0(VALU_DEP_2) | instskip(NEXT) | instid1(VALU_DEP_2)
	v_pk_add_f32 v[70:71], v[70:71], v[112:113] neg_lo:[0,1] neg_hi:[0,1]
	v_pk_fma_f32 v[110:111], v[108:109], v[96:97], v[106:107] op_sel:[0,0,1] op_sel_hi:[1,1,0] neg_lo:[0,0,1] neg_hi:[0,0,1]
	v_pk_fma_f32 v[106:107], v[108:109], v[96:97], v[106:107] op_sel:[0,0,1] op_sel_hi:[1,0,0]
	s_delay_alu instid0(VALU_DEP_1) | instskip(SKIP_4) | instid1(VALU_DEP_1)
	v_mov_b32_e32 v111, v107
	ds_load_2addr_b64 v[106:109], v100 offset0:21 offset1:22
	v_pk_add_f32 v[68:69], v[68:69], v[110:111] neg_lo:[0,1] neg_hi:[0,1]
	s_wait_dscnt 0x0
	v_pk_mul_f32 v[110:111], v[106:107], v[98:99] op_sel:[0,1]
	v_pk_fma_f32 v[112:113], v[106:107], v[96:97], v[110:111] op_sel:[0,0,1] op_sel_hi:[1,1,0] neg_lo:[0,0,1] neg_hi:[0,0,1]
	v_pk_fma_f32 v[106:107], v[106:107], v[96:97], v[110:111] op_sel:[0,0,1] op_sel_hi:[1,0,0]
	v_dual_mul_f32 v110, v109, v99 :: v_dual_mov_b32 v106, v109
	s_delay_alu instid0(VALU_DEP_2) | instskip(NEXT) | instid1(VALU_DEP_2)
	v_dual_mov_b32 v113, v107 :: v_dual_mov_b32 v107, v108
	v_pk_fma_f32 v[110:111], v[108:109], v[52:53], v[110:111] op_sel_hi:[1,1,0] neg_lo:[0,0,1] neg_hi:[0,0,1]
	v_mul_f32_e32 v108, v109, v96
	s_delay_alu instid0(VALU_DEP_3) | instskip(NEXT) | instid1(VALU_DEP_2)
	v_pk_add_f32 v[64:65], v[64:65], v[112:113] neg_lo:[0,1] neg_hi:[0,1]
	v_pk_fma_f32 v[106:107], v[106:107], v[52:53], v[108:109] op_sel_hi:[1,1,0]
	s_delay_alu instid0(VALU_DEP_1) | instskip(SKIP_4) | instid1(VALU_DEP_1)
	v_mov_b32_e32 v111, v107
	ds_load_2addr_b64 v[106:109], v100 offset0:23 offset1:24
	v_pk_add_f32 v[66:67], v[66:67], v[110:111] neg_lo:[0,1] neg_hi:[0,1]
	s_wait_dscnt 0x0
	v_pk_mul_f32 v[110:111], v[106:107], v[98:99] op_sel:[0,1]
	v_pk_fma_f32 v[112:113], v[106:107], v[96:97], v[110:111] op_sel:[0,0,1] op_sel_hi:[1,1,0] neg_lo:[0,0,1] neg_hi:[0,0,1]
	v_pk_fma_f32 v[106:107], v[106:107], v[96:97], v[110:111] op_sel:[0,0,1] op_sel_hi:[1,0,0]
	s_delay_alu instid0(VALU_DEP_1) | instskip(SKIP_1) | instid1(VALU_DEP_1)
	v_mov_b32_e32 v113, v107
	v_pk_mul_f32 v[106:107], v[108:109], v[98:99] op_sel:[0,1]
	v_pk_fma_f32 v[110:111], v[108:109], v[96:97], v[106:107] op_sel:[0,0,1] op_sel_hi:[1,1,0] neg_lo:[0,0,1] neg_hi:[0,0,1]
	v_pk_fma_f32 v[106:107], v[108:109], v[96:97], v[106:107] op_sel:[0,0,1] op_sel_hi:[1,0,0]
	s_delay_alu instid0(VALU_DEP_1)
	v_mov_b32_e32 v111, v107
	ds_load_2addr_b64 v[106:109], v100 offset0:25 offset1:26
	v_pk_add_f32 v[62:63], v[62:63], v[112:113] neg_lo:[0,1] neg_hi:[0,1]
	v_pk_add_f32 v[60:61], v[60:61], v[110:111] neg_lo:[0,1] neg_hi:[0,1]
	s_wait_dscnt 0x0
	v_pk_mul_f32 v[110:111], v[106:107], v[98:99] op_sel:[0,1]
	s_delay_alu instid0(VALU_DEP_1) | instskip(SKIP_1) | instid1(VALU_DEP_1)
	v_pk_fma_f32 v[112:113], v[106:107], v[96:97], v[110:111] op_sel:[0,0,1] op_sel_hi:[1,1,0] neg_lo:[0,0,1] neg_hi:[0,0,1]
	v_pk_fma_f32 v[106:107], v[106:107], v[96:97], v[110:111] op_sel:[0,0,1] op_sel_hi:[1,0,0]
	v_mov_b32_e32 v113, v107
	v_pk_mul_f32 v[106:107], v[108:109], v[98:99] op_sel:[0,1]
	s_delay_alu instid0(VALU_DEP_1) | instskip(SKIP_1) | instid1(VALU_DEP_1)
	v_pk_fma_f32 v[110:111], v[108:109], v[96:97], v[106:107] op_sel:[0,0,1] op_sel_hi:[1,1,0] neg_lo:[0,0,1] neg_hi:[0,0,1]
	v_pk_fma_f32 v[106:107], v[108:109], v[96:97], v[106:107] op_sel:[0,0,1] op_sel_hi:[1,0,0]
	v_mov_b32_e32 v111, v107
	ds_load_2addr_b64 v[106:109], v100 offset0:27 offset1:28
	v_pk_add_f32 v[56:57], v[56:57], v[112:113] neg_lo:[0,1] neg_hi:[0,1]
	v_pk_add_f32 v[58:59], v[58:59], v[110:111] neg_lo:[0,1] neg_hi:[0,1]
	s_wait_dscnt 0x0
	v_dual_mul_f32 v110, v107, v99 :: v_dual_mul_f32 v112, v107, v96
	s_delay_alu instid0(VALU_DEP_1) | instskip(NEXT) | instid1(VALU_DEP_2)
	v_pk_fma_f32 v[110:111], v[106:107], v[52:53], v[110:111] op_sel_hi:[1,1,0] neg_lo:[0,0,1] neg_hi:[0,0,1]
	v_pk_fma_f32 v[106:107], v[106:107], v[52:53], v[112:113] op_sel:[1,0,0] op_sel_hi:[0,1,0]
	s_delay_alu instid0(VALU_DEP_1) | instskip(SKIP_1) | instid1(VALU_DEP_2)
	v_mov_b32_e32 v111, v107
	v_pk_mul_f32 v[106:107], v[108:109], v[98:99] op_sel:[0,1]
	v_pk_add_f32 v[54:55], v[54:55], v[110:111] neg_lo:[0,1] neg_hi:[0,1]
	s_delay_alu instid0(VALU_DEP_2) | instskip(SKIP_1) | instid1(VALU_DEP_1)
	v_pk_fma_f32 v[110:111], v[108:109], v[96:97], v[106:107] op_sel:[0,0,1] op_sel_hi:[1,1,0] neg_lo:[0,0,1] neg_hi:[0,0,1]
	v_pk_fma_f32 v[106:107], v[108:109], v[96:97], v[106:107] op_sel:[0,0,1] op_sel_hi:[1,0,0]
	v_mov_b32_e32 v111, v107
	ds_load_2addr_b64 v[106:109], v100 offset0:29 offset1:30
	v_pk_add_f32 v[48:49], v[48:49], v[110:111] neg_lo:[0,1] neg_hi:[0,1]
	s_wait_dscnt 0x0
	v_pk_mul_f32 v[110:111], v[106:107], v[98:99] op_sel:[0,1]
	s_delay_alu instid0(VALU_DEP_1) | instskip(SKIP_1) | instid1(VALU_DEP_1)
	v_pk_fma_f32 v[112:113], v[106:107], v[96:97], v[110:111] op_sel:[0,0,1] op_sel_hi:[1,1,0] neg_lo:[0,0,1] neg_hi:[0,0,1]
	v_pk_fma_f32 v[106:107], v[106:107], v[96:97], v[110:111] op_sel:[0,0,1] op_sel_hi:[1,0,0]
	v_mov_b32_e32 v113, v107
	v_pk_mul_f32 v[106:107], v[108:109], v[98:99] op_sel:[0,1]
	s_delay_alu instid0(VALU_DEP_2) | instskip(NEXT) | instid1(VALU_DEP_2)
	v_pk_add_f32 v[40:41], v[40:41], v[112:113] neg_lo:[0,1] neg_hi:[0,1]
	v_pk_fma_f32 v[110:111], v[108:109], v[96:97], v[106:107] op_sel:[0,0,1] op_sel_hi:[1,1,0] neg_lo:[0,0,1] neg_hi:[0,0,1]
	v_pk_fma_f32 v[106:107], v[108:109], v[96:97], v[106:107] op_sel:[0,0,1] op_sel_hi:[1,0,0]
	s_delay_alu instid0(VALU_DEP_1) | instskip(SKIP_4) | instid1(VALU_DEP_1)
	v_mov_b32_e32 v111, v107
	ds_load_2addr_b64 v[106:109], v100 offset0:31 offset1:32
	v_pk_add_f32 v[46:47], v[46:47], v[110:111] neg_lo:[0,1] neg_hi:[0,1]
	s_wait_dscnt 0x0
	v_pk_mul_f32 v[110:111], v[106:107], v[98:99] op_sel:[0,1]
	v_pk_fma_f32 v[112:113], v[106:107], v[96:97], v[110:111] op_sel:[0,0,1] op_sel_hi:[1,1,0] neg_lo:[0,0,1] neg_hi:[0,0,1]
	v_pk_fma_f32 v[106:107], v[106:107], v[96:97], v[110:111] op_sel:[0,0,1] op_sel_hi:[1,0,0]
	v_dual_mul_f32 v110, v109, v99 :: v_dual_mov_b32 v106, v109
	s_delay_alu instid0(VALU_DEP_2) | instskip(NEXT) | instid1(VALU_DEP_2)
	v_dual_mov_b32 v113, v107 :: v_dual_mov_b32 v107, v108
	v_pk_fma_f32 v[110:111], v[108:109], v[52:53], v[110:111] op_sel_hi:[1,1,0] neg_lo:[0,0,1] neg_hi:[0,0,1]
	v_mul_f32_e32 v108, v109, v96
	s_delay_alu instid0(VALU_DEP_3) | instskip(NEXT) | instid1(VALU_DEP_2)
	v_pk_add_f32 v[38:39], v[38:39], v[112:113] neg_lo:[0,1] neg_hi:[0,1]
	v_pk_fma_f32 v[106:107], v[106:107], v[52:53], v[108:109] op_sel_hi:[1,1,0]
	s_delay_alu instid0(VALU_DEP_1) | instskip(SKIP_4) | instid1(VALU_DEP_1)
	v_mov_b32_e32 v111, v107
	ds_load_2addr_b64 v[106:109], v100 offset0:33 offset1:34
	v_pk_add_f32 v[30:31], v[30:31], v[110:111] neg_lo:[0,1] neg_hi:[0,1]
	s_wait_dscnt 0x0
	v_pk_mul_f32 v[110:111], v[106:107], v[98:99] op_sel:[0,1]
	v_pk_fma_f32 v[112:113], v[106:107], v[96:97], v[110:111] op_sel:[0,0,1] op_sel_hi:[1,1,0] neg_lo:[0,0,1] neg_hi:[0,0,1]
	v_pk_fma_f32 v[106:107], v[106:107], v[96:97], v[110:111] op_sel:[0,0,1] op_sel_hi:[1,0,0]
	s_delay_alu instid0(VALU_DEP_1) | instskip(SKIP_1) | instid1(VALU_DEP_1)
	v_mov_b32_e32 v113, v107
	v_pk_mul_f32 v[106:107], v[108:109], v[98:99] op_sel:[0,1]
	v_pk_fma_f32 v[110:111], v[108:109], v[96:97], v[106:107] op_sel:[0,0,1] op_sel_hi:[1,1,0] neg_lo:[0,0,1] neg_hi:[0,0,1]
	v_pk_fma_f32 v[106:107], v[108:109], v[96:97], v[106:107] op_sel:[0,0,1] op_sel_hi:[1,0,0]
	s_delay_alu instid0(VALU_DEP_1)
	v_mov_b32_e32 v111, v107
	ds_load_2addr_b64 v[106:109], v100 offset0:35 offset1:36
	v_pk_add_f32 v[22:23], v[22:23], v[112:113] neg_lo:[0,1] neg_hi:[0,1]
	v_pk_add_f32 v[28:29], v[28:29], v[110:111] neg_lo:[0,1] neg_hi:[0,1]
	s_wait_dscnt 0x0
	v_pk_mul_f32 v[110:111], v[106:107], v[98:99] op_sel:[0,1]
	s_delay_alu instid0(VALU_DEP_1) | instskip(SKIP_1) | instid1(VALU_DEP_1)
	v_pk_fma_f32 v[112:113], v[106:107], v[96:97], v[110:111] op_sel:[0,0,1] op_sel_hi:[1,1,0] neg_lo:[0,0,1] neg_hi:[0,0,1]
	v_pk_fma_f32 v[106:107], v[106:107], v[96:97], v[110:111] op_sel:[0,0,1] op_sel_hi:[1,0,0]
	v_mov_b32_e32 v113, v107
	v_pk_mul_f32 v[106:107], v[108:109], v[98:99] op_sel:[0,1]
	s_delay_alu instid0(VALU_DEP_1) | instskip(SKIP_1) | instid1(VALU_DEP_1)
	v_pk_fma_f32 v[110:111], v[108:109], v[96:97], v[106:107] op_sel:[0,0,1] op_sel_hi:[1,1,0] neg_lo:[0,0,1] neg_hi:[0,0,1]
	v_pk_fma_f32 v[106:107], v[108:109], v[96:97], v[106:107] op_sel:[0,0,1] op_sel_hi:[1,0,0]
	v_mov_b32_e32 v111, v107
	ds_load_2addr_b64 v[106:109], v100 offset0:37 offset1:38
	v_pk_add_f32 v[20:21], v[20:21], v[112:113] neg_lo:[0,1] neg_hi:[0,1]
	v_pk_add_f32 v[14:15], v[14:15], v[110:111] neg_lo:[0,1] neg_hi:[0,1]
	s_wait_dscnt 0x0
	v_dual_mul_f32 v110, v107, v99 :: v_dual_mul_f32 v112, v107, v96
	s_delay_alu instid0(VALU_DEP_1) | instskip(NEXT) | instid1(VALU_DEP_2)
	v_pk_fma_f32 v[110:111], v[106:107], v[52:53], v[110:111] op_sel_hi:[1,1,0] neg_lo:[0,0,1] neg_hi:[0,0,1]
	v_pk_fma_f32 v[106:107], v[106:107], v[52:53], v[112:113] op_sel:[1,0,0] op_sel_hi:[0,1,0]
	s_delay_alu instid0(VALU_DEP_1) | instskip(SKIP_1) | instid1(VALU_DEP_2)
	v_mov_b32_e32 v111, v107
	v_pk_mul_f32 v[106:107], v[108:109], v[98:99] op_sel:[0,1]
	v_pk_add_f32 v[10:11], v[10:11], v[110:111] neg_lo:[0,1] neg_hi:[0,1]
	s_delay_alu instid0(VALU_DEP_2) | instskip(SKIP_1) | instid1(VALU_DEP_1)
	v_pk_fma_f32 v[110:111], v[108:109], v[96:97], v[106:107] op_sel:[0,0,1] op_sel_hi:[1,1,0] neg_lo:[0,0,1] neg_hi:[0,0,1]
	v_pk_fma_f32 v[106:107], v[108:109], v[96:97], v[106:107] op_sel:[0,0,1] op_sel_hi:[1,0,0]
	v_mov_b32_e32 v111, v107
	ds_load_2addr_b64 v[106:109], v100 offset0:39 offset1:40
	v_pk_add_f32 v[12:13], v[12:13], v[110:111] neg_lo:[0,1] neg_hi:[0,1]
	s_wait_dscnt 0x0
	v_pk_mul_f32 v[110:111], v[106:107], v[98:99] op_sel:[0,1]
	s_delay_alu instid0(VALU_DEP_1) | instskip(SKIP_1) | instid1(VALU_DEP_1)
	v_pk_fma_f32 v[112:113], v[106:107], v[96:97], v[110:111] op_sel:[0,0,1] op_sel_hi:[1,1,0] neg_lo:[0,0,1] neg_hi:[0,0,1]
	v_pk_fma_f32 v[106:107], v[106:107], v[96:97], v[110:111] op_sel:[0,0,1] op_sel_hi:[1,0,0]
	v_mov_b32_e32 v113, v107
	v_pk_mul_f32 v[106:107], v[108:109], v[98:99] op_sel:[0,1]
	s_delay_alu instid0(VALU_DEP_2) | instskip(NEXT) | instid1(VALU_DEP_2)
	v_pk_add_f32 v[8:9], v[8:9], v[112:113] neg_lo:[0,1] neg_hi:[0,1]
	v_pk_fma_f32 v[110:111], v[108:109], v[96:97], v[106:107] op_sel:[0,0,1] op_sel_hi:[1,1,0] neg_lo:[0,0,1] neg_hi:[0,0,1]
	v_pk_fma_f32 v[106:107], v[108:109], v[96:97], v[106:107] op_sel:[0,0,1] op_sel_hi:[1,0,0]
	s_delay_alu instid0(VALU_DEP_1) | instskip(SKIP_4) | instid1(VALU_DEP_1)
	v_mov_b32_e32 v111, v107
	ds_load_2addr_b64 v[106:109], v100 offset0:41 offset1:42
	v_pk_add_f32 v[6:7], v[6:7], v[110:111] neg_lo:[0,1] neg_hi:[0,1]
	s_wait_dscnt 0x0
	v_pk_mul_f32 v[110:111], v[106:107], v[98:99] op_sel:[0,1]
	v_pk_fma_f32 v[112:113], v[106:107], v[96:97], v[110:111] op_sel:[0,0,1] op_sel_hi:[1,1,0] neg_lo:[0,0,1] neg_hi:[0,0,1]
	v_pk_fma_f32 v[106:107], v[106:107], v[96:97], v[110:111] op_sel:[0,0,1] op_sel_hi:[1,0,0]
	v_dual_mul_f32 v110, v109, v99 :: v_dual_mov_b32 v106, v109
	s_delay_alu instid0(VALU_DEP_2) | instskip(NEXT) | instid1(VALU_DEP_2)
	v_dual_mov_b32 v113, v107 :: v_dual_mov_b32 v107, v108
	v_pk_fma_f32 v[110:111], v[108:109], v[52:53], v[110:111] op_sel_hi:[1,1,0] neg_lo:[0,0,1] neg_hi:[0,0,1]
	v_mul_f32_e32 v108, v109, v96
	s_delay_alu instid0(VALU_DEP_3) | instskip(NEXT) | instid1(VALU_DEP_2)
	v_pk_add_f32 v[36:37], v[36:37], v[112:113] neg_lo:[0,1] neg_hi:[0,1]
	v_pk_fma_f32 v[106:107], v[106:107], v[52:53], v[108:109] op_sel_hi:[1,1,0]
	s_delay_alu instid0(VALU_DEP_1)
	v_mov_b32_e32 v111, v107
	ds_load_2addr_b64 v[106:109], v100 offset0:43 offset1:44
	v_pk_add_f32 v[18:19], v[18:19], v[110:111] neg_lo:[0,1] neg_hi:[0,1]
	s_wait_dscnt 0x0
	v_pk_mul_f32 v[110:111], v[106:107], v[98:99] op_sel:[0,1]
	v_mul_f32_e32 v98, v109, v99
	s_delay_alu instid0(VALU_DEP_2) | instskip(SKIP_2) | instid1(VALU_DEP_4)
	v_pk_fma_f32 v[112:113], v[106:107], v[96:97], v[110:111] op_sel:[0,0,1] op_sel_hi:[1,1,0] neg_lo:[0,0,1] neg_hi:[0,0,1]
	v_pk_fma_f32 v[106:107], v[106:107], v[96:97], v[110:111] op_sel:[0,0,1] op_sel_hi:[1,0,0]
	v_dual_mov_b32 v106, v109 :: v_dual_mul_f32 v96, v109, v96
	v_pk_fma_f32 v[98:99], v[108:109], v[52:53], v[98:99] op_sel_hi:[1,1,0] neg_lo:[0,0,1] neg_hi:[0,0,1]
	s_delay_alu instid0(VALU_DEP_3) | instskip(NEXT) | instid1(VALU_DEP_1)
	v_dual_mov_b32 v113, v107 :: v_dual_mov_b32 v107, v108
	v_pk_add_f32 v[16:17], v[16:17], v[112:113] neg_lo:[0,1] neg_hi:[0,1]
	s_delay_alu instid0(VALU_DEP_2) | instskip(NEXT) | instid1(VALU_DEP_1)
	v_pk_fma_f32 v[96:97], v[106:107], v[52:53], v[96:97] op_sel_hi:[1,1,0]
	v_mov_b32_e32 v99, v97
	s_delay_alu instid0(VALU_DEP_1)
	v_pk_add_f32 v[94:95], v[94:95], v[98:99] neg_lo:[0,1] neg_hi:[0,1]
.LBB88_188:
	s_or_b32 exec_lo, exec_lo, s0
	v_lshl_add_u32 v96, v104, 3, v100
	s_barrier_signal -1
	s_barrier_wait -1
	ds_store_b64 v96, v[44:45]
	s_wait_dscnt 0x0
	s_barrier_signal -1
	s_barrier_wait -1
	ds_load_b64 v[98:99], v100 offset:72
	v_mov_b32_e32 v96, 9
	s_cmp_lt_i32 s18, 11
	s_cbranch_scc1 .LBB88_191
; %bb.189:
	v_add3_u32 v97, v101, 0, 0x50
	v_mov_b32_e32 v96, 9
	s_mov_b32 s0, 10
.LBB88_190:                             ; =>This Inner Loop Header: Depth=1
	ds_load_b64 v[106:107], v97
	s_wait_dscnt 0x1
	v_cmp_gt_f32_e32 vcc_lo, 0, v98
	v_cndmask_b32_e64 v108, v98, -v98, vcc_lo
	v_cmp_gt_f32_e32 vcc_lo, 0, v99
	v_cndmask_b32_e64 v110, v99, -v99, vcc_lo
	s_wait_dscnt 0x0
	v_cmp_gt_f32_e32 vcc_lo, 0, v106
	v_cndmask_b32_e64 v109, v106, -v106, vcc_lo
	v_cmp_gt_f32_e32 vcc_lo, 0, v107
	v_cndmask_b32_e64 v111, v107, -v107, vcc_lo
	s_delay_alu instid0(VALU_DEP_1) | instskip(NEXT) | instid1(VALU_DEP_1)
	v_pk_add_f32 v[108:109], v[108:109], v[110:111]
	v_cmp_lt_f32_e32 vcc_lo, v108, v109
	v_dual_add_nc_u32 v97, 8, v97 :: v_dual_cndmask_b32 v99, v99, v107, vcc_lo
	v_cndmask_b32_e32 v98, v98, v106, vcc_lo
	v_cndmask_b32_e64 v96, v96, s0, vcc_lo
	s_add_co_i32 s0, s0, 1
	s_delay_alu instid0(SALU_CYCLE_1)
	s_cmp_lg_u32 s18, s0
	s_cbranch_scc1 .LBB88_190
.LBB88_191:
	s_wait_dscnt 0x0
	v_cmp_eq_f32_e32 vcc_lo, 0, v98
	v_cmp_eq_f32_e64 s0, 0, v99
	s_and_b32 s0, vcc_lo, s0
	s_delay_alu instid0(SALU_CYCLE_1) | instskip(NEXT) | instid1(SALU_CYCLE_1)
	s_and_saveexec_b32 s1, s0
	s_xor_b32 s0, exec_lo, s1
; %bb.192:
	v_cmp_ne_u32_e32 vcc_lo, 0, v102
	v_cndmask_b32_e32 v102, 10, v102, vcc_lo
; %bb.193:
	s_and_not1_saveexec_b32 s0, s0
	s_cbranch_execz .LBB88_199
; %bb.194:
	v_cmp_ngt_f32_e64 s1, |v98|, |v99|
	s_and_saveexec_b32 s12, s1
	s_delay_alu instid0(SALU_CYCLE_1)
	s_xor_b32 s1, exec_lo, s12
	s_cbranch_execz .LBB88_196
; %bb.195:
	v_div_scale_f32 v97, null, v99, v99, v98
	v_div_scale_f32 v107, vcc_lo, v98, v99, v98
	s_delay_alu instid0(VALU_DEP_2) | instskip(SKIP_1) | instid1(TRANS32_DEP_1)
	v_rcp_f32_e32 v105, v97
	v_nop
	v_fma_f32 v106, -v97, v105, 1.0
	s_delay_alu instid0(VALU_DEP_1) | instskip(NEXT) | instid1(VALU_DEP_1)
	v_fmac_f32_e32 v105, v106, v105
	v_mul_f32_e32 v106, v107, v105
	s_delay_alu instid0(VALU_DEP_1) | instskip(NEXT) | instid1(VALU_DEP_1)
	v_fma_f32 v108, -v97, v106, v107
	v_fmac_f32_e32 v106, v108, v105
	s_delay_alu instid0(VALU_DEP_1) | instskip(NEXT) | instid1(VALU_DEP_1)
	v_fma_f32 v97, -v97, v106, v107
	v_div_fmas_f32 v97, v97, v105, v106
	s_delay_alu instid0(VALU_DEP_1) | instskip(NEXT) | instid1(VALU_DEP_1)
	v_div_fixup_f32 v97, v97, v99, v98
	v_fmac_f32_e32 v99, v98, v97
	s_delay_alu instid0(VALU_DEP_1) | instskip(SKIP_1) | instid1(VALU_DEP_2)
	v_div_scale_f32 v98, null, v99, v99, 1.0
	v_div_scale_f32 v107, vcc_lo, 1.0, v99, 1.0
	v_rcp_f32_e32 v105, v98
	v_nop
	s_delay_alu instid0(TRANS32_DEP_1) | instskip(NEXT) | instid1(VALU_DEP_1)
	v_fma_f32 v106, -v98, v105, 1.0
	v_fmac_f32_e32 v105, v106, v105
	s_delay_alu instid0(VALU_DEP_1) | instskip(NEXT) | instid1(VALU_DEP_1)
	v_mul_f32_e32 v106, v107, v105
	v_fma_f32 v108, -v98, v106, v107
	s_delay_alu instid0(VALU_DEP_1) | instskip(NEXT) | instid1(VALU_DEP_1)
	v_fmac_f32_e32 v106, v108, v105
	v_fma_f32 v98, -v98, v106, v107
	s_delay_alu instid0(VALU_DEP_1) | instskip(NEXT) | instid1(VALU_DEP_1)
	v_div_fmas_f32 v98, v98, v105, v106
	v_div_fixup_f32 v99, v98, v99, 1.0
	s_delay_alu instid0(VALU_DEP_1)
	v_mul_f32_e32 v98, v97, v99
	v_xor_b32_e32 v99, 0x80000000, v99
.LBB88_196:
	s_and_not1_saveexec_b32 s1, s1
	s_cbranch_execz .LBB88_198
; %bb.197:
	s_delay_alu instid0(VALU_DEP_1) | instskip(SKIP_1) | instid1(VALU_DEP_2)
	v_div_scale_f32 v97, null, v98, v98, v99
	v_div_scale_f32 v107, vcc_lo, v99, v98, v99
	v_rcp_f32_e32 v105, v97
	v_nop
	s_delay_alu instid0(TRANS32_DEP_1) | instskip(NEXT) | instid1(VALU_DEP_1)
	v_fma_f32 v106, -v97, v105, 1.0
	v_fmac_f32_e32 v105, v106, v105
	s_delay_alu instid0(VALU_DEP_1) | instskip(NEXT) | instid1(VALU_DEP_1)
	v_mul_f32_e32 v106, v107, v105
	v_fma_f32 v108, -v97, v106, v107
	s_delay_alu instid0(VALU_DEP_1) | instskip(NEXT) | instid1(VALU_DEP_1)
	v_fmac_f32_e32 v106, v108, v105
	v_fma_f32 v97, -v97, v106, v107
	s_delay_alu instid0(VALU_DEP_1) | instskip(NEXT) | instid1(VALU_DEP_1)
	v_div_fmas_f32 v97, v97, v105, v106
	v_div_fixup_f32 v97, v97, v98, v99
	s_delay_alu instid0(VALU_DEP_1) | instskip(NEXT) | instid1(VALU_DEP_1)
	v_fmac_f32_e32 v98, v99, v97
	v_div_scale_f32 v99, null, v98, v98, 1.0
	s_delay_alu instid0(VALU_DEP_1) | instskip(SKIP_1) | instid1(TRANS32_DEP_1)
	v_rcp_f32_e32 v105, v99
	v_nop
	v_fma_f32 v106, -v99, v105, 1.0
	s_delay_alu instid0(VALU_DEP_1) | instskip(SKIP_1) | instid1(VALU_DEP_1)
	v_fmac_f32_e32 v105, v106, v105
	v_div_scale_f32 v106, vcc_lo, 1.0, v98, 1.0
	v_mul_f32_e32 v107, v106, v105
	s_delay_alu instid0(VALU_DEP_1) | instskip(NEXT) | instid1(VALU_DEP_1)
	v_fma_f32 v108, -v99, v107, v106
	v_fmac_f32_e32 v107, v108, v105
	s_delay_alu instid0(VALU_DEP_1) | instskip(NEXT) | instid1(VALU_DEP_1)
	v_fma_f32 v99, -v99, v107, v106
	v_div_fmas_f32 v99, v99, v105, v107
	s_delay_alu instid0(VALU_DEP_1) | instskip(NEXT) | instid1(VALU_DEP_1)
	v_div_fixup_f32 v98, v99, v98, 1.0
	v_mul_f32_e64 v99, v97, -v98
.LBB88_198:
	s_or_b32 exec_lo, exec_lo, s1
.LBB88_199:
	s_delay_alu instid0(SALU_CYCLE_1) | instskip(NEXT) | instid1(SALU_CYCLE_1)
	s_or_b32 exec_lo, exec_lo, s0
	s_mov_b32 s0, exec_lo
	v_cmpx_ne_u32_e64 v104, v96
	s_xor_b32 s0, exec_lo, s0
	s_cbranch_execz .LBB88_205
; %bb.200:
	s_mov_b32 s1, exec_lo
	v_cmpx_eq_u32_e32 9, v104
	s_cbranch_execz .LBB88_204
; %bb.201:
	v_cmp_ne_u32_e32 vcc_lo, 9, v96
	s_xor_b32 s12, s16, -1
	s_delay_alu instid0(SALU_CYCLE_1) | instskip(NEXT) | instid1(SALU_CYCLE_1)
	s_and_b32 s13, s12, vcc_lo
	s_and_saveexec_b32 s12, s13
	s_cbranch_execz .LBB88_203
; %bb.202:
	v_ashrrev_i32_e32 v97, 31, v96
	s_delay_alu instid0(VALU_DEP_1)
	v_lshl_add_u64 v[104:105], v[96:97], 2, v[4:5]
	s_clause 0x1
	global_load_b32 v97, v[104:105], off
	global_load_b32 v103, v[4:5], off offset:36
	s_wait_loadcnt 0x1
	global_store_b32 v[4:5], v97, off offset:36
	s_wait_loadcnt 0x0
	global_store_b32 v[104:105], v103, off
.LBB88_203:
	s_wait_xcnt 0x0
	s_or_b32 exec_lo, exec_lo, s12
	v_dual_mov_b32 v104, v96 :: v_dual_mov_b32 v103, v96
.LBB88_204:
	s_or_b32 exec_lo, exec_lo, s1
.LBB88_205:
	s_and_not1_saveexec_b32 s0, s0
	s_cbranch_execz .LBB88_207
; %bb.206:
	v_dual_mov_b32 v96, v50 :: v_dual_mov_b32 v97, v51
	v_dual_mov_b32 v104, v42 :: v_dual_mov_b32 v105, v43
	;; [unrolled: 1-line block ×12, first 2 shown]
	ds_store_2addr_b64 v100, v[96:97], v[104:105] offset0:10 offset1:11
	ds_store_2addr_b64 v100, v[106:107], v[108:109] offset0:12 offset1:13
	;; [unrolled: 1-line block ×6, first 2 shown]
	v_dual_mov_b32 v96, v66 :: v_dual_mov_b32 v97, v67
	v_dual_mov_b32 v104, v62 :: v_dual_mov_b32 v105, v63
	;; [unrolled: 1-line block ×12, first 2 shown]
	ds_store_2addr_b64 v100, v[96:97], v[104:105] offset0:22 offset1:23
	ds_store_2addr_b64 v100, v[106:107], v[108:109] offset0:24 offset1:25
	;; [unrolled: 1-line block ×6, first 2 shown]
	v_dual_mov_b32 v96, v28 :: v_dual_mov_b32 v97, v29
	v_dual_mov_b32 v104, v20 :: v_dual_mov_b32 v105, v21
	;; [unrolled: 1-line block ×6, first 2 shown]
	ds_store_2addr_b64 v100, v[96:97], v[104:105] offset0:34 offset1:35
	ds_store_2addr_b64 v100, v[106:107], v[108:109] offset0:36 offset1:37
	v_dual_mov_b32 v104, 9 :: v_dual_mov_b32 v114, v6
	v_dual_mov_b32 v115, v7 :: v_dual_mov_b32 v116, v36
	;; [unrolled: 1-line block ×4, first 2 shown]
	v_mov_b32_e32 v121, v17
	ds_store_2addr_b64 v100, v[110:111], v[112:113] offset0:38 offset1:39
	ds_store_2addr_b64 v100, v[114:115], v[116:117] offset0:40 offset1:41
	;; [unrolled: 1-line block ×3, first 2 shown]
	ds_store_b64 v100, v[94:95] offset:352
.LBB88_207:
	s_or_b32 exec_lo, exec_lo, s0
	s_delay_alu instid0(SALU_CYCLE_1)
	s_mov_b32 s0, exec_lo
	s_wait_storecnt_dscnt 0x0
	s_barrier_signal -1
	s_barrier_wait -1
	v_cmpx_lt_i32_e32 9, v104
	s_cbranch_execz .LBB88_209
; %bb.208:
	v_pk_mul_f32 v[106:107], v[98:99], v[44:45] op_sel:[1,1] op_sel_hi:[0,1]
	s_delay_alu instid0(VALU_DEP_1)
	v_pk_fma_f32 v[96:97], v[98:99], v[44:45], v[106:107] op_sel_hi:[1,0,1] neg_lo:[0,0,1] neg_hi:[0,0,1]
	v_pk_fma_f32 v[98:99], v[98:99], v[44:45], v[106:107] op_sel_hi:[1,0,1]
	ds_load_2addr_b64 v[106:109], v100 offset0:10 offset1:11
	v_dual_mov_b32 v44, v96 :: v_dual_mov_b32 v45, v99
	s_wait_dscnt 0x0
	v_pk_mul_f32 v[110:111], v[106:107], v[98:99] op_sel:[0,1]
	s_delay_alu instid0(VALU_DEP_1) | instskip(SKIP_1) | instid1(VALU_DEP_1)
	v_pk_fma_f32 v[112:113], v[106:107], v[96:97], v[110:111] op_sel:[0,0,1] op_sel_hi:[1,1,0] neg_lo:[0,0,1] neg_hi:[0,0,1]
	v_pk_fma_f32 v[106:107], v[106:107], v[96:97], v[110:111] op_sel:[0,0,1] op_sel_hi:[1,0,0]
	v_mov_b32_e32 v113, v107
	v_pk_mul_f32 v[106:107], v[108:109], v[98:99] op_sel:[0,1]
	s_delay_alu instid0(VALU_DEP_1) | instskip(SKIP_1) | instid1(VALU_DEP_1)
	v_pk_fma_f32 v[110:111], v[108:109], v[96:97], v[106:107] op_sel:[0,0,1] op_sel_hi:[1,1,0] neg_lo:[0,0,1] neg_hi:[0,0,1]
	v_pk_fma_f32 v[106:107], v[108:109], v[96:97], v[106:107] op_sel:[0,0,1] op_sel_hi:[1,0,0]
	v_mov_b32_e32 v111, v107
	ds_load_2addr_b64 v[106:109], v100 offset0:12 offset1:13
	v_pk_add_f32 v[50:51], v[50:51], v[112:113] neg_lo:[0,1] neg_hi:[0,1]
	v_pk_add_f32 v[42:43], v[42:43], v[110:111] neg_lo:[0,1] neg_hi:[0,1]
	s_wait_dscnt 0x0
	v_pk_mul_f32 v[110:111], v[106:107], v[98:99] op_sel:[0,1]
	s_delay_alu instid0(VALU_DEP_1) | instskip(SKIP_2) | instid1(VALU_DEP_2)
	v_pk_fma_f32 v[112:113], v[106:107], v[96:97], v[110:111] op_sel:[0,0,1] op_sel_hi:[1,1,0] neg_lo:[0,0,1] neg_hi:[0,0,1]
	v_pk_fma_f32 v[106:107], v[106:107], v[96:97], v[110:111] op_sel:[0,0,1] op_sel_hi:[1,0,0]
	v_dual_mul_f32 v110, v109, v99 :: v_dual_mov_b32 v106, v109
	v_dual_mov_b32 v113, v107 :: v_dual_mov_b32 v107, v108
	s_delay_alu instid0(VALU_DEP_2) | instskip(SKIP_1) | instid1(VALU_DEP_3)
	v_pk_fma_f32 v[110:111], v[108:109], v[44:45], v[110:111] op_sel_hi:[1,1,0] neg_lo:[0,0,1] neg_hi:[0,0,1]
	v_mul_f32_e32 v108, v109, v96
	v_pk_add_f32 v[84:85], v[84:85], v[112:113] neg_lo:[0,1] neg_hi:[0,1]
	s_delay_alu instid0(VALU_DEP_2) | instskip(NEXT) | instid1(VALU_DEP_1)
	v_pk_fma_f32 v[106:107], v[106:107], v[44:45], v[108:109] op_sel_hi:[1,1,0]
	v_mov_b32_e32 v111, v107
	ds_load_2addr_b64 v[106:109], v100 offset0:14 offset1:15
	v_pk_add_f32 v[80:81], v[80:81], v[110:111] neg_lo:[0,1] neg_hi:[0,1]
	s_wait_dscnt 0x0
	v_pk_mul_f32 v[110:111], v[106:107], v[98:99] op_sel:[0,1]
	s_delay_alu instid0(VALU_DEP_1) | instskip(SKIP_1) | instid1(VALU_DEP_1)
	v_pk_fma_f32 v[112:113], v[106:107], v[96:97], v[110:111] op_sel:[0,0,1] op_sel_hi:[1,1,0] neg_lo:[0,0,1] neg_hi:[0,0,1]
	v_pk_fma_f32 v[106:107], v[106:107], v[96:97], v[110:111] op_sel:[0,0,1] op_sel_hi:[1,0,0]
	v_mov_b32_e32 v113, v107
	v_pk_mul_f32 v[106:107], v[108:109], v[98:99] op_sel:[0,1]
	s_delay_alu instid0(VALU_DEP_1) | instskip(SKIP_1) | instid1(VALU_DEP_1)
	v_pk_fma_f32 v[110:111], v[108:109], v[96:97], v[106:107] op_sel:[0,0,1] op_sel_hi:[1,1,0] neg_lo:[0,0,1] neg_hi:[0,0,1]
	v_pk_fma_f32 v[106:107], v[108:109], v[96:97], v[106:107] op_sel:[0,0,1] op_sel_hi:[1,0,0]
	v_mov_b32_e32 v111, v107
	ds_load_2addr_b64 v[106:109], v100 offset0:16 offset1:17
	v_pk_add_f32 v[82:83], v[82:83], v[112:113] neg_lo:[0,1] neg_hi:[0,1]
	v_pk_add_f32 v[78:79], v[78:79], v[110:111] neg_lo:[0,1] neg_hi:[0,1]
	s_wait_dscnt 0x0
	v_pk_mul_f32 v[110:111], v[106:107], v[98:99] op_sel:[0,1]
	s_delay_alu instid0(VALU_DEP_1) | instskip(SKIP_1) | instid1(VALU_DEP_1)
	v_pk_fma_f32 v[112:113], v[106:107], v[96:97], v[110:111] op_sel:[0,0,1] op_sel_hi:[1,1,0] neg_lo:[0,0,1] neg_hi:[0,0,1]
	v_pk_fma_f32 v[106:107], v[106:107], v[96:97], v[110:111] op_sel:[0,0,1] op_sel_hi:[1,0,0]
	v_mov_b32_e32 v113, v107
	v_pk_mul_f32 v[106:107], v[108:109], v[98:99] op_sel:[0,1]
	s_delay_alu instid0(VALU_DEP_1) | instskip(SKIP_1) | instid1(VALU_DEP_1)
	v_pk_fma_f32 v[110:111], v[108:109], v[96:97], v[106:107] op_sel:[0,0,1] op_sel_hi:[1,1,0] neg_lo:[0,0,1] neg_hi:[0,0,1]
	v_pk_fma_f32 v[106:107], v[108:109], v[96:97], v[106:107] op_sel:[0,0,1] op_sel_hi:[1,0,0]
	v_mov_b32_e32 v111, v107
	ds_load_2addr_b64 v[106:109], v100 offset0:18 offset1:19
	v_pk_add_f32 v[76:77], v[76:77], v[112:113] neg_lo:[0,1] neg_hi:[0,1]
	v_pk_add_f32 v[72:73], v[72:73], v[110:111] neg_lo:[0,1] neg_hi:[0,1]
	s_wait_dscnt 0x0
	v_dual_mul_f32 v110, v107, v99 :: v_dual_mul_f32 v112, v107, v96
	s_delay_alu instid0(VALU_DEP_1) | instskip(NEXT) | instid1(VALU_DEP_2)
	v_pk_fma_f32 v[110:111], v[106:107], v[44:45], v[110:111] op_sel_hi:[1,1,0] neg_lo:[0,0,1] neg_hi:[0,0,1]
	v_pk_fma_f32 v[106:107], v[106:107], v[44:45], v[112:113] op_sel:[1,0,0] op_sel_hi:[0,1,0]
	s_delay_alu instid0(VALU_DEP_1) | instskip(SKIP_1) | instid1(VALU_DEP_2)
	v_mov_b32_e32 v111, v107
	v_pk_mul_f32 v[106:107], v[108:109], v[98:99] op_sel:[0,1]
	v_pk_add_f32 v[74:75], v[74:75], v[110:111] neg_lo:[0,1] neg_hi:[0,1]
	s_delay_alu instid0(VALU_DEP_2) | instskip(SKIP_1) | instid1(VALU_DEP_1)
	v_pk_fma_f32 v[110:111], v[108:109], v[96:97], v[106:107] op_sel:[0,0,1] op_sel_hi:[1,1,0] neg_lo:[0,0,1] neg_hi:[0,0,1]
	v_pk_fma_f32 v[106:107], v[108:109], v[96:97], v[106:107] op_sel:[0,0,1] op_sel_hi:[1,0,0]
	v_mov_b32_e32 v111, v107
	ds_load_2addr_b64 v[106:109], v100 offset0:20 offset1:21
	v_pk_add_f32 v[70:71], v[70:71], v[110:111] neg_lo:[0,1] neg_hi:[0,1]
	s_wait_dscnt 0x0
	v_pk_mul_f32 v[110:111], v[106:107], v[98:99] op_sel:[0,1]
	s_delay_alu instid0(VALU_DEP_1) | instskip(SKIP_1) | instid1(VALU_DEP_1)
	v_pk_fma_f32 v[112:113], v[106:107], v[96:97], v[110:111] op_sel:[0,0,1] op_sel_hi:[1,1,0] neg_lo:[0,0,1] neg_hi:[0,0,1]
	v_pk_fma_f32 v[106:107], v[106:107], v[96:97], v[110:111] op_sel:[0,0,1] op_sel_hi:[1,0,0]
	v_mov_b32_e32 v113, v107
	v_pk_mul_f32 v[106:107], v[108:109], v[98:99] op_sel:[0,1]
	s_delay_alu instid0(VALU_DEP_2) | instskip(NEXT) | instid1(VALU_DEP_2)
	v_pk_add_f32 v[68:69], v[68:69], v[112:113] neg_lo:[0,1] neg_hi:[0,1]
	v_pk_fma_f32 v[110:111], v[108:109], v[96:97], v[106:107] op_sel:[0,0,1] op_sel_hi:[1,1,0] neg_lo:[0,0,1] neg_hi:[0,0,1]
	v_pk_fma_f32 v[106:107], v[108:109], v[96:97], v[106:107] op_sel:[0,0,1] op_sel_hi:[1,0,0]
	s_delay_alu instid0(VALU_DEP_1) | instskip(SKIP_4) | instid1(VALU_DEP_1)
	v_mov_b32_e32 v111, v107
	ds_load_2addr_b64 v[106:109], v100 offset0:22 offset1:23
	v_pk_add_f32 v[64:65], v[64:65], v[110:111] neg_lo:[0,1] neg_hi:[0,1]
	s_wait_dscnt 0x0
	v_pk_mul_f32 v[110:111], v[106:107], v[98:99] op_sel:[0,1]
	v_pk_fma_f32 v[112:113], v[106:107], v[96:97], v[110:111] op_sel:[0,0,1] op_sel_hi:[1,1,0] neg_lo:[0,0,1] neg_hi:[0,0,1]
	v_pk_fma_f32 v[106:107], v[106:107], v[96:97], v[110:111] op_sel:[0,0,1] op_sel_hi:[1,0,0]
	v_dual_mul_f32 v110, v109, v99 :: v_dual_mov_b32 v106, v109
	s_delay_alu instid0(VALU_DEP_2) | instskip(NEXT) | instid1(VALU_DEP_2)
	v_dual_mov_b32 v113, v107 :: v_dual_mov_b32 v107, v108
	v_pk_fma_f32 v[110:111], v[108:109], v[44:45], v[110:111] op_sel_hi:[1,1,0] neg_lo:[0,0,1] neg_hi:[0,0,1]
	v_mul_f32_e32 v108, v109, v96
	s_delay_alu instid0(VALU_DEP_3) | instskip(NEXT) | instid1(VALU_DEP_2)
	v_pk_add_f32 v[66:67], v[66:67], v[112:113] neg_lo:[0,1] neg_hi:[0,1]
	v_pk_fma_f32 v[106:107], v[106:107], v[44:45], v[108:109] op_sel_hi:[1,1,0]
	s_delay_alu instid0(VALU_DEP_1) | instskip(SKIP_4) | instid1(VALU_DEP_1)
	v_mov_b32_e32 v111, v107
	ds_load_2addr_b64 v[106:109], v100 offset0:24 offset1:25
	v_pk_add_f32 v[62:63], v[62:63], v[110:111] neg_lo:[0,1] neg_hi:[0,1]
	s_wait_dscnt 0x0
	v_pk_mul_f32 v[110:111], v[106:107], v[98:99] op_sel:[0,1]
	v_pk_fma_f32 v[112:113], v[106:107], v[96:97], v[110:111] op_sel:[0,0,1] op_sel_hi:[1,1,0] neg_lo:[0,0,1] neg_hi:[0,0,1]
	v_pk_fma_f32 v[106:107], v[106:107], v[96:97], v[110:111] op_sel:[0,0,1] op_sel_hi:[1,0,0]
	s_delay_alu instid0(VALU_DEP_1) | instskip(SKIP_1) | instid1(VALU_DEP_1)
	v_mov_b32_e32 v113, v107
	v_pk_mul_f32 v[106:107], v[108:109], v[98:99] op_sel:[0,1]
	v_pk_fma_f32 v[110:111], v[108:109], v[96:97], v[106:107] op_sel:[0,0,1] op_sel_hi:[1,1,0] neg_lo:[0,0,1] neg_hi:[0,0,1]
	v_pk_fma_f32 v[106:107], v[108:109], v[96:97], v[106:107] op_sel:[0,0,1] op_sel_hi:[1,0,0]
	s_delay_alu instid0(VALU_DEP_1)
	v_mov_b32_e32 v111, v107
	ds_load_2addr_b64 v[106:109], v100 offset0:26 offset1:27
	v_pk_add_f32 v[60:61], v[60:61], v[112:113] neg_lo:[0,1] neg_hi:[0,1]
	v_pk_add_f32 v[56:57], v[56:57], v[110:111] neg_lo:[0,1] neg_hi:[0,1]
	s_wait_dscnt 0x0
	v_pk_mul_f32 v[110:111], v[106:107], v[98:99] op_sel:[0,1]
	s_delay_alu instid0(VALU_DEP_1) | instskip(SKIP_1) | instid1(VALU_DEP_1)
	v_pk_fma_f32 v[112:113], v[106:107], v[96:97], v[110:111] op_sel:[0,0,1] op_sel_hi:[1,1,0] neg_lo:[0,0,1] neg_hi:[0,0,1]
	v_pk_fma_f32 v[106:107], v[106:107], v[96:97], v[110:111] op_sel:[0,0,1] op_sel_hi:[1,0,0]
	v_mov_b32_e32 v113, v107
	v_pk_mul_f32 v[106:107], v[108:109], v[98:99] op_sel:[0,1]
	s_delay_alu instid0(VALU_DEP_1) | instskip(SKIP_1) | instid1(VALU_DEP_1)
	v_pk_fma_f32 v[110:111], v[108:109], v[96:97], v[106:107] op_sel:[0,0,1] op_sel_hi:[1,1,0] neg_lo:[0,0,1] neg_hi:[0,0,1]
	v_pk_fma_f32 v[106:107], v[108:109], v[96:97], v[106:107] op_sel:[0,0,1] op_sel_hi:[1,0,0]
	v_mov_b32_e32 v111, v107
	ds_load_2addr_b64 v[106:109], v100 offset0:28 offset1:29
	v_pk_add_f32 v[58:59], v[58:59], v[112:113] neg_lo:[0,1] neg_hi:[0,1]
	v_pk_add_f32 v[54:55], v[54:55], v[110:111] neg_lo:[0,1] neg_hi:[0,1]
	s_wait_dscnt 0x0
	v_dual_mul_f32 v110, v107, v99 :: v_dual_mul_f32 v112, v107, v96
	s_delay_alu instid0(VALU_DEP_1) | instskip(NEXT) | instid1(VALU_DEP_2)
	v_pk_fma_f32 v[110:111], v[106:107], v[44:45], v[110:111] op_sel_hi:[1,1,0] neg_lo:[0,0,1] neg_hi:[0,0,1]
	v_pk_fma_f32 v[106:107], v[106:107], v[44:45], v[112:113] op_sel:[1,0,0] op_sel_hi:[0,1,0]
	s_delay_alu instid0(VALU_DEP_1) | instskip(SKIP_1) | instid1(VALU_DEP_2)
	v_mov_b32_e32 v111, v107
	v_pk_mul_f32 v[106:107], v[108:109], v[98:99] op_sel:[0,1]
	v_pk_add_f32 v[48:49], v[48:49], v[110:111] neg_lo:[0,1] neg_hi:[0,1]
	s_delay_alu instid0(VALU_DEP_2) | instskip(SKIP_1) | instid1(VALU_DEP_1)
	v_pk_fma_f32 v[110:111], v[108:109], v[96:97], v[106:107] op_sel:[0,0,1] op_sel_hi:[1,1,0] neg_lo:[0,0,1] neg_hi:[0,0,1]
	v_pk_fma_f32 v[106:107], v[108:109], v[96:97], v[106:107] op_sel:[0,0,1] op_sel_hi:[1,0,0]
	v_mov_b32_e32 v111, v107
	ds_load_2addr_b64 v[106:109], v100 offset0:30 offset1:31
	v_pk_add_f32 v[40:41], v[40:41], v[110:111] neg_lo:[0,1] neg_hi:[0,1]
	s_wait_dscnt 0x0
	v_pk_mul_f32 v[110:111], v[106:107], v[98:99] op_sel:[0,1]
	s_delay_alu instid0(VALU_DEP_1) | instskip(SKIP_1) | instid1(VALU_DEP_1)
	v_pk_fma_f32 v[112:113], v[106:107], v[96:97], v[110:111] op_sel:[0,0,1] op_sel_hi:[1,1,0] neg_lo:[0,0,1] neg_hi:[0,0,1]
	v_pk_fma_f32 v[106:107], v[106:107], v[96:97], v[110:111] op_sel:[0,0,1] op_sel_hi:[1,0,0]
	v_mov_b32_e32 v113, v107
	v_pk_mul_f32 v[106:107], v[108:109], v[98:99] op_sel:[0,1]
	s_delay_alu instid0(VALU_DEP_2) | instskip(NEXT) | instid1(VALU_DEP_2)
	v_pk_add_f32 v[46:47], v[46:47], v[112:113] neg_lo:[0,1] neg_hi:[0,1]
	v_pk_fma_f32 v[110:111], v[108:109], v[96:97], v[106:107] op_sel:[0,0,1] op_sel_hi:[1,1,0] neg_lo:[0,0,1] neg_hi:[0,0,1]
	v_pk_fma_f32 v[106:107], v[108:109], v[96:97], v[106:107] op_sel:[0,0,1] op_sel_hi:[1,0,0]
	s_delay_alu instid0(VALU_DEP_1) | instskip(SKIP_4) | instid1(VALU_DEP_1)
	v_mov_b32_e32 v111, v107
	ds_load_2addr_b64 v[106:109], v100 offset0:32 offset1:33
	v_pk_add_f32 v[38:39], v[38:39], v[110:111] neg_lo:[0,1] neg_hi:[0,1]
	s_wait_dscnt 0x0
	v_pk_mul_f32 v[110:111], v[106:107], v[98:99] op_sel:[0,1]
	v_pk_fma_f32 v[112:113], v[106:107], v[96:97], v[110:111] op_sel:[0,0,1] op_sel_hi:[1,1,0] neg_lo:[0,0,1] neg_hi:[0,0,1]
	v_pk_fma_f32 v[106:107], v[106:107], v[96:97], v[110:111] op_sel:[0,0,1] op_sel_hi:[1,0,0]
	v_dual_mul_f32 v110, v109, v99 :: v_dual_mov_b32 v106, v109
	s_delay_alu instid0(VALU_DEP_2) | instskip(NEXT) | instid1(VALU_DEP_2)
	v_dual_mov_b32 v113, v107 :: v_dual_mov_b32 v107, v108
	v_pk_fma_f32 v[110:111], v[108:109], v[44:45], v[110:111] op_sel_hi:[1,1,0] neg_lo:[0,0,1] neg_hi:[0,0,1]
	v_mul_f32_e32 v108, v109, v96
	s_delay_alu instid0(VALU_DEP_3) | instskip(NEXT) | instid1(VALU_DEP_2)
	v_pk_add_f32 v[30:31], v[30:31], v[112:113] neg_lo:[0,1] neg_hi:[0,1]
	v_pk_fma_f32 v[106:107], v[106:107], v[44:45], v[108:109] op_sel_hi:[1,1,0]
	s_delay_alu instid0(VALU_DEP_1) | instskip(SKIP_4) | instid1(VALU_DEP_1)
	v_mov_b32_e32 v111, v107
	ds_load_2addr_b64 v[106:109], v100 offset0:34 offset1:35
	v_pk_add_f32 v[22:23], v[22:23], v[110:111] neg_lo:[0,1] neg_hi:[0,1]
	s_wait_dscnt 0x0
	v_pk_mul_f32 v[110:111], v[106:107], v[98:99] op_sel:[0,1]
	v_pk_fma_f32 v[112:113], v[106:107], v[96:97], v[110:111] op_sel:[0,0,1] op_sel_hi:[1,1,0] neg_lo:[0,0,1] neg_hi:[0,0,1]
	v_pk_fma_f32 v[106:107], v[106:107], v[96:97], v[110:111] op_sel:[0,0,1] op_sel_hi:[1,0,0]
	s_delay_alu instid0(VALU_DEP_1) | instskip(SKIP_1) | instid1(VALU_DEP_1)
	v_mov_b32_e32 v113, v107
	v_pk_mul_f32 v[106:107], v[108:109], v[98:99] op_sel:[0,1]
	v_pk_fma_f32 v[110:111], v[108:109], v[96:97], v[106:107] op_sel:[0,0,1] op_sel_hi:[1,1,0] neg_lo:[0,0,1] neg_hi:[0,0,1]
	v_pk_fma_f32 v[106:107], v[108:109], v[96:97], v[106:107] op_sel:[0,0,1] op_sel_hi:[1,0,0]
	s_delay_alu instid0(VALU_DEP_1)
	v_mov_b32_e32 v111, v107
	ds_load_2addr_b64 v[106:109], v100 offset0:36 offset1:37
	v_pk_add_f32 v[28:29], v[28:29], v[112:113] neg_lo:[0,1] neg_hi:[0,1]
	v_pk_add_f32 v[20:21], v[20:21], v[110:111] neg_lo:[0,1] neg_hi:[0,1]
	s_wait_dscnt 0x0
	v_pk_mul_f32 v[110:111], v[106:107], v[98:99] op_sel:[0,1]
	s_delay_alu instid0(VALU_DEP_1) | instskip(SKIP_1) | instid1(VALU_DEP_1)
	v_pk_fma_f32 v[112:113], v[106:107], v[96:97], v[110:111] op_sel:[0,0,1] op_sel_hi:[1,1,0] neg_lo:[0,0,1] neg_hi:[0,0,1]
	v_pk_fma_f32 v[106:107], v[106:107], v[96:97], v[110:111] op_sel:[0,0,1] op_sel_hi:[1,0,0]
	v_mov_b32_e32 v113, v107
	v_pk_mul_f32 v[106:107], v[108:109], v[98:99] op_sel:[0,1]
	s_delay_alu instid0(VALU_DEP_1) | instskip(SKIP_1) | instid1(VALU_DEP_1)
	v_pk_fma_f32 v[110:111], v[108:109], v[96:97], v[106:107] op_sel:[0,0,1] op_sel_hi:[1,1,0] neg_lo:[0,0,1] neg_hi:[0,0,1]
	v_pk_fma_f32 v[106:107], v[108:109], v[96:97], v[106:107] op_sel:[0,0,1] op_sel_hi:[1,0,0]
	v_mov_b32_e32 v111, v107
	ds_load_2addr_b64 v[106:109], v100 offset0:38 offset1:39
	v_pk_add_f32 v[14:15], v[14:15], v[112:113] neg_lo:[0,1] neg_hi:[0,1]
	v_pk_add_f32 v[10:11], v[10:11], v[110:111] neg_lo:[0,1] neg_hi:[0,1]
	s_wait_dscnt 0x0
	v_dual_mul_f32 v110, v107, v99 :: v_dual_mul_f32 v112, v107, v96
	s_delay_alu instid0(VALU_DEP_1) | instskip(NEXT) | instid1(VALU_DEP_2)
	v_pk_fma_f32 v[110:111], v[106:107], v[44:45], v[110:111] op_sel_hi:[1,1,0] neg_lo:[0,0,1] neg_hi:[0,0,1]
	v_pk_fma_f32 v[106:107], v[106:107], v[44:45], v[112:113] op_sel:[1,0,0] op_sel_hi:[0,1,0]
	s_delay_alu instid0(VALU_DEP_1) | instskip(SKIP_1) | instid1(VALU_DEP_2)
	v_mov_b32_e32 v111, v107
	v_pk_mul_f32 v[106:107], v[108:109], v[98:99] op_sel:[0,1]
	v_pk_add_f32 v[12:13], v[12:13], v[110:111] neg_lo:[0,1] neg_hi:[0,1]
	s_delay_alu instid0(VALU_DEP_2) | instskip(SKIP_1) | instid1(VALU_DEP_1)
	v_pk_fma_f32 v[110:111], v[108:109], v[96:97], v[106:107] op_sel:[0,0,1] op_sel_hi:[1,1,0] neg_lo:[0,0,1] neg_hi:[0,0,1]
	v_pk_fma_f32 v[106:107], v[108:109], v[96:97], v[106:107] op_sel:[0,0,1] op_sel_hi:[1,0,0]
	v_mov_b32_e32 v111, v107
	ds_load_2addr_b64 v[106:109], v100 offset0:40 offset1:41
	v_pk_add_f32 v[8:9], v[8:9], v[110:111] neg_lo:[0,1] neg_hi:[0,1]
	s_wait_dscnt 0x0
	v_pk_mul_f32 v[110:111], v[106:107], v[98:99] op_sel:[0,1]
	s_delay_alu instid0(VALU_DEP_1) | instskip(SKIP_1) | instid1(VALU_DEP_1)
	v_pk_fma_f32 v[112:113], v[106:107], v[96:97], v[110:111] op_sel:[0,0,1] op_sel_hi:[1,1,0] neg_lo:[0,0,1] neg_hi:[0,0,1]
	v_pk_fma_f32 v[106:107], v[106:107], v[96:97], v[110:111] op_sel:[0,0,1] op_sel_hi:[1,0,0]
	v_mov_b32_e32 v113, v107
	v_pk_mul_f32 v[106:107], v[108:109], v[98:99] op_sel:[0,1]
	s_delay_alu instid0(VALU_DEP_2) | instskip(NEXT) | instid1(VALU_DEP_2)
	v_pk_add_f32 v[6:7], v[6:7], v[112:113] neg_lo:[0,1] neg_hi:[0,1]
	v_pk_fma_f32 v[110:111], v[108:109], v[96:97], v[106:107] op_sel:[0,0,1] op_sel_hi:[1,1,0] neg_lo:[0,0,1] neg_hi:[0,0,1]
	v_pk_fma_f32 v[106:107], v[108:109], v[96:97], v[106:107] op_sel:[0,0,1] op_sel_hi:[1,0,0]
	s_delay_alu instid0(VALU_DEP_1) | instskip(SKIP_4) | instid1(VALU_DEP_1)
	v_mov_b32_e32 v111, v107
	ds_load_2addr_b64 v[106:109], v100 offset0:42 offset1:43
	v_pk_add_f32 v[36:37], v[36:37], v[110:111] neg_lo:[0,1] neg_hi:[0,1]
	s_wait_dscnt 0x0
	v_pk_mul_f32 v[110:111], v[106:107], v[98:99] op_sel:[0,1]
	v_pk_fma_f32 v[112:113], v[106:107], v[96:97], v[110:111] op_sel:[0,0,1] op_sel_hi:[1,1,0] neg_lo:[0,0,1] neg_hi:[0,0,1]
	v_pk_fma_f32 v[106:107], v[106:107], v[96:97], v[110:111] op_sel:[0,0,1] op_sel_hi:[1,0,0]
	v_dual_mul_f32 v110, v109, v99 :: v_dual_mov_b32 v106, v109
	s_delay_alu instid0(VALU_DEP_2) | instskip(NEXT) | instid1(VALU_DEP_2)
	v_dual_mov_b32 v113, v107 :: v_dual_mov_b32 v107, v108
	v_pk_fma_f32 v[110:111], v[108:109], v[44:45], v[110:111] op_sel_hi:[1,1,0] neg_lo:[0,0,1] neg_hi:[0,0,1]
	v_mul_f32_e32 v108, v109, v96
	s_delay_alu instid0(VALU_DEP_3) | instskip(NEXT) | instid1(VALU_DEP_2)
	v_pk_add_f32 v[18:19], v[18:19], v[112:113] neg_lo:[0,1] neg_hi:[0,1]
	v_pk_fma_f32 v[106:107], v[106:107], v[44:45], v[108:109] op_sel_hi:[1,1,0]
	s_delay_alu instid0(VALU_DEP_1) | instskip(SKIP_4) | instid1(VALU_DEP_1)
	v_mov_b32_e32 v111, v107
	ds_load_b64 v[106:107], v100 offset:352
	v_pk_add_f32 v[16:17], v[16:17], v[110:111] neg_lo:[0,1] neg_hi:[0,1]
	s_wait_dscnt 0x0
	v_pk_mul_f32 v[98:99], v[106:107], v[98:99] op_sel:[0,1]
	v_pk_fma_f32 v[108:109], v[106:107], v[96:97], v[98:99] op_sel:[0,0,1] op_sel_hi:[1,1,0] neg_lo:[0,0,1] neg_hi:[0,0,1]
	v_pk_fma_f32 v[96:97], v[106:107], v[96:97], v[98:99] op_sel:[0,0,1] op_sel_hi:[1,0,0]
	s_delay_alu instid0(VALU_DEP_1) | instskip(NEXT) | instid1(VALU_DEP_1)
	v_mov_b32_e32 v109, v97
	v_pk_add_f32 v[94:95], v[94:95], v[108:109] neg_lo:[0,1] neg_hi:[0,1]
.LBB88_209:
	s_or_b32 exec_lo, exec_lo, s0
	v_lshl_add_u32 v96, v104, 3, v100
	s_barrier_signal -1
	s_barrier_wait -1
	ds_store_b64 v96, v[50:51]
	s_wait_dscnt 0x0
	s_barrier_signal -1
	s_barrier_wait -1
	ds_load_b64 v[98:99], v100 offset:80
	v_mov_b32_e32 v96, 10
	s_cmp_lt_i32 s18, 12
	s_cbranch_scc1 .LBB88_212
; %bb.210:
	v_add3_u32 v97, v101, 0, 0x58
	v_mov_b32_e32 v96, 10
	s_mov_b32 s0, 11
.LBB88_211:                             ; =>This Inner Loop Header: Depth=1
	ds_load_b64 v[106:107], v97
	s_wait_dscnt 0x1
	v_cmp_gt_f32_e32 vcc_lo, 0, v98
	v_cndmask_b32_e64 v108, v98, -v98, vcc_lo
	v_cmp_gt_f32_e32 vcc_lo, 0, v99
	v_cndmask_b32_e64 v110, v99, -v99, vcc_lo
	s_wait_dscnt 0x0
	v_cmp_gt_f32_e32 vcc_lo, 0, v106
	v_cndmask_b32_e64 v109, v106, -v106, vcc_lo
	v_cmp_gt_f32_e32 vcc_lo, 0, v107
	v_cndmask_b32_e64 v111, v107, -v107, vcc_lo
	s_delay_alu instid0(VALU_DEP_1) | instskip(NEXT) | instid1(VALU_DEP_1)
	v_pk_add_f32 v[108:109], v[108:109], v[110:111]
	v_cmp_lt_f32_e32 vcc_lo, v108, v109
	v_dual_add_nc_u32 v97, 8, v97 :: v_dual_cndmask_b32 v99, v99, v107, vcc_lo
	v_cndmask_b32_e32 v98, v98, v106, vcc_lo
	v_cndmask_b32_e64 v96, v96, s0, vcc_lo
	s_add_co_i32 s0, s0, 1
	s_delay_alu instid0(SALU_CYCLE_1)
	s_cmp_lg_u32 s18, s0
	s_cbranch_scc1 .LBB88_211
.LBB88_212:
	s_wait_dscnt 0x0
	v_cmp_eq_f32_e32 vcc_lo, 0, v98
	v_cmp_eq_f32_e64 s0, 0, v99
	s_and_b32 s0, vcc_lo, s0
	s_delay_alu instid0(SALU_CYCLE_1) | instskip(NEXT) | instid1(SALU_CYCLE_1)
	s_and_saveexec_b32 s1, s0
	s_xor_b32 s0, exec_lo, s1
; %bb.213:
	v_cmp_ne_u32_e32 vcc_lo, 0, v102
	v_cndmask_b32_e32 v102, 11, v102, vcc_lo
; %bb.214:
	s_and_not1_saveexec_b32 s0, s0
	s_cbranch_execz .LBB88_220
; %bb.215:
	v_cmp_ngt_f32_e64 s1, |v98|, |v99|
	s_and_saveexec_b32 s12, s1
	s_delay_alu instid0(SALU_CYCLE_1)
	s_xor_b32 s1, exec_lo, s12
	s_cbranch_execz .LBB88_217
; %bb.216:
	v_div_scale_f32 v97, null, v99, v99, v98
	v_div_scale_f32 v107, vcc_lo, v98, v99, v98
	s_delay_alu instid0(VALU_DEP_2) | instskip(SKIP_1) | instid1(TRANS32_DEP_1)
	v_rcp_f32_e32 v105, v97
	v_nop
	v_fma_f32 v106, -v97, v105, 1.0
	s_delay_alu instid0(VALU_DEP_1) | instskip(NEXT) | instid1(VALU_DEP_1)
	v_fmac_f32_e32 v105, v106, v105
	v_mul_f32_e32 v106, v107, v105
	s_delay_alu instid0(VALU_DEP_1) | instskip(NEXT) | instid1(VALU_DEP_1)
	v_fma_f32 v108, -v97, v106, v107
	v_fmac_f32_e32 v106, v108, v105
	s_delay_alu instid0(VALU_DEP_1) | instskip(NEXT) | instid1(VALU_DEP_1)
	v_fma_f32 v97, -v97, v106, v107
	v_div_fmas_f32 v97, v97, v105, v106
	s_delay_alu instid0(VALU_DEP_1) | instskip(NEXT) | instid1(VALU_DEP_1)
	v_div_fixup_f32 v97, v97, v99, v98
	v_fmac_f32_e32 v99, v98, v97
	s_delay_alu instid0(VALU_DEP_1) | instskip(SKIP_1) | instid1(VALU_DEP_2)
	v_div_scale_f32 v98, null, v99, v99, 1.0
	v_div_scale_f32 v107, vcc_lo, 1.0, v99, 1.0
	v_rcp_f32_e32 v105, v98
	v_nop
	s_delay_alu instid0(TRANS32_DEP_1) | instskip(NEXT) | instid1(VALU_DEP_1)
	v_fma_f32 v106, -v98, v105, 1.0
	v_fmac_f32_e32 v105, v106, v105
	s_delay_alu instid0(VALU_DEP_1) | instskip(NEXT) | instid1(VALU_DEP_1)
	v_mul_f32_e32 v106, v107, v105
	v_fma_f32 v108, -v98, v106, v107
	s_delay_alu instid0(VALU_DEP_1) | instskip(NEXT) | instid1(VALU_DEP_1)
	v_fmac_f32_e32 v106, v108, v105
	v_fma_f32 v98, -v98, v106, v107
	s_delay_alu instid0(VALU_DEP_1) | instskip(NEXT) | instid1(VALU_DEP_1)
	v_div_fmas_f32 v98, v98, v105, v106
	v_div_fixup_f32 v99, v98, v99, 1.0
	s_delay_alu instid0(VALU_DEP_1)
	v_mul_f32_e32 v98, v97, v99
	v_xor_b32_e32 v99, 0x80000000, v99
.LBB88_217:
	s_and_not1_saveexec_b32 s1, s1
	s_cbranch_execz .LBB88_219
; %bb.218:
	s_delay_alu instid0(VALU_DEP_1) | instskip(SKIP_1) | instid1(VALU_DEP_2)
	v_div_scale_f32 v97, null, v98, v98, v99
	v_div_scale_f32 v107, vcc_lo, v99, v98, v99
	v_rcp_f32_e32 v105, v97
	v_nop
	s_delay_alu instid0(TRANS32_DEP_1) | instskip(NEXT) | instid1(VALU_DEP_1)
	v_fma_f32 v106, -v97, v105, 1.0
	v_fmac_f32_e32 v105, v106, v105
	s_delay_alu instid0(VALU_DEP_1) | instskip(NEXT) | instid1(VALU_DEP_1)
	v_mul_f32_e32 v106, v107, v105
	v_fma_f32 v108, -v97, v106, v107
	s_delay_alu instid0(VALU_DEP_1) | instskip(NEXT) | instid1(VALU_DEP_1)
	v_fmac_f32_e32 v106, v108, v105
	v_fma_f32 v97, -v97, v106, v107
	s_delay_alu instid0(VALU_DEP_1) | instskip(NEXT) | instid1(VALU_DEP_1)
	v_div_fmas_f32 v97, v97, v105, v106
	v_div_fixup_f32 v97, v97, v98, v99
	s_delay_alu instid0(VALU_DEP_1) | instskip(NEXT) | instid1(VALU_DEP_1)
	v_fmac_f32_e32 v98, v99, v97
	v_div_scale_f32 v99, null, v98, v98, 1.0
	s_delay_alu instid0(VALU_DEP_1) | instskip(SKIP_1) | instid1(TRANS32_DEP_1)
	v_rcp_f32_e32 v105, v99
	v_nop
	v_fma_f32 v106, -v99, v105, 1.0
	s_delay_alu instid0(VALU_DEP_1) | instskip(SKIP_1) | instid1(VALU_DEP_1)
	v_fmac_f32_e32 v105, v106, v105
	v_div_scale_f32 v106, vcc_lo, 1.0, v98, 1.0
	v_mul_f32_e32 v107, v106, v105
	s_delay_alu instid0(VALU_DEP_1) | instskip(NEXT) | instid1(VALU_DEP_1)
	v_fma_f32 v108, -v99, v107, v106
	v_fmac_f32_e32 v107, v108, v105
	s_delay_alu instid0(VALU_DEP_1) | instskip(NEXT) | instid1(VALU_DEP_1)
	v_fma_f32 v99, -v99, v107, v106
	v_div_fmas_f32 v99, v99, v105, v107
	s_delay_alu instid0(VALU_DEP_1) | instskip(NEXT) | instid1(VALU_DEP_1)
	v_div_fixup_f32 v98, v99, v98, 1.0
	v_mul_f32_e64 v99, v97, -v98
.LBB88_219:
	s_or_b32 exec_lo, exec_lo, s1
.LBB88_220:
	s_delay_alu instid0(SALU_CYCLE_1) | instskip(NEXT) | instid1(SALU_CYCLE_1)
	s_or_b32 exec_lo, exec_lo, s0
	s_mov_b32 s0, exec_lo
	v_cmpx_ne_u32_e64 v104, v96
	s_xor_b32 s0, exec_lo, s0
	s_cbranch_execz .LBB88_226
; %bb.221:
	s_mov_b32 s1, exec_lo
	v_cmpx_eq_u32_e32 10, v104
	s_cbranch_execz .LBB88_225
; %bb.222:
	v_cmp_ne_u32_e32 vcc_lo, 10, v96
	s_xor_b32 s12, s16, -1
	s_delay_alu instid0(SALU_CYCLE_1) | instskip(NEXT) | instid1(SALU_CYCLE_1)
	s_and_b32 s13, s12, vcc_lo
	s_and_saveexec_b32 s12, s13
	s_cbranch_execz .LBB88_224
; %bb.223:
	v_ashrrev_i32_e32 v97, 31, v96
	s_delay_alu instid0(VALU_DEP_1)
	v_lshl_add_u64 v[104:105], v[96:97], 2, v[4:5]
	s_clause 0x1
	global_load_b32 v97, v[104:105], off
	global_load_b32 v103, v[4:5], off offset:40
	s_wait_loadcnt 0x1
	global_store_b32 v[4:5], v97, off offset:40
	s_wait_loadcnt 0x0
	global_store_b32 v[104:105], v103, off
.LBB88_224:
	s_wait_xcnt 0x0
	s_or_b32 exec_lo, exec_lo, s12
	v_dual_mov_b32 v104, v96 :: v_dual_mov_b32 v103, v96
.LBB88_225:
	s_or_b32 exec_lo, exec_lo, s1
.LBB88_226:
	s_and_not1_saveexec_b32 s0, s0
	s_cbranch_execz .LBB88_228
; %bb.227:
	v_mov_b32_e32 v104, 10
	ds_store_2addr_b64 v100, v[42:43], v[84:85] offset0:11 offset1:12
	ds_store_2addr_b64 v100, v[80:81], v[82:83] offset0:13 offset1:14
	;; [unrolled: 1-line block ×17, first 2 shown]
.LBB88_228:
	s_or_b32 exec_lo, exec_lo, s0
	s_delay_alu instid0(SALU_CYCLE_1)
	s_mov_b32 s0, exec_lo
	s_wait_storecnt_dscnt 0x0
	s_barrier_signal -1
	s_barrier_wait -1
	v_cmpx_lt_i32_e32 10, v104
	s_cbranch_execz .LBB88_230
; %bb.229:
	v_pk_mul_f32 v[106:107], v[98:99], v[50:51] op_sel:[1,1] op_sel_hi:[0,1]
	s_delay_alu instid0(VALU_DEP_1)
	v_pk_fma_f32 v[96:97], v[98:99], v[50:51], v[106:107] op_sel_hi:[1,0,1] neg_lo:[0,0,1] neg_hi:[0,0,1]
	v_pk_fma_f32 v[98:99], v[98:99], v[50:51], v[106:107] op_sel_hi:[1,0,1]
	ds_load_2addr_b64 v[106:109], v100 offset0:11 offset1:12
	v_dual_mov_b32 v50, v96 :: v_dual_mov_b32 v51, v99
	s_wait_dscnt 0x0
	v_pk_mul_f32 v[110:111], v[106:107], v[98:99] op_sel:[0,1]
	s_delay_alu instid0(VALU_DEP_1) | instskip(SKIP_1) | instid1(VALU_DEP_1)
	v_pk_fma_f32 v[112:113], v[106:107], v[96:97], v[110:111] op_sel:[0,0,1] op_sel_hi:[1,1,0] neg_lo:[0,0,1] neg_hi:[0,0,1]
	v_pk_fma_f32 v[106:107], v[106:107], v[96:97], v[110:111] op_sel:[0,0,1] op_sel_hi:[1,0,0]
	v_mov_b32_e32 v113, v107
	v_pk_mul_f32 v[106:107], v[108:109], v[98:99] op_sel:[0,1]
	s_delay_alu instid0(VALU_DEP_1) | instskip(SKIP_1) | instid1(VALU_DEP_1)
	v_pk_fma_f32 v[110:111], v[108:109], v[96:97], v[106:107] op_sel:[0,0,1] op_sel_hi:[1,1,0] neg_lo:[0,0,1] neg_hi:[0,0,1]
	v_pk_fma_f32 v[106:107], v[108:109], v[96:97], v[106:107] op_sel:[0,0,1] op_sel_hi:[1,0,0]
	v_mov_b32_e32 v111, v107
	ds_load_2addr_b64 v[106:109], v100 offset0:13 offset1:14
	v_pk_add_f32 v[42:43], v[42:43], v[112:113] neg_lo:[0,1] neg_hi:[0,1]
	v_pk_add_f32 v[84:85], v[84:85], v[110:111] neg_lo:[0,1] neg_hi:[0,1]
	s_wait_dscnt 0x0
	v_pk_mul_f32 v[110:111], v[106:107], v[98:99] op_sel:[0,1]
	s_delay_alu instid0(VALU_DEP_1) | instskip(SKIP_2) | instid1(VALU_DEP_2)
	v_pk_fma_f32 v[112:113], v[106:107], v[96:97], v[110:111] op_sel:[0,0,1] op_sel_hi:[1,1,0] neg_lo:[0,0,1] neg_hi:[0,0,1]
	v_pk_fma_f32 v[106:107], v[106:107], v[96:97], v[110:111] op_sel:[0,0,1] op_sel_hi:[1,0,0]
	v_dual_mul_f32 v110, v109, v99 :: v_dual_mov_b32 v106, v109
	v_dual_mov_b32 v113, v107 :: v_dual_mov_b32 v107, v108
	s_delay_alu instid0(VALU_DEP_2) | instskip(SKIP_1) | instid1(VALU_DEP_3)
	v_pk_fma_f32 v[110:111], v[108:109], v[50:51], v[110:111] op_sel_hi:[1,1,0] neg_lo:[0,0,1] neg_hi:[0,0,1]
	v_mul_f32_e32 v108, v109, v96
	v_pk_add_f32 v[80:81], v[80:81], v[112:113] neg_lo:[0,1] neg_hi:[0,1]
	s_delay_alu instid0(VALU_DEP_2) | instskip(NEXT) | instid1(VALU_DEP_1)
	v_pk_fma_f32 v[106:107], v[106:107], v[50:51], v[108:109] op_sel_hi:[1,1,0]
	v_mov_b32_e32 v111, v107
	ds_load_2addr_b64 v[106:109], v100 offset0:15 offset1:16
	v_pk_add_f32 v[82:83], v[82:83], v[110:111] neg_lo:[0,1] neg_hi:[0,1]
	s_wait_dscnt 0x0
	v_pk_mul_f32 v[110:111], v[106:107], v[98:99] op_sel:[0,1]
	s_delay_alu instid0(VALU_DEP_1) | instskip(SKIP_1) | instid1(VALU_DEP_1)
	v_pk_fma_f32 v[112:113], v[106:107], v[96:97], v[110:111] op_sel:[0,0,1] op_sel_hi:[1,1,0] neg_lo:[0,0,1] neg_hi:[0,0,1]
	v_pk_fma_f32 v[106:107], v[106:107], v[96:97], v[110:111] op_sel:[0,0,1] op_sel_hi:[1,0,0]
	v_mov_b32_e32 v113, v107
	v_pk_mul_f32 v[106:107], v[108:109], v[98:99] op_sel:[0,1]
	s_delay_alu instid0(VALU_DEP_1) | instskip(SKIP_1) | instid1(VALU_DEP_1)
	v_pk_fma_f32 v[110:111], v[108:109], v[96:97], v[106:107] op_sel:[0,0,1] op_sel_hi:[1,1,0] neg_lo:[0,0,1] neg_hi:[0,0,1]
	v_pk_fma_f32 v[106:107], v[108:109], v[96:97], v[106:107] op_sel:[0,0,1] op_sel_hi:[1,0,0]
	v_mov_b32_e32 v111, v107
	ds_load_2addr_b64 v[106:109], v100 offset0:17 offset1:18
	v_pk_add_f32 v[78:79], v[78:79], v[112:113] neg_lo:[0,1] neg_hi:[0,1]
	v_pk_add_f32 v[76:77], v[76:77], v[110:111] neg_lo:[0,1] neg_hi:[0,1]
	s_wait_dscnt 0x0
	v_pk_mul_f32 v[110:111], v[106:107], v[98:99] op_sel:[0,1]
	s_delay_alu instid0(VALU_DEP_1) | instskip(SKIP_1) | instid1(VALU_DEP_1)
	v_pk_fma_f32 v[112:113], v[106:107], v[96:97], v[110:111] op_sel:[0,0,1] op_sel_hi:[1,1,0] neg_lo:[0,0,1] neg_hi:[0,0,1]
	v_pk_fma_f32 v[106:107], v[106:107], v[96:97], v[110:111] op_sel:[0,0,1] op_sel_hi:[1,0,0]
	v_mov_b32_e32 v113, v107
	v_pk_mul_f32 v[106:107], v[108:109], v[98:99] op_sel:[0,1]
	s_delay_alu instid0(VALU_DEP_1) | instskip(SKIP_1) | instid1(VALU_DEP_1)
	v_pk_fma_f32 v[110:111], v[108:109], v[96:97], v[106:107] op_sel:[0,0,1] op_sel_hi:[1,1,0] neg_lo:[0,0,1] neg_hi:[0,0,1]
	v_pk_fma_f32 v[106:107], v[108:109], v[96:97], v[106:107] op_sel:[0,0,1] op_sel_hi:[1,0,0]
	v_mov_b32_e32 v111, v107
	ds_load_2addr_b64 v[106:109], v100 offset0:19 offset1:20
	v_pk_add_f32 v[72:73], v[72:73], v[112:113] neg_lo:[0,1] neg_hi:[0,1]
	v_pk_add_f32 v[74:75], v[74:75], v[110:111] neg_lo:[0,1] neg_hi:[0,1]
	s_wait_dscnt 0x0
	v_dual_mul_f32 v110, v107, v99 :: v_dual_mul_f32 v112, v107, v96
	s_delay_alu instid0(VALU_DEP_1) | instskip(NEXT) | instid1(VALU_DEP_2)
	v_pk_fma_f32 v[110:111], v[106:107], v[50:51], v[110:111] op_sel_hi:[1,1,0] neg_lo:[0,0,1] neg_hi:[0,0,1]
	v_pk_fma_f32 v[106:107], v[106:107], v[50:51], v[112:113] op_sel:[1,0,0] op_sel_hi:[0,1,0]
	s_delay_alu instid0(VALU_DEP_1) | instskip(SKIP_1) | instid1(VALU_DEP_2)
	v_mov_b32_e32 v111, v107
	v_pk_mul_f32 v[106:107], v[108:109], v[98:99] op_sel:[0,1]
	v_pk_add_f32 v[70:71], v[70:71], v[110:111] neg_lo:[0,1] neg_hi:[0,1]
	s_delay_alu instid0(VALU_DEP_2) | instskip(SKIP_1) | instid1(VALU_DEP_1)
	v_pk_fma_f32 v[110:111], v[108:109], v[96:97], v[106:107] op_sel:[0,0,1] op_sel_hi:[1,1,0] neg_lo:[0,0,1] neg_hi:[0,0,1]
	v_pk_fma_f32 v[106:107], v[108:109], v[96:97], v[106:107] op_sel:[0,0,1] op_sel_hi:[1,0,0]
	v_mov_b32_e32 v111, v107
	ds_load_2addr_b64 v[106:109], v100 offset0:21 offset1:22
	v_pk_add_f32 v[68:69], v[68:69], v[110:111] neg_lo:[0,1] neg_hi:[0,1]
	s_wait_dscnt 0x0
	v_pk_mul_f32 v[110:111], v[106:107], v[98:99] op_sel:[0,1]
	s_delay_alu instid0(VALU_DEP_1) | instskip(SKIP_1) | instid1(VALU_DEP_1)
	v_pk_fma_f32 v[112:113], v[106:107], v[96:97], v[110:111] op_sel:[0,0,1] op_sel_hi:[1,1,0] neg_lo:[0,0,1] neg_hi:[0,0,1]
	v_pk_fma_f32 v[106:107], v[106:107], v[96:97], v[110:111] op_sel:[0,0,1] op_sel_hi:[1,0,0]
	v_mov_b32_e32 v113, v107
	v_pk_mul_f32 v[106:107], v[108:109], v[98:99] op_sel:[0,1]
	s_delay_alu instid0(VALU_DEP_2) | instskip(NEXT) | instid1(VALU_DEP_2)
	v_pk_add_f32 v[64:65], v[64:65], v[112:113] neg_lo:[0,1] neg_hi:[0,1]
	v_pk_fma_f32 v[110:111], v[108:109], v[96:97], v[106:107] op_sel:[0,0,1] op_sel_hi:[1,1,0] neg_lo:[0,0,1] neg_hi:[0,0,1]
	v_pk_fma_f32 v[106:107], v[108:109], v[96:97], v[106:107] op_sel:[0,0,1] op_sel_hi:[1,0,0]
	s_delay_alu instid0(VALU_DEP_1) | instskip(SKIP_4) | instid1(VALU_DEP_1)
	v_mov_b32_e32 v111, v107
	ds_load_2addr_b64 v[106:109], v100 offset0:23 offset1:24
	v_pk_add_f32 v[66:67], v[66:67], v[110:111] neg_lo:[0,1] neg_hi:[0,1]
	s_wait_dscnt 0x0
	v_pk_mul_f32 v[110:111], v[106:107], v[98:99] op_sel:[0,1]
	v_pk_fma_f32 v[112:113], v[106:107], v[96:97], v[110:111] op_sel:[0,0,1] op_sel_hi:[1,1,0] neg_lo:[0,0,1] neg_hi:[0,0,1]
	v_pk_fma_f32 v[106:107], v[106:107], v[96:97], v[110:111] op_sel:[0,0,1] op_sel_hi:[1,0,0]
	v_dual_mul_f32 v110, v109, v99 :: v_dual_mov_b32 v106, v109
	s_delay_alu instid0(VALU_DEP_2) | instskip(NEXT) | instid1(VALU_DEP_2)
	v_dual_mov_b32 v113, v107 :: v_dual_mov_b32 v107, v108
	v_pk_fma_f32 v[110:111], v[108:109], v[50:51], v[110:111] op_sel_hi:[1,1,0] neg_lo:[0,0,1] neg_hi:[0,0,1]
	v_mul_f32_e32 v108, v109, v96
	s_delay_alu instid0(VALU_DEP_3) | instskip(NEXT) | instid1(VALU_DEP_2)
	v_pk_add_f32 v[62:63], v[62:63], v[112:113] neg_lo:[0,1] neg_hi:[0,1]
	v_pk_fma_f32 v[106:107], v[106:107], v[50:51], v[108:109] op_sel_hi:[1,1,0]
	s_delay_alu instid0(VALU_DEP_1) | instskip(SKIP_4) | instid1(VALU_DEP_1)
	v_mov_b32_e32 v111, v107
	ds_load_2addr_b64 v[106:109], v100 offset0:25 offset1:26
	v_pk_add_f32 v[60:61], v[60:61], v[110:111] neg_lo:[0,1] neg_hi:[0,1]
	s_wait_dscnt 0x0
	v_pk_mul_f32 v[110:111], v[106:107], v[98:99] op_sel:[0,1]
	v_pk_fma_f32 v[112:113], v[106:107], v[96:97], v[110:111] op_sel:[0,0,1] op_sel_hi:[1,1,0] neg_lo:[0,0,1] neg_hi:[0,0,1]
	v_pk_fma_f32 v[106:107], v[106:107], v[96:97], v[110:111] op_sel:[0,0,1] op_sel_hi:[1,0,0]
	s_delay_alu instid0(VALU_DEP_1) | instskip(SKIP_1) | instid1(VALU_DEP_1)
	v_mov_b32_e32 v113, v107
	v_pk_mul_f32 v[106:107], v[108:109], v[98:99] op_sel:[0,1]
	v_pk_fma_f32 v[110:111], v[108:109], v[96:97], v[106:107] op_sel:[0,0,1] op_sel_hi:[1,1,0] neg_lo:[0,0,1] neg_hi:[0,0,1]
	v_pk_fma_f32 v[106:107], v[108:109], v[96:97], v[106:107] op_sel:[0,0,1] op_sel_hi:[1,0,0]
	s_delay_alu instid0(VALU_DEP_1)
	v_mov_b32_e32 v111, v107
	ds_load_2addr_b64 v[106:109], v100 offset0:27 offset1:28
	v_pk_add_f32 v[56:57], v[56:57], v[112:113] neg_lo:[0,1] neg_hi:[0,1]
	v_pk_add_f32 v[58:59], v[58:59], v[110:111] neg_lo:[0,1] neg_hi:[0,1]
	s_wait_dscnt 0x0
	v_pk_mul_f32 v[110:111], v[106:107], v[98:99] op_sel:[0,1]
	s_delay_alu instid0(VALU_DEP_1) | instskip(SKIP_1) | instid1(VALU_DEP_1)
	v_pk_fma_f32 v[112:113], v[106:107], v[96:97], v[110:111] op_sel:[0,0,1] op_sel_hi:[1,1,0] neg_lo:[0,0,1] neg_hi:[0,0,1]
	v_pk_fma_f32 v[106:107], v[106:107], v[96:97], v[110:111] op_sel:[0,0,1] op_sel_hi:[1,0,0]
	v_mov_b32_e32 v113, v107
	v_pk_mul_f32 v[106:107], v[108:109], v[98:99] op_sel:[0,1]
	s_delay_alu instid0(VALU_DEP_1) | instskip(SKIP_1) | instid1(VALU_DEP_1)
	v_pk_fma_f32 v[110:111], v[108:109], v[96:97], v[106:107] op_sel:[0,0,1] op_sel_hi:[1,1,0] neg_lo:[0,0,1] neg_hi:[0,0,1]
	v_pk_fma_f32 v[106:107], v[108:109], v[96:97], v[106:107] op_sel:[0,0,1] op_sel_hi:[1,0,0]
	v_mov_b32_e32 v111, v107
	ds_load_2addr_b64 v[106:109], v100 offset0:29 offset1:30
	v_pk_add_f32 v[54:55], v[54:55], v[112:113] neg_lo:[0,1] neg_hi:[0,1]
	v_pk_add_f32 v[48:49], v[48:49], v[110:111] neg_lo:[0,1] neg_hi:[0,1]
	s_wait_dscnt 0x0
	v_dual_mul_f32 v110, v107, v99 :: v_dual_mul_f32 v112, v107, v96
	s_delay_alu instid0(VALU_DEP_1) | instskip(NEXT) | instid1(VALU_DEP_2)
	v_pk_fma_f32 v[110:111], v[106:107], v[50:51], v[110:111] op_sel_hi:[1,1,0] neg_lo:[0,0,1] neg_hi:[0,0,1]
	v_pk_fma_f32 v[106:107], v[106:107], v[50:51], v[112:113] op_sel:[1,0,0] op_sel_hi:[0,1,0]
	s_delay_alu instid0(VALU_DEP_1) | instskip(SKIP_1) | instid1(VALU_DEP_2)
	v_mov_b32_e32 v111, v107
	v_pk_mul_f32 v[106:107], v[108:109], v[98:99] op_sel:[0,1]
	v_pk_add_f32 v[40:41], v[40:41], v[110:111] neg_lo:[0,1] neg_hi:[0,1]
	s_delay_alu instid0(VALU_DEP_2) | instskip(SKIP_1) | instid1(VALU_DEP_1)
	v_pk_fma_f32 v[110:111], v[108:109], v[96:97], v[106:107] op_sel:[0,0,1] op_sel_hi:[1,1,0] neg_lo:[0,0,1] neg_hi:[0,0,1]
	v_pk_fma_f32 v[106:107], v[108:109], v[96:97], v[106:107] op_sel:[0,0,1] op_sel_hi:[1,0,0]
	v_mov_b32_e32 v111, v107
	ds_load_2addr_b64 v[106:109], v100 offset0:31 offset1:32
	v_pk_add_f32 v[46:47], v[46:47], v[110:111] neg_lo:[0,1] neg_hi:[0,1]
	s_wait_dscnt 0x0
	v_pk_mul_f32 v[110:111], v[106:107], v[98:99] op_sel:[0,1]
	s_delay_alu instid0(VALU_DEP_1) | instskip(SKIP_1) | instid1(VALU_DEP_1)
	v_pk_fma_f32 v[112:113], v[106:107], v[96:97], v[110:111] op_sel:[0,0,1] op_sel_hi:[1,1,0] neg_lo:[0,0,1] neg_hi:[0,0,1]
	v_pk_fma_f32 v[106:107], v[106:107], v[96:97], v[110:111] op_sel:[0,0,1] op_sel_hi:[1,0,0]
	v_mov_b32_e32 v113, v107
	v_pk_mul_f32 v[106:107], v[108:109], v[98:99] op_sel:[0,1]
	s_delay_alu instid0(VALU_DEP_2) | instskip(NEXT) | instid1(VALU_DEP_2)
	v_pk_add_f32 v[38:39], v[38:39], v[112:113] neg_lo:[0,1] neg_hi:[0,1]
	v_pk_fma_f32 v[110:111], v[108:109], v[96:97], v[106:107] op_sel:[0,0,1] op_sel_hi:[1,1,0] neg_lo:[0,0,1] neg_hi:[0,0,1]
	v_pk_fma_f32 v[106:107], v[108:109], v[96:97], v[106:107] op_sel:[0,0,1] op_sel_hi:[1,0,0]
	s_delay_alu instid0(VALU_DEP_1) | instskip(SKIP_4) | instid1(VALU_DEP_1)
	v_mov_b32_e32 v111, v107
	ds_load_2addr_b64 v[106:109], v100 offset0:33 offset1:34
	v_pk_add_f32 v[30:31], v[30:31], v[110:111] neg_lo:[0,1] neg_hi:[0,1]
	s_wait_dscnt 0x0
	v_pk_mul_f32 v[110:111], v[106:107], v[98:99] op_sel:[0,1]
	v_pk_fma_f32 v[112:113], v[106:107], v[96:97], v[110:111] op_sel:[0,0,1] op_sel_hi:[1,1,0] neg_lo:[0,0,1] neg_hi:[0,0,1]
	v_pk_fma_f32 v[106:107], v[106:107], v[96:97], v[110:111] op_sel:[0,0,1] op_sel_hi:[1,0,0]
	v_dual_mul_f32 v110, v109, v99 :: v_dual_mov_b32 v106, v109
	s_delay_alu instid0(VALU_DEP_2) | instskip(NEXT) | instid1(VALU_DEP_2)
	v_dual_mov_b32 v113, v107 :: v_dual_mov_b32 v107, v108
	v_pk_fma_f32 v[110:111], v[108:109], v[50:51], v[110:111] op_sel_hi:[1,1,0] neg_lo:[0,0,1] neg_hi:[0,0,1]
	v_mul_f32_e32 v108, v109, v96
	s_delay_alu instid0(VALU_DEP_3) | instskip(NEXT) | instid1(VALU_DEP_2)
	v_pk_add_f32 v[22:23], v[22:23], v[112:113] neg_lo:[0,1] neg_hi:[0,1]
	v_pk_fma_f32 v[106:107], v[106:107], v[50:51], v[108:109] op_sel_hi:[1,1,0]
	s_delay_alu instid0(VALU_DEP_1) | instskip(SKIP_4) | instid1(VALU_DEP_1)
	v_mov_b32_e32 v111, v107
	ds_load_2addr_b64 v[106:109], v100 offset0:35 offset1:36
	v_pk_add_f32 v[28:29], v[28:29], v[110:111] neg_lo:[0,1] neg_hi:[0,1]
	s_wait_dscnt 0x0
	v_pk_mul_f32 v[110:111], v[106:107], v[98:99] op_sel:[0,1]
	v_pk_fma_f32 v[112:113], v[106:107], v[96:97], v[110:111] op_sel:[0,0,1] op_sel_hi:[1,1,0] neg_lo:[0,0,1] neg_hi:[0,0,1]
	v_pk_fma_f32 v[106:107], v[106:107], v[96:97], v[110:111] op_sel:[0,0,1] op_sel_hi:[1,0,0]
	s_delay_alu instid0(VALU_DEP_1) | instskip(SKIP_1) | instid1(VALU_DEP_1)
	v_mov_b32_e32 v113, v107
	v_pk_mul_f32 v[106:107], v[108:109], v[98:99] op_sel:[0,1]
	v_pk_fma_f32 v[110:111], v[108:109], v[96:97], v[106:107] op_sel:[0,0,1] op_sel_hi:[1,1,0] neg_lo:[0,0,1] neg_hi:[0,0,1]
	v_pk_fma_f32 v[106:107], v[108:109], v[96:97], v[106:107] op_sel:[0,0,1] op_sel_hi:[1,0,0]
	s_delay_alu instid0(VALU_DEP_1)
	v_mov_b32_e32 v111, v107
	ds_load_2addr_b64 v[106:109], v100 offset0:37 offset1:38
	v_pk_add_f32 v[20:21], v[20:21], v[112:113] neg_lo:[0,1] neg_hi:[0,1]
	v_pk_add_f32 v[14:15], v[14:15], v[110:111] neg_lo:[0,1] neg_hi:[0,1]
	s_wait_dscnt 0x0
	v_pk_mul_f32 v[110:111], v[106:107], v[98:99] op_sel:[0,1]
	s_delay_alu instid0(VALU_DEP_1) | instskip(SKIP_1) | instid1(VALU_DEP_1)
	v_pk_fma_f32 v[112:113], v[106:107], v[96:97], v[110:111] op_sel:[0,0,1] op_sel_hi:[1,1,0] neg_lo:[0,0,1] neg_hi:[0,0,1]
	v_pk_fma_f32 v[106:107], v[106:107], v[96:97], v[110:111] op_sel:[0,0,1] op_sel_hi:[1,0,0]
	v_mov_b32_e32 v113, v107
	v_pk_mul_f32 v[106:107], v[108:109], v[98:99] op_sel:[0,1]
	s_delay_alu instid0(VALU_DEP_1) | instskip(SKIP_1) | instid1(VALU_DEP_1)
	v_pk_fma_f32 v[110:111], v[108:109], v[96:97], v[106:107] op_sel:[0,0,1] op_sel_hi:[1,1,0] neg_lo:[0,0,1] neg_hi:[0,0,1]
	v_pk_fma_f32 v[106:107], v[108:109], v[96:97], v[106:107] op_sel:[0,0,1] op_sel_hi:[1,0,0]
	v_mov_b32_e32 v111, v107
	ds_load_2addr_b64 v[106:109], v100 offset0:39 offset1:40
	v_pk_add_f32 v[10:11], v[10:11], v[112:113] neg_lo:[0,1] neg_hi:[0,1]
	v_pk_add_f32 v[12:13], v[12:13], v[110:111] neg_lo:[0,1] neg_hi:[0,1]
	s_wait_dscnt 0x0
	v_dual_mul_f32 v110, v107, v99 :: v_dual_mul_f32 v112, v107, v96
	s_delay_alu instid0(VALU_DEP_1) | instskip(NEXT) | instid1(VALU_DEP_2)
	v_pk_fma_f32 v[110:111], v[106:107], v[50:51], v[110:111] op_sel_hi:[1,1,0] neg_lo:[0,0,1] neg_hi:[0,0,1]
	v_pk_fma_f32 v[106:107], v[106:107], v[50:51], v[112:113] op_sel:[1,0,0] op_sel_hi:[0,1,0]
	s_delay_alu instid0(VALU_DEP_1) | instskip(SKIP_1) | instid1(VALU_DEP_2)
	v_mov_b32_e32 v111, v107
	v_pk_mul_f32 v[106:107], v[108:109], v[98:99] op_sel:[0,1]
	v_pk_add_f32 v[8:9], v[8:9], v[110:111] neg_lo:[0,1] neg_hi:[0,1]
	s_delay_alu instid0(VALU_DEP_2) | instskip(SKIP_1) | instid1(VALU_DEP_1)
	v_pk_fma_f32 v[110:111], v[108:109], v[96:97], v[106:107] op_sel:[0,0,1] op_sel_hi:[1,1,0] neg_lo:[0,0,1] neg_hi:[0,0,1]
	v_pk_fma_f32 v[106:107], v[108:109], v[96:97], v[106:107] op_sel:[0,0,1] op_sel_hi:[1,0,0]
	v_mov_b32_e32 v111, v107
	ds_load_2addr_b64 v[106:109], v100 offset0:41 offset1:42
	v_pk_add_f32 v[6:7], v[6:7], v[110:111] neg_lo:[0,1] neg_hi:[0,1]
	s_wait_dscnt 0x0
	v_pk_mul_f32 v[110:111], v[106:107], v[98:99] op_sel:[0,1]
	s_delay_alu instid0(VALU_DEP_1) | instskip(SKIP_1) | instid1(VALU_DEP_1)
	v_pk_fma_f32 v[112:113], v[106:107], v[96:97], v[110:111] op_sel:[0,0,1] op_sel_hi:[1,1,0] neg_lo:[0,0,1] neg_hi:[0,0,1]
	v_pk_fma_f32 v[106:107], v[106:107], v[96:97], v[110:111] op_sel:[0,0,1] op_sel_hi:[1,0,0]
	v_mov_b32_e32 v113, v107
	v_pk_mul_f32 v[106:107], v[108:109], v[98:99] op_sel:[0,1]
	s_delay_alu instid0(VALU_DEP_2) | instskip(NEXT) | instid1(VALU_DEP_2)
	v_pk_add_f32 v[36:37], v[36:37], v[112:113] neg_lo:[0,1] neg_hi:[0,1]
	v_pk_fma_f32 v[110:111], v[108:109], v[96:97], v[106:107] op_sel:[0,0,1] op_sel_hi:[1,1,0] neg_lo:[0,0,1] neg_hi:[0,0,1]
	v_pk_fma_f32 v[106:107], v[108:109], v[96:97], v[106:107] op_sel:[0,0,1] op_sel_hi:[1,0,0]
	s_delay_alu instid0(VALU_DEP_1)
	v_mov_b32_e32 v111, v107
	ds_load_2addr_b64 v[106:109], v100 offset0:43 offset1:44
	v_pk_add_f32 v[18:19], v[18:19], v[110:111] neg_lo:[0,1] neg_hi:[0,1]
	s_wait_dscnt 0x0
	v_pk_mul_f32 v[110:111], v[106:107], v[98:99] op_sel:[0,1]
	v_pk_mul_f32 v[98:99], v[108:109], v[98:99] op_sel:[0,1]
	s_delay_alu instid0(VALU_DEP_2) | instskip(SKIP_1) | instid1(VALU_DEP_1)
	v_pk_fma_f32 v[112:113], v[106:107], v[96:97], v[110:111] op_sel:[0,0,1] op_sel_hi:[1,1,0] neg_lo:[0,0,1] neg_hi:[0,0,1]
	v_pk_fma_f32 v[106:107], v[106:107], v[96:97], v[110:111] op_sel:[0,0,1] op_sel_hi:[1,0,0]
	v_mov_b32_e32 v113, v107
	s_delay_alu instid0(VALU_DEP_4) | instskip(SKIP_1) | instid1(VALU_DEP_3)
	v_pk_fma_f32 v[106:107], v[108:109], v[96:97], v[98:99] op_sel:[0,0,1] op_sel_hi:[1,1,0] neg_lo:[0,0,1] neg_hi:[0,0,1]
	v_pk_fma_f32 v[96:97], v[108:109], v[96:97], v[98:99] op_sel:[0,0,1] op_sel_hi:[1,0,0]
	v_pk_add_f32 v[16:17], v[16:17], v[112:113] neg_lo:[0,1] neg_hi:[0,1]
	s_delay_alu instid0(VALU_DEP_2) | instskip(NEXT) | instid1(VALU_DEP_1)
	v_mov_b32_e32 v107, v97
	v_pk_add_f32 v[94:95], v[94:95], v[106:107] neg_lo:[0,1] neg_hi:[0,1]
.LBB88_230:
	s_or_b32 exec_lo, exec_lo, s0
	v_lshl_add_u32 v96, v104, 3, v100
	s_barrier_signal -1
	s_barrier_wait -1
	ds_store_b64 v96, v[42:43]
	s_wait_dscnt 0x0
	s_barrier_signal -1
	s_barrier_wait -1
	ds_load_b64 v[98:99], v100 offset:88
	v_mov_b32_e32 v96, 11
	s_cmp_lt_i32 s18, 13
	s_cbranch_scc1 .LBB88_233
; %bb.231:
	v_add3_u32 v97, v101, 0, 0x60
	v_mov_b32_e32 v96, 11
	s_mov_b32 s0, 12
.LBB88_232:                             ; =>This Inner Loop Header: Depth=1
	ds_load_b64 v[106:107], v97
	s_wait_dscnt 0x1
	v_cmp_gt_f32_e32 vcc_lo, 0, v98
	v_cndmask_b32_e64 v108, v98, -v98, vcc_lo
	v_cmp_gt_f32_e32 vcc_lo, 0, v99
	v_cndmask_b32_e64 v110, v99, -v99, vcc_lo
	s_wait_dscnt 0x0
	v_cmp_gt_f32_e32 vcc_lo, 0, v106
	v_cndmask_b32_e64 v109, v106, -v106, vcc_lo
	v_cmp_gt_f32_e32 vcc_lo, 0, v107
	v_cndmask_b32_e64 v111, v107, -v107, vcc_lo
	s_delay_alu instid0(VALU_DEP_1) | instskip(NEXT) | instid1(VALU_DEP_1)
	v_pk_add_f32 v[108:109], v[108:109], v[110:111]
	v_cmp_lt_f32_e32 vcc_lo, v108, v109
	v_dual_add_nc_u32 v97, 8, v97 :: v_dual_cndmask_b32 v99, v99, v107, vcc_lo
	v_cndmask_b32_e32 v98, v98, v106, vcc_lo
	v_cndmask_b32_e64 v96, v96, s0, vcc_lo
	s_add_co_i32 s0, s0, 1
	s_delay_alu instid0(SALU_CYCLE_1)
	s_cmp_lg_u32 s18, s0
	s_cbranch_scc1 .LBB88_232
.LBB88_233:
	s_wait_dscnt 0x0
	v_cmp_eq_f32_e32 vcc_lo, 0, v98
	v_cmp_eq_f32_e64 s0, 0, v99
	s_and_b32 s0, vcc_lo, s0
	s_delay_alu instid0(SALU_CYCLE_1) | instskip(NEXT) | instid1(SALU_CYCLE_1)
	s_and_saveexec_b32 s1, s0
	s_xor_b32 s0, exec_lo, s1
; %bb.234:
	v_cmp_ne_u32_e32 vcc_lo, 0, v102
	v_cndmask_b32_e32 v102, 12, v102, vcc_lo
; %bb.235:
	s_and_not1_saveexec_b32 s0, s0
	s_cbranch_execz .LBB88_241
; %bb.236:
	v_cmp_ngt_f32_e64 s1, |v98|, |v99|
	s_and_saveexec_b32 s12, s1
	s_delay_alu instid0(SALU_CYCLE_1)
	s_xor_b32 s1, exec_lo, s12
	s_cbranch_execz .LBB88_238
; %bb.237:
	v_div_scale_f32 v97, null, v99, v99, v98
	v_div_scale_f32 v107, vcc_lo, v98, v99, v98
	s_delay_alu instid0(VALU_DEP_2) | instskip(SKIP_1) | instid1(TRANS32_DEP_1)
	v_rcp_f32_e32 v105, v97
	v_nop
	v_fma_f32 v106, -v97, v105, 1.0
	s_delay_alu instid0(VALU_DEP_1) | instskip(NEXT) | instid1(VALU_DEP_1)
	v_fmac_f32_e32 v105, v106, v105
	v_mul_f32_e32 v106, v107, v105
	s_delay_alu instid0(VALU_DEP_1) | instskip(NEXT) | instid1(VALU_DEP_1)
	v_fma_f32 v108, -v97, v106, v107
	v_fmac_f32_e32 v106, v108, v105
	s_delay_alu instid0(VALU_DEP_1) | instskip(NEXT) | instid1(VALU_DEP_1)
	v_fma_f32 v97, -v97, v106, v107
	v_div_fmas_f32 v97, v97, v105, v106
	s_delay_alu instid0(VALU_DEP_1) | instskip(NEXT) | instid1(VALU_DEP_1)
	v_div_fixup_f32 v97, v97, v99, v98
	v_fmac_f32_e32 v99, v98, v97
	s_delay_alu instid0(VALU_DEP_1) | instskip(SKIP_1) | instid1(VALU_DEP_2)
	v_div_scale_f32 v98, null, v99, v99, 1.0
	v_div_scale_f32 v107, vcc_lo, 1.0, v99, 1.0
	v_rcp_f32_e32 v105, v98
	v_nop
	s_delay_alu instid0(TRANS32_DEP_1) | instskip(NEXT) | instid1(VALU_DEP_1)
	v_fma_f32 v106, -v98, v105, 1.0
	v_fmac_f32_e32 v105, v106, v105
	s_delay_alu instid0(VALU_DEP_1) | instskip(NEXT) | instid1(VALU_DEP_1)
	v_mul_f32_e32 v106, v107, v105
	v_fma_f32 v108, -v98, v106, v107
	s_delay_alu instid0(VALU_DEP_1) | instskip(NEXT) | instid1(VALU_DEP_1)
	v_fmac_f32_e32 v106, v108, v105
	v_fma_f32 v98, -v98, v106, v107
	s_delay_alu instid0(VALU_DEP_1) | instskip(NEXT) | instid1(VALU_DEP_1)
	v_div_fmas_f32 v98, v98, v105, v106
	v_div_fixup_f32 v99, v98, v99, 1.0
	s_delay_alu instid0(VALU_DEP_1)
	v_mul_f32_e32 v98, v97, v99
	v_xor_b32_e32 v99, 0x80000000, v99
.LBB88_238:
	s_and_not1_saveexec_b32 s1, s1
	s_cbranch_execz .LBB88_240
; %bb.239:
	s_delay_alu instid0(VALU_DEP_1) | instskip(SKIP_1) | instid1(VALU_DEP_2)
	v_div_scale_f32 v97, null, v98, v98, v99
	v_div_scale_f32 v107, vcc_lo, v99, v98, v99
	v_rcp_f32_e32 v105, v97
	v_nop
	s_delay_alu instid0(TRANS32_DEP_1) | instskip(NEXT) | instid1(VALU_DEP_1)
	v_fma_f32 v106, -v97, v105, 1.0
	v_fmac_f32_e32 v105, v106, v105
	s_delay_alu instid0(VALU_DEP_1) | instskip(NEXT) | instid1(VALU_DEP_1)
	v_mul_f32_e32 v106, v107, v105
	v_fma_f32 v108, -v97, v106, v107
	s_delay_alu instid0(VALU_DEP_1) | instskip(NEXT) | instid1(VALU_DEP_1)
	v_fmac_f32_e32 v106, v108, v105
	v_fma_f32 v97, -v97, v106, v107
	s_delay_alu instid0(VALU_DEP_1) | instskip(NEXT) | instid1(VALU_DEP_1)
	v_div_fmas_f32 v97, v97, v105, v106
	v_div_fixup_f32 v97, v97, v98, v99
	s_delay_alu instid0(VALU_DEP_1) | instskip(NEXT) | instid1(VALU_DEP_1)
	v_fmac_f32_e32 v98, v99, v97
	v_div_scale_f32 v99, null, v98, v98, 1.0
	s_delay_alu instid0(VALU_DEP_1) | instskip(SKIP_1) | instid1(TRANS32_DEP_1)
	v_rcp_f32_e32 v105, v99
	v_nop
	v_fma_f32 v106, -v99, v105, 1.0
	s_delay_alu instid0(VALU_DEP_1) | instskip(SKIP_1) | instid1(VALU_DEP_1)
	v_fmac_f32_e32 v105, v106, v105
	v_div_scale_f32 v106, vcc_lo, 1.0, v98, 1.0
	v_mul_f32_e32 v107, v106, v105
	s_delay_alu instid0(VALU_DEP_1) | instskip(NEXT) | instid1(VALU_DEP_1)
	v_fma_f32 v108, -v99, v107, v106
	v_fmac_f32_e32 v107, v108, v105
	s_delay_alu instid0(VALU_DEP_1) | instskip(NEXT) | instid1(VALU_DEP_1)
	v_fma_f32 v99, -v99, v107, v106
	v_div_fmas_f32 v99, v99, v105, v107
	s_delay_alu instid0(VALU_DEP_1) | instskip(NEXT) | instid1(VALU_DEP_1)
	v_div_fixup_f32 v98, v99, v98, 1.0
	v_mul_f32_e64 v99, v97, -v98
.LBB88_240:
	s_or_b32 exec_lo, exec_lo, s1
.LBB88_241:
	s_delay_alu instid0(SALU_CYCLE_1) | instskip(NEXT) | instid1(SALU_CYCLE_1)
	s_or_b32 exec_lo, exec_lo, s0
	s_mov_b32 s0, exec_lo
	v_cmpx_ne_u32_e64 v104, v96
	s_xor_b32 s0, exec_lo, s0
	s_cbranch_execz .LBB88_247
; %bb.242:
	s_mov_b32 s1, exec_lo
	v_cmpx_eq_u32_e32 11, v104
	s_cbranch_execz .LBB88_246
; %bb.243:
	v_cmp_ne_u32_e32 vcc_lo, 11, v96
	s_xor_b32 s12, s16, -1
	s_delay_alu instid0(SALU_CYCLE_1) | instskip(NEXT) | instid1(SALU_CYCLE_1)
	s_and_b32 s13, s12, vcc_lo
	s_and_saveexec_b32 s12, s13
	s_cbranch_execz .LBB88_245
; %bb.244:
	v_ashrrev_i32_e32 v97, 31, v96
	s_delay_alu instid0(VALU_DEP_1)
	v_lshl_add_u64 v[104:105], v[96:97], 2, v[4:5]
	s_clause 0x1
	global_load_b32 v97, v[104:105], off
	global_load_b32 v103, v[4:5], off offset:44
	s_wait_loadcnt 0x1
	global_store_b32 v[4:5], v97, off offset:44
	s_wait_loadcnt 0x0
	global_store_b32 v[104:105], v103, off
.LBB88_245:
	s_wait_xcnt 0x0
	s_or_b32 exec_lo, exec_lo, s12
	v_dual_mov_b32 v104, v96 :: v_dual_mov_b32 v103, v96
.LBB88_246:
	s_or_b32 exec_lo, exec_lo, s1
.LBB88_247:
	s_and_not1_saveexec_b32 s0, s0
	s_cbranch_execz .LBB88_249
; %bb.248:
	v_dual_mov_b32 v96, v84 :: v_dual_mov_b32 v97, v85
	v_dual_mov_b32 v104, v80 :: v_dual_mov_b32 v105, v81
	v_dual_mov_b32 v106, v82 :: v_dual_mov_b32 v107, v83
	v_dual_mov_b32 v108, v78 :: v_dual_mov_b32 v109, v79
	v_dual_mov_b32 v110, v76 :: v_dual_mov_b32 v111, v77
	v_dual_mov_b32 v112, v72 :: v_dual_mov_b32 v113, v73
	v_dual_mov_b32 v114, v74 :: v_dual_mov_b32 v115, v75
	v_dual_mov_b32 v116, v70 :: v_dual_mov_b32 v117, v71
	v_dual_mov_b32 v118, v68 :: v_dual_mov_b32 v119, v69
	v_dual_mov_b32 v120, v64 :: v_dual_mov_b32 v121, v65
	v_dual_mov_b32 v122, v66 :: v_dual_mov_b32 v123, v67
	v_dual_mov_b32 v124, v62 :: v_dual_mov_b32 v125, v63
	ds_store_2addr_b64 v100, v[96:97], v[104:105] offset0:12 offset1:13
	ds_store_2addr_b64 v100, v[106:107], v[108:109] offset0:14 offset1:15
	;; [unrolled: 1-line block ×6, first 2 shown]
	v_dual_mov_b32 v96, v60 :: v_dual_mov_b32 v97, v61
	v_dual_mov_b32 v104, v56 :: v_dual_mov_b32 v105, v57
	;; [unrolled: 1-line block ×12, first 2 shown]
	ds_store_2addr_b64 v100, v[96:97], v[104:105] offset0:24 offset1:25
	ds_store_2addr_b64 v100, v[106:107], v[108:109] offset0:26 offset1:27
	;; [unrolled: 1-line block ×6, first 2 shown]
	v_dual_mov_b32 v96, v14 :: v_dual_mov_b32 v97, v15
	v_dual_mov_b32 v106, v10 :: v_dual_mov_b32 v107, v11
	;; [unrolled: 1-line block ×8, first 2 shown]
	v_mov_b32_e32 v119, v17
	ds_store_2addr_b64 v100, v[96:97], v[106:107] offset0:36 offset1:37
	ds_store_2addr_b64 v100, v[108:109], v[110:111] offset0:38 offset1:39
	;; [unrolled: 1-line block ×4, first 2 shown]
	ds_store_b64 v100, v[94:95] offset:352
.LBB88_249:
	s_or_b32 exec_lo, exec_lo, s0
	s_delay_alu instid0(SALU_CYCLE_1)
	s_mov_b32 s0, exec_lo
	s_wait_storecnt_dscnt 0x0
	s_barrier_signal -1
	s_barrier_wait -1
	v_cmpx_lt_i32_e32 11, v104
	s_cbranch_execz .LBB88_251
; %bb.250:
	v_pk_mul_f32 v[106:107], v[98:99], v[42:43] op_sel:[1,1] op_sel_hi:[0,1]
	s_delay_alu instid0(VALU_DEP_1)
	v_pk_fma_f32 v[96:97], v[98:99], v[42:43], v[106:107] op_sel_hi:[1,0,1] neg_lo:[0,0,1] neg_hi:[0,0,1]
	v_pk_fma_f32 v[98:99], v[98:99], v[42:43], v[106:107] op_sel_hi:[1,0,1]
	ds_load_2addr_b64 v[106:109], v100 offset0:12 offset1:13
	v_dual_mov_b32 v42, v96 :: v_dual_mov_b32 v43, v99
	s_wait_dscnt 0x0
	v_pk_mul_f32 v[110:111], v[106:107], v[98:99] op_sel:[0,1]
	s_delay_alu instid0(VALU_DEP_1) | instskip(SKIP_1) | instid1(VALU_DEP_1)
	v_pk_fma_f32 v[112:113], v[106:107], v[96:97], v[110:111] op_sel:[0,0,1] op_sel_hi:[1,1,0] neg_lo:[0,0,1] neg_hi:[0,0,1]
	v_pk_fma_f32 v[106:107], v[106:107], v[96:97], v[110:111] op_sel:[0,0,1] op_sel_hi:[1,0,0]
	v_mov_b32_e32 v113, v107
	v_pk_mul_f32 v[106:107], v[108:109], v[98:99] op_sel:[0,1]
	s_delay_alu instid0(VALU_DEP_1) | instskip(SKIP_1) | instid1(VALU_DEP_1)
	v_pk_fma_f32 v[110:111], v[108:109], v[96:97], v[106:107] op_sel:[0,0,1] op_sel_hi:[1,1,0] neg_lo:[0,0,1] neg_hi:[0,0,1]
	v_pk_fma_f32 v[106:107], v[108:109], v[96:97], v[106:107] op_sel:[0,0,1] op_sel_hi:[1,0,0]
	v_mov_b32_e32 v111, v107
	ds_load_2addr_b64 v[106:109], v100 offset0:14 offset1:15
	v_pk_add_f32 v[84:85], v[84:85], v[112:113] neg_lo:[0,1] neg_hi:[0,1]
	v_pk_add_f32 v[80:81], v[80:81], v[110:111] neg_lo:[0,1] neg_hi:[0,1]
	s_wait_dscnt 0x0
	v_pk_mul_f32 v[110:111], v[106:107], v[98:99] op_sel:[0,1]
	s_delay_alu instid0(VALU_DEP_1) | instskip(SKIP_2) | instid1(VALU_DEP_2)
	v_pk_fma_f32 v[112:113], v[106:107], v[96:97], v[110:111] op_sel:[0,0,1] op_sel_hi:[1,1,0] neg_lo:[0,0,1] neg_hi:[0,0,1]
	v_pk_fma_f32 v[106:107], v[106:107], v[96:97], v[110:111] op_sel:[0,0,1] op_sel_hi:[1,0,0]
	v_dual_mul_f32 v110, v109, v99 :: v_dual_mov_b32 v106, v109
	v_dual_mov_b32 v113, v107 :: v_dual_mov_b32 v107, v108
	s_delay_alu instid0(VALU_DEP_2) | instskip(SKIP_1) | instid1(VALU_DEP_3)
	v_pk_fma_f32 v[110:111], v[108:109], v[42:43], v[110:111] op_sel_hi:[1,1,0] neg_lo:[0,0,1] neg_hi:[0,0,1]
	v_mul_f32_e32 v108, v109, v96
	v_pk_add_f32 v[82:83], v[82:83], v[112:113] neg_lo:[0,1] neg_hi:[0,1]
	s_delay_alu instid0(VALU_DEP_2) | instskip(NEXT) | instid1(VALU_DEP_1)
	v_pk_fma_f32 v[106:107], v[106:107], v[42:43], v[108:109] op_sel_hi:[1,1,0]
	v_mov_b32_e32 v111, v107
	ds_load_2addr_b64 v[106:109], v100 offset0:16 offset1:17
	v_pk_add_f32 v[78:79], v[78:79], v[110:111] neg_lo:[0,1] neg_hi:[0,1]
	s_wait_dscnt 0x0
	v_pk_mul_f32 v[110:111], v[106:107], v[98:99] op_sel:[0,1]
	s_delay_alu instid0(VALU_DEP_1) | instskip(SKIP_1) | instid1(VALU_DEP_1)
	v_pk_fma_f32 v[112:113], v[106:107], v[96:97], v[110:111] op_sel:[0,0,1] op_sel_hi:[1,1,0] neg_lo:[0,0,1] neg_hi:[0,0,1]
	v_pk_fma_f32 v[106:107], v[106:107], v[96:97], v[110:111] op_sel:[0,0,1] op_sel_hi:[1,0,0]
	v_mov_b32_e32 v113, v107
	v_pk_mul_f32 v[106:107], v[108:109], v[98:99] op_sel:[0,1]
	s_delay_alu instid0(VALU_DEP_1) | instskip(SKIP_1) | instid1(VALU_DEP_1)
	v_pk_fma_f32 v[110:111], v[108:109], v[96:97], v[106:107] op_sel:[0,0,1] op_sel_hi:[1,1,0] neg_lo:[0,0,1] neg_hi:[0,0,1]
	v_pk_fma_f32 v[106:107], v[108:109], v[96:97], v[106:107] op_sel:[0,0,1] op_sel_hi:[1,0,0]
	v_mov_b32_e32 v111, v107
	ds_load_2addr_b64 v[106:109], v100 offset0:18 offset1:19
	v_pk_add_f32 v[76:77], v[76:77], v[112:113] neg_lo:[0,1] neg_hi:[0,1]
	v_pk_add_f32 v[72:73], v[72:73], v[110:111] neg_lo:[0,1] neg_hi:[0,1]
	s_wait_dscnt 0x0
	v_pk_mul_f32 v[110:111], v[106:107], v[98:99] op_sel:[0,1]
	s_delay_alu instid0(VALU_DEP_1) | instskip(SKIP_1) | instid1(VALU_DEP_1)
	v_pk_fma_f32 v[112:113], v[106:107], v[96:97], v[110:111] op_sel:[0,0,1] op_sel_hi:[1,1,0] neg_lo:[0,0,1] neg_hi:[0,0,1]
	v_pk_fma_f32 v[106:107], v[106:107], v[96:97], v[110:111] op_sel:[0,0,1] op_sel_hi:[1,0,0]
	v_mov_b32_e32 v113, v107
	v_pk_mul_f32 v[106:107], v[108:109], v[98:99] op_sel:[0,1]
	s_delay_alu instid0(VALU_DEP_1) | instskip(SKIP_1) | instid1(VALU_DEP_1)
	v_pk_fma_f32 v[110:111], v[108:109], v[96:97], v[106:107] op_sel:[0,0,1] op_sel_hi:[1,1,0] neg_lo:[0,0,1] neg_hi:[0,0,1]
	v_pk_fma_f32 v[106:107], v[108:109], v[96:97], v[106:107] op_sel:[0,0,1] op_sel_hi:[1,0,0]
	v_mov_b32_e32 v111, v107
	ds_load_2addr_b64 v[106:109], v100 offset0:20 offset1:21
	v_pk_add_f32 v[74:75], v[74:75], v[112:113] neg_lo:[0,1] neg_hi:[0,1]
	v_pk_add_f32 v[70:71], v[70:71], v[110:111] neg_lo:[0,1] neg_hi:[0,1]
	s_wait_dscnt 0x0
	v_dual_mul_f32 v110, v107, v99 :: v_dual_mul_f32 v112, v107, v96
	s_delay_alu instid0(VALU_DEP_1) | instskip(NEXT) | instid1(VALU_DEP_2)
	v_pk_fma_f32 v[110:111], v[106:107], v[42:43], v[110:111] op_sel_hi:[1,1,0] neg_lo:[0,0,1] neg_hi:[0,0,1]
	v_pk_fma_f32 v[106:107], v[106:107], v[42:43], v[112:113] op_sel:[1,0,0] op_sel_hi:[0,1,0]
	s_delay_alu instid0(VALU_DEP_1) | instskip(SKIP_1) | instid1(VALU_DEP_2)
	v_mov_b32_e32 v111, v107
	v_pk_mul_f32 v[106:107], v[108:109], v[98:99] op_sel:[0,1]
	v_pk_add_f32 v[68:69], v[68:69], v[110:111] neg_lo:[0,1] neg_hi:[0,1]
	s_delay_alu instid0(VALU_DEP_2) | instskip(SKIP_1) | instid1(VALU_DEP_1)
	v_pk_fma_f32 v[110:111], v[108:109], v[96:97], v[106:107] op_sel:[0,0,1] op_sel_hi:[1,1,0] neg_lo:[0,0,1] neg_hi:[0,0,1]
	v_pk_fma_f32 v[106:107], v[108:109], v[96:97], v[106:107] op_sel:[0,0,1] op_sel_hi:[1,0,0]
	v_mov_b32_e32 v111, v107
	ds_load_2addr_b64 v[106:109], v100 offset0:22 offset1:23
	v_pk_add_f32 v[64:65], v[64:65], v[110:111] neg_lo:[0,1] neg_hi:[0,1]
	s_wait_dscnt 0x0
	v_pk_mul_f32 v[110:111], v[106:107], v[98:99] op_sel:[0,1]
	s_delay_alu instid0(VALU_DEP_1) | instskip(SKIP_1) | instid1(VALU_DEP_1)
	v_pk_fma_f32 v[112:113], v[106:107], v[96:97], v[110:111] op_sel:[0,0,1] op_sel_hi:[1,1,0] neg_lo:[0,0,1] neg_hi:[0,0,1]
	v_pk_fma_f32 v[106:107], v[106:107], v[96:97], v[110:111] op_sel:[0,0,1] op_sel_hi:[1,0,0]
	v_mov_b32_e32 v113, v107
	v_pk_mul_f32 v[106:107], v[108:109], v[98:99] op_sel:[0,1]
	s_delay_alu instid0(VALU_DEP_2) | instskip(NEXT) | instid1(VALU_DEP_2)
	v_pk_add_f32 v[66:67], v[66:67], v[112:113] neg_lo:[0,1] neg_hi:[0,1]
	v_pk_fma_f32 v[110:111], v[108:109], v[96:97], v[106:107] op_sel:[0,0,1] op_sel_hi:[1,1,0] neg_lo:[0,0,1] neg_hi:[0,0,1]
	v_pk_fma_f32 v[106:107], v[108:109], v[96:97], v[106:107] op_sel:[0,0,1] op_sel_hi:[1,0,0]
	s_delay_alu instid0(VALU_DEP_1) | instskip(SKIP_4) | instid1(VALU_DEP_1)
	v_mov_b32_e32 v111, v107
	ds_load_2addr_b64 v[106:109], v100 offset0:24 offset1:25
	v_pk_add_f32 v[62:63], v[62:63], v[110:111] neg_lo:[0,1] neg_hi:[0,1]
	s_wait_dscnt 0x0
	v_pk_mul_f32 v[110:111], v[106:107], v[98:99] op_sel:[0,1]
	v_pk_fma_f32 v[112:113], v[106:107], v[96:97], v[110:111] op_sel:[0,0,1] op_sel_hi:[1,1,0] neg_lo:[0,0,1] neg_hi:[0,0,1]
	v_pk_fma_f32 v[106:107], v[106:107], v[96:97], v[110:111] op_sel:[0,0,1] op_sel_hi:[1,0,0]
	v_dual_mul_f32 v110, v109, v99 :: v_dual_mov_b32 v106, v109
	s_delay_alu instid0(VALU_DEP_2) | instskip(NEXT) | instid1(VALU_DEP_2)
	v_dual_mov_b32 v113, v107 :: v_dual_mov_b32 v107, v108
	v_pk_fma_f32 v[110:111], v[108:109], v[42:43], v[110:111] op_sel_hi:[1,1,0] neg_lo:[0,0,1] neg_hi:[0,0,1]
	v_mul_f32_e32 v108, v109, v96
	s_delay_alu instid0(VALU_DEP_3) | instskip(NEXT) | instid1(VALU_DEP_2)
	v_pk_add_f32 v[60:61], v[60:61], v[112:113] neg_lo:[0,1] neg_hi:[0,1]
	v_pk_fma_f32 v[106:107], v[106:107], v[42:43], v[108:109] op_sel_hi:[1,1,0]
	s_delay_alu instid0(VALU_DEP_1) | instskip(SKIP_4) | instid1(VALU_DEP_1)
	v_mov_b32_e32 v111, v107
	ds_load_2addr_b64 v[106:109], v100 offset0:26 offset1:27
	v_pk_add_f32 v[56:57], v[56:57], v[110:111] neg_lo:[0,1] neg_hi:[0,1]
	s_wait_dscnt 0x0
	v_pk_mul_f32 v[110:111], v[106:107], v[98:99] op_sel:[0,1]
	v_pk_fma_f32 v[112:113], v[106:107], v[96:97], v[110:111] op_sel:[0,0,1] op_sel_hi:[1,1,0] neg_lo:[0,0,1] neg_hi:[0,0,1]
	v_pk_fma_f32 v[106:107], v[106:107], v[96:97], v[110:111] op_sel:[0,0,1] op_sel_hi:[1,0,0]
	s_delay_alu instid0(VALU_DEP_1) | instskip(SKIP_1) | instid1(VALU_DEP_1)
	v_mov_b32_e32 v113, v107
	v_pk_mul_f32 v[106:107], v[108:109], v[98:99] op_sel:[0,1]
	v_pk_fma_f32 v[110:111], v[108:109], v[96:97], v[106:107] op_sel:[0,0,1] op_sel_hi:[1,1,0] neg_lo:[0,0,1] neg_hi:[0,0,1]
	v_pk_fma_f32 v[106:107], v[108:109], v[96:97], v[106:107] op_sel:[0,0,1] op_sel_hi:[1,0,0]
	s_delay_alu instid0(VALU_DEP_1)
	v_mov_b32_e32 v111, v107
	ds_load_2addr_b64 v[106:109], v100 offset0:28 offset1:29
	v_pk_add_f32 v[58:59], v[58:59], v[112:113] neg_lo:[0,1] neg_hi:[0,1]
	v_pk_add_f32 v[54:55], v[54:55], v[110:111] neg_lo:[0,1] neg_hi:[0,1]
	s_wait_dscnt 0x0
	v_pk_mul_f32 v[110:111], v[106:107], v[98:99] op_sel:[0,1]
	s_delay_alu instid0(VALU_DEP_1) | instskip(SKIP_1) | instid1(VALU_DEP_1)
	v_pk_fma_f32 v[112:113], v[106:107], v[96:97], v[110:111] op_sel:[0,0,1] op_sel_hi:[1,1,0] neg_lo:[0,0,1] neg_hi:[0,0,1]
	v_pk_fma_f32 v[106:107], v[106:107], v[96:97], v[110:111] op_sel:[0,0,1] op_sel_hi:[1,0,0]
	v_mov_b32_e32 v113, v107
	v_pk_mul_f32 v[106:107], v[108:109], v[98:99] op_sel:[0,1]
	s_delay_alu instid0(VALU_DEP_1) | instskip(SKIP_1) | instid1(VALU_DEP_1)
	v_pk_fma_f32 v[110:111], v[108:109], v[96:97], v[106:107] op_sel:[0,0,1] op_sel_hi:[1,1,0] neg_lo:[0,0,1] neg_hi:[0,0,1]
	v_pk_fma_f32 v[106:107], v[108:109], v[96:97], v[106:107] op_sel:[0,0,1] op_sel_hi:[1,0,0]
	v_mov_b32_e32 v111, v107
	ds_load_2addr_b64 v[106:109], v100 offset0:30 offset1:31
	v_pk_add_f32 v[48:49], v[48:49], v[112:113] neg_lo:[0,1] neg_hi:[0,1]
	v_pk_add_f32 v[40:41], v[40:41], v[110:111] neg_lo:[0,1] neg_hi:[0,1]
	s_wait_dscnt 0x0
	v_dual_mul_f32 v110, v107, v99 :: v_dual_mul_f32 v112, v107, v96
	s_delay_alu instid0(VALU_DEP_1) | instskip(NEXT) | instid1(VALU_DEP_2)
	v_pk_fma_f32 v[110:111], v[106:107], v[42:43], v[110:111] op_sel_hi:[1,1,0] neg_lo:[0,0,1] neg_hi:[0,0,1]
	v_pk_fma_f32 v[106:107], v[106:107], v[42:43], v[112:113] op_sel:[1,0,0] op_sel_hi:[0,1,0]
	s_delay_alu instid0(VALU_DEP_1) | instskip(SKIP_1) | instid1(VALU_DEP_2)
	v_mov_b32_e32 v111, v107
	v_pk_mul_f32 v[106:107], v[108:109], v[98:99] op_sel:[0,1]
	v_pk_add_f32 v[46:47], v[46:47], v[110:111] neg_lo:[0,1] neg_hi:[0,1]
	s_delay_alu instid0(VALU_DEP_2) | instskip(SKIP_1) | instid1(VALU_DEP_1)
	v_pk_fma_f32 v[110:111], v[108:109], v[96:97], v[106:107] op_sel:[0,0,1] op_sel_hi:[1,1,0] neg_lo:[0,0,1] neg_hi:[0,0,1]
	v_pk_fma_f32 v[106:107], v[108:109], v[96:97], v[106:107] op_sel:[0,0,1] op_sel_hi:[1,0,0]
	v_mov_b32_e32 v111, v107
	ds_load_2addr_b64 v[106:109], v100 offset0:32 offset1:33
	v_pk_add_f32 v[38:39], v[38:39], v[110:111] neg_lo:[0,1] neg_hi:[0,1]
	s_wait_dscnt 0x0
	v_pk_mul_f32 v[110:111], v[106:107], v[98:99] op_sel:[0,1]
	s_delay_alu instid0(VALU_DEP_1) | instskip(SKIP_1) | instid1(VALU_DEP_1)
	v_pk_fma_f32 v[112:113], v[106:107], v[96:97], v[110:111] op_sel:[0,0,1] op_sel_hi:[1,1,0] neg_lo:[0,0,1] neg_hi:[0,0,1]
	v_pk_fma_f32 v[106:107], v[106:107], v[96:97], v[110:111] op_sel:[0,0,1] op_sel_hi:[1,0,0]
	v_mov_b32_e32 v113, v107
	v_pk_mul_f32 v[106:107], v[108:109], v[98:99] op_sel:[0,1]
	s_delay_alu instid0(VALU_DEP_2) | instskip(NEXT) | instid1(VALU_DEP_2)
	v_pk_add_f32 v[30:31], v[30:31], v[112:113] neg_lo:[0,1] neg_hi:[0,1]
	v_pk_fma_f32 v[110:111], v[108:109], v[96:97], v[106:107] op_sel:[0,0,1] op_sel_hi:[1,1,0] neg_lo:[0,0,1] neg_hi:[0,0,1]
	v_pk_fma_f32 v[106:107], v[108:109], v[96:97], v[106:107] op_sel:[0,0,1] op_sel_hi:[1,0,0]
	s_delay_alu instid0(VALU_DEP_1) | instskip(SKIP_4) | instid1(VALU_DEP_1)
	v_mov_b32_e32 v111, v107
	ds_load_2addr_b64 v[106:109], v100 offset0:34 offset1:35
	v_pk_add_f32 v[22:23], v[22:23], v[110:111] neg_lo:[0,1] neg_hi:[0,1]
	s_wait_dscnt 0x0
	v_pk_mul_f32 v[110:111], v[106:107], v[98:99] op_sel:[0,1]
	v_pk_fma_f32 v[112:113], v[106:107], v[96:97], v[110:111] op_sel:[0,0,1] op_sel_hi:[1,1,0] neg_lo:[0,0,1] neg_hi:[0,0,1]
	v_pk_fma_f32 v[106:107], v[106:107], v[96:97], v[110:111] op_sel:[0,0,1] op_sel_hi:[1,0,0]
	v_dual_mul_f32 v110, v109, v99 :: v_dual_mov_b32 v106, v109
	s_delay_alu instid0(VALU_DEP_2) | instskip(NEXT) | instid1(VALU_DEP_2)
	v_dual_mov_b32 v113, v107 :: v_dual_mov_b32 v107, v108
	v_pk_fma_f32 v[110:111], v[108:109], v[42:43], v[110:111] op_sel_hi:[1,1,0] neg_lo:[0,0,1] neg_hi:[0,0,1]
	v_mul_f32_e32 v108, v109, v96
	s_delay_alu instid0(VALU_DEP_3) | instskip(NEXT) | instid1(VALU_DEP_2)
	v_pk_add_f32 v[28:29], v[28:29], v[112:113] neg_lo:[0,1] neg_hi:[0,1]
	v_pk_fma_f32 v[106:107], v[106:107], v[42:43], v[108:109] op_sel_hi:[1,1,0]
	s_delay_alu instid0(VALU_DEP_1) | instskip(SKIP_4) | instid1(VALU_DEP_1)
	v_mov_b32_e32 v111, v107
	ds_load_2addr_b64 v[106:109], v100 offset0:36 offset1:37
	v_pk_add_f32 v[20:21], v[20:21], v[110:111] neg_lo:[0,1] neg_hi:[0,1]
	s_wait_dscnt 0x0
	v_pk_mul_f32 v[110:111], v[106:107], v[98:99] op_sel:[0,1]
	v_pk_fma_f32 v[112:113], v[106:107], v[96:97], v[110:111] op_sel:[0,0,1] op_sel_hi:[1,1,0] neg_lo:[0,0,1] neg_hi:[0,0,1]
	v_pk_fma_f32 v[106:107], v[106:107], v[96:97], v[110:111] op_sel:[0,0,1] op_sel_hi:[1,0,0]
	s_delay_alu instid0(VALU_DEP_1) | instskip(SKIP_1) | instid1(VALU_DEP_1)
	v_mov_b32_e32 v113, v107
	v_pk_mul_f32 v[106:107], v[108:109], v[98:99] op_sel:[0,1]
	v_pk_fma_f32 v[110:111], v[108:109], v[96:97], v[106:107] op_sel:[0,0,1] op_sel_hi:[1,1,0] neg_lo:[0,0,1] neg_hi:[0,0,1]
	v_pk_fma_f32 v[106:107], v[108:109], v[96:97], v[106:107] op_sel:[0,0,1] op_sel_hi:[1,0,0]
	s_delay_alu instid0(VALU_DEP_1)
	v_mov_b32_e32 v111, v107
	ds_load_2addr_b64 v[106:109], v100 offset0:38 offset1:39
	v_pk_add_f32 v[14:15], v[14:15], v[112:113] neg_lo:[0,1] neg_hi:[0,1]
	v_pk_add_f32 v[10:11], v[10:11], v[110:111] neg_lo:[0,1] neg_hi:[0,1]
	s_wait_dscnt 0x0
	v_pk_mul_f32 v[110:111], v[106:107], v[98:99] op_sel:[0,1]
	s_delay_alu instid0(VALU_DEP_1) | instskip(SKIP_1) | instid1(VALU_DEP_1)
	v_pk_fma_f32 v[112:113], v[106:107], v[96:97], v[110:111] op_sel:[0,0,1] op_sel_hi:[1,1,0] neg_lo:[0,0,1] neg_hi:[0,0,1]
	v_pk_fma_f32 v[106:107], v[106:107], v[96:97], v[110:111] op_sel:[0,0,1] op_sel_hi:[1,0,0]
	v_mov_b32_e32 v113, v107
	v_pk_mul_f32 v[106:107], v[108:109], v[98:99] op_sel:[0,1]
	s_delay_alu instid0(VALU_DEP_1) | instskip(SKIP_1) | instid1(VALU_DEP_1)
	v_pk_fma_f32 v[110:111], v[108:109], v[96:97], v[106:107] op_sel:[0,0,1] op_sel_hi:[1,1,0] neg_lo:[0,0,1] neg_hi:[0,0,1]
	v_pk_fma_f32 v[106:107], v[108:109], v[96:97], v[106:107] op_sel:[0,0,1] op_sel_hi:[1,0,0]
	v_mov_b32_e32 v111, v107
	ds_load_2addr_b64 v[106:109], v100 offset0:40 offset1:41
	v_pk_add_f32 v[12:13], v[12:13], v[112:113] neg_lo:[0,1] neg_hi:[0,1]
	v_pk_add_f32 v[8:9], v[8:9], v[110:111] neg_lo:[0,1] neg_hi:[0,1]
	s_wait_dscnt 0x0
	v_dual_mul_f32 v110, v107, v99 :: v_dual_mul_f32 v112, v107, v96
	s_delay_alu instid0(VALU_DEP_1) | instskip(NEXT) | instid1(VALU_DEP_2)
	v_pk_fma_f32 v[110:111], v[106:107], v[42:43], v[110:111] op_sel_hi:[1,1,0] neg_lo:[0,0,1] neg_hi:[0,0,1]
	v_pk_fma_f32 v[106:107], v[106:107], v[42:43], v[112:113] op_sel:[1,0,0] op_sel_hi:[0,1,0]
	s_delay_alu instid0(VALU_DEP_1) | instskip(SKIP_1) | instid1(VALU_DEP_2)
	v_mov_b32_e32 v111, v107
	v_pk_mul_f32 v[106:107], v[108:109], v[98:99] op_sel:[0,1]
	v_pk_add_f32 v[6:7], v[6:7], v[110:111] neg_lo:[0,1] neg_hi:[0,1]
	s_delay_alu instid0(VALU_DEP_2) | instskip(SKIP_1) | instid1(VALU_DEP_1)
	v_pk_fma_f32 v[110:111], v[108:109], v[96:97], v[106:107] op_sel:[0,0,1] op_sel_hi:[1,1,0] neg_lo:[0,0,1] neg_hi:[0,0,1]
	v_pk_fma_f32 v[106:107], v[108:109], v[96:97], v[106:107] op_sel:[0,0,1] op_sel_hi:[1,0,0]
	v_mov_b32_e32 v111, v107
	ds_load_2addr_b64 v[106:109], v100 offset0:42 offset1:43
	v_pk_add_f32 v[36:37], v[36:37], v[110:111] neg_lo:[0,1] neg_hi:[0,1]
	s_wait_dscnt 0x0
	v_pk_mul_f32 v[110:111], v[106:107], v[98:99] op_sel:[0,1]
	s_delay_alu instid0(VALU_DEP_1) | instskip(SKIP_1) | instid1(VALU_DEP_1)
	v_pk_fma_f32 v[112:113], v[106:107], v[96:97], v[110:111] op_sel:[0,0,1] op_sel_hi:[1,1,0] neg_lo:[0,0,1] neg_hi:[0,0,1]
	v_pk_fma_f32 v[106:107], v[106:107], v[96:97], v[110:111] op_sel:[0,0,1] op_sel_hi:[1,0,0]
	v_mov_b32_e32 v113, v107
	v_pk_mul_f32 v[106:107], v[108:109], v[98:99] op_sel:[0,1]
	s_delay_alu instid0(VALU_DEP_2) | instskip(NEXT) | instid1(VALU_DEP_2)
	v_pk_add_f32 v[18:19], v[18:19], v[112:113] neg_lo:[0,1] neg_hi:[0,1]
	v_pk_fma_f32 v[110:111], v[108:109], v[96:97], v[106:107] op_sel:[0,0,1] op_sel_hi:[1,1,0] neg_lo:[0,0,1] neg_hi:[0,0,1]
	v_pk_fma_f32 v[106:107], v[108:109], v[96:97], v[106:107] op_sel:[0,0,1] op_sel_hi:[1,0,0]
	s_delay_alu instid0(VALU_DEP_1) | instskip(SKIP_4) | instid1(VALU_DEP_1)
	v_mov_b32_e32 v111, v107
	ds_load_b64 v[106:107], v100 offset:352
	v_pk_add_f32 v[16:17], v[16:17], v[110:111] neg_lo:[0,1] neg_hi:[0,1]
	s_wait_dscnt 0x0
	v_pk_mul_f32 v[98:99], v[106:107], v[98:99] op_sel:[0,1]
	v_pk_fma_f32 v[108:109], v[106:107], v[96:97], v[98:99] op_sel:[0,0,1] op_sel_hi:[1,1,0] neg_lo:[0,0,1] neg_hi:[0,0,1]
	v_pk_fma_f32 v[96:97], v[106:107], v[96:97], v[98:99] op_sel:[0,0,1] op_sel_hi:[1,0,0]
	s_delay_alu instid0(VALU_DEP_1) | instskip(NEXT) | instid1(VALU_DEP_1)
	v_mov_b32_e32 v109, v97
	v_pk_add_f32 v[94:95], v[94:95], v[108:109] neg_lo:[0,1] neg_hi:[0,1]
.LBB88_251:
	s_or_b32 exec_lo, exec_lo, s0
	v_lshl_add_u32 v96, v104, 3, v100
	s_barrier_signal -1
	s_barrier_wait -1
	ds_store_b64 v96, v[84:85]
	s_wait_dscnt 0x0
	s_barrier_signal -1
	s_barrier_wait -1
	ds_load_b64 v[98:99], v100 offset:96
	v_mov_b32_e32 v96, 12
	s_cmp_lt_i32 s18, 14
	s_cbranch_scc1 .LBB88_254
; %bb.252:
	v_add3_u32 v97, v101, 0, 0x68
	v_mov_b32_e32 v96, 12
	s_mov_b32 s0, 13
.LBB88_253:                             ; =>This Inner Loop Header: Depth=1
	ds_load_b64 v[106:107], v97
	s_wait_dscnt 0x1
	v_cmp_gt_f32_e32 vcc_lo, 0, v98
	v_cndmask_b32_e64 v108, v98, -v98, vcc_lo
	v_cmp_gt_f32_e32 vcc_lo, 0, v99
	v_cndmask_b32_e64 v110, v99, -v99, vcc_lo
	s_wait_dscnt 0x0
	v_cmp_gt_f32_e32 vcc_lo, 0, v106
	v_cndmask_b32_e64 v109, v106, -v106, vcc_lo
	v_cmp_gt_f32_e32 vcc_lo, 0, v107
	v_cndmask_b32_e64 v111, v107, -v107, vcc_lo
	s_delay_alu instid0(VALU_DEP_1) | instskip(NEXT) | instid1(VALU_DEP_1)
	v_pk_add_f32 v[108:109], v[108:109], v[110:111]
	v_cmp_lt_f32_e32 vcc_lo, v108, v109
	v_dual_add_nc_u32 v97, 8, v97 :: v_dual_cndmask_b32 v99, v99, v107, vcc_lo
	v_cndmask_b32_e32 v98, v98, v106, vcc_lo
	v_cndmask_b32_e64 v96, v96, s0, vcc_lo
	s_add_co_i32 s0, s0, 1
	s_delay_alu instid0(SALU_CYCLE_1)
	s_cmp_lg_u32 s18, s0
	s_cbranch_scc1 .LBB88_253
.LBB88_254:
	s_wait_dscnt 0x0
	v_cmp_eq_f32_e32 vcc_lo, 0, v98
	v_cmp_eq_f32_e64 s0, 0, v99
	s_and_b32 s0, vcc_lo, s0
	s_delay_alu instid0(SALU_CYCLE_1) | instskip(NEXT) | instid1(SALU_CYCLE_1)
	s_and_saveexec_b32 s1, s0
	s_xor_b32 s0, exec_lo, s1
; %bb.255:
	v_cmp_ne_u32_e32 vcc_lo, 0, v102
	v_cndmask_b32_e32 v102, 13, v102, vcc_lo
; %bb.256:
	s_and_not1_saveexec_b32 s0, s0
	s_cbranch_execz .LBB88_262
; %bb.257:
	v_cmp_ngt_f32_e64 s1, |v98|, |v99|
	s_and_saveexec_b32 s12, s1
	s_delay_alu instid0(SALU_CYCLE_1)
	s_xor_b32 s1, exec_lo, s12
	s_cbranch_execz .LBB88_259
; %bb.258:
	v_div_scale_f32 v97, null, v99, v99, v98
	v_div_scale_f32 v107, vcc_lo, v98, v99, v98
	s_delay_alu instid0(VALU_DEP_2) | instskip(SKIP_1) | instid1(TRANS32_DEP_1)
	v_rcp_f32_e32 v105, v97
	v_nop
	v_fma_f32 v106, -v97, v105, 1.0
	s_delay_alu instid0(VALU_DEP_1) | instskip(NEXT) | instid1(VALU_DEP_1)
	v_fmac_f32_e32 v105, v106, v105
	v_mul_f32_e32 v106, v107, v105
	s_delay_alu instid0(VALU_DEP_1) | instskip(NEXT) | instid1(VALU_DEP_1)
	v_fma_f32 v108, -v97, v106, v107
	v_fmac_f32_e32 v106, v108, v105
	s_delay_alu instid0(VALU_DEP_1) | instskip(NEXT) | instid1(VALU_DEP_1)
	v_fma_f32 v97, -v97, v106, v107
	v_div_fmas_f32 v97, v97, v105, v106
	s_delay_alu instid0(VALU_DEP_1) | instskip(NEXT) | instid1(VALU_DEP_1)
	v_div_fixup_f32 v97, v97, v99, v98
	v_fmac_f32_e32 v99, v98, v97
	s_delay_alu instid0(VALU_DEP_1) | instskip(SKIP_1) | instid1(VALU_DEP_2)
	v_div_scale_f32 v98, null, v99, v99, 1.0
	v_div_scale_f32 v107, vcc_lo, 1.0, v99, 1.0
	v_rcp_f32_e32 v105, v98
	v_nop
	s_delay_alu instid0(TRANS32_DEP_1) | instskip(NEXT) | instid1(VALU_DEP_1)
	v_fma_f32 v106, -v98, v105, 1.0
	v_fmac_f32_e32 v105, v106, v105
	s_delay_alu instid0(VALU_DEP_1) | instskip(NEXT) | instid1(VALU_DEP_1)
	v_mul_f32_e32 v106, v107, v105
	v_fma_f32 v108, -v98, v106, v107
	s_delay_alu instid0(VALU_DEP_1) | instskip(NEXT) | instid1(VALU_DEP_1)
	v_fmac_f32_e32 v106, v108, v105
	v_fma_f32 v98, -v98, v106, v107
	s_delay_alu instid0(VALU_DEP_1) | instskip(NEXT) | instid1(VALU_DEP_1)
	v_div_fmas_f32 v98, v98, v105, v106
	v_div_fixup_f32 v99, v98, v99, 1.0
	s_delay_alu instid0(VALU_DEP_1)
	v_mul_f32_e32 v98, v97, v99
	v_xor_b32_e32 v99, 0x80000000, v99
.LBB88_259:
	s_and_not1_saveexec_b32 s1, s1
	s_cbranch_execz .LBB88_261
; %bb.260:
	s_delay_alu instid0(VALU_DEP_1) | instskip(SKIP_1) | instid1(VALU_DEP_2)
	v_div_scale_f32 v97, null, v98, v98, v99
	v_div_scale_f32 v107, vcc_lo, v99, v98, v99
	v_rcp_f32_e32 v105, v97
	v_nop
	s_delay_alu instid0(TRANS32_DEP_1) | instskip(NEXT) | instid1(VALU_DEP_1)
	v_fma_f32 v106, -v97, v105, 1.0
	v_fmac_f32_e32 v105, v106, v105
	s_delay_alu instid0(VALU_DEP_1) | instskip(NEXT) | instid1(VALU_DEP_1)
	v_mul_f32_e32 v106, v107, v105
	v_fma_f32 v108, -v97, v106, v107
	s_delay_alu instid0(VALU_DEP_1) | instskip(NEXT) | instid1(VALU_DEP_1)
	v_fmac_f32_e32 v106, v108, v105
	v_fma_f32 v97, -v97, v106, v107
	s_delay_alu instid0(VALU_DEP_1) | instskip(NEXT) | instid1(VALU_DEP_1)
	v_div_fmas_f32 v97, v97, v105, v106
	v_div_fixup_f32 v97, v97, v98, v99
	s_delay_alu instid0(VALU_DEP_1) | instskip(NEXT) | instid1(VALU_DEP_1)
	v_fmac_f32_e32 v98, v99, v97
	v_div_scale_f32 v99, null, v98, v98, 1.0
	s_delay_alu instid0(VALU_DEP_1) | instskip(SKIP_1) | instid1(TRANS32_DEP_1)
	v_rcp_f32_e32 v105, v99
	v_nop
	v_fma_f32 v106, -v99, v105, 1.0
	s_delay_alu instid0(VALU_DEP_1) | instskip(SKIP_1) | instid1(VALU_DEP_1)
	v_fmac_f32_e32 v105, v106, v105
	v_div_scale_f32 v106, vcc_lo, 1.0, v98, 1.0
	v_mul_f32_e32 v107, v106, v105
	s_delay_alu instid0(VALU_DEP_1) | instskip(NEXT) | instid1(VALU_DEP_1)
	v_fma_f32 v108, -v99, v107, v106
	v_fmac_f32_e32 v107, v108, v105
	s_delay_alu instid0(VALU_DEP_1) | instskip(NEXT) | instid1(VALU_DEP_1)
	v_fma_f32 v99, -v99, v107, v106
	v_div_fmas_f32 v99, v99, v105, v107
	s_delay_alu instid0(VALU_DEP_1) | instskip(NEXT) | instid1(VALU_DEP_1)
	v_div_fixup_f32 v98, v99, v98, 1.0
	v_mul_f32_e64 v99, v97, -v98
.LBB88_261:
	s_or_b32 exec_lo, exec_lo, s1
.LBB88_262:
	s_delay_alu instid0(SALU_CYCLE_1) | instskip(NEXT) | instid1(SALU_CYCLE_1)
	s_or_b32 exec_lo, exec_lo, s0
	s_mov_b32 s0, exec_lo
	v_cmpx_ne_u32_e64 v104, v96
	s_xor_b32 s0, exec_lo, s0
	s_cbranch_execz .LBB88_268
; %bb.263:
	s_mov_b32 s1, exec_lo
	v_cmpx_eq_u32_e32 12, v104
	s_cbranch_execz .LBB88_267
; %bb.264:
	v_cmp_ne_u32_e32 vcc_lo, 12, v96
	s_xor_b32 s12, s16, -1
	s_delay_alu instid0(SALU_CYCLE_1) | instskip(NEXT) | instid1(SALU_CYCLE_1)
	s_and_b32 s13, s12, vcc_lo
	s_and_saveexec_b32 s12, s13
	s_cbranch_execz .LBB88_266
; %bb.265:
	v_ashrrev_i32_e32 v97, 31, v96
	s_delay_alu instid0(VALU_DEP_1)
	v_lshl_add_u64 v[104:105], v[96:97], 2, v[4:5]
	s_clause 0x1
	global_load_b32 v97, v[104:105], off
	global_load_b32 v103, v[4:5], off offset:48
	s_wait_loadcnt 0x1
	global_store_b32 v[4:5], v97, off offset:48
	s_wait_loadcnt 0x0
	global_store_b32 v[104:105], v103, off
.LBB88_266:
	s_wait_xcnt 0x0
	s_or_b32 exec_lo, exec_lo, s12
	v_dual_mov_b32 v104, v96 :: v_dual_mov_b32 v103, v96
.LBB88_267:
	s_or_b32 exec_lo, exec_lo, s1
.LBB88_268:
	s_and_not1_saveexec_b32 s0, s0
	s_cbranch_execz .LBB88_270
; %bb.269:
	v_mov_b32_e32 v104, 12
	ds_store_2addr_b64 v100, v[80:81], v[82:83] offset0:13 offset1:14
	ds_store_2addr_b64 v100, v[78:79], v[76:77] offset0:15 offset1:16
	;; [unrolled: 1-line block ×16, first 2 shown]
.LBB88_270:
	s_or_b32 exec_lo, exec_lo, s0
	s_delay_alu instid0(SALU_CYCLE_1)
	s_mov_b32 s0, exec_lo
	s_wait_storecnt_dscnt 0x0
	s_barrier_signal -1
	s_barrier_wait -1
	v_cmpx_lt_i32_e32 12, v104
	s_cbranch_execz .LBB88_272
; %bb.271:
	v_pk_mul_f32 v[106:107], v[98:99], v[84:85] op_sel:[1,1] op_sel_hi:[0,1]
	s_delay_alu instid0(VALU_DEP_1)
	v_pk_fma_f32 v[96:97], v[98:99], v[84:85], v[106:107] op_sel_hi:[1,0,1] neg_lo:[0,0,1] neg_hi:[0,0,1]
	v_pk_fma_f32 v[98:99], v[98:99], v[84:85], v[106:107] op_sel_hi:[1,0,1]
	ds_load_2addr_b64 v[106:109], v100 offset0:13 offset1:14
	v_dual_mov_b32 v84, v96 :: v_dual_mov_b32 v85, v99
	s_wait_dscnt 0x0
	v_pk_mul_f32 v[110:111], v[106:107], v[98:99] op_sel:[0,1]
	s_delay_alu instid0(VALU_DEP_1) | instskip(SKIP_1) | instid1(VALU_DEP_1)
	v_pk_fma_f32 v[112:113], v[106:107], v[96:97], v[110:111] op_sel:[0,0,1] op_sel_hi:[1,1,0] neg_lo:[0,0,1] neg_hi:[0,0,1]
	v_pk_fma_f32 v[106:107], v[106:107], v[96:97], v[110:111] op_sel:[0,0,1] op_sel_hi:[1,0,0]
	v_mov_b32_e32 v113, v107
	v_pk_mul_f32 v[106:107], v[108:109], v[98:99] op_sel:[0,1]
	s_delay_alu instid0(VALU_DEP_1) | instskip(SKIP_1) | instid1(VALU_DEP_1)
	v_pk_fma_f32 v[110:111], v[108:109], v[96:97], v[106:107] op_sel:[0,0,1] op_sel_hi:[1,1,0] neg_lo:[0,0,1] neg_hi:[0,0,1]
	v_pk_fma_f32 v[106:107], v[108:109], v[96:97], v[106:107] op_sel:[0,0,1] op_sel_hi:[1,0,0]
	v_mov_b32_e32 v111, v107
	ds_load_2addr_b64 v[106:109], v100 offset0:15 offset1:16
	v_pk_add_f32 v[80:81], v[80:81], v[112:113] neg_lo:[0,1] neg_hi:[0,1]
	v_pk_add_f32 v[82:83], v[82:83], v[110:111] neg_lo:[0,1] neg_hi:[0,1]
	s_wait_dscnt 0x0
	v_pk_mul_f32 v[110:111], v[106:107], v[98:99] op_sel:[0,1]
	s_delay_alu instid0(VALU_DEP_1) | instskip(SKIP_2) | instid1(VALU_DEP_2)
	v_pk_fma_f32 v[112:113], v[106:107], v[96:97], v[110:111] op_sel:[0,0,1] op_sel_hi:[1,1,0] neg_lo:[0,0,1] neg_hi:[0,0,1]
	v_pk_fma_f32 v[106:107], v[106:107], v[96:97], v[110:111] op_sel:[0,0,1] op_sel_hi:[1,0,0]
	v_dual_mul_f32 v110, v109, v99 :: v_dual_mov_b32 v106, v109
	v_dual_mov_b32 v113, v107 :: v_dual_mov_b32 v107, v108
	s_delay_alu instid0(VALU_DEP_2) | instskip(SKIP_1) | instid1(VALU_DEP_3)
	v_pk_fma_f32 v[110:111], v[108:109], v[84:85], v[110:111] op_sel_hi:[1,1,0] neg_lo:[0,0,1] neg_hi:[0,0,1]
	v_mul_f32_e32 v108, v109, v96
	v_pk_add_f32 v[78:79], v[78:79], v[112:113] neg_lo:[0,1] neg_hi:[0,1]
	s_delay_alu instid0(VALU_DEP_2) | instskip(NEXT) | instid1(VALU_DEP_1)
	v_pk_fma_f32 v[106:107], v[106:107], v[84:85], v[108:109] op_sel_hi:[1,1,0]
	v_mov_b32_e32 v111, v107
	ds_load_2addr_b64 v[106:109], v100 offset0:17 offset1:18
	v_pk_add_f32 v[76:77], v[76:77], v[110:111] neg_lo:[0,1] neg_hi:[0,1]
	s_wait_dscnt 0x0
	v_pk_mul_f32 v[110:111], v[106:107], v[98:99] op_sel:[0,1]
	s_delay_alu instid0(VALU_DEP_1) | instskip(SKIP_1) | instid1(VALU_DEP_1)
	v_pk_fma_f32 v[112:113], v[106:107], v[96:97], v[110:111] op_sel:[0,0,1] op_sel_hi:[1,1,0] neg_lo:[0,0,1] neg_hi:[0,0,1]
	v_pk_fma_f32 v[106:107], v[106:107], v[96:97], v[110:111] op_sel:[0,0,1] op_sel_hi:[1,0,0]
	v_mov_b32_e32 v113, v107
	v_pk_mul_f32 v[106:107], v[108:109], v[98:99] op_sel:[0,1]
	s_delay_alu instid0(VALU_DEP_1) | instskip(SKIP_1) | instid1(VALU_DEP_1)
	v_pk_fma_f32 v[110:111], v[108:109], v[96:97], v[106:107] op_sel:[0,0,1] op_sel_hi:[1,1,0] neg_lo:[0,0,1] neg_hi:[0,0,1]
	v_pk_fma_f32 v[106:107], v[108:109], v[96:97], v[106:107] op_sel:[0,0,1] op_sel_hi:[1,0,0]
	v_mov_b32_e32 v111, v107
	ds_load_2addr_b64 v[106:109], v100 offset0:19 offset1:20
	v_pk_add_f32 v[72:73], v[72:73], v[112:113] neg_lo:[0,1] neg_hi:[0,1]
	v_pk_add_f32 v[74:75], v[74:75], v[110:111] neg_lo:[0,1] neg_hi:[0,1]
	s_wait_dscnt 0x0
	v_pk_mul_f32 v[110:111], v[106:107], v[98:99] op_sel:[0,1]
	s_delay_alu instid0(VALU_DEP_1) | instskip(SKIP_1) | instid1(VALU_DEP_1)
	v_pk_fma_f32 v[112:113], v[106:107], v[96:97], v[110:111] op_sel:[0,0,1] op_sel_hi:[1,1,0] neg_lo:[0,0,1] neg_hi:[0,0,1]
	v_pk_fma_f32 v[106:107], v[106:107], v[96:97], v[110:111] op_sel:[0,0,1] op_sel_hi:[1,0,0]
	v_mov_b32_e32 v113, v107
	v_pk_mul_f32 v[106:107], v[108:109], v[98:99] op_sel:[0,1]
	s_delay_alu instid0(VALU_DEP_1) | instskip(SKIP_1) | instid1(VALU_DEP_1)
	v_pk_fma_f32 v[110:111], v[108:109], v[96:97], v[106:107] op_sel:[0,0,1] op_sel_hi:[1,1,0] neg_lo:[0,0,1] neg_hi:[0,0,1]
	v_pk_fma_f32 v[106:107], v[108:109], v[96:97], v[106:107] op_sel:[0,0,1] op_sel_hi:[1,0,0]
	v_mov_b32_e32 v111, v107
	ds_load_2addr_b64 v[106:109], v100 offset0:21 offset1:22
	v_pk_add_f32 v[70:71], v[70:71], v[112:113] neg_lo:[0,1] neg_hi:[0,1]
	v_pk_add_f32 v[68:69], v[68:69], v[110:111] neg_lo:[0,1] neg_hi:[0,1]
	s_wait_dscnt 0x0
	v_dual_mul_f32 v110, v107, v99 :: v_dual_mul_f32 v112, v107, v96
	s_delay_alu instid0(VALU_DEP_1) | instskip(NEXT) | instid1(VALU_DEP_2)
	v_pk_fma_f32 v[110:111], v[106:107], v[84:85], v[110:111] op_sel_hi:[1,1,0] neg_lo:[0,0,1] neg_hi:[0,0,1]
	v_pk_fma_f32 v[106:107], v[106:107], v[84:85], v[112:113] op_sel:[1,0,0] op_sel_hi:[0,1,0]
	s_delay_alu instid0(VALU_DEP_1) | instskip(SKIP_1) | instid1(VALU_DEP_2)
	v_mov_b32_e32 v111, v107
	v_pk_mul_f32 v[106:107], v[108:109], v[98:99] op_sel:[0,1]
	v_pk_add_f32 v[64:65], v[64:65], v[110:111] neg_lo:[0,1] neg_hi:[0,1]
	s_delay_alu instid0(VALU_DEP_2) | instskip(SKIP_1) | instid1(VALU_DEP_1)
	v_pk_fma_f32 v[110:111], v[108:109], v[96:97], v[106:107] op_sel:[0,0,1] op_sel_hi:[1,1,0] neg_lo:[0,0,1] neg_hi:[0,0,1]
	v_pk_fma_f32 v[106:107], v[108:109], v[96:97], v[106:107] op_sel:[0,0,1] op_sel_hi:[1,0,0]
	v_mov_b32_e32 v111, v107
	ds_load_2addr_b64 v[106:109], v100 offset0:23 offset1:24
	v_pk_add_f32 v[66:67], v[66:67], v[110:111] neg_lo:[0,1] neg_hi:[0,1]
	s_wait_dscnt 0x0
	v_pk_mul_f32 v[110:111], v[106:107], v[98:99] op_sel:[0,1]
	s_delay_alu instid0(VALU_DEP_1) | instskip(SKIP_1) | instid1(VALU_DEP_1)
	v_pk_fma_f32 v[112:113], v[106:107], v[96:97], v[110:111] op_sel:[0,0,1] op_sel_hi:[1,1,0] neg_lo:[0,0,1] neg_hi:[0,0,1]
	v_pk_fma_f32 v[106:107], v[106:107], v[96:97], v[110:111] op_sel:[0,0,1] op_sel_hi:[1,0,0]
	v_mov_b32_e32 v113, v107
	v_pk_mul_f32 v[106:107], v[108:109], v[98:99] op_sel:[0,1]
	s_delay_alu instid0(VALU_DEP_2) | instskip(NEXT) | instid1(VALU_DEP_2)
	v_pk_add_f32 v[62:63], v[62:63], v[112:113] neg_lo:[0,1] neg_hi:[0,1]
	v_pk_fma_f32 v[110:111], v[108:109], v[96:97], v[106:107] op_sel:[0,0,1] op_sel_hi:[1,1,0] neg_lo:[0,0,1] neg_hi:[0,0,1]
	v_pk_fma_f32 v[106:107], v[108:109], v[96:97], v[106:107] op_sel:[0,0,1] op_sel_hi:[1,0,0]
	s_delay_alu instid0(VALU_DEP_1) | instskip(SKIP_4) | instid1(VALU_DEP_1)
	v_mov_b32_e32 v111, v107
	ds_load_2addr_b64 v[106:109], v100 offset0:25 offset1:26
	v_pk_add_f32 v[60:61], v[60:61], v[110:111] neg_lo:[0,1] neg_hi:[0,1]
	s_wait_dscnt 0x0
	v_pk_mul_f32 v[110:111], v[106:107], v[98:99] op_sel:[0,1]
	v_pk_fma_f32 v[112:113], v[106:107], v[96:97], v[110:111] op_sel:[0,0,1] op_sel_hi:[1,1,0] neg_lo:[0,0,1] neg_hi:[0,0,1]
	v_pk_fma_f32 v[106:107], v[106:107], v[96:97], v[110:111] op_sel:[0,0,1] op_sel_hi:[1,0,0]
	v_dual_mul_f32 v110, v109, v99 :: v_dual_mov_b32 v106, v109
	s_delay_alu instid0(VALU_DEP_2) | instskip(NEXT) | instid1(VALU_DEP_2)
	v_dual_mov_b32 v113, v107 :: v_dual_mov_b32 v107, v108
	v_pk_fma_f32 v[110:111], v[108:109], v[84:85], v[110:111] op_sel_hi:[1,1,0] neg_lo:[0,0,1] neg_hi:[0,0,1]
	v_mul_f32_e32 v108, v109, v96
	s_delay_alu instid0(VALU_DEP_3) | instskip(NEXT) | instid1(VALU_DEP_2)
	v_pk_add_f32 v[56:57], v[56:57], v[112:113] neg_lo:[0,1] neg_hi:[0,1]
	v_pk_fma_f32 v[106:107], v[106:107], v[84:85], v[108:109] op_sel_hi:[1,1,0]
	s_delay_alu instid0(VALU_DEP_1) | instskip(SKIP_4) | instid1(VALU_DEP_1)
	v_mov_b32_e32 v111, v107
	ds_load_2addr_b64 v[106:109], v100 offset0:27 offset1:28
	v_pk_add_f32 v[58:59], v[58:59], v[110:111] neg_lo:[0,1] neg_hi:[0,1]
	s_wait_dscnt 0x0
	v_pk_mul_f32 v[110:111], v[106:107], v[98:99] op_sel:[0,1]
	v_pk_fma_f32 v[112:113], v[106:107], v[96:97], v[110:111] op_sel:[0,0,1] op_sel_hi:[1,1,0] neg_lo:[0,0,1] neg_hi:[0,0,1]
	v_pk_fma_f32 v[106:107], v[106:107], v[96:97], v[110:111] op_sel:[0,0,1] op_sel_hi:[1,0,0]
	s_delay_alu instid0(VALU_DEP_1) | instskip(SKIP_1) | instid1(VALU_DEP_1)
	v_mov_b32_e32 v113, v107
	v_pk_mul_f32 v[106:107], v[108:109], v[98:99] op_sel:[0,1]
	v_pk_fma_f32 v[110:111], v[108:109], v[96:97], v[106:107] op_sel:[0,0,1] op_sel_hi:[1,1,0] neg_lo:[0,0,1] neg_hi:[0,0,1]
	v_pk_fma_f32 v[106:107], v[108:109], v[96:97], v[106:107] op_sel:[0,0,1] op_sel_hi:[1,0,0]
	s_delay_alu instid0(VALU_DEP_1)
	v_mov_b32_e32 v111, v107
	ds_load_2addr_b64 v[106:109], v100 offset0:29 offset1:30
	v_pk_add_f32 v[54:55], v[54:55], v[112:113] neg_lo:[0,1] neg_hi:[0,1]
	v_pk_add_f32 v[48:49], v[48:49], v[110:111] neg_lo:[0,1] neg_hi:[0,1]
	s_wait_dscnt 0x0
	v_pk_mul_f32 v[110:111], v[106:107], v[98:99] op_sel:[0,1]
	s_delay_alu instid0(VALU_DEP_1) | instskip(SKIP_1) | instid1(VALU_DEP_1)
	v_pk_fma_f32 v[112:113], v[106:107], v[96:97], v[110:111] op_sel:[0,0,1] op_sel_hi:[1,1,0] neg_lo:[0,0,1] neg_hi:[0,0,1]
	v_pk_fma_f32 v[106:107], v[106:107], v[96:97], v[110:111] op_sel:[0,0,1] op_sel_hi:[1,0,0]
	v_mov_b32_e32 v113, v107
	v_pk_mul_f32 v[106:107], v[108:109], v[98:99] op_sel:[0,1]
	s_delay_alu instid0(VALU_DEP_1) | instskip(SKIP_1) | instid1(VALU_DEP_1)
	v_pk_fma_f32 v[110:111], v[108:109], v[96:97], v[106:107] op_sel:[0,0,1] op_sel_hi:[1,1,0] neg_lo:[0,0,1] neg_hi:[0,0,1]
	v_pk_fma_f32 v[106:107], v[108:109], v[96:97], v[106:107] op_sel:[0,0,1] op_sel_hi:[1,0,0]
	v_mov_b32_e32 v111, v107
	ds_load_2addr_b64 v[106:109], v100 offset0:31 offset1:32
	v_pk_add_f32 v[40:41], v[40:41], v[112:113] neg_lo:[0,1] neg_hi:[0,1]
	v_pk_add_f32 v[46:47], v[46:47], v[110:111] neg_lo:[0,1] neg_hi:[0,1]
	s_wait_dscnt 0x0
	v_dual_mul_f32 v110, v107, v99 :: v_dual_mul_f32 v112, v107, v96
	s_delay_alu instid0(VALU_DEP_1) | instskip(NEXT) | instid1(VALU_DEP_2)
	v_pk_fma_f32 v[110:111], v[106:107], v[84:85], v[110:111] op_sel_hi:[1,1,0] neg_lo:[0,0,1] neg_hi:[0,0,1]
	v_pk_fma_f32 v[106:107], v[106:107], v[84:85], v[112:113] op_sel:[1,0,0] op_sel_hi:[0,1,0]
	s_delay_alu instid0(VALU_DEP_1) | instskip(SKIP_1) | instid1(VALU_DEP_2)
	v_mov_b32_e32 v111, v107
	v_pk_mul_f32 v[106:107], v[108:109], v[98:99] op_sel:[0,1]
	v_pk_add_f32 v[38:39], v[38:39], v[110:111] neg_lo:[0,1] neg_hi:[0,1]
	s_delay_alu instid0(VALU_DEP_2) | instskip(SKIP_1) | instid1(VALU_DEP_1)
	v_pk_fma_f32 v[110:111], v[108:109], v[96:97], v[106:107] op_sel:[0,0,1] op_sel_hi:[1,1,0] neg_lo:[0,0,1] neg_hi:[0,0,1]
	v_pk_fma_f32 v[106:107], v[108:109], v[96:97], v[106:107] op_sel:[0,0,1] op_sel_hi:[1,0,0]
	v_mov_b32_e32 v111, v107
	ds_load_2addr_b64 v[106:109], v100 offset0:33 offset1:34
	v_pk_add_f32 v[30:31], v[30:31], v[110:111] neg_lo:[0,1] neg_hi:[0,1]
	s_wait_dscnt 0x0
	v_pk_mul_f32 v[110:111], v[106:107], v[98:99] op_sel:[0,1]
	s_delay_alu instid0(VALU_DEP_1) | instskip(SKIP_1) | instid1(VALU_DEP_1)
	v_pk_fma_f32 v[112:113], v[106:107], v[96:97], v[110:111] op_sel:[0,0,1] op_sel_hi:[1,1,0] neg_lo:[0,0,1] neg_hi:[0,0,1]
	v_pk_fma_f32 v[106:107], v[106:107], v[96:97], v[110:111] op_sel:[0,0,1] op_sel_hi:[1,0,0]
	v_mov_b32_e32 v113, v107
	v_pk_mul_f32 v[106:107], v[108:109], v[98:99] op_sel:[0,1]
	s_delay_alu instid0(VALU_DEP_2) | instskip(NEXT) | instid1(VALU_DEP_2)
	v_pk_add_f32 v[22:23], v[22:23], v[112:113] neg_lo:[0,1] neg_hi:[0,1]
	v_pk_fma_f32 v[110:111], v[108:109], v[96:97], v[106:107] op_sel:[0,0,1] op_sel_hi:[1,1,0] neg_lo:[0,0,1] neg_hi:[0,0,1]
	v_pk_fma_f32 v[106:107], v[108:109], v[96:97], v[106:107] op_sel:[0,0,1] op_sel_hi:[1,0,0]
	s_delay_alu instid0(VALU_DEP_1) | instskip(SKIP_4) | instid1(VALU_DEP_1)
	v_mov_b32_e32 v111, v107
	ds_load_2addr_b64 v[106:109], v100 offset0:35 offset1:36
	v_pk_add_f32 v[28:29], v[28:29], v[110:111] neg_lo:[0,1] neg_hi:[0,1]
	s_wait_dscnt 0x0
	v_pk_mul_f32 v[110:111], v[106:107], v[98:99] op_sel:[0,1]
	v_pk_fma_f32 v[112:113], v[106:107], v[96:97], v[110:111] op_sel:[0,0,1] op_sel_hi:[1,1,0] neg_lo:[0,0,1] neg_hi:[0,0,1]
	v_pk_fma_f32 v[106:107], v[106:107], v[96:97], v[110:111] op_sel:[0,0,1] op_sel_hi:[1,0,0]
	v_dual_mul_f32 v110, v109, v99 :: v_dual_mov_b32 v106, v109
	s_delay_alu instid0(VALU_DEP_2) | instskip(NEXT) | instid1(VALU_DEP_2)
	v_dual_mov_b32 v113, v107 :: v_dual_mov_b32 v107, v108
	v_pk_fma_f32 v[110:111], v[108:109], v[84:85], v[110:111] op_sel_hi:[1,1,0] neg_lo:[0,0,1] neg_hi:[0,0,1]
	v_mul_f32_e32 v108, v109, v96
	s_delay_alu instid0(VALU_DEP_3) | instskip(NEXT) | instid1(VALU_DEP_2)
	v_pk_add_f32 v[20:21], v[20:21], v[112:113] neg_lo:[0,1] neg_hi:[0,1]
	v_pk_fma_f32 v[106:107], v[106:107], v[84:85], v[108:109] op_sel_hi:[1,1,0]
	s_delay_alu instid0(VALU_DEP_1) | instskip(SKIP_4) | instid1(VALU_DEP_1)
	v_mov_b32_e32 v111, v107
	ds_load_2addr_b64 v[106:109], v100 offset0:37 offset1:38
	v_pk_add_f32 v[14:15], v[14:15], v[110:111] neg_lo:[0,1] neg_hi:[0,1]
	s_wait_dscnt 0x0
	v_pk_mul_f32 v[110:111], v[106:107], v[98:99] op_sel:[0,1]
	v_pk_fma_f32 v[112:113], v[106:107], v[96:97], v[110:111] op_sel:[0,0,1] op_sel_hi:[1,1,0] neg_lo:[0,0,1] neg_hi:[0,0,1]
	v_pk_fma_f32 v[106:107], v[106:107], v[96:97], v[110:111] op_sel:[0,0,1] op_sel_hi:[1,0,0]
	s_delay_alu instid0(VALU_DEP_1) | instskip(SKIP_1) | instid1(VALU_DEP_1)
	v_mov_b32_e32 v113, v107
	v_pk_mul_f32 v[106:107], v[108:109], v[98:99] op_sel:[0,1]
	v_pk_fma_f32 v[110:111], v[108:109], v[96:97], v[106:107] op_sel:[0,0,1] op_sel_hi:[1,1,0] neg_lo:[0,0,1] neg_hi:[0,0,1]
	v_pk_fma_f32 v[106:107], v[108:109], v[96:97], v[106:107] op_sel:[0,0,1] op_sel_hi:[1,0,0]
	s_delay_alu instid0(VALU_DEP_1)
	v_mov_b32_e32 v111, v107
	ds_load_2addr_b64 v[106:109], v100 offset0:39 offset1:40
	v_pk_add_f32 v[10:11], v[10:11], v[112:113] neg_lo:[0,1] neg_hi:[0,1]
	v_pk_add_f32 v[12:13], v[12:13], v[110:111] neg_lo:[0,1] neg_hi:[0,1]
	s_wait_dscnt 0x0
	v_pk_mul_f32 v[110:111], v[106:107], v[98:99] op_sel:[0,1]
	s_delay_alu instid0(VALU_DEP_1) | instskip(SKIP_1) | instid1(VALU_DEP_1)
	v_pk_fma_f32 v[112:113], v[106:107], v[96:97], v[110:111] op_sel:[0,0,1] op_sel_hi:[1,1,0] neg_lo:[0,0,1] neg_hi:[0,0,1]
	v_pk_fma_f32 v[106:107], v[106:107], v[96:97], v[110:111] op_sel:[0,0,1] op_sel_hi:[1,0,0]
	v_mov_b32_e32 v113, v107
	v_pk_mul_f32 v[106:107], v[108:109], v[98:99] op_sel:[0,1]
	s_delay_alu instid0(VALU_DEP_1) | instskip(SKIP_1) | instid1(VALU_DEP_1)
	v_pk_fma_f32 v[110:111], v[108:109], v[96:97], v[106:107] op_sel:[0,0,1] op_sel_hi:[1,1,0] neg_lo:[0,0,1] neg_hi:[0,0,1]
	v_pk_fma_f32 v[106:107], v[108:109], v[96:97], v[106:107] op_sel:[0,0,1] op_sel_hi:[1,0,0]
	v_mov_b32_e32 v111, v107
	ds_load_2addr_b64 v[106:109], v100 offset0:41 offset1:42
	v_pk_add_f32 v[8:9], v[8:9], v[112:113] neg_lo:[0,1] neg_hi:[0,1]
	v_pk_add_f32 v[6:7], v[6:7], v[110:111] neg_lo:[0,1] neg_hi:[0,1]
	s_wait_dscnt 0x0
	v_dual_mul_f32 v110, v107, v99 :: v_dual_mul_f32 v112, v107, v96
	s_delay_alu instid0(VALU_DEP_1) | instskip(NEXT) | instid1(VALU_DEP_2)
	v_pk_fma_f32 v[110:111], v[106:107], v[84:85], v[110:111] op_sel_hi:[1,1,0] neg_lo:[0,0,1] neg_hi:[0,0,1]
	v_pk_fma_f32 v[106:107], v[106:107], v[84:85], v[112:113] op_sel:[1,0,0] op_sel_hi:[0,1,0]
	s_delay_alu instid0(VALU_DEP_1) | instskip(SKIP_1) | instid1(VALU_DEP_2)
	v_mov_b32_e32 v111, v107
	v_pk_mul_f32 v[106:107], v[108:109], v[98:99] op_sel:[0,1]
	v_pk_add_f32 v[36:37], v[36:37], v[110:111] neg_lo:[0,1] neg_hi:[0,1]
	s_delay_alu instid0(VALU_DEP_2) | instskip(SKIP_1) | instid1(VALU_DEP_1)
	v_pk_fma_f32 v[110:111], v[108:109], v[96:97], v[106:107] op_sel:[0,0,1] op_sel_hi:[1,1,0] neg_lo:[0,0,1] neg_hi:[0,0,1]
	v_pk_fma_f32 v[106:107], v[108:109], v[96:97], v[106:107] op_sel:[0,0,1] op_sel_hi:[1,0,0]
	v_mov_b32_e32 v111, v107
	ds_load_2addr_b64 v[106:109], v100 offset0:43 offset1:44
	v_pk_add_f32 v[18:19], v[18:19], v[110:111] neg_lo:[0,1] neg_hi:[0,1]
	s_wait_dscnt 0x0
	v_pk_mul_f32 v[110:111], v[106:107], v[98:99] op_sel:[0,1]
	v_pk_mul_f32 v[98:99], v[108:109], v[98:99] op_sel:[0,1]
	s_delay_alu instid0(VALU_DEP_2) | instskip(SKIP_1) | instid1(VALU_DEP_1)
	v_pk_fma_f32 v[112:113], v[106:107], v[96:97], v[110:111] op_sel:[0,0,1] op_sel_hi:[1,1,0] neg_lo:[0,0,1] neg_hi:[0,0,1]
	v_pk_fma_f32 v[106:107], v[106:107], v[96:97], v[110:111] op_sel:[0,0,1] op_sel_hi:[1,0,0]
	v_mov_b32_e32 v113, v107
	s_delay_alu instid0(VALU_DEP_4) | instskip(SKIP_1) | instid1(VALU_DEP_3)
	v_pk_fma_f32 v[106:107], v[108:109], v[96:97], v[98:99] op_sel:[0,0,1] op_sel_hi:[1,1,0] neg_lo:[0,0,1] neg_hi:[0,0,1]
	v_pk_fma_f32 v[96:97], v[108:109], v[96:97], v[98:99] op_sel:[0,0,1] op_sel_hi:[1,0,0]
	v_pk_add_f32 v[16:17], v[16:17], v[112:113] neg_lo:[0,1] neg_hi:[0,1]
	s_delay_alu instid0(VALU_DEP_2) | instskip(NEXT) | instid1(VALU_DEP_1)
	v_mov_b32_e32 v107, v97
	v_pk_add_f32 v[94:95], v[94:95], v[106:107] neg_lo:[0,1] neg_hi:[0,1]
.LBB88_272:
	s_or_b32 exec_lo, exec_lo, s0
	v_lshl_add_u32 v96, v104, 3, v100
	s_barrier_signal -1
	s_barrier_wait -1
	ds_store_b64 v96, v[80:81]
	s_wait_dscnt 0x0
	s_barrier_signal -1
	s_barrier_wait -1
	ds_load_b64 v[98:99], v100 offset:104
	v_mov_b32_e32 v96, 13
	s_cmp_lt_i32 s18, 15
	s_cbranch_scc1 .LBB88_275
; %bb.273:
	v_add3_u32 v97, v101, 0, 0x70
	v_mov_b32_e32 v96, 13
	s_mov_b32 s0, 14
.LBB88_274:                             ; =>This Inner Loop Header: Depth=1
	ds_load_b64 v[106:107], v97
	s_wait_dscnt 0x1
	v_cmp_gt_f32_e32 vcc_lo, 0, v98
	v_cndmask_b32_e64 v108, v98, -v98, vcc_lo
	v_cmp_gt_f32_e32 vcc_lo, 0, v99
	v_cndmask_b32_e64 v110, v99, -v99, vcc_lo
	s_wait_dscnt 0x0
	v_cmp_gt_f32_e32 vcc_lo, 0, v106
	v_cndmask_b32_e64 v109, v106, -v106, vcc_lo
	v_cmp_gt_f32_e32 vcc_lo, 0, v107
	v_cndmask_b32_e64 v111, v107, -v107, vcc_lo
	s_delay_alu instid0(VALU_DEP_1) | instskip(NEXT) | instid1(VALU_DEP_1)
	v_pk_add_f32 v[108:109], v[108:109], v[110:111]
	v_cmp_lt_f32_e32 vcc_lo, v108, v109
	v_dual_add_nc_u32 v97, 8, v97 :: v_dual_cndmask_b32 v99, v99, v107, vcc_lo
	v_cndmask_b32_e32 v98, v98, v106, vcc_lo
	v_cndmask_b32_e64 v96, v96, s0, vcc_lo
	s_add_co_i32 s0, s0, 1
	s_delay_alu instid0(SALU_CYCLE_1)
	s_cmp_lg_u32 s18, s0
	s_cbranch_scc1 .LBB88_274
.LBB88_275:
	s_wait_dscnt 0x0
	v_cmp_eq_f32_e32 vcc_lo, 0, v98
	v_cmp_eq_f32_e64 s0, 0, v99
	s_and_b32 s0, vcc_lo, s0
	s_delay_alu instid0(SALU_CYCLE_1) | instskip(NEXT) | instid1(SALU_CYCLE_1)
	s_and_saveexec_b32 s1, s0
	s_xor_b32 s0, exec_lo, s1
; %bb.276:
	v_cmp_ne_u32_e32 vcc_lo, 0, v102
	v_cndmask_b32_e32 v102, 14, v102, vcc_lo
; %bb.277:
	s_and_not1_saveexec_b32 s0, s0
	s_cbranch_execz .LBB88_283
; %bb.278:
	v_cmp_ngt_f32_e64 s1, |v98|, |v99|
	s_and_saveexec_b32 s12, s1
	s_delay_alu instid0(SALU_CYCLE_1)
	s_xor_b32 s1, exec_lo, s12
	s_cbranch_execz .LBB88_280
; %bb.279:
	v_div_scale_f32 v97, null, v99, v99, v98
	v_div_scale_f32 v107, vcc_lo, v98, v99, v98
	s_delay_alu instid0(VALU_DEP_2) | instskip(SKIP_1) | instid1(TRANS32_DEP_1)
	v_rcp_f32_e32 v105, v97
	v_nop
	v_fma_f32 v106, -v97, v105, 1.0
	s_delay_alu instid0(VALU_DEP_1) | instskip(NEXT) | instid1(VALU_DEP_1)
	v_fmac_f32_e32 v105, v106, v105
	v_mul_f32_e32 v106, v107, v105
	s_delay_alu instid0(VALU_DEP_1) | instskip(NEXT) | instid1(VALU_DEP_1)
	v_fma_f32 v108, -v97, v106, v107
	v_fmac_f32_e32 v106, v108, v105
	s_delay_alu instid0(VALU_DEP_1) | instskip(NEXT) | instid1(VALU_DEP_1)
	v_fma_f32 v97, -v97, v106, v107
	v_div_fmas_f32 v97, v97, v105, v106
	s_delay_alu instid0(VALU_DEP_1) | instskip(NEXT) | instid1(VALU_DEP_1)
	v_div_fixup_f32 v97, v97, v99, v98
	v_fmac_f32_e32 v99, v98, v97
	s_delay_alu instid0(VALU_DEP_1) | instskip(SKIP_1) | instid1(VALU_DEP_2)
	v_div_scale_f32 v98, null, v99, v99, 1.0
	v_div_scale_f32 v107, vcc_lo, 1.0, v99, 1.0
	v_rcp_f32_e32 v105, v98
	v_nop
	s_delay_alu instid0(TRANS32_DEP_1) | instskip(NEXT) | instid1(VALU_DEP_1)
	v_fma_f32 v106, -v98, v105, 1.0
	v_fmac_f32_e32 v105, v106, v105
	s_delay_alu instid0(VALU_DEP_1) | instskip(NEXT) | instid1(VALU_DEP_1)
	v_mul_f32_e32 v106, v107, v105
	v_fma_f32 v108, -v98, v106, v107
	s_delay_alu instid0(VALU_DEP_1) | instskip(NEXT) | instid1(VALU_DEP_1)
	v_fmac_f32_e32 v106, v108, v105
	v_fma_f32 v98, -v98, v106, v107
	s_delay_alu instid0(VALU_DEP_1) | instskip(NEXT) | instid1(VALU_DEP_1)
	v_div_fmas_f32 v98, v98, v105, v106
	v_div_fixup_f32 v99, v98, v99, 1.0
	s_delay_alu instid0(VALU_DEP_1)
	v_mul_f32_e32 v98, v97, v99
	v_xor_b32_e32 v99, 0x80000000, v99
.LBB88_280:
	s_and_not1_saveexec_b32 s1, s1
	s_cbranch_execz .LBB88_282
; %bb.281:
	s_delay_alu instid0(VALU_DEP_1) | instskip(SKIP_1) | instid1(VALU_DEP_2)
	v_div_scale_f32 v97, null, v98, v98, v99
	v_div_scale_f32 v107, vcc_lo, v99, v98, v99
	v_rcp_f32_e32 v105, v97
	v_nop
	s_delay_alu instid0(TRANS32_DEP_1) | instskip(NEXT) | instid1(VALU_DEP_1)
	v_fma_f32 v106, -v97, v105, 1.0
	v_fmac_f32_e32 v105, v106, v105
	s_delay_alu instid0(VALU_DEP_1) | instskip(NEXT) | instid1(VALU_DEP_1)
	v_mul_f32_e32 v106, v107, v105
	v_fma_f32 v108, -v97, v106, v107
	s_delay_alu instid0(VALU_DEP_1) | instskip(NEXT) | instid1(VALU_DEP_1)
	v_fmac_f32_e32 v106, v108, v105
	v_fma_f32 v97, -v97, v106, v107
	s_delay_alu instid0(VALU_DEP_1) | instskip(NEXT) | instid1(VALU_DEP_1)
	v_div_fmas_f32 v97, v97, v105, v106
	v_div_fixup_f32 v97, v97, v98, v99
	s_delay_alu instid0(VALU_DEP_1) | instskip(NEXT) | instid1(VALU_DEP_1)
	v_fmac_f32_e32 v98, v99, v97
	v_div_scale_f32 v99, null, v98, v98, 1.0
	s_delay_alu instid0(VALU_DEP_1) | instskip(SKIP_1) | instid1(TRANS32_DEP_1)
	v_rcp_f32_e32 v105, v99
	v_nop
	v_fma_f32 v106, -v99, v105, 1.0
	s_delay_alu instid0(VALU_DEP_1) | instskip(SKIP_1) | instid1(VALU_DEP_1)
	v_fmac_f32_e32 v105, v106, v105
	v_div_scale_f32 v106, vcc_lo, 1.0, v98, 1.0
	v_mul_f32_e32 v107, v106, v105
	s_delay_alu instid0(VALU_DEP_1) | instskip(NEXT) | instid1(VALU_DEP_1)
	v_fma_f32 v108, -v99, v107, v106
	v_fmac_f32_e32 v107, v108, v105
	s_delay_alu instid0(VALU_DEP_1) | instskip(NEXT) | instid1(VALU_DEP_1)
	v_fma_f32 v99, -v99, v107, v106
	v_div_fmas_f32 v99, v99, v105, v107
	s_delay_alu instid0(VALU_DEP_1) | instskip(NEXT) | instid1(VALU_DEP_1)
	v_div_fixup_f32 v98, v99, v98, 1.0
	v_mul_f32_e64 v99, v97, -v98
.LBB88_282:
	s_or_b32 exec_lo, exec_lo, s1
.LBB88_283:
	s_delay_alu instid0(SALU_CYCLE_1) | instskip(NEXT) | instid1(SALU_CYCLE_1)
	s_or_b32 exec_lo, exec_lo, s0
	s_mov_b32 s0, exec_lo
	v_cmpx_ne_u32_e64 v104, v96
	s_xor_b32 s0, exec_lo, s0
	s_cbranch_execz .LBB88_289
; %bb.284:
	s_mov_b32 s1, exec_lo
	v_cmpx_eq_u32_e32 13, v104
	s_cbranch_execz .LBB88_288
; %bb.285:
	v_cmp_ne_u32_e32 vcc_lo, 13, v96
	s_xor_b32 s12, s16, -1
	s_delay_alu instid0(SALU_CYCLE_1) | instskip(NEXT) | instid1(SALU_CYCLE_1)
	s_and_b32 s13, s12, vcc_lo
	s_and_saveexec_b32 s12, s13
	s_cbranch_execz .LBB88_287
; %bb.286:
	v_ashrrev_i32_e32 v97, 31, v96
	s_delay_alu instid0(VALU_DEP_1)
	v_lshl_add_u64 v[104:105], v[96:97], 2, v[4:5]
	s_clause 0x1
	global_load_b32 v97, v[104:105], off
	global_load_b32 v103, v[4:5], off offset:52
	s_wait_loadcnt 0x1
	global_store_b32 v[4:5], v97, off offset:52
	s_wait_loadcnt 0x0
	global_store_b32 v[104:105], v103, off
.LBB88_287:
	s_wait_xcnt 0x0
	s_or_b32 exec_lo, exec_lo, s12
	v_dual_mov_b32 v104, v96 :: v_dual_mov_b32 v103, v96
.LBB88_288:
	s_or_b32 exec_lo, exec_lo, s1
.LBB88_289:
	s_and_not1_saveexec_b32 s0, s0
	s_cbranch_execz .LBB88_291
; %bb.290:
	v_dual_mov_b32 v96, v82 :: v_dual_mov_b32 v97, v83
	v_dual_mov_b32 v104, v78 :: v_dual_mov_b32 v105, v79
	;; [unrolled: 1-line block ×8, first 2 shown]
	ds_store_2addr_b64 v100, v[96:97], v[104:105] offset0:14 offset1:15
	ds_store_2addr_b64 v100, v[106:107], v[108:109] offset0:16 offset1:17
	;; [unrolled: 1-line block ×4, first 2 shown]
	v_dual_mov_b32 v96, v66 :: v_dual_mov_b32 v97, v67
	v_dual_mov_b32 v104, v62 :: v_dual_mov_b32 v105, v63
	;; [unrolled: 1-line block ×12, first 2 shown]
	ds_store_2addr_b64 v100, v[96:97], v[104:105] offset0:22 offset1:23
	ds_store_2addr_b64 v100, v[106:107], v[108:109] offset0:24 offset1:25
	;; [unrolled: 1-line block ×6, first 2 shown]
	v_dual_mov_b32 v96, v28 :: v_dual_mov_b32 v97, v29
	v_dual_mov_b32 v104, v20 :: v_dual_mov_b32 v105, v21
	;; [unrolled: 1-line block ×6, first 2 shown]
	ds_store_2addr_b64 v100, v[96:97], v[104:105] offset0:34 offset1:35
	ds_store_2addr_b64 v100, v[106:107], v[108:109] offset0:36 offset1:37
	v_dual_mov_b32 v104, 13 :: v_dual_mov_b32 v114, v6
	v_dual_mov_b32 v115, v7 :: v_dual_mov_b32 v116, v36
	;; [unrolled: 1-line block ×4, first 2 shown]
	v_mov_b32_e32 v121, v17
	ds_store_2addr_b64 v100, v[110:111], v[112:113] offset0:38 offset1:39
	ds_store_2addr_b64 v100, v[114:115], v[116:117] offset0:40 offset1:41
	;; [unrolled: 1-line block ×3, first 2 shown]
	ds_store_b64 v100, v[94:95] offset:352
.LBB88_291:
	s_or_b32 exec_lo, exec_lo, s0
	s_delay_alu instid0(SALU_CYCLE_1)
	s_mov_b32 s0, exec_lo
	s_wait_storecnt_dscnt 0x0
	s_barrier_signal -1
	s_barrier_wait -1
	v_cmpx_lt_i32_e32 13, v104
	s_cbranch_execz .LBB88_293
; %bb.292:
	v_pk_mul_f32 v[106:107], v[98:99], v[80:81] op_sel:[1,1] op_sel_hi:[0,1]
	s_delay_alu instid0(VALU_DEP_1)
	v_pk_fma_f32 v[96:97], v[98:99], v[80:81], v[106:107] op_sel_hi:[1,0,1] neg_lo:[0,0,1] neg_hi:[0,0,1]
	v_pk_fma_f32 v[98:99], v[98:99], v[80:81], v[106:107] op_sel_hi:[1,0,1]
	ds_load_2addr_b64 v[106:109], v100 offset0:14 offset1:15
	v_dual_mov_b32 v80, v96 :: v_dual_mov_b32 v81, v99
	s_wait_dscnt 0x0
	v_pk_mul_f32 v[110:111], v[106:107], v[98:99] op_sel:[0,1]
	s_delay_alu instid0(VALU_DEP_1) | instskip(SKIP_1) | instid1(VALU_DEP_1)
	v_pk_fma_f32 v[112:113], v[106:107], v[96:97], v[110:111] op_sel:[0,0,1] op_sel_hi:[1,1,0] neg_lo:[0,0,1] neg_hi:[0,0,1]
	v_pk_fma_f32 v[106:107], v[106:107], v[96:97], v[110:111] op_sel:[0,0,1] op_sel_hi:[1,0,0]
	v_mov_b32_e32 v113, v107
	v_pk_mul_f32 v[106:107], v[108:109], v[98:99] op_sel:[0,1]
	s_delay_alu instid0(VALU_DEP_1) | instskip(SKIP_1) | instid1(VALU_DEP_1)
	v_pk_fma_f32 v[110:111], v[108:109], v[96:97], v[106:107] op_sel:[0,0,1] op_sel_hi:[1,1,0] neg_lo:[0,0,1] neg_hi:[0,0,1]
	v_pk_fma_f32 v[106:107], v[108:109], v[96:97], v[106:107] op_sel:[0,0,1] op_sel_hi:[1,0,0]
	v_mov_b32_e32 v111, v107
	ds_load_2addr_b64 v[106:109], v100 offset0:16 offset1:17
	v_pk_add_f32 v[82:83], v[82:83], v[112:113] neg_lo:[0,1] neg_hi:[0,1]
	v_pk_add_f32 v[78:79], v[78:79], v[110:111] neg_lo:[0,1] neg_hi:[0,1]
	s_wait_dscnt 0x0
	v_pk_mul_f32 v[110:111], v[106:107], v[98:99] op_sel:[0,1]
	s_delay_alu instid0(VALU_DEP_1) | instskip(SKIP_2) | instid1(VALU_DEP_2)
	v_pk_fma_f32 v[112:113], v[106:107], v[96:97], v[110:111] op_sel:[0,0,1] op_sel_hi:[1,1,0] neg_lo:[0,0,1] neg_hi:[0,0,1]
	v_pk_fma_f32 v[106:107], v[106:107], v[96:97], v[110:111] op_sel:[0,0,1] op_sel_hi:[1,0,0]
	v_dual_mul_f32 v110, v109, v99 :: v_dual_mov_b32 v106, v109
	v_dual_mov_b32 v113, v107 :: v_dual_mov_b32 v107, v108
	s_delay_alu instid0(VALU_DEP_2) | instskip(SKIP_1) | instid1(VALU_DEP_3)
	v_pk_fma_f32 v[110:111], v[108:109], v[80:81], v[110:111] op_sel_hi:[1,1,0] neg_lo:[0,0,1] neg_hi:[0,0,1]
	v_mul_f32_e32 v108, v109, v96
	v_pk_add_f32 v[76:77], v[76:77], v[112:113] neg_lo:[0,1] neg_hi:[0,1]
	s_delay_alu instid0(VALU_DEP_2) | instskip(NEXT) | instid1(VALU_DEP_1)
	v_pk_fma_f32 v[106:107], v[106:107], v[80:81], v[108:109] op_sel_hi:[1,1,0]
	v_mov_b32_e32 v111, v107
	ds_load_2addr_b64 v[106:109], v100 offset0:18 offset1:19
	v_pk_add_f32 v[72:73], v[72:73], v[110:111] neg_lo:[0,1] neg_hi:[0,1]
	s_wait_dscnt 0x0
	v_pk_mul_f32 v[110:111], v[106:107], v[98:99] op_sel:[0,1]
	s_delay_alu instid0(VALU_DEP_1) | instskip(SKIP_1) | instid1(VALU_DEP_1)
	v_pk_fma_f32 v[112:113], v[106:107], v[96:97], v[110:111] op_sel:[0,0,1] op_sel_hi:[1,1,0] neg_lo:[0,0,1] neg_hi:[0,0,1]
	v_pk_fma_f32 v[106:107], v[106:107], v[96:97], v[110:111] op_sel:[0,0,1] op_sel_hi:[1,0,0]
	v_mov_b32_e32 v113, v107
	v_pk_mul_f32 v[106:107], v[108:109], v[98:99] op_sel:[0,1]
	s_delay_alu instid0(VALU_DEP_1) | instskip(SKIP_1) | instid1(VALU_DEP_1)
	v_pk_fma_f32 v[110:111], v[108:109], v[96:97], v[106:107] op_sel:[0,0,1] op_sel_hi:[1,1,0] neg_lo:[0,0,1] neg_hi:[0,0,1]
	v_pk_fma_f32 v[106:107], v[108:109], v[96:97], v[106:107] op_sel:[0,0,1] op_sel_hi:[1,0,0]
	v_mov_b32_e32 v111, v107
	ds_load_2addr_b64 v[106:109], v100 offset0:20 offset1:21
	v_pk_add_f32 v[74:75], v[74:75], v[112:113] neg_lo:[0,1] neg_hi:[0,1]
	v_pk_add_f32 v[70:71], v[70:71], v[110:111] neg_lo:[0,1] neg_hi:[0,1]
	s_wait_dscnt 0x0
	v_pk_mul_f32 v[110:111], v[106:107], v[98:99] op_sel:[0,1]
	s_delay_alu instid0(VALU_DEP_1) | instskip(SKIP_1) | instid1(VALU_DEP_1)
	v_pk_fma_f32 v[112:113], v[106:107], v[96:97], v[110:111] op_sel:[0,0,1] op_sel_hi:[1,1,0] neg_lo:[0,0,1] neg_hi:[0,0,1]
	v_pk_fma_f32 v[106:107], v[106:107], v[96:97], v[110:111] op_sel:[0,0,1] op_sel_hi:[1,0,0]
	v_mov_b32_e32 v113, v107
	v_pk_mul_f32 v[106:107], v[108:109], v[98:99] op_sel:[0,1]
	s_delay_alu instid0(VALU_DEP_1) | instskip(SKIP_1) | instid1(VALU_DEP_1)
	v_pk_fma_f32 v[110:111], v[108:109], v[96:97], v[106:107] op_sel:[0,0,1] op_sel_hi:[1,1,0] neg_lo:[0,0,1] neg_hi:[0,0,1]
	v_pk_fma_f32 v[106:107], v[108:109], v[96:97], v[106:107] op_sel:[0,0,1] op_sel_hi:[1,0,0]
	v_mov_b32_e32 v111, v107
	ds_load_2addr_b64 v[106:109], v100 offset0:22 offset1:23
	v_pk_add_f32 v[68:69], v[68:69], v[112:113] neg_lo:[0,1] neg_hi:[0,1]
	v_pk_add_f32 v[64:65], v[64:65], v[110:111] neg_lo:[0,1] neg_hi:[0,1]
	s_wait_dscnt 0x0
	v_dual_mul_f32 v110, v107, v99 :: v_dual_mul_f32 v112, v107, v96
	s_delay_alu instid0(VALU_DEP_1) | instskip(NEXT) | instid1(VALU_DEP_2)
	v_pk_fma_f32 v[110:111], v[106:107], v[80:81], v[110:111] op_sel_hi:[1,1,0] neg_lo:[0,0,1] neg_hi:[0,0,1]
	v_pk_fma_f32 v[106:107], v[106:107], v[80:81], v[112:113] op_sel:[1,0,0] op_sel_hi:[0,1,0]
	s_delay_alu instid0(VALU_DEP_1) | instskip(SKIP_1) | instid1(VALU_DEP_2)
	v_mov_b32_e32 v111, v107
	v_pk_mul_f32 v[106:107], v[108:109], v[98:99] op_sel:[0,1]
	v_pk_add_f32 v[66:67], v[66:67], v[110:111] neg_lo:[0,1] neg_hi:[0,1]
	s_delay_alu instid0(VALU_DEP_2) | instskip(SKIP_1) | instid1(VALU_DEP_1)
	v_pk_fma_f32 v[110:111], v[108:109], v[96:97], v[106:107] op_sel:[0,0,1] op_sel_hi:[1,1,0] neg_lo:[0,0,1] neg_hi:[0,0,1]
	v_pk_fma_f32 v[106:107], v[108:109], v[96:97], v[106:107] op_sel:[0,0,1] op_sel_hi:[1,0,0]
	v_mov_b32_e32 v111, v107
	ds_load_2addr_b64 v[106:109], v100 offset0:24 offset1:25
	v_pk_add_f32 v[62:63], v[62:63], v[110:111] neg_lo:[0,1] neg_hi:[0,1]
	s_wait_dscnt 0x0
	v_pk_mul_f32 v[110:111], v[106:107], v[98:99] op_sel:[0,1]
	s_delay_alu instid0(VALU_DEP_1) | instskip(SKIP_1) | instid1(VALU_DEP_1)
	v_pk_fma_f32 v[112:113], v[106:107], v[96:97], v[110:111] op_sel:[0,0,1] op_sel_hi:[1,1,0] neg_lo:[0,0,1] neg_hi:[0,0,1]
	v_pk_fma_f32 v[106:107], v[106:107], v[96:97], v[110:111] op_sel:[0,0,1] op_sel_hi:[1,0,0]
	v_mov_b32_e32 v113, v107
	v_pk_mul_f32 v[106:107], v[108:109], v[98:99] op_sel:[0,1]
	s_delay_alu instid0(VALU_DEP_2) | instskip(NEXT) | instid1(VALU_DEP_2)
	v_pk_add_f32 v[60:61], v[60:61], v[112:113] neg_lo:[0,1] neg_hi:[0,1]
	v_pk_fma_f32 v[110:111], v[108:109], v[96:97], v[106:107] op_sel:[0,0,1] op_sel_hi:[1,1,0] neg_lo:[0,0,1] neg_hi:[0,0,1]
	v_pk_fma_f32 v[106:107], v[108:109], v[96:97], v[106:107] op_sel:[0,0,1] op_sel_hi:[1,0,0]
	s_delay_alu instid0(VALU_DEP_1) | instskip(SKIP_4) | instid1(VALU_DEP_1)
	v_mov_b32_e32 v111, v107
	ds_load_2addr_b64 v[106:109], v100 offset0:26 offset1:27
	v_pk_add_f32 v[56:57], v[56:57], v[110:111] neg_lo:[0,1] neg_hi:[0,1]
	s_wait_dscnt 0x0
	v_pk_mul_f32 v[110:111], v[106:107], v[98:99] op_sel:[0,1]
	v_pk_fma_f32 v[112:113], v[106:107], v[96:97], v[110:111] op_sel:[0,0,1] op_sel_hi:[1,1,0] neg_lo:[0,0,1] neg_hi:[0,0,1]
	v_pk_fma_f32 v[106:107], v[106:107], v[96:97], v[110:111] op_sel:[0,0,1] op_sel_hi:[1,0,0]
	v_dual_mul_f32 v110, v109, v99 :: v_dual_mov_b32 v106, v109
	s_delay_alu instid0(VALU_DEP_2) | instskip(NEXT) | instid1(VALU_DEP_2)
	v_dual_mov_b32 v113, v107 :: v_dual_mov_b32 v107, v108
	v_pk_fma_f32 v[110:111], v[108:109], v[80:81], v[110:111] op_sel_hi:[1,1,0] neg_lo:[0,0,1] neg_hi:[0,0,1]
	v_mul_f32_e32 v108, v109, v96
	s_delay_alu instid0(VALU_DEP_3) | instskip(NEXT) | instid1(VALU_DEP_2)
	v_pk_add_f32 v[58:59], v[58:59], v[112:113] neg_lo:[0,1] neg_hi:[0,1]
	v_pk_fma_f32 v[106:107], v[106:107], v[80:81], v[108:109] op_sel_hi:[1,1,0]
	s_delay_alu instid0(VALU_DEP_1) | instskip(SKIP_4) | instid1(VALU_DEP_1)
	v_mov_b32_e32 v111, v107
	ds_load_2addr_b64 v[106:109], v100 offset0:28 offset1:29
	v_pk_add_f32 v[54:55], v[54:55], v[110:111] neg_lo:[0,1] neg_hi:[0,1]
	s_wait_dscnt 0x0
	v_pk_mul_f32 v[110:111], v[106:107], v[98:99] op_sel:[0,1]
	v_pk_fma_f32 v[112:113], v[106:107], v[96:97], v[110:111] op_sel:[0,0,1] op_sel_hi:[1,1,0] neg_lo:[0,0,1] neg_hi:[0,0,1]
	v_pk_fma_f32 v[106:107], v[106:107], v[96:97], v[110:111] op_sel:[0,0,1] op_sel_hi:[1,0,0]
	s_delay_alu instid0(VALU_DEP_1) | instskip(SKIP_1) | instid1(VALU_DEP_1)
	v_mov_b32_e32 v113, v107
	v_pk_mul_f32 v[106:107], v[108:109], v[98:99] op_sel:[0,1]
	v_pk_fma_f32 v[110:111], v[108:109], v[96:97], v[106:107] op_sel:[0,0,1] op_sel_hi:[1,1,0] neg_lo:[0,0,1] neg_hi:[0,0,1]
	v_pk_fma_f32 v[106:107], v[108:109], v[96:97], v[106:107] op_sel:[0,0,1] op_sel_hi:[1,0,0]
	s_delay_alu instid0(VALU_DEP_1)
	v_mov_b32_e32 v111, v107
	ds_load_2addr_b64 v[106:109], v100 offset0:30 offset1:31
	v_pk_add_f32 v[48:49], v[48:49], v[112:113] neg_lo:[0,1] neg_hi:[0,1]
	v_pk_add_f32 v[40:41], v[40:41], v[110:111] neg_lo:[0,1] neg_hi:[0,1]
	s_wait_dscnt 0x0
	v_pk_mul_f32 v[110:111], v[106:107], v[98:99] op_sel:[0,1]
	s_delay_alu instid0(VALU_DEP_1) | instskip(SKIP_1) | instid1(VALU_DEP_1)
	v_pk_fma_f32 v[112:113], v[106:107], v[96:97], v[110:111] op_sel:[0,0,1] op_sel_hi:[1,1,0] neg_lo:[0,0,1] neg_hi:[0,0,1]
	v_pk_fma_f32 v[106:107], v[106:107], v[96:97], v[110:111] op_sel:[0,0,1] op_sel_hi:[1,0,0]
	v_mov_b32_e32 v113, v107
	v_pk_mul_f32 v[106:107], v[108:109], v[98:99] op_sel:[0,1]
	s_delay_alu instid0(VALU_DEP_1) | instskip(SKIP_1) | instid1(VALU_DEP_1)
	v_pk_fma_f32 v[110:111], v[108:109], v[96:97], v[106:107] op_sel:[0,0,1] op_sel_hi:[1,1,0] neg_lo:[0,0,1] neg_hi:[0,0,1]
	v_pk_fma_f32 v[106:107], v[108:109], v[96:97], v[106:107] op_sel:[0,0,1] op_sel_hi:[1,0,0]
	v_mov_b32_e32 v111, v107
	ds_load_2addr_b64 v[106:109], v100 offset0:32 offset1:33
	v_pk_add_f32 v[46:47], v[46:47], v[112:113] neg_lo:[0,1] neg_hi:[0,1]
	v_pk_add_f32 v[38:39], v[38:39], v[110:111] neg_lo:[0,1] neg_hi:[0,1]
	s_wait_dscnt 0x0
	v_dual_mul_f32 v110, v107, v99 :: v_dual_mul_f32 v112, v107, v96
	s_delay_alu instid0(VALU_DEP_1) | instskip(NEXT) | instid1(VALU_DEP_2)
	v_pk_fma_f32 v[110:111], v[106:107], v[80:81], v[110:111] op_sel_hi:[1,1,0] neg_lo:[0,0,1] neg_hi:[0,0,1]
	v_pk_fma_f32 v[106:107], v[106:107], v[80:81], v[112:113] op_sel:[1,0,0] op_sel_hi:[0,1,0]
	s_delay_alu instid0(VALU_DEP_1) | instskip(SKIP_1) | instid1(VALU_DEP_2)
	v_mov_b32_e32 v111, v107
	v_pk_mul_f32 v[106:107], v[108:109], v[98:99] op_sel:[0,1]
	v_pk_add_f32 v[30:31], v[30:31], v[110:111] neg_lo:[0,1] neg_hi:[0,1]
	s_delay_alu instid0(VALU_DEP_2) | instskip(SKIP_1) | instid1(VALU_DEP_1)
	v_pk_fma_f32 v[110:111], v[108:109], v[96:97], v[106:107] op_sel:[0,0,1] op_sel_hi:[1,1,0] neg_lo:[0,0,1] neg_hi:[0,0,1]
	v_pk_fma_f32 v[106:107], v[108:109], v[96:97], v[106:107] op_sel:[0,0,1] op_sel_hi:[1,0,0]
	v_mov_b32_e32 v111, v107
	ds_load_2addr_b64 v[106:109], v100 offset0:34 offset1:35
	v_pk_add_f32 v[22:23], v[22:23], v[110:111] neg_lo:[0,1] neg_hi:[0,1]
	s_wait_dscnt 0x0
	v_pk_mul_f32 v[110:111], v[106:107], v[98:99] op_sel:[0,1]
	s_delay_alu instid0(VALU_DEP_1) | instskip(SKIP_1) | instid1(VALU_DEP_1)
	v_pk_fma_f32 v[112:113], v[106:107], v[96:97], v[110:111] op_sel:[0,0,1] op_sel_hi:[1,1,0] neg_lo:[0,0,1] neg_hi:[0,0,1]
	v_pk_fma_f32 v[106:107], v[106:107], v[96:97], v[110:111] op_sel:[0,0,1] op_sel_hi:[1,0,0]
	v_mov_b32_e32 v113, v107
	v_pk_mul_f32 v[106:107], v[108:109], v[98:99] op_sel:[0,1]
	s_delay_alu instid0(VALU_DEP_2) | instskip(NEXT) | instid1(VALU_DEP_2)
	v_pk_add_f32 v[28:29], v[28:29], v[112:113] neg_lo:[0,1] neg_hi:[0,1]
	v_pk_fma_f32 v[110:111], v[108:109], v[96:97], v[106:107] op_sel:[0,0,1] op_sel_hi:[1,1,0] neg_lo:[0,0,1] neg_hi:[0,0,1]
	v_pk_fma_f32 v[106:107], v[108:109], v[96:97], v[106:107] op_sel:[0,0,1] op_sel_hi:[1,0,0]
	s_delay_alu instid0(VALU_DEP_1) | instskip(SKIP_4) | instid1(VALU_DEP_1)
	v_mov_b32_e32 v111, v107
	ds_load_2addr_b64 v[106:109], v100 offset0:36 offset1:37
	v_pk_add_f32 v[20:21], v[20:21], v[110:111] neg_lo:[0,1] neg_hi:[0,1]
	s_wait_dscnt 0x0
	v_pk_mul_f32 v[110:111], v[106:107], v[98:99] op_sel:[0,1]
	v_pk_fma_f32 v[112:113], v[106:107], v[96:97], v[110:111] op_sel:[0,0,1] op_sel_hi:[1,1,0] neg_lo:[0,0,1] neg_hi:[0,0,1]
	v_pk_fma_f32 v[106:107], v[106:107], v[96:97], v[110:111] op_sel:[0,0,1] op_sel_hi:[1,0,0]
	v_dual_mul_f32 v110, v109, v99 :: v_dual_mov_b32 v106, v109
	s_delay_alu instid0(VALU_DEP_2) | instskip(NEXT) | instid1(VALU_DEP_2)
	v_dual_mov_b32 v113, v107 :: v_dual_mov_b32 v107, v108
	v_pk_fma_f32 v[110:111], v[108:109], v[80:81], v[110:111] op_sel_hi:[1,1,0] neg_lo:[0,0,1] neg_hi:[0,0,1]
	v_mul_f32_e32 v108, v109, v96
	s_delay_alu instid0(VALU_DEP_3) | instskip(NEXT) | instid1(VALU_DEP_2)
	v_pk_add_f32 v[14:15], v[14:15], v[112:113] neg_lo:[0,1] neg_hi:[0,1]
	v_pk_fma_f32 v[106:107], v[106:107], v[80:81], v[108:109] op_sel_hi:[1,1,0]
	s_delay_alu instid0(VALU_DEP_1) | instskip(SKIP_4) | instid1(VALU_DEP_1)
	v_mov_b32_e32 v111, v107
	ds_load_2addr_b64 v[106:109], v100 offset0:38 offset1:39
	v_pk_add_f32 v[10:11], v[10:11], v[110:111] neg_lo:[0,1] neg_hi:[0,1]
	s_wait_dscnt 0x0
	v_pk_mul_f32 v[110:111], v[106:107], v[98:99] op_sel:[0,1]
	v_pk_fma_f32 v[112:113], v[106:107], v[96:97], v[110:111] op_sel:[0,0,1] op_sel_hi:[1,1,0] neg_lo:[0,0,1] neg_hi:[0,0,1]
	v_pk_fma_f32 v[106:107], v[106:107], v[96:97], v[110:111] op_sel:[0,0,1] op_sel_hi:[1,0,0]
	s_delay_alu instid0(VALU_DEP_1) | instskip(SKIP_1) | instid1(VALU_DEP_1)
	v_mov_b32_e32 v113, v107
	v_pk_mul_f32 v[106:107], v[108:109], v[98:99] op_sel:[0,1]
	v_pk_fma_f32 v[110:111], v[108:109], v[96:97], v[106:107] op_sel:[0,0,1] op_sel_hi:[1,1,0] neg_lo:[0,0,1] neg_hi:[0,0,1]
	v_pk_fma_f32 v[106:107], v[108:109], v[96:97], v[106:107] op_sel:[0,0,1] op_sel_hi:[1,0,0]
	s_delay_alu instid0(VALU_DEP_1)
	v_mov_b32_e32 v111, v107
	ds_load_2addr_b64 v[106:109], v100 offset0:40 offset1:41
	v_pk_add_f32 v[12:13], v[12:13], v[112:113] neg_lo:[0,1] neg_hi:[0,1]
	v_pk_add_f32 v[8:9], v[8:9], v[110:111] neg_lo:[0,1] neg_hi:[0,1]
	s_wait_dscnt 0x0
	v_pk_mul_f32 v[110:111], v[106:107], v[98:99] op_sel:[0,1]
	s_delay_alu instid0(VALU_DEP_1) | instskip(SKIP_1) | instid1(VALU_DEP_1)
	v_pk_fma_f32 v[112:113], v[106:107], v[96:97], v[110:111] op_sel:[0,0,1] op_sel_hi:[1,1,0] neg_lo:[0,0,1] neg_hi:[0,0,1]
	v_pk_fma_f32 v[106:107], v[106:107], v[96:97], v[110:111] op_sel:[0,0,1] op_sel_hi:[1,0,0]
	v_mov_b32_e32 v113, v107
	v_pk_mul_f32 v[106:107], v[108:109], v[98:99] op_sel:[0,1]
	s_delay_alu instid0(VALU_DEP_1) | instskip(SKIP_1) | instid1(VALU_DEP_1)
	v_pk_fma_f32 v[110:111], v[108:109], v[96:97], v[106:107] op_sel:[0,0,1] op_sel_hi:[1,1,0] neg_lo:[0,0,1] neg_hi:[0,0,1]
	v_pk_fma_f32 v[106:107], v[108:109], v[96:97], v[106:107] op_sel:[0,0,1] op_sel_hi:[1,0,0]
	v_mov_b32_e32 v111, v107
	ds_load_2addr_b64 v[106:109], v100 offset0:42 offset1:43
	v_pk_add_f32 v[6:7], v[6:7], v[112:113] neg_lo:[0,1] neg_hi:[0,1]
	v_pk_add_f32 v[36:37], v[36:37], v[110:111] neg_lo:[0,1] neg_hi:[0,1]
	s_wait_dscnt 0x0
	v_dual_mul_f32 v110, v107, v99 :: v_dual_mul_f32 v112, v107, v96
	s_delay_alu instid0(VALU_DEP_1) | instskip(NEXT) | instid1(VALU_DEP_2)
	v_pk_fma_f32 v[110:111], v[106:107], v[80:81], v[110:111] op_sel_hi:[1,1,0] neg_lo:[0,0,1] neg_hi:[0,0,1]
	v_pk_fma_f32 v[106:107], v[106:107], v[80:81], v[112:113] op_sel:[1,0,0] op_sel_hi:[0,1,0]
	s_delay_alu instid0(VALU_DEP_1) | instskip(SKIP_1) | instid1(VALU_DEP_2)
	v_mov_b32_e32 v111, v107
	v_pk_mul_f32 v[106:107], v[108:109], v[98:99] op_sel:[0,1]
	v_pk_add_f32 v[18:19], v[18:19], v[110:111] neg_lo:[0,1] neg_hi:[0,1]
	s_delay_alu instid0(VALU_DEP_2) | instskip(SKIP_1) | instid1(VALU_DEP_1)
	v_pk_fma_f32 v[110:111], v[108:109], v[96:97], v[106:107] op_sel:[0,0,1] op_sel_hi:[1,1,0] neg_lo:[0,0,1] neg_hi:[0,0,1]
	v_pk_fma_f32 v[106:107], v[108:109], v[96:97], v[106:107] op_sel:[0,0,1] op_sel_hi:[1,0,0]
	v_mov_b32_e32 v111, v107
	ds_load_b64 v[106:107], v100 offset:352
	v_pk_add_f32 v[16:17], v[16:17], v[110:111] neg_lo:[0,1] neg_hi:[0,1]
	s_wait_dscnt 0x0
	v_pk_mul_f32 v[98:99], v[106:107], v[98:99] op_sel:[0,1]
	s_delay_alu instid0(VALU_DEP_1) | instskip(SKIP_1) | instid1(VALU_DEP_1)
	v_pk_fma_f32 v[108:109], v[106:107], v[96:97], v[98:99] op_sel:[0,0,1] op_sel_hi:[1,1,0] neg_lo:[0,0,1] neg_hi:[0,0,1]
	v_pk_fma_f32 v[96:97], v[106:107], v[96:97], v[98:99] op_sel:[0,0,1] op_sel_hi:[1,0,0]
	v_mov_b32_e32 v109, v97
	s_delay_alu instid0(VALU_DEP_1)
	v_pk_add_f32 v[94:95], v[94:95], v[108:109] neg_lo:[0,1] neg_hi:[0,1]
.LBB88_293:
	s_or_b32 exec_lo, exec_lo, s0
	v_lshl_add_u32 v96, v104, 3, v100
	s_barrier_signal -1
	s_barrier_wait -1
	ds_store_b64 v96, v[82:83]
	s_wait_dscnt 0x0
	s_barrier_signal -1
	s_barrier_wait -1
	ds_load_b64 v[98:99], v100 offset:112
	v_mov_b32_e32 v96, 14
	s_cmp_lt_i32 s18, 16
	s_cbranch_scc1 .LBB88_296
; %bb.294:
	v_add3_u32 v97, v101, 0, 0x78
	v_mov_b32_e32 v96, 14
	s_mov_b32 s0, 15
.LBB88_295:                             ; =>This Inner Loop Header: Depth=1
	ds_load_b64 v[106:107], v97
	s_wait_dscnt 0x1
	v_cmp_gt_f32_e32 vcc_lo, 0, v98
	v_cndmask_b32_e64 v108, v98, -v98, vcc_lo
	v_cmp_gt_f32_e32 vcc_lo, 0, v99
	v_cndmask_b32_e64 v110, v99, -v99, vcc_lo
	s_wait_dscnt 0x0
	v_cmp_gt_f32_e32 vcc_lo, 0, v106
	v_cndmask_b32_e64 v109, v106, -v106, vcc_lo
	v_cmp_gt_f32_e32 vcc_lo, 0, v107
	v_cndmask_b32_e64 v111, v107, -v107, vcc_lo
	s_delay_alu instid0(VALU_DEP_1) | instskip(NEXT) | instid1(VALU_DEP_1)
	v_pk_add_f32 v[108:109], v[108:109], v[110:111]
	v_cmp_lt_f32_e32 vcc_lo, v108, v109
	v_dual_add_nc_u32 v97, 8, v97 :: v_dual_cndmask_b32 v99, v99, v107, vcc_lo
	v_cndmask_b32_e32 v98, v98, v106, vcc_lo
	v_cndmask_b32_e64 v96, v96, s0, vcc_lo
	s_add_co_i32 s0, s0, 1
	s_delay_alu instid0(SALU_CYCLE_1)
	s_cmp_lg_u32 s18, s0
	s_cbranch_scc1 .LBB88_295
.LBB88_296:
	s_wait_dscnt 0x0
	v_cmp_eq_f32_e32 vcc_lo, 0, v98
	v_cmp_eq_f32_e64 s0, 0, v99
	s_and_b32 s0, vcc_lo, s0
	s_delay_alu instid0(SALU_CYCLE_1) | instskip(NEXT) | instid1(SALU_CYCLE_1)
	s_and_saveexec_b32 s1, s0
	s_xor_b32 s0, exec_lo, s1
; %bb.297:
	v_cmp_ne_u32_e32 vcc_lo, 0, v102
	v_cndmask_b32_e32 v102, 15, v102, vcc_lo
; %bb.298:
	s_and_not1_saveexec_b32 s0, s0
	s_cbranch_execz .LBB88_304
; %bb.299:
	v_cmp_ngt_f32_e64 s1, |v98|, |v99|
	s_and_saveexec_b32 s12, s1
	s_delay_alu instid0(SALU_CYCLE_1)
	s_xor_b32 s1, exec_lo, s12
	s_cbranch_execz .LBB88_301
; %bb.300:
	v_div_scale_f32 v97, null, v99, v99, v98
	v_div_scale_f32 v107, vcc_lo, v98, v99, v98
	s_delay_alu instid0(VALU_DEP_2) | instskip(SKIP_1) | instid1(TRANS32_DEP_1)
	v_rcp_f32_e32 v105, v97
	v_nop
	v_fma_f32 v106, -v97, v105, 1.0
	s_delay_alu instid0(VALU_DEP_1) | instskip(NEXT) | instid1(VALU_DEP_1)
	v_fmac_f32_e32 v105, v106, v105
	v_mul_f32_e32 v106, v107, v105
	s_delay_alu instid0(VALU_DEP_1) | instskip(NEXT) | instid1(VALU_DEP_1)
	v_fma_f32 v108, -v97, v106, v107
	v_fmac_f32_e32 v106, v108, v105
	s_delay_alu instid0(VALU_DEP_1) | instskip(NEXT) | instid1(VALU_DEP_1)
	v_fma_f32 v97, -v97, v106, v107
	v_div_fmas_f32 v97, v97, v105, v106
	s_delay_alu instid0(VALU_DEP_1) | instskip(NEXT) | instid1(VALU_DEP_1)
	v_div_fixup_f32 v97, v97, v99, v98
	v_fmac_f32_e32 v99, v98, v97
	s_delay_alu instid0(VALU_DEP_1) | instskip(SKIP_1) | instid1(VALU_DEP_2)
	v_div_scale_f32 v98, null, v99, v99, 1.0
	v_div_scale_f32 v107, vcc_lo, 1.0, v99, 1.0
	v_rcp_f32_e32 v105, v98
	v_nop
	s_delay_alu instid0(TRANS32_DEP_1) | instskip(NEXT) | instid1(VALU_DEP_1)
	v_fma_f32 v106, -v98, v105, 1.0
	v_fmac_f32_e32 v105, v106, v105
	s_delay_alu instid0(VALU_DEP_1) | instskip(NEXT) | instid1(VALU_DEP_1)
	v_mul_f32_e32 v106, v107, v105
	v_fma_f32 v108, -v98, v106, v107
	s_delay_alu instid0(VALU_DEP_1) | instskip(NEXT) | instid1(VALU_DEP_1)
	v_fmac_f32_e32 v106, v108, v105
	v_fma_f32 v98, -v98, v106, v107
	s_delay_alu instid0(VALU_DEP_1) | instskip(NEXT) | instid1(VALU_DEP_1)
	v_div_fmas_f32 v98, v98, v105, v106
	v_div_fixup_f32 v99, v98, v99, 1.0
	s_delay_alu instid0(VALU_DEP_1)
	v_mul_f32_e32 v98, v97, v99
	v_xor_b32_e32 v99, 0x80000000, v99
.LBB88_301:
	s_and_not1_saveexec_b32 s1, s1
	s_cbranch_execz .LBB88_303
; %bb.302:
	s_delay_alu instid0(VALU_DEP_1) | instskip(SKIP_1) | instid1(VALU_DEP_2)
	v_div_scale_f32 v97, null, v98, v98, v99
	v_div_scale_f32 v107, vcc_lo, v99, v98, v99
	v_rcp_f32_e32 v105, v97
	v_nop
	s_delay_alu instid0(TRANS32_DEP_1) | instskip(NEXT) | instid1(VALU_DEP_1)
	v_fma_f32 v106, -v97, v105, 1.0
	v_fmac_f32_e32 v105, v106, v105
	s_delay_alu instid0(VALU_DEP_1) | instskip(NEXT) | instid1(VALU_DEP_1)
	v_mul_f32_e32 v106, v107, v105
	v_fma_f32 v108, -v97, v106, v107
	s_delay_alu instid0(VALU_DEP_1) | instskip(NEXT) | instid1(VALU_DEP_1)
	v_fmac_f32_e32 v106, v108, v105
	v_fma_f32 v97, -v97, v106, v107
	s_delay_alu instid0(VALU_DEP_1) | instskip(NEXT) | instid1(VALU_DEP_1)
	v_div_fmas_f32 v97, v97, v105, v106
	v_div_fixup_f32 v97, v97, v98, v99
	s_delay_alu instid0(VALU_DEP_1) | instskip(NEXT) | instid1(VALU_DEP_1)
	v_fmac_f32_e32 v98, v99, v97
	v_div_scale_f32 v99, null, v98, v98, 1.0
	s_delay_alu instid0(VALU_DEP_1) | instskip(SKIP_1) | instid1(TRANS32_DEP_1)
	v_rcp_f32_e32 v105, v99
	v_nop
	v_fma_f32 v106, -v99, v105, 1.0
	s_delay_alu instid0(VALU_DEP_1) | instskip(SKIP_1) | instid1(VALU_DEP_1)
	v_fmac_f32_e32 v105, v106, v105
	v_div_scale_f32 v106, vcc_lo, 1.0, v98, 1.0
	v_mul_f32_e32 v107, v106, v105
	s_delay_alu instid0(VALU_DEP_1) | instskip(NEXT) | instid1(VALU_DEP_1)
	v_fma_f32 v108, -v99, v107, v106
	v_fmac_f32_e32 v107, v108, v105
	s_delay_alu instid0(VALU_DEP_1) | instskip(NEXT) | instid1(VALU_DEP_1)
	v_fma_f32 v99, -v99, v107, v106
	v_div_fmas_f32 v99, v99, v105, v107
	s_delay_alu instid0(VALU_DEP_1) | instskip(NEXT) | instid1(VALU_DEP_1)
	v_div_fixup_f32 v98, v99, v98, 1.0
	v_mul_f32_e64 v99, v97, -v98
.LBB88_303:
	s_or_b32 exec_lo, exec_lo, s1
.LBB88_304:
	s_delay_alu instid0(SALU_CYCLE_1) | instskip(NEXT) | instid1(SALU_CYCLE_1)
	s_or_b32 exec_lo, exec_lo, s0
	s_mov_b32 s0, exec_lo
	v_cmpx_ne_u32_e64 v104, v96
	s_xor_b32 s0, exec_lo, s0
	s_cbranch_execz .LBB88_310
; %bb.305:
	s_mov_b32 s1, exec_lo
	v_cmpx_eq_u32_e32 14, v104
	s_cbranch_execz .LBB88_309
; %bb.306:
	v_cmp_ne_u32_e32 vcc_lo, 14, v96
	s_xor_b32 s12, s16, -1
	s_delay_alu instid0(SALU_CYCLE_1) | instskip(NEXT) | instid1(SALU_CYCLE_1)
	s_and_b32 s13, s12, vcc_lo
	s_and_saveexec_b32 s12, s13
	s_cbranch_execz .LBB88_308
; %bb.307:
	v_ashrrev_i32_e32 v97, 31, v96
	s_delay_alu instid0(VALU_DEP_1)
	v_lshl_add_u64 v[104:105], v[96:97], 2, v[4:5]
	s_clause 0x1
	global_load_b32 v97, v[104:105], off
	global_load_b32 v103, v[4:5], off offset:56
	s_wait_loadcnt 0x1
	global_store_b32 v[4:5], v97, off offset:56
	s_wait_loadcnt 0x0
	global_store_b32 v[104:105], v103, off
.LBB88_308:
	s_wait_xcnt 0x0
	s_or_b32 exec_lo, exec_lo, s12
	v_dual_mov_b32 v104, v96 :: v_dual_mov_b32 v103, v96
.LBB88_309:
	s_or_b32 exec_lo, exec_lo, s1
.LBB88_310:
	s_and_not1_saveexec_b32 s0, s0
	s_cbranch_execz .LBB88_312
; %bb.311:
	v_mov_b32_e32 v104, 14
	ds_store_2addr_b64 v100, v[78:79], v[76:77] offset0:15 offset1:16
	ds_store_2addr_b64 v100, v[72:73], v[74:75] offset0:17 offset1:18
	;; [unrolled: 1-line block ×15, first 2 shown]
.LBB88_312:
	s_or_b32 exec_lo, exec_lo, s0
	s_delay_alu instid0(SALU_CYCLE_1)
	s_mov_b32 s0, exec_lo
	s_wait_storecnt_dscnt 0x0
	s_barrier_signal -1
	s_barrier_wait -1
	v_cmpx_lt_i32_e32 14, v104
	s_cbranch_execz .LBB88_314
; %bb.313:
	v_pk_mul_f32 v[106:107], v[98:99], v[82:83] op_sel:[1,1] op_sel_hi:[0,1]
	s_delay_alu instid0(VALU_DEP_1)
	v_pk_fma_f32 v[96:97], v[98:99], v[82:83], v[106:107] op_sel_hi:[1,0,1] neg_lo:[0,0,1] neg_hi:[0,0,1]
	v_pk_fma_f32 v[98:99], v[98:99], v[82:83], v[106:107] op_sel_hi:[1,0,1]
	ds_load_2addr_b64 v[106:109], v100 offset0:15 offset1:16
	v_dual_mov_b32 v82, v96 :: v_dual_mov_b32 v83, v99
	s_wait_dscnt 0x0
	v_pk_mul_f32 v[110:111], v[106:107], v[98:99] op_sel:[0,1]
	s_delay_alu instid0(VALU_DEP_1) | instskip(SKIP_1) | instid1(VALU_DEP_1)
	v_pk_fma_f32 v[112:113], v[106:107], v[96:97], v[110:111] op_sel:[0,0,1] op_sel_hi:[1,1,0] neg_lo:[0,0,1] neg_hi:[0,0,1]
	v_pk_fma_f32 v[106:107], v[106:107], v[96:97], v[110:111] op_sel:[0,0,1] op_sel_hi:[1,0,0]
	v_mov_b32_e32 v113, v107
	v_pk_mul_f32 v[106:107], v[108:109], v[98:99] op_sel:[0,1]
	s_delay_alu instid0(VALU_DEP_1) | instskip(SKIP_1) | instid1(VALU_DEP_1)
	v_pk_fma_f32 v[110:111], v[108:109], v[96:97], v[106:107] op_sel:[0,0,1] op_sel_hi:[1,1,0] neg_lo:[0,0,1] neg_hi:[0,0,1]
	v_pk_fma_f32 v[106:107], v[108:109], v[96:97], v[106:107] op_sel:[0,0,1] op_sel_hi:[1,0,0]
	v_mov_b32_e32 v111, v107
	ds_load_2addr_b64 v[106:109], v100 offset0:17 offset1:18
	v_pk_add_f32 v[78:79], v[78:79], v[112:113] neg_lo:[0,1] neg_hi:[0,1]
	v_pk_add_f32 v[76:77], v[76:77], v[110:111] neg_lo:[0,1] neg_hi:[0,1]
	s_wait_dscnt 0x0
	v_pk_mul_f32 v[110:111], v[106:107], v[98:99] op_sel:[0,1]
	s_delay_alu instid0(VALU_DEP_1) | instskip(SKIP_2) | instid1(VALU_DEP_2)
	v_pk_fma_f32 v[112:113], v[106:107], v[96:97], v[110:111] op_sel:[0,0,1] op_sel_hi:[1,1,0] neg_lo:[0,0,1] neg_hi:[0,0,1]
	v_pk_fma_f32 v[106:107], v[106:107], v[96:97], v[110:111] op_sel:[0,0,1] op_sel_hi:[1,0,0]
	v_dual_mul_f32 v110, v109, v99 :: v_dual_mov_b32 v106, v109
	v_dual_mov_b32 v113, v107 :: v_dual_mov_b32 v107, v108
	s_delay_alu instid0(VALU_DEP_2) | instskip(SKIP_1) | instid1(VALU_DEP_3)
	v_pk_fma_f32 v[110:111], v[108:109], v[82:83], v[110:111] op_sel_hi:[1,1,0] neg_lo:[0,0,1] neg_hi:[0,0,1]
	v_mul_f32_e32 v108, v109, v96
	v_pk_add_f32 v[72:73], v[72:73], v[112:113] neg_lo:[0,1] neg_hi:[0,1]
	s_delay_alu instid0(VALU_DEP_2) | instskip(NEXT) | instid1(VALU_DEP_1)
	v_pk_fma_f32 v[106:107], v[106:107], v[82:83], v[108:109] op_sel_hi:[1,1,0]
	v_mov_b32_e32 v111, v107
	ds_load_2addr_b64 v[106:109], v100 offset0:19 offset1:20
	v_pk_add_f32 v[74:75], v[74:75], v[110:111] neg_lo:[0,1] neg_hi:[0,1]
	s_wait_dscnt 0x0
	v_pk_mul_f32 v[110:111], v[106:107], v[98:99] op_sel:[0,1]
	s_delay_alu instid0(VALU_DEP_1) | instskip(SKIP_1) | instid1(VALU_DEP_1)
	v_pk_fma_f32 v[112:113], v[106:107], v[96:97], v[110:111] op_sel:[0,0,1] op_sel_hi:[1,1,0] neg_lo:[0,0,1] neg_hi:[0,0,1]
	v_pk_fma_f32 v[106:107], v[106:107], v[96:97], v[110:111] op_sel:[0,0,1] op_sel_hi:[1,0,0]
	v_mov_b32_e32 v113, v107
	v_pk_mul_f32 v[106:107], v[108:109], v[98:99] op_sel:[0,1]
	s_delay_alu instid0(VALU_DEP_1) | instskip(SKIP_1) | instid1(VALU_DEP_1)
	v_pk_fma_f32 v[110:111], v[108:109], v[96:97], v[106:107] op_sel:[0,0,1] op_sel_hi:[1,1,0] neg_lo:[0,0,1] neg_hi:[0,0,1]
	v_pk_fma_f32 v[106:107], v[108:109], v[96:97], v[106:107] op_sel:[0,0,1] op_sel_hi:[1,0,0]
	v_mov_b32_e32 v111, v107
	ds_load_2addr_b64 v[106:109], v100 offset0:21 offset1:22
	v_pk_add_f32 v[70:71], v[70:71], v[112:113] neg_lo:[0,1] neg_hi:[0,1]
	v_pk_add_f32 v[68:69], v[68:69], v[110:111] neg_lo:[0,1] neg_hi:[0,1]
	s_wait_dscnt 0x0
	v_pk_mul_f32 v[110:111], v[106:107], v[98:99] op_sel:[0,1]
	s_delay_alu instid0(VALU_DEP_1) | instskip(SKIP_1) | instid1(VALU_DEP_1)
	v_pk_fma_f32 v[112:113], v[106:107], v[96:97], v[110:111] op_sel:[0,0,1] op_sel_hi:[1,1,0] neg_lo:[0,0,1] neg_hi:[0,0,1]
	v_pk_fma_f32 v[106:107], v[106:107], v[96:97], v[110:111] op_sel:[0,0,1] op_sel_hi:[1,0,0]
	v_mov_b32_e32 v113, v107
	v_pk_mul_f32 v[106:107], v[108:109], v[98:99] op_sel:[0,1]
	s_delay_alu instid0(VALU_DEP_1) | instskip(SKIP_1) | instid1(VALU_DEP_1)
	v_pk_fma_f32 v[110:111], v[108:109], v[96:97], v[106:107] op_sel:[0,0,1] op_sel_hi:[1,1,0] neg_lo:[0,0,1] neg_hi:[0,0,1]
	v_pk_fma_f32 v[106:107], v[108:109], v[96:97], v[106:107] op_sel:[0,0,1] op_sel_hi:[1,0,0]
	v_mov_b32_e32 v111, v107
	ds_load_2addr_b64 v[106:109], v100 offset0:23 offset1:24
	v_pk_add_f32 v[64:65], v[64:65], v[112:113] neg_lo:[0,1] neg_hi:[0,1]
	v_pk_add_f32 v[66:67], v[66:67], v[110:111] neg_lo:[0,1] neg_hi:[0,1]
	s_wait_dscnt 0x0
	v_dual_mul_f32 v110, v107, v99 :: v_dual_mul_f32 v112, v107, v96
	s_delay_alu instid0(VALU_DEP_1) | instskip(NEXT) | instid1(VALU_DEP_2)
	v_pk_fma_f32 v[110:111], v[106:107], v[82:83], v[110:111] op_sel_hi:[1,1,0] neg_lo:[0,0,1] neg_hi:[0,0,1]
	v_pk_fma_f32 v[106:107], v[106:107], v[82:83], v[112:113] op_sel:[1,0,0] op_sel_hi:[0,1,0]
	s_delay_alu instid0(VALU_DEP_1) | instskip(SKIP_1) | instid1(VALU_DEP_2)
	v_mov_b32_e32 v111, v107
	v_pk_mul_f32 v[106:107], v[108:109], v[98:99] op_sel:[0,1]
	v_pk_add_f32 v[62:63], v[62:63], v[110:111] neg_lo:[0,1] neg_hi:[0,1]
	s_delay_alu instid0(VALU_DEP_2) | instskip(SKIP_1) | instid1(VALU_DEP_1)
	v_pk_fma_f32 v[110:111], v[108:109], v[96:97], v[106:107] op_sel:[0,0,1] op_sel_hi:[1,1,0] neg_lo:[0,0,1] neg_hi:[0,0,1]
	v_pk_fma_f32 v[106:107], v[108:109], v[96:97], v[106:107] op_sel:[0,0,1] op_sel_hi:[1,0,0]
	v_mov_b32_e32 v111, v107
	ds_load_2addr_b64 v[106:109], v100 offset0:25 offset1:26
	v_pk_add_f32 v[60:61], v[60:61], v[110:111] neg_lo:[0,1] neg_hi:[0,1]
	s_wait_dscnt 0x0
	v_pk_mul_f32 v[110:111], v[106:107], v[98:99] op_sel:[0,1]
	s_delay_alu instid0(VALU_DEP_1) | instskip(SKIP_1) | instid1(VALU_DEP_1)
	v_pk_fma_f32 v[112:113], v[106:107], v[96:97], v[110:111] op_sel:[0,0,1] op_sel_hi:[1,1,0] neg_lo:[0,0,1] neg_hi:[0,0,1]
	v_pk_fma_f32 v[106:107], v[106:107], v[96:97], v[110:111] op_sel:[0,0,1] op_sel_hi:[1,0,0]
	v_mov_b32_e32 v113, v107
	v_pk_mul_f32 v[106:107], v[108:109], v[98:99] op_sel:[0,1]
	s_delay_alu instid0(VALU_DEP_2) | instskip(NEXT) | instid1(VALU_DEP_2)
	v_pk_add_f32 v[56:57], v[56:57], v[112:113] neg_lo:[0,1] neg_hi:[0,1]
	v_pk_fma_f32 v[110:111], v[108:109], v[96:97], v[106:107] op_sel:[0,0,1] op_sel_hi:[1,1,0] neg_lo:[0,0,1] neg_hi:[0,0,1]
	v_pk_fma_f32 v[106:107], v[108:109], v[96:97], v[106:107] op_sel:[0,0,1] op_sel_hi:[1,0,0]
	s_delay_alu instid0(VALU_DEP_1) | instskip(SKIP_4) | instid1(VALU_DEP_1)
	v_mov_b32_e32 v111, v107
	ds_load_2addr_b64 v[106:109], v100 offset0:27 offset1:28
	v_pk_add_f32 v[58:59], v[58:59], v[110:111] neg_lo:[0,1] neg_hi:[0,1]
	s_wait_dscnt 0x0
	v_pk_mul_f32 v[110:111], v[106:107], v[98:99] op_sel:[0,1]
	v_pk_fma_f32 v[112:113], v[106:107], v[96:97], v[110:111] op_sel:[0,0,1] op_sel_hi:[1,1,0] neg_lo:[0,0,1] neg_hi:[0,0,1]
	v_pk_fma_f32 v[106:107], v[106:107], v[96:97], v[110:111] op_sel:[0,0,1] op_sel_hi:[1,0,0]
	v_dual_mul_f32 v110, v109, v99 :: v_dual_mov_b32 v106, v109
	s_delay_alu instid0(VALU_DEP_2) | instskip(NEXT) | instid1(VALU_DEP_2)
	v_dual_mov_b32 v113, v107 :: v_dual_mov_b32 v107, v108
	v_pk_fma_f32 v[110:111], v[108:109], v[82:83], v[110:111] op_sel_hi:[1,1,0] neg_lo:[0,0,1] neg_hi:[0,0,1]
	v_mul_f32_e32 v108, v109, v96
	s_delay_alu instid0(VALU_DEP_3) | instskip(NEXT) | instid1(VALU_DEP_2)
	v_pk_add_f32 v[54:55], v[54:55], v[112:113] neg_lo:[0,1] neg_hi:[0,1]
	v_pk_fma_f32 v[106:107], v[106:107], v[82:83], v[108:109] op_sel_hi:[1,1,0]
	s_delay_alu instid0(VALU_DEP_1) | instskip(SKIP_4) | instid1(VALU_DEP_1)
	v_mov_b32_e32 v111, v107
	ds_load_2addr_b64 v[106:109], v100 offset0:29 offset1:30
	v_pk_add_f32 v[48:49], v[48:49], v[110:111] neg_lo:[0,1] neg_hi:[0,1]
	s_wait_dscnt 0x0
	v_pk_mul_f32 v[110:111], v[106:107], v[98:99] op_sel:[0,1]
	v_pk_fma_f32 v[112:113], v[106:107], v[96:97], v[110:111] op_sel:[0,0,1] op_sel_hi:[1,1,0] neg_lo:[0,0,1] neg_hi:[0,0,1]
	v_pk_fma_f32 v[106:107], v[106:107], v[96:97], v[110:111] op_sel:[0,0,1] op_sel_hi:[1,0,0]
	s_delay_alu instid0(VALU_DEP_1) | instskip(SKIP_1) | instid1(VALU_DEP_1)
	v_mov_b32_e32 v113, v107
	v_pk_mul_f32 v[106:107], v[108:109], v[98:99] op_sel:[0,1]
	v_pk_fma_f32 v[110:111], v[108:109], v[96:97], v[106:107] op_sel:[0,0,1] op_sel_hi:[1,1,0] neg_lo:[0,0,1] neg_hi:[0,0,1]
	v_pk_fma_f32 v[106:107], v[108:109], v[96:97], v[106:107] op_sel:[0,0,1] op_sel_hi:[1,0,0]
	s_delay_alu instid0(VALU_DEP_1)
	v_mov_b32_e32 v111, v107
	ds_load_2addr_b64 v[106:109], v100 offset0:31 offset1:32
	v_pk_add_f32 v[40:41], v[40:41], v[112:113] neg_lo:[0,1] neg_hi:[0,1]
	v_pk_add_f32 v[46:47], v[46:47], v[110:111] neg_lo:[0,1] neg_hi:[0,1]
	s_wait_dscnt 0x0
	v_pk_mul_f32 v[110:111], v[106:107], v[98:99] op_sel:[0,1]
	s_delay_alu instid0(VALU_DEP_1) | instskip(SKIP_1) | instid1(VALU_DEP_1)
	v_pk_fma_f32 v[112:113], v[106:107], v[96:97], v[110:111] op_sel:[0,0,1] op_sel_hi:[1,1,0] neg_lo:[0,0,1] neg_hi:[0,0,1]
	v_pk_fma_f32 v[106:107], v[106:107], v[96:97], v[110:111] op_sel:[0,0,1] op_sel_hi:[1,0,0]
	v_mov_b32_e32 v113, v107
	v_pk_mul_f32 v[106:107], v[108:109], v[98:99] op_sel:[0,1]
	s_delay_alu instid0(VALU_DEP_1) | instskip(SKIP_1) | instid1(VALU_DEP_1)
	v_pk_fma_f32 v[110:111], v[108:109], v[96:97], v[106:107] op_sel:[0,0,1] op_sel_hi:[1,1,0] neg_lo:[0,0,1] neg_hi:[0,0,1]
	v_pk_fma_f32 v[106:107], v[108:109], v[96:97], v[106:107] op_sel:[0,0,1] op_sel_hi:[1,0,0]
	v_mov_b32_e32 v111, v107
	ds_load_2addr_b64 v[106:109], v100 offset0:33 offset1:34
	v_pk_add_f32 v[38:39], v[38:39], v[112:113] neg_lo:[0,1] neg_hi:[0,1]
	v_pk_add_f32 v[30:31], v[30:31], v[110:111] neg_lo:[0,1] neg_hi:[0,1]
	s_wait_dscnt 0x0
	v_dual_mul_f32 v110, v107, v99 :: v_dual_mul_f32 v112, v107, v96
	s_delay_alu instid0(VALU_DEP_1) | instskip(NEXT) | instid1(VALU_DEP_2)
	v_pk_fma_f32 v[110:111], v[106:107], v[82:83], v[110:111] op_sel_hi:[1,1,0] neg_lo:[0,0,1] neg_hi:[0,0,1]
	v_pk_fma_f32 v[106:107], v[106:107], v[82:83], v[112:113] op_sel:[1,0,0] op_sel_hi:[0,1,0]
	s_delay_alu instid0(VALU_DEP_1) | instskip(SKIP_1) | instid1(VALU_DEP_2)
	v_mov_b32_e32 v111, v107
	v_pk_mul_f32 v[106:107], v[108:109], v[98:99] op_sel:[0,1]
	v_pk_add_f32 v[22:23], v[22:23], v[110:111] neg_lo:[0,1] neg_hi:[0,1]
	s_delay_alu instid0(VALU_DEP_2) | instskip(SKIP_1) | instid1(VALU_DEP_1)
	v_pk_fma_f32 v[110:111], v[108:109], v[96:97], v[106:107] op_sel:[0,0,1] op_sel_hi:[1,1,0] neg_lo:[0,0,1] neg_hi:[0,0,1]
	v_pk_fma_f32 v[106:107], v[108:109], v[96:97], v[106:107] op_sel:[0,0,1] op_sel_hi:[1,0,0]
	v_mov_b32_e32 v111, v107
	ds_load_2addr_b64 v[106:109], v100 offset0:35 offset1:36
	v_pk_add_f32 v[28:29], v[28:29], v[110:111] neg_lo:[0,1] neg_hi:[0,1]
	s_wait_dscnt 0x0
	v_pk_mul_f32 v[110:111], v[106:107], v[98:99] op_sel:[0,1]
	s_delay_alu instid0(VALU_DEP_1) | instskip(SKIP_1) | instid1(VALU_DEP_1)
	v_pk_fma_f32 v[112:113], v[106:107], v[96:97], v[110:111] op_sel:[0,0,1] op_sel_hi:[1,1,0] neg_lo:[0,0,1] neg_hi:[0,0,1]
	v_pk_fma_f32 v[106:107], v[106:107], v[96:97], v[110:111] op_sel:[0,0,1] op_sel_hi:[1,0,0]
	v_mov_b32_e32 v113, v107
	v_pk_mul_f32 v[106:107], v[108:109], v[98:99] op_sel:[0,1]
	s_delay_alu instid0(VALU_DEP_2) | instskip(NEXT) | instid1(VALU_DEP_2)
	v_pk_add_f32 v[20:21], v[20:21], v[112:113] neg_lo:[0,1] neg_hi:[0,1]
	v_pk_fma_f32 v[110:111], v[108:109], v[96:97], v[106:107] op_sel:[0,0,1] op_sel_hi:[1,1,0] neg_lo:[0,0,1] neg_hi:[0,0,1]
	v_pk_fma_f32 v[106:107], v[108:109], v[96:97], v[106:107] op_sel:[0,0,1] op_sel_hi:[1,0,0]
	s_delay_alu instid0(VALU_DEP_1) | instskip(SKIP_4) | instid1(VALU_DEP_1)
	v_mov_b32_e32 v111, v107
	ds_load_2addr_b64 v[106:109], v100 offset0:37 offset1:38
	v_pk_add_f32 v[14:15], v[14:15], v[110:111] neg_lo:[0,1] neg_hi:[0,1]
	s_wait_dscnt 0x0
	v_pk_mul_f32 v[110:111], v[106:107], v[98:99] op_sel:[0,1]
	v_pk_fma_f32 v[112:113], v[106:107], v[96:97], v[110:111] op_sel:[0,0,1] op_sel_hi:[1,1,0] neg_lo:[0,0,1] neg_hi:[0,0,1]
	v_pk_fma_f32 v[106:107], v[106:107], v[96:97], v[110:111] op_sel:[0,0,1] op_sel_hi:[1,0,0]
	v_dual_mul_f32 v110, v109, v99 :: v_dual_mov_b32 v106, v109
	s_delay_alu instid0(VALU_DEP_2) | instskip(NEXT) | instid1(VALU_DEP_2)
	v_dual_mov_b32 v113, v107 :: v_dual_mov_b32 v107, v108
	v_pk_fma_f32 v[110:111], v[108:109], v[82:83], v[110:111] op_sel_hi:[1,1,0] neg_lo:[0,0,1] neg_hi:[0,0,1]
	v_mul_f32_e32 v108, v109, v96
	s_delay_alu instid0(VALU_DEP_3) | instskip(NEXT) | instid1(VALU_DEP_2)
	v_pk_add_f32 v[10:11], v[10:11], v[112:113] neg_lo:[0,1] neg_hi:[0,1]
	v_pk_fma_f32 v[106:107], v[106:107], v[82:83], v[108:109] op_sel_hi:[1,1,0]
	s_delay_alu instid0(VALU_DEP_1) | instskip(SKIP_4) | instid1(VALU_DEP_1)
	v_mov_b32_e32 v111, v107
	ds_load_2addr_b64 v[106:109], v100 offset0:39 offset1:40
	v_pk_add_f32 v[12:13], v[12:13], v[110:111] neg_lo:[0,1] neg_hi:[0,1]
	s_wait_dscnt 0x0
	v_pk_mul_f32 v[110:111], v[106:107], v[98:99] op_sel:[0,1]
	v_pk_fma_f32 v[112:113], v[106:107], v[96:97], v[110:111] op_sel:[0,0,1] op_sel_hi:[1,1,0] neg_lo:[0,0,1] neg_hi:[0,0,1]
	v_pk_fma_f32 v[106:107], v[106:107], v[96:97], v[110:111] op_sel:[0,0,1] op_sel_hi:[1,0,0]
	s_delay_alu instid0(VALU_DEP_1) | instskip(SKIP_1) | instid1(VALU_DEP_1)
	v_mov_b32_e32 v113, v107
	v_pk_mul_f32 v[106:107], v[108:109], v[98:99] op_sel:[0,1]
	v_pk_fma_f32 v[110:111], v[108:109], v[96:97], v[106:107] op_sel:[0,0,1] op_sel_hi:[1,1,0] neg_lo:[0,0,1] neg_hi:[0,0,1]
	v_pk_fma_f32 v[106:107], v[108:109], v[96:97], v[106:107] op_sel:[0,0,1] op_sel_hi:[1,0,0]
	s_delay_alu instid0(VALU_DEP_1)
	v_mov_b32_e32 v111, v107
	ds_load_2addr_b64 v[106:109], v100 offset0:41 offset1:42
	v_pk_add_f32 v[8:9], v[8:9], v[112:113] neg_lo:[0,1] neg_hi:[0,1]
	v_pk_add_f32 v[6:7], v[6:7], v[110:111] neg_lo:[0,1] neg_hi:[0,1]
	s_wait_dscnt 0x0
	v_pk_mul_f32 v[110:111], v[106:107], v[98:99] op_sel:[0,1]
	s_delay_alu instid0(VALU_DEP_1) | instskip(SKIP_1) | instid1(VALU_DEP_1)
	v_pk_fma_f32 v[112:113], v[106:107], v[96:97], v[110:111] op_sel:[0,0,1] op_sel_hi:[1,1,0] neg_lo:[0,0,1] neg_hi:[0,0,1]
	v_pk_fma_f32 v[106:107], v[106:107], v[96:97], v[110:111] op_sel:[0,0,1] op_sel_hi:[1,0,0]
	v_mov_b32_e32 v113, v107
	v_pk_mul_f32 v[106:107], v[108:109], v[98:99] op_sel:[0,1]
	s_delay_alu instid0(VALU_DEP_1) | instskip(SKIP_1) | instid1(VALU_DEP_1)
	v_pk_fma_f32 v[110:111], v[108:109], v[96:97], v[106:107] op_sel:[0,0,1] op_sel_hi:[1,1,0] neg_lo:[0,0,1] neg_hi:[0,0,1]
	v_pk_fma_f32 v[106:107], v[108:109], v[96:97], v[106:107] op_sel:[0,0,1] op_sel_hi:[1,0,0]
	v_mov_b32_e32 v111, v107
	ds_load_2addr_b64 v[106:109], v100 offset0:43 offset1:44
	v_pk_add_f32 v[36:37], v[36:37], v[112:113] neg_lo:[0,1] neg_hi:[0,1]
	v_pk_add_f32 v[18:19], v[18:19], v[110:111] neg_lo:[0,1] neg_hi:[0,1]
	s_wait_dscnt 0x0
	v_mul_f32_e32 v98, v107, v99
	s_delay_alu instid0(VALU_DEP_1) | instskip(SKIP_1) | instid1(VALU_DEP_1)
	v_pk_fma_f32 v[110:111], v[106:107], v[82:83], v[98:99] op_sel_hi:[1,1,0] neg_lo:[0,0,1] neg_hi:[0,0,1]
	v_dual_mul_f32 v98, v107, v96 :: v_dual_mul_f32 v96, v109, v96
	v_pk_fma_f32 v[106:107], v[106:107], v[82:83], v[98:99] op_sel:[1,0,0] op_sel_hi:[0,1,0]
	v_dual_mov_b32 v106, v109 :: v_dual_mul_f32 v98, v109, v99
	s_delay_alu instid0(VALU_DEP_2) | instskip(NEXT) | instid1(VALU_DEP_2)
	v_dual_mov_b32 v111, v107 :: v_dual_mov_b32 v107, v108
	v_pk_fma_f32 v[98:99], v[108:109], v[82:83], v[98:99] op_sel_hi:[1,1,0] neg_lo:[0,0,1] neg_hi:[0,0,1]
	s_delay_alu instid0(VALU_DEP_2) | instskip(NEXT) | instid1(VALU_DEP_3)
	v_pk_add_f32 v[16:17], v[16:17], v[110:111] neg_lo:[0,1] neg_hi:[0,1]
	v_pk_fma_f32 v[96:97], v[106:107], v[82:83], v[96:97] op_sel_hi:[1,1,0]
	s_delay_alu instid0(VALU_DEP_1) | instskip(NEXT) | instid1(VALU_DEP_1)
	v_mov_b32_e32 v99, v97
	v_pk_add_f32 v[94:95], v[94:95], v[98:99] neg_lo:[0,1] neg_hi:[0,1]
.LBB88_314:
	s_or_b32 exec_lo, exec_lo, s0
	v_lshl_add_u32 v96, v104, 3, v100
	s_barrier_signal -1
	s_barrier_wait -1
	ds_store_b64 v96, v[78:79]
	s_wait_dscnt 0x0
	s_barrier_signal -1
	s_barrier_wait -1
	ds_load_b64 v[98:99], v100 offset:120
	v_mov_b32_e32 v96, 15
	s_cmp_lt_i32 s18, 17
	s_cbranch_scc1 .LBB88_317
; %bb.315:
	v_add3_u32 v97, v101, 0, 0x80
	v_mov_b32_e32 v96, 15
	s_mov_b32 s0, 16
.LBB88_316:                             ; =>This Inner Loop Header: Depth=1
	ds_load_b64 v[106:107], v97
	s_wait_dscnt 0x1
	v_cmp_gt_f32_e32 vcc_lo, 0, v98
	v_cndmask_b32_e64 v108, v98, -v98, vcc_lo
	v_cmp_gt_f32_e32 vcc_lo, 0, v99
	v_cndmask_b32_e64 v110, v99, -v99, vcc_lo
	s_wait_dscnt 0x0
	v_cmp_gt_f32_e32 vcc_lo, 0, v106
	v_cndmask_b32_e64 v109, v106, -v106, vcc_lo
	v_cmp_gt_f32_e32 vcc_lo, 0, v107
	v_cndmask_b32_e64 v111, v107, -v107, vcc_lo
	s_delay_alu instid0(VALU_DEP_1) | instskip(NEXT) | instid1(VALU_DEP_1)
	v_pk_add_f32 v[108:109], v[108:109], v[110:111]
	v_cmp_lt_f32_e32 vcc_lo, v108, v109
	v_dual_add_nc_u32 v97, 8, v97 :: v_dual_cndmask_b32 v99, v99, v107, vcc_lo
	v_cndmask_b32_e32 v98, v98, v106, vcc_lo
	v_cndmask_b32_e64 v96, v96, s0, vcc_lo
	s_add_co_i32 s0, s0, 1
	s_delay_alu instid0(SALU_CYCLE_1)
	s_cmp_lg_u32 s18, s0
	s_cbranch_scc1 .LBB88_316
.LBB88_317:
	s_wait_dscnt 0x0
	v_cmp_eq_f32_e32 vcc_lo, 0, v98
	v_cmp_eq_f32_e64 s0, 0, v99
	s_and_b32 s0, vcc_lo, s0
	s_delay_alu instid0(SALU_CYCLE_1) | instskip(NEXT) | instid1(SALU_CYCLE_1)
	s_and_saveexec_b32 s1, s0
	s_xor_b32 s0, exec_lo, s1
; %bb.318:
	v_cmp_ne_u32_e32 vcc_lo, 0, v102
	v_cndmask_b32_e32 v102, 16, v102, vcc_lo
; %bb.319:
	s_and_not1_saveexec_b32 s0, s0
	s_cbranch_execz .LBB88_325
; %bb.320:
	v_cmp_ngt_f32_e64 s1, |v98|, |v99|
	s_and_saveexec_b32 s12, s1
	s_delay_alu instid0(SALU_CYCLE_1)
	s_xor_b32 s1, exec_lo, s12
	s_cbranch_execz .LBB88_322
; %bb.321:
	v_div_scale_f32 v97, null, v99, v99, v98
	v_div_scale_f32 v107, vcc_lo, v98, v99, v98
	s_delay_alu instid0(VALU_DEP_2) | instskip(SKIP_1) | instid1(TRANS32_DEP_1)
	v_rcp_f32_e32 v105, v97
	v_nop
	v_fma_f32 v106, -v97, v105, 1.0
	s_delay_alu instid0(VALU_DEP_1) | instskip(NEXT) | instid1(VALU_DEP_1)
	v_fmac_f32_e32 v105, v106, v105
	v_mul_f32_e32 v106, v107, v105
	s_delay_alu instid0(VALU_DEP_1) | instskip(NEXT) | instid1(VALU_DEP_1)
	v_fma_f32 v108, -v97, v106, v107
	v_fmac_f32_e32 v106, v108, v105
	s_delay_alu instid0(VALU_DEP_1) | instskip(NEXT) | instid1(VALU_DEP_1)
	v_fma_f32 v97, -v97, v106, v107
	v_div_fmas_f32 v97, v97, v105, v106
	s_delay_alu instid0(VALU_DEP_1) | instskip(NEXT) | instid1(VALU_DEP_1)
	v_div_fixup_f32 v97, v97, v99, v98
	v_fmac_f32_e32 v99, v98, v97
	s_delay_alu instid0(VALU_DEP_1) | instskip(SKIP_1) | instid1(VALU_DEP_2)
	v_div_scale_f32 v98, null, v99, v99, 1.0
	v_div_scale_f32 v107, vcc_lo, 1.0, v99, 1.0
	v_rcp_f32_e32 v105, v98
	v_nop
	s_delay_alu instid0(TRANS32_DEP_1) | instskip(NEXT) | instid1(VALU_DEP_1)
	v_fma_f32 v106, -v98, v105, 1.0
	v_fmac_f32_e32 v105, v106, v105
	s_delay_alu instid0(VALU_DEP_1) | instskip(NEXT) | instid1(VALU_DEP_1)
	v_mul_f32_e32 v106, v107, v105
	v_fma_f32 v108, -v98, v106, v107
	s_delay_alu instid0(VALU_DEP_1) | instskip(NEXT) | instid1(VALU_DEP_1)
	v_fmac_f32_e32 v106, v108, v105
	v_fma_f32 v98, -v98, v106, v107
	s_delay_alu instid0(VALU_DEP_1) | instskip(NEXT) | instid1(VALU_DEP_1)
	v_div_fmas_f32 v98, v98, v105, v106
	v_div_fixup_f32 v99, v98, v99, 1.0
	s_delay_alu instid0(VALU_DEP_1)
	v_mul_f32_e32 v98, v97, v99
	v_xor_b32_e32 v99, 0x80000000, v99
.LBB88_322:
	s_and_not1_saveexec_b32 s1, s1
	s_cbranch_execz .LBB88_324
; %bb.323:
	s_delay_alu instid0(VALU_DEP_1) | instskip(SKIP_1) | instid1(VALU_DEP_2)
	v_div_scale_f32 v97, null, v98, v98, v99
	v_div_scale_f32 v107, vcc_lo, v99, v98, v99
	v_rcp_f32_e32 v105, v97
	v_nop
	s_delay_alu instid0(TRANS32_DEP_1) | instskip(NEXT) | instid1(VALU_DEP_1)
	v_fma_f32 v106, -v97, v105, 1.0
	v_fmac_f32_e32 v105, v106, v105
	s_delay_alu instid0(VALU_DEP_1) | instskip(NEXT) | instid1(VALU_DEP_1)
	v_mul_f32_e32 v106, v107, v105
	v_fma_f32 v108, -v97, v106, v107
	s_delay_alu instid0(VALU_DEP_1) | instskip(NEXT) | instid1(VALU_DEP_1)
	v_fmac_f32_e32 v106, v108, v105
	v_fma_f32 v97, -v97, v106, v107
	s_delay_alu instid0(VALU_DEP_1) | instskip(NEXT) | instid1(VALU_DEP_1)
	v_div_fmas_f32 v97, v97, v105, v106
	v_div_fixup_f32 v97, v97, v98, v99
	s_delay_alu instid0(VALU_DEP_1) | instskip(NEXT) | instid1(VALU_DEP_1)
	v_fmac_f32_e32 v98, v99, v97
	v_div_scale_f32 v99, null, v98, v98, 1.0
	s_delay_alu instid0(VALU_DEP_1) | instskip(SKIP_1) | instid1(TRANS32_DEP_1)
	v_rcp_f32_e32 v105, v99
	v_nop
	v_fma_f32 v106, -v99, v105, 1.0
	s_delay_alu instid0(VALU_DEP_1) | instskip(SKIP_1) | instid1(VALU_DEP_1)
	v_fmac_f32_e32 v105, v106, v105
	v_div_scale_f32 v106, vcc_lo, 1.0, v98, 1.0
	v_mul_f32_e32 v107, v106, v105
	s_delay_alu instid0(VALU_DEP_1) | instskip(NEXT) | instid1(VALU_DEP_1)
	v_fma_f32 v108, -v99, v107, v106
	v_fmac_f32_e32 v107, v108, v105
	s_delay_alu instid0(VALU_DEP_1) | instskip(NEXT) | instid1(VALU_DEP_1)
	v_fma_f32 v99, -v99, v107, v106
	v_div_fmas_f32 v99, v99, v105, v107
	s_delay_alu instid0(VALU_DEP_1) | instskip(NEXT) | instid1(VALU_DEP_1)
	v_div_fixup_f32 v98, v99, v98, 1.0
	v_mul_f32_e64 v99, v97, -v98
.LBB88_324:
	s_or_b32 exec_lo, exec_lo, s1
.LBB88_325:
	s_delay_alu instid0(SALU_CYCLE_1) | instskip(NEXT) | instid1(SALU_CYCLE_1)
	s_or_b32 exec_lo, exec_lo, s0
	s_mov_b32 s0, exec_lo
	v_cmpx_ne_u32_e64 v104, v96
	s_xor_b32 s0, exec_lo, s0
	s_cbranch_execz .LBB88_331
; %bb.326:
	s_mov_b32 s1, exec_lo
	v_cmpx_eq_u32_e32 15, v104
	s_cbranch_execz .LBB88_330
; %bb.327:
	v_cmp_ne_u32_e32 vcc_lo, 15, v96
	s_xor_b32 s12, s16, -1
	s_delay_alu instid0(SALU_CYCLE_1) | instskip(NEXT) | instid1(SALU_CYCLE_1)
	s_and_b32 s13, s12, vcc_lo
	s_and_saveexec_b32 s12, s13
	s_cbranch_execz .LBB88_329
; %bb.328:
	v_ashrrev_i32_e32 v97, 31, v96
	s_delay_alu instid0(VALU_DEP_1)
	v_lshl_add_u64 v[104:105], v[96:97], 2, v[4:5]
	s_clause 0x1
	global_load_b32 v97, v[104:105], off
	global_load_b32 v103, v[4:5], off offset:60
	s_wait_loadcnt 0x1
	global_store_b32 v[4:5], v97, off offset:60
	s_wait_loadcnt 0x0
	global_store_b32 v[104:105], v103, off
.LBB88_329:
	s_wait_xcnt 0x0
	s_or_b32 exec_lo, exec_lo, s12
	v_dual_mov_b32 v104, v96 :: v_dual_mov_b32 v103, v96
.LBB88_330:
	s_or_b32 exec_lo, exec_lo, s1
.LBB88_331:
	s_and_not1_saveexec_b32 s0, s0
	s_cbranch_execz .LBB88_333
; %bb.332:
	v_dual_mov_b32 v96, v76 :: v_dual_mov_b32 v97, v77
	v_dual_mov_b32 v104, v72 :: v_dual_mov_b32 v105, v73
	;; [unrolled: 1-line block ×8, first 2 shown]
	ds_store_2addr_b64 v100, v[96:97], v[104:105] offset0:16 offset1:17
	ds_store_2addr_b64 v100, v[106:107], v[108:109] offset0:18 offset1:19
	;; [unrolled: 1-line block ×4, first 2 shown]
	v_dual_mov_b32 v96, v60 :: v_dual_mov_b32 v97, v61
	v_dual_mov_b32 v104, v56 :: v_dual_mov_b32 v105, v57
	;; [unrolled: 1-line block ×12, first 2 shown]
	ds_store_2addr_b64 v100, v[96:97], v[104:105] offset0:24 offset1:25
	ds_store_2addr_b64 v100, v[106:107], v[108:109] offset0:26 offset1:27
	;; [unrolled: 1-line block ×6, first 2 shown]
	v_dual_mov_b32 v96, v14 :: v_dual_mov_b32 v97, v15
	v_dual_mov_b32 v106, v10 :: v_dual_mov_b32 v107, v11
	;; [unrolled: 1-line block ×8, first 2 shown]
	v_mov_b32_e32 v119, v17
	ds_store_2addr_b64 v100, v[96:97], v[106:107] offset0:36 offset1:37
	ds_store_2addr_b64 v100, v[108:109], v[110:111] offset0:38 offset1:39
	;; [unrolled: 1-line block ×4, first 2 shown]
	ds_store_b64 v100, v[94:95] offset:352
.LBB88_333:
	s_or_b32 exec_lo, exec_lo, s0
	s_delay_alu instid0(SALU_CYCLE_1)
	s_mov_b32 s0, exec_lo
	s_wait_storecnt_dscnt 0x0
	s_barrier_signal -1
	s_barrier_wait -1
	v_cmpx_lt_i32_e32 15, v104
	s_cbranch_execz .LBB88_335
; %bb.334:
	v_pk_mul_f32 v[106:107], v[98:99], v[78:79] op_sel:[1,1] op_sel_hi:[0,1]
	s_delay_alu instid0(VALU_DEP_1)
	v_pk_fma_f32 v[96:97], v[98:99], v[78:79], v[106:107] op_sel_hi:[1,0,1] neg_lo:[0,0,1] neg_hi:[0,0,1]
	v_pk_fma_f32 v[98:99], v[98:99], v[78:79], v[106:107] op_sel_hi:[1,0,1]
	ds_load_2addr_b64 v[106:109], v100 offset0:16 offset1:17
	v_dual_mov_b32 v78, v96 :: v_dual_mov_b32 v79, v99
	s_wait_dscnt 0x0
	v_pk_mul_f32 v[110:111], v[106:107], v[98:99] op_sel:[0,1]
	s_delay_alu instid0(VALU_DEP_1) | instskip(SKIP_1) | instid1(VALU_DEP_1)
	v_pk_fma_f32 v[112:113], v[106:107], v[96:97], v[110:111] op_sel:[0,0,1] op_sel_hi:[1,1,0] neg_lo:[0,0,1] neg_hi:[0,0,1]
	v_pk_fma_f32 v[106:107], v[106:107], v[96:97], v[110:111] op_sel:[0,0,1] op_sel_hi:[1,0,0]
	v_mov_b32_e32 v113, v107
	v_pk_mul_f32 v[106:107], v[108:109], v[98:99] op_sel:[0,1]
	s_delay_alu instid0(VALU_DEP_1) | instskip(SKIP_1) | instid1(VALU_DEP_1)
	v_pk_fma_f32 v[110:111], v[108:109], v[96:97], v[106:107] op_sel:[0,0,1] op_sel_hi:[1,1,0] neg_lo:[0,0,1] neg_hi:[0,0,1]
	v_pk_fma_f32 v[106:107], v[108:109], v[96:97], v[106:107] op_sel:[0,0,1] op_sel_hi:[1,0,0]
	v_mov_b32_e32 v111, v107
	ds_load_2addr_b64 v[106:109], v100 offset0:18 offset1:19
	v_pk_add_f32 v[76:77], v[76:77], v[112:113] neg_lo:[0,1] neg_hi:[0,1]
	v_pk_add_f32 v[72:73], v[72:73], v[110:111] neg_lo:[0,1] neg_hi:[0,1]
	s_wait_dscnt 0x0
	v_pk_mul_f32 v[110:111], v[106:107], v[98:99] op_sel:[0,1]
	s_delay_alu instid0(VALU_DEP_1) | instskip(SKIP_2) | instid1(VALU_DEP_2)
	v_pk_fma_f32 v[112:113], v[106:107], v[96:97], v[110:111] op_sel:[0,0,1] op_sel_hi:[1,1,0] neg_lo:[0,0,1] neg_hi:[0,0,1]
	v_pk_fma_f32 v[106:107], v[106:107], v[96:97], v[110:111] op_sel:[0,0,1] op_sel_hi:[1,0,0]
	v_dual_mul_f32 v110, v109, v99 :: v_dual_mov_b32 v106, v109
	v_dual_mov_b32 v113, v107 :: v_dual_mov_b32 v107, v108
	s_delay_alu instid0(VALU_DEP_2) | instskip(SKIP_1) | instid1(VALU_DEP_3)
	v_pk_fma_f32 v[110:111], v[108:109], v[78:79], v[110:111] op_sel_hi:[1,1,0] neg_lo:[0,0,1] neg_hi:[0,0,1]
	v_mul_f32_e32 v108, v109, v96
	v_pk_add_f32 v[74:75], v[74:75], v[112:113] neg_lo:[0,1] neg_hi:[0,1]
	s_delay_alu instid0(VALU_DEP_2) | instskip(NEXT) | instid1(VALU_DEP_1)
	v_pk_fma_f32 v[106:107], v[106:107], v[78:79], v[108:109] op_sel_hi:[1,1,0]
	v_mov_b32_e32 v111, v107
	ds_load_2addr_b64 v[106:109], v100 offset0:20 offset1:21
	v_pk_add_f32 v[70:71], v[70:71], v[110:111] neg_lo:[0,1] neg_hi:[0,1]
	s_wait_dscnt 0x0
	v_pk_mul_f32 v[110:111], v[106:107], v[98:99] op_sel:[0,1]
	s_delay_alu instid0(VALU_DEP_1) | instskip(SKIP_1) | instid1(VALU_DEP_1)
	v_pk_fma_f32 v[112:113], v[106:107], v[96:97], v[110:111] op_sel:[0,0,1] op_sel_hi:[1,1,0] neg_lo:[0,0,1] neg_hi:[0,0,1]
	v_pk_fma_f32 v[106:107], v[106:107], v[96:97], v[110:111] op_sel:[0,0,1] op_sel_hi:[1,0,0]
	v_mov_b32_e32 v113, v107
	v_pk_mul_f32 v[106:107], v[108:109], v[98:99] op_sel:[0,1]
	s_delay_alu instid0(VALU_DEP_1) | instskip(SKIP_1) | instid1(VALU_DEP_1)
	v_pk_fma_f32 v[110:111], v[108:109], v[96:97], v[106:107] op_sel:[0,0,1] op_sel_hi:[1,1,0] neg_lo:[0,0,1] neg_hi:[0,0,1]
	v_pk_fma_f32 v[106:107], v[108:109], v[96:97], v[106:107] op_sel:[0,0,1] op_sel_hi:[1,0,0]
	v_mov_b32_e32 v111, v107
	ds_load_2addr_b64 v[106:109], v100 offset0:22 offset1:23
	v_pk_add_f32 v[68:69], v[68:69], v[112:113] neg_lo:[0,1] neg_hi:[0,1]
	v_pk_add_f32 v[64:65], v[64:65], v[110:111] neg_lo:[0,1] neg_hi:[0,1]
	s_wait_dscnt 0x0
	v_pk_mul_f32 v[110:111], v[106:107], v[98:99] op_sel:[0,1]
	s_delay_alu instid0(VALU_DEP_1) | instskip(SKIP_1) | instid1(VALU_DEP_1)
	v_pk_fma_f32 v[112:113], v[106:107], v[96:97], v[110:111] op_sel:[0,0,1] op_sel_hi:[1,1,0] neg_lo:[0,0,1] neg_hi:[0,0,1]
	v_pk_fma_f32 v[106:107], v[106:107], v[96:97], v[110:111] op_sel:[0,0,1] op_sel_hi:[1,0,0]
	v_mov_b32_e32 v113, v107
	v_pk_mul_f32 v[106:107], v[108:109], v[98:99] op_sel:[0,1]
	s_delay_alu instid0(VALU_DEP_1) | instskip(SKIP_1) | instid1(VALU_DEP_1)
	v_pk_fma_f32 v[110:111], v[108:109], v[96:97], v[106:107] op_sel:[0,0,1] op_sel_hi:[1,1,0] neg_lo:[0,0,1] neg_hi:[0,0,1]
	v_pk_fma_f32 v[106:107], v[108:109], v[96:97], v[106:107] op_sel:[0,0,1] op_sel_hi:[1,0,0]
	v_mov_b32_e32 v111, v107
	ds_load_2addr_b64 v[106:109], v100 offset0:24 offset1:25
	v_pk_add_f32 v[66:67], v[66:67], v[112:113] neg_lo:[0,1] neg_hi:[0,1]
	v_pk_add_f32 v[62:63], v[62:63], v[110:111] neg_lo:[0,1] neg_hi:[0,1]
	s_wait_dscnt 0x0
	v_dual_mul_f32 v110, v107, v99 :: v_dual_mul_f32 v112, v107, v96
	s_delay_alu instid0(VALU_DEP_1) | instskip(NEXT) | instid1(VALU_DEP_2)
	v_pk_fma_f32 v[110:111], v[106:107], v[78:79], v[110:111] op_sel_hi:[1,1,0] neg_lo:[0,0,1] neg_hi:[0,0,1]
	v_pk_fma_f32 v[106:107], v[106:107], v[78:79], v[112:113] op_sel:[1,0,0] op_sel_hi:[0,1,0]
	s_delay_alu instid0(VALU_DEP_1) | instskip(SKIP_1) | instid1(VALU_DEP_2)
	v_mov_b32_e32 v111, v107
	v_pk_mul_f32 v[106:107], v[108:109], v[98:99] op_sel:[0,1]
	v_pk_add_f32 v[60:61], v[60:61], v[110:111] neg_lo:[0,1] neg_hi:[0,1]
	s_delay_alu instid0(VALU_DEP_2) | instskip(SKIP_1) | instid1(VALU_DEP_1)
	v_pk_fma_f32 v[110:111], v[108:109], v[96:97], v[106:107] op_sel:[0,0,1] op_sel_hi:[1,1,0] neg_lo:[0,0,1] neg_hi:[0,0,1]
	v_pk_fma_f32 v[106:107], v[108:109], v[96:97], v[106:107] op_sel:[0,0,1] op_sel_hi:[1,0,0]
	v_mov_b32_e32 v111, v107
	ds_load_2addr_b64 v[106:109], v100 offset0:26 offset1:27
	v_pk_add_f32 v[56:57], v[56:57], v[110:111] neg_lo:[0,1] neg_hi:[0,1]
	s_wait_dscnt 0x0
	v_pk_mul_f32 v[110:111], v[106:107], v[98:99] op_sel:[0,1]
	s_delay_alu instid0(VALU_DEP_1) | instskip(SKIP_1) | instid1(VALU_DEP_1)
	v_pk_fma_f32 v[112:113], v[106:107], v[96:97], v[110:111] op_sel:[0,0,1] op_sel_hi:[1,1,0] neg_lo:[0,0,1] neg_hi:[0,0,1]
	v_pk_fma_f32 v[106:107], v[106:107], v[96:97], v[110:111] op_sel:[0,0,1] op_sel_hi:[1,0,0]
	v_mov_b32_e32 v113, v107
	v_pk_mul_f32 v[106:107], v[108:109], v[98:99] op_sel:[0,1]
	s_delay_alu instid0(VALU_DEP_2) | instskip(NEXT) | instid1(VALU_DEP_2)
	v_pk_add_f32 v[58:59], v[58:59], v[112:113] neg_lo:[0,1] neg_hi:[0,1]
	v_pk_fma_f32 v[110:111], v[108:109], v[96:97], v[106:107] op_sel:[0,0,1] op_sel_hi:[1,1,0] neg_lo:[0,0,1] neg_hi:[0,0,1]
	v_pk_fma_f32 v[106:107], v[108:109], v[96:97], v[106:107] op_sel:[0,0,1] op_sel_hi:[1,0,0]
	s_delay_alu instid0(VALU_DEP_1) | instskip(SKIP_4) | instid1(VALU_DEP_1)
	v_mov_b32_e32 v111, v107
	ds_load_2addr_b64 v[106:109], v100 offset0:28 offset1:29
	v_pk_add_f32 v[54:55], v[54:55], v[110:111] neg_lo:[0,1] neg_hi:[0,1]
	s_wait_dscnt 0x0
	v_pk_mul_f32 v[110:111], v[106:107], v[98:99] op_sel:[0,1]
	v_pk_fma_f32 v[112:113], v[106:107], v[96:97], v[110:111] op_sel:[0,0,1] op_sel_hi:[1,1,0] neg_lo:[0,0,1] neg_hi:[0,0,1]
	v_pk_fma_f32 v[106:107], v[106:107], v[96:97], v[110:111] op_sel:[0,0,1] op_sel_hi:[1,0,0]
	v_dual_mul_f32 v110, v109, v99 :: v_dual_mov_b32 v106, v109
	s_delay_alu instid0(VALU_DEP_2) | instskip(NEXT) | instid1(VALU_DEP_2)
	v_dual_mov_b32 v113, v107 :: v_dual_mov_b32 v107, v108
	v_pk_fma_f32 v[110:111], v[108:109], v[78:79], v[110:111] op_sel_hi:[1,1,0] neg_lo:[0,0,1] neg_hi:[0,0,1]
	v_mul_f32_e32 v108, v109, v96
	s_delay_alu instid0(VALU_DEP_3) | instskip(NEXT) | instid1(VALU_DEP_2)
	v_pk_add_f32 v[48:49], v[48:49], v[112:113] neg_lo:[0,1] neg_hi:[0,1]
	v_pk_fma_f32 v[106:107], v[106:107], v[78:79], v[108:109] op_sel_hi:[1,1,0]
	s_delay_alu instid0(VALU_DEP_1) | instskip(SKIP_4) | instid1(VALU_DEP_1)
	v_mov_b32_e32 v111, v107
	ds_load_2addr_b64 v[106:109], v100 offset0:30 offset1:31
	v_pk_add_f32 v[40:41], v[40:41], v[110:111] neg_lo:[0,1] neg_hi:[0,1]
	s_wait_dscnt 0x0
	v_pk_mul_f32 v[110:111], v[106:107], v[98:99] op_sel:[0,1]
	v_pk_fma_f32 v[112:113], v[106:107], v[96:97], v[110:111] op_sel:[0,0,1] op_sel_hi:[1,1,0] neg_lo:[0,0,1] neg_hi:[0,0,1]
	v_pk_fma_f32 v[106:107], v[106:107], v[96:97], v[110:111] op_sel:[0,0,1] op_sel_hi:[1,0,0]
	s_delay_alu instid0(VALU_DEP_1) | instskip(SKIP_1) | instid1(VALU_DEP_1)
	v_mov_b32_e32 v113, v107
	v_pk_mul_f32 v[106:107], v[108:109], v[98:99] op_sel:[0,1]
	v_pk_fma_f32 v[110:111], v[108:109], v[96:97], v[106:107] op_sel:[0,0,1] op_sel_hi:[1,1,0] neg_lo:[0,0,1] neg_hi:[0,0,1]
	v_pk_fma_f32 v[106:107], v[108:109], v[96:97], v[106:107] op_sel:[0,0,1] op_sel_hi:[1,0,0]
	s_delay_alu instid0(VALU_DEP_1)
	v_mov_b32_e32 v111, v107
	ds_load_2addr_b64 v[106:109], v100 offset0:32 offset1:33
	v_pk_add_f32 v[46:47], v[46:47], v[112:113] neg_lo:[0,1] neg_hi:[0,1]
	v_pk_add_f32 v[38:39], v[38:39], v[110:111] neg_lo:[0,1] neg_hi:[0,1]
	s_wait_dscnt 0x0
	v_pk_mul_f32 v[110:111], v[106:107], v[98:99] op_sel:[0,1]
	s_delay_alu instid0(VALU_DEP_1) | instskip(SKIP_1) | instid1(VALU_DEP_1)
	v_pk_fma_f32 v[112:113], v[106:107], v[96:97], v[110:111] op_sel:[0,0,1] op_sel_hi:[1,1,0] neg_lo:[0,0,1] neg_hi:[0,0,1]
	v_pk_fma_f32 v[106:107], v[106:107], v[96:97], v[110:111] op_sel:[0,0,1] op_sel_hi:[1,0,0]
	v_mov_b32_e32 v113, v107
	v_pk_mul_f32 v[106:107], v[108:109], v[98:99] op_sel:[0,1]
	s_delay_alu instid0(VALU_DEP_1) | instskip(SKIP_1) | instid1(VALU_DEP_1)
	v_pk_fma_f32 v[110:111], v[108:109], v[96:97], v[106:107] op_sel:[0,0,1] op_sel_hi:[1,1,0] neg_lo:[0,0,1] neg_hi:[0,0,1]
	v_pk_fma_f32 v[106:107], v[108:109], v[96:97], v[106:107] op_sel:[0,0,1] op_sel_hi:[1,0,0]
	v_mov_b32_e32 v111, v107
	ds_load_2addr_b64 v[106:109], v100 offset0:34 offset1:35
	v_pk_add_f32 v[30:31], v[30:31], v[112:113] neg_lo:[0,1] neg_hi:[0,1]
	v_pk_add_f32 v[22:23], v[22:23], v[110:111] neg_lo:[0,1] neg_hi:[0,1]
	s_wait_dscnt 0x0
	v_dual_mul_f32 v110, v107, v99 :: v_dual_mul_f32 v112, v107, v96
	s_delay_alu instid0(VALU_DEP_1) | instskip(NEXT) | instid1(VALU_DEP_2)
	v_pk_fma_f32 v[110:111], v[106:107], v[78:79], v[110:111] op_sel_hi:[1,1,0] neg_lo:[0,0,1] neg_hi:[0,0,1]
	v_pk_fma_f32 v[106:107], v[106:107], v[78:79], v[112:113] op_sel:[1,0,0] op_sel_hi:[0,1,0]
	s_delay_alu instid0(VALU_DEP_1) | instskip(SKIP_1) | instid1(VALU_DEP_2)
	v_mov_b32_e32 v111, v107
	v_pk_mul_f32 v[106:107], v[108:109], v[98:99] op_sel:[0,1]
	v_pk_add_f32 v[28:29], v[28:29], v[110:111] neg_lo:[0,1] neg_hi:[0,1]
	s_delay_alu instid0(VALU_DEP_2) | instskip(SKIP_1) | instid1(VALU_DEP_1)
	v_pk_fma_f32 v[110:111], v[108:109], v[96:97], v[106:107] op_sel:[0,0,1] op_sel_hi:[1,1,0] neg_lo:[0,0,1] neg_hi:[0,0,1]
	v_pk_fma_f32 v[106:107], v[108:109], v[96:97], v[106:107] op_sel:[0,0,1] op_sel_hi:[1,0,0]
	v_mov_b32_e32 v111, v107
	ds_load_2addr_b64 v[106:109], v100 offset0:36 offset1:37
	v_pk_add_f32 v[20:21], v[20:21], v[110:111] neg_lo:[0,1] neg_hi:[0,1]
	s_wait_dscnt 0x0
	v_pk_mul_f32 v[110:111], v[106:107], v[98:99] op_sel:[0,1]
	s_delay_alu instid0(VALU_DEP_1) | instskip(SKIP_1) | instid1(VALU_DEP_1)
	v_pk_fma_f32 v[112:113], v[106:107], v[96:97], v[110:111] op_sel:[0,0,1] op_sel_hi:[1,1,0] neg_lo:[0,0,1] neg_hi:[0,0,1]
	v_pk_fma_f32 v[106:107], v[106:107], v[96:97], v[110:111] op_sel:[0,0,1] op_sel_hi:[1,0,0]
	v_mov_b32_e32 v113, v107
	v_pk_mul_f32 v[106:107], v[108:109], v[98:99] op_sel:[0,1]
	s_delay_alu instid0(VALU_DEP_2) | instskip(NEXT) | instid1(VALU_DEP_2)
	v_pk_add_f32 v[14:15], v[14:15], v[112:113] neg_lo:[0,1] neg_hi:[0,1]
	v_pk_fma_f32 v[110:111], v[108:109], v[96:97], v[106:107] op_sel:[0,0,1] op_sel_hi:[1,1,0] neg_lo:[0,0,1] neg_hi:[0,0,1]
	v_pk_fma_f32 v[106:107], v[108:109], v[96:97], v[106:107] op_sel:[0,0,1] op_sel_hi:[1,0,0]
	s_delay_alu instid0(VALU_DEP_1) | instskip(SKIP_4) | instid1(VALU_DEP_1)
	v_mov_b32_e32 v111, v107
	ds_load_2addr_b64 v[106:109], v100 offset0:38 offset1:39
	v_pk_add_f32 v[10:11], v[10:11], v[110:111] neg_lo:[0,1] neg_hi:[0,1]
	s_wait_dscnt 0x0
	v_pk_mul_f32 v[110:111], v[106:107], v[98:99] op_sel:[0,1]
	v_pk_fma_f32 v[112:113], v[106:107], v[96:97], v[110:111] op_sel:[0,0,1] op_sel_hi:[1,1,0] neg_lo:[0,0,1] neg_hi:[0,0,1]
	v_pk_fma_f32 v[106:107], v[106:107], v[96:97], v[110:111] op_sel:[0,0,1] op_sel_hi:[1,0,0]
	v_dual_mul_f32 v110, v109, v99 :: v_dual_mov_b32 v106, v109
	s_delay_alu instid0(VALU_DEP_2) | instskip(NEXT) | instid1(VALU_DEP_2)
	v_dual_mov_b32 v113, v107 :: v_dual_mov_b32 v107, v108
	v_pk_fma_f32 v[110:111], v[108:109], v[78:79], v[110:111] op_sel_hi:[1,1,0] neg_lo:[0,0,1] neg_hi:[0,0,1]
	v_mul_f32_e32 v108, v109, v96
	s_delay_alu instid0(VALU_DEP_3) | instskip(NEXT) | instid1(VALU_DEP_2)
	v_pk_add_f32 v[12:13], v[12:13], v[112:113] neg_lo:[0,1] neg_hi:[0,1]
	v_pk_fma_f32 v[106:107], v[106:107], v[78:79], v[108:109] op_sel_hi:[1,1,0]
	s_delay_alu instid0(VALU_DEP_1) | instskip(SKIP_4) | instid1(VALU_DEP_1)
	v_mov_b32_e32 v111, v107
	ds_load_2addr_b64 v[106:109], v100 offset0:40 offset1:41
	v_pk_add_f32 v[8:9], v[8:9], v[110:111] neg_lo:[0,1] neg_hi:[0,1]
	s_wait_dscnt 0x0
	v_pk_mul_f32 v[110:111], v[106:107], v[98:99] op_sel:[0,1]
	v_pk_fma_f32 v[112:113], v[106:107], v[96:97], v[110:111] op_sel:[0,0,1] op_sel_hi:[1,1,0] neg_lo:[0,0,1] neg_hi:[0,0,1]
	v_pk_fma_f32 v[106:107], v[106:107], v[96:97], v[110:111] op_sel:[0,0,1] op_sel_hi:[1,0,0]
	s_delay_alu instid0(VALU_DEP_1) | instskip(SKIP_1) | instid1(VALU_DEP_1)
	v_mov_b32_e32 v113, v107
	v_pk_mul_f32 v[106:107], v[108:109], v[98:99] op_sel:[0,1]
	v_pk_fma_f32 v[110:111], v[108:109], v[96:97], v[106:107] op_sel:[0,0,1] op_sel_hi:[1,1,0] neg_lo:[0,0,1] neg_hi:[0,0,1]
	v_pk_fma_f32 v[106:107], v[108:109], v[96:97], v[106:107] op_sel:[0,0,1] op_sel_hi:[1,0,0]
	s_delay_alu instid0(VALU_DEP_1)
	v_mov_b32_e32 v111, v107
	ds_load_2addr_b64 v[106:109], v100 offset0:42 offset1:43
	v_pk_add_f32 v[6:7], v[6:7], v[112:113] neg_lo:[0,1] neg_hi:[0,1]
	v_pk_add_f32 v[36:37], v[36:37], v[110:111] neg_lo:[0,1] neg_hi:[0,1]
	s_wait_dscnt 0x0
	v_pk_mul_f32 v[110:111], v[106:107], v[98:99] op_sel:[0,1]
	s_delay_alu instid0(VALU_DEP_1) | instskip(SKIP_1) | instid1(VALU_DEP_1)
	v_pk_fma_f32 v[112:113], v[106:107], v[96:97], v[110:111] op_sel:[0,0,1] op_sel_hi:[1,1,0] neg_lo:[0,0,1] neg_hi:[0,0,1]
	v_pk_fma_f32 v[106:107], v[106:107], v[96:97], v[110:111] op_sel:[0,0,1] op_sel_hi:[1,0,0]
	v_mov_b32_e32 v113, v107
	v_pk_mul_f32 v[106:107], v[108:109], v[98:99] op_sel:[0,1]
	s_delay_alu instid0(VALU_DEP_1) | instskip(SKIP_1) | instid1(VALU_DEP_1)
	v_pk_fma_f32 v[110:111], v[108:109], v[96:97], v[106:107] op_sel:[0,0,1] op_sel_hi:[1,1,0] neg_lo:[0,0,1] neg_hi:[0,0,1]
	v_pk_fma_f32 v[106:107], v[108:109], v[96:97], v[106:107] op_sel:[0,0,1] op_sel_hi:[1,0,0]
	v_mov_b32_e32 v111, v107
	ds_load_b64 v[106:107], v100 offset:352
	v_pk_add_f32 v[18:19], v[18:19], v[112:113] neg_lo:[0,1] neg_hi:[0,1]
	v_pk_add_f32 v[16:17], v[16:17], v[110:111] neg_lo:[0,1] neg_hi:[0,1]
	s_wait_dscnt 0x0
	v_pk_mul_f32 v[98:99], v[106:107], v[98:99] op_sel:[0,1]
	s_delay_alu instid0(VALU_DEP_1) | instskip(SKIP_1) | instid1(VALU_DEP_1)
	v_pk_fma_f32 v[108:109], v[106:107], v[96:97], v[98:99] op_sel:[0,0,1] op_sel_hi:[1,1,0] neg_lo:[0,0,1] neg_hi:[0,0,1]
	v_pk_fma_f32 v[96:97], v[106:107], v[96:97], v[98:99] op_sel:[0,0,1] op_sel_hi:[1,0,0]
	v_mov_b32_e32 v109, v97
	s_delay_alu instid0(VALU_DEP_1)
	v_pk_add_f32 v[94:95], v[94:95], v[108:109] neg_lo:[0,1] neg_hi:[0,1]
.LBB88_335:
	s_or_b32 exec_lo, exec_lo, s0
	v_lshl_add_u32 v96, v104, 3, v100
	s_barrier_signal -1
	s_barrier_wait -1
	ds_store_b64 v96, v[76:77]
	s_wait_dscnt 0x0
	s_barrier_signal -1
	s_barrier_wait -1
	ds_load_b64 v[98:99], v100 offset:128
	v_mov_b32_e32 v96, 16
	s_cmp_lt_i32 s18, 18
	s_cbranch_scc1 .LBB88_338
; %bb.336:
	v_add3_u32 v97, v101, 0, 0x88
	v_mov_b32_e32 v96, 16
	s_mov_b32 s0, 17
.LBB88_337:                             ; =>This Inner Loop Header: Depth=1
	ds_load_b64 v[106:107], v97
	s_wait_dscnt 0x1
	v_cmp_gt_f32_e32 vcc_lo, 0, v98
	v_cndmask_b32_e64 v108, v98, -v98, vcc_lo
	v_cmp_gt_f32_e32 vcc_lo, 0, v99
	v_cndmask_b32_e64 v110, v99, -v99, vcc_lo
	s_wait_dscnt 0x0
	v_cmp_gt_f32_e32 vcc_lo, 0, v106
	v_cndmask_b32_e64 v109, v106, -v106, vcc_lo
	v_cmp_gt_f32_e32 vcc_lo, 0, v107
	v_cndmask_b32_e64 v111, v107, -v107, vcc_lo
	s_delay_alu instid0(VALU_DEP_1) | instskip(NEXT) | instid1(VALU_DEP_1)
	v_pk_add_f32 v[108:109], v[108:109], v[110:111]
	v_cmp_lt_f32_e32 vcc_lo, v108, v109
	v_dual_add_nc_u32 v97, 8, v97 :: v_dual_cndmask_b32 v99, v99, v107, vcc_lo
	v_cndmask_b32_e32 v98, v98, v106, vcc_lo
	v_cndmask_b32_e64 v96, v96, s0, vcc_lo
	s_add_co_i32 s0, s0, 1
	s_delay_alu instid0(SALU_CYCLE_1)
	s_cmp_lg_u32 s18, s0
	s_cbranch_scc1 .LBB88_337
.LBB88_338:
	s_wait_dscnt 0x0
	v_cmp_eq_f32_e32 vcc_lo, 0, v98
	v_cmp_eq_f32_e64 s0, 0, v99
	s_and_b32 s0, vcc_lo, s0
	s_delay_alu instid0(SALU_CYCLE_1) | instskip(NEXT) | instid1(SALU_CYCLE_1)
	s_and_saveexec_b32 s1, s0
	s_xor_b32 s0, exec_lo, s1
; %bb.339:
	v_cmp_ne_u32_e32 vcc_lo, 0, v102
	v_cndmask_b32_e32 v102, 17, v102, vcc_lo
; %bb.340:
	s_and_not1_saveexec_b32 s0, s0
	s_cbranch_execz .LBB88_346
; %bb.341:
	v_cmp_ngt_f32_e64 s1, |v98|, |v99|
	s_and_saveexec_b32 s12, s1
	s_delay_alu instid0(SALU_CYCLE_1)
	s_xor_b32 s1, exec_lo, s12
	s_cbranch_execz .LBB88_343
; %bb.342:
	v_div_scale_f32 v97, null, v99, v99, v98
	v_div_scale_f32 v107, vcc_lo, v98, v99, v98
	s_delay_alu instid0(VALU_DEP_2) | instskip(SKIP_1) | instid1(TRANS32_DEP_1)
	v_rcp_f32_e32 v105, v97
	v_nop
	v_fma_f32 v106, -v97, v105, 1.0
	s_delay_alu instid0(VALU_DEP_1) | instskip(NEXT) | instid1(VALU_DEP_1)
	v_fmac_f32_e32 v105, v106, v105
	v_mul_f32_e32 v106, v107, v105
	s_delay_alu instid0(VALU_DEP_1) | instskip(NEXT) | instid1(VALU_DEP_1)
	v_fma_f32 v108, -v97, v106, v107
	v_fmac_f32_e32 v106, v108, v105
	s_delay_alu instid0(VALU_DEP_1) | instskip(NEXT) | instid1(VALU_DEP_1)
	v_fma_f32 v97, -v97, v106, v107
	v_div_fmas_f32 v97, v97, v105, v106
	s_delay_alu instid0(VALU_DEP_1) | instskip(NEXT) | instid1(VALU_DEP_1)
	v_div_fixup_f32 v97, v97, v99, v98
	v_fmac_f32_e32 v99, v98, v97
	s_delay_alu instid0(VALU_DEP_1) | instskip(SKIP_1) | instid1(VALU_DEP_2)
	v_div_scale_f32 v98, null, v99, v99, 1.0
	v_div_scale_f32 v107, vcc_lo, 1.0, v99, 1.0
	v_rcp_f32_e32 v105, v98
	v_nop
	s_delay_alu instid0(TRANS32_DEP_1) | instskip(NEXT) | instid1(VALU_DEP_1)
	v_fma_f32 v106, -v98, v105, 1.0
	v_fmac_f32_e32 v105, v106, v105
	s_delay_alu instid0(VALU_DEP_1) | instskip(NEXT) | instid1(VALU_DEP_1)
	v_mul_f32_e32 v106, v107, v105
	v_fma_f32 v108, -v98, v106, v107
	s_delay_alu instid0(VALU_DEP_1) | instskip(NEXT) | instid1(VALU_DEP_1)
	v_fmac_f32_e32 v106, v108, v105
	v_fma_f32 v98, -v98, v106, v107
	s_delay_alu instid0(VALU_DEP_1) | instskip(NEXT) | instid1(VALU_DEP_1)
	v_div_fmas_f32 v98, v98, v105, v106
	v_div_fixup_f32 v99, v98, v99, 1.0
	s_delay_alu instid0(VALU_DEP_1)
	v_mul_f32_e32 v98, v97, v99
	v_xor_b32_e32 v99, 0x80000000, v99
.LBB88_343:
	s_and_not1_saveexec_b32 s1, s1
	s_cbranch_execz .LBB88_345
; %bb.344:
	s_delay_alu instid0(VALU_DEP_1) | instskip(SKIP_1) | instid1(VALU_DEP_2)
	v_div_scale_f32 v97, null, v98, v98, v99
	v_div_scale_f32 v107, vcc_lo, v99, v98, v99
	v_rcp_f32_e32 v105, v97
	v_nop
	s_delay_alu instid0(TRANS32_DEP_1) | instskip(NEXT) | instid1(VALU_DEP_1)
	v_fma_f32 v106, -v97, v105, 1.0
	v_fmac_f32_e32 v105, v106, v105
	s_delay_alu instid0(VALU_DEP_1) | instskip(NEXT) | instid1(VALU_DEP_1)
	v_mul_f32_e32 v106, v107, v105
	v_fma_f32 v108, -v97, v106, v107
	s_delay_alu instid0(VALU_DEP_1) | instskip(NEXT) | instid1(VALU_DEP_1)
	v_fmac_f32_e32 v106, v108, v105
	v_fma_f32 v97, -v97, v106, v107
	s_delay_alu instid0(VALU_DEP_1) | instskip(NEXT) | instid1(VALU_DEP_1)
	v_div_fmas_f32 v97, v97, v105, v106
	v_div_fixup_f32 v97, v97, v98, v99
	s_delay_alu instid0(VALU_DEP_1) | instskip(NEXT) | instid1(VALU_DEP_1)
	v_fmac_f32_e32 v98, v99, v97
	v_div_scale_f32 v99, null, v98, v98, 1.0
	s_delay_alu instid0(VALU_DEP_1) | instskip(SKIP_1) | instid1(TRANS32_DEP_1)
	v_rcp_f32_e32 v105, v99
	v_nop
	v_fma_f32 v106, -v99, v105, 1.0
	s_delay_alu instid0(VALU_DEP_1) | instskip(SKIP_1) | instid1(VALU_DEP_1)
	v_fmac_f32_e32 v105, v106, v105
	v_div_scale_f32 v106, vcc_lo, 1.0, v98, 1.0
	v_mul_f32_e32 v107, v106, v105
	s_delay_alu instid0(VALU_DEP_1) | instskip(NEXT) | instid1(VALU_DEP_1)
	v_fma_f32 v108, -v99, v107, v106
	v_fmac_f32_e32 v107, v108, v105
	s_delay_alu instid0(VALU_DEP_1) | instskip(NEXT) | instid1(VALU_DEP_1)
	v_fma_f32 v99, -v99, v107, v106
	v_div_fmas_f32 v99, v99, v105, v107
	s_delay_alu instid0(VALU_DEP_1) | instskip(NEXT) | instid1(VALU_DEP_1)
	v_div_fixup_f32 v98, v99, v98, 1.0
	v_mul_f32_e64 v99, v97, -v98
.LBB88_345:
	s_or_b32 exec_lo, exec_lo, s1
.LBB88_346:
	s_delay_alu instid0(SALU_CYCLE_1) | instskip(NEXT) | instid1(SALU_CYCLE_1)
	s_or_b32 exec_lo, exec_lo, s0
	s_mov_b32 s0, exec_lo
	v_cmpx_ne_u32_e64 v104, v96
	s_xor_b32 s0, exec_lo, s0
	s_cbranch_execz .LBB88_352
; %bb.347:
	s_mov_b32 s1, exec_lo
	v_cmpx_eq_u32_e32 16, v104
	s_cbranch_execz .LBB88_351
; %bb.348:
	v_cmp_ne_u32_e32 vcc_lo, 16, v96
	s_xor_b32 s12, s16, -1
	s_delay_alu instid0(SALU_CYCLE_1) | instskip(NEXT) | instid1(SALU_CYCLE_1)
	s_and_b32 s13, s12, vcc_lo
	s_and_saveexec_b32 s12, s13
	s_cbranch_execz .LBB88_350
; %bb.349:
	v_ashrrev_i32_e32 v97, 31, v96
	s_delay_alu instid0(VALU_DEP_1)
	v_lshl_add_u64 v[104:105], v[96:97], 2, v[4:5]
	s_clause 0x1
	global_load_b32 v97, v[104:105], off
	global_load_b32 v103, v[4:5], off offset:64
	s_wait_loadcnt 0x1
	global_store_b32 v[4:5], v97, off offset:64
	s_wait_loadcnt 0x0
	global_store_b32 v[104:105], v103, off
.LBB88_350:
	s_wait_xcnt 0x0
	s_or_b32 exec_lo, exec_lo, s12
	v_dual_mov_b32 v104, v96 :: v_dual_mov_b32 v103, v96
.LBB88_351:
	s_or_b32 exec_lo, exec_lo, s1
.LBB88_352:
	s_and_not1_saveexec_b32 s0, s0
	s_cbranch_execz .LBB88_354
; %bb.353:
	v_mov_b32_e32 v104, 16
	ds_store_2addr_b64 v100, v[72:73], v[74:75] offset0:17 offset1:18
	ds_store_2addr_b64 v100, v[70:71], v[68:69] offset0:19 offset1:20
	;; [unrolled: 1-line block ×14, first 2 shown]
.LBB88_354:
	s_or_b32 exec_lo, exec_lo, s0
	s_delay_alu instid0(SALU_CYCLE_1)
	s_mov_b32 s0, exec_lo
	s_wait_storecnt_dscnt 0x0
	s_barrier_signal -1
	s_barrier_wait -1
	v_cmpx_lt_i32_e32 16, v104
	s_cbranch_execz .LBB88_356
; %bb.355:
	v_pk_mul_f32 v[106:107], v[98:99], v[76:77] op_sel:[1,1] op_sel_hi:[0,1]
	s_delay_alu instid0(VALU_DEP_1)
	v_pk_fma_f32 v[96:97], v[98:99], v[76:77], v[106:107] op_sel_hi:[1,0,1] neg_lo:[0,0,1] neg_hi:[0,0,1]
	v_pk_fma_f32 v[98:99], v[98:99], v[76:77], v[106:107] op_sel_hi:[1,0,1]
	ds_load_2addr_b64 v[106:109], v100 offset0:17 offset1:18
	v_dual_mov_b32 v76, v96 :: v_dual_mov_b32 v77, v99
	s_wait_dscnt 0x0
	v_pk_mul_f32 v[110:111], v[106:107], v[98:99] op_sel:[0,1]
	s_delay_alu instid0(VALU_DEP_1) | instskip(SKIP_1) | instid1(VALU_DEP_1)
	v_pk_fma_f32 v[112:113], v[106:107], v[96:97], v[110:111] op_sel:[0,0,1] op_sel_hi:[1,1,0] neg_lo:[0,0,1] neg_hi:[0,0,1]
	v_pk_fma_f32 v[106:107], v[106:107], v[96:97], v[110:111] op_sel:[0,0,1] op_sel_hi:[1,0,0]
	v_mov_b32_e32 v113, v107
	v_pk_mul_f32 v[106:107], v[108:109], v[98:99] op_sel:[0,1]
	s_delay_alu instid0(VALU_DEP_1) | instskip(SKIP_1) | instid1(VALU_DEP_1)
	v_pk_fma_f32 v[110:111], v[108:109], v[96:97], v[106:107] op_sel:[0,0,1] op_sel_hi:[1,1,0] neg_lo:[0,0,1] neg_hi:[0,0,1]
	v_pk_fma_f32 v[106:107], v[108:109], v[96:97], v[106:107] op_sel:[0,0,1] op_sel_hi:[1,0,0]
	v_mov_b32_e32 v111, v107
	ds_load_2addr_b64 v[106:109], v100 offset0:19 offset1:20
	v_pk_add_f32 v[72:73], v[72:73], v[112:113] neg_lo:[0,1] neg_hi:[0,1]
	v_pk_add_f32 v[74:75], v[74:75], v[110:111] neg_lo:[0,1] neg_hi:[0,1]
	s_wait_dscnt 0x0
	v_pk_mul_f32 v[110:111], v[106:107], v[98:99] op_sel:[0,1]
	s_delay_alu instid0(VALU_DEP_1) | instskip(SKIP_2) | instid1(VALU_DEP_2)
	v_pk_fma_f32 v[112:113], v[106:107], v[96:97], v[110:111] op_sel:[0,0,1] op_sel_hi:[1,1,0] neg_lo:[0,0,1] neg_hi:[0,0,1]
	v_pk_fma_f32 v[106:107], v[106:107], v[96:97], v[110:111] op_sel:[0,0,1] op_sel_hi:[1,0,0]
	v_dual_mul_f32 v110, v109, v99 :: v_dual_mov_b32 v106, v109
	v_dual_mov_b32 v113, v107 :: v_dual_mov_b32 v107, v108
	s_delay_alu instid0(VALU_DEP_2) | instskip(SKIP_1) | instid1(VALU_DEP_3)
	v_pk_fma_f32 v[110:111], v[108:109], v[76:77], v[110:111] op_sel_hi:[1,1,0] neg_lo:[0,0,1] neg_hi:[0,0,1]
	v_mul_f32_e32 v108, v109, v96
	v_pk_add_f32 v[70:71], v[70:71], v[112:113] neg_lo:[0,1] neg_hi:[0,1]
	s_delay_alu instid0(VALU_DEP_2) | instskip(NEXT) | instid1(VALU_DEP_1)
	v_pk_fma_f32 v[106:107], v[106:107], v[76:77], v[108:109] op_sel_hi:[1,1,0]
	v_mov_b32_e32 v111, v107
	ds_load_2addr_b64 v[106:109], v100 offset0:21 offset1:22
	v_pk_add_f32 v[68:69], v[68:69], v[110:111] neg_lo:[0,1] neg_hi:[0,1]
	s_wait_dscnt 0x0
	v_pk_mul_f32 v[110:111], v[106:107], v[98:99] op_sel:[0,1]
	s_delay_alu instid0(VALU_DEP_1) | instskip(SKIP_1) | instid1(VALU_DEP_1)
	v_pk_fma_f32 v[112:113], v[106:107], v[96:97], v[110:111] op_sel:[0,0,1] op_sel_hi:[1,1,0] neg_lo:[0,0,1] neg_hi:[0,0,1]
	v_pk_fma_f32 v[106:107], v[106:107], v[96:97], v[110:111] op_sel:[0,0,1] op_sel_hi:[1,0,0]
	v_mov_b32_e32 v113, v107
	v_pk_mul_f32 v[106:107], v[108:109], v[98:99] op_sel:[0,1]
	s_delay_alu instid0(VALU_DEP_1) | instskip(SKIP_1) | instid1(VALU_DEP_1)
	v_pk_fma_f32 v[110:111], v[108:109], v[96:97], v[106:107] op_sel:[0,0,1] op_sel_hi:[1,1,0] neg_lo:[0,0,1] neg_hi:[0,0,1]
	v_pk_fma_f32 v[106:107], v[108:109], v[96:97], v[106:107] op_sel:[0,0,1] op_sel_hi:[1,0,0]
	v_mov_b32_e32 v111, v107
	ds_load_2addr_b64 v[106:109], v100 offset0:23 offset1:24
	v_pk_add_f32 v[64:65], v[64:65], v[112:113] neg_lo:[0,1] neg_hi:[0,1]
	v_pk_add_f32 v[66:67], v[66:67], v[110:111] neg_lo:[0,1] neg_hi:[0,1]
	s_wait_dscnt 0x0
	v_pk_mul_f32 v[110:111], v[106:107], v[98:99] op_sel:[0,1]
	s_delay_alu instid0(VALU_DEP_1) | instskip(SKIP_1) | instid1(VALU_DEP_1)
	v_pk_fma_f32 v[112:113], v[106:107], v[96:97], v[110:111] op_sel:[0,0,1] op_sel_hi:[1,1,0] neg_lo:[0,0,1] neg_hi:[0,0,1]
	v_pk_fma_f32 v[106:107], v[106:107], v[96:97], v[110:111] op_sel:[0,0,1] op_sel_hi:[1,0,0]
	v_mov_b32_e32 v113, v107
	v_pk_mul_f32 v[106:107], v[108:109], v[98:99] op_sel:[0,1]
	s_delay_alu instid0(VALU_DEP_1) | instskip(SKIP_1) | instid1(VALU_DEP_1)
	v_pk_fma_f32 v[110:111], v[108:109], v[96:97], v[106:107] op_sel:[0,0,1] op_sel_hi:[1,1,0] neg_lo:[0,0,1] neg_hi:[0,0,1]
	v_pk_fma_f32 v[106:107], v[108:109], v[96:97], v[106:107] op_sel:[0,0,1] op_sel_hi:[1,0,0]
	v_mov_b32_e32 v111, v107
	ds_load_2addr_b64 v[106:109], v100 offset0:25 offset1:26
	v_pk_add_f32 v[62:63], v[62:63], v[112:113] neg_lo:[0,1] neg_hi:[0,1]
	v_pk_add_f32 v[60:61], v[60:61], v[110:111] neg_lo:[0,1] neg_hi:[0,1]
	s_wait_dscnt 0x0
	v_dual_mul_f32 v110, v107, v99 :: v_dual_mul_f32 v112, v107, v96
	s_delay_alu instid0(VALU_DEP_1) | instskip(NEXT) | instid1(VALU_DEP_2)
	v_pk_fma_f32 v[110:111], v[106:107], v[76:77], v[110:111] op_sel_hi:[1,1,0] neg_lo:[0,0,1] neg_hi:[0,0,1]
	v_pk_fma_f32 v[106:107], v[106:107], v[76:77], v[112:113] op_sel:[1,0,0] op_sel_hi:[0,1,0]
	s_delay_alu instid0(VALU_DEP_1) | instskip(SKIP_1) | instid1(VALU_DEP_2)
	v_mov_b32_e32 v111, v107
	v_pk_mul_f32 v[106:107], v[108:109], v[98:99] op_sel:[0,1]
	v_pk_add_f32 v[56:57], v[56:57], v[110:111] neg_lo:[0,1] neg_hi:[0,1]
	s_delay_alu instid0(VALU_DEP_2) | instskip(SKIP_1) | instid1(VALU_DEP_1)
	v_pk_fma_f32 v[110:111], v[108:109], v[96:97], v[106:107] op_sel:[0,0,1] op_sel_hi:[1,1,0] neg_lo:[0,0,1] neg_hi:[0,0,1]
	v_pk_fma_f32 v[106:107], v[108:109], v[96:97], v[106:107] op_sel:[0,0,1] op_sel_hi:[1,0,0]
	v_mov_b32_e32 v111, v107
	ds_load_2addr_b64 v[106:109], v100 offset0:27 offset1:28
	v_pk_add_f32 v[58:59], v[58:59], v[110:111] neg_lo:[0,1] neg_hi:[0,1]
	s_wait_dscnt 0x0
	v_pk_mul_f32 v[110:111], v[106:107], v[98:99] op_sel:[0,1]
	s_delay_alu instid0(VALU_DEP_1) | instskip(SKIP_1) | instid1(VALU_DEP_1)
	v_pk_fma_f32 v[112:113], v[106:107], v[96:97], v[110:111] op_sel:[0,0,1] op_sel_hi:[1,1,0] neg_lo:[0,0,1] neg_hi:[0,0,1]
	v_pk_fma_f32 v[106:107], v[106:107], v[96:97], v[110:111] op_sel:[0,0,1] op_sel_hi:[1,0,0]
	v_mov_b32_e32 v113, v107
	v_pk_mul_f32 v[106:107], v[108:109], v[98:99] op_sel:[0,1]
	s_delay_alu instid0(VALU_DEP_2) | instskip(NEXT) | instid1(VALU_DEP_2)
	v_pk_add_f32 v[54:55], v[54:55], v[112:113] neg_lo:[0,1] neg_hi:[0,1]
	v_pk_fma_f32 v[110:111], v[108:109], v[96:97], v[106:107] op_sel:[0,0,1] op_sel_hi:[1,1,0] neg_lo:[0,0,1] neg_hi:[0,0,1]
	v_pk_fma_f32 v[106:107], v[108:109], v[96:97], v[106:107] op_sel:[0,0,1] op_sel_hi:[1,0,0]
	s_delay_alu instid0(VALU_DEP_1) | instskip(SKIP_4) | instid1(VALU_DEP_1)
	v_mov_b32_e32 v111, v107
	ds_load_2addr_b64 v[106:109], v100 offset0:29 offset1:30
	v_pk_add_f32 v[48:49], v[48:49], v[110:111] neg_lo:[0,1] neg_hi:[0,1]
	s_wait_dscnt 0x0
	v_pk_mul_f32 v[110:111], v[106:107], v[98:99] op_sel:[0,1]
	v_pk_fma_f32 v[112:113], v[106:107], v[96:97], v[110:111] op_sel:[0,0,1] op_sel_hi:[1,1,0] neg_lo:[0,0,1] neg_hi:[0,0,1]
	v_pk_fma_f32 v[106:107], v[106:107], v[96:97], v[110:111] op_sel:[0,0,1] op_sel_hi:[1,0,0]
	v_dual_mul_f32 v110, v109, v99 :: v_dual_mov_b32 v106, v109
	s_delay_alu instid0(VALU_DEP_2) | instskip(NEXT) | instid1(VALU_DEP_2)
	v_dual_mov_b32 v113, v107 :: v_dual_mov_b32 v107, v108
	v_pk_fma_f32 v[110:111], v[108:109], v[76:77], v[110:111] op_sel_hi:[1,1,0] neg_lo:[0,0,1] neg_hi:[0,0,1]
	v_mul_f32_e32 v108, v109, v96
	s_delay_alu instid0(VALU_DEP_3) | instskip(NEXT) | instid1(VALU_DEP_2)
	v_pk_add_f32 v[40:41], v[40:41], v[112:113] neg_lo:[0,1] neg_hi:[0,1]
	v_pk_fma_f32 v[106:107], v[106:107], v[76:77], v[108:109] op_sel_hi:[1,1,0]
	s_delay_alu instid0(VALU_DEP_1) | instskip(SKIP_4) | instid1(VALU_DEP_1)
	v_mov_b32_e32 v111, v107
	ds_load_2addr_b64 v[106:109], v100 offset0:31 offset1:32
	v_pk_add_f32 v[46:47], v[46:47], v[110:111] neg_lo:[0,1] neg_hi:[0,1]
	s_wait_dscnt 0x0
	v_pk_mul_f32 v[110:111], v[106:107], v[98:99] op_sel:[0,1]
	v_pk_fma_f32 v[112:113], v[106:107], v[96:97], v[110:111] op_sel:[0,0,1] op_sel_hi:[1,1,0] neg_lo:[0,0,1] neg_hi:[0,0,1]
	v_pk_fma_f32 v[106:107], v[106:107], v[96:97], v[110:111] op_sel:[0,0,1] op_sel_hi:[1,0,0]
	s_delay_alu instid0(VALU_DEP_1) | instskip(SKIP_1) | instid1(VALU_DEP_1)
	v_mov_b32_e32 v113, v107
	v_pk_mul_f32 v[106:107], v[108:109], v[98:99] op_sel:[0,1]
	v_pk_fma_f32 v[110:111], v[108:109], v[96:97], v[106:107] op_sel:[0,0,1] op_sel_hi:[1,1,0] neg_lo:[0,0,1] neg_hi:[0,0,1]
	v_pk_fma_f32 v[106:107], v[108:109], v[96:97], v[106:107] op_sel:[0,0,1] op_sel_hi:[1,0,0]
	s_delay_alu instid0(VALU_DEP_1)
	v_mov_b32_e32 v111, v107
	ds_load_2addr_b64 v[106:109], v100 offset0:33 offset1:34
	v_pk_add_f32 v[38:39], v[38:39], v[112:113] neg_lo:[0,1] neg_hi:[0,1]
	v_pk_add_f32 v[30:31], v[30:31], v[110:111] neg_lo:[0,1] neg_hi:[0,1]
	s_wait_dscnt 0x0
	v_pk_mul_f32 v[110:111], v[106:107], v[98:99] op_sel:[0,1]
	s_delay_alu instid0(VALU_DEP_1) | instskip(SKIP_1) | instid1(VALU_DEP_1)
	v_pk_fma_f32 v[112:113], v[106:107], v[96:97], v[110:111] op_sel:[0,0,1] op_sel_hi:[1,1,0] neg_lo:[0,0,1] neg_hi:[0,0,1]
	v_pk_fma_f32 v[106:107], v[106:107], v[96:97], v[110:111] op_sel:[0,0,1] op_sel_hi:[1,0,0]
	v_mov_b32_e32 v113, v107
	v_pk_mul_f32 v[106:107], v[108:109], v[98:99] op_sel:[0,1]
	s_delay_alu instid0(VALU_DEP_1) | instskip(SKIP_1) | instid1(VALU_DEP_1)
	v_pk_fma_f32 v[110:111], v[108:109], v[96:97], v[106:107] op_sel:[0,0,1] op_sel_hi:[1,1,0] neg_lo:[0,0,1] neg_hi:[0,0,1]
	v_pk_fma_f32 v[106:107], v[108:109], v[96:97], v[106:107] op_sel:[0,0,1] op_sel_hi:[1,0,0]
	v_mov_b32_e32 v111, v107
	ds_load_2addr_b64 v[106:109], v100 offset0:35 offset1:36
	v_pk_add_f32 v[22:23], v[22:23], v[112:113] neg_lo:[0,1] neg_hi:[0,1]
	v_pk_add_f32 v[28:29], v[28:29], v[110:111] neg_lo:[0,1] neg_hi:[0,1]
	s_wait_dscnt 0x0
	v_dual_mul_f32 v110, v107, v99 :: v_dual_mul_f32 v112, v107, v96
	s_delay_alu instid0(VALU_DEP_1) | instskip(NEXT) | instid1(VALU_DEP_2)
	v_pk_fma_f32 v[110:111], v[106:107], v[76:77], v[110:111] op_sel_hi:[1,1,0] neg_lo:[0,0,1] neg_hi:[0,0,1]
	v_pk_fma_f32 v[106:107], v[106:107], v[76:77], v[112:113] op_sel:[1,0,0] op_sel_hi:[0,1,0]
	s_delay_alu instid0(VALU_DEP_1) | instskip(SKIP_1) | instid1(VALU_DEP_2)
	v_mov_b32_e32 v111, v107
	v_pk_mul_f32 v[106:107], v[108:109], v[98:99] op_sel:[0,1]
	v_pk_add_f32 v[20:21], v[20:21], v[110:111] neg_lo:[0,1] neg_hi:[0,1]
	s_delay_alu instid0(VALU_DEP_2) | instskip(SKIP_1) | instid1(VALU_DEP_1)
	v_pk_fma_f32 v[110:111], v[108:109], v[96:97], v[106:107] op_sel:[0,0,1] op_sel_hi:[1,1,0] neg_lo:[0,0,1] neg_hi:[0,0,1]
	v_pk_fma_f32 v[106:107], v[108:109], v[96:97], v[106:107] op_sel:[0,0,1] op_sel_hi:[1,0,0]
	v_mov_b32_e32 v111, v107
	ds_load_2addr_b64 v[106:109], v100 offset0:37 offset1:38
	v_pk_add_f32 v[14:15], v[14:15], v[110:111] neg_lo:[0,1] neg_hi:[0,1]
	s_wait_dscnt 0x0
	v_pk_mul_f32 v[110:111], v[106:107], v[98:99] op_sel:[0,1]
	s_delay_alu instid0(VALU_DEP_1) | instskip(SKIP_1) | instid1(VALU_DEP_1)
	v_pk_fma_f32 v[112:113], v[106:107], v[96:97], v[110:111] op_sel:[0,0,1] op_sel_hi:[1,1,0] neg_lo:[0,0,1] neg_hi:[0,0,1]
	v_pk_fma_f32 v[106:107], v[106:107], v[96:97], v[110:111] op_sel:[0,0,1] op_sel_hi:[1,0,0]
	v_mov_b32_e32 v113, v107
	v_pk_mul_f32 v[106:107], v[108:109], v[98:99] op_sel:[0,1]
	s_delay_alu instid0(VALU_DEP_2) | instskip(NEXT) | instid1(VALU_DEP_2)
	v_pk_add_f32 v[10:11], v[10:11], v[112:113] neg_lo:[0,1] neg_hi:[0,1]
	v_pk_fma_f32 v[110:111], v[108:109], v[96:97], v[106:107] op_sel:[0,0,1] op_sel_hi:[1,1,0] neg_lo:[0,0,1] neg_hi:[0,0,1]
	v_pk_fma_f32 v[106:107], v[108:109], v[96:97], v[106:107] op_sel:[0,0,1] op_sel_hi:[1,0,0]
	s_delay_alu instid0(VALU_DEP_1) | instskip(SKIP_4) | instid1(VALU_DEP_1)
	v_mov_b32_e32 v111, v107
	ds_load_2addr_b64 v[106:109], v100 offset0:39 offset1:40
	v_pk_add_f32 v[12:13], v[12:13], v[110:111] neg_lo:[0,1] neg_hi:[0,1]
	s_wait_dscnt 0x0
	v_pk_mul_f32 v[110:111], v[106:107], v[98:99] op_sel:[0,1]
	v_pk_fma_f32 v[112:113], v[106:107], v[96:97], v[110:111] op_sel:[0,0,1] op_sel_hi:[1,1,0] neg_lo:[0,0,1] neg_hi:[0,0,1]
	v_pk_fma_f32 v[106:107], v[106:107], v[96:97], v[110:111] op_sel:[0,0,1] op_sel_hi:[1,0,0]
	v_dual_mul_f32 v110, v109, v99 :: v_dual_mov_b32 v106, v109
	s_delay_alu instid0(VALU_DEP_2) | instskip(NEXT) | instid1(VALU_DEP_2)
	v_dual_mov_b32 v113, v107 :: v_dual_mov_b32 v107, v108
	v_pk_fma_f32 v[110:111], v[108:109], v[76:77], v[110:111] op_sel_hi:[1,1,0] neg_lo:[0,0,1] neg_hi:[0,0,1]
	v_mul_f32_e32 v108, v109, v96
	s_delay_alu instid0(VALU_DEP_3) | instskip(NEXT) | instid1(VALU_DEP_2)
	v_pk_add_f32 v[8:9], v[8:9], v[112:113] neg_lo:[0,1] neg_hi:[0,1]
	v_pk_fma_f32 v[106:107], v[106:107], v[76:77], v[108:109] op_sel_hi:[1,1,0]
	s_delay_alu instid0(VALU_DEP_1) | instskip(SKIP_4) | instid1(VALU_DEP_1)
	v_mov_b32_e32 v111, v107
	ds_load_2addr_b64 v[106:109], v100 offset0:41 offset1:42
	v_pk_add_f32 v[6:7], v[6:7], v[110:111] neg_lo:[0,1] neg_hi:[0,1]
	s_wait_dscnt 0x0
	v_pk_mul_f32 v[110:111], v[106:107], v[98:99] op_sel:[0,1]
	v_pk_fma_f32 v[112:113], v[106:107], v[96:97], v[110:111] op_sel:[0,0,1] op_sel_hi:[1,1,0] neg_lo:[0,0,1] neg_hi:[0,0,1]
	v_pk_fma_f32 v[106:107], v[106:107], v[96:97], v[110:111] op_sel:[0,0,1] op_sel_hi:[1,0,0]
	s_delay_alu instid0(VALU_DEP_1) | instskip(SKIP_1) | instid1(VALU_DEP_1)
	v_mov_b32_e32 v113, v107
	v_pk_mul_f32 v[106:107], v[108:109], v[98:99] op_sel:[0,1]
	v_pk_fma_f32 v[110:111], v[108:109], v[96:97], v[106:107] op_sel:[0,0,1] op_sel_hi:[1,1,0] neg_lo:[0,0,1] neg_hi:[0,0,1]
	v_pk_fma_f32 v[106:107], v[108:109], v[96:97], v[106:107] op_sel:[0,0,1] op_sel_hi:[1,0,0]
	s_delay_alu instid0(VALU_DEP_1)
	v_mov_b32_e32 v111, v107
	ds_load_2addr_b64 v[106:109], v100 offset0:43 offset1:44
	v_pk_add_f32 v[36:37], v[36:37], v[112:113] neg_lo:[0,1] neg_hi:[0,1]
	v_pk_add_f32 v[18:19], v[18:19], v[110:111] neg_lo:[0,1] neg_hi:[0,1]
	s_wait_dscnt 0x0
	v_pk_mul_f32 v[110:111], v[106:107], v[98:99] op_sel:[0,1]
	v_pk_mul_f32 v[98:99], v[108:109], v[98:99] op_sel:[0,1]
	s_delay_alu instid0(VALU_DEP_2) | instskip(SKIP_1) | instid1(VALU_DEP_1)
	v_pk_fma_f32 v[112:113], v[106:107], v[96:97], v[110:111] op_sel:[0,0,1] op_sel_hi:[1,1,0] neg_lo:[0,0,1] neg_hi:[0,0,1]
	v_pk_fma_f32 v[106:107], v[106:107], v[96:97], v[110:111] op_sel:[0,0,1] op_sel_hi:[1,0,0]
	v_mov_b32_e32 v113, v107
	s_delay_alu instid0(VALU_DEP_4) | instskip(SKIP_1) | instid1(VALU_DEP_1)
	v_pk_fma_f32 v[106:107], v[108:109], v[96:97], v[98:99] op_sel:[0,0,1] op_sel_hi:[1,1,0] neg_lo:[0,0,1] neg_hi:[0,0,1]
	v_pk_fma_f32 v[96:97], v[108:109], v[96:97], v[98:99] op_sel:[0,0,1] op_sel_hi:[1,0,0]
	v_mov_b32_e32 v107, v97
	s_delay_alu instid0(VALU_DEP_4) | instskip(NEXT) | instid1(VALU_DEP_2)
	v_pk_add_f32 v[16:17], v[16:17], v[112:113] neg_lo:[0,1] neg_hi:[0,1]
	v_pk_add_f32 v[94:95], v[94:95], v[106:107] neg_lo:[0,1] neg_hi:[0,1]
.LBB88_356:
	s_or_b32 exec_lo, exec_lo, s0
	v_lshl_add_u32 v96, v104, 3, v100
	s_barrier_signal -1
	s_barrier_wait -1
	ds_store_b64 v96, v[72:73]
	s_wait_dscnt 0x0
	s_barrier_signal -1
	s_barrier_wait -1
	ds_load_b64 v[98:99], v100 offset:136
	v_mov_b32_e32 v96, 17
	s_cmp_lt_i32 s18, 19
	s_cbranch_scc1 .LBB88_359
; %bb.357:
	v_add3_u32 v97, v101, 0, 0x90
	v_mov_b32_e32 v96, 17
	s_mov_b32 s0, 18
.LBB88_358:                             ; =>This Inner Loop Header: Depth=1
	ds_load_b64 v[106:107], v97
	s_wait_dscnt 0x1
	v_cmp_gt_f32_e32 vcc_lo, 0, v98
	v_cndmask_b32_e64 v108, v98, -v98, vcc_lo
	v_cmp_gt_f32_e32 vcc_lo, 0, v99
	v_cndmask_b32_e64 v110, v99, -v99, vcc_lo
	s_wait_dscnt 0x0
	v_cmp_gt_f32_e32 vcc_lo, 0, v106
	v_cndmask_b32_e64 v109, v106, -v106, vcc_lo
	v_cmp_gt_f32_e32 vcc_lo, 0, v107
	v_cndmask_b32_e64 v111, v107, -v107, vcc_lo
	s_delay_alu instid0(VALU_DEP_1) | instskip(NEXT) | instid1(VALU_DEP_1)
	v_pk_add_f32 v[108:109], v[108:109], v[110:111]
	v_cmp_lt_f32_e32 vcc_lo, v108, v109
	v_dual_add_nc_u32 v97, 8, v97 :: v_dual_cndmask_b32 v99, v99, v107, vcc_lo
	v_cndmask_b32_e32 v98, v98, v106, vcc_lo
	v_cndmask_b32_e64 v96, v96, s0, vcc_lo
	s_add_co_i32 s0, s0, 1
	s_delay_alu instid0(SALU_CYCLE_1)
	s_cmp_lg_u32 s18, s0
	s_cbranch_scc1 .LBB88_358
.LBB88_359:
	s_wait_dscnt 0x0
	v_cmp_eq_f32_e32 vcc_lo, 0, v98
	v_cmp_eq_f32_e64 s0, 0, v99
	s_and_b32 s0, vcc_lo, s0
	s_delay_alu instid0(SALU_CYCLE_1) | instskip(NEXT) | instid1(SALU_CYCLE_1)
	s_and_saveexec_b32 s1, s0
	s_xor_b32 s0, exec_lo, s1
; %bb.360:
	v_cmp_ne_u32_e32 vcc_lo, 0, v102
	v_cndmask_b32_e32 v102, 18, v102, vcc_lo
; %bb.361:
	s_and_not1_saveexec_b32 s0, s0
	s_cbranch_execz .LBB88_367
; %bb.362:
	v_cmp_ngt_f32_e64 s1, |v98|, |v99|
	s_and_saveexec_b32 s12, s1
	s_delay_alu instid0(SALU_CYCLE_1)
	s_xor_b32 s1, exec_lo, s12
	s_cbranch_execz .LBB88_364
; %bb.363:
	v_div_scale_f32 v97, null, v99, v99, v98
	v_div_scale_f32 v107, vcc_lo, v98, v99, v98
	s_delay_alu instid0(VALU_DEP_2) | instskip(SKIP_1) | instid1(TRANS32_DEP_1)
	v_rcp_f32_e32 v105, v97
	v_nop
	v_fma_f32 v106, -v97, v105, 1.0
	s_delay_alu instid0(VALU_DEP_1) | instskip(NEXT) | instid1(VALU_DEP_1)
	v_fmac_f32_e32 v105, v106, v105
	v_mul_f32_e32 v106, v107, v105
	s_delay_alu instid0(VALU_DEP_1) | instskip(NEXT) | instid1(VALU_DEP_1)
	v_fma_f32 v108, -v97, v106, v107
	v_fmac_f32_e32 v106, v108, v105
	s_delay_alu instid0(VALU_DEP_1) | instskip(NEXT) | instid1(VALU_DEP_1)
	v_fma_f32 v97, -v97, v106, v107
	v_div_fmas_f32 v97, v97, v105, v106
	s_delay_alu instid0(VALU_DEP_1) | instskip(NEXT) | instid1(VALU_DEP_1)
	v_div_fixup_f32 v97, v97, v99, v98
	v_fmac_f32_e32 v99, v98, v97
	s_delay_alu instid0(VALU_DEP_1) | instskip(SKIP_1) | instid1(VALU_DEP_2)
	v_div_scale_f32 v98, null, v99, v99, 1.0
	v_div_scale_f32 v107, vcc_lo, 1.0, v99, 1.0
	v_rcp_f32_e32 v105, v98
	v_nop
	s_delay_alu instid0(TRANS32_DEP_1) | instskip(NEXT) | instid1(VALU_DEP_1)
	v_fma_f32 v106, -v98, v105, 1.0
	v_fmac_f32_e32 v105, v106, v105
	s_delay_alu instid0(VALU_DEP_1) | instskip(NEXT) | instid1(VALU_DEP_1)
	v_mul_f32_e32 v106, v107, v105
	v_fma_f32 v108, -v98, v106, v107
	s_delay_alu instid0(VALU_DEP_1) | instskip(NEXT) | instid1(VALU_DEP_1)
	v_fmac_f32_e32 v106, v108, v105
	v_fma_f32 v98, -v98, v106, v107
	s_delay_alu instid0(VALU_DEP_1) | instskip(NEXT) | instid1(VALU_DEP_1)
	v_div_fmas_f32 v98, v98, v105, v106
	v_div_fixup_f32 v99, v98, v99, 1.0
	s_delay_alu instid0(VALU_DEP_1)
	v_mul_f32_e32 v98, v97, v99
	v_xor_b32_e32 v99, 0x80000000, v99
.LBB88_364:
	s_and_not1_saveexec_b32 s1, s1
	s_cbranch_execz .LBB88_366
; %bb.365:
	s_delay_alu instid0(VALU_DEP_1) | instskip(SKIP_1) | instid1(VALU_DEP_2)
	v_div_scale_f32 v97, null, v98, v98, v99
	v_div_scale_f32 v107, vcc_lo, v99, v98, v99
	v_rcp_f32_e32 v105, v97
	v_nop
	s_delay_alu instid0(TRANS32_DEP_1) | instskip(NEXT) | instid1(VALU_DEP_1)
	v_fma_f32 v106, -v97, v105, 1.0
	v_fmac_f32_e32 v105, v106, v105
	s_delay_alu instid0(VALU_DEP_1) | instskip(NEXT) | instid1(VALU_DEP_1)
	v_mul_f32_e32 v106, v107, v105
	v_fma_f32 v108, -v97, v106, v107
	s_delay_alu instid0(VALU_DEP_1) | instskip(NEXT) | instid1(VALU_DEP_1)
	v_fmac_f32_e32 v106, v108, v105
	v_fma_f32 v97, -v97, v106, v107
	s_delay_alu instid0(VALU_DEP_1) | instskip(NEXT) | instid1(VALU_DEP_1)
	v_div_fmas_f32 v97, v97, v105, v106
	v_div_fixup_f32 v97, v97, v98, v99
	s_delay_alu instid0(VALU_DEP_1) | instskip(NEXT) | instid1(VALU_DEP_1)
	v_fmac_f32_e32 v98, v99, v97
	v_div_scale_f32 v99, null, v98, v98, 1.0
	s_delay_alu instid0(VALU_DEP_1) | instskip(SKIP_1) | instid1(TRANS32_DEP_1)
	v_rcp_f32_e32 v105, v99
	v_nop
	v_fma_f32 v106, -v99, v105, 1.0
	s_delay_alu instid0(VALU_DEP_1) | instskip(SKIP_1) | instid1(VALU_DEP_1)
	v_fmac_f32_e32 v105, v106, v105
	v_div_scale_f32 v106, vcc_lo, 1.0, v98, 1.0
	v_mul_f32_e32 v107, v106, v105
	s_delay_alu instid0(VALU_DEP_1) | instskip(NEXT) | instid1(VALU_DEP_1)
	v_fma_f32 v108, -v99, v107, v106
	v_fmac_f32_e32 v107, v108, v105
	s_delay_alu instid0(VALU_DEP_1) | instskip(NEXT) | instid1(VALU_DEP_1)
	v_fma_f32 v99, -v99, v107, v106
	v_div_fmas_f32 v99, v99, v105, v107
	s_delay_alu instid0(VALU_DEP_1) | instskip(NEXT) | instid1(VALU_DEP_1)
	v_div_fixup_f32 v98, v99, v98, 1.0
	v_mul_f32_e64 v99, v97, -v98
.LBB88_366:
	s_or_b32 exec_lo, exec_lo, s1
.LBB88_367:
	s_delay_alu instid0(SALU_CYCLE_1) | instskip(NEXT) | instid1(SALU_CYCLE_1)
	s_or_b32 exec_lo, exec_lo, s0
	s_mov_b32 s0, exec_lo
	v_cmpx_ne_u32_e64 v104, v96
	s_xor_b32 s0, exec_lo, s0
	s_cbranch_execz .LBB88_373
; %bb.368:
	s_mov_b32 s1, exec_lo
	v_cmpx_eq_u32_e32 17, v104
	s_cbranch_execz .LBB88_372
; %bb.369:
	v_cmp_ne_u32_e32 vcc_lo, 17, v96
	s_xor_b32 s12, s16, -1
	s_delay_alu instid0(SALU_CYCLE_1) | instskip(NEXT) | instid1(SALU_CYCLE_1)
	s_and_b32 s13, s12, vcc_lo
	s_and_saveexec_b32 s12, s13
	s_cbranch_execz .LBB88_371
; %bb.370:
	v_ashrrev_i32_e32 v97, 31, v96
	s_delay_alu instid0(VALU_DEP_1)
	v_lshl_add_u64 v[104:105], v[96:97], 2, v[4:5]
	s_clause 0x1
	global_load_b32 v97, v[104:105], off
	global_load_b32 v103, v[4:5], off offset:68
	s_wait_loadcnt 0x1
	global_store_b32 v[4:5], v97, off offset:68
	s_wait_loadcnt 0x0
	global_store_b32 v[104:105], v103, off
.LBB88_371:
	s_wait_xcnt 0x0
	s_or_b32 exec_lo, exec_lo, s12
	v_dual_mov_b32 v104, v96 :: v_dual_mov_b32 v103, v96
.LBB88_372:
	s_or_b32 exec_lo, exec_lo, s1
.LBB88_373:
	s_and_not1_saveexec_b32 s0, s0
	s_cbranch_execz .LBB88_375
; %bb.374:
	v_dual_mov_b32 v96, v74 :: v_dual_mov_b32 v97, v75
	v_dual_mov_b32 v104, v70 :: v_dual_mov_b32 v105, v71
	;; [unrolled: 1-line block ×4, first 2 shown]
	ds_store_2addr_b64 v100, v[96:97], v[104:105] offset0:18 offset1:19
	ds_store_2addr_b64 v100, v[106:107], v[108:109] offset0:20 offset1:21
	v_dual_mov_b32 v96, v66 :: v_dual_mov_b32 v97, v67
	v_dual_mov_b32 v104, v62 :: v_dual_mov_b32 v105, v63
	;; [unrolled: 1-line block ×12, first 2 shown]
	ds_store_2addr_b64 v100, v[96:97], v[104:105] offset0:22 offset1:23
	ds_store_2addr_b64 v100, v[106:107], v[108:109] offset0:24 offset1:25
	;; [unrolled: 1-line block ×6, first 2 shown]
	v_dual_mov_b32 v96, v28 :: v_dual_mov_b32 v97, v29
	v_dual_mov_b32 v104, v20 :: v_dual_mov_b32 v105, v21
	;; [unrolled: 1-line block ×6, first 2 shown]
	ds_store_2addr_b64 v100, v[96:97], v[104:105] offset0:34 offset1:35
	ds_store_2addr_b64 v100, v[106:107], v[108:109] offset0:36 offset1:37
	v_dual_mov_b32 v104, 17 :: v_dual_mov_b32 v114, v6
	v_dual_mov_b32 v115, v7 :: v_dual_mov_b32 v116, v36
	;; [unrolled: 1-line block ×4, first 2 shown]
	v_mov_b32_e32 v121, v17
	ds_store_2addr_b64 v100, v[110:111], v[112:113] offset0:38 offset1:39
	ds_store_2addr_b64 v100, v[114:115], v[116:117] offset0:40 offset1:41
	;; [unrolled: 1-line block ×3, first 2 shown]
	ds_store_b64 v100, v[94:95] offset:352
.LBB88_375:
	s_or_b32 exec_lo, exec_lo, s0
	s_delay_alu instid0(SALU_CYCLE_1)
	s_mov_b32 s0, exec_lo
	s_wait_storecnt_dscnt 0x0
	s_barrier_signal -1
	s_barrier_wait -1
	v_cmpx_lt_i32_e32 17, v104
	s_cbranch_execz .LBB88_377
; %bb.376:
	v_pk_mul_f32 v[106:107], v[98:99], v[72:73] op_sel:[1,1] op_sel_hi:[0,1]
	s_delay_alu instid0(VALU_DEP_1)
	v_pk_fma_f32 v[96:97], v[98:99], v[72:73], v[106:107] op_sel_hi:[1,0,1] neg_lo:[0,0,1] neg_hi:[0,0,1]
	v_pk_fma_f32 v[98:99], v[98:99], v[72:73], v[106:107] op_sel_hi:[1,0,1]
	ds_load_2addr_b64 v[106:109], v100 offset0:18 offset1:19
	v_dual_mov_b32 v72, v96 :: v_dual_mov_b32 v73, v99
	s_wait_dscnt 0x0
	v_pk_mul_f32 v[110:111], v[106:107], v[98:99] op_sel:[0,1]
	s_delay_alu instid0(VALU_DEP_1) | instskip(SKIP_1) | instid1(VALU_DEP_1)
	v_pk_fma_f32 v[112:113], v[106:107], v[96:97], v[110:111] op_sel:[0,0,1] op_sel_hi:[1,1,0] neg_lo:[0,0,1] neg_hi:[0,0,1]
	v_pk_fma_f32 v[106:107], v[106:107], v[96:97], v[110:111] op_sel:[0,0,1] op_sel_hi:[1,0,0]
	v_mov_b32_e32 v113, v107
	v_pk_mul_f32 v[106:107], v[108:109], v[98:99] op_sel:[0,1]
	s_delay_alu instid0(VALU_DEP_1) | instskip(SKIP_1) | instid1(VALU_DEP_1)
	v_pk_fma_f32 v[110:111], v[108:109], v[96:97], v[106:107] op_sel:[0,0,1] op_sel_hi:[1,1,0] neg_lo:[0,0,1] neg_hi:[0,0,1]
	v_pk_fma_f32 v[106:107], v[108:109], v[96:97], v[106:107] op_sel:[0,0,1] op_sel_hi:[1,0,0]
	v_mov_b32_e32 v111, v107
	ds_load_2addr_b64 v[106:109], v100 offset0:20 offset1:21
	v_pk_add_f32 v[74:75], v[74:75], v[112:113] neg_lo:[0,1] neg_hi:[0,1]
	v_pk_add_f32 v[70:71], v[70:71], v[110:111] neg_lo:[0,1] neg_hi:[0,1]
	s_wait_dscnt 0x0
	v_pk_mul_f32 v[110:111], v[106:107], v[98:99] op_sel:[0,1]
	s_delay_alu instid0(VALU_DEP_1) | instskip(SKIP_2) | instid1(VALU_DEP_2)
	v_pk_fma_f32 v[112:113], v[106:107], v[96:97], v[110:111] op_sel:[0,0,1] op_sel_hi:[1,1,0] neg_lo:[0,0,1] neg_hi:[0,0,1]
	v_pk_fma_f32 v[106:107], v[106:107], v[96:97], v[110:111] op_sel:[0,0,1] op_sel_hi:[1,0,0]
	v_dual_mul_f32 v110, v109, v99 :: v_dual_mov_b32 v106, v109
	v_dual_mov_b32 v113, v107 :: v_dual_mov_b32 v107, v108
	s_delay_alu instid0(VALU_DEP_2) | instskip(SKIP_1) | instid1(VALU_DEP_3)
	v_pk_fma_f32 v[110:111], v[108:109], v[72:73], v[110:111] op_sel_hi:[1,1,0] neg_lo:[0,0,1] neg_hi:[0,0,1]
	v_mul_f32_e32 v108, v109, v96
	v_pk_add_f32 v[68:69], v[68:69], v[112:113] neg_lo:[0,1] neg_hi:[0,1]
	s_delay_alu instid0(VALU_DEP_2) | instskip(NEXT) | instid1(VALU_DEP_1)
	v_pk_fma_f32 v[106:107], v[106:107], v[72:73], v[108:109] op_sel_hi:[1,1,0]
	v_mov_b32_e32 v111, v107
	ds_load_2addr_b64 v[106:109], v100 offset0:22 offset1:23
	v_pk_add_f32 v[64:65], v[64:65], v[110:111] neg_lo:[0,1] neg_hi:[0,1]
	s_wait_dscnt 0x0
	v_pk_mul_f32 v[110:111], v[106:107], v[98:99] op_sel:[0,1]
	s_delay_alu instid0(VALU_DEP_1) | instskip(SKIP_1) | instid1(VALU_DEP_1)
	v_pk_fma_f32 v[112:113], v[106:107], v[96:97], v[110:111] op_sel:[0,0,1] op_sel_hi:[1,1,0] neg_lo:[0,0,1] neg_hi:[0,0,1]
	v_pk_fma_f32 v[106:107], v[106:107], v[96:97], v[110:111] op_sel:[0,0,1] op_sel_hi:[1,0,0]
	v_mov_b32_e32 v113, v107
	v_pk_mul_f32 v[106:107], v[108:109], v[98:99] op_sel:[0,1]
	s_delay_alu instid0(VALU_DEP_1) | instskip(SKIP_1) | instid1(VALU_DEP_1)
	v_pk_fma_f32 v[110:111], v[108:109], v[96:97], v[106:107] op_sel:[0,0,1] op_sel_hi:[1,1,0] neg_lo:[0,0,1] neg_hi:[0,0,1]
	v_pk_fma_f32 v[106:107], v[108:109], v[96:97], v[106:107] op_sel:[0,0,1] op_sel_hi:[1,0,0]
	v_mov_b32_e32 v111, v107
	ds_load_2addr_b64 v[106:109], v100 offset0:24 offset1:25
	v_pk_add_f32 v[66:67], v[66:67], v[112:113] neg_lo:[0,1] neg_hi:[0,1]
	v_pk_add_f32 v[62:63], v[62:63], v[110:111] neg_lo:[0,1] neg_hi:[0,1]
	s_wait_dscnt 0x0
	v_pk_mul_f32 v[110:111], v[106:107], v[98:99] op_sel:[0,1]
	s_delay_alu instid0(VALU_DEP_1) | instskip(SKIP_1) | instid1(VALU_DEP_1)
	v_pk_fma_f32 v[112:113], v[106:107], v[96:97], v[110:111] op_sel:[0,0,1] op_sel_hi:[1,1,0] neg_lo:[0,0,1] neg_hi:[0,0,1]
	v_pk_fma_f32 v[106:107], v[106:107], v[96:97], v[110:111] op_sel:[0,0,1] op_sel_hi:[1,0,0]
	v_mov_b32_e32 v113, v107
	v_pk_mul_f32 v[106:107], v[108:109], v[98:99] op_sel:[0,1]
	s_delay_alu instid0(VALU_DEP_1) | instskip(SKIP_1) | instid1(VALU_DEP_1)
	v_pk_fma_f32 v[110:111], v[108:109], v[96:97], v[106:107] op_sel:[0,0,1] op_sel_hi:[1,1,0] neg_lo:[0,0,1] neg_hi:[0,0,1]
	v_pk_fma_f32 v[106:107], v[108:109], v[96:97], v[106:107] op_sel:[0,0,1] op_sel_hi:[1,0,0]
	v_mov_b32_e32 v111, v107
	ds_load_2addr_b64 v[106:109], v100 offset0:26 offset1:27
	v_pk_add_f32 v[60:61], v[60:61], v[112:113] neg_lo:[0,1] neg_hi:[0,1]
	v_pk_add_f32 v[56:57], v[56:57], v[110:111] neg_lo:[0,1] neg_hi:[0,1]
	s_wait_dscnt 0x0
	v_dual_mul_f32 v110, v107, v99 :: v_dual_mul_f32 v112, v107, v96
	s_delay_alu instid0(VALU_DEP_1) | instskip(NEXT) | instid1(VALU_DEP_2)
	v_pk_fma_f32 v[110:111], v[106:107], v[72:73], v[110:111] op_sel_hi:[1,1,0] neg_lo:[0,0,1] neg_hi:[0,0,1]
	v_pk_fma_f32 v[106:107], v[106:107], v[72:73], v[112:113] op_sel:[1,0,0] op_sel_hi:[0,1,0]
	s_delay_alu instid0(VALU_DEP_1) | instskip(SKIP_1) | instid1(VALU_DEP_2)
	v_mov_b32_e32 v111, v107
	v_pk_mul_f32 v[106:107], v[108:109], v[98:99] op_sel:[0,1]
	v_pk_add_f32 v[58:59], v[58:59], v[110:111] neg_lo:[0,1] neg_hi:[0,1]
	s_delay_alu instid0(VALU_DEP_2) | instskip(SKIP_1) | instid1(VALU_DEP_1)
	v_pk_fma_f32 v[110:111], v[108:109], v[96:97], v[106:107] op_sel:[0,0,1] op_sel_hi:[1,1,0] neg_lo:[0,0,1] neg_hi:[0,0,1]
	v_pk_fma_f32 v[106:107], v[108:109], v[96:97], v[106:107] op_sel:[0,0,1] op_sel_hi:[1,0,0]
	v_mov_b32_e32 v111, v107
	ds_load_2addr_b64 v[106:109], v100 offset0:28 offset1:29
	v_pk_add_f32 v[54:55], v[54:55], v[110:111] neg_lo:[0,1] neg_hi:[0,1]
	s_wait_dscnt 0x0
	v_pk_mul_f32 v[110:111], v[106:107], v[98:99] op_sel:[0,1]
	s_delay_alu instid0(VALU_DEP_1) | instskip(SKIP_1) | instid1(VALU_DEP_1)
	v_pk_fma_f32 v[112:113], v[106:107], v[96:97], v[110:111] op_sel:[0,0,1] op_sel_hi:[1,1,0] neg_lo:[0,0,1] neg_hi:[0,0,1]
	v_pk_fma_f32 v[106:107], v[106:107], v[96:97], v[110:111] op_sel:[0,0,1] op_sel_hi:[1,0,0]
	v_mov_b32_e32 v113, v107
	v_pk_mul_f32 v[106:107], v[108:109], v[98:99] op_sel:[0,1]
	s_delay_alu instid0(VALU_DEP_2) | instskip(NEXT) | instid1(VALU_DEP_2)
	v_pk_add_f32 v[48:49], v[48:49], v[112:113] neg_lo:[0,1] neg_hi:[0,1]
	v_pk_fma_f32 v[110:111], v[108:109], v[96:97], v[106:107] op_sel:[0,0,1] op_sel_hi:[1,1,0] neg_lo:[0,0,1] neg_hi:[0,0,1]
	v_pk_fma_f32 v[106:107], v[108:109], v[96:97], v[106:107] op_sel:[0,0,1] op_sel_hi:[1,0,0]
	s_delay_alu instid0(VALU_DEP_1) | instskip(SKIP_4) | instid1(VALU_DEP_1)
	v_mov_b32_e32 v111, v107
	ds_load_2addr_b64 v[106:109], v100 offset0:30 offset1:31
	v_pk_add_f32 v[40:41], v[40:41], v[110:111] neg_lo:[0,1] neg_hi:[0,1]
	s_wait_dscnt 0x0
	v_pk_mul_f32 v[110:111], v[106:107], v[98:99] op_sel:[0,1]
	v_pk_fma_f32 v[112:113], v[106:107], v[96:97], v[110:111] op_sel:[0,0,1] op_sel_hi:[1,1,0] neg_lo:[0,0,1] neg_hi:[0,0,1]
	v_pk_fma_f32 v[106:107], v[106:107], v[96:97], v[110:111] op_sel:[0,0,1] op_sel_hi:[1,0,0]
	v_dual_mul_f32 v110, v109, v99 :: v_dual_mov_b32 v106, v109
	s_delay_alu instid0(VALU_DEP_2) | instskip(NEXT) | instid1(VALU_DEP_2)
	v_dual_mov_b32 v113, v107 :: v_dual_mov_b32 v107, v108
	v_pk_fma_f32 v[110:111], v[108:109], v[72:73], v[110:111] op_sel_hi:[1,1,0] neg_lo:[0,0,1] neg_hi:[0,0,1]
	v_mul_f32_e32 v108, v109, v96
	s_delay_alu instid0(VALU_DEP_3) | instskip(NEXT) | instid1(VALU_DEP_2)
	v_pk_add_f32 v[46:47], v[46:47], v[112:113] neg_lo:[0,1] neg_hi:[0,1]
	v_pk_fma_f32 v[106:107], v[106:107], v[72:73], v[108:109] op_sel_hi:[1,1,0]
	s_delay_alu instid0(VALU_DEP_1) | instskip(SKIP_4) | instid1(VALU_DEP_1)
	v_mov_b32_e32 v111, v107
	ds_load_2addr_b64 v[106:109], v100 offset0:32 offset1:33
	v_pk_add_f32 v[38:39], v[38:39], v[110:111] neg_lo:[0,1] neg_hi:[0,1]
	s_wait_dscnt 0x0
	v_pk_mul_f32 v[110:111], v[106:107], v[98:99] op_sel:[0,1]
	v_pk_fma_f32 v[112:113], v[106:107], v[96:97], v[110:111] op_sel:[0,0,1] op_sel_hi:[1,1,0] neg_lo:[0,0,1] neg_hi:[0,0,1]
	v_pk_fma_f32 v[106:107], v[106:107], v[96:97], v[110:111] op_sel:[0,0,1] op_sel_hi:[1,0,0]
	s_delay_alu instid0(VALU_DEP_1) | instskip(SKIP_1) | instid1(VALU_DEP_1)
	v_mov_b32_e32 v113, v107
	v_pk_mul_f32 v[106:107], v[108:109], v[98:99] op_sel:[0,1]
	v_pk_fma_f32 v[110:111], v[108:109], v[96:97], v[106:107] op_sel:[0,0,1] op_sel_hi:[1,1,0] neg_lo:[0,0,1] neg_hi:[0,0,1]
	v_pk_fma_f32 v[106:107], v[108:109], v[96:97], v[106:107] op_sel:[0,0,1] op_sel_hi:[1,0,0]
	s_delay_alu instid0(VALU_DEP_1)
	v_mov_b32_e32 v111, v107
	ds_load_2addr_b64 v[106:109], v100 offset0:34 offset1:35
	v_pk_add_f32 v[30:31], v[30:31], v[112:113] neg_lo:[0,1] neg_hi:[0,1]
	v_pk_add_f32 v[22:23], v[22:23], v[110:111] neg_lo:[0,1] neg_hi:[0,1]
	s_wait_dscnt 0x0
	v_pk_mul_f32 v[110:111], v[106:107], v[98:99] op_sel:[0,1]
	s_delay_alu instid0(VALU_DEP_1) | instskip(SKIP_1) | instid1(VALU_DEP_1)
	v_pk_fma_f32 v[112:113], v[106:107], v[96:97], v[110:111] op_sel:[0,0,1] op_sel_hi:[1,1,0] neg_lo:[0,0,1] neg_hi:[0,0,1]
	v_pk_fma_f32 v[106:107], v[106:107], v[96:97], v[110:111] op_sel:[0,0,1] op_sel_hi:[1,0,0]
	v_mov_b32_e32 v113, v107
	v_pk_mul_f32 v[106:107], v[108:109], v[98:99] op_sel:[0,1]
	s_delay_alu instid0(VALU_DEP_1) | instskip(SKIP_1) | instid1(VALU_DEP_1)
	v_pk_fma_f32 v[110:111], v[108:109], v[96:97], v[106:107] op_sel:[0,0,1] op_sel_hi:[1,1,0] neg_lo:[0,0,1] neg_hi:[0,0,1]
	v_pk_fma_f32 v[106:107], v[108:109], v[96:97], v[106:107] op_sel:[0,0,1] op_sel_hi:[1,0,0]
	v_mov_b32_e32 v111, v107
	ds_load_2addr_b64 v[106:109], v100 offset0:36 offset1:37
	v_pk_add_f32 v[28:29], v[28:29], v[112:113] neg_lo:[0,1] neg_hi:[0,1]
	v_pk_add_f32 v[20:21], v[20:21], v[110:111] neg_lo:[0,1] neg_hi:[0,1]
	s_wait_dscnt 0x0
	v_dual_mul_f32 v110, v107, v99 :: v_dual_mul_f32 v112, v107, v96
	s_delay_alu instid0(VALU_DEP_1) | instskip(NEXT) | instid1(VALU_DEP_2)
	v_pk_fma_f32 v[110:111], v[106:107], v[72:73], v[110:111] op_sel_hi:[1,1,0] neg_lo:[0,0,1] neg_hi:[0,0,1]
	v_pk_fma_f32 v[106:107], v[106:107], v[72:73], v[112:113] op_sel:[1,0,0] op_sel_hi:[0,1,0]
	s_delay_alu instid0(VALU_DEP_1) | instskip(SKIP_1) | instid1(VALU_DEP_2)
	v_mov_b32_e32 v111, v107
	v_pk_mul_f32 v[106:107], v[108:109], v[98:99] op_sel:[0,1]
	v_pk_add_f32 v[14:15], v[14:15], v[110:111] neg_lo:[0,1] neg_hi:[0,1]
	s_delay_alu instid0(VALU_DEP_2) | instskip(SKIP_1) | instid1(VALU_DEP_1)
	v_pk_fma_f32 v[110:111], v[108:109], v[96:97], v[106:107] op_sel:[0,0,1] op_sel_hi:[1,1,0] neg_lo:[0,0,1] neg_hi:[0,0,1]
	v_pk_fma_f32 v[106:107], v[108:109], v[96:97], v[106:107] op_sel:[0,0,1] op_sel_hi:[1,0,0]
	v_mov_b32_e32 v111, v107
	ds_load_2addr_b64 v[106:109], v100 offset0:38 offset1:39
	v_pk_add_f32 v[10:11], v[10:11], v[110:111] neg_lo:[0,1] neg_hi:[0,1]
	s_wait_dscnt 0x0
	v_pk_mul_f32 v[110:111], v[106:107], v[98:99] op_sel:[0,1]
	s_delay_alu instid0(VALU_DEP_1) | instskip(SKIP_1) | instid1(VALU_DEP_1)
	v_pk_fma_f32 v[112:113], v[106:107], v[96:97], v[110:111] op_sel:[0,0,1] op_sel_hi:[1,1,0] neg_lo:[0,0,1] neg_hi:[0,0,1]
	v_pk_fma_f32 v[106:107], v[106:107], v[96:97], v[110:111] op_sel:[0,0,1] op_sel_hi:[1,0,0]
	v_mov_b32_e32 v113, v107
	v_pk_mul_f32 v[106:107], v[108:109], v[98:99] op_sel:[0,1]
	s_delay_alu instid0(VALU_DEP_2) | instskip(NEXT) | instid1(VALU_DEP_2)
	v_pk_add_f32 v[12:13], v[12:13], v[112:113] neg_lo:[0,1] neg_hi:[0,1]
	v_pk_fma_f32 v[110:111], v[108:109], v[96:97], v[106:107] op_sel:[0,0,1] op_sel_hi:[1,1,0] neg_lo:[0,0,1] neg_hi:[0,0,1]
	v_pk_fma_f32 v[106:107], v[108:109], v[96:97], v[106:107] op_sel:[0,0,1] op_sel_hi:[1,0,0]
	s_delay_alu instid0(VALU_DEP_1) | instskip(SKIP_4) | instid1(VALU_DEP_1)
	v_mov_b32_e32 v111, v107
	ds_load_2addr_b64 v[106:109], v100 offset0:40 offset1:41
	v_pk_add_f32 v[8:9], v[8:9], v[110:111] neg_lo:[0,1] neg_hi:[0,1]
	s_wait_dscnt 0x0
	v_pk_mul_f32 v[110:111], v[106:107], v[98:99] op_sel:[0,1]
	v_pk_fma_f32 v[112:113], v[106:107], v[96:97], v[110:111] op_sel:[0,0,1] op_sel_hi:[1,1,0] neg_lo:[0,0,1] neg_hi:[0,0,1]
	v_pk_fma_f32 v[106:107], v[106:107], v[96:97], v[110:111] op_sel:[0,0,1] op_sel_hi:[1,0,0]
	v_dual_mul_f32 v110, v109, v99 :: v_dual_mov_b32 v106, v109
	s_delay_alu instid0(VALU_DEP_2) | instskip(NEXT) | instid1(VALU_DEP_2)
	v_dual_mov_b32 v113, v107 :: v_dual_mov_b32 v107, v108
	v_pk_fma_f32 v[110:111], v[108:109], v[72:73], v[110:111] op_sel_hi:[1,1,0] neg_lo:[0,0,1] neg_hi:[0,0,1]
	v_mul_f32_e32 v108, v109, v96
	s_delay_alu instid0(VALU_DEP_3) | instskip(NEXT) | instid1(VALU_DEP_2)
	v_pk_add_f32 v[6:7], v[6:7], v[112:113] neg_lo:[0,1] neg_hi:[0,1]
	v_pk_fma_f32 v[106:107], v[106:107], v[72:73], v[108:109] op_sel_hi:[1,1,0]
	s_delay_alu instid0(VALU_DEP_1) | instskip(SKIP_4) | instid1(VALU_DEP_1)
	v_mov_b32_e32 v111, v107
	ds_load_2addr_b64 v[106:109], v100 offset0:42 offset1:43
	v_pk_add_f32 v[36:37], v[36:37], v[110:111] neg_lo:[0,1] neg_hi:[0,1]
	s_wait_dscnt 0x0
	v_pk_mul_f32 v[110:111], v[106:107], v[98:99] op_sel:[0,1]
	v_pk_fma_f32 v[112:113], v[106:107], v[96:97], v[110:111] op_sel:[0,0,1] op_sel_hi:[1,1,0] neg_lo:[0,0,1] neg_hi:[0,0,1]
	v_pk_fma_f32 v[106:107], v[106:107], v[96:97], v[110:111] op_sel:[0,0,1] op_sel_hi:[1,0,0]
	s_delay_alu instid0(VALU_DEP_1) | instskip(SKIP_1) | instid1(VALU_DEP_1)
	v_mov_b32_e32 v113, v107
	v_pk_mul_f32 v[106:107], v[108:109], v[98:99] op_sel:[0,1]
	v_pk_fma_f32 v[110:111], v[108:109], v[96:97], v[106:107] op_sel:[0,0,1] op_sel_hi:[1,1,0] neg_lo:[0,0,1] neg_hi:[0,0,1]
	v_pk_fma_f32 v[106:107], v[108:109], v[96:97], v[106:107] op_sel:[0,0,1] op_sel_hi:[1,0,0]
	s_delay_alu instid0(VALU_DEP_1)
	v_mov_b32_e32 v111, v107
	ds_load_b64 v[106:107], v100 offset:352
	v_pk_add_f32 v[18:19], v[18:19], v[112:113] neg_lo:[0,1] neg_hi:[0,1]
	v_pk_add_f32 v[16:17], v[16:17], v[110:111] neg_lo:[0,1] neg_hi:[0,1]
	s_wait_dscnt 0x0
	v_pk_mul_f32 v[98:99], v[106:107], v[98:99] op_sel:[0,1]
	s_delay_alu instid0(VALU_DEP_1) | instskip(SKIP_1) | instid1(VALU_DEP_1)
	v_pk_fma_f32 v[108:109], v[106:107], v[96:97], v[98:99] op_sel:[0,0,1] op_sel_hi:[1,1,0] neg_lo:[0,0,1] neg_hi:[0,0,1]
	v_pk_fma_f32 v[96:97], v[106:107], v[96:97], v[98:99] op_sel:[0,0,1] op_sel_hi:[1,0,0]
	v_mov_b32_e32 v109, v97
	s_delay_alu instid0(VALU_DEP_1)
	v_pk_add_f32 v[94:95], v[94:95], v[108:109] neg_lo:[0,1] neg_hi:[0,1]
.LBB88_377:
	s_or_b32 exec_lo, exec_lo, s0
	v_lshl_add_u32 v96, v104, 3, v100
	s_barrier_signal -1
	s_barrier_wait -1
	ds_store_b64 v96, v[74:75]
	s_wait_dscnt 0x0
	s_barrier_signal -1
	s_barrier_wait -1
	ds_load_b64 v[98:99], v100 offset:144
	v_mov_b32_e32 v96, 18
	s_cmp_lt_i32 s18, 20
	s_cbranch_scc1 .LBB88_380
; %bb.378:
	v_add3_u32 v97, v101, 0, 0x98
	v_mov_b32_e32 v96, 18
	s_mov_b32 s0, 19
.LBB88_379:                             ; =>This Inner Loop Header: Depth=1
	ds_load_b64 v[106:107], v97
	s_wait_dscnt 0x1
	v_cmp_gt_f32_e32 vcc_lo, 0, v98
	v_cndmask_b32_e64 v108, v98, -v98, vcc_lo
	v_cmp_gt_f32_e32 vcc_lo, 0, v99
	v_cndmask_b32_e64 v110, v99, -v99, vcc_lo
	s_wait_dscnt 0x0
	v_cmp_gt_f32_e32 vcc_lo, 0, v106
	v_cndmask_b32_e64 v109, v106, -v106, vcc_lo
	v_cmp_gt_f32_e32 vcc_lo, 0, v107
	v_cndmask_b32_e64 v111, v107, -v107, vcc_lo
	s_delay_alu instid0(VALU_DEP_1) | instskip(NEXT) | instid1(VALU_DEP_1)
	v_pk_add_f32 v[108:109], v[108:109], v[110:111]
	v_cmp_lt_f32_e32 vcc_lo, v108, v109
	v_dual_add_nc_u32 v97, 8, v97 :: v_dual_cndmask_b32 v99, v99, v107, vcc_lo
	v_cndmask_b32_e32 v98, v98, v106, vcc_lo
	v_cndmask_b32_e64 v96, v96, s0, vcc_lo
	s_add_co_i32 s0, s0, 1
	s_delay_alu instid0(SALU_CYCLE_1)
	s_cmp_lg_u32 s18, s0
	s_cbranch_scc1 .LBB88_379
.LBB88_380:
	s_wait_dscnt 0x0
	v_cmp_eq_f32_e32 vcc_lo, 0, v98
	v_cmp_eq_f32_e64 s0, 0, v99
	s_and_b32 s0, vcc_lo, s0
	s_delay_alu instid0(SALU_CYCLE_1) | instskip(NEXT) | instid1(SALU_CYCLE_1)
	s_and_saveexec_b32 s1, s0
	s_xor_b32 s0, exec_lo, s1
; %bb.381:
	v_cmp_ne_u32_e32 vcc_lo, 0, v102
	v_cndmask_b32_e32 v102, 19, v102, vcc_lo
; %bb.382:
	s_and_not1_saveexec_b32 s0, s0
	s_cbranch_execz .LBB88_388
; %bb.383:
	v_cmp_ngt_f32_e64 s1, |v98|, |v99|
	s_and_saveexec_b32 s12, s1
	s_delay_alu instid0(SALU_CYCLE_1)
	s_xor_b32 s1, exec_lo, s12
	s_cbranch_execz .LBB88_385
; %bb.384:
	v_div_scale_f32 v97, null, v99, v99, v98
	v_div_scale_f32 v107, vcc_lo, v98, v99, v98
	s_delay_alu instid0(VALU_DEP_2) | instskip(SKIP_1) | instid1(TRANS32_DEP_1)
	v_rcp_f32_e32 v105, v97
	v_nop
	v_fma_f32 v106, -v97, v105, 1.0
	s_delay_alu instid0(VALU_DEP_1) | instskip(NEXT) | instid1(VALU_DEP_1)
	v_fmac_f32_e32 v105, v106, v105
	v_mul_f32_e32 v106, v107, v105
	s_delay_alu instid0(VALU_DEP_1) | instskip(NEXT) | instid1(VALU_DEP_1)
	v_fma_f32 v108, -v97, v106, v107
	v_fmac_f32_e32 v106, v108, v105
	s_delay_alu instid0(VALU_DEP_1) | instskip(NEXT) | instid1(VALU_DEP_1)
	v_fma_f32 v97, -v97, v106, v107
	v_div_fmas_f32 v97, v97, v105, v106
	s_delay_alu instid0(VALU_DEP_1) | instskip(NEXT) | instid1(VALU_DEP_1)
	v_div_fixup_f32 v97, v97, v99, v98
	v_fmac_f32_e32 v99, v98, v97
	s_delay_alu instid0(VALU_DEP_1) | instskip(SKIP_1) | instid1(VALU_DEP_2)
	v_div_scale_f32 v98, null, v99, v99, 1.0
	v_div_scale_f32 v107, vcc_lo, 1.0, v99, 1.0
	v_rcp_f32_e32 v105, v98
	v_nop
	s_delay_alu instid0(TRANS32_DEP_1) | instskip(NEXT) | instid1(VALU_DEP_1)
	v_fma_f32 v106, -v98, v105, 1.0
	v_fmac_f32_e32 v105, v106, v105
	s_delay_alu instid0(VALU_DEP_1) | instskip(NEXT) | instid1(VALU_DEP_1)
	v_mul_f32_e32 v106, v107, v105
	v_fma_f32 v108, -v98, v106, v107
	s_delay_alu instid0(VALU_DEP_1) | instskip(NEXT) | instid1(VALU_DEP_1)
	v_fmac_f32_e32 v106, v108, v105
	v_fma_f32 v98, -v98, v106, v107
	s_delay_alu instid0(VALU_DEP_1) | instskip(NEXT) | instid1(VALU_DEP_1)
	v_div_fmas_f32 v98, v98, v105, v106
	v_div_fixup_f32 v99, v98, v99, 1.0
	s_delay_alu instid0(VALU_DEP_1)
	v_mul_f32_e32 v98, v97, v99
	v_xor_b32_e32 v99, 0x80000000, v99
.LBB88_385:
	s_and_not1_saveexec_b32 s1, s1
	s_cbranch_execz .LBB88_387
; %bb.386:
	s_delay_alu instid0(VALU_DEP_1) | instskip(SKIP_1) | instid1(VALU_DEP_2)
	v_div_scale_f32 v97, null, v98, v98, v99
	v_div_scale_f32 v107, vcc_lo, v99, v98, v99
	v_rcp_f32_e32 v105, v97
	v_nop
	s_delay_alu instid0(TRANS32_DEP_1) | instskip(NEXT) | instid1(VALU_DEP_1)
	v_fma_f32 v106, -v97, v105, 1.0
	v_fmac_f32_e32 v105, v106, v105
	s_delay_alu instid0(VALU_DEP_1) | instskip(NEXT) | instid1(VALU_DEP_1)
	v_mul_f32_e32 v106, v107, v105
	v_fma_f32 v108, -v97, v106, v107
	s_delay_alu instid0(VALU_DEP_1) | instskip(NEXT) | instid1(VALU_DEP_1)
	v_fmac_f32_e32 v106, v108, v105
	v_fma_f32 v97, -v97, v106, v107
	s_delay_alu instid0(VALU_DEP_1) | instskip(NEXT) | instid1(VALU_DEP_1)
	v_div_fmas_f32 v97, v97, v105, v106
	v_div_fixup_f32 v97, v97, v98, v99
	s_delay_alu instid0(VALU_DEP_1) | instskip(NEXT) | instid1(VALU_DEP_1)
	v_fmac_f32_e32 v98, v99, v97
	v_div_scale_f32 v99, null, v98, v98, 1.0
	s_delay_alu instid0(VALU_DEP_1) | instskip(SKIP_1) | instid1(TRANS32_DEP_1)
	v_rcp_f32_e32 v105, v99
	v_nop
	v_fma_f32 v106, -v99, v105, 1.0
	s_delay_alu instid0(VALU_DEP_1) | instskip(SKIP_1) | instid1(VALU_DEP_1)
	v_fmac_f32_e32 v105, v106, v105
	v_div_scale_f32 v106, vcc_lo, 1.0, v98, 1.0
	v_mul_f32_e32 v107, v106, v105
	s_delay_alu instid0(VALU_DEP_1) | instskip(NEXT) | instid1(VALU_DEP_1)
	v_fma_f32 v108, -v99, v107, v106
	v_fmac_f32_e32 v107, v108, v105
	s_delay_alu instid0(VALU_DEP_1) | instskip(NEXT) | instid1(VALU_DEP_1)
	v_fma_f32 v99, -v99, v107, v106
	v_div_fmas_f32 v99, v99, v105, v107
	s_delay_alu instid0(VALU_DEP_1) | instskip(NEXT) | instid1(VALU_DEP_1)
	v_div_fixup_f32 v98, v99, v98, 1.0
	v_mul_f32_e64 v99, v97, -v98
.LBB88_387:
	s_or_b32 exec_lo, exec_lo, s1
.LBB88_388:
	s_delay_alu instid0(SALU_CYCLE_1) | instskip(NEXT) | instid1(SALU_CYCLE_1)
	s_or_b32 exec_lo, exec_lo, s0
	s_mov_b32 s0, exec_lo
	v_cmpx_ne_u32_e64 v104, v96
	s_xor_b32 s0, exec_lo, s0
	s_cbranch_execz .LBB88_394
; %bb.389:
	s_mov_b32 s1, exec_lo
	v_cmpx_eq_u32_e32 18, v104
	s_cbranch_execz .LBB88_393
; %bb.390:
	v_cmp_ne_u32_e32 vcc_lo, 18, v96
	s_xor_b32 s12, s16, -1
	s_delay_alu instid0(SALU_CYCLE_1) | instskip(NEXT) | instid1(SALU_CYCLE_1)
	s_and_b32 s13, s12, vcc_lo
	s_and_saveexec_b32 s12, s13
	s_cbranch_execz .LBB88_392
; %bb.391:
	v_ashrrev_i32_e32 v97, 31, v96
	s_delay_alu instid0(VALU_DEP_1)
	v_lshl_add_u64 v[104:105], v[96:97], 2, v[4:5]
	s_clause 0x1
	global_load_b32 v97, v[104:105], off
	global_load_b32 v103, v[4:5], off offset:72
	s_wait_loadcnt 0x1
	global_store_b32 v[4:5], v97, off offset:72
	s_wait_loadcnt 0x0
	global_store_b32 v[104:105], v103, off
.LBB88_392:
	s_wait_xcnt 0x0
	s_or_b32 exec_lo, exec_lo, s12
	v_dual_mov_b32 v104, v96 :: v_dual_mov_b32 v103, v96
.LBB88_393:
	s_or_b32 exec_lo, exec_lo, s1
.LBB88_394:
	s_and_not1_saveexec_b32 s0, s0
	s_cbranch_execz .LBB88_396
; %bb.395:
	v_mov_b32_e32 v104, 18
	ds_store_2addr_b64 v100, v[70:71], v[68:69] offset0:19 offset1:20
	ds_store_2addr_b64 v100, v[64:65], v[66:67] offset0:21 offset1:22
	;; [unrolled: 1-line block ×13, first 2 shown]
.LBB88_396:
	s_or_b32 exec_lo, exec_lo, s0
	s_delay_alu instid0(SALU_CYCLE_1)
	s_mov_b32 s0, exec_lo
	s_wait_storecnt_dscnt 0x0
	s_barrier_signal -1
	s_barrier_wait -1
	v_cmpx_lt_i32_e32 18, v104
	s_cbranch_execz .LBB88_398
; %bb.397:
	v_pk_mul_f32 v[106:107], v[98:99], v[74:75] op_sel:[1,1] op_sel_hi:[0,1]
	s_delay_alu instid0(VALU_DEP_1)
	v_pk_fma_f32 v[96:97], v[98:99], v[74:75], v[106:107] op_sel_hi:[1,0,1] neg_lo:[0,0,1] neg_hi:[0,0,1]
	v_pk_fma_f32 v[98:99], v[98:99], v[74:75], v[106:107] op_sel_hi:[1,0,1]
	ds_load_2addr_b64 v[106:109], v100 offset0:19 offset1:20
	v_dual_mov_b32 v74, v96 :: v_dual_mov_b32 v75, v99
	s_wait_dscnt 0x0
	v_pk_mul_f32 v[110:111], v[106:107], v[98:99] op_sel:[0,1]
	s_delay_alu instid0(VALU_DEP_1) | instskip(SKIP_1) | instid1(VALU_DEP_1)
	v_pk_fma_f32 v[112:113], v[106:107], v[96:97], v[110:111] op_sel:[0,0,1] op_sel_hi:[1,1,0] neg_lo:[0,0,1] neg_hi:[0,0,1]
	v_pk_fma_f32 v[106:107], v[106:107], v[96:97], v[110:111] op_sel:[0,0,1] op_sel_hi:[1,0,0]
	v_mov_b32_e32 v113, v107
	v_pk_mul_f32 v[106:107], v[108:109], v[98:99] op_sel:[0,1]
	s_delay_alu instid0(VALU_DEP_1) | instskip(SKIP_1) | instid1(VALU_DEP_1)
	v_pk_fma_f32 v[110:111], v[108:109], v[96:97], v[106:107] op_sel:[0,0,1] op_sel_hi:[1,1,0] neg_lo:[0,0,1] neg_hi:[0,0,1]
	v_pk_fma_f32 v[106:107], v[108:109], v[96:97], v[106:107] op_sel:[0,0,1] op_sel_hi:[1,0,0]
	v_mov_b32_e32 v111, v107
	ds_load_2addr_b64 v[106:109], v100 offset0:21 offset1:22
	v_pk_add_f32 v[70:71], v[70:71], v[112:113] neg_lo:[0,1] neg_hi:[0,1]
	v_pk_add_f32 v[68:69], v[68:69], v[110:111] neg_lo:[0,1] neg_hi:[0,1]
	s_wait_dscnt 0x0
	v_pk_mul_f32 v[110:111], v[106:107], v[98:99] op_sel:[0,1]
	s_delay_alu instid0(VALU_DEP_1) | instskip(SKIP_2) | instid1(VALU_DEP_2)
	v_pk_fma_f32 v[112:113], v[106:107], v[96:97], v[110:111] op_sel:[0,0,1] op_sel_hi:[1,1,0] neg_lo:[0,0,1] neg_hi:[0,0,1]
	v_pk_fma_f32 v[106:107], v[106:107], v[96:97], v[110:111] op_sel:[0,0,1] op_sel_hi:[1,0,0]
	v_dual_mul_f32 v110, v109, v99 :: v_dual_mov_b32 v106, v109
	v_dual_mov_b32 v113, v107 :: v_dual_mov_b32 v107, v108
	s_delay_alu instid0(VALU_DEP_2) | instskip(SKIP_1) | instid1(VALU_DEP_3)
	v_pk_fma_f32 v[110:111], v[108:109], v[74:75], v[110:111] op_sel_hi:[1,1,0] neg_lo:[0,0,1] neg_hi:[0,0,1]
	v_mul_f32_e32 v108, v109, v96
	v_pk_add_f32 v[64:65], v[64:65], v[112:113] neg_lo:[0,1] neg_hi:[0,1]
	s_delay_alu instid0(VALU_DEP_2) | instskip(NEXT) | instid1(VALU_DEP_1)
	v_pk_fma_f32 v[106:107], v[106:107], v[74:75], v[108:109] op_sel_hi:[1,1,0]
	v_mov_b32_e32 v111, v107
	ds_load_2addr_b64 v[106:109], v100 offset0:23 offset1:24
	v_pk_add_f32 v[66:67], v[66:67], v[110:111] neg_lo:[0,1] neg_hi:[0,1]
	s_wait_dscnt 0x0
	v_pk_mul_f32 v[110:111], v[106:107], v[98:99] op_sel:[0,1]
	s_delay_alu instid0(VALU_DEP_1) | instskip(SKIP_1) | instid1(VALU_DEP_1)
	v_pk_fma_f32 v[112:113], v[106:107], v[96:97], v[110:111] op_sel:[0,0,1] op_sel_hi:[1,1,0] neg_lo:[0,0,1] neg_hi:[0,0,1]
	v_pk_fma_f32 v[106:107], v[106:107], v[96:97], v[110:111] op_sel:[0,0,1] op_sel_hi:[1,0,0]
	v_mov_b32_e32 v113, v107
	v_pk_mul_f32 v[106:107], v[108:109], v[98:99] op_sel:[0,1]
	s_delay_alu instid0(VALU_DEP_1) | instskip(SKIP_1) | instid1(VALU_DEP_1)
	v_pk_fma_f32 v[110:111], v[108:109], v[96:97], v[106:107] op_sel:[0,0,1] op_sel_hi:[1,1,0] neg_lo:[0,0,1] neg_hi:[0,0,1]
	v_pk_fma_f32 v[106:107], v[108:109], v[96:97], v[106:107] op_sel:[0,0,1] op_sel_hi:[1,0,0]
	v_mov_b32_e32 v111, v107
	ds_load_2addr_b64 v[106:109], v100 offset0:25 offset1:26
	v_pk_add_f32 v[62:63], v[62:63], v[112:113] neg_lo:[0,1] neg_hi:[0,1]
	v_pk_add_f32 v[60:61], v[60:61], v[110:111] neg_lo:[0,1] neg_hi:[0,1]
	s_wait_dscnt 0x0
	v_pk_mul_f32 v[110:111], v[106:107], v[98:99] op_sel:[0,1]
	s_delay_alu instid0(VALU_DEP_1) | instskip(SKIP_1) | instid1(VALU_DEP_1)
	v_pk_fma_f32 v[112:113], v[106:107], v[96:97], v[110:111] op_sel:[0,0,1] op_sel_hi:[1,1,0] neg_lo:[0,0,1] neg_hi:[0,0,1]
	v_pk_fma_f32 v[106:107], v[106:107], v[96:97], v[110:111] op_sel:[0,0,1] op_sel_hi:[1,0,0]
	v_mov_b32_e32 v113, v107
	v_pk_mul_f32 v[106:107], v[108:109], v[98:99] op_sel:[0,1]
	s_delay_alu instid0(VALU_DEP_1) | instskip(SKIP_1) | instid1(VALU_DEP_1)
	v_pk_fma_f32 v[110:111], v[108:109], v[96:97], v[106:107] op_sel:[0,0,1] op_sel_hi:[1,1,0] neg_lo:[0,0,1] neg_hi:[0,0,1]
	v_pk_fma_f32 v[106:107], v[108:109], v[96:97], v[106:107] op_sel:[0,0,1] op_sel_hi:[1,0,0]
	v_mov_b32_e32 v111, v107
	ds_load_2addr_b64 v[106:109], v100 offset0:27 offset1:28
	v_pk_add_f32 v[56:57], v[56:57], v[112:113] neg_lo:[0,1] neg_hi:[0,1]
	v_pk_add_f32 v[58:59], v[58:59], v[110:111] neg_lo:[0,1] neg_hi:[0,1]
	s_wait_dscnt 0x0
	v_dual_mul_f32 v110, v107, v99 :: v_dual_mul_f32 v112, v107, v96
	s_delay_alu instid0(VALU_DEP_1) | instskip(NEXT) | instid1(VALU_DEP_2)
	v_pk_fma_f32 v[110:111], v[106:107], v[74:75], v[110:111] op_sel_hi:[1,1,0] neg_lo:[0,0,1] neg_hi:[0,0,1]
	v_pk_fma_f32 v[106:107], v[106:107], v[74:75], v[112:113] op_sel:[1,0,0] op_sel_hi:[0,1,0]
	s_delay_alu instid0(VALU_DEP_1) | instskip(SKIP_1) | instid1(VALU_DEP_2)
	v_mov_b32_e32 v111, v107
	v_pk_mul_f32 v[106:107], v[108:109], v[98:99] op_sel:[0,1]
	v_pk_add_f32 v[54:55], v[54:55], v[110:111] neg_lo:[0,1] neg_hi:[0,1]
	s_delay_alu instid0(VALU_DEP_2) | instskip(SKIP_1) | instid1(VALU_DEP_1)
	v_pk_fma_f32 v[110:111], v[108:109], v[96:97], v[106:107] op_sel:[0,0,1] op_sel_hi:[1,1,0] neg_lo:[0,0,1] neg_hi:[0,0,1]
	v_pk_fma_f32 v[106:107], v[108:109], v[96:97], v[106:107] op_sel:[0,0,1] op_sel_hi:[1,0,0]
	v_mov_b32_e32 v111, v107
	ds_load_2addr_b64 v[106:109], v100 offset0:29 offset1:30
	v_pk_add_f32 v[48:49], v[48:49], v[110:111] neg_lo:[0,1] neg_hi:[0,1]
	s_wait_dscnt 0x0
	v_pk_mul_f32 v[110:111], v[106:107], v[98:99] op_sel:[0,1]
	s_delay_alu instid0(VALU_DEP_1) | instskip(SKIP_1) | instid1(VALU_DEP_1)
	v_pk_fma_f32 v[112:113], v[106:107], v[96:97], v[110:111] op_sel:[0,0,1] op_sel_hi:[1,1,0] neg_lo:[0,0,1] neg_hi:[0,0,1]
	v_pk_fma_f32 v[106:107], v[106:107], v[96:97], v[110:111] op_sel:[0,0,1] op_sel_hi:[1,0,0]
	v_mov_b32_e32 v113, v107
	v_pk_mul_f32 v[106:107], v[108:109], v[98:99] op_sel:[0,1]
	s_delay_alu instid0(VALU_DEP_2) | instskip(NEXT) | instid1(VALU_DEP_2)
	v_pk_add_f32 v[40:41], v[40:41], v[112:113] neg_lo:[0,1] neg_hi:[0,1]
	v_pk_fma_f32 v[110:111], v[108:109], v[96:97], v[106:107] op_sel:[0,0,1] op_sel_hi:[1,1,0] neg_lo:[0,0,1] neg_hi:[0,0,1]
	v_pk_fma_f32 v[106:107], v[108:109], v[96:97], v[106:107] op_sel:[0,0,1] op_sel_hi:[1,0,0]
	s_delay_alu instid0(VALU_DEP_1) | instskip(SKIP_4) | instid1(VALU_DEP_1)
	v_mov_b32_e32 v111, v107
	ds_load_2addr_b64 v[106:109], v100 offset0:31 offset1:32
	v_pk_add_f32 v[46:47], v[46:47], v[110:111] neg_lo:[0,1] neg_hi:[0,1]
	s_wait_dscnt 0x0
	v_pk_mul_f32 v[110:111], v[106:107], v[98:99] op_sel:[0,1]
	v_pk_fma_f32 v[112:113], v[106:107], v[96:97], v[110:111] op_sel:[0,0,1] op_sel_hi:[1,1,0] neg_lo:[0,0,1] neg_hi:[0,0,1]
	v_pk_fma_f32 v[106:107], v[106:107], v[96:97], v[110:111] op_sel:[0,0,1] op_sel_hi:[1,0,0]
	v_dual_mul_f32 v110, v109, v99 :: v_dual_mov_b32 v106, v109
	s_delay_alu instid0(VALU_DEP_2) | instskip(NEXT) | instid1(VALU_DEP_2)
	v_dual_mov_b32 v113, v107 :: v_dual_mov_b32 v107, v108
	v_pk_fma_f32 v[110:111], v[108:109], v[74:75], v[110:111] op_sel_hi:[1,1,0] neg_lo:[0,0,1] neg_hi:[0,0,1]
	v_mul_f32_e32 v108, v109, v96
	s_delay_alu instid0(VALU_DEP_3) | instskip(NEXT) | instid1(VALU_DEP_2)
	v_pk_add_f32 v[38:39], v[38:39], v[112:113] neg_lo:[0,1] neg_hi:[0,1]
	v_pk_fma_f32 v[106:107], v[106:107], v[74:75], v[108:109] op_sel_hi:[1,1,0]
	s_delay_alu instid0(VALU_DEP_1) | instskip(SKIP_4) | instid1(VALU_DEP_1)
	v_mov_b32_e32 v111, v107
	ds_load_2addr_b64 v[106:109], v100 offset0:33 offset1:34
	v_pk_add_f32 v[30:31], v[30:31], v[110:111] neg_lo:[0,1] neg_hi:[0,1]
	s_wait_dscnt 0x0
	v_pk_mul_f32 v[110:111], v[106:107], v[98:99] op_sel:[0,1]
	v_pk_fma_f32 v[112:113], v[106:107], v[96:97], v[110:111] op_sel:[0,0,1] op_sel_hi:[1,1,0] neg_lo:[0,0,1] neg_hi:[0,0,1]
	v_pk_fma_f32 v[106:107], v[106:107], v[96:97], v[110:111] op_sel:[0,0,1] op_sel_hi:[1,0,0]
	s_delay_alu instid0(VALU_DEP_1) | instskip(SKIP_1) | instid1(VALU_DEP_1)
	v_mov_b32_e32 v113, v107
	v_pk_mul_f32 v[106:107], v[108:109], v[98:99] op_sel:[0,1]
	v_pk_fma_f32 v[110:111], v[108:109], v[96:97], v[106:107] op_sel:[0,0,1] op_sel_hi:[1,1,0] neg_lo:[0,0,1] neg_hi:[0,0,1]
	v_pk_fma_f32 v[106:107], v[108:109], v[96:97], v[106:107] op_sel:[0,0,1] op_sel_hi:[1,0,0]
	s_delay_alu instid0(VALU_DEP_1)
	v_mov_b32_e32 v111, v107
	ds_load_2addr_b64 v[106:109], v100 offset0:35 offset1:36
	v_pk_add_f32 v[22:23], v[22:23], v[112:113] neg_lo:[0,1] neg_hi:[0,1]
	v_pk_add_f32 v[28:29], v[28:29], v[110:111] neg_lo:[0,1] neg_hi:[0,1]
	s_wait_dscnt 0x0
	v_pk_mul_f32 v[110:111], v[106:107], v[98:99] op_sel:[0,1]
	s_delay_alu instid0(VALU_DEP_1) | instskip(SKIP_1) | instid1(VALU_DEP_1)
	v_pk_fma_f32 v[112:113], v[106:107], v[96:97], v[110:111] op_sel:[0,0,1] op_sel_hi:[1,1,0] neg_lo:[0,0,1] neg_hi:[0,0,1]
	v_pk_fma_f32 v[106:107], v[106:107], v[96:97], v[110:111] op_sel:[0,0,1] op_sel_hi:[1,0,0]
	v_mov_b32_e32 v113, v107
	v_pk_mul_f32 v[106:107], v[108:109], v[98:99] op_sel:[0,1]
	s_delay_alu instid0(VALU_DEP_1) | instskip(SKIP_1) | instid1(VALU_DEP_1)
	v_pk_fma_f32 v[110:111], v[108:109], v[96:97], v[106:107] op_sel:[0,0,1] op_sel_hi:[1,1,0] neg_lo:[0,0,1] neg_hi:[0,0,1]
	v_pk_fma_f32 v[106:107], v[108:109], v[96:97], v[106:107] op_sel:[0,0,1] op_sel_hi:[1,0,0]
	v_mov_b32_e32 v111, v107
	ds_load_2addr_b64 v[106:109], v100 offset0:37 offset1:38
	v_pk_add_f32 v[20:21], v[20:21], v[112:113] neg_lo:[0,1] neg_hi:[0,1]
	v_pk_add_f32 v[14:15], v[14:15], v[110:111] neg_lo:[0,1] neg_hi:[0,1]
	s_wait_dscnt 0x0
	v_dual_mul_f32 v110, v107, v99 :: v_dual_mul_f32 v112, v107, v96
	s_delay_alu instid0(VALU_DEP_1) | instskip(NEXT) | instid1(VALU_DEP_2)
	v_pk_fma_f32 v[110:111], v[106:107], v[74:75], v[110:111] op_sel_hi:[1,1,0] neg_lo:[0,0,1] neg_hi:[0,0,1]
	v_pk_fma_f32 v[106:107], v[106:107], v[74:75], v[112:113] op_sel:[1,0,0] op_sel_hi:[0,1,0]
	s_delay_alu instid0(VALU_DEP_1) | instskip(SKIP_1) | instid1(VALU_DEP_2)
	v_mov_b32_e32 v111, v107
	v_pk_mul_f32 v[106:107], v[108:109], v[98:99] op_sel:[0,1]
	v_pk_add_f32 v[10:11], v[10:11], v[110:111] neg_lo:[0,1] neg_hi:[0,1]
	s_delay_alu instid0(VALU_DEP_2) | instskip(SKIP_1) | instid1(VALU_DEP_1)
	v_pk_fma_f32 v[110:111], v[108:109], v[96:97], v[106:107] op_sel:[0,0,1] op_sel_hi:[1,1,0] neg_lo:[0,0,1] neg_hi:[0,0,1]
	v_pk_fma_f32 v[106:107], v[108:109], v[96:97], v[106:107] op_sel:[0,0,1] op_sel_hi:[1,0,0]
	v_mov_b32_e32 v111, v107
	ds_load_2addr_b64 v[106:109], v100 offset0:39 offset1:40
	v_pk_add_f32 v[12:13], v[12:13], v[110:111] neg_lo:[0,1] neg_hi:[0,1]
	s_wait_dscnt 0x0
	v_pk_mul_f32 v[110:111], v[106:107], v[98:99] op_sel:[0,1]
	s_delay_alu instid0(VALU_DEP_1) | instskip(SKIP_1) | instid1(VALU_DEP_1)
	v_pk_fma_f32 v[112:113], v[106:107], v[96:97], v[110:111] op_sel:[0,0,1] op_sel_hi:[1,1,0] neg_lo:[0,0,1] neg_hi:[0,0,1]
	v_pk_fma_f32 v[106:107], v[106:107], v[96:97], v[110:111] op_sel:[0,0,1] op_sel_hi:[1,0,0]
	v_mov_b32_e32 v113, v107
	v_pk_mul_f32 v[106:107], v[108:109], v[98:99] op_sel:[0,1]
	s_delay_alu instid0(VALU_DEP_2) | instskip(NEXT) | instid1(VALU_DEP_2)
	v_pk_add_f32 v[8:9], v[8:9], v[112:113] neg_lo:[0,1] neg_hi:[0,1]
	v_pk_fma_f32 v[110:111], v[108:109], v[96:97], v[106:107] op_sel:[0,0,1] op_sel_hi:[1,1,0] neg_lo:[0,0,1] neg_hi:[0,0,1]
	v_pk_fma_f32 v[106:107], v[108:109], v[96:97], v[106:107] op_sel:[0,0,1] op_sel_hi:[1,0,0]
	s_delay_alu instid0(VALU_DEP_1) | instskip(SKIP_4) | instid1(VALU_DEP_1)
	v_mov_b32_e32 v111, v107
	ds_load_2addr_b64 v[106:109], v100 offset0:41 offset1:42
	v_pk_add_f32 v[6:7], v[6:7], v[110:111] neg_lo:[0,1] neg_hi:[0,1]
	s_wait_dscnt 0x0
	v_pk_mul_f32 v[110:111], v[106:107], v[98:99] op_sel:[0,1]
	v_pk_fma_f32 v[112:113], v[106:107], v[96:97], v[110:111] op_sel:[0,0,1] op_sel_hi:[1,1,0] neg_lo:[0,0,1] neg_hi:[0,0,1]
	v_pk_fma_f32 v[106:107], v[106:107], v[96:97], v[110:111] op_sel:[0,0,1] op_sel_hi:[1,0,0]
	v_dual_mul_f32 v110, v109, v99 :: v_dual_mov_b32 v106, v109
	s_delay_alu instid0(VALU_DEP_2) | instskip(NEXT) | instid1(VALU_DEP_2)
	v_dual_mov_b32 v113, v107 :: v_dual_mov_b32 v107, v108
	v_pk_fma_f32 v[110:111], v[108:109], v[74:75], v[110:111] op_sel_hi:[1,1,0] neg_lo:[0,0,1] neg_hi:[0,0,1]
	v_mul_f32_e32 v108, v109, v96
	s_delay_alu instid0(VALU_DEP_3) | instskip(NEXT) | instid1(VALU_DEP_2)
	v_pk_add_f32 v[36:37], v[36:37], v[112:113] neg_lo:[0,1] neg_hi:[0,1]
	v_pk_fma_f32 v[106:107], v[106:107], v[74:75], v[108:109] op_sel_hi:[1,1,0]
	s_delay_alu instid0(VALU_DEP_1)
	v_mov_b32_e32 v111, v107
	ds_load_2addr_b64 v[106:109], v100 offset0:43 offset1:44
	v_pk_add_f32 v[18:19], v[18:19], v[110:111] neg_lo:[0,1] neg_hi:[0,1]
	s_wait_dscnt 0x0
	v_pk_mul_f32 v[110:111], v[106:107], v[98:99] op_sel:[0,1]
	v_pk_mul_f32 v[98:99], v[108:109], v[98:99] op_sel:[0,1]
	s_delay_alu instid0(VALU_DEP_2) | instskip(SKIP_1) | instid1(VALU_DEP_1)
	v_pk_fma_f32 v[112:113], v[106:107], v[96:97], v[110:111] op_sel:[0,0,1] op_sel_hi:[1,1,0] neg_lo:[0,0,1] neg_hi:[0,0,1]
	v_pk_fma_f32 v[106:107], v[106:107], v[96:97], v[110:111] op_sel:[0,0,1] op_sel_hi:[1,0,0]
	v_mov_b32_e32 v113, v107
	s_delay_alu instid0(VALU_DEP_4) | instskip(SKIP_1) | instid1(VALU_DEP_1)
	v_pk_fma_f32 v[106:107], v[108:109], v[96:97], v[98:99] op_sel:[0,0,1] op_sel_hi:[1,1,0] neg_lo:[0,0,1] neg_hi:[0,0,1]
	v_pk_fma_f32 v[96:97], v[108:109], v[96:97], v[98:99] op_sel:[0,0,1] op_sel_hi:[1,0,0]
	v_mov_b32_e32 v107, v97
	s_delay_alu instid0(VALU_DEP_4) | instskip(NEXT) | instid1(VALU_DEP_2)
	v_pk_add_f32 v[16:17], v[16:17], v[112:113] neg_lo:[0,1] neg_hi:[0,1]
	v_pk_add_f32 v[94:95], v[94:95], v[106:107] neg_lo:[0,1] neg_hi:[0,1]
.LBB88_398:
	s_or_b32 exec_lo, exec_lo, s0
	v_lshl_add_u32 v96, v104, 3, v100
	s_barrier_signal -1
	s_barrier_wait -1
	ds_store_b64 v96, v[70:71]
	s_wait_dscnt 0x0
	s_barrier_signal -1
	s_barrier_wait -1
	ds_load_b64 v[98:99], v100 offset:152
	v_mov_b32_e32 v96, 19
	s_cmp_lt_i32 s18, 21
	s_cbranch_scc1 .LBB88_401
; %bb.399:
	v_add3_u32 v97, v101, 0, 0xa0
	v_mov_b32_e32 v96, 19
	s_mov_b32 s0, 20
.LBB88_400:                             ; =>This Inner Loop Header: Depth=1
	ds_load_b64 v[106:107], v97
	s_wait_dscnt 0x1
	v_cmp_gt_f32_e32 vcc_lo, 0, v98
	v_cndmask_b32_e64 v108, v98, -v98, vcc_lo
	v_cmp_gt_f32_e32 vcc_lo, 0, v99
	v_cndmask_b32_e64 v110, v99, -v99, vcc_lo
	s_wait_dscnt 0x0
	v_cmp_gt_f32_e32 vcc_lo, 0, v106
	v_cndmask_b32_e64 v109, v106, -v106, vcc_lo
	v_cmp_gt_f32_e32 vcc_lo, 0, v107
	v_cndmask_b32_e64 v111, v107, -v107, vcc_lo
	s_delay_alu instid0(VALU_DEP_1) | instskip(NEXT) | instid1(VALU_DEP_1)
	v_pk_add_f32 v[108:109], v[108:109], v[110:111]
	v_cmp_lt_f32_e32 vcc_lo, v108, v109
	v_dual_add_nc_u32 v97, 8, v97 :: v_dual_cndmask_b32 v99, v99, v107, vcc_lo
	v_cndmask_b32_e32 v98, v98, v106, vcc_lo
	v_cndmask_b32_e64 v96, v96, s0, vcc_lo
	s_add_co_i32 s0, s0, 1
	s_delay_alu instid0(SALU_CYCLE_1)
	s_cmp_lg_u32 s18, s0
	s_cbranch_scc1 .LBB88_400
.LBB88_401:
	s_wait_dscnt 0x0
	v_cmp_eq_f32_e32 vcc_lo, 0, v98
	v_cmp_eq_f32_e64 s0, 0, v99
	s_and_b32 s0, vcc_lo, s0
	s_delay_alu instid0(SALU_CYCLE_1) | instskip(NEXT) | instid1(SALU_CYCLE_1)
	s_and_saveexec_b32 s1, s0
	s_xor_b32 s0, exec_lo, s1
; %bb.402:
	v_cmp_ne_u32_e32 vcc_lo, 0, v102
	v_cndmask_b32_e32 v102, 20, v102, vcc_lo
; %bb.403:
	s_and_not1_saveexec_b32 s0, s0
	s_cbranch_execz .LBB88_409
; %bb.404:
	v_cmp_ngt_f32_e64 s1, |v98|, |v99|
	s_and_saveexec_b32 s12, s1
	s_delay_alu instid0(SALU_CYCLE_1)
	s_xor_b32 s1, exec_lo, s12
	s_cbranch_execz .LBB88_406
; %bb.405:
	v_div_scale_f32 v97, null, v99, v99, v98
	v_div_scale_f32 v107, vcc_lo, v98, v99, v98
	s_delay_alu instid0(VALU_DEP_2) | instskip(SKIP_1) | instid1(TRANS32_DEP_1)
	v_rcp_f32_e32 v105, v97
	v_nop
	v_fma_f32 v106, -v97, v105, 1.0
	s_delay_alu instid0(VALU_DEP_1) | instskip(NEXT) | instid1(VALU_DEP_1)
	v_fmac_f32_e32 v105, v106, v105
	v_mul_f32_e32 v106, v107, v105
	s_delay_alu instid0(VALU_DEP_1) | instskip(NEXT) | instid1(VALU_DEP_1)
	v_fma_f32 v108, -v97, v106, v107
	v_fmac_f32_e32 v106, v108, v105
	s_delay_alu instid0(VALU_DEP_1) | instskip(NEXT) | instid1(VALU_DEP_1)
	v_fma_f32 v97, -v97, v106, v107
	v_div_fmas_f32 v97, v97, v105, v106
	s_delay_alu instid0(VALU_DEP_1) | instskip(NEXT) | instid1(VALU_DEP_1)
	v_div_fixup_f32 v97, v97, v99, v98
	v_fmac_f32_e32 v99, v98, v97
	s_delay_alu instid0(VALU_DEP_1) | instskip(SKIP_1) | instid1(VALU_DEP_2)
	v_div_scale_f32 v98, null, v99, v99, 1.0
	v_div_scale_f32 v107, vcc_lo, 1.0, v99, 1.0
	v_rcp_f32_e32 v105, v98
	v_nop
	s_delay_alu instid0(TRANS32_DEP_1) | instskip(NEXT) | instid1(VALU_DEP_1)
	v_fma_f32 v106, -v98, v105, 1.0
	v_fmac_f32_e32 v105, v106, v105
	s_delay_alu instid0(VALU_DEP_1) | instskip(NEXT) | instid1(VALU_DEP_1)
	v_mul_f32_e32 v106, v107, v105
	v_fma_f32 v108, -v98, v106, v107
	s_delay_alu instid0(VALU_DEP_1) | instskip(NEXT) | instid1(VALU_DEP_1)
	v_fmac_f32_e32 v106, v108, v105
	v_fma_f32 v98, -v98, v106, v107
	s_delay_alu instid0(VALU_DEP_1) | instskip(NEXT) | instid1(VALU_DEP_1)
	v_div_fmas_f32 v98, v98, v105, v106
	v_div_fixup_f32 v99, v98, v99, 1.0
	s_delay_alu instid0(VALU_DEP_1)
	v_mul_f32_e32 v98, v97, v99
	v_xor_b32_e32 v99, 0x80000000, v99
.LBB88_406:
	s_and_not1_saveexec_b32 s1, s1
	s_cbranch_execz .LBB88_408
; %bb.407:
	s_delay_alu instid0(VALU_DEP_1) | instskip(SKIP_1) | instid1(VALU_DEP_2)
	v_div_scale_f32 v97, null, v98, v98, v99
	v_div_scale_f32 v107, vcc_lo, v99, v98, v99
	v_rcp_f32_e32 v105, v97
	v_nop
	s_delay_alu instid0(TRANS32_DEP_1) | instskip(NEXT) | instid1(VALU_DEP_1)
	v_fma_f32 v106, -v97, v105, 1.0
	v_fmac_f32_e32 v105, v106, v105
	s_delay_alu instid0(VALU_DEP_1) | instskip(NEXT) | instid1(VALU_DEP_1)
	v_mul_f32_e32 v106, v107, v105
	v_fma_f32 v108, -v97, v106, v107
	s_delay_alu instid0(VALU_DEP_1) | instskip(NEXT) | instid1(VALU_DEP_1)
	v_fmac_f32_e32 v106, v108, v105
	v_fma_f32 v97, -v97, v106, v107
	s_delay_alu instid0(VALU_DEP_1) | instskip(NEXT) | instid1(VALU_DEP_1)
	v_div_fmas_f32 v97, v97, v105, v106
	v_div_fixup_f32 v97, v97, v98, v99
	s_delay_alu instid0(VALU_DEP_1) | instskip(NEXT) | instid1(VALU_DEP_1)
	v_fmac_f32_e32 v98, v99, v97
	v_div_scale_f32 v99, null, v98, v98, 1.0
	s_delay_alu instid0(VALU_DEP_1) | instskip(SKIP_1) | instid1(TRANS32_DEP_1)
	v_rcp_f32_e32 v105, v99
	v_nop
	v_fma_f32 v106, -v99, v105, 1.0
	s_delay_alu instid0(VALU_DEP_1) | instskip(SKIP_1) | instid1(VALU_DEP_1)
	v_fmac_f32_e32 v105, v106, v105
	v_div_scale_f32 v106, vcc_lo, 1.0, v98, 1.0
	v_mul_f32_e32 v107, v106, v105
	s_delay_alu instid0(VALU_DEP_1) | instskip(NEXT) | instid1(VALU_DEP_1)
	v_fma_f32 v108, -v99, v107, v106
	v_fmac_f32_e32 v107, v108, v105
	s_delay_alu instid0(VALU_DEP_1) | instskip(NEXT) | instid1(VALU_DEP_1)
	v_fma_f32 v99, -v99, v107, v106
	v_div_fmas_f32 v99, v99, v105, v107
	s_delay_alu instid0(VALU_DEP_1) | instskip(NEXT) | instid1(VALU_DEP_1)
	v_div_fixup_f32 v98, v99, v98, 1.0
	v_mul_f32_e64 v99, v97, -v98
.LBB88_408:
	s_or_b32 exec_lo, exec_lo, s1
.LBB88_409:
	s_delay_alu instid0(SALU_CYCLE_1) | instskip(NEXT) | instid1(SALU_CYCLE_1)
	s_or_b32 exec_lo, exec_lo, s0
	s_mov_b32 s0, exec_lo
	v_cmpx_ne_u32_e64 v104, v96
	s_xor_b32 s0, exec_lo, s0
	s_cbranch_execz .LBB88_415
; %bb.410:
	s_mov_b32 s1, exec_lo
	v_cmpx_eq_u32_e32 19, v104
	s_cbranch_execz .LBB88_414
; %bb.411:
	v_cmp_ne_u32_e32 vcc_lo, 19, v96
	s_xor_b32 s12, s16, -1
	s_delay_alu instid0(SALU_CYCLE_1) | instskip(NEXT) | instid1(SALU_CYCLE_1)
	s_and_b32 s13, s12, vcc_lo
	s_and_saveexec_b32 s12, s13
	s_cbranch_execz .LBB88_413
; %bb.412:
	v_ashrrev_i32_e32 v97, 31, v96
	s_delay_alu instid0(VALU_DEP_1)
	v_lshl_add_u64 v[104:105], v[96:97], 2, v[4:5]
	s_clause 0x1
	global_load_b32 v97, v[104:105], off
	global_load_b32 v103, v[4:5], off offset:76
	s_wait_loadcnt 0x1
	global_store_b32 v[4:5], v97, off offset:76
	s_wait_loadcnt 0x0
	global_store_b32 v[104:105], v103, off
.LBB88_413:
	s_wait_xcnt 0x0
	s_or_b32 exec_lo, exec_lo, s12
	v_dual_mov_b32 v104, v96 :: v_dual_mov_b32 v103, v96
.LBB88_414:
	s_or_b32 exec_lo, exec_lo, s1
.LBB88_415:
	s_and_not1_saveexec_b32 s0, s0
	s_cbranch_execz .LBB88_417
; %bb.416:
	v_dual_mov_b32 v96, v68 :: v_dual_mov_b32 v97, v69
	v_dual_mov_b32 v104, v64 :: v_dual_mov_b32 v105, v65
	;; [unrolled: 1-line block ×4, first 2 shown]
	ds_store_2addr_b64 v100, v[96:97], v[104:105] offset0:20 offset1:21
	ds_store_2addr_b64 v100, v[106:107], v[108:109] offset0:22 offset1:23
	v_dual_mov_b32 v96, v60 :: v_dual_mov_b32 v97, v61
	v_dual_mov_b32 v104, v56 :: v_dual_mov_b32 v105, v57
	;; [unrolled: 1-line block ×12, first 2 shown]
	ds_store_2addr_b64 v100, v[96:97], v[104:105] offset0:24 offset1:25
	ds_store_2addr_b64 v100, v[106:107], v[108:109] offset0:26 offset1:27
	;; [unrolled: 1-line block ×6, first 2 shown]
	v_dual_mov_b32 v96, v14 :: v_dual_mov_b32 v97, v15
	v_dual_mov_b32 v106, v10 :: v_dual_mov_b32 v107, v11
	;; [unrolled: 1-line block ×8, first 2 shown]
	v_mov_b32_e32 v119, v17
	ds_store_2addr_b64 v100, v[96:97], v[106:107] offset0:36 offset1:37
	ds_store_2addr_b64 v100, v[108:109], v[110:111] offset0:38 offset1:39
	;; [unrolled: 1-line block ×4, first 2 shown]
	ds_store_b64 v100, v[94:95] offset:352
.LBB88_417:
	s_or_b32 exec_lo, exec_lo, s0
	s_delay_alu instid0(SALU_CYCLE_1)
	s_mov_b32 s0, exec_lo
	s_wait_storecnt_dscnt 0x0
	s_barrier_signal -1
	s_barrier_wait -1
	v_cmpx_lt_i32_e32 19, v104
	s_cbranch_execz .LBB88_419
; %bb.418:
	v_pk_mul_f32 v[106:107], v[98:99], v[70:71] op_sel:[1,1] op_sel_hi:[0,1]
	s_delay_alu instid0(VALU_DEP_1)
	v_pk_fma_f32 v[96:97], v[98:99], v[70:71], v[106:107] op_sel_hi:[1,0,1] neg_lo:[0,0,1] neg_hi:[0,0,1]
	v_pk_fma_f32 v[98:99], v[98:99], v[70:71], v[106:107] op_sel_hi:[1,0,1]
	ds_load_2addr_b64 v[106:109], v100 offset0:20 offset1:21
	v_dual_mov_b32 v70, v96 :: v_dual_mov_b32 v71, v99
	s_wait_dscnt 0x0
	v_pk_mul_f32 v[110:111], v[106:107], v[98:99] op_sel:[0,1]
	s_delay_alu instid0(VALU_DEP_1) | instskip(SKIP_1) | instid1(VALU_DEP_1)
	v_pk_fma_f32 v[112:113], v[106:107], v[96:97], v[110:111] op_sel:[0,0,1] op_sel_hi:[1,1,0] neg_lo:[0,0,1] neg_hi:[0,0,1]
	v_pk_fma_f32 v[106:107], v[106:107], v[96:97], v[110:111] op_sel:[0,0,1] op_sel_hi:[1,0,0]
	v_mov_b32_e32 v113, v107
	v_pk_mul_f32 v[106:107], v[108:109], v[98:99] op_sel:[0,1]
	s_delay_alu instid0(VALU_DEP_1) | instskip(SKIP_1) | instid1(VALU_DEP_1)
	v_pk_fma_f32 v[110:111], v[108:109], v[96:97], v[106:107] op_sel:[0,0,1] op_sel_hi:[1,1,0] neg_lo:[0,0,1] neg_hi:[0,0,1]
	v_pk_fma_f32 v[106:107], v[108:109], v[96:97], v[106:107] op_sel:[0,0,1] op_sel_hi:[1,0,0]
	v_mov_b32_e32 v111, v107
	ds_load_2addr_b64 v[106:109], v100 offset0:22 offset1:23
	v_pk_add_f32 v[68:69], v[68:69], v[112:113] neg_lo:[0,1] neg_hi:[0,1]
	v_pk_add_f32 v[64:65], v[64:65], v[110:111] neg_lo:[0,1] neg_hi:[0,1]
	s_wait_dscnt 0x0
	v_pk_mul_f32 v[110:111], v[106:107], v[98:99] op_sel:[0,1]
	s_delay_alu instid0(VALU_DEP_1) | instskip(SKIP_2) | instid1(VALU_DEP_2)
	v_pk_fma_f32 v[112:113], v[106:107], v[96:97], v[110:111] op_sel:[0,0,1] op_sel_hi:[1,1,0] neg_lo:[0,0,1] neg_hi:[0,0,1]
	v_pk_fma_f32 v[106:107], v[106:107], v[96:97], v[110:111] op_sel:[0,0,1] op_sel_hi:[1,0,0]
	v_dual_mul_f32 v110, v109, v99 :: v_dual_mov_b32 v106, v109
	v_dual_mov_b32 v113, v107 :: v_dual_mov_b32 v107, v108
	s_delay_alu instid0(VALU_DEP_2) | instskip(SKIP_1) | instid1(VALU_DEP_3)
	v_pk_fma_f32 v[110:111], v[108:109], v[70:71], v[110:111] op_sel_hi:[1,1,0] neg_lo:[0,0,1] neg_hi:[0,0,1]
	v_mul_f32_e32 v108, v109, v96
	v_pk_add_f32 v[66:67], v[66:67], v[112:113] neg_lo:[0,1] neg_hi:[0,1]
	s_delay_alu instid0(VALU_DEP_2) | instskip(NEXT) | instid1(VALU_DEP_1)
	v_pk_fma_f32 v[106:107], v[106:107], v[70:71], v[108:109] op_sel_hi:[1,1,0]
	v_mov_b32_e32 v111, v107
	ds_load_2addr_b64 v[106:109], v100 offset0:24 offset1:25
	v_pk_add_f32 v[62:63], v[62:63], v[110:111] neg_lo:[0,1] neg_hi:[0,1]
	s_wait_dscnt 0x0
	v_pk_mul_f32 v[110:111], v[106:107], v[98:99] op_sel:[0,1]
	s_delay_alu instid0(VALU_DEP_1) | instskip(SKIP_1) | instid1(VALU_DEP_1)
	v_pk_fma_f32 v[112:113], v[106:107], v[96:97], v[110:111] op_sel:[0,0,1] op_sel_hi:[1,1,0] neg_lo:[0,0,1] neg_hi:[0,0,1]
	v_pk_fma_f32 v[106:107], v[106:107], v[96:97], v[110:111] op_sel:[0,0,1] op_sel_hi:[1,0,0]
	v_mov_b32_e32 v113, v107
	v_pk_mul_f32 v[106:107], v[108:109], v[98:99] op_sel:[0,1]
	s_delay_alu instid0(VALU_DEP_1) | instskip(SKIP_1) | instid1(VALU_DEP_1)
	v_pk_fma_f32 v[110:111], v[108:109], v[96:97], v[106:107] op_sel:[0,0,1] op_sel_hi:[1,1,0] neg_lo:[0,0,1] neg_hi:[0,0,1]
	v_pk_fma_f32 v[106:107], v[108:109], v[96:97], v[106:107] op_sel:[0,0,1] op_sel_hi:[1,0,0]
	v_mov_b32_e32 v111, v107
	ds_load_2addr_b64 v[106:109], v100 offset0:26 offset1:27
	v_pk_add_f32 v[60:61], v[60:61], v[112:113] neg_lo:[0,1] neg_hi:[0,1]
	v_pk_add_f32 v[56:57], v[56:57], v[110:111] neg_lo:[0,1] neg_hi:[0,1]
	s_wait_dscnt 0x0
	v_pk_mul_f32 v[110:111], v[106:107], v[98:99] op_sel:[0,1]
	s_delay_alu instid0(VALU_DEP_1) | instskip(SKIP_1) | instid1(VALU_DEP_1)
	v_pk_fma_f32 v[112:113], v[106:107], v[96:97], v[110:111] op_sel:[0,0,1] op_sel_hi:[1,1,0] neg_lo:[0,0,1] neg_hi:[0,0,1]
	v_pk_fma_f32 v[106:107], v[106:107], v[96:97], v[110:111] op_sel:[0,0,1] op_sel_hi:[1,0,0]
	v_mov_b32_e32 v113, v107
	v_pk_mul_f32 v[106:107], v[108:109], v[98:99] op_sel:[0,1]
	s_delay_alu instid0(VALU_DEP_1) | instskip(SKIP_1) | instid1(VALU_DEP_1)
	v_pk_fma_f32 v[110:111], v[108:109], v[96:97], v[106:107] op_sel:[0,0,1] op_sel_hi:[1,1,0] neg_lo:[0,0,1] neg_hi:[0,0,1]
	v_pk_fma_f32 v[106:107], v[108:109], v[96:97], v[106:107] op_sel:[0,0,1] op_sel_hi:[1,0,0]
	v_mov_b32_e32 v111, v107
	ds_load_2addr_b64 v[106:109], v100 offset0:28 offset1:29
	v_pk_add_f32 v[58:59], v[58:59], v[112:113] neg_lo:[0,1] neg_hi:[0,1]
	v_pk_add_f32 v[54:55], v[54:55], v[110:111] neg_lo:[0,1] neg_hi:[0,1]
	s_wait_dscnt 0x0
	v_dual_mul_f32 v110, v107, v99 :: v_dual_mul_f32 v112, v107, v96
	s_delay_alu instid0(VALU_DEP_1) | instskip(NEXT) | instid1(VALU_DEP_2)
	v_pk_fma_f32 v[110:111], v[106:107], v[70:71], v[110:111] op_sel_hi:[1,1,0] neg_lo:[0,0,1] neg_hi:[0,0,1]
	v_pk_fma_f32 v[106:107], v[106:107], v[70:71], v[112:113] op_sel:[1,0,0] op_sel_hi:[0,1,0]
	s_delay_alu instid0(VALU_DEP_1) | instskip(SKIP_1) | instid1(VALU_DEP_2)
	v_mov_b32_e32 v111, v107
	v_pk_mul_f32 v[106:107], v[108:109], v[98:99] op_sel:[0,1]
	v_pk_add_f32 v[48:49], v[48:49], v[110:111] neg_lo:[0,1] neg_hi:[0,1]
	s_delay_alu instid0(VALU_DEP_2) | instskip(SKIP_1) | instid1(VALU_DEP_1)
	v_pk_fma_f32 v[110:111], v[108:109], v[96:97], v[106:107] op_sel:[0,0,1] op_sel_hi:[1,1,0] neg_lo:[0,0,1] neg_hi:[0,0,1]
	v_pk_fma_f32 v[106:107], v[108:109], v[96:97], v[106:107] op_sel:[0,0,1] op_sel_hi:[1,0,0]
	v_mov_b32_e32 v111, v107
	ds_load_2addr_b64 v[106:109], v100 offset0:30 offset1:31
	v_pk_add_f32 v[40:41], v[40:41], v[110:111] neg_lo:[0,1] neg_hi:[0,1]
	s_wait_dscnt 0x0
	v_pk_mul_f32 v[110:111], v[106:107], v[98:99] op_sel:[0,1]
	s_delay_alu instid0(VALU_DEP_1) | instskip(SKIP_1) | instid1(VALU_DEP_1)
	v_pk_fma_f32 v[112:113], v[106:107], v[96:97], v[110:111] op_sel:[0,0,1] op_sel_hi:[1,1,0] neg_lo:[0,0,1] neg_hi:[0,0,1]
	v_pk_fma_f32 v[106:107], v[106:107], v[96:97], v[110:111] op_sel:[0,0,1] op_sel_hi:[1,0,0]
	v_mov_b32_e32 v113, v107
	v_pk_mul_f32 v[106:107], v[108:109], v[98:99] op_sel:[0,1]
	s_delay_alu instid0(VALU_DEP_2) | instskip(NEXT) | instid1(VALU_DEP_2)
	v_pk_add_f32 v[46:47], v[46:47], v[112:113] neg_lo:[0,1] neg_hi:[0,1]
	v_pk_fma_f32 v[110:111], v[108:109], v[96:97], v[106:107] op_sel:[0,0,1] op_sel_hi:[1,1,0] neg_lo:[0,0,1] neg_hi:[0,0,1]
	v_pk_fma_f32 v[106:107], v[108:109], v[96:97], v[106:107] op_sel:[0,0,1] op_sel_hi:[1,0,0]
	s_delay_alu instid0(VALU_DEP_1) | instskip(SKIP_4) | instid1(VALU_DEP_1)
	v_mov_b32_e32 v111, v107
	ds_load_2addr_b64 v[106:109], v100 offset0:32 offset1:33
	v_pk_add_f32 v[38:39], v[38:39], v[110:111] neg_lo:[0,1] neg_hi:[0,1]
	s_wait_dscnt 0x0
	v_pk_mul_f32 v[110:111], v[106:107], v[98:99] op_sel:[0,1]
	v_pk_fma_f32 v[112:113], v[106:107], v[96:97], v[110:111] op_sel:[0,0,1] op_sel_hi:[1,1,0] neg_lo:[0,0,1] neg_hi:[0,0,1]
	v_pk_fma_f32 v[106:107], v[106:107], v[96:97], v[110:111] op_sel:[0,0,1] op_sel_hi:[1,0,0]
	v_dual_mul_f32 v110, v109, v99 :: v_dual_mov_b32 v106, v109
	s_delay_alu instid0(VALU_DEP_2) | instskip(NEXT) | instid1(VALU_DEP_2)
	v_dual_mov_b32 v113, v107 :: v_dual_mov_b32 v107, v108
	v_pk_fma_f32 v[110:111], v[108:109], v[70:71], v[110:111] op_sel_hi:[1,1,0] neg_lo:[0,0,1] neg_hi:[0,0,1]
	v_mul_f32_e32 v108, v109, v96
	s_delay_alu instid0(VALU_DEP_3) | instskip(NEXT) | instid1(VALU_DEP_2)
	v_pk_add_f32 v[30:31], v[30:31], v[112:113] neg_lo:[0,1] neg_hi:[0,1]
	v_pk_fma_f32 v[106:107], v[106:107], v[70:71], v[108:109] op_sel_hi:[1,1,0]
	s_delay_alu instid0(VALU_DEP_1) | instskip(SKIP_4) | instid1(VALU_DEP_1)
	v_mov_b32_e32 v111, v107
	ds_load_2addr_b64 v[106:109], v100 offset0:34 offset1:35
	v_pk_add_f32 v[22:23], v[22:23], v[110:111] neg_lo:[0,1] neg_hi:[0,1]
	s_wait_dscnt 0x0
	v_pk_mul_f32 v[110:111], v[106:107], v[98:99] op_sel:[0,1]
	v_pk_fma_f32 v[112:113], v[106:107], v[96:97], v[110:111] op_sel:[0,0,1] op_sel_hi:[1,1,0] neg_lo:[0,0,1] neg_hi:[0,0,1]
	v_pk_fma_f32 v[106:107], v[106:107], v[96:97], v[110:111] op_sel:[0,0,1] op_sel_hi:[1,0,0]
	s_delay_alu instid0(VALU_DEP_1) | instskip(SKIP_1) | instid1(VALU_DEP_1)
	v_mov_b32_e32 v113, v107
	v_pk_mul_f32 v[106:107], v[108:109], v[98:99] op_sel:[0,1]
	v_pk_fma_f32 v[110:111], v[108:109], v[96:97], v[106:107] op_sel:[0,0,1] op_sel_hi:[1,1,0] neg_lo:[0,0,1] neg_hi:[0,0,1]
	v_pk_fma_f32 v[106:107], v[108:109], v[96:97], v[106:107] op_sel:[0,0,1] op_sel_hi:[1,0,0]
	s_delay_alu instid0(VALU_DEP_1)
	v_mov_b32_e32 v111, v107
	ds_load_2addr_b64 v[106:109], v100 offset0:36 offset1:37
	v_pk_add_f32 v[28:29], v[28:29], v[112:113] neg_lo:[0,1] neg_hi:[0,1]
	v_pk_add_f32 v[20:21], v[20:21], v[110:111] neg_lo:[0,1] neg_hi:[0,1]
	s_wait_dscnt 0x0
	v_pk_mul_f32 v[110:111], v[106:107], v[98:99] op_sel:[0,1]
	s_delay_alu instid0(VALU_DEP_1) | instskip(SKIP_1) | instid1(VALU_DEP_1)
	v_pk_fma_f32 v[112:113], v[106:107], v[96:97], v[110:111] op_sel:[0,0,1] op_sel_hi:[1,1,0] neg_lo:[0,0,1] neg_hi:[0,0,1]
	v_pk_fma_f32 v[106:107], v[106:107], v[96:97], v[110:111] op_sel:[0,0,1] op_sel_hi:[1,0,0]
	v_mov_b32_e32 v113, v107
	v_pk_mul_f32 v[106:107], v[108:109], v[98:99] op_sel:[0,1]
	s_delay_alu instid0(VALU_DEP_1) | instskip(SKIP_1) | instid1(VALU_DEP_1)
	v_pk_fma_f32 v[110:111], v[108:109], v[96:97], v[106:107] op_sel:[0,0,1] op_sel_hi:[1,1,0] neg_lo:[0,0,1] neg_hi:[0,0,1]
	v_pk_fma_f32 v[106:107], v[108:109], v[96:97], v[106:107] op_sel:[0,0,1] op_sel_hi:[1,0,0]
	v_mov_b32_e32 v111, v107
	ds_load_2addr_b64 v[106:109], v100 offset0:38 offset1:39
	v_pk_add_f32 v[14:15], v[14:15], v[112:113] neg_lo:[0,1] neg_hi:[0,1]
	v_pk_add_f32 v[10:11], v[10:11], v[110:111] neg_lo:[0,1] neg_hi:[0,1]
	s_wait_dscnt 0x0
	v_dual_mul_f32 v110, v107, v99 :: v_dual_mul_f32 v112, v107, v96
	s_delay_alu instid0(VALU_DEP_1) | instskip(NEXT) | instid1(VALU_DEP_2)
	v_pk_fma_f32 v[110:111], v[106:107], v[70:71], v[110:111] op_sel_hi:[1,1,0] neg_lo:[0,0,1] neg_hi:[0,0,1]
	v_pk_fma_f32 v[106:107], v[106:107], v[70:71], v[112:113] op_sel:[1,0,0] op_sel_hi:[0,1,0]
	s_delay_alu instid0(VALU_DEP_1) | instskip(SKIP_1) | instid1(VALU_DEP_2)
	v_mov_b32_e32 v111, v107
	v_pk_mul_f32 v[106:107], v[108:109], v[98:99] op_sel:[0,1]
	v_pk_add_f32 v[12:13], v[12:13], v[110:111] neg_lo:[0,1] neg_hi:[0,1]
	s_delay_alu instid0(VALU_DEP_2) | instskip(SKIP_1) | instid1(VALU_DEP_1)
	v_pk_fma_f32 v[110:111], v[108:109], v[96:97], v[106:107] op_sel:[0,0,1] op_sel_hi:[1,1,0] neg_lo:[0,0,1] neg_hi:[0,0,1]
	v_pk_fma_f32 v[106:107], v[108:109], v[96:97], v[106:107] op_sel:[0,0,1] op_sel_hi:[1,0,0]
	v_mov_b32_e32 v111, v107
	ds_load_2addr_b64 v[106:109], v100 offset0:40 offset1:41
	v_pk_add_f32 v[8:9], v[8:9], v[110:111] neg_lo:[0,1] neg_hi:[0,1]
	s_wait_dscnt 0x0
	v_pk_mul_f32 v[110:111], v[106:107], v[98:99] op_sel:[0,1]
	s_delay_alu instid0(VALU_DEP_1) | instskip(SKIP_1) | instid1(VALU_DEP_1)
	v_pk_fma_f32 v[112:113], v[106:107], v[96:97], v[110:111] op_sel:[0,0,1] op_sel_hi:[1,1,0] neg_lo:[0,0,1] neg_hi:[0,0,1]
	v_pk_fma_f32 v[106:107], v[106:107], v[96:97], v[110:111] op_sel:[0,0,1] op_sel_hi:[1,0,0]
	v_mov_b32_e32 v113, v107
	v_pk_mul_f32 v[106:107], v[108:109], v[98:99] op_sel:[0,1]
	s_delay_alu instid0(VALU_DEP_2) | instskip(NEXT) | instid1(VALU_DEP_2)
	v_pk_add_f32 v[6:7], v[6:7], v[112:113] neg_lo:[0,1] neg_hi:[0,1]
	v_pk_fma_f32 v[110:111], v[108:109], v[96:97], v[106:107] op_sel:[0,0,1] op_sel_hi:[1,1,0] neg_lo:[0,0,1] neg_hi:[0,0,1]
	v_pk_fma_f32 v[106:107], v[108:109], v[96:97], v[106:107] op_sel:[0,0,1] op_sel_hi:[1,0,0]
	s_delay_alu instid0(VALU_DEP_1) | instskip(SKIP_4) | instid1(VALU_DEP_1)
	v_mov_b32_e32 v111, v107
	ds_load_2addr_b64 v[106:109], v100 offset0:42 offset1:43
	v_pk_add_f32 v[36:37], v[36:37], v[110:111] neg_lo:[0,1] neg_hi:[0,1]
	s_wait_dscnt 0x0
	v_pk_mul_f32 v[110:111], v[106:107], v[98:99] op_sel:[0,1]
	v_pk_fma_f32 v[112:113], v[106:107], v[96:97], v[110:111] op_sel:[0,0,1] op_sel_hi:[1,1,0] neg_lo:[0,0,1] neg_hi:[0,0,1]
	v_pk_fma_f32 v[106:107], v[106:107], v[96:97], v[110:111] op_sel:[0,0,1] op_sel_hi:[1,0,0]
	v_dual_mul_f32 v110, v109, v99 :: v_dual_mov_b32 v106, v109
	s_delay_alu instid0(VALU_DEP_2) | instskip(NEXT) | instid1(VALU_DEP_2)
	v_dual_mov_b32 v113, v107 :: v_dual_mov_b32 v107, v108
	v_pk_fma_f32 v[110:111], v[108:109], v[70:71], v[110:111] op_sel_hi:[1,1,0] neg_lo:[0,0,1] neg_hi:[0,0,1]
	v_mul_f32_e32 v108, v109, v96
	s_delay_alu instid0(VALU_DEP_3) | instskip(NEXT) | instid1(VALU_DEP_2)
	v_pk_add_f32 v[18:19], v[18:19], v[112:113] neg_lo:[0,1] neg_hi:[0,1]
	v_pk_fma_f32 v[106:107], v[106:107], v[70:71], v[108:109] op_sel_hi:[1,1,0]
	s_delay_alu instid0(VALU_DEP_1) | instskip(SKIP_4) | instid1(VALU_DEP_1)
	v_mov_b32_e32 v111, v107
	ds_load_b64 v[106:107], v100 offset:352
	v_pk_add_f32 v[16:17], v[16:17], v[110:111] neg_lo:[0,1] neg_hi:[0,1]
	s_wait_dscnt 0x0
	v_pk_mul_f32 v[98:99], v[106:107], v[98:99] op_sel:[0,1]
	v_pk_fma_f32 v[108:109], v[106:107], v[96:97], v[98:99] op_sel:[0,0,1] op_sel_hi:[1,1,0] neg_lo:[0,0,1] neg_hi:[0,0,1]
	v_pk_fma_f32 v[96:97], v[106:107], v[96:97], v[98:99] op_sel:[0,0,1] op_sel_hi:[1,0,0]
	s_delay_alu instid0(VALU_DEP_1) | instskip(NEXT) | instid1(VALU_DEP_1)
	v_mov_b32_e32 v109, v97
	v_pk_add_f32 v[94:95], v[94:95], v[108:109] neg_lo:[0,1] neg_hi:[0,1]
.LBB88_419:
	s_or_b32 exec_lo, exec_lo, s0
	v_lshl_add_u32 v96, v104, 3, v100
	s_barrier_signal -1
	s_barrier_wait -1
	ds_store_b64 v96, v[68:69]
	s_wait_dscnt 0x0
	s_barrier_signal -1
	s_barrier_wait -1
	ds_load_b64 v[98:99], v100 offset:160
	v_mov_b32_e32 v96, 20
	s_cmp_lt_i32 s18, 22
	s_cbranch_scc1 .LBB88_422
; %bb.420:
	v_add3_u32 v97, v101, 0, 0xa8
	v_mov_b32_e32 v96, 20
	s_mov_b32 s0, 21
.LBB88_421:                             ; =>This Inner Loop Header: Depth=1
	ds_load_b64 v[106:107], v97
	s_wait_dscnt 0x1
	v_cmp_gt_f32_e32 vcc_lo, 0, v98
	v_cndmask_b32_e64 v108, v98, -v98, vcc_lo
	v_cmp_gt_f32_e32 vcc_lo, 0, v99
	v_cndmask_b32_e64 v110, v99, -v99, vcc_lo
	s_wait_dscnt 0x0
	v_cmp_gt_f32_e32 vcc_lo, 0, v106
	v_cndmask_b32_e64 v109, v106, -v106, vcc_lo
	v_cmp_gt_f32_e32 vcc_lo, 0, v107
	v_cndmask_b32_e64 v111, v107, -v107, vcc_lo
	s_delay_alu instid0(VALU_DEP_1) | instskip(NEXT) | instid1(VALU_DEP_1)
	v_pk_add_f32 v[108:109], v[108:109], v[110:111]
	v_cmp_lt_f32_e32 vcc_lo, v108, v109
	v_dual_add_nc_u32 v97, 8, v97 :: v_dual_cndmask_b32 v99, v99, v107, vcc_lo
	v_cndmask_b32_e32 v98, v98, v106, vcc_lo
	v_cndmask_b32_e64 v96, v96, s0, vcc_lo
	s_add_co_i32 s0, s0, 1
	s_delay_alu instid0(SALU_CYCLE_1)
	s_cmp_lg_u32 s18, s0
	s_cbranch_scc1 .LBB88_421
.LBB88_422:
	s_wait_dscnt 0x0
	v_cmp_eq_f32_e32 vcc_lo, 0, v98
	v_cmp_eq_f32_e64 s0, 0, v99
	s_and_b32 s0, vcc_lo, s0
	s_delay_alu instid0(SALU_CYCLE_1) | instskip(NEXT) | instid1(SALU_CYCLE_1)
	s_and_saveexec_b32 s1, s0
	s_xor_b32 s0, exec_lo, s1
; %bb.423:
	v_cmp_ne_u32_e32 vcc_lo, 0, v102
	v_cndmask_b32_e32 v102, 21, v102, vcc_lo
; %bb.424:
	s_and_not1_saveexec_b32 s0, s0
	s_cbranch_execz .LBB88_430
; %bb.425:
	v_cmp_ngt_f32_e64 s1, |v98|, |v99|
	s_and_saveexec_b32 s12, s1
	s_delay_alu instid0(SALU_CYCLE_1)
	s_xor_b32 s1, exec_lo, s12
	s_cbranch_execz .LBB88_427
; %bb.426:
	v_div_scale_f32 v97, null, v99, v99, v98
	v_div_scale_f32 v107, vcc_lo, v98, v99, v98
	s_delay_alu instid0(VALU_DEP_2) | instskip(SKIP_1) | instid1(TRANS32_DEP_1)
	v_rcp_f32_e32 v105, v97
	v_nop
	v_fma_f32 v106, -v97, v105, 1.0
	s_delay_alu instid0(VALU_DEP_1) | instskip(NEXT) | instid1(VALU_DEP_1)
	v_fmac_f32_e32 v105, v106, v105
	v_mul_f32_e32 v106, v107, v105
	s_delay_alu instid0(VALU_DEP_1) | instskip(NEXT) | instid1(VALU_DEP_1)
	v_fma_f32 v108, -v97, v106, v107
	v_fmac_f32_e32 v106, v108, v105
	s_delay_alu instid0(VALU_DEP_1) | instskip(NEXT) | instid1(VALU_DEP_1)
	v_fma_f32 v97, -v97, v106, v107
	v_div_fmas_f32 v97, v97, v105, v106
	s_delay_alu instid0(VALU_DEP_1) | instskip(NEXT) | instid1(VALU_DEP_1)
	v_div_fixup_f32 v97, v97, v99, v98
	v_fmac_f32_e32 v99, v98, v97
	s_delay_alu instid0(VALU_DEP_1) | instskip(SKIP_1) | instid1(VALU_DEP_2)
	v_div_scale_f32 v98, null, v99, v99, 1.0
	v_div_scale_f32 v107, vcc_lo, 1.0, v99, 1.0
	v_rcp_f32_e32 v105, v98
	v_nop
	s_delay_alu instid0(TRANS32_DEP_1) | instskip(NEXT) | instid1(VALU_DEP_1)
	v_fma_f32 v106, -v98, v105, 1.0
	v_fmac_f32_e32 v105, v106, v105
	s_delay_alu instid0(VALU_DEP_1) | instskip(NEXT) | instid1(VALU_DEP_1)
	v_mul_f32_e32 v106, v107, v105
	v_fma_f32 v108, -v98, v106, v107
	s_delay_alu instid0(VALU_DEP_1) | instskip(NEXT) | instid1(VALU_DEP_1)
	v_fmac_f32_e32 v106, v108, v105
	v_fma_f32 v98, -v98, v106, v107
	s_delay_alu instid0(VALU_DEP_1) | instskip(NEXT) | instid1(VALU_DEP_1)
	v_div_fmas_f32 v98, v98, v105, v106
	v_div_fixup_f32 v99, v98, v99, 1.0
	s_delay_alu instid0(VALU_DEP_1)
	v_mul_f32_e32 v98, v97, v99
	v_xor_b32_e32 v99, 0x80000000, v99
.LBB88_427:
	s_and_not1_saveexec_b32 s1, s1
	s_cbranch_execz .LBB88_429
; %bb.428:
	s_delay_alu instid0(VALU_DEP_1) | instskip(SKIP_1) | instid1(VALU_DEP_2)
	v_div_scale_f32 v97, null, v98, v98, v99
	v_div_scale_f32 v107, vcc_lo, v99, v98, v99
	v_rcp_f32_e32 v105, v97
	v_nop
	s_delay_alu instid0(TRANS32_DEP_1) | instskip(NEXT) | instid1(VALU_DEP_1)
	v_fma_f32 v106, -v97, v105, 1.0
	v_fmac_f32_e32 v105, v106, v105
	s_delay_alu instid0(VALU_DEP_1) | instskip(NEXT) | instid1(VALU_DEP_1)
	v_mul_f32_e32 v106, v107, v105
	v_fma_f32 v108, -v97, v106, v107
	s_delay_alu instid0(VALU_DEP_1) | instskip(NEXT) | instid1(VALU_DEP_1)
	v_fmac_f32_e32 v106, v108, v105
	v_fma_f32 v97, -v97, v106, v107
	s_delay_alu instid0(VALU_DEP_1) | instskip(NEXT) | instid1(VALU_DEP_1)
	v_div_fmas_f32 v97, v97, v105, v106
	v_div_fixup_f32 v97, v97, v98, v99
	s_delay_alu instid0(VALU_DEP_1) | instskip(NEXT) | instid1(VALU_DEP_1)
	v_fmac_f32_e32 v98, v99, v97
	v_div_scale_f32 v99, null, v98, v98, 1.0
	s_delay_alu instid0(VALU_DEP_1) | instskip(SKIP_1) | instid1(TRANS32_DEP_1)
	v_rcp_f32_e32 v105, v99
	v_nop
	v_fma_f32 v106, -v99, v105, 1.0
	s_delay_alu instid0(VALU_DEP_1) | instskip(SKIP_1) | instid1(VALU_DEP_1)
	v_fmac_f32_e32 v105, v106, v105
	v_div_scale_f32 v106, vcc_lo, 1.0, v98, 1.0
	v_mul_f32_e32 v107, v106, v105
	s_delay_alu instid0(VALU_DEP_1) | instskip(NEXT) | instid1(VALU_DEP_1)
	v_fma_f32 v108, -v99, v107, v106
	v_fmac_f32_e32 v107, v108, v105
	s_delay_alu instid0(VALU_DEP_1) | instskip(NEXT) | instid1(VALU_DEP_1)
	v_fma_f32 v99, -v99, v107, v106
	v_div_fmas_f32 v99, v99, v105, v107
	s_delay_alu instid0(VALU_DEP_1) | instskip(NEXT) | instid1(VALU_DEP_1)
	v_div_fixup_f32 v98, v99, v98, 1.0
	v_mul_f32_e64 v99, v97, -v98
.LBB88_429:
	s_or_b32 exec_lo, exec_lo, s1
.LBB88_430:
	s_delay_alu instid0(SALU_CYCLE_1) | instskip(NEXT) | instid1(SALU_CYCLE_1)
	s_or_b32 exec_lo, exec_lo, s0
	s_mov_b32 s0, exec_lo
	v_cmpx_ne_u32_e64 v104, v96
	s_xor_b32 s0, exec_lo, s0
	s_cbranch_execz .LBB88_436
; %bb.431:
	s_mov_b32 s1, exec_lo
	v_cmpx_eq_u32_e32 20, v104
	s_cbranch_execz .LBB88_435
; %bb.432:
	v_cmp_ne_u32_e32 vcc_lo, 20, v96
	s_xor_b32 s12, s16, -1
	s_delay_alu instid0(SALU_CYCLE_1) | instskip(NEXT) | instid1(SALU_CYCLE_1)
	s_and_b32 s13, s12, vcc_lo
	s_and_saveexec_b32 s12, s13
	s_cbranch_execz .LBB88_434
; %bb.433:
	v_ashrrev_i32_e32 v97, 31, v96
	s_delay_alu instid0(VALU_DEP_1)
	v_lshl_add_u64 v[104:105], v[96:97], 2, v[4:5]
	s_clause 0x1
	global_load_b32 v97, v[104:105], off
	global_load_b32 v103, v[4:5], off offset:80
	s_wait_loadcnt 0x1
	global_store_b32 v[4:5], v97, off offset:80
	s_wait_loadcnt 0x0
	global_store_b32 v[104:105], v103, off
.LBB88_434:
	s_wait_xcnt 0x0
	s_or_b32 exec_lo, exec_lo, s12
	v_dual_mov_b32 v104, v96 :: v_dual_mov_b32 v103, v96
.LBB88_435:
	s_or_b32 exec_lo, exec_lo, s1
.LBB88_436:
	s_and_not1_saveexec_b32 s0, s0
	s_cbranch_execz .LBB88_438
; %bb.437:
	v_mov_b32_e32 v104, 20
	ds_store_2addr_b64 v100, v[64:65], v[66:67] offset0:21 offset1:22
	ds_store_2addr_b64 v100, v[62:63], v[60:61] offset0:23 offset1:24
	;; [unrolled: 1-line block ×12, first 2 shown]
.LBB88_438:
	s_or_b32 exec_lo, exec_lo, s0
	s_delay_alu instid0(SALU_CYCLE_1)
	s_mov_b32 s0, exec_lo
	s_wait_storecnt_dscnt 0x0
	s_barrier_signal -1
	s_barrier_wait -1
	v_cmpx_lt_i32_e32 20, v104
	s_cbranch_execz .LBB88_440
; %bb.439:
	v_pk_mul_f32 v[106:107], v[98:99], v[68:69] op_sel:[1,1] op_sel_hi:[0,1]
	s_delay_alu instid0(VALU_DEP_1)
	v_pk_fma_f32 v[96:97], v[98:99], v[68:69], v[106:107] op_sel_hi:[1,0,1] neg_lo:[0,0,1] neg_hi:[0,0,1]
	v_pk_fma_f32 v[98:99], v[98:99], v[68:69], v[106:107] op_sel_hi:[1,0,1]
	ds_load_2addr_b64 v[106:109], v100 offset0:21 offset1:22
	v_dual_mov_b32 v68, v96 :: v_dual_mov_b32 v69, v99
	s_wait_dscnt 0x0
	v_pk_mul_f32 v[110:111], v[106:107], v[98:99] op_sel:[0,1]
	s_delay_alu instid0(VALU_DEP_1) | instskip(SKIP_1) | instid1(VALU_DEP_1)
	v_pk_fma_f32 v[112:113], v[106:107], v[96:97], v[110:111] op_sel:[0,0,1] op_sel_hi:[1,1,0] neg_lo:[0,0,1] neg_hi:[0,0,1]
	v_pk_fma_f32 v[106:107], v[106:107], v[96:97], v[110:111] op_sel:[0,0,1] op_sel_hi:[1,0,0]
	v_mov_b32_e32 v113, v107
	v_pk_mul_f32 v[106:107], v[108:109], v[98:99] op_sel:[0,1]
	s_delay_alu instid0(VALU_DEP_1) | instskip(SKIP_1) | instid1(VALU_DEP_1)
	v_pk_fma_f32 v[110:111], v[108:109], v[96:97], v[106:107] op_sel:[0,0,1] op_sel_hi:[1,1,0] neg_lo:[0,0,1] neg_hi:[0,0,1]
	v_pk_fma_f32 v[106:107], v[108:109], v[96:97], v[106:107] op_sel:[0,0,1] op_sel_hi:[1,0,0]
	v_mov_b32_e32 v111, v107
	ds_load_2addr_b64 v[106:109], v100 offset0:23 offset1:24
	v_pk_add_f32 v[64:65], v[64:65], v[112:113] neg_lo:[0,1] neg_hi:[0,1]
	v_pk_add_f32 v[66:67], v[66:67], v[110:111] neg_lo:[0,1] neg_hi:[0,1]
	s_wait_dscnt 0x0
	v_pk_mul_f32 v[110:111], v[106:107], v[98:99] op_sel:[0,1]
	s_delay_alu instid0(VALU_DEP_1) | instskip(SKIP_2) | instid1(VALU_DEP_2)
	v_pk_fma_f32 v[112:113], v[106:107], v[96:97], v[110:111] op_sel:[0,0,1] op_sel_hi:[1,1,0] neg_lo:[0,0,1] neg_hi:[0,0,1]
	v_pk_fma_f32 v[106:107], v[106:107], v[96:97], v[110:111] op_sel:[0,0,1] op_sel_hi:[1,0,0]
	v_dual_mul_f32 v110, v109, v99 :: v_dual_mov_b32 v106, v109
	v_dual_mov_b32 v113, v107 :: v_dual_mov_b32 v107, v108
	s_delay_alu instid0(VALU_DEP_2) | instskip(SKIP_1) | instid1(VALU_DEP_3)
	v_pk_fma_f32 v[110:111], v[108:109], v[68:69], v[110:111] op_sel_hi:[1,1,0] neg_lo:[0,0,1] neg_hi:[0,0,1]
	v_mul_f32_e32 v108, v109, v96
	v_pk_add_f32 v[62:63], v[62:63], v[112:113] neg_lo:[0,1] neg_hi:[0,1]
	s_delay_alu instid0(VALU_DEP_2) | instskip(NEXT) | instid1(VALU_DEP_1)
	v_pk_fma_f32 v[106:107], v[106:107], v[68:69], v[108:109] op_sel_hi:[1,1,0]
	v_mov_b32_e32 v111, v107
	ds_load_2addr_b64 v[106:109], v100 offset0:25 offset1:26
	v_pk_add_f32 v[60:61], v[60:61], v[110:111] neg_lo:[0,1] neg_hi:[0,1]
	s_wait_dscnt 0x0
	v_pk_mul_f32 v[110:111], v[106:107], v[98:99] op_sel:[0,1]
	s_delay_alu instid0(VALU_DEP_1) | instskip(SKIP_1) | instid1(VALU_DEP_1)
	v_pk_fma_f32 v[112:113], v[106:107], v[96:97], v[110:111] op_sel:[0,0,1] op_sel_hi:[1,1,0] neg_lo:[0,0,1] neg_hi:[0,0,1]
	v_pk_fma_f32 v[106:107], v[106:107], v[96:97], v[110:111] op_sel:[0,0,1] op_sel_hi:[1,0,0]
	v_mov_b32_e32 v113, v107
	v_pk_mul_f32 v[106:107], v[108:109], v[98:99] op_sel:[0,1]
	s_delay_alu instid0(VALU_DEP_1) | instskip(SKIP_1) | instid1(VALU_DEP_1)
	v_pk_fma_f32 v[110:111], v[108:109], v[96:97], v[106:107] op_sel:[0,0,1] op_sel_hi:[1,1,0] neg_lo:[0,0,1] neg_hi:[0,0,1]
	v_pk_fma_f32 v[106:107], v[108:109], v[96:97], v[106:107] op_sel:[0,0,1] op_sel_hi:[1,0,0]
	v_mov_b32_e32 v111, v107
	ds_load_2addr_b64 v[106:109], v100 offset0:27 offset1:28
	v_pk_add_f32 v[56:57], v[56:57], v[112:113] neg_lo:[0,1] neg_hi:[0,1]
	v_pk_add_f32 v[58:59], v[58:59], v[110:111] neg_lo:[0,1] neg_hi:[0,1]
	s_wait_dscnt 0x0
	v_pk_mul_f32 v[110:111], v[106:107], v[98:99] op_sel:[0,1]
	s_delay_alu instid0(VALU_DEP_1) | instskip(SKIP_1) | instid1(VALU_DEP_1)
	v_pk_fma_f32 v[112:113], v[106:107], v[96:97], v[110:111] op_sel:[0,0,1] op_sel_hi:[1,1,0] neg_lo:[0,0,1] neg_hi:[0,0,1]
	v_pk_fma_f32 v[106:107], v[106:107], v[96:97], v[110:111] op_sel:[0,0,1] op_sel_hi:[1,0,0]
	v_mov_b32_e32 v113, v107
	v_pk_mul_f32 v[106:107], v[108:109], v[98:99] op_sel:[0,1]
	s_delay_alu instid0(VALU_DEP_1) | instskip(SKIP_1) | instid1(VALU_DEP_1)
	v_pk_fma_f32 v[110:111], v[108:109], v[96:97], v[106:107] op_sel:[0,0,1] op_sel_hi:[1,1,0] neg_lo:[0,0,1] neg_hi:[0,0,1]
	v_pk_fma_f32 v[106:107], v[108:109], v[96:97], v[106:107] op_sel:[0,0,1] op_sel_hi:[1,0,0]
	v_mov_b32_e32 v111, v107
	ds_load_2addr_b64 v[106:109], v100 offset0:29 offset1:30
	v_pk_add_f32 v[54:55], v[54:55], v[112:113] neg_lo:[0,1] neg_hi:[0,1]
	v_pk_add_f32 v[48:49], v[48:49], v[110:111] neg_lo:[0,1] neg_hi:[0,1]
	s_wait_dscnt 0x0
	v_dual_mul_f32 v110, v107, v99 :: v_dual_mul_f32 v112, v107, v96
	s_delay_alu instid0(VALU_DEP_1) | instskip(NEXT) | instid1(VALU_DEP_2)
	v_pk_fma_f32 v[110:111], v[106:107], v[68:69], v[110:111] op_sel_hi:[1,1,0] neg_lo:[0,0,1] neg_hi:[0,0,1]
	v_pk_fma_f32 v[106:107], v[106:107], v[68:69], v[112:113] op_sel:[1,0,0] op_sel_hi:[0,1,0]
	s_delay_alu instid0(VALU_DEP_1) | instskip(SKIP_1) | instid1(VALU_DEP_2)
	v_mov_b32_e32 v111, v107
	v_pk_mul_f32 v[106:107], v[108:109], v[98:99] op_sel:[0,1]
	v_pk_add_f32 v[40:41], v[40:41], v[110:111] neg_lo:[0,1] neg_hi:[0,1]
	s_delay_alu instid0(VALU_DEP_2) | instskip(SKIP_1) | instid1(VALU_DEP_1)
	v_pk_fma_f32 v[110:111], v[108:109], v[96:97], v[106:107] op_sel:[0,0,1] op_sel_hi:[1,1,0] neg_lo:[0,0,1] neg_hi:[0,0,1]
	v_pk_fma_f32 v[106:107], v[108:109], v[96:97], v[106:107] op_sel:[0,0,1] op_sel_hi:[1,0,0]
	v_mov_b32_e32 v111, v107
	ds_load_2addr_b64 v[106:109], v100 offset0:31 offset1:32
	v_pk_add_f32 v[46:47], v[46:47], v[110:111] neg_lo:[0,1] neg_hi:[0,1]
	s_wait_dscnt 0x0
	v_pk_mul_f32 v[110:111], v[106:107], v[98:99] op_sel:[0,1]
	s_delay_alu instid0(VALU_DEP_1) | instskip(SKIP_1) | instid1(VALU_DEP_1)
	v_pk_fma_f32 v[112:113], v[106:107], v[96:97], v[110:111] op_sel:[0,0,1] op_sel_hi:[1,1,0] neg_lo:[0,0,1] neg_hi:[0,0,1]
	v_pk_fma_f32 v[106:107], v[106:107], v[96:97], v[110:111] op_sel:[0,0,1] op_sel_hi:[1,0,0]
	v_mov_b32_e32 v113, v107
	v_pk_mul_f32 v[106:107], v[108:109], v[98:99] op_sel:[0,1]
	s_delay_alu instid0(VALU_DEP_2) | instskip(NEXT) | instid1(VALU_DEP_2)
	v_pk_add_f32 v[38:39], v[38:39], v[112:113] neg_lo:[0,1] neg_hi:[0,1]
	v_pk_fma_f32 v[110:111], v[108:109], v[96:97], v[106:107] op_sel:[0,0,1] op_sel_hi:[1,1,0] neg_lo:[0,0,1] neg_hi:[0,0,1]
	v_pk_fma_f32 v[106:107], v[108:109], v[96:97], v[106:107] op_sel:[0,0,1] op_sel_hi:[1,0,0]
	s_delay_alu instid0(VALU_DEP_1) | instskip(SKIP_4) | instid1(VALU_DEP_1)
	v_mov_b32_e32 v111, v107
	ds_load_2addr_b64 v[106:109], v100 offset0:33 offset1:34
	v_pk_add_f32 v[30:31], v[30:31], v[110:111] neg_lo:[0,1] neg_hi:[0,1]
	s_wait_dscnt 0x0
	v_pk_mul_f32 v[110:111], v[106:107], v[98:99] op_sel:[0,1]
	v_pk_fma_f32 v[112:113], v[106:107], v[96:97], v[110:111] op_sel:[0,0,1] op_sel_hi:[1,1,0] neg_lo:[0,0,1] neg_hi:[0,0,1]
	v_pk_fma_f32 v[106:107], v[106:107], v[96:97], v[110:111] op_sel:[0,0,1] op_sel_hi:[1,0,0]
	v_dual_mul_f32 v110, v109, v99 :: v_dual_mov_b32 v106, v109
	s_delay_alu instid0(VALU_DEP_2) | instskip(NEXT) | instid1(VALU_DEP_2)
	v_dual_mov_b32 v113, v107 :: v_dual_mov_b32 v107, v108
	v_pk_fma_f32 v[110:111], v[108:109], v[68:69], v[110:111] op_sel_hi:[1,1,0] neg_lo:[0,0,1] neg_hi:[0,0,1]
	v_mul_f32_e32 v108, v109, v96
	s_delay_alu instid0(VALU_DEP_3) | instskip(NEXT) | instid1(VALU_DEP_2)
	v_pk_add_f32 v[22:23], v[22:23], v[112:113] neg_lo:[0,1] neg_hi:[0,1]
	v_pk_fma_f32 v[106:107], v[106:107], v[68:69], v[108:109] op_sel_hi:[1,1,0]
	s_delay_alu instid0(VALU_DEP_1) | instskip(SKIP_4) | instid1(VALU_DEP_1)
	v_mov_b32_e32 v111, v107
	ds_load_2addr_b64 v[106:109], v100 offset0:35 offset1:36
	v_pk_add_f32 v[28:29], v[28:29], v[110:111] neg_lo:[0,1] neg_hi:[0,1]
	s_wait_dscnt 0x0
	v_pk_mul_f32 v[110:111], v[106:107], v[98:99] op_sel:[0,1]
	v_pk_fma_f32 v[112:113], v[106:107], v[96:97], v[110:111] op_sel:[0,0,1] op_sel_hi:[1,1,0] neg_lo:[0,0,1] neg_hi:[0,0,1]
	v_pk_fma_f32 v[106:107], v[106:107], v[96:97], v[110:111] op_sel:[0,0,1] op_sel_hi:[1,0,0]
	s_delay_alu instid0(VALU_DEP_1) | instskip(SKIP_1) | instid1(VALU_DEP_1)
	v_mov_b32_e32 v113, v107
	v_pk_mul_f32 v[106:107], v[108:109], v[98:99] op_sel:[0,1]
	v_pk_fma_f32 v[110:111], v[108:109], v[96:97], v[106:107] op_sel:[0,0,1] op_sel_hi:[1,1,0] neg_lo:[0,0,1] neg_hi:[0,0,1]
	v_pk_fma_f32 v[106:107], v[108:109], v[96:97], v[106:107] op_sel:[0,0,1] op_sel_hi:[1,0,0]
	s_delay_alu instid0(VALU_DEP_1)
	v_mov_b32_e32 v111, v107
	ds_load_2addr_b64 v[106:109], v100 offset0:37 offset1:38
	v_pk_add_f32 v[20:21], v[20:21], v[112:113] neg_lo:[0,1] neg_hi:[0,1]
	v_pk_add_f32 v[14:15], v[14:15], v[110:111] neg_lo:[0,1] neg_hi:[0,1]
	s_wait_dscnt 0x0
	v_pk_mul_f32 v[110:111], v[106:107], v[98:99] op_sel:[0,1]
	s_delay_alu instid0(VALU_DEP_1) | instskip(SKIP_1) | instid1(VALU_DEP_1)
	v_pk_fma_f32 v[112:113], v[106:107], v[96:97], v[110:111] op_sel:[0,0,1] op_sel_hi:[1,1,0] neg_lo:[0,0,1] neg_hi:[0,0,1]
	v_pk_fma_f32 v[106:107], v[106:107], v[96:97], v[110:111] op_sel:[0,0,1] op_sel_hi:[1,0,0]
	v_mov_b32_e32 v113, v107
	v_pk_mul_f32 v[106:107], v[108:109], v[98:99] op_sel:[0,1]
	s_delay_alu instid0(VALU_DEP_1) | instskip(SKIP_1) | instid1(VALU_DEP_1)
	v_pk_fma_f32 v[110:111], v[108:109], v[96:97], v[106:107] op_sel:[0,0,1] op_sel_hi:[1,1,0] neg_lo:[0,0,1] neg_hi:[0,0,1]
	v_pk_fma_f32 v[106:107], v[108:109], v[96:97], v[106:107] op_sel:[0,0,1] op_sel_hi:[1,0,0]
	v_mov_b32_e32 v111, v107
	ds_load_2addr_b64 v[106:109], v100 offset0:39 offset1:40
	v_pk_add_f32 v[10:11], v[10:11], v[112:113] neg_lo:[0,1] neg_hi:[0,1]
	v_pk_add_f32 v[12:13], v[12:13], v[110:111] neg_lo:[0,1] neg_hi:[0,1]
	s_wait_dscnt 0x0
	v_dual_mul_f32 v110, v107, v99 :: v_dual_mul_f32 v112, v107, v96
	s_delay_alu instid0(VALU_DEP_1) | instskip(NEXT) | instid1(VALU_DEP_2)
	v_pk_fma_f32 v[110:111], v[106:107], v[68:69], v[110:111] op_sel_hi:[1,1,0] neg_lo:[0,0,1] neg_hi:[0,0,1]
	v_pk_fma_f32 v[106:107], v[106:107], v[68:69], v[112:113] op_sel:[1,0,0] op_sel_hi:[0,1,0]
	s_delay_alu instid0(VALU_DEP_1) | instskip(SKIP_1) | instid1(VALU_DEP_2)
	v_mov_b32_e32 v111, v107
	v_pk_mul_f32 v[106:107], v[108:109], v[98:99] op_sel:[0,1]
	v_pk_add_f32 v[8:9], v[8:9], v[110:111] neg_lo:[0,1] neg_hi:[0,1]
	s_delay_alu instid0(VALU_DEP_2) | instskip(SKIP_1) | instid1(VALU_DEP_1)
	v_pk_fma_f32 v[110:111], v[108:109], v[96:97], v[106:107] op_sel:[0,0,1] op_sel_hi:[1,1,0] neg_lo:[0,0,1] neg_hi:[0,0,1]
	v_pk_fma_f32 v[106:107], v[108:109], v[96:97], v[106:107] op_sel:[0,0,1] op_sel_hi:[1,0,0]
	v_mov_b32_e32 v111, v107
	ds_load_2addr_b64 v[106:109], v100 offset0:41 offset1:42
	v_pk_add_f32 v[6:7], v[6:7], v[110:111] neg_lo:[0,1] neg_hi:[0,1]
	s_wait_dscnt 0x0
	v_pk_mul_f32 v[110:111], v[106:107], v[98:99] op_sel:[0,1]
	s_delay_alu instid0(VALU_DEP_1) | instskip(SKIP_1) | instid1(VALU_DEP_1)
	v_pk_fma_f32 v[112:113], v[106:107], v[96:97], v[110:111] op_sel:[0,0,1] op_sel_hi:[1,1,0] neg_lo:[0,0,1] neg_hi:[0,0,1]
	v_pk_fma_f32 v[106:107], v[106:107], v[96:97], v[110:111] op_sel:[0,0,1] op_sel_hi:[1,0,0]
	v_mov_b32_e32 v113, v107
	v_pk_mul_f32 v[106:107], v[108:109], v[98:99] op_sel:[0,1]
	s_delay_alu instid0(VALU_DEP_2) | instskip(NEXT) | instid1(VALU_DEP_2)
	v_pk_add_f32 v[36:37], v[36:37], v[112:113] neg_lo:[0,1] neg_hi:[0,1]
	v_pk_fma_f32 v[110:111], v[108:109], v[96:97], v[106:107] op_sel:[0,0,1] op_sel_hi:[1,1,0] neg_lo:[0,0,1] neg_hi:[0,0,1]
	v_pk_fma_f32 v[106:107], v[108:109], v[96:97], v[106:107] op_sel:[0,0,1] op_sel_hi:[1,0,0]
	s_delay_alu instid0(VALU_DEP_1)
	v_mov_b32_e32 v111, v107
	ds_load_2addr_b64 v[106:109], v100 offset0:43 offset1:44
	v_pk_add_f32 v[18:19], v[18:19], v[110:111] neg_lo:[0,1] neg_hi:[0,1]
	s_wait_dscnt 0x0
	v_pk_mul_f32 v[110:111], v[106:107], v[98:99] op_sel:[0,1]
	v_mul_f32_e32 v98, v109, v99
	s_delay_alu instid0(VALU_DEP_2) | instskip(SKIP_2) | instid1(VALU_DEP_4)
	v_pk_fma_f32 v[112:113], v[106:107], v[96:97], v[110:111] op_sel:[0,0,1] op_sel_hi:[1,1,0] neg_lo:[0,0,1] neg_hi:[0,0,1]
	v_pk_fma_f32 v[106:107], v[106:107], v[96:97], v[110:111] op_sel:[0,0,1] op_sel_hi:[1,0,0]
	v_dual_mov_b32 v106, v109 :: v_dual_mul_f32 v96, v109, v96
	v_pk_fma_f32 v[98:99], v[108:109], v[68:69], v[98:99] op_sel_hi:[1,1,0] neg_lo:[0,0,1] neg_hi:[0,0,1]
	s_delay_alu instid0(VALU_DEP_3) | instskip(NEXT) | instid1(VALU_DEP_1)
	v_dual_mov_b32 v113, v107 :: v_dual_mov_b32 v107, v108
	v_pk_add_f32 v[16:17], v[16:17], v[112:113] neg_lo:[0,1] neg_hi:[0,1]
	s_delay_alu instid0(VALU_DEP_2) | instskip(NEXT) | instid1(VALU_DEP_1)
	v_pk_fma_f32 v[96:97], v[106:107], v[68:69], v[96:97] op_sel_hi:[1,1,0]
	v_mov_b32_e32 v99, v97
	s_delay_alu instid0(VALU_DEP_1)
	v_pk_add_f32 v[94:95], v[94:95], v[98:99] neg_lo:[0,1] neg_hi:[0,1]
.LBB88_440:
	s_or_b32 exec_lo, exec_lo, s0
	v_lshl_add_u32 v96, v104, 3, v100
	s_barrier_signal -1
	s_barrier_wait -1
	ds_store_b64 v96, v[64:65]
	s_wait_dscnt 0x0
	s_barrier_signal -1
	s_barrier_wait -1
	ds_load_b64 v[98:99], v100 offset:168
	v_mov_b32_e32 v96, 21
	s_cmp_lt_i32 s18, 23
	s_cbranch_scc1 .LBB88_443
; %bb.441:
	v_add3_u32 v97, v101, 0, 0xb0
	v_mov_b32_e32 v96, 21
	s_mov_b32 s0, 22
.LBB88_442:                             ; =>This Inner Loop Header: Depth=1
	ds_load_b64 v[106:107], v97
	s_wait_dscnt 0x1
	v_cmp_gt_f32_e32 vcc_lo, 0, v98
	v_cndmask_b32_e64 v108, v98, -v98, vcc_lo
	v_cmp_gt_f32_e32 vcc_lo, 0, v99
	v_cndmask_b32_e64 v110, v99, -v99, vcc_lo
	s_wait_dscnt 0x0
	v_cmp_gt_f32_e32 vcc_lo, 0, v106
	v_cndmask_b32_e64 v109, v106, -v106, vcc_lo
	v_cmp_gt_f32_e32 vcc_lo, 0, v107
	v_cndmask_b32_e64 v111, v107, -v107, vcc_lo
	s_delay_alu instid0(VALU_DEP_1) | instskip(NEXT) | instid1(VALU_DEP_1)
	v_pk_add_f32 v[108:109], v[108:109], v[110:111]
	v_cmp_lt_f32_e32 vcc_lo, v108, v109
	v_dual_add_nc_u32 v97, 8, v97 :: v_dual_cndmask_b32 v99, v99, v107, vcc_lo
	v_cndmask_b32_e32 v98, v98, v106, vcc_lo
	v_cndmask_b32_e64 v96, v96, s0, vcc_lo
	s_add_co_i32 s0, s0, 1
	s_delay_alu instid0(SALU_CYCLE_1)
	s_cmp_lg_u32 s18, s0
	s_cbranch_scc1 .LBB88_442
.LBB88_443:
	s_wait_dscnt 0x0
	v_cmp_eq_f32_e32 vcc_lo, 0, v98
	v_cmp_eq_f32_e64 s0, 0, v99
	s_and_b32 s0, vcc_lo, s0
	s_delay_alu instid0(SALU_CYCLE_1) | instskip(NEXT) | instid1(SALU_CYCLE_1)
	s_and_saveexec_b32 s1, s0
	s_xor_b32 s0, exec_lo, s1
; %bb.444:
	v_cmp_ne_u32_e32 vcc_lo, 0, v102
	v_cndmask_b32_e32 v102, 22, v102, vcc_lo
; %bb.445:
	s_and_not1_saveexec_b32 s0, s0
	s_cbranch_execz .LBB88_451
; %bb.446:
	v_cmp_ngt_f32_e64 s1, |v98|, |v99|
	s_and_saveexec_b32 s12, s1
	s_delay_alu instid0(SALU_CYCLE_1)
	s_xor_b32 s1, exec_lo, s12
	s_cbranch_execz .LBB88_448
; %bb.447:
	v_div_scale_f32 v97, null, v99, v99, v98
	v_div_scale_f32 v107, vcc_lo, v98, v99, v98
	s_delay_alu instid0(VALU_DEP_2) | instskip(SKIP_1) | instid1(TRANS32_DEP_1)
	v_rcp_f32_e32 v105, v97
	v_nop
	v_fma_f32 v106, -v97, v105, 1.0
	s_delay_alu instid0(VALU_DEP_1) | instskip(NEXT) | instid1(VALU_DEP_1)
	v_fmac_f32_e32 v105, v106, v105
	v_mul_f32_e32 v106, v107, v105
	s_delay_alu instid0(VALU_DEP_1) | instskip(NEXT) | instid1(VALU_DEP_1)
	v_fma_f32 v108, -v97, v106, v107
	v_fmac_f32_e32 v106, v108, v105
	s_delay_alu instid0(VALU_DEP_1) | instskip(NEXT) | instid1(VALU_DEP_1)
	v_fma_f32 v97, -v97, v106, v107
	v_div_fmas_f32 v97, v97, v105, v106
	s_delay_alu instid0(VALU_DEP_1) | instskip(NEXT) | instid1(VALU_DEP_1)
	v_div_fixup_f32 v97, v97, v99, v98
	v_fmac_f32_e32 v99, v98, v97
	s_delay_alu instid0(VALU_DEP_1) | instskip(SKIP_1) | instid1(VALU_DEP_2)
	v_div_scale_f32 v98, null, v99, v99, 1.0
	v_div_scale_f32 v107, vcc_lo, 1.0, v99, 1.0
	v_rcp_f32_e32 v105, v98
	v_nop
	s_delay_alu instid0(TRANS32_DEP_1) | instskip(NEXT) | instid1(VALU_DEP_1)
	v_fma_f32 v106, -v98, v105, 1.0
	v_fmac_f32_e32 v105, v106, v105
	s_delay_alu instid0(VALU_DEP_1) | instskip(NEXT) | instid1(VALU_DEP_1)
	v_mul_f32_e32 v106, v107, v105
	v_fma_f32 v108, -v98, v106, v107
	s_delay_alu instid0(VALU_DEP_1) | instskip(NEXT) | instid1(VALU_DEP_1)
	v_fmac_f32_e32 v106, v108, v105
	v_fma_f32 v98, -v98, v106, v107
	s_delay_alu instid0(VALU_DEP_1) | instskip(NEXT) | instid1(VALU_DEP_1)
	v_div_fmas_f32 v98, v98, v105, v106
	v_div_fixup_f32 v99, v98, v99, 1.0
	s_delay_alu instid0(VALU_DEP_1)
	v_mul_f32_e32 v98, v97, v99
	v_xor_b32_e32 v99, 0x80000000, v99
.LBB88_448:
	s_and_not1_saveexec_b32 s1, s1
	s_cbranch_execz .LBB88_450
; %bb.449:
	s_delay_alu instid0(VALU_DEP_1) | instskip(SKIP_1) | instid1(VALU_DEP_2)
	v_div_scale_f32 v97, null, v98, v98, v99
	v_div_scale_f32 v107, vcc_lo, v99, v98, v99
	v_rcp_f32_e32 v105, v97
	v_nop
	s_delay_alu instid0(TRANS32_DEP_1) | instskip(NEXT) | instid1(VALU_DEP_1)
	v_fma_f32 v106, -v97, v105, 1.0
	v_fmac_f32_e32 v105, v106, v105
	s_delay_alu instid0(VALU_DEP_1) | instskip(NEXT) | instid1(VALU_DEP_1)
	v_mul_f32_e32 v106, v107, v105
	v_fma_f32 v108, -v97, v106, v107
	s_delay_alu instid0(VALU_DEP_1) | instskip(NEXT) | instid1(VALU_DEP_1)
	v_fmac_f32_e32 v106, v108, v105
	v_fma_f32 v97, -v97, v106, v107
	s_delay_alu instid0(VALU_DEP_1) | instskip(NEXT) | instid1(VALU_DEP_1)
	v_div_fmas_f32 v97, v97, v105, v106
	v_div_fixup_f32 v97, v97, v98, v99
	s_delay_alu instid0(VALU_DEP_1) | instskip(NEXT) | instid1(VALU_DEP_1)
	v_fmac_f32_e32 v98, v99, v97
	v_div_scale_f32 v99, null, v98, v98, 1.0
	s_delay_alu instid0(VALU_DEP_1) | instskip(SKIP_1) | instid1(TRANS32_DEP_1)
	v_rcp_f32_e32 v105, v99
	v_nop
	v_fma_f32 v106, -v99, v105, 1.0
	s_delay_alu instid0(VALU_DEP_1) | instskip(SKIP_1) | instid1(VALU_DEP_1)
	v_fmac_f32_e32 v105, v106, v105
	v_div_scale_f32 v106, vcc_lo, 1.0, v98, 1.0
	v_mul_f32_e32 v107, v106, v105
	s_delay_alu instid0(VALU_DEP_1) | instskip(NEXT) | instid1(VALU_DEP_1)
	v_fma_f32 v108, -v99, v107, v106
	v_fmac_f32_e32 v107, v108, v105
	s_delay_alu instid0(VALU_DEP_1) | instskip(NEXT) | instid1(VALU_DEP_1)
	v_fma_f32 v99, -v99, v107, v106
	v_div_fmas_f32 v99, v99, v105, v107
	s_delay_alu instid0(VALU_DEP_1) | instskip(NEXT) | instid1(VALU_DEP_1)
	v_div_fixup_f32 v98, v99, v98, 1.0
	v_mul_f32_e64 v99, v97, -v98
.LBB88_450:
	s_or_b32 exec_lo, exec_lo, s1
.LBB88_451:
	s_delay_alu instid0(SALU_CYCLE_1) | instskip(NEXT) | instid1(SALU_CYCLE_1)
	s_or_b32 exec_lo, exec_lo, s0
	s_mov_b32 s0, exec_lo
	v_cmpx_ne_u32_e64 v104, v96
	s_xor_b32 s0, exec_lo, s0
	s_cbranch_execz .LBB88_457
; %bb.452:
	s_mov_b32 s1, exec_lo
	v_cmpx_eq_u32_e32 21, v104
	s_cbranch_execz .LBB88_456
; %bb.453:
	v_cmp_ne_u32_e32 vcc_lo, 21, v96
	s_xor_b32 s12, s16, -1
	s_delay_alu instid0(SALU_CYCLE_1) | instskip(NEXT) | instid1(SALU_CYCLE_1)
	s_and_b32 s13, s12, vcc_lo
	s_and_saveexec_b32 s12, s13
	s_cbranch_execz .LBB88_455
; %bb.454:
	v_ashrrev_i32_e32 v97, 31, v96
	s_delay_alu instid0(VALU_DEP_1)
	v_lshl_add_u64 v[104:105], v[96:97], 2, v[4:5]
	s_clause 0x1
	global_load_b32 v97, v[104:105], off
	global_load_b32 v103, v[4:5], off offset:84
	s_wait_loadcnt 0x1
	global_store_b32 v[4:5], v97, off offset:84
	s_wait_loadcnt 0x0
	global_store_b32 v[104:105], v103, off
.LBB88_455:
	s_wait_xcnt 0x0
	s_or_b32 exec_lo, exec_lo, s12
	v_dual_mov_b32 v104, v96 :: v_dual_mov_b32 v103, v96
.LBB88_456:
	s_or_b32 exec_lo, exec_lo, s1
.LBB88_457:
	s_and_not1_saveexec_b32 s0, s0
	s_cbranch_execz .LBB88_459
; %bb.458:
	v_dual_mov_b32 v96, v66 :: v_dual_mov_b32 v97, v67
	v_dual_mov_b32 v104, v62 :: v_dual_mov_b32 v105, v63
	;; [unrolled: 1-line block ×12, first 2 shown]
	ds_store_2addr_b64 v100, v[96:97], v[104:105] offset0:22 offset1:23
	ds_store_2addr_b64 v100, v[106:107], v[108:109] offset0:24 offset1:25
	;; [unrolled: 1-line block ×6, first 2 shown]
	v_dual_mov_b32 v96, v28 :: v_dual_mov_b32 v97, v29
	v_dual_mov_b32 v104, v20 :: v_dual_mov_b32 v105, v21
	;; [unrolled: 1-line block ×6, first 2 shown]
	ds_store_2addr_b64 v100, v[96:97], v[104:105] offset0:34 offset1:35
	ds_store_2addr_b64 v100, v[106:107], v[108:109] offset0:36 offset1:37
	v_dual_mov_b32 v104, 21 :: v_dual_mov_b32 v114, v6
	v_dual_mov_b32 v115, v7 :: v_dual_mov_b32 v116, v36
	;; [unrolled: 1-line block ×4, first 2 shown]
	v_mov_b32_e32 v121, v17
	ds_store_2addr_b64 v100, v[110:111], v[112:113] offset0:38 offset1:39
	ds_store_2addr_b64 v100, v[114:115], v[116:117] offset0:40 offset1:41
	;; [unrolled: 1-line block ×3, first 2 shown]
	ds_store_b64 v100, v[94:95] offset:352
.LBB88_459:
	s_or_b32 exec_lo, exec_lo, s0
	s_delay_alu instid0(SALU_CYCLE_1)
	s_mov_b32 s0, exec_lo
	s_wait_storecnt_dscnt 0x0
	s_barrier_signal -1
	s_barrier_wait -1
	v_cmpx_lt_i32_e32 21, v104
	s_cbranch_execz .LBB88_461
; %bb.460:
	v_pk_mul_f32 v[106:107], v[98:99], v[64:65] op_sel:[1,1] op_sel_hi:[0,1]
	s_delay_alu instid0(VALU_DEP_1)
	v_pk_fma_f32 v[96:97], v[98:99], v[64:65], v[106:107] op_sel_hi:[1,0,1] neg_lo:[0,0,1] neg_hi:[0,0,1]
	v_pk_fma_f32 v[98:99], v[98:99], v[64:65], v[106:107] op_sel_hi:[1,0,1]
	ds_load_2addr_b64 v[106:109], v100 offset0:22 offset1:23
	v_dual_mov_b32 v64, v96 :: v_dual_mov_b32 v65, v99
	s_wait_dscnt 0x0
	v_pk_mul_f32 v[110:111], v[106:107], v[98:99] op_sel:[0,1]
	s_delay_alu instid0(VALU_DEP_1) | instskip(SKIP_1) | instid1(VALU_DEP_1)
	v_pk_fma_f32 v[112:113], v[106:107], v[96:97], v[110:111] op_sel:[0,0,1] op_sel_hi:[1,1,0] neg_lo:[0,0,1] neg_hi:[0,0,1]
	v_pk_fma_f32 v[106:107], v[106:107], v[96:97], v[110:111] op_sel:[0,0,1] op_sel_hi:[1,0,0]
	v_mov_b32_e32 v113, v107
	v_pk_mul_f32 v[106:107], v[108:109], v[98:99] op_sel:[0,1]
	s_delay_alu instid0(VALU_DEP_1) | instskip(SKIP_1) | instid1(VALU_DEP_1)
	v_pk_fma_f32 v[110:111], v[108:109], v[96:97], v[106:107] op_sel:[0,0,1] op_sel_hi:[1,1,0] neg_lo:[0,0,1] neg_hi:[0,0,1]
	v_pk_fma_f32 v[106:107], v[108:109], v[96:97], v[106:107] op_sel:[0,0,1] op_sel_hi:[1,0,0]
	v_mov_b32_e32 v111, v107
	ds_load_2addr_b64 v[106:109], v100 offset0:24 offset1:25
	v_pk_add_f32 v[66:67], v[66:67], v[112:113] neg_lo:[0,1] neg_hi:[0,1]
	v_pk_add_f32 v[62:63], v[62:63], v[110:111] neg_lo:[0,1] neg_hi:[0,1]
	s_wait_dscnt 0x0
	v_pk_mul_f32 v[110:111], v[106:107], v[98:99] op_sel:[0,1]
	s_delay_alu instid0(VALU_DEP_1) | instskip(SKIP_2) | instid1(VALU_DEP_2)
	v_pk_fma_f32 v[112:113], v[106:107], v[96:97], v[110:111] op_sel:[0,0,1] op_sel_hi:[1,1,0] neg_lo:[0,0,1] neg_hi:[0,0,1]
	v_pk_fma_f32 v[106:107], v[106:107], v[96:97], v[110:111] op_sel:[0,0,1] op_sel_hi:[1,0,0]
	v_dual_mul_f32 v110, v109, v99 :: v_dual_mov_b32 v106, v109
	v_dual_mov_b32 v113, v107 :: v_dual_mov_b32 v107, v108
	s_delay_alu instid0(VALU_DEP_2) | instskip(SKIP_1) | instid1(VALU_DEP_3)
	v_pk_fma_f32 v[110:111], v[108:109], v[64:65], v[110:111] op_sel_hi:[1,1,0] neg_lo:[0,0,1] neg_hi:[0,0,1]
	v_mul_f32_e32 v108, v109, v96
	v_pk_add_f32 v[60:61], v[60:61], v[112:113] neg_lo:[0,1] neg_hi:[0,1]
	s_delay_alu instid0(VALU_DEP_2) | instskip(NEXT) | instid1(VALU_DEP_1)
	v_pk_fma_f32 v[106:107], v[106:107], v[64:65], v[108:109] op_sel_hi:[1,1,0]
	v_mov_b32_e32 v111, v107
	ds_load_2addr_b64 v[106:109], v100 offset0:26 offset1:27
	v_pk_add_f32 v[56:57], v[56:57], v[110:111] neg_lo:[0,1] neg_hi:[0,1]
	s_wait_dscnt 0x0
	v_pk_mul_f32 v[110:111], v[106:107], v[98:99] op_sel:[0,1]
	s_delay_alu instid0(VALU_DEP_1) | instskip(SKIP_1) | instid1(VALU_DEP_1)
	v_pk_fma_f32 v[112:113], v[106:107], v[96:97], v[110:111] op_sel:[0,0,1] op_sel_hi:[1,1,0] neg_lo:[0,0,1] neg_hi:[0,0,1]
	v_pk_fma_f32 v[106:107], v[106:107], v[96:97], v[110:111] op_sel:[0,0,1] op_sel_hi:[1,0,0]
	v_mov_b32_e32 v113, v107
	v_pk_mul_f32 v[106:107], v[108:109], v[98:99] op_sel:[0,1]
	s_delay_alu instid0(VALU_DEP_1) | instskip(SKIP_1) | instid1(VALU_DEP_1)
	v_pk_fma_f32 v[110:111], v[108:109], v[96:97], v[106:107] op_sel:[0,0,1] op_sel_hi:[1,1,0] neg_lo:[0,0,1] neg_hi:[0,0,1]
	v_pk_fma_f32 v[106:107], v[108:109], v[96:97], v[106:107] op_sel:[0,0,1] op_sel_hi:[1,0,0]
	v_mov_b32_e32 v111, v107
	ds_load_2addr_b64 v[106:109], v100 offset0:28 offset1:29
	v_pk_add_f32 v[58:59], v[58:59], v[112:113] neg_lo:[0,1] neg_hi:[0,1]
	v_pk_add_f32 v[54:55], v[54:55], v[110:111] neg_lo:[0,1] neg_hi:[0,1]
	s_wait_dscnt 0x0
	v_pk_mul_f32 v[110:111], v[106:107], v[98:99] op_sel:[0,1]
	s_delay_alu instid0(VALU_DEP_1) | instskip(SKIP_1) | instid1(VALU_DEP_1)
	v_pk_fma_f32 v[112:113], v[106:107], v[96:97], v[110:111] op_sel:[0,0,1] op_sel_hi:[1,1,0] neg_lo:[0,0,1] neg_hi:[0,0,1]
	v_pk_fma_f32 v[106:107], v[106:107], v[96:97], v[110:111] op_sel:[0,0,1] op_sel_hi:[1,0,0]
	v_mov_b32_e32 v113, v107
	v_pk_mul_f32 v[106:107], v[108:109], v[98:99] op_sel:[0,1]
	s_delay_alu instid0(VALU_DEP_1) | instskip(SKIP_1) | instid1(VALU_DEP_1)
	v_pk_fma_f32 v[110:111], v[108:109], v[96:97], v[106:107] op_sel:[0,0,1] op_sel_hi:[1,1,0] neg_lo:[0,0,1] neg_hi:[0,0,1]
	v_pk_fma_f32 v[106:107], v[108:109], v[96:97], v[106:107] op_sel:[0,0,1] op_sel_hi:[1,0,0]
	v_mov_b32_e32 v111, v107
	ds_load_2addr_b64 v[106:109], v100 offset0:30 offset1:31
	v_pk_add_f32 v[48:49], v[48:49], v[112:113] neg_lo:[0,1] neg_hi:[0,1]
	v_pk_add_f32 v[40:41], v[40:41], v[110:111] neg_lo:[0,1] neg_hi:[0,1]
	s_wait_dscnt 0x0
	v_dual_mul_f32 v110, v107, v99 :: v_dual_mul_f32 v112, v107, v96
	s_delay_alu instid0(VALU_DEP_1) | instskip(NEXT) | instid1(VALU_DEP_2)
	v_pk_fma_f32 v[110:111], v[106:107], v[64:65], v[110:111] op_sel_hi:[1,1,0] neg_lo:[0,0,1] neg_hi:[0,0,1]
	v_pk_fma_f32 v[106:107], v[106:107], v[64:65], v[112:113] op_sel:[1,0,0] op_sel_hi:[0,1,0]
	s_delay_alu instid0(VALU_DEP_1) | instskip(SKIP_1) | instid1(VALU_DEP_2)
	v_mov_b32_e32 v111, v107
	v_pk_mul_f32 v[106:107], v[108:109], v[98:99] op_sel:[0,1]
	v_pk_add_f32 v[46:47], v[46:47], v[110:111] neg_lo:[0,1] neg_hi:[0,1]
	s_delay_alu instid0(VALU_DEP_2) | instskip(SKIP_1) | instid1(VALU_DEP_1)
	v_pk_fma_f32 v[110:111], v[108:109], v[96:97], v[106:107] op_sel:[0,0,1] op_sel_hi:[1,1,0] neg_lo:[0,0,1] neg_hi:[0,0,1]
	v_pk_fma_f32 v[106:107], v[108:109], v[96:97], v[106:107] op_sel:[0,0,1] op_sel_hi:[1,0,0]
	v_mov_b32_e32 v111, v107
	ds_load_2addr_b64 v[106:109], v100 offset0:32 offset1:33
	v_pk_add_f32 v[38:39], v[38:39], v[110:111] neg_lo:[0,1] neg_hi:[0,1]
	s_wait_dscnt 0x0
	v_pk_mul_f32 v[110:111], v[106:107], v[98:99] op_sel:[0,1]
	s_delay_alu instid0(VALU_DEP_1) | instskip(SKIP_1) | instid1(VALU_DEP_1)
	v_pk_fma_f32 v[112:113], v[106:107], v[96:97], v[110:111] op_sel:[0,0,1] op_sel_hi:[1,1,0] neg_lo:[0,0,1] neg_hi:[0,0,1]
	v_pk_fma_f32 v[106:107], v[106:107], v[96:97], v[110:111] op_sel:[0,0,1] op_sel_hi:[1,0,0]
	v_mov_b32_e32 v113, v107
	v_pk_mul_f32 v[106:107], v[108:109], v[98:99] op_sel:[0,1]
	s_delay_alu instid0(VALU_DEP_2) | instskip(NEXT) | instid1(VALU_DEP_2)
	v_pk_add_f32 v[30:31], v[30:31], v[112:113] neg_lo:[0,1] neg_hi:[0,1]
	v_pk_fma_f32 v[110:111], v[108:109], v[96:97], v[106:107] op_sel:[0,0,1] op_sel_hi:[1,1,0] neg_lo:[0,0,1] neg_hi:[0,0,1]
	v_pk_fma_f32 v[106:107], v[108:109], v[96:97], v[106:107] op_sel:[0,0,1] op_sel_hi:[1,0,0]
	s_delay_alu instid0(VALU_DEP_1) | instskip(SKIP_4) | instid1(VALU_DEP_1)
	v_mov_b32_e32 v111, v107
	ds_load_2addr_b64 v[106:109], v100 offset0:34 offset1:35
	v_pk_add_f32 v[22:23], v[22:23], v[110:111] neg_lo:[0,1] neg_hi:[0,1]
	s_wait_dscnt 0x0
	v_pk_mul_f32 v[110:111], v[106:107], v[98:99] op_sel:[0,1]
	v_pk_fma_f32 v[112:113], v[106:107], v[96:97], v[110:111] op_sel:[0,0,1] op_sel_hi:[1,1,0] neg_lo:[0,0,1] neg_hi:[0,0,1]
	v_pk_fma_f32 v[106:107], v[106:107], v[96:97], v[110:111] op_sel:[0,0,1] op_sel_hi:[1,0,0]
	v_dual_mul_f32 v110, v109, v99 :: v_dual_mov_b32 v106, v109
	s_delay_alu instid0(VALU_DEP_2) | instskip(NEXT) | instid1(VALU_DEP_2)
	v_dual_mov_b32 v113, v107 :: v_dual_mov_b32 v107, v108
	v_pk_fma_f32 v[110:111], v[108:109], v[64:65], v[110:111] op_sel_hi:[1,1,0] neg_lo:[0,0,1] neg_hi:[0,0,1]
	v_mul_f32_e32 v108, v109, v96
	s_delay_alu instid0(VALU_DEP_3) | instskip(NEXT) | instid1(VALU_DEP_2)
	v_pk_add_f32 v[28:29], v[28:29], v[112:113] neg_lo:[0,1] neg_hi:[0,1]
	v_pk_fma_f32 v[106:107], v[106:107], v[64:65], v[108:109] op_sel_hi:[1,1,0]
	s_delay_alu instid0(VALU_DEP_1) | instskip(SKIP_4) | instid1(VALU_DEP_1)
	v_mov_b32_e32 v111, v107
	ds_load_2addr_b64 v[106:109], v100 offset0:36 offset1:37
	v_pk_add_f32 v[20:21], v[20:21], v[110:111] neg_lo:[0,1] neg_hi:[0,1]
	s_wait_dscnt 0x0
	v_pk_mul_f32 v[110:111], v[106:107], v[98:99] op_sel:[0,1]
	v_pk_fma_f32 v[112:113], v[106:107], v[96:97], v[110:111] op_sel:[0,0,1] op_sel_hi:[1,1,0] neg_lo:[0,0,1] neg_hi:[0,0,1]
	v_pk_fma_f32 v[106:107], v[106:107], v[96:97], v[110:111] op_sel:[0,0,1] op_sel_hi:[1,0,0]
	s_delay_alu instid0(VALU_DEP_1) | instskip(SKIP_1) | instid1(VALU_DEP_1)
	v_mov_b32_e32 v113, v107
	v_pk_mul_f32 v[106:107], v[108:109], v[98:99] op_sel:[0,1]
	v_pk_fma_f32 v[110:111], v[108:109], v[96:97], v[106:107] op_sel:[0,0,1] op_sel_hi:[1,1,0] neg_lo:[0,0,1] neg_hi:[0,0,1]
	v_pk_fma_f32 v[106:107], v[108:109], v[96:97], v[106:107] op_sel:[0,0,1] op_sel_hi:[1,0,0]
	s_delay_alu instid0(VALU_DEP_1)
	v_mov_b32_e32 v111, v107
	ds_load_2addr_b64 v[106:109], v100 offset0:38 offset1:39
	v_pk_add_f32 v[14:15], v[14:15], v[112:113] neg_lo:[0,1] neg_hi:[0,1]
	v_pk_add_f32 v[10:11], v[10:11], v[110:111] neg_lo:[0,1] neg_hi:[0,1]
	s_wait_dscnt 0x0
	v_pk_mul_f32 v[110:111], v[106:107], v[98:99] op_sel:[0,1]
	s_delay_alu instid0(VALU_DEP_1) | instskip(SKIP_1) | instid1(VALU_DEP_1)
	v_pk_fma_f32 v[112:113], v[106:107], v[96:97], v[110:111] op_sel:[0,0,1] op_sel_hi:[1,1,0] neg_lo:[0,0,1] neg_hi:[0,0,1]
	v_pk_fma_f32 v[106:107], v[106:107], v[96:97], v[110:111] op_sel:[0,0,1] op_sel_hi:[1,0,0]
	v_mov_b32_e32 v113, v107
	v_pk_mul_f32 v[106:107], v[108:109], v[98:99] op_sel:[0,1]
	s_delay_alu instid0(VALU_DEP_1) | instskip(SKIP_1) | instid1(VALU_DEP_1)
	v_pk_fma_f32 v[110:111], v[108:109], v[96:97], v[106:107] op_sel:[0,0,1] op_sel_hi:[1,1,0] neg_lo:[0,0,1] neg_hi:[0,0,1]
	v_pk_fma_f32 v[106:107], v[108:109], v[96:97], v[106:107] op_sel:[0,0,1] op_sel_hi:[1,0,0]
	v_mov_b32_e32 v111, v107
	ds_load_2addr_b64 v[106:109], v100 offset0:40 offset1:41
	v_pk_add_f32 v[12:13], v[12:13], v[112:113] neg_lo:[0,1] neg_hi:[0,1]
	v_pk_add_f32 v[8:9], v[8:9], v[110:111] neg_lo:[0,1] neg_hi:[0,1]
	s_wait_dscnt 0x0
	v_dual_mul_f32 v110, v107, v99 :: v_dual_mul_f32 v112, v107, v96
	s_delay_alu instid0(VALU_DEP_1) | instskip(NEXT) | instid1(VALU_DEP_2)
	v_pk_fma_f32 v[110:111], v[106:107], v[64:65], v[110:111] op_sel_hi:[1,1,0] neg_lo:[0,0,1] neg_hi:[0,0,1]
	v_pk_fma_f32 v[106:107], v[106:107], v[64:65], v[112:113] op_sel:[1,0,0] op_sel_hi:[0,1,0]
	s_delay_alu instid0(VALU_DEP_1) | instskip(SKIP_1) | instid1(VALU_DEP_2)
	v_mov_b32_e32 v111, v107
	v_pk_mul_f32 v[106:107], v[108:109], v[98:99] op_sel:[0,1]
	v_pk_add_f32 v[6:7], v[6:7], v[110:111] neg_lo:[0,1] neg_hi:[0,1]
	s_delay_alu instid0(VALU_DEP_2) | instskip(SKIP_1) | instid1(VALU_DEP_1)
	v_pk_fma_f32 v[110:111], v[108:109], v[96:97], v[106:107] op_sel:[0,0,1] op_sel_hi:[1,1,0] neg_lo:[0,0,1] neg_hi:[0,0,1]
	v_pk_fma_f32 v[106:107], v[108:109], v[96:97], v[106:107] op_sel:[0,0,1] op_sel_hi:[1,0,0]
	v_mov_b32_e32 v111, v107
	ds_load_2addr_b64 v[106:109], v100 offset0:42 offset1:43
	v_pk_add_f32 v[36:37], v[36:37], v[110:111] neg_lo:[0,1] neg_hi:[0,1]
	s_wait_dscnt 0x0
	v_pk_mul_f32 v[110:111], v[106:107], v[98:99] op_sel:[0,1]
	s_delay_alu instid0(VALU_DEP_1) | instskip(SKIP_1) | instid1(VALU_DEP_1)
	v_pk_fma_f32 v[112:113], v[106:107], v[96:97], v[110:111] op_sel:[0,0,1] op_sel_hi:[1,1,0] neg_lo:[0,0,1] neg_hi:[0,0,1]
	v_pk_fma_f32 v[106:107], v[106:107], v[96:97], v[110:111] op_sel:[0,0,1] op_sel_hi:[1,0,0]
	v_mov_b32_e32 v113, v107
	v_pk_mul_f32 v[106:107], v[108:109], v[98:99] op_sel:[0,1]
	s_delay_alu instid0(VALU_DEP_2) | instskip(NEXT) | instid1(VALU_DEP_2)
	v_pk_add_f32 v[18:19], v[18:19], v[112:113] neg_lo:[0,1] neg_hi:[0,1]
	v_pk_fma_f32 v[110:111], v[108:109], v[96:97], v[106:107] op_sel:[0,0,1] op_sel_hi:[1,1,0] neg_lo:[0,0,1] neg_hi:[0,0,1]
	v_pk_fma_f32 v[106:107], v[108:109], v[96:97], v[106:107] op_sel:[0,0,1] op_sel_hi:[1,0,0]
	s_delay_alu instid0(VALU_DEP_1) | instskip(SKIP_4) | instid1(VALU_DEP_1)
	v_mov_b32_e32 v111, v107
	ds_load_b64 v[106:107], v100 offset:352
	v_pk_add_f32 v[16:17], v[16:17], v[110:111] neg_lo:[0,1] neg_hi:[0,1]
	s_wait_dscnt 0x0
	v_pk_mul_f32 v[98:99], v[106:107], v[98:99] op_sel:[0,1]
	v_pk_fma_f32 v[108:109], v[106:107], v[96:97], v[98:99] op_sel:[0,0,1] op_sel_hi:[1,1,0] neg_lo:[0,0,1] neg_hi:[0,0,1]
	v_pk_fma_f32 v[96:97], v[106:107], v[96:97], v[98:99] op_sel:[0,0,1] op_sel_hi:[1,0,0]
	s_delay_alu instid0(VALU_DEP_1) | instskip(NEXT) | instid1(VALU_DEP_1)
	v_mov_b32_e32 v109, v97
	v_pk_add_f32 v[94:95], v[94:95], v[108:109] neg_lo:[0,1] neg_hi:[0,1]
.LBB88_461:
	s_or_b32 exec_lo, exec_lo, s0
	v_lshl_add_u32 v96, v104, 3, v100
	s_barrier_signal -1
	s_barrier_wait -1
	ds_store_b64 v96, v[66:67]
	s_wait_dscnt 0x0
	s_barrier_signal -1
	s_barrier_wait -1
	ds_load_b64 v[98:99], v100 offset:176
	v_mov_b32_e32 v96, 22
	s_cmp_lt_i32 s18, 24
	s_cbranch_scc1 .LBB88_464
; %bb.462:
	v_add3_u32 v97, v101, 0, 0xb8
	v_mov_b32_e32 v96, 22
	s_mov_b32 s0, 23
.LBB88_463:                             ; =>This Inner Loop Header: Depth=1
	ds_load_b64 v[106:107], v97
	s_wait_dscnt 0x1
	v_cmp_gt_f32_e32 vcc_lo, 0, v98
	v_cndmask_b32_e64 v108, v98, -v98, vcc_lo
	v_cmp_gt_f32_e32 vcc_lo, 0, v99
	v_cndmask_b32_e64 v110, v99, -v99, vcc_lo
	s_wait_dscnt 0x0
	v_cmp_gt_f32_e32 vcc_lo, 0, v106
	v_cndmask_b32_e64 v109, v106, -v106, vcc_lo
	v_cmp_gt_f32_e32 vcc_lo, 0, v107
	v_cndmask_b32_e64 v111, v107, -v107, vcc_lo
	s_delay_alu instid0(VALU_DEP_1) | instskip(NEXT) | instid1(VALU_DEP_1)
	v_pk_add_f32 v[108:109], v[108:109], v[110:111]
	v_cmp_lt_f32_e32 vcc_lo, v108, v109
	v_dual_add_nc_u32 v97, 8, v97 :: v_dual_cndmask_b32 v99, v99, v107, vcc_lo
	v_cndmask_b32_e32 v98, v98, v106, vcc_lo
	v_cndmask_b32_e64 v96, v96, s0, vcc_lo
	s_add_co_i32 s0, s0, 1
	s_delay_alu instid0(SALU_CYCLE_1)
	s_cmp_lg_u32 s18, s0
	s_cbranch_scc1 .LBB88_463
.LBB88_464:
	s_wait_dscnt 0x0
	v_cmp_eq_f32_e32 vcc_lo, 0, v98
	v_cmp_eq_f32_e64 s0, 0, v99
	s_and_b32 s0, vcc_lo, s0
	s_delay_alu instid0(SALU_CYCLE_1) | instskip(NEXT) | instid1(SALU_CYCLE_1)
	s_and_saveexec_b32 s1, s0
	s_xor_b32 s0, exec_lo, s1
; %bb.465:
	v_cmp_ne_u32_e32 vcc_lo, 0, v102
	v_cndmask_b32_e32 v102, 23, v102, vcc_lo
; %bb.466:
	s_and_not1_saveexec_b32 s0, s0
	s_cbranch_execz .LBB88_472
; %bb.467:
	v_cmp_ngt_f32_e64 s1, |v98|, |v99|
	s_and_saveexec_b32 s12, s1
	s_delay_alu instid0(SALU_CYCLE_1)
	s_xor_b32 s1, exec_lo, s12
	s_cbranch_execz .LBB88_469
; %bb.468:
	v_div_scale_f32 v97, null, v99, v99, v98
	v_div_scale_f32 v107, vcc_lo, v98, v99, v98
	s_delay_alu instid0(VALU_DEP_2) | instskip(SKIP_1) | instid1(TRANS32_DEP_1)
	v_rcp_f32_e32 v105, v97
	v_nop
	v_fma_f32 v106, -v97, v105, 1.0
	s_delay_alu instid0(VALU_DEP_1) | instskip(NEXT) | instid1(VALU_DEP_1)
	v_fmac_f32_e32 v105, v106, v105
	v_mul_f32_e32 v106, v107, v105
	s_delay_alu instid0(VALU_DEP_1) | instskip(NEXT) | instid1(VALU_DEP_1)
	v_fma_f32 v108, -v97, v106, v107
	v_fmac_f32_e32 v106, v108, v105
	s_delay_alu instid0(VALU_DEP_1) | instskip(NEXT) | instid1(VALU_DEP_1)
	v_fma_f32 v97, -v97, v106, v107
	v_div_fmas_f32 v97, v97, v105, v106
	s_delay_alu instid0(VALU_DEP_1) | instskip(NEXT) | instid1(VALU_DEP_1)
	v_div_fixup_f32 v97, v97, v99, v98
	v_fmac_f32_e32 v99, v98, v97
	s_delay_alu instid0(VALU_DEP_1) | instskip(SKIP_1) | instid1(VALU_DEP_2)
	v_div_scale_f32 v98, null, v99, v99, 1.0
	v_div_scale_f32 v107, vcc_lo, 1.0, v99, 1.0
	v_rcp_f32_e32 v105, v98
	v_nop
	s_delay_alu instid0(TRANS32_DEP_1) | instskip(NEXT) | instid1(VALU_DEP_1)
	v_fma_f32 v106, -v98, v105, 1.0
	v_fmac_f32_e32 v105, v106, v105
	s_delay_alu instid0(VALU_DEP_1) | instskip(NEXT) | instid1(VALU_DEP_1)
	v_mul_f32_e32 v106, v107, v105
	v_fma_f32 v108, -v98, v106, v107
	s_delay_alu instid0(VALU_DEP_1) | instskip(NEXT) | instid1(VALU_DEP_1)
	v_fmac_f32_e32 v106, v108, v105
	v_fma_f32 v98, -v98, v106, v107
	s_delay_alu instid0(VALU_DEP_1) | instskip(NEXT) | instid1(VALU_DEP_1)
	v_div_fmas_f32 v98, v98, v105, v106
	v_div_fixup_f32 v99, v98, v99, 1.0
	s_delay_alu instid0(VALU_DEP_1)
	v_mul_f32_e32 v98, v97, v99
	v_xor_b32_e32 v99, 0x80000000, v99
.LBB88_469:
	s_and_not1_saveexec_b32 s1, s1
	s_cbranch_execz .LBB88_471
; %bb.470:
	s_delay_alu instid0(VALU_DEP_1) | instskip(SKIP_1) | instid1(VALU_DEP_2)
	v_div_scale_f32 v97, null, v98, v98, v99
	v_div_scale_f32 v107, vcc_lo, v99, v98, v99
	v_rcp_f32_e32 v105, v97
	v_nop
	s_delay_alu instid0(TRANS32_DEP_1) | instskip(NEXT) | instid1(VALU_DEP_1)
	v_fma_f32 v106, -v97, v105, 1.0
	v_fmac_f32_e32 v105, v106, v105
	s_delay_alu instid0(VALU_DEP_1) | instskip(NEXT) | instid1(VALU_DEP_1)
	v_mul_f32_e32 v106, v107, v105
	v_fma_f32 v108, -v97, v106, v107
	s_delay_alu instid0(VALU_DEP_1) | instskip(NEXT) | instid1(VALU_DEP_1)
	v_fmac_f32_e32 v106, v108, v105
	v_fma_f32 v97, -v97, v106, v107
	s_delay_alu instid0(VALU_DEP_1) | instskip(NEXT) | instid1(VALU_DEP_1)
	v_div_fmas_f32 v97, v97, v105, v106
	v_div_fixup_f32 v97, v97, v98, v99
	s_delay_alu instid0(VALU_DEP_1) | instskip(NEXT) | instid1(VALU_DEP_1)
	v_fmac_f32_e32 v98, v99, v97
	v_div_scale_f32 v99, null, v98, v98, 1.0
	s_delay_alu instid0(VALU_DEP_1) | instskip(SKIP_1) | instid1(TRANS32_DEP_1)
	v_rcp_f32_e32 v105, v99
	v_nop
	v_fma_f32 v106, -v99, v105, 1.0
	s_delay_alu instid0(VALU_DEP_1) | instskip(SKIP_1) | instid1(VALU_DEP_1)
	v_fmac_f32_e32 v105, v106, v105
	v_div_scale_f32 v106, vcc_lo, 1.0, v98, 1.0
	v_mul_f32_e32 v107, v106, v105
	s_delay_alu instid0(VALU_DEP_1) | instskip(NEXT) | instid1(VALU_DEP_1)
	v_fma_f32 v108, -v99, v107, v106
	v_fmac_f32_e32 v107, v108, v105
	s_delay_alu instid0(VALU_DEP_1) | instskip(NEXT) | instid1(VALU_DEP_1)
	v_fma_f32 v99, -v99, v107, v106
	v_div_fmas_f32 v99, v99, v105, v107
	s_delay_alu instid0(VALU_DEP_1) | instskip(NEXT) | instid1(VALU_DEP_1)
	v_div_fixup_f32 v98, v99, v98, 1.0
	v_mul_f32_e64 v99, v97, -v98
.LBB88_471:
	s_or_b32 exec_lo, exec_lo, s1
.LBB88_472:
	s_delay_alu instid0(SALU_CYCLE_1) | instskip(NEXT) | instid1(SALU_CYCLE_1)
	s_or_b32 exec_lo, exec_lo, s0
	s_mov_b32 s0, exec_lo
	v_cmpx_ne_u32_e64 v104, v96
	s_xor_b32 s0, exec_lo, s0
	s_cbranch_execz .LBB88_478
; %bb.473:
	s_mov_b32 s1, exec_lo
	v_cmpx_eq_u32_e32 22, v104
	s_cbranch_execz .LBB88_477
; %bb.474:
	v_cmp_ne_u32_e32 vcc_lo, 22, v96
	s_xor_b32 s12, s16, -1
	s_delay_alu instid0(SALU_CYCLE_1) | instskip(NEXT) | instid1(SALU_CYCLE_1)
	s_and_b32 s13, s12, vcc_lo
	s_and_saveexec_b32 s12, s13
	s_cbranch_execz .LBB88_476
; %bb.475:
	v_ashrrev_i32_e32 v97, 31, v96
	s_delay_alu instid0(VALU_DEP_1)
	v_lshl_add_u64 v[104:105], v[96:97], 2, v[4:5]
	s_clause 0x1
	global_load_b32 v97, v[104:105], off
	global_load_b32 v103, v[4:5], off offset:88
	s_wait_loadcnt 0x1
	global_store_b32 v[4:5], v97, off offset:88
	s_wait_loadcnt 0x0
	global_store_b32 v[104:105], v103, off
.LBB88_476:
	s_wait_xcnt 0x0
	s_or_b32 exec_lo, exec_lo, s12
	v_dual_mov_b32 v104, v96 :: v_dual_mov_b32 v103, v96
.LBB88_477:
	s_or_b32 exec_lo, exec_lo, s1
.LBB88_478:
	s_and_not1_saveexec_b32 s0, s0
	s_cbranch_execz .LBB88_480
; %bb.479:
	v_mov_b32_e32 v104, 22
	ds_store_2addr_b64 v100, v[62:63], v[60:61] offset0:23 offset1:24
	ds_store_2addr_b64 v100, v[56:57], v[58:59] offset0:25 offset1:26
	;; [unrolled: 1-line block ×11, first 2 shown]
.LBB88_480:
	s_or_b32 exec_lo, exec_lo, s0
	s_delay_alu instid0(SALU_CYCLE_1)
	s_mov_b32 s0, exec_lo
	s_wait_storecnt_dscnt 0x0
	s_barrier_signal -1
	s_barrier_wait -1
	v_cmpx_lt_i32_e32 22, v104
	s_cbranch_execz .LBB88_482
; %bb.481:
	v_pk_mul_f32 v[106:107], v[98:99], v[66:67] op_sel:[1,1] op_sel_hi:[0,1]
	s_delay_alu instid0(VALU_DEP_1)
	v_pk_fma_f32 v[96:97], v[98:99], v[66:67], v[106:107] op_sel_hi:[1,0,1] neg_lo:[0,0,1] neg_hi:[0,0,1]
	v_pk_fma_f32 v[98:99], v[98:99], v[66:67], v[106:107] op_sel_hi:[1,0,1]
	ds_load_2addr_b64 v[106:109], v100 offset0:23 offset1:24
	v_dual_mov_b32 v66, v96 :: v_dual_mov_b32 v67, v99
	s_wait_dscnt 0x0
	v_pk_mul_f32 v[110:111], v[106:107], v[98:99] op_sel:[0,1]
	s_delay_alu instid0(VALU_DEP_1) | instskip(SKIP_1) | instid1(VALU_DEP_1)
	v_pk_fma_f32 v[112:113], v[106:107], v[96:97], v[110:111] op_sel:[0,0,1] op_sel_hi:[1,1,0] neg_lo:[0,0,1] neg_hi:[0,0,1]
	v_pk_fma_f32 v[106:107], v[106:107], v[96:97], v[110:111] op_sel:[0,0,1] op_sel_hi:[1,0,0]
	v_mov_b32_e32 v113, v107
	v_pk_mul_f32 v[106:107], v[108:109], v[98:99] op_sel:[0,1]
	s_delay_alu instid0(VALU_DEP_1) | instskip(SKIP_1) | instid1(VALU_DEP_1)
	v_pk_fma_f32 v[110:111], v[108:109], v[96:97], v[106:107] op_sel:[0,0,1] op_sel_hi:[1,1,0] neg_lo:[0,0,1] neg_hi:[0,0,1]
	v_pk_fma_f32 v[106:107], v[108:109], v[96:97], v[106:107] op_sel:[0,0,1] op_sel_hi:[1,0,0]
	v_mov_b32_e32 v111, v107
	ds_load_2addr_b64 v[106:109], v100 offset0:25 offset1:26
	v_pk_add_f32 v[62:63], v[62:63], v[112:113] neg_lo:[0,1] neg_hi:[0,1]
	v_pk_add_f32 v[60:61], v[60:61], v[110:111] neg_lo:[0,1] neg_hi:[0,1]
	s_wait_dscnt 0x0
	v_pk_mul_f32 v[110:111], v[106:107], v[98:99] op_sel:[0,1]
	s_delay_alu instid0(VALU_DEP_1) | instskip(SKIP_2) | instid1(VALU_DEP_2)
	v_pk_fma_f32 v[112:113], v[106:107], v[96:97], v[110:111] op_sel:[0,0,1] op_sel_hi:[1,1,0] neg_lo:[0,0,1] neg_hi:[0,0,1]
	v_pk_fma_f32 v[106:107], v[106:107], v[96:97], v[110:111] op_sel:[0,0,1] op_sel_hi:[1,0,0]
	v_dual_mul_f32 v110, v109, v99 :: v_dual_mov_b32 v106, v109
	v_dual_mov_b32 v113, v107 :: v_dual_mov_b32 v107, v108
	s_delay_alu instid0(VALU_DEP_2) | instskip(SKIP_1) | instid1(VALU_DEP_3)
	v_pk_fma_f32 v[110:111], v[108:109], v[66:67], v[110:111] op_sel_hi:[1,1,0] neg_lo:[0,0,1] neg_hi:[0,0,1]
	v_mul_f32_e32 v108, v109, v96
	v_pk_add_f32 v[56:57], v[56:57], v[112:113] neg_lo:[0,1] neg_hi:[0,1]
	s_delay_alu instid0(VALU_DEP_2) | instskip(NEXT) | instid1(VALU_DEP_1)
	v_pk_fma_f32 v[106:107], v[106:107], v[66:67], v[108:109] op_sel_hi:[1,1,0]
	v_mov_b32_e32 v111, v107
	ds_load_2addr_b64 v[106:109], v100 offset0:27 offset1:28
	v_pk_add_f32 v[58:59], v[58:59], v[110:111] neg_lo:[0,1] neg_hi:[0,1]
	s_wait_dscnt 0x0
	v_pk_mul_f32 v[110:111], v[106:107], v[98:99] op_sel:[0,1]
	s_delay_alu instid0(VALU_DEP_1) | instskip(SKIP_1) | instid1(VALU_DEP_1)
	v_pk_fma_f32 v[112:113], v[106:107], v[96:97], v[110:111] op_sel:[0,0,1] op_sel_hi:[1,1,0] neg_lo:[0,0,1] neg_hi:[0,0,1]
	v_pk_fma_f32 v[106:107], v[106:107], v[96:97], v[110:111] op_sel:[0,0,1] op_sel_hi:[1,0,0]
	v_mov_b32_e32 v113, v107
	v_pk_mul_f32 v[106:107], v[108:109], v[98:99] op_sel:[0,1]
	s_delay_alu instid0(VALU_DEP_1) | instskip(SKIP_1) | instid1(VALU_DEP_1)
	v_pk_fma_f32 v[110:111], v[108:109], v[96:97], v[106:107] op_sel:[0,0,1] op_sel_hi:[1,1,0] neg_lo:[0,0,1] neg_hi:[0,0,1]
	v_pk_fma_f32 v[106:107], v[108:109], v[96:97], v[106:107] op_sel:[0,0,1] op_sel_hi:[1,0,0]
	v_mov_b32_e32 v111, v107
	ds_load_2addr_b64 v[106:109], v100 offset0:29 offset1:30
	v_pk_add_f32 v[54:55], v[54:55], v[112:113] neg_lo:[0,1] neg_hi:[0,1]
	v_pk_add_f32 v[48:49], v[48:49], v[110:111] neg_lo:[0,1] neg_hi:[0,1]
	s_wait_dscnt 0x0
	v_pk_mul_f32 v[110:111], v[106:107], v[98:99] op_sel:[0,1]
	s_delay_alu instid0(VALU_DEP_1) | instskip(SKIP_1) | instid1(VALU_DEP_1)
	v_pk_fma_f32 v[112:113], v[106:107], v[96:97], v[110:111] op_sel:[0,0,1] op_sel_hi:[1,1,0] neg_lo:[0,0,1] neg_hi:[0,0,1]
	v_pk_fma_f32 v[106:107], v[106:107], v[96:97], v[110:111] op_sel:[0,0,1] op_sel_hi:[1,0,0]
	v_mov_b32_e32 v113, v107
	v_pk_mul_f32 v[106:107], v[108:109], v[98:99] op_sel:[0,1]
	s_delay_alu instid0(VALU_DEP_1) | instskip(SKIP_1) | instid1(VALU_DEP_1)
	v_pk_fma_f32 v[110:111], v[108:109], v[96:97], v[106:107] op_sel:[0,0,1] op_sel_hi:[1,1,0] neg_lo:[0,0,1] neg_hi:[0,0,1]
	v_pk_fma_f32 v[106:107], v[108:109], v[96:97], v[106:107] op_sel:[0,0,1] op_sel_hi:[1,0,0]
	v_mov_b32_e32 v111, v107
	ds_load_2addr_b64 v[106:109], v100 offset0:31 offset1:32
	v_pk_add_f32 v[40:41], v[40:41], v[112:113] neg_lo:[0,1] neg_hi:[0,1]
	v_pk_add_f32 v[46:47], v[46:47], v[110:111] neg_lo:[0,1] neg_hi:[0,1]
	s_wait_dscnt 0x0
	v_dual_mul_f32 v110, v107, v99 :: v_dual_mul_f32 v112, v107, v96
	s_delay_alu instid0(VALU_DEP_1) | instskip(NEXT) | instid1(VALU_DEP_2)
	v_pk_fma_f32 v[110:111], v[106:107], v[66:67], v[110:111] op_sel_hi:[1,1,0] neg_lo:[0,0,1] neg_hi:[0,0,1]
	v_pk_fma_f32 v[106:107], v[106:107], v[66:67], v[112:113] op_sel:[1,0,0] op_sel_hi:[0,1,0]
	s_delay_alu instid0(VALU_DEP_1) | instskip(SKIP_1) | instid1(VALU_DEP_2)
	v_mov_b32_e32 v111, v107
	v_pk_mul_f32 v[106:107], v[108:109], v[98:99] op_sel:[0,1]
	v_pk_add_f32 v[38:39], v[38:39], v[110:111] neg_lo:[0,1] neg_hi:[0,1]
	s_delay_alu instid0(VALU_DEP_2) | instskip(SKIP_1) | instid1(VALU_DEP_1)
	v_pk_fma_f32 v[110:111], v[108:109], v[96:97], v[106:107] op_sel:[0,0,1] op_sel_hi:[1,1,0] neg_lo:[0,0,1] neg_hi:[0,0,1]
	v_pk_fma_f32 v[106:107], v[108:109], v[96:97], v[106:107] op_sel:[0,0,1] op_sel_hi:[1,0,0]
	v_mov_b32_e32 v111, v107
	ds_load_2addr_b64 v[106:109], v100 offset0:33 offset1:34
	v_pk_add_f32 v[30:31], v[30:31], v[110:111] neg_lo:[0,1] neg_hi:[0,1]
	s_wait_dscnt 0x0
	v_pk_mul_f32 v[110:111], v[106:107], v[98:99] op_sel:[0,1]
	s_delay_alu instid0(VALU_DEP_1) | instskip(SKIP_1) | instid1(VALU_DEP_1)
	v_pk_fma_f32 v[112:113], v[106:107], v[96:97], v[110:111] op_sel:[0,0,1] op_sel_hi:[1,1,0] neg_lo:[0,0,1] neg_hi:[0,0,1]
	v_pk_fma_f32 v[106:107], v[106:107], v[96:97], v[110:111] op_sel:[0,0,1] op_sel_hi:[1,0,0]
	v_mov_b32_e32 v113, v107
	v_pk_mul_f32 v[106:107], v[108:109], v[98:99] op_sel:[0,1]
	s_delay_alu instid0(VALU_DEP_2) | instskip(NEXT) | instid1(VALU_DEP_2)
	v_pk_add_f32 v[22:23], v[22:23], v[112:113] neg_lo:[0,1] neg_hi:[0,1]
	v_pk_fma_f32 v[110:111], v[108:109], v[96:97], v[106:107] op_sel:[0,0,1] op_sel_hi:[1,1,0] neg_lo:[0,0,1] neg_hi:[0,0,1]
	v_pk_fma_f32 v[106:107], v[108:109], v[96:97], v[106:107] op_sel:[0,0,1] op_sel_hi:[1,0,0]
	s_delay_alu instid0(VALU_DEP_1) | instskip(SKIP_4) | instid1(VALU_DEP_1)
	v_mov_b32_e32 v111, v107
	ds_load_2addr_b64 v[106:109], v100 offset0:35 offset1:36
	v_pk_add_f32 v[28:29], v[28:29], v[110:111] neg_lo:[0,1] neg_hi:[0,1]
	s_wait_dscnt 0x0
	v_pk_mul_f32 v[110:111], v[106:107], v[98:99] op_sel:[0,1]
	v_pk_fma_f32 v[112:113], v[106:107], v[96:97], v[110:111] op_sel:[0,0,1] op_sel_hi:[1,1,0] neg_lo:[0,0,1] neg_hi:[0,0,1]
	v_pk_fma_f32 v[106:107], v[106:107], v[96:97], v[110:111] op_sel:[0,0,1] op_sel_hi:[1,0,0]
	v_dual_mul_f32 v110, v109, v99 :: v_dual_mov_b32 v106, v109
	s_delay_alu instid0(VALU_DEP_2) | instskip(NEXT) | instid1(VALU_DEP_2)
	v_dual_mov_b32 v113, v107 :: v_dual_mov_b32 v107, v108
	v_pk_fma_f32 v[110:111], v[108:109], v[66:67], v[110:111] op_sel_hi:[1,1,0] neg_lo:[0,0,1] neg_hi:[0,0,1]
	v_mul_f32_e32 v108, v109, v96
	s_delay_alu instid0(VALU_DEP_3) | instskip(NEXT) | instid1(VALU_DEP_2)
	v_pk_add_f32 v[20:21], v[20:21], v[112:113] neg_lo:[0,1] neg_hi:[0,1]
	v_pk_fma_f32 v[106:107], v[106:107], v[66:67], v[108:109] op_sel_hi:[1,1,0]
	s_delay_alu instid0(VALU_DEP_1) | instskip(SKIP_4) | instid1(VALU_DEP_1)
	v_mov_b32_e32 v111, v107
	ds_load_2addr_b64 v[106:109], v100 offset0:37 offset1:38
	v_pk_add_f32 v[14:15], v[14:15], v[110:111] neg_lo:[0,1] neg_hi:[0,1]
	s_wait_dscnt 0x0
	v_pk_mul_f32 v[110:111], v[106:107], v[98:99] op_sel:[0,1]
	v_pk_fma_f32 v[112:113], v[106:107], v[96:97], v[110:111] op_sel:[0,0,1] op_sel_hi:[1,1,0] neg_lo:[0,0,1] neg_hi:[0,0,1]
	v_pk_fma_f32 v[106:107], v[106:107], v[96:97], v[110:111] op_sel:[0,0,1] op_sel_hi:[1,0,0]
	s_delay_alu instid0(VALU_DEP_1) | instskip(SKIP_1) | instid1(VALU_DEP_1)
	v_mov_b32_e32 v113, v107
	v_pk_mul_f32 v[106:107], v[108:109], v[98:99] op_sel:[0,1]
	v_pk_fma_f32 v[110:111], v[108:109], v[96:97], v[106:107] op_sel:[0,0,1] op_sel_hi:[1,1,0] neg_lo:[0,0,1] neg_hi:[0,0,1]
	v_pk_fma_f32 v[106:107], v[108:109], v[96:97], v[106:107] op_sel:[0,0,1] op_sel_hi:[1,0,0]
	s_delay_alu instid0(VALU_DEP_1)
	v_mov_b32_e32 v111, v107
	ds_load_2addr_b64 v[106:109], v100 offset0:39 offset1:40
	v_pk_add_f32 v[10:11], v[10:11], v[112:113] neg_lo:[0,1] neg_hi:[0,1]
	v_pk_add_f32 v[12:13], v[12:13], v[110:111] neg_lo:[0,1] neg_hi:[0,1]
	s_wait_dscnt 0x0
	v_pk_mul_f32 v[110:111], v[106:107], v[98:99] op_sel:[0,1]
	s_delay_alu instid0(VALU_DEP_1) | instskip(SKIP_1) | instid1(VALU_DEP_1)
	v_pk_fma_f32 v[112:113], v[106:107], v[96:97], v[110:111] op_sel:[0,0,1] op_sel_hi:[1,1,0] neg_lo:[0,0,1] neg_hi:[0,0,1]
	v_pk_fma_f32 v[106:107], v[106:107], v[96:97], v[110:111] op_sel:[0,0,1] op_sel_hi:[1,0,0]
	v_mov_b32_e32 v113, v107
	v_pk_mul_f32 v[106:107], v[108:109], v[98:99] op_sel:[0,1]
	s_delay_alu instid0(VALU_DEP_1) | instskip(SKIP_1) | instid1(VALU_DEP_1)
	v_pk_fma_f32 v[110:111], v[108:109], v[96:97], v[106:107] op_sel:[0,0,1] op_sel_hi:[1,1,0] neg_lo:[0,0,1] neg_hi:[0,0,1]
	v_pk_fma_f32 v[106:107], v[108:109], v[96:97], v[106:107] op_sel:[0,0,1] op_sel_hi:[1,0,0]
	v_mov_b32_e32 v111, v107
	ds_load_2addr_b64 v[106:109], v100 offset0:41 offset1:42
	v_pk_add_f32 v[8:9], v[8:9], v[112:113] neg_lo:[0,1] neg_hi:[0,1]
	v_pk_add_f32 v[6:7], v[6:7], v[110:111] neg_lo:[0,1] neg_hi:[0,1]
	s_wait_dscnt 0x0
	v_dual_mul_f32 v110, v107, v99 :: v_dual_mul_f32 v112, v107, v96
	s_delay_alu instid0(VALU_DEP_1) | instskip(NEXT) | instid1(VALU_DEP_2)
	v_pk_fma_f32 v[110:111], v[106:107], v[66:67], v[110:111] op_sel_hi:[1,1,0] neg_lo:[0,0,1] neg_hi:[0,0,1]
	v_pk_fma_f32 v[106:107], v[106:107], v[66:67], v[112:113] op_sel:[1,0,0] op_sel_hi:[0,1,0]
	s_delay_alu instid0(VALU_DEP_1) | instskip(SKIP_1) | instid1(VALU_DEP_2)
	v_mov_b32_e32 v111, v107
	v_pk_mul_f32 v[106:107], v[108:109], v[98:99] op_sel:[0,1]
	v_pk_add_f32 v[36:37], v[36:37], v[110:111] neg_lo:[0,1] neg_hi:[0,1]
	s_delay_alu instid0(VALU_DEP_2) | instskip(SKIP_1) | instid1(VALU_DEP_1)
	v_pk_fma_f32 v[110:111], v[108:109], v[96:97], v[106:107] op_sel:[0,0,1] op_sel_hi:[1,1,0] neg_lo:[0,0,1] neg_hi:[0,0,1]
	v_pk_fma_f32 v[106:107], v[108:109], v[96:97], v[106:107] op_sel:[0,0,1] op_sel_hi:[1,0,0]
	v_mov_b32_e32 v111, v107
	ds_load_2addr_b64 v[106:109], v100 offset0:43 offset1:44
	v_pk_add_f32 v[18:19], v[18:19], v[110:111] neg_lo:[0,1] neg_hi:[0,1]
	s_wait_dscnt 0x0
	v_pk_mul_f32 v[110:111], v[106:107], v[98:99] op_sel:[0,1]
	v_pk_mul_f32 v[98:99], v[108:109], v[98:99] op_sel:[0,1]
	s_delay_alu instid0(VALU_DEP_2) | instskip(SKIP_1) | instid1(VALU_DEP_1)
	v_pk_fma_f32 v[112:113], v[106:107], v[96:97], v[110:111] op_sel:[0,0,1] op_sel_hi:[1,1,0] neg_lo:[0,0,1] neg_hi:[0,0,1]
	v_pk_fma_f32 v[106:107], v[106:107], v[96:97], v[110:111] op_sel:[0,0,1] op_sel_hi:[1,0,0]
	v_mov_b32_e32 v113, v107
	s_delay_alu instid0(VALU_DEP_4) | instskip(SKIP_1) | instid1(VALU_DEP_3)
	v_pk_fma_f32 v[106:107], v[108:109], v[96:97], v[98:99] op_sel:[0,0,1] op_sel_hi:[1,1,0] neg_lo:[0,0,1] neg_hi:[0,0,1]
	v_pk_fma_f32 v[96:97], v[108:109], v[96:97], v[98:99] op_sel:[0,0,1] op_sel_hi:[1,0,0]
	v_pk_add_f32 v[16:17], v[16:17], v[112:113] neg_lo:[0,1] neg_hi:[0,1]
	s_delay_alu instid0(VALU_DEP_2) | instskip(NEXT) | instid1(VALU_DEP_1)
	v_mov_b32_e32 v107, v97
	v_pk_add_f32 v[94:95], v[94:95], v[106:107] neg_lo:[0,1] neg_hi:[0,1]
.LBB88_482:
	s_or_b32 exec_lo, exec_lo, s0
	v_lshl_add_u32 v96, v104, 3, v100
	s_barrier_signal -1
	s_barrier_wait -1
	ds_store_b64 v96, v[62:63]
	s_wait_dscnt 0x0
	s_barrier_signal -1
	s_barrier_wait -1
	ds_load_b64 v[98:99], v100 offset:184
	v_mov_b32_e32 v96, 23
	s_cmp_lt_i32 s18, 25
	s_cbranch_scc1 .LBB88_485
; %bb.483:
	v_add3_u32 v97, v101, 0, 0xc0
	v_mov_b32_e32 v96, 23
	s_mov_b32 s0, 24
.LBB88_484:                             ; =>This Inner Loop Header: Depth=1
	ds_load_b64 v[106:107], v97
	s_wait_dscnt 0x1
	v_cmp_gt_f32_e32 vcc_lo, 0, v98
	v_cndmask_b32_e64 v108, v98, -v98, vcc_lo
	v_cmp_gt_f32_e32 vcc_lo, 0, v99
	v_cndmask_b32_e64 v110, v99, -v99, vcc_lo
	s_wait_dscnt 0x0
	v_cmp_gt_f32_e32 vcc_lo, 0, v106
	v_cndmask_b32_e64 v109, v106, -v106, vcc_lo
	v_cmp_gt_f32_e32 vcc_lo, 0, v107
	v_cndmask_b32_e64 v111, v107, -v107, vcc_lo
	s_delay_alu instid0(VALU_DEP_1) | instskip(NEXT) | instid1(VALU_DEP_1)
	v_pk_add_f32 v[108:109], v[108:109], v[110:111]
	v_cmp_lt_f32_e32 vcc_lo, v108, v109
	v_dual_add_nc_u32 v97, 8, v97 :: v_dual_cndmask_b32 v99, v99, v107, vcc_lo
	v_cndmask_b32_e32 v98, v98, v106, vcc_lo
	v_cndmask_b32_e64 v96, v96, s0, vcc_lo
	s_add_co_i32 s0, s0, 1
	s_delay_alu instid0(SALU_CYCLE_1)
	s_cmp_lg_u32 s18, s0
	s_cbranch_scc1 .LBB88_484
.LBB88_485:
	s_wait_dscnt 0x0
	v_cmp_eq_f32_e32 vcc_lo, 0, v98
	v_cmp_eq_f32_e64 s0, 0, v99
	s_and_b32 s0, vcc_lo, s0
	s_delay_alu instid0(SALU_CYCLE_1) | instskip(NEXT) | instid1(SALU_CYCLE_1)
	s_and_saveexec_b32 s1, s0
	s_xor_b32 s0, exec_lo, s1
; %bb.486:
	v_cmp_ne_u32_e32 vcc_lo, 0, v102
	v_cndmask_b32_e32 v102, 24, v102, vcc_lo
; %bb.487:
	s_and_not1_saveexec_b32 s0, s0
	s_cbranch_execz .LBB88_493
; %bb.488:
	v_cmp_ngt_f32_e64 s1, |v98|, |v99|
	s_and_saveexec_b32 s12, s1
	s_delay_alu instid0(SALU_CYCLE_1)
	s_xor_b32 s1, exec_lo, s12
	s_cbranch_execz .LBB88_490
; %bb.489:
	v_div_scale_f32 v97, null, v99, v99, v98
	v_div_scale_f32 v107, vcc_lo, v98, v99, v98
	s_delay_alu instid0(VALU_DEP_2) | instskip(SKIP_1) | instid1(TRANS32_DEP_1)
	v_rcp_f32_e32 v105, v97
	v_nop
	v_fma_f32 v106, -v97, v105, 1.0
	s_delay_alu instid0(VALU_DEP_1) | instskip(NEXT) | instid1(VALU_DEP_1)
	v_fmac_f32_e32 v105, v106, v105
	v_mul_f32_e32 v106, v107, v105
	s_delay_alu instid0(VALU_DEP_1) | instskip(NEXT) | instid1(VALU_DEP_1)
	v_fma_f32 v108, -v97, v106, v107
	v_fmac_f32_e32 v106, v108, v105
	s_delay_alu instid0(VALU_DEP_1) | instskip(NEXT) | instid1(VALU_DEP_1)
	v_fma_f32 v97, -v97, v106, v107
	v_div_fmas_f32 v97, v97, v105, v106
	s_delay_alu instid0(VALU_DEP_1) | instskip(NEXT) | instid1(VALU_DEP_1)
	v_div_fixup_f32 v97, v97, v99, v98
	v_fmac_f32_e32 v99, v98, v97
	s_delay_alu instid0(VALU_DEP_1) | instskip(SKIP_1) | instid1(VALU_DEP_2)
	v_div_scale_f32 v98, null, v99, v99, 1.0
	v_div_scale_f32 v107, vcc_lo, 1.0, v99, 1.0
	v_rcp_f32_e32 v105, v98
	v_nop
	s_delay_alu instid0(TRANS32_DEP_1) | instskip(NEXT) | instid1(VALU_DEP_1)
	v_fma_f32 v106, -v98, v105, 1.0
	v_fmac_f32_e32 v105, v106, v105
	s_delay_alu instid0(VALU_DEP_1) | instskip(NEXT) | instid1(VALU_DEP_1)
	v_mul_f32_e32 v106, v107, v105
	v_fma_f32 v108, -v98, v106, v107
	s_delay_alu instid0(VALU_DEP_1) | instskip(NEXT) | instid1(VALU_DEP_1)
	v_fmac_f32_e32 v106, v108, v105
	v_fma_f32 v98, -v98, v106, v107
	s_delay_alu instid0(VALU_DEP_1) | instskip(NEXT) | instid1(VALU_DEP_1)
	v_div_fmas_f32 v98, v98, v105, v106
	v_div_fixup_f32 v99, v98, v99, 1.0
	s_delay_alu instid0(VALU_DEP_1)
	v_mul_f32_e32 v98, v97, v99
	v_xor_b32_e32 v99, 0x80000000, v99
.LBB88_490:
	s_and_not1_saveexec_b32 s1, s1
	s_cbranch_execz .LBB88_492
; %bb.491:
	s_delay_alu instid0(VALU_DEP_1) | instskip(SKIP_1) | instid1(VALU_DEP_2)
	v_div_scale_f32 v97, null, v98, v98, v99
	v_div_scale_f32 v107, vcc_lo, v99, v98, v99
	v_rcp_f32_e32 v105, v97
	v_nop
	s_delay_alu instid0(TRANS32_DEP_1) | instskip(NEXT) | instid1(VALU_DEP_1)
	v_fma_f32 v106, -v97, v105, 1.0
	v_fmac_f32_e32 v105, v106, v105
	s_delay_alu instid0(VALU_DEP_1) | instskip(NEXT) | instid1(VALU_DEP_1)
	v_mul_f32_e32 v106, v107, v105
	v_fma_f32 v108, -v97, v106, v107
	s_delay_alu instid0(VALU_DEP_1) | instskip(NEXT) | instid1(VALU_DEP_1)
	v_fmac_f32_e32 v106, v108, v105
	v_fma_f32 v97, -v97, v106, v107
	s_delay_alu instid0(VALU_DEP_1) | instskip(NEXT) | instid1(VALU_DEP_1)
	v_div_fmas_f32 v97, v97, v105, v106
	v_div_fixup_f32 v97, v97, v98, v99
	s_delay_alu instid0(VALU_DEP_1) | instskip(NEXT) | instid1(VALU_DEP_1)
	v_fmac_f32_e32 v98, v99, v97
	v_div_scale_f32 v99, null, v98, v98, 1.0
	s_delay_alu instid0(VALU_DEP_1) | instskip(SKIP_1) | instid1(TRANS32_DEP_1)
	v_rcp_f32_e32 v105, v99
	v_nop
	v_fma_f32 v106, -v99, v105, 1.0
	s_delay_alu instid0(VALU_DEP_1) | instskip(SKIP_1) | instid1(VALU_DEP_1)
	v_fmac_f32_e32 v105, v106, v105
	v_div_scale_f32 v106, vcc_lo, 1.0, v98, 1.0
	v_mul_f32_e32 v107, v106, v105
	s_delay_alu instid0(VALU_DEP_1) | instskip(NEXT) | instid1(VALU_DEP_1)
	v_fma_f32 v108, -v99, v107, v106
	v_fmac_f32_e32 v107, v108, v105
	s_delay_alu instid0(VALU_DEP_1) | instskip(NEXT) | instid1(VALU_DEP_1)
	v_fma_f32 v99, -v99, v107, v106
	v_div_fmas_f32 v99, v99, v105, v107
	s_delay_alu instid0(VALU_DEP_1) | instskip(NEXT) | instid1(VALU_DEP_1)
	v_div_fixup_f32 v98, v99, v98, 1.0
	v_mul_f32_e64 v99, v97, -v98
.LBB88_492:
	s_or_b32 exec_lo, exec_lo, s1
.LBB88_493:
	s_delay_alu instid0(SALU_CYCLE_1) | instskip(NEXT) | instid1(SALU_CYCLE_1)
	s_or_b32 exec_lo, exec_lo, s0
	s_mov_b32 s0, exec_lo
	v_cmpx_ne_u32_e64 v104, v96
	s_xor_b32 s0, exec_lo, s0
	s_cbranch_execz .LBB88_499
; %bb.494:
	s_mov_b32 s1, exec_lo
	v_cmpx_eq_u32_e32 23, v104
	s_cbranch_execz .LBB88_498
; %bb.495:
	v_cmp_ne_u32_e32 vcc_lo, 23, v96
	s_xor_b32 s12, s16, -1
	s_delay_alu instid0(SALU_CYCLE_1) | instskip(NEXT) | instid1(SALU_CYCLE_1)
	s_and_b32 s13, s12, vcc_lo
	s_and_saveexec_b32 s12, s13
	s_cbranch_execz .LBB88_497
; %bb.496:
	v_ashrrev_i32_e32 v97, 31, v96
	s_delay_alu instid0(VALU_DEP_1)
	v_lshl_add_u64 v[104:105], v[96:97], 2, v[4:5]
	s_clause 0x1
	global_load_b32 v97, v[104:105], off
	global_load_b32 v103, v[4:5], off offset:92
	s_wait_loadcnt 0x1
	global_store_b32 v[4:5], v97, off offset:92
	s_wait_loadcnt 0x0
	global_store_b32 v[104:105], v103, off
.LBB88_497:
	s_wait_xcnt 0x0
	s_or_b32 exec_lo, exec_lo, s12
	v_dual_mov_b32 v104, v96 :: v_dual_mov_b32 v103, v96
.LBB88_498:
	s_or_b32 exec_lo, exec_lo, s1
.LBB88_499:
	s_and_not1_saveexec_b32 s0, s0
	s_cbranch_execz .LBB88_501
; %bb.500:
	v_dual_mov_b32 v96, v60 :: v_dual_mov_b32 v97, v61
	v_dual_mov_b32 v104, v56 :: v_dual_mov_b32 v105, v57
	;; [unrolled: 1-line block ×12, first 2 shown]
	ds_store_2addr_b64 v100, v[96:97], v[104:105] offset0:24 offset1:25
	ds_store_2addr_b64 v100, v[106:107], v[108:109] offset0:26 offset1:27
	ds_store_2addr_b64 v100, v[110:111], v[112:113] offset0:28 offset1:29
	ds_store_2addr_b64 v100, v[114:115], v[116:117] offset0:30 offset1:31
	ds_store_2addr_b64 v100, v[118:119], v[120:121] offset0:32 offset1:33
	ds_store_2addr_b64 v100, v[122:123], v[124:125] offset0:34 offset1:35
	v_dual_mov_b32 v96, v14 :: v_dual_mov_b32 v97, v15
	v_dual_mov_b32 v106, v10 :: v_dual_mov_b32 v107, v11
	;; [unrolled: 1-line block ×8, first 2 shown]
	v_mov_b32_e32 v119, v17
	ds_store_2addr_b64 v100, v[96:97], v[106:107] offset0:36 offset1:37
	ds_store_2addr_b64 v100, v[108:109], v[110:111] offset0:38 offset1:39
	;; [unrolled: 1-line block ×4, first 2 shown]
	ds_store_b64 v100, v[94:95] offset:352
.LBB88_501:
	s_or_b32 exec_lo, exec_lo, s0
	s_delay_alu instid0(SALU_CYCLE_1)
	s_mov_b32 s0, exec_lo
	s_wait_storecnt_dscnt 0x0
	s_barrier_signal -1
	s_barrier_wait -1
	v_cmpx_lt_i32_e32 23, v104
	s_cbranch_execz .LBB88_503
; %bb.502:
	v_pk_mul_f32 v[106:107], v[98:99], v[62:63] op_sel:[1,1] op_sel_hi:[0,1]
	s_delay_alu instid0(VALU_DEP_1)
	v_pk_fma_f32 v[96:97], v[98:99], v[62:63], v[106:107] op_sel_hi:[1,0,1] neg_lo:[0,0,1] neg_hi:[0,0,1]
	v_pk_fma_f32 v[98:99], v[98:99], v[62:63], v[106:107] op_sel_hi:[1,0,1]
	ds_load_2addr_b64 v[106:109], v100 offset0:24 offset1:25
	v_dual_mov_b32 v62, v96 :: v_dual_mov_b32 v63, v99
	s_wait_dscnt 0x0
	v_pk_mul_f32 v[110:111], v[106:107], v[98:99] op_sel:[0,1]
	s_delay_alu instid0(VALU_DEP_1) | instskip(SKIP_1) | instid1(VALU_DEP_1)
	v_pk_fma_f32 v[112:113], v[106:107], v[96:97], v[110:111] op_sel:[0,0,1] op_sel_hi:[1,1,0] neg_lo:[0,0,1] neg_hi:[0,0,1]
	v_pk_fma_f32 v[106:107], v[106:107], v[96:97], v[110:111] op_sel:[0,0,1] op_sel_hi:[1,0,0]
	v_mov_b32_e32 v113, v107
	v_pk_mul_f32 v[106:107], v[108:109], v[98:99] op_sel:[0,1]
	s_delay_alu instid0(VALU_DEP_1) | instskip(SKIP_1) | instid1(VALU_DEP_1)
	v_pk_fma_f32 v[110:111], v[108:109], v[96:97], v[106:107] op_sel:[0,0,1] op_sel_hi:[1,1,0] neg_lo:[0,0,1] neg_hi:[0,0,1]
	v_pk_fma_f32 v[106:107], v[108:109], v[96:97], v[106:107] op_sel:[0,0,1] op_sel_hi:[1,0,0]
	v_mov_b32_e32 v111, v107
	ds_load_2addr_b64 v[106:109], v100 offset0:26 offset1:27
	v_pk_add_f32 v[60:61], v[60:61], v[112:113] neg_lo:[0,1] neg_hi:[0,1]
	v_pk_add_f32 v[56:57], v[56:57], v[110:111] neg_lo:[0,1] neg_hi:[0,1]
	s_wait_dscnt 0x0
	v_pk_mul_f32 v[110:111], v[106:107], v[98:99] op_sel:[0,1]
	s_delay_alu instid0(VALU_DEP_1) | instskip(SKIP_2) | instid1(VALU_DEP_2)
	v_pk_fma_f32 v[112:113], v[106:107], v[96:97], v[110:111] op_sel:[0,0,1] op_sel_hi:[1,1,0] neg_lo:[0,0,1] neg_hi:[0,0,1]
	v_pk_fma_f32 v[106:107], v[106:107], v[96:97], v[110:111] op_sel:[0,0,1] op_sel_hi:[1,0,0]
	v_dual_mul_f32 v110, v109, v99 :: v_dual_mov_b32 v106, v109
	v_dual_mov_b32 v113, v107 :: v_dual_mov_b32 v107, v108
	s_delay_alu instid0(VALU_DEP_2) | instskip(SKIP_1) | instid1(VALU_DEP_3)
	v_pk_fma_f32 v[110:111], v[108:109], v[62:63], v[110:111] op_sel_hi:[1,1,0] neg_lo:[0,0,1] neg_hi:[0,0,1]
	v_mul_f32_e32 v108, v109, v96
	v_pk_add_f32 v[58:59], v[58:59], v[112:113] neg_lo:[0,1] neg_hi:[0,1]
	s_delay_alu instid0(VALU_DEP_2) | instskip(NEXT) | instid1(VALU_DEP_1)
	v_pk_fma_f32 v[106:107], v[106:107], v[62:63], v[108:109] op_sel_hi:[1,1,0]
	v_mov_b32_e32 v111, v107
	ds_load_2addr_b64 v[106:109], v100 offset0:28 offset1:29
	v_pk_add_f32 v[54:55], v[54:55], v[110:111] neg_lo:[0,1] neg_hi:[0,1]
	s_wait_dscnt 0x0
	v_pk_mul_f32 v[110:111], v[106:107], v[98:99] op_sel:[0,1]
	s_delay_alu instid0(VALU_DEP_1) | instskip(SKIP_1) | instid1(VALU_DEP_1)
	v_pk_fma_f32 v[112:113], v[106:107], v[96:97], v[110:111] op_sel:[0,0,1] op_sel_hi:[1,1,0] neg_lo:[0,0,1] neg_hi:[0,0,1]
	v_pk_fma_f32 v[106:107], v[106:107], v[96:97], v[110:111] op_sel:[0,0,1] op_sel_hi:[1,0,0]
	v_mov_b32_e32 v113, v107
	v_pk_mul_f32 v[106:107], v[108:109], v[98:99] op_sel:[0,1]
	s_delay_alu instid0(VALU_DEP_1) | instskip(SKIP_1) | instid1(VALU_DEP_1)
	v_pk_fma_f32 v[110:111], v[108:109], v[96:97], v[106:107] op_sel:[0,0,1] op_sel_hi:[1,1,0] neg_lo:[0,0,1] neg_hi:[0,0,1]
	v_pk_fma_f32 v[106:107], v[108:109], v[96:97], v[106:107] op_sel:[0,0,1] op_sel_hi:[1,0,0]
	v_mov_b32_e32 v111, v107
	ds_load_2addr_b64 v[106:109], v100 offset0:30 offset1:31
	v_pk_add_f32 v[48:49], v[48:49], v[112:113] neg_lo:[0,1] neg_hi:[0,1]
	v_pk_add_f32 v[40:41], v[40:41], v[110:111] neg_lo:[0,1] neg_hi:[0,1]
	s_wait_dscnt 0x0
	v_pk_mul_f32 v[110:111], v[106:107], v[98:99] op_sel:[0,1]
	s_delay_alu instid0(VALU_DEP_1) | instskip(SKIP_1) | instid1(VALU_DEP_1)
	v_pk_fma_f32 v[112:113], v[106:107], v[96:97], v[110:111] op_sel:[0,0,1] op_sel_hi:[1,1,0] neg_lo:[0,0,1] neg_hi:[0,0,1]
	v_pk_fma_f32 v[106:107], v[106:107], v[96:97], v[110:111] op_sel:[0,0,1] op_sel_hi:[1,0,0]
	v_mov_b32_e32 v113, v107
	v_pk_mul_f32 v[106:107], v[108:109], v[98:99] op_sel:[0,1]
	s_delay_alu instid0(VALU_DEP_1) | instskip(SKIP_1) | instid1(VALU_DEP_1)
	v_pk_fma_f32 v[110:111], v[108:109], v[96:97], v[106:107] op_sel:[0,0,1] op_sel_hi:[1,1,0] neg_lo:[0,0,1] neg_hi:[0,0,1]
	v_pk_fma_f32 v[106:107], v[108:109], v[96:97], v[106:107] op_sel:[0,0,1] op_sel_hi:[1,0,0]
	v_mov_b32_e32 v111, v107
	ds_load_2addr_b64 v[106:109], v100 offset0:32 offset1:33
	v_pk_add_f32 v[46:47], v[46:47], v[112:113] neg_lo:[0,1] neg_hi:[0,1]
	v_pk_add_f32 v[38:39], v[38:39], v[110:111] neg_lo:[0,1] neg_hi:[0,1]
	s_wait_dscnt 0x0
	v_dual_mul_f32 v110, v107, v99 :: v_dual_mul_f32 v112, v107, v96
	s_delay_alu instid0(VALU_DEP_1) | instskip(NEXT) | instid1(VALU_DEP_2)
	v_pk_fma_f32 v[110:111], v[106:107], v[62:63], v[110:111] op_sel_hi:[1,1,0] neg_lo:[0,0,1] neg_hi:[0,0,1]
	v_pk_fma_f32 v[106:107], v[106:107], v[62:63], v[112:113] op_sel:[1,0,0] op_sel_hi:[0,1,0]
	s_delay_alu instid0(VALU_DEP_1) | instskip(SKIP_1) | instid1(VALU_DEP_2)
	v_mov_b32_e32 v111, v107
	v_pk_mul_f32 v[106:107], v[108:109], v[98:99] op_sel:[0,1]
	v_pk_add_f32 v[30:31], v[30:31], v[110:111] neg_lo:[0,1] neg_hi:[0,1]
	s_delay_alu instid0(VALU_DEP_2) | instskip(SKIP_1) | instid1(VALU_DEP_1)
	v_pk_fma_f32 v[110:111], v[108:109], v[96:97], v[106:107] op_sel:[0,0,1] op_sel_hi:[1,1,0] neg_lo:[0,0,1] neg_hi:[0,0,1]
	v_pk_fma_f32 v[106:107], v[108:109], v[96:97], v[106:107] op_sel:[0,0,1] op_sel_hi:[1,0,0]
	v_mov_b32_e32 v111, v107
	ds_load_2addr_b64 v[106:109], v100 offset0:34 offset1:35
	v_pk_add_f32 v[22:23], v[22:23], v[110:111] neg_lo:[0,1] neg_hi:[0,1]
	s_wait_dscnt 0x0
	v_pk_mul_f32 v[110:111], v[106:107], v[98:99] op_sel:[0,1]
	s_delay_alu instid0(VALU_DEP_1) | instskip(SKIP_1) | instid1(VALU_DEP_1)
	v_pk_fma_f32 v[112:113], v[106:107], v[96:97], v[110:111] op_sel:[0,0,1] op_sel_hi:[1,1,0] neg_lo:[0,0,1] neg_hi:[0,0,1]
	v_pk_fma_f32 v[106:107], v[106:107], v[96:97], v[110:111] op_sel:[0,0,1] op_sel_hi:[1,0,0]
	v_mov_b32_e32 v113, v107
	v_pk_mul_f32 v[106:107], v[108:109], v[98:99] op_sel:[0,1]
	s_delay_alu instid0(VALU_DEP_2) | instskip(NEXT) | instid1(VALU_DEP_2)
	v_pk_add_f32 v[28:29], v[28:29], v[112:113] neg_lo:[0,1] neg_hi:[0,1]
	v_pk_fma_f32 v[110:111], v[108:109], v[96:97], v[106:107] op_sel:[0,0,1] op_sel_hi:[1,1,0] neg_lo:[0,0,1] neg_hi:[0,0,1]
	v_pk_fma_f32 v[106:107], v[108:109], v[96:97], v[106:107] op_sel:[0,0,1] op_sel_hi:[1,0,0]
	s_delay_alu instid0(VALU_DEP_1) | instskip(SKIP_4) | instid1(VALU_DEP_1)
	v_mov_b32_e32 v111, v107
	ds_load_2addr_b64 v[106:109], v100 offset0:36 offset1:37
	v_pk_add_f32 v[20:21], v[20:21], v[110:111] neg_lo:[0,1] neg_hi:[0,1]
	s_wait_dscnt 0x0
	v_pk_mul_f32 v[110:111], v[106:107], v[98:99] op_sel:[0,1]
	v_pk_fma_f32 v[112:113], v[106:107], v[96:97], v[110:111] op_sel:[0,0,1] op_sel_hi:[1,1,0] neg_lo:[0,0,1] neg_hi:[0,0,1]
	v_pk_fma_f32 v[106:107], v[106:107], v[96:97], v[110:111] op_sel:[0,0,1] op_sel_hi:[1,0,0]
	v_dual_mul_f32 v110, v109, v99 :: v_dual_mov_b32 v106, v109
	s_delay_alu instid0(VALU_DEP_2) | instskip(NEXT) | instid1(VALU_DEP_2)
	v_dual_mov_b32 v113, v107 :: v_dual_mov_b32 v107, v108
	v_pk_fma_f32 v[110:111], v[108:109], v[62:63], v[110:111] op_sel_hi:[1,1,0] neg_lo:[0,0,1] neg_hi:[0,0,1]
	v_mul_f32_e32 v108, v109, v96
	s_delay_alu instid0(VALU_DEP_3) | instskip(NEXT) | instid1(VALU_DEP_2)
	v_pk_add_f32 v[14:15], v[14:15], v[112:113] neg_lo:[0,1] neg_hi:[0,1]
	v_pk_fma_f32 v[106:107], v[106:107], v[62:63], v[108:109] op_sel_hi:[1,1,0]
	s_delay_alu instid0(VALU_DEP_1) | instskip(SKIP_4) | instid1(VALU_DEP_1)
	v_mov_b32_e32 v111, v107
	ds_load_2addr_b64 v[106:109], v100 offset0:38 offset1:39
	v_pk_add_f32 v[10:11], v[10:11], v[110:111] neg_lo:[0,1] neg_hi:[0,1]
	s_wait_dscnt 0x0
	v_pk_mul_f32 v[110:111], v[106:107], v[98:99] op_sel:[0,1]
	v_pk_fma_f32 v[112:113], v[106:107], v[96:97], v[110:111] op_sel:[0,0,1] op_sel_hi:[1,1,0] neg_lo:[0,0,1] neg_hi:[0,0,1]
	v_pk_fma_f32 v[106:107], v[106:107], v[96:97], v[110:111] op_sel:[0,0,1] op_sel_hi:[1,0,0]
	s_delay_alu instid0(VALU_DEP_1) | instskip(SKIP_1) | instid1(VALU_DEP_1)
	v_mov_b32_e32 v113, v107
	v_pk_mul_f32 v[106:107], v[108:109], v[98:99] op_sel:[0,1]
	v_pk_fma_f32 v[110:111], v[108:109], v[96:97], v[106:107] op_sel:[0,0,1] op_sel_hi:[1,1,0] neg_lo:[0,0,1] neg_hi:[0,0,1]
	v_pk_fma_f32 v[106:107], v[108:109], v[96:97], v[106:107] op_sel:[0,0,1] op_sel_hi:[1,0,0]
	s_delay_alu instid0(VALU_DEP_1)
	v_mov_b32_e32 v111, v107
	ds_load_2addr_b64 v[106:109], v100 offset0:40 offset1:41
	v_pk_add_f32 v[12:13], v[12:13], v[112:113] neg_lo:[0,1] neg_hi:[0,1]
	v_pk_add_f32 v[8:9], v[8:9], v[110:111] neg_lo:[0,1] neg_hi:[0,1]
	s_wait_dscnt 0x0
	v_pk_mul_f32 v[110:111], v[106:107], v[98:99] op_sel:[0,1]
	s_delay_alu instid0(VALU_DEP_1) | instskip(SKIP_1) | instid1(VALU_DEP_1)
	v_pk_fma_f32 v[112:113], v[106:107], v[96:97], v[110:111] op_sel:[0,0,1] op_sel_hi:[1,1,0] neg_lo:[0,0,1] neg_hi:[0,0,1]
	v_pk_fma_f32 v[106:107], v[106:107], v[96:97], v[110:111] op_sel:[0,0,1] op_sel_hi:[1,0,0]
	v_mov_b32_e32 v113, v107
	v_pk_mul_f32 v[106:107], v[108:109], v[98:99] op_sel:[0,1]
	s_delay_alu instid0(VALU_DEP_1) | instskip(SKIP_1) | instid1(VALU_DEP_1)
	v_pk_fma_f32 v[110:111], v[108:109], v[96:97], v[106:107] op_sel:[0,0,1] op_sel_hi:[1,1,0] neg_lo:[0,0,1] neg_hi:[0,0,1]
	v_pk_fma_f32 v[106:107], v[108:109], v[96:97], v[106:107] op_sel:[0,0,1] op_sel_hi:[1,0,0]
	v_mov_b32_e32 v111, v107
	ds_load_2addr_b64 v[106:109], v100 offset0:42 offset1:43
	v_pk_add_f32 v[6:7], v[6:7], v[112:113] neg_lo:[0,1] neg_hi:[0,1]
	v_pk_add_f32 v[36:37], v[36:37], v[110:111] neg_lo:[0,1] neg_hi:[0,1]
	s_wait_dscnt 0x0
	v_dual_mul_f32 v110, v107, v99 :: v_dual_mul_f32 v112, v107, v96
	s_delay_alu instid0(VALU_DEP_1) | instskip(NEXT) | instid1(VALU_DEP_2)
	v_pk_fma_f32 v[110:111], v[106:107], v[62:63], v[110:111] op_sel_hi:[1,1,0] neg_lo:[0,0,1] neg_hi:[0,0,1]
	v_pk_fma_f32 v[106:107], v[106:107], v[62:63], v[112:113] op_sel:[1,0,0] op_sel_hi:[0,1,0]
	s_delay_alu instid0(VALU_DEP_1) | instskip(SKIP_1) | instid1(VALU_DEP_2)
	v_mov_b32_e32 v111, v107
	v_pk_mul_f32 v[106:107], v[108:109], v[98:99] op_sel:[0,1]
	v_pk_add_f32 v[18:19], v[18:19], v[110:111] neg_lo:[0,1] neg_hi:[0,1]
	s_delay_alu instid0(VALU_DEP_2) | instskip(SKIP_1) | instid1(VALU_DEP_1)
	v_pk_fma_f32 v[110:111], v[108:109], v[96:97], v[106:107] op_sel:[0,0,1] op_sel_hi:[1,1,0] neg_lo:[0,0,1] neg_hi:[0,0,1]
	v_pk_fma_f32 v[106:107], v[108:109], v[96:97], v[106:107] op_sel:[0,0,1] op_sel_hi:[1,0,0]
	v_mov_b32_e32 v111, v107
	ds_load_b64 v[106:107], v100 offset:352
	v_pk_add_f32 v[16:17], v[16:17], v[110:111] neg_lo:[0,1] neg_hi:[0,1]
	s_wait_dscnt 0x0
	v_pk_mul_f32 v[98:99], v[106:107], v[98:99] op_sel:[0,1]
	s_delay_alu instid0(VALU_DEP_1) | instskip(SKIP_1) | instid1(VALU_DEP_1)
	v_pk_fma_f32 v[108:109], v[106:107], v[96:97], v[98:99] op_sel:[0,0,1] op_sel_hi:[1,1,0] neg_lo:[0,0,1] neg_hi:[0,0,1]
	v_pk_fma_f32 v[96:97], v[106:107], v[96:97], v[98:99] op_sel:[0,0,1] op_sel_hi:[1,0,0]
	v_mov_b32_e32 v109, v97
	s_delay_alu instid0(VALU_DEP_1)
	v_pk_add_f32 v[94:95], v[94:95], v[108:109] neg_lo:[0,1] neg_hi:[0,1]
.LBB88_503:
	s_or_b32 exec_lo, exec_lo, s0
	v_lshl_add_u32 v96, v104, 3, v100
	s_barrier_signal -1
	s_barrier_wait -1
	ds_store_b64 v96, v[60:61]
	s_wait_dscnt 0x0
	s_barrier_signal -1
	s_barrier_wait -1
	ds_load_b64 v[98:99], v100 offset:192
	v_mov_b32_e32 v96, 24
	s_cmp_lt_i32 s18, 26
	s_cbranch_scc1 .LBB88_506
; %bb.504:
	v_add3_u32 v97, v101, 0, 0xc8
	v_mov_b32_e32 v96, 24
	s_mov_b32 s0, 25
.LBB88_505:                             ; =>This Inner Loop Header: Depth=1
	ds_load_b64 v[106:107], v97
	s_wait_dscnt 0x1
	v_cmp_gt_f32_e32 vcc_lo, 0, v98
	v_cndmask_b32_e64 v108, v98, -v98, vcc_lo
	v_cmp_gt_f32_e32 vcc_lo, 0, v99
	v_cndmask_b32_e64 v110, v99, -v99, vcc_lo
	s_wait_dscnt 0x0
	v_cmp_gt_f32_e32 vcc_lo, 0, v106
	v_cndmask_b32_e64 v109, v106, -v106, vcc_lo
	v_cmp_gt_f32_e32 vcc_lo, 0, v107
	v_cndmask_b32_e64 v111, v107, -v107, vcc_lo
	s_delay_alu instid0(VALU_DEP_1) | instskip(NEXT) | instid1(VALU_DEP_1)
	v_pk_add_f32 v[108:109], v[108:109], v[110:111]
	v_cmp_lt_f32_e32 vcc_lo, v108, v109
	v_dual_add_nc_u32 v97, 8, v97 :: v_dual_cndmask_b32 v99, v99, v107, vcc_lo
	v_cndmask_b32_e32 v98, v98, v106, vcc_lo
	v_cndmask_b32_e64 v96, v96, s0, vcc_lo
	s_add_co_i32 s0, s0, 1
	s_delay_alu instid0(SALU_CYCLE_1)
	s_cmp_lg_u32 s18, s0
	s_cbranch_scc1 .LBB88_505
.LBB88_506:
	s_wait_dscnt 0x0
	v_cmp_eq_f32_e32 vcc_lo, 0, v98
	v_cmp_eq_f32_e64 s0, 0, v99
	s_and_b32 s0, vcc_lo, s0
	s_delay_alu instid0(SALU_CYCLE_1) | instskip(NEXT) | instid1(SALU_CYCLE_1)
	s_and_saveexec_b32 s1, s0
	s_xor_b32 s0, exec_lo, s1
; %bb.507:
	v_cmp_ne_u32_e32 vcc_lo, 0, v102
	v_cndmask_b32_e32 v102, 25, v102, vcc_lo
; %bb.508:
	s_and_not1_saveexec_b32 s0, s0
	s_cbranch_execz .LBB88_514
; %bb.509:
	v_cmp_ngt_f32_e64 s1, |v98|, |v99|
	s_and_saveexec_b32 s12, s1
	s_delay_alu instid0(SALU_CYCLE_1)
	s_xor_b32 s1, exec_lo, s12
	s_cbranch_execz .LBB88_511
; %bb.510:
	v_div_scale_f32 v97, null, v99, v99, v98
	v_div_scale_f32 v107, vcc_lo, v98, v99, v98
	s_delay_alu instid0(VALU_DEP_2) | instskip(SKIP_1) | instid1(TRANS32_DEP_1)
	v_rcp_f32_e32 v105, v97
	v_nop
	v_fma_f32 v106, -v97, v105, 1.0
	s_delay_alu instid0(VALU_DEP_1) | instskip(NEXT) | instid1(VALU_DEP_1)
	v_fmac_f32_e32 v105, v106, v105
	v_mul_f32_e32 v106, v107, v105
	s_delay_alu instid0(VALU_DEP_1) | instskip(NEXT) | instid1(VALU_DEP_1)
	v_fma_f32 v108, -v97, v106, v107
	v_fmac_f32_e32 v106, v108, v105
	s_delay_alu instid0(VALU_DEP_1) | instskip(NEXT) | instid1(VALU_DEP_1)
	v_fma_f32 v97, -v97, v106, v107
	v_div_fmas_f32 v97, v97, v105, v106
	s_delay_alu instid0(VALU_DEP_1) | instskip(NEXT) | instid1(VALU_DEP_1)
	v_div_fixup_f32 v97, v97, v99, v98
	v_fmac_f32_e32 v99, v98, v97
	s_delay_alu instid0(VALU_DEP_1) | instskip(SKIP_1) | instid1(VALU_DEP_2)
	v_div_scale_f32 v98, null, v99, v99, 1.0
	v_div_scale_f32 v107, vcc_lo, 1.0, v99, 1.0
	v_rcp_f32_e32 v105, v98
	v_nop
	s_delay_alu instid0(TRANS32_DEP_1) | instskip(NEXT) | instid1(VALU_DEP_1)
	v_fma_f32 v106, -v98, v105, 1.0
	v_fmac_f32_e32 v105, v106, v105
	s_delay_alu instid0(VALU_DEP_1) | instskip(NEXT) | instid1(VALU_DEP_1)
	v_mul_f32_e32 v106, v107, v105
	v_fma_f32 v108, -v98, v106, v107
	s_delay_alu instid0(VALU_DEP_1) | instskip(NEXT) | instid1(VALU_DEP_1)
	v_fmac_f32_e32 v106, v108, v105
	v_fma_f32 v98, -v98, v106, v107
	s_delay_alu instid0(VALU_DEP_1) | instskip(NEXT) | instid1(VALU_DEP_1)
	v_div_fmas_f32 v98, v98, v105, v106
	v_div_fixup_f32 v99, v98, v99, 1.0
	s_delay_alu instid0(VALU_DEP_1)
	v_mul_f32_e32 v98, v97, v99
	v_xor_b32_e32 v99, 0x80000000, v99
.LBB88_511:
	s_and_not1_saveexec_b32 s1, s1
	s_cbranch_execz .LBB88_513
; %bb.512:
	s_delay_alu instid0(VALU_DEP_1) | instskip(SKIP_1) | instid1(VALU_DEP_2)
	v_div_scale_f32 v97, null, v98, v98, v99
	v_div_scale_f32 v107, vcc_lo, v99, v98, v99
	v_rcp_f32_e32 v105, v97
	v_nop
	s_delay_alu instid0(TRANS32_DEP_1) | instskip(NEXT) | instid1(VALU_DEP_1)
	v_fma_f32 v106, -v97, v105, 1.0
	v_fmac_f32_e32 v105, v106, v105
	s_delay_alu instid0(VALU_DEP_1) | instskip(NEXT) | instid1(VALU_DEP_1)
	v_mul_f32_e32 v106, v107, v105
	v_fma_f32 v108, -v97, v106, v107
	s_delay_alu instid0(VALU_DEP_1) | instskip(NEXT) | instid1(VALU_DEP_1)
	v_fmac_f32_e32 v106, v108, v105
	v_fma_f32 v97, -v97, v106, v107
	s_delay_alu instid0(VALU_DEP_1) | instskip(NEXT) | instid1(VALU_DEP_1)
	v_div_fmas_f32 v97, v97, v105, v106
	v_div_fixup_f32 v97, v97, v98, v99
	s_delay_alu instid0(VALU_DEP_1) | instskip(NEXT) | instid1(VALU_DEP_1)
	v_fmac_f32_e32 v98, v99, v97
	v_div_scale_f32 v99, null, v98, v98, 1.0
	s_delay_alu instid0(VALU_DEP_1) | instskip(SKIP_1) | instid1(TRANS32_DEP_1)
	v_rcp_f32_e32 v105, v99
	v_nop
	v_fma_f32 v106, -v99, v105, 1.0
	s_delay_alu instid0(VALU_DEP_1) | instskip(SKIP_1) | instid1(VALU_DEP_1)
	v_fmac_f32_e32 v105, v106, v105
	v_div_scale_f32 v106, vcc_lo, 1.0, v98, 1.0
	v_mul_f32_e32 v107, v106, v105
	s_delay_alu instid0(VALU_DEP_1) | instskip(NEXT) | instid1(VALU_DEP_1)
	v_fma_f32 v108, -v99, v107, v106
	v_fmac_f32_e32 v107, v108, v105
	s_delay_alu instid0(VALU_DEP_1) | instskip(NEXT) | instid1(VALU_DEP_1)
	v_fma_f32 v99, -v99, v107, v106
	v_div_fmas_f32 v99, v99, v105, v107
	s_delay_alu instid0(VALU_DEP_1) | instskip(NEXT) | instid1(VALU_DEP_1)
	v_div_fixup_f32 v98, v99, v98, 1.0
	v_mul_f32_e64 v99, v97, -v98
.LBB88_513:
	s_or_b32 exec_lo, exec_lo, s1
.LBB88_514:
	s_delay_alu instid0(SALU_CYCLE_1) | instskip(NEXT) | instid1(SALU_CYCLE_1)
	s_or_b32 exec_lo, exec_lo, s0
	s_mov_b32 s0, exec_lo
	v_cmpx_ne_u32_e64 v104, v96
	s_xor_b32 s0, exec_lo, s0
	s_cbranch_execz .LBB88_520
; %bb.515:
	s_mov_b32 s1, exec_lo
	v_cmpx_eq_u32_e32 24, v104
	s_cbranch_execz .LBB88_519
; %bb.516:
	v_cmp_ne_u32_e32 vcc_lo, 24, v96
	s_xor_b32 s12, s16, -1
	s_delay_alu instid0(SALU_CYCLE_1) | instskip(NEXT) | instid1(SALU_CYCLE_1)
	s_and_b32 s13, s12, vcc_lo
	s_and_saveexec_b32 s12, s13
	s_cbranch_execz .LBB88_518
; %bb.517:
	v_ashrrev_i32_e32 v97, 31, v96
	s_delay_alu instid0(VALU_DEP_1)
	v_lshl_add_u64 v[104:105], v[96:97], 2, v[4:5]
	s_clause 0x1
	global_load_b32 v97, v[104:105], off
	global_load_b32 v103, v[4:5], off offset:96
	s_wait_loadcnt 0x1
	global_store_b32 v[4:5], v97, off offset:96
	s_wait_loadcnt 0x0
	global_store_b32 v[104:105], v103, off
.LBB88_518:
	s_wait_xcnt 0x0
	s_or_b32 exec_lo, exec_lo, s12
	v_dual_mov_b32 v104, v96 :: v_dual_mov_b32 v103, v96
.LBB88_519:
	s_or_b32 exec_lo, exec_lo, s1
.LBB88_520:
	s_and_not1_saveexec_b32 s0, s0
	s_cbranch_execz .LBB88_522
; %bb.521:
	v_mov_b32_e32 v104, 24
	ds_store_2addr_b64 v100, v[56:57], v[58:59] offset0:25 offset1:26
	ds_store_2addr_b64 v100, v[54:55], v[48:49] offset0:27 offset1:28
	;; [unrolled: 1-line block ×10, first 2 shown]
.LBB88_522:
	s_or_b32 exec_lo, exec_lo, s0
	s_delay_alu instid0(SALU_CYCLE_1)
	s_mov_b32 s0, exec_lo
	s_wait_storecnt_dscnt 0x0
	s_barrier_signal -1
	s_barrier_wait -1
	v_cmpx_lt_i32_e32 24, v104
	s_cbranch_execz .LBB88_524
; %bb.523:
	v_pk_mul_f32 v[106:107], v[98:99], v[60:61] op_sel:[1,1] op_sel_hi:[0,1]
	s_delay_alu instid0(VALU_DEP_1)
	v_pk_fma_f32 v[96:97], v[98:99], v[60:61], v[106:107] op_sel_hi:[1,0,1] neg_lo:[0,0,1] neg_hi:[0,0,1]
	v_pk_fma_f32 v[98:99], v[98:99], v[60:61], v[106:107] op_sel_hi:[1,0,1]
	ds_load_2addr_b64 v[106:109], v100 offset0:25 offset1:26
	v_dual_mov_b32 v60, v96 :: v_dual_mov_b32 v61, v99
	s_wait_dscnt 0x0
	v_pk_mul_f32 v[110:111], v[106:107], v[98:99] op_sel:[0,1]
	s_delay_alu instid0(VALU_DEP_1) | instskip(SKIP_1) | instid1(VALU_DEP_1)
	v_pk_fma_f32 v[112:113], v[106:107], v[96:97], v[110:111] op_sel:[0,0,1] op_sel_hi:[1,1,0] neg_lo:[0,0,1] neg_hi:[0,0,1]
	v_pk_fma_f32 v[106:107], v[106:107], v[96:97], v[110:111] op_sel:[0,0,1] op_sel_hi:[1,0,0]
	v_mov_b32_e32 v113, v107
	v_pk_mul_f32 v[106:107], v[108:109], v[98:99] op_sel:[0,1]
	s_delay_alu instid0(VALU_DEP_1) | instskip(SKIP_1) | instid1(VALU_DEP_1)
	v_pk_fma_f32 v[110:111], v[108:109], v[96:97], v[106:107] op_sel:[0,0,1] op_sel_hi:[1,1,0] neg_lo:[0,0,1] neg_hi:[0,0,1]
	v_pk_fma_f32 v[106:107], v[108:109], v[96:97], v[106:107] op_sel:[0,0,1] op_sel_hi:[1,0,0]
	v_mov_b32_e32 v111, v107
	ds_load_2addr_b64 v[106:109], v100 offset0:27 offset1:28
	v_pk_add_f32 v[56:57], v[56:57], v[112:113] neg_lo:[0,1] neg_hi:[0,1]
	v_pk_add_f32 v[58:59], v[58:59], v[110:111] neg_lo:[0,1] neg_hi:[0,1]
	s_wait_dscnt 0x0
	v_pk_mul_f32 v[110:111], v[106:107], v[98:99] op_sel:[0,1]
	s_delay_alu instid0(VALU_DEP_1) | instskip(SKIP_2) | instid1(VALU_DEP_2)
	v_pk_fma_f32 v[112:113], v[106:107], v[96:97], v[110:111] op_sel:[0,0,1] op_sel_hi:[1,1,0] neg_lo:[0,0,1] neg_hi:[0,0,1]
	v_pk_fma_f32 v[106:107], v[106:107], v[96:97], v[110:111] op_sel:[0,0,1] op_sel_hi:[1,0,0]
	v_dual_mul_f32 v110, v109, v99 :: v_dual_mov_b32 v106, v109
	v_dual_mov_b32 v113, v107 :: v_dual_mov_b32 v107, v108
	s_delay_alu instid0(VALU_DEP_2) | instskip(SKIP_1) | instid1(VALU_DEP_3)
	v_pk_fma_f32 v[110:111], v[108:109], v[60:61], v[110:111] op_sel_hi:[1,1,0] neg_lo:[0,0,1] neg_hi:[0,0,1]
	v_mul_f32_e32 v108, v109, v96
	v_pk_add_f32 v[54:55], v[54:55], v[112:113] neg_lo:[0,1] neg_hi:[0,1]
	s_delay_alu instid0(VALU_DEP_2) | instskip(NEXT) | instid1(VALU_DEP_1)
	v_pk_fma_f32 v[106:107], v[106:107], v[60:61], v[108:109] op_sel_hi:[1,1,0]
	v_mov_b32_e32 v111, v107
	ds_load_2addr_b64 v[106:109], v100 offset0:29 offset1:30
	v_pk_add_f32 v[48:49], v[48:49], v[110:111] neg_lo:[0,1] neg_hi:[0,1]
	s_wait_dscnt 0x0
	v_pk_mul_f32 v[110:111], v[106:107], v[98:99] op_sel:[0,1]
	s_delay_alu instid0(VALU_DEP_1) | instskip(SKIP_1) | instid1(VALU_DEP_1)
	v_pk_fma_f32 v[112:113], v[106:107], v[96:97], v[110:111] op_sel:[0,0,1] op_sel_hi:[1,1,0] neg_lo:[0,0,1] neg_hi:[0,0,1]
	v_pk_fma_f32 v[106:107], v[106:107], v[96:97], v[110:111] op_sel:[0,0,1] op_sel_hi:[1,0,0]
	v_mov_b32_e32 v113, v107
	v_pk_mul_f32 v[106:107], v[108:109], v[98:99] op_sel:[0,1]
	s_delay_alu instid0(VALU_DEP_1) | instskip(SKIP_1) | instid1(VALU_DEP_1)
	v_pk_fma_f32 v[110:111], v[108:109], v[96:97], v[106:107] op_sel:[0,0,1] op_sel_hi:[1,1,0] neg_lo:[0,0,1] neg_hi:[0,0,1]
	v_pk_fma_f32 v[106:107], v[108:109], v[96:97], v[106:107] op_sel:[0,0,1] op_sel_hi:[1,0,0]
	v_mov_b32_e32 v111, v107
	ds_load_2addr_b64 v[106:109], v100 offset0:31 offset1:32
	v_pk_add_f32 v[40:41], v[40:41], v[112:113] neg_lo:[0,1] neg_hi:[0,1]
	v_pk_add_f32 v[46:47], v[46:47], v[110:111] neg_lo:[0,1] neg_hi:[0,1]
	s_wait_dscnt 0x0
	v_pk_mul_f32 v[110:111], v[106:107], v[98:99] op_sel:[0,1]
	s_delay_alu instid0(VALU_DEP_1) | instskip(SKIP_1) | instid1(VALU_DEP_1)
	v_pk_fma_f32 v[112:113], v[106:107], v[96:97], v[110:111] op_sel:[0,0,1] op_sel_hi:[1,1,0] neg_lo:[0,0,1] neg_hi:[0,0,1]
	v_pk_fma_f32 v[106:107], v[106:107], v[96:97], v[110:111] op_sel:[0,0,1] op_sel_hi:[1,0,0]
	v_mov_b32_e32 v113, v107
	v_pk_mul_f32 v[106:107], v[108:109], v[98:99] op_sel:[0,1]
	s_delay_alu instid0(VALU_DEP_1) | instskip(SKIP_1) | instid1(VALU_DEP_1)
	v_pk_fma_f32 v[110:111], v[108:109], v[96:97], v[106:107] op_sel:[0,0,1] op_sel_hi:[1,1,0] neg_lo:[0,0,1] neg_hi:[0,0,1]
	v_pk_fma_f32 v[106:107], v[108:109], v[96:97], v[106:107] op_sel:[0,0,1] op_sel_hi:[1,0,0]
	v_mov_b32_e32 v111, v107
	ds_load_2addr_b64 v[106:109], v100 offset0:33 offset1:34
	v_pk_add_f32 v[38:39], v[38:39], v[112:113] neg_lo:[0,1] neg_hi:[0,1]
	v_pk_add_f32 v[30:31], v[30:31], v[110:111] neg_lo:[0,1] neg_hi:[0,1]
	s_wait_dscnt 0x0
	v_dual_mul_f32 v110, v107, v99 :: v_dual_mul_f32 v112, v107, v96
	s_delay_alu instid0(VALU_DEP_1) | instskip(NEXT) | instid1(VALU_DEP_2)
	v_pk_fma_f32 v[110:111], v[106:107], v[60:61], v[110:111] op_sel_hi:[1,1,0] neg_lo:[0,0,1] neg_hi:[0,0,1]
	v_pk_fma_f32 v[106:107], v[106:107], v[60:61], v[112:113] op_sel:[1,0,0] op_sel_hi:[0,1,0]
	s_delay_alu instid0(VALU_DEP_1) | instskip(SKIP_1) | instid1(VALU_DEP_2)
	v_mov_b32_e32 v111, v107
	v_pk_mul_f32 v[106:107], v[108:109], v[98:99] op_sel:[0,1]
	v_pk_add_f32 v[22:23], v[22:23], v[110:111] neg_lo:[0,1] neg_hi:[0,1]
	s_delay_alu instid0(VALU_DEP_2) | instskip(SKIP_1) | instid1(VALU_DEP_1)
	v_pk_fma_f32 v[110:111], v[108:109], v[96:97], v[106:107] op_sel:[0,0,1] op_sel_hi:[1,1,0] neg_lo:[0,0,1] neg_hi:[0,0,1]
	v_pk_fma_f32 v[106:107], v[108:109], v[96:97], v[106:107] op_sel:[0,0,1] op_sel_hi:[1,0,0]
	v_mov_b32_e32 v111, v107
	ds_load_2addr_b64 v[106:109], v100 offset0:35 offset1:36
	v_pk_add_f32 v[28:29], v[28:29], v[110:111] neg_lo:[0,1] neg_hi:[0,1]
	s_wait_dscnt 0x0
	v_pk_mul_f32 v[110:111], v[106:107], v[98:99] op_sel:[0,1]
	s_delay_alu instid0(VALU_DEP_1) | instskip(SKIP_1) | instid1(VALU_DEP_1)
	v_pk_fma_f32 v[112:113], v[106:107], v[96:97], v[110:111] op_sel:[0,0,1] op_sel_hi:[1,1,0] neg_lo:[0,0,1] neg_hi:[0,0,1]
	v_pk_fma_f32 v[106:107], v[106:107], v[96:97], v[110:111] op_sel:[0,0,1] op_sel_hi:[1,0,0]
	v_mov_b32_e32 v113, v107
	v_pk_mul_f32 v[106:107], v[108:109], v[98:99] op_sel:[0,1]
	s_delay_alu instid0(VALU_DEP_2) | instskip(NEXT) | instid1(VALU_DEP_2)
	v_pk_add_f32 v[20:21], v[20:21], v[112:113] neg_lo:[0,1] neg_hi:[0,1]
	v_pk_fma_f32 v[110:111], v[108:109], v[96:97], v[106:107] op_sel:[0,0,1] op_sel_hi:[1,1,0] neg_lo:[0,0,1] neg_hi:[0,0,1]
	v_pk_fma_f32 v[106:107], v[108:109], v[96:97], v[106:107] op_sel:[0,0,1] op_sel_hi:[1,0,0]
	s_delay_alu instid0(VALU_DEP_1) | instskip(SKIP_4) | instid1(VALU_DEP_1)
	v_mov_b32_e32 v111, v107
	ds_load_2addr_b64 v[106:109], v100 offset0:37 offset1:38
	v_pk_add_f32 v[14:15], v[14:15], v[110:111] neg_lo:[0,1] neg_hi:[0,1]
	s_wait_dscnt 0x0
	v_pk_mul_f32 v[110:111], v[106:107], v[98:99] op_sel:[0,1]
	v_pk_fma_f32 v[112:113], v[106:107], v[96:97], v[110:111] op_sel:[0,0,1] op_sel_hi:[1,1,0] neg_lo:[0,0,1] neg_hi:[0,0,1]
	v_pk_fma_f32 v[106:107], v[106:107], v[96:97], v[110:111] op_sel:[0,0,1] op_sel_hi:[1,0,0]
	v_dual_mul_f32 v110, v109, v99 :: v_dual_mov_b32 v106, v109
	s_delay_alu instid0(VALU_DEP_2) | instskip(NEXT) | instid1(VALU_DEP_2)
	v_dual_mov_b32 v113, v107 :: v_dual_mov_b32 v107, v108
	v_pk_fma_f32 v[110:111], v[108:109], v[60:61], v[110:111] op_sel_hi:[1,1,0] neg_lo:[0,0,1] neg_hi:[0,0,1]
	v_mul_f32_e32 v108, v109, v96
	s_delay_alu instid0(VALU_DEP_3) | instskip(NEXT) | instid1(VALU_DEP_2)
	v_pk_add_f32 v[10:11], v[10:11], v[112:113] neg_lo:[0,1] neg_hi:[0,1]
	v_pk_fma_f32 v[106:107], v[106:107], v[60:61], v[108:109] op_sel_hi:[1,1,0]
	s_delay_alu instid0(VALU_DEP_1) | instskip(SKIP_4) | instid1(VALU_DEP_1)
	v_mov_b32_e32 v111, v107
	ds_load_2addr_b64 v[106:109], v100 offset0:39 offset1:40
	v_pk_add_f32 v[12:13], v[12:13], v[110:111] neg_lo:[0,1] neg_hi:[0,1]
	s_wait_dscnt 0x0
	v_pk_mul_f32 v[110:111], v[106:107], v[98:99] op_sel:[0,1]
	v_pk_fma_f32 v[112:113], v[106:107], v[96:97], v[110:111] op_sel:[0,0,1] op_sel_hi:[1,1,0] neg_lo:[0,0,1] neg_hi:[0,0,1]
	v_pk_fma_f32 v[106:107], v[106:107], v[96:97], v[110:111] op_sel:[0,0,1] op_sel_hi:[1,0,0]
	s_delay_alu instid0(VALU_DEP_1) | instskip(SKIP_1) | instid1(VALU_DEP_1)
	v_mov_b32_e32 v113, v107
	v_pk_mul_f32 v[106:107], v[108:109], v[98:99] op_sel:[0,1]
	v_pk_fma_f32 v[110:111], v[108:109], v[96:97], v[106:107] op_sel:[0,0,1] op_sel_hi:[1,1,0] neg_lo:[0,0,1] neg_hi:[0,0,1]
	v_pk_fma_f32 v[106:107], v[108:109], v[96:97], v[106:107] op_sel:[0,0,1] op_sel_hi:[1,0,0]
	s_delay_alu instid0(VALU_DEP_1)
	v_mov_b32_e32 v111, v107
	ds_load_2addr_b64 v[106:109], v100 offset0:41 offset1:42
	v_pk_add_f32 v[8:9], v[8:9], v[112:113] neg_lo:[0,1] neg_hi:[0,1]
	v_pk_add_f32 v[6:7], v[6:7], v[110:111] neg_lo:[0,1] neg_hi:[0,1]
	s_wait_dscnt 0x0
	v_pk_mul_f32 v[110:111], v[106:107], v[98:99] op_sel:[0,1]
	s_delay_alu instid0(VALU_DEP_1) | instskip(SKIP_1) | instid1(VALU_DEP_1)
	v_pk_fma_f32 v[112:113], v[106:107], v[96:97], v[110:111] op_sel:[0,0,1] op_sel_hi:[1,1,0] neg_lo:[0,0,1] neg_hi:[0,0,1]
	v_pk_fma_f32 v[106:107], v[106:107], v[96:97], v[110:111] op_sel:[0,0,1] op_sel_hi:[1,0,0]
	v_mov_b32_e32 v113, v107
	v_pk_mul_f32 v[106:107], v[108:109], v[98:99] op_sel:[0,1]
	s_delay_alu instid0(VALU_DEP_1) | instskip(SKIP_1) | instid1(VALU_DEP_1)
	v_pk_fma_f32 v[110:111], v[108:109], v[96:97], v[106:107] op_sel:[0,0,1] op_sel_hi:[1,1,0] neg_lo:[0,0,1] neg_hi:[0,0,1]
	v_pk_fma_f32 v[106:107], v[108:109], v[96:97], v[106:107] op_sel:[0,0,1] op_sel_hi:[1,0,0]
	v_mov_b32_e32 v111, v107
	ds_load_2addr_b64 v[106:109], v100 offset0:43 offset1:44
	v_pk_add_f32 v[36:37], v[36:37], v[112:113] neg_lo:[0,1] neg_hi:[0,1]
	v_pk_add_f32 v[18:19], v[18:19], v[110:111] neg_lo:[0,1] neg_hi:[0,1]
	s_wait_dscnt 0x0
	v_dual_mul_f32 v110, v107, v99 :: v_dual_mul_f32 v112, v107, v96
	v_pk_mul_f32 v[98:99], v[108:109], v[98:99] op_sel:[0,1]
	s_delay_alu instid0(VALU_DEP_2) | instskip(NEXT) | instid1(VALU_DEP_3)
	v_pk_fma_f32 v[110:111], v[106:107], v[60:61], v[110:111] op_sel_hi:[1,1,0] neg_lo:[0,0,1] neg_hi:[0,0,1]
	v_pk_fma_f32 v[106:107], v[106:107], v[60:61], v[112:113] op_sel:[1,0,0] op_sel_hi:[0,1,0]
	s_delay_alu instid0(VALU_DEP_1) | instskip(NEXT) | instid1(VALU_DEP_4)
	v_mov_b32_e32 v111, v107
	v_pk_fma_f32 v[106:107], v[108:109], v[96:97], v[98:99] op_sel:[0,0,1] op_sel_hi:[1,1,0] neg_lo:[0,0,1] neg_hi:[0,0,1]
	v_pk_fma_f32 v[96:97], v[108:109], v[96:97], v[98:99] op_sel:[0,0,1] op_sel_hi:[1,0,0]
	s_delay_alu instid0(VALU_DEP_1) | instskip(NEXT) | instid1(VALU_DEP_4)
	v_mov_b32_e32 v107, v97
	v_pk_add_f32 v[16:17], v[16:17], v[110:111] neg_lo:[0,1] neg_hi:[0,1]
	s_delay_alu instid0(VALU_DEP_2)
	v_pk_add_f32 v[94:95], v[94:95], v[106:107] neg_lo:[0,1] neg_hi:[0,1]
.LBB88_524:
	s_or_b32 exec_lo, exec_lo, s0
	v_lshl_add_u32 v96, v104, 3, v100
	s_barrier_signal -1
	s_barrier_wait -1
	ds_store_b64 v96, v[56:57]
	s_wait_dscnt 0x0
	s_barrier_signal -1
	s_barrier_wait -1
	ds_load_b64 v[96:97], v100 offset:200
	v_mov_b32_e32 v98, 25
	s_cmp_lt_i32 s18, 27
	s_cbranch_scc1 .LBB88_527
; %bb.525:
	v_add3_u32 v99, v101, 0, 0xd0
	v_mov_b32_e32 v98, 25
	s_mov_b32 s0, 26
.LBB88_526:                             ; =>This Inner Loop Header: Depth=1
	ds_load_b64 v[106:107], v99
	s_wait_dscnt 0x1
	v_cmp_gt_f32_e32 vcc_lo, 0, v96
	v_cndmask_b32_e64 v108, v96, -v96, vcc_lo
	v_cmp_gt_f32_e32 vcc_lo, 0, v97
	v_cndmask_b32_e64 v110, v97, -v97, vcc_lo
	s_wait_dscnt 0x0
	v_cmp_gt_f32_e32 vcc_lo, 0, v106
	v_cndmask_b32_e64 v109, v106, -v106, vcc_lo
	v_cmp_gt_f32_e32 vcc_lo, 0, v107
	v_cndmask_b32_e64 v111, v107, -v107, vcc_lo
	s_delay_alu instid0(VALU_DEP_1) | instskip(NEXT) | instid1(VALU_DEP_1)
	v_pk_add_f32 v[108:109], v[108:109], v[110:111]
	v_cmp_lt_f32_e32 vcc_lo, v108, v109
	v_dual_cndmask_b32 v96, v96, v106 :: v_dual_add_nc_u32 v99, 8, v99
	v_cndmask_b32_e32 v97, v97, v107, vcc_lo
	v_cndmask_b32_e64 v98, v98, s0, vcc_lo
	s_add_co_i32 s0, s0, 1
	s_delay_alu instid0(SALU_CYCLE_1)
	s_cmp_lg_u32 s18, s0
	s_cbranch_scc1 .LBB88_526
.LBB88_527:
	s_wait_dscnt 0x0
	v_cmp_eq_f32_e32 vcc_lo, 0, v96
	v_cmp_eq_f32_e64 s0, 0, v97
	s_and_b32 s0, vcc_lo, s0
	s_delay_alu instid0(SALU_CYCLE_1) | instskip(NEXT) | instid1(SALU_CYCLE_1)
	s_and_saveexec_b32 s1, s0
	s_xor_b32 s0, exec_lo, s1
; %bb.528:
	v_cmp_ne_u32_e32 vcc_lo, 0, v102
	v_cndmask_b32_e32 v102, 26, v102, vcc_lo
; %bb.529:
	s_and_not1_saveexec_b32 s0, s0
	s_cbranch_execz .LBB88_535
; %bb.530:
	v_cmp_ngt_f32_e64 s1, |v96|, |v97|
	s_and_saveexec_b32 s12, s1
	s_delay_alu instid0(SALU_CYCLE_1)
	s_xor_b32 s1, exec_lo, s12
	s_cbranch_execz .LBB88_532
; %bb.531:
	v_div_scale_f32 v99, null, v97, v97, v96
	v_div_scale_f32 v107, vcc_lo, v96, v97, v96
	s_delay_alu instid0(VALU_DEP_2) | instskip(SKIP_1) | instid1(TRANS32_DEP_1)
	v_rcp_f32_e32 v105, v99
	v_nop
	v_fma_f32 v106, -v99, v105, 1.0
	s_delay_alu instid0(VALU_DEP_1) | instskip(NEXT) | instid1(VALU_DEP_1)
	v_fmac_f32_e32 v105, v106, v105
	v_mul_f32_e32 v106, v107, v105
	s_delay_alu instid0(VALU_DEP_1) | instskip(NEXT) | instid1(VALU_DEP_1)
	v_fma_f32 v108, -v99, v106, v107
	v_fmac_f32_e32 v106, v108, v105
	s_delay_alu instid0(VALU_DEP_1) | instskip(NEXT) | instid1(VALU_DEP_1)
	v_fma_f32 v99, -v99, v106, v107
	v_div_fmas_f32 v99, v99, v105, v106
	s_delay_alu instid0(VALU_DEP_1) | instskip(NEXT) | instid1(VALU_DEP_1)
	v_div_fixup_f32 v99, v99, v97, v96
	v_fmac_f32_e32 v97, v96, v99
	s_delay_alu instid0(VALU_DEP_1) | instskip(SKIP_1) | instid1(VALU_DEP_2)
	v_div_scale_f32 v96, null, v97, v97, 1.0
	v_div_scale_f32 v107, vcc_lo, 1.0, v97, 1.0
	v_rcp_f32_e32 v105, v96
	v_nop
	s_delay_alu instid0(TRANS32_DEP_1) | instskip(NEXT) | instid1(VALU_DEP_1)
	v_fma_f32 v106, -v96, v105, 1.0
	v_fmac_f32_e32 v105, v106, v105
	s_delay_alu instid0(VALU_DEP_1) | instskip(NEXT) | instid1(VALU_DEP_1)
	v_mul_f32_e32 v106, v107, v105
	v_fma_f32 v108, -v96, v106, v107
	s_delay_alu instid0(VALU_DEP_1) | instskip(NEXT) | instid1(VALU_DEP_1)
	v_fmac_f32_e32 v106, v108, v105
	v_fma_f32 v96, -v96, v106, v107
	s_delay_alu instid0(VALU_DEP_1) | instskip(NEXT) | instid1(VALU_DEP_1)
	v_div_fmas_f32 v96, v96, v105, v106
	v_div_fixup_f32 v97, v96, v97, 1.0
	s_delay_alu instid0(VALU_DEP_1)
	v_mul_f32_e32 v96, v99, v97
	v_xor_b32_e32 v97, 0x80000000, v97
.LBB88_532:
	s_and_not1_saveexec_b32 s1, s1
	s_cbranch_execz .LBB88_534
; %bb.533:
	s_delay_alu instid0(VALU_DEP_1) | instskip(SKIP_1) | instid1(VALU_DEP_2)
	v_div_scale_f32 v99, null, v96, v96, v97
	v_div_scale_f32 v107, vcc_lo, v97, v96, v97
	v_rcp_f32_e32 v105, v99
	v_nop
	s_delay_alu instid0(TRANS32_DEP_1) | instskip(NEXT) | instid1(VALU_DEP_1)
	v_fma_f32 v106, -v99, v105, 1.0
	v_fmac_f32_e32 v105, v106, v105
	s_delay_alu instid0(VALU_DEP_1) | instskip(NEXT) | instid1(VALU_DEP_1)
	v_mul_f32_e32 v106, v107, v105
	v_fma_f32 v108, -v99, v106, v107
	s_delay_alu instid0(VALU_DEP_1) | instskip(NEXT) | instid1(VALU_DEP_1)
	v_fmac_f32_e32 v106, v108, v105
	v_fma_f32 v99, -v99, v106, v107
	s_delay_alu instid0(VALU_DEP_1) | instskip(NEXT) | instid1(VALU_DEP_1)
	v_div_fmas_f32 v99, v99, v105, v106
	v_div_fixup_f32 v99, v99, v96, v97
	s_delay_alu instid0(VALU_DEP_1) | instskip(NEXT) | instid1(VALU_DEP_1)
	v_fmac_f32_e32 v96, v97, v99
	v_div_scale_f32 v97, null, v96, v96, 1.0
	s_delay_alu instid0(VALU_DEP_1) | instskip(SKIP_1) | instid1(TRANS32_DEP_1)
	v_rcp_f32_e32 v105, v97
	v_nop
	v_fma_f32 v106, -v97, v105, 1.0
	s_delay_alu instid0(VALU_DEP_1) | instskip(SKIP_1) | instid1(VALU_DEP_1)
	v_fmac_f32_e32 v105, v106, v105
	v_div_scale_f32 v106, vcc_lo, 1.0, v96, 1.0
	v_mul_f32_e32 v107, v106, v105
	s_delay_alu instid0(VALU_DEP_1) | instskip(NEXT) | instid1(VALU_DEP_1)
	v_fma_f32 v108, -v97, v107, v106
	v_fmac_f32_e32 v107, v108, v105
	s_delay_alu instid0(VALU_DEP_1) | instskip(NEXT) | instid1(VALU_DEP_1)
	v_fma_f32 v97, -v97, v107, v106
	v_div_fmas_f32 v97, v97, v105, v107
	s_delay_alu instid0(VALU_DEP_1) | instskip(NEXT) | instid1(VALU_DEP_1)
	v_div_fixup_f32 v96, v97, v96, 1.0
	v_mul_f32_e64 v97, v99, -v96
.LBB88_534:
	s_or_b32 exec_lo, exec_lo, s1
.LBB88_535:
	s_delay_alu instid0(SALU_CYCLE_1) | instskip(NEXT) | instid1(SALU_CYCLE_1)
	s_or_b32 exec_lo, exec_lo, s0
	s_mov_b32 s0, exec_lo
	v_cmpx_ne_u32_e64 v104, v98
	s_xor_b32 s0, exec_lo, s0
	s_cbranch_execz .LBB88_541
; %bb.536:
	s_mov_b32 s1, exec_lo
	v_cmpx_eq_u32_e32 25, v104
	s_cbranch_execz .LBB88_540
; %bb.537:
	v_cmp_ne_u32_e32 vcc_lo, 25, v98
	s_xor_b32 s12, s16, -1
	s_delay_alu instid0(SALU_CYCLE_1) | instskip(NEXT) | instid1(SALU_CYCLE_1)
	s_and_b32 s13, s12, vcc_lo
	s_and_saveexec_b32 s12, s13
	s_cbranch_execz .LBB88_539
; %bb.538:
	v_ashrrev_i32_e32 v99, 31, v98
	s_delay_alu instid0(VALU_DEP_1)
	v_lshl_add_u64 v[104:105], v[98:99], 2, v[4:5]
	s_clause 0x1
	global_load_b32 v99, v[104:105], off
	global_load_b32 v103, v[4:5], off offset:100
	s_wait_loadcnt 0x1
	global_store_b32 v[4:5], v99, off offset:100
	s_wait_loadcnt 0x0
	global_store_b32 v[104:105], v103, off
.LBB88_539:
	s_wait_xcnt 0x0
	s_or_b32 exec_lo, exec_lo, s12
	v_dual_mov_b32 v104, v98 :: v_dual_mov_b32 v103, v98
.LBB88_540:
	s_or_b32 exec_lo, exec_lo, s1
.LBB88_541:
	s_and_not1_saveexec_b32 s0, s0
	s_cbranch_execz .LBB88_543
; %bb.542:
	v_dual_mov_b32 v98, v58 :: v_dual_mov_b32 v99, v59
	v_dual_mov_b32 v104, v54 :: v_dual_mov_b32 v105, v55
	;; [unrolled: 1-line block ×8, first 2 shown]
	ds_store_2addr_b64 v100, v[98:99], v[104:105] offset0:26 offset1:27
	ds_store_2addr_b64 v100, v[106:107], v[108:109] offset0:28 offset1:29
	;; [unrolled: 1-line block ×4, first 2 shown]
	v_dual_mov_b32 v98, v28 :: v_dual_mov_b32 v99, v29
	v_dual_mov_b32 v104, v20 :: v_dual_mov_b32 v105, v21
	;; [unrolled: 1-line block ×6, first 2 shown]
	ds_store_2addr_b64 v100, v[98:99], v[104:105] offset0:34 offset1:35
	ds_store_2addr_b64 v100, v[106:107], v[108:109] offset0:36 offset1:37
	v_dual_mov_b32 v104, 25 :: v_dual_mov_b32 v114, v6
	v_dual_mov_b32 v115, v7 :: v_dual_mov_b32 v116, v36
	;; [unrolled: 1-line block ×4, first 2 shown]
	v_mov_b32_e32 v121, v17
	ds_store_2addr_b64 v100, v[110:111], v[112:113] offset0:38 offset1:39
	ds_store_2addr_b64 v100, v[114:115], v[116:117] offset0:40 offset1:41
	;; [unrolled: 1-line block ×3, first 2 shown]
	ds_store_b64 v100, v[94:95] offset:352
.LBB88_543:
	s_or_b32 exec_lo, exec_lo, s0
	s_delay_alu instid0(SALU_CYCLE_1)
	s_mov_b32 s0, exec_lo
	s_wait_storecnt_dscnt 0x0
	s_barrier_signal -1
	s_barrier_wait -1
	v_cmpx_lt_i32_e32 25, v104
	s_cbranch_execz .LBB88_545
; %bb.544:
	v_pk_mul_f32 v[106:107], v[96:97], v[56:57] op_sel:[1,1] op_sel_hi:[0,1]
	s_delay_alu instid0(VALU_DEP_1)
	v_pk_fma_f32 v[98:99], v[96:97], v[56:57], v[106:107] op_sel_hi:[1,0,1] neg_lo:[0,0,1] neg_hi:[0,0,1]
	v_pk_fma_f32 v[96:97], v[96:97], v[56:57], v[106:107] op_sel_hi:[1,0,1]
	ds_load_2addr_b64 v[106:109], v100 offset0:26 offset1:27
	v_dual_mov_b32 v56, v98 :: v_dual_mov_b32 v57, v97
	s_wait_dscnt 0x0
	v_pk_mul_f32 v[110:111], v[106:107], v[96:97] op_sel:[0,1]
	s_delay_alu instid0(VALU_DEP_1) | instskip(SKIP_1) | instid1(VALU_DEP_1)
	v_pk_fma_f32 v[112:113], v[106:107], v[98:99], v[110:111] op_sel:[0,0,1] op_sel_hi:[1,1,0] neg_lo:[0,0,1] neg_hi:[0,0,1]
	v_pk_fma_f32 v[106:107], v[106:107], v[98:99], v[110:111] op_sel:[0,0,1] op_sel_hi:[1,0,0]
	v_mov_b32_e32 v113, v107
	v_pk_mul_f32 v[106:107], v[108:109], v[96:97] op_sel:[0,1]
	s_delay_alu instid0(VALU_DEP_1) | instskip(SKIP_1) | instid1(VALU_DEP_1)
	v_pk_fma_f32 v[110:111], v[108:109], v[98:99], v[106:107] op_sel:[0,0,1] op_sel_hi:[1,1,0] neg_lo:[0,0,1] neg_hi:[0,0,1]
	v_pk_fma_f32 v[106:107], v[108:109], v[98:99], v[106:107] op_sel:[0,0,1] op_sel_hi:[1,0,0]
	v_mov_b32_e32 v111, v107
	ds_load_2addr_b64 v[106:109], v100 offset0:28 offset1:29
	v_pk_add_f32 v[58:59], v[58:59], v[112:113] neg_lo:[0,1] neg_hi:[0,1]
	v_pk_add_f32 v[54:55], v[54:55], v[110:111] neg_lo:[0,1] neg_hi:[0,1]
	s_wait_dscnt 0x0
	v_pk_mul_f32 v[110:111], v[106:107], v[96:97] op_sel:[0,1]
	s_delay_alu instid0(VALU_DEP_1) | instskip(SKIP_2) | instid1(VALU_DEP_2)
	v_pk_fma_f32 v[112:113], v[106:107], v[98:99], v[110:111] op_sel:[0,0,1] op_sel_hi:[1,1,0] neg_lo:[0,0,1] neg_hi:[0,0,1]
	v_pk_fma_f32 v[106:107], v[106:107], v[98:99], v[110:111] op_sel:[0,0,1] op_sel_hi:[1,0,0]
	v_dual_mul_f32 v110, v109, v97 :: v_dual_mov_b32 v106, v109
	v_dual_mov_b32 v113, v107 :: v_dual_mov_b32 v107, v108
	s_delay_alu instid0(VALU_DEP_2) | instskip(SKIP_1) | instid1(VALU_DEP_3)
	v_pk_fma_f32 v[110:111], v[108:109], v[56:57], v[110:111] op_sel_hi:[1,1,0] neg_lo:[0,0,1] neg_hi:[0,0,1]
	v_mul_f32_e32 v108, v109, v98
	v_pk_add_f32 v[48:49], v[48:49], v[112:113] neg_lo:[0,1] neg_hi:[0,1]
	s_delay_alu instid0(VALU_DEP_2) | instskip(NEXT) | instid1(VALU_DEP_1)
	v_pk_fma_f32 v[106:107], v[106:107], v[56:57], v[108:109] op_sel_hi:[1,1,0]
	v_mov_b32_e32 v111, v107
	ds_load_2addr_b64 v[106:109], v100 offset0:30 offset1:31
	v_pk_add_f32 v[40:41], v[40:41], v[110:111] neg_lo:[0,1] neg_hi:[0,1]
	s_wait_dscnt 0x0
	v_pk_mul_f32 v[110:111], v[106:107], v[96:97] op_sel:[0,1]
	s_delay_alu instid0(VALU_DEP_1) | instskip(SKIP_1) | instid1(VALU_DEP_1)
	v_pk_fma_f32 v[112:113], v[106:107], v[98:99], v[110:111] op_sel:[0,0,1] op_sel_hi:[1,1,0] neg_lo:[0,0,1] neg_hi:[0,0,1]
	v_pk_fma_f32 v[106:107], v[106:107], v[98:99], v[110:111] op_sel:[0,0,1] op_sel_hi:[1,0,0]
	v_mov_b32_e32 v113, v107
	v_pk_mul_f32 v[106:107], v[108:109], v[96:97] op_sel:[0,1]
	s_delay_alu instid0(VALU_DEP_1) | instskip(SKIP_1) | instid1(VALU_DEP_1)
	v_pk_fma_f32 v[110:111], v[108:109], v[98:99], v[106:107] op_sel:[0,0,1] op_sel_hi:[1,1,0] neg_lo:[0,0,1] neg_hi:[0,0,1]
	v_pk_fma_f32 v[106:107], v[108:109], v[98:99], v[106:107] op_sel:[0,0,1] op_sel_hi:[1,0,0]
	v_mov_b32_e32 v111, v107
	ds_load_2addr_b64 v[106:109], v100 offset0:32 offset1:33
	v_pk_add_f32 v[46:47], v[46:47], v[112:113] neg_lo:[0,1] neg_hi:[0,1]
	v_pk_add_f32 v[38:39], v[38:39], v[110:111] neg_lo:[0,1] neg_hi:[0,1]
	s_wait_dscnt 0x0
	v_pk_mul_f32 v[110:111], v[106:107], v[96:97] op_sel:[0,1]
	s_delay_alu instid0(VALU_DEP_1) | instskip(SKIP_1) | instid1(VALU_DEP_1)
	v_pk_fma_f32 v[112:113], v[106:107], v[98:99], v[110:111] op_sel:[0,0,1] op_sel_hi:[1,1,0] neg_lo:[0,0,1] neg_hi:[0,0,1]
	v_pk_fma_f32 v[106:107], v[106:107], v[98:99], v[110:111] op_sel:[0,0,1] op_sel_hi:[1,0,0]
	v_mov_b32_e32 v113, v107
	v_pk_mul_f32 v[106:107], v[108:109], v[96:97] op_sel:[0,1]
	s_delay_alu instid0(VALU_DEP_1) | instskip(SKIP_1) | instid1(VALU_DEP_1)
	v_pk_fma_f32 v[110:111], v[108:109], v[98:99], v[106:107] op_sel:[0,0,1] op_sel_hi:[1,1,0] neg_lo:[0,0,1] neg_hi:[0,0,1]
	v_pk_fma_f32 v[106:107], v[108:109], v[98:99], v[106:107] op_sel:[0,0,1] op_sel_hi:[1,0,0]
	v_mov_b32_e32 v111, v107
	ds_load_2addr_b64 v[106:109], v100 offset0:34 offset1:35
	v_pk_add_f32 v[30:31], v[30:31], v[112:113] neg_lo:[0,1] neg_hi:[0,1]
	v_pk_add_f32 v[22:23], v[22:23], v[110:111] neg_lo:[0,1] neg_hi:[0,1]
	s_wait_dscnt 0x0
	v_dual_mul_f32 v110, v107, v97 :: v_dual_mul_f32 v112, v107, v98
	s_delay_alu instid0(VALU_DEP_1) | instskip(NEXT) | instid1(VALU_DEP_2)
	v_pk_fma_f32 v[110:111], v[106:107], v[56:57], v[110:111] op_sel_hi:[1,1,0] neg_lo:[0,0,1] neg_hi:[0,0,1]
	v_pk_fma_f32 v[106:107], v[106:107], v[56:57], v[112:113] op_sel:[1,0,0] op_sel_hi:[0,1,0]
	s_delay_alu instid0(VALU_DEP_1) | instskip(SKIP_1) | instid1(VALU_DEP_2)
	v_mov_b32_e32 v111, v107
	v_pk_mul_f32 v[106:107], v[108:109], v[96:97] op_sel:[0,1]
	v_pk_add_f32 v[28:29], v[28:29], v[110:111] neg_lo:[0,1] neg_hi:[0,1]
	s_delay_alu instid0(VALU_DEP_2) | instskip(SKIP_1) | instid1(VALU_DEP_1)
	v_pk_fma_f32 v[110:111], v[108:109], v[98:99], v[106:107] op_sel:[0,0,1] op_sel_hi:[1,1,0] neg_lo:[0,0,1] neg_hi:[0,0,1]
	v_pk_fma_f32 v[106:107], v[108:109], v[98:99], v[106:107] op_sel:[0,0,1] op_sel_hi:[1,0,0]
	v_mov_b32_e32 v111, v107
	ds_load_2addr_b64 v[106:109], v100 offset0:36 offset1:37
	v_pk_add_f32 v[20:21], v[20:21], v[110:111] neg_lo:[0,1] neg_hi:[0,1]
	s_wait_dscnt 0x0
	v_pk_mul_f32 v[110:111], v[106:107], v[96:97] op_sel:[0,1]
	s_delay_alu instid0(VALU_DEP_1) | instskip(SKIP_1) | instid1(VALU_DEP_1)
	v_pk_fma_f32 v[112:113], v[106:107], v[98:99], v[110:111] op_sel:[0,0,1] op_sel_hi:[1,1,0] neg_lo:[0,0,1] neg_hi:[0,0,1]
	v_pk_fma_f32 v[106:107], v[106:107], v[98:99], v[110:111] op_sel:[0,0,1] op_sel_hi:[1,0,0]
	v_mov_b32_e32 v113, v107
	v_pk_mul_f32 v[106:107], v[108:109], v[96:97] op_sel:[0,1]
	s_delay_alu instid0(VALU_DEP_2) | instskip(NEXT) | instid1(VALU_DEP_2)
	v_pk_add_f32 v[14:15], v[14:15], v[112:113] neg_lo:[0,1] neg_hi:[0,1]
	v_pk_fma_f32 v[110:111], v[108:109], v[98:99], v[106:107] op_sel:[0,0,1] op_sel_hi:[1,1,0] neg_lo:[0,0,1] neg_hi:[0,0,1]
	v_pk_fma_f32 v[106:107], v[108:109], v[98:99], v[106:107] op_sel:[0,0,1] op_sel_hi:[1,0,0]
	s_delay_alu instid0(VALU_DEP_1) | instskip(SKIP_4) | instid1(VALU_DEP_1)
	v_mov_b32_e32 v111, v107
	ds_load_2addr_b64 v[106:109], v100 offset0:38 offset1:39
	v_pk_add_f32 v[10:11], v[10:11], v[110:111] neg_lo:[0,1] neg_hi:[0,1]
	s_wait_dscnt 0x0
	v_pk_mul_f32 v[110:111], v[106:107], v[96:97] op_sel:[0,1]
	v_pk_fma_f32 v[112:113], v[106:107], v[98:99], v[110:111] op_sel:[0,0,1] op_sel_hi:[1,1,0] neg_lo:[0,0,1] neg_hi:[0,0,1]
	v_pk_fma_f32 v[106:107], v[106:107], v[98:99], v[110:111] op_sel:[0,0,1] op_sel_hi:[1,0,0]
	v_dual_mul_f32 v110, v109, v97 :: v_dual_mov_b32 v106, v109
	s_delay_alu instid0(VALU_DEP_2) | instskip(NEXT) | instid1(VALU_DEP_2)
	v_dual_mov_b32 v113, v107 :: v_dual_mov_b32 v107, v108
	v_pk_fma_f32 v[110:111], v[108:109], v[56:57], v[110:111] op_sel_hi:[1,1,0] neg_lo:[0,0,1] neg_hi:[0,0,1]
	v_mul_f32_e32 v108, v109, v98
	s_delay_alu instid0(VALU_DEP_3) | instskip(NEXT) | instid1(VALU_DEP_2)
	v_pk_add_f32 v[12:13], v[12:13], v[112:113] neg_lo:[0,1] neg_hi:[0,1]
	v_pk_fma_f32 v[106:107], v[106:107], v[56:57], v[108:109] op_sel_hi:[1,1,0]
	s_delay_alu instid0(VALU_DEP_1) | instskip(SKIP_4) | instid1(VALU_DEP_1)
	v_mov_b32_e32 v111, v107
	ds_load_2addr_b64 v[106:109], v100 offset0:40 offset1:41
	v_pk_add_f32 v[8:9], v[8:9], v[110:111] neg_lo:[0,1] neg_hi:[0,1]
	s_wait_dscnt 0x0
	v_pk_mul_f32 v[110:111], v[106:107], v[96:97] op_sel:[0,1]
	v_pk_fma_f32 v[112:113], v[106:107], v[98:99], v[110:111] op_sel:[0,0,1] op_sel_hi:[1,1,0] neg_lo:[0,0,1] neg_hi:[0,0,1]
	v_pk_fma_f32 v[106:107], v[106:107], v[98:99], v[110:111] op_sel:[0,0,1] op_sel_hi:[1,0,0]
	s_delay_alu instid0(VALU_DEP_1) | instskip(SKIP_1) | instid1(VALU_DEP_1)
	v_mov_b32_e32 v113, v107
	v_pk_mul_f32 v[106:107], v[108:109], v[96:97] op_sel:[0,1]
	v_pk_fma_f32 v[110:111], v[108:109], v[98:99], v[106:107] op_sel:[0,0,1] op_sel_hi:[1,1,0] neg_lo:[0,0,1] neg_hi:[0,0,1]
	v_pk_fma_f32 v[106:107], v[108:109], v[98:99], v[106:107] op_sel:[0,0,1] op_sel_hi:[1,0,0]
	s_delay_alu instid0(VALU_DEP_1)
	v_mov_b32_e32 v111, v107
	ds_load_2addr_b64 v[106:109], v100 offset0:42 offset1:43
	v_pk_add_f32 v[6:7], v[6:7], v[112:113] neg_lo:[0,1] neg_hi:[0,1]
	v_pk_add_f32 v[36:37], v[36:37], v[110:111] neg_lo:[0,1] neg_hi:[0,1]
	s_wait_dscnt 0x0
	v_pk_mul_f32 v[110:111], v[106:107], v[96:97] op_sel:[0,1]
	s_delay_alu instid0(VALU_DEP_1) | instskip(SKIP_1) | instid1(VALU_DEP_1)
	v_pk_fma_f32 v[112:113], v[106:107], v[98:99], v[110:111] op_sel:[0,0,1] op_sel_hi:[1,1,0] neg_lo:[0,0,1] neg_hi:[0,0,1]
	v_pk_fma_f32 v[106:107], v[106:107], v[98:99], v[110:111] op_sel:[0,0,1] op_sel_hi:[1,0,0]
	v_mov_b32_e32 v113, v107
	v_pk_mul_f32 v[106:107], v[108:109], v[96:97] op_sel:[0,1]
	s_delay_alu instid0(VALU_DEP_1) | instskip(SKIP_1) | instid1(VALU_DEP_1)
	v_pk_fma_f32 v[110:111], v[108:109], v[98:99], v[106:107] op_sel:[0,0,1] op_sel_hi:[1,1,0] neg_lo:[0,0,1] neg_hi:[0,0,1]
	v_pk_fma_f32 v[106:107], v[108:109], v[98:99], v[106:107] op_sel:[0,0,1] op_sel_hi:[1,0,0]
	v_mov_b32_e32 v111, v107
	ds_load_b64 v[106:107], v100 offset:352
	v_pk_add_f32 v[18:19], v[18:19], v[112:113] neg_lo:[0,1] neg_hi:[0,1]
	v_pk_add_f32 v[16:17], v[16:17], v[110:111] neg_lo:[0,1] neg_hi:[0,1]
	s_wait_dscnt 0x0
	v_pk_mul_f32 v[96:97], v[106:107], v[96:97] op_sel:[0,1]
	s_delay_alu instid0(VALU_DEP_1) | instskip(SKIP_1) | instid1(VALU_DEP_1)
	v_pk_fma_f32 v[108:109], v[106:107], v[98:99], v[96:97] op_sel:[0,0,1] op_sel_hi:[1,1,0] neg_lo:[0,0,1] neg_hi:[0,0,1]
	v_pk_fma_f32 v[96:97], v[106:107], v[98:99], v[96:97] op_sel:[0,0,1] op_sel_hi:[1,0,0]
	v_mov_b32_e32 v109, v97
	s_delay_alu instid0(VALU_DEP_1)
	v_pk_add_f32 v[94:95], v[94:95], v[108:109] neg_lo:[0,1] neg_hi:[0,1]
.LBB88_545:
	s_or_b32 exec_lo, exec_lo, s0
	v_lshl_add_u32 v96, v104, 3, v100
	s_barrier_signal -1
	s_barrier_wait -1
	ds_store_b64 v96, v[58:59]
	s_wait_dscnt 0x0
	s_barrier_signal -1
	s_barrier_wait -1
	ds_load_b64 v[96:97], v100 offset:208
	v_mov_b32_e32 v98, 26
	s_cmp_lt_i32 s18, 28
	s_cbranch_scc1 .LBB88_548
; %bb.546:
	v_add3_u32 v99, v101, 0, 0xd8
	v_mov_b32_e32 v98, 26
	s_mov_b32 s0, 27
.LBB88_547:                             ; =>This Inner Loop Header: Depth=1
	ds_load_b64 v[106:107], v99
	s_wait_dscnt 0x1
	v_cmp_gt_f32_e32 vcc_lo, 0, v96
	v_cndmask_b32_e64 v108, v96, -v96, vcc_lo
	v_cmp_gt_f32_e32 vcc_lo, 0, v97
	v_cndmask_b32_e64 v110, v97, -v97, vcc_lo
	s_wait_dscnt 0x0
	v_cmp_gt_f32_e32 vcc_lo, 0, v106
	v_cndmask_b32_e64 v109, v106, -v106, vcc_lo
	v_cmp_gt_f32_e32 vcc_lo, 0, v107
	v_cndmask_b32_e64 v111, v107, -v107, vcc_lo
	s_delay_alu instid0(VALU_DEP_1) | instskip(NEXT) | instid1(VALU_DEP_1)
	v_pk_add_f32 v[108:109], v[108:109], v[110:111]
	v_cmp_lt_f32_e32 vcc_lo, v108, v109
	v_dual_cndmask_b32 v96, v96, v106 :: v_dual_add_nc_u32 v99, 8, v99
	v_cndmask_b32_e32 v97, v97, v107, vcc_lo
	v_cndmask_b32_e64 v98, v98, s0, vcc_lo
	s_add_co_i32 s0, s0, 1
	s_delay_alu instid0(SALU_CYCLE_1)
	s_cmp_lg_u32 s18, s0
	s_cbranch_scc1 .LBB88_547
.LBB88_548:
	s_wait_dscnt 0x0
	v_cmp_eq_f32_e32 vcc_lo, 0, v96
	v_cmp_eq_f32_e64 s0, 0, v97
	s_and_b32 s0, vcc_lo, s0
	s_delay_alu instid0(SALU_CYCLE_1) | instskip(NEXT) | instid1(SALU_CYCLE_1)
	s_and_saveexec_b32 s1, s0
	s_xor_b32 s0, exec_lo, s1
; %bb.549:
	v_cmp_ne_u32_e32 vcc_lo, 0, v102
	v_cndmask_b32_e32 v102, 27, v102, vcc_lo
; %bb.550:
	s_and_not1_saveexec_b32 s0, s0
	s_cbranch_execz .LBB88_556
; %bb.551:
	v_cmp_ngt_f32_e64 s1, |v96|, |v97|
	s_and_saveexec_b32 s12, s1
	s_delay_alu instid0(SALU_CYCLE_1)
	s_xor_b32 s1, exec_lo, s12
	s_cbranch_execz .LBB88_553
; %bb.552:
	v_div_scale_f32 v99, null, v97, v97, v96
	v_div_scale_f32 v107, vcc_lo, v96, v97, v96
	s_delay_alu instid0(VALU_DEP_2) | instskip(SKIP_1) | instid1(TRANS32_DEP_1)
	v_rcp_f32_e32 v105, v99
	v_nop
	v_fma_f32 v106, -v99, v105, 1.0
	s_delay_alu instid0(VALU_DEP_1) | instskip(NEXT) | instid1(VALU_DEP_1)
	v_fmac_f32_e32 v105, v106, v105
	v_mul_f32_e32 v106, v107, v105
	s_delay_alu instid0(VALU_DEP_1) | instskip(NEXT) | instid1(VALU_DEP_1)
	v_fma_f32 v108, -v99, v106, v107
	v_fmac_f32_e32 v106, v108, v105
	s_delay_alu instid0(VALU_DEP_1) | instskip(NEXT) | instid1(VALU_DEP_1)
	v_fma_f32 v99, -v99, v106, v107
	v_div_fmas_f32 v99, v99, v105, v106
	s_delay_alu instid0(VALU_DEP_1) | instskip(NEXT) | instid1(VALU_DEP_1)
	v_div_fixup_f32 v99, v99, v97, v96
	v_fmac_f32_e32 v97, v96, v99
	s_delay_alu instid0(VALU_DEP_1) | instskip(SKIP_1) | instid1(VALU_DEP_2)
	v_div_scale_f32 v96, null, v97, v97, 1.0
	v_div_scale_f32 v107, vcc_lo, 1.0, v97, 1.0
	v_rcp_f32_e32 v105, v96
	v_nop
	s_delay_alu instid0(TRANS32_DEP_1) | instskip(NEXT) | instid1(VALU_DEP_1)
	v_fma_f32 v106, -v96, v105, 1.0
	v_fmac_f32_e32 v105, v106, v105
	s_delay_alu instid0(VALU_DEP_1) | instskip(NEXT) | instid1(VALU_DEP_1)
	v_mul_f32_e32 v106, v107, v105
	v_fma_f32 v108, -v96, v106, v107
	s_delay_alu instid0(VALU_DEP_1) | instskip(NEXT) | instid1(VALU_DEP_1)
	v_fmac_f32_e32 v106, v108, v105
	v_fma_f32 v96, -v96, v106, v107
	s_delay_alu instid0(VALU_DEP_1) | instskip(NEXT) | instid1(VALU_DEP_1)
	v_div_fmas_f32 v96, v96, v105, v106
	v_div_fixup_f32 v97, v96, v97, 1.0
	s_delay_alu instid0(VALU_DEP_1)
	v_mul_f32_e32 v96, v99, v97
	v_xor_b32_e32 v97, 0x80000000, v97
.LBB88_553:
	s_and_not1_saveexec_b32 s1, s1
	s_cbranch_execz .LBB88_555
; %bb.554:
	s_delay_alu instid0(VALU_DEP_1) | instskip(SKIP_1) | instid1(VALU_DEP_2)
	v_div_scale_f32 v99, null, v96, v96, v97
	v_div_scale_f32 v107, vcc_lo, v97, v96, v97
	v_rcp_f32_e32 v105, v99
	v_nop
	s_delay_alu instid0(TRANS32_DEP_1) | instskip(NEXT) | instid1(VALU_DEP_1)
	v_fma_f32 v106, -v99, v105, 1.0
	v_fmac_f32_e32 v105, v106, v105
	s_delay_alu instid0(VALU_DEP_1) | instskip(NEXT) | instid1(VALU_DEP_1)
	v_mul_f32_e32 v106, v107, v105
	v_fma_f32 v108, -v99, v106, v107
	s_delay_alu instid0(VALU_DEP_1) | instskip(NEXT) | instid1(VALU_DEP_1)
	v_fmac_f32_e32 v106, v108, v105
	v_fma_f32 v99, -v99, v106, v107
	s_delay_alu instid0(VALU_DEP_1) | instskip(NEXT) | instid1(VALU_DEP_1)
	v_div_fmas_f32 v99, v99, v105, v106
	v_div_fixup_f32 v99, v99, v96, v97
	s_delay_alu instid0(VALU_DEP_1) | instskip(NEXT) | instid1(VALU_DEP_1)
	v_fmac_f32_e32 v96, v97, v99
	v_div_scale_f32 v97, null, v96, v96, 1.0
	s_delay_alu instid0(VALU_DEP_1) | instskip(SKIP_1) | instid1(TRANS32_DEP_1)
	v_rcp_f32_e32 v105, v97
	v_nop
	v_fma_f32 v106, -v97, v105, 1.0
	s_delay_alu instid0(VALU_DEP_1) | instskip(SKIP_1) | instid1(VALU_DEP_1)
	v_fmac_f32_e32 v105, v106, v105
	v_div_scale_f32 v106, vcc_lo, 1.0, v96, 1.0
	v_mul_f32_e32 v107, v106, v105
	s_delay_alu instid0(VALU_DEP_1) | instskip(NEXT) | instid1(VALU_DEP_1)
	v_fma_f32 v108, -v97, v107, v106
	v_fmac_f32_e32 v107, v108, v105
	s_delay_alu instid0(VALU_DEP_1) | instskip(NEXT) | instid1(VALU_DEP_1)
	v_fma_f32 v97, -v97, v107, v106
	v_div_fmas_f32 v97, v97, v105, v107
	s_delay_alu instid0(VALU_DEP_1) | instskip(NEXT) | instid1(VALU_DEP_1)
	v_div_fixup_f32 v96, v97, v96, 1.0
	v_mul_f32_e64 v97, v99, -v96
.LBB88_555:
	s_or_b32 exec_lo, exec_lo, s1
.LBB88_556:
	s_delay_alu instid0(SALU_CYCLE_1) | instskip(NEXT) | instid1(SALU_CYCLE_1)
	s_or_b32 exec_lo, exec_lo, s0
	s_mov_b32 s0, exec_lo
	v_cmpx_ne_u32_e64 v104, v98
	s_xor_b32 s0, exec_lo, s0
	s_cbranch_execz .LBB88_562
; %bb.557:
	s_mov_b32 s1, exec_lo
	v_cmpx_eq_u32_e32 26, v104
	s_cbranch_execz .LBB88_561
; %bb.558:
	v_cmp_ne_u32_e32 vcc_lo, 26, v98
	s_xor_b32 s12, s16, -1
	s_delay_alu instid0(SALU_CYCLE_1) | instskip(NEXT) | instid1(SALU_CYCLE_1)
	s_and_b32 s13, s12, vcc_lo
	s_and_saveexec_b32 s12, s13
	s_cbranch_execz .LBB88_560
; %bb.559:
	v_ashrrev_i32_e32 v99, 31, v98
	s_delay_alu instid0(VALU_DEP_1)
	v_lshl_add_u64 v[104:105], v[98:99], 2, v[4:5]
	s_clause 0x1
	global_load_b32 v99, v[104:105], off
	global_load_b32 v103, v[4:5], off offset:104
	s_wait_loadcnt 0x1
	global_store_b32 v[4:5], v99, off offset:104
	s_wait_loadcnt 0x0
	global_store_b32 v[104:105], v103, off
.LBB88_560:
	s_wait_xcnt 0x0
	s_or_b32 exec_lo, exec_lo, s12
	v_dual_mov_b32 v104, v98 :: v_dual_mov_b32 v103, v98
.LBB88_561:
	s_or_b32 exec_lo, exec_lo, s1
.LBB88_562:
	s_and_not1_saveexec_b32 s0, s0
	s_cbranch_execz .LBB88_564
; %bb.563:
	v_mov_b32_e32 v104, 26
	ds_store_2addr_b64 v100, v[54:55], v[48:49] offset0:27 offset1:28
	ds_store_2addr_b64 v100, v[40:41], v[46:47] offset0:29 offset1:30
	;; [unrolled: 1-line block ×9, first 2 shown]
.LBB88_564:
	s_or_b32 exec_lo, exec_lo, s0
	s_delay_alu instid0(SALU_CYCLE_1)
	s_mov_b32 s0, exec_lo
	s_wait_storecnt_dscnt 0x0
	s_barrier_signal -1
	s_barrier_wait -1
	v_cmpx_lt_i32_e32 26, v104
	s_cbranch_execz .LBB88_566
; %bb.565:
	v_pk_mul_f32 v[106:107], v[96:97], v[58:59] op_sel:[1,1] op_sel_hi:[0,1]
	s_delay_alu instid0(VALU_DEP_1)
	v_pk_fma_f32 v[98:99], v[96:97], v[58:59], v[106:107] op_sel_hi:[1,0,1] neg_lo:[0,0,1] neg_hi:[0,0,1]
	v_pk_fma_f32 v[96:97], v[96:97], v[58:59], v[106:107] op_sel_hi:[1,0,1]
	ds_load_2addr_b64 v[106:109], v100 offset0:27 offset1:28
	v_dual_mov_b32 v58, v98 :: v_dual_mov_b32 v59, v97
	s_wait_dscnt 0x0
	v_pk_mul_f32 v[110:111], v[106:107], v[96:97] op_sel:[0,1]
	s_delay_alu instid0(VALU_DEP_1) | instskip(SKIP_1) | instid1(VALU_DEP_1)
	v_pk_fma_f32 v[112:113], v[106:107], v[98:99], v[110:111] op_sel:[0,0,1] op_sel_hi:[1,1,0] neg_lo:[0,0,1] neg_hi:[0,0,1]
	v_pk_fma_f32 v[106:107], v[106:107], v[98:99], v[110:111] op_sel:[0,0,1] op_sel_hi:[1,0,0]
	v_mov_b32_e32 v113, v107
	v_pk_mul_f32 v[106:107], v[108:109], v[96:97] op_sel:[0,1]
	s_delay_alu instid0(VALU_DEP_1) | instskip(SKIP_1) | instid1(VALU_DEP_1)
	v_pk_fma_f32 v[110:111], v[108:109], v[98:99], v[106:107] op_sel:[0,0,1] op_sel_hi:[1,1,0] neg_lo:[0,0,1] neg_hi:[0,0,1]
	v_pk_fma_f32 v[106:107], v[108:109], v[98:99], v[106:107] op_sel:[0,0,1] op_sel_hi:[1,0,0]
	v_mov_b32_e32 v111, v107
	ds_load_2addr_b64 v[106:109], v100 offset0:29 offset1:30
	v_pk_add_f32 v[54:55], v[54:55], v[112:113] neg_lo:[0,1] neg_hi:[0,1]
	v_pk_add_f32 v[48:49], v[48:49], v[110:111] neg_lo:[0,1] neg_hi:[0,1]
	s_wait_dscnt 0x0
	v_pk_mul_f32 v[110:111], v[106:107], v[96:97] op_sel:[0,1]
	s_delay_alu instid0(VALU_DEP_1) | instskip(SKIP_2) | instid1(VALU_DEP_2)
	v_pk_fma_f32 v[112:113], v[106:107], v[98:99], v[110:111] op_sel:[0,0,1] op_sel_hi:[1,1,0] neg_lo:[0,0,1] neg_hi:[0,0,1]
	v_pk_fma_f32 v[106:107], v[106:107], v[98:99], v[110:111] op_sel:[0,0,1] op_sel_hi:[1,0,0]
	v_dual_mul_f32 v110, v109, v97 :: v_dual_mov_b32 v106, v109
	v_dual_mov_b32 v113, v107 :: v_dual_mov_b32 v107, v108
	s_delay_alu instid0(VALU_DEP_2) | instskip(SKIP_1) | instid1(VALU_DEP_3)
	v_pk_fma_f32 v[110:111], v[108:109], v[58:59], v[110:111] op_sel_hi:[1,1,0] neg_lo:[0,0,1] neg_hi:[0,0,1]
	v_mul_f32_e32 v108, v109, v98
	v_pk_add_f32 v[40:41], v[40:41], v[112:113] neg_lo:[0,1] neg_hi:[0,1]
	s_delay_alu instid0(VALU_DEP_2) | instskip(NEXT) | instid1(VALU_DEP_1)
	v_pk_fma_f32 v[106:107], v[106:107], v[58:59], v[108:109] op_sel_hi:[1,1,0]
	v_mov_b32_e32 v111, v107
	ds_load_2addr_b64 v[106:109], v100 offset0:31 offset1:32
	v_pk_add_f32 v[46:47], v[46:47], v[110:111] neg_lo:[0,1] neg_hi:[0,1]
	s_wait_dscnt 0x0
	v_pk_mul_f32 v[110:111], v[106:107], v[96:97] op_sel:[0,1]
	s_delay_alu instid0(VALU_DEP_1) | instskip(SKIP_1) | instid1(VALU_DEP_1)
	v_pk_fma_f32 v[112:113], v[106:107], v[98:99], v[110:111] op_sel:[0,0,1] op_sel_hi:[1,1,0] neg_lo:[0,0,1] neg_hi:[0,0,1]
	v_pk_fma_f32 v[106:107], v[106:107], v[98:99], v[110:111] op_sel:[0,0,1] op_sel_hi:[1,0,0]
	v_mov_b32_e32 v113, v107
	v_pk_mul_f32 v[106:107], v[108:109], v[96:97] op_sel:[0,1]
	s_delay_alu instid0(VALU_DEP_1) | instskip(SKIP_1) | instid1(VALU_DEP_1)
	v_pk_fma_f32 v[110:111], v[108:109], v[98:99], v[106:107] op_sel:[0,0,1] op_sel_hi:[1,1,0] neg_lo:[0,0,1] neg_hi:[0,0,1]
	v_pk_fma_f32 v[106:107], v[108:109], v[98:99], v[106:107] op_sel:[0,0,1] op_sel_hi:[1,0,0]
	v_mov_b32_e32 v111, v107
	ds_load_2addr_b64 v[106:109], v100 offset0:33 offset1:34
	v_pk_add_f32 v[38:39], v[38:39], v[112:113] neg_lo:[0,1] neg_hi:[0,1]
	v_pk_add_f32 v[30:31], v[30:31], v[110:111] neg_lo:[0,1] neg_hi:[0,1]
	s_wait_dscnt 0x0
	v_pk_mul_f32 v[110:111], v[106:107], v[96:97] op_sel:[0,1]
	s_delay_alu instid0(VALU_DEP_1) | instskip(SKIP_1) | instid1(VALU_DEP_1)
	v_pk_fma_f32 v[112:113], v[106:107], v[98:99], v[110:111] op_sel:[0,0,1] op_sel_hi:[1,1,0] neg_lo:[0,0,1] neg_hi:[0,0,1]
	v_pk_fma_f32 v[106:107], v[106:107], v[98:99], v[110:111] op_sel:[0,0,1] op_sel_hi:[1,0,0]
	v_mov_b32_e32 v113, v107
	v_pk_mul_f32 v[106:107], v[108:109], v[96:97] op_sel:[0,1]
	s_delay_alu instid0(VALU_DEP_1) | instskip(SKIP_1) | instid1(VALU_DEP_1)
	v_pk_fma_f32 v[110:111], v[108:109], v[98:99], v[106:107] op_sel:[0,0,1] op_sel_hi:[1,1,0] neg_lo:[0,0,1] neg_hi:[0,0,1]
	v_pk_fma_f32 v[106:107], v[108:109], v[98:99], v[106:107] op_sel:[0,0,1] op_sel_hi:[1,0,0]
	v_mov_b32_e32 v111, v107
	ds_load_2addr_b64 v[106:109], v100 offset0:35 offset1:36
	v_pk_add_f32 v[22:23], v[22:23], v[112:113] neg_lo:[0,1] neg_hi:[0,1]
	v_pk_add_f32 v[28:29], v[28:29], v[110:111] neg_lo:[0,1] neg_hi:[0,1]
	s_wait_dscnt 0x0
	v_dual_mul_f32 v110, v107, v97 :: v_dual_mul_f32 v112, v107, v98
	s_delay_alu instid0(VALU_DEP_1) | instskip(NEXT) | instid1(VALU_DEP_2)
	v_pk_fma_f32 v[110:111], v[106:107], v[58:59], v[110:111] op_sel_hi:[1,1,0] neg_lo:[0,0,1] neg_hi:[0,0,1]
	v_pk_fma_f32 v[106:107], v[106:107], v[58:59], v[112:113] op_sel:[1,0,0] op_sel_hi:[0,1,0]
	s_delay_alu instid0(VALU_DEP_1) | instskip(SKIP_1) | instid1(VALU_DEP_2)
	v_mov_b32_e32 v111, v107
	v_pk_mul_f32 v[106:107], v[108:109], v[96:97] op_sel:[0,1]
	v_pk_add_f32 v[20:21], v[20:21], v[110:111] neg_lo:[0,1] neg_hi:[0,1]
	s_delay_alu instid0(VALU_DEP_2) | instskip(SKIP_1) | instid1(VALU_DEP_1)
	v_pk_fma_f32 v[110:111], v[108:109], v[98:99], v[106:107] op_sel:[0,0,1] op_sel_hi:[1,1,0] neg_lo:[0,0,1] neg_hi:[0,0,1]
	v_pk_fma_f32 v[106:107], v[108:109], v[98:99], v[106:107] op_sel:[0,0,1] op_sel_hi:[1,0,0]
	v_mov_b32_e32 v111, v107
	ds_load_2addr_b64 v[106:109], v100 offset0:37 offset1:38
	v_pk_add_f32 v[14:15], v[14:15], v[110:111] neg_lo:[0,1] neg_hi:[0,1]
	s_wait_dscnt 0x0
	v_pk_mul_f32 v[110:111], v[106:107], v[96:97] op_sel:[0,1]
	s_delay_alu instid0(VALU_DEP_1) | instskip(SKIP_1) | instid1(VALU_DEP_1)
	v_pk_fma_f32 v[112:113], v[106:107], v[98:99], v[110:111] op_sel:[0,0,1] op_sel_hi:[1,1,0] neg_lo:[0,0,1] neg_hi:[0,0,1]
	v_pk_fma_f32 v[106:107], v[106:107], v[98:99], v[110:111] op_sel:[0,0,1] op_sel_hi:[1,0,0]
	v_mov_b32_e32 v113, v107
	v_pk_mul_f32 v[106:107], v[108:109], v[96:97] op_sel:[0,1]
	s_delay_alu instid0(VALU_DEP_2) | instskip(NEXT) | instid1(VALU_DEP_2)
	v_pk_add_f32 v[10:11], v[10:11], v[112:113] neg_lo:[0,1] neg_hi:[0,1]
	v_pk_fma_f32 v[110:111], v[108:109], v[98:99], v[106:107] op_sel:[0,0,1] op_sel_hi:[1,1,0] neg_lo:[0,0,1] neg_hi:[0,0,1]
	v_pk_fma_f32 v[106:107], v[108:109], v[98:99], v[106:107] op_sel:[0,0,1] op_sel_hi:[1,0,0]
	s_delay_alu instid0(VALU_DEP_1) | instskip(SKIP_4) | instid1(VALU_DEP_1)
	v_mov_b32_e32 v111, v107
	ds_load_2addr_b64 v[106:109], v100 offset0:39 offset1:40
	v_pk_add_f32 v[12:13], v[12:13], v[110:111] neg_lo:[0,1] neg_hi:[0,1]
	s_wait_dscnt 0x0
	v_pk_mul_f32 v[110:111], v[106:107], v[96:97] op_sel:[0,1]
	v_pk_fma_f32 v[112:113], v[106:107], v[98:99], v[110:111] op_sel:[0,0,1] op_sel_hi:[1,1,0] neg_lo:[0,0,1] neg_hi:[0,0,1]
	v_pk_fma_f32 v[106:107], v[106:107], v[98:99], v[110:111] op_sel:[0,0,1] op_sel_hi:[1,0,0]
	v_dual_mul_f32 v110, v109, v97 :: v_dual_mov_b32 v106, v109
	s_delay_alu instid0(VALU_DEP_2) | instskip(NEXT) | instid1(VALU_DEP_2)
	v_dual_mov_b32 v113, v107 :: v_dual_mov_b32 v107, v108
	v_pk_fma_f32 v[110:111], v[108:109], v[58:59], v[110:111] op_sel_hi:[1,1,0] neg_lo:[0,0,1] neg_hi:[0,0,1]
	v_mul_f32_e32 v108, v109, v98
	s_delay_alu instid0(VALU_DEP_3) | instskip(NEXT) | instid1(VALU_DEP_2)
	v_pk_add_f32 v[8:9], v[8:9], v[112:113] neg_lo:[0,1] neg_hi:[0,1]
	v_pk_fma_f32 v[106:107], v[106:107], v[58:59], v[108:109] op_sel_hi:[1,1,0]
	s_delay_alu instid0(VALU_DEP_1) | instskip(SKIP_4) | instid1(VALU_DEP_1)
	v_mov_b32_e32 v111, v107
	ds_load_2addr_b64 v[106:109], v100 offset0:41 offset1:42
	v_pk_add_f32 v[6:7], v[6:7], v[110:111] neg_lo:[0,1] neg_hi:[0,1]
	s_wait_dscnt 0x0
	v_pk_mul_f32 v[110:111], v[106:107], v[96:97] op_sel:[0,1]
	v_pk_fma_f32 v[112:113], v[106:107], v[98:99], v[110:111] op_sel:[0,0,1] op_sel_hi:[1,1,0] neg_lo:[0,0,1] neg_hi:[0,0,1]
	v_pk_fma_f32 v[106:107], v[106:107], v[98:99], v[110:111] op_sel:[0,0,1] op_sel_hi:[1,0,0]
	s_delay_alu instid0(VALU_DEP_1) | instskip(SKIP_1) | instid1(VALU_DEP_1)
	v_mov_b32_e32 v113, v107
	v_pk_mul_f32 v[106:107], v[108:109], v[96:97] op_sel:[0,1]
	v_pk_fma_f32 v[110:111], v[108:109], v[98:99], v[106:107] op_sel:[0,0,1] op_sel_hi:[1,1,0] neg_lo:[0,0,1] neg_hi:[0,0,1]
	v_pk_fma_f32 v[106:107], v[108:109], v[98:99], v[106:107] op_sel:[0,0,1] op_sel_hi:[1,0,0]
	s_delay_alu instid0(VALU_DEP_1)
	v_mov_b32_e32 v111, v107
	ds_load_2addr_b64 v[106:109], v100 offset0:43 offset1:44
	v_pk_add_f32 v[36:37], v[36:37], v[112:113] neg_lo:[0,1] neg_hi:[0,1]
	v_pk_add_f32 v[18:19], v[18:19], v[110:111] neg_lo:[0,1] neg_hi:[0,1]
	s_wait_dscnt 0x0
	v_pk_mul_f32 v[110:111], v[106:107], v[96:97] op_sel:[0,1]
	v_mul_f32_e32 v96, v109, v97
	s_delay_alu instid0(VALU_DEP_2) | instskip(SKIP_2) | instid1(VALU_DEP_4)
	v_pk_fma_f32 v[112:113], v[106:107], v[98:99], v[110:111] op_sel:[0,0,1] op_sel_hi:[1,1,0] neg_lo:[0,0,1] neg_hi:[0,0,1]
	v_pk_fma_f32 v[106:107], v[106:107], v[98:99], v[110:111] op_sel:[0,0,1] op_sel_hi:[1,0,0]
	v_dual_mov_b32 v106, v109 :: v_dual_mul_f32 v98, v109, v98
	v_pk_fma_f32 v[96:97], v[108:109], v[58:59], v[96:97] op_sel_hi:[1,1,0] neg_lo:[0,0,1] neg_hi:[0,0,1]
	s_delay_alu instid0(VALU_DEP_3) | instskip(NEXT) | instid1(VALU_DEP_1)
	v_dual_mov_b32 v113, v107 :: v_dual_mov_b32 v107, v108
	v_pk_add_f32 v[16:17], v[16:17], v[112:113] neg_lo:[0,1] neg_hi:[0,1]
	s_delay_alu instid0(VALU_DEP_2) | instskip(NEXT) | instid1(VALU_DEP_1)
	v_pk_fma_f32 v[98:99], v[106:107], v[58:59], v[98:99] op_sel_hi:[1,1,0]
	v_mov_b32_e32 v97, v99
	s_delay_alu instid0(VALU_DEP_1)
	v_pk_add_f32 v[94:95], v[94:95], v[96:97] neg_lo:[0,1] neg_hi:[0,1]
.LBB88_566:
	s_or_b32 exec_lo, exec_lo, s0
	v_lshl_add_u32 v96, v104, 3, v100
	s_barrier_signal -1
	s_barrier_wait -1
	ds_store_b64 v96, v[54:55]
	s_wait_dscnt 0x0
	s_barrier_signal -1
	s_barrier_wait -1
	ds_load_b64 v[96:97], v100 offset:216
	v_mov_b32_e32 v98, 27
	s_cmp_lt_i32 s18, 29
	s_cbranch_scc1 .LBB88_569
; %bb.567:
	v_add3_u32 v99, v101, 0, 0xe0
	v_mov_b32_e32 v98, 27
	s_mov_b32 s0, 28
.LBB88_568:                             ; =>This Inner Loop Header: Depth=1
	ds_load_b64 v[106:107], v99
	s_wait_dscnt 0x1
	v_cmp_gt_f32_e32 vcc_lo, 0, v96
	v_cndmask_b32_e64 v108, v96, -v96, vcc_lo
	v_cmp_gt_f32_e32 vcc_lo, 0, v97
	v_cndmask_b32_e64 v110, v97, -v97, vcc_lo
	s_wait_dscnt 0x0
	v_cmp_gt_f32_e32 vcc_lo, 0, v106
	v_cndmask_b32_e64 v109, v106, -v106, vcc_lo
	v_cmp_gt_f32_e32 vcc_lo, 0, v107
	v_cndmask_b32_e64 v111, v107, -v107, vcc_lo
	s_delay_alu instid0(VALU_DEP_1) | instskip(NEXT) | instid1(VALU_DEP_1)
	v_pk_add_f32 v[108:109], v[108:109], v[110:111]
	v_cmp_lt_f32_e32 vcc_lo, v108, v109
	v_dual_cndmask_b32 v96, v96, v106 :: v_dual_add_nc_u32 v99, 8, v99
	v_cndmask_b32_e32 v97, v97, v107, vcc_lo
	v_cndmask_b32_e64 v98, v98, s0, vcc_lo
	s_add_co_i32 s0, s0, 1
	s_delay_alu instid0(SALU_CYCLE_1)
	s_cmp_lg_u32 s18, s0
	s_cbranch_scc1 .LBB88_568
.LBB88_569:
	s_wait_dscnt 0x0
	v_cmp_eq_f32_e32 vcc_lo, 0, v96
	v_cmp_eq_f32_e64 s0, 0, v97
	s_and_b32 s0, vcc_lo, s0
	s_delay_alu instid0(SALU_CYCLE_1) | instskip(NEXT) | instid1(SALU_CYCLE_1)
	s_and_saveexec_b32 s1, s0
	s_xor_b32 s0, exec_lo, s1
; %bb.570:
	v_cmp_ne_u32_e32 vcc_lo, 0, v102
	v_cndmask_b32_e32 v102, 28, v102, vcc_lo
; %bb.571:
	s_and_not1_saveexec_b32 s0, s0
	s_cbranch_execz .LBB88_577
; %bb.572:
	v_cmp_ngt_f32_e64 s1, |v96|, |v97|
	s_and_saveexec_b32 s12, s1
	s_delay_alu instid0(SALU_CYCLE_1)
	s_xor_b32 s1, exec_lo, s12
	s_cbranch_execz .LBB88_574
; %bb.573:
	v_div_scale_f32 v99, null, v97, v97, v96
	v_div_scale_f32 v107, vcc_lo, v96, v97, v96
	s_delay_alu instid0(VALU_DEP_2) | instskip(SKIP_1) | instid1(TRANS32_DEP_1)
	v_rcp_f32_e32 v105, v99
	v_nop
	v_fma_f32 v106, -v99, v105, 1.0
	s_delay_alu instid0(VALU_DEP_1) | instskip(NEXT) | instid1(VALU_DEP_1)
	v_fmac_f32_e32 v105, v106, v105
	v_mul_f32_e32 v106, v107, v105
	s_delay_alu instid0(VALU_DEP_1) | instskip(NEXT) | instid1(VALU_DEP_1)
	v_fma_f32 v108, -v99, v106, v107
	v_fmac_f32_e32 v106, v108, v105
	s_delay_alu instid0(VALU_DEP_1) | instskip(NEXT) | instid1(VALU_DEP_1)
	v_fma_f32 v99, -v99, v106, v107
	v_div_fmas_f32 v99, v99, v105, v106
	s_delay_alu instid0(VALU_DEP_1) | instskip(NEXT) | instid1(VALU_DEP_1)
	v_div_fixup_f32 v99, v99, v97, v96
	v_fmac_f32_e32 v97, v96, v99
	s_delay_alu instid0(VALU_DEP_1) | instskip(SKIP_1) | instid1(VALU_DEP_2)
	v_div_scale_f32 v96, null, v97, v97, 1.0
	v_div_scale_f32 v107, vcc_lo, 1.0, v97, 1.0
	v_rcp_f32_e32 v105, v96
	v_nop
	s_delay_alu instid0(TRANS32_DEP_1) | instskip(NEXT) | instid1(VALU_DEP_1)
	v_fma_f32 v106, -v96, v105, 1.0
	v_fmac_f32_e32 v105, v106, v105
	s_delay_alu instid0(VALU_DEP_1) | instskip(NEXT) | instid1(VALU_DEP_1)
	v_mul_f32_e32 v106, v107, v105
	v_fma_f32 v108, -v96, v106, v107
	s_delay_alu instid0(VALU_DEP_1) | instskip(NEXT) | instid1(VALU_DEP_1)
	v_fmac_f32_e32 v106, v108, v105
	v_fma_f32 v96, -v96, v106, v107
	s_delay_alu instid0(VALU_DEP_1) | instskip(NEXT) | instid1(VALU_DEP_1)
	v_div_fmas_f32 v96, v96, v105, v106
	v_div_fixup_f32 v97, v96, v97, 1.0
	s_delay_alu instid0(VALU_DEP_1)
	v_mul_f32_e32 v96, v99, v97
	v_xor_b32_e32 v97, 0x80000000, v97
.LBB88_574:
	s_and_not1_saveexec_b32 s1, s1
	s_cbranch_execz .LBB88_576
; %bb.575:
	s_delay_alu instid0(VALU_DEP_1) | instskip(SKIP_1) | instid1(VALU_DEP_2)
	v_div_scale_f32 v99, null, v96, v96, v97
	v_div_scale_f32 v107, vcc_lo, v97, v96, v97
	v_rcp_f32_e32 v105, v99
	v_nop
	s_delay_alu instid0(TRANS32_DEP_1) | instskip(NEXT) | instid1(VALU_DEP_1)
	v_fma_f32 v106, -v99, v105, 1.0
	v_fmac_f32_e32 v105, v106, v105
	s_delay_alu instid0(VALU_DEP_1) | instskip(NEXT) | instid1(VALU_DEP_1)
	v_mul_f32_e32 v106, v107, v105
	v_fma_f32 v108, -v99, v106, v107
	s_delay_alu instid0(VALU_DEP_1) | instskip(NEXT) | instid1(VALU_DEP_1)
	v_fmac_f32_e32 v106, v108, v105
	v_fma_f32 v99, -v99, v106, v107
	s_delay_alu instid0(VALU_DEP_1) | instskip(NEXT) | instid1(VALU_DEP_1)
	v_div_fmas_f32 v99, v99, v105, v106
	v_div_fixup_f32 v99, v99, v96, v97
	s_delay_alu instid0(VALU_DEP_1) | instskip(NEXT) | instid1(VALU_DEP_1)
	v_fmac_f32_e32 v96, v97, v99
	v_div_scale_f32 v97, null, v96, v96, 1.0
	s_delay_alu instid0(VALU_DEP_1) | instskip(SKIP_1) | instid1(TRANS32_DEP_1)
	v_rcp_f32_e32 v105, v97
	v_nop
	v_fma_f32 v106, -v97, v105, 1.0
	s_delay_alu instid0(VALU_DEP_1) | instskip(SKIP_1) | instid1(VALU_DEP_1)
	v_fmac_f32_e32 v105, v106, v105
	v_div_scale_f32 v106, vcc_lo, 1.0, v96, 1.0
	v_mul_f32_e32 v107, v106, v105
	s_delay_alu instid0(VALU_DEP_1) | instskip(NEXT) | instid1(VALU_DEP_1)
	v_fma_f32 v108, -v97, v107, v106
	v_fmac_f32_e32 v107, v108, v105
	s_delay_alu instid0(VALU_DEP_1) | instskip(NEXT) | instid1(VALU_DEP_1)
	v_fma_f32 v97, -v97, v107, v106
	v_div_fmas_f32 v97, v97, v105, v107
	s_delay_alu instid0(VALU_DEP_1) | instskip(NEXT) | instid1(VALU_DEP_1)
	v_div_fixup_f32 v96, v97, v96, 1.0
	v_mul_f32_e64 v97, v99, -v96
.LBB88_576:
	s_or_b32 exec_lo, exec_lo, s1
.LBB88_577:
	s_delay_alu instid0(SALU_CYCLE_1) | instskip(NEXT) | instid1(SALU_CYCLE_1)
	s_or_b32 exec_lo, exec_lo, s0
	s_mov_b32 s0, exec_lo
	v_cmpx_ne_u32_e64 v104, v98
	s_xor_b32 s0, exec_lo, s0
	s_cbranch_execz .LBB88_583
; %bb.578:
	s_mov_b32 s1, exec_lo
	v_cmpx_eq_u32_e32 27, v104
	s_cbranch_execz .LBB88_582
; %bb.579:
	v_cmp_ne_u32_e32 vcc_lo, 27, v98
	s_xor_b32 s12, s16, -1
	s_delay_alu instid0(SALU_CYCLE_1) | instskip(NEXT) | instid1(SALU_CYCLE_1)
	s_and_b32 s13, s12, vcc_lo
	s_and_saveexec_b32 s12, s13
	s_cbranch_execz .LBB88_581
; %bb.580:
	v_ashrrev_i32_e32 v99, 31, v98
	s_delay_alu instid0(VALU_DEP_1)
	v_lshl_add_u64 v[104:105], v[98:99], 2, v[4:5]
	s_clause 0x1
	global_load_b32 v99, v[104:105], off
	global_load_b32 v103, v[4:5], off offset:108
	s_wait_loadcnt 0x1
	global_store_b32 v[4:5], v99, off offset:108
	s_wait_loadcnt 0x0
	global_store_b32 v[104:105], v103, off
.LBB88_581:
	s_wait_xcnt 0x0
	s_or_b32 exec_lo, exec_lo, s12
	v_dual_mov_b32 v104, v98 :: v_dual_mov_b32 v103, v98
.LBB88_582:
	s_or_b32 exec_lo, exec_lo, s1
.LBB88_583:
	s_and_not1_saveexec_b32 s0, s0
	s_cbranch_execz .LBB88_585
; %bb.584:
	v_dual_mov_b32 v98, v48 :: v_dual_mov_b32 v99, v49
	v_dual_mov_b32 v104, v40 :: v_dual_mov_b32 v105, v41
	;; [unrolled: 1-line block ×8, first 2 shown]
	ds_store_2addr_b64 v100, v[98:99], v[104:105] offset0:28 offset1:29
	ds_store_2addr_b64 v100, v[106:107], v[108:109] offset0:30 offset1:31
	;; [unrolled: 1-line block ×4, first 2 shown]
	v_dual_mov_b32 v98, v14 :: v_dual_mov_b32 v99, v15
	v_dual_mov_b32 v106, v10 :: v_dual_mov_b32 v107, v11
	;; [unrolled: 1-line block ×8, first 2 shown]
	v_mov_b32_e32 v119, v17
	ds_store_2addr_b64 v100, v[98:99], v[106:107] offset0:36 offset1:37
	ds_store_2addr_b64 v100, v[108:109], v[110:111] offset0:38 offset1:39
	;; [unrolled: 1-line block ×4, first 2 shown]
	ds_store_b64 v100, v[94:95] offset:352
.LBB88_585:
	s_or_b32 exec_lo, exec_lo, s0
	s_delay_alu instid0(SALU_CYCLE_1)
	s_mov_b32 s0, exec_lo
	s_wait_storecnt_dscnt 0x0
	s_barrier_signal -1
	s_barrier_wait -1
	v_cmpx_lt_i32_e32 27, v104
	s_cbranch_execz .LBB88_587
; %bb.586:
	v_pk_mul_f32 v[106:107], v[96:97], v[54:55] op_sel:[1,1] op_sel_hi:[0,1]
	s_delay_alu instid0(VALU_DEP_1)
	v_pk_fma_f32 v[98:99], v[96:97], v[54:55], v[106:107] op_sel_hi:[1,0,1] neg_lo:[0,0,1] neg_hi:[0,0,1]
	v_pk_fma_f32 v[96:97], v[96:97], v[54:55], v[106:107] op_sel_hi:[1,0,1]
	ds_load_2addr_b64 v[106:109], v100 offset0:28 offset1:29
	v_dual_mov_b32 v54, v98 :: v_dual_mov_b32 v55, v97
	s_wait_dscnt 0x0
	v_pk_mul_f32 v[110:111], v[106:107], v[96:97] op_sel:[0,1]
	s_delay_alu instid0(VALU_DEP_1) | instskip(SKIP_1) | instid1(VALU_DEP_1)
	v_pk_fma_f32 v[112:113], v[106:107], v[98:99], v[110:111] op_sel:[0,0,1] op_sel_hi:[1,1,0] neg_lo:[0,0,1] neg_hi:[0,0,1]
	v_pk_fma_f32 v[106:107], v[106:107], v[98:99], v[110:111] op_sel:[0,0,1] op_sel_hi:[1,0,0]
	v_mov_b32_e32 v113, v107
	v_pk_mul_f32 v[106:107], v[108:109], v[96:97] op_sel:[0,1]
	s_delay_alu instid0(VALU_DEP_1) | instskip(SKIP_1) | instid1(VALU_DEP_1)
	v_pk_fma_f32 v[110:111], v[108:109], v[98:99], v[106:107] op_sel:[0,0,1] op_sel_hi:[1,1,0] neg_lo:[0,0,1] neg_hi:[0,0,1]
	v_pk_fma_f32 v[106:107], v[108:109], v[98:99], v[106:107] op_sel:[0,0,1] op_sel_hi:[1,0,0]
	v_mov_b32_e32 v111, v107
	ds_load_2addr_b64 v[106:109], v100 offset0:30 offset1:31
	v_pk_add_f32 v[48:49], v[48:49], v[112:113] neg_lo:[0,1] neg_hi:[0,1]
	v_pk_add_f32 v[40:41], v[40:41], v[110:111] neg_lo:[0,1] neg_hi:[0,1]
	s_wait_dscnt 0x0
	v_pk_mul_f32 v[110:111], v[106:107], v[96:97] op_sel:[0,1]
	s_delay_alu instid0(VALU_DEP_1) | instskip(SKIP_2) | instid1(VALU_DEP_2)
	v_pk_fma_f32 v[112:113], v[106:107], v[98:99], v[110:111] op_sel:[0,0,1] op_sel_hi:[1,1,0] neg_lo:[0,0,1] neg_hi:[0,0,1]
	v_pk_fma_f32 v[106:107], v[106:107], v[98:99], v[110:111] op_sel:[0,0,1] op_sel_hi:[1,0,0]
	v_dual_mul_f32 v110, v109, v97 :: v_dual_mov_b32 v106, v109
	v_dual_mov_b32 v113, v107 :: v_dual_mov_b32 v107, v108
	s_delay_alu instid0(VALU_DEP_2) | instskip(SKIP_1) | instid1(VALU_DEP_3)
	v_pk_fma_f32 v[110:111], v[108:109], v[54:55], v[110:111] op_sel_hi:[1,1,0] neg_lo:[0,0,1] neg_hi:[0,0,1]
	v_mul_f32_e32 v108, v109, v98
	v_pk_add_f32 v[46:47], v[46:47], v[112:113] neg_lo:[0,1] neg_hi:[0,1]
	s_delay_alu instid0(VALU_DEP_2) | instskip(NEXT) | instid1(VALU_DEP_1)
	v_pk_fma_f32 v[106:107], v[106:107], v[54:55], v[108:109] op_sel_hi:[1,1,0]
	v_mov_b32_e32 v111, v107
	ds_load_2addr_b64 v[106:109], v100 offset0:32 offset1:33
	v_pk_add_f32 v[38:39], v[38:39], v[110:111] neg_lo:[0,1] neg_hi:[0,1]
	s_wait_dscnt 0x0
	v_pk_mul_f32 v[110:111], v[106:107], v[96:97] op_sel:[0,1]
	s_delay_alu instid0(VALU_DEP_1) | instskip(SKIP_1) | instid1(VALU_DEP_1)
	v_pk_fma_f32 v[112:113], v[106:107], v[98:99], v[110:111] op_sel:[0,0,1] op_sel_hi:[1,1,0] neg_lo:[0,0,1] neg_hi:[0,0,1]
	v_pk_fma_f32 v[106:107], v[106:107], v[98:99], v[110:111] op_sel:[0,0,1] op_sel_hi:[1,0,0]
	v_mov_b32_e32 v113, v107
	v_pk_mul_f32 v[106:107], v[108:109], v[96:97] op_sel:[0,1]
	s_delay_alu instid0(VALU_DEP_1) | instskip(SKIP_1) | instid1(VALU_DEP_1)
	v_pk_fma_f32 v[110:111], v[108:109], v[98:99], v[106:107] op_sel:[0,0,1] op_sel_hi:[1,1,0] neg_lo:[0,0,1] neg_hi:[0,0,1]
	v_pk_fma_f32 v[106:107], v[108:109], v[98:99], v[106:107] op_sel:[0,0,1] op_sel_hi:[1,0,0]
	v_mov_b32_e32 v111, v107
	ds_load_2addr_b64 v[106:109], v100 offset0:34 offset1:35
	v_pk_add_f32 v[30:31], v[30:31], v[112:113] neg_lo:[0,1] neg_hi:[0,1]
	v_pk_add_f32 v[22:23], v[22:23], v[110:111] neg_lo:[0,1] neg_hi:[0,1]
	s_wait_dscnt 0x0
	v_pk_mul_f32 v[110:111], v[106:107], v[96:97] op_sel:[0,1]
	s_delay_alu instid0(VALU_DEP_1) | instskip(SKIP_1) | instid1(VALU_DEP_1)
	v_pk_fma_f32 v[112:113], v[106:107], v[98:99], v[110:111] op_sel:[0,0,1] op_sel_hi:[1,1,0] neg_lo:[0,0,1] neg_hi:[0,0,1]
	v_pk_fma_f32 v[106:107], v[106:107], v[98:99], v[110:111] op_sel:[0,0,1] op_sel_hi:[1,0,0]
	v_mov_b32_e32 v113, v107
	v_pk_mul_f32 v[106:107], v[108:109], v[96:97] op_sel:[0,1]
	s_delay_alu instid0(VALU_DEP_1) | instskip(SKIP_1) | instid1(VALU_DEP_1)
	v_pk_fma_f32 v[110:111], v[108:109], v[98:99], v[106:107] op_sel:[0,0,1] op_sel_hi:[1,1,0] neg_lo:[0,0,1] neg_hi:[0,0,1]
	v_pk_fma_f32 v[106:107], v[108:109], v[98:99], v[106:107] op_sel:[0,0,1] op_sel_hi:[1,0,0]
	v_mov_b32_e32 v111, v107
	ds_load_2addr_b64 v[106:109], v100 offset0:36 offset1:37
	v_pk_add_f32 v[28:29], v[28:29], v[112:113] neg_lo:[0,1] neg_hi:[0,1]
	v_pk_add_f32 v[20:21], v[20:21], v[110:111] neg_lo:[0,1] neg_hi:[0,1]
	s_wait_dscnt 0x0
	v_dual_mul_f32 v110, v107, v97 :: v_dual_mul_f32 v112, v107, v98
	s_delay_alu instid0(VALU_DEP_1) | instskip(NEXT) | instid1(VALU_DEP_2)
	v_pk_fma_f32 v[110:111], v[106:107], v[54:55], v[110:111] op_sel_hi:[1,1,0] neg_lo:[0,0,1] neg_hi:[0,0,1]
	v_pk_fma_f32 v[106:107], v[106:107], v[54:55], v[112:113] op_sel:[1,0,0] op_sel_hi:[0,1,0]
	s_delay_alu instid0(VALU_DEP_1) | instskip(SKIP_1) | instid1(VALU_DEP_2)
	v_mov_b32_e32 v111, v107
	v_pk_mul_f32 v[106:107], v[108:109], v[96:97] op_sel:[0,1]
	v_pk_add_f32 v[14:15], v[14:15], v[110:111] neg_lo:[0,1] neg_hi:[0,1]
	s_delay_alu instid0(VALU_DEP_2) | instskip(SKIP_1) | instid1(VALU_DEP_1)
	v_pk_fma_f32 v[110:111], v[108:109], v[98:99], v[106:107] op_sel:[0,0,1] op_sel_hi:[1,1,0] neg_lo:[0,0,1] neg_hi:[0,0,1]
	v_pk_fma_f32 v[106:107], v[108:109], v[98:99], v[106:107] op_sel:[0,0,1] op_sel_hi:[1,0,0]
	v_mov_b32_e32 v111, v107
	ds_load_2addr_b64 v[106:109], v100 offset0:38 offset1:39
	v_pk_add_f32 v[10:11], v[10:11], v[110:111] neg_lo:[0,1] neg_hi:[0,1]
	s_wait_dscnt 0x0
	v_pk_mul_f32 v[110:111], v[106:107], v[96:97] op_sel:[0,1]
	s_delay_alu instid0(VALU_DEP_1) | instskip(SKIP_1) | instid1(VALU_DEP_1)
	v_pk_fma_f32 v[112:113], v[106:107], v[98:99], v[110:111] op_sel:[0,0,1] op_sel_hi:[1,1,0] neg_lo:[0,0,1] neg_hi:[0,0,1]
	v_pk_fma_f32 v[106:107], v[106:107], v[98:99], v[110:111] op_sel:[0,0,1] op_sel_hi:[1,0,0]
	v_mov_b32_e32 v113, v107
	v_pk_mul_f32 v[106:107], v[108:109], v[96:97] op_sel:[0,1]
	s_delay_alu instid0(VALU_DEP_2) | instskip(NEXT) | instid1(VALU_DEP_2)
	v_pk_add_f32 v[12:13], v[12:13], v[112:113] neg_lo:[0,1] neg_hi:[0,1]
	v_pk_fma_f32 v[110:111], v[108:109], v[98:99], v[106:107] op_sel:[0,0,1] op_sel_hi:[1,1,0] neg_lo:[0,0,1] neg_hi:[0,0,1]
	v_pk_fma_f32 v[106:107], v[108:109], v[98:99], v[106:107] op_sel:[0,0,1] op_sel_hi:[1,0,0]
	s_delay_alu instid0(VALU_DEP_1) | instskip(SKIP_4) | instid1(VALU_DEP_1)
	v_mov_b32_e32 v111, v107
	ds_load_2addr_b64 v[106:109], v100 offset0:40 offset1:41
	v_pk_add_f32 v[8:9], v[8:9], v[110:111] neg_lo:[0,1] neg_hi:[0,1]
	s_wait_dscnt 0x0
	v_pk_mul_f32 v[110:111], v[106:107], v[96:97] op_sel:[0,1]
	v_pk_fma_f32 v[112:113], v[106:107], v[98:99], v[110:111] op_sel:[0,0,1] op_sel_hi:[1,1,0] neg_lo:[0,0,1] neg_hi:[0,0,1]
	v_pk_fma_f32 v[106:107], v[106:107], v[98:99], v[110:111] op_sel:[0,0,1] op_sel_hi:[1,0,0]
	v_dual_mul_f32 v110, v109, v97 :: v_dual_mov_b32 v106, v109
	s_delay_alu instid0(VALU_DEP_2) | instskip(NEXT) | instid1(VALU_DEP_2)
	v_dual_mov_b32 v113, v107 :: v_dual_mov_b32 v107, v108
	v_pk_fma_f32 v[110:111], v[108:109], v[54:55], v[110:111] op_sel_hi:[1,1,0] neg_lo:[0,0,1] neg_hi:[0,0,1]
	v_mul_f32_e32 v108, v109, v98
	s_delay_alu instid0(VALU_DEP_3) | instskip(NEXT) | instid1(VALU_DEP_2)
	v_pk_add_f32 v[6:7], v[6:7], v[112:113] neg_lo:[0,1] neg_hi:[0,1]
	v_pk_fma_f32 v[106:107], v[106:107], v[54:55], v[108:109] op_sel_hi:[1,1,0]
	s_delay_alu instid0(VALU_DEP_1) | instskip(SKIP_4) | instid1(VALU_DEP_1)
	v_mov_b32_e32 v111, v107
	ds_load_2addr_b64 v[106:109], v100 offset0:42 offset1:43
	v_pk_add_f32 v[36:37], v[36:37], v[110:111] neg_lo:[0,1] neg_hi:[0,1]
	s_wait_dscnt 0x0
	v_pk_mul_f32 v[110:111], v[106:107], v[96:97] op_sel:[0,1]
	v_pk_fma_f32 v[112:113], v[106:107], v[98:99], v[110:111] op_sel:[0,0,1] op_sel_hi:[1,1,0] neg_lo:[0,0,1] neg_hi:[0,0,1]
	v_pk_fma_f32 v[106:107], v[106:107], v[98:99], v[110:111] op_sel:[0,0,1] op_sel_hi:[1,0,0]
	s_delay_alu instid0(VALU_DEP_1) | instskip(SKIP_1) | instid1(VALU_DEP_1)
	v_mov_b32_e32 v113, v107
	v_pk_mul_f32 v[106:107], v[108:109], v[96:97] op_sel:[0,1]
	v_pk_fma_f32 v[110:111], v[108:109], v[98:99], v[106:107] op_sel:[0,0,1] op_sel_hi:[1,1,0] neg_lo:[0,0,1] neg_hi:[0,0,1]
	v_pk_fma_f32 v[106:107], v[108:109], v[98:99], v[106:107] op_sel:[0,0,1] op_sel_hi:[1,0,0]
	s_delay_alu instid0(VALU_DEP_1)
	v_mov_b32_e32 v111, v107
	ds_load_b64 v[106:107], v100 offset:352
	v_pk_add_f32 v[18:19], v[18:19], v[112:113] neg_lo:[0,1] neg_hi:[0,1]
	v_pk_add_f32 v[16:17], v[16:17], v[110:111] neg_lo:[0,1] neg_hi:[0,1]
	s_wait_dscnt 0x0
	v_pk_mul_f32 v[96:97], v[106:107], v[96:97] op_sel:[0,1]
	s_delay_alu instid0(VALU_DEP_1) | instskip(SKIP_1) | instid1(VALU_DEP_1)
	v_pk_fma_f32 v[108:109], v[106:107], v[98:99], v[96:97] op_sel:[0,0,1] op_sel_hi:[1,1,0] neg_lo:[0,0,1] neg_hi:[0,0,1]
	v_pk_fma_f32 v[96:97], v[106:107], v[98:99], v[96:97] op_sel:[0,0,1] op_sel_hi:[1,0,0]
	v_mov_b32_e32 v109, v97
	s_delay_alu instid0(VALU_DEP_1)
	v_pk_add_f32 v[94:95], v[94:95], v[108:109] neg_lo:[0,1] neg_hi:[0,1]
.LBB88_587:
	s_or_b32 exec_lo, exec_lo, s0
	v_lshl_add_u32 v96, v104, 3, v100
	s_barrier_signal -1
	s_barrier_wait -1
	ds_store_b64 v96, v[48:49]
	s_wait_dscnt 0x0
	s_barrier_signal -1
	s_barrier_wait -1
	ds_load_b64 v[96:97], v100 offset:224
	v_mov_b32_e32 v98, 28
	s_cmp_lt_i32 s18, 30
	s_cbranch_scc1 .LBB88_590
; %bb.588:
	v_add3_u32 v99, v101, 0, 0xe8
	v_mov_b32_e32 v98, 28
	s_mov_b32 s0, 29
.LBB88_589:                             ; =>This Inner Loop Header: Depth=1
	ds_load_b64 v[106:107], v99
	s_wait_dscnt 0x1
	v_cmp_gt_f32_e32 vcc_lo, 0, v96
	v_cndmask_b32_e64 v108, v96, -v96, vcc_lo
	v_cmp_gt_f32_e32 vcc_lo, 0, v97
	v_cndmask_b32_e64 v110, v97, -v97, vcc_lo
	s_wait_dscnt 0x0
	v_cmp_gt_f32_e32 vcc_lo, 0, v106
	v_cndmask_b32_e64 v109, v106, -v106, vcc_lo
	v_cmp_gt_f32_e32 vcc_lo, 0, v107
	v_cndmask_b32_e64 v111, v107, -v107, vcc_lo
	s_delay_alu instid0(VALU_DEP_1) | instskip(NEXT) | instid1(VALU_DEP_1)
	v_pk_add_f32 v[108:109], v[108:109], v[110:111]
	v_cmp_lt_f32_e32 vcc_lo, v108, v109
	v_dual_cndmask_b32 v96, v96, v106 :: v_dual_add_nc_u32 v99, 8, v99
	v_cndmask_b32_e32 v97, v97, v107, vcc_lo
	v_cndmask_b32_e64 v98, v98, s0, vcc_lo
	s_add_co_i32 s0, s0, 1
	s_delay_alu instid0(SALU_CYCLE_1)
	s_cmp_lg_u32 s18, s0
	s_cbranch_scc1 .LBB88_589
.LBB88_590:
	s_wait_dscnt 0x0
	v_cmp_eq_f32_e32 vcc_lo, 0, v96
	v_cmp_eq_f32_e64 s0, 0, v97
	s_and_b32 s0, vcc_lo, s0
	s_delay_alu instid0(SALU_CYCLE_1) | instskip(NEXT) | instid1(SALU_CYCLE_1)
	s_and_saveexec_b32 s1, s0
	s_xor_b32 s0, exec_lo, s1
; %bb.591:
	v_cmp_ne_u32_e32 vcc_lo, 0, v102
	v_cndmask_b32_e32 v102, 29, v102, vcc_lo
; %bb.592:
	s_and_not1_saveexec_b32 s0, s0
	s_cbranch_execz .LBB88_598
; %bb.593:
	v_cmp_ngt_f32_e64 s1, |v96|, |v97|
	s_and_saveexec_b32 s12, s1
	s_delay_alu instid0(SALU_CYCLE_1)
	s_xor_b32 s1, exec_lo, s12
	s_cbranch_execz .LBB88_595
; %bb.594:
	v_div_scale_f32 v99, null, v97, v97, v96
	v_div_scale_f32 v107, vcc_lo, v96, v97, v96
	s_delay_alu instid0(VALU_DEP_2) | instskip(SKIP_1) | instid1(TRANS32_DEP_1)
	v_rcp_f32_e32 v105, v99
	v_nop
	v_fma_f32 v106, -v99, v105, 1.0
	s_delay_alu instid0(VALU_DEP_1) | instskip(NEXT) | instid1(VALU_DEP_1)
	v_fmac_f32_e32 v105, v106, v105
	v_mul_f32_e32 v106, v107, v105
	s_delay_alu instid0(VALU_DEP_1) | instskip(NEXT) | instid1(VALU_DEP_1)
	v_fma_f32 v108, -v99, v106, v107
	v_fmac_f32_e32 v106, v108, v105
	s_delay_alu instid0(VALU_DEP_1) | instskip(NEXT) | instid1(VALU_DEP_1)
	v_fma_f32 v99, -v99, v106, v107
	v_div_fmas_f32 v99, v99, v105, v106
	s_delay_alu instid0(VALU_DEP_1) | instskip(NEXT) | instid1(VALU_DEP_1)
	v_div_fixup_f32 v99, v99, v97, v96
	v_fmac_f32_e32 v97, v96, v99
	s_delay_alu instid0(VALU_DEP_1) | instskip(SKIP_1) | instid1(VALU_DEP_2)
	v_div_scale_f32 v96, null, v97, v97, 1.0
	v_div_scale_f32 v107, vcc_lo, 1.0, v97, 1.0
	v_rcp_f32_e32 v105, v96
	v_nop
	s_delay_alu instid0(TRANS32_DEP_1) | instskip(NEXT) | instid1(VALU_DEP_1)
	v_fma_f32 v106, -v96, v105, 1.0
	v_fmac_f32_e32 v105, v106, v105
	s_delay_alu instid0(VALU_DEP_1) | instskip(NEXT) | instid1(VALU_DEP_1)
	v_mul_f32_e32 v106, v107, v105
	v_fma_f32 v108, -v96, v106, v107
	s_delay_alu instid0(VALU_DEP_1) | instskip(NEXT) | instid1(VALU_DEP_1)
	v_fmac_f32_e32 v106, v108, v105
	v_fma_f32 v96, -v96, v106, v107
	s_delay_alu instid0(VALU_DEP_1) | instskip(NEXT) | instid1(VALU_DEP_1)
	v_div_fmas_f32 v96, v96, v105, v106
	v_div_fixup_f32 v97, v96, v97, 1.0
	s_delay_alu instid0(VALU_DEP_1)
	v_mul_f32_e32 v96, v99, v97
	v_xor_b32_e32 v97, 0x80000000, v97
.LBB88_595:
	s_and_not1_saveexec_b32 s1, s1
	s_cbranch_execz .LBB88_597
; %bb.596:
	s_delay_alu instid0(VALU_DEP_1) | instskip(SKIP_1) | instid1(VALU_DEP_2)
	v_div_scale_f32 v99, null, v96, v96, v97
	v_div_scale_f32 v107, vcc_lo, v97, v96, v97
	v_rcp_f32_e32 v105, v99
	v_nop
	s_delay_alu instid0(TRANS32_DEP_1) | instskip(NEXT) | instid1(VALU_DEP_1)
	v_fma_f32 v106, -v99, v105, 1.0
	v_fmac_f32_e32 v105, v106, v105
	s_delay_alu instid0(VALU_DEP_1) | instskip(NEXT) | instid1(VALU_DEP_1)
	v_mul_f32_e32 v106, v107, v105
	v_fma_f32 v108, -v99, v106, v107
	s_delay_alu instid0(VALU_DEP_1) | instskip(NEXT) | instid1(VALU_DEP_1)
	v_fmac_f32_e32 v106, v108, v105
	v_fma_f32 v99, -v99, v106, v107
	s_delay_alu instid0(VALU_DEP_1) | instskip(NEXT) | instid1(VALU_DEP_1)
	v_div_fmas_f32 v99, v99, v105, v106
	v_div_fixup_f32 v99, v99, v96, v97
	s_delay_alu instid0(VALU_DEP_1) | instskip(NEXT) | instid1(VALU_DEP_1)
	v_fmac_f32_e32 v96, v97, v99
	v_div_scale_f32 v97, null, v96, v96, 1.0
	s_delay_alu instid0(VALU_DEP_1) | instskip(SKIP_1) | instid1(TRANS32_DEP_1)
	v_rcp_f32_e32 v105, v97
	v_nop
	v_fma_f32 v106, -v97, v105, 1.0
	s_delay_alu instid0(VALU_DEP_1) | instskip(SKIP_1) | instid1(VALU_DEP_1)
	v_fmac_f32_e32 v105, v106, v105
	v_div_scale_f32 v106, vcc_lo, 1.0, v96, 1.0
	v_mul_f32_e32 v107, v106, v105
	s_delay_alu instid0(VALU_DEP_1) | instskip(NEXT) | instid1(VALU_DEP_1)
	v_fma_f32 v108, -v97, v107, v106
	v_fmac_f32_e32 v107, v108, v105
	s_delay_alu instid0(VALU_DEP_1) | instskip(NEXT) | instid1(VALU_DEP_1)
	v_fma_f32 v97, -v97, v107, v106
	v_div_fmas_f32 v97, v97, v105, v107
	s_delay_alu instid0(VALU_DEP_1) | instskip(NEXT) | instid1(VALU_DEP_1)
	v_div_fixup_f32 v96, v97, v96, 1.0
	v_mul_f32_e64 v97, v99, -v96
.LBB88_597:
	s_or_b32 exec_lo, exec_lo, s1
.LBB88_598:
	s_delay_alu instid0(SALU_CYCLE_1) | instskip(NEXT) | instid1(SALU_CYCLE_1)
	s_or_b32 exec_lo, exec_lo, s0
	s_mov_b32 s0, exec_lo
	v_cmpx_ne_u32_e64 v104, v98
	s_xor_b32 s0, exec_lo, s0
	s_cbranch_execz .LBB88_604
; %bb.599:
	s_mov_b32 s1, exec_lo
	v_cmpx_eq_u32_e32 28, v104
	s_cbranch_execz .LBB88_603
; %bb.600:
	v_cmp_ne_u32_e32 vcc_lo, 28, v98
	s_xor_b32 s12, s16, -1
	s_delay_alu instid0(SALU_CYCLE_1) | instskip(NEXT) | instid1(SALU_CYCLE_1)
	s_and_b32 s13, s12, vcc_lo
	s_and_saveexec_b32 s12, s13
	s_cbranch_execz .LBB88_602
; %bb.601:
	v_ashrrev_i32_e32 v99, 31, v98
	s_delay_alu instid0(VALU_DEP_1)
	v_lshl_add_u64 v[104:105], v[98:99], 2, v[4:5]
	s_clause 0x1
	global_load_b32 v99, v[104:105], off
	global_load_b32 v103, v[4:5], off offset:112
	s_wait_loadcnt 0x1
	global_store_b32 v[4:5], v99, off offset:112
	s_wait_loadcnt 0x0
	global_store_b32 v[104:105], v103, off
.LBB88_602:
	s_wait_xcnt 0x0
	s_or_b32 exec_lo, exec_lo, s12
	v_dual_mov_b32 v104, v98 :: v_dual_mov_b32 v103, v98
.LBB88_603:
	s_or_b32 exec_lo, exec_lo, s1
.LBB88_604:
	s_and_not1_saveexec_b32 s0, s0
	s_cbranch_execz .LBB88_606
; %bb.605:
	v_mov_b32_e32 v104, 28
	ds_store_2addr_b64 v100, v[40:41], v[46:47] offset0:29 offset1:30
	ds_store_2addr_b64 v100, v[38:39], v[30:31] offset0:31 offset1:32
	;; [unrolled: 1-line block ×8, first 2 shown]
.LBB88_606:
	s_or_b32 exec_lo, exec_lo, s0
	s_delay_alu instid0(SALU_CYCLE_1)
	s_mov_b32 s0, exec_lo
	s_wait_storecnt_dscnt 0x0
	s_barrier_signal -1
	s_barrier_wait -1
	v_cmpx_lt_i32_e32 28, v104
	s_cbranch_execz .LBB88_608
; %bb.607:
	v_pk_mul_f32 v[106:107], v[96:97], v[48:49] op_sel:[1,1] op_sel_hi:[0,1]
	s_delay_alu instid0(VALU_DEP_1)
	v_pk_fma_f32 v[98:99], v[96:97], v[48:49], v[106:107] op_sel_hi:[1,0,1] neg_lo:[0,0,1] neg_hi:[0,0,1]
	v_pk_fma_f32 v[96:97], v[96:97], v[48:49], v[106:107] op_sel_hi:[1,0,1]
	ds_load_2addr_b64 v[106:109], v100 offset0:29 offset1:30
	v_dual_mov_b32 v48, v98 :: v_dual_mov_b32 v49, v97
	s_wait_dscnt 0x0
	v_pk_mul_f32 v[110:111], v[106:107], v[96:97] op_sel:[0,1]
	s_delay_alu instid0(VALU_DEP_1) | instskip(SKIP_1) | instid1(VALU_DEP_1)
	v_pk_fma_f32 v[112:113], v[106:107], v[98:99], v[110:111] op_sel:[0,0,1] op_sel_hi:[1,1,0] neg_lo:[0,0,1] neg_hi:[0,0,1]
	v_pk_fma_f32 v[106:107], v[106:107], v[98:99], v[110:111] op_sel:[0,0,1] op_sel_hi:[1,0,0]
	v_mov_b32_e32 v113, v107
	v_pk_mul_f32 v[106:107], v[108:109], v[96:97] op_sel:[0,1]
	s_delay_alu instid0(VALU_DEP_1) | instskip(SKIP_1) | instid1(VALU_DEP_1)
	v_pk_fma_f32 v[110:111], v[108:109], v[98:99], v[106:107] op_sel:[0,0,1] op_sel_hi:[1,1,0] neg_lo:[0,0,1] neg_hi:[0,0,1]
	v_pk_fma_f32 v[106:107], v[108:109], v[98:99], v[106:107] op_sel:[0,0,1] op_sel_hi:[1,0,0]
	v_mov_b32_e32 v111, v107
	ds_load_2addr_b64 v[106:109], v100 offset0:31 offset1:32
	v_pk_add_f32 v[40:41], v[40:41], v[112:113] neg_lo:[0,1] neg_hi:[0,1]
	v_pk_add_f32 v[46:47], v[46:47], v[110:111] neg_lo:[0,1] neg_hi:[0,1]
	s_wait_dscnt 0x0
	v_pk_mul_f32 v[110:111], v[106:107], v[96:97] op_sel:[0,1]
	s_delay_alu instid0(VALU_DEP_1) | instskip(SKIP_2) | instid1(VALU_DEP_2)
	v_pk_fma_f32 v[112:113], v[106:107], v[98:99], v[110:111] op_sel:[0,0,1] op_sel_hi:[1,1,0] neg_lo:[0,0,1] neg_hi:[0,0,1]
	v_pk_fma_f32 v[106:107], v[106:107], v[98:99], v[110:111] op_sel:[0,0,1] op_sel_hi:[1,0,0]
	v_dual_mul_f32 v110, v109, v97 :: v_dual_mov_b32 v106, v109
	v_dual_mov_b32 v113, v107 :: v_dual_mov_b32 v107, v108
	s_delay_alu instid0(VALU_DEP_2) | instskip(SKIP_1) | instid1(VALU_DEP_3)
	v_pk_fma_f32 v[110:111], v[108:109], v[48:49], v[110:111] op_sel_hi:[1,1,0] neg_lo:[0,0,1] neg_hi:[0,0,1]
	v_mul_f32_e32 v108, v109, v98
	v_pk_add_f32 v[38:39], v[38:39], v[112:113] neg_lo:[0,1] neg_hi:[0,1]
	s_delay_alu instid0(VALU_DEP_2) | instskip(NEXT) | instid1(VALU_DEP_1)
	v_pk_fma_f32 v[106:107], v[106:107], v[48:49], v[108:109] op_sel_hi:[1,1,0]
	v_mov_b32_e32 v111, v107
	ds_load_2addr_b64 v[106:109], v100 offset0:33 offset1:34
	v_pk_add_f32 v[30:31], v[30:31], v[110:111] neg_lo:[0,1] neg_hi:[0,1]
	s_wait_dscnt 0x0
	v_pk_mul_f32 v[110:111], v[106:107], v[96:97] op_sel:[0,1]
	s_delay_alu instid0(VALU_DEP_1) | instskip(SKIP_1) | instid1(VALU_DEP_1)
	v_pk_fma_f32 v[112:113], v[106:107], v[98:99], v[110:111] op_sel:[0,0,1] op_sel_hi:[1,1,0] neg_lo:[0,0,1] neg_hi:[0,0,1]
	v_pk_fma_f32 v[106:107], v[106:107], v[98:99], v[110:111] op_sel:[0,0,1] op_sel_hi:[1,0,0]
	v_mov_b32_e32 v113, v107
	v_pk_mul_f32 v[106:107], v[108:109], v[96:97] op_sel:[0,1]
	s_delay_alu instid0(VALU_DEP_1) | instskip(SKIP_1) | instid1(VALU_DEP_1)
	v_pk_fma_f32 v[110:111], v[108:109], v[98:99], v[106:107] op_sel:[0,0,1] op_sel_hi:[1,1,0] neg_lo:[0,0,1] neg_hi:[0,0,1]
	v_pk_fma_f32 v[106:107], v[108:109], v[98:99], v[106:107] op_sel:[0,0,1] op_sel_hi:[1,0,0]
	v_mov_b32_e32 v111, v107
	ds_load_2addr_b64 v[106:109], v100 offset0:35 offset1:36
	v_pk_add_f32 v[22:23], v[22:23], v[112:113] neg_lo:[0,1] neg_hi:[0,1]
	v_pk_add_f32 v[28:29], v[28:29], v[110:111] neg_lo:[0,1] neg_hi:[0,1]
	s_wait_dscnt 0x0
	v_pk_mul_f32 v[110:111], v[106:107], v[96:97] op_sel:[0,1]
	s_delay_alu instid0(VALU_DEP_1) | instskip(SKIP_1) | instid1(VALU_DEP_1)
	v_pk_fma_f32 v[112:113], v[106:107], v[98:99], v[110:111] op_sel:[0,0,1] op_sel_hi:[1,1,0] neg_lo:[0,0,1] neg_hi:[0,0,1]
	v_pk_fma_f32 v[106:107], v[106:107], v[98:99], v[110:111] op_sel:[0,0,1] op_sel_hi:[1,0,0]
	v_mov_b32_e32 v113, v107
	v_pk_mul_f32 v[106:107], v[108:109], v[96:97] op_sel:[0,1]
	s_delay_alu instid0(VALU_DEP_1) | instskip(SKIP_1) | instid1(VALU_DEP_1)
	v_pk_fma_f32 v[110:111], v[108:109], v[98:99], v[106:107] op_sel:[0,0,1] op_sel_hi:[1,1,0] neg_lo:[0,0,1] neg_hi:[0,0,1]
	v_pk_fma_f32 v[106:107], v[108:109], v[98:99], v[106:107] op_sel:[0,0,1] op_sel_hi:[1,0,0]
	v_mov_b32_e32 v111, v107
	ds_load_2addr_b64 v[106:109], v100 offset0:37 offset1:38
	v_pk_add_f32 v[20:21], v[20:21], v[112:113] neg_lo:[0,1] neg_hi:[0,1]
	v_pk_add_f32 v[14:15], v[14:15], v[110:111] neg_lo:[0,1] neg_hi:[0,1]
	s_wait_dscnt 0x0
	v_dual_mul_f32 v110, v107, v97 :: v_dual_mul_f32 v112, v107, v98
	s_delay_alu instid0(VALU_DEP_1) | instskip(NEXT) | instid1(VALU_DEP_2)
	v_pk_fma_f32 v[110:111], v[106:107], v[48:49], v[110:111] op_sel_hi:[1,1,0] neg_lo:[0,0,1] neg_hi:[0,0,1]
	v_pk_fma_f32 v[106:107], v[106:107], v[48:49], v[112:113] op_sel:[1,0,0] op_sel_hi:[0,1,0]
	s_delay_alu instid0(VALU_DEP_1) | instskip(SKIP_1) | instid1(VALU_DEP_2)
	v_mov_b32_e32 v111, v107
	v_pk_mul_f32 v[106:107], v[108:109], v[96:97] op_sel:[0,1]
	v_pk_add_f32 v[10:11], v[10:11], v[110:111] neg_lo:[0,1] neg_hi:[0,1]
	s_delay_alu instid0(VALU_DEP_2) | instskip(SKIP_1) | instid1(VALU_DEP_1)
	v_pk_fma_f32 v[110:111], v[108:109], v[98:99], v[106:107] op_sel:[0,0,1] op_sel_hi:[1,1,0] neg_lo:[0,0,1] neg_hi:[0,0,1]
	v_pk_fma_f32 v[106:107], v[108:109], v[98:99], v[106:107] op_sel:[0,0,1] op_sel_hi:[1,0,0]
	v_mov_b32_e32 v111, v107
	ds_load_2addr_b64 v[106:109], v100 offset0:39 offset1:40
	v_pk_add_f32 v[12:13], v[12:13], v[110:111] neg_lo:[0,1] neg_hi:[0,1]
	s_wait_dscnt 0x0
	v_pk_mul_f32 v[110:111], v[106:107], v[96:97] op_sel:[0,1]
	s_delay_alu instid0(VALU_DEP_1) | instskip(SKIP_1) | instid1(VALU_DEP_1)
	v_pk_fma_f32 v[112:113], v[106:107], v[98:99], v[110:111] op_sel:[0,0,1] op_sel_hi:[1,1,0] neg_lo:[0,0,1] neg_hi:[0,0,1]
	v_pk_fma_f32 v[106:107], v[106:107], v[98:99], v[110:111] op_sel:[0,0,1] op_sel_hi:[1,0,0]
	v_mov_b32_e32 v113, v107
	v_pk_mul_f32 v[106:107], v[108:109], v[96:97] op_sel:[0,1]
	s_delay_alu instid0(VALU_DEP_2) | instskip(NEXT) | instid1(VALU_DEP_2)
	v_pk_add_f32 v[8:9], v[8:9], v[112:113] neg_lo:[0,1] neg_hi:[0,1]
	v_pk_fma_f32 v[110:111], v[108:109], v[98:99], v[106:107] op_sel:[0,0,1] op_sel_hi:[1,1,0] neg_lo:[0,0,1] neg_hi:[0,0,1]
	v_pk_fma_f32 v[106:107], v[108:109], v[98:99], v[106:107] op_sel:[0,0,1] op_sel_hi:[1,0,0]
	s_delay_alu instid0(VALU_DEP_1) | instskip(SKIP_4) | instid1(VALU_DEP_1)
	v_mov_b32_e32 v111, v107
	ds_load_2addr_b64 v[106:109], v100 offset0:41 offset1:42
	v_pk_add_f32 v[6:7], v[6:7], v[110:111] neg_lo:[0,1] neg_hi:[0,1]
	s_wait_dscnt 0x0
	v_pk_mul_f32 v[110:111], v[106:107], v[96:97] op_sel:[0,1]
	v_pk_fma_f32 v[112:113], v[106:107], v[98:99], v[110:111] op_sel:[0,0,1] op_sel_hi:[1,1,0] neg_lo:[0,0,1] neg_hi:[0,0,1]
	v_pk_fma_f32 v[106:107], v[106:107], v[98:99], v[110:111] op_sel:[0,0,1] op_sel_hi:[1,0,0]
	v_dual_mul_f32 v110, v109, v97 :: v_dual_mov_b32 v106, v109
	s_delay_alu instid0(VALU_DEP_2) | instskip(NEXT) | instid1(VALU_DEP_2)
	v_dual_mov_b32 v113, v107 :: v_dual_mov_b32 v107, v108
	v_pk_fma_f32 v[110:111], v[108:109], v[48:49], v[110:111] op_sel_hi:[1,1,0] neg_lo:[0,0,1] neg_hi:[0,0,1]
	v_mul_f32_e32 v108, v109, v98
	s_delay_alu instid0(VALU_DEP_3) | instskip(NEXT) | instid1(VALU_DEP_2)
	v_pk_add_f32 v[36:37], v[36:37], v[112:113] neg_lo:[0,1] neg_hi:[0,1]
	v_pk_fma_f32 v[106:107], v[106:107], v[48:49], v[108:109] op_sel_hi:[1,1,0]
	s_delay_alu instid0(VALU_DEP_1)
	v_mov_b32_e32 v111, v107
	ds_load_2addr_b64 v[106:109], v100 offset0:43 offset1:44
	v_pk_add_f32 v[18:19], v[18:19], v[110:111] neg_lo:[0,1] neg_hi:[0,1]
	s_wait_dscnt 0x0
	v_pk_mul_f32 v[110:111], v[106:107], v[96:97] op_sel:[0,1]
	v_pk_mul_f32 v[96:97], v[108:109], v[96:97] op_sel:[0,1]
	s_delay_alu instid0(VALU_DEP_2) | instskip(SKIP_1) | instid1(VALU_DEP_1)
	v_pk_fma_f32 v[112:113], v[106:107], v[98:99], v[110:111] op_sel:[0,0,1] op_sel_hi:[1,1,0] neg_lo:[0,0,1] neg_hi:[0,0,1]
	v_pk_fma_f32 v[106:107], v[106:107], v[98:99], v[110:111] op_sel:[0,0,1] op_sel_hi:[1,0,0]
	v_mov_b32_e32 v113, v107
	s_delay_alu instid0(VALU_DEP_4) | instskip(SKIP_1) | instid1(VALU_DEP_1)
	v_pk_fma_f32 v[106:107], v[108:109], v[98:99], v[96:97] op_sel:[0,0,1] op_sel_hi:[1,1,0] neg_lo:[0,0,1] neg_hi:[0,0,1]
	v_pk_fma_f32 v[96:97], v[108:109], v[98:99], v[96:97] op_sel:[0,0,1] op_sel_hi:[1,0,0]
	v_mov_b32_e32 v107, v97
	s_delay_alu instid0(VALU_DEP_4) | instskip(NEXT) | instid1(VALU_DEP_2)
	v_pk_add_f32 v[16:17], v[16:17], v[112:113] neg_lo:[0,1] neg_hi:[0,1]
	v_pk_add_f32 v[94:95], v[94:95], v[106:107] neg_lo:[0,1] neg_hi:[0,1]
.LBB88_608:
	s_or_b32 exec_lo, exec_lo, s0
	v_lshl_add_u32 v96, v104, 3, v100
	s_barrier_signal -1
	s_barrier_wait -1
	ds_store_b64 v96, v[40:41]
	s_wait_dscnt 0x0
	s_barrier_signal -1
	s_barrier_wait -1
	ds_load_b64 v[96:97], v100 offset:232
	v_mov_b32_e32 v98, 29
	s_cmp_lt_i32 s18, 31
	s_cbranch_scc1 .LBB88_611
; %bb.609:
	v_add3_u32 v99, v101, 0, 0xf0
	v_mov_b32_e32 v98, 29
	s_mov_b32 s0, 30
.LBB88_610:                             ; =>This Inner Loop Header: Depth=1
	ds_load_b64 v[106:107], v99
	s_wait_dscnt 0x1
	v_cmp_gt_f32_e32 vcc_lo, 0, v96
	v_cndmask_b32_e64 v108, v96, -v96, vcc_lo
	v_cmp_gt_f32_e32 vcc_lo, 0, v97
	v_cndmask_b32_e64 v110, v97, -v97, vcc_lo
	s_wait_dscnt 0x0
	v_cmp_gt_f32_e32 vcc_lo, 0, v106
	v_cndmask_b32_e64 v109, v106, -v106, vcc_lo
	v_cmp_gt_f32_e32 vcc_lo, 0, v107
	v_cndmask_b32_e64 v111, v107, -v107, vcc_lo
	s_delay_alu instid0(VALU_DEP_1) | instskip(NEXT) | instid1(VALU_DEP_1)
	v_pk_add_f32 v[108:109], v[108:109], v[110:111]
	v_cmp_lt_f32_e32 vcc_lo, v108, v109
	v_dual_cndmask_b32 v96, v96, v106 :: v_dual_add_nc_u32 v99, 8, v99
	v_cndmask_b32_e32 v97, v97, v107, vcc_lo
	v_cndmask_b32_e64 v98, v98, s0, vcc_lo
	s_add_co_i32 s0, s0, 1
	s_delay_alu instid0(SALU_CYCLE_1)
	s_cmp_lg_u32 s18, s0
	s_cbranch_scc1 .LBB88_610
.LBB88_611:
	s_wait_dscnt 0x0
	v_cmp_eq_f32_e32 vcc_lo, 0, v96
	v_cmp_eq_f32_e64 s0, 0, v97
	s_and_b32 s0, vcc_lo, s0
	s_delay_alu instid0(SALU_CYCLE_1) | instskip(NEXT) | instid1(SALU_CYCLE_1)
	s_and_saveexec_b32 s1, s0
	s_xor_b32 s0, exec_lo, s1
; %bb.612:
	v_cmp_ne_u32_e32 vcc_lo, 0, v102
	v_cndmask_b32_e32 v102, 30, v102, vcc_lo
; %bb.613:
	s_and_not1_saveexec_b32 s0, s0
	s_cbranch_execz .LBB88_619
; %bb.614:
	v_cmp_ngt_f32_e64 s1, |v96|, |v97|
	s_and_saveexec_b32 s12, s1
	s_delay_alu instid0(SALU_CYCLE_1)
	s_xor_b32 s1, exec_lo, s12
	s_cbranch_execz .LBB88_616
; %bb.615:
	v_div_scale_f32 v99, null, v97, v97, v96
	v_div_scale_f32 v107, vcc_lo, v96, v97, v96
	s_delay_alu instid0(VALU_DEP_2) | instskip(SKIP_1) | instid1(TRANS32_DEP_1)
	v_rcp_f32_e32 v105, v99
	v_nop
	v_fma_f32 v106, -v99, v105, 1.0
	s_delay_alu instid0(VALU_DEP_1) | instskip(NEXT) | instid1(VALU_DEP_1)
	v_fmac_f32_e32 v105, v106, v105
	v_mul_f32_e32 v106, v107, v105
	s_delay_alu instid0(VALU_DEP_1) | instskip(NEXT) | instid1(VALU_DEP_1)
	v_fma_f32 v108, -v99, v106, v107
	v_fmac_f32_e32 v106, v108, v105
	s_delay_alu instid0(VALU_DEP_1) | instskip(NEXT) | instid1(VALU_DEP_1)
	v_fma_f32 v99, -v99, v106, v107
	v_div_fmas_f32 v99, v99, v105, v106
	s_delay_alu instid0(VALU_DEP_1) | instskip(NEXT) | instid1(VALU_DEP_1)
	v_div_fixup_f32 v99, v99, v97, v96
	v_fmac_f32_e32 v97, v96, v99
	s_delay_alu instid0(VALU_DEP_1) | instskip(SKIP_1) | instid1(VALU_DEP_2)
	v_div_scale_f32 v96, null, v97, v97, 1.0
	v_div_scale_f32 v107, vcc_lo, 1.0, v97, 1.0
	v_rcp_f32_e32 v105, v96
	v_nop
	s_delay_alu instid0(TRANS32_DEP_1) | instskip(NEXT) | instid1(VALU_DEP_1)
	v_fma_f32 v106, -v96, v105, 1.0
	v_fmac_f32_e32 v105, v106, v105
	s_delay_alu instid0(VALU_DEP_1) | instskip(NEXT) | instid1(VALU_DEP_1)
	v_mul_f32_e32 v106, v107, v105
	v_fma_f32 v108, -v96, v106, v107
	s_delay_alu instid0(VALU_DEP_1) | instskip(NEXT) | instid1(VALU_DEP_1)
	v_fmac_f32_e32 v106, v108, v105
	v_fma_f32 v96, -v96, v106, v107
	s_delay_alu instid0(VALU_DEP_1) | instskip(NEXT) | instid1(VALU_DEP_1)
	v_div_fmas_f32 v96, v96, v105, v106
	v_div_fixup_f32 v97, v96, v97, 1.0
	s_delay_alu instid0(VALU_DEP_1)
	v_mul_f32_e32 v96, v99, v97
	v_xor_b32_e32 v97, 0x80000000, v97
.LBB88_616:
	s_and_not1_saveexec_b32 s1, s1
	s_cbranch_execz .LBB88_618
; %bb.617:
	s_delay_alu instid0(VALU_DEP_1) | instskip(SKIP_1) | instid1(VALU_DEP_2)
	v_div_scale_f32 v99, null, v96, v96, v97
	v_div_scale_f32 v107, vcc_lo, v97, v96, v97
	v_rcp_f32_e32 v105, v99
	v_nop
	s_delay_alu instid0(TRANS32_DEP_1) | instskip(NEXT) | instid1(VALU_DEP_1)
	v_fma_f32 v106, -v99, v105, 1.0
	v_fmac_f32_e32 v105, v106, v105
	s_delay_alu instid0(VALU_DEP_1) | instskip(NEXT) | instid1(VALU_DEP_1)
	v_mul_f32_e32 v106, v107, v105
	v_fma_f32 v108, -v99, v106, v107
	s_delay_alu instid0(VALU_DEP_1) | instskip(NEXT) | instid1(VALU_DEP_1)
	v_fmac_f32_e32 v106, v108, v105
	v_fma_f32 v99, -v99, v106, v107
	s_delay_alu instid0(VALU_DEP_1) | instskip(NEXT) | instid1(VALU_DEP_1)
	v_div_fmas_f32 v99, v99, v105, v106
	v_div_fixup_f32 v99, v99, v96, v97
	s_delay_alu instid0(VALU_DEP_1) | instskip(NEXT) | instid1(VALU_DEP_1)
	v_fmac_f32_e32 v96, v97, v99
	v_div_scale_f32 v97, null, v96, v96, 1.0
	s_delay_alu instid0(VALU_DEP_1) | instskip(SKIP_1) | instid1(TRANS32_DEP_1)
	v_rcp_f32_e32 v105, v97
	v_nop
	v_fma_f32 v106, -v97, v105, 1.0
	s_delay_alu instid0(VALU_DEP_1) | instskip(SKIP_1) | instid1(VALU_DEP_1)
	v_fmac_f32_e32 v105, v106, v105
	v_div_scale_f32 v106, vcc_lo, 1.0, v96, 1.0
	v_mul_f32_e32 v107, v106, v105
	s_delay_alu instid0(VALU_DEP_1) | instskip(NEXT) | instid1(VALU_DEP_1)
	v_fma_f32 v108, -v97, v107, v106
	v_fmac_f32_e32 v107, v108, v105
	s_delay_alu instid0(VALU_DEP_1) | instskip(NEXT) | instid1(VALU_DEP_1)
	v_fma_f32 v97, -v97, v107, v106
	v_div_fmas_f32 v97, v97, v105, v107
	s_delay_alu instid0(VALU_DEP_1) | instskip(NEXT) | instid1(VALU_DEP_1)
	v_div_fixup_f32 v96, v97, v96, 1.0
	v_mul_f32_e64 v97, v99, -v96
.LBB88_618:
	s_or_b32 exec_lo, exec_lo, s1
.LBB88_619:
	s_delay_alu instid0(SALU_CYCLE_1) | instskip(NEXT) | instid1(SALU_CYCLE_1)
	s_or_b32 exec_lo, exec_lo, s0
	s_mov_b32 s0, exec_lo
	v_cmpx_ne_u32_e64 v104, v98
	s_xor_b32 s0, exec_lo, s0
	s_cbranch_execz .LBB88_625
; %bb.620:
	s_mov_b32 s1, exec_lo
	v_cmpx_eq_u32_e32 29, v104
	s_cbranch_execz .LBB88_624
; %bb.621:
	v_cmp_ne_u32_e32 vcc_lo, 29, v98
	s_xor_b32 s12, s16, -1
	s_delay_alu instid0(SALU_CYCLE_1) | instskip(NEXT) | instid1(SALU_CYCLE_1)
	s_and_b32 s13, s12, vcc_lo
	s_and_saveexec_b32 s12, s13
	s_cbranch_execz .LBB88_623
; %bb.622:
	v_ashrrev_i32_e32 v99, 31, v98
	s_delay_alu instid0(VALU_DEP_1)
	v_lshl_add_u64 v[104:105], v[98:99], 2, v[4:5]
	s_clause 0x1
	global_load_b32 v99, v[104:105], off
	global_load_b32 v103, v[4:5], off offset:116
	s_wait_loadcnt 0x1
	global_store_b32 v[4:5], v99, off offset:116
	s_wait_loadcnt 0x0
	global_store_b32 v[104:105], v103, off
.LBB88_623:
	s_wait_xcnt 0x0
	s_or_b32 exec_lo, exec_lo, s12
	v_dual_mov_b32 v104, v98 :: v_dual_mov_b32 v103, v98
.LBB88_624:
	s_or_b32 exec_lo, exec_lo, s1
.LBB88_625:
	s_and_not1_saveexec_b32 s0, s0
	s_cbranch_execz .LBB88_627
; %bb.626:
	v_dual_mov_b32 v98, v46 :: v_dual_mov_b32 v99, v47
	v_dual_mov_b32 v104, v38 :: v_dual_mov_b32 v105, v39
	;; [unrolled: 1-line block ×4, first 2 shown]
	ds_store_2addr_b64 v100, v[98:99], v[104:105] offset0:30 offset1:31
	ds_store_2addr_b64 v100, v[106:107], v[108:109] offset0:32 offset1:33
	v_dual_mov_b32 v98, v28 :: v_dual_mov_b32 v99, v29
	v_dual_mov_b32 v104, v20 :: v_dual_mov_b32 v105, v21
	;; [unrolled: 1-line block ×6, first 2 shown]
	ds_store_2addr_b64 v100, v[98:99], v[104:105] offset0:34 offset1:35
	ds_store_2addr_b64 v100, v[106:107], v[108:109] offset0:36 offset1:37
	v_dual_mov_b32 v104, 29 :: v_dual_mov_b32 v114, v6
	v_dual_mov_b32 v115, v7 :: v_dual_mov_b32 v116, v36
	;; [unrolled: 1-line block ×4, first 2 shown]
	v_mov_b32_e32 v121, v17
	ds_store_2addr_b64 v100, v[110:111], v[112:113] offset0:38 offset1:39
	ds_store_2addr_b64 v100, v[114:115], v[116:117] offset0:40 offset1:41
	;; [unrolled: 1-line block ×3, first 2 shown]
	ds_store_b64 v100, v[94:95] offset:352
.LBB88_627:
	s_or_b32 exec_lo, exec_lo, s0
	s_delay_alu instid0(SALU_CYCLE_1)
	s_mov_b32 s0, exec_lo
	s_wait_storecnt_dscnt 0x0
	s_barrier_signal -1
	s_barrier_wait -1
	v_cmpx_lt_i32_e32 29, v104
	s_cbranch_execz .LBB88_629
; %bb.628:
	v_pk_mul_f32 v[106:107], v[96:97], v[40:41] op_sel:[1,1] op_sel_hi:[0,1]
	s_delay_alu instid0(VALU_DEP_1)
	v_pk_fma_f32 v[98:99], v[96:97], v[40:41], v[106:107] op_sel_hi:[1,0,1] neg_lo:[0,0,1] neg_hi:[0,0,1]
	v_pk_fma_f32 v[96:97], v[96:97], v[40:41], v[106:107] op_sel_hi:[1,0,1]
	ds_load_2addr_b64 v[106:109], v100 offset0:30 offset1:31
	v_dual_mov_b32 v40, v98 :: v_dual_mov_b32 v41, v97
	s_wait_dscnt 0x0
	v_pk_mul_f32 v[110:111], v[106:107], v[96:97] op_sel:[0,1]
	s_delay_alu instid0(VALU_DEP_1) | instskip(SKIP_1) | instid1(VALU_DEP_1)
	v_pk_fma_f32 v[112:113], v[106:107], v[98:99], v[110:111] op_sel:[0,0,1] op_sel_hi:[1,1,0] neg_lo:[0,0,1] neg_hi:[0,0,1]
	v_pk_fma_f32 v[106:107], v[106:107], v[98:99], v[110:111] op_sel:[0,0,1] op_sel_hi:[1,0,0]
	v_mov_b32_e32 v113, v107
	v_pk_mul_f32 v[106:107], v[108:109], v[96:97] op_sel:[0,1]
	s_delay_alu instid0(VALU_DEP_1) | instskip(SKIP_1) | instid1(VALU_DEP_1)
	v_pk_fma_f32 v[110:111], v[108:109], v[98:99], v[106:107] op_sel:[0,0,1] op_sel_hi:[1,1,0] neg_lo:[0,0,1] neg_hi:[0,0,1]
	v_pk_fma_f32 v[106:107], v[108:109], v[98:99], v[106:107] op_sel:[0,0,1] op_sel_hi:[1,0,0]
	v_mov_b32_e32 v111, v107
	ds_load_2addr_b64 v[106:109], v100 offset0:32 offset1:33
	v_pk_add_f32 v[46:47], v[46:47], v[112:113] neg_lo:[0,1] neg_hi:[0,1]
	v_pk_add_f32 v[38:39], v[38:39], v[110:111] neg_lo:[0,1] neg_hi:[0,1]
	s_wait_dscnt 0x0
	v_pk_mul_f32 v[110:111], v[106:107], v[96:97] op_sel:[0,1]
	s_delay_alu instid0(VALU_DEP_1) | instskip(SKIP_2) | instid1(VALU_DEP_2)
	v_pk_fma_f32 v[112:113], v[106:107], v[98:99], v[110:111] op_sel:[0,0,1] op_sel_hi:[1,1,0] neg_lo:[0,0,1] neg_hi:[0,0,1]
	v_pk_fma_f32 v[106:107], v[106:107], v[98:99], v[110:111] op_sel:[0,0,1] op_sel_hi:[1,0,0]
	v_dual_mul_f32 v110, v109, v97 :: v_dual_mov_b32 v106, v109
	v_dual_mov_b32 v113, v107 :: v_dual_mov_b32 v107, v108
	s_delay_alu instid0(VALU_DEP_2) | instskip(SKIP_1) | instid1(VALU_DEP_3)
	v_pk_fma_f32 v[110:111], v[108:109], v[40:41], v[110:111] op_sel_hi:[1,1,0] neg_lo:[0,0,1] neg_hi:[0,0,1]
	v_mul_f32_e32 v108, v109, v98
	v_pk_add_f32 v[30:31], v[30:31], v[112:113] neg_lo:[0,1] neg_hi:[0,1]
	s_delay_alu instid0(VALU_DEP_2) | instskip(NEXT) | instid1(VALU_DEP_1)
	v_pk_fma_f32 v[106:107], v[106:107], v[40:41], v[108:109] op_sel_hi:[1,1,0]
	v_mov_b32_e32 v111, v107
	ds_load_2addr_b64 v[106:109], v100 offset0:34 offset1:35
	v_pk_add_f32 v[22:23], v[22:23], v[110:111] neg_lo:[0,1] neg_hi:[0,1]
	s_wait_dscnt 0x0
	v_pk_mul_f32 v[110:111], v[106:107], v[96:97] op_sel:[0,1]
	s_delay_alu instid0(VALU_DEP_1) | instskip(SKIP_1) | instid1(VALU_DEP_1)
	v_pk_fma_f32 v[112:113], v[106:107], v[98:99], v[110:111] op_sel:[0,0,1] op_sel_hi:[1,1,0] neg_lo:[0,0,1] neg_hi:[0,0,1]
	v_pk_fma_f32 v[106:107], v[106:107], v[98:99], v[110:111] op_sel:[0,0,1] op_sel_hi:[1,0,0]
	v_mov_b32_e32 v113, v107
	v_pk_mul_f32 v[106:107], v[108:109], v[96:97] op_sel:[0,1]
	s_delay_alu instid0(VALU_DEP_1) | instskip(SKIP_1) | instid1(VALU_DEP_1)
	v_pk_fma_f32 v[110:111], v[108:109], v[98:99], v[106:107] op_sel:[0,0,1] op_sel_hi:[1,1,0] neg_lo:[0,0,1] neg_hi:[0,0,1]
	v_pk_fma_f32 v[106:107], v[108:109], v[98:99], v[106:107] op_sel:[0,0,1] op_sel_hi:[1,0,0]
	v_mov_b32_e32 v111, v107
	ds_load_2addr_b64 v[106:109], v100 offset0:36 offset1:37
	v_pk_add_f32 v[28:29], v[28:29], v[112:113] neg_lo:[0,1] neg_hi:[0,1]
	v_pk_add_f32 v[20:21], v[20:21], v[110:111] neg_lo:[0,1] neg_hi:[0,1]
	s_wait_dscnt 0x0
	v_pk_mul_f32 v[110:111], v[106:107], v[96:97] op_sel:[0,1]
	s_delay_alu instid0(VALU_DEP_1) | instskip(SKIP_1) | instid1(VALU_DEP_1)
	v_pk_fma_f32 v[112:113], v[106:107], v[98:99], v[110:111] op_sel:[0,0,1] op_sel_hi:[1,1,0] neg_lo:[0,0,1] neg_hi:[0,0,1]
	v_pk_fma_f32 v[106:107], v[106:107], v[98:99], v[110:111] op_sel:[0,0,1] op_sel_hi:[1,0,0]
	v_mov_b32_e32 v113, v107
	v_pk_mul_f32 v[106:107], v[108:109], v[96:97] op_sel:[0,1]
	s_delay_alu instid0(VALU_DEP_1) | instskip(SKIP_1) | instid1(VALU_DEP_1)
	v_pk_fma_f32 v[110:111], v[108:109], v[98:99], v[106:107] op_sel:[0,0,1] op_sel_hi:[1,1,0] neg_lo:[0,0,1] neg_hi:[0,0,1]
	v_pk_fma_f32 v[106:107], v[108:109], v[98:99], v[106:107] op_sel:[0,0,1] op_sel_hi:[1,0,0]
	v_mov_b32_e32 v111, v107
	ds_load_2addr_b64 v[106:109], v100 offset0:38 offset1:39
	v_pk_add_f32 v[14:15], v[14:15], v[112:113] neg_lo:[0,1] neg_hi:[0,1]
	v_pk_add_f32 v[10:11], v[10:11], v[110:111] neg_lo:[0,1] neg_hi:[0,1]
	s_wait_dscnt 0x0
	v_dual_mul_f32 v110, v107, v97 :: v_dual_mul_f32 v112, v107, v98
	s_delay_alu instid0(VALU_DEP_1) | instskip(NEXT) | instid1(VALU_DEP_2)
	v_pk_fma_f32 v[110:111], v[106:107], v[40:41], v[110:111] op_sel_hi:[1,1,0] neg_lo:[0,0,1] neg_hi:[0,0,1]
	v_pk_fma_f32 v[106:107], v[106:107], v[40:41], v[112:113] op_sel:[1,0,0] op_sel_hi:[0,1,0]
	s_delay_alu instid0(VALU_DEP_1) | instskip(SKIP_1) | instid1(VALU_DEP_2)
	v_mov_b32_e32 v111, v107
	v_pk_mul_f32 v[106:107], v[108:109], v[96:97] op_sel:[0,1]
	v_pk_add_f32 v[12:13], v[12:13], v[110:111] neg_lo:[0,1] neg_hi:[0,1]
	s_delay_alu instid0(VALU_DEP_2) | instskip(SKIP_1) | instid1(VALU_DEP_1)
	v_pk_fma_f32 v[110:111], v[108:109], v[98:99], v[106:107] op_sel:[0,0,1] op_sel_hi:[1,1,0] neg_lo:[0,0,1] neg_hi:[0,0,1]
	v_pk_fma_f32 v[106:107], v[108:109], v[98:99], v[106:107] op_sel:[0,0,1] op_sel_hi:[1,0,0]
	v_mov_b32_e32 v111, v107
	ds_load_2addr_b64 v[106:109], v100 offset0:40 offset1:41
	v_pk_add_f32 v[8:9], v[8:9], v[110:111] neg_lo:[0,1] neg_hi:[0,1]
	s_wait_dscnt 0x0
	v_pk_mul_f32 v[110:111], v[106:107], v[96:97] op_sel:[0,1]
	s_delay_alu instid0(VALU_DEP_1) | instskip(SKIP_1) | instid1(VALU_DEP_1)
	v_pk_fma_f32 v[112:113], v[106:107], v[98:99], v[110:111] op_sel:[0,0,1] op_sel_hi:[1,1,0] neg_lo:[0,0,1] neg_hi:[0,0,1]
	v_pk_fma_f32 v[106:107], v[106:107], v[98:99], v[110:111] op_sel:[0,0,1] op_sel_hi:[1,0,0]
	v_mov_b32_e32 v113, v107
	v_pk_mul_f32 v[106:107], v[108:109], v[96:97] op_sel:[0,1]
	s_delay_alu instid0(VALU_DEP_2) | instskip(NEXT) | instid1(VALU_DEP_2)
	v_pk_add_f32 v[6:7], v[6:7], v[112:113] neg_lo:[0,1] neg_hi:[0,1]
	v_pk_fma_f32 v[110:111], v[108:109], v[98:99], v[106:107] op_sel:[0,0,1] op_sel_hi:[1,1,0] neg_lo:[0,0,1] neg_hi:[0,0,1]
	v_pk_fma_f32 v[106:107], v[108:109], v[98:99], v[106:107] op_sel:[0,0,1] op_sel_hi:[1,0,0]
	s_delay_alu instid0(VALU_DEP_1) | instskip(SKIP_4) | instid1(VALU_DEP_1)
	v_mov_b32_e32 v111, v107
	ds_load_2addr_b64 v[106:109], v100 offset0:42 offset1:43
	v_pk_add_f32 v[36:37], v[36:37], v[110:111] neg_lo:[0,1] neg_hi:[0,1]
	s_wait_dscnt 0x0
	v_pk_mul_f32 v[110:111], v[106:107], v[96:97] op_sel:[0,1]
	v_pk_fma_f32 v[112:113], v[106:107], v[98:99], v[110:111] op_sel:[0,0,1] op_sel_hi:[1,1,0] neg_lo:[0,0,1] neg_hi:[0,0,1]
	v_pk_fma_f32 v[106:107], v[106:107], v[98:99], v[110:111] op_sel:[0,0,1] op_sel_hi:[1,0,0]
	v_dual_mul_f32 v110, v109, v97 :: v_dual_mov_b32 v106, v109
	s_delay_alu instid0(VALU_DEP_2) | instskip(NEXT) | instid1(VALU_DEP_2)
	v_dual_mov_b32 v113, v107 :: v_dual_mov_b32 v107, v108
	v_pk_fma_f32 v[110:111], v[108:109], v[40:41], v[110:111] op_sel_hi:[1,1,0] neg_lo:[0,0,1] neg_hi:[0,0,1]
	v_mul_f32_e32 v108, v109, v98
	s_delay_alu instid0(VALU_DEP_3) | instskip(NEXT) | instid1(VALU_DEP_2)
	v_pk_add_f32 v[18:19], v[18:19], v[112:113] neg_lo:[0,1] neg_hi:[0,1]
	v_pk_fma_f32 v[106:107], v[106:107], v[40:41], v[108:109] op_sel_hi:[1,1,0]
	s_delay_alu instid0(VALU_DEP_1) | instskip(SKIP_4) | instid1(VALU_DEP_1)
	v_mov_b32_e32 v111, v107
	ds_load_b64 v[106:107], v100 offset:352
	v_pk_add_f32 v[16:17], v[16:17], v[110:111] neg_lo:[0,1] neg_hi:[0,1]
	s_wait_dscnt 0x0
	v_pk_mul_f32 v[96:97], v[106:107], v[96:97] op_sel:[0,1]
	v_pk_fma_f32 v[108:109], v[106:107], v[98:99], v[96:97] op_sel:[0,0,1] op_sel_hi:[1,1,0] neg_lo:[0,0,1] neg_hi:[0,0,1]
	v_pk_fma_f32 v[96:97], v[106:107], v[98:99], v[96:97] op_sel:[0,0,1] op_sel_hi:[1,0,0]
	s_delay_alu instid0(VALU_DEP_1) | instskip(NEXT) | instid1(VALU_DEP_1)
	v_mov_b32_e32 v109, v97
	v_pk_add_f32 v[94:95], v[94:95], v[108:109] neg_lo:[0,1] neg_hi:[0,1]
.LBB88_629:
	s_or_b32 exec_lo, exec_lo, s0
	v_lshl_add_u32 v96, v104, 3, v100
	s_barrier_signal -1
	s_barrier_wait -1
	ds_store_b64 v96, v[46:47]
	s_wait_dscnt 0x0
	s_barrier_signal -1
	s_barrier_wait -1
	ds_load_b64 v[96:97], v100 offset:240
	v_mov_b32_e32 v98, 30
	s_cmp_lt_i32 s18, 32
	s_cbranch_scc1 .LBB88_632
; %bb.630:
	v_add3_u32 v99, v101, 0, 0xf8
	v_mov_b32_e32 v98, 30
	s_mov_b32 s0, 31
.LBB88_631:                             ; =>This Inner Loop Header: Depth=1
	ds_load_b64 v[106:107], v99
	s_wait_dscnt 0x1
	v_cmp_gt_f32_e32 vcc_lo, 0, v96
	v_cndmask_b32_e64 v108, v96, -v96, vcc_lo
	v_cmp_gt_f32_e32 vcc_lo, 0, v97
	v_cndmask_b32_e64 v110, v97, -v97, vcc_lo
	s_wait_dscnt 0x0
	v_cmp_gt_f32_e32 vcc_lo, 0, v106
	v_cndmask_b32_e64 v109, v106, -v106, vcc_lo
	v_cmp_gt_f32_e32 vcc_lo, 0, v107
	v_cndmask_b32_e64 v111, v107, -v107, vcc_lo
	s_delay_alu instid0(VALU_DEP_1) | instskip(NEXT) | instid1(VALU_DEP_1)
	v_pk_add_f32 v[108:109], v[108:109], v[110:111]
	v_cmp_lt_f32_e32 vcc_lo, v108, v109
	v_dual_cndmask_b32 v96, v96, v106 :: v_dual_add_nc_u32 v99, 8, v99
	v_cndmask_b32_e32 v97, v97, v107, vcc_lo
	v_cndmask_b32_e64 v98, v98, s0, vcc_lo
	s_add_co_i32 s0, s0, 1
	s_delay_alu instid0(SALU_CYCLE_1)
	s_cmp_lg_u32 s18, s0
	s_cbranch_scc1 .LBB88_631
.LBB88_632:
	s_wait_dscnt 0x0
	v_cmp_eq_f32_e32 vcc_lo, 0, v96
	v_cmp_eq_f32_e64 s0, 0, v97
	s_and_b32 s0, vcc_lo, s0
	s_delay_alu instid0(SALU_CYCLE_1) | instskip(NEXT) | instid1(SALU_CYCLE_1)
	s_and_saveexec_b32 s1, s0
	s_xor_b32 s0, exec_lo, s1
; %bb.633:
	v_cmp_ne_u32_e32 vcc_lo, 0, v102
	v_cndmask_b32_e32 v102, 31, v102, vcc_lo
; %bb.634:
	s_and_not1_saveexec_b32 s0, s0
	s_cbranch_execz .LBB88_640
; %bb.635:
	v_cmp_ngt_f32_e64 s1, |v96|, |v97|
	s_and_saveexec_b32 s12, s1
	s_delay_alu instid0(SALU_CYCLE_1)
	s_xor_b32 s1, exec_lo, s12
	s_cbranch_execz .LBB88_637
; %bb.636:
	v_div_scale_f32 v99, null, v97, v97, v96
	v_div_scale_f32 v107, vcc_lo, v96, v97, v96
	s_delay_alu instid0(VALU_DEP_2) | instskip(SKIP_1) | instid1(TRANS32_DEP_1)
	v_rcp_f32_e32 v105, v99
	v_nop
	v_fma_f32 v106, -v99, v105, 1.0
	s_delay_alu instid0(VALU_DEP_1) | instskip(NEXT) | instid1(VALU_DEP_1)
	v_fmac_f32_e32 v105, v106, v105
	v_mul_f32_e32 v106, v107, v105
	s_delay_alu instid0(VALU_DEP_1) | instskip(NEXT) | instid1(VALU_DEP_1)
	v_fma_f32 v108, -v99, v106, v107
	v_fmac_f32_e32 v106, v108, v105
	s_delay_alu instid0(VALU_DEP_1) | instskip(NEXT) | instid1(VALU_DEP_1)
	v_fma_f32 v99, -v99, v106, v107
	v_div_fmas_f32 v99, v99, v105, v106
	s_delay_alu instid0(VALU_DEP_1) | instskip(NEXT) | instid1(VALU_DEP_1)
	v_div_fixup_f32 v99, v99, v97, v96
	v_fmac_f32_e32 v97, v96, v99
	s_delay_alu instid0(VALU_DEP_1) | instskip(SKIP_1) | instid1(VALU_DEP_2)
	v_div_scale_f32 v96, null, v97, v97, 1.0
	v_div_scale_f32 v107, vcc_lo, 1.0, v97, 1.0
	v_rcp_f32_e32 v105, v96
	v_nop
	s_delay_alu instid0(TRANS32_DEP_1) | instskip(NEXT) | instid1(VALU_DEP_1)
	v_fma_f32 v106, -v96, v105, 1.0
	v_fmac_f32_e32 v105, v106, v105
	s_delay_alu instid0(VALU_DEP_1) | instskip(NEXT) | instid1(VALU_DEP_1)
	v_mul_f32_e32 v106, v107, v105
	v_fma_f32 v108, -v96, v106, v107
	s_delay_alu instid0(VALU_DEP_1) | instskip(NEXT) | instid1(VALU_DEP_1)
	v_fmac_f32_e32 v106, v108, v105
	v_fma_f32 v96, -v96, v106, v107
	s_delay_alu instid0(VALU_DEP_1) | instskip(NEXT) | instid1(VALU_DEP_1)
	v_div_fmas_f32 v96, v96, v105, v106
	v_div_fixup_f32 v97, v96, v97, 1.0
	s_delay_alu instid0(VALU_DEP_1)
	v_mul_f32_e32 v96, v99, v97
	v_xor_b32_e32 v97, 0x80000000, v97
.LBB88_637:
	s_and_not1_saveexec_b32 s1, s1
	s_cbranch_execz .LBB88_639
; %bb.638:
	s_delay_alu instid0(VALU_DEP_1) | instskip(SKIP_1) | instid1(VALU_DEP_2)
	v_div_scale_f32 v99, null, v96, v96, v97
	v_div_scale_f32 v107, vcc_lo, v97, v96, v97
	v_rcp_f32_e32 v105, v99
	v_nop
	s_delay_alu instid0(TRANS32_DEP_1) | instskip(NEXT) | instid1(VALU_DEP_1)
	v_fma_f32 v106, -v99, v105, 1.0
	v_fmac_f32_e32 v105, v106, v105
	s_delay_alu instid0(VALU_DEP_1) | instskip(NEXT) | instid1(VALU_DEP_1)
	v_mul_f32_e32 v106, v107, v105
	v_fma_f32 v108, -v99, v106, v107
	s_delay_alu instid0(VALU_DEP_1) | instskip(NEXT) | instid1(VALU_DEP_1)
	v_fmac_f32_e32 v106, v108, v105
	v_fma_f32 v99, -v99, v106, v107
	s_delay_alu instid0(VALU_DEP_1) | instskip(NEXT) | instid1(VALU_DEP_1)
	v_div_fmas_f32 v99, v99, v105, v106
	v_div_fixup_f32 v99, v99, v96, v97
	s_delay_alu instid0(VALU_DEP_1) | instskip(NEXT) | instid1(VALU_DEP_1)
	v_fmac_f32_e32 v96, v97, v99
	v_div_scale_f32 v97, null, v96, v96, 1.0
	s_delay_alu instid0(VALU_DEP_1) | instskip(SKIP_1) | instid1(TRANS32_DEP_1)
	v_rcp_f32_e32 v105, v97
	v_nop
	v_fma_f32 v106, -v97, v105, 1.0
	s_delay_alu instid0(VALU_DEP_1) | instskip(SKIP_1) | instid1(VALU_DEP_1)
	v_fmac_f32_e32 v105, v106, v105
	v_div_scale_f32 v106, vcc_lo, 1.0, v96, 1.0
	v_mul_f32_e32 v107, v106, v105
	s_delay_alu instid0(VALU_DEP_1) | instskip(NEXT) | instid1(VALU_DEP_1)
	v_fma_f32 v108, -v97, v107, v106
	v_fmac_f32_e32 v107, v108, v105
	s_delay_alu instid0(VALU_DEP_1) | instskip(NEXT) | instid1(VALU_DEP_1)
	v_fma_f32 v97, -v97, v107, v106
	v_div_fmas_f32 v97, v97, v105, v107
	s_delay_alu instid0(VALU_DEP_1) | instskip(NEXT) | instid1(VALU_DEP_1)
	v_div_fixup_f32 v96, v97, v96, 1.0
	v_mul_f32_e64 v97, v99, -v96
.LBB88_639:
	s_or_b32 exec_lo, exec_lo, s1
.LBB88_640:
	s_delay_alu instid0(SALU_CYCLE_1) | instskip(NEXT) | instid1(SALU_CYCLE_1)
	s_or_b32 exec_lo, exec_lo, s0
	s_mov_b32 s0, exec_lo
	v_cmpx_ne_u32_e64 v104, v98
	s_xor_b32 s0, exec_lo, s0
	s_cbranch_execz .LBB88_646
; %bb.641:
	s_mov_b32 s1, exec_lo
	v_cmpx_eq_u32_e32 30, v104
	s_cbranch_execz .LBB88_645
; %bb.642:
	v_cmp_ne_u32_e32 vcc_lo, 30, v98
	s_xor_b32 s12, s16, -1
	s_delay_alu instid0(SALU_CYCLE_1) | instskip(NEXT) | instid1(SALU_CYCLE_1)
	s_and_b32 s13, s12, vcc_lo
	s_and_saveexec_b32 s12, s13
	s_cbranch_execz .LBB88_644
; %bb.643:
	v_ashrrev_i32_e32 v99, 31, v98
	s_delay_alu instid0(VALU_DEP_1)
	v_lshl_add_u64 v[104:105], v[98:99], 2, v[4:5]
	s_clause 0x1
	global_load_b32 v99, v[104:105], off
	global_load_b32 v103, v[4:5], off offset:120
	s_wait_loadcnt 0x1
	global_store_b32 v[4:5], v99, off offset:120
	s_wait_loadcnt 0x0
	global_store_b32 v[104:105], v103, off
.LBB88_644:
	s_wait_xcnt 0x0
	s_or_b32 exec_lo, exec_lo, s12
	v_dual_mov_b32 v104, v98 :: v_dual_mov_b32 v103, v98
.LBB88_645:
	s_or_b32 exec_lo, exec_lo, s1
.LBB88_646:
	s_and_not1_saveexec_b32 s0, s0
	s_cbranch_execz .LBB88_648
; %bb.647:
	v_mov_b32_e32 v104, 30
	ds_store_2addr_b64 v100, v[38:39], v[30:31] offset0:31 offset1:32
	ds_store_2addr_b64 v100, v[22:23], v[28:29] offset0:33 offset1:34
	ds_store_2addr_b64 v100, v[20:21], v[14:15] offset0:35 offset1:36
	ds_store_2addr_b64 v100, v[10:11], v[12:13] offset0:37 offset1:38
	ds_store_2addr_b64 v100, v[8:9], v[6:7] offset0:39 offset1:40
	ds_store_2addr_b64 v100, v[36:37], v[18:19] offset0:41 offset1:42
	ds_store_2addr_b64 v100, v[16:17], v[94:95] offset0:43 offset1:44
.LBB88_648:
	s_or_b32 exec_lo, exec_lo, s0
	s_delay_alu instid0(SALU_CYCLE_1)
	s_mov_b32 s0, exec_lo
	s_wait_storecnt_dscnt 0x0
	s_barrier_signal -1
	s_barrier_wait -1
	v_cmpx_lt_i32_e32 30, v104
	s_cbranch_execz .LBB88_650
; %bb.649:
	v_pk_mul_f32 v[98:99], v[96:97], v[46:47] op_sel:[1,1] op_sel_hi:[0,1]
	s_delay_alu instid0(VALU_DEP_1)
	v_pk_fma_f32 v[106:107], v[96:97], v[46:47], v[98:99] op_sel_hi:[1,0,1] neg_lo:[0,0,1] neg_hi:[0,0,1]
	v_pk_fma_f32 v[108:109], v[96:97], v[46:47], v[98:99] op_sel_hi:[1,0,1]
	ds_load_2addr_b64 v[96:99], v100 offset0:31 offset1:32
	v_dual_mov_b32 v46, v106 :: v_dual_mov_b32 v47, v109
	s_wait_dscnt 0x0
	v_pk_mul_f32 v[110:111], v[96:97], v[108:109] op_sel:[0,1]
	s_delay_alu instid0(VALU_DEP_1) | instskip(SKIP_1) | instid1(VALU_DEP_1)
	v_pk_fma_f32 v[112:113], v[96:97], v[106:107], v[110:111] op_sel:[0,0,1] op_sel_hi:[1,1,0] neg_lo:[0,0,1] neg_hi:[0,0,1]
	v_pk_fma_f32 v[96:97], v[96:97], v[106:107], v[110:111] op_sel:[0,0,1] op_sel_hi:[1,0,0]
	v_mov_b32_e32 v113, v97
	v_pk_mul_f32 v[96:97], v[98:99], v[108:109] op_sel:[0,1]
	s_delay_alu instid0(VALU_DEP_1) | instskip(SKIP_1) | instid1(VALU_DEP_1)
	v_pk_fma_f32 v[110:111], v[98:99], v[106:107], v[96:97] op_sel:[0,0,1] op_sel_hi:[1,1,0] neg_lo:[0,0,1] neg_hi:[0,0,1]
	v_pk_fma_f32 v[96:97], v[98:99], v[106:107], v[96:97] op_sel:[0,0,1] op_sel_hi:[1,0,0]
	v_mov_b32_e32 v111, v97
	ds_load_2addr_b64 v[96:99], v100 offset0:33 offset1:34
	v_pk_add_f32 v[38:39], v[38:39], v[112:113] neg_lo:[0,1] neg_hi:[0,1]
	v_pk_add_f32 v[30:31], v[30:31], v[110:111] neg_lo:[0,1] neg_hi:[0,1]
	s_wait_dscnt 0x0
	v_pk_mul_f32 v[110:111], v[96:97], v[108:109] op_sel:[0,1]
	s_delay_alu instid0(VALU_DEP_1) | instskip(SKIP_2) | instid1(VALU_DEP_2)
	v_pk_fma_f32 v[112:113], v[96:97], v[106:107], v[110:111] op_sel:[0,0,1] op_sel_hi:[1,1,0] neg_lo:[0,0,1] neg_hi:[0,0,1]
	v_pk_fma_f32 v[96:97], v[96:97], v[106:107], v[110:111] op_sel:[0,0,1] op_sel_hi:[1,0,0]
	v_dual_mul_f32 v110, v99, v109 :: v_dual_mov_b32 v96, v99
	v_dual_mov_b32 v113, v97 :: v_dual_mov_b32 v97, v98
	s_delay_alu instid0(VALU_DEP_2) | instskip(SKIP_1) | instid1(VALU_DEP_3)
	v_pk_fma_f32 v[110:111], v[98:99], v[46:47], v[110:111] op_sel_hi:[1,1,0] neg_lo:[0,0,1] neg_hi:[0,0,1]
	v_mul_f32_e32 v98, v99, v106
	v_pk_add_f32 v[22:23], v[22:23], v[112:113] neg_lo:[0,1] neg_hi:[0,1]
	s_delay_alu instid0(VALU_DEP_2) | instskip(NEXT) | instid1(VALU_DEP_1)
	v_pk_fma_f32 v[96:97], v[96:97], v[46:47], v[98:99] op_sel_hi:[1,1,0]
	v_mov_b32_e32 v111, v97
	ds_load_2addr_b64 v[96:99], v100 offset0:35 offset1:36
	v_pk_add_f32 v[28:29], v[28:29], v[110:111] neg_lo:[0,1] neg_hi:[0,1]
	s_wait_dscnt 0x0
	v_pk_mul_f32 v[110:111], v[96:97], v[108:109] op_sel:[0,1]
	s_delay_alu instid0(VALU_DEP_1) | instskip(SKIP_1) | instid1(VALU_DEP_1)
	v_pk_fma_f32 v[112:113], v[96:97], v[106:107], v[110:111] op_sel:[0,0,1] op_sel_hi:[1,1,0] neg_lo:[0,0,1] neg_hi:[0,0,1]
	v_pk_fma_f32 v[96:97], v[96:97], v[106:107], v[110:111] op_sel:[0,0,1] op_sel_hi:[1,0,0]
	v_mov_b32_e32 v113, v97
	v_pk_mul_f32 v[96:97], v[98:99], v[108:109] op_sel:[0,1]
	s_delay_alu instid0(VALU_DEP_1) | instskip(SKIP_1) | instid1(VALU_DEP_1)
	v_pk_fma_f32 v[110:111], v[98:99], v[106:107], v[96:97] op_sel:[0,0,1] op_sel_hi:[1,1,0] neg_lo:[0,0,1] neg_hi:[0,0,1]
	v_pk_fma_f32 v[96:97], v[98:99], v[106:107], v[96:97] op_sel:[0,0,1] op_sel_hi:[1,0,0]
	v_mov_b32_e32 v111, v97
	ds_load_2addr_b64 v[96:99], v100 offset0:37 offset1:38
	v_pk_add_f32 v[20:21], v[20:21], v[112:113] neg_lo:[0,1] neg_hi:[0,1]
	v_pk_add_f32 v[14:15], v[14:15], v[110:111] neg_lo:[0,1] neg_hi:[0,1]
	s_wait_dscnt 0x0
	v_pk_mul_f32 v[110:111], v[96:97], v[108:109] op_sel:[0,1]
	s_delay_alu instid0(VALU_DEP_1) | instskip(SKIP_1) | instid1(VALU_DEP_1)
	v_pk_fma_f32 v[112:113], v[96:97], v[106:107], v[110:111] op_sel:[0,0,1] op_sel_hi:[1,1,0] neg_lo:[0,0,1] neg_hi:[0,0,1]
	v_pk_fma_f32 v[96:97], v[96:97], v[106:107], v[110:111] op_sel:[0,0,1] op_sel_hi:[1,0,0]
	v_mov_b32_e32 v113, v97
	v_pk_mul_f32 v[96:97], v[98:99], v[108:109] op_sel:[0,1]
	s_delay_alu instid0(VALU_DEP_1) | instskip(SKIP_1) | instid1(VALU_DEP_1)
	v_pk_fma_f32 v[110:111], v[98:99], v[106:107], v[96:97] op_sel:[0,0,1] op_sel_hi:[1,1,0] neg_lo:[0,0,1] neg_hi:[0,0,1]
	v_pk_fma_f32 v[96:97], v[98:99], v[106:107], v[96:97] op_sel:[0,0,1] op_sel_hi:[1,0,0]
	v_mov_b32_e32 v111, v97
	ds_load_2addr_b64 v[96:99], v100 offset0:39 offset1:40
	v_pk_add_f32 v[10:11], v[10:11], v[112:113] neg_lo:[0,1] neg_hi:[0,1]
	v_pk_add_f32 v[12:13], v[12:13], v[110:111] neg_lo:[0,1] neg_hi:[0,1]
	s_wait_dscnt 0x0
	v_dual_mul_f32 v110, v97, v109 :: v_dual_mul_f32 v112, v97, v106
	s_delay_alu instid0(VALU_DEP_1) | instskip(NEXT) | instid1(VALU_DEP_2)
	v_pk_fma_f32 v[110:111], v[96:97], v[46:47], v[110:111] op_sel_hi:[1,1,0] neg_lo:[0,0,1] neg_hi:[0,0,1]
	v_pk_fma_f32 v[96:97], v[96:97], v[46:47], v[112:113] op_sel:[1,0,0] op_sel_hi:[0,1,0]
	s_delay_alu instid0(VALU_DEP_1) | instskip(SKIP_1) | instid1(VALU_DEP_2)
	v_mov_b32_e32 v111, v97
	v_pk_mul_f32 v[96:97], v[98:99], v[108:109] op_sel:[0,1]
	v_pk_add_f32 v[8:9], v[8:9], v[110:111] neg_lo:[0,1] neg_hi:[0,1]
	s_delay_alu instid0(VALU_DEP_2) | instskip(SKIP_1) | instid1(VALU_DEP_1)
	v_pk_fma_f32 v[110:111], v[98:99], v[106:107], v[96:97] op_sel:[0,0,1] op_sel_hi:[1,1,0] neg_lo:[0,0,1] neg_hi:[0,0,1]
	v_pk_fma_f32 v[96:97], v[98:99], v[106:107], v[96:97] op_sel:[0,0,1] op_sel_hi:[1,0,0]
	v_mov_b32_e32 v111, v97
	ds_load_2addr_b64 v[96:99], v100 offset0:41 offset1:42
	v_pk_add_f32 v[6:7], v[6:7], v[110:111] neg_lo:[0,1] neg_hi:[0,1]
	s_wait_dscnt 0x0
	v_pk_mul_f32 v[110:111], v[96:97], v[108:109] op_sel:[0,1]
	s_delay_alu instid0(VALU_DEP_1) | instskip(SKIP_1) | instid1(VALU_DEP_1)
	v_pk_fma_f32 v[112:113], v[96:97], v[106:107], v[110:111] op_sel:[0,0,1] op_sel_hi:[1,1,0] neg_lo:[0,0,1] neg_hi:[0,0,1]
	v_pk_fma_f32 v[96:97], v[96:97], v[106:107], v[110:111] op_sel:[0,0,1] op_sel_hi:[1,0,0]
	v_mov_b32_e32 v113, v97
	v_pk_mul_f32 v[96:97], v[98:99], v[108:109] op_sel:[0,1]
	s_delay_alu instid0(VALU_DEP_2) | instskip(NEXT) | instid1(VALU_DEP_2)
	v_pk_add_f32 v[36:37], v[36:37], v[112:113] neg_lo:[0,1] neg_hi:[0,1]
	v_pk_fma_f32 v[110:111], v[98:99], v[106:107], v[96:97] op_sel:[0,0,1] op_sel_hi:[1,1,0] neg_lo:[0,0,1] neg_hi:[0,0,1]
	v_pk_fma_f32 v[96:97], v[98:99], v[106:107], v[96:97] op_sel:[0,0,1] op_sel_hi:[1,0,0]
	s_delay_alu instid0(VALU_DEP_1) | instskip(SKIP_4) | instid1(VALU_DEP_1)
	v_mov_b32_e32 v111, v97
	ds_load_2addr_b64 v[96:99], v100 offset0:43 offset1:44
	v_pk_add_f32 v[18:19], v[18:19], v[110:111] neg_lo:[0,1] neg_hi:[0,1]
	s_wait_dscnt 0x0
	v_pk_mul_f32 v[110:111], v[96:97], v[108:109] op_sel:[0,1]
	v_pk_fma_f32 v[112:113], v[96:97], v[106:107], v[110:111] op_sel:[0,0,1] op_sel_hi:[1,1,0] neg_lo:[0,0,1] neg_hi:[0,0,1]
	v_pk_fma_f32 v[96:97], v[96:97], v[106:107], v[110:111] op_sel:[0,0,1] op_sel_hi:[1,0,0]
	s_delay_alu instid0(VALU_DEP_1) | instskip(SKIP_1) | instid1(VALU_DEP_2)
	v_mov_b32_e32 v113, v97
	v_pk_mul_f32 v[96:97], v[98:99], v[108:109] op_sel:[0,1]
	v_pk_add_f32 v[16:17], v[16:17], v[112:113] neg_lo:[0,1] neg_hi:[0,1]
	s_delay_alu instid0(VALU_DEP_2) | instskip(SKIP_1) | instid1(VALU_DEP_1)
	v_pk_fma_f32 v[108:109], v[98:99], v[106:107], v[96:97] op_sel:[0,0,1] op_sel_hi:[1,1,0] neg_lo:[0,0,1] neg_hi:[0,0,1]
	v_pk_fma_f32 v[96:97], v[98:99], v[106:107], v[96:97] op_sel:[0,0,1] op_sel_hi:[1,0,0]
	v_mov_b32_e32 v109, v97
	s_delay_alu instid0(VALU_DEP_1)
	v_pk_add_f32 v[94:95], v[94:95], v[108:109] neg_lo:[0,1] neg_hi:[0,1]
.LBB88_650:
	s_or_b32 exec_lo, exec_lo, s0
	v_lshl_add_u32 v96, v104, 3, v100
	s_barrier_signal -1
	s_barrier_wait -1
	ds_store_b64 v96, v[38:39]
	s_wait_dscnt 0x0
	s_barrier_signal -1
	s_barrier_wait -1
	ds_load_b64 v[96:97], v100 offset:248
	v_mov_b32_e32 v98, 31
	s_cmp_lt_i32 s18, 33
	s_cbranch_scc1 .LBB88_653
; %bb.651:
	v_add3_u32 v99, v101, 0, 0x100
	v_mov_b32_e32 v98, 31
	s_mov_b32 s0, 32
.LBB88_652:                             ; =>This Inner Loop Header: Depth=1
	ds_load_b64 v[106:107], v99
	s_wait_dscnt 0x1
	v_cmp_gt_f32_e32 vcc_lo, 0, v96
	v_cndmask_b32_e64 v108, v96, -v96, vcc_lo
	v_cmp_gt_f32_e32 vcc_lo, 0, v97
	v_cndmask_b32_e64 v110, v97, -v97, vcc_lo
	s_wait_dscnt 0x0
	v_cmp_gt_f32_e32 vcc_lo, 0, v106
	v_cndmask_b32_e64 v109, v106, -v106, vcc_lo
	v_cmp_gt_f32_e32 vcc_lo, 0, v107
	v_cndmask_b32_e64 v111, v107, -v107, vcc_lo
	s_delay_alu instid0(VALU_DEP_1) | instskip(NEXT) | instid1(VALU_DEP_1)
	v_pk_add_f32 v[108:109], v[108:109], v[110:111]
	v_cmp_lt_f32_e32 vcc_lo, v108, v109
	v_dual_cndmask_b32 v96, v96, v106 :: v_dual_add_nc_u32 v99, 8, v99
	v_cndmask_b32_e32 v97, v97, v107, vcc_lo
	v_cndmask_b32_e64 v98, v98, s0, vcc_lo
	s_add_co_i32 s0, s0, 1
	s_delay_alu instid0(SALU_CYCLE_1)
	s_cmp_lg_u32 s18, s0
	s_cbranch_scc1 .LBB88_652
.LBB88_653:
	s_wait_dscnt 0x0
	v_cmp_eq_f32_e32 vcc_lo, 0, v96
	v_cmp_eq_f32_e64 s0, 0, v97
	s_and_b32 s0, vcc_lo, s0
	s_delay_alu instid0(SALU_CYCLE_1) | instskip(NEXT) | instid1(SALU_CYCLE_1)
	s_and_saveexec_b32 s1, s0
	s_xor_b32 s0, exec_lo, s1
; %bb.654:
	v_cmp_ne_u32_e32 vcc_lo, 0, v102
	v_cndmask_b32_e32 v102, 32, v102, vcc_lo
; %bb.655:
	s_and_not1_saveexec_b32 s0, s0
	s_cbranch_execz .LBB88_661
; %bb.656:
	v_cmp_ngt_f32_e64 s1, |v96|, |v97|
	s_and_saveexec_b32 s12, s1
	s_delay_alu instid0(SALU_CYCLE_1)
	s_xor_b32 s1, exec_lo, s12
	s_cbranch_execz .LBB88_658
; %bb.657:
	v_div_scale_f32 v99, null, v97, v97, v96
	v_div_scale_f32 v107, vcc_lo, v96, v97, v96
	s_delay_alu instid0(VALU_DEP_2) | instskip(SKIP_1) | instid1(TRANS32_DEP_1)
	v_rcp_f32_e32 v105, v99
	v_nop
	v_fma_f32 v106, -v99, v105, 1.0
	s_delay_alu instid0(VALU_DEP_1) | instskip(NEXT) | instid1(VALU_DEP_1)
	v_fmac_f32_e32 v105, v106, v105
	v_mul_f32_e32 v106, v107, v105
	s_delay_alu instid0(VALU_DEP_1) | instskip(NEXT) | instid1(VALU_DEP_1)
	v_fma_f32 v108, -v99, v106, v107
	v_fmac_f32_e32 v106, v108, v105
	s_delay_alu instid0(VALU_DEP_1) | instskip(NEXT) | instid1(VALU_DEP_1)
	v_fma_f32 v99, -v99, v106, v107
	v_div_fmas_f32 v99, v99, v105, v106
	s_delay_alu instid0(VALU_DEP_1) | instskip(NEXT) | instid1(VALU_DEP_1)
	v_div_fixup_f32 v99, v99, v97, v96
	v_fmac_f32_e32 v97, v96, v99
	s_delay_alu instid0(VALU_DEP_1) | instskip(SKIP_1) | instid1(VALU_DEP_2)
	v_div_scale_f32 v96, null, v97, v97, 1.0
	v_div_scale_f32 v107, vcc_lo, 1.0, v97, 1.0
	v_rcp_f32_e32 v105, v96
	v_nop
	s_delay_alu instid0(TRANS32_DEP_1) | instskip(NEXT) | instid1(VALU_DEP_1)
	v_fma_f32 v106, -v96, v105, 1.0
	v_fmac_f32_e32 v105, v106, v105
	s_delay_alu instid0(VALU_DEP_1) | instskip(NEXT) | instid1(VALU_DEP_1)
	v_mul_f32_e32 v106, v107, v105
	v_fma_f32 v108, -v96, v106, v107
	s_delay_alu instid0(VALU_DEP_1) | instskip(NEXT) | instid1(VALU_DEP_1)
	v_fmac_f32_e32 v106, v108, v105
	v_fma_f32 v96, -v96, v106, v107
	s_delay_alu instid0(VALU_DEP_1) | instskip(NEXT) | instid1(VALU_DEP_1)
	v_div_fmas_f32 v96, v96, v105, v106
	v_div_fixup_f32 v97, v96, v97, 1.0
	s_delay_alu instid0(VALU_DEP_1)
	v_mul_f32_e32 v96, v99, v97
	v_xor_b32_e32 v97, 0x80000000, v97
.LBB88_658:
	s_and_not1_saveexec_b32 s1, s1
	s_cbranch_execz .LBB88_660
; %bb.659:
	s_delay_alu instid0(VALU_DEP_1) | instskip(SKIP_1) | instid1(VALU_DEP_2)
	v_div_scale_f32 v99, null, v96, v96, v97
	v_div_scale_f32 v107, vcc_lo, v97, v96, v97
	v_rcp_f32_e32 v105, v99
	v_nop
	s_delay_alu instid0(TRANS32_DEP_1) | instskip(NEXT) | instid1(VALU_DEP_1)
	v_fma_f32 v106, -v99, v105, 1.0
	v_fmac_f32_e32 v105, v106, v105
	s_delay_alu instid0(VALU_DEP_1) | instskip(NEXT) | instid1(VALU_DEP_1)
	v_mul_f32_e32 v106, v107, v105
	v_fma_f32 v108, -v99, v106, v107
	s_delay_alu instid0(VALU_DEP_1) | instskip(NEXT) | instid1(VALU_DEP_1)
	v_fmac_f32_e32 v106, v108, v105
	v_fma_f32 v99, -v99, v106, v107
	s_delay_alu instid0(VALU_DEP_1) | instskip(NEXT) | instid1(VALU_DEP_1)
	v_div_fmas_f32 v99, v99, v105, v106
	v_div_fixup_f32 v99, v99, v96, v97
	s_delay_alu instid0(VALU_DEP_1) | instskip(NEXT) | instid1(VALU_DEP_1)
	v_fmac_f32_e32 v96, v97, v99
	v_div_scale_f32 v97, null, v96, v96, 1.0
	s_delay_alu instid0(VALU_DEP_1) | instskip(SKIP_1) | instid1(TRANS32_DEP_1)
	v_rcp_f32_e32 v105, v97
	v_nop
	v_fma_f32 v106, -v97, v105, 1.0
	s_delay_alu instid0(VALU_DEP_1) | instskip(SKIP_1) | instid1(VALU_DEP_1)
	v_fmac_f32_e32 v105, v106, v105
	v_div_scale_f32 v106, vcc_lo, 1.0, v96, 1.0
	v_mul_f32_e32 v107, v106, v105
	s_delay_alu instid0(VALU_DEP_1) | instskip(NEXT) | instid1(VALU_DEP_1)
	v_fma_f32 v108, -v97, v107, v106
	v_fmac_f32_e32 v107, v108, v105
	s_delay_alu instid0(VALU_DEP_1) | instskip(NEXT) | instid1(VALU_DEP_1)
	v_fma_f32 v97, -v97, v107, v106
	v_div_fmas_f32 v97, v97, v105, v107
	s_delay_alu instid0(VALU_DEP_1) | instskip(NEXT) | instid1(VALU_DEP_1)
	v_div_fixup_f32 v96, v97, v96, 1.0
	v_mul_f32_e64 v97, v99, -v96
.LBB88_660:
	s_or_b32 exec_lo, exec_lo, s1
.LBB88_661:
	s_delay_alu instid0(SALU_CYCLE_1) | instskip(NEXT) | instid1(SALU_CYCLE_1)
	s_or_b32 exec_lo, exec_lo, s0
	s_mov_b32 s0, exec_lo
	v_cmpx_ne_u32_e64 v104, v98
	s_xor_b32 s0, exec_lo, s0
	s_cbranch_execz .LBB88_667
; %bb.662:
	s_mov_b32 s1, exec_lo
	v_cmpx_eq_u32_e32 31, v104
	s_cbranch_execz .LBB88_666
; %bb.663:
	v_cmp_ne_u32_e32 vcc_lo, 31, v98
	s_xor_b32 s12, s16, -1
	s_delay_alu instid0(SALU_CYCLE_1) | instskip(NEXT) | instid1(SALU_CYCLE_1)
	s_and_b32 s13, s12, vcc_lo
	s_and_saveexec_b32 s12, s13
	s_cbranch_execz .LBB88_665
; %bb.664:
	v_ashrrev_i32_e32 v99, 31, v98
	s_delay_alu instid0(VALU_DEP_1)
	v_lshl_add_u64 v[104:105], v[98:99], 2, v[4:5]
	s_clause 0x1
	global_load_b32 v99, v[104:105], off
	global_load_b32 v103, v[4:5], off offset:124
	s_wait_loadcnt 0x1
	global_store_b32 v[4:5], v99, off offset:124
	s_wait_loadcnt 0x0
	global_store_b32 v[104:105], v103, off
.LBB88_665:
	s_wait_xcnt 0x0
	s_or_b32 exec_lo, exec_lo, s12
	v_dual_mov_b32 v104, v98 :: v_dual_mov_b32 v103, v98
.LBB88_666:
	s_or_b32 exec_lo, exec_lo, s1
.LBB88_667:
	s_and_not1_saveexec_b32 s0, s0
	s_cbranch_execz .LBB88_669
; %bb.668:
	v_dual_mov_b32 v98, v30 :: v_dual_mov_b32 v99, v31
	v_dual_mov_b32 v104, v22 :: v_dual_mov_b32 v105, v23
	;; [unrolled: 1-line block ×4, first 2 shown]
	ds_store_2addr_b64 v100, v[98:99], v[104:105] offset0:32 offset1:33
	ds_store_2addr_b64 v100, v[106:107], v[108:109] offset0:34 offset1:35
	v_dual_mov_b32 v98, v14 :: v_dual_mov_b32 v99, v15
	v_dual_mov_b32 v106, v10 :: v_dual_mov_b32 v107, v11
	;; [unrolled: 1-line block ×8, first 2 shown]
	v_mov_b32_e32 v119, v17
	ds_store_2addr_b64 v100, v[98:99], v[106:107] offset0:36 offset1:37
	ds_store_2addr_b64 v100, v[108:109], v[110:111] offset0:38 offset1:39
	;; [unrolled: 1-line block ×4, first 2 shown]
	ds_store_b64 v100, v[94:95] offset:352
.LBB88_669:
	s_or_b32 exec_lo, exec_lo, s0
	s_delay_alu instid0(SALU_CYCLE_1)
	s_mov_b32 s0, exec_lo
	s_wait_storecnt_dscnt 0x0
	s_barrier_signal -1
	s_barrier_wait -1
	v_cmpx_lt_i32_e32 31, v104
	s_cbranch_execz .LBB88_671
; %bb.670:
	v_pk_mul_f32 v[98:99], v[96:97], v[38:39] op_sel:[1,1] op_sel_hi:[0,1]
	s_delay_alu instid0(VALU_DEP_1)
	v_pk_fma_f32 v[106:107], v[96:97], v[38:39], v[98:99] op_sel_hi:[1,0,1] neg_lo:[0,0,1] neg_hi:[0,0,1]
	v_pk_fma_f32 v[108:109], v[96:97], v[38:39], v[98:99] op_sel_hi:[1,0,1]
	ds_load_2addr_b64 v[96:99], v100 offset0:32 offset1:33
	v_dual_mov_b32 v38, v106 :: v_dual_mov_b32 v39, v109
	s_wait_dscnt 0x0
	v_pk_mul_f32 v[110:111], v[96:97], v[108:109] op_sel:[0,1]
	s_delay_alu instid0(VALU_DEP_1) | instskip(SKIP_1) | instid1(VALU_DEP_1)
	v_pk_fma_f32 v[112:113], v[96:97], v[106:107], v[110:111] op_sel:[0,0,1] op_sel_hi:[1,1,0] neg_lo:[0,0,1] neg_hi:[0,0,1]
	v_pk_fma_f32 v[96:97], v[96:97], v[106:107], v[110:111] op_sel:[0,0,1] op_sel_hi:[1,0,0]
	v_mov_b32_e32 v113, v97
	v_pk_mul_f32 v[96:97], v[98:99], v[108:109] op_sel:[0,1]
	s_delay_alu instid0(VALU_DEP_1) | instskip(SKIP_1) | instid1(VALU_DEP_1)
	v_pk_fma_f32 v[110:111], v[98:99], v[106:107], v[96:97] op_sel:[0,0,1] op_sel_hi:[1,1,0] neg_lo:[0,0,1] neg_hi:[0,0,1]
	v_pk_fma_f32 v[96:97], v[98:99], v[106:107], v[96:97] op_sel:[0,0,1] op_sel_hi:[1,0,0]
	v_mov_b32_e32 v111, v97
	ds_load_2addr_b64 v[96:99], v100 offset0:34 offset1:35
	v_pk_add_f32 v[30:31], v[30:31], v[112:113] neg_lo:[0,1] neg_hi:[0,1]
	v_pk_add_f32 v[22:23], v[22:23], v[110:111] neg_lo:[0,1] neg_hi:[0,1]
	s_wait_dscnt 0x0
	v_pk_mul_f32 v[110:111], v[96:97], v[108:109] op_sel:[0,1]
	s_delay_alu instid0(VALU_DEP_1) | instskip(SKIP_2) | instid1(VALU_DEP_2)
	v_pk_fma_f32 v[112:113], v[96:97], v[106:107], v[110:111] op_sel:[0,0,1] op_sel_hi:[1,1,0] neg_lo:[0,0,1] neg_hi:[0,0,1]
	v_pk_fma_f32 v[96:97], v[96:97], v[106:107], v[110:111] op_sel:[0,0,1] op_sel_hi:[1,0,0]
	v_dual_mul_f32 v110, v99, v109 :: v_dual_mov_b32 v96, v99
	v_dual_mov_b32 v113, v97 :: v_dual_mov_b32 v97, v98
	s_delay_alu instid0(VALU_DEP_2) | instskip(SKIP_1) | instid1(VALU_DEP_3)
	v_pk_fma_f32 v[110:111], v[98:99], v[38:39], v[110:111] op_sel_hi:[1,1,0] neg_lo:[0,0,1] neg_hi:[0,0,1]
	v_mul_f32_e32 v98, v99, v106
	v_pk_add_f32 v[28:29], v[28:29], v[112:113] neg_lo:[0,1] neg_hi:[0,1]
	s_delay_alu instid0(VALU_DEP_2) | instskip(NEXT) | instid1(VALU_DEP_1)
	v_pk_fma_f32 v[96:97], v[96:97], v[38:39], v[98:99] op_sel_hi:[1,1,0]
	v_mov_b32_e32 v111, v97
	ds_load_2addr_b64 v[96:99], v100 offset0:36 offset1:37
	v_pk_add_f32 v[20:21], v[20:21], v[110:111] neg_lo:[0,1] neg_hi:[0,1]
	s_wait_dscnt 0x0
	v_pk_mul_f32 v[110:111], v[96:97], v[108:109] op_sel:[0,1]
	s_delay_alu instid0(VALU_DEP_1) | instskip(SKIP_1) | instid1(VALU_DEP_1)
	v_pk_fma_f32 v[112:113], v[96:97], v[106:107], v[110:111] op_sel:[0,0,1] op_sel_hi:[1,1,0] neg_lo:[0,0,1] neg_hi:[0,0,1]
	v_pk_fma_f32 v[96:97], v[96:97], v[106:107], v[110:111] op_sel:[0,0,1] op_sel_hi:[1,0,0]
	v_mov_b32_e32 v113, v97
	v_pk_mul_f32 v[96:97], v[98:99], v[108:109] op_sel:[0,1]
	s_delay_alu instid0(VALU_DEP_1) | instskip(SKIP_1) | instid1(VALU_DEP_1)
	v_pk_fma_f32 v[110:111], v[98:99], v[106:107], v[96:97] op_sel:[0,0,1] op_sel_hi:[1,1,0] neg_lo:[0,0,1] neg_hi:[0,0,1]
	v_pk_fma_f32 v[96:97], v[98:99], v[106:107], v[96:97] op_sel:[0,0,1] op_sel_hi:[1,0,0]
	v_mov_b32_e32 v111, v97
	ds_load_2addr_b64 v[96:99], v100 offset0:38 offset1:39
	v_pk_add_f32 v[14:15], v[14:15], v[112:113] neg_lo:[0,1] neg_hi:[0,1]
	v_pk_add_f32 v[10:11], v[10:11], v[110:111] neg_lo:[0,1] neg_hi:[0,1]
	s_wait_dscnt 0x0
	v_pk_mul_f32 v[110:111], v[96:97], v[108:109] op_sel:[0,1]
	s_delay_alu instid0(VALU_DEP_1) | instskip(SKIP_1) | instid1(VALU_DEP_1)
	v_pk_fma_f32 v[112:113], v[96:97], v[106:107], v[110:111] op_sel:[0,0,1] op_sel_hi:[1,1,0] neg_lo:[0,0,1] neg_hi:[0,0,1]
	v_pk_fma_f32 v[96:97], v[96:97], v[106:107], v[110:111] op_sel:[0,0,1] op_sel_hi:[1,0,0]
	v_mov_b32_e32 v113, v97
	v_pk_mul_f32 v[96:97], v[98:99], v[108:109] op_sel:[0,1]
	s_delay_alu instid0(VALU_DEP_1) | instskip(SKIP_1) | instid1(VALU_DEP_1)
	v_pk_fma_f32 v[110:111], v[98:99], v[106:107], v[96:97] op_sel:[0,0,1] op_sel_hi:[1,1,0] neg_lo:[0,0,1] neg_hi:[0,0,1]
	v_pk_fma_f32 v[96:97], v[98:99], v[106:107], v[96:97] op_sel:[0,0,1] op_sel_hi:[1,0,0]
	v_mov_b32_e32 v111, v97
	ds_load_2addr_b64 v[96:99], v100 offset0:40 offset1:41
	v_pk_add_f32 v[12:13], v[12:13], v[112:113] neg_lo:[0,1] neg_hi:[0,1]
	v_pk_add_f32 v[8:9], v[8:9], v[110:111] neg_lo:[0,1] neg_hi:[0,1]
	s_wait_dscnt 0x0
	v_dual_mul_f32 v110, v97, v109 :: v_dual_mul_f32 v112, v97, v106
	s_delay_alu instid0(VALU_DEP_1) | instskip(NEXT) | instid1(VALU_DEP_2)
	v_pk_fma_f32 v[110:111], v[96:97], v[38:39], v[110:111] op_sel_hi:[1,1,0] neg_lo:[0,0,1] neg_hi:[0,0,1]
	v_pk_fma_f32 v[96:97], v[96:97], v[38:39], v[112:113] op_sel:[1,0,0] op_sel_hi:[0,1,0]
	s_delay_alu instid0(VALU_DEP_1) | instskip(SKIP_1) | instid1(VALU_DEP_2)
	v_mov_b32_e32 v111, v97
	v_pk_mul_f32 v[96:97], v[98:99], v[108:109] op_sel:[0,1]
	v_pk_add_f32 v[6:7], v[6:7], v[110:111] neg_lo:[0,1] neg_hi:[0,1]
	s_delay_alu instid0(VALU_DEP_2) | instskip(SKIP_1) | instid1(VALU_DEP_1)
	v_pk_fma_f32 v[110:111], v[98:99], v[106:107], v[96:97] op_sel:[0,0,1] op_sel_hi:[1,1,0] neg_lo:[0,0,1] neg_hi:[0,0,1]
	v_pk_fma_f32 v[96:97], v[98:99], v[106:107], v[96:97] op_sel:[0,0,1] op_sel_hi:[1,0,0]
	v_mov_b32_e32 v111, v97
	ds_load_2addr_b64 v[96:99], v100 offset0:42 offset1:43
	v_pk_add_f32 v[36:37], v[36:37], v[110:111] neg_lo:[0,1] neg_hi:[0,1]
	s_wait_dscnt 0x0
	v_pk_mul_f32 v[110:111], v[96:97], v[108:109] op_sel:[0,1]
	s_delay_alu instid0(VALU_DEP_1) | instskip(SKIP_1) | instid1(VALU_DEP_1)
	v_pk_fma_f32 v[112:113], v[96:97], v[106:107], v[110:111] op_sel:[0,0,1] op_sel_hi:[1,1,0] neg_lo:[0,0,1] neg_hi:[0,0,1]
	v_pk_fma_f32 v[96:97], v[96:97], v[106:107], v[110:111] op_sel:[0,0,1] op_sel_hi:[1,0,0]
	v_mov_b32_e32 v113, v97
	v_pk_mul_f32 v[96:97], v[98:99], v[108:109] op_sel:[0,1]
	s_delay_alu instid0(VALU_DEP_2) | instskip(NEXT) | instid1(VALU_DEP_2)
	v_pk_add_f32 v[18:19], v[18:19], v[112:113] neg_lo:[0,1] neg_hi:[0,1]
	v_pk_fma_f32 v[110:111], v[98:99], v[106:107], v[96:97] op_sel:[0,0,1] op_sel_hi:[1,1,0] neg_lo:[0,0,1] neg_hi:[0,0,1]
	v_pk_fma_f32 v[96:97], v[98:99], v[106:107], v[96:97] op_sel:[0,0,1] op_sel_hi:[1,0,0]
	s_delay_alu instid0(VALU_DEP_1) | instskip(SKIP_4) | instid1(VALU_DEP_1)
	v_mov_b32_e32 v111, v97
	ds_load_b64 v[96:97], v100 offset:352
	v_pk_add_f32 v[16:17], v[16:17], v[110:111] neg_lo:[0,1] neg_hi:[0,1]
	s_wait_dscnt 0x0
	v_pk_mul_f32 v[98:99], v[96:97], v[108:109] op_sel:[0,1]
	v_pk_fma_f32 v[108:109], v[96:97], v[106:107], v[98:99] op_sel:[0,0,1] op_sel_hi:[1,1,0] neg_lo:[0,0,1] neg_hi:[0,0,1]
	v_pk_fma_f32 v[96:97], v[96:97], v[106:107], v[98:99] op_sel:[0,0,1] op_sel_hi:[1,0,0]
	s_delay_alu instid0(VALU_DEP_1) | instskip(NEXT) | instid1(VALU_DEP_1)
	v_mov_b32_e32 v109, v97
	v_pk_add_f32 v[94:95], v[94:95], v[108:109] neg_lo:[0,1] neg_hi:[0,1]
.LBB88_671:
	s_or_b32 exec_lo, exec_lo, s0
	v_lshl_add_u32 v96, v104, 3, v100
	s_barrier_signal -1
	s_barrier_wait -1
	ds_store_b64 v96, v[30:31]
	s_wait_dscnt 0x0
	s_barrier_signal -1
	s_barrier_wait -1
	ds_load_b64 v[96:97], v100 offset:256
	v_mov_b32_e32 v98, 32
	s_cmp_lt_i32 s18, 34
	s_cbranch_scc1 .LBB88_674
; %bb.672:
	v_add3_u32 v99, v101, 0, 0x108
	v_mov_b32_e32 v98, 32
	s_mov_b32 s0, 33
.LBB88_673:                             ; =>This Inner Loop Header: Depth=1
	ds_load_b64 v[106:107], v99
	s_wait_dscnt 0x1
	v_cmp_gt_f32_e32 vcc_lo, 0, v96
	v_cndmask_b32_e64 v108, v96, -v96, vcc_lo
	v_cmp_gt_f32_e32 vcc_lo, 0, v97
	v_cndmask_b32_e64 v110, v97, -v97, vcc_lo
	s_wait_dscnt 0x0
	v_cmp_gt_f32_e32 vcc_lo, 0, v106
	v_cndmask_b32_e64 v109, v106, -v106, vcc_lo
	v_cmp_gt_f32_e32 vcc_lo, 0, v107
	v_cndmask_b32_e64 v111, v107, -v107, vcc_lo
	s_delay_alu instid0(VALU_DEP_1) | instskip(NEXT) | instid1(VALU_DEP_1)
	v_pk_add_f32 v[108:109], v[108:109], v[110:111]
	v_cmp_lt_f32_e32 vcc_lo, v108, v109
	v_dual_cndmask_b32 v96, v96, v106 :: v_dual_add_nc_u32 v99, 8, v99
	v_cndmask_b32_e32 v97, v97, v107, vcc_lo
	v_cndmask_b32_e64 v98, v98, s0, vcc_lo
	s_add_co_i32 s0, s0, 1
	s_delay_alu instid0(SALU_CYCLE_1)
	s_cmp_lg_u32 s18, s0
	s_cbranch_scc1 .LBB88_673
.LBB88_674:
	s_wait_dscnt 0x0
	v_cmp_eq_f32_e32 vcc_lo, 0, v96
	v_cmp_eq_f32_e64 s0, 0, v97
	s_and_b32 s0, vcc_lo, s0
	s_delay_alu instid0(SALU_CYCLE_1) | instskip(NEXT) | instid1(SALU_CYCLE_1)
	s_and_saveexec_b32 s1, s0
	s_xor_b32 s0, exec_lo, s1
; %bb.675:
	v_cmp_ne_u32_e32 vcc_lo, 0, v102
	v_cndmask_b32_e32 v102, 33, v102, vcc_lo
; %bb.676:
	s_and_not1_saveexec_b32 s0, s0
	s_cbranch_execz .LBB88_682
; %bb.677:
	v_cmp_ngt_f32_e64 s1, |v96|, |v97|
	s_and_saveexec_b32 s12, s1
	s_delay_alu instid0(SALU_CYCLE_1)
	s_xor_b32 s1, exec_lo, s12
	s_cbranch_execz .LBB88_679
; %bb.678:
	v_div_scale_f32 v99, null, v97, v97, v96
	v_div_scale_f32 v107, vcc_lo, v96, v97, v96
	s_delay_alu instid0(VALU_DEP_2) | instskip(SKIP_1) | instid1(TRANS32_DEP_1)
	v_rcp_f32_e32 v105, v99
	v_nop
	v_fma_f32 v106, -v99, v105, 1.0
	s_delay_alu instid0(VALU_DEP_1) | instskip(NEXT) | instid1(VALU_DEP_1)
	v_fmac_f32_e32 v105, v106, v105
	v_mul_f32_e32 v106, v107, v105
	s_delay_alu instid0(VALU_DEP_1) | instskip(NEXT) | instid1(VALU_DEP_1)
	v_fma_f32 v108, -v99, v106, v107
	v_fmac_f32_e32 v106, v108, v105
	s_delay_alu instid0(VALU_DEP_1) | instskip(NEXT) | instid1(VALU_DEP_1)
	v_fma_f32 v99, -v99, v106, v107
	v_div_fmas_f32 v99, v99, v105, v106
	s_delay_alu instid0(VALU_DEP_1) | instskip(NEXT) | instid1(VALU_DEP_1)
	v_div_fixup_f32 v99, v99, v97, v96
	v_fmac_f32_e32 v97, v96, v99
	s_delay_alu instid0(VALU_DEP_1) | instskip(SKIP_1) | instid1(VALU_DEP_2)
	v_div_scale_f32 v96, null, v97, v97, 1.0
	v_div_scale_f32 v107, vcc_lo, 1.0, v97, 1.0
	v_rcp_f32_e32 v105, v96
	v_nop
	s_delay_alu instid0(TRANS32_DEP_1) | instskip(NEXT) | instid1(VALU_DEP_1)
	v_fma_f32 v106, -v96, v105, 1.0
	v_fmac_f32_e32 v105, v106, v105
	s_delay_alu instid0(VALU_DEP_1) | instskip(NEXT) | instid1(VALU_DEP_1)
	v_mul_f32_e32 v106, v107, v105
	v_fma_f32 v108, -v96, v106, v107
	s_delay_alu instid0(VALU_DEP_1) | instskip(NEXT) | instid1(VALU_DEP_1)
	v_fmac_f32_e32 v106, v108, v105
	v_fma_f32 v96, -v96, v106, v107
	s_delay_alu instid0(VALU_DEP_1) | instskip(NEXT) | instid1(VALU_DEP_1)
	v_div_fmas_f32 v96, v96, v105, v106
	v_div_fixup_f32 v97, v96, v97, 1.0
	s_delay_alu instid0(VALU_DEP_1)
	v_mul_f32_e32 v96, v99, v97
	v_xor_b32_e32 v97, 0x80000000, v97
.LBB88_679:
	s_and_not1_saveexec_b32 s1, s1
	s_cbranch_execz .LBB88_681
; %bb.680:
	s_delay_alu instid0(VALU_DEP_1) | instskip(SKIP_1) | instid1(VALU_DEP_2)
	v_div_scale_f32 v99, null, v96, v96, v97
	v_div_scale_f32 v107, vcc_lo, v97, v96, v97
	v_rcp_f32_e32 v105, v99
	v_nop
	s_delay_alu instid0(TRANS32_DEP_1) | instskip(NEXT) | instid1(VALU_DEP_1)
	v_fma_f32 v106, -v99, v105, 1.0
	v_fmac_f32_e32 v105, v106, v105
	s_delay_alu instid0(VALU_DEP_1) | instskip(NEXT) | instid1(VALU_DEP_1)
	v_mul_f32_e32 v106, v107, v105
	v_fma_f32 v108, -v99, v106, v107
	s_delay_alu instid0(VALU_DEP_1) | instskip(NEXT) | instid1(VALU_DEP_1)
	v_fmac_f32_e32 v106, v108, v105
	v_fma_f32 v99, -v99, v106, v107
	s_delay_alu instid0(VALU_DEP_1) | instskip(NEXT) | instid1(VALU_DEP_1)
	v_div_fmas_f32 v99, v99, v105, v106
	v_div_fixup_f32 v99, v99, v96, v97
	s_delay_alu instid0(VALU_DEP_1) | instskip(NEXT) | instid1(VALU_DEP_1)
	v_fmac_f32_e32 v96, v97, v99
	v_div_scale_f32 v97, null, v96, v96, 1.0
	s_delay_alu instid0(VALU_DEP_1) | instskip(SKIP_1) | instid1(TRANS32_DEP_1)
	v_rcp_f32_e32 v105, v97
	v_nop
	v_fma_f32 v106, -v97, v105, 1.0
	s_delay_alu instid0(VALU_DEP_1) | instskip(SKIP_1) | instid1(VALU_DEP_1)
	v_fmac_f32_e32 v105, v106, v105
	v_div_scale_f32 v106, vcc_lo, 1.0, v96, 1.0
	v_mul_f32_e32 v107, v106, v105
	s_delay_alu instid0(VALU_DEP_1) | instskip(NEXT) | instid1(VALU_DEP_1)
	v_fma_f32 v108, -v97, v107, v106
	v_fmac_f32_e32 v107, v108, v105
	s_delay_alu instid0(VALU_DEP_1) | instskip(NEXT) | instid1(VALU_DEP_1)
	v_fma_f32 v97, -v97, v107, v106
	v_div_fmas_f32 v97, v97, v105, v107
	s_delay_alu instid0(VALU_DEP_1) | instskip(NEXT) | instid1(VALU_DEP_1)
	v_div_fixup_f32 v96, v97, v96, 1.0
	v_mul_f32_e64 v97, v99, -v96
.LBB88_681:
	s_or_b32 exec_lo, exec_lo, s1
.LBB88_682:
	s_delay_alu instid0(SALU_CYCLE_1) | instskip(NEXT) | instid1(SALU_CYCLE_1)
	s_or_b32 exec_lo, exec_lo, s0
	s_mov_b32 s0, exec_lo
	v_cmpx_ne_u32_e64 v104, v98
	s_xor_b32 s0, exec_lo, s0
	s_cbranch_execz .LBB88_688
; %bb.683:
	s_mov_b32 s1, exec_lo
	v_cmpx_eq_u32_e32 32, v104
	s_cbranch_execz .LBB88_687
; %bb.684:
	v_cmp_ne_u32_e32 vcc_lo, 32, v98
	s_xor_b32 s12, s16, -1
	s_delay_alu instid0(SALU_CYCLE_1) | instskip(NEXT) | instid1(SALU_CYCLE_1)
	s_and_b32 s13, s12, vcc_lo
	s_and_saveexec_b32 s12, s13
	s_cbranch_execz .LBB88_686
; %bb.685:
	v_ashrrev_i32_e32 v99, 31, v98
	s_delay_alu instid0(VALU_DEP_1)
	v_lshl_add_u64 v[104:105], v[98:99], 2, v[4:5]
	s_clause 0x1
	global_load_b32 v99, v[104:105], off
	global_load_b32 v103, v[4:5], off offset:128
	s_wait_loadcnt 0x1
	global_store_b32 v[4:5], v99, off offset:128
	s_wait_loadcnt 0x0
	global_store_b32 v[104:105], v103, off
.LBB88_686:
	s_wait_xcnt 0x0
	s_or_b32 exec_lo, exec_lo, s12
	v_dual_mov_b32 v104, v98 :: v_dual_mov_b32 v103, v98
.LBB88_687:
	s_or_b32 exec_lo, exec_lo, s1
.LBB88_688:
	s_and_not1_saveexec_b32 s0, s0
	s_cbranch_execz .LBB88_690
; %bb.689:
	v_mov_b32_e32 v104, 32
	ds_store_2addr_b64 v100, v[22:23], v[28:29] offset0:33 offset1:34
	ds_store_2addr_b64 v100, v[20:21], v[14:15] offset0:35 offset1:36
	;; [unrolled: 1-line block ×6, first 2 shown]
.LBB88_690:
	s_or_b32 exec_lo, exec_lo, s0
	s_delay_alu instid0(SALU_CYCLE_1)
	s_mov_b32 s0, exec_lo
	s_wait_storecnt_dscnt 0x0
	s_barrier_signal -1
	s_barrier_wait -1
	v_cmpx_lt_i32_e32 32, v104
	s_cbranch_execz .LBB88_692
; %bb.691:
	v_pk_mul_f32 v[98:99], v[96:97], v[30:31] op_sel:[1,1] op_sel_hi:[0,1]
	s_delay_alu instid0(VALU_DEP_1)
	v_pk_fma_f32 v[106:107], v[96:97], v[30:31], v[98:99] op_sel_hi:[1,0,1] neg_lo:[0,0,1] neg_hi:[0,0,1]
	v_pk_fma_f32 v[108:109], v[96:97], v[30:31], v[98:99] op_sel_hi:[1,0,1]
	ds_load_2addr_b64 v[96:99], v100 offset0:33 offset1:34
	v_dual_mov_b32 v30, v106 :: v_dual_mov_b32 v31, v109
	s_wait_dscnt 0x0
	v_pk_mul_f32 v[110:111], v[96:97], v[108:109] op_sel:[0,1]
	s_delay_alu instid0(VALU_DEP_1) | instskip(SKIP_1) | instid1(VALU_DEP_1)
	v_pk_fma_f32 v[112:113], v[96:97], v[106:107], v[110:111] op_sel:[0,0,1] op_sel_hi:[1,1,0] neg_lo:[0,0,1] neg_hi:[0,0,1]
	v_pk_fma_f32 v[96:97], v[96:97], v[106:107], v[110:111] op_sel:[0,0,1] op_sel_hi:[1,0,0]
	v_mov_b32_e32 v113, v97
	v_pk_mul_f32 v[96:97], v[98:99], v[108:109] op_sel:[0,1]
	s_delay_alu instid0(VALU_DEP_1) | instskip(SKIP_1) | instid1(VALU_DEP_1)
	v_pk_fma_f32 v[110:111], v[98:99], v[106:107], v[96:97] op_sel:[0,0,1] op_sel_hi:[1,1,0] neg_lo:[0,0,1] neg_hi:[0,0,1]
	v_pk_fma_f32 v[96:97], v[98:99], v[106:107], v[96:97] op_sel:[0,0,1] op_sel_hi:[1,0,0]
	v_mov_b32_e32 v111, v97
	ds_load_2addr_b64 v[96:99], v100 offset0:35 offset1:36
	v_pk_add_f32 v[22:23], v[22:23], v[112:113] neg_lo:[0,1] neg_hi:[0,1]
	v_pk_add_f32 v[28:29], v[28:29], v[110:111] neg_lo:[0,1] neg_hi:[0,1]
	s_wait_dscnt 0x0
	v_pk_mul_f32 v[110:111], v[96:97], v[108:109] op_sel:[0,1]
	s_delay_alu instid0(VALU_DEP_1) | instskip(SKIP_2) | instid1(VALU_DEP_2)
	v_pk_fma_f32 v[112:113], v[96:97], v[106:107], v[110:111] op_sel:[0,0,1] op_sel_hi:[1,1,0] neg_lo:[0,0,1] neg_hi:[0,0,1]
	v_pk_fma_f32 v[96:97], v[96:97], v[106:107], v[110:111] op_sel:[0,0,1] op_sel_hi:[1,0,0]
	v_dual_mul_f32 v110, v99, v109 :: v_dual_mov_b32 v96, v99
	v_dual_mov_b32 v113, v97 :: v_dual_mov_b32 v97, v98
	s_delay_alu instid0(VALU_DEP_2) | instskip(SKIP_1) | instid1(VALU_DEP_3)
	v_pk_fma_f32 v[110:111], v[98:99], v[30:31], v[110:111] op_sel_hi:[1,1,0] neg_lo:[0,0,1] neg_hi:[0,0,1]
	v_mul_f32_e32 v98, v99, v106
	v_pk_add_f32 v[20:21], v[20:21], v[112:113] neg_lo:[0,1] neg_hi:[0,1]
	s_delay_alu instid0(VALU_DEP_2) | instskip(NEXT) | instid1(VALU_DEP_1)
	v_pk_fma_f32 v[96:97], v[96:97], v[30:31], v[98:99] op_sel_hi:[1,1,0]
	v_mov_b32_e32 v111, v97
	ds_load_2addr_b64 v[96:99], v100 offset0:37 offset1:38
	v_pk_add_f32 v[14:15], v[14:15], v[110:111] neg_lo:[0,1] neg_hi:[0,1]
	s_wait_dscnt 0x0
	v_pk_mul_f32 v[110:111], v[96:97], v[108:109] op_sel:[0,1]
	s_delay_alu instid0(VALU_DEP_1) | instskip(SKIP_1) | instid1(VALU_DEP_1)
	v_pk_fma_f32 v[112:113], v[96:97], v[106:107], v[110:111] op_sel:[0,0,1] op_sel_hi:[1,1,0] neg_lo:[0,0,1] neg_hi:[0,0,1]
	v_pk_fma_f32 v[96:97], v[96:97], v[106:107], v[110:111] op_sel:[0,0,1] op_sel_hi:[1,0,0]
	v_mov_b32_e32 v113, v97
	v_pk_mul_f32 v[96:97], v[98:99], v[108:109] op_sel:[0,1]
	s_delay_alu instid0(VALU_DEP_1) | instskip(SKIP_1) | instid1(VALU_DEP_1)
	v_pk_fma_f32 v[110:111], v[98:99], v[106:107], v[96:97] op_sel:[0,0,1] op_sel_hi:[1,1,0] neg_lo:[0,0,1] neg_hi:[0,0,1]
	v_pk_fma_f32 v[96:97], v[98:99], v[106:107], v[96:97] op_sel:[0,0,1] op_sel_hi:[1,0,0]
	v_mov_b32_e32 v111, v97
	ds_load_2addr_b64 v[96:99], v100 offset0:39 offset1:40
	v_pk_add_f32 v[10:11], v[10:11], v[112:113] neg_lo:[0,1] neg_hi:[0,1]
	v_pk_add_f32 v[12:13], v[12:13], v[110:111] neg_lo:[0,1] neg_hi:[0,1]
	s_wait_dscnt 0x0
	v_pk_mul_f32 v[110:111], v[96:97], v[108:109] op_sel:[0,1]
	s_delay_alu instid0(VALU_DEP_1) | instskip(SKIP_1) | instid1(VALU_DEP_1)
	v_pk_fma_f32 v[112:113], v[96:97], v[106:107], v[110:111] op_sel:[0,0,1] op_sel_hi:[1,1,0] neg_lo:[0,0,1] neg_hi:[0,0,1]
	v_pk_fma_f32 v[96:97], v[96:97], v[106:107], v[110:111] op_sel:[0,0,1] op_sel_hi:[1,0,0]
	v_mov_b32_e32 v113, v97
	v_pk_mul_f32 v[96:97], v[98:99], v[108:109] op_sel:[0,1]
	s_delay_alu instid0(VALU_DEP_1) | instskip(SKIP_1) | instid1(VALU_DEP_1)
	v_pk_fma_f32 v[110:111], v[98:99], v[106:107], v[96:97] op_sel:[0,0,1] op_sel_hi:[1,1,0] neg_lo:[0,0,1] neg_hi:[0,0,1]
	v_pk_fma_f32 v[96:97], v[98:99], v[106:107], v[96:97] op_sel:[0,0,1] op_sel_hi:[1,0,0]
	v_mov_b32_e32 v111, v97
	ds_load_2addr_b64 v[96:99], v100 offset0:41 offset1:42
	v_pk_add_f32 v[8:9], v[8:9], v[112:113] neg_lo:[0,1] neg_hi:[0,1]
	v_pk_add_f32 v[6:7], v[6:7], v[110:111] neg_lo:[0,1] neg_hi:[0,1]
	s_wait_dscnt 0x0
	v_dual_mul_f32 v110, v97, v109 :: v_dual_mul_f32 v112, v97, v106
	s_delay_alu instid0(VALU_DEP_1) | instskip(NEXT) | instid1(VALU_DEP_2)
	v_pk_fma_f32 v[110:111], v[96:97], v[30:31], v[110:111] op_sel_hi:[1,1,0] neg_lo:[0,0,1] neg_hi:[0,0,1]
	v_pk_fma_f32 v[96:97], v[96:97], v[30:31], v[112:113] op_sel:[1,0,0] op_sel_hi:[0,1,0]
	s_delay_alu instid0(VALU_DEP_1) | instskip(SKIP_1) | instid1(VALU_DEP_2)
	v_mov_b32_e32 v111, v97
	v_pk_mul_f32 v[96:97], v[98:99], v[108:109] op_sel:[0,1]
	v_pk_add_f32 v[36:37], v[36:37], v[110:111] neg_lo:[0,1] neg_hi:[0,1]
	s_delay_alu instid0(VALU_DEP_2) | instskip(SKIP_1) | instid1(VALU_DEP_1)
	v_pk_fma_f32 v[110:111], v[98:99], v[106:107], v[96:97] op_sel:[0,0,1] op_sel_hi:[1,1,0] neg_lo:[0,0,1] neg_hi:[0,0,1]
	v_pk_fma_f32 v[96:97], v[98:99], v[106:107], v[96:97] op_sel:[0,0,1] op_sel_hi:[1,0,0]
	v_mov_b32_e32 v111, v97
	ds_load_2addr_b64 v[96:99], v100 offset0:43 offset1:44
	v_pk_add_f32 v[18:19], v[18:19], v[110:111] neg_lo:[0,1] neg_hi:[0,1]
	s_wait_dscnt 0x0
	v_pk_mul_f32 v[110:111], v[96:97], v[108:109] op_sel:[0,1]
	v_mul_f32_e32 v108, v99, v109
	s_delay_alu instid0(VALU_DEP_2) | instskip(SKIP_2) | instid1(VALU_DEP_4)
	v_pk_fma_f32 v[112:113], v[96:97], v[106:107], v[110:111] op_sel:[0,0,1] op_sel_hi:[1,1,0] neg_lo:[0,0,1] neg_hi:[0,0,1]
	v_pk_fma_f32 v[96:97], v[96:97], v[106:107], v[110:111] op_sel:[0,0,1] op_sel_hi:[1,0,0]
	v_mov_b32_e32 v96, v99
	v_pk_fma_f32 v[108:109], v[98:99], v[30:31], v[108:109] op_sel_hi:[1,1,0] neg_lo:[0,0,1] neg_hi:[0,0,1]
	s_delay_alu instid0(VALU_DEP_3) | instskip(SKIP_1) | instid1(VALU_DEP_2)
	v_dual_mov_b32 v113, v97 :: v_dual_mov_b32 v97, v98
	v_mul_f32_e32 v98, v99, v106
	v_pk_add_f32 v[16:17], v[16:17], v[112:113] neg_lo:[0,1] neg_hi:[0,1]
	s_delay_alu instid0(VALU_DEP_2) | instskip(NEXT) | instid1(VALU_DEP_1)
	v_pk_fma_f32 v[96:97], v[96:97], v[30:31], v[98:99] op_sel_hi:[1,1,0]
	v_mov_b32_e32 v109, v97
	s_delay_alu instid0(VALU_DEP_1)
	v_pk_add_f32 v[94:95], v[94:95], v[108:109] neg_lo:[0,1] neg_hi:[0,1]
.LBB88_692:
	s_or_b32 exec_lo, exec_lo, s0
	v_lshl_add_u32 v96, v104, 3, v100
	s_barrier_signal -1
	s_barrier_wait -1
	ds_store_b64 v96, v[22:23]
	s_wait_dscnt 0x0
	s_barrier_signal -1
	s_barrier_wait -1
	ds_load_b64 v[96:97], v100 offset:264
	v_mov_b32_e32 v98, 33
	s_cmp_lt_i32 s18, 35
	s_cbranch_scc1 .LBB88_695
; %bb.693:
	v_add3_u32 v99, v101, 0, 0x110
	v_mov_b32_e32 v98, 33
	s_mov_b32 s0, 34
.LBB88_694:                             ; =>This Inner Loop Header: Depth=1
	ds_load_b64 v[106:107], v99
	s_wait_dscnt 0x1
	v_cmp_gt_f32_e32 vcc_lo, 0, v96
	v_cndmask_b32_e64 v108, v96, -v96, vcc_lo
	v_cmp_gt_f32_e32 vcc_lo, 0, v97
	v_cndmask_b32_e64 v110, v97, -v97, vcc_lo
	s_wait_dscnt 0x0
	v_cmp_gt_f32_e32 vcc_lo, 0, v106
	v_cndmask_b32_e64 v109, v106, -v106, vcc_lo
	v_cmp_gt_f32_e32 vcc_lo, 0, v107
	v_cndmask_b32_e64 v111, v107, -v107, vcc_lo
	s_delay_alu instid0(VALU_DEP_1) | instskip(NEXT) | instid1(VALU_DEP_1)
	v_pk_add_f32 v[108:109], v[108:109], v[110:111]
	v_cmp_lt_f32_e32 vcc_lo, v108, v109
	v_dual_cndmask_b32 v96, v96, v106 :: v_dual_add_nc_u32 v99, 8, v99
	v_cndmask_b32_e32 v97, v97, v107, vcc_lo
	v_cndmask_b32_e64 v98, v98, s0, vcc_lo
	s_add_co_i32 s0, s0, 1
	s_delay_alu instid0(SALU_CYCLE_1)
	s_cmp_lg_u32 s18, s0
	s_cbranch_scc1 .LBB88_694
.LBB88_695:
	s_wait_dscnt 0x0
	v_cmp_eq_f32_e32 vcc_lo, 0, v96
	v_cmp_eq_f32_e64 s0, 0, v97
	s_and_b32 s0, vcc_lo, s0
	s_delay_alu instid0(SALU_CYCLE_1) | instskip(NEXT) | instid1(SALU_CYCLE_1)
	s_and_saveexec_b32 s1, s0
	s_xor_b32 s0, exec_lo, s1
; %bb.696:
	v_cmp_ne_u32_e32 vcc_lo, 0, v102
	v_cndmask_b32_e32 v102, 34, v102, vcc_lo
; %bb.697:
	s_and_not1_saveexec_b32 s0, s0
	s_cbranch_execz .LBB88_703
; %bb.698:
	v_cmp_ngt_f32_e64 s1, |v96|, |v97|
	s_and_saveexec_b32 s12, s1
	s_delay_alu instid0(SALU_CYCLE_1)
	s_xor_b32 s1, exec_lo, s12
	s_cbranch_execz .LBB88_700
; %bb.699:
	v_div_scale_f32 v99, null, v97, v97, v96
	v_div_scale_f32 v107, vcc_lo, v96, v97, v96
	s_delay_alu instid0(VALU_DEP_2) | instskip(SKIP_1) | instid1(TRANS32_DEP_1)
	v_rcp_f32_e32 v105, v99
	v_nop
	v_fma_f32 v106, -v99, v105, 1.0
	s_delay_alu instid0(VALU_DEP_1) | instskip(NEXT) | instid1(VALU_DEP_1)
	v_fmac_f32_e32 v105, v106, v105
	v_mul_f32_e32 v106, v107, v105
	s_delay_alu instid0(VALU_DEP_1) | instskip(NEXT) | instid1(VALU_DEP_1)
	v_fma_f32 v108, -v99, v106, v107
	v_fmac_f32_e32 v106, v108, v105
	s_delay_alu instid0(VALU_DEP_1) | instskip(NEXT) | instid1(VALU_DEP_1)
	v_fma_f32 v99, -v99, v106, v107
	v_div_fmas_f32 v99, v99, v105, v106
	s_delay_alu instid0(VALU_DEP_1) | instskip(NEXT) | instid1(VALU_DEP_1)
	v_div_fixup_f32 v99, v99, v97, v96
	v_fmac_f32_e32 v97, v96, v99
	s_delay_alu instid0(VALU_DEP_1) | instskip(SKIP_1) | instid1(VALU_DEP_2)
	v_div_scale_f32 v96, null, v97, v97, 1.0
	v_div_scale_f32 v107, vcc_lo, 1.0, v97, 1.0
	v_rcp_f32_e32 v105, v96
	v_nop
	s_delay_alu instid0(TRANS32_DEP_1) | instskip(NEXT) | instid1(VALU_DEP_1)
	v_fma_f32 v106, -v96, v105, 1.0
	v_fmac_f32_e32 v105, v106, v105
	s_delay_alu instid0(VALU_DEP_1) | instskip(NEXT) | instid1(VALU_DEP_1)
	v_mul_f32_e32 v106, v107, v105
	v_fma_f32 v108, -v96, v106, v107
	s_delay_alu instid0(VALU_DEP_1) | instskip(NEXT) | instid1(VALU_DEP_1)
	v_fmac_f32_e32 v106, v108, v105
	v_fma_f32 v96, -v96, v106, v107
	s_delay_alu instid0(VALU_DEP_1) | instskip(NEXT) | instid1(VALU_DEP_1)
	v_div_fmas_f32 v96, v96, v105, v106
	v_div_fixup_f32 v97, v96, v97, 1.0
	s_delay_alu instid0(VALU_DEP_1)
	v_mul_f32_e32 v96, v99, v97
	v_xor_b32_e32 v97, 0x80000000, v97
.LBB88_700:
	s_and_not1_saveexec_b32 s1, s1
	s_cbranch_execz .LBB88_702
; %bb.701:
	s_delay_alu instid0(VALU_DEP_1) | instskip(SKIP_1) | instid1(VALU_DEP_2)
	v_div_scale_f32 v99, null, v96, v96, v97
	v_div_scale_f32 v107, vcc_lo, v97, v96, v97
	v_rcp_f32_e32 v105, v99
	v_nop
	s_delay_alu instid0(TRANS32_DEP_1) | instskip(NEXT) | instid1(VALU_DEP_1)
	v_fma_f32 v106, -v99, v105, 1.0
	v_fmac_f32_e32 v105, v106, v105
	s_delay_alu instid0(VALU_DEP_1) | instskip(NEXT) | instid1(VALU_DEP_1)
	v_mul_f32_e32 v106, v107, v105
	v_fma_f32 v108, -v99, v106, v107
	s_delay_alu instid0(VALU_DEP_1) | instskip(NEXT) | instid1(VALU_DEP_1)
	v_fmac_f32_e32 v106, v108, v105
	v_fma_f32 v99, -v99, v106, v107
	s_delay_alu instid0(VALU_DEP_1) | instskip(NEXT) | instid1(VALU_DEP_1)
	v_div_fmas_f32 v99, v99, v105, v106
	v_div_fixup_f32 v99, v99, v96, v97
	s_delay_alu instid0(VALU_DEP_1) | instskip(NEXT) | instid1(VALU_DEP_1)
	v_fmac_f32_e32 v96, v97, v99
	v_div_scale_f32 v97, null, v96, v96, 1.0
	s_delay_alu instid0(VALU_DEP_1) | instskip(SKIP_1) | instid1(TRANS32_DEP_1)
	v_rcp_f32_e32 v105, v97
	v_nop
	v_fma_f32 v106, -v97, v105, 1.0
	s_delay_alu instid0(VALU_DEP_1) | instskip(SKIP_1) | instid1(VALU_DEP_1)
	v_fmac_f32_e32 v105, v106, v105
	v_div_scale_f32 v106, vcc_lo, 1.0, v96, 1.0
	v_mul_f32_e32 v107, v106, v105
	s_delay_alu instid0(VALU_DEP_1) | instskip(NEXT) | instid1(VALU_DEP_1)
	v_fma_f32 v108, -v97, v107, v106
	v_fmac_f32_e32 v107, v108, v105
	s_delay_alu instid0(VALU_DEP_1) | instskip(NEXT) | instid1(VALU_DEP_1)
	v_fma_f32 v97, -v97, v107, v106
	v_div_fmas_f32 v97, v97, v105, v107
	s_delay_alu instid0(VALU_DEP_1) | instskip(NEXT) | instid1(VALU_DEP_1)
	v_div_fixup_f32 v96, v97, v96, 1.0
	v_mul_f32_e64 v97, v99, -v96
.LBB88_702:
	s_or_b32 exec_lo, exec_lo, s1
.LBB88_703:
	s_delay_alu instid0(SALU_CYCLE_1) | instskip(NEXT) | instid1(SALU_CYCLE_1)
	s_or_b32 exec_lo, exec_lo, s0
	s_mov_b32 s0, exec_lo
	v_cmpx_ne_u32_e64 v104, v98
	s_xor_b32 s0, exec_lo, s0
	s_cbranch_execz .LBB88_709
; %bb.704:
	s_mov_b32 s1, exec_lo
	v_cmpx_eq_u32_e32 33, v104
	s_cbranch_execz .LBB88_708
; %bb.705:
	v_cmp_ne_u32_e32 vcc_lo, 33, v98
	s_xor_b32 s12, s16, -1
	s_delay_alu instid0(SALU_CYCLE_1) | instskip(NEXT) | instid1(SALU_CYCLE_1)
	s_and_b32 s13, s12, vcc_lo
	s_and_saveexec_b32 s12, s13
	s_cbranch_execz .LBB88_707
; %bb.706:
	v_ashrrev_i32_e32 v99, 31, v98
	s_delay_alu instid0(VALU_DEP_1)
	v_lshl_add_u64 v[104:105], v[98:99], 2, v[4:5]
	s_clause 0x1
	global_load_b32 v99, v[104:105], off
	global_load_b32 v103, v[4:5], off offset:132
	s_wait_loadcnt 0x1
	global_store_b32 v[4:5], v99, off offset:132
	s_wait_loadcnt 0x0
	global_store_b32 v[104:105], v103, off
.LBB88_707:
	s_wait_xcnt 0x0
	s_or_b32 exec_lo, exec_lo, s12
	v_dual_mov_b32 v104, v98 :: v_dual_mov_b32 v103, v98
.LBB88_708:
	s_or_b32 exec_lo, exec_lo, s1
.LBB88_709:
	s_and_not1_saveexec_b32 s0, s0
	s_cbranch_execz .LBB88_711
; %bb.710:
	v_dual_mov_b32 v98, v28 :: v_dual_mov_b32 v99, v29
	v_dual_mov_b32 v104, v20 :: v_dual_mov_b32 v105, v21
	;; [unrolled: 1-line block ×6, first 2 shown]
	ds_store_2addr_b64 v100, v[98:99], v[104:105] offset0:34 offset1:35
	ds_store_2addr_b64 v100, v[106:107], v[108:109] offset0:36 offset1:37
	v_dual_mov_b32 v104, 33 :: v_dual_mov_b32 v114, v6
	v_dual_mov_b32 v115, v7 :: v_dual_mov_b32 v116, v36
	;; [unrolled: 1-line block ×4, first 2 shown]
	v_mov_b32_e32 v121, v17
	ds_store_2addr_b64 v100, v[110:111], v[112:113] offset0:38 offset1:39
	ds_store_2addr_b64 v100, v[114:115], v[116:117] offset0:40 offset1:41
	;; [unrolled: 1-line block ×3, first 2 shown]
	ds_store_b64 v100, v[94:95] offset:352
.LBB88_711:
	s_or_b32 exec_lo, exec_lo, s0
	s_delay_alu instid0(SALU_CYCLE_1)
	s_mov_b32 s0, exec_lo
	s_wait_storecnt_dscnt 0x0
	s_barrier_signal -1
	s_barrier_wait -1
	v_cmpx_lt_i32_e32 33, v104
	s_cbranch_execz .LBB88_713
; %bb.712:
	v_pk_mul_f32 v[98:99], v[96:97], v[22:23] op_sel:[1,1] op_sel_hi:[0,1]
	s_delay_alu instid0(VALU_DEP_1)
	v_pk_fma_f32 v[106:107], v[96:97], v[22:23], v[98:99] op_sel_hi:[1,0,1] neg_lo:[0,0,1] neg_hi:[0,0,1]
	v_pk_fma_f32 v[108:109], v[96:97], v[22:23], v[98:99] op_sel_hi:[1,0,1]
	ds_load_2addr_b64 v[96:99], v100 offset0:34 offset1:35
	v_dual_mov_b32 v22, v106 :: v_dual_mov_b32 v23, v109
	s_wait_dscnt 0x0
	v_pk_mul_f32 v[110:111], v[96:97], v[108:109] op_sel:[0,1]
	s_delay_alu instid0(VALU_DEP_1) | instskip(SKIP_1) | instid1(VALU_DEP_1)
	v_pk_fma_f32 v[112:113], v[96:97], v[106:107], v[110:111] op_sel:[0,0,1] op_sel_hi:[1,1,0] neg_lo:[0,0,1] neg_hi:[0,0,1]
	v_pk_fma_f32 v[96:97], v[96:97], v[106:107], v[110:111] op_sel:[0,0,1] op_sel_hi:[1,0,0]
	v_mov_b32_e32 v113, v97
	v_pk_mul_f32 v[96:97], v[98:99], v[108:109] op_sel:[0,1]
	s_delay_alu instid0(VALU_DEP_1) | instskip(SKIP_1) | instid1(VALU_DEP_1)
	v_pk_fma_f32 v[110:111], v[98:99], v[106:107], v[96:97] op_sel:[0,0,1] op_sel_hi:[1,1,0] neg_lo:[0,0,1] neg_hi:[0,0,1]
	v_pk_fma_f32 v[96:97], v[98:99], v[106:107], v[96:97] op_sel:[0,0,1] op_sel_hi:[1,0,0]
	v_mov_b32_e32 v111, v97
	ds_load_2addr_b64 v[96:99], v100 offset0:36 offset1:37
	v_pk_add_f32 v[28:29], v[28:29], v[112:113] neg_lo:[0,1] neg_hi:[0,1]
	v_pk_add_f32 v[20:21], v[20:21], v[110:111] neg_lo:[0,1] neg_hi:[0,1]
	s_wait_dscnt 0x0
	v_pk_mul_f32 v[110:111], v[96:97], v[108:109] op_sel:[0,1]
	s_delay_alu instid0(VALU_DEP_1) | instskip(SKIP_2) | instid1(VALU_DEP_2)
	v_pk_fma_f32 v[112:113], v[96:97], v[106:107], v[110:111] op_sel:[0,0,1] op_sel_hi:[1,1,0] neg_lo:[0,0,1] neg_hi:[0,0,1]
	v_pk_fma_f32 v[96:97], v[96:97], v[106:107], v[110:111] op_sel:[0,0,1] op_sel_hi:[1,0,0]
	v_dual_mul_f32 v110, v99, v109 :: v_dual_mov_b32 v96, v99
	v_dual_mov_b32 v113, v97 :: v_dual_mov_b32 v97, v98
	s_delay_alu instid0(VALU_DEP_2) | instskip(SKIP_1) | instid1(VALU_DEP_3)
	v_pk_fma_f32 v[110:111], v[98:99], v[22:23], v[110:111] op_sel_hi:[1,1,0] neg_lo:[0,0,1] neg_hi:[0,0,1]
	v_mul_f32_e32 v98, v99, v106
	v_pk_add_f32 v[14:15], v[14:15], v[112:113] neg_lo:[0,1] neg_hi:[0,1]
	s_delay_alu instid0(VALU_DEP_2) | instskip(NEXT) | instid1(VALU_DEP_1)
	v_pk_fma_f32 v[96:97], v[96:97], v[22:23], v[98:99] op_sel_hi:[1,1,0]
	v_mov_b32_e32 v111, v97
	ds_load_2addr_b64 v[96:99], v100 offset0:38 offset1:39
	v_pk_add_f32 v[10:11], v[10:11], v[110:111] neg_lo:[0,1] neg_hi:[0,1]
	s_wait_dscnt 0x0
	v_pk_mul_f32 v[110:111], v[96:97], v[108:109] op_sel:[0,1]
	s_delay_alu instid0(VALU_DEP_1) | instskip(SKIP_1) | instid1(VALU_DEP_1)
	v_pk_fma_f32 v[112:113], v[96:97], v[106:107], v[110:111] op_sel:[0,0,1] op_sel_hi:[1,1,0] neg_lo:[0,0,1] neg_hi:[0,0,1]
	v_pk_fma_f32 v[96:97], v[96:97], v[106:107], v[110:111] op_sel:[0,0,1] op_sel_hi:[1,0,0]
	v_mov_b32_e32 v113, v97
	v_pk_mul_f32 v[96:97], v[98:99], v[108:109] op_sel:[0,1]
	s_delay_alu instid0(VALU_DEP_1) | instskip(SKIP_1) | instid1(VALU_DEP_1)
	v_pk_fma_f32 v[110:111], v[98:99], v[106:107], v[96:97] op_sel:[0,0,1] op_sel_hi:[1,1,0] neg_lo:[0,0,1] neg_hi:[0,0,1]
	v_pk_fma_f32 v[96:97], v[98:99], v[106:107], v[96:97] op_sel:[0,0,1] op_sel_hi:[1,0,0]
	v_mov_b32_e32 v111, v97
	ds_load_2addr_b64 v[96:99], v100 offset0:40 offset1:41
	v_pk_add_f32 v[12:13], v[12:13], v[112:113] neg_lo:[0,1] neg_hi:[0,1]
	v_pk_add_f32 v[8:9], v[8:9], v[110:111] neg_lo:[0,1] neg_hi:[0,1]
	s_wait_dscnt 0x0
	v_pk_mul_f32 v[110:111], v[96:97], v[108:109] op_sel:[0,1]
	s_delay_alu instid0(VALU_DEP_1) | instskip(SKIP_1) | instid1(VALU_DEP_1)
	v_pk_fma_f32 v[112:113], v[96:97], v[106:107], v[110:111] op_sel:[0,0,1] op_sel_hi:[1,1,0] neg_lo:[0,0,1] neg_hi:[0,0,1]
	v_pk_fma_f32 v[96:97], v[96:97], v[106:107], v[110:111] op_sel:[0,0,1] op_sel_hi:[1,0,0]
	v_mov_b32_e32 v113, v97
	v_pk_mul_f32 v[96:97], v[98:99], v[108:109] op_sel:[0,1]
	s_delay_alu instid0(VALU_DEP_1) | instskip(SKIP_1) | instid1(VALU_DEP_1)
	v_pk_fma_f32 v[110:111], v[98:99], v[106:107], v[96:97] op_sel:[0,0,1] op_sel_hi:[1,1,0] neg_lo:[0,0,1] neg_hi:[0,0,1]
	v_pk_fma_f32 v[96:97], v[98:99], v[106:107], v[96:97] op_sel:[0,0,1] op_sel_hi:[1,0,0]
	v_mov_b32_e32 v111, v97
	ds_load_2addr_b64 v[96:99], v100 offset0:42 offset1:43
	v_pk_add_f32 v[6:7], v[6:7], v[112:113] neg_lo:[0,1] neg_hi:[0,1]
	v_pk_add_f32 v[36:37], v[36:37], v[110:111] neg_lo:[0,1] neg_hi:[0,1]
	s_wait_dscnt 0x0
	v_dual_mul_f32 v110, v97, v109 :: v_dual_mul_f32 v112, v97, v106
	s_delay_alu instid0(VALU_DEP_1) | instskip(NEXT) | instid1(VALU_DEP_2)
	v_pk_fma_f32 v[110:111], v[96:97], v[22:23], v[110:111] op_sel_hi:[1,1,0] neg_lo:[0,0,1] neg_hi:[0,0,1]
	v_pk_fma_f32 v[96:97], v[96:97], v[22:23], v[112:113] op_sel:[1,0,0] op_sel_hi:[0,1,0]
	s_delay_alu instid0(VALU_DEP_1) | instskip(SKIP_1) | instid1(VALU_DEP_2)
	v_mov_b32_e32 v111, v97
	v_pk_mul_f32 v[96:97], v[98:99], v[108:109] op_sel:[0,1]
	v_pk_add_f32 v[18:19], v[18:19], v[110:111] neg_lo:[0,1] neg_hi:[0,1]
	s_delay_alu instid0(VALU_DEP_2) | instskip(SKIP_1) | instid1(VALU_DEP_1)
	v_pk_fma_f32 v[110:111], v[98:99], v[106:107], v[96:97] op_sel:[0,0,1] op_sel_hi:[1,1,0] neg_lo:[0,0,1] neg_hi:[0,0,1]
	v_pk_fma_f32 v[96:97], v[98:99], v[106:107], v[96:97] op_sel:[0,0,1] op_sel_hi:[1,0,0]
	v_mov_b32_e32 v111, v97
	ds_load_b64 v[96:97], v100 offset:352
	v_pk_add_f32 v[16:17], v[16:17], v[110:111] neg_lo:[0,1] neg_hi:[0,1]
	s_wait_dscnt 0x0
	v_pk_mul_f32 v[98:99], v[96:97], v[108:109] op_sel:[0,1]
	s_delay_alu instid0(VALU_DEP_1) | instskip(SKIP_1) | instid1(VALU_DEP_1)
	v_pk_fma_f32 v[108:109], v[96:97], v[106:107], v[98:99] op_sel:[0,0,1] op_sel_hi:[1,1,0] neg_lo:[0,0,1] neg_hi:[0,0,1]
	v_pk_fma_f32 v[96:97], v[96:97], v[106:107], v[98:99] op_sel:[0,0,1] op_sel_hi:[1,0,0]
	v_mov_b32_e32 v109, v97
	s_delay_alu instid0(VALU_DEP_1)
	v_pk_add_f32 v[94:95], v[94:95], v[108:109] neg_lo:[0,1] neg_hi:[0,1]
.LBB88_713:
	s_or_b32 exec_lo, exec_lo, s0
	v_lshl_add_u32 v96, v104, 3, v100
	s_barrier_signal -1
	s_barrier_wait -1
	ds_store_b64 v96, v[28:29]
	s_wait_dscnt 0x0
	s_barrier_signal -1
	s_barrier_wait -1
	ds_load_b64 v[96:97], v100 offset:272
	v_mov_b32_e32 v98, 34
	s_cmp_lt_i32 s18, 36
	s_cbranch_scc1 .LBB88_716
; %bb.714:
	v_add3_u32 v99, v101, 0, 0x118
	v_mov_b32_e32 v98, 34
	s_mov_b32 s0, 35
.LBB88_715:                             ; =>This Inner Loop Header: Depth=1
	ds_load_b64 v[106:107], v99
	s_wait_dscnt 0x1
	v_cmp_gt_f32_e32 vcc_lo, 0, v96
	v_cndmask_b32_e64 v108, v96, -v96, vcc_lo
	v_cmp_gt_f32_e32 vcc_lo, 0, v97
	v_cndmask_b32_e64 v110, v97, -v97, vcc_lo
	s_wait_dscnt 0x0
	v_cmp_gt_f32_e32 vcc_lo, 0, v106
	v_cndmask_b32_e64 v109, v106, -v106, vcc_lo
	v_cmp_gt_f32_e32 vcc_lo, 0, v107
	v_cndmask_b32_e64 v111, v107, -v107, vcc_lo
	s_delay_alu instid0(VALU_DEP_1) | instskip(NEXT) | instid1(VALU_DEP_1)
	v_pk_add_f32 v[108:109], v[108:109], v[110:111]
	v_cmp_lt_f32_e32 vcc_lo, v108, v109
	v_dual_cndmask_b32 v96, v96, v106 :: v_dual_add_nc_u32 v99, 8, v99
	v_cndmask_b32_e32 v97, v97, v107, vcc_lo
	v_cndmask_b32_e64 v98, v98, s0, vcc_lo
	s_add_co_i32 s0, s0, 1
	s_delay_alu instid0(SALU_CYCLE_1)
	s_cmp_lg_u32 s18, s0
	s_cbranch_scc1 .LBB88_715
.LBB88_716:
	s_wait_dscnt 0x0
	v_cmp_eq_f32_e32 vcc_lo, 0, v96
	v_cmp_eq_f32_e64 s0, 0, v97
	s_and_b32 s0, vcc_lo, s0
	s_delay_alu instid0(SALU_CYCLE_1) | instskip(NEXT) | instid1(SALU_CYCLE_1)
	s_and_saveexec_b32 s1, s0
	s_xor_b32 s0, exec_lo, s1
; %bb.717:
	v_cmp_ne_u32_e32 vcc_lo, 0, v102
	v_cndmask_b32_e32 v102, 35, v102, vcc_lo
; %bb.718:
	s_and_not1_saveexec_b32 s0, s0
	s_cbranch_execz .LBB88_724
; %bb.719:
	v_cmp_ngt_f32_e64 s1, |v96|, |v97|
	s_and_saveexec_b32 s12, s1
	s_delay_alu instid0(SALU_CYCLE_1)
	s_xor_b32 s1, exec_lo, s12
	s_cbranch_execz .LBB88_721
; %bb.720:
	v_div_scale_f32 v99, null, v97, v97, v96
	v_div_scale_f32 v107, vcc_lo, v96, v97, v96
	s_delay_alu instid0(VALU_DEP_2) | instskip(SKIP_1) | instid1(TRANS32_DEP_1)
	v_rcp_f32_e32 v105, v99
	v_nop
	v_fma_f32 v106, -v99, v105, 1.0
	s_delay_alu instid0(VALU_DEP_1) | instskip(NEXT) | instid1(VALU_DEP_1)
	v_fmac_f32_e32 v105, v106, v105
	v_mul_f32_e32 v106, v107, v105
	s_delay_alu instid0(VALU_DEP_1) | instskip(NEXT) | instid1(VALU_DEP_1)
	v_fma_f32 v108, -v99, v106, v107
	v_fmac_f32_e32 v106, v108, v105
	s_delay_alu instid0(VALU_DEP_1) | instskip(NEXT) | instid1(VALU_DEP_1)
	v_fma_f32 v99, -v99, v106, v107
	v_div_fmas_f32 v99, v99, v105, v106
	s_delay_alu instid0(VALU_DEP_1) | instskip(NEXT) | instid1(VALU_DEP_1)
	v_div_fixup_f32 v99, v99, v97, v96
	v_fmac_f32_e32 v97, v96, v99
	s_delay_alu instid0(VALU_DEP_1) | instskip(SKIP_1) | instid1(VALU_DEP_2)
	v_div_scale_f32 v96, null, v97, v97, 1.0
	v_div_scale_f32 v107, vcc_lo, 1.0, v97, 1.0
	v_rcp_f32_e32 v105, v96
	v_nop
	s_delay_alu instid0(TRANS32_DEP_1) | instskip(NEXT) | instid1(VALU_DEP_1)
	v_fma_f32 v106, -v96, v105, 1.0
	v_fmac_f32_e32 v105, v106, v105
	s_delay_alu instid0(VALU_DEP_1) | instskip(NEXT) | instid1(VALU_DEP_1)
	v_mul_f32_e32 v106, v107, v105
	v_fma_f32 v108, -v96, v106, v107
	s_delay_alu instid0(VALU_DEP_1) | instskip(NEXT) | instid1(VALU_DEP_1)
	v_fmac_f32_e32 v106, v108, v105
	v_fma_f32 v96, -v96, v106, v107
	s_delay_alu instid0(VALU_DEP_1) | instskip(NEXT) | instid1(VALU_DEP_1)
	v_div_fmas_f32 v96, v96, v105, v106
	v_div_fixup_f32 v97, v96, v97, 1.0
	s_delay_alu instid0(VALU_DEP_1)
	v_mul_f32_e32 v96, v99, v97
	v_xor_b32_e32 v97, 0x80000000, v97
.LBB88_721:
	s_and_not1_saveexec_b32 s1, s1
	s_cbranch_execz .LBB88_723
; %bb.722:
	s_delay_alu instid0(VALU_DEP_1) | instskip(SKIP_1) | instid1(VALU_DEP_2)
	v_div_scale_f32 v99, null, v96, v96, v97
	v_div_scale_f32 v107, vcc_lo, v97, v96, v97
	v_rcp_f32_e32 v105, v99
	v_nop
	s_delay_alu instid0(TRANS32_DEP_1) | instskip(NEXT) | instid1(VALU_DEP_1)
	v_fma_f32 v106, -v99, v105, 1.0
	v_fmac_f32_e32 v105, v106, v105
	s_delay_alu instid0(VALU_DEP_1) | instskip(NEXT) | instid1(VALU_DEP_1)
	v_mul_f32_e32 v106, v107, v105
	v_fma_f32 v108, -v99, v106, v107
	s_delay_alu instid0(VALU_DEP_1) | instskip(NEXT) | instid1(VALU_DEP_1)
	v_fmac_f32_e32 v106, v108, v105
	v_fma_f32 v99, -v99, v106, v107
	s_delay_alu instid0(VALU_DEP_1) | instskip(NEXT) | instid1(VALU_DEP_1)
	v_div_fmas_f32 v99, v99, v105, v106
	v_div_fixup_f32 v99, v99, v96, v97
	s_delay_alu instid0(VALU_DEP_1) | instskip(NEXT) | instid1(VALU_DEP_1)
	v_fmac_f32_e32 v96, v97, v99
	v_div_scale_f32 v97, null, v96, v96, 1.0
	s_delay_alu instid0(VALU_DEP_1) | instskip(SKIP_1) | instid1(TRANS32_DEP_1)
	v_rcp_f32_e32 v105, v97
	v_nop
	v_fma_f32 v106, -v97, v105, 1.0
	s_delay_alu instid0(VALU_DEP_1) | instskip(SKIP_1) | instid1(VALU_DEP_1)
	v_fmac_f32_e32 v105, v106, v105
	v_div_scale_f32 v106, vcc_lo, 1.0, v96, 1.0
	v_mul_f32_e32 v107, v106, v105
	s_delay_alu instid0(VALU_DEP_1) | instskip(NEXT) | instid1(VALU_DEP_1)
	v_fma_f32 v108, -v97, v107, v106
	v_fmac_f32_e32 v107, v108, v105
	s_delay_alu instid0(VALU_DEP_1) | instskip(NEXT) | instid1(VALU_DEP_1)
	v_fma_f32 v97, -v97, v107, v106
	v_div_fmas_f32 v97, v97, v105, v107
	s_delay_alu instid0(VALU_DEP_1) | instskip(NEXT) | instid1(VALU_DEP_1)
	v_div_fixup_f32 v96, v97, v96, 1.0
	v_mul_f32_e64 v97, v99, -v96
.LBB88_723:
	s_or_b32 exec_lo, exec_lo, s1
.LBB88_724:
	s_delay_alu instid0(SALU_CYCLE_1) | instskip(NEXT) | instid1(SALU_CYCLE_1)
	s_or_b32 exec_lo, exec_lo, s0
	s_mov_b32 s0, exec_lo
	v_cmpx_ne_u32_e64 v104, v98
	s_xor_b32 s0, exec_lo, s0
	s_cbranch_execz .LBB88_730
; %bb.725:
	s_mov_b32 s1, exec_lo
	v_cmpx_eq_u32_e32 34, v104
	s_cbranch_execz .LBB88_729
; %bb.726:
	v_cmp_ne_u32_e32 vcc_lo, 34, v98
	s_xor_b32 s12, s16, -1
	s_delay_alu instid0(SALU_CYCLE_1) | instskip(NEXT) | instid1(SALU_CYCLE_1)
	s_and_b32 s13, s12, vcc_lo
	s_and_saveexec_b32 s12, s13
	s_cbranch_execz .LBB88_728
; %bb.727:
	v_ashrrev_i32_e32 v99, 31, v98
	s_delay_alu instid0(VALU_DEP_1)
	v_lshl_add_u64 v[104:105], v[98:99], 2, v[4:5]
	s_clause 0x1
	global_load_b32 v99, v[104:105], off
	global_load_b32 v103, v[4:5], off offset:136
	s_wait_loadcnt 0x1
	global_store_b32 v[4:5], v99, off offset:136
	s_wait_loadcnt 0x0
	global_store_b32 v[104:105], v103, off
.LBB88_728:
	s_wait_xcnt 0x0
	s_or_b32 exec_lo, exec_lo, s12
	v_dual_mov_b32 v104, v98 :: v_dual_mov_b32 v103, v98
.LBB88_729:
	s_or_b32 exec_lo, exec_lo, s1
.LBB88_730:
	s_and_not1_saveexec_b32 s0, s0
	s_cbranch_execz .LBB88_732
; %bb.731:
	v_mov_b32_e32 v104, 34
	ds_store_2addr_b64 v100, v[20:21], v[14:15] offset0:35 offset1:36
	ds_store_2addr_b64 v100, v[10:11], v[12:13] offset0:37 offset1:38
	ds_store_2addr_b64 v100, v[8:9], v[6:7] offset0:39 offset1:40
	ds_store_2addr_b64 v100, v[36:37], v[18:19] offset0:41 offset1:42
	ds_store_2addr_b64 v100, v[16:17], v[94:95] offset0:43 offset1:44
.LBB88_732:
	s_or_b32 exec_lo, exec_lo, s0
	s_delay_alu instid0(SALU_CYCLE_1)
	s_mov_b32 s0, exec_lo
	s_wait_storecnt_dscnt 0x0
	s_barrier_signal -1
	s_barrier_wait -1
	v_cmpx_lt_i32_e32 34, v104
	s_cbranch_execz .LBB88_734
; %bb.733:
	v_pk_mul_f32 v[98:99], v[96:97], v[28:29] op_sel:[1,1] op_sel_hi:[0,1]
	s_delay_alu instid0(VALU_DEP_1)
	v_pk_fma_f32 v[106:107], v[96:97], v[28:29], v[98:99] op_sel_hi:[1,0,1] neg_lo:[0,0,1] neg_hi:[0,0,1]
	v_pk_fma_f32 v[108:109], v[96:97], v[28:29], v[98:99] op_sel_hi:[1,0,1]
	ds_load_2addr_b64 v[96:99], v100 offset0:35 offset1:36
	v_dual_mov_b32 v28, v106 :: v_dual_mov_b32 v29, v109
	s_wait_dscnt 0x0
	v_pk_mul_f32 v[110:111], v[96:97], v[108:109] op_sel:[0,1]
	s_delay_alu instid0(VALU_DEP_1) | instskip(SKIP_1) | instid1(VALU_DEP_1)
	v_pk_fma_f32 v[112:113], v[96:97], v[106:107], v[110:111] op_sel:[0,0,1] op_sel_hi:[1,1,0] neg_lo:[0,0,1] neg_hi:[0,0,1]
	v_pk_fma_f32 v[96:97], v[96:97], v[106:107], v[110:111] op_sel:[0,0,1] op_sel_hi:[1,0,0]
	v_mov_b32_e32 v113, v97
	v_pk_mul_f32 v[96:97], v[98:99], v[108:109] op_sel:[0,1]
	s_delay_alu instid0(VALU_DEP_1) | instskip(SKIP_1) | instid1(VALU_DEP_1)
	v_pk_fma_f32 v[110:111], v[98:99], v[106:107], v[96:97] op_sel:[0,0,1] op_sel_hi:[1,1,0] neg_lo:[0,0,1] neg_hi:[0,0,1]
	v_pk_fma_f32 v[96:97], v[98:99], v[106:107], v[96:97] op_sel:[0,0,1] op_sel_hi:[1,0,0]
	v_mov_b32_e32 v111, v97
	ds_load_2addr_b64 v[96:99], v100 offset0:37 offset1:38
	v_pk_add_f32 v[20:21], v[20:21], v[112:113] neg_lo:[0,1] neg_hi:[0,1]
	v_pk_add_f32 v[14:15], v[14:15], v[110:111] neg_lo:[0,1] neg_hi:[0,1]
	s_wait_dscnt 0x0
	v_pk_mul_f32 v[110:111], v[96:97], v[108:109] op_sel:[0,1]
	s_delay_alu instid0(VALU_DEP_1) | instskip(SKIP_2) | instid1(VALU_DEP_2)
	v_pk_fma_f32 v[112:113], v[96:97], v[106:107], v[110:111] op_sel:[0,0,1] op_sel_hi:[1,1,0] neg_lo:[0,0,1] neg_hi:[0,0,1]
	v_pk_fma_f32 v[96:97], v[96:97], v[106:107], v[110:111] op_sel:[0,0,1] op_sel_hi:[1,0,0]
	v_dual_mul_f32 v110, v99, v109 :: v_dual_mov_b32 v96, v99
	v_dual_mov_b32 v113, v97 :: v_dual_mov_b32 v97, v98
	s_delay_alu instid0(VALU_DEP_2) | instskip(SKIP_1) | instid1(VALU_DEP_3)
	v_pk_fma_f32 v[110:111], v[98:99], v[28:29], v[110:111] op_sel_hi:[1,1,0] neg_lo:[0,0,1] neg_hi:[0,0,1]
	v_mul_f32_e32 v98, v99, v106
	v_pk_add_f32 v[10:11], v[10:11], v[112:113] neg_lo:[0,1] neg_hi:[0,1]
	s_delay_alu instid0(VALU_DEP_2) | instskip(NEXT) | instid1(VALU_DEP_1)
	v_pk_fma_f32 v[96:97], v[96:97], v[28:29], v[98:99] op_sel_hi:[1,1,0]
	v_mov_b32_e32 v111, v97
	ds_load_2addr_b64 v[96:99], v100 offset0:39 offset1:40
	v_pk_add_f32 v[12:13], v[12:13], v[110:111] neg_lo:[0,1] neg_hi:[0,1]
	s_wait_dscnt 0x0
	v_pk_mul_f32 v[110:111], v[96:97], v[108:109] op_sel:[0,1]
	s_delay_alu instid0(VALU_DEP_1) | instskip(SKIP_1) | instid1(VALU_DEP_1)
	v_pk_fma_f32 v[112:113], v[96:97], v[106:107], v[110:111] op_sel:[0,0,1] op_sel_hi:[1,1,0] neg_lo:[0,0,1] neg_hi:[0,0,1]
	v_pk_fma_f32 v[96:97], v[96:97], v[106:107], v[110:111] op_sel:[0,0,1] op_sel_hi:[1,0,0]
	v_mov_b32_e32 v113, v97
	v_pk_mul_f32 v[96:97], v[98:99], v[108:109] op_sel:[0,1]
	s_delay_alu instid0(VALU_DEP_1) | instskip(SKIP_1) | instid1(VALU_DEP_1)
	v_pk_fma_f32 v[110:111], v[98:99], v[106:107], v[96:97] op_sel:[0,0,1] op_sel_hi:[1,1,0] neg_lo:[0,0,1] neg_hi:[0,0,1]
	v_pk_fma_f32 v[96:97], v[98:99], v[106:107], v[96:97] op_sel:[0,0,1] op_sel_hi:[1,0,0]
	v_mov_b32_e32 v111, v97
	ds_load_2addr_b64 v[96:99], v100 offset0:41 offset1:42
	v_pk_add_f32 v[8:9], v[8:9], v[112:113] neg_lo:[0,1] neg_hi:[0,1]
	v_pk_add_f32 v[6:7], v[6:7], v[110:111] neg_lo:[0,1] neg_hi:[0,1]
	s_wait_dscnt 0x0
	v_pk_mul_f32 v[110:111], v[96:97], v[108:109] op_sel:[0,1]
	s_delay_alu instid0(VALU_DEP_1) | instskip(SKIP_1) | instid1(VALU_DEP_1)
	v_pk_fma_f32 v[112:113], v[96:97], v[106:107], v[110:111] op_sel:[0,0,1] op_sel_hi:[1,1,0] neg_lo:[0,0,1] neg_hi:[0,0,1]
	v_pk_fma_f32 v[96:97], v[96:97], v[106:107], v[110:111] op_sel:[0,0,1] op_sel_hi:[1,0,0]
	v_mov_b32_e32 v113, v97
	v_pk_mul_f32 v[96:97], v[98:99], v[108:109] op_sel:[0,1]
	s_delay_alu instid0(VALU_DEP_1) | instskip(SKIP_1) | instid1(VALU_DEP_1)
	v_pk_fma_f32 v[110:111], v[98:99], v[106:107], v[96:97] op_sel:[0,0,1] op_sel_hi:[1,1,0] neg_lo:[0,0,1] neg_hi:[0,0,1]
	v_pk_fma_f32 v[96:97], v[98:99], v[106:107], v[96:97] op_sel:[0,0,1] op_sel_hi:[1,0,0]
	v_mov_b32_e32 v111, v97
	ds_load_2addr_b64 v[96:99], v100 offset0:43 offset1:44
	v_pk_add_f32 v[36:37], v[36:37], v[112:113] neg_lo:[0,1] neg_hi:[0,1]
	v_pk_add_f32 v[18:19], v[18:19], v[110:111] neg_lo:[0,1] neg_hi:[0,1]
	s_wait_dscnt 0x0
	v_dual_mul_f32 v110, v97, v109 :: v_dual_mul_f32 v112, v97, v106
	s_delay_alu instid0(VALU_DEP_1) | instskip(NEXT) | instid1(VALU_DEP_2)
	v_pk_fma_f32 v[110:111], v[96:97], v[28:29], v[110:111] op_sel_hi:[1,1,0] neg_lo:[0,0,1] neg_hi:[0,0,1]
	v_pk_fma_f32 v[96:97], v[96:97], v[28:29], v[112:113] op_sel:[1,0,0] op_sel_hi:[0,1,0]
	s_delay_alu instid0(VALU_DEP_1) | instskip(SKIP_1) | instid1(VALU_DEP_1)
	v_mov_b32_e32 v111, v97
	v_pk_mul_f32 v[96:97], v[98:99], v[108:109] op_sel:[0,1]
	v_pk_fma_f32 v[108:109], v[98:99], v[106:107], v[96:97] op_sel:[0,0,1] op_sel_hi:[1,1,0] neg_lo:[0,0,1] neg_hi:[0,0,1]
	v_pk_fma_f32 v[96:97], v[98:99], v[106:107], v[96:97] op_sel:[0,0,1] op_sel_hi:[1,0,0]
	s_delay_alu instid0(VALU_DEP_1) | instskip(SKIP_1) | instid1(VALU_DEP_2)
	v_mov_b32_e32 v109, v97
	v_pk_add_f32 v[16:17], v[16:17], v[110:111] neg_lo:[0,1] neg_hi:[0,1]
	v_pk_add_f32 v[94:95], v[94:95], v[108:109] neg_lo:[0,1] neg_hi:[0,1]
.LBB88_734:
	s_or_b32 exec_lo, exec_lo, s0
	v_lshl_add_u32 v96, v104, 3, v100
	s_barrier_signal -1
	s_barrier_wait -1
	ds_store_b64 v96, v[20:21]
	s_wait_dscnt 0x0
	s_barrier_signal -1
	s_barrier_wait -1
	ds_load_b64 v[96:97], v100 offset:280
	v_mov_b32_e32 v98, 35
	s_cmp_lt_i32 s18, 37
	s_cbranch_scc1 .LBB88_737
; %bb.735:
	v_add3_u32 v99, v101, 0, 0x120
	v_mov_b32_e32 v98, 35
	s_mov_b32 s0, 36
.LBB88_736:                             ; =>This Inner Loop Header: Depth=1
	ds_load_b64 v[106:107], v99
	s_wait_dscnt 0x1
	v_cmp_gt_f32_e32 vcc_lo, 0, v96
	v_cndmask_b32_e64 v108, v96, -v96, vcc_lo
	v_cmp_gt_f32_e32 vcc_lo, 0, v97
	v_cndmask_b32_e64 v110, v97, -v97, vcc_lo
	s_wait_dscnt 0x0
	v_cmp_gt_f32_e32 vcc_lo, 0, v106
	v_cndmask_b32_e64 v109, v106, -v106, vcc_lo
	v_cmp_gt_f32_e32 vcc_lo, 0, v107
	v_cndmask_b32_e64 v111, v107, -v107, vcc_lo
	s_delay_alu instid0(VALU_DEP_1) | instskip(NEXT) | instid1(VALU_DEP_1)
	v_pk_add_f32 v[108:109], v[108:109], v[110:111]
	v_cmp_lt_f32_e32 vcc_lo, v108, v109
	v_dual_cndmask_b32 v96, v96, v106 :: v_dual_add_nc_u32 v99, 8, v99
	v_cndmask_b32_e32 v97, v97, v107, vcc_lo
	v_cndmask_b32_e64 v98, v98, s0, vcc_lo
	s_add_co_i32 s0, s0, 1
	s_delay_alu instid0(SALU_CYCLE_1)
	s_cmp_lg_u32 s18, s0
	s_cbranch_scc1 .LBB88_736
.LBB88_737:
	s_wait_dscnt 0x0
	v_cmp_eq_f32_e32 vcc_lo, 0, v96
	v_cmp_eq_f32_e64 s0, 0, v97
	s_and_b32 s0, vcc_lo, s0
	s_delay_alu instid0(SALU_CYCLE_1) | instskip(NEXT) | instid1(SALU_CYCLE_1)
	s_and_saveexec_b32 s1, s0
	s_xor_b32 s0, exec_lo, s1
; %bb.738:
	v_cmp_ne_u32_e32 vcc_lo, 0, v102
	v_cndmask_b32_e32 v102, 36, v102, vcc_lo
; %bb.739:
	s_and_not1_saveexec_b32 s0, s0
	s_cbranch_execz .LBB88_745
; %bb.740:
	v_cmp_ngt_f32_e64 s1, |v96|, |v97|
	s_and_saveexec_b32 s12, s1
	s_delay_alu instid0(SALU_CYCLE_1)
	s_xor_b32 s1, exec_lo, s12
	s_cbranch_execz .LBB88_742
; %bb.741:
	v_div_scale_f32 v99, null, v97, v97, v96
	v_div_scale_f32 v107, vcc_lo, v96, v97, v96
	s_delay_alu instid0(VALU_DEP_2) | instskip(SKIP_1) | instid1(TRANS32_DEP_1)
	v_rcp_f32_e32 v105, v99
	v_nop
	v_fma_f32 v106, -v99, v105, 1.0
	s_delay_alu instid0(VALU_DEP_1) | instskip(NEXT) | instid1(VALU_DEP_1)
	v_fmac_f32_e32 v105, v106, v105
	v_mul_f32_e32 v106, v107, v105
	s_delay_alu instid0(VALU_DEP_1) | instskip(NEXT) | instid1(VALU_DEP_1)
	v_fma_f32 v108, -v99, v106, v107
	v_fmac_f32_e32 v106, v108, v105
	s_delay_alu instid0(VALU_DEP_1) | instskip(NEXT) | instid1(VALU_DEP_1)
	v_fma_f32 v99, -v99, v106, v107
	v_div_fmas_f32 v99, v99, v105, v106
	s_delay_alu instid0(VALU_DEP_1) | instskip(NEXT) | instid1(VALU_DEP_1)
	v_div_fixup_f32 v99, v99, v97, v96
	v_fmac_f32_e32 v97, v96, v99
	s_delay_alu instid0(VALU_DEP_1) | instskip(SKIP_1) | instid1(VALU_DEP_2)
	v_div_scale_f32 v96, null, v97, v97, 1.0
	v_div_scale_f32 v107, vcc_lo, 1.0, v97, 1.0
	v_rcp_f32_e32 v105, v96
	v_nop
	s_delay_alu instid0(TRANS32_DEP_1) | instskip(NEXT) | instid1(VALU_DEP_1)
	v_fma_f32 v106, -v96, v105, 1.0
	v_fmac_f32_e32 v105, v106, v105
	s_delay_alu instid0(VALU_DEP_1) | instskip(NEXT) | instid1(VALU_DEP_1)
	v_mul_f32_e32 v106, v107, v105
	v_fma_f32 v108, -v96, v106, v107
	s_delay_alu instid0(VALU_DEP_1) | instskip(NEXT) | instid1(VALU_DEP_1)
	v_fmac_f32_e32 v106, v108, v105
	v_fma_f32 v96, -v96, v106, v107
	s_delay_alu instid0(VALU_DEP_1) | instskip(NEXT) | instid1(VALU_DEP_1)
	v_div_fmas_f32 v96, v96, v105, v106
	v_div_fixup_f32 v97, v96, v97, 1.0
	s_delay_alu instid0(VALU_DEP_1)
	v_mul_f32_e32 v96, v99, v97
	v_xor_b32_e32 v97, 0x80000000, v97
.LBB88_742:
	s_and_not1_saveexec_b32 s1, s1
	s_cbranch_execz .LBB88_744
; %bb.743:
	s_delay_alu instid0(VALU_DEP_1) | instskip(SKIP_1) | instid1(VALU_DEP_2)
	v_div_scale_f32 v99, null, v96, v96, v97
	v_div_scale_f32 v107, vcc_lo, v97, v96, v97
	v_rcp_f32_e32 v105, v99
	v_nop
	s_delay_alu instid0(TRANS32_DEP_1) | instskip(NEXT) | instid1(VALU_DEP_1)
	v_fma_f32 v106, -v99, v105, 1.0
	v_fmac_f32_e32 v105, v106, v105
	s_delay_alu instid0(VALU_DEP_1) | instskip(NEXT) | instid1(VALU_DEP_1)
	v_mul_f32_e32 v106, v107, v105
	v_fma_f32 v108, -v99, v106, v107
	s_delay_alu instid0(VALU_DEP_1) | instskip(NEXT) | instid1(VALU_DEP_1)
	v_fmac_f32_e32 v106, v108, v105
	v_fma_f32 v99, -v99, v106, v107
	s_delay_alu instid0(VALU_DEP_1) | instskip(NEXT) | instid1(VALU_DEP_1)
	v_div_fmas_f32 v99, v99, v105, v106
	v_div_fixup_f32 v99, v99, v96, v97
	s_delay_alu instid0(VALU_DEP_1) | instskip(NEXT) | instid1(VALU_DEP_1)
	v_fmac_f32_e32 v96, v97, v99
	v_div_scale_f32 v97, null, v96, v96, 1.0
	s_delay_alu instid0(VALU_DEP_1) | instskip(SKIP_1) | instid1(TRANS32_DEP_1)
	v_rcp_f32_e32 v105, v97
	v_nop
	v_fma_f32 v106, -v97, v105, 1.0
	s_delay_alu instid0(VALU_DEP_1) | instskip(SKIP_1) | instid1(VALU_DEP_1)
	v_fmac_f32_e32 v105, v106, v105
	v_div_scale_f32 v106, vcc_lo, 1.0, v96, 1.0
	v_mul_f32_e32 v107, v106, v105
	s_delay_alu instid0(VALU_DEP_1) | instskip(NEXT) | instid1(VALU_DEP_1)
	v_fma_f32 v108, -v97, v107, v106
	v_fmac_f32_e32 v107, v108, v105
	s_delay_alu instid0(VALU_DEP_1) | instskip(NEXT) | instid1(VALU_DEP_1)
	v_fma_f32 v97, -v97, v107, v106
	v_div_fmas_f32 v97, v97, v105, v107
	s_delay_alu instid0(VALU_DEP_1) | instskip(NEXT) | instid1(VALU_DEP_1)
	v_div_fixup_f32 v96, v97, v96, 1.0
	v_mul_f32_e64 v97, v99, -v96
.LBB88_744:
	s_or_b32 exec_lo, exec_lo, s1
.LBB88_745:
	s_delay_alu instid0(SALU_CYCLE_1) | instskip(NEXT) | instid1(SALU_CYCLE_1)
	s_or_b32 exec_lo, exec_lo, s0
	s_mov_b32 s0, exec_lo
	v_cmpx_ne_u32_e64 v104, v98
	s_xor_b32 s0, exec_lo, s0
	s_cbranch_execz .LBB88_751
; %bb.746:
	s_mov_b32 s1, exec_lo
	v_cmpx_eq_u32_e32 35, v104
	s_cbranch_execz .LBB88_750
; %bb.747:
	v_cmp_ne_u32_e32 vcc_lo, 35, v98
	s_xor_b32 s12, s16, -1
	s_delay_alu instid0(SALU_CYCLE_1) | instskip(NEXT) | instid1(SALU_CYCLE_1)
	s_and_b32 s13, s12, vcc_lo
	s_and_saveexec_b32 s12, s13
	s_cbranch_execz .LBB88_749
; %bb.748:
	v_ashrrev_i32_e32 v99, 31, v98
	s_delay_alu instid0(VALU_DEP_1)
	v_lshl_add_u64 v[104:105], v[98:99], 2, v[4:5]
	s_clause 0x1
	global_load_b32 v99, v[104:105], off
	global_load_b32 v103, v[4:5], off offset:140
	s_wait_loadcnt 0x1
	global_store_b32 v[4:5], v99, off offset:140
	s_wait_loadcnt 0x0
	global_store_b32 v[104:105], v103, off
.LBB88_749:
	s_wait_xcnt 0x0
	s_or_b32 exec_lo, exec_lo, s12
	v_dual_mov_b32 v104, v98 :: v_dual_mov_b32 v103, v98
.LBB88_750:
	s_or_b32 exec_lo, exec_lo, s1
.LBB88_751:
	s_and_not1_saveexec_b32 s0, s0
	s_cbranch_execz .LBB88_753
; %bb.752:
	v_dual_mov_b32 v98, v14 :: v_dual_mov_b32 v99, v15
	v_dual_mov_b32 v106, v10 :: v_dual_mov_b32 v107, v11
	v_dual_mov_b32 v104, 35 :: v_dual_mov_b32 v108, v12
	v_dual_mov_b32 v109, v13 :: v_dual_mov_b32 v110, v8
	v_dual_mov_b32 v111, v9 :: v_dual_mov_b32 v112, v6
	v_dual_mov_b32 v113, v7 :: v_dual_mov_b32 v114, v36
	v_dual_mov_b32 v115, v37 :: v_dual_mov_b32 v116, v18
	v_dual_mov_b32 v117, v19 :: v_dual_mov_b32 v118, v16
	v_mov_b32_e32 v119, v17
	ds_store_2addr_b64 v100, v[98:99], v[106:107] offset0:36 offset1:37
	ds_store_2addr_b64 v100, v[108:109], v[110:111] offset0:38 offset1:39
	;; [unrolled: 1-line block ×4, first 2 shown]
	ds_store_b64 v100, v[94:95] offset:352
.LBB88_753:
	s_or_b32 exec_lo, exec_lo, s0
	s_delay_alu instid0(SALU_CYCLE_1)
	s_mov_b32 s0, exec_lo
	s_wait_storecnt_dscnt 0x0
	s_barrier_signal -1
	s_barrier_wait -1
	v_cmpx_lt_i32_e32 35, v104
	s_cbranch_execz .LBB88_755
; %bb.754:
	v_pk_mul_f32 v[98:99], v[96:97], v[20:21] op_sel:[1,1] op_sel_hi:[0,1]
	s_delay_alu instid0(VALU_DEP_1)
	v_pk_fma_f32 v[106:107], v[96:97], v[20:21], v[98:99] op_sel_hi:[1,0,1] neg_lo:[0,0,1] neg_hi:[0,0,1]
	v_pk_fma_f32 v[108:109], v[96:97], v[20:21], v[98:99] op_sel_hi:[1,0,1]
	ds_load_2addr_b64 v[96:99], v100 offset0:36 offset1:37
	v_dual_mov_b32 v20, v106 :: v_dual_mov_b32 v21, v109
	s_wait_dscnt 0x0
	v_pk_mul_f32 v[110:111], v[96:97], v[108:109] op_sel:[0,1]
	s_delay_alu instid0(VALU_DEP_1) | instskip(SKIP_1) | instid1(VALU_DEP_1)
	v_pk_fma_f32 v[112:113], v[96:97], v[106:107], v[110:111] op_sel:[0,0,1] op_sel_hi:[1,1,0] neg_lo:[0,0,1] neg_hi:[0,0,1]
	v_pk_fma_f32 v[96:97], v[96:97], v[106:107], v[110:111] op_sel:[0,0,1] op_sel_hi:[1,0,0]
	v_mov_b32_e32 v113, v97
	v_pk_mul_f32 v[96:97], v[98:99], v[108:109] op_sel:[0,1]
	s_delay_alu instid0(VALU_DEP_1) | instskip(SKIP_1) | instid1(VALU_DEP_1)
	v_pk_fma_f32 v[110:111], v[98:99], v[106:107], v[96:97] op_sel:[0,0,1] op_sel_hi:[1,1,0] neg_lo:[0,0,1] neg_hi:[0,0,1]
	v_pk_fma_f32 v[96:97], v[98:99], v[106:107], v[96:97] op_sel:[0,0,1] op_sel_hi:[1,0,0]
	v_mov_b32_e32 v111, v97
	ds_load_2addr_b64 v[96:99], v100 offset0:38 offset1:39
	v_pk_add_f32 v[14:15], v[14:15], v[112:113] neg_lo:[0,1] neg_hi:[0,1]
	v_pk_add_f32 v[10:11], v[10:11], v[110:111] neg_lo:[0,1] neg_hi:[0,1]
	s_wait_dscnt 0x0
	v_pk_mul_f32 v[110:111], v[96:97], v[108:109] op_sel:[0,1]
	s_delay_alu instid0(VALU_DEP_1) | instskip(SKIP_2) | instid1(VALU_DEP_2)
	v_pk_fma_f32 v[112:113], v[96:97], v[106:107], v[110:111] op_sel:[0,0,1] op_sel_hi:[1,1,0] neg_lo:[0,0,1] neg_hi:[0,0,1]
	v_pk_fma_f32 v[96:97], v[96:97], v[106:107], v[110:111] op_sel:[0,0,1] op_sel_hi:[1,0,0]
	v_dual_mul_f32 v110, v99, v109 :: v_dual_mov_b32 v96, v99
	v_dual_mov_b32 v113, v97 :: v_dual_mov_b32 v97, v98
	s_delay_alu instid0(VALU_DEP_2) | instskip(SKIP_1) | instid1(VALU_DEP_3)
	v_pk_fma_f32 v[110:111], v[98:99], v[20:21], v[110:111] op_sel_hi:[1,1,0] neg_lo:[0,0,1] neg_hi:[0,0,1]
	v_mul_f32_e32 v98, v99, v106
	v_pk_add_f32 v[12:13], v[12:13], v[112:113] neg_lo:[0,1] neg_hi:[0,1]
	s_delay_alu instid0(VALU_DEP_2) | instskip(NEXT) | instid1(VALU_DEP_1)
	v_pk_fma_f32 v[96:97], v[96:97], v[20:21], v[98:99] op_sel_hi:[1,1,0]
	v_mov_b32_e32 v111, v97
	ds_load_2addr_b64 v[96:99], v100 offset0:40 offset1:41
	v_pk_add_f32 v[8:9], v[8:9], v[110:111] neg_lo:[0,1] neg_hi:[0,1]
	s_wait_dscnt 0x0
	v_pk_mul_f32 v[110:111], v[96:97], v[108:109] op_sel:[0,1]
	s_delay_alu instid0(VALU_DEP_1) | instskip(SKIP_1) | instid1(VALU_DEP_1)
	v_pk_fma_f32 v[112:113], v[96:97], v[106:107], v[110:111] op_sel:[0,0,1] op_sel_hi:[1,1,0] neg_lo:[0,0,1] neg_hi:[0,0,1]
	v_pk_fma_f32 v[96:97], v[96:97], v[106:107], v[110:111] op_sel:[0,0,1] op_sel_hi:[1,0,0]
	v_mov_b32_e32 v113, v97
	v_pk_mul_f32 v[96:97], v[98:99], v[108:109] op_sel:[0,1]
	s_delay_alu instid0(VALU_DEP_1) | instskip(SKIP_1) | instid1(VALU_DEP_1)
	v_pk_fma_f32 v[110:111], v[98:99], v[106:107], v[96:97] op_sel:[0,0,1] op_sel_hi:[1,1,0] neg_lo:[0,0,1] neg_hi:[0,0,1]
	v_pk_fma_f32 v[96:97], v[98:99], v[106:107], v[96:97] op_sel:[0,0,1] op_sel_hi:[1,0,0]
	v_mov_b32_e32 v111, v97
	ds_load_2addr_b64 v[96:99], v100 offset0:42 offset1:43
	v_pk_add_f32 v[6:7], v[6:7], v[112:113] neg_lo:[0,1] neg_hi:[0,1]
	v_pk_add_f32 v[36:37], v[36:37], v[110:111] neg_lo:[0,1] neg_hi:[0,1]
	s_wait_dscnt 0x0
	v_pk_mul_f32 v[110:111], v[96:97], v[108:109] op_sel:[0,1]
	s_delay_alu instid0(VALU_DEP_1) | instskip(SKIP_1) | instid1(VALU_DEP_1)
	v_pk_fma_f32 v[112:113], v[96:97], v[106:107], v[110:111] op_sel:[0,0,1] op_sel_hi:[1,1,0] neg_lo:[0,0,1] neg_hi:[0,0,1]
	v_pk_fma_f32 v[96:97], v[96:97], v[106:107], v[110:111] op_sel:[0,0,1] op_sel_hi:[1,0,0]
	v_mov_b32_e32 v113, v97
	v_pk_mul_f32 v[96:97], v[98:99], v[108:109] op_sel:[0,1]
	s_delay_alu instid0(VALU_DEP_1) | instskip(SKIP_1) | instid1(VALU_DEP_1)
	v_pk_fma_f32 v[110:111], v[98:99], v[106:107], v[96:97] op_sel:[0,0,1] op_sel_hi:[1,1,0] neg_lo:[0,0,1] neg_hi:[0,0,1]
	v_pk_fma_f32 v[96:97], v[98:99], v[106:107], v[96:97] op_sel:[0,0,1] op_sel_hi:[1,0,0]
	v_mov_b32_e32 v111, v97
	ds_load_b64 v[96:97], v100 offset:352
	v_pk_add_f32 v[18:19], v[18:19], v[112:113] neg_lo:[0,1] neg_hi:[0,1]
	v_pk_add_f32 v[16:17], v[16:17], v[110:111] neg_lo:[0,1] neg_hi:[0,1]
	s_wait_dscnt 0x0
	v_pk_mul_f32 v[98:99], v[96:97], v[108:109] op_sel:[0,1]
	s_delay_alu instid0(VALU_DEP_1) | instskip(SKIP_1) | instid1(VALU_DEP_1)
	v_pk_fma_f32 v[108:109], v[96:97], v[106:107], v[98:99] op_sel:[0,0,1] op_sel_hi:[1,1,0] neg_lo:[0,0,1] neg_hi:[0,0,1]
	v_pk_fma_f32 v[96:97], v[96:97], v[106:107], v[98:99] op_sel:[0,0,1] op_sel_hi:[1,0,0]
	v_mov_b32_e32 v109, v97
	s_delay_alu instid0(VALU_DEP_1)
	v_pk_add_f32 v[94:95], v[94:95], v[108:109] neg_lo:[0,1] neg_hi:[0,1]
.LBB88_755:
	s_or_b32 exec_lo, exec_lo, s0
	v_lshl_add_u32 v96, v104, 3, v100
	s_barrier_signal -1
	s_barrier_wait -1
	ds_store_b64 v96, v[14:15]
	s_wait_dscnt 0x0
	s_barrier_signal -1
	s_barrier_wait -1
	ds_load_b64 v[96:97], v100 offset:288
	v_mov_b32_e32 v98, 36
	s_cmp_lt_i32 s18, 38
	s_cbranch_scc1 .LBB88_758
; %bb.756:
	v_add3_u32 v99, v101, 0, 0x128
	v_mov_b32_e32 v98, 36
	s_mov_b32 s0, 37
.LBB88_757:                             ; =>This Inner Loop Header: Depth=1
	ds_load_b64 v[106:107], v99
	s_wait_dscnt 0x1
	v_cmp_gt_f32_e32 vcc_lo, 0, v96
	v_cndmask_b32_e64 v108, v96, -v96, vcc_lo
	v_cmp_gt_f32_e32 vcc_lo, 0, v97
	v_cndmask_b32_e64 v110, v97, -v97, vcc_lo
	s_wait_dscnt 0x0
	v_cmp_gt_f32_e32 vcc_lo, 0, v106
	v_cndmask_b32_e64 v109, v106, -v106, vcc_lo
	v_cmp_gt_f32_e32 vcc_lo, 0, v107
	v_cndmask_b32_e64 v111, v107, -v107, vcc_lo
	s_delay_alu instid0(VALU_DEP_1) | instskip(NEXT) | instid1(VALU_DEP_1)
	v_pk_add_f32 v[108:109], v[108:109], v[110:111]
	v_cmp_lt_f32_e32 vcc_lo, v108, v109
	v_dual_cndmask_b32 v96, v96, v106 :: v_dual_add_nc_u32 v99, 8, v99
	v_cndmask_b32_e32 v97, v97, v107, vcc_lo
	v_cndmask_b32_e64 v98, v98, s0, vcc_lo
	s_add_co_i32 s0, s0, 1
	s_delay_alu instid0(SALU_CYCLE_1)
	s_cmp_lg_u32 s18, s0
	s_cbranch_scc1 .LBB88_757
.LBB88_758:
	s_wait_dscnt 0x0
	v_cmp_eq_f32_e32 vcc_lo, 0, v96
	v_cmp_eq_f32_e64 s0, 0, v97
	s_and_b32 s0, vcc_lo, s0
	s_delay_alu instid0(SALU_CYCLE_1) | instskip(NEXT) | instid1(SALU_CYCLE_1)
	s_and_saveexec_b32 s1, s0
	s_xor_b32 s0, exec_lo, s1
; %bb.759:
	v_cmp_ne_u32_e32 vcc_lo, 0, v102
	v_cndmask_b32_e32 v102, 37, v102, vcc_lo
; %bb.760:
	s_and_not1_saveexec_b32 s0, s0
	s_cbranch_execz .LBB88_766
; %bb.761:
	v_cmp_ngt_f32_e64 s1, |v96|, |v97|
	s_and_saveexec_b32 s12, s1
	s_delay_alu instid0(SALU_CYCLE_1)
	s_xor_b32 s1, exec_lo, s12
	s_cbranch_execz .LBB88_763
; %bb.762:
	v_div_scale_f32 v99, null, v97, v97, v96
	v_div_scale_f32 v107, vcc_lo, v96, v97, v96
	s_delay_alu instid0(VALU_DEP_2) | instskip(SKIP_1) | instid1(TRANS32_DEP_1)
	v_rcp_f32_e32 v105, v99
	v_nop
	v_fma_f32 v106, -v99, v105, 1.0
	s_delay_alu instid0(VALU_DEP_1) | instskip(NEXT) | instid1(VALU_DEP_1)
	v_fmac_f32_e32 v105, v106, v105
	v_mul_f32_e32 v106, v107, v105
	s_delay_alu instid0(VALU_DEP_1) | instskip(NEXT) | instid1(VALU_DEP_1)
	v_fma_f32 v108, -v99, v106, v107
	v_fmac_f32_e32 v106, v108, v105
	s_delay_alu instid0(VALU_DEP_1) | instskip(NEXT) | instid1(VALU_DEP_1)
	v_fma_f32 v99, -v99, v106, v107
	v_div_fmas_f32 v99, v99, v105, v106
	s_delay_alu instid0(VALU_DEP_1) | instskip(NEXT) | instid1(VALU_DEP_1)
	v_div_fixup_f32 v99, v99, v97, v96
	v_fmac_f32_e32 v97, v96, v99
	s_delay_alu instid0(VALU_DEP_1) | instskip(SKIP_1) | instid1(VALU_DEP_2)
	v_div_scale_f32 v96, null, v97, v97, 1.0
	v_div_scale_f32 v107, vcc_lo, 1.0, v97, 1.0
	v_rcp_f32_e32 v105, v96
	v_nop
	s_delay_alu instid0(TRANS32_DEP_1) | instskip(NEXT) | instid1(VALU_DEP_1)
	v_fma_f32 v106, -v96, v105, 1.0
	v_fmac_f32_e32 v105, v106, v105
	s_delay_alu instid0(VALU_DEP_1) | instskip(NEXT) | instid1(VALU_DEP_1)
	v_mul_f32_e32 v106, v107, v105
	v_fma_f32 v108, -v96, v106, v107
	s_delay_alu instid0(VALU_DEP_1) | instskip(NEXT) | instid1(VALU_DEP_1)
	v_fmac_f32_e32 v106, v108, v105
	v_fma_f32 v96, -v96, v106, v107
	s_delay_alu instid0(VALU_DEP_1) | instskip(NEXT) | instid1(VALU_DEP_1)
	v_div_fmas_f32 v96, v96, v105, v106
	v_div_fixup_f32 v97, v96, v97, 1.0
	s_delay_alu instid0(VALU_DEP_1)
	v_mul_f32_e32 v96, v99, v97
	v_xor_b32_e32 v97, 0x80000000, v97
.LBB88_763:
	s_and_not1_saveexec_b32 s1, s1
	s_cbranch_execz .LBB88_765
; %bb.764:
	s_delay_alu instid0(VALU_DEP_1) | instskip(SKIP_1) | instid1(VALU_DEP_2)
	v_div_scale_f32 v99, null, v96, v96, v97
	v_div_scale_f32 v107, vcc_lo, v97, v96, v97
	v_rcp_f32_e32 v105, v99
	v_nop
	s_delay_alu instid0(TRANS32_DEP_1) | instskip(NEXT) | instid1(VALU_DEP_1)
	v_fma_f32 v106, -v99, v105, 1.0
	v_fmac_f32_e32 v105, v106, v105
	s_delay_alu instid0(VALU_DEP_1) | instskip(NEXT) | instid1(VALU_DEP_1)
	v_mul_f32_e32 v106, v107, v105
	v_fma_f32 v108, -v99, v106, v107
	s_delay_alu instid0(VALU_DEP_1) | instskip(NEXT) | instid1(VALU_DEP_1)
	v_fmac_f32_e32 v106, v108, v105
	v_fma_f32 v99, -v99, v106, v107
	s_delay_alu instid0(VALU_DEP_1) | instskip(NEXT) | instid1(VALU_DEP_1)
	v_div_fmas_f32 v99, v99, v105, v106
	v_div_fixup_f32 v99, v99, v96, v97
	s_delay_alu instid0(VALU_DEP_1) | instskip(NEXT) | instid1(VALU_DEP_1)
	v_fmac_f32_e32 v96, v97, v99
	v_div_scale_f32 v97, null, v96, v96, 1.0
	s_delay_alu instid0(VALU_DEP_1) | instskip(SKIP_1) | instid1(TRANS32_DEP_1)
	v_rcp_f32_e32 v105, v97
	v_nop
	v_fma_f32 v106, -v97, v105, 1.0
	s_delay_alu instid0(VALU_DEP_1) | instskip(SKIP_1) | instid1(VALU_DEP_1)
	v_fmac_f32_e32 v105, v106, v105
	v_div_scale_f32 v106, vcc_lo, 1.0, v96, 1.0
	v_mul_f32_e32 v107, v106, v105
	s_delay_alu instid0(VALU_DEP_1) | instskip(NEXT) | instid1(VALU_DEP_1)
	v_fma_f32 v108, -v97, v107, v106
	v_fmac_f32_e32 v107, v108, v105
	s_delay_alu instid0(VALU_DEP_1) | instskip(NEXT) | instid1(VALU_DEP_1)
	v_fma_f32 v97, -v97, v107, v106
	v_div_fmas_f32 v97, v97, v105, v107
	s_delay_alu instid0(VALU_DEP_1) | instskip(NEXT) | instid1(VALU_DEP_1)
	v_div_fixup_f32 v96, v97, v96, 1.0
	v_mul_f32_e64 v97, v99, -v96
.LBB88_765:
	s_or_b32 exec_lo, exec_lo, s1
.LBB88_766:
	s_delay_alu instid0(SALU_CYCLE_1) | instskip(NEXT) | instid1(SALU_CYCLE_1)
	s_or_b32 exec_lo, exec_lo, s0
	s_mov_b32 s0, exec_lo
	v_cmpx_ne_u32_e64 v104, v98
	s_xor_b32 s0, exec_lo, s0
	s_cbranch_execz .LBB88_772
; %bb.767:
	s_mov_b32 s1, exec_lo
	v_cmpx_eq_u32_e32 36, v104
	s_cbranch_execz .LBB88_771
; %bb.768:
	v_cmp_ne_u32_e32 vcc_lo, 36, v98
	s_xor_b32 s12, s16, -1
	s_delay_alu instid0(SALU_CYCLE_1) | instskip(NEXT) | instid1(SALU_CYCLE_1)
	s_and_b32 s13, s12, vcc_lo
	s_and_saveexec_b32 s12, s13
	s_cbranch_execz .LBB88_770
; %bb.769:
	v_ashrrev_i32_e32 v99, 31, v98
	s_delay_alu instid0(VALU_DEP_1)
	v_lshl_add_u64 v[104:105], v[98:99], 2, v[4:5]
	s_clause 0x1
	global_load_b32 v99, v[104:105], off
	global_load_b32 v103, v[4:5], off offset:144
	s_wait_loadcnt 0x1
	global_store_b32 v[4:5], v99, off offset:144
	s_wait_loadcnt 0x0
	global_store_b32 v[104:105], v103, off
.LBB88_770:
	s_wait_xcnt 0x0
	s_or_b32 exec_lo, exec_lo, s12
	v_dual_mov_b32 v104, v98 :: v_dual_mov_b32 v103, v98
.LBB88_771:
	s_or_b32 exec_lo, exec_lo, s1
.LBB88_772:
	s_and_not1_saveexec_b32 s0, s0
	s_cbranch_execz .LBB88_774
; %bb.773:
	v_mov_b32_e32 v104, 36
	ds_store_2addr_b64 v100, v[10:11], v[12:13] offset0:37 offset1:38
	ds_store_2addr_b64 v100, v[8:9], v[6:7] offset0:39 offset1:40
	;; [unrolled: 1-line block ×4, first 2 shown]
.LBB88_774:
	s_or_b32 exec_lo, exec_lo, s0
	s_delay_alu instid0(SALU_CYCLE_1)
	s_mov_b32 s0, exec_lo
	s_wait_storecnt_dscnt 0x0
	s_barrier_signal -1
	s_barrier_wait -1
	v_cmpx_lt_i32_e32 36, v104
	s_cbranch_execz .LBB88_776
; %bb.775:
	v_pk_mul_f32 v[98:99], v[96:97], v[14:15] op_sel:[1,1] op_sel_hi:[0,1]
	s_delay_alu instid0(VALU_DEP_1)
	v_pk_fma_f32 v[106:107], v[96:97], v[14:15], v[98:99] op_sel_hi:[1,0,1] neg_lo:[0,0,1] neg_hi:[0,0,1]
	v_pk_fma_f32 v[108:109], v[96:97], v[14:15], v[98:99] op_sel_hi:[1,0,1]
	ds_load_2addr_b64 v[96:99], v100 offset0:37 offset1:38
	v_dual_mov_b32 v14, v106 :: v_dual_mov_b32 v15, v109
	s_wait_dscnt 0x0
	v_pk_mul_f32 v[110:111], v[96:97], v[108:109] op_sel:[0,1]
	s_delay_alu instid0(VALU_DEP_1) | instskip(SKIP_1) | instid1(VALU_DEP_1)
	v_pk_fma_f32 v[112:113], v[96:97], v[106:107], v[110:111] op_sel:[0,0,1] op_sel_hi:[1,1,0] neg_lo:[0,0,1] neg_hi:[0,0,1]
	v_pk_fma_f32 v[96:97], v[96:97], v[106:107], v[110:111] op_sel:[0,0,1] op_sel_hi:[1,0,0]
	v_mov_b32_e32 v113, v97
	v_pk_mul_f32 v[96:97], v[98:99], v[108:109] op_sel:[0,1]
	s_delay_alu instid0(VALU_DEP_1) | instskip(SKIP_1) | instid1(VALU_DEP_1)
	v_pk_fma_f32 v[110:111], v[98:99], v[106:107], v[96:97] op_sel:[0,0,1] op_sel_hi:[1,1,0] neg_lo:[0,0,1] neg_hi:[0,0,1]
	v_pk_fma_f32 v[96:97], v[98:99], v[106:107], v[96:97] op_sel:[0,0,1] op_sel_hi:[1,0,0]
	v_mov_b32_e32 v111, v97
	ds_load_2addr_b64 v[96:99], v100 offset0:39 offset1:40
	v_pk_add_f32 v[10:11], v[10:11], v[112:113] neg_lo:[0,1] neg_hi:[0,1]
	v_pk_add_f32 v[12:13], v[12:13], v[110:111] neg_lo:[0,1] neg_hi:[0,1]
	s_wait_dscnt 0x0
	v_pk_mul_f32 v[110:111], v[96:97], v[108:109] op_sel:[0,1]
	s_delay_alu instid0(VALU_DEP_1) | instskip(SKIP_2) | instid1(VALU_DEP_2)
	v_pk_fma_f32 v[112:113], v[96:97], v[106:107], v[110:111] op_sel:[0,0,1] op_sel_hi:[1,1,0] neg_lo:[0,0,1] neg_hi:[0,0,1]
	v_pk_fma_f32 v[96:97], v[96:97], v[106:107], v[110:111] op_sel:[0,0,1] op_sel_hi:[1,0,0]
	v_dual_mul_f32 v110, v99, v109 :: v_dual_mov_b32 v96, v99
	v_dual_mov_b32 v113, v97 :: v_dual_mov_b32 v97, v98
	s_delay_alu instid0(VALU_DEP_2) | instskip(SKIP_1) | instid1(VALU_DEP_3)
	v_pk_fma_f32 v[110:111], v[98:99], v[14:15], v[110:111] op_sel_hi:[1,1,0] neg_lo:[0,0,1] neg_hi:[0,0,1]
	v_mul_f32_e32 v98, v99, v106
	v_pk_add_f32 v[8:9], v[8:9], v[112:113] neg_lo:[0,1] neg_hi:[0,1]
	s_delay_alu instid0(VALU_DEP_2) | instskip(NEXT) | instid1(VALU_DEP_1)
	v_pk_fma_f32 v[96:97], v[96:97], v[14:15], v[98:99] op_sel_hi:[1,1,0]
	v_mov_b32_e32 v111, v97
	ds_load_2addr_b64 v[96:99], v100 offset0:41 offset1:42
	v_pk_add_f32 v[6:7], v[6:7], v[110:111] neg_lo:[0,1] neg_hi:[0,1]
	s_wait_dscnt 0x0
	v_pk_mul_f32 v[110:111], v[96:97], v[108:109] op_sel:[0,1]
	s_delay_alu instid0(VALU_DEP_1) | instskip(SKIP_1) | instid1(VALU_DEP_1)
	v_pk_fma_f32 v[112:113], v[96:97], v[106:107], v[110:111] op_sel:[0,0,1] op_sel_hi:[1,1,0] neg_lo:[0,0,1] neg_hi:[0,0,1]
	v_pk_fma_f32 v[96:97], v[96:97], v[106:107], v[110:111] op_sel:[0,0,1] op_sel_hi:[1,0,0]
	v_mov_b32_e32 v113, v97
	v_pk_mul_f32 v[96:97], v[98:99], v[108:109] op_sel:[0,1]
	s_delay_alu instid0(VALU_DEP_1) | instskip(SKIP_1) | instid1(VALU_DEP_1)
	v_pk_fma_f32 v[110:111], v[98:99], v[106:107], v[96:97] op_sel:[0,0,1] op_sel_hi:[1,1,0] neg_lo:[0,0,1] neg_hi:[0,0,1]
	v_pk_fma_f32 v[96:97], v[98:99], v[106:107], v[96:97] op_sel:[0,0,1] op_sel_hi:[1,0,0]
	v_mov_b32_e32 v111, v97
	ds_load_2addr_b64 v[96:99], v100 offset0:43 offset1:44
	v_pk_add_f32 v[36:37], v[36:37], v[112:113] neg_lo:[0,1] neg_hi:[0,1]
	v_pk_add_f32 v[18:19], v[18:19], v[110:111] neg_lo:[0,1] neg_hi:[0,1]
	s_wait_dscnt 0x0
	v_pk_mul_f32 v[110:111], v[96:97], v[108:109] op_sel:[0,1]
	s_delay_alu instid0(VALU_DEP_1) | instskip(SKIP_1) | instid1(VALU_DEP_1)
	v_pk_fma_f32 v[112:113], v[96:97], v[106:107], v[110:111] op_sel:[0,0,1] op_sel_hi:[1,1,0] neg_lo:[0,0,1] neg_hi:[0,0,1]
	v_pk_fma_f32 v[96:97], v[96:97], v[106:107], v[110:111] op_sel:[0,0,1] op_sel_hi:[1,0,0]
	v_mov_b32_e32 v113, v97
	v_pk_mul_f32 v[96:97], v[98:99], v[108:109] op_sel:[0,1]
	s_delay_alu instid0(VALU_DEP_1) | instskip(SKIP_1) | instid1(VALU_DEP_1)
	v_pk_fma_f32 v[108:109], v[98:99], v[106:107], v[96:97] op_sel:[0,0,1] op_sel_hi:[1,1,0] neg_lo:[0,0,1] neg_hi:[0,0,1]
	v_pk_fma_f32 v[96:97], v[98:99], v[106:107], v[96:97] op_sel:[0,0,1] op_sel_hi:[1,0,0]
	v_mov_b32_e32 v109, v97
	v_pk_add_f32 v[16:17], v[16:17], v[112:113] neg_lo:[0,1] neg_hi:[0,1]
	s_delay_alu instid0(VALU_DEP_2)
	v_pk_add_f32 v[94:95], v[94:95], v[108:109] neg_lo:[0,1] neg_hi:[0,1]
.LBB88_776:
	s_or_b32 exec_lo, exec_lo, s0
	v_lshl_add_u32 v96, v104, 3, v100
	s_barrier_signal -1
	s_barrier_wait -1
	ds_store_b64 v96, v[10:11]
	s_wait_dscnt 0x0
	s_barrier_signal -1
	s_barrier_wait -1
	ds_load_b64 v[96:97], v100 offset:296
	v_mov_b32_e32 v98, 37
	s_cmp_lt_i32 s18, 39
	s_cbranch_scc1 .LBB88_779
; %bb.777:
	v_add3_u32 v99, v101, 0, 0x130
	v_mov_b32_e32 v98, 37
	s_mov_b32 s0, 38
.LBB88_778:                             ; =>This Inner Loop Header: Depth=1
	ds_load_b64 v[106:107], v99
	s_wait_dscnt 0x1
	v_cmp_gt_f32_e32 vcc_lo, 0, v96
	v_cndmask_b32_e64 v108, v96, -v96, vcc_lo
	v_cmp_gt_f32_e32 vcc_lo, 0, v97
	v_cndmask_b32_e64 v110, v97, -v97, vcc_lo
	s_wait_dscnt 0x0
	v_cmp_gt_f32_e32 vcc_lo, 0, v106
	v_cndmask_b32_e64 v109, v106, -v106, vcc_lo
	v_cmp_gt_f32_e32 vcc_lo, 0, v107
	v_cndmask_b32_e64 v111, v107, -v107, vcc_lo
	s_delay_alu instid0(VALU_DEP_1) | instskip(NEXT) | instid1(VALU_DEP_1)
	v_pk_add_f32 v[108:109], v[108:109], v[110:111]
	v_cmp_lt_f32_e32 vcc_lo, v108, v109
	v_dual_cndmask_b32 v96, v96, v106 :: v_dual_add_nc_u32 v99, 8, v99
	v_cndmask_b32_e32 v97, v97, v107, vcc_lo
	v_cndmask_b32_e64 v98, v98, s0, vcc_lo
	s_add_co_i32 s0, s0, 1
	s_delay_alu instid0(SALU_CYCLE_1)
	s_cmp_lg_u32 s18, s0
	s_cbranch_scc1 .LBB88_778
.LBB88_779:
	s_wait_dscnt 0x0
	v_cmp_eq_f32_e32 vcc_lo, 0, v96
	v_cmp_eq_f32_e64 s0, 0, v97
	s_and_b32 s0, vcc_lo, s0
	s_delay_alu instid0(SALU_CYCLE_1) | instskip(NEXT) | instid1(SALU_CYCLE_1)
	s_and_saveexec_b32 s1, s0
	s_xor_b32 s0, exec_lo, s1
; %bb.780:
	v_cmp_ne_u32_e32 vcc_lo, 0, v102
	v_cndmask_b32_e32 v102, 38, v102, vcc_lo
; %bb.781:
	s_and_not1_saveexec_b32 s0, s0
	s_cbranch_execz .LBB88_787
; %bb.782:
	v_cmp_ngt_f32_e64 s1, |v96|, |v97|
	s_and_saveexec_b32 s12, s1
	s_delay_alu instid0(SALU_CYCLE_1)
	s_xor_b32 s1, exec_lo, s12
	s_cbranch_execz .LBB88_784
; %bb.783:
	v_div_scale_f32 v99, null, v97, v97, v96
	v_div_scale_f32 v107, vcc_lo, v96, v97, v96
	s_delay_alu instid0(VALU_DEP_2) | instskip(SKIP_1) | instid1(TRANS32_DEP_1)
	v_rcp_f32_e32 v105, v99
	v_nop
	v_fma_f32 v106, -v99, v105, 1.0
	s_delay_alu instid0(VALU_DEP_1) | instskip(NEXT) | instid1(VALU_DEP_1)
	v_fmac_f32_e32 v105, v106, v105
	v_mul_f32_e32 v106, v107, v105
	s_delay_alu instid0(VALU_DEP_1) | instskip(NEXT) | instid1(VALU_DEP_1)
	v_fma_f32 v108, -v99, v106, v107
	v_fmac_f32_e32 v106, v108, v105
	s_delay_alu instid0(VALU_DEP_1) | instskip(NEXT) | instid1(VALU_DEP_1)
	v_fma_f32 v99, -v99, v106, v107
	v_div_fmas_f32 v99, v99, v105, v106
	s_delay_alu instid0(VALU_DEP_1) | instskip(NEXT) | instid1(VALU_DEP_1)
	v_div_fixup_f32 v99, v99, v97, v96
	v_fmac_f32_e32 v97, v96, v99
	s_delay_alu instid0(VALU_DEP_1) | instskip(SKIP_1) | instid1(VALU_DEP_2)
	v_div_scale_f32 v96, null, v97, v97, 1.0
	v_div_scale_f32 v107, vcc_lo, 1.0, v97, 1.0
	v_rcp_f32_e32 v105, v96
	v_nop
	s_delay_alu instid0(TRANS32_DEP_1) | instskip(NEXT) | instid1(VALU_DEP_1)
	v_fma_f32 v106, -v96, v105, 1.0
	v_fmac_f32_e32 v105, v106, v105
	s_delay_alu instid0(VALU_DEP_1) | instskip(NEXT) | instid1(VALU_DEP_1)
	v_mul_f32_e32 v106, v107, v105
	v_fma_f32 v108, -v96, v106, v107
	s_delay_alu instid0(VALU_DEP_1) | instskip(NEXT) | instid1(VALU_DEP_1)
	v_fmac_f32_e32 v106, v108, v105
	v_fma_f32 v96, -v96, v106, v107
	s_delay_alu instid0(VALU_DEP_1) | instskip(NEXT) | instid1(VALU_DEP_1)
	v_div_fmas_f32 v96, v96, v105, v106
	v_div_fixup_f32 v97, v96, v97, 1.0
	s_delay_alu instid0(VALU_DEP_1)
	v_mul_f32_e32 v96, v99, v97
	v_xor_b32_e32 v97, 0x80000000, v97
.LBB88_784:
	s_and_not1_saveexec_b32 s1, s1
	s_cbranch_execz .LBB88_786
; %bb.785:
	s_delay_alu instid0(VALU_DEP_1) | instskip(SKIP_1) | instid1(VALU_DEP_2)
	v_div_scale_f32 v99, null, v96, v96, v97
	v_div_scale_f32 v107, vcc_lo, v97, v96, v97
	v_rcp_f32_e32 v105, v99
	v_nop
	s_delay_alu instid0(TRANS32_DEP_1) | instskip(NEXT) | instid1(VALU_DEP_1)
	v_fma_f32 v106, -v99, v105, 1.0
	v_fmac_f32_e32 v105, v106, v105
	s_delay_alu instid0(VALU_DEP_1) | instskip(NEXT) | instid1(VALU_DEP_1)
	v_mul_f32_e32 v106, v107, v105
	v_fma_f32 v108, -v99, v106, v107
	s_delay_alu instid0(VALU_DEP_1) | instskip(NEXT) | instid1(VALU_DEP_1)
	v_fmac_f32_e32 v106, v108, v105
	v_fma_f32 v99, -v99, v106, v107
	s_delay_alu instid0(VALU_DEP_1) | instskip(NEXT) | instid1(VALU_DEP_1)
	v_div_fmas_f32 v99, v99, v105, v106
	v_div_fixup_f32 v99, v99, v96, v97
	s_delay_alu instid0(VALU_DEP_1) | instskip(NEXT) | instid1(VALU_DEP_1)
	v_fmac_f32_e32 v96, v97, v99
	v_div_scale_f32 v97, null, v96, v96, 1.0
	s_delay_alu instid0(VALU_DEP_1) | instskip(SKIP_1) | instid1(TRANS32_DEP_1)
	v_rcp_f32_e32 v105, v97
	v_nop
	v_fma_f32 v106, -v97, v105, 1.0
	s_delay_alu instid0(VALU_DEP_1) | instskip(SKIP_1) | instid1(VALU_DEP_1)
	v_fmac_f32_e32 v105, v106, v105
	v_div_scale_f32 v106, vcc_lo, 1.0, v96, 1.0
	v_mul_f32_e32 v107, v106, v105
	s_delay_alu instid0(VALU_DEP_1) | instskip(NEXT) | instid1(VALU_DEP_1)
	v_fma_f32 v108, -v97, v107, v106
	v_fmac_f32_e32 v107, v108, v105
	s_delay_alu instid0(VALU_DEP_1) | instskip(NEXT) | instid1(VALU_DEP_1)
	v_fma_f32 v97, -v97, v107, v106
	v_div_fmas_f32 v97, v97, v105, v107
	s_delay_alu instid0(VALU_DEP_1) | instskip(NEXT) | instid1(VALU_DEP_1)
	v_div_fixup_f32 v96, v97, v96, 1.0
	v_mul_f32_e64 v97, v99, -v96
.LBB88_786:
	s_or_b32 exec_lo, exec_lo, s1
.LBB88_787:
	s_delay_alu instid0(SALU_CYCLE_1) | instskip(NEXT) | instid1(SALU_CYCLE_1)
	s_or_b32 exec_lo, exec_lo, s0
	s_mov_b32 s0, exec_lo
	v_cmpx_ne_u32_e64 v104, v98
	s_xor_b32 s0, exec_lo, s0
	s_cbranch_execz .LBB88_793
; %bb.788:
	s_mov_b32 s1, exec_lo
	v_cmpx_eq_u32_e32 37, v104
	s_cbranch_execz .LBB88_792
; %bb.789:
	v_cmp_ne_u32_e32 vcc_lo, 37, v98
	s_xor_b32 s12, s16, -1
	s_delay_alu instid0(SALU_CYCLE_1) | instskip(NEXT) | instid1(SALU_CYCLE_1)
	s_and_b32 s13, s12, vcc_lo
	s_and_saveexec_b32 s12, s13
	s_cbranch_execz .LBB88_791
; %bb.790:
	v_ashrrev_i32_e32 v99, 31, v98
	s_delay_alu instid0(VALU_DEP_1)
	v_lshl_add_u64 v[104:105], v[98:99], 2, v[4:5]
	s_clause 0x1
	global_load_b32 v99, v[104:105], off
	global_load_b32 v103, v[4:5], off offset:148
	s_wait_loadcnt 0x1
	global_store_b32 v[4:5], v99, off offset:148
	s_wait_loadcnt 0x0
	global_store_b32 v[104:105], v103, off
.LBB88_791:
	s_wait_xcnt 0x0
	s_or_b32 exec_lo, exec_lo, s12
	v_dual_mov_b32 v104, v98 :: v_dual_mov_b32 v103, v98
.LBB88_792:
	s_or_b32 exec_lo, exec_lo, s1
.LBB88_793:
	s_and_not1_saveexec_b32 s0, s0
	s_cbranch_execz .LBB88_795
; %bb.794:
	v_dual_mov_b32 v98, v12 :: v_dual_mov_b32 v99, v13
	v_dual_mov_b32 v106, v8 :: v_dual_mov_b32 v107, v9
	;; [unrolled: 1-line block ×6, first 2 shown]
	v_mov_b32_e32 v115, v17
	ds_store_2addr_b64 v100, v[98:99], v[106:107] offset0:38 offset1:39
	ds_store_2addr_b64 v100, v[108:109], v[110:111] offset0:40 offset1:41
	;; [unrolled: 1-line block ×3, first 2 shown]
	ds_store_b64 v100, v[94:95] offset:352
.LBB88_795:
	s_or_b32 exec_lo, exec_lo, s0
	s_delay_alu instid0(SALU_CYCLE_1)
	s_mov_b32 s0, exec_lo
	s_wait_storecnt_dscnt 0x0
	s_barrier_signal -1
	s_barrier_wait -1
	v_cmpx_lt_i32_e32 37, v104
	s_cbranch_execz .LBB88_797
; %bb.796:
	v_pk_mul_f32 v[98:99], v[96:97], v[10:11] op_sel:[1,1] op_sel_hi:[0,1]
	s_delay_alu instid0(VALU_DEP_1)
	v_pk_fma_f32 v[106:107], v[96:97], v[10:11], v[98:99] op_sel_hi:[1,0,1] neg_lo:[0,0,1] neg_hi:[0,0,1]
	v_pk_fma_f32 v[108:109], v[96:97], v[10:11], v[98:99] op_sel_hi:[1,0,1]
	ds_load_2addr_b64 v[96:99], v100 offset0:38 offset1:39
	v_dual_mov_b32 v10, v106 :: v_dual_mov_b32 v11, v109
	s_wait_dscnt 0x0
	v_pk_mul_f32 v[110:111], v[96:97], v[108:109] op_sel:[0,1]
	s_delay_alu instid0(VALU_DEP_1) | instskip(SKIP_1) | instid1(VALU_DEP_1)
	v_pk_fma_f32 v[112:113], v[96:97], v[106:107], v[110:111] op_sel:[0,0,1] op_sel_hi:[1,1,0] neg_lo:[0,0,1] neg_hi:[0,0,1]
	v_pk_fma_f32 v[96:97], v[96:97], v[106:107], v[110:111] op_sel:[0,0,1] op_sel_hi:[1,0,0]
	v_mov_b32_e32 v113, v97
	v_pk_mul_f32 v[96:97], v[98:99], v[108:109] op_sel:[0,1]
	s_delay_alu instid0(VALU_DEP_1) | instskip(SKIP_1) | instid1(VALU_DEP_1)
	v_pk_fma_f32 v[110:111], v[98:99], v[106:107], v[96:97] op_sel:[0,0,1] op_sel_hi:[1,1,0] neg_lo:[0,0,1] neg_hi:[0,0,1]
	v_pk_fma_f32 v[96:97], v[98:99], v[106:107], v[96:97] op_sel:[0,0,1] op_sel_hi:[1,0,0]
	v_mov_b32_e32 v111, v97
	ds_load_2addr_b64 v[96:99], v100 offset0:40 offset1:41
	v_pk_add_f32 v[12:13], v[12:13], v[112:113] neg_lo:[0,1] neg_hi:[0,1]
	v_pk_add_f32 v[8:9], v[8:9], v[110:111] neg_lo:[0,1] neg_hi:[0,1]
	s_wait_dscnt 0x0
	v_pk_mul_f32 v[110:111], v[96:97], v[108:109] op_sel:[0,1]
	s_delay_alu instid0(VALU_DEP_1) | instskip(SKIP_2) | instid1(VALU_DEP_2)
	v_pk_fma_f32 v[112:113], v[96:97], v[106:107], v[110:111] op_sel:[0,0,1] op_sel_hi:[1,1,0] neg_lo:[0,0,1] neg_hi:[0,0,1]
	v_pk_fma_f32 v[96:97], v[96:97], v[106:107], v[110:111] op_sel:[0,0,1] op_sel_hi:[1,0,0]
	v_dual_mul_f32 v110, v99, v109 :: v_dual_mov_b32 v96, v99
	v_dual_mov_b32 v113, v97 :: v_dual_mov_b32 v97, v98
	s_delay_alu instid0(VALU_DEP_2) | instskip(SKIP_1) | instid1(VALU_DEP_3)
	v_pk_fma_f32 v[110:111], v[98:99], v[10:11], v[110:111] op_sel_hi:[1,1,0] neg_lo:[0,0,1] neg_hi:[0,0,1]
	v_mul_f32_e32 v98, v99, v106
	v_pk_add_f32 v[6:7], v[6:7], v[112:113] neg_lo:[0,1] neg_hi:[0,1]
	s_delay_alu instid0(VALU_DEP_2) | instskip(NEXT) | instid1(VALU_DEP_1)
	v_pk_fma_f32 v[96:97], v[96:97], v[10:11], v[98:99] op_sel_hi:[1,1,0]
	v_mov_b32_e32 v111, v97
	ds_load_2addr_b64 v[96:99], v100 offset0:42 offset1:43
	v_pk_add_f32 v[36:37], v[36:37], v[110:111] neg_lo:[0,1] neg_hi:[0,1]
	s_wait_dscnt 0x0
	v_pk_mul_f32 v[110:111], v[96:97], v[108:109] op_sel:[0,1]
	s_delay_alu instid0(VALU_DEP_1) | instskip(SKIP_1) | instid1(VALU_DEP_1)
	v_pk_fma_f32 v[112:113], v[96:97], v[106:107], v[110:111] op_sel:[0,0,1] op_sel_hi:[1,1,0] neg_lo:[0,0,1] neg_hi:[0,0,1]
	v_pk_fma_f32 v[96:97], v[96:97], v[106:107], v[110:111] op_sel:[0,0,1] op_sel_hi:[1,0,0]
	v_mov_b32_e32 v113, v97
	v_pk_mul_f32 v[96:97], v[98:99], v[108:109] op_sel:[0,1]
	s_delay_alu instid0(VALU_DEP_1) | instskip(SKIP_1) | instid1(VALU_DEP_1)
	v_pk_fma_f32 v[110:111], v[98:99], v[106:107], v[96:97] op_sel:[0,0,1] op_sel_hi:[1,1,0] neg_lo:[0,0,1] neg_hi:[0,0,1]
	v_pk_fma_f32 v[96:97], v[98:99], v[106:107], v[96:97] op_sel:[0,0,1] op_sel_hi:[1,0,0]
	v_mov_b32_e32 v111, v97
	ds_load_b64 v[96:97], v100 offset:352
	v_pk_add_f32 v[18:19], v[18:19], v[112:113] neg_lo:[0,1] neg_hi:[0,1]
	v_pk_add_f32 v[16:17], v[16:17], v[110:111] neg_lo:[0,1] neg_hi:[0,1]
	s_wait_dscnt 0x0
	v_pk_mul_f32 v[98:99], v[96:97], v[108:109] op_sel:[0,1]
	s_delay_alu instid0(VALU_DEP_1) | instskip(SKIP_1) | instid1(VALU_DEP_1)
	v_pk_fma_f32 v[108:109], v[96:97], v[106:107], v[98:99] op_sel:[0,0,1] op_sel_hi:[1,1,0] neg_lo:[0,0,1] neg_hi:[0,0,1]
	v_pk_fma_f32 v[96:97], v[96:97], v[106:107], v[98:99] op_sel:[0,0,1] op_sel_hi:[1,0,0]
	v_mov_b32_e32 v109, v97
	s_delay_alu instid0(VALU_DEP_1)
	v_pk_add_f32 v[94:95], v[94:95], v[108:109] neg_lo:[0,1] neg_hi:[0,1]
.LBB88_797:
	s_or_b32 exec_lo, exec_lo, s0
	v_lshl_add_u32 v96, v104, 3, v100
	s_barrier_signal -1
	s_barrier_wait -1
	ds_store_b64 v96, v[12:13]
	s_wait_dscnt 0x0
	s_barrier_signal -1
	s_barrier_wait -1
	ds_load_b64 v[96:97], v100 offset:304
	v_mov_b32_e32 v98, 38
	s_cmp_lt_i32 s18, 40
	s_cbranch_scc1 .LBB88_800
; %bb.798:
	v_add3_u32 v99, v101, 0, 0x138
	v_mov_b32_e32 v98, 38
	s_mov_b32 s0, 39
.LBB88_799:                             ; =>This Inner Loop Header: Depth=1
	ds_load_b64 v[106:107], v99
	s_wait_dscnt 0x1
	v_cmp_gt_f32_e32 vcc_lo, 0, v96
	v_cndmask_b32_e64 v108, v96, -v96, vcc_lo
	v_cmp_gt_f32_e32 vcc_lo, 0, v97
	v_cndmask_b32_e64 v110, v97, -v97, vcc_lo
	s_wait_dscnt 0x0
	v_cmp_gt_f32_e32 vcc_lo, 0, v106
	v_cndmask_b32_e64 v109, v106, -v106, vcc_lo
	v_cmp_gt_f32_e32 vcc_lo, 0, v107
	v_cndmask_b32_e64 v111, v107, -v107, vcc_lo
	s_delay_alu instid0(VALU_DEP_1) | instskip(NEXT) | instid1(VALU_DEP_1)
	v_pk_add_f32 v[108:109], v[108:109], v[110:111]
	v_cmp_lt_f32_e32 vcc_lo, v108, v109
	v_dual_cndmask_b32 v96, v96, v106 :: v_dual_add_nc_u32 v99, 8, v99
	v_cndmask_b32_e32 v97, v97, v107, vcc_lo
	v_cndmask_b32_e64 v98, v98, s0, vcc_lo
	s_add_co_i32 s0, s0, 1
	s_delay_alu instid0(SALU_CYCLE_1)
	s_cmp_lg_u32 s18, s0
	s_cbranch_scc1 .LBB88_799
.LBB88_800:
	s_wait_dscnt 0x0
	v_cmp_eq_f32_e32 vcc_lo, 0, v96
	v_cmp_eq_f32_e64 s0, 0, v97
	s_and_b32 s0, vcc_lo, s0
	s_delay_alu instid0(SALU_CYCLE_1) | instskip(NEXT) | instid1(SALU_CYCLE_1)
	s_and_saveexec_b32 s1, s0
	s_xor_b32 s0, exec_lo, s1
; %bb.801:
	v_cmp_ne_u32_e32 vcc_lo, 0, v102
	v_cndmask_b32_e32 v102, 39, v102, vcc_lo
; %bb.802:
	s_and_not1_saveexec_b32 s0, s0
	s_cbranch_execz .LBB88_808
; %bb.803:
	v_cmp_ngt_f32_e64 s1, |v96|, |v97|
	s_and_saveexec_b32 s12, s1
	s_delay_alu instid0(SALU_CYCLE_1)
	s_xor_b32 s1, exec_lo, s12
	s_cbranch_execz .LBB88_805
; %bb.804:
	v_div_scale_f32 v99, null, v97, v97, v96
	v_div_scale_f32 v107, vcc_lo, v96, v97, v96
	s_delay_alu instid0(VALU_DEP_2) | instskip(SKIP_1) | instid1(TRANS32_DEP_1)
	v_rcp_f32_e32 v105, v99
	v_nop
	v_fma_f32 v106, -v99, v105, 1.0
	s_delay_alu instid0(VALU_DEP_1) | instskip(NEXT) | instid1(VALU_DEP_1)
	v_fmac_f32_e32 v105, v106, v105
	v_mul_f32_e32 v106, v107, v105
	s_delay_alu instid0(VALU_DEP_1) | instskip(NEXT) | instid1(VALU_DEP_1)
	v_fma_f32 v108, -v99, v106, v107
	v_fmac_f32_e32 v106, v108, v105
	s_delay_alu instid0(VALU_DEP_1) | instskip(NEXT) | instid1(VALU_DEP_1)
	v_fma_f32 v99, -v99, v106, v107
	v_div_fmas_f32 v99, v99, v105, v106
	s_delay_alu instid0(VALU_DEP_1) | instskip(NEXT) | instid1(VALU_DEP_1)
	v_div_fixup_f32 v99, v99, v97, v96
	v_fmac_f32_e32 v97, v96, v99
	s_delay_alu instid0(VALU_DEP_1) | instskip(SKIP_1) | instid1(VALU_DEP_2)
	v_div_scale_f32 v96, null, v97, v97, 1.0
	v_div_scale_f32 v107, vcc_lo, 1.0, v97, 1.0
	v_rcp_f32_e32 v105, v96
	v_nop
	s_delay_alu instid0(TRANS32_DEP_1) | instskip(NEXT) | instid1(VALU_DEP_1)
	v_fma_f32 v106, -v96, v105, 1.0
	v_fmac_f32_e32 v105, v106, v105
	s_delay_alu instid0(VALU_DEP_1) | instskip(NEXT) | instid1(VALU_DEP_1)
	v_mul_f32_e32 v106, v107, v105
	v_fma_f32 v108, -v96, v106, v107
	s_delay_alu instid0(VALU_DEP_1) | instskip(NEXT) | instid1(VALU_DEP_1)
	v_fmac_f32_e32 v106, v108, v105
	v_fma_f32 v96, -v96, v106, v107
	s_delay_alu instid0(VALU_DEP_1) | instskip(NEXT) | instid1(VALU_DEP_1)
	v_div_fmas_f32 v96, v96, v105, v106
	v_div_fixup_f32 v97, v96, v97, 1.0
	s_delay_alu instid0(VALU_DEP_1)
	v_mul_f32_e32 v96, v99, v97
	v_xor_b32_e32 v97, 0x80000000, v97
.LBB88_805:
	s_and_not1_saveexec_b32 s1, s1
	s_cbranch_execz .LBB88_807
; %bb.806:
	s_delay_alu instid0(VALU_DEP_1) | instskip(SKIP_1) | instid1(VALU_DEP_2)
	v_div_scale_f32 v99, null, v96, v96, v97
	v_div_scale_f32 v107, vcc_lo, v97, v96, v97
	v_rcp_f32_e32 v105, v99
	v_nop
	s_delay_alu instid0(TRANS32_DEP_1) | instskip(NEXT) | instid1(VALU_DEP_1)
	v_fma_f32 v106, -v99, v105, 1.0
	v_fmac_f32_e32 v105, v106, v105
	s_delay_alu instid0(VALU_DEP_1) | instskip(NEXT) | instid1(VALU_DEP_1)
	v_mul_f32_e32 v106, v107, v105
	v_fma_f32 v108, -v99, v106, v107
	s_delay_alu instid0(VALU_DEP_1) | instskip(NEXT) | instid1(VALU_DEP_1)
	v_fmac_f32_e32 v106, v108, v105
	v_fma_f32 v99, -v99, v106, v107
	s_delay_alu instid0(VALU_DEP_1) | instskip(NEXT) | instid1(VALU_DEP_1)
	v_div_fmas_f32 v99, v99, v105, v106
	v_div_fixup_f32 v99, v99, v96, v97
	s_delay_alu instid0(VALU_DEP_1) | instskip(NEXT) | instid1(VALU_DEP_1)
	v_fmac_f32_e32 v96, v97, v99
	v_div_scale_f32 v97, null, v96, v96, 1.0
	s_delay_alu instid0(VALU_DEP_1) | instskip(SKIP_1) | instid1(TRANS32_DEP_1)
	v_rcp_f32_e32 v105, v97
	v_nop
	v_fma_f32 v106, -v97, v105, 1.0
	s_delay_alu instid0(VALU_DEP_1) | instskip(SKIP_1) | instid1(VALU_DEP_1)
	v_fmac_f32_e32 v105, v106, v105
	v_div_scale_f32 v106, vcc_lo, 1.0, v96, 1.0
	v_mul_f32_e32 v107, v106, v105
	s_delay_alu instid0(VALU_DEP_1) | instskip(NEXT) | instid1(VALU_DEP_1)
	v_fma_f32 v108, -v97, v107, v106
	v_fmac_f32_e32 v107, v108, v105
	s_delay_alu instid0(VALU_DEP_1) | instskip(NEXT) | instid1(VALU_DEP_1)
	v_fma_f32 v97, -v97, v107, v106
	v_div_fmas_f32 v97, v97, v105, v107
	s_delay_alu instid0(VALU_DEP_1) | instskip(NEXT) | instid1(VALU_DEP_1)
	v_div_fixup_f32 v96, v97, v96, 1.0
	v_mul_f32_e64 v97, v99, -v96
.LBB88_807:
	s_or_b32 exec_lo, exec_lo, s1
.LBB88_808:
	s_delay_alu instid0(SALU_CYCLE_1) | instskip(NEXT) | instid1(SALU_CYCLE_1)
	s_or_b32 exec_lo, exec_lo, s0
	s_mov_b32 s0, exec_lo
	v_cmpx_ne_u32_e64 v104, v98
	s_xor_b32 s0, exec_lo, s0
	s_cbranch_execz .LBB88_814
; %bb.809:
	s_mov_b32 s1, exec_lo
	v_cmpx_eq_u32_e32 38, v104
	s_cbranch_execz .LBB88_813
; %bb.810:
	v_cmp_ne_u32_e32 vcc_lo, 38, v98
	s_xor_b32 s12, s16, -1
	s_delay_alu instid0(SALU_CYCLE_1) | instskip(NEXT) | instid1(SALU_CYCLE_1)
	s_and_b32 s13, s12, vcc_lo
	s_and_saveexec_b32 s12, s13
	s_cbranch_execz .LBB88_812
; %bb.811:
	v_ashrrev_i32_e32 v99, 31, v98
	s_delay_alu instid0(VALU_DEP_1)
	v_lshl_add_u64 v[104:105], v[98:99], 2, v[4:5]
	s_clause 0x1
	global_load_b32 v99, v[104:105], off
	global_load_b32 v103, v[4:5], off offset:152
	s_wait_loadcnt 0x1
	global_store_b32 v[4:5], v99, off offset:152
	s_wait_loadcnt 0x0
	global_store_b32 v[104:105], v103, off
.LBB88_812:
	s_wait_xcnt 0x0
	s_or_b32 exec_lo, exec_lo, s12
	v_dual_mov_b32 v104, v98 :: v_dual_mov_b32 v103, v98
.LBB88_813:
	s_or_b32 exec_lo, exec_lo, s1
.LBB88_814:
	s_and_not1_saveexec_b32 s0, s0
	s_cbranch_execz .LBB88_816
; %bb.815:
	v_mov_b32_e32 v104, 38
	ds_store_2addr_b64 v100, v[8:9], v[6:7] offset0:39 offset1:40
	ds_store_2addr_b64 v100, v[36:37], v[18:19] offset0:41 offset1:42
	;; [unrolled: 1-line block ×3, first 2 shown]
.LBB88_816:
	s_or_b32 exec_lo, exec_lo, s0
	s_delay_alu instid0(SALU_CYCLE_1)
	s_mov_b32 s0, exec_lo
	s_wait_storecnt_dscnt 0x0
	s_barrier_signal -1
	s_barrier_wait -1
	v_cmpx_lt_i32_e32 38, v104
	s_cbranch_execz .LBB88_818
; %bb.817:
	v_pk_mul_f32 v[98:99], v[96:97], v[12:13] op_sel:[1,1] op_sel_hi:[0,1]
	s_delay_alu instid0(VALU_DEP_1)
	v_pk_fma_f32 v[106:107], v[96:97], v[12:13], v[98:99] op_sel_hi:[1,0,1] neg_lo:[0,0,1] neg_hi:[0,0,1]
	v_pk_fma_f32 v[108:109], v[96:97], v[12:13], v[98:99] op_sel_hi:[1,0,1]
	ds_load_2addr_b64 v[96:99], v100 offset0:39 offset1:40
	v_dual_mov_b32 v12, v106 :: v_dual_mov_b32 v13, v109
	s_wait_dscnt 0x0
	v_pk_mul_f32 v[110:111], v[96:97], v[108:109] op_sel:[0,1]
	s_delay_alu instid0(VALU_DEP_1) | instskip(SKIP_1) | instid1(VALU_DEP_1)
	v_pk_fma_f32 v[112:113], v[96:97], v[106:107], v[110:111] op_sel:[0,0,1] op_sel_hi:[1,1,0] neg_lo:[0,0,1] neg_hi:[0,0,1]
	v_pk_fma_f32 v[96:97], v[96:97], v[106:107], v[110:111] op_sel:[0,0,1] op_sel_hi:[1,0,0]
	v_mov_b32_e32 v113, v97
	v_pk_mul_f32 v[96:97], v[98:99], v[108:109] op_sel:[0,1]
	s_delay_alu instid0(VALU_DEP_1) | instskip(SKIP_1) | instid1(VALU_DEP_1)
	v_pk_fma_f32 v[110:111], v[98:99], v[106:107], v[96:97] op_sel:[0,0,1] op_sel_hi:[1,1,0] neg_lo:[0,0,1] neg_hi:[0,0,1]
	v_pk_fma_f32 v[96:97], v[98:99], v[106:107], v[96:97] op_sel:[0,0,1] op_sel_hi:[1,0,0]
	v_mov_b32_e32 v111, v97
	ds_load_2addr_b64 v[96:99], v100 offset0:41 offset1:42
	v_pk_add_f32 v[8:9], v[8:9], v[112:113] neg_lo:[0,1] neg_hi:[0,1]
	v_pk_add_f32 v[6:7], v[6:7], v[110:111] neg_lo:[0,1] neg_hi:[0,1]
	s_wait_dscnt 0x0
	v_pk_mul_f32 v[110:111], v[96:97], v[108:109] op_sel:[0,1]
	s_delay_alu instid0(VALU_DEP_1) | instskip(SKIP_2) | instid1(VALU_DEP_2)
	v_pk_fma_f32 v[112:113], v[96:97], v[106:107], v[110:111] op_sel:[0,0,1] op_sel_hi:[1,1,0] neg_lo:[0,0,1] neg_hi:[0,0,1]
	v_pk_fma_f32 v[96:97], v[96:97], v[106:107], v[110:111] op_sel:[0,0,1] op_sel_hi:[1,0,0]
	v_dual_mul_f32 v110, v99, v109 :: v_dual_mov_b32 v96, v99
	v_dual_mov_b32 v113, v97 :: v_dual_mov_b32 v97, v98
	s_delay_alu instid0(VALU_DEP_2) | instskip(SKIP_1) | instid1(VALU_DEP_3)
	v_pk_fma_f32 v[110:111], v[98:99], v[12:13], v[110:111] op_sel_hi:[1,1,0] neg_lo:[0,0,1] neg_hi:[0,0,1]
	v_mul_f32_e32 v98, v99, v106
	v_pk_add_f32 v[36:37], v[36:37], v[112:113] neg_lo:[0,1] neg_hi:[0,1]
	s_delay_alu instid0(VALU_DEP_2) | instskip(NEXT) | instid1(VALU_DEP_1)
	v_pk_fma_f32 v[96:97], v[96:97], v[12:13], v[98:99] op_sel_hi:[1,1,0]
	v_mov_b32_e32 v111, v97
	ds_load_2addr_b64 v[96:99], v100 offset0:43 offset1:44
	v_pk_add_f32 v[18:19], v[18:19], v[110:111] neg_lo:[0,1] neg_hi:[0,1]
	s_wait_dscnt 0x0
	v_pk_mul_f32 v[110:111], v[96:97], v[108:109] op_sel:[0,1]
	v_mul_f32_e32 v108, v99, v109
	s_delay_alu instid0(VALU_DEP_2) | instskip(SKIP_2) | instid1(VALU_DEP_4)
	v_pk_fma_f32 v[112:113], v[96:97], v[106:107], v[110:111] op_sel:[0,0,1] op_sel_hi:[1,1,0] neg_lo:[0,0,1] neg_hi:[0,0,1]
	v_pk_fma_f32 v[96:97], v[96:97], v[106:107], v[110:111] op_sel:[0,0,1] op_sel_hi:[1,0,0]
	v_mov_b32_e32 v96, v99
	v_pk_fma_f32 v[108:109], v[98:99], v[12:13], v[108:109] op_sel_hi:[1,1,0] neg_lo:[0,0,1] neg_hi:[0,0,1]
	s_delay_alu instid0(VALU_DEP_3) | instskip(SKIP_1) | instid1(VALU_DEP_2)
	v_dual_mov_b32 v113, v97 :: v_dual_mov_b32 v97, v98
	v_mul_f32_e32 v98, v99, v106
	v_pk_add_f32 v[16:17], v[16:17], v[112:113] neg_lo:[0,1] neg_hi:[0,1]
	s_delay_alu instid0(VALU_DEP_2) | instskip(NEXT) | instid1(VALU_DEP_1)
	v_pk_fma_f32 v[96:97], v[96:97], v[12:13], v[98:99] op_sel_hi:[1,1,0]
	v_mov_b32_e32 v109, v97
	s_delay_alu instid0(VALU_DEP_1)
	v_pk_add_f32 v[94:95], v[94:95], v[108:109] neg_lo:[0,1] neg_hi:[0,1]
.LBB88_818:
	s_or_b32 exec_lo, exec_lo, s0
	v_lshl_add_u32 v96, v104, 3, v100
	s_barrier_signal -1
	s_barrier_wait -1
	ds_store_b64 v96, v[8:9]
	s_wait_dscnt 0x0
	s_barrier_signal -1
	s_barrier_wait -1
	ds_load_b64 v[96:97], v100 offset:312
	v_mov_b32_e32 v98, 39
	s_cmp_lt_i32 s18, 41
	s_cbranch_scc1 .LBB88_821
; %bb.819:
	v_add3_u32 v99, v101, 0, 0x140
	v_mov_b32_e32 v98, 39
	s_mov_b32 s0, 40
.LBB88_820:                             ; =>This Inner Loop Header: Depth=1
	ds_load_b64 v[106:107], v99
	s_wait_dscnt 0x1
	v_cmp_gt_f32_e32 vcc_lo, 0, v96
	v_cndmask_b32_e64 v108, v96, -v96, vcc_lo
	v_cmp_gt_f32_e32 vcc_lo, 0, v97
	v_cndmask_b32_e64 v110, v97, -v97, vcc_lo
	s_wait_dscnt 0x0
	v_cmp_gt_f32_e32 vcc_lo, 0, v106
	v_cndmask_b32_e64 v109, v106, -v106, vcc_lo
	v_cmp_gt_f32_e32 vcc_lo, 0, v107
	v_cndmask_b32_e64 v111, v107, -v107, vcc_lo
	s_delay_alu instid0(VALU_DEP_1) | instskip(NEXT) | instid1(VALU_DEP_1)
	v_pk_add_f32 v[108:109], v[108:109], v[110:111]
	v_cmp_lt_f32_e32 vcc_lo, v108, v109
	v_dual_cndmask_b32 v96, v96, v106 :: v_dual_add_nc_u32 v99, 8, v99
	v_cndmask_b32_e32 v97, v97, v107, vcc_lo
	v_cndmask_b32_e64 v98, v98, s0, vcc_lo
	s_add_co_i32 s0, s0, 1
	s_delay_alu instid0(SALU_CYCLE_1)
	s_cmp_lg_u32 s18, s0
	s_cbranch_scc1 .LBB88_820
.LBB88_821:
	s_wait_dscnt 0x0
	v_cmp_eq_f32_e32 vcc_lo, 0, v96
	v_cmp_eq_f32_e64 s0, 0, v97
	s_and_b32 s0, vcc_lo, s0
	s_delay_alu instid0(SALU_CYCLE_1) | instskip(NEXT) | instid1(SALU_CYCLE_1)
	s_and_saveexec_b32 s1, s0
	s_xor_b32 s0, exec_lo, s1
; %bb.822:
	v_cmp_ne_u32_e32 vcc_lo, 0, v102
	v_cndmask_b32_e32 v102, 40, v102, vcc_lo
; %bb.823:
	s_and_not1_saveexec_b32 s0, s0
	s_cbranch_execz .LBB88_829
; %bb.824:
	v_cmp_ngt_f32_e64 s1, |v96|, |v97|
	s_and_saveexec_b32 s12, s1
	s_delay_alu instid0(SALU_CYCLE_1)
	s_xor_b32 s1, exec_lo, s12
	s_cbranch_execz .LBB88_826
; %bb.825:
	v_div_scale_f32 v99, null, v97, v97, v96
	v_div_scale_f32 v107, vcc_lo, v96, v97, v96
	s_delay_alu instid0(VALU_DEP_2) | instskip(SKIP_1) | instid1(TRANS32_DEP_1)
	v_rcp_f32_e32 v105, v99
	v_nop
	v_fma_f32 v106, -v99, v105, 1.0
	s_delay_alu instid0(VALU_DEP_1) | instskip(NEXT) | instid1(VALU_DEP_1)
	v_fmac_f32_e32 v105, v106, v105
	v_mul_f32_e32 v106, v107, v105
	s_delay_alu instid0(VALU_DEP_1) | instskip(NEXT) | instid1(VALU_DEP_1)
	v_fma_f32 v108, -v99, v106, v107
	v_fmac_f32_e32 v106, v108, v105
	s_delay_alu instid0(VALU_DEP_1) | instskip(NEXT) | instid1(VALU_DEP_1)
	v_fma_f32 v99, -v99, v106, v107
	v_div_fmas_f32 v99, v99, v105, v106
	s_delay_alu instid0(VALU_DEP_1) | instskip(NEXT) | instid1(VALU_DEP_1)
	v_div_fixup_f32 v99, v99, v97, v96
	v_fmac_f32_e32 v97, v96, v99
	s_delay_alu instid0(VALU_DEP_1) | instskip(SKIP_1) | instid1(VALU_DEP_2)
	v_div_scale_f32 v96, null, v97, v97, 1.0
	v_div_scale_f32 v107, vcc_lo, 1.0, v97, 1.0
	v_rcp_f32_e32 v105, v96
	v_nop
	s_delay_alu instid0(TRANS32_DEP_1) | instskip(NEXT) | instid1(VALU_DEP_1)
	v_fma_f32 v106, -v96, v105, 1.0
	v_fmac_f32_e32 v105, v106, v105
	s_delay_alu instid0(VALU_DEP_1) | instskip(NEXT) | instid1(VALU_DEP_1)
	v_mul_f32_e32 v106, v107, v105
	v_fma_f32 v108, -v96, v106, v107
	s_delay_alu instid0(VALU_DEP_1) | instskip(NEXT) | instid1(VALU_DEP_1)
	v_fmac_f32_e32 v106, v108, v105
	v_fma_f32 v96, -v96, v106, v107
	s_delay_alu instid0(VALU_DEP_1) | instskip(NEXT) | instid1(VALU_DEP_1)
	v_div_fmas_f32 v96, v96, v105, v106
	v_div_fixup_f32 v97, v96, v97, 1.0
	s_delay_alu instid0(VALU_DEP_1)
	v_mul_f32_e32 v96, v99, v97
	v_xor_b32_e32 v97, 0x80000000, v97
.LBB88_826:
	s_and_not1_saveexec_b32 s1, s1
	s_cbranch_execz .LBB88_828
; %bb.827:
	s_delay_alu instid0(VALU_DEP_1) | instskip(SKIP_1) | instid1(VALU_DEP_2)
	v_div_scale_f32 v99, null, v96, v96, v97
	v_div_scale_f32 v107, vcc_lo, v97, v96, v97
	v_rcp_f32_e32 v105, v99
	v_nop
	s_delay_alu instid0(TRANS32_DEP_1) | instskip(NEXT) | instid1(VALU_DEP_1)
	v_fma_f32 v106, -v99, v105, 1.0
	v_fmac_f32_e32 v105, v106, v105
	s_delay_alu instid0(VALU_DEP_1) | instskip(NEXT) | instid1(VALU_DEP_1)
	v_mul_f32_e32 v106, v107, v105
	v_fma_f32 v108, -v99, v106, v107
	s_delay_alu instid0(VALU_DEP_1) | instskip(NEXT) | instid1(VALU_DEP_1)
	v_fmac_f32_e32 v106, v108, v105
	v_fma_f32 v99, -v99, v106, v107
	s_delay_alu instid0(VALU_DEP_1) | instskip(NEXT) | instid1(VALU_DEP_1)
	v_div_fmas_f32 v99, v99, v105, v106
	v_div_fixup_f32 v99, v99, v96, v97
	s_delay_alu instid0(VALU_DEP_1) | instskip(NEXT) | instid1(VALU_DEP_1)
	v_fmac_f32_e32 v96, v97, v99
	v_div_scale_f32 v97, null, v96, v96, 1.0
	s_delay_alu instid0(VALU_DEP_1) | instskip(SKIP_1) | instid1(TRANS32_DEP_1)
	v_rcp_f32_e32 v105, v97
	v_nop
	v_fma_f32 v106, -v97, v105, 1.0
	s_delay_alu instid0(VALU_DEP_1) | instskip(SKIP_1) | instid1(VALU_DEP_1)
	v_fmac_f32_e32 v105, v106, v105
	v_div_scale_f32 v106, vcc_lo, 1.0, v96, 1.0
	v_mul_f32_e32 v107, v106, v105
	s_delay_alu instid0(VALU_DEP_1) | instskip(NEXT) | instid1(VALU_DEP_1)
	v_fma_f32 v108, -v97, v107, v106
	v_fmac_f32_e32 v107, v108, v105
	s_delay_alu instid0(VALU_DEP_1) | instskip(NEXT) | instid1(VALU_DEP_1)
	v_fma_f32 v97, -v97, v107, v106
	v_div_fmas_f32 v97, v97, v105, v107
	s_delay_alu instid0(VALU_DEP_1) | instskip(NEXT) | instid1(VALU_DEP_1)
	v_div_fixup_f32 v96, v97, v96, 1.0
	v_mul_f32_e64 v97, v99, -v96
.LBB88_828:
	s_or_b32 exec_lo, exec_lo, s1
.LBB88_829:
	s_delay_alu instid0(SALU_CYCLE_1) | instskip(NEXT) | instid1(SALU_CYCLE_1)
	s_or_b32 exec_lo, exec_lo, s0
	s_mov_b32 s0, exec_lo
	v_cmpx_ne_u32_e64 v104, v98
	s_xor_b32 s0, exec_lo, s0
	s_cbranch_execz .LBB88_835
; %bb.830:
	s_mov_b32 s1, exec_lo
	v_cmpx_eq_u32_e32 39, v104
	s_cbranch_execz .LBB88_834
; %bb.831:
	v_cmp_ne_u32_e32 vcc_lo, 39, v98
	s_xor_b32 s12, s16, -1
	s_delay_alu instid0(SALU_CYCLE_1) | instskip(NEXT) | instid1(SALU_CYCLE_1)
	s_and_b32 s13, s12, vcc_lo
	s_and_saveexec_b32 s12, s13
	s_cbranch_execz .LBB88_833
; %bb.832:
	v_ashrrev_i32_e32 v99, 31, v98
	s_delay_alu instid0(VALU_DEP_1)
	v_lshl_add_u64 v[104:105], v[98:99], 2, v[4:5]
	s_clause 0x1
	global_load_b32 v99, v[104:105], off
	global_load_b32 v103, v[4:5], off offset:156
	s_wait_loadcnt 0x1
	global_store_b32 v[4:5], v99, off offset:156
	s_wait_loadcnt 0x0
	global_store_b32 v[104:105], v103, off
.LBB88_833:
	s_wait_xcnt 0x0
	s_or_b32 exec_lo, exec_lo, s12
	v_dual_mov_b32 v104, v98 :: v_dual_mov_b32 v103, v98
.LBB88_834:
	s_or_b32 exec_lo, exec_lo, s1
.LBB88_835:
	s_and_not1_saveexec_b32 s0, s0
	s_cbranch_execz .LBB88_837
; %bb.836:
	v_dual_mov_b32 v98, v6 :: v_dual_mov_b32 v99, v7
	v_dual_mov_b32 v106, v36 :: v_dual_mov_b32 v107, v37
	;; [unrolled: 1-line block ×4, first 2 shown]
	v_mov_b32_e32 v111, v17
	ds_store_2addr_b64 v100, v[98:99], v[106:107] offset0:40 offset1:41
	ds_store_2addr_b64 v100, v[108:109], v[110:111] offset0:42 offset1:43
	ds_store_b64 v100, v[94:95] offset:352
.LBB88_837:
	s_or_b32 exec_lo, exec_lo, s0
	s_delay_alu instid0(SALU_CYCLE_1)
	s_mov_b32 s0, exec_lo
	s_wait_storecnt_dscnt 0x0
	s_barrier_signal -1
	s_barrier_wait -1
	v_cmpx_lt_i32_e32 39, v104
	s_cbranch_execz .LBB88_839
; %bb.838:
	ds_load_2addr_b64 v[106:109], v100 offset0:40 offset1:41
	ds_load_2addr_b64 v[110:113], v100 offset0:42 offset1:43
	ds_load_b64 v[98:99], v100 offset:352
	v_pk_mul_f32 v[114:115], v[96:97], v[8:9] op_sel:[1,1] op_sel_hi:[0,1]
	s_delay_alu instid0(VALU_DEP_1) | instskip(SKIP_1) | instid1(VALU_DEP_1)
	v_pk_fma_f32 v[116:117], v[96:97], v[8:9], v[114:115] op_sel_hi:[1,0,1] neg_lo:[0,0,1] neg_hi:[0,0,1]
	v_pk_fma_f32 v[96:97], v[96:97], v[8:9], v[114:115] op_sel_hi:[1,0,1]
	v_dual_mov_b32 v8, v116 :: v_dual_mov_b32 v9, v97
	s_wait_dscnt 0x2
	s_delay_alu instid0(VALU_DEP_2)
	v_pk_mul_f32 v[114:115], v[106:107], v[96:97] op_sel:[0,1]
	v_pk_mul_f32 v[118:119], v[108:109], v[96:97] op_sel:[0,1]
	s_wait_dscnt 0x1
	v_pk_mul_f32 v[120:121], v[110:111], v[96:97] op_sel:[0,1]
	v_dual_mov_b32 v122, v113 :: v_dual_mov_b32 v123, v112
	v_dual_mul_f32 v124, v113, v97 :: v_dual_mul_f32 v126, v113, v116
	s_wait_dscnt 0x0
	v_pk_mul_f32 v[96:97], v[98:99], v[96:97] op_sel:[0,1]
	v_pk_fma_f32 v[128:129], v[106:107], v[116:117], v[114:115] op_sel:[0,0,1] op_sel_hi:[1,1,0] neg_lo:[0,0,1] neg_hi:[0,0,1]
	v_pk_fma_f32 v[106:107], v[106:107], v[116:117], v[114:115] op_sel:[0,0,1] op_sel_hi:[1,0,0]
	v_pk_fma_f32 v[114:115], v[108:109], v[116:117], v[118:119] op_sel:[0,0,1] op_sel_hi:[1,1,0] neg_lo:[0,0,1] neg_hi:[0,0,1]
	v_pk_fma_f32 v[108:109], v[108:109], v[116:117], v[118:119] op_sel:[0,0,1] op_sel_hi:[1,0,0]
	;; [unrolled: 2-line block ×3, first 2 shown]
	v_pk_fma_f32 v[120:121], v[122:123], v[8:9], v[126:127] op_sel_hi:[1,1,0]
	v_pk_fma_f32 v[122:123], v[98:99], v[116:117], v[96:97] op_sel:[0,0,1] op_sel_hi:[1,1,0] neg_lo:[0,0,1] neg_hi:[0,0,1]
	v_pk_fma_f32 v[96:97], v[98:99], v[116:117], v[96:97] op_sel:[0,0,1] op_sel_hi:[1,0,0]
	v_pk_fma_f32 v[112:113], v[112:113], v[8:9], v[124:125] op_sel_hi:[1,1,0] neg_lo:[0,0,1] neg_hi:[0,0,1]
	v_dual_mov_b32 v129, v107 :: v_dual_mov_b32 v115, v109
	v_dual_mov_b32 v119, v111 :: v_dual_mov_b32 v113, v121
	s_delay_alu instid0(VALU_DEP_4) | instskip(NEXT) | instid1(VALU_DEP_3)
	v_mov_b32_e32 v123, v97
	v_pk_add_f32 v[6:7], v[6:7], v[128:129] neg_lo:[0,1] neg_hi:[0,1]
	s_delay_alu instid0(VALU_DEP_4) | instskip(NEXT) | instid1(VALU_DEP_4)
	v_pk_add_f32 v[36:37], v[36:37], v[114:115] neg_lo:[0,1] neg_hi:[0,1]
	v_pk_add_f32 v[18:19], v[18:19], v[118:119] neg_lo:[0,1] neg_hi:[0,1]
	;; [unrolled: 1-line block ×4, first 2 shown]
.LBB88_839:
	s_or_b32 exec_lo, exec_lo, s0
	v_lshl_add_u32 v96, v104, 3, v100
	s_barrier_signal -1
	s_barrier_wait -1
	ds_store_b64 v96, v[6:7]
	s_wait_dscnt 0x0
	s_barrier_signal -1
	s_barrier_wait -1
	ds_load_b64 v[96:97], v100 offset:320
	v_mov_b32_e32 v98, 40
	s_cmp_lt_i32 s18, 42
	s_cbranch_scc1 .LBB88_842
; %bb.840:
	v_add3_u32 v99, v101, 0, 0x148
	v_mov_b32_e32 v98, 40
	s_mov_b32 s0, 41
.LBB88_841:                             ; =>This Inner Loop Header: Depth=1
	ds_load_b64 v[106:107], v99
	s_wait_dscnt 0x1
	v_cmp_gt_f32_e32 vcc_lo, 0, v96
	v_cndmask_b32_e64 v108, v96, -v96, vcc_lo
	v_cmp_gt_f32_e32 vcc_lo, 0, v97
	v_cndmask_b32_e64 v110, v97, -v97, vcc_lo
	s_wait_dscnt 0x0
	v_cmp_gt_f32_e32 vcc_lo, 0, v106
	v_cndmask_b32_e64 v109, v106, -v106, vcc_lo
	v_cmp_gt_f32_e32 vcc_lo, 0, v107
	v_cndmask_b32_e64 v111, v107, -v107, vcc_lo
	s_delay_alu instid0(VALU_DEP_1) | instskip(NEXT) | instid1(VALU_DEP_1)
	v_pk_add_f32 v[108:109], v[108:109], v[110:111]
	v_cmp_lt_f32_e32 vcc_lo, v108, v109
	v_dual_cndmask_b32 v96, v96, v106 :: v_dual_add_nc_u32 v99, 8, v99
	v_cndmask_b32_e32 v97, v97, v107, vcc_lo
	v_cndmask_b32_e64 v98, v98, s0, vcc_lo
	s_add_co_i32 s0, s0, 1
	s_delay_alu instid0(SALU_CYCLE_1)
	s_cmp_lg_u32 s18, s0
	s_cbranch_scc1 .LBB88_841
.LBB88_842:
	s_wait_dscnt 0x0
	v_cmp_eq_f32_e32 vcc_lo, 0, v96
	v_cmp_eq_f32_e64 s0, 0, v97
	s_and_b32 s0, vcc_lo, s0
	s_delay_alu instid0(SALU_CYCLE_1) | instskip(NEXT) | instid1(SALU_CYCLE_1)
	s_and_saveexec_b32 s1, s0
	s_xor_b32 s0, exec_lo, s1
; %bb.843:
	v_cmp_ne_u32_e32 vcc_lo, 0, v102
	v_cndmask_b32_e32 v102, 41, v102, vcc_lo
; %bb.844:
	s_and_not1_saveexec_b32 s0, s0
	s_cbranch_execz .LBB88_850
; %bb.845:
	v_cmp_ngt_f32_e64 s1, |v96|, |v97|
	s_and_saveexec_b32 s12, s1
	s_delay_alu instid0(SALU_CYCLE_1)
	s_xor_b32 s1, exec_lo, s12
	s_cbranch_execz .LBB88_847
; %bb.846:
	v_div_scale_f32 v99, null, v97, v97, v96
	v_div_scale_f32 v107, vcc_lo, v96, v97, v96
	s_delay_alu instid0(VALU_DEP_2) | instskip(SKIP_1) | instid1(TRANS32_DEP_1)
	v_rcp_f32_e32 v105, v99
	v_nop
	v_fma_f32 v106, -v99, v105, 1.0
	s_delay_alu instid0(VALU_DEP_1) | instskip(NEXT) | instid1(VALU_DEP_1)
	v_fmac_f32_e32 v105, v106, v105
	v_mul_f32_e32 v106, v107, v105
	s_delay_alu instid0(VALU_DEP_1) | instskip(NEXT) | instid1(VALU_DEP_1)
	v_fma_f32 v108, -v99, v106, v107
	v_fmac_f32_e32 v106, v108, v105
	s_delay_alu instid0(VALU_DEP_1) | instskip(NEXT) | instid1(VALU_DEP_1)
	v_fma_f32 v99, -v99, v106, v107
	v_div_fmas_f32 v99, v99, v105, v106
	s_delay_alu instid0(VALU_DEP_1) | instskip(NEXT) | instid1(VALU_DEP_1)
	v_div_fixup_f32 v99, v99, v97, v96
	v_fmac_f32_e32 v97, v96, v99
	s_delay_alu instid0(VALU_DEP_1) | instskip(SKIP_1) | instid1(VALU_DEP_2)
	v_div_scale_f32 v96, null, v97, v97, 1.0
	v_div_scale_f32 v107, vcc_lo, 1.0, v97, 1.0
	v_rcp_f32_e32 v105, v96
	v_nop
	s_delay_alu instid0(TRANS32_DEP_1) | instskip(NEXT) | instid1(VALU_DEP_1)
	v_fma_f32 v106, -v96, v105, 1.0
	v_fmac_f32_e32 v105, v106, v105
	s_delay_alu instid0(VALU_DEP_1) | instskip(NEXT) | instid1(VALU_DEP_1)
	v_mul_f32_e32 v106, v107, v105
	v_fma_f32 v108, -v96, v106, v107
	s_delay_alu instid0(VALU_DEP_1) | instskip(NEXT) | instid1(VALU_DEP_1)
	v_fmac_f32_e32 v106, v108, v105
	v_fma_f32 v96, -v96, v106, v107
	s_delay_alu instid0(VALU_DEP_1) | instskip(NEXT) | instid1(VALU_DEP_1)
	v_div_fmas_f32 v96, v96, v105, v106
	v_div_fixup_f32 v97, v96, v97, 1.0
	s_delay_alu instid0(VALU_DEP_1)
	v_mul_f32_e32 v96, v99, v97
	v_xor_b32_e32 v97, 0x80000000, v97
.LBB88_847:
	s_and_not1_saveexec_b32 s1, s1
	s_cbranch_execz .LBB88_849
; %bb.848:
	s_delay_alu instid0(VALU_DEP_1) | instskip(SKIP_1) | instid1(VALU_DEP_2)
	v_div_scale_f32 v99, null, v96, v96, v97
	v_div_scale_f32 v107, vcc_lo, v97, v96, v97
	v_rcp_f32_e32 v105, v99
	v_nop
	s_delay_alu instid0(TRANS32_DEP_1) | instskip(NEXT) | instid1(VALU_DEP_1)
	v_fma_f32 v106, -v99, v105, 1.0
	v_fmac_f32_e32 v105, v106, v105
	s_delay_alu instid0(VALU_DEP_1) | instskip(NEXT) | instid1(VALU_DEP_1)
	v_mul_f32_e32 v106, v107, v105
	v_fma_f32 v108, -v99, v106, v107
	s_delay_alu instid0(VALU_DEP_1) | instskip(NEXT) | instid1(VALU_DEP_1)
	v_fmac_f32_e32 v106, v108, v105
	v_fma_f32 v99, -v99, v106, v107
	s_delay_alu instid0(VALU_DEP_1) | instskip(NEXT) | instid1(VALU_DEP_1)
	v_div_fmas_f32 v99, v99, v105, v106
	v_div_fixup_f32 v99, v99, v96, v97
	s_delay_alu instid0(VALU_DEP_1) | instskip(NEXT) | instid1(VALU_DEP_1)
	v_fmac_f32_e32 v96, v97, v99
	v_div_scale_f32 v97, null, v96, v96, 1.0
	s_delay_alu instid0(VALU_DEP_1) | instskip(SKIP_1) | instid1(TRANS32_DEP_1)
	v_rcp_f32_e32 v105, v97
	v_nop
	v_fma_f32 v106, -v97, v105, 1.0
	s_delay_alu instid0(VALU_DEP_1) | instskip(SKIP_1) | instid1(VALU_DEP_1)
	v_fmac_f32_e32 v105, v106, v105
	v_div_scale_f32 v106, vcc_lo, 1.0, v96, 1.0
	v_mul_f32_e32 v107, v106, v105
	s_delay_alu instid0(VALU_DEP_1) | instskip(NEXT) | instid1(VALU_DEP_1)
	v_fma_f32 v108, -v97, v107, v106
	v_fmac_f32_e32 v107, v108, v105
	s_delay_alu instid0(VALU_DEP_1) | instskip(NEXT) | instid1(VALU_DEP_1)
	v_fma_f32 v97, -v97, v107, v106
	v_div_fmas_f32 v97, v97, v105, v107
	s_delay_alu instid0(VALU_DEP_1) | instskip(NEXT) | instid1(VALU_DEP_1)
	v_div_fixup_f32 v96, v97, v96, 1.0
	v_mul_f32_e64 v97, v99, -v96
.LBB88_849:
	s_or_b32 exec_lo, exec_lo, s1
.LBB88_850:
	s_delay_alu instid0(SALU_CYCLE_1) | instskip(NEXT) | instid1(SALU_CYCLE_1)
	s_or_b32 exec_lo, exec_lo, s0
	s_mov_b32 s0, exec_lo
	v_cmpx_ne_u32_e64 v104, v98
	s_xor_b32 s0, exec_lo, s0
	s_cbranch_execz .LBB88_856
; %bb.851:
	s_mov_b32 s1, exec_lo
	v_cmpx_eq_u32_e32 40, v104
	s_cbranch_execz .LBB88_855
; %bb.852:
	v_cmp_ne_u32_e32 vcc_lo, 40, v98
	s_xor_b32 s12, s16, -1
	s_delay_alu instid0(SALU_CYCLE_1) | instskip(NEXT) | instid1(SALU_CYCLE_1)
	s_and_b32 s13, s12, vcc_lo
	s_and_saveexec_b32 s12, s13
	s_cbranch_execz .LBB88_854
; %bb.853:
	v_ashrrev_i32_e32 v99, 31, v98
	s_delay_alu instid0(VALU_DEP_1)
	v_lshl_add_u64 v[104:105], v[98:99], 2, v[4:5]
	s_clause 0x1
	global_load_b32 v99, v[104:105], off
	global_load_b32 v103, v[4:5], off offset:160
	s_wait_loadcnt 0x1
	global_store_b32 v[4:5], v99, off offset:160
	s_wait_loadcnt 0x0
	global_store_b32 v[104:105], v103, off
.LBB88_854:
	s_wait_xcnt 0x0
	s_or_b32 exec_lo, exec_lo, s12
	v_dual_mov_b32 v104, v98 :: v_dual_mov_b32 v103, v98
.LBB88_855:
	s_or_b32 exec_lo, exec_lo, s1
.LBB88_856:
	s_and_not1_saveexec_b32 s0, s0
	s_cbranch_execz .LBB88_858
; %bb.857:
	v_mov_b32_e32 v104, 40
	ds_store_2addr_b64 v100, v[36:37], v[18:19] offset0:41 offset1:42
	ds_store_2addr_b64 v100, v[16:17], v[94:95] offset0:43 offset1:44
.LBB88_858:
	s_or_b32 exec_lo, exec_lo, s0
	s_delay_alu instid0(SALU_CYCLE_1)
	s_mov_b32 s0, exec_lo
	s_wait_storecnt_dscnt 0x0
	s_barrier_signal -1
	s_barrier_wait -1
	v_cmpx_lt_i32_e32 40, v104
	s_cbranch_execz .LBB88_860
; %bb.859:
	ds_load_2addr_b64 v[106:109], v100 offset0:41 offset1:42
	ds_load_2addr_b64 v[110:113], v100 offset0:43 offset1:44
	v_pk_mul_f32 v[98:99], v[96:97], v[6:7] op_sel:[1,1] op_sel_hi:[0,1]
	s_delay_alu instid0(VALU_DEP_1) | instskip(SKIP_1) | instid1(VALU_DEP_1)
	v_pk_fma_f32 v[114:115], v[96:97], v[6:7], v[98:99] op_sel_hi:[1,0,1] neg_lo:[0,0,1] neg_hi:[0,0,1]
	v_pk_fma_f32 v[96:97], v[96:97], v[6:7], v[98:99] op_sel_hi:[1,0,1]
	v_dual_mov_b32 v6, v114 :: v_dual_mov_b32 v7, v97
	s_wait_dscnt 0x1
	s_delay_alu instid0(VALU_DEP_2)
	v_pk_mul_f32 v[98:99], v[106:107], v[96:97] op_sel:[0,1]
	s_wait_dscnt 0x0
	v_mov_b32_e32 v116, v113
	v_pk_mul_f32 v[118:119], v[108:109], v[96:97] op_sel:[0,1]
	v_pk_mul_f32 v[120:121], v[110:111], v[96:97] op_sel:[0,1]
	v_pk_fma_f32 v[122:123], v[106:107], v[114:115], v[98:99] op_sel:[0,0,1] op_sel_hi:[1,1,0] neg_lo:[0,0,1] neg_hi:[0,0,1]
	v_pk_fma_f32 v[98:99], v[106:107], v[114:115], v[98:99] op_sel:[0,0,1] op_sel_hi:[1,0,0]
	s_delay_alu instid0(VALU_DEP_1) | instskip(NEXT) | instid1(VALU_DEP_1)
	v_dual_mov_b32 v117, v112 :: v_dual_mov_b32 v123, v99
	v_pk_mul_f32 v[106:107], v[116:117], v[96:97] op_sel:[0,1]
	v_pk_fma_f32 v[116:117], v[108:109], v[114:115], v[118:119] op_sel:[0,0,1] op_sel_hi:[1,0,0]
	v_pk_fma_f32 v[108:109], v[108:109], v[114:115], v[118:119] op_sel:[0,0,1] op_sel_hi:[1,1,0] neg_lo:[0,0,1] neg_hi:[0,0,1]
	v_pk_fma_f32 v[118:119], v[110:111], v[114:115], v[120:121] op_sel:[0,0,1] op_sel_hi:[1,0,0]
	v_pk_fma_f32 v[110:111], v[110:111], v[114:115], v[120:121] op_sel:[0,0,1] op_sel_hi:[1,1,0] neg_lo:[0,0,1] neg_hi:[0,0,1]
	v_pk_fma_f32 v[98:99], v[112:113], v[114:115], v[106:107] op_sel_hi:[1,0,1]
	v_pk_fma_f32 v[106:107], v[112:113], v[114:115], v[106:107] neg_lo:[0,0,1] neg_hi:[0,0,1]
	s_delay_alu instid0(VALU_DEP_4) | instskip(SKIP_1) | instid1(VALU_DEP_4)
	v_dual_mov_b32 v109, v117 :: v_dual_mov_b32 v111, v119
	v_pk_add_f32 v[36:37], v[36:37], v[122:123] neg_lo:[0,1] neg_hi:[0,1]
	v_mov_b32_e32 v107, v99
	s_delay_alu instid0(VALU_DEP_3) | instskip(NEXT) | instid1(VALU_DEP_4)
	v_pk_add_f32 v[18:19], v[18:19], v[108:109] neg_lo:[0,1] neg_hi:[0,1]
	v_pk_add_f32 v[16:17], v[16:17], v[110:111] neg_lo:[0,1] neg_hi:[0,1]
	s_delay_alu instid0(VALU_DEP_3)
	v_pk_add_f32 v[94:95], v[94:95], v[106:107] neg_lo:[0,1] neg_hi:[0,1]
.LBB88_860:
	s_or_b32 exec_lo, exec_lo, s0
	v_lshl_add_u32 v96, v104, 3, v100
	s_barrier_signal -1
	s_barrier_wait -1
	ds_store_b64 v96, v[36:37]
	s_wait_dscnt 0x0
	s_barrier_signal -1
	s_barrier_wait -1
	ds_load_b64 v[96:97], v100 offset:328
	v_mov_b32_e32 v98, 41
	s_cmp_lt_i32 s18, 43
	s_cbranch_scc1 .LBB88_863
; %bb.861:
	v_add3_u32 v99, v101, 0, 0x150
	v_mov_b32_e32 v98, 41
	s_mov_b32 s0, 42
.LBB88_862:                             ; =>This Inner Loop Header: Depth=1
	ds_load_b64 v[106:107], v99
	s_wait_dscnt 0x1
	v_cmp_gt_f32_e32 vcc_lo, 0, v96
	v_cndmask_b32_e64 v108, v96, -v96, vcc_lo
	v_cmp_gt_f32_e32 vcc_lo, 0, v97
	v_cndmask_b32_e64 v110, v97, -v97, vcc_lo
	s_wait_dscnt 0x0
	v_cmp_gt_f32_e32 vcc_lo, 0, v106
	v_cndmask_b32_e64 v109, v106, -v106, vcc_lo
	v_cmp_gt_f32_e32 vcc_lo, 0, v107
	v_cndmask_b32_e64 v111, v107, -v107, vcc_lo
	s_delay_alu instid0(VALU_DEP_1) | instskip(NEXT) | instid1(VALU_DEP_1)
	v_pk_add_f32 v[108:109], v[108:109], v[110:111]
	v_cmp_lt_f32_e32 vcc_lo, v108, v109
	v_dual_cndmask_b32 v96, v96, v106 :: v_dual_add_nc_u32 v99, 8, v99
	v_cndmask_b32_e32 v97, v97, v107, vcc_lo
	v_cndmask_b32_e64 v98, v98, s0, vcc_lo
	s_add_co_i32 s0, s0, 1
	s_delay_alu instid0(SALU_CYCLE_1)
	s_cmp_lg_u32 s18, s0
	s_cbranch_scc1 .LBB88_862
.LBB88_863:
	s_wait_dscnt 0x0
	v_cmp_eq_f32_e32 vcc_lo, 0, v96
	v_cmp_eq_f32_e64 s0, 0, v97
	s_and_b32 s0, vcc_lo, s0
	s_delay_alu instid0(SALU_CYCLE_1) | instskip(NEXT) | instid1(SALU_CYCLE_1)
	s_and_saveexec_b32 s1, s0
	s_xor_b32 s0, exec_lo, s1
; %bb.864:
	v_cmp_ne_u32_e32 vcc_lo, 0, v102
	v_cndmask_b32_e32 v102, 42, v102, vcc_lo
; %bb.865:
	s_and_not1_saveexec_b32 s0, s0
	s_cbranch_execz .LBB88_871
; %bb.866:
	v_cmp_ngt_f32_e64 s1, |v96|, |v97|
	s_and_saveexec_b32 s12, s1
	s_delay_alu instid0(SALU_CYCLE_1)
	s_xor_b32 s1, exec_lo, s12
	s_cbranch_execz .LBB88_868
; %bb.867:
	v_div_scale_f32 v99, null, v97, v97, v96
	v_div_scale_f32 v107, vcc_lo, v96, v97, v96
	s_delay_alu instid0(VALU_DEP_2) | instskip(SKIP_1) | instid1(TRANS32_DEP_1)
	v_rcp_f32_e32 v105, v99
	v_nop
	v_fma_f32 v106, -v99, v105, 1.0
	s_delay_alu instid0(VALU_DEP_1) | instskip(NEXT) | instid1(VALU_DEP_1)
	v_fmac_f32_e32 v105, v106, v105
	v_mul_f32_e32 v106, v107, v105
	s_delay_alu instid0(VALU_DEP_1) | instskip(NEXT) | instid1(VALU_DEP_1)
	v_fma_f32 v108, -v99, v106, v107
	v_fmac_f32_e32 v106, v108, v105
	s_delay_alu instid0(VALU_DEP_1) | instskip(NEXT) | instid1(VALU_DEP_1)
	v_fma_f32 v99, -v99, v106, v107
	v_div_fmas_f32 v99, v99, v105, v106
	s_delay_alu instid0(VALU_DEP_1) | instskip(NEXT) | instid1(VALU_DEP_1)
	v_div_fixup_f32 v99, v99, v97, v96
	v_fmac_f32_e32 v97, v96, v99
	s_delay_alu instid0(VALU_DEP_1) | instskip(SKIP_1) | instid1(VALU_DEP_2)
	v_div_scale_f32 v96, null, v97, v97, 1.0
	v_div_scale_f32 v107, vcc_lo, 1.0, v97, 1.0
	v_rcp_f32_e32 v105, v96
	v_nop
	s_delay_alu instid0(TRANS32_DEP_1) | instskip(NEXT) | instid1(VALU_DEP_1)
	v_fma_f32 v106, -v96, v105, 1.0
	v_fmac_f32_e32 v105, v106, v105
	s_delay_alu instid0(VALU_DEP_1) | instskip(NEXT) | instid1(VALU_DEP_1)
	v_mul_f32_e32 v106, v107, v105
	v_fma_f32 v108, -v96, v106, v107
	s_delay_alu instid0(VALU_DEP_1) | instskip(NEXT) | instid1(VALU_DEP_1)
	v_fmac_f32_e32 v106, v108, v105
	v_fma_f32 v96, -v96, v106, v107
	s_delay_alu instid0(VALU_DEP_1) | instskip(NEXT) | instid1(VALU_DEP_1)
	v_div_fmas_f32 v96, v96, v105, v106
	v_div_fixup_f32 v97, v96, v97, 1.0
	s_delay_alu instid0(VALU_DEP_1)
	v_mul_f32_e32 v96, v99, v97
	v_xor_b32_e32 v97, 0x80000000, v97
.LBB88_868:
	s_and_not1_saveexec_b32 s1, s1
	s_cbranch_execz .LBB88_870
; %bb.869:
	s_delay_alu instid0(VALU_DEP_1) | instskip(SKIP_1) | instid1(VALU_DEP_2)
	v_div_scale_f32 v99, null, v96, v96, v97
	v_div_scale_f32 v107, vcc_lo, v97, v96, v97
	v_rcp_f32_e32 v105, v99
	v_nop
	s_delay_alu instid0(TRANS32_DEP_1) | instskip(NEXT) | instid1(VALU_DEP_1)
	v_fma_f32 v106, -v99, v105, 1.0
	v_fmac_f32_e32 v105, v106, v105
	s_delay_alu instid0(VALU_DEP_1) | instskip(NEXT) | instid1(VALU_DEP_1)
	v_mul_f32_e32 v106, v107, v105
	v_fma_f32 v108, -v99, v106, v107
	s_delay_alu instid0(VALU_DEP_1) | instskip(NEXT) | instid1(VALU_DEP_1)
	v_fmac_f32_e32 v106, v108, v105
	v_fma_f32 v99, -v99, v106, v107
	s_delay_alu instid0(VALU_DEP_1) | instskip(NEXT) | instid1(VALU_DEP_1)
	v_div_fmas_f32 v99, v99, v105, v106
	v_div_fixup_f32 v99, v99, v96, v97
	s_delay_alu instid0(VALU_DEP_1) | instskip(NEXT) | instid1(VALU_DEP_1)
	v_fmac_f32_e32 v96, v97, v99
	v_div_scale_f32 v97, null, v96, v96, 1.0
	s_delay_alu instid0(VALU_DEP_1) | instskip(SKIP_1) | instid1(TRANS32_DEP_1)
	v_rcp_f32_e32 v105, v97
	v_nop
	v_fma_f32 v106, -v97, v105, 1.0
	s_delay_alu instid0(VALU_DEP_1) | instskip(SKIP_1) | instid1(VALU_DEP_1)
	v_fmac_f32_e32 v105, v106, v105
	v_div_scale_f32 v106, vcc_lo, 1.0, v96, 1.0
	v_mul_f32_e32 v107, v106, v105
	s_delay_alu instid0(VALU_DEP_1) | instskip(NEXT) | instid1(VALU_DEP_1)
	v_fma_f32 v108, -v97, v107, v106
	v_fmac_f32_e32 v107, v108, v105
	s_delay_alu instid0(VALU_DEP_1) | instskip(NEXT) | instid1(VALU_DEP_1)
	v_fma_f32 v97, -v97, v107, v106
	v_div_fmas_f32 v97, v97, v105, v107
	s_delay_alu instid0(VALU_DEP_1) | instskip(NEXT) | instid1(VALU_DEP_1)
	v_div_fixup_f32 v96, v97, v96, 1.0
	v_mul_f32_e64 v97, v99, -v96
.LBB88_870:
	s_or_b32 exec_lo, exec_lo, s1
.LBB88_871:
	s_delay_alu instid0(SALU_CYCLE_1) | instskip(NEXT) | instid1(SALU_CYCLE_1)
	s_or_b32 exec_lo, exec_lo, s0
	s_mov_b32 s0, exec_lo
	v_cmpx_ne_u32_e64 v104, v98
	s_xor_b32 s0, exec_lo, s0
	s_cbranch_execz .LBB88_877
; %bb.872:
	s_mov_b32 s1, exec_lo
	v_cmpx_eq_u32_e32 41, v104
	s_cbranch_execz .LBB88_876
; %bb.873:
	v_cmp_ne_u32_e32 vcc_lo, 41, v98
	s_xor_b32 s12, s16, -1
	s_delay_alu instid0(SALU_CYCLE_1) | instskip(NEXT) | instid1(SALU_CYCLE_1)
	s_and_b32 s13, s12, vcc_lo
	s_and_saveexec_b32 s12, s13
	s_cbranch_execz .LBB88_875
; %bb.874:
	v_ashrrev_i32_e32 v99, 31, v98
	s_delay_alu instid0(VALU_DEP_1)
	v_lshl_add_u64 v[104:105], v[98:99], 2, v[4:5]
	s_clause 0x1
	global_load_b32 v99, v[104:105], off
	global_load_b32 v103, v[4:5], off offset:164
	s_wait_loadcnt 0x1
	global_store_b32 v[4:5], v99, off offset:164
	s_wait_loadcnt 0x0
	global_store_b32 v[104:105], v103, off
.LBB88_875:
	s_wait_xcnt 0x0
	s_or_b32 exec_lo, exec_lo, s12
	v_dual_mov_b32 v104, v98 :: v_dual_mov_b32 v103, v98
.LBB88_876:
	s_or_b32 exec_lo, exec_lo, s1
.LBB88_877:
	s_and_not1_saveexec_b32 s0, s0
	s_cbranch_execz .LBB88_879
; %bb.878:
	v_dual_mov_b32 v98, v18 :: v_dual_mov_b32 v99, v19
	v_dual_mov_b32 v106, v16 :: v_dual_mov_b32 v107, v17
	v_mov_b32_e32 v104, 41
	ds_store_2addr_b64 v100, v[98:99], v[106:107] offset0:42 offset1:43
	ds_store_b64 v100, v[94:95] offset:352
.LBB88_879:
	s_or_b32 exec_lo, exec_lo, s0
	s_delay_alu instid0(SALU_CYCLE_1)
	s_mov_b32 s0, exec_lo
	s_wait_storecnt_dscnt 0x0
	s_barrier_signal -1
	s_barrier_wait -1
	v_cmpx_lt_i32_e32 41, v104
	s_cbranch_execz .LBB88_881
; %bb.880:
	ds_load_2addr_b64 v[106:109], v100 offset0:42 offset1:43
	ds_load_b64 v[98:99], v100 offset:352
	v_pk_mul_f32 v[110:111], v[96:97], v[36:37] op_sel:[1,1] op_sel_hi:[0,1]
	s_delay_alu instid0(VALU_DEP_1) | instskip(SKIP_2) | instid1(VALU_DEP_2)
	v_pk_fma_f32 v[112:113], v[96:97], v[36:37], v[110:111] op_sel_hi:[1,0,1]
	v_pk_fma_f32 v[36:37], v[96:97], v[36:37], v[110:111] op_sel_hi:[1,0,1] neg_lo:[0,0,1] neg_hi:[0,0,1]
	s_wait_dscnt 0x1
	v_pk_mul_f32 v[96:97], v[106:107], v[112:113] op_sel:[0,1]
	v_pk_mul_f32 v[110:111], v[108:109], v[112:113] op_sel:[0,1]
	s_wait_dscnt 0x0
	v_pk_mul_f32 v[114:115], v[98:99], v[112:113] op_sel:[1,1] op_sel_hi:[0,1]
	s_delay_alu instid0(VALU_DEP_3) | instskip(SKIP_2) | instid1(VALU_DEP_4)
	v_pk_fma_f32 v[116:117], v[106:107], v[36:37], v[96:97] op_sel:[0,0,1] op_sel_hi:[1,1,0] neg_lo:[0,0,1] neg_hi:[0,0,1]
	v_pk_fma_f32 v[96:97], v[106:107], v[36:37], v[96:97] op_sel:[0,0,1] op_sel_hi:[1,0,0]
	v_pk_fma_f32 v[106:107], v[108:109], v[36:37], v[110:111] op_sel:[0,0,1] op_sel_hi:[1,0,0]
	v_pk_fma_f32 v[118:119], v[98:99], v[36:37], v[114:115] op_sel_hi:[1,0,1]
	v_pk_fma_f32 v[108:109], v[108:109], v[36:37], v[110:111] op_sel:[0,0,1] op_sel_hi:[1,1,0] neg_lo:[0,0,1] neg_hi:[0,0,1]
	v_pk_fma_f32 v[98:99], v[98:99], v[36:37], v[114:115] neg_lo:[0,0,1] neg_hi:[0,0,1]
	s_delay_alu instid0(VALU_DEP_4) | instskip(NEXT) | instid1(VALU_DEP_4)
	v_dual_mov_b32 v117, v97 :: v_dual_mov_b32 v109, v107
	v_dual_mov_b32 v99, v119 :: v_dual_mov_b32 v37, v113
	s_delay_alu instid0(VALU_DEP_2) | instskip(NEXT) | instid1(VALU_DEP_3)
	v_pk_add_f32 v[18:19], v[18:19], v[116:117] neg_lo:[0,1] neg_hi:[0,1]
	v_pk_add_f32 v[16:17], v[16:17], v[108:109] neg_lo:[0,1] neg_hi:[0,1]
	s_delay_alu instid0(VALU_DEP_3)
	v_pk_add_f32 v[94:95], v[94:95], v[98:99] neg_lo:[0,1] neg_hi:[0,1]
.LBB88_881:
	s_or_b32 exec_lo, exec_lo, s0
	v_lshl_add_u32 v96, v104, 3, v100
	s_barrier_signal -1
	s_barrier_wait -1
	ds_store_b64 v96, v[18:19]
	s_wait_dscnt 0x0
	s_barrier_signal -1
	s_barrier_wait -1
	ds_load_b64 v[96:97], v100 offset:336
	v_mov_b32_e32 v98, 42
	s_cmp_lt_i32 s18, 44
	s_cbranch_scc1 .LBB88_884
; %bb.882:
	v_add3_u32 v99, v101, 0, 0x158
	v_mov_b32_e32 v98, 42
	s_mov_b32 s0, 43
.LBB88_883:                             ; =>This Inner Loop Header: Depth=1
	ds_load_b64 v[106:107], v99
	s_wait_dscnt 0x1
	v_cmp_gt_f32_e32 vcc_lo, 0, v96
	v_cndmask_b32_e64 v108, v96, -v96, vcc_lo
	v_cmp_gt_f32_e32 vcc_lo, 0, v97
	v_cndmask_b32_e64 v110, v97, -v97, vcc_lo
	s_wait_dscnt 0x0
	v_cmp_gt_f32_e32 vcc_lo, 0, v106
	v_cndmask_b32_e64 v109, v106, -v106, vcc_lo
	v_cmp_gt_f32_e32 vcc_lo, 0, v107
	v_cndmask_b32_e64 v111, v107, -v107, vcc_lo
	s_delay_alu instid0(VALU_DEP_1) | instskip(NEXT) | instid1(VALU_DEP_1)
	v_pk_add_f32 v[108:109], v[108:109], v[110:111]
	v_cmp_lt_f32_e32 vcc_lo, v108, v109
	v_dual_cndmask_b32 v96, v96, v106 :: v_dual_add_nc_u32 v99, 8, v99
	v_cndmask_b32_e32 v97, v97, v107, vcc_lo
	v_cndmask_b32_e64 v98, v98, s0, vcc_lo
	s_add_co_i32 s0, s0, 1
	s_delay_alu instid0(SALU_CYCLE_1)
	s_cmp_lg_u32 s18, s0
	s_cbranch_scc1 .LBB88_883
.LBB88_884:
	s_wait_dscnt 0x0
	v_cmp_eq_f32_e32 vcc_lo, 0, v96
	v_cmp_eq_f32_e64 s0, 0, v97
	s_and_b32 s0, vcc_lo, s0
	s_delay_alu instid0(SALU_CYCLE_1) | instskip(NEXT) | instid1(SALU_CYCLE_1)
	s_and_saveexec_b32 s1, s0
	s_xor_b32 s0, exec_lo, s1
; %bb.885:
	v_cmp_ne_u32_e32 vcc_lo, 0, v102
	v_cndmask_b32_e32 v102, 43, v102, vcc_lo
; %bb.886:
	s_and_not1_saveexec_b32 s0, s0
	s_cbranch_execz .LBB88_892
; %bb.887:
	v_cmp_ngt_f32_e64 s1, |v96|, |v97|
	s_and_saveexec_b32 s12, s1
	s_delay_alu instid0(SALU_CYCLE_1)
	s_xor_b32 s1, exec_lo, s12
	s_cbranch_execz .LBB88_889
; %bb.888:
	v_div_scale_f32 v99, null, v97, v97, v96
	v_div_scale_f32 v107, vcc_lo, v96, v97, v96
	s_delay_alu instid0(VALU_DEP_2) | instskip(SKIP_1) | instid1(TRANS32_DEP_1)
	v_rcp_f32_e32 v105, v99
	v_nop
	v_fma_f32 v106, -v99, v105, 1.0
	s_delay_alu instid0(VALU_DEP_1) | instskip(NEXT) | instid1(VALU_DEP_1)
	v_fmac_f32_e32 v105, v106, v105
	v_mul_f32_e32 v106, v107, v105
	s_delay_alu instid0(VALU_DEP_1) | instskip(NEXT) | instid1(VALU_DEP_1)
	v_fma_f32 v108, -v99, v106, v107
	v_fmac_f32_e32 v106, v108, v105
	s_delay_alu instid0(VALU_DEP_1) | instskip(NEXT) | instid1(VALU_DEP_1)
	v_fma_f32 v99, -v99, v106, v107
	v_div_fmas_f32 v99, v99, v105, v106
	s_delay_alu instid0(VALU_DEP_1) | instskip(NEXT) | instid1(VALU_DEP_1)
	v_div_fixup_f32 v99, v99, v97, v96
	v_fmac_f32_e32 v97, v96, v99
	s_delay_alu instid0(VALU_DEP_1) | instskip(SKIP_1) | instid1(VALU_DEP_2)
	v_div_scale_f32 v96, null, v97, v97, 1.0
	v_div_scale_f32 v107, vcc_lo, 1.0, v97, 1.0
	v_rcp_f32_e32 v105, v96
	v_nop
	s_delay_alu instid0(TRANS32_DEP_1) | instskip(NEXT) | instid1(VALU_DEP_1)
	v_fma_f32 v106, -v96, v105, 1.0
	v_fmac_f32_e32 v105, v106, v105
	s_delay_alu instid0(VALU_DEP_1) | instskip(NEXT) | instid1(VALU_DEP_1)
	v_mul_f32_e32 v106, v107, v105
	v_fma_f32 v108, -v96, v106, v107
	s_delay_alu instid0(VALU_DEP_1) | instskip(NEXT) | instid1(VALU_DEP_1)
	v_fmac_f32_e32 v106, v108, v105
	v_fma_f32 v96, -v96, v106, v107
	s_delay_alu instid0(VALU_DEP_1) | instskip(NEXT) | instid1(VALU_DEP_1)
	v_div_fmas_f32 v96, v96, v105, v106
	v_div_fixup_f32 v97, v96, v97, 1.0
	s_delay_alu instid0(VALU_DEP_1)
	v_mul_f32_e32 v96, v99, v97
	v_xor_b32_e32 v97, 0x80000000, v97
.LBB88_889:
	s_and_not1_saveexec_b32 s1, s1
	s_cbranch_execz .LBB88_891
; %bb.890:
	s_delay_alu instid0(VALU_DEP_1) | instskip(SKIP_1) | instid1(VALU_DEP_2)
	v_div_scale_f32 v99, null, v96, v96, v97
	v_div_scale_f32 v107, vcc_lo, v97, v96, v97
	v_rcp_f32_e32 v105, v99
	v_nop
	s_delay_alu instid0(TRANS32_DEP_1) | instskip(NEXT) | instid1(VALU_DEP_1)
	v_fma_f32 v106, -v99, v105, 1.0
	v_fmac_f32_e32 v105, v106, v105
	s_delay_alu instid0(VALU_DEP_1) | instskip(NEXT) | instid1(VALU_DEP_1)
	v_mul_f32_e32 v106, v107, v105
	v_fma_f32 v108, -v99, v106, v107
	s_delay_alu instid0(VALU_DEP_1) | instskip(NEXT) | instid1(VALU_DEP_1)
	v_fmac_f32_e32 v106, v108, v105
	v_fma_f32 v99, -v99, v106, v107
	s_delay_alu instid0(VALU_DEP_1) | instskip(NEXT) | instid1(VALU_DEP_1)
	v_div_fmas_f32 v99, v99, v105, v106
	v_div_fixup_f32 v99, v99, v96, v97
	s_delay_alu instid0(VALU_DEP_1) | instskip(NEXT) | instid1(VALU_DEP_1)
	v_fmac_f32_e32 v96, v97, v99
	v_div_scale_f32 v97, null, v96, v96, 1.0
	s_delay_alu instid0(VALU_DEP_1) | instskip(SKIP_1) | instid1(TRANS32_DEP_1)
	v_rcp_f32_e32 v105, v97
	v_nop
	v_fma_f32 v106, -v97, v105, 1.0
	s_delay_alu instid0(VALU_DEP_1) | instskip(SKIP_1) | instid1(VALU_DEP_1)
	v_fmac_f32_e32 v105, v106, v105
	v_div_scale_f32 v106, vcc_lo, 1.0, v96, 1.0
	v_mul_f32_e32 v107, v106, v105
	s_delay_alu instid0(VALU_DEP_1) | instskip(NEXT) | instid1(VALU_DEP_1)
	v_fma_f32 v108, -v97, v107, v106
	v_fmac_f32_e32 v107, v108, v105
	s_delay_alu instid0(VALU_DEP_1) | instskip(NEXT) | instid1(VALU_DEP_1)
	v_fma_f32 v97, -v97, v107, v106
	v_div_fmas_f32 v97, v97, v105, v107
	s_delay_alu instid0(VALU_DEP_1) | instskip(NEXT) | instid1(VALU_DEP_1)
	v_div_fixup_f32 v96, v97, v96, 1.0
	v_mul_f32_e64 v97, v99, -v96
.LBB88_891:
	s_or_b32 exec_lo, exec_lo, s1
.LBB88_892:
	s_delay_alu instid0(SALU_CYCLE_1) | instskip(NEXT) | instid1(SALU_CYCLE_1)
	s_or_b32 exec_lo, exec_lo, s0
	s_mov_b32 s0, exec_lo
	v_cmpx_ne_u32_e64 v104, v98
	s_xor_b32 s0, exec_lo, s0
	s_cbranch_execz .LBB88_898
; %bb.893:
	s_mov_b32 s1, exec_lo
	v_cmpx_eq_u32_e32 42, v104
	s_cbranch_execz .LBB88_897
; %bb.894:
	v_cmp_ne_u32_e32 vcc_lo, 42, v98
	s_xor_b32 s12, s16, -1
	s_delay_alu instid0(SALU_CYCLE_1) | instskip(NEXT) | instid1(SALU_CYCLE_1)
	s_and_b32 s13, s12, vcc_lo
	s_and_saveexec_b32 s12, s13
	s_cbranch_execz .LBB88_896
; %bb.895:
	v_ashrrev_i32_e32 v99, 31, v98
	s_delay_alu instid0(VALU_DEP_1)
	v_lshl_add_u64 v[104:105], v[98:99], 2, v[4:5]
	s_clause 0x1
	global_load_b32 v99, v[104:105], off
	global_load_b32 v103, v[4:5], off offset:168
	s_wait_loadcnt 0x1
	global_store_b32 v[4:5], v99, off offset:168
	s_wait_loadcnt 0x0
	global_store_b32 v[104:105], v103, off
.LBB88_896:
	s_wait_xcnt 0x0
	s_or_b32 exec_lo, exec_lo, s12
	v_dual_mov_b32 v104, v98 :: v_dual_mov_b32 v103, v98
.LBB88_897:
	s_or_b32 exec_lo, exec_lo, s1
.LBB88_898:
	s_and_not1_saveexec_b32 s0, s0
; %bb.899:
	v_mov_b32_e32 v104, 42
	ds_store_2addr_b64 v100, v[16:17], v[94:95] offset0:43 offset1:44
; %bb.900:
	s_or_b32 exec_lo, exec_lo, s0
	s_delay_alu instid0(SALU_CYCLE_1)
	s_mov_b32 s0, exec_lo
	s_wait_storecnt_dscnt 0x0
	s_barrier_signal -1
	s_barrier_wait -1
	v_cmpx_lt_i32_e32 42, v104
	s_cbranch_execz .LBB88_902
; %bb.901:
	ds_load_2addr_b64 v[106:109], v100 offset0:43 offset1:44
	v_pk_mul_f32 v[98:99], v[96:97], v[18:19] op_sel:[1,1] op_sel_hi:[0,1]
	s_delay_alu instid0(VALU_DEP_1) | instskip(SKIP_3) | instid1(VALU_DEP_3)
	v_pk_fma_f32 v[110:111], v[96:97], v[18:19], v[98:99] op_sel_hi:[1,0,1]
	v_pk_fma_f32 v[18:19], v[96:97], v[18:19], v[98:99] op_sel_hi:[1,0,1] neg_lo:[0,0,1] neg_hi:[0,0,1]
	s_wait_dscnt 0x0
	v_dual_mov_b32 v112, v109 :: v_dual_mov_b32 v113, v108
	v_pk_mul_f32 v[96:97], v[106:107], v[110:111] op_sel:[0,1]
	s_delay_alu instid0(VALU_DEP_2) | instskip(NEXT) | instid1(VALU_DEP_2)
	v_pk_mul_f32 v[98:99], v[112:113], v[110:111] op_sel:[0,1]
	v_pk_fma_f32 v[112:113], v[106:107], v[18:19], v[96:97] op_sel:[0,0,1] op_sel_hi:[1,0,0]
	v_pk_fma_f32 v[96:97], v[106:107], v[18:19], v[96:97] op_sel:[0,0,1] op_sel_hi:[1,1,0] neg_lo:[0,0,1] neg_hi:[0,0,1]
	s_delay_alu instid0(VALU_DEP_3) | instskip(SKIP_1) | instid1(VALU_DEP_4)
	v_pk_fma_f32 v[114:115], v[108:109], v[18:19], v[98:99] op_sel_hi:[1,0,1]
	v_pk_fma_f32 v[98:99], v[108:109], v[18:19], v[98:99] neg_lo:[0,0,1] neg_hi:[0,0,1]
	v_dual_mov_b32 v97, v113 :: v_dual_mov_b32 v19, v111
	s_delay_alu instid0(VALU_DEP_3) | instskip(NEXT) | instid1(VALU_DEP_2)
	v_mov_b32_e32 v99, v115
	v_pk_add_f32 v[16:17], v[16:17], v[96:97] neg_lo:[0,1] neg_hi:[0,1]
	s_delay_alu instid0(VALU_DEP_2)
	v_pk_add_f32 v[94:95], v[94:95], v[98:99] neg_lo:[0,1] neg_hi:[0,1]
.LBB88_902:
	s_or_b32 exec_lo, exec_lo, s0
	v_lshl_add_u32 v96, v104, 3, v100
	s_barrier_signal -1
	s_barrier_wait -1
	ds_store_b64 v96, v[16:17]
	s_wait_dscnt 0x0
	s_barrier_signal -1
	s_barrier_wait -1
	ds_load_b64 v[96:97], v100 offset:344
	v_mov_b32_e32 v98, 43
	s_cmp_lt_i32 s18, 45
	s_cbranch_scc1 .LBB88_905
; %bb.903:
	v_add3_u32 v99, v101, 0, 0x160
	v_mov_b32_e32 v98, 43
	s_mov_b32 s0, 44
.LBB88_904:                             ; =>This Inner Loop Header: Depth=1
	ds_load_b64 v[106:107], v99
	s_wait_dscnt 0x1
	v_cmp_gt_f32_e32 vcc_lo, 0, v96
	v_cndmask_b32_e64 v108, v96, -v96, vcc_lo
	v_cmp_gt_f32_e32 vcc_lo, 0, v97
	v_cndmask_b32_e64 v110, v97, -v97, vcc_lo
	s_wait_dscnt 0x0
	v_cmp_gt_f32_e32 vcc_lo, 0, v106
	v_cndmask_b32_e64 v109, v106, -v106, vcc_lo
	v_cmp_gt_f32_e32 vcc_lo, 0, v107
	v_cndmask_b32_e64 v111, v107, -v107, vcc_lo
	s_delay_alu instid0(VALU_DEP_1) | instskip(NEXT) | instid1(VALU_DEP_1)
	v_pk_add_f32 v[108:109], v[108:109], v[110:111]
	v_cmp_lt_f32_e32 vcc_lo, v108, v109
	v_dual_cndmask_b32 v96, v96, v106 :: v_dual_add_nc_u32 v99, 8, v99
	v_cndmask_b32_e32 v97, v97, v107, vcc_lo
	v_cndmask_b32_e64 v98, v98, s0, vcc_lo
	s_add_co_i32 s0, s0, 1
	s_delay_alu instid0(SALU_CYCLE_1)
	s_cmp_lg_u32 s18, s0
	s_cbranch_scc1 .LBB88_904
.LBB88_905:
	s_wait_dscnt 0x0
	v_cmp_eq_f32_e32 vcc_lo, 0, v96
	v_cmp_eq_f32_e64 s0, 0, v97
	s_and_b32 s0, vcc_lo, s0
	s_delay_alu instid0(SALU_CYCLE_1) | instskip(NEXT) | instid1(SALU_CYCLE_1)
	s_and_saveexec_b32 s1, s0
	s_xor_b32 s0, exec_lo, s1
; %bb.906:
	v_cmp_ne_u32_e32 vcc_lo, 0, v102
	v_cndmask_b32_e32 v102, 44, v102, vcc_lo
; %bb.907:
	s_and_not1_saveexec_b32 s0, s0
	s_cbranch_execz .LBB88_913
; %bb.908:
	v_cmp_ngt_f32_e64 s1, |v96|, |v97|
	s_and_saveexec_b32 s12, s1
	s_delay_alu instid0(SALU_CYCLE_1)
	s_xor_b32 s1, exec_lo, s12
	s_cbranch_execz .LBB88_910
; %bb.909:
	v_div_scale_f32 v99, null, v97, v97, v96
	v_div_scale_f32 v107, vcc_lo, v96, v97, v96
	s_delay_alu instid0(VALU_DEP_2) | instskip(SKIP_1) | instid1(TRANS32_DEP_1)
	v_rcp_f32_e32 v105, v99
	v_nop
	v_fma_f32 v106, -v99, v105, 1.0
	s_delay_alu instid0(VALU_DEP_1) | instskip(NEXT) | instid1(VALU_DEP_1)
	v_fmac_f32_e32 v105, v106, v105
	v_mul_f32_e32 v106, v107, v105
	s_delay_alu instid0(VALU_DEP_1) | instskip(NEXT) | instid1(VALU_DEP_1)
	v_fma_f32 v108, -v99, v106, v107
	v_fmac_f32_e32 v106, v108, v105
	s_delay_alu instid0(VALU_DEP_1) | instskip(NEXT) | instid1(VALU_DEP_1)
	v_fma_f32 v99, -v99, v106, v107
	v_div_fmas_f32 v99, v99, v105, v106
	s_delay_alu instid0(VALU_DEP_1) | instskip(NEXT) | instid1(VALU_DEP_1)
	v_div_fixup_f32 v99, v99, v97, v96
	v_fmac_f32_e32 v97, v96, v99
	s_delay_alu instid0(VALU_DEP_1) | instskip(SKIP_1) | instid1(VALU_DEP_2)
	v_div_scale_f32 v96, null, v97, v97, 1.0
	v_div_scale_f32 v107, vcc_lo, 1.0, v97, 1.0
	v_rcp_f32_e32 v105, v96
	v_nop
	s_delay_alu instid0(TRANS32_DEP_1) | instskip(NEXT) | instid1(VALU_DEP_1)
	v_fma_f32 v106, -v96, v105, 1.0
	v_fmac_f32_e32 v105, v106, v105
	s_delay_alu instid0(VALU_DEP_1) | instskip(NEXT) | instid1(VALU_DEP_1)
	v_mul_f32_e32 v106, v107, v105
	v_fma_f32 v108, -v96, v106, v107
	s_delay_alu instid0(VALU_DEP_1) | instskip(NEXT) | instid1(VALU_DEP_1)
	v_fmac_f32_e32 v106, v108, v105
	v_fma_f32 v96, -v96, v106, v107
	s_delay_alu instid0(VALU_DEP_1) | instskip(NEXT) | instid1(VALU_DEP_1)
	v_div_fmas_f32 v96, v96, v105, v106
	v_div_fixup_f32 v97, v96, v97, 1.0
	s_delay_alu instid0(VALU_DEP_1)
	v_mul_f32_e32 v96, v99, v97
	v_xor_b32_e32 v97, 0x80000000, v97
.LBB88_910:
	s_and_not1_saveexec_b32 s1, s1
	s_cbranch_execz .LBB88_912
; %bb.911:
	s_delay_alu instid0(VALU_DEP_1) | instskip(SKIP_1) | instid1(VALU_DEP_2)
	v_div_scale_f32 v99, null, v96, v96, v97
	v_div_scale_f32 v107, vcc_lo, v97, v96, v97
	v_rcp_f32_e32 v105, v99
	v_nop
	s_delay_alu instid0(TRANS32_DEP_1) | instskip(NEXT) | instid1(VALU_DEP_1)
	v_fma_f32 v106, -v99, v105, 1.0
	v_fmac_f32_e32 v105, v106, v105
	s_delay_alu instid0(VALU_DEP_1) | instskip(NEXT) | instid1(VALU_DEP_1)
	v_mul_f32_e32 v106, v107, v105
	v_fma_f32 v108, -v99, v106, v107
	s_delay_alu instid0(VALU_DEP_1) | instskip(NEXT) | instid1(VALU_DEP_1)
	v_fmac_f32_e32 v106, v108, v105
	v_fma_f32 v99, -v99, v106, v107
	s_delay_alu instid0(VALU_DEP_1) | instskip(NEXT) | instid1(VALU_DEP_1)
	v_div_fmas_f32 v99, v99, v105, v106
	v_div_fixup_f32 v99, v99, v96, v97
	s_delay_alu instid0(VALU_DEP_1) | instskip(NEXT) | instid1(VALU_DEP_1)
	v_fmac_f32_e32 v96, v97, v99
	v_div_scale_f32 v97, null, v96, v96, 1.0
	s_delay_alu instid0(VALU_DEP_1) | instskip(SKIP_1) | instid1(TRANS32_DEP_1)
	v_rcp_f32_e32 v105, v97
	v_nop
	v_fma_f32 v106, -v97, v105, 1.0
	s_delay_alu instid0(VALU_DEP_1) | instskip(SKIP_1) | instid1(VALU_DEP_1)
	v_fmac_f32_e32 v105, v106, v105
	v_div_scale_f32 v106, vcc_lo, 1.0, v96, 1.0
	v_mul_f32_e32 v107, v106, v105
	s_delay_alu instid0(VALU_DEP_1) | instskip(NEXT) | instid1(VALU_DEP_1)
	v_fma_f32 v108, -v97, v107, v106
	v_fmac_f32_e32 v107, v108, v105
	s_delay_alu instid0(VALU_DEP_1) | instskip(NEXT) | instid1(VALU_DEP_1)
	v_fma_f32 v97, -v97, v107, v106
	v_div_fmas_f32 v97, v97, v105, v107
	s_delay_alu instid0(VALU_DEP_1) | instskip(NEXT) | instid1(VALU_DEP_1)
	v_div_fixup_f32 v96, v97, v96, 1.0
	v_mul_f32_e64 v97, v99, -v96
.LBB88_912:
	s_or_b32 exec_lo, exec_lo, s1
.LBB88_913:
	s_delay_alu instid0(SALU_CYCLE_1) | instskip(NEXT) | instid1(SALU_CYCLE_1)
	s_or_b32 exec_lo, exec_lo, s0
	s_mov_b32 s0, exec_lo
	v_cmpx_ne_u32_e64 v104, v98
	s_xor_b32 s0, exec_lo, s0
	s_cbranch_execz .LBB88_919
; %bb.914:
	s_mov_b32 s1, exec_lo
	v_cmpx_eq_u32_e32 43, v104
	s_cbranch_execz .LBB88_918
; %bb.915:
	v_cmp_ne_u32_e32 vcc_lo, 43, v98
	s_xor_b32 s12, s16, -1
	s_delay_alu instid0(SALU_CYCLE_1) | instskip(NEXT) | instid1(SALU_CYCLE_1)
	s_and_b32 s13, s12, vcc_lo
	s_and_saveexec_b32 s12, s13
	s_cbranch_execz .LBB88_917
; %bb.916:
	v_ashrrev_i32_e32 v99, 31, v98
	s_delay_alu instid0(VALU_DEP_1)
	v_lshl_add_u64 v[104:105], v[98:99], 2, v[4:5]
	s_clause 0x1
	global_load_b32 v99, v[104:105], off
	global_load_b32 v103, v[4:5], off offset:172
	s_wait_loadcnt 0x1
	global_store_b32 v[4:5], v99, off offset:172
	s_wait_loadcnt 0x0
	global_store_b32 v[104:105], v103, off
.LBB88_917:
	s_wait_xcnt 0x0
	s_or_b32 exec_lo, exec_lo, s12
	v_dual_mov_b32 v104, v98 :: v_dual_mov_b32 v103, v98
.LBB88_918:
	s_or_b32 exec_lo, exec_lo, s1
.LBB88_919:
	s_and_not1_saveexec_b32 s0, s0
; %bb.920:
	v_mov_b32_e32 v104, 43
	ds_store_b64 v100, v[94:95] offset:352
; %bb.921:
	s_or_b32 exec_lo, exec_lo, s0
	s_delay_alu instid0(SALU_CYCLE_1)
	s_mov_b32 s0, exec_lo
	s_wait_storecnt_dscnt 0x0
	s_barrier_signal -1
	s_barrier_wait -1
	v_cmpx_lt_i32_e32 43, v104
	s_cbranch_execz .LBB88_923
; %bb.922:
	ds_load_b64 v[98:99], v100 offset:352
	v_pk_mul_f32 v[106:107], v[96:97], v[16:17] op_sel:[1,1] op_sel_hi:[0,1]
	s_delay_alu instid0(VALU_DEP_1) | instskip(SKIP_2) | instid1(VALU_DEP_2)
	v_pk_fma_f32 v[108:109], v[96:97], v[16:17], v[106:107] op_sel_hi:[1,0,1]
	v_pk_fma_f32 v[16:17], v[96:97], v[16:17], v[106:107] op_sel_hi:[1,0,1] neg_lo:[0,0,1] neg_hi:[0,0,1]
	s_wait_dscnt 0x0
	v_pk_mul_f32 v[96:97], v[98:99], v[108:109] op_sel:[1,1] op_sel_hi:[0,1]
	s_delay_alu instid0(VALU_DEP_1) | instskip(SKIP_1) | instid1(VALU_DEP_2)
	v_pk_fma_f32 v[106:107], v[98:99], v[16:17], v[96:97] op_sel_hi:[1,0,1]
	v_pk_fma_f32 v[96:97], v[98:99], v[16:17], v[96:97] neg_lo:[0,0,1] neg_hi:[0,0,1]
	v_dual_mov_b32 v17, v109 :: v_dual_mov_b32 v97, v107
	s_delay_alu instid0(VALU_DEP_1)
	v_pk_add_f32 v[94:95], v[94:95], v[96:97] neg_lo:[0,1] neg_hi:[0,1]
.LBB88_923:
	s_or_b32 exec_lo, exec_lo, s0
	v_lshl_add_u32 v96, v104, 3, v100
	s_barrier_signal -1
	s_barrier_wait -1
	ds_store_b64 v96, v[94:95]
	s_wait_dscnt 0x0
	s_barrier_signal -1
	s_barrier_wait -1
	ds_load_b64 v[96:97], v100 offset:352
	v_mov_b32_e32 v98, 44
	s_cmp_lt_i32 s18, 46
	s_cbranch_scc1 .LBB88_926
; %bb.924:
	v_add3_u32 v99, v101, 0, 0x168
	v_mov_b32_e32 v98, 44
	s_mov_b32 s0, 45
.LBB88_925:                             ; =>This Inner Loop Header: Depth=1
	ds_load_b64 v[100:101], v99
	s_wait_dscnt 0x1
	v_cmp_gt_f32_e32 vcc_lo, 0, v96
	v_cndmask_b32_e64 v106, v96, -v96, vcc_lo
	v_cmp_gt_f32_e32 vcc_lo, 0, v97
	v_cndmask_b32_e64 v108, v97, -v97, vcc_lo
	s_wait_dscnt 0x0
	v_cmp_gt_f32_e32 vcc_lo, 0, v100
	v_cndmask_b32_e64 v107, v100, -v100, vcc_lo
	v_cmp_gt_f32_e32 vcc_lo, 0, v101
	v_cndmask_b32_e64 v109, v101, -v101, vcc_lo
	s_delay_alu instid0(VALU_DEP_1) | instskip(NEXT) | instid1(VALU_DEP_1)
	v_pk_add_f32 v[106:107], v[106:107], v[108:109]
	v_cmp_lt_f32_e32 vcc_lo, v106, v107
	v_dual_add_nc_u32 v99, 8, v99 :: v_dual_cndmask_b32 v97, v97, v101, vcc_lo
	v_cndmask_b32_e32 v96, v96, v100, vcc_lo
	v_cndmask_b32_e64 v98, v98, s0, vcc_lo
	s_add_co_i32 s0, s0, 1
	s_delay_alu instid0(SALU_CYCLE_1)
	s_cmp_lg_u32 s18, s0
	s_cbranch_scc1 .LBB88_925
.LBB88_926:
	s_wait_dscnt 0x0
	v_cmp_eq_f32_e32 vcc_lo, 0, v96
	v_cmp_eq_f32_e64 s0, 0, v97
	s_and_b32 s0, vcc_lo, s0
	s_delay_alu instid0(SALU_CYCLE_1) | instskip(NEXT) | instid1(SALU_CYCLE_1)
	s_and_saveexec_b32 s1, s0
	s_xor_b32 s0, exec_lo, s1
; %bb.927:
	v_cmp_ne_u32_e32 vcc_lo, 0, v102
	v_cndmask_b32_e32 v102, 45, v102, vcc_lo
; %bb.928:
	s_and_not1_saveexec_b32 s0, s0
	s_cbranch_execz .LBB88_934
; %bb.929:
	v_cmp_ngt_f32_e64 s1, |v96|, |v97|
	s_and_saveexec_b32 s12, s1
	s_delay_alu instid0(SALU_CYCLE_1)
	s_xor_b32 s1, exec_lo, s12
	s_cbranch_execz .LBB88_931
; %bb.930:
	v_div_scale_f32 v99, null, v97, v97, v96
	v_div_scale_f32 v105, vcc_lo, v96, v97, v96
	s_delay_alu instid0(VALU_DEP_2) | instskip(SKIP_1) | instid1(TRANS32_DEP_1)
	v_rcp_f32_e32 v100, v99
	v_nop
	v_fma_f32 v101, -v99, v100, 1.0
	s_delay_alu instid0(VALU_DEP_1) | instskip(NEXT) | instid1(VALU_DEP_1)
	v_fmac_f32_e32 v100, v101, v100
	v_mul_f32_e32 v101, v105, v100
	s_delay_alu instid0(VALU_DEP_1) | instskip(NEXT) | instid1(VALU_DEP_1)
	v_fma_f32 v106, -v99, v101, v105
	v_fmac_f32_e32 v101, v106, v100
	s_delay_alu instid0(VALU_DEP_1) | instskip(NEXT) | instid1(VALU_DEP_1)
	v_fma_f32 v99, -v99, v101, v105
	v_div_fmas_f32 v99, v99, v100, v101
	s_delay_alu instid0(VALU_DEP_1) | instskip(NEXT) | instid1(VALU_DEP_1)
	v_div_fixup_f32 v99, v99, v97, v96
	v_fmac_f32_e32 v97, v96, v99
	s_delay_alu instid0(VALU_DEP_1) | instskip(SKIP_1) | instid1(VALU_DEP_2)
	v_div_scale_f32 v96, null, v97, v97, 1.0
	v_div_scale_f32 v105, vcc_lo, 1.0, v97, 1.0
	v_rcp_f32_e32 v100, v96
	v_nop
	s_delay_alu instid0(TRANS32_DEP_1) | instskip(NEXT) | instid1(VALU_DEP_1)
	v_fma_f32 v101, -v96, v100, 1.0
	v_fmac_f32_e32 v100, v101, v100
	s_delay_alu instid0(VALU_DEP_1) | instskip(NEXT) | instid1(VALU_DEP_1)
	v_mul_f32_e32 v101, v105, v100
	v_fma_f32 v106, -v96, v101, v105
	s_delay_alu instid0(VALU_DEP_1) | instskip(NEXT) | instid1(VALU_DEP_1)
	v_fmac_f32_e32 v101, v106, v100
	v_fma_f32 v96, -v96, v101, v105
	s_delay_alu instid0(VALU_DEP_1) | instskip(NEXT) | instid1(VALU_DEP_1)
	v_div_fmas_f32 v96, v96, v100, v101
	v_div_fixup_f32 v97, v96, v97, 1.0
	s_delay_alu instid0(VALU_DEP_1)
	v_mul_f32_e32 v96, v99, v97
	v_xor_b32_e32 v97, 0x80000000, v97
.LBB88_931:
	s_and_not1_saveexec_b32 s1, s1
	s_cbranch_execz .LBB88_933
; %bb.932:
	s_delay_alu instid0(VALU_DEP_1) | instskip(SKIP_1) | instid1(VALU_DEP_2)
	v_div_scale_f32 v99, null, v96, v96, v97
	v_div_scale_f32 v105, vcc_lo, v97, v96, v97
	v_rcp_f32_e32 v100, v99
	v_nop
	s_delay_alu instid0(TRANS32_DEP_1) | instskip(NEXT) | instid1(VALU_DEP_1)
	v_fma_f32 v101, -v99, v100, 1.0
	v_fmac_f32_e32 v100, v101, v100
	s_delay_alu instid0(VALU_DEP_1) | instskip(NEXT) | instid1(VALU_DEP_1)
	v_mul_f32_e32 v101, v105, v100
	v_fma_f32 v106, -v99, v101, v105
	s_delay_alu instid0(VALU_DEP_1) | instskip(NEXT) | instid1(VALU_DEP_1)
	v_fmac_f32_e32 v101, v106, v100
	v_fma_f32 v99, -v99, v101, v105
	s_delay_alu instid0(VALU_DEP_1) | instskip(NEXT) | instid1(VALU_DEP_1)
	v_div_fmas_f32 v99, v99, v100, v101
	v_div_fixup_f32 v99, v99, v96, v97
	s_delay_alu instid0(VALU_DEP_1) | instskip(NEXT) | instid1(VALU_DEP_1)
	v_fmac_f32_e32 v96, v97, v99
	v_div_scale_f32 v97, null, v96, v96, 1.0
	s_delay_alu instid0(VALU_DEP_1) | instskip(SKIP_1) | instid1(TRANS32_DEP_1)
	v_rcp_f32_e32 v100, v97
	v_nop
	v_fma_f32 v101, -v97, v100, 1.0
	s_delay_alu instid0(VALU_DEP_1) | instskip(SKIP_1) | instid1(VALU_DEP_1)
	v_fmac_f32_e32 v100, v101, v100
	v_div_scale_f32 v101, vcc_lo, 1.0, v96, 1.0
	v_mul_f32_e32 v105, v101, v100
	s_delay_alu instid0(VALU_DEP_1) | instskip(NEXT) | instid1(VALU_DEP_1)
	v_fma_f32 v106, -v97, v105, v101
	v_fmac_f32_e32 v105, v106, v100
	s_delay_alu instid0(VALU_DEP_1) | instskip(NEXT) | instid1(VALU_DEP_1)
	v_fma_f32 v97, -v97, v105, v101
	v_div_fmas_f32 v97, v97, v100, v105
	s_delay_alu instid0(VALU_DEP_1) | instskip(NEXT) | instid1(VALU_DEP_1)
	v_div_fixup_f32 v96, v97, v96, 1.0
	v_mul_f32_e64 v97, v99, -v96
.LBB88_933:
	s_or_b32 exec_lo, exec_lo, s1
.LBB88_934:
	s_delay_alu instid0(SALU_CYCLE_1)
	s_or_b32 exec_lo, exec_lo, s0
	v_mov_b32_e32 v100, 44
	s_mov_b32 s0, exec_lo
	v_cmpx_ne_u32_e64 v104, v98
	s_cbranch_execz .LBB88_940
; %bb.935:
	s_mov_b32 s1, exec_lo
	v_cmpx_eq_u32_e32 44, v104
	s_cbranch_execz .LBB88_939
; %bb.936:
	v_cmp_ne_u32_e32 vcc_lo, 44, v98
	s_xor_b32 s12, s16, -1
	s_delay_alu instid0(SALU_CYCLE_1) | instskip(NEXT) | instid1(SALU_CYCLE_1)
	s_and_b32 s13, s12, vcc_lo
	s_and_saveexec_b32 s12, s13
	s_cbranch_execz .LBB88_938
; %bb.937:
	v_ashrrev_i32_e32 v99, 31, v98
	s_delay_alu instid0(VALU_DEP_1)
	v_lshl_add_u64 v[100:101], v[98:99], 2, v[4:5]
	s_clause 0x1
	global_load_b32 v99, v[100:101], off
	global_load_b32 v103, v[4:5], off offset:176
	s_wait_loadcnt 0x1
	global_store_b32 v[4:5], v99, off offset:176
	s_wait_loadcnt 0x0
	global_store_b32 v[100:101], v103, off
.LBB88_938:
	s_wait_xcnt 0x0
	s_or_b32 exec_lo, exec_lo, s12
	v_dual_mov_b32 v104, v98 :: v_dual_mov_b32 v103, v98
.LBB88_939:
	s_or_b32 exec_lo, exec_lo, s1
	s_delay_alu instid0(VALU_DEP_1)
	v_mov_b32_e32 v100, v104
.LBB88_940:
	s_or_b32 exec_lo, exec_lo, s0
	s_delay_alu instid0(VALU_DEP_1)
	v_ashrrev_i32_e32 v101, 31, v100
	s_mov_b32 s0, exec_lo
	s_wait_storecnt 0x0
	s_barrier_signal -1
	s_barrier_wait -1
	s_barrier_signal -1
	s_barrier_wait -1
	v_cmpx_gt_i32_e32 45, v100
	s_cbranch_execz .LBB88_942
; %bb.941:
	v_mul_u64_e32 v[4:5], s[10:11], v[2:3]
	v_add3_u32 v98, v103, s17, 1
	s_delay_alu instid0(VALU_DEP_2) | instskip(NEXT) | instid1(VALU_DEP_1)
	v_lshl_add_u64 v[4:5], v[4:5], 2, s[6:7]
	v_lshl_add_u64 v[4:5], s[8:9], 2, v[4:5]
	s_delay_alu instid0(VALU_DEP_1)
	v_lshl_add_u64 v[4:5], v[100:101], 2, v[4:5]
	global_store_b32 v[4:5], v98, off
.LBB88_942:
	s_wait_xcnt 0x0
	s_or_b32 exec_lo, exec_lo, s0
	s_delay_alu instid0(SALU_CYCLE_1)
	s_mov_b32 s1, exec_lo
	v_cmpx_eq_u32_e32 0, v100
	s_cbranch_execz .LBB88_945
; %bb.943:
	s_wait_kmcnt 0x0
	v_lshl_add_u64 v[2:3], v[2:3], 2, s[4:5]
	v_cmp_ne_u32_e64 s0, 0, v102
	global_load_b32 v4, v[2:3], off
	s_wait_loadcnt 0x0
	v_cmp_eq_u32_e32 vcc_lo, 0, v4
	s_and_b32 s0, vcc_lo, s0
	s_wait_xcnt 0x0
	s_and_b32 exec_lo, exec_lo, s0
	s_cbranch_execz .LBB88_945
; %bb.944:
	v_add_nc_u32_e32 v4, s17, v102
	global_store_b32 v[2:3], v4, off
.LBB88_945:
	s_wait_xcnt 0x0
	s_or_b32 exec_lo, exec_lo, s1
	v_add3_u32 v4, s2, s2, v100
	v_pk_mul_f32 v[2:3], v[96:97], v[94:95] op_sel:[1,1] op_sel_hi:[0,1]
	v_cmp_lt_i32_e32 vcc_lo, 44, v100
	v_lshl_add_u64 v[100:101], v[100:101], 3, v[0:1]
	s_delay_alu instid0(VALU_DEP_4) | instskip(NEXT) | instid1(VALU_DEP_4)
	v_add_nc_u32_e32 v98, s2, v4
	v_pk_fma_f32 v[120:121], v[96:97], v[94:95], v[2:3] op_sel_hi:[1,0,1]
	v_pk_fma_f32 v[2:3], v[96:97], v[94:95], v[2:3] neg_lo:[0,0,1] neg_hi:[0,0,1]
	global_store_b64 v[100:101], v[92:93], off
	s_wait_xcnt 0x0
	v_lshl_add_u64 v[92:93], s[2:3], 3, v[100:101]
	v_dual_cndmask_b32 v3, v95, v121 :: v_dual_add_nc_u32 v102, s2, v98
	v_cndmask_b32_e32 v2, v94, v2, vcc_lo
	s_delay_alu instid0(VALU_DEP_2) | instskip(NEXT) | instid1(VALU_DEP_1)
	v_dual_add_nc_u32 v104, s2, v102 :: v_dual_ashrrev_i32 v5, 31, v4
	v_dual_ashrrev_i32 v99, 31, v98 :: v_dual_add_nc_u32 v106, s2, v104
	s_delay_alu instid0(VALU_DEP_2) | instskip(NEXT) | instid1(VALU_DEP_2)
	v_lshl_add_u64 v[4:5], v[4:5], 3, v[0:1]
	v_lshl_add_u64 v[98:99], v[98:99], 3, v[0:1]
	s_clause 0x2
	global_store_b64 v[92:93], v[90:91], off
	global_store_b64 v[4:5], v[88:89], off
	;; [unrolled: 1-line block ×3, first 2 shown]
	v_add_nc_u32_e32 v108, s2, v106
	v_dual_ashrrev_i32 v103, 31, v102 :: v_dual_ashrrev_i32 v105, 31, v104
	s_delay_alu instid0(VALU_DEP_2) | instskip(SKIP_1) | instid1(VALU_DEP_2)
	v_dual_ashrrev_i32 v107, 31, v106 :: v_dual_add_nc_u32 v110, s2, v108
	s_wait_xcnt 0x1
	v_lshl_add_u64 v[88:89], v[102:103], 3, v[0:1]
	s_delay_alu instid0(VALU_DEP_3) | instskip(NEXT) | instid1(VALU_DEP_3)
	v_lshl_add_u64 v[90:91], v[104:105], 3, v[0:1]
	v_lshl_add_u64 v[92:93], v[106:107], 3, v[0:1]
	v_add_nc_u32_e32 v112, s2, v110
	s_delay_alu instid0(VALU_DEP_1) | instskip(NEXT) | instid1(VALU_DEP_1)
	v_add_nc_u32_e32 v114, s2, v112
	v_dual_add_nc_u32 v116, s2, v114 :: v_dual_ashrrev_i32 v115, 31, v114
	s_delay_alu instid0(VALU_DEP_1) | instskip(SKIP_1) | instid1(VALU_DEP_2)
	v_dual_ashrrev_i32 v117, 31, v116 :: v_dual_add_nc_u32 v118, s2, v116
	v_dual_ashrrev_i32 v111, 31, v110 :: v_dual_ashrrev_i32 v113, 31, v112
	v_dual_add_nc_u32 v120, s2, v118 :: v_dual_ashrrev_i32 v119, 31, v118
	s_delay_alu instid0(VALU_DEP_1) | instskip(NEXT) | instid1(VALU_DEP_1)
	v_dual_add_nc_u32 v96, s2, v120 :: v_dual_ashrrev_i32 v121, 31, v120
	v_add_nc_u32_e32 v94, s2, v96
	s_delay_alu instid0(VALU_DEP_1) | instskip(NEXT) | instid1(VALU_DEP_1)
	v_dual_add_nc_u32 v100, s2, v94 :: v_dual_ashrrev_i32 v95, 31, v94
	v_add_nc_u32_e32 v4, s2, v100
	s_wait_xcnt 0x0
	s_delay_alu instid0(VALU_DEP_1) | instskip(NEXT) | instid1(VALU_DEP_1)
	v_add_nc_u32_e32 v86, s2, v4
	v_dual_ashrrev_i32 v109, 31, v108 :: v_dual_add_nc_u32 v102, s2, v86
	s_delay_alu instid0(VALU_DEP_1)
	v_lshl_add_u64 v[98:99], v[108:109], 3, v[0:1]
	s_clause 0x3
	global_store_b64 v[88:89], v[34:35], off
	global_store_b64 v[90:91], v[26:27], off
	;; [unrolled: 1-line block ×4, first 2 shown]
	s_wait_xcnt 0x1
	v_lshl_add_u64 v[32:33], v[110:111], 3, v[0:1]
	s_wait_xcnt 0x0
	v_add_nc_u32_e32 v24, s2, v102
	v_lshl_add_u64 v[34:35], v[112:113], 3, v[0:1]
	v_lshl_add_u64 v[88:89], v[114:115], 3, v[0:1]
	;; [unrolled: 1-line block ×3, first 2 shown]
	s_clause 0x3
	global_store_b64 v[32:33], v[52:53], off
	global_store_b64 v[34:35], v[44:45], off
	;; [unrolled: 1-line block ×4, first 2 shown]
	v_add_nc_u32_e32 v26, s2, v24
	s_wait_xcnt 0x0
	v_lshl_add_u64 v[42:43], v[118:119], 3, v[0:1]
	v_lshl_add_u64 v[44:45], v[120:121], 3, v[0:1]
	v_dual_ashrrev_i32 v5, 31, v4 :: v_dual_ashrrev_i32 v87, 31, v86
	v_add_nc_u32_e32 v92, s2, v26
	v_lshl_add_u64 v[52:53], v[94:95], 3, v[0:1]
	v_ashrrev_i32_e32 v27, 31, v26
	s_delay_alu instid0(VALU_DEP_4) | instskip(NEXT) | instid1(VALU_DEP_4)
	v_lshl_add_u64 v[4:5], v[4:5], 3, v[0:1]
	v_dual_ashrrev_i32 v103, 31, v102 :: v_dual_add_nc_u32 v32, s2, v92
	s_delay_alu instid0(VALU_DEP_3) | instskip(NEXT) | instid1(VALU_DEP_2)
	v_lshl_add_u64 v[26:27], v[26:27], 3, v[0:1]
	v_add_nc_u32_e32 v34, s2, v32
	v_ashrrev_i32_e32 v97, 31, v96
	v_ashrrev_i32_e32 v25, 31, v24
	s_delay_alu instid0(VALU_DEP_3) | instskip(NEXT) | instid1(VALU_DEP_3)
	v_dual_ashrrev_i32 v33, 31, v32 :: v_dual_add_nc_u32 v88, s2, v34
	v_lshl_add_u64 v[50:51], v[96:97], 3, v[0:1]
	s_clause 0x3
	global_store_b64 v[42:43], v[84:85], off
	global_store_b64 v[44:45], v[80:81], off
	;; [unrolled: 1-line block ×4, first 2 shown]
	s_wait_xcnt 0x3
	v_add_nc_u32_e32 v42, s2, v88
	v_ashrrev_i32_e32 v101, 31, v100
	s_wait_xcnt 0x0
	v_lshl_add_u64 v[52:53], v[86:87], 3, v[0:1]
	v_lshl_add_u64 v[78:79], v[102:103], 3, v[0:1]
	v_dual_ashrrev_i32 v93, 31, v92 :: v_dual_ashrrev_i32 v43, 31, v42
	v_add_nc_u32_e32 v44, s2, v42
	v_lshl_add_u64 v[50:51], v[100:101], 3, v[0:1]
	s_clause 0x3
	global_store_b64 v[50:51], v[76:77], off
	global_store_b64 v[4:5], v[72:73], off
	;; [unrolled: 1-line block ×4, first 2 shown]
	v_dual_add_nc_u32 v80, s2, v44 :: v_dual_ashrrev_i32 v35, 31, v34
	v_lshl_add_u64 v[24:25], v[24:25], 3, v[0:1]
	s_wait_xcnt 0x1
	v_lshl_add_u64 v[52:53], v[92:93], 3, v[0:1]
	v_lshl_add_u64 v[32:33], v[32:33], 3, v[0:1]
	v_add_nc_u32_e32 v4, s2, v80
	s_clause 0x3
	global_store_b64 v[24:25], v[68:69], off
	global_store_b64 v[26:27], v[64:65], off
	;; [unrolled: 1-line block ×4, first 2 shown]
	s_wait_xcnt 0x0
	v_lshl_add_u64 v[32:33], v[34:35], 3, v[0:1]
	v_lshl_add_u64 v[42:43], v[42:43], 3, v[0:1]
	v_add_nc_u32_e32 v50, s2, v4
	s_delay_alu instid0(VALU_DEP_1) | instskip(NEXT) | instid1(VALU_DEP_1)
	v_dual_add_nc_u32 v70, s2, v50 :: v_dual_ashrrev_i32 v45, 31, v44
	v_dual_ashrrev_i32 v71, 31, v70 :: v_dual_add_nc_u32 v24, s2, v70
	v_ashrrev_i32_e32 v5, 31, v4
	v_dual_ashrrev_i32 v89, 31, v88 :: v_dual_ashrrev_i32 v51, 31, v50
	s_delay_alu instid0(VALU_DEP_4) | instskip(NEXT) | instid1(VALU_DEP_4)
	v_lshl_add_u64 v[44:45], v[44:45], 3, v[0:1]
	v_add_nc_u32_e32 v26, s2, v24
	s_delay_alu instid0(VALU_DEP_4) | instskip(NEXT) | instid1(VALU_DEP_4)
	v_lshl_add_u64 v[4:5], v[4:5], 3, v[0:1]
	v_lshl_add_u64 v[34:35], v[88:89], 3, v[0:1]
	s_clause 0x3
	global_store_b64 v[32:33], v[60:61], off
	global_store_b64 v[34:35], v[56:57], off
	;; [unrolled: 1-line block ×4, first 2 shown]
	v_add_nc_u32_e32 v52, s2, v26
	s_wait_xcnt 0x0
	v_lshl_add_u64 v[44:45], v[50:51], 3, v[0:1]
	v_lshl_add_u64 v[50:51], v[70:71], 3, v[0:1]
	s_delay_alu instid0(VALU_DEP_3) | instskip(NEXT) | instid1(VALU_DEP_1)
	v_add_nc_u32_e32 v32, s2, v52
	v_add_nc_u32_e32 v34, s2, v32
	s_delay_alu instid0(VALU_DEP_1) | instskip(SKIP_1) | instid1(VALU_DEP_2)
	v_dual_add_nc_u32 v54, s2, v34 :: v_dual_ashrrev_i32 v81, 31, v80
	v_ashrrev_i32_e32 v27, 31, v26
	v_lshl_add_u64 v[42:43], v[80:81], 3, v[0:1]
	s_clause 0x3
	global_store_b64 v[42:43], v[48:49], off
	global_store_b64 v[4:5], v[40:41], off
	;; [unrolled: 1-line block ×4, first 2 shown]
	s_wait_xcnt 0x2
	v_dual_add_nc_u32 v4, s2, v54 :: v_dual_ashrrev_i32 v33, 31, v32
	v_ashrrev_i32_e32 v35, 31, v34
	v_lshl_add_u64 v[26:27], v[26:27], 3, v[0:1]
	s_delay_alu instid0(VALU_DEP_3)
	v_dual_ashrrev_i32 v55, 31, v54 :: v_dual_ashrrev_i32 v5, 31, v4
	s_wait_xcnt 0x0
	v_add_nc_u32_e32 v38, s2, v4
	v_ashrrev_i32_e32 v25, 31, v24
	v_lshl_add_u64 v[32:33], v[32:33], 3, v[0:1]
	v_lshl_add_u64 v[4:5], v[4:5], 3, v[0:1]
	s_delay_alu instid0(VALU_DEP_4) | instskip(NEXT) | instid1(VALU_DEP_4)
	v_dual_add_nc_u32 v42, s2, v38 :: v_dual_ashrrev_i32 v53, 31, v52
	v_lshl_add_u64 v[24:25], v[24:25], 3, v[0:1]
	s_delay_alu instid0(VALU_DEP_2)
	v_lshl_add_u64 v[40:41], v[52:53], 3, v[0:1]
	s_clause 0x3
	global_store_b64 v[24:25], v[30:31], off
	global_store_b64 v[26:27], v[22:23], off
	;; [unrolled: 1-line block ×4, first 2 shown]
	s_wait_xcnt 0x0
	v_add_nc_u32_e32 v20, s2, v42
	v_ashrrev_i32_e32 v39, 31, v38
	v_lshl_add_u64 v[24:25], v[34:35], 3, v[0:1]
	v_lshl_add_u64 v[26:27], v[54:55], 3, v[0:1]
	s_delay_alu instid0(VALU_DEP_4) | instskip(NEXT) | instid1(VALU_DEP_4)
	v_add_nc_u32_e32 v22, s2, v20
	v_lshl_add_u64 v[28:29], v[38:39], 3, v[0:1]
	s_clause 0x3
	global_store_b64 v[24:25], v[14:15], off
	global_store_b64 v[26:27], v[10:11], off
	;; [unrolled: 1-line block ×4, first 2 shown]
	v_dual_ashrrev_i32 v21, 31, v20 :: v_dual_add_nc_u32 v30, s2, v22
	v_ashrrev_i32_e32 v23, 31, v22
	s_wait_xcnt 0x2
	s_delay_alu instid0(VALU_DEP_2) | instskip(SKIP_4) | instid1(VALU_DEP_3)
	v_lshl_add_u64 v[10:11], v[20:21], 3, v[0:1]
	s_wait_xcnt 0x1
	v_dual_add_nc_u32 v4, s2, v30 :: v_dual_ashrrev_i32 v31, 31, v30
	v_ashrrev_i32_e32 v43, 31, v42
	v_lshl_add_u64 v[12:13], v[22:23], 3, v[0:1]
	v_ashrrev_i32_e32 v5, 31, v4
	s_delay_alu instid0(VALU_DEP_4) | instskip(SKIP_2) | instid1(VALU_DEP_3)
	v_lshl_add_u64 v[14:15], v[30:31], 3, v[0:1]
	s_wait_xcnt 0x0
	v_lshl_add_u64 v[8:9], v[42:43], 3, v[0:1]
	v_lshl_add_u64 v[0:1], v[4:5], 3, v[0:1]
	s_clause 0x4
	global_store_b64 v[8:9], v[6:7], off
	global_store_b64 v[10:11], v[36:37], off
	;; [unrolled: 1-line block ×5, first 2 shown]
.LBB88_946:
	s_sendmsg sendmsg(MSG_DEALLOC_VGPRS)
	s_endpgm
	.section	.rodata,"a",@progbits
	.p2align	6, 0x0
	.amdhsa_kernel _ZN9rocsolver6v33100L18getf2_small_kernelILi45E19rocblas_complex_numIfEiiPS3_EEvT1_T3_lS5_lPS5_llPT2_S5_S5_S7_l
		.amdhsa_group_segment_fixed_size 0
		.amdhsa_private_segment_fixed_size 0
		.amdhsa_kernarg_size 352
		.amdhsa_user_sgpr_count 2
		.amdhsa_user_sgpr_dispatch_ptr 0
		.amdhsa_user_sgpr_queue_ptr 0
		.amdhsa_user_sgpr_kernarg_segment_ptr 1
		.amdhsa_user_sgpr_dispatch_id 0
		.amdhsa_user_sgpr_kernarg_preload_length 0
		.amdhsa_user_sgpr_kernarg_preload_offset 0
		.amdhsa_user_sgpr_private_segment_size 0
		.amdhsa_wavefront_size32 1
		.amdhsa_uses_dynamic_stack 0
		.amdhsa_enable_private_segment 0
		.amdhsa_system_sgpr_workgroup_id_x 1
		.amdhsa_system_sgpr_workgroup_id_y 1
		.amdhsa_system_sgpr_workgroup_id_z 0
		.amdhsa_system_sgpr_workgroup_info 0
		.amdhsa_system_vgpr_workitem_id 1
		.amdhsa_next_free_vgpr 130
		.amdhsa_next_free_sgpr 19
		.amdhsa_named_barrier_count 0
		.amdhsa_reserve_vcc 1
		.amdhsa_float_round_mode_32 0
		.amdhsa_float_round_mode_16_64 0
		.amdhsa_float_denorm_mode_32 3
		.amdhsa_float_denorm_mode_16_64 3
		.amdhsa_fp16_overflow 0
		.amdhsa_memory_ordered 1
		.amdhsa_forward_progress 1
		.amdhsa_inst_pref_size 255
		.amdhsa_round_robin_scheduling 0
		.amdhsa_exception_fp_ieee_invalid_op 0
		.amdhsa_exception_fp_denorm_src 0
		.amdhsa_exception_fp_ieee_div_zero 0
		.amdhsa_exception_fp_ieee_overflow 0
		.amdhsa_exception_fp_ieee_underflow 0
		.amdhsa_exception_fp_ieee_inexact 0
		.amdhsa_exception_int_div_zero 0
	.end_amdhsa_kernel
	.section	.text._ZN9rocsolver6v33100L18getf2_small_kernelILi45E19rocblas_complex_numIfEiiPS3_EEvT1_T3_lS5_lPS5_llPT2_S5_S5_S7_l,"axG",@progbits,_ZN9rocsolver6v33100L18getf2_small_kernelILi45E19rocblas_complex_numIfEiiPS3_EEvT1_T3_lS5_lPS5_llPT2_S5_S5_S7_l,comdat
.Lfunc_end88:
	.size	_ZN9rocsolver6v33100L18getf2_small_kernelILi45E19rocblas_complex_numIfEiiPS3_EEvT1_T3_lS5_lPS5_llPT2_S5_S5_S7_l, .Lfunc_end88-_ZN9rocsolver6v33100L18getf2_small_kernelILi45E19rocblas_complex_numIfEiiPS3_EEvT1_T3_lS5_lPS5_llPT2_S5_S5_S7_l
                                        ; -- End function
	.set _ZN9rocsolver6v33100L18getf2_small_kernelILi45E19rocblas_complex_numIfEiiPS3_EEvT1_T3_lS5_lPS5_llPT2_S5_S5_S7_l.num_vgpr, 130
	.set _ZN9rocsolver6v33100L18getf2_small_kernelILi45E19rocblas_complex_numIfEiiPS3_EEvT1_T3_lS5_lPS5_llPT2_S5_S5_S7_l.num_agpr, 0
	.set _ZN9rocsolver6v33100L18getf2_small_kernelILi45E19rocblas_complex_numIfEiiPS3_EEvT1_T3_lS5_lPS5_llPT2_S5_S5_S7_l.numbered_sgpr, 19
	.set _ZN9rocsolver6v33100L18getf2_small_kernelILi45E19rocblas_complex_numIfEiiPS3_EEvT1_T3_lS5_lPS5_llPT2_S5_S5_S7_l.num_named_barrier, 0
	.set _ZN9rocsolver6v33100L18getf2_small_kernelILi45E19rocblas_complex_numIfEiiPS3_EEvT1_T3_lS5_lPS5_llPT2_S5_S5_S7_l.private_seg_size, 0
	.set _ZN9rocsolver6v33100L18getf2_small_kernelILi45E19rocblas_complex_numIfEiiPS3_EEvT1_T3_lS5_lPS5_llPT2_S5_S5_S7_l.uses_vcc, 1
	.set _ZN9rocsolver6v33100L18getf2_small_kernelILi45E19rocblas_complex_numIfEiiPS3_EEvT1_T3_lS5_lPS5_llPT2_S5_S5_S7_l.uses_flat_scratch, 0
	.set _ZN9rocsolver6v33100L18getf2_small_kernelILi45E19rocblas_complex_numIfEiiPS3_EEvT1_T3_lS5_lPS5_llPT2_S5_S5_S7_l.has_dyn_sized_stack, 0
	.set _ZN9rocsolver6v33100L18getf2_small_kernelILi45E19rocblas_complex_numIfEiiPS3_EEvT1_T3_lS5_lPS5_llPT2_S5_S5_S7_l.has_recursion, 0
	.set _ZN9rocsolver6v33100L18getf2_small_kernelILi45E19rocblas_complex_numIfEiiPS3_EEvT1_T3_lS5_lPS5_llPT2_S5_S5_S7_l.has_indirect_call, 0
	.section	.AMDGPU.csdata,"",@progbits
; Kernel info:
; codeLenInByte = 102632
; TotalNumSgprs: 21
; NumVgprs: 130
; ScratchSize: 0
; MemoryBound: 0
; FloatMode: 240
; IeeeMode: 1
; LDSByteSize: 0 bytes/workgroup (compile time only)
; SGPRBlocks: 0
; VGPRBlocks: 8
; NumSGPRsForWavesPerEU: 21
; NumVGPRsForWavesPerEU: 130
; NamedBarCnt: 0
; Occupancy: 7
; WaveLimiterHint : 0
; COMPUTE_PGM_RSRC2:SCRATCH_EN: 0
; COMPUTE_PGM_RSRC2:USER_SGPR: 2
; COMPUTE_PGM_RSRC2:TRAP_HANDLER: 0
; COMPUTE_PGM_RSRC2:TGID_X_EN: 1
; COMPUTE_PGM_RSRC2:TGID_Y_EN: 1
; COMPUTE_PGM_RSRC2:TGID_Z_EN: 0
; COMPUTE_PGM_RSRC2:TIDIG_COMP_CNT: 1
	.section	.text._ZN9rocsolver6v33100L23getf2_npvt_small_kernelILi45E19rocblas_complex_numIfEiiPS3_EEvT1_T3_lS5_lPT2_S5_S5_,"axG",@progbits,_ZN9rocsolver6v33100L23getf2_npvt_small_kernelILi45E19rocblas_complex_numIfEiiPS3_EEvT1_T3_lS5_lPT2_S5_S5_,comdat
	.globl	_ZN9rocsolver6v33100L23getf2_npvt_small_kernelILi45E19rocblas_complex_numIfEiiPS3_EEvT1_T3_lS5_lPT2_S5_S5_ ; -- Begin function _ZN9rocsolver6v33100L23getf2_npvt_small_kernelILi45E19rocblas_complex_numIfEiiPS3_EEvT1_T3_lS5_lPT2_S5_S5_
	.p2align	8
	.type	_ZN9rocsolver6v33100L23getf2_npvt_small_kernelILi45E19rocblas_complex_numIfEiiPS3_EEvT1_T3_lS5_lPT2_S5_S5_,@function
_ZN9rocsolver6v33100L23getf2_npvt_small_kernelILi45E19rocblas_complex_numIfEiiPS3_EEvT1_T3_lS5_lPT2_S5_S5_: ; @_ZN9rocsolver6v33100L23getf2_npvt_small_kernelILi45E19rocblas_complex_numIfEiiPS3_EEvT1_T3_lS5_lPT2_S5_S5_
; %bb.0:
	s_clause 0x1
	s_load_u16 s14, s[0:1], 0x46
	s_load_b64 s[2:3], s[0:1], 0x30
	s_bfe_u32 s4, ttmp6, 0x40010
	s_bfe_u32 s5, ttmp6, 0x40004
	s_add_co_i32 s4, s4, 1
	s_getreg_b32 s6, hwreg(HW_REG_IB_STS2, 6, 4)
	s_mul_i32 s4, ttmp7, s4
	v_bfe_u32 v39, v0, 10, 10
	s_add_co_i32 s5, s5, s4
	s_cmp_eq_u32 s6, 0
	s_cselect_b32 s4, ttmp7, s5
	s_wait_kmcnt 0x0
	v_mad_u32 v178, s4, s14, v39
	s_delay_alu instid0(VALU_DEP_1)
	v_cmp_gt_i32_e32 vcc_lo, s2, v178
	s_and_saveexec_b32 s2, vcc_lo
	s_cbranch_execz .LBB89_408
; %bb.1:
	s_clause 0x1
	s_load_b32 s12, s[0:1], 0x18
	s_load_b128 s[8:11], s[0:1], 0x8
	v_and_b32_e32 v38, 0x3ff, v0
	s_load_b128 s[4:7], s[0:1], 0x20
	s_mulk_i32 s14, 0x168
	v_mov_b32_e32 v31, 0
	s_wait_xcnt 0x0
	v_cmp_ne_u32_e64 s1, 0, v38
	v_cmp_eq_u32_e64 s0, 0, v38
	s_wait_kmcnt 0x0
	v_add3_u32 v28, s12, s12, v38
	s_ashr_i32 s13, s12, 31
	s_delay_alu instid0(VALU_DEP_1) | instskip(NEXT) | instid1(VALU_DEP_1)
	v_add_nc_u32_e32 v18, s12, v28
	v_add_nc_u32_e32 v20, s12, v18
	s_delay_alu instid0(VALU_DEP_1) | instskip(NEXT) | instid1(VALU_DEP_1)
	v_add_nc_u32_e32 v22, s12, v20
	v_dual_add_nc_u32 v24, s12, v22 :: v_dual_ashrrev_i32 v29, 31, v28
	s_delay_alu instid0(VALU_DEP_1) | instskip(NEXT) | instid1(VALU_DEP_1)
	v_dual_ashrrev_i32 v19, 31, v18 :: v_dual_add_nc_u32 v12, s12, v24
	v_add_nc_u32_e32 v26, s12, v12
	s_delay_alu instid0(VALU_DEP_1) | instskip(SKIP_1) | instid1(VALU_DEP_2)
	v_dual_add_nc_u32 v14, s12, v26 :: v_dual_ashrrev_i32 v21, 31, v20
	v_dual_ashrrev_i32 v23, 31, v22 :: v_dual_ashrrev_i32 v13, 31, v12
	v_dual_ashrrev_i32 v15, 31, v14 :: v_dual_add_nc_u32 v8, s12, v14
	v_ashrrev_i32_e32 v179, 31, v178
	s_delay_alu instid0(VALU_DEP_2) | instskip(NEXT) | instid1(VALU_DEP_2)
	v_dual_ashrrev_i32 v27, 31, v26 :: v_dual_add_nc_u32 v0, s12, v8
	v_mul_u64_e32 v[16:17], s[4:5], v[178:179]
	v_ashrrev_i32_e32 v9, 31, v8
	s_delay_alu instid0(VALU_DEP_3) | instskip(NEXT) | instid1(VALU_DEP_1)
	v_dual_add_nc_u32 v4, s12, v0 :: v_dual_ashrrev_i32 v1, 31, v0
	v_add_nc_u32_e32 v2, s12, v4
	s_delay_alu instid0(VALU_DEP_1) | instskip(NEXT) | instid1(VALU_DEP_1)
	v_dual_add_nc_u32 v6, s12, v2 :: v_dual_ashrrev_i32 v5, 31, v4
	v_add_nc_u32_e32 v10, s12, v6
	v_ashrrev_i32_e32 v3, 31, v2
	v_ashrrev_i32_e32 v7, 31, v6
	s_delay_alu instid0(VALU_DEP_3) | instskip(SKIP_1) | instid1(VALU_DEP_2)
	v_add_nc_u32_e32 v32, s12, v10
	v_lshlrev_b32_e32 v30, 3, v38
	v_dual_ashrrev_i32 v11, 31, v10 :: v_dual_add_nc_u32 v40, s12, v32
	v_lshl_add_u64 v[16:17], v[16:17], 3, s[8:9]
	s_delay_alu instid0(VALU_DEP_2) | instskip(SKIP_1) | instid1(VALU_DEP_3)
	v_add_nc_u32_e32 v42, s12, v40
	v_ashrrev_i32_e32 v25, 31, v24
	v_lshl_add_u64 v[152:153], s[10:11], 3, v[16:17]
	s_delay_alu instid0(VALU_DEP_3) | instskip(NEXT) | instid1(VALU_DEP_2)
	v_dual_add_nc_u32 v44, s12, v42 :: v_dual_ashrrev_i32 v43, 31, v42
	v_lshl_add_u64 v[46:47], v[20:21], 3, v[152:153]
	v_lshl_add_u64 v[36:37], v[18:19], 3, v[152:153]
	s_delay_alu instid0(VALU_DEP_3)
	v_add_nc_u32_e32 v60, s12, v44
	v_lshl_add_u64 v[18:19], v[12:13], 3, v[152:153]
	v_add_nc_u64_e32 v[16:17], v[152:153], v[30:31]
	v_lshl_add_u64 v[34:35], v[28:29], 3, v[152:153]
	v_lshl_add_u64 v[28:29], v[22:23], 3, v[152:153]
	v_add_nc_u32_e32 v20, s12, v60
	v_lshl_add_u64 v[30:31], v[24:25], 3, v[152:153]
	v_lshl_add_u64 v[22:23], v[26:27], 3, v[152:153]
	;; [unrolled: 1-line block ×3, first 2 shown]
	scratch_store_b64 off, v[46:47], off offset:32 ; 8-byte Folded Spill
	v_add_nc_u32_e32 v12, s12, v20
	s_clause 0x2
	global_load_b64 v[58:59], v[46:47], off
	global_load_b64 v[50:51], v[28:29], off
	;; [unrolled: 1-line block ×3, first 2 shown]
	s_clause 0x3
	scratch_store_b64 off, v[18:19], off offset:8
	scratch_store_b64 off, v[36:37], off offset:24
	;; [unrolled: 1-line block ×3, first 2 shown]
	scratch_store_b64 off, v[34:35], off
	v_add_nc_u32_e32 v14, s12, v12
	s_clause 0x2
	global_load_b64 v[48:49], v[18:19], off
	global_load_b64 v[46:47], v[22:23], off
	;; [unrolled: 1-line block ×3, first 2 shown]
	v_lshl_add_u64 v[26:27], s[12:13], 3, v[16:17]
	s_wait_xcnt 0x2
	v_lshl_add_u64 v[18:19], v[8:9], 3, v[152:153]
	v_add_nc_u32_e32 v8, s12, v14
	s_wait_xcnt 0x1
	v_lshl_add_u64 v[22:23], v[6:7], 3, v[152:153]
	s_clause 0x2
	global_load_b64 v[56:57], v[34:35], off
	global_load_b64 v[94:95], v[26:27], off
	;; [unrolled: 1-line block ×3, first 2 shown]
	s_clause 0x1
	scratch_store_b64 off, v[26:27], off offset:72
	scratch_store_b64 off, v[22:23], off offset:88
	s_clause 0x1
	global_load_b64 v[54:55], v[36:37], off
	global_load_b64 v[36:37], v[22:23], off
	v_lshl_add_u64 v[26:27], v[0:1], 3, v[152:153]
	v_add_nc_u32_e32 v0, s12, v8
	v_lshl_add_u64 v[34:35], v[4:5], 3, v[152:153]
	s_clause 0x2
	scratch_store_b64 off, v[24:25], off offset:40
	scratch_store_b64 off, v[18:19], off offset:48
	;; [unrolled: 1-line block ×3, first 2 shown]
	v_add_nc_u32_e32 v4, s12, v0
	s_wait_xcnt 0x1
	v_lshl_add_u64 v[18:19], v[2:3], 3, v[152:153]
	v_lshl_add_u64 v[10:11], v[10:11], 3, v[152:153]
	s_clause 0x3
	global_load_b64 v[78:79], v[24:25], off
	global_load_b64 v[76:77], v[26:27], off
	;; [unrolled: 1-line block ×4, first 2 shown]
	v_add_nc_u32_e32 v2, s12, v4
	v_ashrrev_i32_e32 v33, 31, v32
	s_clause 0x2
	scratch_store_b64 off, v[34:35], off offset:64
	scratch_store_b64 off, v[18:19], off offset:80
	;; [unrolled: 1-line block ×3, first 2 shown]
	v_dual_add_nc_u32 v6, s12, v2 :: v_dual_ashrrev_i32 v41, 31, v40
	global_load_b64 v[34:35], v[10:11], off
	v_ashrrev_i32_e32 v9, 31, v8
	v_dual_ashrrev_i32 v13, 31, v12 :: v_dual_ashrrev_i32 v3, 31, v2
	s_wait_xcnt 0x0
	v_dual_add_nc_u32 v10, s12, v6 :: v_dual_ashrrev_i32 v61, 31, v60
	s_delay_alu instid0(VALU_DEP_3) | instskip(NEXT) | instid1(VALU_DEP_3)
	v_lshl_add_u64 v[74:75], v[8:9], 3, v[152:153]
	v_lshl_add_u64 v[70:71], v[12:13], 3, v[152:153]
	v_ashrrev_i32_e32 v15, 31, v14
	s_delay_alu instid0(VALU_DEP_4) | instskip(SKIP_2) | instid1(VALU_DEP_3)
	v_dual_add_nc_u32 v22, s12, v10 :: v_dual_ashrrev_i32 v21, 31, v20
	v_dual_ashrrev_i32 v1, 31, v0 :: v_dual_ashrrev_i32 v11, 31, v10
	v_ashrrev_i32_e32 v7, 31, v6
	v_add_nc_u32_e32 v24, s12, v22
	s_delay_alu instid0(VALU_DEP_4) | instskip(NEXT) | instid1(VALU_DEP_4)
	v_lshl_add_u64 v[68:69], v[20:21], 3, v[152:153]
	v_lshl_add_u64 v[90:91], v[0:1], 3, v[152:153]
	v_dual_ashrrev_i32 v5, 31, v4 :: v_dual_ashrrev_i32 v23, 31, v22
	s_delay_alu instid0(VALU_DEP_4) | instskip(SKIP_2) | instid1(VALU_DEP_4)
	v_add_nc_u32_e32 v120, s12, v24
	v_lshl_add_u64 v[98:99], v[2:3], 3, v[152:153]
	v_lshl_add_u64 v[100:101], v[6:7], 3, v[152:153]
	;; [unrolled: 1-line block ×4, first 2 shown]
	v_add_nc_u32_e32 v20, s12, v120
	v_lshl_add_u64 v[72:73], v[14:15], 3, v[152:153]
	v_ashrrev_i32_e32 v45, 31, v44
	v_lshl_add_u64 v[32:33], v[32:33], 3, v[152:153]
	v_lshl_add_u64 v[18:19], v[40:41], 3, v[152:153]
	v_add_nc_u32_e32 v8, s12, v20
	v_lshl_add_u64 v[40:41], v[42:43], 3, v[152:153]
	v_lshl_add_u64 v[42:43], v[44:45], 3, v[152:153]
	;; [unrolled: 1-line block ×4, first 2 shown]
	v_add_nc_u32_e32 v12, s12, v8
	s_clause 0xb
	global_load_b64 v[66:67], v[32:33], off
	global_load_b64 v[62:63], v[18:19], off
	;; [unrolled: 1-line block ×12, first 2 shown]
	v_add_nc_u32_e32 v0, s12, v12
	s_delay_alu instid0(VALU_DEP_1) | instskip(NEXT) | instid1(VALU_DEP_1)
	v_add_nc_u32_e32 v2, s12, v0
	v_dual_add_nc_u32 v4, s12, v2 :: v_dual_ashrrev_i32 v9, 31, v8
	s_delay_alu instid0(VALU_DEP_1) | instskip(NEXT) | instid1(VALU_DEP_2)
	v_dual_add_nc_u32 v6, s12, v4 :: v_dual_ashrrev_i32 v5, 31, v4
	v_lshl_add_u64 v[132:133], v[8:9], 3, v[152:153]
	s_delay_alu instid0(VALU_DEP_2) | instskip(SKIP_2) | instid1(VALU_DEP_3)
	v_dual_ashrrev_i32 v21, 31, v20 :: v_dual_ashrrev_i32 v7, 31, v6
	v_dual_add_nc_u32 v10, s12, v6 :: v_dual_ashrrev_i32 v1, 31, v0
	v_ashrrev_i32_e32 v13, 31, v12
	v_lshl_add_u64 v[130:131], v[20:21], 3, v[152:153]
	v_lshl_add_u64 v[140:141], v[4:5], 3, v[152:153]
	s_delay_alu instid0(VALU_DEP_4) | instskip(SKIP_2) | instid1(VALU_DEP_3)
	v_dual_add_nc_u32 v14, s12, v10 :: v_dual_ashrrev_i32 v25, 31, v24
	v_dual_ashrrev_i32 v121, 31, v120 :: v_dual_ashrrev_i32 v3, 31, v2
	v_lshl_add_u64 v[136:137], v[0:1], 3, v[152:153]
	v_add_nc_u32_e32 v8, s12, v14
	v_ashrrev_i32_e32 v11, 31, v10
	s_delay_alu instid0(VALU_DEP_4) | instskip(SKIP_1) | instid1(VALU_DEP_4)
	v_lshl_add_u64 v[120:121], v[120:121], 3, v[152:153]
	v_lshl_add_u64 v[138:139], v[2:3], 3, v[152:153]
	v_dual_ashrrev_i32 v15, 31, v14 :: v_dual_ashrrev_i32 v9, 31, v8
	v_add_nc_u32_e32 v0, s12, v8
	v_lshl_add_u64 v[118:119], v[24:25], 3, v[152:153]
	v_lshl_add_u64 v[134:135], v[12:13], 3, v[152:153]
	;; [unrolled: 1-line block ×4, first 2 shown]
	v_dual_add_nc_u32 v2, s12, v0 :: v_dual_ashrrev_i32 v1, 31, v0
	s_clause 0x7
	global_load_b64 v[128:129], v[100:101], off
	global_load_b64 v[124:125], v[114:115], off
	;; [unrolled: 1-line block ×8, first 2 shown]
	v_lshl_add_u64 v[156:157], v[14:15], 3, v[152:153]
	v_ashrrev_i32_e32 v3, 31, v2
	v_lshl_add_u64 v[158:159], v[8:9], 3, v[152:153]
	v_lshl_add_u64 v[160:161], v[0:1], 3, v[152:153]
	v_lshlrev_b32_e32 v0, 3, v39
	v_mad_u32_u24 v20, 0x168, v39, 0
	v_lshl_add_u64 v[152:153], v[2:3], 3, v[152:153]
	s_clause 0x8
	global_load_b64 v[174:175], v[136:137], off
	global_load_b64 v[166:167], v[138:139], off
	;; [unrolled: 1-line block ×9, first 2 shown]
	v_add3_u32 v39, 0, s14, v0
	s_wait_xcnt 0x0
	s_and_saveexec_b32 s4, s0
	s_cbranch_execz .LBB89_8
; %bb.2:
	s_wait_loadcnt 0x27
	ds_store_b64 v39, v[92:93]
	s_wait_loadcnt 0x25
	ds_store_2addr_b64 v20, v[94:95], v[56:57] offset0:1 offset1:2
	s_wait_loadcnt 0x23
	ds_store_2addr_b64 v20, v[54:55], v[58:59] offset0:3 offset1:4
	ds_store_2addr_b64 v20, v[50:51], v[52:53] offset0:5 offset1:6
	;; [unrolled: 1-line block ×3, first 2 shown]
	s_wait_loadcnt 0x21
	ds_store_2addr_b64 v20, v[78:79], v[80:81] offset0:9 offset1:10
	s_wait_loadcnt 0x1f
	ds_store_2addr_b64 v20, v[76:77], v[104:105] offset0:11 offset1:12
	;; [unrolled: 2-line block ×18, first 2 shown]
	ds_load_b64 v[0:1], v39
	s_wait_dscnt 0x0
	v_cmp_neq_f32_e32 vcc_lo, 0, v0
	v_cmp_neq_f32_e64 s2, 0, v1
	s_or_b32 s2, vcc_lo, s2
	s_delay_alu instid0(SALU_CYCLE_1)
	s_and_b32 exec_lo, exec_lo, s2
	s_cbranch_execz .LBB89_8
; %bb.3:
	v_cmp_ngt_f32_e64 s2, |v0|, |v1|
                                        ; implicit-def: $vgpr2_vgpr3
	s_and_saveexec_b32 s5, s2
	s_delay_alu instid0(SALU_CYCLE_1)
	s_xor_b32 s2, exec_lo, s5
	s_cbranch_execz .LBB89_5
; %bb.4:
	v_div_scale_f32 v2, null, v1, v1, v0
	v_div_scale_f32 v5, vcc_lo, v0, v1, v0
	s_delay_alu instid0(VALU_DEP_2) | instskip(SKIP_1) | instid1(TRANS32_DEP_1)
	v_rcp_f32_e32 v3, v2
	v_nop
	v_fma_f32 v4, -v2, v3, 1.0
	s_delay_alu instid0(VALU_DEP_1) | instskip(NEXT) | instid1(VALU_DEP_1)
	v_fmac_f32_e32 v3, v4, v3
	v_mul_f32_e32 v4, v5, v3
	s_delay_alu instid0(VALU_DEP_1) | instskip(NEXT) | instid1(VALU_DEP_1)
	v_fma_f32 v6, -v2, v4, v5
	v_fmac_f32_e32 v4, v6, v3
	s_delay_alu instid0(VALU_DEP_1) | instskip(NEXT) | instid1(VALU_DEP_1)
	v_fma_f32 v2, -v2, v4, v5
	v_div_fmas_f32 v2, v2, v3, v4
	s_delay_alu instid0(VALU_DEP_1) | instskip(NEXT) | instid1(VALU_DEP_1)
	v_div_fixup_f32 v2, v2, v1, v0
	v_fmac_f32_e32 v1, v0, v2
	s_delay_alu instid0(VALU_DEP_1) | instskip(SKIP_1) | instid1(VALU_DEP_2)
	v_div_scale_f32 v0, null, v1, v1, 1.0
	v_div_scale_f32 v5, vcc_lo, 1.0, v1, 1.0
	v_rcp_f32_e32 v3, v0
	v_nop
	s_delay_alu instid0(TRANS32_DEP_1) | instskip(NEXT) | instid1(VALU_DEP_1)
	v_fma_f32 v4, -v0, v3, 1.0
	v_fmac_f32_e32 v3, v4, v3
	s_delay_alu instid0(VALU_DEP_1) | instskip(NEXT) | instid1(VALU_DEP_1)
	v_mul_f32_e32 v4, v5, v3
	v_fma_f32 v6, -v0, v4, v5
	s_delay_alu instid0(VALU_DEP_1) | instskip(NEXT) | instid1(VALU_DEP_1)
	v_fmac_f32_e32 v4, v6, v3
	v_fma_f32 v0, -v0, v4, v5
	s_delay_alu instid0(VALU_DEP_1) | instskip(NEXT) | instid1(VALU_DEP_1)
	v_div_fmas_f32 v0, v0, v3, v4
	v_div_fixup_f32 v0, v0, v1, 1.0
	s_delay_alu instid0(VALU_DEP_1)
	v_mul_f32_e32 v2, v2, v0
	v_xor_b32_e32 v3, 0x80000000, v0
                                        ; implicit-def: $vgpr0_vgpr1
.LBB89_5:
	s_and_not1_saveexec_b32 s2, s2
	s_cbranch_execz .LBB89_7
; %bb.6:
	v_div_scale_f32 v2, null, v0, v0, v1
	v_div_scale_f32 v5, vcc_lo, v1, v0, v1
	s_delay_alu instid0(VALU_DEP_2) | instskip(SKIP_1) | instid1(TRANS32_DEP_1)
	v_rcp_f32_e32 v3, v2
	v_nop
	v_fma_f32 v4, -v2, v3, 1.0
	s_delay_alu instid0(VALU_DEP_1) | instskip(NEXT) | instid1(VALU_DEP_1)
	v_fmac_f32_e32 v3, v4, v3
	v_mul_f32_e32 v4, v5, v3
	s_delay_alu instid0(VALU_DEP_1) | instskip(NEXT) | instid1(VALU_DEP_1)
	v_fma_f32 v6, -v2, v4, v5
	v_fmac_f32_e32 v4, v6, v3
	s_delay_alu instid0(VALU_DEP_1) | instskip(NEXT) | instid1(VALU_DEP_1)
	v_fma_f32 v2, -v2, v4, v5
	v_div_fmas_f32 v2, v2, v3, v4
	s_delay_alu instid0(VALU_DEP_1) | instskip(NEXT) | instid1(VALU_DEP_1)
	v_div_fixup_f32 v3, v2, v0, v1
	v_fmac_f32_e32 v0, v1, v3
	s_delay_alu instid0(VALU_DEP_1) | instskip(NEXT) | instid1(VALU_DEP_1)
	v_div_scale_f32 v1, null, v0, v0, 1.0
	v_rcp_f32_e32 v2, v1
	v_nop
	s_delay_alu instid0(TRANS32_DEP_1) | instskip(NEXT) | instid1(VALU_DEP_1)
	v_fma_f32 v4, -v1, v2, 1.0
	v_fmac_f32_e32 v2, v4, v2
	v_div_scale_f32 v4, vcc_lo, 1.0, v0, 1.0
	s_delay_alu instid0(VALU_DEP_1) | instskip(NEXT) | instid1(VALU_DEP_1)
	v_mul_f32_e32 v5, v4, v2
	v_fma_f32 v6, -v1, v5, v4
	s_delay_alu instid0(VALU_DEP_1) | instskip(NEXT) | instid1(VALU_DEP_1)
	v_fmac_f32_e32 v5, v6, v2
	v_fma_f32 v1, -v1, v5, v4
	s_delay_alu instid0(VALU_DEP_1) | instskip(NEXT) | instid1(VALU_DEP_1)
	v_div_fmas_f32 v1, v1, v2, v5
	v_div_fixup_f32 v2, v1, v0, 1.0
	s_delay_alu instid0(VALU_DEP_1)
	v_mul_f32_e64 v3, v3, -v2
.LBB89_7:
	s_or_b32 exec_lo, exec_lo, s2
	ds_store_b64 v39, v[2:3]
.LBB89_8:
	s_or_b32 exec_lo, exec_lo, s4
	s_wait_storecnt 0x0
	s_wait_loadcnt_dscnt 0x0
	s_barrier_signal -1
	s_barrier_wait -1
	ds_load_b64 v[182:183], v39
	s_and_saveexec_b32 s2, s1
	s_cbranch_execz .LBB89_10
; %bb.9:
	ds_load_2addr_b64 v[4:7], v20 offset0:1 offset1:2
	ds_load_2addr_b64 v[8:11], v20 offset0:3 offset1:4
	;; [unrolled: 1-line block ×3, first 2 shown]
	s_wait_dscnt 0x3
	v_pk_mul_f32 v[2:3], v[182:183], v[92:93] op_sel:[1,1] op_sel_hi:[0,1]
	ds_load_2addr_b64 v[184:187], v20 offset0:7 offset1:8
	ds_load_2addr_b64 v[188:191], v20 offset0:9 offset1:10
	v_pk_fma_f32 v[0:1], v[182:183], v[92:93], v[2:3] op_sel_hi:[1,0,1] neg_lo:[0,0,1] neg_hi:[0,0,1]
	v_pk_fma_f32 v[2:3], v[182:183], v[92:93], v[2:3] op_sel_hi:[1,0,1]
	s_delay_alu instid0(VALU_DEP_1) | instskip(SKIP_1) | instid1(VALU_DEP_2)
	v_dual_mov_b32 v92, v0 :: v_dual_mov_b32 v93, v3
	s_wait_dscnt 0x4
	v_pk_mul_f32 v[22:23], v[4:5], v[2:3] op_sel:[0,1]
	v_pk_mul_f32 v[24:25], v[6:7], v[2:3] op_sel:[0,1]
	s_wait_dscnt 0x3
	v_pk_mul_f32 v[192:193], v[8:9], v[2:3] op_sel:[0,1]
	v_dual_mov_b32 v194, v11 :: v_dual_mov_b32 v195, v10
	v_dual_mul_f32 v196, v11, v3 :: v_dual_mul_f32 v198, v11, v0
	v_pk_fma_f32 v[204:205], v[4:5], v[0:1], v[22:23] op_sel:[0,0,1] op_sel_hi:[1,1,0] neg_lo:[0,0,1] neg_hi:[0,0,1]
	v_pk_fma_f32 v[4:5], v[4:5], v[0:1], v[22:23] op_sel:[0,0,1] op_sel_hi:[1,0,0]
	v_pk_fma_f32 v[22:23], v[6:7], v[0:1], v[24:25] op_sel:[0,0,1] op_sel_hi:[1,1,0] neg_lo:[0,0,1] neg_hi:[0,0,1]
	v_pk_fma_f32 v[6:7], v[6:7], v[0:1], v[24:25] op_sel:[0,0,1] op_sel_hi:[1,0,0]
	v_pk_fma_f32 v[24:25], v[8:9], v[0:1], v[192:193] op_sel:[0,0,1] op_sel_hi:[1,1,0] neg_lo:[0,0,1] neg_hi:[0,0,1]
	v_pk_fma_f32 v[8:9], v[8:9], v[0:1], v[192:193] op_sel:[0,0,1] op_sel_hi:[1,0,0]
	v_pk_fma_f32 v[192:193], v[194:195], v[92:93], v[198:199] op_sel_hi:[1,1,0]
	s_wait_dscnt 0x2
	v_pk_mul_f32 v[200:201], v[12:13], v[2:3] op_sel:[0,1]
	v_pk_mul_f32 v[202:203], v[14:15], v[2:3] op_sel:[0,1]
	v_pk_fma_f32 v[10:11], v[10:11], v[92:93], v[196:197] op_sel_hi:[1,1,0] neg_lo:[0,0,1] neg_hi:[0,0,1]
	v_dual_mov_b32 v205, v5 :: v_dual_mov_b32 v23, v7
	v_dual_mov_b32 v25, v9 :: v_dual_mov_b32 v11, v193
	ds_load_2addr_b64 v[4:7], v20 offset0:11 offset1:12
	v_pk_fma_f32 v[8:9], v[12:13], v[0:1], v[200:201] op_sel:[0,0,1] op_sel_hi:[1,0,0]
	v_pk_add_f32 v[56:57], v[56:57], v[22:23] neg_lo:[0,1] neg_hi:[0,1]
	v_pk_fma_f32 v[22:23], v[14:15], v[0:1], v[202:203] op_sel:[0,0,1] op_sel_hi:[1,0,0]
	v_pk_add_f32 v[58:59], v[58:59], v[10:11] neg_lo:[0,1] neg_hi:[0,1]
	s_wait_dscnt 0x2
	v_pk_mul_f32 v[10:11], v[184:185], v[2:3] op_sel:[0,1]
	v_pk_fma_f32 v[12:13], v[12:13], v[0:1], v[200:201] op_sel:[0,0,1] op_sel_hi:[1,1,0] neg_lo:[0,0,1] neg_hi:[0,0,1]
	v_pk_fma_f32 v[14:15], v[14:15], v[0:1], v[202:203] op_sel:[0,0,1] op_sel_hi:[1,1,0] neg_lo:[0,0,1] neg_hi:[0,0,1]
	v_dual_mov_b32 v13, v9 :: v_dual_mov_b32 v15, v23
	v_pk_mul_f32 v[22:23], v[186:187], v[2:3] op_sel:[0,1]
	v_pk_fma_f32 v[8:9], v[184:185], v[0:1], v[10:11] op_sel:[0,0,1] op_sel_hi:[1,0,0]
	v_pk_add_f32 v[54:55], v[54:55], v[24:25] neg_lo:[0,1] neg_hi:[0,1]
	v_pk_fma_f32 v[24:25], v[184:185], v[0:1], v[10:11] op_sel:[0,0,1] op_sel_hi:[1,1,0] neg_lo:[0,0,1] neg_hi:[0,0,1]
	v_pk_add_f32 v[50:51], v[50:51], v[12:13] neg_lo:[0,1] neg_hi:[0,1]
	v_pk_fma_f32 v[12:13], v[186:187], v[0:1], v[22:23] op_sel:[0,0,1] op_sel_hi:[1,0,0]
	v_mov_b32_e32 v25, v9
	ds_load_2addr_b64 v[8:11], v20 offset0:13 offset1:14
	s_wait_dscnt 0x2
	v_mul_f32_e32 v12, v189, v0
	v_pk_add_f32 v[52:53], v[52:53], v[14:15] neg_lo:[0,1] neg_hi:[0,1]
	v_pk_fma_f32 v[14:15], v[186:187], v[0:1], v[22:23] op_sel:[0,0,1] op_sel_hi:[1,1,0] neg_lo:[0,0,1] neg_hi:[0,0,1]
	v_mul_f32_e32 v22, v189, v3
	v_mov_b32_e32 v15, v13
	v_pk_add_f32 v[48:49], v[48:49], v[24:25] neg_lo:[0,1] neg_hi:[0,1]
	v_pk_mul_f32 v[24:25], v[190:191], v[2:3] op_sel:[0,1]
	v_pk_fma_f32 v[12:13], v[188:189], v[92:93], v[12:13] op_sel:[1,0,0] op_sel_hi:[0,1,0]
	s_wait_dscnt 0x1
	v_pk_mul_f32 v[184:185], v[4:5], v[2:3] op_sel:[0,1]
	v_pk_fma_f32 v[22:23], v[188:189], v[92:93], v[22:23] op_sel_hi:[1,1,0] neg_lo:[0,0,1] neg_hi:[0,0,1]
	v_pk_add_f32 v[46:47], v[46:47], v[14:15] neg_lo:[0,1] neg_hi:[0,1]
	v_pk_fma_f32 v[186:187], v[190:191], v[0:1], v[24:25] op_sel:[0,0,1] op_sel_hi:[1,0,0]
	v_mov_b32_e32 v23, v13
	ds_load_2addr_b64 v[12:15], v20 offset0:15 offset1:16
	v_pk_fma_f32 v[188:189], v[4:5], v[0:1], v[184:185] op_sel:[0,0,1] op_sel_hi:[1,0,0]
	v_pk_fma_f32 v[4:5], v[4:5], v[0:1], v[184:185] op_sel:[0,0,1] op_sel_hi:[1,1,0] neg_lo:[0,0,1] neg_hi:[0,0,1]
	v_pk_mul_f32 v[184:185], v[6:7], v[2:3] op_sel:[0,1]
	v_pk_fma_f32 v[24:25], v[190:191], v[0:1], v[24:25] op_sel:[0,0,1] op_sel_hi:[1,1,0] neg_lo:[0,0,1] neg_hi:[0,0,1]
	v_mov_b32_e32 v25, v187
	v_pk_add_f32 v[78:79], v[78:79], v[22:23] neg_lo:[0,1] neg_hi:[0,1]
	s_wait_dscnt 0x1
	v_pk_mul_f32 v[186:187], v[8:9], v[2:3] op_sel:[0,1]
	v_pk_fma_f32 v[22:23], v[6:7], v[0:1], v[184:185] op_sel:[0,0,1] op_sel_hi:[1,0,0]
	v_mov_b32_e32 v5, v189
	v_pk_fma_f32 v[184:185], v[6:7], v[0:1], v[184:185] op_sel:[0,0,1] op_sel_hi:[1,1,0] neg_lo:[0,0,1] neg_hi:[0,0,1]
	v_pk_add_f32 v[80:81], v[80:81], v[24:25] neg_lo:[0,1] neg_hi:[0,1]
	v_pk_fma_f32 v[24:25], v[8:9], v[0:1], v[186:187] op_sel:[0,0,1] op_sel_hi:[1,0,0]
	v_mov_b32_e32 v185, v23
	v_pk_add_f32 v[76:77], v[76:77], v[4:5] neg_lo:[0,1] neg_hi:[0,1]
	ds_load_2addr_b64 v[4:7], v20 offset0:17 offset1:18
	v_pk_fma_f32 v[8:9], v[8:9], v[0:1], v[186:187] op_sel:[0,0,1] op_sel_hi:[1,1,0] neg_lo:[0,0,1] neg_hi:[0,0,1]
	v_dual_mov_b32 v9, v25 :: v_dual_mov_b32 v22, v11
	v_dual_mov_b32 v23, v10 :: v_dual_mul_f32 v24, v11, v0
	s_wait_dscnt 0x1
	v_pk_mul_f32 v[188:189], v[12:13], v[2:3] op_sel:[0,1]
	v_pk_add_f32 v[104:105], v[104:105], v[184:185] neg_lo:[0,1] neg_hi:[0,1]
	v_pk_add_f32 v[102:103], v[102:103], v[8:9] neg_lo:[0,1] neg_hi:[0,1]
	ds_load_2addr_b64 v[184:187], v20 offset0:19 offset1:20
	v_pk_fma_f32 v[22:23], v[22:23], v[92:93], v[24:25] op_sel_hi:[1,1,0]
	v_pk_fma_f32 v[24:25], v[12:13], v[0:1], v[188:189] op_sel:[0,0,1] op_sel_hi:[1,0,0]
	v_mul_f32_e32 v8, v11, v3
	v_pk_mul_f32 v[190:191], v[14:15], v[2:3] op_sel:[0,1]
	v_pk_fma_f32 v[12:13], v[12:13], v[0:1], v[188:189] op_sel:[0,0,1] op_sel_hi:[1,1,0] neg_lo:[0,0,1] neg_hi:[0,0,1]
	v_pk_add_f32 v[94:95], v[94:95], v[204:205] neg_lo:[0,1] neg_hi:[0,1]
	v_mov_b32_e32 v13, v25
	v_pk_fma_f32 v[192:193], v[10:11], v[92:93], v[8:9] op_sel_hi:[1,1,0] neg_lo:[0,0,1] neg_hi:[0,0,1]
	v_mov_b32_e32 v193, v23
	v_pk_fma_f32 v[22:23], v[14:15], v[0:1], v[190:191] op_sel:[0,0,1] op_sel_hi:[1,0,0]
	s_wait_dscnt 0x1
	v_pk_mul_f32 v[24:25], v[4:5], v[2:3] op_sel:[0,1]
	ds_load_2addr_b64 v[8:11], v20 offset0:21 offset1:22
	v_pk_fma_f32 v[14:15], v[14:15], v[0:1], v[190:191] op_sel:[0,0,1] op_sel_hi:[1,1,0] neg_lo:[0,0,1] neg_hi:[0,0,1]
	v_pk_add_f32 v[34:35], v[34:35], v[12:13] neg_lo:[0,1] neg_hi:[0,1]
	v_mov_b32_e32 v15, v23
	v_pk_mul_f32 v[22:23], v[6:7], v[2:3] op_sel:[0,1]
	v_pk_fma_f32 v[188:189], v[4:5], v[0:1], v[24:25] op_sel:[0,0,1] op_sel_hi:[1,0,0]
	v_pk_fma_f32 v[4:5], v[4:5], v[0:1], v[24:25] op_sel:[0,0,1] op_sel_hi:[1,1,0] neg_lo:[0,0,1] neg_hi:[0,0,1]
	v_pk_add_f32 v[36:37], v[36:37], v[192:193] neg_lo:[0,1] neg_hi:[0,1]
	v_pk_add_f32 v[66:67], v[66:67], v[14:15] neg_lo:[0,1] neg_hi:[0,1]
	v_pk_fma_f32 v[24:25], v[6:7], v[0:1], v[22:23] op_sel:[0,0,1] op_sel_hi:[1,0,0]
	v_mov_b32_e32 v5, v189
	ds_load_2addr_b64 v[12:15], v20 offset0:23 offset1:24
	v_pk_fma_f32 v[6:7], v[6:7], v[0:1], v[22:23] op_sel:[0,0,1] op_sel_hi:[1,1,0] neg_lo:[0,0,1] neg_hi:[0,0,1]
	s_wait_dscnt 0x2
	v_dual_mul_f32 v22, v185, v0 :: v_dual_mul_f32 v24, v185, v3
	v_mov_b32_e32 v7, v25
	v_pk_add_f32 v[62:63], v[62:63], v[4:5] neg_lo:[0,1] neg_hi:[0,1]
	v_pk_mul_f32 v[4:5], v[186:187], v[2:3] op_sel:[0,1]
	s_delay_alu instid0(VALU_DEP_4)
	v_pk_fma_f32 v[22:23], v[184:185], v[92:93], v[22:23] op_sel:[1,0,0] op_sel_hi:[0,1,0]
	v_pk_fma_f32 v[24:25], v[184:185], v[92:93], v[24:25] op_sel_hi:[1,1,0] neg_lo:[0,0,1] neg_hi:[0,0,1]
	v_pk_add_f32 v[64:65], v[64:65], v[6:7] neg_lo:[0,1] neg_hi:[0,1]
	s_wait_dscnt 0x1
	v_pk_mul_f32 v[188:189], v[8:9], v[2:3] op_sel:[0,1]
	v_pk_fma_f32 v[6:7], v[186:187], v[0:1], v[4:5] op_sel:[0,0,1] op_sel_hi:[1,0,0]
	v_mov_b32_e32 v25, v23
	v_pk_fma_f32 v[22:23], v[186:187], v[0:1], v[4:5] op_sel:[0,0,1] op_sel_hi:[1,1,0] neg_lo:[0,0,1] neg_hi:[0,0,1]
	v_pk_mul_f32 v[186:187], v[10:11], v[2:3] op_sel:[0,1]
	v_pk_fma_f32 v[184:185], v[8:9], v[0:1], v[188:189] op_sel:[0,0,1] op_sel_hi:[1,0,0]
	v_mov_b32_e32 v23, v7
	ds_load_2addr_b64 v[4:7], v20 offset0:25 offset1:26
	v_pk_fma_f32 v[8:9], v[8:9], v[0:1], v[188:189] op_sel:[0,0,1] op_sel_hi:[1,1,0] neg_lo:[0,0,1] neg_hi:[0,0,1]
	v_pk_add_f32 v[60:61], v[60:61], v[24:25] neg_lo:[0,1] neg_hi:[0,1]
	s_wait_dscnt 0x1
	v_mul_f32_e32 v188, v15, v3
	v_pk_add_f32 v[88:89], v[88:89], v[22:23] neg_lo:[0,1] neg_hi:[0,1]
	v_pk_fma_f32 v[22:23], v[10:11], v[0:1], v[186:187] op_sel:[0,0,1] op_sel_hi:[1,0,0]
	v_mov_b32_e32 v9, v185
	v_pk_mul_f32 v[184:185], v[12:13], v[2:3] op_sel:[0,1]
	v_pk_fma_f32 v[186:187], v[10:11], v[0:1], v[186:187] op_sel:[0,0,1] op_sel_hi:[1,1,0] neg_lo:[0,0,1] neg_hi:[0,0,1]
	s_delay_alu instid0(VALU_DEP_4) | instskip(NEXT) | instid1(VALU_DEP_4)
	v_dual_mov_b32 v22, v15 :: v_dual_mov_b32 v187, v23
	v_pk_add_f32 v[84:85], v[84:85], v[8:9] neg_lo:[0,1] neg_hi:[0,1]
	s_delay_alu instid0(VALU_DEP_4)
	v_pk_fma_f32 v[24:25], v[12:13], v[0:1], v[184:185] op_sel:[0,0,1] op_sel_hi:[1,0,0]
	ds_load_2addr_b64 v[8:11], v20 offset0:27 offset1:28
	v_pk_fma_f32 v[12:13], v[12:13], v[0:1], v[184:185] op_sel:[0,0,1] op_sel_hi:[1,1,0] neg_lo:[0,0,1] neg_hi:[0,0,1]
	v_dual_mov_b32 v23, v14 :: v_dual_mul_f32 v24, v15, v0
	v_mov_b32_e32 v13, v25
	v_pk_add_f32 v[86:87], v[86:87], v[186:187] neg_lo:[0,1] neg_hi:[0,1]
	ds_load_2addr_b64 v[184:187], v20 offset0:29 offset1:30
	v_pk_fma_f32 v[188:189], v[14:15], v[92:93], v[188:189] op_sel_hi:[1,1,0] neg_lo:[0,0,1] neg_hi:[0,0,1]
	v_pk_fma_f32 v[22:23], v[22:23], v[92:93], v[24:25] op_sel_hi:[1,1,0]
	v_pk_add_f32 v[82:83], v[82:83], v[12:13] neg_lo:[0,1] neg_hi:[0,1]
	s_wait_dscnt 0x2
	v_pk_mul_f32 v[12:13], v[4:5], v[2:3] op_sel:[0,1]
	v_pk_mul_f32 v[24:25], v[6:7], v[2:3] op_sel:[0,1]
	s_delay_alu instid0(VALU_DEP_2) | instskip(SKIP_2) | instid1(VALU_DEP_4)
	v_pk_fma_f32 v[190:191], v[4:5], v[0:1], v[12:13] op_sel:[0,0,1] op_sel_hi:[1,0,0]
	v_pk_fma_f32 v[4:5], v[4:5], v[0:1], v[12:13] op_sel:[0,0,1] op_sel_hi:[1,1,0] neg_lo:[0,0,1] neg_hi:[0,0,1]
	v_mov_b32_e32 v189, v23
	v_pk_fma_f32 v[22:23], v[6:7], v[0:1], v[24:25] op_sel:[0,0,1] op_sel_hi:[1,0,0]
	v_pk_fma_f32 v[6:7], v[6:7], v[0:1], v[24:25] op_sel:[0,0,1] op_sel_hi:[1,1,0] neg_lo:[0,0,1] neg_hi:[0,0,1]
	v_mov_b32_e32 v5, v191
	s_wait_dscnt 0x1
	v_pk_mul_f32 v[190:191], v[8:9], v[2:3] op_sel:[0,1]
	ds_load_2addr_b64 v[12:15], v20 offset0:31 offset1:32
	v_mov_b32_e32 v7, v23
	v_pk_mul_f32 v[22:23], v[10:11], v[2:3] op_sel:[0,1]
	v_pk_add_f32 v[112:113], v[112:113], v[188:189] neg_lo:[0,1] neg_hi:[0,1]
	v_pk_fma_f32 v[24:25], v[8:9], v[0:1], v[190:191] op_sel:[0,0,1] op_sel_hi:[1,0,0]
	v_pk_fma_f32 v[8:9], v[8:9], v[0:1], v[190:191] op_sel:[0,0,1] op_sel_hi:[1,1,0] neg_lo:[0,0,1] neg_hi:[0,0,1]
	v_pk_add_f32 v[108:109], v[108:109], v[4:5] neg_lo:[0,1] neg_hi:[0,1]
	v_pk_fma_f32 v[188:189], v[10:11], v[0:1], v[22:23] op_sel:[0,0,1] op_sel_hi:[1,0,0]
	s_wait_dscnt 0x1
	v_mul_f32_e32 v24, v185, v0
	v_mov_b32_e32 v9, v25
	v_pk_add_f32 v[110:111], v[110:111], v[6:7] neg_lo:[0,1] neg_hi:[0,1]
	ds_load_2addr_b64 v[4:7], v20 offset0:33 offset1:34
	v_pk_fma_f32 v[10:11], v[10:11], v[0:1], v[22:23] op_sel:[0,0,1] op_sel_hi:[1,1,0] neg_lo:[0,0,1] neg_hi:[0,0,1]
	v_pk_fma_f32 v[22:23], v[184:185], v[92:93], v[24:25] op_sel:[1,0,0] op_sel_hi:[0,1,0]
	v_pk_add_f32 v[106:107], v[106:107], v[8:9] neg_lo:[0,1] neg_hi:[0,1]
	v_mul_f32_e32 v8, v185, v3
	v_mov_b32_e32 v11, v189
	v_pk_mul_f32 v[24:25], v[186:187], v[2:3] op_sel:[0,1]
	s_delay_alu instid0(VALU_DEP_3) | instskip(SKIP_1) | instid1(VALU_DEP_4)
	v_pk_fma_f32 v[184:185], v[184:185], v[92:93], v[8:9] op_sel_hi:[1,1,0] neg_lo:[0,0,1] neg_hi:[0,0,1]
	v_mov_b32_e32 v185, v23
	v_pk_add_f32 v[128:129], v[128:129], v[10:11] neg_lo:[0,1] neg_hi:[0,1]
	ds_load_2addr_b64 v[8:11], v20 offset0:35 offset1:36
	s_wait_dscnt 0x2
	v_pk_mul_f32 v[188:189], v[12:13], v[2:3] op_sel:[0,1]
	v_pk_fma_f32 v[22:23], v[186:187], v[0:1], v[24:25] op_sel:[0,0,1] op_sel_hi:[1,0,0]
	v_pk_mul_f32 v[190:191], v[14:15], v[2:3] op_sel:[0,1]
	v_pk_fma_f32 v[24:25], v[186:187], v[0:1], v[24:25] op_sel:[0,0,1] op_sel_hi:[1,1,0] neg_lo:[0,0,1] neg_hi:[0,0,1]
	v_pk_add_f32 v[124:125], v[124:125], v[184:185] neg_lo:[0,1] neg_hi:[0,1]
	v_pk_fma_f32 v[192:193], v[12:13], v[0:1], v[188:189] op_sel:[0,0,1] op_sel_hi:[1,0,0]
	v_mov_b32_e32 v25, v23
	v_pk_fma_f32 v[22:23], v[14:15], v[0:1], v[190:191] op_sel:[0,0,1] op_sel_hi:[1,0,0]
	s_wait_dscnt 0x1
	v_pk_mul_f32 v[186:187], v[4:5], v[2:3] op_sel:[0,1]
	v_pk_fma_f32 v[12:13], v[12:13], v[0:1], v[188:189] op_sel:[0,0,1] op_sel_hi:[1,1,0] neg_lo:[0,0,1] neg_hi:[0,0,1]
	v_pk_fma_f32 v[14:15], v[14:15], v[0:1], v[190:191] op_sel:[0,0,1] op_sel_hi:[1,1,0] neg_lo:[0,0,1] neg_hi:[0,0,1]
	v_dual_mov_b32 v13, v193 :: v_dual_mov_b32 v15, v23
	s_delay_alu instid0(VALU_DEP_4) | instskip(SKIP_2) | instid1(VALU_DEP_4)
	v_pk_fma_f32 v[22:23], v[4:5], v[0:1], v[186:187] op_sel:[0,0,1] op_sel_hi:[1,0,0]
	v_pk_fma_f32 v[4:5], v[4:5], v[0:1], v[186:187] op_sel:[0,0,1] op_sel_hi:[1,1,0] neg_lo:[0,0,1] neg_hi:[0,0,1]
	v_pk_add_f32 v[126:127], v[126:127], v[24:25] neg_lo:[0,1] neg_hi:[0,1]
	v_pk_add_f32 v[122:123], v[122:123], v[12:13] neg_lo:[0,1] neg_hi:[0,1]
	;; [unrolled: 1-line block ×3, first 2 shown]
	ds_load_2addr_b64 v[12:15], v20 offset0:37 offset1:38
	v_dual_mov_b32 v5, v23 :: v_dual_mov_b32 v22, v7
	s_wait_dscnt 0x1
	v_pk_mul_f32 v[188:189], v[8:9], v[2:3] op_sel:[0,1]
	v_dual_mov_b32 v23, v6 :: v_dual_mul_f32 v24, v7, v0
	s_delay_alu instid0(VALU_DEP_3) | instskip(SKIP_1) | instid1(VALU_DEP_4)
	v_pk_add_f32 v[146:147], v[146:147], v[4:5] neg_lo:[0,1] neg_hi:[0,1]
	v_pk_mul_f32 v[192:193], v[10:11], v[2:3] op_sel:[0,1]
	v_pk_fma_f32 v[4:5], v[8:9], v[0:1], v[188:189] op_sel:[0,0,1] op_sel_hi:[1,0,0]
	v_mul_f32_e32 v190, v7, v3
	v_pk_fma_f32 v[22:23], v[22:23], v[92:93], v[24:25] op_sel_hi:[1,1,0]
	v_pk_fma_f32 v[8:9], v[8:9], v[0:1], v[188:189] op_sel:[0,0,1] op_sel_hi:[1,1,0] neg_lo:[0,0,1] neg_hi:[0,0,1]
	ds_load_2addr_b64 v[184:187], v20 offset0:39 offset1:40
	v_mov_b32_e32 v9, v5
	v_pk_fma_f32 v[6:7], v[6:7], v[92:93], v[190:191] op_sel_hi:[1,1,0] neg_lo:[0,0,1] neg_hi:[0,0,1]
	v_pk_fma_f32 v[24:25], v[10:11], v[0:1], v[192:193] op_sel:[0,0,1] op_sel_hi:[1,0,0]
	v_mov_b32_e32 v7, v23
	v_pk_fma_f32 v[10:11], v[10:11], v[0:1], v[192:193] op_sel:[0,0,1] op_sel_hi:[1,1,0] neg_lo:[0,0,1] neg_hi:[0,0,1]
	v_pk_add_f32 v[144:145], v[144:145], v[8:9] neg_lo:[0,1] neg_hi:[0,1]
	s_delay_alu instid0(VALU_DEP_4) | instskip(NEXT) | instid1(VALU_DEP_4)
	v_mov_b32_e32 v11, v25
	v_pk_add_f32 v[148:149], v[148:149], v[6:7] neg_lo:[0,1] neg_hi:[0,1]
	ds_load_2addr_b64 v[4:7], v20 offset0:41 offset1:42
	s_wait_dscnt 0x2
	v_pk_mul_f32 v[22:23], v[12:13], v[2:3] op_sel:[0,1]
	v_pk_mul_f32 v[188:189], v[14:15], v[2:3] op_sel:[0,1]
	v_pk_add_f32 v[174:175], v[174:175], v[10:11] neg_lo:[0,1] neg_hi:[0,1]
	ds_load_2addr_b64 v[8:11], v20 offset0:43 offset1:44
	v_pk_fma_f32 v[24:25], v[12:13], v[0:1], v[22:23] op_sel:[0,0,1] op_sel_hi:[1,0,0]
	v_pk_fma_f32 v[12:13], v[12:13], v[0:1], v[22:23] op_sel:[0,0,1] op_sel_hi:[1,1,0] neg_lo:[0,0,1] neg_hi:[0,0,1]
	v_pk_fma_f32 v[22:23], v[14:15], v[0:1], v[188:189] op_sel:[0,0,1] op_sel_hi:[1,0,0]
	v_pk_fma_f32 v[14:15], v[14:15], v[0:1], v[188:189] op_sel:[0,0,1] op_sel_hi:[1,1,0] neg_lo:[0,0,1] neg_hi:[0,0,1]
	s_wait_dscnt 0x2
	v_dual_mul_f32 v24, v185, v0 :: v_dual_mul_f32 v22, v185, v3
	s_delay_alu instid0(VALU_DEP_3) | instskip(SKIP_1) | instid1(VALU_DEP_3)
	v_dual_mov_b32 v13, v25 :: v_dual_mov_b32 v15, v23
	v_pk_mul_f32 v[188:189], v[186:187], v[2:3] op_sel:[0,1]
	v_pk_fma_f32 v[24:25], v[184:185], v[92:93], v[24:25] op_sel:[1,0,0] op_sel_hi:[0,1,0]
	s_delay_alu instid0(VALU_DEP_4) | instskip(NEXT) | instid1(VALU_DEP_4)
	v_pk_fma_f32 v[22:23], v[184:185], v[92:93], v[22:23] op_sel_hi:[1,1,0] neg_lo:[0,0,1] neg_hi:[0,0,1]
	v_pk_add_f32 v[166:167], v[166:167], v[12:13] neg_lo:[0,1] neg_hi:[0,1]
	v_pk_add_f32 v[172:173], v[172:173], v[14:15] neg_lo:[0,1] neg_hi:[0,1]
	v_pk_fma_f32 v[12:13], v[186:187], v[0:1], v[188:189] op_sel:[0,0,1] op_sel_hi:[1,0,0]
	s_wait_dscnt 0x1
	v_pk_mul_f32 v[14:15], v[4:5], v[2:3] op_sel:[0,1]
	v_mov_b32_e32 v23, v25
	s_wait_dscnt 0x0
	v_pk_mul_f32 v[184:185], v[8:9], v[2:3] op_sel:[0,1]
	s_delay_alu instid0(VALU_DEP_3) | instskip(SKIP_1) | instid1(VALU_DEP_2)
	v_pk_fma_f32 v[24:25], v[4:5], v[0:1], v[14:15] op_sel:[0,0,1] op_sel_hi:[1,0,0]
	v_pk_fma_f32 v[4:5], v[4:5], v[0:1], v[14:15] op_sel:[0,0,1] op_sel_hi:[1,1,0] neg_lo:[0,0,1] neg_hi:[0,0,1]
	v_mov_b32_e32 v5, v25
	v_pk_add_f32 v[164:165], v[164:165], v[22:23] neg_lo:[0,1] neg_hi:[0,1]
	v_pk_fma_f32 v[22:23], v[186:187], v[0:1], v[188:189] op_sel:[0,0,1] op_sel_hi:[1,1,0] neg_lo:[0,0,1] neg_hi:[0,0,1]
	v_mov_b32_e32 v23, v13
	v_pk_mul_f32 v[12:13], v[6:7], v[2:3] op_sel:[0,1]
	v_pk_mul_f32 v[2:3], v[10:11], v[2:3] op_sel:[0,1]
	v_pk_fma_f32 v[24:25], v[8:9], v[0:1], v[184:185] op_sel:[0,0,1] op_sel_hi:[1,0,0]
	v_pk_fma_f32 v[8:9], v[8:9], v[0:1], v[184:185] op_sel:[0,0,1] op_sel_hi:[1,1,0] neg_lo:[0,0,1] neg_hi:[0,0,1]
	v_pk_add_f32 v[162:163], v[162:163], v[4:5] neg_lo:[0,1] neg_hi:[0,1]
	v_pk_fma_f32 v[14:15], v[6:7], v[0:1], v[12:13] op_sel:[0,0,1] op_sel_hi:[1,0,0]
	v_pk_fma_f32 v[6:7], v[6:7], v[0:1], v[12:13] op_sel:[0,0,1] op_sel_hi:[1,1,0] neg_lo:[0,0,1] neg_hi:[0,0,1]
	v_pk_fma_f32 v[12:13], v[10:11], v[0:1], v[2:3] op_sel:[0,0,1] op_sel_hi:[1,0,0]
	v_pk_fma_f32 v[0:1], v[10:11], v[0:1], v[2:3] op_sel:[0,0,1] op_sel_hi:[1,1,0] neg_lo:[0,0,1] neg_hi:[0,0,1]
	s_delay_alu instid0(VALU_DEP_4) | instskip(SKIP_1) | instid1(VALU_DEP_4)
	v_dual_mov_b32 v9, v25 :: v_dual_mov_b32 v7, v15
	v_pk_add_f32 v[170:171], v[170:171], v[22:23] neg_lo:[0,1] neg_hi:[0,1]
	v_mov_b32_e32 v1, v13
	s_delay_alu instid0(VALU_DEP_3) | instskip(NEXT) | instid1(VALU_DEP_4)
	v_pk_add_f32 v[176:177], v[176:177], v[8:9] neg_lo:[0,1] neg_hi:[0,1]
	v_pk_add_f32 v[168:169], v[168:169], v[6:7] neg_lo:[0,1] neg_hi:[0,1]
	s_delay_alu instid0(VALU_DEP_3)
	v_pk_add_f32 v[180:181], v[180:181], v[0:1] neg_lo:[0,1] neg_hi:[0,1]
.LBB89_10:
	s_or_b32 exec_lo, exec_lo, s2
	s_delay_alu instid0(SALU_CYCLE_1)
	s_mov_b32 s2, exec_lo
	s_wait_dscnt 0x0
	s_barrier_signal -1
	s_barrier_wait -1
	v_cmpx_eq_u32_e32 1, v38
	s_cbranch_execz .LBB89_17
; %bb.11:
	v_dual_mov_b32 v0, v56 :: v_dual_mov_b32 v1, v57
	v_dual_mov_b32 v2, v54 :: v_dual_mov_b32 v3, v55
	;; [unrolled: 1-line block ×8, first 2 shown]
	ds_store_b64 v39, v[94:95]
	ds_store_2addr_b64 v20, v[0:1], v[2:3] offset0:2 offset1:3
	ds_store_2addr_b64 v20, v[4:5], v[6:7] offset0:4 offset1:5
	;; [unrolled: 1-line block ×4, first 2 shown]
	v_dual_mov_b32 v0, v80 :: v_dual_mov_b32 v1, v81
	v_dual_mov_b32 v2, v76 :: v_dual_mov_b32 v3, v77
	;; [unrolled: 1-line block ×12, first 2 shown]
	ds_store_2addr_b64 v20, v[0:1], v[2:3] offset0:10 offset1:11
	ds_store_2addr_b64 v20, v[4:5], v[6:7] offset0:12 offset1:13
	;; [unrolled: 1-line block ×6, first 2 shown]
	v_dual_mov_b32 v0, v86 :: v_dual_mov_b32 v1, v87
	v_dual_mov_b32 v2, v82 :: v_dual_mov_b32 v3, v83
	;; [unrolled: 1-line block ×12, first 2 shown]
	ds_store_2addr_b64 v20, v[0:1], v[2:3] offset0:22 offset1:23
	ds_store_2addr_b64 v20, v[4:5], v[6:7] offset0:24 offset1:25
	;; [unrolled: 1-line block ×6, first 2 shown]
	v_dual_mov_b32 v0, v148 :: v_dual_mov_b32 v1, v149
	v_dual_mov_b32 v2, v144 :: v_dual_mov_b32 v3, v145
	v_dual_mov_b32 v4, v174 :: v_dual_mov_b32 v5, v175
	v_dual_mov_b32 v6, v166 :: v_dual_mov_b32 v7, v167
	v_dual_mov_b32 v8, v172 :: v_dual_mov_b32 v9, v173
	v_dual_mov_b32 v10, v164 :: v_dual_mov_b32 v11, v165
	v_dual_mov_b32 v12, v170 :: v_dual_mov_b32 v13, v171
	v_dual_mov_b32 v14, v162 :: v_dual_mov_b32 v15, v163
	v_dual_mov_b32 v22, v168 :: v_dual_mov_b32 v23, v169
	v_dual_mov_b32 v24, v176 :: v_dual_mov_b32 v25, v177
	ds_store_2addr_b64 v20, v[0:1], v[2:3] offset0:34 offset1:35
	ds_store_2addr_b64 v20, v[4:5], v[6:7] offset0:36 offset1:37
	;; [unrolled: 1-line block ×5, first 2 shown]
	ds_store_b64 v20, v[180:181] offset:352
	ds_load_b64 v[0:1], v39
	s_wait_dscnt 0x0
	v_cmp_neq_f32_e32 vcc_lo, 0, v0
	v_cmp_neq_f32_e64 s1, 0, v1
	s_or_b32 s1, vcc_lo, s1
	s_delay_alu instid0(SALU_CYCLE_1)
	s_and_b32 exec_lo, exec_lo, s1
	s_cbranch_execz .LBB89_17
; %bb.12:
	v_cmp_ngt_f32_e64 s1, |v0|, |v1|
                                        ; implicit-def: $vgpr2_vgpr3
	s_and_saveexec_b32 s4, s1
	s_delay_alu instid0(SALU_CYCLE_1)
	s_xor_b32 s1, exec_lo, s4
	s_cbranch_execz .LBB89_14
; %bb.13:
	v_div_scale_f32 v2, null, v1, v1, v0
	v_div_scale_f32 v5, vcc_lo, v0, v1, v0
	s_delay_alu instid0(VALU_DEP_2) | instskip(SKIP_1) | instid1(TRANS32_DEP_1)
	v_rcp_f32_e32 v3, v2
	v_nop
	v_fma_f32 v4, -v2, v3, 1.0
	s_delay_alu instid0(VALU_DEP_1) | instskip(NEXT) | instid1(VALU_DEP_1)
	v_fmac_f32_e32 v3, v4, v3
	v_mul_f32_e32 v4, v5, v3
	s_delay_alu instid0(VALU_DEP_1) | instskip(NEXT) | instid1(VALU_DEP_1)
	v_fma_f32 v6, -v2, v4, v5
	v_fmac_f32_e32 v4, v6, v3
	s_delay_alu instid0(VALU_DEP_1) | instskip(NEXT) | instid1(VALU_DEP_1)
	v_fma_f32 v2, -v2, v4, v5
	v_div_fmas_f32 v2, v2, v3, v4
	s_delay_alu instid0(VALU_DEP_1) | instskip(NEXT) | instid1(VALU_DEP_1)
	v_div_fixup_f32 v2, v2, v1, v0
	v_fmac_f32_e32 v1, v0, v2
	s_delay_alu instid0(VALU_DEP_1) | instskip(SKIP_1) | instid1(VALU_DEP_2)
	v_div_scale_f32 v0, null, v1, v1, 1.0
	v_div_scale_f32 v5, vcc_lo, 1.0, v1, 1.0
	v_rcp_f32_e32 v3, v0
	v_nop
	s_delay_alu instid0(TRANS32_DEP_1) | instskip(NEXT) | instid1(VALU_DEP_1)
	v_fma_f32 v4, -v0, v3, 1.0
	v_fmac_f32_e32 v3, v4, v3
	s_delay_alu instid0(VALU_DEP_1) | instskip(NEXT) | instid1(VALU_DEP_1)
	v_mul_f32_e32 v4, v5, v3
	v_fma_f32 v6, -v0, v4, v5
	s_delay_alu instid0(VALU_DEP_1) | instskip(NEXT) | instid1(VALU_DEP_1)
	v_fmac_f32_e32 v4, v6, v3
	v_fma_f32 v0, -v0, v4, v5
	s_delay_alu instid0(VALU_DEP_1) | instskip(NEXT) | instid1(VALU_DEP_1)
	v_div_fmas_f32 v0, v0, v3, v4
	v_div_fixup_f32 v0, v0, v1, 1.0
	s_delay_alu instid0(VALU_DEP_1)
	v_mul_f32_e32 v2, v2, v0
	v_xor_b32_e32 v3, 0x80000000, v0
                                        ; implicit-def: $vgpr0_vgpr1
.LBB89_14:
	s_and_not1_saveexec_b32 s1, s1
	s_cbranch_execz .LBB89_16
; %bb.15:
	v_div_scale_f32 v2, null, v0, v0, v1
	v_div_scale_f32 v5, vcc_lo, v1, v0, v1
	s_delay_alu instid0(VALU_DEP_2) | instskip(SKIP_1) | instid1(TRANS32_DEP_1)
	v_rcp_f32_e32 v3, v2
	v_nop
	v_fma_f32 v4, -v2, v3, 1.0
	s_delay_alu instid0(VALU_DEP_1) | instskip(NEXT) | instid1(VALU_DEP_1)
	v_fmac_f32_e32 v3, v4, v3
	v_mul_f32_e32 v4, v5, v3
	s_delay_alu instid0(VALU_DEP_1) | instskip(NEXT) | instid1(VALU_DEP_1)
	v_fma_f32 v6, -v2, v4, v5
	v_fmac_f32_e32 v4, v6, v3
	s_delay_alu instid0(VALU_DEP_1) | instskip(NEXT) | instid1(VALU_DEP_1)
	v_fma_f32 v2, -v2, v4, v5
	v_div_fmas_f32 v2, v2, v3, v4
	s_delay_alu instid0(VALU_DEP_1) | instskip(NEXT) | instid1(VALU_DEP_1)
	v_div_fixup_f32 v3, v2, v0, v1
	v_fmac_f32_e32 v0, v1, v3
	s_delay_alu instid0(VALU_DEP_1) | instskip(NEXT) | instid1(VALU_DEP_1)
	v_div_scale_f32 v1, null, v0, v0, 1.0
	v_rcp_f32_e32 v2, v1
	v_nop
	s_delay_alu instid0(TRANS32_DEP_1) | instskip(NEXT) | instid1(VALU_DEP_1)
	v_fma_f32 v4, -v1, v2, 1.0
	v_fmac_f32_e32 v2, v4, v2
	v_div_scale_f32 v4, vcc_lo, 1.0, v0, 1.0
	s_delay_alu instid0(VALU_DEP_1) | instskip(NEXT) | instid1(VALU_DEP_1)
	v_mul_f32_e32 v5, v4, v2
	v_fma_f32 v6, -v1, v5, v4
	s_delay_alu instid0(VALU_DEP_1) | instskip(NEXT) | instid1(VALU_DEP_1)
	v_fmac_f32_e32 v5, v6, v2
	v_fma_f32 v1, -v1, v5, v4
	s_delay_alu instid0(VALU_DEP_1) | instskip(NEXT) | instid1(VALU_DEP_1)
	v_div_fmas_f32 v1, v1, v2, v5
	v_div_fixup_f32 v2, v1, v0, 1.0
	s_delay_alu instid0(VALU_DEP_1)
	v_mul_f32_e64 v3, v3, -v2
.LBB89_16:
	s_or_b32 exec_lo, exec_lo, s1
	ds_store_b64 v39, v[2:3]
.LBB89_17:
	s_or_b32 exec_lo, exec_lo, s2
	s_wait_dscnt 0x0
	s_barrier_signal -1
	s_barrier_wait -1
	ds_load_b64 v[184:185], v39
	s_mov_b32 s1, exec_lo
	v_cmpx_lt_u32_e32 1, v38
	s_cbranch_execz .LBB89_19
; %bb.18:
	ds_load_2addr_b64 v[4:7], v20 offset0:2 offset1:3
	ds_load_2addr_b64 v[8:11], v20 offset0:4 offset1:5
	;; [unrolled: 1-line block ×3, first 2 shown]
	s_wait_dscnt 0x3
	v_pk_mul_f32 v[2:3], v[184:185], v[94:95] op_sel:[1,1] op_sel_hi:[0,1]
	ds_load_2addr_b64 v[186:189], v20 offset0:8 offset1:9
	ds_load_2addr_b64 v[190:193], v20 offset0:10 offset1:11
	v_pk_fma_f32 v[0:1], v[184:185], v[94:95], v[2:3] op_sel_hi:[1,0,1] neg_lo:[0,0,1] neg_hi:[0,0,1]
	v_pk_fma_f32 v[2:3], v[184:185], v[94:95], v[2:3] op_sel_hi:[1,0,1]
	s_delay_alu instid0(VALU_DEP_1) | instskip(SKIP_1) | instid1(VALU_DEP_2)
	v_dual_mov_b32 v94, v0 :: v_dual_mov_b32 v95, v3
	s_wait_dscnt 0x4
	v_pk_mul_f32 v[22:23], v[4:5], v[2:3] op_sel:[0,1]
	v_pk_mul_f32 v[24:25], v[6:7], v[2:3] op_sel:[0,1]
	s_wait_dscnt 0x3
	v_pk_mul_f32 v[194:195], v[8:9], v[2:3] op_sel:[0,1]
	v_dual_mov_b32 v196, v11 :: v_dual_mov_b32 v197, v10
	v_dual_mul_f32 v198, v11, v3 :: v_dual_mul_f32 v200, v11, v0
	v_pk_fma_f32 v[206:207], v[4:5], v[0:1], v[22:23] op_sel:[0,0,1] op_sel_hi:[1,1,0] neg_lo:[0,0,1] neg_hi:[0,0,1]
	v_pk_fma_f32 v[4:5], v[4:5], v[0:1], v[22:23] op_sel:[0,0,1] op_sel_hi:[1,0,0]
	v_pk_fma_f32 v[22:23], v[6:7], v[0:1], v[24:25] op_sel:[0,0,1] op_sel_hi:[1,1,0] neg_lo:[0,0,1] neg_hi:[0,0,1]
	v_pk_fma_f32 v[6:7], v[6:7], v[0:1], v[24:25] op_sel:[0,0,1] op_sel_hi:[1,0,0]
	;; [unrolled: 2-line block ×3, first 2 shown]
	v_pk_fma_f32 v[194:195], v[196:197], v[94:95], v[200:201] op_sel_hi:[1,1,0]
	v_pk_fma_f32 v[10:11], v[10:11], v[94:95], v[198:199] op_sel_hi:[1,1,0] neg_lo:[0,0,1] neg_hi:[0,0,1]
	s_wait_dscnt 0x2
	v_pk_mul_f32 v[202:203], v[12:13], v[2:3] op_sel:[0,1]
	v_pk_mul_f32 v[204:205], v[14:15], v[2:3] op_sel:[0,1]
	v_dual_mov_b32 v207, v5 :: v_dual_mov_b32 v23, v7
	v_dual_mov_b32 v25, v9 :: v_dual_mov_b32 v11, v195
	s_delay_alu instid0(VALU_DEP_4)
	v_pk_fma_f32 v[8:9], v[12:13], v[0:1], v[202:203] op_sel:[0,0,1] op_sel_hi:[1,0,0]
	ds_load_2addr_b64 v[4:7], v20 offset0:12 offset1:13
	v_pk_add_f32 v[54:55], v[54:55], v[22:23] neg_lo:[0,1] neg_hi:[0,1]
	v_pk_fma_f32 v[22:23], v[14:15], v[0:1], v[204:205] op_sel:[0,0,1] op_sel_hi:[1,0,0]
	v_pk_add_f32 v[50:51], v[50:51], v[10:11] neg_lo:[0,1] neg_hi:[0,1]
	s_wait_dscnt 0x2
	v_pk_mul_f32 v[10:11], v[186:187], v[2:3] op_sel:[0,1]
	v_pk_fma_f32 v[12:13], v[12:13], v[0:1], v[202:203] op_sel:[0,0,1] op_sel_hi:[1,1,0] neg_lo:[0,0,1] neg_hi:[0,0,1]
	v_pk_fma_f32 v[14:15], v[14:15], v[0:1], v[204:205] op_sel:[0,0,1] op_sel_hi:[1,1,0] neg_lo:[0,0,1] neg_hi:[0,0,1]
	v_dual_mov_b32 v13, v9 :: v_dual_mov_b32 v15, v23
	s_delay_alu instid0(VALU_DEP_4) | instskip(SKIP_2) | instid1(VALU_DEP_4)
	v_pk_fma_f32 v[8:9], v[186:187], v[0:1], v[10:11] op_sel:[0,0,1] op_sel_hi:[1,0,0]
	v_pk_mul_f32 v[22:23], v[188:189], v[2:3] op_sel:[0,1]
	v_pk_fma_f32 v[10:11], v[186:187], v[0:1], v[10:11] op_sel:[0,0,1] op_sel_hi:[1,1,0] neg_lo:[0,0,1] neg_hi:[0,0,1]
	v_pk_add_f32 v[52:53], v[52:53], v[12:13] neg_lo:[0,1] neg_hi:[0,1]
	v_pk_add_f32 v[48:49], v[48:49], v[14:15] neg_lo:[0,1] neg_hi:[0,1]
	v_mov_b32_e32 v11, v9
	v_pk_fma_f32 v[8:9], v[188:189], v[0:1], v[22:23] op_sel:[0,0,1] op_sel_hi:[1,0,0]
	s_wait_dscnt 0x1
	v_mul_f32_e32 v8, v191, v0
	v_pk_fma_f32 v[22:23], v[188:189], v[0:1], v[22:23] op_sel:[0,0,1] op_sel_hi:[1,1,0] neg_lo:[0,0,1] neg_hi:[0,0,1]
	v_mul_f32_e32 v12, v191, v3
	v_pk_add_f32 v[46:47], v[46:47], v[10:11] neg_lo:[0,1] neg_hi:[0,1]
	v_mov_b32_e32 v23, v9
	v_pk_fma_f32 v[14:15], v[190:191], v[94:95], v[8:9] op_sel:[1,0,0] op_sel_hi:[0,1,0]
	ds_load_2addr_b64 v[8:11], v20 offset0:14 offset1:15
	v_pk_add_f32 v[58:59], v[58:59], v[24:25] neg_lo:[0,1] neg_hi:[0,1]
	v_pk_mul_f32 v[24:25], v[192:193], v[2:3] op_sel:[0,1]
	v_pk_fma_f32 v[186:187], v[190:191], v[94:95], v[12:13] op_sel_hi:[1,1,0] neg_lo:[0,0,1] neg_hi:[0,0,1]
	s_wait_dscnt 0x1
	v_pk_mul_f32 v[188:189], v[4:5], v[2:3] op_sel:[0,1]
	v_pk_mul_f32 v[190:191], v[6:7], v[2:3] op_sel:[0,1]
	v_pk_add_f32 v[78:79], v[78:79], v[22:23] neg_lo:[0,1] neg_hi:[0,1]
	v_pk_fma_f32 v[194:195], v[192:193], v[0:1], v[24:25] op_sel:[0,0,1] op_sel_hi:[1,0,0]
	v_mov_b32_e32 v187, v15
	ds_load_2addr_b64 v[12:15], v20 offset0:16 offset1:17
	v_pk_fma_f32 v[24:25], v[192:193], v[0:1], v[24:25] op_sel:[0,0,1] op_sel_hi:[1,1,0] neg_lo:[0,0,1] neg_hi:[0,0,1]
	v_pk_fma_f32 v[192:193], v[4:5], v[0:1], v[188:189] op_sel:[0,0,1] op_sel_hi:[1,0,0]
	v_pk_fma_f32 v[196:197], v[6:7], v[0:1], v[190:191] op_sel:[0,0,1] op_sel_hi:[1,0,0]
	v_pk_fma_f32 v[4:5], v[4:5], v[0:1], v[188:189] op_sel:[0,0,1] op_sel_hi:[1,1,0] neg_lo:[0,0,1] neg_hi:[0,0,1]
	v_pk_fma_f32 v[6:7], v[6:7], v[0:1], v[190:191] op_sel:[0,0,1] op_sel_hi:[1,1,0] neg_lo:[0,0,1] neg_hi:[0,0,1]
	s_delay_alu instid0(VALU_DEP_4) | instskip(NEXT) | instid1(VALU_DEP_4)
	v_dual_mov_b32 v25, v195 :: v_dual_mov_b32 v5, v193
	v_mov_b32_e32 v7, v197
	v_pk_add_f32 v[80:81], v[80:81], v[186:187] neg_lo:[0,1] neg_hi:[0,1]
	v_pk_add_f32 v[56:57], v[56:57], v[206:207] neg_lo:[0,1] neg_hi:[0,1]
	s_wait_dscnt 0x1
	v_pk_mul_f32 v[22:23], v[8:9], v[2:3] op_sel:[0,1]
	v_pk_add_f32 v[104:105], v[104:105], v[4:5] neg_lo:[0,1] neg_hi:[0,1]
	v_pk_add_f32 v[102:103], v[102:103], v[6:7] neg_lo:[0,1] neg_hi:[0,1]
	ds_load_2addr_b64 v[4:7], v20 offset0:18 offset1:19
	v_pk_add_f32 v[76:77], v[76:77], v[24:25] neg_lo:[0,1] neg_hi:[0,1]
	v_dual_mov_b32 v24, v11 :: v_dual_mov_b32 v25, v10
	v_mul_f32_e32 v186, v11, v0
	v_pk_fma_f32 v[190:191], v[8:9], v[0:1], v[22:23] op_sel:[0,0,1] op_sel_hi:[1,1,0] neg_lo:[0,0,1] neg_hi:[0,0,1]
	v_pk_fma_f32 v[8:9], v[8:9], v[0:1], v[22:23] op_sel:[0,0,1] op_sel_hi:[1,0,0]
	v_mul_f32_e32 v8, v11, v3
	s_wait_dscnt 0x1
	v_pk_mul_f32 v[22:23], v[12:13], v[2:3] op_sel:[0,1]
	v_pk_fma_f32 v[24:25], v[24:25], v[94:95], v[186:187] op_sel_hi:[1,1,0]
	ds_load_2addr_b64 v[186:189], v20 offset0:20 offset1:21
	v_pk_mul_f32 v[192:193], v[14:15], v[2:3] op_sel:[0,1]
	v_mov_b32_e32 v191, v9
	v_pk_fma_f32 v[194:195], v[12:13], v[0:1], v[22:23] op_sel:[0,0,1] op_sel_hi:[1,0,0]
	v_pk_fma_f32 v[8:9], v[10:11], v[94:95], v[8:9] op_sel_hi:[1,1,0] neg_lo:[0,0,1] neg_hi:[0,0,1]
	v_pk_fma_f32 v[12:13], v[12:13], v[0:1], v[22:23] op_sel:[0,0,1] op_sel_hi:[1,1,0] neg_lo:[0,0,1] neg_hi:[0,0,1]
	v_pk_fma_f32 v[10:11], v[14:15], v[0:1], v[192:193] op_sel:[0,0,1] op_sel_hi:[1,0,0]
	v_pk_fma_f32 v[14:15], v[14:15], v[0:1], v[192:193] op_sel:[0,0,1] op_sel_hi:[1,1,0] neg_lo:[0,0,1] neg_hi:[0,0,1]
	v_dual_mov_b32 v9, v25 :: v_dual_mov_b32 v13, v195
	s_wait_dscnt 0x1
	v_pk_mul_f32 v[22:23], v[4:5], v[2:3] op_sel:[0,1]
	v_mov_b32_e32 v15, v11
	v_pk_add_f32 v[36:37], v[36:37], v[190:191] neg_lo:[0,1] neg_hi:[0,1]
	v_pk_add_f32 v[34:35], v[34:35], v[8:9] neg_lo:[0,1] neg_hi:[0,1]
	;; [unrolled: 1-line block ×3, first 2 shown]
	ds_load_2addr_b64 v[8:11], v20 offset0:22 offset1:23
	v_pk_add_f32 v[62:63], v[62:63], v[14:15] neg_lo:[0,1] neg_hi:[0,1]
	ds_load_2addr_b64 v[12:15], v20 offset0:24 offset1:25
	v_pk_fma_f32 v[24:25], v[4:5], v[0:1], v[22:23] op_sel:[0,0,1] op_sel_hi:[1,0,0]
	v_pk_fma_f32 v[4:5], v[4:5], v[0:1], v[22:23] op_sel:[0,0,1] op_sel_hi:[1,1,0] neg_lo:[0,0,1] neg_hi:[0,0,1]
	v_pk_mul_f32 v[22:23], v[6:7], v[2:3] op_sel:[0,1]
	s_wait_dscnt 0x2
	v_mul_f32_e32 v24, v187, v0
	v_pk_mul_f32 v[190:191], v[188:189], v[2:3] op_sel:[0,1]
	v_mov_b32_e32 v5, v25
	v_pk_fma_f32 v[192:193], v[6:7], v[0:1], v[22:23] op_sel:[0,0,1] op_sel_hi:[1,0,0]
	v_mul_f32_e32 v192, v187, v3
	v_pk_fma_f32 v[24:25], v[186:187], v[94:95], v[24:25] op_sel:[1,0,0] op_sel_hi:[0,1,0]
	v_pk_fma_f32 v[6:7], v[6:7], v[0:1], v[22:23] op_sel:[0,0,1] op_sel_hi:[1,1,0] neg_lo:[0,0,1] neg_hi:[0,0,1]
	v_pk_fma_f32 v[22:23], v[188:189], v[0:1], v[190:191] op_sel:[0,0,1] op_sel_hi:[1,0,0]
	v_mov_b32_e32 v7, v193
	v_pk_fma_f32 v[186:187], v[186:187], v[94:95], v[192:193] op_sel_hi:[1,1,0] neg_lo:[0,0,1] neg_hi:[0,0,1]
	v_mov_b32_e32 v187, v25
	v_pk_fma_f32 v[24:25], v[188:189], v[0:1], v[190:191] op_sel:[0,0,1] op_sel_hi:[1,1,0] neg_lo:[0,0,1] neg_hi:[0,0,1]
	v_mov_b32_e32 v25, v23
	v_pk_add_f32 v[64:65], v[64:65], v[4:5] neg_lo:[0,1] neg_hi:[0,1]
	v_pk_add_f32 v[60:61], v[60:61], v[6:7] neg_lo:[0,1] neg_hi:[0,1]
	s_wait_dscnt 0x1
	v_pk_mul_f32 v[22:23], v[8:9], v[2:3] op_sel:[0,1]
	ds_load_2addr_b64 v[4:7], v20 offset0:26 offset1:27
	v_pk_add_f32 v[84:85], v[84:85], v[24:25] neg_lo:[0,1] neg_hi:[0,1]
	v_pk_mul_f32 v[24:25], v[10:11], v[2:3] op_sel:[0,1]
	s_wait_dscnt 0x1
	v_pk_mul_f32 v[190:191], v[12:13], v[2:3] op_sel:[0,1]
	v_pk_add_f32 v[88:89], v[88:89], v[186:187] neg_lo:[0,1] neg_hi:[0,1]
	ds_load_2addr_b64 v[186:189], v20 offset0:28 offset1:29
	v_pk_fma_f32 v[192:193], v[8:9], v[0:1], v[22:23] op_sel:[0,0,1] op_sel_hi:[1,0,0]
	v_pk_fma_f32 v[8:9], v[8:9], v[0:1], v[22:23] op_sel:[0,0,1] op_sel_hi:[1,1,0] neg_lo:[0,0,1] neg_hi:[0,0,1]
	v_pk_fma_f32 v[22:23], v[10:11], v[0:1], v[24:25] op_sel:[0,0,1] op_sel_hi:[1,0,0]
	v_pk_fma_f32 v[194:195], v[12:13], v[0:1], v[190:191] op_sel:[0,0,1] op_sel_hi:[1,0,0]
	v_pk_fma_f32 v[10:11], v[10:11], v[0:1], v[24:25] op_sel:[0,0,1] op_sel_hi:[1,1,0] neg_lo:[0,0,1] neg_hi:[0,0,1]
	v_pk_fma_f32 v[12:13], v[12:13], v[0:1], v[190:191] op_sel:[0,0,1] op_sel_hi:[1,1,0] neg_lo:[0,0,1] neg_hi:[0,0,1]
	s_delay_alu instid0(VALU_DEP_4) | instskip(NEXT) | instid1(VALU_DEP_4)
	v_dual_mov_b32 v9, v193 :: v_dual_mov_b32 v11, v23
	v_dual_mov_b32 v13, v195 :: v_dual_mov_b32 v22, v15
	v_dual_mov_b32 v23, v14 :: v_dual_mul_f32 v24, v15, v0
	s_delay_alu instid0(VALU_DEP_3) | instskip(NEXT) | instid1(VALU_DEP_3)
	v_pk_add_f32 v[86:87], v[86:87], v[8:9] neg_lo:[0,1] neg_hi:[0,1]
	v_pk_add_f32 v[112:113], v[112:113], v[12:13] neg_lo:[0,1] neg_hi:[0,1]
	;; [unrolled: 1-line block ×3, first 2 shown]
	ds_load_2addr_b64 v[8:11], v20 offset0:30 offset1:31
	v_pk_fma_f32 v[12:13], v[22:23], v[94:95], v[24:25] op_sel_hi:[1,1,0]
	v_mul_f32_e32 v190, v15, v3
	s_wait_dscnt 0x2
	v_pk_mul_f32 v[24:25], v[4:5], v[2:3] op_sel:[0,1]
	s_wait_dscnt 0x1
	v_pk_mul_f32 v[192:193], v[186:187], v[2:3] op_sel:[0,1]
	v_pk_fma_f32 v[22:23], v[14:15], v[94:95], v[190:191] op_sel_hi:[1,1,0] neg_lo:[0,0,1] neg_hi:[0,0,1]
	v_mov_b32_e32 v23, v13
	ds_load_2addr_b64 v[12:15], v20 offset0:32 offset1:33
	v_pk_mul_f32 v[190:191], v[6:7], v[2:3] op_sel:[0,1]
	v_pk_fma_f32 v[194:195], v[4:5], v[0:1], v[24:25] op_sel:[0,0,1] op_sel_hi:[1,0,0]
	v_pk_fma_f32 v[4:5], v[4:5], v[0:1], v[24:25] op_sel:[0,0,1] op_sel_hi:[1,1,0] neg_lo:[0,0,1] neg_hi:[0,0,1]
	v_pk_fma_f32 v[24:25], v[186:187], v[0:1], v[192:193] op_sel:[0,0,1] op_sel_hi:[1,0,0]
	v_pk_fma_f32 v[186:187], v[186:187], v[0:1], v[192:193] op_sel:[0,0,1] op_sel_hi:[1,1,0] neg_lo:[0,0,1] neg_hi:[0,0,1]
	;; [unrolled: 2-line block ×3, first 2 shown]
	s_delay_alu instid0(VALU_DEP_4) | instskip(SKIP_1) | instid1(VALU_DEP_4)
	v_dual_mov_b32 v5, v195 :: v_dual_mov_b32 v187, v25
	v_pk_mul_f32 v[24:25], v[188:189], v[2:3] op_sel:[0,1]
	v_mov_b32_e32 v7, v197
	v_pk_add_f32 v[108:109], v[108:109], v[22:23] neg_lo:[0,1] neg_hi:[0,1]
	s_delay_alu instid0(VALU_DEP_4) | instskip(NEXT) | instid1(VALU_DEP_4)
	v_pk_add_f32 v[110:111], v[110:111], v[4:5] neg_lo:[0,1] neg_hi:[0,1]
	v_pk_fma_f32 v[22:23], v[188:189], v[0:1], v[24:25] op_sel:[0,0,1] op_sel_hi:[1,1,0] neg_lo:[0,0,1] neg_hi:[0,0,1]
	v_pk_fma_f32 v[24:25], v[188:189], v[0:1], v[24:25] op_sel:[0,0,1] op_sel_hi:[1,0,0]
	v_pk_add_f32 v[106:107], v[106:107], v[6:7] neg_lo:[0,1] neg_hi:[0,1]
	ds_load_2addr_b64 v[4:7], v20 offset0:34 offset1:35
	s_wait_dscnt 0x2
	v_mul_f32_e32 v24, v9, v0
	s_wait_dscnt 0x1
	v_pk_mul_f32 v[190:191], v[12:13], v[2:3] op_sel:[0,1]
	v_mov_b32_e32 v23, v25
	v_pk_add_f32 v[128:129], v[128:129], v[186:187] neg_lo:[0,1] neg_hi:[0,1]
	v_mul_f32_e32 v186, v9, v3
	v_pk_mul_f32 v[188:189], v[10:11], v[2:3] op_sel:[0,1]
	v_pk_fma_f32 v[192:193], v[8:9], v[94:95], v[24:25] op_sel:[1,0,0] op_sel_hi:[0,1,0]
	v_pk_add_f32 v[124:125], v[124:125], v[22:23] neg_lo:[0,1] neg_hi:[0,1]
	s_delay_alu instid0(VALU_DEP_4) | instskip(SKIP_4) | instid1(VALU_DEP_4)
	v_pk_fma_f32 v[186:187], v[8:9], v[94:95], v[186:187] op_sel_hi:[1,1,0] neg_lo:[0,0,1] neg_hi:[0,0,1]
	v_pk_fma_f32 v[8:9], v[12:13], v[0:1], v[190:191] op_sel:[0,0,1] op_sel_hi:[1,0,0]
	v_pk_fma_f32 v[12:13], v[12:13], v[0:1], v[190:191] op_sel:[0,0,1] op_sel_hi:[1,1,0] neg_lo:[0,0,1] neg_hi:[0,0,1]
	v_pk_fma_f32 v[24:25], v[10:11], v[0:1], v[188:189] op_sel:[0,0,1] op_sel_hi:[1,0,0]
	v_pk_fma_f32 v[188:189], v[10:11], v[0:1], v[188:189] op_sel:[0,0,1] op_sel_hi:[1,1,0] neg_lo:[0,0,1] neg_hi:[0,0,1]
	v_dual_mov_b32 v187, v193 :: v_dual_mov_b32 v13, v9
	ds_load_2addr_b64 v[8:11], v20 offset0:36 offset1:37
	v_mov_b32_e32 v189, v25
	v_pk_mul_f32 v[24:25], v[14:15], v[2:3] op_sel:[0,1]
	v_pk_add_f32 v[126:127], v[126:127], v[186:187] neg_lo:[0,1] neg_hi:[0,1]
	s_wait_dscnt 0x1
	v_pk_mul_f32 v[186:187], v[4:5], v[2:3] op_sel:[0,1]
	v_pk_add_f32 v[122:123], v[122:123], v[188:189] neg_lo:[0,1] neg_hi:[0,1]
	v_pk_fma_f32 v[22:23], v[14:15], v[0:1], v[24:25] op_sel:[0,0,1] op_sel_hi:[1,1,0] neg_lo:[0,0,1] neg_hi:[0,0,1]
	v_pk_fma_f32 v[24:25], v[14:15], v[0:1], v[24:25] op_sel:[0,0,1] op_sel_hi:[1,0,0]
	s_delay_alu instid0(VALU_DEP_4)
	v_pk_fma_f32 v[190:191], v[4:5], v[0:1], v[186:187] op_sel:[0,0,1] op_sel_hi:[1,0,0]
	v_mov_b32_e32 v188, v7
	v_pk_add_f32 v[150:151], v[150:151], v[12:13] neg_lo:[0,1] neg_hi:[0,1]
	v_dual_mov_b32 v189, v6 :: v_dual_mul_f32 v24, v7, v0
	ds_load_2addr_b64 v[12:15], v20 offset0:38 offset1:39
	v_dual_mul_f32 v190, v7, v3 :: v_dual_mov_b32 v23, v25
	v_pk_fma_f32 v[186:187], v[4:5], v[0:1], v[186:187] op_sel:[0,0,1] op_sel_hi:[1,1,0] neg_lo:[0,0,1] neg_hi:[0,0,1]
	v_pk_fma_f32 v[24:25], v[188:189], v[94:95], v[24:25] op_sel_hi:[1,1,0]
	v_mov_b32_e32 v187, v191
	s_delay_alu instid0(VALU_DEP_4)
	v_pk_fma_f32 v[188:189], v[6:7], v[94:95], v[190:191] op_sel_hi:[1,1,0] neg_lo:[0,0,1] neg_hi:[0,0,1]
	s_wait_dscnt 0x1
	v_pk_mul_f32 v[190:191], v[8:9], v[2:3] op_sel:[0,1]
	ds_load_2addr_b64 v[4:7], v20 offset0:40 offset1:41
	v_mov_b32_e32 v189, v25
	v_pk_add_f32 v[146:147], v[146:147], v[22:23] neg_lo:[0,1] neg_hi:[0,1]
	v_pk_mul_f32 v[22:23], v[10:11], v[2:3] op_sel:[0,1]
	v_pk_fma_f32 v[24:25], v[8:9], v[0:1], v[190:191] op_sel:[0,0,1] op_sel_hi:[1,0,0]
	v_pk_add_f32 v[148:149], v[148:149], v[186:187] neg_lo:[0,1] neg_hi:[0,1]
	v_pk_fma_f32 v[186:187], v[8:9], v[0:1], v[190:191] op_sel:[0,0,1] op_sel_hi:[1,1,0] neg_lo:[0,0,1] neg_hi:[0,0,1]
	v_pk_add_f32 v[144:145], v[144:145], v[188:189] neg_lo:[0,1] neg_hi:[0,1]
	v_pk_fma_f32 v[188:189], v[10:11], v[0:1], v[22:23] op_sel:[0,0,1] op_sel_hi:[1,0,0]
	v_mov_b32_e32 v187, v25
	v_pk_fma_f32 v[22:23], v[10:11], v[0:1], v[22:23] op_sel:[0,0,1] op_sel_hi:[1,1,0] neg_lo:[0,0,1] neg_hi:[0,0,1]
	ds_load_2addr_b64 v[8:11], v20 offset0:42 offset1:43
	s_wait_dscnt 0x2
	v_pk_mul_f32 v[24:25], v[12:13], v[2:3] op_sel:[0,1]
	v_mov_b32_e32 v23, v189
	v_pk_add_f32 v[174:175], v[174:175], v[186:187] neg_lo:[0,1] neg_hi:[0,1]
	ds_load_b64 v[186:187], v20 offset:352
	v_pk_mul_f32 v[188:189], v[14:15], v[2:3] op_sel:[0,1]
	v_pk_fma_f32 v[190:191], v[12:13], v[0:1], v[24:25] op_sel:[0,0,1] op_sel_hi:[1,0,0]
	v_pk_add_f32 v[166:167], v[166:167], v[22:23] neg_lo:[0,1] neg_hi:[0,1]
	v_pk_fma_f32 v[12:13], v[12:13], v[0:1], v[24:25] op_sel:[0,0,1] op_sel_hi:[1,1,0] neg_lo:[0,0,1] neg_hi:[0,0,1]
	s_wait_dscnt 0x2
	v_mul_f32_e32 v24, v5, v3
	v_pk_fma_f32 v[22:23], v[14:15], v[0:1], v[188:189] op_sel:[0,0,1] op_sel_hi:[1,0,0]
	v_dual_mul_f32 v22, v5, v0 :: v_dual_mov_b32 v13, v191
	v_pk_fma_f32 v[14:15], v[14:15], v[0:1], v[188:189] op_sel:[0,0,1] op_sel_hi:[1,1,0] neg_lo:[0,0,1] neg_hi:[0,0,1]
	s_delay_alu instid0(VALU_DEP_3) | instskip(NEXT) | instid1(VALU_DEP_3)
	v_mov_b32_e32 v15, v23
	v_pk_fma_f32 v[22:23], v[4:5], v[94:95], v[22:23] op_sel:[1,0,0] op_sel_hi:[0,1,0]
	s_delay_alu instid0(VALU_DEP_4)
	v_pk_add_f32 v[172:173], v[172:173], v[12:13] neg_lo:[0,1] neg_hi:[0,1]
	v_pk_mul_f32 v[12:13], v[6:7], v[2:3] op_sel:[0,1]
	v_pk_fma_f32 v[4:5], v[4:5], v[94:95], v[24:25] op_sel_hi:[1,1,0] neg_lo:[0,0,1] neg_hi:[0,0,1]
	v_pk_add_f32 v[164:165], v[164:165], v[14:15] neg_lo:[0,1] neg_hi:[0,1]
	v_mov_b32_e32 v5, v23
	s_wait_dscnt 0x1
	v_pk_mul_f32 v[14:15], v[8:9], v[2:3] op_sel:[0,1]
	v_pk_fma_f32 v[22:23], v[6:7], v[0:1], v[12:13] op_sel:[0,0,1] op_sel_hi:[1,0,0]
	v_pk_mul_f32 v[24:25], v[10:11], v[2:3] op_sel:[0,1]
	s_wait_dscnt 0x0
	v_pk_mul_f32 v[2:3], v[186:187], v[2:3] op_sel:[0,1]
	v_pk_fma_f32 v[6:7], v[6:7], v[0:1], v[12:13] op_sel:[0,0,1] op_sel_hi:[1,1,0] neg_lo:[0,0,1] neg_hi:[0,0,1]
	v_pk_fma_f32 v[12:13], v[8:9], v[0:1], v[14:15] op_sel:[0,0,1] op_sel_hi:[1,0,0]
	v_mov_b32_e32 v7, v23
	v_pk_fma_f32 v[22:23], v[10:11], v[0:1], v[24:25] op_sel:[0,0,1] op_sel_hi:[1,0,0]
	v_pk_fma_f32 v[8:9], v[8:9], v[0:1], v[14:15] op_sel:[0,0,1] op_sel_hi:[1,1,0] neg_lo:[0,0,1] neg_hi:[0,0,1]
	v_pk_fma_f32 v[14:15], v[186:187], v[0:1], v[2:3] op_sel:[0,0,1] op_sel_hi:[1,0,0]
	v_pk_fma_f32 v[10:11], v[10:11], v[0:1], v[24:25] op_sel:[0,0,1] op_sel_hi:[1,1,0] neg_lo:[0,0,1] neg_hi:[0,0,1]
	v_pk_fma_f32 v[0:1], v[186:187], v[0:1], v[2:3] op_sel:[0,0,1] op_sel_hi:[1,1,0] neg_lo:[0,0,1] neg_hi:[0,0,1]
	v_dual_mov_b32 v9, v13 :: v_dual_mov_b32 v11, v23
	s_delay_alu instid0(VALU_DEP_4) | instskip(SKIP_2) | instid1(VALU_DEP_4)
	v_mov_b32_e32 v1, v15
	v_pk_add_f32 v[170:171], v[170:171], v[4:5] neg_lo:[0,1] neg_hi:[0,1]
	v_pk_add_f32 v[162:163], v[162:163], v[6:7] neg_lo:[0,1] neg_hi:[0,1]
	;; [unrolled: 1-line block ×5, first 2 shown]
.LBB89_19:
	s_or_b32 exec_lo, exec_lo, s1
	s_delay_alu instid0(SALU_CYCLE_1)
	s_mov_b32 s2, exec_lo
	s_wait_dscnt 0x0
	s_barrier_signal -1
	s_barrier_wait -1
	v_cmpx_eq_u32_e32 2, v38
	s_cbranch_execz .LBB89_26
; %bb.20:
	ds_store_b64 v39, v[56:57]
	ds_store_2addr_b64 v20, v[54:55], v[58:59] offset0:3 offset1:4
	ds_store_2addr_b64 v20, v[50:51], v[52:53] offset0:5 offset1:6
	;; [unrolled: 1-line block ×21, first 2 shown]
	ds_load_b64 v[0:1], v39
	s_wait_dscnt 0x0
	v_cmp_neq_f32_e32 vcc_lo, 0, v0
	v_cmp_neq_f32_e64 s1, 0, v1
	s_or_b32 s1, vcc_lo, s1
	s_delay_alu instid0(SALU_CYCLE_1)
	s_and_b32 exec_lo, exec_lo, s1
	s_cbranch_execz .LBB89_26
; %bb.21:
	v_cmp_ngt_f32_e64 s1, |v0|, |v1|
                                        ; implicit-def: $vgpr2_vgpr3
	s_and_saveexec_b32 s4, s1
	s_delay_alu instid0(SALU_CYCLE_1)
	s_xor_b32 s1, exec_lo, s4
	s_cbranch_execz .LBB89_23
; %bb.22:
	v_div_scale_f32 v2, null, v1, v1, v0
	v_div_scale_f32 v5, vcc_lo, v0, v1, v0
	s_delay_alu instid0(VALU_DEP_2) | instskip(SKIP_1) | instid1(TRANS32_DEP_1)
	v_rcp_f32_e32 v3, v2
	v_nop
	v_fma_f32 v4, -v2, v3, 1.0
	s_delay_alu instid0(VALU_DEP_1) | instskip(NEXT) | instid1(VALU_DEP_1)
	v_fmac_f32_e32 v3, v4, v3
	v_mul_f32_e32 v4, v5, v3
	s_delay_alu instid0(VALU_DEP_1) | instskip(NEXT) | instid1(VALU_DEP_1)
	v_fma_f32 v6, -v2, v4, v5
	v_fmac_f32_e32 v4, v6, v3
	s_delay_alu instid0(VALU_DEP_1) | instskip(NEXT) | instid1(VALU_DEP_1)
	v_fma_f32 v2, -v2, v4, v5
	v_div_fmas_f32 v2, v2, v3, v4
	s_delay_alu instid0(VALU_DEP_1) | instskip(NEXT) | instid1(VALU_DEP_1)
	v_div_fixup_f32 v2, v2, v1, v0
	v_fmac_f32_e32 v1, v0, v2
	s_delay_alu instid0(VALU_DEP_1) | instskip(SKIP_1) | instid1(VALU_DEP_2)
	v_div_scale_f32 v0, null, v1, v1, 1.0
	v_div_scale_f32 v5, vcc_lo, 1.0, v1, 1.0
	v_rcp_f32_e32 v3, v0
	v_nop
	s_delay_alu instid0(TRANS32_DEP_1) | instskip(NEXT) | instid1(VALU_DEP_1)
	v_fma_f32 v4, -v0, v3, 1.0
	v_fmac_f32_e32 v3, v4, v3
	s_delay_alu instid0(VALU_DEP_1) | instskip(NEXT) | instid1(VALU_DEP_1)
	v_mul_f32_e32 v4, v5, v3
	v_fma_f32 v6, -v0, v4, v5
	s_delay_alu instid0(VALU_DEP_1) | instskip(NEXT) | instid1(VALU_DEP_1)
	v_fmac_f32_e32 v4, v6, v3
	v_fma_f32 v0, -v0, v4, v5
	s_delay_alu instid0(VALU_DEP_1) | instskip(NEXT) | instid1(VALU_DEP_1)
	v_div_fmas_f32 v0, v0, v3, v4
	v_div_fixup_f32 v0, v0, v1, 1.0
	s_delay_alu instid0(VALU_DEP_1)
	v_mul_f32_e32 v2, v2, v0
	v_xor_b32_e32 v3, 0x80000000, v0
                                        ; implicit-def: $vgpr0_vgpr1
.LBB89_23:
	s_and_not1_saveexec_b32 s1, s1
	s_cbranch_execz .LBB89_25
; %bb.24:
	v_div_scale_f32 v2, null, v0, v0, v1
	v_div_scale_f32 v5, vcc_lo, v1, v0, v1
	s_delay_alu instid0(VALU_DEP_2) | instskip(SKIP_1) | instid1(TRANS32_DEP_1)
	v_rcp_f32_e32 v3, v2
	v_nop
	v_fma_f32 v4, -v2, v3, 1.0
	s_delay_alu instid0(VALU_DEP_1) | instskip(NEXT) | instid1(VALU_DEP_1)
	v_fmac_f32_e32 v3, v4, v3
	v_mul_f32_e32 v4, v5, v3
	s_delay_alu instid0(VALU_DEP_1) | instskip(NEXT) | instid1(VALU_DEP_1)
	v_fma_f32 v6, -v2, v4, v5
	v_fmac_f32_e32 v4, v6, v3
	s_delay_alu instid0(VALU_DEP_1) | instskip(NEXT) | instid1(VALU_DEP_1)
	v_fma_f32 v2, -v2, v4, v5
	v_div_fmas_f32 v2, v2, v3, v4
	s_delay_alu instid0(VALU_DEP_1) | instskip(NEXT) | instid1(VALU_DEP_1)
	v_div_fixup_f32 v3, v2, v0, v1
	v_fmac_f32_e32 v0, v1, v3
	s_delay_alu instid0(VALU_DEP_1) | instskip(NEXT) | instid1(VALU_DEP_1)
	v_div_scale_f32 v1, null, v0, v0, 1.0
	v_rcp_f32_e32 v2, v1
	v_nop
	s_delay_alu instid0(TRANS32_DEP_1) | instskip(NEXT) | instid1(VALU_DEP_1)
	v_fma_f32 v4, -v1, v2, 1.0
	v_fmac_f32_e32 v2, v4, v2
	v_div_scale_f32 v4, vcc_lo, 1.0, v0, 1.0
	s_delay_alu instid0(VALU_DEP_1) | instskip(NEXT) | instid1(VALU_DEP_1)
	v_mul_f32_e32 v5, v4, v2
	v_fma_f32 v6, -v1, v5, v4
	s_delay_alu instid0(VALU_DEP_1) | instskip(NEXT) | instid1(VALU_DEP_1)
	v_fmac_f32_e32 v5, v6, v2
	v_fma_f32 v1, -v1, v5, v4
	s_delay_alu instid0(VALU_DEP_1) | instskip(NEXT) | instid1(VALU_DEP_1)
	v_div_fmas_f32 v1, v1, v2, v5
	v_div_fixup_f32 v2, v1, v0, 1.0
	s_delay_alu instid0(VALU_DEP_1)
	v_mul_f32_e64 v3, v3, -v2
.LBB89_25:
	s_or_b32 exec_lo, exec_lo, s1
	ds_store_b64 v39, v[2:3]
.LBB89_26:
	s_or_b32 exec_lo, exec_lo, s2
	s_wait_dscnt 0x0
	s_barrier_signal -1
	s_barrier_wait -1
	ds_load_b64 v[186:187], v39
	s_mov_b32 s1, exec_lo
	v_cmpx_lt_u32_e32 2, v38
	s_cbranch_execz .LBB89_28
; %bb.27:
	ds_load_2addr_b64 v[4:7], v20 offset0:3 offset1:4
	ds_load_2addr_b64 v[8:11], v20 offset0:5 offset1:6
	;; [unrolled: 1-line block ×3, first 2 shown]
	s_wait_dscnt 0x3
	v_pk_mul_f32 v[2:3], v[186:187], v[56:57] op_sel:[1,1] op_sel_hi:[0,1]
	ds_load_2addr_b64 v[188:191], v20 offset0:9 offset1:10
	ds_load_2addr_b64 v[192:195], v20 offset0:11 offset1:12
	v_pk_fma_f32 v[0:1], v[186:187], v[56:57], v[2:3] op_sel_hi:[1,0,1] neg_lo:[0,0,1] neg_hi:[0,0,1]
	v_pk_fma_f32 v[2:3], v[186:187], v[56:57], v[2:3] op_sel_hi:[1,0,1]
	s_delay_alu instid0(VALU_DEP_1) | instskip(SKIP_1) | instid1(VALU_DEP_2)
	v_dual_mov_b32 v56, v0 :: v_dual_mov_b32 v57, v3
	s_wait_dscnt 0x4
	v_pk_mul_f32 v[22:23], v[4:5], v[2:3] op_sel:[0,1]
	v_pk_mul_f32 v[24:25], v[6:7], v[2:3] op_sel:[0,1]
	s_wait_dscnt 0x3
	v_pk_mul_f32 v[196:197], v[8:9], v[2:3] op_sel:[0,1]
	s_wait_dscnt 0x2
	v_pk_mul_f32 v[204:205], v[12:13], v[2:3] op_sel:[0,1]
	v_dual_mov_b32 v198, v11 :: v_dual_mov_b32 v199, v10
	v_pk_fma_f32 v[210:211], v[4:5], v[0:1], v[22:23] op_sel:[0,0,1] op_sel_hi:[1,1,0] neg_lo:[0,0,1] neg_hi:[0,0,1]
	v_pk_fma_f32 v[4:5], v[4:5], v[0:1], v[22:23] op_sel:[0,0,1] op_sel_hi:[1,0,0]
	v_pk_fma_f32 v[22:23], v[6:7], v[0:1], v[24:25] op_sel:[0,0,1] op_sel_hi:[1,1,0] neg_lo:[0,0,1] neg_hi:[0,0,1]
	v_pk_fma_f32 v[6:7], v[6:7], v[0:1], v[24:25] op_sel:[0,0,1] op_sel_hi:[1,0,0]
	v_dual_mul_f32 v200, v11, v3 :: v_dual_mul_f32 v202, v11, v0
	v_pk_mul_f32 v[206:207], v[14:15], v[2:3] op_sel:[0,1]
	v_pk_fma_f32 v[24:25], v[8:9], v[0:1], v[196:197] op_sel:[0,0,1] op_sel_hi:[1,1,0] neg_lo:[0,0,1] neg_hi:[0,0,1]
	v_pk_fma_f32 v[8:9], v[8:9], v[0:1], v[196:197] op_sel:[0,0,1] op_sel_hi:[1,0,0]
	s_wait_dscnt 0x1
	v_pk_mul_f32 v[208:209], v[188:189], v[2:3] op_sel:[0,1]
	v_dual_mov_b32 v211, v5 :: v_dual_mov_b32 v23, v7
	v_pk_fma_f32 v[4:5], v[12:13], v[0:1], v[204:205] op_sel:[0,0,1] op_sel_hi:[1,0,0]
	v_pk_fma_f32 v[196:197], v[198:199], v[56:57], v[202:203] op_sel_hi:[1,1,0]
	v_mov_b32_e32 v25, v9
	v_pk_fma_f32 v[8:9], v[12:13], v[0:1], v[204:205] op_sel:[0,0,1] op_sel_hi:[1,1,0] neg_lo:[0,0,1] neg_hi:[0,0,1]
	v_pk_fma_f32 v[12:13], v[14:15], v[0:1], v[206:207] op_sel:[0,0,1] op_sel_hi:[1,0,0]
	v_pk_add_f32 v[58:59], v[58:59], v[22:23] neg_lo:[0,1] neg_hi:[0,1]
	v_pk_fma_f32 v[22:23], v[188:189], v[0:1], v[208:209] op_sel:[0,0,1] op_sel_hi:[1,0,0]
	v_mov_b32_e32 v9, v5
	ds_load_2addr_b64 v[4:7], v20 offset0:13 offset1:14
	v_pk_fma_f32 v[14:15], v[14:15], v[0:1], v[206:207] op_sel:[0,0,1] op_sel_hi:[1,1,0] neg_lo:[0,0,1] neg_hi:[0,0,1]
	v_mov_b32_e32 v15, v13
	v_pk_fma_f32 v[12:13], v[188:189], v[0:1], v[208:209] op_sel:[0,0,1] op_sel_hi:[1,1,0] neg_lo:[0,0,1] neg_hi:[0,0,1]
	v_mov_b32_e32 v13, v23
	v_pk_fma_f32 v[10:11], v[10:11], v[56:57], v[200:201] op_sel_hi:[1,1,0] neg_lo:[0,0,1] neg_hi:[0,0,1]
	v_pk_mul_f32 v[22:23], v[190:191], v[2:3] op_sel:[0,1]
	v_mov_b32_e32 v11, v197
	v_pk_add_f32 v[50:51], v[50:51], v[24:25] neg_lo:[0,1] neg_hi:[0,1]
	v_pk_add_f32 v[78:79], v[78:79], v[12:13] neg_lo:[0,1] neg_hi:[0,1]
	s_wait_dscnt 0x1
	v_mul_f32_e32 v12, v193, v0
	v_pk_mul_f32 v[24:25], v[194:195], v[2:3] op_sel:[0,1]
	v_pk_add_f32 v[46:47], v[46:47], v[14:15] neg_lo:[0,1] neg_hi:[0,1]
	v_pk_fma_f32 v[14:15], v[190:191], v[0:1], v[22:23] op_sel:[0,0,1] op_sel_hi:[1,0,0]
	v_pk_add_f32 v[52:53], v[52:53], v[10:11] neg_lo:[0,1] neg_hi:[0,1]
	v_pk_add_f32 v[48:49], v[48:49], v[8:9] neg_lo:[0,1] neg_hi:[0,1]
	v_mul_f32_e32 v14, v193, v3
	ds_load_2addr_b64 v[8:11], v20 offset0:15 offset1:16
	v_pk_fma_f32 v[12:13], v[192:193], v[56:57], v[12:13] op_sel:[1,0,0] op_sel_hi:[0,1,0]
	v_pk_fma_f32 v[188:189], v[194:195], v[0:1], v[24:25] op_sel:[0,0,1] op_sel_hi:[1,0,0]
	v_pk_fma_f32 v[22:23], v[190:191], v[0:1], v[22:23] op_sel:[0,0,1] op_sel_hi:[1,1,0] neg_lo:[0,0,1] neg_hi:[0,0,1]
	v_mov_b32_e32 v23, v15
	v_pk_fma_f32 v[14:15], v[192:193], v[56:57], v[14:15] op_sel_hi:[1,1,0] neg_lo:[0,0,1] neg_hi:[0,0,1]
	v_mov_b32_e32 v15, v13
	v_pk_fma_f32 v[12:13], v[194:195], v[0:1], v[24:25] op_sel:[0,0,1] op_sel_hi:[1,1,0] neg_lo:[0,0,1] neg_hi:[0,0,1]
	s_wait_dscnt 0x1
	v_pk_mul_f32 v[190:191], v[4:5], v[2:3] op_sel:[0,1]
	v_mov_b32_e32 v13, v189
	v_pk_add_f32 v[80:81], v[80:81], v[22:23] neg_lo:[0,1] neg_hi:[0,1]
	v_pk_add_f32 v[76:77], v[76:77], v[14:15] neg_lo:[0,1] neg_hi:[0,1]
	v_pk_mul_f32 v[24:25], v[6:7], v[2:3] op_sel:[0,1]
	v_pk_fma_f32 v[22:23], v[4:5], v[0:1], v[190:191] op_sel:[0,0,1] op_sel_hi:[1,0,0]
	v_pk_add_f32 v[104:105], v[104:105], v[12:13] neg_lo:[0,1] neg_hi:[0,1]
	ds_load_2addr_b64 v[12:15], v20 offset0:17 offset1:18
	v_pk_fma_f32 v[188:189], v[4:5], v[0:1], v[190:191] op_sel:[0,0,1] op_sel_hi:[1,1,0] neg_lo:[0,0,1] neg_hi:[0,0,1]
	v_pk_add_f32 v[54:55], v[54:55], v[210:211] neg_lo:[0,1] neg_hi:[0,1]
	v_mov_b32_e32 v189, v23
	v_pk_fma_f32 v[22:23], v[6:7], v[0:1], v[24:25] op_sel:[0,0,1] op_sel_hi:[1,1,0] neg_lo:[0,0,1] neg_hi:[0,0,1]
	v_pk_fma_f32 v[24:25], v[6:7], v[0:1], v[24:25] op_sel:[0,0,1] op_sel_hi:[1,0,0]
	ds_load_2addr_b64 v[4:7], v20 offset0:19 offset1:20
	s_wait_dscnt 0x2
	v_pk_mul_f32 v[190:191], v[8:9], v[2:3] op_sel:[0,1]
	v_dual_mov_b32 v192, v11 :: v_dual_mov_b32 v193, v10
	v_dual_mul_f32 v24, v11, v0 :: v_dual_mov_b32 v23, v25
	v_pk_add_f32 v[102:103], v[102:103], v[188:189] neg_lo:[0,1] neg_hi:[0,1]
	s_delay_alu instid0(VALU_DEP_4) | instskip(SKIP_1) | instid1(VALU_DEP_4)
	v_pk_fma_f32 v[188:189], v[8:9], v[0:1], v[190:191] op_sel:[0,0,1] op_sel_hi:[1,0,0]
	v_mul_f32_e32 v188, v11, v3
	v_pk_fma_f32 v[24:25], v[192:193], v[56:57], v[24:25] op_sel_hi:[1,1,0]
	v_pk_add_f32 v[36:37], v[36:37], v[22:23] neg_lo:[0,1] neg_hi:[0,1]
	v_pk_fma_f32 v[22:23], v[8:9], v[0:1], v[190:191] op_sel:[0,0,1] op_sel_hi:[1,1,0] neg_lo:[0,0,1] neg_hi:[0,0,1]
	v_mov_b32_e32 v23, v189
	v_pk_fma_f32 v[188:189], v[10:11], v[56:57], v[188:189] op_sel_hi:[1,1,0] neg_lo:[0,0,1] neg_hi:[0,0,1]
	v_mov_b32_e32 v189, v25
	s_wait_dscnt 0x1
	v_pk_mul_f32 v[24:25], v[12:13], v[2:3] op_sel:[0,1]
	ds_load_2addr_b64 v[8:11], v20 offset0:21 offset1:22
	v_pk_mul_f32 v[192:193], v[14:15], v[2:3] op_sel:[0,1]
	v_pk_add_f32 v[34:35], v[34:35], v[22:23] neg_lo:[0,1] neg_hi:[0,1]
	v_pk_add_f32 v[66:67], v[66:67], v[188:189] neg_lo:[0,1] neg_hi:[0,1]
	v_pk_fma_f32 v[22:23], v[12:13], v[0:1], v[24:25] op_sel:[0,0,1] op_sel_hi:[1,0,0]
	s_wait_dscnt 0x1
	v_pk_mul_f32 v[194:195], v[4:5], v[2:3] op_sel:[0,1]
	v_pk_fma_f32 v[12:13], v[12:13], v[0:1], v[24:25] op_sel:[0,0,1] op_sel_hi:[1,1,0] neg_lo:[0,0,1] neg_hi:[0,0,1]
	v_pk_fma_f32 v[24:25], v[14:15], v[0:1], v[192:193] op_sel:[0,0,1] op_sel_hi:[1,0,0]
	ds_load_2addr_b64 v[188:191], v20 offset0:23 offset1:24
	v_mov_b32_e32 v13, v23
	v_pk_fma_f32 v[14:15], v[14:15], v[0:1], v[192:193] op_sel:[0,0,1] op_sel_hi:[1,1,0] neg_lo:[0,0,1] neg_hi:[0,0,1]
	v_pk_mul_f32 v[22:23], v[6:7], v[2:3] op_sel:[0,1]
	v_pk_fma_f32 v[192:193], v[4:5], v[0:1], v[194:195] op_sel:[0,0,1] op_sel_hi:[1,0,0]
	v_mov_b32_e32 v15, v25
	v_pk_fma_f32 v[4:5], v[4:5], v[0:1], v[194:195] op_sel:[0,0,1] op_sel_hi:[1,1,0] neg_lo:[0,0,1] neg_hi:[0,0,1]
	v_pk_add_f32 v[62:63], v[62:63], v[12:13] neg_lo:[0,1] neg_hi:[0,1]
	v_pk_fma_f32 v[12:13], v[6:7], v[0:1], v[22:23] op_sel:[0,0,1] op_sel_hi:[1,0,0]
	v_mov_b32_e32 v5, v193
	v_pk_add_f32 v[64:65], v[64:65], v[14:15] neg_lo:[0,1] neg_hi:[0,1]
	v_pk_fma_f32 v[14:15], v[6:7], v[0:1], v[22:23] op_sel:[0,0,1] op_sel_hi:[1,1,0] neg_lo:[0,0,1] neg_hi:[0,0,1]
	s_wait_dscnt 0x1
	v_dual_mul_f32 v12, v9, v0 :: v_dual_mul_f32 v22, v9, v3
	v_mov_b32_e32 v15, v13
	v_pk_add_f32 v[60:61], v[60:61], v[4:5] neg_lo:[0,1] neg_hi:[0,1]
	ds_load_2addr_b64 v[4:7], v20 offset0:25 offset1:26
	v_pk_fma_f32 v[12:13], v[8:9], v[56:57], v[12:13] op_sel:[1,0,0] op_sel_hi:[0,1,0]
	v_pk_mul_f32 v[24:25], v[10:11], v[2:3] op_sel:[0,1]
	v_pk_fma_f32 v[8:9], v[8:9], v[56:57], v[22:23] op_sel_hi:[1,1,0] neg_lo:[0,0,1] neg_hi:[0,0,1]
	s_wait_dscnt 0x1
	v_pk_mul_f32 v[192:193], v[188:189], v[2:3] op_sel:[0,1]
	v_pk_mul_f32 v[22:23], v[190:191], v[2:3] op_sel:[0,1]
	v_pk_add_f32 v[88:89], v[88:89], v[14:15] neg_lo:[0,1] neg_hi:[0,1]
	v_pk_fma_f32 v[194:195], v[10:11], v[0:1], v[24:25] op_sel:[0,0,1] op_sel_hi:[1,0,0]
	v_mov_b32_e32 v9, v13
	ds_load_2addr_b64 v[12:15], v20 offset0:27 offset1:28
	v_pk_fma_f32 v[196:197], v[188:189], v[0:1], v[192:193] op_sel:[0,0,1] op_sel_hi:[1,0,0]
	v_pk_fma_f32 v[10:11], v[10:11], v[0:1], v[24:25] op_sel:[0,0,1] op_sel_hi:[1,1,0] neg_lo:[0,0,1] neg_hi:[0,0,1]
	v_pk_fma_f32 v[24:25], v[190:191], v[0:1], v[22:23] op_sel:[0,0,1] op_sel_hi:[1,0,0]
	v_mov_b32_e32 v11, v195
	v_pk_fma_f32 v[188:189], v[188:189], v[0:1], v[192:193] op_sel:[0,0,1] op_sel_hi:[1,1,0] neg_lo:[0,0,1] neg_hi:[0,0,1]
	v_pk_fma_f32 v[22:23], v[190:191], v[0:1], v[22:23] op_sel:[0,0,1] op_sel_hi:[1,1,0] neg_lo:[0,0,1] neg_hi:[0,0,1]
	s_delay_alu instid0(VALU_DEP_4)
	v_dual_mov_b32 v189, v197 :: v_dual_mov_b32 v23, v25
	v_pk_add_f32 v[84:85], v[84:85], v[8:9] neg_lo:[0,1] neg_hi:[0,1]
	v_pk_add_f32 v[86:87], v[86:87], v[10:11] neg_lo:[0,1] neg_hi:[0,1]
	s_wait_dscnt 0x1
	v_pk_mul_f32 v[24:25], v[4:5], v[2:3] op_sel:[0,1]
	ds_load_2addr_b64 v[8:11], v20 offset0:29 offset1:30
	v_pk_add_f32 v[112:113], v[112:113], v[22:23] neg_lo:[0,1] neg_hi:[0,1]
	v_pk_add_f32 v[82:83], v[82:83], v[188:189] neg_lo:[0,1] neg_hi:[0,1]
	ds_load_2addr_b64 v[188:191], v20 offset0:31 offset1:32
	v_pk_fma_f32 v[22:23], v[4:5], v[0:1], v[24:25] op_sel:[0,0,1] op_sel_hi:[1,0,0]
	v_pk_fma_f32 v[4:5], v[4:5], v[0:1], v[24:25] op_sel:[0,0,1] op_sel_hi:[1,1,0] neg_lo:[0,0,1] neg_hi:[0,0,1]
	v_dual_mov_b32 v24, v7 :: v_dual_mov_b32 v25, v6
	v_dual_mul_f32 v22, v7, v0 :: v_dual_mul_f32 v194, v7, v3
	s_delay_alu instid0(VALU_DEP_4) | instskip(SKIP_2) | instid1(VALU_DEP_3)
	v_mov_b32_e32 v5, v23
	s_wait_dscnt 0x2
	v_pk_mul_f32 v[192:193], v[12:13], v[2:3] op_sel:[0,1]
	v_pk_fma_f32 v[22:23], v[24:25], v[56:57], v[22:23] op_sel_hi:[1,1,0]
	v_pk_mul_f32 v[24:25], v[14:15], v[2:3] op_sel:[0,1]
	v_pk_fma_f32 v[194:195], v[6:7], v[56:57], v[194:195] op_sel_hi:[1,1,0] neg_lo:[0,0,1] neg_hi:[0,0,1]
	s_delay_alu instid0(VALU_DEP_3)
	v_mov_b32_e32 v195, v23
	v_pk_add_f32 v[108:109], v[108:109], v[4:5] neg_lo:[0,1] neg_hi:[0,1]
	v_pk_fma_f32 v[4:5], v[12:13], v[0:1], v[192:193] op_sel:[0,0,1] op_sel_hi:[1,0,0]
	v_pk_fma_f32 v[6:7], v[14:15], v[0:1], v[24:25] op_sel:[0,0,1] op_sel_hi:[1,0,0]
	v_pk_fma_f32 v[12:13], v[12:13], v[0:1], v[192:193] op_sel:[0,0,1] op_sel_hi:[1,1,0] neg_lo:[0,0,1] neg_hi:[0,0,1]
	v_pk_fma_f32 v[14:15], v[14:15], v[0:1], v[24:25] op_sel:[0,0,1] op_sel_hi:[1,1,0] neg_lo:[0,0,1] neg_hi:[0,0,1]
	s_wait_dscnt 0x1
	v_pk_mul_f32 v[22:23], v[8:9], v[2:3] op_sel:[0,1]
	v_dual_mov_b32 v13, v5 :: v_dual_mov_b32 v15, v7
	ds_load_2addr_b64 v[4:7], v20 offset0:33 offset1:34
	v_pk_mul_f32 v[24:25], v[10:11], v[2:3] op_sel:[0,1]
	v_pk_add_f32 v[110:111], v[110:111], v[194:195] neg_lo:[0,1] neg_hi:[0,1]
	v_pk_add_f32 v[106:107], v[106:107], v[12:13] neg_lo:[0,1] neg_hi:[0,1]
	v_pk_fma_f32 v[12:13], v[8:9], v[0:1], v[22:23] op_sel:[0,0,1] op_sel_hi:[1,0,0]
	v_pk_add_f32 v[128:129], v[128:129], v[14:15] neg_lo:[0,1] neg_hi:[0,1]
	v_pk_fma_f32 v[14:15], v[8:9], v[0:1], v[22:23] op_sel:[0,0,1] op_sel_hi:[1,1,0] neg_lo:[0,0,1] neg_hi:[0,0,1]
	v_pk_fma_f32 v[22:23], v[10:11], v[0:1], v[24:25] op_sel:[0,0,1] op_sel_hi:[1,0,0]
	s_wait_dscnt 0x1
	v_dual_mul_f32 v12, v189, v0 :: v_dual_mul_f32 v22, v189, v3
	v_pk_fma_f32 v[24:25], v[10:11], v[0:1], v[24:25] op_sel:[0,0,1] op_sel_hi:[1,1,0] neg_lo:[0,0,1] neg_hi:[0,0,1]
	s_delay_alu instid0(VALU_DEP_3) | instskip(NEXT) | instid1(VALU_DEP_3)
	v_dual_mov_b32 v15, v13 :: v_dual_mov_b32 v25, v23
	v_pk_fma_f32 v[12:13], v[188:189], v[56:57], v[12:13] op_sel:[1,0,0] op_sel_hi:[0,1,0]
	ds_load_2addr_b64 v[8:11], v20 offset0:35 offset1:36
	v_pk_fma_f32 v[22:23], v[188:189], v[56:57], v[22:23] op_sel_hi:[1,1,0] neg_lo:[0,0,1] neg_hi:[0,0,1]
	v_pk_mul_f32 v[188:189], v[190:191], v[2:3] op_sel:[0,1]
	v_pk_add_f32 v[126:127], v[126:127], v[24:25] neg_lo:[0,1] neg_hi:[0,1]
	v_pk_add_f32 v[124:125], v[124:125], v[14:15] neg_lo:[0,1] neg_hi:[0,1]
	s_wait_dscnt 0x1
	v_pk_mul_f32 v[24:25], v[4:5], v[2:3] op_sel:[0,1]
	v_pk_fma_f32 v[192:193], v[190:191], v[0:1], v[188:189] op_sel:[0,0,1] op_sel_hi:[1,0,0]
	v_mov_b32_e32 v23, v13
	v_pk_fma_f32 v[188:189], v[190:191], v[0:1], v[188:189] op_sel:[0,0,1] op_sel_hi:[1,1,0] neg_lo:[0,0,1] neg_hi:[0,0,1]
	ds_load_2addr_b64 v[12:15], v20 offset0:37 offset1:38
	v_pk_fma_f32 v[194:195], v[4:5], v[0:1], v[24:25] op_sel:[0,0,1] op_sel_hi:[1,0,0]
	v_mov_b32_e32 v189, v193
	v_pk_add_f32 v[122:123], v[122:123], v[22:23] neg_lo:[0,1] neg_hi:[0,1]
	v_pk_mul_f32 v[22:23], v[6:7], v[2:3] op_sel:[0,1]
	v_pk_fma_f32 v[4:5], v[4:5], v[0:1], v[24:25] op_sel:[0,0,1] op_sel_hi:[1,1,0] neg_lo:[0,0,1] neg_hi:[0,0,1]
	s_delay_alu instid0(VALU_DEP_4) | instskip(NEXT) | instid1(VALU_DEP_3)
	v_pk_add_f32 v[150:151], v[150:151], v[188:189] neg_lo:[0,1] neg_hi:[0,1]
	v_pk_fma_f32 v[190:191], v[6:7], v[0:1], v[22:23] op_sel:[0,0,1] op_sel_hi:[1,0,0]
	v_mov_b32_e32 v5, v195
	v_pk_fma_f32 v[22:23], v[6:7], v[0:1], v[22:23] op_sel:[0,0,1] op_sel_hi:[1,1,0] neg_lo:[0,0,1] neg_hi:[0,0,1]
	s_wait_dscnt 0x1
	v_pk_mul_f32 v[24:25], v[8:9], v[2:3] op_sel:[0,1]
	v_mul_f32_e32 v194, v11, v3
	v_mov_b32_e32 v23, v191
	v_pk_add_f32 v[146:147], v[146:147], v[4:5] neg_lo:[0,1] neg_hi:[0,1]
	ds_load_2addr_b64 v[4:7], v20 offset0:39 offset1:40
	ds_load_2addr_b64 v[188:191], v20 offset0:41 offset1:42
	v_pk_fma_f32 v[194:195], v[10:11], v[56:57], v[194:195] op_sel_hi:[1,1,0] neg_lo:[0,0,1] neg_hi:[0,0,1]
	v_pk_add_f32 v[148:149], v[148:149], v[22:23] neg_lo:[0,1] neg_hi:[0,1]
	v_pk_fma_f32 v[22:23], v[8:9], v[0:1], v[24:25] op_sel:[0,0,1] op_sel_hi:[1,0,0]
	v_pk_fma_f32 v[8:9], v[8:9], v[0:1], v[24:25] op_sel:[0,0,1] op_sel_hi:[1,1,0] neg_lo:[0,0,1] neg_hi:[0,0,1]
	v_dual_mov_b32 v24, v11 :: v_dual_mov_b32 v25, v10
	v_mul_f32_e32 v22, v11, v0
	s_delay_alu instid0(VALU_DEP_4) | instskip(SKIP_2) | instid1(VALU_DEP_3)
	v_mov_b32_e32 v9, v23
	s_wait_dscnt 0x2
	v_pk_mul_f32 v[192:193], v[12:13], v[2:3] op_sel:[0,1]
	v_pk_fma_f32 v[22:23], v[24:25], v[56:57], v[22:23] op_sel_hi:[1,1,0]
	v_pk_mul_f32 v[24:25], v[14:15], v[2:3] op_sel:[0,1]
	s_delay_alu instid0(VALU_DEP_2)
	v_mov_b32_e32 v195, v23
	v_pk_add_f32 v[144:145], v[144:145], v[8:9] neg_lo:[0,1] neg_hi:[0,1]
	v_pk_fma_f32 v[8:9], v[12:13], v[0:1], v[192:193] op_sel:[0,0,1] op_sel_hi:[1,0,0]
	v_pk_fma_f32 v[12:13], v[12:13], v[0:1], v[192:193] op_sel:[0,0,1] op_sel_hi:[1,1,0] neg_lo:[0,0,1] neg_hi:[0,0,1]
	v_pk_fma_f32 v[22:23], v[14:15], v[0:1], v[24:25] op_sel:[0,0,1] op_sel_hi:[1,0,0]
	s_wait_dscnt 0x1
	v_pk_mul_f32 v[192:193], v[4:5], v[2:3] op_sel:[0,1]
	v_pk_add_f32 v[174:175], v[174:175], v[194:195] neg_lo:[0,1] neg_hi:[0,1]
	v_mov_b32_e32 v13, v9
	ds_load_2addr_b64 v[8:11], v20 offset0:43 offset1:44
	v_pk_add_f32 v[166:167], v[166:167], v[12:13] neg_lo:[0,1] neg_hi:[0,1]
	v_pk_fma_f32 v[12:13], v[14:15], v[0:1], v[24:25] op_sel:[0,0,1] op_sel_hi:[1,1,0] neg_lo:[0,0,1] neg_hi:[0,0,1]
	v_pk_fma_f32 v[14:15], v[4:5], v[0:1], v[192:193] op_sel:[0,0,1] op_sel_hi:[1,0,0]
	s_wait_dscnt 0x1
	v_dual_mov_b32 v13, v23 :: v_dual_mul_f32 v14, v189, v0
	v_pk_mul_f32 v[22:23], v[6:7], v[2:3] op_sel:[0,1]
	v_pk_fma_f32 v[4:5], v[4:5], v[0:1], v[192:193] op_sel:[0,0,1] op_sel_hi:[1,1,0] neg_lo:[0,0,1] neg_hi:[0,0,1]
	v_mov_b32_e32 v5, v15
	s_delay_alu instid0(VALU_DEP_4)
	v_pk_add_f32 v[172:173], v[172:173], v[12:13] neg_lo:[0,1] neg_hi:[0,1]
	v_pk_fma_f32 v[14:15], v[188:189], v[56:57], v[14:15] op_sel:[1,0,0] op_sel_hi:[0,1,0]
	v_pk_fma_f32 v[12:13], v[6:7], v[0:1], v[22:23] op_sel:[0,0,1] op_sel_hi:[1,0,0]
	v_mul_f32_e32 v12, v189, v3
	v_pk_add_f32 v[164:165], v[164:165], v[4:5] neg_lo:[0,1] neg_hi:[0,1]
	v_pk_fma_f32 v[4:5], v[6:7], v[0:1], v[22:23] op_sel:[0,0,1] op_sel_hi:[1,1,0] neg_lo:[0,0,1] neg_hi:[0,0,1]
	s_wait_dscnt 0x0
	v_dual_mov_b32 v5, v13 :: v_dual_mov_b32 v22, v11
	v_pk_fma_f32 v[6:7], v[188:189], v[56:57], v[12:13] op_sel_hi:[1,1,0] neg_lo:[0,0,1] neg_hi:[0,0,1]
	v_pk_mul_f32 v[12:13], v[190:191], v[2:3] op_sel:[0,1]
	v_mov_b32_e32 v7, v15
	v_pk_mul_f32 v[14:15], v[8:9], v[2:3] op_sel:[0,1]
	v_dual_mov_b32 v23, v10 :: v_dual_mul_f32 v2, v11, v0
	s_delay_alu instid0(VALU_DEP_4) | instskip(SKIP_1) | instid1(VALU_DEP_4)
	v_pk_fma_f32 v[24:25], v[190:191], v[0:1], v[12:13] op_sel:[0,0,1] op_sel_hi:[1,0,0]
	v_mul_f32_e32 v24, v11, v3
	v_pk_fma_f32 v[188:189], v[8:9], v[0:1], v[14:15] op_sel:[0,0,1] op_sel_hi:[1,0,0]
	v_pk_fma_f32 v[12:13], v[190:191], v[0:1], v[12:13] op_sel:[0,0,1] op_sel_hi:[1,1,0] neg_lo:[0,0,1] neg_hi:[0,0,1]
	v_pk_fma_f32 v[2:3], v[22:23], v[56:57], v[2:3] op_sel_hi:[1,1,0]
	v_mov_b32_e32 v13, v25
	v_pk_fma_f32 v[0:1], v[8:9], v[0:1], v[14:15] op_sel:[0,0,1] op_sel_hi:[1,1,0] neg_lo:[0,0,1] neg_hi:[0,0,1]
	v_pk_fma_f32 v[8:9], v[10:11], v[56:57], v[24:25] op_sel_hi:[1,1,0] neg_lo:[0,0,1] neg_hi:[0,0,1]
	s_delay_alu instid0(VALU_DEP_4) | instskip(SKIP_3) | instid1(VALU_DEP_4)
	v_dual_mov_b32 v1, v189 :: v_dual_mov_b32 v9, v3
	v_pk_add_f32 v[170:171], v[170:171], v[4:5] neg_lo:[0,1] neg_hi:[0,1]
	v_pk_add_f32 v[162:163], v[162:163], v[6:7] neg_lo:[0,1] neg_hi:[0,1]
	;; [unrolled: 1-line block ×5, first 2 shown]
.LBB89_28:
	s_or_b32 exec_lo, exec_lo, s1
	s_delay_alu instid0(SALU_CYCLE_1)
	s_mov_b32 s2, exec_lo
	s_wait_dscnt 0x0
	s_barrier_signal -1
	s_barrier_wait -1
	v_cmpx_eq_u32_e32 3, v38
	s_cbranch_execz .LBB89_35
; %bb.29:
	v_dual_mov_b32 v0, v58 :: v_dual_mov_b32 v1, v59
	v_dual_mov_b32 v2, v50 :: v_dual_mov_b32 v3, v51
	;; [unrolled: 1-line block ×4, first 2 shown]
	ds_store_b64 v39, v[54:55]
	ds_store_2addr_b64 v20, v[0:1], v[2:3] offset0:4 offset1:5
	ds_store_2addr_b64 v20, v[4:5], v[6:7] offset0:6 offset1:7
	v_dual_mov_b32 v0, v46 :: v_dual_mov_b32 v1, v47
	v_dual_mov_b32 v2, v78 :: v_dual_mov_b32 v3, v79
	v_dual_mov_b32 v4, v80 :: v_dual_mov_b32 v5, v81
	v_dual_mov_b32 v6, v76 :: v_dual_mov_b32 v7, v77
	v_dual_mov_b32 v8, v104 :: v_dual_mov_b32 v9, v105
	v_dual_mov_b32 v10, v102 :: v_dual_mov_b32 v11, v103
	v_dual_mov_b32 v12, v36 :: v_dual_mov_b32 v13, v37
	v_dual_mov_b32 v14, v34 :: v_dual_mov_b32 v15, v35
	v_dual_mov_b32 v22, v66 :: v_dual_mov_b32 v23, v67
	v_dual_mov_b32 v24, v62 :: v_dual_mov_b32 v25, v63
	v_dual_mov_b32 v188, v64 :: v_dual_mov_b32 v189, v65
	v_dual_mov_b32 v190, v60 :: v_dual_mov_b32 v191, v61
	ds_store_2addr_b64 v20, v[0:1], v[2:3] offset0:8 offset1:9
	ds_store_2addr_b64 v20, v[4:5], v[6:7] offset0:10 offset1:11
	ds_store_2addr_b64 v20, v[8:9], v[10:11] offset0:12 offset1:13
	ds_store_2addr_b64 v20, v[12:13], v[14:15] offset0:14 offset1:15
	ds_store_2addr_b64 v20, v[22:23], v[24:25] offset0:16 offset1:17
	ds_store_2addr_b64 v20, v[188:189], v[190:191] offset0:18 offset1:19
	v_dual_mov_b32 v0, v88 :: v_dual_mov_b32 v1, v89
	v_dual_mov_b32 v2, v84 :: v_dual_mov_b32 v3, v85
	v_dual_mov_b32 v4, v86 :: v_dual_mov_b32 v5, v87
	v_dual_mov_b32 v6, v82 :: v_dual_mov_b32 v7, v83
	v_dual_mov_b32 v8, v112 :: v_dual_mov_b32 v9, v113
	v_dual_mov_b32 v10, v108 :: v_dual_mov_b32 v11, v109
	v_dual_mov_b32 v12, v110 :: v_dual_mov_b32 v13, v111
	v_dual_mov_b32 v14, v106 :: v_dual_mov_b32 v15, v107
	v_dual_mov_b32 v22, v128 :: v_dual_mov_b32 v23, v129
	v_dual_mov_b32 v24, v124 :: v_dual_mov_b32 v25, v125
	v_dual_mov_b32 v188, v126 :: v_dual_mov_b32 v189, v127
	v_dual_mov_b32 v190, v122 :: v_dual_mov_b32 v191, v123
	ds_store_2addr_b64 v20, v[0:1], v[2:3] offset0:20 offset1:21
	ds_store_2addr_b64 v20, v[4:5], v[6:7] offset0:22 offset1:23
	ds_store_2addr_b64 v20, v[8:9], v[10:11] offset0:24 offset1:25
	ds_store_2addr_b64 v20, v[12:13], v[14:15] offset0:26 offset1:27
	;; [unrolled: 18-line block ×3, first 2 shown]
	ds_store_2addr_b64 v20, v[22:23], v[24:25] offset0:40 offset1:41
	ds_store_2addr_b64 v20, v[188:189], v[190:191] offset0:42 offset1:43
	ds_store_b64 v20, v[180:181] offset:352
	ds_load_b64 v[0:1], v39
	s_wait_dscnt 0x0
	v_cmp_neq_f32_e32 vcc_lo, 0, v0
	v_cmp_neq_f32_e64 s1, 0, v1
	s_or_b32 s1, vcc_lo, s1
	s_delay_alu instid0(SALU_CYCLE_1)
	s_and_b32 exec_lo, exec_lo, s1
	s_cbranch_execz .LBB89_35
; %bb.30:
	v_cmp_ngt_f32_e64 s1, |v0|, |v1|
                                        ; implicit-def: $vgpr2_vgpr3
	s_and_saveexec_b32 s4, s1
	s_delay_alu instid0(SALU_CYCLE_1)
	s_xor_b32 s1, exec_lo, s4
	s_cbranch_execz .LBB89_32
; %bb.31:
	v_div_scale_f32 v2, null, v1, v1, v0
	v_div_scale_f32 v5, vcc_lo, v0, v1, v0
	s_delay_alu instid0(VALU_DEP_2) | instskip(SKIP_1) | instid1(TRANS32_DEP_1)
	v_rcp_f32_e32 v3, v2
	v_nop
	v_fma_f32 v4, -v2, v3, 1.0
	s_delay_alu instid0(VALU_DEP_1) | instskip(NEXT) | instid1(VALU_DEP_1)
	v_fmac_f32_e32 v3, v4, v3
	v_mul_f32_e32 v4, v5, v3
	s_delay_alu instid0(VALU_DEP_1) | instskip(NEXT) | instid1(VALU_DEP_1)
	v_fma_f32 v6, -v2, v4, v5
	v_fmac_f32_e32 v4, v6, v3
	s_delay_alu instid0(VALU_DEP_1) | instskip(NEXT) | instid1(VALU_DEP_1)
	v_fma_f32 v2, -v2, v4, v5
	v_div_fmas_f32 v2, v2, v3, v4
	s_delay_alu instid0(VALU_DEP_1) | instskip(NEXT) | instid1(VALU_DEP_1)
	v_div_fixup_f32 v2, v2, v1, v0
	v_fmac_f32_e32 v1, v0, v2
	s_delay_alu instid0(VALU_DEP_1) | instskip(SKIP_1) | instid1(VALU_DEP_2)
	v_div_scale_f32 v0, null, v1, v1, 1.0
	v_div_scale_f32 v5, vcc_lo, 1.0, v1, 1.0
	v_rcp_f32_e32 v3, v0
	v_nop
	s_delay_alu instid0(TRANS32_DEP_1) | instskip(NEXT) | instid1(VALU_DEP_1)
	v_fma_f32 v4, -v0, v3, 1.0
	v_fmac_f32_e32 v3, v4, v3
	s_delay_alu instid0(VALU_DEP_1) | instskip(NEXT) | instid1(VALU_DEP_1)
	v_mul_f32_e32 v4, v5, v3
	v_fma_f32 v6, -v0, v4, v5
	s_delay_alu instid0(VALU_DEP_1) | instskip(NEXT) | instid1(VALU_DEP_1)
	v_fmac_f32_e32 v4, v6, v3
	v_fma_f32 v0, -v0, v4, v5
	s_delay_alu instid0(VALU_DEP_1) | instskip(NEXT) | instid1(VALU_DEP_1)
	v_div_fmas_f32 v0, v0, v3, v4
	v_div_fixup_f32 v0, v0, v1, 1.0
	s_delay_alu instid0(VALU_DEP_1)
	v_mul_f32_e32 v2, v2, v0
	v_xor_b32_e32 v3, 0x80000000, v0
                                        ; implicit-def: $vgpr0_vgpr1
.LBB89_32:
	s_and_not1_saveexec_b32 s1, s1
	s_cbranch_execz .LBB89_34
; %bb.33:
	v_div_scale_f32 v2, null, v0, v0, v1
	v_div_scale_f32 v5, vcc_lo, v1, v0, v1
	s_delay_alu instid0(VALU_DEP_2) | instskip(SKIP_1) | instid1(TRANS32_DEP_1)
	v_rcp_f32_e32 v3, v2
	v_nop
	v_fma_f32 v4, -v2, v3, 1.0
	s_delay_alu instid0(VALU_DEP_1) | instskip(NEXT) | instid1(VALU_DEP_1)
	v_fmac_f32_e32 v3, v4, v3
	v_mul_f32_e32 v4, v5, v3
	s_delay_alu instid0(VALU_DEP_1) | instskip(NEXT) | instid1(VALU_DEP_1)
	v_fma_f32 v6, -v2, v4, v5
	v_fmac_f32_e32 v4, v6, v3
	s_delay_alu instid0(VALU_DEP_1) | instskip(NEXT) | instid1(VALU_DEP_1)
	v_fma_f32 v2, -v2, v4, v5
	v_div_fmas_f32 v2, v2, v3, v4
	s_delay_alu instid0(VALU_DEP_1) | instskip(NEXT) | instid1(VALU_DEP_1)
	v_div_fixup_f32 v3, v2, v0, v1
	v_fmac_f32_e32 v0, v1, v3
	s_delay_alu instid0(VALU_DEP_1) | instskip(NEXT) | instid1(VALU_DEP_1)
	v_div_scale_f32 v1, null, v0, v0, 1.0
	v_rcp_f32_e32 v2, v1
	v_nop
	s_delay_alu instid0(TRANS32_DEP_1) | instskip(NEXT) | instid1(VALU_DEP_1)
	v_fma_f32 v4, -v1, v2, 1.0
	v_fmac_f32_e32 v2, v4, v2
	v_div_scale_f32 v4, vcc_lo, 1.0, v0, 1.0
	s_delay_alu instid0(VALU_DEP_1) | instskip(NEXT) | instid1(VALU_DEP_1)
	v_mul_f32_e32 v5, v4, v2
	v_fma_f32 v6, -v1, v5, v4
	s_delay_alu instid0(VALU_DEP_1) | instskip(NEXT) | instid1(VALU_DEP_1)
	v_fmac_f32_e32 v5, v6, v2
	v_fma_f32 v1, -v1, v5, v4
	s_delay_alu instid0(VALU_DEP_1) | instskip(NEXT) | instid1(VALU_DEP_1)
	v_div_fmas_f32 v1, v1, v2, v5
	v_div_fixup_f32 v2, v1, v0, 1.0
	s_delay_alu instid0(VALU_DEP_1)
	v_mul_f32_e64 v3, v3, -v2
.LBB89_34:
	s_or_b32 exec_lo, exec_lo, s1
	ds_store_b64 v39, v[2:3]
.LBB89_35:
	s_or_b32 exec_lo, exec_lo, s2
	s_wait_dscnt 0x0
	s_barrier_signal -1
	s_barrier_wait -1
	ds_load_b64 v[188:189], v39
	s_mov_b32 s1, exec_lo
	v_cmpx_lt_u32_e32 3, v38
	s_cbranch_execz .LBB89_37
; %bb.36:
	ds_load_2addr_b64 v[4:7], v20 offset0:4 offset1:5
	ds_load_2addr_b64 v[8:11], v20 offset0:6 offset1:7
	ds_load_2addr_b64 v[12:15], v20 offset0:8 offset1:9
	s_wait_dscnt 0x3
	v_pk_mul_f32 v[2:3], v[188:189], v[54:55] op_sel:[1,1] op_sel_hi:[0,1]
	ds_load_2addr_b64 v[190:193], v20 offset0:10 offset1:11
	ds_load_2addr_b64 v[194:197], v20 offset0:12 offset1:13
	v_pk_fma_f32 v[0:1], v[188:189], v[54:55], v[2:3] op_sel_hi:[1,0,1] neg_lo:[0,0,1] neg_hi:[0,0,1]
	v_pk_fma_f32 v[2:3], v[188:189], v[54:55], v[2:3] op_sel_hi:[1,0,1]
	s_delay_alu instid0(VALU_DEP_1) | instskip(SKIP_1) | instid1(VALU_DEP_2)
	v_dual_mov_b32 v54, v0 :: v_dual_mov_b32 v55, v3
	s_wait_dscnt 0x4
	v_pk_mul_f32 v[22:23], v[4:5], v[2:3] op_sel:[0,1]
	v_pk_mul_f32 v[24:25], v[6:7], v[2:3] op_sel:[0,1]
	s_wait_dscnt 0x3
	v_pk_mul_f32 v[198:199], v[8:9], v[2:3] op_sel:[0,1]
	v_dual_mov_b32 v200, v11 :: v_dual_mov_b32 v201, v10
	v_pk_fma_f32 v[212:213], v[4:5], v[0:1], v[22:23] op_sel:[0,0,1] op_sel_hi:[1,1,0] neg_lo:[0,0,1] neg_hi:[0,0,1]
	v_pk_fma_f32 v[4:5], v[4:5], v[0:1], v[22:23] op_sel:[0,0,1] op_sel_hi:[1,0,0]
	v_pk_fma_f32 v[22:23], v[6:7], v[0:1], v[24:25] op_sel:[0,0,1] op_sel_hi:[1,1,0] neg_lo:[0,0,1] neg_hi:[0,0,1]
	v_pk_fma_f32 v[6:7], v[6:7], v[0:1], v[24:25] op_sel:[0,0,1] op_sel_hi:[1,0,0]
	v_dual_mul_f32 v202, v11, v3 :: v_dual_mul_f32 v204, v11, v0
	s_wait_dscnt 0x2
	v_pk_mul_f32 v[206:207], v[12:13], v[2:3] op_sel:[0,1]
	v_pk_mul_f32 v[208:209], v[14:15], v[2:3] op_sel:[0,1]
	v_pk_fma_f32 v[24:25], v[8:9], v[0:1], v[198:199] op_sel:[0,0,1] op_sel_hi:[1,1,0] neg_lo:[0,0,1] neg_hi:[0,0,1]
	v_pk_fma_f32 v[8:9], v[8:9], v[0:1], v[198:199] op_sel:[0,0,1] op_sel_hi:[1,0,0]
	s_wait_dscnt 0x1
	v_pk_mul_f32 v[210:211], v[190:191], v[2:3] op_sel:[0,1]
	v_dual_mov_b32 v213, v5 :: v_dual_mov_b32 v23, v7
	v_pk_fma_f32 v[198:199], v[200:201], v[54:55], v[204:205] op_sel_hi:[1,1,0]
	v_mov_b32_e32 v25, v9
	v_pk_fma_f32 v[4:5], v[12:13], v[0:1], v[206:207] op_sel:[0,0,1] op_sel_hi:[1,0,0]
	v_pk_fma_f32 v[8:9], v[12:13], v[0:1], v[206:207] op_sel:[0,0,1] op_sel_hi:[1,1,0] neg_lo:[0,0,1] neg_hi:[0,0,1]
	v_pk_fma_f32 v[12:13], v[14:15], v[0:1], v[208:209] op_sel:[0,0,1] op_sel_hi:[1,0,0]
	v_pk_add_f32 v[50:51], v[50:51], v[22:23] neg_lo:[0,1] neg_hi:[0,1]
	v_pk_fma_f32 v[22:23], v[190:191], v[0:1], v[210:211] op_sel:[0,0,1] op_sel_hi:[1,0,0]
	v_pk_fma_f32 v[14:15], v[14:15], v[0:1], v[208:209] op_sel:[0,0,1] op_sel_hi:[1,1,0] neg_lo:[0,0,1] neg_hi:[0,0,1]
	s_delay_alu instid0(VALU_DEP_4) | instskip(SKIP_1) | instid1(VALU_DEP_4)
	v_dual_mov_b32 v9, v5 :: v_dual_mov_b32 v15, v13
	v_pk_fma_f32 v[12:13], v[190:191], v[0:1], v[210:211] op_sel:[0,0,1] op_sel_hi:[1,1,0] neg_lo:[0,0,1] neg_hi:[0,0,1]
	v_mov_b32_e32 v13, v23
	v_pk_mul_f32 v[22:23], v[192:193], v[2:3] op_sel:[0,1]
	ds_load_2addr_b64 v[4:7], v20 offset0:14 offset1:15
	v_pk_add_f32 v[78:79], v[78:79], v[14:15] neg_lo:[0,1] neg_hi:[0,1]
	v_pk_fma_f32 v[10:11], v[10:11], v[54:55], v[202:203] op_sel_hi:[1,1,0] neg_lo:[0,0,1] neg_hi:[0,0,1]
	v_mov_b32_e32 v11, v199
	v_pk_fma_f32 v[14:15], v[192:193], v[0:1], v[22:23] op_sel:[0,0,1] op_sel_hi:[1,0,0]
	v_pk_fma_f32 v[22:23], v[192:193], v[0:1], v[22:23] op_sel:[0,0,1] op_sel_hi:[1,1,0] neg_lo:[0,0,1] neg_hi:[0,0,1]
	v_pk_add_f32 v[52:53], v[52:53], v[24:25] neg_lo:[0,1] neg_hi:[0,1]
	s_wait_dscnt 0x1
	v_pk_mul_f32 v[24:25], v[196:197], v[2:3] op_sel:[0,1]
	v_pk_add_f32 v[48:49], v[48:49], v[10:11] neg_lo:[0,1] neg_hi:[0,1]
	v_mov_b32_e32 v23, v15
	v_pk_add_f32 v[80:81], v[80:81], v[12:13] neg_lo:[0,1] neg_hi:[0,1]
	v_dual_mul_f32 v12, v195, v0 :: v_dual_mul_f32 v14, v195, v3
	v_pk_add_f32 v[46:47], v[46:47], v[8:9] neg_lo:[0,1] neg_hi:[0,1]
	ds_load_2addr_b64 v[8:11], v20 offset0:16 offset1:17
	v_pk_fma_f32 v[190:191], v[196:197], v[0:1], v[24:25] op_sel:[0,0,1] op_sel_hi:[1,0,0]
	v_pk_fma_f32 v[12:13], v[194:195], v[54:55], v[12:13] op_sel:[1,0,0] op_sel_hi:[0,1,0]
	v_pk_fma_f32 v[14:15], v[194:195], v[54:55], v[14:15] op_sel_hi:[1,1,0] neg_lo:[0,0,1] neg_hi:[0,0,1]
	v_pk_add_f32 v[76:77], v[76:77], v[22:23] neg_lo:[0,1] neg_hi:[0,1]
	v_pk_add_f32 v[58:59], v[58:59], v[212:213] neg_lo:[0,1] neg_hi:[0,1]
	s_wait_dscnt 0x1
	v_pk_mul_f32 v[192:193], v[4:5], v[2:3] op_sel:[0,1]
	v_mov_b32_e32 v15, v13
	v_pk_fma_f32 v[12:13], v[196:197], v[0:1], v[24:25] op_sel:[0,0,1] op_sel_hi:[1,1,0] neg_lo:[0,0,1] neg_hi:[0,0,1]
	v_mov_b32_e32 v13, v191
	v_pk_mul_f32 v[24:25], v[6:7], v[2:3] op_sel:[0,1]
	v_pk_fma_f32 v[22:23], v[4:5], v[0:1], v[192:193] op_sel:[0,0,1] op_sel_hi:[1,0,0]
	v_pk_add_f32 v[104:105], v[104:105], v[14:15] neg_lo:[0,1] neg_hi:[0,1]
	v_pk_fma_f32 v[190:191], v[4:5], v[0:1], v[192:193] op_sel:[0,0,1] op_sel_hi:[1,1,0] neg_lo:[0,0,1] neg_hi:[0,0,1]
	v_pk_add_f32 v[102:103], v[102:103], v[12:13] neg_lo:[0,1] neg_hi:[0,1]
	ds_load_2addr_b64 v[12:15], v20 offset0:18 offset1:19
	v_mov_b32_e32 v191, v23
	v_pk_fma_f32 v[22:23], v[6:7], v[0:1], v[24:25] op_sel:[0,0,1] op_sel_hi:[1,1,0] neg_lo:[0,0,1] neg_hi:[0,0,1]
	v_pk_fma_f32 v[24:25], v[6:7], v[0:1], v[24:25] op_sel:[0,0,1] op_sel_hi:[1,0,0]
	ds_load_2addr_b64 v[4:7], v20 offset0:20 offset1:21
	s_wait_dscnt 0x2
	v_pk_mul_f32 v[192:193], v[8:9], v[2:3] op_sel:[0,1]
	v_dual_mov_b32 v194, v11 :: v_dual_mov_b32 v195, v10
	v_dual_mul_f32 v24, v11, v0 :: v_dual_mov_b32 v23, v25
	v_pk_add_f32 v[36:37], v[36:37], v[190:191] neg_lo:[0,1] neg_hi:[0,1]
	s_delay_alu instid0(VALU_DEP_4) | instskip(SKIP_1) | instid1(VALU_DEP_4)
	v_pk_fma_f32 v[190:191], v[8:9], v[0:1], v[192:193] op_sel:[0,0,1] op_sel_hi:[1,0,0]
	v_mul_f32_e32 v190, v11, v3
	v_pk_fma_f32 v[24:25], v[194:195], v[54:55], v[24:25] op_sel_hi:[1,1,0]
	v_pk_add_f32 v[34:35], v[34:35], v[22:23] neg_lo:[0,1] neg_hi:[0,1]
	v_pk_fma_f32 v[22:23], v[8:9], v[0:1], v[192:193] op_sel:[0,0,1] op_sel_hi:[1,1,0] neg_lo:[0,0,1] neg_hi:[0,0,1]
	v_mov_b32_e32 v23, v191
	v_pk_fma_f32 v[190:191], v[10:11], v[54:55], v[190:191] op_sel_hi:[1,1,0] neg_lo:[0,0,1] neg_hi:[0,0,1]
	v_mov_b32_e32 v191, v25
	ds_load_2addr_b64 v[8:11], v20 offset0:22 offset1:23
	s_wait_dscnt 0x2
	v_pk_mul_f32 v[24:25], v[12:13], v[2:3] op_sel:[0,1]
	v_pk_mul_f32 v[194:195], v[14:15], v[2:3] op_sel:[0,1]
	v_pk_add_f32 v[66:67], v[66:67], v[22:23] neg_lo:[0,1] neg_hi:[0,1]
	v_pk_add_f32 v[62:63], v[62:63], v[190:191] neg_lo:[0,1] neg_hi:[0,1]
	s_wait_dscnt 0x1
	v_pk_mul_f32 v[196:197], v[4:5], v[2:3] op_sel:[0,1]
	v_pk_fma_f32 v[22:23], v[12:13], v[0:1], v[24:25] op_sel:[0,0,1] op_sel_hi:[1,0,0]
	v_pk_fma_f32 v[12:13], v[12:13], v[0:1], v[24:25] op_sel:[0,0,1] op_sel_hi:[1,1,0] neg_lo:[0,0,1] neg_hi:[0,0,1]
	v_pk_fma_f32 v[198:199], v[14:15], v[0:1], v[194:195] op_sel:[0,0,1] op_sel_hi:[1,0,0]
	ds_load_2addr_b64 v[190:193], v20 offset0:24 offset1:25
	v_pk_fma_f32 v[14:15], v[14:15], v[0:1], v[194:195] op_sel:[0,0,1] op_sel_hi:[1,1,0] neg_lo:[0,0,1] neg_hi:[0,0,1]
	v_mov_b32_e32 v13, v23
	v_pk_fma_f32 v[22:23], v[4:5], v[0:1], v[196:197] op_sel:[0,0,1] op_sel_hi:[1,0,0]
	v_pk_mul_f32 v[24:25], v[6:7], v[2:3] op_sel:[0,1]
	v_pk_fma_f32 v[4:5], v[4:5], v[0:1], v[196:197] op_sel:[0,0,1] op_sel_hi:[1,1,0] neg_lo:[0,0,1] neg_hi:[0,0,1]
	v_mov_b32_e32 v15, v199
	v_pk_add_f32 v[64:65], v[64:65], v[12:13] neg_lo:[0,1] neg_hi:[0,1]
	v_mov_b32_e32 v5, v23
	v_pk_fma_f32 v[22:23], v[6:7], v[0:1], v[24:25] op_sel:[0,0,1] op_sel_hi:[1,0,0]
	v_pk_fma_f32 v[6:7], v[6:7], v[0:1], v[24:25] op_sel:[0,0,1] op_sel_hi:[1,1,0] neg_lo:[0,0,1] neg_hi:[0,0,1]
	v_pk_add_f32 v[60:61], v[60:61], v[14:15] neg_lo:[0,1] neg_hi:[0,1]
	ds_load_2addr_b64 v[12:15], v20 offset0:26 offset1:27
	v_pk_add_f32 v[88:89], v[88:89], v[4:5] neg_lo:[0,1] neg_hi:[0,1]
	s_wait_dscnt 0x2
	v_dual_mul_f32 v4, v9, v0 :: v_dual_mov_b32 v7, v23
	v_mul_f32_e32 v22, v9, v3
	v_pk_mul_f32 v[24:25], v[10:11], v[2:3] op_sel:[0,1]
	s_delay_alu instid0(VALU_DEP_3)
	v_pk_fma_f32 v[4:5], v[8:9], v[54:55], v[4:5] op_sel:[1,0,0] op_sel_hi:[0,1,0]
	s_wait_dscnt 0x1
	v_pk_mul_f32 v[194:195], v[190:191], v[2:3] op_sel:[0,1]
	v_pk_fma_f32 v[8:9], v[8:9], v[54:55], v[22:23] op_sel_hi:[1,1,0] neg_lo:[0,0,1] neg_hi:[0,0,1]
	v_pk_add_f32 v[84:85], v[84:85], v[6:7] neg_lo:[0,1] neg_hi:[0,1]
	v_pk_fma_f32 v[22:23], v[10:11], v[0:1], v[24:25] op_sel:[0,0,1] op_sel_hi:[1,0,0]
	v_mov_b32_e32 v9, v5
	ds_load_2addr_b64 v[4:7], v20 offset0:28 offset1:29
	v_pk_fma_f32 v[196:197], v[190:191], v[0:1], v[194:195] op_sel:[0,0,1] op_sel_hi:[1,0,0]
	v_pk_fma_f32 v[10:11], v[10:11], v[0:1], v[24:25] op_sel:[0,0,1] op_sel_hi:[1,1,0] neg_lo:[0,0,1] neg_hi:[0,0,1]
	v_pk_mul_f32 v[24:25], v[192:193], v[2:3] op_sel:[0,1]
	v_mov_b32_e32 v11, v23
	v_pk_fma_f32 v[22:23], v[190:191], v[0:1], v[194:195] op_sel:[0,0,1] op_sel_hi:[1,1,0] neg_lo:[0,0,1] neg_hi:[0,0,1]
	v_pk_add_f32 v[86:87], v[86:87], v[8:9] neg_lo:[0,1] neg_hi:[0,1]
	s_wait_dscnt 0x1
	v_pk_mul_f32 v[190:191], v[12:13], v[2:3] op_sel:[0,1]
	v_pk_fma_f32 v[194:195], v[192:193], v[0:1], v[24:25] op_sel:[0,0,1] op_sel_hi:[1,0,0]
	v_mov_b32_e32 v23, v197
	v_pk_add_f32 v[82:83], v[82:83], v[10:11] neg_lo:[0,1] neg_hi:[0,1]
	ds_load_2addr_b64 v[8:11], v20 offset0:30 offset1:31
	v_pk_fma_f32 v[24:25], v[192:193], v[0:1], v[24:25] op_sel:[0,0,1] op_sel_hi:[1,1,0] neg_lo:[0,0,1] neg_hi:[0,0,1]
	v_mov_b32_e32 v25, v195
	v_pk_add_f32 v[112:113], v[112:113], v[22:23] neg_lo:[0,1] neg_hi:[0,1]
	v_pk_fma_f32 v[22:23], v[12:13], v[0:1], v[190:191] op_sel:[0,0,1] op_sel_hi:[1,0,0]
	v_pk_fma_f32 v[12:13], v[12:13], v[0:1], v[190:191] op_sel:[0,0,1] op_sel_hi:[1,1,0] neg_lo:[0,0,1] neg_hi:[0,0,1]
	v_dual_mov_b32 v22, v15 :: v_dual_mul_f32 v190, v15, v0
	v_pk_add_f32 v[108:109], v[108:109], v[24:25] neg_lo:[0,1] neg_hi:[0,1]
	s_delay_alu instid0(VALU_DEP_4) | instskip(SKIP_3) | instid1(VALU_DEP_3)
	v_dual_mov_b32 v13, v23 :: v_dual_mov_b32 v23, v14
	s_wait_dscnt 0x1
	v_pk_mul_f32 v[194:195], v[4:5], v[2:3] op_sel:[0,1]
	v_pk_mul_f32 v[196:197], v[6:7], v[2:3] op_sel:[0,1]
	v_pk_add_f32 v[110:111], v[110:111], v[12:13] neg_lo:[0,1] neg_hi:[0,1]
	v_pk_fma_f32 v[22:23], v[22:23], v[54:55], v[190:191] op_sel_hi:[1,1,0]
	s_delay_alu instid0(VALU_DEP_4)
	v_pk_fma_f32 v[24:25], v[4:5], v[0:1], v[194:195] op_sel:[0,0,1] op_sel_hi:[1,0,0]
	v_mul_f32_e32 v12, v15, v3
	ds_load_2addr_b64 v[190:193], v20 offset0:32 offset1:33
	v_pk_fma_f32 v[4:5], v[4:5], v[0:1], v[194:195] op_sel:[0,0,1] op_sel_hi:[1,1,0] neg_lo:[0,0,1] neg_hi:[0,0,1]
	v_mov_b32_e32 v5, v25
	v_pk_fma_f32 v[198:199], v[14:15], v[54:55], v[12:13] op_sel_hi:[1,1,0] neg_lo:[0,0,1] neg_hi:[0,0,1]
	v_mov_b32_e32 v199, v23
	v_pk_fma_f32 v[22:23], v[6:7], v[0:1], v[196:197] op_sel:[0,0,1] op_sel_hi:[1,0,0]
	s_wait_dscnt 0x1
	v_pk_mul_f32 v[24:25], v[8:9], v[2:3] op_sel:[0,1]
	ds_load_2addr_b64 v[12:15], v20 offset0:34 offset1:35
	v_pk_fma_f32 v[6:7], v[6:7], v[0:1], v[196:197] op_sel:[0,0,1] op_sel_hi:[1,1,0] neg_lo:[0,0,1] neg_hi:[0,0,1]
	v_pk_add_f32 v[128:129], v[128:129], v[4:5] neg_lo:[0,1] neg_hi:[0,1]
	v_mov_b32_e32 v7, v23
	v_pk_mul_f32 v[22:23], v[10:11], v[2:3] op_sel:[0,1]
	v_pk_fma_f32 v[194:195], v[8:9], v[0:1], v[24:25] op_sel:[0,0,1] op_sel_hi:[1,0,0]
	v_pk_fma_f32 v[8:9], v[8:9], v[0:1], v[24:25] op_sel:[0,0,1] op_sel_hi:[1,1,0] neg_lo:[0,0,1] neg_hi:[0,0,1]
	v_pk_add_f32 v[106:107], v[106:107], v[198:199] neg_lo:[0,1] neg_hi:[0,1]
	v_pk_add_f32 v[124:125], v[124:125], v[6:7] neg_lo:[0,1] neg_hi:[0,1]
	v_pk_fma_f32 v[24:25], v[10:11], v[0:1], v[22:23] op_sel:[0,0,1] op_sel_hi:[1,0,0]
	v_mov_b32_e32 v9, v195
	ds_load_2addr_b64 v[4:7], v20 offset0:36 offset1:37
	v_pk_fma_f32 v[10:11], v[10:11], v[0:1], v[22:23] op_sel:[0,0,1] op_sel_hi:[1,1,0] neg_lo:[0,0,1] neg_hi:[0,0,1]
	s_wait_dscnt 0x2
	v_dual_mul_f32 v22, v191, v0 :: v_dual_mul_f32 v24, v191, v3
	v_mov_b32_e32 v11, v25
	v_pk_add_f32 v[126:127], v[126:127], v[8:9] neg_lo:[0,1] neg_hi:[0,1]
	v_pk_mul_f32 v[8:9], v[192:193], v[2:3] op_sel:[0,1]
	s_delay_alu instid0(VALU_DEP_4)
	v_pk_fma_f32 v[22:23], v[190:191], v[54:55], v[22:23] op_sel:[1,0,0] op_sel_hi:[0,1,0]
	v_pk_fma_f32 v[24:25], v[190:191], v[54:55], v[24:25] op_sel_hi:[1,1,0] neg_lo:[0,0,1] neg_hi:[0,0,1]
	v_pk_add_f32 v[122:123], v[122:123], v[10:11] neg_lo:[0,1] neg_hi:[0,1]
	s_wait_dscnt 0x1
	v_pk_mul_f32 v[10:11], v[12:13], v[2:3] op_sel:[0,1]
	v_pk_fma_f32 v[194:195], v[192:193], v[0:1], v[8:9] op_sel:[0,0,1] op_sel_hi:[1,0,0]
	v_mov_b32_e32 v25, v23
	v_pk_fma_f32 v[22:23], v[192:193], v[0:1], v[8:9] op_sel:[0,0,1] op_sel_hi:[1,1,0] neg_lo:[0,0,1] neg_hi:[0,0,1]
	v_pk_mul_f32 v[192:193], v[14:15], v[2:3] op_sel:[0,1]
	v_pk_fma_f32 v[190:191], v[12:13], v[0:1], v[10:11] op_sel:[0,0,1] op_sel_hi:[1,0,0]
	v_mov_b32_e32 v23, v195
	v_pk_fma_f32 v[12:13], v[12:13], v[0:1], v[10:11] op_sel:[0,0,1] op_sel_hi:[1,1,0] neg_lo:[0,0,1] neg_hi:[0,0,1]
	ds_load_2addr_b64 v[8:11], v20 offset0:38 offset1:39
	v_pk_add_f32 v[150:151], v[150:151], v[24:25] neg_lo:[0,1] neg_hi:[0,1]
	ds_load_b64 v[196:197], v20 offset:352
	v_pk_add_f32 v[146:147], v[146:147], v[22:23] neg_lo:[0,1] neg_hi:[0,1]
	v_pk_fma_f32 v[22:23], v[14:15], v[0:1], v[192:193] op_sel:[0,0,1] op_sel_hi:[1,0,0]
	v_mov_b32_e32 v13, v191
	s_wait_dscnt 0x2
	v_pk_mul_f32 v[190:191], v[4:5], v[2:3] op_sel:[0,1]
	v_pk_fma_f32 v[192:193], v[14:15], v[0:1], v[192:193] op_sel:[0,0,1] op_sel_hi:[1,1,0] neg_lo:[0,0,1] neg_hi:[0,0,1]
	v_dual_mov_b32 v22, v7 :: v_dual_mov_b32 v193, v23
	v_pk_add_f32 v[148:149], v[148:149], v[12:13] neg_lo:[0,1] neg_hi:[0,1]
	ds_load_2addr_b64 v[12:15], v20 offset0:40 offset1:41
	v_pk_fma_f32 v[24:25], v[4:5], v[0:1], v[190:191] op_sel:[0,0,1] op_sel_hi:[1,0,0]
	v_pk_fma_f32 v[4:5], v[4:5], v[0:1], v[190:191] op_sel:[0,0,1] op_sel_hi:[1,1,0] neg_lo:[0,0,1] neg_hi:[0,0,1]
	v_dual_mov_b32 v23, v6 :: v_dual_mul_f32 v24, v7, v0
	v_pk_add_f32 v[144:145], v[144:145], v[192:193] neg_lo:[0,1] neg_hi:[0,1]
	s_delay_alu instid0(VALU_DEP_4)
	v_mov_b32_e32 v5, v25
	ds_load_2addr_b64 v[190:193], v20 offset0:42 offset1:43
	s_wait_dscnt 0x3
	v_pk_mul_f32 v[194:195], v[8:9], v[2:3] op_sel:[0,1]
	v_pk_fma_f32 v[22:23], v[22:23], v[54:55], v[24:25] op_sel_hi:[1,1,0]
	v_pk_add_f32 v[174:175], v[174:175], v[4:5] neg_lo:[0,1] neg_hi:[0,1]
	v_mul_f32_e32 v4, v7, v3
	v_pk_mul_f32 v[24:25], v[10:11], v[2:3] op_sel:[0,1]
	s_delay_alu instid0(VALU_DEP_2) | instskip(SKIP_2) | instid1(VALU_DEP_4)
	v_pk_fma_f32 v[4:5], v[6:7], v[54:55], v[4:5] op_sel_hi:[1,1,0] neg_lo:[0,0,1] neg_hi:[0,0,1]
	v_pk_fma_f32 v[6:7], v[8:9], v[0:1], v[194:195] op_sel:[0,0,1] op_sel_hi:[1,0,0]
	v_mov_b32_e32 v5, v23
	v_pk_fma_f32 v[22:23], v[10:11], v[0:1], v[24:25] op_sel:[0,0,1] op_sel_hi:[1,0,0]
	v_pk_fma_f32 v[8:9], v[8:9], v[0:1], v[194:195] op_sel:[0,0,1] op_sel_hi:[1,1,0] neg_lo:[0,0,1] neg_hi:[0,0,1]
	s_wait_dscnt 0x1
	v_pk_mul_f32 v[194:195], v[12:13], v[2:3] op_sel:[0,1]
	v_mov_b32_e32 v9, v7
	v_pk_fma_f32 v[6:7], v[10:11], v[0:1], v[24:25] op_sel:[0,0,1] op_sel_hi:[1,1,0] neg_lo:[0,0,1] neg_hi:[0,0,1]
	v_mov_b32_e32 v7, v23
	v_pk_add_f32 v[166:167], v[166:167], v[4:5] neg_lo:[0,1] neg_hi:[0,1]
	v_pk_fma_f32 v[4:5], v[12:13], v[0:1], v[194:195] op_sel:[0,0,1] op_sel_hi:[1,0,0]
	v_pk_mul_f32 v[10:11], v[14:15], v[2:3] op_sel:[0,1]
	v_pk_add_f32 v[172:173], v[172:173], v[8:9] neg_lo:[0,1] neg_hi:[0,1]
	v_pk_add_f32 v[164:165], v[164:165], v[6:7] neg_lo:[0,1] neg_hi:[0,1]
	v_pk_fma_f32 v[6:7], v[12:13], v[0:1], v[194:195] op_sel:[0,0,1] op_sel_hi:[1,1,0] neg_lo:[0,0,1] neg_hi:[0,0,1]
	s_wait_dscnt 0x0
	v_dual_mov_b32 v7, v5 :: v_dual_mul_f32 v8, v191, v0
	v_pk_fma_f32 v[4:5], v[14:15], v[0:1], v[10:11] op_sel:[0,0,1] op_sel_hi:[1,1,0] neg_lo:[0,0,1] neg_hi:[0,0,1]
	v_pk_fma_f32 v[10:11], v[14:15], v[0:1], v[10:11] op_sel:[0,0,1] op_sel_hi:[1,0,0]
	v_pk_mul_f32 v[12:13], v[192:193], v[2:3] op_sel:[0,1]
	s_delay_alu instid0(VALU_DEP_4)
	v_pk_add_f32 v[170:171], v[170:171], v[6:7] neg_lo:[0,1] neg_hi:[0,1]
	v_pk_fma_f32 v[8:9], v[190:191], v[54:55], v[8:9] op_sel:[1,0,0] op_sel_hi:[0,1,0]
	v_mul_f32_e32 v10, v191, v3
	v_pk_mul_f32 v[2:3], v[196:197], v[2:3] op_sel:[0,1]
	v_pk_fma_f32 v[14:15], v[192:193], v[0:1], v[12:13] op_sel:[0,0,1] op_sel_hi:[1,0,0]
	v_mov_b32_e32 v5, v11
	s_delay_alu instid0(VALU_DEP_4) | instskip(NEXT) | instid1(VALU_DEP_4)
	v_pk_fma_f32 v[10:11], v[190:191], v[54:55], v[10:11] op_sel_hi:[1,1,0] neg_lo:[0,0,1] neg_hi:[0,0,1]
	v_pk_fma_f32 v[22:23], v[196:197], v[0:1], v[2:3] op_sel:[0,0,1] op_sel_hi:[1,0,0]
	v_mov_b32_e32 v11, v9
	v_pk_fma_f32 v[8:9], v[192:193], v[0:1], v[12:13] op_sel:[0,0,1] op_sel_hi:[1,1,0] neg_lo:[0,0,1] neg_hi:[0,0,1]
	v_pk_fma_f32 v[0:1], v[196:197], v[0:1], v[2:3] op_sel:[0,0,1] op_sel_hi:[1,1,0] neg_lo:[0,0,1] neg_hi:[0,0,1]
	s_delay_alu instid0(VALU_DEP_4) | instskip(SKIP_2) | instid1(VALU_DEP_3)
	v_dual_mov_b32 v9, v15 :: v_dual_mov_b32 v1, v23
	v_pk_add_f32 v[162:163], v[162:163], v[4:5] neg_lo:[0,1] neg_hi:[0,1]
	v_pk_add_f32 v[168:169], v[168:169], v[10:11] neg_lo:[0,1] neg_hi:[0,1]
	;; [unrolled: 1-line block ×3, first 2 shown]
	s_delay_alu instid0(VALU_DEP_4)
	v_pk_add_f32 v[180:181], v[180:181], v[0:1] neg_lo:[0,1] neg_hi:[0,1]
.LBB89_37:
	s_or_b32 exec_lo, exec_lo, s1
	s_delay_alu instid0(SALU_CYCLE_1)
	s_mov_b32 s2, exec_lo
	s_wait_dscnt 0x0
	s_barrier_signal -1
	s_barrier_wait -1
	v_cmpx_eq_u32_e32 4, v38
	s_cbranch_execz .LBB89_44
; %bb.38:
	ds_store_b64 v39, v[58:59]
	ds_store_2addr_b64 v20, v[50:51], v[52:53] offset0:5 offset1:6
	ds_store_2addr_b64 v20, v[48:49], v[46:47] offset0:7 offset1:8
	;; [unrolled: 1-line block ×20, first 2 shown]
	ds_load_b64 v[0:1], v39
	s_wait_dscnt 0x0
	v_cmp_neq_f32_e32 vcc_lo, 0, v0
	v_cmp_neq_f32_e64 s1, 0, v1
	s_or_b32 s1, vcc_lo, s1
	s_delay_alu instid0(SALU_CYCLE_1)
	s_and_b32 exec_lo, exec_lo, s1
	s_cbranch_execz .LBB89_44
; %bb.39:
	v_cmp_ngt_f32_e64 s1, |v0|, |v1|
                                        ; implicit-def: $vgpr2_vgpr3
	s_and_saveexec_b32 s4, s1
	s_delay_alu instid0(SALU_CYCLE_1)
	s_xor_b32 s1, exec_lo, s4
	s_cbranch_execz .LBB89_41
; %bb.40:
	v_div_scale_f32 v2, null, v1, v1, v0
	v_div_scale_f32 v5, vcc_lo, v0, v1, v0
	s_delay_alu instid0(VALU_DEP_2) | instskip(SKIP_1) | instid1(TRANS32_DEP_1)
	v_rcp_f32_e32 v3, v2
	v_nop
	v_fma_f32 v4, -v2, v3, 1.0
	s_delay_alu instid0(VALU_DEP_1) | instskip(NEXT) | instid1(VALU_DEP_1)
	v_fmac_f32_e32 v3, v4, v3
	v_mul_f32_e32 v4, v5, v3
	s_delay_alu instid0(VALU_DEP_1) | instskip(NEXT) | instid1(VALU_DEP_1)
	v_fma_f32 v6, -v2, v4, v5
	v_fmac_f32_e32 v4, v6, v3
	s_delay_alu instid0(VALU_DEP_1) | instskip(NEXT) | instid1(VALU_DEP_1)
	v_fma_f32 v2, -v2, v4, v5
	v_div_fmas_f32 v2, v2, v3, v4
	s_delay_alu instid0(VALU_DEP_1) | instskip(NEXT) | instid1(VALU_DEP_1)
	v_div_fixup_f32 v2, v2, v1, v0
	v_fmac_f32_e32 v1, v0, v2
	s_delay_alu instid0(VALU_DEP_1) | instskip(SKIP_1) | instid1(VALU_DEP_2)
	v_div_scale_f32 v0, null, v1, v1, 1.0
	v_div_scale_f32 v5, vcc_lo, 1.0, v1, 1.0
	v_rcp_f32_e32 v3, v0
	v_nop
	s_delay_alu instid0(TRANS32_DEP_1) | instskip(NEXT) | instid1(VALU_DEP_1)
	v_fma_f32 v4, -v0, v3, 1.0
	v_fmac_f32_e32 v3, v4, v3
	s_delay_alu instid0(VALU_DEP_1) | instskip(NEXT) | instid1(VALU_DEP_1)
	v_mul_f32_e32 v4, v5, v3
	v_fma_f32 v6, -v0, v4, v5
	s_delay_alu instid0(VALU_DEP_1) | instskip(NEXT) | instid1(VALU_DEP_1)
	v_fmac_f32_e32 v4, v6, v3
	v_fma_f32 v0, -v0, v4, v5
	s_delay_alu instid0(VALU_DEP_1) | instskip(NEXT) | instid1(VALU_DEP_1)
	v_div_fmas_f32 v0, v0, v3, v4
	v_div_fixup_f32 v0, v0, v1, 1.0
	s_delay_alu instid0(VALU_DEP_1)
	v_mul_f32_e32 v2, v2, v0
	v_xor_b32_e32 v3, 0x80000000, v0
                                        ; implicit-def: $vgpr0_vgpr1
.LBB89_41:
	s_and_not1_saveexec_b32 s1, s1
	s_cbranch_execz .LBB89_43
; %bb.42:
	v_div_scale_f32 v2, null, v0, v0, v1
	v_div_scale_f32 v5, vcc_lo, v1, v0, v1
	s_delay_alu instid0(VALU_DEP_2) | instskip(SKIP_1) | instid1(TRANS32_DEP_1)
	v_rcp_f32_e32 v3, v2
	v_nop
	v_fma_f32 v4, -v2, v3, 1.0
	s_delay_alu instid0(VALU_DEP_1) | instskip(NEXT) | instid1(VALU_DEP_1)
	v_fmac_f32_e32 v3, v4, v3
	v_mul_f32_e32 v4, v5, v3
	s_delay_alu instid0(VALU_DEP_1) | instskip(NEXT) | instid1(VALU_DEP_1)
	v_fma_f32 v6, -v2, v4, v5
	v_fmac_f32_e32 v4, v6, v3
	s_delay_alu instid0(VALU_DEP_1) | instskip(NEXT) | instid1(VALU_DEP_1)
	v_fma_f32 v2, -v2, v4, v5
	v_div_fmas_f32 v2, v2, v3, v4
	s_delay_alu instid0(VALU_DEP_1) | instskip(NEXT) | instid1(VALU_DEP_1)
	v_div_fixup_f32 v3, v2, v0, v1
	v_fmac_f32_e32 v0, v1, v3
	s_delay_alu instid0(VALU_DEP_1) | instskip(NEXT) | instid1(VALU_DEP_1)
	v_div_scale_f32 v1, null, v0, v0, 1.0
	v_rcp_f32_e32 v2, v1
	v_nop
	s_delay_alu instid0(TRANS32_DEP_1) | instskip(NEXT) | instid1(VALU_DEP_1)
	v_fma_f32 v4, -v1, v2, 1.0
	v_fmac_f32_e32 v2, v4, v2
	v_div_scale_f32 v4, vcc_lo, 1.0, v0, 1.0
	s_delay_alu instid0(VALU_DEP_1) | instskip(NEXT) | instid1(VALU_DEP_1)
	v_mul_f32_e32 v5, v4, v2
	v_fma_f32 v6, -v1, v5, v4
	s_delay_alu instid0(VALU_DEP_1) | instskip(NEXT) | instid1(VALU_DEP_1)
	v_fmac_f32_e32 v5, v6, v2
	v_fma_f32 v1, -v1, v5, v4
	s_delay_alu instid0(VALU_DEP_1) | instskip(NEXT) | instid1(VALU_DEP_1)
	v_div_fmas_f32 v1, v1, v2, v5
	v_div_fixup_f32 v2, v1, v0, 1.0
	s_delay_alu instid0(VALU_DEP_1)
	v_mul_f32_e64 v3, v3, -v2
.LBB89_43:
	s_or_b32 exec_lo, exec_lo, s1
	ds_store_b64 v39, v[2:3]
.LBB89_44:
	s_or_b32 exec_lo, exec_lo, s2
	s_wait_dscnt 0x0
	s_barrier_signal -1
	s_barrier_wait -1
	ds_load_b64 v[190:191], v39
	s_mov_b32 s1, exec_lo
	v_cmpx_lt_u32_e32 4, v38
	s_cbranch_execz .LBB89_46
; %bb.45:
	ds_load_2addr_b64 v[4:7], v20 offset0:5 offset1:6
	ds_load_2addr_b64 v[8:11], v20 offset0:7 offset1:8
	;; [unrolled: 1-line block ×3, first 2 shown]
	s_wait_dscnt 0x3
	v_pk_mul_f32 v[2:3], v[190:191], v[58:59] op_sel:[1,1] op_sel_hi:[0,1]
	ds_load_2addr_b64 v[192:195], v20 offset0:11 offset1:12
	ds_load_2addr_b64 v[196:199], v20 offset0:13 offset1:14
	v_pk_fma_f32 v[0:1], v[190:191], v[58:59], v[2:3] op_sel_hi:[1,0,1] neg_lo:[0,0,1] neg_hi:[0,0,1]
	v_pk_fma_f32 v[2:3], v[190:191], v[58:59], v[2:3] op_sel_hi:[1,0,1]
	s_delay_alu instid0(VALU_DEP_1) | instskip(SKIP_1) | instid1(VALU_DEP_2)
	v_dual_mov_b32 v58, v0 :: v_dual_mov_b32 v59, v3
	s_wait_dscnt 0x4
	v_pk_mul_f32 v[22:23], v[4:5], v[2:3] op_sel:[0,1]
	v_pk_mul_f32 v[24:25], v[6:7], v[2:3] op_sel:[0,1]
	s_wait_dscnt 0x3
	v_pk_mul_f32 v[200:201], v[8:9], v[2:3] op_sel:[0,1]
	v_dual_mov_b32 v202, v11 :: v_dual_mov_b32 v203, v10
	v_dual_mul_f32 v204, v11, v3 :: v_dual_mul_f32 v206, v11, v0
	s_wait_dscnt 0x2
	v_pk_mul_f32 v[208:209], v[12:13], v[2:3] op_sel:[0,1]
	v_pk_mul_f32 v[210:211], v[14:15], v[2:3] op_sel:[0,1]
	v_pk_fma_f32 v[212:213], v[4:5], v[0:1], v[22:23] op_sel:[0,0,1] op_sel_hi:[1,1,0] neg_lo:[0,0,1] neg_hi:[0,0,1]
	v_pk_fma_f32 v[4:5], v[4:5], v[0:1], v[22:23] op_sel:[0,0,1] op_sel_hi:[1,0,0]
	v_pk_fma_f32 v[22:23], v[6:7], v[0:1], v[24:25] op_sel:[0,0,1] op_sel_hi:[1,1,0] neg_lo:[0,0,1] neg_hi:[0,0,1]
	v_pk_fma_f32 v[6:7], v[6:7], v[0:1], v[24:25] op_sel:[0,0,1] op_sel_hi:[1,0,0]
	;; [unrolled: 2-line block ×3, first 2 shown]
	v_pk_fma_f32 v[200:201], v[202:203], v[58:59], v[206:207] op_sel_hi:[1,1,0]
	v_pk_fma_f32 v[202:203], v[12:13], v[0:1], v[208:209] op_sel:[0,0,1] op_sel_hi:[1,1,0] neg_lo:[0,0,1] neg_hi:[0,0,1]
	v_pk_fma_f32 v[12:13], v[12:13], v[0:1], v[208:209] op_sel:[0,0,1] op_sel_hi:[1,0,0]
	v_dual_mov_b32 v213, v5 :: v_dual_mov_b32 v23, v7
	v_pk_fma_f32 v[4:5], v[14:15], v[0:1], v[210:211] op_sel:[0,0,1] op_sel_hi:[1,0,0]
	v_pk_fma_f32 v[10:11], v[10:11], v[58:59], v[204:205] op_sel_hi:[1,1,0] neg_lo:[0,0,1] neg_hi:[0,0,1]
	v_pk_fma_f32 v[6:7], v[14:15], v[0:1], v[210:211] op_sel:[0,0,1] op_sel_hi:[1,1,0] neg_lo:[0,0,1] neg_hi:[0,0,1]
	v_dual_mov_b32 v25, v9 :: v_dual_mov_b32 v11, v201
	s_delay_alu instid0(VALU_DEP_4)
	v_dual_mov_b32 v203, v13 :: v_dual_mov_b32 v7, v5
	s_wait_dscnt 0x1
	v_pk_mul_f32 v[8:9], v[192:193], v[2:3] op_sel:[0,1]
	v_pk_add_f32 v[52:53], v[52:53], v[22:23] neg_lo:[0,1] neg_hi:[0,1]
	v_pk_add_f32 v[46:47], v[46:47], v[10:11] neg_lo:[0,1] neg_hi:[0,1]
	v_pk_mul_f32 v[22:23], v[194:195], v[2:3] op_sel:[0,1]
	v_pk_add_f32 v[80:81], v[80:81], v[6:7] neg_lo:[0,1] neg_hi:[0,1]
	v_pk_fma_f32 v[12:13], v[192:193], v[0:1], v[8:9] op_sel:[0,0,1] op_sel_hi:[1,0,0]
	ds_load_2addr_b64 v[4:7], v20 offset0:15 offset1:16
	v_pk_fma_f32 v[14:15], v[192:193], v[0:1], v[8:9] op_sel:[0,0,1] op_sel_hi:[1,1,0] neg_lo:[0,0,1] neg_hi:[0,0,1]
	ds_load_2addr_b64 v[8:11], v20 offset0:17 offset1:18
	s_wait_dscnt 0x2
	v_mul_f32_e32 v12, v197, v0
	v_pk_add_f32 v[48:49], v[48:49], v[24:25] neg_lo:[0,1] neg_hi:[0,1]
	v_pk_mul_f32 v[24:25], v[198:199], v[2:3] op_sel:[0,1]
	v_pk_fma_f32 v[192:193], v[194:195], v[0:1], v[22:23] op_sel:[0,0,1] op_sel_hi:[1,0,0]
	v_mul_f32_e32 v192, v197, v3
	v_mov_b32_e32 v15, v13
	v_pk_fma_f32 v[12:13], v[196:197], v[58:59], v[12:13] op_sel:[1,0,0] op_sel_hi:[0,1,0]
	v_pk_fma_f32 v[22:23], v[194:195], v[0:1], v[22:23] op_sel:[0,0,1] op_sel_hi:[1,1,0] neg_lo:[0,0,1] neg_hi:[0,0,1]
	v_pk_fma_f32 v[194:195], v[198:199], v[0:1], v[24:25] op_sel:[0,0,1] op_sel_hi:[1,0,0]
	v_mov_b32_e32 v23, v193
	v_pk_fma_f32 v[192:193], v[196:197], v[58:59], v[192:193] op_sel_hi:[1,1,0] neg_lo:[0,0,1] neg_hi:[0,0,1]
	v_mov_b32_e32 v193, v13
	v_pk_fma_f32 v[12:13], v[198:199], v[0:1], v[24:25] op_sel:[0,0,1] op_sel_hi:[1,1,0] neg_lo:[0,0,1] neg_hi:[0,0,1]
	v_mov_b32_e32 v13, v195
	v_pk_add_f32 v[104:105], v[104:105], v[22:23] neg_lo:[0,1] neg_hi:[0,1]
	v_pk_add_f32 v[76:77], v[76:77], v[14:15] neg_lo:[0,1] neg_hi:[0,1]
	;; [unrolled: 1-line block ×3, first 2 shown]
	s_wait_dscnt 0x1
	v_pk_mul_f32 v[22:23], v[4:5], v[2:3] op_sel:[0,1]
	v_pk_mul_f32 v[24:25], v[6:7], v[2:3] op_sel:[0,1]
	s_wait_dscnt 0x0
	v_pk_mul_f32 v[196:197], v[8:9], v[2:3] op_sel:[0,1]
	v_pk_add_f32 v[36:37], v[36:37], v[12:13] neg_lo:[0,1] neg_hi:[0,1]
	ds_load_2addr_b64 v[12:15], v20 offset0:19 offset1:20
	ds_load_2addr_b64 v[192:195], v20 offset0:21 offset1:22
	v_pk_fma_f32 v[198:199], v[4:5], v[0:1], v[22:23] op_sel:[0,0,1] op_sel_hi:[1,0,0]
	v_pk_fma_f32 v[4:5], v[4:5], v[0:1], v[22:23] op_sel:[0,0,1] op_sel_hi:[1,1,0] neg_lo:[0,0,1] neg_hi:[0,0,1]
	v_pk_fma_f32 v[22:23], v[6:7], v[0:1], v[24:25] op_sel:[0,0,1] op_sel_hi:[1,0,0]
	v_pk_fma_f32 v[200:201], v[8:9], v[0:1], v[196:197] op_sel:[0,0,1] op_sel_hi:[1,0,0]
	v_pk_fma_f32 v[6:7], v[6:7], v[0:1], v[24:25] op_sel:[0,0,1] op_sel_hi:[1,1,0] neg_lo:[0,0,1] neg_hi:[0,0,1]
	v_pk_fma_f32 v[8:9], v[8:9], v[0:1], v[196:197] op_sel:[0,0,1] op_sel_hi:[1,1,0] neg_lo:[0,0,1] neg_hi:[0,0,1]
	s_delay_alu instid0(VALU_DEP_4) | instskip(NEXT) | instid1(VALU_DEP_4)
	v_dual_mov_b32 v5, v199 :: v_dual_mov_b32 v7, v23
	v_dual_mov_b32 v9, v201 :: v_dual_mov_b32 v22, v11
	v_dual_mov_b32 v23, v10 :: v_dual_mul_f32 v24, v11, v0
	s_delay_alu instid0(VALU_DEP_3) | instskip(NEXT) | instid1(VALU_DEP_3)
	v_pk_add_f32 v[34:35], v[34:35], v[4:5] neg_lo:[0,1] neg_hi:[0,1]
	v_pk_add_f32 v[62:63], v[62:63], v[8:9] neg_lo:[0,1] neg_hi:[0,1]
	;; [unrolled: 1-line block ×3, first 2 shown]
	ds_load_2addr_b64 v[4:7], v20 offset0:23 offset1:24
	v_pk_fma_f32 v[8:9], v[22:23], v[58:59], v[24:25] op_sel_hi:[1,1,0]
	v_mul_f32_e32 v196, v11, v3
	s_wait_dscnt 0x2
	v_pk_mul_f32 v[24:25], v[12:13], v[2:3] op_sel:[0,1]
	s_wait_dscnt 0x1
	v_pk_mul_f32 v[198:199], v[192:193], v[2:3] op_sel:[0,1]
	v_pk_add_f32 v[78:79], v[78:79], v[202:203] neg_lo:[0,1] neg_hi:[0,1]
	v_pk_add_f32 v[50:51], v[50:51], v[212:213] neg_lo:[0,1] neg_hi:[0,1]
	v_pk_fma_f32 v[22:23], v[10:11], v[58:59], v[196:197] op_sel_hi:[1,1,0] neg_lo:[0,0,1] neg_hi:[0,0,1]
	v_mov_b32_e32 v23, v9
	ds_load_2addr_b64 v[8:11], v20 offset0:25 offset1:26
	v_pk_mul_f32 v[196:197], v[14:15], v[2:3] op_sel:[0,1]
	v_pk_fma_f32 v[200:201], v[12:13], v[0:1], v[24:25] op_sel:[0,0,1] op_sel_hi:[1,0,0]
	v_pk_fma_f32 v[12:13], v[12:13], v[0:1], v[24:25] op_sel:[0,0,1] op_sel_hi:[1,1,0] neg_lo:[0,0,1] neg_hi:[0,0,1]
	v_pk_fma_f32 v[24:25], v[192:193], v[0:1], v[198:199] op_sel:[0,0,1] op_sel_hi:[1,0,0]
	v_pk_fma_f32 v[192:193], v[192:193], v[0:1], v[198:199] op_sel:[0,0,1] op_sel_hi:[1,1,0] neg_lo:[0,0,1] neg_hi:[0,0,1]
	;; [unrolled: 2-line block ×3, first 2 shown]
	s_delay_alu instid0(VALU_DEP_4) | instskip(SKIP_1) | instid1(VALU_DEP_4)
	v_dual_mov_b32 v13, v201 :: v_dual_mov_b32 v193, v25
	v_pk_mul_f32 v[24:25], v[194:195], v[2:3] op_sel:[0,1]
	v_mov_b32_e32 v15, v203
	v_pk_add_f32 v[64:65], v[64:65], v[22:23] neg_lo:[0,1] neg_hi:[0,1]
	s_delay_alu instid0(VALU_DEP_4) | instskip(NEXT) | instid1(VALU_DEP_4)
	v_pk_add_f32 v[60:61], v[60:61], v[12:13] neg_lo:[0,1] neg_hi:[0,1]
	v_pk_fma_f32 v[22:23], v[194:195], v[0:1], v[24:25] op_sel:[0,0,1] op_sel_hi:[1,1,0] neg_lo:[0,0,1] neg_hi:[0,0,1]
	s_delay_alu instid0(VALU_DEP_4)
	v_pk_add_f32 v[88:89], v[88:89], v[14:15] neg_lo:[0,1] neg_hi:[0,1]
	ds_load_2addr_b64 v[12:15], v20 offset0:27 offset1:28
	v_pk_fma_f32 v[24:25], v[194:195], v[0:1], v[24:25] op_sel:[0,0,1] op_sel_hi:[1,0,0]
	s_wait_dscnt 0x2
	v_dual_mul_f32 v24, v5, v0 :: v_dual_mul_f32 v194, v5, v3
	s_wait_dscnt 0x1
	v_pk_mul_f32 v[196:197], v[8:9], v[2:3] op_sel:[0,1]
	v_mov_b32_e32 v23, v25
	v_pk_add_f32 v[84:85], v[84:85], v[192:193] neg_lo:[0,1] neg_hi:[0,1]
	v_pk_mul_f32 v[192:193], v[6:7], v[2:3] op_sel:[0,1]
	v_pk_fma_f32 v[198:199], v[4:5], v[58:59], v[24:25] op_sel:[1,0,0] op_sel_hi:[0,1,0]
	v_pk_fma_f32 v[194:195], v[4:5], v[58:59], v[194:195] op_sel_hi:[1,1,0] neg_lo:[0,0,1] neg_hi:[0,0,1]
	v_pk_fma_f32 v[4:5], v[8:9], v[0:1], v[196:197] op_sel:[0,0,1] op_sel_hi:[1,0,0]
	v_pk_fma_f32 v[8:9], v[8:9], v[0:1], v[196:197] op_sel:[0,0,1] op_sel_hi:[1,1,0] neg_lo:[0,0,1] neg_hi:[0,0,1]
	v_pk_fma_f32 v[24:25], v[6:7], v[0:1], v[192:193] op_sel:[0,0,1] op_sel_hi:[1,0,0]
	v_pk_fma_f32 v[192:193], v[6:7], v[0:1], v[192:193] op_sel:[0,0,1] op_sel_hi:[1,1,0] neg_lo:[0,0,1] neg_hi:[0,0,1]
	s_delay_alu instid0(VALU_DEP_4)
	v_dual_mov_b32 v195, v199 :: v_dual_mov_b32 v9, v5
	ds_load_2addr_b64 v[4:7], v20 offset0:29 offset1:30
	v_mov_b32_e32 v193, v25
	v_pk_mul_f32 v[24:25], v[10:11], v[2:3] op_sel:[0,1]
	v_pk_add_f32 v[86:87], v[86:87], v[22:23] neg_lo:[0,1] neg_hi:[0,1]
	s_wait_dscnt 0x1
	v_pk_mul_f32 v[22:23], v[12:13], v[2:3] op_sel:[0,1]
	v_pk_add_f32 v[82:83], v[82:83], v[194:195] neg_lo:[0,1] neg_hi:[0,1]
	v_pk_add_f32 v[112:113], v[112:113], v[192:193] neg_lo:[0,1] neg_hi:[0,1]
	ds_load_2addr_b64 v[192:195], v20 offset0:31 offset1:32
	v_mov_b32_e32 v196, v15
	v_pk_add_f32 v[108:109], v[108:109], v[8:9] neg_lo:[0,1] neg_hi:[0,1]
	v_pk_fma_f32 v[8:9], v[10:11], v[0:1], v[24:25] op_sel:[0,0,1] op_sel_hi:[1,0,0]
	v_dual_mov_b32 v197, v14 :: v_dual_mul_f32 v8, v15, v0
	v_pk_fma_f32 v[24:25], v[10:11], v[0:1], v[24:25] op_sel:[0,0,1] op_sel_hi:[1,1,0] neg_lo:[0,0,1] neg_hi:[0,0,1]
	v_pk_fma_f32 v[10:11], v[12:13], v[0:1], v[22:23] op_sel:[0,0,1] op_sel_hi:[1,0,0]
	s_delay_alu instid0(VALU_DEP_4) | instskip(NEXT) | instid1(VALU_DEP_4)
	v_dual_mul_f32 v10, v15, v3 :: v_dual_mov_b32 v25, v9
	v_pk_fma_f32 v[8:9], v[196:197], v[58:59], v[8:9] op_sel_hi:[1,1,0]
	v_pk_fma_f32 v[12:13], v[12:13], v[0:1], v[22:23] op_sel:[0,0,1] op_sel_hi:[1,1,0] neg_lo:[0,0,1] neg_hi:[0,0,1]
	s_delay_alu instid0(VALU_DEP_4) | instskip(NEXT) | instid1(VALU_DEP_4)
	v_mov_b32_e32 v13, v11
	v_pk_fma_f32 v[14:15], v[14:15], v[58:59], v[10:11] op_sel_hi:[1,1,0] neg_lo:[0,0,1] neg_hi:[0,0,1]
	s_wait_dscnt 0x1
	v_pk_mul_f32 v[22:23], v[4:5], v[2:3] op_sel:[0,1]
	v_mov_b32_e32 v15, v9
	ds_load_2addr_b64 v[8:11], v20 offset0:33 offset1:34
	v_pk_add_f32 v[110:111], v[110:111], v[24:25] neg_lo:[0,1] neg_hi:[0,1]
	v_pk_add_f32 v[106:107], v[106:107], v[12:13] neg_lo:[0,1] neg_hi:[0,1]
	v_pk_fma_f32 v[12:13], v[4:5], v[0:1], v[22:23] op_sel:[0,0,1] op_sel_hi:[1,0,0]
	v_pk_mul_f32 v[24:25], v[6:7], v[2:3] op_sel:[0,1]
	s_wait_dscnt 0x1
	v_pk_mul_f32 v[196:197], v[192:193], v[2:3] op_sel:[0,1]
	v_pk_fma_f32 v[4:5], v[4:5], v[0:1], v[22:23] op_sel:[0,0,1] op_sel_hi:[1,1,0] neg_lo:[0,0,1] neg_hi:[0,0,1]
	v_pk_add_f32 v[128:129], v[128:129], v[14:15] neg_lo:[0,1] neg_hi:[0,1]
	v_pk_fma_f32 v[22:23], v[6:7], v[0:1], v[24:25] op_sel:[0,0,1] op_sel_hi:[1,0,0]
	v_mov_b32_e32 v5, v13
	ds_load_2addr_b64 v[12:15], v20 offset0:35 offset1:36
	v_pk_fma_f32 v[198:199], v[192:193], v[0:1], v[196:197] op_sel:[0,0,1] op_sel_hi:[1,0,0]
	v_pk_fma_f32 v[6:7], v[6:7], v[0:1], v[24:25] op_sel:[0,0,1] op_sel_hi:[1,1,0] neg_lo:[0,0,1] neg_hi:[0,0,1]
	v_pk_mul_f32 v[24:25], v[194:195], v[2:3] op_sel:[0,1]
	v_mov_b32_e32 v7, v23
	v_pk_fma_f32 v[22:23], v[192:193], v[0:1], v[196:197] op_sel:[0,0,1] op_sel_hi:[1,1,0] neg_lo:[0,0,1] neg_hi:[0,0,1]
	v_mov_b32_e32 v23, v199
	v_pk_add_f32 v[124:125], v[124:125], v[4:5] neg_lo:[0,1] neg_hi:[0,1]
	v_pk_fma_f32 v[4:5], v[194:195], v[0:1], v[24:25] op_sel:[0,0,1] op_sel_hi:[1,0,0]
	s_wait_dscnt 0x1
	v_mul_f32_e32 v4, v9, v0
	v_pk_add_f32 v[126:127], v[126:127], v[6:7] neg_lo:[0,1] neg_hi:[0,1]
	v_pk_add_f32 v[122:123], v[122:123], v[22:23] neg_lo:[0,1] neg_hi:[0,1]
	v_pk_fma_f32 v[22:23], v[194:195], v[0:1], v[24:25] op_sel:[0,0,1] op_sel_hi:[1,1,0] neg_lo:[0,0,1] neg_hi:[0,0,1]
	v_pk_mul_f32 v[196:197], v[10:11], v[2:3] op_sel:[0,1]
	v_pk_fma_f32 v[192:193], v[8:9], v[58:59], v[4:5] op_sel:[1,0,0] op_sel_hi:[0,1,0]
	v_mov_b32_e32 v23, v5
	ds_load_2addr_b64 v[4:7], v20 offset0:37 offset1:38
	v_mul_f32_e32 v24, v9, v3
	s_wait_dscnt 0x1
	v_pk_mul_f32 v[198:199], v[14:15], v[2:3] op_sel:[0,1]
	s_delay_alu instid0(VALU_DEP_2)
	v_pk_fma_f32 v[8:9], v[8:9], v[58:59], v[24:25] op_sel_hi:[1,1,0] neg_lo:[0,0,1] neg_hi:[0,0,1]
	v_mov_b32_e32 v9, v193
	v_pk_add_f32 v[150:151], v[150:151], v[22:23] neg_lo:[0,1] neg_hi:[0,1]
	v_pk_mul_f32 v[22:23], v[12:13], v[2:3] op_sel:[0,1]
	v_pk_fma_f32 v[24:25], v[10:11], v[0:1], v[196:197] op_sel:[0,0,1] op_sel_hi:[1,0,0]
	ds_load_2addr_b64 v[192:195], v20 offset0:39 offset1:40
	v_pk_fma_f32 v[10:11], v[10:11], v[0:1], v[196:197] op_sel:[0,0,1] op_sel_hi:[1,1,0] neg_lo:[0,0,1] neg_hi:[0,0,1]
	v_pk_add_f32 v[146:147], v[146:147], v[8:9] neg_lo:[0,1] neg_hi:[0,1]
	v_pk_fma_f32 v[200:201], v[12:13], v[0:1], v[22:23] op_sel:[0,0,1] op_sel_hi:[1,0,0]
	v_mov_b32_e32 v11, v25
	v_pk_fma_f32 v[12:13], v[12:13], v[0:1], v[22:23] op_sel:[0,0,1] op_sel_hi:[1,1,0] neg_lo:[0,0,1] neg_hi:[0,0,1]
	v_pk_fma_f32 v[24:25], v[14:15], v[0:1], v[198:199] op_sel:[0,0,1] op_sel_hi:[1,0,0]
	v_pk_fma_f32 v[14:15], v[14:15], v[0:1], v[198:199] op_sel:[0,0,1] op_sel_hi:[1,1,0] neg_lo:[0,0,1] neg_hi:[0,0,1]
	v_mov_b32_e32 v13, v201
	v_pk_add_f32 v[148:149], v[148:149], v[10:11] neg_lo:[0,1] neg_hi:[0,1]
	ds_load_2addr_b64 v[8:11], v20 offset0:41 offset1:42
	s_wait_dscnt 0x2
	v_pk_mul_f32 v[22:23], v[4:5], v[2:3] op_sel:[0,1]
	v_dual_mov_b32 v15, v25 :: v_dual_mov_b32 v24, v7
	v_dual_mov_b32 v25, v6 :: v_dual_mul_f32 v196, v7, v0
	s_delay_alu instid0(VALU_DEP_3)
	v_pk_fma_f32 v[198:199], v[4:5], v[0:1], v[22:23] op_sel:[0,0,1] op_sel_hi:[1,0,0]
	v_mul_f32_e32 v198, v7, v3
	v_pk_add_f32 v[144:145], v[144:145], v[12:13] neg_lo:[0,1] neg_hi:[0,1]
	v_pk_add_f32 v[174:175], v[174:175], v[14:15] neg_lo:[0,1] neg_hi:[0,1]
	s_wait_dscnt 0x1
	v_pk_mul_f32 v[200:201], v[192:193], v[2:3] op_sel:[0,1]
	ds_load_2addr_b64 v[12:15], v20 offset0:43 offset1:44
	v_pk_fma_f32 v[24:25], v[24:25], v[58:59], v[196:197] op_sel_hi:[1,1,0]
	v_pk_fma_f32 v[4:5], v[4:5], v[0:1], v[22:23] op_sel:[0,0,1] op_sel_hi:[1,1,0] neg_lo:[0,0,1] neg_hi:[0,0,1]
	v_pk_fma_f32 v[6:7], v[6:7], v[58:59], v[198:199] op_sel_hi:[1,1,0] neg_lo:[0,0,1] neg_hi:[0,0,1]
	v_mov_b32_e32 v5, v199
	v_pk_fma_f32 v[22:23], v[192:193], v[0:1], v[200:201] op_sel:[0,0,1] op_sel_hi:[1,0,0]
	v_mov_b32_e32 v7, v25
	v_pk_mul_f32 v[24:25], v[194:195], v[2:3] op_sel:[0,1]
	v_pk_fma_f32 v[192:193], v[192:193], v[0:1], v[200:201] op_sel:[0,0,1] op_sel_hi:[1,1,0] neg_lo:[0,0,1] neg_hi:[0,0,1]
	v_pk_add_f32 v[166:167], v[166:167], v[4:5] neg_lo:[0,1] neg_hi:[0,1]
	v_mov_b32_e32 v193, v23
	s_wait_dscnt 0x1
	v_pk_mul_f32 v[4:5], v[8:9], v[2:3] op_sel:[0,1]
	v_pk_fma_f32 v[22:23], v[194:195], v[0:1], v[24:25] op_sel:[0,0,1] op_sel_hi:[1,0,0]
	v_pk_add_f32 v[172:173], v[172:173], v[6:7] neg_lo:[0,1] neg_hi:[0,1]
	v_pk_fma_f32 v[6:7], v[194:195], v[0:1], v[24:25] op_sel:[0,0,1] op_sel_hi:[1,1,0] neg_lo:[0,0,1] neg_hi:[0,0,1]
	s_delay_alu instid0(VALU_DEP_4) | instskip(NEXT) | instid1(VALU_DEP_4)
	v_pk_fma_f32 v[24:25], v[8:9], v[0:1], v[4:5] op_sel:[0,0,1] op_sel_hi:[1,0,0]
	v_mov_b32_e32 v7, v23
	v_pk_mul_f32 v[22:23], v[10:11], v[2:3] op_sel:[0,1]
	v_pk_fma_f32 v[4:5], v[8:9], v[0:1], v[4:5] op_sel:[0,0,1] op_sel_hi:[1,1,0] neg_lo:[0,0,1] neg_hi:[0,0,1]
	v_pk_add_f32 v[164:165], v[164:165], v[192:193] neg_lo:[0,1] neg_hi:[0,1]
	s_wait_dscnt 0x0
	v_mul_f32_e32 v8, v13, v0
	v_pk_add_f32 v[170:171], v[170:171], v[6:7] neg_lo:[0,1] neg_hi:[0,1]
	v_pk_fma_f32 v[192:193], v[10:11], v[0:1], v[22:23] op_sel:[0,0,1] op_sel_hi:[1,0,0]
	v_mov_b32_e32 v5, v25
	v_pk_mul_f32 v[24:25], v[14:15], v[2:3] op_sel:[0,1]
	v_mul_f32_e32 v2, v13, v3
	v_pk_fma_f32 v[8:9], v[12:13], v[58:59], v[8:9] op_sel:[1,0,0] op_sel_hi:[0,1,0]
	v_pk_fma_f32 v[10:11], v[10:11], v[0:1], v[22:23] op_sel:[0,0,1] op_sel_hi:[1,1,0] neg_lo:[0,0,1] neg_hi:[0,0,1]
	v_mov_b32_e32 v11, v193
	v_pk_fma_f32 v[22:23], v[14:15], v[0:1], v[24:25] op_sel:[0,0,1] op_sel_hi:[1,0,0]
	v_pk_fma_f32 v[2:3], v[12:13], v[58:59], v[2:3] op_sel_hi:[1,1,0] neg_lo:[0,0,1] neg_hi:[0,0,1]
	v_pk_fma_f32 v[0:1], v[14:15], v[0:1], v[24:25] op_sel:[0,0,1] op_sel_hi:[1,1,0] neg_lo:[0,0,1] neg_hi:[0,0,1]
	v_mov_b32_e32 v3, v9
	v_pk_add_f32 v[162:163], v[162:163], v[4:5] neg_lo:[0,1] neg_hi:[0,1]
	v_mov_b32_e32 v1, v23
	v_pk_add_f32 v[168:169], v[168:169], v[10:11] neg_lo:[0,1] neg_hi:[0,1]
	s_delay_alu instid0(VALU_DEP_4) | instskip(NEXT) | instid1(VALU_DEP_3)
	v_pk_add_f32 v[176:177], v[176:177], v[2:3] neg_lo:[0,1] neg_hi:[0,1]
	v_pk_add_f32 v[180:181], v[180:181], v[0:1] neg_lo:[0,1] neg_hi:[0,1]
.LBB89_46:
	s_or_b32 exec_lo, exec_lo, s1
	s_delay_alu instid0(SALU_CYCLE_1)
	s_mov_b32 s2, exec_lo
	s_wait_dscnt 0x0
	s_barrier_signal -1
	s_barrier_wait -1
	v_cmpx_eq_u32_e32 5, v38
	s_cbranch_execz .LBB89_53
; %bb.47:
	v_dual_mov_b32 v0, v52 :: v_dual_mov_b32 v1, v53
	v_dual_mov_b32 v2, v48 :: v_dual_mov_b32 v3, v49
	;; [unrolled: 1-line block ×4, first 2 shown]
	ds_store_b64 v39, v[50:51]
	ds_store_2addr_b64 v20, v[0:1], v[2:3] offset0:6 offset1:7
	ds_store_2addr_b64 v20, v[4:5], v[6:7] offset0:8 offset1:9
	v_dual_mov_b32 v0, v80 :: v_dual_mov_b32 v1, v81
	v_dual_mov_b32 v2, v76 :: v_dual_mov_b32 v3, v77
	v_dual_mov_b32 v4, v104 :: v_dual_mov_b32 v5, v105
	v_dual_mov_b32 v6, v102 :: v_dual_mov_b32 v7, v103
	v_dual_mov_b32 v8, v36 :: v_dual_mov_b32 v9, v37
	v_dual_mov_b32 v10, v34 :: v_dual_mov_b32 v11, v35
	v_dual_mov_b32 v12, v66 :: v_dual_mov_b32 v13, v67
	v_dual_mov_b32 v14, v62 :: v_dual_mov_b32 v15, v63
	v_dual_mov_b32 v22, v64 :: v_dual_mov_b32 v23, v65
	v_dual_mov_b32 v24, v60 :: v_dual_mov_b32 v25, v61
	v_dual_mov_b32 v192, v88 :: v_dual_mov_b32 v193, v89
	v_dual_mov_b32 v194, v84 :: v_dual_mov_b32 v195, v85
	ds_store_2addr_b64 v20, v[0:1], v[2:3] offset0:10 offset1:11
	ds_store_2addr_b64 v20, v[4:5], v[6:7] offset0:12 offset1:13
	;; [unrolled: 1-line block ×6, first 2 shown]
	v_dual_mov_b32 v0, v86 :: v_dual_mov_b32 v1, v87
	v_dual_mov_b32 v2, v82 :: v_dual_mov_b32 v3, v83
	;; [unrolled: 1-line block ×12, first 2 shown]
	ds_store_2addr_b64 v20, v[0:1], v[2:3] offset0:22 offset1:23
	ds_store_2addr_b64 v20, v[4:5], v[6:7] offset0:24 offset1:25
	;; [unrolled: 1-line block ×6, first 2 shown]
	v_dual_mov_b32 v0, v148 :: v_dual_mov_b32 v1, v149
	v_dual_mov_b32 v2, v144 :: v_dual_mov_b32 v3, v145
	;; [unrolled: 1-line block ×10, first 2 shown]
	ds_store_2addr_b64 v20, v[0:1], v[2:3] offset0:34 offset1:35
	ds_store_2addr_b64 v20, v[4:5], v[6:7] offset0:36 offset1:37
	;; [unrolled: 1-line block ×5, first 2 shown]
	ds_store_b64 v20, v[180:181] offset:352
	ds_load_b64 v[0:1], v39
	s_wait_dscnt 0x0
	v_cmp_neq_f32_e32 vcc_lo, 0, v0
	v_cmp_neq_f32_e64 s1, 0, v1
	s_or_b32 s1, vcc_lo, s1
	s_delay_alu instid0(SALU_CYCLE_1)
	s_and_b32 exec_lo, exec_lo, s1
	s_cbranch_execz .LBB89_53
; %bb.48:
	v_cmp_ngt_f32_e64 s1, |v0|, |v1|
                                        ; implicit-def: $vgpr2_vgpr3
	s_and_saveexec_b32 s4, s1
	s_delay_alu instid0(SALU_CYCLE_1)
	s_xor_b32 s1, exec_lo, s4
	s_cbranch_execz .LBB89_50
; %bb.49:
	v_div_scale_f32 v2, null, v1, v1, v0
	v_div_scale_f32 v5, vcc_lo, v0, v1, v0
	s_delay_alu instid0(VALU_DEP_2) | instskip(SKIP_1) | instid1(TRANS32_DEP_1)
	v_rcp_f32_e32 v3, v2
	v_nop
	v_fma_f32 v4, -v2, v3, 1.0
	s_delay_alu instid0(VALU_DEP_1) | instskip(NEXT) | instid1(VALU_DEP_1)
	v_fmac_f32_e32 v3, v4, v3
	v_mul_f32_e32 v4, v5, v3
	s_delay_alu instid0(VALU_DEP_1) | instskip(NEXT) | instid1(VALU_DEP_1)
	v_fma_f32 v6, -v2, v4, v5
	v_fmac_f32_e32 v4, v6, v3
	s_delay_alu instid0(VALU_DEP_1) | instskip(NEXT) | instid1(VALU_DEP_1)
	v_fma_f32 v2, -v2, v4, v5
	v_div_fmas_f32 v2, v2, v3, v4
	s_delay_alu instid0(VALU_DEP_1) | instskip(NEXT) | instid1(VALU_DEP_1)
	v_div_fixup_f32 v2, v2, v1, v0
	v_fmac_f32_e32 v1, v0, v2
	s_delay_alu instid0(VALU_DEP_1) | instskip(SKIP_1) | instid1(VALU_DEP_2)
	v_div_scale_f32 v0, null, v1, v1, 1.0
	v_div_scale_f32 v5, vcc_lo, 1.0, v1, 1.0
	v_rcp_f32_e32 v3, v0
	v_nop
	s_delay_alu instid0(TRANS32_DEP_1) | instskip(NEXT) | instid1(VALU_DEP_1)
	v_fma_f32 v4, -v0, v3, 1.0
	v_fmac_f32_e32 v3, v4, v3
	s_delay_alu instid0(VALU_DEP_1) | instskip(NEXT) | instid1(VALU_DEP_1)
	v_mul_f32_e32 v4, v5, v3
	v_fma_f32 v6, -v0, v4, v5
	s_delay_alu instid0(VALU_DEP_1) | instskip(NEXT) | instid1(VALU_DEP_1)
	v_fmac_f32_e32 v4, v6, v3
	v_fma_f32 v0, -v0, v4, v5
	s_delay_alu instid0(VALU_DEP_1) | instskip(NEXT) | instid1(VALU_DEP_1)
	v_div_fmas_f32 v0, v0, v3, v4
	v_div_fixup_f32 v0, v0, v1, 1.0
	s_delay_alu instid0(VALU_DEP_1)
	v_mul_f32_e32 v2, v2, v0
	v_xor_b32_e32 v3, 0x80000000, v0
                                        ; implicit-def: $vgpr0_vgpr1
.LBB89_50:
	s_and_not1_saveexec_b32 s1, s1
	s_cbranch_execz .LBB89_52
; %bb.51:
	v_div_scale_f32 v2, null, v0, v0, v1
	v_div_scale_f32 v5, vcc_lo, v1, v0, v1
	s_delay_alu instid0(VALU_DEP_2) | instskip(SKIP_1) | instid1(TRANS32_DEP_1)
	v_rcp_f32_e32 v3, v2
	v_nop
	v_fma_f32 v4, -v2, v3, 1.0
	s_delay_alu instid0(VALU_DEP_1) | instskip(NEXT) | instid1(VALU_DEP_1)
	v_fmac_f32_e32 v3, v4, v3
	v_mul_f32_e32 v4, v5, v3
	s_delay_alu instid0(VALU_DEP_1) | instskip(NEXT) | instid1(VALU_DEP_1)
	v_fma_f32 v6, -v2, v4, v5
	v_fmac_f32_e32 v4, v6, v3
	s_delay_alu instid0(VALU_DEP_1) | instskip(NEXT) | instid1(VALU_DEP_1)
	v_fma_f32 v2, -v2, v4, v5
	v_div_fmas_f32 v2, v2, v3, v4
	s_delay_alu instid0(VALU_DEP_1) | instskip(NEXT) | instid1(VALU_DEP_1)
	v_div_fixup_f32 v3, v2, v0, v1
	v_fmac_f32_e32 v0, v1, v3
	s_delay_alu instid0(VALU_DEP_1) | instskip(NEXT) | instid1(VALU_DEP_1)
	v_div_scale_f32 v1, null, v0, v0, 1.0
	v_rcp_f32_e32 v2, v1
	v_nop
	s_delay_alu instid0(TRANS32_DEP_1) | instskip(NEXT) | instid1(VALU_DEP_1)
	v_fma_f32 v4, -v1, v2, 1.0
	v_fmac_f32_e32 v2, v4, v2
	v_div_scale_f32 v4, vcc_lo, 1.0, v0, 1.0
	s_delay_alu instid0(VALU_DEP_1) | instskip(NEXT) | instid1(VALU_DEP_1)
	v_mul_f32_e32 v5, v4, v2
	v_fma_f32 v6, -v1, v5, v4
	s_delay_alu instid0(VALU_DEP_1) | instskip(NEXT) | instid1(VALU_DEP_1)
	v_fmac_f32_e32 v5, v6, v2
	v_fma_f32 v1, -v1, v5, v4
	s_delay_alu instid0(VALU_DEP_1) | instskip(NEXT) | instid1(VALU_DEP_1)
	v_div_fmas_f32 v1, v1, v2, v5
	v_div_fixup_f32 v2, v1, v0, 1.0
	s_delay_alu instid0(VALU_DEP_1)
	v_mul_f32_e64 v3, v3, -v2
.LBB89_52:
	s_or_b32 exec_lo, exec_lo, s1
	ds_store_b64 v39, v[2:3]
.LBB89_53:
	s_or_b32 exec_lo, exec_lo, s2
	s_wait_dscnt 0x0
	s_barrier_signal -1
	s_barrier_wait -1
	ds_load_b64 v[192:193], v39
	s_mov_b32 s1, exec_lo
	v_cmpx_lt_u32_e32 5, v38
	s_cbranch_execz .LBB89_55
; %bb.54:
	ds_load_2addr_b64 v[4:7], v20 offset0:6 offset1:7
	ds_load_2addr_b64 v[8:11], v20 offset0:8 offset1:9
	;; [unrolled: 1-line block ×3, first 2 shown]
	s_wait_dscnt 0x3
	v_pk_mul_f32 v[2:3], v[192:193], v[50:51] op_sel:[1,1] op_sel_hi:[0,1]
	ds_load_2addr_b64 v[194:197], v20 offset0:12 offset1:13
	ds_load_2addr_b64 v[198:201], v20 offset0:14 offset1:15
	v_pk_fma_f32 v[0:1], v[192:193], v[50:51], v[2:3] op_sel_hi:[1,0,1] neg_lo:[0,0,1] neg_hi:[0,0,1]
	v_pk_fma_f32 v[2:3], v[192:193], v[50:51], v[2:3] op_sel_hi:[1,0,1]
	s_delay_alu instid0(VALU_DEP_1) | instskip(SKIP_1) | instid1(VALU_DEP_2)
	v_dual_mov_b32 v50, v0 :: v_dual_mov_b32 v51, v3
	s_wait_dscnt 0x4
	v_pk_mul_f32 v[22:23], v[4:5], v[2:3] op_sel:[0,1]
	v_pk_mul_f32 v[24:25], v[6:7], v[2:3] op_sel:[0,1]
	s_wait_dscnt 0x3
	v_pk_mul_f32 v[202:203], v[8:9], v[2:3] op_sel:[0,1]
	v_dual_mov_b32 v204, v11 :: v_dual_mov_b32 v205, v10
	v_dual_mul_f32 v206, v11, v3 :: v_dual_mul_f32 v208, v11, v0
	v_pk_fma_f32 v[214:215], v[4:5], v[0:1], v[22:23] op_sel:[0,0,1] op_sel_hi:[1,1,0] neg_lo:[0,0,1] neg_hi:[0,0,1]
	v_pk_fma_f32 v[4:5], v[4:5], v[0:1], v[22:23] op_sel:[0,0,1] op_sel_hi:[1,0,0]
	v_pk_fma_f32 v[22:23], v[6:7], v[0:1], v[24:25] op_sel:[0,0,1] op_sel_hi:[1,1,0] neg_lo:[0,0,1] neg_hi:[0,0,1]
	v_pk_fma_f32 v[6:7], v[6:7], v[0:1], v[24:25] op_sel:[0,0,1] op_sel_hi:[1,0,0]
	;; [unrolled: 2-line block ×3, first 2 shown]
	v_pk_fma_f32 v[202:203], v[204:205], v[50:51], v[208:209] op_sel_hi:[1,1,0]
	s_wait_dscnt 0x2
	v_pk_mul_f32 v[210:211], v[12:13], v[2:3] op_sel:[0,1]
	v_dual_mov_b32 v215, v5 :: v_dual_mov_b32 v23, v7
	v_pk_fma_f32 v[10:11], v[10:11], v[50:51], v[206:207] op_sel_hi:[1,1,0] neg_lo:[0,0,1] neg_hi:[0,0,1]
	v_dual_mov_b32 v25, v9 :: v_dual_mov_b32 v11, v203
	v_pk_mul_f32 v[212:213], v[14:15], v[2:3] op_sel:[0,1]
	v_pk_fma_f32 v[8:9], v[12:13], v[0:1], v[210:211] op_sel:[0,0,1] op_sel_hi:[1,0,0]
	v_pk_add_f32 v[48:49], v[48:49], v[22:23] neg_lo:[0,1] neg_hi:[0,1]
	s_wait_dscnt 0x1
	v_pk_mul_f32 v[22:23], v[194:195], v[2:3] op_sel:[0,1]
	ds_load_2addr_b64 v[4:7], v20 offset0:16 offset1:17
	v_pk_add_f32 v[78:79], v[78:79], v[10:11] neg_lo:[0,1] neg_hi:[0,1]
	v_pk_fma_f32 v[10:11], v[12:13], v[0:1], v[210:211] op_sel:[0,0,1] op_sel_hi:[1,1,0] neg_lo:[0,0,1] neg_hi:[0,0,1]
	v_pk_fma_f32 v[12:13], v[14:15], v[0:1], v[212:213] op_sel:[0,0,1] op_sel_hi:[1,0,0]
	v_mov_b32_e32 v11, v9
	v_pk_add_f32 v[46:47], v[46:47], v[24:25] neg_lo:[0,1] neg_hi:[0,1]
	v_pk_fma_f32 v[8:9], v[14:15], v[0:1], v[212:213] op_sel:[0,0,1] op_sel_hi:[1,1,0] neg_lo:[0,0,1] neg_hi:[0,0,1]
	v_pk_mul_f32 v[14:15], v[196:197], v[2:3] op_sel:[0,1]
	v_pk_fma_f32 v[24:25], v[194:195], v[0:1], v[22:23] op_sel:[0,0,1] op_sel_hi:[1,0,0]
	v_mov_b32_e32 v9, v13
	v_pk_add_f32 v[80:81], v[80:81], v[10:11] neg_lo:[0,1] neg_hi:[0,1]
	v_pk_fma_f32 v[10:11], v[194:195], v[0:1], v[22:23] op_sel:[0,0,1] op_sel_hi:[1,1,0] neg_lo:[0,0,1] neg_hi:[0,0,1]
	v_pk_fma_f32 v[12:13], v[196:197], v[0:1], v[14:15] op_sel:[0,0,1] op_sel_hi:[1,0,0]
	s_wait_dscnt 0x1
	v_dual_mov_b32 v11, v25 :: v_dual_mul_f32 v12, v199, v0
	v_pk_fma_f32 v[14:15], v[196:197], v[0:1], v[14:15] op_sel:[0,0,1] op_sel_hi:[1,1,0] neg_lo:[0,0,1] neg_hi:[0,0,1]
	v_pk_add_f32 v[76:77], v[76:77], v[8:9] neg_lo:[0,1] neg_hi:[0,1]
	v_dual_mov_b32 v15, v13 :: v_dual_mul_f32 v22, v199, v3
	s_delay_alu instid0(VALU_DEP_4)
	v_pk_add_f32 v[104:105], v[104:105], v[10:11] neg_lo:[0,1] neg_hi:[0,1]
	ds_load_2addr_b64 v[8:11], v20 offset0:18 offset1:19
	v_pk_fma_f32 v[12:13], v[198:199], v[50:51], v[12:13] op_sel:[1,0,0] op_sel_hi:[0,1,0]
	v_pk_mul_f32 v[24:25], v[200:201], v[2:3] op_sel:[0,1]
	s_wait_dscnt 0x1
	v_pk_mul_f32 v[194:195], v[4:5], v[2:3] op_sel:[0,1]
	v_pk_fma_f32 v[22:23], v[198:199], v[50:51], v[22:23] op_sel_hi:[1,1,0] neg_lo:[0,0,1] neg_hi:[0,0,1]
	v_pk_mul_f32 v[196:197], v[6:7], v[2:3] op_sel:[0,1]
	v_pk_add_f32 v[102:103], v[102:103], v[14:15] neg_lo:[0,1] neg_hi:[0,1]
	v_pk_fma_f32 v[198:199], v[200:201], v[0:1], v[24:25] op_sel:[0,0,1] op_sel_hi:[1,0,0]
	v_mov_b32_e32 v23, v13
	ds_load_2addr_b64 v[12:15], v20 offset0:20 offset1:21
	v_pk_fma_f32 v[202:203], v[4:5], v[0:1], v[194:195] op_sel:[0,0,1] op_sel_hi:[1,0,0]
	v_pk_fma_f32 v[24:25], v[200:201], v[0:1], v[24:25] op_sel:[0,0,1] op_sel_hi:[1,1,0] neg_lo:[0,0,1] neg_hi:[0,0,1]
	v_pk_fma_f32 v[200:201], v[6:7], v[0:1], v[196:197] op_sel:[0,0,1] op_sel_hi:[1,0,0]
	v_pk_fma_f32 v[4:5], v[4:5], v[0:1], v[194:195] op_sel:[0,0,1] op_sel_hi:[1,1,0] neg_lo:[0,0,1] neg_hi:[0,0,1]
	v_pk_fma_f32 v[6:7], v[6:7], v[0:1], v[196:197] op_sel:[0,0,1] op_sel_hi:[1,1,0] neg_lo:[0,0,1] neg_hi:[0,0,1]
	v_dual_mov_b32 v5, v203 :: v_dual_mov_b32 v25, v199
	s_delay_alu instid0(VALU_DEP_4)
	v_mov_b32_e32 v7, v201
	v_pk_add_f32 v[36:37], v[36:37], v[22:23] neg_lo:[0,1] neg_hi:[0,1]
	ds_load_2addr_b64 v[194:197], v20 offset0:24 offset1:25
	s_wait_dscnt 0x2
	v_pk_mul_f32 v[22:23], v[8:9], v[2:3] op_sel:[0,1]
	v_pk_add_f32 v[66:67], v[66:67], v[4:5] neg_lo:[0,1] neg_hi:[0,1]
	v_pk_add_f32 v[62:63], v[62:63], v[6:7] neg_lo:[0,1] neg_hi:[0,1]
	ds_load_2addr_b64 v[4:7], v20 offset0:22 offset1:23
	v_pk_add_f32 v[34:35], v[34:35], v[24:25] neg_lo:[0,1] neg_hi:[0,1]
	v_pk_fma_f32 v[24:25], v[8:9], v[0:1], v[22:23] op_sel:[0,0,1] op_sel_hi:[1,1,0] neg_lo:[0,0,1] neg_hi:[0,0,1]
	v_pk_fma_f32 v[8:9], v[8:9], v[0:1], v[22:23] op_sel:[0,0,1] op_sel_hi:[1,0,0]
	v_dual_mov_b32 v22, v11 :: v_dual_mov_b32 v23, v10
	v_dual_mul_f32 v8, v11, v0 :: v_dual_mul_f32 v198, v11, v3
	s_wait_dscnt 0x2
	v_pk_mul_f32 v[200:201], v[12:13], v[2:3] op_sel:[0,1]
	v_pk_mul_f32 v[202:203], v[14:15], v[2:3] op_sel:[0,1]
	v_pk_add_f32 v[52:53], v[52:53], v[214:215] neg_lo:[0,1] neg_hi:[0,1]
	v_pk_fma_f32 v[22:23], v[22:23], v[50:51], v[8:9] op_sel_hi:[1,1,0]
	v_mov_b32_e32 v25, v9
	v_pk_fma_f32 v[8:9], v[12:13], v[0:1], v[200:201] op_sel:[0,0,1] op_sel_hi:[1,0,0]
	v_pk_fma_f32 v[10:11], v[10:11], v[50:51], v[198:199] op_sel_hi:[1,1,0] neg_lo:[0,0,1] neg_hi:[0,0,1]
	v_pk_fma_f32 v[198:199], v[14:15], v[0:1], v[202:203] op_sel:[0,0,1] op_sel_hi:[1,0,0]
	v_pk_fma_f32 v[12:13], v[12:13], v[0:1], v[200:201] op_sel:[0,0,1] op_sel_hi:[1,1,0] neg_lo:[0,0,1] neg_hi:[0,0,1]
	s_delay_alu instid0(VALU_DEP_4) | instskip(SKIP_1) | instid1(VALU_DEP_4)
	v_dual_mov_b32 v11, v23 :: v_dual_mov_b32 v13, v9
	v_pk_fma_f32 v[8:9], v[14:15], v[0:1], v[202:203] op_sel:[0,0,1] op_sel_hi:[1,1,0] neg_lo:[0,0,1] neg_hi:[0,0,1]
	v_mov_b32_e32 v9, v199
	s_wait_dscnt 0x0
	v_pk_mul_f32 v[14:15], v[4:5], v[2:3] op_sel:[0,1]
	v_pk_add_f32 v[60:61], v[60:61], v[10:11] neg_lo:[0,1] neg_hi:[0,1]
	v_pk_add_f32 v[64:65], v[64:65], v[24:25] neg_lo:[0,1] neg_hi:[0,1]
	v_pk_mul_f32 v[24:25], v[6:7], v[2:3] op_sel:[0,1]
	v_pk_add_f32 v[84:85], v[84:85], v[8:9] neg_lo:[0,1] neg_hi:[0,1]
	ds_load_2addr_b64 v[8:11], v20 offset0:26 offset1:27
	v_pk_fma_f32 v[22:23], v[4:5], v[0:1], v[14:15] op_sel:[0,0,1] op_sel_hi:[1,0,0]
	v_mul_f32_e32 v22, v195, v0
	v_pk_mul_f32 v[198:199], v[196:197], v[2:3] op_sel:[0,1]
	v_pk_add_f32 v[88:89], v[88:89], v[12:13] neg_lo:[0,1] neg_hi:[0,1]
	v_pk_fma_f32 v[4:5], v[4:5], v[0:1], v[14:15] op_sel:[0,0,1] op_sel_hi:[1,1,0] neg_lo:[0,0,1] neg_hi:[0,0,1]
	ds_load_2addr_b64 v[12:15], v20 offset0:28 offset1:29
	v_pk_fma_f32 v[200:201], v[6:7], v[0:1], v[24:25] op_sel:[0,0,1] op_sel_hi:[1,0,0]
	v_mul_f32_e32 v200, v195, v3
	v_mov_b32_e32 v5, v23
	v_pk_fma_f32 v[22:23], v[194:195], v[50:51], v[22:23] op_sel:[1,0,0] op_sel_hi:[0,1,0]
	v_pk_fma_f32 v[6:7], v[6:7], v[0:1], v[24:25] op_sel:[0,0,1] op_sel_hi:[1,1,0] neg_lo:[0,0,1] neg_hi:[0,0,1]
	v_pk_fma_f32 v[24:25], v[196:197], v[0:1], v[198:199] op_sel:[0,0,1] op_sel_hi:[1,0,0]
	v_mov_b32_e32 v7, v201
	v_pk_fma_f32 v[194:195], v[194:195], v[50:51], v[200:201] op_sel_hi:[1,1,0] neg_lo:[0,0,1] neg_hi:[0,0,1]
	v_mov_b32_e32 v195, v23
	v_pk_fma_f32 v[22:23], v[196:197], v[0:1], v[198:199] op_sel:[0,0,1] op_sel_hi:[1,1,0] neg_lo:[0,0,1] neg_hi:[0,0,1]
	v_mov_b32_e32 v23, v25
	v_pk_add_f32 v[86:87], v[86:87], v[4:5] neg_lo:[0,1] neg_hi:[0,1]
	v_pk_add_f32 v[82:83], v[82:83], v[6:7] neg_lo:[0,1] neg_hi:[0,1]
	ds_load_2addr_b64 v[4:7], v20 offset0:30 offset1:31
	s_wait_dscnt 0x2
	v_pk_mul_f32 v[24:25], v[8:9], v[2:3] op_sel:[0,1]
	v_pk_add_f32 v[108:109], v[108:109], v[22:23] neg_lo:[0,1] neg_hi:[0,1]
	v_pk_mul_f32 v[22:23], v[10:11], v[2:3] op_sel:[0,1]
	v_pk_add_f32 v[112:113], v[112:113], v[194:195] neg_lo:[0,1] neg_hi:[0,1]
	ds_load_2addr_b64 v[194:197], v20 offset0:32 offset1:33
	v_pk_fma_f32 v[200:201], v[8:9], v[0:1], v[24:25] op_sel:[0,0,1] op_sel_hi:[1,0,0]
	v_pk_fma_f32 v[8:9], v[8:9], v[0:1], v[24:25] op_sel:[0,0,1] op_sel_hi:[1,1,0] neg_lo:[0,0,1] neg_hi:[0,0,1]
	v_pk_fma_f32 v[24:25], v[10:11], v[0:1], v[22:23] op_sel:[0,0,1] op_sel_hi:[1,0,0]
	s_wait_dscnt 0x2
	v_pk_mul_f32 v[198:199], v[12:13], v[2:3] op_sel:[0,1]
	v_pk_fma_f32 v[10:11], v[10:11], v[0:1], v[22:23] op_sel:[0,0,1] op_sel_hi:[1,1,0] neg_lo:[0,0,1] neg_hi:[0,0,1]
	v_dual_mov_b32 v9, v201 :: v_dual_mov_b32 v22, v15
	v_mov_b32_e32 v11, v25
	s_delay_alu instid0(VALU_DEP_4) | instskip(SKIP_1) | instid1(VALU_DEP_4)
	v_pk_fma_f32 v[202:203], v[12:13], v[0:1], v[198:199] op_sel:[0,0,1] op_sel_hi:[1,0,0]
	v_pk_fma_f32 v[12:13], v[12:13], v[0:1], v[198:199] op_sel:[0,0,1] op_sel_hi:[1,1,0] neg_lo:[0,0,1] neg_hi:[0,0,1]
	v_pk_add_f32 v[110:111], v[110:111], v[8:9] neg_lo:[0,1] neg_hi:[0,1]
	v_dual_mov_b32 v23, v14 :: v_dual_mul_f32 v24, v15, v0
	v_pk_add_f32 v[106:107], v[106:107], v[10:11] neg_lo:[0,1] neg_hi:[0,1]
	ds_load_2addr_b64 v[8:11], v20 offset0:34 offset1:35
	v_mov_b32_e32 v13, v203
	s_wait_dscnt 0x2
	v_pk_mul_f32 v[198:199], v[6:7], v[2:3] op_sel:[0,1]
	v_pk_fma_f32 v[22:23], v[22:23], v[50:51], v[24:25] op_sel_hi:[1,1,0]
	v_pk_mul_f32 v[24:25], v[4:5], v[2:3] op_sel:[0,1]
	v_pk_add_f32 v[128:129], v[128:129], v[12:13] neg_lo:[0,1] neg_hi:[0,1]
	s_delay_alu instid0(VALU_DEP_4)
	v_pk_fma_f32 v[204:205], v[6:7], v[0:1], v[198:199] op_sel:[0,0,1] op_sel_hi:[1,0,0]
	v_mul_f32_e32 v12, v15, v3
	v_pk_fma_f32 v[6:7], v[6:7], v[0:1], v[198:199] op_sel:[0,0,1] op_sel_hi:[1,1,0] neg_lo:[0,0,1] neg_hi:[0,0,1]
	v_pk_fma_f32 v[202:203], v[4:5], v[0:1], v[24:25] op_sel:[0,0,1] op_sel_hi:[1,0,0]
	v_pk_fma_f32 v[4:5], v[4:5], v[0:1], v[24:25] op_sel:[0,0,1] op_sel_hi:[1,1,0] neg_lo:[0,0,1] neg_hi:[0,0,1]
	v_mov_b32_e32 v7, v205
	v_pk_fma_f32 v[200:201], v[14:15], v[50:51], v[12:13] op_sel_hi:[1,1,0] neg_lo:[0,0,1] neg_hi:[0,0,1]
	ds_load_2addr_b64 v[12:15], v20 offset0:36 offset1:37
	v_dual_mov_b32 v201, v23 :: v_dual_mov_b32 v5, v203
	s_wait_dscnt 0x2
	v_pk_mul_f32 v[22:23], v[194:195], v[2:3] op_sel:[0,1]
	v_pk_add_f32 v[122:123], v[122:123], v[6:7] neg_lo:[0,1] neg_hi:[0,1]
	s_delay_alu instid0(VALU_DEP_3) | instskip(SKIP_1) | instid1(VALU_DEP_4)
	v_pk_add_f32 v[124:125], v[124:125], v[200:201] neg_lo:[0,1] neg_hi:[0,1]
	v_pk_add_f32 v[126:127], v[126:127], v[4:5] neg_lo:[0,1] neg_hi:[0,1]
	v_pk_fma_f32 v[24:25], v[194:195], v[0:1], v[22:23] op_sel:[0,0,1] op_sel_hi:[1,0,0]
	v_pk_fma_f32 v[22:23], v[194:195], v[0:1], v[22:23] op_sel:[0,0,1] op_sel_hi:[1,1,0] neg_lo:[0,0,1] neg_hi:[0,0,1]
	s_wait_dscnt 0x1
	v_mul_f32_e32 v194, v9, v0
	ds_load_2addr_b64 v[4:7], v20 offset0:38 offset1:39
	v_pk_fma_f32 v[194:195], v[8:9], v[50:51], v[194:195] op_sel:[1,0,0] op_sel_hi:[0,1,0]
	v_mov_b32_e32 v23, v25
	v_pk_mul_f32 v[24:25], v[196:197], v[2:3] op_sel:[0,1]
	s_wait_dscnt 0x1
	v_pk_mul_f32 v[198:199], v[12:13], v[2:3] op_sel:[0,1]
	s_delay_alu instid0(VALU_DEP_3) | instskip(NEXT) | instid1(VALU_DEP_3)
	v_pk_add_f32 v[150:151], v[150:151], v[22:23] neg_lo:[0,1] neg_hi:[0,1]
	v_pk_fma_f32 v[22:23], v[196:197], v[0:1], v[24:25] op_sel:[0,0,1] op_sel_hi:[1,1,0] neg_lo:[0,0,1] neg_hi:[0,0,1]
	v_pk_fma_f32 v[24:25], v[196:197], v[0:1], v[24:25] op_sel:[0,0,1] op_sel_hi:[1,0,0]
	v_mul_f32_e32 v24, v9, v3
	v_pk_mul_f32 v[196:197], v[10:11], v[2:3] op_sel:[0,1]
	s_delay_alu instid0(VALU_DEP_1) | instskip(NEXT) | instid1(VALU_DEP_4)
	v_pk_fma_f32 v[200:201], v[10:11], v[0:1], v[196:197] op_sel:[0,0,1] op_sel_hi:[1,0,0]
	v_mov_b32_e32 v23, v25
	s_delay_alu instid0(VALU_DEP_4)
	v_pk_fma_f32 v[24:25], v[8:9], v[50:51], v[24:25] op_sel_hi:[1,1,0] neg_lo:[0,0,1] neg_hi:[0,0,1]
	v_mov_b32_e32 v25, v195
	v_pk_fma_f32 v[194:195], v[12:13], v[0:1], v[198:199] op_sel:[0,0,1] op_sel_hi:[1,0,0]
	v_pk_fma_f32 v[196:197], v[10:11], v[0:1], v[196:197] op_sel:[0,0,1] op_sel_hi:[1,1,0] neg_lo:[0,0,1] neg_hi:[0,0,1]
	ds_load_2addr_b64 v[8:11], v20 offset0:40 offset1:41
	v_pk_fma_f32 v[12:13], v[12:13], v[0:1], v[198:199] op_sel:[0,0,1] op_sel_hi:[1,1,0] neg_lo:[0,0,1] neg_hi:[0,0,1]
	v_dual_mov_b32 v197, v201 :: v_dual_mov_b32 v13, v195
	v_pk_mul_f32 v[194:195], v[14:15], v[2:3] op_sel:[0,1]
	v_pk_add_f32 v[146:147], v[146:147], v[22:23] neg_lo:[0,1] neg_hi:[0,1]
	v_pk_add_f32 v[148:149], v[148:149], v[24:25] neg_lo:[0,1] neg_hi:[0,1]
	s_delay_alu instid0(VALU_DEP_4)
	v_pk_add_f32 v[144:145], v[144:145], v[196:197] neg_lo:[0,1] neg_hi:[0,1]
	s_wait_dscnt 0x1
	v_mov_b32_e32 v196, v7
	v_pk_add_f32 v[174:175], v[174:175], v[12:13] neg_lo:[0,1] neg_hi:[0,1]
	v_pk_fma_f32 v[22:23], v[14:15], v[0:1], v[194:195] op_sel:[0,0,1] op_sel_hi:[1,1,0] neg_lo:[0,0,1] neg_hi:[0,0,1]
	v_pk_fma_f32 v[24:25], v[14:15], v[0:1], v[194:195] op_sel:[0,0,1] op_sel_hi:[1,0,0]
	ds_load_2addr_b64 v[12:15], v20 offset0:42 offset1:43
	v_pk_mul_f32 v[194:195], v[4:5], v[2:3] op_sel:[0,1]
	ds_load_b64 v[198:199], v20 offset:352
	v_dual_mov_b32 v197, v6 :: v_dual_mul_f32 v24, v7, v0
	v_mov_b32_e32 v23, v25
	v_pk_fma_f32 v[200:201], v[4:5], v[0:1], v[194:195] op_sel:[0,0,1] op_sel_hi:[1,0,0]
	v_mul_f32_e32 v200, v7, v3
	v_pk_fma_f32 v[4:5], v[4:5], v[0:1], v[194:195] op_sel:[0,0,1] op_sel_hi:[1,1,0] neg_lo:[0,0,1] neg_hi:[0,0,1]
	v_pk_fma_f32 v[24:25], v[196:197], v[50:51], v[24:25] op_sel_hi:[1,1,0]
	s_wait_dscnt 0x2
	v_pk_mul_f32 v[194:195], v[8:9], v[2:3] op_sel:[0,1]
	v_mov_b32_e32 v5, v201
	v_pk_fma_f32 v[6:7], v[6:7], v[50:51], v[200:201] op_sel_hi:[1,1,0] neg_lo:[0,0,1] neg_hi:[0,0,1]
	v_pk_add_f32 v[166:167], v[166:167], v[22:23] neg_lo:[0,1] neg_hi:[0,1]
	v_mov_b32_e32 v7, v25
	v_pk_fma_f32 v[22:23], v[8:9], v[0:1], v[194:195] op_sel:[0,0,1] op_sel_hi:[1,0,0]
	v_pk_add_f32 v[172:173], v[172:173], v[4:5] neg_lo:[0,1] neg_hi:[0,1]
	v_pk_mul_f32 v[4:5], v[10:11], v[2:3] op_sel:[0,1]
	s_delay_alu instid0(VALU_DEP_4)
	v_pk_add_f32 v[164:165], v[164:165], v[6:7] neg_lo:[0,1] neg_hi:[0,1]
	v_pk_fma_f32 v[6:7], v[8:9], v[0:1], v[194:195] op_sel:[0,0,1] op_sel_hi:[1,1,0] neg_lo:[0,0,1] neg_hi:[0,0,1]
	s_wait_dscnt 0x1
	v_pk_mul_f32 v[8:9], v[12:13], v[2:3] op_sel:[0,1]
	v_mov_b32_e32 v7, v23
	v_pk_fma_f32 v[22:23], v[10:11], v[0:1], v[4:5] op_sel:[0,0,1] op_sel_hi:[1,0,0]
	v_pk_mul_f32 v[24:25], v[14:15], v[2:3] op_sel:[0,1]
	s_wait_dscnt 0x0
	v_pk_mul_f32 v[2:3], v[198:199], v[2:3] op_sel:[0,1]
	v_pk_fma_f32 v[4:5], v[10:11], v[0:1], v[4:5] op_sel:[0,0,1] op_sel_hi:[1,1,0] neg_lo:[0,0,1] neg_hi:[0,0,1]
	v_pk_fma_f32 v[10:11], v[12:13], v[0:1], v[8:9] op_sel:[0,0,1] op_sel_hi:[1,0,0]
	v_mov_b32_e32 v5, v23
	v_pk_fma_f32 v[22:23], v[14:15], v[0:1], v[24:25] op_sel:[0,0,1] op_sel_hi:[1,0,0]
	v_pk_fma_f32 v[8:9], v[12:13], v[0:1], v[8:9] op_sel:[0,0,1] op_sel_hi:[1,1,0] neg_lo:[0,0,1] neg_hi:[0,0,1]
	v_pk_fma_f32 v[12:13], v[198:199], v[0:1], v[2:3] op_sel:[0,0,1] op_sel_hi:[1,0,0]
	v_mov_b32_e32 v9, v11
	v_pk_fma_f32 v[10:11], v[14:15], v[0:1], v[24:25] op_sel:[0,0,1] op_sel_hi:[1,1,0] neg_lo:[0,0,1] neg_hi:[0,0,1]
	v_pk_fma_f32 v[0:1], v[198:199], v[0:1], v[2:3] op_sel:[0,0,1] op_sel_hi:[1,1,0] neg_lo:[0,0,1] neg_hi:[0,0,1]
	s_delay_alu instid0(VALU_DEP_4) | instskip(SKIP_3) | instid1(VALU_DEP_4)
	v_dual_mov_b32 v11, v23 :: v_dual_mov_b32 v1, v13
	v_pk_add_f32 v[170:171], v[170:171], v[6:7] neg_lo:[0,1] neg_hi:[0,1]
	v_pk_add_f32 v[162:163], v[162:163], v[4:5] neg_lo:[0,1] neg_hi:[0,1]
	v_pk_add_f32 v[168:169], v[168:169], v[8:9] neg_lo:[0,1] neg_hi:[0,1]
	v_pk_add_f32 v[176:177], v[176:177], v[10:11] neg_lo:[0,1] neg_hi:[0,1]
	v_pk_add_f32 v[180:181], v[180:181], v[0:1] neg_lo:[0,1] neg_hi:[0,1]
.LBB89_55:
	s_or_b32 exec_lo, exec_lo, s1
	s_delay_alu instid0(SALU_CYCLE_1)
	s_mov_b32 s2, exec_lo
	s_wait_dscnt 0x0
	s_barrier_signal -1
	s_barrier_wait -1
	v_cmpx_eq_u32_e32 6, v38
	s_cbranch_execz .LBB89_62
; %bb.56:
	ds_store_b64 v39, v[52:53]
	ds_store_2addr_b64 v20, v[48:49], v[46:47] offset0:7 offset1:8
	ds_store_2addr_b64 v20, v[78:79], v[80:81] offset0:9 offset1:10
	;; [unrolled: 1-line block ×19, first 2 shown]
	ds_load_b64 v[0:1], v39
	s_wait_dscnt 0x0
	v_cmp_neq_f32_e32 vcc_lo, 0, v0
	v_cmp_neq_f32_e64 s1, 0, v1
	s_or_b32 s1, vcc_lo, s1
	s_delay_alu instid0(SALU_CYCLE_1)
	s_and_b32 exec_lo, exec_lo, s1
	s_cbranch_execz .LBB89_62
; %bb.57:
	v_cmp_ngt_f32_e64 s1, |v0|, |v1|
                                        ; implicit-def: $vgpr2_vgpr3
	s_and_saveexec_b32 s4, s1
	s_delay_alu instid0(SALU_CYCLE_1)
	s_xor_b32 s1, exec_lo, s4
	s_cbranch_execz .LBB89_59
; %bb.58:
	v_div_scale_f32 v2, null, v1, v1, v0
	v_div_scale_f32 v5, vcc_lo, v0, v1, v0
	s_delay_alu instid0(VALU_DEP_2) | instskip(SKIP_1) | instid1(TRANS32_DEP_1)
	v_rcp_f32_e32 v3, v2
	v_nop
	v_fma_f32 v4, -v2, v3, 1.0
	s_delay_alu instid0(VALU_DEP_1) | instskip(NEXT) | instid1(VALU_DEP_1)
	v_fmac_f32_e32 v3, v4, v3
	v_mul_f32_e32 v4, v5, v3
	s_delay_alu instid0(VALU_DEP_1) | instskip(NEXT) | instid1(VALU_DEP_1)
	v_fma_f32 v6, -v2, v4, v5
	v_fmac_f32_e32 v4, v6, v3
	s_delay_alu instid0(VALU_DEP_1) | instskip(NEXT) | instid1(VALU_DEP_1)
	v_fma_f32 v2, -v2, v4, v5
	v_div_fmas_f32 v2, v2, v3, v4
	s_delay_alu instid0(VALU_DEP_1) | instskip(NEXT) | instid1(VALU_DEP_1)
	v_div_fixup_f32 v2, v2, v1, v0
	v_fmac_f32_e32 v1, v0, v2
	s_delay_alu instid0(VALU_DEP_1) | instskip(SKIP_1) | instid1(VALU_DEP_2)
	v_div_scale_f32 v0, null, v1, v1, 1.0
	v_div_scale_f32 v5, vcc_lo, 1.0, v1, 1.0
	v_rcp_f32_e32 v3, v0
	v_nop
	s_delay_alu instid0(TRANS32_DEP_1) | instskip(NEXT) | instid1(VALU_DEP_1)
	v_fma_f32 v4, -v0, v3, 1.0
	v_fmac_f32_e32 v3, v4, v3
	s_delay_alu instid0(VALU_DEP_1) | instskip(NEXT) | instid1(VALU_DEP_1)
	v_mul_f32_e32 v4, v5, v3
	v_fma_f32 v6, -v0, v4, v5
	s_delay_alu instid0(VALU_DEP_1) | instskip(NEXT) | instid1(VALU_DEP_1)
	v_fmac_f32_e32 v4, v6, v3
	v_fma_f32 v0, -v0, v4, v5
	s_delay_alu instid0(VALU_DEP_1) | instskip(NEXT) | instid1(VALU_DEP_1)
	v_div_fmas_f32 v0, v0, v3, v4
	v_div_fixup_f32 v0, v0, v1, 1.0
	s_delay_alu instid0(VALU_DEP_1)
	v_mul_f32_e32 v2, v2, v0
	v_xor_b32_e32 v3, 0x80000000, v0
                                        ; implicit-def: $vgpr0_vgpr1
.LBB89_59:
	s_and_not1_saveexec_b32 s1, s1
	s_cbranch_execz .LBB89_61
; %bb.60:
	v_div_scale_f32 v2, null, v0, v0, v1
	v_div_scale_f32 v5, vcc_lo, v1, v0, v1
	s_delay_alu instid0(VALU_DEP_2) | instskip(SKIP_1) | instid1(TRANS32_DEP_1)
	v_rcp_f32_e32 v3, v2
	v_nop
	v_fma_f32 v4, -v2, v3, 1.0
	s_delay_alu instid0(VALU_DEP_1) | instskip(NEXT) | instid1(VALU_DEP_1)
	v_fmac_f32_e32 v3, v4, v3
	v_mul_f32_e32 v4, v5, v3
	s_delay_alu instid0(VALU_DEP_1) | instskip(NEXT) | instid1(VALU_DEP_1)
	v_fma_f32 v6, -v2, v4, v5
	v_fmac_f32_e32 v4, v6, v3
	s_delay_alu instid0(VALU_DEP_1) | instskip(NEXT) | instid1(VALU_DEP_1)
	v_fma_f32 v2, -v2, v4, v5
	v_div_fmas_f32 v2, v2, v3, v4
	s_delay_alu instid0(VALU_DEP_1) | instskip(NEXT) | instid1(VALU_DEP_1)
	v_div_fixup_f32 v3, v2, v0, v1
	v_fmac_f32_e32 v0, v1, v3
	s_delay_alu instid0(VALU_DEP_1) | instskip(NEXT) | instid1(VALU_DEP_1)
	v_div_scale_f32 v1, null, v0, v0, 1.0
	v_rcp_f32_e32 v2, v1
	v_nop
	s_delay_alu instid0(TRANS32_DEP_1) | instskip(NEXT) | instid1(VALU_DEP_1)
	v_fma_f32 v4, -v1, v2, 1.0
	v_fmac_f32_e32 v2, v4, v2
	v_div_scale_f32 v4, vcc_lo, 1.0, v0, 1.0
	s_delay_alu instid0(VALU_DEP_1) | instskip(NEXT) | instid1(VALU_DEP_1)
	v_mul_f32_e32 v5, v4, v2
	v_fma_f32 v6, -v1, v5, v4
	s_delay_alu instid0(VALU_DEP_1) | instskip(NEXT) | instid1(VALU_DEP_1)
	v_fmac_f32_e32 v5, v6, v2
	v_fma_f32 v1, -v1, v5, v4
	s_delay_alu instid0(VALU_DEP_1) | instskip(NEXT) | instid1(VALU_DEP_1)
	v_div_fmas_f32 v1, v1, v2, v5
	v_div_fixup_f32 v2, v1, v0, 1.0
	s_delay_alu instid0(VALU_DEP_1)
	v_mul_f32_e64 v3, v3, -v2
.LBB89_61:
	s_or_b32 exec_lo, exec_lo, s1
	ds_store_b64 v39, v[2:3]
.LBB89_62:
	s_or_b32 exec_lo, exec_lo, s2
	s_wait_dscnt 0x0
	s_barrier_signal -1
	s_barrier_wait -1
	ds_load_b64 v[194:195], v39
	s_mov_b32 s1, exec_lo
	v_cmpx_lt_u32_e32 6, v38
	s_cbranch_execz .LBB89_64
; %bb.63:
	ds_load_2addr_b64 v[4:7], v20 offset0:7 offset1:8
	ds_load_2addr_b64 v[8:11], v20 offset0:9 offset1:10
	;; [unrolled: 1-line block ×3, first 2 shown]
	s_wait_dscnt 0x3
	v_pk_mul_f32 v[2:3], v[194:195], v[52:53] op_sel:[1,1] op_sel_hi:[0,1]
	ds_load_2addr_b64 v[196:199], v20 offset0:13 offset1:14
	ds_load_2addr_b64 v[200:203], v20 offset0:15 offset1:16
	v_pk_fma_f32 v[0:1], v[194:195], v[52:53], v[2:3] op_sel_hi:[1,0,1] neg_lo:[0,0,1] neg_hi:[0,0,1]
	v_pk_fma_f32 v[2:3], v[194:195], v[52:53], v[2:3] op_sel_hi:[1,0,1]
	s_delay_alu instid0(VALU_DEP_1) | instskip(SKIP_1) | instid1(VALU_DEP_2)
	v_dual_mov_b32 v52, v0 :: v_dual_mov_b32 v53, v3
	s_wait_dscnt 0x4
	v_pk_mul_f32 v[22:23], v[4:5], v[2:3] op_sel:[0,1]
	v_pk_mul_f32 v[24:25], v[6:7], v[2:3] op_sel:[0,1]
	s_wait_dscnt 0x3
	v_pk_mul_f32 v[204:205], v[8:9], v[2:3] op_sel:[0,1]
	v_dual_mov_b32 v206, v11 :: v_dual_mov_b32 v207, v10
	v_dual_mul_f32 v208, v11, v3 :: v_dual_mul_f32 v210, v11, v0
	v_pk_fma_f32 v[216:217], v[4:5], v[0:1], v[22:23] op_sel:[0,0,1] op_sel_hi:[1,1,0] neg_lo:[0,0,1] neg_hi:[0,0,1]
	v_pk_fma_f32 v[4:5], v[4:5], v[0:1], v[22:23] op_sel:[0,0,1] op_sel_hi:[1,0,0]
	v_pk_fma_f32 v[22:23], v[6:7], v[0:1], v[24:25] op_sel:[0,0,1] op_sel_hi:[1,1,0] neg_lo:[0,0,1] neg_hi:[0,0,1]
	v_pk_fma_f32 v[6:7], v[6:7], v[0:1], v[24:25] op_sel:[0,0,1] op_sel_hi:[1,0,0]
	;; [unrolled: 2-line block ×3, first 2 shown]
	v_pk_fma_f32 v[204:205], v[206:207], v[52:53], v[210:211] op_sel_hi:[1,1,0]
	s_wait_dscnt 0x2
	v_pk_mul_f32 v[212:213], v[12:13], v[2:3] op_sel:[0,1]
	v_dual_mov_b32 v217, v5 :: v_dual_mov_b32 v23, v7
	v_pk_fma_f32 v[10:11], v[10:11], v[52:53], v[208:209] op_sel_hi:[1,1,0] neg_lo:[0,0,1] neg_hi:[0,0,1]
	v_dual_mov_b32 v25, v9 :: v_dual_mov_b32 v11, v205
	v_pk_mul_f32 v[214:215], v[14:15], v[2:3] op_sel:[0,1]
	v_pk_fma_f32 v[8:9], v[12:13], v[0:1], v[212:213] op_sel:[0,0,1] op_sel_hi:[1,0,0]
	v_pk_add_f32 v[46:47], v[46:47], v[22:23] neg_lo:[0,1] neg_hi:[0,1]
	s_wait_dscnt 0x1
	v_pk_mul_f32 v[22:23], v[196:197], v[2:3] op_sel:[0,1]
	v_pk_add_f32 v[80:81], v[80:81], v[10:11] neg_lo:[0,1] neg_hi:[0,1]
	v_pk_fma_f32 v[10:11], v[12:13], v[0:1], v[212:213] op_sel:[0,0,1] op_sel_hi:[1,1,0] neg_lo:[0,0,1] neg_hi:[0,0,1]
	v_pk_fma_f32 v[12:13], v[14:15], v[0:1], v[214:215] op_sel:[0,0,1] op_sel_hi:[1,0,0]
	v_mov_b32_e32 v11, v9
	v_pk_add_f32 v[78:79], v[78:79], v[24:25] neg_lo:[0,1] neg_hi:[0,1]
	v_pk_fma_f32 v[8:9], v[14:15], v[0:1], v[214:215] op_sel:[0,0,1] op_sel_hi:[1,1,0] neg_lo:[0,0,1] neg_hi:[0,0,1]
	v_pk_mul_f32 v[14:15], v[198:199], v[2:3] op_sel:[0,1]
	v_pk_fma_f32 v[24:25], v[196:197], v[0:1], v[22:23] op_sel:[0,0,1] op_sel_hi:[1,0,0]
	ds_load_2addr_b64 v[4:7], v20 offset0:17 offset1:18
	v_mov_b32_e32 v9, v13
	v_pk_add_f32 v[76:77], v[76:77], v[10:11] neg_lo:[0,1] neg_hi:[0,1]
	v_pk_fma_f32 v[10:11], v[196:197], v[0:1], v[22:23] op_sel:[0,0,1] op_sel_hi:[1,1,0] neg_lo:[0,0,1] neg_hi:[0,0,1]
	v_pk_fma_f32 v[12:13], v[198:199], v[0:1], v[14:15] op_sel:[0,0,1] op_sel_hi:[1,0,0]
	v_mov_b32_e32 v11, v25
	v_pk_fma_f32 v[14:15], v[198:199], v[0:1], v[14:15] op_sel:[0,0,1] op_sel_hi:[1,1,0] neg_lo:[0,0,1] neg_hi:[0,0,1]
	s_wait_dscnt 0x1
	v_dual_mul_f32 v12, v201, v0 :: v_dual_mul_f32 v22, v201, v3
	v_pk_add_f32 v[104:105], v[104:105], v[8:9] neg_lo:[0,1] neg_hi:[0,1]
	v_mov_b32_e32 v15, v13
	v_pk_add_f32 v[102:103], v[102:103], v[10:11] neg_lo:[0,1] neg_hi:[0,1]
	ds_load_2addr_b64 v[8:11], v20 offset0:19 offset1:20
	v_pk_fma_f32 v[12:13], v[200:201], v[52:53], v[12:13] op_sel:[1,0,0] op_sel_hi:[0,1,0]
	v_pk_mul_f32 v[24:25], v[202:203], v[2:3] op_sel:[0,1]
	v_pk_fma_f32 v[22:23], v[200:201], v[52:53], v[22:23] op_sel_hi:[1,1,0] neg_lo:[0,0,1] neg_hi:[0,0,1]
	v_pk_add_f32 v[36:37], v[36:37], v[14:15] neg_lo:[0,1] neg_hi:[0,1]
	v_pk_add_f32 v[48:49], v[48:49], v[216:217] neg_lo:[0,1] neg_hi:[0,1]
	s_delay_alu instid0(VALU_DEP_4)
	v_pk_fma_f32 v[200:201], v[202:203], v[0:1], v[24:25] op_sel:[0,0,1] op_sel_hi:[1,0,0]
	v_mov_b32_e32 v23, v13
	ds_load_2addr_b64 v[12:15], v20 offset0:21 offset1:22
	s_wait_dscnt 0x2
	v_pk_mul_f32 v[196:197], v[4:5], v[2:3] op_sel:[0,1]
	v_pk_mul_f32 v[198:199], v[6:7], v[2:3] op_sel:[0,1]
	v_pk_fma_f32 v[24:25], v[202:203], v[0:1], v[24:25] op_sel:[0,0,1] op_sel_hi:[1,1,0] neg_lo:[0,0,1] neg_hi:[0,0,1]
	v_mov_b32_e32 v25, v201
	v_pk_add_f32 v[34:35], v[34:35], v[22:23] neg_lo:[0,1] neg_hi:[0,1]
	v_pk_fma_f32 v[204:205], v[4:5], v[0:1], v[196:197] op_sel:[0,0,1] op_sel_hi:[1,0,0]
	v_pk_fma_f32 v[202:203], v[6:7], v[0:1], v[198:199] op_sel:[0,0,1] op_sel_hi:[1,0,0]
	v_pk_fma_f32 v[4:5], v[4:5], v[0:1], v[196:197] op_sel:[0,0,1] op_sel_hi:[1,1,0] neg_lo:[0,0,1] neg_hi:[0,0,1]
	v_pk_fma_f32 v[6:7], v[6:7], v[0:1], v[198:199] op_sel:[0,0,1] op_sel_hi:[1,1,0] neg_lo:[0,0,1] neg_hi:[0,0,1]
	v_pk_add_f32 v[66:67], v[66:67], v[24:25] neg_lo:[0,1] neg_hi:[0,1]
	s_wait_dscnt 0x1
	v_pk_mul_f32 v[22:23], v[8:9], v[2:3] op_sel:[0,1]
	v_dual_mov_b32 v5, v205 :: v_dual_mov_b32 v7, v203
	ds_load_2addr_b64 v[196:199], v20 offset0:25 offset1:26
	v_pk_fma_f32 v[24:25], v[8:9], v[0:1], v[22:23] op_sel:[0,0,1] op_sel_hi:[1,0,0]
	v_pk_add_f32 v[62:63], v[62:63], v[4:5] neg_lo:[0,1] neg_hi:[0,1]
	v_pk_add_f32 v[64:65], v[64:65], v[6:7] neg_lo:[0,1] neg_hi:[0,1]
	ds_load_2addr_b64 v[4:7], v20 offset0:23 offset1:24
	v_pk_fma_f32 v[8:9], v[8:9], v[0:1], v[22:23] op_sel:[0,0,1] op_sel_hi:[1,1,0] neg_lo:[0,0,1] neg_hi:[0,0,1]
	v_dual_mov_b32 v22, v11 :: v_dual_mov_b32 v23, v10
	v_dual_mul_f32 v24, v11, v0 :: v_dual_mov_b32 v9, v25
	s_wait_dscnt 0x2
	v_pk_mul_f32 v[200:201], v[12:13], v[2:3] op_sel:[0,1]
	s_delay_alu instid0(VALU_DEP_2) | instskip(NEXT) | instid1(VALU_DEP_3)
	v_pk_fma_f32 v[22:23], v[22:23], v[52:53], v[24:25] op_sel_hi:[1,1,0]
	v_pk_add_f32 v[60:61], v[60:61], v[8:9] neg_lo:[0,1] neg_hi:[0,1]
	s_delay_alu instid0(VALU_DEP_3) | instskip(SKIP_3) | instid1(VALU_DEP_4)
	v_pk_fma_f32 v[24:25], v[12:13], v[0:1], v[200:201] op_sel:[0,0,1] op_sel_hi:[1,0,0]
	v_mul_f32_e32 v202, v11, v3
	v_pk_mul_f32 v[8:9], v[14:15], v[2:3] op_sel:[0,1]
	v_pk_fma_f32 v[12:13], v[12:13], v[0:1], v[200:201] op_sel:[0,0,1] op_sel_hi:[1,1,0] neg_lo:[0,0,1] neg_hi:[0,0,1]
	v_mov_b32_e32 v13, v25
	s_delay_alu instid0(VALU_DEP_4)
	v_pk_fma_f32 v[202:203], v[10:11], v[52:53], v[202:203] op_sel_hi:[1,1,0] neg_lo:[0,0,1] neg_hi:[0,0,1]
	v_mov_b32_e32 v203, v23
	v_pk_fma_f32 v[22:23], v[14:15], v[0:1], v[8:9] op_sel:[0,0,1] op_sel_hi:[1,0,0]
	v_pk_fma_f32 v[14:15], v[14:15], v[0:1], v[8:9] op_sel:[0,0,1] op_sel_hi:[1,1,0] neg_lo:[0,0,1] neg_hi:[0,0,1]
	ds_load_2addr_b64 v[8:11], v20 offset0:27 offset1:28
	s_wait_dscnt 0x1
	v_pk_mul_f32 v[24:25], v[4:5], v[2:3] op_sel:[0,1]
	v_pk_add_f32 v[84:85], v[84:85], v[12:13] neg_lo:[0,1] neg_hi:[0,1]
	v_mov_b32_e32 v15, v23
	v_pk_mul_f32 v[22:23], v[6:7], v[2:3] op_sel:[0,1]
	v_pk_add_f32 v[88:89], v[88:89], v[202:203] neg_lo:[0,1] neg_hi:[0,1]
	v_pk_fma_f32 v[12:13], v[4:5], v[0:1], v[24:25] op_sel:[0,0,1] op_sel_hi:[1,0,0]
	v_mul_f32_e32 v12, v197, v0
	v_pk_add_f32 v[86:87], v[86:87], v[14:15] neg_lo:[0,1] neg_hi:[0,1]
	v_pk_fma_f32 v[14:15], v[4:5], v[0:1], v[24:25] op_sel:[0,0,1] op_sel_hi:[1,1,0] neg_lo:[0,0,1] neg_hi:[0,0,1]
	v_pk_fma_f32 v[24:25], v[6:7], v[0:1], v[22:23] op_sel:[0,0,1] op_sel_hi:[1,0,0]
	v_pk_fma_f32 v[22:23], v[6:7], v[0:1], v[22:23] op_sel:[0,0,1] op_sel_hi:[1,1,0] neg_lo:[0,0,1] neg_hi:[0,0,1]
	ds_load_2addr_b64 v[4:7], v20 offset0:29 offset1:30
	v_mul_f32_e32 v24, v197, v3
	v_dual_mov_b32 v15, v13 :: v_dual_mov_b32 v23, v25
	v_pk_fma_f32 v[12:13], v[196:197], v[52:53], v[12:13] op_sel:[1,0,0] op_sel_hi:[0,1,0]
	s_delay_alu instid0(VALU_DEP_3)
	v_pk_fma_f32 v[24:25], v[196:197], v[52:53], v[24:25] op_sel_hi:[1,1,0] neg_lo:[0,0,1] neg_hi:[0,0,1]
	v_pk_mul_f32 v[196:197], v[198:199], v[2:3] op_sel:[0,1]
	s_wait_dscnt 0x1
	v_pk_mul_f32 v[200:201], v[8:9], v[2:3] op_sel:[0,1]
	v_pk_add_f32 v[112:113], v[112:113], v[22:23] neg_lo:[0,1] neg_hi:[0,1]
	v_pk_mul_f32 v[22:23], v[10:11], v[2:3] op_sel:[0,1]
	v_pk_add_f32 v[82:83], v[82:83], v[14:15] neg_lo:[0,1] neg_hi:[0,1]
	s_delay_alu instid0(VALU_DEP_4)
	v_pk_fma_f32 v[202:203], v[8:9], v[0:1], v[200:201] op_sel:[0,0,1] op_sel_hi:[1,0,0]
	v_mov_b32_e32 v25, v13
	ds_load_2addr_b64 v[12:15], v20 offset0:31 offset1:32
	v_pk_fma_f32 v[8:9], v[8:9], v[0:1], v[200:201] op_sel:[0,0,1] op_sel_hi:[1,1,0] neg_lo:[0,0,1] neg_hi:[0,0,1]
	v_mov_b32_e32 v9, v203
	v_pk_add_f32 v[108:109], v[108:109], v[24:25] neg_lo:[0,1] neg_hi:[0,1]
	v_pk_fma_f32 v[24:25], v[198:199], v[0:1], v[196:197] op_sel:[0,0,1] op_sel_hi:[1,0,0]
	v_pk_fma_f32 v[196:197], v[198:199], v[0:1], v[196:197] op_sel:[0,0,1] op_sel_hi:[1,1,0] neg_lo:[0,0,1] neg_hi:[0,0,1]
	v_pk_fma_f32 v[198:199], v[10:11], v[0:1], v[22:23] op_sel:[0,0,1] op_sel_hi:[1,0,0]
	v_pk_fma_f32 v[22:23], v[10:11], v[0:1], v[22:23] op_sel:[0,0,1] op_sel_hi:[1,1,0] neg_lo:[0,0,1] neg_hi:[0,0,1]
	v_pk_add_f32 v[106:107], v[106:107], v[8:9] neg_lo:[0,1] neg_hi:[0,1]
	v_mov_b32_e32 v197, v25
	s_wait_dscnt 0x1
	v_pk_mul_f32 v[24:25], v[4:5], v[2:3] op_sel:[0,1]
	v_mov_b32_e32 v23, v199
	ds_load_2addr_b64 v[8:11], v20 offset0:33 offset1:34
	v_mul_f32_e32 v200, v7, v3
	v_pk_add_f32 v[110:111], v[110:111], v[196:197] neg_lo:[0,1] neg_hi:[0,1]
	ds_load_2addr_b64 v[196:199], v20 offset0:35 offset1:36
	v_pk_add_f32 v[128:129], v[128:129], v[22:23] neg_lo:[0,1] neg_hi:[0,1]
	v_pk_fma_f32 v[22:23], v[4:5], v[0:1], v[24:25] op_sel:[0,0,1] op_sel_hi:[1,0,0]
	v_pk_fma_f32 v[4:5], v[4:5], v[0:1], v[24:25] op_sel:[0,0,1] op_sel_hi:[1,1,0] neg_lo:[0,0,1] neg_hi:[0,0,1]
	v_dual_mov_b32 v24, v7 :: v_dual_mov_b32 v25, v6
	v_mul_f32_e32 v22, v7, v0
	s_delay_alu instid0(VALU_DEP_4)
	v_mov_b32_e32 v5, v23
	s_wait_dscnt 0x2
	v_pk_mul_f32 v[202:203], v[12:13], v[2:3] op_sel:[0,1]
	v_pk_fma_f32 v[200:201], v[6:7], v[52:53], v[200:201] op_sel_hi:[1,1,0] neg_lo:[0,0,1] neg_hi:[0,0,1]
	v_pk_fma_f32 v[22:23], v[24:25], v[52:53], v[22:23] op_sel_hi:[1,1,0]
	v_pk_mul_f32 v[24:25], v[14:15], v[2:3] op_sel:[0,1]
	s_delay_alu instid0(VALU_DEP_2)
	v_mov_b32_e32 v201, v23
	v_pk_add_f32 v[124:125], v[124:125], v[4:5] neg_lo:[0,1] neg_hi:[0,1]
	v_pk_fma_f32 v[4:5], v[12:13], v[0:1], v[202:203] op_sel:[0,0,1] op_sel_hi:[1,0,0]
	v_pk_fma_f32 v[12:13], v[12:13], v[0:1], v[202:203] op_sel:[0,0,1] op_sel_hi:[1,1,0] neg_lo:[0,0,1] neg_hi:[0,0,1]
	v_pk_fma_f32 v[22:23], v[14:15], v[0:1], v[24:25] op_sel:[0,0,1] op_sel_hi:[1,0,0]
	s_wait_dscnt 0x1
	v_pk_mul_f32 v[202:203], v[8:9], v[2:3] op_sel:[0,1]
	v_pk_fma_f32 v[14:15], v[14:15], v[0:1], v[24:25] op_sel:[0,0,1] op_sel_hi:[1,1,0] neg_lo:[0,0,1] neg_hi:[0,0,1]
	v_mov_b32_e32 v13, v5
	ds_load_2addr_b64 v[4:7], v20 offset0:37 offset1:38
	v_mov_b32_e32 v15, v23
	v_pk_mul_f32 v[22:23], v[10:11], v[2:3] op_sel:[0,1]
	s_wait_dscnt 0x1
	v_mul_f32_e32 v24, v197, v0
	v_pk_add_f32 v[122:123], v[122:123], v[12:13] neg_lo:[0,1] neg_hi:[0,1]
	v_pk_fma_f32 v[12:13], v[8:9], v[0:1], v[202:203] op_sel:[0,0,1] op_sel_hi:[1,0,0]
	v_pk_fma_f32 v[8:9], v[8:9], v[0:1], v[202:203] op_sel:[0,0,1] op_sel_hi:[1,1,0] neg_lo:[0,0,1] neg_hi:[0,0,1]
	v_pk_add_f32 v[126:127], v[126:127], v[200:201] neg_lo:[0,1] neg_hi:[0,1]
	v_pk_add_f32 v[150:151], v[150:151], v[14:15] neg_lo:[0,1] neg_hi:[0,1]
	v_pk_fma_f32 v[200:201], v[10:11], v[0:1], v[22:23] op_sel:[0,0,1] op_sel_hi:[1,0,0]
	v_mov_b32_e32 v9, v13
	ds_load_2addr_b64 v[12:15], v20 offset0:39 offset1:40
	v_mul_f32_e32 v200, v197, v3
	v_pk_fma_f32 v[24:25], v[196:197], v[52:53], v[24:25] op_sel:[1,0,0] op_sel_hi:[0,1,0]
	v_pk_fma_f32 v[10:11], v[10:11], v[0:1], v[22:23] op_sel:[0,0,1] op_sel_hi:[1,1,0] neg_lo:[0,0,1] neg_hi:[0,0,1]
	v_pk_mul_f32 v[22:23], v[198:199], v[2:3] op_sel:[0,1]
	v_mov_b32_e32 v11, v201
	v_pk_fma_f32 v[196:197], v[196:197], v[52:53], v[200:201] op_sel_hi:[1,1,0] neg_lo:[0,0,1] neg_hi:[0,0,1]
	v_pk_add_f32 v[146:147], v[146:147], v[8:9] neg_lo:[0,1] neg_hi:[0,1]
	s_delay_alu instid0(VALU_DEP_4)
	v_pk_fma_f32 v[8:9], v[198:199], v[0:1], v[22:23] op_sel:[0,0,1] op_sel_hi:[1,0,0]
	v_mov_b32_e32 v197, v25
	s_wait_dscnt 0x1
	v_pk_mul_f32 v[24:25], v[4:5], v[2:3] op_sel:[0,1]
	v_pk_fma_f32 v[22:23], v[198:199], v[0:1], v[22:23] op_sel:[0,0,1] op_sel_hi:[1,1,0] neg_lo:[0,0,1] neg_hi:[0,0,1]
	v_pk_add_f32 v[148:149], v[148:149], v[10:11] neg_lo:[0,1] neg_hi:[0,1]
	v_mov_b32_e32 v23, v9
	v_pk_add_f32 v[144:145], v[144:145], v[196:197] neg_lo:[0,1] neg_hi:[0,1]
	v_pk_fma_f32 v[196:197], v[4:5], v[0:1], v[24:25] op_sel:[0,0,1] op_sel_hi:[1,0,0]
	ds_load_2addr_b64 v[8:11], v20 offset0:41 offset1:42
	v_pk_fma_f32 v[4:5], v[4:5], v[0:1], v[24:25] op_sel:[0,0,1] op_sel_hi:[1,1,0] neg_lo:[0,0,1] neg_hi:[0,0,1]
	v_pk_mul_f32 v[24:25], v[6:7], v[2:3] op_sel:[0,1]
	v_pk_add_f32 v[174:175], v[174:175], v[22:23] neg_lo:[0,1] neg_hi:[0,1]
	s_wait_dscnt 0x1
	v_dual_mov_b32 v5, v197 :: v_dual_mov_b32 v200, v15
	ds_load_2addr_b64 v[196:199], v20 offset0:43 offset1:44
	v_pk_mul_f32 v[22:23], v[12:13], v[2:3] op_sel:[0,1]
	v_mov_b32_e32 v201, v14
	v_pk_add_f32 v[166:167], v[166:167], v[4:5] neg_lo:[0,1] neg_hi:[0,1]
	v_pk_fma_f32 v[4:5], v[6:7], v[0:1], v[24:25] op_sel:[0,0,1] op_sel_hi:[1,1,0] neg_lo:[0,0,1] neg_hi:[0,0,1]
	v_pk_fma_f32 v[6:7], v[6:7], v[0:1], v[24:25] op_sel:[0,0,1] op_sel_hi:[1,0,0]
	v_pk_fma_f32 v[24:25], v[12:13], v[0:1], v[22:23] op_sel:[0,0,1] op_sel_hi:[1,0,0]
	v_mul_f32_e32 v6, v15, v0
	v_pk_fma_f32 v[12:13], v[12:13], v[0:1], v[22:23] op_sel:[0,0,1] op_sel_hi:[1,1,0] neg_lo:[0,0,1] neg_hi:[0,0,1]
	v_mul_f32_e32 v22, v15, v3
	s_delay_alu instid0(VALU_DEP_4) | instskip(NEXT) | instid1(VALU_DEP_4)
	v_dual_mov_b32 v5, v7 :: v_dual_mov_b32 v13, v25
	v_pk_fma_f32 v[6:7], v[200:201], v[52:53], v[6:7] op_sel_hi:[1,1,0]
	s_delay_alu instid0(VALU_DEP_2)
	v_pk_add_f32 v[172:173], v[172:173], v[4:5] neg_lo:[0,1] neg_hi:[0,1]
	s_wait_dscnt 0x1
	v_pk_mul_f32 v[4:5], v[8:9], v[2:3] op_sel:[0,1]
	v_pk_add_f32 v[164:165], v[164:165], v[12:13] neg_lo:[0,1] neg_hi:[0,1]
	v_pk_fma_f32 v[12:13], v[14:15], v[52:53], v[22:23] op_sel_hi:[1,1,0] neg_lo:[0,0,1] neg_hi:[0,0,1]
	v_mov_b32_e32 v13, v7
	v_pk_mul_f32 v[6:7], v[10:11], v[2:3] op_sel:[0,1]
	v_pk_fma_f32 v[14:15], v[8:9], v[0:1], v[4:5] op_sel:[0,0,1] op_sel_hi:[1,0,0]
	s_wait_dscnt 0x0
	v_pk_mul_f32 v[22:23], v[196:197], v[2:3] op_sel:[0,1]
	v_pk_mul_f32 v[2:3], v[198:199], v[2:3] op_sel:[0,1]
	v_pk_fma_f32 v[4:5], v[8:9], v[0:1], v[4:5] op_sel:[0,0,1] op_sel_hi:[1,1,0] neg_lo:[0,0,1] neg_hi:[0,0,1]
	v_pk_fma_f32 v[8:9], v[10:11], v[0:1], v[6:7] op_sel:[0,0,1] op_sel_hi:[1,0,0]
	v_mov_b32_e32 v5, v15
	v_pk_fma_f32 v[14:15], v[196:197], v[0:1], v[22:23] op_sel:[0,0,1] op_sel_hi:[1,0,0]
	v_pk_fma_f32 v[6:7], v[10:11], v[0:1], v[6:7] op_sel:[0,0,1] op_sel_hi:[1,1,0] neg_lo:[0,0,1] neg_hi:[0,0,1]
	v_pk_fma_f32 v[10:11], v[198:199], v[0:1], v[2:3] op_sel:[0,0,1] op_sel_hi:[1,0,0]
	v_mov_b32_e32 v7, v9
	v_pk_fma_f32 v[8:9], v[196:197], v[0:1], v[22:23] op_sel:[0,0,1] op_sel_hi:[1,1,0] neg_lo:[0,0,1] neg_hi:[0,0,1]
	v_pk_fma_f32 v[0:1], v[198:199], v[0:1], v[2:3] op_sel:[0,0,1] op_sel_hi:[1,1,0] neg_lo:[0,0,1] neg_hi:[0,0,1]
	s_delay_alu instid0(VALU_DEP_4) | instskip(SKIP_3) | instid1(VALU_DEP_4)
	v_dual_mov_b32 v9, v15 :: v_dual_mov_b32 v1, v11
	v_pk_add_f32 v[170:171], v[170:171], v[12:13] neg_lo:[0,1] neg_hi:[0,1]
	v_pk_add_f32 v[162:163], v[162:163], v[4:5] neg_lo:[0,1] neg_hi:[0,1]
	;; [unrolled: 1-line block ×5, first 2 shown]
.LBB89_64:
	s_or_b32 exec_lo, exec_lo, s1
	s_delay_alu instid0(SALU_CYCLE_1)
	s_mov_b32 s2, exec_lo
	s_wait_dscnt 0x0
	s_barrier_signal -1
	s_barrier_wait -1
	v_cmpx_eq_u32_e32 7, v38
	s_cbranch_execz .LBB89_71
; %bb.65:
	v_dual_mov_b32 v0, v46 :: v_dual_mov_b32 v1, v47
	v_dual_mov_b32 v2, v78 :: v_dual_mov_b32 v3, v79
	;; [unrolled: 1-line block ×10, first 2 shown]
	ds_store_b64 v39, v[48:49]
	v_dual_mov_b32 v196, v64 :: v_dual_mov_b32 v197, v65
	v_dual_mov_b32 v198, v60 :: v_dual_mov_b32 v199, v61
	ds_store_2addr_b64 v20, v[0:1], v[2:3] offset0:8 offset1:9
	ds_store_2addr_b64 v20, v[4:5], v[6:7] offset0:10 offset1:11
	;; [unrolled: 1-line block ×6, first 2 shown]
	v_dual_mov_b32 v0, v88 :: v_dual_mov_b32 v1, v89
	v_dual_mov_b32 v2, v84 :: v_dual_mov_b32 v3, v85
	;; [unrolled: 1-line block ×12, first 2 shown]
	ds_store_2addr_b64 v20, v[0:1], v[2:3] offset0:20 offset1:21
	ds_store_2addr_b64 v20, v[4:5], v[6:7] offset0:22 offset1:23
	ds_store_2addr_b64 v20, v[8:9], v[10:11] offset0:24 offset1:25
	ds_store_2addr_b64 v20, v[12:13], v[14:15] offset0:26 offset1:27
	ds_store_2addr_b64 v20, v[22:23], v[24:25] offset0:28 offset1:29
	ds_store_2addr_b64 v20, v[196:197], v[198:199] offset0:30 offset1:31
	v_dual_mov_b32 v0, v150 :: v_dual_mov_b32 v1, v151
	v_dual_mov_b32 v2, v146 :: v_dual_mov_b32 v3, v147
	;; [unrolled: 1-line block ×12, first 2 shown]
	ds_store_2addr_b64 v20, v[0:1], v[2:3] offset0:32 offset1:33
	ds_store_2addr_b64 v20, v[4:5], v[6:7] offset0:34 offset1:35
	;; [unrolled: 1-line block ×6, first 2 shown]
	ds_store_b64 v20, v[180:181] offset:352
	ds_load_b64 v[0:1], v39
	s_wait_dscnt 0x0
	v_cmp_neq_f32_e32 vcc_lo, 0, v0
	v_cmp_neq_f32_e64 s1, 0, v1
	s_or_b32 s1, vcc_lo, s1
	s_delay_alu instid0(SALU_CYCLE_1)
	s_and_b32 exec_lo, exec_lo, s1
	s_cbranch_execz .LBB89_71
; %bb.66:
	v_cmp_ngt_f32_e64 s1, |v0|, |v1|
                                        ; implicit-def: $vgpr2_vgpr3
	s_and_saveexec_b32 s4, s1
	s_delay_alu instid0(SALU_CYCLE_1)
	s_xor_b32 s1, exec_lo, s4
	s_cbranch_execz .LBB89_68
; %bb.67:
	v_div_scale_f32 v2, null, v1, v1, v0
	v_div_scale_f32 v5, vcc_lo, v0, v1, v0
	s_delay_alu instid0(VALU_DEP_2) | instskip(SKIP_1) | instid1(TRANS32_DEP_1)
	v_rcp_f32_e32 v3, v2
	v_nop
	v_fma_f32 v4, -v2, v3, 1.0
	s_delay_alu instid0(VALU_DEP_1) | instskip(NEXT) | instid1(VALU_DEP_1)
	v_fmac_f32_e32 v3, v4, v3
	v_mul_f32_e32 v4, v5, v3
	s_delay_alu instid0(VALU_DEP_1) | instskip(NEXT) | instid1(VALU_DEP_1)
	v_fma_f32 v6, -v2, v4, v5
	v_fmac_f32_e32 v4, v6, v3
	s_delay_alu instid0(VALU_DEP_1) | instskip(NEXT) | instid1(VALU_DEP_1)
	v_fma_f32 v2, -v2, v4, v5
	v_div_fmas_f32 v2, v2, v3, v4
	s_delay_alu instid0(VALU_DEP_1) | instskip(NEXT) | instid1(VALU_DEP_1)
	v_div_fixup_f32 v2, v2, v1, v0
	v_fmac_f32_e32 v1, v0, v2
	s_delay_alu instid0(VALU_DEP_1) | instskip(SKIP_1) | instid1(VALU_DEP_2)
	v_div_scale_f32 v0, null, v1, v1, 1.0
	v_div_scale_f32 v5, vcc_lo, 1.0, v1, 1.0
	v_rcp_f32_e32 v3, v0
	v_nop
	s_delay_alu instid0(TRANS32_DEP_1) | instskip(NEXT) | instid1(VALU_DEP_1)
	v_fma_f32 v4, -v0, v3, 1.0
	v_fmac_f32_e32 v3, v4, v3
	s_delay_alu instid0(VALU_DEP_1) | instskip(NEXT) | instid1(VALU_DEP_1)
	v_mul_f32_e32 v4, v5, v3
	v_fma_f32 v6, -v0, v4, v5
	s_delay_alu instid0(VALU_DEP_1) | instskip(NEXT) | instid1(VALU_DEP_1)
	v_fmac_f32_e32 v4, v6, v3
	v_fma_f32 v0, -v0, v4, v5
	s_delay_alu instid0(VALU_DEP_1) | instskip(NEXT) | instid1(VALU_DEP_1)
	v_div_fmas_f32 v0, v0, v3, v4
	v_div_fixup_f32 v0, v0, v1, 1.0
	s_delay_alu instid0(VALU_DEP_1)
	v_mul_f32_e32 v2, v2, v0
	v_xor_b32_e32 v3, 0x80000000, v0
                                        ; implicit-def: $vgpr0_vgpr1
.LBB89_68:
	s_and_not1_saveexec_b32 s1, s1
	s_cbranch_execz .LBB89_70
; %bb.69:
	v_div_scale_f32 v2, null, v0, v0, v1
	v_div_scale_f32 v5, vcc_lo, v1, v0, v1
	s_delay_alu instid0(VALU_DEP_2) | instskip(SKIP_1) | instid1(TRANS32_DEP_1)
	v_rcp_f32_e32 v3, v2
	v_nop
	v_fma_f32 v4, -v2, v3, 1.0
	s_delay_alu instid0(VALU_DEP_1) | instskip(NEXT) | instid1(VALU_DEP_1)
	v_fmac_f32_e32 v3, v4, v3
	v_mul_f32_e32 v4, v5, v3
	s_delay_alu instid0(VALU_DEP_1) | instskip(NEXT) | instid1(VALU_DEP_1)
	v_fma_f32 v6, -v2, v4, v5
	v_fmac_f32_e32 v4, v6, v3
	s_delay_alu instid0(VALU_DEP_1) | instskip(NEXT) | instid1(VALU_DEP_1)
	v_fma_f32 v2, -v2, v4, v5
	v_div_fmas_f32 v2, v2, v3, v4
	s_delay_alu instid0(VALU_DEP_1) | instskip(NEXT) | instid1(VALU_DEP_1)
	v_div_fixup_f32 v3, v2, v0, v1
	v_fmac_f32_e32 v0, v1, v3
	s_delay_alu instid0(VALU_DEP_1) | instskip(NEXT) | instid1(VALU_DEP_1)
	v_div_scale_f32 v1, null, v0, v0, 1.0
	v_rcp_f32_e32 v2, v1
	v_nop
	s_delay_alu instid0(TRANS32_DEP_1) | instskip(NEXT) | instid1(VALU_DEP_1)
	v_fma_f32 v4, -v1, v2, 1.0
	v_fmac_f32_e32 v2, v4, v2
	v_div_scale_f32 v4, vcc_lo, 1.0, v0, 1.0
	s_delay_alu instid0(VALU_DEP_1) | instskip(NEXT) | instid1(VALU_DEP_1)
	v_mul_f32_e32 v5, v4, v2
	v_fma_f32 v6, -v1, v5, v4
	s_delay_alu instid0(VALU_DEP_1) | instskip(NEXT) | instid1(VALU_DEP_1)
	v_fmac_f32_e32 v5, v6, v2
	v_fma_f32 v1, -v1, v5, v4
	s_delay_alu instid0(VALU_DEP_1) | instskip(NEXT) | instid1(VALU_DEP_1)
	v_div_fmas_f32 v1, v1, v2, v5
	v_div_fixup_f32 v2, v1, v0, 1.0
	s_delay_alu instid0(VALU_DEP_1)
	v_mul_f32_e64 v3, v3, -v2
.LBB89_70:
	s_or_b32 exec_lo, exec_lo, s1
	ds_store_b64 v39, v[2:3]
.LBB89_71:
	s_or_b32 exec_lo, exec_lo, s2
	s_wait_dscnt 0x0
	s_barrier_signal -1
	s_barrier_wait -1
	ds_load_b64 v[196:197], v39
	s_mov_b32 s1, exec_lo
	v_cmpx_lt_u32_e32 7, v38
	s_cbranch_execz .LBB89_73
; %bb.72:
	ds_load_2addr_b64 v[4:7], v20 offset0:8 offset1:9
	ds_load_2addr_b64 v[8:11], v20 offset0:10 offset1:11
	;; [unrolled: 1-line block ×3, first 2 shown]
	s_wait_dscnt 0x3
	v_pk_mul_f32 v[2:3], v[196:197], v[48:49] op_sel:[1,1] op_sel_hi:[0,1]
	ds_load_2addr_b64 v[198:201], v20 offset0:14 offset1:15
	ds_load_2addr_b64 v[202:205], v20 offset0:16 offset1:17
	v_pk_fma_f32 v[0:1], v[196:197], v[48:49], v[2:3] op_sel_hi:[1,0,1] neg_lo:[0,0,1] neg_hi:[0,0,1]
	v_pk_fma_f32 v[2:3], v[196:197], v[48:49], v[2:3] op_sel_hi:[1,0,1]
	s_delay_alu instid0(VALU_DEP_1) | instskip(SKIP_1) | instid1(VALU_DEP_2)
	v_dual_mov_b32 v48, v0 :: v_dual_mov_b32 v49, v3
	s_wait_dscnt 0x4
	v_pk_mul_f32 v[22:23], v[4:5], v[2:3] op_sel:[0,1]
	v_pk_mul_f32 v[24:25], v[6:7], v[2:3] op_sel:[0,1]
	s_wait_dscnt 0x3
	v_pk_mul_f32 v[206:207], v[8:9], v[2:3] op_sel:[0,1]
	v_dual_mov_b32 v208, v11 :: v_dual_mov_b32 v209, v10
	v_dual_mul_f32 v210, v11, v3 :: v_dual_mul_f32 v212, v11, v0
	v_pk_fma_f32 v[218:219], v[4:5], v[0:1], v[22:23] op_sel:[0,0,1] op_sel_hi:[1,1,0] neg_lo:[0,0,1] neg_hi:[0,0,1]
	v_pk_fma_f32 v[4:5], v[4:5], v[0:1], v[22:23] op_sel:[0,0,1] op_sel_hi:[1,0,0]
	v_pk_fma_f32 v[22:23], v[6:7], v[0:1], v[24:25] op_sel:[0,0,1] op_sel_hi:[1,1,0] neg_lo:[0,0,1] neg_hi:[0,0,1]
	v_pk_fma_f32 v[6:7], v[6:7], v[0:1], v[24:25] op_sel:[0,0,1] op_sel_hi:[1,0,0]
	;; [unrolled: 2-line block ×3, first 2 shown]
	v_pk_fma_f32 v[206:207], v[208:209], v[48:49], v[212:213] op_sel_hi:[1,1,0]
	s_wait_dscnt 0x2
	v_pk_mul_f32 v[214:215], v[12:13], v[2:3] op_sel:[0,1]
	v_pk_mul_f32 v[216:217], v[14:15], v[2:3] op_sel:[0,1]
	v_pk_fma_f32 v[10:11], v[10:11], v[48:49], v[210:211] op_sel_hi:[1,1,0] neg_lo:[0,0,1] neg_hi:[0,0,1]
	v_dual_mov_b32 v219, v5 :: v_dual_mov_b32 v23, v7
	v_dual_mov_b32 v25, v9 :: v_dual_mov_b32 v11, v207
	ds_load_2addr_b64 v[4:7], v20 offset0:18 offset1:19
	v_pk_fma_f32 v[8:9], v[12:13], v[0:1], v[214:215] op_sel:[0,0,1] op_sel_hi:[1,0,0]
	v_pk_add_f32 v[78:79], v[78:79], v[22:23] neg_lo:[0,1] neg_hi:[0,1]
	v_pk_fma_f32 v[22:23], v[14:15], v[0:1], v[216:217] op_sel:[0,0,1] op_sel_hi:[1,0,0]
	v_pk_add_f32 v[76:77], v[76:77], v[10:11] neg_lo:[0,1] neg_hi:[0,1]
	s_wait_dscnt 0x2
	v_pk_mul_f32 v[10:11], v[198:199], v[2:3] op_sel:[0,1]
	v_pk_fma_f32 v[12:13], v[12:13], v[0:1], v[214:215] op_sel:[0,0,1] op_sel_hi:[1,1,0] neg_lo:[0,0,1] neg_hi:[0,0,1]
	v_pk_fma_f32 v[14:15], v[14:15], v[0:1], v[216:217] op_sel:[0,0,1] op_sel_hi:[1,1,0] neg_lo:[0,0,1] neg_hi:[0,0,1]
	v_dual_mov_b32 v13, v9 :: v_dual_mov_b32 v15, v23
	v_pk_mul_f32 v[22:23], v[200:201], v[2:3] op_sel:[0,1]
	v_pk_fma_f32 v[8:9], v[198:199], v[0:1], v[10:11] op_sel:[0,0,1] op_sel_hi:[1,0,0]
	v_pk_add_f32 v[80:81], v[80:81], v[24:25] neg_lo:[0,1] neg_hi:[0,1]
	v_pk_fma_f32 v[24:25], v[198:199], v[0:1], v[10:11] op_sel:[0,0,1] op_sel_hi:[1,1,0] neg_lo:[0,0,1] neg_hi:[0,0,1]
	v_pk_add_f32 v[104:105], v[104:105], v[12:13] neg_lo:[0,1] neg_hi:[0,1]
	v_pk_fma_f32 v[12:13], v[200:201], v[0:1], v[22:23] op_sel:[0,0,1] op_sel_hi:[1,0,0]
	s_wait_dscnt 0x1
	v_dual_mov_b32 v25, v9 :: v_dual_mul_f32 v12, v203, v0
	ds_load_2addr_b64 v[8:11], v20 offset0:20 offset1:21
	v_pk_add_f32 v[102:103], v[102:103], v[14:15] neg_lo:[0,1] neg_hi:[0,1]
	v_pk_fma_f32 v[14:15], v[200:201], v[0:1], v[22:23] op_sel:[0,0,1] op_sel_hi:[1,1,0] neg_lo:[0,0,1] neg_hi:[0,0,1]
	v_dual_mov_b32 v15, v13 :: v_dual_mul_f32 v22, v203, v3
	v_pk_add_f32 v[36:37], v[36:37], v[24:25] neg_lo:[0,1] neg_hi:[0,1]
	v_pk_mul_f32 v[24:25], v[204:205], v[2:3] op_sel:[0,1]
	v_pk_fma_f32 v[12:13], v[202:203], v[48:49], v[12:13] op_sel:[1,0,0] op_sel_hi:[0,1,0]
	s_wait_dscnt 0x1
	v_pk_mul_f32 v[198:199], v[4:5], v[2:3] op_sel:[0,1]
	v_pk_fma_f32 v[22:23], v[202:203], v[48:49], v[22:23] op_sel_hi:[1,1,0] neg_lo:[0,0,1] neg_hi:[0,0,1]
	v_pk_add_f32 v[34:35], v[34:35], v[14:15] neg_lo:[0,1] neg_hi:[0,1]
	v_pk_fma_f32 v[200:201], v[204:205], v[0:1], v[24:25] op_sel:[0,0,1] op_sel_hi:[1,0,0]
	v_mov_b32_e32 v23, v13
	ds_load_2addr_b64 v[12:15], v20 offset0:22 offset1:23
	v_pk_fma_f32 v[202:203], v[4:5], v[0:1], v[198:199] op_sel:[0,0,1] op_sel_hi:[1,0,0]
	v_pk_fma_f32 v[4:5], v[4:5], v[0:1], v[198:199] op_sel:[0,0,1] op_sel_hi:[1,1,0] neg_lo:[0,0,1] neg_hi:[0,0,1]
	v_pk_mul_f32 v[198:199], v[6:7], v[2:3] op_sel:[0,1]
	v_pk_fma_f32 v[24:25], v[204:205], v[0:1], v[24:25] op_sel:[0,0,1] op_sel_hi:[1,1,0] neg_lo:[0,0,1] neg_hi:[0,0,1]
	v_mov_b32_e32 v25, v201
	v_pk_add_f32 v[66:67], v[66:67], v[22:23] neg_lo:[0,1] neg_hi:[0,1]
	s_wait_dscnt 0x1
	v_pk_mul_f32 v[200:201], v[8:9], v[2:3] op_sel:[0,1]
	v_pk_fma_f32 v[22:23], v[6:7], v[0:1], v[198:199] op_sel:[0,0,1] op_sel_hi:[1,0,0]
	v_mov_b32_e32 v5, v203
	v_pk_fma_f32 v[198:199], v[6:7], v[0:1], v[198:199] op_sel:[0,0,1] op_sel_hi:[1,1,0] neg_lo:[0,0,1] neg_hi:[0,0,1]
	v_pk_add_f32 v[62:63], v[62:63], v[24:25] neg_lo:[0,1] neg_hi:[0,1]
	v_pk_fma_f32 v[24:25], v[8:9], v[0:1], v[200:201] op_sel:[0,0,1] op_sel_hi:[1,0,0]
	v_mov_b32_e32 v199, v23
	v_pk_add_f32 v[64:65], v[64:65], v[4:5] neg_lo:[0,1] neg_hi:[0,1]
	ds_load_2addr_b64 v[4:7], v20 offset0:24 offset1:25
	v_pk_fma_f32 v[8:9], v[8:9], v[0:1], v[200:201] op_sel:[0,0,1] op_sel_hi:[1,1,0] neg_lo:[0,0,1] neg_hi:[0,0,1]
	v_dual_mov_b32 v9, v25 :: v_dual_mov_b32 v22, v11
	v_dual_mov_b32 v23, v10 :: v_dual_mul_f32 v24, v11, v0
	s_wait_dscnt 0x1
	v_pk_mul_f32 v[202:203], v[12:13], v[2:3] op_sel:[0,1]
	v_pk_add_f32 v[60:61], v[60:61], v[198:199] neg_lo:[0,1] neg_hi:[0,1]
	v_pk_add_f32 v[88:89], v[88:89], v[8:9] neg_lo:[0,1] neg_hi:[0,1]
	ds_load_2addr_b64 v[198:201], v20 offset0:26 offset1:27
	v_pk_fma_f32 v[22:23], v[22:23], v[48:49], v[24:25] op_sel_hi:[1,1,0]
	v_pk_fma_f32 v[24:25], v[12:13], v[0:1], v[202:203] op_sel:[0,0,1] op_sel_hi:[1,0,0]
	v_mul_f32_e32 v8, v11, v3
	v_pk_mul_f32 v[204:205], v[14:15], v[2:3] op_sel:[0,1]
	v_pk_fma_f32 v[12:13], v[12:13], v[0:1], v[202:203] op_sel:[0,0,1] op_sel_hi:[1,1,0] neg_lo:[0,0,1] neg_hi:[0,0,1]
	v_pk_add_f32 v[46:47], v[46:47], v[218:219] neg_lo:[0,1] neg_hi:[0,1]
	v_mov_b32_e32 v13, v25
	v_pk_fma_f32 v[206:207], v[10:11], v[48:49], v[8:9] op_sel_hi:[1,1,0] neg_lo:[0,0,1] neg_hi:[0,0,1]
	v_mov_b32_e32 v207, v23
	v_pk_fma_f32 v[22:23], v[14:15], v[0:1], v[204:205] op_sel:[0,0,1] op_sel_hi:[1,0,0]
	s_wait_dscnt 0x1
	v_pk_mul_f32 v[24:25], v[4:5], v[2:3] op_sel:[0,1]
	ds_load_2addr_b64 v[8:11], v20 offset0:28 offset1:29
	v_pk_fma_f32 v[14:15], v[14:15], v[0:1], v[204:205] op_sel:[0,0,1] op_sel_hi:[1,1,0] neg_lo:[0,0,1] neg_hi:[0,0,1]
	v_pk_add_f32 v[86:87], v[86:87], v[12:13] neg_lo:[0,1] neg_hi:[0,1]
	v_mov_b32_e32 v15, v23
	v_pk_mul_f32 v[22:23], v[6:7], v[2:3] op_sel:[0,1]
	v_pk_fma_f32 v[202:203], v[4:5], v[0:1], v[24:25] op_sel:[0,0,1] op_sel_hi:[1,0,0]
	v_pk_fma_f32 v[4:5], v[4:5], v[0:1], v[24:25] op_sel:[0,0,1] op_sel_hi:[1,1,0] neg_lo:[0,0,1] neg_hi:[0,0,1]
	v_pk_add_f32 v[84:85], v[84:85], v[206:207] neg_lo:[0,1] neg_hi:[0,1]
	v_pk_add_f32 v[82:83], v[82:83], v[14:15] neg_lo:[0,1] neg_hi:[0,1]
	v_pk_fma_f32 v[24:25], v[6:7], v[0:1], v[22:23] op_sel:[0,0,1] op_sel_hi:[1,0,0]
	v_mov_b32_e32 v5, v203
	ds_load_2addr_b64 v[12:15], v20 offset0:30 offset1:31
	v_pk_fma_f32 v[6:7], v[6:7], v[0:1], v[22:23] op_sel:[0,0,1] op_sel_hi:[1,1,0] neg_lo:[0,0,1] neg_hi:[0,0,1]
	s_wait_dscnt 0x2
	v_dual_mul_f32 v22, v199, v0 :: v_dual_mul_f32 v24, v199, v3
	v_mov_b32_e32 v7, v25
	v_pk_add_f32 v[112:113], v[112:113], v[4:5] neg_lo:[0,1] neg_hi:[0,1]
	v_pk_mul_f32 v[4:5], v[200:201], v[2:3] op_sel:[0,1]
	s_delay_alu instid0(VALU_DEP_4)
	v_pk_fma_f32 v[22:23], v[198:199], v[48:49], v[22:23] op_sel:[1,0,0] op_sel_hi:[0,1,0]
	v_pk_fma_f32 v[24:25], v[198:199], v[48:49], v[24:25] op_sel_hi:[1,1,0] neg_lo:[0,0,1] neg_hi:[0,0,1]
	v_pk_add_f32 v[108:109], v[108:109], v[6:7] neg_lo:[0,1] neg_hi:[0,1]
	s_wait_dscnt 0x1
	v_pk_mul_f32 v[202:203], v[8:9], v[2:3] op_sel:[0,1]
	v_pk_fma_f32 v[6:7], v[200:201], v[0:1], v[4:5] op_sel:[0,0,1] op_sel_hi:[1,0,0]
	v_mov_b32_e32 v25, v23
	v_pk_fma_f32 v[22:23], v[200:201], v[0:1], v[4:5] op_sel:[0,0,1] op_sel_hi:[1,1,0] neg_lo:[0,0,1] neg_hi:[0,0,1]
	v_pk_mul_f32 v[200:201], v[10:11], v[2:3] op_sel:[0,1]
	v_pk_fma_f32 v[198:199], v[8:9], v[0:1], v[202:203] op_sel:[0,0,1] op_sel_hi:[1,0,0]
	v_mov_b32_e32 v23, v7
	ds_load_2addr_b64 v[4:7], v20 offset0:32 offset1:33
	v_pk_fma_f32 v[8:9], v[8:9], v[0:1], v[202:203] op_sel:[0,0,1] op_sel_hi:[1,1,0] neg_lo:[0,0,1] neg_hi:[0,0,1]
	v_pk_add_f32 v[110:111], v[110:111], v[24:25] neg_lo:[0,1] neg_hi:[0,1]
	v_pk_fma_f32 v[24:25], v[10:11], v[0:1], v[200:201] op_sel:[0,0,1] op_sel_hi:[1,0,0]
	v_mov_b32_e32 v9, v199
	s_wait_dscnt 0x1
	v_pk_mul_f32 v[198:199], v[12:13], v[2:3] op_sel:[0,1]
	v_pk_add_f32 v[106:107], v[106:107], v[22:23] neg_lo:[0,1] neg_hi:[0,1]
	v_pk_fma_f32 v[200:201], v[10:11], v[0:1], v[200:201] op_sel:[0,0,1] op_sel_hi:[1,1,0] neg_lo:[0,0,1] neg_hi:[0,0,1]
	v_mov_b32_e32 v201, v25
	v_pk_add_f32 v[128:129], v[128:129], v[8:9] neg_lo:[0,1] neg_hi:[0,1]
	v_pk_fma_f32 v[22:23], v[12:13], v[0:1], v[198:199] op_sel:[0,0,1] op_sel_hi:[1,0,0]
	v_pk_fma_f32 v[12:13], v[12:13], v[0:1], v[198:199] op_sel:[0,0,1] op_sel_hi:[1,1,0] neg_lo:[0,0,1] neg_hi:[0,0,1]
	ds_load_2addr_b64 v[8:11], v20 offset0:34 offset1:35
	v_dual_mov_b32 v22, v15 :: v_dual_mul_f32 v24, v15, v0
	v_dual_mov_b32 v13, v23 :: v_dual_mov_b32 v23, v14
	v_pk_add_f32 v[124:125], v[124:125], v[200:201] neg_lo:[0,1] neg_hi:[0,1]
	ds_load_2addr_b64 v[198:201], v20 offset0:36 offset1:37
	v_pk_add_f32 v[126:127], v[126:127], v[12:13] neg_lo:[0,1] neg_hi:[0,1]
	s_wait_dscnt 0x2
	v_pk_mul_f32 v[12:13], v[4:5], v[2:3] op_sel:[0,1]
	v_pk_fma_f32 v[22:23], v[22:23], v[48:49], v[24:25] op_sel_hi:[1,1,0]
	v_pk_mul_f32 v[24:25], v[6:7], v[2:3] op_sel:[0,1]
	s_delay_alu instid0(VALU_DEP_3) | instskip(SKIP_2) | instid1(VALU_DEP_3)
	v_pk_fma_f32 v[204:205], v[4:5], v[0:1], v[12:13] op_sel:[0,0,1] op_sel_hi:[1,0,0]
	v_mul_f32_e32 v202, v15, v3
	v_pk_fma_f32 v[12:13], v[4:5], v[0:1], v[12:13] op_sel:[0,0,1] op_sel_hi:[1,1,0] neg_lo:[0,0,1] neg_hi:[0,0,1]
	v_mov_b32_e32 v13, v205
	s_delay_alu instid0(VALU_DEP_3)
	v_pk_fma_f32 v[14:15], v[14:15], v[48:49], v[202:203] op_sel_hi:[1,1,0] neg_lo:[0,0,1] neg_hi:[0,0,1]
	v_mov_b32_e32 v15, v23
	v_pk_fma_f32 v[22:23], v[6:7], v[0:1], v[24:25] op_sel:[0,0,1] op_sel_hi:[1,0,0]
	v_pk_fma_f32 v[24:25], v[6:7], v[0:1], v[24:25] op_sel:[0,0,1] op_sel_hi:[1,1,0] neg_lo:[0,0,1] neg_hi:[0,0,1]
	ds_load_2addr_b64 v[4:7], v20 offset0:38 offset1:39
	s_wait_dscnt 0x2
	v_pk_mul_f32 v[202:203], v[8:9], v[2:3] op_sel:[0,1]
	v_pk_add_f32 v[150:151], v[150:151], v[12:13] neg_lo:[0,1] neg_hi:[0,1]
	v_mov_b32_e32 v25, v23
	v_pk_mul_f32 v[22:23], v[10:11], v[2:3] op_sel:[0,1]
	v_pk_add_f32 v[122:123], v[122:123], v[14:15] neg_lo:[0,1] neg_hi:[0,1]
	v_pk_fma_f32 v[14:15], v[8:9], v[0:1], v[202:203] op_sel:[0,0,1] op_sel_hi:[1,0,0]
	s_delay_alu instid0(VALU_DEP_4) | instskip(SKIP_2) | instid1(VALU_DEP_4)
	v_pk_add_f32 v[146:147], v[146:147], v[24:25] neg_lo:[0,1] neg_hi:[0,1]
	v_pk_fma_f32 v[24:25], v[8:9], v[0:1], v[202:203] op_sel:[0,0,1] op_sel_hi:[1,1,0] neg_lo:[0,0,1] neg_hi:[0,0,1]
	v_pk_fma_f32 v[12:13], v[10:11], v[0:1], v[22:23] op_sel:[0,0,1] op_sel_hi:[1,0,0]
	v_mov_b32_e32 v25, v15
	v_pk_fma_f32 v[14:15], v[10:11], v[0:1], v[22:23] op_sel:[0,0,1] op_sel_hi:[1,1,0] neg_lo:[0,0,1] neg_hi:[0,0,1]
	ds_load_2addr_b64 v[8:11], v20 offset0:40 offset1:41
	s_wait_dscnt 0x2
	v_dual_mul_f32 v12, v199, v0 :: v_dual_mul_f32 v22, v199, v3
	v_mov_b32_e32 v15, v13
	v_pk_add_f32 v[148:149], v[148:149], v[24:25] neg_lo:[0,1] neg_hi:[0,1]
	v_pk_mul_f32 v[24:25], v[200:201], v[2:3] op_sel:[0,1]
	s_delay_alu instid0(VALU_DEP_4)
	v_pk_fma_f32 v[12:13], v[198:199], v[48:49], v[12:13] op_sel:[1,0,0] op_sel_hi:[0,1,0]
	v_pk_fma_f32 v[22:23], v[198:199], v[48:49], v[22:23] op_sel_hi:[1,1,0] neg_lo:[0,0,1] neg_hi:[0,0,1]
	s_wait_dscnt 0x1
	v_pk_mul_f32 v[198:199], v[4:5], v[2:3] op_sel:[0,1]
	v_pk_add_f32 v[144:145], v[144:145], v[14:15] neg_lo:[0,1] neg_hi:[0,1]
	v_pk_fma_f32 v[202:203], v[200:201], v[0:1], v[24:25] op_sel:[0,0,1] op_sel_hi:[1,0,0]
	v_mov_b32_e32 v23, v13
	v_pk_mul_f32 v[204:205], v[6:7], v[2:3] op_sel:[0,1]
	v_pk_fma_f32 v[24:25], v[200:201], v[0:1], v[24:25] op_sel:[0,0,1] op_sel_hi:[1,1,0] neg_lo:[0,0,1] neg_hi:[0,0,1]
	v_pk_fma_f32 v[200:201], v[4:5], v[0:1], v[198:199] op_sel:[0,0,1] op_sel_hi:[1,0,0]
	ds_load_2addr_b64 v[12:15], v20 offset0:42 offset1:43
	v_pk_fma_f32 v[4:5], v[4:5], v[0:1], v[198:199] op_sel:[0,0,1] op_sel_hi:[1,1,0] neg_lo:[0,0,1] neg_hi:[0,0,1]
	ds_load_b64 v[198:199], v20 offset:352
	v_mov_b32_e32 v25, v203
	v_pk_fma_f32 v[202:203], v[6:7], v[0:1], v[204:205] op_sel:[0,0,1] op_sel_hi:[1,0,0]
	v_mov_b32_e32 v5, v201
	v_pk_fma_f32 v[6:7], v[6:7], v[0:1], v[204:205] op_sel:[0,0,1] op_sel_hi:[1,1,0] neg_lo:[0,0,1] neg_hi:[0,0,1]
	s_wait_dscnt 0x2
	v_pk_mul_f32 v[200:201], v[8:9], v[2:3] op_sel:[0,1]
	v_pk_add_f32 v[174:175], v[174:175], v[22:23] neg_lo:[0,1] neg_hi:[0,1]
	v_mov_b32_e32 v7, v203
	v_pk_add_f32 v[172:173], v[172:173], v[4:5] neg_lo:[0,1] neg_hi:[0,1]
	v_mul_f32_e32 v22, v11, v3
	v_pk_fma_f32 v[4:5], v[8:9], v[0:1], v[200:201] op_sel:[0,0,1] op_sel_hi:[1,0,0]
	v_mul_f32_e32 v4, v11, v0
	v_pk_add_f32 v[164:165], v[164:165], v[6:7] neg_lo:[0,1] neg_hi:[0,1]
	v_dual_mov_b32 v6, v11 :: v_dual_mov_b32 v7, v10
	v_pk_fma_f32 v[8:9], v[8:9], v[0:1], v[200:201] op_sel:[0,0,1] op_sel_hi:[1,1,0] neg_lo:[0,0,1] neg_hi:[0,0,1]
	v_pk_add_f32 v[166:167], v[166:167], v[24:25] neg_lo:[0,1] neg_hi:[0,1]
	v_mov_b32_e32 v9, v5
	s_wait_dscnt 0x1
	v_pk_mul_f32 v[24:25], v[12:13], v[2:3] op_sel:[0,1]
	v_pk_fma_f32 v[4:5], v[6:7], v[48:49], v[4:5] op_sel_hi:[1,1,0]
	v_pk_mul_f32 v[6:7], v[14:15], v[2:3] op_sel:[0,1]
	s_wait_dscnt 0x0
	v_pk_mul_f32 v[2:3], v[198:199], v[2:3] op_sel:[0,1]
	v_pk_fma_f32 v[10:11], v[10:11], v[48:49], v[22:23] op_sel_hi:[1,1,0] neg_lo:[0,0,1] neg_hi:[0,0,1]
	v_pk_fma_f32 v[22:23], v[12:13], v[0:1], v[24:25] op_sel:[0,0,1] op_sel_hi:[1,0,0]
	v_mov_b32_e32 v11, v5
	v_pk_fma_f32 v[4:5], v[14:15], v[0:1], v[6:7] op_sel:[0,0,1] op_sel_hi:[1,0,0]
	v_pk_fma_f32 v[12:13], v[12:13], v[0:1], v[24:25] op_sel:[0,0,1] op_sel_hi:[1,1,0] neg_lo:[0,0,1] neg_hi:[0,0,1]
	v_pk_fma_f32 v[24:25], v[198:199], v[0:1], v[2:3] op_sel:[0,0,1] op_sel_hi:[1,0,0]
	v_pk_fma_f32 v[6:7], v[14:15], v[0:1], v[6:7] op_sel:[0,0,1] op_sel_hi:[1,1,0] neg_lo:[0,0,1] neg_hi:[0,0,1]
	v_pk_fma_f32 v[0:1], v[198:199], v[0:1], v[2:3] op_sel:[0,0,1] op_sel_hi:[1,1,0] neg_lo:[0,0,1] neg_hi:[0,0,1]
	v_dual_mov_b32 v13, v23 :: v_dual_mov_b32 v7, v5
	s_delay_alu instid0(VALU_DEP_4) | instskip(SKIP_2) | instid1(VALU_DEP_4)
	v_mov_b32_e32 v1, v25
	v_pk_add_f32 v[170:171], v[170:171], v[8:9] neg_lo:[0,1] neg_hi:[0,1]
	v_pk_add_f32 v[162:163], v[162:163], v[10:11] neg_lo:[0,1] neg_hi:[0,1]
	;; [unrolled: 1-line block ×5, first 2 shown]
.LBB89_73:
	s_or_b32 exec_lo, exec_lo, s1
	s_delay_alu instid0(SALU_CYCLE_1)
	s_mov_b32 s2, exec_lo
	s_wait_dscnt 0x0
	s_barrier_signal -1
	s_barrier_wait -1
	v_cmpx_eq_u32_e32 8, v38
	s_cbranch_execz .LBB89_80
; %bb.74:
	ds_store_b64 v39, v[46:47]
	ds_store_2addr_b64 v20, v[78:79], v[80:81] offset0:9 offset1:10
	ds_store_2addr_b64 v20, v[76:77], v[104:105] offset0:11 offset1:12
	;; [unrolled: 1-line block ×18, first 2 shown]
	ds_load_b64 v[0:1], v39
	s_wait_dscnt 0x0
	v_cmp_neq_f32_e32 vcc_lo, 0, v0
	v_cmp_neq_f32_e64 s1, 0, v1
	s_or_b32 s1, vcc_lo, s1
	s_delay_alu instid0(SALU_CYCLE_1)
	s_and_b32 exec_lo, exec_lo, s1
	s_cbranch_execz .LBB89_80
; %bb.75:
	v_cmp_ngt_f32_e64 s1, |v0|, |v1|
                                        ; implicit-def: $vgpr2_vgpr3
	s_and_saveexec_b32 s4, s1
	s_delay_alu instid0(SALU_CYCLE_1)
	s_xor_b32 s1, exec_lo, s4
	s_cbranch_execz .LBB89_77
; %bb.76:
	v_div_scale_f32 v2, null, v1, v1, v0
	v_div_scale_f32 v5, vcc_lo, v0, v1, v0
	s_delay_alu instid0(VALU_DEP_2) | instskip(SKIP_1) | instid1(TRANS32_DEP_1)
	v_rcp_f32_e32 v3, v2
	v_nop
	v_fma_f32 v4, -v2, v3, 1.0
	s_delay_alu instid0(VALU_DEP_1) | instskip(NEXT) | instid1(VALU_DEP_1)
	v_fmac_f32_e32 v3, v4, v3
	v_mul_f32_e32 v4, v5, v3
	s_delay_alu instid0(VALU_DEP_1) | instskip(NEXT) | instid1(VALU_DEP_1)
	v_fma_f32 v6, -v2, v4, v5
	v_fmac_f32_e32 v4, v6, v3
	s_delay_alu instid0(VALU_DEP_1) | instskip(NEXT) | instid1(VALU_DEP_1)
	v_fma_f32 v2, -v2, v4, v5
	v_div_fmas_f32 v2, v2, v3, v4
	s_delay_alu instid0(VALU_DEP_1) | instskip(NEXT) | instid1(VALU_DEP_1)
	v_div_fixup_f32 v2, v2, v1, v0
	v_fmac_f32_e32 v1, v0, v2
	s_delay_alu instid0(VALU_DEP_1) | instskip(SKIP_1) | instid1(VALU_DEP_2)
	v_div_scale_f32 v0, null, v1, v1, 1.0
	v_div_scale_f32 v5, vcc_lo, 1.0, v1, 1.0
	v_rcp_f32_e32 v3, v0
	v_nop
	s_delay_alu instid0(TRANS32_DEP_1) | instskip(NEXT) | instid1(VALU_DEP_1)
	v_fma_f32 v4, -v0, v3, 1.0
	v_fmac_f32_e32 v3, v4, v3
	s_delay_alu instid0(VALU_DEP_1) | instskip(NEXT) | instid1(VALU_DEP_1)
	v_mul_f32_e32 v4, v5, v3
	v_fma_f32 v6, -v0, v4, v5
	s_delay_alu instid0(VALU_DEP_1) | instskip(NEXT) | instid1(VALU_DEP_1)
	v_fmac_f32_e32 v4, v6, v3
	v_fma_f32 v0, -v0, v4, v5
	s_delay_alu instid0(VALU_DEP_1) | instskip(NEXT) | instid1(VALU_DEP_1)
	v_div_fmas_f32 v0, v0, v3, v4
	v_div_fixup_f32 v0, v0, v1, 1.0
	s_delay_alu instid0(VALU_DEP_1)
	v_mul_f32_e32 v2, v2, v0
	v_xor_b32_e32 v3, 0x80000000, v0
                                        ; implicit-def: $vgpr0_vgpr1
.LBB89_77:
	s_and_not1_saveexec_b32 s1, s1
	s_cbranch_execz .LBB89_79
; %bb.78:
	v_div_scale_f32 v2, null, v0, v0, v1
	v_div_scale_f32 v5, vcc_lo, v1, v0, v1
	s_delay_alu instid0(VALU_DEP_2) | instskip(SKIP_1) | instid1(TRANS32_DEP_1)
	v_rcp_f32_e32 v3, v2
	v_nop
	v_fma_f32 v4, -v2, v3, 1.0
	s_delay_alu instid0(VALU_DEP_1) | instskip(NEXT) | instid1(VALU_DEP_1)
	v_fmac_f32_e32 v3, v4, v3
	v_mul_f32_e32 v4, v5, v3
	s_delay_alu instid0(VALU_DEP_1) | instskip(NEXT) | instid1(VALU_DEP_1)
	v_fma_f32 v6, -v2, v4, v5
	v_fmac_f32_e32 v4, v6, v3
	s_delay_alu instid0(VALU_DEP_1) | instskip(NEXT) | instid1(VALU_DEP_1)
	v_fma_f32 v2, -v2, v4, v5
	v_div_fmas_f32 v2, v2, v3, v4
	s_delay_alu instid0(VALU_DEP_1) | instskip(NEXT) | instid1(VALU_DEP_1)
	v_div_fixup_f32 v3, v2, v0, v1
	v_fmac_f32_e32 v0, v1, v3
	s_delay_alu instid0(VALU_DEP_1) | instskip(NEXT) | instid1(VALU_DEP_1)
	v_div_scale_f32 v1, null, v0, v0, 1.0
	v_rcp_f32_e32 v2, v1
	v_nop
	s_delay_alu instid0(TRANS32_DEP_1) | instskip(NEXT) | instid1(VALU_DEP_1)
	v_fma_f32 v4, -v1, v2, 1.0
	v_fmac_f32_e32 v2, v4, v2
	v_div_scale_f32 v4, vcc_lo, 1.0, v0, 1.0
	s_delay_alu instid0(VALU_DEP_1) | instskip(NEXT) | instid1(VALU_DEP_1)
	v_mul_f32_e32 v5, v4, v2
	v_fma_f32 v6, -v1, v5, v4
	s_delay_alu instid0(VALU_DEP_1) | instskip(NEXT) | instid1(VALU_DEP_1)
	v_fmac_f32_e32 v5, v6, v2
	v_fma_f32 v1, -v1, v5, v4
	s_delay_alu instid0(VALU_DEP_1) | instskip(NEXT) | instid1(VALU_DEP_1)
	v_div_fmas_f32 v1, v1, v2, v5
	v_div_fixup_f32 v2, v1, v0, 1.0
	s_delay_alu instid0(VALU_DEP_1)
	v_mul_f32_e64 v3, v3, -v2
.LBB89_79:
	s_or_b32 exec_lo, exec_lo, s1
	ds_store_b64 v39, v[2:3]
.LBB89_80:
	s_or_b32 exec_lo, exec_lo, s2
	s_wait_dscnt 0x0
	s_barrier_signal -1
	s_barrier_wait -1
	ds_load_b64 v[198:199], v39
	s_mov_b32 s1, exec_lo
	v_cmpx_lt_u32_e32 8, v38
	s_cbranch_execz .LBB89_82
; %bb.81:
	ds_load_2addr_b64 v[4:7], v20 offset0:9 offset1:10
	ds_load_2addr_b64 v[8:11], v20 offset0:11 offset1:12
	;; [unrolled: 1-line block ×3, first 2 shown]
	s_wait_dscnt 0x3
	v_pk_mul_f32 v[2:3], v[198:199], v[46:47] op_sel:[1,1] op_sel_hi:[0,1]
	ds_load_2addr_b64 v[200:203], v20 offset0:15 offset1:16
	ds_load_2addr_b64 v[204:207], v20 offset0:17 offset1:18
	v_pk_fma_f32 v[0:1], v[198:199], v[46:47], v[2:3] op_sel_hi:[1,0,1] neg_lo:[0,0,1] neg_hi:[0,0,1]
	v_pk_fma_f32 v[2:3], v[198:199], v[46:47], v[2:3] op_sel_hi:[1,0,1]
	s_delay_alu instid0(VALU_DEP_1) | instskip(SKIP_1) | instid1(VALU_DEP_2)
	v_dual_mov_b32 v46, v0 :: v_dual_mov_b32 v47, v3
	s_wait_dscnt 0x4
	v_pk_mul_f32 v[22:23], v[4:5], v[2:3] op_sel:[0,1]
	v_pk_mul_f32 v[24:25], v[6:7], v[2:3] op_sel:[0,1]
	s_wait_dscnt 0x3
	v_pk_mul_f32 v[208:209], v[8:9], v[2:3] op_sel:[0,1]
	s_wait_dscnt 0x2
	v_pk_mul_f32 v[216:217], v[12:13], v[2:3] op_sel:[0,1]
	v_dual_mov_b32 v210, v11 :: v_dual_mov_b32 v211, v10
	v_pk_fma_f32 v[222:223], v[4:5], v[0:1], v[22:23] op_sel:[0,0,1] op_sel_hi:[1,1,0] neg_lo:[0,0,1] neg_hi:[0,0,1]
	v_pk_fma_f32 v[4:5], v[4:5], v[0:1], v[22:23] op_sel:[0,0,1] op_sel_hi:[1,0,0]
	v_pk_fma_f32 v[22:23], v[6:7], v[0:1], v[24:25] op_sel:[0,0,1] op_sel_hi:[1,1,0] neg_lo:[0,0,1] neg_hi:[0,0,1]
	v_pk_fma_f32 v[6:7], v[6:7], v[0:1], v[24:25] op_sel:[0,0,1] op_sel_hi:[1,0,0]
	v_dual_mul_f32 v212, v11, v3 :: v_dual_mul_f32 v214, v11, v0
	v_pk_mul_f32 v[218:219], v[14:15], v[2:3] op_sel:[0,1]
	v_pk_fma_f32 v[24:25], v[8:9], v[0:1], v[208:209] op_sel:[0,0,1] op_sel_hi:[1,1,0] neg_lo:[0,0,1] neg_hi:[0,0,1]
	v_pk_fma_f32 v[8:9], v[8:9], v[0:1], v[208:209] op_sel:[0,0,1] op_sel_hi:[1,0,0]
	s_wait_dscnt 0x1
	v_pk_mul_f32 v[220:221], v[200:201], v[2:3] op_sel:[0,1]
	v_dual_mov_b32 v223, v5 :: v_dual_mov_b32 v23, v7
	v_pk_fma_f32 v[4:5], v[12:13], v[0:1], v[216:217] op_sel:[0,0,1] op_sel_hi:[1,0,0]
	v_pk_fma_f32 v[208:209], v[210:211], v[46:47], v[214:215] op_sel_hi:[1,1,0]
	v_mov_b32_e32 v25, v9
	v_pk_fma_f32 v[8:9], v[12:13], v[0:1], v[216:217] op_sel:[0,0,1] op_sel_hi:[1,1,0] neg_lo:[0,0,1] neg_hi:[0,0,1]
	v_pk_fma_f32 v[12:13], v[14:15], v[0:1], v[218:219] op_sel:[0,0,1] op_sel_hi:[1,0,0]
	v_pk_add_f32 v[80:81], v[80:81], v[22:23] neg_lo:[0,1] neg_hi:[0,1]
	v_pk_fma_f32 v[22:23], v[200:201], v[0:1], v[220:221] op_sel:[0,0,1] op_sel_hi:[1,0,0]
	v_mov_b32_e32 v9, v5
	ds_load_2addr_b64 v[4:7], v20 offset0:19 offset1:20
	v_pk_fma_f32 v[14:15], v[14:15], v[0:1], v[218:219] op_sel:[0,0,1] op_sel_hi:[1,1,0] neg_lo:[0,0,1] neg_hi:[0,0,1]
	v_mov_b32_e32 v15, v13
	v_pk_fma_f32 v[12:13], v[200:201], v[0:1], v[220:221] op_sel:[0,0,1] op_sel_hi:[1,1,0] neg_lo:[0,0,1] neg_hi:[0,0,1]
	v_mov_b32_e32 v13, v23
	v_pk_fma_f32 v[10:11], v[10:11], v[46:47], v[212:213] op_sel_hi:[1,1,0] neg_lo:[0,0,1] neg_hi:[0,0,1]
	v_pk_mul_f32 v[22:23], v[202:203], v[2:3] op_sel:[0,1]
	v_mov_b32_e32 v11, v209
	v_pk_add_f32 v[76:77], v[76:77], v[24:25] neg_lo:[0,1] neg_hi:[0,1]
	v_pk_add_f32 v[34:35], v[34:35], v[12:13] neg_lo:[0,1] neg_hi:[0,1]
	s_wait_dscnt 0x1
	v_mul_f32_e32 v12, v205, v0
	v_pk_mul_f32 v[24:25], v[206:207], v[2:3] op_sel:[0,1]
	v_pk_add_f32 v[36:37], v[36:37], v[14:15] neg_lo:[0,1] neg_hi:[0,1]
	v_pk_fma_f32 v[14:15], v[202:203], v[0:1], v[22:23] op_sel:[0,0,1] op_sel_hi:[1,0,0]
	v_pk_add_f32 v[104:105], v[104:105], v[10:11] neg_lo:[0,1] neg_hi:[0,1]
	v_pk_add_f32 v[102:103], v[102:103], v[8:9] neg_lo:[0,1] neg_hi:[0,1]
	v_mul_f32_e32 v14, v205, v3
	ds_load_2addr_b64 v[8:11], v20 offset0:21 offset1:22
	v_pk_fma_f32 v[12:13], v[204:205], v[46:47], v[12:13] op_sel:[1,0,0] op_sel_hi:[0,1,0]
	v_pk_fma_f32 v[200:201], v[206:207], v[0:1], v[24:25] op_sel:[0,0,1] op_sel_hi:[1,0,0]
	v_pk_fma_f32 v[22:23], v[202:203], v[0:1], v[22:23] op_sel:[0,0,1] op_sel_hi:[1,1,0] neg_lo:[0,0,1] neg_hi:[0,0,1]
	v_mov_b32_e32 v23, v15
	v_pk_fma_f32 v[14:15], v[204:205], v[46:47], v[14:15] op_sel_hi:[1,1,0] neg_lo:[0,0,1] neg_hi:[0,0,1]
	v_mov_b32_e32 v15, v13
	v_pk_fma_f32 v[12:13], v[206:207], v[0:1], v[24:25] op_sel:[0,0,1] op_sel_hi:[1,1,0] neg_lo:[0,0,1] neg_hi:[0,0,1]
	s_wait_dscnt 0x1
	v_pk_mul_f32 v[202:203], v[4:5], v[2:3] op_sel:[0,1]
	v_mov_b32_e32 v13, v201
	v_pk_add_f32 v[66:67], v[66:67], v[22:23] neg_lo:[0,1] neg_hi:[0,1]
	v_pk_add_f32 v[62:63], v[62:63], v[14:15] neg_lo:[0,1] neg_hi:[0,1]
	v_pk_mul_f32 v[24:25], v[6:7], v[2:3] op_sel:[0,1]
	v_pk_fma_f32 v[22:23], v[4:5], v[0:1], v[202:203] op_sel:[0,0,1] op_sel_hi:[1,0,0]
	v_pk_add_f32 v[64:65], v[64:65], v[12:13] neg_lo:[0,1] neg_hi:[0,1]
	ds_load_2addr_b64 v[12:15], v20 offset0:23 offset1:24
	v_pk_fma_f32 v[200:201], v[4:5], v[0:1], v[202:203] op_sel:[0,0,1] op_sel_hi:[1,1,0] neg_lo:[0,0,1] neg_hi:[0,0,1]
	v_pk_add_f32 v[78:79], v[78:79], v[222:223] neg_lo:[0,1] neg_hi:[0,1]
	v_mov_b32_e32 v201, v23
	v_pk_fma_f32 v[22:23], v[6:7], v[0:1], v[24:25] op_sel:[0,0,1] op_sel_hi:[1,1,0] neg_lo:[0,0,1] neg_hi:[0,0,1]
	v_pk_fma_f32 v[24:25], v[6:7], v[0:1], v[24:25] op_sel:[0,0,1] op_sel_hi:[1,0,0]
	ds_load_2addr_b64 v[4:7], v20 offset0:25 offset1:26
	s_wait_dscnt 0x2
	v_pk_mul_f32 v[202:203], v[8:9], v[2:3] op_sel:[0,1]
	v_dual_mov_b32 v204, v11 :: v_dual_mov_b32 v205, v10
	v_dual_mul_f32 v24, v11, v0 :: v_dual_mov_b32 v23, v25
	v_pk_add_f32 v[60:61], v[60:61], v[200:201] neg_lo:[0,1] neg_hi:[0,1]
	s_delay_alu instid0(VALU_DEP_4) | instskip(SKIP_1) | instid1(VALU_DEP_4)
	v_pk_fma_f32 v[200:201], v[8:9], v[0:1], v[202:203] op_sel:[0,0,1] op_sel_hi:[1,0,0]
	v_mul_f32_e32 v200, v11, v3
	v_pk_fma_f32 v[24:25], v[204:205], v[46:47], v[24:25] op_sel_hi:[1,1,0]
	v_pk_add_f32 v[88:89], v[88:89], v[22:23] neg_lo:[0,1] neg_hi:[0,1]
	v_pk_fma_f32 v[22:23], v[8:9], v[0:1], v[202:203] op_sel:[0,0,1] op_sel_hi:[1,1,0] neg_lo:[0,0,1] neg_hi:[0,0,1]
	v_mov_b32_e32 v23, v201
	v_pk_fma_f32 v[200:201], v[10:11], v[46:47], v[200:201] op_sel_hi:[1,1,0] neg_lo:[0,0,1] neg_hi:[0,0,1]
	v_mov_b32_e32 v201, v25
	s_wait_dscnt 0x1
	v_pk_mul_f32 v[24:25], v[12:13], v[2:3] op_sel:[0,1]
	ds_load_2addr_b64 v[8:11], v20 offset0:27 offset1:28
	v_pk_mul_f32 v[204:205], v[14:15], v[2:3] op_sel:[0,1]
	v_pk_add_f32 v[84:85], v[84:85], v[22:23] neg_lo:[0,1] neg_hi:[0,1]
	v_pk_add_f32 v[86:87], v[86:87], v[200:201] neg_lo:[0,1] neg_hi:[0,1]
	v_pk_fma_f32 v[22:23], v[12:13], v[0:1], v[24:25] op_sel:[0,0,1] op_sel_hi:[1,0,0]
	s_wait_dscnt 0x1
	v_pk_mul_f32 v[206:207], v[4:5], v[2:3] op_sel:[0,1]
	v_pk_fma_f32 v[208:209], v[14:15], v[0:1], v[204:205] op_sel:[0,0,1] op_sel_hi:[1,0,0]
	ds_load_2addr_b64 v[200:203], v20 offset0:29 offset1:30
	v_pk_fma_f32 v[12:13], v[12:13], v[0:1], v[24:25] op_sel:[0,0,1] op_sel_hi:[1,1,0] neg_lo:[0,0,1] neg_hi:[0,0,1]
	v_mov_b32_e32 v13, v23
	v_pk_fma_f32 v[22:23], v[4:5], v[0:1], v[206:207] op_sel:[0,0,1] op_sel_hi:[1,0,0]
	v_pk_mul_f32 v[24:25], v[6:7], v[2:3] op_sel:[0,1]
	v_pk_fma_f32 v[14:15], v[14:15], v[0:1], v[204:205] op_sel:[0,0,1] op_sel_hi:[1,1,0] neg_lo:[0,0,1] neg_hi:[0,0,1]
	v_mov_b32_e32 v15, v209
	v_pk_fma_f32 v[4:5], v[4:5], v[0:1], v[206:207] op_sel:[0,0,1] op_sel_hi:[1,1,0] neg_lo:[0,0,1] neg_hi:[0,0,1]
	v_mov_b32_e32 v5, v23
	v_pk_fma_f32 v[22:23], v[6:7], v[0:1], v[24:25] op_sel:[0,0,1] op_sel_hi:[1,0,0]
	v_pk_add_f32 v[82:83], v[82:83], v[12:13] neg_lo:[0,1] neg_hi:[0,1]
	v_pk_add_f32 v[112:113], v[112:113], v[14:15] neg_lo:[0,1] neg_hi:[0,1]
	ds_load_2addr_b64 v[12:15], v20 offset0:31 offset1:32
	v_pk_add_f32 v[108:109], v[108:109], v[4:5] neg_lo:[0,1] neg_hi:[0,1]
	s_wait_dscnt 0x2
	v_mul_f32_e32 v4, v9, v0
	v_pk_fma_f32 v[6:7], v[6:7], v[0:1], v[24:25] op_sel:[0,0,1] op_sel_hi:[1,1,0] neg_lo:[0,0,1] neg_hi:[0,0,1]
	v_dual_mov_b32 v7, v23 :: v_dual_mul_f32 v22, v9, v3
	v_pk_mul_f32 v[24:25], v[10:11], v[2:3] op_sel:[0,1]
	s_delay_alu instid0(VALU_DEP_4)
	v_pk_fma_f32 v[4:5], v[8:9], v[46:47], v[4:5] op_sel:[1,0,0] op_sel_hi:[0,1,0]
	s_wait_dscnt 0x1
	v_pk_mul_f32 v[204:205], v[200:201], v[2:3] op_sel:[0,1]
	v_pk_add_f32 v[110:111], v[110:111], v[6:7] neg_lo:[0,1] neg_hi:[0,1]
	v_pk_fma_f32 v[8:9], v[8:9], v[46:47], v[22:23] op_sel_hi:[1,1,0] neg_lo:[0,0,1] neg_hi:[0,0,1]
	v_pk_fma_f32 v[22:23], v[10:11], v[0:1], v[24:25] op_sel:[0,0,1] op_sel_hi:[1,0,0]
	v_mov_b32_e32 v9, v5
	ds_load_2addr_b64 v[4:7], v20 offset0:33 offset1:34
	v_pk_fma_f32 v[10:11], v[10:11], v[0:1], v[24:25] op_sel:[0,0,1] op_sel_hi:[1,1,0] neg_lo:[0,0,1] neg_hi:[0,0,1]
	v_pk_fma_f32 v[206:207], v[200:201], v[0:1], v[204:205] op_sel:[0,0,1] op_sel_hi:[1,0,0]
	v_mov_b32_e32 v11, v23
	v_pk_mul_f32 v[22:23], v[202:203], v[2:3] op_sel:[0,1]
	v_pk_add_f32 v[106:107], v[106:107], v[8:9] neg_lo:[0,1] neg_hi:[0,1]
	v_pk_fma_f32 v[24:25], v[200:201], v[0:1], v[204:205] op_sel:[0,0,1] op_sel_hi:[1,1,0] neg_lo:[0,0,1] neg_hi:[0,0,1]
	s_wait_dscnt 0x1
	v_pk_mul_f32 v[200:201], v[12:13], v[2:3] op_sel:[0,1]
	v_pk_add_f32 v[128:129], v[128:129], v[10:11] neg_lo:[0,1] neg_hi:[0,1]
	v_pk_fma_f32 v[8:9], v[202:203], v[0:1], v[22:23] op_sel:[0,0,1] op_sel_hi:[1,0,0]
	v_mov_b32_e32 v25, v207
	v_pk_fma_f32 v[22:23], v[202:203], v[0:1], v[22:23] op_sel:[0,0,1] op_sel_hi:[1,1,0] neg_lo:[0,0,1] neg_hi:[0,0,1]
	s_delay_alu instid0(VALU_DEP_3)
	v_mov_b32_e32 v23, v9
	ds_load_2addr_b64 v[8:11], v20 offset0:35 offset1:36
	v_pk_add_f32 v[124:125], v[124:125], v[24:25] neg_lo:[0,1] neg_hi:[0,1]
	v_pk_fma_f32 v[24:25], v[12:13], v[0:1], v[200:201] op_sel:[0,0,1] op_sel_hi:[1,0,0]
	v_pk_fma_f32 v[12:13], v[12:13], v[0:1], v[200:201] op_sel:[0,0,1] op_sel_hi:[1,1,0] neg_lo:[0,0,1] neg_hi:[0,0,1]
	v_dual_mov_b32 v24, v15 :: v_dual_mul_f32 v200, v15, v0
	s_wait_dscnt 0x1
	v_pk_mul_f32 v[204:205], v[4:5], v[2:3] op_sel:[0,1]
	v_dual_mov_b32 v13, v25 :: v_dual_mov_b32 v25, v14
	v_pk_add_f32 v[126:127], v[126:127], v[22:23] neg_lo:[0,1] neg_hi:[0,1]
	v_pk_mul_f32 v[206:207], v[6:7], v[2:3] op_sel:[0,1]
	s_delay_alu instid0(VALU_DEP_3) | instskip(NEXT) | instid1(VALU_DEP_4)
	v_pk_add_f32 v[122:123], v[122:123], v[12:13] neg_lo:[0,1] neg_hi:[0,1]
	v_pk_fma_f32 v[22:23], v[24:25], v[46:47], v[200:201] op_sel_hi:[1,1,0]
	ds_load_2addr_b64 v[200:203], v20 offset0:37 offset1:38
	v_pk_fma_f32 v[24:25], v[4:5], v[0:1], v[204:205] op_sel:[0,0,1] op_sel_hi:[1,0,0]
	v_mul_f32_e32 v12, v15, v3
	s_delay_alu instid0(VALU_DEP_1)
	v_pk_fma_f32 v[12:13], v[14:15], v[46:47], v[12:13] op_sel_hi:[1,1,0] neg_lo:[0,0,1] neg_hi:[0,0,1]
	v_pk_fma_f32 v[14:15], v[4:5], v[0:1], v[204:205] op_sel:[0,0,1] op_sel_hi:[1,1,0] neg_lo:[0,0,1] neg_hi:[0,0,1]
	v_mov_b32_e32 v13, v23
	v_pk_fma_f32 v[22:23], v[6:7], v[0:1], v[206:207] op_sel:[0,0,1] op_sel_hi:[1,0,0]
	v_mov_b32_e32 v15, v25
	v_pk_fma_f32 v[24:25], v[6:7], v[0:1], v[206:207] op_sel:[0,0,1] op_sel_hi:[1,1,0] neg_lo:[0,0,1] neg_hi:[0,0,1]
	ds_load_2addr_b64 v[4:7], v20 offset0:39 offset1:40
	s_wait_dscnt 0x2
	v_pk_mul_f32 v[204:205], v[8:9], v[2:3] op_sel:[0,1]
	v_mov_b32_e32 v25, v23
	v_pk_mul_f32 v[22:23], v[10:11], v[2:3] op_sel:[0,1]
	v_pk_add_f32 v[150:151], v[150:151], v[12:13] neg_lo:[0,1] neg_hi:[0,1]
	v_pk_add_f32 v[146:147], v[146:147], v[14:15] neg_lo:[0,1] neg_hi:[0,1]
	v_pk_fma_f32 v[206:207], v[8:9], v[0:1], v[204:205] op_sel:[0,0,1] op_sel_hi:[1,0,0]
	v_pk_fma_f32 v[8:9], v[8:9], v[0:1], v[204:205] op_sel:[0,0,1] op_sel_hi:[1,1,0] neg_lo:[0,0,1] neg_hi:[0,0,1]
	ds_load_2addr_b64 v[12:15], v20 offset0:41 offset1:42
	v_pk_add_f32 v[148:149], v[148:149], v[24:25] neg_lo:[0,1] neg_hi:[0,1]
	v_pk_fma_f32 v[24:25], v[10:11], v[0:1], v[22:23] op_sel:[0,0,1] op_sel_hi:[1,0,0]
	v_mov_b32_e32 v9, v207
	v_pk_fma_f32 v[10:11], v[10:11], v[0:1], v[22:23] op_sel:[0,0,1] op_sel_hi:[1,1,0] neg_lo:[0,0,1] neg_hi:[0,0,1]
	s_wait_dscnt 0x2
	v_dual_mul_f32 v22, v201, v0 :: v_dual_mul_f32 v24, v201, v3
	s_delay_alu instid0(VALU_DEP_3) | instskip(SKIP_1) | instid1(VALU_DEP_3)
	v_pk_add_f32 v[144:145], v[144:145], v[8:9] neg_lo:[0,1] neg_hi:[0,1]
	v_pk_mul_f32 v[8:9], v[202:203], v[2:3] op_sel:[0,1]
	v_pk_fma_f32 v[22:23], v[200:201], v[46:47], v[22:23] op_sel:[1,0,0] op_sel_hi:[0,1,0]
	v_mov_b32_e32 v11, v25
	v_pk_fma_f32 v[24:25], v[200:201], v[46:47], v[24:25] op_sel_hi:[1,1,0] neg_lo:[0,0,1] neg_hi:[0,0,1]
	s_wait_dscnt 0x1
	v_pk_mul_f32 v[200:201], v[4:5], v[2:3] op_sel:[0,1]
	v_pk_fma_f32 v[204:205], v[202:203], v[0:1], v[8:9] op_sel:[0,0,1] op_sel_hi:[1,0,0]
	v_mov_b32_e32 v25, v23
	v_pk_add_f32 v[174:175], v[174:175], v[10:11] neg_lo:[0,1] neg_hi:[0,1]
	v_pk_fma_f32 v[22:23], v[202:203], v[0:1], v[8:9] op_sel:[0,0,1] op_sel_hi:[1,1,0] neg_lo:[0,0,1] neg_hi:[0,0,1]
	ds_load_2addr_b64 v[8:11], v20 offset0:43 offset1:44
	v_pk_fma_f32 v[202:203], v[4:5], v[0:1], v[200:201] op_sel:[0,0,1] op_sel_hi:[1,0,0]
	v_mov_b32_e32 v23, v205
	v_pk_mul_f32 v[204:205], v[6:7], v[2:3] op_sel:[0,1]
	v_pk_fma_f32 v[4:5], v[4:5], v[0:1], v[200:201] op_sel:[0,0,1] op_sel_hi:[1,1,0] neg_lo:[0,0,1] neg_hi:[0,0,1]
	s_wait_dscnt 0x1
	v_pk_mul_f32 v[200:201], v[12:13], v[2:3] op_sel:[0,1]
	v_mov_b32_e32 v5, v203
	v_pk_add_f32 v[166:167], v[166:167], v[24:25] neg_lo:[0,1] neg_hi:[0,1]
	v_pk_fma_f32 v[24:25], v[6:7], v[0:1], v[204:205] op_sel:[0,0,1] op_sel_hi:[1,0,0]
	v_mul_f32_e32 v24, v15, v0
	s_delay_alu instid0(VALU_DEP_4) | instskip(SKIP_1) | instid1(VALU_DEP_4)
	v_pk_add_f32 v[164:165], v[164:165], v[4:5] neg_lo:[0,1] neg_hi:[0,1]
	v_pk_fma_f32 v[4:5], v[6:7], v[0:1], v[204:205] op_sel:[0,0,1] op_sel_hi:[1,1,0] neg_lo:[0,0,1] neg_hi:[0,0,1]
	v_mov_b32_e32 v5, v25
	v_pk_add_f32 v[172:173], v[172:173], v[22:23] neg_lo:[0,1] neg_hi:[0,1]
	v_pk_fma_f32 v[22:23], v[12:13], v[0:1], v[200:201] op_sel:[0,0,1] op_sel_hi:[1,0,0]
	v_pk_fma_f32 v[6:7], v[12:13], v[0:1], v[200:201] op_sel:[0,0,1] op_sel_hi:[1,1,0] neg_lo:[0,0,1] neg_hi:[0,0,1]
	v_dual_mov_b32 v12, v15 :: v_dual_mov_b32 v13, v14
	v_mul_f32_e32 v22, v15, v3
	s_delay_alu instid0(VALU_DEP_4)
	v_mov_b32_e32 v7, v23
	s_wait_dscnt 0x0
	v_pk_mul_f32 v[200:201], v[8:9], v[2:3] op_sel:[0,1]
	v_dual_mov_b32 v202, v11 :: v_dual_mul_f32 v2, v11, v0
	v_mov_b32_e32 v203, v10
	v_pk_fma_f32 v[12:13], v[12:13], v[46:47], v[24:25] op_sel_hi:[1,1,0]
	v_mul_f32_e32 v12, v11, v3
	v_pk_fma_f32 v[14:15], v[14:15], v[46:47], v[22:23] op_sel_hi:[1,1,0] neg_lo:[0,0,1] neg_hi:[0,0,1]
	v_pk_fma_f32 v[22:23], v[8:9], v[0:1], v[200:201] op_sel:[0,0,1] op_sel_hi:[1,0,0]
	v_pk_fma_f32 v[2:3], v[202:203], v[46:47], v[2:3] op_sel_hi:[1,1,0]
	v_mov_b32_e32 v15, v13
	v_pk_fma_f32 v[0:1], v[8:9], v[0:1], v[200:201] op_sel:[0,0,1] op_sel_hi:[1,1,0] neg_lo:[0,0,1] neg_hi:[0,0,1]
	v_pk_fma_f32 v[8:9], v[10:11], v[46:47], v[12:13] op_sel_hi:[1,1,0] neg_lo:[0,0,1] neg_hi:[0,0,1]
	s_delay_alu instid0(VALU_DEP_4) | instskip(SKIP_3) | instid1(VALU_DEP_4)
	v_dual_mov_b32 v1, v23 :: v_dual_mov_b32 v9, v3
	v_pk_add_f32 v[170:171], v[170:171], v[4:5] neg_lo:[0,1] neg_hi:[0,1]
	v_pk_add_f32 v[162:163], v[162:163], v[6:7] neg_lo:[0,1] neg_hi:[0,1]
	;; [unrolled: 1-line block ×5, first 2 shown]
.LBB89_82:
	s_or_b32 exec_lo, exec_lo, s1
	s_delay_alu instid0(SALU_CYCLE_1)
	s_mov_b32 s2, exec_lo
	s_wait_dscnt 0x0
	s_barrier_signal -1
	s_barrier_wait -1
	v_cmpx_eq_u32_e32 9, v38
	s_cbranch_execz .LBB89_89
; %bb.83:
	v_dual_mov_b32 v0, v80 :: v_dual_mov_b32 v1, v81
	v_dual_mov_b32 v2, v76 :: v_dual_mov_b32 v3, v77
	v_dual_mov_b32 v4, v104 :: v_dual_mov_b32 v5, v105
	v_dual_mov_b32 v6, v102 :: v_dual_mov_b32 v7, v103
	v_dual_mov_b32 v8, v36 :: v_dual_mov_b32 v9, v37
	v_dual_mov_b32 v10, v34 :: v_dual_mov_b32 v11, v35
	v_dual_mov_b32 v12, v66 :: v_dual_mov_b32 v13, v67
	v_dual_mov_b32 v14, v62 :: v_dual_mov_b32 v15, v63
	v_dual_mov_b32 v22, v64 :: v_dual_mov_b32 v23, v65
	v_dual_mov_b32 v24, v60 :: v_dual_mov_b32 v25, v61
	ds_store_b64 v39, v[78:79]
	v_dual_mov_b32 v200, v88 :: v_dual_mov_b32 v201, v89
	v_dual_mov_b32 v202, v84 :: v_dual_mov_b32 v203, v85
	ds_store_2addr_b64 v20, v[0:1], v[2:3] offset0:10 offset1:11
	ds_store_2addr_b64 v20, v[4:5], v[6:7] offset0:12 offset1:13
	;; [unrolled: 1-line block ×6, first 2 shown]
	v_dual_mov_b32 v0, v86 :: v_dual_mov_b32 v1, v87
	v_dual_mov_b32 v2, v82 :: v_dual_mov_b32 v3, v83
	;; [unrolled: 1-line block ×12, first 2 shown]
	ds_store_2addr_b64 v20, v[0:1], v[2:3] offset0:22 offset1:23
	ds_store_2addr_b64 v20, v[4:5], v[6:7] offset0:24 offset1:25
	;; [unrolled: 1-line block ×6, first 2 shown]
	v_dual_mov_b32 v0, v148 :: v_dual_mov_b32 v1, v149
	v_dual_mov_b32 v2, v144 :: v_dual_mov_b32 v3, v145
	;; [unrolled: 1-line block ×10, first 2 shown]
	ds_store_2addr_b64 v20, v[0:1], v[2:3] offset0:34 offset1:35
	ds_store_2addr_b64 v20, v[4:5], v[6:7] offset0:36 offset1:37
	;; [unrolled: 1-line block ×5, first 2 shown]
	ds_store_b64 v20, v[180:181] offset:352
	ds_load_b64 v[0:1], v39
	s_wait_dscnt 0x0
	v_cmp_neq_f32_e32 vcc_lo, 0, v0
	v_cmp_neq_f32_e64 s1, 0, v1
	s_or_b32 s1, vcc_lo, s1
	s_delay_alu instid0(SALU_CYCLE_1)
	s_and_b32 exec_lo, exec_lo, s1
	s_cbranch_execz .LBB89_89
; %bb.84:
	v_cmp_ngt_f32_e64 s1, |v0|, |v1|
                                        ; implicit-def: $vgpr2_vgpr3
	s_and_saveexec_b32 s4, s1
	s_delay_alu instid0(SALU_CYCLE_1)
	s_xor_b32 s1, exec_lo, s4
	s_cbranch_execz .LBB89_86
; %bb.85:
	v_div_scale_f32 v2, null, v1, v1, v0
	v_div_scale_f32 v5, vcc_lo, v0, v1, v0
	s_delay_alu instid0(VALU_DEP_2) | instskip(SKIP_1) | instid1(TRANS32_DEP_1)
	v_rcp_f32_e32 v3, v2
	v_nop
	v_fma_f32 v4, -v2, v3, 1.0
	s_delay_alu instid0(VALU_DEP_1) | instskip(NEXT) | instid1(VALU_DEP_1)
	v_fmac_f32_e32 v3, v4, v3
	v_mul_f32_e32 v4, v5, v3
	s_delay_alu instid0(VALU_DEP_1) | instskip(NEXT) | instid1(VALU_DEP_1)
	v_fma_f32 v6, -v2, v4, v5
	v_fmac_f32_e32 v4, v6, v3
	s_delay_alu instid0(VALU_DEP_1) | instskip(NEXT) | instid1(VALU_DEP_1)
	v_fma_f32 v2, -v2, v4, v5
	v_div_fmas_f32 v2, v2, v3, v4
	s_delay_alu instid0(VALU_DEP_1) | instskip(NEXT) | instid1(VALU_DEP_1)
	v_div_fixup_f32 v2, v2, v1, v0
	v_fmac_f32_e32 v1, v0, v2
	s_delay_alu instid0(VALU_DEP_1) | instskip(SKIP_1) | instid1(VALU_DEP_2)
	v_div_scale_f32 v0, null, v1, v1, 1.0
	v_div_scale_f32 v5, vcc_lo, 1.0, v1, 1.0
	v_rcp_f32_e32 v3, v0
	v_nop
	s_delay_alu instid0(TRANS32_DEP_1) | instskip(NEXT) | instid1(VALU_DEP_1)
	v_fma_f32 v4, -v0, v3, 1.0
	v_fmac_f32_e32 v3, v4, v3
	s_delay_alu instid0(VALU_DEP_1) | instskip(NEXT) | instid1(VALU_DEP_1)
	v_mul_f32_e32 v4, v5, v3
	v_fma_f32 v6, -v0, v4, v5
	s_delay_alu instid0(VALU_DEP_1) | instskip(NEXT) | instid1(VALU_DEP_1)
	v_fmac_f32_e32 v4, v6, v3
	v_fma_f32 v0, -v0, v4, v5
	s_delay_alu instid0(VALU_DEP_1) | instskip(NEXT) | instid1(VALU_DEP_1)
	v_div_fmas_f32 v0, v0, v3, v4
	v_div_fixup_f32 v0, v0, v1, 1.0
	s_delay_alu instid0(VALU_DEP_1)
	v_mul_f32_e32 v2, v2, v0
	v_xor_b32_e32 v3, 0x80000000, v0
                                        ; implicit-def: $vgpr0_vgpr1
.LBB89_86:
	s_and_not1_saveexec_b32 s1, s1
	s_cbranch_execz .LBB89_88
; %bb.87:
	v_div_scale_f32 v2, null, v0, v0, v1
	v_div_scale_f32 v5, vcc_lo, v1, v0, v1
	s_delay_alu instid0(VALU_DEP_2) | instskip(SKIP_1) | instid1(TRANS32_DEP_1)
	v_rcp_f32_e32 v3, v2
	v_nop
	v_fma_f32 v4, -v2, v3, 1.0
	s_delay_alu instid0(VALU_DEP_1) | instskip(NEXT) | instid1(VALU_DEP_1)
	v_fmac_f32_e32 v3, v4, v3
	v_mul_f32_e32 v4, v5, v3
	s_delay_alu instid0(VALU_DEP_1) | instskip(NEXT) | instid1(VALU_DEP_1)
	v_fma_f32 v6, -v2, v4, v5
	v_fmac_f32_e32 v4, v6, v3
	s_delay_alu instid0(VALU_DEP_1) | instskip(NEXT) | instid1(VALU_DEP_1)
	v_fma_f32 v2, -v2, v4, v5
	v_div_fmas_f32 v2, v2, v3, v4
	s_delay_alu instid0(VALU_DEP_1) | instskip(NEXT) | instid1(VALU_DEP_1)
	v_div_fixup_f32 v3, v2, v0, v1
	v_fmac_f32_e32 v0, v1, v3
	s_delay_alu instid0(VALU_DEP_1) | instskip(NEXT) | instid1(VALU_DEP_1)
	v_div_scale_f32 v1, null, v0, v0, 1.0
	v_rcp_f32_e32 v2, v1
	v_nop
	s_delay_alu instid0(TRANS32_DEP_1) | instskip(NEXT) | instid1(VALU_DEP_1)
	v_fma_f32 v4, -v1, v2, 1.0
	v_fmac_f32_e32 v2, v4, v2
	v_div_scale_f32 v4, vcc_lo, 1.0, v0, 1.0
	s_delay_alu instid0(VALU_DEP_1) | instskip(NEXT) | instid1(VALU_DEP_1)
	v_mul_f32_e32 v5, v4, v2
	v_fma_f32 v6, -v1, v5, v4
	s_delay_alu instid0(VALU_DEP_1) | instskip(NEXT) | instid1(VALU_DEP_1)
	v_fmac_f32_e32 v5, v6, v2
	v_fma_f32 v1, -v1, v5, v4
	s_delay_alu instid0(VALU_DEP_1) | instskip(NEXT) | instid1(VALU_DEP_1)
	v_div_fmas_f32 v1, v1, v2, v5
	v_div_fixup_f32 v2, v1, v0, 1.0
	s_delay_alu instid0(VALU_DEP_1)
	v_mul_f32_e64 v3, v3, -v2
.LBB89_88:
	s_or_b32 exec_lo, exec_lo, s1
	ds_store_b64 v39, v[2:3]
.LBB89_89:
	s_or_b32 exec_lo, exec_lo, s2
	s_wait_dscnt 0x0
	s_barrier_signal -1
	s_barrier_wait -1
	ds_load_b64 v[200:201], v39
	s_mov_b32 s1, exec_lo
	v_cmpx_lt_u32_e32 9, v38
	s_cbranch_execz .LBB89_91
; %bb.90:
	ds_load_2addr_b64 v[4:7], v20 offset0:10 offset1:11
	ds_load_2addr_b64 v[8:11], v20 offset0:12 offset1:13
	;; [unrolled: 1-line block ×3, first 2 shown]
	s_wait_dscnt 0x3
	v_pk_mul_f32 v[2:3], v[200:201], v[78:79] op_sel:[1,1] op_sel_hi:[0,1]
	ds_load_2addr_b64 v[202:205], v20 offset0:16 offset1:17
	ds_load_2addr_b64 v[206:209], v20 offset0:18 offset1:19
	v_pk_fma_f32 v[0:1], v[200:201], v[78:79], v[2:3] op_sel_hi:[1,0,1] neg_lo:[0,0,1] neg_hi:[0,0,1]
	v_pk_fma_f32 v[2:3], v[200:201], v[78:79], v[2:3] op_sel_hi:[1,0,1]
	s_delay_alu instid0(VALU_DEP_1) | instskip(SKIP_1) | instid1(VALU_DEP_2)
	v_dual_mov_b32 v78, v0 :: v_dual_mov_b32 v79, v3
	s_wait_dscnt 0x4
	v_pk_mul_f32 v[22:23], v[4:5], v[2:3] op_sel:[0,1]
	v_pk_mul_f32 v[24:25], v[6:7], v[2:3] op_sel:[0,1]
	s_wait_dscnt 0x3
	v_pk_mul_f32 v[210:211], v[8:9], v[2:3] op_sel:[0,1]
	v_dual_mov_b32 v212, v11 :: v_dual_mov_b32 v213, v10
	v_dual_mul_f32 v214, v11, v3 :: v_dual_mul_f32 v216, v11, v0
	s_wait_dscnt 0x2
	v_pk_mul_f32 v[218:219], v[12:13], v[2:3] op_sel:[0,1]
	v_pk_mul_f32 v[220:221], v[14:15], v[2:3] op_sel:[0,1]
	v_pk_fma_f32 v[222:223], v[4:5], v[0:1], v[22:23] op_sel:[0,0,1] op_sel_hi:[1,1,0] neg_lo:[0,0,1] neg_hi:[0,0,1]
	v_pk_fma_f32 v[4:5], v[4:5], v[0:1], v[22:23] op_sel:[0,0,1] op_sel_hi:[1,0,0]
	v_pk_fma_f32 v[22:23], v[6:7], v[0:1], v[24:25] op_sel:[0,0,1] op_sel_hi:[1,1,0] neg_lo:[0,0,1] neg_hi:[0,0,1]
	v_pk_fma_f32 v[6:7], v[6:7], v[0:1], v[24:25] op_sel:[0,0,1] op_sel_hi:[1,0,0]
	;; [unrolled: 2-line block ×3, first 2 shown]
	v_pk_fma_f32 v[210:211], v[212:213], v[78:79], v[216:217] op_sel_hi:[1,1,0]
	v_pk_fma_f32 v[212:213], v[12:13], v[0:1], v[218:219] op_sel:[0,0,1] op_sel_hi:[1,1,0] neg_lo:[0,0,1] neg_hi:[0,0,1]
	v_dual_mov_b32 v223, v5 :: v_dual_mov_b32 v23, v7
	s_delay_alu instid0(VALU_DEP_4)
	v_mov_b32_e32 v25, v9
	v_pk_fma_f32 v[4:5], v[12:13], v[0:1], v[218:219] op_sel:[0,0,1] op_sel_hi:[1,0,0]
	v_pk_fma_f32 v[8:9], v[14:15], v[0:1], v[220:221] op_sel:[0,0,1] op_sel_hi:[1,0,0]
	s_wait_dscnt 0x1
	v_pk_mul_f32 v[12:13], v[202:203], v[2:3] op_sel:[0,1]
	v_pk_fma_f32 v[14:15], v[14:15], v[0:1], v[220:221] op_sel:[0,0,1] op_sel_hi:[1,1,0] neg_lo:[0,0,1] neg_hi:[0,0,1]
	v_pk_fma_f32 v[10:11], v[10:11], v[78:79], v[214:215] op_sel_hi:[1,1,0] neg_lo:[0,0,1] neg_hi:[0,0,1]
	v_pk_add_f32 v[76:77], v[76:77], v[22:23] neg_lo:[0,1] neg_hi:[0,1]
	v_dual_mov_b32 v213, v5 :: v_dual_mov_b32 v15, v9
	v_pk_mul_f32 v[22:23], v[204:205], v[2:3] op_sel:[0,1]
	v_pk_fma_f32 v[8:9], v[202:203], v[0:1], v[12:13] op_sel:[0,0,1] op_sel_hi:[1,0,0]
	v_mov_b32_e32 v11, v211
	ds_load_2addr_b64 v[4:7], v20 offset0:20 offset1:21
	v_pk_fma_f32 v[12:13], v[202:203], v[0:1], v[12:13] op_sel:[0,0,1] op_sel_hi:[1,1,0] neg_lo:[0,0,1] neg_hi:[0,0,1]
	v_pk_add_f32 v[104:105], v[104:105], v[24:25] neg_lo:[0,1] neg_hi:[0,1]
	v_pk_add_f32 v[34:35], v[34:35], v[14:15] neg_lo:[0,1] neg_hi:[0,1]
	v_pk_fma_f32 v[14:15], v[204:205], v[0:1], v[22:23] op_sel:[0,0,1] op_sel_hi:[1,0,0]
	s_wait_dscnt 0x1
	v_dual_mov_b32 v13, v9 :: v_dual_mul_f32 v14, v207, v0
	v_pk_mul_f32 v[24:25], v[208:209], v[2:3] op_sel:[0,1]
	v_pk_add_f32 v[102:103], v[102:103], v[10:11] neg_lo:[0,1] neg_hi:[0,1]
	ds_load_2addr_b64 v[8:11], v20 offset0:22 offset1:23
	v_pk_fma_f32 v[22:23], v[204:205], v[0:1], v[22:23] op_sel:[0,0,1] op_sel_hi:[1,1,0] neg_lo:[0,0,1] neg_hi:[0,0,1]
	v_pk_add_f32 v[66:67], v[66:67], v[12:13] neg_lo:[0,1] neg_hi:[0,1]
	v_pk_fma_f32 v[204:205], v[208:209], v[0:1], v[24:25] op_sel:[0,0,1] op_sel_hi:[1,0,0]
	v_mul_f32_e32 v12, v207, v3
	v_mov_b32_e32 v23, v15
	v_pk_fma_f32 v[14:15], v[206:207], v[78:79], v[14:15] op_sel:[1,0,0] op_sel_hi:[0,1,0]
	v_pk_fma_f32 v[24:25], v[208:209], v[0:1], v[24:25] op_sel:[0,0,1] op_sel_hi:[1,1,0] neg_lo:[0,0,1] neg_hi:[0,0,1]
	v_mov_b32_e32 v25, v205
	v_pk_fma_f32 v[202:203], v[206:207], v[78:79], v[12:13] op_sel_hi:[1,1,0] neg_lo:[0,0,1] neg_hi:[0,0,1]
	v_pk_add_f32 v[80:81], v[80:81], v[222:223] neg_lo:[0,1] neg_hi:[0,1]
	v_mov_b32_e32 v203, v15
	ds_load_2addr_b64 v[12:15], v20 offset0:24 offset1:25
	v_pk_add_f32 v[62:63], v[62:63], v[22:23] neg_lo:[0,1] neg_hi:[0,1]
	s_wait_dscnt 0x2
	v_pk_mul_f32 v[22:23], v[4:5], v[2:3] op_sel:[0,1]
	v_pk_mul_f32 v[206:207], v[6:7], v[2:3] op_sel:[0,1]
	v_pk_add_f32 v[60:61], v[60:61], v[24:25] neg_lo:[0,1] neg_hi:[0,1]
	v_pk_add_f32 v[64:65], v[64:65], v[202:203] neg_lo:[0,1] neg_hi:[0,1]
	;; [unrolled: 1-line block ×3, first 2 shown]
	v_pk_fma_f32 v[210:211], v[4:5], v[0:1], v[22:23] op_sel:[0,0,1] op_sel_hi:[1,0,0]
	v_pk_fma_f32 v[204:205], v[6:7], v[0:1], v[206:207] op_sel:[0,0,1] op_sel_hi:[1,0,0]
	v_pk_fma_f32 v[4:5], v[4:5], v[0:1], v[22:23] op_sel:[0,0,1] op_sel_hi:[1,1,0] neg_lo:[0,0,1] neg_hi:[0,0,1]
	s_wait_dscnt 0x1
	v_pk_mul_f32 v[22:23], v[8:9], v[2:3] op_sel:[0,1]
	v_pk_fma_f32 v[6:7], v[6:7], v[0:1], v[206:207] op_sel:[0,0,1] op_sel_hi:[1,1,0] neg_lo:[0,0,1] neg_hi:[0,0,1]
	v_dual_mov_b32 v5, v211 :: v_dual_mov_b32 v7, v205
	ds_load_2addr_b64 v[202:205], v20 offset0:28 offset1:29
	v_pk_fma_f32 v[24:25], v[8:9], v[0:1], v[22:23] op_sel:[0,0,1] op_sel_hi:[1,0,0]
	v_pk_fma_f32 v[8:9], v[8:9], v[0:1], v[22:23] op_sel:[0,0,1] op_sel_hi:[1,1,0] neg_lo:[0,0,1] neg_hi:[0,0,1]
	v_pk_add_f32 v[88:89], v[88:89], v[4:5] neg_lo:[0,1] neg_hi:[0,1]
	v_pk_add_f32 v[84:85], v[84:85], v[6:7] neg_lo:[0,1] neg_hi:[0,1]
	ds_load_2addr_b64 v[4:7], v20 offset0:26 offset1:27
	v_dual_mov_b32 v9, v25 :: v_dual_mov_b32 v22, v11
	s_wait_dscnt 0x2
	v_pk_mul_f32 v[206:207], v[12:13], v[2:3] op_sel:[0,1]
	v_dual_mov_b32 v23, v10 :: v_dual_mul_f32 v24, v11, v0
	v_pk_mul_f32 v[210:211], v[14:15], v[2:3] op_sel:[0,1]
	v_pk_add_f32 v[86:87], v[86:87], v[8:9] neg_lo:[0,1] neg_hi:[0,1]
	s_delay_alu instid0(VALU_DEP_4) | instskip(SKIP_3) | instid1(VALU_DEP_4)
	v_pk_fma_f32 v[8:9], v[12:13], v[0:1], v[206:207] op_sel:[0,0,1] op_sel_hi:[1,0,0]
	v_mul_f32_e32 v208, v11, v3
	v_pk_fma_f32 v[12:13], v[12:13], v[0:1], v[206:207] op_sel:[0,0,1] op_sel_hi:[1,1,0] neg_lo:[0,0,1] neg_hi:[0,0,1]
	v_pk_fma_f32 v[22:23], v[22:23], v[78:79], v[24:25] op_sel_hi:[1,1,0]
	v_mov_b32_e32 v13, v9
	s_delay_alu instid0(VALU_DEP_4) | instskip(SKIP_4) | instid1(VALU_DEP_4)
	v_pk_fma_f32 v[24:25], v[10:11], v[78:79], v[208:209] op_sel_hi:[1,1,0] neg_lo:[0,0,1] neg_hi:[0,0,1]
	v_pk_fma_f32 v[10:11], v[14:15], v[0:1], v[210:211] op_sel:[0,0,1] op_sel_hi:[1,0,0]
	v_pk_fma_f32 v[14:15], v[14:15], v[0:1], v[210:211] op_sel:[0,0,1] op_sel_hi:[1,1,0] neg_lo:[0,0,1] neg_hi:[0,0,1]
	v_mov_b32_e32 v25, v23
	v_pk_add_f32 v[112:113], v[112:113], v[12:13] neg_lo:[0,1] neg_hi:[0,1]
	v_mov_b32_e32 v15, v11
	ds_load_2addr_b64 v[8:11], v20 offset0:30 offset1:31
	s_wait_dscnt 0x1
	v_pk_mul_f32 v[22:23], v[4:5], v[2:3] op_sel:[0,1]
	v_pk_add_f32 v[82:83], v[82:83], v[24:25] neg_lo:[0,1] neg_hi:[0,1]
	v_pk_mul_f32 v[24:25], v[6:7], v[2:3] op_sel:[0,1]
	v_pk_add_f32 v[108:109], v[108:109], v[14:15] neg_lo:[0,1] neg_hi:[0,1]
	ds_load_2addr_b64 v[12:15], v20 offset0:32 offset1:33
	v_pk_fma_f32 v[206:207], v[4:5], v[0:1], v[22:23] op_sel:[0,0,1] op_sel_hi:[1,1,0] neg_lo:[0,0,1] neg_hi:[0,0,1]
	v_mul_f32_e32 v208, v203, v0
	v_pk_fma_f32 v[4:5], v[4:5], v[0:1], v[22:23] op_sel:[0,0,1] op_sel_hi:[1,0,0]
	v_pk_fma_f32 v[22:23], v[6:7], v[0:1], v[24:25] op_sel:[0,0,1] op_sel_hi:[1,0,0]
	v_mul_f32_e32 v4, v203, v3
	v_pk_fma_f32 v[6:7], v[6:7], v[0:1], v[24:25] op_sel:[0,0,1] op_sel_hi:[1,1,0] neg_lo:[0,0,1] neg_hi:[0,0,1]
	v_pk_fma_f32 v[208:209], v[202:203], v[78:79], v[208:209] op_sel:[1,0,0] op_sel_hi:[0,1,0]
	s_delay_alu instid0(VALU_DEP_4) | instskip(SKIP_2) | instid1(VALU_DEP_3)
	v_dual_mov_b32 v207, v5 :: v_dual_mov_b32 v7, v23
	v_pk_mul_f32 v[22:23], v[204:205], v[2:3] op_sel:[0,1]
	v_pk_fma_f32 v[4:5], v[202:203], v[78:79], v[4:5] op_sel_hi:[1,1,0] neg_lo:[0,0,1] neg_hi:[0,0,1]
	v_pk_add_f32 v[110:111], v[110:111], v[206:207] neg_lo:[0,1] neg_hi:[0,1]
	s_delay_alu instid0(VALU_DEP_4)
	v_pk_add_f32 v[106:107], v[106:107], v[6:7] neg_lo:[0,1] neg_hi:[0,1]
	s_wait_dscnt 0x1
	v_pk_mul_f32 v[24:25], v[8:9], v[2:3] op_sel:[0,1]
	v_pk_fma_f32 v[202:203], v[204:205], v[0:1], v[22:23] op_sel:[0,0,1] op_sel_hi:[1,0,0]
	v_mov_b32_e32 v5, v209
	v_pk_fma_f32 v[22:23], v[204:205], v[0:1], v[22:23] op_sel:[0,0,1] op_sel_hi:[1,1,0] neg_lo:[0,0,1] neg_hi:[0,0,1]
	v_pk_mul_f32 v[206:207], v[10:11], v[2:3] op_sel:[0,1]
	v_pk_fma_f32 v[204:205], v[8:9], v[0:1], v[24:25] op_sel:[0,0,1] op_sel_hi:[1,0,0]
	v_mov_b32_e32 v23, v203
	v_pk_add_f32 v[128:129], v[128:129], v[4:5] neg_lo:[0,1] neg_hi:[0,1]
	ds_load_2addr_b64 v[4:7], v20 offset0:34 offset1:35
	v_pk_fma_f32 v[8:9], v[8:9], v[0:1], v[24:25] op_sel:[0,0,1] op_sel_hi:[1,1,0] neg_lo:[0,0,1] neg_hi:[0,0,1]
	s_wait_dscnt 0x1
	v_pk_mul_f32 v[24:25], v[12:13], v[2:3] op_sel:[0,1]
	v_pk_add_f32 v[124:125], v[124:125], v[22:23] neg_lo:[0,1] neg_hi:[0,1]
	v_pk_fma_f32 v[208:209], v[10:11], v[0:1], v[206:207] op_sel:[0,0,1] op_sel_hi:[1,0,0]
	s_delay_alu instid0(VALU_DEP_3)
	v_pk_fma_f32 v[22:23], v[12:13], v[0:1], v[24:25] op_sel:[0,0,1] op_sel_hi:[1,0,0]
	v_mov_b32_e32 v9, v205
	ds_load_2addr_b64 v[202:205], v20 offset0:36 offset1:37
	v_mul_f32_e32 v22, v15, v3
	v_pk_add_f32 v[126:127], v[126:127], v[8:9] neg_lo:[0,1] neg_hi:[0,1]
	v_pk_fma_f32 v[8:9], v[10:11], v[0:1], v[206:207] op_sel:[0,0,1] op_sel_hi:[1,1,0] neg_lo:[0,0,1] neg_hi:[0,0,1]
	v_mov_b32_e32 v9, v209
	v_pk_fma_f32 v[10:11], v[12:13], v[0:1], v[24:25] op_sel:[0,0,1] op_sel_hi:[1,1,0] neg_lo:[0,0,1] neg_hi:[0,0,1]
	v_dual_mov_b32 v12, v15 :: v_dual_mov_b32 v13, v14
	v_mul_f32_e32 v24, v15, v0
	v_mov_b32_e32 v11, v23
	s_wait_dscnt 0x1
	v_pk_mul_f32 v[206:207], v[4:5], v[2:3] op_sel:[0,1]
	v_pk_add_f32 v[122:123], v[122:123], v[8:9] neg_lo:[0,1] neg_hi:[0,1]
	v_pk_fma_f32 v[14:15], v[14:15], v[78:79], v[22:23] op_sel_hi:[1,1,0] neg_lo:[0,0,1] neg_hi:[0,0,1]
	v_pk_fma_f32 v[12:13], v[12:13], v[78:79], v[24:25] op_sel_hi:[1,1,0]
	v_pk_add_f32 v[150:151], v[150:151], v[10:11] neg_lo:[0,1] neg_hi:[0,1]
	v_pk_mul_f32 v[22:23], v[6:7], v[2:3] op_sel:[0,1]
	ds_load_2addr_b64 v[8:11], v20 offset0:38 offset1:39
	v_pk_fma_f32 v[24:25], v[4:5], v[0:1], v[206:207] op_sel:[0,0,1] op_sel_hi:[1,0,0]
	s_wait_dscnt 0x1
	v_pk_mul_f32 v[208:209], v[202:203], v[2:3] op_sel:[0,1]
	v_mov_b32_e32 v15, v13
	v_pk_fma_f32 v[12:13], v[4:5], v[0:1], v[206:207] op_sel:[0,0,1] op_sel_hi:[1,1,0] neg_lo:[0,0,1] neg_hi:[0,0,1]
	v_pk_fma_f32 v[206:207], v[6:7], v[0:1], v[22:23] op_sel:[0,0,1] op_sel_hi:[1,0,0]
	v_mov_b32_e32 v13, v25
	v_pk_fma_f32 v[24:25], v[202:203], v[0:1], v[208:209] op_sel:[0,0,1] op_sel_hi:[1,0,0]
	v_pk_fma_f32 v[22:23], v[6:7], v[0:1], v[22:23] op_sel:[0,0,1] op_sel_hi:[1,1,0] neg_lo:[0,0,1] neg_hi:[0,0,1]
	ds_load_2addr_b64 v[4:7], v20 offset0:40 offset1:41
	v_pk_fma_f32 v[202:203], v[202:203], v[0:1], v[208:209] op_sel:[0,0,1] op_sel_hi:[1,1,0] neg_lo:[0,0,1] neg_hi:[0,0,1]
	v_dual_mov_b32 v23, v207 :: v_dual_mov_b32 v203, v25
	v_pk_mul_f32 v[24:25], v[204:205], v[2:3] op_sel:[0,1]
	v_pk_add_f32 v[146:147], v[146:147], v[14:15] neg_lo:[0,1] neg_hi:[0,1]
	v_pk_add_f32 v[148:149], v[148:149], v[12:13] neg_lo:[0,1] neg_hi:[0,1]
	s_delay_alu instid0(VALU_DEP_4)
	v_pk_add_f32 v[144:145], v[144:145], v[22:23] neg_lo:[0,1] neg_hi:[0,1]
	ds_load_2addr_b64 v[12:15], v20 offset0:42 offset1:43
	v_pk_fma_f32 v[22:23], v[204:205], v[0:1], v[24:25] op_sel:[0,0,1] op_sel_hi:[1,1,0] neg_lo:[0,0,1] neg_hi:[0,0,1]
	v_pk_fma_f32 v[24:25], v[204:205], v[0:1], v[24:25] op_sel:[0,0,1] op_sel_hi:[1,0,0]
	ds_load_b64 v[208:209], v20 offset:352
	s_wait_dscnt 0x3
	v_dual_mul_f32 v24, v9, v0 :: v_dual_mul_f32 v204, v9, v3
	v_mov_b32_e32 v23, v25
	v_pk_add_f32 v[174:175], v[174:175], v[202:203] neg_lo:[0,1] neg_hi:[0,1]
	v_pk_mul_f32 v[202:203], v[10:11], v[2:3] op_sel:[0,1]
	s_delay_alu instid0(VALU_DEP_4)
	v_pk_fma_f32 v[24:25], v[8:9], v[78:79], v[24:25] op_sel:[1,0,0] op_sel_hi:[0,1,0]
	v_pk_fma_f32 v[8:9], v[8:9], v[78:79], v[204:205] op_sel_hi:[1,1,0] neg_lo:[0,0,1] neg_hi:[0,0,1]
	s_wait_dscnt 0x2
	v_pk_mul_f32 v[204:205], v[4:5], v[2:3] op_sel:[0,1]
	v_pk_add_f32 v[166:167], v[166:167], v[22:23] neg_lo:[0,1] neg_hi:[0,1]
	v_pk_fma_f32 v[206:207], v[10:11], v[0:1], v[202:203] op_sel:[0,0,1] op_sel_hi:[1,0,0]
	v_pk_fma_f32 v[10:11], v[10:11], v[0:1], v[202:203] op_sel:[0,0,1] op_sel_hi:[1,1,0] neg_lo:[0,0,1] neg_hi:[0,0,1]
	v_mov_b32_e32 v9, v25
	v_pk_mul_f32 v[24:25], v[6:7], v[2:3] op_sel:[0,1]
	v_pk_fma_f32 v[22:23], v[4:5], v[0:1], v[204:205] op_sel:[0,0,1] op_sel_hi:[1,0,0]
	v_mov_b32_e32 v11, v207
	v_pk_fma_f32 v[4:5], v[4:5], v[0:1], v[204:205] op_sel:[0,0,1] op_sel_hi:[1,1,0] neg_lo:[0,0,1] neg_hi:[0,0,1]
	v_pk_add_f32 v[172:173], v[172:173], v[8:9] neg_lo:[0,1] neg_hi:[0,1]
	v_pk_fma_f32 v[8:9], v[6:7], v[0:1], v[24:25] op_sel:[0,0,1] op_sel_hi:[1,1,0] neg_lo:[0,0,1] neg_hi:[0,0,1]
	v_pk_fma_f32 v[6:7], v[6:7], v[0:1], v[24:25] op_sel:[0,0,1] op_sel_hi:[1,0,0]
	v_pk_add_f32 v[164:165], v[164:165], v[10:11] neg_lo:[0,1] neg_hi:[0,1]
	s_wait_dscnt 0x1
	v_pk_mul_f32 v[10:11], v[12:13], v[2:3] op_sel:[0,1]
	s_wait_dscnt 0x0
	v_pk_mul_f32 v[24:25], v[208:209], v[2:3] op_sel:[0,1]
	v_dual_mov_b32 v5, v23 :: v_dual_mov_b32 v22, v15
	v_dual_mov_b32 v23, v14 :: v_dual_mul_f32 v6, v15, v0
	v_pk_fma_f32 v[202:203], v[12:13], v[0:1], v[10:11] op_sel:[0,0,1] op_sel_hi:[1,0,0]
	v_pk_fma_f32 v[10:11], v[12:13], v[0:1], v[10:11] op_sel:[0,0,1] op_sel_hi:[1,1,0] neg_lo:[0,0,1] neg_hi:[0,0,1]
	v_pk_fma_f32 v[12:13], v[208:209], v[0:1], v[24:25] op_sel:[0,0,1] op_sel_hi:[1,0,0]
	v_mul_f32_e32 v2, v15, v3
	s_delay_alu instid0(VALU_DEP_4)
	v_dual_mov_b32 v9, v7 :: v_dual_mov_b32 v11, v203
	v_pk_fma_f32 v[6:7], v[22:23], v[78:79], v[6:7] op_sel_hi:[1,1,0]
	v_pk_fma_f32 v[0:1], v[208:209], v[0:1], v[24:25] op_sel:[0,0,1] op_sel_hi:[1,1,0] neg_lo:[0,0,1] neg_hi:[0,0,1]
	v_mov_b32_e32 v1, v13
	v_pk_fma_f32 v[2:3], v[14:15], v[78:79], v[2:3] op_sel_hi:[1,1,0] neg_lo:[0,0,1] neg_hi:[0,0,1]
	v_pk_add_f32 v[170:171], v[170:171], v[4:5] neg_lo:[0,1] neg_hi:[0,1]
	v_mov_b32_e32 v3, v7
	v_pk_add_f32 v[162:163], v[162:163], v[8:9] neg_lo:[0,1] neg_hi:[0,1]
	v_pk_add_f32 v[168:169], v[168:169], v[10:11] neg_lo:[0,1] neg_hi:[0,1]
	;; [unrolled: 1-line block ×3, first 2 shown]
	s_delay_alu instid0(VALU_DEP_4)
	v_pk_add_f32 v[176:177], v[176:177], v[2:3] neg_lo:[0,1] neg_hi:[0,1]
.LBB89_91:
	s_or_b32 exec_lo, exec_lo, s1
	s_delay_alu instid0(SALU_CYCLE_1)
	s_mov_b32 s2, exec_lo
	s_wait_dscnt 0x0
	s_barrier_signal -1
	s_barrier_wait -1
	v_cmpx_eq_u32_e32 10, v38
	s_cbranch_execz .LBB89_98
; %bb.92:
	ds_store_b64 v39, v[80:81]
	ds_store_2addr_b64 v20, v[76:77], v[104:105] offset0:11 offset1:12
	ds_store_2addr_b64 v20, v[102:103], v[36:37] offset0:13 offset1:14
	;; [unrolled: 1-line block ×17, first 2 shown]
	ds_load_b64 v[0:1], v39
	s_wait_dscnt 0x0
	v_cmp_neq_f32_e32 vcc_lo, 0, v0
	v_cmp_neq_f32_e64 s1, 0, v1
	s_or_b32 s1, vcc_lo, s1
	s_delay_alu instid0(SALU_CYCLE_1)
	s_and_b32 exec_lo, exec_lo, s1
	s_cbranch_execz .LBB89_98
; %bb.93:
	v_cmp_ngt_f32_e64 s1, |v0|, |v1|
                                        ; implicit-def: $vgpr2_vgpr3
	s_and_saveexec_b32 s4, s1
	s_delay_alu instid0(SALU_CYCLE_1)
	s_xor_b32 s1, exec_lo, s4
	s_cbranch_execz .LBB89_95
; %bb.94:
	v_div_scale_f32 v2, null, v1, v1, v0
	v_div_scale_f32 v5, vcc_lo, v0, v1, v0
	s_delay_alu instid0(VALU_DEP_2) | instskip(SKIP_1) | instid1(TRANS32_DEP_1)
	v_rcp_f32_e32 v3, v2
	v_nop
	v_fma_f32 v4, -v2, v3, 1.0
	s_delay_alu instid0(VALU_DEP_1) | instskip(NEXT) | instid1(VALU_DEP_1)
	v_fmac_f32_e32 v3, v4, v3
	v_mul_f32_e32 v4, v5, v3
	s_delay_alu instid0(VALU_DEP_1) | instskip(NEXT) | instid1(VALU_DEP_1)
	v_fma_f32 v6, -v2, v4, v5
	v_fmac_f32_e32 v4, v6, v3
	s_delay_alu instid0(VALU_DEP_1) | instskip(NEXT) | instid1(VALU_DEP_1)
	v_fma_f32 v2, -v2, v4, v5
	v_div_fmas_f32 v2, v2, v3, v4
	s_delay_alu instid0(VALU_DEP_1) | instskip(NEXT) | instid1(VALU_DEP_1)
	v_div_fixup_f32 v2, v2, v1, v0
	v_fmac_f32_e32 v1, v0, v2
	s_delay_alu instid0(VALU_DEP_1) | instskip(SKIP_1) | instid1(VALU_DEP_2)
	v_div_scale_f32 v0, null, v1, v1, 1.0
	v_div_scale_f32 v5, vcc_lo, 1.0, v1, 1.0
	v_rcp_f32_e32 v3, v0
	v_nop
	s_delay_alu instid0(TRANS32_DEP_1) | instskip(NEXT) | instid1(VALU_DEP_1)
	v_fma_f32 v4, -v0, v3, 1.0
	v_fmac_f32_e32 v3, v4, v3
	s_delay_alu instid0(VALU_DEP_1) | instskip(NEXT) | instid1(VALU_DEP_1)
	v_mul_f32_e32 v4, v5, v3
	v_fma_f32 v6, -v0, v4, v5
	s_delay_alu instid0(VALU_DEP_1) | instskip(NEXT) | instid1(VALU_DEP_1)
	v_fmac_f32_e32 v4, v6, v3
	v_fma_f32 v0, -v0, v4, v5
	s_delay_alu instid0(VALU_DEP_1) | instskip(NEXT) | instid1(VALU_DEP_1)
	v_div_fmas_f32 v0, v0, v3, v4
	v_div_fixup_f32 v0, v0, v1, 1.0
	s_delay_alu instid0(VALU_DEP_1)
	v_mul_f32_e32 v2, v2, v0
	v_xor_b32_e32 v3, 0x80000000, v0
                                        ; implicit-def: $vgpr0_vgpr1
.LBB89_95:
	s_and_not1_saveexec_b32 s1, s1
	s_cbranch_execz .LBB89_97
; %bb.96:
	v_div_scale_f32 v2, null, v0, v0, v1
	v_div_scale_f32 v5, vcc_lo, v1, v0, v1
	s_delay_alu instid0(VALU_DEP_2) | instskip(SKIP_1) | instid1(TRANS32_DEP_1)
	v_rcp_f32_e32 v3, v2
	v_nop
	v_fma_f32 v4, -v2, v3, 1.0
	s_delay_alu instid0(VALU_DEP_1) | instskip(NEXT) | instid1(VALU_DEP_1)
	v_fmac_f32_e32 v3, v4, v3
	v_mul_f32_e32 v4, v5, v3
	s_delay_alu instid0(VALU_DEP_1) | instskip(NEXT) | instid1(VALU_DEP_1)
	v_fma_f32 v6, -v2, v4, v5
	v_fmac_f32_e32 v4, v6, v3
	s_delay_alu instid0(VALU_DEP_1) | instskip(NEXT) | instid1(VALU_DEP_1)
	v_fma_f32 v2, -v2, v4, v5
	v_div_fmas_f32 v2, v2, v3, v4
	s_delay_alu instid0(VALU_DEP_1) | instskip(NEXT) | instid1(VALU_DEP_1)
	v_div_fixup_f32 v3, v2, v0, v1
	v_fmac_f32_e32 v0, v1, v3
	s_delay_alu instid0(VALU_DEP_1) | instskip(NEXT) | instid1(VALU_DEP_1)
	v_div_scale_f32 v1, null, v0, v0, 1.0
	v_rcp_f32_e32 v2, v1
	v_nop
	s_delay_alu instid0(TRANS32_DEP_1) | instskip(NEXT) | instid1(VALU_DEP_1)
	v_fma_f32 v4, -v1, v2, 1.0
	v_fmac_f32_e32 v2, v4, v2
	v_div_scale_f32 v4, vcc_lo, 1.0, v0, 1.0
	s_delay_alu instid0(VALU_DEP_1) | instskip(NEXT) | instid1(VALU_DEP_1)
	v_mul_f32_e32 v5, v4, v2
	v_fma_f32 v6, -v1, v5, v4
	s_delay_alu instid0(VALU_DEP_1) | instskip(NEXT) | instid1(VALU_DEP_1)
	v_fmac_f32_e32 v5, v6, v2
	v_fma_f32 v1, -v1, v5, v4
	s_delay_alu instid0(VALU_DEP_1) | instskip(NEXT) | instid1(VALU_DEP_1)
	v_div_fmas_f32 v1, v1, v2, v5
	v_div_fixup_f32 v2, v1, v0, 1.0
	s_delay_alu instid0(VALU_DEP_1)
	v_mul_f32_e64 v3, v3, -v2
.LBB89_97:
	s_or_b32 exec_lo, exec_lo, s1
	ds_store_b64 v39, v[2:3]
.LBB89_98:
	s_or_b32 exec_lo, exec_lo, s2
	s_wait_dscnt 0x0
	s_barrier_signal -1
	s_barrier_wait -1
	ds_load_b64 v[202:203], v39
	s_mov_b32 s1, exec_lo
	v_cmpx_lt_u32_e32 10, v38
	s_cbranch_execz .LBB89_100
; %bb.99:
	ds_load_2addr_b64 v[4:7], v20 offset0:11 offset1:12
	ds_load_2addr_b64 v[8:11], v20 offset0:13 offset1:14
	;; [unrolled: 1-line block ×3, first 2 shown]
	s_wait_dscnt 0x3
	v_pk_mul_f32 v[2:3], v[202:203], v[80:81] op_sel:[1,1] op_sel_hi:[0,1]
	ds_load_2addr_b64 v[204:207], v20 offset0:17 offset1:18
	ds_load_2addr_b64 v[208:211], v20 offset0:19 offset1:20
	v_pk_fma_f32 v[0:1], v[202:203], v[80:81], v[2:3] op_sel_hi:[1,0,1] neg_lo:[0,0,1] neg_hi:[0,0,1]
	v_pk_fma_f32 v[2:3], v[202:203], v[80:81], v[2:3] op_sel_hi:[1,0,1]
	s_delay_alu instid0(VALU_DEP_1) | instskip(SKIP_1) | instid1(VALU_DEP_2)
	v_dual_mov_b32 v80, v0 :: v_dual_mov_b32 v81, v3
	s_wait_dscnt 0x4
	v_pk_mul_f32 v[22:23], v[4:5], v[2:3] op_sel:[0,1]
	v_pk_mul_f32 v[24:25], v[6:7], v[2:3] op_sel:[0,1]
	s_wait_dscnt 0x3
	v_pk_mul_f32 v[212:213], v[8:9], v[2:3] op_sel:[0,1]
	s_wait_dscnt 0x2
	v_pk_mul_f32 v[220:221], v[12:13], v[2:3] op_sel:[0,1]
	v_dual_mov_b32 v214, v11 :: v_dual_mov_b32 v215, v10
	v_pk_fma_f32 v[224:225], v[4:5], v[0:1], v[22:23] op_sel:[0,0,1] op_sel_hi:[1,1,0] neg_lo:[0,0,1] neg_hi:[0,0,1]
	v_pk_fma_f32 v[4:5], v[4:5], v[0:1], v[22:23] op_sel:[0,0,1] op_sel_hi:[1,0,0]
	v_dual_mul_f32 v216, v11, v3 :: v_dual_mul_f32 v218, v11, v0
	v_pk_mul_f32 v[222:223], v[14:15], v[2:3] op_sel:[0,1]
	v_pk_fma_f32 v[22:23], v[6:7], v[0:1], v[24:25] op_sel:[0,0,1] op_sel_hi:[1,1,0] neg_lo:[0,0,1] neg_hi:[0,0,1]
	v_pk_fma_f32 v[6:7], v[6:7], v[0:1], v[24:25] op_sel:[0,0,1] op_sel_hi:[1,0,0]
	v_pk_fma_f32 v[24:25], v[8:9], v[0:1], v[212:213] op_sel:[0,0,1] op_sel_hi:[1,1,0] neg_lo:[0,0,1] neg_hi:[0,0,1]
	v_pk_fma_f32 v[8:9], v[8:9], v[0:1], v[212:213] op_sel:[0,0,1] op_sel_hi:[1,0,0]
	v_mov_b32_e32 v225, v5
	v_pk_fma_f32 v[4:5], v[12:13], v[0:1], v[220:221] op_sel:[0,0,1] op_sel_hi:[1,0,0]
	v_pk_fma_f32 v[212:213], v[214:215], v[80:81], v[218:219] op_sel_hi:[1,1,0]
	v_pk_fma_f32 v[214:215], v[12:13], v[0:1], v[220:221] op_sel:[0,0,1] op_sel_hi:[1,1,0] neg_lo:[0,0,1] neg_hi:[0,0,1]
	v_dual_mov_b32 v23, v7 :: v_dual_mov_b32 v25, v9
	v_pk_fma_f32 v[8:9], v[14:15], v[0:1], v[222:223] op_sel:[0,0,1] op_sel_hi:[1,0,0]
	v_mov_b32_e32 v215, v5
	s_wait_dscnt 0x1
	v_pk_mul_f32 v[12:13], v[204:205], v[2:3] op_sel:[0,1]
	ds_load_2addr_b64 v[4:7], v20 offset0:21 offset1:22
	v_pk_fma_f32 v[10:11], v[10:11], v[80:81], v[216:217] op_sel_hi:[1,1,0] neg_lo:[0,0,1] neg_hi:[0,0,1]
	v_pk_fma_f32 v[14:15], v[14:15], v[0:1], v[222:223] op_sel:[0,0,1] op_sel_hi:[1,1,0] neg_lo:[0,0,1] neg_hi:[0,0,1]
	v_mov_b32_e32 v11, v213
	v_pk_add_f32 v[104:105], v[104:105], v[22:23] neg_lo:[0,1] neg_hi:[0,1]
	v_mov_b32_e32 v15, v9
	v_pk_mul_f32 v[22:23], v[206:207], v[2:3] op_sel:[0,1]
	v_pk_fma_f32 v[8:9], v[204:205], v[0:1], v[12:13] op_sel:[0,0,1] op_sel_hi:[1,0,0]
	v_pk_fma_f32 v[12:13], v[204:205], v[0:1], v[12:13] op_sel:[0,0,1] op_sel_hi:[1,1,0] neg_lo:[0,0,1] neg_hi:[0,0,1]
	v_pk_add_f32 v[36:37], v[36:37], v[10:11] neg_lo:[0,1] neg_hi:[0,1]
	v_pk_add_f32 v[66:67], v[66:67], v[14:15] neg_lo:[0,1] neg_hi:[0,1]
	v_pk_fma_f32 v[14:15], v[206:207], v[0:1], v[22:23] op_sel:[0,0,1] op_sel_hi:[1,0,0]
	v_mov_b32_e32 v13, v9
	ds_load_2addr_b64 v[8:11], v20 offset0:23 offset1:24
	v_pk_fma_f32 v[22:23], v[206:207], v[0:1], v[22:23] op_sel:[0,0,1] op_sel_hi:[1,1,0] neg_lo:[0,0,1] neg_hi:[0,0,1]
	s_wait_dscnt 0x2
	v_dual_mul_f32 v14, v209, v0 :: v_dual_mov_b32 v23, v15
	v_pk_add_f32 v[102:103], v[102:103], v[24:25] neg_lo:[0,1] neg_hi:[0,1]
	v_mul_f32_e32 v24, v209, v3
	v_pk_add_f32 v[62:63], v[62:63], v[12:13] neg_lo:[0,1] neg_hi:[0,1]
	v_pk_mul_f32 v[12:13], v[210:211], v[2:3] op_sel:[0,1]
	v_pk_fma_f32 v[14:15], v[208:209], v[80:81], v[14:15] op_sel:[1,0,0] op_sel_hi:[0,1,0]
	v_pk_add_f32 v[64:65], v[64:65], v[22:23] neg_lo:[0,1] neg_hi:[0,1]
	s_wait_dscnt 0x1
	v_pk_mul_f32 v[22:23], v[4:5], v[2:3] op_sel:[0,1]
	v_pk_fma_f32 v[24:25], v[208:209], v[80:81], v[24:25] op_sel_hi:[1,1,0] neg_lo:[0,0,1] neg_hi:[0,0,1]
	v_pk_fma_f32 v[204:205], v[210:211], v[0:1], v[12:13] op_sel:[0,0,1] op_sel_hi:[1,0,0]
	v_mov_b32_e32 v25, v15
	v_pk_fma_f32 v[206:207], v[210:211], v[0:1], v[12:13] op_sel:[0,0,1] op_sel_hi:[1,1,0] neg_lo:[0,0,1] neg_hi:[0,0,1]
	v_pk_fma_f32 v[208:209], v[4:5], v[0:1], v[22:23] op_sel:[0,0,1] op_sel_hi:[1,0,0]
	ds_load_2addr_b64 v[12:15], v20 offset0:25 offset1:26
	v_pk_fma_f32 v[4:5], v[4:5], v[0:1], v[22:23] op_sel:[0,0,1] op_sel_hi:[1,1,0] neg_lo:[0,0,1] neg_hi:[0,0,1]
	v_pk_mul_f32 v[22:23], v[6:7], v[2:3] op_sel:[0,1]
	v_mov_b32_e32 v207, v205
	s_wait_dscnt 0x1
	v_pk_mul_f32 v[204:205], v[8:9], v[2:3] op_sel:[0,1]
	v_pk_add_f32 v[60:61], v[60:61], v[24:25] neg_lo:[0,1] neg_hi:[0,1]
	v_pk_add_f32 v[76:77], v[76:77], v[224:225] neg_lo:[0,1] neg_hi:[0,1]
	v_pk_fma_f32 v[24:25], v[6:7], v[0:1], v[22:23] op_sel:[0,0,1] op_sel_hi:[1,0,0]
	v_mov_b32_e32 v5, v209
	v_pk_fma_f32 v[22:23], v[6:7], v[0:1], v[22:23] op_sel:[0,0,1] op_sel_hi:[1,1,0] neg_lo:[0,0,1] neg_hi:[0,0,1]
	v_pk_add_f32 v[88:89], v[88:89], v[206:207] neg_lo:[0,1] neg_hi:[0,1]
	v_pk_fma_f32 v[206:207], v[8:9], v[0:1], v[204:205] op_sel:[0,0,1] op_sel_hi:[1,0,0]
	v_mov_b32_e32 v23, v25
	v_pk_add_f32 v[84:85], v[84:85], v[4:5] neg_lo:[0,1] neg_hi:[0,1]
	ds_load_2addr_b64 v[4:7], v20 offset0:27 offset1:28
	v_pk_fma_f32 v[8:9], v[8:9], v[0:1], v[204:205] op_sel:[0,0,1] op_sel_hi:[1,1,0] neg_lo:[0,0,1] neg_hi:[0,0,1]
	v_dual_mov_b32 v9, v207 :: v_dual_mov_b32 v24, v11
	v_dual_mov_b32 v25, v10 :: v_dual_mul_f32 v204, v11, v0
	v_pk_add_f32 v[86:87], v[86:87], v[22:23] neg_lo:[0,1] neg_hi:[0,1]
	s_delay_alu instid0(VALU_DEP_3)
	v_pk_add_f32 v[82:83], v[82:83], v[8:9] neg_lo:[0,1] neg_hi:[0,1]
	s_wait_dscnt 0x1
	v_pk_mul_f32 v[8:9], v[12:13], v[2:3] op_sel:[0,1]
	v_pk_mul_f32 v[208:209], v[14:15], v[2:3] op_sel:[0,1]
	v_pk_fma_f32 v[24:25], v[24:25], v[80:81], v[204:205] op_sel_hi:[1,1,0]
	ds_load_2addr_b64 v[204:207], v20 offset0:29 offset1:30
	v_mul_f32_e32 v22, v11, v3
	v_pk_fma_f32 v[210:211], v[12:13], v[0:1], v[8:9] op_sel:[0,0,1] op_sel_hi:[1,0,0]
	v_pk_fma_f32 v[12:13], v[12:13], v[0:1], v[8:9] op_sel:[0,0,1] op_sel_hi:[1,1,0] neg_lo:[0,0,1] neg_hi:[0,0,1]
	v_pk_add_f32 v[34:35], v[34:35], v[214:215] neg_lo:[0,1] neg_hi:[0,1]
	s_delay_alu instid0(VALU_DEP_4)
	v_pk_fma_f32 v[22:23], v[10:11], v[80:81], v[22:23] op_sel_hi:[1,1,0] neg_lo:[0,0,1] neg_hi:[0,0,1]
	v_mov_b32_e32 v23, v25
	v_pk_fma_f32 v[24:25], v[14:15], v[0:1], v[208:209] op_sel:[0,0,1] op_sel_hi:[1,0,0]
	v_mov_b32_e32 v13, v211
	s_wait_dscnt 0x1
	v_pk_mul_f32 v[210:211], v[4:5], v[2:3] op_sel:[0,1]
	ds_load_2addr_b64 v[8:11], v20 offset0:31 offset1:32
	v_pk_fma_f32 v[14:15], v[14:15], v[0:1], v[208:209] op_sel:[0,0,1] op_sel_hi:[1,1,0] neg_lo:[0,0,1] neg_hi:[0,0,1]
	v_mov_b32_e32 v15, v25
	v_pk_add_f32 v[112:113], v[112:113], v[22:23] neg_lo:[0,1] neg_hi:[0,1]
	v_pk_mul_f32 v[22:23], v[6:7], v[2:3] op_sel:[0,1]
	v_pk_fma_f32 v[24:25], v[4:5], v[0:1], v[210:211] op_sel:[0,0,1] op_sel_hi:[1,0,0]
	v_pk_fma_f32 v[4:5], v[4:5], v[0:1], v[210:211] op_sel:[0,0,1] op_sel_hi:[1,1,0] neg_lo:[0,0,1] neg_hi:[0,0,1]
	v_pk_add_f32 v[108:109], v[108:109], v[12:13] neg_lo:[0,1] neg_hi:[0,1]
	v_pk_add_f32 v[110:111], v[110:111], v[14:15] neg_lo:[0,1] neg_hi:[0,1]
	v_pk_fma_f32 v[208:209], v[6:7], v[0:1], v[22:23] op_sel:[0,0,1] op_sel_hi:[1,0,0]
	v_mov_b32_e32 v5, v25
	s_wait_dscnt 0x1
	v_mul_f32_e32 v24, v205, v0
	ds_load_2addr_b64 v[12:15], v20 offset0:33 offset1:34
	v_pk_fma_f32 v[6:7], v[6:7], v[0:1], v[22:23] op_sel:[0,0,1] op_sel_hi:[1,1,0] neg_lo:[0,0,1] neg_hi:[0,0,1]
	v_mov_b32_e32 v7, v209
	v_pk_add_f32 v[106:107], v[106:107], v[4:5] neg_lo:[0,1] neg_hi:[0,1]
	v_mul_f32_e32 v4, v205, v3
	v_pk_fma_f32 v[22:23], v[204:205], v[80:81], v[24:25] op_sel:[1,0,0] op_sel_hi:[0,1,0]
	v_pk_mul_f32 v[24:25], v[206:207], v[2:3] op_sel:[0,1]
	v_pk_add_f32 v[128:129], v[128:129], v[6:7] neg_lo:[0,1] neg_hi:[0,1]
	s_wait_dscnt 0x1
	v_pk_mul_f32 v[208:209], v[8:9], v[2:3] op_sel:[0,1]
	v_pk_fma_f32 v[204:205], v[204:205], v[80:81], v[4:5] op_sel_hi:[1,1,0] neg_lo:[0,0,1] neg_hi:[0,0,1]
	v_mov_b32_e32 v205, v23
	v_pk_fma_f32 v[22:23], v[206:207], v[0:1], v[24:25] op_sel:[0,0,1] op_sel_hi:[1,0,0]
	v_pk_mul_f32 v[210:211], v[10:11], v[2:3] op_sel:[0,1]
	ds_load_2addr_b64 v[4:7], v20 offset0:35 offset1:36
	v_pk_fma_f32 v[24:25], v[206:207], v[0:1], v[24:25] op_sel:[0,0,1] op_sel_hi:[1,1,0] neg_lo:[0,0,1] neg_hi:[0,0,1]
	v_pk_fma_f32 v[212:213], v[8:9], v[0:1], v[208:209] op_sel:[0,0,1] op_sel_hi:[1,0,0]
	v_mov_b32_e32 v25, v23
	v_pk_fma_f32 v[22:23], v[10:11], v[0:1], v[210:211] op_sel:[0,0,1] op_sel_hi:[1,0,0]
	v_pk_fma_f32 v[8:9], v[8:9], v[0:1], v[208:209] op_sel:[0,0,1] op_sel_hi:[1,1,0] neg_lo:[0,0,1] neg_hi:[0,0,1]
	v_pk_fma_f32 v[10:11], v[10:11], v[0:1], v[210:211] op_sel:[0,0,1] op_sel_hi:[1,1,0] neg_lo:[0,0,1] neg_hi:[0,0,1]
	v_mov_b32_e32 v9, v213
	s_wait_dscnt 0x1
	v_pk_mul_f32 v[206:207], v[12:13], v[2:3] op_sel:[0,1]
	v_mov_b32_e32 v11, v23
	v_pk_add_f32 v[124:125], v[124:125], v[204:205] neg_lo:[0,1] neg_hi:[0,1]
	v_pk_add_f32 v[126:127], v[126:127], v[24:25] neg_lo:[0,1] neg_hi:[0,1]
	;; [unrolled: 1-line block ×3, first 2 shown]
	v_pk_fma_f32 v[22:23], v[12:13], v[0:1], v[206:207] op_sel:[0,0,1] op_sel_hi:[1,0,0]
	v_pk_add_f32 v[150:151], v[150:151], v[10:11] neg_lo:[0,1] neg_hi:[0,1]
	ds_load_2addr_b64 v[8:11], v20 offset0:37 offset1:38
	v_pk_fma_f32 v[12:13], v[12:13], v[0:1], v[206:207] op_sel:[0,0,1] op_sel_hi:[1,1,0] neg_lo:[0,0,1] neg_hi:[0,0,1]
	v_dual_mov_b32 v22, v15 :: v_dual_mov_b32 v13, v23
	v_dual_mov_b32 v23, v14 :: v_dual_mul_f32 v24, v15, v0
	s_wait_dscnt 0x1
	v_pk_mul_f32 v[208:209], v[4:5], v[2:3] op_sel:[0,1]
	ds_load_2addr_b64 v[204:207], v20 offset0:39 offset1:40
	v_pk_mul_f32 v[212:213], v[6:7], v[2:3] op_sel:[0,1]
	v_pk_add_f32 v[146:147], v[146:147], v[12:13] neg_lo:[0,1] neg_hi:[0,1]
	v_pk_fma_f32 v[22:23], v[22:23], v[80:81], v[24:25] op_sel_hi:[1,1,0]
	v_pk_fma_f32 v[12:13], v[4:5], v[0:1], v[208:209] op_sel:[0,0,1] op_sel_hi:[1,0,0]
	v_mul_f32_e32 v210, v15, v3
	v_pk_fma_f32 v[24:25], v[6:7], v[0:1], v[212:213] op_sel:[0,0,1] op_sel_hi:[1,0,0]
	s_delay_alu instid0(VALU_DEP_2)
	v_pk_fma_f32 v[14:15], v[14:15], v[80:81], v[210:211] op_sel_hi:[1,1,0] neg_lo:[0,0,1] neg_hi:[0,0,1]
	v_mov_b32_e32 v15, v23
	v_pk_fma_f32 v[22:23], v[4:5], v[0:1], v[208:209] op_sel:[0,0,1] op_sel_hi:[1,1,0] neg_lo:[0,0,1] neg_hi:[0,0,1]
	v_mov_b32_e32 v23, v13
	v_pk_fma_f32 v[12:13], v[6:7], v[0:1], v[212:213] op_sel:[0,0,1] op_sel_hi:[1,1,0] neg_lo:[0,0,1] neg_hi:[0,0,1]
	v_mov_b32_e32 v13, v25
	s_wait_dscnt 0x1
	v_pk_mul_f32 v[24:25], v[8:9], v[2:3] op_sel:[0,1]
	ds_load_2addr_b64 v[4:7], v20 offset0:41 offset1:42
	v_pk_add_f32 v[148:149], v[148:149], v[14:15] neg_lo:[0,1] neg_hi:[0,1]
	v_pk_add_f32 v[144:145], v[144:145], v[22:23] neg_lo:[0,1] neg_hi:[0,1]
	;; [unrolled: 1-line block ×3, first 2 shown]
	v_pk_fma_f32 v[22:23], v[8:9], v[0:1], v[24:25] op_sel:[0,0,1] op_sel_hi:[1,0,0]
	v_pk_mul_f32 v[208:209], v[10:11], v[2:3] op_sel:[0,1]
	ds_load_2addr_b64 v[12:15], v20 offset0:43 offset1:44
	s_wait_dscnt 0x2
	v_mul_f32_e32 v22, v205, v0
	v_pk_fma_f32 v[8:9], v[8:9], v[0:1], v[24:25] op_sel:[0,0,1] op_sel_hi:[1,1,0] neg_lo:[0,0,1] neg_hi:[0,0,1]
	v_mov_b32_e32 v9, v23
	v_pk_fma_f32 v[24:25], v[10:11], v[0:1], v[208:209] op_sel:[0,0,1] op_sel_hi:[1,0,0]
	v_pk_fma_f32 v[10:11], v[10:11], v[0:1], v[208:209] op_sel:[0,0,1] op_sel_hi:[1,1,0] neg_lo:[0,0,1] neg_hi:[0,0,1]
	v_pk_mul_f32 v[208:209], v[206:207], v[2:3] op_sel:[0,1]
	v_pk_fma_f32 v[22:23], v[204:205], v[80:81], v[22:23] op_sel:[1,0,0] op_sel_hi:[0,1,0]
	v_mul_f32_e32 v24, v205, v3
	v_pk_add_f32 v[166:167], v[166:167], v[8:9] neg_lo:[0,1] neg_hi:[0,1]
	s_delay_alu instid0(VALU_DEP_4) | instskip(SKIP_1) | instid1(VALU_DEP_4)
	v_pk_fma_f32 v[8:9], v[206:207], v[0:1], v[208:209] op_sel:[0,0,1] op_sel_hi:[1,0,0]
	v_mov_b32_e32 v11, v25
	v_pk_fma_f32 v[24:25], v[204:205], v[80:81], v[24:25] op_sel_hi:[1,1,0] neg_lo:[0,0,1] neg_hi:[0,0,1]
	v_mov_b32_e32 v25, v23
	v_pk_fma_f32 v[22:23], v[206:207], v[0:1], v[208:209] op_sel:[0,0,1] op_sel_hi:[1,1,0] neg_lo:[0,0,1] neg_hi:[0,0,1]
	v_mov_b32_e32 v23, v9
	v_pk_add_f32 v[172:173], v[172:173], v[10:11] neg_lo:[0,1] neg_hi:[0,1]
	s_wait_dscnt 0x1
	v_pk_mul_f32 v[10:11], v[4:5], v[2:3] op_sel:[0,1]
	v_pk_mul_f32 v[8:9], v[6:7], v[2:3] op_sel:[0,1]
	v_pk_add_f32 v[164:165], v[164:165], v[24:25] neg_lo:[0,1] neg_hi:[0,1]
	s_wait_dscnt 0x0
	v_pk_mul_f32 v[204:205], v[12:13], v[2:3] op_sel:[0,1]
	v_pk_mul_f32 v[2:3], v[14:15], v[2:3] op_sel:[0,1]
	v_pk_fma_f32 v[24:25], v[4:5], v[0:1], v[10:11] op_sel:[0,0,1] op_sel_hi:[1,0,0]
	v_pk_fma_f32 v[4:5], v[4:5], v[0:1], v[10:11] op_sel:[0,0,1] op_sel_hi:[1,1,0] neg_lo:[0,0,1] neg_hi:[0,0,1]
	v_pk_fma_f32 v[10:11], v[6:7], v[0:1], v[8:9] op_sel:[0,0,1] op_sel_hi:[1,0,0]
	v_pk_fma_f32 v[6:7], v[6:7], v[0:1], v[8:9] op_sel:[0,0,1] op_sel_hi:[1,1,0] neg_lo:[0,0,1] neg_hi:[0,0,1]
	v_pk_fma_f32 v[8:9], v[14:15], v[0:1], v[2:3] op_sel:[0,0,1] op_sel_hi:[1,0,0]
	v_mov_b32_e32 v5, v25
	v_pk_fma_f32 v[24:25], v[12:13], v[0:1], v[204:205] op_sel:[0,0,1] op_sel_hi:[1,0,0]
	v_mov_b32_e32 v7, v11
	v_pk_fma_f32 v[10:11], v[12:13], v[0:1], v[204:205] op_sel:[0,0,1] op_sel_hi:[1,1,0] neg_lo:[0,0,1] neg_hi:[0,0,1]
	v_pk_fma_f32 v[0:1], v[14:15], v[0:1], v[2:3] op_sel:[0,0,1] op_sel_hi:[1,1,0] neg_lo:[0,0,1] neg_hi:[0,0,1]
	s_delay_alu instid0(VALU_DEP_4) | instskip(SKIP_3) | instid1(VALU_DEP_4)
	v_dual_mov_b32 v1, v9 :: v_dual_mov_b32 v11, v25
	v_pk_add_f32 v[170:171], v[170:171], v[22:23] neg_lo:[0,1] neg_hi:[0,1]
	v_pk_add_f32 v[162:163], v[162:163], v[4:5] neg_lo:[0,1] neg_hi:[0,1]
	;; [unrolled: 1-line block ×5, first 2 shown]
.LBB89_100:
	s_or_b32 exec_lo, exec_lo, s1
	s_delay_alu instid0(SALU_CYCLE_1)
	s_mov_b32 s2, exec_lo
	s_wait_dscnt 0x0
	s_barrier_signal -1
	s_barrier_wait -1
	v_cmpx_eq_u32_e32 11, v38
	s_cbranch_execz .LBB89_107
; %bb.101:
	v_dual_mov_b32 v0, v104 :: v_dual_mov_b32 v1, v105
	v_dual_mov_b32 v2, v102 :: v_dual_mov_b32 v3, v103
	;; [unrolled: 1-line block ×8, first 2 shown]
	ds_store_b64 v39, v[76:77]
	ds_store_2addr_b64 v20, v[0:1], v[2:3] offset0:12 offset1:13
	ds_store_2addr_b64 v20, v[4:5], v[6:7] offset0:14 offset1:15
	;; [unrolled: 1-line block ×4, first 2 shown]
	v_dual_mov_b32 v0, v88 :: v_dual_mov_b32 v1, v89
	v_dual_mov_b32 v2, v84 :: v_dual_mov_b32 v3, v85
	;; [unrolled: 1-line block ×12, first 2 shown]
	ds_store_2addr_b64 v20, v[0:1], v[2:3] offset0:20 offset1:21
	ds_store_2addr_b64 v20, v[4:5], v[6:7] offset0:22 offset1:23
	;; [unrolled: 1-line block ×6, first 2 shown]
	v_dual_mov_b32 v0, v150 :: v_dual_mov_b32 v1, v151
	v_dual_mov_b32 v2, v146 :: v_dual_mov_b32 v3, v147
	v_dual_mov_b32 v4, v148 :: v_dual_mov_b32 v5, v149
	v_dual_mov_b32 v6, v144 :: v_dual_mov_b32 v7, v145
	v_dual_mov_b32 v8, v174 :: v_dual_mov_b32 v9, v175
	v_dual_mov_b32 v10, v166 :: v_dual_mov_b32 v11, v167
	v_dual_mov_b32 v12, v172 :: v_dual_mov_b32 v13, v173
	v_dual_mov_b32 v14, v164 :: v_dual_mov_b32 v15, v165
	v_dual_mov_b32 v22, v170 :: v_dual_mov_b32 v23, v171
	v_dual_mov_b32 v24, v162 :: v_dual_mov_b32 v25, v163
	v_dual_mov_b32 v204, v168 :: v_dual_mov_b32 v205, v169
	v_dual_mov_b32 v206, v176 :: v_dual_mov_b32 v207, v177
	ds_store_2addr_b64 v20, v[0:1], v[2:3] offset0:32 offset1:33
	ds_store_2addr_b64 v20, v[4:5], v[6:7] offset0:34 offset1:35
	;; [unrolled: 1-line block ×6, first 2 shown]
	ds_store_b64 v20, v[180:181] offset:352
	ds_load_b64 v[0:1], v39
	s_wait_dscnt 0x0
	v_cmp_neq_f32_e32 vcc_lo, 0, v0
	v_cmp_neq_f32_e64 s1, 0, v1
	s_or_b32 s1, vcc_lo, s1
	s_delay_alu instid0(SALU_CYCLE_1)
	s_and_b32 exec_lo, exec_lo, s1
	s_cbranch_execz .LBB89_107
; %bb.102:
	v_cmp_ngt_f32_e64 s1, |v0|, |v1|
                                        ; implicit-def: $vgpr2_vgpr3
	s_and_saveexec_b32 s4, s1
	s_delay_alu instid0(SALU_CYCLE_1)
	s_xor_b32 s1, exec_lo, s4
	s_cbranch_execz .LBB89_104
; %bb.103:
	v_div_scale_f32 v2, null, v1, v1, v0
	v_div_scale_f32 v5, vcc_lo, v0, v1, v0
	s_delay_alu instid0(VALU_DEP_2) | instskip(SKIP_1) | instid1(TRANS32_DEP_1)
	v_rcp_f32_e32 v3, v2
	v_nop
	v_fma_f32 v4, -v2, v3, 1.0
	s_delay_alu instid0(VALU_DEP_1) | instskip(NEXT) | instid1(VALU_DEP_1)
	v_fmac_f32_e32 v3, v4, v3
	v_mul_f32_e32 v4, v5, v3
	s_delay_alu instid0(VALU_DEP_1) | instskip(NEXT) | instid1(VALU_DEP_1)
	v_fma_f32 v6, -v2, v4, v5
	v_fmac_f32_e32 v4, v6, v3
	s_delay_alu instid0(VALU_DEP_1) | instskip(NEXT) | instid1(VALU_DEP_1)
	v_fma_f32 v2, -v2, v4, v5
	v_div_fmas_f32 v2, v2, v3, v4
	s_delay_alu instid0(VALU_DEP_1) | instskip(NEXT) | instid1(VALU_DEP_1)
	v_div_fixup_f32 v2, v2, v1, v0
	v_fmac_f32_e32 v1, v0, v2
	s_delay_alu instid0(VALU_DEP_1) | instskip(SKIP_1) | instid1(VALU_DEP_2)
	v_div_scale_f32 v0, null, v1, v1, 1.0
	v_div_scale_f32 v5, vcc_lo, 1.0, v1, 1.0
	v_rcp_f32_e32 v3, v0
	v_nop
	s_delay_alu instid0(TRANS32_DEP_1) | instskip(NEXT) | instid1(VALU_DEP_1)
	v_fma_f32 v4, -v0, v3, 1.0
	v_fmac_f32_e32 v3, v4, v3
	s_delay_alu instid0(VALU_DEP_1) | instskip(NEXT) | instid1(VALU_DEP_1)
	v_mul_f32_e32 v4, v5, v3
	v_fma_f32 v6, -v0, v4, v5
	s_delay_alu instid0(VALU_DEP_1) | instskip(NEXT) | instid1(VALU_DEP_1)
	v_fmac_f32_e32 v4, v6, v3
	v_fma_f32 v0, -v0, v4, v5
	s_delay_alu instid0(VALU_DEP_1) | instskip(NEXT) | instid1(VALU_DEP_1)
	v_div_fmas_f32 v0, v0, v3, v4
	v_div_fixup_f32 v0, v0, v1, 1.0
	s_delay_alu instid0(VALU_DEP_1)
	v_mul_f32_e32 v2, v2, v0
	v_xor_b32_e32 v3, 0x80000000, v0
                                        ; implicit-def: $vgpr0_vgpr1
.LBB89_104:
	s_and_not1_saveexec_b32 s1, s1
	s_cbranch_execz .LBB89_106
; %bb.105:
	v_div_scale_f32 v2, null, v0, v0, v1
	v_div_scale_f32 v5, vcc_lo, v1, v0, v1
	s_delay_alu instid0(VALU_DEP_2) | instskip(SKIP_1) | instid1(TRANS32_DEP_1)
	v_rcp_f32_e32 v3, v2
	v_nop
	v_fma_f32 v4, -v2, v3, 1.0
	s_delay_alu instid0(VALU_DEP_1) | instskip(NEXT) | instid1(VALU_DEP_1)
	v_fmac_f32_e32 v3, v4, v3
	v_mul_f32_e32 v4, v5, v3
	s_delay_alu instid0(VALU_DEP_1) | instskip(NEXT) | instid1(VALU_DEP_1)
	v_fma_f32 v6, -v2, v4, v5
	v_fmac_f32_e32 v4, v6, v3
	s_delay_alu instid0(VALU_DEP_1) | instskip(NEXT) | instid1(VALU_DEP_1)
	v_fma_f32 v2, -v2, v4, v5
	v_div_fmas_f32 v2, v2, v3, v4
	s_delay_alu instid0(VALU_DEP_1) | instskip(NEXT) | instid1(VALU_DEP_1)
	v_div_fixup_f32 v3, v2, v0, v1
	v_fmac_f32_e32 v0, v1, v3
	s_delay_alu instid0(VALU_DEP_1) | instskip(NEXT) | instid1(VALU_DEP_1)
	v_div_scale_f32 v1, null, v0, v0, 1.0
	v_rcp_f32_e32 v2, v1
	v_nop
	s_delay_alu instid0(TRANS32_DEP_1) | instskip(NEXT) | instid1(VALU_DEP_1)
	v_fma_f32 v4, -v1, v2, 1.0
	v_fmac_f32_e32 v2, v4, v2
	v_div_scale_f32 v4, vcc_lo, 1.0, v0, 1.0
	s_delay_alu instid0(VALU_DEP_1) | instskip(NEXT) | instid1(VALU_DEP_1)
	v_mul_f32_e32 v5, v4, v2
	v_fma_f32 v6, -v1, v5, v4
	s_delay_alu instid0(VALU_DEP_1) | instskip(NEXT) | instid1(VALU_DEP_1)
	v_fmac_f32_e32 v5, v6, v2
	v_fma_f32 v1, -v1, v5, v4
	s_delay_alu instid0(VALU_DEP_1) | instskip(NEXT) | instid1(VALU_DEP_1)
	v_div_fmas_f32 v1, v1, v2, v5
	v_div_fixup_f32 v2, v1, v0, 1.0
	s_delay_alu instid0(VALU_DEP_1)
	v_mul_f32_e64 v3, v3, -v2
.LBB89_106:
	s_or_b32 exec_lo, exec_lo, s1
	ds_store_b64 v39, v[2:3]
.LBB89_107:
	s_or_b32 exec_lo, exec_lo, s2
	s_wait_dscnt 0x0
	s_barrier_signal -1
	s_barrier_wait -1
	ds_load_b64 v[204:205], v39
	s_mov_b32 s1, exec_lo
	v_cmpx_lt_u32_e32 11, v38
	s_cbranch_execz .LBB89_109
; %bb.108:
	ds_load_2addr_b64 v[4:7], v20 offset0:12 offset1:13
	ds_load_2addr_b64 v[8:11], v20 offset0:14 offset1:15
	;; [unrolled: 1-line block ×3, first 2 shown]
	s_wait_dscnt 0x3
	v_pk_mul_f32 v[2:3], v[204:205], v[76:77] op_sel:[1,1] op_sel_hi:[0,1]
	ds_load_2addr_b64 v[206:209], v20 offset0:18 offset1:19
	ds_load_2addr_b64 v[210:213], v20 offset0:20 offset1:21
	v_pk_fma_f32 v[0:1], v[204:205], v[76:77], v[2:3] op_sel_hi:[1,0,1] neg_lo:[0,0,1] neg_hi:[0,0,1]
	v_pk_fma_f32 v[2:3], v[204:205], v[76:77], v[2:3] op_sel_hi:[1,0,1]
	s_delay_alu instid0(VALU_DEP_1) | instskip(SKIP_1) | instid1(VALU_DEP_2)
	v_dual_mov_b32 v76, v0 :: v_dual_mov_b32 v77, v3
	s_wait_dscnt 0x4
	v_pk_mul_f32 v[22:23], v[4:5], v[2:3] op_sel:[0,1]
	v_pk_mul_f32 v[24:25], v[6:7], v[2:3] op_sel:[0,1]
	s_wait_dscnt 0x3
	v_pk_mul_f32 v[214:215], v[8:9], v[2:3] op_sel:[0,1]
	v_dual_mov_b32 v216, v11 :: v_dual_mov_b32 v217, v10
	v_dual_mul_f32 v218, v11, v3 :: v_dual_mul_f32 v220, v11, v0
	s_wait_dscnt 0x2
	v_pk_mul_f32 v[222:223], v[12:13], v[2:3] op_sel:[0,1]
	v_pk_mul_f32 v[224:225], v[14:15], v[2:3] op_sel:[0,1]
	v_pk_fma_f32 v[226:227], v[4:5], v[0:1], v[22:23] op_sel:[0,0,1] op_sel_hi:[1,1,0] neg_lo:[0,0,1] neg_hi:[0,0,1]
	v_pk_fma_f32 v[4:5], v[4:5], v[0:1], v[22:23] op_sel:[0,0,1] op_sel_hi:[1,0,0]
	v_pk_fma_f32 v[22:23], v[6:7], v[0:1], v[24:25] op_sel:[0,0,1] op_sel_hi:[1,1,0] neg_lo:[0,0,1] neg_hi:[0,0,1]
	v_pk_fma_f32 v[6:7], v[6:7], v[0:1], v[24:25] op_sel:[0,0,1] op_sel_hi:[1,0,0]
	;; [unrolled: 2-line block ×3, first 2 shown]
	v_pk_fma_f32 v[214:215], v[216:217], v[76:77], v[220:221] op_sel_hi:[1,1,0]
	v_pk_fma_f32 v[216:217], v[12:13], v[0:1], v[222:223] op_sel:[0,0,1] op_sel_hi:[1,1,0] neg_lo:[0,0,1] neg_hi:[0,0,1]
	v_pk_fma_f32 v[12:13], v[12:13], v[0:1], v[222:223] op_sel:[0,0,1] op_sel_hi:[1,0,0]
	v_dual_mov_b32 v227, v5 :: v_dual_mov_b32 v23, v7
	v_pk_fma_f32 v[4:5], v[14:15], v[0:1], v[224:225] op_sel:[0,0,1] op_sel_hi:[1,0,0]
	v_pk_fma_f32 v[10:11], v[10:11], v[76:77], v[218:219] op_sel_hi:[1,1,0] neg_lo:[0,0,1] neg_hi:[0,0,1]
	v_pk_fma_f32 v[6:7], v[14:15], v[0:1], v[224:225] op_sel:[0,0,1] op_sel_hi:[1,1,0] neg_lo:[0,0,1] neg_hi:[0,0,1]
	v_dual_mov_b32 v25, v9 :: v_dual_mov_b32 v11, v215
	s_delay_alu instid0(VALU_DEP_4)
	v_dual_mov_b32 v217, v13 :: v_dual_mov_b32 v7, v5
	s_wait_dscnt 0x1
	v_pk_mul_f32 v[8:9], v[206:207], v[2:3] op_sel:[0,1]
	v_pk_add_f32 v[102:103], v[102:103], v[22:23] neg_lo:[0,1] neg_hi:[0,1]
	v_pk_add_f32 v[34:35], v[34:35], v[10:11] neg_lo:[0,1] neg_hi:[0,1]
	v_pk_mul_f32 v[22:23], v[208:209], v[2:3] op_sel:[0,1]
	v_pk_add_f32 v[62:63], v[62:63], v[6:7] neg_lo:[0,1] neg_hi:[0,1]
	v_pk_fma_f32 v[12:13], v[206:207], v[0:1], v[8:9] op_sel:[0,0,1] op_sel_hi:[1,0,0]
	ds_load_2addr_b64 v[4:7], v20 offset0:22 offset1:23
	v_pk_fma_f32 v[14:15], v[206:207], v[0:1], v[8:9] op_sel:[0,0,1] op_sel_hi:[1,1,0] neg_lo:[0,0,1] neg_hi:[0,0,1]
	ds_load_2addr_b64 v[8:11], v20 offset0:24 offset1:25
	s_wait_dscnt 0x2
	v_dual_mul_f32 v12, v211, v0 :: v_dual_mov_b32 v15, v13
	v_pk_add_f32 v[36:37], v[36:37], v[24:25] neg_lo:[0,1] neg_hi:[0,1]
	v_pk_mul_f32 v[24:25], v[212:213], v[2:3] op_sel:[0,1]
	v_pk_fma_f32 v[206:207], v[208:209], v[0:1], v[22:23] op_sel:[0,0,1] op_sel_hi:[1,0,0]
	s_delay_alu instid0(VALU_DEP_4)
	v_pk_fma_f32 v[12:13], v[210:211], v[76:77], v[12:13] op_sel:[1,0,0] op_sel_hi:[0,1,0]
	v_mul_f32_e32 v206, v211, v3
	v_pk_fma_f32 v[22:23], v[208:209], v[0:1], v[22:23] op_sel:[0,0,1] op_sel_hi:[1,1,0] neg_lo:[0,0,1] neg_hi:[0,0,1]
	v_pk_fma_f32 v[208:209], v[212:213], v[0:1], v[24:25] op_sel:[0,0,1] op_sel_hi:[1,0,0]
	v_mov_b32_e32 v23, v207
	v_pk_add_f32 v[64:65], v[64:65], v[14:15] neg_lo:[0,1] neg_hi:[0,1]
	v_pk_fma_f32 v[206:207], v[210:211], v[76:77], v[206:207] op_sel_hi:[1,1,0] neg_lo:[0,0,1] neg_hi:[0,0,1]
	v_mov_b32_e32 v207, v13
	v_pk_fma_f32 v[12:13], v[212:213], v[0:1], v[24:25] op_sel:[0,0,1] op_sel_hi:[1,1,0] neg_lo:[0,0,1] neg_hi:[0,0,1]
	v_mov_b32_e32 v13, v209
	v_pk_add_f32 v[60:61], v[60:61], v[22:23] neg_lo:[0,1] neg_hi:[0,1]
	v_pk_add_f32 v[66:67], v[66:67], v[216:217] neg_lo:[0,1] neg_hi:[0,1]
	s_wait_dscnt 0x1
	v_pk_mul_f32 v[22:23], v[4:5], v[2:3] op_sel:[0,1]
	v_pk_mul_f32 v[24:25], v[6:7], v[2:3] op_sel:[0,1]
	s_wait_dscnt 0x0
	v_pk_mul_f32 v[210:211], v[8:9], v[2:3] op_sel:[0,1]
	v_pk_add_f32 v[88:89], v[88:89], v[206:207] neg_lo:[0,1] neg_hi:[0,1]
	v_pk_add_f32 v[84:85], v[84:85], v[12:13] neg_lo:[0,1] neg_hi:[0,1]
	ds_load_2addr_b64 v[12:15], v20 offset0:26 offset1:27
	ds_load_2addr_b64 v[206:209], v20 offset0:28 offset1:29
	v_pk_fma_f32 v[212:213], v[4:5], v[0:1], v[22:23] op_sel:[0,0,1] op_sel_hi:[1,0,0]
	v_pk_fma_f32 v[4:5], v[4:5], v[0:1], v[22:23] op_sel:[0,0,1] op_sel_hi:[1,1,0] neg_lo:[0,0,1] neg_hi:[0,0,1]
	v_pk_fma_f32 v[22:23], v[6:7], v[0:1], v[24:25] op_sel:[0,0,1] op_sel_hi:[1,0,0]
	v_pk_fma_f32 v[214:215], v[8:9], v[0:1], v[210:211] op_sel:[0,0,1] op_sel_hi:[1,0,0]
	v_pk_fma_f32 v[6:7], v[6:7], v[0:1], v[24:25] op_sel:[0,0,1] op_sel_hi:[1,1,0] neg_lo:[0,0,1] neg_hi:[0,0,1]
	v_pk_fma_f32 v[8:9], v[8:9], v[0:1], v[210:211] op_sel:[0,0,1] op_sel_hi:[1,1,0] neg_lo:[0,0,1] neg_hi:[0,0,1]
	s_delay_alu instid0(VALU_DEP_4) | instskip(NEXT) | instid1(VALU_DEP_4)
	v_dual_mov_b32 v5, v213 :: v_dual_mov_b32 v7, v23
	v_dual_mov_b32 v9, v215 :: v_dual_mov_b32 v22, v11
	v_dual_mov_b32 v23, v10 :: v_dual_mul_f32 v24, v11, v0
	s_delay_alu instid0(VALU_DEP_3) | instskip(NEXT) | instid1(VALU_DEP_3)
	v_pk_add_f32 v[86:87], v[86:87], v[4:5] neg_lo:[0,1] neg_hi:[0,1]
	v_pk_add_f32 v[112:113], v[112:113], v[8:9] neg_lo:[0,1] neg_hi:[0,1]
	v_pk_add_f32 v[82:83], v[82:83], v[6:7] neg_lo:[0,1] neg_hi:[0,1]
	ds_load_2addr_b64 v[4:7], v20 offset0:30 offset1:31
	v_pk_fma_f32 v[8:9], v[22:23], v[76:77], v[24:25] op_sel_hi:[1,1,0]
	v_mul_f32_e32 v210, v11, v3
	s_wait_dscnt 0x2
	v_pk_mul_f32 v[24:25], v[12:13], v[2:3] op_sel:[0,1]
	s_wait_dscnt 0x1
	v_pk_mul_f32 v[212:213], v[206:207], v[2:3] op_sel:[0,1]
	v_pk_add_f32 v[104:105], v[104:105], v[226:227] neg_lo:[0,1] neg_hi:[0,1]
	v_pk_fma_f32 v[22:23], v[10:11], v[76:77], v[210:211] op_sel_hi:[1,1,0] neg_lo:[0,0,1] neg_hi:[0,0,1]
	v_mov_b32_e32 v23, v9
	ds_load_2addr_b64 v[8:11], v20 offset0:32 offset1:33
	v_pk_mul_f32 v[210:211], v[14:15], v[2:3] op_sel:[0,1]
	v_pk_fma_f32 v[214:215], v[12:13], v[0:1], v[24:25] op_sel:[0,0,1] op_sel_hi:[1,0,0]
	v_pk_fma_f32 v[12:13], v[12:13], v[0:1], v[24:25] op_sel:[0,0,1] op_sel_hi:[1,1,0] neg_lo:[0,0,1] neg_hi:[0,0,1]
	v_pk_fma_f32 v[24:25], v[206:207], v[0:1], v[212:213] op_sel:[0,0,1] op_sel_hi:[1,0,0]
	v_pk_fma_f32 v[206:207], v[206:207], v[0:1], v[212:213] op_sel:[0,0,1] op_sel_hi:[1,1,0] neg_lo:[0,0,1] neg_hi:[0,0,1]
	;; [unrolled: 2-line block ×3, first 2 shown]
	s_delay_alu instid0(VALU_DEP_4) | instskip(SKIP_1) | instid1(VALU_DEP_4)
	v_dual_mov_b32 v13, v215 :: v_dual_mov_b32 v207, v25
	v_pk_mul_f32 v[24:25], v[208:209], v[2:3] op_sel:[0,1]
	v_mov_b32_e32 v15, v217
	v_pk_add_f32 v[108:109], v[108:109], v[22:23] neg_lo:[0,1] neg_hi:[0,1]
	s_delay_alu instid0(VALU_DEP_4) | instskip(NEXT) | instid1(VALU_DEP_4)
	v_pk_add_f32 v[110:111], v[110:111], v[12:13] neg_lo:[0,1] neg_hi:[0,1]
	v_pk_fma_f32 v[22:23], v[208:209], v[0:1], v[24:25] op_sel:[0,0,1] op_sel_hi:[1,1,0] neg_lo:[0,0,1] neg_hi:[0,0,1]
	v_pk_fma_f32 v[24:25], v[208:209], v[0:1], v[24:25] op_sel:[0,0,1] op_sel_hi:[1,0,0]
	v_pk_add_f32 v[106:107], v[106:107], v[14:15] neg_lo:[0,1] neg_hi:[0,1]
	ds_load_2addr_b64 v[12:15], v20 offset0:34 offset1:35
	s_wait_dscnt 0x2
	v_mul_f32_e32 v24, v5, v0
	s_wait_dscnt 0x1
	v_pk_mul_f32 v[210:211], v[8:9], v[2:3] op_sel:[0,1]
	v_mov_b32_e32 v23, v25
	v_pk_add_f32 v[128:129], v[128:129], v[206:207] neg_lo:[0,1] neg_hi:[0,1]
	v_mul_f32_e32 v206, v5, v3
	v_pk_mul_f32 v[208:209], v[6:7], v[2:3] op_sel:[0,1]
	v_pk_fma_f32 v[212:213], v[4:5], v[76:77], v[24:25] op_sel:[1,0,0] op_sel_hi:[0,1,0]
	v_pk_add_f32 v[124:125], v[124:125], v[22:23] neg_lo:[0,1] neg_hi:[0,1]
	s_delay_alu instid0(VALU_DEP_4) | instskip(SKIP_4) | instid1(VALU_DEP_4)
	v_pk_fma_f32 v[206:207], v[4:5], v[76:77], v[206:207] op_sel_hi:[1,1,0] neg_lo:[0,0,1] neg_hi:[0,0,1]
	v_pk_fma_f32 v[4:5], v[8:9], v[0:1], v[210:211] op_sel:[0,0,1] op_sel_hi:[1,0,0]
	v_pk_fma_f32 v[8:9], v[8:9], v[0:1], v[210:211] op_sel:[0,0,1] op_sel_hi:[1,1,0] neg_lo:[0,0,1] neg_hi:[0,0,1]
	v_pk_fma_f32 v[24:25], v[6:7], v[0:1], v[208:209] op_sel:[0,0,1] op_sel_hi:[1,0,0]
	v_pk_fma_f32 v[208:209], v[6:7], v[0:1], v[208:209] op_sel:[0,0,1] op_sel_hi:[1,1,0] neg_lo:[0,0,1] neg_hi:[0,0,1]
	v_dual_mov_b32 v207, v213 :: v_dual_mov_b32 v9, v5
	ds_load_2addr_b64 v[4:7], v20 offset0:36 offset1:37
	v_mov_b32_e32 v209, v25
	v_pk_mul_f32 v[24:25], v[10:11], v[2:3] op_sel:[0,1]
	v_pk_add_f32 v[126:127], v[126:127], v[206:207] neg_lo:[0,1] neg_hi:[0,1]
	s_wait_dscnt 0x1
	v_pk_mul_f32 v[206:207], v[12:13], v[2:3] op_sel:[0,1]
	v_pk_add_f32 v[122:123], v[122:123], v[208:209] neg_lo:[0,1] neg_hi:[0,1]
	v_pk_fma_f32 v[22:23], v[10:11], v[0:1], v[24:25] op_sel:[0,0,1] op_sel_hi:[1,1,0] neg_lo:[0,0,1] neg_hi:[0,0,1]
	v_pk_fma_f32 v[24:25], v[10:11], v[0:1], v[24:25] op_sel:[0,0,1] op_sel_hi:[1,0,0]
	s_delay_alu instid0(VALU_DEP_4)
	v_pk_fma_f32 v[210:211], v[12:13], v[0:1], v[206:207] op_sel:[0,0,1] op_sel_hi:[1,0,0]
	v_mov_b32_e32 v208, v15
	v_pk_add_f32 v[150:151], v[150:151], v[8:9] neg_lo:[0,1] neg_hi:[0,1]
	v_dual_mov_b32 v209, v14 :: v_dual_mul_f32 v24, v15, v0
	ds_load_2addr_b64 v[8:11], v20 offset0:38 offset1:39
	v_dual_mul_f32 v210, v15, v3 :: v_dual_mov_b32 v23, v25
	v_pk_fma_f32 v[206:207], v[12:13], v[0:1], v[206:207] op_sel:[0,0,1] op_sel_hi:[1,1,0] neg_lo:[0,0,1] neg_hi:[0,0,1]
	v_pk_fma_f32 v[24:25], v[208:209], v[76:77], v[24:25] op_sel_hi:[1,1,0]
	v_mov_b32_e32 v207, v211
	s_delay_alu instid0(VALU_DEP_4)
	v_pk_fma_f32 v[208:209], v[14:15], v[76:77], v[210:211] op_sel_hi:[1,1,0] neg_lo:[0,0,1] neg_hi:[0,0,1]
	s_wait_dscnt 0x1
	v_pk_mul_f32 v[210:211], v[4:5], v[2:3] op_sel:[0,1]
	ds_load_2addr_b64 v[12:15], v20 offset0:40 offset1:41
	v_mov_b32_e32 v209, v25
	v_pk_add_f32 v[146:147], v[146:147], v[22:23] neg_lo:[0,1] neg_hi:[0,1]
	v_pk_mul_f32 v[22:23], v[6:7], v[2:3] op_sel:[0,1]
	v_pk_fma_f32 v[24:25], v[4:5], v[0:1], v[210:211] op_sel:[0,0,1] op_sel_hi:[1,0,0]
	v_pk_add_f32 v[148:149], v[148:149], v[206:207] neg_lo:[0,1] neg_hi:[0,1]
	v_pk_fma_f32 v[206:207], v[4:5], v[0:1], v[210:211] op_sel:[0,0,1] op_sel_hi:[1,1,0] neg_lo:[0,0,1] neg_hi:[0,0,1]
	v_pk_add_f32 v[144:145], v[144:145], v[208:209] neg_lo:[0,1] neg_hi:[0,1]
	v_pk_fma_f32 v[208:209], v[6:7], v[0:1], v[22:23] op_sel:[0,0,1] op_sel_hi:[1,0,0]
	v_mov_b32_e32 v207, v25
	v_pk_fma_f32 v[22:23], v[6:7], v[0:1], v[22:23] op_sel:[0,0,1] op_sel_hi:[1,1,0] neg_lo:[0,0,1] neg_hi:[0,0,1]
	ds_load_2addr_b64 v[4:7], v20 offset0:42 offset1:43
	s_wait_dscnt 0x2
	v_pk_mul_f32 v[24:25], v[8:9], v[2:3] op_sel:[0,1]
	v_mov_b32_e32 v23, v209
	v_pk_add_f32 v[174:175], v[174:175], v[206:207] neg_lo:[0,1] neg_hi:[0,1]
	ds_load_b64 v[206:207], v20 offset:352
	v_pk_mul_f32 v[208:209], v[10:11], v[2:3] op_sel:[0,1]
	v_pk_fma_f32 v[210:211], v[8:9], v[0:1], v[24:25] op_sel:[0,0,1] op_sel_hi:[1,0,0]
	v_pk_add_f32 v[166:167], v[166:167], v[22:23] neg_lo:[0,1] neg_hi:[0,1]
	v_pk_fma_f32 v[8:9], v[8:9], v[0:1], v[24:25] op_sel:[0,0,1] op_sel_hi:[1,1,0] neg_lo:[0,0,1] neg_hi:[0,0,1]
	s_wait_dscnt 0x2
	v_mul_f32_e32 v24, v13, v3
	v_pk_fma_f32 v[22:23], v[10:11], v[0:1], v[208:209] op_sel:[0,0,1] op_sel_hi:[1,0,0]
	v_dual_mul_f32 v22, v13, v0 :: v_dual_mov_b32 v9, v211
	v_pk_fma_f32 v[10:11], v[10:11], v[0:1], v[208:209] op_sel:[0,0,1] op_sel_hi:[1,1,0] neg_lo:[0,0,1] neg_hi:[0,0,1]
	s_delay_alu instid0(VALU_DEP_3) | instskip(NEXT) | instid1(VALU_DEP_3)
	v_mov_b32_e32 v11, v23
	v_pk_fma_f32 v[22:23], v[12:13], v[76:77], v[22:23] op_sel:[1,0,0] op_sel_hi:[0,1,0]
	s_delay_alu instid0(VALU_DEP_4) | instskip(SKIP_1) | instid1(VALU_DEP_4)
	v_pk_add_f32 v[172:173], v[172:173], v[8:9] neg_lo:[0,1] neg_hi:[0,1]
	v_pk_mul_f32 v[8:9], v[14:15], v[2:3] op_sel:[0,1]
	v_pk_add_f32 v[164:165], v[164:165], v[10:11] neg_lo:[0,1] neg_hi:[0,1]
	v_pk_fma_f32 v[10:11], v[12:13], v[76:77], v[24:25] op_sel_hi:[1,1,0] neg_lo:[0,0,1] neg_hi:[0,0,1]
	v_mov_b32_e32 v11, v23
	s_wait_dscnt 0x1
	v_pk_mul_f32 v[12:13], v[4:5], v[2:3] op_sel:[0,1]
	v_pk_fma_f32 v[22:23], v[14:15], v[0:1], v[8:9] op_sel:[0,0,1] op_sel_hi:[1,0,0]
	v_pk_mul_f32 v[24:25], v[6:7], v[2:3] op_sel:[0,1]
	s_wait_dscnt 0x0
	v_pk_mul_f32 v[2:3], v[206:207], v[2:3] op_sel:[0,1]
	v_pk_fma_f32 v[8:9], v[14:15], v[0:1], v[8:9] op_sel:[0,0,1] op_sel_hi:[1,1,0] neg_lo:[0,0,1] neg_hi:[0,0,1]
	v_pk_fma_f32 v[14:15], v[4:5], v[0:1], v[12:13] op_sel:[0,0,1] op_sel_hi:[1,0,0]
	v_mov_b32_e32 v9, v23
	v_pk_fma_f32 v[22:23], v[6:7], v[0:1], v[24:25] op_sel:[0,0,1] op_sel_hi:[1,0,0]
	v_pk_fma_f32 v[4:5], v[4:5], v[0:1], v[12:13] op_sel:[0,0,1] op_sel_hi:[1,1,0] neg_lo:[0,0,1] neg_hi:[0,0,1]
	v_pk_fma_f32 v[12:13], v[206:207], v[0:1], v[2:3] op_sel:[0,0,1] op_sel_hi:[1,0,0]
	v_pk_fma_f32 v[6:7], v[6:7], v[0:1], v[24:25] op_sel:[0,0,1] op_sel_hi:[1,1,0] neg_lo:[0,0,1] neg_hi:[0,0,1]
	v_pk_fma_f32 v[0:1], v[206:207], v[0:1], v[2:3] op_sel:[0,0,1] op_sel_hi:[1,1,0] neg_lo:[0,0,1] neg_hi:[0,0,1]
	v_dual_mov_b32 v5, v15 :: v_dual_mov_b32 v7, v23
	s_delay_alu instid0(VALU_DEP_4) | instskip(SKIP_2) | instid1(VALU_DEP_4)
	v_mov_b32_e32 v1, v13
	v_pk_add_f32 v[170:171], v[170:171], v[10:11] neg_lo:[0,1] neg_hi:[0,1]
	v_pk_add_f32 v[162:163], v[162:163], v[8:9] neg_lo:[0,1] neg_hi:[0,1]
	;; [unrolled: 1-line block ×5, first 2 shown]
.LBB89_109:
	s_or_b32 exec_lo, exec_lo, s1
	s_delay_alu instid0(SALU_CYCLE_1)
	s_mov_b32 s2, exec_lo
	s_wait_dscnt 0x0
	s_barrier_signal -1
	s_barrier_wait -1
	v_cmpx_eq_u32_e32 12, v38
	s_cbranch_execz .LBB89_116
; %bb.110:
	ds_store_b64 v39, v[104:105]
	ds_store_2addr_b64 v20, v[102:103], v[36:37] offset0:13 offset1:14
	ds_store_2addr_b64 v20, v[34:35], v[66:67] offset0:15 offset1:16
	;; [unrolled: 1-line block ×16, first 2 shown]
	ds_load_b64 v[0:1], v39
	s_wait_dscnt 0x0
	v_cmp_neq_f32_e32 vcc_lo, 0, v0
	v_cmp_neq_f32_e64 s1, 0, v1
	s_or_b32 s1, vcc_lo, s1
	s_delay_alu instid0(SALU_CYCLE_1)
	s_and_b32 exec_lo, exec_lo, s1
	s_cbranch_execz .LBB89_116
; %bb.111:
	v_cmp_ngt_f32_e64 s1, |v0|, |v1|
                                        ; implicit-def: $vgpr2_vgpr3
	s_and_saveexec_b32 s4, s1
	s_delay_alu instid0(SALU_CYCLE_1)
	s_xor_b32 s1, exec_lo, s4
	s_cbranch_execz .LBB89_113
; %bb.112:
	v_div_scale_f32 v2, null, v1, v1, v0
	v_div_scale_f32 v5, vcc_lo, v0, v1, v0
	s_delay_alu instid0(VALU_DEP_2) | instskip(SKIP_1) | instid1(TRANS32_DEP_1)
	v_rcp_f32_e32 v3, v2
	v_nop
	v_fma_f32 v4, -v2, v3, 1.0
	s_delay_alu instid0(VALU_DEP_1) | instskip(NEXT) | instid1(VALU_DEP_1)
	v_fmac_f32_e32 v3, v4, v3
	v_mul_f32_e32 v4, v5, v3
	s_delay_alu instid0(VALU_DEP_1) | instskip(NEXT) | instid1(VALU_DEP_1)
	v_fma_f32 v6, -v2, v4, v5
	v_fmac_f32_e32 v4, v6, v3
	s_delay_alu instid0(VALU_DEP_1) | instskip(NEXT) | instid1(VALU_DEP_1)
	v_fma_f32 v2, -v2, v4, v5
	v_div_fmas_f32 v2, v2, v3, v4
	s_delay_alu instid0(VALU_DEP_1) | instskip(NEXT) | instid1(VALU_DEP_1)
	v_div_fixup_f32 v2, v2, v1, v0
	v_fmac_f32_e32 v1, v0, v2
	s_delay_alu instid0(VALU_DEP_1) | instskip(SKIP_1) | instid1(VALU_DEP_2)
	v_div_scale_f32 v0, null, v1, v1, 1.0
	v_div_scale_f32 v5, vcc_lo, 1.0, v1, 1.0
	v_rcp_f32_e32 v3, v0
	v_nop
	s_delay_alu instid0(TRANS32_DEP_1) | instskip(NEXT) | instid1(VALU_DEP_1)
	v_fma_f32 v4, -v0, v3, 1.0
	v_fmac_f32_e32 v3, v4, v3
	s_delay_alu instid0(VALU_DEP_1) | instskip(NEXT) | instid1(VALU_DEP_1)
	v_mul_f32_e32 v4, v5, v3
	v_fma_f32 v6, -v0, v4, v5
	s_delay_alu instid0(VALU_DEP_1) | instskip(NEXT) | instid1(VALU_DEP_1)
	v_fmac_f32_e32 v4, v6, v3
	v_fma_f32 v0, -v0, v4, v5
	s_delay_alu instid0(VALU_DEP_1) | instskip(NEXT) | instid1(VALU_DEP_1)
	v_div_fmas_f32 v0, v0, v3, v4
	v_div_fixup_f32 v0, v0, v1, 1.0
	s_delay_alu instid0(VALU_DEP_1)
	v_mul_f32_e32 v2, v2, v0
	v_xor_b32_e32 v3, 0x80000000, v0
                                        ; implicit-def: $vgpr0_vgpr1
.LBB89_113:
	s_and_not1_saveexec_b32 s1, s1
	s_cbranch_execz .LBB89_115
; %bb.114:
	v_div_scale_f32 v2, null, v0, v0, v1
	v_div_scale_f32 v5, vcc_lo, v1, v0, v1
	s_delay_alu instid0(VALU_DEP_2) | instskip(SKIP_1) | instid1(TRANS32_DEP_1)
	v_rcp_f32_e32 v3, v2
	v_nop
	v_fma_f32 v4, -v2, v3, 1.0
	s_delay_alu instid0(VALU_DEP_1) | instskip(NEXT) | instid1(VALU_DEP_1)
	v_fmac_f32_e32 v3, v4, v3
	v_mul_f32_e32 v4, v5, v3
	s_delay_alu instid0(VALU_DEP_1) | instskip(NEXT) | instid1(VALU_DEP_1)
	v_fma_f32 v6, -v2, v4, v5
	v_fmac_f32_e32 v4, v6, v3
	s_delay_alu instid0(VALU_DEP_1) | instskip(NEXT) | instid1(VALU_DEP_1)
	v_fma_f32 v2, -v2, v4, v5
	v_div_fmas_f32 v2, v2, v3, v4
	s_delay_alu instid0(VALU_DEP_1) | instskip(NEXT) | instid1(VALU_DEP_1)
	v_div_fixup_f32 v3, v2, v0, v1
	v_fmac_f32_e32 v0, v1, v3
	s_delay_alu instid0(VALU_DEP_1) | instskip(NEXT) | instid1(VALU_DEP_1)
	v_div_scale_f32 v1, null, v0, v0, 1.0
	v_rcp_f32_e32 v2, v1
	v_nop
	s_delay_alu instid0(TRANS32_DEP_1) | instskip(NEXT) | instid1(VALU_DEP_1)
	v_fma_f32 v4, -v1, v2, 1.0
	v_fmac_f32_e32 v2, v4, v2
	v_div_scale_f32 v4, vcc_lo, 1.0, v0, 1.0
	s_delay_alu instid0(VALU_DEP_1) | instskip(NEXT) | instid1(VALU_DEP_1)
	v_mul_f32_e32 v5, v4, v2
	v_fma_f32 v6, -v1, v5, v4
	s_delay_alu instid0(VALU_DEP_1) | instskip(NEXT) | instid1(VALU_DEP_1)
	v_fmac_f32_e32 v5, v6, v2
	v_fma_f32 v1, -v1, v5, v4
	s_delay_alu instid0(VALU_DEP_1) | instskip(NEXT) | instid1(VALU_DEP_1)
	v_div_fmas_f32 v1, v1, v2, v5
	v_div_fixup_f32 v2, v1, v0, 1.0
	s_delay_alu instid0(VALU_DEP_1)
	v_mul_f32_e64 v3, v3, -v2
.LBB89_115:
	s_or_b32 exec_lo, exec_lo, s1
	ds_store_b64 v39, v[2:3]
.LBB89_116:
	s_or_b32 exec_lo, exec_lo, s2
	s_wait_dscnt 0x0
	s_barrier_signal -1
	s_barrier_wait -1
	ds_load_b64 v[206:207], v39
	s_mov_b32 s1, exec_lo
	v_cmpx_lt_u32_e32 12, v38
	s_cbranch_execz .LBB89_118
; %bb.117:
	ds_load_2addr_b64 v[4:7], v20 offset0:13 offset1:14
	ds_load_2addr_b64 v[8:11], v20 offset0:15 offset1:16
	;; [unrolled: 1-line block ×3, first 2 shown]
	s_wait_dscnt 0x3
	v_pk_mul_f32 v[2:3], v[206:207], v[104:105] op_sel:[1,1] op_sel_hi:[0,1]
	ds_load_2addr_b64 v[208:211], v20 offset0:19 offset1:20
	ds_load_2addr_b64 v[212:215], v20 offset0:21 offset1:22
	v_pk_fma_f32 v[0:1], v[206:207], v[104:105], v[2:3] op_sel_hi:[1,0,1] neg_lo:[0,0,1] neg_hi:[0,0,1]
	v_pk_fma_f32 v[2:3], v[206:207], v[104:105], v[2:3] op_sel_hi:[1,0,1]
	s_delay_alu instid0(VALU_DEP_1) | instskip(SKIP_1) | instid1(VALU_DEP_2)
	v_dual_mov_b32 v104, v0 :: v_dual_mov_b32 v105, v3
	s_wait_dscnt 0x4
	v_pk_mul_f32 v[22:23], v[4:5], v[2:3] op_sel:[0,1]
	v_pk_mul_f32 v[24:25], v[6:7], v[2:3] op_sel:[0,1]
	s_wait_dscnt 0x3
	v_pk_mul_f32 v[216:217], v[8:9], v[2:3] op_sel:[0,1]
	v_dual_mov_b32 v218, v11 :: v_dual_mov_b32 v219, v10
	v_dual_mul_f32 v220, v11, v3 :: v_dual_mul_f32 v222, v11, v0
	s_wait_dscnt 0x2
	v_pk_mul_f32 v[224:225], v[12:13], v[2:3] op_sel:[0,1]
	v_pk_mul_f32 v[226:227], v[14:15], v[2:3] op_sel:[0,1]
	v_pk_fma_f32 v[228:229], v[4:5], v[0:1], v[22:23] op_sel:[0,0,1] op_sel_hi:[1,1,0] neg_lo:[0,0,1] neg_hi:[0,0,1]
	v_pk_fma_f32 v[4:5], v[4:5], v[0:1], v[22:23] op_sel:[0,0,1] op_sel_hi:[1,0,0]
	v_pk_fma_f32 v[22:23], v[6:7], v[0:1], v[24:25] op_sel:[0,0,1] op_sel_hi:[1,1,0] neg_lo:[0,0,1] neg_hi:[0,0,1]
	v_pk_fma_f32 v[6:7], v[6:7], v[0:1], v[24:25] op_sel:[0,0,1] op_sel_hi:[1,0,0]
	;; [unrolled: 2-line block ×3, first 2 shown]
	v_pk_fma_f32 v[216:217], v[218:219], v[104:105], v[222:223] op_sel_hi:[1,1,0]
	v_pk_fma_f32 v[218:219], v[12:13], v[0:1], v[224:225] op_sel:[0,0,1] op_sel_hi:[1,0,0]
	v_dual_mov_b32 v229, v5 :: v_dual_mov_b32 v23, v7
	v_pk_fma_f32 v[4:5], v[14:15], v[0:1], v[226:227] op_sel:[0,0,1] op_sel_hi:[1,0,0]
	v_pk_fma_f32 v[10:11], v[10:11], v[104:105], v[220:221] op_sel_hi:[1,1,0] neg_lo:[0,0,1] neg_hi:[0,0,1]
	v_dual_mov_b32 v25, v9 :: v_dual_mov_b32 v11, v217
	v_pk_fma_f32 v[8:9], v[12:13], v[0:1], v[224:225] op_sel:[0,0,1] op_sel_hi:[1,1,0] neg_lo:[0,0,1] neg_hi:[0,0,1]
	v_pk_fma_f32 v[12:13], v[14:15], v[0:1], v[226:227] op_sel:[0,0,1] op_sel_hi:[1,1,0] neg_lo:[0,0,1] neg_hi:[0,0,1]
	s_wait_dscnt 0x1
	v_pk_mul_f32 v[14:15], v[208:209], v[2:3] op_sel:[0,1]
	v_dual_mov_b32 v9, v219 :: v_dual_mov_b32 v13, v5
	ds_load_2addr_b64 v[4:7], v20 offset0:23 offset1:24
	v_pk_add_f32 v[36:37], v[36:37], v[22:23] neg_lo:[0,1] neg_hi:[0,1]
	v_pk_mul_f32 v[22:23], v[210:211], v[2:3] op_sel:[0,1]
	v_pk_add_f32 v[66:67], v[66:67], v[10:11] neg_lo:[0,1] neg_hi:[0,1]
	v_pk_fma_f32 v[10:11], v[208:209], v[0:1], v[14:15] op_sel:[0,0,1] op_sel_hi:[1,0,0]
	v_pk_add_f32 v[64:65], v[64:65], v[12:13] neg_lo:[0,1] neg_hi:[0,1]
	v_pk_fma_f32 v[12:13], v[208:209], v[0:1], v[14:15] op_sel:[0,0,1] op_sel_hi:[1,1,0] neg_lo:[0,0,1] neg_hi:[0,0,1]
	v_pk_add_f32 v[62:63], v[62:63], v[8:9] neg_lo:[0,1] neg_hi:[0,1]
	v_pk_fma_f32 v[8:9], v[210:211], v[0:1], v[22:23] op_sel:[0,0,1] op_sel_hi:[1,0,0]
	s_wait_dscnt 0x1
	v_dual_mov_b32 v13, v11 :: v_dual_mul_f32 v14, v213, v0
	v_pk_mul_f32 v[208:209], v[214:215], v[2:3] op_sel:[0,1]
	v_pk_fma_f32 v[22:23], v[210:211], v[0:1], v[22:23] op_sel:[0,0,1] op_sel_hi:[1,1,0] neg_lo:[0,0,1] neg_hi:[0,0,1]
	v_pk_add_f32 v[34:35], v[34:35], v[24:25] neg_lo:[0,1] neg_hi:[0,1]
	s_delay_alu instid0(VALU_DEP_4)
	v_pk_add_f32 v[60:61], v[60:61], v[12:13] neg_lo:[0,1] neg_hi:[0,1]
	v_pk_fma_f32 v[14:15], v[212:213], v[104:105], v[14:15] op_sel:[1,0,0] op_sel_hi:[0,1,0]
	v_mul_f32_e32 v24, v213, v3
	v_pk_fma_f32 v[210:211], v[214:215], v[0:1], v[208:209] op_sel:[0,0,1] op_sel_hi:[1,0,0]
	v_mov_b32_e32 v23, v9
	ds_load_2addr_b64 v[8:11], v20 offset0:25 offset1:26
	v_pk_fma_f32 v[208:209], v[214:215], v[0:1], v[208:209] op_sel:[0,0,1] op_sel_hi:[1,1,0] neg_lo:[0,0,1] neg_hi:[0,0,1]
	v_pk_add_f32 v[102:103], v[102:103], v[228:229] neg_lo:[0,1] neg_hi:[0,1]
	v_mov_b32_e32 v209, v211
	v_pk_add_f32 v[88:89], v[88:89], v[22:23] neg_lo:[0,1] neg_hi:[0,1]
	v_pk_fma_f32 v[22:23], v[212:213], v[104:105], v[24:25] op_sel_hi:[1,1,0] neg_lo:[0,0,1] neg_hi:[0,0,1]
	v_mov_b32_e32 v23, v15
	s_wait_dscnt 0x1
	v_pk_mul_f32 v[24:25], v[4:5], v[2:3] op_sel:[0,1]
	ds_load_2addr_b64 v[12:15], v20 offset0:27 offset1:28
	v_pk_mul_f32 v[212:213], v[6:7], v[2:3] op_sel:[0,1]
	v_pk_add_f32 v[86:87], v[86:87], v[208:209] neg_lo:[0,1] neg_hi:[0,1]
	v_pk_add_f32 v[84:85], v[84:85], v[22:23] neg_lo:[0,1] neg_hi:[0,1]
	v_pk_fma_f32 v[22:23], v[4:5], v[0:1], v[24:25] op_sel:[0,0,1] op_sel_hi:[1,0,0]
	v_pk_fma_f32 v[4:5], v[4:5], v[0:1], v[24:25] op_sel:[0,0,1] op_sel_hi:[1,1,0] neg_lo:[0,0,1] neg_hi:[0,0,1]
	v_pk_fma_f32 v[214:215], v[6:7], v[0:1], v[212:213] op_sel:[0,0,1] op_sel_hi:[1,0,0]
	ds_load_2addr_b64 v[208:211], v20 offset0:31 offset1:32
	v_mov_b32_e32 v5, v23
	v_pk_fma_f32 v[22:23], v[6:7], v[0:1], v[212:213] op_sel:[0,0,1] op_sel_hi:[1,1,0] neg_lo:[0,0,1] neg_hi:[0,0,1]
	v_mov_b32_e32 v23, v215
	s_wait_dscnt 0x2
	v_pk_mul_f32 v[24:25], v[8:9], v[2:3] op_sel:[0,1]
	v_dual_mov_b32 v212, v11 :: v_dual_mov_b32 v213, v10
	v_pk_add_f32 v[82:83], v[82:83], v[4:5] neg_lo:[0,1] neg_hi:[0,1]
	ds_load_2addr_b64 v[4:7], v20 offset0:29 offset1:30
	v_pk_add_f32 v[112:113], v[112:113], v[22:23] neg_lo:[0,1] neg_hi:[0,1]
	v_pk_fma_f32 v[22:23], v[8:9], v[0:1], v[24:25] op_sel:[0,0,1] op_sel_hi:[1,0,0]
	v_dual_mul_f32 v22, v11, v0 :: v_dual_mul_f32 v214, v11, v3
	s_wait_dscnt 0x2
	v_pk_mul_f32 v[216:217], v[12:13], v[2:3] op_sel:[0,1]
	v_pk_fma_f32 v[8:9], v[8:9], v[0:1], v[24:25] op_sel:[0,0,1] op_sel_hi:[1,1,0] neg_lo:[0,0,1] neg_hi:[0,0,1]
	s_delay_alu instid0(VALU_DEP_3) | instskip(SKIP_1) | instid1(VALU_DEP_4)
	v_pk_fma_f32 v[24:25], v[212:213], v[104:105], v[22:23] op_sel_hi:[1,1,0]
	v_mov_b32_e32 v9, v23
	v_pk_fma_f32 v[22:23], v[12:13], v[0:1], v[216:217] op_sel:[0,0,1] op_sel_hi:[1,0,0]
	v_pk_mul_f32 v[212:213], v[14:15], v[2:3] op_sel:[0,1]
	v_pk_fma_f32 v[10:11], v[10:11], v[104:105], v[214:215] op_sel_hi:[1,1,0] neg_lo:[0,0,1] neg_hi:[0,0,1]
	v_pk_fma_f32 v[12:13], v[12:13], v[0:1], v[216:217] op_sel:[0,0,1] op_sel_hi:[1,1,0] neg_lo:[0,0,1] neg_hi:[0,0,1]
	v_mov_b32_e32 v11, v25
	v_pk_add_f32 v[108:109], v[108:109], v[8:9] neg_lo:[0,1] neg_hi:[0,1]
	v_pk_fma_f32 v[8:9], v[14:15], v[0:1], v[212:213] op_sel:[0,0,1] op_sel_hi:[1,0,0]
	v_mov_b32_e32 v13, v23
	v_pk_fma_f32 v[24:25], v[14:15], v[0:1], v[212:213] op_sel:[0,0,1] op_sel_hi:[1,1,0] neg_lo:[0,0,1] neg_hi:[0,0,1]
	v_pk_add_f32 v[110:111], v[110:111], v[10:11] neg_lo:[0,1] neg_hi:[0,1]
	s_wait_dscnt 0x0
	v_pk_mul_f32 v[22:23], v[4:5], v[2:3] op_sel:[0,1]
	v_mov_b32_e32 v25, v9
	v_pk_add_f32 v[106:107], v[106:107], v[12:13] neg_lo:[0,1] neg_hi:[0,1]
	ds_load_2addr_b64 v[12:15], v20 offset0:35 offset1:36
	v_pk_mul_f32 v[214:215], v[6:7], v[2:3] op_sel:[0,1]
	v_pk_fma_f32 v[212:213], v[4:5], v[0:1], v[22:23] op_sel:[0,0,1] op_sel_hi:[1,0,0]
	ds_load_2addr_b64 v[8:11], v20 offset0:33 offset1:34
	v_mul_f32_e32 v212, v209, v0
	v_pk_fma_f32 v[4:5], v[4:5], v[0:1], v[22:23] op_sel:[0,0,1] op_sel_hi:[1,1,0] neg_lo:[0,0,1] neg_hi:[0,0,1]
	v_pk_fma_f32 v[22:23], v[6:7], v[0:1], v[214:215] op_sel:[0,0,1] op_sel_hi:[1,0,0]
	v_mul_f32_e32 v22, v209, v3
	v_mov_b32_e32 v5, v213
	v_pk_fma_f32 v[212:213], v[208:209], v[104:105], v[212:213] op_sel:[1,0,0] op_sel_hi:[0,1,0]
	v_pk_fma_f32 v[6:7], v[6:7], v[0:1], v[214:215] op_sel:[0,0,1] op_sel_hi:[1,1,0] neg_lo:[0,0,1] neg_hi:[0,0,1]
	v_mov_b32_e32 v7, v23
	v_pk_fma_f32 v[22:23], v[208:209], v[104:105], v[22:23] op_sel_hi:[1,1,0] neg_lo:[0,0,1] neg_hi:[0,0,1]
	v_pk_mul_f32 v[214:215], v[210:211], v[2:3] op_sel:[0,1]
	v_mov_b32_e32 v23, v213
	v_pk_add_f32 v[128:129], v[128:129], v[24:25] neg_lo:[0,1] neg_hi:[0,1]
	v_pk_add_f32 v[124:125], v[124:125], v[4:5] neg_lo:[0,1] neg_hi:[0,1]
	;; [unrolled: 1-line block ×3, first 2 shown]
	v_pk_fma_f32 v[24:25], v[210:211], v[0:1], v[214:215] op_sel:[0,0,1] op_sel_hi:[1,0,0]
	v_pk_add_f32 v[122:123], v[122:123], v[22:23] neg_lo:[0,1] neg_hi:[0,1]
	v_pk_fma_f32 v[22:23], v[210:211], v[0:1], v[214:215] op_sel:[0,0,1] op_sel_hi:[1,1,0] neg_lo:[0,0,1] neg_hi:[0,0,1]
	ds_load_2addr_b64 v[4:7], v20 offset0:37 offset1:38
	s_wait_dscnt 0x2
	v_pk_mul_f32 v[214:215], v[12:13], v[2:3] op_sel:[0,1]
	s_wait_dscnt 0x1
	v_pk_mul_f32 v[212:213], v[10:11], v[2:3] op_sel:[0,1]
	ds_load_2addr_b64 v[208:211], v20 offset0:39 offset1:40
	v_pk_fma_f32 v[216:217], v[12:13], v[0:1], v[214:215] op_sel:[0,0,1] op_sel_hi:[1,0,0]
	v_mov_b32_e32 v23, v25
	v_pk_mul_f32 v[24:25], v[8:9], v[2:3] op_sel:[0,1]
	v_pk_fma_f32 v[12:13], v[12:13], v[0:1], v[214:215] op_sel:[0,0,1] op_sel_hi:[1,1,0] neg_lo:[0,0,1] neg_hi:[0,0,1]
	s_delay_alu instid0(VALU_DEP_4) | instskip(NEXT) | instid1(VALU_DEP_4)
	v_mov_b32_e32 v13, v217
	v_pk_add_f32 v[150:151], v[150:151], v[22:23] neg_lo:[0,1] neg_hi:[0,1]
	s_delay_alu instid0(VALU_DEP_4) | instskip(SKIP_3) | instid1(VALU_DEP_4)
	v_pk_fma_f32 v[22:23], v[8:9], v[0:1], v[24:25] op_sel:[0,0,1] op_sel_hi:[1,0,0]
	v_pk_fma_f32 v[8:9], v[8:9], v[0:1], v[24:25] op_sel:[0,0,1] op_sel_hi:[1,1,0] neg_lo:[0,0,1] neg_hi:[0,0,1]
	v_pk_fma_f32 v[24:25], v[10:11], v[0:1], v[212:213] op_sel:[0,0,1] op_sel_hi:[1,0,0]
	v_pk_fma_f32 v[10:11], v[10:11], v[0:1], v[212:213] op_sel:[0,0,1] op_sel_hi:[1,1,0] neg_lo:[0,0,1] neg_hi:[0,0,1]
	v_dual_mov_b32 v22, v15 :: v_dual_mov_b32 v9, v23
	v_dual_mov_b32 v23, v14 :: v_dual_mul_f32 v24, v15, v0
	s_delay_alu instid0(VALU_DEP_4) | instskip(SKIP_1) | instid1(VALU_DEP_4)
	v_mov_b32_e32 v11, v25
	v_pk_add_f32 v[144:145], v[144:145], v[12:13] neg_lo:[0,1] neg_hi:[0,1]
	v_pk_add_f32 v[146:147], v[146:147], v[8:9] neg_lo:[0,1] neg_hi:[0,1]
	s_wait_dscnt 0x1
	v_pk_mul_f32 v[212:213], v[6:7], v[2:3] op_sel:[0,1]
	v_pk_fma_f32 v[22:23], v[22:23], v[104:105], v[24:25] op_sel_hi:[1,1,0]
	v_pk_add_f32 v[148:149], v[148:149], v[10:11] neg_lo:[0,1] neg_hi:[0,1]
	ds_load_2addr_b64 v[8:11], v20 offset0:41 offset1:42
	v_mul_f32_e32 v12, v15, v3
	v_pk_mul_f32 v[24:25], v[4:5], v[2:3] op_sel:[0,1]
	s_wait_dscnt 0x1
	v_pk_mul_f32 v[216:217], v[208:209], v[2:3] op_sel:[0,1]
	v_pk_fma_f32 v[218:219], v[6:7], v[0:1], v[212:213] op_sel:[0,0,1] op_sel_hi:[1,0,0]
	v_pk_fma_f32 v[6:7], v[6:7], v[0:1], v[212:213] op_sel:[0,0,1] op_sel_hi:[1,1,0] neg_lo:[0,0,1] neg_hi:[0,0,1]
	v_pk_fma_f32 v[214:215], v[14:15], v[104:105], v[12:13] op_sel_hi:[1,1,0] neg_lo:[0,0,1] neg_hi:[0,0,1]
	ds_load_2addr_b64 v[12:15], v20 offset0:43 offset1:44
	v_mov_b32_e32 v215, v23
	v_pk_fma_f32 v[22:23], v[4:5], v[0:1], v[24:25] op_sel:[0,0,1] op_sel_hi:[1,0,0]
	v_pk_fma_f32 v[4:5], v[4:5], v[0:1], v[24:25] op_sel:[0,0,1] op_sel_hi:[1,1,0] neg_lo:[0,0,1] neg_hi:[0,0,1]
	v_pk_fma_f32 v[24:25], v[208:209], v[0:1], v[216:217] op_sel:[0,0,1] op_sel_hi:[1,1,0] neg_lo:[0,0,1] neg_hi:[0,0,1]
	s_delay_alu instid0(VALU_DEP_3)
	v_mov_b32_e32 v5, v23
	v_pk_fma_f32 v[22:23], v[208:209], v[0:1], v[216:217] op_sel:[0,0,1] op_sel_hi:[1,0,0]
	v_pk_mul_f32 v[208:209], v[210:211], v[2:3] op_sel:[0,1]
	v_mov_b32_e32 v7, v219
	v_pk_add_f32 v[174:175], v[174:175], v[214:215] neg_lo:[0,1] neg_hi:[0,1]
	v_pk_add_f32 v[166:167], v[166:167], v[4:5] neg_lo:[0,1] neg_hi:[0,1]
	v_mov_b32_e32 v25, v23
	v_pk_fma_f32 v[4:5], v[210:211], v[0:1], v[208:209] op_sel:[0,0,1] op_sel_hi:[1,0,0]
	s_wait_dscnt 0x1
	v_mul_f32_e32 v4, v9, v0
	v_pk_add_f32 v[172:173], v[172:173], v[6:7] neg_lo:[0,1] neg_hi:[0,1]
	v_pk_fma_f32 v[6:7], v[210:211], v[0:1], v[208:209] op_sel:[0,0,1] op_sel_hi:[1,1,0] neg_lo:[0,0,1] neg_hi:[0,0,1]
	v_mul_f32_e32 v22, v9, v3
	v_pk_add_f32 v[164:165], v[164:165], v[24:25] neg_lo:[0,1] neg_hi:[0,1]
	v_mov_b32_e32 v7, v5
	v_pk_mul_f32 v[24:25], v[10:11], v[2:3] op_sel:[0,1]
	v_pk_fma_f32 v[4:5], v[8:9], v[104:105], v[4:5] op_sel:[1,0,0] op_sel_hi:[0,1,0]
	s_wait_dscnt 0x0
	v_pk_mul_f32 v[208:209], v[12:13], v[2:3] op_sel:[0,1]
	v_pk_mul_f32 v[2:3], v[14:15], v[2:3] op_sel:[0,1]
	v_pk_fma_f32 v[8:9], v[8:9], v[104:105], v[22:23] op_sel_hi:[1,1,0] neg_lo:[0,0,1] neg_hi:[0,0,1]
	v_pk_fma_f32 v[22:23], v[10:11], v[0:1], v[24:25] op_sel:[0,0,1] op_sel_hi:[1,0,0]
	v_mov_b32_e32 v9, v5
	v_pk_fma_f32 v[4:5], v[12:13], v[0:1], v[208:209] op_sel:[0,0,1] op_sel_hi:[1,0,0]
	v_pk_fma_f32 v[10:11], v[10:11], v[0:1], v[24:25] op_sel:[0,0,1] op_sel_hi:[1,1,0] neg_lo:[0,0,1] neg_hi:[0,0,1]
	v_pk_fma_f32 v[24:25], v[14:15], v[0:1], v[2:3] op_sel:[0,0,1] op_sel_hi:[1,0,0]
	v_pk_fma_f32 v[12:13], v[12:13], v[0:1], v[208:209] op_sel:[0,0,1] op_sel_hi:[1,1,0] neg_lo:[0,0,1] neg_hi:[0,0,1]
	v_pk_fma_f32 v[0:1], v[14:15], v[0:1], v[2:3] op_sel:[0,0,1] op_sel_hi:[1,1,0] neg_lo:[0,0,1] neg_hi:[0,0,1]
	v_dual_mov_b32 v11, v23 :: v_dual_mov_b32 v13, v5
	s_delay_alu instid0(VALU_DEP_4) | instskip(SKIP_2) | instid1(VALU_DEP_4)
	v_mov_b32_e32 v1, v25
	v_pk_add_f32 v[170:171], v[170:171], v[6:7] neg_lo:[0,1] neg_hi:[0,1]
	v_pk_add_f32 v[162:163], v[162:163], v[8:9] neg_lo:[0,1] neg_hi:[0,1]
	;; [unrolled: 1-line block ×5, first 2 shown]
.LBB89_118:
	s_or_b32 exec_lo, exec_lo, s1
	s_delay_alu instid0(SALU_CYCLE_1)
	s_mov_b32 s2, exec_lo
	s_wait_dscnt 0x0
	s_barrier_signal -1
	s_barrier_wait -1
	v_cmpx_eq_u32_e32 13, v38
	s_cbranch_execz .LBB89_125
; %bb.119:
	v_dual_mov_b32 v0, v36 :: v_dual_mov_b32 v1, v37
	v_dual_mov_b32 v2, v34 :: v_dual_mov_b32 v3, v35
	;; [unrolled: 1-line block ×8, first 2 shown]
	ds_store_b64 v39, v[102:103]
	ds_store_2addr_b64 v20, v[0:1], v[2:3] offset0:14 offset1:15
	ds_store_2addr_b64 v20, v[4:5], v[6:7] offset0:16 offset1:17
	ds_store_2addr_b64 v20, v[8:9], v[10:11] offset0:18 offset1:19
	ds_store_2addr_b64 v20, v[12:13], v[14:15] offset0:20 offset1:21
	v_dual_mov_b32 v0, v86 :: v_dual_mov_b32 v1, v87
	v_dual_mov_b32 v2, v82 :: v_dual_mov_b32 v3, v83
	;; [unrolled: 1-line block ×12, first 2 shown]
	ds_store_2addr_b64 v20, v[0:1], v[2:3] offset0:22 offset1:23
	ds_store_2addr_b64 v20, v[4:5], v[6:7] offset0:24 offset1:25
	;; [unrolled: 1-line block ×6, first 2 shown]
	v_dual_mov_b32 v0, v148 :: v_dual_mov_b32 v1, v149
	v_dual_mov_b32 v2, v144 :: v_dual_mov_b32 v3, v145
	;; [unrolled: 1-line block ×10, first 2 shown]
	ds_store_2addr_b64 v20, v[0:1], v[2:3] offset0:34 offset1:35
	ds_store_2addr_b64 v20, v[4:5], v[6:7] offset0:36 offset1:37
	;; [unrolled: 1-line block ×5, first 2 shown]
	ds_store_b64 v20, v[180:181] offset:352
	ds_load_b64 v[0:1], v39
	s_wait_dscnt 0x0
	v_cmp_neq_f32_e32 vcc_lo, 0, v0
	v_cmp_neq_f32_e64 s1, 0, v1
	s_or_b32 s1, vcc_lo, s1
	s_delay_alu instid0(SALU_CYCLE_1)
	s_and_b32 exec_lo, exec_lo, s1
	s_cbranch_execz .LBB89_125
; %bb.120:
	v_cmp_ngt_f32_e64 s1, |v0|, |v1|
                                        ; implicit-def: $vgpr2_vgpr3
	s_and_saveexec_b32 s4, s1
	s_delay_alu instid0(SALU_CYCLE_1)
	s_xor_b32 s1, exec_lo, s4
	s_cbranch_execz .LBB89_122
; %bb.121:
	v_div_scale_f32 v2, null, v1, v1, v0
	v_div_scale_f32 v5, vcc_lo, v0, v1, v0
	s_delay_alu instid0(VALU_DEP_2) | instskip(SKIP_1) | instid1(TRANS32_DEP_1)
	v_rcp_f32_e32 v3, v2
	v_nop
	v_fma_f32 v4, -v2, v3, 1.0
	s_delay_alu instid0(VALU_DEP_1) | instskip(NEXT) | instid1(VALU_DEP_1)
	v_fmac_f32_e32 v3, v4, v3
	v_mul_f32_e32 v4, v5, v3
	s_delay_alu instid0(VALU_DEP_1) | instskip(NEXT) | instid1(VALU_DEP_1)
	v_fma_f32 v6, -v2, v4, v5
	v_fmac_f32_e32 v4, v6, v3
	s_delay_alu instid0(VALU_DEP_1) | instskip(NEXT) | instid1(VALU_DEP_1)
	v_fma_f32 v2, -v2, v4, v5
	v_div_fmas_f32 v2, v2, v3, v4
	s_delay_alu instid0(VALU_DEP_1) | instskip(NEXT) | instid1(VALU_DEP_1)
	v_div_fixup_f32 v2, v2, v1, v0
	v_fmac_f32_e32 v1, v0, v2
	s_delay_alu instid0(VALU_DEP_1) | instskip(SKIP_1) | instid1(VALU_DEP_2)
	v_div_scale_f32 v0, null, v1, v1, 1.0
	v_div_scale_f32 v5, vcc_lo, 1.0, v1, 1.0
	v_rcp_f32_e32 v3, v0
	v_nop
	s_delay_alu instid0(TRANS32_DEP_1) | instskip(NEXT) | instid1(VALU_DEP_1)
	v_fma_f32 v4, -v0, v3, 1.0
	v_fmac_f32_e32 v3, v4, v3
	s_delay_alu instid0(VALU_DEP_1) | instskip(NEXT) | instid1(VALU_DEP_1)
	v_mul_f32_e32 v4, v5, v3
	v_fma_f32 v6, -v0, v4, v5
	s_delay_alu instid0(VALU_DEP_1) | instskip(NEXT) | instid1(VALU_DEP_1)
	v_fmac_f32_e32 v4, v6, v3
	v_fma_f32 v0, -v0, v4, v5
	s_delay_alu instid0(VALU_DEP_1) | instskip(NEXT) | instid1(VALU_DEP_1)
	v_div_fmas_f32 v0, v0, v3, v4
	v_div_fixup_f32 v0, v0, v1, 1.0
	s_delay_alu instid0(VALU_DEP_1)
	v_mul_f32_e32 v2, v2, v0
	v_xor_b32_e32 v3, 0x80000000, v0
                                        ; implicit-def: $vgpr0_vgpr1
.LBB89_122:
	s_and_not1_saveexec_b32 s1, s1
	s_cbranch_execz .LBB89_124
; %bb.123:
	v_div_scale_f32 v2, null, v0, v0, v1
	v_div_scale_f32 v5, vcc_lo, v1, v0, v1
	s_delay_alu instid0(VALU_DEP_2) | instskip(SKIP_1) | instid1(TRANS32_DEP_1)
	v_rcp_f32_e32 v3, v2
	v_nop
	v_fma_f32 v4, -v2, v3, 1.0
	s_delay_alu instid0(VALU_DEP_1) | instskip(NEXT) | instid1(VALU_DEP_1)
	v_fmac_f32_e32 v3, v4, v3
	v_mul_f32_e32 v4, v5, v3
	s_delay_alu instid0(VALU_DEP_1) | instskip(NEXT) | instid1(VALU_DEP_1)
	v_fma_f32 v6, -v2, v4, v5
	v_fmac_f32_e32 v4, v6, v3
	s_delay_alu instid0(VALU_DEP_1) | instskip(NEXT) | instid1(VALU_DEP_1)
	v_fma_f32 v2, -v2, v4, v5
	v_div_fmas_f32 v2, v2, v3, v4
	s_delay_alu instid0(VALU_DEP_1) | instskip(NEXT) | instid1(VALU_DEP_1)
	v_div_fixup_f32 v3, v2, v0, v1
	v_fmac_f32_e32 v0, v1, v3
	s_delay_alu instid0(VALU_DEP_1) | instskip(NEXT) | instid1(VALU_DEP_1)
	v_div_scale_f32 v1, null, v0, v0, 1.0
	v_rcp_f32_e32 v2, v1
	v_nop
	s_delay_alu instid0(TRANS32_DEP_1) | instskip(NEXT) | instid1(VALU_DEP_1)
	v_fma_f32 v4, -v1, v2, 1.0
	v_fmac_f32_e32 v2, v4, v2
	v_div_scale_f32 v4, vcc_lo, 1.0, v0, 1.0
	s_delay_alu instid0(VALU_DEP_1) | instskip(NEXT) | instid1(VALU_DEP_1)
	v_mul_f32_e32 v5, v4, v2
	v_fma_f32 v6, -v1, v5, v4
	s_delay_alu instid0(VALU_DEP_1) | instskip(NEXT) | instid1(VALU_DEP_1)
	v_fmac_f32_e32 v5, v6, v2
	v_fma_f32 v1, -v1, v5, v4
	s_delay_alu instid0(VALU_DEP_1) | instskip(NEXT) | instid1(VALU_DEP_1)
	v_div_fmas_f32 v1, v1, v2, v5
	v_div_fixup_f32 v2, v1, v0, 1.0
	s_delay_alu instid0(VALU_DEP_1)
	v_mul_f32_e64 v3, v3, -v2
.LBB89_124:
	s_or_b32 exec_lo, exec_lo, s1
	ds_store_b64 v39, v[2:3]
.LBB89_125:
	s_or_b32 exec_lo, exec_lo, s2
	s_wait_dscnt 0x0
	s_barrier_signal -1
	s_barrier_wait -1
	ds_load_b64 v[208:209], v39
	s_mov_b32 s1, exec_lo
	v_cmpx_lt_u32_e32 13, v38
	s_cbranch_execz .LBB89_127
; %bb.126:
	ds_load_2addr_b64 v[4:7], v20 offset0:14 offset1:15
	ds_load_2addr_b64 v[8:11], v20 offset0:16 offset1:17
	;; [unrolled: 1-line block ×3, first 2 shown]
	s_wait_dscnt 0x3
	v_pk_mul_f32 v[2:3], v[208:209], v[102:103] op_sel:[1,1] op_sel_hi:[0,1]
	ds_load_2addr_b64 v[210:213], v20 offset0:20 offset1:21
	ds_load_2addr_b64 v[214:217], v20 offset0:22 offset1:23
	v_pk_fma_f32 v[0:1], v[208:209], v[102:103], v[2:3] op_sel_hi:[1,0,1] neg_lo:[0,0,1] neg_hi:[0,0,1]
	v_pk_fma_f32 v[2:3], v[208:209], v[102:103], v[2:3] op_sel_hi:[1,0,1]
	s_delay_alu instid0(VALU_DEP_1) | instskip(SKIP_1) | instid1(VALU_DEP_2)
	v_dual_mov_b32 v102, v0 :: v_dual_mov_b32 v103, v3
	s_wait_dscnt 0x4
	v_pk_mul_f32 v[22:23], v[4:5], v[2:3] op_sel:[0,1]
	v_pk_mul_f32 v[24:25], v[6:7], v[2:3] op_sel:[0,1]
	s_wait_dscnt 0x3
	v_pk_mul_f32 v[218:219], v[8:9], v[2:3] op_sel:[0,1]
	v_dual_mov_b32 v220, v11 :: v_dual_mov_b32 v221, v10
	v_dual_mul_f32 v222, v11, v3 :: v_dual_mul_f32 v224, v11, v0
	v_pk_fma_f32 v[230:231], v[4:5], v[0:1], v[22:23] op_sel:[0,0,1] op_sel_hi:[1,1,0] neg_lo:[0,0,1] neg_hi:[0,0,1]
	v_pk_fma_f32 v[4:5], v[4:5], v[0:1], v[22:23] op_sel:[0,0,1] op_sel_hi:[1,0,0]
	v_pk_fma_f32 v[22:23], v[6:7], v[0:1], v[24:25] op_sel:[0,0,1] op_sel_hi:[1,1,0] neg_lo:[0,0,1] neg_hi:[0,0,1]
	v_pk_fma_f32 v[6:7], v[6:7], v[0:1], v[24:25] op_sel:[0,0,1] op_sel_hi:[1,0,0]
	;; [unrolled: 2-line block ×3, first 2 shown]
	v_pk_fma_f32 v[218:219], v[220:221], v[102:103], v[224:225] op_sel_hi:[1,1,0]
	s_wait_dscnt 0x2
	v_pk_mul_f32 v[226:227], v[12:13], v[2:3] op_sel:[0,1]
	v_pk_mul_f32 v[228:229], v[14:15], v[2:3] op_sel:[0,1]
	v_pk_fma_f32 v[10:11], v[10:11], v[102:103], v[222:223] op_sel_hi:[1,1,0] neg_lo:[0,0,1] neg_hi:[0,0,1]
	v_dual_mov_b32 v231, v5 :: v_dual_mov_b32 v23, v7
	v_dual_mov_b32 v25, v9 :: v_dual_mov_b32 v11, v219
	ds_load_2addr_b64 v[4:7], v20 offset0:24 offset1:25
	v_pk_fma_f32 v[8:9], v[12:13], v[0:1], v[226:227] op_sel:[0,0,1] op_sel_hi:[1,0,0]
	v_pk_add_f32 v[34:35], v[34:35], v[22:23] neg_lo:[0,1] neg_hi:[0,1]
	v_pk_fma_f32 v[22:23], v[14:15], v[0:1], v[228:229] op_sel:[0,0,1] op_sel_hi:[1,0,0]
	v_pk_add_f32 v[62:63], v[62:63], v[10:11] neg_lo:[0,1] neg_hi:[0,1]
	s_wait_dscnt 0x2
	v_pk_mul_f32 v[10:11], v[210:211], v[2:3] op_sel:[0,1]
	v_pk_fma_f32 v[12:13], v[12:13], v[0:1], v[226:227] op_sel:[0,0,1] op_sel_hi:[1,1,0] neg_lo:[0,0,1] neg_hi:[0,0,1]
	v_pk_fma_f32 v[14:15], v[14:15], v[0:1], v[228:229] op_sel:[0,0,1] op_sel_hi:[1,1,0] neg_lo:[0,0,1] neg_hi:[0,0,1]
	v_dual_mov_b32 v13, v9 :: v_dual_mov_b32 v15, v23
	v_pk_mul_f32 v[22:23], v[212:213], v[2:3] op_sel:[0,1]
	v_pk_fma_f32 v[8:9], v[210:211], v[0:1], v[10:11] op_sel:[0,0,1] op_sel_hi:[1,0,0]
	v_pk_add_f32 v[66:67], v[66:67], v[24:25] neg_lo:[0,1] neg_hi:[0,1]
	v_pk_fma_f32 v[24:25], v[210:211], v[0:1], v[10:11] op_sel:[0,0,1] op_sel_hi:[1,1,0] neg_lo:[0,0,1] neg_hi:[0,0,1]
	v_pk_add_f32 v[64:65], v[64:65], v[12:13] neg_lo:[0,1] neg_hi:[0,1]
	v_pk_fma_f32 v[12:13], v[212:213], v[0:1], v[22:23] op_sel:[0,0,1] op_sel_hi:[1,0,0]
	s_wait_dscnt 0x1
	v_dual_mov_b32 v25, v9 :: v_dual_mul_f32 v12, v215, v0
	ds_load_2addr_b64 v[8:11], v20 offset0:26 offset1:27
	v_pk_add_f32 v[60:61], v[60:61], v[14:15] neg_lo:[0,1] neg_hi:[0,1]
	v_pk_fma_f32 v[14:15], v[212:213], v[0:1], v[22:23] op_sel:[0,0,1] op_sel_hi:[1,1,0] neg_lo:[0,0,1] neg_hi:[0,0,1]
	v_dual_mov_b32 v15, v13 :: v_dual_mul_f32 v22, v215, v3
	v_pk_add_f32 v[88:89], v[88:89], v[24:25] neg_lo:[0,1] neg_hi:[0,1]
	v_pk_mul_f32 v[24:25], v[216:217], v[2:3] op_sel:[0,1]
	v_pk_fma_f32 v[12:13], v[214:215], v[102:103], v[12:13] op_sel:[1,0,0] op_sel_hi:[0,1,0]
	s_wait_dscnt 0x1
	v_pk_mul_f32 v[210:211], v[4:5], v[2:3] op_sel:[0,1]
	v_pk_fma_f32 v[22:23], v[214:215], v[102:103], v[22:23] op_sel_hi:[1,1,0] neg_lo:[0,0,1] neg_hi:[0,0,1]
	v_pk_add_f32 v[84:85], v[84:85], v[14:15] neg_lo:[0,1] neg_hi:[0,1]
	v_pk_fma_f32 v[212:213], v[216:217], v[0:1], v[24:25] op_sel:[0,0,1] op_sel_hi:[1,0,0]
	v_mov_b32_e32 v23, v13
	ds_load_2addr_b64 v[12:15], v20 offset0:28 offset1:29
	v_pk_fma_f32 v[214:215], v[4:5], v[0:1], v[210:211] op_sel:[0,0,1] op_sel_hi:[1,0,0]
	v_pk_fma_f32 v[4:5], v[4:5], v[0:1], v[210:211] op_sel:[0,0,1] op_sel_hi:[1,1,0] neg_lo:[0,0,1] neg_hi:[0,0,1]
	v_pk_mul_f32 v[210:211], v[6:7], v[2:3] op_sel:[0,1]
	v_pk_fma_f32 v[24:25], v[216:217], v[0:1], v[24:25] op_sel:[0,0,1] op_sel_hi:[1,1,0] neg_lo:[0,0,1] neg_hi:[0,0,1]
	v_mov_b32_e32 v25, v213
	v_pk_add_f32 v[86:87], v[86:87], v[22:23] neg_lo:[0,1] neg_hi:[0,1]
	s_wait_dscnt 0x1
	v_pk_mul_f32 v[212:213], v[8:9], v[2:3] op_sel:[0,1]
	v_pk_fma_f32 v[22:23], v[6:7], v[0:1], v[210:211] op_sel:[0,0,1] op_sel_hi:[1,0,0]
	v_mov_b32_e32 v5, v215
	v_pk_fma_f32 v[210:211], v[6:7], v[0:1], v[210:211] op_sel:[0,0,1] op_sel_hi:[1,1,0] neg_lo:[0,0,1] neg_hi:[0,0,1]
	v_pk_add_f32 v[82:83], v[82:83], v[24:25] neg_lo:[0,1] neg_hi:[0,1]
	v_pk_fma_f32 v[24:25], v[8:9], v[0:1], v[212:213] op_sel:[0,0,1] op_sel_hi:[1,0,0]
	v_mov_b32_e32 v211, v23
	v_pk_add_f32 v[112:113], v[112:113], v[4:5] neg_lo:[0,1] neg_hi:[0,1]
	ds_load_2addr_b64 v[4:7], v20 offset0:30 offset1:31
	v_pk_fma_f32 v[8:9], v[8:9], v[0:1], v[212:213] op_sel:[0,0,1] op_sel_hi:[1,1,0] neg_lo:[0,0,1] neg_hi:[0,0,1]
	v_dual_mov_b32 v9, v25 :: v_dual_mov_b32 v22, v11
	v_dual_mov_b32 v23, v10 :: v_dual_mul_f32 v24, v11, v0
	s_wait_dscnt 0x1
	v_pk_mul_f32 v[214:215], v[12:13], v[2:3] op_sel:[0,1]
	v_pk_add_f32 v[108:109], v[108:109], v[210:211] neg_lo:[0,1] neg_hi:[0,1]
	v_pk_add_f32 v[110:111], v[110:111], v[8:9] neg_lo:[0,1] neg_hi:[0,1]
	ds_load_2addr_b64 v[210:213], v20 offset0:32 offset1:33
	v_pk_fma_f32 v[22:23], v[22:23], v[102:103], v[24:25] op_sel_hi:[1,1,0]
	v_pk_fma_f32 v[24:25], v[12:13], v[0:1], v[214:215] op_sel:[0,0,1] op_sel_hi:[1,0,0]
	v_mul_f32_e32 v8, v11, v3
	v_pk_mul_f32 v[216:217], v[14:15], v[2:3] op_sel:[0,1]
	v_pk_fma_f32 v[12:13], v[12:13], v[0:1], v[214:215] op_sel:[0,0,1] op_sel_hi:[1,1,0] neg_lo:[0,0,1] neg_hi:[0,0,1]
	v_pk_add_f32 v[36:37], v[36:37], v[230:231] neg_lo:[0,1] neg_hi:[0,1]
	v_mov_b32_e32 v13, v25
	v_pk_fma_f32 v[218:219], v[10:11], v[102:103], v[8:9] op_sel_hi:[1,1,0] neg_lo:[0,0,1] neg_hi:[0,0,1]
	v_mov_b32_e32 v219, v23
	v_pk_fma_f32 v[22:23], v[14:15], v[0:1], v[216:217] op_sel:[0,0,1] op_sel_hi:[1,0,0]
	s_wait_dscnt 0x1
	v_pk_mul_f32 v[24:25], v[4:5], v[2:3] op_sel:[0,1]
	ds_load_2addr_b64 v[8:11], v20 offset0:34 offset1:35
	v_pk_fma_f32 v[14:15], v[14:15], v[0:1], v[216:217] op_sel:[0,0,1] op_sel_hi:[1,1,0] neg_lo:[0,0,1] neg_hi:[0,0,1]
	v_pk_add_f32 v[128:129], v[128:129], v[12:13] neg_lo:[0,1] neg_hi:[0,1]
	v_mov_b32_e32 v15, v23
	v_pk_mul_f32 v[22:23], v[6:7], v[2:3] op_sel:[0,1]
	v_pk_fma_f32 v[214:215], v[4:5], v[0:1], v[24:25] op_sel:[0,0,1] op_sel_hi:[1,0,0]
	v_pk_fma_f32 v[4:5], v[4:5], v[0:1], v[24:25] op_sel:[0,0,1] op_sel_hi:[1,1,0] neg_lo:[0,0,1] neg_hi:[0,0,1]
	ds_load_b64 v[216:217], v20 offset:352
	v_pk_add_f32 v[124:125], v[124:125], v[14:15] neg_lo:[0,1] neg_hi:[0,1]
	v_pk_fma_f32 v[24:25], v[6:7], v[0:1], v[22:23] op_sel:[0,0,1] op_sel_hi:[1,0,0]
	v_mov_b32_e32 v5, v215
	ds_load_2addr_b64 v[12:15], v20 offset0:36 offset1:37
	v_pk_fma_f32 v[6:7], v[6:7], v[0:1], v[22:23] op_sel:[0,0,1] op_sel_hi:[1,1,0] neg_lo:[0,0,1] neg_hi:[0,0,1]
	s_wait_dscnt 0x3
	v_dual_mul_f32 v22, v211, v0 :: v_dual_mul_f32 v24, v211, v3
	v_mov_b32_e32 v7, v25
	v_pk_add_f32 v[126:127], v[126:127], v[4:5] neg_lo:[0,1] neg_hi:[0,1]
	v_pk_mul_f32 v[4:5], v[212:213], v[2:3] op_sel:[0,1]
	s_delay_alu instid0(VALU_DEP_4)
	v_pk_fma_f32 v[22:23], v[210:211], v[102:103], v[22:23] op_sel:[1,0,0] op_sel_hi:[0,1,0]
	v_pk_fma_f32 v[24:25], v[210:211], v[102:103], v[24:25] op_sel_hi:[1,1,0] neg_lo:[0,0,1] neg_hi:[0,0,1]
	v_pk_add_f32 v[122:123], v[122:123], v[6:7] neg_lo:[0,1] neg_hi:[0,1]
	s_wait_dscnt 0x2
	v_pk_mul_f32 v[6:7], v[8:9], v[2:3] op_sel:[0,1]
	v_pk_fma_f32 v[214:215], v[212:213], v[0:1], v[4:5] op_sel:[0,0,1] op_sel_hi:[1,0,0]
	v_mov_b32_e32 v25, v23
	v_pk_fma_f32 v[22:23], v[212:213], v[0:1], v[4:5] op_sel:[0,0,1] op_sel_hi:[1,1,0] neg_lo:[0,0,1] neg_hi:[0,0,1]
	v_pk_mul_f32 v[212:213], v[10:11], v[2:3] op_sel:[0,1]
	v_pk_fma_f32 v[210:211], v[8:9], v[0:1], v[6:7] op_sel:[0,0,1] op_sel_hi:[1,0,0]
	v_mov_b32_e32 v23, v215
	v_pk_fma_f32 v[8:9], v[8:9], v[0:1], v[6:7] op_sel:[0,0,1] op_sel_hi:[1,1,0] neg_lo:[0,0,1] neg_hi:[0,0,1]
	ds_load_2addr_b64 v[4:7], v20 offset0:38 offset1:39
	v_pk_add_f32 v[150:151], v[150:151], v[24:25] neg_lo:[0,1] neg_hi:[0,1]
	v_pk_add_f32 v[106:107], v[106:107], v[218:219] neg_lo:[0,1] neg_hi:[0,1]
	;; [unrolled: 1-line block ×3, first 2 shown]
	v_pk_fma_f32 v[22:23], v[10:11], v[0:1], v[212:213] op_sel:[0,0,1] op_sel_hi:[1,0,0]
	v_mov_b32_e32 v9, v211
	s_wait_dscnt 0x1
	v_pk_mul_f32 v[210:211], v[12:13], v[2:3] op_sel:[0,1]
	v_pk_fma_f32 v[212:213], v[10:11], v[0:1], v[212:213] op_sel:[0,0,1] op_sel_hi:[1,1,0] neg_lo:[0,0,1] neg_hi:[0,0,1]
	v_dual_mov_b32 v22, v15 :: v_dual_mov_b32 v213, v23
	v_pk_add_f32 v[148:149], v[148:149], v[8:9] neg_lo:[0,1] neg_hi:[0,1]
	ds_load_2addr_b64 v[8:11], v20 offset0:40 offset1:41
	v_pk_fma_f32 v[24:25], v[12:13], v[0:1], v[210:211] op_sel:[0,0,1] op_sel_hi:[1,0,0]
	v_pk_fma_f32 v[12:13], v[12:13], v[0:1], v[210:211] op_sel:[0,0,1] op_sel_hi:[1,1,0] neg_lo:[0,0,1] neg_hi:[0,0,1]
	v_dual_mov_b32 v23, v14 :: v_dual_mul_f32 v24, v15, v0
	v_pk_add_f32 v[144:145], v[144:145], v[212:213] neg_lo:[0,1] neg_hi:[0,1]
	s_delay_alu instid0(VALU_DEP_4)
	v_mov_b32_e32 v13, v25
	ds_load_2addr_b64 v[210:213], v20 offset0:42 offset1:43
	s_wait_dscnt 0x2
	v_pk_mul_f32 v[214:215], v[4:5], v[2:3] op_sel:[0,1]
	v_pk_fma_f32 v[22:23], v[22:23], v[102:103], v[24:25] op_sel_hi:[1,1,0]
	v_pk_add_f32 v[174:175], v[174:175], v[12:13] neg_lo:[0,1] neg_hi:[0,1]
	v_mul_f32_e32 v12, v15, v3
	v_pk_mul_f32 v[24:25], v[6:7], v[2:3] op_sel:[0,1]
	s_delay_alu instid0(VALU_DEP_2) | instskip(SKIP_2) | instid1(VALU_DEP_4)
	v_pk_fma_f32 v[12:13], v[14:15], v[102:103], v[12:13] op_sel_hi:[1,1,0] neg_lo:[0,0,1] neg_hi:[0,0,1]
	v_pk_fma_f32 v[14:15], v[4:5], v[0:1], v[214:215] op_sel:[0,0,1] op_sel_hi:[1,0,0]
	v_mov_b32_e32 v13, v23
	v_pk_fma_f32 v[22:23], v[6:7], v[0:1], v[24:25] op_sel:[0,0,1] op_sel_hi:[1,0,0]
	v_pk_fma_f32 v[4:5], v[4:5], v[0:1], v[214:215] op_sel:[0,0,1] op_sel_hi:[1,1,0] neg_lo:[0,0,1] neg_hi:[0,0,1]
	s_wait_dscnt 0x1
	v_pk_mul_f32 v[214:215], v[8:9], v[2:3] op_sel:[0,1]
	v_mov_b32_e32 v5, v15
	v_pk_fma_f32 v[6:7], v[6:7], v[0:1], v[24:25] op_sel:[0,0,1] op_sel_hi:[1,1,0] neg_lo:[0,0,1] neg_hi:[0,0,1]
	v_mov_b32_e32 v7, v23
	v_pk_add_f32 v[166:167], v[166:167], v[12:13] neg_lo:[0,1] neg_hi:[0,1]
	v_pk_fma_f32 v[12:13], v[8:9], v[0:1], v[214:215] op_sel:[0,0,1] op_sel_hi:[1,0,0]
	v_pk_mul_f32 v[14:15], v[10:11], v[2:3] op_sel:[0,1]
	v_pk_add_f32 v[172:173], v[172:173], v[4:5] neg_lo:[0,1] neg_hi:[0,1]
	v_pk_fma_f32 v[4:5], v[8:9], v[0:1], v[214:215] op_sel:[0,0,1] op_sel_hi:[1,1,0] neg_lo:[0,0,1] neg_hi:[0,0,1]
	s_wait_dscnt 0x0
	v_dual_mul_f32 v8, v211, v0 :: v_dual_mov_b32 v5, v13
	v_pk_add_f32 v[164:165], v[164:165], v[6:7] neg_lo:[0,1] neg_hi:[0,1]
	v_pk_fma_f32 v[6:7], v[10:11], v[0:1], v[14:15] op_sel:[0,0,1] op_sel_hi:[1,1,0] neg_lo:[0,0,1] neg_hi:[0,0,1]
	v_pk_fma_f32 v[10:11], v[10:11], v[0:1], v[14:15] op_sel:[0,0,1] op_sel_hi:[1,0,0]
	v_pk_mul_f32 v[12:13], v[212:213], v[2:3] op_sel:[0,1]
	v_pk_fma_f32 v[8:9], v[210:211], v[102:103], v[8:9] op_sel:[1,0,0] op_sel_hi:[0,1,0]
	v_mul_f32_e32 v10, v211, v3
	v_pk_mul_f32 v[2:3], v[216:217], v[2:3] op_sel:[0,1]
	v_pk_add_f32 v[170:171], v[170:171], v[4:5] neg_lo:[0,1] neg_hi:[0,1]
	v_pk_fma_f32 v[14:15], v[212:213], v[0:1], v[12:13] op_sel:[0,0,1] op_sel_hi:[1,0,0]
	v_mov_b32_e32 v7, v11
	v_pk_fma_f32 v[10:11], v[210:211], v[102:103], v[10:11] op_sel_hi:[1,1,0] neg_lo:[0,0,1] neg_hi:[0,0,1]
	v_pk_fma_f32 v[22:23], v[216:217], v[0:1], v[2:3] op_sel:[0,0,1] op_sel_hi:[1,0,0]
	v_mov_b32_e32 v11, v9
	v_pk_fma_f32 v[8:9], v[212:213], v[0:1], v[12:13] op_sel:[0,0,1] op_sel_hi:[1,1,0] neg_lo:[0,0,1] neg_hi:[0,0,1]
	v_pk_fma_f32 v[0:1], v[216:217], v[0:1], v[2:3] op_sel:[0,0,1] op_sel_hi:[1,1,0] neg_lo:[0,0,1] neg_hi:[0,0,1]
	s_delay_alu instid0(VALU_DEP_4) | instskip(SKIP_2) | instid1(VALU_DEP_3)
	v_dual_mov_b32 v9, v15 :: v_dual_mov_b32 v1, v23
	v_pk_add_f32 v[162:163], v[162:163], v[6:7] neg_lo:[0,1] neg_hi:[0,1]
	v_pk_add_f32 v[168:169], v[168:169], v[10:11] neg_lo:[0,1] neg_hi:[0,1]
	v_pk_add_f32 v[176:177], v[176:177], v[8:9] neg_lo:[0,1] neg_hi:[0,1]
	s_delay_alu instid0(VALU_DEP_4)
	v_pk_add_f32 v[180:181], v[180:181], v[0:1] neg_lo:[0,1] neg_hi:[0,1]
.LBB89_127:
	s_or_b32 exec_lo, exec_lo, s1
	s_delay_alu instid0(SALU_CYCLE_1)
	s_mov_b32 s2, exec_lo
	s_wait_dscnt 0x0
	s_barrier_signal -1
	s_barrier_wait -1
	v_cmpx_eq_u32_e32 14, v38
	s_cbranch_execz .LBB89_134
; %bb.128:
	ds_store_b64 v39, v[36:37]
	ds_store_2addr_b64 v20, v[34:35], v[66:67] offset0:15 offset1:16
	ds_store_2addr_b64 v20, v[62:63], v[64:65] offset0:17 offset1:18
	;; [unrolled: 1-line block ×15, first 2 shown]
	ds_load_b64 v[0:1], v39
	s_wait_dscnt 0x0
	v_cmp_neq_f32_e32 vcc_lo, 0, v0
	v_cmp_neq_f32_e64 s1, 0, v1
	s_or_b32 s1, vcc_lo, s1
	s_delay_alu instid0(SALU_CYCLE_1)
	s_and_b32 exec_lo, exec_lo, s1
	s_cbranch_execz .LBB89_134
; %bb.129:
	v_cmp_ngt_f32_e64 s1, |v0|, |v1|
                                        ; implicit-def: $vgpr2_vgpr3
	s_and_saveexec_b32 s4, s1
	s_delay_alu instid0(SALU_CYCLE_1)
	s_xor_b32 s1, exec_lo, s4
	s_cbranch_execz .LBB89_131
; %bb.130:
	v_div_scale_f32 v2, null, v1, v1, v0
	v_div_scale_f32 v5, vcc_lo, v0, v1, v0
	s_delay_alu instid0(VALU_DEP_2) | instskip(SKIP_1) | instid1(TRANS32_DEP_1)
	v_rcp_f32_e32 v3, v2
	v_nop
	v_fma_f32 v4, -v2, v3, 1.0
	s_delay_alu instid0(VALU_DEP_1) | instskip(NEXT) | instid1(VALU_DEP_1)
	v_fmac_f32_e32 v3, v4, v3
	v_mul_f32_e32 v4, v5, v3
	s_delay_alu instid0(VALU_DEP_1) | instskip(NEXT) | instid1(VALU_DEP_1)
	v_fma_f32 v6, -v2, v4, v5
	v_fmac_f32_e32 v4, v6, v3
	s_delay_alu instid0(VALU_DEP_1) | instskip(NEXT) | instid1(VALU_DEP_1)
	v_fma_f32 v2, -v2, v4, v5
	v_div_fmas_f32 v2, v2, v3, v4
	s_delay_alu instid0(VALU_DEP_1) | instskip(NEXT) | instid1(VALU_DEP_1)
	v_div_fixup_f32 v2, v2, v1, v0
	v_fmac_f32_e32 v1, v0, v2
	s_delay_alu instid0(VALU_DEP_1) | instskip(SKIP_1) | instid1(VALU_DEP_2)
	v_div_scale_f32 v0, null, v1, v1, 1.0
	v_div_scale_f32 v5, vcc_lo, 1.0, v1, 1.0
	v_rcp_f32_e32 v3, v0
	v_nop
	s_delay_alu instid0(TRANS32_DEP_1) | instskip(NEXT) | instid1(VALU_DEP_1)
	v_fma_f32 v4, -v0, v3, 1.0
	v_fmac_f32_e32 v3, v4, v3
	s_delay_alu instid0(VALU_DEP_1) | instskip(NEXT) | instid1(VALU_DEP_1)
	v_mul_f32_e32 v4, v5, v3
	v_fma_f32 v6, -v0, v4, v5
	s_delay_alu instid0(VALU_DEP_1) | instskip(NEXT) | instid1(VALU_DEP_1)
	v_fmac_f32_e32 v4, v6, v3
	v_fma_f32 v0, -v0, v4, v5
	s_delay_alu instid0(VALU_DEP_1) | instskip(NEXT) | instid1(VALU_DEP_1)
	v_div_fmas_f32 v0, v0, v3, v4
	v_div_fixup_f32 v0, v0, v1, 1.0
	s_delay_alu instid0(VALU_DEP_1)
	v_mul_f32_e32 v2, v2, v0
	v_xor_b32_e32 v3, 0x80000000, v0
                                        ; implicit-def: $vgpr0_vgpr1
.LBB89_131:
	s_and_not1_saveexec_b32 s1, s1
	s_cbranch_execz .LBB89_133
; %bb.132:
	v_div_scale_f32 v2, null, v0, v0, v1
	v_div_scale_f32 v5, vcc_lo, v1, v0, v1
	s_delay_alu instid0(VALU_DEP_2) | instskip(SKIP_1) | instid1(TRANS32_DEP_1)
	v_rcp_f32_e32 v3, v2
	v_nop
	v_fma_f32 v4, -v2, v3, 1.0
	s_delay_alu instid0(VALU_DEP_1) | instskip(NEXT) | instid1(VALU_DEP_1)
	v_fmac_f32_e32 v3, v4, v3
	v_mul_f32_e32 v4, v5, v3
	s_delay_alu instid0(VALU_DEP_1) | instskip(NEXT) | instid1(VALU_DEP_1)
	v_fma_f32 v6, -v2, v4, v5
	v_fmac_f32_e32 v4, v6, v3
	s_delay_alu instid0(VALU_DEP_1) | instskip(NEXT) | instid1(VALU_DEP_1)
	v_fma_f32 v2, -v2, v4, v5
	v_div_fmas_f32 v2, v2, v3, v4
	s_delay_alu instid0(VALU_DEP_1) | instskip(NEXT) | instid1(VALU_DEP_1)
	v_div_fixup_f32 v3, v2, v0, v1
	v_fmac_f32_e32 v0, v1, v3
	s_delay_alu instid0(VALU_DEP_1) | instskip(NEXT) | instid1(VALU_DEP_1)
	v_div_scale_f32 v1, null, v0, v0, 1.0
	v_rcp_f32_e32 v2, v1
	v_nop
	s_delay_alu instid0(TRANS32_DEP_1) | instskip(NEXT) | instid1(VALU_DEP_1)
	v_fma_f32 v4, -v1, v2, 1.0
	v_fmac_f32_e32 v2, v4, v2
	v_div_scale_f32 v4, vcc_lo, 1.0, v0, 1.0
	s_delay_alu instid0(VALU_DEP_1) | instskip(NEXT) | instid1(VALU_DEP_1)
	v_mul_f32_e32 v5, v4, v2
	v_fma_f32 v6, -v1, v5, v4
	s_delay_alu instid0(VALU_DEP_1) | instskip(NEXT) | instid1(VALU_DEP_1)
	v_fmac_f32_e32 v5, v6, v2
	v_fma_f32 v1, -v1, v5, v4
	s_delay_alu instid0(VALU_DEP_1) | instskip(NEXT) | instid1(VALU_DEP_1)
	v_div_fmas_f32 v1, v1, v2, v5
	v_div_fixup_f32 v2, v1, v0, 1.0
	s_delay_alu instid0(VALU_DEP_1)
	v_mul_f32_e64 v3, v3, -v2
.LBB89_133:
	s_or_b32 exec_lo, exec_lo, s1
	ds_store_b64 v39, v[2:3]
.LBB89_134:
	s_or_b32 exec_lo, exec_lo, s2
	s_wait_dscnt 0x0
	s_barrier_signal -1
	s_barrier_wait -1
	ds_load_b64 v[210:211], v39
	s_mov_b32 s1, exec_lo
	v_cmpx_lt_u32_e32 14, v38
	s_cbranch_execz .LBB89_136
; %bb.135:
	ds_load_2addr_b64 v[4:7], v20 offset0:15 offset1:16
	s_wait_dscnt 0x1
	v_pk_mul_f32 v[2:3], v[210:211], v[36:37] op_sel:[1,1] op_sel_hi:[0,1]
	s_delay_alu instid0(VALU_DEP_1) | instskip(SKIP_1) | instid1(VALU_DEP_1)
	v_pk_fma_f32 v[0:1], v[210:211], v[36:37], v[2:3] op_sel_hi:[1,0,1] neg_lo:[0,0,1] neg_hi:[0,0,1]
	v_pk_fma_f32 v[2:3], v[210:211], v[36:37], v[2:3] op_sel_hi:[1,0,1]
	v_dual_mov_b32 v36, v0 :: v_dual_mov_b32 v37, v3
	s_wait_dscnt 0x0
	s_delay_alu instid0(VALU_DEP_2) | instskip(NEXT) | instid1(VALU_DEP_1)
	v_pk_mul_f32 v[8:9], v[4:5], v[2:3] op_sel:[0,1]
	v_pk_fma_f32 v[10:11], v[4:5], v[0:1], v[8:9] op_sel:[0,0,1] op_sel_hi:[1,1,0] neg_lo:[0,0,1] neg_hi:[0,0,1]
	v_pk_fma_f32 v[4:5], v[4:5], v[0:1], v[8:9] op_sel:[0,0,1] op_sel_hi:[1,0,0]
	s_delay_alu instid0(VALU_DEP_1) | instskip(SKIP_1) | instid1(VALU_DEP_1)
	v_mov_b32_e32 v11, v5
	v_pk_mul_f32 v[4:5], v[6:7], v[2:3] op_sel:[0,1]
	v_pk_fma_f32 v[8:9], v[6:7], v[0:1], v[4:5] op_sel:[0,0,1] op_sel_hi:[1,1,0] neg_lo:[0,0,1] neg_hi:[0,0,1]
	v_pk_fma_f32 v[4:5], v[6:7], v[0:1], v[4:5] op_sel:[0,0,1] op_sel_hi:[1,0,0]
	s_delay_alu instid0(VALU_DEP_1)
	v_mov_b32_e32 v9, v5
	ds_load_2addr_b64 v[4:7], v20 offset0:17 offset1:18
	v_pk_add_f32 v[34:35], v[34:35], v[10:11] neg_lo:[0,1] neg_hi:[0,1]
	v_pk_add_f32 v[66:67], v[66:67], v[8:9] neg_lo:[0,1] neg_hi:[0,1]
	s_wait_dscnt 0x0
	v_pk_mul_f32 v[8:9], v[4:5], v[2:3] op_sel:[0,1]
	s_delay_alu instid0(VALU_DEP_1) | instskip(SKIP_2) | instid1(VALU_DEP_2)
	v_pk_fma_f32 v[10:11], v[4:5], v[0:1], v[8:9] op_sel:[0,0,1] op_sel_hi:[1,1,0] neg_lo:[0,0,1] neg_hi:[0,0,1]
	v_pk_fma_f32 v[4:5], v[4:5], v[0:1], v[8:9] op_sel:[0,0,1] op_sel_hi:[1,0,0]
	v_dual_mul_f32 v8, v7, v3 :: v_dual_mov_b32 v4, v7
	v_dual_mov_b32 v11, v5 :: v_dual_mov_b32 v5, v6
	s_delay_alu instid0(VALU_DEP_2) | instskip(SKIP_1) | instid1(VALU_DEP_3)
	v_pk_fma_f32 v[8:9], v[6:7], v[36:37], v[8:9] op_sel_hi:[1,1,0] neg_lo:[0,0,1] neg_hi:[0,0,1]
	v_mul_f32_e32 v6, v7, v0
	v_pk_add_f32 v[62:63], v[62:63], v[10:11] neg_lo:[0,1] neg_hi:[0,1]
	s_delay_alu instid0(VALU_DEP_2) | instskip(NEXT) | instid1(VALU_DEP_1)
	v_pk_fma_f32 v[4:5], v[4:5], v[36:37], v[6:7] op_sel_hi:[1,1,0]
	v_mov_b32_e32 v9, v5
	ds_load_2addr_b64 v[4:7], v20 offset0:19 offset1:20
	v_pk_add_f32 v[64:65], v[64:65], v[8:9] neg_lo:[0,1] neg_hi:[0,1]
	s_wait_dscnt 0x0
	v_pk_mul_f32 v[8:9], v[4:5], v[2:3] op_sel:[0,1]
	s_delay_alu instid0(VALU_DEP_1) | instskip(SKIP_1) | instid1(VALU_DEP_1)
	v_pk_fma_f32 v[10:11], v[4:5], v[0:1], v[8:9] op_sel:[0,0,1] op_sel_hi:[1,1,0] neg_lo:[0,0,1] neg_hi:[0,0,1]
	v_pk_fma_f32 v[4:5], v[4:5], v[0:1], v[8:9] op_sel:[0,0,1] op_sel_hi:[1,0,0]
	v_mov_b32_e32 v11, v5
	v_pk_mul_f32 v[4:5], v[6:7], v[2:3] op_sel:[0,1]
	s_delay_alu instid0(VALU_DEP_1) | instskip(SKIP_1) | instid1(VALU_DEP_1)
	v_pk_fma_f32 v[8:9], v[6:7], v[0:1], v[4:5] op_sel:[0,0,1] op_sel_hi:[1,1,0] neg_lo:[0,0,1] neg_hi:[0,0,1]
	v_pk_fma_f32 v[4:5], v[6:7], v[0:1], v[4:5] op_sel:[0,0,1] op_sel_hi:[1,0,0]
	v_mov_b32_e32 v9, v5
	ds_load_2addr_b64 v[4:7], v20 offset0:21 offset1:22
	v_pk_add_f32 v[60:61], v[60:61], v[10:11] neg_lo:[0,1] neg_hi:[0,1]
	v_pk_add_f32 v[88:89], v[88:89], v[8:9] neg_lo:[0,1] neg_hi:[0,1]
	s_wait_dscnt 0x0
	v_pk_mul_f32 v[8:9], v[4:5], v[2:3] op_sel:[0,1]
	s_delay_alu instid0(VALU_DEP_1) | instskip(SKIP_1) | instid1(VALU_DEP_1)
	v_pk_fma_f32 v[10:11], v[4:5], v[0:1], v[8:9] op_sel:[0,0,1] op_sel_hi:[1,1,0] neg_lo:[0,0,1] neg_hi:[0,0,1]
	v_pk_fma_f32 v[4:5], v[4:5], v[0:1], v[8:9] op_sel:[0,0,1] op_sel_hi:[1,0,0]
	v_mov_b32_e32 v11, v5
	v_pk_mul_f32 v[4:5], v[6:7], v[2:3] op_sel:[0,1]
	s_delay_alu instid0(VALU_DEP_1) | instskip(SKIP_1) | instid1(VALU_DEP_1)
	v_pk_fma_f32 v[8:9], v[6:7], v[0:1], v[4:5] op_sel:[0,0,1] op_sel_hi:[1,1,0] neg_lo:[0,0,1] neg_hi:[0,0,1]
	v_pk_fma_f32 v[4:5], v[6:7], v[0:1], v[4:5] op_sel:[0,0,1] op_sel_hi:[1,0,0]
	v_mov_b32_e32 v9, v5
	ds_load_2addr_b64 v[4:7], v20 offset0:23 offset1:24
	v_pk_add_f32 v[84:85], v[84:85], v[10:11] neg_lo:[0,1] neg_hi:[0,1]
	v_pk_add_f32 v[86:87], v[86:87], v[8:9] neg_lo:[0,1] neg_hi:[0,1]
	s_wait_dscnt 0x0
	v_dual_mul_f32 v8, v5, v3 :: v_dual_mul_f32 v10, v5, v0
	s_delay_alu instid0(VALU_DEP_1) | instskip(NEXT) | instid1(VALU_DEP_2)
	v_pk_fma_f32 v[8:9], v[4:5], v[36:37], v[8:9] op_sel_hi:[1,1,0] neg_lo:[0,0,1] neg_hi:[0,0,1]
	v_pk_fma_f32 v[4:5], v[4:5], v[36:37], v[10:11] op_sel:[1,0,0] op_sel_hi:[0,1,0]
	s_delay_alu instid0(VALU_DEP_1) | instskip(SKIP_1) | instid1(VALU_DEP_2)
	v_mov_b32_e32 v9, v5
	v_pk_mul_f32 v[4:5], v[6:7], v[2:3] op_sel:[0,1]
	v_pk_add_f32 v[82:83], v[82:83], v[8:9] neg_lo:[0,1] neg_hi:[0,1]
	s_delay_alu instid0(VALU_DEP_2) | instskip(SKIP_1) | instid1(VALU_DEP_1)
	v_pk_fma_f32 v[8:9], v[6:7], v[0:1], v[4:5] op_sel:[0,0,1] op_sel_hi:[1,1,0] neg_lo:[0,0,1] neg_hi:[0,0,1]
	v_pk_fma_f32 v[4:5], v[6:7], v[0:1], v[4:5] op_sel:[0,0,1] op_sel_hi:[1,0,0]
	v_mov_b32_e32 v9, v5
	ds_load_2addr_b64 v[4:7], v20 offset0:25 offset1:26
	v_pk_add_f32 v[112:113], v[112:113], v[8:9] neg_lo:[0,1] neg_hi:[0,1]
	s_wait_dscnt 0x0
	v_pk_mul_f32 v[8:9], v[4:5], v[2:3] op_sel:[0,1]
	s_delay_alu instid0(VALU_DEP_1) | instskip(SKIP_1) | instid1(VALU_DEP_1)
	v_pk_fma_f32 v[10:11], v[4:5], v[0:1], v[8:9] op_sel:[0,0,1] op_sel_hi:[1,1,0] neg_lo:[0,0,1] neg_hi:[0,0,1]
	v_pk_fma_f32 v[4:5], v[4:5], v[0:1], v[8:9] op_sel:[0,0,1] op_sel_hi:[1,0,0]
	v_mov_b32_e32 v11, v5
	v_pk_mul_f32 v[4:5], v[6:7], v[2:3] op_sel:[0,1]
	s_delay_alu instid0(VALU_DEP_2) | instskip(NEXT) | instid1(VALU_DEP_2)
	v_pk_add_f32 v[108:109], v[108:109], v[10:11] neg_lo:[0,1] neg_hi:[0,1]
	v_pk_fma_f32 v[8:9], v[6:7], v[0:1], v[4:5] op_sel:[0,0,1] op_sel_hi:[1,1,0] neg_lo:[0,0,1] neg_hi:[0,0,1]
	v_pk_fma_f32 v[4:5], v[6:7], v[0:1], v[4:5] op_sel:[0,0,1] op_sel_hi:[1,0,0]
	s_delay_alu instid0(VALU_DEP_1) | instskip(SKIP_4) | instid1(VALU_DEP_1)
	v_mov_b32_e32 v9, v5
	ds_load_2addr_b64 v[4:7], v20 offset0:27 offset1:28
	v_pk_add_f32 v[110:111], v[110:111], v[8:9] neg_lo:[0,1] neg_hi:[0,1]
	s_wait_dscnt 0x0
	v_pk_mul_f32 v[8:9], v[4:5], v[2:3] op_sel:[0,1]
	v_pk_fma_f32 v[10:11], v[4:5], v[0:1], v[8:9] op_sel:[0,0,1] op_sel_hi:[1,1,0] neg_lo:[0,0,1] neg_hi:[0,0,1]
	v_pk_fma_f32 v[4:5], v[4:5], v[0:1], v[8:9] op_sel:[0,0,1] op_sel_hi:[1,0,0]
	v_dual_mul_f32 v8, v7, v3 :: v_dual_mov_b32 v4, v7
	s_delay_alu instid0(VALU_DEP_2) | instskip(NEXT) | instid1(VALU_DEP_2)
	v_dual_mov_b32 v11, v5 :: v_dual_mov_b32 v5, v6
	v_pk_fma_f32 v[8:9], v[6:7], v[36:37], v[8:9] op_sel_hi:[1,1,0] neg_lo:[0,0,1] neg_hi:[0,0,1]
	v_mul_f32_e32 v6, v7, v0
	s_delay_alu instid0(VALU_DEP_3) | instskip(NEXT) | instid1(VALU_DEP_2)
	v_pk_add_f32 v[106:107], v[106:107], v[10:11] neg_lo:[0,1] neg_hi:[0,1]
	v_pk_fma_f32 v[4:5], v[4:5], v[36:37], v[6:7] op_sel_hi:[1,1,0]
	s_delay_alu instid0(VALU_DEP_1) | instskip(SKIP_4) | instid1(VALU_DEP_1)
	v_mov_b32_e32 v9, v5
	ds_load_2addr_b64 v[4:7], v20 offset0:29 offset1:30
	v_pk_add_f32 v[128:129], v[128:129], v[8:9] neg_lo:[0,1] neg_hi:[0,1]
	s_wait_dscnt 0x0
	v_pk_mul_f32 v[8:9], v[4:5], v[2:3] op_sel:[0,1]
	v_pk_fma_f32 v[10:11], v[4:5], v[0:1], v[8:9] op_sel:[0,0,1] op_sel_hi:[1,1,0] neg_lo:[0,0,1] neg_hi:[0,0,1]
	v_pk_fma_f32 v[4:5], v[4:5], v[0:1], v[8:9] op_sel:[0,0,1] op_sel_hi:[1,0,0]
	s_delay_alu instid0(VALU_DEP_1) | instskip(SKIP_1) | instid1(VALU_DEP_1)
	v_mov_b32_e32 v11, v5
	v_pk_mul_f32 v[4:5], v[6:7], v[2:3] op_sel:[0,1]
	v_pk_fma_f32 v[8:9], v[6:7], v[0:1], v[4:5] op_sel:[0,0,1] op_sel_hi:[1,1,0] neg_lo:[0,0,1] neg_hi:[0,0,1]
	v_pk_fma_f32 v[4:5], v[6:7], v[0:1], v[4:5] op_sel:[0,0,1] op_sel_hi:[1,0,0]
	s_delay_alu instid0(VALU_DEP_1)
	v_mov_b32_e32 v9, v5
	ds_load_2addr_b64 v[4:7], v20 offset0:31 offset1:32
	v_pk_add_f32 v[124:125], v[124:125], v[10:11] neg_lo:[0,1] neg_hi:[0,1]
	v_pk_add_f32 v[126:127], v[126:127], v[8:9] neg_lo:[0,1] neg_hi:[0,1]
	s_wait_dscnt 0x0
	v_pk_mul_f32 v[8:9], v[4:5], v[2:3] op_sel:[0,1]
	s_delay_alu instid0(VALU_DEP_1) | instskip(SKIP_1) | instid1(VALU_DEP_1)
	v_pk_fma_f32 v[10:11], v[4:5], v[0:1], v[8:9] op_sel:[0,0,1] op_sel_hi:[1,1,0] neg_lo:[0,0,1] neg_hi:[0,0,1]
	v_pk_fma_f32 v[4:5], v[4:5], v[0:1], v[8:9] op_sel:[0,0,1] op_sel_hi:[1,0,0]
	v_mov_b32_e32 v11, v5
	v_pk_mul_f32 v[4:5], v[6:7], v[2:3] op_sel:[0,1]
	s_delay_alu instid0(VALU_DEP_1) | instskip(SKIP_1) | instid1(VALU_DEP_1)
	v_pk_fma_f32 v[8:9], v[6:7], v[0:1], v[4:5] op_sel:[0,0,1] op_sel_hi:[1,1,0] neg_lo:[0,0,1] neg_hi:[0,0,1]
	v_pk_fma_f32 v[4:5], v[6:7], v[0:1], v[4:5] op_sel:[0,0,1] op_sel_hi:[1,0,0]
	v_mov_b32_e32 v9, v5
	ds_load_2addr_b64 v[4:7], v20 offset0:33 offset1:34
	v_pk_add_f32 v[122:123], v[122:123], v[10:11] neg_lo:[0,1] neg_hi:[0,1]
	v_pk_add_f32 v[150:151], v[150:151], v[8:9] neg_lo:[0,1] neg_hi:[0,1]
	s_wait_dscnt 0x0
	v_dual_mul_f32 v8, v5, v3 :: v_dual_mul_f32 v10, v5, v0
	s_delay_alu instid0(VALU_DEP_1) | instskip(NEXT) | instid1(VALU_DEP_2)
	v_pk_fma_f32 v[8:9], v[4:5], v[36:37], v[8:9] op_sel_hi:[1,1,0] neg_lo:[0,0,1] neg_hi:[0,0,1]
	v_pk_fma_f32 v[4:5], v[4:5], v[36:37], v[10:11] op_sel:[1,0,0] op_sel_hi:[0,1,0]
	s_delay_alu instid0(VALU_DEP_1) | instskip(SKIP_1) | instid1(VALU_DEP_2)
	v_mov_b32_e32 v9, v5
	v_pk_mul_f32 v[4:5], v[6:7], v[2:3] op_sel:[0,1]
	v_pk_add_f32 v[146:147], v[146:147], v[8:9] neg_lo:[0,1] neg_hi:[0,1]
	s_delay_alu instid0(VALU_DEP_2) | instskip(SKIP_1) | instid1(VALU_DEP_1)
	v_pk_fma_f32 v[8:9], v[6:7], v[0:1], v[4:5] op_sel:[0,0,1] op_sel_hi:[1,1,0] neg_lo:[0,0,1] neg_hi:[0,0,1]
	v_pk_fma_f32 v[4:5], v[6:7], v[0:1], v[4:5] op_sel:[0,0,1] op_sel_hi:[1,0,0]
	v_mov_b32_e32 v9, v5
	ds_load_2addr_b64 v[4:7], v20 offset0:35 offset1:36
	v_pk_add_f32 v[148:149], v[148:149], v[8:9] neg_lo:[0,1] neg_hi:[0,1]
	s_wait_dscnt 0x0
	v_pk_mul_f32 v[8:9], v[4:5], v[2:3] op_sel:[0,1]
	s_delay_alu instid0(VALU_DEP_1) | instskip(SKIP_1) | instid1(VALU_DEP_1)
	v_pk_fma_f32 v[10:11], v[4:5], v[0:1], v[8:9] op_sel:[0,0,1] op_sel_hi:[1,1,0] neg_lo:[0,0,1] neg_hi:[0,0,1]
	v_pk_fma_f32 v[4:5], v[4:5], v[0:1], v[8:9] op_sel:[0,0,1] op_sel_hi:[1,0,0]
	v_mov_b32_e32 v11, v5
	v_pk_mul_f32 v[4:5], v[6:7], v[2:3] op_sel:[0,1]
	s_delay_alu instid0(VALU_DEP_2) | instskip(NEXT) | instid1(VALU_DEP_2)
	v_pk_add_f32 v[144:145], v[144:145], v[10:11] neg_lo:[0,1] neg_hi:[0,1]
	v_pk_fma_f32 v[8:9], v[6:7], v[0:1], v[4:5] op_sel:[0,0,1] op_sel_hi:[1,1,0] neg_lo:[0,0,1] neg_hi:[0,0,1]
	v_pk_fma_f32 v[4:5], v[6:7], v[0:1], v[4:5] op_sel:[0,0,1] op_sel_hi:[1,0,0]
	s_delay_alu instid0(VALU_DEP_1) | instskip(SKIP_4) | instid1(VALU_DEP_1)
	v_mov_b32_e32 v9, v5
	ds_load_2addr_b64 v[4:7], v20 offset0:37 offset1:38
	v_pk_add_f32 v[174:175], v[174:175], v[8:9] neg_lo:[0,1] neg_hi:[0,1]
	s_wait_dscnt 0x0
	v_pk_mul_f32 v[8:9], v[4:5], v[2:3] op_sel:[0,1]
	v_pk_fma_f32 v[10:11], v[4:5], v[0:1], v[8:9] op_sel:[0,0,1] op_sel_hi:[1,1,0] neg_lo:[0,0,1] neg_hi:[0,0,1]
	v_pk_fma_f32 v[4:5], v[4:5], v[0:1], v[8:9] op_sel:[0,0,1] op_sel_hi:[1,0,0]
	v_dual_mul_f32 v8, v7, v3 :: v_dual_mov_b32 v4, v7
	s_delay_alu instid0(VALU_DEP_2) | instskip(NEXT) | instid1(VALU_DEP_2)
	v_dual_mov_b32 v11, v5 :: v_dual_mov_b32 v5, v6
	v_pk_fma_f32 v[8:9], v[6:7], v[36:37], v[8:9] op_sel_hi:[1,1,0] neg_lo:[0,0,1] neg_hi:[0,0,1]
	v_mul_f32_e32 v6, v7, v0
	s_delay_alu instid0(VALU_DEP_3) | instskip(NEXT) | instid1(VALU_DEP_2)
	v_pk_add_f32 v[166:167], v[166:167], v[10:11] neg_lo:[0,1] neg_hi:[0,1]
	v_pk_fma_f32 v[4:5], v[4:5], v[36:37], v[6:7] op_sel_hi:[1,1,0]
	s_delay_alu instid0(VALU_DEP_1) | instskip(SKIP_4) | instid1(VALU_DEP_1)
	v_mov_b32_e32 v9, v5
	ds_load_2addr_b64 v[4:7], v20 offset0:39 offset1:40
	v_pk_add_f32 v[172:173], v[172:173], v[8:9] neg_lo:[0,1] neg_hi:[0,1]
	s_wait_dscnt 0x0
	v_pk_mul_f32 v[8:9], v[4:5], v[2:3] op_sel:[0,1]
	v_pk_fma_f32 v[10:11], v[4:5], v[0:1], v[8:9] op_sel:[0,0,1] op_sel_hi:[1,1,0] neg_lo:[0,0,1] neg_hi:[0,0,1]
	v_pk_fma_f32 v[4:5], v[4:5], v[0:1], v[8:9] op_sel:[0,0,1] op_sel_hi:[1,0,0]
	s_delay_alu instid0(VALU_DEP_1) | instskip(SKIP_1) | instid1(VALU_DEP_1)
	v_mov_b32_e32 v11, v5
	v_pk_mul_f32 v[4:5], v[6:7], v[2:3] op_sel:[0,1]
	v_pk_fma_f32 v[8:9], v[6:7], v[0:1], v[4:5] op_sel:[0,0,1] op_sel_hi:[1,1,0] neg_lo:[0,0,1] neg_hi:[0,0,1]
	v_pk_fma_f32 v[4:5], v[6:7], v[0:1], v[4:5] op_sel:[0,0,1] op_sel_hi:[1,0,0]
	s_delay_alu instid0(VALU_DEP_1)
	v_mov_b32_e32 v9, v5
	ds_load_2addr_b64 v[4:7], v20 offset0:41 offset1:42
	v_pk_add_f32 v[164:165], v[164:165], v[10:11] neg_lo:[0,1] neg_hi:[0,1]
	v_pk_add_f32 v[170:171], v[170:171], v[8:9] neg_lo:[0,1] neg_hi:[0,1]
	s_wait_dscnt 0x0
	v_pk_mul_f32 v[8:9], v[4:5], v[2:3] op_sel:[0,1]
	s_delay_alu instid0(VALU_DEP_1) | instskip(SKIP_1) | instid1(VALU_DEP_1)
	v_pk_fma_f32 v[10:11], v[4:5], v[0:1], v[8:9] op_sel:[0,0,1] op_sel_hi:[1,1,0] neg_lo:[0,0,1] neg_hi:[0,0,1]
	v_pk_fma_f32 v[4:5], v[4:5], v[0:1], v[8:9] op_sel:[0,0,1] op_sel_hi:[1,0,0]
	v_mov_b32_e32 v11, v5
	v_pk_mul_f32 v[4:5], v[6:7], v[2:3] op_sel:[0,1]
	s_delay_alu instid0(VALU_DEP_1) | instskip(SKIP_1) | instid1(VALU_DEP_1)
	v_pk_fma_f32 v[8:9], v[6:7], v[0:1], v[4:5] op_sel:[0,0,1] op_sel_hi:[1,1,0] neg_lo:[0,0,1] neg_hi:[0,0,1]
	v_pk_fma_f32 v[4:5], v[6:7], v[0:1], v[4:5] op_sel:[0,0,1] op_sel_hi:[1,0,0]
	v_mov_b32_e32 v9, v5
	ds_load_2addr_b64 v[4:7], v20 offset0:43 offset1:44
	v_pk_add_f32 v[162:163], v[162:163], v[10:11] neg_lo:[0,1] neg_hi:[0,1]
	v_pk_add_f32 v[168:169], v[168:169], v[8:9] neg_lo:[0,1] neg_hi:[0,1]
	s_wait_dscnt 0x0
	v_mul_f32_e32 v2, v5, v3
	s_delay_alu instid0(VALU_DEP_1) | instskip(SKIP_1) | instid1(VALU_DEP_1)
	v_pk_fma_f32 v[8:9], v[4:5], v[36:37], v[2:3] op_sel_hi:[1,1,0] neg_lo:[0,0,1] neg_hi:[0,0,1]
	v_dual_mul_f32 v2, v5, v0 :: v_dual_mul_f32 v0, v7, v0
	v_pk_fma_f32 v[4:5], v[4:5], v[36:37], v[2:3] op_sel:[1,0,0] op_sel_hi:[0,1,0]
	v_dual_mov_b32 v4, v7 :: v_dual_mul_f32 v2, v7, v3
	s_delay_alu instid0(VALU_DEP_2) | instskip(NEXT) | instid1(VALU_DEP_2)
	v_dual_mov_b32 v9, v5 :: v_dual_mov_b32 v5, v6
	v_pk_fma_f32 v[2:3], v[6:7], v[36:37], v[2:3] op_sel_hi:[1,1,0] neg_lo:[0,0,1] neg_hi:[0,0,1]
	s_delay_alu instid0(VALU_DEP_2) | instskip(NEXT) | instid1(VALU_DEP_3)
	v_pk_add_f32 v[176:177], v[176:177], v[8:9] neg_lo:[0,1] neg_hi:[0,1]
	v_pk_fma_f32 v[0:1], v[4:5], v[36:37], v[0:1] op_sel_hi:[1,1,0]
	s_delay_alu instid0(VALU_DEP_1) | instskip(NEXT) | instid1(VALU_DEP_1)
	v_mov_b32_e32 v3, v1
	v_pk_add_f32 v[180:181], v[180:181], v[2:3] neg_lo:[0,1] neg_hi:[0,1]
.LBB89_136:
	s_or_b32 exec_lo, exec_lo, s1
	s_delay_alu instid0(SALU_CYCLE_1)
	s_mov_b32 s2, exec_lo
	s_wait_dscnt 0x0
	s_barrier_signal -1
	s_barrier_wait -1
	v_cmpx_eq_u32_e32 15, v38
	s_cbranch_execz .LBB89_143
; %bb.137:
	v_dual_mov_b32 v0, v66 :: v_dual_mov_b32 v1, v67
	v_dual_mov_b32 v2, v62 :: v_dual_mov_b32 v3, v63
	;; [unrolled: 1-line block ×4, first 2 shown]
	ds_store_b64 v39, v[34:35]
	ds_store_2addr_b64 v20, v[0:1], v[2:3] offset0:16 offset1:17
	ds_store_2addr_b64 v20, v[4:5], v[6:7] offset0:18 offset1:19
	v_dual_mov_b32 v0, v88 :: v_dual_mov_b32 v1, v89
	v_dual_mov_b32 v2, v84 :: v_dual_mov_b32 v3, v85
	;; [unrolled: 1-line block ×12, first 2 shown]
	ds_store_2addr_b64 v20, v[0:1], v[2:3] offset0:20 offset1:21
	ds_store_2addr_b64 v20, v[4:5], v[6:7] offset0:22 offset1:23
	;; [unrolled: 1-line block ×6, first 2 shown]
	v_dual_mov_b32 v0, v150 :: v_dual_mov_b32 v1, v151
	v_dual_mov_b32 v2, v146 :: v_dual_mov_b32 v3, v147
	;; [unrolled: 1-line block ×12, first 2 shown]
	ds_store_2addr_b64 v20, v[0:1], v[2:3] offset0:32 offset1:33
	ds_store_2addr_b64 v20, v[4:5], v[6:7] offset0:34 offset1:35
	;; [unrolled: 1-line block ×6, first 2 shown]
	ds_store_b64 v20, v[180:181] offset:352
	ds_load_b64 v[0:1], v39
	s_wait_dscnt 0x0
	v_cmp_neq_f32_e32 vcc_lo, 0, v0
	v_cmp_neq_f32_e64 s1, 0, v1
	s_or_b32 s1, vcc_lo, s1
	s_delay_alu instid0(SALU_CYCLE_1)
	s_and_b32 exec_lo, exec_lo, s1
	s_cbranch_execz .LBB89_143
; %bb.138:
	v_cmp_ngt_f32_e64 s1, |v0|, |v1|
                                        ; implicit-def: $vgpr2_vgpr3
	s_and_saveexec_b32 s4, s1
	s_delay_alu instid0(SALU_CYCLE_1)
	s_xor_b32 s1, exec_lo, s4
	s_cbranch_execz .LBB89_140
; %bb.139:
	v_div_scale_f32 v2, null, v1, v1, v0
	v_div_scale_f32 v5, vcc_lo, v0, v1, v0
	s_delay_alu instid0(VALU_DEP_2) | instskip(SKIP_1) | instid1(TRANS32_DEP_1)
	v_rcp_f32_e32 v3, v2
	v_nop
	v_fma_f32 v4, -v2, v3, 1.0
	s_delay_alu instid0(VALU_DEP_1) | instskip(NEXT) | instid1(VALU_DEP_1)
	v_fmac_f32_e32 v3, v4, v3
	v_mul_f32_e32 v4, v5, v3
	s_delay_alu instid0(VALU_DEP_1) | instskip(NEXT) | instid1(VALU_DEP_1)
	v_fma_f32 v6, -v2, v4, v5
	v_fmac_f32_e32 v4, v6, v3
	s_delay_alu instid0(VALU_DEP_1) | instskip(NEXT) | instid1(VALU_DEP_1)
	v_fma_f32 v2, -v2, v4, v5
	v_div_fmas_f32 v2, v2, v3, v4
	s_delay_alu instid0(VALU_DEP_1) | instskip(NEXT) | instid1(VALU_DEP_1)
	v_div_fixup_f32 v2, v2, v1, v0
	v_fmac_f32_e32 v1, v0, v2
	s_delay_alu instid0(VALU_DEP_1) | instskip(SKIP_1) | instid1(VALU_DEP_2)
	v_div_scale_f32 v0, null, v1, v1, 1.0
	v_div_scale_f32 v5, vcc_lo, 1.0, v1, 1.0
	v_rcp_f32_e32 v3, v0
	v_nop
	s_delay_alu instid0(TRANS32_DEP_1) | instskip(NEXT) | instid1(VALU_DEP_1)
	v_fma_f32 v4, -v0, v3, 1.0
	v_fmac_f32_e32 v3, v4, v3
	s_delay_alu instid0(VALU_DEP_1) | instskip(NEXT) | instid1(VALU_DEP_1)
	v_mul_f32_e32 v4, v5, v3
	v_fma_f32 v6, -v0, v4, v5
	s_delay_alu instid0(VALU_DEP_1) | instskip(NEXT) | instid1(VALU_DEP_1)
	v_fmac_f32_e32 v4, v6, v3
	v_fma_f32 v0, -v0, v4, v5
	s_delay_alu instid0(VALU_DEP_1) | instskip(NEXT) | instid1(VALU_DEP_1)
	v_div_fmas_f32 v0, v0, v3, v4
	v_div_fixup_f32 v0, v0, v1, 1.0
	s_delay_alu instid0(VALU_DEP_1)
	v_mul_f32_e32 v2, v2, v0
	v_xor_b32_e32 v3, 0x80000000, v0
                                        ; implicit-def: $vgpr0_vgpr1
.LBB89_140:
	s_and_not1_saveexec_b32 s1, s1
	s_cbranch_execz .LBB89_142
; %bb.141:
	v_div_scale_f32 v2, null, v0, v0, v1
	v_div_scale_f32 v5, vcc_lo, v1, v0, v1
	s_delay_alu instid0(VALU_DEP_2) | instskip(SKIP_1) | instid1(TRANS32_DEP_1)
	v_rcp_f32_e32 v3, v2
	v_nop
	v_fma_f32 v4, -v2, v3, 1.0
	s_delay_alu instid0(VALU_DEP_1) | instskip(NEXT) | instid1(VALU_DEP_1)
	v_fmac_f32_e32 v3, v4, v3
	v_mul_f32_e32 v4, v5, v3
	s_delay_alu instid0(VALU_DEP_1) | instskip(NEXT) | instid1(VALU_DEP_1)
	v_fma_f32 v6, -v2, v4, v5
	v_fmac_f32_e32 v4, v6, v3
	s_delay_alu instid0(VALU_DEP_1) | instskip(NEXT) | instid1(VALU_DEP_1)
	v_fma_f32 v2, -v2, v4, v5
	v_div_fmas_f32 v2, v2, v3, v4
	s_delay_alu instid0(VALU_DEP_1) | instskip(NEXT) | instid1(VALU_DEP_1)
	v_div_fixup_f32 v3, v2, v0, v1
	v_fmac_f32_e32 v0, v1, v3
	s_delay_alu instid0(VALU_DEP_1) | instskip(NEXT) | instid1(VALU_DEP_1)
	v_div_scale_f32 v1, null, v0, v0, 1.0
	v_rcp_f32_e32 v2, v1
	v_nop
	s_delay_alu instid0(TRANS32_DEP_1) | instskip(NEXT) | instid1(VALU_DEP_1)
	v_fma_f32 v4, -v1, v2, 1.0
	v_fmac_f32_e32 v2, v4, v2
	v_div_scale_f32 v4, vcc_lo, 1.0, v0, 1.0
	s_delay_alu instid0(VALU_DEP_1) | instskip(NEXT) | instid1(VALU_DEP_1)
	v_mul_f32_e32 v5, v4, v2
	v_fma_f32 v6, -v1, v5, v4
	s_delay_alu instid0(VALU_DEP_1) | instskip(NEXT) | instid1(VALU_DEP_1)
	v_fmac_f32_e32 v5, v6, v2
	v_fma_f32 v1, -v1, v5, v4
	s_delay_alu instid0(VALU_DEP_1) | instskip(NEXT) | instid1(VALU_DEP_1)
	v_div_fmas_f32 v1, v1, v2, v5
	v_div_fixup_f32 v2, v1, v0, 1.0
	s_delay_alu instid0(VALU_DEP_1)
	v_mul_f32_e64 v3, v3, -v2
.LBB89_142:
	s_or_b32 exec_lo, exec_lo, s1
	ds_store_b64 v39, v[2:3]
.LBB89_143:
	s_or_b32 exec_lo, exec_lo, s2
	s_wait_dscnt 0x0
	s_barrier_signal -1
	s_barrier_wait -1
	ds_load_b64 v[212:213], v39
	s_mov_b32 s1, exec_lo
	v_cmpx_lt_u32_e32 15, v38
	s_cbranch_execz .LBB89_145
; %bb.144:
	ds_load_2addr_b64 v[4:7], v20 offset0:16 offset1:17
	s_wait_dscnt 0x1
	v_pk_mul_f32 v[2:3], v[212:213], v[34:35] op_sel:[1,1] op_sel_hi:[0,1]
	s_delay_alu instid0(VALU_DEP_1) | instskip(SKIP_1) | instid1(VALU_DEP_1)
	v_pk_fma_f32 v[0:1], v[212:213], v[34:35], v[2:3] op_sel_hi:[1,0,1] neg_lo:[0,0,1] neg_hi:[0,0,1]
	v_pk_fma_f32 v[2:3], v[212:213], v[34:35], v[2:3] op_sel_hi:[1,0,1]
	v_dual_mov_b32 v34, v0 :: v_dual_mov_b32 v35, v3
	s_wait_dscnt 0x0
	s_delay_alu instid0(VALU_DEP_2) | instskip(NEXT) | instid1(VALU_DEP_1)
	v_pk_mul_f32 v[8:9], v[4:5], v[2:3] op_sel:[0,1]
	v_pk_fma_f32 v[10:11], v[4:5], v[0:1], v[8:9] op_sel:[0,0,1] op_sel_hi:[1,1,0] neg_lo:[0,0,1] neg_hi:[0,0,1]
	v_pk_fma_f32 v[4:5], v[4:5], v[0:1], v[8:9] op_sel:[0,0,1] op_sel_hi:[1,0,0]
	s_delay_alu instid0(VALU_DEP_1) | instskip(SKIP_1) | instid1(VALU_DEP_1)
	v_mov_b32_e32 v11, v5
	v_pk_mul_f32 v[4:5], v[6:7], v[2:3] op_sel:[0,1]
	v_pk_fma_f32 v[8:9], v[6:7], v[0:1], v[4:5] op_sel:[0,0,1] op_sel_hi:[1,1,0] neg_lo:[0,0,1] neg_hi:[0,0,1]
	v_pk_fma_f32 v[4:5], v[6:7], v[0:1], v[4:5] op_sel:[0,0,1] op_sel_hi:[1,0,0]
	s_delay_alu instid0(VALU_DEP_1)
	v_mov_b32_e32 v9, v5
	ds_load_2addr_b64 v[4:7], v20 offset0:18 offset1:19
	v_pk_add_f32 v[66:67], v[66:67], v[10:11] neg_lo:[0,1] neg_hi:[0,1]
	v_pk_add_f32 v[62:63], v[62:63], v[8:9] neg_lo:[0,1] neg_hi:[0,1]
	s_wait_dscnt 0x0
	v_pk_mul_f32 v[8:9], v[4:5], v[2:3] op_sel:[0,1]
	s_delay_alu instid0(VALU_DEP_1) | instskip(SKIP_2) | instid1(VALU_DEP_2)
	v_pk_fma_f32 v[10:11], v[4:5], v[0:1], v[8:9] op_sel:[0,0,1] op_sel_hi:[1,1,0] neg_lo:[0,0,1] neg_hi:[0,0,1]
	v_pk_fma_f32 v[4:5], v[4:5], v[0:1], v[8:9] op_sel:[0,0,1] op_sel_hi:[1,0,0]
	v_dual_mul_f32 v8, v7, v3 :: v_dual_mov_b32 v4, v7
	v_dual_mov_b32 v11, v5 :: v_dual_mov_b32 v5, v6
	s_delay_alu instid0(VALU_DEP_2) | instskip(SKIP_1) | instid1(VALU_DEP_3)
	v_pk_fma_f32 v[8:9], v[6:7], v[34:35], v[8:9] op_sel_hi:[1,1,0] neg_lo:[0,0,1] neg_hi:[0,0,1]
	v_mul_f32_e32 v6, v7, v0
	v_pk_add_f32 v[64:65], v[64:65], v[10:11] neg_lo:[0,1] neg_hi:[0,1]
	s_delay_alu instid0(VALU_DEP_2) | instskip(NEXT) | instid1(VALU_DEP_1)
	v_pk_fma_f32 v[4:5], v[4:5], v[34:35], v[6:7] op_sel_hi:[1,1,0]
	v_mov_b32_e32 v9, v5
	ds_load_2addr_b64 v[4:7], v20 offset0:20 offset1:21
	v_pk_add_f32 v[60:61], v[60:61], v[8:9] neg_lo:[0,1] neg_hi:[0,1]
	s_wait_dscnt 0x0
	v_pk_mul_f32 v[8:9], v[4:5], v[2:3] op_sel:[0,1]
	s_delay_alu instid0(VALU_DEP_1) | instskip(SKIP_1) | instid1(VALU_DEP_1)
	v_pk_fma_f32 v[10:11], v[4:5], v[0:1], v[8:9] op_sel:[0,0,1] op_sel_hi:[1,1,0] neg_lo:[0,0,1] neg_hi:[0,0,1]
	v_pk_fma_f32 v[4:5], v[4:5], v[0:1], v[8:9] op_sel:[0,0,1] op_sel_hi:[1,0,0]
	v_mov_b32_e32 v11, v5
	v_pk_mul_f32 v[4:5], v[6:7], v[2:3] op_sel:[0,1]
	s_delay_alu instid0(VALU_DEP_1) | instskip(SKIP_1) | instid1(VALU_DEP_1)
	v_pk_fma_f32 v[8:9], v[6:7], v[0:1], v[4:5] op_sel:[0,0,1] op_sel_hi:[1,1,0] neg_lo:[0,0,1] neg_hi:[0,0,1]
	v_pk_fma_f32 v[4:5], v[6:7], v[0:1], v[4:5] op_sel:[0,0,1] op_sel_hi:[1,0,0]
	v_mov_b32_e32 v9, v5
	ds_load_2addr_b64 v[4:7], v20 offset0:22 offset1:23
	v_pk_add_f32 v[88:89], v[88:89], v[10:11] neg_lo:[0,1] neg_hi:[0,1]
	v_pk_add_f32 v[84:85], v[84:85], v[8:9] neg_lo:[0,1] neg_hi:[0,1]
	s_wait_dscnt 0x0
	v_pk_mul_f32 v[8:9], v[4:5], v[2:3] op_sel:[0,1]
	s_delay_alu instid0(VALU_DEP_1) | instskip(SKIP_1) | instid1(VALU_DEP_1)
	v_pk_fma_f32 v[10:11], v[4:5], v[0:1], v[8:9] op_sel:[0,0,1] op_sel_hi:[1,1,0] neg_lo:[0,0,1] neg_hi:[0,0,1]
	v_pk_fma_f32 v[4:5], v[4:5], v[0:1], v[8:9] op_sel:[0,0,1] op_sel_hi:[1,0,0]
	v_mov_b32_e32 v11, v5
	v_pk_mul_f32 v[4:5], v[6:7], v[2:3] op_sel:[0,1]
	s_delay_alu instid0(VALU_DEP_1) | instskip(SKIP_1) | instid1(VALU_DEP_1)
	v_pk_fma_f32 v[8:9], v[6:7], v[0:1], v[4:5] op_sel:[0,0,1] op_sel_hi:[1,1,0] neg_lo:[0,0,1] neg_hi:[0,0,1]
	v_pk_fma_f32 v[4:5], v[6:7], v[0:1], v[4:5] op_sel:[0,0,1] op_sel_hi:[1,0,0]
	v_mov_b32_e32 v9, v5
	ds_load_2addr_b64 v[4:7], v20 offset0:24 offset1:25
	v_pk_add_f32 v[86:87], v[86:87], v[10:11] neg_lo:[0,1] neg_hi:[0,1]
	v_pk_add_f32 v[82:83], v[82:83], v[8:9] neg_lo:[0,1] neg_hi:[0,1]
	s_wait_dscnt 0x0
	v_dual_mul_f32 v8, v5, v3 :: v_dual_mul_f32 v10, v5, v0
	s_delay_alu instid0(VALU_DEP_1) | instskip(NEXT) | instid1(VALU_DEP_2)
	v_pk_fma_f32 v[8:9], v[4:5], v[34:35], v[8:9] op_sel_hi:[1,1,0] neg_lo:[0,0,1] neg_hi:[0,0,1]
	v_pk_fma_f32 v[4:5], v[4:5], v[34:35], v[10:11] op_sel:[1,0,0] op_sel_hi:[0,1,0]
	s_delay_alu instid0(VALU_DEP_1) | instskip(SKIP_1) | instid1(VALU_DEP_2)
	v_mov_b32_e32 v9, v5
	v_pk_mul_f32 v[4:5], v[6:7], v[2:3] op_sel:[0,1]
	v_pk_add_f32 v[112:113], v[112:113], v[8:9] neg_lo:[0,1] neg_hi:[0,1]
	s_delay_alu instid0(VALU_DEP_2) | instskip(SKIP_1) | instid1(VALU_DEP_1)
	v_pk_fma_f32 v[8:9], v[6:7], v[0:1], v[4:5] op_sel:[0,0,1] op_sel_hi:[1,1,0] neg_lo:[0,0,1] neg_hi:[0,0,1]
	v_pk_fma_f32 v[4:5], v[6:7], v[0:1], v[4:5] op_sel:[0,0,1] op_sel_hi:[1,0,0]
	v_mov_b32_e32 v9, v5
	ds_load_2addr_b64 v[4:7], v20 offset0:26 offset1:27
	v_pk_add_f32 v[108:109], v[108:109], v[8:9] neg_lo:[0,1] neg_hi:[0,1]
	s_wait_dscnt 0x0
	v_pk_mul_f32 v[8:9], v[4:5], v[2:3] op_sel:[0,1]
	s_delay_alu instid0(VALU_DEP_1) | instskip(SKIP_1) | instid1(VALU_DEP_1)
	v_pk_fma_f32 v[10:11], v[4:5], v[0:1], v[8:9] op_sel:[0,0,1] op_sel_hi:[1,1,0] neg_lo:[0,0,1] neg_hi:[0,0,1]
	v_pk_fma_f32 v[4:5], v[4:5], v[0:1], v[8:9] op_sel:[0,0,1] op_sel_hi:[1,0,0]
	v_mov_b32_e32 v11, v5
	v_pk_mul_f32 v[4:5], v[6:7], v[2:3] op_sel:[0,1]
	s_delay_alu instid0(VALU_DEP_2) | instskip(NEXT) | instid1(VALU_DEP_2)
	v_pk_add_f32 v[110:111], v[110:111], v[10:11] neg_lo:[0,1] neg_hi:[0,1]
	v_pk_fma_f32 v[8:9], v[6:7], v[0:1], v[4:5] op_sel:[0,0,1] op_sel_hi:[1,1,0] neg_lo:[0,0,1] neg_hi:[0,0,1]
	v_pk_fma_f32 v[4:5], v[6:7], v[0:1], v[4:5] op_sel:[0,0,1] op_sel_hi:[1,0,0]
	s_delay_alu instid0(VALU_DEP_1) | instskip(SKIP_4) | instid1(VALU_DEP_1)
	v_mov_b32_e32 v9, v5
	ds_load_2addr_b64 v[4:7], v20 offset0:28 offset1:29
	v_pk_add_f32 v[106:107], v[106:107], v[8:9] neg_lo:[0,1] neg_hi:[0,1]
	s_wait_dscnt 0x0
	v_pk_mul_f32 v[8:9], v[4:5], v[2:3] op_sel:[0,1]
	v_pk_fma_f32 v[10:11], v[4:5], v[0:1], v[8:9] op_sel:[0,0,1] op_sel_hi:[1,1,0] neg_lo:[0,0,1] neg_hi:[0,0,1]
	v_pk_fma_f32 v[4:5], v[4:5], v[0:1], v[8:9] op_sel:[0,0,1] op_sel_hi:[1,0,0]
	v_dual_mul_f32 v8, v7, v3 :: v_dual_mov_b32 v4, v7
	s_delay_alu instid0(VALU_DEP_2) | instskip(NEXT) | instid1(VALU_DEP_2)
	v_dual_mov_b32 v11, v5 :: v_dual_mov_b32 v5, v6
	v_pk_fma_f32 v[8:9], v[6:7], v[34:35], v[8:9] op_sel_hi:[1,1,0] neg_lo:[0,0,1] neg_hi:[0,0,1]
	v_mul_f32_e32 v6, v7, v0
	s_delay_alu instid0(VALU_DEP_3) | instskip(NEXT) | instid1(VALU_DEP_2)
	v_pk_add_f32 v[128:129], v[128:129], v[10:11] neg_lo:[0,1] neg_hi:[0,1]
	v_pk_fma_f32 v[4:5], v[4:5], v[34:35], v[6:7] op_sel_hi:[1,1,0]
	s_delay_alu instid0(VALU_DEP_1) | instskip(SKIP_4) | instid1(VALU_DEP_1)
	v_mov_b32_e32 v9, v5
	ds_load_2addr_b64 v[4:7], v20 offset0:30 offset1:31
	v_pk_add_f32 v[124:125], v[124:125], v[8:9] neg_lo:[0,1] neg_hi:[0,1]
	s_wait_dscnt 0x0
	v_pk_mul_f32 v[8:9], v[4:5], v[2:3] op_sel:[0,1]
	v_pk_fma_f32 v[10:11], v[4:5], v[0:1], v[8:9] op_sel:[0,0,1] op_sel_hi:[1,1,0] neg_lo:[0,0,1] neg_hi:[0,0,1]
	v_pk_fma_f32 v[4:5], v[4:5], v[0:1], v[8:9] op_sel:[0,0,1] op_sel_hi:[1,0,0]
	s_delay_alu instid0(VALU_DEP_1) | instskip(SKIP_1) | instid1(VALU_DEP_1)
	v_mov_b32_e32 v11, v5
	v_pk_mul_f32 v[4:5], v[6:7], v[2:3] op_sel:[0,1]
	v_pk_fma_f32 v[8:9], v[6:7], v[0:1], v[4:5] op_sel:[0,0,1] op_sel_hi:[1,1,0] neg_lo:[0,0,1] neg_hi:[0,0,1]
	v_pk_fma_f32 v[4:5], v[6:7], v[0:1], v[4:5] op_sel:[0,0,1] op_sel_hi:[1,0,0]
	s_delay_alu instid0(VALU_DEP_1)
	v_mov_b32_e32 v9, v5
	ds_load_2addr_b64 v[4:7], v20 offset0:32 offset1:33
	v_pk_add_f32 v[126:127], v[126:127], v[10:11] neg_lo:[0,1] neg_hi:[0,1]
	v_pk_add_f32 v[122:123], v[122:123], v[8:9] neg_lo:[0,1] neg_hi:[0,1]
	s_wait_dscnt 0x0
	v_pk_mul_f32 v[8:9], v[4:5], v[2:3] op_sel:[0,1]
	s_delay_alu instid0(VALU_DEP_1) | instskip(SKIP_1) | instid1(VALU_DEP_1)
	v_pk_fma_f32 v[10:11], v[4:5], v[0:1], v[8:9] op_sel:[0,0,1] op_sel_hi:[1,1,0] neg_lo:[0,0,1] neg_hi:[0,0,1]
	v_pk_fma_f32 v[4:5], v[4:5], v[0:1], v[8:9] op_sel:[0,0,1] op_sel_hi:[1,0,0]
	v_mov_b32_e32 v11, v5
	v_pk_mul_f32 v[4:5], v[6:7], v[2:3] op_sel:[0,1]
	s_delay_alu instid0(VALU_DEP_1) | instskip(SKIP_1) | instid1(VALU_DEP_1)
	v_pk_fma_f32 v[8:9], v[6:7], v[0:1], v[4:5] op_sel:[0,0,1] op_sel_hi:[1,1,0] neg_lo:[0,0,1] neg_hi:[0,0,1]
	v_pk_fma_f32 v[4:5], v[6:7], v[0:1], v[4:5] op_sel:[0,0,1] op_sel_hi:[1,0,0]
	v_mov_b32_e32 v9, v5
	ds_load_2addr_b64 v[4:7], v20 offset0:34 offset1:35
	v_pk_add_f32 v[150:151], v[150:151], v[10:11] neg_lo:[0,1] neg_hi:[0,1]
	v_pk_add_f32 v[146:147], v[146:147], v[8:9] neg_lo:[0,1] neg_hi:[0,1]
	s_wait_dscnt 0x0
	v_dual_mul_f32 v8, v5, v3 :: v_dual_mul_f32 v10, v5, v0
	s_delay_alu instid0(VALU_DEP_1) | instskip(NEXT) | instid1(VALU_DEP_2)
	v_pk_fma_f32 v[8:9], v[4:5], v[34:35], v[8:9] op_sel_hi:[1,1,0] neg_lo:[0,0,1] neg_hi:[0,0,1]
	v_pk_fma_f32 v[4:5], v[4:5], v[34:35], v[10:11] op_sel:[1,0,0] op_sel_hi:[0,1,0]
	s_delay_alu instid0(VALU_DEP_1) | instskip(SKIP_1) | instid1(VALU_DEP_2)
	v_mov_b32_e32 v9, v5
	v_pk_mul_f32 v[4:5], v[6:7], v[2:3] op_sel:[0,1]
	v_pk_add_f32 v[148:149], v[148:149], v[8:9] neg_lo:[0,1] neg_hi:[0,1]
	s_delay_alu instid0(VALU_DEP_2) | instskip(SKIP_1) | instid1(VALU_DEP_1)
	v_pk_fma_f32 v[8:9], v[6:7], v[0:1], v[4:5] op_sel:[0,0,1] op_sel_hi:[1,1,0] neg_lo:[0,0,1] neg_hi:[0,0,1]
	v_pk_fma_f32 v[4:5], v[6:7], v[0:1], v[4:5] op_sel:[0,0,1] op_sel_hi:[1,0,0]
	v_mov_b32_e32 v9, v5
	ds_load_2addr_b64 v[4:7], v20 offset0:36 offset1:37
	v_pk_add_f32 v[144:145], v[144:145], v[8:9] neg_lo:[0,1] neg_hi:[0,1]
	s_wait_dscnt 0x0
	v_pk_mul_f32 v[8:9], v[4:5], v[2:3] op_sel:[0,1]
	s_delay_alu instid0(VALU_DEP_1) | instskip(SKIP_1) | instid1(VALU_DEP_1)
	v_pk_fma_f32 v[10:11], v[4:5], v[0:1], v[8:9] op_sel:[0,0,1] op_sel_hi:[1,1,0] neg_lo:[0,0,1] neg_hi:[0,0,1]
	v_pk_fma_f32 v[4:5], v[4:5], v[0:1], v[8:9] op_sel:[0,0,1] op_sel_hi:[1,0,0]
	v_mov_b32_e32 v11, v5
	v_pk_mul_f32 v[4:5], v[6:7], v[2:3] op_sel:[0,1]
	s_delay_alu instid0(VALU_DEP_2) | instskip(NEXT) | instid1(VALU_DEP_2)
	v_pk_add_f32 v[174:175], v[174:175], v[10:11] neg_lo:[0,1] neg_hi:[0,1]
	v_pk_fma_f32 v[8:9], v[6:7], v[0:1], v[4:5] op_sel:[0,0,1] op_sel_hi:[1,1,0] neg_lo:[0,0,1] neg_hi:[0,0,1]
	v_pk_fma_f32 v[4:5], v[6:7], v[0:1], v[4:5] op_sel:[0,0,1] op_sel_hi:[1,0,0]
	s_delay_alu instid0(VALU_DEP_1) | instskip(SKIP_4) | instid1(VALU_DEP_1)
	v_mov_b32_e32 v9, v5
	ds_load_2addr_b64 v[4:7], v20 offset0:38 offset1:39
	v_pk_add_f32 v[166:167], v[166:167], v[8:9] neg_lo:[0,1] neg_hi:[0,1]
	s_wait_dscnt 0x0
	v_pk_mul_f32 v[8:9], v[4:5], v[2:3] op_sel:[0,1]
	v_pk_fma_f32 v[10:11], v[4:5], v[0:1], v[8:9] op_sel:[0,0,1] op_sel_hi:[1,1,0] neg_lo:[0,0,1] neg_hi:[0,0,1]
	v_pk_fma_f32 v[4:5], v[4:5], v[0:1], v[8:9] op_sel:[0,0,1] op_sel_hi:[1,0,0]
	v_dual_mul_f32 v8, v7, v3 :: v_dual_mov_b32 v4, v7
	s_delay_alu instid0(VALU_DEP_2) | instskip(NEXT) | instid1(VALU_DEP_2)
	v_dual_mov_b32 v11, v5 :: v_dual_mov_b32 v5, v6
	v_pk_fma_f32 v[8:9], v[6:7], v[34:35], v[8:9] op_sel_hi:[1,1,0] neg_lo:[0,0,1] neg_hi:[0,0,1]
	v_mul_f32_e32 v6, v7, v0
	s_delay_alu instid0(VALU_DEP_3) | instskip(NEXT) | instid1(VALU_DEP_2)
	v_pk_add_f32 v[172:173], v[172:173], v[10:11] neg_lo:[0,1] neg_hi:[0,1]
	v_pk_fma_f32 v[4:5], v[4:5], v[34:35], v[6:7] op_sel_hi:[1,1,0]
	s_delay_alu instid0(VALU_DEP_1) | instskip(SKIP_4) | instid1(VALU_DEP_1)
	v_mov_b32_e32 v9, v5
	ds_load_2addr_b64 v[4:7], v20 offset0:40 offset1:41
	v_pk_add_f32 v[164:165], v[164:165], v[8:9] neg_lo:[0,1] neg_hi:[0,1]
	s_wait_dscnt 0x0
	v_pk_mul_f32 v[8:9], v[4:5], v[2:3] op_sel:[0,1]
	v_pk_fma_f32 v[10:11], v[4:5], v[0:1], v[8:9] op_sel:[0,0,1] op_sel_hi:[1,1,0] neg_lo:[0,0,1] neg_hi:[0,0,1]
	v_pk_fma_f32 v[4:5], v[4:5], v[0:1], v[8:9] op_sel:[0,0,1] op_sel_hi:[1,0,0]
	s_delay_alu instid0(VALU_DEP_1) | instskip(SKIP_1) | instid1(VALU_DEP_1)
	v_mov_b32_e32 v11, v5
	v_pk_mul_f32 v[4:5], v[6:7], v[2:3] op_sel:[0,1]
	v_pk_fma_f32 v[8:9], v[6:7], v[0:1], v[4:5] op_sel:[0,0,1] op_sel_hi:[1,1,0] neg_lo:[0,0,1] neg_hi:[0,0,1]
	v_pk_fma_f32 v[4:5], v[6:7], v[0:1], v[4:5] op_sel:[0,0,1] op_sel_hi:[1,0,0]
	s_delay_alu instid0(VALU_DEP_1)
	v_mov_b32_e32 v9, v5
	ds_load_2addr_b64 v[4:7], v20 offset0:42 offset1:43
	v_pk_add_f32 v[170:171], v[170:171], v[10:11] neg_lo:[0,1] neg_hi:[0,1]
	v_pk_add_f32 v[162:163], v[162:163], v[8:9] neg_lo:[0,1] neg_hi:[0,1]
	s_wait_dscnt 0x0
	v_pk_mul_f32 v[8:9], v[4:5], v[2:3] op_sel:[0,1]
	s_delay_alu instid0(VALU_DEP_1) | instskip(SKIP_1) | instid1(VALU_DEP_1)
	v_pk_fma_f32 v[10:11], v[4:5], v[0:1], v[8:9] op_sel:[0,0,1] op_sel_hi:[1,1,0] neg_lo:[0,0,1] neg_hi:[0,0,1]
	v_pk_fma_f32 v[4:5], v[4:5], v[0:1], v[8:9] op_sel:[0,0,1] op_sel_hi:[1,0,0]
	v_mov_b32_e32 v11, v5
	v_pk_mul_f32 v[4:5], v[6:7], v[2:3] op_sel:[0,1]
	s_delay_alu instid0(VALU_DEP_1) | instskip(SKIP_1) | instid1(VALU_DEP_1)
	v_pk_fma_f32 v[8:9], v[6:7], v[0:1], v[4:5] op_sel:[0,0,1] op_sel_hi:[1,1,0] neg_lo:[0,0,1] neg_hi:[0,0,1]
	v_pk_fma_f32 v[4:5], v[6:7], v[0:1], v[4:5] op_sel:[0,0,1] op_sel_hi:[1,0,0]
	v_mov_b32_e32 v9, v5
	ds_load_b64 v[4:5], v20 offset:352
	v_pk_add_f32 v[168:169], v[168:169], v[10:11] neg_lo:[0,1] neg_hi:[0,1]
	v_pk_add_f32 v[176:177], v[176:177], v[8:9] neg_lo:[0,1] neg_hi:[0,1]
	s_wait_dscnt 0x0
	v_pk_mul_f32 v[2:3], v[4:5], v[2:3] op_sel:[0,1]
	s_delay_alu instid0(VALU_DEP_1) | instskip(SKIP_1) | instid1(VALU_DEP_1)
	v_pk_fma_f32 v[6:7], v[4:5], v[0:1], v[2:3] op_sel:[0,0,1] op_sel_hi:[1,1,0] neg_lo:[0,0,1] neg_hi:[0,0,1]
	v_pk_fma_f32 v[0:1], v[4:5], v[0:1], v[2:3] op_sel:[0,0,1] op_sel_hi:[1,0,0]
	v_mov_b32_e32 v7, v1
	s_delay_alu instid0(VALU_DEP_1)
	v_pk_add_f32 v[180:181], v[180:181], v[6:7] neg_lo:[0,1] neg_hi:[0,1]
.LBB89_145:
	s_or_b32 exec_lo, exec_lo, s1
	s_delay_alu instid0(SALU_CYCLE_1)
	s_mov_b32 s2, exec_lo
	s_wait_dscnt 0x0
	s_barrier_signal -1
	s_barrier_wait -1
	v_cmpx_eq_u32_e32 16, v38
	s_cbranch_execz .LBB89_152
; %bb.146:
	ds_store_b64 v39, v[66:67]
	ds_store_2addr_b64 v20, v[62:63], v[64:65] offset0:17 offset1:18
	ds_store_2addr_b64 v20, v[60:61], v[88:89] offset0:19 offset1:20
	ds_store_2addr_b64 v20, v[84:85], v[86:87] offset0:21 offset1:22
	ds_store_2addr_b64 v20, v[82:83], v[112:113] offset0:23 offset1:24
	ds_store_2addr_b64 v20, v[108:109], v[110:111] offset0:25 offset1:26
	ds_store_2addr_b64 v20, v[106:107], v[128:129] offset0:27 offset1:28
	ds_store_2addr_b64 v20, v[124:125], v[126:127] offset0:29 offset1:30
	ds_store_2addr_b64 v20, v[122:123], v[150:151] offset0:31 offset1:32
	ds_store_2addr_b64 v20, v[146:147], v[148:149] offset0:33 offset1:34
	ds_store_2addr_b64 v20, v[144:145], v[174:175] offset0:35 offset1:36
	ds_store_2addr_b64 v20, v[166:167], v[172:173] offset0:37 offset1:38
	ds_store_2addr_b64 v20, v[164:165], v[170:171] offset0:39 offset1:40
	ds_store_2addr_b64 v20, v[162:163], v[168:169] offset0:41 offset1:42
	ds_store_2addr_b64 v20, v[176:177], v[180:181] offset0:43 offset1:44
	ds_load_b64 v[0:1], v39
	s_wait_dscnt 0x0
	v_cmp_neq_f32_e32 vcc_lo, 0, v0
	v_cmp_neq_f32_e64 s1, 0, v1
	s_or_b32 s1, vcc_lo, s1
	s_delay_alu instid0(SALU_CYCLE_1)
	s_and_b32 exec_lo, exec_lo, s1
	s_cbranch_execz .LBB89_152
; %bb.147:
	v_cmp_ngt_f32_e64 s1, |v0|, |v1|
                                        ; implicit-def: $vgpr2_vgpr3
	s_and_saveexec_b32 s4, s1
	s_delay_alu instid0(SALU_CYCLE_1)
	s_xor_b32 s1, exec_lo, s4
	s_cbranch_execz .LBB89_149
; %bb.148:
	v_div_scale_f32 v2, null, v1, v1, v0
	v_div_scale_f32 v5, vcc_lo, v0, v1, v0
	s_delay_alu instid0(VALU_DEP_2) | instskip(SKIP_1) | instid1(TRANS32_DEP_1)
	v_rcp_f32_e32 v3, v2
	v_nop
	v_fma_f32 v4, -v2, v3, 1.0
	s_delay_alu instid0(VALU_DEP_1) | instskip(NEXT) | instid1(VALU_DEP_1)
	v_fmac_f32_e32 v3, v4, v3
	v_mul_f32_e32 v4, v5, v3
	s_delay_alu instid0(VALU_DEP_1) | instskip(NEXT) | instid1(VALU_DEP_1)
	v_fma_f32 v6, -v2, v4, v5
	v_fmac_f32_e32 v4, v6, v3
	s_delay_alu instid0(VALU_DEP_1) | instskip(NEXT) | instid1(VALU_DEP_1)
	v_fma_f32 v2, -v2, v4, v5
	v_div_fmas_f32 v2, v2, v3, v4
	s_delay_alu instid0(VALU_DEP_1) | instskip(NEXT) | instid1(VALU_DEP_1)
	v_div_fixup_f32 v2, v2, v1, v0
	v_fmac_f32_e32 v1, v0, v2
	s_delay_alu instid0(VALU_DEP_1) | instskip(SKIP_1) | instid1(VALU_DEP_2)
	v_div_scale_f32 v0, null, v1, v1, 1.0
	v_div_scale_f32 v5, vcc_lo, 1.0, v1, 1.0
	v_rcp_f32_e32 v3, v0
	v_nop
	s_delay_alu instid0(TRANS32_DEP_1) | instskip(NEXT) | instid1(VALU_DEP_1)
	v_fma_f32 v4, -v0, v3, 1.0
	v_fmac_f32_e32 v3, v4, v3
	s_delay_alu instid0(VALU_DEP_1) | instskip(NEXT) | instid1(VALU_DEP_1)
	v_mul_f32_e32 v4, v5, v3
	v_fma_f32 v6, -v0, v4, v5
	s_delay_alu instid0(VALU_DEP_1) | instskip(NEXT) | instid1(VALU_DEP_1)
	v_fmac_f32_e32 v4, v6, v3
	v_fma_f32 v0, -v0, v4, v5
	s_delay_alu instid0(VALU_DEP_1) | instskip(NEXT) | instid1(VALU_DEP_1)
	v_div_fmas_f32 v0, v0, v3, v4
	v_div_fixup_f32 v0, v0, v1, 1.0
	s_delay_alu instid0(VALU_DEP_1)
	v_mul_f32_e32 v2, v2, v0
	v_xor_b32_e32 v3, 0x80000000, v0
                                        ; implicit-def: $vgpr0_vgpr1
.LBB89_149:
	s_and_not1_saveexec_b32 s1, s1
	s_cbranch_execz .LBB89_151
; %bb.150:
	v_div_scale_f32 v2, null, v0, v0, v1
	v_div_scale_f32 v5, vcc_lo, v1, v0, v1
	s_delay_alu instid0(VALU_DEP_2) | instskip(SKIP_1) | instid1(TRANS32_DEP_1)
	v_rcp_f32_e32 v3, v2
	v_nop
	v_fma_f32 v4, -v2, v3, 1.0
	s_delay_alu instid0(VALU_DEP_1) | instskip(NEXT) | instid1(VALU_DEP_1)
	v_fmac_f32_e32 v3, v4, v3
	v_mul_f32_e32 v4, v5, v3
	s_delay_alu instid0(VALU_DEP_1) | instskip(NEXT) | instid1(VALU_DEP_1)
	v_fma_f32 v6, -v2, v4, v5
	v_fmac_f32_e32 v4, v6, v3
	s_delay_alu instid0(VALU_DEP_1) | instskip(NEXT) | instid1(VALU_DEP_1)
	v_fma_f32 v2, -v2, v4, v5
	v_div_fmas_f32 v2, v2, v3, v4
	s_delay_alu instid0(VALU_DEP_1) | instskip(NEXT) | instid1(VALU_DEP_1)
	v_div_fixup_f32 v3, v2, v0, v1
	v_fmac_f32_e32 v0, v1, v3
	s_delay_alu instid0(VALU_DEP_1) | instskip(NEXT) | instid1(VALU_DEP_1)
	v_div_scale_f32 v1, null, v0, v0, 1.0
	v_rcp_f32_e32 v2, v1
	v_nop
	s_delay_alu instid0(TRANS32_DEP_1) | instskip(NEXT) | instid1(VALU_DEP_1)
	v_fma_f32 v4, -v1, v2, 1.0
	v_fmac_f32_e32 v2, v4, v2
	v_div_scale_f32 v4, vcc_lo, 1.0, v0, 1.0
	s_delay_alu instid0(VALU_DEP_1) | instskip(NEXT) | instid1(VALU_DEP_1)
	v_mul_f32_e32 v5, v4, v2
	v_fma_f32 v6, -v1, v5, v4
	s_delay_alu instid0(VALU_DEP_1) | instskip(NEXT) | instid1(VALU_DEP_1)
	v_fmac_f32_e32 v5, v6, v2
	v_fma_f32 v1, -v1, v5, v4
	s_delay_alu instid0(VALU_DEP_1) | instskip(NEXT) | instid1(VALU_DEP_1)
	v_div_fmas_f32 v1, v1, v2, v5
	v_div_fixup_f32 v2, v1, v0, 1.0
	s_delay_alu instid0(VALU_DEP_1)
	v_mul_f32_e64 v3, v3, -v2
.LBB89_151:
	s_or_b32 exec_lo, exec_lo, s1
	ds_store_b64 v39, v[2:3]
.LBB89_152:
	s_or_b32 exec_lo, exec_lo, s2
	s_wait_dscnt 0x0
	s_barrier_signal -1
	s_barrier_wait -1
	ds_load_b64 v[214:215], v39
	s_mov_b32 s1, exec_lo
	v_cmpx_lt_u32_e32 16, v38
	s_cbranch_execz .LBB89_154
; %bb.153:
	ds_load_2addr_b64 v[4:7], v20 offset0:17 offset1:18
	s_wait_dscnt 0x1
	v_pk_mul_f32 v[2:3], v[214:215], v[66:67] op_sel:[1,1] op_sel_hi:[0,1]
	s_delay_alu instid0(VALU_DEP_1) | instskip(SKIP_1) | instid1(VALU_DEP_1)
	v_pk_fma_f32 v[0:1], v[214:215], v[66:67], v[2:3] op_sel_hi:[1,0,1] neg_lo:[0,0,1] neg_hi:[0,0,1]
	v_pk_fma_f32 v[2:3], v[214:215], v[66:67], v[2:3] op_sel_hi:[1,0,1]
	v_dual_mov_b32 v66, v0 :: v_dual_mov_b32 v67, v3
	s_wait_dscnt 0x0
	s_delay_alu instid0(VALU_DEP_2) | instskip(NEXT) | instid1(VALU_DEP_1)
	v_pk_mul_f32 v[8:9], v[4:5], v[2:3] op_sel:[0,1]
	v_pk_fma_f32 v[10:11], v[4:5], v[0:1], v[8:9] op_sel:[0,0,1] op_sel_hi:[1,1,0] neg_lo:[0,0,1] neg_hi:[0,0,1]
	v_pk_fma_f32 v[4:5], v[4:5], v[0:1], v[8:9] op_sel:[0,0,1] op_sel_hi:[1,0,0]
	s_delay_alu instid0(VALU_DEP_1) | instskip(SKIP_1) | instid1(VALU_DEP_1)
	v_mov_b32_e32 v11, v5
	v_pk_mul_f32 v[4:5], v[6:7], v[2:3] op_sel:[0,1]
	v_pk_fma_f32 v[8:9], v[6:7], v[0:1], v[4:5] op_sel:[0,0,1] op_sel_hi:[1,1,0] neg_lo:[0,0,1] neg_hi:[0,0,1]
	v_pk_fma_f32 v[4:5], v[6:7], v[0:1], v[4:5] op_sel:[0,0,1] op_sel_hi:[1,0,0]
	s_delay_alu instid0(VALU_DEP_1)
	v_mov_b32_e32 v9, v5
	ds_load_2addr_b64 v[4:7], v20 offset0:19 offset1:20
	v_pk_add_f32 v[62:63], v[62:63], v[10:11] neg_lo:[0,1] neg_hi:[0,1]
	v_pk_add_f32 v[64:65], v[64:65], v[8:9] neg_lo:[0,1] neg_hi:[0,1]
	s_wait_dscnt 0x0
	v_pk_mul_f32 v[8:9], v[4:5], v[2:3] op_sel:[0,1]
	s_delay_alu instid0(VALU_DEP_1) | instskip(SKIP_2) | instid1(VALU_DEP_2)
	v_pk_fma_f32 v[10:11], v[4:5], v[0:1], v[8:9] op_sel:[0,0,1] op_sel_hi:[1,1,0] neg_lo:[0,0,1] neg_hi:[0,0,1]
	v_pk_fma_f32 v[4:5], v[4:5], v[0:1], v[8:9] op_sel:[0,0,1] op_sel_hi:[1,0,0]
	v_dual_mul_f32 v8, v7, v3 :: v_dual_mov_b32 v4, v7
	v_dual_mov_b32 v11, v5 :: v_dual_mov_b32 v5, v6
	s_delay_alu instid0(VALU_DEP_2) | instskip(SKIP_1) | instid1(VALU_DEP_3)
	v_pk_fma_f32 v[8:9], v[6:7], v[66:67], v[8:9] op_sel_hi:[1,1,0] neg_lo:[0,0,1] neg_hi:[0,0,1]
	v_mul_f32_e32 v6, v7, v0
	v_pk_add_f32 v[60:61], v[60:61], v[10:11] neg_lo:[0,1] neg_hi:[0,1]
	s_delay_alu instid0(VALU_DEP_2) | instskip(NEXT) | instid1(VALU_DEP_1)
	v_pk_fma_f32 v[4:5], v[4:5], v[66:67], v[6:7] op_sel_hi:[1,1,0]
	v_mov_b32_e32 v9, v5
	ds_load_2addr_b64 v[4:7], v20 offset0:21 offset1:22
	v_pk_add_f32 v[88:89], v[88:89], v[8:9] neg_lo:[0,1] neg_hi:[0,1]
	s_wait_dscnt 0x0
	v_pk_mul_f32 v[8:9], v[4:5], v[2:3] op_sel:[0,1]
	s_delay_alu instid0(VALU_DEP_1) | instskip(SKIP_1) | instid1(VALU_DEP_1)
	v_pk_fma_f32 v[10:11], v[4:5], v[0:1], v[8:9] op_sel:[0,0,1] op_sel_hi:[1,1,0] neg_lo:[0,0,1] neg_hi:[0,0,1]
	v_pk_fma_f32 v[4:5], v[4:5], v[0:1], v[8:9] op_sel:[0,0,1] op_sel_hi:[1,0,0]
	v_mov_b32_e32 v11, v5
	v_pk_mul_f32 v[4:5], v[6:7], v[2:3] op_sel:[0,1]
	s_delay_alu instid0(VALU_DEP_1) | instskip(SKIP_1) | instid1(VALU_DEP_1)
	v_pk_fma_f32 v[8:9], v[6:7], v[0:1], v[4:5] op_sel:[0,0,1] op_sel_hi:[1,1,0] neg_lo:[0,0,1] neg_hi:[0,0,1]
	v_pk_fma_f32 v[4:5], v[6:7], v[0:1], v[4:5] op_sel:[0,0,1] op_sel_hi:[1,0,0]
	v_mov_b32_e32 v9, v5
	ds_load_2addr_b64 v[4:7], v20 offset0:23 offset1:24
	v_pk_add_f32 v[84:85], v[84:85], v[10:11] neg_lo:[0,1] neg_hi:[0,1]
	v_pk_add_f32 v[86:87], v[86:87], v[8:9] neg_lo:[0,1] neg_hi:[0,1]
	s_wait_dscnt 0x0
	v_pk_mul_f32 v[8:9], v[4:5], v[2:3] op_sel:[0,1]
	s_delay_alu instid0(VALU_DEP_1) | instskip(SKIP_1) | instid1(VALU_DEP_1)
	v_pk_fma_f32 v[10:11], v[4:5], v[0:1], v[8:9] op_sel:[0,0,1] op_sel_hi:[1,1,0] neg_lo:[0,0,1] neg_hi:[0,0,1]
	v_pk_fma_f32 v[4:5], v[4:5], v[0:1], v[8:9] op_sel:[0,0,1] op_sel_hi:[1,0,0]
	v_mov_b32_e32 v11, v5
	v_pk_mul_f32 v[4:5], v[6:7], v[2:3] op_sel:[0,1]
	s_delay_alu instid0(VALU_DEP_1) | instskip(SKIP_1) | instid1(VALU_DEP_1)
	v_pk_fma_f32 v[8:9], v[6:7], v[0:1], v[4:5] op_sel:[0,0,1] op_sel_hi:[1,1,0] neg_lo:[0,0,1] neg_hi:[0,0,1]
	v_pk_fma_f32 v[4:5], v[6:7], v[0:1], v[4:5] op_sel:[0,0,1] op_sel_hi:[1,0,0]
	v_mov_b32_e32 v9, v5
	ds_load_2addr_b64 v[4:7], v20 offset0:25 offset1:26
	v_pk_add_f32 v[82:83], v[82:83], v[10:11] neg_lo:[0,1] neg_hi:[0,1]
	v_pk_add_f32 v[112:113], v[112:113], v[8:9] neg_lo:[0,1] neg_hi:[0,1]
	s_wait_dscnt 0x0
	v_dual_mul_f32 v8, v5, v3 :: v_dual_mul_f32 v10, v5, v0
	s_delay_alu instid0(VALU_DEP_1) | instskip(NEXT) | instid1(VALU_DEP_2)
	v_pk_fma_f32 v[8:9], v[4:5], v[66:67], v[8:9] op_sel_hi:[1,1,0] neg_lo:[0,0,1] neg_hi:[0,0,1]
	v_pk_fma_f32 v[4:5], v[4:5], v[66:67], v[10:11] op_sel:[1,0,0] op_sel_hi:[0,1,0]
	s_delay_alu instid0(VALU_DEP_1) | instskip(SKIP_1) | instid1(VALU_DEP_2)
	v_mov_b32_e32 v9, v5
	v_pk_mul_f32 v[4:5], v[6:7], v[2:3] op_sel:[0,1]
	v_pk_add_f32 v[108:109], v[108:109], v[8:9] neg_lo:[0,1] neg_hi:[0,1]
	s_delay_alu instid0(VALU_DEP_2) | instskip(SKIP_1) | instid1(VALU_DEP_1)
	v_pk_fma_f32 v[8:9], v[6:7], v[0:1], v[4:5] op_sel:[0,0,1] op_sel_hi:[1,1,0] neg_lo:[0,0,1] neg_hi:[0,0,1]
	v_pk_fma_f32 v[4:5], v[6:7], v[0:1], v[4:5] op_sel:[0,0,1] op_sel_hi:[1,0,0]
	v_mov_b32_e32 v9, v5
	ds_load_2addr_b64 v[4:7], v20 offset0:27 offset1:28
	v_pk_add_f32 v[110:111], v[110:111], v[8:9] neg_lo:[0,1] neg_hi:[0,1]
	s_wait_dscnt 0x0
	v_pk_mul_f32 v[8:9], v[4:5], v[2:3] op_sel:[0,1]
	s_delay_alu instid0(VALU_DEP_1) | instskip(SKIP_1) | instid1(VALU_DEP_1)
	v_pk_fma_f32 v[10:11], v[4:5], v[0:1], v[8:9] op_sel:[0,0,1] op_sel_hi:[1,1,0] neg_lo:[0,0,1] neg_hi:[0,0,1]
	v_pk_fma_f32 v[4:5], v[4:5], v[0:1], v[8:9] op_sel:[0,0,1] op_sel_hi:[1,0,0]
	v_mov_b32_e32 v11, v5
	v_pk_mul_f32 v[4:5], v[6:7], v[2:3] op_sel:[0,1]
	s_delay_alu instid0(VALU_DEP_2) | instskip(NEXT) | instid1(VALU_DEP_2)
	v_pk_add_f32 v[106:107], v[106:107], v[10:11] neg_lo:[0,1] neg_hi:[0,1]
	v_pk_fma_f32 v[8:9], v[6:7], v[0:1], v[4:5] op_sel:[0,0,1] op_sel_hi:[1,1,0] neg_lo:[0,0,1] neg_hi:[0,0,1]
	v_pk_fma_f32 v[4:5], v[6:7], v[0:1], v[4:5] op_sel:[0,0,1] op_sel_hi:[1,0,0]
	s_delay_alu instid0(VALU_DEP_1) | instskip(SKIP_4) | instid1(VALU_DEP_1)
	v_mov_b32_e32 v9, v5
	ds_load_2addr_b64 v[4:7], v20 offset0:29 offset1:30
	v_pk_add_f32 v[128:129], v[128:129], v[8:9] neg_lo:[0,1] neg_hi:[0,1]
	s_wait_dscnt 0x0
	v_pk_mul_f32 v[8:9], v[4:5], v[2:3] op_sel:[0,1]
	v_pk_fma_f32 v[10:11], v[4:5], v[0:1], v[8:9] op_sel:[0,0,1] op_sel_hi:[1,1,0] neg_lo:[0,0,1] neg_hi:[0,0,1]
	v_pk_fma_f32 v[4:5], v[4:5], v[0:1], v[8:9] op_sel:[0,0,1] op_sel_hi:[1,0,0]
	v_dual_mul_f32 v8, v7, v3 :: v_dual_mov_b32 v4, v7
	s_delay_alu instid0(VALU_DEP_2) | instskip(NEXT) | instid1(VALU_DEP_2)
	v_dual_mov_b32 v11, v5 :: v_dual_mov_b32 v5, v6
	v_pk_fma_f32 v[8:9], v[6:7], v[66:67], v[8:9] op_sel_hi:[1,1,0] neg_lo:[0,0,1] neg_hi:[0,0,1]
	v_mul_f32_e32 v6, v7, v0
	s_delay_alu instid0(VALU_DEP_3) | instskip(NEXT) | instid1(VALU_DEP_2)
	v_pk_add_f32 v[124:125], v[124:125], v[10:11] neg_lo:[0,1] neg_hi:[0,1]
	v_pk_fma_f32 v[4:5], v[4:5], v[66:67], v[6:7] op_sel_hi:[1,1,0]
	s_delay_alu instid0(VALU_DEP_1) | instskip(SKIP_4) | instid1(VALU_DEP_1)
	v_mov_b32_e32 v9, v5
	ds_load_2addr_b64 v[4:7], v20 offset0:31 offset1:32
	v_pk_add_f32 v[126:127], v[126:127], v[8:9] neg_lo:[0,1] neg_hi:[0,1]
	s_wait_dscnt 0x0
	v_pk_mul_f32 v[8:9], v[4:5], v[2:3] op_sel:[0,1]
	v_pk_fma_f32 v[10:11], v[4:5], v[0:1], v[8:9] op_sel:[0,0,1] op_sel_hi:[1,1,0] neg_lo:[0,0,1] neg_hi:[0,0,1]
	v_pk_fma_f32 v[4:5], v[4:5], v[0:1], v[8:9] op_sel:[0,0,1] op_sel_hi:[1,0,0]
	s_delay_alu instid0(VALU_DEP_1) | instskip(SKIP_1) | instid1(VALU_DEP_1)
	v_mov_b32_e32 v11, v5
	v_pk_mul_f32 v[4:5], v[6:7], v[2:3] op_sel:[0,1]
	v_pk_fma_f32 v[8:9], v[6:7], v[0:1], v[4:5] op_sel:[0,0,1] op_sel_hi:[1,1,0] neg_lo:[0,0,1] neg_hi:[0,0,1]
	v_pk_fma_f32 v[4:5], v[6:7], v[0:1], v[4:5] op_sel:[0,0,1] op_sel_hi:[1,0,0]
	s_delay_alu instid0(VALU_DEP_1)
	v_mov_b32_e32 v9, v5
	ds_load_2addr_b64 v[4:7], v20 offset0:33 offset1:34
	v_pk_add_f32 v[122:123], v[122:123], v[10:11] neg_lo:[0,1] neg_hi:[0,1]
	v_pk_add_f32 v[150:151], v[150:151], v[8:9] neg_lo:[0,1] neg_hi:[0,1]
	s_wait_dscnt 0x0
	v_pk_mul_f32 v[8:9], v[4:5], v[2:3] op_sel:[0,1]
	s_delay_alu instid0(VALU_DEP_1) | instskip(SKIP_1) | instid1(VALU_DEP_1)
	v_pk_fma_f32 v[10:11], v[4:5], v[0:1], v[8:9] op_sel:[0,0,1] op_sel_hi:[1,1,0] neg_lo:[0,0,1] neg_hi:[0,0,1]
	v_pk_fma_f32 v[4:5], v[4:5], v[0:1], v[8:9] op_sel:[0,0,1] op_sel_hi:[1,0,0]
	v_mov_b32_e32 v11, v5
	v_pk_mul_f32 v[4:5], v[6:7], v[2:3] op_sel:[0,1]
	s_delay_alu instid0(VALU_DEP_1) | instskip(SKIP_1) | instid1(VALU_DEP_1)
	v_pk_fma_f32 v[8:9], v[6:7], v[0:1], v[4:5] op_sel:[0,0,1] op_sel_hi:[1,1,0] neg_lo:[0,0,1] neg_hi:[0,0,1]
	v_pk_fma_f32 v[4:5], v[6:7], v[0:1], v[4:5] op_sel:[0,0,1] op_sel_hi:[1,0,0]
	v_mov_b32_e32 v9, v5
	ds_load_2addr_b64 v[4:7], v20 offset0:35 offset1:36
	v_pk_add_f32 v[146:147], v[146:147], v[10:11] neg_lo:[0,1] neg_hi:[0,1]
	v_pk_add_f32 v[148:149], v[148:149], v[8:9] neg_lo:[0,1] neg_hi:[0,1]
	s_wait_dscnt 0x0
	v_dual_mul_f32 v8, v5, v3 :: v_dual_mul_f32 v10, v5, v0
	s_delay_alu instid0(VALU_DEP_1) | instskip(NEXT) | instid1(VALU_DEP_2)
	v_pk_fma_f32 v[8:9], v[4:5], v[66:67], v[8:9] op_sel_hi:[1,1,0] neg_lo:[0,0,1] neg_hi:[0,0,1]
	v_pk_fma_f32 v[4:5], v[4:5], v[66:67], v[10:11] op_sel:[1,0,0] op_sel_hi:[0,1,0]
	s_delay_alu instid0(VALU_DEP_1) | instskip(SKIP_1) | instid1(VALU_DEP_2)
	v_mov_b32_e32 v9, v5
	v_pk_mul_f32 v[4:5], v[6:7], v[2:3] op_sel:[0,1]
	v_pk_add_f32 v[144:145], v[144:145], v[8:9] neg_lo:[0,1] neg_hi:[0,1]
	s_delay_alu instid0(VALU_DEP_2) | instskip(SKIP_1) | instid1(VALU_DEP_1)
	v_pk_fma_f32 v[8:9], v[6:7], v[0:1], v[4:5] op_sel:[0,0,1] op_sel_hi:[1,1,0] neg_lo:[0,0,1] neg_hi:[0,0,1]
	v_pk_fma_f32 v[4:5], v[6:7], v[0:1], v[4:5] op_sel:[0,0,1] op_sel_hi:[1,0,0]
	v_mov_b32_e32 v9, v5
	ds_load_2addr_b64 v[4:7], v20 offset0:37 offset1:38
	v_pk_add_f32 v[174:175], v[174:175], v[8:9] neg_lo:[0,1] neg_hi:[0,1]
	s_wait_dscnt 0x0
	v_pk_mul_f32 v[8:9], v[4:5], v[2:3] op_sel:[0,1]
	s_delay_alu instid0(VALU_DEP_1) | instskip(SKIP_1) | instid1(VALU_DEP_1)
	v_pk_fma_f32 v[10:11], v[4:5], v[0:1], v[8:9] op_sel:[0,0,1] op_sel_hi:[1,1,0] neg_lo:[0,0,1] neg_hi:[0,0,1]
	v_pk_fma_f32 v[4:5], v[4:5], v[0:1], v[8:9] op_sel:[0,0,1] op_sel_hi:[1,0,0]
	v_mov_b32_e32 v11, v5
	v_pk_mul_f32 v[4:5], v[6:7], v[2:3] op_sel:[0,1]
	s_delay_alu instid0(VALU_DEP_2) | instskip(NEXT) | instid1(VALU_DEP_2)
	v_pk_add_f32 v[166:167], v[166:167], v[10:11] neg_lo:[0,1] neg_hi:[0,1]
	v_pk_fma_f32 v[8:9], v[6:7], v[0:1], v[4:5] op_sel:[0,0,1] op_sel_hi:[1,1,0] neg_lo:[0,0,1] neg_hi:[0,0,1]
	v_pk_fma_f32 v[4:5], v[6:7], v[0:1], v[4:5] op_sel:[0,0,1] op_sel_hi:[1,0,0]
	s_delay_alu instid0(VALU_DEP_1) | instskip(SKIP_4) | instid1(VALU_DEP_1)
	v_mov_b32_e32 v9, v5
	ds_load_2addr_b64 v[4:7], v20 offset0:39 offset1:40
	v_pk_add_f32 v[172:173], v[172:173], v[8:9] neg_lo:[0,1] neg_hi:[0,1]
	s_wait_dscnt 0x0
	v_pk_mul_f32 v[8:9], v[4:5], v[2:3] op_sel:[0,1]
	v_pk_fma_f32 v[10:11], v[4:5], v[0:1], v[8:9] op_sel:[0,0,1] op_sel_hi:[1,1,0] neg_lo:[0,0,1] neg_hi:[0,0,1]
	v_pk_fma_f32 v[4:5], v[4:5], v[0:1], v[8:9] op_sel:[0,0,1] op_sel_hi:[1,0,0]
	v_dual_mul_f32 v8, v7, v3 :: v_dual_mov_b32 v4, v7
	s_delay_alu instid0(VALU_DEP_2) | instskip(NEXT) | instid1(VALU_DEP_2)
	v_dual_mov_b32 v11, v5 :: v_dual_mov_b32 v5, v6
	v_pk_fma_f32 v[8:9], v[6:7], v[66:67], v[8:9] op_sel_hi:[1,1,0] neg_lo:[0,0,1] neg_hi:[0,0,1]
	v_mul_f32_e32 v6, v7, v0
	s_delay_alu instid0(VALU_DEP_3) | instskip(NEXT) | instid1(VALU_DEP_2)
	v_pk_add_f32 v[164:165], v[164:165], v[10:11] neg_lo:[0,1] neg_hi:[0,1]
	v_pk_fma_f32 v[4:5], v[4:5], v[66:67], v[6:7] op_sel_hi:[1,1,0]
	s_delay_alu instid0(VALU_DEP_1) | instskip(SKIP_4) | instid1(VALU_DEP_1)
	v_mov_b32_e32 v9, v5
	ds_load_2addr_b64 v[4:7], v20 offset0:41 offset1:42
	v_pk_add_f32 v[170:171], v[170:171], v[8:9] neg_lo:[0,1] neg_hi:[0,1]
	s_wait_dscnt 0x0
	v_pk_mul_f32 v[8:9], v[4:5], v[2:3] op_sel:[0,1]
	v_pk_fma_f32 v[10:11], v[4:5], v[0:1], v[8:9] op_sel:[0,0,1] op_sel_hi:[1,1,0] neg_lo:[0,0,1] neg_hi:[0,0,1]
	v_pk_fma_f32 v[4:5], v[4:5], v[0:1], v[8:9] op_sel:[0,0,1] op_sel_hi:[1,0,0]
	s_delay_alu instid0(VALU_DEP_1) | instskip(SKIP_1) | instid1(VALU_DEP_1)
	v_mov_b32_e32 v11, v5
	v_pk_mul_f32 v[4:5], v[6:7], v[2:3] op_sel:[0,1]
	v_pk_fma_f32 v[8:9], v[6:7], v[0:1], v[4:5] op_sel:[0,0,1] op_sel_hi:[1,1,0] neg_lo:[0,0,1] neg_hi:[0,0,1]
	v_pk_fma_f32 v[4:5], v[6:7], v[0:1], v[4:5] op_sel:[0,0,1] op_sel_hi:[1,0,0]
	s_delay_alu instid0(VALU_DEP_1)
	v_mov_b32_e32 v9, v5
	ds_load_2addr_b64 v[4:7], v20 offset0:43 offset1:44
	v_pk_add_f32 v[162:163], v[162:163], v[10:11] neg_lo:[0,1] neg_hi:[0,1]
	v_pk_add_f32 v[168:169], v[168:169], v[8:9] neg_lo:[0,1] neg_hi:[0,1]
	s_wait_dscnt 0x0
	v_pk_mul_f32 v[8:9], v[4:5], v[2:3] op_sel:[0,1]
	v_pk_mul_f32 v[2:3], v[6:7], v[2:3] op_sel:[0,1]
	s_delay_alu instid0(VALU_DEP_2) | instskip(SKIP_1) | instid1(VALU_DEP_1)
	v_pk_fma_f32 v[10:11], v[4:5], v[0:1], v[8:9] op_sel:[0,0,1] op_sel_hi:[1,1,0] neg_lo:[0,0,1] neg_hi:[0,0,1]
	v_pk_fma_f32 v[4:5], v[4:5], v[0:1], v[8:9] op_sel:[0,0,1] op_sel_hi:[1,0,0]
	v_mov_b32_e32 v11, v5
	s_delay_alu instid0(VALU_DEP_4) | instskip(SKIP_1) | instid1(VALU_DEP_1)
	v_pk_fma_f32 v[4:5], v[6:7], v[0:1], v[2:3] op_sel:[0,0,1] op_sel_hi:[1,1,0] neg_lo:[0,0,1] neg_hi:[0,0,1]
	v_pk_fma_f32 v[0:1], v[6:7], v[0:1], v[2:3] op_sel:[0,0,1] op_sel_hi:[1,0,0]
	v_mov_b32_e32 v5, v1
	s_delay_alu instid0(VALU_DEP_4) | instskip(NEXT) | instid1(VALU_DEP_2)
	v_pk_add_f32 v[176:177], v[176:177], v[10:11] neg_lo:[0,1] neg_hi:[0,1]
	v_pk_add_f32 v[180:181], v[180:181], v[4:5] neg_lo:[0,1] neg_hi:[0,1]
.LBB89_154:
	s_or_b32 exec_lo, exec_lo, s1
	s_delay_alu instid0(SALU_CYCLE_1)
	s_mov_b32 s2, exec_lo
	s_wait_dscnt 0x0
	s_barrier_signal -1
	s_barrier_wait -1
	v_cmpx_eq_u32_e32 17, v38
	s_cbranch_execz .LBB89_161
; %bb.155:
	v_dual_mov_b32 v0, v64 :: v_dual_mov_b32 v1, v65
	v_dual_mov_b32 v2, v60 :: v_dual_mov_b32 v3, v61
	;; [unrolled: 1-line block ×4, first 2 shown]
	ds_store_b64 v39, v[62:63]
	ds_store_2addr_b64 v20, v[0:1], v[2:3] offset0:18 offset1:19
	ds_store_2addr_b64 v20, v[4:5], v[6:7] offset0:20 offset1:21
	v_dual_mov_b32 v0, v86 :: v_dual_mov_b32 v1, v87
	v_dual_mov_b32 v2, v82 :: v_dual_mov_b32 v3, v83
	;; [unrolled: 1-line block ×12, first 2 shown]
	ds_store_2addr_b64 v20, v[0:1], v[2:3] offset0:22 offset1:23
	ds_store_2addr_b64 v20, v[4:5], v[6:7] offset0:24 offset1:25
	;; [unrolled: 1-line block ×6, first 2 shown]
	v_dual_mov_b32 v0, v148 :: v_dual_mov_b32 v1, v149
	v_dual_mov_b32 v2, v144 :: v_dual_mov_b32 v3, v145
	;; [unrolled: 1-line block ×10, first 2 shown]
	ds_store_2addr_b64 v20, v[0:1], v[2:3] offset0:34 offset1:35
	ds_store_2addr_b64 v20, v[4:5], v[6:7] offset0:36 offset1:37
	;; [unrolled: 1-line block ×5, first 2 shown]
	ds_store_b64 v20, v[180:181] offset:352
	ds_load_b64 v[0:1], v39
	s_wait_dscnt 0x0
	v_cmp_neq_f32_e32 vcc_lo, 0, v0
	v_cmp_neq_f32_e64 s1, 0, v1
	s_or_b32 s1, vcc_lo, s1
	s_delay_alu instid0(SALU_CYCLE_1)
	s_and_b32 exec_lo, exec_lo, s1
	s_cbranch_execz .LBB89_161
; %bb.156:
	v_cmp_ngt_f32_e64 s1, |v0|, |v1|
                                        ; implicit-def: $vgpr2_vgpr3
	s_and_saveexec_b32 s4, s1
	s_delay_alu instid0(SALU_CYCLE_1)
	s_xor_b32 s1, exec_lo, s4
	s_cbranch_execz .LBB89_158
; %bb.157:
	v_div_scale_f32 v2, null, v1, v1, v0
	v_div_scale_f32 v5, vcc_lo, v0, v1, v0
	s_delay_alu instid0(VALU_DEP_2) | instskip(SKIP_1) | instid1(TRANS32_DEP_1)
	v_rcp_f32_e32 v3, v2
	v_nop
	v_fma_f32 v4, -v2, v3, 1.0
	s_delay_alu instid0(VALU_DEP_1) | instskip(NEXT) | instid1(VALU_DEP_1)
	v_fmac_f32_e32 v3, v4, v3
	v_mul_f32_e32 v4, v5, v3
	s_delay_alu instid0(VALU_DEP_1) | instskip(NEXT) | instid1(VALU_DEP_1)
	v_fma_f32 v6, -v2, v4, v5
	v_fmac_f32_e32 v4, v6, v3
	s_delay_alu instid0(VALU_DEP_1) | instskip(NEXT) | instid1(VALU_DEP_1)
	v_fma_f32 v2, -v2, v4, v5
	v_div_fmas_f32 v2, v2, v3, v4
	s_delay_alu instid0(VALU_DEP_1) | instskip(NEXT) | instid1(VALU_DEP_1)
	v_div_fixup_f32 v2, v2, v1, v0
	v_fmac_f32_e32 v1, v0, v2
	s_delay_alu instid0(VALU_DEP_1) | instskip(SKIP_1) | instid1(VALU_DEP_2)
	v_div_scale_f32 v0, null, v1, v1, 1.0
	v_div_scale_f32 v5, vcc_lo, 1.0, v1, 1.0
	v_rcp_f32_e32 v3, v0
	v_nop
	s_delay_alu instid0(TRANS32_DEP_1) | instskip(NEXT) | instid1(VALU_DEP_1)
	v_fma_f32 v4, -v0, v3, 1.0
	v_fmac_f32_e32 v3, v4, v3
	s_delay_alu instid0(VALU_DEP_1) | instskip(NEXT) | instid1(VALU_DEP_1)
	v_mul_f32_e32 v4, v5, v3
	v_fma_f32 v6, -v0, v4, v5
	s_delay_alu instid0(VALU_DEP_1) | instskip(NEXT) | instid1(VALU_DEP_1)
	v_fmac_f32_e32 v4, v6, v3
	v_fma_f32 v0, -v0, v4, v5
	s_delay_alu instid0(VALU_DEP_1) | instskip(NEXT) | instid1(VALU_DEP_1)
	v_div_fmas_f32 v0, v0, v3, v4
	v_div_fixup_f32 v0, v0, v1, 1.0
	s_delay_alu instid0(VALU_DEP_1)
	v_mul_f32_e32 v2, v2, v0
	v_xor_b32_e32 v3, 0x80000000, v0
                                        ; implicit-def: $vgpr0_vgpr1
.LBB89_158:
	s_and_not1_saveexec_b32 s1, s1
	s_cbranch_execz .LBB89_160
; %bb.159:
	v_div_scale_f32 v2, null, v0, v0, v1
	v_div_scale_f32 v5, vcc_lo, v1, v0, v1
	s_delay_alu instid0(VALU_DEP_2) | instskip(SKIP_1) | instid1(TRANS32_DEP_1)
	v_rcp_f32_e32 v3, v2
	v_nop
	v_fma_f32 v4, -v2, v3, 1.0
	s_delay_alu instid0(VALU_DEP_1) | instskip(NEXT) | instid1(VALU_DEP_1)
	v_fmac_f32_e32 v3, v4, v3
	v_mul_f32_e32 v4, v5, v3
	s_delay_alu instid0(VALU_DEP_1) | instskip(NEXT) | instid1(VALU_DEP_1)
	v_fma_f32 v6, -v2, v4, v5
	v_fmac_f32_e32 v4, v6, v3
	s_delay_alu instid0(VALU_DEP_1) | instskip(NEXT) | instid1(VALU_DEP_1)
	v_fma_f32 v2, -v2, v4, v5
	v_div_fmas_f32 v2, v2, v3, v4
	s_delay_alu instid0(VALU_DEP_1) | instskip(NEXT) | instid1(VALU_DEP_1)
	v_div_fixup_f32 v3, v2, v0, v1
	v_fmac_f32_e32 v0, v1, v3
	s_delay_alu instid0(VALU_DEP_1) | instskip(NEXT) | instid1(VALU_DEP_1)
	v_div_scale_f32 v1, null, v0, v0, 1.0
	v_rcp_f32_e32 v2, v1
	v_nop
	s_delay_alu instid0(TRANS32_DEP_1) | instskip(NEXT) | instid1(VALU_DEP_1)
	v_fma_f32 v4, -v1, v2, 1.0
	v_fmac_f32_e32 v2, v4, v2
	v_div_scale_f32 v4, vcc_lo, 1.0, v0, 1.0
	s_delay_alu instid0(VALU_DEP_1) | instskip(NEXT) | instid1(VALU_DEP_1)
	v_mul_f32_e32 v5, v4, v2
	v_fma_f32 v6, -v1, v5, v4
	s_delay_alu instid0(VALU_DEP_1) | instskip(NEXT) | instid1(VALU_DEP_1)
	v_fmac_f32_e32 v5, v6, v2
	v_fma_f32 v1, -v1, v5, v4
	s_delay_alu instid0(VALU_DEP_1) | instskip(NEXT) | instid1(VALU_DEP_1)
	v_div_fmas_f32 v1, v1, v2, v5
	v_div_fixup_f32 v2, v1, v0, 1.0
	s_delay_alu instid0(VALU_DEP_1)
	v_mul_f32_e64 v3, v3, -v2
.LBB89_160:
	s_or_b32 exec_lo, exec_lo, s1
	ds_store_b64 v39, v[2:3]
.LBB89_161:
	s_or_b32 exec_lo, exec_lo, s2
	s_wait_dscnt 0x0
	s_barrier_signal -1
	s_barrier_wait -1
	ds_load_b64 v[216:217], v39
	s_mov_b32 s1, exec_lo
	v_cmpx_lt_u32_e32 17, v38
	s_cbranch_execz .LBB89_163
; %bb.162:
	ds_load_2addr_b64 v[4:7], v20 offset0:18 offset1:19
	s_wait_dscnt 0x1
	v_pk_mul_f32 v[2:3], v[216:217], v[62:63] op_sel:[1,1] op_sel_hi:[0,1]
	s_delay_alu instid0(VALU_DEP_1) | instskip(SKIP_1) | instid1(VALU_DEP_1)
	v_pk_fma_f32 v[0:1], v[216:217], v[62:63], v[2:3] op_sel_hi:[1,0,1] neg_lo:[0,0,1] neg_hi:[0,0,1]
	v_pk_fma_f32 v[2:3], v[216:217], v[62:63], v[2:3] op_sel_hi:[1,0,1]
	v_dual_mov_b32 v62, v0 :: v_dual_mov_b32 v63, v3
	s_wait_dscnt 0x0
	s_delay_alu instid0(VALU_DEP_2) | instskip(NEXT) | instid1(VALU_DEP_1)
	v_pk_mul_f32 v[8:9], v[4:5], v[2:3] op_sel:[0,1]
	v_pk_fma_f32 v[10:11], v[4:5], v[0:1], v[8:9] op_sel:[0,0,1] op_sel_hi:[1,1,0] neg_lo:[0,0,1] neg_hi:[0,0,1]
	v_pk_fma_f32 v[4:5], v[4:5], v[0:1], v[8:9] op_sel:[0,0,1] op_sel_hi:[1,0,0]
	s_delay_alu instid0(VALU_DEP_1) | instskip(SKIP_1) | instid1(VALU_DEP_1)
	v_mov_b32_e32 v11, v5
	v_pk_mul_f32 v[4:5], v[6:7], v[2:3] op_sel:[0,1]
	v_pk_fma_f32 v[8:9], v[6:7], v[0:1], v[4:5] op_sel:[0,0,1] op_sel_hi:[1,1,0] neg_lo:[0,0,1] neg_hi:[0,0,1]
	v_pk_fma_f32 v[4:5], v[6:7], v[0:1], v[4:5] op_sel:[0,0,1] op_sel_hi:[1,0,0]
	s_delay_alu instid0(VALU_DEP_1)
	v_mov_b32_e32 v9, v5
	ds_load_2addr_b64 v[4:7], v20 offset0:20 offset1:21
	v_pk_add_f32 v[64:65], v[64:65], v[10:11] neg_lo:[0,1] neg_hi:[0,1]
	v_pk_add_f32 v[60:61], v[60:61], v[8:9] neg_lo:[0,1] neg_hi:[0,1]
	s_wait_dscnt 0x0
	v_pk_mul_f32 v[8:9], v[4:5], v[2:3] op_sel:[0,1]
	s_delay_alu instid0(VALU_DEP_1) | instskip(SKIP_2) | instid1(VALU_DEP_2)
	v_pk_fma_f32 v[10:11], v[4:5], v[0:1], v[8:9] op_sel:[0,0,1] op_sel_hi:[1,1,0] neg_lo:[0,0,1] neg_hi:[0,0,1]
	v_pk_fma_f32 v[4:5], v[4:5], v[0:1], v[8:9] op_sel:[0,0,1] op_sel_hi:[1,0,0]
	v_dual_mul_f32 v8, v7, v3 :: v_dual_mov_b32 v4, v7
	v_dual_mov_b32 v11, v5 :: v_dual_mov_b32 v5, v6
	s_delay_alu instid0(VALU_DEP_2) | instskip(SKIP_1) | instid1(VALU_DEP_3)
	v_pk_fma_f32 v[8:9], v[6:7], v[62:63], v[8:9] op_sel_hi:[1,1,0] neg_lo:[0,0,1] neg_hi:[0,0,1]
	v_mul_f32_e32 v6, v7, v0
	v_pk_add_f32 v[88:89], v[88:89], v[10:11] neg_lo:[0,1] neg_hi:[0,1]
	s_delay_alu instid0(VALU_DEP_2) | instskip(NEXT) | instid1(VALU_DEP_1)
	v_pk_fma_f32 v[4:5], v[4:5], v[62:63], v[6:7] op_sel_hi:[1,1,0]
	v_mov_b32_e32 v9, v5
	ds_load_2addr_b64 v[4:7], v20 offset0:22 offset1:23
	v_pk_add_f32 v[84:85], v[84:85], v[8:9] neg_lo:[0,1] neg_hi:[0,1]
	s_wait_dscnt 0x0
	v_pk_mul_f32 v[8:9], v[4:5], v[2:3] op_sel:[0,1]
	s_delay_alu instid0(VALU_DEP_1) | instskip(SKIP_1) | instid1(VALU_DEP_1)
	v_pk_fma_f32 v[10:11], v[4:5], v[0:1], v[8:9] op_sel:[0,0,1] op_sel_hi:[1,1,0] neg_lo:[0,0,1] neg_hi:[0,0,1]
	v_pk_fma_f32 v[4:5], v[4:5], v[0:1], v[8:9] op_sel:[0,0,1] op_sel_hi:[1,0,0]
	v_mov_b32_e32 v11, v5
	v_pk_mul_f32 v[4:5], v[6:7], v[2:3] op_sel:[0,1]
	s_delay_alu instid0(VALU_DEP_1) | instskip(SKIP_1) | instid1(VALU_DEP_1)
	v_pk_fma_f32 v[8:9], v[6:7], v[0:1], v[4:5] op_sel:[0,0,1] op_sel_hi:[1,1,0] neg_lo:[0,0,1] neg_hi:[0,0,1]
	v_pk_fma_f32 v[4:5], v[6:7], v[0:1], v[4:5] op_sel:[0,0,1] op_sel_hi:[1,0,0]
	v_mov_b32_e32 v9, v5
	ds_load_2addr_b64 v[4:7], v20 offset0:24 offset1:25
	v_pk_add_f32 v[86:87], v[86:87], v[10:11] neg_lo:[0,1] neg_hi:[0,1]
	v_pk_add_f32 v[82:83], v[82:83], v[8:9] neg_lo:[0,1] neg_hi:[0,1]
	s_wait_dscnt 0x0
	v_pk_mul_f32 v[8:9], v[4:5], v[2:3] op_sel:[0,1]
	s_delay_alu instid0(VALU_DEP_1) | instskip(SKIP_1) | instid1(VALU_DEP_1)
	v_pk_fma_f32 v[10:11], v[4:5], v[0:1], v[8:9] op_sel:[0,0,1] op_sel_hi:[1,1,0] neg_lo:[0,0,1] neg_hi:[0,0,1]
	v_pk_fma_f32 v[4:5], v[4:5], v[0:1], v[8:9] op_sel:[0,0,1] op_sel_hi:[1,0,0]
	v_mov_b32_e32 v11, v5
	v_pk_mul_f32 v[4:5], v[6:7], v[2:3] op_sel:[0,1]
	s_delay_alu instid0(VALU_DEP_1) | instskip(SKIP_1) | instid1(VALU_DEP_1)
	v_pk_fma_f32 v[8:9], v[6:7], v[0:1], v[4:5] op_sel:[0,0,1] op_sel_hi:[1,1,0] neg_lo:[0,0,1] neg_hi:[0,0,1]
	v_pk_fma_f32 v[4:5], v[6:7], v[0:1], v[4:5] op_sel:[0,0,1] op_sel_hi:[1,0,0]
	v_mov_b32_e32 v9, v5
	ds_load_2addr_b64 v[4:7], v20 offset0:26 offset1:27
	v_pk_add_f32 v[112:113], v[112:113], v[10:11] neg_lo:[0,1] neg_hi:[0,1]
	v_pk_add_f32 v[108:109], v[108:109], v[8:9] neg_lo:[0,1] neg_hi:[0,1]
	s_wait_dscnt 0x0
	v_dual_mul_f32 v8, v5, v3 :: v_dual_mul_f32 v10, v5, v0
	s_delay_alu instid0(VALU_DEP_1) | instskip(NEXT) | instid1(VALU_DEP_2)
	v_pk_fma_f32 v[8:9], v[4:5], v[62:63], v[8:9] op_sel_hi:[1,1,0] neg_lo:[0,0,1] neg_hi:[0,0,1]
	v_pk_fma_f32 v[4:5], v[4:5], v[62:63], v[10:11] op_sel:[1,0,0] op_sel_hi:[0,1,0]
	s_delay_alu instid0(VALU_DEP_1) | instskip(SKIP_1) | instid1(VALU_DEP_2)
	v_mov_b32_e32 v9, v5
	v_pk_mul_f32 v[4:5], v[6:7], v[2:3] op_sel:[0,1]
	v_pk_add_f32 v[110:111], v[110:111], v[8:9] neg_lo:[0,1] neg_hi:[0,1]
	s_delay_alu instid0(VALU_DEP_2) | instskip(SKIP_1) | instid1(VALU_DEP_1)
	v_pk_fma_f32 v[8:9], v[6:7], v[0:1], v[4:5] op_sel:[0,0,1] op_sel_hi:[1,1,0] neg_lo:[0,0,1] neg_hi:[0,0,1]
	v_pk_fma_f32 v[4:5], v[6:7], v[0:1], v[4:5] op_sel:[0,0,1] op_sel_hi:[1,0,0]
	v_mov_b32_e32 v9, v5
	ds_load_2addr_b64 v[4:7], v20 offset0:28 offset1:29
	v_pk_add_f32 v[106:107], v[106:107], v[8:9] neg_lo:[0,1] neg_hi:[0,1]
	s_wait_dscnt 0x0
	v_pk_mul_f32 v[8:9], v[4:5], v[2:3] op_sel:[0,1]
	s_delay_alu instid0(VALU_DEP_1) | instskip(SKIP_1) | instid1(VALU_DEP_1)
	v_pk_fma_f32 v[10:11], v[4:5], v[0:1], v[8:9] op_sel:[0,0,1] op_sel_hi:[1,1,0] neg_lo:[0,0,1] neg_hi:[0,0,1]
	v_pk_fma_f32 v[4:5], v[4:5], v[0:1], v[8:9] op_sel:[0,0,1] op_sel_hi:[1,0,0]
	v_mov_b32_e32 v11, v5
	v_pk_mul_f32 v[4:5], v[6:7], v[2:3] op_sel:[0,1]
	s_delay_alu instid0(VALU_DEP_2) | instskip(NEXT) | instid1(VALU_DEP_2)
	v_pk_add_f32 v[128:129], v[128:129], v[10:11] neg_lo:[0,1] neg_hi:[0,1]
	v_pk_fma_f32 v[8:9], v[6:7], v[0:1], v[4:5] op_sel:[0,0,1] op_sel_hi:[1,1,0] neg_lo:[0,0,1] neg_hi:[0,0,1]
	v_pk_fma_f32 v[4:5], v[6:7], v[0:1], v[4:5] op_sel:[0,0,1] op_sel_hi:[1,0,0]
	s_delay_alu instid0(VALU_DEP_1) | instskip(SKIP_4) | instid1(VALU_DEP_1)
	v_mov_b32_e32 v9, v5
	ds_load_2addr_b64 v[4:7], v20 offset0:30 offset1:31
	v_pk_add_f32 v[124:125], v[124:125], v[8:9] neg_lo:[0,1] neg_hi:[0,1]
	s_wait_dscnt 0x0
	v_pk_mul_f32 v[8:9], v[4:5], v[2:3] op_sel:[0,1]
	v_pk_fma_f32 v[10:11], v[4:5], v[0:1], v[8:9] op_sel:[0,0,1] op_sel_hi:[1,1,0] neg_lo:[0,0,1] neg_hi:[0,0,1]
	v_pk_fma_f32 v[4:5], v[4:5], v[0:1], v[8:9] op_sel:[0,0,1] op_sel_hi:[1,0,0]
	v_dual_mul_f32 v8, v7, v3 :: v_dual_mov_b32 v4, v7
	s_delay_alu instid0(VALU_DEP_2) | instskip(NEXT) | instid1(VALU_DEP_2)
	v_dual_mov_b32 v11, v5 :: v_dual_mov_b32 v5, v6
	v_pk_fma_f32 v[8:9], v[6:7], v[62:63], v[8:9] op_sel_hi:[1,1,0] neg_lo:[0,0,1] neg_hi:[0,0,1]
	v_mul_f32_e32 v6, v7, v0
	s_delay_alu instid0(VALU_DEP_3) | instskip(NEXT) | instid1(VALU_DEP_2)
	v_pk_add_f32 v[126:127], v[126:127], v[10:11] neg_lo:[0,1] neg_hi:[0,1]
	v_pk_fma_f32 v[4:5], v[4:5], v[62:63], v[6:7] op_sel_hi:[1,1,0]
	s_delay_alu instid0(VALU_DEP_1) | instskip(SKIP_4) | instid1(VALU_DEP_1)
	v_mov_b32_e32 v9, v5
	ds_load_2addr_b64 v[4:7], v20 offset0:32 offset1:33
	v_pk_add_f32 v[122:123], v[122:123], v[8:9] neg_lo:[0,1] neg_hi:[0,1]
	s_wait_dscnt 0x0
	v_pk_mul_f32 v[8:9], v[4:5], v[2:3] op_sel:[0,1]
	v_pk_fma_f32 v[10:11], v[4:5], v[0:1], v[8:9] op_sel:[0,0,1] op_sel_hi:[1,1,0] neg_lo:[0,0,1] neg_hi:[0,0,1]
	v_pk_fma_f32 v[4:5], v[4:5], v[0:1], v[8:9] op_sel:[0,0,1] op_sel_hi:[1,0,0]
	s_delay_alu instid0(VALU_DEP_1) | instskip(SKIP_1) | instid1(VALU_DEP_1)
	v_mov_b32_e32 v11, v5
	v_pk_mul_f32 v[4:5], v[6:7], v[2:3] op_sel:[0,1]
	v_pk_fma_f32 v[8:9], v[6:7], v[0:1], v[4:5] op_sel:[0,0,1] op_sel_hi:[1,1,0] neg_lo:[0,0,1] neg_hi:[0,0,1]
	v_pk_fma_f32 v[4:5], v[6:7], v[0:1], v[4:5] op_sel:[0,0,1] op_sel_hi:[1,0,0]
	s_delay_alu instid0(VALU_DEP_1)
	v_mov_b32_e32 v9, v5
	ds_load_2addr_b64 v[4:7], v20 offset0:34 offset1:35
	v_pk_add_f32 v[150:151], v[150:151], v[10:11] neg_lo:[0,1] neg_hi:[0,1]
	v_pk_add_f32 v[146:147], v[146:147], v[8:9] neg_lo:[0,1] neg_hi:[0,1]
	s_wait_dscnt 0x0
	v_pk_mul_f32 v[8:9], v[4:5], v[2:3] op_sel:[0,1]
	s_delay_alu instid0(VALU_DEP_1) | instskip(SKIP_1) | instid1(VALU_DEP_1)
	v_pk_fma_f32 v[10:11], v[4:5], v[0:1], v[8:9] op_sel:[0,0,1] op_sel_hi:[1,1,0] neg_lo:[0,0,1] neg_hi:[0,0,1]
	v_pk_fma_f32 v[4:5], v[4:5], v[0:1], v[8:9] op_sel:[0,0,1] op_sel_hi:[1,0,0]
	v_mov_b32_e32 v11, v5
	v_pk_mul_f32 v[4:5], v[6:7], v[2:3] op_sel:[0,1]
	s_delay_alu instid0(VALU_DEP_1) | instskip(SKIP_1) | instid1(VALU_DEP_1)
	v_pk_fma_f32 v[8:9], v[6:7], v[0:1], v[4:5] op_sel:[0,0,1] op_sel_hi:[1,1,0] neg_lo:[0,0,1] neg_hi:[0,0,1]
	v_pk_fma_f32 v[4:5], v[6:7], v[0:1], v[4:5] op_sel:[0,0,1] op_sel_hi:[1,0,0]
	v_mov_b32_e32 v9, v5
	ds_load_2addr_b64 v[4:7], v20 offset0:36 offset1:37
	v_pk_add_f32 v[148:149], v[148:149], v[10:11] neg_lo:[0,1] neg_hi:[0,1]
	v_pk_add_f32 v[144:145], v[144:145], v[8:9] neg_lo:[0,1] neg_hi:[0,1]
	s_wait_dscnt 0x0
	v_dual_mul_f32 v8, v5, v3 :: v_dual_mul_f32 v10, v5, v0
	s_delay_alu instid0(VALU_DEP_1) | instskip(NEXT) | instid1(VALU_DEP_2)
	v_pk_fma_f32 v[8:9], v[4:5], v[62:63], v[8:9] op_sel_hi:[1,1,0] neg_lo:[0,0,1] neg_hi:[0,0,1]
	v_pk_fma_f32 v[4:5], v[4:5], v[62:63], v[10:11] op_sel:[1,0,0] op_sel_hi:[0,1,0]
	s_delay_alu instid0(VALU_DEP_1) | instskip(SKIP_1) | instid1(VALU_DEP_2)
	v_mov_b32_e32 v9, v5
	v_pk_mul_f32 v[4:5], v[6:7], v[2:3] op_sel:[0,1]
	v_pk_add_f32 v[174:175], v[174:175], v[8:9] neg_lo:[0,1] neg_hi:[0,1]
	s_delay_alu instid0(VALU_DEP_2) | instskip(SKIP_1) | instid1(VALU_DEP_1)
	v_pk_fma_f32 v[8:9], v[6:7], v[0:1], v[4:5] op_sel:[0,0,1] op_sel_hi:[1,1,0] neg_lo:[0,0,1] neg_hi:[0,0,1]
	v_pk_fma_f32 v[4:5], v[6:7], v[0:1], v[4:5] op_sel:[0,0,1] op_sel_hi:[1,0,0]
	v_mov_b32_e32 v9, v5
	ds_load_2addr_b64 v[4:7], v20 offset0:38 offset1:39
	v_pk_add_f32 v[166:167], v[166:167], v[8:9] neg_lo:[0,1] neg_hi:[0,1]
	s_wait_dscnt 0x0
	v_pk_mul_f32 v[8:9], v[4:5], v[2:3] op_sel:[0,1]
	s_delay_alu instid0(VALU_DEP_1) | instskip(SKIP_1) | instid1(VALU_DEP_1)
	v_pk_fma_f32 v[10:11], v[4:5], v[0:1], v[8:9] op_sel:[0,0,1] op_sel_hi:[1,1,0] neg_lo:[0,0,1] neg_hi:[0,0,1]
	v_pk_fma_f32 v[4:5], v[4:5], v[0:1], v[8:9] op_sel:[0,0,1] op_sel_hi:[1,0,0]
	v_mov_b32_e32 v11, v5
	v_pk_mul_f32 v[4:5], v[6:7], v[2:3] op_sel:[0,1]
	s_delay_alu instid0(VALU_DEP_2) | instskip(NEXT) | instid1(VALU_DEP_2)
	v_pk_add_f32 v[172:173], v[172:173], v[10:11] neg_lo:[0,1] neg_hi:[0,1]
	v_pk_fma_f32 v[8:9], v[6:7], v[0:1], v[4:5] op_sel:[0,0,1] op_sel_hi:[1,1,0] neg_lo:[0,0,1] neg_hi:[0,0,1]
	v_pk_fma_f32 v[4:5], v[6:7], v[0:1], v[4:5] op_sel:[0,0,1] op_sel_hi:[1,0,0]
	s_delay_alu instid0(VALU_DEP_1) | instskip(SKIP_4) | instid1(VALU_DEP_1)
	v_mov_b32_e32 v9, v5
	ds_load_2addr_b64 v[4:7], v20 offset0:40 offset1:41
	v_pk_add_f32 v[164:165], v[164:165], v[8:9] neg_lo:[0,1] neg_hi:[0,1]
	s_wait_dscnt 0x0
	v_pk_mul_f32 v[8:9], v[4:5], v[2:3] op_sel:[0,1]
	v_pk_fma_f32 v[10:11], v[4:5], v[0:1], v[8:9] op_sel:[0,0,1] op_sel_hi:[1,1,0] neg_lo:[0,0,1] neg_hi:[0,0,1]
	v_pk_fma_f32 v[4:5], v[4:5], v[0:1], v[8:9] op_sel:[0,0,1] op_sel_hi:[1,0,0]
	v_dual_mul_f32 v8, v7, v3 :: v_dual_mov_b32 v4, v7
	s_delay_alu instid0(VALU_DEP_2) | instskip(NEXT) | instid1(VALU_DEP_2)
	v_dual_mov_b32 v11, v5 :: v_dual_mov_b32 v5, v6
	v_pk_fma_f32 v[8:9], v[6:7], v[62:63], v[8:9] op_sel_hi:[1,1,0] neg_lo:[0,0,1] neg_hi:[0,0,1]
	v_mul_f32_e32 v6, v7, v0
	s_delay_alu instid0(VALU_DEP_3) | instskip(NEXT) | instid1(VALU_DEP_2)
	v_pk_add_f32 v[170:171], v[170:171], v[10:11] neg_lo:[0,1] neg_hi:[0,1]
	v_pk_fma_f32 v[4:5], v[4:5], v[62:63], v[6:7] op_sel_hi:[1,1,0]
	s_delay_alu instid0(VALU_DEP_1) | instskip(SKIP_4) | instid1(VALU_DEP_1)
	v_mov_b32_e32 v9, v5
	ds_load_2addr_b64 v[4:7], v20 offset0:42 offset1:43
	v_pk_add_f32 v[162:163], v[162:163], v[8:9] neg_lo:[0,1] neg_hi:[0,1]
	s_wait_dscnt 0x0
	v_pk_mul_f32 v[8:9], v[4:5], v[2:3] op_sel:[0,1]
	v_pk_fma_f32 v[10:11], v[4:5], v[0:1], v[8:9] op_sel:[0,0,1] op_sel_hi:[1,1,0] neg_lo:[0,0,1] neg_hi:[0,0,1]
	v_pk_fma_f32 v[4:5], v[4:5], v[0:1], v[8:9] op_sel:[0,0,1] op_sel_hi:[1,0,0]
	s_delay_alu instid0(VALU_DEP_1) | instskip(SKIP_1) | instid1(VALU_DEP_1)
	v_mov_b32_e32 v11, v5
	v_pk_mul_f32 v[4:5], v[6:7], v[2:3] op_sel:[0,1]
	v_pk_fma_f32 v[8:9], v[6:7], v[0:1], v[4:5] op_sel:[0,0,1] op_sel_hi:[1,1,0] neg_lo:[0,0,1] neg_hi:[0,0,1]
	v_pk_fma_f32 v[4:5], v[6:7], v[0:1], v[4:5] op_sel:[0,0,1] op_sel_hi:[1,0,0]
	s_delay_alu instid0(VALU_DEP_1)
	v_mov_b32_e32 v9, v5
	ds_load_b64 v[4:5], v20 offset:352
	v_pk_add_f32 v[168:169], v[168:169], v[10:11] neg_lo:[0,1] neg_hi:[0,1]
	v_pk_add_f32 v[176:177], v[176:177], v[8:9] neg_lo:[0,1] neg_hi:[0,1]
	s_wait_dscnt 0x0
	v_pk_mul_f32 v[2:3], v[4:5], v[2:3] op_sel:[0,1]
	s_delay_alu instid0(VALU_DEP_1) | instskip(SKIP_1) | instid1(VALU_DEP_1)
	v_pk_fma_f32 v[6:7], v[4:5], v[0:1], v[2:3] op_sel:[0,0,1] op_sel_hi:[1,1,0] neg_lo:[0,0,1] neg_hi:[0,0,1]
	v_pk_fma_f32 v[0:1], v[4:5], v[0:1], v[2:3] op_sel:[0,0,1] op_sel_hi:[1,0,0]
	v_mov_b32_e32 v7, v1
	s_delay_alu instid0(VALU_DEP_1)
	v_pk_add_f32 v[180:181], v[180:181], v[6:7] neg_lo:[0,1] neg_hi:[0,1]
.LBB89_163:
	s_or_b32 exec_lo, exec_lo, s1
	s_delay_alu instid0(SALU_CYCLE_1)
	s_mov_b32 s2, exec_lo
	s_wait_dscnt 0x0
	s_barrier_signal -1
	s_barrier_wait -1
	v_cmpx_eq_u32_e32 18, v38
	s_cbranch_execz .LBB89_170
; %bb.164:
	ds_store_b64 v39, v[64:65]
	ds_store_2addr_b64 v20, v[60:61], v[88:89] offset0:19 offset1:20
	ds_store_2addr_b64 v20, v[84:85], v[86:87] offset0:21 offset1:22
	ds_store_2addr_b64 v20, v[82:83], v[112:113] offset0:23 offset1:24
	ds_store_2addr_b64 v20, v[108:109], v[110:111] offset0:25 offset1:26
	ds_store_2addr_b64 v20, v[106:107], v[128:129] offset0:27 offset1:28
	ds_store_2addr_b64 v20, v[124:125], v[126:127] offset0:29 offset1:30
	ds_store_2addr_b64 v20, v[122:123], v[150:151] offset0:31 offset1:32
	ds_store_2addr_b64 v20, v[146:147], v[148:149] offset0:33 offset1:34
	ds_store_2addr_b64 v20, v[144:145], v[174:175] offset0:35 offset1:36
	ds_store_2addr_b64 v20, v[166:167], v[172:173] offset0:37 offset1:38
	ds_store_2addr_b64 v20, v[164:165], v[170:171] offset0:39 offset1:40
	ds_store_2addr_b64 v20, v[162:163], v[168:169] offset0:41 offset1:42
	ds_store_2addr_b64 v20, v[176:177], v[180:181] offset0:43 offset1:44
	ds_load_b64 v[0:1], v39
	s_wait_dscnt 0x0
	v_cmp_neq_f32_e32 vcc_lo, 0, v0
	v_cmp_neq_f32_e64 s1, 0, v1
	s_or_b32 s1, vcc_lo, s1
	s_delay_alu instid0(SALU_CYCLE_1)
	s_and_b32 exec_lo, exec_lo, s1
	s_cbranch_execz .LBB89_170
; %bb.165:
	v_cmp_ngt_f32_e64 s1, |v0|, |v1|
                                        ; implicit-def: $vgpr2_vgpr3
	s_and_saveexec_b32 s4, s1
	s_delay_alu instid0(SALU_CYCLE_1)
	s_xor_b32 s1, exec_lo, s4
	s_cbranch_execz .LBB89_167
; %bb.166:
	v_div_scale_f32 v2, null, v1, v1, v0
	v_div_scale_f32 v5, vcc_lo, v0, v1, v0
	s_delay_alu instid0(VALU_DEP_2) | instskip(SKIP_1) | instid1(TRANS32_DEP_1)
	v_rcp_f32_e32 v3, v2
	v_nop
	v_fma_f32 v4, -v2, v3, 1.0
	s_delay_alu instid0(VALU_DEP_1) | instskip(NEXT) | instid1(VALU_DEP_1)
	v_fmac_f32_e32 v3, v4, v3
	v_mul_f32_e32 v4, v5, v3
	s_delay_alu instid0(VALU_DEP_1) | instskip(NEXT) | instid1(VALU_DEP_1)
	v_fma_f32 v6, -v2, v4, v5
	v_fmac_f32_e32 v4, v6, v3
	s_delay_alu instid0(VALU_DEP_1) | instskip(NEXT) | instid1(VALU_DEP_1)
	v_fma_f32 v2, -v2, v4, v5
	v_div_fmas_f32 v2, v2, v3, v4
	s_delay_alu instid0(VALU_DEP_1) | instskip(NEXT) | instid1(VALU_DEP_1)
	v_div_fixup_f32 v2, v2, v1, v0
	v_fmac_f32_e32 v1, v0, v2
	s_delay_alu instid0(VALU_DEP_1) | instskip(SKIP_1) | instid1(VALU_DEP_2)
	v_div_scale_f32 v0, null, v1, v1, 1.0
	v_div_scale_f32 v5, vcc_lo, 1.0, v1, 1.0
	v_rcp_f32_e32 v3, v0
	v_nop
	s_delay_alu instid0(TRANS32_DEP_1) | instskip(NEXT) | instid1(VALU_DEP_1)
	v_fma_f32 v4, -v0, v3, 1.0
	v_fmac_f32_e32 v3, v4, v3
	s_delay_alu instid0(VALU_DEP_1) | instskip(NEXT) | instid1(VALU_DEP_1)
	v_mul_f32_e32 v4, v5, v3
	v_fma_f32 v6, -v0, v4, v5
	s_delay_alu instid0(VALU_DEP_1) | instskip(NEXT) | instid1(VALU_DEP_1)
	v_fmac_f32_e32 v4, v6, v3
	v_fma_f32 v0, -v0, v4, v5
	s_delay_alu instid0(VALU_DEP_1) | instskip(NEXT) | instid1(VALU_DEP_1)
	v_div_fmas_f32 v0, v0, v3, v4
	v_div_fixup_f32 v0, v0, v1, 1.0
	s_delay_alu instid0(VALU_DEP_1)
	v_mul_f32_e32 v2, v2, v0
	v_xor_b32_e32 v3, 0x80000000, v0
                                        ; implicit-def: $vgpr0_vgpr1
.LBB89_167:
	s_and_not1_saveexec_b32 s1, s1
	s_cbranch_execz .LBB89_169
; %bb.168:
	v_div_scale_f32 v2, null, v0, v0, v1
	v_div_scale_f32 v5, vcc_lo, v1, v0, v1
	s_delay_alu instid0(VALU_DEP_2) | instskip(SKIP_1) | instid1(TRANS32_DEP_1)
	v_rcp_f32_e32 v3, v2
	v_nop
	v_fma_f32 v4, -v2, v3, 1.0
	s_delay_alu instid0(VALU_DEP_1) | instskip(NEXT) | instid1(VALU_DEP_1)
	v_fmac_f32_e32 v3, v4, v3
	v_mul_f32_e32 v4, v5, v3
	s_delay_alu instid0(VALU_DEP_1) | instskip(NEXT) | instid1(VALU_DEP_1)
	v_fma_f32 v6, -v2, v4, v5
	v_fmac_f32_e32 v4, v6, v3
	s_delay_alu instid0(VALU_DEP_1) | instskip(NEXT) | instid1(VALU_DEP_1)
	v_fma_f32 v2, -v2, v4, v5
	v_div_fmas_f32 v2, v2, v3, v4
	s_delay_alu instid0(VALU_DEP_1) | instskip(NEXT) | instid1(VALU_DEP_1)
	v_div_fixup_f32 v3, v2, v0, v1
	v_fmac_f32_e32 v0, v1, v3
	s_delay_alu instid0(VALU_DEP_1) | instskip(NEXT) | instid1(VALU_DEP_1)
	v_div_scale_f32 v1, null, v0, v0, 1.0
	v_rcp_f32_e32 v2, v1
	v_nop
	s_delay_alu instid0(TRANS32_DEP_1) | instskip(NEXT) | instid1(VALU_DEP_1)
	v_fma_f32 v4, -v1, v2, 1.0
	v_fmac_f32_e32 v2, v4, v2
	v_div_scale_f32 v4, vcc_lo, 1.0, v0, 1.0
	s_delay_alu instid0(VALU_DEP_1) | instskip(NEXT) | instid1(VALU_DEP_1)
	v_mul_f32_e32 v5, v4, v2
	v_fma_f32 v6, -v1, v5, v4
	s_delay_alu instid0(VALU_DEP_1) | instskip(NEXT) | instid1(VALU_DEP_1)
	v_fmac_f32_e32 v5, v6, v2
	v_fma_f32 v1, -v1, v5, v4
	s_delay_alu instid0(VALU_DEP_1) | instskip(NEXT) | instid1(VALU_DEP_1)
	v_div_fmas_f32 v1, v1, v2, v5
	v_div_fixup_f32 v2, v1, v0, 1.0
	s_delay_alu instid0(VALU_DEP_1)
	v_mul_f32_e64 v3, v3, -v2
.LBB89_169:
	s_or_b32 exec_lo, exec_lo, s1
	ds_store_b64 v39, v[2:3]
.LBB89_170:
	s_or_b32 exec_lo, exec_lo, s2
	s_wait_dscnt 0x0
	s_barrier_signal -1
	s_barrier_wait -1
	ds_load_b64 v[218:219], v39
	s_mov_b32 s1, exec_lo
	v_cmpx_lt_u32_e32 18, v38
	s_cbranch_execz .LBB89_172
; %bb.171:
	ds_load_2addr_b64 v[4:7], v20 offset0:19 offset1:20
	s_wait_dscnt 0x1
	v_pk_mul_f32 v[2:3], v[218:219], v[64:65] op_sel:[1,1] op_sel_hi:[0,1]
	s_delay_alu instid0(VALU_DEP_1) | instskip(SKIP_1) | instid1(VALU_DEP_1)
	v_pk_fma_f32 v[0:1], v[218:219], v[64:65], v[2:3] op_sel_hi:[1,0,1] neg_lo:[0,0,1] neg_hi:[0,0,1]
	v_pk_fma_f32 v[2:3], v[218:219], v[64:65], v[2:3] op_sel_hi:[1,0,1]
	v_dual_mov_b32 v64, v0 :: v_dual_mov_b32 v65, v3
	s_wait_dscnt 0x0
	s_delay_alu instid0(VALU_DEP_2) | instskip(NEXT) | instid1(VALU_DEP_1)
	v_pk_mul_f32 v[8:9], v[4:5], v[2:3] op_sel:[0,1]
	v_pk_fma_f32 v[10:11], v[4:5], v[0:1], v[8:9] op_sel:[0,0,1] op_sel_hi:[1,1,0] neg_lo:[0,0,1] neg_hi:[0,0,1]
	v_pk_fma_f32 v[4:5], v[4:5], v[0:1], v[8:9] op_sel:[0,0,1] op_sel_hi:[1,0,0]
	s_delay_alu instid0(VALU_DEP_1) | instskip(SKIP_1) | instid1(VALU_DEP_1)
	v_mov_b32_e32 v11, v5
	v_pk_mul_f32 v[4:5], v[6:7], v[2:3] op_sel:[0,1]
	v_pk_fma_f32 v[8:9], v[6:7], v[0:1], v[4:5] op_sel:[0,0,1] op_sel_hi:[1,1,0] neg_lo:[0,0,1] neg_hi:[0,0,1]
	v_pk_fma_f32 v[4:5], v[6:7], v[0:1], v[4:5] op_sel:[0,0,1] op_sel_hi:[1,0,0]
	s_delay_alu instid0(VALU_DEP_1)
	v_mov_b32_e32 v9, v5
	ds_load_2addr_b64 v[4:7], v20 offset0:21 offset1:22
	v_pk_add_f32 v[60:61], v[60:61], v[10:11] neg_lo:[0,1] neg_hi:[0,1]
	v_pk_add_f32 v[88:89], v[88:89], v[8:9] neg_lo:[0,1] neg_hi:[0,1]
	s_wait_dscnt 0x0
	v_pk_mul_f32 v[8:9], v[4:5], v[2:3] op_sel:[0,1]
	s_delay_alu instid0(VALU_DEP_1) | instskip(SKIP_2) | instid1(VALU_DEP_2)
	v_pk_fma_f32 v[10:11], v[4:5], v[0:1], v[8:9] op_sel:[0,0,1] op_sel_hi:[1,1,0] neg_lo:[0,0,1] neg_hi:[0,0,1]
	v_pk_fma_f32 v[4:5], v[4:5], v[0:1], v[8:9] op_sel:[0,0,1] op_sel_hi:[1,0,0]
	v_dual_mul_f32 v8, v7, v3 :: v_dual_mov_b32 v4, v7
	v_dual_mov_b32 v11, v5 :: v_dual_mov_b32 v5, v6
	s_delay_alu instid0(VALU_DEP_2) | instskip(SKIP_1) | instid1(VALU_DEP_3)
	v_pk_fma_f32 v[8:9], v[6:7], v[64:65], v[8:9] op_sel_hi:[1,1,0] neg_lo:[0,0,1] neg_hi:[0,0,1]
	v_mul_f32_e32 v6, v7, v0
	v_pk_add_f32 v[84:85], v[84:85], v[10:11] neg_lo:[0,1] neg_hi:[0,1]
	s_delay_alu instid0(VALU_DEP_2) | instskip(NEXT) | instid1(VALU_DEP_1)
	v_pk_fma_f32 v[4:5], v[4:5], v[64:65], v[6:7] op_sel_hi:[1,1,0]
	v_mov_b32_e32 v9, v5
	ds_load_2addr_b64 v[4:7], v20 offset0:23 offset1:24
	v_pk_add_f32 v[86:87], v[86:87], v[8:9] neg_lo:[0,1] neg_hi:[0,1]
	s_wait_dscnt 0x0
	v_pk_mul_f32 v[8:9], v[4:5], v[2:3] op_sel:[0,1]
	s_delay_alu instid0(VALU_DEP_1) | instskip(SKIP_1) | instid1(VALU_DEP_1)
	v_pk_fma_f32 v[10:11], v[4:5], v[0:1], v[8:9] op_sel:[0,0,1] op_sel_hi:[1,1,0] neg_lo:[0,0,1] neg_hi:[0,0,1]
	v_pk_fma_f32 v[4:5], v[4:5], v[0:1], v[8:9] op_sel:[0,0,1] op_sel_hi:[1,0,0]
	v_mov_b32_e32 v11, v5
	v_pk_mul_f32 v[4:5], v[6:7], v[2:3] op_sel:[0,1]
	s_delay_alu instid0(VALU_DEP_1) | instskip(SKIP_1) | instid1(VALU_DEP_1)
	v_pk_fma_f32 v[8:9], v[6:7], v[0:1], v[4:5] op_sel:[0,0,1] op_sel_hi:[1,1,0] neg_lo:[0,0,1] neg_hi:[0,0,1]
	v_pk_fma_f32 v[4:5], v[6:7], v[0:1], v[4:5] op_sel:[0,0,1] op_sel_hi:[1,0,0]
	v_mov_b32_e32 v9, v5
	ds_load_2addr_b64 v[4:7], v20 offset0:25 offset1:26
	v_pk_add_f32 v[82:83], v[82:83], v[10:11] neg_lo:[0,1] neg_hi:[0,1]
	v_pk_add_f32 v[112:113], v[112:113], v[8:9] neg_lo:[0,1] neg_hi:[0,1]
	s_wait_dscnt 0x0
	v_pk_mul_f32 v[8:9], v[4:5], v[2:3] op_sel:[0,1]
	s_delay_alu instid0(VALU_DEP_1) | instskip(SKIP_1) | instid1(VALU_DEP_1)
	v_pk_fma_f32 v[10:11], v[4:5], v[0:1], v[8:9] op_sel:[0,0,1] op_sel_hi:[1,1,0] neg_lo:[0,0,1] neg_hi:[0,0,1]
	v_pk_fma_f32 v[4:5], v[4:5], v[0:1], v[8:9] op_sel:[0,0,1] op_sel_hi:[1,0,0]
	v_mov_b32_e32 v11, v5
	v_pk_mul_f32 v[4:5], v[6:7], v[2:3] op_sel:[0,1]
	s_delay_alu instid0(VALU_DEP_1) | instskip(SKIP_1) | instid1(VALU_DEP_1)
	v_pk_fma_f32 v[8:9], v[6:7], v[0:1], v[4:5] op_sel:[0,0,1] op_sel_hi:[1,1,0] neg_lo:[0,0,1] neg_hi:[0,0,1]
	v_pk_fma_f32 v[4:5], v[6:7], v[0:1], v[4:5] op_sel:[0,0,1] op_sel_hi:[1,0,0]
	v_mov_b32_e32 v9, v5
	ds_load_2addr_b64 v[4:7], v20 offset0:27 offset1:28
	v_pk_add_f32 v[108:109], v[108:109], v[10:11] neg_lo:[0,1] neg_hi:[0,1]
	v_pk_add_f32 v[110:111], v[110:111], v[8:9] neg_lo:[0,1] neg_hi:[0,1]
	s_wait_dscnt 0x0
	v_dual_mul_f32 v8, v5, v3 :: v_dual_mul_f32 v10, v5, v0
	s_delay_alu instid0(VALU_DEP_1) | instskip(NEXT) | instid1(VALU_DEP_2)
	v_pk_fma_f32 v[8:9], v[4:5], v[64:65], v[8:9] op_sel_hi:[1,1,0] neg_lo:[0,0,1] neg_hi:[0,0,1]
	v_pk_fma_f32 v[4:5], v[4:5], v[64:65], v[10:11] op_sel:[1,0,0] op_sel_hi:[0,1,0]
	s_delay_alu instid0(VALU_DEP_1) | instskip(SKIP_1) | instid1(VALU_DEP_2)
	v_mov_b32_e32 v9, v5
	v_pk_mul_f32 v[4:5], v[6:7], v[2:3] op_sel:[0,1]
	v_pk_add_f32 v[106:107], v[106:107], v[8:9] neg_lo:[0,1] neg_hi:[0,1]
	s_delay_alu instid0(VALU_DEP_2) | instskip(SKIP_1) | instid1(VALU_DEP_1)
	v_pk_fma_f32 v[8:9], v[6:7], v[0:1], v[4:5] op_sel:[0,0,1] op_sel_hi:[1,1,0] neg_lo:[0,0,1] neg_hi:[0,0,1]
	v_pk_fma_f32 v[4:5], v[6:7], v[0:1], v[4:5] op_sel:[0,0,1] op_sel_hi:[1,0,0]
	v_mov_b32_e32 v9, v5
	ds_load_2addr_b64 v[4:7], v20 offset0:29 offset1:30
	v_pk_add_f32 v[128:129], v[128:129], v[8:9] neg_lo:[0,1] neg_hi:[0,1]
	s_wait_dscnt 0x0
	v_pk_mul_f32 v[8:9], v[4:5], v[2:3] op_sel:[0,1]
	s_delay_alu instid0(VALU_DEP_1) | instskip(SKIP_1) | instid1(VALU_DEP_1)
	v_pk_fma_f32 v[10:11], v[4:5], v[0:1], v[8:9] op_sel:[0,0,1] op_sel_hi:[1,1,0] neg_lo:[0,0,1] neg_hi:[0,0,1]
	v_pk_fma_f32 v[4:5], v[4:5], v[0:1], v[8:9] op_sel:[0,0,1] op_sel_hi:[1,0,0]
	v_mov_b32_e32 v11, v5
	v_pk_mul_f32 v[4:5], v[6:7], v[2:3] op_sel:[0,1]
	s_delay_alu instid0(VALU_DEP_2) | instskip(NEXT) | instid1(VALU_DEP_2)
	v_pk_add_f32 v[124:125], v[124:125], v[10:11] neg_lo:[0,1] neg_hi:[0,1]
	v_pk_fma_f32 v[8:9], v[6:7], v[0:1], v[4:5] op_sel:[0,0,1] op_sel_hi:[1,1,0] neg_lo:[0,0,1] neg_hi:[0,0,1]
	v_pk_fma_f32 v[4:5], v[6:7], v[0:1], v[4:5] op_sel:[0,0,1] op_sel_hi:[1,0,0]
	s_delay_alu instid0(VALU_DEP_1) | instskip(SKIP_4) | instid1(VALU_DEP_1)
	v_mov_b32_e32 v9, v5
	ds_load_2addr_b64 v[4:7], v20 offset0:31 offset1:32
	v_pk_add_f32 v[126:127], v[126:127], v[8:9] neg_lo:[0,1] neg_hi:[0,1]
	s_wait_dscnt 0x0
	v_pk_mul_f32 v[8:9], v[4:5], v[2:3] op_sel:[0,1]
	v_pk_fma_f32 v[10:11], v[4:5], v[0:1], v[8:9] op_sel:[0,0,1] op_sel_hi:[1,1,0] neg_lo:[0,0,1] neg_hi:[0,0,1]
	v_pk_fma_f32 v[4:5], v[4:5], v[0:1], v[8:9] op_sel:[0,0,1] op_sel_hi:[1,0,0]
	v_dual_mul_f32 v8, v7, v3 :: v_dual_mov_b32 v4, v7
	s_delay_alu instid0(VALU_DEP_2) | instskip(NEXT) | instid1(VALU_DEP_2)
	v_dual_mov_b32 v11, v5 :: v_dual_mov_b32 v5, v6
	v_pk_fma_f32 v[8:9], v[6:7], v[64:65], v[8:9] op_sel_hi:[1,1,0] neg_lo:[0,0,1] neg_hi:[0,0,1]
	v_mul_f32_e32 v6, v7, v0
	s_delay_alu instid0(VALU_DEP_3) | instskip(NEXT) | instid1(VALU_DEP_2)
	v_pk_add_f32 v[122:123], v[122:123], v[10:11] neg_lo:[0,1] neg_hi:[0,1]
	v_pk_fma_f32 v[4:5], v[4:5], v[64:65], v[6:7] op_sel_hi:[1,1,0]
	s_delay_alu instid0(VALU_DEP_1) | instskip(SKIP_4) | instid1(VALU_DEP_1)
	v_mov_b32_e32 v9, v5
	ds_load_2addr_b64 v[4:7], v20 offset0:33 offset1:34
	v_pk_add_f32 v[150:151], v[150:151], v[8:9] neg_lo:[0,1] neg_hi:[0,1]
	s_wait_dscnt 0x0
	v_pk_mul_f32 v[8:9], v[4:5], v[2:3] op_sel:[0,1]
	v_pk_fma_f32 v[10:11], v[4:5], v[0:1], v[8:9] op_sel:[0,0,1] op_sel_hi:[1,1,0] neg_lo:[0,0,1] neg_hi:[0,0,1]
	v_pk_fma_f32 v[4:5], v[4:5], v[0:1], v[8:9] op_sel:[0,0,1] op_sel_hi:[1,0,0]
	s_delay_alu instid0(VALU_DEP_1) | instskip(SKIP_1) | instid1(VALU_DEP_1)
	v_mov_b32_e32 v11, v5
	v_pk_mul_f32 v[4:5], v[6:7], v[2:3] op_sel:[0,1]
	v_pk_fma_f32 v[8:9], v[6:7], v[0:1], v[4:5] op_sel:[0,0,1] op_sel_hi:[1,1,0] neg_lo:[0,0,1] neg_hi:[0,0,1]
	v_pk_fma_f32 v[4:5], v[6:7], v[0:1], v[4:5] op_sel:[0,0,1] op_sel_hi:[1,0,0]
	s_delay_alu instid0(VALU_DEP_1)
	v_mov_b32_e32 v9, v5
	ds_load_2addr_b64 v[4:7], v20 offset0:35 offset1:36
	v_pk_add_f32 v[146:147], v[146:147], v[10:11] neg_lo:[0,1] neg_hi:[0,1]
	v_pk_add_f32 v[148:149], v[148:149], v[8:9] neg_lo:[0,1] neg_hi:[0,1]
	s_wait_dscnt 0x0
	v_pk_mul_f32 v[8:9], v[4:5], v[2:3] op_sel:[0,1]
	s_delay_alu instid0(VALU_DEP_1) | instskip(SKIP_1) | instid1(VALU_DEP_1)
	v_pk_fma_f32 v[10:11], v[4:5], v[0:1], v[8:9] op_sel:[0,0,1] op_sel_hi:[1,1,0] neg_lo:[0,0,1] neg_hi:[0,0,1]
	v_pk_fma_f32 v[4:5], v[4:5], v[0:1], v[8:9] op_sel:[0,0,1] op_sel_hi:[1,0,0]
	v_mov_b32_e32 v11, v5
	v_pk_mul_f32 v[4:5], v[6:7], v[2:3] op_sel:[0,1]
	s_delay_alu instid0(VALU_DEP_1) | instskip(SKIP_1) | instid1(VALU_DEP_1)
	v_pk_fma_f32 v[8:9], v[6:7], v[0:1], v[4:5] op_sel:[0,0,1] op_sel_hi:[1,1,0] neg_lo:[0,0,1] neg_hi:[0,0,1]
	v_pk_fma_f32 v[4:5], v[6:7], v[0:1], v[4:5] op_sel:[0,0,1] op_sel_hi:[1,0,0]
	v_mov_b32_e32 v9, v5
	ds_load_2addr_b64 v[4:7], v20 offset0:37 offset1:38
	v_pk_add_f32 v[144:145], v[144:145], v[10:11] neg_lo:[0,1] neg_hi:[0,1]
	v_pk_add_f32 v[174:175], v[174:175], v[8:9] neg_lo:[0,1] neg_hi:[0,1]
	s_wait_dscnt 0x0
	v_dual_mul_f32 v8, v5, v3 :: v_dual_mul_f32 v10, v5, v0
	s_delay_alu instid0(VALU_DEP_1) | instskip(NEXT) | instid1(VALU_DEP_2)
	v_pk_fma_f32 v[8:9], v[4:5], v[64:65], v[8:9] op_sel_hi:[1,1,0] neg_lo:[0,0,1] neg_hi:[0,0,1]
	v_pk_fma_f32 v[4:5], v[4:5], v[64:65], v[10:11] op_sel:[1,0,0] op_sel_hi:[0,1,0]
	s_delay_alu instid0(VALU_DEP_1) | instskip(SKIP_1) | instid1(VALU_DEP_2)
	v_mov_b32_e32 v9, v5
	v_pk_mul_f32 v[4:5], v[6:7], v[2:3] op_sel:[0,1]
	v_pk_add_f32 v[166:167], v[166:167], v[8:9] neg_lo:[0,1] neg_hi:[0,1]
	s_delay_alu instid0(VALU_DEP_2) | instskip(SKIP_1) | instid1(VALU_DEP_1)
	v_pk_fma_f32 v[8:9], v[6:7], v[0:1], v[4:5] op_sel:[0,0,1] op_sel_hi:[1,1,0] neg_lo:[0,0,1] neg_hi:[0,0,1]
	v_pk_fma_f32 v[4:5], v[6:7], v[0:1], v[4:5] op_sel:[0,0,1] op_sel_hi:[1,0,0]
	v_mov_b32_e32 v9, v5
	ds_load_2addr_b64 v[4:7], v20 offset0:39 offset1:40
	v_pk_add_f32 v[172:173], v[172:173], v[8:9] neg_lo:[0,1] neg_hi:[0,1]
	s_wait_dscnt 0x0
	v_pk_mul_f32 v[8:9], v[4:5], v[2:3] op_sel:[0,1]
	s_delay_alu instid0(VALU_DEP_1) | instskip(SKIP_1) | instid1(VALU_DEP_1)
	v_pk_fma_f32 v[10:11], v[4:5], v[0:1], v[8:9] op_sel:[0,0,1] op_sel_hi:[1,1,0] neg_lo:[0,0,1] neg_hi:[0,0,1]
	v_pk_fma_f32 v[4:5], v[4:5], v[0:1], v[8:9] op_sel:[0,0,1] op_sel_hi:[1,0,0]
	v_mov_b32_e32 v11, v5
	v_pk_mul_f32 v[4:5], v[6:7], v[2:3] op_sel:[0,1]
	s_delay_alu instid0(VALU_DEP_2) | instskip(NEXT) | instid1(VALU_DEP_2)
	v_pk_add_f32 v[164:165], v[164:165], v[10:11] neg_lo:[0,1] neg_hi:[0,1]
	v_pk_fma_f32 v[8:9], v[6:7], v[0:1], v[4:5] op_sel:[0,0,1] op_sel_hi:[1,1,0] neg_lo:[0,0,1] neg_hi:[0,0,1]
	v_pk_fma_f32 v[4:5], v[6:7], v[0:1], v[4:5] op_sel:[0,0,1] op_sel_hi:[1,0,0]
	s_delay_alu instid0(VALU_DEP_1) | instskip(SKIP_4) | instid1(VALU_DEP_1)
	v_mov_b32_e32 v9, v5
	ds_load_2addr_b64 v[4:7], v20 offset0:41 offset1:42
	v_pk_add_f32 v[170:171], v[170:171], v[8:9] neg_lo:[0,1] neg_hi:[0,1]
	s_wait_dscnt 0x0
	v_pk_mul_f32 v[8:9], v[4:5], v[2:3] op_sel:[0,1]
	v_pk_fma_f32 v[10:11], v[4:5], v[0:1], v[8:9] op_sel:[0,0,1] op_sel_hi:[1,1,0] neg_lo:[0,0,1] neg_hi:[0,0,1]
	v_pk_fma_f32 v[4:5], v[4:5], v[0:1], v[8:9] op_sel:[0,0,1] op_sel_hi:[1,0,0]
	v_dual_mul_f32 v8, v7, v3 :: v_dual_mov_b32 v4, v7
	s_delay_alu instid0(VALU_DEP_2) | instskip(NEXT) | instid1(VALU_DEP_2)
	v_dual_mov_b32 v11, v5 :: v_dual_mov_b32 v5, v6
	v_pk_fma_f32 v[8:9], v[6:7], v[64:65], v[8:9] op_sel_hi:[1,1,0] neg_lo:[0,0,1] neg_hi:[0,0,1]
	v_mul_f32_e32 v6, v7, v0
	s_delay_alu instid0(VALU_DEP_3) | instskip(NEXT) | instid1(VALU_DEP_2)
	v_pk_add_f32 v[162:163], v[162:163], v[10:11] neg_lo:[0,1] neg_hi:[0,1]
	v_pk_fma_f32 v[4:5], v[4:5], v[64:65], v[6:7] op_sel_hi:[1,1,0]
	s_delay_alu instid0(VALU_DEP_1)
	v_mov_b32_e32 v9, v5
	ds_load_2addr_b64 v[4:7], v20 offset0:43 offset1:44
	v_pk_add_f32 v[168:169], v[168:169], v[8:9] neg_lo:[0,1] neg_hi:[0,1]
	s_wait_dscnt 0x0
	v_pk_mul_f32 v[8:9], v[4:5], v[2:3] op_sel:[0,1]
	v_pk_mul_f32 v[2:3], v[6:7], v[2:3] op_sel:[0,1]
	s_delay_alu instid0(VALU_DEP_2) | instskip(SKIP_1) | instid1(VALU_DEP_1)
	v_pk_fma_f32 v[10:11], v[4:5], v[0:1], v[8:9] op_sel:[0,0,1] op_sel_hi:[1,1,0] neg_lo:[0,0,1] neg_hi:[0,0,1]
	v_pk_fma_f32 v[4:5], v[4:5], v[0:1], v[8:9] op_sel:[0,0,1] op_sel_hi:[1,0,0]
	v_mov_b32_e32 v11, v5
	s_delay_alu instid0(VALU_DEP_4) | instskip(SKIP_1) | instid1(VALU_DEP_1)
	v_pk_fma_f32 v[4:5], v[6:7], v[0:1], v[2:3] op_sel:[0,0,1] op_sel_hi:[1,1,0] neg_lo:[0,0,1] neg_hi:[0,0,1]
	v_pk_fma_f32 v[0:1], v[6:7], v[0:1], v[2:3] op_sel:[0,0,1] op_sel_hi:[1,0,0]
	v_mov_b32_e32 v5, v1
	s_delay_alu instid0(VALU_DEP_4) | instskip(NEXT) | instid1(VALU_DEP_2)
	v_pk_add_f32 v[176:177], v[176:177], v[10:11] neg_lo:[0,1] neg_hi:[0,1]
	v_pk_add_f32 v[180:181], v[180:181], v[4:5] neg_lo:[0,1] neg_hi:[0,1]
.LBB89_172:
	s_or_b32 exec_lo, exec_lo, s1
	s_delay_alu instid0(SALU_CYCLE_1)
	s_mov_b32 s2, exec_lo
	s_wait_dscnt 0x0
	s_barrier_signal -1
	s_barrier_wait -1
	v_cmpx_eq_u32_e32 19, v38
	s_cbranch_execz .LBB89_179
; %bb.173:
	v_dual_mov_b32 v0, v88 :: v_dual_mov_b32 v1, v89
	v_dual_mov_b32 v2, v84 :: v_dual_mov_b32 v3, v85
	;; [unrolled: 1-line block ×10, first 2 shown]
	ds_store_b64 v39, v[60:61]
	v_dual_mov_b32 v220, v126 :: v_dual_mov_b32 v221, v127
	v_dual_mov_b32 v222, v122 :: v_dual_mov_b32 v223, v123
	ds_store_2addr_b64 v20, v[0:1], v[2:3] offset0:20 offset1:21
	ds_store_2addr_b64 v20, v[4:5], v[6:7] offset0:22 offset1:23
	;; [unrolled: 1-line block ×6, first 2 shown]
	v_dual_mov_b32 v0, v150 :: v_dual_mov_b32 v1, v151
	v_dual_mov_b32 v2, v146 :: v_dual_mov_b32 v3, v147
	;; [unrolled: 1-line block ×12, first 2 shown]
	ds_store_2addr_b64 v20, v[0:1], v[2:3] offset0:32 offset1:33
	ds_store_2addr_b64 v20, v[4:5], v[6:7] offset0:34 offset1:35
	;; [unrolled: 1-line block ×6, first 2 shown]
	ds_store_b64 v20, v[180:181] offset:352
	ds_load_b64 v[0:1], v39
	s_wait_dscnt 0x0
	v_cmp_neq_f32_e32 vcc_lo, 0, v0
	v_cmp_neq_f32_e64 s1, 0, v1
	s_or_b32 s1, vcc_lo, s1
	s_delay_alu instid0(SALU_CYCLE_1)
	s_and_b32 exec_lo, exec_lo, s1
	s_cbranch_execz .LBB89_179
; %bb.174:
	v_cmp_ngt_f32_e64 s1, |v0|, |v1|
                                        ; implicit-def: $vgpr2_vgpr3
	s_and_saveexec_b32 s4, s1
	s_delay_alu instid0(SALU_CYCLE_1)
	s_xor_b32 s1, exec_lo, s4
	s_cbranch_execz .LBB89_176
; %bb.175:
	v_div_scale_f32 v2, null, v1, v1, v0
	v_div_scale_f32 v5, vcc_lo, v0, v1, v0
	s_delay_alu instid0(VALU_DEP_2) | instskip(SKIP_1) | instid1(TRANS32_DEP_1)
	v_rcp_f32_e32 v3, v2
	v_nop
	v_fma_f32 v4, -v2, v3, 1.0
	s_delay_alu instid0(VALU_DEP_1) | instskip(NEXT) | instid1(VALU_DEP_1)
	v_fmac_f32_e32 v3, v4, v3
	v_mul_f32_e32 v4, v5, v3
	s_delay_alu instid0(VALU_DEP_1) | instskip(NEXT) | instid1(VALU_DEP_1)
	v_fma_f32 v6, -v2, v4, v5
	v_fmac_f32_e32 v4, v6, v3
	s_delay_alu instid0(VALU_DEP_1) | instskip(NEXT) | instid1(VALU_DEP_1)
	v_fma_f32 v2, -v2, v4, v5
	v_div_fmas_f32 v2, v2, v3, v4
	s_delay_alu instid0(VALU_DEP_1) | instskip(NEXT) | instid1(VALU_DEP_1)
	v_div_fixup_f32 v2, v2, v1, v0
	v_fmac_f32_e32 v1, v0, v2
	s_delay_alu instid0(VALU_DEP_1) | instskip(SKIP_1) | instid1(VALU_DEP_2)
	v_div_scale_f32 v0, null, v1, v1, 1.0
	v_div_scale_f32 v5, vcc_lo, 1.0, v1, 1.0
	v_rcp_f32_e32 v3, v0
	v_nop
	s_delay_alu instid0(TRANS32_DEP_1) | instskip(NEXT) | instid1(VALU_DEP_1)
	v_fma_f32 v4, -v0, v3, 1.0
	v_fmac_f32_e32 v3, v4, v3
	s_delay_alu instid0(VALU_DEP_1) | instskip(NEXT) | instid1(VALU_DEP_1)
	v_mul_f32_e32 v4, v5, v3
	v_fma_f32 v6, -v0, v4, v5
	s_delay_alu instid0(VALU_DEP_1) | instskip(NEXT) | instid1(VALU_DEP_1)
	v_fmac_f32_e32 v4, v6, v3
	v_fma_f32 v0, -v0, v4, v5
	s_delay_alu instid0(VALU_DEP_1) | instskip(NEXT) | instid1(VALU_DEP_1)
	v_div_fmas_f32 v0, v0, v3, v4
	v_div_fixup_f32 v0, v0, v1, 1.0
	s_delay_alu instid0(VALU_DEP_1)
	v_mul_f32_e32 v2, v2, v0
	v_xor_b32_e32 v3, 0x80000000, v0
                                        ; implicit-def: $vgpr0_vgpr1
.LBB89_176:
	s_and_not1_saveexec_b32 s1, s1
	s_cbranch_execz .LBB89_178
; %bb.177:
	v_div_scale_f32 v2, null, v0, v0, v1
	v_div_scale_f32 v5, vcc_lo, v1, v0, v1
	s_delay_alu instid0(VALU_DEP_2) | instskip(SKIP_1) | instid1(TRANS32_DEP_1)
	v_rcp_f32_e32 v3, v2
	v_nop
	v_fma_f32 v4, -v2, v3, 1.0
	s_delay_alu instid0(VALU_DEP_1) | instskip(NEXT) | instid1(VALU_DEP_1)
	v_fmac_f32_e32 v3, v4, v3
	v_mul_f32_e32 v4, v5, v3
	s_delay_alu instid0(VALU_DEP_1) | instskip(NEXT) | instid1(VALU_DEP_1)
	v_fma_f32 v6, -v2, v4, v5
	v_fmac_f32_e32 v4, v6, v3
	s_delay_alu instid0(VALU_DEP_1) | instskip(NEXT) | instid1(VALU_DEP_1)
	v_fma_f32 v2, -v2, v4, v5
	v_div_fmas_f32 v2, v2, v3, v4
	s_delay_alu instid0(VALU_DEP_1) | instskip(NEXT) | instid1(VALU_DEP_1)
	v_div_fixup_f32 v3, v2, v0, v1
	v_fmac_f32_e32 v0, v1, v3
	s_delay_alu instid0(VALU_DEP_1) | instskip(NEXT) | instid1(VALU_DEP_1)
	v_div_scale_f32 v1, null, v0, v0, 1.0
	v_rcp_f32_e32 v2, v1
	v_nop
	s_delay_alu instid0(TRANS32_DEP_1) | instskip(NEXT) | instid1(VALU_DEP_1)
	v_fma_f32 v4, -v1, v2, 1.0
	v_fmac_f32_e32 v2, v4, v2
	v_div_scale_f32 v4, vcc_lo, 1.0, v0, 1.0
	s_delay_alu instid0(VALU_DEP_1) | instskip(NEXT) | instid1(VALU_DEP_1)
	v_mul_f32_e32 v5, v4, v2
	v_fma_f32 v6, -v1, v5, v4
	s_delay_alu instid0(VALU_DEP_1) | instskip(NEXT) | instid1(VALU_DEP_1)
	v_fmac_f32_e32 v5, v6, v2
	v_fma_f32 v1, -v1, v5, v4
	s_delay_alu instid0(VALU_DEP_1) | instskip(NEXT) | instid1(VALU_DEP_1)
	v_div_fmas_f32 v1, v1, v2, v5
	v_div_fixup_f32 v2, v1, v0, 1.0
	s_delay_alu instid0(VALU_DEP_1)
	v_mul_f32_e64 v3, v3, -v2
.LBB89_178:
	s_or_b32 exec_lo, exec_lo, s1
	ds_store_b64 v39, v[2:3]
.LBB89_179:
	s_or_b32 exec_lo, exec_lo, s2
	s_wait_dscnt 0x0
	s_barrier_signal -1
	s_barrier_wait -1
	ds_load_b64 v[220:221], v39
	s_mov_b32 s1, exec_lo
	v_cmpx_lt_u32_e32 19, v38
	s_cbranch_execz .LBB89_181
; %bb.180:
	ds_load_2addr_b64 v[4:7], v20 offset0:20 offset1:21
	s_wait_dscnt 0x1
	v_pk_mul_f32 v[2:3], v[220:221], v[60:61] op_sel:[1,1] op_sel_hi:[0,1]
	s_delay_alu instid0(VALU_DEP_1) | instskip(SKIP_1) | instid1(VALU_DEP_1)
	v_pk_fma_f32 v[0:1], v[220:221], v[60:61], v[2:3] op_sel_hi:[1,0,1] neg_lo:[0,0,1] neg_hi:[0,0,1]
	v_pk_fma_f32 v[2:3], v[220:221], v[60:61], v[2:3] op_sel_hi:[1,0,1]
	v_dual_mov_b32 v60, v0 :: v_dual_mov_b32 v61, v3
	s_wait_dscnt 0x0
	s_delay_alu instid0(VALU_DEP_2) | instskip(NEXT) | instid1(VALU_DEP_1)
	v_pk_mul_f32 v[8:9], v[4:5], v[2:3] op_sel:[0,1]
	v_pk_fma_f32 v[10:11], v[4:5], v[0:1], v[8:9] op_sel:[0,0,1] op_sel_hi:[1,1,0] neg_lo:[0,0,1] neg_hi:[0,0,1]
	v_pk_fma_f32 v[4:5], v[4:5], v[0:1], v[8:9] op_sel:[0,0,1] op_sel_hi:[1,0,0]
	s_delay_alu instid0(VALU_DEP_1) | instskip(SKIP_1) | instid1(VALU_DEP_1)
	v_mov_b32_e32 v11, v5
	v_pk_mul_f32 v[4:5], v[6:7], v[2:3] op_sel:[0,1]
	v_pk_fma_f32 v[8:9], v[6:7], v[0:1], v[4:5] op_sel:[0,0,1] op_sel_hi:[1,1,0] neg_lo:[0,0,1] neg_hi:[0,0,1]
	v_pk_fma_f32 v[4:5], v[6:7], v[0:1], v[4:5] op_sel:[0,0,1] op_sel_hi:[1,0,0]
	s_delay_alu instid0(VALU_DEP_1)
	v_mov_b32_e32 v9, v5
	ds_load_2addr_b64 v[4:7], v20 offset0:22 offset1:23
	v_pk_add_f32 v[88:89], v[88:89], v[10:11] neg_lo:[0,1] neg_hi:[0,1]
	v_pk_add_f32 v[84:85], v[84:85], v[8:9] neg_lo:[0,1] neg_hi:[0,1]
	s_wait_dscnt 0x0
	v_pk_mul_f32 v[8:9], v[4:5], v[2:3] op_sel:[0,1]
	s_delay_alu instid0(VALU_DEP_1) | instskip(SKIP_2) | instid1(VALU_DEP_2)
	v_pk_fma_f32 v[10:11], v[4:5], v[0:1], v[8:9] op_sel:[0,0,1] op_sel_hi:[1,1,0] neg_lo:[0,0,1] neg_hi:[0,0,1]
	v_pk_fma_f32 v[4:5], v[4:5], v[0:1], v[8:9] op_sel:[0,0,1] op_sel_hi:[1,0,0]
	v_dual_mul_f32 v8, v7, v3 :: v_dual_mov_b32 v4, v7
	v_dual_mov_b32 v11, v5 :: v_dual_mov_b32 v5, v6
	s_delay_alu instid0(VALU_DEP_2) | instskip(SKIP_1) | instid1(VALU_DEP_3)
	v_pk_fma_f32 v[8:9], v[6:7], v[60:61], v[8:9] op_sel_hi:[1,1,0] neg_lo:[0,0,1] neg_hi:[0,0,1]
	v_mul_f32_e32 v6, v7, v0
	v_pk_add_f32 v[86:87], v[86:87], v[10:11] neg_lo:[0,1] neg_hi:[0,1]
	s_delay_alu instid0(VALU_DEP_2) | instskip(NEXT) | instid1(VALU_DEP_1)
	v_pk_fma_f32 v[4:5], v[4:5], v[60:61], v[6:7] op_sel_hi:[1,1,0]
	v_mov_b32_e32 v9, v5
	ds_load_2addr_b64 v[4:7], v20 offset0:24 offset1:25
	v_pk_add_f32 v[82:83], v[82:83], v[8:9] neg_lo:[0,1] neg_hi:[0,1]
	s_wait_dscnt 0x0
	v_pk_mul_f32 v[8:9], v[4:5], v[2:3] op_sel:[0,1]
	s_delay_alu instid0(VALU_DEP_1) | instskip(SKIP_1) | instid1(VALU_DEP_1)
	v_pk_fma_f32 v[10:11], v[4:5], v[0:1], v[8:9] op_sel:[0,0,1] op_sel_hi:[1,1,0] neg_lo:[0,0,1] neg_hi:[0,0,1]
	v_pk_fma_f32 v[4:5], v[4:5], v[0:1], v[8:9] op_sel:[0,0,1] op_sel_hi:[1,0,0]
	v_mov_b32_e32 v11, v5
	v_pk_mul_f32 v[4:5], v[6:7], v[2:3] op_sel:[0,1]
	s_delay_alu instid0(VALU_DEP_1) | instskip(SKIP_1) | instid1(VALU_DEP_1)
	v_pk_fma_f32 v[8:9], v[6:7], v[0:1], v[4:5] op_sel:[0,0,1] op_sel_hi:[1,1,0] neg_lo:[0,0,1] neg_hi:[0,0,1]
	v_pk_fma_f32 v[4:5], v[6:7], v[0:1], v[4:5] op_sel:[0,0,1] op_sel_hi:[1,0,0]
	v_mov_b32_e32 v9, v5
	ds_load_2addr_b64 v[4:7], v20 offset0:26 offset1:27
	v_pk_add_f32 v[112:113], v[112:113], v[10:11] neg_lo:[0,1] neg_hi:[0,1]
	v_pk_add_f32 v[108:109], v[108:109], v[8:9] neg_lo:[0,1] neg_hi:[0,1]
	s_wait_dscnt 0x0
	v_pk_mul_f32 v[8:9], v[4:5], v[2:3] op_sel:[0,1]
	s_delay_alu instid0(VALU_DEP_1) | instskip(SKIP_1) | instid1(VALU_DEP_1)
	v_pk_fma_f32 v[10:11], v[4:5], v[0:1], v[8:9] op_sel:[0,0,1] op_sel_hi:[1,1,0] neg_lo:[0,0,1] neg_hi:[0,0,1]
	v_pk_fma_f32 v[4:5], v[4:5], v[0:1], v[8:9] op_sel:[0,0,1] op_sel_hi:[1,0,0]
	v_mov_b32_e32 v11, v5
	v_pk_mul_f32 v[4:5], v[6:7], v[2:3] op_sel:[0,1]
	s_delay_alu instid0(VALU_DEP_1) | instskip(SKIP_1) | instid1(VALU_DEP_1)
	v_pk_fma_f32 v[8:9], v[6:7], v[0:1], v[4:5] op_sel:[0,0,1] op_sel_hi:[1,1,0] neg_lo:[0,0,1] neg_hi:[0,0,1]
	v_pk_fma_f32 v[4:5], v[6:7], v[0:1], v[4:5] op_sel:[0,0,1] op_sel_hi:[1,0,0]
	v_mov_b32_e32 v9, v5
	ds_load_2addr_b64 v[4:7], v20 offset0:28 offset1:29
	v_pk_add_f32 v[110:111], v[110:111], v[10:11] neg_lo:[0,1] neg_hi:[0,1]
	v_pk_add_f32 v[106:107], v[106:107], v[8:9] neg_lo:[0,1] neg_hi:[0,1]
	s_wait_dscnt 0x0
	v_dual_mul_f32 v8, v5, v3 :: v_dual_mul_f32 v10, v5, v0
	s_delay_alu instid0(VALU_DEP_1) | instskip(NEXT) | instid1(VALU_DEP_2)
	v_pk_fma_f32 v[8:9], v[4:5], v[60:61], v[8:9] op_sel_hi:[1,1,0] neg_lo:[0,0,1] neg_hi:[0,0,1]
	v_pk_fma_f32 v[4:5], v[4:5], v[60:61], v[10:11] op_sel:[1,0,0] op_sel_hi:[0,1,0]
	s_delay_alu instid0(VALU_DEP_1) | instskip(SKIP_1) | instid1(VALU_DEP_2)
	v_mov_b32_e32 v9, v5
	v_pk_mul_f32 v[4:5], v[6:7], v[2:3] op_sel:[0,1]
	v_pk_add_f32 v[128:129], v[128:129], v[8:9] neg_lo:[0,1] neg_hi:[0,1]
	s_delay_alu instid0(VALU_DEP_2) | instskip(SKIP_1) | instid1(VALU_DEP_1)
	v_pk_fma_f32 v[8:9], v[6:7], v[0:1], v[4:5] op_sel:[0,0,1] op_sel_hi:[1,1,0] neg_lo:[0,0,1] neg_hi:[0,0,1]
	v_pk_fma_f32 v[4:5], v[6:7], v[0:1], v[4:5] op_sel:[0,0,1] op_sel_hi:[1,0,0]
	v_mov_b32_e32 v9, v5
	ds_load_2addr_b64 v[4:7], v20 offset0:30 offset1:31
	v_pk_add_f32 v[124:125], v[124:125], v[8:9] neg_lo:[0,1] neg_hi:[0,1]
	s_wait_dscnt 0x0
	v_pk_mul_f32 v[8:9], v[4:5], v[2:3] op_sel:[0,1]
	s_delay_alu instid0(VALU_DEP_1) | instskip(SKIP_1) | instid1(VALU_DEP_1)
	v_pk_fma_f32 v[10:11], v[4:5], v[0:1], v[8:9] op_sel:[0,0,1] op_sel_hi:[1,1,0] neg_lo:[0,0,1] neg_hi:[0,0,1]
	v_pk_fma_f32 v[4:5], v[4:5], v[0:1], v[8:9] op_sel:[0,0,1] op_sel_hi:[1,0,0]
	v_mov_b32_e32 v11, v5
	v_pk_mul_f32 v[4:5], v[6:7], v[2:3] op_sel:[0,1]
	s_delay_alu instid0(VALU_DEP_2) | instskip(NEXT) | instid1(VALU_DEP_2)
	v_pk_add_f32 v[126:127], v[126:127], v[10:11] neg_lo:[0,1] neg_hi:[0,1]
	v_pk_fma_f32 v[8:9], v[6:7], v[0:1], v[4:5] op_sel:[0,0,1] op_sel_hi:[1,1,0] neg_lo:[0,0,1] neg_hi:[0,0,1]
	v_pk_fma_f32 v[4:5], v[6:7], v[0:1], v[4:5] op_sel:[0,0,1] op_sel_hi:[1,0,0]
	s_delay_alu instid0(VALU_DEP_1) | instskip(SKIP_4) | instid1(VALU_DEP_1)
	v_mov_b32_e32 v9, v5
	ds_load_2addr_b64 v[4:7], v20 offset0:32 offset1:33
	v_pk_add_f32 v[122:123], v[122:123], v[8:9] neg_lo:[0,1] neg_hi:[0,1]
	s_wait_dscnt 0x0
	v_pk_mul_f32 v[8:9], v[4:5], v[2:3] op_sel:[0,1]
	v_pk_fma_f32 v[10:11], v[4:5], v[0:1], v[8:9] op_sel:[0,0,1] op_sel_hi:[1,1,0] neg_lo:[0,0,1] neg_hi:[0,0,1]
	v_pk_fma_f32 v[4:5], v[4:5], v[0:1], v[8:9] op_sel:[0,0,1] op_sel_hi:[1,0,0]
	v_dual_mul_f32 v8, v7, v3 :: v_dual_mov_b32 v4, v7
	s_delay_alu instid0(VALU_DEP_2) | instskip(NEXT) | instid1(VALU_DEP_2)
	v_dual_mov_b32 v11, v5 :: v_dual_mov_b32 v5, v6
	v_pk_fma_f32 v[8:9], v[6:7], v[60:61], v[8:9] op_sel_hi:[1,1,0] neg_lo:[0,0,1] neg_hi:[0,0,1]
	v_mul_f32_e32 v6, v7, v0
	s_delay_alu instid0(VALU_DEP_3) | instskip(NEXT) | instid1(VALU_DEP_2)
	v_pk_add_f32 v[150:151], v[150:151], v[10:11] neg_lo:[0,1] neg_hi:[0,1]
	v_pk_fma_f32 v[4:5], v[4:5], v[60:61], v[6:7] op_sel_hi:[1,1,0]
	s_delay_alu instid0(VALU_DEP_1) | instskip(SKIP_4) | instid1(VALU_DEP_1)
	v_mov_b32_e32 v9, v5
	ds_load_2addr_b64 v[4:7], v20 offset0:34 offset1:35
	v_pk_add_f32 v[146:147], v[146:147], v[8:9] neg_lo:[0,1] neg_hi:[0,1]
	s_wait_dscnt 0x0
	v_pk_mul_f32 v[8:9], v[4:5], v[2:3] op_sel:[0,1]
	v_pk_fma_f32 v[10:11], v[4:5], v[0:1], v[8:9] op_sel:[0,0,1] op_sel_hi:[1,1,0] neg_lo:[0,0,1] neg_hi:[0,0,1]
	v_pk_fma_f32 v[4:5], v[4:5], v[0:1], v[8:9] op_sel:[0,0,1] op_sel_hi:[1,0,0]
	s_delay_alu instid0(VALU_DEP_1) | instskip(SKIP_1) | instid1(VALU_DEP_1)
	v_mov_b32_e32 v11, v5
	v_pk_mul_f32 v[4:5], v[6:7], v[2:3] op_sel:[0,1]
	v_pk_fma_f32 v[8:9], v[6:7], v[0:1], v[4:5] op_sel:[0,0,1] op_sel_hi:[1,1,0] neg_lo:[0,0,1] neg_hi:[0,0,1]
	v_pk_fma_f32 v[4:5], v[6:7], v[0:1], v[4:5] op_sel:[0,0,1] op_sel_hi:[1,0,0]
	s_delay_alu instid0(VALU_DEP_1)
	v_mov_b32_e32 v9, v5
	ds_load_2addr_b64 v[4:7], v20 offset0:36 offset1:37
	v_pk_add_f32 v[148:149], v[148:149], v[10:11] neg_lo:[0,1] neg_hi:[0,1]
	v_pk_add_f32 v[144:145], v[144:145], v[8:9] neg_lo:[0,1] neg_hi:[0,1]
	s_wait_dscnt 0x0
	v_pk_mul_f32 v[8:9], v[4:5], v[2:3] op_sel:[0,1]
	s_delay_alu instid0(VALU_DEP_1) | instskip(SKIP_1) | instid1(VALU_DEP_1)
	v_pk_fma_f32 v[10:11], v[4:5], v[0:1], v[8:9] op_sel:[0,0,1] op_sel_hi:[1,1,0] neg_lo:[0,0,1] neg_hi:[0,0,1]
	v_pk_fma_f32 v[4:5], v[4:5], v[0:1], v[8:9] op_sel:[0,0,1] op_sel_hi:[1,0,0]
	v_mov_b32_e32 v11, v5
	v_pk_mul_f32 v[4:5], v[6:7], v[2:3] op_sel:[0,1]
	s_delay_alu instid0(VALU_DEP_1) | instskip(SKIP_1) | instid1(VALU_DEP_1)
	v_pk_fma_f32 v[8:9], v[6:7], v[0:1], v[4:5] op_sel:[0,0,1] op_sel_hi:[1,1,0] neg_lo:[0,0,1] neg_hi:[0,0,1]
	v_pk_fma_f32 v[4:5], v[6:7], v[0:1], v[4:5] op_sel:[0,0,1] op_sel_hi:[1,0,0]
	v_mov_b32_e32 v9, v5
	ds_load_2addr_b64 v[4:7], v20 offset0:38 offset1:39
	v_pk_add_f32 v[174:175], v[174:175], v[10:11] neg_lo:[0,1] neg_hi:[0,1]
	v_pk_add_f32 v[166:167], v[166:167], v[8:9] neg_lo:[0,1] neg_hi:[0,1]
	s_wait_dscnt 0x0
	v_dual_mul_f32 v8, v5, v3 :: v_dual_mul_f32 v10, v5, v0
	s_delay_alu instid0(VALU_DEP_1) | instskip(NEXT) | instid1(VALU_DEP_2)
	v_pk_fma_f32 v[8:9], v[4:5], v[60:61], v[8:9] op_sel_hi:[1,1,0] neg_lo:[0,0,1] neg_hi:[0,0,1]
	v_pk_fma_f32 v[4:5], v[4:5], v[60:61], v[10:11] op_sel:[1,0,0] op_sel_hi:[0,1,0]
	s_delay_alu instid0(VALU_DEP_1) | instskip(SKIP_1) | instid1(VALU_DEP_2)
	v_mov_b32_e32 v9, v5
	v_pk_mul_f32 v[4:5], v[6:7], v[2:3] op_sel:[0,1]
	v_pk_add_f32 v[172:173], v[172:173], v[8:9] neg_lo:[0,1] neg_hi:[0,1]
	s_delay_alu instid0(VALU_DEP_2) | instskip(SKIP_1) | instid1(VALU_DEP_1)
	v_pk_fma_f32 v[8:9], v[6:7], v[0:1], v[4:5] op_sel:[0,0,1] op_sel_hi:[1,1,0] neg_lo:[0,0,1] neg_hi:[0,0,1]
	v_pk_fma_f32 v[4:5], v[6:7], v[0:1], v[4:5] op_sel:[0,0,1] op_sel_hi:[1,0,0]
	v_mov_b32_e32 v9, v5
	ds_load_2addr_b64 v[4:7], v20 offset0:40 offset1:41
	v_pk_add_f32 v[164:165], v[164:165], v[8:9] neg_lo:[0,1] neg_hi:[0,1]
	s_wait_dscnt 0x0
	v_pk_mul_f32 v[8:9], v[4:5], v[2:3] op_sel:[0,1]
	s_delay_alu instid0(VALU_DEP_1) | instskip(SKIP_1) | instid1(VALU_DEP_1)
	v_pk_fma_f32 v[10:11], v[4:5], v[0:1], v[8:9] op_sel:[0,0,1] op_sel_hi:[1,1,0] neg_lo:[0,0,1] neg_hi:[0,0,1]
	v_pk_fma_f32 v[4:5], v[4:5], v[0:1], v[8:9] op_sel:[0,0,1] op_sel_hi:[1,0,0]
	v_mov_b32_e32 v11, v5
	v_pk_mul_f32 v[4:5], v[6:7], v[2:3] op_sel:[0,1]
	s_delay_alu instid0(VALU_DEP_2) | instskip(NEXT) | instid1(VALU_DEP_2)
	v_pk_add_f32 v[170:171], v[170:171], v[10:11] neg_lo:[0,1] neg_hi:[0,1]
	v_pk_fma_f32 v[8:9], v[6:7], v[0:1], v[4:5] op_sel:[0,0,1] op_sel_hi:[1,1,0] neg_lo:[0,0,1] neg_hi:[0,0,1]
	v_pk_fma_f32 v[4:5], v[6:7], v[0:1], v[4:5] op_sel:[0,0,1] op_sel_hi:[1,0,0]
	s_delay_alu instid0(VALU_DEP_1) | instskip(SKIP_4) | instid1(VALU_DEP_1)
	v_mov_b32_e32 v9, v5
	ds_load_2addr_b64 v[4:7], v20 offset0:42 offset1:43
	v_pk_add_f32 v[162:163], v[162:163], v[8:9] neg_lo:[0,1] neg_hi:[0,1]
	s_wait_dscnt 0x0
	v_pk_mul_f32 v[8:9], v[4:5], v[2:3] op_sel:[0,1]
	v_pk_fma_f32 v[10:11], v[4:5], v[0:1], v[8:9] op_sel:[0,0,1] op_sel_hi:[1,1,0] neg_lo:[0,0,1] neg_hi:[0,0,1]
	v_pk_fma_f32 v[4:5], v[4:5], v[0:1], v[8:9] op_sel:[0,0,1] op_sel_hi:[1,0,0]
	v_dual_mul_f32 v8, v7, v3 :: v_dual_mov_b32 v4, v7
	s_delay_alu instid0(VALU_DEP_2) | instskip(NEXT) | instid1(VALU_DEP_2)
	v_dual_mov_b32 v11, v5 :: v_dual_mov_b32 v5, v6
	v_pk_fma_f32 v[8:9], v[6:7], v[60:61], v[8:9] op_sel_hi:[1,1,0] neg_lo:[0,0,1] neg_hi:[0,0,1]
	v_mul_f32_e32 v6, v7, v0
	s_delay_alu instid0(VALU_DEP_3) | instskip(NEXT) | instid1(VALU_DEP_2)
	v_pk_add_f32 v[168:169], v[168:169], v[10:11] neg_lo:[0,1] neg_hi:[0,1]
	v_pk_fma_f32 v[4:5], v[4:5], v[60:61], v[6:7] op_sel_hi:[1,1,0]
	s_delay_alu instid0(VALU_DEP_1) | instskip(SKIP_4) | instid1(VALU_DEP_1)
	v_mov_b32_e32 v9, v5
	ds_load_b64 v[4:5], v20 offset:352
	v_pk_add_f32 v[176:177], v[176:177], v[8:9] neg_lo:[0,1] neg_hi:[0,1]
	s_wait_dscnt 0x0
	v_pk_mul_f32 v[2:3], v[4:5], v[2:3] op_sel:[0,1]
	v_pk_fma_f32 v[6:7], v[4:5], v[0:1], v[2:3] op_sel:[0,0,1] op_sel_hi:[1,1,0] neg_lo:[0,0,1] neg_hi:[0,0,1]
	v_pk_fma_f32 v[0:1], v[4:5], v[0:1], v[2:3] op_sel:[0,0,1] op_sel_hi:[1,0,0]
	s_delay_alu instid0(VALU_DEP_1) | instskip(NEXT) | instid1(VALU_DEP_1)
	v_mov_b32_e32 v7, v1
	v_pk_add_f32 v[180:181], v[180:181], v[6:7] neg_lo:[0,1] neg_hi:[0,1]
.LBB89_181:
	s_or_b32 exec_lo, exec_lo, s1
	s_delay_alu instid0(SALU_CYCLE_1)
	s_mov_b32 s2, exec_lo
	s_wait_dscnt 0x0
	s_barrier_signal -1
	s_barrier_wait -1
	v_cmpx_eq_u32_e32 20, v38
	s_cbranch_execz .LBB89_188
; %bb.182:
	ds_store_b64 v39, v[88:89]
	ds_store_2addr_b64 v20, v[84:85], v[86:87] offset0:21 offset1:22
	ds_store_2addr_b64 v20, v[82:83], v[112:113] offset0:23 offset1:24
	;; [unrolled: 1-line block ×12, first 2 shown]
	ds_load_b64 v[0:1], v39
	s_wait_dscnt 0x0
	v_cmp_neq_f32_e32 vcc_lo, 0, v0
	v_cmp_neq_f32_e64 s1, 0, v1
	s_or_b32 s1, vcc_lo, s1
	s_delay_alu instid0(SALU_CYCLE_1)
	s_and_b32 exec_lo, exec_lo, s1
	s_cbranch_execz .LBB89_188
; %bb.183:
	v_cmp_ngt_f32_e64 s1, |v0|, |v1|
                                        ; implicit-def: $vgpr2_vgpr3
	s_and_saveexec_b32 s4, s1
	s_delay_alu instid0(SALU_CYCLE_1)
	s_xor_b32 s1, exec_lo, s4
	s_cbranch_execz .LBB89_185
; %bb.184:
	v_div_scale_f32 v2, null, v1, v1, v0
	v_div_scale_f32 v5, vcc_lo, v0, v1, v0
	s_delay_alu instid0(VALU_DEP_2) | instskip(SKIP_1) | instid1(TRANS32_DEP_1)
	v_rcp_f32_e32 v3, v2
	v_nop
	v_fma_f32 v4, -v2, v3, 1.0
	s_delay_alu instid0(VALU_DEP_1) | instskip(NEXT) | instid1(VALU_DEP_1)
	v_fmac_f32_e32 v3, v4, v3
	v_mul_f32_e32 v4, v5, v3
	s_delay_alu instid0(VALU_DEP_1) | instskip(NEXT) | instid1(VALU_DEP_1)
	v_fma_f32 v6, -v2, v4, v5
	v_fmac_f32_e32 v4, v6, v3
	s_delay_alu instid0(VALU_DEP_1) | instskip(NEXT) | instid1(VALU_DEP_1)
	v_fma_f32 v2, -v2, v4, v5
	v_div_fmas_f32 v2, v2, v3, v4
	s_delay_alu instid0(VALU_DEP_1) | instskip(NEXT) | instid1(VALU_DEP_1)
	v_div_fixup_f32 v2, v2, v1, v0
	v_fmac_f32_e32 v1, v0, v2
	s_delay_alu instid0(VALU_DEP_1) | instskip(SKIP_1) | instid1(VALU_DEP_2)
	v_div_scale_f32 v0, null, v1, v1, 1.0
	v_div_scale_f32 v5, vcc_lo, 1.0, v1, 1.0
	v_rcp_f32_e32 v3, v0
	v_nop
	s_delay_alu instid0(TRANS32_DEP_1) | instskip(NEXT) | instid1(VALU_DEP_1)
	v_fma_f32 v4, -v0, v3, 1.0
	v_fmac_f32_e32 v3, v4, v3
	s_delay_alu instid0(VALU_DEP_1) | instskip(NEXT) | instid1(VALU_DEP_1)
	v_mul_f32_e32 v4, v5, v3
	v_fma_f32 v6, -v0, v4, v5
	s_delay_alu instid0(VALU_DEP_1) | instskip(NEXT) | instid1(VALU_DEP_1)
	v_fmac_f32_e32 v4, v6, v3
	v_fma_f32 v0, -v0, v4, v5
	s_delay_alu instid0(VALU_DEP_1) | instskip(NEXT) | instid1(VALU_DEP_1)
	v_div_fmas_f32 v0, v0, v3, v4
	v_div_fixup_f32 v0, v0, v1, 1.0
	s_delay_alu instid0(VALU_DEP_1)
	v_mul_f32_e32 v2, v2, v0
	v_xor_b32_e32 v3, 0x80000000, v0
                                        ; implicit-def: $vgpr0_vgpr1
.LBB89_185:
	s_and_not1_saveexec_b32 s1, s1
	s_cbranch_execz .LBB89_187
; %bb.186:
	v_div_scale_f32 v2, null, v0, v0, v1
	v_div_scale_f32 v5, vcc_lo, v1, v0, v1
	s_delay_alu instid0(VALU_DEP_2) | instskip(SKIP_1) | instid1(TRANS32_DEP_1)
	v_rcp_f32_e32 v3, v2
	v_nop
	v_fma_f32 v4, -v2, v3, 1.0
	s_delay_alu instid0(VALU_DEP_1) | instskip(NEXT) | instid1(VALU_DEP_1)
	v_fmac_f32_e32 v3, v4, v3
	v_mul_f32_e32 v4, v5, v3
	s_delay_alu instid0(VALU_DEP_1) | instskip(NEXT) | instid1(VALU_DEP_1)
	v_fma_f32 v6, -v2, v4, v5
	v_fmac_f32_e32 v4, v6, v3
	s_delay_alu instid0(VALU_DEP_1) | instskip(NEXT) | instid1(VALU_DEP_1)
	v_fma_f32 v2, -v2, v4, v5
	v_div_fmas_f32 v2, v2, v3, v4
	s_delay_alu instid0(VALU_DEP_1) | instskip(NEXT) | instid1(VALU_DEP_1)
	v_div_fixup_f32 v3, v2, v0, v1
	v_fmac_f32_e32 v0, v1, v3
	s_delay_alu instid0(VALU_DEP_1) | instskip(NEXT) | instid1(VALU_DEP_1)
	v_div_scale_f32 v1, null, v0, v0, 1.0
	v_rcp_f32_e32 v2, v1
	v_nop
	s_delay_alu instid0(TRANS32_DEP_1) | instskip(NEXT) | instid1(VALU_DEP_1)
	v_fma_f32 v4, -v1, v2, 1.0
	v_fmac_f32_e32 v2, v4, v2
	v_div_scale_f32 v4, vcc_lo, 1.0, v0, 1.0
	s_delay_alu instid0(VALU_DEP_1) | instskip(NEXT) | instid1(VALU_DEP_1)
	v_mul_f32_e32 v5, v4, v2
	v_fma_f32 v6, -v1, v5, v4
	s_delay_alu instid0(VALU_DEP_1) | instskip(NEXT) | instid1(VALU_DEP_1)
	v_fmac_f32_e32 v5, v6, v2
	v_fma_f32 v1, -v1, v5, v4
	s_delay_alu instid0(VALU_DEP_1) | instskip(NEXT) | instid1(VALU_DEP_1)
	v_div_fmas_f32 v1, v1, v2, v5
	v_div_fixup_f32 v2, v1, v0, 1.0
	s_delay_alu instid0(VALU_DEP_1)
	v_mul_f32_e64 v3, v3, -v2
.LBB89_187:
	s_or_b32 exec_lo, exec_lo, s1
	ds_store_b64 v39, v[2:3]
.LBB89_188:
	s_or_b32 exec_lo, exec_lo, s2
	s_wait_dscnt 0x0
	s_barrier_signal -1
	s_barrier_wait -1
	ds_load_b64 v[222:223], v39
	s_mov_b32 s1, exec_lo
	v_cmpx_lt_u32_e32 20, v38
	s_cbranch_execz .LBB89_190
; %bb.189:
	ds_load_2addr_b64 v[4:7], v20 offset0:21 offset1:22
	s_wait_dscnt 0x1
	v_pk_mul_f32 v[2:3], v[222:223], v[88:89] op_sel:[1,1] op_sel_hi:[0,1]
	s_delay_alu instid0(VALU_DEP_1) | instskip(SKIP_1) | instid1(VALU_DEP_1)
	v_pk_fma_f32 v[0:1], v[222:223], v[88:89], v[2:3] op_sel_hi:[1,0,1] neg_lo:[0,0,1] neg_hi:[0,0,1]
	v_pk_fma_f32 v[2:3], v[222:223], v[88:89], v[2:3] op_sel_hi:[1,0,1]
	v_dual_mov_b32 v88, v0 :: v_dual_mov_b32 v89, v3
	s_wait_dscnt 0x0
	s_delay_alu instid0(VALU_DEP_2) | instskip(NEXT) | instid1(VALU_DEP_1)
	v_pk_mul_f32 v[8:9], v[4:5], v[2:3] op_sel:[0,1]
	v_pk_fma_f32 v[10:11], v[4:5], v[0:1], v[8:9] op_sel:[0,0,1] op_sel_hi:[1,1,0] neg_lo:[0,0,1] neg_hi:[0,0,1]
	v_pk_fma_f32 v[4:5], v[4:5], v[0:1], v[8:9] op_sel:[0,0,1] op_sel_hi:[1,0,0]
	s_delay_alu instid0(VALU_DEP_1) | instskip(SKIP_1) | instid1(VALU_DEP_1)
	v_mov_b32_e32 v11, v5
	v_pk_mul_f32 v[4:5], v[6:7], v[2:3] op_sel:[0,1]
	v_pk_fma_f32 v[8:9], v[6:7], v[0:1], v[4:5] op_sel:[0,0,1] op_sel_hi:[1,1,0] neg_lo:[0,0,1] neg_hi:[0,0,1]
	v_pk_fma_f32 v[4:5], v[6:7], v[0:1], v[4:5] op_sel:[0,0,1] op_sel_hi:[1,0,0]
	s_delay_alu instid0(VALU_DEP_1)
	v_mov_b32_e32 v9, v5
	ds_load_2addr_b64 v[4:7], v20 offset0:23 offset1:24
	v_pk_add_f32 v[84:85], v[84:85], v[10:11] neg_lo:[0,1] neg_hi:[0,1]
	v_pk_add_f32 v[86:87], v[86:87], v[8:9] neg_lo:[0,1] neg_hi:[0,1]
	s_wait_dscnt 0x0
	v_pk_mul_f32 v[8:9], v[4:5], v[2:3] op_sel:[0,1]
	s_delay_alu instid0(VALU_DEP_1) | instskip(SKIP_2) | instid1(VALU_DEP_2)
	v_pk_fma_f32 v[10:11], v[4:5], v[0:1], v[8:9] op_sel:[0,0,1] op_sel_hi:[1,1,0] neg_lo:[0,0,1] neg_hi:[0,0,1]
	v_pk_fma_f32 v[4:5], v[4:5], v[0:1], v[8:9] op_sel:[0,0,1] op_sel_hi:[1,0,0]
	v_dual_mul_f32 v8, v7, v3 :: v_dual_mov_b32 v4, v7
	v_dual_mov_b32 v11, v5 :: v_dual_mov_b32 v5, v6
	s_delay_alu instid0(VALU_DEP_2) | instskip(SKIP_1) | instid1(VALU_DEP_3)
	v_pk_fma_f32 v[8:9], v[6:7], v[88:89], v[8:9] op_sel_hi:[1,1,0] neg_lo:[0,0,1] neg_hi:[0,0,1]
	v_mul_f32_e32 v6, v7, v0
	v_pk_add_f32 v[82:83], v[82:83], v[10:11] neg_lo:[0,1] neg_hi:[0,1]
	s_delay_alu instid0(VALU_DEP_2) | instskip(NEXT) | instid1(VALU_DEP_1)
	v_pk_fma_f32 v[4:5], v[4:5], v[88:89], v[6:7] op_sel_hi:[1,1,0]
	v_mov_b32_e32 v9, v5
	ds_load_2addr_b64 v[4:7], v20 offset0:25 offset1:26
	v_pk_add_f32 v[112:113], v[112:113], v[8:9] neg_lo:[0,1] neg_hi:[0,1]
	s_wait_dscnt 0x0
	v_pk_mul_f32 v[8:9], v[4:5], v[2:3] op_sel:[0,1]
	s_delay_alu instid0(VALU_DEP_1) | instskip(SKIP_1) | instid1(VALU_DEP_1)
	v_pk_fma_f32 v[10:11], v[4:5], v[0:1], v[8:9] op_sel:[0,0,1] op_sel_hi:[1,1,0] neg_lo:[0,0,1] neg_hi:[0,0,1]
	v_pk_fma_f32 v[4:5], v[4:5], v[0:1], v[8:9] op_sel:[0,0,1] op_sel_hi:[1,0,0]
	v_mov_b32_e32 v11, v5
	v_pk_mul_f32 v[4:5], v[6:7], v[2:3] op_sel:[0,1]
	s_delay_alu instid0(VALU_DEP_1) | instskip(SKIP_1) | instid1(VALU_DEP_1)
	v_pk_fma_f32 v[8:9], v[6:7], v[0:1], v[4:5] op_sel:[0,0,1] op_sel_hi:[1,1,0] neg_lo:[0,0,1] neg_hi:[0,0,1]
	v_pk_fma_f32 v[4:5], v[6:7], v[0:1], v[4:5] op_sel:[0,0,1] op_sel_hi:[1,0,0]
	v_mov_b32_e32 v9, v5
	ds_load_2addr_b64 v[4:7], v20 offset0:27 offset1:28
	v_pk_add_f32 v[108:109], v[108:109], v[10:11] neg_lo:[0,1] neg_hi:[0,1]
	v_pk_add_f32 v[110:111], v[110:111], v[8:9] neg_lo:[0,1] neg_hi:[0,1]
	s_wait_dscnt 0x0
	v_pk_mul_f32 v[8:9], v[4:5], v[2:3] op_sel:[0,1]
	s_delay_alu instid0(VALU_DEP_1) | instskip(SKIP_1) | instid1(VALU_DEP_1)
	v_pk_fma_f32 v[10:11], v[4:5], v[0:1], v[8:9] op_sel:[0,0,1] op_sel_hi:[1,1,0] neg_lo:[0,0,1] neg_hi:[0,0,1]
	v_pk_fma_f32 v[4:5], v[4:5], v[0:1], v[8:9] op_sel:[0,0,1] op_sel_hi:[1,0,0]
	v_mov_b32_e32 v11, v5
	v_pk_mul_f32 v[4:5], v[6:7], v[2:3] op_sel:[0,1]
	s_delay_alu instid0(VALU_DEP_1) | instskip(SKIP_1) | instid1(VALU_DEP_1)
	v_pk_fma_f32 v[8:9], v[6:7], v[0:1], v[4:5] op_sel:[0,0,1] op_sel_hi:[1,1,0] neg_lo:[0,0,1] neg_hi:[0,0,1]
	v_pk_fma_f32 v[4:5], v[6:7], v[0:1], v[4:5] op_sel:[0,0,1] op_sel_hi:[1,0,0]
	v_mov_b32_e32 v9, v5
	ds_load_2addr_b64 v[4:7], v20 offset0:29 offset1:30
	v_pk_add_f32 v[106:107], v[106:107], v[10:11] neg_lo:[0,1] neg_hi:[0,1]
	v_pk_add_f32 v[128:129], v[128:129], v[8:9] neg_lo:[0,1] neg_hi:[0,1]
	s_wait_dscnt 0x0
	v_dual_mul_f32 v8, v5, v3 :: v_dual_mul_f32 v10, v5, v0
	s_delay_alu instid0(VALU_DEP_1) | instskip(NEXT) | instid1(VALU_DEP_2)
	v_pk_fma_f32 v[8:9], v[4:5], v[88:89], v[8:9] op_sel_hi:[1,1,0] neg_lo:[0,0,1] neg_hi:[0,0,1]
	v_pk_fma_f32 v[4:5], v[4:5], v[88:89], v[10:11] op_sel:[1,0,0] op_sel_hi:[0,1,0]
	s_delay_alu instid0(VALU_DEP_1) | instskip(SKIP_1) | instid1(VALU_DEP_2)
	v_mov_b32_e32 v9, v5
	v_pk_mul_f32 v[4:5], v[6:7], v[2:3] op_sel:[0,1]
	v_pk_add_f32 v[124:125], v[124:125], v[8:9] neg_lo:[0,1] neg_hi:[0,1]
	s_delay_alu instid0(VALU_DEP_2) | instskip(SKIP_1) | instid1(VALU_DEP_1)
	v_pk_fma_f32 v[8:9], v[6:7], v[0:1], v[4:5] op_sel:[0,0,1] op_sel_hi:[1,1,0] neg_lo:[0,0,1] neg_hi:[0,0,1]
	v_pk_fma_f32 v[4:5], v[6:7], v[0:1], v[4:5] op_sel:[0,0,1] op_sel_hi:[1,0,0]
	v_mov_b32_e32 v9, v5
	ds_load_2addr_b64 v[4:7], v20 offset0:31 offset1:32
	v_pk_add_f32 v[126:127], v[126:127], v[8:9] neg_lo:[0,1] neg_hi:[0,1]
	s_wait_dscnt 0x0
	v_pk_mul_f32 v[8:9], v[4:5], v[2:3] op_sel:[0,1]
	s_delay_alu instid0(VALU_DEP_1) | instskip(SKIP_1) | instid1(VALU_DEP_1)
	v_pk_fma_f32 v[10:11], v[4:5], v[0:1], v[8:9] op_sel:[0,0,1] op_sel_hi:[1,1,0] neg_lo:[0,0,1] neg_hi:[0,0,1]
	v_pk_fma_f32 v[4:5], v[4:5], v[0:1], v[8:9] op_sel:[0,0,1] op_sel_hi:[1,0,0]
	v_mov_b32_e32 v11, v5
	v_pk_mul_f32 v[4:5], v[6:7], v[2:3] op_sel:[0,1]
	s_delay_alu instid0(VALU_DEP_2) | instskip(NEXT) | instid1(VALU_DEP_2)
	v_pk_add_f32 v[122:123], v[122:123], v[10:11] neg_lo:[0,1] neg_hi:[0,1]
	v_pk_fma_f32 v[8:9], v[6:7], v[0:1], v[4:5] op_sel:[0,0,1] op_sel_hi:[1,1,0] neg_lo:[0,0,1] neg_hi:[0,0,1]
	v_pk_fma_f32 v[4:5], v[6:7], v[0:1], v[4:5] op_sel:[0,0,1] op_sel_hi:[1,0,0]
	s_delay_alu instid0(VALU_DEP_1) | instskip(SKIP_4) | instid1(VALU_DEP_1)
	v_mov_b32_e32 v9, v5
	ds_load_2addr_b64 v[4:7], v20 offset0:33 offset1:34
	v_pk_add_f32 v[150:151], v[150:151], v[8:9] neg_lo:[0,1] neg_hi:[0,1]
	s_wait_dscnt 0x0
	v_pk_mul_f32 v[8:9], v[4:5], v[2:3] op_sel:[0,1]
	v_pk_fma_f32 v[10:11], v[4:5], v[0:1], v[8:9] op_sel:[0,0,1] op_sel_hi:[1,1,0] neg_lo:[0,0,1] neg_hi:[0,0,1]
	v_pk_fma_f32 v[4:5], v[4:5], v[0:1], v[8:9] op_sel:[0,0,1] op_sel_hi:[1,0,0]
	v_dual_mul_f32 v8, v7, v3 :: v_dual_mov_b32 v4, v7
	s_delay_alu instid0(VALU_DEP_2) | instskip(NEXT) | instid1(VALU_DEP_2)
	v_dual_mov_b32 v11, v5 :: v_dual_mov_b32 v5, v6
	v_pk_fma_f32 v[8:9], v[6:7], v[88:89], v[8:9] op_sel_hi:[1,1,0] neg_lo:[0,0,1] neg_hi:[0,0,1]
	v_mul_f32_e32 v6, v7, v0
	s_delay_alu instid0(VALU_DEP_3) | instskip(NEXT) | instid1(VALU_DEP_2)
	v_pk_add_f32 v[146:147], v[146:147], v[10:11] neg_lo:[0,1] neg_hi:[0,1]
	v_pk_fma_f32 v[4:5], v[4:5], v[88:89], v[6:7] op_sel_hi:[1,1,0]
	s_delay_alu instid0(VALU_DEP_1) | instskip(SKIP_4) | instid1(VALU_DEP_1)
	v_mov_b32_e32 v9, v5
	ds_load_2addr_b64 v[4:7], v20 offset0:35 offset1:36
	v_pk_add_f32 v[148:149], v[148:149], v[8:9] neg_lo:[0,1] neg_hi:[0,1]
	s_wait_dscnt 0x0
	v_pk_mul_f32 v[8:9], v[4:5], v[2:3] op_sel:[0,1]
	v_pk_fma_f32 v[10:11], v[4:5], v[0:1], v[8:9] op_sel:[0,0,1] op_sel_hi:[1,1,0] neg_lo:[0,0,1] neg_hi:[0,0,1]
	v_pk_fma_f32 v[4:5], v[4:5], v[0:1], v[8:9] op_sel:[0,0,1] op_sel_hi:[1,0,0]
	s_delay_alu instid0(VALU_DEP_1) | instskip(SKIP_1) | instid1(VALU_DEP_1)
	v_mov_b32_e32 v11, v5
	v_pk_mul_f32 v[4:5], v[6:7], v[2:3] op_sel:[0,1]
	v_pk_fma_f32 v[8:9], v[6:7], v[0:1], v[4:5] op_sel:[0,0,1] op_sel_hi:[1,1,0] neg_lo:[0,0,1] neg_hi:[0,0,1]
	v_pk_fma_f32 v[4:5], v[6:7], v[0:1], v[4:5] op_sel:[0,0,1] op_sel_hi:[1,0,0]
	s_delay_alu instid0(VALU_DEP_1)
	v_mov_b32_e32 v9, v5
	ds_load_2addr_b64 v[4:7], v20 offset0:37 offset1:38
	v_pk_add_f32 v[144:145], v[144:145], v[10:11] neg_lo:[0,1] neg_hi:[0,1]
	v_pk_add_f32 v[174:175], v[174:175], v[8:9] neg_lo:[0,1] neg_hi:[0,1]
	s_wait_dscnt 0x0
	v_pk_mul_f32 v[8:9], v[4:5], v[2:3] op_sel:[0,1]
	s_delay_alu instid0(VALU_DEP_1) | instskip(SKIP_1) | instid1(VALU_DEP_1)
	v_pk_fma_f32 v[10:11], v[4:5], v[0:1], v[8:9] op_sel:[0,0,1] op_sel_hi:[1,1,0] neg_lo:[0,0,1] neg_hi:[0,0,1]
	v_pk_fma_f32 v[4:5], v[4:5], v[0:1], v[8:9] op_sel:[0,0,1] op_sel_hi:[1,0,0]
	v_mov_b32_e32 v11, v5
	v_pk_mul_f32 v[4:5], v[6:7], v[2:3] op_sel:[0,1]
	s_delay_alu instid0(VALU_DEP_1) | instskip(SKIP_1) | instid1(VALU_DEP_1)
	v_pk_fma_f32 v[8:9], v[6:7], v[0:1], v[4:5] op_sel:[0,0,1] op_sel_hi:[1,1,0] neg_lo:[0,0,1] neg_hi:[0,0,1]
	v_pk_fma_f32 v[4:5], v[6:7], v[0:1], v[4:5] op_sel:[0,0,1] op_sel_hi:[1,0,0]
	v_mov_b32_e32 v9, v5
	ds_load_2addr_b64 v[4:7], v20 offset0:39 offset1:40
	v_pk_add_f32 v[166:167], v[166:167], v[10:11] neg_lo:[0,1] neg_hi:[0,1]
	v_pk_add_f32 v[172:173], v[172:173], v[8:9] neg_lo:[0,1] neg_hi:[0,1]
	s_wait_dscnt 0x0
	v_dual_mul_f32 v8, v5, v3 :: v_dual_mul_f32 v10, v5, v0
	s_delay_alu instid0(VALU_DEP_1) | instskip(NEXT) | instid1(VALU_DEP_2)
	v_pk_fma_f32 v[8:9], v[4:5], v[88:89], v[8:9] op_sel_hi:[1,1,0] neg_lo:[0,0,1] neg_hi:[0,0,1]
	v_pk_fma_f32 v[4:5], v[4:5], v[88:89], v[10:11] op_sel:[1,0,0] op_sel_hi:[0,1,0]
	s_delay_alu instid0(VALU_DEP_1) | instskip(SKIP_1) | instid1(VALU_DEP_2)
	v_mov_b32_e32 v9, v5
	v_pk_mul_f32 v[4:5], v[6:7], v[2:3] op_sel:[0,1]
	v_pk_add_f32 v[164:165], v[164:165], v[8:9] neg_lo:[0,1] neg_hi:[0,1]
	s_delay_alu instid0(VALU_DEP_2) | instskip(SKIP_1) | instid1(VALU_DEP_1)
	v_pk_fma_f32 v[8:9], v[6:7], v[0:1], v[4:5] op_sel:[0,0,1] op_sel_hi:[1,1,0] neg_lo:[0,0,1] neg_hi:[0,0,1]
	v_pk_fma_f32 v[4:5], v[6:7], v[0:1], v[4:5] op_sel:[0,0,1] op_sel_hi:[1,0,0]
	v_mov_b32_e32 v9, v5
	ds_load_2addr_b64 v[4:7], v20 offset0:41 offset1:42
	v_pk_add_f32 v[170:171], v[170:171], v[8:9] neg_lo:[0,1] neg_hi:[0,1]
	s_wait_dscnt 0x0
	v_pk_mul_f32 v[8:9], v[4:5], v[2:3] op_sel:[0,1]
	s_delay_alu instid0(VALU_DEP_1) | instskip(SKIP_1) | instid1(VALU_DEP_1)
	v_pk_fma_f32 v[10:11], v[4:5], v[0:1], v[8:9] op_sel:[0,0,1] op_sel_hi:[1,1,0] neg_lo:[0,0,1] neg_hi:[0,0,1]
	v_pk_fma_f32 v[4:5], v[4:5], v[0:1], v[8:9] op_sel:[0,0,1] op_sel_hi:[1,0,0]
	v_mov_b32_e32 v11, v5
	v_pk_mul_f32 v[4:5], v[6:7], v[2:3] op_sel:[0,1]
	s_delay_alu instid0(VALU_DEP_2) | instskip(NEXT) | instid1(VALU_DEP_2)
	v_pk_add_f32 v[162:163], v[162:163], v[10:11] neg_lo:[0,1] neg_hi:[0,1]
	v_pk_fma_f32 v[8:9], v[6:7], v[0:1], v[4:5] op_sel:[0,0,1] op_sel_hi:[1,1,0] neg_lo:[0,0,1] neg_hi:[0,0,1]
	v_pk_fma_f32 v[4:5], v[6:7], v[0:1], v[4:5] op_sel:[0,0,1] op_sel_hi:[1,0,0]
	s_delay_alu instid0(VALU_DEP_1)
	v_mov_b32_e32 v9, v5
	ds_load_2addr_b64 v[4:7], v20 offset0:43 offset1:44
	v_pk_add_f32 v[168:169], v[168:169], v[8:9] neg_lo:[0,1] neg_hi:[0,1]
	s_wait_dscnt 0x0
	v_pk_mul_f32 v[8:9], v[4:5], v[2:3] op_sel:[0,1]
	v_mul_f32_e32 v2, v7, v3
	s_delay_alu instid0(VALU_DEP_2) | instskip(SKIP_2) | instid1(VALU_DEP_4)
	v_pk_fma_f32 v[10:11], v[4:5], v[0:1], v[8:9] op_sel:[0,0,1] op_sel_hi:[1,1,0] neg_lo:[0,0,1] neg_hi:[0,0,1]
	v_pk_fma_f32 v[4:5], v[4:5], v[0:1], v[8:9] op_sel:[0,0,1] op_sel_hi:[1,0,0]
	v_dual_mov_b32 v4, v7 :: v_dual_mul_f32 v0, v7, v0
	v_pk_fma_f32 v[2:3], v[6:7], v[88:89], v[2:3] op_sel_hi:[1,1,0] neg_lo:[0,0,1] neg_hi:[0,0,1]
	s_delay_alu instid0(VALU_DEP_3) | instskip(NEXT) | instid1(VALU_DEP_1)
	v_dual_mov_b32 v11, v5 :: v_dual_mov_b32 v5, v6
	v_pk_add_f32 v[176:177], v[176:177], v[10:11] neg_lo:[0,1] neg_hi:[0,1]
	s_delay_alu instid0(VALU_DEP_2) | instskip(NEXT) | instid1(VALU_DEP_1)
	v_pk_fma_f32 v[0:1], v[4:5], v[88:89], v[0:1] op_sel_hi:[1,1,0]
	v_mov_b32_e32 v3, v1
	s_delay_alu instid0(VALU_DEP_1)
	v_pk_add_f32 v[180:181], v[180:181], v[2:3] neg_lo:[0,1] neg_hi:[0,1]
.LBB89_190:
	s_or_b32 exec_lo, exec_lo, s1
	s_delay_alu instid0(SALU_CYCLE_1)
	s_mov_b32 s2, exec_lo
	s_wait_dscnt 0x0
	s_barrier_signal -1
	s_barrier_wait -1
	v_cmpx_eq_u32_e32 21, v38
	s_cbranch_execz .LBB89_197
; %bb.191:
	v_dual_mov_b32 v0, v86 :: v_dual_mov_b32 v1, v87
	v_dual_mov_b32 v2, v82 :: v_dual_mov_b32 v3, v83
	;; [unrolled: 1-line block ×10, first 2 shown]
	ds_store_b64 v39, v[84:85]
	v_dual_mov_b32 v224, v150 :: v_dual_mov_b32 v225, v151
	v_dual_mov_b32 v226, v146 :: v_dual_mov_b32 v227, v147
	ds_store_2addr_b64 v20, v[0:1], v[2:3] offset0:22 offset1:23
	ds_store_2addr_b64 v20, v[4:5], v[6:7] offset0:24 offset1:25
	;; [unrolled: 1-line block ×6, first 2 shown]
	v_dual_mov_b32 v0, v148 :: v_dual_mov_b32 v1, v149
	v_dual_mov_b32 v2, v144 :: v_dual_mov_b32 v3, v145
	;; [unrolled: 1-line block ×10, first 2 shown]
	ds_store_2addr_b64 v20, v[0:1], v[2:3] offset0:34 offset1:35
	ds_store_2addr_b64 v20, v[4:5], v[6:7] offset0:36 offset1:37
	;; [unrolled: 1-line block ×5, first 2 shown]
	ds_store_b64 v20, v[180:181] offset:352
	ds_load_b64 v[0:1], v39
	s_wait_dscnt 0x0
	v_cmp_neq_f32_e32 vcc_lo, 0, v0
	v_cmp_neq_f32_e64 s1, 0, v1
	s_or_b32 s1, vcc_lo, s1
	s_delay_alu instid0(SALU_CYCLE_1)
	s_and_b32 exec_lo, exec_lo, s1
	s_cbranch_execz .LBB89_197
; %bb.192:
	v_cmp_ngt_f32_e64 s1, |v0|, |v1|
                                        ; implicit-def: $vgpr2_vgpr3
	s_and_saveexec_b32 s4, s1
	s_delay_alu instid0(SALU_CYCLE_1)
	s_xor_b32 s1, exec_lo, s4
	s_cbranch_execz .LBB89_194
; %bb.193:
	v_div_scale_f32 v2, null, v1, v1, v0
	v_div_scale_f32 v5, vcc_lo, v0, v1, v0
	s_delay_alu instid0(VALU_DEP_2) | instskip(SKIP_1) | instid1(TRANS32_DEP_1)
	v_rcp_f32_e32 v3, v2
	v_nop
	v_fma_f32 v4, -v2, v3, 1.0
	s_delay_alu instid0(VALU_DEP_1) | instskip(NEXT) | instid1(VALU_DEP_1)
	v_fmac_f32_e32 v3, v4, v3
	v_mul_f32_e32 v4, v5, v3
	s_delay_alu instid0(VALU_DEP_1) | instskip(NEXT) | instid1(VALU_DEP_1)
	v_fma_f32 v6, -v2, v4, v5
	v_fmac_f32_e32 v4, v6, v3
	s_delay_alu instid0(VALU_DEP_1) | instskip(NEXT) | instid1(VALU_DEP_1)
	v_fma_f32 v2, -v2, v4, v5
	v_div_fmas_f32 v2, v2, v3, v4
	s_delay_alu instid0(VALU_DEP_1) | instskip(NEXT) | instid1(VALU_DEP_1)
	v_div_fixup_f32 v2, v2, v1, v0
	v_fmac_f32_e32 v1, v0, v2
	s_delay_alu instid0(VALU_DEP_1) | instskip(SKIP_1) | instid1(VALU_DEP_2)
	v_div_scale_f32 v0, null, v1, v1, 1.0
	v_div_scale_f32 v5, vcc_lo, 1.0, v1, 1.0
	v_rcp_f32_e32 v3, v0
	v_nop
	s_delay_alu instid0(TRANS32_DEP_1) | instskip(NEXT) | instid1(VALU_DEP_1)
	v_fma_f32 v4, -v0, v3, 1.0
	v_fmac_f32_e32 v3, v4, v3
	s_delay_alu instid0(VALU_DEP_1) | instskip(NEXT) | instid1(VALU_DEP_1)
	v_mul_f32_e32 v4, v5, v3
	v_fma_f32 v6, -v0, v4, v5
	s_delay_alu instid0(VALU_DEP_1) | instskip(NEXT) | instid1(VALU_DEP_1)
	v_fmac_f32_e32 v4, v6, v3
	v_fma_f32 v0, -v0, v4, v5
	s_delay_alu instid0(VALU_DEP_1) | instskip(NEXT) | instid1(VALU_DEP_1)
	v_div_fmas_f32 v0, v0, v3, v4
	v_div_fixup_f32 v0, v0, v1, 1.0
	s_delay_alu instid0(VALU_DEP_1)
	v_mul_f32_e32 v2, v2, v0
	v_xor_b32_e32 v3, 0x80000000, v0
                                        ; implicit-def: $vgpr0_vgpr1
.LBB89_194:
	s_and_not1_saveexec_b32 s1, s1
	s_cbranch_execz .LBB89_196
; %bb.195:
	v_div_scale_f32 v2, null, v0, v0, v1
	v_div_scale_f32 v5, vcc_lo, v1, v0, v1
	s_delay_alu instid0(VALU_DEP_2) | instskip(SKIP_1) | instid1(TRANS32_DEP_1)
	v_rcp_f32_e32 v3, v2
	v_nop
	v_fma_f32 v4, -v2, v3, 1.0
	s_delay_alu instid0(VALU_DEP_1) | instskip(NEXT) | instid1(VALU_DEP_1)
	v_fmac_f32_e32 v3, v4, v3
	v_mul_f32_e32 v4, v5, v3
	s_delay_alu instid0(VALU_DEP_1) | instskip(NEXT) | instid1(VALU_DEP_1)
	v_fma_f32 v6, -v2, v4, v5
	v_fmac_f32_e32 v4, v6, v3
	s_delay_alu instid0(VALU_DEP_1) | instskip(NEXT) | instid1(VALU_DEP_1)
	v_fma_f32 v2, -v2, v4, v5
	v_div_fmas_f32 v2, v2, v3, v4
	s_delay_alu instid0(VALU_DEP_1) | instskip(NEXT) | instid1(VALU_DEP_1)
	v_div_fixup_f32 v3, v2, v0, v1
	v_fmac_f32_e32 v0, v1, v3
	s_delay_alu instid0(VALU_DEP_1) | instskip(NEXT) | instid1(VALU_DEP_1)
	v_div_scale_f32 v1, null, v0, v0, 1.0
	v_rcp_f32_e32 v2, v1
	v_nop
	s_delay_alu instid0(TRANS32_DEP_1) | instskip(NEXT) | instid1(VALU_DEP_1)
	v_fma_f32 v4, -v1, v2, 1.0
	v_fmac_f32_e32 v2, v4, v2
	v_div_scale_f32 v4, vcc_lo, 1.0, v0, 1.0
	s_delay_alu instid0(VALU_DEP_1) | instskip(NEXT) | instid1(VALU_DEP_1)
	v_mul_f32_e32 v5, v4, v2
	v_fma_f32 v6, -v1, v5, v4
	s_delay_alu instid0(VALU_DEP_1) | instskip(NEXT) | instid1(VALU_DEP_1)
	v_fmac_f32_e32 v5, v6, v2
	v_fma_f32 v1, -v1, v5, v4
	s_delay_alu instid0(VALU_DEP_1) | instskip(NEXT) | instid1(VALU_DEP_1)
	v_div_fmas_f32 v1, v1, v2, v5
	v_div_fixup_f32 v2, v1, v0, 1.0
	s_delay_alu instid0(VALU_DEP_1)
	v_mul_f32_e64 v3, v3, -v2
.LBB89_196:
	s_or_b32 exec_lo, exec_lo, s1
	ds_store_b64 v39, v[2:3]
.LBB89_197:
	s_or_b32 exec_lo, exec_lo, s2
	s_wait_dscnt 0x0
	s_barrier_signal -1
	s_barrier_wait -1
	ds_load_b64 v[224:225], v39
	s_mov_b32 s1, exec_lo
	v_cmpx_lt_u32_e32 21, v38
	s_cbranch_execz .LBB89_199
; %bb.198:
	ds_load_2addr_b64 v[4:7], v20 offset0:22 offset1:23
	s_wait_dscnt 0x1
	v_pk_mul_f32 v[2:3], v[224:225], v[84:85] op_sel:[1,1] op_sel_hi:[0,1]
	s_delay_alu instid0(VALU_DEP_1) | instskip(SKIP_1) | instid1(VALU_DEP_1)
	v_pk_fma_f32 v[0:1], v[224:225], v[84:85], v[2:3] op_sel_hi:[1,0,1] neg_lo:[0,0,1] neg_hi:[0,0,1]
	v_pk_fma_f32 v[2:3], v[224:225], v[84:85], v[2:3] op_sel_hi:[1,0,1]
	v_dual_mov_b32 v84, v0 :: v_dual_mov_b32 v85, v3
	s_wait_dscnt 0x0
	s_delay_alu instid0(VALU_DEP_2) | instskip(NEXT) | instid1(VALU_DEP_1)
	v_pk_mul_f32 v[8:9], v[4:5], v[2:3] op_sel:[0,1]
	v_pk_fma_f32 v[10:11], v[4:5], v[0:1], v[8:9] op_sel:[0,0,1] op_sel_hi:[1,1,0] neg_lo:[0,0,1] neg_hi:[0,0,1]
	v_pk_fma_f32 v[4:5], v[4:5], v[0:1], v[8:9] op_sel:[0,0,1] op_sel_hi:[1,0,0]
	s_delay_alu instid0(VALU_DEP_1) | instskip(SKIP_1) | instid1(VALU_DEP_1)
	v_mov_b32_e32 v11, v5
	v_pk_mul_f32 v[4:5], v[6:7], v[2:3] op_sel:[0,1]
	v_pk_fma_f32 v[8:9], v[6:7], v[0:1], v[4:5] op_sel:[0,0,1] op_sel_hi:[1,1,0] neg_lo:[0,0,1] neg_hi:[0,0,1]
	v_pk_fma_f32 v[4:5], v[6:7], v[0:1], v[4:5] op_sel:[0,0,1] op_sel_hi:[1,0,0]
	s_delay_alu instid0(VALU_DEP_1)
	v_mov_b32_e32 v9, v5
	ds_load_2addr_b64 v[4:7], v20 offset0:24 offset1:25
	v_pk_add_f32 v[86:87], v[86:87], v[10:11] neg_lo:[0,1] neg_hi:[0,1]
	v_pk_add_f32 v[82:83], v[82:83], v[8:9] neg_lo:[0,1] neg_hi:[0,1]
	s_wait_dscnt 0x0
	v_pk_mul_f32 v[8:9], v[4:5], v[2:3] op_sel:[0,1]
	s_delay_alu instid0(VALU_DEP_1) | instskip(SKIP_2) | instid1(VALU_DEP_2)
	v_pk_fma_f32 v[10:11], v[4:5], v[0:1], v[8:9] op_sel:[0,0,1] op_sel_hi:[1,1,0] neg_lo:[0,0,1] neg_hi:[0,0,1]
	v_pk_fma_f32 v[4:5], v[4:5], v[0:1], v[8:9] op_sel:[0,0,1] op_sel_hi:[1,0,0]
	v_dual_mul_f32 v8, v7, v3 :: v_dual_mov_b32 v4, v7
	v_dual_mov_b32 v11, v5 :: v_dual_mov_b32 v5, v6
	s_delay_alu instid0(VALU_DEP_2) | instskip(SKIP_1) | instid1(VALU_DEP_3)
	v_pk_fma_f32 v[8:9], v[6:7], v[84:85], v[8:9] op_sel_hi:[1,1,0] neg_lo:[0,0,1] neg_hi:[0,0,1]
	v_mul_f32_e32 v6, v7, v0
	v_pk_add_f32 v[112:113], v[112:113], v[10:11] neg_lo:[0,1] neg_hi:[0,1]
	s_delay_alu instid0(VALU_DEP_2) | instskip(NEXT) | instid1(VALU_DEP_1)
	v_pk_fma_f32 v[4:5], v[4:5], v[84:85], v[6:7] op_sel_hi:[1,1,0]
	v_mov_b32_e32 v9, v5
	ds_load_2addr_b64 v[4:7], v20 offset0:26 offset1:27
	v_pk_add_f32 v[108:109], v[108:109], v[8:9] neg_lo:[0,1] neg_hi:[0,1]
	s_wait_dscnt 0x0
	v_pk_mul_f32 v[8:9], v[4:5], v[2:3] op_sel:[0,1]
	s_delay_alu instid0(VALU_DEP_1) | instskip(SKIP_1) | instid1(VALU_DEP_1)
	v_pk_fma_f32 v[10:11], v[4:5], v[0:1], v[8:9] op_sel:[0,0,1] op_sel_hi:[1,1,0] neg_lo:[0,0,1] neg_hi:[0,0,1]
	v_pk_fma_f32 v[4:5], v[4:5], v[0:1], v[8:9] op_sel:[0,0,1] op_sel_hi:[1,0,0]
	v_mov_b32_e32 v11, v5
	v_pk_mul_f32 v[4:5], v[6:7], v[2:3] op_sel:[0,1]
	s_delay_alu instid0(VALU_DEP_1) | instskip(SKIP_1) | instid1(VALU_DEP_1)
	v_pk_fma_f32 v[8:9], v[6:7], v[0:1], v[4:5] op_sel:[0,0,1] op_sel_hi:[1,1,0] neg_lo:[0,0,1] neg_hi:[0,0,1]
	v_pk_fma_f32 v[4:5], v[6:7], v[0:1], v[4:5] op_sel:[0,0,1] op_sel_hi:[1,0,0]
	v_mov_b32_e32 v9, v5
	ds_load_2addr_b64 v[4:7], v20 offset0:28 offset1:29
	v_pk_add_f32 v[110:111], v[110:111], v[10:11] neg_lo:[0,1] neg_hi:[0,1]
	v_pk_add_f32 v[106:107], v[106:107], v[8:9] neg_lo:[0,1] neg_hi:[0,1]
	s_wait_dscnt 0x0
	v_pk_mul_f32 v[8:9], v[4:5], v[2:3] op_sel:[0,1]
	s_delay_alu instid0(VALU_DEP_1) | instskip(SKIP_1) | instid1(VALU_DEP_1)
	v_pk_fma_f32 v[10:11], v[4:5], v[0:1], v[8:9] op_sel:[0,0,1] op_sel_hi:[1,1,0] neg_lo:[0,0,1] neg_hi:[0,0,1]
	v_pk_fma_f32 v[4:5], v[4:5], v[0:1], v[8:9] op_sel:[0,0,1] op_sel_hi:[1,0,0]
	v_mov_b32_e32 v11, v5
	v_pk_mul_f32 v[4:5], v[6:7], v[2:3] op_sel:[0,1]
	s_delay_alu instid0(VALU_DEP_1) | instskip(SKIP_1) | instid1(VALU_DEP_1)
	v_pk_fma_f32 v[8:9], v[6:7], v[0:1], v[4:5] op_sel:[0,0,1] op_sel_hi:[1,1,0] neg_lo:[0,0,1] neg_hi:[0,0,1]
	v_pk_fma_f32 v[4:5], v[6:7], v[0:1], v[4:5] op_sel:[0,0,1] op_sel_hi:[1,0,0]
	v_mov_b32_e32 v9, v5
	ds_load_2addr_b64 v[4:7], v20 offset0:30 offset1:31
	v_pk_add_f32 v[128:129], v[128:129], v[10:11] neg_lo:[0,1] neg_hi:[0,1]
	v_pk_add_f32 v[124:125], v[124:125], v[8:9] neg_lo:[0,1] neg_hi:[0,1]
	s_wait_dscnt 0x0
	v_dual_mul_f32 v8, v5, v3 :: v_dual_mul_f32 v10, v5, v0
	s_delay_alu instid0(VALU_DEP_1) | instskip(NEXT) | instid1(VALU_DEP_2)
	v_pk_fma_f32 v[8:9], v[4:5], v[84:85], v[8:9] op_sel_hi:[1,1,0] neg_lo:[0,0,1] neg_hi:[0,0,1]
	v_pk_fma_f32 v[4:5], v[4:5], v[84:85], v[10:11] op_sel:[1,0,0] op_sel_hi:[0,1,0]
	s_delay_alu instid0(VALU_DEP_1) | instskip(SKIP_1) | instid1(VALU_DEP_2)
	v_mov_b32_e32 v9, v5
	v_pk_mul_f32 v[4:5], v[6:7], v[2:3] op_sel:[0,1]
	v_pk_add_f32 v[126:127], v[126:127], v[8:9] neg_lo:[0,1] neg_hi:[0,1]
	s_delay_alu instid0(VALU_DEP_2) | instskip(SKIP_1) | instid1(VALU_DEP_1)
	v_pk_fma_f32 v[8:9], v[6:7], v[0:1], v[4:5] op_sel:[0,0,1] op_sel_hi:[1,1,0] neg_lo:[0,0,1] neg_hi:[0,0,1]
	v_pk_fma_f32 v[4:5], v[6:7], v[0:1], v[4:5] op_sel:[0,0,1] op_sel_hi:[1,0,0]
	v_mov_b32_e32 v9, v5
	ds_load_2addr_b64 v[4:7], v20 offset0:32 offset1:33
	v_pk_add_f32 v[122:123], v[122:123], v[8:9] neg_lo:[0,1] neg_hi:[0,1]
	s_wait_dscnt 0x0
	v_pk_mul_f32 v[8:9], v[4:5], v[2:3] op_sel:[0,1]
	s_delay_alu instid0(VALU_DEP_1) | instskip(SKIP_1) | instid1(VALU_DEP_1)
	v_pk_fma_f32 v[10:11], v[4:5], v[0:1], v[8:9] op_sel:[0,0,1] op_sel_hi:[1,1,0] neg_lo:[0,0,1] neg_hi:[0,0,1]
	v_pk_fma_f32 v[4:5], v[4:5], v[0:1], v[8:9] op_sel:[0,0,1] op_sel_hi:[1,0,0]
	v_mov_b32_e32 v11, v5
	v_pk_mul_f32 v[4:5], v[6:7], v[2:3] op_sel:[0,1]
	s_delay_alu instid0(VALU_DEP_2) | instskip(NEXT) | instid1(VALU_DEP_2)
	v_pk_add_f32 v[150:151], v[150:151], v[10:11] neg_lo:[0,1] neg_hi:[0,1]
	v_pk_fma_f32 v[8:9], v[6:7], v[0:1], v[4:5] op_sel:[0,0,1] op_sel_hi:[1,1,0] neg_lo:[0,0,1] neg_hi:[0,0,1]
	v_pk_fma_f32 v[4:5], v[6:7], v[0:1], v[4:5] op_sel:[0,0,1] op_sel_hi:[1,0,0]
	s_delay_alu instid0(VALU_DEP_1) | instskip(SKIP_4) | instid1(VALU_DEP_1)
	v_mov_b32_e32 v9, v5
	ds_load_2addr_b64 v[4:7], v20 offset0:34 offset1:35
	v_pk_add_f32 v[146:147], v[146:147], v[8:9] neg_lo:[0,1] neg_hi:[0,1]
	s_wait_dscnt 0x0
	v_pk_mul_f32 v[8:9], v[4:5], v[2:3] op_sel:[0,1]
	v_pk_fma_f32 v[10:11], v[4:5], v[0:1], v[8:9] op_sel:[0,0,1] op_sel_hi:[1,1,0] neg_lo:[0,0,1] neg_hi:[0,0,1]
	v_pk_fma_f32 v[4:5], v[4:5], v[0:1], v[8:9] op_sel:[0,0,1] op_sel_hi:[1,0,0]
	v_dual_mul_f32 v8, v7, v3 :: v_dual_mov_b32 v4, v7
	s_delay_alu instid0(VALU_DEP_2) | instskip(NEXT) | instid1(VALU_DEP_2)
	v_dual_mov_b32 v11, v5 :: v_dual_mov_b32 v5, v6
	v_pk_fma_f32 v[8:9], v[6:7], v[84:85], v[8:9] op_sel_hi:[1,1,0] neg_lo:[0,0,1] neg_hi:[0,0,1]
	v_mul_f32_e32 v6, v7, v0
	s_delay_alu instid0(VALU_DEP_3) | instskip(NEXT) | instid1(VALU_DEP_2)
	v_pk_add_f32 v[148:149], v[148:149], v[10:11] neg_lo:[0,1] neg_hi:[0,1]
	v_pk_fma_f32 v[4:5], v[4:5], v[84:85], v[6:7] op_sel_hi:[1,1,0]
	s_delay_alu instid0(VALU_DEP_1) | instskip(SKIP_4) | instid1(VALU_DEP_1)
	v_mov_b32_e32 v9, v5
	ds_load_2addr_b64 v[4:7], v20 offset0:36 offset1:37
	v_pk_add_f32 v[144:145], v[144:145], v[8:9] neg_lo:[0,1] neg_hi:[0,1]
	s_wait_dscnt 0x0
	v_pk_mul_f32 v[8:9], v[4:5], v[2:3] op_sel:[0,1]
	v_pk_fma_f32 v[10:11], v[4:5], v[0:1], v[8:9] op_sel:[0,0,1] op_sel_hi:[1,1,0] neg_lo:[0,0,1] neg_hi:[0,0,1]
	v_pk_fma_f32 v[4:5], v[4:5], v[0:1], v[8:9] op_sel:[0,0,1] op_sel_hi:[1,0,0]
	s_delay_alu instid0(VALU_DEP_1) | instskip(SKIP_1) | instid1(VALU_DEP_1)
	v_mov_b32_e32 v11, v5
	v_pk_mul_f32 v[4:5], v[6:7], v[2:3] op_sel:[0,1]
	v_pk_fma_f32 v[8:9], v[6:7], v[0:1], v[4:5] op_sel:[0,0,1] op_sel_hi:[1,1,0] neg_lo:[0,0,1] neg_hi:[0,0,1]
	v_pk_fma_f32 v[4:5], v[6:7], v[0:1], v[4:5] op_sel:[0,0,1] op_sel_hi:[1,0,0]
	s_delay_alu instid0(VALU_DEP_1)
	v_mov_b32_e32 v9, v5
	ds_load_2addr_b64 v[4:7], v20 offset0:38 offset1:39
	v_pk_add_f32 v[174:175], v[174:175], v[10:11] neg_lo:[0,1] neg_hi:[0,1]
	v_pk_add_f32 v[166:167], v[166:167], v[8:9] neg_lo:[0,1] neg_hi:[0,1]
	s_wait_dscnt 0x0
	v_pk_mul_f32 v[8:9], v[4:5], v[2:3] op_sel:[0,1]
	s_delay_alu instid0(VALU_DEP_1) | instskip(SKIP_1) | instid1(VALU_DEP_1)
	v_pk_fma_f32 v[10:11], v[4:5], v[0:1], v[8:9] op_sel:[0,0,1] op_sel_hi:[1,1,0] neg_lo:[0,0,1] neg_hi:[0,0,1]
	v_pk_fma_f32 v[4:5], v[4:5], v[0:1], v[8:9] op_sel:[0,0,1] op_sel_hi:[1,0,0]
	v_mov_b32_e32 v11, v5
	v_pk_mul_f32 v[4:5], v[6:7], v[2:3] op_sel:[0,1]
	s_delay_alu instid0(VALU_DEP_1) | instskip(SKIP_1) | instid1(VALU_DEP_1)
	v_pk_fma_f32 v[8:9], v[6:7], v[0:1], v[4:5] op_sel:[0,0,1] op_sel_hi:[1,1,0] neg_lo:[0,0,1] neg_hi:[0,0,1]
	v_pk_fma_f32 v[4:5], v[6:7], v[0:1], v[4:5] op_sel:[0,0,1] op_sel_hi:[1,0,0]
	v_mov_b32_e32 v9, v5
	ds_load_2addr_b64 v[4:7], v20 offset0:40 offset1:41
	v_pk_add_f32 v[172:173], v[172:173], v[10:11] neg_lo:[0,1] neg_hi:[0,1]
	v_pk_add_f32 v[164:165], v[164:165], v[8:9] neg_lo:[0,1] neg_hi:[0,1]
	s_wait_dscnt 0x0
	v_dual_mul_f32 v8, v5, v3 :: v_dual_mul_f32 v10, v5, v0
	s_delay_alu instid0(VALU_DEP_1) | instskip(NEXT) | instid1(VALU_DEP_2)
	v_pk_fma_f32 v[8:9], v[4:5], v[84:85], v[8:9] op_sel_hi:[1,1,0] neg_lo:[0,0,1] neg_hi:[0,0,1]
	v_pk_fma_f32 v[4:5], v[4:5], v[84:85], v[10:11] op_sel:[1,0,0] op_sel_hi:[0,1,0]
	s_delay_alu instid0(VALU_DEP_1) | instskip(SKIP_1) | instid1(VALU_DEP_2)
	v_mov_b32_e32 v9, v5
	v_pk_mul_f32 v[4:5], v[6:7], v[2:3] op_sel:[0,1]
	v_pk_add_f32 v[170:171], v[170:171], v[8:9] neg_lo:[0,1] neg_hi:[0,1]
	s_delay_alu instid0(VALU_DEP_2) | instskip(SKIP_1) | instid1(VALU_DEP_1)
	v_pk_fma_f32 v[8:9], v[6:7], v[0:1], v[4:5] op_sel:[0,0,1] op_sel_hi:[1,1,0] neg_lo:[0,0,1] neg_hi:[0,0,1]
	v_pk_fma_f32 v[4:5], v[6:7], v[0:1], v[4:5] op_sel:[0,0,1] op_sel_hi:[1,0,0]
	v_mov_b32_e32 v9, v5
	ds_load_2addr_b64 v[4:7], v20 offset0:42 offset1:43
	v_pk_add_f32 v[162:163], v[162:163], v[8:9] neg_lo:[0,1] neg_hi:[0,1]
	s_wait_dscnt 0x0
	v_pk_mul_f32 v[8:9], v[4:5], v[2:3] op_sel:[0,1]
	s_delay_alu instid0(VALU_DEP_1) | instskip(SKIP_1) | instid1(VALU_DEP_1)
	v_pk_fma_f32 v[10:11], v[4:5], v[0:1], v[8:9] op_sel:[0,0,1] op_sel_hi:[1,1,0] neg_lo:[0,0,1] neg_hi:[0,0,1]
	v_pk_fma_f32 v[4:5], v[4:5], v[0:1], v[8:9] op_sel:[0,0,1] op_sel_hi:[1,0,0]
	v_mov_b32_e32 v11, v5
	v_pk_mul_f32 v[4:5], v[6:7], v[2:3] op_sel:[0,1]
	s_delay_alu instid0(VALU_DEP_2) | instskip(NEXT) | instid1(VALU_DEP_2)
	v_pk_add_f32 v[168:169], v[168:169], v[10:11] neg_lo:[0,1] neg_hi:[0,1]
	v_pk_fma_f32 v[8:9], v[6:7], v[0:1], v[4:5] op_sel:[0,0,1] op_sel_hi:[1,1,0] neg_lo:[0,0,1] neg_hi:[0,0,1]
	v_pk_fma_f32 v[4:5], v[6:7], v[0:1], v[4:5] op_sel:[0,0,1] op_sel_hi:[1,0,0]
	s_delay_alu instid0(VALU_DEP_1) | instskip(SKIP_4) | instid1(VALU_DEP_1)
	v_mov_b32_e32 v9, v5
	ds_load_b64 v[4:5], v20 offset:352
	v_pk_add_f32 v[176:177], v[176:177], v[8:9] neg_lo:[0,1] neg_hi:[0,1]
	s_wait_dscnt 0x0
	v_pk_mul_f32 v[2:3], v[4:5], v[2:3] op_sel:[0,1]
	v_pk_fma_f32 v[6:7], v[4:5], v[0:1], v[2:3] op_sel:[0,0,1] op_sel_hi:[1,1,0] neg_lo:[0,0,1] neg_hi:[0,0,1]
	v_pk_fma_f32 v[0:1], v[4:5], v[0:1], v[2:3] op_sel:[0,0,1] op_sel_hi:[1,0,0]
	s_delay_alu instid0(VALU_DEP_1) | instskip(NEXT) | instid1(VALU_DEP_1)
	v_mov_b32_e32 v7, v1
	v_pk_add_f32 v[180:181], v[180:181], v[6:7] neg_lo:[0,1] neg_hi:[0,1]
.LBB89_199:
	s_or_b32 exec_lo, exec_lo, s1
	s_delay_alu instid0(SALU_CYCLE_1)
	s_mov_b32 s2, exec_lo
	s_wait_dscnt 0x0
	s_barrier_signal -1
	s_barrier_wait -1
	v_cmpx_eq_u32_e32 22, v38
	s_cbranch_execz .LBB89_206
; %bb.200:
	ds_store_b64 v39, v[86:87]
	ds_store_2addr_b64 v20, v[82:83], v[112:113] offset0:23 offset1:24
	ds_store_2addr_b64 v20, v[108:109], v[110:111] offset0:25 offset1:26
	;; [unrolled: 1-line block ×11, first 2 shown]
	ds_load_b64 v[0:1], v39
	s_wait_dscnt 0x0
	v_cmp_neq_f32_e32 vcc_lo, 0, v0
	v_cmp_neq_f32_e64 s1, 0, v1
	s_or_b32 s1, vcc_lo, s1
	s_delay_alu instid0(SALU_CYCLE_1)
	s_and_b32 exec_lo, exec_lo, s1
	s_cbranch_execz .LBB89_206
; %bb.201:
	v_cmp_ngt_f32_e64 s1, |v0|, |v1|
                                        ; implicit-def: $vgpr2_vgpr3
	s_and_saveexec_b32 s4, s1
	s_delay_alu instid0(SALU_CYCLE_1)
	s_xor_b32 s1, exec_lo, s4
	s_cbranch_execz .LBB89_203
; %bb.202:
	v_div_scale_f32 v2, null, v1, v1, v0
	v_div_scale_f32 v5, vcc_lo, v0, v1, v0
	s_delay_alu instid0(VALU_DEP_2) | instskip(SKIP_1) | instid1(TRANS32_DEP_1)
	v_rcp_f32_e32 v3, v2
	v_nop
	v_fma_f32 v4, -v2, v3, 1.0
	s_delay_alu instid0(VALU_DEP_1) | instskip(NEXT) | instid1(VALU_DEP_1)
	v_fmac_f32_e32 v3, v4, v3
	v_mul_f32_e32 v4, v5, v3
	s_delay_alu instid0(VALU_DEP_1) | instskip(NEXT) | instid1(VALU_DEP_1)
	v_fma_f32 v6, -v2, v4, v5
	v_fmac_f32_e32 v4, v6, v3
	s_delay_alu instid0(VALU_DEP_1) | instskip(NEXT) | instid1(VALU_DEP_1)
	v_fma_f32 v2, -v2, v4, v5
	v_div_fmas_f32 v2, v2, v3, v4
	s_delay_alu instid0(VALU_DEP_1) | instskip(NEXT) | instid1(VALU_DEP_1)
	v_div_fixup_f32 v2, v2, v1, v0
	v_fmac_f32_e32 v1, v0, v2
	s_delay_alu instid0(VALU_DEP_1) | instskip(SKIP_1) | instid1(VALU_DEP_2)
	v_div_scale_f32 v0, null, v1, v1, 1.0
	v_div_scale_f32 v5, vcc_lo, 1.0, v1, 1.0
	v_rcp_f32_e32 v3, v0
	v_nop
	s_delay_alu instid0(TRANS32_DEP_1) | instskip(NEXT) | instid1(VALU_DEP_1)
	v_fma_f32 v4, -v0, v3, 1.0
	v_fmac_f32_e32 v3, v4, v3
	s_delay_alu instid0(VALU_DEP_1) | instskip(NEXT) | instid1(VALU_DEP_1)
	v_mul_f32_e32 v4, v5, v3
	v_fma_f32 v6, -v0, v4, v5
	s_delay_alu instid0(VALU_DEP_1) | instskip(NEXT) | instid1(VALU_DEP_1)
	v_fmac_f32_e32 v4, v6, v3
	v_fma_f32 v0, -v0, v4, v5
	s_delay_alu instid0(VALU_DEP_1) | instskip(NEXT) | instid1(VALU_DEP_1)
	v_div_fmas_f32 v0, v0, v3, v4
	v_div_fixup_f32 v0, v0, v1, 1.0
	s_delay_alu instid0(VALU_DEP_1)
	v_mul_f32_e32 v2, v2, v0
	v_xor_b32_e32 v3, 0x80000000, v0
                                        ; implicit-def: $vgpr0_vgpr1
.LBB89_203:
	s_and_not1_saveexec_b32 s1, s1
	s_cbranch_execz .LBB89_205
; %bb.204:
	v_div_scale_f32 v2, null, v0, v0, v1
	v_div_scale_f32 v5, vcc_lo, v1, v0, v1
	s_delay_alu instid0(VALU_DEP_2) | instskip(SKIP_1) | instid1(TRANS32_DEP_1)
	v_rcp_f32_e32 v3, v2
	v_nop
	v_fma_f32 v4, -v2, v3, 1.0
	s_delay_alu instid0(VALU_DEP_1) | instskip(NEXT) | instid1(VALU_DEP_1)
	v_fmac_f32_e32 v3, v4, v3
	v_mul_f32_e32 v4, v5, v3
	s_delay_alu instid0(VALU_DEP_1) | instskip(NEXT) | instid1(VALU_DEP_1)
	v_fma_f32 v6, -v2, v4, v5
	v_fmac_f32_e32 v4, v6, v3
	s_delay_alu instid0(VALU_DEP_1) | instskip(NEXT) | instid1(VALU_DEP_1)
	v_fma_f32 v2, -v2, v4, v5
	v_div_fmas_f32 v2, v2, v3, v4
	s_delay_alu instid0(VALU_DEP_1) | instskip(NEXT) | instid1(VALU_DEP_1)
	v_div_fixup_f32 v3, v2, v0, v1
	v_fmac_f32_e32 v0, v1, v3
	s_delay_alu instid0(VALU_DEP_1) | instskip(NEXT) | instid1(VALU_DEP_1)
	v_div_scale_f32 v1, null, v0, v0, 1.0
	v_rcp_f32_e32 v2, v1
	v_nop
	s_delay_alu instid0(TRANS32_DEP_1) | instskip(NEXT) | instid1(VALU_DEP_1)
	v_fma_f32 v4, -v1, v2, 1.0
	v_fmac_f32_e32 v2, v4, v2
	v_div_scale_f32 v4, vcc_lo, 1.0, v0, 1.0
	s_delay_alu instid0(VALU_DEP_1) | instskip(NEXT) | instid1(VALU_DEP_1)
	v_mul_f32_e32 v5, v4, v2
	v_fma_f32 v6, -v1, v5, v4
	s_delay_alu instid0(VALU_DEP_1) | instskip(NEXT) | instid1(VALU_DEP_1)
	v_fmac_f32_e32 v5, v6, v2
	v_fma_f32 v1, -v1, v5, v4
	s_delay_alu instid0(VALU_DEP_1) | instskip(NEXT) | instid1(VALU_DEP_1)
	v_div_fmas_f32 v1, v1, v2, v5
	v_div_fixup_f32 v2, v1, v0, 1.0
	s_delay_alu instid0(VALU_DEP_1)
	v_mul_f32_e64 v3, v3, -v2
.LBB89_205:
	s_or_b32 exec_lo, exec_lo, s1
	ds_store_b64 v39, v[2:3]
.LBB89_206:
	s_or_b32 exec_lo, exec_lo, s2
	s_wait_dscnt 0x0
	s_barrier_signal -1
	s_barrier_wait -1
	ds_load_b64 v[226:227], v39
	s_mov_b32 s1, exec_lo
	v_cmpx_lt_u32_e32 22, v38
	s_cbranch_execz .LBB89_208
; %bb.207:
	ds_load_2addr_b64 v[4:7], v20 offset0:23 offset1:24
	s_wait_dscnt 0x1
	v_pk_mul_f32 v[2:3], v[226:227], v[86:87] op_sel:[1,1] op_sel_hi:[0,1]
	s_delay_alu instid0(VALU_DEP_1) | instskip(SKIP_1) | instid1(VALU_DEP_1)
	v_pk_fma_f32 v[0:1], v[226:227], v[86:87], v[2:3] op_sel_hi:[1,0,1] neg_lo:[0,0,1] neg_hi:[0,0,1]
	v_pk_fma_f32 v[2:3], v[226:227], v[86:87], v[2:3] op_sel_hi:[1,0,1]
	v_dual_mov_b32 v86, v0 :: v_dual_mov_b32 v87, v3
	s_wait_dscnt 0x0
	s_delay_alu instid0(VALU_DEP_2) | instskip(NEXT) | instid1(VALU_DEP_1)
	v_pk_mul_f32 v[8:9], v[4:5], v[2:3] op_sel:[0,1]
	v_pk_fma_f32 v[10:11], v[4:5], v[0:1], v[8:9] op_sel:[0,0,1] op_sel_hi:[1,1,0] neg_lo:[0,0,1] neg_hi:[0,0,1]
	v_pk_fma_f32 v[4:5], v[4:5], v[0:1], v[8:9] op_sel:[0,0,1] op_sel_hi:[1,0,0]
	s_delay_alu instid0(VALU_DEP_1) | instskip(SKIP_1) | instid1(VALU_DEP_1)
	v_mov_b32_e32 v11, v5
	v_pk_mul_f32 v[4:5], v[6:7], v[2:3] op_sel:[0,1]
	v_pk_fma_f32 v[8:9], v[6:7], v[0:1], v[4:5] op_sel:[0,0,1] op_sel_hi:[1,1,0] neg_lo:[0,0,1] neg_hi:[0,0,1]
	v_pk_fma_f32 v[4:5], v[6:7], v[0:1], v[4:5] op_sel:[0,0,1] op_sel_hi:[1,0,0]
	s_delay_alu instid0(VALU_DEP_1)
	v_mov_b32_e32 v9, v5
	ds_load_2addr_b64 v[4:7], v20 offset0:25 offset1:26
	v_pk_add_f32 v[82:83], v[82:83], v[10:11] neg_lo:[0,1] neg_hi:[0,1]
	v_pk_add_f32 v[112:113], v[112:113], v[8:9] neg_lo:[0,1] neg_hi:[0,1]
	s_wait_dscnt 0x0
	v_pk_mul_f32 v[8:9], v[4:5], v[2:3] op_sel:[0,1]
	s_delay_alu instid0(VALU_DEP_1) | instskip(SKIP_2) | instid1(VALU_DEP_2)
	v_pk_fma_f32 v[10:11], v[4:5], v[0:1], v[8:9] op_sel:[0,0,1] op_sel_hi:[1,1,0] neg_lo:[0,0,1] neg_hi:[0,0,1]
	v_pk_fma_f32 v[4:5], v[4:5], v[0:1], v[8:9] op_sel:[0,0,1] op_sel_hi:[1,0,0]
	v_dual_mul_f32 v8, v7, v3 :: v_dual_mov_b32 v4, v7
	v_dual_mov_b32 v11, v5 :: v_dual_mov_b32 v5, v6
	s_delay_alu instid0(VALU_DEP_2) | instskip(SKIP_1) | instid1(VALU_DEP_3)
	v_pk_fma_f32 v[8:9], v[6:7], v[86:87], v[8:9] op_sel_hi:[1,1,0] neg_lo:[0,0,1] neg_hi:[0,0,1]
	v_mul_f32_e32 v6, v7, v0
	v_pk_add_f32 v[108:109], v[108:109], v[10:11] neg_lo:[0,1] neg_hi:[0,1]
	s_delay_alu instid0(VALU_DEP_2) | instskip(NEXT) | instid1(VALU_DEP_1)
	v_pk_fma_f32 v[4:5], v[4:5], v[86:87], v[6:7] op_sel_hi:[1,1,0]
	v_mov_b32_e32 v9, v5
	ds_load_2addr_b64 v[4:7], v20 offset0:27 offset1:28
	v_pk_add_f32 v[110:111], v[110:111], v[8:9] neg_lo:[0,1] neg_hi:[0,1]
	s_wait_dscnt 0x0
	v_pk_mul_f32 v[8:9], v[4:5], v[2:3] op_sel:[0,1]
	s_delay_alu instid0(VALU_DEP_1) | instskip(SKIP_1) | instid1(VALU_DEP_1)
	v_pk_fma_f32 v[10:11], v[4:5], v[0:1], v[8:9] op_sel:[0,0,1] op_sel_hi:[1,1,0] neg_lo:[0,0,1] neg_hi:[0,0,1]
	v_pk_fma_f32 v[4:5], v[4:5], v[0:1], v[8:9] op_sel:[0,0,1] op_sel_hi:[1,0,0]
	v_mov_b32_e32 v11, v5
	v_pk_mul_f32 v[4:5], v[6:7], v[2:3] op_sel:[0,1]
	s_delay_alu instid0(VALU_DEP_1) | instskip(SKIP_1) | instid1(VALU_DEP_1)
	v_pk_fma_f32 v[8:9], v[6:7], v[0:1], v[4:5] op_sel:[0,0,1] op_sel_hi:[1,1,0] neg_lo:[0,0,1] neg_hi:[0,0,1]
	v_pk_fma_f32 v[4:5], v[6:7], v[0:1], v[4:5] op_sel:[0,0,1] op_sel_hi:[1,0,0]
	v_mov_b32_e32 v9, v5
	ds_load_2addr_b64 v[4:7], v20 offset0:29 offset1:30
	v_pk_add_f32 v[106:107], v[106:107], v[10:11] neg_lo:[0,1] neg_hi:[0,1]
	v_pk_add_f32 v[128:129], v[128:129], v[8:9] neg_lo:[0,1] neg_hi:[0,1]
	s_wait_dscnt 0x0
	v_pk_mul_f32 v[8:9], v[4:5], v[2:3] op_sel:[0,1]
	s_delay_alu instid0(VALU_DEP_1) | instskip(SKIP_1) | instid1(VALU_DEP_1)
	v_pk_fma_f32 v[10:11], v[4:5], v[0:1], v[8:9] op_sel:[0,0,1] op_sel_hi:[1,1,0] neg_lo:[0,0,1] neg_hi:[0,0,1]
	v_pk_fma_f32 v[4:5], v[4:5], v[0:1], v[8:9] op_sel:[0,0,1] op_sel_hi:[1,0,0]
	v_mov_b32_e32 v11, v5
	v_pk_mul_f32 v[4:5], v[6:7], v[2:3] op_sel:[0,1]
	s_delay_alu instid0(VALU_DEP_1) | instskip(SKIP_1) | instid1(VALU_DEP_1)
	v_pk_fma_f32 v[8:9], v[6:7], v[0:1], v[4:5] op_sel:[0,0,1] op_sel_hi:[1,1,0] neg_lo:[0,0,1] neg_hi:[0,0,1]
	v_pk_fma_f32 v[4:5], v[6:7], v[0:1], v[4:5] op_sel:[0,0,1] op_sel_hi:[1,0,0]
	v_mov_b32_e32 v9, v5
	ds_load_2addr_b64 v[4:7], v20 offset0:31 offset1:32
	v_pk_add_f32 v[124:125], v[124:125], v[10:11] neg_lo:[0,1] neg_hi:[0,1]
	v_pk_add_f32 v[126:127], v[126:127], v[8:9] neg_lo:[0,1] neg_hi:[0,1]
	s_wait_dscnt 0x0
	v_dual_mul_f32 v8, v5, v3 :: v_dual_mul_f32 v10, v5, v0
	s_delay_alu instid0(VALU_DEP_1) | instskip(NEXT) | instid1(VALU_DEP_2)
	v_pk_fma_f32 v[8:9], v[4:5], v[86:87], v[8:9] op_sel_hi:[1,1,0] neg_lo:[0,0,1] neg_hi:[0,0,1]
	v_pk_fma_f32 v[4:5], v[4:5], v[86:87], v[10:11] op_sel:[1,0,0] op_sel_hi:[0,1,0]
	s_delay_alu instid0(VALU_DEP_1) | instskip(SKIP_1) | instid1(VALU_DEP_2)
	v_mov_b32_e32 v9, v5
	v_pk_mul_f32 v[4:5], v[6:7], v[2:3] op_sel:[0,1]
	v_pk_add_f32 v[122:123], v[122:123], v[8:9] neg_lo:[0,1] neg_hi:[0,1]
	s_delay_alu instid0(VALU_DEP_2) | instskip(SKIP_1) | instid1(VALU_DEP_1)
	v_pk_fma_f32 v[8:9], v[6:7], v[0:1], v[4:5] op_sel:[0,0,1] op_sel_hi:[1,1,0] neg_lo:[0,0,1] neg_hi:[0,0,1]
	v_pk_fma_f32 v[4:5], v[6:7], v[0:1], v[4:5] op_sel:[0,0,1] op_sel_hi:[1,0,0]
	v_mov_b32_e32 v9, v5
	ds_load_2addr_b64 v[4:7], v20 offset0:33 offset1:34
	v_pk_add_f32 v[150:151], v[150:151], v[8:9] neg_lo:[0,1] neg_hi:[0,1]
	s_wait_dscnt 0x0
	v_pk_mul_f32 v[8:9], v[4:5], v[2:3] op_sel:[0,1]
	s_delay_alu instid0(VALU_DEP_1) | instskip(SKIP_1) | instid1(VALU_DEP_1)
	v_pk_fma_f32 v[10:11], v[4:5], v[0:1], v[8:9] op_sel:[0,0,1] op_sel_hi:[1,1,0] neg_lo:[0,0,1] neg_hi:[0,0,1]
	v_pk_fma_f32 v[4:5], v[4:5], v[0:1], v[8:9] op_sel:[0,0,1] op_sel_hi:[1,0,0]
	v_mov_b32_e32 v11, v5
	v_pk_mul_f32 v[4:5], v[6:7], v[2:3] op_sel:[0,1]
	s_delay_alu instid0(VALU_DEP_2) | instskip(NEXT) | instid1(VALU_DEP_2)
	v_pk_add_f32 v[146:147], v[146:147], v[10:11] neg_lo:[0,1] neg_hi:[0,1]
	v_pk_fma_f32 v[8:9], v[6:7], v[0:1], v[4:5] op_sel:[0,0,1] op_sel_hi:[1,1,0] neg_lo:[0,0,1] neg_hi:[0,0,1]
	v_pk_fma_f32 v[4:5], v[6:7], v[0:1], v[4:5] op_sel:[0,0,1] op_sel_hi:[1,0,0]
	s_delay_alu instid0(VALU_DEP_1) | instskip(SKIP_4) | instid1(VALU_DEP_1)
	v_mov_b32_e32 v9, v5
	ds_load_2addr_b64 v[4:7], v20 offset0:35 offset1:36
	v_pk_add_f32 v[148:149], v[148:149], v[8:9] neg_lo:[0,1] neg_hi:[0,1]
	s_wait_dscnt 0x0
	v_pk_mul_f32 v[8:9], v[4:5], v[2:3] op_sel:[0,1]
	v_pk_fma_f32 v[10:11], v[4:5], v[0:1], v[8:9] op_sel:[0,0,1] op_sel_hi:[1,1,0] neg_lo:[0,0,1] neg_hi:[0,0,1]
	v_pk_fma_f32 v[4:5], v[4:5], v[0:1], v[8:9] op_sel:[0,0,1] op_sel_hi:[1,0,0]
	v_dual_mul_f32 v8, v7, v3 :: v_dual_mov_b32 v4, v7
	s_delay_alu instid0(VALU_DEP_2) | instskip(NEXT) | instid1(VALU_DEP_2)
	v_dual_mov_b32 v11, v5 :: v_dual_mov_b32 v5, v6
	v_pk_fma_f32 v[8:9], v[6:7], v[86:87], v[8:9] op_sel_hi:[1,1,0] neg_lo:[0,0,1] neg_hi:[0,0,1]
	v_mul_f32_e32 v6, v7, v0
	s_delay_alu instid0(VALU_DEP_3) | instskip(NEXT) | instid1(VALU_DEP_2)
	v_pk_add_f32 v[144:145], v[144:145], v[10:11] neg_lo:[0,1] neg_hi:[0,1]
	v_pk_fma_f32 v[4:5], v[4:5], v[86:87], v[6:7] op_sel_hi:[1,1,0]
	s_delay_alu instid0(VALU_DEP_1) | instskip(SKIP_4) | instid1(VALU_DEP_1)
	v_mov_b32_e32 v9, v5
	ds_load_2addr_b64 v[4:7], v20 offset0:37 offset1:38
	v_pk_add_f32 v[174:175], v[174:175], v[8:9] neg_lo:[0,1] neg_hi:[0,1]
	s_wait_dscnt 0x0
	v_pk_mul_f32 v[8:9], v[4:5], v[2:3] op_sel:[0,1]
	v_pk_fma_f32 v[10:11], v[4:5], v[0:1], v[8:9] op_sel:[0,0,1] op_sel_hi:[1,1,0] neg_lo:[0,0,1] neg_hi:[0,0,1]
	v_pk_fma_f32 v[4:5], v[4:5], v[0:1], v[8:9] op_sel:[0,0,1] op_sel_hi:[1,0,0]
	s_delay_alu instid0(VALU_DEP_1) | instskip(SKIP_1) | instid1(VALU_DEP_1)
	v_mov_b32_e32 v11, v5
	v_pk_mul_f32 v[4:5], v[6:7], v[2:3] op_sel:[0,1]
	v_pk_fma_f32 v[8:9], v[6:7], v[0:1], v[4:5] op_sel:[0,0,1] op_sel_hi:[1,1,0] neg_lo:[0,0,1] neg_hi:[0,0,1]
	v_pk_fma_f32 v[4:5], v[6:7], v[0:1], v[4:5] op_sel:[0,0,1] op_sel_hi:[1,0,0]
	s_delay_alu instid0(VALU_DEP_1)
	v_mov_b32_e32 v9, v5
	ds_load_2addr_b64 v[4:7], v20 offset0:39 offset1:40
	v_pk_add_f32 v[166:167], v[166:167], v[10:11] neg_lo:[0,1] neg_hi:[0,1]
	v_pk_add_f32 v[172:173], v[172:173], v[8:9] neg_lo:[0,1] neg_hi:[0,1]
	s_wait_dscnt 0x0
	v_pk_mul_f32 v[8:9], v[4:5], v[2:3] op_sel:[0,1]
	s_delay_alu instid0(VALU_DEP_1) | instskip(SKIP_1) | instid1(VALU_DEP_1)
	v_pk_fma_f32 v[10:11], v[4:5], v[0:1], v[8:9] op_sel:[0,0,1] op_sel_hi:[1,1,0] neg_lo:[0,0,1] neg_hi:[0,0,1]
	v_pk_fma_f32 v[4:5], v[4:5], v[0:1], v[8:9] op_sel:[0,0,1] op_sel_hi:[1,0,0]
	v_mov_b32_e32 v11, v5
	v_pk_mul_f32 v[4:5], v[6:7], v[2:3] op_sel:[0,1]
	s_delay_alu instid0(VALU_DEP_1) | instskip(SKIP_1) | instid1(VALU_DEP_1)
	v_pk_fma_f32 v[8:9], v[6:7], v[0:1], v[4:5] op_sel:[0,0,1] op_sel_hi:[1,1,0] neg_lo:[0,0,1] neg_hi:[0,0,1]
	v_pk_fma_f32 v[4:5], v[6:7], v[0:1], v[4:5] op_sel:[0,0,1] op_sel_hi:[1,0,0]
	v_mov_b32_e32 v9, v5
	ds_load_2addr_b64 v[4:7], v20 offset0:41 offset1:42
	v_pk_add_f32 v[164:165], v[164:165], v[10:11] neg_lo:[0,1] neg_hi:[0,1]
	v_pk_add_f32 v[170:171], v[170:171], v[8:9] neg_lo:[0,1] neg_hi:[0,1]
	s_wait_dscnt 0x0
	v_dual_mul_f32 v8, v5, v3 :: v_dual_mul_f32 v10, v5, v0
	s_delay_alu instid0(VALU_DEP_1) | instskip(NEXT) | instid1(VALU_DEP_2)
	v_pk_fma_f32 v[8:9], v[4:5], v[86:87], v[8:9] op_sel_hi:[1,1,0] neg_lo:[0,0,1] neg_hi:[0,0,1]
	v_pk_fma_f32 v[4:5], v[4:5], v[86:87], v[10:11] op_sel:[1,0,0] op_sel_hi:[0,1,0]
	s_delay_alu instid0(VALU_DEP_1) | instskip(SKIP_1) | instid1(VALU_DEP_2)
	v_mov_b32_e32 v9, v5
	v_pk_mul_f32 v[4:5], v[6:7], v[2:3] op_sel:[0,1]
	v_pk_add_f32 v[162:163], v[162:163], v[8:9] neg_lo:[0,1] neg_hi:[0,1]
	s_delay_alu instid0(VALU_DEP_2) | instskip(SKIP_1) | instid1(VALU_DEP_1)
	v_pk_fma_f32 v[8:9], v[6:7], v[0:1], v[4:5] op_sel:[0,0,1] op_sel_hi:[1,1,0] neg_lo:[0,0,1] neg_hi:[0,0,1]
	v_pk_fma_f32 v[4:5], v[6:7], v[0:1], v[4:5] op_sel:[0,0,1] op_sel_hi:[1,0,0]
	v_mov_b32_e32 v9, v5
	ds_load_2addr_b64 v[4:7], v20 offset0:43 offset1:44
	v_pk_add_f32 v[168:169], v[168:169], v[8:9] neg_lo:[0,1] neg_hi:[0,1]
	s_wait_dscnt 0x0
	v_pk_mul_f32 v[8:9], v[4:5], v[2:3] op_sel:[0,1]
	v_pk_mul_f32 v[2:3], v[6:7], v[2:3] op_sel:[0,1]
	s_delay_alu instid0(VALU_DEP_2) | instskip(SKIP_1) | instid1(VALU_DEP_1)
	v_pk_fma_f32 v[10:11], v[4:5], v[0:1], v[8:9] op_sel:[0,0,1] op_sel_hi:[1,1,0] neg_lo:[0,0,1] neg_hi:[0,0,1]
	v_pk_fma_f32 v[4:5], v[4:5], v[0:1], v[8:9] op_sel:[0,0,1] op_sel_hi:[1,0,0]
	v_mov_b32_e32 v11, v5
	s_delay_alu instid0(VALU_DEP_4) | instskip(SKIP_1) | instid1(VALU_DEP_3)
	v_pk_fma_f32 v[4:5], v[6:7], v[0:1], v[2:3] op_sel:[0,0,1] op_sel_hi:[1,1,0] neg_lo:[0,0,1] neg_hi:[0,0,1]
	v_pk_fma_f32 v[0:1], v[6:7], v[0:1], v[2:3] op_sel:[0,0,1] op_sel_hi:[1,0,0]
	v_pk_add_f32 v[176:177], v[176:177], v[10:11] neg_lo:[0,1] neg_hi:[0,1]
	s_delay_alu instid0(VALU_DEP_2) | instskip(NEXT) | instid1(VALU_DEP_1)
	v_mov_b32_e32 v5, v1
	v_pk_add_f32 v[180:181], v[180:181], v[4:5] neg_lo:[0,1] neg_hi:[0,1]
.LBB89_208:
	s_or_b32 exec_lo, exec_lo, s1
	s_delay_alu instid0(SALU_CYCLE_1)
	s_mov_b32 s2, exec_lo
	s_wait_dscnt 0x0
	s_barrier_signal -1
	s_barrier_wait -1
	v_cmpx_eq_u32_e32 23, v38
	s_cbranch_execz .LBB89_215
; %bb.209:
	v_dual_mov_b32 v0, v112 :: v_dual_mov_b32 v1, v113
	v_dual_mov_b32 v2, v108 :: v_dual_mov_b32 v3, v109
	;; [unrolled: 1-line block ×8, first 2 shown]
	ds_store_b64 v39, v[82:83]
	ds_store_2addr_b64 v20, v[0:1], v[2:3] offset0:24 offset1:25
	ds_store_2addr_b64 v20, v[4:5], v[6:7] offset0:26 offset1:27
	;; [unrolled: 1-line block ×4, first 2 shown]
	v_dual_mov_b32 v0, v150 :: v_dual_mov_b32 v1, v151
	v_dual_mov_b32 v2, v146 :: v_dual_mov_b32 v3, v147
	;; [unrolled: 1-line block ×12, first 2 shown]
	ds_store_2addr_b64 v20, v[0:1], v[2:3] offset0:32 offset1:33
	ds_store_2addr_b64 v20, v[4:5], v[6:7] offset0:34 offset1:35
	;; [unrolled: 1-line block ×6, first 2 shown]
	ds_store_b64 v20, v[180:181] offset:352
	ds_load_b64 v[0:1], v39
	s_wait_dscnt 0x0
	v_cmp_neq_f32_e32 vcc_lo, 0, v0
	v_cmp_neq_f32_e64 s1, 0, v1
	s_or_b32 s1, vcc_lo, s1
	s_delay_alu instid0(SALU_CYCLE_1)
	s_and_b32 exec_lo, exec_lo, s1
	s_cbranch_execz .LBB89_215
; %bb.210:
	v_cmp_ngt_f32_e64 s1, |v0|, |v1|
                                        ; implicit-def: $vgpr2_vgpr3
	s_and_saveexec_b32 s4, s1
	s_delay_alu instid0(SALU_CYCLE_1)
	s_xor_b32 s1, exec_lo, s4
	s_cbranch_execz .LBB89_212
; %bb.211:
	v_div_scale_f32 v2, null, v1, v1, v0
	v_div_scale_f32 v5, vcc_lo, v0, v1, v0
	s_delay_alu instid0(VALU_DEP_2) | instskip(SKIP_1) | instid1(TRANS32_DEP_1)
	v_rcp_f32_e32 v3, v2
	v_nop
	v_fma_f32 v4, -v2, v3, 1.0
	s_delay_alu instid0(VALU_DEP_1) | instskip(NEXT) | instid1(VALU_DEP_1)
	v_fmac_f32_e32 v3, v4, v3
	v_mul_f32_e32 v4, v5, v3
	s_delay_alu instid0(VALU_DEP_1) | instskip(NEXT) | instid1(VALU_DEP_1)
	v_fma_f32 v6, -v2, v4, v5
	v_fmac_f32_e32 v4, v6, v3
	s_delay_alu instid0(VALU_DEP_1) | instskip(NEXT) | instid1(VALU_DEP_1)
	v_fma_f32 v2, -v2, v4, v5
	v_div_fmas_f32 v2, v2, v3, v4
	s_delay_alu instid0(VALU_DEP_1) | instskip(NEXT) | instid1(VALU_DEP_1)
	v_div_fixup_f32 v2, v2, v1, v0
	v_fmac_f32_e32 v1, v0, v2
	s_delay_alu instid0(VALU_DEP_1) | instskip(SKIP_1) | instid1(VALU_DEP_2)
	v_div_scale_f32 v0, null, v1, v1, 1.0
	v_div_scale_f32 v5, vcc_lo, 1.0, v1, 1.0
	v_rcp_f32_e32 v3, v0
	v_nop
	s_delay_alu instid0(TRANS32_DEP_1) | instskip(NEXT) | instid1(VALU_DEP_1)
	v_fma_f32 v4, -v0, v3, 1.0
	v_fmac_f32_e32 v3, v4, v3
	s_delay_alu instid0(VALU_DEP_1) | instskip(NEXT) | instid1(VALU_DEP_1)
	v_mul_f32_e32 v4, v5, v3
	v_fma_f32 v6, -v0, v4, v5
	s_delay_alu instid0(VALU_DEP_1) | instskip(NEXT) | instid1(VALU_DEP_1)
	v_fmac_f32_e32 v4, v6, v3
	v_fma_f32 v0, -v0, v4, v5
	s_delay_alu instid0(VALU_DEP_1) | instskip(NEXT) | instid1(VALU_DEP_1)
	v_div_fmas_f32 v0, v0, v3, v4
	v_div_fixup_f32 v0, v0, v1, 1.0
	s_delay_alu instid0(VALU_DEP_1)
	v_mul_f32_e32 v2, v2, v0
	v_xor_b32_e32 v3, 0x80000000, v0
                                        ; implicit-def: $vgpr0_vgpr1
.LBB89_212:
	s_and_not1_saveexec_b32 s1, s1
	s_cbranch_execz .LBB89_214
; %bb.213:
	v_div_scale_f32 v2, null, v0, v0, v1
	v_div_scale_f32 v5, vcc_lo, v1, v0, v1
	s_delay_alu instid0(VALU_DEP_2) | instskip(SKIP_1) | instid1(TRANS32_DEP_1)
	v_rcp_f32_e32 v3, v2
	v_nop
	v_fma_f32 v4, -v2, v3, 1.0
	s_delay_alu instid0(VALU_DEP_1) | instskip(NEXT) | instid1(VALU_DEP_1)
	v_fmac_f32_e32 v3, v4, v3
	v_mul_f32_e32 v4, v5, v3
	s_delay_alu instid0(VALU_DEP_1) | instskip(NEXT) | instid1(VALU_DEP_1)
	v_fma_f32 v6, -v2, v4, v5
	v_fmac_f32_e32 v4, v6, v3
	s_delay_alu instid0(VALU_DEP_1) | instskip(NEXT) | instid1(VALU_DEP_1)
	v_fma_f32 v2, -v2, v4, v5
	v_div_fmas_f32 v2, v2, v3, v4
	s_delay_alu instid0(VALU_DEP_1) | instskip(NEXT) | instid1(VALU_DEP_1)
	v_div_fixup_f32 v3, v2, v0, v1
	v_fmac_f32_e32 v0, v1, v3
	s_delay_alu instid0(VALU_DEP_1) | instskip(NEXT) | instid1(VALU_DEP_1)
	v_div_scale_f32 v1, null, v0, v0, 1.0
	v_rcp_f32_e32 v2, v1
	v_nop
	s_delay_alu instid0(TRANS32_DEP_1) | instskip(NEXT) | instid1(VALU_DEP_1)
	v_fma_f32 v4, -v1, v2, 1.0
	v_fmac_f32_e32 v2, v4, v2
	v_div_scale_f32 v4, vcc_lo, 1.0, v0, 1.0
	s_delay_alu instid0(VALU_DEP_1) | instskip(NEXT) | instid1(VALU_DEP_1)
	v_mul_f32_e32 v5, v4, v2
	v_fma_f32 v6, -v1, v5, v4
	s_delay_alu instid0(VALU_DEP_1) | instskip(NEXT) | instid1(VALU_DEP_1)
	v_fmac_f32_e32 v5, v6, v2
	v_fma_f32 v1, -v1, v5, v4
	s_delay_alu instid0(VALU_DEP_1) | instskip(NEXT) | instid1(VALU_DEP_1)
	v_div_fmas_f32 v1, v1, v2, v5
	v_div_fixup_f32 v2, v1, v0, 1.0
	s_delay_alu instid0(VALU_DEP_1)
	v_mul_f32_e64 v3, v3, -v2
.LBB89_214:
	s_or_b32 exec_lo, exec_lo, s1
	ds_store_b64 v39, v[2:3]
.LBB89_215:
	s_or_b32 exec_lo, exec_lo, s2
	s_wait_dscnt 0x0
	s_barrier_signal -1
	s_barrier_wait -1
	ds_load_b64 v[228:229], v39
	s_mov_b32 s1, exec_lo
	v_cmpx_lt_u32_e32 23, v38
	s_cbranch_execz .LBB89_217
; %bb.216:
	ds_load_2addr_b64 v[4:7], v20 offset0:24 offset1:25
	s_wait_dscnt 0x1
	v_pk_mul_f32 v[2:3], v[228:229], v[82:83] op_sel:[1,1] op_sel_hi:[0,1]
	s_delay_alu instid0(VALU_DEP_1) | instskip(SKIP_1) | instid1(VALU_DEP_1)
	v_pk_fma_f32 v[0:1], v[228:229], v[82:83], v[2:3] op_sel_hi:[1,0,1] neg_lo:[0,0,1] neg_hi:[0,0,1]
	v_pk_fma_f32 v[2:3], v[228:229], v[82:83], v[2:3] op_sel_hi:[1,0,1]
	v_dual_mov_b32 v82, v0 :: v_dual_mov_b32 v83, v3
	s_wait_dscnt 0x0
	s_delay_alu instid0(VALU_DEP_2) | instskip(NEXT) | instid1(VALU_DEP_1)
	v_pk_mul_f32 v[8:9], v[4:5], v[2:3] op_sel:[0,1]
	v_pk_fma_f32 v[10:11], v[4:5], v[0:1], v[8:9] op_sel:[0,0,1] op_sel_hi:[1,1,0] neg_lo:[0,0,1] neg_hi:[0,0,1]
	v_pk_fma_f32 v[4:5], v[4:5], v[0:1], v[8:9] op_sel:[0,0,1] op_sel_hi:[1,0,0]
	s_delay_alu instid0(VALU_DEP_1) | instskip(SKIP_1) | instid1(VALU_DEP_1)
	v_mov_b32_e32 v11, v5
	v_pk_mul_f32 v[4:5], v[6:7], v[2:3] op_sel:[0,1]
	v_pk_fma_f32 v[8:9], v[6:7], v[0:1], v[4:5] op_sel:[0,0,1] op_sel_hi:[1,1,0] neg_lo:[0,0,1] neg_hi:[0,0,1]
	v_pk_fma_f32 v[4:5], v[6:7], v[0:1], v[4:5] op_sel:[0,0,1] op_sel_hi:[1,0,0]
	s_delay_alu instid0(VALU_DEP_1)
	v_mov_b32_e32 v9, v5
	ds_load_2addr_b64 v[4:7], v20 offset0:26 offset1:27
	v_pk_add_f32 v[112:113], v[112:113], v[10:11] neg_lo:[0,1] neg_hi:[0,1]
	v_pk_add_f32 v[108:109], v[108:109], v[8:9] neg_lo:[0,1] neg_hi:[0,1]
	s_wait_dscnt 0x0
	v_pk_mul_f32 v[8:9], v[4:5], v[2:3] op_sel:[0,1]
	s_delay_alu instid0(VALU_DEP_1) | instskip(SKIP_2) | instid1(VALU_DEP_2)
	v_pk_fma_f32 v[10:11], v[4:5], v[0:1], v[8:9] op_sel:[0,0,1] op_sel_hi:[1,1,0] neg_lo:[0,0,1] neg_hi:[0,0,1]
	v_pk_fma_f32 v[4:5], v[4:5], v[0:1], v[8:9] op_sel:[0,0,1] op_sel_hi:[1,0,0]
	v_dual_mul_f32 v8, v7, v3 :: v_dual_mov_b32 v4, v7
	v_dual_mov_b32 v11, v5 :: v_dual_mov_b32 v5, v6
	s_delay_alu instid0(VALU_DEP_2) | instskip(SKIP_1) | instid1(VALU_DEP_3)
	v_pk_fma_f32 v[8:9], v[6:7], v[82:83], v[8:9] op_sel_hi:[1,1,0] neg_lo:[0,0,1] neg_hi:[0,0,1]
	v_mul_f32_e32 v6, v7, v0
	v_pk_add_f32 v[110:111], v[110:111], v[10:11] neg_lo:[0,1] neg_hi:[0,1]
	s_delay_alu instid0(VALU_DEP_2) | instskip(NEXT) | instid1(VALU_DEP_1)
	v_pk_fma_f32 v[4:5], v[4:5], v[82:83], v[6:7] op_sel_hi:[1,1,0]
	v_mov_b32_e32 v9, v5
	ds_load_2addr_b64 v[4:7], v20 offset0:28 offset1:29
	v_pk_add_f32 v[106:107], v[106:107], v[8:9] neg_lo:[0,1] neg_hi:[0,1]
	s_wait_dscnt 0x0
	v_pk_mul_f32 v[8:9], v[4:5], v[2:3] op_sel:[0,1]
	s_delay_alu instid0(VALU_DEP_1) | instskip(SKIP_1) | instid1(VALU_DEP_1)
	v_pk_fma_f32 v[10:11], v[4:5], v[0:1], v[8:9] op_sel:[0,0,1] op_sel_hi:[1,1,0] neg_lo:[0,0,1] neg_hi:[0,0,1]
	v_pk_fma_f32 v[4:5], v[4:5], v[0:1], v[8:9] op_sel:[0,0,1] op_sel_hi:[1,0,0]
	v_mov_b32_e32 v11, v5
	v_pk_mul_f32 v[4:5], v[6:7], v[2:3] op_sel:[0,1]
	s_delay_alu instid0(VALU_DEP_1) | instskip(SKIP_1) | instid1(VALU_DEP_1)
	v_pk_fma_f32 v[8:9], v[6:7], v[0:1], v[4:5] op_sel:[0,0,1] op_sel_hi:[1,1,0] neg_lo:[0,0,1] neg_hi:[0,0,1]
	v_pk_fma_f32 v[4:5], v[6:7], v[0:1], v[4:5] op_sel:[0,0,1] op_sel_hi:[1,0,0]
	v_mov_b32_e32 v9, v5
	ds_load_2addr_b64 v[4:7], v20 offset0:30 offset1:31
	v_pk_add_f32 v[128:129], v[128:129], v[10:11] neg_lo:[0,1] neg_hi:[0,1]
	v_pk_add_f32 v[124:125], v[124:125], v[8:9] neg_lo:[0,1] neg_hi:[0,1]
	s_wait_dscnt 0x0
	v_pk_mul_f32 v[8:9], v[4:5], v[2:3] op_sel:[0,1]
	s_delay_alu instid0(VALU_DEP_1) | instskip(SKIP_1) | instid1(VALU_DEP_1)
	v_pk_fma_f32 v[10:11], v[4:5], v[0:1], v[8:9] op_sel:[0,0,1] op_sel_hi:[1,1,0] neg_lo:[0,0,1] neg_hi:[0,0,1]
	v_pk_fma_f32 v[4:5], v[4:5], v[0:1], v[8:9] op_sel:[0,0,1] op_sel_hi:[1,0,0]
	v_mov_b32_e32 v11, v5
	v_pk_mul_f32 v[4:5], v[6:7], v[2:3] op_sel:[0,1]
	s_delay_alu instid0(VALU_DEP_1) | instskip(SKIP_1) | instid1(VALU_DEP_1)
	v_pk_fma_f32 v[8:9], v[6:7], v[0:1], v[4:5] op_sel:[0,0,1] op_sel_hi:[1,1,0] neg_lo:[0,0,1] neg_hi:[0,0,1]
	v_pk_fma_f32 v[4:5], v[6:7], v[0:1], v[4:5] op_sel:[0,0,1] op_sel_hi:[1,0,0]
	v_mov_b32_e32 v9, v5
	ds_load_2addr_b64 v[4:7], v20 offset0:32 offset1:33
	v_pk_add_f32 v[126:127], v[126:127], v[10:11] neg_lo:[0,1] neg_hi:[0,1]
	v_pk_add_f32 v[122:123], v[122:123], v[8:9] neg_lo:[0,1] neg_hi:[0,1]
	s_wait_dscnt 0x0
	v_dual_mul_f32 v8, v5, v3 :: v_dual_mul_f32 v10, v5, v0
	s_delay_alu instid0(VALU_DEP_1) | instskip(NEXT) | instid1(VALU_DEP_2)
	v_pk_fma_f32 v[8:9], v[4:5], v[82:83], v[8:9] op_sel_hi:[1,1,0] neg_lo:[0,0,1] neg_hi:[0,0,1]
	v_pk_fma_f32 v[4:5], v[4:5], v[82:83], v[10:11] op_sel:[1,0,0] op_sel_hi:[0,1,0]
	s_delay_alu instid0(VALU_DEP_1) | instskip(SKIP_1) | instid1(VALU_DEP_2)
	v_mov_b32_e32 v9, v5
	v_pk_mul_f32 v[4:5], v[6:7], v[2:3] op_sel:[0,1]
	v_pk_add_f32 v[150:151], v[150:151], v[8:9] neg_lo:[0,1] neg_hi:[0,1]
	s_delay_alu instid0(VALU_DEP_2) | instskip(SKIP_1) | instid1(VALU_DEP_1)
	v_pk_fma_f32 v[8:9], v[6:7], v[0:1], v[4:5] op_sel:[0,0,1] op_sel_hi:[1,1,0] neg_lo:[0,0,1] neg_hi:[0,0,1]
	v_pk_fma_f32 v[4:5], v[6:7], v[0:1], v[4:5] op_sel:[0,0,1] op_sel_hi:[1,0,0]
	v_mov_b32_e32 v9, v5
	ds_load_2addr_b64 v[4:7], v20 offset0:34 offset1:35
	v_pk_add_f32 v[146:147], v[146:147], v[8:9] neg_lo:[0,1] neg_hi:[0,1]
	s_wait_dscnt 0x0
	v_pk_mul_f32 v[8:9], v[4:5], v[2:3] op_sel:[0,1]
	s_delay_alu instid0(VALU_DEP_1) | instskip(SKIP_1) | instid1(VALU_DEP_1)
	v_pk_fma_f32 v[10:11], v[4:5], v[0:1], v[8:9] op_sel:[0,0,1] op_sel_hi:[1,1,0] neg_lo:[0,0,1] neg_hi:[0,0,1]
	v_pk_fma_f32 v[4:5], v[4:5], v[0:1], v[8:9] op_sel:[0,0,1] op_sel_hi:[1,0,0]
	v_mov_b32_e32 v11, v5
	v_pk_mul_f32 v[4:5], v[6:7], v[2:3] op_sel:[0,1]
	s_delay_alu instid0(VALU_DEP_2) | instskip(NEXT) | instid1(VALU_DEP_2)
	v_pk_add_f32 v[148:149], v[148:149], v[10:11] neg_lo:[0,1] neg_hi:[0,1]
	v_pk_fma_f32 v[8:9], v[6:7], v[0:1], v[4:5] op_sel:[0,0,1] op_sel_hi:[1,1,0] neg_lo:[0,0,1] neg_hi:[0,0,1]
	v_pk_fma_f32 v[4:5], v[6:7], v[0:1], v[4:5] op_sel:[0,0,1] op_sel_hi:[1,0,0]
	s_delay_alu instid0(VALU_DEP_1) | instskip(SKIP_4) | instid1(VALU_DEP_1)
	v_mov_b32_e32 v9, v5
	ds_load_2addr_b64 v[4:7], v20 offset0:36 offset1:37
	v_pk_add_f32 v[144:145], v[144:145], v[8:9] neg_lo:[0,1] neg_hi:[0,1]
	s_wait_dscnt 0x0
	v_pk_mul_f32 v[8:9], v[4:5], v[2:3] op_sel:[0,1]
	v_pk_fma_f32 v[10:11], v[4:5], v[0:1], v[8:9] op_sel:[0,0,1] op_sel_hi:[1,1,0] neg_lo:[0,0,1] neg_hi:[0,0,1]
	v_pk_fma_f32 v[4:5], v[4:5], v[0:1], v[8:9] op_sel:[0,0,1] op_sel_hi:[1,0,0]
	v_dual_mul_f32 v8, v7, v3 :: v_dual_mov_b32 v4, v7
	s_delay_alu instid0(VALU_DEP_2) | instskip(NEXT) | instid1(VALU_DEP_2)
	v_dual_mov_b32 v11, v5 :: v_dual_mov_b32 v5, v6
	v_pk_fma_f32 v[8:9], v[6:7], v[82:83], v[8:9] op_sel_hi:[1,1,0] neg_lo:[0,0,1] neg_hi:[0,0,1]
	v_mul_f32_e32 v6, v7, v0
	s_delay_alu instid0(VALU_DEP_3) | instskip(NEXT) | instid1(VALU_DEP_2)
	v_pk_add_f32 v[174:175], v[174:175], v[10:11] neg_lo:[0,1] neg_hi:[0,1]
	v_pk_fma_f32 v[4:5], v[4:5], v[82:83], v[6:7] op_sel_hi:[1,1,0]
	s_delay_alu instid0(VALU_DEP_1) | instskip(SKIP_4) | instid1(VALU_DEP_1)
	v_mov_b32_e32 v9, v5
	ds_load_2addr_b64 v[4:7], v20 offset0:38 offset1:39
	v_pk_add_f32 v[166:167], v[166:167], v[8:9] neg_lo:[0,1] neg_hi:[0,1]
	s_wait_dscnt 0x0
	v_pk_mul_f32 v[8:9], v[4:5], v[2:3] op_sel:[0,1]
	v_pk_fma_f32 v[10:11], v[4:5], v[0:1], v[8:9] op_sel:[0,0,1] op_sel_hi:[1,1,0] neg_lo:[0,0,1] neg_hi:[0,0,1]
	v_pk_fma_f32 v[4:5], v[4:5], v[0:1], v[8:9] op_sel:[0,0,1] op_sel_hi:[1,0,0]
	s_delay_alu instid0(VALU_DEP_1) | instskip(SKIP_1) | instid1(VALU_DEP_1)
	v_mov_b32_e32 v11, v5
	v_pk_mul_f32 v[4:5], v[6:7], v[2:3] op_sel:[0,1]
	v_pk_fma_f32 v[8:9], v[6:7], v[0:1], v[4:5] op_sel:[0,0,1] op_sel_hi:[1,1,0] neg_lo:[0,0,1] neg_hi:[0,0,1]
	v_pk_fma_f32 v[4:5], v[6:7], v[0:1], v[4:5] op_sel:[0,0,1] op_sel_hi:[1,0,0]
	s_delay_alu instid0(VALU_DEP_1)
	v_mov_b32_e32 v9, v5
	ds_load_2addr_b64 v[4:7], v20 offset0:40 offset1:41
	v_pk_add_f32 v[172:173], v[172:173], v[10:11] neg_lo:[0,1] neg_hi:[0,1]
	v_pk_add_f32 v[164:165], v[164:165], v[8:9] neg_lo:[0,1] neg_hi:[0,1]
	s_wait_dscnt 0x0
	v_pk_mul_f32 v[8:9], v[4:5], v[2:3] op_sel:[0,1]
	s_delay_alu instid0(VALU_DEP_1) | instskip(SKIP_1) | instid1(VALU_DEP_1)
	v_pk_fma_f32 v[10:11], v[4:5], v[0:1], v[8:9] op_sel:[0,0,1] op_sel_hi:[1,1,0] neg_lo:[0,0,1] neg_hi:[0,0,1]
	v_pk_fma_f32 v[4:5], v[4:5], v[0:1], v[8:9] op_sel:[0,0,1] op_sel_hi:[1,0,0]
	v_mov_b32_e32 v11, v5
	v_pk_mul_f32 v[4:5], v[6:7], v[2:3] op_sel:[0,1]
	s_delay_alu instid0(VALU_DEP_1) | instskip(SKIP_1) | instid1(VALU_DEP_1)
	v_pk_fma_f32 v[8:9], v[6:7], v[0:1], v[4:5] op_sel:[0,0,1] op_sel_hi:[1,1,0] neg_lo:[0,0,1] neg_hi:[0,0,1]
	v_pk_fma_f32 v[4:5], v[6:7], v[0:1], v[4:5] op_sel:[0,0,1] op_sel_hi:[1,0,0]
	v_mov_b32_e32 v9, v5
	ds_load_2addr_b64 v[4:7], v20 offset0:42 offset1:43
	v_pk_add_f32 v[170:171], v[170:171], v[10:11] neg_lo:[0,1] neg_hi:[0,1]
	v_pk_add_f32 v[162:163], v[162:163], v[8:9] neg_lo:[0,1] neg_hi:[0,1]
	s_wait_dscnt 0x0
	v_dual_mul_f32 v8, v5, v3 :: v_dual_mul_f32 v10, v5, v0
	s_delay_alu instid0(VALU_DEP_1) | instskip(NEXT) | instid1(VALU_DEP_2)
	v_pk_fma_f32 v[8:9], v[4:5], v[82:83], v[8:9] op_sel_hi:[1,1,0] neg_lo:[0,0,1] neg_hi:[0,0,1]
	v_pk_fma_f32 v[4:5], v[4:5], v[82:83], v[10:11] op_sel:[1,0,0] op_sel_hi:[0,1,0]
	s_delay_alu instid0(VALU_DEP_1) | instskip(SKIP_1) | instid1(VALU_DEP_2)
	v_mov_b32_e32 v9, v5
	v_pk_mul_f32 v[4:5], v[6:7], v[2:3] op_sel:[0,1]
	v_pk_add_f32 v[168:169], v[168:169], v[8:9] neg_lo:[0,1] neg_hi:[0,1]
	s_delay_alu instid0(VALU_DEP_2) | instskip(SKIP_1) | instid1(VALU_DEP_1)
	v_pk_fma_f32 v[8:9], v[6:7], v[0:1], v[4:5] op_sel:[0,0,1] op_sel_hi:[1,1,0] neg_lo:[0,0,1] neg_hi:[0,0,1]
	v_pk_fma_f32 v[4:5], v[6:7], v[0:1], v[4:5] op_sel:[0,0,1] op_sel_hi:[1,0,0]
	v_mov_b32_e32 v9, v5
	ds_load_b64 v[4:5], v20 offset:352
	v_pk_add_f32 v[176:177], v[176:177], v[8:9] neg_lo:[0,1] neg_hi:[0,1]
	s_wait_dscnt 0x0
	v_pk_mul_f32 v[2:3], v[4:5], v[2:3] op_sel:[0,1]
	s_delay_alu instid0(VALU_DEP_1) | instskip(SKIP_1) | instid1(VALU_DEP_1)
	v_pk_fma_f32 v[6:7], v[4:5], v[0:1], v[2:3] op_sel:[0,0,1] op_sel_hi:[1,1,0] neg_lo:[0,0,1] neg_hi:[0,0,1]
	v_pk_fma_f32 v[0:1], v[4:5], v[0:1], v[2:3] op_sel:[0,0,1] op_sel_hi:[1,0,0]
	v_mov_b32_e32 v7, v1
	s_delay_alu instid0(VALU_DEP_1)
	v_pk_add_f32 v[180:181], v[180:181], v[6:7] neg_lo:[0,1] neg_hi:[0,1]
.LBB89_217:
	s_or_b32 exec_lo, exec_lo, s1
	s_delay_alu instid0(SALU_CYCLE_1)
	s_mov_b32 s2, exec_lo
	s_wait_dscnt 0x0
	s_barrier_signal -1
	s_barrier_wait -1
	v_cmpx_eq_u32_e32 24, v38
	s_cbranch_execz .LBB89_224
; %bb.218:
	ds_store_b64 v39, v[112:113]
	ds_store_2addr_b64 v20, v[108:109], v[110:111] offset0:25 offset1:26
	ds_store_2addr_b64 v20, v[106:107], v[128:129] offset0:27 offset1:28
	;; [unrolled: 1-line block ×10, first 2 shown]
	ds_load_b64 v[0:1], v39
	s_wait_dscnt 0x0
	v_cmp_neq_f32_e32 vcc_lo, 0, v0
	v_cmp_neq_f32_e64 s1, 0, v1
	s_or_b32 s1, vcc_lo, s1
	s_delay_alu instid0(SALU_CYCLE_1)
	s_and_b32 exec_lo, exec_lo, s1
	s_cbranch_execz .LBB89_224
; %bb.219:
	v_cmp_ngt_f32_e64 s1, |v0|, |v1|
                                        ; implicit-def: $vgpr2_vgpr3
	s_and_saveexec_b32 s4, s1
	s_delay_alu instid0(SALU_CYCLE_1)
	s_xor_b32 s1, exec_lo, s4
	s_cbranch_execz .LBB89_221
; %bb.220:
	v_div_scale_f32 v2, null, v1, v1, v0
	v_div_scale_f32 v5, vcc_lo, v0, v1, v0
	s_delay_alu instid0(VALU_DEP_2) | instskip(SKIP_1) | instid1(TRANS32_DEP_1)
	v_rcp_f32_e32 v3, v2
	v_nop
	v_fma_f32 v4, -v2, v3, 1.0
	s_delay_alu instid0(VALU_DEP_1) | instskip(NEXT) | instid1(VALU_DEP_1)
	v_fmac_f32_e32 v3, v4, v3
	v_mul_f32_e32 v4, v5, v3
	s_delay_alu instid0(VALU_DEP_1) | instskip(NEXT) | instid1(VALU_DEP_1)
	v_fma_f32 v6, -v2, v4, v5
	v_fmac_f32_e32 v4, v6, v3
	s_delay_alu instid0(VALU_DEP_1) | instskip(NEXT) | instid1(VALU_DEP_1)
	v_fma_f32 v2, -v2, v4, v5
	v_div_fmas_f32 v2, v2, v3, v4
	s_delay_alu instid0(VALU_DEP_1) | instskip(NEXT) | instid1(VALU_DEP_1)
	v_div_fixup_f32 v2, v2, v1, v0
	v_fmac_f32_e32 v1, v0, v2
	s_delay_alu instid0(VALU_DEP_1) | instskip(SKIP_1) | instid1(VALU_DEP_2)
	v_div_scale_f32 v0, null, v1, v1, 1.0
	v_div_scale_f32 v5, vcc_lo, 1.0, v1, 1.0
	v_rcp_f32_e32 v3, v0
	v_nop
	s_delay_alu instid0(TRANS32_DEP_1) | instskip(NEXT) | instid1(VALU_DEP_1)
	v_fma_f32 v4, -v0, v3, 1.0
	v_fmac_f32_e32 v3, v4, v3
	s_delay_alu instid0(VALU_DEP_1) | instskip(NEXT) | instid1(VALU_DEP_1)
	v_mul_f32_e32 v4, v5, v3
	v_fma_f32 v6, -v0, v4, v5
	s_delay_alu instid0(VALU_DEP_1) | instskip(NEXT) | instid1(VALU_DEP_1)
	v_fmac_f32_e32 v4, v6, v3
	v_fma_f32 v0, -v0, v4, v5
	s_delay_alu instid0(VALU_DEP_1) | instskip(NEXT) | instid1(VALU_DEP_1)
	v_div_fmas_f32 v0, v0, v3, v4
	v_div_fixup_f32 v0, v0, v1, 1.0
	s_delay_alu instid0(VALU_DEP_1)
	v_mul_f32_e32 v2, v2, v0
	v_xor_b32_e32 v3, 0x80000000, v0
                                        ; implicit-def: $vgpr0_vgpr1
.LBB89_221:
	s_and_not1_saveexec_b32 s1, s1
	s_cbranch_execz .LBB89_223
; %bb.222:
	v_div_scale_f32 v2, null, v0, v0, v1
	v_div_scale_f32 v5, vcc_lo, v1, v0, v1
	s_delay_alu instid0(VALU_DEP_2) | instskip(SKIP_1) | instid1(TRANS32_DEP_1)
	v_rcp_f32_e32 v3, v2
	v_nop
	v_fma_f32 v4, -v2, v3, 1.0
	s_delay_alu instid0(VALU_DEP_1) | instskip(NEXT) | instid1(VALU_DEP_1)
	v_fmac_f32_e32 v3, v4, v3
	v_mul_f32_e32 v4, v5, v3
	s_delay_alu instid0(VALU_DEP_1) | instskip(NEXT) | instid1(VALU_DEP_1)
	v_fma_f32 v6, -v2, v4, v5
	v_fmac_f32_e32 v4, v6, v3
	s_delay_alu instid0(VALU_DEP_1) | instskip(NEXT) | instid1(VALU_DEP_1)
	v_fma_f32 v2, -v2, v4, v5
	v_div_fmas_f32 v2, v2, v3, v4
	s_delay_alu instid0(VALU_DEP_1) | instskip(NEXT) | instid1(VALU_DEP_1)
	v_div_fixup_f32 v3, v2, v0, v1
	v_fmac_f32_e32 v0, v1, v3
	s_delay_alu instid0(VALU_DEP_1) | instskip(NEXT) | instid1(VALU_DEP_1)
	v_div_scale_f32 v1, null, v0, v0, 1.0
	v_rcp_f32_e32 v2, v1
	v_nop
	s_delay_alu instid0(TRANS32_DEP_1) | instskip(NEXT) | instid1(VALU_DEP_1)
	v_fma_f32 v4, -v1, v2, 1.0
	v_fmac_f32_e32 v2, v4, v2
	v_div_scale_f32 v4, vcc_lo, 1.0, v0, 1.0
	s_delay_alu instid0(VALU_DEP_1) | instskip(NEXT) | instid1(VALU_DEP_1)
	v_mul_f32_e32 v5, v4, v2
	v_fma_f32 v6, -v1, v5, v4
	s_delay_alu instid0(VALU_DEP_1) | instskip(NEXT) | instid1(VALU_DEP_1)
	v_fmac_f32_e32 v5, v6, v2
	v_fma_f32 v1, -v1, v5, v4
	s_delay_alu instid0(VALU_DEP_1) | instskip(NEXT) | instid1(VALU_DEP_1)
	v_div_fmas_f32 v1, v1, v2, v5
	v_div_fixup_f32 v2, v1, v0, 1.0
	s_delay_alu instid0(VALU_DEP_1)
	v_mul_f32_e64 v3, v3, -v2
.LBB89_223:
	s_or_b32 exec_lo, exec_lo, s1
	ds_store_b64 v39, v[2:3]
.LBB89_224:
	s_or_b32 exec_lo, exec_lo, s2
	s_wait_dscnt 0x0
	s_barrier_signal -1
	s_barrier_wait -1
	ds_load_b64 v[230:231], v39
	s_mov_b32 s1, exec_lo
	v_cmpx_lt_u32_e32 24, v38
	s_cbranch_execz .LBB89_226
; %bb.225:
	ds_load_2addr_b64 v[4:7], v20 offset0:25 offset1:26
	s_wait_dscnt 0x1
	v_pk_mul_f32 v[2:3], v[230:231], v[112:113] op_sel:[1,1] op_sel_hi:[0,1]
	s_delay_alu instid0(VALU_DEP_1) | instskip(SKIP_1) | instid1(VALU_DEP_1)
	v_pk_fma_f32 v[0:1], v[230:231], v[112:113], v[2:3] op_sel_hi:[1,0,1] neg_lo:[0,0,1] neg_hi:[0,0,1]
	v_pk_fma_f32 v[2:3], v[230:231], v[112:113], v[2:3] op_sel_hi:[1,0,1]
	v_dual_mov_b32 v112, v0 :: v_dual_mov_b32 v113, v3
	s_wait_dscnt 0x0
	s_delay_alu instid0(VALU_DEP_2) | instskip(NEXT) | instid1(VALU_DEP_1)
	v_pk_mul_f32 v[8:9], v[4:5], v[2:3] op_sel:[0,1]
	v_pk_fma_f32 v[10:11], v[4:5], v[0:1], v[8:9] op_sel:[0,0,1] op_sel_hi:[1,1,0] neg_lo:[0,0,1] neg_hi:[0,0,1]
	v_pk_fma_f32 v[4:5], v[4:5], v[0:1], v[8:9] op_sel:[0,0,1] op_sel_hi:[1,0,0]
	s_delay_alu instid0(VALU_DEP_1) | instskip(SKIP_1) | instid1(VALU_DEP_1)
	v_mov_b32_e32 v11, v5
	v_pk_mul_f32 v[4:5], v[6:7], v[2:3] op_sel:[0,1]
	v_pk_fma_f32 v[8:9], v[6:7], v[0:1], v[4:5] op_sel:[0,0,1] op_sel_hi:[1,1,0] neg_lo:[0,0,1] neg_hi:[0,0,1]
	v_pk_fma_f32 v[4:5], v[6:7], v[0:1], v[4:5] op_sel:[0,0,1] op_sel_hi:[1,0,0]
	s_delay_alu instid0(VALU_DEP_1)
	v_mov_b32_e32 v9, v5
	ds_load_2addr_b64 v[4:7], v20 offset0:27 offset1:28
	v_pk_add_f32 v[108:109], v[108:109], v[10:11] neg_lo:[0,1] neg_hi:[0,1]
	v_pk_add_f32 v[110:111], v[110:111], v[8:9] neg_lo:[0,1] neg_hi:[0,1]
	s_wait_dscnt 0x0
	v_pk_mul_f32 v[8:9], v[4:5], v[2:3] op_sel:[0,1]
	s_delay_alu instid0(VALU_DEP_1) | instskip(SKIP_2) | instid1(VALU_DEP_2)
	v_pk_fma_f32 v[10:11], v[4:5], v[0:1], v[8:9] op_sel:[0,0,1] op_sel_hi:[1,1,0] neg_lo:[0,0,1] neg_hi:[0,0,1]
	v_pk_fma_f32 v[4:5], v[4:5], v[0:1], v[8:9] op_sel:[0,0,1] op_sel_hi:[1,0,0]
	v_dual_mul_f32 v8, v7, v3 :: v_dual_mov_b32 v4, v7
	v_dual_mov_b32 v11, v5 :: v_dual_mov_b32 v5, v6
	s_delay_alu instid0(VALU_DEP_2) | instskip(SKIP_1) | instid1(VALU_DEP_3)
	v_pk_fma_f32 v[8:9], v[6:7], v[112:113], v[8:9] op_sel_hi:[1,1,0] neg_lo:[0,0,1] neg_hi:[0,0,1]
	v_mul_f32_e32 v6, v7, v0
	v_pk_add_f32 v[106:107], v[106:107], v[10:11] neg_lo:[0,1] neg_hi:[0,1]
	s_delay_alu instid0(VALU_DEP_2) | instskip(NEXT) | instid1(VALU_DEP_1)
	v_pk_fma_f32 v[4:5], v[4:5], v[112:113], v[6:7] op_sel_hi:[1,1,0]
	v_mov_b32_e32 v9, v5
	ds_load_2addr_b64 v[4:7], v20 offset0:29 offset1:30
	v_pk_add_f32 v[128:129], v[128:129], v[8:9] neg_lo:[0,1] neg_hi:[0,1]
	s_wait_dscnt 0x0
	v_pk_mul_f32 v[8:9], v[4:5], v[2:3] op_sel:[0,1]
	s_delay_alu instid0(VALU_DEP_1) | instskip(SKIP_1) | instid1(VALU_DEP_1)
	v_pk_fma_f32 v[10:11], v[4:5], v[0:1], v[8:9] op_sel:[0,0,1] op_sel_hi:[1,1,0] neg_lo:[0,0,1] neg_hi:[0,0,1]
	v_pk_fma_f32 v[4:5], v[4:5], v[0:1], v[8:9] op_sel:[0,0,1] op_sel_hi:[1,0,0]
	v_mov_b32_e32 v11, v5
	v_pk_mul_f32 v[4:5], v[6:7], v[2:3] op_sel:[0,1]
	s_delay_alu instid0(VALU_DEP_1) | instskip(SKIP_1) | instid1(VALU_DEP_1)
	v_pk_fma_f32 v[8:9], v[6:7], v[0:1], v[4:5] op_sel:[0,0,1] op_sel_hi:[1,1,0] neg_lo:[0,0,1] neg_hi:[0,0,1]
	v_pk_fma_f32 v[4:5], v[6:7], v[0:1], v[4:5] op_sel:[0,0,1] op_sel_hi:[1,0,0]
	v_mov_b32_e32 v9, v5
	ds_load_2addr_b64 v[4:7], v20 offset0:31 offset1:32
	v_pk_add_f32 v[124:125], v[124:125], v[10:11] neg_lo:[0,1] neg_hi:[0,1]
	v_pk_add_f32 v[126:127], v[126:127], v[8:9] neg_lo:[0,1] neg_hi:[0,1]
	s_wait_dscnt 0x0
	v_pk_mul_f32 v[8:9], v[4:5], v[2:3] op_sel:[0,1]
	s_delay_alu instid0(VALU_DEP_1) | instskip(SKIP_1) | instid1(VALU_DEP_1)
	v_pk_fma_f32 v[10:11], v[4:5], v[0:1], v[8:9] op_sel:[0,0,1] op_sel_hi:[1,1,0] neg_lo:[0,0,1] neg_hi:[0,0,1]
	v_pk_fma_f32 v[4:5], v[4:5], v[0:1], v[8:9] op_sel:[0,0,1] op_sel_hi:[1,0,0]
	v_mov_b32_e32 v11, v5
	v_pk_mul_f32 v[4:5], v[6:7], v[2:3] op_sel:[0,1]
	s_delay_alu instid0(VALU_DEP_1) | instskip(SKIP_1) | instid1(VALU_DEP_1)
	v_pk_fma_f32 v[8:9], v[6:7], v[0:1], v[4:5] op_sel:[0,0,1] op_sel_hi:[1,1,0] neg_lo:[0,0,1] neg_hi:[0,0,1]
	v_pk_fma_f32 v[4:5], v[6:7], v[0:1], v[4:5] op_sel:[0,0,1] op_sel_hi:[1,0,0]
	v_mov_b32_e32 v9, v5
	ds_load_2addr_b64 v[4:7], v20 offset0:33 offset1:34
	v_pk_add_f32 v[122:123], v[122:123], v[10:11] neg_lo:[0,1] neg_hi:[0,1]
	v_pk_add_f32 v[150:151], v[150:151], v[8:9] neg_lo:[0,1] neg_hi:[0,1]
	s_wait_dscnt 0x0
	v_dual_mul_f32 v8, v5, v3 :: v_dual_mul_f32 v10, v5, v0
	s_delay_alu instid0(VALU_DEP_1) | instskip(NEXT) | instid1(VALU_DEP_2)
	v_pk_fma_f32 v[8:9], v[4:5], v[112:113], v[8:9] op_sel_hi:[1,1,0] neg_lo:[0,0,1] neg_hi:[0,0,1]
	v_pk_fma_f32 v[4:5], v[4:5], v[112:113], v[10:11] op_sel:[1,0,0] op_sel_hi:[0,1,0]
	s_delay_alu instid0(VALU_DEP_1) | instskip(SKIP_1) | instid1(VALU_DEP_2)
	v_mov_b32_e32 v9, v5
	v_pk_mul_f32 v[4:5], v[6:7], v[2:3] op_sel:[0,1]
	v_pk_add_f32 v[146:147], v[146:147], v[8:9] neg_lo:[0,1] neg_hi:[0,1]
	s_delay_alu instid0(VALU_DEP_2) | instskip(SKIP_1) | instid1(VALU_DEP_1)
	v_pk_fma_f32 v[8:9], v[6:7], v[0:1], v[4:5] op_sel:[0,0,1] op_sel_hi:[1,1,0] neg_lo:[0,0,1] neg_hi:[0,0,1]
	v_pk_fma_f32 v[4:5], v[6:7], v[0:1], v[4:5] op_sel:[0,0,1] op_sel_hi:[1,0,0]
	v_mov_b32_e32 v9, v5
	ds_load_2addr_b64 v[4:7], v20 offset0:35 offset1:36
	v_pk_add_f32 v[148:149], v[148:149], v[8:9] neg_lo:[0,1] neg_hi:[0,1]
	s_wait_dscnt 0x0
	v_pk_mul_f32 v[8:9], v[4:5], v[2:3] op_sel:[0,1]
	s_delay_alu instid0(VALU_DEP_1) | instskip(SKIP_1) | instid1(VALU_DEP_1)
	v_pk_fma_f32 v[10:11], v[4:5], v[0:1], v[8:9] op_sel:[0,0,1] op_sel_hi:[1,1,0] neg_lo:[0,0,1] neg_hi:[0,0,1]
	v_pk_fma_f32 v[4:5], v[4:5], v[0:1], v[8:9] op_sel:[0,0,1] op_sel_hi:[1,0,0]
	v_mov_b32_e32 v11, v5
	v_pk_mul_f32 v[4:5], v[6:7], v[2:3] op_sel:[0,1]
	s_delay_alu instid0(VALU_DEP_2) | instskip(NEXT) | instid1(VALU_DEP_2)
	v_pk_add_f32 v[144:145], v[144:145], v[10:11] neg_lo:[0,1] neg_hi:[0,1]
	v_pk_fma_f32 v[8:9], v[6:7], v[0:1], v[4:5] op_sel:[0,0,1] op_sel_hi:[1,1,0] neg_lo:[0,0,1] neg_hi:[0,0,1]
	v_pk_fma_f32 v[4:5], v[6:7], v[0:1], v[4:5] op_sel:[0,0,1] op_sel_hi:[1,0,0]
	s_delay_alu instid0(VALU_DEP_1) | instskip(SKIP_4) | instid1(VALU_DEP_1)
	v_mov_b32_e32 v9, v5
	ds_load_2addr_b64 v[4:7], v20 offset0:37 offset1:38
	v_pk_add_f32 v[174:175], v[174:175], v[8:9] neg_lo:[0,1] neg_hi:[0,1]
	s_wait_dscnt 0x0
	v_pk_mul_f32 v[8:9], v[4:5], v[2:3] op_sel:[0,1]
	v_pk_fma_f32 v[10:11], v[4:5], v[0:1], v[8:9] op_sel:[0,0,1] op_sel_hi:[1,1,0] neg_lo:[0,0,1] neg_hi:[0,0,1]
	v_pk_fma_f32 v[4:5], v[4:5], v[0:1], v[8:9] op_sel:[0,0,1] op_sel_hi:[1,0,0]
	v_dual_mul_f32 v8, v7, v3 :: v_dual_mov_b32 v4, v7
	s_delay_alu instid0(VALU_DEP_2) | instskip(NEXT) | instid1(VALU_DEP_2)
	v_dual_mov_b32 v11, v5 :: v_dual_mov_b32 v5, v6
	v_pk_fma_f32 v[8:9], v[6:7], v[112:113], v[8:9] op_sel_hi:[1,1,0] neg_lo:[0,0,1] neg_hi:[0,0,1]
	v_mul_f32_e32 v6, v7, v0
	s_delay_alu instid0(VALU_DEP_3) | instskip(NEXT) | instid1(VALU_DEP_2)
	v_pk_add_f32 v[166:167], v[166:167], v[10:11] neg_lo:[0,1] neg_hi:[0,1]
	v_pk_fma_f32 v[4:5], v[4:5], v[112:113], v[6:7] op_sel_hi:[1,1,0]
	s_delay_alu instid0(VALU_DEP_1) | instskip(SKIP_4) | instid1(VALU_DEP_1)
	v_mov_b32_e32 v9, v5
	ds_load_2addr_b64 v[4:7], v20 offset0:39 offset1:40
	v_pk_add_f32 v[172:173], v[172:173], v[8:9] neg_lo:[0,1] neg_hi:[0,1]
	s_wait_dscnt 0x0
	v_pk_mul_f32 v[8:9], v[4:5], v[2:3] op_sel:[0,1]
	v_pk_fma_f32 v[10:11], v[4:5], v[0:1], v[8:9] op_sel:[0,0,1] op_sel_hi:[1,1,0] neg_lo:[0,0,1] neg_hi:[0,0,1]
	v_pk_fma_f32 v[4:5], v[4:5], v[0:1], v[8:9] op_sel:[0,0,1] op_sel_hi:[1,0,0]
	s_delay_alu instid0(VALU_DEP_1) | instskip(SKIP_1) | instid1(VALU_DEP_1)
	v_mov_b32_e32 v11, v5
	v_pk_mul_f32 v[4:5], v[6:7], v[2:3] op_sel:[0,1]
	v_pk_fma_f32 v[8:9], v[6:7], v[0:1], v[4:5] op_sel:[0,0,1] op_sel_hi:[1,1,0] neg_lo:[0,0,1] neg_hi:[0,0,1]
	v_pk_fma_f32 v[4:5], v[6:7], v[0:1], v[4:5] op_sel:[0,0,1] op_sel_hi:[1,0,0]
	s_delay_alu instid0(VALU_DEP_1)
	v_mov_b32_e32 v9, v5
	ds_load_2addr_b64 v[4:7], v20 offset0:41 offset1:42
	v_pk_add_f32 v[164:165], v[164:165], v[10:11] neg_lo:[0,1] neg_hi:[0,1]
	v_pk_add_f32 v[170:171], v[170:171], v[8:9] neg_lo:[0,1] neg_hi:[0,1]
	s_wait_dscnt 0x0
	v_pk_mul_f32 v[8:9], v[4:5], v[2:3] op_sel:[0,1]
	s_delay_alu instid0(VALU_DEP_1) | instskip(SKIP_1) | instid1(VALU_DEP_1)
	v_pk_fma_f32 v[10:11], v[4:5], v[0:1], v[8:9] op_sel:[0,0,1] op_sel_hi:[1,1,0] neg_lo:[0,0,1] neg_hi:[0,0,1]
	v_pk_fma_f32 v[4:5], v[4:5], v[0:1], v[8:9] op_sel:[0,0,1] op_sel_hi:[1,0,0]
	v_mov_b32_e32 v11, v5
	v_pk_mul_f32 v[4:5], v[6:7], v[2:3] op_sel:[0,1]
	s_delay_alu instid0(VALU_DEP_1) | instskip(SKIP_1) | instid1(VALU_DEP_1)
	v_pk_fma_f32 v[8:9], v[6:7], v[0:1], v[4:5] op_sel:[0,0,1] op_sel_hi:[1,1,0] neg_lo:[0,0,1] neg_hi:[0,0,1]
	v_pk_fma_f32 v[4:5], v[6:7], v[0:1], v[4:5] op_sel:[0,0,1] op_sel_hi:[1,0,0]
	v_mov_b32_e32 v9, v5
	ds_load_2addr_b64 v[4:7], v20 offset0:43 offset1:44
	v_pk_add_f32 v[162:163], v[162:163], v[10:11] neg_lo:[0,1] neg_hi:[0,1]
	v_pk_add_f32 v[168:169], v[168:169], v[8:9] neg_lo:[0,1] neg_hi:[0,1]
	s_wait_dscnt 0x0
	v_dual_mul_f32 v8, v5, v3 :: v_dual_mul_f32 v10, v5, v0
	v_pk_mul_f32 v[2:3], v[6:7], v[2:3] op_sel:[0,1]
	s_delay_alu instid0(VALU_DEP_2) | instskip(NEXT) | instid1(VALU_DEP_3)
	v_pk_fma_f32 v[8:9], v[4:5], v[112:113], v[8:9] op_sel_hi:[1,1,0] neg_lo:[0,0,1] neg_hi:[0,0,1]
	v_pk_fma_f32 v[4:5], v[4:5], v[112:113], v[10:11] op_sel:[1,0,0] op_sel_hi:[0,1,0]
	s_delay_alu instid0(VALU_DEP_1) | instskip(NEXT) | instid1(VALU_DEP_4)
	v_mov_b32_e32 v9, v5
	v_pk_fma_f32 v[4:5], v[6:7], v[0:1], v[2:3] op_sel:[0,0,1] op_sel_hi:[1,1,0] neg_lo:[0,0,1] neg_hi:[0,0,1]
	v_pk_fma_f32 v[0:1], v[6:7], v[0:1], v[2:3] op_sel:[0,0,1] op_sel_hi:[1,0,0]
	s_delay_alu instid0(VALU_DEP_1) | instskip(NEXT) | instid1(VALU_DEP_4)
	v_mov_b32_e32 v5, v1
	v_pk_add_f32 v[176:177], v[176:177], v[8:9] neg_lo:[0,1] neg_hi:[0,1]
	s_delay_alu instid0(VALU_DEP_2)
	v_pk_add_f32 v[180:181], v[180:181], v[4:5] neg_lo:[0,1] neg_hi:[0,1]
.LBB89_226:
	s_or_b32 exec_lo, exec_lo, s1
	s_delay_alu instid0(SALU_CYCLE_1)
	s_mov_b32 s2, exec_lo
	s_wait_dscnt 0x0
	s_barrier_signal -1
	s_barrier_wait -1
	v_cmpx_eq_u32_e32 25, v38
	s_cbranch_execz .LBB89_233
; %bb.227:
	v_dual_mov_b32 v0, v110 :: v_dual_mov_b32 v1, v111
	v_dual_mov_b32 v2, v106 :: v_dual_mov_b32 v3, v107
	;; [unrolled: 1-line block ×8, first 2 shown]
	ds_store_b64 v39, v[108:109]
	ds_store_2addr_b64 v20, v[0:1], v[2:3] offset0:26 offset1:27
	ds_store_2addr_b64 v20, v[4:5], v[6:7] offset0:28 offset1:29
	;; [unrolled: 1-line block ×4, first 2 shown]
	v_dual_mov_b32 v0, v148 :: v_dual_mov_b32 v1, v149
	v_dual_mov_b32 v2, v144 :: v_dual_mov_b32 v3, v145
	;; [unrolled: 1-line block ×10, first 2 shown]
	ds_store_2addr_b64 v20, v[0:1], v[2:3] offset0:34 offset1:35
	ds_store_2addr_b64 v20, v[4:5], v[6:7] offset0:36 offset1:37
	;; [unrolled: 1-line block ×5, first 2 shown]
	ds_store_b64 v20, v[180:181] offset:352
	ds_load_b64 v[0:1], v39
	s_wait_dscnt 0x0
	v_cmp_neq_f32_e32 vcc_lo, 0, v0
	v_cmp_neq_f32_e64 s1, 0, v1
	s_or_b32 s1, vcc_lo, s1
	s_delay_alu instid0(SALU_CYCLE_1)
	s_and_b32 exec_lo, exec_lo, s1
	s_cbranch_execz .LBB89_233
; %bb.228:
	v_cmp_ngt_f32_e64 s1, |v0|, |v1|
                                        ; implicit-def: $vgpr2_vgpr3
	s_and_saveexec_b32 s4, s1
	s_delay_alu instid0(SALU_CYCLE_1)
	s_xor_b32 s1, exec_lo, s4
	s_cbranch_execz .LBB89_230
; %bb.229:
	v_div_scale_f32 v2, null, v1, v1, v0
	v_div_scale_f32 v5, vcc_lo, v0, v1, v0
	s_delay_alu instid0(VALU_DEP_2) | instskip(SKIP_1) | instid1(TRANS32_DEP_1)
	v_rcp_f32_e32 v3, v2
	v_nop
	v_fma_f32 v4, -v2, v3, 1.0
	s_delay_alu instid0(VALU_DEP_1) | instskip(NEXT) | instid1(VALU_DEP_1)
	v_fmac_f32_e32 v3, v4, v3
	v_mul_f32_e32 v4, v5, v3
	s_delay_alu instid0(VALU_DEP_1) | instskip(NEXT) | instid1(VALU_DEP_1)
	v_fma_f32 v6, -v2, v4, v5
	v_fmac_f32_e32 v4, v6, v3
	s_delay_alu instid0(VALU_DEP_1) | instskip(NEXT) | instid1(VALU_DEP_1)
	v_fma_f32 v2, -v2, v4, v5
	v_div_fmas_f32 v2, v2, v3, v4
	s_delay_alu instid0(VALU_DEP_1) | instskip(NEXT) | instid1(VALU_DEP_1)
	v_div_fixup_f32 v2, v2, v1, v0
	v_fmac_f32_e32 v1, v0, v2
	s_delay_alu instid0(VALU_DEP_1) | instskip(SKIP_1) | instid1(VALU_DEP_2)
	v_div_scale_f32 v0, null, v1, v1, 1.0
	v_div_scale_f32 v5, vcc_lo, 1.0, v1, 1.0
	v_rcp_f32_e32 v3, v0
	v_nop
	s_delay_alu instid0(TRANS32_DEP_1) | instskip(NEXT) | instid1(VALU_DEP_1)
	v_fma_f32 v4, -v0, v3, 1.0
	v_fmac_f32_e32 v3, v4, v3
	s_delay_alu instid0(VALU_DEP_1) | instskip(NEXT) | instid1(VALU_DEP_1)
	v_mul_f32_e32 v4, v5, v3
	v_fma_f32 v6, -v0, v4, v5
	s_delay_alu instid0(VALU_DEP_1) | instskip(NEXT) | instid1(VALU_DEP_1)
	v_fmac_f32_e32 v4, v6, v3
	v_fma_f32 v0, -v0, v4, v5
	s_delay_alu instid0(VALU_DEP_1) | instskip(NEXT) | instid1(VALU_DEP_1)
	v_div_fmas_f32 v0, v0, v3, v4
	v_div_fixup_f32 v0, v0, v1, 1.0
	s_delay_alu instid0(VALU_DEP_1)
	v_mul_f32_e32 v2, v2, v0
	v_xor_b32_e32 v3, 0x80000000, v0
                                        ; implicit-def: $vgpr0_vgpr1
.LBB89_230:
	s_and_not1_saveexec_b32 s1, s1
	s_cbranch_execz .LBB89_232
; %bb.231:
	v_div_scale_f32 v2, null, v0, v0, v1
	v_div_scale_f32 v5, vcc_lo, v1, v0, v1
	s_delay_alu instid0(VALU_DEP_2) | instskip(SKIP_1) | instid1(TRANS32_DEP_1)
	v_rcp_f32_e32 v3, v2
	v_nop
	v_fma_f32 v4, -v2, v3, 1.0
	s_delay_alu instid0(VALU_DEP_1) | instskip(NEXT) | instid1(VALU_DEP_1)
	v_fmac_f32_e32 v3, v4, v3
	v_mul_f32_e32 v4, v5, v3
	s_delay_alu instid0(VALU_DEP_1) | instskip(NEXT) | instid1(VALU_DEP_1)
	v_fma_f32 v6, -v2, v4, v5
	v_fmac_f32_e32 v4, v6, v3
	s_delay_alu instid0(VALU_DEP_1) | instskip(NEXT) | instid1(VALU_DEP_1)
	v_fma_f32 v2, -v2, v4, v5
	v_div_fmas_f32 v2, v2, v3, v4
	s_delay_alu instid0(VALU_DEP_1) | instskip(NEXT) | instid1(VALU_DEP_1)
	v_div_fixup_f32 v3, v2, v0, v1
	v_fmac_f32_e32 v0, v1, v3
	s_delay_alu instid0(VALU_DEP_1) | instskip(NEXT) | instid1(VALU_DEP_1)
	v_div_scale_f32 v1, null, v0, v0, 1.0
	v_rcp_f32_e32 v2, v1
	v_nop
	s_delay_alu instid0(TRANS32_DEP_1) | instskip(NEXT) | instid1(VALU_DEP_1)
	v_fma_f32 v4, -v1, v2, 1.0
	v_fmac_f32_e32 v2, v4, v2
	v_div_scale_f32 v4, vcc_lo, 1.0, v0, 1.0
	s_delay_alu instid0(VALU_DEP_1) | instskip(NEXT) | instid1(VALU_DEP_1)
	v_mul_f32_e32 v5, v4, v2
	v_fma_f32 v6, -v1, v5, v4
	s_delay_alu instid0(VALU_DEP_1) | instskip(NEXT) | instid1(VALU_DEP_1)
	v_fmac_f32_e32 v5, v6, v2
	v_fma_f32 v1, -v1, v5, v4
	s_delay_alu instid0(VALU_DEP_1) | instskip(NEXT) | instid1(VALU_DEP_1)
	v_div_fmas_f32 v1, v1, v2, v5
	v_div_fixup_f32 v2, v1, v0, 1.0
	s_delay_alu instid0(VALU_DEP_1)
	v_mul_f32_e64 v3, v3, -v2
.LBB89_232:
	s_or_b32 exec_lo, exec_lo, s1
	ds_store_b64 v39, v[2:3]
.LBB89_233:
	s_or_b32 exec_lo, exec_lo, s2
	s_wait_dscnt 0x0
	s_barrier_signal -1
	s_barrier_wait -1
	ds_load_b64 v[232:233], v39
	s_mov_b32 s1, exec_lo
	v_cmpx_lt_u32_e32 25, v38
	s_cbranch_execz .LBB89_235
; %bb.234:
	ds_load_2addr_b64 v[4:7], v20 offset0:26 offset1:27
	s_wait_dscnt 0x1
	v_pk_mul_f32 v[2:3], v[232:233], v[108:109] op_sel:[1,1] op_sel_hi:[0,1]
	s_delay_alu instid0(VALU_DEP_1) | instskip(SKIP_1) | instid1(VALU_DEP_1)
	v_pk_fma_f32 v[0:1], v[232:233], v[108:109], v[2:3] op_sel_hi:[1,0,1] neg_lo:[0,0,1] neg_hi:[0,0,1]
	v_pk_fma_f32 v[2:3], v[232:233], v[108:109], v[2:3] op_sel_hi:[1,0,1]
	v_dual_mov_b32 v108, v0 :: v_dual_mov_b32 v109, v3
	s_wait_dscnt 0x0
	s_delay_alu instid0(VALU_DEP_2) | instskip(NEXT) | instid1(VALU_DEP_1)
	v_pk_mul_f32 v[8:9], v[4:5], v[2:3] op_sel:[0,1]
	v_pk_fma_f32 v[10:11], v[4:5], v[0:1], v[8:9] op_sel:[0,0,1] op_sel_hi:[1,1,0] neg_lo:[0,0,1] neg_hi:[0,0,1]
	v_pk_fma_f32 v[4:5], v[4:5], v[0:1], v[8:9] op_sel:[0,0,1] op_sel_hi:[1,0,0]
	s_delay_alu instid0(VALU_DEP_1) | instskip(SKIP_1) | instid1(VALU_DEP_1)
	v_mov_b32_e32 v11, v5
	v_pk_mul_f32 v[4:5], v[6:7], v[2:3] op_sel:[0,1]
	v_pk_fma_f32 v[8:9], v[6:7], v[0:1], v[4:5] op_sel:[0,0,1] op_sel_hi:[1,1,0] neg_lo:[0,0,1] neg_hi:[0,0,1]
	v_pk_fma_f32 v[4:5], v[6:7], v[0:1], v[4:5] op_sel:[0,0,1] op_sel_hi:[1,0,0]
	s_delay_alu instid0(VALU_DEP_1)
	v_mov_b32_e32 v9, v5
	ds_load_2addr_b64 v[4:7], v20 offset0:28 offset1:29
	v_pk_add_f32 v[110:111], v[110:111], v[10:11] neg_lo:[0,1] neg_hi:[0,1]
	v_pk_add_f32 v[106:107], v[106:107], v[8:9] neg_lo:[0,1] neg_hi:[0,1]
	s_wait_dscnt 0x0
	v_pk_mul_f32 v[8:9], v[4:5], v[2:3] op_sel:[0,1]
	s_delay_alu instid0(VALU_DEP_1) | instskip(SKIP_2) | instid1(VALU_DEP_2)
	v_pk_fma_f32 v[10:11], v[4:5], v[0:1], v[8:9] op_sel:[0,0,1] op_sel_hi:[1,1,0] neg_lo:[0,0,1] neg_hi:[0,0,1]
	v_pk_fma_f32 v[4:5], v[4:5], v[0:1], v[8:9] op_sel:[0,0,1] op_sel_hi:[1,0,0]
	v_dual_mul_f32 v8, v7, v3 :: v_dual_mov_b32 v4, v7
	v_dual_mov_b32 v11, v5 :: v_dual_mov_b32 v5, v6
	s_delay_alu instid0(VALU_DEP_2) | instskip(SKIP_1) | instid1(VALU_DEP_3)
	v_pk_fma_f32 v[8:9], v[6:7], v[108:109], v[8:9] op_sel_hi:[1,1,0] neg_lo:[0,0,1] neg_hi:[0,0,1]
	v_mul_f32_e32 v6, v7, v0
	v_pk_add_f32 v[128:129], v[128:129], v[10:11] neg_lo:[0,1] neg_hi:[0,1]
	s_delay_alu instid0(VALU_DEP_2) | instskip(NEXT) | instid1(VALU_DEP_1)
	v_pk_fma_f32 v[4:5], v[4:5], v[108:109], v[6:7] op_sel_hi:[1,1,0]
	v_mov_b32_e32 v9, v5
	ds_load_2addr_b64 v[4:7], v20 offset0:30 offset1:31
	v_pk_add_f32 v[124:125], v[124:125], v[8:9] neg_lo:[0,1] neg_hi:[0,1]
	s_wait_dscnt 0x0
	v_pk_mul_f32 v[8:9], v[4:5], v[2:3] op_sel:[0,1]
	s_delay_alu instid0(VALU_DEP_1) | instskip(SKIP_1) | instid1(VALU_DEP_1)
	v_pk_fma_f32 v[10:11], v[4:5], v[0:1], v[8:9] op_sel:[0,0,1] op_sel_hi:[1,1,0] neg_lo:[0,0,1] neg_hi:[0,0,1]
	v_pk_fma_f32 v[4:5], v[4:5], v[0:1], v[8:9] op_sel:[0,0,1] op_sel_hi:[1,0,0]
	v_mov_b32_e32 v11, v5
	v_pk_mul_f32 v[4:5], v[6:7], v[2:3] op_sel:[0,1]
	s_delay_alu instid0(VALU_DEP_1) | instskip(SKIP_1) | instid1(VALU_DEP_1)
	v_pk_fma_f32 v[8:9], v[6:7], v[0:1], v[4:5] op_sel:[0,0,1] op_sel_hi:[1,1,0] neg_lo:[0,0,1] neg_hi:[0,0,1]
	v_pk_fma_f32 v[4:5], v[6:7], v[0:1], v[4:5] op_sel:[0,0,1] op_sel_hi:[1,0,0]
	v_mov_b32_e32 v9, v5
	ds_load_2addr_b64 v[4:7], v20 offset0:32 offset1:33
	v_pk_add_f32 v[126:127], v[126:127], v[10:11] neg_lo:[0,1] neg_hi:[0,1]
	v_pk_add_f32 v[122:123], v[122:123], v[8:9] neg_lo:[0,1] neg_hi:[0,1]
	s_wait_dscnt 0x0
	v_pk_mul_f32 v[8:9], v[4:5], v[2:3] op_sel:[0,1]
	s_delay_alu instid0(VALU_DEP_1) | instskip(SKIP_1) | instid1(VALU_DEP_1)
	v_pk_fma_f32 v[10:11], v[4:5], v[0:1], v[8:9] op_sel:[0,0,1] op_sel_hi:[1,1,0] neg_lo:[0,0,1] neg_hi:[0,0,1]
	v_pk_fma_f32 v[4:5], v[4:5], v[0:1], v[8:9] op_sel:[0,0,1] op_sel_hi:[1,0,0]
	v_mov_b32_e32 v11, v5
	v_pk_mul_f32 v[4:5], v[6:7], v[2:3] op_sel:[0,1]
	s_delay_alu instid0(VALU_DEP_1) | instskip(SKIP_1) | instid1(VALU_DEP_1)
	v_pk_fma_f32 v[8:9], v[6:7], v[0:1], v[4:5] op_sel:[0,0,1] op_sel_hi:[1,1,0] neg_lo:[0,0,1] neg_hi:[0,0,1]
	v_pk_fma_f32 v[4:5], v[6:7], v[0:1], v[4:5] op_sel:[0,0,1] op_sel_hi:[1,0,0]
	v_mov_b32_e32 v9, v5
	ds_load_2addr_b64 v[4:7], v20 offset0:34 offset1:35
	v_pk_add_f32 v[150:151], v[150:151], v[10:11] neg_lo:[0,1] neg_hi:[0,1]
	v_pk_add_f32 v[146:147], v[146:147], v[8:9] neg_lo:[0,1] neg_hi:[0,1]
	s_wait_dscnt 0x0
	v_dual_mul_f32 v8, v5, v3 :: v_dual_mul_f32 v10, v5, v0
	s_delay_alu instid0(VALU_DEP_1) | instskip(NEXT) | instid1(VALU_DEP_2)
	v_pk_fma_f32 v[8:9], v[4:5], v[108:109], v[8:9] op_sel_hi:[1,1,0] neg_lo:[0,0,1] neg_hi:[0,0,1]
	v_pk_fma_f32 v[4:5], v[4:5], v[108:109], v[10:11] op_sel:[1,0,0] op_sel_hi:[0,1,0]
	s_delay_alu instid0(VALU_DEP_1) | instskip(SKIP_1) | instid1(VALU_DEP_2)
	v_mov_b32_e32 v9, v5
	v_pk_mul_f32 v[4:5], v[6:7], v[2:3] op_sel:[0,1]
	v_pk_add_f32 v[148:149], v[148:149], v[8:9] neg_lo:[0,1] neg_hi:[0,1]
	s_delay_alu instid0(VALU_DEP_2) | instskip(SKIP_1) | instid1(VALU_DEP_1)
	v_pk_fma_f32 v[8:9], v[6:7], v[0:1], v[4:5] op_sel:[0,0,1] op_sel_hi:[1,1,0] neg_lo:[0,0,1] neg_hi:[0,0,1]
	v_pk_fma_f32 v[4:5], v[6:7], v[0:1], v[4:5] op_sel:[0,0,1] op_sel_hi:[1,0,0]
	v_mov_b32_e32 v9, v5
	ds_load_2addr_b64 v[4:7], v20 offset0:36 offset1:37
	v_pk_add_f32 v[144:145], v[144:145], v[8:9] neg_lo:[0,1] neg_hi:[0,1]
	s_wait_dscnt 0x0
	v_pk_mul_f32 v[8:9], v[4:5], v[2:3] op_sel:[0,1]
	s_delay_alu instid0(VALU_DEP_1) | instskip(SKIP_1) | instid1(VALU_DEP_1)
	v_pk_fma_f32 v[10:11], v[4:5], v[0:1], v[8:9] op_sel:[0,0,1] op_sel_hi:[1,1,0] neg_lo:[0,0,1] neg_hi:[0,0,1]
	v_pk_fma_f32 v[4:5], v[4:5], v[0:1], v[8:9] op_sel:[0,0,1] op_sel_hi:[1,0,0]
	v_mov_b32_e32 v11, v5
	v_pk_mul_f32 v[4:5], v[6:7], v[2:3] op_sel:[0,1]
	s_delay_alu instid0(VALU_DEP_2) | instskip(NEXT) | instid1(VALU_DEP_2)
	v_pk_add_f32 v[174:175], v[174:175], v[10:11] neg_lo:[0,1] neg_hi:[0,1]
	v_pk_fma_f32 v[8:9], v[6:7], v[0:1], v[4:5] op_sel:[0,0,1] op_sel_hi:[1,1,0] neg_lo:[0,0,1] neg_hi:[0,0,1]
	v_pk_fma_f32 v[4:5], v[6:7], v[0:1], v[4:5] op_sel:[0,0,1] op_sel_hi:[1,0,0]
	s_delay_alu instid0(VALU_DEP_1) | instskip(SKIP_4) | instid1(VALU_DEP_1)
	v_mov_b32_e32 v9, v5
	ds_load_2addr_b64 v[4:7], v20 offset0:38 offset1:39
	v_pk_add_f32 v[166:167], v[166:167], v[8:9] neg_lo:[0,1] neg_hi:[0,1]
	s_wait_dscnt 0x0
	v_pk_mul_f32 v[8:9], v[4:5], v[2:3] op_sel:[0,1]
	v_pk_fma_f32 v[10:11], v[4:5], v[0:1], v[8:9] op_sel:[0,0,1] op_sel_hi:[1,1,0] neg_lo:[0,0,1] neg_hi:[0,0,1]
	v_pk_fma_f32 v[4:5], v[4:5], v[0:1], v[8:9] op_sel:[0,0,1] op_sel_hi:[1,0,0]
	v_dual_mul_f32 v8, v7, v3 :: v_dual_mov_b32 v4, v7
	s_delay_alu instid0(VALU_DEP_2) | instskip(NEXT) | instid1(VALU_DEP_2)
	v_dual_mov_b32 v11, v5 :: v_dual_mov_b32 v5, v6
	v_pk_fma_f32 v[8:9], v[6:7], v[108:109], v[8:9] op_sel_hi:[1,1,0] neg_lo:[0,0,1] neg_hi:[0,0,1]
	v_mul_f32_e32 v6, v7, v0
	s_delay_alu instid0(VALU_DEP_3) | instskip(NEXT) | instid1(VALU_DEP_2)
	v_pk_add_f32 v[172:173], v[172:173], v[10:11] neg_lo:[0,1] neg_hi:[0,1]
	v_pk_fma_f32 v[4:5], v[4:5], v[108:109], v[6:7] op_sel_hi:[1,1,0]
	s_delay_alu instid0(VALU_DEP_1) | instskip(SKIP_4) | instid1(VALU_DEP_1)
	v_mov_b32_e32 v9, v5
	ds_load_2addr_b64 v[4:7], v20 offset0:40 offset1:41
	v_pk_add_f32 v[164:165], v[164:165], v[8:9] neg_lo:[0,1] neg_hi:[0,1]
	s_wait_dscnt 0x0
	v_pk_mul_f32 v[8:9], v[4:5], v[2:3] op_sel:[0,1]
	v_pk_fma_f32 v[10:11], v[4:5], v[0:1], v[8:9] op_sel:[0,0,1] op_sel_hi:[1,1,0] neg_lo:[0,0,1] neg_hi:[0,0,1]
	v_pk_fma_f32 v[4:5], v[4:5], v[0:1], v[8:9] op_sel:[0,0,1] op_sel_hi:[1,0,0]
	s_delay_alu instid0(VALU_DEP_1) | instskip(SKIP_1) | instid1(VALU_DEP_1)
	v_mov_b32_e32 v11, v5
	v_pk_mul_f32 v[4:5], v[6:7], v[2:3] op_sel:[0,1]
	v_pk_fma_f32 v[8:9], v[6:7], v[0:1], v[4:5] op_sel:[0,0,1] op_sel_hi:[1,1,0] neg_lo:[0,0,1] neg_hi:[0,0,1]
	v_pk_fma_f32 v[4:5], v[6:7], v[0:1], v[4:5] op_sel:[0,0,1] op_sel_hi:[1,0,0]
	s_delay_alu instid0(VALU_DEP_1)
	v_mov_b32_e32 v9, v5
	ds_load_2addr_b64 v[4:7], v20 offset0:42 offset1:43
	v_pk_add_f32 v[170:171], v[170:171], v[10:11] neg_lo:[0,1] neg_hi:[0,1]
	v_pk_add_f32 v[162:163], v[162:163], v[8:9] neg_lo:[0,1] neg_hi:[0,1]
	s_wait_dscnt 0x0
	v_pk_mul_f32 v[8:9], v[4:5], v[2:3] op_sel:[0,1]
	s_delay_alu instid0(VALU_DEP_1) | instskip(SKIP_1) | instid1(VALU_DEP_1)
	v_pk_fma_f32 v[10:11], v[4:5], v[0:1], v[8:9] op_sel:[0,0,1] op_sel_hi:[1,1,0] neg_lo:[0,0,1] neg_hi:[0,0,1]
	v_pk_fma_f32 v[4:5], v[4:5], v[0:1], v[8:9] op_sel:[0,0,1] op_sel_hi:[1,0,0]
	v_mov_b32_e32 v11, v5
	v_pk_mul_f32 v[4:5], v[6:7], v[2:3] op_sel:[0,1]
	s_delay_alu instid0(VALU_DEP_1) | instskip(SKIP_1) | instid1(VALU_DEP_1)
	v_pk_fma_f32 v[8:9], v[6:7], v[0:1], v[4:5] op_sel:[0,0,1] op_sel_hi:[1,1,0] neg_lo:[0,0,1] neg_hi:[0,0,1]
	v_pk_fma_f32 v[4:5], v[6:7], v[0:1], v[4:5] op_sel:[0,0,1] op_sel_hi:[1,0,0]
	v_mov_b32_e32 v9, v5
	ds_load_b64 v[4:5], v20 offset:352
	v_pk_add_f32 v[168:169], v[168:169], v[10:11] neg_lo:[0,1] neg_hi:[0,1]
	v_pk_add_f32 v[176:177], v[176:177], v[8:9] neg_lo:[0,1] neg_hi:[0,1]
	s_wait_dscnt 0x0
	v_pk_mul_f32 v[2:3], v[4:5], v[2:3] op_sel:[0,1]
	s_delay_alu instid0(VALU_DEP_1) | instskip(SKIP_1) | instid1(VALU_DEP_1)
	v_pk_fma_f32 v[6:7], v[4:5], v[0:1], v[2:3] op_sel:[0,0,1] op_sel_hi:[1,1,0] neg_lo:[0,0,1] neg_hi:[0,0,1]
	v_pk_fma_f32 v[0:1], v[4:5], v[0:1], v[2:3] op_sel:[0,0,1] op_sel_hi:[1,0,0]
	v_mov_b32_e32 v7, v1
	s_delay_alu instid0(VALU_DEP_1)
	v_pk_add_f32 v[180:181], v[180:181], v[6:7] neg_lo:[0,1] neg_hi:[0,1]
.LBB89_235:
	s_or_b32 exec_lo, exec_lo, s1
	s_delay_alu instid0(SALU_CYCLE_1)
	s_mov_b32 s2, exec_lo
	s_wait_dscnt 0x0
	s_barrier_signal -1
	s_barrier_wait -1
	v_cmpx_eq_u32_e32 26, v38
	s_cbranch_execz .LBB89_242
; %bb.236:
	ds_store_b64 v39, v[110:111]
	ds_store_2addr_b64 v20, v[106:107], v[128:129] offset0:27 offset1:28
	ds_store_2addr_b64 v20, v[124:125], v[126:127] offset0:29 offset1:30
	ds_store_2addr_b64 v20, v[122:123], v[150:151] offset0:31 offset1:32
	ds_store_2addr_b64 v20, v[146:147], v[148:149] offset0:33 offset1:34
	ds_store_2addr_b64 v20, v[144:145], v[174:175] offset0:35 offset1:36
	ds_store_2addr_b64 v20, v[166:167], v[172:173] offset0:37 offset1:38
	ds_store_2addr_b64 v20, v[164:165], v[170:171] offset0:39 offset1:40
	ds_store_2addr_b64 v20, v[162:163], v[168:169] offset0:41 offset1:42
	ds_store_2addr_b64 v20, v[176:177], v[180:181] offset0:43 offset1:44
	ds_load_b64 v[0:1], v39
	s_wait_dscnt 0x0
	v_cmp_neq_f32_e32 vcc_lo, 0, v0
	v_cmp_neq_f32_e64 s1, 0, v1
	s_or_b32 s1, vcc_lo, s1
	s_delay_alu instid0(SALU_CYCLE_1)
	s_and_b32 exec_lo, exec_lo, s1
	s_cbranch_execz .LBB89_242
; %bb.237:
	v_cmp_ngt_f32_e64 s1, |v0|, |v1|
                                        ; implicit-def: $vgpr2_vgpr3
	s_and_saveexec_b32 s4, s1
	s_delay_alu instid0(SALU_CYCLE_1)
	s_xor_b32 s1, exec_lo, s4
	s_cbranch_execz .LBB89_239
; %bb.238:
	v_div_scale_f32 v2, null, v1, v1, v0
	v_div_scale_f32 v5, vcc_lo, v0, v1, v0
	s_delay_alu instid0(VALU_DEP_2) | instskip(SKIP_1) | instid1(TRANS32_DEP_1)
	v_rcp_f32_e32 v3, v2
	v_nop
	v_fma_f32 v4, -v2, v3, 1.0
	s_delay_alu instid0(VALU_DEP_1) | instskip(NEXT) | instid1(VALU_DEP_1)
	v_fmac_f32_e32 v3, v4, v3
	v_mul_f32_e32 v4, v5, v3
	s_delay_alu instid0(VALU_DEP_1) | instskip(NEXT) | instid1(VALU_DEP_1)
	v_fma_f32 v6, -v2, v4, v5
	v_fmac_f32_e32 v4, v6, v3
	s_delay_alu instid0(VALU_DEP_1) | instskip(NEXT) | instid1(VALU_DEP_1)
	v_fma_f32 v2, -v2, v4, v5
	v_div_fmas_f32 v2, v2, v3, v4
	s_delay_alu instid0(VALU_DEP_1) | instskip(NEXT) | instid1(VALU_DEP_1)
	v_div_fixup_f32 v2, v2, v1, v0
	v_fmac_f32_e32 v1, v0, v2
	s_delay_alu instid0(VALU_DEP_1) | instskip(SKIP_1) | instid1(VALU_DEP_2)
	v_div_scale_f32 v0, null, v1, v1, 1.0
	v_div_scale_f32 v5, vcc_lo, 1.0, v1, 1.0
	v_rcp_f32_e32 v3, v0
	v_nop
	s_delay_alu instid0(TRANS32_DEP_1) | instskip(NEXT) | instid1(VALU_DEP_1)
	v_fma_f32 v4, -v0, v3, 1.0
	v_fmac_f32_e32 v3, v4, v3
	s_delay_alu instid0(VALU_DEP_1) | instskip(NEXT) | instid1(VALU_DEP_1)
	v_mul_f32_e32 v4, v5, v3
	v_fma_f32 v6, -v0, v4, v5
	s_delay_alu instid0(VALU_DEP_1) | instskip(NEXT) | instid1(VALU_DEP_1)
	v_fmac_f32_e32 v4, v6, v3
	v_fma_f32 v0, -v0, v4, v5
	s_delay_alu instid0(VALU_DEP_1) | instskip(NEXT) | instid1(VALU_DEP_1)
	v_div_fmas_f32 v0, v0, v3, v4
	v_div_fixup_f32 v0, v0, v1, 1.0
	s_delay_alu instid0(VALU_DEP_1)
	v_mul_f32_e32 v2, v2, v0
	v_xor_b32_e32 v3, 0x80000000, v0
                                        ; implicit-def: $vgpr0_vgpr1
.LBB89_239:
	s_and_not1_saveexec_b32 s1, s1
	s_cbranch_execz .LBB89_241
; %bb.240:
	v_div_scale_f32 v2, null, v0, v0, v1
	v_div_scale_f32 v5, vcc_lo, v1, v0, v1
	s_delay_alu instid0(VALU_DEP_2) | instskip(SKIP_1) | instid1(TRANS32_DEP_1)
	v_rcp_f32_e32 v3, v2
	v_nop
	v_fma_f32 v4, -v2, v3, 1.0
	s_delay_alu instid0(VALU_DEP_1) | instskip(NEXT) | instid1(VALU_DEP_1)
	v_fmac_f32_e32 v3, v4, v3
	v_mul_f32_e32 v4, v5, v3
	s_delay_alu instid0(VALU_DEP_1) | instskip(NEXT) | instid1(VALU_DEP_1)
	v_fma_f32 v6, -v2, v4, v5
	v_fmac_f32_e32 v4, v6, v3
	s_delay_alu instid0(VALU_DEP_1) | instskip(NEXT) | instid1(VALU_DEP_1)
	v_fma_f32 v2, -v2, v4, v5
	v_div_fmas_f32 v2, v2, v3, v4
	s_delay_alu instid0(VALU_DEP_1) | instskip(NEXT) | instid1(VALU_DEP_1)
	v_div_fixup_f32 v3, v2, v0, v1
	v_fmac_f32_e32 v0, v1, v3
	s_delay_alu instid0(VALU_DEP_1) | instskip(NEXT) | instid1(VALU_DEP_1)
	v_div_scale_f32 v1, null, v0, v0, 1.0
	v_rcp_f32_e32 v2, v1
	v_nop
	s_delay_alu instid0(TRANS32_DEP_1) | instskip(NEXT) | instid1(VALU_DEP_1)
	v_fma_f32 v4, -v1, v2, 1.0
	v_fmac_f32_e32 v2, v4, v2
	v_div_scale_f32 v4, vcc_lo, 1.0, v0, 1.0
	s_delay_alu instid0(VALU_DEP_1) | instskip(NEXT) | instid1(VALU_DEP_1)
	v_mul_f32_e32 v5, v4, v2
	v_fma_f32 v6, -v1, v5, v4
	s_delay_alu instid0(VALU_DEP_1) | instskip(NEXT) | instid1(VALU_DEP_1)
	v_fmac_f32_e32 v5, v6, v2
	v_fma_f32 v1, -v1, v5, v4
	s_delay_alu instid0(VALU_DEP_1) | instskip(NEXT) | instid1(VALU_DEP_1)
	v_div_fmas_f32 v1, v1, v2, v5
	v_div_fixup_f32 v2, v1, v0, 1.0
	s_delay_alu instid0(VALU_DEP_1)
	v_mul_f32_e64 v3, v3, -v2
.LBB89_241:
	s_or_b32 exec_lo, exec_lo, s1
	ds_store_b64 v39, v[2:3]
.LBB89_242:
	s_or_b32 exec_lo, exec_lo, s2
	s_wait_dscnt 0x0
	s_barrier_signal -1
	s_barrier_wait -1
	ds_load_b64 v[234:235], v39
	s_mov_b32 s1, exec_lo
	v_cmpx_lt_u32_e32 26, v38
	s_cbranch_execz .LBB89_244
; %bb.243:
	ds_load_2addr_b64 v[4:7], v20 offset0:27 offset1:28
	s_wait_dscnt 0x1
	v_pk_mul_f32 v[2:3], v[234:235], v[110:111] op_sel:[1,1] op_sel_hi:[0,1]
	s_delay_alu instid0(VALU_DEP_1) | instskip(SKIP_1) | instid1(VALU_DEP_1)
	v_pk_fma_f32 v[0:1], v[234:235], v[110:111], v[2:3] op_sel_hi:[1,0,1] neg_lo:[0,0,1] neg_hi:[0,0,1]
	v_pk_fma_f32 v[2:3], v[234:235], v[110:111], v[2:3] op_sel_hi:[1,0,1]
	v_dual_mov_b32 v110, v0 :: v_dual_mov_b32 v111, v3
	s_wait_dscnt 0x0
	s_delay_alu instid0(VALU_DEP_2) | instskip(NEXT) | instid1(VALU_DEP_1)
	v_pk_mul_f32 v[8:9], v[4:5], v[2:3] op_sel:[0,1]
	v_pk_fma_f32 v[10:11], v[4:5], v[0:1], v[8:9] op_sel:[0,0,1] op_sel_hi:[1,1,0] neg_lo:[0,0,1] neg_hi:[0,0,1]
	v_pk_fma_f32 v[4:5], v[4:5], v[0:1], v[8:9] op_sel:[0,0,1] op_sel_hi:[1,0,0]
	s_delay_alu instid0(VALU_DEP_1) | instskip(SKIP_1) | instid1(VALU_DEP_1)
	v_mov_b32_e32 v11, v5
	v_pk_mul_f32 v[4:5], v[6:7], v[2:3] op_sel:[0,1]
	v_pk_fma_f32 v[8:9], v[6:7], v[0:1], v[4:5] op_sel:[0,0,1] op_sel_hi:[1,1,0] neg_lo:[0,0,1] neg_hi:[0,0,1]
	v_pk_fma_f32 v[4:5], v[6:7], v[0:1], v[4:5] op_sel:[0,0,1] op_sel_hi:[1,0,0]
	s_delay_alu instid0(VALU_DEP_1)
	v_mov_b32_e32 v9, v5
	ds_load_2addr_b64 v[4:7], v20 offset0:29 offset1:30
	v_pk_add_f32 v[106:107], v[106:107], v[10:11] neg_lo:[0,1] neg_hi:[0,1]
	v_pk_add_f32 v[128:129], v[128:129], v[8:9] neg_lo:[0,1] neg_hi:[0,1]
	s_wait_dscnt 0x0
	v_pk_mul_f32 v[8:9], v[4:5], v[2:3] op_sel:[0,1]
	s_delay_alu instid0(VALU_DEP_1) | instskip(SKIP_2) | instid1(VALU_DEP_2)
	v_pk_fma_f32 v[10:11], v[4:5], v[0:1], v[8:9] op_sel:[0,0,1] op_sel_hi:[1,1,0] neg_lo:[0,0,1] neg_hi:[0,0,1]
	v_pk_fma_f32 v[4:5], v[4:5], v[0:1], v[8:9] op_sel:[0,0,1] op_sel_hi:[1,0,0]
	v_dual_mul_f32 v8, v7, v3 :: v_dual_mov_b32 v4, v7
	v_dual_mov_b32 v11, v5 :: v_dual_mov_b32 v5, v6
	s_delay_alu instid0(VALU_DEP_2) | instskip(SKIP_1) | instid1(VALU_DEP_3)
	v_pk_fma_f32 v[8:9], v[6:7], v[110:111], v[8:9] op_sel_hi:[1,1,0] neg_lo:[0,0,1] neg_hi:[0,0,1]
	v_mul_f32_e32 v6, v7, v0
	v_pk_add_f32 v[124:125], v[124:125], v[10:11] neg_lo:[0,1] neg_hi:[0,1]
	s_delay_alu instid0(VALU_DEP_2) | instskip(NEXT) | instid1(VALU_DEP_1)
	v_pk_fma_f32 v[4:5], v[4:5], v[110:111], v[6:7] op_sel_hi:[1,1,0]
	v_mov_b32_e32 v9, v5
	ds_load_2addr_b64 v[4:7], v20 offset0:31 offset1:32
	v_pk_add_f32 v[126:127], v[126:127], v[8:9] neg_lo:[0,1] neg_hi:[0,1]
	s_wait_dscnt 0x0
	v_pk_mul_f32 v[8:9], v[4:5], v[2:3] op_sel:[0,1]
	s_delay_alu instid0(VALU_DEP_1) | instskip(SKIP_1) | instid1(VALU_DEP_1)
	v_pk_fma_f32 v[10:11], v[4:5], v[0:1], v[8:9] op_sel:[0,0,1] op_sel_hi:[1,1,0] neg_lo:[0,0,1] neg_hi:[0,0,1]
	v_pk_fma_f32 v[4:5], v[4:5], v[0:1], v[8:9] op_sel:[0,0,1] op_sel_hi:[1,0,0]
	v_mov_b32_e32 v11, v5
	v_pk_mul_f32 v[4:5], v[6:7], v[2:3] op_sel:[0,1]
	s_delay_alu instid0(VALU_DEP_1) | instskip(SKIP_1) | instid1(VALU_DEP_1)
	v_pk_fma_f32 v[8:9], v[6:7], v[0:1], v[4:5] op_sel:[0,0,1] op_sel_hi:[1,1,0] neg_lo:[0,0,1] neg_hi:[0,0,1]
	v_pk_fma_f32 v[4:5], v[6:7], v[0:1], v[4:5] op_sel:[0,0,1] op_sel_hi:[1,0,0]
	v_mov_b32_e32 v9, v5
	ds_load_2addr_b64 v[4:7], v20 offset0:33 offset1:34
	v_pk_add_f32 v[122:123], v[122:123], v[10:11] neg_lo:[0,1] neg_hi:[0,1]
	v_pk_add_f32 v[150:151], v[150:151], v[8:9] neg_lo:[0,1] neg_hi:[0,1]
	s_wait_dscnt 0x0
	v_pk_mul_f32 v[8:9], v[4:5], v[2:3] op_sel:[0,1]
	s_delay_alu instid0(VALU_DEP_1) | instskip(SKIP_1) | instid1(VALU_DEP_1)
	v_pk_fma_f32 v[10:11], v[4:5], v[0:1], v[8:9] op_sel:[0,0,1] op_sel_hi:[1,1,0] neg_lo:[0,0,1] neg_hi:[0,0,1]
	v_pk_fma_f32 v[4:5], v[4:5], v[0:1], v[8:9] op_sel:[0,0,1] op_sel_hi:[1,0,0]
	v_mov_b32_e32 v11, v5
	v_pk_mul_f32 v[4:5], v[6:7], v[2:3] op_sel:[0,1]
	s_delay_alu instid0(VALU_DEP_1) | instskip(SKIP_1) | instid1(VALU_DEP_1)
	v_pk_fma_f32 v[8:9], v[6:7], v[0:1], v[4:5] op_sel:[0,0,1] op_sel_hi:[1,1,0] neg_lo:[0,0,1] neg_hi:[0,0,1]
	v_pk_fma_f32 v[4:5], v[6:7], v[0:1], v[4:5] op_sel:[0,0,1] op_sel_hi:[1,0,0]
	v_mov_b32_e32 v9, v5
	ds_load_2addr_b64 v[4:7], v20 offset0:35 offset1:36
	v_pk_add_f32 v[146:147], v[146:147], v[10:11] neg_lo:[0,1] neg_hi:[0,1]
	v_pk_add_f32 v[148:149], v[148:149], v[8:9] neg_lo:[0,1] neg_hi:[0,1]
	s_wait_dscnt 0x0
	v_dual_mul_f32 v8, v5, v3 :: v_dual_mul_f32 v10, v5, v0
	s_delay_alu instid0(VALU_DEP_1) | instskip(NEXT) | instid1(VALU_DEP_2)
	v_pk_fma_f32 v[8:9], v[4:5], v[110:111], v[8:9] op_sel_hi:[1,1,0] neg_lo:[0,0,1] neg_hi:[0,0,1]
	v_pk_fma_f32 v[4:5], v[4:5], v[110:111], v[10:11] op_sel:[1,0,0] op_sel_hi:[0,1,0]
	s_delay_alu instid0(VALU_DEP_1) | instskip(SKIP_1) | instid1(VALU_DEP_2)
	v_mov_b32_e32 v9, v5
	v_pk_mul_f32 v[4:5], v[6:7], v[2:3] op_sel:[0,1]
	v_pk_add_f32 v[144:145], v[144:145], v[8:9] neg_lo:[0,1] neg_hi:[0,1]
	s_delay_alu instid0(VALU_DEP_2) | instskip(SKIP_1) | instid1(VALU_DEP_1)
	v_pk_fma_f32 v[8:9], v[6:7], v[0:1], v[4:5] op_sel:[0,0,1] op_sel_hi:[1,1,0] neg_lo:[0,0,1] neg_hi:[0,0,1]
	v_pk_fma_f32 v[4:5], v[6:7], v[0:1], v[4:5] op_sel:[0,0,1] op_sel_hi:[1,0,0]
	v_mov_b32_e32 v9, v5
	ds_load_2addr_b64 v[4:7], v20 offset0:37 offset1:38
	v_pk_add_f32 v[174:175], v[174:175], v[8:9] neg_lo:[0,1] neg_hi:[0,1]
	s_wait_dscnt 0x0
	v_pk_mul_f32 v[8:9], v[4:5], v[2:3] op_sel:[0,1]
	s_delay_alu instid0(VALU_DEP_1) | instskip(SKIP_1) | instid1(VALU_DEP_1)
	v_pk_fma_f32 v[10:11], v[4:5], v[0:1], v[8:9] op_sel:[0,0,1] op_sel_hi:[1,1,0] neg_lo:[0,0,1] neg_hi:[0,0,1]
	v_pk_fma_f32 v[4:5], v[4:5], v[0:1], v[8:9] op_sel:[0,0,1] op_sel_hi:[1,0,0]
	v_mov_b32_e32 v11, v5
	v_pk_mul_f32 v[4:5], v[6:7], v[2:3] op_sel:[0,1]
	s_delay_alu instid0(VALU_DEP_2) | instskip(NEXT) | instid1(VALU_DEP_2)
	v_pk_add_f32 v[166:167], v[166:167], v[10:11] neg_lo:[0,1] neg_hi:[0,1]
	v_pk_fma_f32 v[8:9], v[6:7], v[0:1], v[4:5] op_sel:[0,0,1] op_sel_hi:[1,1,0] neg_lo:[0,0,1] neg_hi:[0,0,1]
	v_pk_fma_f32 v[4:5], v[6:7], v[0:1], v[4:5] op_sel:[0,0,1] op_sel_hi:[1,0,0]
	s_delay_alu instid0(VALU_DEP_1) | instskip(SKIP_4) | instid1(VALU_DEP_1)
	v_mov_b32_e32 v9, v5
	ds_load_2addr_b64 v[4:7], v20 offset0:39 offset1:40
	v_pk_add_f32 v[172:173], v[172:173], v[8:9] neg_lo:[0,1] neg_hi:[0,1]
	s_wait_dscnt 0x0
	v_pk_mul_f32 v[8:9], v[4:5], v[2:3] op_sel:[0,1]
	v_pk_fma_f32 v[10:11], v[4:5], v[0:1], v[8:9] op_sel:[0,0,1] op_sel_hi:[1,1,0] neg_lo:[0,0,1] neg_hi:[0,0,1]
	v_pk_fma_f32 v[4:5], v[4:5], v[0:1], v[8:9] op_sel:[0,0,1] op_sel_hi:[1,0,0]
	v_dual_mul_f32 v8, v7, v3 :: v_dual_mov_b32 v4, v7
	s_delay_alu instid0(VALU_DEP_2) | instskip(NEXT) | instid1(VALU_DEP_2)
	v_dual_mov_b32 v11, v5 :: v_dual_mov_b32 v5, v6
	v_pk_fma_f32 v[8:9], v[6:7], v[110:111], v[8:9] op_sel_hi:[1,1,0] neg_lo:[0,0,1] neg_hi:[0,0,1]
	v_mul_f32_e32 v6, v7, v0
	s_delay_alu instid0(VALU_DEP_3) | instskip(NEXT) | instid1(VALU_DEP_2)
	v_pk_add_f32 v[164:165], v[164:165], v[10:11] neg_lo:[0,1] neg_hi:[0,1]
	v_pk_fma_f32 v[4:5], v[4:5], v[110:111], v[6:7] op_sel_hi:[1,1,0]
	s_delay_alu instid0(VALU_DEP_1) | instskip(SKIP_4) | instid1(VALU_DEP_1)
	v_mov_b32_e32 v9, v5
	ds_load_2addr_b64 v[4:7], v20 offset0:41 offset1:42
	v_pk_add_f32 v[170:171], v[170:171], v[8:9] neg_lo:[0,1] neg_hi:[0,1]
	s_wait_dscnt 0x0
	v_pk_mul_f32 v[8:9], v[4:5], v[2:3] op_sel:[0,1]
	v_pk_fma_f32 v[10:11], v[4:5], v[0:1], v[8:9] op_sel:[0,0,1] op_sel_hi:[1,1,0] neg_lo:[0,0,1] neg_hi:[0,0,1]
	v_pk_fma_f32 v[4:5], v[4:5], v[0:1], v[8:9] op_sel:[0,0,1] op_sel_hi:[1,0,0]
	s_delay_alu instid0(VALU_DEP_1) | instskip(SKIP_1) | instid1(VALU_DEP_1)
	v_mov_b32_e32 v11, v5
	v_pk_mul_f32 v[4:5], v[6:7], v[2:3] op_sel:[0,1]
	v_pk_fma_f32 v[8:9], v[6:7], v[0:1], v[4:5] op_sel:[0,0,1] op_sel_hi:[1,1,0] neg_lo:[0,0,1] neg_hi:[0,0,1]
	v_pk_fma_f32 v[4:5], v[6:7], v[0:1], v[4:5] op_sel:[0,0,1] op_sel_hi:[1,0,0]
	s_delay_alu instid0(VALU_DEP_1)
	v_mov_b32_e32 v9, v5
	ds_load_2addr_b64 v[4:7], v20 offset0:43 offset1:44
	v_pk_add_f32 v[162:163], v[162:163], v[10:11] neg_lo:[0,1] neg_hi:[0,1]
	v_pk_add_f32 v[168:169], v[168:169], v[8:9] neg_lo:[0,1] neg_hi:[0,1]
	s_wait_dscnt 0x0
	v_pk_mul_f32 v[8:9], v[4:5], v[2:3] op_sel:[0,1]
	v_mul_f32_e32 v2, v7, v3
	s_delay_alu instid0(VALU_DEP_2) | instskip(SKIP_2) | instid1(VALU_DEP_4)
	v_pk_fma_f32 v[10:11], v[4:5], v[0:1], v[8:9] op_sel:[0,0,1] op_sel_hi:[1,1,0] neg_lo:[0,0,1] neg_hi:[0,0,1]
	v_pk_fma_f32 v[4:5], v[4:5], v[0:1], v[8:9] op_sel:[0,0,1] op_sel_hi:[1,0,0]
	v_dual_mov_b32 v4, v7 :: v_dual_mul_f32 v0, v7, v0
	v_pk_fma_f32 v[2:3], v[6:7], v[110:111], v[2:3] op_sel_hi:[1,1,0] neg_lo:[0,0,1] neg_hi:[0,0,1]
	s_delay_alu instid0(VALU_DEP_3) | instskip(NEXT) | instid1(VALU_DEP_1)
	v_dual_mov_b32 v11, v5 :: v_dual_mov_b32 v5, v6
	v_pk_add_f32 v[176:177], v[176:177], v[10:11] neg_lo:[0,1] neg_hi:[0,1]
	s_delay_alu instid0(VALU_DEP_2) | instskip(NEXT) | instid1(VALU_DEP_1)
	v_pk_fma_f32 v[0:1], v[4:5], v[110:111], v[0:1] op_sel_hi:[1,1,0]
	v_mov_b32_e32 v3, v1
	s_delay_alu instid0(VALU_DEP_1)
	v_pk_add_f32 v[180:181], v[180:181], v[2:3] neg_lo:[0,1] neg_hi:[0,1]
.LBB89_244:
	s_or_b32 exec_lo, exec_lo, s1
	s_delay_alu instid0(SALU_CYCLE_1)
	s_mov_b32 s2, exec_lo
	s_wait_dscnt 0x0
	s_barrier_signal -1
	s_barrier_wait -1
	v_cmpx_eq_u32_e32 27, v38
	s_cbranch_execz .LBB89_251
; %bb.245:
	v_dual_mov_b32 v0, v128 :: v_dual_mov_b32 v1, v129
	v_dual_mov_b32 v2, v124 :: v_dual_mov_b32 v3, v125
	ds_store_b64 v39, v[106:107]
	ds_store_2addr_b64 v20, v[0:1], v[2:3] offset0:28 offset1:29
	v_dual_mov_b32 v0, v126 :: v_dual_mov_b32 v1, v127
	v_dual_mov_b32 v2, v122 :: v_dual_mov_b32 v3, v123
	ds_store_2addr_b64 v20, v[0:1], v[2:3] offset0:30 offset1:31
	v_dual_mov_b32 v0, v150 :: v_dual_mov_b32 v1, v151
	v_dual_mov_b32 v2, v146 :: v_dual_mov_b32 v3, v147
	;; [unrolled: 3-line block ×7, first 2 shown]
	ds_store_2addr_b64 v20, v[0:1], v[2:3] offset0:42 offset1:43
	ds_store_b64 v20, v[180:181] offset:352
	ds_load_b64 v[0:1], v39
	s_wait_dscnt 0x0
	v_cmp_neq_f32_e32 vcc_lo, 0, v0
	v_cmp_neq_f32_e64 s1, 0, v1
	s_or_b32 s1, vcc_lo, s1
	s_delay_alu instid0(SALU_CYCLE_1)
	s_and_b32 exec_lo, exec_lo, s1
	s_cbranch_execz .LBB89_251
; %bb.246:
	v_cmp_ngt_f32_e64 s1, |v0|, |v1|
                                        ; implicit-def: $vgpr2_vgpr3
	s_and_saveexec_b32 s4, s1
	s_delay_alu instid0(SALU_CYCLE_1)
	s_xor_b32 s1, exec_lo, s4
	s_cbranch_execz .LBB89_248
; %bb.247:
	v_div_scale_f32 v2, null, v1, v1, v0
	v_div_scale_f32 v5, vcc_lo, v0, v1, v0
	s_delay_alu instid0(VALU_DEP_2) | instskip(SKIP_1) | instid1(TRANS32_DEP_1)
	v_rcp_f32_e32 v3, v2
	v_nop
	v_fma_f32 v4, -v2, v3, 1.0
	s_delay_alu instid0(VALU_DEP_1) | instskip(NEXT) | instid1(VALU_DEP_1)
	v_fmac_f32_e32 v3, v4, v3
	v_mul_f32_e32 v4, v5, v3
	s_delay_alu instid0(VALU_DEP_1) | instskip(NEXT) | instid1(VALU_DEP_1)
	v_fma_f32 v6, -v2, v4, v5
	v_fmac_f32_e32 v4, v6, v3
	s_delay_alu instid0(VALU_DEP_1) | instskip(NEXT) | instid1(VALU_DEP_1)
	v_fma_f32 v2, -v2, v4, v5
	v_div_fmas_f32 v2, v2, v3, v4
	s_delay_alu instid0(VALU_DEP_1) | instskip(NEXT) | instid1(VALU_DEP_1)
	v_div_fixup_f32 v2, v2, v1, v0
	v_fmac_f32_e32 v1, v0, v2
	s_delay_alu instid0(VALU_DEP_1) | instskip(SKIP_1) | instid1(VALU_DEP_2)
	v_div_scale_f32 v0, null, v1, v1, 1.0
	v_div_scale_f32 v5, vcc_lo, 1.0, v1, 1.0
	v_rcp_f32_e32 v3, v0
	v_nop
	s_delay_alu instid0(TRANS32_DEP_1) | instskip(NEXT) | instid1(VALU_DEP_1)
	v_fma_f32 v4, -v0, v3, 1.0
	v_fmac_f32_e32 v3, v4, v3
	s_delay_alu instid0(VALU_DEP_1) | instskip(NEXT) | instid1(VALU_DEP_1)
	v_mul_f32_e32 v4, v5, v3
	v_fma_f32 v6, -v0, v4, v5
	s_delay_alu instid0(VALU_DEP_1) | instskip(NEXT) | instid1(VALU_DEP_1)
	v_fmac_f32_e32 v4, v6, v3
	v_fma_f32 v0, -v0, v4, v5
	s_delay_alu instid0(VALU_DEP_1) | instskip(NEXT) | instid1(VALU_DEP_1)
	v_div_fmas_f32 v0, v0, v3, v4
	v_div_fixup_f32 v0, v0, v1, 1.0
	s_delay_alu instid0(VALU_DEP_1)
	v_mul_f32_e32 v2, v2, v0
	v_xor_b32_e32 v3, 0x80000000, v0
                                        ; implicit-def: $vgpr0_vgpr1
.LBB89_248:
	s_and_not1_saveexec_b32 s1, s1
	s_cbranch_execz .LBB89_250
; %bb.249:
	v_div_scale_f32 v2, null, v0, v0, v1
	v_div_scale_f32 v5, vcc_lo, v1, v0, v1
	s_delay_alu instid0(VALU_DEP_2) | instskip(SKIP_1) | instid1(TRANS32_DEP_1)
	v_rcp_f32_e32 v3, v2
	v_nop
	v_fma_f32 v4, -v2, v3, 1.0
	s_delay_alu instid0(VALU_DEP_1) | instskip(NEXT) | instid1(VALU_DEP_1)
	v_fmac_f32_e32 v3, v4, v3
	v_mul_f32_e32 v4, v5, v3
	s_delay_alu instid0(VALU_DEP_1) | instskip(NEXT) | instid1(VALU_DEP_1)
	v_fma_f32 v6, -v2, v4, v5
	v_fmac_f32_e32 v4, v6, v3
	s_delay_alu instid0(VALU_DEP_1) | instskip(NEXT) | instid1(VALU_DEP_1)
	v_fma_f32 v2, -v2, v4, v5
	v_div_fmas_f32 v2, v2, v3, v4
	s_delay_alu instid0(VALU_DEP_1) | instskip(NEXT) | instid1(VALU_DEP_1)
	v_div_fixup_f32 v3, v2, v0, v1
	v_fmac_f32_e32 v0, v1, v3
	s_delay_alu instid0(VALU_DEP_1) | instskip(NEXT) | instid1(VALU_DEP_1)
	v_div_scale_f32 v1, null, v0, v0, 1.0
	v_rcp_f32_e32 v2, v1
	v_nop
	s_delay_alu instid0(TRANS32_DEP_1) | instskip(NEXT) | instid1(VALU_DEP_1)
	v_fma_f32 v4, -v1, v2, 1.0
	v_fmac_f32_e32 v2, v4, v2
	v_div_scale_f32 v4, vcc_lo, 1.0, v0, 1.0
	s_delay_alu instid0(VALU_DEP_1) | instskip(NEXT) | instid1(VALU_DEP_1)
	v_mul_f32_e32 v5, v4, v2
	v_fma_f32 v6, -v1, v5, v4
	s_delay_alu instid0(VALU_DEP_1) | instskip(NEXT) | instid1(VALU_DEP_1)
	v_fmac_f32_e32 v5, v6, v2
	v_fma_f32 v1, -v1, v5, v4
	s_delay_alu instid0(VALU_DEP_1) | instskip(NEXT) | instid1(VALU_DEP_1)
	v_div_fmas_f32 v1, v1, v2, v5
	v_div_fixup_f32 v2, v1, v0, 1.0
	s_delay_alu instid0(VALU_DEP_1)
	v_mul_f32_e64 v3, v3, -v2
.LBB89_250:
	s_or_b32 exec_lo, exec_lo, s1
	ds_store_b64 v39, v[2:3]
.LBB89_251:
	s_or_b32 exec_lo, exec_lo, s2
	s_wait_dscnt 0x0
	s_barrier_signal -1
	s_barrier_wait -1
	ds_load_b64 v[236:237], v39
	s_mov_b32 s1, exec_lo
	v_cmpx_lt_u32_e32 27, v38
	s_cbranch_execz .LBB89_253
; %bb.252:
	ds_load_2addr_b64 v[4:7], v20 offset0:28 offset1:29
	s_wait_dscnt 0x1
	v_pk_mul_f32 v[2:3], v[236:237], v[106:107] op_sel:[1,1] op_sel_hi:[0,1]
	s_delay_alu instid0(VALU_DEP_1) | instskip(SKIP_1) | instid1(VALU_DEP_1)
	v_pk_fma_f32 v[0:1], v[236:237], v[106:107], v[2:3] op_sel_hi:[1,0,1] neg_lo:[0,0,1] neg_hi:[0,0,1]
	v_pk_fma_f32 v[2:3], v[236:237], v[106:107], v[2:3] op_sel_hi:[1,0,1]
	v_dual_mov_b32 v106, v0 :: v_dual_mov_b32 v107, v3
	s_wait_dscnt 0x0
	s_delay_alu instid0(VALU_DEP_2) | instskip(NEXT) | instid1(VALU_DEP_1)
	v_pk_mul_f32 v[8:9], v[4:5], v[2:3] op_sel:[0,1]
	v_pk_fma_f32 v[10:11], v[4:5], v[0:1], v[8:9] op_sel:[0,0,1] op_sel_hi:[1,1,0] neg_lo:[0,0,1] neg_hi:[0,0,1]
	v_pk_fma_f32 v[4:5], v[4:5], v[0:1], v[8:9] op_sel:[0,0,1] op_sel_hi:[1,0,0]
	s_delay_alu instid0(VALU_DEP_1) | instskip(SKIP_1) | instid1(VALU_DEP_1)
	v_mov_b32_e32 v11, v5
	v_pk_mul_f32 v[4:5], v[6:7], v[2:3] op_sel:[0,1]
	v_pk_fma_f32 v[8:9], v[6:7], v[0:1], v[4:5] op_sel:[0,0,1] op_sel_hi:[1,1,0] neg_lo:[0,0,1] neg_hi:[0,0,1]
	v_pk_fma_f32 v[4:5], v[6:7], v[0:1], v[4:5] op_sel:[0,0,1] op_sel_hi:[1,0,0]
	s_delay_alu instid0(VALU_DEP_1)
	v_mov_b32_e32 v9, v5
	ds_load_2addr_b64 v[4:7], v20 offset0:30 offset1:31
	v_pk_add_f32 v[128:129], v[128:129], v[10:11] neg_lo:[0,1] neg_hi:[0,1]
	v_pk_add_f32 v[124:125], v[124:125], v[8:9] neg_lo:[0,1] neg_hi:[0,1]
	s_wait_dscnt 0x0
	v_pk_mul_f32 v[8:9], v[4:5], v[2:3] op_sel:[0,1]
	s_delay_alu instid0(VALU_DEP_1) | instskip(SKIP_2) | instid1(VALU_DEP_2)
	v_pk_fma_f32 v[10:11], v[4:5], v[0:1], v[8:9] op_sel:[0,0,1] op_sel_hi:[1,1,0] neg_lo:[0,0,1] neg_hi:[0,0,1]
	v_pk_fma_f32 v[4:5], v[4:5], v[0:1], v[8:9] op_sel:[0,0,1] op_sel_hi:[1,0,0]
	v_dual_mul_f32 v8, v7, v3 :: v_dual_mov_b32 v4, v7
	v_dual_mov_b32 v11, v5 :: v_dual_mov_b32 v5, v6
	s_delay_alu instid0(VALU_DEP_2) | instskip(SKIP_1) | instid1(VALU_DEP_3)
	v_pk_fma_f32 v[8:9], v[6:7], v[106:107], v[8:9] op_sel_hi:[1,1,0] neg_lo:[0,0,1] neg_hi:[0,0,1]
	v_mul_f32_e32 v6, v7, v0
	v_pk_add_f32 v[126:127], v[126:127], v[10:11] neg_lo:[0,1] neg_hi:[0,1]
	s_delay_alu instid0(VALU_DEP_2) | instskip(NEXT) | instid1(VALU_DEP_1)
	v_pk_fma_f32 v[4:5], v[4:5], v[106:107], v[6:7] op_sel_hi:[1,1,0]
	v_mov_b32_e32 v9, v5
	ds_load_2addr_b64 v[4:7], v20 offset0:32 offset1:33
	v_pk_add_f32 v[122:123], v[122:123], v[8:9] neg_lo:[0,1] neg_hi:[0,1]
	s_wait_dscnt 0x0
	v_pk_mul_f32 v[8:9], v[4:5], v[2:3] op_sel:[0,1]
	s_delay_alu instid0(VALU_DEP_1) | instskip(SKIP_1) | instid1(VALU_DEP_1)
	v_pk_fma_f32 v[10:11], v[4:5], v[0:1], v[8:9] op_sel:[0,0,1] op_sel_hi:[1,1,0] neg_lo:[0,0,1] neg_hi:[0,0,1]
	v_pk_fma_f32 v[4:5], v[4:5], v[0:1], v[8:9] op_sel:[0,0,1] op_sel_hi:[1,0,0]
	v_mov_b32_e32 v11, v5
	v_pk_mul_f32 v[4:5], v[6:7], v[2:3] op_sel:[0,1]
	s_delay_alu instid0(VALU_DEP_1) | instskip(SKIP_1) | instid1(VALU_DEP_1)
	v_pk_fma_f32 v[8:9], v[6:7], v[0:1], v[4:5] op_sel:[0,0,1] op_sel_hi:[1,1,0] neg_lo:[0,0,1] neg_hi:[0,0,1]
	v_pk_fma_f32 v[4:5], v[6:7], v[0:1], v[4:5] op_sel:[0,0,1] op_sel_hi:[1,0,0]
	v_mov_b32_e32 v9, v5
	ds_load_2addr_b64 v[4:7], v20 offset0:34 offset1:35
	v_pk_add_f32 v[150:151], v[150:151], v[10:11] neg_lo:[0,1] neg_hi:[0,1]
	v_pk_add_f32 v[146:147], v[146:147], v[8:9] neg_lo:[0,1] neg_hi:[0,1]
	s_wait_dscnt 0x0
	v_pk_mul_f32 v[8:9], v[4:5], v[2:3] op_sel:[0,1]
	s_delay_alu instid0(VALU_DEP_1) | instskip(SKIP_1) | instid1(VALU_DEP_1)
	v_pk_fma_f32 v[10:11], v[4:5], v[0:1], v[8:9] op_sel:[0,0,1] op_sel_hi:[1,1,0] neg_lo:[0,0,1] neg_hi:[0,0,1]
	v_pk_fma_f32 v[4:5], v[4:5], v[0:1], v[8:9] op_sel:[0,0,1] op_sel_hi:[1,0,0]
	v_mov_b32_e32 v11, v5
	v_pk_mul_f32 v[4:5], v[6:7], v[2:3] op_sel:[0,1]
	s_delay_alu instid0(VALU_DEP_1) | instskip(SKIP_1) | instid1(VALU_DEP_1)
	v_pk_fma_f32 v[8:9], v[6:7], v[0:1], v[4:5] op_sel:[0,0,1] op_sel_hi:[1,1,0] neg_lo:[0,0,1] neg_hi:[0,0,1]
	v_pk_fma_f32 v[4:5], v[6:7], v[0:1], v[4:5] op_sel:[0,0,1] op_sel_hi:[1,0,0]
	v_mov_b32_e32 v9, v5
	ds_load_2addr_b64 v[4:7], v20 offset0:36 offset1:37
	v_pk_add_f32 v[148:149], v[148:149], v[10:11] neg_lo:[0,1] neg_hi:[0,1]
	v_pk_add_f32 v[144:145], v[144:145], v[8:9] neg_lo:[0,1] neg_hi:[0,1]
	s_wait_dscnt 0x0
	v_dual_mul_f32 v8, v5, v3 :: v_dual_mul_f32 v10, v5, v0
	s_delay_alu instid0(VALU_DEP_1) | instskip(NEXT) | instid1(VALU_DEP_2)
	v_pk_fma_f32 v[8:9], v[4:5], v[106:107], v[8:9] op_sel_hi:[1,1,0] neg_lo:[0,0,1] neg_hi:[0,0,1]
	v_pk_fma_f32 v[4:5], v[4:5], v[106:107], v[10:11] op_sel:[1,0,0] op_sel_hi:[0,1,0]
	s_delay_alu instid0(VALU_DEP_1) | instskip(SKIP_1) | instid1(VALU_DEP_2)
	v_mov_b32_e32 v9, v5
	v_pk_mul_f32 v[4:5], v[6:7], v[2:3] op_sel:[0,1]
	v_pk_add_f32 v[174:175], v[174:175], v[8:9] neg_lo:[0,1] neg_hi:[0,1]
	s_delay_alu instid0(VALU_DEP_2) | instskip(SKIP_1) | instid1(VALU_DEP_1)
	v_pk_fma_f32 v[8:9], v[6:7], v[0:1], v[4:5] op_sel:[0,0,1] op_sel_hi:[1,1,0] neg_lo:[0,0,1] neg_hi:[0,0,1]
	v_pk_fma_f32 v[4:5], v[6:7], v[0:1], v[4:5] op_sel:[0,0,1] op_sel_hi:[1,0,0]
	v_mov_b32_e32 v9, v5
	ds_load_2addr_b64 v[4:7], v20 offset0:38 offset1:39
	v_pk_add_f32 v[166:167], v[166:167], v[8:9] neg_lo:[0,1] neg_hi:[0,1]
	s_wait_dscnt 0x0
	v_pk_mul_f32 v[8:9], v[4:5], v[2:3] op_sel:[0,1]
	s_delay_alu instid0(VALU_DEP_1) | instskip(SKIP_1) | instid1(VALU_DEP_1)
	v_pk_fma_f32 v[10:11], v[4:5], v[0:1], v[8:9] op_sel:[0,0,1] op_sel_hi:[1,1,0] neg_lo:[0,0,1] neg_hi:[0,0,1]
	v_pk_fma_f32 v[4:5], v[4:5], v[0:1], v[8:9] op_sel:[0,0,1] op_sel_hi:[1,0,0]
	v_mov_b32_e32 v11, v5
	v_pk_mul_f32 v[4:5], v[6:7], v[2:3] op_sel:[0,1]
	s_delay_alu instid0(VALU_DEP_2) | instskip(NEXT) | instid1(VALU_DEP_2)
	v_pk_add_f32 v[172:173], v[172:173], v[10:11] neg_lo:[0,1] neg_hi:[0,1]
	v_pk_fma_f32 v[8:9], v[6:7], v[0:1], v[4:5] op_sel:[0,0,1] op_sel_hi:[1,1,0] neg_lo:[0,0,1] neg_hi:[0,0,1]
	v_pk_fma_f32 v[4:5], v[6:7], v[0:1], v[4:5] op_sel:[0,0,1] op_sel_hi:[1,0,0]
	s_delay_alu instid0(VALU_DEP_1) | instskip(SKIP_4) | instid1(VALU_DEP_1)
	v_mov_b32_e32 v9, v5
	ds_load_2addr_b64 v[4:7], v20 offset0:40 offset1:41
	v_pk_add_f32 v[164:165], v[164:165], v[8:9] neg_lo:[0,1] neg_hi:[0,1]
	s_wait_dscnt 0x0
	v_pk_mul_f32 v[8:9], v[4:5], v[2:3] op_sel:[0,1]
	v_pk_fma_f32 v[10:11], v[4:5], v[0:1], v[8:9] op_sel:[0,0,1] op_sel_hi:[1,1,0] neg_lo:[0,0,1] neg_hi:[0,0,1]
	v_pk_fma_f32 v[4:5], v[4:5], v[0:1], v[8:9] op_sel:[0,0,1] op_sel_hi:[1,0,0]
	v_dual_mul_f32 v8, v7, v3 :: v_dual_mov_b32 v4, v7
	s_delay_alu instid0(VALU_DEP_2) | instskip(NEXT) | instid1(VALU_DEP_2)
	v_dual_mov_b32 v11, v5 :: v_dual_mov_b32 v5, v6
	v_pk_fma_f32 v[8:9], v[6:7], v[106:107], v[8:9] op_sel_hi:[1,1,0] neg_lo:[0,0,1] neg_hi:[0,0,1]
	v_mul_f32_e32 v6, v7, v0
	s_delay_alu instid0(VALU_DEP_3) | instskip(NEXT) | instid1(VALU_DEP_2)
	v_pk_add_f32 v[170:171], v[170:171], v[10:11] neg_lo:[0,1] neg_hi:[0,1]
	v_pk_fma_f32 v[4:5], v[4:5], v[106:107], v[6:7] op_sel_hi:[1,1,0]
	s_delay_alu instid0(VALU_DEP_1) | instskip(SKIP_4) | instid1(VALU_DEP_1)
	v_mov_b32_e32 v9, v5
	ds_load_2addr_b64 v[4:7], v20 offset0:42 offset1:43
	v_pk_add_f32 v[162:163], v[162:163], v[8:9] neg_lo:[0,1] neg_hi:[0,1]
	s_wait_dscnt 0x0
	v_pk_mul_f32 v[8:9], v[4:5], v[2:3] op_sel:[0,1]
	v_pk_fma_f32 v[10:11], v[4:5], v[0:1], v[8:9] op_sel:[0,0,1] op_sel_hi:[1,1,0] neg_lo:[0,0,1] neg_hi:[0,0,1]
	v_pk_fma_f32 v[4:5], v[4:5], v[0:1], v[8:9] op_sel:[0,0,1] op_sel_hi:[1,0,0]
	s_delay_alu instid0(VALU_DEP_1) | instskip(SKIP_1) | instid1(VALU_DEP_1)
	v_mov_b32_e32 v11, v5
	v_pk_mul_f32 v[4:5], v[6:7], v[2:3] op_sel:[0,1]
	v_pk_fma_f32 v[8:9], v[6:7], v[0:1], v[4:5] op_sel:[0,0,1] op_sel_hi:[1,1,0] neg_lo:[0,0,1] neg_hi:[0,0,1]
	v_pk_fma_f32 v[4:5], v[6:7], v[0:1], v[4:5] op_sel:[0,0,1] op_sel_hi:[1,0,0]
	s_delay_alu instid0(VALU_DEP_1)
	v_mov_b32_e32 v9, v5
	ds_load_b64 v[4:5], v20 offset:352
	v_pk_add_f32 v[168:169], v[168:169], v[10:11] neg_lo:[0,1] neg_hi:[0,1]
	v_pk_add_f32 v[176:177], v[176:177], v[8:9] neg_lo:[0,1] neg_hi:[0,1]
	s_wait_dscnt 0x0
	v_pk_mul_f32 v[2:3], v[4:5], v[2:3] op_sel:[0,1]
	s_delay_alu instid0(VALU_DEP_1) | instskip(SKIP_1) | instid1(VALU_DEP_1)
	v_pk_fma_f32 v[6:7], v[4:5], v[0:1], v[2:3] op_sel:[0,0,1] op_sel_hi:[1,1,0] neg_lo:[0,0,1] neg_hi:[0,0,1]
	v_pk_fma_f32 v[0:1], v[4:5], v[0:1], v[2:3] op_sel:[0,0,1] op_sel_hi:[1,0,0]
	v_mov_b32_e32 v7, v1
	s_delay_alu instid0(VALU_DEP_1)
	v_pk_add_f32 v[180:181], v[180:181], v[6:7] neg_lo:[0,1] neg_hi:[0,1]
.LBB89_253:
	s_or_b32 exec_lo, exec_lo, s1
	s_delay_alu instid0(SALU_CYCLE_1)
	s_mov_b32 s2, exec_lo
	s_wait_dscnt 0x0
	s_barrier_signal -1
	s_barrier_wait -1
	v_cmpx_eq_u32_e32 28, v38
	s_cbranch_execz .LBB89_260
; %bb.254:
	ds_store_b64 v39, v[128:129]
	ds_store_2addr_b64 v20, v[124:125], v[126:127] offset0:29 offset1:30
	ds_store_2addr_b64 v20, v[122:123], v[150:151] offset0:31 offset1:32
	;; [unrolled: 1-line block ×8, first 2 shown]
	ds_load_b64 v[0:1], v39
	s_wait_dscnt 0x0
	v_cmp_neq_f32_e32 vcc_lo, 0, v0
	v_cmp_neq_f32_e64 s1, 0, v1
	s_or_b32 s1, vcc_lo, s1
	s_delay_alu instid0(SALU_CYCLE_1)
	s_and_b32 exec_lo, exec_lo, s1
	s_cbranch_execz .LBB89_260
; %bb.255:
	v_cmp_ngt_f32_e64 s1, |v0|, |v1|
                                        ; implicit-def: $vgpr2_vgpr3
	s_and_saveexec_b32 s4, s1
	s_delay_alu instid0(SALU_CYCLE_1)
	s_xor_b32 s1, exec_lo, s4
	s_cbranch_execz .LBB89_257
; %bb.256:
	v_div_scale_f32 v2, null, v1, v1, v0
	v_div_scale_f32 v5, vcc_lo, v0, v1, v0
	s_delay_alu instid0(VALU_DEP_2) | instskip(SKIP_1) | instid1(TRANS32_DEP_1)
	v_rcp_f32_e32 v3, v2
	v_nop
	v_fma_f32 v4, -v2, v3, 1.0
	s_delay_alu instid0(VALU_DEP_1) | instskip(NEXT) | instid1(VALU_DEP_1)
	v_fmac_f32_e32 v3, v4, v3
	v_mul_f32_e32 v4, v5, v3
	s_delay_alu instid0(VALU_DEP_1) | instskip(NEXT) | instid1(VALU_DEP_1)
	v_fma_f32 v6, -v2, v4, v5
	v_fmac_f32_e32 v4, v6, v3
	s_delay_alu instid0(VALU_DEP_1) | instskip(NEXT) | instid1(VALU_DEP_1)
	v_fma_f32 v2, -v2, v4, v5
	v_div_fmas_f32 v2, v2, v3, v4
	s_delay_alu instid0(VALU_DEP_1) | instskip(NEXT) | instid1(VALU_DEP_1)
	v_div_fixup_f32 v2, v2, v1, v0
	v_fmac_f32_e32 v1, v0, v2
	s_delay_alu instid0(VALU_DEP_1) | instskip(SKIP_1) | instid1(VALU_DEP_2)
	v_div_scale_f32 v0, null, v1, v1, 1.0
	v_div_scale_f32 v5, vcc_lo, 1.0, v1, 1.0
	v_rcp_f32_e32 v3, v0
	v_nop
	s_delay_alu instid0(TRANS32_DEP_1) | instskip(NEXT) | instid1(VALU_DEP_1)
	v_fma_f32 v4, -v0, v3, 1.0
	v_fmac_f32_e32 v3, v4, v3
	s_delay_alu instid0(VALU_DEP_1) | instskip(NEXT) | instid1(VALU_DEP_1)
	v_mul_f32_e32 v4, v5, v3
	v_fma_f32 v6, -v0, v4, v5
	s_delay_alu instid0(VALU_DEP_1) | instskip(NEXT) | instid1(VALU_DEP_1)
	v_fmac_f32_e32 v4, v6, v3
	v_fma_f32 v0, -v0, v4, v5
	s_delay_alu instid0(VALU_DEP_1) | instskip(NEXT) | instid1(VALU_DEP_1)
	v_div_fmas_f32 v0, v0, v3, v4
	v_div_fixup_f32 v0, v0, v1, 1.0
	s_delay_alu instid0(VALU_DEP_1)
	v_mul_f32_e32 v2, v2, v0
	v_xor_b32_e32 v3, 0x80000000, v0
                                        ; implicit-def: $vgpr0_vgpr1
.LBB89_257:
	s_and_not1_saveexec_b32 s1, s1
	s_cbranch_execz .LBB89_259
; %bb.258:
	v_div_scale_f32 v2, null, v0, v0, v1
	v_div_scale_f32 v5, vcc_lo, v1, v0, v1
	s_delay_alu instid0(VALU_DEP_2) | instskip(SKIP_1) | instid1(TRANS32_DEP_1)
	v_rcp_f32_e32 v3, v2
	v_nop
	v_fma_f32 v4, -v2, v3, 1.0
	s_delay_alu instid0(VALU_DEP_1) | instskip(NEXT) | instid1(VALU_DEP_1)
	v_fmac_f32_e32 v3, v4, v3
	v_mul_f32_e32 v4, v5, v3
	s_delay_alu instid0(VALU_DEP_1) | instskip(NEXT) | instid1(VALU_DEP_1)
	v_fma_f32 v6, -v2, v4, v5
	v_fmac_f32_e32 v4, v6, v3
	s_delay_alu instid0(VALU_DEP_1) | instskip(NEXT) | instid1(VALU_DEP_1)
	v_fma_f32 v2, -v2, v4, v5
	v_div_fmas_f32 v2, v2, v3, v4
	s_delay_alu instid0(VALU_DEP_1) | instskip(NEXT) | instid1(VALU_DEP_1)
	v_div_fixup_f32 v3, v2, v0, v1
	v_fmac_f32_e32 v0, v1, v3
	s_delay_alu instid0(VALU_DEP_1) | instskip(NEXT) | instid1(VALU_DEP_1)
	v_div_scale_f32 v1, null, v0, v0, 1.0
	v_rcp_f32_e32 v2, v1
	v_nop
	s_delay_alu instid0(TRANS32_DEP_1) | instskip(NEXT) | instid1(VALU_DEP_1)
	v_fma_f32 v4, -v1, v2, 1.0
	v_fmac_f32_e32 v2, v4, v2
	v_div_scale_f32 v4, vcc_lo, 1.0, v0, 1.0
	s_delay_alu instid0(VALU_DEP_1) | instskip(NEXT) | instid1(VALU_DEP_1)
	v_mul_f32_e32 v5, v4, v2
	v_fma_f32 v6, -v1, v5, v4
	s_delay_alu instid0(VALU_DEP_1) | instskip(NEXT) | instid1(VALU_DEP_1)
	v_fmac_f32_e32 v5, v6, v2
	v_fma_f32 v1, -v1, v5, v4
	s_delay_alu instid0(VALU_DEP_1) | instskip(NEXT) | instid1(VALU_DEP_1)
	v_div_fmas_f32 v1, v1, v2, v5
	v_div_fixup_f32 v2, v1, v0, 1.0
	s_delay_alu instid0(VALU_DEP_1)
	v_mul_f32_e64 v3, v3, -v2
.LBB89_259:
	s_or_b32 exec_lo, exec_lo, s1
	ds_store_b64 v39, v[2:3]
.LBB89_260:
	s_or_b32 exec_lo, exec_lo, s2
	s_wait_dscnt 0x0
	s_barrier_signal -1
	s_barrier_wait -1
	ds_load_b64 v[238:239], v39
	s_mov_b32 s1, exec_lo
	v_cmpx_lt_u32_e32 28, v38
	s_cbranch_execz .LBB89_262
; %bb.261:
	ds_load_2addr_b64 v[4:7], v20 offset0:29 offset1:30
	s_wait_dscnt 0x1
	v_pk_mul_f32 v[2:3], v[238:239], v[128:129] op_sel:[1,1] op_sel_hi:[0,1]
	s_delay_alu instid0(VALU_DEP_1) | instskip(SKIP_1) | instid1(VALU_DEP_1)
	v_pk_fma_f32 v[0:1], v[238:239], v[128:129], v[2:3] op_sel_hi:[1,0,1] neg_lo:[0,0,1] neg_hi:[0,0,1]
	v_pk_fma_f32 v[2:3], v[238:239], v[128:129], v[2:3] op_sel_hi:[1,0,1]
	v_dual_mov_b32 v128, v0 :: v_dual_mov_b32 v129, v3
	s_wait_dscnt 0x0
	s_delay_alu instid0(VALU_DEP_2) | instskip(NEXT) | instid1(VALU_DEP_1)
	v_pk_mul_f32 v[8:9], v[4:5], v[2:3] op_sel:[0,1]
	v_pk_fma_f32 v[10:11], v[4:5], v[0:1], v[8:9] op_sel:[0,0,1] op_sel_hi:[1,1,0] neg_lo:[0,0,1] neg_hi:[0,0,1]
	v_pk_fma_f32 v[4:5], v[4:5], v[0:1], v[8:9] op_sel:[0,0,1] op_sel_hi:[1,0,0]
	s_delay_alu instid0(VALU_DEP_1) | instskip(SKIP_1) | instid1(VALU_DEP_1)
	v_mov_b32_e32 v11, v5
	v_pk_mul_f32 v[4:5], v[6:7], v[2:3] op_sel:[0,1]
	v_pk_fma_f32 v[8:9], v[6:7], v[0:1], v[4:5] op_sel:[0,0,1] op_sel_hi:[1,1,0] neg_lo:[0,0,1] neg_hi:[0,0,1]
	v_pk_fma_f32 v[4:5], v[6:7], v[0:1], v[4:5] op_sel:[0,0,1] op_sel_hi:[1,0,0]
	s_delay_alu instid0(VALU_DEP_1)
	v_mov_b32_e32 v9, v5
	ds_load_2addr_b64 v[4:7], v20 offset0:31 offset1:32
	v_pk_add_f32 v[124:125], v[124:125], v[10:11] neg_lo:[0,1] neg_hi:[0,1]
	v_pk_add_f32 v[126:127], v[126:127], v[8:9] neg_lo:[0,1] neg_hi:[0,1]
	s_wait_dscnt 0x0
	v_pk_mul_f32 v[8:9], v[4:5], v[2:3] op_sel:[0,1]
	s_delay_alu instid0(VALU_DEP_1) | instskip(SKIP_2) | instid1(VALU_DEP_2)
	v_pk_fma_f32 v[10:11], v[4:5], v[0:1], v[8:9] op_sel:[0,0,1] op_sel_hi:[1,1,0] neg_lo:[0,0,1] neg_hi:[0,0,1]
	v_pk_fma_f32 v[4:5], v[4:5], v[0:1], v[8:9] op_sel:[0,0,1] op_sel_hi:[1,0,0]
	v_dual_mul_f32 v8, v7, v3 :: v_dual_mov_b32 v4, v7
	v_dual_mov_b32 v11, v5 :: v_dual_mov_b32 v5, v6
	s_delay_alu instid0(VALU_DEP_2) | instskip(SKIP_1) | instid1(VALU_DEP_3)
	v_pk_fma_f32 v[8:9], v[6:7], v[128:129], v[8:9] op_sel_hi:[1,1,0] neg_lo:[0,0,1] neg_hi:[0,0,1]
	v_mul_f32_e32 v6, v7, v0
	v_pk_add_f32 v[122:123], v[122:123], v[10:11] neg_lo:[0,1] neg_hi:[0,1]
	s_delay_alu instid0(VALU_DEP_2) | instskip(NEXT) | instid1(VALU_DEP_1)
	v_pk_fma_f32 v[4:5], v[4:5], v[128:129], v[6:7] op_sel_hi:[1,1,0]
	v_mov_b32_e32 v9, v5
	ds_load_2addr_b64 v[4:7], v20 offset0:33 offset1:34
	v_pk_add_f32 v[150:151], v[150:151], v[8:9] neg_lo:[0,1] neg_hi:[0,1]
	s_wait_dscnt 0x0
	v_pk_mul_f32 v[8:9], v[4:5], v[2:3] op_sel:[0,1]
	s_delay_alu instid0(VALU_DEP_1) | instskip(SKIP_1) | instid1(VALU_DEP_1)
	v_pk_fma_f32 v[10:11], v[4:5], v[0:1], v[8:9] op_sel:[0,0,1] op_sel_hi:[1,1,0] neg_lo:[0,0,1] neg_hi:[0,0,1]
	v_pk_fma_f32 v[4:5], v[4:5], v[0:1], v[8:9] op_sel:[0,0,1] op_sel_hi:[1,0,0]
	v_mov_b32_e32 v11, v5
	v_pk_mul_f32 v[4:5], v[6:7], v[2:3] op_sel:[0,1]
	s_delay_alu instid0(VALU_DEP_1) | instskip(SKIP_1) | instid1(VALU_DEP_1)
	v_pk_fma_f32 v[8:9], v[6:7], v[0:1], v[4:5] op_sel:[0,0,1] op_sel_hi:[1,1,0] neg_lo:[0,0,1] neg_hi:[0,0,1]
	v_pk_fma_f32 v[4:5], v[6:7], v[0:1], v[4:5] op_sel:[0,0,1] op_sel_hi:[1,0,0]
	v_mov_b32_e32 v9, v5
	ds_load_2addr_b64 v[4:7], v20 offset0:35 offset1:36
	v_pk_add_f32 v[146:147], v[146:147], v[10:11] neg_lo:[0,1] neg_hi:[0,1]
	v_pk_add_f32 v[148:149], v[148:149], v[8:9] neg_lo:[0,1] neg_hi:[0,1]
	s_wait_dscnt 0x0
	v_pk_mul_f32 v[8:9], v[4:5], v[2:3] op_sel:[0,1]
	s_delay_alu instid0(VALU_DEP_1) | instskip(SKIP_1) | instid1(VALU_DEP_1)
	v_pk_fma_f32 v[10:11], v[4:5], v[0:1], v[8:9] op_sel:[0,0,1] op_sel_hi:[1,1,0] neg_lo:[0,0,1] neg_hi:[0,0,1]
	v_pk_fma_f32 v[4:5], v[4:5], v[0:1], v[8:9] op_sel:[0,0,1] op_sel_hi:[1,0,0]
	v_mov_b32_e32 v11, v5
	v_pk_mul_f32 v[4:5], v[6:7], v[2:3] op_sel:[0,1]
	s_delay_alu instid0(VALU_DEP_1) | instskip(SKIP_1) | instid1(VALU_DEP_1)
	v_pk_fma_f32 v[8:9], v[6:7], v[0:1], v[4:5] op_sel:[0,0,1] op_sel_hi:[1,1,0] neg_lo:[0,0,1] neg_hi:[0,0,1]
	v_pk_fma_f32 v[4:5], v[6:7], v[0:1], v[4:5] op_sel:[0,0,1] op_sel_hi:[1,0,0]
	v_mov_b32_e32 v9, v5
	ds_load_2addr_b64 v[4:7], v20 offset0:37 offset1:38
	v_pk_add_f32 v[144:145], v[144:145], v[10:11] neg_lo:[0,1] neg_hi:[0,1]
	v_pk_add_f32 v[174:175], v[174:175], v[8:9] neg_lo:[0,1] neg_hi:[0,1]
	s_wait_dscnt 0x0
	v_dual_mul_f32 v8, v5, v3 :: v_dual_mul_f32 v10, v5, v0
	s_delay_alu instid0(VALU_DEP_1) | instskip(NEXT) | instid1(VALU_DEP_2)
	v_pk_fma_f32 v[8:9], v[4:5], v[128:129], v[8:9] op_sel_hi:[1,1,0] neg_lo:[0,0,1] neg_hi:[0,0,1]
	v_pk_fma_f32 v[4:5], v[4:5], v[128:129], v[10:11] op_sel:[1,0,0] op_sel_hi:[0,1,0]
	s_delay_alu instid0(VALU_DEP_1) | instskip(SKIP_1) | instid1(VALU_DEP_2)
	v_mov_b32_e32 v9, v5
	v_pk_mul_f32 v[4:5], v[6:7], v[2:3] op_sel:[0,1]
	v_pk_add_f32 v[166:167], v[166:167], v[8:9] neg_lo:[0,1] neg_hi:[0,1]
	s_delay_alu instid0(VALU_DEP_2) | instskip(SKIP_1) | instid1(VALU_DEP_1)
	v_pk_fma_f32 v[8:9], v[6:7], v[0:1], v[4:5] op_sel:[0,0,1] op_sel_hi:[1,1,0] neg_lo:[0,0,1] neg_hi:[0,0,1]
	v_pk_fma_f32 v[4:5], v[6:7], v[0:1], v[4:5] op_sel:[0,0,1] op_sel_hi:[1,0,0]
	v_mov_b32_e32 v9, v5
	ds_load_2addr_b64 v[4:7], v20 offset0:39 offset1:40
	v_pk_add_f32 v[172:173], v[172:173], v[8:9] neg_lo:[0,1] neg_hi:[0,1]
	s_wait_dscnt 0x0
	v_pk_mul_f32 v[8:9], v[4:5], v[2:3] op_sel:[0,1]
	s_delay_alu instid0(VALU_DEP_1) | instskip(SKIP_1) | instid1(VALU_DEP_1)
	v_pk_fma_f32 v[10:11], v[4:5], v[0:1], v[8:9] op_sel:[0,0,1] op_sel_hi:[1,1,0] neg_lo:[0,0,1] neg_hi:[0,0,1]
	v_pk_fma_f32 v[4:5], v[4:5], v[0:1], v[8:9] op_sel:[0,0,1] op_sel_hi:[1,0,0]
	v_mov_b32_e32 v11, v5
	v_pk_mul_f32 v[4:5], v[6:7], v[2:3] op_sel:[0,1]
	s_delay_alu instid0(VALU_DEP_2) | instskip(NEXT) | instid1(VALU_DEP_2)
	v_pk_add_f32 v[164:165], v[164:165], v[10:11] neg_lo:[0,1] neg_hi:[0,1]
	v_pk_fma_f32 v[8:9], v[6:7], v[0:1], v[4:5] op_sel:[0,0,1] op_sel_hi:[1,1,0] neg_lo:[0,0,1] neg_hi:[0,0,1]
	v_pk_fma_f32 v[4:5], v[6:7], v[0:1], v[4:5] op_sel:[0,0,1] op_sel_hi:[1,0,0]
	s_delay_alu instid0(VALU_DEP_1) | instskip(SKIP_4) | instid1(VALU_DEP_1)
	v_mov_b32_e32 v9, v5
	ds_load_2addr_b64 v[4:7], v20 offset0:41 offset1:42
	v_pk_add_f32 v[170:171], v[170:171], v[8:9] neg_lo:[0,1] neg_hi:[0,1]
	s_wait_dscnt 0x0
	v_pk_mul_f32 v[8:9], v[4:5], v[2:3] op_sel:[0,1]
	v_pk_fma_f32 v[10:11], v[4:5], v[0:1], v[8:9] op_sel:[0,0,1] op_sel_hi:[1,1,0] neg_lo:[0,0,1] neg_hi:[0,0,1]
	v_pk_fma_f32 v[4:5], v[4:5], v[0:1], v[8:9] op_sel:[0,0,1] op_sel_hi:[1,0,0]
	v_dual_mul_f32 v8, v7, v3 :: v_dual_mov_b32 v4, v7
	s_delay_alu instid0(VALU_DEP_2) | instskip(NEXT) | instid1(VALU_DEP_2)
	v_dual_mov_b32 v11, v5 :: v_dual_mov_b32 v5, v6
	v_pk_fma_f32 v[8:9], v[6:7], v[128:129], v[8:9] op_sel_hi:[1,1,0] neg_lo:[0,0,1] neg_hi:[0,0,1]
	v_mul_f32_e32 v6, v7, v0
	s_delay_alu instid0(VALU_DEP_3) | instskip(NEXT) | instid1(VALU_DEP_2)
	v_pk_add_f32 v[162:163], v[162:163], v[10:11] neg_lo:[0,1] neg_hi:[0,1]
	v_pk_fma_f32 v[4:5], v[4:5], v[128:129], v[6:7] op_sel_hi:[1,1,0]
	s_delay_alu instid0(VALU_DEP_1)
	v_mov_b32_e32 v9, v5
	ds_load_2addr_b64 v[4:7], v20 offset0:43 offset1:44
	v_pk_add_f32 v[168:169], v[168:169], v[8:9] neg_lo:[0,1] neg_hi:[0,1]
	s_wait_dscnt 0x0
	v_pk_mul_f32 v[8:9], v[4:5], v[2:3] op_sel:[0,1]
	v_pk_mul_f32 v[2:3], v[6:7], v[2:3] op_sel:[0,1]
	s_delay_alu instid0(VALU_DEP_2) | instskip(SKIP_1) | instid1(VALU_DEP_1)
	v_pk_fma_f32 v[10:11], v[4:5], v[0:1], v[8:9] op_sel:[0,0,1] op_sel_hi:[1,1,0] neg_lo:[0,0,1] neg_hi:[0,0,1]
	v_pk_fma_f32 v[4:5], v[4:5], v[0:1], v[8:9] op_sel:[0,0,1] op_sel_hi:[1,0,0]
	v_mov_b32_e32 v11, v5
	s_delay_alu instid0(VALU_DEP_4) | instskip(SKIP_1) | instid1(VALU_DEP_1)
	v_pk_fma_f32 v[4:5], v[6:7], v[0:1], v[2:3] op_sel:[0,0,1] op_sel_hi:[1,1,0] neg_lo:[0,0,1] neg_hi:[0,0,1]
	v_pk_fma_f32 v[0:1], v[6:7], v[0:1], v[2:3] op_sel:[0,0,1] op_sel_hi:[1,0,0]
	v_mov_b32_e32 v5, v1
	s_delay_alu instid0(VALU_DEP_4) | instskip(NEXT) | instid1(VALU_DEP_2)
	v_pk_add_f32 v[176:177], v[176:177], v[10:11] neg_lo:[0,1] neg_hi:[0,1]
	v_pk_add_f32 v[180:181], v[180:181], v[4:5] neg_lo:[0,1] neg_hi:[0,1]
.LBB89_262:
	s_or_b32 exec_lo, exec_lo, s1
	s_delay_alu instid0(SALU_CYCLE_1)
	s_mov_b32 s2, exec_lo
	s_wait_dscnt 0x0
	s_barrier_signal -1
	s_barrier_wait -1
	v_cmpx_eq_u32_e32 29, v38
	s_cbranch_execz .LBB89_269
; %bb.263:
	v_dual_mov_b32 v0, v126 :: v_dual_mov_b32 v1, v127
	v_dual_mov_b32 v2, v122 :: v_dual_mov_b32 v3, v123
	ds_store_b64 v39, v[124:125]
	ds_store_2addr_b64 v20, v[0:1], v[2:3] offset0:30 offset1:31
	v_dual_mov_b32 v0, v150 :: v_dual_mov_b32 v1, v151
	v_dual_mov_b32 v2, v146 :: v_dual_mov_b32 v3, v147
	ds_store_2addr_b64 v20, v[0:1], v[2:3] offset0:32 offset1:33
	v_dual_mov_b32 v0, v148 :: v_dual_mov_b32 v1, v149
	v_dual_mov_b32 v2, v144 :: v_dual_mov_b32 v3, v145
	;; [unrolled: 3-line block ×6, first 2 shown]
	ds_store_2addr_b64 v20, v[0:1], v[2:3] offset0:42 offset1:43
	ds_store_b64 v20, v[180:181] offset:352
	ds_load_b64 v[0:1], v39
	s_wait_dscnt 0x0
	v_cmp_neq_f32_e32 vcc_lo, 0, v0
	v_cmp_neq_f32_e64 s1, 0, v1
	s_or_b32 s1, vcc_lo, s1
	s_delay_alu instid0(SALU_CYCLE_1)
	s_and_b32 exec_lo, exec_lo, s1
	s_cbranch_execz .LBB89_269
; %bb.264:
	v_cmp_ngt_f32_e64 s1, |v0|, |v1|
                                        ; implicit-def: $vgpr2_vgpr3
	s_and_saveexec_b32 s4, s1
	s_delay_alu instid0(SALU_CYCLE_1)
	s_xor_b32 s1, exec_lo, s4
	s_cbranch_execz .LBB89_266
; %bb.265:
	v_div_scale_f32 v2, null, v1, v1, v0
	v_div_scale_f32 v5, vcc_lo, v0, v1, v0
	s_delay_alu instid0(VALU_DEP_2) | instskip(SKIP_1) | instid1(TRANS32_DEP_1)
	v_rcp_f32_e32 v3, v2
	v_nop
	v_fma_f32 v4, -v2, v3, 1.0
	s_delay_alu instid0(VALU_DEP_1) | instskip(NEXT) | instid1(VALU_DEP_1)
	v_fmac_f32_e32 v3, v4, v3
	v_mul_f32_e32 v4, v5, v3
	s_delay_alu instid0(VALU_DEP_1) | instskip(NEXT) | instid1(VALU_DEP_1)
	v_fma_f32 v6, -v2, v4, v5
	v_fmac_f32_e32 v4, v6, v3
	s_delay_alu instid0(VALU_DEP_1) | instskip(NEXT) | instid1(VALU_DEP_1)
	v_fma_f32 v2, -v2, v4, v5
	v_div_fmas_f32 v2, v2, v3, v4
	s_delay_alu instid0(VALU_DEP_1) | instskip(NEXT) | instid1(VALU_DEP_1)
	v_div_fixup_f32 v2, v2, v1, v0
	v_fmac_f32_e32 v1, v0, v2
	s_delay_alu instid0(VALU_DEP_1) | instskip(SKIP_1) | instid1(VALU_DEP_2)
	v_div_scale_f32 v0, null, v1, v1, 1.0
	v_div_scale_f32 v5, vcc_lo, 1.0, v1, 1.0
	v_rcp_f32_e32 v3, v0
	v_nop
	s_delay_alu instid0(TRANS32_DEP_1) | instskip(NEXT) | instid1(VALU_DEP_1)
	v_fma_f32 v4, -v0, v3, 1.0
	v_fmac_f32_e32 v3, v4, v3
	s_delay_alu instid0(VALU_DEP_1) | instskip(NEXT) | instid1(VALU_DEP_1)
	v_mul_f32_e32 v4, v5, v3
	v_fma_f32 v6, -v0, v4, v5
	s_delay_alu instid0(VALU_DEP_1) | instskip(NEXT) | instid1(VALU_DEP_1)
	v_fmac_f32_e32 v4, v6, v3
	v_fma_f32 v0, -v0, v4, v5
	s_delay_alu instid0(VALU_DEP_1) | instskip(NEXT) | instid1(VALU_DEP_1)
	v_div_fmas_f32 v0, v0, v3, v4
	v_div_fixup_f32 v0, v0, v1, 1.0
	s_delay_alu instid0(VALU_DEP_1)
	v_mul_f32_e32 v2, v2, v0
	v_xor_b32_e32 v3, 0x80000000, v0
                                        ; implicit-def: $vgpr0_vgpr1
.LBB89_266:
	s_and_not1_saveexec_b32 s1, s1
	s_cbranch_execz .LBB89_268
; %bb.267:
	v_div_scale_f32 v2, null, v0, v0, v1
	v_div_scale_f32 v5, vcc_lo, v1, v0, v1
	s_delay_alu instid0(VALU_DEP_2) | instskip(SKIP_1) | instid1(TRANS32_DEP_1)
	v_rcp_f32_e32 v3, v2
	v_nop
	v_fma_f32 v4, -v2, v3, 1.0
	s_delay_alu instid0(VALU_DEP_1) | instskip(NEXT) | instid1(VALU_DEP_1)
	v_fmac_f32_e32 v3, v4, v3
	v_mul_f32_e32 v4, v5, v3
	s_delay_alu instid0(VALU_DEP_1) | instskip(NEXT) | instid1(VALU_DEP_1)
	v_fma_f32 v6, -v2, v4, v5
	v_fmac_f32_e32 v4, v6, v3
	s_delay_alu instid0(VALU_DEP_1) | instskip(NEXT) | instid1(VALU_DEP_1)
	v_fma_f32 v2, -v2, v4, v5
	v_div_fmas_f32 v2, v2, v3, v4
	s_delay_alu instid0(VALU_DEP_1) | instskip(NEXT) | instid1(VALU_DEP_1)
	v_div_fixup_f32 v3, v2, v0, v1
	v_fmac_f32_e32 v0, v1, v3
	s_delay_alu instid0(VALU_DEP_1) | instskip(NEXT) | instid1(VALU_DEP_1)
	v_div_scale_f32 v1, null, v0, v0, 1.0
	v_rcp_f32_e32 v2, v1
	v_nop
	s_delay_alu instid0(TRANS32_DEP_1) | instskip(NEXT) | instid1(VALU_DEP_1)
	v_fma_f32 v4, -v1, v2, 1.0
	v_fmac_f32_e32 v2, v4, v2
	v_div_scale_f32 v4, vcc_lo, 1.0, v0, 1.0
	s_delay_alu instid0(VALU_DEP_1) | instskip(NEXT) | instid1(VALU_DEP_1)
	v_mul_f32_e32 v5, v4, v2
	v_fma_f32 v6, -v1, v5, v4
	s_delay_alu instid0(VALU_DEP_1) | instskip(NEXT) | instid1(VALU_DEP_1)
	v_fmac_f32_e32 v5, v6, v2
	v_fma_f32 v1, -v1, v5, v4
	s_delay_alu instid0(VALU_DEP_1) | instskip(NEXT) | instid1(VALU_DEP_1)
	v_div_fmas_f32 v1, v1, v2, v5
	v_div_fixup_f32 v2, v1, v0, 1.0
	s_delay_alu instid0(VALU_DEP_1)
	v_mul_f32_e64 v3, v3, -v2
.LBB89_268:
	s_or_b32 exec_lo, exec_lo, s1
	ds_store_b64 v39, v[2:3]
.LBB89_269:
	s_or_b32 exec_lo, exec_lo, s2
	s_wait_dscnt 0x0
	s_barrier_signal -1
	s_barrier_wait -1
	ds_load_b64 v[240:241], v39
	s_mov_b32 s1, exec_lo
	v_cmpx_lt_u32_e32 29, v38
	s_cbranch_execz .LBB89_271
; %bb.270:
	ds_load_2addr_b64 v[4:7], v20 offset0:30 offset1:31
	s_wait_dscnt 0x1
	v_pk_mul_f32 v[2:3], v[240:241], v[124:125] op_sel:[1,1] op_sel_hi:[0,1]
	s_delay_alu instid0(VALU_DEP_1) | instskip(SKIP_1) | instid1(VALU_DEP_1)
	v_pk_fma_f32 v[0:1], v[240:241], v[124:125], v[2:3] op_sel_hi:[1,0,1] neg_lo:[0,0,1] neg_hi:[0,0,1]
	v_pk_fma_f32 v[2:3], v[240:241], v[124:125], v[2:3] op_sel_hi:[1,0,1]
	v_dual_mov_b32 v124, v0 :: v_dual_mov_b32 v125, v3
	s_wait_dscnt 0x0
	s_delay_alu instid0(VALU_DEP_2) | instskip(NEXT) | instid1(VALU_DEP_1)
	v_pk_mul_f32 v[8:9], v[4:5], v[2:3] op_sel:[0,1]
	v_pk_fma_f32 v[10:11], v[4:5], v[0:1], v[8:9] op_sel:[0,0,1] op_sel_hi:[1,1,0] neg_lo:[0,0,1] neg_hi:[0,0,1]
	v_pk_fma_f32 v[4:5], v[4:5], v[0:1], v[8:9] op_sel:[0,0,1] op_sel_hi:[1,0,0]
	s_delay_alu instid0(VALU_DEP_1) | instskip(SKIP_1) | instid1(VALU_DEP_1)
	v_mov_b32_e32 v11, v5
	v_pk_mul_f32 v[4:5], v[6:7], v[2:3] op_sel:[0,1]
	v_pk_fma_f32 v[8:9], v[6:7], v[0:1], v[4:5] op_sel:[0,0,1] op_sel_hi:[1,1,0] neg_lo:[0,0,1] neg_hi:[0,0,1]
	v_pk_fma_f32 v[4:5], v[6:7], v[0:1], v[4:5] op_sel:[0,0,1] op_sel_hi:[1,0,0]
	s_delay_alu instid0(VALU_DEP_1)
	v_mov_b32_e32 v9, v5
	ds_load_2addr_b64 v[4:7], v20 offset0:32 offset1:33
	v_pk_add_f32 v[126:127], v[126:127], v[10:11] neg_lo:[0,1] neg_hi:[0,1]
	v_pk_add_f32 v[122:123], v[122:123], v[8:9] neg_lo:[0,1] neg_hi:[0,1]
	s_wait_dscnt 0x0
	v_pk_mul_f32 v[8:9], v[4:5], v[2:3] op_sel:[0,1]
	s_delay_alu instid0(VALU_DEP_1) | instskip(SKIP_2) | instid1(VALU_DEP_2)
	v_pk_fma_f32 v[10:11], v[4:5], v[0:1], v[8:9] op_sel:[0,0,1] op_sel_hi:[1,1,0] neg_lo:[0,0,1] neg_hi:[0,0,1]
	v_pk_fma_f32 v[4:5], v[4:5], v[0:1], v[8:9] op_sel:[0,0,1] op_sel_hi:[1,0,0]
	v_dual_mul_f32 v8, v7, v3 :: v_dual_mov_b32 v4, v7
	v_dual_mov_b32 v11, v5 :: v_dual_mov_b32 v5, v6
	s_delay_alu instid0(VALU_DEP_2) | instskip(SKIP_1) | instid1(VALU_DEP_3)
	v_pk_fma_f32 v[8:9], v[6:7], v[124:125], v[8:9] op_sel_hi:[1,1,0] neg_lo:[0,0,1] neg_hi:[0,0,1]
	v_mul_f32_e32 v6, v7, v0
	v_pk_add_f32 v[150:151], v[150:151], v[10:11] neg_lo:[0,1] neg_hi:[0,1]
	s_delay_alu instid0(VALU_DEP_2) | instskip(NEXT) | instid1(VALU_DEP_1)
	v_pk_fma_f32 v[4:5], v[4:5], v[124:125], v[6:7] op_sel_hi:[1,1,0]
	v_mov_b32_e32 v9, v5
	ds_load_2addr_b64 v[4:7], v20 offset0:34 offset1:35
	v_pk_add_f32 v[146:147], v[146:147], v[8:9] neg_lo:[0,1] neg_hi:[0,1]
	s_wait_dscnt 0x0
	v_pk_mul_f32 v[8:9], v[4:5], v[2:3] op_sel:[0,1]
	s_delay_alu instid0(VALU_DEP_1) | instskip(SKIP_1) | instid1(VALU_DEP_1)
	v_pk_fma_f32 v[10:11], v[4:5], v[0:1], v[8:9] op_sel:[0,0,1] op_sel_hi:[1,1,0] neg_lo:[0,0,1] neg_hi:[0,0,1]
	v_pk_fma_f32 v[4:5], v[4:5], v[0:1], v[8:9] op_sel:[0,0,1] op_sel_hi:[1,0,0]
	v_mov_b32_e32 v11, v5
	v_pk_mul_f32 v[4:5], v[6:7], v[2:3] op_sel:[0,1]
	s_delay_alu instid0(VALU_DEP_1) | instskip(SKIP_1) | instid1(VALU_DEP_1)
	v_pk_fma_f32 v[8:9], v[6:7], v[0:1], v[4:5] op_sel:[0,0,1] op_sel_hi:[1,1,0] neg_lo:[0,0,1] neg_hi:[0,0,1]
	v_pk_fma_f32 v[4:5], v[6:7], v[0:1], v[4:5] op_sel:[0,0,1] op_sel_hi:[1,0,0]
	v_mov_b32_e32 v9, v5
	ds_load_2addr_b64 v[4:7], v20 offset0:36 offset1:37
	v_pk_add_f32 v[148:149], v[148:149], v[10:11] neg_lo:[0,1] neg_hi:[0,1]
	v_pk_add_f32 v[144:145], v[144:145], v[8:9] neg_lo:[0,1] neg_hi:[0,1]
	s_wait_dscnt 0x0
	v_pk_mul_f32 v[8:9], v[4:5], v[2:3] op_sel:[0,1]
	s_delay_alu instid0(VALU_DEP_1) | instskip(SKIP_1) | instid1(VALU_DEP_1)
	v_pk_fma_f32 v[10:11], v[4:5], v[0:1], v[8:9] op_sel:[0,0,1] op_sel_hi:[1,1,0] neg_lo:[0,0,1] neg_hi:[0,0,1]
	v_pk_fma_f32 v[4:5], v[4:5], v[0:1], v[8:9] op_sel:[0,0,1] op_sel_hi:[1,0,0]
	v_mov_b32_e32 v11, v5
	v_pk_mul_f32 v[4:5], v[6:7], v[2:3] op_sel:[0,1]
	s_delay_alu instid0(VALU_DEP_1) | instskip(SKIP_1) | instid1(VALU_DEP_1)
	v_pk_fma_f32 v[8:9], v[6:7], v[0:1], v[4:5] op_sel:[0,0,1] op_sel_hi:[1,1,0] neg_lo:[0,0,1] neg_hi:[0,0,1]
	v_pk_fma_f32 v[4:5], v[6:7], v[0:1], v[4:5] op_sel:[0,0,1] op_sel_hi:[1,0,0]
	v_mov_b32_e32 v9, v5
	ds_load_2addr_b64 v[4:7], v20 offset0:38 offset1:39
	v_pk_add_f32 v[174:175], v[174:175], v[10:11] neg_lo:[0,1] neg_hi:[0,1]
	v_pk_add_f32 v[166:167], v[166:167], v[8:9] neg_lo:[0,1] neg_hi:[0,1]
	s_wait_dscnt 0x0
	v_dual_mul_f32 v8, v5, v3 :: v_dual_mul_f32 v10, v5, v0
	s_delay_alu instid0(VALU_DEP_1) | instskip(NEXT) | instid1(VALU_DEP_2)
	v_pk_fma_f32 v[8:9], v[4:5], v[124:125], v[8:9] op_sel_hi:[1,1,0] neg_lo:[0,0,1] neg_hi:[0,0,1]
	v_pk_fma_f32 v[4:5], v[4:5], v[124:125], v[10:11] op_sel:[1,0,0] op_sel_hi:[0,1,0]
	s_delay_alu instid0(VALU_DEP_1) | instskip(SKIP_1) | instid1(VALU_DEP_2)
	v_mov_b32_e32 v9, v5
	v_pk_mul_f32 v[4:5], v[6:7], v[2:3] op_sel:[0,1]
	v_pk_add_f32 v[172:173], v[172:173], v[8:9] neg_lo:[0,1] neg_hi:[0,1]
	s_delay_alu instid0(VALU_DEP_2) | instskip(SKIP_1) | instid1(VALU_DEP_1)
	v_pk_fma_f32 v[8:9], v[6:7], v[0:1], v[4:5] op_sel:[0,0,1] op_sel_hi:[1,1,0] neg_lo:[0,0,1] neg_hi:[0,0,1]
	v_pk_fma_f32 v[4:5], v[6:7], v[0:1], v[4:5] op_sel:[0,0,1] op_sel_hi:[1,0,0]
	v_mov_b32_e32 v9, v5
	ds_load_2addr_b64 v[4:7], v20 offset0:40 offset1:41
	v_pk_add_f32 v[164:165], v[164:165], v[8:9] neg_lo:[0,1] neg_hi:[0,1]
	s_wait_dscnt 0x0
	v_pk_mul_f32 v[8:9], v[4:5], v[2:3] op_sel:[0,1]
	s_delay_alu instid0(VALU_DEP_1) | instskip(SKIP_1) | instid1(VALU_DEP_1)
	v_pk_fma_f32 v[10:11], v[4:5], v[0:1], v[8:9] op_sel:[0,0,1] op_sel_hi:[1,1,0] neg_lo:[0,0,1] neg_hi:[0,0,1]
	v_pk_fma_f32 v[4:5], v[4:5], v[0:1], v[8:9] op_sel:[0,0,1] op_sel_hi:[1,0,0]
	v_mov_b32_e32 v11, v5
	v_pk_mul_f32 v[4:5], v[6:7], v[2:3] op_sel:[0,1]
	s_delay_alu instid0(VALU_DEP_2) | instskip(NEXT) | instid1(VALU_DEP_2)
	v_pk_add_f32 v[170:171], v[170:171], v[10:11] neg_lo:[0,1] neg_hi:[0,1]
	v_pk_fma_f32 v[8:9], v[6:7], v[0:1], v[4:5] op_sel:[0,0,1] op_sel_hi:[1,1,0] neg_lo:[0,0,1] neg_hi:[0,0,1]
	v_pk_fma_f32 v[4:5], v[6:7], v[0:1], v[4:5] op_sel:[0,0,1] op_sel_hi:[1,0,0]
	s_delay_alu instid0(VALU_DEP_1) | instskip(SKIP_4) | instid1(VALU_DEP_1)
	v_mov_b32_e32 v9, v5
	ds_load_2addr_b64 v[4:7], v20 offset0:42 offset1:43
	v_pk_add_f32 v[162:163], v[162:163], v[8:9] neg_lo:[0,1] neg_hi:[0,1]
	s_wait_dscnt 0x0
	v_pk_mul_f32 v[8:9], v[4:5], v[2:3] op_sel:[0,1]
	v_pk_fma_f32 v[10:11], v[4:5], v[0:1], v[8:9] op_sel:[0,0,1] op_sel_hi:[1,1,0] neg_lo:[0,0,1] neg_hi:[0,0,1]
	v_pk_fma_f32 v[4:5], v[4:5], v[0:1], v[8:9] op_sel:[0,0,1] op_sel_hi:[1,0,0]
	v_dual_mul_f32 v8, v7, v3 :: v_dual_mov_b32 v4, v7
	s_delay_alu instid0(VALU_DEP_2) | instskip(NEXT) | instid1(VALU_DEP_2)
	v_dual_mov_b32 v11, v5 :: v_dual_mov_b32 v5, v6
	v_pk_fma_f32 v[8:9], v[6:7], v[124:125], v[8:9] op_sel_hi:[1,1,0] neg_lo:[0,0,1] neg_hi:[0,0,1]
	v_mul_f32_e32 v6, v7, v0
	s_delay_alu instid0(VALU_DEP_3) | instskip(NEXT) | instid1(VALU_DEP_2)
	v_pk_add_f32 v[168:169], v[168:169], v[10:11] neg_lo:[0,1] neg_hi:[0,1]
	v_pk_fma_f32 v[4:5], v[4:5], v[124:125], v[6:7] op_sel_hi:[1,1,0]
	s_delay_alu instid0(VALU_DEP_1) | instskip(SKIP_4) | instid1(VALU_DEP_1)
	v_mov_b32_e32 v9, v5
	ds_load_b64 v[4:5], v20 offset:352
	v_pk_add_f32 v[176:177], v[176:177], v[8:9] neg_lo:[0,1] neg_hi:[0,1]
	s_wait_dscnt 0x0
	v_pk_mul_f32 v[2:3], v[4:5], v[2:3] op_sel:[0,1]
	v_pk_fma_f32 v[6:7], v[4:5], v[0:1], v[2:3] op_sel:[0,0,1] op_sel_hi:[1,1,0] neg_lo:[0,0,1] neg_hi:[0,0,1]
	v_pk_fma_f32 v[0:1], v[4:5], v[0:1], v[2:3] op_sel:[0,0,1] op_sel_hi:[1,0,0]
	s_delay_alu instid0(VALU_DEP_1) | instskip(NEXT) | instid1(VALU_DEP_1)
	v_mov_b32_e32 v7, v1
	v_pk_add_f32 v[180:181], v[180:181], v[6:7] neg_lo:[0,1] neg_hi:[0,1]
.LBB89_271:
	s_or_b32 exec_lo, exec_lo, s1
	s_delay_alu instid0(SALU_CYCLE_1)
	s_mov_b32 s2, exec_lo
	s_wait_dscnt 0x0
	s_barrier_signal -1
	s_barrier_wait -1
	v_cmpx_eq_u32_e32 30, v38
	s_cbranch_execz .LBB89_278
; %bb.272:
	ds_store_b64 v39, v[126:127]
	ds_store_2addr_b64 v20, v[122:123], v[150:151] offset0:31 offset1:32
	ds_store_2addr_b64 v20, v[146:147], v[148:149] offset0:33 offset1:34
	;; [unrolled: 1-line block ×7, first 2 shown]
	ds_load_b64 v[0:1], v39
	s_wait_dscnt 0x0
	v_cmp_neq_f32_e32 vcc_lo, 0, v0
	v_cmp_neq_f32_e64 s1, 0, v1
	s_or_b32 s1, vcc_lo, s1
	s_delay_alu instid0(SALU_CYCLE_1)
	s_and_b32 exec_lo, exec_lo, s1
	s_cbranch_execz .LBB89_278
; %bb.273:
	v_cmp_ngt_f32_e64 s1, |v0|, |v1|
                                        ; implicit-def: $vgpr2_vgpr3
	s_and_saveexec_b32 s4, s1
	s_delay_alu instid0(SALU_CYCLE_1)
	s_xor_b32 s1, exec_lo, s4
	s_cbranch_execz .LBB89_275
; %bb.274:
	v_div_scale_f32 v2, null, v1, v1, v0
	v_div_scale_f32 v5, vcc_lo, v0, v1, v0
	s_delay_alu instid0(VALU_DEP_2) | instskip(SKIP_1) | instid1(TRANS32_DEP_1)
	v_rcp_f32_e32 v3, v2
	v_nop
	v_fma_f32 v4, -v2, v3, 1.0
	s_delay_alu instid0(VALU_DEP_1) | instskip(NEXT) | instid1(VALU_DEP_1)
	v_fmac_f32_e32 v3, v4, v3
	v_mul_f32_e32 v4, v5, v3
	s_delay_alu instid0(VALU_DEP_1) | instskip(NEXT) | instid1(VALU_DEP_1)
	v_fma_f32 v6, -v2, v4, v5
	v_fmac_f32_e32 v4, v6, v3
	s_delay_alu instid0(VALU_DEP_1) | instskip(NEXT) | instid1(VALU_DEP_1)
	v_fma_f32 v2, -v2, v4, v5
	v_div_fmas_f32 v2, v2, v3, v4
	s_delay_alu instid0(VALU_DEP_1) | instskip(NEXT) | instid1(VALU_DEP_1)
	v_div_fixup_f32 v2, v2, v1, v0
	v_fmac_f32_e32 v1, v0, v2
	s_delay_alu instid0(VALU_DEP_1) | instskip(SKIP_1) | instid1(VALU_DEP_2)
	v_div_scale_f32 v0, null, v1, v1, 1.0
	v_div_scale_f32 v5, vcc_lo, 1.0, v1, 1.0
	v_rcp_f32_e32 v3, v0
	v_nop
	s_delay_alu instid0(TRANS32_DEP_1) | instskip(NEXT) | instid1(VALU_DEP_1)
	v_fma_f32 v4, -v0, v3, 1.0
	v_fmac_f32_e32 v3, v4, v3
	s_delay_alu instid0(VALU_DEP_1) | instskip(NEXT) | instid1(VALU_DEP_1)
	v_mul_f32_e32 v4, v5, v3
	v_fma_f32 v6, -v0, v4, v5
	s_delay_alu instid0(VALU_DEP_1) | instskip(NEXT) | instid1(VALU_DEP_1)
	v_fmac_f32_e32 v4, v6, v3
	v_fma_f32 v0, -v0, v4, v5
	s_delay_alu instid0(VALU_DEP_1) | instskip(NEXT) | instid1(VALU_DEP_1)
	v_div_fmas_f32 v0, v0, v3, v4
	v_div_fixup_f32 v0, v0, v1, 1.0
	s_delay_alu instid0(VALU_DEP_1)
	v_mul_f32_e32 v2, v2, v0
	v_xor_b32_e32 v3, 0x80000000, v0
                                        ; implicit-def: $vgpr0_vgpr1
.LBB89_275:
	s_and_not1_saveexec_b32 s1, s1
	s_cbranch_execz .LBB89_277
; %bb.276:
	v_div_scale_f32 v2, null, v0, v0, v1
	v_div_scale_f32 v5, vcc_lo, v1, v0, v1
	s_delay_alu instid0(VALU_DEP_2) | instskip(SKIP_1) | instid1(TRANS32_DEP_1)
	v_rcp_f32_e32 v3, v2
	v_nop
	v_fma_f32 v4, -v2, v3, 1.0
	s_delay_alu instid0(VALU_DEP_1) | instskip(NEXT) | instid1(VALU_DEP_1)
	v_fmac_f32_e32 v3, v4, v3
	v_mul_f32_e32 v4, v5, v3
	s_delay_alu instid0(VALU_DEP_1) | instskip(NEXT) | instid1(VALU_DEP_1)
	v_fma_f32 v6, -v2, v4, v5
	v_fmac_f32_e32 v4, v6, v3
	s_delay_alu instid0(VALU_DEP_1) | instskip(NEXT) | instid1(VALU_DEP_1)
	v_fma_f32 v2, -v2, v4, v5
	v_div_fmas_f32 v2, v2, v3, v4
	s_delay_alu instid0(VALU_DEP_1) | instskip(NEXT) | instid1(VALU_DEP_1)
	v_div_fixup_f32 v3, v2, v0, v1
	v_fmac_f32_e32 v0, v1, v3
	s_delay_alu instid0(VALU_DEP_1) | instskip(NEXT) | instid1(VALU_DEP_1)
	v_div_scale_f32 v1, null, v0, v0, 1.0
	v_rcp_f32_e32 v2, v1
	v_nop
	s_delay_alu instid0(TRANS32_DEP_1) | instskip(NEXT) | instid1(VALU_DEP_1)
	v_fma_f32 v4, -v1, v2, 1.0
	v_fmac_f32_e32 v2, v4, v2
	v_div_scale_f32 v4, vcc_lo, 1.0, v0, 1.0
	s_delay_alu instid0(VALU_DEP_1) | instskip(NEXT) | instid1(VALU_DEP_1)
	v_mul_f32_e32 v5, v4, v2
	v_fma_f32 v6, -v1, v5, v4
	s_delay_alu instid0(VALU_DEP_1) | instskip(NEXT) | instid1(VALU_DEP_1)
	v_fmac_f32_e32 v5, v6, v2
	v_fma_f32 v1, -v1, v5, v4
	s_delay_alu instid0(VALU_DEP_1) | instskip(NEXT) | instid1(VALU_DEP_1)
	v_div_fmas_f32 v1, v1, v2, v5
	v_div_fixup_f32 v2, v1, v0, 1.0
	s_delay_alu instid0(VALU_DEP_1)
	v_mul_f32_e64 v3, v3, -v2
.LBB89_277:
	s_or_b32 exec_lo, exec_lo, s1
	ds_store_b64 v39, v[2:3]
.LBB89_278:
	s_or_b32 exec_lo, exec_lo, s2
	s_wait_dscnt 0x0
	s_barrier_signal -1
	s_barrier_wait -1
	ds_load_b64 v[242:243], v39
	s_mov_b32 s1, exec_lo
	v_cmpx_lt_u32_e32 30, v38
	s_cbranch_execz .LBB89_280
; %bb.279:
	ds_load_2addr_b64 v[4:7], v20 offset0:31 offset1:32
	s_wait_dscnt 0x1
	v_pk_mul_f32 v[2:3], v[242:243], v[126:127] op_sel:[1,1] op_sel_hi:[0,1]
	s_delay_alu instid0(VALU_DEP_1) | instskip(SKIP_1) | instid1(VALU_DEP_1)
	v_pk_fma_f32 v[0:1], v[242:243], v[126:127], v[2:3] op_sel_hi:[1,0,1] neg_lo:[0,0,1] neg_hi:[0,0,1]
	v_pk_fma_f32 v[2:3], v[242:243], v[126:127], v[2:3] op_sel_hi:[1,0,1]
	v_dual_mov_b32 v126, v0 :: v_dual_mov_b32 v127, v3
	s_wait_dscnt 0x0
	s_delay_alu instid0(VALU_DEP_2) | instskip(NEXT) | instid1(VALU_DEP_1)
	v_pk_mul_f32 v[8:9], v[4:5], v[2:3] op_sel:[0,1]
	v_pk_fma_f32 v[10:11], v[4:5], v[0:1], v[8:9] op_sel:[0,0,1] op_sel_hi:[1,1,0] neg_lo:[0,0,1] neg_hi:[0,0,1]
	v_pk_fma_f32 v[4:5], v[4:5], v[0:1], v[8:9] op_sel:[0,0,1] op_sel_hi:[1,0,0]
	s_delay_alu instid0(VALU_DEP_1) | instskip(SKIP_1) | instid1(VALU_DEP_1)
	v_mov_b32_e32 v11, v5
	v_pk_mul_f32 v[4:5], v[6:7], v[2:3] op_sel:[0,1]
	v_pk_fma_f32 v[8:9], v[6:7], v[0:1], v[4:5] op_sel:[0,0,1] op_sel_hi:[1,1,0] neg_lo:[0,0,1] neg_hi:[0,0,1]
	v_pk_fma_f32 v[4:5], v[6:7], v[0:1], v[4:5] op_sel:[0,0,1] op_sel_hi:[1,0,0]
	s_delay_alu instid0(VALU_DEP_1)
	v_mov_b32_e32 v9, v5
	ds_load_2addr_b64 v[4:7], v20 offset0:33 offset1:34
	v_pk_add_f32 v[122:123], v[122:123], v[10:11] neg_lo:[0,1] neg_hi:[0,1]
	v_pk_add_f32 v[150:151], v[150:151], v[8:9] neg_lo:[0,1] neg_hi:[0,1]
	s_wait_dscnt 0x0
	v_pk_mul_f32 v[8:9], v[4:5], v[2:3] op_sel:[0,1]
	s_delay_alu instid0(VALU_DEP_1) | instskip(SKIP_2) | instid1(VALU_DEP_2)
	v_pk_fma_f32 v[10:11], v[4:5], v[0:1], v[8:9] op_sel:[0,0,1] op_sel_hi:[1,1,0] neg_lo:[0,0,1] neg_hi:[0,0,1]
	v_pk_fma_f32 v[4:5], v[4:5], v[0:1], v[8:9] op_sel:[0,0,1] op_sel_hi:[1,0,0]
	v_dual_mul_f32 v8, v7, v3 :: v_dual_mov_b32 v4, v7
	v_dual_mov_b32 v11, v5 :: v_dual_mov_b32 v5, v6
	s_delay_alu instid0(VALU_DEP_2) | instskip(SKIP_1) | instid1(VALU_DEP_3)
	v_pk_fma_f32 v[8:9], v[6:7], v[126:127], v[8:9] op_sel_hi:[1,1,0] neg_lo:[0,0,1] neg_hi:[0,0,1]
	v_mul_f32_e32 v6, v7, v0
	v_pk_add_f32 v[146:147], v[146:147], v[10:11] neg_lo:[0,1] neg_hi:[0,1]
	s_delay_alu instid0(VALU_DEP_2) | instskip(NEXT) | instid1(VALU_DEP_1)
	v_pk_fma_f32 v[4:5], v[4:5], v[126:127], v[6:7] op_sel_hi:[1,1,0]
	v_mov_b32_e32 v9, v5
	ds_load_2addr_b64 v[4:7], v20 offset0:35 offset1:36
	v_pk_add_f32 v[148:149], v[148:149], v[8:9] neg_lo:[0,1] neg_hi:[0,1]
	s_wait_dscnt 0x0
	v_pk_mul_f32 v[8:9], v[4:5], v[2:3] op_sel:[0,1]
	s_delay_alu instid0(VALU_DEP_1) | instskip(SKIP_1) | instid1(VALU_DEP_1)
	v_pk_fma_f32 v[10:11], v[4:5], v[0:1], v[8:9] op_sel:[0,0,1] op_sel_hi:[1,1,0] neg_lo:[0,0,1] neg_hi:[0,0,1]
	v_pk_fma_f32 v[4:5], v[4:5], v[0:1], v[8:9] op_sel:[0,0,1] op_sel_hi:[1,0,0]
	v_mov_b32_e32 v11, v5
	v_pk_mul_f32 v[4:5], v[6:7], v[2:3] op_sel:[0,1]
	s_delay_alu instid0(VALU_DEP_1) | instskip(SKIP_1) | instid1(VALU_DEP_1)
	v_pk_fma_f32 v[8:9], v[6:7], v[0:1], v[4:5] op_sel:[0,0,1] op_sel_hi:[1,1,0] neg_lo:[0,0,1] neg_hi:[0,0,1]
	v_pk_fma_f32 v[4:5], v[6:7], v[0:1], v[4:5] op_sel:[0,0,1] op_sel_hi:[1,0,0]
	v_mov_b32_e32 v9, v5
	ds_load_2addr_b64 v[4:7], v20 offset0:37 offset1:38
	v_pk_add_f32 v[144:145], v[144:145], v[10:11] neg_lo:[0,1] neg_hi:[0,1]
	v_pk_add_f32 v[174:175], v[174:175], v[8:9] neg_lo:[0,1] neg_hi:[0,1]
	s_wait_dscnt 0x0
	v_pk_mul_f32 v[8:9], v[4:5], v[2:3] op_sel:[0,1]
	s_delay_alu instid0(VALU_DEP_1) | instskip(SKIP_1) | instid1(VALU_DEP_1)
	v_pk_fma_f32 v[10:11], v[4:5], v[0:1], v[8:9] op_sel:[0,0,1] op_sel_hi:[1,1,0] neg_lo:[0,0,1] neg_hi:[0,0,1]
	v_pk_fma_f32 v[4:5], v[4:5], v[0:1], v[8:9] op_sel:[0,0,1] op_sel_hi:[1,0,0]
	v_mov_b32_e32 v11, v5
	v_pk_mul_f32 v[4:5], v[6:7], v[2:3] op_sel:[0,1]
	s_delay_alu instid0(VALU_DEP_1) | instskip(SKIP_1) | instid1(VALU_DEP_1)
	v_pk_fma_f32 v[8:9], v[6:7], v[0:1], v[4:5] op_sel:[0,0,1] op_sel_hi:[1,1,0] neg_lo:[0,0,1] neg_hi:[0,0,1]
	v_pk_fma_f32 v[4:5], v[6:7], v[0:1], v[4:5] op_sel:[0,0,1] op_sel_hi:[1,0,0]
	v_mov_b32_e32 v9, v5
	ds_load_2addr_b64 v[4:7], v20 offset0:39 offset1:40
	v_pk_add_f32 v[166:167], v[166:167], v[10:11] neg_lo:[0,1] neg_hi:[0,1]
	v_pk_add_f32 v[172:173], v[172:173], v[8:9] neg_lo:[0,1] neg_hi:[0,1]
	s_wait_dscnt 0x0
	v_dual_mul_f32 v8, v5, v3 :: v_dual_mul_f32 v10, v5, v0
	s_delay_alu instid0(VALU_DEP_1) | instskip(NEXT) | instid1(VALU_DEP_2)
	v_pk_fma_f32 v[8:9], v[4:5], v[126:127], v[8:9] op_sel_hi:[1,1,0] neg_lo:[0,0,1] neg_hi:[0,0,1]
	v_pk_fma_f32 v[4:5], v[4:5], v[126:127], v[10:11] op_sel:[1,0,0] op_sel_hi:[0,1,0]
	s_delay_alu instid0(VALU_DEP_1) | instskip(SKIP_1) | instid1(VALU_DEP_2)
	v_mov_b32_e32 v9, v5
	v_pk_mul_f32 v[4:5], v[6:7], v[2:3] op_sel:[0,1]
	v_pk_add_f32 v[164:165], v[164:165], v[8:9] neg_lo:[0,1] neg_hi:[0,1]
	s_delay_alu instid0(VALU_DEP_2) | instskip(SKIP_1) | instid1(VALU_DEP_1)
	v_pk_fma_f32 v[8:9], v[6:7], v[0:1], v[4:5] op_sel:[0,0,1] op_sel_hi:[1,1,0] neg_lo:[0,0,1] neg_hi:[0,0,1]
	v_pk_fma_f32 v[4:5], v[6:7], v[0:1], v[4:5] op_sel:[0,0,1] op_sel_hi:[1,0,0]
	v_mov_b32_e32 v9, v5
	ds_load_2addr_b64 v[4:7], v20 offset0:41 offset1:42
	v_pk_add_f32 v[170:171], v[170:171], v[8:9] neg_lo:[0,1] neg_hi:[0,1]
	s_wait_dscnt 0x0
	v_pk_mul_f32 v[8:9], v[4:5], v[2:3] op_sel:[0,1]
	s_delay_alu instid0(VALU_DEP_1) | instskip(SKIP_1) | instid1(VALU_DEP_1)
	v_pk_fma_f32 v[10:11], v[4:5], v[0:1], v[8:9] op_sel:[0,0,1] op_sel_hi:[1,1,0] neg_lo:[0,0,1] neg_hi:[0,0,1]
	v_pk_fma_f32 v[4:5], v[4:5], v[0:1], v[8:9] op_sel:[0,0,1] op_sel_hi:[1,0,0]
	v_mov_b32_e32 v11, v5
	v_pk_mul_f32 v[4:5], v[6:7], v[2:3] op_sel:[0,1]
	s_delay_alu instid0(VALU_DEP_2) | instskip(NEXT) | instid1(VALU_DEP_2)
	v_pk_add_f32 v[162:163], v[162:163], v[10:11] neg_lo:[0,1] neg_hi:[0,1]
	v_pk_fma_f32 v[8:9], v[6:7], v[0:1], v[4:5] op_sel:[0,0,1] op_sel_hi:[1,1,0] neg_lo:[0,0,1] neg_hi:[0,0,1]
	v_pk_fma_f32 v[4:5], v[6:7], v[0:1], v[4:5] op_sel:[0,0,1] op_sel_hi:[1,0,0]
	s_delay_alu instid0(VALU_DEP_1)
	v_mov_b32_e32 v9, v5
	ds_load_2addr_b64 v[4:7], v20 offset0:43 offset1:44
	v_pk_add_f32 v[168:169], v[168:169], v[8:9] neg_lo:[0,1] neg_hi:[0,1]
	s_wait_dscnt 0x0
	v_pk_mul_f32 v[8:9], v[4:5], v[2:3] op_sel:[0,1]
	v_pk_mul_f32 v[2:3], v[6:7], v[2:3] op_sel:[0,1]
	s_delay_alu instid0(VALU_DEP_2) | instskip(SKIP_1) | instid1(VALU_DEP_1)
	v_pk_fma_f32 v[10:11], v[4:5], v[0:1], v[8:9] op_sel:[0,0,1] op_sel_hi:[1,1,0] neg_lo:[0,0,1] neg_hi:[0,0,1]
	v_pk_fma_f32 v[4:5], v[4:5], v[0:1], v[8:9] op_sel:[0,0,1] op_sel_hi:[1,0,0]
	v_mov_b32_e32 v11, v5
	s_delay_alu instid0(VALU_DEP_4) | instskip(SKIP_1) | instid1(VALU_DEP_3)
	v_pk_fma_f32 v[4:5], v[6:7], v[0:1], v[2:3] op_sel:[0,0,1] op_sel_hi:[1,1,0] neg_lo:[0,0,1] neg_hi:[0,0,1]
	v_pk_fma_f32 v[0:1], v[6:7], v[0:1], v[2:3] op_sel:[0,0,1] op_sel_hi:[1,0,0]
	v_pk_add_f32 v[176:177], v[176:177], v[10:11] neg_lo:[0,1] neg_hi:[0,1]
	s_delay_alu instid0(VALU_DEP_2) | instskip(NEXT) | instid1(VALU_DEP_1)
	v_mov_b32_e32 v5, v1
	v_pk_add_f32 v[180:181], v[180:181], v[4:5] neg_lo:[0,1] neg_hi:[0,1]
.LBB89_280:
	s_or_b32 exec_lo, exec_lo, s1
	s_delay_alu instid0(SALU_CYCLE_1)
	s_mov_b32 s2, exec_lo
	s_wait_dscnt 0x0
	s_barrier_signal -1
	s_barrier_wait -1
	v_cmpx_eq_u32_e32 31, v38
	s_cbranch_execz .LBB89_287
; %bb.281:
	v_dual_mov_b32 v0, v150 :: v_dual_mov_b32 v1, v151
	v_dual_mov_b32 v2, v146 :: v_dual_mov_b32 v3, v147
	ds_store_b64 v39, v[122:123]
	ds_store_2addr_b64 v20, v[0:1], v[2:3] offset0:32 offset1:33
	v_dual_mov_b32 v0, v148 :: v_dual_mov_b32 v1, v149
	v_dual_mov_b32 v2, v144 :: v_dual_mov_b32 v3, v145
	ds_store_2addr_b64 v20, v[0:1], v[2:3] offset0:34 offset1:35
	v_dual_mov_b32 v0, v174 :: v_dual_mov_b32 v1, v175
	v_dual_mov_b32 v2, v166 :: v_dual_mov_b32 v3, v167
	ds_store_2addr_b64 v20, v[0:1], v[2:3] offset0:36 offset1:37
	v_dual_mov_b32 v0, v172 :: v_dual_mov_b32 v1, v173
	v_dual_mov_b32 v2, v164 :: v_dual_mov_b32 v3, v165
	ds_store_2addr_b64 v20, v[0:1], v[2:3] offset0:38 offset1:39
	v_dual_mov_b32 v0, v170 :: v_dual_mov_b32 v1, v171
	v_dual_mov_b32 v2, v162 :: v_dual_mov_b32 v3, v163
	ds_store_2addr_b64 v20, v[0:1], v[2:3] offset0:40 offset1:41
	v_dual_mov_b32 v0, v168 :: v_dual_mov_b32 v1, v169
	v_dual_mov_b32 v2, v176 :: v_dual_mov_b32 v3, v177
	ds_store_2addr_b64 v20, v[0:1], v[2:3] offset0:42 offset1:43
	ds_store_b64 v20, v[180:181] offset:352
	ds_load_b64 v[0:1], v39
	s_wait_dscnt 0x0
	v_cmp_neq_f32_e32 vcc_lo, 0, v0
	v_cmp_neq_f32_e64 s1, 0, v1
	s_or_b32 s1, vcc_lo, s1
	s_delay_alu instid0(SALU_CYCLE_1)
	s_and_b32 exec_lo, exec_lo, s1
	s_cbranch_execz .LBB89_287
; %bb.282:
	v_cmp_ngt_f32_e64 s1, |v0|, |v1|
                                        ; implicit-def: $vgpr2_vgpr3
	s_and_saveexec_b32 s4, s1
	s_delay_alu instid0(SALU_CYCLE_1)
	s_xor_b32 s1, exec_lo, s4
	s_cbranch_execz .LBB89_284
; %bb.283:
	v_div_scale_f32 v2, null, v1, v1, v0
	v_div_scale_f32 v5, vcc_lo, v0, v1, v0
	s_delay_alu instid0(VALU_DEP_2) | instskip(SKIP_1) | instid1(TRANS32_DEP_1)
	v_rcp_f32_e32 v3, v2
	v_nop
	v_fma_f32 v4, -v2, v3, 1.0
	s_delay_alu instid0(VALU_DEP_1) | instskip(NEXT) | instid1(VALU_DEP_1)
	v_fmac_f32_e32 v3, v4, v3
	v_mul_f32_e32 v4, v5, v3
	s_delay_alu instid0(VALU_DEP_1) | instskip(NEXT) | instid1(VALU_DEP_1)
	v_fma_f32 v6, -v2, v4, v5
	v_fmac_f32_e32 v4, v6, v3
	s_delay_alu instid0(VALU_DEP_1) | instskip(NEXT) | instid1(VALU_DEP_1)
	v_fma_f32 v2, -v2, v4, v5
	v_div_fmas_f32 v2, v2, v3, v4
	s_delay_alu instid0(VALU_DEP_1) | instskip(NEXT) | instid1(VALU_DEP_1)
	v_div_fixup_f32 v2, v2, v1, v0
	v_fmac_f32_e32 v1, v0, v2
	s_delay_alu instid0(VALU_DEP_1) | instskip(SKIP_1) | instid1(VALU_DEP_2)
	v_div_scale_f32 v0, null, v1, v1, 1.0
	v_div_scale_f32 v5, vcc_lo, 1.0, v1, 1.0
	v_rcp_f32_e32 v3, v0
	v_nop
	s_delay_alu instid0(TRANS32_DEP_1) | instskip(NEXT) | instid1(VALU_DEP_1)
	v_fma_f32 v4, -v0, v3, 1.0
	v_fmac_f32_e32 v3, v4, v3
	s_delay_alu instid0(VALU_DEP_1) | instskip(NEXT) | instid1(VALU_DEP_1)
	v_mul_f32_e32 v4, v5, v3
	v_fma_f32 v6, -v0, v4, v5
	s_delay_alu instid0(VALU_DEP_1) | instskip(NEXT) | instid1(VALU_DEP_1)
	v_fmac_f32_e32 v4, v6, v3
	v_fma_f32 v0, -v0, v4, v5
	s_delay_alu instid0(VALU_DEP_1) | instskip(NEXT) | instid1(VALU_DEP_1)
	v_div_fmas_f32 v0, v0, v3, v4
	v_div_fixup_f32 v0, v0, v1, 1.0
	s_delay_alu instid0(VALU_DEP_1)
	v_mul_f32_e32 v2, v2, v0
	v_xor_b32_e32 v3, 0x80000000, v0
                                        ; implicit-def: $vgpr0_vgpr1
.LBB89_284:
	s_and_not1_saveexec_b32 s1, s1
	s_cbranch_execz .LBB89_286
; %bb.285:
	v_div_scale_f32 v2, null, v0, v0, v1
	v_div_scale_f32 v5, vcc_lo, v1, v0, v1
	s_delay_alu instid0(VALU_DEP_2) | instskip(SKIP_1) | instid1(TRANS32_DEP_1)
	v_rcp_f32_e32 v3, v2
	v_nop
	v_fma_f32 v4, -v2, v3, 1.0
	s_delay_alu instid0(VALU_DEP_1) | instskip(NEXT) | instid1(VALU_DEP_1)
	v_fmac_f32_e32 v3, v4, v3
	v_mul_f32_e32 v4, v5, v3
	s_delay_alu instid0(VALU_DEP_1) | instskip(NEXT) | instid1(VALU_DEP_1)
	v_fma_f32 v6, -v2, v4, v5
	v_fmac_f32_e32 v4, v6, v3
	s_delay_alu instid0(VALU_DEP_1) | instskip(NEXT) | instid1(VALU_DEP_1)
	v_fma_f32 v2, -v2, v4, v5
	v_div_fmas_f32 v2, v2, v3, v4
	s_delay_alu instid0(VALU_DEP_1) | instskip(NEXT) | instid1(VALU_DEP_1)
	v_div_fixup_f32 v3, v2, v0, v1
	v_fmac_f32_e32 v0, v1, v3
	s_delay_alu instid0(VALU_DEP_1) | instskip(NEXT) | instid1(VALU_DEP_1)
	v_div_scale_f32 v1, null, v0, v0, 1.0
	v_rcp_f32_e32 v2, v1
	v_nop
	s_delay_alu instid0(TRANS32_DEP_1) | instskip(NEXT) | instid1(VALU_DEP_1)
	v_fma_f32 v4, -v1, v2, 1.0
	v_fmac_f32_e32 v2, v4, v2
	v_div_scale_f32 v4, vcc_lo, 1.0, v0, 1.0
	s_delay_alu instid0(VALU_DEP_1) | instskip(NEXT) | instid1(VALU_DEP_1)
	v_mul_f32_e32 v5, v4, v2
	v_fma_f32 v6, -v1, v5, v4
	s_delay_alu instid0(VALU_DEP_1) | instskip(NEXT) | instid1(VALU_DEP_1)
	v_fmac_f32_e32 v5, v6, v2
	v_fma_f32 v1, -v1, v5, v4
	s_delay_alu instid0(VALU_DEP_1) | instskip(NEXT) | instid1(VALU_DEP_1)
	v_div_fmas_f32 v1, v1, v2, v5
	v_div_fixup_f32 v2, v1, v0, 1.0
	s_delay_alu instid0(VALU_DEP_1)
	v_mul_f32_e64 v3, v3, -v2
.LBB89_286:
	s_or_b32 exec_lo, exec_lo, s1
	ds_store_b64 v39, v[2:3]
.LBB89_287:
	s_or_b32 exec_lo, exec_lo, s2
	s_wait_dscnt 0x0
	s_barrier_signal -1
	s_barrier_wait -1
	ds_load_b64 v[244:245], v39
	s_mov_b32 s1, exec_lo
	v_cmpx_lt_u32_e32 31, v38
	s_cbranch_execz .LBB89_289
; %bb.288:
	ds_load_2addr_b64 v[4:7], v20 offset0:32 offset1:33
	s_wait_dscnt 0x1
	v_pk_mul_f32 v[2:3], v[244:245], v[122:123] op_sel:[1,1] op_sel_hi:[0,1]
	s_delay_alu instid0(VALU_DEP_1) | instskip(SKIP_1) | instid1(VALU_DEP_1)
	v_pk_fma_f32 v[0:1], v[244:245], v[122:123], v[2:3] op_sel_hi:[1,0,1] neg_lo:[0,0,1] neg_hi:[0,0,1]
	v_pk_fma_f32 v[2:3], v[244:245], v[122:123], v[2:3] op_sel_hi:[1,0,1]
	v_dual_mov_b32 v122, v0 :: v_dual_mov_b32 v123, v3
	s_wait_dscnt 0x0
	s_delay_alu instid0(VALU_DEP_2) | instskip(NEXT) | instid1(VALU_DEP_1)
	v_pk_mul_f32 v[8:9], v[4:5], v[2:3] op_sel:[0,1]
	v_pk_fma_f32 v[10:11], v[4:5], v[0:1], v[8:9] op_sel:[0,0,1] op_sel_hi:[1,1,0] neg_lo:[0,0,1] neg_hi:[0,0,1]
	v_pk_fma_f32 v[4:5], v[4:5], v[0:1], v[8:9] op_sel:[0,0,1] op_sel_hi:[1,0,0]
	s_delay_alu instid0(VALU_DEP_1) | instskip(SKIP_1) | instid1(VALU_DEP_1)
	v_mov_b32_e32 v11, v5
	v_pk_mul_f32 v[4:5], v[6:7], v[2:3] op_sel:[0,1]
	v_pk_fma_f32 v[8:9], v[6:7], v[0:1], v[4:5] op_sel:[0,0,1] op_sel_hi:[1,1,0] neg_lo:[0,0,1] neg_hi:[0,0,1]
	v_pk_fma_f32 v[4:5], v[6:7], v[0:1], v[4:5] op_sel:[0,0,1] op_sel_hi:[1,0,0]
	s_delay_alu instid0(VALU_DEP_1)
	v_mov_b32_e32 v9, v5
	ds_load_2addr_b64 v[4:7], v20 offset0:34 offset1:35
	v_pk_add_f32 v[150:151], v[150:151], v[10:11] neg_lo:[0,1] neg_hi:[0,1]
	v_pk_add_f32 v[146:147], v[146:147], v[8:9] neg_lo:[0,1] neg_hi:[0,1]
	s_wait_dscnt 0x0
	v_pk_mul_f32 v[8:9], v[4:5], v[2:3] op_sel:[0,1]
	s_delay_alu instid0(VALU_DEP_1) | instskip(SKIP_2) | instid1(VALU_DEP_2)
	v_pk_fma_f32 v[10:11], v[4:5], v[0:1], v[8:9] op_sel:[0,0,1] op_sel_hi:[1,1,0] neg_lo:[0,0,1] neg_hi:[0,0,1]
	v_pk_fma_f32 v[4:5], v[4:5], v[0:1], v[8:9] op_sel:[0,0,1] op_sel_hi:[1,0,0]
	v_dual_mul_f32 v8, v7, v3 :: v_dual_mov_b32 v4, v7
	v_dual_mov_b32 v11, v5 :: v_dual_mov_b32 v5, v6
	s_delay_alu instid0(VALU_DEP_2) | instskip(SKIP_1) | instid1(VALU_DEP_3)
	v_pk_fma_f32 v[8:9], v[6:7], v[122:123], v[8:9] op_sel_hi:[1,1,0] neg_lo:[0,0,1] neg_hi:[0,0,1]
	v_mul_f32_e32 v6, v7, v0
	v_pk_add_f32 v[148:149], v[148:149], v[10:11] neg_lo:[0,1] neg_hi:[0,1]
	s_delay_alu instid0(VALU_DEP_2) | instskip(NEXT) | instid1(VALU_DEP_1)
	v_pk_fma_f32 v[4:5], v[4:5], v[122:123], v[6:7] op_sel_hi:[1,1,0]
	v_mov_b32_e32 v9, v5
	ds_load_2addr_b64 v[4:7], v20 offset0:36 offset1:37
	v_pk_add_f32 v[144:145], v[144:145], v[8:9] neg_lo:[0,1] neg_hi:[0,1]
	s_wait_dscnt 0x0
	v_pk_mul_f32 v[8:9], v[4:5], v[2:3] op_sel:[0,1]
	s_delay_alu instid0(VALU_DEP_1) | instskip(SKIP_1) | instid1(VALU_DEP_1)
	v_pk_fma_f32 v[10:11], v[4:5], v[0:1], v[8:9] op_sel:[0,0,1] op_sel_hi:[1,1,0] neg_lo:[0,0,1] neg_hi:[0,0,1]
	v_pk_fma_f32 v[4:5], v[4:5], v[0:1], v[8:9] op_sel:[0,0,1] op_sel_hi:[1,0,0]
	v_mov_b32_e32 v11, v5
	v_pk_mul_f32 v[4:5], v[6:7], v[2:3] op_sel:[0,1]
	s_delay_alu instid0(VALU_DEP_1) | instskip(SKIP_1) | instid1(VALU_DEP_1)
	v_pk_fma_f32 v[8:9], v[6:7], v[0:1], v[4:5] op_sel:[0,0,1] op_sel_hi:[1,1,0] neg_lo:[0,0,1] neg_hi:[0,0,1]
	v_pk_fma_f32 v[4:5], v[6:7], v[0:1], v[4:5] op_sel:[0,0,1] op_sel_hi:[1,0,0]
	v_mov_b32_e32 v9, v5
	ds_load_2addr_b64 v[4:7], v20 offset0:38 offset1:39
	v_pk_add_f32 v[174:175], v[174:175], v[10:11] neg_lo:[0,1] neg_hi:[0,1]
	v_pk_add_f32 v[166:167], v[166:167], v[8:9] neg_lo:[0,1] neg_hi:[0,1]
	s_wait_dscnt 0x0
	v_pk_mul_f32 v[8:9], v[4:5], v[2:3] op_sel:[0,1]
	s_delay_alu instid0(VALU_DEP_1) | instskip(SKIP_1) | instid1(VALU_DEP_1)
	v_pk_fma_f32 v[10:11], v[4:5], v[0:1], v[8:9] op_sel:[0,0,1] op_sel_hi:[1,1,0] neg_lo:[0,0,1] neg_hi:[0,0,1]
	v_pk_fma_f32 v[4:5], v[4:5], v[0:1], v[8:9] op_sel:[0,0,1] op_sel_hi:[1,0,0]
	v_mov_b32_e32 v11, v5
	v_pk_mul_f32 v[4:5], v[6:7], v[2:3] op_sel:[0,1]
	s_delay_alu instid0(VALU_DEP_1) | instskip(SKIP_1) | instid1(VALU_DEP_1)
	v_pk_fma_f32 v[8:9], v[6:7], v[0:1], v[4:5] op_sel:[0,0,1] op_sel_hi:[1,1,0] neg_lo:[0,0,1] neg_hi:[0,0,1]
	v_pk_fma_f32 v[4:5], v[6:7], v[0:1], v[4:5] op_sel:[0,0,1] op_sel_hi:[1,0,0]
	v_mov_b32_e32 v9, v5
	ds_load_2addr_b64 v[4:7], v20 offset0:40 offset1:41
	v_pk_add_f32 v[172:173], v[172:173], v[10:11] neg_lo:[0,1] neg_hi:[0,1]
	v_pk_add_f32 v[164:165], v[164:165], v[8:9] neg_lo:[0,1] neg_hi:[0,1]
	s_wait_dscnt 0x0
	v_dual_mul_f32 v8, v5, v3 :: v_dual_mul_f32 v10, v5, v0
	s_delay_alu instid0(VALU_DEP_1) | instskip(NEXT) | instid1(VALU_DEP_2)
	v_pk_fma_f32 v[8:9], v[4:5], v[122:123], v[8:9] op_sel_hi:[1,1,0] neg_lo:[0,0,1] neg_hi:[0,0,1]
	v_pk_fma_f32 v[4:5], v[4:5], v[122:123], v[10:11] op_sel:[1,0,0] op_sel_hi:[0,1,0]
	s_delay_alu instid0(VALU_DEP_1) | instskip(SKIP_1) | instid1(VALU_DEP_2)
	v_mov_b32_e32 v9, v5
	v_pk_mul_f32 v[4:5], v[6:7], v[2:3] op_sel:[0,1]
	v_pk_add_f32 v[170:171], v[170:171], v[8:9] neg_lo:[0,1] neg_hi:[0,1]
	s_delay_alu instid0(VALU_DEP_2) | instskip(SKIP_1) | instid1(VALU_DEP_1)
	v_pk_fma_f32 v[8:9], v[6:7], v[0:1], v[4:5] op_sel:[0,0,1] op_sel_hi:[1,1,0] neg_lo:[0,0,1] neg_hi:[0,0,1]
	v_pk_fma_f32 v[4:5], v[6:7], v[0:1], v[4:5] op_sel:[0,0,1] op_sel_hi:[1,0,0]
	v_mov_b32_e32 v9, v5
	ds_load_2addr_b64 v[4:7], v20 offset0:42 offset1:43
	v_pk_add_f32 v[162:163], v[162:163], v[8:9] neg_lo:[0,1] neg_hi:[0,1]
	s_wait_dscnt 0x0
	v_pk_mul_f32 v[8:9], v[4:5], v[2:3] op_sel:[0,1]
	s_delay_alu instid0(VALU_DEP_1) | instskip(SKIP_1) | instid1(VALU_DEP_1)
	v_pk_fma_f32 v[10:11], v[4:5], v[0:1], v[8:9] op_sel:[0,0,1] op_sel_hi:[1,1,0] neg_lo:[0,0,1] neg_hi:[0,0,1]
	v_pk_fma_f32 v[4:5], v[4:5], v[0:1], v[8:9] op_sel:[0,0,1] op_sel_hi:[1,0,0]
	v_mov_b32_e32 v11, v5
	v_pk_mul_f32 v[4:5], v[6:7], v[2:3] op_sel:[0,1]
	s_delay_alu instid0(VALU_DEP_2) | instskip(NEXT) | instid1(VALU_DEP_2)
	v_pk_add_f32 v[168:169], v[168:169], v[10:11] neg_lo:[0,1] neg_hi:[0,1]
	v_pk_fma_f32 v[8:9], v[6:7], v[0:1], v[4:5] op_sel:[0,0,1] op_sel_hi:[1,1,0] neg_lo:[0,0,1] neg_hi:[0,0,1]
	v_pk_fma_f32 v[4:5], v[6:7], v[0:1], v[4:5] op_sel:[0,0,1] op_sel_hi:[1,0,0]
	s_delay_alu instid0(VALU_DEP_1) | instskip(SKIP_4) | instid1(VALU_DEP_1)
	v_mov_b32_e32 v9, v5
	ds_load_b64 v[4:5], v20 offset:352
	v_pk_add_f32 v[176:177], v[176:177], v[8:9] neg_lo:[0,1] neg_hi:[0,1]
	s_wait_dscnt 0x0
	v_pk_mul_f32 v[2:3], v[4:5], v[2:3] op_sel:[0,1]
	v_pk_fma_f32 v[6:7], v[4:5], v[0:1], v[2:3] op_sel:[0,0,1] op_sel_hi:[1,1,0] neg_lo:[0,0,1] neg_hi:[0,0,1]
	v_pk_fma_f32 v[0:1], v[4:5], v[0:1], v[2:3] op_sel:[0,0,1] op_sel_hi:[1,0,0]
	s_delay_alu instid0(VALU_DEP_1) | instskip(NEXT) | instid1(VALU_DEP_1)
	v_mov_b32_e32 v7, v1
	v_pk_add_f32 v[180:181], v[180:181], v[6:7] neg_lo:[0,1] neg_hi:[0,1]
.LBB89_289:
	s_or_b32 exec_lo, exec_lo, s1
	s_delay_alu instid0(SALU_CYCLE_1)
	s_mov_b32 s2, exec_lo
	s_wait_dscnt 0x0
	s_barrier_signal -1
	s_barrier_wait -1
	v_cmpx_eq_u32_e32 32, v38
	s_cbranch_execz .LBB89_296
; %bb.290:
	ds_store_b64 v39, v[150:151]
	ds_store_2addr_b64 v20, v[146:147], v[148:149] offset0:33 offset1:34
	ds_store_2addr_b64 v20, v[144:145], v[174:175] offset0:35 offset1:36
	ds_store_2addr_b64 v20, v[166:167], v[172:173] offset0:37 offset1:38
	ds_store_2addr_b64 v20, v[164:165], v[170:171] offset0:39 offset1:40
	ds_store_2addr_b64 v20, v[162:163], v[168:169] offset0:41 offset1:42
	ds_store_2addr_b64 v20, v[176:177], v[180:181] offset0:43 offset1:44
	ds_load_b64 v[0:1], v39
	s_wait_dscnt 0x0
	v_cmp_neq_f32_e32 vcc_lo, 0, v0
	v_cmp_neq_f32_e64 s1, 0, v1
	s_or_b32 s1, vcc_lo, s1
	s_delay_alu instid0(SALU_CYCLE_1)
	s_and_b32 exec_lo, exec_lo, s1
	s_cbranch_execz .LBB89_296
; %bb.291:
	v_cmp_ngt_f32_e64 s1, |v0|, |v1|
                                        ; implicit-def: $vgpr2_vgpr3
	s_and_saveexec_b32 s4, s1
	s_delay_alu instid0(SALU_CYCLE_1)
	s_xor_b32 s1, exec_lo, s4
	s_cbranch_execz .LBB89_293
; %bb.292:
	v_div_scale_f32 v2, null, v1, v1, v0
	v_div_scale_f32 v5, vcc_lo, v0, v1, v0
	s_delay_alu instid0(VALU_DEP_2) | instskip(SKIP_1) | instid1(TRANS32_DEP_1)
	v_rcp_f32_e32 v3, v2
	v_nop
	v_fma_f32 v4, -v2, v3, 1.0
	s_delay_alu instid0(VALU_DEP_1) | instskip(NEXT) | instid1(VALU_DEP_1)
	v_fmac_f32_e32 v3, v4, v3
	v_mul_f32_e32 v4, v5, v3
	s_delay_alu instid0(VALU_DEP_1) | instskip(NEXT) | instid1(VALU_DEP_1)
	v_fma_f32 v6, -v2, v4, v5
	v_fmac_f32_e32 v4, v6, v3
	s_delay_alu instid0(VALU_DEP_1) | instskip(NEXT) | instid1(VALU_DEP_1)
	v_fma_f32 v2, -v2, v4, v5
	v_div_fmas_f32 v2, v2, v3, v4
	s_delay_alu instid0(VALU_DEP_1) | instskip(NEXT) | instid1(VALU_DEP_1)
	v_div_fixup_f32 v2, v2, v1, v0
	v_fmac_f32_e32 v1, v0, v2
	s_delay_alu instid0(VALU_DEP_1) | instskip(SKIP_1) | instid1(VALU_DEP_2)
	v_div_scale_f32 v0, null, v1, v1, 1.0
	v_div_scale_f32 v5, vcc_lo, 1.0, v1, 1.0
	v_rcp_f32_e32 v3, v0
	v_nop
	s_delay_alu instid0(TRANS32_DEP_1) | instskip(NEXT) | instid1(VALU_DEP_1)
	v_fma_f32 v4, -v0, v3, 1.0
	v_fmac_f32_e32 v3, v4, v3
	s_delay_alu instid0(VALU_DEP_1) | instskip(NEXT) | instid1(VALU_DEP_1)
	v_mul_f32_e32 v4, v5, v3
	v_fma_f32 v6, -v0, v4, v5
	s_delay_alu instid0(VALU_DEP_1) | instskip(NEXT) | instid1(VALU_DEP_1)
	v_fmac_f32_e32 v4, v6, v3
	v_fma_f32 v0, -v0, v4, v5
	s_delay_alu instid0(VALU_DEP_1) | instskip(NEXT) | instid1(VALU_DEP_1)
	v_div_fmas_f32 v0, v0, v3, v4
	v_div_fixup_f32 v0, v0, v1, 1.0
	s_delay_alu instid0(VALU_DEP_1)
	v_mul_f32_e32 v2, v2, v0
	v_xor_b32_e32 v3, 0x80000000, v0
                                        ; implicit-def: $vgpr0_vgpr1
.LBB89_293:
	s_and_not1_saveexec_b32 s1, s1
	s_cbranch_execz .LBB89_295
; %bb.294:
	v_div_scale_f32 v2, null, v0, v0, v1
	v_div_scale_f32 v5, vcc_lo, v1, v0, v1
	s_delay_alu instid0(VALU_DEP_2) | instskip(SKIP_1) | instid1(TRANS32_DEP_1)
	v_rcp_f32_e32 v3, v2
	v_nop
	v_fma_f32 v4, -v2, v3, 1.0
	s_delay_alu instid0(VALU_DEP_1) | instskip(NEXT) | instid1(VALU_DEP_1)
	v_fmac_f32_e32 v3, v4, v3
	v_mul_f32_e32 v4, v5, v3
	s_delay_alu instid0(VALU_DEP_1) | instskip(NEXT) | instid1(VALU_DEP_1)
	v_fma_f32 v6, -v2, v4, v5
	v_fmac_f32_e32 v4, v6, v3
	s_delay_alu instid0(VALU_DEP_1) | instskip(NEXT) | instid1(VALU_DEP_1)
	v_fma_f32 v2, -v2, v4, v5
	v_div_fmas_f32 v2, v2, v3, v4
	s_delay_alu instid0(VALU_DEP_1) | instskip(NEXT) | instid1(VALU_DEP_1)
	v_div_fixup_f32 v3, v2, v0, v1
	v_fmac_f32_e32 v0, v1, v3
	s_delay_alu instid0(VALU_DEP_1) | instskip(NEXT) | instid1(VALU_DEP_1)
	v_div_scale_f32 v1, null, v0, v0, 1.0
	v_rcp_f32_e32 v2, v1
	v_nop
	s_delay_alu instid0(TRANS32_DEP_1) | instskip(NEXT) | instid1(VALU_DEP_1)
	v_fma_f32 v4, -v1, v2, 1.0
	v_fmac_f32_e32 v2, v4, v2
	v_div_scale_f32 v4, vcc_lo, 1.0, v0, 1.0
	s_delay_alu instid0(VALU_DEP_1) | instskip(NEXT) | instid1(VALU_DEP_1)
	v_mul_f32_e32 v5, v4, v2
	v_fma_f32 v6, -v1, v5, v4
	s_delay_alu instid0(VALU_DEP_1) | instskip(NEXT) | instid1(VALU_DEP_1)
	v_fmac_f32_e32 v5, v6, v2
	v_fma_f32 v1, -v1, v5, v4
	s_delay_alu instid0(VALU_DEP_1) | instskip(NEXT) | instid1(VALU_DEP_1)
	v_div_fmas_f32 v1, v1, v2, v5
	v_div_fixup_f32 v2, v1, v0, 1.0
	s_delay_alu instid0(VALU_DEP_1)
	v_mul_f32_e64 v3, v3, -v2
.LBB89_295:
	s_or_b32 exec_lo, exec_lo, s1
	ds_store_b64 v39, v[2:3]
.LBB89_296:
	s_or_b32 exec_lo, exec_lo, s2
	s_wait_dscnt 0x0
	s_barrier_signal -1
	s_barrier_wait -1
	ds_load_b64 v[246:247], v39
	s_mov_b32 s1, exec_lo
	v_cmpx_lt_u32_e32 32, v38
	s_cbranch_execz .LBB89_298
; %bb.297:
	ds_load_2addr_b64 v[4:7], v20 offset0:33 offset1:34
	s_wait_dscnt 0x1
	v_pk_mul_f32 v[2:3], v[246:247], v[150:151] op_sel:[1,1] op_sel_hi:[0,1]
	s_delay_alu instid0(VALU_DEP_1) | instskip(SKIP_1) | instid1(VALU_DEP_1)
	v_pk_fma_f32 v[0:1], v[246:247], v[150:151], v[2:3] op_sel_hi:[1,0,1] neg_lo:[0,0,1] neg_hi:[0,0,1]
	v_pk_fma_f32 v[2:3], v[246:247], v[150:151], v[2:3] op_sel_hi:[1,0,1]
	v_dual_mov_b32 v150, v0 :: v_dual_mov_b32 v151, v3
	s_wait_dscnt 0x0
	s_delay_alu instid0(VALU_DEP_2) | instskip(NEXT) | instid1(VALU_DEP_1)
	v_pk_mul_f32 v[8:9], v[4:5], v[2:3] op_sel:[0,1]
	v_pk_fma_f32 v[10:11], v[4:5], v[0:1], v[8:9] op_sel:[0,0,1] op_sel_hi:[1,1,0] neg_lo:[0,0,1] neg_hi:[0,0,1]
	v_pk_fma_f32 v[4:5], v[4:5], v[0:1], v[8:9] op_sel:[0,0,1] op_sel_hi:[1,0,0]
	s_delay_alu instid0(VALU_DEP_1) | instskip(SKIP_1) | instid1(VALU_DEP_1)
	v_mov_b32_e32 v11, v5
	v_pk_mul_f32 v[4:5], v[6:7], v[2:3] op_sel:[0,1]
	v_pk_fma_f32 v[8:9], v[6:7], v[0:1], v[4:5] op_sel:[0,0,1] op_sel_hi:[1,1,0] neg_lo:[0,0,1] neg_hi:[0,0,1]
	v_pk_fma_f32 v[4:5], v[6:7], v[0:1], v[4:5] op_sel:[0,0,1] op_sel_hi:[1,0,0]
	s_delay_alu instid0(VALU_DEP_1)
	v_mov_b32_e32 v9, v5
	ds_load_2addr_b64 v[4:7], v20 offset0:35 offset1:36
	v_pk_add_f32 v[146:147], v[146:147], v[10:11] neg_lo:[0,1] neg_hi:[0,1]
	v_pk_add_f32 v[148:149], v[148:149], v[8:9] neg_lo:[0,1] neg_hi:[0,1]
	s_wait_dscnt 0x0
	v_pk_mul_f32 v[8:9], v[4:5], v[2:3] op_sel:[0,1]
	s_delay_alu instid0(VALU_DEP_1) | instskip(SKIP_2) | instid1(VALU_DEP_2)
	v_pk_fma_f32 v[10:11], v[4:5], v[0:1], v[8:9] op_sel:[0,0,1] op_sel_hi:[1,1,0] neg_lo:[0,0,1] neg_hi:[0,0,1]
	v_pk_fma_f32 v[4:5], v[4:5], v[0:1], v[8:9] op_sel:[0,0,1] op_sel_hi:[1,0,0]
	v_dual_mul_f32 v8, v7, v3 :: v_dual_mov_b32 v4, v7
	v_dual_mov_b32 v11, v5 :: v_dual_mov_b32 v5, v6
	s_delay_alu instid0(VALU_DEP_2) | instskip(SKIP_1) | instid1(VALU_DEP_3)
	v_pk_fma_f32 v[8:9], v[6:7], v[150:151], v[8:9] op_sel_hi:[1,1,0] neg_lo:[0,0,1] neg_hi:[0,0,1]
	v_mul_f32_e32 v6, v7, v0
	v_pk_add_f32 v[144:145], v[144:145], v[10:11] neg_lo:[0,1] neg_hi:[0,1]
	s_delay_alu instid0(VALU_DEP_2) | instskip(NEXT) | instid1(VALU_DEP_1)
	v_pk_fma_f32 v[4:5], v[4:5], v[150:151], v[6:7] op_sel_hi:[1,1,0]
	v_mov_b32_e32 v9, v5
	ds_load_2addr_b64 v[4:7], v20 offset0:37 offset1:38
	v_pk_add_f32 v[174:175], v[174:175], v[8:9] neg_lo:[0,1] neg_hi:[0,1]
	s_wait_dscnt 0x0
	v_pk_mul_f32 v[8:9], v[4:5], v[2:3] op_sel:[0,1]
	s_delay_alu instid0(VALU_DEP_1) | instskip(SKIP_1) | instid1(VALU_DEP_1)
	v_pk_fma_f32 v[10:11], v[4:5], v[0:1], v[8:9] op_sel:[0,0,1] op_sel_hi:[1,1,0] neg_lo:[0,0,1] neg_hi:[0,0,1]
	v_pk_fma_f32 v[4:5], v[4:5], v[0:1], v[8:9] op_sel:[0,0,1] op_sel_hi:[1,0,0]
	v_mov_b32_e32 v11, v5
	v_pk_mul_f32 v[4:5], v[6:7], v[2:3] op_sel:[0,1]
	s_delay_alu instid0(VALU_DEP_1) | instskip(SKIP_1) | instid1(VALU_DEP_1)
	v_pk_fma_f32 v[8:9], v[6:7], v[0:1], v[4:5] op_sel:[0,0,1] op_sel_hi:[1,1,0] neg_lo:[0,0,1] neg_hi:[0,0,1]
	v_pk_fma_f32 v[4:5], v[6:7], v[0:1], v[4:5] op_sel:[0,0,1] op_sel_hi:[1,0,0]
	v_mov_b32_e32 v9, v5
	ds_load_2addr_b64 v[4:7], v20 offset0:39 offset1:40
	v_pk_add_f32 v[166:167], v[166:167], v[10:11] neg_lo:[0,1] neg_hi:[0,1]
	v_pk_add_f32 v[172:173], v[172:173], v[8:9] neg_lo:[0,1] neg_hi:[0,1]
	s_wait_dscnt 0x0
	v_pk_mul_f32 v[8:9], v[4:5], v[2:3] op_sel:[0,1]
	s_delay_alu instid0(VALU_DEP_1) | instskip(SKIP_1) | instid1(VALU_DEP_1)
	v_pk_fma_f32 v[10:11], v[4:5], v[0:1], v[8:9] op_sel:[0,0,1] op_sel_hi:[1,1,0] neg_lo:[0,0,1] neg_hi:[0,0,1]
	v_pk_fma_f32 v[4:5], v[4:5], v[0:1], v[8:9] op_sel:[0,0,1] op_sel_hi:[1,0,0]
	v_mov_b32_e32 v11, v5
	v_pk_mul_f32 v[4:5], v[6:7], v[2:3] op_sel:[0,1]
	s_delay_alu instid0(VALU_DEP_1) | instskip(SKIP_1) | instid1(VALU_DEP_1)
	v_pk_fma_f32 v[8:9], v[6:7], v[0:1], v[4:5] op_sel:[0,0,1] op_sel_hi:[1,1,0] neg_lo:[0,0,1] neg_hi:[0,0,1]
	v_pk_fma_f32 v[4:5], v[6:7], v[0:1], v[4:5] op_sel:[0,0,1] op_sel_hi:[1,0,0]
	v_mov_b32_e32 v9, v5
	ds_load_2addr_b64 v[4:7], v20 offset0:41 offset1:42
	v_pk_add_f32 v[164:165], v[164:165], v[10:11] neg_lo:[0,1] neg_hi:[0,1]
	v_pk_add_f32 v[170:171], v[170:171], v[8:9] neg_lo:[0,1] neg_hi:[0,1]
	s_wait_dscnt 0x0
	v_dual_mul_f32 v8, v5, v3 :: v_dual_mul_f32 v10, v5, v0
	s_delay_alu instid0(VALU_DEP_1) | instskip(NEXT) | instid1(VALU_DEP_2)
	v_pk_fma_f32 v[8:9], v[4:5], v[150:151], v[8:9] op_sel_hi:[1,1,0] neg_lo:[0,0,1] neg_hi:[0,0,1]
	v_pk_fma_f32 v[4:5], v[4:5], v[150:151], v[10:11] op_sel:[1,0,0] op_sel_hi:[0,1,0]
	s_delay_alu instid0(VALU_DEP_1) | instskip(SKIP_1) | instid1(VALU_DEP_2)
	v_mov_b32_e32 v9, v5
	v_pk_mul_f32 v[4:5], v[6:7], v[2:3] op_sel:[0,1]
	v_pk_add_f32 v[162:163], v[162:163], v[8:9] neg_lo:[0,1] neg_hi:[0,1]
	s_delay_alu instid0(VALU_DEP_2) | instskip(SKIP_1) | instid1(VALU_DEP_1)
	v_pk_fma_f32 v[8:9], v[6:7], v[0:1], v[4:5] op_sel:[0,0,1] op_sel_hi:[1,1,0] neg_lo:[0,0,1] neg_hi:[0,0,1]
	v_pk_fma_f32 v[4:5], v[6:7], v[0:1], v[4:5] op_sel:[0,0,1] op_sel_hi:[1,0,0]
	v_mov_b32_e32 v9, v5
	ds_load_2addr_b64 v[4:7], v20 offset0:43 offset1:44
	v_pk_add_f32 v[168:169], v[168:169], v[8:9] neg_lo:[0,1] neg_hi:[0,1]
	s_wait_dscnt 0x0
	v_pk_mul_f32 v[8:9], v[4:5], v[2:3] op_sel:[0,1]
	v_mul_f32_e32 v2, v7, v3
	s_delay_alu instid0(VALU_DEP_2) | instskip(SKIP_2) | instid1(VALU_DEP_4)
	v_pk_fma_f32 v[10:11], v[4:5], v[0:1], v[8:9] op_sel:[0,0,1] op_sel_hi:[1,1,0] neg_lo:[0,0,1] neg_hi:[0,0,1]
	v_pk_fma_f32 v[4:5], v[4:5], v[0:1], v[8:9] op_sel:[0,0,1] op_sel_hi:[1,0,0]
	v_dual_mov_b32 v4, v7 :: v_dual_mul_f32 v0, v7, v0
	v_pk_fma_f32 v[2:3], v[6:7], v[150:151], v[2:3] op_sel_hi:[1,1,0] neg_lo:[0,0,1] neg_hi:[0,0,1]
	s_delay_alu instid0(VALU_DEP_3) | instskip(NEXT) | instid1(VALU_DEP_1)
	v_dual_mov_b32 v11, v5 :: v_dual_mov_b32 v5, v6
	v_pk_add_f32 v[176:177], v[176:177], v[10:11] neg_lo:[0,1] neg_hi:[0,1]
	s_delay_alu instid0(VALU_DEP_2) | instskip(NEXT) | instid1(VALU_DEP_1)
	v_pk_fma_f32 v[0:1], v[4:5], v[150:151], v[0:1] op_sel_hi:[1,1,0]
	v_mov_b32_e32 v3, v1
	s_delay_alu instid0(VALU_DEP_1)
	v_pk_add_f32 v[180:181], v[180:181], v[2:3] neg_lo:[0,1] neg_hi:[0,1]
.LBB89_298:
	s_or_b32 exec_lo, exec_lo, s1
	s_delay_alu instid0(SALU_CYCLE_1)
	s_mov_b32 s2, exec_lo
	s_wait_dscnt 0x0
	s_barrier_signal -1
	s_barrier_wait -1
	v_cmpx_eq_u32_e32 33, v38
	s_cbranch_execz .LBB89_305
; %bb.299:
	v_dual_mov_b32 v0, v148 :: v_dual_mov_b32 v1, v149
	v_dual_mov_b32 v2, v144 :: v_dual_mov_b32 v3, v145
	ds_store_b64 v39, v[146:147]
	ds_store_2addr_b64 v20, v[0:1], v[2:3] offset0:34 offset1:35
	v_dual_mov_b32 v0, v174 :: v_dual_mov_b32 v1, v175
	v_dual_mov_b32 v2, v166 :: v_dual_mov_b32 v3, v167
	ds_store_2addr_b64 v20, v[0:1], v[2:3] offset0:36 offset1:37
	v_dual_mov_b32 v0, v172 :: v_dual_mov_b32 v1, v173
	v_dual_mov_b32 v2, v164 :: v_dual_mov_b32 v3, v165
	;; [unrolled: 3-line block ×4, first 2 shown]
	ds_store_2addr_b64 v20, v[0:1], v[2:3] offset0:42 offset1:43
	ds_store_b64 v20, v[180:181] offset:352
	ds_load_b64 v[0:1], v39
	s_wait_dscnt 0x0
	v_cmp_neq_f32_e32 vcc_lo, 0, v0
	v_cmp_neq_f32_e64 s1, 0, v1
	s_or_b32 s1, vcc_lo, s1
	s_delay_alu instid0(SALU_CYCLE_1)
	s_and_b32 exec_lo, exec_lo, s1
	s_cbranch_execz .LBB89_305
; %bb.300:
	v_cmp_ngt_f32_e64 s1, |v0|, |v1|
                                        ; implicit-def: $vgpr2_vgpr3
	s_and_saveexec_b32 s4, s1
	s_delay_alu instid0(SALU_CYCLE_1)
	s_xor_b32 s1, exec_lo, s4
	s_cbranch_execz .LBB89_302
; %bb.301:
	v_div_scale_f32 v2, null, v1, v1, v0
	v_div_scale_f32 v5, vcc_lo, v0, v1, v0
	s_delay_alu instid0(VALU_DEP_2) | instskip(SKIP_1) | instid1(TRANS32_DEP_1)
	v_rcp_f32_e32 v3, v2
	v_nop
	v_fma_f32 v4, -v2, v3, 1.0
	s_delay_alu instid0(VALU_DEP_1) | instskip(NEXT) | instid1(VALU_DEP_1)
	v_fmac_f32_e32 v3, v4, v3
	v_mul_f32_e32 v4, v5, v3
	s_delay_alu instid0(VALU_DEP_1) | instskip(NEXT) | instid1(VALU_DEP_1)
	v_fma_f32 v6, -v2, v4, v5
	v_fmac_f32_e32 v4, v6, v3
	s_delay_alu instid0(VALU_DEP_1) | instskip(NEXT) | instid1(VALU_DEP_1)
	v_fma_f32 v2, -v2, v4, v5
	v_div_fmas_f32 v2, v2, v3, v4
	s_delay_alu instid0(VALU_DEP_1) | instskip(NEXT) | instid1(VALU_DEP_1)
	v_div_fixup_f32 v2, v2, v1, v0
	v_fmac_f32_e32 v1, v0, v2
	s_delay_alu instid0(VALU_DEP_1) | instskip(SKIP_1) | instid1(VALU_DEP_2)
	v_div_scale_f32 v0, null, v1, v1, 1.0
	v_div_scale_f32 v5, vcc_lo, 1.0, v1, 1.0
	v_rcp_f32_e32 v3, v0
	v_nop
	s_delay_alu instid0(TRANS32_DEP_1) | instskip(NEXT) | instid1(VALU_DEP_1)
	v_fma_f32 v4, -v0, v3, 1.0
	v_fmac_f32_e32 v3, v4, v3
	s_delay_alu instid0(VALU_DEP_1) | instskip(NEXT) | instid1(VALU_DEP_1)
	v_mul_f32_e32 v4, v5, v3
	v_fma_f32 v6, -v0, v4, v5
	s_delay_alu instid0(VALU_DEP_1) | instskip(NEXT) | instid1(VALU_DEP_1)
	v_fmac_f32_e32 v4, v6, v3
	v_fma_f32 v0, -v0, v4, v5
	s_delay_alu instid0(VALU_DEP_1) | instskip(NEXT) | instid1(VALU_DEP_1)
	v_div_fmas_f32 v0, v0, v3, v4
	v_div_fixup_f32 v0, v0, v1, 1.0
	s_delay_alu instid0(VALU_DEP_1)
	v_mul_f32_e32 v2, v2, v0
	v_xor_b32_e32 v3, 0x80000000, v0
                                        ; implicit-def: $vgpr0_vgpr1
.LBB89_302:
	s_and_not1_saveexec_b32 s1, s1
	s_cbranch_execz .LBB89_304
; %bb.303:
	v_div_scale_f32 v2, null, v0, v0, v1
	v_div_scale_f32 v5, vcc_lo, v1, v0, v1
	s_delay_alu instid0(VALU_DEP_2) | instskip(SKIP_1) | instid1(TRANS32_DEP_1)
	v_rcp_f32_e32 v3, v2
	v_nop
	v_fma_f32 v4, -v2, v3, 1.0
	s_delay_alu instid0(VALU_DEP_1) | instskip(NEXT) | instid1(VALU_DEP_1)
	v_fmac_f32_e32 v3, v4, v3
	v_mul_f32_e32 v4, v5, v3
	s_delay_alu instid0(VALU_DEP_1) | instskip(NEXT) | instid1(VALU_DEP_1)
	v_fma_f32 v6, -v2, v4, v5
	v_fmac_f32_e32 v4, v6, v3
	s_delay_alu instid0(VALU_DEP_1) | instskip(NEXT) | instid1(VALU_DEP_1)
	v_fma_f32 v2, -v2, v4, v5
	v_div_fmas_f32 v2, v2, v3, v4
	s_delay_alu instid0(VALU_DEP_1) | instskip(NEXT) | instid1(VALU_DEP_1)
	v_div_fixup_f32 v3, v2, v0, v1
	v_fmac_f32_e32 v0, v1, v3
	s_delay_alu instid0(VALU_DEP_1) | instskip(NEXT) | instid1(VALU_DEP_1)
	v_div_scale_f32 v1, null, v0, v0, 1.0
	v_rcp_f32_e32 v2, v1
	v_nop
	s_delay_alu instid0(TRANS32_DEP_1) | instskip(NEXT) | instid1(VALU_DEP_1)
	v_fma_f32 v4, -v1, v2, 1.0
	v_fmac_f32_e32 v2, v4, v2
	v_div_scale_f32 v4, vcc_lo, 1.0, v0, 1.0
	s_delay_alu instid0(VALU_DEP_1) | instskip(NEXT) | instid1(VALU_DEP_1)
	v_mul_f32_e32 v5, v4, v2
	v_fma_f32 v6, -v1, v5, v4
	s_delay_alu instid0(VALU_DEP_1) | instskip(NEXT) | instid1(VALU_DEP_1)
	v_fmac_f32_e32 v5, v6, v2
	v_fma_f32 v1, -v1, v5, v4
	s_delay_alu instid0(VALU_DEP_1) | instskip(NEXT) | instid1(VALU_DEP_1)
	v_div_fmas_f32 v1, v1, v2, v5
	v_div_fixup_f32 v2, v1, v0, 1.0
	s_delay_alu instid0(VALU_DEP_1)
	v_mul_f32_e64 v3, v3, -v2
.LBB89_304:
	s_or_b32 exec_lo, exec_lo, s1
	ds_store_b64 v39, v[2:3]
.LBB89_305:
	s_or_b32 exec_lo, exec_lo, s2
	s_wait_dscnt 0x0
	s_barrier_signal -1
	s_barrier_wait -1
	ds_load_b64 v[248:249], v39
	s_mov_b32 s1, exec_lo
	v_cmpx_lt_u32_e32 33, v38
	s_cbranch_execz .LBB89_307
; %bb.306:
	ds_load_2addr_b64 v[4:7], v20 offset0:34 offset1:35
	s_wait_dscnt 0x1
	v_pk_mul_f32 v[2:3], v[248:249], v[146:147] op_sel:[1,1] op_sel_hi:[0,1]
	s_delay_alu instid0(VALU_DEP_1) | instskip(SKIP_1) | instid1(VALU_DEP_1)
	v_pk_fma_f32 v[0:1], v[248:249], v[146:147], v[2:3] op_sel_hi:[1,0,1] neg_lo:[0,0,1] neg_hi:[0,0,1]
	v_pk_fma_f32 v[2:3], v[248:249], v[146:147], v[2:3] op_sel_hi:[1,0,1]
	v_dual_mov_b32 v146, v0 :: v_dual_mov_b32 v147, v3
	s_wait_dscnt 0x0
	s_delay_alu instid0(VALU_DEP_2) | instskip(NEXT) | instid1(VALU_DEP_1)
	v_pk_mul_f32 v[8:9], v[4:5], v[2:3] op_sel:[0,1]
	v_pk_fma_f32 v[10:11], v[4:5], v[0:1], v[8:9] op_sel:[0,0,1] op_sel_hi:[1,1,0] neg_lo:[0,0,1] neg_hi:[0,0,1]
	v_pk_fma_f32 v[4:5], v[4:5], v[0:1], v[8:9] op_sel:[0,0,1] op_sel_hi:[1,0,0]
	s_delay_alu instid0(VALU_DEP_1) | instskip(SKIP_1) | instid1(VALU_DEP_1)
	v_mov_b32_e32 v11, v5
	v_pk_mul_f32 v[4:5], v[6:7], v[2:3] op_sel:[0,1]
	v_pk_fma_f32 v[8:9], v[6:7], v[0:1], v[4:5] op_sel:[0,0,1] op_sel_hi:[1,1,0] neg_lo:[0,0,1] neg_hi:[0,0,1]
	v_pk_fma_f32 v[4:5], v[6:7], v[0:1], v[4:5] op_sel:[0,0,1] op_sel_hi:[1,0,0]
	s_delay_alu instid0(VALU_DEP_1)
	v_mov_b32_e32 v9, v5
	ds_load_2addr_b64 v[4:7], v20 offset0:36 offset1:37
	v_pk_add_f32 v[148:149], v[148:149], v[10:11] neg_lo:[0,1] neg_hi:[0,1]
	v_pk_add_f32 v[144:145], v[144:145], v[8:9] neg_lo:[0,1] neg_hi:[0,1]
	s_wait_dscnt 0x0
	v_pk_mul_f32 v[8:9], v[4:5], v[2:3] op_sel:[0,1]
	s_delay_alu instid0(VALU_DEP_1) | instskip(SKIP_2) | instid1(VALU_DEP_2)
	v_pk_fma_f32 v[10:11], v[4:5], v[0:1], v[8:9] op_sel:[0,0,1] op_sel_hi:[1,1,0] neg_lo:[0,0,1] neg_hi:[0,0,1]
	v_pk_fma_f32 v[4:5], v[4:5], v[0:1], v[8:9] op_sel:[0,0,1] op_sel_hi:[1,0,0]
	v_dual_mul_f32 v8, v7, v3 :: v_dual_mov_b32 v4, v7
	v_dual_mov_b32 v11, v5 :: v_dual_mov_b32 v5, v6
	s_delay_alu instid0(VALU_DEP_2) | instskip(SKIP_1) | instid1(VALU_DEP_3)
	v_pk_fma_f32 v[8:9], v[6:7], v[146:147], v[8:9] op_sel_hi:[1,1,0] neg_lo:[0,0,1] neg_hi:[0,0,1]
	v_mul_f32_e32 v6, v7, v0
	v_pk_add_f32 v[174:175], v[174:175], v[10:11] neg_lo:[0,1] neg_hi:[0,1]
	s_delay_alu instid0(VALU_DEP_2) | instskip(NEXT) | instid1(VALU_DEP_1)
	v_pk_fma_f32 v[4:5], v[4:5], v[146:147], v[6:7] op_sel_hi:[1,1,0]
	v_mov_b32_e32 v9, v5
	ds_load_2addr_b64 v[4:7], v20 offset0:38 offset1:39
	v_pk_add_f32 v[166:167], v[166:167], v[8:9] neg_lo:[0,1] neg_hi:[0,1]
	s_wait_dscnt 0x0
	v_pk_mul_f32 v[8:9], v[4:5], v[2:3] op_sel:[0,1]
	s_delay_alu instid0(VALU_DEP_1) | instskip(SKIP_1) | instid1(VALU_DEP_1)
	v_pk_fma_f32 v[10:11], v[4:5], v[0:1], v[8:9] op_sel:[0,0,1] op_sel_hi:[1,1,0] neg_lo:[0,0,1] neg_hi:[0,0,1]
	v_pk_fma_f32 v[4:5], v[4:5], v[0:1], v[8:9] op_sel:[0,0,1] op_sel_hi:[1,0,0]
	v_mov_b32_e32 v11, v5
	v_pk_mul_f32 v[4:5], v[6:7], v[2:3] op_sel:[0,1]
	s_delay_alu instid0(VALU_DEP_1) | instskip(SKIP_1) | instid1(VALU_DEP_1)
	v_pk_fma_f32 v[8:9], v[6:7], v[0:1], v[4:5] op_sel:[0,0,1] op_sel_hi:[1,1,0] neg_lo:[0,0,1] neg_hi:[0,0,1]
	v_pk_fma_f32 v[4:5], v[6:7], v[0:1], v[4:5] op_sel:[0,0,1] op_sel_hi:[1,0,0]
	v_mov_b32_e32 v9, v5
	ds_load_2addr_b64 v[4:7], v20 offset0:40 offset1:41
	v_pk_add_f32 v[172:173], v[172:173], v[10:11] neg_lo:[0,1] neg_hi:[0,1]
	v_pk_add_f32 v[164:165], v[164:165], v[8:9] neg_lo:[0,1] neg_hi:[0,1]
	s_wait_dscnt 0x0
	v_pk_mul_f32 v[8:9], v[4:5], v[2:3] op_sel:[0,1]
	s_delay_alu instid0(VALU_DEP_1) | instskip(SKIP_1) | instid1(VALU_DEP_1)
	v_pk_fma_f32 v[10:11], v[4:5], v[0:1], v[8:9] op_sel:[0,0,1] op_sel_hi:[1,1,0] neg_lo:[0,0,1] neg_hi:[0,0,1]
	v_pk_fma_f32 v[4:5], v[4:5], v[0:1], v[8:9] op_sel:[0,0,1] op_sel_hi:[1,0,0]
	v_mov_b32_e32 v11, v5
	v_pk_mul_f32 v[4:5], v[6:7], v[2:3] op_sel:[0,1]
	s_delay_alu instid0(VALU_DEP_1) | instskip(SKIP_1) | instid1(VALU_DEP_1)
	v_pk_fma_f32 v[8:9], v[6:7], v[0:1], v[4:5] op_sel:[0,0,1] op_sel_hi:[1,1,0] neg_lo:[0,0,1] neg_hi:[0,0,1]
	v_pk_fma_f32 v[4:5], v[6:7], v[0:1], v[4:5] op_sel:[0,0,1] op_sel_hi:[1,0,0]
	v_mov_b32_e32 v9, v5
	ds_load_2addr_b64 v[4:7], v20 offset0:42 offset1:43
	v_pk_add_f32 v[170:171], v[170:171], v[10:11] neg_lo:[0,1] neg_hi:[0,1]
	v_pk_add_f32 v[162:163], v[162:163], v[8:9] neg_lo:[0,1] neg_hi:[0,1]
	s_wait_dscnt 0x0
	v_dual_mul_f32 v8, v5, v3 :: v_dual_mul_f32 v10, v5, v0
	s_delay_alu instid0(VALU_DEP_1) | instskip(NEXT) | instid1(VALU_DEP_2)
	v_pk_fma_f32 v[8:9], v[4:5], v[146:147], v[8:9] op_sel_hi:[1,1,0] neg_lo:[0,0,1] neg_hi:[0,0,1]
	v_pk_fma_f32 v[4:5], v[4:5], v[146:147], v[10:11] op_sel:[1,0,0] op_sel_hi:[0,1,0]
	s_delay_alu instid0(VALU_DEP_1) | instskip(SKIP_1) | instid1(VALU_DEP_2)
	v_mov_b32_e32 v9, v5
	v_pk_mul_f32 v[4:5], v[6:7], v[2:3] op_sel:[0,1]
	v_pk_add_f32 v[168:169], v[168:169], v[8:9] neg_lo:[0,1] neg_hi:[0,1]
	s_delay_alu instid0(VALU_DEP_2) | instskip(SKIP_1) | instid1(VALU_DEP_1)
	v_pk_fma_f32 v[8:9], v[6:7], v[0:1], v[4:5] op_sel:[0,0,1] op_sel_hi:[1,1,0] neg_lo:[0,0,1] neg_hi:[0,0,1]
	v_pk_fma_f32 v[4:5], v[6:7], v[0:1], v[4:5] op_sel:[0,0,1] op_sel_hi:[1,0,0]
	v_mov_b32_e32 v9, v5
	ds_load_b64 v[4:5], v20 offset:352
	v_pk_add_f32 v[176:177], v[176:177], v[8:9] neg_lo:[0,1] neg_hi:[0,1]
	s_wait_dscnt 0x0
	v_pk_mul_f32 v[2:3], v[4:5], v[2:3] op_sel:[0,1]
	s_delay_alu instid0(VALU_DEP_1) | instskip(SKIP_1) | instid1(VALU_DEP_1)
	v_pk_fma_f32 v[6:7], v[4:5], v[0:1], v[2:3] op_sel:[0,0,1] op_sel_hi:[1,1,0] neg_lo:[0,0,1] neg_hi:[0,0,1]
	v_pk_fma_f32 v[0:1], v[4:5], v[0:1], v[2:3] op_sel:[0,0,1] op_sel_hi:[1,0,0]
	v_mov_b32_e32 v7, v1
	s_delay_alu instid0(VALU_DEP_1)
	v_pk_add_f32 v[180:181], v[180:181], v[6:7] neg_lo:[0,1] neg_hi:[0,1]
.LBB89_307:
	s_or_b32 exec_lo, exec_lo, s1
	s_delay_alu instid0(SALU_CYCLE_1)
	s_mov_b32 s2, exec_lo
	s_wait_dscnt 0x0
	s_barrier_signal -1
	s_barrier_wait -1
	v_cmpx_eq_u32_e32 34, v38
	s_cbranch_execz .LBB89_314
; %bb.308:
	ds_store_b64 v39, v[148:149]
	ds_store_2addr_b64 v20, v[144:145], v[174:175] offset0:35 offset1:36
	ds_store_2addr_b64 v20, v[166:167], v[172:173] offset0:37 offset1:38
	;; [unrolled: 1-line block ×5, first 2 shown]
	ds_load_b64 v[0:1], v39
	s_wait_dscnt 0x0
	v_cmp_neq_f32_e32 vcc_lo, 0, v0
	v_cmp_neq_f32_e64 s1, 0, v1
	s_or_b32 s1, vcc_lo, s1
	s_delay_alu instid0(SALU_CYCLE_1)
	s_and_b32 exec_lo, exec_lo, s1
	s_cbranch_execz .LBB89_314
; %bb.309:
	v_cmp_ngt_f32_e64 s1, |v0|, |v1|
                                        ; implicit-def: $vgpr2_vgpr3
	s_and_saveexec_b32 s4, s1
	s_delay_alu instid0(SALU_CYCLE_1)
	s_xor_b32 s1, exec_lo, s4
	s_cbranch_execz .LBB89_311
; %bb.310:
	v_div_scale_f32 v2, null, v1, v1, v0
	v_div_scale_f32 v5, vcc_lo, v0, v1, v0
	s_delay_alu instid0(VALU_DEP_2) | instskip(SKIP_1) | instid1(TRANS32_DEP_1)
	v_rcp_f32_e32 v3, v2
	v_nop
	v_fma_f32 v4, -v2, v3, 1.0
	s_delay_alu instid0(VALU_DEP_1) | instskip(NEXT) | instid1(VALU_DEP_1)
	v_fmac_f32_e32 v3, v4, v3
	v_mul_f32_e32 v4, v5, v3
	s_delay_alu instid0(VALU_DEP_1) | instskip(NEXT) | instid1(VALU_DEP_1)
	v_fma_f32 v6, -v2, v4, v5
	v_fmac_f32_e32 v4, v6, v3
	s_delay_alu instid0(VALU_DEP_1) | instskip(NEXT) | instid1(VALU_DEP_1)
	v_fma_f32 v2, -v2, v4, v5
	v_div_fmas_f32 v2, v2, v3, v4
	s_delay_alu instid0(VALU_DEP_1) | instskip(NEXT) | instid1(VALU_DEP_1)
	v_div_fixup_f32 v2, v2, v1, v0
	v_fmac_f32_e32 v1, v0, v2
	s_delay_alu instid0(VALU_DEP_1) | instskip(SKIP_1) | instid1(VALU_DEP_2)
	v_div_scale_f32 v0, null, v1, v1, 1.0
	v_div_scale_f32 v5, vcc_lo, 1.0, v1, 1.0
	v_rcp_f32_e32 v3, v0
	v_nop
	s_delay_alu instid0(TRANS32_DEP_1) | instskip(NEXT) | instid1(VALU_DEP_1)
	v_fma_f32 v4, -v0, v3, 1.0
	v_fmac_f32_e32 v3, v4, v3
	s_delay_alu instid0(VALU_DEP_1) | instskip(NEXT) | instid1(VALU_DEP_1)
	v_mul_f32_e32 v4, v5, v3
	v_fma_f32 v6, -v0, v4, v5
	s_delay_alu instid0(VALU_DEP_1) | instskip(NEXT) | instid1(VALU_DEP_1)
	v_fmac_f32_e32 v4, v6, v3
	v_fma_f32 v0, -v0, v4, v5
	s_delay_alu instid0(VALU_DEP_1) | instskip(NEXT) | instid1(VALU_DEP_1)
	v_div_fmas_f32 v0, v0, v3, v4
	v_div_fixup_f32 v0, v0, v1, 1.0
	s_delay_alu instid0(VALU_DEP_1)
	v_mul_f32_e32 v2, v2, v0
	v_xor_b32_e32 v3, 0x80000000, v0
                                        ; implicit-def: $vgpr0_vgpr1
.LBB89_311:
	s_and_not1_saveexec_b32 s1, s1
	s_cbranch_execz .LBB89_313
; %bb.312:
	v_div_scale_f32 v2, null, v0, v0, v1
	v_div_scale_f32 v5, vcc_lo, v1, v0, v1
	s_delay_alu instid0(VALU_DEP_2) | instskip(SKIP_1) | instid1(TRANS32_DEP_1)
	v_rcp_f32_e32 v3, v2
	v_nop
	v_fma_f32 v4, -v2, v3, 1.0
	s_delay_alu instid0(VALU_DEP_1) | instskip(NEXT) | instid1(VALU_DEP_1)
	v_fmac_f32_e32 v3, v4, v3
	v_mul_f32_e32 v4, v5, v3
	s_delay_alu instid0(VALU_DEP_1) | instskip(NEXT) | instid1(VALU_DEP_1)
	v_fma_f32 v6, -v2, v4, v5
	v_fmac_f32_e32 v4, v6, v3
	s_delay_alu instid0(VALU_DEP_1) | instskip(NEXT) | instid1(VALU_DEP_1)
	v_fma_f32 v2, -v2, v4, v5
	v_div_fmas_f32 v2, v2, v3, v4
	s_delay_alu instid0(VALU_DEP_1) | instskip(NEXT) | instid1(VALU_DEP_1)
	v_div_fixup_f32 v3, v2, v0, v1
	v_fmac_f32_e32 v0, v1, v3
	s_delay_alu instid0(VALU_DEP_1) | instskip(NEXT) | instid1(VALU_DEP_1)
	v_div_scale_f32 v1, null, v0, v0, 1.0
	v_rcp_f32_e32 v2, v1
	v_nop
	s_delay_alu instid0(TRANS32_DEP_1) | instskip(NEXT) | instid1(VALU_DEP_1)
	v_fma_f32 v4, -v1, v2, 1.0
	v_fmac_f32_e32 v2, v4, v2
	v_div_scale_f32 v4, vcc_lo, 1.0, v0, 1.0
	s_delay_alu instid0(VALU_DEP_1) | instskip(NEXT) | instid1(VALU_DEP_1)
	v_mul_f32_e32 v5, v4, v2
	v_fma_f32 v6, -v1, v5, v4
	s_delay_alu instid0(VALU_DEP_1) | instskip(NEXT) | instid1(VALU_DEP_1)
	v_fmac_f32_e32 v5, v6, v2
	v_fma_f32 v1, -v1, v5, v4
	s_delay_alu instid0(VALU_DEP_1) | instskip(NEXT) | instid1(VALU_DEP_1)
	v_div_fmas_f32 v1, v1, v2, v5
	v_div_fixup_f32 v2, v1, v0, 1.0
	s_delay_alu instid0(VALU_DEP_1)
	v_mul_f32_e64 v3, v3, -v2
.LBB89_313:
	s_or_b32 exec_lo, exec_lo, s1
	ds_store_b64 v39, v[2:3]
.LBB89_314:
	s_or_b32 exec_lo, exec_lo, s2
	s_wait_dscnt 0x0
	s_barrier_signal -1
	s_barrier_wait -1
	ds_load_b64 v[250:251], v39
	s_mov_b32 s1, exec_lo
	v_cmpx_lt_u32_e32 34, v38
	s_cbranch_execz .LBB89_316
; %bb.315:
	ds_load_2addr_b64 v[4:7], v20 offset0:35 offset1:36
	s_wait_dscnt 0x1
	v_pk_mul_f32 v[2:3], v[250:251], v[148:149] op_sel:[1,1] op_sel_hi:[0,1]
	s_delay_alu instid0(VALU_DEP_1) | instskip(SKIP_1) | instid1(VALU_DEP_1)
	v_pk_fma_f32 v[0:1], v[250:251], v[148:149], v[2:3] op_sel_hi:[1,0,1] neg_lo:[0,0,1] neg_hi:[0,0,1]
	v_pk_fma_f32 v[2:3], v[250:251], v[148:149], v[2:3] op_sel_hi:[1,0,1]
	v_dual_mov_b32 v148, v0 :: v_dual_mov_b32 v149, v3
	s_wait_dscnt 0x0
	s_delay_alu instid0(VALU_DEP_2) | instskip(NEXT) | instid1(VALU_DEP_1)
	v_pk_mul_f32 v[8:9], v[4:5], v[2:3] op_sel:[0,1]
	v_pk_fma_f32 v[10:11], v[4:5], v[0:1], v[8:9] op_sel:[0,0,1] op_sel_hi:[1,1,0] neg_lo:[0,0,1] neg_hi:[0,0,1]
	v_pk_fma_f32 v[4:5], v[4:5], v[0:1], v[8:9] op_sel:[0,0,1] op_sel_hi:[1,0,0]
	s_delay_alu instid0(VALU_DEP_1) | instskip(SKIP_1) | instid1(VALU_DEP_1)
	v_mov_b32_e32 v11, v5
	v_pk_mul_f32 v[4:5], v[6:7], v[2:3] op_sel:[0,1]
	v_pk_fma_f32 v[8:9], v[6:7], v[0:1], v[4:5] op_sel:[0,0,1] op_sel_hi:[1,1,0] neg_lo:[0,0,1] neg_hi:[0,0,1]
	v_pk_fma_f32 v[4:5], v[6:7], v[0:1], v[4:5] op_sel:[0,0,1] op_sel_hi:[1,0,0]
	s_delay_alu instid0(VALU_DEP_1)
	v_mov_b32_e32 v9, v5
	ds_load_2addr_b64 v[4:7], v20 offset0:37 offset1:38
	v_pk_add_f32 v[144:145], v[144:145], v[10:11] neg_lo:[0,1] neg_hi:[0,1]
	v_pk_add_f32 v[174:175], v[174:175], v[8:9] neg_lo:[0,1] neg_hi:[0,1]
	s_wait_dscnt 0x0
	v_pk_mul_f32 v[8:9], v[4:5], v[2:3] op_sel:[0,1]
	s_delay_alu instid0(VALU_DEP_1) | instskip(SKIP_2) | instid1(VALU_DEP_2)
	v_pk_fma_f32 v[10:11], v[4:5], v[0:1], v[8:9] op_sel:[0,0,1] op_sel_hi:[1,1,0] neg_lo:[0,0,1] neg_hi:[0,0,1]
	v_pk_fma_f32 v[4:5], v[4:5], v[0:1], v[8:9] op_sel:[0,0,1] op_sel_hi:[1,0,0]
	v_dual_mul_f32 v8, v7, v3 :: v_dual_mov_b32 v4, v7
	v_dual_mov_b32 v11, v5 :: v_dual_mov_b32 v5, v6
	s_delay_alu instid0(VALU_DEP_2) | instskip(SKIP_1) | instid1(VALU_DEP_3)
	v_pk_fma_f32 v[8:9], v[6:7], v[148:149], v[8:9] op_sel_hi:[1,1,0] neg_lo:[0,0,1] neg_hi:[0,0,1]
	v_mul_f32_e32 v6, v7, v0
	v_pk_add_f32 v[166:167], v[166:167], v[10:11] neg_lo:[0,1] neg_hi:[0,1]
	s_delay_alu instid0(VALU_DEP_2) | instskip(NEXT) | instid1(VALU_DEP_1)
	v_pk_fma_f32 v[4:5], v[4:5], v[148:149], v[6:7] op_sel_hi:[1,1,0]
	v_mov_b32_e32 v9, v5
	ds_load_2addr_b64 v[4:7], v20 offset0:39 offset1:40
	v_pk_add_f32 v[172:173], v[172:173], v[8:9] neg_lo:[0,1] neg_hi:[0,1]
	s_wait_dscnt 0x0
	v_pk_mul_f32 v[8:9], v[4:5], v[2:3] op_sel:[0,1]
	s_delay_alu instid0(VALU_DEP_1) | instskip(SKIP_1) | instid1(VALU_DEP_1)
	v_pk_fma_f32 v[10:11], v[4:5], v[0:1], v[8:9] op_sel:[0,0,1] op_sel_hi:[1,1,0] neg_lo:[0,0,1] neg_hi:[0,0,1]
	v_pk_fma_f32 v[4:5], v[4:5], v[0:1], v[8:9] op_sel:[0,0,1] op_sel_hi:[1,0,0]
	v_mov_b32_e32 v11, v5
	v_pk_mul_f32 v[4:5], v[6:7], v[2:3] op_sel:[0,1]
	s_delay_alu instid0(VALU_DEP_1) | instskip(SKIP_1) | instid1(VALU_DEP_1)
	v_pk_fma_f32 v[8:9], v[6:7], v[0:1], v[4:5] op_sel:[0,0,1] op_sel_hi:[1,1,0] neg_lo:[0,0,1] neg_hi:[0,0,1]
	v_pk_fma_f32 v[4:5], v[6:7], v[0:1], v[4:5] op_sel:[0,0,1] op_sel_hi:[1,0,0]
	v_mov_b32_e32 v9, v5
	ds_load_2addr_b64 v[4:7], v20 offset0:41 offset1:42
	v_pk_add_f32 v[164:165], v[164:165], v[10:11] neg_lo:[0,1] neg_hi:[0,1]
	v_pk_add_f32 v[170:171], v[170:171], v[8:9] neg_lo:[0,1] neg_hi:[0,1]
	s_wait_dscnt 0x0
	v_pk_mul_f32 v[8:9], v[4:5], v[2:3] op_sel:[0,1]
	s_delay_alu instid0(VALU_DEP_1) | instskip(SKIP_1) | instid1(VALU_DEP_1)
	v_pk_fma_f32 v[10:11], v[4:5], v[0:1], v[8:9] op_sel:[0,0,1] op_sel_hi:[1,1,0] neg_lo:[0,0,1] neg_hi:[0,0,1]
	v_pk_fma_f32 v[4:5], v[4:5], v[0:1], v[8:9] op_sel:[0,0,1] op_sel_hi:[1,0,0]
	v_mov_b32_e32 v11, v5
	v_pk_mul_f32 v[4:5], v[6:7], v[2:3] op_sel:[0,1]
	s_delay_alu instid0(VALU_DEP_1) | instskip(SKIP_1) | instid1(VALU_DEP_1)
	v_pk_fma_f32 v[8:9], v[6:7], v[0:1], v[4:5] op_sel:[0,0,1] op_sel_hi:[1,1,0] neg_lo:[0,0,1] neg_hi:[0,0,1]
	v_pk_fma_f32 v[4:5], v[6:7], v[0:1], v[4:5] op_sel:[0,0,1] op_sel_hi:[1,0,0]
	v_mov_b32_e32 v9, v5
	ds_load_2addr_b64 v[4:7], v20 offset0:43 offset1:44
	v_pk_add_f32 v[162:163], v[162:163], v[10:11] neg_lo:[0,1] neg_hi:[0,1]
	v_pk_add_f32 v[168:169], v[168:169], v[8:9] neg_lo:[0,1] neg_hi:[0,1]
	s_wait_dscnt 0x0
	v_dual_mul_f32 v8, v5, v3 :: v_dual_mul_f32 v10, v5, v0
	v_pk_mul_f32 v[2:3], v[6:7], v[2:3] op_sel:[0,1]
	s_delay_alu instid0(VALU_DEP_2) | instskip(NEXT) | instid1(VALU_DEP_3)
	v_pk_fma_f32 v[8:9], v[4:5], v[148:149], v[8:9] op_sel_hi:[1,1,0] neg_lo:[0,0,1] neg_hi:[0,0,1]
	v_pk_fma_f32 v[4:5], v[4:5], v[148:149], v[10:11] op_sel:[1,0,0] op_sel_hi:[0,1,0]
	s_delay_alu instid0(VALU_DEP_1) | instskip(NEXT) | instid1(VALU_DEP_4)
	v_mov_b32_e32 v9, v5
	v_pk_fma_f32 v[4:5], v[6:7], v[0:1], v[2:3] op_sel:[0,0,1] op_sel_hi:[1,1,0] neg_lo:[0,0,1] neg_hi:[0,0,1]
	v_pk_fma_f32 v[0:1], v[6:7], v[0:1], v[2:3] op_sel:[0,0,1] op_sel_hi:[1,0,0]
	s_delay_alu instid0(VALU_DEP_1) | instskip(NEXT) | instid1(VALU_DEP_4)
	v_mov_b32_e32 v5, v1
	v_pk_add_f32 v[176:177], v[176:177], v[8:9] neg_lo:[0,1] neg_hi:[0,1]
	s_delay_alu instid0(VALU_DEP_2)
	v_pk_add_f32 v[180:181], v[180:181], v[4:5] neg_lo:[0,1] neg_hi:[0,1]
.LBB89_316:
	s_or_b32 exec_lo, exec_lo, s1
	s_delay_alu instid0(SALU_CYCLE_1)
	s_mov_b32 s2, exec_lo
	s_wait_dscnt 0x0
	s_barrier_signal -1
	s_barrier_wait -1
	v_cmpx_eq_u32_e32 35, v38
	s_cbranch_execz .LBB89_323
; %bb.317:
	v_dual_mov_b32 v0, v174 :: v_dual_mov_b32 v1, v175
	v_dual_mov_b32 v2, v166 :: v_dual_mov_b32 v3, v167
	ds_store_b64 v39, v[144:145]
	ds_store_2addr_b64 v20, v[0:1], v[2:3] offset0:36 offset1:37
	v_dual_mov_b32 v0, v172 :: v_dual_mov_b32 v1, v173
	v_dual_mov_b32 v2, v164 :: v_dual_mov_b32 v3, v165
	ds_store_2addr_b64 v20, v[0:1], v[2:3] offset0:38 offset1:39
	v_dual_mov_b32 v0, v170 :: v_dual_mov_b32 v1, v171
	v_dual_mov_b32 v2, v162 :: v_dual_mov_b32 v3, v163
	;; [unrolled: 3-line block ×3, first 2 shown]
	ds_store_2addr_b64 v20, v[0:1], v[2:3] offset0:42 offset1:43
	ds_store_b64 v20, v[180:181] offset:352
	ds_load_b64 v[0:1], v39
	s_wait_dscnt 0x0
	v_cmp_neq_f32_e32 vcc_lo, 0, v0
	v_cmp_neq_f32_e64 s1, 0, v1
	s_or_b32 s1, vcc_lo, s1
	s_delay_alu instid0(SALU_CYCLE_1)
	s_and_b32 exec_lo, exec_lo, s1
	s_cbranch_execz .LBB89_323
; %bb.318:
	v_cmp_ngt_f32_e64 s1, |v0|, |v1|
                                        ; implicit-def: $vgpr2_vgpr3
	s_and_saveexec_b32 s4, s1
	s_delay_alu instid0(SALU_CYCLE_1)
	s_xor_b32 s1, exec_lo, s4
	s_cbranch_execz .LBB89_320
; %bb.319:
	v_div_scale_f32 v2, null, v1, v1, v0
	v_div_scale_f32 v5, vcc_lo, v0, v1, v0
	s_delay_alu instid0(VALU_DEP_2) | instskip(SKIP_1) | instid1(TRANS32_DEP_1)
	v_rcp_f32_e32 v3, v2
	v_nop
	v_fma_f32 v4, -v2, v3, 1.0
	s_delay_alu instid0(VALU_DEP_1) | instskip(NEXT) | instid1(VALU_DEP_1)
	v_fmac_f32_e32 v3, v4, v3
	v_mul_f32_e32 v4, v5, v3
	s_delay_alu instid0(VALU_DEP_1) | instskip(NEXT) | instid1(VALU_DEP_1)
	v_fma_f32 v6, -v2, v4, v5
	v_fmac_f32_e32 v4, v6, v3
	s_delay_alu instid0(VALU_DEP_1) | instskip(NEXT) | instid1(VALU_DEP_1)
	v_fma_f32 v2, -v2, v4, v5
	v_div_fmas_f32 v2, v2, v3, v4
	s_delay_alu instid0(VALU_DEP_1) | instskip(NEXT) | instid1(VALU_DEP_1)
	v_div_fixup_f32 v2, v2, v1, v0
	v_fmac_f32_e32 v1, v0, v2
	s_delay_alu instid0(VALU_DEP_1) | instskip(SKIP_1) | instid1(VALU_DEP_2)
	v_div_scale_f32 v0, null, v1, v1, 1.0
	v_div_scale_f32 v5, vcc_lo, 1.0, v1, 1.0
	v_rcp_f32_e32 v3, v0
	v_nop
	s_delay_alu instid0(TRANS32_DEP_1) | instskip(NEXT) | instid1(VALU_DEP_1)
	v_fma_f32 v4, -v0, v3, 1.0
	v_fmac_f32_e32 v3, v4, v3
	s_delay_alu instid0(VALU_DEP_1) | instskip(NEXT) | instid1(VALU_DEP_1)
	v_mul_f32_e32 v4, v5, v3
	v_fma_f32 v6, -v0, v4, v5
	s_delay_alu instid0(VALU_DEP_1) | instskip(NEXT) | instid1(VALU_DEP_1)
	v_fmac_f32_e32 v4, v6, v3
	v_fma_f32 v0, -v0, v4, v5
	s_delay_alu instid0(VALU_DEP_1) | instskip(NEXT) | instid1(VALU_DEP_1)
	v_div_fmas_f32 v0, v0, v3, v4
	v_div_fixup_f32 v0, v0, v1, 1.0
	s_delay_alu instid0(VALU_DEP_1)
	v_mul_f32_e32 v2, v2, v0
	v_xor_b32_e32 v3, 0x80000000, v0
                                        ; implicit-def: $vgpr0_vgpr1
.LBB89_320:
	s_and_not1_saveexec_b32 s1, s1
	s_cbranch_execz .LBB89_322
; %bb.321:
	v_div_scale_f32 v2, null, v0, v0, v1
	v_div_scale_f32 v5, vcc_lo, v1, v0, v1
	s_delay_alu instid0(VALU_DEP_2) | instskip(SKIP_1) | instid1(TRANS32_DEP_1)
	v_rcp_f32_e32 v3, v2
	v_nop
	v_fma_f32 v4, -v2, v3, 1.0
	s_delay_alu instid0(VALU_DEP_1) | instskip(NEXT) | instid1(VALU_DEP_1)
	v_fmac_f32_e32 v3, v4, v3
	v_mul_f32_e32 v4, v5, v3
	s_delay_alu instid0(VALU_DEP_1) | instskip(NEXT) | instid1(VALU_DEP_1)
	v_fma_f32 v6, -v2, v4, v5
	v_fmac_f32_e32 v4, v6, v3
	s_delay_alu instid0(VALU_DEP_1) | instskip(NEXT) | instid1(VALU_DEP_1)
	v_fma_f32 v2, -v2, v4, v5
	v_div_fmas_f32 v2, v2, v3, v4
	s_delay_alu instid0(VALU_DEP_1) | instskip(NEXT) | instid1(VALU_DEP_1)
	v_div_fixup_f32 v3, v2, v0, v1
	v_fmac_f32_e32 v0, v1, v3
	s_delay_alu instid0(VALU_DEP_1) | instskip(NEXT) | instid1(VALU_DEP_1)
	v_div_scale_f32 v1, null, v0, v0, 1.0
	v_rcp_f32_e32 v2, v1
	v_nop
	s_delay_alu instid0(TRANS32_DEP_1) | instskip(NEXT) | instid1(VALU_DEP_1)
	v_fma_f32 v4, -v1, v2, 1.0
	v_fmac_f32_e32 v2, v4, v2
	v_div_scale_f32 v4, vcc_lo, 1.0, v0, 1.0
	s_delay_alu instid0(VALU_DEP_1) | instskip(NEXT) | instid1(VALU_DEP_1)
	v_mul_f32_e32 v5, v4, v2
	v_fma_f32 v6, -v1, v5, v4
	s_delay_alu instid0(VALU_DEP_1) | instskip(NEXT) | instid1(VALU_DEP_1)
	v_fmac_f32_e32 v5, v6, v2
	v_fma_f32 v1, -v1, v5, v4
	s_delay_alu instid0(VALU_DEP_1) | instskip(NEXT) | instid1(VALU_DEP_1)
	v_div_fmas_f32 v1, v1, v2, v5
	v_div_fixup_f32 v2, v1, v0, 1.0
	s_delay_alu instid0(VALU_DEP_1)
	v_mul_f32_e64 v3, v3, -v2
.LBB89_322:
	s_or_b32 exec_lo, exec_lo, s1
	ds_store_b64 v39, v[2:3]
.LBB89_323:
	s_or_b32 exec_lo, exec_lo, s2
	s_wait_dscnt 0x0
	s_barrier_signal -1
	s_barrier_wait -1
	ds_load_b64 v[252:253], v39
	s_mov_b32 s1, exec_lo
	v_cmpx_lt_u32_e32 35, v38
	s_cbranch_execz .LBB89_325
; %bb.324:
	ds_load_2addr_b64 v[4:7], v20 offset0:36 offset1:37
	s_wait_dscnt 0x1
	v_pk_mul_f32 v[2:3], v[252:253], v[144:145] op_sel:[1,1] op_sel_hi:[0,1]
	s_delay_alu instid0(VALU_DEP_1) | instskip(SKIP_1) | instid1(VALU_DEP_1)
	v_pk_fma_f32 v[0:1], v[252:253], v[144:145], v[2:3] op_sel_hi:[1,0,1] neg_lo:[0,0,1] neg_hi:[0,0,1]
	v_pk_fma_f32 v[2:3], v[252:253], v[144:145], v[2:3] op_sel_hi:[1,0,1]
	v_dual_mov_b32 v144, v0 :: v_dual_mov_b32 v145, v3
	s_wait_dscnt 0x0
	s_delay_alu instid0(VALU_DEP_2) | instskip(NEXT) | instid1(VALU_DEP_1)
	v_pk_mul_f32 v[8:9], v[4:5], v[2:3] op_sel:[0,1]
	v_pk_fma_f32 v[10:11], v[4:5], v[0:1], v[8:9] op_sel:[0,0,1] op_sel_hi:[1,1,0] neg_lo:[0,0,1] neg_hi:[0,0,1]
	v_pk_fma_f32 v[4:5], v[4:5], v[0:1], v[8:9] op_sel:[0,0,1] op_sel_hi:[1,0,0]
	s_delay_alu instid0(VALU_DEP_1) | instskip(SKIP_1) | instid1(VALU_DEP_1)
	v_mov_b32_e32 v11, v5
	v_pk_mul_f32 v[4:5], v[6:7], v[2:3] op_sel:[0,1]
	v_pk_fma_f32 v[8:9], v[6:7], v[0:1], v[4:5] op_sel:[0,0,1] op_sel_hi:[1,1,0] neg_lo:[0,0,1] neg_hi:[0,0,1]
	v_pk_fma_f32 v[4:5], v[6:7], v[0:1], v[4:5] op_sel:[0,0,1] op_sel_hi:[1,0,0]
	s_delay_alu instid0(VALU_DEP_1)
	v_mov_b32_e32 v9, v5
	ds_load_2addr_b64 v[4:7], v20 offset0:38 offset1:39
	v_pk_add_f32 v[174:175], v[174:175], v[10:11] neg_lo:[0,1] neg_hi:[0,1]
	v_pk_add_f32 v[166:167], v[166:167], v[8:9] neg_lo:[0,1] neg_hi:[0,1]
	s_wait_dscnt 0x0
	v_pk_mul_f32 v[8:9], v[4:5], v[2:3] op_sel:[0,1]
	s_delay_alu instid0(VALU_DEP_1) | instskip(SKIP_2) | instid1(VALU_DEP_2)
	v_pk_fma_f32 v[10:11], v[4:5], v[0:1], v[8:9] op_sel:[0,0,1] op_sel_hi:[1,1,0] neg_lo:[0,0,1] neg_hi:[0,0,1]
	v_pk_fma_f32 v[4:5], v[4:5], v[0:1], v[8:9] op_sel:[0,0,1] op_sel_hi:[1,0,0]
	v_dual_mul_f32 v8, v7, v3 :: v_dual_mov_b32 v4, v7
	v_dual_mov_b32 v11, v5 :: v_dual_mov_b32 v5, v6
	s_delay_alu instid0(VALU_DEP_2) | instskip(SKIP_1) | instid1(VALU_DEP_3)
	v_pk_fma_f32 v[8:9], v[6:7], v[144:145], v[8:9] op_sel_hi:[1,1,0] neg_lo:[0,0,1] neg_hi:[0,0,1]
	v_mul_f32_e32 v6, v7, v0
	v_pk_add_f32 v[172:173], v[172:173], v[10:11] neg_lo:[0,1] neg_hi:[0,1]
	s_delay_alu instid0(VALU_DEP_2) | instskip(NEXT) | instid1(VALU_DEP_1)
	v_pk_fma_f32 v[4:5], v[4:5], v[144:145], v[6:7] op_sel_hi:[1,1,0]
	v_mov_b32_e32 v9, v5
	ds_load_2addr_b64 v[4:7], v20 offset0:40 offset1:41
	v_pk_add_f32 v[164:165], v[164:165], v[8:9] neg_lo:[0,1] neg_hi:[0,1]
	s_wait_dscnt 0x0
	v_pk_mul_f32 v[8:9], v[4:5], v[2:3] op_sel:[0,1]
	s_delay_alu instid0(VALU_DEP_1) | instskip(SKIP_1) | instid1(VALU_DEP_1)
	v_pk_fma_f32 v[10:11], v[4:5], v[0:1], v[8:9] op_sel:[0,0,1] op_sel_hi:[1,1,0] neg_lo:[0,0,1] neg_hi:[0,0,1]
	v_pk_fma_f32 v[4:5], v[4:5], v[0:1], v[8:9] op_sel:[0,0,1] op_sel_hi:[1,0,0]
	v_mov_b32_e32 v11, v5
	v_pk_mul_f32 v[4:5], v[6:7], v[2:3] op_sel:[0,1]
	s_delay_alu instid0(VALU_DEP_1) | instskip(SKIP_1) | instid1(VALU_DEP_1)
	v_pk_fma_f32 v[8:9], v[6:7], v[0:1], v[4:5] op_sel:[0,0,1] op_sel_hi:[1,1,0] neg_lo:[0,0,1] neg_hi:[0,0,1]
	v_pk_fma_f32 v[4:5], v[6:7], v[0:1], v[4:5] op_sel:[0,0,1] op_sel_hi:[1,0,0]
	v_mov_b32_e32 v9, v5
	ds_load_2addr_b64 v[4:7], v20 offset0:42 offset1:43
	v_pk_add_f32 v[170:171], v[170:171], v[10:11] neg_lo:[0,1] neg_hi:[0,1]
	v_pk_add_f32 v[162:163], v[162:163], v[8:9] neg_lo:[0,1] neg_hi:[0,1]
	s_wait_dscnt 0x0
	v_pk_mul_f32 v[8:9], v[4:5], v[2:3] op_sel:[0,1]
	s_delay_alu instid0(VALU_DEP_1) | instskip(SKIP_1) | instid1(VALU_DEP_1)
	v_pk_fma_f32 v[10:11], v[4:5], v[0:1], v[8:9] op_sel:[0,0,1] op_sel_hi:[1,1,0] neg_lo:[0,0,1] neg_hi:[0,0,1]
	v_pk_fma_f32 v[4:5], v[4:5], v[0:1], v[8:9] op_sel:[0,0,1] op_sel_hi:[1,0,0]
	v_mov_b32_e32 v11, v5
	v_pk_mul_f32 v[4:5], v[6:7], v[2:3] op_sel:[0,1]
	s_delay_alu instid0(VALU_DEP_1) | instskip(SKIP_1) | instid1(VALU_DEP_1)
	v_pk_fma_f32 v[8:9], v[6:7], v[0:1], v[4:5] op_sel:[0,0,1] op_sel_hi:[1,1,0] neg_lo:[0,0,1] neg_hi:[0,0,1]
	v_pk_fma_f32 v[4:5], v[6:7], v[0:1], v[4:5] op_sel:[0,0,1] op_sel_hi:[1,0,0]
	v_mov_b32_e32 v9, v5
	ds_load_b64 v[4:5], v20 offset:352
	v_pk_add_f32 v[168:169], v[168:169], v[10:11] neg_lo:[0,1] neg_hi:[0,1]
	v_pk_add_f32 v[176:177], v[176:177], v[8:9] neg_lo:[0,1] neg_hi:[0,1]
	s_wait_dscnt 0x0
	v_pk_mul_f32 v[2:3], v[4:5], v[2:3] op_sel:[0,1]
	s_delay_alu instid0(VALU_DEP_1) | instskip(SKIP_1) | instid1(VALU_DEP_1)
	v_pk_fma_f32 v[6:7], v[4:5], v[0:1], v[2:3] op_sel:[0,0,1] op_sel_hi:[1,1,0] neg_lo:[0,0,1] neg_hi:[0,0,1]
	v_pk_fma_f32 v[0:1], v[4:5], v[0:1], v[2:3] op_sel:[0,0,1] op_sel_hi:[1,0,0]
	v_mov_b32_e32 v7, v1
	s_delay_alu instid0(VALU_DEP_1)
	v_pk_add_f32 v[180:181], v[180:181], v[6:7] neg_lo:[0,1] neg_hi:[0,1]
.LBB89_325:
	s_or_b32 exec_lo, exec_lo, s1
	s_delay_alu instid0(SALU_CYCLE_1)
	s_mov_b32 s2, exec_lo
	s_wait_dscnt 0x0
	s_barrier_signal -1
	s_barrier_wait -1
	v_cmpx_eq_u32_e32 36, v38
	s_cbranch_execz .LBB89_332
; %bb.326:
	ds_store_b64 v39, v[174:175]
	ds_store_2addr_b64 v20, v[166:167], v[172:173] offset0:37 offset1:38
	ds_store_2addr_b64 v20, v[164:165], v[170:171] offset0:39 offset1:40
	;; [unrolled: 1-line block ×4, first 2 shown]
	ds_load_b64 v[0:1], v39
	s_wait_dscnt 0x0
	v_cmp_neq_f32_e32 vcc_lo, 0, v0
	v_cmp_neq_f32_e64 s1, 0, v1
	s_or_b32 s1, vcc_lo, s1
	s_delay_alu instid0(SALU_CYCLE_1)
	s_and_b32 exec_lo, exec_lo, s1
	s_cbranch_execz .LBB89_332
; %bb.327:
	v_cmp_ngt_f32_e64 s1, |v0|, |v1|
                                        ; implicit-def: $vgpr2_vgpr3
	s_and_saveexec_b32 s4, s1
	s_delay_alu instid0(SALU_CYCLE_1)
	s_xor_b32 s1, exec_lo, s4
	s_cbranch_execz .LBB89_329
; %bb.328:
	v_div_scale_f32 v2, null, v1, v1, v0
	v_div_scale_f32 v5, vcc_lo, v0, v1, v0
	s_delay_alu instid0(VALU_DEP_2) | instskip(SKIP_1) | instid1(TRANS32_DEP_1)
	v_rcp_f32_e32 v3, v2
	v_nop
	v_fma_f32 v4, -v2, v3, 1.0
	s_delay_alu instid0(VALU_DEP_1) | instskip(NEXT) | instid1(VALU_DEP_1)
	v_fmac_f32_e32 v3, v4, v3
	v_mul_f32_e32 v4, v5, v3
	s_delay_alu instid0(VALU_DEP_1) | instskip(NEXT) | instid1(VALU_DEP_1)
	v_fma_f32 v6, -v2, v4, v5
	v_fmac_f32_e32 v4, v6, v3
	s_delay_alu instid0(VALU_DEP_1) | instskip(NEXT) | instid1(VALU_DEP_1)
	v_fma_f32 v2, -v2, v4, v5
	v_div_fmas_f32 v2, v2, v3, v4
	s_delay_alu instid0(VALU_DEP_1) | instskip(NEXT) | instid1(VALU_DEP_1)
	v_div_fixup_f32 v2, v2, v1, v0
	v_fmac_f32_e32 v1, v0, v2
	s_delay_alu instid0(VALU_DEP_1) | instskip(SKIP_1) | instid1(VALU_DEP_2)
	v_div_scale_f32 v0, null, v1, v1, 1.0
	v_div_scale_f32 v5, vcc_lo, 1.0, v1, 1.0
	v_rcp_f32_e32 v3, v0
	v_nop
	s_delay_alu instid0(TRANS32_DEP_1) | instskip(NEXT) | instid1(VALU_DEP_1)
	v_fma_f32 v4, -v0, v3, 1.0
	v_fmac_f32_e32 v3, v4, v3
	s_delay_alu instid0(VALU_DEP_1) | instskip(NEXT) | instid1(VALU_DEP_1)
	v_mul_f32_e32 v4, v5, v3
	v_fma_f32 v6, -v0, v4, v5
	s_delay_alu instid0(VALU_DEP_1) | instskip(NEXT) | instid1(VALU_DEP_1)
	v_fmac_f32_e32 v4, v6, v3
	v_fma_f32 v0, -v0, v4, v5
	s_delay_alu instid0(VALU_DEP_1) | instskip(NEXT) | instid1(VALU_DEP_1)
	v_div_fmas_f32 v0, v0, v3, v4
	v_div_fixup_f32 v0, v0, v1, 1.0
	s_delay_alu instid0(VALU_DEP_1)
	v_mul_f32_e32 v2, v2, v0
	v_xor_b32_e32 v3, 0x80000000, v0
                                        ; implicit-def: $vgpr0_vgpr1
.LBB89_329:
	s_and_not1_saveexec_b32 s1, s1
	s_cbranch_execz .LBB89_331
; %bb.330:
	v_div_scale_f32 v2, null, v0, v0, v1
	v_div_scale_f32 v5, vcc_lo, v1, v0, v1
	s_delay_alu instid0(VALU_DEP_2) | instskip(SKIP_1) | instid1(TRANS32_DEP_1)
	v_rcp_f32_e32 v3, v2
	v_nop
	v_fma_f32 v4, -v2, v3, 1.0
	s_delay_alu instid0(VALU_DEP_1) | instskip(NEXT) | instid1(VALU_DEP_1)
	v_fmac_f32_e32 v3, v4, v3
	v_mul_f32_e32 v4, v5, v3
	s_delay_alu instid0(VALU_DEP_1) | instskip(NEXT) | instid1(VALU_DEP_1)
	v_fma_f32 v6, -v2, v4, v5
	v_fmac_f32_e32 v4, v6, v3
	s_delay_alu instid0(VALU_DEP_1) | instskip(NEXT) | instid1(VALU_DEP_1)
	v_fma_f32 v2, -v2, v4, v5
	v_div_fmas_f32 v2, v2, v3, v4
	s_delay_alu instid0(VALU_DEP_1) | instskip(NEXT) | instid1(VALU_DEP_1)
	v_div_fixup_f32 v3, v2, v0, v1
	v_fmac_f32_e32 v0, v1, v3
	s_delay_alu instid0(VALU_DEP_1) | instskip(NEXT) | instid1(VALU_DEP_1)
	v_div_scale_f32 v1, null, v0, v0, 1.0
	v_rcp_f32_e32 v2, v1
	v_nop
	s_delay_alu instid0(TRANS32_DEP_1) | instskip(NEXT) | instid1(VALU_DEP_1)
	v_fma_f32 v4, -v1, v2, 1.0
	v_fmac_f32_e32 v2, v4, v2
	v_div_scale_f32 v4, vcc_lo, 1.0, v0, 1.0
	s_delay_alu instid0(VALU_DEP_1) | instskip(NEXT) | instid1(VALU_DEP_1)
	v_mul_f32_e32 v5, v4, v2
	v_fma_f32 v6, -v1, v5, v4
	s_delay_alu instid0(VALU_DEP_1) | instskip(NEXT) | instid1(VALU_DEP_1)
	v_fmac_f32_e32 v5, v6, v2
	v_fma_f32 v1, -v1, v5, v4
	s_delay_alu instid0(VALU_DEP_1) | instskip(NEXT) | instid1(VALU_DEP_1)
	v_div_fmas_f32 v1, v1, v2, v5
	v_div_fixup_f32 v2, v1, v0, 1.0
	s_delay_alu instid0(VALU_DEP_1)
	v_mul_f32_e64 v3, v3, -v2
.LBB89_331:
	s_or_b32 exec_lo, exec_lo, s1
	ds_store_b64 v39, v[2:3]
.LBB89_332:
	s_or_b32 exec_lo, exec_lo, s2
	s_wait_dscnt 0x0
	s_barrier_signal -1
	s_barrier_wait -1
	ds_load_b64 v[254:255], v39
	s_mov_b32 s1, exec_lo
	v_cmpx_lt_u32_e32 36, v38
	s_cbranch_execz .LBB89_334
; %bb.333:
	ds_load_2addr_b64 v[4:7], v20 offset0:37 offset1:38
	s_wait_dscnt 0x1
	v_pk_mul_f32 v[2:3], v[254:255], v[174:175] op_sel:[1,1] op_sel_hi:[0,1]
	s_delay_alu instid0(VALU_DEP_1) | instskip(SKIP_1) | instid1(VALU_DEP_1)
	v_pk_fma_f32 v[0:1], v[254:255], v[174:175], v[2:3] op_sel_hi:[1,0,1] neg_lo:[0,0,1] neg_hi:[0,0,1]
	v_pk_fma_f32 v[2:3], v[254:255], v[174:175], v[2:3] op_sel_hi:[1,0,1]
	v_dual_mov_b32 v174, v0 :: v_dual_mov_b32 v175, v3
	s_wait_dscnt 0x0
	s_delay_alu instid0(VALU_DEP_2) | instskip(NEXT) | instid1(VALU_DEP_1)
	v_pk_mul_f32 v[8:9], v[4:5], v[2:3] op_sel:[0,1]
	v_pk_fma_f32 v[10:11], v[4:5], v[0:1], v[8:9] op_sel:[0,0,1] op_sel_hi:[1,1,0] neg_lo:[0,0,1] neg_hi:[0,0,1]
	v_pk_fma_f32 v[4:5], v[4:5], v[0:1], v[8:9] op_sel:[0,0,1] op_sel_hi:[1,0,0]
	s_delay_alu instid0(VALU_DEP_1) | instskip(SKIP_1) | instid1(VALU_DEP_1)
	v_mov_b32_e32 v11, v5
	v_pk_mul_f32 v[4:5], v[6:7], v[2:3] op_sel:[0,1]
	v_pk_fma_f32 v[8:9], v[6:7], v[0:1], v[4:5] op_sel:[0,0,1] op_sel_hi:[1,1,0] neg_lo:[0,0,1] neg_hi:[0,0,1]
	v_pk_fma_f32 v[4:5], v[6:7], v[0:1], v[4:5] op_sel:[0,0,1] op_sel_hi:[1,0,0]
	s_delay_alu instid0(VALU_DEP_1)
	v_mov_b32_e32 v9, v5
	ds_load_2addr_b64 v[4:7], v20 offset0:39 offset1:40
	v_pk_add_f32 v[166:167], v[166:167], v[10:11] neg_lo:[0,1] neg_hi:[0,1]
	v_pk_add_f32 v[172:173], v[172:173], v[8:9] neg_lo:[0,1] neg_hi:[0,1]
	s_wait_dscnt 0x0
	v_pk_mul_f32 v[8:9], v[4:5], v[2:3] op_sel:[0,1]
	s_delay_alu instid0(VALU_DEP_1) | instskip(SKIP_2) | instid1(VALU_DEP_2)
	v_pk_fma_f32 v[10:11], v[4:5], v[0:1], v[8:9] op_sel:[0,0,1] op_sel_hi:[1,1,0] neg_lo:[0,0,1] neg_hi:[0,0,1]
	v_pk_fma_f32 v[4:5], v[4:5], v[0:1], v[8:9] op_sel:[0,0,1] op_sel_hi:[1,0,0]
	v_dual_mul_f32 v8, v7, v3 :: v_dual_mov_b32 v4, v7
	v_dual_mov_b32 v11, v5 :: v_dual_mov_b32 v5, v6
	s_delay_alu instid0(VALU_DEP_2) | instskip(SKIP_1) | instid1(VALU_DEP_3)
	v_pk_fma_f32 v[8:9], v[6:7], v[174:175], v[8:9] op_sel_hi:[1,1,0] neg_lo:[0,0,1] neg_hi:[0,0,1]
	v_mul_f32_e32 v6, v7, v0
	v_pk_add_f32 v[164:165], v[164:165], v[10:11] neg_lo:[0,1] neg_hi:[0,1]
	s_delay_alu instid0(VALU_DEP_2) | instskip(NEXT) | instid1(VALU_DEP_1)
	v_pk_fma_f32 v[4:5], v[4:5], v[174:175], v[6:7] op_sel_hi:[1,1,0]
	v_mov_b32_e32 v9, v5
	ds_load_2addr_b64 v[4:7], v20 offset0:41 offset1:42
	v_pk_add_f32 v[170:171], v[170:171], v[8:9] neg_lo:[0,1] neg_hi:[0,1]
	s_wait_dscnt 0x0
	v_pk_mul_f32 v[8:9], v[4:5], v[2:3] op_sel:[0,1]
	s_delay_alu instid0(VALU_DEP_1) | instskip(SKIP_1) | instid1(VALU_DEP_1)
	v_pk_fma_f32 v[10:11], v[4:5], v[0:1], v[8:9] op_sel:[0,0,1] op_sel_hi:[1,1,0] neg_lo:[0,0,1] neg_hi:[0,0,1]
	v_pk_fma_f32 v[4:5], v[4:5], v[0:1], v[8:9] op_sel:[0,0,1] op_sel_hi:[1,0,0]
	v_mov_b32_e32 v11, v5
	v_pk_mul_f32 v[4:5], v[6:7], v[2:3] op_sel:[0,1]
	s_delay_alu instid0(VALU_DEP_1) | instskip(SKIP_1) | instid1(VALU_DEP_1)
	v_pk_fma_f32 v[8:9], v[6:7], v[0:1], v[4:5] op_sel:[0,0,1] op_sel_hi:[1,1,0] neg_lo:[0,0,1] neg_hi:[0,0,1]
	v_pk_fma_f32 v[4:5], v[6:7], v[0:1], v[4:5] op_sel:[0,0,1] op_sel_hi:[1,0,0]
	v_mov_b32_e32 v9, v5
	ds_load_2addr_b64 v[4:7], v20 offset0:43 offset1:44
	v_pk_add_f32 v[162:163], v[162:163], v[10:11] neg_lo:[0,1] neg_hi:[0,1]
	v_pk_add_f32 v[168:169], v[168:169], v[8:9] neg_lo:[0,1] neg_hi:[0,1]
	s_wait_dscnt 0x0
	v_pk_mul_f32 v[8:9], v[4:5], v[2:3] op_sel:[0,1]
	v_pk_mul_f32 v[2:3], v[6:7], v[2:3] op_sel:[0,1]
	s_delay_alu instid0(VALU_DEP_2) | instskip(SKIP_1) | instid1(VALU_DEP_1)
	v_pk_fma_f32 v[10:11], v[4:5], v[0:1], v[8:9] op_sel:[0,0,1] op_sel_hi:[1,1,0] neg_lo:[0,0,1] neg_hi:[0,0,1]
	v_pk_fma_f32 v[4:5], v[4:5], v[0:1], v[8:9] op_sel:[0,0,1] op_sel_hi:[1,0,0]
	v_mov_b32_e32 v11, v5
	s_delay_alu instid0(VALU_DEP_4) | instskip(SKIP_1) | instid1(VALU_DEP_1)
	v_pk_fma_f32 v[4:5], v[6:7], v[0:1], v[2:3] op_sel:[0,0,1] op_sel_hi:[1,1,0] neg_lo:[0,0,1] neg_hi:[0,0,1]
	v_pk_fma_f32 v[0:1], v[6:7], v[0:1], v[2:3] op_sel:[0,0,1] op_sel_hi:[1,0,0]
	v_mov_b32_e32 v5, v1
	s_delay_alu instid0(VALU_DEP_4) | instskip(NEXT) | instid1(VALU_DEP_2)
	v_pk_add_f32 v[176:177], v[176:177], v[10:11] neg_lo:[0,1] neg_hi:[0,1]
	v_pk_add_f32 v[180:181], v[180:181], v[4:5] neg_lo:[0,1] neg_hi:[0,1]
.LBB89_334:
	s_or_b32 exec_lo, exec_lo, s1
	s_delay_alu instid0(SALU_CYCLE_1)
	s_mov_b32 s2, exec_lo
	s_wait_dscnt 0x0
	s_barrier_signal -1
	s_barrier_wait -1
	v_cmpx_eq_u32_e32 37, v38
	s_cbranch_execz .LBB89_341
; %bb.335:
	v_dual_mov_b32 v0, v172 :: v_dual_mov_b32 v1, v173
	v_dual_mov_b32 v2, v164 :: v_dual_mov_b32 v3, v165
	ds_store_b64 v39, v[166:167]
	ds_store_2addr_b64 v20, v[0:1], v[2:3] offset0:38 offset1:39
	v_dual_mov_b32 v0, v170 :: v_dual_mov_b32 v1, v171
	v_dual_mov_b32 v2, v162 :: v_dual_mov_b32 v3, v163
	ds_store_2addr_b64 v20, v[0:1], v[2:3] offset0:40 offset1:41
	v_dual_mov_b32 v0, v168 :: v_dual_mov_b32 v1, v169
	v_dual_mov_b32 v2, v176 :: v_dual_mov_b32 v3, v177
	ds_store_2addr_b64 v20, v[0:1], v[2:3] offset0:42 offset1:43
	ds_store_b64 v20, v[180:181] offset:352
	ds_load_b64 v[0:1], v39
	s_wait_dscnt 0x0
	v_cmp_neq_f32_e32 vcc_lo, 0, v0
	v_cmp_neq_f32_e64 s1, 0, v1
	s_or_b32 s1, vcc_lo, s1
	s_delay_alu instid0(SALU_CYCLE_1)
	s_and_b32 exec_lo, exec_lo, s1
	s_cbranch_execz .LBB89_341
; %bb.336:
	v_cmp_ngt_f32_e64 s1, |v0|, |v1|
                                        ; implicit-def: $vgpr2_vgpr3
	s_and_saveexec_b32 s4, s1
	s_delay_alu instid0(SALU_CYCLE_1)
	s_xor_b32 s1, exec_lo, s4
	s_cbranch_execz .LBB89_338
; %bb.337:
	v_div_scale_f32 v2, null, v1, v1, v0
	v_div_scale_f32 v5, vcc_lo, v0, v1, v0
	s_delay_alu instid0(VALU_DEP_2) | instskip(SKIP_1) | instid1(TRANS32_DEP_1)
	v_rcp_f32_e32 v3, v2
	v_nop
	v_fma_f32 v4, -v2, v3, 1.0
	s_delay_alu instid0(VALU_DEP_1) | instskip(NEXT) | instid1(VALU_DEP_1)
	v_fmac_f32_e32 v3, v4, v3
	v_mul_f32_e32 v4, v5, v3
	s_delay_alu instid0(VALU_DEP_1) | instskip(NEXT) | instid1(VALU_DEP_1)
	v_fma_f32 v6, -v2, v4, v5
	v_fmac_f32_e32 v4, v6, v3
	s_delay_alu instid0(VALU_DEP_1) | instskip(NEXT) | instid1(VALU_DEP_1)
	v_fma_f32 v2, -v2, v4, v5
	v_div_fmas_f32 v2, v2, v3, v4
	s_delay_alu instid0(VALU_DEP_1) | instskip(NEXT) | instid1(VALU_DEP_1)
	v_div_fixup_f32 v2, v2, v1, v0
	v_fmac_f32_e32 v1, v0, v2
	s_delay_alu instid0(VALU_DEP_1) | instskip(SKIP_1) | instid1(VALU_DEP_2)
	v_div_scale_f32 v0, null, v1, v1, 1.0
	v_div_scale_f32 v5, vcc_lo, 1.0, v1, 1.0
	v_rcp_f32_e32 v3, v0
	v_nop
	s_delay_alu instid0(TRANS32_DEP_1) | instskip(NEXT) | instid1(VALU_DEP_1)
	v_fma_f32 v4, -v0, v3, 1.0
	v_fmac_f32_e32 v3, v4, v3
	s_delay_alu instid0(VALU_DEP_1) | instskip(NEXT) | instid1(VALU_DEP_1)
	v_mul_f32_e32 v4, v5, v3
	v_fma_f32 v6, -v0, v4, v5
	s_delay_alu instid0(VALU_DEP_1) | instskip(NEXT) | instid1(VALU_DEP_1)
	v_fmac_f32_e32 v4, v6, v3
	v_fma_f32 v0, -v0, v4, v5
	s_delay_alu instid0(VALU_DEP_1) | instskip(NEXT) | instid1(VALU_DEP_1)
	v_div_fmas_f32 v0, v0, v3, v4
	v_div_fixup_f32 v0, v0, v1, 1.0
	s_delay_alu instid0(VALU_DEP_1)
	v_mul_f32_e32 v2, v2, v0
	v_xor_b32_e32 v3, 0x80000000, v0
                                        ; implicit-def: $vgpr0_vgpr1
.LBB89_338:
	s_and_not1_saveexec_b32 s1, s1
	s_cbranch_execz .LBB89_340
; %bb.339:
	v_div_scale_f32 v2, null, v0, v0, v1
	v_div_scale_f32 v5, vcc_lo, v1, v0, v1
	s_delay_alu instid0(VALU_DEP_2) | instskip(SKIP_1) | instid1(TRANS32_DEP_1)
	v_rcp_f32_e32 v3, v2
	v_nop
	v_fma_f32 v4, -v2, v3, 1.0
	s_delay_alu instid0(VALU_DEP_1) | instskip(NEXT) | instid1(VALU_DEP_1)
	v_fmac_f32_e32 v3, v4, v3
	v_mul_f32_e32 v4, v5, v3
	s_delay_alu instid0(VALU_DEP_1) | instskip(NEXT) | instid1(VALU_DEP_1)
	v_fma_f32 v6, -v2, v4, v5
	v_fmac_f32_e32 v4, v6, v3
	s_delay_alu instid0(VALU_DEP_1) | instskip(NEXT) | instid1(VALU_DEP_1)
	v_fma_f32 v2, -v2, v4, v5
	v_div_fmas_f32 v2, v2, v3, v4
	s_delay_alu instid0(VALU_DEP_1) | instskip(NEXT) | instid1(VALU_DEP_1)
	v_div_fixup_f32 v3, v2, v0, v1
	v_fmac_f32_e32 v0, v1, v3
	s_delay_alu instid0(VALU_DEP_1) | instskip(NEXT) | instid1(VALU_DEP_1)
	v_div_scale_f32 v1, null, v0, v0, 1.0
	v_rcp_f32_e32 v2, v1
	v_nop
	s_delay_alu instid0(TRANS32_DEP_1) | instskip(NEXT) | instid1(VALU_DEP_1)
	v_fma_f32 v4, -v1, v2, 1.0
	v_fmac_f32_e32 v2, v4, v2
	v_div_scale_f32 v4, vcc_lo, 1.0, v0, 1.0
	s_delay_alu instid0(VALU_DEP_1) | instskip(NEXT) | instid1(VALU_DEP_1)
	v_mul_f32_e32 v5, v4, v2
	v_fma_f32 v6, -v1, v5, v4
	s_delay_alu instid0(VALU_DEP_1) | instskip(NEXT) | instid1(VALU_DEP_1)
	v_fmac_f32_e32 v5, v6, v2
	v_fma_f32 v1, -v1, v5, v4
	s_delay_alu instid0(VALU_DEP_1) | instskip(NEXT) | instid1(VALU_DEP_1)
	v_div_fmas_f32 v1, v1, v2, v5
	v_div_fixup_f32 v2, v1, v0, 1.0
	s_delay_alu instid0(VALU_DEP_1)
	v_mul_f32_e64 v3, v3, -v2
.LBB89_340:
	s_or_b32 exec_lo, exec_lo, s1
	ds_store_b64 v39, v[2:3]
.LBB89_341:
	s_or_b32 exec_lo, exec_lo, s2
	s_wait_dscnt 0x0
	s_barrier_signal -1
	s_barrier_wait -1
	ds_load_b64 v[0:1], v39
	s_mov_b32 s1, exec_lo
	v_cmpx_lt_u32_e32 37, v38
	s_cbranch_execz .LBB89_343
; %bb.342:
	s_wait_dscnt 0x0
	v_pk_mul_f32 v[4:5], v[0:1], v[166:167] op_sel:[1,1] op_sel_hi:[0,1]
	s_delay_alu instid0(VALU_DEP_1)
	v_pk_fma_f32 v[2:3], v[0:1], v[166:167], v[4:5] op_sel_hi:[1,0,1] neg_lo:[0,0,1] neg_hi:[0,0,1]
	v_pk_fma_f32 v[8:9], v[0:1], v[166:167], v[4:5] op_sel_hi:[1,0,1]
	ds_load_2addr_b64 v[4:7], v20 offset0:38 offset1:39
	v_dual_mov_b32 v166, v2 :: v_dual_mov_b32 v167, v9
	s_wait_dscnt 0x0
	v_pk_mul_f32 v[10:11], v[4:5], v[8:9] op_sel:[0,1]
	s_delay_alu instid0(VALU_DEP_1) | instskip(SKIP_1) | instid1(VALU_DEP_1)
	v_pk_fma_f32 v[12:13], v[4:5], v[2:3], v[10:11] op_sel:[0,0,1] op_sel_hi:[1,1,0] neg_lo:[0,0,1] neg_hi:[0,0,1]
	v_pk_fma_f32 v[4:5], v[4:5], v[2:3], v[10:11] op_sel:[0,0,1] op_sel_hi:[1,0,0]
	v_mov_b32_e32 v13, v5
	v_pk_mul_f32 v[4:5], v[6:7], v[8:9] op_sel:[0,1]
	s_delay_alu instid0(VALU_DEP_1) | instskip(SKIP_1) | instid1(VALU_DEP_1)
	v_pk_fma_f32 v[10:11], v[6:7], v[2:3], v[4:5] op_sel:[0,0,1] op_sel_hi:[1,1,0] neg_lo:[0,0,1] neg_hi:[0,0,1]
	v_pk_fma_f32 v[4:5], v[6:7], v[2:3], v[4:5] op_sel:[0,0,1] op_sel_hi:[1,0,0]
	v_mov_b32_e32 v11, v5
	ds_load_2addr_b64 v[4:7], v20 offset0:40 offset1:41
	v_pk_add_f32 v[172:173], v[172:173], v[12:13] neg_lo:[0,1] neg_hi:[0,1]
	v_pk_add_f32 v[164:165], v[164:165], v[10:11] neg_lo:[0,1] neg_hi:[0,1]
	s_wait_dscnt 0x0
	v_pk_mul_f32 v[10:11], v[4:5], v[8:9] op_sel:[0,1]
	s_delay_alu instid0(VALU_DEP_1) | instskip(SKIP_2) | instid1(VALU_DEP_2)
	v_pk_fma_f32 v[12:13], v[4:5], v[2:3], v[10:11] op_sel:[0,0,1] op_sel_hi:[1,1,0] neg_lo:[0,0,1] neg_hi:[0,0,1]
	v_pk_fma_f32 v[4:5], v[4:5], v[2:3], v[10:11] op_sel:[0,0,1] op_sel_hi:[1,0,0]
	v_dual_mul_f32 v10, v7, v9 :: v_dual_mov_b32 v4, v7
	v_dual_mov_b32 v13, v5 :: v_dual_mov_b32 v5, v6
	s_delay_alu instid0(VALU_DEP_2) | instskip(SKIP_1) | instid1(VALU_DEP_3)
	v_pk_fma_f32 v[10:11], v[6:7], v[166:167], v[10:11] op_sel_hi:[1,1,0] neg_lo:[0,0,1] neg_hi:[0,0,1]
	v_mul_f32_e32 v6, v7, v2
	v_pk_add_f32 v[170:171], v[170:171], v[12:13] neg_lo:[0,1] neg_hi:[0,1]
	s_delay_alu instid0(VALU_DEP_2) | instskip(NEXT) | instid1(VALU_DEP_1)
	v_pk_fma_f32 v[4:5], v[4:5], v[166:167], v[6:7] op_sel_hi:[1,1,0]
	v_mov_b32_e32 v11, v5
	ds_load_2addr_b64 v[4:7], v20 offset0:42 offset1:43
	v_pk_add_f32 v[162:163], v[162:163], v[10:11] neg_lo:[0,1] neg_hi:[0,1]
	s_wait_dscnt 0x0
	v_pk_mul_f32 v[10:11], v[4:5], v[8:9] op_sel:[0,1]
	s_delay_alu instid0(VALU_DEP_1) | instskip(SKIP_1) | instid1(VALU_DEP_1)
	v_pk_fma_f32 v[12:13], v[4:5], v[2:3], v[10:11] op_sel:[0,0,1] op_sel_hi:[1,1,0] neg_lo:[0,0,1] neg_hi:[0,0,1]
	v_pk_fma_f32 v[4:5], v[4:5], v[2:3], v[10:11] op_sel:[0,0,1] op_sel_hi:[1,0,0]
	v_mov_b32_e32 v13, v5
	v_pk_mul_f32 v[4:5], v[6:7], v[8:9] op_sel:[0,1]
	s_delay_alu instid0(VALU_DEP_1) | instskip(SKIP_1) | instid1(VALU_DEP_1)
	v_pk_fma_f32 v[10:11], v[6:7], v[2:3], v[4:5] op_sel:[0,0,1] op_sel_hi:[1,1,0] neg_lo:[0,0,1] neg_hi:[0,0,1]
	v_pk_fma_f32 v[4:5], v[6:7], v[2:3], v[4:5] op_sel:[0,0,1] op_sel_hi:[1,0,0]
	v_mov_b32_e32 v11, v5
	ds_load_b64 v[4:5], v20 offset:352
	v_pk_add_f32 v[168:169], v[168:169], v[12:13] neg_lo:[0,1] neg_hi:[0,1]
	v_pk_add_f32 v[176:177], v[176:177], v[10:11] neg_lo:[0,1] neg_hi:[0,1]
	s_wait_dscnt 0x0
	v_pk_mul_f32 v[6:7], v[4:5], v[8:9] op_sel:[0,1]
	s_delay_alu instid0(VALU_DEP_1) | instskip(SKIP_1) | instid1(VALU_DEP_1)
	v_pk_fma_f32 v[8:9], v[4:5], v[2:3], v[6:7] op_sel:[0,0,1] op_sel_hi:[1,1,0] neg_lo:[0,0,1] neg_hi:[0,0,1]
	v_pk_fma_f32 v[2:3], v[4:5], v[2:3], v[6:7] op_sel:[0,0,1] op_sel_hi:[1,0,0]
	v_mov_b32_e32 v9, v3
	s_delay_alu instid0(VALU_DEP_1)
	v_pk_add_f32 v[180:181], v[180:181], v[8:9] neg_lo:[0,1] neg_hi:[0,1]
.LBB89_343:
	s_or_b32 exec_lo, exec_lo, s1
	s_delay_alu instid0(SALU_CYCLE_1)
	s_mov_b32 s2, exec_lo
	s_wait_dscnt 0x0
	s_barrier_signal -1
	s_barrier_wait -1
	v_cmpx_eq_u32_e32 38, v38
	s_cbranch_execz .LBB89_350
; %bb.344:
	ds_store_b64 v39, v[172:173]
	ds_store_2addr_b64 v20, v[164:165], v[170:171] offset0:39 offset1:40
	ds_store_2addr_b64 v20, v[162:163], v[168:169] offset0:41 offset1:42
	;; [unrolled: 1-line block ×3, first 2 shown]
	ds_load_b64 v[2:3], v39
	s_wait_dscnt 0x0
	v_cmp_neq_f32_e32 vcc_lo, 0, v2
	v_cmp_neq_f32_e64 s1, 0, v3
	s_or_b32 s1, vcc_lo, s1
	s_delay_alu instid0(SALU_CYCLE_1)
	s_and_b32 exec_lo, exec_lo, s1
	s_cbranch_execz .LBB89_350
; %bb.345:
	v_cmp_ngt_f32_e64 s1, |v2|, |v3|
                                        ; implicit-def: $vgpr4_vgpr5
	s_and_saveexec_b32 s4, s1
	s_delay_alu instid0(SALU_CYCLE_1)
	s_xor_b32 s1, exec_lo, s4
	s_cbranch_execz .LBB89_347
; %bb.346:
	v_div_scale_f32 v4, null, v3, v3, v2
	v_div_scale_f32 v7, vcc_lo, v2, v3, v2
	s_delay_alu instid0(VALU_DEP_2) | instskip(SKIP_1) | instid1(TRANS32_DEP_1)
	v_rcp_f32_e32 v5, v4
	v_nop
	v_fma_f32 v6, -v4, v5, 1.0
	s_delay_alu instid0(VALU_DEP_1) | instskip(NEXT) | instid1(VALU_DEP_1)
	v_fmac_f32_e32 v5, v6, v5
	v_mul_f32_e32 v6, v7, v5
	s_delay_alu instid0(VALU_DEP_1) | instskip(NEXT) | instid1(VALU_DEP_1)
	v_fma_f32 v8, -v4, v6, v7
	v_fmac_f32_e32 v6, v8, v5
	s_delay_alu instid0(VALU_DEP_1) | instskip(NEXT) | instid1(VALU_DEP_1)
	v_fma_f32 v4, -v4, v6, v7
	v_div_fmas_f32 v4, v4, v5, v6
	s_delay_alu instid0(VALU_DEP_1) | instskip(NEXT) | instid1(VALU_DEP_1)
	v_div_fixup_f32 v4, v4, v3, v2
	v_fmac_f32_e32 v3, v2, v4
	s_delay_alu instid0(VALU_DEP_1) | instskip(SKIP_1) | instid1(VALU_DEP_2)
	v_div_scale_f32 v2, null, v3, v3, 1.0
	v_div_scale_f32 v7, vcc_lo, 1.0, v3, 1.0
	v_rcp_f32_e32 v5, v2
	v_nop
	s_delay_alu instid0(TRANS32_DEP_1) | instskip(NEXT) | instid1(VALU_DEP_1)
	v_fma_f32 v6, -v2, v5, 1.0
	v_fmac_f32_e32 v5, v6, v5
	s_delay_alu instid0(VALU_DEP_1) | instskip(NEXT) | instid1(VALU_DEP_1)
	v_mul_f32_e32 v6, v7, v5
	v_fma_f32 v8, -v2, v6, v7
	s_delay_alu instid0(VALU_DEP_1) | instskip(NEXT) | instid1(VALU_DEP_1)
	v_fmac_f32_e32 v6, v8, v5
	v_fma_f32 v2, -v2, v6, v7
	s_delay_alu instid0(VALU_DEP_1) | instskip(NEXT) | instid1(VALU_DEP_1)
	v_div_fmas_f32 v2, v2, v5, v6
	v_div_fixup_f32 v2, v2, v3, 1.0
	s_delay_alu instid0(VALU_DEP_1)
	v_mul_f32_e32 v4, v4, v2
	v_xor_b32_e32 v5, 0x80000000, v2
                                        ; implicit-def: $vgpr2_vgpr3
.LBB89_347:
	s_and_not1_saveexec_b32 s1, s1
	s_cbranch_execz .LBB89_349
; %bb.348:
	v_div_scale_f32 v4, null, v2, v2, v3
	v_div_scale_f32 v7, vcc_lo, v3, v2, v3
	s_delay_alu instid0(VALU_DEP_2) | instskip(SKIP_1) | instid1(TRANS32_DEP_1)
	v_rcp_f32_e32 v5, v4
	v_nop
	v_fma_f32 v6, -v4, v5, 1.0
	s_delay_alu instid0(VALU_DEP_1) | instskip(NEXT) | instid1(VALU_DEP_1)
	v_fmac_f32_e32 v5, v6, v5
	v_mul_f32_e32 v6, v7, v5
	s_delay_alu instid0(VALU_DEP_1) | instskip(NEXT) | instid1(VALU_DEP_1)
	v_fma_f32 v8, -v4, v6, v7
	v_fmac_f32_e32 v6, v8, v5
	s_delay_alu instid0(VALU_DEP_1) | instskip(NEXT) | instid1(VALU_DEP_1)
	v_fma_f32 v4, -v4, v6, v7
	v_div_fmas_f32 v4, v4, v5, v6
	s_delay_alu instid0(VALU_DEP_1) | instskip(NEXT) | instid1(VALU_DEP_1)
	v_div_fixup_f32 v5, v4, v2, v3
	v_fmac_f32_e32 v2, v3, v5
	s_delay_alu instid0(VALU_DEP_1) | instskip(NEXT) | instid1(VALU_DEP_1)
	v_div_scale_f32 v3, null, v2, v2, 1.0
	v_rcp_f32_e32 v4, v3
	v_nop
	s_delay_alu instid0(TRANS32_DEP_1) | instskip(NEXT) | instid1(VALU_DEP_1)
	v_fma_f32 v6, -v3, v4, 1.0
	v_fmac_f32_e32 v4, v6, v4
	v_div_scale_f32 v6, vcc_lo, 1.0, v2, 1.0
	s_delay_alu instid0(VALU_DEP_1) | instskip(NEXT) | instid1(VALU_DEP_1)
	v_mul_f32_e32 v7, v6, v4
	v_fma_f32 v8, -v3, v7, v6
	s_delay_alu instid0(VALU_DEP_1) | instskip(NEXT) | instid1(VALU_DEP_1)
	v_fmac_f32_e32 v7, v8, v4
	v_fma_f32 v3, -v3, v7, v6
	s_delay_alu instid0(VALU_DEP_1) | instskip(NEXT) | instid1(VALU_DEP_1)
	v_div_fmas_f32 v3, v3, v4, v7
	v_div_fixup_f32 v4, v3, v2, 1.0
	s_delay_alu instid0(VALU_DEP_1)
	v_mul_f32_e64 v5, v5, -v4
.LBB89_349:
	s_or_b32 exec_lo, exec_lo, s1
	ds_store_b64 v39, v[4:5]
.LBB89_350:
	s_or_b32 exec_lo, exec_lo, s2
	s_wait_dscnt 0x0
	s_barrier_signal -1
	s_barrier_wait -1
	ds_load_b64 v[2:3], v39
	s_mov_b32 s1, exec_lo
	v_cmpx_lt_u32_e32 38, v38
	s_cbranch_execz .LBB89_352
; %bb.351:
	s_wait_dscnt 0x0
	v_pk_mul_f32 v[4:5], v[2:3], v[172:173] op_sel:[1,1] op_sel_hi:[0,1]
	s_delay_alu instid0(VALU_DEP_1)
	v_pk_fma_f32 v[8:9], v[2:3], v[172:173], v[4:5] op_sel_hi:[1,0,1] neg_lo:[0,0,1] neg_hi:[0,0,1]
	v_pk_fma_f32 v[10:11], v[2:3], v[172:173], v[4:5] op_sel_hi:[1,0,1]
	ds_load_2addr_b64 v[4:7], v20 offset0:39 offset1:40
	v_dual_mov_b32 v172, v8 :: v_dual_mov_b32 v173, v11
	s_wait_dscnt 0x0
	v_pk_mul_f32 v[12:13], v[4:5], v[10:11] op_sel:[0,1]
	s_delay_alu instid0(VALU_DEP_1) | instskip(SKIP_1) | instid1(VALU_DEP_1)
	v_pk_fma_f32 v[14:15], v[4:5], v[8:9], v[12:13] op_sel:[0,0,1] op_sel_hi:[1,1,0] neg_lo:[0,0,1] neg_hi:[0,0,1]
	v_pk_fma_f32 v[4:5], v[4:5], v[8:9], v[12:13] op_sel:[0,0,1] op_sel_hi:[1,0,0]
	v_mov_b32_e32 v15, v5
	v_pk_mul_f32 v[4:5], v[6:7], v[10:11] op_sel:[0,1]
	s_delay_alu instid0(VALU_DEP_1) | instskip(SKIP_1) | instid1(VALU_DEP_1)
	v_pk_fma_f32 v[12:13], v[6:7], v[8:9], v[4:5] op_sel:[0,0,1] op_sel_hi:[1,1,0] neg_lo:[0,0,1] neg_hi:[0,0,1]
	v_pk_fma_f32 v[4:5], v[6:7], v[8:9], v[4:5] op_sel:[0,0,1] op_sel_hi:[1,0,0]
	v_mov_b32_e32 v13, v5
	ds_load_2addr_b64 v[4:7], v20 offset0:41 offset1:42
	v_pk_add_f32 v[164:165], v[164:165], v[14:15] neg_lo:[0,1] neg_hi:[0,1]
	v_pk_add_f32 v[170:171], v[170:171], v[12:13] neg_lo:[0,1] neg_hi:[0,1]
	s_wait_dscnt 0x0
	v_pk_mul_f32 v[12:13], v[4:5], v[10:11] op_sel:[0,1]
	s_delay_alu instid0(VALU_DEP_1) | instskip(SKIP_2) | instid1(VALU_DEP_2)
	v_pk_fma_f32 v[14:15], v[4:5], v[8:9], v[12:13] op_sel:[0,0,1] op_sel_hi:[1,1,0] neg_lo:[0,0,1] neg_hi:[0,0,1]
	v_pk_fma_f32 v[4:5], v[4:5], v[8:9], v[12:13] op_sel:[0,0,1] op_sel_hi:[1,0,0]
	v_dual_mul_f32 v12, v7, v11 :: v_dual_mov_b32 v4, v7
	v_dual_mov_b32 v15, v5 :: v_dual_mov_b32 v5, v6
	s_delay_alu instid0(VALU_DEP_2) | instskip(SKIP_1) | instid1(VALU_DEP_3)
	v_pk_fma_f32 v[12:13], v[6:7], v[172:173], v[12:13] op_sel_hi:[1,1,0] neg_lo:[0,0,1] neg_hi:[0,0,1]
	v_mul_f32_e32 v6, v7, v8
	v_pk_add_f32 v[162:163], v[162:163], v[14:15] neg_lo:[0,1] neg_hi:[0,1]
	s_delay_alu instid0(VALU_DEP_2) | instskip(NEXT) | instid1(VALU_DEP_1)
	v_pk_fma_f32 v[4:5], v[4:5], v[172:173], v[6:7] op_sel_hi:[1,1,0]
	v_mov_b32_e32 v13, v5
	ds_load_2addr_b64 v[4:7], v20 offset0:43 offset1:44
	v_pk_add_f32 v[168:169], v[168:169], v[12:13] neg_lo:[0,1] neg_hi:[0,1]
	s_wait_dscnt 0x0
	v_pk_mul_f32 v[12:13], v[4:5], v[10:11] op_sel:[0,1]
	v_mul_f32_e32 v10, v7, v11
	s_delay_alu instid0(VALU_DEP_2) | instskip(SKIP_2) | instid1(VALU_DEP_4)
	v_pk_fma_f32 v[14:15], v[4:5], v[8:9], v[12:13] op_sel:[0,0,1] op_sel_hi:[1,1,0] neg_lo:[0,0,1] neg_hi:[0,0,1]
	v_pk_fma_f32 v[4:5], v[4:5], v[8:9], v[12:13] op_sel:[0,0,1] op_sel_hi:[1,0,0]
	v_mov_b32_e32 v4, v7
	v_pk_fma_f32 v[10:11], v[6:7], v[172:173], v[10:11] op_sel_hi:[1,1,0] neg_lo:[0,0,1] neg_hi:[0,0,1]
	s_delay_alu instid0(VALU_DEP_3) | instskip(SKIP_1) | instid1(VALU_DEP_2)
	v_dual_mov_b32 v15, v5 :: v_dual_mov_b32 v5, v6
	v_mul_f32_e32 v6, v7, v8
	v_pk_add_f32 v[176:177], v[176:177], v[14:15] neg_lo:[0,1] neg_hi:[0,1]
	s_delay_alu instid0(VALU_DEP_2) | instskip(NEXT) | instid1(VALU_DEP_1)
	v_pk_fma_f32 v[4:5], v[4:5], v[172:173], v[6:7] op_sel_hi:[1,1,0]
	v_mov_b32_e32 v11, v5
	s_delay_alu instid0(VALU_DEP_1)
	v_pk_add_f32 v[180:181], v[180:181], v[10:11] neg_lo:[0,1] neg_hi:[0,1]
.LBB89_352:
	s_or_b32 exec_lo, exec_lo, s1
	s_delay_alu instid0(SALU_CYCLE_1)
	s_mov_b32 s2, exec_lo
	s_wait_dscnt 0x0
	s_barrier_signal -1
	s_barrier_wait -1
	v_cmpx_eq_u32_e32 39, v38
	s_cbranch_execz .LBB89_359
; %bb.353:
	v_dual_mov_b32 v4, v170 :: v_dual_mov_b32 v5, v171
	v_dual_mov_b32 v6, v162 :: v_dual_mov_b32 v7, v163
	ds_store_b64 v39, v[164:165]
	ds_store_2addr_b64 v20, v[4:5], v[6:7] offset0:40 offset1:41
	v_dual_mov_b32 v4, v168 :: v_dual_mov_b32 v5, v169
	v_dual_mov_b32 v6, v176 :: v_dual_mov_b32 v7, v177
	ds_store_2addr_b64 v20, v[4:5], v[6:7] offset0:42 offset1:43
	ds_store_b64 v20, v[180:181] offset:352
	ds_load_b64 v[4:5], v39
	s_wait_dscnt 0x0
	v_cmp_neq_f32_e32 vcc_lo, 0, v4
	v_cmp_neq_f32_e64 s1, 0, v5
	s_or_b32 s1, vcc_lo, s1
	s_delay_alu instid0(SALU_CYCLE_1)
	s_and_b32 exec_lo, exec_lo, s1
	s_cbranch_execz .LBB89_359
; %bb.354:
	v_cmp_ngt_f32_e64 s1, |v4|, |v5|
                                        ; implicit-def: $vgpr6_vgpr7
	s_and_saveexec_b32 s4, s1
	s_delay_alu instid0(SALU_CYCLE_1)
	s_xor_b32 s1, exec_lo, s4
	s_cbranch_execz .LBB89_356
; %bb.355:
	v_div_scale_f32 v6, null, v5, v5, v4
	v_div_scale_f32 v9, vcc_lo, v4, v5, v4
	s_delay_alu instid0(VALU_DEP_2) | instskip(SKIP_1) | instid1(TRANS32_DEP_1)
	v_rcp_f32_e32 v7, v6
	v_nop
	v_fma_f32 v8, -v6, v7, 1.0
	s_delay_alu instid0(VALU_DEP_1) | instskip(NEXT) | instid1(VALU_DEP_1)
	v_fmac_f32_e32 v7, v8, v7
	v_mul_f32_e32 v8, v9, v7
	s_delay_alu instid0(VALU_DEP_1) | instskip(NEXT) | instid1(VALU_DEP_1)
	v_fma_f32 v10, -v6, v8, v9
	v_fmac_f32_e32 v8, v10, v7
	s_delay_alu instid0(VALU_DEP_1) | instskip(NEXT) | instid1(VALU_DEP_1)
	v_fma_f32 v6, -v6, v8, v9
	v_div_fmas_f32 v6, v6, v7, v8
	s_delay_alu instid0(VALU_DEP_1) | instskip(NEXT) | instid1(VALU_DEP_1)
	v_div_fixup_f32 v6, v6, v5, v4
	v_fmac_f32_e32 v5, v4, v6
	s_delay_alu instid0(VALU_DEP_1) | instskip(SKIP_1) | instid1(VALU_DEP_2)
	v_div_scale_f32 v4, null, v5, v5, 1.0
	v_div_scale_f32 v9, vcc_lo, 1.0, v5, 1.0
	v_rcp_f32_e32 v7, v4
	v_nop
	s_delay_alu instid0(TRANS32_DEP_1) | instskip(NEXT) | instid1(VALU_DEP_1)
	v_fma_f32 v8, -v4, v7, 1.0
	v_fmac_f32_e32 v7, v8, v7
	s_delay_alu instid0(VALU_DEP_1) | instskip(NEXT) | instid1(VALU_DEP_1)
	v_mul_f32_e32 v8, v9, v7
	v_fma_f32 v10, -v4, v8, v9
	s_delay_alu instid0(VALU_DEP_1) | instskip(NEXT) | instid1(VALU_DEP_1)
	v_fmac_f32_e32 v8, v10, v7
	v_fma_f32 v4, -v4, v8, v9
	s_delay_alu instid0(VALU_DEP_1) | instskip(NEXT) | instid1(VALU_DEP_1)
	v_div_fmas_f32 v4, v4, v7, v8
	v_div_fixup_f32 v4, v4, v5, 1.0
	s_delay_alu instid0(VALU_DEP_1)
	v_mul_f32_e32 v6, v6, v4
	v_xor_b32_e32 v7, 0x80000000, v4
                                        ; implicit-def: $vgpr4_vgpr5
.LBB89_356:
	s_and_not1_saveexec_b32 s1, s1
	s_cbranch_execz .LBB89_358
; %bb.357:
	v_div_scale_f32 v6, null, v4, v4, v5
	v_div_scale_f32 v9, vcc_lo, v5, v4, v5
	s_delay_alu instid0(VALU_DEP_2) | instskip(SKIP_1) | instid1(TRANS32_DEP_1)
	v_rcp_f32_e32 v7, v6
	v_nop
	v_fma_f32 v8, -v6, v7, 1.0
	s_delay_alu instid0(VALU_DEP_1) | instskip(NEXT) | instid1(VALU_DEP_1)
	v_fmac_f32_e32 v7, v8, v7
	v_mul_f32_e32 v8, v9, v7
	s_delay_alu instid0(VALU_DEP_1) | instskip(NEXT) | instid1(VALU_DEP_1)
	v_fma_f32 v10, -v6, v8, v9
	v_fmac_f32_e32 v8, v10, v7
	s_delay_alu instid0(VALU_DEP_1) | instskip(NEXT) | instid1(VALU_DEP_1)
	v_fma_f32 v6, -v6, v8, v9
	v_div_fmas_f32 v6, v6, v7, v8
	s_delay_alu instid0(VALU_DEP_1) | instskip(NEXT) | instid1(VALU_DEP_1)
	v_div_fixup_f32 v7, v6, v4, v5
	v_fmac_f32_e32 v4, v5, v7
	s_delay_alu instid0(VALU_DEP_1) | instskip(NEXT) | instid1(VALU_DEP_1)
	v_div_scale_f32 v5, null, v4, v4, 1.0
	v_rcp_f32_e32 v6, v5
	v_nop
	s_delay_alu instid0(TRANS32_DEP_1) | instskip(NEXT) | instid1(VALU_DEP_1)
	v_fma_f32 v8, -v5, v6, 1.0
	v_fmac_f32_e32 v6, v8, v6
	v_div_scale_f32 v8, vcc_lo, 1.0, v4, 1.0
	s_delay_alu instid0(VALU_DEP_1) | instskip(NEXT) | instid1(VALU_DEP_1)
	v_mul_f32_e32 v9, v8, v6
	v_fma_f32 v10, -v5, v9, v8
	s_delay_alu instid0(VALU_DEP_1) | instskip(NEXT) | instid1(VALU_DEP_1)
	v_fmac_f32_e32 v9, v10, v6
	v_fma_f32 v5, -v5, v9, v8
	s_delay_alu instid0(VALU_DEP_1) | instskip(NEXT) | instid1(VALU_DEP_1)
	v_div_fmas_f32 v5, v5, v6, v9
	v_div_fixup_f32 v6, v5, v4, 1.0
	s_delay_alu instid0(VALU_DEP_1)
	v_mul_f32_e64 v7, v7, -v6
.LBB89_358:
	s_or_b32 exec_lo, exec_lo, s1
	ds_store_b64 v39, v[6:7]
.LBB89_359:
	s_or_b32 exec_lo, exec_lo, s2
	s_wait_dscnt 0x0
	s_barrier_signal -1
	s_barrier_wait -1
	ds_load_b64 v[4:5], v39
	s_mov_b32 s1, exec_lo
	v_cmpx_lt_u32_e32 39, v38
	s_cbranch_execz .LBB89_361
; %bb.360:
	s_wait_dscnt 0x0
	v_pk_mul_f32 v[6:7], v[4:5], v[164:165] op_sel:[1,1] op_sel_hi:[0,1]
	s_delay_alu instid0(VALU_DEP_1)
	v_pk_fma_f32 v[10:11], v[4:5], v[164:165], v[6:7] op_sel_hi:[1,0,1] neg_lo:[0,0,1] neg_hi:[0,0,1]
	v_pk_fma_f32 v[12:13], v[4:5], v[164:165], v[6:7] op_sel_hi:[1,0,1]
	ds_load_2addr_b64 v[6:9], v20 offset0:40 offset1:41
	v_dual_mov_b32 v164, v10 :: v_dual_mov_b32 v165, v13
	s_wait_dscnt 0x0
	v_pk_mul_f32 v[14:15], v[6:7], v[12:13] op_sel:[0,1]
	s_delay_alu instid0(VALU_DEP_1) | instskip(SKIP_1) | instid1(VALU_DEP_1)
	v_pk_fma_f32 v[22:23], v[6:7], v[10:11], v[14:15] op_sel:[0,0,1] op_sel_hi:[1,1,0] neg_lo:[0,0,1] neg_hi:[0,0,1]
	v_pk_fma_f32 v[6:7], v[6:7], v[10:11], v[14:15] op_sel:[0,0,1] op_sel_hi:[1,0,0]
	v_mov_b32_e32 v23, v7
	v_pk_mul_f32 v[6:7], v[8:9], v[12:13] op_sel:[0,1]
	s_delay_alu instid0(VALU_DEP_1) | instskip(SKIP_1) | instid1(VALU_DEP_1)
	v_pk_fma_f32 v[14:15], v[8:9], v[10:11], v[6:7] op_sel:[0,0,1] op_sel_hi:[1,1,0] neg_lo:[0,0,1] neg_hi:[0,0,1]
	v_pk_fma_f32 v[6:7], v[8:9], v[10:11], v[6:7] op_sel:[0,0,1] op_sel_hi:[1,0,0]
	v_mov_b32_e32 v15, v7
	ds_load_2addr_b64 v[6:9], v20 offset0:42 offset1:43
	v_pk_add_f32 v[170:171], v[170:171], v[22:23] neg_lo:[0,1] neg_hi:[0,1]
	v_pk_add_f32 v[162:163], v[162:163], v[14:15] neg_lo:[0,1] neg_hi:[0,1]
	s_wait_dscnt 0x0
	v_pk_mul_f32 v[14:15], v[6:7], v[12:13] op_sel:[0,1]
	s_delay_alu instid0(VALU_DEP_1) | instskip(SKIP_2) | instid1(VALU_DEP_2)
	v_pk_fma_f32 v[22:23], v[6:7], v[10:11], v[14:15] op_sel:[0,0,1] op_sel_hi:[1,1,0] neg_lo:[0,0,1] neg_hi:[0,0,1]
	v_pk_fma_f32 v[6:7], v[6:7], v[10:11], v[14:15] op_sel:[0,0,1] op_sel_hi:[1,0,0]
	v_dual_mul_f32 v14, v9, v13 :: v_dual_mov_b32 v6, v9
	v_dual_mov_b32 v23, v7 :: v_dual_mov_b32 v7, v8
	s_delay_alu instid0(VALU_DEP_2) | instskip(SKIP_1) | instid1(VALU_DEP_3)
	v_pk_fma_f32 v[14:15], v[8:9], v[164:165], v[14:15] op_sel_hi:[1,1,0] neg_lo:[0,0,1] neg_hi:[0,0,1]
	v_mul_f32_e32 v8, v9, v10
	v_pk_add_f32 v[168:169], v[168:169], v[22:23] neg_lo:[0,1] neg_hi:[0,1]
	s_delay_alu instid0(VALU_DEP_2) | instskip(NEXT) | instid1(VALU_DEP_1)
	v_pk_fma_f32 v[6:7], v[6:7], v[164:165], v[8:9] op_sel_hi:[1,1,0]
	v_mov_b32_e32 v15, v7
	ds_load_b64 v[6:7], v20 offset:352
	v_pk_add_f32 v[176:177], v[176:177], v[14:15] neg_lo:[0,1] neg_hi:[0,1]
	s_wait_dscnt 0x0
	v_pk_mul_f32 v[8:9], v[6:7], v[12:13] op_sel:[0,1]
	s_delay_alu instid0(VALU_DEP_1) | instskip(SKIP_1) | instid1(VALU_DEP_1)
	v_pk_fma_f32 v[12:13], v[6:7], v[10:11], v[8:9] op_sel:[0,0,1] op_sel_hi:[1,1,0] neg_lo:[0,0,1] neg_hi:[0,0,1]
	v_pk_fma_f32 v[6:7], v[6:7], v[10:11], v[8:9] op_sel:[0,0,1] op_sel_hi:[1,0,0]
	v_mov_b32_e32 v13, v7
	s_delay_alu instid0(VALU_DEP_1)
	v_pk_add_f32 v[180:181], v[180:181], v[12:13] neg_lo:[0,1] neg_hi:[0,1]
.LBB89_361:
	s_or_b32 exec_lo, exec_lo, s1
	s_delay_alu instid0(SALU_CYCLE_1)
	s_mov_b32 s2, exec_lo
	s_wait_dscnt 0x0
	s_barrier_signal -1
	s_barrier_wait -1
	v_cmpx_eq_u32_e32 40, v38
	s_cbranch_execz .LBB89_368
; %bb.362:
	ds_store_b64 v39, v[170:171]
	ds_store_2addr_b64 v20, v[162:163], v[168:169] offset0:41 offset1:42
	ds_store_2addr_b64 v20, v[176:177], v[180:181] offset0:43 offset1:44
	ds_load_b64 v[6:7], v39
	s_wait_dscnt 0x0
	v_cmp_neq_f32_e32 vcc_lo, 0, v6
	v_cmp_neq_f32_e64 s1, 0, v7
	s_or_b32 s1, vcc_lo, s1
	s_delay_alu instid0(SALU_CYCLE_1)
	s_and_b32 exec_lo, exec_lo, s1
	s_cbranch_execz .LBB89_368
; %bb.363:
	v_cmp_ngt_f32_e64 s1, |v6|, |v7|
                                        ; implicit-def: $vgpr8_vgpr9
	s_and_saveexec_b32 s4, s1
	s_delay_alu instid0(SALU_CYCLE_1)
	s_xor_b32 s1, exec_lo, s4
	s_cbranch_execz .LBB89_365
; %bb.364:
	v_div_scale_f32 v8, null, v7, v7, v6
	v_div_scale_f32 v11, vcc_lo, v6, v7, v6
	s_delay_alu instid0(VALU_DEP_2) | instskip(SKIP_1) | instid1(TRANS32_DEP_1)
	v_rcp_f32_e32 v9, v8
	v_nop
	v_fma_f32 v10, -v8, v9, 1.0
	s_delay_alu instid0(VALU_DEP_1) | instskip(NEXT) | instid1(VALU_DEP_1)
	v_fmac_f32_e32 v9, v10, v9
	v_mul_f32_e32 v10, v11, v9
	s_delay_alu instid0(VALU_DEP_1) | instskip(NEXT) | instid1(VALU_DEP_1)
	v_fma_f32 v12, -v8, v10, v11
	v_fmac_f32_e32 v10, v12, v9
	s_delay_alu instid0(VALU_DEP_1) | instskip(NEXT) | instid1(VALU_DEP_1)
	v_fma_f32 v8, -v8, v10, v11
	v_div_fmas_f32 v8, v8, v9, v10
	s_delay_alu instid0(VALU_DEP_1) | instskip(NEXT) | instid1(VALU_DEP_1)
	v_div_fixup_f32 v8, v8, v7, v6
	v_fmac_f32_e32 v7, v6, v8
	s_delay_alu instid0(VALU_DEP_1) | instskip(SKIP_1) | instid1(VALU_DEP_2)
	v_div_scale_f32 v6, null, v7, v7, 1.0
	v_div_scale_f32 v11, vcc_lo, 1.0, v7, 1.0
	v_rcp_f32_e32 v9, v6
	v_nop
	s_delay_alu instid0(TRANS32_DEP_1) | instskip(NEXT) | instid1(VALU_DEP_1)
	v_fma_f32 v10, -v6, v9, 1.0
	v_fmac_f32_e32 v9, v10, v9
	s_delay_alu instid0(VALU_DEP_1) | instskip(NEXT) | instid1(VALU_DEP_1)
	v_mul_f32_e32 v10, v11, v9
	v_fma_f32 v12, -v6, v10, v11
	s_delay_alu instid0(VALU_DEP_1) | instskip(NEXT) | instid1(VALU_DEP_1)
	v_fmac_f32_e32 v10, v12, v9
	v_fma_f32 v6, -v6, v10, v11
	s_delay_alu instid0(VALU_DEP_1) | instskip(NEXT) | instid1(VALU_DEP_1)
	v_div_fmas_f32 v6, v6, v9, v10
	v_div_fixup_f32 v6, v6, v7, 1.0
	s_delay_alu instid0(VALU_DEP_1)
	v_mul_f32_e32 v8, v8, v6
	v_xor_b32_e32 v9, 0x80000000, v6
                                        ; implicit-def: $vgpr6_vgpr7
.LBB89_365:
	s_and_not1_saveexec_b32 s1, s1
	s_cbranch_execz .LBB89_367
; %bb.366:
	v_div_scale_f32 v8, null, v6, v6, v7
	v_div_scale_f32 v11, vcc_lo, v7, v6, v7
	s_delay_alu instid0(VALU_DEP_2) | instskip(SKIP_1) | instid1(TRANS32_DEP_1)
	v_rcp_f32_e32 v9, v8
	v_nop
	v_fma_f32 v10, -v8, v9, 1.0
	s_delay_alu instid0(VALU_DEP_1) | instskip(NEXT) | instid1(VALU_DEP_1)
	v_fmac_f32_e32 v9, v10, v9
	v_mul_f32_e32 v10, v11, v9
	s_delay_alu instid0(VALU_DEP_1) | instskip(NEXT) | instid1(VALU_DEP_1)
	v_fma_f32 v12, -v8, v10, v11
	v_fmac_f32_e32 v10, v12, v9
	s_delay_alu instid0(VALU_DEP_1) | instskip(NEXT) | instid1(VALU_DEP_1)
	v_fma_f32 v8, -v8, v10, v11
	v_div_fmas_f32 v8, v8, v9, v10
	s_delay_alu instid0(VALU_DEP_1) | instskip(NEXT) | instid1(VALU_DEP_1)
	v_div_fixup_f32 v9, v8, v6, v7
	v_fmac_f32_e32 v6, v7, v9
	s_delay_alu instid0(VALU_DEP_1) | instskip(NEXT) | instid1(VALU_DEP_1)
	v_div_scale_f32 v7, null, v6, v6, 1.0
	v_rcp_f32_e32 v8, v7
	v_nop
	s_delay_alu instid0(TRANS32_DEP_1) | instskip(NEXT) | instid1(VALU_DEP_1)
	v_fma_f32 v10, -v7, v8, 1.0
	v_fmac_f32_e32 v8, v10, v8
	v_div_scale_f32 v10, vcc_lo, 1.0, v6, 1.0
	s_delay_alu instid0(VALU_DEP_1) | instskip(NEXT) | instid1(VALU_DEP_1)
	v_mul_f32_e32 v11, v10, v8
	v_fma_f32 v12, -v7, v11, v10
	s_delay_alu instid0(VALU_DEP_1) | instskip(NEXT) | instid1(VALU_DEP_1)
	v_fmac_f32_e32 v11, v12, v8
	v_fma_f32 v7, -v7, v11, v10
	s_delay_alu instid0(VALU_DEP_1) | instskip(NEXT) | instid1(VALU_DEP_1)
	v_div_fmas_f32 v7, v7, v8, v11
	v_div_fixup_f32 v8, v7, v6, 1.0
	s_delay_alu instid0(VALU_DEP_1)
	v_mul_f32_e64 v9, v9, -v8
.LBB89_367:
	s_or_b32 exec_lo, exec_lo, s1
	ds_store_b64 v39, v[8:9]
.LBB89_368:
	s_or_b32 exec_lo, exec_lo, s2
	s_wait_dscnt 0x0
	s_barrier_signal -1
	s_barrier_wait -1
	ds_load_b64 v[8:9], v39
	s_mov_b32 s1, exec_lo
	v_cmpx_lt_u32_e32 40, v38
	s_cbranch_execz .LBB89_370
; %bb.369:
	ds_load_2addr_b64 v[10:13], v20 offset0:41 offset1:42
	s_wait_dscnt 0x1
	v_pk_mul_f32 v[6:7], v[8:9], v[170:171] op_sel:[1,1] op_sel_hi:[0,1]
	s_delay_alu instid0(VALU_DEP_1) | instskip(SKIP_1) | instid1(VALU_DEP_1)
	v_pk_fma_f32 v[14:15], v[8:9], v[170:171], v[6:7] op_sel_hi:[1,0,1] neg_lo:[0,0,1] neg_hi:[0,0,1]
	v_pk_fma_f32 v[6:7], v[8:9], v[170:171], v[6:7] op_sel_hi:[1,0,1]
	v_dual_mov_b32 v170, v14 :: v_dual_mov_b32 v171, v7
	s_wait_dscnt 0x0
	s_delay_alu instid0(VALU_DEP_2) | instskip(NEXT) | instid1(VALU_DEP_1)
	v_pk_mul_f32 v[22:23], v[10:11], v[6:7] op_sel:[0,1]
	v_pk_fma_f32 v[24:25], v[10:11], v[14:15], v[22:23] op_sel:[0,0,1] op_sel_hi:[1,1,0] neg_lo:[0,0,1] neg_hi:[0,0,1]
	v_pk_fma_f32 v[10:11], v[10:11], v[14:15], v[22:23] op_sel:[0,0,1] op_sel_hi:[1,0,0]
	s_delay_alu instid0(VALU_DEP_1) | instskip(SKIP_1) | instid1(VALU_DEP_1)
	v_mov_b32_e32 v25, v11
	v_pk_mul_f32 v[10:11], v[12:13], v[6:7] op_sel:[0,1]
	v_pk_fma_f32 v[22:23], v[12:13], v[14:15], v[10:11] op_sel:[0,0,1] op_sel_hi:[1,1,0] neg_lo:[0,0,1] neg_hi:[0,0,1]
	v_pk_fma_f32 v[10:11], v[12:13], v[14:15], v[10:11] op_sel:[0,0,1] op_sel_hi:[1,0,0]
	s_delay_alu instid0(VALU_DEP_1)
	v_mov_b32_e32 v23, v11
	ds_load_2addr_b64 v[10:13], v20 offset0:43 offset1:44
	v_pk_add_f32 v[162:163], v[162:163], v[24:25] neg_lo:[0,1] neg_hi:[0,1]
	v_pk_add_f32 v[168:169], v[168:169], v[22:23] neg_lo:[0,1] neg_hi:[0,1]
	s_wait_dscnt 0x0
	v_pk_mul_f32 v[22:23], v[10:11], v[6:7] op_sel:[0,1]
	s_delay_alu instid0(VALU_DEP_1) | instskip(SKIP_1) | instid1(VALU_DEP_1)
	v_pk_fma_f32 v[24:25], v[10:11], v[14:15], v[22:23] op_sel:[0,0,1] op_sel_hi:[1,1,0] neg_lo:[0,0,1] neg_hi:[0,0,1]
	v_pk_fma_f32 v[10:11], v[10:11], v[14:15], v[22:23] op_sel:[0,0,1] op_sel_hi:[1,0,0]
	v_dual_mov_b32 v10, v13 :: v_dual_mov_b32 v25, v11
	v_mov_b32_e32 v11, v12
	s_delay_alu instid0(VALU_DEP_2) | instskip(NEXT) | instid1(VALU_DEP_2)
	v_pk_add_f32 v[176:177], v[176:177], v[24:25] neg_lo:[0,1] neg_hi:[0,1]
	v_pk_mul_f32 v[6:7], v[10:11], v[6:7] op_sel:[0,1]
	s_delay_alu instid0(VALU_DEP_1) | instskip(SKIP_1) | instid1(VALU_DEP_1)
	v_pk_fma_f32 v[10:11], v[12:13], v[14:15], v[6:7] neg_lo:[0,0,1] neg_hi:[0,0,1]
	v_pk_fma_f32 v[6:7], v[12:13], v[14:15], v[6:7] op_sel_hi:[1,0,1]
	v_mov_b32_e32 v11, v7
	s_delay_alu instid0(VALU_DEP_1)
	v_pk_add_f32 v[180:181], v[180:181], v[10:11] neg_lo:[0,1] neg_hi:[0,1]
.LBB89_370:
	s_or_b32 exec_lo, exec_lo, s1
	s_delay_alu instid0(SALU_CYCLE_1)
	s_mov_b32 s2, exec_lo
	s_wait_dscnt 0x0
	s_barrier_signal -1
	s_barrier_wait -1
	v_cmpx_eq_u32_e32 41, v38
	s_cbranch_execz .LBB89_377
; %bb.371:
	v_dual_mov_b32 v6, v168 :: v_dual_mov_b32 v7, v169
	v_dual_mov_b32 v10, v176 :: v_dual_mov_b32 v11, v177
	ds_store_b64 v39, v[162:163]
	ds_store_2addr_b64 v20, v[6:7], v[10:11] offset0:42 offset1:43
	ds_store_b64 v20, v[180:181] offset:352
	ds_load_b64 v[6:7], v39
	s_wait_dscnt 0x0
	v_cmp_neq_f32_e32 vcc_lo, 0, v6
	v_cmp_neq_f32_e64 s1, 0, v7
	s_or_b32 s1, vcc_lo, s1
	s_delay_alu instid0(SALU_CYCLE_1)
	s_and_b32 exec_lo, exec_lo, s1
	s_cbranch_execz .LBB89_377
; %bb.372:
	v_cmp_ngt_f32_e64 s1, |v6|, |v7|
                                        ; implicit-def: $vgpr10_vgpr11
	s_and_saveexec_b32 s4, s1
	s_delay_alu instid0(SALU_CYCLE_1)
	s_xor_b32 s1, exec_lo, s4
	s_cbranch_execz .LBB89_374
; %bb.373:
	v_div_scale_f32 v10, null, v7, v7, v6
	v_div_scale_f32 v13, vcc_lo, v6, v7, v6
	s_delay_alu instid0(VALU_DEP_2) | instskip(SKIP_1) | instid1(TRANS32_DEP_1)
	v_rcp_f32_e32 v11, v10
	v_nop
	v_fma_f32 v12, -v10, v11, 1.0
	s_delay_alu instid0(VALU_DEP_1) | instskip(NEXT) | instid1(VALU_DEP_1)
	v_fmac_f32_e32 v11, v12, v11
	v_mul_f32_e32 v12, v13, v11
	s_delay_alu instid0(VALU_DEP_1) | instskip(NEXT) | instid1(VALU_DEP_1)
	v_fma_f32 v14, -v10, v12, v13
	v_fmac_f32_e32 v12, v14, v11
	s_delay_alu instid0(VALU_DEP_1) | instskip(NEXT) | instid1(VALU_DEP_1)
	v_fma_f32 v10, -v10, v12, v13
	v_div_fmas_f32 v10, v10, v11, v12
	s_delay_alu instid0(VALU_DEP_1) | instskip(NEXT) | instid1(VALU_DEP_1)
	v_div_fixup_f32 v10, v10, v7, v6
	v_fmac_f32_e32 v7, v6, v10
	s_delay_alu instid0(VALU_DEP_1) | instskip(SKIP_1) | instid1(VALU_DEP_2)
	v_div_scale_f32 v6, null, v7, v7, 1.0
	v_div_scale_f32 v13, vcc_lo, 1.0, v7, 1.0
	v_rcp_f32_e32 v11, v6
	v_nop
	s_delay_alu instid0(TRANS32_DEP_1) | instskip(NEXT) | instid1(VALU_DEP_1)
	v_fma_f32 v12, -v6, v11, 1.0
	v_fmac_f32_e32 v11, v12, v11
	s_delay_alu instid0(VALU_DEP_1) | instskip(NEXT) | instid1(VALU_DEP_1)
	v_mul_f32_e32 v12, v13, v11
	v_fma_f32 v14, -v6, v12, v13
	s_delay_alu instid0(VALU_DEP_1) | instskip(NEXT) | instid1(VALU_DEP_1)
	v_fmac_f32_e32 v12, v14, v11
	v_fma_f32 v6, -v6, v12, v13
	s_delay_alu instid0(VALU_DEP_1) | instskip(NEXT) | instid1(VALU_DEP_1)
	v_div_fmas_f32 v6, v6, v11, v12
	v_div_fixup_f32 v6, v6, v7, 1.0
	s_delay_alu instid0(VALU_DEP_1)
	v_mul_f32_e32 v10, v10, v6
	v_xor_b32_e32 v11, 0x80000000, v6
                                        ; implicit-def: $vgpr6_vgpr7
.LBB89_374:
	s_and_not1_saveexec_b32 s1, s1
	s_cbranch_execz .LBB89_376
; %bb.375:
	v_div_scale_f32 v10, null, v6, v6, v7
	v_div_scale_f32 v13, vcc_lo, v7, v6, v7
	s_delay_alu instid0(VALU_DEP_2) | instskip(SKIP_1) | instid1(TRANS32_DEP_1)
	v_rcp_f32_e32 v11, v10
	v_nop
	v_fma_f32 v12, -v10, v11, 1.0
	s_delay_alu instid0(VALU_DEP_1) | instskip(NEXT) | instid1(VALU_DEP_1)
	v_fmac_f32_e32 v11, v12, v11
	v_mul_f32_e32 v12, v13, v11
	s_delay_alu instid0(VALU_DEP_1) | instskip(NEXT) | instid1(VALU_DEP_1)
	v_fma_f32 v14, -v10, v12, v13
	v_fmac_f32_e32 v12, v14, v11
	s_delay_alu instid0(VALU_DEP_1) | instskip(NEXT) | instid1(VALU_DEP_1)
	v_fma_f32 v10, -v10, v12, v13
	v_div_fmas_f32 v10, v10, v11, v12
	s_delay_alu instid0(VALU_DEP_1) | instskip(NEXT) | instid1(VALU_DEP_1)
	v_div_fixup_f32 v11, v10, v6, v7
	v_fmac_f32_e32 v6, v7, v11
	s_delay_alu instid0(VALU_DEP_1) | instskip(NEXT) | instid1(VALU_DEP_1)
	v_div_scale_f32 v7, null, v6, v6, 1.0
	v_rcp_f32_e32 v10, v7
	v_nop
	s_delay_alu instid0(TRANS32_DEP_1) | instskip(NEXT) | instid1(VALU_DEP_1)
	v_fma_f32 v12, -v7, v10, 1.0
	v_fmac_f32_e32 v10, v12, v10
	v_div_scale_f32 v12, vcc_lo, 1.0, v6, 1.0
	s_delay_alu instid0(VALU_DEP_1) | instskip(NEXT) | instid1(VALU_DEP_1)
	v_mul_f32_e32 v13, v12, v10
	v_fma_f32 v14, -v7, v13, v12
	s_delay_alu instid0(VALU_DEP_1) | instskip(NEXT) | instid1(VALU_DEP_1)
	v_fmac_f32_e32 v13, v14, v10
	v_fma_f32 v7, -v7, v13, v12
	s_delay_alu instid0(VALU_DEP_1) | instskip(NEXT) | instid1(VALU_DEP_1)
	v_div_fmas_f32 v7, v7, v10, v13
	v_div_fixup_f32 v10, v7, v6, 1.0
	s_delay_alu instid0(VALU_DEP_1)
	v_mul_f32_e64 v11, v11, -v10
.LBB89_376:
	s_or_b32 exec_lo, exec_lo, s1
	ds_store_b64 v39, v[10:11]
.LBB89_377:
	s_or_b32 exec_lo, exec_lo, s2
	s_wait_dscnt 0x0
	s_barrier_signal -1
	s_barrier_wait -1
	ds_load_b64 v[10:11], v39
	s_mov_b32 s1, exec_lo
	v_cmpx_lt_u32_e32 41, v38
	s_cbranch_execz .LBB89_379
; %bb.378:
	ds_load_2addr_b64 v[12:15], v20 offset0:42 offset1:43
	s_wait_dscnt 0x1
	v_pk_mul_f32 v[6:7], v[10:11], v[162:163] op_sel:[1,1] op_sel_hi:[0,1]
	s_delay_alu instid0(VALU_DEP_1) | instskip(SKIP_1) | instid1(VALU_DEP_1)
	v_pk_fma_f32 v[22:23], v[10:11], v[162:163], v[6:7] op_sel_hi:[1,0,1] neg_lo:[0,0,1] neg_hi:[0,0,1]
	v_pk_fma_f32 v[6:7], v[10:11], v[162:163], v[6:7] op_sel_hi:[1,0,1]
	v_dual_mov_b32 v162, v22 :: v_dual_mov_b32 v163, v7
	s_wait_dscnt 0x0
	s_delay_alu instid0(VALU_DEP_2) | instskip(NEXT) | instid1(VALU_DEP_1)
	v_pk_mul_f32 v[24:25], v[12:13], v[6:7] op_sel:[0,1]
	v_pk_fma_f32 v[26:27], v[12:13], v[22:23], v[24:25] op_sel:[0,0,1] op_sel_hi:[1,1,0] neg_lo:[0,0,1] neg_hi:[0,0,1]
	v_pk_fma_f32 v[12:13], v[12:13], v[22:23], v[24:25] op_sel:[0,0,1] op_sel_hi:[1,0,0]
	s_delay_alu instid0(VALU_DEP_1) | instskip(SKIP_1) | instid1(VALU_DEP_1)
	v_mov_b32_e32 v27, v13
	v_pk_mul_f32 v[12:13], v[14:15], v[6:7] op_sel:[0,1]
	v_pk_fma_f32 v[24:25], v[14:15], v[22:23], v[12:13] op_sel:[0,0,1] op_sel_hi:[1,1,0] neg_lo:[0,0,1] neg_hi:[0,0,1]
	v_pk_fma_f32 v[12:13], v[14:15], v[22:23], v[12:13] op_sel:[0,0,1] op_sel_hi:[1,0,0]
	s_delay_alu instid0(VALU_DEP_1)
	v_mov_b32_e32 v25, v13
	ds_load_b64 v[12:13], v20 offset:352
	v_pk_add_f32 v[168:169], v[168:169], v[26:27] neg_lo:[0,1] neg_hi:[0,1]
	v_pk_add_f32 v[176:177], v[176:177], v[24:25] neg_lo:[0,1] neg_hi:[0,1]
	s_wait_dscnt 0x0
	v_pk_mul_f32 v[6:7], v[12:13], v[6:7] op_sel:[1,1] op_sel_hi:[0,1]
	s_delay_alu instid0(VALU_DEP_1) | instskip(SKIP_1) | instid1(VALU_DEP_1)
	v_pk_fma_f32 v[14:15], v[12:13], v[22:23], v[6:7] neg_lo:[0,0,1] neg_hi:[0,0,1]
	v_pk_fma_f32 v[6:7], v[12:13], v[22:23], v[6:7] op_sel_hi:[1,0,1]
	v_mov_b32_e32 v15, v7
	s_delay_alu instid0(VALU_DEP_1)
	v_pk_add_f32 v[180:181], v[180:181], v[14:15] neg_lo:[0,1] neg_hi:[0,1]
.LBB89_379:
	s_or_b32 exec_lo, exec_lo, s1
	s_delay_alu instid0(SALU_CYCLE_1)
	s_mov_b32 s2, exec_lo
	s_wait_dscnt 0x0
	s_barrier_signal -1
	s_barrier_wait -1
	v_cmpx_eq_u32_e32 42, v38
	s_cbranch_execz .LBB89_386
; %bb.380:
	ds_store_b64 v39, v[168:169]
	ds_store_2addr_b64 v20, v[176:177], v[180:181] offset0:43 offset1:44
	ds_load_b64 v[6:7], v39
	s_wait_dscnt 0x0
	v_cmp_neq_f32_e32 vcc_lo, 0, v6
	v_cmp_neq_f32_e64 s1, 0, v7
	s_or_b32 s1, vcc_lo, s1
	s_delay_alu instid0(SALU_CYCLE_1)
	s_and_b32 exec_lo, exec_lo, s1
	s_cbranch_execz .LBB89_386
; %bb.381:
	v_cmp_ngt_f32_e64 s1, |v6|, |v7|
                                        ; implicit-def: $vgpr12_vgpr13
	s_and_saveexec_b32 s4, s1
	s_delay_alu instid0(SALU_CYCLE_1)
	s_xor_b32 s1, exec_lo, s4
	s_cbranch_execz .LBB89_383
; %bb.382:
	v_div_scale_f32 v12, null, v7, v7, v6
	v_div_scale_f32 v15, vcc_lo, v6, v7, v6
	s_delay_alu instid0(VALU_DEP_2) | instskip(SKIP_1) | instid1(TRANS32_DEP_1)
	v_rcp_f32_e32 v13, v12
	v_nop
	v_fma_f32 v14, -v12, v13, 1.0
	s_delay_alu instid0(VALU_DEP_1) | instskip(NEXT) | instid1(VALU_DEP_1)
	v_fmac_f32_e32 v13, v14, v13
	v_mul_f32_e32 v14, v15, v13
	s_delay_alu instid0(VALU_DEP_1) | instskip(NEXT) | instid1(VALU_DEP_1)
	v_fma_f32 v21, -v12, v14, v15
	v_fmac_f32_e32 v14, v21, v13
	s_delay_alu instid0(VALU_DEP_1) | instskip(NEXT) | instid1(VALU_DEP_1)
	v_fma_f32 v12, -v12, v14, v15
	v_div_fmas_f32 v12, v12, v13, v14
	s_delay_alu instid0(VALU_DEP_1) | instskip(NEXT) | instid1(VALU_DEP_1)
	v_div_fixup_f32 v12, v12, v7, v6
	v_fmac_f32_e32 v7, v6, v12
	s_delay_alu instid0(VALU_DEP_1) | instskip(SKIP_1) | instid1(VALU_DEP_2)
	v_div_scale_f32 v6, null, v7, v7, 1.0
	v_div_scale_f32 v15, vcc_lo, 1.0, v7, 1.0
	v_rcp_f32_e32 v13, v6
	v_nop
	s_delay_alu instid0(TRANS32_DEP_1) | instskip(NEXT) | instid1(VALU_DEP_1)
	v_fma_f32 v14, -v6, v13, 1.0
	v_fmac_f32_e32 v13, v14, v13
	s_delay_alu instid0(VALU_DEP_1) | instskip(NEXT) | instid1(VALU_DEP_1)
	v_mul_f32_e32 v14, v15, v13
	v_fma_f32 v21, -v6, v14, v15
	s_delay_alu instid0(VALU_DEP_1) | instskip(NEXT) | instid1(VALU_DEP_1)
	v_fmac_f32_e32 v14, v21, v13
	v_fma_f32 v6, -v6, v14, v15
	s_delay_alu instid0(VALU_DEP_1) | instskip(NEXT) | instid1(VALU_DEP_1)
	v_div_fmas_f32 v6, v6, v13, v14
	v_div_fixup_f32 v6, v6, v7, 1.0
	s_delay_alu instid0(VALU_DEP_1)
	v_mul_f32_e32 v12, v12, v6
	v_xor_b32_e32 v13, 0x80000000, v6
                                        ; implicit-def: $vgpr6_vgpr7
.LBB89_383:
	s_and_not1_saveexec_b32 s1, s1
	s_cbranch_execz .LBB89_385
; %bb.384:
	v_div_scale_f32 v12, null, v6, v6, v7
	v_div_scale_f32 v15, vcc_lo, v7, v6, v7
	s_delay_alu instid0(VALU_DEP_2) | instskip(SKIP_1) | instid1(TRANS32_DEP_1)
	v_rcp_f32_e32 v13, v12
	v_nop
	v_fma_f32 v14, -v12, v13, 1.0
	s_delay_alu instid0(VALU_DEP_1) | instskip(NEXT) | instid1(VALU_DEP_1)
	v_fmac_f32_e32 v13, v14, v13
	v_mul_f32_e32 v14, v15, v13
	s_delay_alu instid0(VALU_DEP_1) | instskip(NEXT) | instid1(VALU_DEP_1)
	v_fma_f32 v21, -v12, v14, v15
	v_fmac_f32_e32 v14, v21, v13
	s_delay_alu instid0(VALU_DEP_1) | instskip(NEXT) | instid1(VALU_DEP_1)
	v_fma_f32 v12, -v12, v14, v15
	v_div_fmas_f32 v12, v12, v13, v14
	s_delay_alu instid0(VALU_DEP_1) | instskip(NEXT) | instid1(VALU_DEP_1)
	v_div_fixup_f32 v13, v12, v6, v7
	v_fmac_f32_e32 v6, v7, v13
	s_delay_alu instid0(VALU_DEP_1) | instskip(NEXT) | instid1(VALU_DEP_1)
	v_div_scale_f32 v7, null, v6, v6, 1.0
	v_rcp_f32_e32 v12, v7
	v_nop
	s_delay_alu instid0(TRANS32_DEP_1) | instskip(NEXT) | instid1(VALU_DEP_1)
	v_fma_f32 v14, -v7, v12, 1.0
	v_fmac_f32_e32 v12, v14, v12
	v_div_scale_f32 v14, vcc_lo, 1.0, v6, 1.0
	s_delay_alu instid0(VALU_DEP_1) | instskip(NEXT) | instid1(VALU_DEP_1)
	v_mul_f32_e32 v15, v14, v12
	v_fma_f32 v21, -v7, v15, v14
	s_delay_alu instid0(VALU_DEP_1) | instskip(NEXT) | instid1(VALU_DEP_1)
	v_fmac_f32_e32 v15, v21, v12
	v_fma_f32 v7, -v7, v15, v14
	s_delay_alu instid0(VALU_DEP_1) | instskip(NEXT) | instid1(VALU_DEP_1)
	v_div_fmas_f32 v7, v7, v12, v15
	v_div_fixup_f32 v12, v7, v6, 1.0
	s_delay_alu instid0(VALU_DEP_1)
	v_mul_f32_e64 v13, v13, -v12
.LBB89_385:
	s_or_b32 exec_lo, exec_lo, s1
	ds_store_b64 v39, v[12:13]
.LBB89_386:
	s_or_b32 exec_lo, exec_lo, s2
	s_wait_dscnt 0x0
	s_barrier_signal -1
	s_barrier_wait -1
	ds_load_b64 v[12:13], v39
	s_mov_b32 s1, exec_lo
	v_cmpx_lt_u32_e32 42, v38
	s_cbranch_execz .LBB89_388
; %bb.387:
	ds_load_2addr_b64 v[22:25], v20 offset0:43 offset1:44
	s_wait_dscnt 0x1
	v_pk_mul_f32 v[6:7], v[12:13], v[168:169] op_sel:[1,1] op_sel_hi:[0,1]
	v_mov_b32_e32 v21, v38
	scratch_store_b64 off, v[12:13], off offset:104 ; 8-byte Folded Spill
	v_pk_fma_f32 v[14:15], v[12:13], v[168:169], v[6:7] op_sel_hi:[1,0,1] neg_lo:[0,0,1] neg_hi:[0,0,1]
	v_pk_fma_f32 v[6:7], v[12:13], v[168:169], v[6:7] op_sel_hi:[1,0,1]
	s_wait_xcnt 0x0
	v_mov_b64_e32 v[12:13], v[10:11]
	v_mov_b32_e32 v10, v39
	v_mov_b64_e32 v[38:39], v[8:9]
	v_mov_b64_e32 v[8:9], v[4:5]
	;; [unrolled: 1-line block ×10, first 2 shown]
	s_wait_dscnt 0x0
	v_pk_mul_f32 v[26:27], v[22:23], v[6:7] op_sel:[0,1]
	v_mov_b64_e32 v[144:145], v[148:149]
	v_mov_b64_e32 v[148:149], v[146:147]
	v_mov_b64_e32 v[146:147], v[150:151]
	v_mov_b64_e32 v[150:151], v[2:3]
	v_mov_b64_e32 v[2:3], v[122:123]
	v_mov_b64_e32 v[122:123], v[126:127]
	v_mov_b64_e32 v[126:127], v[124:125]
	v_mov_b64_e32 v[124:125], v[128:129]
	v_mov_b64_e32 v[128:129], v[106:107]
	v_mov_b64_e32 v[106:107], v[110:111]
	v_mov_b64_e32 v[110:111], v[0:1]
	v_mov_b64_e32 v[0:1], v[108:109]
	v_mov_b64_e32 v[108:109], v[112:113]
	v_mov_b64_e32 v[112:113], v[82:83]
	v_mov_b64_e32 v[82:83], v[86:87]
	v_mov_b64_e32 v[86:87], v[84:85]
	v_mov_b64_e32 v[84:85], v[88:89]
	v_mov_b64_e32 v[88:89], v[254:255]
	v_mov_b64_e32 v[254:255], v[60:61]
	v_mov_b64_e32 v[60:61], v[64:65]
	v_mov_b64_e32 v[64:65], v[62:63]
	v_mov_b64_e32 v[62:63], v[66:67]
	v_mov_b64_e32 v[66:67], v[252:253]
	v_mov_b64_e32 v[252:253], v[36:37]
	v_mov_b64_e32 v[36:37], v[34:35]
	v_mov_b64_e32 v[34:35], v[102:103]
	v_mov_b64_e32 v[102:103], v[104:105]
	v_mov_b64_e32 v[104:105], v[250:251]
	v_mov_b64_e32 v[250:251], v[76:77]
	v_mov_b64_e32 v[76:77], v[80:81]
	v_mov_b64_e32 v[80:81], v[78:79]
	v_mov_b64_e32 v[78:79], v[248:249]
	v_mov_b64_e32 v[248:249], v[46:47]
	v_mov_b64_e32 v[46:47], v[48:49]
	v_mov_b64_e32 v[48:49], v[246:247]
	v_mov_b64_e32 v[246:247], v[52:53]
	v_mov_b64_e32 v[52:53], v[244:245]
	v_mov_b64_e32 v[244:245], v[50:51]
	v_mov_b64_e32 v[50:51], v[58:59]
	v_mov_b64_e32 v[58:59], v[242:243]
	v_mov_b64_e32 v[242:243], v[54:55]
	v_mov_b64_e32 v[54:55], v[56:57]
	v_mov_b64_e32 v[56:57], v[240:241]
	v_mov_b64_e32 v[240:241], v[238:239]
	v_mov_b64_e32 v[238:239], v[94:95]
	v_mov_b64_e32 v[94:95], v[236:237]
	v_mov_b64_e32 v[236:237], v[92:93]
	v_mov_b64_e32 v[92:93], v[234:235]
	v_mov_b64_e32 v[234:235], v[232:233]
	v_mov_b64_e32 v[232:233], v[230:231]
	v_mov_b64_e32 v[230:231], v[228:229]
	v_mov_b64_e32 v[228:229], v[226:227]
	v_mov_b64_e32 v[226:227], v[224:225]
	v_mov_b64_e32 v[224:225], v[222:223]
	v_mov_b64_e32 v[222:223], v[178:179]
	v_mov_b64_e32 v[178:179], v[220:221]
	v_mov_b64_e32 v[220:221], v[218:219]
	v_mov_b64_e32 v[218:219], v[216:217]
	v_mov_b64_e32 v[216:217], v[214:215]
	v_mov_b64_e32 v[214:215], v[212:213]
	v_mov_b64_e32 v[212:213], v[210:211]
	v_mov_b64_e32 v[210:211], v[208:209]
	v_mov_b64_e32 v[208:209], v[206:207]
	v_mov_b64_e32 v[206:207], v[204:205]
	v_mov_b64_e32 v[204:205], v[202:203]
	v_mov_b64_e32 v[202:203], v[200:201]
	v_mov_b64_e32 v[200:201], v[198:199]
	v_mov_b64_e32 v[198:199], v[196:197]
	v_mov_b64_e32 v[196:197], v[194:195]
	v_mov_b64_e32 v[194:195], v[192:193]
	v_mov_b64_e32 v[192:193], v[190:191]
	v_mov_b64_e32 v[190:191], v[16:17]
	v_mov_b64_e32 v[16:17], v[188:189]
	v_mov_b64_e32 v[188:189], v[186:187]
	v_mov_b64_e32 v[186:187], v[184:185]
	v_mov_b64_e32 v[184:185], v[182:183]
	v_mov_b64_e32 v[182:183], v[160:161]
	v_mov_b64_e32 v[160:161], v[158:159]
	v_mov_b64_e32 v[158:159], v[156:157]
	v_mov_b64_e32 v[156:157], v[154:155]
	v_mov_b64_e32 v[154:155], v[152:153]
	v_mov_b64_e32 v[152:153], v[142:143]
	v_mov_b64_e32 v[142:143], v[140:141]
	v_mov_b64_e32 v[140:141], v[138:139]
	v_mov_b64_e32 v[138:139], v[136:137]
	v_mov_b64_e32 v[136:137], v[134:135]
	v_mov_b64_e32 v[134:135], v[132:133]
	v_mov_b64_e32 v[132:133], v[130:131]
	v_mov_b64_e32 v[130:131], v[120:121]
	v_mov_b64_e32 v[120:121], v[118:119]
	v_mov_b64_e32 v[118:119], v[116:117]
	v_mov_b64_e32 v[116:117], v[114:115]
	v_mov_b64_e32 v[114:115], v[100:101]
	v_mov_b64_e32 v[100:101], v[98:99]
	v_mov_b64_e32 v[98:99], v[96:97]
	v_mov_b64_e32 v[96:97], v[90:91]
	v_mov_b64_e32 v[90:91], v[74:75]
	v_mov_b64_e32 v[74:75], v[72:73]
	v_mov_b64_e32 v[72:73], v[70:71]
	v_mov_b64_e32 v[70:71], v[68:69]
	v_mov_b64_e32 v[68:69], v[44:45]
	v_mov_b64_e32 v[44:45], v[42:43]
	v_mov_b64_e32 v[42:43], v[40:41]
	v_mov_b64_e32 v[40:41], v[18:19]
	v_mov_b64_e32 v[18:19], v[32:33]
	v_mov_b64_e32 v[32:33], v[30:31]
	v_mov_b64_e32 v[30:31], v[28:29]
	v_pk_fma_f32 v[28:29], v[22:23], v[14:15], v[26:27] op_sel:[0,0,1] op_sel_hi:[1,1,0] neg_lo:[0,0,1] neg_hi:[0,0,1]
	v_pk_fma_f32 v[22:23], v[22:23], v[14:15], v[26:27] op_sel:[0,0,1] op_sel_hi:[1,0,0]
	v_dual_mov_b32 v22, v25 :: v_dual_mov_b32 v168, v14
	s_delay_alu instid0(VALU_DEP_2) | instskip(SKIP_1) | instid1(VALU_DEP_2)
	v_dual_mov_b32 v169, v7 :: v_dual_mov_b32 v29, v23
	v_mov_b32_e32 v23, v24
	v_pk_add_f32 v[176:177], v[176:177], v[28:29] neg_lo:[0,1] neg_hi:[0,1]
	v_mov_b64_e32 v[28:29], v[30:31]
	v_mov_b64_e32 v[30:31], v[32:33]
	;; [unrolled: 1-line block ×117, first 2 shown]
	v_mov_b32_e32 v39, v10
	v_mov_b64_e32 v[10:11], v[12:13]
	scratch_load_b64 v[12:13], off, off offset:104 ; 8-byte Folded Reload
	v_mov_b32_e32 v38, v21
	v_pk_mul_f32 v[6:7], v[22:23], v[6:7] op_sel:[0,1]
	s_delay_alu instid0(VALU_DEP_1) | instskip(SKIP_1) | instid1(VALU_DEP_1)
	v_pk_fma_f32 v[22:23], v[24:25], v[14:15], v[6:7] neg_lo:[0,0,1] neg_hi:[0,0,1]
	v_pk_fma_f32 v[6:7], v[24:25], v[14:15], v[6:7] op_sel_hi:[1,0,1]
	v_mov_b32_e32 v23, v7
	s_delay_alu instid0(VALU_DEP_1)
	v_pk_add_f32 v[180:181], v[180:181], v[22:23] neg_lo:[0,1] neg_hi:[0,1]
.LBB89_388:
	s_wait_xcnt 0x0
	s_or_b32 exec_lo, exec_lo, s1
	s_delay_alu instid0(SALU_CYCLE_1)
	s_mov_b32 s2, exec_lo
	s_wait_storecnt 0x0
	s_wait_loadcnt_dscnt 0x0
	s_barrier_signal -1
	s_barrier_wait -1
	v_cmpx_eq_u32_e32 43, v38
	s_cbranch_execz .LBB89_395
; %bb.389:
	ds_store_b64 v39, v[176:177]
	ds_store_b64 v20, v[180:181] offset:352
	ds_load_b64 v[6:7], v39
	s_wait_dscnt 0x0
	v_cmp_neq_f32_e32 vcc_lo, 0, v6
	v_cmp_neq_f32_e64 s1, 0, v7
	s_or_b32 s1, vcc_lo, s1
	s_delay_alu instid0(SALU_CYCLE_1)
	s_and_b32 exec_lo, exec_lo, s1
	s_cbranch_execz .LBB89_395
; %bb.390:
	v_cmp_ngt_f32_e64 s1, |v6|, |v7|
                                        ; implicit-def: $vgpr14_vgpr15
	s_and_saveexec_b32 s4, s1
	s_delay_alu instid0(SALU_CYCLE_1)
	s_xor_b32 s1, exec_lo, s4
	s_cbranch_execz .LBB89_392
; %bb.391:
	v_div_scale_f32 v14, null, v7, v7, v6
	v_div_scale_f32 v22, vcc_lo, v6, v7, v6
	s_delay_alu instid0(VALU_DEP_2) | instskip(SKIP_1) | instid1(TRANS32_DEP_1)
	v_rcp_f32_e32 v15, v14
	v_nop
	v_fma_f32 v21, -v14, v15, 1.0
	s_delay_alu instid0(VALU_DEP_1) | instskip(NEXT) | instid1(VALU_DEP_1)
	v_fmac_f32_e32 v15, v21, v15
	v_mul_f32_e32 v21, v22, v15
	s_delay_alu instid0(VALU_DEP_1) | instskip(NEXT) | instid1(VALU_DEP_1)
	v_fma_f32 v23, -v14, v21, v22
	v_fmac_f32_e32 v21, v23, v15
	s_delay_alu instid0(VALU_DEP_1) | instskip(NEXT) | instid1(VALU_DEP_1)
	v_fma_f32 v14, -v14, v21, v22
	v_div_fmas_f32 v14, v14, v15, v21
	s_delay_alu instid0(VALU_DEP_1) | instskip(NEXT) | instid1(VALU_DEP_1)
	v_div_fixup_f32 v14, v14, v7, v6
	v_fmac_f32_e32 v7, v6, v14
	s_delay_alu instid0(VALU_DEP_1) | instskip(SKIP_1) | instid1(VALU_DEP_2)
	v_div_scale_f32 v6, null, v7, v7, 1.0
	v_div_scale_f32 v22, vcc_lo, 1.0, v7, 1.0
	v_rcp_f32_e32 v15, v6
	v_nop
	s_delay_alu instid0(TRANS32_DEP_1) | instskip(NEXT) | instid1(VALU_DEP_1)
	v_fma_f32 v21, -v6, v15, 1.0
	v_fmac_f32_e32 v15, v21, v15
	s_delay_alu instid0(VALU_DEP_1) | instskip(NEXT) | instid1(VALU_DEP_1)
	v_mul_f32_e32 v21, v22, v15
	v_fma_f32 v23, -v6, v21, v22
	s_delay_alu instid0(VALU_DEP_1) | instskip(NEXT) | instid1(VALU_DEP_1)
	v_fmac_f32_e32 v21, v23, v15
	v_fma_f32 v6, -v6, v21, v22
	s_delay_alu instid0(VALU_DEP_1) | instskip(NEXT) | instid1(VALU_DEP_1)
	v_div_fmas_f32 v6, v6, v15, v21
	v_div_fixup_f32 v6, v6, v7, 1.0
	s_delay_alu instid0(VALU_DEP_1)
	v_mul_f32_e32 v14, v14, v6
	v_xor_b32_e32 v15, 0x80000000, v6
                                        ; implicit-def: $vgpr6_vgpr7
.LBB89_392:
	s_and_not1_saveexec_b32 s1, s1
	s_cbranch_execz .LBB89_394
; %bb.393:
	v_div_scale_f32 v14, null, v6, v6, v7
	v_div_scale_f32 v22, vcc_lo, v7, v6, v7
	s_delay_alu instid0(VALU_DEP_2) | instskip(SKIP_1) | instid1(TRANS32_DEP_1)
	v_rcp_f32_e32 v15, v14
	v_nop
	v_fma_f32 v21, -v14, v15, 1.0
	s_delay_alu instid0(VALU_DEP_1) | instskip(NEXT) | instid1(VALU_DEP_1)
	v_fmac_f32_e32 v15, v21, v15
	v_mul_f32_e32 v21, v22, v15
	s_delay_alu instid0(VALU_DEP_1) | instskip(NEXT) | instid1(VALU_DEP_1)
	v_fma_f32 v23, -v14, v21, v22
	v_fmac_f32_e32 v21, v23, v15
	s_delay_alu instid0(VALU_DEP_1) | instskip(NEXT) | instid1(VALU_DEP_1)
	v_fma_f32 v14, -v14, v21, v22
	v_div_fmas_f32 v14, v14, v15, v21
	s_delay_alu instid0(VALU_DEP_1) | instskip(NEXT) | instid1(VALU_DEP_1)
	v_div_fixup_f32 v15, v14, v6, v7
	v_fmac_f32_e32 v6, v7, v15
	s_delay_alu instid0(VALU_DEP_1) | instskip(NEXT) | instid1(VALU_DEP_1)
	v_div_scale_f32 v7, null, v6, v6, 1.0
	v_rcp_f32_e32 v14, v7
	v_nop
	s_delay_alu instid0(TRANS32_DEP_1) | instskip(NEXT) | instid1(VALU_DEP_1)
	v_fma_f32 v21, -v7, v14, 1.0
	v_fmac_f32_e32 v14, v21, v14
	v_div_scale_f32 v21, vcc_lo, 1.0, v6, 1.0
	s_delay_alu instid0(VALU_DEP_1) | instskip(NEXT) | instid1(VALU_DEP_1)
	v_mul_f32_e32 v22, v21, v14
	v_fma_f32 v23, -v7, v22, v21
	s_delay_alu instid0(VALU_DEP_1) | instskip(NEXT) | instid1(VALU_DEP_1)
	v_fmac_f32_e32 v22, v23, v14
	v_fma_f32 v7, -v7, v22, v21
	s_delay_alu instid0(VALU_DEP_1) | instskip(NEXT) | instid1(VALU_DEP_1)
	v_div_fmas_f32 v7, v7, v14, v22
	v_div_fixup_f32 v14, v7, v6, 1.0
	s_delay_alu instid0(VALU_DEP_1)
	v_mul_f32_e64 v15, v15, -v14
.LBB89_394:
	s_or_b32 exec_lo, exec_lo, s1
	ds_store_b64 v39, v[14:15]
.LBB89_395:
	s_or_b32 exec_lo, exec_lo, s2
	s_wait_dscnt 0x0
	s_barrier_signal -1
	s_barrier_wait -1
	ds_load_b64 v[14:15], v39
	s_mov_b32 s1, exec_lo
	v_cmpx_lt_u32_e32 43, v38
	s_cbranch_execz .LBB89_397
; %bb.396:
	ds_load_b64 v[6:7], v20 offset:352
	s_wait_dscnt 0x1
	v_pk_mul_f32 v[20:21], v[14:15], v[176:177] op_sel:[1,1] op_sel_hi:[0,1]
	s_delay_alu instid0(VALU_DEP_1) | instskip(SKIP_2) | instid1(VALU_DEP_2)
	v_pk_fma_f32 v[22:23], v[14:15], v[176:177], v[20:21] op_sel_hi:[1,0,1]
	v_pk_fma_f32 v[176:177], v[14:15], v[176:177], v[20:21] op_sel_hi:[1,0,1] neg_lo:[0,0,1] neg_hi:[0,0,1]
	s_wait_dscnt 0x0
	v_pk_mul_f32 v[20:21], v[6:7], v[22:23] op_sel:[1,1] op_sel_hi:[0,1]
	s_delay_alu instid0(VALU_DEP_1) | instskip(SKIP_1) | instid1(VALU_DEP_2)
	v_pk_fma_f32 v[24:25], v[6:7], v[176:177], v[20:21] op_sel_hi:[1,0,1]
	v_pk_fma_f32 v[6:7], v[6:7], v[176:177], v[20:21] neg_lo:[0,0,1] neg_hi:[0,0,1]
	v_dual_mov_b32 v177, v23 :: v_dual_mov_b32 v7, v25
	s_delay_alu instid0(VALU_DEP_1)
	v_pk_add_f32 v[180:181], v[180:181], v[6:7] neg_lo:[0,1] neg_hi:[0,1]
.LBB89_397:
	s_or_b32 exec_lo, exec_lo, s1
	s_delay_alu instid0(SALU_CYCLE_1)
	s_mov_b32 s2, exec_lo
	s_wait_dscnt 0x0
	s_barrier_signal -1
	s_barrier_wait -1
	v_cmpx_eq_u32_e32 44, v38
	s_cbranch_execz .LBB89_404
; %bb.398:
	v_cmp_neq_f32_e32 vcc_lo, 0, v180
	v_cmp_neq_f32_e64 s1, 0, v181
	ds_store_b64 v39, v[180:181]
	s_or_b32 s1, vcc_lo, s1
	s_delay_alu instid0(SALU_CYCLE_1)
	s_and_b32 exec_lo, exec_lo, s1
	s_cbranch_execz .LBB89_404
; %bb.399:
	v_cmp_ngt_f32_e64 s1, |v180|, |v181|
                                        ; implicit-def: $vgpr6_vgpr7
	s_and_saveexec_b32 s4, s1
	s_delay_alu instid0(SALU_CYCLE_1)
	s_xor_b32 s1, exec_lo, s4
	s_cbranch_execz .LBB89_401
; %bb.400:
	v_div_scale_f32 v6, null, v181, v181, v180
	v_div_scale_f32 v21, vcc_lo, v180, v181, v180
	s_delay_alu instid0(VALU_DEP_2) | instskip(SKIP_1) | instid1(TRANS32_DEP_1)
	v_rcp_f32_e32 v7, v6
	v_nop
	v_fma_f32 v20, -v6, v7, 1.0
	s_delay_alu instid0(VALU_DEP_1) | instskip(NEXT) | instid1(VALU_DEP_1)
	v_fmac_f32_e32 v7, v20, v7
	v_mul_f32_e32 v20, v21, v7
	s_delay_alu instid0(VALU_DEP_1) | instskip(NEXT) | instid1(VALU_DEP_1)
	v_fma_f32 v22, -v6, v20, v21
	v_fmac_f32_e32 v20, v22, v7
	s_delay_alu instid0(VALU_DEP_1) | instskip(NEXT) | instid1(VALU_DEP_1)
	v_fma_f32 v6, -v6, v20, v21
	v_div_fmas_f32 v6, v6, v7, v20
	s_delay_alu instid0(VALU_DEP_1) | instskip(NEXT) | instid1(VALU_DEP_1)
	v_div_fixup_f32 v6, v6, v181, v180
	v_fma_f32 v7, v180, v6, v181
	s_delay_alu instid0(VALU_DEP_1) | instskip(SKIP_1) | instid1(VALU_DEP_2)
	v_div_scale_f32 v20, null, v7, v7, 1.0
	v_div_scale_f32 v23, vcc_lo, 1.0, v7, 1.0
	v_rcp_f32_e32 v21, v20
	v_nop
	s_delay_alu instid0(TRANS32_DEP_1) | instskip(NEXT) | instid1(VALU_DEP_1)
	v_fma_f32 v22, -v20, v21, 1.0
	v_fmac_f32_e32 v21, v22, v21
	s_delay_alu instid0(VALU_DEP_1) | instskip(NEXT) | instid1(VALU_DEP_1)
	v_mul_f32_e32 v22, v23, v21
	v_fma_f32 v24, -v20, v22, v23
	s_delay_alu instid0(VALU_DEP_1) | instskip(NEXT) | instid1(VALU_DEP_1)
	v_fmac_f32_e32 v22, v24, v21
	v_fma_f32 v20, -v20, v22, v23
	s_delay_alu instid0(VALU_DEP_1) | instskip(NEXT) | instid1(VALU_DEP_1)
	v_div_fmas_f32 v20, v20, v21, v22
	v_div_fixup_f32 v7, v20, v7, 1.0
	s_delay_alu instid0(VALU_DEP_1)
	v_mul_f32_e32 v6, v6, v7
	v_xor_b32_e32 v7, 0x80000000, v7
.LBB89_401:
	s_and_not1_saveexec_b32 s1, s1
	s_cbranch_execz .LBB89_403
; %bb.402:
	v_div_scale_f32 v6, null, v180, v180, v181
	v_div_scale_f32 v21, vcc_lo, v181, v180, v181
	s_delay_alu instid0(VALU_DEP_2) | instskip(SKIP_1) | instid1(TRANS32_DEP_1)
	v_rcp_f32_e32 v7, v6
	v_nop
	v_fma_f32 v20, -v6, v7, 1.0
	s_delay_alu instid0(VALU_DEP_1) | instskip(NEXT) | instid1(VALU_DEP_1)
	v_fmac_f32_e32 v7, v20, v7
	v_mul_f32_e32 v20, v21, v7
	s_delay_alu instid0(VALU_DEP_1) | instskip(NEXT) | instid1(VALU_DEP_1)
	v_fma_f32 v22, -v6, v20, v21
	v_fmac_f32_e32 v20, v22, v7
	s_delay_alu instid0(VALU_DEP_1) | instskip(NEXT) | instid1(VALU_DEP_1)
	v_fma_f32 v6, -v6, v20, v21
	v_div_fmas_f32 v6, v6, v7, v20
	s_delay_alu instid0(VALU_DEP_1) | instskip(NEXT) | instid1(VALU_DEP_1)
	v_div_fixup_f32 v7, v6, v180, v181
	v_fma_f32 v6, v181, v7, v180
	s_delay_alu instid0(VALU_DEP_1) | instskip(NEXT) | instid1(VALU_DEP_1)
	v_div_scale_f32 v20, null, v6, v6, 1.0
	v_rcp_f32_e32 v21, v20
	v_nop
	s_delay_alu instid0(TRANS32_DEP_1) | instskip(NEXT) | instid1(VALU_DEP_1)
	v_fma_f32 v22, -v20, v21, 1.0
	v_fmac_f32_e32 v21, v22, v21
	v_div_scale_f32 v22, vcc_lo, 1.0, v6, 1.0
	s_delay_alu instid0(VALU_DEP_1) | instskip(NEXT) | instid1(VALU_DEP_1)
	v_mul_f32_e32 v23, v22, v21
	v_fma_f32 v24, -v20, v23, v22
	s_delay_alu instid0(VALU_DEP_1) | instskip(NEXT) | instid1(VALU_DEP_1)
	v_fmac_f32_e32 v23, v24, v21
	v_fma_f32 v20, -v20, v23, v22
	s_delay_alu instid0(VALU_DEP_1) | instskip(NEXT) | instid1(VALU_DEP_1)
	v_div_fmas_f32 v20, v20, v21, v23
	v_div_fixup_f32 v6, v20, v6, 1.0
	s_delay_alu instid0(VALU_DEP_1)
	v_mul_f32_e64 v7, v7, -v6
.LBB89_403:
	s_or_b32 exec_lo, exec_lo, s1
	ds_store_b64 v39, v[6:7]
.LBB89_404:
	s_or_b32 exec_lo, exec_lo, s2
	s_wait_dscnt 0x0
	s_barrier_signal -1
	s_barrier_wait -1
	ds_load_b64 v[6:7], v39
	s_wait_dscnt 0x0
	s_barrier_signal -1
	s_barrier_wait -1
	s_and_saveexec_b32 s2, s0
	s_cbranch_execz .LBB89_407
; %bb.405:
	v_cmp_eq_f32_e32 vcc_lo, 0, v182
	v_cmp_eq_f32_e64 s0, 0, v183
	s_and_b32 s1, vcc_lo, s0
	v_cmp_neq_f32_e32 vcc_lo, 0, v184
	v_cmp_neq_f32_e64 s0, 0, v185
	v_cndmask_b32_e64 v20, 0, 1, s1
	s_or_b32 s0, vcc_lo, s0
	s_delay_alu instid0(SALU_CYCLE_1) | instskip(SKIP_1) | instid1(VALU_DEP_2)
	s_or_b32 vcc_lo, s0, s1
	v_cmp_eq_f32_e64 s0, 0, v187
	v_cndmask_b32_e32 v20, 2, v20, vcc_lo
	v_cmp_eq_f32_e32 vcc_lo, 0, v186
	v_cmp_eq_f32_e64 s1, 0, v7
	s_and_b32 s0, vcc_lo, s0
	v_cmp_eq_u32_e32 vcc_lo, 0, v20
	s_and_b32 s0, s0, vcc_lo
	v_cmp_eq_f32_e32 vcc_lo, 0, v188
	v_cndmask_b32_e64 v20, v20, 3, s0
	v_cmp_eq_f32_e64 s0, 0, v189
	s_and_b32 s0, vcc_lo, s0
	v_cmp_eq_u32_e32 vcc_lo, 0, v20
	s_and_b32 s0, s0, vcc_lo
	v_cmp_eq_f32_e32 vcc_lo, 0, v190
	v_cndmask_b32_e64 v20, v20, 4, s0
	;; [unrolled: 6-line block ×41, first 2 shown]
	v_cmp_eq_f32_e64 s0, 0, v15
	s_and_b32 s0, vcc_lo, s0
	v_cmp_eq_u32_e32 vcc_lo, 0, v0
	s_and_b32 s0, s0, vcc_lo
	s_delay_alu instid0(SALU_CYCLE_1) | instskip(SKIP_1) | instid1(VALU_DEP_2)
	v_cndmask_b32_e64 v0, v0, 44, s0
	v_cmp_eq_f32_e64 s0, 0, v6
	v_cmp_eq_u32_e32 vcc_lo, 0, v0
	s_and_b32 s0, s0, s1
	s_delay_alu instid0(SALU_CYCLE_1) | instskip(NEXT) | instid1(SALU_CYCLE_1)
	s_and_b32 s0, s0, vcc_lo
	v_cndmask_b32_e64 v2, v0, 45, s0
	v_lshl_add_u64 v[0:1], v[178:179], 2, s[6:7]
	s_delay_alu instid0(VALU_DEP_2) | instskip(SKIP_4) | instid1(SALU_CYCLE_1)
	v_cmp_ne_u32_e64 s0, 0, v2
	global_load_b32 v3, v[0:1], off
	s_wait_loadcnt 0x0
	v_cmp_eq_u32_e32 vcc_lo, 0, v3
	s_and_b32 s0, vcc_lo, s0
	s_and_b32 exec_lo, exec_lo, s0
	s_cbranch_execz .LBB89_407
; %bb.406:
	v_add_nc_u32_e32 v2, s3, v2
	global_store_b32 v[0:1], v2, off
.LBB89_407:
	s_wait_xcnt 0x0
	s_or_b32 exec_lo, exec_lo, s2
	s_clause 0x1
	scratch_load_b64 v[2:3], off, off offset:72 th:TH_LOAD_LU
	scratch_load_b64 v[4:5], off, off th:TH_LOAD_LU
	global_store_b64 v[16:17], v[92:93], off
	v_pk_mul_f32 v[0:1], v[6:7], v[180:181] op_sel:[1,1] op_sel_hi:[0,1]
	v_cmp_lt_u32_e32 vcc_lo, 44, v38
	s_wait_loadcnt 0x1
	global_store_b64 v[2:3], v[94:95], off
	s_wait_loadcnt 0x0
	global_store_b64 v[4:5], v[56:57], off
	scratch_load_b64 v[4:5], off, off offset:24 th:TH_LOAD_LU ; 8-byte Folded Reload
	v_pk_fma_f32 v[2:3], v[6:7], v[180:181], v[0:1] op_sel_hi:[1,0,1]
	v_pk_fma_f32 v[0:1], v[6:7], v[180:181], v[0:1] neg_lo:[0,0,1] neg_hi:[0,0,1]
	s_delay_alu instid0(VALU_DEP_1)
	v_dual_cndmask_b32 v1, v181, v3 :: v_dual_cndmask_b32 v0, v180, v0
	s_wait_loadcnt 0x0
	global_store_b64 v[4:5], v[54:55], off
	scratch_load_b64 v[4:5], off, off offset:32 th:TH_LOAD_LU ; 8-byte Folded Reload
	s_wait_loadcnt 0x0
	s_clause 0x2
	global_store_b64 v[4:5], v[58:59], off
	global_store_b64 v[28:29], v[50:51], off
	global_store_b64 v[30:31], v[52:53], off
	scratch_load_b64 v[2:3], off, off offset:8 th:TH_LOAD_LU ; 8-byte Folded Reload
	s_wait_loadcnt 0x0
	global_store_b64 v[2:3], v[48:49], off
	scratch_load_b64 v[2:3], off, off offset:16 th:TH_LOAD_LU ; 8-byte Folded Reload
	s_wait_loadcnt 0x0
	global_store_b64 v[2:3], v[46:47], off
	;; [unrolled: 3-line block ×8, first 2 shown]
	scratch_load_b64 v[2:3], off, off offset:96 th:TH_LOAD_LU ; 8-byte Folded Reload
	s_wait_loadcnt 0x0
	s_clause 0x1d
	global_store_b64 v[2:3], v[34:35], off
	global_store_b64 v[32:33], v[66:67], off
	global_store_b64 v[18:19], v[62:63], off
	global_store_b64 v[40:41], v[64:65], off
	global_store_b64 v[42:43], v[60:61], off
	global_store_b64 v[44:45], v[88:89], off
	global_store_b64 v[68:69], v[84:85], off
	global_store_b64 v[70:71], v[86:87], off
	global_store_b64 v[72:73], v[82:83], off
	global_store_b64 v[74:75], v[112:113], off
	global_store_b64 v[90:91], v[108:109], off
	global_store_b64 v[96:97], v[110:111], off
	global_store_b64 v[98:99], v[106:107], off
	global_store_b64 v[100:101], v[128:129], off
	global_store_b64 v[114:115], v[124:125], off
	global_store_b64 v[116:117], v[126:127], off
	global_store_b64 v[118:119], v[122:123], off
	global_store_b64 v[120:121], v[150:151], off
	global_store_b64 v[130:131], v[146:147], off
	global_store_b64 v[132:133], v[148:149], off
	global_store_b64 v[134:135], v[144:145], off
	global_store_b64 v[136:137], v[174:175], off
	global_store_b64 v[138:139], v[166:167], off
	global_store_b64 v[140:141], v[172:173], off
	global_store_b64 v[142:143], v[164:165], off
	global_store_b64 v[154:155], v[170:171], off
	global_store_b64 v[156:157], v[162:163], off
	global_store_b64 v[158:159], v[168:169], off
	global_store_b64 v[160:161], v[176:177], off
	global_store_b64 v[152:153], v[0:1], off
.LBB89_408:
	s_sendmsg sendmsg(MSG_DEALLOC_VGPRS)
	s_endpgm
	.section	.rodata,"a",@progbits
	.p2align	6, 0x0
	.amdhsa_kernel _ZN9rocsolver6v33100L23getf2_npvt_small_kernelILi45E19rocblas_complex_numIfEiiPS3_EEvT1_T3_lS5_lPT2_S5_S5_
		.amdhsa_group_segment_fixed_size 0
		.amdhsa_private_segment_fixed_size 116
		.amdhsa_kernarg_size 312
		.amdhsa_user_sgpr_count 2
		.amdhsa_user_sgpr_dispatch_ptr 0
		.amdhsa_user_sgpr_queue_ptr 0
		.amdhsa_user_sgpr_kernarg_segment_ptr 1
		.amdhsa_user_sgpr_dispatch_id 0
		.amdhsa_user_sgpr_kernarg_preload_length 0
		.amdhsa_user_sgpr_kernarg_preload_offset 0
		.amdhsa_user_sgpr_private_segment_size 0
		.amdhsa_wavefront_size32 1
		.amdhsa_uses_dynamic_stack 0
		.amdhsa_enable_private_segment 1
		.amdhsa_system_sgpr_workgroup_id_x 1
		.amdhsa_system_sgpr_workgroup_id_y 1
		.amdhsa_system_sgpr_workgroup_id_z 0
		.amdhsa_system_sgpr_workgroup_info 0
		.amdhsa_system_vgpr_workitem_id 1
		.amdhsa_next_free_vgpr 256
		.amdhsa_next_free_sgpr 15
		.amdhsa_named_barrier_count 0
		.amdhsa_reserve_vcc 1
		.amdhsa_float_round_mode_32 0
		.amdhsa_float_round_mode_16_64 0
		.amdhsa_float_denorm_mode_32 3
		.amdhsa_float_denorm_mode_16_64 3
		.amdhsa_fp16_overflow 0
		.amdhsa_memory_ordered 1
		.amdhsa_forward_progress 1
		.amdhsa_inst_pref_size 255
		.amdhsa_round_robin_scheduling 0
		.amdhsa_exception_fp_ieee_invalid_op 0
		.amdhsa_exception_fp_denorm_src 0
		.amdhsa_exception_fp_ieee_div_zero 0
		.amdhsa_exception_fp_ieee_overflow 0
		.amdhsa_exception_fp_ieee_underflow 0
		.amdhsa_exception_fp_ieee_inexact 0
		.amdhsa_exception_int_div_zero 0
	.end_amdhsa_kernel
	.section	.text._ZN9rocsolver6v33100L23getf2_npvt_small_kernelILi45E19rocblas_complex_numIfEiiPS3_EEvT1_T3_lS5_lPT2_S5_S5_,"axG",@progbits,_ZN9rocsolver6v33100L23getf2_npvt_small_kernelILi45E19rocblas_complex_numIfEiiPS3_EEvT1_T3_lS5_lPT2_S5_S5_,comdat
.Lfunc_end89:
	.size	_ZN9rocsolver6v33100L23getf2_npvt_small_kernelILi45E19rocblas_complex_numIfEiiPS3_EEvT1_T3_lS5_lPT2_S5_S5_, .Lfunc_end89-_ZN9rocsolver6v33100L23getf2_npvt_small_kernelILi45E19rocblas_complex_numIfEiiPS3_EEvT1_T3_lS5_lPT2_S5_S5_
                                        ; -- End function
	.set _ZN9rocsolver6v33100L23getf2_npvt_small_kernelILi45E19rocblas_complex_numIfEiiPS3_EEvT1_T3_lS5_lPT2_S5_S5_.num_vgpr, 256
	.set _ZN9rocsolver6v33100L23getf2_npvt_small_kernelILi45E19rocblas_complex_numIfEiiPS3_EEvT1_T3_lS5_lPT2_S5_S5_.num_agpr, 0
	.set _ZN9rocsolver6v33100L23getf2_npvt_small_kernelILi45E19rocblas_complex_numIfEiiPS3_EEvT1_T3_lS5_lPT2_S5_S5_.numbered_sgpr, 15
	.set _ZN9rocsolver6v33100L23getf2_npvt_small_kernelILi45E19rocblas_complex_numIfEiiPS3_EEvT1_T3_lS5_lPT2_S5_S5_.num_named_barrier, 0
	.set _ZN9rocsolver6v33100L23getf2_npvt_small_kernelILi45E19rocblas_complex_numIfEiiPS3_EEvT1_T3_lS5_lPT2_S5_S5_.private_seg_size, 116
	.set _ZN9rocsolver6v33100L23getf2_npvt_small_kernelILi45E19rocblas_complex_numIfEiiPS3_EEvT1_T3_lS5_lPT2_S5_S5_.uses_vcc, 1
	.set _ZN9rocsolver6v33100L23getf2_npvt_small_kernelILi45E19rocblas_complex_numIfEiiPS3_EEvT1_T3_lS5_lPT2_S5_S5_.uses_flat_scratch, 1
	.set _ZN9rocsolver6v33100L23getf2_npvt_small_kernelILi45E19rocblas_complex_numIfEiiPS3_EEvT1_T3_lS5_lPT2_S5_S5_.has_dyn_sized_stack, 0
	.set _ZN9rocsolver6v33100L23getf2_npvt_small_kernelILi45E19rocblas_complex_numIfEiiPS3_EEvT1_T3_lS5_lPT2_S5_S5_.has_recursion, 0
	.set _ZN9rocsolver6v33100L23getf2_npvt_small_kernelILi45E19rocblas_complex_numIfEiiPS3_EEvT1_T3_lS5_lPT2_S5_S5_.has_indirect_call, 0
	.section	.AMDGPU.csdata,"",@progbits
; Kernel info:
; codeLenInByte = 87476
; TotalNumSgprs: 17
; NumVgprs: 256
; ScratchSize: 116
; MemoryBound: 0
; FloatMode: 240
; IeeeMode: 1
; LDSByteSize: 0 bytes/workgroup (compile time only)
; SGPRBlocks: 0
; VGPRBlocks: 15
; NumSGPRsForWavesPerEU: 17
; NumVGPRsForWavesPerEU: 256
; NamedBarCnt: 0
; Occupancy: 4
; WaveLimiterHint : 0
; COMPUTE_PGM_RSRC2:SCRATCH_EN: 1
; COMPUTE_PGM_RSRC2:USER_SGPR: 2
; COMPUTE_PGM_RSRC2:TRAP_HANDLER: 0
; COMPUTE_PGM_RSRC2:TGID_X_EN: 1
; COMPUTE_PGM_RSRC2:TGID_Y_EN: 1
; COMPUTE_PGM_RSRC2:TGID_Z_EN: 0
; COMPUTE_PGM_RSRC2:TIDIG_COMP_CNT: 1
	.section	.text._ZN9rocsolver6v33100L18getf2_small_kernelILi46E19rocblas_complex_numIfEiiPS3_EEvT1_T3_lS5_lPS5_llPT2_S5_S5_S7_l,"axG",@progbits,_ZN9rocsolver6v33100L18getf2_small_kernelILi46E19rocblas_complex_numIfEiiPS3_EEvT1_T3_lS5_lPS5_llPT2_S5_S5_S7_l,comdat
	.globl	_ZN9rocsolver6v33100L18getf2_small_kernelILi46E19rocblas_complex_numIfEiiPS3_EEvT1_T3_lS5_lPS5_llPT2_S5_S5_S7_l ; -- Begin function _ZN9rocsolver6v33100L18getf2_small_kernelILi46E19rocblas_complex_numIfEiiPS3_EEvT1_T3_lS5_lPS5_llPT2_S5_S5_S7_l
	.p2align	8
	.type	_ZN9rocsolver6v33100L18getf2_small_kernelILi46E19rocblas_complex_numIfEiiPS3_EEvT1_T3_lS5_lPS5_llPT2_S5_S5_S7_l,@function
_ZN9rocsolver6v33100L18getf2_small_kernelILi46E19rocblas_complex_numIfEiiPS3_EEvT1_T3_lS5_lPS5_llPT2_S5_S5_S7_l: ; @_ZN9rocsolver6v33100L18getf2_small_kernelILi46E19rocblas_complex_numIfEiiPS3_EEvT1_T3_lS5_lPS5_llPT2_S5_S5_S7_l
; %bb.0:
	s_clause 0x1
	s_load_u16 s2, s[0:1], 0x6e
	s_load_b64 s[16:17], s[0:1], 0x48
	s_bfe_u32 s3, ttmp6, 0x40010
	s_bfe_u32 s4, ttmp6, 0x40004
	s_add_co_i32 s3, s3, 1
	s_getreg_b32 s5, hwreg(HW_REG_IB_STS2, 6, 4)
	s_mul_i32 s3, ttmp7, s3
	v_bfe_u32 v100, v0, 10, 10
	s_add_co_i32 s4, s4, s3
	s_cmp_eq_u32 s5, 0
	s_cselect_b32 s3, ttmp7, s4
	s_wait_kmcnt 0x0
	v_mad_u32 v2, s3, s2, v100
	s_mov_b32 s2, exec_lo
	s_delay_alu instid0(VALU_DEP_1)
	v_cmpx_gt_i32_e64 s16, v2
	s_cbranch_execz .LBB90_967
; %bb.1:
	s_load_b128 s[4:7], s[0:1], 0x50
	v_mov_b64_e32 v[4:5], 0
	v_ashrrev_i32_e32 v3, 31, v2
	s_wait_kmcnt 0x0
	s_cmp_eq_u64 s[4:5], 0
	s_cselect_b32 s16, -1, 0
	s_delay_alu instid0(SALU_CYCLE_1)
	s_and_b32 vcc_lo, exec_lo, s16
	s_cbranch_vccnz .LBB90_3
; %bb.2:
	v_mul_u64_e32 v[4:5], s[6:7], v[2:3]
	s_delay_alu instid0(VALU_DEP_1)
	v_lshl_add_u64 v[4:5], v[4:5], 2, s[4:5]
.LBB90_3:
	s_clause 0x2
	s_load_b32 s2, s[0:1], 0x18
	s_load_b128 s[12:15], s[0:1], 0x8
	s_load_b32 s18, s[0:1], 0x0
	v_and_b32_e32 v105, 0x3ff, v0
	s_load_b256 s[4:11], s[0:1], 0x20
	s_delay_alu instid0(VALU_DEP_1) | instskip(SKIP_4) | instid1(VALU_DEP_2)
	v_dual_mov_b32 v99, 0 :: v_dual_lshlrev_b32 v98, 3, v105
	s_wait_kmcnt 0x0
	v_add3_u32 v6, s2, s2, v105
	s_ashr_i32 s3, s2, 31
	v_mul_u64_e32 v[0:1], s[4:5], v[2:3]
	v_add_nc_u32_e32 v8, s2, v6
	s_max_i32 s4, s18, 46
	s_cmp_lt_i32 s18, 2
	s_delay_alu instid0(VALU_DEP_1) | instskip(NEXT) | instid1(VALU_DEP_1)
	v_dual_ashrrev_i32 v7, 31, v6 :: v_dual_add_nc_u32 v10, s2, v8
	v_add_nc_u32_e32 v12, s2, v10
	s_delay_alu instid0(VALU_DEP_1) | instskip(NEXT) | instid1(VALU_DEP_1)
	v_add_nc_u32_e32 v14, s2, v12
	v_dual_ashrrev_i32 v9, 31, v8 :: v_dual_add_nc_u32 v16, s2, v14
	s_delay_alu instid0(VALU_DEP_1) | instskip(NEXT) | instid1(VALU_DEP_1)
	v_dual_ashrrev_i32 v15, 31, v14 :: v_dual_add_nc_u32 v18, s2, v16
	v_dual_ashrrev_i32 v13, 31, v12 :: v_dual_add_nc_u32 v20, s2, v18
	v_lshl_add_u64 v[0:1], v[0:1], 3, s[12:13]
	s_delay_alu instid0(VALU_DEP_2) | instskip(NEXT) | instid1(VALU_DEP_2)
	v_add_nc_u32_e32 v24, s2, v20
	v_lshl_add_u64 v[0:1], s[14:15], 3, v[0:1]
	s_delay_alu instid0(VALU_DEP_2) | instskip(SKIP_1) | instid1(VALU_DEP_3)
	v_dual_add_nc_u32 v28, s2, v24 :: v_dual_ashrrev_i32 v19, 31, v18
	v_ashrrev_i32_e32 v21, 31, v20
	v_add_nc_u64_e32 v[32:33], v[0:1], v[98:99]
	v_lshl_add_u64 v[12:13], v[12:13], 3, v[0:1]
	s_delay_alu instid0(VALU_DEP_4)
	v_add_nc_u32_e32 v30, s2, v28
	v_lshl_add_u64 v[14:15], v[14:15], 3, v[0:1]
	v_lshl_add_u64 v[6:7], v[6:7], 3, v[0:1]
	;; [unrolled: 1-line block ×4, first 2 shown]
	v_add_nc_u32_e32 v36, s2, v30
	v_lshl_add_u64 v[8:9], v[8:9], 3, v[0:1]
	v_dual_ashrrev_i32 v31, 31, v30 :: v_dual_ashrrev_i32 v25, 31, v24
	s_delay_alu instid0(VALU_DEP_3) | instskip(NEXT) | instid1(VALU_DEP_1)
	v_add_nc_u32_e32 v40, s2, v36
	v_add_nc_u32_e32 v42, s2, v40
	v_ashrrev_i32_e32 v29, 31, v28
	s_delay_alu instid0(VALU_DEP_2) | instskip(SKIP_1) | instid1(VALU_DEP_2)
	v_dual_ashrrev_i32 v41, 31, v40 :: v_dual_add_nc_u32 v44, s2, v42
	v_ashrrev_i32_e32 v11, 31, v10
	v_dual_ashrrev_i32 v43, 31, v42 :: v_dual_add_nc_u32 v46, s2, v44
	v_ashrrev_i32_e32 v17, 31, v16
	s_delay_alu instid0(VALU_DEP_3) | instskip(NEXT) | instid1(VALU_DEP_3)
	v_lshl_add_u64 v[10:11], v[10:11], 3, v[0:1]
	v_add_nc_u32_e32 v48, s2, v46
	s_delay_alu instid0(VALU_DEP_3)
	v_lshl_add_u64 v[16:17], v[16:17], 3, v[0:1]
	s_clause 0x3
	global_load_b64 v[74:75], v[10:11], off
	global_load_b64 v[22:23], v[12:13], off
	;; [unrolled: 1-line block ×4, first 2 shown]
	s_wait_xcnt 0x3
	v_lshl_add_u64 v[10:11], s[2:3], 3, v[32:33]
	v_add_nc_u32_e32 v50, s2, v48
	s_clause 0x3
	global_load_b64 v[90:91], v[6:7], off
	global_load_b64 v[88:89], v[8:9], off
	;; [unrolled: 1-line block ×4, first 2 shown]
	s_wait_xcnt 0x3
	v_lshl_add_u64 v[6:7], v[28:29], 3, v[0:1]
	v_ashrrev_i32_e32 v37, 31, v36
	s_wait_xcnt 0x0
	v_lshl_add_u64 v[10:11], v[30:31], 3, v[0:1]
	v_dual_add_nc_u32 v52, s2, v50 :: v_dual_ashrrev_i32 v51, 31, v50
	v_ashrrev_i32_e32 v49, 31, v48
	v_lshl_add_u64 v[16:17], v[36:37], 3, v[0:1]
	v_lshl_add_u64 v[12:13], v[24:25], 3, v[0:1]
	s_delay_alu instid0(VALU_DEP_4)
	v_add_nc_u32_e32 v68, s2, v52
	v_lshl_add_u64 v[24:25], v[42:43], 3, v[0:1]
	v_lshl_add_u64 v[30:31], v[48:49], 3, v[0:1]
	s_clause 0x3
	global_load_b64 v[78:79], v[18:19], off
	global_load_b64 v[34:35], v[54:55], off
	;; [unrolled: 1-line block ×4, first 2 shown]
	s_wait_xcnt 0x3
	v_lshl_add_u64 v[18:19], v[40:41], 3, v[0:1]
	v_add_nc_u32_e32 v14, s2, v68
	s_clause 0x3
	global_load_b64 v[86:87], v[10:11], off
	global_load_b64 v[64:65], v[16:17], off
	;; [unrolled: 1-line block ×4, first 2 shown]
	v_lshl_add_u64 v[36:37], v[50:51], 3, v[0:1]
	v_ashrrev_i32_e32 v47, 31, v46
	v_add_nc_u32_e32 v8, s2, v14
	s_wait_xcnt 0x0
	s_delay_alu instid0(VALU_DEP_2) | instskip(NEXT) | instid1(VALU_DEP_2)
	v_lshl_add_u64 v[24:25], v[46:47], 3, v[0:1]
	v_dual_add_nc_u32 v6, s2, v8 :: v_dual_ashrrev_i32 v9, 31, v8
	s_delay_alu instid0(VALU_DEP_1) | instskip(NEXT) | instid1(VALU_DEP_2)
	v_add_nc_u32_e32 v12, s2, v6
	v_lshl_add_u64 v[8:9], v[8:9], 3, v[0:1]
	v_ashrrev_i32_e32 v15, 31, v14
	s_delay_alu instid0(VALU_DEP_3) | instskip(NEXT) | instid1(VALU_DEP_2)
	v_dual_ashrrev_i32 v7, 31, v6 :: v_dual_add_nc_u32 v28, s2, v12
	v_lshl_add_u64 v[14:15], v[14:15], 3, v[0:1]
	s_delay_alu instid0(VALU_DEP_2) | instskip(NEXT) | instid1(VALU_DEP_3)
	v_lshl_add_u64 v[6:7], v[6:7], 3, v[0:1]
	v_dual_add_nc_u32 v10, s2, v28 :: v_dual_ashrrev_i32 v29, 31, v28
	s_delay_alu instid0(VALU_DEP_1) | instskip(SKIP_1) | instid1(VALU_DEP_2)
	v_dual_add_nc_u32 v18, s2, v10 :: v_dual_ashrrev_i32 v45, 31, v44
	v_dual_ashrrev_i32 v69, 31, v68 :: v_dual_ashrrev_i32 v11, 31, v10
	v_add_nc_u32_e32 v40, s2, v18
	s_delay_alu instid0(VALU_DEP_3)
	v_lshl_add_u64 v[16:17], v[44:45], 3, v[0:1]
	s_clause 0x3
	global_load_b64 v[84:85], v[16:17], off
	global_load_b64 v[58:59], v[24:25], off
	;; [unrolled: 1-line block ×4, first 2 shown]
	s_wait_xcnt 0x3
	v_dual_add_nc_u32 v16, s2, v40 :: v_dual_ashrrev_i32 v19, 31, v18
	s_wait_xcnt 0x0
	v_lshl_add_u64 v[36:37], v[68:69], 3, v[0:1]
	v_lshl_add_u64 v[10:11], v[10:11], 3, v[0:1]
	v_ashrrev_i32_e32 v41, 31, v40
	v_add_nc_u32_e32 v30, s2, v16
	s_delay_alu instid0(VALU_DEP_1) | instskip(NEXT) | instid1(VALU_DEP_1)
	v_dual_add_nc_u32 v54, s2, v30 :: v_dual_ashrrev_i32 v53, 31, v52
	v_ashrrev_i32_e32 v55, 31, v54
	s_delay_alu instid0(VALU_DEP_2)
	v_lshl_add_u64 v[24:25], v[52:53], 3, v[0:1]
	s_clause 0x3
	global_load_b64 v[82:83], v[24:25], off
	global_load_b64 v[50:51], v[36:37], off
	;; [unrolled: 1-line block ×4, first 2 shown]
	s_wait_xcnt 0x0
	v_add_nc_u32_e32 v8, s2, v54
	v_lshl_add_u64 v[24:25], v[28:29], 3, v[0:1]
	v_lshl_add_u64 v[54:55], v[54:55], 3, v[0:1]
	s_delay_alu instid0(VALU_DEP_3) | instskip(NEXT) | instid1(VALU_DEP_1)
	v_add_nc_u32_e32 v14, s2, v8
	v_dual_ashrrev_i32 v17, 31, v16 :: v_dual_ashrrev_i32 v15, 31, v14
	v_dual_add_nc_u32 v68, s2, v14 :: v_dual_ashrrev_i32 v13, 31, v12
	v_ashrrev_i32_e32 v31, 31, v30
	s_delay_alu instid0(VALU_DEP_3) | instskip(NEXT) | instid1(VALU_DEP_4)
	v_lshl_add_u64 v[16:17], v[16:17], 3, v[0:1]
	v_lshl_add_u64 v[14:15], v[14:15], 3, v[0:1]
	s_delay_alu instid0(VALU_DEP_4)
	v_lshl_add_u64 v[12:13], v[12:13], 3, v[0:1]
	s_clause 0x3
	global_load_b64 v[80:81], v[6:7], off
	global_load_b64 v[44:45], v[12:13], off
	;; [unrolled: 1-line block ×4, first 2 shown]
	s_wait_xcnt 0x3
	v_add_nc_u32_e32 v6, s2, v68
	s_wait_xcnt 0x0
	v_lshl_add_u64 v[10:11], v[18:19], 3, v[0:1]
	v_lshl_add_u64 v[18:19], v[40:41], 3, v[0:1]
	v_lshl_add_u64 v[24:25], v[30:31], 3, v[0:1]
	s_clause 0x3
	global_load_b64 v[76:77], v[10:11], off
	global_load_b64 v[30:31], v[18:19], off
	;; [unrolled: 1-line block ×4, first 2 shown]
	v_dual_add_nc_u32 v12, s2, v6 :: v_dual_ashrrev_i32 v9, 31, v8
	s_delay_alu instid0(VALU_DEP_1) | instskip(NEXT) | instid1(VALU_DEP_2)
	v_dual_ashrrev_i32 v7, 31, v6 :: v_dual_add_nc_u32 v40, s2, v12
	v_lshl_add_u64 v[8:9], v[8:9], 3, v[0:1]
	s_delay_alu instid0(VALU_DEP_2) | instskip(SKIP_1) | instid1(VALU_DEP_3)
	v_lshl_add_u64 v[6:7], v[6:7], 3, v[0:1]
	s_wait_xcnt 0x3
	v_add_nc_u32_e32 v10, s2, v40
	s_delay_alu instid0(VALU_DEP_1) | instskip(NEXT) | instid1(VALU_DEP_1)
	v_dual_add_nc_u32 v96, s2, v10 :: v_dual_ashrrev_i32 v11, 31, v10
	v_add_nc_u32_e32 v102, s2, v96
	v_ashrrev_i32_e32 v69, 31, v68
	s_delay_alu instid0(VALU_DEP_3) | instskip(NEXT) | instid1(VALU_DEP_3)
	v_lshl_add_u64 v[106:107], v[10:11], 3, v[0:1]
	v_dual_ashrrev_i32 v97, 31, v96 :: v_dual_ashrrev_i32 v103, 31, v102
	s_delay_alu instid0(VALU_DEP_3)
	v_lshl_add_u64 v[68:69], v[68:69], 3, v[0:1]
	s_clause 0x3
	global_load_b64 v[72:73], v[54:55], off
	global_load_b64 v[18:19], v[8:9], off
	;; [unrolled: 1-line block ×4, first 2 shown]
	s_wait_xcnt 0x1
	v_dual_add_nc_u32 v14, s2, v102 :: v_dual_ashrrev_i32 v13, 31, v12
	v_lshl_add_u64 v[102:103], v[102:103], 3, v[0:1]
	s_delay_alu instid0(VALU_DEP_2) | instskip(SKIP_1) | instid1(VALU_DEP_3)
	v_dual_add_nc_u32 v54, s2, v14 :: v_dual_ashrrev_i32 v41, 31, v40
	s_wait_xcnt 0x0
	v_lshl_add_u64 v[68:69], v[12:13], 3, v[0:1]
	v_ashrrev_i32_e32 v15, 31, v14
	s_delay_alu instid0(VALU_DEP_3)
	v_add_nc_u32_e32 v108, s2, v54
	v_lshl_add_u64 v[40:41], v[40:41], 3, v[0:1]
	s_clause 0x3
	global_load_b64 v[70:71], v[6:7], off
	global_load_b64 v[10:11], v[68:69], off
	global_load_b64 v[12:13], v[40:41], off
	global_load_b64 v[8:9], v[106:107], off
	s_wait_xcnt 0x3
	v_dual_add_nc_u32 v6, s2, v108 :: v_dual_ashrrev_i32 v55, 31, v54
	v_ashrrev_i32_e32 v109, 31, v108
	s_wait_xcnt 0x0
	v_lshl_add_u64 v[106:107], v[96:97], 3, v[0:1]
	v_lshl_add_u64 v[110:111], v[14:15], 3, v[0:1]
	v_ashrrev_i32_e32 v7, 31, v6
	v_lshl_add_u64 v[112:113], v[54:55], 3, v[0:1]
	v_lshl_add_u64 v[108:109], v[108:109], 3, v[0:1]
	s_delay_alu instid0(VALU_DEP_3)
	v_lshl_add_u64 v[114:115], v[6:7], 3, v[0:1]
	s_clause 0x5
	global_load_b64 v[68:69], v[106:107], off
	global_load_b64 v[6:7], v[102:103], off
	;; [unrolled: 1-line block ×6, first 2 shown]
	s_wait_xcnt 0x4
	v_mul_lo_u32 v103, s4, v100
	s_load_b64 s[4:5], s[0:1], 0x40
	s_delay_alu instid0(VALU_DEP_1) | instskip(NEXT) | instid1(VALU_DEP_1)
	v_lshl_add_u32 v102, v103, 3, 0
	v_dual_lshlrev_b32 v103, 3, v103 :: v_dual_add_nc_u32 v98, v102, v98
	s_wait_loadcnt 0x27
	ds_store_b64 v98, v[94:95]
	s_wait_loadcnt_dscnt 0x0
	s_barrier_signal -1
	s_barrier_wait -1
	ds_load_b64 v[100:101], v102
	s_cbranch_scc1 .LBB90_6
; %bb.4:
	v_add3_u32 v98, v103, 0, 8
	v_mov_b32_e32 v99, 0
	s_wait_xcnt 0x0
	s_mov_b32 s1, 1
.LBB90_5:                               ; =>This Inner Loop Header: Depth=1
	ds_load_b64 v[106:107], v98
	s_wait_dscnt 0x1
	v_cmp_gt_f32_e32 vcc_lo, 0, v100
	v_cmp_gt_f32_e64 s0, 0, v101
	s_delay_alu instid0(VALU_DEP_1) | instskip(SKIP_3) | instid1(VALU_DEP_1)
	v_dual_cndmask_b32 v108, v100, -v100, vcc_lo :: v_dual_cndmask_b32 v110, v101, -v101, s0
	s_wait_dscnt 0x0
	v_cmp_gt_f32_e32 vcc_lo, 0, v106
	v_cmp_gt_f32_e64 s0, 0, v107
	v_dual_cndmask_b32 v109, v106, -v106, vcc_lo :: v_dual_cndmask_b32 v111, v107, -v107, s0
	s_delay_alu instid0(VALU_DEP_1) | instskip(NEXT) | instid1(VALU_DEP_1)
	v_pk_add_f32 v[108:109], v[108:109], v[110:111]
	v_cmp_lt_f32_e32 vcc_lo, v108, v109
	v_dual_cndmask_b32 v101, v101, v107 :: v_dual_add_nc_u32 v98, 8, v98
	v_cndmask_b32_e32 v100, v100, v106, vcc_lo
	v_cndmask_b32_e64 v99, v99, s1, vcc_lo
	s_add_co_i32 s1, s1, 1
	s_delay_alu instid0(SALU_CYCLE_1)
	s_cmp_eq_u32 s18, s1
	s_cbranch_scc0 .LBB90_5
.LBB90_6:
	s_wait_dscnt 0x0
	v_cmp_neq_f32_e32 vcc_lo, 0, v100
	s_wait_xcnt 0x0
	v_cmp_neq_f32_e64 s0, 0, v101
	v_dual_mov_b32 v104, 1 :: v_dual_mov_b32 v107, 1
	s_or_b32 s1, vcc_lo, s0
	s_delay_alu instid0(SALU_CYCLE_1)
	s_and_saveexec_b32 s0, s1
	s_cbranch_execz .LBB90_12
; %bb.7:
	v_cmp_ngt_f32_e64 s1, |v100|, |v101|
	s_and_saveexec_b32 s12, s1
	s_delay_alu instid0(SALU_CYCLE_1)
	s_xor_b32 s1, exec_lo, s12
	s_cbranch_execz .LBB90_9
; %bb.8:
	v_div_scale_f32 v98, null, v101, v101, v100
	v_div_scale_f32 v107, vcc_lo, v100, v101, v100
	s_delay_alu instid0(VALU_DEP_2) | instskip(SKIP_1) | instid1(TRANS32_DEP_1)
	v_rcp_f32_e32 v104, v98
	v_nop
	v_fma_f32 v106, -v98, v104, 1.0
	s_delay_alu instid0(VALU_DEP_1) | instskip(NEXT) | instid1(VALU_DEP_1)
	v_fmac_f32_e32 v104, v106, v104
	v_mul_f32_e32 v106, v107, v104
	s_delay_alu instid0(VALU_DEP_1) | instskip(NEXT) | instid1(VALU_DEP_1)
	v_fma_f32 v108, -v98, v106, v107
	v_fmac_f32_e32 v106, v108, v104
	s_delay_alu instid0(VALU_DEP_1) | instskip(NEXT) | instid1(VALU_DEP_1)
	v_fma_f32 v98, -v98, v106, v107
	v_div_fmas_f32 v98, v98, v104, v106
	s_delay_alu instid0(VALU_DEP_1) | instskip(NEXT) | instid1(VALU_DEP_1)
	v_div_fixup_f32 v98, v98, v101, v100
	v_fmac_f32_e32 v101, v100, v98
	s_delay_alu instid0(VALU_DEP_1) | instskip(SKIP_1) | instid1(VALU_DEP_2)
	v_div_scale_f32 v100, null, v101, v101, 1.0
	v_div_scale_f32 v107, vcc_lo, 1.0, v101, 1.0
	v_rcp_f32_e32 v104, v100
	v_nop
	s_delay_alu instid0(TRANS32_DEP_1) | instskip(NEXT) | instid1(VALU_DEP_1)
	v_fma_f32 v106, -v100, v104, 1.0
	v_fmac_f32_e32 v104, v106, v104
	s_delay_alu instid0(VALU_DEP_1) | instskip(NEXT) | instid1(VALU_DEP_1)
	v_mul_f32_e32 v106, v107, v104
	v_fma_f32 v108, -v100, v106, v107
	s_delay_alu instid0(VALU_DEP_1) | instskip(NEXT) | instid1(VALU_DEP_1)
	v_fmac_f32_e32 v106, v108, v104
	v_fma_f32 v100, -v100, v106, v107
	s_delay_alu instid0(VALU_DEP_1) | instskip(NEXT) | instid1(VALU_DEP_1)
	v_div_fmas_f32 v100, v100, v104, v106
	v_div_fixup_f32 v101, v100, v101, 1.0
	s_delay_alu instid0(VALU_DEP_1)
	v_mul_f32_e32 v100, v98, v101
	v_xor_b32_e32 v101, 0x80000000, v101
.LBB90_9:
	s_and_not1_saveexec_b32 s1, s1
	s_cbranch_execz .LBB90_11
; %bb.10:
	s_delay_alu instid0(VALU_DEP_1) | instskip(SKIP_1) | instid1(VALU_DEP_2)
	v_div_scale_f32 v98, null, v100, v100, v101
	v_div_scale_f32 v107, vcc_lo, v101, v100, v101
	v_rcp_f32_e32 v104, v98
	v_nop
	s_delay_alu instid0(TRANS32_DEP_1) | instskip(NEXT) | instid1(VALU_DEP_1)
	v_fma_f32 v106, -v98, v104, 1.0
	v_fmac_f32_e32 v104, v106, v104
	s_delay_alu instid0(VALU_DEP_1) | instskip(NEXT) | instid1(VALU_DEP_1)
	v_mul_f32_e32 v106, v107, v104
	v_fma_f32 v108, -v98, v106, v107
	s_delay_alu instid0(VALU_DEP_1) | instskip(NEXT) | instid1(VALU_DEP_1)
	v_fmac_f32_e32 v106, v108, v104
	v_fma_f32 v98, -v98, v106, v107
	s_delay_alu instid0(VALU_DEP_1) | instskip(NEXT) | instid1(VALU_DEP_1)
	v_div_fmas_f32 v98, v98, v104, v106
	v_div_fixup_f32 v98, v98, v100, v101
	s_delay_alu instid0(VALU_DEP_1) | instskip(NEXT) | instid1(VALU_DEP_1)
	v_fmac_f32_e32 v100, v101, v98
	v_div_scale_f32 v101, null, v100, v100, 1.0
	s_delay_alu instid0(VALU_DEP_1) | instskip(SKIP_1) | instid1(TRANS32_DEP_1)
	v_rcp_f32_e32 v104, v101
	v_nop
	v_fma_f32 v106, -v101, v104, 1.0
	s_delay_alu instid0(VALU_DEP_1) | instskip(SKIP_1) | instid1(VALU_DEP_1)
	v_fmac_f32_e32 v104, v106, v104
	v_div_scale_f32 v106, vcc_lo, 1.0, v100, 1.0
	v_mul_f32_e32 v107, v106, v104
	s_delay_alu instid0(VALU_DEP_1) | instskip(NEXT) | instid1(VALU_DEP_1)
	v_fma_f32 v108, -v101, v107, v106
	v_fmac_f32_e32 v107, v108, v104
	s_delay_alu instid0(VALU_DEP_1) | instskip(NEXT) | instid1(VALU_DEP_1)
	v_fma_f32 v101, -v101, v107, v106
	v_div_fmas_f32 v101, v101, v104, v107
	s_delay_alu instid0(VALU_DEP_1) | instskip(NEXT) | instid1(VALU_DEP_1)
	v_div_fixup_f32 v100, v101, v100, 1.0
	v_mul_f32_e64 v101, v98, -v100
.LBB90_11:
	s_or_b32 exec_lo, exec_lo, s1
	v_dual_mov_b32 v107, 0 :: v_dual_mov_b32 v104, 2
.LBB90_12:
	s_or_b32 exec_lo, exec_lo, s0
	s_delay_alu instid0(SALU_CYCLE_1)
	s_mov_b32 s0, exec_lo
	v_cmpx_ne_u32_e64 v105, v99
	s_xor_b32 s0, exec_lo, s0
	s_cbranch_execz .LBB90_18
; %bb.13:
	s_mov_b32 s1, exec_lo
	v_cmpx_eq_u32_e32 0, v105
	s_cbranch_execz .LBB90_17
; %bb.14:
	v_cmp_ne_u32_e32 vcc_lo, 0, v99
	s_xor_b32 s12, s16, -1
	s_delay_alu instid0(SALU_CYCLE_1) | instskip(NEXT) | instid1(SALU_CYCLE_1)
	s_and_b32 s13, s12, vcc_lo
	s_and_saveexec_b32 s12, s13
	s_cbranch_execz .LBB90_16
; %bb.15:
	v_dual_mov_b32 v108, v99 :: v_dual_ashrrev_i32 v109, 31, v99
	s_delay_alu instid0(VALU_DEP_1)
	v_lshl_add_u64 v[108:109], v[108:109], 2, v[4:5]
	s_clause 0x1
	global_load_b32 v98, v[108:109], off
	global_load_b32 v105, v[4:5], off
	s_wait_loadcnt 0x1
	global_store_b32 v[4:5], v98, off
	s_wait_loadcnt 0x0
	global_store_b32 v[108:109], v105, off
.LBB90_16:
	s_wait_xcnt 0x0
	s_or_b32 exec_lo, exec_lo, s12
	v_mov_b32_e32 v105, v99
.LBB90_17:
	s_or_b32 exec_lo, exec_lo, s1
.LBB90_18:
	s_or_saveexec_b32 s0, s0
	s_delay_alu instid0(VALU_DEP_1)
	v_mov_b32_e32 v106, v105
	s_xor_b32 exec_lo, exec_lo, s0
	s_cbranch_execz .LBB90_20
; %bb.19:
	v_mov_b32_e32 v106, 0
	ds_store_2addr_b64 v102, v[92:93], v[90:91] offset0:1 offset1:2
	ds_store_2addr_b64 v102, v[88:89], v[74:75] offset0:3 offset1:4
	;; [unrolled: 1-line block ×22, first 2 shown]
	ds_store_b64 v102, v[96:97] offset:360
.LBB90_20:
	s_or_b32 exec_lo, exec_lo, s0
	s_delay_alu instid0(SALU_CYCLE_1)
	s_mov_b32 s0, exec_lo
	s_wait_storecnt_dscnt 0x0
	s_barrier_signal -1
	s_barrier_wait -1
	v_cmpx_lt_i32_e32 0, v106
	s_cbranch_execz .LBB90_22
; %bb.21:
	v_pk_mul_f32 v[108:109], v[100:101], v[94:95] op_sel:[1,1] op_sel_hi:[0,1]
	s_delay_alu instid0(VALU_DEP_1)
	v_pk_fma_f32 v[98:99], v[100:101], v[94:95], v[108:109] op_sel_hi:[1,0,1] neg_lo:[0,0,1] neg_hi:[0,0,1]
	v_pk_fma_f32 v[100:101], v[100:101], v[94:95], v[108:109] op_sel_hi:[1,0,1]
	ds_load_2addr_b64 v[108:111], v102 offset0:1 offset1:2
	v_dual_mov_b32 v94, v98 :: v_dual_mov_b32 v95, v101
	s_wait_dscnt 0x0
	v_pk_mul_f32 v[112:113], v[108:109], v[100:101] op_sel:[0,1]
	s_delay_alu instid0(VALU_DEP_1) | instskip(SKIP_1) | instid1(VALU_DEP_1)
	v_pk_fma_f32 v[114:115], v[108:109], v[98:99], v[112:113] op_sel:[0,0,1] op_sel_hi:[1,1,0] neg_lo:[0,0,1] neg_hi:[0,0,1]
	v_pk_fma_f32 v[108:109], v[108:109], v[98:99], v[112:113] op_sel:[0,0,1] op_sel_hi:[1,0,0]
	v_mov_b32_e32 v115, v109
	v_pk_mul_f32 v[108:109], v[110:111], v[100:101] op_sel:[0,1]
	s_delay_alu instid0(VALU_DEP_1) | instskip(SKIP_1) | instid1(VALU_DEP_1)
	v_pk_fma_f32 v[112:113], v[110:111], v[98:99], v[108:109] op_sel:[0,0,1] op_sel_hi:[1,1,0] neg_lo:[0,0,1] neg_hi:[0,0,1]
	v_pk_fma_f32 v[108:109], v[110:111], v[98:99], v[108:109] op_sel:[0,0,1] op_sel_hi:[1,0,0]
	v_mov_b32_e32 v113, v109
	ds_load_2addr_b64 v[108:111], v102 offset0:3 offset1:4
	v_pk_add_f32 v[92:93], v[92:93], v[114:115] neg_lo:[0,1] neg_hi:[0,1]
	v_pk_add_f32 v[90:91], v[90:91], v[112:113] neg_lo:[0,1] neg_hi:[0,1]
	s_wait_dscnt 0x0
	v_pk_mul_f32 v[112:113], v[108:109], v[100:101] op_sel:[0,1]
	s_delay_alu instid0(VALU_DEP_1) | instskip(SKIP_2) | instid1(VALU_DEP_2)
	v_pk_fma_f32 v[114:115], v[108:109], v[98:99], v[112:113] op_sel:[0,0,1] op_sel_hi:[1,1,0] neg_lo:[0,0,1] neg_hi:[0,0,1]
	v_pk_fma_f32 v[108:109], v[108:109], v[98:99], v[112:113] op_sel:[0,0,1] op_sel_hi:[1,0,0]
	v_dual_mul_f32 v112, v111, v101 :: v_dual_mov_b32 v108, v111
	v_dual_mov_b32 v115, v109 :: v_dual_mov_b32 v109, v110
	s_delay_alu instid0(VALU_DEP_2) | instskip(SKIP_1) | instid1(VALU_DEP_3)
	v_pk_fma_f32 v[112:113], v[110:111], v[94:95], v[112:113] op_sel_hi:[1,1,0] neg_lo:[0,0,1] neg_hi:[0,0,1]
	v_mul_f32_e32 v110, v111, v98
	v_pk_add_f32 v[88:89], v[88:89], v[114:115] neg_lo:[0,1] neg_hi:[0,1]
	s_delay_alu instid0(VALU_DEP_2) | instskip(NEXT) | instid1(VALU_DEP_1)
	v_pk_fma_f32 v[108:109], v[108:109], v[94:95], v[110:111] op_sel_hi:[1,1,0]
	v_mov_b32_e32 v113, v109
	ds_load_2addr_b64 v[108:111], v102 offset0:5 offset1:6
	v_pk_add_f32 v[74:75], v[74:75], v[112:113] neg_lo:[0,1] neg_hi:[0,1]
	s_wait_dscnt 0x0
	v_pk_mul_f32 v[112:113], v[108:109], v[100:101] op_sel:[0,1]
	s_delay_alu instid0(VALU_DEP_1) | instskip(SKIP_1) | instid1(VALU_DEP_1)
	v_pk_fma_f32 v[114:115], v[108:109], v[98:99], v[112:113] op_sel:[0,0,1] op_sel_hi:[1,1,0] neg_lo:[0,0,1] neg_hi:[0,0,1]
	v_pk_fma_f32 v[108:109], v[108:109], v[98:99], v[112:113] op_sel:[0,0,1] op_sel_hi:[1,0,0]
	v_mov_b32_e32 v115, v109
	v_pk_mul_f32 v[108:109], v[110:111], v[100:101] op_sel:[0,1]
	s_delay_alu instid0(VALU_DEP_1) | instskip(SKIP_1) | instid1(VALU_DEP_1)
	v_pk_fma_f32 v[112:113], v[110:111], v[98:99], v[108:109] op_sel:[0,0,1] op_sel_hi:[1,1,0] neg_lo:[0,0,1] neg_hi:[0,0,1]
	v_pk_fma_f32 v[108:109], v[110:111], v[98:99], v[108:109] op_sel:[0,0,1] op_sel_hi:[1,0,0]
	v_mov_b32_e32 v113, v109
	ds_load_2addr_b64 v[108:111], v102 offset0:7 offset1:8
	v_pk_add_f32 v[22:23], v[22:23], v[114:115] neg_lo:[0,1] neg_hi:[0,1]
	v_pk_add_f32 v[26:27], v[26:27], v[112:113] neg_lo:[0,1] neg_hi:[0,1]
	s_wait_dscnt 0x0
	v_pk_mul_f32 v[112:113], v[108:109], v[100:101] op_sel:[0,1]
	s_delay_alu instid0(VALU_DEP_1) | instskip(SKIP_1) | instid1(VALU_DEP_1)
	v_pk_fma_f32 v[114:115], v[108:109], v[98:99], v[112:113] op_sel:[0,0,1] op_sel_hi:[1,1,0] neg_lo:[0,0,1] neg_hi:[0,0,1]
	v_pk_fma_f32 v[108:109], v[108:109], v[98:99], v[112:113] op_sel:[0,0,1] op_sel_hi:[1,0,0]
	v_mov_b32_e32 v115, v109
	v_pk_mul_f32 v[108:109], v[110:111], v[100:101] op_sel:[0,1]
	s_delay_alu instid0(VALU_DEP_1) | instskip(SKIP_1) | instid1(VALU_DEP_1)
	v_pk_fma_f32 v[112:113], v[110:111], v[98:99], v[108:109] op_sel:[0,0,1] op_sel_hi:[1,1,0] neg_lo:[0,0,1] neg_hi:[0,0,1]
	v_pk_fma_f32 v[108:109], v[110:111], v[98:99], v[108:109] op_sel:[0,0,1] op_sel_hi:[1,0,0]
	v_mov_b32_e32 v113, v109
	ds_load_2addr_b64 v[108:111], v102 offset0:9 offset1:10
	v_pk_add_f32 v[20:21], v[20:21], v[114:115] neg_lo:[0,1] neg_hi:[0,1]
	v_pk_add_f32 v[78:79], v[78:79], v[112:113] neg_lo:[0,1] neg_hi:[0,1]
	s_wait_dscnt 0x0
	v_dual_mul_f32 v112, v109, v101 :: v_dual_mul_f32 v114, v109, v98
	s_delay_alu instid0(VALU_DEP_1) | instskip(NEXT) | instid1(VALU_DEP_2)
	v_pk_fma_f32 v[112:113], v[108:109], v[94:95], v[112:113] op_sel_hi:[1,1,0] neg_lo:[0,0,1] neg_hi:[0,0,1]
	v_pk_fma_f32 v[108:109], v[108:109], v[94:95], v[114:115] op_sel:[1,0,0] op_sel_hi:[0,1,0]
	s_delay_alu instid0(VALU_DEP_1) | instskip(SKIP_1) | instid1(VALU_DEP_2)
	v_mov_b32_e32 v113, v109
	v_pk_mul_f32 v[108:109], v[110:111], v[100:101] op_sel:[0,1]
	v_pk_add_f32 v[34:35], v[34:35], v[112:113] neg_lo:[0,1] neg_hi:[0,1]
	s_delay_alu instid0(VALU_DEP_2) | instskip(SKIP_1) | instid1(VALU_DEP_1)
	v_pk_fma_f32 v[112:113], v[110:111], v[98:99], v[108:109] op_sel:[0,0,1] op_sel_hi:[1,1,0] neg_lo:[0,0,1] neg_hi:[0,0,1]
	v_pk_fma_f32 v[108:109], v[110:111], v[98:99], v[108:109] op_sel:[0,0,1] op_sel_hi:[1,0,0]
	v_mov_b32_e32 v113, v109
	ds_load_2addr_b64 v[108:111], v102 offset0:11 offset1:12
	v_pk_add_f32 v[38:39], v[38:39], v[112:113] neg_lo:[0,1] neg_hi:[0,1]
	s_wait_dscnt 0x0
	v_pk_mul_f32 v[112:113], v[108:109], v[100:101] op_sel:[0,1]
	s_delay_alu instid0(VALU_DEP_1) | instskip(SKIP_1) | instid1(VALU_DEP_1)
	v_pk_fma_f32 v[114:115], v[108:109], v[98:99], v[112:113] op_sel:[0,0,1] op_sel_hi:[1,1,0] neg_lo:[0,0,1] neg_hi:[0,0,1]
	v_pk_fma_f32 v[108:109], v[108:109], v[98:99], v[112:113] op_sel:[0,0,1] op_sel_hi:[1,0,0]
	v_mov_b32_e32 v115, v109
	v_pk_mul_f32 v[108:109], v[110:111], v[100:101] op_sel:[0,1]
	s_delay_alu instid0(VALU_DEP_2) | instskip(NEXT) | instid1(VALU_DEP_2)
	v_pk_add_f32 v[32:33], v[32:33], v[114:115] neg_lo:[0,1] neg_hi:[0,1]
	v_pk_fma_f32 v[112:113], v[110:111], v[98:99], v[108:109] op_sel:[0,0,1] op_sel_hi:[1,1,0] neg_lo:[0,0,1] neg_hi:[0,0,1]
	v_pk_fma_f32 v[108:109], v[110:111], v[98:99], v[108:109] op_sel:[0,0,1] op_sel_hi:[1,0,0]
	s_delay_alu instid0(VALU_DEP_1) | instskip(SKIP_4) | instid1(VALU_DEP_1)
	v_mov_b32_e32 v113, v109
	ds_load_2addr_b64 v[108:111], v102 offset0:13 offset1:14
	v_pk_add_f32 v[86:87], v[86:87], v[112:113] neg_lo:[0,1] neg_hi:[0,1]
	s_wait_dscnt 0x0
	v_pk_mul_f32 v[112:113], v[108:109], v[100:101] op_sel:[0,1]
	v_pk_fma_f32 v[114:115], v[108:109], v[98:99], v[112:113] op_sel:[0,0,1] op_sel_hi:[1,1,0] neg_lo:[0,0,1] neg_hi:[0,0,1]
	v_pk_fma_f32 v[108:109], v[108:109], v[98:99], v[112:113] op_sel:[0,0,1] op_sel_hi:[1,0,0]
	v_dual_mul_f32 v112, v111, v101 :: v_dual_mov_b32 v108, v111
	s_delay_alu instid0(VALU_DEP_2) | instskip(NEXT) | instid1(VALU_DEP_2)
	v_dual_mov_b32 v115, v109 :: v_dual_mov_b32 v109, v110
	v_pk_fma_f32 v[112:113], v[110:111], v[94:95], v[112:113] op_sel_hi:[1,1,0] neg_lo:[0,0,1] neg_hi:[0,0,1]
	v_mul_f32_e32 v110, v111, v98
	s_delay_alu instid0(VALU_DEP_3) | instskip(NEXT) | instid1(VALU_DEP_2)
	v_pk_add_f32 v[64:65], v[64:65], v[114:115] neg_lo:[0,1] neg_hi:[0,1]
	v_pk_fma_f32 v[108:109], v[108:109], v[94:95], v[110:111] op_sel_hi:[1,1,0]
	s_delay_alu instid0(VALU_DEP_1) | instskip(SKIP_4) | instid1(VALU_DEP_1)
	v_mov_b32_e32 v113, v109
	ds_load_2addr_b64 v[108:111], v102 offset0:15 offset1:16
	v_pk_add_f32 v[66:67], v[66:67], v[112:113] neg_lo:[0,1] neg_hi:[0,1]
	s_wait_dscnt 0x0
	v_pk_mul_f32 v[112:113], v[108:109], v[100:101] op_sel:[0,1]
	v_pk_fma_f32 v[114:115], v[108:109], v[98:99], v[112:113] op_sel:[0,0,1] op_sel_hi:[1,1,0] neg_lo:[0,0,1] neg_hi:[0,0,1]
	v_pk_fma_f32 v[108:109], v[108:109], v[98:99], v[112:113] op_sel:[0,0,1] op_sel_hi:[1,0,0]
	s_delay_alu instid0(VALU_DEP_1) | instskip(SKIP_1) | instid1(VALU_DEP_1)
	v_mov_b32_e32 v115, v109
	v_pk_mul_f32 v[108:109], v[110:111], v[100:101] op_sel:[0,1]
	v_pk_fma_f32 v[112:113], v[110:111], v[98:99], v[108:109] op_sel:[0,0,1] op_sel_hi:[1,1,0] neg_lo:[0,0,1] neg_hi:[0,0,1]
	v_pk_fma_f32 v[108:109], v[110:111], v[98:99], v[108:109] op_sel:[0,0,1] op_sel_hi:[1,0,0]
	s_delay_alu instid0(VALU_DEP_1)
	v_mov_b32_e32 v113, v109
	ds_load_2addr_b64 v[108:111], v102 offset0:17 offset1:18
	v_pk_add_f32 v[62:63], v[62:63], v[114:115] neg_lo:[0,1] neg_hi:[0,1]
	v_pk_add_f32 v[84:85], v[84:85], v[112:113] neg_lo:[0,1] neg_hi:[0,1]
	s_wait_dscnt 0x0
	v_pk_mul_f32 v[112:113], v[108:109], v[100:101] op_sel:[0,1]
	s_delay_alu instid0(VALU_DEP_1) | instskip(SKIP_1) | instid1(VALU_DEP_1)
	v_pk_fma_f32 v[114:115], v[108:109], v[98:99], v[112:113] op_sel:[0,0,1] op_sel_hi:[1,1,0] neg_lo:[0,0,1] neg_hi:[0,0,1]
	v_pk_fma_f32 v[108:109], v[108:109], v[98:99], v[112:113] op_sel:[0,0,1] op_sel_hi:[1,0,0]
	v_mov_b32_e32 v115, v109
	v_pk_mul_f32 v[108:109], v[110:111], v[100:101] op_sel:[0,1]
	s_delay_alu instid0(VALU_DEP_1) | instskip(SKIP_1) | instid1(VALU_DEP_1)
	v_pk_fma_f32 v[112:113], v[110:111], v[98:99], v[108:109] op_sel:[0,0,1] op_sel_hi:[1,1,0] neg_lo:[0,0,1] neg_hi:[0,0,1]
	v_pk_fma_f32 v[108:109], v[110:111], v[98:99], v[108:109] op_sel:[0,0,1] op_sel_hi:[1,0,0]
	v_mov_b32_e32 v113, v109
	ds_load_2addr_b64 v[108:111], v102 offset0:19 offset1:20
	v_pk_add_f32 v[58:59], v[58:59], v[114:115] neg_lo:[0,1] neg_hi:[0,1]
	v_pk_add_f32 v[60:61], v[60:61], v[112:113] neg_lo:[0,1] neg_hi:[0,1]
	s_wait_dscnt 0x0
	v_dual_mul_f32 v112, v109, v101 :: v_dual_mul_f32 v114, v109, v98
	s_delay_alu instid0(VALU_DEP_1) | instskip(NEXT) | instid1(VALU_DEP_2)
	v_pk_fma_f32 v[112:113], v[108:109], v[94:95], v[112:113] op_sel_hi:[1,1,0] neg_lo:[0,0,1] neg_hi:[0,0,1]
	v_pk_fma_f32 v[108:109], v[108:109], v[94:95], v[114:115] op_sel:[1,0,0] op_sel_hi:[0,1,0]
	s_delay_alu instid0(VALU_DEP_1) | instskip(SKIP_1) | instid1(VALU_DEP_2)
	v_mov_b32_e32 v113, v109
	v_pk_mul_f32 v[108:109], v[110:111], v[100:101] op_sel:[0,1]
	v_pk_add_f32 v[56:57], v[56:57], v[112:113] neg_lo:[0,1] neg_hi:[0,1]
	s_delay_alu instid0(VALU_DEP_2) | instskip(SKIP_1) | instid1(VALU_DEP_1)
	v_pk_fma_f32 v[112:113], v[110:111], v[98:99], v[108:109] op_sel:[0,0,1] op_sel_hi:[1,1,0] neg_lo:[0,0,1] neg_hi:[0,0,1]
	v_pk_fma_f32 v[108:109], v[110:111], v[98:99], v[108:109] op_sel:[0,0,1] op_sel_hi:[1,0,0]
	v_mov_b32_e32 v113, v109
	ds_load_2addr_b64 v[108:111], v102 offset0:21 offset1:22
	v_pk_add_f32 v[82:83], v[82:83], v[112:113] neg_lo:[0,1] neg_hi:[0,1]
	s_wait_dscnt 0x0
	v_pk_mul_f32 v[112:113], v[108:109], v[100:101] op_sel:[0,1]
	s_delay_alu instid0(VALU_DEP_1) | instskip(SKIP_1) | instid1(VALU_DEP_1)
	v_pk_fma_f32 v[114:115], v[108:109], v[98:99], v[112:113] op_sel:[0,0,1] op_sel_hi:[1,1,0] neg_lo:[0,0,1] neg_hi:[0,0,1]
	v_pk_fma_f32 v[108:109], v[108:109], v[98:99], v[112:113] op_sel:[0,0,1] op_sel_hi:[1,0,0]
	v_mov_b32_e32 v115, v109
	v_pk_mul_f32 v[108:109], v[110:111], v[100:101] op_sel:[0,1]
	s_delay_alu instid0(VALU_DEP_2) | instskip(NEXT) | instid1(VALU_DEP_2)
	v_pk_add_f32 v[50:51], v[50:51], v[114:115] neg_lo:[0,1] neg_hi:[0,1]
	v_pk_fma_f32 v[112:113], v[110:111], v[98:99], v[108:109] op_sel:[0,0,1] op_sel_hi:[1,1,0] neg_lo:[0,0,1] neg_hi:[0,0,1]
	v_pk_fma_f32 v[108:109], v[110:111], v[98:99], v[108:109] op_sel:[0,0,1] op_sel_hi:[1,0,0]
	s_delay_alu instid0(VALU_DEP_1) | instskip(SKIP_4) | instid1(VALU_DEP_1)
	v_mov_b32_e32 v113, v109
	ds_load_2addr_b64 v[108:111], v102 offset0:23 offset1:24
	v_pk_add_f32 v[52:53], v[52:53], v[112:113] neg_lo:[0,1] neg_hi:[0,1]
	s_wait_dscnt 0x0
	v_pk_mul_f32 v[112:113], v[108:109], v[100:101] op_sel:[0,1]
	v_pk_fma_f32 v[114:115], v[108:109], v[98:99], v[112:113] op_sel:[0,0,1] op_sel_hi:[1,1,0] neg_lo:[0,0,1] neg_hi:[0,0,1]
	v_pk_fma_f32 v[108:109], v[108:109], v[98:99], v[112:113] op_sel:[0,0,1] op_sel_hi:[1,0,0]
	v_dual_mul_f32 v112, v111, v101 :: v_dual_mov_b32 v108, v111
	s_delay_alu instid0(VALU_DEP_2) | instskip(NEXT) | instid1(VALU_DEP_2)
	v_dual_mov_b32 v115, v109 :: v_dual_mov_b32 v109, v110
	v_pk_fma_f32 v[112:113], v[110:111], v[94:95], v[112:113] op_sel_hi:[1,1,0] neg_lo:[0,0,1] neg_hi:[0,0,1]
	v_mul_f32_e32 v110, v111, v98
	s_delay_alu instid0(VALU_DEP_3) | instskip(NEXT) | instid1(VALU_DEP_2)
	v_pk_add_f32 v[48:49], v[48:49], v[114:115] neg_lo:[0,1] neg_hi:[0,1]
	v_pk_fma_f32 v[108:109], v[108:109], v[94:95], v[110:111] op_sel_hi:[1,1,0]
	s_delay_alu instid0(VALU_DEP_1) | instskip(SKIP_4) | instid1(VALU_DEP_1)
	v_mov_b32_e32 v113, v109
	ds_load_2addr_b64 v[108:111], v102 offset0:25 offset1:26
	v_pk_add_f32 v[80:81], v[80:81], v[112:113] neg_lo:[0,1] neg_hi:[0,1]
	s_wait_dscnt 0x0
	v_pk_mul_f32 v[112:113], v[108:109], v[100:101] op_sel:[0,1]
	v_pk_fma_f32 v[114:115], v[108:109], v[98:99], v[112:113] op_sel:[0,0,1] op_sel_hi:[1,1,0] neg_lo:[0,0,1] neg_hi:[0,0,1]
	v_pk_fma_f32 v[108:109], v[108:109], v[98:99], v[112:113] op_sel:[0,0,1] op_sel_hi:[1,0,0]
	s_delay_alu instid0(VALU_DEP_1) | instskip(SKIP_1) | instid1(VALU_DEP_1)
	v_mov_b32_e32 v115, v109
	v_pk_mul_f32 v[108:109], v[110:111], v[100:101] op_sel:[0,1]
	v_pk_fma_f32 v[112:113], v[110:111], v[98:99], v[108:109] op_sel:[0,0,1] op_sel_hi:[1,1,0] neg_lo:[0,0,1] neg_hi:[0,0,1]
	v_pk_fma_f32 v[108:109], v[110:111], v[98:99], v[108:109] op_sel:[0,0,1] op_sel_hi:[1,0,0]
	s_delay_alu instid0(VALU_DEP_1)
	v_mov_b32_e32 v113, v109
	ds_load_2addr_b64 v[108:111], v102 offset0:27 offset1:28
	v_pk_add_f32 v[44:45], v[44:45], v[114:115] neg_lo:[0,1] neg_hi:[0,1]
	v_pk_add_f32 v[46:47], v[46:47], v[112:113] neg_lo:[0,1] neg_hi:[0,1]
	s_wait_dscnt 0x0
	v_pk_mul_f32 v[112:113], v[108:109], v[100:101] op_sel:[0,1]
	s_delay_alu instid0(VALU_DEP_1) | instskip(SKIP_1) | instid1(VALU_DEP_1)
	v_pk_fma_f32 v[114:115], v[108:109], v[98:99], v[112:113] op_sel:[0,0,1] op_sel_hi:[1,1,0] neg_lo:[0,0,1] neg_hi:[0,0,1]
	v_pk_fma_f32 v[108:109], v[108:109], v[98:99], v[112:113] op_sel:[0,0,1] op_sel_hi:[1,0,0]
	v_mov_b32_e32 v115, v109
	v_pk_mul_f32 v[108:109], v[110:111], v[100:101] op_sel:[0,1]
	s_delay_alu instid0(VALU_DEP_1) | instskip(SKIP_1) | instid1(VALU_DEP_1)
	v_pk_fma_f32 v[112:113], v[110:111], v[98:99], v[108:109] op_sel:[0,0,1] op_sel_hi:[1,1,0] neg_lo:[0,0,1] neg_hi:[0,0,1]
	v_pk_fma_f32 v[108:109], v[110:111], v[98:99], v[108:109] op_sel:[0,0,1] op_sel_hi:[1,0,0]
	v_mov_b32_e32 v113, v109
	ds_load_2addr_b64 v[108:111], v102 offset0:29 offset1:30
	v_pk_add_f32 v[42:43], v[42:43], v[114:115] neg_lo:[0,1] neg_hi:[0,1]
	v_pk_add_f32 v[76:77], v[76:77], v[112:113] neg_lo:[0,1] neg_hi:[0,1]
	s_wait_dscnt 0x0
	v_dual_mul_f32 v112, v109, v101 :: v_dual_mul_f32 v114, v109, v98
	s_delay_alu instid0(VALU_DEP_1) | instskip(NEXT) | instid1(VALU_DEP_2)
	v_pk_fma_f32 v[112:113], v[108:109], v[94:95], v[112:113] op_sel_hi:[1,1,0] neg_lo:[0,0,1] neg_hi:[0,0,1]
	v_pk_fma_f32 v[108:109], v[108:109], v[94:95], v[114:115] op_sel:[1,0,0] op_sel_hi:[0,1,0]
	s_delay_alu instid0(VALU_DEP_1) | instskip(SKIP_1) | instid1(VALU_DEP_2)
	v_mov_b32_e32 v113, v109
	v_pk_mul_f32 v[108:109], v[110:111], v[100:101] op_sel:[0,1]
	v_pk_add_f32 v[30:31], v[30:31], v[112:113] neg_lo:[0,1] neg_hi:[0,1]
	s_delay_alu instid0(VALU_DEP_2) | instskip(SKIP_1) | instid1(VALU_DEP_1)
	v_pk_fma_f32 v[112:113], v[110:111], v[98:99], v[108:109] op_sel:[0,0,1] op_sel_hi:[1,1,0] neg_lo:[0,0,1] neg_hi:[0,0,1]
	v_pk_fma_f32 v[108:109], v[110:111], v[98:99], v[108:109] op_sel:[0,0,1] op_sel_hi:[1,0,0]
	v_mov_b32_e32 v113, v109
	ds_load_2addr_b64 v[108:111], v102 offset0:31 offset1:32
	v_pk_add_f32 v[36:37], v[36:37], v[112:113] neg_lo:[0,1] neg_hi:[0,1]
	s_wait_dscnt 0x0
	v_pk_mul_f32 v[112:113], v[108:109], v[100:101] op_sel:[0,1]
	s_delay_alu instid0(VALU_DEP_1) | instskip(SKIP_1) | instid1(VALU_DEP_1)
	v_pk_fma_f32 v[114:115], v[108:109], v[98:99], v[112:113] op_sel:[0,0,1] op_sel_hi:[1,1,0] neg_lo:[0,0,1] neg_hi:[0,0,1]
	v_pk_fma_f32 v[108:109], v[108:109], v[98:99], v[112:113] op_sel:[0,0,1] op_sel_hi:[1,0,0]
	v_mov_b32_e32 v115, v109
	v_pk_mul_f32 v[108:109], v[110:111], v[100:101] op_sel:[0,1]
	s_delay_alu instid0(VALU_DEP_2) | instskip(NEXT) | instid1(VALU_DEP_2)
	v_pk_add_f32 v[28:29], v[28:29], v[114:115] neg_lo:[0,1] neg_hi:[0,1]
	v_pk_fma_f32 v[112:113], v[110:111], v[98:99], v[108:109] op_sel:[0,0,1] op_sel_hi:[1,1,0] neg_lo:[0,0,1] neg_hi:[0,0,1]
	v_pk_fma_f32 v[108:109], v[110:111], v[98:99], v[108:109] op_sel:[0,0,1] op_sel_hi:[1,0,0]
	s_delay_alu instid0(VALU_DEP_1) | instskip(SKIP_4) | instid1(VALU_DEP_1)
	v_mov_b32_e32 v113, v109
	ds_load_2addr_b64 v[108:111], v102 offset0:33 offset1:34
	v_pk_add_f32 v[72:73], v[72:73], v[112:113] neg_lo:[0,1] neg_hi:[0,1]
	s_wait_dscnt 0x0
	v_pk_mul_f32 v[112:113], v[108:109], v[100:101] op_sel:[0,1]
	v_pk_fma_f32 v[114:115], v[108:109], v[98:99], v[112:113] op_sel:[0,0,1] op_sel_hi:[1,1,0] neg_lo:[0,0,1] neg_hi:[0,0,1]
	v_pk_fma_f32 v[108:109], v[108:109], v[98:99], v[112:113] op_sel:[0,0,1] op_sel_hi:[1,0,0]
	v_dual_mul_f32 v112, v111, v101 :: v_dual_mov_b32 v108, v111
	s_delay_alu instid0(VALU_DEP_2) | instskip(NEXT) | instid1(VALU_DEP_2)
	v_dual_mov_b32 v115, v109 :: v_dual_mov_b32 v109, v110
	v_pk_fma_f32 v[112:113], v[110:111], v[94:95], v[112:113] op_sel_hi:[1,1,0] neg_lo:[0,0,1] neg_hi:[0,0,1]
	v_mul_f32_e32 v110, v111, v98
	s_delay_alu instid0(VALU_DEP_3) | instskip(NEXT) | instid1(VALU_DEP_2)
	v_pk_add_f32 v[18:19], v[18:19], v[114:115] neg_lo:[0,1] neg_hi:[0,1]
	v_pk_fma_f32 v[108:109], v[108:109], v[94:95], v[110:111] op_sel_hi:[1,1,0]
	s_delay_alu instid0(VALU_DEP_1) | instskip(SKIP_4) | instid1(VALU_DEP_1)
	v_mov_b32_e32 v113, v109
	ds_load_2addr_b64 v[108:111], v102 offset0:35 offset1:36
	v_pk_add_f32 v[24:25], v[24:25], v[112:113] neg_lo:[0,1] neg_hi:[0,1]
	s_wait_dscnt 0x0
	v_pk_mul_f32 v[112:113], v[108:109], v[100:101] op_sel:[0,1]
	v_pk_fma_f32 v[114:115], v[108:109], v[98:99], v[112:113] op_sel:[0,0,1] op_sel_hi:[1,1,0] neg_lo:[0,0,1] neg_hi:[0,0,1]
	v_pk_fma_f32 v[108:109], v[108:109], v[98:99], v[112:113] op_sel:[0,0,1] op_sel_hi:[1,0,0]
	s_delay_alu instid0(VALU_DEP_1) | instskip(SKIP_1) | instid1(VALU_DEP_1)
	v_mov_b32_e32 v115, v109
	v_pk_mul_f32 v[108:109], v[110:111], v[100:101] op_sel:[0,1]
	v_pk_fma_f32 v[112:113], v[110:111], v[98:99], v[108:109] op_sel:[0,0,1] op_sel_hi:[1,1,0] neg_lo:[0,0,1] neg_hi:[0,0,1]
	v_pk_fma_f32 v[108:109], v[110:111], v[98:99], v[108:109] op_sel:[0,0,1] op_sel_hi:[1,0,0]
	s_delay_alu instid0(VALU_DEP_1)
	v_mov_b32_e32 v113, v109
	ds_load_2addr_b64 v[108:111], v102 offset0:37 offset1:38
	v_pk_add_f32 v[16:17], v[16:17], v[114:115] neg_lo:[0,1] neg_hi:[0,1]
	v_pk_add_f32 v[70:71], v[70:71], v[112:113] neg_lo:[0,1] neg_hi:[0,1]
	s_wait_dscnt 0x0
	v_pk_mul_f32 v[112:113], v[108:109], v[100:101] op_sel:[0,1]
	s_delay_alu instid0(VALU_DEP_1) | instskip(SKIP_1) | instid1(VALU_DEP_1)
	v_pk_fma_f32 v[114:115], v[108:109], v[98:99], v[112:113] op_sel:[0,0,1] op_sel_hi:[1,1,0] neg_lo:[0,0,1] neg_hi:[0,0,1]
	v_pk_fma_f32 v[108:109], v[108:109], v[98:99], v[112:113] op_sel:[0,0,1] op_sel_hi:[1,0,0]
	v_mov_b32_e32 v115, v109
	v_pk_mul_f32 v[108:109], v[110:111], v[100:101] op_sel:[0,1]
	s_delay_alu instid0(VALU_DEP_1) | instskip(SKIP_1) | instid1(VALU_DEP_1)
	v_pk_fma_f32 v[112:113], v[110:111], v[98:99], v[108:109] op_sel:[0,0,1] op_sel_hi:[1,1,0] neg_lo:[0,0,1] neg_hi:[0,0,1]
	v_pk_fma_f32 v[108:109], v[110:111], v[98:99], v[108:109] op_sel:[0,0,1] op_sel_hi:[1,0,0]
	v_mov_b32_e32 v113, v109
	ds_load_2addr_b64 v[108:111], v102 offset0:39 offset1:40
	v_pk_add_f32 v[10:11], v[10:11], v[114:115] neg_lo:[0,1] neg_hi:[0,1]
	v_pk_add_f32 v[12:13], v[12:13], v[112:113] neg_lo:[0,1] neg_hi:[0,1]
	s_wait_dscnt 0x0
	v_dual_mul_f32 v112, v109, v101 :: v_dual_mul_f32 v114, v109, v98
	s_delay_alu instid0(VALU_DEP_1) | instskip(NEXT) | instid1(VALU_DEP_2)
	v_pk_fma_f32 v[112:113], v[108:109], v[94:95], v[112:113] op_sel_hi:[1,1,0] neg_lo:[0,0,1] neg_hi:[0,0,1]
	v_pk_fma_f32 v[108:109], v[108:109], v[94:95], v[114:115] op_sel:[1,0,0] op_sel_hi:[0,1,0]
	s_delay_alu instid0(VALU_DEP_1) | instskip(SKIP_1) | instid1(VALU_DEP_2)
	v_mov_b32_e32 v113, v109
	v_pk_mul_f32 v[108:109], v[110:111], v[100:101] op_sel:[0,1]
	v_pk_add_f32 v[8:9], v[8:9], v[112:113] neg_lo:[0,1] neg_hi:[0,1]
	s_delay_alu instid0(VALU_DEP_2) | instskip(SKIP_1) | instid1(VALU_DEP_1)
	v_pk_fma_f32 v[112:113], v[110:111], v[98:99], v[108:109] op_sel:[0,0,1] op_sel_hi:[1,1,0] neg_lo:[0,0,1] neg_hi:[0,0,1]
	v_pk_fma_f32 v[108:109], v[110:111], v[98:99], v[108:109] op_sel:[0,0,1] op_sel_hi:[1,0,0]
	v_mov_b32_e32 v113, v109
	ds_load_2addr_b64 v[108:111], v102 offset0:41 offset1:42
	v_pk_add_f32 v[68:69], v[68:69], v[112:113] neg_lo:[0,1] neg_hi:[0,1]
	s_wait_dscnt 0x0
	v_pk_mul_f32 v[112:113], v[108:109], v[100:101] op_sel:[0,1]
	s_delay_alu instid0(VALU_DEP_1) | instskip(SKIP_1) | instid1(VALU_DEP_1)
	v_pk_fma_f32 v[114:115], v[108:109], v[98:99], v[112:113] op_sel:[0,0,1] op_sel_hi:[1,1,0] neg_lo:[0,0,1] neg_hi:[0,0,1]
	v_pk_fma_f32 v[108:109], v[108:109], v[98:99], v[112:113] op_sel:[0,0,1] op_sel_hi:[1,0,0]
	v_mov_b32_e32 v115, v109
	v_pk_mul_f32 v[108:109], v[110:111], v[100:101] op_sel:[0,1]
	s_delay_alu instid0(VALU_DEP_2) | instskip(NEXT) | instid1(VALU_DEP_2)
	v_pk_add_f32 v[6:7], v[6:7], v[114:115] neg_lo:[0,1] neg_hi:[0,1]
	v_pk_fma_f32 v[112:113], v[110:111], v[98:99], v[108:109] op_sel:[0,0,1] op_sel_hi:[1,1,0] neg_lo:[0,0,1] neg_hi:[0,0,1]
	v_pk_fma_f32 v[108:109], v[110:111], v[98:99], v[108:109] op_sel:[0,0,1] op_sel_hi:[1,0,0]
	s_delay_alu instid0(VALU_DEP_1) | instskip(SKIP_4) | instid1(VALU_DEP_1)
	v_mov_b32_e32 v113, v109
	ds_load_2addr_b64 v[108:111], v102 offset0:43 offset1:44
	v_pk_add_f32 v[54:55], v[54:55], v[112:113] neg_lo:[0,1] neg_hi:[0,1]
	s_wait_dscnt 0x0
	v_pk_mul_f32 v[112:113], v[108:109], v[100:101] op_sel:[0,1]
	v_pk_fma_f32 v[114:115], v[108:109], v[98:99], v[112:113] op_sel:[0,0,1] op_sel_hi:[1,1,0] neg_lo:[0,0,1] neg_hi:[0,0,1]
	v_pk_fma_f32 v[108:109], v[108:109], v[98:99], v[112:113] op_sel:[0,0,1] op_sel_hi:[1,0,0]
	v_dual_mul_f32 v112, v111, v101 :: v_dual_mov_b32 v108, v111
	s_delay_alu instid0(VALU_DEP_2) | instskip(NEXT) | instid1(VALU_DEP_2)
	v_dual_mov_b32 v115, v109 :: v_dual_mov_b32 v109, v110
	v_pk_fma_f32 v[112:113], v[110:111], v[94:95], v[112:113] op_sel_hi:[1,1,0] neg_lo:[0,0,1] neg_hi:[0,0,1]
	v_mul_f32_e32 v110, v111, v98
	s_delay_alu instid0(VALU_DEP_3) | instskip(NEXT) | instid1(VALU_DEP_2)
	v_pk_add_f32 v[40:41], v[40:41], v[114:115] neg_lo:[0,1] neg_hi:[0,1]
	v_pk_fma_f32 v[108:109], v[108:109], v[94:95], v[110:111] op_sel_hi:[1,1,0]
	s_delay_alu instid0(VALU_DEP_1) | instskip(SKIP_4) | instid1(VALU_DEP_1)
	v_mov_b32_e32 v113, v109
	ds_load_b64 v[108:109], v102 offset:360
	v_pk_add_f32 v[14:15], v[14:15], v[112:113] neg_lo:[0,1] neg_hi:[0,1]
	s_wait_dscnt 0x0
	v_pk_mul_f32 v[100:101], v[108:109], v[100:101] op_sel:[0,1]
	v_pk_fma_f32 v[110:111], v[108:109], v[98:99], v[100:101] op_sel:[0,0,1] op_sel_hi:[1,1,0] neg_lo:[0,0,1] neg_hi:[0,0,1]
	v_pk_fma_f32 v[98:99], v[108:109], v[98:99], v[100:101] op_sel:[0,0,1] op_sel_hi:[1,0,0]
	s_delay_alu instid0(VALU_DEP_1) | instskip(NEXT) | instid1(VALU_DEP_1)
	v_mov_b32_e32 v111, v99
	v_pk_add_f32 v[96:97], v[96:97], v[110:111] neg_lo:[0,1] neg_hi:[0,1]
.LBB90_22:
	s_or_b32 exec_lo, exec_lo, s0
	v_lshl_add_u32 v98, v106, 3, v102
	s_barrier_signal -1
	s_barrier_wait -1
	ds_store_b64 v98, v[92:93]
	s_wait_dscnt 0x0
	s_barrier_signal -1
	s_barrier_wait -1
	ds_load_b64 v[100:101], v102 offset:8
	v_mov_b32_e32 v98, 1
	s_cmp_lt_i32 s18, 3
	s_cbranch_scc1 .LBB90_25
; %bb.23:
	v_add3_u32 v99, v103, 0, 16
	v_mov_b32_e32 v98, 1
	s_mov_b32 s0, 2
.LBB90_24:                              ; =>This Inner Loop Header: Depth=1
	ds_load_b64 v[108:109], v99
	s_wait_dscnt 0x1
	v_cmp_gt_f32_e32 vcc_lo, 0, v100
	v_cndmask_b32_e64 v110, v100, -v100, vcc_lo
	v_cmp_gt_f32_e32 vcc_lo, 0, v101
	v_cndmask_b32_e64 v112, v101, -v101, vcc_lo
	s_wait_dscnt 0x0
	v_cmp_gt_f32_e32 vcc_lo, 0, v108
	v_cndmask_b32_e64 v111, v108, -v108, vcc_lo
	v_cmp_gt_f32_e32 vcc_lo, 0, v109
	v_cndmask_b32_e64 v113, v109, -v109, vcc_lo
	s_delay_alu instid0(VALU_DEP_1) | instskip(NEXT) | instid1(VALU_DEP_1)
	v_pk_add_f32 v[110:111], v[110:111], v[112:113]
	v_cmp_lt_f32_e32 vcc_lo, v110, v111
	v_dual_add_nc_u32 v99, 8, v99 :: v_dual_cndmask_b32 v101, v101, v109, vcc_lo
	v_cndmask_b32_e32 v100, v100, v108, vcc_lo
	v_cndmask_b32_e64 v98, v98, s0, vcc_lo
	s_add_co_i32 s0, s0, 1
	s_delay_alu instid0(SALU_CYCLE_1)
	s_cmp_lg_u32 s18, s0
	s_cbranch_scc1 .LBB90_24
.LBB90_25:
	s_wait_dscnt 0x0
	v_cmp_neq_f32_e32 vcc_lo, 0, v100
	v_cmp_neq_f32_e64 s0, 0, v101
	s_or_b32 s1, vcc_lo, s0
	s_delay_alu instid0(SALU_CYCLE_1)
	s_and_saveexec_b32 s0, s1
	s_cbranch_execz .LBB90_31
; %bb.26:
	v_cmp_ngt_f32_e64 s1, |v100|, |v101|
	s_and_saveexec_b32 s12, s1
	s_delay_alu instid0(SALU_CYCLE_1)
	s_xor_b32 s1, exec_lo, s12
	s_cbranch_execz .LBB90_28
; %bb.27:
	v_div_scale_f32 v99, null, v101, v101, v100
	v_div_scale_f32 v109, vcc_lo, v100, v101, v100
	s_delay_alu instid0(VALU_DEP_2) | instskip(SKIP_1) | instid1(TRANS32_DEP_1)
	v_rcp_f32_e32 v104, v99
	v_nop
	v_fma_f32 v108, -v99, v104, 1.0
	s_delay_alu instid0(VALU_DEP_1) | instskip(NEXT) | instid1(VALU_DEP_1)
	v_fmac_f32_e32 v104, v108, v104
	v_mul_f32_e32 v108, v109, v104
	s_delay_alu instid0(VALU_DEP_1) | instskip(NEXT) | instid1(VALU_DEP_1)
	v_fma_f32 v110, -v99, v108, v109
	v_fmac_f32_e32 v108, v110, v104
	s_delay_alu instid0(VALU_DEP_1) | instskip(NEXT) | instid1(VALU_DEP_1)
	v_fma_f32 v99, -v99, v108, v109
	v_div_fmas_f32 v99, v99, v104, v108
	s_delay_alu instid0(VALU_DEP_1) | instskip(NEXT) | instid1(VALU_DEP_1)
	v_div_fixup_f32 v99, v99, v101, v100
	v_fmac_f32_e32 v101, v100, v99
	s_delay_alu instid0(VALU_DEP_1) | instskip(SKIP_1) | instid1(VALU_DEP_2)
	v_div_scale_f32 v100, null, v101, v101, 1.0
	v_div_scale_f32 v109, vcc_lo, 1.0, v101, 1.0
	v_rcp_f32_e32 v104, v100
	v_nop
	s_delay_alu instid0(TRANS32_DEP_1) | instskip(NEXT) | instid1(VALU_DEP_1)
	v_fma_f32 v108, -v100, v104, 1.0
	v_fmac_f32_e32 v104, v108, v104
	s_delay_alu instid0(VALU_DEP_1) | instskip(NEXT) | instid1(VALU_DEP_1)
	v_mul_f32_e32 v108, v109, v104
	v_fma_f32 v110, -v100, v108, v109
	s_delay_alu instid0(VALU_DEP_1) | instskip(NEXT) | instid1(VALU_DEP_1)
	v_fmac_f32_e32 v108, v110, v104
	v_fma_f32 v100, -v100, v108, v109
	s_delay_alu instid0(VALU_DEP_1) | instskip(NEXT) | instid1(VALU_DEP_1)
	v_div_fmas_f32 v100, v100, v104, v108
	v_div_fixup_f32 v101, v100, v101, 1.0
	s_delay_alu instid0(VALU_DEP_1)
	v_mul_f32_e32 v100, v99, v101
	v_xor_b32_e32 v101, 0x80000000, v101
.LBB90_28:
	s_and_not1_saveexec_b32 s1, s1
	s_cbranch_execz .LBB90_30
; %bb.29:
	s_delay_alu instid0(VALU_DEP_1) | instskip(SKIP_1) | instid1(VALU_DEP_2)
	v_div_scale_f32 v99, null, v100, v100, v101
	v_div_scale_f32 v109, vcc_lo, v101, v100, v101
	v_rcp_f32_e32 v104, v99
	v_nop
	s_delay_alu instid0(TRANS32_DEP_1) | instskip(NEXT) | instid1(VALU_DEP_1)
	v_fma_f32 v108, -v99, v104, 1.0
	v_fmac_f32_e32 v104, v108, v104
	s_delay_alu instid0(VALU_DEP_1) | instskip(NEXT) | instid1(VALU_DEP_1)
	v_mul_f32_e32 v108, v109, v104
	v_fma_f32 v110, -v99, v108, v109
	s_delay_alu instid0(VALU_DEP_1) | instskip(NEXT) | instid1(VALU_DEP_1)
	v_fmac_f32_e32 v108, v110, v104
	v_fma_f32 v99, -v99, v108, v109
	s_delay_alu instid0(VALU_DEP_1) | instskip(NEXT) | instid1(VALU_DEP_1)
	v_div_fmas_f32 v99, v99, v104, v108
	v_div_fixup_f32 v99, v99, v100, v101
	s_delay_alu instid0(VALU_DEP_1) | instskip(NEXT) | instid1(VALU_DEP_1)
	v_fmac_f32_e32 v100, v101, v99
	v_div_scale_f32 v101, null, v100, v100, 1.0
	s_delay_alu instid0(VALU_DEP_1) | instskip(SKIP_1) | instid1(TRANS32_DEP_1)
	v_rcp_f32_e32 v104, v101
	v_nop
	v_fma_f32 v108, -v101, v104, 1.0
	s_delay_alu instid0(VALU_DEP_1) | instskip(SKIP_1) | instid1(VALU_DEP_1)
	v_fmac_f32_e32 v104, v108, v104
	v_div_scale_f32 v108, vcc_lo, 1.0, v100, 1.0
	v_mul_f32_e32 v109, v108, v104
	s_delay_alu instid0(VALU_DEP_1) | instskip(NEXT) | instid1(VALU_DEP_1)
	v_fma_f32 v110, -v101, v109, v108
	v_fmac_f32_e32 v109, v110, v104
	s_delay_alu instid0(VALU_DEP_1) | instskip(NEXT) | instid1(VALU_DEP_1)
	v_fma_f32 v101, -v101, v109, v108
	v_div_fmas_f32 v101, v101, v104, v109
	s_delay_alu instid0(VALU_DEP_1) | instskip(NEXT) | instid1(VALU_DEP_1)
	v_div_fixup_f32 v100, v101, v100, 1.0
	v_mul_f32_e64 v101, v99, -v100
.LBB90_30:
	s_or_b32 exec_lo, exec_lo, s1
	v_mov_b32_e32 v104, v107
.LBB90_31:
	s_or_b32 exec_lo, exec_lo, s0
	s_delay_alu instid0(SALU_CYCLE_1)
	s_mov_b32 s0, exec_lo
	v_cmpx_ne_u32_e64 v106, v98
	s_xor_b32 s0, exec_lo, s0
	s_cbranch_execz .LBB90_37
; %bb.32:
	s_mov_b32 s1, exec_lo
	v_cmpx_eq_u32_e32 1, v106
	s_cbranch_execz .LBB90_36
; %bb.33:
	v_cmp_ne_u32_e32 vcc_lo, 1, v98
	s_xor_b32 s12, s16, -1
	s_delay_alu instid0(SALU_CYCLE_1) | instskip(NEXT) | instid1(SALU_CYCLE_1)
	s_and_b32 s13, s12, vcc_lo
	s_and_saveexec_b32 s12, s13
	s_cbranch_execz .LBB90_35
; %bb.34:
	v_ashrrev_i32_e32 v99, 31, v98
	s_delay_alu instid0(VALU_DEP_1)
	v_lshl_add_u64 v[106:107], v[98:99], 2, v[4:5]
	s_clause 0x1
	global_load_b32 v99, v[106:107], off
	global_load_b32 v105, v[4:5], off offset:4
	s_wait_loadcnt 0x1
	global_store_b32 v[4:5], v99, off offset:4
	s_wait_loadcnt 0x0
	global_store_b32 v[106:107], v105, off
.LBB90_35:
	s_wait_xcnt 0x0
	s_or_b32 exec_lo, exec_lo, s12
	v_dual_mov_b32 v106, v98 :: v_dual_mov_b32 v105, v98
.LBB90_36:
	s_or_b32 exec_lo, exec_lo, s1
.LBB90_37:
	s_and_not1_saveexec_b32 s0, s0
	s_cbranch_execz .LBB90_39
; %bb.38:
	v_dual_mov_b32 v98, v90 :: v_dual_mov_b32 v99, v91
	v_dual_mov_b32 v106, v88 :: v_dual_mov_b32 v107, v89
	v_dual_mov_b32 v108, v74 :: v_dual_mov_b32 v109, v75
	v_dual_mov_b32 v110, v22 :: v_dual_mov_b32 v111, v23
	v_dual_mov_b32 v112, v26 :: v_dual_mov_b32 v113, v27
	v_dual_mov_b32 v114, v20 :: v_dual_mov_b32 v115, v21
	v_dual_mov_b32 v116, v78 :: v_dual_mov_b32 v117, v79
	v_dual_mov_b32 v118, v34 :: v_dual_mov_b32 v119, v35
	v_dual_mov_b32 v120, v38 :: v_dual_mov_b32 v121, v39
	v_dual_mov_b32 v122, v32 :: v_dual_mov_b32 v123, v33
	v_dual_mov_b32 v124, v86 :: v_dual_mov_b32 v125, v87
	v_dual_mov_b32 v126, v64 :: v_dual_mov_b32 v127, v65
	ds_store_2addr_b64 v102, v[98:99], v[106:107] offset0:2 offset1:3
	ds_store_2addr_b64 v102, v[108:109], v[110:111] offset0:4 offset1:5
	ds_store_2addr_b64 v102, v[112:113], v[114:115] offset0:6 offset1:7
	ds_store_2addr_b64 v102, v[116:117], v[118:119] offset0:8 offset1:9
	ds_store_2addr_b64 v102, v[120:121], v[122:123] offset0:10 offset1:11
	ds_store_2addr_b64 v102, v[124:125], v[126:127] offset0:12 offset1:13
	v_dual_mov_b32 v98, v66 :: v_dual_mov_b32 v99, v67
	v_dual_mov_b32 v106, v62 :: v_dual_mov_b32 v107, v63
	v_dual_mov_b32 v108, v84 :: v_dual_mov_b32 v109, v85
	v_dual_mov_b32 v110, v58 :: v_dual_mov_b32 v111, v59
	v_dual_mov_b32 v112, v60 :: v_dual_mov_b32 v113, v61
	v_dual_mov_b32 v114, v56 :: v_dual_mov_b32 v115, v57
	v_dual_mov_b32 v116, v82 :: v_dual_mov_b32 v117, v83
	v_dual_mov_b32 v118, v50 :: v_dual_mov_b32 v119, v51
	v_dual_mov_b32 v120, v52 :: v_dual_mov_b32 v121, v53
	v_dual_mov_b32 v122, v48 :: v_dual_mov_b32 v123, v49
	v_dual_mov_b32 v124, v80 :: v_dual_mov_b32 v125, v81
	v_dual_mov_b32 v126, v44 :: v_dual_mov_b32 v127, v45
	ds_store_2addr_b64 v102, v[98:99], v[106:107] offset0:14 offset1:15
	ds_store_2addr_b64 v102, v[108:109], v[110:111] offset0:16 offset1:17
	ds_store_2addr_b64 v102, v[112:113], v[114:115] offset0:18 offset1:19
	ds_store_2addr_b64 v102, v[116:117], v[118:119] offset0:20 offset1:21
	ds_store_2addr_b64 v102, v[120:121], v[122:123] offset0:22 offset1:23
	ds_store_2addr_b64 v102, v[124:125], v[126:127] offset0:24 offset1:25
	v_dual_mov_b32 v98, v46 :: v_dual_mov_b32 v99, v47
	v_dual_mov_b32 v106, v42 :: v_dual_mov_b32 v107, v43
	v_dual_mov_b32 v108, v76 :: v_dual_mov_b32 v109, v77
	v_dual_mov_b32 v110, v30 :: v_dual_mov_b32 v111, v31
	v_dual_mov_b32 v112, v36 :: v_dual_mov_b32 v113, v37
	v_dual_mov_b32 v114, v28 :: v_dual_mov_b32 v115, v29
	v_dual_mov_b32 v116, v72 :: v_dual_mov_b32 v117, v73
	v_dual_mov_b32 v118, v18 :: v_dual_mov_b32 v119, v19
	v_dual_mov_b32 v120, v24 :: v_dual_mov_b32 v121, v25
	v_dual_mov_b32 v122, v16 :: v_dual_mov_b32 v123, v17
	v_dual_mov_b32 v124, v70 :: v_dual_mov_b32 v125, v71
	v_dual_mov_b32 v126, v10 :: v_dual_mov_b32 v127, v11
	ds_store_2addr_b64 v102, v[98:99], v[106:107] offset0:26 offset1:27
	ds_store_2addr_b64 v102, v[108:109], v[110:111] offset0:28 offset1:29
	ds_store_2addr_b64 v102, v[112:113], v[114:115] offset0:30 offset1:31
	ds_store_2addr_b64 v102, v[116:117], v[118:119] offset0:32 offset1:33
	ds_store_2addr_b64 v102, v[120:121], v[122:123] offset0:34 offset1:35
	ds_store_2addr_b64 v102, v[124:125], v[126:127] offset0:36 offset1:37
	v_dual_mov_b32 v98, v12 :: v_dual_mov_b32 v99, v13
	v_dual_mov_b32 v108, v8 :: v_dual_mov_b32 v109, v9
	;; [unrolled: 1-line block ×7, first 2 shown]
	v_mov_b32_e32 v119, v15
	ds_store_2addr_b64 v102, v[98:99], v[108:109] offset0:38 offset1:39
	ds_store_2addr_b64 v102, v[110:111], v[112:113] offset0:40 offset1:41
	;; [unrolled: 1-line block ×4, first 2 shown]
.LBB90_39:
	s_or_b32 exec_lo, exec_lo, s0
	s_delay_alu instid0(SALU_CYCLE_1)
	s_mov_b32 s0, exec_lo
	s_wait_storecnt_dscnt 0x0
	s_barrier_signal -1
	s_barrier_wait -1
	v_cmpx_lt_i32_e32 1, v106
	s_cbranch_execz .LBB90_41
; %bb.40:
	v_pk_mul_f32 v[108:109], v[100:101], v[92:93] op_sel:[1,1] op_sel_hi:[0,1]
	s_delay_alu instid0(VALU_DEP_1)
	v_pk_fma_f32 v[98:99], v[100:101], v[92:93], v[108:109] op_sel_hi:[1,0,1] neg_lo:[0,0,1] neg_hi:[0,0,1]
	v_pk_fma_f32 v[100:101], v[100:101], v[92:93], v[108:109] op_sel_hi:[1,0,1]
	ds_load_2addr_b64 v[108:111], v102 offset0:2 offset1:3
	v_dual_mov_b32 v92, v98 :: v_dual_mov_b32 v93, v101
	s_wait_dscnt 0x0
	v_pk_mul_f32 v[112:113], v[108:109], v[100:101] op_sel:[0,1]
	s_delay_alu instid0(VALU_DEP_1) | instskip(SKIP_1) | instid1(VALU_DEP_1)
	v_pk_fma_f32 v[114:115], v[108:109], v[98:99], v[112:113] op_sel:[0,0,1] op_sel_hi:[1,1,0] neg_lo:[0,0,1] neg_hi:[0,0,1]
	v_pk_fma_f32 v[108:109], v[108:109], v[98:99], v[112:113] op_sel:[0,0,1] op_sel_hi:[1,0,0]
	v_mov_b32_e32 v115, v109
	v_pk_mul_f32 v[108:109], v[110:111], v[100:101] op_sel:[0,1]
	s_delay_alu instid0(VALU_DEP_1) | instskip(SKIP_1) | instid1(VALU_DEP_1)
	v_pk_fma_f32 v[112:113], v[110:111], v[98:99], v[108:109] op_sel:[0,0,1] op_sel_hi:[1,1,0] neg_lo:[0,0,1] neg_hi:[0,0,1]
	v_pk_fma_f32 v[108:109], v[110:111], v[98:99], v[108:109] op_sel:[0,0,1] op_sel_hi:[1,0,0]
	v_mov_b32_e32 v113, v109
	ds_load_2addr_b64 v[108:111], v102 offset0:4 offset1:5
	v_pk_add_f32 v[90:91], v[90:91], v[114:115] neg_lo:[0,1] neg_hi:[0,1]
	v_pk_add_f32 v[88:89], v[88:89], v[112:113] neg_lo:[0,1] neg_hi:[0,1]
	s_wait_dscnt 0x0
	v_pk_mul_f32 v[112:113], v[108:109], v[100:101] op_sel:[0,1]
	s_delay_alu instid0(VALU_DEP_1) | instskip(SKIP_2) | instid1(VALU_DEP_2)
	v_pk_fma_f32 v[114:115], v[108:109], v[98:99], v[112:113] op_sel:[0,0,1] op_sel_hi:[1,1,0] neg_lo:[0,0,1] neg_hi:[0,0,1]
	v_pk_fma_f32 v[108:109], v[108:109], v[98:99], v[112:113] op_sel:[0,0,1] op_sel_hi:[1,0,0]
	v_dual_mul_f32 v112, v111, v101 :: v_dual_mov_b32 v108, v111
	v_dual_mov_b32 v115, v109 :: v_dual_mov_b32 v109, v110
	s_delay_alu instid0(VALU_DEP_2) | instskip(SKIP_1) | instid1(VALU_DEP_3)
	v_pk_fma_f32 v[112:113], v[110:111], v[92:93], v[112:113] op_sel_hi:[1,1,0] neg_lo:[0,0,1] neg_hi:[0,0,1]
	v_mul_f32_e32 v110, v111, v98
	v_pk_add_f32 v[74:75], v[74:75], v[114:115] neg_lo:[0,1] neg_hi:[0,1]
	s_delay_alu instid0(VALU_DEP_2) | instskip(NEXT) | instid1(VALU_DEP_1)
	v_pk_fma_f32 v[108:109], v[108:109], v[92:93], v[110:111] op_sel_hi:[1,1,0]
	v_mov_b32_e32 v113, v109
	ds_load_2addr_b64 v[108:111], v102 offset0:6 offset1:7
	v_pk_add_f32 v[22:23], v[22:23], v[112:113] neg_lo:[0,1] neg_hi:[0,1]
	s_wait_dscnt 0x0
	v_pk_mul_f32 v[112:113], v[108:109], v[100:101] op_sel:[0,1]
	s_delay_alu instid0(VALU_DEP_1) | instskip(SKIP_1) | instid1(VALU_DEP_1)
	v_pk_fma_f32 v[114:115], v[108:109], v[98:99], v[112:113] op_sel:[0,0,1] op_sel_hi:[1,1,0] neg_lo:[0,0,1] neg_hi:[0,0,1]
	v_pk_fma_f32 v[108:109], v[108:109], v[98:99], v[112:113] op_sel:[0,0,1] op_sel_hi:[1,0,0]
	v_mov_b32_e32 v115, v109
	v_pk_mul_f32 v[108:109], v[110:111], v[100:101] op_sel:[0,1]
	s_delay_alu instid0(VALU_DEP_1) | instskip(SKIP_1) | instid1(VALU_DEP_1)
	v_pk_fma_f32 v[112:113], v[110:111], v[98:99], v[108:109] op_sel:[0,0,1] op_sel_hi:[1,1,0] neg_lo:[0,0,1] neg_hi:[0,0,1]
	v_pk_fma_f32 v[108:109], v[110:111], v[98:99], v[108:109] op_sel:[0,0,1] op_sel_hi:[1,0,0]
	v_mov_b32_e32 v113, v109
	ds_load_2addr_b64 v[108:111], v102 offset0:8 offset1:9
	v_pk_add_f32 v[26:27], v[26:27], v[114:115] neg_lo:[0,1] neg_hi:[0,1]
	v_pk_add_f32 v[20:21], v[20:21], v[112:113] neg_lo:[0,1] neg_hi:[0,1]
	s_wait_dscnt 0x0
	v_pk_mul_f32 v[112:113], v[108:109], v[100:101] op_sel:[0,1]
	s_delay_alu instid0(VALU_DEP_1) | instskip(SKIP_1) | instid1(VALU_DEP_1)
	v_pk_fma_f32 v[114:115], v[108:109], v[98:99], v[112:113] op_sel:[0,0,1] op_sel_hi:[1,1,0] neg_lo:[0,0,1] neg_hi:[0,0,1]
	v_pk_fma_f32 v[108:109], v[108:109], v[98:99], v[112:113] op_sel:[0,0,1] op_sel_hi:[1,0,0]
	v_mov_b32_e32 v115, v109
	v_pk_mul_f32 v[108:109], v[110:111], v[100:101] op_sel:[0,1]
	s_delay_alu instid0(VALU_DEP_1) | instskip(SKIP_1) | instid1(VALU_DEP_1)
	v_pk_fma_f32 v[112:113], v[110:111], v[98:99], v[108:109] op_sel:[0,0,1] op_sel_hi:[1,1,0] neg_lo:[0,0,1] neg_hi:[0,0,1]
	v_pk_fma_f32 v[108:109], v[110:111], v[98:99], v[108:109] op_sel:[0,0,1] op_sel_hi:[1,0,0]
	v_mov_b32_e32 v113, v109
	ds_load_2addr_b64 v[108:111], v102 offset0:10 offset1:11
	v_pk_add_f32 v[78:79], v[78:79], v[114:115] neg_lo:[0,1] neg_hi:[0,1]
	v_pk_add_f32 v[34:35], v[34:35], v[112:113] neg_lo:[0,1] neg_hi:[0,1]
	s_wait_dscnt 0x0
	v_dual_mul_f32 v112, v109, v101 :: v_dual_mul_f32 v114, v109, v98
	s_delay_alu instid0(VALU_DEP_1) | instskip(NEXT) | instid1(VALU_DEP_2)
	v_pk_fma_f32 v[112:113], v[108:109], v[92:93], v[112:113] op_sel_hi:[1,1,0] neg_lo:[0,0,1] neg_hi:[0,0,1]
	v_pk_fma_f32 v[108:109], v[108:109], v[92:93], v[114:115] op_sel:[1,0,0] op_sel_hi:[0,1,0]
	s_delay_alu instid0(VALU_DEP_1) | instskip(SKIP_1) | instid1(VALU_DEP_2)
	v_mov_b32_e32 v113, v109
	v_pk_mul_f32 v[108:109], v[110:111], v[100:101] op_sel:[0,1]
	v_pk_add_f32 v[38:39], v[38:39], v[112:113] neg_lo:[0,1] neg_hi:[0,1]
	s_delay_alu instid0(VALU_DEP_2) | instskip(SKIP_1) | instid1(VALU_DEP_1)
	v_pk_fma_f32 v[112:113], v[110:111], v[98:99], v[108:109] op_sel:[0,0,1] op_sel_hi:[1,1,0] neg_lo:[0,0,1] neg_hi:[0,0,1]
	v_pk_fma_f32 v[108:109], v[110:111], v[98:99], v[108:109] op_sel:[0,0,1] op_sel_hi:[1,0,0]
	v_mov_b32_e32 v113, v109
	ds_load_2addr_b64 v[108:111], v102 offset0:12 offset1:13
	v_pk_add_f32 v[32:33], v[32:33], v[112:113] neg_lo:[0,1] neg_hi:[0,1]
	s_wait_dscnt 0x0
	v_pk_mul_f32 v[112:113], v[108:109], v[100:101] op_sel:[0,1]
	s_delay_alu instid0(VALU_DEP_1) | instskip(SKIP_1) | instid1(VALU_DEP_1)
	v_pk_fma_f32 v[114:115], v[108:109], v[98:99], v[112:113] op_sel:[0,0,1] op_sel_hi:[1,1,0] neg_lo:[0,0,1] neg_hi:[0,0,1]
	v_pk_fma_f32 v[108:109], v[108:109], v[98:99], v[112:113] op_sel:[0,0,1] op_sel_hi:[1,0,0]
	v_mov_b32_e32 v115, v109
	v_pk_mul_f32 v[108:109], v[110:111], v[100:101] op_sel:[0,1]
	s_delay_alu instid0(VALU_DEP_2) | instskip(NEXT) | instid1(VALU_DEP_2)
	v_pk_add_f32 v[86:87], v[86:87], v[114:115] neg_lo:[0,1] neg_hi:[0,1]
	v_pk_fma_f32 v[112:113], v[110:111], v[98:99], v[108:109] op_sel:[0,0,1] op_sel_hi:[1,1,0] neg_lo:[0,0,1] neg_hi:[0,0,1]
	v_pk_fma_f32 v[108:109], v[110:111], v[98:99], v[108:109] op_sel:[0,0,1] op_sel_hi:[1,0,0]
	s_delay_alu instid0(VALU_DEP_1) | instskip(SKIP_4) | instid1(VALU_DEP_1)
	v_mov_b32_e32 v113, v109
	ds_load_2addr_b64 v[108:111], v102 offset0:14 offset1:15
	v_pk_add_f32 v[64:65], v[64:65], v[112:113] neg_lo:[0,1] neg_hi:[0,1]
	s_wait_dscnt 0x0
	v_pk_mul_f32 v[112:113], v[108:109], v[100:101] op_sel:[0,1]
	v_pk_fma_f32 v[114:115], v[108:109], v[98:99], v[112:113] op_sel:[0,0,1] op_sel_hi:[1,1,0] neg_lo:[0,0,1] neg_hi:[0,0,1]
	v_pk_fma_f32 v[108:109], v[108:109], v[98:99], v[112:113] op_sel:[0,0,1] op_sel_hi:[1,0,0]
	v_dual_mul_f32 v112, v111, v101 :: v_dual_mov_b32 v108, v111
	s_delay_alu instid0(VALU_DEP_2) | instskip(NEXT) | instid1(VALU_DEP_2)
	v_dual_mov_b32 v115, v109 :: v_dual_mov_b32 v109, v110
	v_pk_fma_f32 v[112:113], v[110:111], v[92:93], v[112:113] op_sel_hi:[1,1,0] neg_lo:[0,0,1] neg_hi:[0,0,1]
	v_mul_f32_e32 v110, v111, v98
	s_delay_alu instid0(VALU_DEP_3) | instskip(NEXT) | instid1(VALU_DEP_2)
	v_pk_add_f32 v[66:67], v[66:67], v[114:115] neg_lo:[0,1] neg_hi:[0,1]
	v_pk_fma_f32 v[108:109], v[108:109], v[92:93], v[110:111] op_sel_hi:[1,1,0]
	s_delay_alu instid0(VALU_DEP_1) | instskip(SKIP_4) | instid1(VALU_DEP_1)
	v_mov_b32_e32 v113, v109
	ds_load_2addr_b64 v[108:111], v102 offset0:16 offset1:17
	v_pk_add_f32 v[62:63], v[62:63], v[112:113] neg_lo:[0,1] neg_hi:[0,1]
	s_wait_dscnt 0x0
	v_pk_mul_f32 v[112:113], v[108:109], v[100:101] op_sel:[0,1]
	v_pk_fma_f32 v[114:115], v[108:109], v[98:99], v[112:113] op_sel:[0,0,1] op_sel_hi:[1,1,0] neg_lo:[0,0,1] neg_hi:[0,0,1]
	v_pk_fma_f32 v[108:109], v[108:109], v[98:99], v[112:113] op_sel:[0,0,1] op_sel_hi:[1,0,0]
	s_delay_alu instid0(VALU_DEP_1) | instskip(SKIP_1) | instid1(VALU_DEP_1)
	v_mov_b32_e32 v115, v109
	v_pk_mul_f32 v[108:109], v[110:111], v[100:101] op_sel:[0,1]
	v_pk_fma_f32 v[112:113], v[110:111], v[98:99], v[108:109] op_sel:[0,0,1] op_sel_hi:[1,1,0] neg_lo:[0,0,1] neg_hi:[0,0,1]
	v_pk_fma_f32 v[108:109], v[110:111], v[98:99], v[108:109] op_sel:[0,0,1] op_sel_hi:[1,0,0]
	s_delay_alu instid0(VALU_DEP_1)
	v_mov_b32_e32 v113, v109
	ds_load_2addr_b64 v[108:111], v102 offset0:18 offset1:19
	v_pk_add_f32 v[84:85], v[84:85], v[114:115] neg_lo:[0,1] neg_hi:[0,1]
	v_pk_add_f32 v[58:59], v[58:59], v[112:113] neg_lo:[0,1] neg_hi:[0,1]
	s_wait_dscnt 0x0
	v_pk_mul_f32 v[112:113], v[108:109], v[100:101] op_sel:[0,1]
	s_delay_alu instid0(VALU_DEP_1) | instskip(SKIP_1) | instid1(VALU_DEP_1)
	v_pk_fma_f32 v[114:115], v[108:109], v[98:99], v[112:113] op_sel:[0,0,1] op_sel_hi:[1,1,0] neg_lo:[0,0,1] neg_hi:[0,0,1]
	v_pk_fma_f32 v[108:109], v[108:109], v[98:99], v[112:113] op_sel:[0,0,1] op_sel_hi:[1,0,0]
	v_mov_b32_e32 v115, v109
	v_pk_mul_f32 v[108:109], v[110:111], v[100:101] op_sel:[0,1]
	s_delay_alu instid0(VALU_DEP_1) | instskip(SKIP_1) | instid1(VALU_DEP_1)
	v_pk_fma_f32 v[112:113], v[110:111], v[98:99], v[108:109] op_sel:[0,0,1] op_sel_hi:[1,1,0] neg_lo:[0,0,1] neg_hi:[0,0,1]
	v_pk_fma_f32 v[108:109], v[110:111], v[98:99], v[108:109] op_sel:[0,0,1] op_sel_hi:[1,0,0]
	v_mov_b32_e32 v113, v109
	ds_load_2addr_b64 v[108:111], v102 offset0:20 offset1:21
	v_pk_add_f32 v[60:61], v[60:61], v[114:115] neg_lo:[0,1] neg_hi:[0,1]
	v_pk_add_f32 v[56:57], v[56:57], v[112:113] neg_lo:[0,1] neg_hi:[0,1]
	s_wait_dscnt 0x0
	v_dual_mul_f32 v112, v109, v101 :: v_dual_mul_f32 v114, v109, v98
	s_delay_alu instid0(VALU_DEP_1) | instskip(NEXT) | instid1(VALU_DEP_2)
	v_pk_fma_f32 v[112:113], v[108:109], v[92:93], v[112:113] op_sel_hi:[1,1,0] neg_lo:[0,0,1] neg_hi:[0,0,1]
	v_pk_fma_f32 v[108:109], v[108:109], v[92:93], v[114:115] op_sel:[1,0,0] op_sel_hi:[0,1,0]
	s_delay_alu instid0(VALU_DEP_1) | instskip(SKIP_1) | instid1(VALU_DEP_2)
	v_mov_b32_e32 v113, v109
	v_pk_mul_f32 v[108:109], v[110:111], v[100:101] op_sel:[0,1]
	v_pk_add_f32 v[82:83], v[82:83], v[112:113] neg_lo:[0,1] neg_hi:[0,1]
	s_delay_alu instid0(VALU_DEP_2) | instskip(SKIP_1) | instid1(VALU_DEP_1)
	v_pk_fma_f32 v[112:113], v[110:111], v[98:99], v[108:109] op_sel:[0,0,1] op_sel_hi:[1,1,0] neg_lo:[0,0,1] neg_hi:[0,0,1]
	v_pk_fma_f32 v[108:109], v[110:111], v[98:99], v[108:109] op_sel:[0,0,1] op_sel_hi:[1,0,0]
	v_mov_b32_e32 v113, v109
	ds_load_2addr_b64 v[108:111], v102 offset0:22 offset1:23
	v_pk_add_f32 v[50:51], v[50:51], v[112:113] neg_lo:[0,1] neg_hi:[0,1]
	s_wait_dscnt 0x0
	v_pk_mul_f32 v[112:113], v[108:109], v[100:101] op_sel:[0,1]
	s_delay_alu instid0(VALU_DEP_1) | instskip(SKIP_1) | instid1(VALU_DEP_1)
	v_pk_fma_f32 v[114:115], v[108:109], v[98:99], v[112:113] op_sel:[0,0,1] op_sel_hi:[1,1,0] neg_lo:[0,0,1] neg_hi:[0,0,1]
	v_pk_fma_f32 v[108:109], v[108:109], v[98:99], v[112:113] op_sel:[0,0,1] op_sel_hi:[1,0,0]
	v_mov_b32_e32 v115, v109
	v_pk_mul_f32 v[108:109], v[110:111], v[100:101] op_sel:[0,1]
	s_delay_alu instid0(VALU_DEP_2) | instskip(NEXT) | instid1(VALU_DEP_2)
	v_pk_add_f32 v[52:53], v[52:53], v[114:115] neg_lo:[0,1] neg_hi:[0,1]
	v_pk_fma_f32 v[112:113], v[110:111], v[98:99], v[108:109] op_sel:[0,0,1] op_sel_hi:[1,1,0] neg_lo:[0,0,1] neg_hi:[0,0,1]
	v_pk_fma_f32 v[108:109], v[110:111], v[98:99], v[108:109] op_sel:[0,0,1] op_sel_hi:[1,0,0]
	s_delay_alu instid0(VALU_DEP_1) | instskip(SKIP_4) | instid1(VALU_DEP_1)
	v_mov_b32_e32 v113, v109
	ds_load_2addr_b64 v[108:111], v102 offset0:24 offset1:25
	v_pk_add_f32 v[48:49], v[48:49], v[112:113] neg_lo:[0,1] neg_hi:[0,1]
	s_wait_dscnt 0x0
	v_pk_mul_f32 v[112:113], v[108:109], v[100:101] op_sel:[0,1]
	v_pk_fma_f32 v[114:115], v[108:109], v[98:99], v[112:113] op_sel:[0,0,1] op_sel_hi:[1,1,0] neg_lo:[0,0,1] neg_hi:[0,0,1]
	v_pk_fma_f32 v[108:109], v[108:109], v[98:99], v[112:113] op_sel:[0,0,1] op_sel_hi:[1,0,0]
	v_dual_mul_f32 v112, v111, v101 :: v_dual_mov_b32 v108, v111
	s_delay_alu instid0(VALU_DEP_2) | instskip(NEXT) | instid1(VALU_DEP_2)
	v_dual_mov_b32 v115, v109 :: v_dual_mov_b32 v109, v110
	v_pk_fma_f32 v[112:113], v[110:111], v[92:93], v[112:113] op_sel_hi:[1,1,0] neg_lo:[0,0,1] neg_hi:[0,0,1]
	v_mul_f32_e32 v110, v111, v98
	s_delay_alu instid0(VALU_DEP_3) | instskip(NEXT) | instid1(VALU_DEP_2)
	v_pk_add_f32 v[80:81], v[80:81], v[114:115] neg_lo:[0,1] neg_hi:[0,1]
	v_pk_fma_f32 v[108:109], v[108:109], v[92:93], v[110:111] op_sel_hi:[1,1,0]
	s_delay_alu instid0(VALU_DEP_1) | instskip(SKIP_4) | instid1(VALU_DEP_1)
	v_mov_b32_e32 v113, v109
	ds_load_2addr_b64 v[108:111], v102 offset0:26 offset1:27
	v_pk_add_f32 v[44:45], v[44:45], v[112:113] neg_lo:[0,1] neg_hi:[0,1]
	s_wait_dscnt 0x0
	v_pk_mul_f32 v[112:113], v[108:109], v[100:101] op_sel:[0,1]
	v_pk_fma_f32 v[114:115], v[108:109], v[98:99], v[112:113] op_sel:[0,0,1] op_sel_hi:[1,1,0] neg_lo:[0,0,1] neg_hi:[0,0,1]
	v_pk_fma_f32 v[108:109], v[108:109], v[98:99], v[112:113] op_sel:[0,0,1] op_sel_hi:[1,0,0]
	s_delay_alu instid0(VALU_DEP_1) | instskip(SKIP_1) | instid1(VALU_DEP_1)
	v_mov_b32_e32 v115, v109
	v_pk_mul_f32 v[108:109], v[110:111], v[100:101] op_sel:[0,1]
	v_pk_fma_f32 v[112:113], v[110:111], v[98:99], v[108:109] op_sel:[0,0,1] op_sel_hi:[1,1,0] neg_lo:[0,0,1] neg_hi:[0,0,1]
	v_pk_fma_f32 v[108:109], v[110:111], v[98:99], v[108:109] op_sel:[0,0,1] op_sel_hi:[1,0,0]
	s_delay_alu instid0(VALU_DEP_1)
	v_mov_b32_e32 v113, v109
	ds_load_2addr_b64 v[108:111], v102 offset0:28 offset1:29
	v_pk_add_f32 v[46:47], v[46:47], v[114:115] neg_lo:[0,1] neg_hi:[0,1]
	v_pk_add_f32 v[42:43], v[42:43], v[112:113] neg_lo:[0,1] neg_hi:[0,1]
	s_wait_dscnt 0x0
	v_pk_mul_f32 v[112:113], v[108:109], v[100:101] op_sel:[0,1]
	s_delay_alu instid0(VALU_DEP_1) | instskip(SKIP_1) | instid1(VALU_DEP_1)
	v_pk_fma_f32 v[114:115], v[108:109], v[98:99], v[112:113] op_sel:[0,0,1] op_sel_hi:[1,1,0] neg_lo:[0,0,1] neg_hi:[0,0,1]
	v_pk_fma_f32 v[108:109], v[108:109], v[98:99], v[112:113] op_sel:[0,0,1] op_sel_hi:[1,0,0]
	v_mov_b32_e32 v115, v109
	v_pk_mul_f32 v[108:109], v[110:111], v[100:101] op_sel:[0,1]
	s_delay_alu instid0(VALU_DEP_1) | instskip(SKIP_1) | instid1(VALU_DEP_1)
	v_pk_fma_f32 v[112:113], v[110:111], v[98:99], v[108:109] op_sel:[0,0,1] op_sel_hi:[1,1,0] neg_lo:[0,0,1] neg_hi:[0,0,1]
	v_pk_fma_f32 v[108:109], v[110:111], v[98:99], v[108:109] op_sel:[0,0,1] op_sel_hi:[1,0,0]
	v_mov_b32_e32 v113, v109
	ds_load_2addr_b64 v[108:111], v102 offset0:30 offset1:31
	v_pk_add_f32 v[76:77], v[76:77], v[114:115] neg_lo:[0,1] neg_hi:[0,1]
	v_pk_add_f32 v[30:31], v[30:31], v[112:113] neg_lo:[0,1] neg_hi:[0,1]
	s_wait_dscnt 0x0
	v_dual_mul_f32 v112, v109, v101 :: v_dual_mul_f32 v114, v109, v98
	s_delay_alu instid0(VALU_DEP_1) | instskip(NEXT) | instid1(VALU_DEP_2)
	v_pk_fma_f32 v[112:113], v[108:109], v[92:93], v[112:113] op_sel_hi:[1,1,0] neg_lo:[0,0,1] neg_hi:[0,0,1]
	v_pk_fma_f32 v[108:109], v[108:109], v[92:93], v[114:115] op_sel:[1,0,0] op_sel_hi:[0,1,0]
	s_delay_alu instid0(VALU_DEP_1) | instskip(SKIP_1) | instid1(VALU_DEP_2)
	v_mov_b32_e32 v113, v109
	v_pk_mul_f32 v[108:109], v[110:111], v[100:101] op_sel:[0,1]
	v_pk_add_f32 v[36:37], v[36:37], v[112:113] neg_lo:[0,1] neg_hi:[0,1]
	s_delay_alu instid0(VALU_DEP_2) | instskip(SKIP_1) | instid1(VALU_DEP_1)
	v_pk_fma_f32 v[112:113], v[110:111], v[98:99], v[108:109] op_sel:[0,0,1] op_sel_hi:[1,1,0] neg_lo:[0,0,1] neg_hi:[0,0,1]
	v_pk_fma_f32 v[108:109], v[110:111], v[98:99], v[108:109] op_sel:[0,0,1] op_sel_hi:[1,0,0]
	v_mov_b32_e32 v113, v109
	ds_load_2addr_b64 v[108:111], v102 offset0:32 offset1:33
	v_pk_add_f32 v[28:29], v[28:29], v[112:113] neg_lo:[0,1] neg_hi:[0,1]
	s_wait_dscnt 0x0
	v_pk_mul_f32 v[112:113], v[108:109], v[100:101] op_sel:[0,1]
	s_delay_alu instid0(VALU_DEP_1) | instskip(SKIP_1) | instid1(VALU_DEP_1)
	v_pk_fma_f32 v[114:115], v[108:109], v[98:99], v[112:113] op_sel:[0,0,1] op_sel_hi:[1,1,0] neg_lo:[0,0,1] neg_hi:[0,0,1]
	v_pk_fma_f32 v[108:109], v[108:109], v[98:99], v[112:113] op_sel:[0,0,1] op_sel_hi:[1,0,0]
	v_mov_b32_e32 v115, v109
	v_pk_mul_f32 v[108:109], v[110:111], v[100:101] op_sel:[0,1]
	s_delay_alu instid0(VALU_DEP_2) | instskip(NEXT) | instid1(VALU_DEP_2)
	v_pk_add_f32 v[72:73], v[72:73], v[114:115] neg_lo:[0,1] neg_hi:[0,1]
	v_pk_fma_f32 v[112:113], v[110:111], v[98:99], v[108:109] op_sel:[0,0,1] op_sel_hi:[1,1,0] neg_lo:[0,0,1] neg_hi:[0,0,1]
	v_pk_fma_f32 v[108:109], v[110:111], v[98:99], v[108:109] op_sel:[0,0,1] op_sel_hi:[1,0,0]
	s_delay_alu instid0(VALU_DEP_1) | instskip(SKIP_4) | instid1(VALU_DEP_1)
	v_mov_b32_e32 v113, v109
	ds_load_2addr_b64 v[108:111], v102 offset0:34 offset1:35
	v_pk_add_f32 v[18:19], v[18:19], v[112:113] neg_lo:[0,1] neg_hi:[0,1]
	s_wait_dscnt 0x0
	v_pk_mul_f32 v[112:113], v[108:109], v[100:101] op_sel:[0,1]
	v_pk_fma_f32 v[114:115], v[108:109], v[98:99], v[112:113] op_sel:[0,0,1] op_sel_hi:[1,1,0] neg_lo:[0,0,1] neg_hi:[0,0,1]
	v_pk_fma_f32 v[108:109], v[108:109], v[98:99], v[112:113] op_sel:[0,0,1] op_sel_hi:[1,0,0]
	v_dual_mul_f32 v112, v111, v101 :: v_dual_mov_b32 v108, v111
	s_delay_alu instid0(VALU_DEP_2) | instskip(NEXT) | instid1(VALU_DEP_2)
	v_dual_mov_b32 v115, v109 :: v_dual_mov_b32 v109, v110
	v_pk_fma_f32 v[112:113], v[110:111], v[92:93], v[112:113] op_sel_hi:[1,1,0] neg_lo:[0,0,1] neg_hi:[0,0,1]
	v_mul_f32_e32 v110, v111, v98
	s_delay_alu instid0(VALU_DEP_3) | instskip(NEXT) | instid1(VALU_DEP_2)
	v_pk_add_f32 v[24:25], v[24:25], v[114:115] neg_lo:[0,1] neg_hi:[0,1]
	v_pk_fma_f32 v[108:109], v[108:109], v[92:93], v[110:111] op_sel_hi:[1,1,0]
	s_delay_alu instid0(VALU_DEP_1) | instskip(SKIP_4) | instid1(VALU_DEP_1)
	v_mov_b32_e32 v113, v109
	ds_load_2addr_b64 v[108:111], v102 offset0:36 offset1:37
	v_pk_add_f32 v[16:17], v[16:17], v[112:113] neg_lo:[0,1] neg_hi:[0,1]
	s_wait_dscnt 0x0
	v_pk_mul_f32 v[112:113], v[108:109], v[100:101] op_sel:[0,1]
	v_pk_fma_f32 v[114:115], v[108:109], v[98:99], v[112:113] op_sel:[0,0,1] op_sel_hi:[1,1,0] neg_lo:[0,0,1] neg_hi:[0,0,1]
	v_pk_fma_f32 v[108:109], v[108:109], v[98:99], v[112:113] op_sel:[0,0,1] op_sel_hi:[1,0,0]
	s_delay_alu instid0(VALU_DEP_1) | instskip(SKIP_1) | instid1(VALU_DEP_1)
	v_mov_b32_e32 v115, v109
	v_pk_mul_f32 v[108:109], v[110:111], v[100:101] op_sel:[0,1]
	v_pk_fma_f32 v[112:113], v[110:111], v[98:99], v[108:109] op_sel:[0,0,1] op_sel_hi:[1,1,0] neg_lo:[0,0,1] neg_hi:[0,0,1]
	v_pk_fma_f32 v[108:109], v[110:111], v[98:99], v[108:109] op_sel:[0,0,1] op_sel_hi:[1,0,0]
	s_delay_alu instid0(VALU_DEP_1)
	v_mov_b32_e32 v113, v109
	ds_load_2addr_b64 v[108:111], v102 offset0:38 offset1:39
	v_pk_add_f32 v[70:71], v[70:71], v[114:115] neg_lo:[0,1] neg_hi:[0,1]
	v_pk_add_f32 v[10:11], v[10:11], v[112:113] neg_lo:[0,1] neg_hi:[0,1]
	s_wait_dscnt 0x0
	v_pk_mul_f32 v[112:113], v[108:109], v[100:101] op_sel:[0,1]
	s_delay_alu instid0(VALU_DEP_1) | instskip(SKIP_1) | instid1(VALU_DEP_1)
	v_pk_fma_f32 v[114:115], v[108:109], v[98:99], v[112:113] op_sel:[0,0,1] op_sel_hi:[1,1,0] neg_lo:[0,0,1] neg_hi:[0,0,1]
	v_pk_fma_f32 v[108:109], v[108:109], v[98:99], v[112:113] op_sel:[0,0,1] op_sel_hi:[1,0,0]
	v_mov_b32_e32 v115, v109
	v_pk_mul_f32 v[108:109], v[110:111], v[100:101] op_sel:[0,1]
	s_delay_alu instid0(VALU_DEP_1) | instskip(SKIP_1) | instid1(VALU_DEP_1)
	v_pk_fma_f32 v[112:113], v[110:111], v[98:99], v[108:109] op_sel:[0,0,1] op_sel_hi:[1,1,0] neg_lo:[0,0,1] neg_hi:[0,0,1]
	v_pk_fma_f32 v[108:109], v[110:111], v[98:99], v[108:109] op_sel:[0,0,1] op_sel_hi:[1,0,0]
	v_mov_b32_e32 v113, v109
	ds_load_2addr_b64 v[108:111], v102 offset0:40 offset1:41
	v_pk_add_f32 v[12:13], v[12:13], v[114:115] neg_lo:[0,1] neg_hi:[0,1]
	v_pk_add_f32 v[8:9], v[8:9], v[112:113] neg_lo:[0,1] neg_hi:[0,1]
	s_wait_dscnt 0x0
	v_dual_mul_f32 v112, v109, v101 :: v_dual_mul_f32 v114, v109, v98
	s_delay_alu instid0(VALU_DEP_1) | instskip(NEXT) | instid1(VALU_DEP_2)
	v_pk_fma_f32 v[112:113], v[108:109], v[92:93], v[112:113] op_sel_hi:[1,1,0] neg_lo:[0,0,1] neg_hi:[0,0,1]
	v_pk_fma_f32 v[108:109], v[108:109], v[92:93], v[114:115] op_sel:[1,0,0] op_sel_hi:[0,1,0]
	s_delay_alu instid0(VALU_DEP_1) | instskip(SKIP_1) | instid1(VALU_DEP_2)
	v_mov_b32_e32 v113, v109
	v_pk_mul_f32 v[108:109], v[110:111], v[100:101] op_sel:[0,1]
	v_pk_add_f32 v[68:69], v[68:69], v[112:113] neg_lo:[0,1] neg_hi:[0,1]
	s_delay_alu instid0(VALU_DEP_2) | instskip(SKIP_1) | instid1(VALU_DEP_1)
	v_pk_fma_f32 v[112:113], v[110:111], v[98:99], v[108:109] op_sel:[0,0,1] op_sel_hi:[1,1,0] neg_lo:[0,0,1] neg_hi:[0,0,1]
	v_pk_fma_f32 v[108:109], v[110:111], v[98:99], v[108:109] op_sel:[0,0,1] op_sel_hi:[1,0,0]
	v_mov_b32_e32 v113, v109
	ds_load_2addr_b64 v[108:111], v102 offset0:42 offset1:43
	v_pk_add_f32 v[6:7], v[6:7], v[112:113] neg_lo:[0,1] neg_hi:[0,1]
	s_wait_dscnt 0x0
	v_pk_mul_f32 v[112:113], v[108:109], v[100:101] op_sel:[0,1]
	s_delay_alu instid0(VALU_DEP_1) | instskip(SKIP_1) | instid1(VALU_DEP_1)
	v_pk_fma_f32 v[114:115], v[108:109], v[98:99], v[112:113] op_sel:[0,0,1] op_sel_hi:[1,1,0] neg_lo:[0,0,1] neg_hi:[0,0,1]
	v_pk_fma_f32 v[108:109], v[108:109], v[98:99], v[112:113] op_sel:[0,0,1] op_sel_hi:[1,0,0]
	v_mov_b32_e32 v115, v109
	v_pk_mul_f32 v[108:109], v[110:111], v[100:101] op_sel:[0,1]
	s_delay_alu instid0(VALU_DEP_2) | instskip(NEXT) | instid1(VALU_DEP_2)
	v_pk_add_f32 v[54:55], v[54:55], v[114:115] neg_lo:[0,1] neg_hi:[0,1]
	v_pk_fma_f32 v[112:113], v[110:111], v[98:99], v[108:109] op_sel:[0,0,1] op_sel_hi:[1,1,0] neg_lo:[0,0,1] neg_hi:[0,0,1]
	v_pk_fma_f32 v[108:109], v[110:111], v[98:99], v[108:109] op_sel:[0,0,1] op_sel_hi:[1,0,0]
	s_delay_alu instid0(VALU_DEP_1)
	v_mov_b32_e32 v113, v109
	ds_load_2addr_b64 v[108:111], v102 offset0:44 offset1:45
	v_pk_add_f32 v[40:41], v[40:41], v[112:113] neg_lo:[0,1] neg_hi:[0,1]
	s_wait_dscnt 0x0
	v_pk_mul_f32 v[112:113], v[108:109], v[100:101] op_sel:[0,1]
	v_pk_mul_f32 v[100:101], v[110:111], v[100:101] op_sel:[0,1]
	s_delay_alu instid0(VALU_DEP_2) | instskip(SKIP_1) | instid1(VALU_DEP_1)
	v_pk_fma_f32 v[114:115], v[108:109], v[98:99], v[112:113] op_sel:[0,0,1] op_sel_hi:[1,1,0] neg_lo:[0,0,1] neg_hi:[0,0,1]
	v_pk_fma_f32 v[108:109], v[108:109], v[98:99], v[112:113] op_sel:[0,0,1] op_sel_hi:[1,0,0]
	v_mov_b32_e32 v115, v109
	s_delay_alu instid0(VALU_DEP_4) | instskip(SKIP_1) | instid1(VALU_DEP_3)
	v_pk_fma_f32 v[108:109], v[110:111], v[98:99], v[100:101] op_sel:[0,0,1] op_sel_hi:[1,1,0] neg_lo:[0,0,1] neg_hi:[0,0,1]
	v_pk_fma_f32 v[98:99], v[110:111], v[98:99], v[100:101] op_sel:[0,0,1] op_sel_hi:[1,0,0]
	v_pk_add_f32 v[14:15], v[14:15], v[114:115] neg_lo:[0,1] neg_hi:[0,1]
	s_delay_alu instid0(VALU_DEP_2) | instskip(NEXT) | instid1(VALU_DEP_1)
	v_mov_b32_e32 v109, v99
	v_pk_add_f32 v[96:97], v[96:97], v[108:109] neg_lo:[0,1] neg_hi:[0,1]
.LBB90_41:
	s_or_b32 exec_lo, exec_lo, s0
	v_lshl_add_u32 v98, v106, 3, v102
	s_barrier_signal -1
	s_barrier_wait -1
	ds_store_b64 v98, v[90:91]
	s_wait_dscnt 0x0
	s_barrier_signal -1
	s_barrier_wait -1
	ds_load_b64 v[100:101], v102 offset:16
	v_mov_b32_e32 v98, 2
	s_cmp_lt_i32 s18, 4
	s_mov_b32 s0, 3
	s_cbranch_scc1 .LBB90_44
; %bb.42:
	v_add3_u32 v99, v103, 0, 24
	v_mov_b32_e32 v98, 2
.LBB90_43:                              ; =>This Inner Loop Header: Depth=1
	ds_load_b64 v[108:109], v99
	s_wait_dscnt 0x1
	v_cmp_gt_f32_e32 vcc_lo, 0, v100
	v_cndmask_b32_e64 v110, v100, -v100, vcc_lo
	v_cmp_gt_f32_e32 vcc_lo, 0, v101
	v_cndmask_b32_e64 v112, v101, -v101, vcc_lo
	s_wait_dscnt 0x0
	v_cmp_gt_f32_e32 vcc_lo, 0, v108
	v_cndmask_b32_e64 v111, v108, -v108, vcc_lo
	v_cmp_gt_f32_e32 vcc_lo, 0, v109
	v_cndmask_b32_e64 v113, v109, -v109, vcc_lo
	s_delay_alu instid0(VALU_DEP_1) | instskip(NEXT) | instid1(VALU_DEP_1)
	v_pk_add_f32 v[110:111], v[110:111], v[112:113]
	v_cmp_lt_f32_e32 vcc_lo, v110, v111
	v_dual_add_nc_u32 v99, 8, v99 :: v_dual_cndmask_b32 v101, v101, v109, vcc_lo
	v_cndmask_b32_e32 v100, v100, v108, vcc_lo
	v_cndmask_b32_e64 v98, v98, s0, vcc_lo
	s_add_co_i32 s0, s0, 1
	s_delay_alu instid0(SALU_CYCLE_1)
	s_cmp_lg_u32 s18, s0
	s_cbranch_scc1 .LBB90_43
.LBB90_44:
	s_wait_dscnt 0x0
	v_cmp_eq_f32_e32 vcc_lo, 0, v100
	v_cmp_eq_f32_e64 s0, 0, v101
	s_and_b32 s0, vcc_lo, s0
	s_delay_alu instid0(SALU_CYCLE_1) | instskip(NEXT) | instid1(SALU_CYCLE_1)
	s_and_saveexec_b32 s1, s0
	s_xor_b32 s0, exec_lo, s1
; %bb.45:
	v_cmp_ne_u32_e32 vcc_lo, 0, v104
	v_cndmask_b32_e32 v104, 3, v104, vcc_lo
; %bb.46:
	s_and_not1_saveexec_b32 s0, s0
	s_cbranch_execz .LBB90_52
; %bb.47:
	v_cmp_ngt_f32_e64 s1, |v100|, |v101|
	s_and_saveexec_b32 s12, s1
	s_delay_alu instid0(SALU_CYCLE_1)
	s_xor_b32 s1, exec_lo, s12
	s_cbranch_execz .LBB90_49
; %bb.48:
	v_div_scale_f32 v99, null, v101, v101, v100
	v_div_scale_f32 v109, vcc_lo, v100, v101, v100
	s_delay_alu instid0(VALU_DEP_2) | instskip(SKIP_1) | instid1(TRANS32_DEP_1)
	v_rcp_f32_e32 v107, v99
	v_nop
	v_fma_f32 v108, -v99, v107, 1.0
	s_delay_alu instid0(VALU_DEP_1) | instskip(NEXT) | instid1(VALU_DEP_1)
	v_fmac_f32_e32 v107, v108, v107
	v_mul_f32_e32 v108, v109, v107
	s_delay_alu instid0(VALU_DEP_1) | instskip(NEXT) | instid1(VALU_DEP_1)
	v_fma_f32 v110, -v99, v108, v109
	v_fmac_f32_e32 v108, v110, v107
	s_delay_alu instid0(VALU_DEP_1) | instskip(NEXT) | instid1(VALU_DEP_1)
	v_fma_f32 v99, -v99, v108, v109
	v_div_fmas_f32 v99, v99, v107, v108
	s_delay_alu instid0(VALU_DEP_1) | instskip(NEXT) | instid1(VALU_DEP_1)
	v_div_fixup_f32 v99, v99, v101, v100
	v_fmac_f32_e32 v101, v100, v99
	s_delay_alu instid0(VALU_DEP_1) | instskip(SKIP_1) | instid1(VALU_DEP_2)
	v_div_scale_f32 v100, null, v101, v101, 1.0
	v_div_scale_f32 v109, vcc_lo, 1.0, v101, 1.0
	v_rcp_f32_e32 v107, v100
	v_nop
	s_delay_alu instid0(TRANS32_DEP_1) | instskip(NEXT) | instid1(VALU_DEP_1)
	v_fma_f32 v108, -v100, v107, 1.0
	v_fmac_f32_e32 v107, v108, v107
	s_delay_alu instid0(VALU_DEP_1) | instskip(NEXT) | instid1(VALU_DEP_1)
	v_mul_f32_e32 v108, v109, v107
	v_fma_f32 v110, -v100, v108, v109
	s_delay_alu instid0(VALU_DEP_1) | instskip(NEXT) | instid1(VALU_DEP_1)
	v_fmac_f32_e32 v108, v110, v107
	v_fma_f32 v100, -v100, v108, v109
	s_delay_alu instid0(VALU_DEP_1) | instskip(NEXT) | instid1(VALU_DEP_1)
	v_div_fmas_f32 v100, v100, v107, v108
	v_div_fixup_f32 v101, v100, v101, 1.0
	s_delay_alu instid0(VALU_DEP_1)
	v_mul_f32_e32 v100, v99, v101
	v_xor_b32_e32 v101, 0x80000000, v101
.LBB90_49:
	s_and_not1_saveexec_b32 s1, s1
	s_cbranch_execz .LBB90_51
; %bb.50:
	s_delay_alu instid0(VALU_DEP_1) | instskip(SKIP_1) | instid1(VALU_DEP_2)
	v_div_scale_f32 v99, null, v100, v100, v101
	v_div_scale_f32 v109, vcc_lo, v101, v100, v101
	v_rcp_f32_e32 v107, v99
	v_nop
	s_delay_alu instid0(TRANS32_DEP_1) | instskip(NEXT) | instid1(VALU_DEP_1)
	v_fma_f32 v108, -v99, v107, 1.0
	v_fmac_f32_e32 v107, v108, v107
	s_delay_alu instid0(VALU_DEP_1) | instskip(NEXT) | instid1(VALU_DEP_1)
	v_mul_f32_e32 v108, v109, v107
	v_fma_f32 v110, -v99, v108, v109
	s_delay_alu instid0(VALU_DEP_1) | instskip(NEXT) | instid1(VALU_DEP_1)
	v_fmac_f32_e32 v108, v110, v107
	v_fma_f32 v99, -v99, v108, v109
	s_delay_alu instid0(VALU_DEP_1) | instskip(NEXT) | instid1(VALU_DEP_1)
	v_div_fmas_f32 v99, v99, v107, v108
	v_div_fixup_f32 v99, v99, v100, v101
	s_delay_alu instid0(VALU_DEP_1) | instskip(NEXT) | instid1(VALU_DEP_1)
	v_fmac_f32_e32 v100, v101, v99
	v_div_scale_f32 v101, null, v100, v100, 1.0
	s_delay_alu instid0(VALU_DEP_1) | instskip(SKIP_1) | instid1(TRANS32_DEP_1)
	v_rcp_f32_e32 v107, v101
	v_nop
	v_fma_f32 v108, -v101, v107, 1.0
	s_delay_alu instid0(VALU_DEP_1) | instskip(SKIP_1) | instid1(VALU_DEP_1)
	v_fmac_f32_e32 v107, v108, v107
	v_div_scale_f32 v108, vcc_lo, 1.0, v100, 1.0
	v_mul_f32_e32 v109, v108, v107
	s_delay_alu instid0(VALU_DEP_1) | instskip(NEXT) | instid1(VALU_DEP_1)
	v_fma_f32 v110, -v101, v109, v108
	v_fmac_f32_e32 v109, v110, v107
	s_delay_alu instid0(VALU_DEP_1) | instskip(NEXT) | instid1(VALU_DEP_1)
	v_fma_f32 v101, -v101, v109, v108
	v_div_fmas_f32 v101, v101, v107, v109
	s_delay_alu instid0(VALU_DEP_1) | instskip(NEXT) | instid1(VALU_DEP_1)
	v_div_fixup_f32 v100, v101, v100, 1.0
	v_mul_f32_e64 v101, v99, -v100
.LBB90_51:
	s_or_b32 exec_lo, exec_lo, s1
.LBB90_52:
	s_delay_alu instid0(SALU_CYCLE_1) | instskip(NEXT) | instid1(SALU_CYCLE_1)
	s_or_b32 exec_lo, exec_lo, s0
	s_mov_b32 s0, exec_lo
	v_cmpx_ne_u32_e64 v106, v98
	s_xor_b32 s0, exec_lo, s0
	s_cbranch_execz .LBB90_58
; %bb.53:
	s_mov_b32 s1, exec_lo
	v_cmpx_eq_u32_e32 2, v106
	s_cbranch_execz .LBB90_57
; %bb.54:
	v_cmp_ne_u32_e32 vcc_lo, 2, v98
	s_xor_b32 s12, s16, -1
	s_delay_alu instid0(SALU_CYCLE_1) | instskip(NEXT) | instid1(SALU_CYCLE_1)
	s_and_b32 s13, s12, vcc_lo
	s_and_saveexec_b32 s12, s13
	s_cbranch_execz .LBB90_56
; %bb.55:
	v_ashrrev_i32_e32 v99, 31, v98
	s_delay_alu instid0(VALU_DEP_1)
	v_lshl_add_u64 v[106:107], v[98:99], 2, v[4:5]
	s_clause 0x1
	global_load_b32 v99, v[106:107], off
	global_load_b32 v105, v[4:5], off offset:8
	s_wait_loadcnt 0x1
	global_store_b32 v[4:5], v99, off offset:8
	s_wait_loadcnt 0x0
	global_store_b32 v[106:107], v105, off
.LBB90_56:
	s_wait_xcnt 0x0
	s_or_b32 exec_lo, exec_lo, s12
	v_dual_mov_b32 v106, v98 :: v_dual_mov_b32 v105, v98
.LBB90_57:
	s_or_b32 exec_lo, exec_lo, s1
.LBB90_58:
	s_and_not1_saveexec_b32 s0, s0
	s_cbranch_execz .LBB90_60
; %bb.59:
	v_mov_b32_e32 v106, 2
	ds_store_2addr_b64 v102, v[88:89], v[74:75] offset0:3 offset1:4
	ds_store_2addr_b64 v102, v[22:23], v[26:27] offset0:5 offset1:6
	;; [unrolled: 1-line block ×21, first 2 shown]
	ds_store_b64 v102, v[96:97] offset:360
.LBB90_60:
	s_or_b32 exec_lo, exec_lo, s0
	s_delay_alu instid0(SALU_CYCLE_1)
	s_mov_b32 s0, exec_lo
	s_wait_storecnt_dscnt 0x0
	s_barrier_signal -1
	s_barrier_wait -1
	v_cmpx_lt_i32_e32 2, v106
	s_cbranch_execz .LBB90_62
; %bb.61:
	v_pk_mul_f32 v[108:109], v[100:101], v[90:91] op_sel:[1,1] op_sel_hi:[0,1]
	s_delay_alu instid0(VALU_DEP_1)
	v_pk_fma_f32 v[98:99], v[100:101], v[90:91], v[108:109] op_sel_hi:[1,0,1] neg_lo:[0,0,1] neg_hi:[0,0,1]
	v_pk_fma_f32 v[100:101], v[100:101], v[90:91], v[108:109] op_sel_hi:[1,0,1]
	ds_load_2addr_b64 v[108:111], v102 offset0:3 offset1:4
	v_dual_mov_b32 v90, v98 :: v_dual_mov_b32 v91, v101
	s_wait_dscnt 0x0
	v_pk_mul_f32 v[112:113], v[108:109], v[100:101] op_sel:[0,1]
	s_delay_alu instid0(VALU_DEP_1) | instskip(SKIP_1) | instid1(VALU_DEP_1)
	v_pk_fma_f32 v[114:115], v[108:109], v[98:99], v[112:113] op_sel:[0,0,1] op_sel_hi:[1,1,0] neg_lo:[0,0,1] neg_hi:[0,0,1]
	v_pk_fma_f32 v[108:109], v[108:109], v[98:99], v[112:113] op_sel:[0,0,1] op_sel_hi:[1,0,0]
	v_mov_b32_e32 v115, v109
	v_pk_mul_f32 v[108:109], v[110:111], v[100:101] op_sel:[0,1]
	s_delay_alu instid0(VALU_DEP_1) | instskip(SKIP_1) | instid1(VALU_DEP_1)
	v_pk_fma_f32 v[112:113], v[110:111], v[98:99], v[108:109] op_sel:[0,0,1] op_sel_hi:[1,1,0] neg_lo:[0,0,1] neg_hi:[0,0,1]
	v_pk_fma_f32 v[108:109], v[110:111], v[98:99], v[108:109] op_sel:[0,0,1] op_sel_hi:[1,0,0]
	v_mov_b32_e32 v113, v109
	ds_load_2addr_b64 v[108:111], v102 offset0:5 offset1:6
	v_pk_add_f32 v[88:89], v[88:89], v[114:115] neg_lo:[0,1] neg_hi:[0,1]
	v_pk_add_f32 v[74:75], v[74:75], v[112:113] neg_lo:[0,1] neg_hi:[0,1]
	s_wait_dscnt 0x0
	v_pk_mul_f32 v[112:113], v[108:109], v[100:101] op_sel:[0,1]
	s_delay_alu instid0(VALU_DEP_1) | instskip(SKIP_2) | instid1(VALU_DEP_2)
	v_pk_fma_f32 v[114:115], v[108:109], v[98:99], v[112:113] op_sel:[0,0,1] op_sel_hi:[1,1,0] neg_lo:[0,0,1] neg_hi:[0,0,1]
	v_pk_fma_f32 v[108:109], v[108:109], v[98:99], v[112:113] op_sel:[0,0,1] op_sel_hi:[1,0,0]
	v_dual_mul_f32 v112, v111, v101 :: v_dual_mov_b32 v108, v111
	v_dual_mov_b32 v115, v109 :: v_dual_mov_b32 v109, v110
	s_delay_alu instid0(VALU_DEP_2) | instskip(SKIP_1) | instid1(VALU_DEP_3)
	v_pk_fma_f32 v[112:113], v[110:111], v[90:91], v[112:113] op_sel_hi:[1,1,0] neg_lo:[0,0,1] neg_hi:[0,0,1]
	v_mul_f32_e32 v110, v111, v98
	v_pk_add_f32 v[22:23], v[22:23], v[114:115] neg_lo:[0,1] neg_hi:[0,1]
	s_delay_alu instid0(VALU_DEP_2) | instskip(NEXT) | instid1(VALU_DEP_1)
	v_pk_fma_f32 v[108:109], v[108:109], v[90:91], v[110:111] op_sel_hi:[1,1,0]
	v_mov_b32_e32 v113, v109
	ds_load_2addr_b64 v[108:111], v102 offset0:7 offset1:8
	v_pk_add_f32 v[26:27], v[26:27], v[112:113] neg_lo:[0,1] neg_hi:[0,1]
	s_wait_dscnt 0x0
	v_pk_mul_f32 v[112:113], v[108:109], v[100:101] op_sel:[0,1]
	s_delay_alu instid0(VALU_DEP_1) | instskip(SKIP_1) | instid1(VALU_DEP_1)
	v_pk_fma_f32 v[114:115], v[108:109], v[98:99], v[112:113] op_sel:[0,0,1] op_sel_hi:[1,1,0] neg_lo:[0,0,1] neg_hi:[0,0,1]
	v_pk_fma_f32 v[108:109], v[108:109], v[98:99], v[112:113] op_sel:[0,0,1] op_sel_hi:[1,0,0]
	v_mov_b32_e32 v115, v109
	v_pk_mul_f32 v[108:109], v[110:111], v[100:101] op_sel:[0,1]
	s_delay_alu instid0(VALU_DEP_1) | instskip(SKIP_1) | instid1(VALU_DEP_1)
	v_pk_fma_f32 v[112:113], v[110:111], v[98:99], v[108:109] op_sel:[0,0,1] op_sel_hi:[1,1,0] neg_lo:[0,0,1] neg_hi:[0,0,1]
	v_pk_fma_f32 v[108:109], v[110:111], v[98:99], v[108:109] op_sel:[0,0,1] op_sel_hi:[1,0,0]
	v_mov_b32_e32 v113, v109
	ds_load_2addr_b64 v[108:111], v102 offset0:9 offset1:10
	v_pk_add_f32 v[20:21], v[20:21], v[114:115] neg_lo:[0,1] neg_hi:[0,1]
	v_pk_add_f32 v[78:79], v[78:79], v[112:113] neg_lo:[0,1] neg_hi:[0,1]
	s_wait_dscnt 0x0
	v_pk_mul_f32 v[112:113], v[108:109], v[100:101] op_sel:[0,1]
	s_delay_alu instid0(VALU_DEP_1) | instskip(SKIP_1) | instid1(VALU_DEP_1)
	v_pk_fma_f32 v[114:115], v[108:109], v[98:99], v[112:113] op_sel:[0,0,1] op_sel_hi:[1,1,0] neg_lo:[0,0,1] neg_hi:[0,0,1]
	v_pk_fma_f32 v[108:109], v[108:109], v[98:99], v[112:113] op_sel:[0,0,1] op_sel_hi:[1,0,0]
	v_mov_b32_e32 v115, v109
	v_pk_mul_f32 v[108:109], v[110:111], v[100:101] op_sel:[0,1]
	s_delay_alu instid0(VALU_DEP_1) | instskip(SKIP_1) | instid1(VALU_DEP_1)
	v_pk_fma_f32 v[112:113], v[110:111], v[98:99], v[108:109] op_sel:[0,0,1] op_sel_hi:[1,1,0] neg_lo:[0,0,1] neg_hi:[0,0,1]
	v_pk_fma_f32 v[108:109], v[110:111], v[98:99], v[108:109] op_sel:[0,0,1] op_sel_hi:[1,0,0]
	v_mov_b32_e32 v113, v109
	ds_load_2addr_b64 v[108:111], v102 offset0:11 offset1:12
	v_pk_add_f32 v[34:35], v[34:35], v[114:115] neg_lo:[0,1] neg_hi:[0,1]
	v_pk_add_f32 v[38:39], v[38:39], v[112:113] neg_lo:[0,1] neg_hi:[0,1]
	s_wait_dscnt 0x0
	v_dual_mul_f32 v112, v109, v101 :: v_dual_mul_f32 v114, v109, v98
	s_delay_alu instid0(VALU_DEP_1) | instskip(NEXT) | instid1(VALU_DEP_2)
	v_pk_fma_f32 v[112:113], v[108:109], v[90:91], v[112:113] op_sel_hi:[1,1,0] neg_lo:[0,0,1] neg_hi:[0,0,1]
	v_pk_fma_f32 v[108:109], v[108:109], v[90:91], v[114:115] op_sel:[1,0,0] op_sel_hi:[0,1,0]
	s_delay_alu instid0(VALU_DEP_1) | instskip(SKIP_1) | instid1(VALU_DEP_2)
	v_mov_b32_e32 v113, v109
	v_pk_mul_f32 v[108:109], v[110:111], v[100:101] op_sel:[0,1]
	v_pk_add_f32 v[32:33], v[32:33], v[112:113] neg_lo:[0,1] neg_hi:[0,1]
	s_delay_alu instid0(VALU_DEP_2) | instskip(SKIP_1) | instid1(VALU_DEP_1)
	v_pk_fma_f32 v[112:113], v[110:111], v[98:99], v[108:109] op_sel:[0,0,1] op_sel_hi:[1,1,0] neg_lo:[0,0,1] neg_hi:[0,0,1]
	v_pk_fma_f32 v[108:109], v[110:111], v[98:99], v[108:109] op_sel:[0,0,1] op_sel_hi:[1,0,0]
	v_mov_b32_e32 v113, v109
	ds_load_2addr_b64 v[108:111], v102 offset0:13 offset1:14
	v_pk_add_f32 v[86:87], v[86:87], v[112:113] neg_lo:[0,1] neg_hi:[0,1]
	s_wait_dscnt 0x0
	v_pk_mul_f32 v[112:113], v[108:109], v[100:101] op_sel:[0,1]
	s_delay_alu instid0(VALU_DEP_1) | instskip(SKIP_1) | instid1(VALU_DEP_1)
	v_pk_fma_f32 v[114:115], v[108:109], v[98:99], v[112:113] op_sel:[0,0,1] op_sel_hi:[1,1,0] neg_lo:[0,0,1] neg_hi:[0,0,1]
	v_pk_fma_f32 v[108:109], v[108:109], v[98:99], v[112:113] op_sel:[0,0,1] op_sel_hi:[1,0,0]
	v_mov_b32_e32 v115, v109
	v_pk_mul_f32 v[108:109], v[110:111], v[100:101] op_sel:[0,1]
	s_delay_alu instid0(VALU_DEP_2) | instskip(NEXT) | instid1(VALU_DEP_2)
	v_pk_add_f32 v[64:65], v[64:65], v[114:115] neg_lo:[0,1] neg_hi:[0,1]
	v_pk_fma_f32 v[112:113], v[110:111], v[98:99], v[108:109] op_sel:[0,0,1] op_sel_hi:[1,1,0] neg_lo:[0,0,1] neg_hi:[0,0,1]
	v_pk_fma_f32 v[108:109], v[110:111], v[98:99], v[108:109] op_sel:[0,0,1] op_sel_hi:[1,0,0]
	s_delay_alu instid0(VALU_DEP_1) | instskip(SKIP_4) | instid1(VALU_DEP_1)
	v_mov_b32_e32 v113, v109
	ds_load_2addr_b64 v[108:111], v102 offset0:15 offset1:16
	v_pk_add_f32 v[66:67], v[66:67], v[112:113] neg_lo:[0,1] neg_hi:[0,1]
	s_wait_dscnt 0x0
	v_pk_mul_f32 v[112:113], v[108:109], v[100:101] op_sel:[0,1]
	v_pk_fma_f32 v[114:115], v[108:109], v[98:99], v[112:113] op_sel:[0,0,1] op_sel_hi:[1,1,0] neg_lo:[0,0,1] neg_hi:[0,0,1]
	v_pk_fma_f32 v[108:109], v[108:109], v[98:99], v[112:113] op_sel:[0,0,1] op_sel_hi:[1,0,0]
	v_dual_mul_f32 v112, v111, v101 :: v_dual_mov_b32 v108, v111
	s_delay_alu instid0(VALU_DEP_2) | instskip(NEXT) | instid1(VALU_DEP_2)
	v_dual_mov_b32 v115, v109 :: v_dual_mov_b32 v109, v110
	v_pk_fma_f32 v[112:113], v[110:111], v[90:91], v[112:113] op_sel_hi:[1,1,0] neg_lo:[0,0,1] neg_hi:[0,0,1]
	v_mul_f32_e32 v110, v111, v98
	s_delay_alu instid0(VALU_DEP_3) | instskip(NEXT) | instid1(VALU_DEP_2)
	v_pk_add_f32 v[62:63], v[62:63], v[114:115] neg_lo:[0,1] neg_hi:[0,1]
	v_pk_fma_f32 v[108:109], v[108:109], v[90:91], v[110:111] op_sel_hi:[1,1,0]
	s_delay_alu instid0(VALU_DEP_1) | instskip(SKIP_4) | instid1(VALU_DEP_1)
	v_mov_b32_e32 v113, v109
	ds_load_2addr_b64 v[108:111], v102 offset0:17 offset1:18
	v_pk_add_f32 v[84:85], v[84:85], v[112:113] neg_lo:[0,1] neg_hi:[0,1]
	s_wait_dscnt 0x0
	v_pk_mul_f32 v[112:113], v[108:109], v[100:101] op_sel:[0,1]
	v_pk_fma_f32 v[114:115], v[108:109], v[98:99], v[112:113] op_sel:[0,0,1] op_sel_hi:[1,1,0] neg_lo:[0,0,1] neg_hi:[0,0,1]
	v_pk_fma_f32 v[108:109], v[108:109], v[98:99], v[112:113] op_sel:[0,0,1] op_sel_hi:[1,0,0]
	s_delay_alu instid0(VALU_DEP_1) | instskip(SKIP_1) | instid1(VALU_DEP_1)
	v_mov_b32_e32 v115, v109
	v_pk_mul_f32 v[108:109], v[110:111], v[100:101] op_sel:[0,1]
	v_pk_fma_f32 v[112:113], v[110:111], v[98:99], v[108:109] op_sel:[0,0,1] op_sel_hi:[1,1,0] neg_lo:[0,0,1] neg_hi:[0,0,1]
	v_pk_fma_f32 v[108:109], v[110:111], v[98:99], v[108:109] op_sel:[0,0,1] op_sel_hi:[1,0,0]
	s_delay_alu instid0(VALU_DEP_1)
	v_mov_b32_e32 v113, v109
	ds_load_2addr_b64 v[108:111], v102 offset0:19 offset1:20
	v_pk_add_f32 v[58:59], v[58:59], v[114:115] neg_lo:[0,1] neg_hi:[0,1]
	v_pk_add_f32 v[60:61], v[60:61], v[112:113] neg_lo:[0,1] neg_hi:[0,1]
	s_wait_dscnt 0x0
	v_pk_mul_f32 v[112:113], v[108:109], v[100:101] op_sel:[0,1]
	s_delay_alu instid0(VALU_DEP_1) | instskip(SKIP_1) | instid1(VALU_DEP_1)
	v_pk_fma_f32 v[114:115], v[108:109], v[98:99], v[112:113] op_sel:[0,0,1] op_sel_hi:[1,1,0] neg_lo:[0,0,1] neg_hi:[0,0,1]
	v_pk_fma_f32 v[108:109], v[108:109], v[98:99], v[112:113] op_sel:[0,0,1] op_sel_hi:[1,0,0]
	v_mov_b32_e32 v115, v109
	v_pk_mul_f32 v[108:109], v[110:111], v[100:101] op_sel:[0,1]
	s_delay_alu instid0(VALU_DEP_1) | instskip(SKIP_1) | instid1(VALU_DEP_1)
	v_pk_fma_f32 v[112:113], v[110:111], v[98:99], v[108:109] op_sel:[0,0,1] op_sel_hi:[1,1,0] neg_lo:[0,0,1] neg_hi:[0,0,1]
	v_pk_fma_f32 v[108:109], v[110:111], v[98:99], v[108:109] op_sel:[0,0,1] op_sel_hi:[1,0,0]
	v_mov_b32_e32 v113, v109
	ds_load_2addr_b64 v[108:111], v102 offset0:21 offset1:22
	v_pk_add_f32 v[56:57], v[56:57], v[114:115] neg_lo:[0,1] neg_hi:[0,1]
	v_pk_add_f32 v[82:83], v[82:83], v[112:113] neg_lo:[0,1] neg_hi:[0,1]
	s_wait_dscnt 0x0
	v_dual_mul_f32 v112, v109, v101 :: v_dual_mul_f32 v114, v109, v98
	s_delay_alu instid0(VALU_DEP_1) | instskip(NEXT) | instid1(VALU_DEP_2)
	v_pk_fma_f32 v[112:113], v[108:109], v[90:91], v[112:113] op_sel_hi:[1,1,0] neg_lo:[0,0,1] neg_hi:[0,0,1]
	v_pk_fma_f32 v[108:109], v[108:109], v[90:91], v[114:115] op_sel:[1,0,0] op_sel_hi:[0,1,0]
	s_delay_alu instid0(VALU_DEP_1) | instskip(SKIP_1) | instid1(VALU_DEP_2)
	v_mov_b32_e32 v113, v109
	v_pk_mul_f32 v[108:109], v[110:111], v[100:101] op_sel:[0,1]
	v_pk_add_f32 v[50:51], v[50:51], v[112:113] neg_lo:[0,1] neg_hi:[0,1]
	s_delay_alu instid0(VALU_DEP_2) | instskip(SKIP_1) | instid1(VALU_DEP_1)
	v_pk_fma_f32 v[112:113], v[110:111], v[98:99], v[108:109] op_sel:[0,0,1] op_sel_hi:[1,1,0] neg_lo:[0,0,1] neg_hi:[0,0,1]
	v_pk_fma_f32 v[108:109], v[110:111], v[98:99], v[108:109] op_sel:[0,0,1] op_sel_hi:[1,0,0]
	v_mov_b32_e32 v113, v109
	ds_load_2addr_b64 v[108:111], v102 offset0:23 offset1:24
	v_pk_add_f32 v[52:53], v[52:53], v[112:113] neg_lo:[0,1] neg_hi:[0,1]
	s_wait_dscnt 0x0
	v_pk_mul_f32 v[112:113], v[108:109], v[100:101] op_sel:[0,1]
	s_delay_alu instid0(VALU_DEP_1) | instskip(SKIP_1) | instid1(VALU_DEP_1)
	v_pk_fma_f32 v[114:115], v[108:109], v[98:99], v[112:113] op_sel:[0,0,1] op_sel_hi:[1,1,0] neg_lo:[0,0,1] neg_hi:[0,0,1]
	v_pk_fma_f32 v[108:109], v[108:109], v[98:99], v[112:113] op_sel:[0,0,1] op_sel_hi:[1,0,0]
	v_mov_b32_e32 v115, v109
	v_pk_mul_f32 v[108:109], v[110:111], v[100:101] op_sel:[0,1]
	s_delay_alu instid0(VALU_DEP_2) | instskip(NEXT) | instid1(VALU_DEP_2)
	v_pk_add_f32 v[48:49], v[48:49], v[114:115] neg_lo:[0,1] neg_hi:[0,1]
	v_pk_fma_f32 v[112:113], v[110:111], v[98:99], v[108:109] op_sel:[0,0,1] op_sel_hi:[1,1,0] neg_lo:[0,0,1] neg_hi:[0,0,1]
	v_pk_fma_f32 v[108:109], v[110:111], v[98:99], v[108:109] op_sel:[0,0,1] op_sel_hi:[1,0,0]
	s_delay_alu instid0(VALU_DEP_1) | instskip(SKIP_4) | instid1(VALU_DEP_1)
	v_mov_b32_e32 v113, v109
	ds_load_2addr_b64 v[108:111], v102 offset0:25 offset1:26
	v_pk_add_f32 v[80:81], v[80:81], v[112:113] neg_lo:[0,1] neg_hi:[0,1]
	s_wait_dscnt 0x0
	v_pk_mul_f32 v[112:113], v[108:109], v[100:101] op_sel:[0,1]
	v_pk_fma_f32 v[114:115], v[108:109], v[98:99], v[112:113] op_sel:[0,0,1] op_sel_hi:[1,1,0] neg_lo:[0,0,1] neg_hi:[0,0,1]
	v_pk_fma_f32 v[108:109], v[108:109], v[98:99], v[112:113] op_sel:[0,0,1] op_sel_hi:[1,0,0]
	v_dual_mul_f32 v112, v111, v101 :: v_dual_mov_b32 v108, v111
	s_delay_alu instid0(VALU_DEP_2) | instskip(NEXT) | instid1(VALU_DEP_2)
	v_dual_mov_b32 v115, v109 :: v_dual_mov_b32 v109, v110
	v_pk_fma_f32 v[112:113], v[110:111], v[90:91], v[112:113] op_sel_hi:[1,1,0] neg_lo:[0,0,1] neg_hi:[0,0,1]
	v_mul_f32_e32 v110, v111, v98
	s_delay_alu instid0(VALU_DEP_3) | instskip(NEXT) | instid1(VALU_DEP_2)
	v_pk_add_f32 v[44:45], v[44:45], v[114:115] neg_lo:[0,1] neg_hi:[0,1]
	v_pk_fma_f32 v[108:109], v[108:109], v[90:91], v[110:111] op_sel_hi:[1,1,0]
	s_delay_alu instid0(VALU_DEP_1) | instskip(SKIP_4) | instid1(VALU_DEP_1)
	v_mov_b32_e32 v113, v109
	ds_load_2addr_b64 v[108:111], v102 offset0:27 offset1:28
	v_pk_add_f32 v[46:47], v[46:47], v[112:113] neg_lo:[0,1] neg_hi:[0,1]
	s_wait_dscnt 0x0
	v_pk_mul_f32 v[112:113], v[108:109], v[100:101] op_sel:[0,1]
	v_pk_fma_f32 v[114:115], v[108:109], v[98:99], v[112:113] op_sel:[0,0,1] op_sel_hi:[1,1,0] neg_lo:[0,0,1] neg_hi:[0,0,1]
	v_pk_fma_f32 v[108:109], v[108:109], v[98:99], v[112:113] op_sel:[0,0,1] op_sel_hi:[1,0,0]
	s_delay_alu instid0(VALU_DEP_1) | instskip(SKIP_1) | instid1(VALU_DEP_1)
	v_mov_b32_e32 v115, v109
	v_pk_mul_f32 v[108:109], v[110:111], v[100:101] op_sel:[0,1]
	v_pk_fma_f32 v[112:113], v[110:111], v[98:99], v[108:109] op_sel:[0,0,1] op_sel_hi:[1,1,0] neg_lo:[0,0,1] neg_hi:[0,0,1]
	v_pk_fma_f32 v[108:109], v[110:111], v[98:99], v[108:109] op_sel:[0,0,1] op_sel_hi:[1,0,0]
	s_delay_alu instid0(VALU_DEP_1)
	v_mov_b32_e32 v113, v109
	ds_load_2addr_b64 v[108:111], v102 offset0:29 offset1:30
	v_pk_add_f32 v[42:43], v[42:43], v[114:115] neg_lo:[0,1] neg_hi:[0,1]
	v_pk_add_f32 v[76:77], v[76:77], v[112:113] neg_lo:[0,1] neg_hi:[0,1]
	s_wait_dscnt 0x0
	v_pk_mul_f32 v[112:113], v[108:109], v[100:101] op_sel:[0,1]
	s_delay_alu instid0(VALU_DEP_1) | instskip(SKIP_1) | instid1(VALU_DEP_1)
	v_pk_fma_f32 v[114:115], v[108:109], v[98:99], v[112:113] op_sel:[0,0,1] op_sel_hi:[1,1,0] neg_lo:[0,0,1] neg_hi:[0,0,1]
	v_pk_fma_f32 v[108:109], v[108:109], v[98:99], v[112:113] op_sel:[0,0,1] op_sel_hi:[1,0,0]
	v_mov_b32_e32 v115, v109
	v_pk_mul_f32 v[108:109], v[110:111], v[100:101] op_sel:[0,1]
	s_delay_alu instid0(VALU_DEP_1) | instskip(SKIP_1) | instid1(VALU_DEP_1)
	v_pk_fma_f32 v[112:113], v[110:111], v[98:99], v[108:109] op_sel:[0,0,1] op_sel_hi:[1,1,0] neg_lo:[0,0,1] neg_hi:[0,0,1]
	v_pk_fma_f32 v[108:109], v[110:111], v[98:99], v[108:109] op_sel:[0,0,1] op_sel_hi:[1,0,0]
	v_mov_b32_e32 v113, v109
	ds_load_2addr_b64 v[108:111], v102 offset0:31 offset1:32
	v_pk_add_f32 v[30:31], v[30:31], v[114:115] neg_lo:[0,1] neg_hi:[0,1]
	v_pk_add_f32 v[36:37], v[36:37], v[112:113] neg_lo:[0,1] neg_hi:[0,1]
	s_wait_dscnt 0x0
	v_dual_mul_f32 v112, v109, v101 :: v_dual_mul_f32 v114, v109, v98
	s_delay_alu instid0(VALU_DEP_1) | instskip(NEXT) | instid1(VALU_DEP_2)
	v_pk_fma_f32 v[112:113], v[108:109], v[90:91], v[112:113] op_sel_hi:[1,1,0] neg_lo:[0,0,1] neg_hi:[0,0,1]
	v_pk_fma_f32 v[108:109], v[108:109], v[90:91], v[114:115] op_sel:[1,0,0] op_sel_hi:[0,1,0]
	s_delay_alu instid0(VALU_DEP_1) | instskip(SKIP_1) | instid1(VALU_DEP_2)
	v_mov_b32_e32 v113, v109
	v_pk_mul_f32 v[108:109], v[110:111], v[100:101] op_sel:[0,1]
	v_pk_add_f32 v[28:29], v[28:29], v[112:113] neg_lo:[0,1] neg_hi:[0,1]
	s_delay_alu instid0(VALU_DEP_2) | instskip(SKIP_1) | instid1(VALU_DEP_1)
	v_pk_fma_f32 v[112:113], v[110:111], v[98:99], v[108:109] op_sel:[0,0,1] op_sel_hi:[1,1,0] neg_lo:[0,0,1] neg_hi:[0,0,1]
	v_pk_fma_f32 v[108:109], v[110:111], v[98:99], v[108:109] op_sel:[0,0,1] op_sel_hi:[1,0,0]
	v_mov_b32_e32 v113, v109
	ds_load_2addr_b64 v[108:111], v102 offset0:33 offset1:34
	v_pk_add_f32 v[72:73], v[72:73], v[112:113] neg_lo:[0,1] neg_hi:[0,1]
	s_wait_dscnt 0x0
	v_pk_mul_f32 v[112:113], v[108:109], v[100:101] op_sel:[0,1]
	s_delay_alu instid0(VALU_DEP_1) | instskip(SKIP_1) | instid1(VALU_DEP_1)
	v_pk_fma_f32 v[114:115], v[108:109], v[98:99], v[112:113] op_sel:[0,0,1] op_sel_hi:[1,1,0] neg_lo:[0,0,1] neg_hi:[0,0,1]
	v_pk_fma_f32 v[108:109], v[108:109], v[98:99], v[112:113] op_sel:[0,0,1] op_sel_hi:[1,0,0]
	v_mov_b32_e32 v115, v109
	v_pk_mul_f32 v[108:109], v[110:111], v[100:101] op_sel:[0,1]
	s_delay_alu instid0(VALU_DEP_2) | instskip(NEXT) | instid1(VALU_DEP_2)
	v_pk_add_f32 v[18:19], v[18:19], v[114:115] neg_lo:[0,1] neg_hi:[0,1]
	v_pk_fma_f32 v[112:113], v[110:111], v[98:99], v[108:109] op_sel:[0,0,1] op_sel_hi:[1,1,0] neg_lo:[0,0,1] neg_hi:[0,0,1]
	v_pk_fma_f32 v[108:109], v[110:111], v[98:99], v[108:109] op_sel:[0,0,1] op_sel_hi:[1,0,0]
	s_delay_alu instid0(VALU_DEP_1) | instskip(SKIP_4) | instid1(VALU_DEP_1)
	v_mov_b32_e32 v113, v109
	ds_load_2addr_b64 v[108:111], v102 offset0:35 offset1:36
	v_pk_add_f32 v[24:25], v[24:25], v[112:113] neg_lo:[0,1] neg_hi:[0,1]
	s_wait_dscnt 0x0
	v_pk_mul_f32 v[112:113], v[108:109], v[100:101] op_sel:[0,1]
	v_pk_fma_f32 v[114:115], v[108:109], v[98:99], v[112:113] op_sel:[0,0,1] op_sel_hi:[1,1,0] neg_lo:[0,0,1] neg_hi:[0,0,1]
	v_pk_fma_f32 v[108:109], v[108:109], v[98:99], v[112:113] op_sel:[0,0,1] op_sel_hi:[1,0,0]
	v_dual_mul_f32 v112, v111, v101 :: v_dual_mov_b32 v108, v111
	s_delay_alu instid0(VALU_DEP_2) | instskip(NEXT) | instid1(VALU_DEP_2)
	v_dual_mov_b32 v115, v109 :: v_dual_mov_b32 v109, v110
	v_pk_fma_f32 v[112:113], v[110:111], v[90:91], v[112:113] op_sel_hi:[1,1,0] neg_lo:[0,0,1] neg_hi:[0,0,1]
	v_mul_f32_e32 v110, v111, v98
	s_delay_alu instid0(VALU_DEP_3) | instskip(NEXT) | instid1(VALU_DEP_2)
	v_pk_add_f32 v[16:17], v[16:17], v[114:115] neg_lo:[0,1] neg_hi:[0,1]
	v_pk_fma_f32 v[108:109], v[108:109], v[90:91], v[110:111] op_sel_hi:[1,1,0]
	s_delay_alu instid0(VALU_DEP_1) | instskip(SKIP_4) | instid1(VALU_DEP_1)
	v_mov_b32_e32 v113, v109
	ds_load_2addr_b64 v[108:111], v102 offset0:37 offset1:38
	v_pk_add_f32 v[70:71], v[70:71], v[112:113] neg_lo:[0,1] neg_hi:[0,1]
	s_wait_dscnt 0x0
	v_pk_mul_f32 v[112:113], v[108:109], v[100:101] op_sel:[0,1]
	v_pk_fma_f32 v[114:115], v[108:109], v[98:99], v[112:113] op_sel:[0,0,1] op_sel_hi:[1,1,0] neg_lo:[0,0,1] neg_hi:[0,0,1]
	v_pk_fma_f32 v[108:109], v[108:109], v[98:99], v[112:113] op_sel:[0,0,1] op_sel_hi:[1,0,0]
	s_delay_alu instid0(VALU_DEP_1) | instskip(SKIP_1) | instid1(VALU_DEP_1)
	v_mov_b32_e32 v115, v109
	v_pk_mul_f32 v[108:109], v[110:111], v[100:101] op_sel:[0,1]
	v_pk_fma_f32 v[112:113], v[110:111], v[98:99], v[108:109] op_sel:[0,0,1] op_sel_hi:[1,1,0] neg_lo:[0,0,1] neg_hi:[0,0,1]
	v_pk_fma_f32 v[108:109], v[110:111], v[98:99], v[108:109] op_sel:[0,0,1] op_sel_hi:[1,0,0]
	s_delay_alu instid0(VALU_DEP_1)
	v_mov_b32_e32 v113, v109
	ds_load_2addr_b64 v[108:111], v102 offset0:39 offset1:40
	v_pk_add_f32 v[10:11], v[10:11], v[114:115] neg_lo:[0,1] neg_hi:[0,1]
	v_pk_add_f32 v[12:13], v[12:13], v[112:113] neg_lo:[0,1] neg_hi:[0,1]
	s_wait_dscnt 0x0
	v_pk_mul_f32 v[112:113], v[108:109], v[100:101] op_sel:[0,1]
	s_delay_alu instid0(VALU_DEP_1) | instskip(SKIP_1) | instid1(VALU_DEP_1)
	v_pk_fma_f32 v[114:115], v[108:109], v[98:99], v[112:113] op_sel:[0,0,1] op_sel_hi:[1,1,0] neg_lo:[0,0,1] neg_hi:[0,0,1]
	v_pk_fma_f32 v[108:109], v[108:109], v[98:99], v[112:113] op_sel:[0,0,1] op_sel_hi:[1,0,0]
	v_mov_b32_e32 v115, v109
	v_pk_mul_f32 v[108:109], v[110:111], v[100:101] op_sel:[0,1]
	s_delay_alu instid0(VALU_DEP_1) | instskip(SKIP_1) | instid1(VALU_DEP_1)
	v_pk_fma_f32 v[112:113], v[110:111], v[98:99], v[108:109] op_sel:[0,0,1] op_sel_hi:[1,1,0] neg_lo:[0,0,1] neg_hi:[0,0,1]
	v_pk_fma_f32 v[108:109], v[110:111], v[98:99], v[108:109] op_sel:[0,0,1] op_sel_hi:[1,0,0]
	v_mov_b32_e32 v113, v109
	ds_load_2addr_b64 v[108:111], v102 offset0:41 offset1:42
	v_pk_add_f32 v[8:9], v[8:9], v[114:115] neg_lo:[0,1] neg_hi:[0,1]
	v_pk_add_f32 v[68:69], v[68:69], v[112:113] neg_lo:[0,1] neg_hi:[0,1]
	s_wait_dscnt 0x0
	v_dual_mul_f32 v112, v109, v101 :: v_dual_mul_f32 v114, v109, v98
	s_delay_alu instid0(VALU_DEP_1) | instskip(NEXT) | instid1(VALU_DEP_2)
	v_pk_fma_f32 v[112:113], v[108:109], v[90:91], v[112:113] op_sel_hi:[1,1,0] neg_lo:[0,0,1] neg_hi:[0,0,1]
	v_pk_fma_f32 v[108:109], v[108:109], v[90:91], v[114:115] op_sel:[1,0,0] op_sel_hi:[0,1,0]
	s_delay_alu instid0(VALU_DEP_1) | instskip(SKIP_1) | instid1(VALU_DEP_2)
	v_mov_b32_e32 v113, v109
	v_pk_mul_f32 v[108:109], v[110:111], v[100:101] op_sel:[0,1]
	v_pk_add_f32 v[6:7], v[6:7], v[112:113] neg_lo:[0,1] neg_hi:[0,1]
	s_delay_alu instid0(VALU_DEP_2) | instskip(SKIP_1) | instid1(VALU_DEP_1)
	v_pk_fma_f32 v[112:113], v[110:111], v[98:99], v[108:109] op_sel:[0,0,1] op_sel_hi:[1,1,0] neg_lo:[0,0,1] neg_hi:[0,0,1]
	v_pk_fma_f32 v[108:109], v[110:111], v[98:99], v[108:109] op_sel:[0,0,1] op_sel_hi:[1,0,0]
	v_mov_b32_e32 v113, v109
	ds_load_2addr_b64 v[108:111], v102 offset0:43 offset1:44
	v_pk_add_f32 v[54:55], v[54:55], v[112:113] neg_lo:[0,1] neg_hi:[0,1]
	s_wait_dscnt 0x0
	v_pk_mul_f32 v[112:113], v[108:109], v[100:101] op_sel:[0,1]
	s_delay_alu instid0(VALU_DEP_1) | instskip(SKIP_1) | instid1(VALU_DEP_1)
	v_pk_fma_f32 v[114:115], v[108:109], v[98:99], v[112:113] op_sel:[0,0,1] op_sel_hi:[1,1,0] neg_lo:[0,0,1] neg_hi:[0,0,1]
	v_pk_fma_f32 v[108:109], v[108:109], v[98:99], v[112:113] op_sel:[0,0,1] op_sel_hi:[1,0,0]
	v_mov_b32_e32 v115, v109
	v_pk_mul_f32 v[108:109], v[110:111], v[100:101] op_sel:[0,1]
	s_delay_alu instid0(VALU_DEP_2) | instskip(NEXT) | instid1(VALU_DEP_2)
	v_pk_add_f32 v[40:41], v[40:41], v[114:115] neg_lo:[0,1] neg_hi:[0,1]
	v_pk_fma_f32 v[112:113], v[110:111], v[98:99], v[108:109] op_sel:[0,0,1] op_sel_hi:[1,1,0] neg_lo:[0,0,1] neg_hi:[0,0,1]
	v_pk_fma_f32 v[108:109], v[110:111], v[98:99], v[108:109] op_sel:[0,0,1] op_sel_hi:[1,0,0]
	s_delay_alu instid0(VALU_DEP_1) | instskip(SKIP_4) | instid1(VALU_DEP_1)
	v_mov_b32_e32 v113, v109
	ds_load_b64 v[108:109], v102 offset:360
	v_pk_add_f32 v[14:15], v[14:15], v[112:113] neg_lo:[0,1] neg_hi:[0,1]
	s_wait_dscnt 0x0
	v_pk_mul_f32 v[100:101], v[108:109], v[100:101] op_sel:[0,1]
	v_pk_fma_f32 v[110:111], v[108:109], v[98:99], v[100:101] op_sel:[0,0,1] op_sel_hi:[1,1,0] neg_lo:[0,0,1] neg_hi:[0,0,1]
	v_pk_fma_f32 v[98:99], v[108:109], v[98:99], v[100:101] op_sel:[0,0,1] op_sel_hi:[1,0,0]
	s_delay_alu instid0(VALU_DEP_1) | instskip(NEXT) | instid1(VALU_DEP_1)
	v_mov_b32_e32 v111, v99
	v_pk_add_f32 v[96:97], v[96:97], v[110:111] neg_lo:[0,1] neg_hi:[0,1]
.LBB90_62:
	s_or_b32 exec_lo, exec_lo, s0
	v_lshl_add_u32 v98, v106, 3, v102
	s_barrier_signal -1
	s_barrier_wait -1
	ds_store_b64 v98, v[88:89]
	s_wait_dscnt 0x0
	s_barrier_signal -1
	s_barrier_wait -1
	ds_load_b64 v[100:101], v102 offset:24
	v_mov_b32_e32 v98, 3
	s_cmp_lt_i32 s18, 5
	s_cbranch_scc1 .LBB90_65
; %bb.63:
	v_mov_b32_e32 v98, 3
	v_add3_u32 v99, v103, 0, 32
	s_mov_b32 s0, 4
.LBB90_64:                              ; =>This Inner Loop Header: Depth=1
	ds_load_b64 v[108:109], v99
	s_wait_dscnt 0x1
	v_cmp_gt_f32_e32 vcc_lo, 0, v100
	v_cndmask_b32_e64 v110, v100, -v100, vcc_lo
	v_cmp_gt_f32_e32 vcc_lo, 0, v101
	v_cndmask_b32_e64 v112, v101, -v101, vcc_lo
	s_wait_dscnt 0x0
	v_cmp_gt_f32_e32 vcc_lo, 0, v108
	v_cndmask_b32_e64 v111, v108, -v108, vcc_lo
	v_cmp_gt_f32_e32 vcc_lo, 0, v109
	v_cndmask_b32_e64 v113, v109, -v109, vcc_lo
	s_delay_alu instid0(VALU_DEP_1) | instskip(NEXT) | instid1(VALU_DEP_1)
	v_pk_add_f32 v[110:111], v[110:111], v[112:113]
	v_cmp_lt_f32_e32 vcc_lo, v110, v111
	v_dual_add_nc_u32 v99, 8, v99 :: v_dual_cndmask_b32 v101, v101, v109, vcc_lo
	v_cndmask_b32_e32 v100, v100, v108, vcc_lo
	v_cndmask_b32_e64 v98, v98, s0, vcc_lo
	s_add_co_i32 s0, s0, 1
	s_delay_alu instid0(SALU_CYCLE_1)
	s_cmp_lg_u32 s18, s0
	s_cbranch_scc1 .LBB90_64
.LBB90_65:
	s_wait_dscnt 0x0
	v_cmp_eq_f32_e32 vcc_lo, 0, v100
	v_cmp_eq_f32_e64 s0, 0, v101
	s_and_b32 s0, vcc_lo, s0
	s_delay_alu instid0(SALU_CYCLE_1) | instskip(NEXT) | instid1(SALU_CYCLE_1)
	s_and_saveexec_b32 s1, s0
	s_xor_b32 s0, exec_lo, s1
; %bb.66:
	v_cmp_ne_u32_e32 vcc_lo, 0, v104
	v_cndmask_b32_e32 v104, 4, v104, vcc_lo
; %bb.67:
	s_and_not1_saveexec_b32 s0, s0
	s_cbranch_execz .LBB90_73
; %bb.68:
	v_cmp_ngt_f32_e64 s1, |v100|, |v101|
	s_and_saveexec_b32 s12, s1
	s_delay_alu instid0(SALU_CYCLE_1)
	s_xor_b32 s1, exec_lo, s12
	s_cbranch_execz .LBB90_70
; %bb.69:
	v_div_scale_f32 v99, null, v101, v101, v100
	v_div_scale_f32 v109, vcc_lo, v100, v101, v100
	s_delay_alu instid0(VALU_DEP_2) | instskip(SKIP_1) | instid1(TRANS32_DEP_1)
	v_rcp_f32_e32 v107, v99
	v_nop
	v_fma_f32 v108, -v99, v107, 1.0
	s_delay_alu instid0(VALU_DEP_1) | instskip(NEXT) | instid1(VALU_DEP_1)
	v_fmac_f32_e32 v107, v108, v107
	v_mul_f32_e32 v108, v109, v107
	s_delay_alu instid0(VALU_DEP_1) | instskip(NEXT) | instid1(VALU_DEP_1)
	v_fma_f32 v110, -v99, v108, v109
	v_fmac_f32_e32 v108, v110, v107
	s_delay_alu instid0(VALU_DEP_1) | instskip(NEXT) | instid1(VALU_DEP_1)
	v_fma_f32 v99, -v99, v108, v109
	v_div_fmas_f32 v99, v99, v107, v108
	s_delay_alu instid0(VALU_DEP_1) | instskip(NEXT) | instid1(VALU_DEP_1)
	v_div_fixup_f32 v99, v99, v101, v100
	v_fmac_f32_e32 v101, v100, v99
	s_delay_alu instid0(VALU_DEP_1) | instskip(SKIP_1) | instid1(VALU_DEP_2)
	v_div_scale_f32 v100, null, v101, v101, 1.0
	v_div_scale_f32 v109, vcc_lo, 1.0, v101, 1.0
	v_rcp_f32_e32 v107, v100
	v_nop
	s_delay_alu instid0(TRANS32_DEP_1) | instskip(NEXT) | instid1(VALU_DEP_1)
	v_fma_f32 v108, -v100, v107, 1.0
	v_fmac_f32_e32 v107, v108, v107
	s_delay_alu instid0(VALU_DEP_1) | instskip(NEXT) | instid1(VALU_DEP_1)
	v_mul_f32_e32 v108, v109, v107
	v_fma_f32 v110, -v100, v108, v109
	s_delay_alu instid0(VALU_DEP_1) | instskip(NEXT) | instid1(VALU_DEP_1)
	v_fmac_f32_e32 v108, v110, v107
	v_fma_f32 v100, -v100, v108, v109
	s_delay_alu instid0(VALU_DEP_1) | instskip(NEXT) | instid1(VALU_DEP_1)
	v_div_fmas_f32 v100, v100, v107, v108
	v_div_fixup_f32 v101, v100, v101, 1.0
	s_delay_alu instid0(VALU_DEP_1)
	v_mul_f32_e32 v100, v99, v101
	v_xor_b32_e32 v101, 0x80000000, v101
.LBB90_70:
	s_and_not1_saveexec_b32 s1, s1
	s_cbranch_execz .LBB90_72
; %bb.71:
	s_delay_alu instid0(VALU_DEP_1) | instskip(SKIP_1) | instid1(VALU_DEP_2)
	v_div_scale_f32 v99, null, v100, v100, v101
	v_div_scale_f32 v109, vcc_lo, v101, v100, v101
	v_rcp_f32_e32 v107, v99
	v_nop
	s_delay_alu instid0(TRANS32_DEP_1) | instskip(NEXT) | instid1(VALU_DEP_1)
	v_fma_f32 v108, -v99, v107, 1.0
	v_fmac_f32_e32 v107, v108, v107
	s_delay_alu instid0(VALU_DEP_1) | instskip(NEXT) | instid1(VALU_DEP_1)
	v_mul_f32_e32 v108, v109, v107
	v_fma_f32 v110, -v99, v108, v109
	s_delay_alu instid0(VALU_DEP_1) | instskip(NEXT) | instid1(VALU_DEP_1)
	v_fmac_f32_e32 v108, v110, v107
	v_fma_f32 v99, -v99, v108, v109
	s_delay_alu instid0(VALU_DEP_1) | instskip(NEXT) | instid1(VALU_DEP_1)
	v_div_fmas_f32 v99, v99, v107, v108
	v_div_fixup_f32 v99, v99, v100, v101
	s_delay_alu instid0(VALU_DEP_1) | instskip(NEXT) | instid1(VALU_DEP_1)
	v_fmac_f32_e32 v100, v101, v99
	v_div_scale_f32 v101, null, v100, v100, 1.0
	s_delay_alu instid0(VALU_DEP_1) | instskip(SKIP_1) | instid1(TRANS32_DEP_1)
	v_rcp_f32_e32 v107, v101
	v_nop
	v_fma_f32 v108, -v101, v107, 1.0
	s_delay_alu instid0(VALU_DEP_1) | instskip(SKIP_1) | instid1(VALU_DEP_1)
	v_fmac_f32_e32 v107, v108, v107
	v_div_scale_f32 v108, vcc_lo, 1.0, v100, 1.0
	v_mul_f32_e32 v109, v108, v107
	s_delay_alu instid0(VALU_DEP_1) | instskip(NEXT) | instid1(VALU_DEP_1)
	v_fma_f32 v110, -v101, v109, v108
	v_fmac_f32_e32 v109, v110, v107
	s_delay_alu instid0(VALU_DEP_1) | instskip(NEXT) | instid1(VALU_DEP_1)
	v_fma_f32 v101, -v101, v109, v108
	v_div_fmas_f32 v101, v101, v107, v109
	s_delay_alu instid0(VALU_DEP_1) | instskip(NEXT) | instid1(VALU_DEP_1)
	v_div_fixup_f32 v100, v101, v100, 1.0
	v_mul_f32_e64 v101, v99, -v100
.LBB90_72:
	s_or_b32 exec_lo, exec_lo, s1
.LBB90_73:
	s_delay_alu instid0(SALU_CYCLE_1) | instskip(NEXT) | instid1(SALU_CYCLE_1)
	s_or_b32 exec_lo, exec_lo, s0
	s_mov_b32 s0, exec_lo
	v_cmpx_ne_u32_e64 v106, v98
	s_xor_b32 s0, exec_lo, s0
	s_cbranch_execz .LBB90_79
; %bb.74:
	s_mov_b32 s1, exec_lo
	v_cmpx_eq_u32_e32 3, v106
	s_cbranch_execz .LBB90_78
; %bb.75:
	v_cmp_ne_u32_e32 vcc_lo, 3, v98
	s_xor_b32 s12, s16, -1
	s_delay_alu instid0(SALU_CYCLE_1) | instskip(NEXT) | instid1(SALU_CYCLE_1)
	s_and_b32 s13, s12, vcc_lo
	s_and_saveexec_b32 s12, s13
	s_cbranch_execz .LBB90_77
; %bb.76:
	v_ashrrev_i32_e32 v99, 31, v98
	s_delay_alu instid0(VALU_DEP_1)
	v_lshl_add_u64 v[106:107], v[98:99], 2, v[4:5]
	s_clause 0x1
	global_load_b32 v99, v[106:107], off
	global_load_b32 v105, v[4:5], off offset:12
	s_wait_loadcnt 0x1
	global_store_b32 v[4:5], v99, off offset:12
	s_wait_loadcnt 0x0
	global_store_b32 v[106:107], v105, off
.LBB90_77:
	s_wait_xcnt 0x0
	s_or_b32 exec_lo, exec_lo, s12
	v_dual_mov_b32 v106, v98 :: v_dual_mov_b32 v105, v98
.LBB90_78:
	s_or_b32 exec_lo, exec_lo, s1
.LBB90_79:
	s_and_not1_saveexec_b32 s0, s0
	s_cbranch_execz .LBB90_81
; %bb.80:
	v_dual_mov_b32 v98, v74 :: v_dual_mov_b32 v99, v75
	v_dual_mov_b32 v106, v22 :: v_dual_mov_b32 v107, v23
	;; [unrolled: 1-line block ×8, first 2 shown]
	ds_store_2addr_b64 v102, v[98:99], v[106:107] offset0:4 offset1:5
	ds_store_2addr_b64 v102, v[108:109], v[110:111] offset0:6 offset1:7
	;; [unrolled: 1-line block ×4, first 2 shown]
	v_dual_mov_b32 v98, v86 :: v_dual_mov_b32 v99, v87
	v_dual_mov_b32 v106, v64 :: v_dual_mov_b32 v107, v65
	;; [unrolled: 1-line block ×12, first 2 shown]
	ds_store_2addr_b64 v102, v[98:99], v[106:107] offset0:12 offset1:13
	ds_store_2addr_b64 v102, v[108:109], v[110:111] offset0:14 offset1:15
	;; [unrolled: 1-line block ×6, first 2 shown]
	v_dual_mov_b32 v98, v80 :: v_dual_mov_b32 v99, v81
	v_dual_mov_b32 v106, v44 :: v_dual_mov_b32 v107, v45
	;; [unrolled: 1-line block ×12, first 2 shown]
	ds_store_2addr_b64 v102, v[98:99], v[106:107] offset0:24 offset1:25
	ds_store_2addr_b64 v102, v[108:109], v[110:111] offset0:26 offset1:27
	;; [unrolled: 1-line block ×6, first 2 shown]
	v_dual_mov_b32 v98, v70 :: v_dual_mov_b32 v99, v71
	v_dual_mov_b32 v108, v10 :: v_dual_mov_b32 v109, v11
	;; [unrolled: 1-line block ×9, first 2 shown]
	v_mov_b32_e32 v123, v15
	ds_store_2addr_b64 v102, v[98:99], v[108:109] offset0:36 offset1:37
	ds_store_2addr_b64 v102, v[110:111], v[112:113] offset0:38 offset1:39
	ds_store_2addr_b64 v102, v[114:115], v[116:117] offset0:40 offset1:41
	ds_store_2addr_b64 v102, v[118:119], v[120:121] offset0:42 offset1:43
	ds_store_2addr_b64 v102, v[122:123], v[96:97] offset0:44 offset1:45
.LBB90_81:
	s_or_b32 exec_lo, exec_lo, s0
	s_delay_alu instid0(SALU_CYCLE_1)
	s_mov_b32 s0, exec_lo
	s_wait_storecnt_dscnt 0x0
	s_barrier_signal -1
	s_barrier_wait -1
	v_cmpx_lt_i32_e32 3, v106
	s_cbranch_execz .LBB90_83
; %bb.82:
	v_pk_mul_f32 v[108:109], v[100:101], v[88:89] op_sel:[1,1] op_sel_hi:[0,1]
	s_delay_alu instid0(VALU_DEP_1)
	v_pk_fma_f32 v[98:99], v[100:101], v[88:89], v[108:109] op_sel_hi:[1,0,1] neg_lo:[0,0,1] neg_hi:[0,0,1]
	v_pk_fma_f32 v[100:101], v[100:101], v[88:89], v[108:109] op_sel_hi:[1,0,1]
	ds_load_2addr_b64 v[108:111], v102 offset0:4 offset1:5
	v_dual_mov_b32 v88, v98 :: v_dual_mov_b32 v89, v101
	s_wait_dscnt 0x0
	v_pk_mul_f32 v[112:113], v[108:109], v[100:101] op_sel:[0,1]
	s_delay_alu instid0(VALU_DEP_1) | instskip(SKIP_1) | instid1(VALU_DEP_1)
	v_pk_fma_f32 v[114:115], v[108:109], v[98:99], v[112:113] op_sel:[0,0,1] op_sel_hi:[1,1,0] neg_lo:[0,0,1] neg_hi:[0,0,1]
	v_pk_fma_f32 v[108:109], v[108:109], v[98:99], v[112:113] op_sel:[0,0,1] op_sel_hi:[1,0,0]
	v_mov_b32_e32 v115, v109
	v_pk_mul_f32 v[108:109], v[110:111], v[100:101] op_sel:[0,1]
	s_delay_alu instid0(VALU_DEP_1) | instskip(SKIP_1) | instid1(VALU_DEP_1)
	v_pk_fma_f32 v[112:113], v[110:111], v[98:99], v[108:109] op_sel:[0,0,1] op_sel_hi:[1,1,0] neg_lo:[0,0,1] neg_hi:[0,0,1]
	v_pk_fma_f32 v[108:109], v[110:111], v[98:99], v[108:109] op_sel:[0,0,1] op_sel_hi:[1,0,0]
	v_mov_b32_e32 v113, v109
	ds_load_2addr_b64 v[108:111], v102 offset0:6 offset1:7
	v_pk_add_f32 v[74:75], v[74:75], v[114:115] neg_lo:[0,1] neg_hi:[0,1]
	v_pk_add_f32 v[22:23], v[22:23], v[112:113] neg_lo:[0,1] neg_hi:[0,1]
	s_wait_dscnt 0x0
	v_pk_mul_f32 v[112:113], v[108:109], v[100:101] op_sel:[0,1]
	s_delay_alu instid0(VALU_DEP_1) | instskip(SKIP_2) | instid1(VALU_DEP_2)
	v_pk_fma_f32 v[114:115], v[108:109], v[98:99], v[112:113] op_sel:[0,0,1] op_sel_hi:[1,1,0] neg_lo:[0,0,1] neg_hi:[0,0,1]
	v_pk_fma_f32 v[108:109], v[108:109], v[98:99], v[112:113] op_sel:[0,0,1] op_sel_hi:[1,0,0]
	v_dual_mul_f32 v112, v111, v101 :: v_dual_mov_b32 v108, v111
	v_dual_mov_b32 v115, v109 :: v_dual_mov_b32 v109, v110
	s_delay_alu instid0(VALU_DEP_2) | instskip(SKIP_1) | instid1(VALU_DEP_3)
	v_pk_fma_f32 v[112:113], v[110:111], v[88:89], v[112:113] op_sel_hi:[1,1,0] neg_lo:[0,0,1] neg_hi:[0,0,1]
	v_mul_f32_e32 v110, v111, v98
	v_pk_add_f32 v[26:27], v[26:27], v[114:115] neg_lo:[0,1] neg_hi:[0,1]
	s_delay_alu instid0(VALU_DEP_2) | instskip(NEXT) | instid1(VALU_DEP_1)
	v_pk_fma_f32 v[108:109], v[108:109], v[88:89], v[110:111] op_sel_hi:[1,1,0]
	v_mov_b32_e32 v113, v109
	ds_load_2addr_b64 v[108:111], v102 offset0:8 offset1:9
	v_pk_add_f32 v[20:21], v[20:21], v[112:113] neg_lo:[0,1] neg_hi:[0,1]
	s_wait_dscnt 0x0
	v_pk_mul_f32 v[112:113], v[108:109], v[100:101] op_sel:[0,1]
	s_delay_alu instid0(VALU_DEP_1) | instskip(SKIP_1) | instid1(VALU_DEP_1)
	v_pk_fma_f32 v[114:115], v[108:109], v[98:99], v[112:113] op_sel:[0,0,1] op_sel_hi:[1,1,0] neg_lo:[0,0,1] neg_hi:[0,0,1]
	v_pk_fma_f32 v[108:109], v[108:109], v[98:99], v[112:113] op_sel:[0,0,1] op_sel_hi:[1,0,0]
	v_mov_b32_e32 v115, v109
	v_pk_mul_f32 v[108:109], v[110:111], v[100:101] op_sel:[0,1]
	s_delay_alu instid0(VALU_DEP_1) | instskip(SKIP_1) | instid1(VALU_DEP_1)
	v_pk_fma_f32 v[112:113], v[110:111], v[98:99], v[108:109] op_sel:[0,0,1] op_sel_hi:[1,1,0] neg_lo:[0,0,1] neg_hi:[0,0,1]
	v_pk_fma_f32 v[108:109], v[110:111], v[98:99], v[108:109] op_sel:[0,0,1] op_sel_hi:[1,0,0]
	v_mov_b32_e32 v113, v109
	ds_load_2addr_b64 v[108:111], v102 offset0:10 offset1:11
	v_pk_add_f32 v[78:79], v[78:79], v[114:115] neg_lo:[0,1] neg_hi:[0,1]
	v_pk_add_f32 v[34:35], v[34:35], v[112:113] neg_lo:[0,1] neg_hi:[0,1]
	s_wait_dscnt 0x0
	v_pk_mul_f32 v[112:113], v[108:109], v[100:101] op_sel:[0,1]
	s_delay_alu instid0(VALU_DEP_1) | instskip(SKIP_1) | instid1(VALU_DEP_1)
	v_pk_fma_f32 v[114:115], v[108:109], v[98:99], v[112:113] op_sel:[0,0,1] op_sel_hi:[1,1,0] neg_lo:[0,0,1] neg_hi:[0,0,1]
	v_pk_fma_f32 v[108:109], v[108:109], v[98:99], v[112:113] op_sel:[0,0,1] op_sel_hi:[1,0,0]
	v_mov_b32_e32 v115, v109
	v_pk_mul_f32 v[108:109], v[110:111], v[100:101] op_sel:[0,1]
	s_delay_alu instid0(VALU_DEP_1) | instskip(SKIP_1) | instid1(VALU_DEP_1)
	v_pk_fma_f32 v[112:113], v[110:111], v[98:99], v[108:109] op_sel:[0,0,1] op_sel_hi:[1,1,0] neg_lo:[0,0,1] neg_hi:[0,0,1]
	v_pk_fma_f32 v[108:109], v[110:111], v[98:99], v[108:109] op_sel:[0,0,1] op_sel_hi:[1,0,0]
	v_mov_b32_e32 v113, v109
	ds_load_2addr_b64 v[108:111], v102 offset0:12 offset1:13
	v_pk_add_f32 v[38:39], v[38:39], v[114:115] neg_lo:[0,1] neg_hi:[0,1]
	v_pk_add_f32 v[32:33], v[32:33], v[112:113] neg_lo:[0,1] neg_hi:[0,1]
	s_wait_dscnt 0x0
	v_dual_mul_f32 v112, v109, v101 :: v_dual_mul_f32 v114, v109, v98
	s_delay_alu instid0(VALU_DEP_1) | instskip(NEXT) | instid1(VALU_DEP_2)
	v_pk_fma_f32 v[112:113], v[108:109], v[88:89], v[112:113] op_sel_hi:[1,1,0] neg_lo:[0,0,1] neg_hi:[0,0,1]
	v_pk_fma_f32 v[108:109], v[108:109], v[88:89], v[114:115] op_sel:[1,0,0] op_sel_hi:[0,1,0]
	s_delay_alu instid0(VALU_DEP_1) | instskip(SKIP_1) | instid1(VALU_DEP_2)
	v_mov_b32_e32 v113, v109
	v_pk_mul_f32 v[108:109], v[110:111], v[100:101] op_sel:[0,1]
	v_pk_add_f32 v[86:87], v[86:87], v[112:113] neg_lo:[0,1] neg_hi:[0,1]
	s_delay_alu instid0(VALU_DEP_2) | instskip(SKIP_1) | instid1(VALU_DEP_1)
	v_pk_fma_f32 v[112:113], v[110:111], v[98:99], v[108:109] op_sel:[0,0,1] op_sel_hi:[1,1,0] neg_lo:[0,0,1] neg_hi:[0,0,1]
	v_pk_fma_f32 v[108:109], v[110:111], v[98:99], v[108:109] op_sel:[0,0,1] op_sel_hi:[1,0,0]
	v_mov_b32_e32 v113, v109
	ds_load_2addr_b64 v[108:111], v102 offset0:14 offset1:15
	v_pk_add_f32 v[64:65], v[64:65], v[112:113] neg_lo:[0,1] neg_hi:[0,1]
	s_wait_dscnt 0x0
	v_pk_mul_f32 v[112:113], v[108:109], v[100:101] op_sel:[0,1]
	s_delay_alu instid0(VALU_DEP_1) | instskip(SKIP_1) | instid1(VALU_DEP_1)
	v_pk_fma_f32 v[114:115], v[108:109], v[98:99], v[112:113] op_sel:[0,0,1] op_sel_hi:[1,1,0] neg_lo:[0,0,1] neg_hi:[0,0,1]
	v_pk_fma_f32 v[108:109], v[108:109], v[98:99], v[112:113] op_sel:[0,0,1] op_sel_hi:[1,0,0]
	v_mov_b32_e32 v115, v109
	v_pk_mul_f32 v[108:109], v[110:111], v[100:101] op_sel:[0,1]
	s_delay_alu instid0(VALU_DEP_2) | instskip(NEXT) | instid1(VALU_DEP_2)
	v_pk_add_f32 v[66:67], v[66:67], v[114:115] neg_lo:[0,1] neg_hi:[0,1]
	v_pk_fma_f32 v[112:113], v[110:111], v[98:99], v[108:109] op_sel:[0,0,1] op_sel_hi:[1,1,0] neg_lo:[0,0,1] neg_hi:[0,0,1]
	v_pk_fma_f32 v[108:109], v[110:111], v[98:99], v[108:109] op_sel:[0,0,1] op_sel_hi:[1,0,0]
	s_delay_alu instid0(VALU_DEP_1) | instskip(SKIP_4) | instid1(VALU_DEP_1)
	v_mov_b32_e32 v113, v109
	ds_load_2addr_b64 v[108:111], v102 offset0:16 offset1:17
	v_pk_add_f32 v[62:63], v[62:63], v[112:113] neg_lo:[0,1] neg_hi:[0,1]
	s_wait_dscnt 0x0
	v_pk_mul_f32 v[112:113], v[108:109], v[100:101] op_sel:[0,1]
	v_pk_fma_f32 v[114:115], v[108:109], v[98:99], v[112:113] op_sel:[0,0,1] op_sel_hi:[1,1,0] neg_lo:[0,0,1] neg_hi:[0,0,1]
	v_pk_fma_f32 v[108:109], v[108:109], v[98:99], v[112:113] op_sel:[0,0,1] op_sel_hi:[1,0,0]
	v_dual_mul_f32 v112, v111, v101 :: v_dual_mov_b32 v108, v111
	s_delay_alu instid0(VALU_DEP_2) | instskip(NEXT) | instid1(VALU_DEP_2)
	v_dual_mov_b32 v115, v109 :: v_dual_mov_b32 v109, v110
	v_pk_fma_f32 v[112:113], v[110:111], v[88:89], v[112:113] op_sel_hi:[1,1,0] neg_lo:[0,0,1] neg_hi:[0,0,1]
	v_mul_f32_e32 v110, v111, v98
	s_delay_alu instid0(VALU_DEP_3) | instskip(NEXT) | instid1(VALU_DEP_2)
	v_pk_add_f32 v[84:85], v[84:85], v[114:115] neg_lo:[0,1] neg_hi:[0,1]
	v_pk_fma_f32 v[108:109], v[108:109], v[88:89], v[110:111] op_sel_hi:[1,1,0]
	s_delay_alu instid0(VALU_DEP_1) | instskip(SKIP_4) | instid1(VALU_DEP_1)
	v_mov_b32_e32 v113, v109
	ds_load_2addr_b64 v[108:111], v102 offset0:18 offset1:19
	v_pk_add_f32 v[58:59], v[58:59], v[112:113] neg_lo:[0,1] neg_hi:[0,1]
	s_wait_dscnt 0x0
	v_pk_mul_f32 v[112:113], v[108:109], v[100:101] op_sel:[0,1]
	v_pk_fma_f32 v[114:115], v[108:109], v[98:99], v[112:113] op_sel:[0,0,1] op_sel_hi:[1,1,0] neg_lo:[0,0,1] neg_hi:[0,0,1]
	v_pk_fma_f32 v[108:109], v[108:109], v[98:99], v[112:113] op_sel:[0,0,1] op_sel_hi:[1,0,0]
	s_delay_alu instid0(VALU_DEP_1) | instskip(SKIP_1) | instid1(VALU_DEP_1)
	v_mov_b32_e32 v115, v109
	v_pk_mul_f32 v[108:109], v[110:111], v[100:101] op_sel:[0,1]
	v_pk_fma_f32 v[112:113], v[110:111], v[98:99], v[108:109] op_sel:[0,0,1] op_sel_hi:[1,1,0] neg_lo:[0,0,1] neg_hi:[0,0,1]
	v_pk_fma_f32 v[108:109], v[110:111], v[98:99], v[108:109] op_sel:[0,0,1] op_sel_hi:[1,0,0]
	s_delay_alu instid0(VALU_DEP_1)
	v_mov_b32_e32 v113, v109
	ds_load_2addr_b64 v[108:111], v102 offset0:20 offset1:21
	v_pk_add_f32 v[60:61], v[60:61], v[114:115] neg_lo:[0,1] neg_hi:[0,1]
	v_pk_add_f32 v[56:57], v[56:57], v[112:113] neg_lo:[0,1] neg_hi:[0,1]
	s_wait_dscnt 0x0
	v_pk_mul_f32 v[112:113], v[108:109], v[100:101] op_sel:[0,1]
	s_delay_alu instid0(VALU_DEP_1) | instskip(SKIP_1) | instid1(VALU_DEP_1)
	v_pk_fma_f32 v[114:115], v[108:109], v[98:99], v[112:113] op_sel:[0,0,1] op_sel_hi:[1,1,0] neg_lo:[0,0,1] neg_hi:[0,0,1]
	v_pk_fma_f32 v[108:109], v[108:109], v[98:99], v[112:113] op_sel:[0,0,1] op_sel_hi:[1,0,0]
	v_mov_b32_e32 v115, v109
	v_pk_mul_f32 v[108:109], v[110:111], v[100:101] op_sel:[0,1]
	s_delay_alu instid0(VALU_DEP_1) | instskip(SKIP_1) | instid1(VALU_DEP_1)
	v_pk_fma_f32 v[112:113], v[110:111], v[98:99], v[108:109] op_sel:[0,0,1] op_sel_hi:[1,1,0] neg_lo:[0,0,1] neg_hi:[0,0,1]
	v_pk_fma_f32 v[108:109], v[110:111], v[98:99], v[108:109] op_sel:[0,0,1] op_sel_hi:[1,0,0]
	v_mov_b32_e32 v113, v109
	ds_load_2addr_b64 v[108:111], v102 offset0:22 offset1:23
	v_pk_add_f32 v[82:83], v[82:83], v[114:115] neg_lo:[0,1] neg_hi:[0,1]
	v_pk_add_f32 v[50:51], v[50:51], v[112:113] neg_lo:[0,1] neg_hi:[0,1]
	s_wait_dscnt 0x0
	v_dual_mul_f32 v112, v109, v101 :: v_dual_mul_f32 v114, v109, v98
	s_delay_alu instid0(VALU_DEP_1) | instskip(NEXT) | instid1(VALU_DEP_2)
	v_pk_fma_f32 v[112:113], v[108:109], v[88:89], v[112:113] op_sel_hi:[1,1,0] neg_lo:[0,0,1] neg_hi:[0,0,1]
	v_pk_fma_f32 v[108:109], v[108:109], v[88:89], v[114:115] op_sel:[1,0,0] op_sel_hi:[0,1,0]
	s_delay_alu instid0(VALU_DEP_1) | instskip(SKIP_1) | instid1(VALU_DEP_2)
	v_mov_b32_e32 v113, v109
	v_pk_mul_f32 v[108:109], v[110:111], v[100:101] op_sel:[0,1]
	v_pk_add_f32 v[52:53], v[52:53], v[112:113] neg_lo:[0,1] neg_hi:[0,1]
	s_delay_alu instid0(VALU_DEP_2) | instskip(SKIP_1) | instid1(VALU_DEP_1)
	v_pk_fma_f32 v[112:113], v[110:111], v[98:99], v[108:109] op_sel:[0,0,1] op_sel_hi:[1,1,0] neg_lo:[0,0,1] neg_hi:[0,0,1]
	v_pk_fma_f32 v[108:109], v[110:111], v[98:99], v[108:109] op_sel:[0,0,1] op_sel_hi:[1,0,0]
	v_mov_b32_e32 v113, v109
	ds_load_2addr_b64 v[108:111], v102 offset0:24 offset1:25
	v_pk_add_f32 v[48:49], v[48:49], v[112:113] neg_lo:[0,1] neg_hi:[0,1]
	s_wait_dscnt 0x0
	v_pk_mul_f32 v[112:113], v[108:109], v[100:101] op_sel:[0,1]
	s_delay_alu instid0(VALU_DEP_1) | instskip(SKIP_1) | instid1(VALU_DEP_1)
	v_pk_fma_f32 v[114:115], v[108:109], v[98:99], v[112:113] op_sel:[0,0,1] op_sel_hi:[1,1,0] neg_lo:[0,0,1] neg_hi:[0,0,1]
	v_pk_fma_f32 v[108:109], v[108:109], v[98:99], v[112:113] op_sel:[0,0,1] op_sel_hi:[1,0,0]
	v_mov_b32_e32 v115, v109
	v_pk_mul_f32 v[108:109], v[110:111], v[100:101] op_sel:[0,1]
	s_delay_alu instid0(VALU_DEP_2) | instskip(NEXT) | instid1(VALU_DEP_2)
	v_pk_add_f32 v[80:81], v[80:81], v[114:115] neg_lo:[0,1] neg_hi:[0,1]
	v_pk_fma_f32 v[112:113], v[110:111], v[98:99], v[108:109] op_sel:[0,0,1] op_sel_hi:[1,1,0] neg_lo:[0,0,1] neg_hi:[0,0,1]
	v_pk_fma_f32 v[108:109], v[110:111], v[98:99], v[108:109] op_sel:[0,0,1] op_sel_hi:[1,0,0]
	s_delay_alu instid0(VALU_DEP_1) | instskip(SKIP_4) | instid1(VALU_DEP_1)
	v_mov_b32_e32 v113, v109
	ds_load_2addr_b64 v[108:111], v102 offset0:26 offset1:27
	v_pk_add_f32 v[44:45], v[44:45], v[112:113] neg_lo:[0,1] neg_hi:[0,1]
	s_wait_dscnt 0x0
	v_pk_mul_f32 v[112:113], v[108:109], v[100:101] op_sel:[0,1]
	v_pk_fma_f32 v[114:115], v[108:109], v[98:99], v[112:113] op_sel:[0,0,1] op_sel_hi:[1,1,0] neg_lo:[0,0,1] neg_hi:[0,0,1]
	v_pk_fma_f32 v[108:109], v[108:109], v[98:99], v[112:113] op_sel:[0,0,1] op_sel_hi:[1,0,0]
	v_dual_mul_f32 v112, v111, v101 :: v_dual_mov_b32 v108, v111
	s_delay_alu instid0(VALU_DEP_2) | instskip(NEXT) | instid1(VALU_DEP_2)
	v_dual_mov_b32 v115, v109 :: v_dual_mov_b32 v109, v110
	v_pk_fma_f32 v[112:113], v[110:111], v[88:89], v[112:113] op_sel_hi:[1,1,0] neg_lo:[0,0,1] neg_hi:[0,0,1]
	v_mul_f32_e32 v110, v111, v98
	s_delay_alu instid0(VALU_DEP_3) | instskip(NEXT) | instid1(VALU_DEP_2)
	v_pk_add_f32 v[46:47], v[46:47], v[114:115] neg_lo:[0,1] neg_hi:[0,1]
	v_pk_fma_f32 v[108:109], v[108:109], v[88:89], v[110:111] op_sel_hi:[1,1,0]
	s_delay_alu instid0(VALU_DEP_1) | instskip(SKIP_4) | instid1(VALU_DEP_1)
	v_mov_b32_e32 v113, v109
	ds_load_2addr_b64 v[108:111], v102 offset0:28 offset1:29
	v_pk_add_f32 v[42:43], v[42:43], v[112:113] neg_lo:[0,1] neg_hi:[0,1]
	s_wait_dscnt 0x0
	v_pk_mul_f32 v[112:113], v[108:109], v[100:101] op_sel:[0,1]
	v_pk_fma_f32 v[114:115], v[108:109], v[98:99], v[112:113] op_sel:[0,0,1] op_sel_hi:[1,1,0] neg_lo:[0,0,1] neg_hi:[0,0,1]
	v_pk_fma_f32 v[108:109], v[108:109], v[98:99], v[112:113] op_sel:[0,0,1] op_sel_hi:[1,0,0]
	s_delay_alu instid0(VALU_DEP_1) | instskip(SKIP_1) | instid1(VALU_DEP_1)
	v_mov_b32_e32 v115, v109
	v_pk_mul_f32 v[108:109], v[110:111], v[100:101] op_sel:[0,1]
	v_pk_fma_f32 v[112:113], v[110:111], v[98:99], v[108:109] op_sel:[0,0,1] op_sel_hi:[1,1,0] neg_lo:[0,0,1] neg_hi:[0,0,1]
	v_pk_fma_f32 v[108:109], v[110:111], v[98:99], v[108:109] op_sel:[0,0,1] op_sel_hi:[1,0,0]
	s_delay_alu instid0(VALU_DEP_1)
	v_mov_b32_e32 v113, v109
	ds_load_2addr_b64 v[108:111], v102 offset0:30 offset1:31
	v_pk_add_f32 v[76:77], v[76:77], v[114:115] neg_lo:[0,1] neg_hi:[0,1]
	v_pk_add_f32 v[30:31], v[30:31], v[112:113] neg_lo:[0,1] neg_hi:[0,1]
	s_wait_dscnt 0x0
	v_pk_mul_f32 v[112:113], v[108:109], v[100:101] op_sel:[0,1]
	s_delay_alu instid0(VALU_DEP_1) | instskip(SKIP_1) | instid1(VALU_DEP_1)
	v_pk_fma_f32 v[114:115], v[108:109], v[98:99], v[112:113] op_sel:[0,0,1] op_sel_hi:[1,1,0] neg_lo:[0,0,1] neg_hi:[0,0,1]
	v_pk_fma_f32 v[108:109], v[108:109], v[98:99], v[112:113] op_sel:[0,0,1] op_sel_hi:[1,0,0]
	v_mov_b32_e32 v115, v109
	v_pk_mul_f32 v[108:109], v[110:111], v[100:101] op_sel:[0,1]
	s_delay_alu instid0(VALU_DEP_1) | instskip(SKIP_1) | instid1(VALU_DEP_1)
	v_pk_fma_f32 v[112:113], v[110:111], v[98:99], v[108:109] op_sel:[0,0,1] op_sel_hi:[1,1,0] neg_lo:[0,0,1] neg_hi:[0,0,1]
	v_pk_fma_f32 v[108:109], v[110:111], v[98:99], v[108:109] op_sel:[0,0,1] op_sel_hi:[1,0,0]
	v_mov_b32_e32 v113, v109
	ds_load_2addr_b64 v[108:111], v102 offset0:32 offset1:33
	v_pk_add_f32 v[36:37], v[36:37], v[114:115] neg_lo:[0,1] neg_hi:[0,1]
	v_pk_add_f32 v[28:29], v[28:29], v[112:113] neg_lo:[0,1] neg_hi:[0,1]
	s_wait_dscnt 0x0
	v_dual_mul_f32 v112, v109, v101 :: v_dual_mul_f32 v114, v109, v98
	s_delay_alu instid0(VALU_DEP_1) | instskip(NEXT) | instid1(VALU_DEP_2)
	v_pk_fma_f32 v[112:113], v[108:109], v[88:89], v[112:113] op_sel_hi:[1,1,0] neg_lo:[0,0,1] neg_hi:[0,0,1]
	v_pk_fma_f32 v[108:109], v[108:109], v[88:89], v[114:115] op_sel:[1,0,0] op_sel_hi:[0,1,0]
	s_delay_alu instid0(VALU_DEP_1) | instskip(SKIP_1) | instid1(VALU_DEP_2)
	v_mov_b32_e32 v113, v109
	v_pk_mul_f32 v[108:109], v[110:111], v[100:101] op_sel:[0,1]
	v_pk_add_f32 v[72:73], v[72:73], v[112:113] neg_lo:[0,1] neg_hi:[0,1]
	s_delay_alu instid0(VALU_DEP_2) | instskip(SKIP_1) | instid1(VALU_DEP_1)
	v_pk_fma_f32 v[112:113], v[110:111], v[98:99], v[108:109] op_sel:[0,0,1] op_sel_hi:[1,1,0] neg_lo:[0,0,1] neg_hi:[0,0,1]
	v_pk_fma_f32 v[108:109], v[110:111], v[98:99], v[108:109] op_sel:[0,0,1] op_sel_hi:[1,0,0]
	v_mov_b32_e32 v113, v109
	ds_load_2addr_b64 v[108:111], v102 offset0:34 offset1:35
	v_pk_add_f32 v[18:19], v[18:19], v[112:113] neg_lo:[0,1] neg_hi:[0,1]
	s_wait_dscnt 0x0
	v_pk_mul_f32 v[112:113], v[108:109], v[100:101] op_sel:[0,1]
	s_delay_alu instid0(VALU_DEP_1) | instskip(SKIP_1) | instid1(VALU_DEP_1)
	v_pk_fma_f32 v[114:115], v[108:109], v[98:99], v[112:113] op_sel:[0,0,1] op_sel_hi:[1,1,0] neg_lo:[0,0,1] neg_hi:[0,0,1]
	v_pk_fma_f32 v[108:109], v[108:109], v[98:99], v[112:113] op_sel:[0,0,1] op_sel_hi:[1,0,0]
	v_mov_b32_e32 v115, v109
	v_pk_mul_f32 v[108:109], v[110:111], v[100:101] op_sel:[0,1]
	s_delay_alu instid0(VALU_DEP_2) | instskip(NEXT) | instid1(VALU_DEP_2)
	v_pk_add_f32 v[24:25], v[24:25], v[114:115] neg_lo:[0,1] neg_hi:[0,1]
	v_pk_fma_f32 v[112:113], v[110:111], v[98:99], v[108:109] op_sel:[0,0,1] op_sel_hi:[1,1,0] neg_lo:[0,0,1] neg_hi:[0,0,1]
	v_pk_fma_f32 v[108:109], v[110:111], v[98:99], v[108:109] op_sel:[0,0,1] op_sel_hi:[1,0,0]
	s_delay_alu instid0(VALU_DEP_1) | instskip(SKIP_4) | instid1(VALU_DEP_1)
	v_mov_b32_e32 v113, v109
	ds_load_2addr_b64 v[108:111], v102 offset0:36 offset1:37
	v_pk_add_f32 v[16:17], v[16:17], v[112:113] neg_lo:[0,1] neg_hi:[0,1]
	s_wait_dscnt 0x0
	v_pk_mul_f32 v[112:113], v[108:109], v[100:101] op_sel:[0,1]
	v_pk_fma_f32 v[114:115], v[108:109], v[98:99], v[112:113] op_sel:[0,0,1] op_sel_hi:[1,1,0] neg_lo:[0,0,1] neg_hi:[0,0,1]
	v_pk_fma_f32 v[108:109], v[108:109], v[98:99], v[112:113] op_sel:[0,0,1] op_sel_hi:[1,0,0]
	v_dual_mul_f32 v112, v111, v101 :: v_dual_mov_b32 v108, v111
	s_delay_alu instid0(VALU_DEP_2) | instskip(NEXT) | instid1(VALU_DEP_2)
	v_dual_mov_b32 v115, v109 :: v_dual_mov_b32 v109, v110
	v_pk_fma_f32 v[112:113], v[110:111], v[88:89], v[112:113] op_sel_hi:[1,1,0] neg_lo:[0,0,1] neg_hi:[0,0,1]
	v_mul_f32_e32 v110, v111, v98
	s_delay_alu instid0(VALU_DEP_3) | instskip(NEXT) | instid1(VALU_DEP_2)
	v_pk_add_f32 v[70:71], v[70:71], v[114:115] neg_lo:[0,1] neg_hi:[0,1]
	v_pk_fma_f32 v[108:109], v[108:109], v[88:89], v[110:111] op_sel_hi:[1,1,0]
	s_delay_alu instid0(VALU_DEP_1) | instskip(SKIP_4) | instid1(VALU_DEP_1)
	v_mov_b32_e32 v113, v109
	ds_load_2addr_b64 v[108:111], v102 offset0:38 offset1:39
	v_pk_add_f32 v[10:11], v[10:11], v[112:113] neg_lo:[0,1] neg_hi:[0,1]
	s_wait_dscnt 0x0
	v_pk_mul_f32 v[112:113], v[108:109], v[100:101] op_sel:[0,1]
	v_pk_fma_f32 v[114:115], v[108:109], v[98:99], v[112:113] op_sel:[0,0,1] op_sel_hi:[1,1,0] neg_lo:[0,0,1] neg_hi:[0,0,1]
	v_pk_fma_f32 v[108:109], v[108:109], v[98:99], v[112:113] op_sel:[0,0,1] op_sel_hi:[1,0,0]
	s_delay_alu instid0(VALU_DEP_1) | instskip(SKIP_1) | instid1(VALU_DEP_1)
	v_mov_b32_e32 v115, v109
	v_pk_mul_f32 v[108:109], v[110:111], v[100:101] op_sel:[0,1]
	v_pk_fma_f32 v[112:113], v[110:111], v[98:99], v[108:109] op_sel:[0,0,1] op_sel_hi:[1,1,0] neg_lo:[0,0,1] neg_hi:[0,0,1]
	v_pk_fma_f32 v[108:109], v[110:111], v[98:99], v[108:109] op_sel:[0,0,1] op_sel_hi:[1,0,0]
	s_delay_alu instid0(VALU_DEP_1)
	v_mov_b32_e32 v113, v109
	ds_load_2addr_b64 v[108:111], v102 offset0:40 offset1:41
	v_pk_add_f32 v[12:13], v[12:13], v[114:115] neg_lo:[0,1] neg_hi:[0,1]
	v_pk_add_f32 v[8:9], v[8:9], v[112:113] neg_lo:[0,1] neg_hi:[0,1]
	s_wait_dscnt 0x0
	v_pk_mul_f32 v[112:113], v[108:109], v[100:101] op_sel:[0,1]
	s_delay_alu instid0(VALU_DEP_1) | instskip(SKIP_1) | instid1(VALU_DEP_1)
	v_pk_fma_f32 v[114:115], v[108:109], v[98:99], v[112:113] op_sel:[0,0,1] op_sel_hi:[1,1,0] neg_lo:[0,0,1] neg_hi:[0,0,1]
	v_pk_fma_f32 v[108:109], v[108:109], v[98:99], v[112:113] op_sel:[0,0,1] op_sel_hi:[1,0,0]
	v_mov_b32_e32 v115, v109
	v_pk_mul_f32 v[108:109], v[110:111], v[100:101] op_sel:[0,1]
	s_delay_alu instid0(VALU_DEP_1) | instskip(SKIP_1) | instid1(VALU_DEP_1)
	v_pk_fma_f32 v[112:113], v[110:111], v[98:99], v[108:109] op_sel:[0,0,1] op_sel_hi:[1,1,0] neg_lo:[0,0,1] neg_hi:[0,0,1]
	v_pk_fma_f32 v[108:109], v[110:111], v[98:99], v[108:109] op_sel:[0,0,1] op_sel_hi:[1,0,0]
	v_mov_b32_e32 v113, v109
	ds_load_2addr_b64 v[108:111], v102 offset0:42 offset1:43
	v_pk_add_f32 v[68:69], v[68:69], v[114:115] neg_lo:[0,1] neg_hi:[0,1]
	v_pk_add_f32 v[6:7], v[6:7], v[112:113] neg_lo:[0,1] neg_hi:[0,1]
	s_wait_dscnt 0x0
	v_dual_mul_f32 v112, v109, v101 :: v_dual_mul_f32 v114, v109, v98
	s_delay_alu instid0(VALU_DEP_1) | instskip(NEXT) | instid1(VALU_DEP_2)
	v_pk_fma_f32 v[112:113], v[108:109], v[88:89], v[112:113] op_sel_hi:[1,1,0] neg_lo:[0,0,1] neg_hi:[0,0,1]
	v_pk_fma_f32 v[108:109], v[108:109], v[88:89], v[114:115] op_sel:[1,0,0] op_sel_hi:[0,1,0]
	s_delay_alu instid0(VALU_DEP_1) | instskip(SKIP_1) | instid1(VALU_DEP_2)
	v_mov_b32_e32 v113, v109
	v_pk_mul_f32 v[108:109], v[110:111], v[100:101] op_sel:[0,1]
	v_pk_add_f32 v[54:55], v[54:55], v[112:113] neg_lo:[0,1] neg_hi:[0,1]
	s_delay_alu instid0(VALU_DEP_2) | instskip(SKIP_1) | instid1(VALU_DEP_1)
	v_pk_fma_f32 v[112:113], v[110:111], v[98:99], v[108:109] op_sel:[0,0,1] op_sel_hi:[1,1,0] neg_lo:[0,0,1] neg_hi:[0,0,1]
	v_pk_fma_f32 v[108:109], v[110:111], v[98:99], v[108:109] op_sel:[0,0,1] op_sel_hi:[1,0,0]
	v_mov_b32_e32 v113, v109
	ds_load_2addr_b64 v[108:111], v102 offset0:44 offset1:45
	v_pk_add_f32 v[40:41], v[40:41], v[112:113] neg_lo:[0,1] neg_hi:[0,1]
	s_wait_dscnt 0x0
	v_pk_mul_f32 v[112:113], v[108:109], v[100:101] op_sel:[0,1]
	v_mul_f32_e32 v100, v111, v101
	s_delay_alu instid0(VALU_DEP_2) | instskip(SKIP_2) | instid1(VALU_DEP_4)
	v_pk_fma_f32 v[114:115], v[108:109], v[98:99], v[112:113] op_sel:[0,0,1] op_sel_hi:[1,1,0] neg_lo:[0,0,1] neg_hi:[0,0,1]
	v_pk_fma_f32 v[108:109], v[108:109], v[98:99], v[112:113] op_sel:[0,0,1] op_sel_hi:[1,0,0]
	v_dual_mov_b32 v108, v111 :: v_dual_mul_f32 v98, v111, v98
	v_pk_fma_f32 v[100:101], v[110:111], v[88:89], v[100:101] op_sel_hi:[1,1,0] neg_lo:[0,0,1] neg_hi:[0,0,1]
	s_delay_alu instid0(VALU_DEP_3) | instskip(NEXT) | instid1(VALU_DEP_1)
	v_dual_mov_b32 v115, v109 :: v_dual_mov_b32 v109, v110
	v_pk_add_f32 v[14:15], v[14:15], v[114:115] neg_lo:[0,1] neg_hi:[0,1]
	s_delay_alu instid0(VALU_DEP_2) | instskip(NEXT) | instid1(VALU_DEP_1)
	v_pk_fma_f32 v[98:99], v[108:109], v[88:89], v[98:99] op_sel_hi:[1,1,0]
	v_mov_b32_e32 v101, v99
	s_delay_alu instid0(VALU_DEP_1)
	v_pk_add_f32 v[96:97], v[96:97], v[100:101] neg_lo:[0,1] neg_hi:[0,1]
.LBB90_83:
	s_or_b32 exec_lo, exec_lo, s0
	v_lshl_add_u32 v98, v106, 3, v102
	s_barrier_signal -1
	s_barrier_wait -1
	ds_store_b64 v98, v[74:75]
	s_wait_dscnt 0x0
	s_barrier_signal -1
	s_barrier_wait -1
	ds_load_b64 v[100:101], v102 offset:32
	v_mov_b32_e32 v98, 4
	s_cmp_lt_i32 s18, 6
	s_cbranch_scc1 .LBB90_86
; %bb.84:
	v_add3_u32 v99, v103, 0, 40
	v_mov_b32_e32 v98, 4
	s_mov_b32 s0, 5
.LBB90_85:                              ; =>This Inner Loop Header: Depth=1
	ds_load_b64 v[108:109], v99
	s_wait_dscnt 0x1
	v_cmp_gt_f32_e32 vcc_lo, 0, v100
	v_cndmask_b32_e64 v110, v100, -v100, vcc_lo
	v_cmp_gt_f32_e32 vcc_lo, 0, v101
	v_cndmask_b32_e64 v112, v101, -v101, vcc_lo
	s_wait_dscnt 0x0
	v_cmp_gt_f32_e32 vcc_lo, 0, v108
	v_cndmask_b32_e64 v111, v108, -v108, vcc_lo
	v_cmp_gt_f32_e32 vcc_lo, 0, v109
	v_cndmask_b32_e64 v113, v109, -v109, vcc_lo
	s_delay_alu instid0(VALU_DEP_1) | instskip(NEXT) | instid1(VALU_DEP_1)
	v_pk_add_f32 v[110:111], v[110:111], v[112:113]
	v_cmp_lt_f32_e32 vcc_lo, v110, v111
	v_dual_add_nc_u32 v99, 8, v99 :: v_dual_cndmask_b32 v101, v101, v109, vcc_lo
	v_cndmask_b32_e32 v100, v100, v108, vcc_lo
	v_cndmask_b32_e64 v98, v98, s0, vcc_lo
	s_add_co_i32 s0, s0, 1
	s_delay_alu instid0(SALU_CYCLE_1)
	s_cmp_lg_u32 s18, s0
	s_cbranch_scc1 .LBB90_85
.LBB90_86:
	s_wait_dscnt 0x0
	v_cmp_eq_f32_e32 vcc_lo, 0, v100
	v_cmp_eq_f32_e64 s0, 0, v101
	s_and_b32 s0, vcc_lo, s0
	s_delay_alu instid0(SALU_CYCLE_1) | instskip(NEXT) | instid1(SALU_CYCLE_1)
	s_and_saveexec_b32 s1, s0
	s_xor_b32 s0, exec_lo, s1
; %bb.87:
	v_cmp_ne_u32_e32 vcc_lo, 0, v104
	v_cndmask_b32_e32 v104, 5, v104, vcc_lo
; %bb.88:
	s_and_not1_saveexec_b32 s0, s0
	s_cbranch_execz .LBB90_94
; %bb.89:
	v_cmp_ngt_f32_e64 s1, |v100|, |v101|
	s_and_saveexec_b32 s12, s1
	s_delay_alu instid0(SALU_CYCLE_1)
	s_xor_b32 s1, exec_lo, s12
	s_cbranch_execz .LBB90_91
; %bb.90:
	v_div_scale_f32 v99, null, v101, v101, v100
	v_div_scale_f32 v109, vcc_lo, v100, v101, v100
	s_delay_alu instid0(VALU_DEP_2) | instskip(SKIP_1) | instid1(TRANS32_DEP_1)
	v_rcp_f32_e32 v107, v99
	v_nop
	v_fma_f32 v108, -v99, v107, 1.0
	s_delay_alu instid0(VALU_DEP_1) | instskip(NEXT) | instid1(VALU_DEP_1)
	v_fmac_f32_e32 v107, v108, v107
	v_mul_f32_e32 v108, v109, v107
	s_delay_alu instid0(VALU_DEP_1) | instskip(NEXT) | instid1(VALU_DEP_1)
	v_fma_f32 v110, -v99, v108, v109
	v_fmac_f32_e32 v108, v110, v107
	s_delay_alu instid0(VALU_DEP_1) | instskip(NEXT) | instid1(VALU_DEP_1)
	v_fma_f32 v99, -v99, v108, v109
	v_div_fmas_f32 v99, v99, v107, v108
	s_delay_alu instid0(VALU_DEP_1) | instskip(NEXT) | instid1(VALU_DEP_1)
	v_div_fixup_f32 v99, v99, v101, v100
	v_fmac_f32_e32 v101, v100, v99
	s_delay_alu instid0(VALU_DEP_1) | instskip(SKIP_1) | instid1(VALU_DEP_2)
	v_div_scale_f32 v100, null, v101, v101, 1.0
	v_div_scale_f32 v109, vcc_lo, 1.0, v101, 1.0
	v_rcp_f32_e32 v107, v100
	v_nop
	s_delay_alu instid0(TRANS32_DEP_1) | instskip(NEXT) | instid1(VALU_DEP_1)
	v_fma_f32 v108, -v100, v107, 1.0
	v_fmac_f32_e32 v107, v108, v107
	s_delay_alu instid0(VALU_DEP_1) | instskip(NEXT) | instid1(VALU_DEP_1)
	v_mul_f32_e32 v108, v109, v107
	v_fma_f32 v110, -v100, v108, v109
	s_delay_alu instid0(VALU_DEP_1) | instskip(NEXT) | instid1(VALU_DEP_1)
	v_fmac_f32_e32 v108, v110, v107
	v_fma_f32 v100, -v100, v108, v109
	s_delay_alu instid0(VALU_DEP_1) | instskip(NEXT) | instid1(VALU_DEP_1)
	v_div_fmas_f32 v100, v100, v107, v108
	v_div_fixup_f32 v101, v100, v101, 1.0
	s_delay_alu instid0(VALU_DEP_1)
	v_mul_f32_e32 v100, v99, v101
	v_xor_b32_e32 v101, 0x80000000, v101
.LBB90_91:
	s_and_not1_saveexec_b32 s1, s1
	s_cbranch_execz .LBB90_93
; %bb.92:
	s_delay_alu instid0(VALU_DEP_1) | instskip(SKIP_1) | instid1(VALU_DEP_2)
	v_div_scale_f32 v99, null, v100, v100, v101
	v_div_scale_f32 v109, vcc_lo, v101, v100, v101
	v_rcp_f32_e32 v107, v99
	v_nop
	s_delay_alu instid0(TRANS32_DEP_1) | instskip(NEXT) | instid1(VALU_DEP_1)
	v_fma_f32 v108, -v99, v107, 1.0
	v_fmac_f32_e32 v107, v108, v107
	s_delay_alu instid0(VALU_DEP_1) | instskip(NEXT) | instid1(VALU_DEP_1)
	v_mul_f32_e32 v108, v109, v107
	v_fma_f32 v110, -v99, v108, v109
	s_delay_alu instid0(VALU_DEP_1) | instskip(NEXT) | instid1(VALU_DEP_1)
	v_fmac_f32_e32 v108, v110, v107
	v_fma_f32 v99, -v99, v108, v109
	s_delay_alu instid0(VALU_DEP_1) | instskip(NEXT) | instid1(VALU_DEP_1)
	v_div_fmas_f32 v99, v99, v107, v108
	v_div_fixup_f32 v99, v99, v100, v101
	s_delay_alu instid0(VALU_DEP_1) | instskip(NEXT) | instid1(VALU_DEP_1)
	v_fmac_f32_e32 v100, v101, v99
	v_div_scale_f32 v101, null, v100, v100, 1.0
	s_delay_alu instid0(VALU_DEP_1) | instskip(SKIP_1) | instid1(TRANS32_DEP_1)
	v_rcp_f32_e32 v107, v101
	v_nop
	v_fma_f32 v108, -v101, v107, 1.0
	s_delay_alu instid0(VALU_DEP_1) | instskip(SKIP_1) | instid1(VALU_DEP_1)
	v_fmac_f32_e32 v107, v108, v107
	v_div_scale_f32 v108, vcc_lo, 1.0, v100, 1.0
	v_mul_f32_e32 v109, v108, v107
	s_delay_alu instid0(VALU_DEP_1) | instskip(NEXT) | instid1(VALU_DEP_1)
	v_fma_f32 v110, -v101, v109, v108
	v_fmac_f32_e32 v109, v110, v107
	s_delay_alu instid0(VALU_DEP_1) | instskip(NEXT) | instid1(VALU_DEP_1)
	v_fma_f32 v101, -v101, v109, v108
	v_div_fmas_f32 v101, v101, v107, v109
	s_delay_alu instid0(VALU_DEP_1) | instskip(NEXT) | instid1(VALU_DEP_1)
	v_div_fixup_f32 v100, v101, v100, 1.0
	v_mul_f32_e64 v101, v99, -v100
.LBB90_93:
	s_or_b32 exec_lo, exec_lo, s1
.LBB90_94:
	s_delay_alu instid0(SALU_CYCLE_1) | instskip(NEXT) | instid1(SALU_CYCLE_1)
	s_or_b32 exec_lo, exec_lo, s0
	s_mov_b32 s0, exec_lo
	v_cmpx_ne_u32_e64 v106, v98
	s_xor_b32 s0, exec_lo, s0
	s_cbranch_execz .LBB90_100
; %bb.95:
	s_mov_b32 s1, exec_lo
	v_cmpx_eq_u32_e32 4, v106
	s_cbranch_execz .LBB90_99
; %bb.96:
	v_cmp_ne_u32_e32 vcc_lo, 4, v98
	s_xor_b32 s12, s16, -1
	s_delay_alu instid0(SALU_CYCLE_1) | instskip(NEXT) | instid1(SALU_CYCLE_1)
	s_and_b32 s13, s12, vcc_lo
	s_and_saveexec_b32 s12, s13
	s_cbranch_execz .LBB90_98
; %bb.97:
	v_ashrrev_i32_e32 v99, 31, v98
	s_delay_alu instid0(VALU_DEP_1)
	v_lshl_add_u64 v[106:107], v[98:99], 2, v[4:5]
	s_clause 0x1
	global_load_b32 v99, v[106:107], off
	global_load_b32 v105, v[4:5], off offset:16
	s_wait_loadcnt 0x1
	global_store_b32 v[4:5], v99, off offset:16
	s_wait_loadcnt 0x0
	global_store_b32 v[106:107], v105, off
.LBB90_98:
	s_wait_xcnt 0x0
	s_or_b32 exec_lo, exec_lo, s12
	v_dual_mov_b32 v106, v98 :: v_dual_mov_b32 v105, v98
.LBB90_99:
	s_or_b32 exec_lo, exec_lo, s1
.LBB90_100:
	s_and_not1_saveexec_b32 s0, s0
	s_cbranch_execz .LBB90_102
; %bb.101:
	v_mov_b32_e32 v106, 4
	ds_store_2addr_b64 v102, v[22:23], v[26:27] offset0:5 offset1:6
	ds_store_2addr_b64 v102, v[20:21], v[78:79] offset0:7 offset1:8
	;; [unrolled: 1-line block ×20, first 2 shown]
	ds_store_b64 v102, v[96:97] offset:360
.LBB90_102:
	s_or_b32 exec_lo, exec_lo, s0
	s_delay_alu instid0(SALU_CYCLE_1)
	s_mov_b32 s0, exec_lo
	s_wait_storecnt_dscnt 0x0
	s_barrier_signal -1
	s_barrier_wait -1
	v_cmpx_lt_i32_e32 4, v106
	s_cbranch_execz .LBB90_104
; %bb.103:
	v_pk_mul_f32 v[108:109], v[100:101], v[74:75] op_sel:[1,1] op_sel_hi:[0,1]
	s_delay_alu instid0(VALU_DEP_1)
	v_pk_fma_f32 v[98:99], v[100:101], v[74:75], v[108:109] op_sel_hi:[1,0,1] neg_lo:[0,0,1] neg_hi:[0,0,1]
	v_pk_fma_f32 v[100:101], v[100:101], v[74:75], v[108:109] op_sel_hi:[1,0,1]
	ds_load_2addr_b64 v[108:111], v102 offset0:5 offset1:6
	v_dual_mov_b32 v74, v98 :: v_dual_mov_b32 v75, v101
	s_wait_dscnt 0x0
	v_pk_mul_f32 v[112:113], v[108:109], v[100:101] op_sel:[0,1]
	s_delay_alu instid0(VALU_DEP_1) | instskip(SKIP_1) | instid1(VALU_DEP_1)
	v_pk_fma_f32 v[114:115], v[108:109], v[98:99], v[112:113] op_sel:[0,0,1] op_sel_hi:[1,1,0] neg_lo:[0,0,1] neg_hi:[0,0,1]
	v_pk_fma_f32 v[108:109], v[108:109], v[98:99], v[112:113] op_sel:[0,0,1] op_sel_hi:[1,0,0]
	v_mov_b32_e32 v115, v109
	v_pk_mul_f32 v[108:109], v[110:111], v[100:101] op_sel:[0,1]
	s_delay_alu instid0(VALU_DEP_1) | instskip(SKIP_1) | instid1(VALU_DEP_1)
	v_pk_fma_f32 v[112:113], v[110:111], v[98:99], v[108:109] op_sel:[0,0,1] op_sel_hi:[1,1,0] neg_lo:[0,0,1] neg_hi:[0,0,1]
	v_pk_fma_f32 v[108:109], v[110:111], v[98:99], v[108:109] op_sel:[0,0,1] op_sel_hi:[1,0,0]
	v_mov_b32_e32 v113, v109
	ds_load_2addr_b64 v[108:111], v102 offset0:7 offset1:8
	v_pk_add_f32 v[22:23], v[22:23], v[114:115] neg_lo:[0,1] neg_hi:[0,1]
	v_pk_add_f32 v[26:27], v[26:27], v[112:113] neg_lo:[0,1] neg_hi:[0,1]
	s_wait_dscnt 0x0
	v_pk_mul_f32 v[112:113], v[108:109], v[100:101] op_sel:[0,1]
	s_delay_alu instid0(VALU_DEP_1) | instskip(SKIP_2) | instid1(VALU_DEP_2)
	v_pk_fma_f32 v[114:115], v[108:109], v[98:99], v[112:113] op_sel:[0,0,1] op_sel_hi:[1,1,0] neg_lo:[0,0,1] neg_hi:[0,0,1]
	v_pk_fma_f32 v[108:109], v[108:109], v[98:99], v[112:113] op_sel:[0,0,1] op_sel_hi:[1,0,0]
	v_dual_mul_f32 v112, v111, v101 :: v_dual_mov_b32 v108, v111
	v_dual_mov_b32 v115, v109 :: v_dual_mov_b32 v109, v110
	s_delay_alu instid0(VALU_DEP_2) | instskip(SKIP_1) | instid1(VALU_DEP_3)
	v_pk_fma_f32 v[112:113], v[110:111], v[74:75], v[112:113] op_sel_hi:[1,1,0] neg_lo:[0,0,1] neg_hi:[0,0,1]
	v_mul_f32_e32 v110, v111, v98
	v_pk_add_f32 v[20:21], v[20:21], v[114:115] neg_lo:[0,1] neg_hi:[0,1]
	s_delay_alu instid0(VALU_DEP_2) | instskip(NEXT) | instid1(VALU_DEP_1)
	v_pk_fma_f32 v[108:109], v[108:109], v[74:75], v[110:111] op_sel_hi:[1,1,0]
	v_mov_b32_e32 v113, v109
	ds_load_2addr_b64 v[108:111], v102 offset0:9 offset1:10
	v_pk_add_f32 v[78:79], v[78:79], v[112:113] neg_lo:[0,1] neg_hi:[0,1]
	s_wait_dscnt 0x0
	v_pk_mul_f32 v[112:113], v[108:109], v[100:101] op_sel:[0,1]
	s_delay_alu instid0(VALU_DEP_1) | instskip(SKIP_1) | instid1(VALU_DEP_1)
	v_pk_fma_f32 v[114:115], v[108:109], v[98:99], v[112:113] op_sel:[0,0,1] op_sel_hi:[1,1,0] neg_lo:[0,0,1] neg_hi:[0,0,1]
	v_pk_fma_f32 v[108:109], v[108:109], v[98:99], v[112:113] op_sel:[0,0,1] op_sel_hi:[1,0,0]
	v_mov_b32_e32 v115, v109
	v_pk_mul_f32 v[108:109], v[110:111], v[100:101] op_sel:[0,1]
	s_delay_alu instid0(VALU_DEP_1) | instskip(SKIP_1) | instid1(VALU_DEP_1)
	v_pk_fma_f32 v[112:113], v[110:111], v[98:99], v[108:109] op_sel:[0,0,1] op_sel_hi:[1,1,0] neg_lo:[0,0,1] neg_hi:[0,0,1]
	v_pk_fma_f32 v[108:109], v[110:111], v[98:99], v[108:109] op_sel:[0,0,1] op_sel_hi:[1,0,0]
	v_mov_b32_e32 v113, v109
	ds_load_2addr_b64 v[108:111], v102 offset0:11 offset1:12
	v_pk_add_f32 v[34:35], v[34:35], v[114:115] neg_lo:[0,1] neg_hi:[0,1]
	v_pk_add_f32 v[38:39], v[38:39], v[112:113] neg_lo:[0,1] neg_hi:[0,1]
	s_wait_dscnt 0x0
	v_pk_mul_f32 v[112:113], v[108:109], v[100:101] op_sel:[0,1]
	s_delay_alu instid0(VALU_DEP_1) | instskip(SKIP_1) | instid1(VALU_DEP_1)
	v_pk_fma_f32 v[114:115], v[108:109], v[98:99], v[112:113] op_sel:[0,0,1] op_sel_hi:[1,1,0] neg_lo:[0,0,1] neg_hi:[0,0,1]
	v_pk_fma_f32 v[108:109], v[108:109], v[98:99], v[112:113] op_sel:[0,0,1] op_sel_hi:[1,0,0]
	v_mov_b32_e32 v115, v109
	v_pk_mul_f32 v[108:109], v[110:111], v[100:101] op_sel:[0,1]
	s_delay_alu instid0(VALU_DEP_1) | instskip(SKIP_1) | instid1(VALU_DEP_1)
	v_pk_fma_f32 v[112:113], v[110:111], v[98:99], v[108:109] op_sel:[0,0,1] op_sel_hi:[1,1,0] neg_lo:[0,0,1] neg_hi:[0,0,1]
	v_pk_fma_f32 v[108:109], v[110:111], v[98:99], v[108:109] op_sel:[0,0,1] op_sel_hi:[1,0,0]
	v_mov_b32_e32 v113, v109
	ds_load_2addr_b64 v[108:111], v102 offset0:13 offset1:14
	v_pk_add_f32 v[32:33], v[32:33], v[114:115] neg_lo:[0,1] neg_hi:[0,1]
	v_pk_add_f32 v[86:87], v[86:87], v[112:113] neg_lo:[0,1] neg_hi:[0,1]
	s_wait_dscnt 0x0
	v_dual_mul_f32 v112, v109, v101 :: v_dual_mul_f32 v114, v109, v98
	s_delay_alu instid0(VALU_DEP_1) | instskip(NEXT) | instid1(VALU_DEP_2)
	v_pk_fma_f32 v[112:113], v[108:109], v[74:75], v[112:113] op_sel_hi:[1,1,0] neg_lo:[0,0,1] neg_hi:[0,0,1]
	v_pk_fma_f32 v[108:109], v[108:109], v[74:75], v[114:115] op_sel:[1,0,0] op_sel_hi:[0,1,0]
	s_delay_alu instid0(VALU_DEP_1) | instskip(SKIP_1) | instid1(VALU_DEP_2)
	v_mov_b32_e32 v113, v109
	v_pk_mul_f32 v[108:109], v[110:111], v[100:101] op_sel:[0,1]
	v_pk_add_f32 v[64:65], v[64:65], v[112:113] neg_lo:[0,1] neg_hi:[0,1]
	s_delay_alu instid0(VALU_DEP_2) | instskip(SKIP_1) | instid1(VALU_DEP_1)
	v_pk_fma_f32 v[112:113], v[110:111], v[98:99], v[108:109] op_sel:[0,0,1] op_sel_hi:[1,1,0] neg_lo:[0,0,1] neg_hi:[0,0,1]
	v_pk_fma_f32 v[108:109], v[110:111], v[98:99], v[108:109] op_sel:[0,0,1] op_sel_hi:[1,0,0]
	v_mov_b32_e32 v113, v109
	ds_load_2addr_b64 v[108:111], v102 offset0:15 offset1:16
	v_pk_add_f32 v[66:67], v[66:67], v[112:113] neg_lo:[0,1] neg_hi:[0,1]
	s_wait_dscnt 0x0
	v_pk_mul_f32 v[112:113], v[108:109], v[100:101] op_sel:[0,1]
	s_delay_alu instid0(VALU_DEP_1) | instskip(SKIP_1) | instid1(VALU_DEP_1)
	v_pk_fma_f32 v[114:115], v[108:109], v[98:99], v[112:113] op_sel:[0,0,1] op_sel_hi:[1,1,0] neg_lo:[0,0,1] neg_hi:[0,0,1]
	v_pk_fma_f32 v[108:109], v[108:109], v[98:99], v[112:113] op_sel:[0,0,1] op_sel_hi:[1,0,0]
	v_mov_b32_e32 v115, v109
	v_pk_mul_f32 v[108:109], v[110:111], v[100:101] op_sel:[0,1]
	s_delay_alu instid0(VALU_DEP_2) | instskip(NEXT) | instid1(VALU_DEP_2)
	v_pk_add_f32 v[62:63], v[62:63], v[114:115] neg_lo:[0,1] neg_hi:[0,1]
	v_pk_fma_f32 v[112:113], v[110:111], v[98:99], v[108:109] op_sel:[0,0,1] op_sel_hi:[1,1,0] neg_lo:[0,0,1] neg_hi:[0,0,1]
	v_pk_fma_f32 v[108:109], v[110:111], v[98:99], v[108:109] op_sel:[0,0,1] op_sel_hi:[1,0,0]
	s_delay_alu instid0(VALU_DEP_1) | instskip(SKIP_4) | instid1(VALU_DEP_1)
	v_mov_b32_e32 v113, v109
	ds_load_2addr_b64 v[108:111], v102 offset0:17 offset1:18
	v_pk_add_f32 v[84:85], v[84:85], v[112:113] neg_lo:[0,1] neg_hi:[0,1]
	s_wait_dscnt 0x0
	v_pk_mul_f32 v[112:113], v[108:109], v[100:101] op_sel:[0,1]
	v_pk_fma_f32 v[114:115], v[108:109], v[98:99], v[112:113] op_sel:[0,0,1] op_sel_hi:[1,1,0] neg_lo:[0,0,1] neg_hi:[0,0,1]
	v_pk_fma_f32 v[108:109], v[108:109], v[98:99], v[112:113] op_sel:[0,0,1] op_sel_hi:[1,0,0]
	v_dual_mul_f32 v112, v111, v101 :: v_dual_mov_b32 v108, v111
	s_delay_alu instid0(VALU_DEP_2) | instskip(NEXT) | instid1(VALU_DEP_2)
	v_dual_mov_b32 v115, v109 :: v_dual_mov_b32 v109, v110
	v_pk_fma_f32 v[112:113], v[110:111], v[74:75], v[112:113] op_sel_hi:[1,1,0] neg_lo:[0,0,1] neg_hi:[0,0,1]
	v_mul_f32_e32 v110, v111, v98
	s_delay_alu instid0(VALU_DEP_3) | instskip(NEXT) | instid1(VALU_DEP_2)
	v_pk_add_f32 v[58:59], v[58:59], v[114:115] neg_lo:[0,1] neg_hi:[0,1]
	v_pk_fma_f32 v[108:109], v[108:109], v[74:75], v[110:111] op_sel_hi:[1,1,0]
	s_delay_alu instid0(VALU_DEP_1) | instskip(SKIP_4) | instid1(VALU_DEP_1)
	v_mov_b32_e32 v113, v109
	ds_load_2addr_b64 v[108:111], v102 offset0:19 offset1:20
	v_pk_add_f32 v[60:61], v[60:61], v[112:113] neg_lo:[0,1] neg_hi:[0,1]
	s_wait_dscnt 0x0
	v_pk_mul_f32 v[112:113], v[108:109], v[100:101] op_sel:[0,1]
	v_pk_fma_f32 v[114:115], v[108:109], v[98:99], v[112:113] op_sel:[0,0,1] op_sel_hi:[1,1,0] neg_lo:[0,0,1] neg_hi:[0,0,1]
	v_pk_fma_f32 v[108:109], v[108:109], v[98:99], v[112:113] op_sel:[0,0,1] op_sel_hi:[1,0,0]
	s_delay_alu instid0(VALU_DEP_1) | instskip(SKIP_1) | instid1(VALU_DEP_1)
	v_mov_b32_e32 v115, v109
	v_pk_mul_f32 v[108:109], v[110:111], v[100:101] op_sel:[0,1]
	v_pk_fma_f32 v[112:113], v[110:111], v[98:99], v[108:109] op_sel:[0,0,1] op_sel_hi:[1,1,0] neg_lo:[0,0,1] neg_hi:[0,0,1]
	v_pk_fma_f32 v[108:109], v[110:111], v[98:99], v[108:109] op_sel:[0,0,1] op_sel_hi:[1,0,0]
	s_delay_alu instid0(VALU_DEP_1)
	v_mov_b32_e32 v113, v109
	ds_load_2addr_b64 v[108:111], v102 offset0:21 offset1:22
	v_pk_add_f32 v[56:57], v[56:57], v[114:115] neg_lo:[0,1] neg_hi:[0,1]
	v_pk_add_f32 v[82:83], v[82:83], v[112:113] neg_lo:[0,1] neg_hi:[0,1]
	s_wait_dscnt 0x0
	v_pk_mul_f32 v[112:113], v[108:109], v[100:101] op_sel:[0,1]
	s_delay_alu instid0(VALU_DEP_1) | instskip(SKIP_1) | instid1(VALU_DEP_1)
	v_pk_fma_f32 v[114:115], v[108:109], v[98:99], v[112:113] op_sel:[0,0,1] op_sel_hi:[1,1,0] neg_lo:[0,0,1] neg_hi:[0,0,1]
	v_pk_fma_f32 v[108:109], v[108:109], v[98:99], v[112:113] op_sel:[0,0,1] op_sel_hi:[1,0,0]
	v_mov_b32_e32 v115, v109
	v_pk_mul_f32 v[108:109], v[110:111], v[100:101] op_sel:[0,1]
	s_delay_alu instid0(VALU_DEP_1) | instskip(SKIP_1) | instid1(VALU_DEP_1)
	v_pk_fma_f32 v[112:113], v[110:111], v[98:99], v[108:109] op_sel:[0,0,1] op_sel_hi:[1,1,0] neg_lo:[0,0,1] neg_hi:[0,0,1]
	v_pk_fma_f32 v[108:109], v[110:111], v[98:99], v[108:109] op_sel:[0,0,1] op_sel_hi:[1,0,0]
	v_mov_b32_e32 v113, v109
	ds_load_2addr_b64 v[108:111], v102 offset0:23 offset1:24
	v_pk_add_f32 v[50:51], v[50:51], v[114:115] neg_lo:[0,1] neg_hi:[0,1]
	v_pk_add_f32 v[52:53], v[52:53], v[112:113] neg_lo:[0,1] neg_hi:[0,1]
	s_wait_dscnt 0x0
	v_dual_mul_f32 v112, v109, v101 :: v_dual_mul_f32 v114, v109, v98
	s_delay_alu instid0(VALU_DEP_1) | instskip(NEXT) | instid1(VALU_DEP_2)
	v_pk_fma_f32 v[112:113], v[108:109], v[74:75], v[112:113] op_sel_hi:[1,1,0] neg_lo:[0,0,1] neg_hi:[0,0,1]
	v_pk_fma_f32 v[108:109], v[108:109], v[74:75], v[114:115] op_sel:[1,0,0] op_sel_hi:[0,1,0]
	s_delay_alu instid0(VALU_DEP_1) | instskip(SKIP_1) | instid1(VALU_DEP_2)
	v_mov_b32_e32 v113, v109
	v_pk_mul_f32 v[108:109], v[110:111], v[100:101] op_sel:[0,1]
	v_pk_add_f32 v[48:49], v[48:49], v[112:113] neg_lo:[0,1] neg_hi:[0,1]
	s_delay_alu instid0(VALU_DEP_2) | instskip(SKIP_1) | instid1(VALU_DEP_1)
	v_pk_fma_f32 v[112:113], v[110:111], v[98:99], v[108:109] op_sel:[0,0,1] op_sel_hi:[1,1,0] neg_lo:[0,0,1] neg_hi:[0,0,1]
	v_pk_fma_f32 v[108:109], v[110:111], v[98:99], v[108:109] op_sel:[0,0,1] op_sel_hi:[1,0,0]
	v_mov_b32_e32 v113, v109
	ds_load_2addr_b64 v[108:111], v102 offset0:25 offset1:26
	v_pk_add_f32 v[80:81], v[80:81], v[112:113] neg_lo:[0,1] neg_hi:[0,1]
	s_wait_dscnt 0x0
	v_pk_mul_f32 v[112:113], v[108:109], v[100:101] op_sel:[0,1]
	s_delay_alu instid0(VALU_DEP_1) | instskip(SKIP_1) | instid1(VALU_DEP_1)
	v_pk_fma_f32 v[114:115], v[108:109], v[98:99], v[112:113] op_sel:[0,0,1] op_sel_hi:[1,1,0] neg_lo:[0,0,1] neg_hi:[0,0,1]
	v_pk_fma_f32 v[108:109], v[108:109], v[98:99], v[112:113] op_sel:[0,0,1] op_sel_hi:[1,0,0]
	v_mov_b32_e32 v115, v109
	v_pk_mul_f32 v[108:109], v[110:111], v[100:101] op_sel:[0,1]
	s_delay_alu instid0(VALU_DEP_2) | instskip(NEXT) | instid1(VALU_DEP_2)
	v_pk_add_f32 v[44:45], v[44:45], v[114:115] neg_lo:[0,1] neg_hi:[0,1]
	v_pk_fma_f32 v[112:113], v[110:111], v[98:99], v[108:109] op_sel:[0,0,1] op_sel_hi:[1,1,0] neg_lo:[0,0,1] neg_hi:[0,0,1]
	v_pk_fma_f32 v[108:109], v[110:111], v[98:99], v[108:109] op_sel:[0,0,1] op_sel_hi:[1,0,0]
	s_delay_alu instid0(VALU_DEP_1) | instskip(SKIP_4) | instid1(VALU_DEP_1)
	v_mov_b32_e32 v113, v109
	ds_load_2addr_b64 v[108:111], v102 offset0:27 offset1:28
	v_pk_add_f32 v[46:47], v[46:47], v[112:113] neg_lo:[0,1] neg_hi:[0,1]
	s_wait_dscnt 0x0
	v_pk_mul_f32 v[112:113], v[108:109], v[100:101] op_sel:[0,1]
	v_pk_fma_f32 v[114:115], v[108:109], v[98:99], v[112:113] op_sel:[0,0,1] op_sel_hi:[1,1,0] neg_lo:[0,0,1] neg_hi:[0,0,1]
	v_pk_fma_f32 v[108:109], v[108:109], v[98:99], v[112:113] op_sel:[0,0,1] op_sel_hi:[1,0,0]
	v_dual_mul_f32 v112, v111, v101 :: v_dual_mov_b32 v108, v111
	s_delay_alu instid0(VALU_DEP_2) | instskip(NEXT) | instid1(VALU_DEP_2)
	v_dual_mov_b32 v115, v109 :: v_dual_mov_b32 v109, v110
	v_pk_fma_f32 v[112:113], v[110:111], v[74:75], v[112:113] op_sel_hi:[1,1,0] neg_lo:[0,0,1] neg_hi:[0,0,1]
	v_mul_f32_e32 v110, v111, v98
	s_delay_alu instid0(VALU_DEP_3) | instskip(NEXT) | instid1(VALU_DEP_2)
	v_pk_add_f32 v[42:43], v[42:43], v[114:115] neg_lo:[0,1] neg_hi:[0,1]
	v_pk_fma_f32 v[108:109], v[108:109], v[74:75], v[110:111] op_sel_hi:[1,1,0]
	s_delay_alu instid0(VALU_DEP_1) | instskip(SKIP_4) | instid1(VALU_DEP_1)
	v_mov_b32_e32 v113, v109
	ds_load_2addr_b64 v[108:111], v102 offset0:29 offset1:30
	v_pk_add_f32 v[76:77], v[76:77], v[112:113] neg_lo:[0,1] neg_hi:[0,1]
	s_wait_dscnt 0x0
	v_pk_mul_f32 v[112:113], v[108:109], v[100:101] op_sel:[0,1]
	v_pk_fma_f32 v[114:115], v[108:109], v[98:99], v[112:113] op_sel:[0,0,1] op_sel_hi:[1,1,0] neg_lo:[0,0,1] neg_hi:[0,0,1]
	v_pk_fma_f32 v[108:109], v[108:109], v[98:99], v[112:113] op_sel:[0,0,1] op_sel_hi:[1,0,0]
	s_delay_alu instid0(VALU_DEP_1) | instskip(SKIP_1) | instid1(VALU_DEP_1)
	v_mov_b32_e32 v115, v109
	v_pk_mul_f32 v[108:109], v[110:111], v[100:101] op_sel:[0,1]
	v_pk_fma_f32 v[112:113], v[110:111], v[98:99], v[108:109] op_sel:[0,0,1] op_sel_hi:[1,1,0] neg_lo:[0,0,1] neg_hi:[0,0,1]
	v_pk_fma_f32 v[108:109], v[110:111], v[98:99], v[108:109] op_sel:[0,0,1] op_sel_hi:[1,0,0]
	s_delay_alu instid0(VALU_DEP_1)
	v_mov_b32_e32 v113, v109
	ds_load_2addr_b64 v[108:111], v102 offset0:31 offset1:32
	v_pk_add_f32 v[30:31], v[30:31], v[114:115] neg_lo:[0,1] neg_hi:[0,1]
	v_pk_add_f32 v[36:37], v[36:37], v[112:113] neg_lo:[0,1] neg_hi:[0,1]
	s_wait_dscnt 0x0
	v_pk_mul_f32 v[112:113], v[108:109], v[100:101] op_sel:[0,1]
	s_delay_alu instid0(VALU_DEP_1) | instskip(SKIP_1) | instid1(VALU_DEP_1)
	v_pk_fma_f32 v[114:115], v[108:109], v[98:99], v[112:113] op_sel:[0,0,1] op_sel_hi:[1,1,0] neg_lo:[0,0,1] neg_hi:[0,0,1]
	v_pk_fma_f32 v[108:109], v[108:109], v[98:99], v[112:113] op_sel:[0,0,1] op_sel_hi:[1,0,0]
	v_mov_b32_e32 v115, v109
	v_pk_mul_f32 v[108:109], v[110:111], v[100:101] op_sel:[0,1]
	s_delay_alu instid0(VALU_DEP_1) | instskip(SKIP_1) | instid1(VALU_DEP_1)
	v_pk_fma_f32 v[112:113], v[110:111], v[98:99], v[108:109] op_sel:[0,0,1] op_sel_hi:[1,1,0] neg_lo:[0,0,1] neg_hi:[0,0,1]
	v_pk_fma_f32 v[108:109], v[110:111], v[98:99], v[108:109] op_sel:[0,0,1] op_sel_hi:[1,0,0]
	v_mov_b32_e32 v113, v109
	ds_load_2addr_b64 v[108:111], v102 offset0:33 offset1:34
	v_pk_add_f32 v[28:29], v[28:29], v[114:115] neg_lo:[0,1] neg_hi:[0,1]
	v_pk_add_f32 v[72:73], v[72:73], v[112:113] neg_lo:[0,1] neg_hi:[0,1]
	s_wait_dscnt 0x0
	v_dual_mul_f32 v112, v109, v101 :: v_dual_mul_f32 v114, v109, v98
	s_delay_alu instid0(VALU_DEP_1) | instskip(NEXT) | instid1(VALU_DEP_2)
	v_pk_fma_f32 v[112:113], v[108:109], v[74:75], v[112:113] op_sel_hi:[1,1,0] neg_lo:[0,0,1] neg_hi:[0,0,1]
	v_pk_fma_f32 v[108:109], v[108:109], v[74:75], v[114:115] op_sel:[1,0,0] op_sel_hi:[0,1,0]
	s_delay_alu instid0(VALU_DEP_1) | instskip(SKIP_1) | instid1(VALU_DEP_2)
	v_mov_b32_e32 v113, v109
	v_pk_mul_f32 v[108:109], v[110:111], v[100:101] op_sel:[0,1]
	v_pk_add_f32 v[18:19], v[18:19], v[112:113] neg_lo:[0,1] neg_hi:[0,1]
	s_delay_alu instid0(VALU_DEP_2) | instskip(SKIP_1) | instid1(VALU_DEP_1)
	v_pk_fma_f32 v[112:113], v[110:111], v[98:99], v[108:109] op_sel:[0,0,1] op_sel_hi:[1,1,0] neg_lo:[0,0,1] neg_hi:[0,0,1]
	v_pk_fma_f32 v[108:109], v[110:111], v[98:99], v[108:109] op_sel:[0,0,1] op_sel_hi:[1,0,0]
	v_mov_b32_e32 v113, v109
	ds_load_2addr_b64 v[108:111], v102 offset0:35 offset1:36
	v_pk_add_f32 v[24:25], v[24:25], v[112:113] neg_lo:[0,1] neg_hi:[0,1]
	s_wait_dscnt 0x0
	v_pk_mul_f32 v[112:113], v[108:109], v[100:101] op_sel:[0,1]
	s_delay_alu instid0(VALU_DEP_1) | instskip(SKIP_1) | instid1(VALU_DEP_1)
	v_pk_fma_f32 v[114:115], v[108:109], v[98:99], v[112:113] op_sel:[0,0,1] op_sel_hi:[1,1,0] neg_lo:[0,0,1] neg_hi:[0,0,1]
	v_pk_fma_f32 v[108:109], v[108:109], v[98:99], v[112:113] op_sel:[0,0,1] op_sel_hi:[1,0,0]
	v_mov_b32_e32 v115, v109
	v_pk_mul_f32 v[108:109], v[110:111], v[100:101] op_sel:[0,1]
	s_delay_alu instid0(VALU_DEP_2) | instskip(NEXT) | instid1(VALU_DEP_2)
	v_pk_add_f32 v[16:17], v[16:17], v[114:115] neg_lo:[0,1] neg_hi:[0,1]
	v_pk_fma_f32 v[112:113], v[110:111], v[98:99], v[108:109] op_sel:[0,0,1] op_sel_hi:[1,1,0] neg_lo:[0,0,1] neg_hi:[0,0,1]
	v_pk_fma_f32 v[108:109], v[110:111], v[98:99], v[108:109] op_sel:[0,0,1] op_sel_hi:[1,0,0]
	s_delay_alu instid0(VALU_DEP_1) | instskip(SKIP_4) | instid1(VALU_DEP_1)
	v_mov_b32_e32 v113, v109
	ds_load_2addr_b64 v[108:111], v102 offset0:37 offset1:38
	v_pk_add_f32 v[70:71], v[70:71], v[112:113] neg_lo:[0,1] neg_hi:[0,1]
	s_wait_dscnt 0x0
	v_pk_mul_f32 v[112:113], v[108:109], v[100:101] op_sel:[0,1]
	v_pk_fma_f32 v[114:115], v[108:109], v[98:99], v[112:113] op_sel:[0,0,1] op_sel_hi:[1,1,0] neg_lo:[0,0,1] neg_hi:[0,0,1]
	v_pk_fma_f32 v[108:109], v[108:109], v[98:99], v[112:113] op_sel:[0,0,1] op_sel_hi:[1,0,0]
	v_dual_mul_f32 v112, v111, v101 :: v_dual_mov_b32 v108, v111
	s_delay_alu instid0(VALU_DEP_2) | instskip(NEXT) | instid1(VALU_DEP_2)
	v_dual_mov_b32 v115, v109 :: v_dual_mov_b32 v109, v110
	v_pk_fma_f32 v[112:113], v[110:111], v[74:75], v[112:113] op_sel_hi:[1,1,0] neg_lo:[0,0,1] neg_hi:[0,0,1]
	v_mul_f32_e32 v110, v111, v98
	s_delay_alu instid0(VALU_DEP_3) | instskip(NEXT) | instid1(VALU_DEP_2)
	v_pk_add_f32 v[10:11], v[10:11], v[114:115] neg_lo:[0,1] neg_hi:[0,1]
	v_pk_fma_f32 v[108:109], v[108:109], v[74:75], v[110:111] op_sel_hi:[1,1,0]
	s_delay_alu instid0(VALU_DEP_1) | instskip(SKIP_4) | instid1(VALU_DEP_1)
	v_mov_b32_e32 v113, v109
	ds_load_2addr_b64 v[108:111], v102 offset0:39 offset1:40
	v_pk_add_f32 v[12:13], v[12:13], v[112:113] neg_lo:[0,1] neg_hi:[0,1]
	s_wait_dscnt 0x0
	v_pk_mul_f32 v[112:113], v[108:109], v[100:101] op_sel:[0,1]
	v_pk_fma_f32 v[114:115], v[108:109], v[98:99], v[112:113] op_sel:[0,0,1] op_sel_hi:[1,1,0] neg_lo:[0,0,1] neg_hi:[0,0,1]
	v_pk_fma_f32 v[108:109], v[108:109], v[98:99], v[112:113] op_sel:[0,0,1] op_sel_hi:[1,0,0]
	s_delay_alu instid0(VALU_DEP_1) | instskip(SKIP_1) | instid1(VALU_DEP_1)
	v_mov_b32_e32 v115, v109
	v_pk_mul_f32 v[108:109], v[110:111], v[100:101] op_sel:[0,1]
	v_pk_fma_f32 v[112:113], v[110:111], v[98:99], v[108:109] op_sel:[0,0,1] op_sel_hi:[1,1,0] neg_lo:[0,0,1] neg_hi:[0,0,1]
	v_pk_fma_f32 v[108:109], v[110:111], v[98:99], v[108:109] op_sel:[0,0,1] op_sel_hi:[1,0,0]
	s_delay_alu instid0(VALU_DEP_1)
	v_mov_b32_e32 v113, v109
	ds_load_2addr_b64 v[108:111], v102 offset0:41 offset1:42
	v_pk_add_f32 v[8:9], v[8:9], v[114:115] neg_lo:[0,1] neg_hi:[0,1]
	v_pk_add_f32 v[68:69], v[68:69], v[112:113] neg_lo:[0,1] neg_hi:[0,1]
	s_wait_dscnt 0x0
	v_pk_mul_f32 v[112:113], v[108:109], v[100:101] op_sel:[0,1]
	s_delay_alu instid0(VALU_DEP_1) | instskip(SKIP_1) | instid1(VALU_DEP_1)
	v_pk_fma_f32 v[114:115], v[108:109], v[98:99], v[112:113] op_sel:[0,0,1] op_sel_hi:[1,1,0] neg_lo:[0,0,1] neg_hi:[0,0,1]
	v_pk_fma_f32 v[108:109], v[108:109], v[98:99], v[112:113] op_sel:[0,0,1] op_sel_hi:[1,0,0]
	v_mov_b32_e32 v115, v109
	v_pk_mul_f32 v[108:109], v[110:111], v[100:101] op_sel:[0,1]
	s_delay_alu instid0(VALU_DEP_1) | instskip(SKIP_1) | instid1(VALU_DEP_1)
	v_pk_fma_f32 v[112:113], v[110:111], v[98:99], v[108:109] op_sel:[0,0,1] op_sel_hi:[1,1,0] neg_lo:[0,0,1] neg_hi:[0,0,1]
	v_pk_fma_f32 v[108:109], v[110:111], v[98:99], v[108:109] op_sel:[0,0,1] op_sel_hi:[1,0,0]
	v_mov_b32_e32 v113, v109
	ds_load_2addr_b64 v[108:111], v102 offset0:43 offset1:44
	v_pk_add_f32 v[6:7], v[6:7], v[114:115] neg_lo:[0,1] neg_hi:[0,1]
	v_pk_add_f32 v[54:55], v[54:55], v[112:113] neg_lo:[0,1] neg_hi:[0,1]
	s_wait_dscnt 0x0
	v_dual_mul_f32 v112, v109, v101 :: v_dual_mul_f32 v114, v109, v98
	s_delay_alu instid0(VALU_DEP_1) | instskip(NEXT) | instid1(VALU_DEP_2)
	v_pk_fma_f32 v[112:113], v[108:109], v[74:75], v[112:113] op_sel_hi:[1,1,0] neg_lo:[0,0,1] neg_hi:[0,0,1]
	v_pk_fma_f32 v[108:109], v[108:109], v[74:75], v[114:115] op_sel:[1,0,0] op_sel_hi:[0,1,0]
	s_delay_alu instid0(VALU_DEP_1) | instskip(SKIP_1) | instid1(VALU_DEP_2)
	v_mov_b32_e32 v113, v109
	v_pk_mul_f32 v[108:109], v[110:111], v[100:101] op_sel:[0,1]
	v_pk_add_f32 v[40:41], v[40:41], v[112:113] neg_lo:[0,1] neg_hi:[0,1]
	s_delay_alu instid0(VALU_DEP_2) | instskip(SKIP_1) | instid1(VALU_DEP_1)
	v_pk_fma_f32 v[112:113], v[110:111], v[98:99], v[108:109] op_sel:[0,0,1] op_sel_hi:[1,1,0] neg_lo:[0,0,1] neg_hi:[0,0,1]
	v_pk_fma_f32 v[108:109], v[110:111], v[98:99], v[108:109] op_sel:[0,0,1] op_sel_hi:[1,0,0]
	v_mov_b32_e32 v113, v109
	ds_load_b64 v[108:109], v102 offset:360
	v_pk_add_f32 v[14:15], v[14:15], v[112:113] neg_lo:[0,1] neg_hi:[0,1]
	s_wait_dscnt 0x0
	v_pk_mul_f32 v[100:101], v[108:109], v[100:101] op_sel:[0,1]
	s_delay_alu instid0(VALU_DEP_1) | instskip(SKIP_1) | instid1(VALU_DEP_1)
	v_pk_fma_f32 v[110:111], v[108:109], v[98:99], v[100:101] op_sel:[0,0,1] op_sel_hi:[1,1,0] neg_lo:[0,0,1] neg_hi:[0,0,1]
	v_pk_fma_f32 v[98:99], v[108:109], v[98:99], v[100:101] op_sel:[0,0,1] op_sel_hi:[1,0,0]
	v_mov_b32_e32 v111, v99
	s_delay_alu instid0(VALU_DEP_1)
	v_pk_add_f32 v[96:97], v[96:97], v[110:111] neg_lo:[0,1] neg_hi:[0,1]
.LBB90_104:
	s_or_b32 exec_lo, exec_lo, s0
	v_lshl_add_u32 v98, v106, 3, v102
	s_barrier_signal -1
	s_barrier_wait -1
	ds_store_b64 v98, v[22:23]
	s_wait_dscnt 0x0
	s_barrier_signal -1
	s_barrier_wait -1
	ds_load_b64 v[100:101], v102 offset:40
	v_mov_b32_e32 v98, 5
	s_cmp_lt_i32 s18, 7
	s_cbranch_scc1 .LBB90_107
; %bb.105:
	v_add3_u32 v99, v103, 0, 48
	v_mov_b32_e32 v98, 5
	s_mov_b32 s0, 6
.LBB90_106:                             ; =>This Inner Loop Header: Depth=1
	ds_load_b64 v[108:109], v99
	s_wait_dscnt 0x1
	v_cmp_gt_f32_e32 vcc_lo, 0, v100
	v_cndmask_b32_e64 v110, v100, -v100, vcc_lo
	v_cmp_gt_f32_e32 vcc_lo, 0, v101
	v_cndmask_b32_e64 v112, v101, -v101, vcc_lo
	s_wait_dscnt 0x0
	v_cmp_gt_f32_e32 vcc_lo, 0, v108
	v_cndmask_b32_e64 v111, v108, -v108, vcc_lo
	v_cmp_gt_f32_e32 vcc_lo, 0, v109
	v_cndmask_b32_e64 v113, v109, -v109, vcc_lo
	s_delay_alu instid0(VALU_DEP_1) | instskip(NEXT) | instid1(VALU_DEP_1)
	v_pk_add_f32 v[110:111], v[110:111], v[112:113]
	v_cmp_lt_f32_e32 vcc_lo, v110, v111
	v_dual_add_nc_u32 v99, 8, v99 :: v_dual_cndmask_b32 v101, v101, v109, vcc_lo
	v_cndmask_b32_e32 v100, v100, v108, vcc_lo
	v_cndmask_b32_e64 v98, v98, s0, vcc_lo
	s_add_co_i32 s0, s0, 1
	s_delay_alu instid0(SALU_CYCLE_1)
	s_cmp_lg_u32 s18, s0
	s_cbranch_scc1 .LBB90_106
.LBB90_107:
	s_wait_dscnt 0x0
	v_cmp_eq_f32_e32 vcc_lo, 0, v100
	v_cmp_eq_f32_e64 s0, 0, v101
	s_and_b32 s0, vcc_lo, s0
	s_delay_alu instid0(SALU_CYCLE_1) | instskip(NEXT) | instid1(SALU_CYCLE_1)
	s_and_saveexec_b32 s1, s0
	s_xor_b32 s0, exec_lo, s1
; %bb.108:
	v_cmp_ne_u32_e32 vcc_lo, 0, v104
	v_cndmask_b32_e32 v104, 6, v104, vcc_lo
; %bb.109:
	s_and_not1_saveexec_b32 s0, s0
	s_cbranch_execz .LBB90_115
; %bb.110:
	v_cmp_ngt_f32_e64 s1, |v100|, |v101|
	s_and_saveexec_b32 s12, s1
	s_delay_alu instid0(SALU_CYCLE_1)
	s_xor_b32 s1, exec_lo, s12
	s_cbranch_execz .LBB90_112
; %bb.111:
	v_div_scale_f32 v99, null, v101, v101, v100
	v_div_scale_f32 v109, vcc_lo, v100, v101, v100
	s_delay_alu instid0(VALU_DEP_2) | instskip(SKIP_1) | instid1(TRANS32_DEP_1)
	v_rcp_f32_e32 v107, v99
	v_nop
	v_fma_f32 v108, -v99, v107, 1.0
	s_delay_alu instid0(VALU_DEP_1) | instskip(NEXT) | instid1(VALU_DEP_1)
	v_fmac_f32_e32 v107, v108, v107
	v_mul_f32_e32 v108, v109, v107
	s_delay_alu instid0(VALU_DEP_1) | instskip(NEXT) | instid1(VALU_DEP_1)
	v_fma_f32 v110, -v99, v108, v109
	v_fmac_f32_e32 v108, v110, v107
	s_delay_alu instid0(VALU_DEP_1) | instskip(NEXT) | instid1(VALU_DEP_1)
	v_fma_f32 v99, -v99, v108, v109
	v_div_fmas_f32 v99, v99, v107, v108
	s_delay_alu instid0(VALU_DEP_1) | instskip(NEXT) | instid1(VALU_DEP_1)
	v_div_fixup_f32 v99, v99, v101, v100
	v_fmac_f32_e32 v101, v100, v99
	s_delay_alu instid0(VALU_DEP_1) | instskip(SKIP_1) | instid1(VALU_DEP_2)
	v_div_scale_f32 v100, null, v101, v101, 1.0
	v_div_scale_f32 v109, vcc_lo, 1.0, v101, 1.0
	v_rcp_f32_e32 v107, v100
	v_nop
	s_delay_alu instid0(TRANS32_DEP_1) | instskip(NEXT) | instid1(VALU_DEP_1)
	v_fma_f32 v108, -v100, v107, 1.0
	v_fmac_f32_e32 v107, v108, v107
	s_delay_alu instid0(VALU_DEP_1) | instskip(NEXT) | instid1(VALU_DEP_1)
	v_mul_f32_e32 v108, v109, v107
	v_fma_f32 v110, -v100, v108, v109
	s_delay_alu instid0(VALU_DEP_1) | instskip(NEXT) | instid1(VALU_DEP_1)
	v_fmac_f32_e32 v108, v110, v107
	v_fma_f32 v100, -v100, v108, v109
	s_delay_alu instid0(VALU_DEP_1) | instskip(NEXT) | instid1(VALU_DEP_1)
	v_div_fmas_f32 v100, v100, v107, v108
	v_div_fixup_f32 v101, v100, v101, 1.0
	s_delay_alu instid0(VALU_DEP_1)
	v_mul_f32_e32 v100, v99, v101
	v_xor_b32_e32 v101, 0x80000000, v101
.LBB90_112:
	s_and_not1_saveexec_b32 s1, s1
	s_cbranch_execz .LBB90_114
; %bb.113:
	s_delay_alu instid0(VALU_DEP_1) | instskip(SKIP_1) | instid1(VALU_DEP_2)
	v_div_scale_f32 v99, null, v100, v100, v101
	v_div_scale_f32 v109, vcc_lo, v101, v100, v101
	v_rcp_f32_e32 v107, v99
	v_nop
	s_delay_alu instid0(TRANS32_DEP_1) | instskip(NEXT) | instid1(VALU_DEP_1)
	v_fma_f32 v108, -v99, v107, 1.0
	v_fmac_f32_e32 v107, v108, v107
	s_delay_alu instid0(VALU_DEP_1) | instskip(NEXT) | instid1(VALU_DEP_1)
	v_mul_f32_e32 v108, v109, v107
	v_fma_f32 v110, -v99, v108, v109
	s_delay_alu instid0(VALU_DEP_1) | instskip(NEXT) | instid1(VALU_DEP_1)
	v_fmac_f32_e32 v108, v110, v107
	v_fma_f32 v99, -v99, v108, v109
	s_delay_alu instid0(VALU_DEP_1) | instskip(NEXT) | instid1(VALU_DEP_1)
	v_div_fmas_f32 v99, v99, v107, v108
	v_div_fixup_f32 v99, v99, v100, v101
	s_delay_alu instid0(VALU_DEP_1) | instskip(NEXT) | instid1(VALU_DEP_1)
	v_fmac_f32_e32 v100, v101, v99
	v_div_scale_f32 v101, null, v100, v100, 1.0
	s_delay_alu instid0(VALU_DEP_1) | instskip(SKIP_1) | instid1(TRANS32_DEP_1)
	v_rcp_f32_e32 v107, v101
	v_nop
	v_fma_f32 v108, -v101, v107, 1.0
	s_delay_alu instid0(VALU_DEP_1) | instskip(SKIP_1) | instid1(VALU_DEP_1)
	v_fmac_f32_e32 v107, v108, v107
	v_div_scale_f32 v108, vcc_lo, 1.0, v100, 1.0
	v_mul_f32_e32 v109, v108, v107
	s_delay_alu instid0(VALU_DEP_1) | instskip(NEXT) | instid1(VALU_DEP_1)
	v_fma_f32 v110, -v101, v109, v108
	v_fmac_f32_e32 v109, v110, v107
	s_delay_alu instid0(VALU_DEP_1) | instskip(NEXT) | instid1(VALU_DEP_1)
	v_fma_f32 v101, -v101, v109, v108
	v_div_fmas_f32 v101, v101, v107, v109
	s_delay_alu instid0(VALU_DEP_1) | instskip(NEXT) | instid1(VALU_DEP_1)
	v_div_fixup_f32 v100, v101, v100, 1.0
	v_mul_f32_e64 v101, v99, -v100
.LBB90_114:
	s_or_b32 exec_lo, exec_lo, s1
.LBB90_115:
	s_delay_alu instid0(SALU_CYCLE_1) | instskip(NEXT) | instid1(SALU_CYCLE_1)
	s_or_b32 exec_lo, exec_lo, s0
	s_mov_b32 s0, exec_lo
	v_cmpx_ne_u32_e64 v106, v98
	s_xor_b32 s0, exec_lo, s0
	s_cbranch_execz .LBB90_121
; %bb.116:
	s_mov_b32 s1, exec_lo
	v_cmpx_eq_u32_e32 5, v106
	s_cbranch_execz .LBB90_120
; %bb.117:
	v_cmp_ne_u32_e32 vcc_lo, 5, v98
	s_xor_b32 s12, s16, -1
	s_delay_alu instid0(SALU_CYCLE_1) | instskip(NEXT) | instid1(SALU_CYCLE_1)
	s_and_b32 s13, s12, vcc_lo
	s_and_saveexec_b32 s12, s13
	s_cbranch_execz .LBB90_119
; %bb.118:
	v_ashrrev_i32_e32 v99, 31, v98
	s_delay_alu instid0(VALU_DEP_1)
	v_lshl_add_u64 v[106:107], v[98:99], 2, v[4:5]
	s_clause 0x1
	global_load_b32 v99, v[106:107], off
	global_load_b32 v105, v[4:5], off offset:20
	s_wait_loadcnt 0x1
	global_store_b32 v[4:5], v99, off offset:20
	s_wait_loadcnt 0x0
	global_store_b32 v[106:107], v105, off
.LBB90_119:
	s_wait_xcnt 0x0
	s_or_b32 exec_lo, exec_lo, s12
	v_dual_mov_b32 v106, v98 :: v_dual_mov_b32 v105, v98
.LBB90_120:
	s_or_b32 exec_lo, exec_lo, s1
.LBB90_121:
	s_and_not1_saveexec_b32 s0, s0
	s_cbranch_execz .LBB90_123
; %bb.122:
	v_dual_mov_b32 v98, v26 :: v_dual_mov_b32 v99, v27
	v_dual_mov_b32 v106, v20 :: v_dual_mov_b32 v107, v21
	;; [unrolled: 1-line block ×8, first 2 shown]
	ds_store_2addr_b64 v102, v[98:99], v[106:107] offset0:6 offset1:7
	ds_store_2addr_b64 v102, v[108:109], v[110:111] offset0:8 offset1:9
	ds_store_2addr_b64 v102, v[112:113], v[114:115] offset0:10 offset1:11
	ds_store_2addr_b64 v102, v[116:117], v[118:119] offset0:12 offset1:13
	v_dual_mov_b32 v98, v66 :: v_dual_mov_b32 v99, v67
	v_dual_mov_b32 v106, v62 :: v_dual_mov_b32 v107, v63
	;; [unrolled: 1-line block ×12, first 2 shown]
	ds_store_2addr_b64 v102, v[98:99], v[106:107] offset0:14 offset1:15
	ds_store_2addr_b64 v102, v[108:109], v[110:111] offset0:16 offset1:17
	;; [unrolled: 1-line block ×6, first 2 shown]
	v_dual_mov_b32 v98, v46 :: v_dual_mov_b32 v99, v47
	v_dual_mov_b32 v106, v42 :: v_dual_mov_b32 v107, v43
	;; [unrolled: 1-line block ×12, first 2 shown]
	ds_store_2addr_b64 v102, v[98:99], v[106:107] offset0:26 offset1:27
	ds_store_2addr_b64 v102, v[108:109], v[110:111] offset0:28 offset1:29
	;; [unrolled: 1-line block ×6, first 2 shown]
	v_dual_mov_b32 v98, v12 :: v_dual_mov_b32 v99, v13
	v_dual_mov_b32 v108, v8 :: v_dual_mov_b32 v109, v9
	;; [unrolled: 1-line block ×7, first 2 shown]
	v_mov_b32_e32 v119, v15
	ds_store_2addr_b64 v102, v[98:99], v[108:109] offset0:38 offset1:39
	ds_store_2addr_b64 v102, v[110:111], v[112:113] offset0:40 offset1:41
	;; [unrolled: 1-line block ×4, first 2 shown]
.LBB90_123:
	s_or_b32 exec_lo, exec_lo, s0
	s_delay_alu instid0(SALU_CYCLE_1)
	s_mov_b32 s0, exec_lo
	s_wait_storecnt_dscnt 0x0
	s_barrier_signal -1
	s_barrier_wait -1
	v_cmpx_lt_i32_e32 5, v106
	s_cbranch_execz .LBB90_125
; %bb.124:
	v_pk_mul_f32 v[108:109], v[100:101], v[22:23] op_sel:[1,1] op_sel_hi:[0,1]
	s_delay_alu instid0(VALU_DEP_1)
	v_pk_fma_f32 v[98:99], v[100:101], v[22:23], v[108:109] op_sel_hi:[1,0,1] neg_lo:[0,0,1] neg_hi:[0,0,1]
	v_pk_fma_f32 v[100:101], v[100:101], v[22:23], v[108:109] op_sel_hi:[1,0,1]
	ds_load_2addr_b64 v[108:111], v102 offset0:6 offset1:7
	v_dual_mov_b32 v22, v98 :: v_dual_mov_b32 v23, v101
	s_wait_dscnt 0x0
	v_pk_mul_f32 v[112:113], v[108:109], v[100:101] op_sel:[0,1]
	s_delay_alu instid0(VALU_DEP_1) | instskip(SKIP_1) | instid1(VALU_DEP_1)
	v_pk_fma_f32 v[114:115], v[108:109], v[98:99], v[112:113] op_sel:[0,0,1] op_sel_hi:[1,1,0] neg_lo:[0,0,1] neg_hi:[0,0,1]
	v_pk_fma_f32 v[108:109], v[108:109], v[98:99], v[112:113] op_sel:[0,0,1] op_sel_hi:[1,0,0]
	v_mov_b32_e32 v115, v109
	v_pk_mul_f32 v[108:109], v[110:111], v[100:101] op_sel:[0,1]
	s_delay_alu instid0(VALU_DEP_1) | instskip(SKIP_1) | instid1(VALU_DEP_1)
	v_pk_fma_f32 v[112:113], v[110:111], v[98:99], v[108:109] op_sel:[0,0,1] op_sel_hi:[1,1,0] neg_lo:[0,0,1] neg_hi:[0,0,1]
	v_pk_fma_f32 v[108:109], v[110:111], v[98:99], v[108:109] op_sel:[0,0,1] op_sel_hi:[1,0,0]
	v_mov_b32_e32 v113, v109
	ds_load_2addr_b64 v[108:111], v102 offset0:8 offset1:9
	v_pk_add_f32 v[26:27], v[26:27], v[114:115] neg_lo:[0,1] neg_hi:[0,1]
	v_pk_add_f32 v[20:21], v[20:21], v[112:113] neg_lo:[0,1] neg_hi:[0,1]
	s_wait_dscnt 0x0
	v_pk_mul_f32 v[112:113], v[108:109], v[100:101] op_sel:[0,1]
	s_delay_alu instid0(VALU_DEP_1) | instskip(SKIP_2) | instid1(VALU_DEP_2)
	v_pk_fma_f32 v[114:115], v[108:109], v[98:99], v[112:113] op_sel:[0,0,1] op_sel_hi:[1,1,0] neg_lo:[0,0,1] neg_hi:[0,0,1]
	v_pk_fma_f32 v[108:109], v[108:109], v[98:99], v[112:113] op_sel:[0,0,1] op_sel_hi:[1,0,0]
	v_dual_mul_f32 v112, v111, v101 :: v_dual_mov_b32 v108, v111
	v_dual_mov_b32 v115, v109 :: v_dual_mov_b32 v109, v110
	s_delay_alu instid0(VALU_DEP_2) | instskip(SKIP_1) | instid1(VALU_DEP_3)
	v_pk_fma_f32 v[112:113], v[110:111], v[22:23], v[112:113] op_sel_hi:[1,1,0] neg_lo:[0,0,1] neg_hi:[0,0,1]
	v_mul_f32_e32 v110, v111, v98
	v_pk_add_f32 v[78:79], v[78:79], v[114:115] neg_lo:[0,1] neg_hi:[0,1]
	s_delay_alu instid0(VALU_DEP_2) | instskip(NEXT) | instid1(VALU_DEP_1)
	v_pk_fma_f32 v[108:109], v[108:109], v[22:23], v[110:111] op_sel_hi:[1,1,0]
	v_mov_b32_e32 v113, v109
	ds_load_2addr_b64 v[108:111], v102 offset0:10 offset1:11
	v_pk_add_f32 v[34:35], v[34:35], v[112:113] neg_lo:[0,1] neg_hi:[0,1]
	s_wait_dscnt 0x0
	v_pk_mul_f32 v[112:113], v[108:109], v[100:101] op_sel:[0,1]
	s_delay_alu instid0(VALU_DEP_1) | instskip(SKIP_1) | instid1(VALU_DEP_1)
	v_pk_fma_f32 v[114:115], v[108:109], v[98:99], v[112:113] op_sel:[0,0,1] op_sel_hi:[1,1,0] neg_lo:[0,0,1] neg_hi:[0,0,1]
	v_pk_fma_f32 v[108:109], v[108:109], v[98:99], v[112:113] op_sel:[0,0,1] op_sel_hi:[1,0,0]
	v_mov_b32_e32 v115, v109
	v_pk_mul_f32 v[108:109], v[110:111], v[100:101] op_sel:[0,1]
	s_delay_alu instid0(VALU_DEP_1) | instskip(SKIP_1) | instid1(VALU_DEP_1)
	v_pk_fma_f32 v[112:113], v[110:111], v[98:99], v[108:109] op_sel:[0,0,1] op_sel_hi:[1,1,0] neg_lo:[0,0,1] neg_hi:[0,0,1]
	v_pk_fma_f32 v[108:109], v[110:111], v[98:99], v[108:109] op_sel:[0,0,1] op_sel_hi:[1,0,0]
	v_mov_b32_e32 v113, v109
	ds_load_2addr_b64 v[108:111], v102 offset0:12 offset1:13
	v_pk_add_f32 v[38:39], v[38:39], v[114:115] neg_lo:[0,1] neg_hi:[0,1]
	v_pk_add_f32 v[32:33], v[32:33], v[112:113] neg_lo:[0,1] neg_hi:[0,1]
	s_wait_dscnt 0x0
	v_pk_mul_f32 v[112:113], v[108:109], v[100:101] op_sel:[0,1]
	s_delay_alu instid0(VALU_DEP_1) | instskip(SKIP_1) | instid1(VALU_DEP_1)
	v_pk_fma_f32 v[114:115], v[108:109], v[98:99], v[112:113] op_sel:[0,0,1] op_sel_hi:[1,1,0] neg_lo:[0,0,1] neg_hi:[0,0,1]
	v_pk_fma_f32 v[108:109], v[108:109], v[98:99], v[112:113] op_sel:[0,0,1] op_sel_hi:[1,0,0]
	v_mov_b32_e32 v115, v109
	v_pk_mul_f32 v[108:109], v[110:111], v[100:101] op_sel:[0,1]
	s_delay_alu instid0(VALU_DEP_1) | instskip(SKIP_1) | instid1(VALU_DEP_1)
	v_pk_fma_f32 v[112:113], v[110:111], v[98:99], v[108:109] op_sel:[0,0,1] op_sel_hi:[1,1,0] neg_lo:[0,0,1] neg_hi:[0,0,1]
	v_pk_fma_f32 v[108:109], v[110:111], v[98:99], v[108:109] op_sel:[0,0,1] op_sel_hi:[1,0,0]
	v_mov_b32_e32 v113, v109
	ds_load_2addr_b64 v[108:111], v102 offset0:14 offset1:15
	v_pk_add_f32 v[86:87], v[86:87], v[114:115] neg_lo:[0,1] neg_hi:[0,1]
	v_pk_add_f32 v[64:65], v[64:65], v[112:113] neg_lo:[0,1] neg_hi:[0,1]
	s_wait_dscnt 0x0
	v_dual_mul_f32 v112, v109, v101 :: v_dual_mul_f32 v114, v109, v98
	s_delay_alu instid0(VALU_DEP_1) | instskip(NEXT) | instid1(VALU_DEP_2)
	v_pk_fma_f32 v[112:113], v[108:109], v[22:23], v[112:113] op_sel_hi:[1,1,0] neg_lo:[0,0,1] neg_hi:[0,0,1]
	v_pk_fma_f32 v[108:109], v[108:109], v[22:23], v[114:115] op_sel:[1,0,0] op_sel_hi:[0,1,0]
	s_delay_alu instid0(VALU_DEP_1) | instskip(SKIP_1) | instid1(VALU_DEP_2)
	v_mov_b32_e32 v113, v109
	v_pk_mul_f32 v[108:109], v[110:111], v[100:101] op_sel:[0,1]
	v_pk_add_f32 v[66:67], v[66:67], v[112:113] neg_lo:[0,1] neg_hi:[0,1]
	s_delay_alu instid0(VALU_DEP_2) | instskip(SKIP_1) | instid1(VALU_DEP_1)
	v_pk_fma_f32 v[112:113], v[110:111], v[98:99], v[108:109] op_sel:[0,0,1] op_sel_hi:[1,1,0] neg_lo:[0,0,1] neg_hi:[0,0,1]
	v_pk_fma_f32 v[108:109], v[110:111], v[98:99], v[108:109] op_sel:[0,0,1] op_sel_hi:[1,0,0]
	v_mov_b32_e32 v113, v109
	ds_load_2addr_b64 v[108:111], v102 offset0:16 offset1:17
	v_pk_add_f32 v[62:63], v[62:63], v[112:113] neg_lo:[0,1] neg_hi:[0,1]
	s_wait_dscnt 0x0
	v_pk_mul_f32 v[112:113], v[108:109], v[100:101] op_sel:[0,1]
	s_delay_alu instid0(VALU_DEP_1) | instskip(SKIP_1) | instid1(VALU_DEP_1)
	v_pk_fma_f32 v[114:115], v[108:109], v[98:99], v[112:113] op_sel:[0,0,1] op_sel_hi:[1,1,0] neg_lo:[0,0,1] neg_hi:[0,0,1]
	v_pk_fma_f32 v[108:109], v[108:109], v[98:99], v[112:113] op_sel:[0,0,1] op_sel_hi:[1,0,0]
	v_mov_b32_e32 v115, v109
	v_pk_mul_f32 v[108:109], v[110:111], v[100:101] op_sel:[0,1]
	s_delay_alu instid0(VALU_DEP_2) | instskip(NEXT) | instid1(VALU_DEP_2)
	v_pk_add_f32 v[84:85], v[84:85], v[114:115] neg_lo:[0,1] neg_hi:[0,1]
	v_pk_fma_f32 v[112:113], v[110:111], v[98:99], v[108:109] op_sel:[0,0,1] op_sel_hi:[1,1,0] neg_lo:[0,0,1] neg_hi:[0,0,1]
	v_pk_fma_f32 v[108:109], v[110:111], v[98:99], v[108:109] op_sel:[0,0,1] op_sel_hi:[1,0,0]
	s_delay_alu instid0(VALU_DEP_1) | instskip(SKIP_4) | instid1(VALU_DEP_1)
	v_mov_b32_e32 v113, v109
	ds_load_2addr_b64 v[108:111], v102 offset0:18 offset1:19
	v_pk_add_f32 v[58:59], v[58:59], v[112:113] neg_lo:[0,1] neg_hi:[0,1]
	s_wait_dscnt 0x0
	v_pk_mul_f32 v[112:113], v[108:109], v[100:101] op_sel:[0,1]
	v_pk_fma_f32 v[114:115], v[108:109], v[98:99], v[112:113] op_sel:[0,0,1] op_sel_hi:[1,1,0] neg_lo:[0,0,1] neg_hi:[0,0,1]
	v_pk_fma_f32 v[108:109], v[108:109], v[98:99], v[112:113] op_sel:[0,0,1] op_sel_hi:[1,0,0]
	v_dual_mul_f32 v112, v111, v101 :: v_dual_mov_b32 v108, v111
	s_delay_alu instid0(VALU_DEP_2) | instskip(NEXT) | instid1(VALU_DEP_2)
	v_dual_mov_b32 v115, v109 :: v_dual_mov_b32 v109, v110
	v_pk_fma_f32 v[112:113], v[110:111], v[22:23], v[112:113] op_sel_hi:[1,1,0] neg_lo:[0,0,1] neg_hi:[0,0,1]
	v_mul_f32_e32 v110, v111, v98
	s_delay_alu instid0(VALU_DEP_3) | instskip(NEXT) | instid1(VALU_DEP_2)
	v_pk_add_f32 v[60:61], v[60:61], v[114:115] neg_lo:[0,1] neg_hi:[0,1]
	v_pk_fma_f32 v[108:109], v[108:109], v[22:23], v[110:111] op_sel_hi:[1,1,0]
	s_delay_alu instid0(VALU_DEP_1) | instskip(SKIP_4) | instid1(VALU_DEP_1)
	v_mov_b32_e32 v113, v109
	ds_load_2addr_b64 v[108:111], v102 offset0:20 offset1:21
	v_pk_add_f32 v[56:57], v[56:57], v[112:113] neg_lo:[0,1] neg_hi:[0,1]
	s_wait_dscnt 0x0
	v_pk_mul_f32 v[112:113], v[108:109], v[100:101] op_sel:[0,1]
	v_pk_fma_f32 v[114:115], v[108:109], v[98:99], v[112:113] op_sel:[0,0,1] op_sel_hi:[1,1,0] neg_lo:[0,0,1] neg_hi:[0,0,1]
	v_pk_fma_f32 v[108:109], v[108:109], v[98:99], v[112:113] op_sel:[0,0,1] op_sel_hi:[1,0,0]
	s_delay_alu instid0(VALU_DEP_1) | instskip(SKIP_1) | instid1(VALU_DEP_1)
	v_mov_b32_e32 v115, v109
	v_pk_mul_f32 v[108:109], v[110:111], v[100:101] op_sel:[0,1]
	v_pk_fma_f32 v[112:113], v[110:111], v[98:99], v[108:109] op_sel:[0,0,1] op_sel_hi:[1,1,0] neg_lo:[0,0,1] neg_hi:[0,0,1]
	v_pk_fma_f32 v[108:109], v[110:111], v[98:99], v[108:109] op_sel:[0,0,1] op_sel_hi:[1,0,0]
	s_delay_alu instid0(VALU_DEP_1)
	v_mov_b32_e32 v113, v109
	ds_load_2addr_b64 v[108:111], v102 offset0:22 offset1:23
	v_pk_add_f32 v[82:83], v[82:83], v[114:115] neg_lo:[0,1] neg_hi:[0,1]
	v_pk_add_f32 v[50:51], v[50:51], v[112:113] neg_lo:[0,1] neg_hi:[0,1]
	s_wait_dscnt 0x0
	v_pk_mul_f32 v[112:113], v[108:109], v[100:101] op_sel:[0,1]
	s_delay_alu instid0(VALU_DEP_1) | instskip(SKIP_1) | instid1(VALU_DEP_1)
	v_pk_fma_f32 v[114:115], v[108:109], v[98:99], v[112:113] op_sel:[0,0,1] op_sel_hi:[1,1,0] neg_lo:[0,0,1] neg_hi:[0,0,1]
	v_pk_fma_f32 v[108:109], v[108:109], v[98:99], v[112:113] op_sel:[0,0,1] op_sel_hi:[1,0,0]
	v_mov_b32_e32 v115, v109
	v_pk_mul_f32 v[108:109], v[110:111], v[100:101] op_sel:[0,1]
	s_delay_alu instid0(VALU_DEP_1) | instskip(SKIP_1) | instid1(VALU_DEP_1)
	v_pk_fma_f32 v[112:113], v[110:111], v[98:99], v[108:109] op_sel:[0,0,1] op_sel_hi:[1,1,0] neg_lo:[0,0,1] neg_hi:[0,0,1]
	v_pk_fma_f32 v[108:109], v[110:111], v[98:99], v[108:109] op_sel:[0,0,1] op_sel_hi:[1,0,0]
	v_mov_b32_e32 v113, v109
	ds_load_2addr_b64 v[108:111], v102 offset0:24 offset1:25
	v_pk_add_f32 v[52:53], v[52:53], v[114:115] neg_lo:[0,1] neg_hi:[0,1]
	v_pk_add_f32 v[48:49], v[48:49], v[112:113] neg_lo:[0,1] neg_hi:[0,1]
	s_wait_dscnt 0x0
	v_dual_mul_f32 v112, v109, v101 :: v_dual_mul_f32 v114, v109, v98
	s_delay_alu instid0(VALU_DEP_1) | instskip(NEXT) | instid1(VALU_DEP_2)
	v_pk_fma_f32 v[112:113], v[108:109], v[22:23], v[112:113] op_sel_hi:[1,1,0] neg_lo:[0,0,1] neg_hi:[0,0,1]
	v_pk_fma_f32 v[108:109], v[108:109], v[22:23], v[114:115] op_sel:[1,0,0] op_sel_hi:[0,1,0]
	s_delay_alu instid0(VALU_DEP_1) | instskip(SKIP_1) | instid1(VALU_DEP_2)
	v_mov_b32_e32 v113, v109
	v_pk_mul_f32 v[108:109], v[110:111], v[100:101] op_sel:[0,1]
	v_pk_add_f32 v[80:81], v[80:81], v[112:113] neg_lo:[0,1] neg_hi:[0,1]
	s_delay_alu instid0(VALU_DEP_2) | instskip(SKIP_1) | instid1(VALU_DEP_1)
	v_pk_fma_f32 v[112:113], v[110:111], v[98:99], v[108:109] op_sel:[0,0,1] op_sel_hi:[1,1,0] neg_lo:[0,0,1] neg_hi:[0,0,1]
	v_pk_fma_f32 v[108:109], v[110:111], v[98:99], v[108:109] op_sel:[0,0,1] op_sel_hi:[1,0,0]
	v_mov_b32_e32 v113, v109
	ds_load_2addr_b64 v[108:111], v102 offset0:26 offset1:27
	v_pk_add_f32 v[44:45], v[44:45], v[112:113] neg_lo:[0,1] neg_hi:[0,1]
	s_wait_dscnt 0x0
	v_pk_mul_f32 v[112:113], v[108:109], v[100:101] op_sel:[0,1]
	s_delay_alu instid0(VALU_DEP_1) | instskip(SKIP_1) | instid1(VALU_DEP_1)
	v_pk_fma_f32 v[114:115], v[108:109], v[98:99], v[112:113] op_sel:[0,0,1] op_sel_hi:[1,1,0] neg_lo:[0,0,1] neg_hi:[0,0,1]
	v_pk_fma_f32 v[108:109], v[108:109], v[98:99], v[112:113] op_sel:[0,0,1] op_sel_hi:[1,0,0]
	v_mov_b32_e32 v115, v109
	v_pk_mul_f32 v[108:109], v[110:111], v[100:101] op_sel:[0,1]
	s_delay_alu instid0(VALU_DEP_2) | instskip(NEXT) | instid1(VALU_DEP_2)
	v_pk_add_f32 v[46:47], v[46:47], v[114:115] neg_lo:[0,1] neg_hi:[0,1]
	v_pk_fma_f32 v[112:113], v[110:111], v[98:99], v[108:109] op_sel:[0,0,1] op_sel_hi:[1,1,0] neg_lo:[0,0,1] neg_hi:[0,0,1]
	v_pk_fma_f32 v[108:109], v[110:111], v[98:99], v[108:109] op_sel:[0,0,1] op_sel_hi:[1,0,0]
	s_delay_alu instid0(VALU_DEP_1) | instskip(SKIP_4) | instid1(VALU_DEP_1)
	v_mov_b32_e32 v113, v109
	ds_load_2addr_b64 v[108:111], v102 offset0:28 offset1:29
	v_pk_add_f32 v[42:43], v[42:43], v[112:113] neg_lo:[0,1] neg_hi:[0,1]
	s_wait_dscnt 0x0
	v_pk_mul_f32 v[112:113], v[108:109], v[100:101] op_sel:[0,1]
	v_pk_fma_f32 v[114:115], v[108:109], v[98:99], v[112:113] op_sel:[0,0,1] op_sel_hi:[1,1,0] neg_lo:[0,0,1] neg_hi:[0,0,1]
	v_pk_fma_f32 v[108:109], v[108:109], v[98:99], v[112:113] op_sel:[0,0,1] op_sel_hi:[1,0,0]
	v_dual_mul_f32 v112, v111, v101 :: v_dual_mov_b32 v108, v111
	s_delay_alu instid0(VALU_DEP_2) | instskip(NEXT) | instid1(VALU_DEP_2)
	v_dual_mov_b32 v115, v109 :: v_dual_mov_b32 v109, v110
	v_pk_fma_f32 v[112:113], v[110:111], v[22:23], v[112:113] op_sel_hi:[1,1,0] neg_lo:[0,0,1] neg_hi:[0,0,1]
	v_mul_f32_e32 v110, v111, v98
	s_delay_alu instid0(VALU_DEP_3) | instskip(NEXT) | instid1(VALU_DEP_2)
	v_pk_add_f32 v[76:77], v[76:77], v[114:115] neg_lo:[0,1] neg_hi:[0,1]
	v_pk_fma_f32 v[108:109], v[108:109], v[22:23], v[110:111] op_sel_hi:[1,1,0]
	s_delay_alu instid0(VALU_DEP_1) | instskip(SKIP_4) | instid1(VALU_DEP_1)
	v_mov_b32_e32 v113, v109
	ds_load_2addr_b64 v[108:111], v102 offset0:30 offset1:31
	v_pk_add_f32 v[30:31], v[30:31], v[112:113] neg_lo:[0,1] neg_hi:[0,1]
	s_wait_dscnt 0x0
	v_pk_mul_f32 v[112:113], v[108:109], v[100:101] op_sel:[0,1]
	v_pk_fma_f32 v[114:115], v[108:109], v[98:99], v[112:113] op_sel:[0,0,1] op_sel_hi:[1,1,0] neg_lo:[0,0,1] neg_hi:[0,0,1]
	v_pk_fma_f32 v[108:109], v[108:109], v[98:99], v[112:113] op_sel:[0,0,1] op_sel_hi:[1,0,0]
	s_delay_alu instid0(VALU_DEP_1) | instskip(SKIP_1) | instid1(VALU_DEP_1)
	v_mov_b32_e32 v115, v109
	v_pk_mul_f32 v[108:109], v[110:111], v[100:101] op_sel:[0,1]
	v_pk_fma_f32 v[112:113], v[110:111], v[98:99], v[108:109] op_sel:[0,0,1] op_sel_hi:[1,1,0] neg_lo:[0,0,1] neg_hi:[0,0,1]
	v_pk_fma_f32 v[108:109], v[110:111], v[98:99], v[108:109] op_sel:[0,0,1] op_sel_hi:[1,0,0]
	s_delay_alu instid0(VALU_DEP_1)
	v_mov_b32_e32 v113, v109
	ds_load_2addr_b64 v[108:111], v102 offset0:32 offset1:33
	v_pk_add_f32 v[36:37], v[36:37], v[114:115] neg_lo:[0,1] neg_hi:[0,1]
	v_pk_add_f32 v[28:29], v[28:29], v[112:113] neg_lo:[0,1] neg_hi:[0,1]
	s_wait_dscnt 0x0
	v_pk_mul_f32 v[112:113], v[108:109], v[100:101] op_sel:[0,1]
	s_delay_alu instid0(VALU_DEP_1) | instskip(SKIP_1) | instid1(VALU_DEP_1)
	v_pk_fma_f32 v[114:115], v[108:109], v[98:99], v[112:113] op_sel:[0,0,1] op_sel_hi:[1,1,0] neg_lo:[0,0,1] neg_hi:[0,0,1]
	v_pk_fma_f32 v[108:109], v[108:109], v[98:99], v[112:113] op_sel:[0,0,1] op_sel_hi:[1,0,0]
	v_mov_b32_e32 v115, v109
	v_pk_mul_f32 v[108:109], v[110:111], v[100:101] op_sel:[0,1]
	s_delay_alu instid0(VALU_DEP_1) | instskip(SKIP_1) | instid1(VALU_DEP_1)
	v_pk_fma_f32 v[112:113], v[110:111], v[98:99], v[108:109] op_sel:[0,0,1] op_sel_hi:[1,1,0] neg_lo:[0,0,1] neg_hi:[0,0,1]
	v_pk_fma_f32 v[108:109], v[110:111], v[98:99], v[108:109] op_sel:[0,0,1] op_sel_hi:[1,0,0]
	v_mov_b32_e32 v113, v109
	ds_load_2addr_b64 v[108:111], v102 offset0:34 offset1:35
	v_pk_add_f32 v[72:73], v[72:73], v[114:115] neg_lo:[0,1] neg_hi:[0,1]
	v_pk_add_f32 v[18:19], v[18:19], v[112:113] neg_lo:[0,1] neg_hi:[0,1]
	s_wait_dscnt 0x0
	v_dual_mul_f32 v112, v109, v101 :: v_dual_mul_f32 v114, v109, v98
	s_delay_alu instid0(VALU_DEP_1) | instskip(NEXT) | instid1(VALU_DEP_2)
	v_pk_fma_f32 v[112:113], v[108:109], v[22:23], v[112:113] op_sel_hi:[1,1,0] neg_lo:[0,0,1] neg_hi:[0,0,1]
	v_pk_fma_f32 v[108:109], v[108:109], v[22:23], v[114:115] op_sel:[1,0,0] op_sel_hi:[0,1,0]
	s_delay_alu instid0(VALU_DEP_1) | instskip(SKIP_1) | instid1(VALU_DEP_2)
	v_mov_b32_e32 v113, v109
	v_pk_mul_f32 v[108:109], v[110:111], v[100:101] op_sel:[0,1]
	v_pk_add_f32 v[24:25], v[24:25], v[112:113] neg_lo:[0,1] neg_hi:[0,1]
	s_delay_alu instid0(VALU_DEP_2) | instskip(SKIP_1) | instid1(VALU_DEP_1)
	v_pk_fma_f32 v[112:113], v[110:111], v[98:99], v[108:109] op_sel:[0,0,1] op_sel_hi:[1,1,0] neg_lo:[0,0,1] neg_hi:[0,0,1]
	v_pk_fma_f32 v[108:109], v[110:111], v[98:99], v[108:109] op_sel:[0,0,1] op_sel_hi:[1,0,0]
	v_mov_b32_e32 v113, v109
	ds_load_2addr_b64 v[108:111], v102 offset0:36 offset1:37
	v_pk_add_f32 v[16:17], v[16:17], v[112:113] neg_lo:[0,1] neg_hi:[0,1]
	s_wait_dscnt 0x0
	v_pk_mul_f32 v[112:113], v[108:109], v[100:101] op_sel:[0,1]
	s_delay_alu instid0(VALU_DEP_1) | instskip(SKIP_1) | instid1(VALU_DEP_1)
	v_pk_fma_f32 v[114:115], v[108:109], v[98:99], v[112:113] op_sel:[0,0,1] op_sel_hi:[1,1,0] neg_lo:[0,0,1] neg_hi:[0,0,1]
	v_pk_fma_f32 v[108:109], v[108:109], v[98:99], v[112:113] op_sel:[0,0,1] op_sel_hi:[1,0,0]
	v_mov_b32_e32 v115, v109
	v_pk_mul_f32 v[108:109], v[110:111], v[100:101] op_sel:[0,1]
	s_delay_alu instid0(VALU_DEP_2) | instskip(NEXT) | instid1(VALU_DEP_2)
	v_pk_add_f32 v[70:71], v[70:71], v[114:115] neg_lo:[0,1] neg_hi:[0,1]
	v_pk_fma_f32 v[112:113], v[110:111], v[98:99], v[108:109] op_sel:[0,0,1] op_sel_hi:[1,1,0] neg_lo:[0,0,1] neg_hi:[0,0,1]
	v_pk_fma_f32 v[108:109], v[110:111], v[98:99], v[108:109] op_sel:[0,0,1] op_sel_hi:[1,0,0]
	s_delay_alu instid0(VALU_DEP_1) | instskip(SKIP_4) | instid1(VALU_DEP_1)
	v_mov_b32_e32 v113, v109
	ds_load_2addr_b64 v[108:111], v102 offset0:38 offset1:39
	v_pk_add_f32 v[10:11], v[10:11], v[112:113] neg_lo:[0,1] neg_hi:[0,1]
	s_wait_dscnt 0x0
	v_pk_mul_f32 v[112:113], v[108:109], v[100:101] op_sel:[0,1]
	v_pk_fma_f32 v[114:115], v[108:109], v[98:99], v[112:113] op_sel:[0,0,1] op_sel_hi:[1,1,0] neg_lo:[0,0,1] neg_hi:[0,0,1]
	v_pk_fma_f32 v[108:109], v[108:109], v[98:99], v[112:113] op_sel:[0,0,1] op_sel_hi:[1,0,0]
	v_dual_mul_f32 v112, v111, v101 :: v_dual_mov_b32 v108, v111
	s_delay_alu instid0(VALU_DEP_2) | instskip(NEXT) | instid1(VALU_DEP_2)
	v_dual_mov_b32 v115, v109 :: v_dual_mov_b32 v109, v110
	v_pk_fma_f32 v[112:113], v[110:111], v[22:23], v[112:113] op_sel_hi:[1,1,0] neg_lo:[0,0,1] neg_hi:[0,0,1]
	v_mul_f32_e32 v110, v111, v98
	s_delay_alu instid0(VALU_DEP_3) | instskip(NEXT) | instid1(VALU_DEP_2)
	v_pk_add_f32 v[12:13], v[12:13], v[114:115] neg_lo:[0,1] neg_hi:[0,1]
	v_pk_fma_f32 v[108:109], v[108:109], v[22:23], v[110:111] op_sel_hi:[1,1,0]
	s_delay_alu instid0(VALU_DEP_1) | instskip(SKIP_4) | instid1(VALU_DEP_1)
	v_mov_b32_e32 v113, v109
	ds_load_2addr_b64 v[108:111], v102 offset0:40 offset1:41
	v_pk_add_f32 v[8:9], v[8:9], v[112:113] neg_lo:[0,1] neg_hi:[0,1]
	s_wait_dscnt 0x0
	v_pk_mul_f32 v[112:113], v[108:109], v[100:101] op_sel:[0,1]
	v_pk_fma_f32 v[114:115], v[108:109], v[98:99], v[112:113] op_sel:[0,0,1] op_sel_hi:[1,1,0] neg_lo:[0,0,1] neg_hi:[0,0,1]
	v_pk_fma_f32 v[108:109], v[108:109], v[98:99], v[112:113] op_sel:[0,0,1] op_sel_hi:[1,0,0]
	s_delay_alu instid0(VALU_DEP_1) | instskip(SKIP_1) | instid1(VALU_DEP_1)
	v_mov_b32_e32 v115, v109
	v_pk_mul_f32 v[108:109], v[110:111], v[100:101] op_sel:[0,1]
	v_pk_fma_f32 v[112:113], v[110:111], v[98:99], v[108:109] op_sel:[0,0,1] op_sel_hi:[1,1,0] neg_lo:[0,0,1] neg_hi:[0,0,1]
	v_pk_fma_f32 v[108:109], v[110:111], v[98:99], v[108:109] op_sel:[0,0,1] op_sel_hi:[1,0,0]
	s_delay_alu instid0(VALU_DEP_1)
	v_mov_b32_e32 v113, v109
	ds_load_2addr_b64 v[108:111], v102 offset0:42 offset1:43
	v_pk_add_f32 v[68:69], v[68:69], v[114:115] neg_lo:[0,1] neg_hi:[0,1]
	v_pk_add_f32 v[6:7], v[6:7], v[112:113] neg_lo:[0,1] neg_hi:[0,1]
	s_wait_dscnt 0x0
	v_pk_mul_f32 v[112:113], v[108:109], v[100:101] op_sel:[0,1]
	s_delay_alu instid0(VALU_DEP_1) | instskip(SKIP_1) | instid1(VALU_DEP_1)
	v_pk_fma_f32 v[114:115], v[108:109], v[98:99], v[112:113] op_sel:[0,0,1] op_sel_hi:[1,1,0] neg_lo:[0,0,1] neg_hi:[0,0,1]
	v_pk_fma_f32 v[108:109], v[108:109], v[98:99], v[112:113] op_sel:[0,0,1] op_sel_hi:[1,0,0]
	v_mov_b32_e32 v115, v109
	v_pk_mul_f32 v[108:109], v[110:111], v[100:101] op_sel:[0,1]
	s_delay_alu instid0(VALU_DEP_1) | instskip(SKIP_1) | instid1(VALU_DEP_1)
	v_pk_fma_f32 v[112:113], v[110:111], v[98:99], v[108:109] op_sel:[0,0,1] op_sel_hi:[1,1,0] neg_lo:[0,0,1] neg_hi:[0,0,1]
	v_pk_fma_f32 v[108:109], v[110:111], v[98:99], v[108:109] op_sel:[0,0,1] op_sel_hi:[1,0,0]
	v_mov_b32_e32 v113, v109
	ds_load_2addr_b64 v[108:111], v102 offset0:44 offset1:45
	v_pk_add_f32 v[54:55], v[54:55], v[114:115] neg_lo:[0,1] neg_hi:[0,1]
	v_pk_add_f32 v[40:41], v[40:41], v[112:113] neg_lo:[0,1] neg_hi:[0,1]
	s_wait_dscnt 0x0
	v_dual_mul_f32 v112, v109, v101 :: v_dual_mul_f32 v114, v109, v98
	v_pk_mul_f32 v[100:101], v[110:111], v[100:101] op_sel:[0,1]
	s_delay_alu instid0(VALU_DEP_2) | instskip(NEXT) | instid1(VALU_DEP_3)
	v_pk_fma_f32 v[112:113], v[108:109], v[22:23], v[112:113] op_sel_hi:[1,1,0] neg_lo:[0,0,1] neg_hi:[0,0,1]
	v_pk_fma_f32 v[108:109], v[108:109], v[22:23], v[114:115] op_sel:[1,0,0] op_sel_hi:[0,1,0]
	s_delay_alu instid0(VALU_DEP_1) | instskip(NEXT) | instid1(VALU_DEP_4)
	v_mov_b32_e32 v113, v109
	v_pk_fma_f32 v[108:109], v[110:111], v[98:99], v[100:101] op_sel:[0,0,1] op_sel_hi:[1,1,0] neg_lo:[0,0,1] neg_hi:[0,0,1]
	v_pk_fma_f32 v[98:99], v[110:111], v[98:99], v[100:101] op_sel:[0,0,1] op_sel_hi:[1,0,0]
	s_delay_alu instid0(VALU_DEP_1) | instskip(NEXT) | instid1(VALU_DEP_4)
	v_mov_b32_e32 v109, v99
	v_pk_add_f32 v[14:15], v[14:15], v[112:113] neg_lo:[0,1] neg_hi:[0,1]
	s_delay_alu instid0(VALU_DEP_2)
	v_pk_add_f32 v[96:97], v[96:97], v[108:109] neg_lo:[0,1] neg_hi:[0,1]
.LBB90_125:
	s_or_b32 exec_lo, exec_lo, s0
	v_lshl_add_u32 v98, v106, 3, v102
	s_barrier_signal -1
	s_barrier_wait -1
	ds_store_b64 v98, v[26:27]
	s_wait_dscnt 0x0
	s_barrier_signal -1
	s_barrier_wait -1
	ds_load_b64 v[100:101], v102 offset:48
	v_mov_b32_e32 v98, 6
	s_cmp_lt_i32 s18, 8
	s_cbranch_scc1 .LBB90_128
; %bb.126:
	v_add3_u32 v99, v103, 0, 56
	v_mov_b32_e32 v98, 6
	s_mov_b32 s0, 7
.LBB90_127:                             ; =>This Inner Loop Header: Depth=1
	ds_load_b64 v[108:109], v99
	s_wait_dscnt 0x1
	v_cmp_gt_f32_e32 vcc_lo, 0, v100
	v_cndmask_b32_e64 v110, v100, -v100, vcc_lo
	v_cmp_gt_f32_e32 vcc_lo, 0, v101
	v_cndmask_b32_e64 v112, v101, -v101, vcc_lo
	s_wait_dscnt 0x0
	v_cmp_gt_f32_e32 vcc_lo, 0, v108
	v_cndmask_b32_e64 v111, v108, -v108, vcc_lo
	v_cmp_gt_f32_e32 vcc_lo, 0, v109
	v_cndmask_b32_e64 v113, v109, -v109, vcc_lo
	s_delay_alu instid0(VALU_DEP_1) | instskip(NEXT) | instid1(VALU_DEP_1)
	v_pk_add_f32 v[110:111], v[110:111], v[112:113]
	v_cmp_lt_f32_e32 vcc_lo, v110, v111
	v_dual_add_nc_u32 v99, 8, v99 :: v_dual_cndmask_b32 v101, v101, v109, vcc_lo
	v_cndmask_b32_e32 v100, v100, v108, vcc_lo
	v_cndmask_b32_e64 v98, v98, s0, vcc_lo
	s_add_co_i32 s0, s0, 1
	s_delay_alu instid0(SALU_CYCLE_1)
	s_cmp_lg_u32 s18, s0
	s_cbranch_scc1 .LBB90_127
.LBB90_128:
	s_wait_dscnt 0x0
	v_cmp_eq_f32_e32 vcc_lo, 0, v100
	v_cmp_eq_f32_e64 s0, 0, v101
	s_and_b32 s0, vcc_lo, s0
	s_delay_alu instid0(SALU_CYCLE_1) | instskip(NEXT) | instid1(SALU_CYCLE_1)
	s_and_saveexec_b32 s1, s0
	s_xor_b32 s0, exec_lo, s1
; %bb.129:
	v_cmp_ne_u32_e32 vcc_lo, 0, v104
	v_cndmask_b32_e32 v104, 7, v104, vcc_lo
; %bb.130:
	s_and_not1_saveexec_b32 s0, s0
	s_cbranch_execz .LBB90_136
; %bb.131:
	v_cmp_ngt_f32_e64 s1, |v100|, |v101|
	s_and_saveexec_b32 s12, s1
	s_delay_alu instid0(SALU_CYCLE_1)
	s_xor_b32 s1, exec_lo, s12
	s_cbranch_execz .LBB90_133
; %bb.132:
	v_div_scale_f32 v99, null, v101, v101, v100
	v_div_scale_f32 v109, vcc_lo, v100, v101, v100
	s_delay_alu instid0(VALU_DEP_2) | instskip(SKIP_1) | instid1(TRANS32_DEP_1)
	v_rcp_f32_e32 v107, v99
	v_nop
	v_fma_f32 v108, -v99, v107, 1.0
	s_delay_alu instid0(VALU_DEP_1) | instskip(NEXT) | instid1(VALU_DEP_1)
	v_fmac_f32_e32 v107, v108, v107
	v_mul_f32_e32 v108, v109, v107
	s_delay_alu instid0(VALU_DEP_1) | instskip(NEXT) | instid1(VALU_DEP_1)
	v_fma_f32 v110, -v99, v108, v109
	v_fmac_f32_e32 v108, v110, v107
	s_delay_alu instid0(VALU_DEP_1) | instskip(NEXT) | instid1(VALU_DEP_1)
	v_fma_f32 v99, -v99, v108, v109
	v_div_fmas_f32 v99, v99, v107, v108
	s_delay_alu instid0(VALU_DEP_1) | instskip(NEXT) | instid1(VALU_DEP_1)
	v_div_fixup_f32 v99, v99, v101, v100
	v_fmac_f32_e32 v101, v100, v99
	s_delay_alu instid0(VALU_DEP_1) | instskip(SKIP_1) | instid1(VALU_DEP_2)
	v_div_scale_f32 v100, null, v101, v101, 1.0
	v_div_scale_f32 v109, vcc_lo, 1.0, v101, 1.0
	v_rcp_f32_e32 v107, v100
	v_nop
	s_delay_alu instid0(TRANS32_DEP_1) | instskip(NEXT) | instid1(VALU_DEP_1)
	v_fma_f32 v108, -v100, v107, 1.0
	v_fmac_f32_e32 v107, v108, v107
	s_delay_alu instid0(VALU_DEP_1) | instskip(NEXT) | instid1(VALU_DEP_1)
	v_mul_f32_e32 v108, v109, v107
	v_fma_f32 v110, -v100, v108, v109
	s_delay_alu instid0(VALU_DEP_1) | instskip(NEXT) | instid1(VALU_DEP_1)
	v_fmac_f32_e32 v108, v110, v107
	v_fma_f32 v100, -v100, v108, v109
	s_delay_alu instid0(VALU_DEP_1) | instskip(NEXT) | instid1(VALU_DEP_1)
	v_div_fmas_f32 v100, v100, v107, v108
	v_div_fixup_f32 v101, v100, v101, 1.0
	s_delay_alu instid0(VALU_DEP_1)
	v_mul_f32_e32 v100, v99, v101
	v_xor_b32_e32 v101, 0x80000000, v101
.LBB90_133:
	s_and_not1_saveexec_b32 s1, s1
	s_cbranch_execz .LBB90_135
; %bb.134:
	s_delay_alu instid0(VALU_DEP_1) | instskip(SKIP_1) | instid1(VALU_DEP_2)
	v_div_scale_f32 v99, null, v100, v100, v101
	v_div_scale_f32 v109, vcc_lo, v101, v100, v101
	v_rcp_f32_e32 v107, v99
	v_nop
	s_delay_alu instid0(TRANS32_DEP_1) | instskip(NEXT) | instid1(VALU_DEP_1)
	v_fma_f32 v108, -v99, v107, 1.0
	v_fmac_f32_e32 v107, v108, v107
	s_delay_alu instid0(VALU_DEP_1) | instskip(NEXT) | instid1(VALU_DEP_1)
	v_mul_f32_e32 v108, v109, v107
	v_fma_f32 v110, -v99, v108, v109
	s_delay_alu instid0(VALU_DEP_1) | instskip(NEXT) | instid1(VALU_DEP_1)
	v_fmac_f32_e32 v108, v110, v107
	v_fma_f32 v99, -v99, v108, v109
	s_delay_alu instid0(VALU_DEP_1) | instskip(NEXT) | instid1(VALU_DEP_1)
	v_div_fmas_f32 v99, v99, v107, v108
	v_div_fixup_f32 v99, v99, v100, v101
	s_delay_alu instid0(VALU_DEP_1) | instskip(NEXT) | instid1(VALU_DEP_1)
	v_fmac_f32_e32 v100, v101, v99
	v_div_scale_f32 v101, null, v100, v100, 1.0
	s_delay_alu instid0(VALU_DEP_1) | instskip(SKIP_1) | instid1(TRANS32_DEP_1)
	v_rcp_f32_e32 v107, v101
	v_nop
	v_fma_f32 v108, -v101, v107, 1.0
	s_delay_alu instid0(VALU_DEP_1) | instskip(SKIP_1) | instid1(VALU_DEP_1)
	v_fmac_f32_e32 v107, v108, v107
	v_div_scale_f32 v108, vcc_lo, 1.0, v100, 1.0
	v_mul_f32_e32 v109, v108, v107
	s_delay_alu instid0(VALU_DEP_1) | instskip(NEXT) | instid1(VALU_DEP_1)
	v_fma_f32 v110, -v101, v109, v108
	v_fmac_f32_e32 v109, v110, v107
	s_delay_alu instid0(VALU_DEP_1) | instskip(NEXT) | instid1(VALU_DEP_1)
	v_fma_f32 v101, -v101, v109, v108
	v_div_fmas_f32 v101, v101, v107, v109
	s_delay_alu instid0(VALU_DEP_1) | instskip(NEXT) | instid1(VALU_DEP_1)
	v_div_fixup_f32 v100, v101, v100, 1.0
	v_mul_f32_e64 v101, v99, -v100
.LBB90_135:
	s_or_b32 exec_lo, exec_lo, s1
.LBB90_136:
	s_delay_alu instid0(SALU_CYCLE_1) | instskip(NEXT) | instid1(SALU_CYCLE_1)
	s_or_b32 exec_lo, exec_lo, s0
	s_mov_b32 s0, exec_lo
	v_cmpx_ne_u32_e64 v106, v98
	s_xor_b32 s0, exec_lo, s0
	s_cbranch_execz .LBB90_142
; %bb.137:
	s_mov_b32 s1, exec_lo
	v_cmpx_eq_u32_e32 6, v106
	s_cbranch_execz .LBB90_141
; %bb.138:
	v_cmp_ne_u32_e32 vcc_lo, 6, v98
	s_xor_b32 s12, s16, -1
	s_delay_alu instid0(SALU_CYCLE_1) | instskip(NEXT) | instid1(SALU_CYCLE_1)
	s_and_b32 s13, s12, vcc_lo
	s_and_saveexec_b32 s12, s13
	s_cbranch_execz .LBB90_140
; %bb.139:
	v_ashrrev_i32_e32 v99, 31, v98
	s_delay_alu instid0(VALU_DEP_1)
	v_lshl_add_u64 v[106:107], v[98:99], 2, v[4:5]
	s_clause 0x1
	global_load_b32 v99, v[106:107], off
	global_load_b32 v105, v[4:5], off offset:24
	s_wait_loadcnt 0x1
	global_store_b32 v[4:5], v99, off offset:24
	s_wait_loadcnt 0x0
	global_store_b32 v[106:107], v105, off
.LBB90_140:
	s_wait_xcnt 0x0
	s_or_b32 exec_lo, exec_lo, s12
	v_dual_mov_b32 v106, v98 :: v_dual_mov_b32 v105, v98
.LBB90_141:
	s_or_b32 exec_lo, exec_lo, s1
.LBB90_142:
	s_and_not1_saveexec_b32 s0, s0
	s_cbranch_execz .LBB90_144
; %bb.143:
	v_mov_b32_e32 v106, 6
	ds_store_2addr_b64 v102, v[20:21], v[78:79] offset0:7 offset1:8
	ds_store_2addr_b64 v102, v[34:35], v[38:39] offset0:9 offset1:10
	;; [unrolled: 1-line block ×19, first 2 shown]
	ds_store_b64 v102, v[96:97] offset:360
.LBB90_144:
	s_or_b32 exec_lo, exec_lo, s0
	s_delay_alu instid0(SALU_CYCLE_1)
	s_mov_b32 s0, exec_lo
	s_wait_storecnt_dscnt 0x0
	s_barrier_signal -1
	s_barrier_wait -1
	v_cmpx_lt_i32_e32 6, v106
	s_cbranch_execz .LBB90_146
; %bb.145:
	v_pk_mul_f32 v[108:109], v[100:101], v[26:27] op_sel:[1,1] op_sel_hi:[0,1]
	s_delay_alu instid0(VALU_DEP_1)
	v_pk_fma_f32 v[98:99], v[100:101], v[26:27], v[108:109] op_sel_hi:[1,0,1] neg_lo:[0,0,1] neg_hi:[0,0,1]
	v_pk_fma_f32 v[100:101], v[100:101], v[26:27], v[108:109] op_sel_hi:[1,0,1]
	ds_load_2addr_b64 v[108:111], v102 offset0:7 offset1:8
	v_dual_mov_b32 v26, v98 :: v_dual_mov_b32 v27, v101
	s_wait_dscnt 0x0
	v_pk_mul_f32 v[112:113], v[108:109], v[100:101] op_sel:[0,1]
	s_delay_alu instid0(VALU_DEP_1) | instskip(SKIP_1) | instid1(VALU_DEP_1)
	v_pk_fma_f32 v[114:115], v[108:109], v[98:99], v[112:113] op_sel:[0,0,1] op_sel_hi:[1,1,0] neg_lo:[0,0,1] neg_hi:[0,0,1]
	v_pk_fma_f32 v[108:109], v[108:109], v[98:99], v[112:113] op_sel:[0,0,1] op_sel_hi:[1,0,0]
	v_mov_b32_e32 v115, v109
	v_pk_mul_f32 v[108:109], v[110:111], v[100:101] op_sel:[0,1]
	s_delay_alu instid0(VALU_DEP_1) | instskip(SKIP_1) | instid1(VALU_DEP_1)
	v_pk_fma_f32 v[112:113], v[110:111], v[98:99], v[108:109] op_sel:[0,0,1] op_sel_hi:[1,1,0] neg_lo:[0,0,1] neg_hi:[0,0,1]
	v_pk_fma_f32 v[108:109], v[110:111], v[98:99], v[108:109] op_sel:[0,0,1] op_sel_hi:[1,0,0]
	v_mov_b32_e32 v113, v109
	ds_load_2addr_b64 v[108:111], v102 offset0:9 offset1:10
	v_pk_add_f32 v[20:21], v[20:21], v[114:115] neg_lo:[0,1] neg_hi:[0,1]
	v_pk_add_f32 v[78:79], v[78:79], v[112:113] neg_lo:[0,1] neg_hi:[0,1]
	s_wait_dscnt 0x0
	v_pk_mul_f32 v[112:113], v[108:109], v[100:101] op_sel:[0,1]
	s_delay_alu instid0(VALU_DEP_1) | instskip(SKIP_2) | instid1(VALU_DEP_2)
	v_pk_fma_f32 v[114:115], v[108:109], v[98:99], v[112:113] op_sel:[0,0,1] op_sel_hi:[1,1,0] neg_lo:[0,0,1] neg_hi:[0,0,1]
	v_pk_fma_f32 v[108:109], v[108:109], v[98:99], v[112:113] op_sel:[0,0,1] op_sel_hi:[1,0,0]
	v_dual_mul_f32 v112, v111, v101 :: v_dual_mov_b32 v108, v111
	v_dual_mov_b32 v115, v109 :: v_dual_mov_b32 v109, v110
	s_delay_alu instid0(VALU_DEP_2) | instskip(SKIP_1) | instid1(VALU_DEP_3)
	v_pk_fma_f32 v[112:113], v[110:111], v[26:27], v[112:113] op_sel_hi:[1,1,0] neg_lo:[0,0,1] neg_hi:[0,0,1]
	v_mul_f32_e32 v110, v111, v98
	v_pk_add_f32 v[34:35], v[34:35], v[114:115] neg_lo:[0,1] neg_hi:[0,1]
	s_delay_alu instid0(VALU_DEP_2) | instskip(NEXT) | instid1(VALU_DEP_1)
	v_pk_fma_f32 v[108:109], v[108:109], v[26:27], v[110:111] op_sel_hi:[1,1,0]
	v_mov_b32_e32 v113, v109
	ds_load_2addr_b64 v[108:111], v102 offset0:11 offset1:12
	v_pk_add_f32 v[38:39], v[38:39], v[112:113] neg_lo:[0,1] neg_hi:[0,1]
	s_wait_dscnt 0x0
	v_pk_mul_f32 v[112:113], v[108:109], v[100:101] op_sel:[0,1]
	s_delay_alu instid0(VALU_DEP_1) | instskip(SKIP_1) | instid1(VALU_DEP_1)
	v_pk_fma_f32 v[114:115], v[108:109], v[98:99], v[112:113] op_sel:[0,0,1] op_sel_hi:[1,1,0] neg_lo:[0,0,1] neg_hi:[0,0,1]
	v_pk_fma_f32 v[108:109], v[108:109], v[98:99], v[112:113] op_sel:[0,0,1] op_sel_hi:[1,0,0]
	v_mov_b32_e32 v115, v109
	v_pk_mul_f32 v[108:109], v[110:111], v[100:101] op_sel:[0,1]
	s_delay_alu instid0(VALU_DEP_1) | instskip(SKIP_1) | instid1(VALU_DEP_1)
	v_pk_fma_f32 v[112:113], v[110:111], v[98:99], v[108:109] op_sel:[0,0,1] op_sel_hi:[1,1,0] neg_lo:[0,0,1] neg_hi:[0,0,1]
	v_pk_fma_f32 v[108:109], v[110:111], v[98:99], v[108:109] op_sel:[0,0,1] op_sel_hi:[1,0,0]
	v_mov_b32_e32 v113, v109
	ds_load_2addr_b64 v[108:111], v102 offset0:13 offset1:14
	v_pk_add_f32 v[32:33], v[32:33], v[114:115] neg_lo:[0,1] neg_hi:[0,1]
	v_pk_add_f32 v[86:87], v[86:87], v[112:113] neg_lo:[0,1] neg_hi:[0,1]
	s_wait_dscnt 0x0
	v_pk_mul_f32 v[112:113], v[108:109], v[100:101] op_sel:[0,1]
	s_delay_alu instid0(VALU_DEP_1) | instskip(SKIP_1) | instid1(VALU_DEP_1)
	v_pk_fma_f32 v[114:115], v[108:109], v[98:99], v[112:113] op_sel:[0,0,1] op_sel_hi:[1,1,0] neg_lo:[0,0,1] neg_hi:[0,0,1]
	v_pk_fma_f32 v[108:109], v[108:109], v[98:99], v[112:113] op_sel:[0,0,1] op_sel_hi:[1,0,0]
	v_mov_b32_e32 v115, v109
	v_pk_mul_f32 v[108:109], v[110:111], v[100:101] op_sel:[0,1]
	s_delay_alu instid0(VALU_DEP_1) | instskip(SKIP_1) | instid1(VALU_DEP_1)
	v_pk_fma_f32 v[112:113], v[110:111], v[98:99], v[108:109] op_sel:[0,0,1] op_sel_hi:[1,1,0] neg_lo:[0,0,1] neg_hi:[0,0,1]
	v_pk_fma_f32 v[108:109], v[110:111], v[98:99], v[108:109] op_sel:[0,0,1] op_sel_hi:[1,0,0]
	v_mov_b32_e32 v113, v109
	ds_load_2addr_b64 v[108:111], v102 offset0:15 offset1:16
	v_pk_add_f32 v[64:65], v[64:65], v[114:115] neg_lo:[0,1] neg_hi:[0,1]
	v_pk_add_f32 v[66:67], v[66:67], v[112:113] neg_lo:[0,1] neg_hi:[0,1]
	s_wait_dscnt 0x0
	v_dual_mul_f32 v112, v109, v101 :: v_dual_mul_f32 v114, v109, v98
	s_delay_alu instid0(VALU_DEP_1) | instskip(NEXT) | instid1(VALU_DEP_2)
	v_pk_fma_f32 v[112:113], v[108:109], v[26:27], v[112:113] op_sel_hi:[1,1,0] neg_lo:[0,0,1] neg_hi:[0,0,1]
	v_pk_fma_f32 v[108:109], v[108:109], v[26:27], v[114:115] op_sel:[1,0,0] op_sel_hi:[0,1,0]
	s_delay_alu instid0(VALU_DEP_1) | instskip(SKIP_1) | instid1(VALU_DEP_2)
	v_mov_b32_e32 v113, v109
	v_pk_mul_f32 v[108:109], v[110:111], v[100:101] op_sel:[0,1]
	v_pk_add_f32 v[62:63], v[62:63], v[112:113] neg_lo:[0,1] neg_hi:[0,1]
	s_delay_alu instid0(VALU_DEP_2) | instskip(SKIP_1) | instid1(VALU_DEP_1)
	v_pk_fma_f32 v[112:113], v[110:111], v[98:99], v[108:109] op_sel:[0,0,1] op_sel_hi:[1,1,0] neg_lo:[0,0,1] neg_hi:[0,0,1]
	v_pk_fma_f32 v[108:109], v[110:111], v[98:99], v[108:109] op_sel:[0,0,1] op_sel_hi:[1,0,0]
	v_mov_b32_e32 v113, v109
	ds_load_2addr_b64 v[108:111], v102 offset0:17 offset1:18
	v_pk_add_f32 v[84:85], v[84:85], v[112:113] neg_lo:[0,1] neg_hi:[0,1]
	s_wait_dscnt 0x0
	v_pk_mul_f32 v[112:113], v[108:109], v[100:101] op_sel:[0,1]
	s_delay_alu instid0(VALU_DEP_1) | instskip(SKIP_1) | instid1(VALU_DEP_1)
	v_pk_fma_f32 v[114:115], v[108:109], v[98:99], v[112:113] op_sel:[0,0,1] op_sel_hi:[1,1,0] neg_lo:[0,0,1] neg_hi:[0,0,1]
	v_pk_fma_f32 v[108:109], v[108:109], v[98:99], v[112:113] op_sel:[0,0,1] op_sel_hi:[1,0,0]
	v_mov_b32_e32 v115, v109
	v_pk_mul_f32 v[108:109], v[110:111], v[100:101] op_sel:[0,1]
	s_delay_alu instid0(VALU_DEP_2) | instskip(NEXT) | instid1(VALU_DEP_2)
	v_pk_add_f32 v[58:59], v[58:59], v[114:115] neg_lo:[0,1] neg_hi:[0,1]
	v_pk_fma_f32 v[112:113], v[110:111], v[98:99], v[108:109] op_sel:[0,0,1] op_sel_hi:[1,1,0] neg_lo:[0,0,1] neg_hi:[0,0,1]
	v_pk_fma_f32 v[108:109], v[110:111], v[98:99], v[108:109] op_sel:[0,0,1] op_sel_hi:[1,0,0]
	s_delay_alu instid0(VALU_DEP_1) | instskip(SKIP_4) | instid1(VALU_DEP_1)
	v_mov_b32_e32 v113, v109
	ds_load_2addr_b64 v[108:111], v102 offset0:19 offset1:20
	v_pk_add_f32 v[60:61], v[60:61], v[112:113] neg_lo:[0,1] neg_hi:[0,1]
	s_wait_dscnt 0x0
	v_pk_mul_f32 v[112:113], v[108:109], v[100:101] op_sel:[0,1]
	v_pk_fma_f32 v[114:115], v[108:109], v[98:99], v[112:113] op_sel:[0,0,1] op_sel_hi:[1,1,0] neg_lo:[0,0,1] neg_hi:[0,0,1]
	v_pk_fma_f32 v[108:109], v[108:109], v[98:99], v[112:113] op_sel:[0,0,1] op_sel_hi:[1,0,0]
	v_dual_mul_f32 v112, v111, v101 :: v_dual_mov_b32 v108, v111
	s_delay_alu instid0(VALU_DEP_2) | instskip(NEXT) | instid1(VALU_DEP_2)
	v_dual_mov_b32 v115, v109 :: v_dual_mov_b32 v109, v110
	v_pk_fma_f32 v[112:113], v[110:111], v[26:27], v[112:113] op_sel_hi:[1,1,0] neg_lo:[0,0,1] neg_hi:[0,0,1]
	v_mul_f32_e32 v110, v111, v98
	s_delay_alu instid0(VALU_DEP_3) | instskip(NEXT) | instid1(VALU_DEP_2)
	v_pk_add_f32 v[56:57], v[56:57], v[114:115] neg_lo:[0,1] neg_hi:[0,1]
	v_pk_fma_f32 v[108:109], v[108:109], v[26:27], v[110:111] op_sel_hi:[1,1,0]
	s_delay_alu instid0(VALU_DEP_1) | instskip(SKIP_4) | instid1(VALU_DEP_1)
	v_mov_b32_e32 v113, v109
	ds_load_2addr_b64 v[108:111], v102 offset0:21 offset1:22
	v_pk_add_f32 v[82:83], v[82:83], v[112:113] neg_lo:[0,1] neg_hi:[0,1]
	s_wait_dscnt 0x0
	v_pk_mul_f32 v[112:113], v[108:109], v[100:101] op_sel:[0,1]
	v_pk_fma_f32 v[114:115], v[108:109], v[98:99], v[112:113] op_sel:[0,0,1] op_sel_hi:[1,1,0] neg_lo:[0,0,1] neg_hi:[0,0,1]
	v_pk_fma_f32 v[108:109], v[108:109], v[98:99], v[112:113] op_sel:[0,0,1] op_sel_hi:[1,0,0]
	s_delay_alu instid0(VALU_DEP_1) | instskip(SKIP_1) | instid1(VALU_DEP_1)
	v_mov_b32_e32 v115, v109
	v_pk_mul_f32 v[108:109], v[110:111], v[100:101] op_sel:[0,1]
	v_pk_fma_f32 v[112:113], v[110:111], v[98:99], v[108:109] op_sel:[0,0,1] op_sel_hi:[1,1,0] neg_lo:[0,0,1] neg_hi:[0,0,1]
	v_pk_fma_f32 v[108:109], v[110:111], v[98:99], v[108:109] op_sel:[0,0,1] op_sel_hi:[1,0,0]
	s_delay_alu instid0(VALU_DEP_1)
	v_mov_b32_e32 v113, v109
	ds_load_2addr_b64 v[108:111], v102 offset0:23 offset1:24
	v_pk_add_f32 v[50:51], v[50:51], v[114:115] neg_lo:[0,1] neg_hi:[0,1]
	v_pk_add_f32 v[52:53], v[52:53], v[112:113] neg_lo:[0,1] neg_hi:[0,1]
	s_wait_dscnt 0x0
	v_pk_mul_f32 v[112:113], v[108:109], v[100:101] op_sel:[0,1]
	s_delay_alu instid0(VALU_DEP_1) | instskip(SKIP_1) | instid1(VALU_DEP_1)
	v_pk_fma_f32 v[114:115], v[108:109], v[98:99], v[112:113] op_sel:[0,0,1] op_sel_hi:[1,1,0] neg_lo:[0,0,1] neg_hi:[0,0,1]
	v_pk_fma_f32 v[108:109], v[108:109], v[98:99], v[112:113] op_sel:[0,0,1] op_sel_hi:[1,0,0]
	v_mov_b32_e32 v115, v109
	v_pk_mul_f32 v[108:109], v[110:111], v[100:101] op_sel:[0,1]
	s_delay_alu instid0(VALU_DEP_1) | instskip(SKIP_1) | instid1(VALU_DEP_1)
	v_pk_fma_f32 v[112:113], v[110:111], v[98:99], v[108:109] op_sel:[0,0,1] op_sel_hi:[1,1,0] neg_lo:[0,0,1] neg_hi:[0,0,1]
	v_pk_fma_f32 v[108:109], v[110:111], v[98:99], v[108:109] op_sel:[0,0,1] op_sel_hi:[1,0,0]
	v_mov_b32_e32 v113, v109
	ds_load_2addr_b64 v[108:111], v102 offset0:25 offset1:26
	v_pk_add_f32 v[48:49], v[48:49], v[114:115] neg_lo:[0,1] neg_hi:[0,1]
	v_pk_add_f32 v[80:81], v[80:81], v[112:113] neg_lo:[0,1] neg_hi:[0,1]
	s_wait_dscnt 0x0
	v_dual_mul_f32 v112, v109, v101 :: v_dual_mul_f32 v114, v109, v98
	s_delay_alu instid0(VALU_DEP_1) | instskip(NEXT) | instid1(VALU_DEP_2)
	v_pk_fma_f32 v[112:113], v[108:109], v[26:27], v[112:113] op_sel_hi:[1,1,0] neg_lo:[0,0,1] neg_hi:[0,0,1]
	v_pk_fma_f32 v[108:109], v[108:109], v[26:27], v[114:115] op_sel:[1,0,0] op_sel_hi:[0,1,0]
	s_delay_alu instid0(VALU_DEP_1) | instskip(SKIP_1) | instid1(VALU_DEP_2)
	v_mov_b32_e32 v113, v109
	v_pk_mul_f32 v[108:109], v[110:111], v[100:101] op_sel:[0,1]
	v_pk_add_f32 v[44:45], v[44:45], v[112:113] neg_lo:[0,1] neg_hi:[0,1]
	s_delay_alu instid0(VALU_DEP_2) | instskip(SKIP_1) | instid1(VALU_DEP_1)
	v_pk_fma_f32 v[112:113], v[110:111], v[98:99], v[108:109] op_sel:[0,0,1] op_sel_hi:[1,1,0] neg_lo:[0,0,1] neg_hi:[0,0,1]
	v_pk_fma_f32 v[108:109], v[110:111], v[98:99], v[108:109] op_sel:[0,0,1] op_sel_hi:[1,0,0]
	v_mov_b32_e32 v113, v109
	ds_load_2addr_b64 v[108:111], v102 offset0:27 offset1:28
	v_pk_add_f32 v[46:47], v[46:47], v[112:113] neg_lo:[0,1] neg_hi:[0,1]
	s_wait_dscnt 0x0
	v_pk_mul_f32 v[112:113], v[108:109], v[100:101] op_sel:[0,1]
	s_delay_alu instid0(VALU_DEP_1) | instskip(SKIP_1) | instid1(VALU_DEP_1)
	v_pk_fma_f32 v[114:115], v[108:109], v[98:99], v[112:113] op_sel:[0,0,1] op_sel_hi:[1,1,0] neg_lo:[0,0,1] neg_hi:[0,0,1]
	v_pk_fma_f32 v[108:109], v[108:109], v[98:99], v[112:113] op_sel:[0,0,1] op_sel_hi:[1,0,0]
	v_mov_b32_e32 v115, v109
	v_pk_mul_f32 v[108:109], v[110:111], v[100:101] op_sel:[0,1]
	s_delay_alu instid0(VALU_DEP_2) | instskip(NEXT) | instid1(VALU_DEP_2)
	v_pk_add_f32 v[42:43], v[42:43], v[114:115] neg_lo:[0,1] neg_hi:[0,1]
	v_pk_fma_f32 v[112:113], v[110:111], v[98:99], v[108:109] op_sel:[0,0,1] op_sel_hi:[1,1,0] neg_lo:[0,0,1] neg_hi:[0,0,1]
	v_pk_fma_f32 v[108:109], v[110:111], v[98:99], v[108:109] op_sel:[0,0,1] op_sel_hi:[1,0,0]
	s_delay_alu instid0(VALU_DEP_1) | instskip(SKIP_4) | instid1(VALU_DEP_1)
	v_mov_b32_e32 v113, v109
	ds_load_2addr_b64 v[108:111], v102 offset0:29 offset1:30
	v_pk_add_f32 v[76:77], v[76:77], v[112:113] neg_lo:[0,1] neg_hi:[0,1]
	s_wait_dscnt 0x0
	v_pk_mul_f32 v[112:113], v[108:109], v[100:101] op_sel:[0,1]
	v_pk_fma_f32 v[114:115], v[108:109], v[98:99], v[112:113] op_sel:[0,0,1] op_sel_hi:[1,1,0] neg_lo:[0,0,1] neg_hi:[0,0,1]
	v_pk_fma_f32 v[108:109], v[108:109], v[98:99], v[112:113] op_sel:[0,0,1] op_sel_hi:[1,0,0]
	v_dual_mul_f32 v112, v111, v101 :: v_dual_mov_b32 v108, v111
	s_delay_alu instid0(VALU_DEP_2) | instskip(NEXT) | instid1(VALU_DEP_2)
	v_dual_mov_b32 v115, v109 :: v_dual_mov_b32 v109, v110
	v_pk_fma_f32 v[112:113], v[110:111], v[26:27], v[112:113] op_sel_hi:[1,1,0] neg_lo:[0,0,1] neg_hi:[0,0,1]
	v_mul_f32_e32 v110, v111, v98
	s_delay_alu instid0(VALU_DEP_3) | instskip(NEXT) | instid1(VALU_DEP_2)
	v_pk_add_f32 v[30:31], v[30:31], v[114:115] neg_lo:[0,1] neg_hi:[0,1]
	v_pk_fma_f32 v[108:109], v[108:109], v[26:27], v[110:111] op_sel_hi:[1,1,0]
	s_delay_alu instid0(VALU_DEP_1) | instskip(SKIP_4) | instid1(VALU_DEP_1)
	v_mov_b32_e32 v113, v109
	ds_load_2addr_b64 v[108:111], v102 offset0:31 offset1:32
	v_pk_add_f32 v[36:37], v[36:37], v[112:113] neg_lo:[0,1] neg_hi:[0,1]
	s_wait_dscnt 0x0
	v_pk_mul_f32 v[112:113], v[108:109], v[100:101] op_sel:[0,1]
	v_pk_fma_f32 v[114:115], v[108:109], v[98:99], v[112:113] op_sel:[0,0,1] op_sel_hi:[1,1,0] neg_lo:[0,0,1] neg_hi:[0,0,1]
	v_pk_fma_f32 v[108:109], v[108:109], v[98:99], v[112:113] op_sel:[0,0,1] op_sel_hi:[1,0,0]
	s_delay_alu instid0(VALU_DEP_1) | instskip(SKIP_1) | instid1(VALU_DEP_1)
	v_mov_b32_e32 v115, v109
	v_pk_mul_f32 v[108:109], v[110:111], v[100:101] op_sel:[0,1]
	v_pk_fma_f32 v[112:113], v[110:111], v[98:99], v[108:109] op_sel:[0,0,1] op_sel_hi:[1,1,0] neg_lo:[0,0,1] neg_hi:[0,0,1]
	v_pk_fma_f32 v[108:109], v[110:111], v[98:99], v[108:109] op_sel:[0,0,1] op_sel_hi:[1,0,0]
	s_delay_alu instid0(VALU_DEP_1)
	v_mov_b32_e32 v113, v109
	ds_load_2addr_b64 v[108:111], v102 offset0:33 offset1:34
	v_pk_add_f32 v[28:29], v[28:29], v[114:115] neg_lo:[0,1] neg_hi:[0,1]
	v_pk_add_f32 v[72:73], v[72:73], v[112:113] neg_lo:[0,1] neg_hi:[0,1]
	s_wait_dscnt 0x0
	v_pk_mul_f32 v[112:113], v[108:109], v[100:101] op_sel:[0,1]
	s_delay_alu instid0(VALU_DEP_1) | instskip(SKIP_1) | instid1(VALU_DEP_1)
	v_pk_fma_f32 v[114:115], v[108:109], v[98:99], v[112:113] op_sel:[0,0,1] op_sel_hi:[1,1,0] neg_lo:[0,0,1] neg_hi:[0,0,1]
	v_pk_fma_f32 v[108:109], v[108:109], v[98:99], v[112:113] op_sel:[0,0,1] op_sel_hi:[1,0,0]
	v_mov_b32_e32 v115, v109
	v_pk_mul_f32 v[108:109], v[110:111], v[100:101] op_sel:[0,1]
	s_delay_alu instid0(VALU_DEP_1) | instskip(SKIP_1) | instid1(VALU_DEP_1)
	v_pk_fma_f32 v[112:113], v[110:111], v[98:99], v[108:109] op_sel:[0,0,1] op_sel_hi:[1,1,0] neg_lo:[0,0,1] neg_hi:[0,0,1]
	v_pk_fma_f32 v[108:109], v[110:111], v[98:99], v[108:109] op_sel:[0,0,1] op_sel_hi:[1,0,0]
	v_mov_b32_e32 v113, v109
	ds_load_2addr_b64 v[108:111], v102 offset0:35 offset1:36
	v_pk_add_f32 v[18:19], v[18:19], v[114:115] neg_lo:[0,1] neg_hi:[0,1]
	v_pk_add_f32 v[24:25], v[24:25], v[112:113] neg_lo:[0,1] neg_hi:[0,1]
	s_wait_dscnt 0x0
	v_dual_mul_f32 v112, v109, v101 :: v_dual_mul_f32 v114, v109, v98
	s_delay_alu instid0(VALU_DEP_1) | instskip(NEXT) | instid1(VALU_DEP_2)
	v_pk_fma_f32 v[112:113], v[108:109], v[26:27], v[112:113] op_sel_hi:[1,1,0] neg_lo:[0,0,1] neg_hi:[0,0,1]
	v_pk_fma_f32 v[108:109], v[108:109], v[26:27], v[114:115] op_sel:[1,0,0] op_sel_hi:[0,1,0]
	s_delay_alu instid0(VALU_DEP_1) | instskip(SKIP_1) | instid1(VALU_DEP_2)
	v_mov_b32_e32 v113, v109
	v_pk_mul_f32 v[108:109], v[110:111], v[100:101] op_sel:[0,1]
	v_pk_add_f32 v[16:17], v[16:17], v[112:113] neg_lo:[0,1] neg_hi:[0,1]
	s_delay_alu instid0(VALU_DEP_2) | instskip(SKIP_1) | instid1(VALU_DEP_1)
	v_pk_fma_f32 v[112:113], v[110:111], v[98:99], v[108:109] op_sel:[0,0,1] op_sel_hi:[1,1,0] neg_lo:[0,0,1] neg_hi:[0,0,1]
	v_pk_fma_f32 v[108:109], v[110:111], v[98:99], v[108:109] op_sel:[0,0,1] op_sel_hi:[1,0,0]
	v_mov_b32_e32 v113, v109
	ds_load_2addr_b64 v[108:111], v102 offset0:37 offset1:38
	v_pk_add_f32 v[70:71], v[70:71], v[112:113] neg_lo:[0,1] neg_hi:[0,1]
	s_wait_dscnt 0x0
	v_pk_mul_f32 v[112:113], v[108:109], v[100:101] op_sel:[0,1]
	s_delay_alu instid0(VALU_DEP_1) | instskip(SKIP_1) | instid1(VALU_DEP_1)
	v_pk_fma_f32 v[114:115], v[108:109], v[98:99], v[112:113] op_sel:[0,0,1] op_sel_hi:[1,1,0] neg_lo:[0,0,1] neg_hi:[0,0,1]
	v_pk_fma_f32 v[108:109], v[108:109], v[98:99], v[112:113] op_sel:[0,0,1] op_sel_hi:[1,0,0]
	v_mov_b32_e32 v115, v109
	v_pk_mul_f32 v[108:109], v[110:111], v[100:101] op_sel:[0,1]
	s_delay_alu instid0(VALU_DEP_2) | instskip(NEXT) | instid1(VALU_DEP_2)
	v_pk_add_f32 v[10:11], v[10:11], v[114:115] neg_lo:[0,1] neg_hi:[0,1]
	v_pk_fma_f32 v[112:113], v[110:111], v[98:99], v[108:109] op_sel:[0,0,1] op_sel_hi:[1,1,0] neg_lo:[0,0,1] neg_hi:[0,0,1]
	v_pk_fma_f32 v[108:109], v[110:111], v[98:99], v[108:109] op_sel:[0,0,1] op_sel_hi:[1,0,0]
	s_delay_alu instid0(VALU_DEP_1) | instskip(SKIP_4) | instid1(VALU_DEP_1)
	v_mov_b32_e32 v113, v109
	ds_load_2addr_b64 v[108:111], v102 offset0:39 offset1:40
	v_pk_add_f32 v[12:13], v[12:13], v[112:113] neg_lo:[0,1] neg_hi:[0,1]
	s_wait_dscnt 0x0
	v_pk_mul_f32 v[112:113], v[108:109], v[100:101] op_sel:[0,1]
	v_pk_fma_f32 v[114:115], v[108:109], v[98:99], v[112:113] op_sel:[0,0,1] op_sel_hi:[1,1,0] neg_lo:[0,0,1] neg_hi:[0,0,1]
	v_pk_fma_f32 v[108:109], v[108:109], v[98:99], v[112:113] op_sel:[0,0,1] op_sel_hi:[1,0,0]
	v_dual_mul_f32 v112, v111, v101 :: v_dual_mov_b32 v108, v111
	s_delay_alu instid0(VALU_DEP_2) | instskip(NEXT) | instid1(VALU_DEP_2)
	v_dual_mov_b32 v115, v109 :: v_dual_mov_b32 v109, v110
	v_pk_fma_f32 v[112:113], v[110:111], v[26:27], v[112:113] op_sel_hi:[1,1,0] neg_lo:[0,0,1] neg_hi:[0,0,1]
	v_mul_f32_e32 v110, v111, v98
	s_delay_alu instid0(VALU_DEP_3) | instskip(NEXT) | instid1(VALU_DEP_2)
	v_pk_add_f32 v[8:9], v[8:9], v[114:115] neg_lo:[0,1] neg_hi:[0,1]
	v_pk_fma_f32 v[108:109], v[108:109], v[26:27], v[110:111] op_sel_hi:[1,1,0]
	s_delay_alu instid0(VALU_DEP_1) | instskip(SKIP_4) | instid1(VALU_DEP_1)
	v_mov_b32_e32 v113, v109
	ds_load_2addr_b64 v[108:111], v102 offset0:41 offset1:42
	v_pk_add_f32 v[68:69], v[68:69], v[112:113] neg_lo:[0,1] neg_hi:[0,1]
	s_wait_dscnt 0x0
	v_pk_mul_f32 v[112:113], v[108:109], v[100:101] op_sel:[0,1]
	v_pk_fma_f32 v[114:115], v[108:109], v[98:99], v[112:113] op_sel:[0,0,1] op_sel_hi:[1,1,0] neg_lo:[0,0,1] neg_hi:[0,0,1]
	v_pk_fma_f32 v[108:109], v[108:109], v[98:99], v[112:113] op_sel:[0,0,1] op_sel_hi:[1,0,0]
	s_delay_alu instid0(VALU_DEP_1) | instskip(SKIP_1) | instid1(VALU_DEP_1)
	v_mov_b32_e32 v115, v109
	v_pk_mul_f32 v[108:109], v[110:111], v[100:101] op_sel:[0,1]
	v_pk_fma_f32 v[112:113], v[110:111], v[98:99], v[108:109] op_sel:[0,0,1] op_sel_hi:[1,1,0] neg_lo:[0,0,1] neg_hi:[0,0,1]
	v_pk_fma_f32 v[108:109], v[110:111], v[98:99], v[108:109] op_sel:[0,0,1] op_sel_hi:[1,0,0]
	s_delay_alu instid0(VALU_DEP_1)
	v_mov_b32_e32 v113, v109
	ds_load_2addr_b64 v[108:111], v102 offset0:43 offset1:44
	v_pk_add_f32 v[6:7], v[6:7], v[114:115] neg_lo:[0,1] neg_hi:[0,1]
	v_pk_add_f32 v[54:55], v[54:55], v[112:113] neg_lo:[0,1] neg_hi:[0,1]
	s_wait_dscnt 0x0
	v_pk_mul_f32 v[112:113], v[108:109], v[100:101] op_sel:[0,1]
	s_delay_alu instid0(VALU_DEP_1) | instskip(SKIP_1) | instid1(VALU_DEP_1)
	v_pk_fma_f32 v[114:115], v[108:109], v[98:99], v[112:113] op_sel:[0,0,1] op_sel_hi:[1,1,0] neg_lo:[0,0,1] neg_hi:[0,0,1]
	v_pk_fma_f32 v[108:109], v[108:109], v[98:99], v[112:113] op_sel:[0,0,1] op_sel_hi:[1,0,0]
	v_mov_b32_e32 v115, v109
	v_pk_mul_f32 v[108:109], v[110:111], v[100:101] op_sel:[0,1]
	s_delay_alu instid0(VALU_DEP_1) | instskip(SKIP_1) | instid1(VALU_DEP_1)
	v_pk_fma_f32 v[112:113], v[110:111], v[98:99], v[108:109] op_sel:[0,0,1] op_sel_hi:[1,1,0] neg_lo:[0,0,1] neg_hi:[0,0,1]
	v_pk_fma_f32 v[108:109], v[110:111], v[98:99], v[108:109] op_sel:[0,0,1] op_sel_hi:[1,0,0]
	v_mov_b32_e32 v113, v109
	ds_load_b64 v[108:109], v102 offset:360
	v_pk_add_f32 v[40:41], v[40:41], v[114:115] neg_lo:[0,1] neg_hi:[0,1]
	v_pk_add_f32 v[14:15], v[14:15], v[112:113] neg_lo:[0,1] neg_hi:[0,1]
	s_wait_dscnt 0x0
	v_pk_mul_f32 v[100:101], v[108:109], v[100:101] op_sel:[0,1]
	s_delay_alu instid0(VALU_DEP_1) | instskip(SKIP_1) | instid1(VALU_DEP_1)
	v_pk_fma_f32 v[110:111], v[108:109], v[98:99], v[100:101] op_sel:[0,0,1] op_sel_hi:[1,1,0] neg_lo:[0,0,1] neg_hi:[0,0,1]
	v_pk_fma_f32 v[98:99], v[108:109], v[98:99], v[100:101] op_sel:[0,0,1] op_sel_hi:[1,0,0]
	v_mov_b32_e32 v111, v99
	s_delay_alu instid0(VALU_DEP_1)
	v_pk_add_f32 v[96:97], v[96:97], v[110:111] neg_lo:[0,1] neg_hi:[0,1]
.LBB90_146:
	s_or_b32 exec_lo, exec_lo, s0
	v_lshl_add_u32 v98, v106, 3, v102
	s_barrier_signal -1
	s_barrier_wait -1
	ds_store_b64 v98, v[20:21]
	s_wait_dscnt 0x0
	s_barrier_signal -1
	s_barrier_wait -1
	ds_load_b64 v[100:101], v102 offset:56
	v_mov_b32_e32 v98, 7
	s_cmp_lt_i32 s18, 9
	s_cbranch_scc1 .LBB90_149
; %bb.147:
	v_add3_u32 v99, v103, 0, 64
	v_mov_b32_e32 v98, 7
	s_mov_b32 s0, 8
.LBB90_148:                             ; =>This Inner Loop Header: Depth=1
	ds_load_b64 v[108:109], v99
	s_wait_dscnt 0x1
	v_cmp_gt_f32_e32 vcc_lo, 0, v100
	v_cndmask_b32_e64 v110, v100, -v100, vcc_lo
	v_cmp_gt_f32_e32 vcc_lo, 0, v101
	v_cndmask_b32_e64 v112, v101, -v101, vcc_lo
	s_wait_dscnt 0x0
	v_cmp_gt_f32_e32 vcc_lo, 0, v108
	v_cndmask_b32_e64 v111, v108, -v108, vcc_lo
	v_cmp_gt_f32_e32 vcc_lo, 0, v109
	v_cndmask_b32_e64 v113, v109, -v109, vcc_lo
	s_delay_alu instid0(VALU_DEP_1) | instskip(NEXT) | instid1(VALU_DEP_1)
	v_pk_add_f32 v[110:111], v[110:111], v[112:113]
	v_cmp_lt_f32_e32 vcc_lo, v110, v111
	v_dual_add_nc_u32 v99, 8, v99 :: v_dual_cndmask_b32 v101, v101, v109, vcc_lo
	v_cndmask_b32_e32 v100, v100, v108, vcc_lo
	v_cndmask_b32_e64 v98, v98, s0, vcc_lo
	s_add_co_i32 s0, s0, 1
	s_delay_alu instid0(SALU_CYCLE_1)
	s_cmp_lg_u32 s18, s0
	s_cbranch_scc1 .LBB90_148
.LBB90_149:
	s_wait_dscnt 0x0
	v_cmp_eq_f32_e32 vcc_lo, 0, v100
	v_cmp_eq_f32_e64 s0, 0, v101
	s_and_b32 s0, vcc_lo, s0
	s_delay_alu instid0(SALU_CYCLE_1) | instskip(NEXT) | instid1(SALU_CYCLE_1)
	s_and_saveexec_b32 s1, s0
	s_xor_b32 s0, exec_lo, s1
; %bb.150:
	v_cmp_ne_u32_e32 vcc_lo, 0, v104
	v_cndmask_b32_e32 v104, 8, v104, vcc_lo
; %bb.151:
	s_and_not1_saveexec_b32 s0, s0
	s_cbranch_execz .LBB90_157
; %bb.152:
	v_cmp_ngt_f32_e64 s1, |v100|, |v101|
	s_and_saveexec_b32 s12, s1
	s_delay_alu instid0(SALU_CYCLE_1)
	s_xor_b32 s1, exec_lo, s12
	s_cbranch_execz .LBB90_154
; %bb.153:
	v_div_scale_f32 v99, null, v101, v101, v100
	v_div_scale_f32 v109, vcc_lo, v100, v101, v100
	s_delay_alu instid0(VALU_DEP_2) | instskip(SKIP_1) | instid1(TRANS32_DEP_1)
	v_rcp_f32_e32 v107, v99
	v_nop
	v_fma_f32 v108, -v99, v107, 1.0
	s_delay_alu instid0(VALU_DEP_1) | instskip(NEXT) | instid1(VALU_DEP_1)
	v_fmac_f32_e32 v107, v108, v107
	v_mul_f32_e32 v108, v109, v107
	s_delay_alu instid0(VALU_DEP_1) | instskip(NEXT) | instid1(VALU_DEP_1)
	v_fma_f32 v110, -v99, v108, v109
	v_fmac_f32_e32 v108, v110, v107
	s_delay_alu instid0(VALU_DEP_1) | instskip(NEXT) | instid1(VALU_DEP_1)
	v_fma_f32 v99, -v99, v108, v109
	v_div_fmas_f32 v99, v99, v107, v108
	s_delay_alu instid0(VALU_DEP_1) | instskip(NEXT) | instid1(VALU_DEP_1)
	v_div_fixup_f32 v99, v99, v101, v100
	v_fmac_f32_e32 v101, v100, v99
	s_delay_alu instid0(VALU_DEP_1) | instskip(SKIP_1) | instid1(VALU_DEP_2)
	v_div_scale_f32 v100, null, v101, v101, 1.0
	v_div_scale_f32 v109, vcc_lo, 1.0, v101, 1.0
	v_rcp_f32_e32 v107, v100
	v_nop
	s_delay_alu instid0(TRANS32_DEP_1) | instskip(NEXT) | instid1(VALU_DEP_1)
	v_fma_f32 v108, -v100, v107, 1.0
	v_fmac_f32_e32 v107, v108, v107
	s_delay_alu instid0(VALU_DEP_1) | instskip(NEXT) | instid1(VALU_DEP_1)
	v_mul_f32_e32 v108, v109, v107
	v_fma_f32 v110, -v100, v108, v109
	s_delay_alu instid0(VALU_DEP_1) | instskip(NEXT) | instid1(VALU_DEP_1)
	v_fmac_f32_e32 v108, v110, v107
	v_fma_f32 v100, -v100, v108, v109
	s_delay_alu instid0(VALU_DEP_1) | instskip(NEXT) | instid1(VALU_DEP_1)
	v_div_fmas_f32 v100, v100, v107, v108
	v_div_fixup_f32 v101, v100, v101, 1.0
	s_delay_alu instid0(VALU_DEP_1)
	v_mul_f32_e32 v100, v99, v101
	v_xor_b32_e32 v101, 0x80000000, v101
.LBB90_154:
	s_and_not1_saveexec_b32 s1, s1
	s_cbranch_execz .LBB90_156
; %bb.155:
	s_delay_alu instid0(VALU_DEP_1) | instskip(SKIP_1) | instid1(VALU_DEP_2)
	v_div_scale_f32 v99, null, v100, v100, v101
	v_div_scale_f32 v109, vcc_lo, v101, v100, v101
	v_rcp_f32_e32 v107, v99
	v_nop
	s_delay_alu instid0(TRANS32_DEP_1) | instskip(NEXT) | instid1(VALU_DEP_1)
	v_fma_f32 v108, -v99, v107, 1.0
	v_fmac_f32_e32 v107, v108, v107
	s_delay_alu instid0(VALU_DEP_1) | instskip(NEXT) | instid1(VALU_DEP_1)
	v_mul_f32_e32 v108, v109, v107
	v_fma_f32 v110, -v99, v108, v109
	s_delay_alu instid0(VALU_DEP_1) | instskip(NEXT) | instid1(VALU_DEP_1)
	v_fmac_f32_e32 v108, v110, v107
	v_fma_f32 v99, -v99, v108, v109
	s_delay_alu instid0(VALU_DEP_1) | instskip(NEXT) | instid1(VALU_DEP_1)
	v_div_fmas_f32 v99, v99, v107, v108
	v_div_fixup_f32 v99, v99, v100, v101
	s_delay_alu instid0(VALU_DEP_1) | instskip(NEXT) | instid1(VALU_DEP_1)
	v_fmac_f32_e32 v100, v101, v99
	v_div_scale_f32 v101, null, v100, v100, 1.0
	s_delay_alu instid0(VALU_DEP_1) | instskip(SKIP_1) | instid1(TRANS32_DEP_1)
	v_rcp_f32_e32 v107, v101
	v_nop
	v_fma_f32 v108, -v101, v107, 1.0
	s_delay_alu instid0(VALU_DEP_1) | instskip(SKIP_1) | instid1(VALU_DEP_1)
	v_fmac_f32_e32 v107, v108, v107
	v_div_scale_f32 v108, vcc_lo, 1.0, v100, 1.0
	v_mul_f32_e32 v109, v108, v107
	s_delay_alu instid0(VALU_DEP_1) | instskip(NEXT) | instid1(VALU_DEP_1)
	v_fma_f32 v110, -v101, v109, v108
	v_fmac_f32_e32 v109, v110, v107
	s_delay_alu instid0(VALU_DEP_1) | instskip(NEXT) | instid1(VALU_DEP_1)
	v_fma_f32 v101, -v101, v109, v108
	v_div_fmas_f32 v101, v101, v107, v109
	s_delay_alu instid0(VALU_DEP_1) | instskip(NEXT) | instid1(VALU_DEP_1)
	v_div_fixup_f32 v100, v101, v100, 1.0
	v_mul_f32_e64 v101, v99, -v100
.LBB90_156:
	s_or_b32 exec_lo, exec_lo, s1
.LBB90_157:
	s_delay_alu instid0(SALU_CYCLE_1) | instskip(NEXT) | instid1(SALU_CYCLE_1)
	s_or_b32 exec_lo, exec_lo, s0
	s_mov_b32 s0, exec_lo
	v_cmpx_ne_u32_e64 v106, v98
	s_xor_b32 s0, exec_lo, s0
	s_cbranch_execz .LBB90_163
; %bb.158:
	s_mov_b32 s1, exec_lo
	v_cmpx_eq_u32_e32 7, v106
	s_cbranch_execz .LBB90_162
; %bb.159:
	v_cmp_ne_u32_e32 vcc_lo, 7, v98
	s_xor_b32 s12, s16, -1
	s_delay_alu instid0(SALU_CYCLE_1) | instskip(NEXT) | instid1(SALU_CYCLE_1)
	s_and_b32 s13, s12, vcc_lo
	s_and_saveexec_b32 s12, s13
	s_cbranch_execz .LBB90_161
; %bb.160:
	v_ashrrev_i32_e32 v99, 31, v98
	s_delay_alu instid0(VALU_DEP_1)
	v_lshl_add_u64 v[106:107], v[98:99], 2, v[4:5]
	s_clause 0x1
	global_load_b32 v99, v[106:107], off
	global_load_b32 v105, v[4:5], off offset:28
	s_wait_loadcnt 0x1
	global_store_b32 v[4:5], v99, off offset:28
	s_wait_loadcnt 0x0
	global_store_b32 v[106:107], v105, off
.LBB90_161:
	s_wait_xcnt 0x0
	s_or_b32 exec_lo, exec_lo, s12
	v_dual_mov_b32 v106, v98 :: v_dual_mov_b32 v105, v98
.LBB90_162:
	s_or_b32 exec_lo, exec_lo, s1
.LBB90_163:
	s_and_not1_saveexec_b32 s0, s0
	s_cbranch_execz .LBB90_165
; %bb.164:
	v_dual_mov_b32 v98, v78 :: v_dual_mov_b32 v99, v79
	v_dual_mov_b32 v106, v34 :: v_dual_mov_b32 v107, v35
	;; [unrolled: 1-line block ×4, first 2 shown]
	ds_store_2addr_b64 v102, v[98:99], v[106:107] offset0:8 offset1:9
	ds_store_2addr_b64 v102, v[108:109], v[110:111] offset0:10 offset1:11
	v_dual_mov_b32 v98, v86 :: v_dual_mov_b32 v99, v87
	v_dual_mov_b32 v106, v64 :: v_dual_mov_b32 v107, v65
	;; [unrolled: 1-line block ×12, first 2 shown]
	ds_store_2addr_b64 v102, v[98:99], v[106:107] offset0:12 offset1:13
	ds_store_2addr_b64 v102, v[108:109], v[110:111] offset0:14 offset1:15
	;; [unrolled: 1-line block ×6, first 2 shown]
	v_dual_mov_b32 v98, v80 :: v_dual_mov_b32 v99, v81
	v_dual_mov_b32 v106, v44 :: v_dual_mov_b32 v107, v45
	;; [unrolled: 1-line block ×12, first 2 shown]
	ds_store_2addr_b64 v102, v[98:99], v[106:107] offset0:24 offset1:25
	ds_store_2addr_b64 v102, v[108:109], v[110:111] offset0:26 offset1:27
	;; [unrolled: 1-line block ×6, first 2 shown]
	v_dual_mov_b32 v98, v70 :: v_dual_mov_b32 v99, v71
	v_dual_mov_b32 v108, v10 :: v_dual_mov_b32 v109, v11
	;; [unrolled: 1-line block ×9, first 2 shown]
	v_mov_b32_e32 v123, v15
	ds_store_2addr_b64 v102, v[98:99], v[108:109] offset0:36 offset1:37
	ds_store_2addr_b64 v102, v[110:111], v[112:113] offset0:38 offset1:39
	;; [unrolled: 1-line block ×5, first 2 shown]
.LBB90_165:
	s_or_b32 exec_lo, exec_lo, s0
	s_delay_alu instid0(SALU_CYCLE_1)
	s_mov_b32 s0, exec_lo
	s_wait_storecnt_dscnt 0x0
	s_barrier_signal -1
	s_barrier_wait -1
	v_cmpx_lt_i32_e32 7, v106
	s_cbranch_execz .LBB90_167
; %bb.166:
	v_pk_mul_f32 v[108:109], v[100:101], v[20:21] op_sel:[1,1] op_sel_hi:[0,1]
	s_delay_alu instid0(VALU_DEP_1)
	v_pk_fma_f32 v[98:99], v[100:101], v[20:21], v[108:109] op_sel_hi:[1,0,1] neg_lo:[0,0,1] neg_hi:[0,0,1]
	v_pk_fma_f32 v[100:101], v[100:101], v[20:21], v[108:109] op_sel_hi:[1,0,1]
	ds_load_2addr_b64 v[108:111], v102 offset0:8 offset1:9
	v_dual_mov_b32 v20, v98 :: v_dual_mov_b32 v21, v101
	s_wait_dscnt 0x0
	v_pk_mul_f32 v[112:113], v[108:109], v[100:101] op_sel:[0,1]
	s_delay_alu instid0(VALU_DEP_1) | instskip(SKIP_1) | instid1(VALU_DEP_1)
	v_pk_fma_f32 v[114:115], v[108:109], v[98:99], v[112:113] op_sel:[0,0,1] op_sel_hi:[1,1,0] neg_lo:[0,0,1] neg_hi:[0,0,1]
	v_pk_fma_f32 v[108:109], v[108:109], v[98:99], v[112:113] op_sel:[0,0,1] op_sel_hi:[1,0,0]
	v_mov_b32_e32 v115, v109
	v_pk_mul_f32 v[108:109], v[110:111], v[100:101] op_sel:[0,1]
	s_delay_alu instid0(VALU_DEP_1) | instskip(SKIP_1) | instid1(VALU_DEP_1)
	v_pk_fma_f32 v[112:113], v[110:111], v[98:99], v[108:109] op_sel:[0,0,1] op_sel_hi:[1,1,0] neg_lo:[0,0,1] neg_hi:[0,0,1]
	v_pk_fma_f32 v[108:109], v[110:111], v[98:99], v[108:109] op_sel:[0,0,1] op_sel_hi:[1,0,0]
	v_mov_b32_e32 v113, v109
	ds_load_2addr_b64 v[108:111], v102 offset0:10 offset1:11
	v_pk_add_f32 v[78:79], v[78:79], v[114:115] neg_lo:[0,1] neg_hi:[0,1]
	v_pk_add_f32 v[34:35], v[34:35], v[112:113] neg_lo:[0,1] neg_hi:[0,1]
	s_wait_dscnt 0x0
	v_pk_mul_f32 v[112:113], v[108:109], v[100:101] op_sel:[0,1]
	s_delay_alu instid0(VALU_DEP_1) | instskip(SKIP_2) | instid1(VALU_DEP_2)
	v_pk_fma_f32 v[114:115], v[108:109], v[98:99], v[112:113] op_sel:[0,0,1] op_sel_hi:[1,1,0] neg_lo:[0,0,1] neg_hi:[0,0,1]
	v_pk_fma_f32 v[108:109], v[108:109], v[98:99], v[112:113] op_sel:[0,0,1] op_sel_hi:[1,0,0]
	v_dual_mul_f32 v112, v111, v101 :: v_dual_mov_b32 v108, v111
	v_dual_mov_b32 v115, v109 :: v_dual_mov_b32 v109, v110
	s_delay_alu instid0(VALU_DEP_2) | instskip(SKIP_1) | instid1(VALU_DEP_3)
	v_pk_fma_f32 v[112:113], v[110:111], v[20:21], v[112:113] op_sel_hi:[1,1,0] neg_lo:[0,0,1] neg_hi:[0,0,1]
	v_mul_f32_e32 v110, v111, v98
	v_pk_add_f32 v[38:39], v[38:39], v[114:115] neg_lo:[0,1] neg_hi:[0,1]
	s_delay_alu instid0(VALU_DEP_2) | instskip(NEXT) | instid1(VALU_DEP_1)
	v_pk_fma_f32 v[108:109], v[108:109], v[20:21], v[110:111] op_sel_hi:[1,1,0]
	v_mov_b32_e32 v113, v109
	ds_load_2addr_b64 v[108:111], v102 offset0:12 offset1:13
	v_pk_add_f32 v[32:33], v[32:33], v[112:113] neg_lo:[0,1] neg_hi:[0,1]
	s_wait_dscnt 0x0
	v_pk_mul_f32 v[112:113], v[108:109], v[100:101] op_sel:[0,1]
	s_delay_alu instid0(VALU_DEP_1) | instskip(SKIP_1) | instid1(VALU_DEP_1)
	v_pk_fma_f32 v[114:115], v[108:109], v[98:99], v[112:113] op_sel:[0,0,1] op_sel_hi:[1,1,0] neg_lo:[0,0,1] neg_hi:[0,0,1]
	v_pk_fma_f32 v[108:109], v[108:109], v[98:99], v[112:113] op_sel:[0,0,1] op_sel_hi:[1,0,0]
	v_mov_b32_e32 v115, v109
	v_pk_mul_f32 v[108:109], v[110:111], v[100:101] op_sel:[0,1]
	s_delay_alu instid0(VALU_DEP_1) | instskip(SKIP_1) | instid1(VALU_DEP_1)
	v_pk_fma_f32 v[112:113], v[110:111], v[98:99], v[108:109] op_sel:[0,0,1] op_sel_hi:[1,1,0] neg_lo:[0,0,1] neg_hi:[0,0,1]
	v_pk_fma_f32 v[108:109], v[110:111], v[98:99], v[108:109] op_sel:[0,0,1] op_sel_hi:[1,0,0]
	v_mov_b32_e32 v113, v109
	ds_load_2addr_b64 v[108:111], v102 offset0:14 offset1:15
	v_pk_add_f32 v[86:87], v[86:87], v[114:115] neg_lo:[0,1] neg_hi:[0,1]
	v_pk_add_f32 v[64:65], v[64:65], v[112:113] neg_lo:[0,1] neg_hi:[0,1]
	s_wait_dscnt 0x0
	v_pk_mul_f32 v[112:113], v[108:109], v[100:101] op_sel:[0,1]
	s_delay_alu instid0(VALU_DEP_1) | instskip(SKIP_1) | instid1(VALU_DEP_1)
	v_pk_fma_f32 v[114:115], v[108:109], v[98:99], v[112:113] op_sel:[0,0,1] op_sel_hi:[1,1,0] neg_lo:[0,0,1] neg_hi:[0,0,1]
	v_pk_fma_f32 v[108:109], v[108:109], v[98:99], v[112:113] op_sel:[0,0,1] op_sel_hi:[1,0,0]
	v_mov_b32_e32 v115, v109
	v_pk_mul_f32 v[108:109], v[110:111], v[100:101] op_sel:[0,1]
	s_delay_alu instid0(VALU_DEP_1) | instskip(SKIP_1) | instid1(VALU_DEP_1)
	v_pk_fma_f32 v[112:113], v[110:111], v[98:99], v[108:109] op_sel:[0,0,1] op_sel_hi:[1,1,0] neg_lo:[0,0,1] neg_hi:[0,0,1]
	v_pk_fma_f32 v[108:109], v[110:111], v[98:99], v[108:109] op_sel:[0,0,1] op_sel_hi:[1,0,0]
	v_mov_b32_e32 v113, v109
	ds_load_2addr_b64 v[108:111], v102 offset0:16 offset1:17
	v_pk_add_f32 v[66:67], v[66:67], v[114:115] neg_lo:[0,1] neg_hi:[0,1]
	v_pk_add_f32 v[62:63], v[62:63], v[112:113] neg_lo:[0,1] neg_hi:[0,1]
	s_wait_dscnt 0x0
	v_dual_mul_f32 v112, v109, v101 :: v_dual_mul_f32 v114, v109, v98
	s_delay_alu instid0(VALU_DEP_1) | instskip(NEXT) | instid1(VALU_DEP_2)
	v_pk_fma_f32 v[112:113], v[108:109], v[20:21], v[112:113] op_sel_hi:[1,1,0] neg_lo:[0,0,1] neg_hi:[0,0,1]
	v_pk_fma_f32 v[108:109], v[108:109], v[20:21], v[114:115] op_sel:[1,0,0] op_sel_hi:[0,1,0]
	s_delay_alu instid0(VALU_DEP_1) | instskip(SKIP_1) | instid1(VALU_DEP_2)
	v_mov_b32_e32 v113, v109
	v_pk_mul_f32 v[108:109], v[110:111], v[100:101] op_sel:[0,1]
	v_pk_add_f32 v[84:85], v[84:85], v[112:113] neg_lo:[0,1] neg_hi:[0,1]
	s_delay_alu instid0(VALU_DEP_2) | instskip(SKIP_1) | instid1(VALU_DEP_1)
	v_pk_fma_f32 v[112:113], v[110:111], v[98:99], v[108:109] op_sel:[0,0,1] op_sel_hi:[1,1,0] neg_lo:[0,0,1] neg_hi:[0,0,1]
	v_pk_fma_f32 v[108:109], v[110:111], v[98:99], v[108:109] op_sel:[0,0,1] op_sel_hi:[1,0,0]
	v_mov_b32_e32 v113, v109
	ds_load_2addr_b64 v[108:111], v102 offset0:18 offset1:19
	v_pk_add_f32 v[58:59], v[58:59], v[112:113] neg_lo:[0,1] neg_hi:[0,1]
	s_wait_dscnt 0x0
	v_pk_mul_f32 v[112:113], v[108:109], v[100:101] op_sel:[0,1]
	s_delay_alu instid0(VALU_DEP_1) | instskip(SKIP_1) | instid1(VALU_DEP_1)
	v_pk_fma_f32 v[114:115], v[108:109], v[98:99], v[112:113] op_sel:[0,0,1] op_sel_hi:[1,1,0] neg_lo:[0,0,1] neg_hi:[0,0,1]
	v_pk_fma_f32 v[108:109], v[108:109], v[98:99], v[112:113] op_sel:[0,0,1] op_sel_hi:[1,0,0]
	v_mov_b32_e32 v115, v109
	v_pk_mul_f32 v[108:109], v[110:111], v[100:101] op_sel:[0,1]
	s_delay_alu instid0(VALU_DEP_2) | instskip(NEXT) | instid1(VALU_DEP_2)
	v_pk_add_f32 v[60:61], v[60:61], v[114:115] neg_lo:[0,1] neg_hi:[0,1]
	v_pk_fma_f32 v[112:113], v[110:111], v[98:99], v[108:109] op_sel:[0,0,1] op_sel_hi:[1,1,0] neg_lo:[0,0,1] neg_hi:[0,0,1]
	v_pk_fma_f32 v[108:109], v[110:111], v[98:99], v[108:109] op_sel:[0,0,1] op_sel_hi:[1,0,0]
	s_delay_alu instid0(VALU_DEP_1) | instskip(SKIP_4) | instid1(VALU_DEP_1)
	v_mov_b32_e32 v113, v109
	ds_load_2addr_b64 v[108:111], v102 offset0:20 offset1:21
	v_pk_add_f32 v[56:57], v[56:57], v[112:113] neg_lo:[0,1] neg_hi:[0,1]
	s_wait_dscnt 0x0
	v_pk_mul_f32 v[112:113], v[108:109], v[100:101] op_sel:[0,1]
	v_pk_fma_f32 v[114:115], v[108:109], v[98:99], v[112:113] op_sel:[0,0,1] op_sel_hi:[1,1,0] neg_lo:[0,0,1] neg_hi:[0,0,1]
	v_pk_fma_f32 v[108:109], v[108:109], v[98:99], v[112:113] op_sel:[0,0,1] op_sel_hi:[1,0,0]
	v_dual_mul_f32 v112, v111, v101 :: v_dual_mov_b32 v108, v111
	s_delay_alu instid0(VALU_DEP_2) | instskip(NEXT) | instid1(VALU_DEP_2)
	v_dual_mov_b32 v115, v109 :: v_dual_mov_b32 v109, v110
	v_pk_fma_f32 v[112:113], v[110:111], v[20:21], v[112:113] op_sel_hi:[1,1,0] neg_lo:[0,0,1] neg_hi:[0,0,1]
	v_mul_f32_e32 v110, v111, v98
	s_delay_alu instid0(VALU_DEP_3) | instskip(NEXT) | instid1(VALU_DEP_2)
	v_pk_add_f32 v[82:83], v[82:83], v[114:115] neg_lo:[0,1] neg_hi:[0,1]
	v_pk_fma_f32 v[108:109], v[108:109], v[20:21], v[110:111] op_sel_hi:[1,1,0]
	s_delay_alu instid0(VALU_DEP_1) | instskip(SKIP_4) | instid1(VALU_DEP_1)
	v_mov_b32_e32 v113, v109
	ds_load_2addr_b64 v[108:111], v102 offset0:22 offset1:23
	v_pk_add_f32 v[50:51], v[50:51], v[112:113] neg_lo:[0,1] neg_hi:[0,1]
	s_wait_dscnt 0x0
	v_pk_mul_f32 v[112:113], v[108:109], v[100:101] op_sel:[0,1]
	v_pk_fma_f32 v[114:115], v[108:109], v[98:99], v[112:113] op_sel:[0,0,1] op_sel_hi:[1,1,0] neg_lo:[0,0,1] neg_hi:[0,0,1]
	v_pk_fma_f32 v[108:109], v[108:109], v[98:99], v[112:113] op_sel:[0,0,1] op_sel_hi:[1,0,0]
	s_delay_alu instid0(VALU_DEP_1) | instskip(SKIP_1) | instid1(VALU_DEP_1)
	v_mov_b32_e32 v115, v109
	v_pk_mul_f32 v[108:109], v[110:111], v[100:101] op_sel:[0,1]
	v_pk_fma_f32 v[112:113], v[110:111], v[98:99], v[108:109] op_sel:[0,0,1] op_sel_hi:[1,1,0] neg_lo:[0,0,1] neg_hi:[0,0,1]
	v_pk_fma_f32 v[108:109], v[110:111], v[98:99], v[108:109] op_sel:[0,0,1] op_sel_hi:[1,0,0]
	s_delay_alu instid0(VALU_DEP_1)
	v_mov_b32_e32 v113, v109
	ds_load_2addr_b64 v[108:111], v102 offset0:24 offset1:25
	v_pk_add_f32 v[52:53], v[52:53], v[114:115] neg_lo:[0,1] neg_hi:[0,1]
	v_pk_add_f32 v[48:49], v[48:49], v[112:113] neg_lo:[0,1] neg_hi:[0,1]
	s_wait_dscnt 0x0
	v_pk_mul_f32 v[112:113], v[108:109], v[100:101] op_sel:[0,1]
	s_delay_alu instid0(VALU_DEP_1) | instskip(SKIP_1) | instid1(VALU_DEP_1)
	v_pk_fma_f32 v[114:115], v[108:109], v[98:99], v[112:113] op_sel:[0,0,1] op_sel_hi:[1,1,0] neg_lo:[0,0,1] neg_hi:[0,0,1]
	v_pk_fma_f32 v[108:109], v[108:109], v[98:99], v[112:113] op_sel:[0,0,1] op_sel_hi:[1,0,0]
	v_mov_b32_e32 v115, v109
	v_pk_mul_f32 v[108:109], v[110:111], v[100:101] op_sel:[0,1]
	s_delay_alu instid0(VALU_DEP_1) | instskip(SKIP_1) | instid1(VALU_DEP_1)
	v_pk_fma_f32 v[112:113], v[110:111], v[98:99], v[108:109] op_sel:[0,0,1] op_sel_hi:[1,1,0] neg_lo:[0,0,1] neg_hi:[0,0,1]
	v_pk_fma_f32 v[108:109], v[110:111], v[98:99], v[108:109] op_sel:[0,0,1] op_sel_hi:[1,0,0]
	v_mov_b32_e32 v113, v109
	ds_load_2addr_b64 v[108:111], v102 offset0:26 offset1:27
	v_pk_add_f32 v[80:81], v[80:81], v[114:115] neg_lo:[0,1] neg_hi:[0,1]
	v_pk_add_f32 v[44:45], v[44:45], v[112:113] neg_lo:[0,1] neg_hi:[0,1]
	s_wait_dscnt 0x0
	v_dual_mul_f32 v112, v109, v101 :: v_dual_mul_f32 v114, v109, v98
	s_delay_alu instid0(VALU_DEP_1) | instskip(NEXT) | instid1(VALU_DEP_2)
	v_pk_fma_f32 v[112:113], v[108:109], v[20:21], v[112:113] op_sel_hi:[1,1,0] neg_lo:[0,0,1] neg_hi:[0,0,1]
	v_pk_fma_f32 v[108:109], v[108:109], v[20:21], v[114:115] op_sel:[1,0,0] op_sel_hi:[0,1,0]
	s_delay_alu instid0(VALU_DEP_1) | instskip(SKIP_1) | instid1(VALU_DEP_2)
	v_mov_b32_e32 v113, v109
	v_pk_mul_f32 v[108:109], v[110:111], v[100:101] op_sel:[0,1]
	v_pk_add_f32 v[46:47], v[46:47], v[112:113] neg_lo:[0,1] neg_hi:[0,1]
	s_delay_alu instid0(VALU_DEP_2) | instskip(SKIP_1) | instid1(VALU_DEP_1)
	v_pk_fma_f32 v[112:113], v[110:111], v[98:99], v[108:109] op_sel:[0,0,1] op_sel_hi:[1,1,0] neg_lo:[0,0,1] neg_hi:[0,0,1]
	v_pk_fma_f32 v[108:109], v[110:111], v[98:99], v[108:109] op_sel:[0,0,1] op_sel_hi:[1,0,0]
	v_mov_b32_e32 v113, v109
	ds_load_2addr_b64 v[108:111], v102 offset0:28 offset1:29
	v_pk_add_f32 v[42:43], v[42:43], v[112:113] neg_lo:[0,1] neg_hi:[0,1]
	s_wait_dscnt 0x0
	v_pk_mul_f32 v[112:113], v[108:109], v[100:101] op_sel:[0,1]
	s_delay_alu instid0(VALU_DEP_1) | instskip(SKIP_1) | instid1(VALU_DEP_1)
	v_pk_fma_f32 v[114:115], v[108:109], v[98:99], v[112:113] op_sel:[0,0,1] op_sel_hi:[1,1,0] neg_lo:[0,0,1] neg_hi:[0,0,1]
	v_pk_fma_f32 v[108:109], v[108:109], v[98:99], v[112:113] op_sel:[0,0,1] op_sel_hi:[1,0,0]
	v_mov_b32_e32 v115, v109
	v_pk_mul_f32 v[108:109], v[110:111], v[100:101] op_sel:[0,1]
	s_delay_alu instid0(VALU_DEP_2) | instskip(NEXT) | instid1(VALU_DEP_2)
	v_pk_add_f32 v[76:77], v[76:77], v[114:115] neg_lo:[0,1] neg_hi:[0,1]
	v_pk_fma_f32 v[112:113], v[110:111], v[98:99], v[108:109] op_sel:[0,0,1] op_sel_hi:[1,1,0] neg_lo:[0,0,1] neg_hi:[0,0,1]
	v_pk_fma_f32 v[108:109], v[110:111], v[98:99], v[108:109] op_sel:[0,0,1] op_sel_hi:[1,0,0]
	s_delay_alu instid0(VALU_DEP_1) | instskip(SKIP_4) | instid1(VALU_DEP_1)
	v_mov_b32_e32 v113, v109
	ds_load_2addr_b64 v[108:111], v102 offset0:30 offset1:31
	v_pk_add_f32 v[30:31], v[30:31], v[112:113] neg_lo:[0,1] neg_hi:[0,1]
	s_wait_dscnt 0x0
	v_pk_mul_f32 v[112:113], v[108:109], v[100:101] op_sel:[0,1]
	v_pk_fma_f32 v[114:115], v[108:109], v[98:99], v[112:113] op_sel:[0,0,1] op_sel_hi:[1,1,0] neg_lo:[0,0,1] neg_hi:[0,0,1]
	v_pk_fma_f32 v[108:109], v[108:109], v[98:99], v[112:113] op_sel:[0,0,1] op_sel_hi:[1,0,0]
	v_dual_mul_f32 v112, v111, v101 :: v_dual_mov_b32 v108, v111
	s_delay_alu instid0(VALU_DEP_2) | instskip(NEXT) | instid1(VALU_DEP_2)
	v_dual_mov_b32 v115, v109 :: v_dual_mov_b32 v109, v110
	v_pk_fma_f32 v[112:113], v[110:111], v[20:21], v[112:113] op_sel_hi:[1,1,0] neg_lo:[0,0,1] neg_hi:[0,0,1]
	v_mul_f32_e32 v110, v111, v98
	s_delay_alu instid0(VALU_DEP_3) | instskip(NEXT) | instid1(VALU_DEP_2)
	v_pk_add_f32 v[36:37], v[36:37], v[114:115] neg_lo:[0,1] neg_hi:[0,1]
	v_pk_fma_f32 v[108:109], v[108:109], v[20:21], v[110:111] op_sel_hi:[1,1,0]
	s_delay_alu instid0(VALU_DEP_1) | instskip(SKIP_4) | instid1(VALU_DEP_1)
	v_mov_b32_e32 v113, v109
	ds_load_2addr_b64 v[108:111], v102 offset0:32 offset1:33
	v_pk_add_f32 v[28:29], v[28:29], v[112:113] neg_lo:[0,1] neg_hi:[0,1]
	s_wait_dscnt 0x0
	v_pk_mul_f32 v[112:113], v[108:109], v[100:101] op_sel:[0,1]
	v_pk_fma_f32 v[114:115], v[108:109], v[98:99], v[112:113] op_sel:[0,0,1] op_sel_hi:[1,1,0] neg_lo:[0,0,1] neg_hi:[0,0,1]
	v_pk_fma_f32 v[108:109], v[108:109], v[98:99], v[112:113] op_sel:[0,0,1] op_sel_hi:[1,0,0]
	s_delay_alu instid0(VALU_DEP_1) | instskip(SKIP_1) | instid1(VALU_DEP_1)
	v_mov_b32_e32 v115, v109
	v_pk_mul_f32 v[108:109], v[110:111], v[100:101] op_sel:[0,1]
	v_pk_fma_f32 v[112:113], v[110:111], v[98:99], v[108:109] op_sel:[0,0,1] op_sel_hi:[1,1,0] neg_lo:[0,0,1] neg_hi:[0,0,1]
	v_pk_fma_f32 v[108:109], v[110:111], v[98:99], v[108:109] op_sel:[0,0,1] op_sel_hi:[1,0,0]
	s_delay_alu instid0(VALU_DEP_1)
	v_mov_b32_e32 v113, v109
	ds_load_2addr_b64 v[108:111], v102 offset0:34 offset1:35
	v_pk_add_f32 v[72:73], v[72:73], v[114:115] neg_lo:[0,1] neg_hi:[0,1]
	v_pk_add_f32 v[18:19], v[18:19], v[112:113] neg_lo:[0,1] neg_hi:[0,1]
	s_wait_dscnt 0x0
	v_pk_mul_f32 v[112:113], v[108:109], v[100:101] op_sel:[0,1]
	s_delay_alu instid0(VALU_DEP_1) | instskip(SKIP_1) | instid1(VALU_DEP_1)
	v_pk_fma_f32 v[114:115], v[108:109], v[98:99], v[112:113] op_sel:[0,0,1] op_sel_hi:[1,1,0] neg_lo:[0,0,1] neg_hi:[0,0,1]
	v_pk_fma_f32 v[108:109], v[108:109], v[98:99], v[112:113] op_sel:[0,0,1] op_sel_hi:[1,0,0]
	v_mov_b32_e32 v115, v109
	v_pk_mul_f32 v[108:109], v[110:111], v[100:101] op_sel:[0,1]
	s_delay_alu instid0(VALU_DEP_1) | instskip(SKIP_1) | instid1(VALU_DEP_1)
	v_pk_fma_f32 v[112:113], v[110:111], v[98:99], v[108:109] op_sel:[0,0,1] op_sel_hi:[1,1,0] neg_lo:[0,0,1] neg_hi:[0,0,1]
	v_pk_fma_f32 v[108:109], v[110:111], v[98:99], v[108:109] op_sel:[0,0,1] op_sel_hi:[1,0,0]
	v_mov_b32_e32 v113, v109
	ds_load_2addr_b64 v[108:111], v102 offset0:36 offset1:37
	v_pk_add_f32 v[24:25], v[24:25], v[114:115] neg_lo:[0,1] neg_hi:[0,1]
	v_pk_add_f32 v[16:17], v[16:17], v[112:113] neg_lo:[0,1] neg_hi:[0,1]
	s_wait_dscnt 0x0
	v_dual_mul_f32 v112, v109, v101 :: v_dual_mul_f32 v114, v109, v98
	s_delay_alu instid0(VALU_DEP_1) | instskip(NEXT) | instid1(VALU_DEP_2)
	v_pk_fma_f32 v[112:113], v[108:109], v[20:21], v[112:113] op_sel_hi:[1,1,0] neg_lo:[0,0,1] neg_hi:[0,0,1]
	v_pk_fma_f32 v[108:109], v[108:109], v[20:21], v[114:115] op_sel:[1,0,0] op_sel_hi:[0,1,0]
	s_delay_alu instid0(VALU_DEP_1) | instskip(SKIP_1) | instid1(VALU_DEP_2)
	v_mov_b32_e32 v113, v109
	v_pk_mul_f32 v[108:109], v[110:111], v[100:101] op_sel:[0,1]
	v_pk_add_f32 v[70:71], v[70:71], v[112:113] neg_lo:[0,1] neg_hi:[0,1]
	s_delay_alu instid0(VALU_DEP_2) | instskip(SKIP_1) | instid1(VALU_DEP_1)
	v_pk_fma_f32 v[112:113], v[110:111], v[98:99], v[108:109] op_sel:[0,0,1] op_sel_hi:[1,1,0] neg_lo:[0,0,1] neg_hi:[0,0,1]
	v_pk_fma_f32 v[108:109], v[110:111], v[98:99], v[108:109] op_sel:[0,0,1] op_sel_hi:[1,0,0]
	v_mov_b32_e32 v113, v109
	ds_load_2addr_b64 v[108:111], v102 offset0:38 offset1:39
	v_pk_add_f32 v[10:11], v[10:11], v[112:113] neg_lo:[0,1] neg_hi:[0,1]
	s_wait_dscnt 0x0
	v_pk_mul_f32 v[112:113], v[108:109], v[100:101] op_sel:[0,1]
	s_delay_alu instid0(VALU_DEP_1) | instskip(SKIP_1) | instid1(VALU_DEP_1)
	v_pk_fma_f32 v[114:115], v[108:109], v[98:99], v[112:113] op_sel:[0,0,1] op_sel_hi:[1,1,0] neg_lo:[0,0,1] neg_hi:[0,0,1]
	v_pk_fma_f32 v[108:109], v[108:109], v[98:99], v[112:113] op_sel:[0,0,1] op_sel_hi:[1,0,0]
	v_mov_b32_e32 v115, v109
	v_pk_mul_f32 v[108:109], v[110:111], v[100:101] op_sel:[0,1]
	s_delay_alu instid0(VALU_DEP_2) | instskip(NEXT) | instid1(VALU_DEP_2)
	v_pk_add_f32 v[12:13], v[12:13], v[114:115] neg_lo:[0,1] neg_hi:[0,1]
	v_pk_fma_f32 v[112:113], v[110:111], v[98:99], v[108:109] op_sel:[0,0,1] op_sel_hi:[1,1,0] neg_lo:[0,0,1] neg_hi:[0,0,1]
	v_pk_fma_f32 v[108:109], v[110:111], v[98:99], v[108:109] op_sel:[0,0,1] op_sel_hi:[1,0,0]
	s_delay_alu instid0(VALU_DEP_1) | instskip(SKIP_4) | instid1(VALU_DEP_1)
	v_mov_b32_e32 v113, v109
	ds_load_2addr_b64 v[108:111], v102 offset0:40 offset1:41
	v_pk_add_f32 v[8:9], v[8:9], v[112:113] neg_lo:[0,1] neg_hi:[0,1]
	s_wait_dscnt 0x0
	v_pk_mul_f32 v[112:113], v[108:109], v[100:101] op_sel:[0,1]
	v_pk_fma_f32 v[114:115], v[108:109], v[98:99], v[112:113] op_sel:[0,0,1] op_sel_hi:[1,1,0] neg_lo:[0,0,1] neg_hi:[0,0,1]
	v_pk_fma_f32 v[108:109], v[108:109], v[98:99], v[112:113] op_sel:[0,0,1] op_sel_hi:[1,0,0]
	v_dual_mul_f32 v112, v111, v101 :: v_dual_mov_b32 v108, v111
	s_delay_alu instid0(VALU_DEP_2) | instskip(NEXT) | instid1(VALU_DEP_2)
	v_dual_mov_b32 v115, v109 :: v_dual_mov_b32 v109, v110
	v_pk_fma_f32 v[112:113], v[110:111], v[20:21], v[112:113] op_sel_hi:[1,1,0] neg_lo:[0,0,1] neg_hi:[0,0,1]
	v_mul_f32_e32 v110, v111, v98
	s_delay_alu instid0(VALU_DEP_3) | instskip(NEXT) | instid1(VALU_DEP_2)
	v_pk_add_f32 v[68:69], v[68:69], v[114:115] neg_lo:[0,1] neg_hi:[0,1]
	v_pk_fma_f32 v[108:109], v[108:109], v[20:21], v[110:111] op_sel_hi:[1,1,0]
	s_delay_alu instid0(VALU_DEP_1) | instskip(SKIP_4) | instid1(VALU_DEP_1)
	v_mov_b32_e32 v113, v109
	ds_load_2addr_b64 v[108:111], v102 offset0:42 offset1:43
	v_pk_add_f32 v[6:7], v[6:7], v[112:113] neg_lo:[0,1] neg_hi:[0,1]
	s_wait_dscnt 0x0
	v_pk_mul_f32 v[112:113], v[108:109], v[100:101] op_sel:[0,1]
	v_pk_fma_f32 v[114:115], v[108:109], v[98:99], v[112:113] op_sel:[0,0,1] op_sel_hi:[1,1,0] neg_lo:[0,0,1] neg_hi:[0,0,1]
	v_pk_fma_f32 v[108:109], v[108:109], v[98:99], v[112:113] op_sel:[0,0,1] op_sel_hi:[1,0,0]
	s_delay_alu instid0(VALU_DEP_1) | instskip(SKIP_1) | instid1(VALU_DEP_1)
	v_mov_b32_e32 v115, v109
	v_pk_mul_f32 v[108:109], v[110:111], v[100:101] op_sel:[0,1]
	v_pk_fma_f32 v[112:113], v[110:111], v[98:99], v[108:109] op_sel:[0,0,1] op_sel_hi:[1,1,0] neg_lo:[0,0,1] neg_hi:[0,0,1]
	v_pk_fma_f32 v[108:109], v[110:111], v[98:99], v[108:109] op_sel:[0,0,1] op_sel_hi:[1,0,0]
	s_delay_alu instid0(VALU_DEP_1)
	v_mov_b32_e32 v113, v109
	ds_load_2addr_b64 v[108:111], v102 offset0:44 offset1:45
	v_pk_add_f32 v[54:55], v[54:55], v[114:115] neg_lo:[0,1] neg_hi:[0,1]
	v_pk_add_f32 v[40:41], v[40:41], v[112:113] neg_lo:[0,1] neg_hi:[0,1]
	s_wait_dscnt 0x0
	v_pk_mul_f32 v[112:113], v[108:109], v[100:101] op_sel:[0,1]
	v_pk_mul_f32 v[100:101], v[110:111], v[100:101] op_sel:[0,1]
	s_delay_alu instid0(VALU_DEP_2) | instskip(SKIP_1) | instid1(VALU_DEP_1)
	v_pk_fma_f32 v[114:115], v[108:109], v[98:99], v[112:113] op_sel:[0,0,1] op_sel_hi:[1,1,0] neg_lo:[0,0,1] neg_hi:[0,0,1]
	v_pk_fma_f32 v[108:109], v[108:109], v[98:99], v[112:113] op_sel:[0,0,1] op_sel_hi:[1,0,0]
	v_mov_b32_e32 v115, v109
	s_delay_alu instid0(VALU_DEP_4) | instskip(SKIP_1) | instid1(VALU_DEP_1)
	v_pk_fma_f32 v[108:109], v[110:111], v[98:99], v[100:101] op_sel:[0,0,1] op_sel_hi:[1,1,0] neg_lo:[0,0,1] neg_hi:[0,0,1]
	v_pk_fma_f32 v[98:99], v[110:111], v[98:99], v[100:101] op_sel:[0,0,1] op_sel_hi:[1,0,0]
	v_mov_b32_e32 v109, v99
	s_delay_alu instid0(VALU_DEP_4) | instskip(NEXT) | instid1(VALU_DEP_2)
	v_pk_add_f32 v[14:15], v[14:15], v[114:115] neg_lo:[0,1] neg_hi:[0,1]
	v_pk_add_f32 v[96:97], v[96:97], v[108:109] neg_lo:[0,1] neg_hi:[0,1]
.LBB90_167:
	s_or_b32 exec_lo, exec_lo, s0
	v_lshl_add_u32 v98, v106, 3, v102
	s_barrier_signal -1
	s_barrier_wait -1
	ds_store_b64 v98, v[78:79]
	s_wait_dscnt 0x0
	s_barrier_signal -1
	s_barrier_wait -1
	ds_load_b64 v[100:101], v102 offset:64
	v_mov_b32_e32 v98, 8
	s_cmp_lt_i32 s18, 10
	s_cbranch_scc1 .LBB90_170
; %bb.168:
	v_add3_u32 v99, v103, 0, 0x48
	v_mov_b32_e32 v98, 8
	s_mov_b32 s0, 9
.LBB90_169:                             ; =>This Inner Loop Header: Depth=1
	ds_load_b64 v[108:109], v99
	s_wait_dscnt 0x1
	v_cmp_gt_f32_e32 vcc_lo, 0, v100
	v_cndmask_b32_e64 v110, v100, -v100, vcc_lo
	v_cmp_gt_f32_e32 vcc_lo, 0, v101
	v_cndmask_b32_e64 v112, v101, -v101, vcc_lo
	s_wait_dscnt 0x0
	v_cmp_gt_f32_e32 vcc_lo, 0, v108
	v_cndmask_b32_e64 v111, v108, -v108, vcc_lo
	v_cmp_gt_f32_e32 vcc_lo, 0, v109
	v_cndmask_b32_e64 v113, v109, -v109, vcc_lo
	s_delay_alu instid0(VALU_DEP_1) | instskip(NEXT) | instid1(VALU_DEP_1)
	v_pk_add_f32 v[110:111], v[110:111], v[112:113]
	v_cmp_lt_f32_e32 vcc_lo, v110, v111
	v_dual_add_nc_u32 v99, 8, v99 :: v_dual_cndmask_b32 v101, v101, v109, vcc_lo
	v_cndmask_b32_e32 v100, v100, v108, vcc_lo
	v_cndmask_b32_e64 v98, v98, s0, vcc_lo
	s_add_co_i32 s0, s0, 1
	s_delay_alu instid0(SALU_CYCLE_1)
	s_cmp_lg_u32 s18, s0
	s_cbranch_scc1 .LBB90_169
.LBB90_170:
	s_wait_dscnt 0x0
	v_cmp_eq_f32_e32 vcc_lo, 0, v100
	v_cmp_eq_f32_e64 s0, 0, v101
	s_and_b32 s0, vcc_lo, s0
	s_delay_alu instid0(SALU_CYCLE_1) | instskip(NEXT) | instid1(SALU_CYCLE_1)
	s_and_saveexec_b32 s1, s0
	s_xor_b32 s0, exec_lo, s1
; %bb.171:
	v_cmp_ne_u32_e32 vcc_lo, 0, v104
	v_cndmask_b32_e32 v104, 9, v104, vcc_lo
; %bb.172:
	s_and_not1_saveexec_b32 s0, s0
	s_cbranch_execz .LBB90_178
; %bb.173:
	v_cmp_ngt_f32_e64 s1, |v100|, |v101|
	s_and_saveexec_b32 s12, s1
	s_delay_alu instid0(SALU_CYCLE_1)
	s_xor_b32 s1, exec_lo, s12
	s_cbranch_execz .LBB90_175
; %bb.174:
	v_div_scale_f32 v99, null, v101, v101, v100
	v_div_scale_f32 v109, vcc_lo, v100, v101, v100
	s_delay_alu instid0(VALU_DEP_2) | instskip(SKIP_1) | instid1(TRANS32_DEP_1)
	v_rcp_f32_e32 v107, v99
	v_nop
	v_fma_f32 v108, -v99, v107, 1.0
	s_delay_alu instid0(VALU_DEP_1) | instskip(NEXT) | instid1(VALU_DEP_1)
	v_fmac_f32_e32 v107, v108, v107
	v_mul_f32_e32 v108, v109, v107
	s_delay_alu instid0(VALU_DEP_1) | instskip(NEXT) | instid1(VALU_DEP_1)
	v_fma_f32 v110, -v99, v108, v109
	v_fmac_f32_e32 v108, v110, v107
	s_delay_alu instid0(VALU_DEP_1) | instskip(NEXT) | instid1(VALU_DEP_1)
	v_fma_f32 v99, -v99, v108, v109
	v_div_fmas_f32 v99, v99, v107, v108
	s_delay_alu instid0(VALU_DEP_1) | instskip(NEXT) | instid1(VALU_DEP_1)
	v_div_fixup_f32 v99, v99, v101, v100
	v_fmac_f32_e32 v101, v100, v99
	s_delay_alu instid0(VALU_DEP_1) | instskip(SKIP_1) | instid1(VALU_DEP_2)
	v_div_scale_f32 v100, null, v101, v101, 1.0
	v_div_scale_f32 v109, vcc_lo, 1.0, v101, 1.0
	v_rcp_f32_e32 v107, v100
	v_nop
	s_delay_alu instid0(TRANS32_DEP_1) | instskip(NEXT) | instid1(VALU_DEP_1)
	v_fma_f32 v108, -v100, v107, 1.0
	v_fmac_f32_e32 v107, v108, v107
	s_delay_alu instid0(VALU_DEP_1) | instskip(NEXT) | instid1(VALU_DEP_1)
	v_mul_f32_e32 v108, v109, v107
	v_fma_f32 v110, -v100, v108, v109
	s_delay_alu instid0(VALU_DEP_1) | instskip(NEXT) | instid1(VALU_DEP_1)
	v_fmac_f32_e32 v108, v110, v107
	v_fma_f32 v100, -v100, v108, v109
	s_delay_alu instid0(VALU_DEP_1) | instskip(NEXT) | instid1(VALU_DEP_1)
	v_div_fmas_f32 v100, v100, v107, v108
	v_div_fixup_f32 v101, v100, v101, 1.0
	s_delay_alu instid0(VALU_DEP_1)
	v_mul_f32_e32 v100, v99, v101
	v_xor_b32_e32 v101, 0x80000000, v101
.LBB90_175:
	s_and_not1_saveexec_b32 s1, s1
	s_cbranch_execz .LBB90_177
; %bb.176:
	s_delay_alu instid0(VALU_DEP_1) | instskip(SKIP_1) | instid1(VALU_DEP_2)
	v_div_scale_f32 v99, null, v100, v100, v101
	v_div_scale_f32 v109, vcc_lo, v101, v100, v101
	v_rcp_f32_e32 v107, v99
	v_nop
	s_delay_alu instid0(TRANS32_DEP_1) | instskip(NEXT) | instid1(VALU_DEP_1)
	v_fma_f32 v108, -v99, v107, 1.0
	v_fmac_f32_e32 v107, v108, v107
	s_delay_alu instid0(VALU_DEP_1) | instskip(NEXT) | instid1(VALU_DEP_1)
	v_mul_f32_e32 v108, v109, v107
	v_fma_f32 v110, -v99, v108, v109
	s_delay_alu instid0(VALU_DEP_1) | instskip(NEXT) | instid1(VALU_DEP_1)
	v_fmac_f32_e32 v108, v110, v107
	v_fma_f32 v99, -v99, v108, v109
	s_delay_alu instid0(VALU_DEP_1) | instskip(NEXT) | instid1(VALU_DEP_1)
	v_div_fmas_f32 v99, v99, v107, v108
	v_div_fixup_f32 v99, v99, v100, v101
	s_delay_alu instid0(VALU_DEP_1) | instskip(NEXT) | instid1(VALU_DEP_1)
	v_fmac_f32_e32 v100, v101, v99
	v_div_scale_f32 v101, null, v100, v100, 1.0
	s_delay_alu instid0(VALU_DEP_1) | instskip(SKIP_1) | instid1(TRANS32_DEP_1)
	v_rcp_f32_e32 v107, v101
	v_nop
	v_fma_f32 v108, -v101, v107, 1.0
	s_delay_alu instid0(VALU_DEP_1) | instskip(SKIP_1) | instid1(VALU_DEP_1)
	v_fmac_f32_e32 v107, v108, v107
	v_div_scale_f32 v108, vcc_lo, 1.0, v100, 1.0
	v_mul_f32_e32 v109, v108, v107
	s_delay_alu instid0(VALU_DEP_1) | instskip(NEXT) | instid1(VALU_DEP_1)
	v_fma_f32 v110, -v101, v109, v108
	v_fmac_f32_e32 v109, v110, v107
	s_delay_alu instid0(VALU_DEP_1) | instskip(NEXT) | instid1(VALU_DEP_1)
	v_fma_f32 v101, -v101, v109, v108
	v_div_fmas_f32 v101, v101, v107, v109
	s_delay_alu instid0(VALU_DEP_1) | instskip(NEXT) | instid1(VALU_DEP_1)
	v_div_fixup_f32 v100, v101, v100, 1.0
	v_mul_f32_e64 v101, v99, -v100
.LBB90_177:
	s_or_b32 exec_lo, exec_lo, s1
.LBB90_178:
	s_delay_alu instid0(SALU_CYCLE_1) | instskip(NEXT) | instid1(SALU_CYCLE_1)
	s_or_b32 exec_lo, exec_lo, s0
	s_mov_b32 s0, exec_lo
	v_cmpx_ne_u32_e64 v106, v98
	s_xor_b32 s0, exec_lo, s0
	s_cbranch_execz .LBB90_184
; %bb.179:
	s_mov_b32 s1, exec_lo
	v_cmpx_eq_u32_e32 8, v106
	s_cbranch_execz .LBB90_183
; %bb.180:
	v_cmp_ne_u32_e32 vcc_lo, 8, v98
	s_xor_b32 s12, s16, -1
	s_delay_alu instid0(SALU_CYCLE_1) | instskip(NEXT) | instid1(SALU_CYCLE_1)
	s_and_b32 s13, s12, vcc_lo
	s_and_saveexec_b32 s12, s13
	s_cbranch_execz .LBB90_182
; %bb.181:
	v_ashrrev_i32_e32 v99, 31, v98
	s_delay_alu instid0(VALU_DEP_1)
	v_lshl_add_u64 v[106:107], v[98:99], 2, v[4:5]
	s_clause 0x1
	global_load_b32 v99, v[106:107], off
	global_load_b32 v105, v[4:5], off offset:32
	s_wait_loadcnt 0x1
	global_store_b32 v[4:5], v99, off offset:32
	s_wait_loadcnt 0x0
	global_store_b32 v[106:107], v105, off
.LBB90_182:
	s_wait_xcnt 0x0
	s_or_b32 exec_lo, exec_lo, s12
	v_dual_mov_b32 v106, v98 :: v_dual_mov_b32 v105, v98
.LBB90_183:
	s_or_b32 exec_lo, exec_lo, s1
.LBB90_184:
	s_and_not1_saveexec_b32 s0, s0
	s_cbranch_execz .LBB90_186
; %bb.185:
	v_mov_b32_e32 v106, 8
	ds_store_2addr_b64 v102, v[34:35], v[38:39] offset0:9 offset1:10
	ds_store_2addr_b64 v102, v[32:33], v[86:87] offset0:11 offset1:12
	;; [unrolled: 1-line block ×18, first 2 shown]
	ds_store_b64 v102, v[96:97] offset:360
.LBB90_186:
	s_or_b32 exec_lo, exec_lo, s0
	s_delay_alu instid0(SALU_CYCLE_1)
	s_mov_b32 s0, exec_lo
	s_wait_storecnt_dscnt 0x0
	s_barrier_signal -1
	s_barrier_wait -1
	v_cmpx_lt_i32_e32 8, v106
	s_cbranch_execz .LBB90_188
; %bb.187:
	v_pk_mul_f32 v[108:109], v[100:101], v[78:79] op_sel:[1,1] op_sel_hi:[0,1]
	s_delay_alu instid0(VALU_DEP_1)
	v_pk_fma_f32 v[98:99], v[100:101], v[78:79], v[108:109] op_sel_hi:[1,0,1] neg_lo:[0,0,1] neg_hi:[0,0,1]
	v_pk_fma_f32 v[100:101], v[100:101], v[78:79], v[108:109] op_sel_hi:[1,0,1]
	ds_load_2addr_b64 v[108:111], v102 offset0:9 offset1:10
	v_dual_mov_b32 v78, v98 :: v_dual_mov_b32 v79, v101
	s_wait_dscnt 0x0
	v_pk_mul_f32 v[112:113], v[108:109], v[100:101] op_sel:[0,1]
	s_delay_alu instid0(VALU_DEP_1) | instskip(SKIP_1) | instid1(VALU_DEP_1)
	v_pk_fma_f32 v[114:115], v[108:109], v[98:99], v[112:113] op_sel:[0,0,1] op_sel_hi:[1,1,0] neg_lo:[0,0,1] neg_hi:[0,0,1]
	v_pk_fma_f32 v[108:109], v[108:109], v[98:99], v[112:113] op_sel:[0,0,1] op_sel_hi:[1,0,0]
	v_mov_b32_e32 v115, v109
	v_pk_mul_f32 v[108:109], v[110:111], v[100:101] op_sel:[0,1]
	s_delay_alu instid0(VALU_DEP_1) | instskip(SKIP_1) | instid1(VALU_DEP_1)
	v_pk_fma_f32 v[112:113], v[110:111], v[98:99], v[108:109] op_sel:[0,0,1] op_sel_hi:[1,1,0] neg_lo:[0,0,1] neg_hi:[0,0,1]
	v_pk_fma_f32 v[108:109], v[110:111], v[98:99], v[108:109] op_sel:[0,0,1] op_sel_hi:[1,0,0]
	v_mov_b32_e32 v113, v109
	ds_load_2addr_b64 v[108:111], v102 offset0:11 offset1:12
	v_pk_add_f32 v[34:35], v[34:35], v[114:115] neg_lo:[0,1] neg_hi:[0,1]
	v_pk_add_f32 v[38:39], v[38:39], v[112:113] neg_lo:[0,1] neg_hi:[0,1]
	s_wait_dscnt 0x0
	v_pk_mul_f32 v[112:113], v[108:109], v[100:101] op_sel:[0,1]
	s_delay_alu instid0(VALU_DEP_1) | instskip(SKIP_2) | instid1(VALU_DEP_2)
	v_pk_fma_f32 v[114:115], v[108:109], v[98:99], v[112:113] op_sel:[0,0,1] op_sel_hi:[1,1,0] neg_lo:[0,0,1] neg_hi:[0,0,1]
	v_pk_fma_f32 v[108:109], v[108:109], v[98:99], v[112:113] op_sel:[0,0,1] op_sel_hi:[1,0,0]
	v_dual_mul_f32 v112, v111, v101 :: v_dual_mov_b32 v108, v111
	v_dual_mov_b32 v115, v109 :: v_dual_mov_b32 v109, v110
	s_delay_alu instid0(VALU_DEP_2) | instskip(SKIP_1) | instid1(VALU_DEP_3)
	v_pk_fma_f32 v[112:113], v[110:111], v[78:79], v[112:113] op_sel_hi:[1,1,0] neg_lo:[0,0,1] neg_hi:[0,0,1]
	v_mul_f32_e32 v110, v111, v98
	v_pk_add_f32 v[32:33], v[32:33], v[114:115] neg_lo:[0,1] neg_hi:[0,1]
	s_delay_alu instid0(VALU_DEP_2) | instskip(NEXT) | instid1(VALU_DEP_1)
	v_pk_fma_f32 v[108:109], v[108:109], v[78:79], v[110:111] op_sel_hi:[1,1,0]
	v_mov_b32_e32 v113, v109
	ds_load_2addr_b64 v[108:111], v102 offset0:13 offset1:14
	v_pk_add_f32 v[86:87], v[86:87], v[112:113] neg_lo:[0,1] neg_hi:[0,1]
	s_wait_dscnt 0x0
	v_pk_mul_f32 v[112:113], v[108:109], v[100:101] op_sel:[0,1]
	s_delay_alu instid0(VALU_DEP_1) | instskip(SKIP_1) | instid1(VALU_DEP_1)
	v_pk_fma_f32 v[114:115], v[108:109], v[98:99], v[112:113] op_sel:[0,0,1] op_sel_hi:[1,1,0] neg_lo:[0,0,1] neg_hi:[0,0,1]
	v_pk_fma_f32 v[108:109], v[108:109], v[98:99], v[112:113] op_sel:[0,0,1] op_sel_hi:[1,0,0]
	v_mov_b32_e32 v115, v109
	v_pk_mul_f32 v[108:109], v[110:111], v[100:101] op_sel:[0,1]
	s_delay_alu instid0(VALU_DEP_1) | instskip(SKIP_1) | instid1(VALU_DEP_1)
	v_pk_fma_f32 v[112:113], v[110:111], v[98:99], v[108:109] op_sel:[0,0,1] op_sel_hi:[1,1,0] neg_lo:[0,0,1] neg_hi:[0,0,1]
	v_pk_fma_f32 v[108:109], v[110:111], v[98:99], v[108:109] op_sel:[0,0,1] op_sel_hi:[1,0,0]
	v_mov_b32_e32 v113, v109
	ds_load_2addr_b64 v[108:111], v102 offset0:15 offset1:16
	v_pk_add_f32 v[64:65], v[64:65], v[114:115] neg_lo:[0,1] neg_hi:[0,1]
	v_pk_add_f32 v[66:67], v[66:67], v[112:113] neg_lo:[0,1] neg_hi:[0,1]
	s_wait_dscnt 0x0
	v_pk_mul_f32 v[112:113], v[108:109], v[100:101] op_sel:[0,1]
	s_delay_alu instid0(VALU_DEP_1) | instskip(SKIP_1) | instid1(VALU_DEP_1)
	v_pk_fma_f32 v[114:115], v[108:109], v[98:99], v[112:113] op_sel:[0,0,1] op_sel_hi:[1,1,0] neg_lo:[0,0,1] neg_hi:[0,0,1]
	v_pk_fma_f32 v[108:109], v[108:109], v[98:99], v[112:113] op_sel:[0,0,1] op_sel_hi:[1,0,0]
	v_mov_b32_e32 v115, v109
	v_pk_mul_f32 v[108:109], v[110:111], v[100:101] op_sel:[0,1]
	s_delay_alu instid0(VALU_DEP_1) | instskip(SKIP_1) | instid1(VALU_DEP_1)
	v_pk_fma_f32 v[112:113], v[110:111], v[98:99], v[108:109] op_sel:[0,0,1] op_sel_hi:[1,1,0] neg_lo:[0,0,1] neg_hi:[0,0,1]
	v_pk_fma_f32 v[108:109], v[110:111], v[98:99], v[108:109] op_sel:[0,0,1] op_sel_hi:[1,0,0]
	v_mov_b32_e32 v113, v109
	ds_load_2addr_b64 v[108:111], v102 offset0:17 offset1:18
	v_pk_add_f32 v[62:63], v[62:63], v[114:115] neg_lo:[0,1] neg_hi:[0,1]
	v_pk_add_f32 v[84:85], v[84:85], v[112:113] neg_lo:[0,1] neg_hi:[0,1]
	s_wait_dscnt 0x0
	v_dual_mul_f32 v112, v109, v101 :: v_dual_mul_f32 v114, v109, v98
	s_delay_alu instid0(VALU_DEP_1) | instskip(NEXT) | instid1(VALU_DEP_2)
	v_pk_fma_f32 v[112:113], v[108:109], v[78:79], v[112:113] op_sel_hi:[1,1,0] neg_lo:[0,0,1] neg_hi:[0,0,1]
	v_pk_fma_f32 v[108:109], v[108:109], v[78:79], v[114:115] op_sel:[1,0,0] op_sel_hi:[0,1,0]
	s_delay_alu instid0(VALU_DEP_1) | instskip(SKIP_1) | instid1(VALU_DEP_2)
	v_mov_b32_e32 v113, v109
	v_pk_mul_f32 v[108:109], v[110:111], v[100:101] op_sel:[0,1]
	v_pk_add_f32 v[58:59], v[58:59], v[112:113] neg_lo:[0,1] neg_hi:[0,1]
	s_delay_alu instid0(VALU_DEP_2) | instskip(SKIP_1) | instid1(VALU_DEP_1)
	v_pk_fma_f32 v[112:113], v[110:111], v[98:99], v[108:109] op_sel:[0,0,1] op_sel_hi:[1,1,0] neg_lo:[0,0,1] neg_hi:[0,0,1]
	v_pk_fma_f32 v[108:109], v[110:111], v[98:99], v[108:109] op_sel:[0,0,1] op_sel_hi:[1,0,0]
	v_mov_b32_e32 v113, v109
	ds_load_2addr_b64 v[108:111], v102 offset0:19 offset1:20
	v_pk_add_f32 v[60:61], v[60:61], v[112:113] neg_lo:[0,1] neg_hi:[0,1]
	s_wait_dscnt 0x0
	v_pk_mul_f32 v[112:113], v[108:109], v[100:101] op_sel:[0,1]
	s_delay_alu instid0(VALU_DEP_1) | instskip(SKIP_1) | instid1(VALU_DEP_1)
	v_pk_fma_f32 v[114:115], v[108:109], v[98:99], v[112:113] op_sel:[0,0,1] op_sel_hi:[1,1,0] neg_lo:[0,0,1] neg_hi:[0,0,1]
	v_pk_fma_f32 v[108:109], v[108:109], v[98:99], v[112:113] op_sel:[0,0,1] op_sel_hi:[1,0,0]
	v_mov_b32_e32 v115, v109
	v_pk_mul_f32 v[108:109], v[110:111], v[100:101] op_sel:[0,1]
	s_delay_alu instid0(VALU_DEP_2) | instskip(NEXT) | instid1(VALU_DEP_2)
	v_pk_add_f32 v[56:57], v[56:57], v[114:115] neg_lo:[0,1] neg_hi:[0,1]
	v_pk_fma_f32 v[112:113], v[110:111], v[98:99], v[108:109] op_sel:[0,0,1] op_sel_hi:[1,1,0] neg_lo:[0,0,1] neg_hi:[0,0,1]
	v_pk_fma_f32 v[108:109], v[110:111], v[98:99], v[108:109] op_sel:[0,0,1] op_sel_hi:[1,0,0]
	s_delay_alu instid0(VALU_DEP_1) | instskip(SKIP_4) | instid1(VALU_DEP_1)
	v_mov_b32_e32 v113, v109
	ds_load_2addr_b64 v[108:111], v102 offset0:21 offset1:22
	v_pk_add_f32 v[82:83], v[82:83], v[112:113] neg_lo:[0,1] neg_hi:[0,1]
	s_wait_dscnt 0x0
	v_pk_mul_f32 v[112:113], v[108:109], v[100:101] op_sel:[0,1]
	v_pk_fma_f32 v[114:115], v[108:109], v[98:99], v[112:113] op_sel:[0,0,1] op_sel_hi:[1,1,0] neg_lo:[0,0,1] neg_hi:[0,0,1]
	v_pk_fma_f32 v[108:109], v[108:109], v[98:99], v[112:113] op_sel:[0,0,1] op_sel_hi:[1,0,0]
	v_dual_mul_f32 v112, v111, v101 :: v_dual_mov_b32 v108, v111
	s_delay_alu instid0(VALU_DEP_2) | instskip(NEXT) | instid1(VALU_DEP_2)
	v_dual_mov_b32 v115, v109 :: v_dual_mov_b32 v109, v110
	v_pk_fma_f32 v[112:113], v[110:111], v[78:79], v[112:113] op_sel_hi:[1,1,0] neg_lo:[0,0,1] neg_hi:[0,0,1]
	v_mul_f32_e32 v110, v111, v98
	s_delay_alu instid0(VALU_DEP_3) | instskip(NEXT) | instid1(VALU_DEP_2)
	v_pk_add_f32 v[50:51], v[50:51], v[114:115] neg_lo:[0,1] neg_hi:[0,1]
	v_pk_fma_f32 v[108:109], v[108:109], v[78:79], v[110:111] op_sel_hi:[1,1,0]
	s_delay_alu instid0(VALU_DEP_1) | instskip(SKIP_4) | instid1(VALU_DEP_1)
	v_mov_b32_e32 v113, v109
	ds_load_2addr_b64 v[108:111], v102 offset0:23 offset1:24
	v_pk_add_f32 v[52:53], v[52:53], v[112:113] neg_lo:[0,1] neg_hi:[0,1]
	s_wait_dscnt 0x0
	v_pk_mul_f32 v[112:113], v[108:109], v[100:101] op_sel:[0,1]
	v_pk_fma_f32 v[114:115], v[108:109], v[98:99], v[112:113] op_sel:[0,0,1] op_sel_hi:[1,1,0] neg_lo:[0,0,1] neg_hi:[0,0,1]
	v_pk_fma_f32 v[108:109], v[108:109], v[98:99], v[112:113] op_sel:[0,0,1] op_sel_hi:[1,0,0]
	s_delay_alu instid0(VALU_DEP_1) | instskip(SKIP_1) | instid1(VALU_DEP_1)
	v_mov_b32_e32 v115, v109
	v_pk_mul_f32 v[108:109], v[110:111], v[100:101] op_sel:[0,1]
	v_pk_fma_f32 v[112:113], v[110:111], v[98:99], v[108:109] op_sel:[0,0,1] op_sel_hi:[1,1,0] neg_lo:[0,0,1] neg_hi:[0,0,1]
	v_pk_fma_f32 v[108:109], v[110:111], v[98:99], v[108:109] op_sel:[0,0,1] op_sel_hi:[1,0,0]
	s_delay_alu instid0(VALU_DEP_1)
	v_mov_b32_e32 v113, v109
	ds_load_2addr_b64 v[108:111], v102 offset0:25 offset1:26
	v_pk_add_f32 v[48:49], v[48:49], v[114:115] neg_lo:[0,1] neg_hi:[0,1]
	v_pk_add_f32 v[80:81], v[80:81], v[112:113] neg_lo:[0,1] neg_hi:[0,1]
	s_wait_dscnt 0x0
	v_pk_mul_f32 v[112:113], v[108:109], v[100:101] op_sel:[0,1]
	s_delay_alu instid0(VALU_DEP_1) | instskip(SKIP_1) | instid1(VALU_DEP_1)
	v_pk_fma_f32 v[114:115], v[108:109], v[98:99], v[112:113] op_sel:[0,0,1] op_sel_hi:[1,1,0] neg_lo:[0,0,1] neg_hi:[0,0,1]
	v_pk_fma_f32 v[108:109], v[108:109], v[98:99], v[112:113] op_sel:[0,0,1] op_sel_hi:[1,0,0]
	v_mov_b32_e32 v115, v109
	v_pk_mul_f32 v[108:109], v[110:111], v[100:101] op_sel:[0,1]
	s_delay_alu instid0(VALU_DEP_1) | instskip(SKIP_1) | instid1(VALU_DEP_1)
	v_pk_fma_f32 v[112:113], v[110:111], v[98:99], v[108:109] op_sel:[0,0,1] op_sel_hi:[1,1,0] neg_lo:[0,0,1] neg_hi:[0,0,1]
	v_pk_fma_f32 v[108:109], v[110:111], v[98:99], v[108:109] op_sel:[0,0,1] op_sel_hi:[1,0,0]
	v_mov_b32_e32 v113, v109
	ds_load_2addr_b64 v[108:111], v102 offset0:27 offset1:28
	v_pk_add_f32 v[44:45], v[44:45], v[114:115] neg_lo:[0,1] neg_hi:[0,1]
	v_pk_add_f32 v[46:47], v[46:47], v[112:113] neg_lo:[0,1] neg_hi:[0,1]
	s_wait_dscnt 0x0
	v_dual_mul_f32 v112, v109, v101 :: v_dual_mul_f32 v114, v109, v98
	s_delay_alu instid0(VALU_DEP_1) | instskip(NEXT) | instid1(VALU_DEP_2)
	v_pk_fma_f32 v[112:113], v[108:109], v[78:79], v[112:113] op_sel_hi:[1,1,0] neg_lo:[0,0,1] neg_hi:[0,0,1]
	v_pk_fma_f32 v[108:109], v[108:109], v[78:79], v[114:115] op_sel:[1,0,0] op_sel_hi:[0,1,0]
	s_delay_alu instid0(VALU_DEP_1) | instskip(SKIP_1) | instid1(VALU_DEP_2)
	v_mov_b32_e32 v113, v109
	v_pk_mul_f32 v[108:109], v[110:111], v[100:101] op_sel:[0,1]
	v_pk_add_f32 v[42:43], v[42:43], v[112:113] neg_lo:[0,1] neg_hi:[0,1]
	s_delay_alu instid0(VALU_DEP_2) | instskip(SKIP_1) | instid1(VALU_DEP_1)
	v_pk_fma_f32 v[112:113], v[110:111], v[98:99], v[108:109] op_sel:[0,0,1] op_sel_hi:[1,1,0] neg_lo:[0,0,1] neg_hi:[0,0,1]
	v_pk_fma_f32 v[108:109], v[110:111], v[98:99], v[108:109] op_sel:[0,0,1] op_sel_hi:[1,0,0]
	v_mov_b32_e32 v113, v109
	ds_load_2addr_b64 v[108:111], v102 offset0:29 offset1:30
	v_pk_add_f32 v[76:77], v[76:77], v[112:113] neg_lo:[0,1] neg_hi:[0,1]
	s_wait_dscnt 0x0
	v_pk_mul_f32 v[112:113], v[108:109], v[100:101] op_sel:[0,1]
	s_delay_alu instid0(VALU_DEP_1) | instskip(SKIP_1) | instid1(VALU_DEP_1)
	v_pk_fma_f32 v[114:115], v[108:109], v[98:99], v[112:113] op_sel:[0,0,1] op_sel_hi:[1,1,0] neg_lo:[0,0,1] neg_hi:[0,0,1]
	v_pk_fma_f32 v[108:109], v[108:109], v[98:99], v[112:113] op_sel:[0,0,1] op_sel_hi:[1,0,0]
	v_mov_b32_e32 v115, v109
	v_pk_mul_f32 v[108:109], v[110:111], v[100:101] op_sel:[0,1]
	s_delay_alu instid0(VALU_DEP_2) | instskip(NEXT) | instid1(VALU_DEP_2)
	v_pk_add_f32 v[30:31], v[30:31], v[114:115] neg_lo:[0,1] neg_hi:[0,1]
	v_pk_fma_f32 v[112:113], v[110:111], v[98:99], v[108:109] op_sel:[0,0,1] op_sel_hi:[1,1,0] neg_lo:[0,0,1] neg_hi:[0,0,1]
	v_pk_fma_f32 v[108:109], v[110:111], v[98:99], v[108:109] op_sel:[0,0,1] op_sel_hi:[1,0,0]
	s_delay_alu instid0(VALU_DEP_1) | instskip(SKIP_4) | instid1(VALU_DEP_1)
	v_mov_b32_e32 v113, v109
	ds_load_2addr_b64 v[108:111], v102 offset0:31 offset1:32
	v_pk_add_f32 v[36:37], v[36:37], v[112:113] neg_lo:[0,1] neg_hi:[0,1]
	s_wait_dscnt 0x0
	v_pk_mul_f32 v[112:113], v[108:109], v[100:101] op_sel:[0,1]
	v_pk_fma_f32 v[114:115], v[108:109], v[98:99], v[112:113] op_sel:[0,0,1] op_sel_hi:[1,1,0] neg_lo:[0,0,1] neg_hi:[0,0,1]
	v_pk_fma_f32 v[108:109], v[108:109], v[98:99], v[112:113] op_sel:[0,0,1] op_sel_hi:[1,0,0]
	v_dual_mul_f32 v112, v111, v101 :: v_dual_mov_b32 v108, v111
	s_delay_alu instid0(VALU_DEP_2) | instskip(NEXT) | instid1(VALU_DEP_2)
	v_dual_mov_b32 v115, v109 :: v_dual_mov_b32 v109, v110
	v_pk_fma_f32 v[112:113], v[110:111], v[78:79], v[112:113] op_sel_hi:[1,1,0] neg_lo:[0,0,1] neg_hi:[0,0,1]
	v_mul_f32_e32 v110, v111, v98
	s_delay_alu instid0(VALU_DEP_3) | instskip(NEXT) | instid1(VALU_DEP_2)
	v_pk_add_f32 v[28:29], v[28:29], v[114:115] neg_lo:[0,1] neg_hi:[0,1]
	v_pk_fma_f32 v[108:109], v[108:109], v[78:79], v[110:111] op_sel_hi:[1,1,0]
	s_delay_alu instid0(VALU_DEP_1) | instskip(SKIP_4) | instid1(VALU_DEP_1)
	v_mov_b32_e32 v113, v109
	ds_load_2addr_b64 v[108:111], v102 offset0:33 offset1:34
	v_pk_add_f32 v[72:73], v[72:73], v[112:113] neg_lo:[0,1] neg_hi:[0,1]
	s_wait_dscnt 0x0
	v_pk_mul_f32 v[112:113], v[108:109], v[100:101] op_sel:[0,1]
	v_pk_fma_f32 v[114:115], v[108:109], v[98:99], v[112:113] op_sel:[0,0,1] op_sel_hi:[1,1,0] neg_lo:[0,0,1] neg_hi:[0,0,1]
	v_pk_fma_f32 v[108:109], v[108:109], v[98:99], v[112:113] op_sel:[0,0,1] op_sel_hi:[1,0,0]
	s_delay_alu instid0(VALU_DEP_1) | instskip(SKIP_1) | instid1(VALU_DEP_1)
	v_mov_b32_e32 v115, v109
	v_pk_mul_f32 v[108:109], v[110:111], v[100:101] op_sel:[0,1]
	v_pk_fma_f32 v[112:113], v[110:111], v[98:99], v[108:109] op_sel:[0,0,1] op_sel_hi:[1,1,0] neg_lo:[0,0,1] neg_hi:[0,0,1]
	v_pk_fma_f32 v[108:109], v[110:111], v[98:99], v[108:109] op_sel:[0,0,1] op_sel_hi:[1,0,0]
	s_delay_alu instid0(VALU_DEP_1)
	v_mov_b32_e32 v113, v109
	ds_load_2addr_b64 v[108:111], v102 offset0:35 offset1:36
	v_pk_add_f32 v[18:19], v[18:19], v[114:115] neg_lo:[0,1] neg_hi:[0,1]
	v_pk_add_f32 v[24:25], v[24:25], v[112:113] neg_lo:[0,1] neg_hi:[0,1]
	s_wait_dscnt 0x0
	v_pk_mul_f32 v[112:113], v[108:109], v[100:101] op_sel:[0,1]
	s_delay_alu instid0(VALU_DEP_1) | instskip(SKIP_1) | instid1(VALU_DEP_1)
	v_pk_fma_f32 v[114:115], v[108:109], v[98:99], v[112:113] op_sel:[0,0,1] op_sel_hi:[1,1,0] neg_lo:[0,0,1] neg_hi:[0,0,1]
	v_pk_fma_f32 v[108:109], v[108:109], v[98:99], v[112:113] op_sel:[0,0,1] op_sel_hi:[1,0,0]
	v_mov_b32_e32 v115, v109
	v_pk_mul_f32 v[108:109], v[110:111], v[100:101] op_sel:[0,1]
	s_delay_alu instid0(VALU_DEP_1) | instskip(SKIP_1) | instid1(VALU_DEP_1)
	v_pk_fma_f32 v[112:113], v[110:111], v[98:99], v[108:109] op_sel:[0,0,1] op_sel_hi:[1,1,0] neg_lo:[0,0,1] neg_hi:[0,0,1]
	v_pk_fma_f32 v[108:109], v[110:111], v[98:99], v[108:109] op_sel:[0,0,1] op_sel_hi:[1,0,0]
	v_mov_b32_e32 v113, v109
	ds_load_2addr_b64 v[108:111], v102 offset0:37 offset1:38
	v_pk_add_f32 v[16:17], v[16:17], v[114:115] neg_lo:[0,1] neg_hi:[0,1]
	v_pk_add_f32 v[70:71], v[70:71], v[112:113] neg_lo:[0,1] neg_hi:[0,1]
	s_wait_dscnt 0x0
	v_dual_mul_f32 v112, v109, v101 :: v_dual_mul_f32 v114, v109, v98
	s_delay_alu instid0(VALU_DEP_1) | instskip(NEXT) | instid1(VALU_DEP_2)
	v_pk_fma_f32 v[112:113], v[108:109], v[78:79], v[112:113] op_sel_hi:[1,1,0] neg_lo:[0,0,1] neg_hi:[0,0,1]
	v_pk_fma_f32 v[108:109], v[108:109], v[78:79], v[114:115] op_sel:[1,0,0] op_sel_hi:[0,1,0]
	s_delay_alu instid0(VALU_DEP_1) | instskip(SKIP_1) | instid1(VALU_DEP_2)
	v_mov_b32_e32 v113, v109
	v_pk_mul_f32 v[108:109], v[110:111], v[100:101] op_sel:[0,1]
	v_pk_add_f32 v[10:11], v[10:11], v[112:113] neg_lo:[0,1] neg_hi:[0,1]
	s_delay_alu instid0(VALU_DEP_2) | instskip(SKIP_1) | instid1(VALU_DEP_1)
	v_pk_fma_f32 v[112:113], v[110:111], v[98:99], v[108:109] op_sel:[0,0,1] op_sel_hi:[1,1,0] neg_lo:[0,0,1] neg_hi:[0,0,1]
	v_pk_fma_f32 v[108:109], v[110:111], v[98:99], v[108:109] op_sel:[0,0,1] op_sel_hi:[1,0,0]
	v_mov_b32_e32 v113, v109
	ds_load_2addr_b64 v[108:111], v102 offset0:39 offset1:40
	v_pk_add_f32 v[12:13], v[12:13], v[112:113] neg_lo:[0,1] neg_hi:[0,1]
	s_wait_dscnt 0x0
	v_pk_mul_f32 v[112:113], v[108:109], v[100:101] op_sel:[0,1]
	s_delay_alu instid0(VALU_DEP_1) | instskip(SKIP_1) | instid1(VALU_DEP_1)
	v_pk_fma_f32 v[114:115], v[108:109], v[98:99], v[112:113] op_sel:[0,0,1] op_sel_hi:[1,1,0] neg_lo:[0,0,1] neg_hi:[0,0,1]
	v_pk_fma_f32 v[108:109], v[108:109], v[98:99], v[112:113] op_sel:[0,0,1] op_sel_hi:[1,0,0]
	v_mov_b32_e32 v115, v109
	v_pk_mul_f32 v[108:109], v[110:111], v[100:101] op_sel:[0,1]
	s_delay_alu instid0(VALU_DEP_2) | instskip(NEXT) | instid1(VALU_DEP_2)
	v_pk_add_f32 v[8:9], v[8:9], v[114:115] neg_lo:[0,1] neg_hi:[0,1]
	v_pk_fma_f32 v[112:113], v[110:111], v[98:99], v[108:109] op_sel:[0,0,1] op_sel_hi:[1,1,0] neg_lo:[0,0,1] neg_hi:[0,0,1]
	v_pk_fma_f32 v[108:109], v[110:111], v[98:99], v[108:109] op_sel:[0,0,1] op_sel_hi:[1,0,0]
	s_delay_alu instid0(VALU_DEP_1) | instskip(SKIP_4) | instid1(VALU_DEP_1)
	v_mov_b32_e32 v113, v109
	ds_load_2addr_b64 v[108:111], v102 offset0:41 offset1:42
	v_pk_add_f32 v[68:69], v[68:69], v[112:113] neg_lo:[0,1] neg_hi:[0,1]
	s_wait_dscnt 0x0
	v_pk_mul_f32 v[112:113], v[108:109], v[100:101] op_sel:[0,1]
	v_pk_fma_f32 v[114:115], v[108:109], v[98:99], v[112:113] op_sel:[0,0,1] op_sel_hi:[1,1,0] neg_lo:[0,0,1] neg_hi:[0,0,1]
	v_pk_fma_f32 v[108:109], v[108:109], v[98:99], v[112:113] op_sel:[0,0,1] op_sel_hi:[1,0,0]
	v_dual_mul_f32 v112, v111, v101 :: v_dual_mov_b32 v108, v111
	s_delay_alu instid0(VALU_DEP_2) | instskip(NEXT) | instid1(VALU_DEP_2)
	v_dual_mov_b32 v115, v109 :: v_dual_mov_b32 v109, v110
	v_pk_fma_f32 v[112:113], v[110:111], v[78:79], v[112:113] op_sel_hi:[1,1,0] neg_lo:[0,0,1] neg_hi:[0,0,1]
	v_mul_f32_e32 v110, v111, v98
	s_delay_alu instid0(VALU_DEP_3) | instskip(NEXT) | instid1(VALU_DEP_2)
	v_pk_add_f32 v[6:7], v[6:7], v[114:115] neg_lo:[0,1] neg_hi:[0,1]
	v_pk_fma_f32 v[108:109], v[108:109], v[78:79], v[110:111] op_sel_hi:[1,1,0]
	s_delay_alu instid0(VALU_DEP_1) | instskip(SKIP_4) | instid1(VALU_DEP_1)
	v_mov_b32_e32 v113, v109
	ds_load_2addr_b64 v[108:111], v102 offset0:43 offset1:44
	v_pk_add_f32 v[54:55], v[54:55], v[112:113] neg_lo:[0,1] neg_hi:[0,1]
	s_wait_dscnt 0x0
	v_pk_mul_f32 v[112:113], v[108:109], v[100:101] op_sel:[0,1]
	v_pk_fma_f32 v[114:115], v[108:109], v[98:99], v[112:113] op_sel:[0,0,1] op_sel_hi:[1,1,0] neg_lo:[0,0,1] neg_hi:[0,0,1]
	v_pk_fma_f32 v[108:109], v[108:109], v[98:99], v[112:113] op_sel:[0,0,1] op_sel_hi:[1,0,0]
	s_delay_alu instid0(VALU_DEP_1) | instskip(SKIP_1) | instid1(VALU_DEP_1)
	v_mov_b32_e32 v115, v109
	v_pk_mul_f32 v[108:109], v[110:111], v[100:101] op_sel:[0,1]
	v_pk_fma_f32 v[112:113], v[110:111], v[98:99], v[108:109] op_sel:[0,0,1] op_sel_hi:[1,1,0] neg_lo:[0,0,1] neg_hi:[0,0,1]
	v_pk_fma_f32 v[108:109], v[110:111], v[98:99], v[108:109] op_sel:[0,0,1] op_sel_hi:[1,0,0]
	s_delay_alu instid0(VALU_DEP_1)
	v_mov_b32_e32 v113, v109
	ds_load_b64 v[108:109], v102 offset:360
	v_pk_add_f32 v[40:41], v[40:41], v[114:115] neg_lo:[0,1] neg_hi:[0,1]
	v_pk_add_f32 v[14:15], v[14:15], v[112:113] neg_lo:[0,1] neg_hi:[0,1]
	s_wait_dscnt 0x0
	v_pk_mul_f32 v[100:101], v[108:109], v[100:101] op_sel:[0,1]
	s_delay_alu instid0(VALU_DEP_1) | instskip(SKIP_1) | instid1(VALU_DEP_1)
	v_pk_fma_f32 v[110:111], v[108:109], v[98:99], v[100:101] op_sel:[0,0,1] op_sel_hi:[1,1,0] neg_lo:[0,0,1] neg_hi:[0,0,1]
	v_pk_fma_f32 v[98:99], v[108:109], v[98:99], v[100:101] op_sel:[0,0,1] op_sel_hi:[1,0,0]
	v_mov_b32_e32 v111, v99
	s_delay_alu instid0(VALU_DEP_1)
	v_pk_add_f32 v[96:97], v[96:97], v[110:111] neg_lo:[0,1] neg_hi:[0,1]
.LBB90_188:
	s_or_b32 exec_lo, exec_lo, s0
	v_lshl_add_u32 v98, v106, 3, v102
	s_barrier_signal -1
	s_barrier_wait -1
	ds_store_b64 v98, v[34:35]
	s_wait_dscnt 0x0
	s_barrier_signal -1
	s_barrier_wait -1
	ds_load_b64 v[100:101], v102 offset:72
	v_mov_b32_e32 v98, 9
	s_cmp_lt_i32 s18, 11
	s_cbranch_scc1 .LBB90_191
; %bb.189:
	v_add3_u32 v99, v103, 0, 0x50
	v_mov_b32_e32 v98, 9
	s_mov_b32 s0, 10
.LBB90_190:                             ; =>This Inner Loop Header: Depth=1
	ds_load_b64 v[108:109], v99
	s_wait_dscnt 0x1
	v_cmp_gt_f32_e32 vcc_lo, 0, v100
	v_cndmask_b32_e64 v110, v100, -v100, vcc_lo
	v_cmp_gt_f32_e32 vcc_lo, 0, v101
	v_cndmask_b32_e64 v112, v101, -v101, vcc_lo
	s_wait_dscnt 0x0
	v_cmp_gt_f32_e32 vcc_lo, 0, v108
	v_cndmask_b32_e64 v111, v108, -v108, vcc_lo
	v_cmp_gt_f32_e32 vcc_lo, 0, v109
	v_cndmask_b32_e64 v113, v109, -v109, vcc_lo
	s_delay_alu instid0(VALU_DEP_1) | instskip(NEXT) | instid1(VALU_DEP_1)
	v_pk_add_f32 v[110:111], v[110:111], v[112:113]
	v_cmp_lt_f32_e32 vcc_lo, v110, v111
	v_dual_add_nc_u32 v99, 8, v99 :: v_dual_cndmask_b32 v101, v101, v109, vcc_lo
	v_cndmask_b32_e32 v100, v100, v108, vcc_lo
	v_cndmask_b32_e64 v98, v98, s0, vcc_lo
	s_add_co_i32 s0, s0, 1
	s_delay_alu instid0(SALU_CYCLE_1)
	s_cmp_lg_u32 s18, s0
	s_cbranch_scc1 .LBB90_190
.LBB90_191:
	s_wait_dscnt 0x0
	v_cmp_eq_f32_e32 vcc_lo, 0, v100
	v_cmp_eq_f32_e64 s0, 0, v101
	s_and_b32 s0, vcc_lo, s0
	s_delay_alu instid0(SALU_CYCLE_1) | instskip(NEXT) | instid1(SALU_CYCLE_1)
	s_and_saveexec_b32 s1, s0
	s_xor_b32 s0, exec_lo, s1
; %bb.192:
	v_cmp_ne_u32_e32 vcc_lo, 0, v104
	v_cndmask_b32_e32 v104, 10, v104, vcc_lo
; %bb.193:
	s_and_not1_saveexec_b32 s0, s0
	s_cbranch_execz .LBB90_199
; %bb.194:
	v_cmp_ngt_f32_e64 s1, |v100|, |v101|
	s_and_saveexec_b32 s12, s1
	s_delay_alu instid0(SALU_CYCLE_1)
	s_xor_b32 s1, exec_lo, s12
	s_cbranch_execz .LBB90_196
; %bb.195:
	v_div_scale_f32 v99, null, v101, v101, v100
	v_div_scale_f32 v109, vcc_lo, v100, v101, v100
	s_delay_alu instid0(VALU_DEP_2) | instskip(SKIP_1) | instid1(TRANS32_DEP_1)
	v_rcp_f32_e32 v107, v99
	v_nop
	v_fma_f32 v108, -v99, v107, 1.0
	s_delay_alu instid0(VALU_DEP_1) | instskip(NEXT) | instid1(VALU_DEP_1)
	v_fmac_f32_e32 v107, v108, v107
	v_mul_f32_e32 v108, v109, v107
	s_delay_alu instid0(VALU_DEP_1) | instskip(NEXT) | instid1(VALU_DEP_1)
	v_fma_f32 v110, -v99, v108, v109
	v_fmac_f32_e32 v108, v110, v107
	s_delay_alu instid0(VALU_DEP_1) | instskip(NEXT) | instid1(VALU_DEP_1)
	v_fma_f32 v99, -v99, v108, v109
	v_div_fmas_f32 v99, v99, v107, v108
	s_delay_alu instid0(VALU_DEP_1) | instskip(NEXT) | instid1(VALU_DEP_1)
	v_div_fixup_f32 v99, v99, v101, v100
	v_fmac_f32_e32 v101, v100, v99
	s_delay_alu instid0(VALU_DEP_1) | instskip(SKIP_1) | instid1(VALU_DEP_2)
	v_div_scale_f32 v100, null, v101, v101, 1.0
	v_div_scale_f32 v109, vcc_lo, 1.0, v101, 1.0
	v_rcp_f32_e32 v107, v100
	v_nop
	s_delay_alu instid0(TRANS32_DEP_1) | instskip(NEXT) | instid1(VALU_DEP_1)
	v_fma_f32 v108, -v100, v107, 1.0
	v_fmac_f32_e32 v107, v108, v107
	s_delay_alu instid0(VALU_DEP_1) | instskip(NEXT) | instid1(VALU_DEP_1)
	v_mul_f32_e32 v108, v109, v107
	v_fma_f32 v110, -v100, v108, v109
	s_delay_alu instid0(VALU_DEP_1) | instskip(NEXT) | instid1(VALU_DEP_1)
	v_fmac_f32_e32 v108, v110, v107
	v_fma_f32 v100, -v100, v108, v109
	s_delay_alu instid0(VALU_DEP_1) | instskip(NEXT) | instid1(VALU_DEP_1)
	v_div_fmas_f32 v100, v100, v107, v108
	v_div_fixup_f32 v101, v100, v101, 1.0
	s_delay_alu instid0(VALU_DEP_1)
	v_mul_f32_e32 v100, v99, v101
	v_xor_b32_e32 v101, 0x80000000, v101
.LBB90_196:
	s_and_not1_saveexec_b32 s1, s1
	s_cbranch_execz .LBB90_198
; %bb.197:
	s_delay_alu instid0(VALU_DEP_1) | instskip(SKIP_1) | instid1(VALU_DEP_2)
	v_div_scale_f32 v99, null, v100, v100, v101
	v_div_scale_f32 v109, vcc_lo, v101, v100, v101
	v_rcp_f32_e32 v107, v99
	v_nop
	s_delay_alu instid0(TRANS32_DEP_1) | instskip(NEXT) | instid1(VALU_DEP_1)
	v_fma_f32 v108, -v99, v107, 1.0
	v_fmac_f32_e32 v107, v108, v107
	s_delay_alu instid0(VALU_DEP_1) | instskip(NEXT) | instid1(VALU_DEP_1)
	v_mul_f32_e32 v108, v109, v107
	v_fma_f32 v110, -v99, v108, v109
	s_delay_alu instid0(VALU_DEP_1) | instskip(NEXT) | instid1(VALU_DEP_1)
	v_fmac_f32_e32 v108, v110, v107
	v_fma_f32 v99, -v99, v108, v109
	s_delay_alu instid0(VALU_DEP_1) | instskip(NEXT) | instid1(VALU_DEP_1)
	v_div_fmas_f32 v99, v99, v107, v108
	v_div_fixup_f32 v99, v99, v100, v101
	s_delay_alu instid0(VALU_DEP_1) | instskip(NEXT) | instid1(VALU_DEP_1)
	v_fmac_f32_e32 v100, v101, v99
	v_div_scale_f32 v101, null, v100, v100, 1.0
	s_delay_alu instid0(VALU_DEP_1) | instskip(SKIP_1) | instid1(TRANS32_DEP_1)
	v_rcp_f32_e32 v107, v101
	v_nop
	v_fma_f32 v108, -v101, v107, 1.0
	s_delay_alu instid0(VALU_DEP_1) | instskip(SKIP_1) | instid1(VALU_DEP_1)
	v_fmac_f32_e32 v107, v108, v107
	v_div_scale_f32 v108, vcc_lo, 1.0, v100, 1.0
	v_mul_f32_e32 v109, v108, v107
	s_delay_alu instid0(VALU_DEP_1) | instskip(NEXT) | instid1(VALU_DEP_1)
	v_fma_f32 v110, -v101, v109, v108
	v_fmac_f32_e32 v109, v110, v107
	s_delay_alu instid0(VALU_DEP_1) | instskip(NEXT) | instid1(VALU_DEP_1)
	v_fma_f32 v101, -v101, v109, v108
	v_div_fmas_f32 v101, v101, v107, v109
	s_delay_alu instid0(VALU_DEP_1) | instskip(NEXT) | instid1(VALU_DEP_1)
	v_div_fixup_f32 v100, v101, v100, 1.0
	v_mul_f32_e64 v101, v99, -v100
.LBB90_198:
	s_or_b32 exec_lo, exec_lo, s1
.LBB90_199:
	s_delay_alu instid0(SALU_CYCLE_1) | instskip(NEXT) | instid1(SALU_CYCLE_1)
	s_or_b32 exec_lo, exec_lo, s0
	s_mov_b32 s0, exec_lo
	v_cmpx_ne_u32_e64 v106, v98
	s_xor_b32 s0, exec_lo, s0
	s_cbranch_execz .LBB90_205
; %bb.200:
	s_mov_b32 s1, exec_lo
	v_cmpx_eq_u32_e32 9, v106
	s_cbranch_execz .LBB90_204
; %bb.201:
	v_cmp_ne_u32_e32 vcc_lo, 9, v98
	s_xor_b32 s12, s16, -1
	s_delay_alu instid0(SALU_CYCLE_1) | instskip(NEXT) | instid1(SALU_CYCLE_1)
	s_and_b32 s13, s12, vcc_lo
	s_and_saveexec_b32 s12, s13
	s_cbranch_execz .LBB90_203
; %bb.202:
	v_ashrrev_i32_e32 v99, 31, v98
	s_delay_alu instid0(VALU_DEP_1)
	v_lshl_add_u64 v[106:107], v[98:99], 2, v[4:5]
	s_clause 0x1
	global_load_b32 v99, v[106:107], off
	global_load_b32 v105, v[4:5], off offset:36
	s_wait_loadcnt 0x1
	global_store_b32 v[4:5], v99, off offset:36
	s_wait_loadcnt 0x0
	global_store_b32 v[106:107], v105, off
.LBB90_203:
	s_wait_xcnt 0x0
	s_or_b32 exec_lo, exec_lo, s12
	v_dual_mov_b32 v106, v98 :: v_dual_mov_b32 v105, v98
.LBB90_204:
	s_or_b32 exec_lo, exec_lo, s1
.LBB90_205:
	s_and_not1_saveexec_b32 s0, s0
	s_cbranch_execz .LBB90_207
; %bb.206:
	v_dual_mov_b32 v98, v38 :: v_dual_mov_b32 v99, v39
	v_dual_mov_b32 v106, v32 :: v_dual_mov_b32 v107, v33
	;; [unrolled: 1-line block ×4, first 2 shown]
	ds_store_2addr_b64 v102, v[98:99], v[106:107] offset0:10 offset1:11
	ds_store_2addr_b64 v102, v[108:109], v[110:111] offset0:12 offset1:13
	v_dual_mov_b32 v98, v66 :: v_dual_mov_b32 v99, v67
	v_dual_mov_b32 v106, v62 :: v_dual_mov_b32 v107, v63
	;; [unrolled: 1-line block ×12, first 2 shown]
	ds_store_2addr_b64 v102, v[98:99], v[106:107] offset0:14 offset1:15
	ds_store_2addr_b64 v102, v[108:109], v[110:111] offset0:16 offset1:17
	;; [unrolled: 1-line block ×6, first 2 shown]
	v_dual_mov_b32 v98, v46 :: v_dual_mov_b32 v99, v47
	v_dual_mov_b32 v106, v42 :: v_dual_mov_b32 v107, v43
	;; [unrolled: 1-line block ×12, first 2 shown]
	ds_store_2addr_b64 v102, v[98:99], v[106:107] offset0:26 offset1:27
	ds_store_2addr_b64 v102, v[108:109], v[110:111] offset0:28 offset1:29
	;; [unrolled: 1-line block ×6, first 2 shown]
	v_dual_mov_b32 v98, v12 :: v_dual_mov_b32 v99, v13
	v_dual_mov_b32 v108, v8 :: v_dual_mov_b32 v109, v9
	;; [unrolled: 1-line block ×7, first 2 shown]
	v_mov_b32_e32 v119, v15
	ds_store_2addr_b64 v102, v[98:99], v[108:109] offset0:38 offset1:39
	ds_store_2addr_b64 v102, v[110:111], v[112:113] offset0:40 offset1:41
	;; [unrolled: 1-line block ×4, first 2 shown]
.LBB90_207:
	s_or_b32 exec_lo, exec_lo, s0
	s_delay_alu instid0(SALU_CYCLE_1)
	s_mov_b32 s0, exec_lo
	s_wait_storecnt_dscnt 0x0
	s_barrier_signal -1
	s_barrier_wait -1
	v_cmpx_lt_i32_e32 9, v106
	s_cbranch_execz .LBB90_209
; %bb.208:
	v_pk_mul_f32 v[108:109], v[100:101], v[34:35] op_sel:[1,1] op_sel_hi:[0,1]
	s_delay_alu instid0(VALU_DEP_1)
	v_pk_fma_f32 v[98:99], v[100:101], v[34:35], v[108:109] op_sel_hi:[1,0,1] neg_lo:[0,0,1] neg_hi:[0,0,1]
	v_pk_fma_f32 v[100:101], v[100:101], v[34:35], v[108:109] op_sel_hi:[1,0,1]
	ds_load_2addr_b64 v[108:111], v102 offset0:10 offset1:11
	v_dual_mov_b32 v34, v98 :: v_dual_mov_b32 v35, v101
	s_wait_dscnt 0x0
	v_pk_mul_f32 v[112:113], v[108:109], v[100:101] op_sel:[0,1]
	s_delay_alu instid0(VALU_DEP_1) | instskip(SKIP_1) | instid1(VALU_DEP_1)
	v_pk_fma_f32 v[114:115], v[108:109], v[98:99], v[112:113] op_sel:[0,0,1] op_sel_hi:[1,1,0] neg_lo:[0,0,1] neg_hi:[0,0,1]
	v_pk_fma_f32 v[108:109], v[108:109], v[98:99], v[112:113] op_sel:[0,0,1] op_sel_hi:[1,0,0]
	v_mov_b32_e32 v115, v109
	v_pk_mul_f32 v[108:109], v[110:111], v[100:101] op_sel:[0,1]
	s_delay_alu instid0(VALU_DEP_1) | instskip(SKIP_1) | instid1(VALU_DEP_1)
	v_pk_fma_f32 v[112:113], v[110:111], v[98:99], v[108:109] op_sel:[0,0,1] op_sel_hi:[1,1,0] neg_lo:[0,0,1] neg_hi:[0,0,1]
	v_pk_fma_f32 v[108:109], v[110:111], v[98:99], v[108:109] op_sel:[0,0,1] op_sel_hi:[1,0,0]
	v_mov_b32_e32 v113, v109
	ds_load_2addr_b64 v[108:111], v102 offset0:12 offset1:13
	v_pk_add_f32 v[38:39], v[38:39], v[114:115] neg_lo:[0,1] neg_hi:[0,1]
	v_pk_add_f32 v[32:33], v[32:33], v[112:113] neg_lo:[0,1] neg_hi:[0,1]
	s_wait_dscnt 0x0
	v_pk_mul_f32 v[112:113], v[108:109], v[100:101] op_sel:[0,1]
	s_delay_alu instid0(VALU_DEP_1) | instskip(SKIP_2) | instid1(VALU_DEP_2)
	v_pk_fma_f32 v[114:115], v[108:109], v[98:99], v[112:113] op_sel:[0,0,1] op_sel_hi:[1,1,0] neg_lo:[0,0,1] neg_hi:[0,0,1]
	v_pk_fma_f32 v[108:109], v[108:109], v[98:99], v[112:113] op_sel:[0,0,1] op_sel_hi:[1,0,0]
	v_dual_mul_f32 v112, v111, v101 :: v_dual_mov_b32 v108, v111
	v_dual_mov_b32 v115, v109 :: v_dual_mov_b32 v109, v110
	s_delay_alu instid0(VALU_DEP_2) | instskip(SKIP_1) | instid1(VALU_DEP_3)
	v_pk_fma_f32 v[112:113], v[110:111], v[34:35], v[112:113] op_sel_hi:[1,1,0] neg_lo:[0,0,1] neg_hi:[0,0,1]
	v_mul_f32_e32 v110, v111, v98
	v_pk_add_f32 v[86:87], v[86:87], v[114:115] neg_lo:[0,1] neg_hi:[0,1]
	s_delay_alu instid0(VALU_DEP_2) | instskip(NEXT) | instid1(VALU_DEP_1)
	v_pk_fma_f32 v[108:109], v[108:109], v[34:35], v[110:111] op_sel_hi:[1,1,0]
	v_mov_b32_e32 v113, v109
	ds_load_2addr_b64 v[108:111], v102 offset0:14 offset1:15
	v_pk_add_f32 v[64:65], v[64:65], v[112:113] neg_lo:[0,1] neg_hi:[0,1]
	s_wait_dscnt 0x0
	v_pk_mul_f32 v[112:113], v[108:109], v[100:101] op_sel:[0,1]
	s_delay_alu instid0(VALU_DEP_1) | instskip(SKIP_1) | instid1(VALU_DEP_1)
	v_pk_fma_f32 v[114:115], v[108:109], v[98:99], v[112:113] op_sel:[0,0,1] op_sel_hi:[1,1,0] neg_lo:[0,0,1] neg_hi:[0,0,1]
	v_pk_fma_f32 v[108:109], v[108:109], v[98:99], v[112:113] op_sel:[0,0,1] op_sel_hi:[1,0,0]
	v_mov_b32_e32 v115, v109
	v_pk_mul_f32 v[108:109], v[110:111], v[100:101] op_sel:[0,1]
	s_delay_alu instid0(VALU_DEP_1) | instskip(SKIP_1) | instid1(VALU_DEP_1)
	v_pk_fma_f32 v[112:113], v[110:111], v[98:99], v[108:109] op_sel:[0,0,1] op_sel_hi:[1,1,0] neg_lo:[0,0,1] neg_hi:[0,0,1]
	v_pk_fma_f32 v[108:109], v[110:111], v[98:99], v[108:109] op_sel:[0,0,1] op_sel_hi:[1,0,0]
	v_mov_b32_e32 v113, v109
	ds_load_2addr_b64 v[108:111], v102 offset0:16 offset1:17
	v_pk_add_f32 v[66:67], v[66:67], v[114:115] neg_lo:[0,1] neg_hi:[0,1]
	v_pk_add_f32 v[62:63], v[62:63], v[112:113] neg_lo:[0,1] neg_hi:[0,1]
	s_wait_dscnt 0x0
	v_pk_mul_f32 v[112:113], v[108:109], v[100:101] op_sel:[0,1]
	s_delay_alu instid0(VALU_DEP_1) | instskip(SKIP_1) | instid1(VALU_DEP_1)
	v_pk_fma_f32 v[114:115], v[108:109], v[98:99], v[112:113] op_sel:[0,0,1] op_sel_hi:[1,1,0] neg_lo:[0,0,1] neg_hi:[0,0,1]
	v_pk_fma_f32 v[108:109], v[108:109], v[98:99], v[112:113] op_sel:[0,0,1] op_sel_hi:[1,0,0]
	v_mov_b32_e32 v115, v109
	v_pk_mul_f32 v[108:109], v[110:111], v[100:101] op_sel:[0,1]
	s_delay_alu instid0(VALU_DEP_1) | instskip(SKIP_1) | instid1(VALU_DEP_1)
	v_pk_fma_f32 v[112:113], v[110:111], v[98:99], v[108:109] op_sel:[0,0,1] op_sel_hi:[1,1,0] neg_lo:[0,0,1] neg_hi:[0,0,1]
	v_pk_fma_f32 v[108:109], v[110:111], v[98:99], v[108:109] op_sel:[0,0,1] op_sel_hi:[1,0,0]
	v_mov_b32_e32 v113, v109
	ds_load_2addr_b64 v[108:111], v102 offset0:18 offset1:19
	v_pk_add_f32 v[84:85], v[84:85], v[114:115] neg_lo:[0,1] neg_hi:[0,1]
	v_pk_add_f32 v[58:59], v[58:59], v[112:113] neg_lo:[0,1] neg_hi:[0,1]
	s_wait_dscnt 0x0
	v_dual_mul_f32 v112, v109, v101 :: v_dual_mul_f32 v114, v109, v98
	s_delay_alu instid0(VALU_DEP_1) | instskip(NEXT) | instid1(VALU_DEP_2)
	v_pk_fma_f32 v[112:113], v[108:109], v[34:35], v[112:113] op_sel_hi:[1,1,0] neg_lo:[0,0,1] neg_hi:[0,0,1]
	v_pk_fma_f32 v[108:109], v[108:109], v[34:35], v[114:115] op_sel:[1,0,0] op_sel_hi:[0,1,0]
	s_delay_alu instid0(VALU_DEP_1) | instskip(SKIP_1) | instid1(VALU_DEP_2)
	v_mov_b32_e32 v113, v109
	v_pk_mul_f32 v[108:109], v[110:111], v[100:101] op_sel:[0,1]
	v_pk_add_f32 v[60:61], v[60:61], v[112:113] neg_lo:[0,1] neg_hi:[0,1]
	s_delay_alu instid0(VALU_DEP_2) | instskip(SKIP_1) | instid1(VALU_DEP_1)
	v_pk_fma_f32 v[112:113], v[110:111], v[98:99], v[108:109] op_sel:[0,0,1] op_sel_hi:[1,1,0] neg_lo:[0,0,1] neg_hi:[0,0,1]
	v_pk_fma_f32 v[108:109], v[110:111], v[98:99], v[108:109] op_sel:[0,0,1] op_sel_hi:[1,0,0]
	v_mov_b32_e32 v113, v109
	ds_load_2addr_b64 v[108:111], v102 offset0:20 offset1:21
	v_pk_add_f32 v[56:57], v[56:57], v[112:113] neg_lo:[0,1] neg_hi:[0,1]
	s_wait_dscnt 0x0
	v_pk_mul_f32 v[112:113], v[108:109], v[100:101] op_sel:[0,1]
	s_delay_alu instid0(VALU_DEP_1) | instskip(SKIP_1) | instid1(VALU_DEP_1)
	v_pk_fma_f32 v[114:115], v[108:109], v[98:99], v[112:113] op_sel:[0,0,1] op_sel_hi:[1,1,0] neg_lo:[0,0,1] neg_hi:[0,0,1]
	v_pk_fma_f32 v[108:109], v[108:109], v[98:99], v[112:113] op_sel:[0,0,1] op_sel_hi:[1,0,0]
	v_mov_b32_e32 v115, v109
	v_pk_mul_f32 v[108:109], v[110:111], v[100:101] op_sel:[0,1]
	s_delay_alu instid0(VALU_DEP_2) | instskip(NEXT) | instid1(VALU_DEP_2)
	v_pk_add_f32 v[82:83], v[82:83], v[114:115] neg_lo:[0,1] neg_hi:[0,1]
	v_pk_fma_f32 v[112:113], v[110:111], v[98:99], v[108:109] op_sel:[0,0,1] op_sel_hi:[1,1,0] neg_lo:[0,0,1] neg_hi:[0,0,1]
	v_pk_fma_f32 v[108:109], v[110:111], v[98:99], v[108:109] op_sel:[0,0,1] op_sel_hi:[1,0,0]
	s_delay_alu instid0(VALU_DEP_1) | instskip(SKIP_4) | instid1(VALU_DEP_1)
	v_mov_b32_e32 v113, v109
	ds_load_2addr_b64 v[108:111], v102 offset0:22 offset1:23
	v_pk_add_f32 v[50:51], v[50:51], v[112:113] neg_lo:[0,1] neg_hi:[0,1]
	s_wait_dscnt 0x0
	v_pk_mul_f32 v[112:113], v[108:109], v[100:101] op_sel:[0,1]
	v_pk_fma_f32 v[114:115], v[108:109], v[98:99], v[112:113] op_sel:[0,0,1] op_sel_hi:[1,1,0] neg_lo:[0,0,1] neg_hi:[0,0,1]
	v_pk_fma_f32 v[108:109], v[108:109], v[98:99], v[112:113] op_sel:[0,0,1] op_sel_hi:[1,0,0]
	v_dual_mul_f32 v112, v111, v101 :: v_dual_mov_b32 v108, v111
	s_delay_alu instid0(VALU_DEP_2) | instskip(NEXT) | instid1(VALU_DEP_2)
	v_dual_mov_b32 v115, v109 :: v_dual_mov_b32 v109, v110
	v_pk_fma_f32 v[112:113], v[110:111], v[34:35], v[112:113] op_sel_hi:[1,1,0] neg_lo:[0,0,1] neg_hi:[0,0,1]
	v_mul_f32_e32 v110, v111, v98
	s_delay_alu instid0(VALU_DEP_3) | instskip(NEXT) | instid1(VALU_DEP_2)
	v_pk_add_f32 v[52:53], v[52:53], v[114:115] neg_lo:[0,1] neg_hi:[0,1]
	v_pk_fma_f32 v[108:109], v[108:109], v[34:35], v[110:111] op_sel_hi:[1,1,0]
	s_delay_alu instid0(VALU_DEP_1) | instskip(SKIP_4) | instid1(VALU_DEP_1)
	v_mov_b32_e32 v113, v109
	ds_load_2addr_b64 v[108:111], v102 offset0:24 offset1:25
	v_pk_add_f32 v[48:49], v[48:49], v[112:113] neg_lo:[0,1] neg_hi:[0,1]
	s_wait_dscnt 0x0
	v_pk_mul_f32 v[112:113], v[108:109], v[100:101] op_sel:[0,1]
	v_pk_fma_f32 v[114:115], v[108:109], v[98:99], v[112:113] op_sel:[0,0,1] op_sel_hi:[1,1,0] neg_lo:[0,0,1] neg_hi:[0,0,1]
	v_pk_fma_f32 v[108:109], v[108:109], v[98:99], v[112:113] op_sel:[0,0,1] op_sel_hi:[1,0,0]
	s_delay_alu instid0(VALU_DEP_1) | instskip(SKIP_1) | instid1(VALU_DEP_1)
	v_mov_b32_e32 v115, v109
	v_pk_mul_f32 v[108:109], v[110:111], v[100:101] op_sel:[0,1]
	v_pk_fma_f32 v[112:113], v[110:111], v[98:99], v[108:109] op_sel:[0,0,1] op_sel_hi:[1,1,0] neg_lo:[0,0,1] neg_hi:[0,0,1]
	v_pk_fma_f32 v[108:109], v[110:111], v[98:99], v[108:109] op_sel:[0,0,1] op_sel_hi:[1,0,0]
	s_delay_alu instid0(VALU_DEP_1)
	v_mov_b32_e32 v113, v109
	ds_load_2addr_b64 v[108:111], v102 offset0:26 offset1:27
	v_pk_add_f32 v[80:81], v[80:81], v[114:115] neg_lo:[0,1] neg_hi:[0,1]
	v_pk_add_f32 v[44:45], v[44:45], v[112:113] neg_lo:[0,1] neg_hi:[0,1]
	s_wait_dscnt 0x0
	v_pk_mul_f32 v[112:113], v[108:109], v[100:101] op_sel:[0,1]
	s_delay_alu instid0(VALU_DEP_1) | instskip(SKIP_1) | instid1(VALU_DEP_1)
	v_pk_fma_f32 v[114:115], v[108:109], v[98:99], v[112:113] op_sel:[0,0,1] op_sel_hi:[1,1,0] neg_lo:[0,0,1] neg_hi:[0,0,1]
	v_pk_fma_f32 v[108:109], v[108:109], v[98:99], v[112:113] op_sel:[0,0,1] op_sel_hi:[1,0,0]
	v_mov_b32_e32 v115, v109
	v_pk_mul_f32 v[108:109], v[110:111], v[100:101] op_sel:[0,1]
	s_delay_alu instid0(VALU_DEP_1) | instskip(SKIP_1) | instid1(VALU_DEP_1)
	v_pk_fma_f32 v[112:113], v[110:111], v[98:99], v[108:109] op_sel:[0,0,1] op_sel_hi:[1,1,0] neg_lo:[0,0,1] neg_hi:[0,0,1]
	v_pk_fma_f32 v[108:109], v[110:111], v[98:99], v[108:109] op_sel:[0,0,1] op_sel_hi:[1,0,0]
	v_mov_b32_e32 v113, v109
	ds_load_2addr_b64 v[108:111], v102 offset0:28 offset1:29
	v_pk_add_f32 v[46:47], v[46:47], v[114:115] neg_lo:[0,1] neg_hi:[0,1]
	v_pk_add_f32 v[42:43], v[42:43], v[112:113] neg_lo:[0,1] neg_hi:[0,1]
	s_wait_dscnt 0x0
	v_dual_mul_f32 v112, v109, v101 :: v_dual_mul_f32 v114, v109, v98
	s_delay_alu instid0(VALU_DEP_1) | instskip(NEXT) | instid1(VALU_DEP_2)
	v_pk_fma_f32 v[112:113], v[108:109], v[34:35], v[112:113] op_sel_hi:[1,1,0] neg_lo:[0,0,1] neg_hi:[0,0,1]
	v_pk_fma_f32 v[108:109], v[108:109], v[34:35], v[114:115] op_sel:[1,0,0] op_sel_hi:[0,1,0]
	s_delay_alu instid0(VALU_DEP_1) | instskip(SKIP_1) | instid1(VALU_DEP_2)
	v_mov_b32_e32 v113, v109
	v_pk_mul_f32 v[108:109], v[110:111], v[100:101] op_sel:[0,1]
	v_pk_add_f32 v[76:77], v[76:77], v[112:113] neg_lo:[0,1] neg_hi:[0,1]
	s_delay_alu instid0(VALU_DEP_2) | instskip(SKIP_1) | instid1(VALU_DEP_1)
	v_pk_fma_f32 v[112:113], v[110:111], v[98:99], v[108:109] op_sel:[0,0,1] op_sel_hi:[1,1,0] neg_lo:[0,0,1] neg_hi:[0,0,1]
	v_pk_fma_f32 v[108:109], v[110:111], v[98:99], v[108:109] op_sel:[0,0,1] op_sel_hi:[1,0,0]
	v_mov_b32_e32 v113, v109
	ds_load_2addr_b64 v[108:111], v102 offset0:30 offset1:31
	v_pk_add_f32 v[30:31], v[30:31], v[112:113] neg_lo:[0,1] neg_hi:[0,1]
	s_wait_dscnt 0x0
	v_pk_mul_f32 v[112:113], v[108:109], v[100:101] op_sel:[0,1]
	s_delay_alu instid0(VALU_DEP_1) | instskip(SKIP_1) | instid1(VALU_DEP_1)
	v_pk_fma_f32 v[114:115], v[108:109], v[98:99], v[112:113] op_sel:[0,0,1] op_sel_hi:[1,1,0] neg_lo:[0,0,1] neg_hi:[0,0,1]
	v_pk_fma_f32 v[108:109], v[108:109], v[98:99], v[112:113] op_sel:[0,0,1] op_sel_hi:[1,0,0]
	v_mov_b32_e32 v115, v109
	v_pk_mul_f32 v[108:109], v[110:111], v[100:101] op_sel:[0,1]
	s_delay_alu instid0(VALU_DEP_2) | instskip(NEXT) | instid1(VALU_DEP_2)
	v_pk_add_f32 v[36:37], v[36:37], v[114:115] neg_lo:[0,1] neg_hi:[0,1]
	v_pk_fma_f32 v[112:113], v[110:111], v[98:99], v[108:109] op_sel:[0,0,1] op_sel_hi:[1,1,0] neg_lo:[0,0,1] neg_hi:[0,0,1]
	v_pk_fma_f32 v[108:109], v[110:111], v[98:99], v[108:109] op_sel:[0,0,1] op_sel_hi:[1,0,0]
	s_delay_alu instid0(VALU_DEP_1) | instskip(SKIP_4) | instid1(VALU_DEP_1)
	v_mov_b32_e32 v113, v109
	ds_load_2addr_b64 v[108:111], v102 offset0:32 offset1:33
	v_pk_add_f32 v[28:29], v[28:29], v[112:113] neg_lo:[0,1] neg_hi:[0,1]
	s_wait_dscnt 0x0
	v_pk_mul_f32 v[112:113], v[108:109], v[100:101] op_sel:[0,1]
	v_pk_fma_f32 v[114:115], v[108:109], v[98:99], v[112:113] op_sel:[0,0,1] op_sel_hi:[1,1,0] neg_lo:[0,0,1] neg_hi:[0,0,1]
	v_pk_fma_f32 v[108:109], v[108:109], v[98:99], v[112:113] op_sel:[0,0,1] op_sel_hi:[1,0,0]
	v_dual_mul_f32 v112, v111, v101 :: v_dual_mov_b32 v108, v111
	s_delay_alu instid0(VALU_DEP_2) | instskip(NEXT) | instid1(VALU_DEP_2)
	v_dual_mov_b32 v115, v109 :: v_dual_mov_b32 v109, v110
	v_pk_fma_f32 v[112:113], v[110:111], v[34:35], v[112:113] op_sel_hi:[1,1,0] neg_lo:[0,0,1] neg_hi:[0,0,1]
	v_mul_f32_e32 v110, v111, v98
	s_delay_alu instid0(VALU_DEP_3) | instskip(NEXT) | instid1(VALU_DEP_2)
	v_pk_add_f32 v[72:73], v[72:73], v[114:115] neg_lo:[0,1] neg_hi:[0,1]
	v_pk_fma_f32 v[108:109], v[108:109], v[34:35], v[110:111] op_sel_hi:[1,1,0]
	s_delay_alu instid0(VALU_DEP_1) | instskip(SKIP_4) | instid1(VALU_DEP_1)
	v_mov_b32_e32 v113, v109
	ds_load_2addr_b64 v[108:111], v102 offset0:34 offset1:35
	v_pk_add_f32 v[18:19], v[18:19], v[112:113] neg_lo:[0,1] neg_hi:[0,1]
	s_wait_dscnt 0x0
	v_pk_mul_f32 v[112:113], v[108:109], v[100:101] op_sel:[0,1]
	v_pk_fma_f32 v[114:115], v[108:109], v[98:99], v[112:113] op_sel:[0,0,1] op_sel_hi:[1,1,0] neg_lo:[0,0,1] neg_hi:[0,0,1]
	v_pk_fma_f32 v[108:109], v[108:109], v[98:99], v[112:113] op_sel:[0,0,1] op_sel_hi:[1,0,0]
	s_delay_alu instid0(VALU_DEP_1) | instskip(SKIP_1) | instid1(VALU_DEP_1)
	v_mov_b32_e32 v115, v109
	v_pk_mul_f32 v[108:109], v[110:111], v[100:101] op_sel:[0,1]
	v_pk_fma_f32 v[112:113], v[110:111], v[98:99], v[108:109] op_sel:[0,0,1] op_sel_hi:[1,1,0] neg_lo:[0,0,1] neg_hi:[0,0,1]
	v_pk_fma_f32 v[108:109], v[110:111], v[98:99], v[108:109] op_sel:[0,0,1] op_sel_hi:[1,0,0]
	s_delay_alu instid0(VALU_DEP_1)
	v_mov_b32_e32 v113, v109
	ds_load_2addr_b64 v[108:111], v102 offset0:36 offset1:37
	v_pk_add_f32 v[24:25], v[24:25], v[114:115] neg_lo:[0,1] neg_hi:[0,1]
	v_pk_add_f32 v[16:17], v[16:17], v[112:113] neg_lo:[0,1] neg_hi:[0,1]
	s_wait_dscnt 0x0
	v_pk_mul_f32 v[112:113], v[108:109], v[100:101] op_sel:[0,1]
	s_delay_alu instid0(VALU_DEP_1) | instskip(SKIP_1) | instid1(VALU_DEP_1)
	v_pk_fma_f32 v[114:115], v[108:109], v[98:99], v[112:113] op_sel:[0,0,1] op_sel_hi:[1,1,0] neg_lo:[0,0,1] neg_hi:[0,0,1]
	v_pk_fma_f32 v[108:109], v[108:109], v[98:99], v[112:113] op_sel:[0,0,1] op_sel_hi:[1,0,0]
	v_mov_b32_e32 v115, v109
	v_pk_mul_f32 v[108:109], v[110:111], v[100:101] op_sel:[0,1]
	s_delay_alu instid0(VALU_DEP_1) | instskip(SKIP_1) | instid1(VALU_DEP_1)
	v_pk_fma_f32 v[112:113], v[110:111], v[98:99], v[108:109] op_sel:[0,0,1] op_sel_hi:[1,1,0] neg_lo:[0,0,1] neg_hi:[0,0,1]
	v_pk_fma_f32 v[108:109], v[110:111], v[98:99], v[108:109] op_sel:[0,0,1] op_sel_hi:[1,0,0]
	v_mov_b32_e32 v113, v109
	ds_load_2addr_b64 v[108:111], v102 offset0:38 offset1:39
	v_pk_add_f32 v[70:71], v[70:71], v[114:115] neg_lo:[0,1] neg_hi:[0,1]
	v_pk_add_f32 v[10:11], v[10:11], v[112:113] neg_lo:[0,1] neg_hi:[0,1]
	s_wait_dscnt 0x0
	v_dual_mul_f32 v112, v109, v101 :: v_dual_mul_f32 v114, v109, v98
	s_delay_alu instid0(VALU_DEP_1) | instskip(NEXT) | instid1(VALU_DEP_2)
	v_pk_fma_f32 v[112:113], v[108:109], v[34:35], v[112:113] op_sel_hi:[1,1,0] neg_lo:[0,0,1] neg_hi:[0,0,1]
	v_pk_fma_f32 v[108:109], v[108:109], v[34:35], v[114:115] op_sel:[1,0,0] op_sel_hi:[0,1,0]
	s_delay_alu instid0(VALU_DEP_1) | instskip(SKIP_1) | instid1(VALU_DEP_2)
	v_mov_b32_e32 v113, v109
	v_pk_mul_f32 v[108:109], v[110:111], v[100:101] op_sel:[0,1]
	v_pk_add_f32 v[12:13], v[12:13], v[112:113] neg_lo:[0,1] neg_hi:[0,1]
	s_delay_alu instid0(VALU_DEP_2) | instskip(SKIP_1) | instid1(VALU_DEP_1)
	v_pk_fma_f32 v[112:113], v[110:111], v[98:99], v[108:109] op_sel:[0,0,1] op_sel_hi:[1,1,0] neg_lo:[0,0,1] neg_hi:[0,0,1]
	v_pk_fma_f32 v[108:109], v[110:111], v[98:99], v[108:109] op_sel:[0,0,1] op_sel_hi:[1,0,0]
	v_mov_b32_e32 v113, v109
	ds_load_2addr_b64 v[108:111], v102 offset0:40 offset1:41
	v_pk_add_f32 v[8:9], v[8:9], v[112:113] neg_lo:[0,1] neg_hi:[0,1]
	s_wait_dscnt 0x0
	v_pk_mul_f32 v[112:113], v[108:109], v[100:101] op_sel:[0,1]
	s_delay_alu instid0(VALU_DEP_1) | instskip(SKIP_1) | instid1(VALU_DEP_1)
	v_pk_fma_f32 v[114:115], v[108:109], v[98:99], v[112:113] op_sel:[0,0,1] op_sel_hi:[1,1,0] neg_lo:[0,0,1] neg_hi:[0,0,1]
	v_pk_fma_f32 v[108:109], v[108:109], v[98:99], v[112:113] op_sel:[0,0,1] op_sel_hi:[1,0,0]
	v_mov_b32_e32 v115, v109
	v_pk_mul_f32 v[108:109], v[110:111], v[100:101] op_sel:[0,1]
	s_delay_alu instid0(VALU_DEP_2) | instskip(NEXT) | instid1(VALU_DEP_2)
	v_pk_add_f32 v[68:69], v[68:69], v[114:115] neg_lo:[0,1] neg_hi:[0,1]
	v_pk_fma_f32 v[112:113], v[110:111], v[98:99], v[108:109] op_sel:[0,0,1] op_sel_hi:[1,1,0] neg_lo:[0,0,1] neg_hi:[0,0,1]
	v_pk_fma_f32 v[108:109], v[110:111], v[98:99], v[108:109] op_sel:[0,0,1] op_sel_hi:[1,0,0]
	s_delay_alu instid0(VALU_DEP_1) | instskip(SKIP_4) | instid1(VALU_DEP_1)
	v_mov_b32_e32 v113, v109
	ds_load_2addr_b64 v[108:111], v102 offset0:42 offset1:43
	v_pk_add_f32 v[6:7], v[6:7], v[112:113] neg_lo:[0,1] neg_hi:[0,1]
	s_wait_dscnt 0x0
	v_pk_mul_f32 v[112:113], v[108:109], v[100:101] op_sel:[0,1]
	v_pk_fma_f32 v[114:115], v[108:109], v[98:99], v[112:113] op_sel:[0,0,1] op_sel_hi:[1,1,0] neg_lo:[0,0,1] neg_hi:[0,0,1]
	v_pk_fma_f32 v[108:109], v[108:109], v[98:99], v[112:113] op_sel:[0,0,1] op_sel_hi:[1,0,0]
	v_dual_mul_f32 v112, v111, v101 :: v_dual_mov_b32 v108, v111
	s_delay_alu instid0(VALU_DEP_2) | instskip(NEXT) | instid1(VALU_DEP_2)
	v_dual_mov_b32 v115, v109 :: v_dual_mov_b32 v109, v110
	v_pk_fma_f32 v[112:113], v[110:111], v[34:35], v[112:113] op_sel_hi:[1,1,0] neg_lo:[0,0,1] neg_hi:[0,0,1]
	v_mul_f32_e32 v110, v111, v98
	s_delay_alu instid0(VALU_DEP_3) | instskip(NEXT) | instid1(VALU_DEP_2)
	v_pk_add_f32 v[54:55], v[54:55], v[114:115] neg_lo:[0,1] neg_hi:[0,1]
	v_pk_fma_f32 v[108:109], v[108:109], v[34:35], v[110:111] op_sel_hi:[1,1,0]
	s_delay_alu instid0(VALU_DEP_1)
	v_mov_b32_e32 v113, v109
	ds_load_2addr_b64 v[108:111], v102 offset0:44 offset1:45
	v_pk_add_f32 v[40:41], v[40:41], v[112:113] neg_lo:[0,1] neg_hi:[0,1]
	s_wait_dscnt 0x0
	v_pk_mul_f32 v[112:113], v[108:109], v[100:101] op_sel:[0,1]
	v_mul_f32_e32 v100, v111, v101
	s_delay_alu instid0(VALU_DEP_2) | instskip(SKIP_2) | instid1(VALU_DEP_4)
	v_pk_fma_f32 v[114:115], v[108:109], v[98:99], v[112:113] op_sel:[0,0,1] op_sel_hi:[1,1,0] neg_lo:[0,0,1] neg_hi:[0,0,1]
	v_pk_fma_f32 v[108:109], v[108:109], v[98:99], v[112:113] op_sel:[0,0,1] op_sel_hi:[1,0,0]
	v_dual_mov_b32 v108, v111 :: v_dual_mul_f32 v98, v111, v98
	v_pk_fma_f32 v[100:101], v[110:111], v[34:35], v[100:101] op_sel_hi:[1,1,0] neg_lo:[0,0,1] neg_hi:[0,0,1]
	s_delay_alu instid0(VALU_DEP_3) | instskip(NEXT) | instid1(VALU_DEP_1)
	v_dual_mov_b32 v115, v109 :: v_dual_mov_b32 v109, v110
	v_pk_add_f32 v[14:15], v[14:15], v[114:115] neg_lo:[0,1] neg_hi:[0,1]
	s_delay_alu instid0(VALU_DEP_2) | instskip(NEXT) | instid1(VALU_DEP_1)
	v_pk_fma_f32 v[98:99], v[108:109], v[34:35], v[98:99] op_sel_hi:[1,1,0]
	v_mov_b32_e32 v101, v99
	s_delay_alu instid0(VALU_DEP_1)
	v_pk_add_f32 v[96:97], v[96:97], v[100:101] neg_lo:[0,1] neg_hi:[0,1]
.LBB90_209:
	s_or_b32 exec_lo, exec_lo, s0
	v_lshl_add_u32 v98, v106, 3, v102
	s_barrier_signal -1
	s_barrier_wait -1
	ds_store_b64 v98, v[38:39]
	s_wait_dscnt 0x0
	s_barrier_signal -1
	s_barrier_wait -1
	ds_load_b64 v[100:101], v102 offset:80
	v_mov_b32_e32 v98, 10
	s_cmp_lt_i32 s18, 12
	s_cbranch_scc1 .LBB90_212
; %bb.210:
	v_add3_u32 v99, v103, 0, 0x58
	v_mov_b32_e32 v98, 10
	s_mov_b32 s0, 11
.LBB90_211:                             ; =>This Inner Loop Header: Depth=1
	ds_load_b64 v[108:109], v99
	s_wait_dscnt 0x1
	v_cmp_gt_f32_e32 vcc_lo, 0, v100
	v_cndmask_b32_e64 v110, v100, -v100, vcc_lo
	v_cmp_gt_f32_e32 vcc_lo, 0, v101
	v_cndmask_b32_e64 v112, v101, -v101, vcc_lo
	s_wait_dscnt 0x0
	v_cmp_gt_f32_e32 vcc_lo, 0, v108
	v_cndmask_b32_e64 v111, v108, -v108, vcc_lo
	v_cmp_gt_f32_e32 vcc_lo, 0, v109
	v_cndmask_b32_e64 v113, v109, -v109, vcc_lo
	s_delay_alu instid0(VALU_DEP_1) | instskip(NEXT) | instid1(VALU_DEP_1)
	v_pk_add_f32 v[110:111], v[110:111], v[112:113]
	v_cmp_lt_f32_e32 vcc_lo, v110, v111
	v_dual_add_nc_u32 v99, 8, v99 :: v_dual_cndmask_b32 v101, v101, v109, vcc_lo
	v_cndmask_b32_e32 v100, v100, v108, vcc_lo
	v_cndmask_b32_e64 v98, v98, s0, vcc_lo
	s_add_co_i32 s0, s0, 1
	s_delay_alu instid0(SALU_CYCLE_1)
	s_cmp_lg_u32 s18, s0
	s_cbranch_scc1 .LBB90_211
.LBB90_212:
	s_wait_dscnt 0x0
	v_cmp_eq_f32_e32 vcc_lo, 0, v100
	v_cmp_eq_f32_e64 s0, 0, v101
	s_and_b32 s0, vcc_lo, s0
	s_delay_alu instid0(SALU_CYCLE_1) | instskip(NEXT) | instid1(SALU_CYCLE_1)
	s_and_saveexec_b32 s1, s0
	s_xor_b32 s0, exec_lo, s1
; %bb.213:
	v_cmp_ne_u32_e32 vcc_lo, 0, v104
	v_cndmask_b32_e32 v104, 11, v104, vcc_lo
; %bb.214:
	s_and_not1_saveexec_b32 s0, s0
	s_cbranch_execz .LBB90_220
; %bb.215:
	v_cmp_ngt_f32_e64 s1, |v100|, |v101|
	s_and_saveexec_b32 s12, s1
	s_delay_alu instid0(SALU_CYCLE_1)
	s_xor_b32 s1, exec_lo, s12
	s_cbranch_execz .LBB90_217
; %bb.216:
	v_div_scale_f32 v99, null, v101, v101, v100
	v_div_scale_f32 v109, vcc_lo, v100, v101, v100
	s_delay_alu instid0(VALU_DEP_2) | instskip(SKIP_1) | instid1(TRANS32_DEP_1)
	v_rcp_f32_e32 v107, v99
	v_nop
	v_fma_f32 v108, -v99, v107, 1.0
	s_delay_alu instid0(VALU_DEP_1) | instskip(NEXT) | instid1(VALU_DEP_1)
	v_fmac_f32_e32 v107, v108, v107
	v_mul_f32_e32 v108, v109, v107
	s_delay_alu instid0(VALU_DEP_1) | instskip(NEXT) | instid1(VALU_DEP_1)
	v_fma_f32 v110, -v99, v108, v109
	v_fmac_f32_e32 v108, v110, v107
	s_delay_alu instid0(VALU_DEP_1) | instskip(NEXT) | instid1(VALU_DEP_1)
	v_fma_f32 v99, -v99, v108, v109
	v_div_fmas_f32 v99, v99, v107, v108
	s_delay_alu instid0(VALU_DEP_1) | instskip(NEXT) | instid1(VALU_DEP_1)
	v_div_fixup_f32 v99, v99, v101, v100
	v_fmac_f32_e32 v101, v100, v99
	s_delay_alu instid0(VALU_DEP_1) | instskip(SKIP_1) | instid1(VALU_DEP_2)
	v_div_scale_f32 v100, null, v101, v101, 1.0
	v_div_scale_f32 v109, vcc_lo, 1.0, v101, 1.0
	v_rcp_f32_e32 v107, v100
	v_nop
	s_delay_alu instid0(TRANS32_DEP_1) | instskip(NEXT) | instid1(VALU_DEP_1)
	v_fma_f32 v108, -v100, v107, 1.0
	v_fmac_f32_e32 v107, v108, v107
	s_delay_alu instid0(VALU_DEP_1) | instskip(NEXT) | instid1(VALU_DEP_1)
	v_mul_f32_e32 v108, v109, v107
	v_fma_f32 v110, -v100, v108, v109
	s_delay_alu instid0(VALU_DEP_1) | instskip(NEXT) | instid1(VALU_DEP_1)
	v_fmac_f32_e32 v108, v110, v107
	v_fma_f32 v100, -v100, v108, v109
	s_delay_alu instid0(VALU_DEP_1) | instskip(NEXT) | instid1(VALU_DEP_1)
	v_div_fmas_f32 v100, v100, v107, v108
	v_div_fixup_f32 v101, v100, v101, 1.0
	s_delay_alu instid0(VALU_DEP_1)
	v_mul_f32_e32 v100, v99, v101
	v_xor_b32_e32 v101, 0x80000000, v101
.LBB90_217:
	s_and_not1_saveexec_b32 s1, s1
	s_cbranch_execz .LBB90_219
; %bb.218:
	s_delay_alu instid0(VALU_DEP_1) | instskip(SKIP_1) | instid1(VALU_DEP_2)
	v_div_scale_f32 v99, null, v100, v100, v101
	v_div_scale_f32 v109, vcc_lo, v101, v100, v101
	v_rcp_f32_e32 v107, v99
	v_nop
	s_delay_alu instid0(TRANS32_DEP_1) | instskip(NEXT) | instid1(VALU_DEP_1)
	v_fma_f32 v108, -v99, v107, 1.0
	v_fmac_f32_e32 v107, v108, v107
	s_delay_alu instid0(VALU_DEP_1) | instskip(NEXT) | instid1(VALU_DEP_1)
	v_mul_f32_e32 v108, v109, v107
	v_fma_f32 v110, -v99, v108, v109
	s_delay_alu instid0(VALU_DEP_1) | instskip(NEXT) | instid1(VALU_DEP_1)
	v_fmac_f32_e32 v108, v110, v107
	v_fma_f32 v99, -v99, v108, v109
	s_delay_alu instid0(VALU_DEP_1) | instskip(NEXT) | instid1(VALU_DEP_1)
	v_div_fmas_f32 v99, v99, v107, v108
	v_div_fixup_f32 v99, v99, v100, v101
	s_delay_alu instid0(VALU_DEP_1) | instskip(NEXT) | instid1(VALU_DEP_1)
	v_fmac_f32_e32 v100, v101, v99
	v_div_scale_f32 v101, null, v100, v100, 1.0
	s_delay_alu instid0(VALU_DEP_1) | instskip(SKIP_1) | instid1(TRANS32_DEP_1)
	v_rcp_f32_e32 v107, v101
	v_nop
	v_fma_f32 v108, -v101, v107, 1.0
	s_delay_alu instid0(VALU_DEP_1) | instskip(SKIP_1) | instid1(VALU_DEP_1)
	v_fmac_f32_e32 v107, v108, v107
	v_div_scale_f32 v108, vcc_lo, 1.0, v100, 1.0
	v_mul_f32_e32 v109, v108, v107
	s_delay_alu instid0(VALU_DEP_1) | instskip(NEXT) | instid1(VALU_DEP_1)
	v_fma_f32 v110, -v101, v109, v108
	v_fmac_f32_e32 v109, v110, v107
	s_delay_alu instid0(VALU_DEP_1) | instskip(NEXT) | instid1(VALU_DEP_1)
	v_fma_f32 v101, -v101, v109, v108
	v_div_fmas_f32 v101, v101, v107, v109
	s_delay_alu instid0(VALU_DEP_1) | instskip(NEXT) | instid1(VALU_DEP_1)
	v_div_fixup_f32 v100, v101, v100, 1.0
	v_mul_f32_e64 v101, v99, -v100
.LBB90_219:
	s_or_b32 exec_lo, exec_lo, s1
.LBB90_220:
	s_delay_alu instid0(SALU_CYCLE_1) | instskip(NEXT) | instid1(SALU_CYCLE_1)
	s_or_b32 exec_lo, exec_lo, s0
	s_mov_b32 s0, exec_lo
	v_cmpx_ne_u32_e64 v106, v98
	s_xor_b32 s0, exec_lo, s0
	s_cbranch_execz .LBB90_226
; %bb.221:
	s_mov_b32 s1, exec_lo
	v_cmpx_eq_u32_e32 10, v106
	s_cbranch_execz .LBB90_225
; %bb.222:
	v_cmp_ne_u32_e32 vcc_lo, 10, v98
	s_xor_b32 s12, s16, -1
	s_delay_alu instid0(SALU_CYCLE_1) | instskip(NEXT) | instid1(SALU_CYCLE_1)
	s_and_b32 s13, s12, vcc_lo
	s_and_saveexec_b32 s12, s13
	s_cbranch_execz .LBB90_224
; %bb.223:
	v_ashrrev_i32_e32 v99, 31, v98
	s_delay_alu instid0(VALU_DEP_1)
	v_lshl_add_u64 v[106:107], v[98:99], 2, v[4:5]
	s_clause 0x1
	global_load_b32 v99, v[106:107], off
	global_load_b32 v105, v[4:5], off offset:40
	s_wait_loadcnt 0x1
	global_store_b32 v[4:5], v99, off offset:40
	s_wait_loadcnt 0x0
	global_store_b32 v[106:107], v105, off
.LBB90_224:
	s_wait_xcnt 0x0
	s_or_b32 exec_lo, exec_lo, s12
	v_dual_mov_b32 v106, v98 :: v_dual_mov_b32 v105, v98
.LBB90_225:
	s_or_b32 exec_lo, exec_lo, s1
.LBB90_226:
	s_and_not1_saveexec_b32 s0, s0
	s_cbranch_execz .LBB90_228
; %bb.227:
	v_mov_b32_e32 v106, 10
	ds_store_2addr_b64 v102, v[32:33], v[86:87] offset0:11 offset1:12
	ds_store_2addr_b64 v102, v[64:65], v[66:67] offset0:13 offset1:14
	ds_store_2addr_b64 v102, v[62:63], v[84:85] offset0:15 offset1:16
	ds_store_2addr_b64 v102, v[58:59], v[60:61] offset0:17 offset1:18
	ds_store_2addr_b64 v102, v[56:57], v[82:83] offset0:19 offset1:20
	ds_store_2addr_b64 v102, v[50:51], v[52:53] offset0:21 offset1:22
	ds_store_2addr_b64 v102, v[48:49], v[80:81] offset0:23 offset1:24
	ds_store_2addr_b64 v102, v[44:45], v[46:47] offset0:25 offset1:26
	ds_store_2addr_b64 v102, v[42:43], v[76:77] offset0:27 offset1:28
	ds_store_2addr_b64 v102, v[30:31], v[36:37] offset0:29 offset1:30
	ds_store_2addr_b64 v102, v[28:29], v[72:73] offset0:31 offset1:32
	ds_store_2addr_b64 v102, v[18:19], v[24:25] offset0:33 offset1:34
	ds_store_2addr_b64 v102, v[16:17], v[70:71] offset0:35 offset1:36
	ds_store_2addr_b64 v102, v[10:11], v[12:13] offset0:37 offset1:38
	ds_store_2addr_b64 v102, v[8:9], v[68:69] offset0:39 offset1:40
	ds_store_2addr_b64 v102, v[6:7], v[54:55] offset0:41 offset1:42
	ds_store_2addr_b64 v102, v[40:41], v[14:15] offset0:43 offset1:44
	ds_store_b64 v102, v[96:97] offset:360
.LBB90_228:
	s_or_b32 exec_lo, exec_lo, s0
	s_delay_alu instid0(SALU_CYCLE_1)
	s_mov_b32 s0, exec_lo
	s_wait_storecnt_dscnt 0x0
	s_barrier_signal -1
	s_barrier_wait -1
	v_cmpx_lt_i32_e32 10, v106
	s_cbranch_execz .LBB90_230
; %bb.229:
	v_pk_mul_f32 v[108:109], v[100:101], v[38:39] op_sel:[1,1] op_sel_hi:[0,1]
	s_delay_alu instid0(VALU_DEP_1)
	v_pk_fma_f32 v[98:99], v[100:101], v[38:39], v[108:109] op_sel_hi:[1,0,1] neg_lo:[0,0,1] neg_hi:[0,0,1]
	v_pk_fma_f32 v[100:101], v[100:101], v[38:39], v[108:109] op_sel_hi:[1,0,1]
	ds_load_2addr_b64 v[108:111], v102 offset0:11 offset1:12
	v_dual_mov_b32 v38, v98 :: v_dual_mov_b32 v39, v101
	s_wait_dscnt 0x0
	v_pk_mul_f32 v[112:113], v[108:109], v[100:101] op_sel:[0,1]
	s_delay_alu instid0(VALU_DEP_1) | instskip(SKIP_1) | instid1(VALU_DEP_1)
	v_pk_fma_f32 v[114:115], v[108:109], v[98:99], v[112:113] op_sel:[0,0,1] op_sel_hi:[1,1,0] neg_lo:[0,0,1] neg_hi:[0,0,1]
	v_pk_fma_f32 v[108:109], v[108:109], v[98:99], v[112:113] op_sel:[0,0,1] op_sel_hi:[1,0,0]
	v_mov_b32_e32 v115, v109
	v_pk_mul_f32 v[108:109], v[110:111], v[100:101] op_sel:[0,1]
	s_delay_alu instid0(VALU_DEP_1) | instskip(SKIP_1) | instid1(VALU_DEP_1)
	v_pk_fma_f32 v[112:113], v[110:111], v[98:99], v[108:109] op_sel:[0,0,1] op_sel_hi:[1,1,0] neg_lo:[0,0,1] neg_hi:[0,0,1]
	v_pk_fma_f32 v[108:109], v[110:111], v[98:99], v[108:109] op_sel:[0,0,1] op_sel_hi:[1,0,0]
	v_mov_b32_e32 v113, v109
	ds_load_2addr_b64 v[108:111], v102 offset0:13 offset1:14
	v_pk_add_f32 v[32:33], v[32:33], v[114:115] neg_lo:[0,1] neg_hi:[0,1]
	v_pk_add_f32 v[86:87], v[86:87], v[112:113] neg_lo:[0,1] neg_hi:[0,1]
	s_wait_dscnt 0x0
	v_pk_mul_f32 v[112:113], v[108:109], v[100:101] op_sel:[0,1]
	s_delay_alu instid0(VALU_DEP_1) | instskip(SKIP_2) | instid1(VALU_DEP_2)
	v_pk_fma_f32 v[114:115], v[108:109], v[98:99], v[112:113] op_sel:[0,0,1] op_sel_hi:[1,1,0] neg_lo:[0,0,1] neg_hi:[0,0,1]
	v_pk_fma_f32 v[108:109], v[108:109], v[98:99], v[112:113] op_sel:[0,0,1] op_sel_hi:[1,0,0]
	v_dual_mul_f32 v112, v111, v101 :: v_dual_mov_b32 v108, v111
	v_dual_mov_b32 v115, v109 :: v_dual_mov_b32 v109, v110
	s_delay_alu instid0(VALU_DEP_2) | instskip(SKIP_1) | instid1(VALU_DEP_3)
	v_pk_fma_f32 v[112:113], v[110:111], v[38:39], v[112:113] op_sel_hi:[1,1,0] neg_lo:[0,0,1] neg_hi:[0,0,1]
	v_mul_f32_e32 v110, v111, v98
	v_pk_add_f32 v[64:65], v[64:65], v[114:115] neg_lo:[0,1] neg_hi:[0,1]
	s_delay_alu instid0(VALU_DEP_2) | instskip(NEXT) | instid1(VALU_DEP_1)
	v_pk_fma_f32 v[108:109], v[108:109], v[38:39], v[110:111] op_sel_hi:[1,1,0]
	v_mov_b32_e32 v113, v109
	ds_load_2addr_b64 v[108:111], v102 offset0:15 offset1:16
	v_pk_add_f32 v[66:67], v[66:67], v[112:113] neg_lo:[0,1] neg_hi:[0,1]
	s_wait_dscnt 0x0
	v_pk_mul_f32 v[112:113], v[108:109], v[100:101] op_sel:[0,1]
	s_delay_alu instid0(VALU_DEP_1) | instskip(SKIP_1) | instid1(VALU_DEP_1)
	v_pk_fma_f32 v[114:115], v[108:109], v[98:99], v[112:113] op_sel:[0,0,1] op_sel_hi:[1,1,0] neg_lo:[0,0,1] neg_hi:[0,0,1]
	v_pk_fma_f32 v[108:109], v[108:109], v[98:99], v[112:113] op_sel:[0,0,1] op_sel_hi:[1,0,0]
	v_mov_b32_e32 v115, v109
	v_pk_mul_f32 v[108:109], v[110:111], v[100:101] op_sel:[0,1]
	s_delay_alu instid0(VALU_DEP_1) | instskip(SKIP_1) | instid1(VALU_DEP_1)
	v_pk_fma_f32 v[112:113], v[110:111], v[98:99], v[108:109] op_sel:[0,0,1] op_sel_hi:[1,1,0] neg_lo:[0,0,1] neg_hi:[0,0,1]
	v_pk_fma_f32 v[108:109], v[110:111], v[98:99], v[108:109] op_sel:[0,0,1] op_sel_hi:[1,0,0]
	v_mov_b32_e32 v113, v109
	ds_load_2addr_b64 v[108:111], v102 offset0:17 offset1:18
	v_pk_add_f32 v[62:63], v[62:63], v[114:115] neg_lo:[0,1] neg_hi:[0,1]
	v_pk_add_f32 v[84:85], v[84:85], v[112:113] neg_lo:[0,1] neg_hi:[0,1]
	s_wait_dscnt 0x0
	v_pk_mul_f32 v[112:113], v[108:109], v[100:101] op_sel:[0,1]
	s_delay_alu instid0(VALU_DEP_1) | instskip(SKIP_1) | instid1(VALU_DEP_1)
	v_pk_fma_f32 v[114:115], v[108:109], v[98:99], v[112:113] op_sel:[0,0,1] op_sel_hi:[1,1,0] neg_lo:[0,0,1] neg_hi:[0,0,1]
	v_pk_fma_f32 v[108:109], v[108:109], v[98:99], v[112:113] op_sel:[0,0,1] op_sel_hi:[1,0,0]
	v_mov_b32_e32 v115, v109
	v_pk_mul_f32 v[108:109], v[110:111], v[100:101] op_sel:[0,1]
	s_delay_alu instid0(VALU_DEP_1) | instskip(SKIP_1) | instid1(VALU_DEP_1)
	v_pk_fma_f32 v[112:113], v[110:111], v[98:99], v[108:109] op_sel:[0,0,1] op_sel_hi:[1,1,0] neg_lo:[0,0,1] neg_hi:[0,0,1]
	v_pk_fma_f32 v[108:109], v[110:111], v[98:99], v[108:109] op_sel:[0,0,1] op_sel_hi:[1,0,0]
	v_mov_b32_e32 v113, v109
	ds_load_2addr_b64 v[108:111], v102 offset0:19 offset1:20
	v_pk_add_f32 v[58:59], v[58:59], v[114:115] neg_lo:[0,1] neg_hi:[0,1]
	v_pk_add_f32 v[60:61], v[60:61], v[112:113] neg_lo:[0,1] neg_hi:[0,1]
	s_wait_dscnt 0x0
	v_dual_mul_f32 v112, v109, v101 :: v_dual_mul_f32 v114, v109, v98
	s_delay_alu instid0(VALU_DEP_1) | instskip(NEXT) | instid1(VALU_DEP_2)
	v_pk_fma_f32 v[112:113], v[108:109], v[38:39], v[112:113] op_sel_hi:[1,1,0] neg_lo:[0,0,1] neg_hi:[0,0,1]
	v_pk_fma_f32 v[108:109], v[108:109], v[38:39], v[114:115] op_sel:[1,0,0] op_sel_hi:[0,1,0]
	s_delay_alu instid0(VALU_DEP_1) | instskip(SKIP_1) | instid1(VALU_DEP_2)
	v_mov_b32_e32 v113, v109
	v_pk_mul_f32 v[108:109], v[110:111], v[100:101] op_sel:[0,1]
	v_pk_add_f32 v[56:57], v[56:57], v[112:113] neg_lo:[0,1] neg_hi:[0,1]
	s_delay_alu instid0(VALU_DEP_2) | instskip(SKIP_1) | instid1(VALU_DEP_1)
	v_pk_fma_f32 v[112:113], v[110:111], v[98:99], v[108:109] op_sel:[0,0,1] op_sel_hi:[1,1,0] neg_lo:[0,0,1] neg_hi:[0,0,1]
	v_pk_fma_f32 v[108:109], v[110:111], v[98:99], v[108:109] op_sel:[0,0,1] op_sel_hi:[1,0,0]
	v_mov_b32_e32 v113, v109
	ds_load_2addr_b64 v[108:111], v102 offset0:21 offset1:22
	v_pk_add_f32 v[82:83], v[82:83], v[112:113] neg_lo:[0,1] neg_hi:[0,1]
	s_wait_dscnt 0x0
	v_pk_mul_f32 v[112:113], v[108:109], v[100:101] op_sel:[0,1]
	s_delay_alu instid0(VALU_DEP_1) | instskip(SKIP_1) | instid1(VALU_DEP_1)
	v_pk_fma_f32 v[114:115], v[108:109], v[98:99], v[112:113] op_sel:[0,0,1] op_sel_hi:[1,1,0] neg_lo:[0,0,1] neg_hi:[0,0,1]
	v_pk_fma_f32 v[108:109], v[108:109], v[98:99], v[112:113] op_sel:[0,0,1] op_sel_hi:[1,0,0]
	v_mov_b32_e32 v115, v109
	v_pk_mul_f32 v[108:109], v[110:111], v[100:101] op_sel:[0,1]
	s_delay_alu instid0(VALU_DEP_2) | instskip(NEXT) | instid1(VALU_DEP_2)
	v_pk_add_f32 v[50:51], v[50:51], v[114:115] neg_lo:[0,1] neg_hi:[0,1]
	v_pk_fma_f32 v[112:113], v[110:111], v[98:99], v[108:109] op_sel:[0,0,1] op_sel_hi:[1,1,0] neg_lo:[0,0,1] neg_hi:[0,0,1]
	v_pk_fma_f32 v[108:109], v[110:111], v[98:99], v[108:109] op_sel:[0,0,1] op_sel_hi:[1,0,0]
	s_delay_alu instid0(VALU_DEP_1) | instskip(SKIP_4) | instid1(VALU_DEP_1)
	v_mov_b32_e32 v113, v109
	ds_load_2addr_b64 v[108:111], v102 offset0:23 offset1:24
	v_pk_add_f32 v[52:53], v[52:53], v[112:113] neg_lo:[0,1] neg_hi:[0,1]
	s_wait_dscnt 0x0
	v_pk_mul_f32 v[112:113], v[108:109], v[100:101] op_sel:[0,1]
	v_pk_fma_f32 v[114:115], v[108:109], v[98:99], v[112:113] op_sel:[0,0,1] op_sel_hi:[1,1,0] neg_lo:[0,0,1] neg_hi:[0,0,1]
	v_pk_fma_f32 v[108:109], v[108:109], v[98:99], v[112:113] op_sel:[0,0,1] op_sel_hi:[1,0,0]
	v_dual_mul_f32 v112, v111, v101 :: v_dual_mov_b32 v108, v111
	s_delay_alu instid0(VALU_DEP_2) | instskip(NEXT) | instid1(VALU_DEP_2)
	v_dual_mov_b32 v115, v109 :: v_dual_mov_b32 v109, v110
	v_pk_fma_f32 v[112:113], v[110:111], v[38:39], v[112:113] op_sel_hi:[1,1,0] neg_lo:[0,0,1] neg_hi:[0,0,1]
	v_mul_f32_e32 v110, v111, v98
	s_delay_alu instid0(VALU_DEP_3) | instskip(NEXT) | instid1(VALU_DEP_2)
	v_pk_add_f32 v[48:49], v[48:49], v[114:115] neg_lo:[0,1] neg_hi:[0,1]
	v_pk_fma_f32 v[108:109], v[108:109], v[38:39], v[110:111] op_sel_hi:[1,1,0]
	s_delay_alu instid0(VALU_DEP_1) | instskip(SKIP_4) | instid1(VALU_DEP_1)
	v_mov_b32_e32 v113, v109
	ds_load_2addr_b64 v[108:111], v102 offset0:25 offset1:26
	v_pk_add_f32 v[80:81], v[80:81], v[112:113] neg_lo:[0,1] neg_hi:[0,1]
	s_wait_dscnt 0x0
	v_pk_mul_f32 v[112:113], v[108:109], v[100:101] op_sel:[0,1]
	v_pk_fma_f32 v[114:115], v[108:109], v[98:99], v[112:113] op_sel:[0,0,1] op_sel_hi:[1,1,0] neg_lo:[0,0,1] neg_hi:[0,0,1]
	v_pk_fma_f32 v[108:109], v[108:109], v[98:99], v[112:113] op_sel:[0,0,1] op_sel_hi:[1,0,0]
	s_delay_alu instid0(VALU_DEP_1) | instskip(SKIP_1) | instid1(VALU_DEP_1)
	v_mov_b32_e32 v115, v109
	v_pk_mul_f32 v[108:109], v[110:111], v[100:101] op_sel:[0,1]
	v_pk_fma_f32 v[112:113], v[110:111], v[98:99], v[108:109] op_sel:[0,0,1] op_sel_hi:[1,1,0] neg_lo:[0,0,1] neg_hi:[0,0,1]
	v_pk_fma_f32 v[108:109], v[110:111], v[98:99], v[108:109] op_sel:[0,0,1] op_sel_hi:[1,0,0]
	s_delay_alu instid0(VALU_DEP_1)
	v_mov_b32_e32 v113, v109
	ds_load_2addr_b64 v[108:111], v102 offset0:27 offset1:28
	v_pk_add_f32 v[44:45], v[44:45], v[114:115] neg_lo:[0,1] neg_hi:[0,1]
	v_pk_add_f32 v[46:47], v[46:47], v[112:113] neg_lo:[0,1] neg_hi:[0,1]
	s_wait_dscnt 0x0
	v_pk_mul_f32 v[112:113], v[108:109], v[100:101] op_sel:[0,1]
	s_delay_alu instid0(VALU_DEP_1) | instskip(SKIP_1) | instid1(VALU_DEP_1)
	v_pk_fma_f32 v[114:115], v[108:109], v[98:99], v[112:113] op_sel:[0,0,1] op_sel_hi:[1,1,0] neg_lo:[0,0,1] neg_hi:[0,0,1]
	v_pk_fma_f32 v[108:109], v[108:109], v[98:99], v[112:113] op_sel:[0,0,1] op_sel_hi:[1,0,0]
	v_mov_b32_e32 v115, v109
	v_pk_mul_f32 v[108:109], v[110:111], v[100:101] op_sel:[0,1]
	s_delay_alu instid0(VALU_DEP_1) | instskip(SKIP_1) | instid1(VALU_DEP_1)
	v_pk_fma_f32 v[112:113], v[110:111], v[98:99], v[108:109] op_sel:[0,0,1] op_sel_hi:[1,1,0] neg_lo:[0,0,1] neg_hi:[0,0,1]
	v_pk_fma_f32 v[108:109], v[110:111], v[98:99], v[108:109] op_sel:[0,0,1] op_sel_hi:[1,0,0]
	v_mov_b32_e32 v113, v109
	ds_load_2addr_b64 v[108:111], v102 offset0:29 offset1:30
	v_pk_add_f32 v[42:43], v[42:43], v[114:115] neg_lo:[0,1] neg_hi:[0,1]
	v_pk_add_f32 v[76:77], v[76:77], v[112:113] neg_lo:[0,1] neg_hi:[0,1]
	s_wait_dscnt 0x0
	v_dual_mul_f32 v112, v109, v101 :: v_dual_mul_f32 v114, v109, v98
	s_delay_alu instid0(VALU_DEP_1) | instskip(NEXT) | instid1(VALU_DEP_2)
	v_pk_fma_f32 v[112:113], v[108:109], v[38:39], v[112:113] op_sel_hi:[1,1,0] neg_lo:[0,0,1] neg_hi:[0,0,1]
	v_pk_fma_f32 v[108:109], v[108:109], v[38:39], v[114:115] op_sel:[1,0,0] op_sel_hi:[0,1,0]
	s_delay_alu instid0(VALU_DEP_1) | instskip(SKIP_1) | instid1(VALU_DEP_2)
	v_mov_b32_e32 v113, v109
	v_pk_mul_f32 v[108:109], v[110:111], v[100:101] op_sel:[0,1]
	v_pk_add_f32 v[30:31], v[30:31], v[112:113] neg_lo:[0,1] neg_hi:[0,1]
	s_delay_alu instid0(VALU_DEP_2) | instskip(SKIP_1) | instid1(VALU_DEP_1)
	v_pk_fma_f32 v[112:113], v[110:111], v[98:99], v[108:109] op_sel:[0,0,1] op_sel_hi:[1,1,0] neg_lo:[0,0,1] neg_hi:[0,0,1]
	v_pk_fma_f32 v[108:109], v[110:111], v[98:99], v[108:109] op_sel:[0,0,1] op_sel_hi:[1,0,0]
	v_mov_b32_e32 v113, v109
	ds_load_2addr_b64 v[108:111], v102 offset0:31 offset1:32
	v_pk_add_f32 v[36:37], v[36:37], v[112:113] neg_lo:[0,1] neg_hi:[0,1]
	s_wait_dscnt 0x0
	v_pk_mul_f32 v[112:113], v[108:109], v[100:101] op_sel:[0,1]
	s_delay_alu instid0(VALU_DEP_1) | instskip(SKIP_1) | instid1(VALU_DEP_1)
	v_pk_fma_f32 v[114:115], v[108:109], v[98:99], v[112:113] op_sel:[0,0,1] op_sel_hi:[1,1,0] neg_lo:[0,0,1] neg_hi:[0,0,1]
	v_pk_fma_f32 v[108:109], v[108:109], v[98:99], v[112:113] op_sel:[0,0,1] op_sel_hi:[1,0,0]
	v_mov_b32_e32 v115, v109
	v_pk_mul_f32 v[108:109], v[110:111], v[100:101] op_sel:[0,1]
	s_delay_alu instid0(VALU_DEP_2) | instskip(NEXT) | instid1(VALU_DEP_2)
	v_pk_add_f32 v[28:29], v[28:29], v[114:115] neg_lo:[0,1] neg_hi:[0,1]
	v_pk_fma_f32 v[112:113], v[110:111], v[98:99], v[108:109] op_sel:[0,0,1] op_sel_hi:[1,1,0] neg_lo:[0,0,1] neg_hi:[0,0,1]
	v_pk_fma_f32 v[108:109], v[110:111], v[98:99], v[108:109] op_sel:[0,0,1] op_sel_hi:[1,0,0]
	s_delay_alu instid0(VALU_DEP_1) | instskip(SKIP_4) | instid1(VALU_DEP_1)
	v_mov_b32_e32 v113, v109
	ds_load_2addr_b64 v[108:111], v102 offset0:33 offset1:34
	v_pk_add_f32 v[72:73], v[72:73], v[112:113] neg_lo:[0,1] neg_hi:[0,1]
	s_wait_dscnt 0x0
	v_pk_mul_f32 v[112:113], v[108:109], v[100:101] op_sel:[0,1]
	v_pk_fma_f32 v[114:115], v[108:109], v[98:99], v[112:113] op_sel:[0,0,1] op_sel_hi:[1,1,0] neg_lo:[0,0,1] neg_hi:[0,0,1]
	v_pk_fma_f32 v[108:109], v[108:109], v[98:99], v[112:113] op_sel:[0,0,1] op_sel_hi:[1,0,0]
	v_dual_mul_f32 v112, v111, v101 :: v_dual_mov_b32 v108, v111
	s_delay_alu instid0(VALU_DEP_2) | instskip(NEXT) | instid1(VALU_DEP_2)
	v_dual_mov_b32 v115, v109 :: v_dual_mov_b32 v109, v110
	v_pk_fma_f32 v[112:113], v[110:111], v[38:39], v[112:113] op_sel_hi:[1,1,0] neg_lo:[0,0,1] neg_hi:[0,0,1]
	v_mul_f32_e32 v110, v111, v98
	s_delay_alu instid0(VALU_DEP_3) | instskip(NEXT) | instid1(VALU_DEP_2)
	v_pk_add_f32 v[18:19], v[18:19], v[114:115] neg_lo:[0,1] neg_hi:[0,1]
	v_pk_fma_f32 v[108:109], v[108:109], v[38:39], v[110:111] op_sel_hi:[1,1,0]
	s_delay_alu instid0(VALU_DEP_1) | instskip(SKIP_4) | instid1(VALU_DEP_1)
	v_mov_b32_e32 v113, v109
	ds_load_2addr_b64 v[108:111], v102 offset0:35 offset1:36
	v_pk_add_f32 v[24:25], v[24:25], v[112:113] neg_lo:[0,1] neg_hi:[0,1]
	s_wait_dscnt 0x0
	v_pk_mul_f32 v[112:113], v[108:109], v[100:101] op_sel:[0,1]
	v_pk_fma_f32 v[114:115], v[108:109], v[98:99], v[112:113] op_sel:[0,0,1] op_sel_hi:[1,1,0] neg_lo:[0,0,1] neg_hi:[0,0,1]
	v_pk_fma_f32 v[108:109], v[108:109], v[98:99], v[112:113] op_sel:[0,0,1] op_sel_hi:[1,0,0]
	s_delay_alu instid0(VALU_DEP_1) | instskip(SKIP_1) | instid1(VALU_DEP_1)
	v_mov_b32_e32 v115, v109
	v_pk_mul_f32 v[108:109], v[110:111], v[100:101] op_sel:[0,1]
	v_pk_fma_f32 v[112:113], v[110:111], v[98:99], v[108:109] op_sel:[0,0,1] op_sel_hi:[1,1,0] neg_lo:[0,0,1] neg_hi:[0,0,1]
	v_pk_fma_f32 v[108:109], v[110:111], v[98:99], v[108:109] op_sel:[0,0,1] op_sel_hi:[1,0,0]
	s_delay_alu instid0(VALU_DEP_1)
	v_mov_b32_e32 v113, v109
	ds_load_2addr_b64 v[108:111], v102 offset0:37 offset1:38
	v_pk_add_f32 v[16:17], v[16:17], v[114:115] neg_lo:[0,1] neg_hi:[0,1]
	v_pk_add_f32 v[70:71], v[70:71], v[112:113] neg_lo:[0,1] neg_hi:[0,1]
	s_wait_dscnt 0x0
	v_pk_mul_f32 v[112:113], v[108:109], v[100:101] op_sel:[0,1]
	s_delay_alu instid0(VALU_DEP_1) | instskip(SKIP_1) | instid1(VALU_DEP_1)
	v_pk_fma_f32 v[114:115], v[108:109], v[98:99], v[112:113] op_sel:[0,0,1] op_sel_hi:[1,1,0] neg_lo:[0,0,1] neg_hi:[0,0,1]
	v_pk_fma_f32 v[108:109], v[108:109], v[98:99], v[112:113] op_sel:[0,0,1] op_sel_hi:[1,0,0]
	v_mov_b32_e32 v115, v109
	v_pk_mul_f32 v[108:109], v[110:111], v[100:101] op_sel:[0,1]
	s_delay_alu instid0(VALU_DEP_1) | instskip(SKIP_1) | instid1(VALU_DEP_1)
	v_pk_fma_f32 v[112:113], v[110:111], v[98:99], v[108:109] op_sel:[0,0,1] op_sel_hi:[1,1,0] neg_lo:[0,0,1] neg_hi:[0,0,1]
	v_pk_fma_f32 v[108:109], v[110:111], v[98:99], v[108:109] op_sel:[0,0,1] op_sel_hi:[1,0,0]
	v_mov_b32_e32 v113, v109
	ds_load_2addr_b64 v[108:111], v102 offset0:39 offset1:40
	v_pk_add_f32 v[10:11], v[10:11], v[114:115] neg_lo:[0,1] neg_hi:[0,1]
	v_pk_add_f32 v[12:13], v[12:13], v[112:113] neg_lo:[0,1] neg_hi:[0,1]
	s_wait_dscnt 0x0
	v_dual_mul_f32 v112, v109, v101 :: v_dual_mul_f32 v114, v109, v98
	s_delay_alu instid0(VALU_DEP_1) | instskip(NEXT) | instid1(VALU_DEP_2)
	v_pk_fma_f32 v[112:113], v[108:109], v[38:39], v[112:113] op_sel_hi:[1,1,0] neg_lo:[0,0,1] neg_hi:[0,0,1]
	v_pk_fma_f32 v[108:109], v[108:109], v[38:39], v[114:115] op_sel:[1,0,0] op_sel_hi:[0,1,0]
	s_delay_alu instid0(VALU_DEP_1) | instskip(SKIP_1) | instid1(VALU_DEP_2)
	v_mov_b32_e32 v113, v109
	v_pk_mul_f32 v[108:109], v[110:111], v[100:101] op_sel:[0,1]
	v_pk_add_f32 v[8:9], v[8:9], v[112:113] neg_lo:[0,1] neg_hi:[0,1]
	s_delay_alu instid0(VALU_DEP_2) | instskip(SKIP_1) | instid1(VALU_DEP_1)
	v_pk_fma_f32 v[112:113], v[110:111], v[98:99], v[108:109] op_sel:[0,0,1] op_sel_hi:[1,1,0] neg_lo:[0,0,1] neg_hi:[0,0,1]
	v_pk_fma_f32 v[108:109], v[110:111], v[98:99], v[108:109] op_sel:[0,0,1] op_sel_hi:[1,0,0]
	v_mov_b32_e32 v113, v109
	ds_load_2addr_b64 v[108:111], v102 offset0:41 offset1:42
	v_pk_add_f32 v[68:69], v[68:69], v[112:113] neg_lo:[0,1] neg_hi:[0,1]
	s_wait_dscnt 0x0
	v_pk_mul_f32 v[112:113], v[108:109], v[100:101] op_sel:[0,1]
	s_delay_alu instid0(VALU_DEP_1) | instskip(SKIP_1) | instid1(VALU_DEP_1)
	v_pk_fma_f32 v[114:115], v[108:109], v[98:99], v[112:113] op_sel:[0,0,1] op_sel_hi:[1,1,0] neg_lo:[0,0,1] neg_hi:[0,0,1]
	v_pk_fma_f32 v[108:109], v[108:109], v[98:99], v[112:113] op_sel:[0,0,1] op_sel_hi:[1,0,0]
	v_mov_b32_e32 v115, v109
	v_pk_mul_f32 v[108:109], v[110:111], v[100:101] op_sel:[0,1]
	s_delay_alu instid0(VALU_DEP_2) | instskip(NEXT) | instid1(VALU_DEP_2)
	v_pk_add_f32 v[6:7], v[6:7], v[114:115] neg_lo:[0,1] neg_hi:[0,1]
	v_pk_fma_f32 v[112:113], v[110:111], v[98:99], v[108:109] op_sel:[0,0,1] op_sel_hi:[1,1,0] neg_lo:[0,0,1] neg_hi:[0,0,1]
	v_pk_fma_f32 v[108:109], v[110:111], v[98:99], v[108:109] op_sel:[0,0,1] op_sel_hi:[1,0,0]
	s_delay_alu instid0(VALU_DEP_1) | instskip(SKIP_4) | instid1(VALU_DEP_1)
	v_mov_b32_e32 v113, v109
	ds_load_2addr_b64 v[108:111], v102 offset0:43 offset1:44
	v_pk_add_f32 v[54:55], v[54:55], v[112:113] neg_lo:[0,1] neg_hi:[0,1]
	s_wait_dscnt 0x0
	v_pk_mul_f32 v[112:113], v[108:109], v[100:101] op_sel:[0,1]
	v_pk_fma_f32 v[114:115], v[108:109], v[98:99], v[112:113] op_sel:[0,0,1] op_sel_hi:[1,1,0] neg_lo:[0,0,1] neg_hi:[0,0,1]
	v_pk_fma_f32 v[108:109], v[108:109], v[98:99], v[112:113] op_sel:[0,0,1] op_sel_hi:[1,0,0]
	v_dual_mul_f32 v112, v111, v101 :: v_dual_mov_b32 v108, v111
	s_delay_alu instid0(VALU_DEP_2) | instskip(NEXT) | instid1(VALU_DEP_2)
	v_dual_mov_b32 v115, v109 :: v_dual_mov_b32 v109, v110
	v_pk_fma_f32 v[112:113], v[110:111], v[38:39], v[112:113] op_sel_hi:[1,1,0] neg_lo:[0,0,1] neg_hi:[0,0,1]
	v_mul_f32_e32 v110, v111, v98
	s_delay_alu instid0(VALU_DEP_3) | instskip(NEXT) | instid1(VALU_DEP_2)
	v_pk_add_f32 v[40:41], v[40:41], v[114:115] neg_lo:[0,1] neg_hi:[0,1]
	v_pk_fma_f32 v[108:109], v[108:109], v[38:39], v[110:111] op_sel_hi:[1,1,0]
	s_delay_alu instid0(VALU_DEP_1) | instskip(SKIP_4) | instid1(VALU_DEP_1)
	v_mov_b32_e32 v113, v109
	ds_load_b64 v[108:109], v102 offset:360
	v_pk_add_f32 v[14:15], v[14:15], v[112:113] neg_lo:[0,1] neg_hi:[0,1]
	s_wait_dscnt 0x0
	v_pk_mul_f32 v[100:101], v[108:109], v[100:101] op_sel:[0,1]
	v_pk_fma_f32 v[110:111], v[108:109], v[98:99], v[100:101] op_sel:[0,0,1] op_sel_hi:[1,1,0] neg_lo:[0,0,1] neg_hi:[0,0,1]
	v_pk_fma_f32 v[98:99], v[108:109], v[98:99], v[100:101] op_sel:[0,0,1] op_sel_hi:[1,0,0]
	s_delay_alu instid0(VALU_DEP_1) | instskip(NEXT) | instid1(VALU_DEP_1)
	v_mov_b32_e32 v111, v99
	v_pk_add_f32 v[96:97], v[96:97], v[110:111] neg_lo:[0,1] neg_hi:[0,1]
.LBB90_230:
	s_or_b32 exec_lo, exec_lo, s0
	v_lshl_add_u32 v98, v106, 3, v102
	s_barrier_signal -1
	s_barrier_wait -1
	ds_store_b64 v98, v[32:33]
	s_wait_dscnt 0x0
	s_barrier_signal -1
	s_barrier_wait -1
	ds_load_b64 v[100:101], v102 offset:88
	v_mov_b32_e32 v98, 11
	s_cmp_lt_i32 s18, 13
	s_cbranch_scc1 .LBB90_233
; %bb.231:
	v_add3_u32 v99, v103, 0, 0x60
	v_mov_b32_e32 v98, 11
	s_mov_b32 s0, 12
.LBB90_232:                             ; =>This Inner Loop Header: Depth=1
	ds_load_b64 v[108:109], v99
	s_wait_dscnt 0x1
	v_cmp_gt_f32_e32 vcc_lo, 0, v100
	v_cndmask_b32_e64 v110, v100, -v100, vcc_lo
	v_cmp_gt_f32_e32 vcc_lo, 0, v101
	v_cndmask_b32_e64 v112, v101, -v101, vcc_lo
	s_wait_dscnt 0x0
	v_cmp_gt_f32_e32 vcc_lo, 0, v108
	v_cndmask_b32_e64 v111, v108, -v108, vcc_lo
	v_cmp_gt_f32_e32 vcc_lo, 0, v109
	v_cndmask_b32_e64 v113, v109, -v109, vcc_lo
	s_delay_alu instid0(VALU_DEP_1) | instskip(NEXT) | instid1(VALU_DEP_1)
	v_pk_add_f32 v[110:111], v[110:111], v[112:113]
	v_cmp_lt_f32_e32 vcc_lo, v110, v111
	v_dual_add_nc_u32 v99, 8, v99 :: v_dual_cndmask_b32 v101, v101, v109, vcc_lo
	v_cndmask_b32_e32 v100, v100, v108, vcc_lo
	v_cndmask_b32_e64 v98, v98, s0, vcc_lo
	s_add_co_i32 s0, s0, 1
	s_delay_alu instid0(SALU_CYCLE_1)
	s_cmp_lg_u32 s18, s0
	s_cbranch_scc1 .LBB90_232
.LBB90_233:
	s_wait_dscnt 0x0
	v_cmp_eq_f32_e32 vcc_lo, 0, v100
	v_cmp_eq_f32_e64 s0, 0, v101
	s_and_b32 s0, vcc_lo, s0
	s_delay_alu instid0(SALU_CYCLE_1) | instskip(NEXT) | instid1(SALU_CYCLE_1)
	s_and_saveexec_b32 s1, s0
	s_xor_b32 s0, exec_lo, s1
; %bb.234:
	v_cmp_ne_u32_e32 vcc_lo, 0, v104
	v_cndmask_b32_e32 v104, 12, v104, vcc_lo
; %bb.235:
	s_and_not1_saveexec_b32 s0, s0
	s_cbranch_execz .LBB90_241
; %bb.236:
	v_cmp_ngt_f32_e64 s1, |v100|, |v101|
	s_and_saveexec_b32 s12, s1
	s_delay_alu instid0(SALU_CYCLE_1)
	s_xor_b32 s1, exec_lo, s12
	s_cbranch_execz .LBB90_238
; %bb.237:
	v_div_scale_f32 v99, null, v101, v101, v100
	v_div_scale_f32 v109, vcc_lo, v100, v101, v100
	s_delay_alu instid0(VALU_DEP_2) | instskip(SKIP_1) | instid1(TRANS32_DEP_1)
	v_rcp_f32_e32 v107, v99
	v_nop
	v_fma_f32 v108, -v99, v107, 1.0
	s_delay_alu instid0(VALU_DEP_1) | instskip(NEXT) | instid1(VALU_DEP_1)
	v_fmac_f32_e32 v107, v108, v107
	v_mul_f32_e32 v108, v109, v107
	s_delay_alu instid0(VALU_DEP_1) | instskip(NEXT) | instid1(VALU_DEP_1)
	v_fma_f32 v110, -v99, v108, v109
	v_fmac_f32_e32 v108, v110, v107
	s_delay_alu instid0(VALU_DEP_1) | instskip(NEXT) | instid1(VALU_DEP_1)
	v_fma_f32 v99, -v99, v108, v109
	v_div_fmas_f32 v99, v99, v107, v108
	s_delay_alu instid0(VALU_DEP_1) | instskip(NEXT) | instid1(VALU_DEP_1)
	v_div_fixup_f32 v99, v99, v101, v100
	v_fmac_f32_e32 v101, v100, v99
	s_delay_alu instid0(VALU_DEP_1) | instskip(SKIP_1) | instid1(VALU_DEP_2)
	v_div_scale_f32 v100, null, v101, v101, 1.0
	v_div_scale_f32 v109, vcc_lo, 1.0, v101, 1.0
	v_rcp_f32_e32 v107, v100
	v_nop
	s_delay_alu instid0(TRANS32_DEP_1) | instskip(NEXT) | instid1(VALU_DEP_1)
	v_fma_f32 v108, -v100, v107, 1.0
	v_fmac_f32_e32 v107, v108, v107
	s_delay_alu instid0(VALU_DEP_1) | instskip(NEXT) | instid1(VALU_DEP_1)
	v_mul_f32_e32 v108, v109, v107
	v_fma_f32 v110, -v100, v108, v109
	s_delay_alu instid0(VALU_DEP_1) | instskip(NEXT) | instid1(VALU_DEP_1)
	v_fmac_f32_e32 v108, v110, v107
	v_fma_f32 v100, -v100, v108, v109
	s_delay_alu instid0(VALU_DEP_1) | instskip(NEXT) | instid1(VALU_DEP_1)
	v_div_fmas_f32 v100, v100, v107, v108
	v_div_fixup_f32 v101, v100, v101, 1.0
	s_delay_alu instid0(VALU_DEP_1)
	v_mul_f32_e32 v100, v99, v101
	v_xor_b32_e32 v101, 0x80000000, v101
.LBB90_238:
	s_and_not1_saveexec_b32 s1, s1
	s_cbranch_execz .LBB90_240
; %bb.239:
	s_delay_alu instid0(VALU_DEP_1) | instskip(SKIP_1) | instid1(VALU_DEP_2)
	v_div_scale_f32 v99, null, v100, v100, v101
	v_div_scale_f32 v109, vcc_lo, v101, v100, v101
	v_rcp_f32_e32 v107, v99
	v_nop
	s_delay_alu instid0(TRANS32_DEP_1) | instskip(NEXT) | instid1(VALU_DEP_1)
	v_fma_f32 v108, -v99, v107, 1.0
	v_fmac_f32_e32 v107, v108, v107
	s_delay_alu instid0(VALU_DEP_1) | instskip(NEXT) | instid1(VALU_DEP_1)
	v_mul_f32_e32 v108, v109, v107
	v_fma_f32 v110, -v99, v108, v109
	s_delay_alu instid0(VALU_DEP_1) | instskip(NEXT) | instid1(VALU_DEP_1)
	v_fmac_f32_e32 v108, v110, v107
	v_fma_f32 v99, -v99, v108, v109
	s_delay_alu instid0(VALU_DEP_1) | instskip(NEXT) | instid1(VALU_DEP_1)
	v_div_fmas_f32 v99, v99, v107, v108
	v_div_fixup_f32 v99, v99, v100, v101
	s_delay_alu instid0(VALU_DEP_1) | instskip(NEXT) | instid1(VALU_DEP_1)
	v_fmac_f32_e32 v100, v101, v99
	v_div_scale_f32 v101, null, v100, v100, 1.0
	s_delay_alu instid0(VALU_DEP_1) | instskip(SKIP_1) | instid1(TRANS32_DEP_1)
	v_rcp_f32_e32 v107, v101
	v_nop
	v_fma_f32 v108, -v101, v107, 1.0
	s_delay_alu instid0(VALU_DEP_1) | instskip(SKIP_1) | instid1(VALU_DEP_1)
	v_fmac_f32_e32 v107, v108, v107
	v_div_scale_f32 v108, vcc_lo, 1.0, v100, 1.0
	v_mul_f32_e32 v109, v108, v107
	s_delay_alu instid0(VALU_DEP_1) | instskip(NEXT) | instid1(VALU_DEP_1)
	v_fma_f32 v110, -v101, v109, v108
	v_fmac_f32_e32 v109, v110, v107
	s_delay_alu instid0(VALU_DEP_1) | instskip(NEXT) | instid1(VALU_DEP_1)
	v_fma_f32 v101, -v101, v109, v108
	v_div_fmas_f32 v101, v101, v107, v109
	s_delay_alu instid0(VALU_DEP_1) | instskip(NEXT) | instid1(VALU_DEP_1)
	v_div_fixup_f32 v100, v101, v100, 1.0
	v_mul_f32_e64 v101, v99, -v100
.LBB90_240:
	s_or_b32 exec_lo, exec_lo, s1
.LBB90_241:
	s_delay_alu instid0(SALU_CYCLE_1) | instskip(NEXT) | instid1(SALU_CYCLE_1)
	s_or_b32 exec_lo, exec_lo, s0
	s_mov_b32 s0, exec_lo
	v_cmpx_ne_u32_e64 v106, v98
	s_xor_b32 s0, exec_lo, s0
	s_cbranch_execz .LBB90_247
; %bb.242:
	s_mov_b32 s1, exec_lo
	v_cmpx_eq_u32_e32 11, v106
	s_cbranch_execz .LBB90_246
; %bb.243:
	v_cmp_ne_u32_e32 vcc_lo, 11, v98
	s_xor_b32 s12, s16, -1
	s_delay_alu instid0(SALU_CYCLE_1) | instskip(NEXT) | instid1(SALU_CYCLE_1)
	s_and_b32 s13, s12, vcc_lo
	s_and_saveexec_b32 s12, s13
	s_cbranch_execz .LBB90_245
; %bb.244:
	v_ashrrev_i32_e32 v99, 31, v98
	s_delay_alu instid0(VALU_DEP_1)
	v_lshl_add_u64 v[106:107], v[98:99], 2, v[4:5]
	s_clause 0x1
	global_load_b32 v99, v[106:107], off
	global_load_b32 v105, v[4:5], off offset:44
	s_wait_loadcnt 0x1
	global_store_b32 v[4:5], v99, off offset:44
	s_wait_loadcnt 0x0
	global_store_b32 v[106:107], v105, off
.LBB90_245:
	s_wait_xcnt 0x0
	s_or_b32 exec_lo, exec_lo, s12
	v_dual_mov_b32 v106, v98 :: v_dual_mov_b32 v105, v98
.LBB90_246:
	s_or_b32 exec_lo, exec_lo, s1
.LBB90_247:
	s_and_not1_saveexec_b32 s0, s0
	s_cbranch_execz .LBB90_249
; %bb.248:
	v_dual_mov_b32 v98, v86 :: v_dual_mov_b32 v99, v87
	v_dual_mov_b32 v106, v64 :: v_dual_mov_b32 v107, v65
	;; [unrolled: 1-line block ×12, first 2 shown]
	ds_store_2addr_b64 v102, v[98:99], v[106:107] offset0:12 offset1:13
	ds_store_2addr_b64 v102, v[108:109], v[110:111] offset0:14 offset1:15
	;; [unrolled: 1-line block ×6, first 2 shown]
	v_dual_mov_b32 v98, v80 :: v_dual_mov_b32 v99, v81
	v_dual_mov_b32 v106, v44 :: v_dual_mov_b32 v107, v45
	;; [unrolled: 1-line block ×12, first 2 shown]
	ds_store_2addr_b64 v102, v[98:99], v[106:107] offset0:24 offset1:25
	ds_store_2addr_b64 v102, v[108:109], v[110:111] offset0:26 offset1:27
	ds_store_2addr_b64 v102, v[112:113], v[114:115] offset0:28 offset1:29
	ds_store_2addr_b64 v102, v[116:117], v[118:119] offset0:30 offset1:31
	ds_store_2addr_b64 v102, v[120:121], v[122:123] offset0:32 offset1:33
	ds_store_2addr_b64 v102, v[124:125], v[126:127] offset0:34 offset1:35
	v_dual_mov_b32 v98, v70 :: v_dual_mov_b32 v99, v71
	v_dual_mov_b32 v108, v10 :: v_dual_mov_b32 v109, v11
	;; [unrolled: 1-line block ×9, first 2 shown]
	v_mov_b32_e32 v123, v15
	ds_store_2addr_b64 v102, v[98:99], v[108:109] offset0:36 offset1:37
	ds_store_2addr_b64 v102, v[110:111], v[112:113] offset0:38 offset1:39
	;; [unrolled: 1-line block ×5, first 2 shown]
.LBB90_249:
	s_or_b32 exec_lo, exec_lo, s0
	s_delay_alu instid0(SALU_CYCLE_1)
	s_mov_b32 s0, exec_lo
	s_wait_storecnt_dscnt 0x0
	s_barrier_signal -1
	s_barrier_wait -1
	v_cmpx_lt_i32_e32 11, v106
	s_cbranch_execz .LBB90_251
; %bb.250:
	v_pk_mul_f32 v[108:109], v[100:101], v[32:33] op_sel:[1,1] op_sel_hi:[0,1]
	s_delay_alu instid0(VALU_DEP_1)
	v_pk_fma_f32 v[98:99], v[100:101], v[32:33], v[108:109] op_sel_hi:[1,0,1] neg_lo:[0,0,1] neg_hi:[0,0,1]
	v_pk_fma_f32 v[100:101], v[100:101], v[32:33], v[108:109] op_sel_hi:[1,0,1]
	ds_load_2addr_b64 v[108:111], v102 offset0:12 offset1:13
	v_dual_mov_b32 v32, v98 :: v_dual_mov_b32 v33, v101
	s_wait_dscnt 0x0
	v_pk_mul_f32 v[112:113], v[108:109], v[100:101] op_sel:[0,1]
	s_delay_alu instid0(VALU_DEP_1) | instskip(SKIP_1) | instid1(VALU_DEP_1)
	v_pk_fma_f32 v[114:115], v[108:109], v[98:99], v[112:113] op_sel:[0,0,1] op_sel_hi:[1,1,0] neg_lo:[0,0,1] neg_hi:[0,0,1]
	v_pk_fma_f32 v[108:109], v[108:109], v[98:99], v[112:113] op_sel:[0,0,1] op_sel_hi:[1,0,0]
	v_mov_b32_e32 v115, v109
	v_pk_mul_f32 v[108:109], v[110:111], v[100:101] op_sel:[0,1]
	s_delay_alu instid0(VALU_DEP_1) | instskip(SKIP_1) | instid1(VALU_DEP_1)
	v_pk_fma_f32 v[112:113], v[110:111], v[98:99], v[108:109] op_sel:[0,0,1] op_sel_hi:[1,1,0] neg_lo:[0,0,1] neg_hi:[0,0,1]
	v_pk_fma_f32 v[108:109], v[110:111], v[98:99], v[108:109] op_sel:[0,0,1] op_sel_hi:[1,0,0]
	v_mov_b32_e32 v113, v109
	ds_load_2addr_b64 v[108:111], v102 offset0:14 offset1:15
	v_pk_add_f32 v[86:87], v[86:87], v[114:115] neg_lo:[0,1] neg_hi:[0,1]
	v_pk_add_f32 v[64:65], v[64:65], v[112:113] neg_lo:[0,1] neg_hi:[0,1]
	s_wait_dscnt 0x0
	v_pk_mul_f32 v[112:113], v[108:109], v[100:101] op_sel:[0,1]
	s_delay_alu instid0(VALU_DEP_1) | instskip(SKIP_2) | instid1(VALU_DEP_2)
	v_pk_fma_f32 v[114:115], v[108:109], v[98:99], v[112:113] op_sel:[0,0,1] op_sel_hi:[1,1,0] neg_lo:[0,0,1] neg_hi:[0,0,1]
	v_pk_fma_f32 v[108:109], v[108:109], v[98:99], v[112:113] op_sel:[0,0,1] op_sel_hi:[1,0,0]
	v_dual_mul_f32 v112, v111, v101 :: v_dual_mov_b32 v108, v111
	v_dual_mov_b32 v115, v109 :: v_dual_mov_b32 v109, v110
	s_delay_alu instid0(VALU_DEP_2) | instskip(SKIP_1) | instid1(VALU_DEP_3)
	v_pk_fma_f32 v[112:113], v[110:111], v[32:33], v[112:113] op_sel_hi:[1,1,0] neg_lo:[0,0,1] neg_hi:[0,0,1]
	v_mul_f32_e32 v110, v111, v98
	v_pk_add_f32 v[66:67], v[66:67], v[114:115] neg_lo:[0,1] neg_hi:[0,1]
	s_delay_alu instid0(VALU_DEP_2) | instskip(NEXT) | instid1(VALU_DEP_1)
	v_pk_fma_f32 v[108:109], v[108:109], v[32:33], v[110:111] op_sel_hi:[1,1,0]
	v_mov_b32_e32 v113, v109
	ds_load_2addr_b64 v[108:111], v102 offset0:16 offset1:17
	v_pk_add_f32 v[62:63], v[62:63], v[112:113] neg_lo:[0,1] neg_hi:[0,1]
	s_wait_dscnt 0x0
	v_pk_mul_f32 v[112:113], v[108:109], v[100:101] op_sel:[0,1]
	s_delay_alu instid0(VALU_DEP_1) | instskip(SKIP_1) | instid1(VALU_DEP_1)
	v_pk_fma_f32 v[114:115], v[108:109], v[98:99], v[112:113] op_sel:[0,0,1] op_sel_hi:[1,1,0] neg_lo:[0,0,1] neg_hi:[0,0,1]
	v_pk_fma_f32 v[108:109], v[108:109], v[98:99], v[112:113] op_sel:[0,0,1] op_sel_hi:[1,0,0]
	v_mov_b32_e32 v115, v109
	v_pk_mul_f32 v[108:109], v[110:111], v[100:101] op_sel:[0,1]
	s_delay_alu instid0(VALU_DEP_1) | instskip(SKIP_1) | instid1(VALU_DEP_1)
	v_pk_fma_f32 v[112:113], v[110:111], v[98:99], v[108:109] op_sel:[0,0,1] op_sel_hi:[1,1,0] neg_lo:[0,0,1] neg_hi:[0,0,1]
	v_pk_fma_f32 v[108:109], v[110:111], v[98:99], v[108:109] op_sel:[0,0,1] op_sel_hi:[1,0,0]
	v_mov_b32_e32 v113, v109
	ds_load_2addr_b64 v[108:111], v102 offset0:18 offset1:19
	v_pk_add_f32 v[84:85], v[84:85], v[114:115] neg_lo:[0,1] neg_hi:[0,1]
	v_pk_add_f32 v[58:59], v[58:59], v[112:113] neg_lo:[0,1] neg_hi:[0,1]
	s_wait_dscnt 0x0
	v_pk_mul_f32 v[112:113], v[108:109], v[100:101] op_sel:[0,1]
	s_delay_alu instid0(VALU_DEP_1) | instskip(SKIP_1) | instid1(VALU_DEP_1)
	v_pk_fma_f32 v[114:115], v[108:109], v[98:99], v[112:113] op_sel:[0,0,1] op_sel_hi:[1,1,0] neg_lo:[0,0,1] neg_hi:[0,0,1]
	v_pk_fma_f32 v[108:109], v[108:109], v[98:99], v[112:113] op_sel:[0,0,1] op_sel_hi:[1,0,0]
	v_mov_b32_e32 v115, v109
	v_pk_mul_f32 v[108:109], v[110:111], v[100:101] op_sel:[0,1]
	s_delay_alu instid0(VALU_DEP_1) | instskip(SKIP_1) | instid1(VALU_DEP_1)
	v_pk_fma_f32 v[112:113], v[110:111], v[98:99], v[108:109] op_sel:[0,0,1] op_sel_hi:[1,1,0] neg_lo:[0,0,1] neg_hi:[0,0,1]
	v_pk_fma_f32 v[108:109], v[110:111], v[98:99], v[108:109] op_sel:[0,0,1] op_sel_hi:[1,0,0]
	v_mov_b32_e32 v113, v109
	ds_load_2addr_b64 v[108:111], v102 offset0:20 offset1:21
	v_pk_add_f32 v[60:61], v[60:61], v[114:115] neg_lo:[0,1] neg_hi:[0,1]
	v_pk_add_f32 v[56:57], v[56:57], v[112:113] neg_lo:[0,1] neg_hi:[0,1]
	s_wait_dscnt 0x0
	v_dual_mul_f32 v112, v109, v101 :: v_dual_mul_f32 v114, v109, v98
	s_delay_alu instid0(VALU_DEP_1) | instskip(NEXT) | instid1(VALU_DEP_2)
	v_pk_fma_f32 v[112:113], v[108:109], v[32:33], v[112:113] op_sel_hi:[1,1,0] neg_lo:[0,0,1] neg_hi:[0,0,1]
	v_pk_fma_f32 v[108:109], v[108:109], v[32:33], v[114:115] op_sel:[1,0,0] op_sel_hi:[0,1,0]
	s_delay_alu instid0(VALU_DEP_1) | instskip(SKIP_1) | instid1(VALU_DEP_2)
	v_mov_b32_e32 v113, v109
	v_pk_mul_f32 v[108:109], v[110:111], v[100:101] op_sel:[0,1]
	v_pk_add_f32 v[82:83], v[82:83], v[112:113] neg_lo:[0,1] neg_hi:[0,1]
	s_delay_alu instid0(VALU_DEP_2) | instskip(SKIP_1) | instid1(VALU_DEP_1)
	v_pk_fma_f32 v[112:113], v[110:111], v[98:99], v[108:109] op_sel:[0,0,1] op_sel_hi:[1,1,0] neg_lo:[0,0,1] neg_hi:[0,0,1]
	v_pk_fma_f32 v[108:109], v[110:111], v[98:99], v[108:109] op_sel:[0,0,1] op_sel_hi:[1,0,0]
	v_mov_b32_e32 v113, v109
	ds_load_2addr_b64 v[108:111], v102 offset0:22 offset1:23
	v_pk_add_f32 v[50:51], v[50:51], v[112:113] neg_lo:[0,1] neg_hi:[0,1]
	s_wait_dscnt 0x0
	v_pk_mul_f32 v[112:113], v[108:109], v[100:101] op_sel:[0,1]
	s_delay_alu instid0(VALU_DEP_1) | instskip(SKIP_1) | instid1(VALU_DEP_1)
	v_pk_fma_f32 v[114:115], v[108:109], v[98:99], v[112:113] op_sel:[0,0,1] op_sel_hi:[1,1,0] neg_lo:[0,0,1] neg_hi:[0,0,1]
	v_pk_fma_f32 v[108:109], v[108:109], v[98:99], v[112:113] op_sel:[0,0,1] op_sel_hi:[1,0,0]
	v_mov_b32_e32 v115, v109
	v_pk_mul_f32 v[108:109], v[110:111], v[100:101] op_sel:[0,1]
	s_delay_alu instid0(VALU_DEP_2) | instskip(NEXT) | instid1(VALU_DEP_2)
	v_pk_add_f32 v[52:53], v[52:53], v[114:115] neg_lo:[0,1] neg_hi:[0,1]
	v_pk_fma_f32 v[112:113], v[110:111], v[98:99], v[108:109] op_sel:[0,0,1] op_sel_hi:[1,1,0] neg_lo:[0,0,1] neg_hi:[0,0,1]
	v_pk_fma_f32 v[108:109], v[110:111], v[98:99], v[108:109] op_sel:[0,0,1] op_sel_hi:[1,0,0]
	s_delay_alu instid0(VALU_DEP_1) | instskip(SKIP_4) | instid1(VALU_DEP_1)
	v_mov_b32_e32 v113, v109
	ds_load_2addr_b64 v[108:111], v102 offset0:24 offset1:25
	v_pk_add_f32 v[48:49], v[48:49], v[112:113] neg_lo:[0,1] neg_hi:[0,1]
	s_wait_dscnt 0x0
	v_pk_mul_f32 v[112:113], v[108:109], v[100:101] op_sel:[0,1]
	v_pk_fma_f32 v[114:115], v[108:109], v[98:99], v[112:113] op_sel:[0,0,1] op_sel_hi:[1,1,0] neg_lo:[0,0,1] neg_hi:[0,0,1]
	v_pk_fma_f32 v[108:109], v[108:109], v[98:99], v[112:113] op_sel:[0,0,1] op_sel_hi:[1,0,0]
	v_dual_mul_f32 v112, v111, v101 :: v_dual_mov_b32 v108, v111
	s_delay_alu instid0(VALU_DEP_2) | instskip(NEXT) | instid1(VALU_DEP_2)
	v_dual_mov_b32 v115, v109 :: v_dual_mov_b32 v109, v110
	v_pk_fma_f32 v[112:113], v[110:111], v[32:33], v[112:113] op_sel_hi:[1,1,0] neg_lo:[0,0,1] neg_hi:[0,0,1]
	v_mul_f32_e32 v110, v111, v98
	s_delay_alu instid0(VALU_DEP_3) | instskip(NEXT) | instid1(VALU_DEP_2)
	v_pk_add_f32 v[80:81], v[80:81], v[114:115] neg_lo:[0,1] neg_hi:[0,1]
	v_pk_fma_f32 v[108:109], v[108:109], v[32:33], v[110:111] op_sel_hi:[1,1,0]
	s_delay_alu instid0(VALU_DEP_1) | instskip(SKIP_4) | instid1(VALU_DEP_1)
	v_mov_b32_e32 v113, v109
	ds_load_2addr_b64 v[108:111], v102 offset0:26 offset1:27
	v_pk_add_f32 v[44:45], v[44:45], v[112:113] neg_lo:[0,1] neg_hi:[0,1]
	s_wait_dscnt 0x0
	v_pk_mul_f32 v[112:113], v[108:109], v[100:101] op_sel:[0,1]
	v_pk_fma_f32 v[114:115], v[108:109], v[98:99], v[112:113] op_sel:[0,0,1] op_sel_hi:[1,1,0] neg_lo:[0,0,1] neg_hi:[0,0,1]
	v_pk_fma_f32 v[108:109], v[108:109], v[98:99], v[112:113] op_sel:[0,0,1] op_sel_hi:[1,0,0]
	s_delay_alu instid0(VALU_DEP_1) | instskip(SKIP_1) | instid1(VALU_DEP_1)
	v_mov_b32_e32 v115, v109
	v_pk_mul_f32 v[108:109], v[110:111], v[100:101] op_sel:[0,1]
	v_pk_fma_f32 v[112:113], v[110:111], v[98:99], v[108:109] op_sel:[0,0,1] op_sel_hi:[1,1,0] neg_lo:[0,0,1] neg_hi:[0,0,1]
	v_pk_fma_f32 v[108:109], v[110:111], v[98:99], v[108:109] op_sel:[0,0,1] op_sel_hi:[1,0,0]
	s_delay_alu instid0(VALU_DEP_1)
	v_mov_b32_e32 v113, v109
	ds_load_2addr_b64 v[108:111], v102 offset0:28 offset1:29
	v_pk_add_f32 v[46:47], v[46:47], v[114:115] neg_lo:[0,1] neg_hi:[0,1]
	v_pk_add_f32 v[42:43], v[42:43], v[112:113] neg_lo:[0,1] neg_hi:[0,1]
	s_wait_dscnt 0x0
	v_pk_mul_f32 v[112:113], v[108:109], v[100:101] op_sel:[0,1]
	s_delay_alu instid0(VALU_DEP_1) | instskip(SKIP_1) | instid1(VALU_DEP_1)
	v_pk_fma_f32 v[114:115], v[108:109], v[98:99], v[112:113] op_sel:[0,0,1] op_sel_hi:[1,1,0] neg_lo:[0,0,1] neg_hi:[0,0,1]
	v_pk_fma_f32 v[108:109], v[108:109], v[98:99], v[112:113] op_sel:[0,0,1] op_sel_hi:[1,0,0]
	v_mov_b32_e32 v115, v109
	v_pk_mul_f32 v[108:109], v[110:111], v[100:101] op_sel:[0,1]
	s_delay_alu instid0(VALU_DEP_1) | instskip(SKIP_1) | instid1(VALU_DEP_1)
	v_pk_fma_f32 v[112:113], v[110:111], v[98:99], v[108:109] op_sel:[0,0,1] op_sel_hi:[1,1,0] neg_lo:[0,0,1] neg_hi:[0,0,1]
	v_pk_fma_f32 v[108:109], v[110:111], v[98:99], v[108:109] op_sel:[0,0,1] op_sel_hi:[1,0,0]
	v_mov_b32_e32 v113, v109
	ds_load_2addr_b64 v[108:111], v102 offset0:30 offset1:31
	v_pk_add_f32 v[76:77], v[76:77], v[114:115] neg_lo:[0,1] neg_hi:[0,1]
	v_pk_add_f32 v[30:31], v[30:31], v[112:113] neg_lo:[0,1] neg_hi:[0,1]
	s_wait_dscnt 0x0
	v_dual_mul_f32 v112, v109, v101 :: v_dual_mul_f32 v114, v109, v98
	s_delay_alu instid0(VALU_DEP_1) | instskip(NEXT) | instid1(VALU_DEP_2)
	v_pk_fma_f32 v[112:113], v[108:109], v[32:33], v[112:113] op_sel_hi:[1,1,0] neg_lo:[0,0,1] neg_hi:[0,0,1]
	v_pk_fma_f32 v[108:109], v[108:109], v[32:33], v[114:115] op_sel:[1,0,0] op_sel_hi:[0,1,0]
	s_delay_alu instid0(VALU_DEP_1) | instskip(SKIP_1) | instid1(VALU_DEP_2)
	v_mov_b32_e32 v113, v109
	v_pk_mul_f32 v[108:109], v[110:111], v[100:101] op_sel:[0,1]
	v_pk_add_f32 v[36:37], v[36:37], v[112:113] neg_lo:[0,1] neg_hi:[0,1]
	s_delay_alu instid0(VALU_DEP_2) | instskip(SKIP_1) | instid1(VALU_DEP_1)
	v_pk_fma_f32 v[112:113], v[110:111], v[98:99], v[108:109] op_sel:[0,0,1] op_sel_hi:[1,1,0] neg_lo:[0,0,1] neg_hi:[0,0,1]
	v_pk_fma_f32 v[108:109], v[110:111], v[98:99], v[108:109] op_sel:[0,0,1] op_sel_hi:[1,0,0]
	v_mov_b32_e32 v113, v109
	ds_load_2addr_b64 v[108:111], v102 offset0:32 offset1:33
	v_pk_add_f32 v[28:29], v[28:29], v[112:113] neg_lo:[0,1] neg_hi:[0,1]
	s_wait_dscnt 0x0
	v_pk_mul_f32 v[112:113], v[108:109], v[100:101] op_sel:[0,1]
	s_delay_alu instid0(VALU_DEP_1) | instskip(SKIP_1) | instid1(VALU_DEP_1)
	v_pk_fma_f32 v[114:115], v[108:109], v[98:99], v[112:113] op_sel:[0,0,1] op_sel_hi:[1,1,0] neg_lo:[0,0,1] neg_hi:[0,0,1]
	v_pk_fma_f32 v[108:109], v[108:109], v[98:99], v[112:113] op_sel:[0,0,1] op_sel_hi:[1,0,0]
	v_mov_b32_e32 v115, v109
	v_pk_mul_f32 v[108:109], v[110:111], v[100:101] op_sel:[0,1]
	s_delay_alu instid0(VALU_DEP_2) | instskip(NEXT) | instid1(VALU_DEP_2)
	v_pk_add_f32 v[72:73], v[72:73], v[114:115] neg_lo:[0,1] neg_hi:[0,1]
	v_pk_fma_f32 v[112:113], v[110:111], v[98:99], v[108:109] op_sel:[0,0,1] op_sel_hi:[1,1,0] neg_lo:[0,0,1] neg_hi:[0,0,1]
	v_pk_fma_f32 v[108:109], v[110:111], v[98:99], v[108:109] op_sel:[0,0,1] op_sel_hi:[1,0,0]
	s_delay_alu instid0(VALU_DEP_1) | instskip(SKIP_4) | instid1(VALU_DEP_1)
	v_mov_b32_e32 v113, v109
	ds_load_2addr_b64 v[108:111], v102 offset0:34 offset1:35
	v_pk_add_f32 v[18:19], v[18:19], v[112:113] neg_lo:[0,1] neg_hi:[0,1]
	s_wait_dscnt 0x0
	v_pk_mul_f32 v[112:113], v[108:109], v[100:101] op_sel:[0,1]
	v_pk_fma_f32 v[114:115], v[108:109], v[98:99], v[112:113] op_sel:[0,0,1] op_sel_hi:[1,1,0] neg_lo:[0,0,1] neg_hi:[0,0,1]
	v_pk_fma_f32 v[108:109], v[108:109], v[98:99], v[112:113] op_sel:[0,0,1] op_sel_hi:[1,0,0]
	v_dual_mul_f32 v112, v111, v101 :: v_dual_mov_b32 v108, v111
	s_delay_alu instid0(VALU_DEP_2) | instskip(NEXT) | instid1(VALU_DEP_2)
	v_dual_mov_b32 v115, v109 :: v_dual_mov_b32 v109, v110
	v_pk_fma_f32 v[112:113], v[110:111], v[32:33], v[112:113] op_sel_hi:[1,1,0] neg_lo:[0,0,1] neg_hi:[0,0,1]
	v_mul_f32_e32 v110, v111, v98
	s_delay_alu instid0(VALU_DEP_3) | instskip(NEXT) | instid1(VALU_DEP_2)
	v_pk_add_f32 v[24:25], v[24:25], v[114:115] neg_lo:[0,1] neg_hi:[0,1]
	v_pk_fma_f32 v[108:109], v[108:109], v[32:33], v[110:111] op_sel_hi:[1,1,0]
	s_delay_alu instid0(VALU_DEP_1) | instskip(SKIP_4) | instid1(VALU_DEP_1)
	v_mov_b32_e32 v113, v109
	ds_load_2addr_b64 v[108:111], v102 offset0:36 offset1:37
	v_pk_add_f32 v[16:17], v[16:17], v[112:113] neg_lo:[0,1] neg_hi:[0,1]
	s_wait_dscnt 0x0
	v_pk_mul_f32 v[112:113], v[108:109], v[100:101] op_sel:[0,1]
	v_pk_fma_f32 v[114:115], v[108:109], v[98:99], v[112:113] op_sel:[0,0,1] op_sel_hi:[1,1,0] neg_lo:[0,0,1] neg_hi:[0,0,1]
	v_pk_fma_f32 v[108:109], v[108:109], v[98:99], v[112:113] op_sel:[0,0,1] op_sel_hi:[1,0,0]
	s_delay_alu instid0(VALU_DEP_1) | instskip(SKIP_1) | instid1(VALU_DEP_1)
	v_mov_b32_e32 v115, v109
	v_pk_mul_f32 v[108:109], v[110:111], v[100:101] op_sel:[0,1]
	v_pk_fma_f32 v[112:113], v[110:111], v[98:99], v[108:109] op_sel:[0,0,1] op_sel_hi:[1,1,0] neg_lo:[0,0,1] neg_hi:[0,0,1]
	v_pk_fma_f32 v[108:109], v[110:111], v[98:99], v[108:109] op_sel:[0,0,1] op_sel_hi:[1,0,0]
	s_delay_alu instid0(VALU_DEP_1)
	v_mov_b32_e32 v113, v109
	ds_load_2addr_b64 v[108:111], v102 offset0:38 offset1:39
	v_pk_add_f32 v[70:71], v[70:71], v[114:115] neg_lo:[0,1] neg_hi:[0,1]
	v_pk_add_f32 v[10:11], v[10:11], v[112:113] neg_lo:[0,1] neg_hi:[0,1]
	s_wait_dscnt 0x0
	v_pk_mul_f32 v[112:113], v[108:109], v[100:101] op_sel:[0,1]
	s_delay_alu instid0(VALU_DEP_1) | instskip(SKIP_1) | instid1(VALU_DEP_1)
	v_pk_fma_f32 v[114:115], v[108:109], v[98:99], v[112:113] op_sel:[0,0,1] op_sel_hi:[1,1,0] neg_lo:[0,0,1] neg_hi:[0,0,1]
	v_pk_fma_f32 v[108:109], v[108:109], v[98:99], v[112:113] op_sel:[0,0,1] op_sel_hi:[1,0,0]
	v_mov_b32_e32 v115, v109
	v_pk_mul_f32 v[108:109], v[110:111], v[100:101] op_sel:[0,1]
	s_delay_alu instid0(VALU_DEP_1) | instskip(SKIP_1) | instid1(VALU_DEP_1)
	v_pk_fma_f32 v[112:113], v[110:111], v[98:99], v[108:109] op_sel:[0,0,1] op_sel_hi:[1,1,0] neg_lo:[0,0,1] neg_hi:[0,0,1]
	v_pk_fma_f32 v[108:109], v[110:111], v[98:99], v[108:109] op_sel:[0,0,1] op_sel_hi:[1,0,0]
	v_mov_b32_e32 v113, v109
	ds_load_2addr_b64 v[108:111], v102 offset0:40 offset1:41
	v_pk_add_f32 v[12:13], v[12:13], v[114:115] neg_lo:[0,1] neg_hi:[0,1]
	v_pk_add_f32 v[8:9], v[8:9], v[112:113] neg_lo:[0,1] neg_hi:[0,1]
	s_wait_dscnt 0x0
	v_dual_mul_f32 v112, v109, v101 :: v_dual_mul_f32 v114, v109, v98
	s_delay_alu instid0(VALU_DEP_1) | instskip(NEXT) | instid1(VALU_DEP_2)
	v_pk_fma_f32 v[112:113], v[108:109], v[32:33], v[112:113] op_sel_hi:[1,1,0] neg_lo:[0,0,1] neg_hi:[0,0,1]
	v_pk_fma_f32 v[108:109], v[108:109], v[32:33], v[114:115] op_sel:[1,0,0] op_sel_hi:[0,1,0]
	s_delay_alu instid0(VALU_DEP_1) | instskip(SKIP_1) | instid1(VALU_DEP_2)
	v_mov_b32_e32 v113, v109
	v_pk_mul_f32 v[108:109], v[110:111], v[100:101] op_sel:[0,1]
	v_pk_add_f32 v[68:69], v[68:69], v[112:113] neg_lo:[0,1] neg_hi:[0,1]
	s_delay_alu instid0(VALU_DEP_2) | instskip(SKIP_1) | instid1(VALU_DEP_1)
	v_pk_fma_f32 v[112:113], v[110:111], v[98:99], v[108:109] op_sel:[0,0,1] op_sel_hi:[1,1,0] neg_lo:[0,0,1] neg_hi:[0,0,1]
	v_pk_fma_f32 v[108:109], v[110:111], v[98:99], v[108:109] op_sel:[0,0,1] op_sel_hi:[1,0,0]
	v_mov_b32_e32 v113, v109
	ds_load_2addr_b64 v[108:111], v102 offset0:42 offset1:43
	v_pk_add_f32 v[6:7], v[6:7], v[112:113] neg_lo:[0,1] neg_hi:[0,1]
	s_wait_dscnt 0x0
	v_pk_mul_f32 v[112:113], v[108:109], v[100:101] op_sel:[0,1]
	s_delay_alu instid0(VALU_DEP_1) | instskip(SKIP_1) | instid1(VALU_DEP_1)
	v_pk_fma_f32 v[114:115], v[108:109], v[98:99], v[112:113] op_sel:[0,0,1] op_sel_hi:[1,1,0] neg_lo:[0,0,1] neg_hi:[0,0,1]
	v_pk_fma_f32 v[108:109], v[108:109], v[98:99], v[112:113] op_sel:[0,0,1] op_sel_hi:[1,0,0]
	v_mov_b32_e32 v115, v109
	v_pk_mul_f32 v[108:109], v[110:111], v[100:101] op_sel:[0,1]
	s_delay_alu instid0(VALU_DEP_2) | instskip(NEXT) | instid1(VALU_DEP_2)
	v_pk_add_f32 v[54:55], v[54:55], v[114:115] neg_lo:[0,1] neg_hi:[0,1]
	v_pk_fma_f32 v[112:113], v[110:111], v[98:99], v[108:109] op_sel:[0,0,1] op_sel_hi:[1,1,0] neg_lo:[0,0,1] neg_hi:[0,0,1]
	v_pk_fma_f32 v[108:109], v[110:111], v[98:99], v[108:109] op_sel:[0,0,1] op_sel_hi:[1,0,0]
	s_delay_alu instid0(VALU_DEP_1)
	v_mov_b32_e32 v113, v109
	ds_load_2addr_b64 v[108:111], v102 offset0:44 offset1:45
	v_pk_add_f32 v[40:41], v[40:41], v[112:113] neg_lo:[0,1] neg_hi:[0,1]
	s_wait_dscnt 0x0
	v_pk_mul_f32 v[112:113], v[108:109], v[100:101] op_sel:[0,1]
	v_pk_mul_f32 v[100:101], v[110:111], v[100:101] op_sel:[0,1]
	s_delay_alu instid0(VALU_DEP_2) | instskip(SKIP_1) | instid1(VALU_DEP_1)
	v_pk_fma_f32 v[114:115], v[108:109], v[98:99], v[112:113] op_sel:[0,0,1] op_sel_hi:[1,1,0] neg_lo:[0,0,1] neg_hi:[0,0,1]
	v_pk_fma_f32 v[108:109], v[108:109], v[98:99], v[112:113] op_sel:[0,0,1] op_sel_hi:[1,0,0]
	v_mov_b32_e32 v115, v109
	s_delay_alu instid0(VALU_DEP_4) | instskip(SKIP_1) | instid1(VALU_DEP_3)
	v_pk_fma_f32 v[108:109], v[110:111], v[98:99], v[100:101] op_sel:[0,0,1] op_sel_hi:[1,1,0] neg_lo:[0,0,1] neg_hi:[0,0,1]
	v_pk_fma_f32 v[98:99], v[110:111], v[98:99], v[100:101] op_sel:[0,0,1] op_sel_hi:[1,0,0]
	v_pk_add_f32 v[14:15], v[14:15], v[114:115] neg_lo:[0,1] neg_hi:[0,1]
	s_delay_alu instid0(VALU_DEP_2) | instskip(NEXT) | instid1(VALU_DEP_1)
	v_mov_b32_e32 v109, v99
	v_pk_add_f32 v[96:97], v[96:97], v[108:109] neg_lo:[0,1] neg_hi:[0,1]
.LBB90_251:
	s_or_b32 exec_lo, exec_lo, s0
	v_lshl_add_u32 v98, v106, 3, v102
	s_barrier_signal -1
	s_barrier_wait -1
	ds_store_b64 v98, v[86:87]
	s_wait_dscnt 0x0
	s_barrier_signal -1
	s_barrier_wait -1
	ds_load_b64 v[100:101], v102 offset:96
	v_mov_b32_e32 v98, 12
	s_cmp_lt_i32 s18, 14
	s_cbranch_scc1 .LBB90_254
; %bb.252:
	v_add3_u32 v99, v103, 0, 0x68
	v_mov_b32_e32 v98, 12
	s_mov_b32 s0, 13
.LBB90_253:                             ; =>This Inner Loop Header: Depth=1
	ds_load_b64 v[108:109], v99
	s_wait_dscnt 0x1
	v_cmp_gt_f32_e32 vcc_lo, 0, v100
	v_cndmask_b32_e64 v110, v100, -v100, vcc_lo
	v_cmp_gt_f32_e32 vcc_lo, 0, v101
	v_cndmask_b32_e64 v112, v101, -v101, vcc_lo
	s_wait_dscnt 0x0
	v_cmp_gt_f32_e32 vcc_lo, 0, v108
	v_cndmask_b32_e64 v111, v108, -v108, vcc_lo
	v_cmp_gt_f32_e32 vcc_lo, 0, v109
	v_cndmask_b32_e64 v113, v109, -v109, vcc_lo
	s_delay_alu instid0(VALU_DEP_1) | instskip(NEXT) | instid1(VALU_DEP_1)
	v_pk_add_f32 v[110:111], v[110:111], v[112:113]
	v_cmp_lt_f32_e32 vcc_lo, v110, v111
	v_dual_add_nc_u32 v99, 8, v99 :: v_dual_cndmask_b32 v101, v101, v109, vcc_lo
	v_cndmask_b32_e32 v100, v100, v108, vcc_lo
	v_cndmask_b32_e64 v98, v98, s0, vcc_lo
	s_add_co_i32 s0, s0, 1
	s_delay_alu instid0(SALU_CYCLE_1)
	s_cmp_lg_u32 s18, s0
	s_cbranch_scc1 .LBB90_253
.LBB90_254:
	s_wait_dscnt 0x0
	v_cmp_eq_f32_e32 vcc_lo, 0, v100
	v_cmp_eq_f32_e64 s0, 0, v101
	s_and_b32 s0, vcc_lo, s0
	s_delay_alu instid0(SALU_CYCLE_1) | instskip(NEXT) | instid1(SALU_CYCLE_1)
	s_and_saveexec_b32 s1, s0
	s_xor_b32 s0, exec_lo, s1
; %bb.255:
	v_cmp_ne_u32_e32 vcc_lo, 0, v104
	v_cndmask_b32_e32 v104, 13, v104, vcc_lo
; %bb.256:
	s_and_not1_saveexec_b32 s0, s0
	s_cbranch_execz .LBB90_262
; %bb.257:
	v_cmp_ngt_f32_e64 s1, |v100|, |v101|
	s_and_saveexec_b32 s12, s1
	s_delay_alu instid0(SALU_CYCLE_1)
	s_xor_b32 s1, exec_lo, s12
	s_cbranch_execz .LBB90_259
; %bb.258:
	v_div_scale_f32 v99, null, v101, v101, v100
	v_div_scale_f32 v109, vcc_lo, v100, v101, v100
	s_delay_alu instid0(VALU_DEP_2) | instskip(SKIP_1) | instid1(TRANS32_DEP_1)
	v_rcp_f32_e32 v107, v99
	v_nop
	v_fma_f32 v108, -v99, v107, 1.0
	s_delay_alu instid0(VALU_DEP_1) | instskip(NEXT) | instid1(VALU_DEP_1)
	v_fmac_f32_e32 v107, v108, v107
	v_mul_f32_e32 v108, v109, v107
	s_delay_alu instid0(VALU_DEP_1) | instskip(NEXT) | instid1(VALU_DEP_1)
	v_fma_f32 v110, -v99, v108, v109
	v_fmac_f32_e32 v108, v110, v107
	s_delay_alu instid0(VALU_DEP_1) | instskip(NEXT) | instid1(VALU_DEP_1)
	v_fma_f32 v99, -v99, v108, v109
	v_div_fmas_f32 v99, v99, v107, v108
	s_delay_alu instid0(VALU_DEP_1) | instskip(NEXT) | instid1(VALU_DEP_1)
	v_div_fixup_f32 v99, v99, v101, v100
	v_fmac_f32_e32 v101, v100, v99
	s_delay_alu instid0(VALU_DEP_1) | instskip(SKIP_1) | instid1(VALU_DEP_2)
	v_div_scale_f32 v100, null, v101, v101, 1.0
	v_div_scale_f32 v109, vcc_lo, 1.0, v101, 1.0
	v_rcp_f32_e32 v107, v100
	v_nop
	s_delay_alu instid0(TRANS32_DEP_1) | instskip(NEXT) | instid1(VALU_DEP_1)
	v_fma_f32 v108, -v100, v107, 1.0
	v_fmac_f32_e32 v107, v108, v107
	s_delay_alu instid0(VALU_DEP_1) | instskip(NEXT) | instid1(VALU_DEP_1)
	v_mul_f32_e32 v108, v109, v107
	v_fma_f32 v110, -v100, v108, v109
	s_delay_alu instid0(VALU_DEP_1) | instskip(NEXT) | instid1(VALU_DEP_1)
	v_fmac_f32_e32 v108, v110, v107
	v_fma_f32 v100, -v100, v108, v109
	s_delay_alu instid0(VALU_DEP_1) | instskip(NEXT) | instid1(VALU_DEP_1)
	v_div_fmas_f32 v100, v100, v107, v108
	v_div_fixup_f32 v101, v100, v101, 1.0
	s_delay_alu instid0(VALU_DEP_1)
	v_mul_f32_e32 v100, v99, v101
	v_xor_b32_e32 v101, 0x80000000, v101
.LBB90_259:
	s_and_not1_saveexec_b32 s1, s1
	s_cbranch_execz .LBB90_261
; %bb.260:
	s_delay_alu instid0(VALU_DEP_1) | instskip(SKIP_1) | instid1(VALU_DEP_2)
	v_div_scale_f32 v99, null, v100, v100, v101
	v_div_scale_f32 v109, vcc_lo, v101, v100, v101
	v_rcp_f32_e32 v107, v99
	v_nop
	s_delay_alu instid0(TRANS32_DEP_1) | instskip(NEXT) | instid1(VALU_DEP_1)
	v_fma_f32 v108, -v99, v107, 1.0
	v_fmac_f32_e32 v107, v108, v107
	s_delay_alu instid0(VALU_DEP_1) | instskip(NEXT) | instid1(VALU_DEP_1)
	v_mul_f32_e32 v108, v109, v107
	v_fma_f32 v110, -v99, v108, v109
	s_delay_alu instid0(VALU_DEP_1) | instskip(NEXT) | instid1(VALU_DEP_1)
	v_fmac_f32_e32 v108, v110, v107
	v_fma_f32 v99, -v99, v108, v109
	s_delay_alu instid0(VALU_DEP_1) | instskip(NEXT) | instid1(VALU_DEP_1)
	v_div_fmas_f32 v99, v99, v107, v108
	v_div_fixup_f32 v99, v99, v100, v101
	s_delay_alu instid0(VALU_DEP_1) | instskip(NEXT) | instid1(VALU_DEP_1)
	v_fmac_f32_e32 v100, v101, v99
	v_div_scale_f32 v101, null, v100, v100, 1.0
	s_delay_alu instid0(VALU_DEP_1) | instskip(SKIP_1) | instid1(TRANS32_DEP_1)
	v_rcp_f32_e32 v107, v101
	v_nop
	v_fma_f32 v108, -v101, v107, 1.0
	s_delay_alu instid0(VALU_DEP_1) | instskip(SKIP_1) | instid1(VALU_DEP_1)
	v_fmac_f32_e32 v107, v108, v107
	v_div_scale_f32 v108, vcc_lo, 1.0, v100, 1.0
	v_mul_f32_e32 v109, v108, v107
	s_delay_alu instid0(VALU_DEP_1) | instskip(NEXT) | instid1(VALU_DEP_1)
	v_fma_f32 v110, -v101, v109, v108
	v_fmac_f32_e32 v109, v110, v107
	s_delay_alu instid0(VALU_DEP_1) | instskip(NEXT) | instid1(VALU_DEP_1)
	v_fma_f32 v101, -v101, v109, v108
	v_div_fmas_f32 v101, v101, v107, v109
	s_delay_alu instid0(VALU_DEP_1) | instskip(NEXT) | instid1(VALU_DEP_1)
	v_div_fixup_f32 v100, v101, v100, 1.0
	v_mul_f32_e64 v101, v99, -v100
.LBB90_261:
	s_or_b32 exec_lo, exec_lo, s1
.LBB90_262:
	s_delay_alu instid0(SALU_CYCLE_1) | instskip(NEXT) | instid1(SALU_CYCLE_1)
	s_or_b32 exec_lo, exec_lo, s0
	s_mov_b32 s0, exec_lo
	v_cmpx_ne_u32_e64 v106, v98
	s_xor_b32 s0, exec_lo, s0
	s_cbranch_execz .LBB90_268
; %bb.263:
	s_mov_b32 s1, exec_lo
	v_cmpx_eq_u32_e32 12, v106
	s_cbranch_execz .LBB90_267
; %bb.264:
	v_cmp_ne_u32_e32 vcc_lo, 12, v98
	s_xor_b32 s12, s16, -1
	s_delay_alu instid0(SALU_CYCLE_1) | instskip(NEXT) | instid1(SALU_CYCLE_1)
	s_and_b32 s13, s12, vcc_lo
	s_and_saveexec_b32 s12, s13
	s_cbranch_execz .LBB90_266
; %bb.265:
	v_ashrrev_i32_e32 v99, 31, v98
	s_delay_alu instid0(VALU_DEP_1)
	v_lshl_add_u64 v[106:107], v[98:99], 2, v[4:5]
	s_clause 0x1
	global_load_b32 v99, v[106:107], off
	global_load_b32 v105, v[4:5], off offset:48
	s_wait_loadcnt 0x1
	global_store_b32 v[4:5], v99, off offset:48
	s_wait_loadcnt 0x0
	global_store_b32 v[106:107], v105, off
.LBB90_266:
	s_wait_xcnt 0x0
	s_or_b32 exec_lo, exec_lo, s12
	v_dual_mov_b32 v106, v98 :: v_dual_mov_b32 v105, v98
.LBB90_267:
	s_or_b32 exec_lo, exec_lo, s1
.LBB90_268:
	s_and_not1_saveexec_b32 s0, s0
	s_cbranch_execz .LBB90_270
; %bb.269:
	v_mov_b32_e32 v106, 12
	ds_store_2addr_b64 v102, v[64:65], v[66:67] offset0:13 offset1:14
	ds_store_2addr_b64 v102, v[62:63], v[84:85] offset0:15 offset1:16
	;; [unrolled: 1-line block ×16, first 2 shown]
	ds_store_b64 v102, v[96:97] offset:360
.LBB90_270:
	s_or_b32 exec_lo, exec_lo, s0
	s_delay_alu instid0(SALU_CYCLE_1)
	s_mov_b32 s0, exec_lo
	s_wait_storecnt_dscnt 0x0
	s_barrier_signal -1
	s_barrier_wait -1
	v_cmpx_lt_i32_e32 12, v106
	s_cbranch_execz .LBB90_272
; %bb.271:
	v_pk_mul_f32 v[108:109], v[100:101], v[86:87] op_sel:[1,1] op_sel_hi:[0,1]
	s_delay_alu instid0(VALU_DEP_1)
	v_pk_fma_f32 v[98:99], v[100:101], v[86:87], v[108:109] op_sel_hi:[1,0,1] neg_lo:[0,0,1] neg_hi:[0,0,1]
	v_pk_fma_f32 v[100:101], v[100:101], v[86:87], v[108:109] op_sel_hi:[1,0,1]
	ds_load_2addr_b64 v[108:111], v102 offset0:13 offset1:14
	v_dual_mov_b32 v86, v98 :: v_dual_mov_b32 v87, v101
	s_wait_dscnt 0x0
	v_pk_mul_f32 v[112:113], v[108:109], v[100:101] op_sel:[0,1]
	s_delay_alu instid0(VALU_DEP_1) | instskip(SKIP_1) | instid1(VALU_DEP_1)
	v_pk_fma_f32 v[114:115], v[108:109], v[98:99], v[112:113] op_sel:[0,0,1] op_sel_hi:[1,1,0] neg_lo:[0,0,1] neg_hi:[0,0,1]
	v_pk_fma_f32 v[108:109], v[108:109], v[98:99], v[112:113] op_sel:[0,0,1] op_sel_hi:[1,0,0]
	v_mov_b32_e32 v115, v109
	v_pk_mul_f32 v[108:109], v[110:111], v[100:101] op_sel:[0,1]
	s_delay_alu instid0(VALU_DEP_1) | instskip(SKIP_1) | instid1(VALU_DEP_1)
	v_pk_fma_f32 v[112:113], v[110:111], v[98:99], v[108:109] op_sel:[0,0,1] op_sel_hi:[1,1,0] neg_lo:[0,0,1] neg_hi:[0,0,1]
	v_pk_fma_f32 v[108:109], v[110:111], v[98:99], v[108:109] op_sel:[0,0,1] op_sel_hi:[1,0,0]
	v_mov_b32_e32 v113, v109
	ds_load_2addr_b64 v[108:111], v102 offset0:15 offset1:16
	v_pk_add_f32 v[64:65], v[64:65], v[114:115] neg_lo:[0,1] neg_hi:[0,1]
	v_pk_add_f32 v[66:67], v[66:67], v[112:113] neg_lo:[0,1] neg_hi:[0,1]
	s_wait_dscnt 0x0
	v_pk_mul_f32 v[112:113], v[108:109], v[100:101] op_sel:[0,1]
	s_delay_alu instid0(VALU_DEP_1) | instskip(SKIP_2) | instid1(VALU_DEP_2)
	v_pk_fma_f32 v[114:115], v[108:109], v[98:99], v[112:113] op_sel:[0,0,1] op_sel_hi:[1,1,0] neg_lo:[0,0,1] neg_hi:[0,0,1]
	v_pk_fma_f32 v[108:109], v[108:109], v[98:99], v[112:113] op_sel:[0,0,1] op_sel_hi:[1,0,0]
	v_dual_mul_f32 v112, v111, v101 :: v_dual_mov_b32 v108, v111
	v_dual_mov_b32 v115, v109 :: v_dual_mov_b32 v109, v110
	s_delay_alu instid0(VALU_DEP_2) | instskip(SKIP_1) | instid1(VALU_DEP_3)
	v_pk_fma_f32 v[112:113], v[110:111], v[86:87], v[112:113] op_sel_hi:[1,1,0] neg_lo:[0,0,1] neg_hi:[0,0,1]
	v_mul_f32_e32 v110, v111, v98
	v_pk_add_f32 v[62:63], v[62:63], v[114:115] neg_lo:[0,1] neg_hi:[0,1]
	s_delay_alu instid0(VALU_DEP_2) | instskip(NEXT) | instid1(VALU_DEP_1)
	v_pk_fma_f32 v[108:109], v[108:109], v[86:87], v[110:111] op_sel_hi:[1,1,0]
	v_mov_b32_e32 v113, v109
	ds_load_2addr_b64 v[108:111], v102 offset0:17 offset1:18
	v_pk_add_f32 v[84:85], v[84:85], v[112:113] neg_lo:[0,1] neg_hi:[0,1]
	s_wait_dscnt 0x0
	v_pk_mul_f32 v[112:113], v[108:109], v[100:101] op_sel:[0,1]
	s_delay_alu instid0(VALU_DEP_1) | instskip(SKIP_1) | instid1(VALU_DEP_1)
	v_pk_fma_f32 v[114:115], v[108:109], v[98:99], v[112:113] op_sel:[0,0,1] op_sel_hi:[1,1,0] neg_lo:[0,0,1] neg_hi:[0,0,1]
	v_pk_fma_f32 v[108:109], v[108:109], v[98:99], v[112:113] op_sel:[0,0,1] op_sel_hi:[1,0,0]
	v_mov_b32_e32 v115, v109
	v_pk_mul_f32 v[108:109], v[110:111], v[100:101] op_sel:[0,1]
	s_delay_alu instid0(VALU_DEP_1) | instskip(SKIP_1) | instid1(VALU_DEP_1)
	v_pk_fma_f32 v[112:113], v[110:111], v[98:99], v[108:109] op_sel:[0,0,1] op_sel_hi:[1,1,0] neg_lo:[0,0,1] neg_hi:[0,0,1]
	v_pk_fma_f32 v[108:109], v[110:111], v[98:99], v[108:109] op_sel:[0,0,1] op_sel_hi:[1,0,0]
	v_mov_b32_e32 v113, v109
	ds_load_2addr_b64 v[108:111], v102 offset0:19 offset1:20
	v_pk_add_f32 v[58:59], v[58:59], v[114:115] neg_lo:[0,1] neg_hi:[0,1]
	v_pk_add_f32 v[60:61], v[60:61], v[112:113] neg_lo:[0,1] neg_hi:[0,1]
	s_wait_dscnt 0x0
	v_pk_mul_f32 v[112:113], v[108:109], v[100:101] op_sel:[0,1]
	s_delay_alu instid0(VALU_DEP_1) | instskip(SKIP_1) | instid1(VALU_DEP_1)
	v_pk_fma_f32 v[114:115], v[108:109], v[98:99], v[112:113] op_sel:[0,0,1] op_sel_hi:[1,1,0] neg_lo:[0,0,1] neg_hi:[0,0,1]
	v_pk_fma_f32 v[108:109], v[108:109], v[98:99], v[112:113] op_sel:[0,0,1] op_sel_hi:[1,0,0]
	v_mov_b32_e32 v115, v109
	v_pk_mul_f32 v[108:109], v[110:111], v[100:101] op_sel:[0,1]
	s_delay_alu instid0(VALU_DEP_1) | instskip(SKIP_1) | instid1(VALU_DEP_1)
	v_pk_fma_f32 v[112:113], v[110:111], v[98:99], v[108:109] op_sel:[0,0,1] op_sel_hi:[1,1,0] neg_lo:[0,0,1] neg_hi:[0,0,1]
	v_pk_fma_f32 v[108:109], v[110:111], v[98:99], v[108:109] op_sel:[0,0,1] op_sel_hi:[1,0,0]
	v_mov_b32_e32 v113, v109
	ds_load_2addr_b64 v[108:111], v102 offset0:21 offset1:22
	v_pk_add_f32 v[56:57], v[56:57], v[114:115] neg_lo:[0,1] neg_hi:[0,1]
	v_pk_add_f32 v[82:83], v[82:83], v[112:113] neg_lo:[0,1] neg_hi:[0,1]
	s_wait_dscnt 0x0
	v_dual_mul_f32 v112, v109, v101 :: v_dual_mul_f32 v114, v109, v98
	s_delay_alu instid0(VALU_DEP_1) | instskip(NEXT) | instid1(VALU_DEP_2)
	v_pk_fma_f32 v[112:113], v[108:109], v[86:87], v[112:113] op_sel_hi:[1,1,0] neg_lo:[0,0,1] neg_hi:[0,0,1]
	v_pk_fma_f32 v[108:109], v[108:109], v[86:87], v[114:115] op_sel:[1,0,0] op_sel_hi:[0,1,0]
	s_delay_alu instid0(VALU_DEP_1) | instskip(SKIP_1) | instid1(VALU_DEP_2)
	v_mov_b32_e32 v113, v109
	v_pk_mul_f32 v[108:109], v[110:111], v[100:101] op_sel:[0,1]
	v_pk_add_f32 v[50:51], v[50:51], v[112:113] neg_lo:[0,1] neg_hi:[0,1]
	s_delay_alu instid0(VALU_DEP_2) | instskip(SKIP_1) | instid1(VALU_DEP_1)
	v_pk_fma_f32 v[112:113], v[110:111], v[98:99], v[108:109] op_sel:[0,0,1] op_sel_hi:[1,1,0] neg_lo:[0,0,1] neg_hi:[0,0,1]
	v_pk_fma_f32 v[108:109], v[110:111], v[98:99], v[108:109] op_sel:[0,0,1] op_sel_hi:[1,0,0]
	v_mov_b32_e32 v113, v109
	ds_load_2addr_b64 v[108:111], v102 offset0:23 offset1:24
	v_pk_add_f32 v[52:53], v[52:53], v[112:113] neg_lo:[0,1] neg_hi:[0,1]
	s_wait_dscnt 0x0
	v_pk_mul_f32 v[112:113], v[108:109], v[100:101] op_sel:[0,1]
	s_delay_alu instid0(VALU_DEP_1) | instskip(SKIP_1) | instid1(VALU_DEP_1)
	v_pk_fma_f32 v[114:115], v[108:109], v[98:99], v[112:113] op_sel:[0,0,1] op_sel_hi:[1,1,0] neg_lo:[0,0,1] neg_hi:[0,0,1]
	v_pk_fma_f32 v[108:109], v[108:109], v[98:99], v[112:113] op_sel:[0,0,1] op_sel_hi:[1,0,0]
	v_mov_b32_e32 v115, v109
	v_pk_mul_f32 v[108:109], v[110:111], v[100:101] op_sel:[0,1]
	s_delay_alu instid0(VALU_DEP_2) | instskip(NEXT) | instid1(VALU_DEP_2)
	v_pk_add_f32 v[48:49], v[48:49], v[114:115] neg_lo:[0,1] neg_hi:[0,1]
	v_pk_fma_f32 v[112:113], v[110:111], v[98:99], v[108:109] op_sel:[0,0,1] op_sel_hi:[1,1,0] neg_lo:[0,0,1] neg_hi:[0,0,1]
	v_pk_fma_f32 v[108:109], v[110:111], v[98:99], v[108:109] op_sel:[0,0,1] op_sel_hi:[1,0,0]
	s_delay_alu instid0(VALU_DEP_1) | instskip(SKIP_4) | instid1(VALU_DEP_1)
	v_mov_b32_e32 v113, v109
	ds_load_2addr_b64 v[108:111], v102 offset0:25 offset1:26
	v_pk_add_f32 v[80:81], v[80:81], v[112:113] neg_lo:[0,1] neg_hi:[0,1]
	s_wait_dscnt 0x0
	v_pk_mul_f32 v[112:113], v[108:109], v[100:101] op_sel:[0,1]
	v_pk_fma_f32 v[114:115], v[108:109], v[98:99], v[112:113] op_sel:[0,0,1] op_sel_hi:[1,1,0] neg_lo:[0,0,1] neg_hi:[0,0,1]
	v_pk_fma_f32 v[108:109], v[108:109], v[98:99], v[112:113] op_sel:[0,0,1] op_sel_hi:[1,0,0]
	v_dual_mul_f32 v112, v111, v101 :: v_dual_mov_b32 v108, v111
	s_delay_alu instid0(VALU_DEP_2) | instskip(NEXT) | instid1(VALU_DEP_2)
	v_dual_mov_b32 v115, v109 :: v_dual_mov_b32 v109, v110
	v_pk_fma_f32 v[112:113], v[110:111], v[86:87], v[112:113] op_sel_hi:[1,1,0] neg_lo:[0,0,1] neg_hi:[0,0,1]
	v_mul_f32_e32 v110, v111, v98
	s_delay_alu instid0(VALU_DEP_3) | instskip(NEXT) | instid1(VALU_DEP_2)
	v_pk_add_f32 v[44:45], v[44:45], v[114:115] neg_lo:[0,1] neg_hi:[0,1]
	v_pk_fma_f32 v[108:109], v[108:109], v[86:87], v[110:111] op_sel_hi:[1,1,0]
	s_delay_alu instid0(VALU_DEP_1) | instskip(SKIP_4) | instid1(VALU_DEP_1)
	v_mov_b32_e32 v113, v109
	ds_load_2addr_b64 v[108:111], v102 offset0:27 offset1:28
	v_pk_add_f32 v[46:47], v[46:47], v[112:113] neg_lo:[0,1] neg_hi:[0,1]
	s_wait_dscnt 0x0
	v_pk_mul_f32 v[112:113], v[108:109], v[100:101] op_sel:[0,1]
	v_pk_fma_f32 v[114:115], v[108:109], v[98:99], v[112:113] op_sel:[0,0,1] op_sel_hi:[1,1,0] neg_lo:[0,0,1] neg_hi:[0,0,1]
	v_pk_fma_f32 v[108:109], v[108:109], v[98:99], v[112:113] op_sel:[0,0,1] op_sel_hi:[1,0,0]
	s_delay_alu instid0(VALU_DEP_1) | instskip(SKIP_1) | instid1(VALU_DEP_1)
	v_mov_b32_e32 v115, v109
	v_pk_mul_f32 v[108:109], v[110:111], v[100:101] op_sel:[0,1]
	v_pk_fma_f32 v[112:113], v[110:111], v[98:99], v[108:109] op_sel:[0,0,1] op_sel_hi:[1,1,0] neg_lo:[0,0,1] neg_hi:[0,0,1]
	v_pk_fma_f32 v[108:109], v[110:111], v[98:99], v[108:109] op_sel:[0,0,1] op_sel_hi:[1,0,0]
	s_delay_alu instid0(VALU_DEP_1)
	v_mov_b32_e32 v113, v109
	ds_load_2addr_b64 v[108:111], v102 offset0:29 offset1:30
	v_pk_add_f32 v[42:43], v[42:43], v[114:115] neg_lo:[0,1] neg_hi:[0,1]
	v_pk_add_f32 v[76:77], v[76:77], v[112:113] neg_lo:[0,1] neg_hi:[0,1]
	s_wait_dscnt 0x0
	v_pk_mul_f32 v[112:113], v[108:109], v[100:101] op_sel:[0,1]
	s_delay_alu instid0(VALU_DEP_1) | instskip(SKIP_1) | instid1(VALU_DEP_1)
	v_pk_fma_f32 v[114:115], v[108:109], v[98:99], v[112:113] op_sel:[0,0,1] op_sel_hi:[1,1,0] neg_lo:[0,0,1] neg_hi:[0,0,1]
	v_pk_fma_f32 v[108:109], v[108:109], v[98:99], v[112:113] op_sel:[0,0,1] op_sel_hi:[1,0,0]
	v_mov_b32_e32 v115, v109
	v_pk_mul_f32 v[108:109], v[110:111], v[100:101] op_sel:[0,1]
	s_delay_alu instid0(VALU_DEP_1) | instskip(SKIP_1) | instid1(VALU_DEP_1)
	v_pk_fma_f32 v[112:113], v[110:111], v[98:99], v[108:109] op_sel:[0,0,1] op_sel_hi:[1,1,0] neg_lo:[0,0,1] neg_hi:[0,0,1]
	v_pk_fma_f32 v[108:109], v[110:111], v[98:99], v[108:109] op_sel:[0,0,1] op_sel_hi:[1,0,0]
	v_mov_b32_e32 v113, v109
	ds_load_2addr_b64 v[108:111], v102 offset0:31 offset1:32
	v_pk_add_f32 v[30:31], v[30:31], v[114:115] neg_lo:[0,1] neg_hi:[0,1]
	v_pk_add_f32 v[36:37], v[36:37], v[112:113] neg_lo:[0,1] neg_hi:[0,1]
	s_wait_dscnt 0x0
	v_dual_mul_f32 v112, v109, v101 :: v_dual_mul_f32 v114, v109, v98
	s_delay_alu instid0(VALU_DEP_1) | instskip(NEXT) | instid1(VALU_DEP_2)
	v_pk_fma_f32 v[112:113], v[108:109], v[86:87], v[112:113] op_sel_hi:[1,1,0] neg_lo:[0,0,1] neg_hi:[0,0,1]
	v_pk_fma_f32 v[108:109], v[108:109], v[86:87], v[114:115] op_sel:[1,0,0] op_sel_hi:[0,1,0]
	s_delay_alu instid0(VALU_DEP_1) | instskip(SKIP_1) | instid1(VALU_DEP_2)
	v_mov_b32_e32 v113, v109
	v_pk_mul_f32 v[108:109], v[110:111], v[100:101] op_sel:[0,1]
	v_pk_add_f32 v[28:29], v[28:29], v[112:113] neg_lo:[0,1] neg_hi:[0,1]
	s_delay_alu instid0(VALU_DEP_2) | instskip(SKIP_1) | instid1(VALU_DEP_1)
	v_pk_fma_f32 v[112:113], v[110:111], v[98:99], v[108:109] op_sel:[0,0,1] op_sel_hi:[1,1,0] neg_lo:[0,0,1] neg_hi:[0,0,1]
	v_pk_fma_f32 v[108:109], v[110:111], v[98:99], v[108:109] op_sel:[0,0,1] op_sel_hi:[1,0,0]
	v_mov_b32_e32 v113, v109
	ds_load_2addr_b64 v[108:111], v102 offset0:33 offset1:34
	v_pk_add_f32 v[72:73], v[72:73], v[112:113] neg_lo:[0,1] neg_hi:[0,1]
	s_wait_dscnt 0x0
	v_pk_mul_f32 v[112:113], v[108:109], v[100:101] op_sel:[0,1]
	s_delay_alu instid0(VALU_DEP_1) | instskip(SKIP_1) | instid1(VALU_DEP_1)
	v_pk_fma_f32 v[114:115], v[108:109], v[98:99], v[112:113] op_sel:[0,0,1] op_sel_hi:[1,1,0] neg_lo:[0,0,1] neg_hi:[0,0,1]
	v_pk_fma_f32 v[108:109], v[108:109], v[98:99], v[112:113] op_sel:[0,0,1] op_sel_hi:[1,0,0]
	v_mov_b32_e32 v115, v109
	v_pk_mul_f32 v[108:109], v[110:111], v[100:101] op_sel:[0,1]
	s_delay_alu instid0(VALU_DEP_2) | instskip(NEXT) | instid1(VALU_DEP_2)
	v_pk_add_f32 v[18:19], v[18:19], v[114:115] neg_lo:[0,1] neg_hi:[0,1]
	v_pk_fma_f32 v[112:113], v[110:111], v[98:99], v[108:109] op_sel:[0,0,1] op_sel_hi:[1,1,0] neg_lo:[0,0,1] neg_hi:[0,0,1]
	v_pk_fma_f32 v[108:109], v[110:111], v[98:99], v[108:109] op_sel:[0,0,1] op_sel_hi:[1,0,0]
	s_delay_alu instid0(VALU_DEP_1) | instskip(SKIP_4) | instid1(VALU_DEP_1)
	v_mov_b32_e32 v113, v109
	ds_load_2addr_b64 v[108:111], v102 offset0:35 offset1:36
	v_pk_add_f32 v[24:25], v[24:25], v[112:113] neg_lo:[0,1] neg_hi:[0,1]
	s_wait_dscnt 0x0
	v_pk_mul_f32 v[112:113], v[108:109], v[100:101] op_sel:[0,1]
	v_pk_fma_f32 v[114:115], v[108:109], v[98:99], v[112:113] op_sel:[0,0,1] op_sel_hi:[1,1,0] neg_lo:[0,0,1] neg_hi:[0,0,1]
	v_pk_fma_f32 v[108:109], v[108:109], v[98:99], v[112:113] op_sel:[0,0,1] op_sel_hi:[1,0,0]
	v_dual_mul_f32 v112, v111, v101 :: v_dual_mov_b32 v108, v111
	s_delay_alu instid0(VALU_DEP_2) | instskip(NEXT) | instid1(VALU_DEP_2)
	v_dual_mov_b32 v115, v109 :: v_dual_mov_b32 v109, v110
	v_pk_fma_f32 v[112:113], v[110:111], v[86:87], v[112:113] op_sel_hi:[1,1,0] neg_lo:[0,0,1] neg_hi:[0,0,1]
	v_mul_f32_e32 v110, v111, v98
	s_delay_alu instid0(VALU_DEP_3) | instskip(NEXT) | instid1(VALU_DEP_2)
	v_pk_add_f32 v[16:17], v[16:17], v[114:115] neg_lo:[0,1] neg_hi:[0,1]
	v_pk_fma_f32 v[108:109], v[108:109], v[86:87], v[110:111] op_sel_hi:[1,1,0]
	s_delay_alu instid0(VALU_DEP_1) | instskip(SKIP_4) | instid1(VALU_DEP_1)
	v_mov_b32_e32 v113, v109
	ds_load_2addr_b64 v[108:111], v102 offset0:37 offset1:38
	v_pk_add_f32 v[70:71], v[70:71], v[112:113] neg_lo:[0,1] neg_hi:[0,1]
	s_wait_dscnt 0x0
	v_pk_mul_f32 v[112:113], v[108:109], v[100:101] op_sel:[0,1]
	v_pk_fma_f32 v[114:115], v[108:109], v[98:99], v[112:113] op_sel:[0,0,1] op_sel_hi:[1,1,0] neg_lo:[0,0,1] neg_hi:[0,0,1]
	v_pk_fma_f32 v[108:109], v[108:109], v[98:99], v[112:113] op_sel:[0,0,1] op_sel_hi:[1,0,0]
	s_delay_alu instid0(VALU_DEP_1) | instskip(SKIP_1) | instid1(VALU_DEP_1)
	v_mov_b32_e32 v115, v109
	v_pk_mul_f32 v[108:109], v[110:111], v[100:101] op_sel:[0,1]
	v_pk_fma_f32 v[112:113], v[110:111], v[98:99], v[108:109] op_sel:[0,0,1] op_sel_hi:[1,1,0] neg_lo:[0,0,1] neg_hi:[0,0,1]
	v_pk_fma_f32 v[108:109], v[110:111], v[98:99], v[108:109] op_sel:[0,0,1] op_sel_hi:[1,0,0]
	s_delay_alu instid0(VALU_DEP_1)
	v_mov_b32_e32 v113, v109
	ds_load_2addr_b64 v[108:111], v102 offset0:39 offset1:40
	v_pk_add_f32 v[10:11], v[10:11], v[114:115] neg_lo:[0,1] neg_hi:[0,1]
	v_pk_add_f32 v[12:13], v[12:13], v[112:113] neg_lo:[0,1] neg_hi:[0,1]
	s_wait_dscnt 0x0
	v_pk_mul_f32 v[112:113], v[108:109], v[100:101] op_sel:[0,1]
	s_delay_alu instid0(VALU_DEP_1) | instskip(SKIP_1) | instid1(VALU_DEP_1)
	v_pk_fma_f32 v[114:115], v[108:109], v[98:99], v[112:113] op_sel:[0,0,1] op_sel_hi:[1,1,0] neg_lo:[0,0,1] neg_hi:[0,0,1]
	v_pk_fma_f32 v[108:109], v[108:109], v[98:99], v[112:113] op_sel:[0,0,1] op_sel_hi:[1,0,0]
	v_mov_b32_e32 v115, v109
	v_pk_mul_f32 v[108:109], v[110:111], v[100:101] op_sel:[0,1]
	s_delay_alu instid0(VALU_DEP_1) | instskip(SKIP_1) | instid1(VALU_DEP_1)
	v_pk_fma_f32 v[112:113], v[110:111], v[98:99], v[108:109] op_sel:[0,0,1] op_sel_hi:[1,1,0] neg_lo:[0,0,1] neg_hi:[0,0,1]
	v_pk_fma_f32 v[108:109], v[110:111], v[98:99], v[108:109] op_sel:[0,0,1] op_sel_hi:[1,0,0]
	v_mov_b32_e32 v113, v109
	ds_load_2addr_b64 v[108:111], v102 offset0:41 offset1:42
	v_pk_add_f32 v[8:9], v[8:9], v[114:115] neg_lo:[0,1] neg_hi:[0,1]
	v_pk_add_f32 v[68:69], v[68:69], v[112:113] neg_lo:[0,1] neg_hi:[0,1]
	s_wait_dscnt 0x0
	v_dual_mul_f32 v112, v109, v101 :: v_dual_mul_f32 v114, v109, v98
	s_delay_alu instid0(VALU_DEP_1) | instskip(NEXT) | instid1(VALU_DEP_2)
	v_pk_fma_f32 v[112:113], v[108:109], v[86:87], v[112:113] op_sel_hi:[1,1,0] neg_lo:[0,0,1] neg_hi:[0,0,1]
	v_pk_fma_f32 v[108:109], v[108:109], v[86:87], v[114:115] op_sel:[1,0,0] op_sel_hi:[0,1,0]
	s_delay_alu instid0(VALU_DEP_1) | instskip(SKIP_1) | instid1(VALU_DEP_2)
	v_mov_b32_e32 v113, v109
	v_pk_mul_f32 v[108:109], v[110:111], v[100:101] op_sel:[0,1]
	v_pk_add_f32 v[6:7], v[6:7], v[112:113] neg_lo:[0,1] neg_hi:[0,1]
	s_delay_alu instid0(VALU_DEP_2) | instskip(SKIP_1) | instid1(VALU_DEP_1)
	v_pk_fma_f32 v[112:113], v[110:111], v[98:99], v[108:109] op_sel:[0,0,1] op_sel_hi:[1,1,0] neg_lo:[0,0,1] neg_hi:[0,0,1]
	v_pk_fma_f32 v[108:109], v[110:111], v[98:99], v[108:109] op_sel:[0,0,1] op_sel_hi:[1,0,0]
	v_mov_b32_e32 v113, v109
	ds_load_2addr_b64 v[108:111], v102 offset0:43 offset1:44
	v_pk_add_f32 v[54:55], v[54:55], v[112:113] neg_lo:[0,1] neg_hi:[0,1]
	s_wait_dscnt 0x0
	v_pk_mul_f32 v[112:113], v[108:109], v[100:101] op_sel:[0,1]
	s_delay_alu instid0(VALU_DEP_1) | instskip(SKIP_1) | instid1(VALU_DEP_1)
	v_pk_fma_f32 v[114:115], v[108:109], v[98:99], v[112:113] op_sel:[0,0,1] op_sel_hi:[1,1,0] neg_lo:[0,0,1] neg_hi:[0,0,1]
	v_pk_fma_f32 v[108:109], v[108:109], v[98:99], v[112:113] op_sel:[0,0,1] op_sel_hi:[1,0,0]
	v_mov_b32_e32 v115, v109
	v_pk_mul_f32 v[108:109], v[110:111], v[100:101] op_sel:[0,1]
	s_delay_alu instid0(VALU_DEP_2) | instskip(NEXT) | instid1(VALU_DEP_2)
	v_pk_add_f32 v[40:41], v[40:41], v[114:115] neg_lo:[0,1] neg_hi:[0,1]
	v_pk_fma_f32 v[112:113], v[110:111], v[98:99], v[108:109] op_sel:[0,0,1] op_sel_hi:[1,1,0] neg_lo:[0,0,1] neg_hi:[0,0,1]
	v_pk_fma_f32 v[108:109], v[110:111], v[98:99], v[108:109] op_sel:[0,0,1] op_sel_hi:[1,0,0]
	s_delay_alu instid0(VALU_DEP_1) | instskip(SKIP_4) | instid1(VALU_DEP_1)
	v_mov_b32_e32 v113, v109
	ds_load_b64 v[108:109], v102 offset:360
	v_pk_add_f32 v[14:15], v[14:15], v[112:113] neg_lo:[0,1] neg_hi:[0,1]
	s_wait_dscnt 0x0
	v_pk_mul_f32 v[100:101], v[108:109], v[100:101] op_sel:[0,1]
	v_pk_fma_f32 v[110:111], v[108:109], v[98:99], v[100:101] op_sel:[0,0,1] op_sel_hi:[1,1,0] neg_lo:[0,0,1] neg_hi:[0,0,1]
	v_pk_fma_f32 v[98:99], v[108:109], v[98:99], v[100:101] op_sel:[0,0,1] op_sel_hi:[1,0,0]
	s_delay_alu instid0(VALU_DEP_1) | instskip(NEXT) | instid1(VALU_DEP_1)
	v_mov_b32_e32 v111, v99
	v_pk_add_f32 v[96:97], v[96:97], v[110:111] neg_lo:[0,1] neg_hi:[0,1]
.LBB90_272:
	s_or_b32 exec_lo, exec_lo, s0
	v_lshl_add_u32 v98, v106, 3, v102
	s_barrier_signal -1
	s_barrier_wait -1
	ds_store_b64 v98, v[64:65]
	s_wait_dscnt 0x0
	s_barrier_signal -1
	s_barrier_wait -1
	ds_load_b64 v[100:101], v102 offset:104
	v_mov_b32_e32 v98, 13
	s_cmp_lt_i32 s18, 15
	s_cbranch_scc1 .LBB90_275
; %bb.273:
	v_add3_u32 v99, v103, 0, 0x70
	v_mov_b32_e32 v98, 13
	s_mov_b32 s0, 14
.LBB90_274:                             ; =>This Inner Loop Header: Depth=1
	ds_load_b64 v[108:109], v99
	s_wait_dscnt 0x1
	v_cmp_gt_f32_e32 vcc_lo, 0, v100
	v_cndmask_b32_e64 v110, v100, -v100, vcc_lo
	v_cmp_gt_f32_e32 vcc_lo, 0, v101
	v_cndmask_b32_e64 v112, v101, -v101, vcc_lo
	s_wait_dscnt 0x0
	v_cmp_gt_f32_e32 vcc_lo, 0, v108
	v_cndmask_b32_e64 v111, v108, -v108, vcc_lo
	v_cmp_gt_f32_e32 vcc_lo, 0, v109
	v_cndmask_b32_e64 v113, v109, -v109, vcc_lo
	s_delay_alu instid0(VALU_DEP_1) | instskip(NEXT) | instid1(VALU_DEP_1)
	v_pk_add_f32 v[110:111], v[110:111], v[112:113]
	v_cmp_lt_f32_e32 vcc_lo, v110, v111
	v_dual_add_nc_u32 v99, 8, v99 :: v_dual_cndmask_b32 v101, v101, v109, vcc_lo
	v_cndmask_b32_e32 v100, v100, v108, vcc_lo
	v_cndmask_b32_e64 v98, v98, s0, vcc_lo
	s_add_co_i32 s0, s0, 1
	s_delay_alu instid0(SALU_CYCLE_1)
	s_cmp_lg_u32 s18, s0
	s_cbranch_scc1 .LBB90_274
.LBB90_275:
	s_wait_dscnt 0x0
	v_cmp_eq_f32_e32 vcc_lo, 0, v100
	v_cmp_eq_f32_e64 s0, 0, v101
	s_and_b32 s0, vcc_lo, s0
	s_delay_alu instid0(SALU_CYCLE_1) | instskip(NEXT) | instid1(SALU_CYCLE_1)
	s_and_saveexec_b32 s1, s0
	s_xor_b32 s0, exec_lo, s1
; %bb.276:
	v_cmp_ne_u32_e32 vcc_lo, 0, v104
	v_cndmask_b32_e32 v104, 14, v104, vcc_lo
; %bb.277:
	s_and_not1_saveexec_b32 s0, s0
	s_cbranch_execz .LBB90_283
; %bb.278:
	v_cmp_ngt_f32_e64 s1, |v100|, |v101|
	s_and_saveexec_b32 s12, s1
	s_delay_alu instid0(SALU_CYCLE_1)
	s_xor_b32 s1, exec_lo, s12
	s_cbranch_execz .LBB90_280
; %bb.279:
	v_div_scale_f32 v99, null, v101, v101, v100
	v_div_scale_f32 v109, vcc_lo, v100, v101, v100
	s_delay_alu instid0(VALU_DEP_2) | instskip(SKIP_1) | instid1(TRANS32_DEP_1)
	v_rcp_f32_e32 v107, v99
	v_nop
	v_fma_f32 v108, -v99, v107, 1.0
	s_delay_alu instid0(VALU_DEP_1) | instskip(NEXT) | instid1(VALU_DEP_1)
	v_fmac_f32_e32 v107, v108, v107
	v_mul_f32_e32 v108, v109, v107
	s_delay_alu instid0(VALU_DEP_1) | instskip(NEXT) | instid1(VALU_DEP_1)
	v_fma_f32 v110, -v99, v108, v109
	v_fmac_f32_e32 v108, v110, v107
	s_delay_alu instid0(VALU_DEP_1) | instskip(NEXT) | instid1(VALU_DEP_1)
	v_fma_f32 v99, -v99, v108, v109
	v_div_fmas_f32 v99, v99, v107, v108
	s_delay_alu instid0(VALU_DEP_1) | instskip(NEXT) | instid1(VALU_DEP_1)
	v_div_fixup_f32 v99, v99, v101, v100
	v_fmac_f32_e32 v101, v100, v99
	s_delay_alu instid0(VALU_DEP_1) | instskip(SKIP_1) | instid1(VALU_DEP_2)
	v_div_scale_f32 v100, null, v101, v101, 1.0
	v_div_scale_f32 v109, vcc_lo, 1.0, v101, 1.0
	v_rcp_f32_e32 v107, v100
	v_nop
	s_delay_alu instid0(TRANS32_DEP_1) | instskip(NEXT) | instid1(VALU_DEP_1)
	v_fma_f32 v108, -v100, v107, 1.0
	v_fmac_f32_e32 v107, v108, v107
	s_delay_alu instid0(VALU_DEP_1) | instskip(NEXT) | instid1(VALU_DEP_1)
	v_mul_f32_e32 v108, v109, v107
	v_fma_f32 v110, -v100, v108, v109
	s_delay_alu instid0(VALU_DEP_1) | instskip(NEXT) | instid1(VALU_DEP_1)
	v_fmac_f32_e32 v108, v110, v107
	v_fma_f32 v100, -v100, v108, v109
	s_delay_alu instid0(VALU_DEP_1) | instskip(NEXT) | instid1(VALU_DEP_1)
	v_div_fmas_f32 v100, v100, v107, v108
	v_div_fixup_f32 v101, v100, v101, 1.0
	s_delay_alu instid0(VALU_DEP_1)
	v_mul_f32_e32 v100, v99, v101
	v_xor_b32_e32 v101, 0x80000000, v101
.LBB90_280:
	s_and_not1_saveexec_b32 s1, s1
	s_cbranch_execz .LBB90_282
; %bb.281:
	s_delay_alu instid0(VALU_DEP_1) | instskip(SKIP_1) | instid1(VALU_DEP_2)
	v_div_scale_f32 v99, null, v100, v100, v101
	v_div_scale_f32 v109, vcc_lo, v101, v100, v101
	v_rcp_f32_e32 v107, v99
	v_nop
	s_delay_alu instid0(TRANS32_DEP_1) | instskip(NEXT) | instid1(VALU_DEP_1)
	v_fma_f32 v108, -v99, v107, 1.0
	v_fmac_f32_e32 v107, v108, v107
	s_delay_alu instid0(VALU_DEP_1) | instskip(NEXT) | instid1(VALU_DEP_1)
	v_mul_f32_e32 v108, v109, v107
	v_fma_f32 v110, -v99, v108, v109
	s_delay_alu instid0(VALU_DEP_1) | instskip(NEXT) | instid1(VALU_DEP_1)
	v_fmac_f32_e32 v108, v110, v107
	v_fma_f32 v99, -v99, v108, v109
	s_delay_alu instid0(VALU_DEP_1) | instskip(NEXT) | instid1(VALU_DEP_1)
	v_div_fmas_f32 v99, v99, v107, v108
	v_div_fixup_f32 v99, v99, v100, v101
	s_delay_alu instid0(VALU_DEP_1) | instskip(NEXT) | instid1(VALU_DEP_1)
	v_fmac_f32_e32 v100, v101, v99
	v_div_scale_f32 v101, null, v100, v100, 1.0
	s_delay_alu instid0(VALU_DEP_1) | instskip(SKIP_1) | instid1(TRANS32_DEP_1)
	v_rcp_f32_e32 v107, v101
	v_nop
	v_fma_f32 v108, -v101, v107, 1.0
	s_delay_alu instid0(VALU_DEP_1) | instskip(SKIP_1) | instid1(VALU_DEP_1)
	v_fmac_f32_e32 v107, v108, v107
	v_div_scale_f32 v108, vcc_lo, 1.0, v100, 1.0
	v_mul_f32_e32 v109, v108, v107
	s_delay_alu instid0(VALU_DEP_1) | instskip(NEXT) | instid1(VALU_DEP_1)
	v_fma_f32 v110, -v101, v109, v108
	v_fmac_f32_e32 v109, v110, v107
	s_delay_alu instid0(VALU_DEP_1) | instskip(NEXT) | instid1(VALU_DEP_1)
	v_fma_f32 v101, -v101, v109, v108
	v_div_fmas_f32 v101, v101, v107, v109
	s_delay_alu instid0(VALU_DEP_1) | instskip(NEXT) | instid1(VALU_DEP_1)
	v_div_fixup_f32 v100, v101, v100, 1.0
	v_mul_f32_e64 v101, v99, -v100
.LBB90_282:
	s_or_b32 exec_lo, exec_lo, s1
.LBB90_283:
	s_delay_alu instid0(SALU_CYCLE_1) | instskip(NEXT) | instid1(SALU_CYCLE_1)
	s_or_b32 exec_lo, exec_lo, s0
	s_mov_b32 s0, exec_lo
	v_cmpx_ne_u32_e64 v106, v98
	s_xor_b32 s0, exec_lo, s0
	s_cbranch_execz .LBB90_289
; %bb.284:
	s_mov_b32 s1, exec_lo
	v_cmpx_eq_u32_e32 13, v106
	s_cbranch_execz .LBB90_288
; %bb.285:
	v_cmp_ne_u32_e32 vcc_lo, 13, v98
	s_xor_b32 s12, s16, -1
	s_delay_alu instid0(SALU_CYCLE_1) | instskip(NEXT) | instid1(SALU_CYCLE_1)
	s_and_b32 s13, s12, vcc_lo
	s_and_saveexec_b32 s12, s13
	s_cbranch_execz .LBB90_287
; %bb.286:
	v_ashrrev_i32_e32 v99, 31, v98
	s_delay_alu instid0(VALU_DEP_1)
	v_lshl_add_u64 v[106:107], v[98:99], 2, v[4:5]
	s_clause 0x1
	global_load_b32 v99, v[106:107], off
	global_load_b32 v105, v[4:5], off offset:52
	s_wait_loadcnt 0x1
	global_store_b32 v[4:5], v99, off offset:52
	s_wait_loadcnt 0x0
	global_store_b32 v[106:107], v105, off
.LBB90_287:
	s_wait_xcnt 0x0
	s_or_b32 exec_lo, exec_lo, s12
	v_dual_mov_b32 v106, v98 :: v_dual_mov_b32 v105, v98
.LBB90_288:
	s_or_b32 exec_lo, exec_lo, s1
.LBB90_289:
	s_and_not1_saveexec_b32 s0, s0
	s_cbranch_execz .LBB90_291
; %bb.290:
	v_dual_mov_b32 v98, v66 :: v_dual_mov_b32 v99, v67
	v_dual_mov_b32 v106, v62 :: v_dual_mov_b32 v107, v63
	;; [unrolled: 1-line block ×12, first 2 shown]
	ds_store_2addr_b64 v102, v[98:99], v[106:107] offset0:14 offset1:15
	ds_store_2addr_b64 v102, v[108:109], v[110:111] offset0:16 offset1:17
	;; [unrolled: 1-line block ×6, first 2 shown]
	v_dual_mov_b32 v98, v46 :: v_dual_mov_b32 v99, v47
	v_dual_mov_b32 v106, v42 :: v_dual_mov_b32 v107, v43
	;; [unrolled: 1-line block ×12, first 2 shown]
	ds_store_2addr_b64 v102, v[98:99], v[106:107] offset0:26 offset1:27
	ds_store_2addr_b64 v102, v[108:109], v[110:111] offset0:28 offset1:29
	;; [unrolled: 1-line block ×6, first 2 shown]
	v_dual_mov_b32 v98, v12 :: v_dual_mov_b32 v99, v13
	v_dual_mov_b32 v108, v8 :: v_dual_mov_b32 v109, v9
	;; [unrolled: 1-line block ×7, first 2 shown]
	v_mov_b32_e32 v119, v15
	ds_store_2addr_b64 v102, v[98:99], v[108:109] offset0:38 offset1:39
	ds_store_2addr_b64 v102, v[110:111], v[112:113] offset0:40 offset1:41
	;; [unrolled: 1-line block ×4, first 2 shown]
.LBB90_291:
	s_or_b32 exec_lo, exec_lo, s0
	s_delay_alu instid0(SALU_CYCLE_1)
	s_mov_b32 s0, exec_lo
	s_wait_storecnt_dscnt 0x0
	s_barrier_signal -1
	s_barrier_wait -1
	v_cmpx_lt_i32_e32 13, v106
	s_cbranch_execz .LBB90_293
; %bb.292:
	v_pk_mul_f32 v[108:109], v[100:101], v[64:65] op_sel:[1,1] op_sel_hi:[0,1]
	s_delay_alu instid0(VALU_DEP_1)
	v_pk_fma_f32 v[98:99], v[100:101], v[64:65], v[108:109] op_sel_hi:[1,0,1] neg_lo:[0,0,1] neg_hi:[0,0,1]
	v_pk_fma_f32 v[100:101], v[100:101], v[64:65], v[108:109] op_sel_hi:[1,0,1]
	ds_load_2addr_b64 v[108:111], v102 offset0:14 offset1:15
	v_dual_mov_b32 v64, v98 :: v_dual_mov_b32 v65, v101
	s_wait_dscnt 0x0
	v_pk_mul_f32 v[112:113], v[108:109], v[100:101] op_sel:[0,1]
	s_delay_alu instid0(VALU_DEP_1) | instskip(SKIP_1) | instid1(VALU_DEP_1)
	v_pk_fma_f32 v[114:115], v[108:109], v[98:99], v[112:113] op_sel:[0,0,1] op_sel_hi:[1,1,0] neg_lo:[0,0,1] neg_hi:[0,0,1]
	v_pk_fma_f32 v[108:109], v[108:109], v[98:99], v[112:113] op_sel:[0,0,1] op_sel_hi:[1,0,0]
	v_mov_b32_e32 v115, v109
	v_pk_mul_f32 v[108:109], v[110:111], v[100:101] op_sel:[0,1]
	s_delay_alu instid0(VALU_DEP_1) | instskip(SKIP_1) | instid1(VALU_DEP_1)
	v_pk_fma_f32 v[112:113], v[110:111], v[98:99], v[108:109] op_sel:[0,0,1] op_sel_hi:[1,1,0] neg_lo:[0,0,1] neg_hi:[0,0,1]
	v_pk_fma_f32 v[108:109], v[110:111], v[98:99], v[108:109] op_sel:[0,0,1] op_sel_hi:[1,0,0]
	v_mov_b32_e32 v113, v109
	ds_load_2addr_b64 v[108:111], v102 offset0:16 offset1:17
	v_pk_add_f32 v[66:67], v[66:67], v[114:115] neg_lo:[0,1] neg_hi:[0,1]
	v_pk_add_f32 v[62:63], v[62:63], v[112:113] neg_lo:[0,1] neg_hi:[0,1]
	s_wait_dscnt 0x0
	v_pk_mul_f32 v[112:113], v[108:109], v[100:101] op_sel:[0,1]
	s_delay_alu instid0(VALU_DEP_1) | instskip(SKIP_2) | instid1(VALU_DEP_2)
	v_pk_fma_f32 v[114:115], v[108:109], v[98:99], v[112:113] op_sel:[0,0,1] op_sel_hi:[1,1,0] neg_lo:[0,0,1] neg_hi:[0,0,1]
	v_pk_fma_f32 v[108:109], v[108:109], v[98:99], v[112:113] op_sel:[0,0,1] op_sel_hi:[1,0,0]
	v_dual_mul_f32 v112, v111, v101 :: v_dual_mov_b32 v108, v111
	v_dual_mov_b32 v115, v109 :: v_dual_mov_b32 v109, v110
	s_delay_alu instid0(VALU_DEP_2) | instskip(SKIP_1) | instid1(VALU_DEP_3)
	v_pk_fma_f32 v[112:113], v[110:111], v[64:65], v[112:113] op_sel_hi:[1,1,0] neg_lo:[0,0,1] neg_hi:[0,0,1]
	v_mul_f32_e32 v110, v111, v98
	v_pk_add_f32 v[84:85], v[84:85], v[114:115] neg_lo:[0,1] neg_hi:[0,1]
	s_delay_alu instid0(VALU_DEP_2) | instskip(NEXT) | instid1(VALU_DEP_1)
	v_pk_fma_f32 v[108:109], v[108:109], v[64:65], v[110:111] op_sel_hi:[1,1,0]
	v_mov_b32_e32 v113, v109
	ds_load_2addr_b64 v[108:111], v102 offset0:18 offset1:19
	v_pk_add_f32 v[58:59], v[58:59], v[112:113] neg_lo:[0,1] neg_hi:[0,1]
	s_wait_dscnt 0x0
	v_pk_mul_f32 v[112:113], v[108:109], v[100:101] op_sel:[0,1]
	s_delay_alu instid0(VALU_DEP_1) | instskip(SKIP_1) | instid1(VALU_DEP_1)
	v_pk_fma_f32 v[114:115], v[108:109], v[98:99], v[112:113] op_sel:[0,0,1] op_sel_hi:[1,1,0] neg_lo:[0,0,1] neg_hi:[0,0,1]
	v_pk_fma_f32 v[108:109], v[108:109], v[98:99], v[112:113] op_sel:[0,0,1] op_sel_hi:[1,0,0]
	v_mov_b32_e32 v115, v109
	v_pk_mul_f32 v[108:109], v[110:111], v[100:101] op_sel:[0,1]
	s_delay_alu instid0(VALU_DEP_1) | instskip(SKIP_1) | instid1(VALU_DEP_1)
	v_pk_fma_f32 v[112:113], v[110:111], v[98:99], v[108:109] op_sel:[0,0,1] op_sel_hi:[1,1,0] neg_lo:[0,0,1] neg_hi:[0,0,1]
	v_pk_fma_f32 v[108:109], v[110:111], v[98:99], v[108:109] op_sel:[0,0,1] op_sel_hi:[1,0,0]
	v_mov_b32_e32 v113, v109
	ds_load_2addr_b64 v[108:111], v102 offset0:20 offset1:21
	v_pk_add_f32 v[60:61], v[60:61], v[114:115] neg_lo:[0,1] neg_hi:[0,1]
	v_pk_add_f32 v[56:57], v[56:57], v[112:113] neg_lo:[0,1] neg_hi:[0,1]
	s_wait_dscnt 0x0
	v_pk_mul_f32 v[112:113], v[108:109], v[100:101] op_sel:[0,1]
	s_delay_alu instid0(VALU_DEP_1) | instskip(SKIP_1) | instid1(VALU_DEP_1)
	v_pk_fma_f32 v[114:115], v[108:109], v[98:99], v[112:113] op_sel:[0,0,1] op_sel_hi:[1,1,0] neg_lo:[0,0,1] neg_hi:[0,0,1]
	v_pk_fma_f32 v[108:109], v[108:109], v[98:99], v[112:113] op_sel:[0,0,1] op_sel_hi:[1,0,0]
	v_mov_b32_e32 v115, v109
	v_pk_mul_f32 v[108:109], v[110:111], v[100:101] op_sel:[0,1]
	s_delay_alu instid0(VALU_DEP_1) | instskip(SKIP_1) | instid1(VALU_DEP_1)
	v_pk_fma_f32 v[112:113], v[110:111], v[98:99], v[108:109] op_sel:[0,0,1] op_sel_hi:[1,1,0] neg_lo:[0,0,1] neg_hi:[0,0,1]
	v_pk_fma_f32 v[108:109], v[110:111], v[98:99], v[108:109] op_sel:[0,0,1] op_sel_hi:[1,0,0]
	v_mov_b32_e32 v113, v109
	ds_load_2addr_b64 v[108:111], v102 offset0:22 offset1:23
	v_pk_add_f32 v[82:83], v[82:83], v[114:115] neg_lo:[0,1] neg_hi:[0,1]
	v_pk_add_f32 v[50:51], v[50:51], v[112:113] neg_lo:[0,1] neg_hi:[0,1]
	s_wait_dscnt 0x0
	v_dual_mul_f32 v112, v109, v101 :: v_dual_mul_f32 v114, v109, v98
	s_delay_alu instid0(VALU_DEP_1) | instskip(NEXT) | instid1(VALU_DEP_2)
	v_pk_fma_f32 v[112:113], v[108:109], v[64:65], v[112:113] op_sel_hi:[1,1,0] neg_lo:[0,0,1] neg_hi:[0,0,1]
	v_pk_fma_f32 v[108:109], v[108:109], v[64:65], v[114:115] op_sel:[1,0,0] op_sel_hi:[0,1,0]
	s_delay_alu instid0(VALU_DEP_1) | instskip(SKIP_1) | instid1(VALU_DEP_2)
	v_mov_b32_e32 v113, v109
	v_pk_mul_f32 v[108:109], v[110:111], v[100:101] op_sel:[0,1]
	v_pk_add_f32 v[52:53], v[52:53], v[112:113] neg_lo:[0,1] neg_hi:[0,1]
	s_delay_alu instid0(VALU_DEP_2) | instskip(SKIP_1) | instid1(VALU_DEP_1)
	v_pk_fma_f32 v[112:113], v[110:111], v[98:99], v[108:109] op_sel:[0,0,1] op_sel_hi:[1,1,0] neg_lo:[0,0,1] neg_hi:[0,0,1]
	v_pk_fma_f32 v[108:109], v[110:111], v[98:99], v[108:109] op_sel:[0,0,1] op_sel_hi:[1,0,0]
	v_mov_b32_e32 v113, v109
	ds_load_2addr_b64 v[108:111], v102 offset0:24 offset1:25
	v_pk_add_f32 v[48:49], v[48:49], v[112:113] neg_lo:[0,1] neg_hi:[0,1]
	s_wait_dscnt 0x0
	v_pk_mul_f32 v[112:113], v[108:109], v[100:101] op_sel:[0,1]
	s_delay_alu instid0(VALU_DEP_1) | instskip(SKIP_1) | instid1(VALU_DEP_1)
	v_pk_fma_f32 v[114:115], v[108:109], v[98:99], v[112:113] op_sel:[0,0,1] op_sel_hi:[1,1,0] neg_lo:[0,0,1] neg_hi:[0,0,1]
	v_pk_fma_f32 v[108:109], v[108:109], v[98:99], v[112:113] op_sel:[0,0,1] op_sel_hi:[1,0,0]
	v_mov_b32_e32 v115, v109
	v_pk_mul_f32 v[108:109], v[110:111], v[100:101] op_sel:[0,1]
	s_delay_alu instid0(VALU_DEP_2) | instskip(NEXT) | instid1(VALU_DEP_2)
	v_pk_add_f32 v[80:81], v[80:81], v[114:115] neg_lo:[0,1] neg_hi:[0,1]
	v_pk_fma_f32 v[112:113], v[110:111], v[98:99], v[108:109] op_sel:[0,0,1] op_sel_hi:[1,1,0] neg_lo:[0,0,1] neg_hi:[0,0,1]
	v_pk_fma_f32 v[108:109], v[110:111], v[98:99], v[108:109] op_sel:[0,0,1] op_sel_hi:[1,0,0]
	s_delay_alu instid0(VALU_DEP_1) | instskip(SKIP_4) | instid1(VALU_DEP_1)
	v_mov_b32_e32 v113, v109
	ds_load_2addr_b64 v[108:111], v102 offset0:26 offset1:27
	v_pk_add_f32 v[44:45], v[44:45], v[112:113] neg_lo:[0,1] neg_hi:[0,1]
	s_wait_dscnt 0x0
	v_pk_mul_f32 v[112:113], v[108:109], v[100:101] op_sel:[0,1]
	v_pk_fma_f32 v[114:115], v[108:109], v[98:99], v[112:113] op_sel:[0,0,1] op_sel_hi:[1,1,0] neg_lo:[0,0,1] neg_hi:[0,0,1]
	v_pk_fma_f32 v[108:109], v[108:109], v[98:99], v[112:113] op_sel:[0,0,1] op_sel_hi:[1,0,0]
	v_dual_mul_f32 v112, v111, v101 :: v_dual_mov_b32 v108, v111
	s_delay_alu instid0(VALU_DEP_2) | instskip(NEXT) | instid1(VALU_DEP_2)
	v_dual_mov_b32 v115, v109 :: v_dual_mov_b32 v109, v110
	v_pk_fma_f32 v[112:113], v[110:111], v[64:65], v[112:113] op_sel_hi:[1,1,0] neg_lo:[0,0,1] neg_hi:[0,0,1]
	v_mul_f32_e32 v110, v111, v98
	s_delay_alu instid0(VALU_DEP_3) | instskip(NEXT) | instid1(VALU_DEP_2)
	v_pk_add_f32 v[46:47], v[46:47], v[114:115] neg_lo:[0,1] neg_hi:[0,1]
	v_pk_fma_f32 v[108:109], v[108:109], v[64:65], v[110:111] op_sel_hi:[1,1,0]
	s_delay_alu instid0(VALU_DEP_1) | instskip(SKIP_4) | instid1(VALU_DEP_1)
	v_mov_b32_e32 v113, v109
	ds_load_2addr_b64 v[108:111], v102 offset0:28 offset1:29
	v_pk_add_f32 v[42:43], v[42:43], v[112:113] neg_lo:[0,1] neg_hi:[0,1]
	s_wait_dscnt 0x0
	v_pk_mul_f32 v[112:113], v[108:109], v[100:101] op_sel:[0,1]
	v_pk_fma_f32 v[114:115], v[108:109], v[98:99], v[112:113] op_sel:[0,0,1] op_sel_hi:[1,1,0] neg_lo:[0,0,1] neg_hi:[0,0,1]
	v_pk_fma_f32 v[108:109], v[108:109], v[98:99], v[112:113] op_sel:[0,0,1] op_sel_hi:[1,0,0]
	s_delay_alu instid0(VALU_DEP_1) | instskip(SKIP_1) | instid1(VALU_DEP_1)
	v_mov_b32_e32 v115, v109
	v_pk_mul_f32 v[108:109], v[110:111], v[100:101] op_sel:[0,1]
	v_pk_fma_f32 v[112:113], v[110:111], v[98:99], v[108:109] op_sel:[0,0,1] op_sel_hi:[1,1,0] neg_lo:[0,0,1] neg_hi:[0,0,1]
	v_pk_fma_f32 v[108:109], v[110:111], v[98:99], v[108:109] op_sel:[0,0,1] op_sel_hi:[1,0,0]
	s_delay_alu instid0(VALU_DEP_1)
	v_mov_b32_e32 v113, v109
	ds_load_2addr_b64 v[108:111], v102 offset0:30 offset1:31
	v_pk_add_f32 v[76:77], v[76:77], v[114:115] neg_lo:[0,1] neg_hi:[0,1]
	v_pk_add_f32 v[30:31], v[30:31], v[112:113] neg_lo:[0,1] neg_hi:[0,1]
	s_wait_dscnt 0x0
	v_pk_mul_f32 v[112:113], v[108:109], v[100:101] op_sel:[0,1]
	s_delay_alu instid0(VALU_DEP_1) | instskip(SKIP_1) | instid1(VALU_DEP_1)
	v_pk_fma_f32 v[114:115], v[108:109], v[98:99], v[112:113] op_sel:[0,0,1] op_sel_hi:[1,1,0] neg_lo:[0,0,1] neg_hi:[0,0,1]
	v_pk_fma_f32 v[108:109], v[108:109], v[98:99], v[112:113] op_sel:[0,0,1] op_sel_hi:[1,0,0]
	v_mov_b32_e32 v115, v109
	v_pk_mul_f32 v[108:109], v[110:111], v[100:101] op_sel:[0,1]
	s_delay_alu instid0(VALU_DEP_1) | instskip(SKIP_1) | instid1(VALU_DEP_1)
	v_pk_fma_f32 v[112:113], v[110:111], v[98:99], v[108:109] op_sel:[0,0,1] op_sel_hi:[1,1,0] neg_lo:[0,0,1] neg_hi:[0,0,1]
	v_pk_fma_f32 v[108:109], v[110:111], v[98:99], v[108:109] op_sel:[0,0,1] op_sel_hi:[1,0,0]
	v_mov_b32_e32 v113, v109
	ds_load_2addr_b64 v[108:111], v102 offset0:32 offset1:33
	v_pk_add_f32 v[36:37], v[36:37], v[114:115] neg_lo:[0,1] neg_hi:[0,1]
	v_pk_add_f32 v[28:29], v[28:29], v[112:113] neg_lo:[0,1] neg_hi:[0,1]
	s_wait_dscnt 0x0
	v_dual_mul_f32 v112, v109, v101 :: v_dual_mul_f32 v114, v109, v98
	s_delay_alu instid0(VALU_DEP_1) | instskip(NEXT) | instid1(VALU_DEP_2)
	v_pk_fma_f32 v[112:113], v[108:109], v[64:65], v[112:113] op_sel_hi:[1,1,0] neg_lo:[0,0,1] neg_hi:[0,0,1]
	v_pk_fma_f32 v[108:109], v[108:109], v[64:65], v[114:115] op_sel:[1,0,0] op_sel_hi:[0,1,0]
	s_delay_alu instid0(VALU_DEP_1) | instskip(SKIP_1) | instid1(VALU_DEP_2)
	v_mov_b32_e32 v113, v109
	v_pk_mul_f32 v[108:109], v[110:111], v[100:101] op_sel:[0,1]
	v_pk_add_f32 v[72:73], v[72:73], v[112:113] neg_lo:[0,1] neg_hi:[0,1]
	s_delay_alu instid0(VALU_DEP_2) | instskip(SKIP_1) | instid1(VALU_DEP_1)
	v_pk_fma_f32 v[112:113], v[110:111], v[98:99], v[108:109] op_sel:[0,0,1] op_sel_hi:[1,1,0] neg_lo:[0,0,1] neg_hi:[0,0,1]
	v_pk_fma_f32 v[108:109], v[110:111], v[98:99], v[108:109] op_sel:[0,0,1] op_sel_hi:[1,0,0]
	v_mov_b32_e32 v113, v109
	ds_load_2addr_b64 v[108:111], v102 offset0:34 offset1:35
	v_pk_add_f32 v[18:19], v[18:19], v[112:113] neg_lo:[0,1] neg_hi:[0,1]
	s_wait_dscnt 0x0
	v_pk_mul_f32 v[112:113], v[108:109], v[100:101] op_sel:[0,1]
	s_delay_alu instid0(VALU_DEP_1) | instskip(SKIP_1) | instid1(VALU_DEP_1)
	v_pk_fma_f32 v[114:115], v[108:109], v[98:99], v[112:113] op_sel:[0,0,1] op_sel_hi:[1,1,0] neg_lo:[0,0,1] neg_hi:[0,0,1]
	v_pk_fma_f32 v[108:109], v[108:109], v[98:99], v[112:113] op_sel:[0,0,1] op_sel_hi:[1,0,0]
	v_mov_b32_e32 v115, v109
	v_pk_mul_f32 v[108:109], v[110:111], v[100:101] op_sel:[0,1]
	s_delay_alu instid0(VALU_DEP_2) | instskip(NEXT) | instid1(VALU_DEP_2)
	v_pk_add_f32 v[24:25], v[24:25], v[114:115] neg_lo:[0,1] neg_hi:[0,1]
	v_pk_fma_f32 v[112:113], v[110:111], v[98:99], v[108:109] op_sel:[0,0,1] op_sel_hi:[1,1,0] neg_lo:[0,0,1] neg_hi:[0,0,1]
	v_pk_fma_f32 v[108:109], v[110:111], v[98:99], v[108:109] op_sel:[0,0,1] op_sel_hi:[1,0,0]
	s_delay_alu instid0(VALU_DEP_1) | instskip(SKIP_4) | instid1(VALU_DEP_1)
	v_mov_b32_e32 v113, v109
	ds_load_2addr_b64 v[108:111], v102 offset0:36 offset1:37
	v_pk_add_f32 v[16:17], v[16:17], v[112:113] neg_lo:[0,1] neg_hi:[0,1]
	s_wait_dscnt 0x0
	v_pk_mul_f32 v[112:113], v[108:109], v[100:101] op_sel:[0,1]
	v_pk_fma_f32 v[114:115], v[108:109], v[98:99], v[112:113] op_sel:[0,0,1] op_sel_hi:[1,1,0] neg_lo:[0,0,1] neg_hi:[0,0,1]
	v_pk_fma_f32 v[108:109], v[108:109], v[98:99], v[112:113] op_sel:[0,0,1] op_sel_hi:[1,0,0]
	v_dual_mul_f32 v112, v111, v101 :: v_dual_mov_b32 v108, v111
	s_delay_alu instid0(VALU_DEP_2) | instskip(NEXT) | instid1(VALU_DEP_2)
	v_dual_mov_b32 v115, v109 :: v_dual_mov_b32 v109, v110
	v_pk_fma_f32 v[112:113], v[110:111], v[64:65], v[112:113] op_sel_hi:[1,1,0] neg_lo:[0,0,1] neg_hi:[0,0,1]
	v_mul_f32_e32 v110, v111, v98
	s_delay_alu instid0(VALU_DEP_3) | instskip(NEXT) | instid1(VALU_DEP_2)
	v_pk_add_f32 v[70:71], v[70:71], v[114:115] neg_lo:[0,1] neg_hi:[0,1]
	v_pk_fma_f32 v[108:109], v[108:109], v[64:65], v[110:111] op_sel_hi:[1,1,0]
	s_delay_alu instid0(VALU_DEP_1) | instskip(SKIP_4) | instid1(VALU_DEP_1)
	v_mov_b32_e32 v113, v109
	ds_load_2addr_b64 v[108:111], v102 offset0:38 offset1:39
	v_pk_add_f32 v[10:11], v[10:11], v[112:113] neg_lo:[0,1] neg_hi:[0,1]
	s_wait_dscnt 0x0
	v_pk_mul_f32 v[112:113], v[108:109], v[100:101] op_sel:[0,1]
	v_pk_fma_f32 v[114:115], v[108:109], v[98:99], v[112:113] op_sel:[0,0,1] op_sel_hi:[1,1,0] neg_lo:[0,0,1] neg_hi:[0,0,1]
	v_pk_fma_f32 v[108:109], v[108:109], v[98:99], v[112:113] op_sel:[0,0,1] op_sel_hi:[1,0,0]
	s_delay_alu instid0(VALU_DEP_1) | instskip(SKIP_1) | instid1(VALU_DEP_1)
	v_mov_b32_e32 v115, v109
	v_pk_mul_f32 v[108:109], v[110:111], v[100:101] op_sel:[0,1]
	v_pk_fma_f32 v[112:113], v[110:111], v[98:99], v[108:109] op_sel:[0,0,1] op_sel_hi:[1,1,0] neg_lo:[0,0,1] neg_hi:[0,0,1]
	v_pk_fma_f32 v[108:109], v[110:111], v[98:99], v[108:109] op_sel:[0,0,1] op_sel_hi:[1,0,0]
	s_delay_alu instid0(VALU_DEP_1)
	v_mov_b32_e32 v113, v109
	ds_load_2addr_b64 v[108:111], v102 offset0:40 offset1:41
	v_pk_add_f32 v[12:13], v[12:13], v[114:115] neg_lo:[0,1] neg_hi:[0,1]
	v_pk_add_f32 v[8:9], v[8:9], v[112:113] neg_lo:[0,1] neg_hi:[0,1]
	s_wait_dscnt 0x0
	v_pk_mul_f32 v[112:113], v[108:109], v[100:101] op_sel:[0,1]
	s_delay_alu instid0(VALU_DEP_1) | instskip(SKIP_1) | instid1(VALU_DEP_1)
	v_pk_fma_f32 v[114:115], v[108:109], v[98:99], v[112:113] op_sel:[0,0,1] op_sel_hi:[1,1,0] neg_lo:[0,0,1] neg_hi:[0,0,1]
	v_pk_fma_f32 v[108:109], v[108:109], v[98:99], v[112:113] op_sel:[0,0,1] op_sel_hi:[1,0,0]
	v_mov_b32_e32 v115, v109
	v_pk_mul_f32 v[108:109], v[110:111], v[100:101] op_sel:[0,1]
	s_delay_alu instid0(VALU_DEP_1) | instskip(SKIP_1) | instid1(VALU_DEP_1)
	v_pk_fma_f32 v[112:113], v[110:111], v[98:99], v[108:109] op_sel:[0,0,1] op_sel_hi:[1,1,0] neg_lo:[0,0,1] neg_hi:[0,0,1]
	v_pk_fma_f32 v[108:109], v[110:111], v[98:99], v[108:109] op_sel:[0,0,1] op_sel_hi:[1,0,0]
	v_mov_b32_e32 v113, v109
	ds_load_2addr_b64 v[108:111], v102 offset0:42 offset1:43
	v_pk_add_f32 v[68:69], v[68:69], v[114:115] neg_lo:[0,1] neg_hi:[0,1]
	v_pk_add_f32 v[6:7], v[6:7], v[112:113] neg_lo:[0,1] neg_hi:[0,1]
	s_wait_dscnt 0x0
	v_dual_mul_f32 v112, v109, v101 :: v_dual_mul_f32 v114, v109, v98
	s_delay_alu instid0(VALU_DEP_1) | instskip(NEXT) | instid1(VALU_DEP_2)
	v_pk_fma_f32 v[112:113], v[108:109], v[64:65], v[112:113] op_sel_hi:[1,1,0] neg_lo:[0,0,1] neg_hi:[0,0,1]
	v_pk_fma_f32 v[108:109], v[108:109], v[64:65], v[114:115] op_sel:[1,0,0] op_sel_hi:[0,1,0]
	s_delay_alu instid0(VALU_DEP_1) | instskip(SKIP_1) | instid1(VALU_DEP_2)
	v_mov_b32_e32 v113, v109
	v_pk_mul_f32 v[108:109], v[110:111], v[100:101] op_sel:[0,1]
	v_pk_add_f32 v[54:55], v[54:55], v[112:113] neg_lo:[0,1] neg_hi:[0,1]
	s_delay_alu instid0(VALU_DEP_2) | instskip(SKIP_1) | instid1(VALU_DEP_1)
	v_pk_fma_f32 v[112:113], v[110:111], v[98:99], v[108:109] op_sel:[0,0,1] op_sel_hi:[1,1,0] neg_lo:[0,0,1] neg_hi:[0,0,1]
	v_pk_fma_f32 v[108:109], v[110:111], v[98:99], v[108:109] op_sel:[0,0,1] op_sel_hi:[1,0,0]
	v_mov_b32_e32 v113, v109
	ds_load_2addr_b64 v[108:111], v102 offset0:44 offset1:45
	v_pk_add_f32 v[40:41], v[40:41], v[112:113] neg_lo:[0,1] neg_hi:[0,1]
	s_wait_dscnt 0x0
	v_pk_mul_f32 v[112:113], v[108:109], v[100:101] op_sel:[0,1]
	v_pk_mul_f32 v[100:101], v[110:111], v[100:101] op_sel:[0,1]
	s_delay_alu instid0(VALU_DEP_2) | instskip(SKIP_1) | instid1(VALU_DEP_1)
	v_pk_fma_f32 v[114:115], v[108:109], v[98:99], v[112:113] op_sel:[0,0,1] op_sel_hi:[1,1,0] neg_lo:[0,0,1] neg_hi:[0,0,1]
	v_pk_fma_f32 v[108:109], v[108:109], v[98:99], v[112:113] op_sel:[0,0,1] op_sel_hi:[1,0,0]
	v_mov_b32_e32 v115, v109
	s_delay_alu instid0(VALU_DEP_4) | instskip(SKIP_1) | instid1(VALU_DEP_3)
	v_pk_fma_f32 v[108:109], v[110:111], v[98:99], v[100:101] op_sel:[0,0,1] op_sel_hi:[1,1,0] neg_lo:[0,0,1] neg_hi:[0,0,1]
	v_pk_fma_f32 v[98:99], v[110:111], v[98:99], v[100:101] op_sel:[0,0,1] op_sel_hi:[1,0,0]
	v_pk_add_f32 v[14:15], v[14:15], v[114:115] neg_lo:[0,1] neg_hi:[0,1]
	s_delay_alu instid0(VALU_DEP_2) | instskip(NEXT) | instid1(VALU_DEP_1)
	v_mov_b32_e32 v109, v99
	v_pk_add_f32 v[96:97], v[96:97], v[108:109] neg_lo:[0,1] neg_hi:[0,1]
.LBB90_293:
	s_or_b32 exec_lo, exec_lo, s0
	v_lshl_add_u32 v98, v106, 3, v102
	s_barrier_signal -1
	s_barrier_wait -1
	ds_store_b64 v98, v[66:67]
	s_wait_dscnt 0x0
	s_barrier_signal -1
	s_barrier_wait -1
	ds_load_b64 v[100:101], v102 offset:112
	v_mov_b32_e32 v98, 14
	s_cmp_lt_i32 s18, 16
	s_cbranch_scc1 .LBB90_296
; %bb.294:
	v_add3_u32 v99, v103, 0, 0x78
	v_mov_b32_e32 v98, 14
	s_mov_b32 s0, 15
.LBB90_295:                             ; =>This Inner Loop Header: Depth=1
	ds_load_b64 v[108:109], v99
	s_wait_dscnt 0x1
	v_cmp_gt_f32_e32 vcc_lo, 0, v100
	v_cndmask_b32_e64 v110, v100, -v100, vcc_lo
	v_cmp_gt_f32_e32 vcc_lo, 0, v101
	v_cndmask_b32_e64 v112, v101, -v101, vcc_lo
	s_wait_dscnt 0x0
	v_cmp_gt_f32_e32 vcc_lo, 0, v108
	v_cndmask_b32_e64 v111, v108, -v108, vcc_lo
	v_cmp_gt_f32_e32 vcc_lo, 0, v109
	v_cndmask_b32_e64 v113, v109, -v109, vcc_lo
	s_delay_alu instid0(VALU_DEP_1) | instskip(NEXT) | instid1(VALU_DEP_1)
	v_pk_add_f32 v[110:111], v[110:111], v[112:113]
	v_cmp_lt_f32_e32 vcc_lo, v110, v111
	v_dual_add_nc_u32 v99, 8, v99 :: v_dual_cndmask_b32 v101, v101, v109, vcc_lo
	v_cndmask_b32_e32 v100, v100, v108, vcc_lo
	v_cndmask_b32_e64 v98, v98, s0, vcc_lo
	s_add_co_i32 s0, s0, 1
	s_delay_alu instid0(SALU_CYCLE_1)
	s_cmp_lg_u32 s18, s0
	s_cbranch_scc1 .LBB90_295
.LBB90_296:
	s_wait_dscnt 0x0
	v_cmp_eq_f32_e32 vcc_lo, 0, v100
	v_cmp_eq_f32_e64 s0, 0, v101
	s_and_b32 s0, vcc_lo, s0
	s_delay_alu instid0(SALU_CYCLE_1) | instskip(NEXT) | instid1(SALU_CYCLE_1)
	s_and_saveexec_b32 s1, s0
	s_xor_b32 s0, exec_lo, s1
; %bb.297:
	v_cmp_ne_u32_e32 vcc_lo, 0, v104
	v_cndmask_b32_e32 v104, 15, v104, vcc_lo
; %bb.298:
	s_and_not1_saveexec_b32 s0, s0
	s_cbranch_execz .LBB90_304
; %bb.299:
	v_cmp_ngt_f32_e64 s1, |v100|, |v101|
	s_and_saveexec_b32 s12, s1
	s_delay_alu instid0(SALU_CYCLE_1)
	s_xor_b32 s1, exec_lo, s12
	s_cbranch_execz .LBB90_301
; %bb.300:
	v_div_scale_f32 v99, null, v101, v101, v100
	v_div_scale_f32 v109, vcc_lo, v100, v101, v100
	s_delay_alu instid0(VALU_DEP_2) | instskip(SKIP_1) | instid1(TRANS32_DEP_1)
	v_rcp_f32_e32 v107, v99
	v_nop
	v_fma_f32 v108, -v99, v107, 1.0
	s_delay_alu instid0(VALU_DEP_1) | instskip(NEXT) | instid1(VALU_DEP_1)
	v_fmac_f32_e32 v107, v108, v107
	v_mul_f32_e32 v108, v109, v107
	s_delay_alu instid0(VALU_DEP_1) | instskip(NEXT) | instid1(VALU_DEP_1)
	v_fma_f32 v110, -v99, v108, v109
	v_fmac_f32_e32 v108, v110, v107
	s_delay_alu instid0(VALU_DEP_1) | instskip(NEXT) | instid1(VALU_DEP_1)
	v_fma_f32 v99, -v99, v108, v109
	v_div_fmas_f32 v99, v99, v107, v108
	s_delay_alu instid0(VALU_DEP_1) | instskip(NEXT) | instid1(VALU_DEP_1)
	v_div_fixup_f32 v99, v99, v101, v100
	v_fmac_f32_e32 v101, v100, v99
	s_delay_alu instid0(VALU_DEP_1) | instskip(SKIP_1) | instid1(VALU_DEP_2)
	v_div_scale_f32 v100, null, v101, v101, 1.0
	v_div_scale_f32 v109, vcc_lo, 1.0, v101, 1.0
	v_rcp_f32_e32 v107, v100
	v_nop
	s_delay_alu instid0(TRANS32_DEP_1) | instskip(NEXT) | instid1(VALU_DEP_1)
	v_fma_f32 v108, -v100, v107, 1.0
	v_fmac_f32_e32 v107, v108, v107
	s_delay_alu instid0(VALU_DEP_1) | instskip(NEXT) | instid1(VALU_DEP_1)
	v_mul_f32_e32 v108, v109, v107
	v_fma_f32 v110, -v100, v108, v109
	s_delay_alu instid0(VALU_DEP_1) | instskip(NEXT) | instid1(VALU_DEP_1)
	v_fmac_f32_e32 v108, v110, v107
	v_fma_f32 v100, -v100, v108, v109
	s_delay_alu instid0(VALU_DEP_1) | instskip(NEXT) | instid1(VALU_DEP_1)
	v_div_fmas_f32 v100, v100, v107, v108
	v_div_fixup_f32 v101, v100, v101, 1.0
	s_delay_alu instid0(VALU_DEP_1)
	v_mul_f32_e32 v100, v99, v101
	v_xor_b32_e32 v101, 0x80000000, v101
.LBB90_301:
	s_and_not1_saveexec_b32 s1, s1
	s_cbranch_execz .LBB90_303
; %bb.302:
	s_delay_alu instid0(VALU_DEP_1) | instskip(SKIP_1) | instid1(VALU_DEP_2)
	v_div_scale_f32 v99, null, v100, v100, v101
	v_div_scale_f32 v109, vcc_lo, v101, v100, v101
	v_rcp_f32_e32 v107, v99
	v_nop
	s_delay_alu instid0(TRANS32_DEP_1) | instskip(NEXT) | instid1(VALU_DEP_1)
	v_fma_f32 v108, -v99, v107, 1.0
	v_fmac_f32_e32 v107, v108, v107
	s_delay_alu instid0(VALU_DEP_1) | instskip(NEXT) | instid1(VALU_DEP_1)
	v_mul_f32_e32 v108, v109, v107
	v_fma_f32 v110, -v99, v108, v109
	s_delay_alu instid0(VALU_DEP_1) | instskip(NEXT) | instid1(VALU_DEP_1)
	v_fmac_f32_e32 v108, v110, v107
	v_fma_f32 v99, -v99, v108, v109
	s_delay_alu instid0(VALU_DEP_1) | instskip(NEXT) | instid1(VALU_DEP_1)
	v_div_fmas_f32 v99, v99, v107, v108
	v_div_fixup_f32 v99, v99, v100, v101
	s_delay_alu instid0(VALU_DEP_1) | instskip(NEXT) | instid1(VALU_DEP_1)
	v_fmac_f32_e32 v100, v101, v99
	v_div_scale_f32 v101, null, v100, v100, 1.0
	s_delay_alu instid0(VALU_DEP_1) | instskip(SKIP_1) | instid1(TRANS32_DEP_1)
	v_rcp_f32_e32 v107, v101
	v_nop
	v_fma_f32 v108, -v101, v107, 1.0
	s_delay_alu instid0(VALU_DEP_1) | instskip(SKIP_1) | instid1(VALU_DEP_1)
	v_fmac_f32_e32 v107, v108, v107
	v_div_scale_f32 v108, vcc_lo, 1.0, v100, 1.0
	v_mul_f32_e32 v109, v108, v107
	s_delay_alu instid0(VALU_DEP_1) | instskip(NEXT) | instid1(VALU_DEP_1)
	v_fma_f32 v110, -v101, v109, v108
	v_fmac_f32_e32 v109, v110, v107
	s_delay_alu instid0(VALU_DEP_1) | instskip(NEXT) | instid1(VALU_DEP_1)
	v_fma_f32 v101, -v101, v109, v108
	v_div_fmas_f32 v101, v101, v107, v109
	s_delay_alu instid0(VALU_DEP_1) | instskip(NEXT) | instid1(VALU_DEP_1)
	v_div_fixup_f32 v100, v101, v100, 1.0
	v_mul_f32_e64 v101, v99, -v100
.LBB90_303:
	s_or_b32 exec_lo, exec_lo, s1
.LBB90_304:
	s_delay_alu instid0(SALU_CYCLE_1) | instskip(NEXT) | instid1(SALU_CYCLE_1)
	s_or_b32 exec_lo, exec_lo, s0
	s_mov_b32 s0, exec_lo
	v_cmpx_ne_u32_e64 v106, v98
	s_xor_b32 s0, exec_lo, s0
	s_cbranch_execz .LBB90_310
; %bb.305:
	s_mov_b32 s1, exec_lo
	v_cmpx_eq_u32_e32 14, v106
	s_cbranch_execz .LBB90_309
; %bb.306:
	v_cmp_ne_u32_e32 vcc_lo, 14, v98
	s_xor_b32 s12, s16, -1
	s_delay_alu instid0(SALU_CYCLE_1) | instskip(NEXT) | instid1(SALU_CYCLE_1)
	s_and_b32 s13, s12, vcc_lo
	s_and_saveexec_b32 s12, s13
	s_cbranch_execz .LBB90_308
; %bb.307:
	v_ashrrev_i32_e32 v99, 31, v98
	s_delay_alu instid0(VALU_DEP_1)
	v_lshl_add_u64 v[106:107], v[98:99], 2, v[4:5]
	s_clause 0x1
	global_load_b32 v99, v[106:107], off
	global_load_b32 v105, v[4:5], off offset:56
	s_wait_loadcnt 0x1
	global_store_b32 v[4:5], v99, off offset:56
	s_wait_loadcnt 0x0
	global_store_b32 v[106:107], v105, off
.LBB90_308:
	s_wait_xcnt 0x0
	s_or_b32 exec_lo, exec_lo, s12
	v_dual_mov_b32 v106, v98 :: v_dual_mov_b32 v105, v98
.LBB90_309:
	s_or_b32 exec_lo, exec_lo, s1
.LBB90_310:
	s_and_not1_saveexec_b32 s0, s0
	s_cbranch_execz .LBB90_312
; %bb.311:
	v_mov_b32_e32 v106, 14
	ds_store_2addr_b64 v102, v[62:63], v[84:85] offset0:15 offset1:16
	ds_store_2addr_b64 v102, v[58:59], v[60:61] offset0:17 offset1:18
	;; [unrolled: 1-line block ×15, first 2 shown]
	ds_store_b64 v102, v[96:97] offset:360
.LBB90_312:
	s_or_b32 exec_lo, exec_lo, s0
	s_delay_alu instid0(SALU_CYCLE_1)
	s_mov_b32 s0, exec_lo
	s_wait_storecnt_dscnt 0x0
	s_barrier_signal -1
	s_barrier_wait -1
	v_cmpx_lt_i32_e32 14, v106
	s_cbranch_execz .LBB90_314
; %bb.313:
	v_pk_mul_f32 v[108:109], v[100:101], v[66:67] op_sel:[1,1] op_sel_hi:[0,1]
	s_delay_alu instid0(VALU_DEP_1)
	v_pk_fma_f32 v[98:99], v[100:101], v[66:67], v[108:109] op_sel_hi:[1,0,1] neg_lo:[0,0,1] neg_hi:[0,0,1]
	v_pk_fma_f32 v[100:101], v[100:101], v[66:67], v[108:109] op_sel_hi:[1,0,1]
	ds_load_2addr_b64 v[108:111], v102 offset0:15 offset1:16
	v_dual_mov_b32 v66, v98 :: v_dual_mov_b32 v67, v101
	s_wait_dscnt 0x0
	v_pk_mul_f32 v[112:113], v[108:109], v[100:101] op_sel:[0,1]
	s_delay_alu instid0(VALU_DEP_1) | instskip(SKIP_1) | instid1(VALU_DEP_1)
	v_pk_fma_f32 v[114:115], v[108:109], v[98:99], v[112:113] op_sel:[0,0,1] op_sel_hi:[1,1,0] neg_lo:[0,0,1] neg_hi:[0,0,1]
	v_pk_fma_f32 v[108:109], v[108:109], v[98:99], v[112:113] op_sel:[0,0,1] op_sel_hi:[1,0,0]
	v_mov_b32_e32 v115, v109
	v_pk_mul_f32 v[108:109], v[110:111], v[100:101] op_sel:[0,1]
	s_delay_alu instid0(VALU_DEP_1) | instskip(SKIP_1) | instid1(VALU_DEP_1)
	v_pk_fma_f32 v[112:113], v[110:111], v[98:99], v[108:109] op_sel:[0,0,1] op_sel_hi:[1,1,0] neg_lo:[0,0,1] neg_hi:[0,0,1]
	v_pk_fma_f32 v[108:109], v[110:111], v[98:99], v[108:109] op_sel:[0,0,1] op_sel_hi:[1,0,0]
	v_mov_b32_e32 v113, v109
	ds_load_2addr_b64 v[108:111], v102 offset0:17 offset1:18
	v_pk_add_f32 v[62:63], v[62:63], v[114:115] neg_lo:[0,1] neg_hi:[0,1]
	v_pk_add_f32 v[84:85], v[84:85], v[112:113] neg_lo:[0,1] neg_hi:[0,1]
	s_wait_dscnt 0x0
	v_pk_mul_f32 v[112:113], v[108:109], v[100:101] op_sel:[0,1]
	s_delay_alu instid0(VALU_DEP_1) | instskip(SKIP_2) | instid1(VALU_DEP_2)
	v_pk_fma_f32 v[114:115], v[108:109], v[98:99], v[112:113] op_sel:[0,0,1] op_sel_hi:[1,1,0] neg_lo:[0,0,1] neg_hi:[0,0,1]
	v_pk_fma_f32 v[108:109], v[108:109], v[98:99], v[112:113] op_sel:[0,0,1] op_sel_hi:[1,0,0]
	v_dual_mul_f32 v112, v111, v101 :: v_dual_mov_b32 v108, v111
	v_dual_mov_b32 v115, v109 :: v_dual_mov_b32 v109, v110
	s_delay_alu instid0(VALU_DEP_2) | instskip(SKIP_1) | instid1(VALU_DEP_3)
	v_pk_fma_f32 v[112:113], v[110:111], v[66:67], v[112:113] op_sel_hi:[1,1,0] neg_lo:[0,0,1] neg_hi:[0,0,1]
	v_mul_f32_e32 v110, v111, v98
	v_pk_add_f32 v[58:59], v[58:59], v[114:115] neg_lo:[0,1] neg_hi:[0,1]
	s_delay_alu instid0(VALU_DEP_2) | instskip(NEXT) | instid1(VALU_DEP_1)
	v_pk_fma_f32 v[108:109], v[108:109], v[66:67], v[110:111] op_sel_hi:[1,1,0]
	v_mov_b32_e32 v113, v109
	ds_load_2addr_b64 v[108:111], v102 offset0:19 offset1:20
	v_pk_add_f32 v[60:61], v[60:61], v[112:113] neg_lo:[0,1] neg_hi:[0,1]
	s_wait_dscnt 0x0
	v_pk_mul_f32 v[112:113], v[108:109], v[100:101] op_sel:[0,1]
	s_delay_alu instid0(VALU_DEP_1) | instskip(SKIP_1) | instid1(VALU_DEP_1)
	v_pk_fma_f32 v[114:115], v[108:109], v[98:99], v[112:113] op_sel:[0,0,1] op_sel_hi:[1,1,0] neg_lo:[0,0,1] neg_hi:[0,0,1]
	v_pk_fma_f32 v[108:109], v[108:109], v[98:99], v[112:113] op_sel:[0,0,1] op_sel_hi:[1,0,0]
	v_mov_b32_e32 v115, v109
	v_pk_mul_f32 v[108:109], v[110:111], v[100:101] op_sel:[0,1]
	s_delay_alu instid0(VALU_DEP_1) | instskip(SKIP_1) | instid1(VALU_DEP_1)
	v_pk_fma_f32 v[112:113], v[110:111], v[98:99], v[108:109] op_sel:[0,0,1] op_sel_hi:[1,1,0] neg_lo:[0,0,1] neg_hi:[0,0,1]
	v_pk_fma_f32 v[108:109], v[110:111], v[98:99], v[108:109] op_sel:[0,0,1] op_sel_hi:[1,0,0]
	v_mov_b32_e32 v113, v109
	ds_load_2addr_b64 v[108:111], v102 offset0:21 offset1:22
	v_pk_add_f32 v[56:57], v[56:57], v[114:115] neg_lo:[0,1] neg_hi:[0,1]
	v_pk_add_f32 v[82:83], v[82:83], v[112:113] neg_lo:[0,1] neg_hi:[0,1]
	s_wait_dscnt 0x0
	v_pk_mul_f32 v[112:113], v[108:109], v[100:101] op_sel:[0,1]
	s_delay_alu instid0(VALU_DEP_1) | instskip(SKIP_1) | instid1(VALU_DEP_1)
	v_pk_fma_f32 v[114:115], v[108:109], v[98:99], v[112:113] op_sel:[0,0,1] op_sel_hi:[1,1,0] neg_lo:[0,0,1] neg_hi:[0,0,1]
	v_pk_fma_f32 v[108:109], v[108:109], v[98:99], v[112:113] op_sel:[0,0,1] op_sel_hi:[1,0,0]
	v_mov_b32_e32 v115, v109
	v_pk_mul_f32 v[108:109], v[110:111], v[100:101] op_sel:[0,1]
	s_delay_alu instid0(VALU_DEP_1) | instskip(SKIP_1) | instid1(VALU_DEP_1)
	v_pk_fma_f32 v[112:113], v[110:111], v[98:99], v[108:109] op_sel:[0,0,1] op_sel_hi:[1,1,0] neg_lo:[0,0,1] neg_hi:[0,0,1]
	v_pk_fma_f32 v[108:109], v[110:111], v[98:99], v[108:109] op_sel:[0,0,1] op_sel_hi:[1,0,0]
	v_mov_b32_e32 v113, v109
	ds_load_2addr_b64 v[108:111], v102 offset0:23 offset1:24
	v_pk_add_f32 v[50:51], v[50:51], v[114:115] neg_lo:[0,1] neg_hi:[0,1]
	v_pk_add_f32 v[52:53], v[52:53], v[112:113] neg_lo:[0,1] neg_hi:[0,1]
	s_wait_dscnt 0x0
	v_dual_mul_f32 v112, v109, v101 :: v_dual_mul_f32 v114, v109, v98
	s_delay_alu instid0(VALU_DEP_1) | instskip(NEXT) | instid1(VALU_DEP_2)
	v_pk_fma_f32 v[112:113], v[108:109], v[66:67], v[112:113] op_sel_hi:[1,1,0] neg_lo:[0,0,1] neg_hi:[0,0,1]
	v_pk_fma_f32 v[108:109], v[108:109], v[66:67], v[114:115] op_sel:[1,0,0] op_sel_hi:[0,1,0]
	s_delay_alu instid0(VALU_DEP_1) | instskip(SKIP_1) | instid1(VALU_DEP_2)
	v_mov_b32_e32 v113, v109
	v_pk_mul_f32 v[108:109], v[110:111], v[100:101] op_sel:[0,1]
	v_pk_add_f32 v[48:49], v[48:49], v[112:113] neg_lo:[0,1] neg_hi:[0,1]
	s_delay_alu instid0(VALU_DEP_2) | instskip(SKIP_1) | instid1(VALU_DEP_1)
	v_pk_fma_f32 v[112:113], v[110:111], v[98:99], v[108:109] op_sel:[0,0,1] op_sel_hi:[1,1,0] neg_lo:[0,0,1] neg_hi:[0,0,1]
	v_pk_fma_f32 v[108:109], v[110:111], v[98:99], v[108:109] op_sel:[0,0,1] op_sel_hi:[1,0,0]
	v_mov_b32_e32 v113, v109
	ds_load_2addr_b64 v[108:111], v102 offset0:25 offset1:26
	v_pk_add_f32 v[80:81], v[80:81], v[112:113] neg_lo:[0,1] neg_hi:[0,1]
	s_wait_dscnt 0x0
	v_pk_mul_f32 v[112:113], v[108:109], v[100:101] op_sel:[0,1]
	s_delay_alu instid0(VALU_DEP_1) | instskip(SKIP_1) | instid1(VALU_DEP_1)
	v_pk_fma_f32 v[114:115], v[108:109], v[98:99], v[112:113] op_sel:[0,0,1] op_sel_hi:[1,1,0] neg_lo:[0,0,1] neg_hi:[0,0,1]
	v_pk_fma_f32 v[108:109], v[108:109], v[98:99], v[112:113] op_sel:[0,0,1] op_sel_hi:[1,0,0]
	v_mov_b32_e32 v115, v109
	v_pk_mul_f32 v[108:109], v[110:111], v[100:101] op_sel:[0,1]
	s_delay_alu instid0(VALU_DEP_2) | instskip(NEXT) | instid1(VALU_DEP_2)
	v_pk_add_f32 v[44:45], v[44:45], v[114:115] neg_lo:[0,1] neg_hi:[0,1]
	v_pk_fma_f32 v[112:113], v[110:111], v[98:99], v[108:109] op_sel:[0,0,1] op_sel_hi:[1,1,0] neg_lo:[0,0,1] neg_hi:[0,0,1]
	v_pk_fma_f32 v[108:109], v[110:111], v[98:99], v[108:109] op_sel:[0,0,1] op_sel_hi:[1,0,0]
	s_delay_alu instid0(VALU_DEP_1) | instskip(SKIP_4) | instid1(VALU_DEP_1)
	v_mov_b32_e32 v113, v109
	ds_load_2addr_b64 v[108:111], v102 offset0:27 offset1:28
	v_pk_add_f32 v[46:47], v[46:47], v[112:113] neg_lo:[0,1] neg_hi:[0,1]
	s_wait_dscnt 0x0
	v_pk_mul_f32 v[112:113], v[108:109], v[100:101] op_sel:[0,1]
	v_pk_fma_f32 v[114:115], v[108:109], v[98:99], v[112:113] op_sel:[0,0,1] op_sel_hi:[1,1,0] neg_lo:[0,0,1] neg_hi:[0,0,1]
	v_pk_fma_f32 v[108:109], v[108:109], v[98:99], v[112:113] op_sel:[0,0,1] op_sel_hi:[1,0,0]
	v_dual_mul_f32 v112, v111, v101 :: v_dual_mov_b32 v108, v111
	s_delay_alu instid0(VALU_DEP_2) | instskip(NEXT) | instid1(VALU_DEP_2)
	v_dual_mov_b32 v115, v109 :: v_dual_mov_b32 v109, v110
	v_pk_fma_f32 v[112:113], v[110:111], v[66:67], v[112:113] op_sel_hi:[1,1,0] neg_lo:[0,0,1] neg_hi:[0,0,1]
	v_mul_f32_e32 v110, v111, v98
	s_delay_alu instid0(VALU_DEP_3) | instskip(NEXT) | instid1(VALU_DEP_2)
	v_pk_add_f32 v[42:43], v[42:43], v[114:115] neg_lo:[0,1] neg_hi:[0,1]
	v_pk_fma_f32 v[108:109], v[108:109], v[66:67], v[110:111] op_sel_hi:[1,1,0]
	s_delay_alu instid0(VALU_DEP_1) | instskip(SKIP_4) | instid1(VALU_DEP_1)
	v_mov_b32_e32 v113, v109
	ds_load_2addr_b64 v[108:111], v102 offset0:29 offset1:30
	v_pk_add_f32 v[76:77], v[76:77], v[112:113] neg_lo:[0,1] neg_hi:[0,1]
	s_wait_dscnt 0x0
	v_pk_mul_f32 v[112:113], v[108:109], v[100:101] op_sel:[0,1]
	v_pk_fma_f32 v[114:115], v[108:109], v[98:99], v[112:113] op_sel:[0,0,1] op_sel_hi:[1,1,0] neg_lo:[0,0,1] neg_hi:[0,0,1]
	v_pk_fma_f32 v[108:109], v[108:109], v[98:99], v[112:113] op_sel:[0,0,1] op_sel_hi:[1,0,0]
	s_delay_alu instid0(VALU_DEP_1) | instskip(SKIP_1) | instid1(VALU_DEP_1)
	v_mov_b32_e32 v115, v109
	v_pk_mul_f32 v[108:109], v[110:111], v[100:101] op_sel:[0,1]
	v_pk_fma_f32 v[112:113], v[110:111], v[98:99], v[108:109] op_sel:[0,0,1] op_sel_hi:[1,1,0] neg_lo:[0,0,1] neg_hi:[0,0,1]
	v_pk_fma_f32 v[108:109], v[110:111], v[98:99], v[108:109] op_sel:[0,0,1] op_sel_hi:[1,0,0]
	s_delay_alu instid0(VALU_DEP_1)
	v_mov_b32_e32 v113, v109
	ds_load_2addr_b64 v[108:111], v102 offset0:31 offset1:32
	v_pk_add_f32 v[30:31], v[30:31], v[114:115] neg_lo:[0,1] neg_hi:[0,1]
	v_pk_add_f32 v[36:37], v[36:37], v[112:113] neg_lo:[0,1] neg_hi:[0,1]
	s_wait_dscnt 0x0
	v_pk_mul_f32 v[112:113], v[108:109], v[100:101] op_sel:[0,1]
	s_delay_alu instid0(VALU_DEP_1) | instskip(SKIP_1) | instid1(VALU_DEP_1)
	v_pk_fma_f32 v[114:115], v[108:109], v[98:99], v[112:113] op_sel:[0,0,1] op_sel_hi:[1,1,0] neg_lo:[0,0,1] neg_hi:[0,0,1]
	v_pk_fma_f32 v[108:109], v[108:109], v[98:99], v[112:113] op_sel:[0,0,1] op_sel_hi:[1,0,0]
	v_mov_b32_e32 v115, v109
	v_pk_mul_f32 v[108:109], v[110:111], v[100:101] op_sel:[0,1]
	s_delay_alu instid0(VALU_DEP_1) | instskip(SKIP_1) | instid1(VALU_DEP_1)
	v_pk_fma_f32 v[112:113], v[110:111], v[98:99], v[108:109] op_sel:[0,0,1] op_sel_hi:[1,1,0] neg_lo:[0,0,1] neg_hi:[0,0,1]
	v_pk_fma_f32 v[108:109], v[110:111], v[98:99], v[108:109] op_sel:[0,0,1] op_sel_hi:[1,0,0]
	v_mov_b32_e32 v113, v109
	ds_load_2addr_b64 v[108:111], v102 offset0:33 offset1:34
	v_pk_add_f32 v[28:29], v[28:29], v[114:115] neg_lo:[0,1] neg_hi:[0,1]
	v_pk_add_f32 v[72:73], v[72:73], v[112:113] neg_lo:[0,1] neg_hi:[0,1]
	s_wait_dscnt 0x0
	v_dual_mul_f32 v112, v109, v101 :: v_dual_mul_f32 v114, v109, v98
	s_delay_alu instid0(VALU_DEP_1) | instskip(NEXT) | instid1(VALU_DEP_2)
	v_pk_fma_f32 v[112:113], v[108:109], v[66:67], v[112:113] op_sel_hi:[1,1,0] neg_lo:[0,0,1] neg_hi:[0,0,1]
	v_pk_fma_f32 v[108:109], v[108:109], v[66:67], v[114:115] op_sel:[1,0,0] op_sel_hi:[0,1,0]
	s_delay_alu instid0(VALU_DEP_1) | instskip(SKIP_1) | instid1(VALU_DEP_2)
	v_mov_b32_e32 v113, v109
	v_pk_mul_f32 v[108:109], v[110:111], v[100:101] op_sel:[0,1]
	v_pk_add_f32 v[18:19], v[18:19], v[112:113] neg_lo:[0,1] neg_hi:[0,1]
	s_delay_alu instid0(VALU_DEP_2) | instskip(SKIP_1) | instid1(VALU_DEP_1)
	v_pk_fma_f32 v[112:113], v[110:111], v[98:99], v[108:109] op_sel:[0,0,1] op_sel_hi:[1,1,0] neg_lo:[0,0,1] neg_hi:[0,0,1]
	v_pk_fma_f32 v[108:109], v[110:111], v[98:99], v[108:109] op_sel:[0,0,1] op_sel_hi:[1,0,0]
	v_mov_b32_e32 v113, v109
	ds_load_2addr_b64 v[108:111], v102 offset0:35 offset1:36
	v_pk_add_f32 v[24:25], v[24:25], v[112:113] neg_lo:[0,1] neg_hi:[0,1]
	s_wait_dscnt 0x0
	v_pk_mul_f32 v[112:113], v[108:109], v[100:101] op_sel:[0,1]
	s_delay_alu instid0(VALU_DEP_1) | instskip(SKIP_1) | instid1(VALU_DEP_1)
	v_pk_fma_f32 v[114:115], v[108:109], v[98:99], v[112:113] op_sel:[0,0,1] op_sel_hi:[1,1,0] neg_lo:[0,0,1] neg_hi:[0,0,1]
	v_pk_fma_f32 v[108:109], v[108:109], v[98:99], v[112:113] op_sel:[0,0,1] op_sel_hi:[1,0,0]
	v_mov_b32_e32 v115, v109
	v_pk_mul_f32 v[108:109], v[110:111], v[100:101] op_sel:[0,1]
	s_delay_alu instid0(VALU_DEP_2) | instskip(NEXT) | instid1(VALU_DEP_2)
	v_pk_add_f32 v[16:17], v[16:17], v[114:115] neg_lo:[0,1] neg_hi:[0,1]
	v_pk_fma_f32 v[112:113], v[110:111], v[98:99], v[108:109] op_sel:[0,0,1] op_sel_hi:[1,1,0] neg_lo:[0,0,1] neg_hi:[0,0,1]
	v_pk_fma_f32 v[108:109], v[110:111], v[98:99], v[108:109] op_sel:[0,0,1] op_sel_hi:[1,0,0]
	s_delay_alu instid0(VALU_DEP_1) | instskip(SKIP_4) | instid1(VALU_DEP_1)
	v_mov_b32_e32 v113, v109
	ds_load_2addr_b64 v[108:111], v102 offset0:37 offset1:38
	v_pk_add_f32 v[70:71], v[70:71], v[112:113] neg_lo:[0,1] neg_hi:[0,1]
	s_wait_dscnt 0x0
	v_pk_mul_f32 v[112:113], v[108:109], v[100:101] op_sel:[0,1]
	v_pk_fma_f32 v[114:115], v[108:109], v[98:99], v[112:113] op_sel:[0,0,1] op_sel_hi:[1,1,0] neg_lo:[0,0,1] neg_hi:[0,0,1]
	v_pk_fma_f32 v[108:109], v[108:109], v[98:99], v[112:113] op_sel:[0,0,1] op_sel_hi:[1,0,0]
	v_dual_mul_f32 v112, v111, v101 :: v_dual_mov_b32 v108, v111
	s_delay_alu instid0(VALU_DEP_2) | instskip(NEXT) | instid1(VALU_DEP_2)
	v_dual_mov_b32 v115, v109 :: v_dual_mov_b32 v109, v110
	v_pk_fma_f32 v[112:113], v[110:111], v[66:67], v[112:113] op_sel_hi:[1,1,0] neg_lo:[0,0,1] neg_hi:[0,0,1]
	v_mul_f32_e32 v110, v111, v98
	s_delay_alu instid0(VALU_DEP_3) | instskip(NEXT) | instid1(VALU_DEP_2)
	v_pk_add_f32 v[10:11], v[10:11], v[114:115] neg_lo:[0,1] neg_hi:[0,1]
	v_pk_fma_f32 v[108:109], v[108:109], v[66:67], v[110:111] op_sel_hi:[1,1,0]
	s_delay_alu instid0(VALU_DEP_1) | instskip(SKIP_4) | instid1(VALU_DEP_1)
	v_mov_b32_e32 v113, v109
	ds_load_2addr_b64 v[108:111], v102 offset0:39 offset1:40
	v_pk_add_f32 v[12:13], v[12:13], v[112:113] neg_lo:[0,1] neg_hi:[0,1]
	s_wait_dscnt 0x0
	v_pk_mul_f32 v[112:113], v[108:109], v[100:101] op_sel:[0,1]
	v_pk_fma_f32 v[114:115], v[108:109], v[98:99], v[112:113] op_sel:[0,0,1] op_sel_hi:[1,1,0] neg_lo:[0,0,1] neg_hi:[0,0,1]
	v_pk_fma_f32 v[108:109], v[108:109], v[98:99], v[112:113] op_sel:[0,0,1] op_sel_hi:[1,0,0]
	s_delay_alu instid0(VALU_DEP_1) | instskip(SKIP_1) | instid1(VALU_DEP_1)
	v_mov_b32_e32 v115, v109
	v_pk_mul_f32 v[108:109], v[110:111], v[100:101] op_sel:[0,1]
	v_pk_fma_f32 v[112:113], v[110:111], v[98:99], v[108:109] op_sel:[0,0,1] op_sel_hi:[1,1,0] neg_lo:[0,0,1] neg_hi:[0,0,1]
	v_pk_fma_f32 v[108:109], v[110:111], v[98:99], v[108:109] op_sel:[0,0,1] op_sel_hi:[1,0,0]
	s_delay_alu instid0(VALU_DEP_1)
	v_mov_b32_e32 v113, v109
	ds_load_2addr_b64 v[108:111], v102 offset0:41 offset1:42
	v_pk_add_f32 v[8:9], v[8:9], v[114:115] neg_lo:[0,1] neg_hi:[0,1]
	v_pk_add_f32 v[68:69], v[68:69], v[112:113] neg_lo:[0,1] neg_hi:[0,1]
	s_wait_dscnt 0x0
	v_pk_mul_f32 v[112:113], v[108:109], v[100:101] op_sel:[0,1]
	s_delay_alu instid0(VALU_DEP_1) | instskip(SKIP_1) | instid1(VALU_DEP_1)
	v_pk_fma_f32 v[114:115], v[108:109], v[98:99], v[112:113] op_sel:[0,0,1] op_sel_hi:[1,1,0] neg_lo:[0,0,1] neg_hi:[0,0,1]
	v_pk_fma_f32 v[108:109], v[108:109], v[98:99], v[112:113] op_sel:[0,0,1] op_sel_hi:[1,0,0]
	v_mov_b32_e32 v115, v109
	v_pk_mul_f32 v[108:109], v[110:111], v[100:101] op_sel:[0,1]
	s_delay_alu instid0(VALU_DEP_1) | instskip(SKIP_1) | instid1(VALU_DEP_1)
	v_pk_fma_f32 v[112:113], v[110:111], v[98:99], v[108:109] op_sel:[0,0,1] op_sel_hi:[1,1,0] neg_lo:[0,0,1] neg_hi:[0,0,1]
	v_pk_fma_f32 v[108:109], v[110:111], v[98:99], v[108:109] op_sel:[0,0,1] op_sel_hi:[1,0,0]
	v_mov_b32_e32 v113, v109
	ds_load_2addr_b64 v[108:111], v102 offset0:43 offset1:44
	v_pk_add_f32 v[6:7], v[6:7], v[114:115] neg_lo:[0,1] neg_hi:[0,1]
	v_pk_add_f32 v[54:55], v[54:55], v[112:113] neg_lo:[0,1] neg_hi:[0,1]
	s_wait_dscnt 0x0
	v_dual_mul_f32 v112, v109, v101 :: v_dual_mul_f32 v114, v109, v98
	s_delay_alu instid0(VALU_DEP_1) | instskip(NEXT) | instid1(VALU_DEP_2)
	v_pk_fma_f32 v[112:113], v[108:109], v[66:67], v[112:113] op_sel_hi:[1,1,0] neg_lo:[0,0,1] neg_hi:[0,0,1]
	v_pk_fma_f32 v[108:109], v[108:109], v[66:67], v[114:115] op_sel:[1,0,0] op_sel_hi:[0,1,0]
	s_delay_alu instid0(VALU_DEP_1) | instskip(SKIP_1) | instid1(VALU_DEP_2)
	v_mov_b32_e32 v113, v109
	v_pk_mul_f32 v[108:109], v[110:111], v[100:101] op_sel:[0,1]
	v_pk_add_f32 v[40:41], v[40:41], v[112:113] neg_lo:[0,1] neg_hi:[0,1]
	s_delay_alu instid0(VALU_DEP_2) | instskip(SKIP_1) | instid1(VALU_DEP_1)
	v_pk_fma_f32 v[112:113], v[110:111], v[98:99], v[108:109] op_sel:[0,0,1] op_sel_hi:[1,1,0] neg_lo:[0,0,1] neg_hi:[0,0,1]
	v_pk_fma_f32 v[108:109], v[110:111], v[98:99], v[108:109] op_sel:[0,0,1] op_sel_hi:[1,0,0]
	v_mov_b32_e32 v113, v109
	ds_load_b64 v[108:109], v102 offset:360
	v_pk_add_f32 v[14:15], v[14:15], v[112:113] neg_lo:[0,1] neg_hi:[0,1]
	s_wait_dscnt 0x0
	v_pk_mul_f32 v[100:101], v[108:109], v[100:101] op_sel:[0,1]
	s_delay_alu instid0(VALU_DEP_1) | instskip(SKIP_1) | instid1(VALU_DEP_1)
	v_pk_fma_f32 v[110:111], v[108:109], v[98:99], v[100:101] op_sel:[0,0,1] op_sel_hi:[1,1,0] neg_lo:[0,0,1] neg_hi:[0,0,1]
	v_pk_fma_f32 v[98:99], v[108:109], v[98:99], v[100:101] op_sel:[0,0,1] op_sel_hi:[1,0,0]
	v_mov_b32_e32 v111, v99
	s_delay_alu instid0(VALU_DEP_1)
	v_pk_add_f32 v[96:97], v[96:97], v[110:111] neg_lo:[0,1] neg_hi:[0,1]
.LBB90_314:
	s_or_b32 exec_lo, exec_lo, s0
	v_lshl_add_u32 v98, v106, 3, v102
	s_barrier_signal -1
	s_barrier_wait -1
	ds_store_b64 v98, v[62:63]
	s_wait_dscnt 0x0
	s_barrier_signal -1
	s_barrier_wait -1
	ds_load_b64 v[100:101], v102 offset:120
	v_mov_b32_e32 v98, 15
	s_cmp_lt_i32 s18, 17
	s_cbranch_scc1 .LBB90_317
; %bb.315:
	v_add3_u32 v99, v103, 0, 0x80
	v_mov_b32_e32 v98, 15
	s_mov_b32 s0, 16
.LBB90_316:                             ; =>This Inner Loop Header: Depth=1
	ds_load_b64 v[108:109], v99
	s_wait_dscnt 0x1
	v_cmp_gt_f32_e32 vcc_lo, 0, v100
	v_cndmask_b32_e64 v110, v100, -v100, vcc_lo
	v_cmp_gt_f32_e32 vcc_lo, 0, v101
	v_cndmask_b32_e64 v112, v101, -v101, vcc_lo
	s_wait_dscnt 0x0
	v_cmp_gt_f32_e32 vcc_lo, 0, v108
	v_cndmask_b32_e64 v111, v108, -v108, vcc_lo
	v_cmp_gt_f32_e32 vcc_lo, 0, v109
	v_cndmask_b32_e64 v113, v109, -v109, vcc_lo
	s_delay_alu instid0(VALU_DEP_1) | instskip(NEXT) | instid1(VALU_DEP_1)
	v_pk_add_f32 v[110:111], v[110:111], v[112:113]
	v_cmp_lt_f32_e32 vcc_lo, v110, v111
	v_dual_add_nc_u32 v99, 8, v99 :: v_dual_cndmask_b32 v101, v101, v109, vcc_lo
	v_cndmask_b32_e32 v100, v100, v108, vcc_lo
	v_cndmask_b32_e64 v98, v98, s0, vcc_lo
	s_add_co_i32 s0, s0, 1
	s_delay_alu instid0(SALU_CYCLE_1)
	s_cmp_lg_u32 s18, s0
	s_cbranch_scc1 .LBB90_316
.LBB90_317:
	s_wait_dscnt 0x0
	v_cmp_eq_f32_e32 vcc_lo, 0, v100
	v_cmp_eq_f32_e64 s0, 0, v101
	s_and_b32 s0, vcc_lo, s0
	s_delay_alu instid0(SALU_CYCLE_1) | instskip(NEXT) | instid1(SALU_CYCLE_1)
	s_and_saveexec_b32 s1, s0
	s_xor_b32 s0, exec_lo, s1
; %bb.318:
	v_cmp_ne_u32_e32 vcc_lo, 0, v104
	v_cndmask_b32_e32 v104, 16, v104, vcc_lo
; %bb.319:
	s_and_not1_saveexec_b32 s0, s0
	s_cbranch_execz .LBB90_325
; %bb.320:
	v_cmp_ngt_f32_e64 s1, |v100|, |v101|
	s_and_saveexec_b32 s12, s1
	s_delay_alu instid0(SALU_CYCLE_1)
	s_xor_b32 s1, exec_lo, s12
	s_cbranch_execz .LBB90_322
; %bb.321:
	v_div_scale_f32 v99, null, v101, v101, v100
	v_div_scale_f32 v109, vcc_lo, v100, v101, v100
	s_delay_alu instid0(VALU_DEP_2) | instskip(SKIP_1) | instid1(TRANS32_DEP_1)
	v_rcp_f32_e32 v107, v99
	v_nop
	v_fma_f32 v108, -v99, v107, 1.0
	s_delay_alu instid0(VALU_DEP_1) | instskip(NEXT) | instid1(VALU_DEP_1)
	v_fmac_f32_e32 v107, v108, v107
	v_mul_f32_e32 v108, v109, v107
	s_delay_alu instid0(VALU_DEP_1) | instskip(NEXT) | instid1(VALU_DEP_1)
	v_fma_f32 v110, -v99, v108, v109
	v_fmac_f32_e32 v108, v110, v107
	s_delay_alu instid0(VALU_DEP_1) | instskip(NEXT) | instid1(VALU_DEP_1)
	v_fma_f32 v99, -v99, v108, v109
	v_div_fmas_f32 v99, v99, v107, v108
	s_delay_alu instid0(VALU_DEP_1) | instskip(NEXT) | instid1(VALU_DEP_1)
	v_div_fixup_f32 v99, v99, v101, v100
	v_fmac_f32_e32 v101, v100, v99
	s_delay_alu instid0(VALU_DEP_1) | instskip(SKIP_1) | instid1(VALU_DEP_2)
	v_div_scale_f32 v100, null, v101, v101, 1.0
	v_div_scale_f32 v109, vcc_lo, 1.0, v101, 1.0
	v_rcp_f32_e32 v107, v100
	v_nop
	s_delay_alu instid0(TRANS32_DEP_1) | instskip(NEXT) | instid1(VALU_DEP_1)
	v_fma_f32 v108, -v100, v107, 1.0
	v_fmac_f32_e32 v107, v108, v107
	s_delay_alu instid0(VALU_DEP_1) | instskip(NEXT) | instid1(VALU_DEP_1)
	v_mul_f32_e32 v108, v109, v107
	v_fma_f32 v110, -v100, v108, v109
	s_delay_alu instid0(VALU_DEP_1) | instskip(NEXT) | instid1(VALU_DEP_1)
	v_fmac_f32_e32 v108, v110, v107
	v_fma_f32 v100, -v100, v108, v109
	s_delay_alu instid0(VALU_DEP_1) | instskip(NEXT) | instid1(VALU_DEP_1)
	v_div_fmas_f32 v100, v100, v107, v108
	v_div_fixup_f32 v101, v100, v101, 1.0
	s_delay_alu instid0(VALU_DEP_1)
	v_mul_f32_e32 v100, v99, v101
	v_xor_b32_e32 v101, 0x80000000, v101
.LBB90_322:
	s_and_not1_saveexec_b32 s1, s1
	s_cbranch_execz .LBB90_324
; %bb.323:
	s_delay_alu instid0(VALU_DEP_1) | instskip(SKIP_1) | instid1(VALU_DEP_2)
	v_div_scale_f32 v99, null, v100, v100, v101
	v_div_scale_f32 v109, vcc_lo, v101, v100, v101
	v_rcp_f32_e32 v107, v99
	v_nop
	s_delay_alu instid0(TRANS32_DEP_1) | instskip(NEXT) | instid1(VALU_DEP_1)
	v_fma_f32 v108, -v99, v107, 1.0
	v_fmac_f32_e32 v107, v108, v107
	s_delay_alu instid0(VALU_DEP_1) | instskip(NEXT) | instid1(VALU_DEP_1)
	v_mul_f32_e32 v108, v109, v107
	v_fma_f32 v110, -v99, v108, v109
	s_delay_alu instid0(VALU_DEP_1) | instskip(NEXT) | instid1(VALU_DEP_1)
	v_fmac_f32_e32 v108, v110, v107
	v_fma_f32 v99, -v99, v108, v109
	s_delay_alu instid0(VALU_DEP_1) | instskip(NEXT) | instid1(VALU_DEP_1)
	v_div_fmas_f32 v99, v99, v107, v108
	v_div_fixup_f32 v99, v99, v100, v101
	s_delay_alu instid0(VALU_DEP_1) | instskip(NEXT) | instid1(VALU_DEP_1)
	v_fmac_f32_e32 v100, v101, v99
	v_div_scale_f32 v101, null, v100, v100, 1.0
	s_delay_alu instid0(VALU_DEP_1) | instskip(SKIP_1) | instid1(TRANS32_DEP_1)
	v_rcp_f32_e32 v107, v101
	v_nop
	v_fma_f32 v108, -v101, v107, 1.0
	s_delay_alu instid0(VALU_DEP_1) | instskip(SKIP_1) | instid1(VALU_DEP_1)
	v_fmac_f32_e32 v107, v108, v107
	v_div_scale_f32 v108, vcc_lo, 1.0, v100, 1.0
	v_mul_f32_e32 v109, v108, v107
	s_delay_alu instid0(VALU_DEP_1) | instskip(NEXT) | instid1(VALU_DEP_1)
	v_fma_f32 v110, -v101, v109, v108
	v_fmac_f32_e32 v109, v110, v107
	s_delay_alu instid0(VALU_DEP_1) | instskip(NEXT) | instid1(VALU_DEP_1)
	v_fma_f32 v101, -v101, v109, v108
	v_div_fmas_f32 v101, v101, v107, v109
	s_delay_alu instid0(VALU_DEP_1) | instskip(NEXT) | instid1(VALU_DEP_1)
	v_div_fixup_f32 v100, v101, v100, 1.0
	v_mul_f32_e64 v101, v99, -v100
.LBB90_324:
	s_or_b32 exec_lo, exec_lo, s1
.LBB90_325:
	s_delay_alu instid0(SALU_CYCLE_1) | instskip(NEXT) | instid1(SALU_CYCLE_1)
	s_or_b32 exec_lo, exec_lo, s0
	s_mov_b32 s0, exec_lo
	v_cmpx_ne_u32_e64 v106, v98
	s_xor_b32 s0, exec_lo, s0
	s_cbranch_execz .LBB90_331
; %bb.326:
	s_mov_b32 s1, exec_lo
	v_cmpx_eq_u32_e32 15, v106
	s_cbranch_execz .LBB90_330
; %bb.327:
	v_cmp_ne_u32_e32 vcc_lo, 15, v98
	s_xor_b32 s12, s16, -1
	s_delay_alu instid0(SALU_CYCLE_1) | instskip(NEXT) | instid1(SALU_CYCLE_1)
	s_and_b32 s13, s12, vcc_lo
	s_and_saveexec_b32 s12, s13
	s_cbranch_execz .LBB90_329
; %bb.328:
	v_ashrrev_i32_e32 v99, 31, v98
	s_delay_alu instid0(VALU_DEP_1)
	v_lshl_add_u64 v[106:107], v[98:99], 2, v[4:5]
	s_clause 0x1
	global_load_b32 v99, v[106:107], off
	global_load_b32 v105, v[4:5], off offset:60
	s_wait_loadcnt 0x1
	global_store_b32 v[4:5], v99, off offset:60
	s_wait_loadcnt 0x0
	global_store_b32 v[106:107], v105, off
.LBB90_329:
	s_wait_xcnt 0x0
	s_or_b32 exec_lo, exec_lo, s12
	v_dual_mov_b32 v106, v98 :: v_dual_mov_b32 v105, v98
.LBB90_330:
	s_or_b32 exec_lo, exec_lo, s1
.LBB90_331:
	s_and_not1_saveexec_b32 s0, s0
	s_cbranch_execz .LBB90_333
; %bb.332:
	v_dual_mov_b32 v98, v84 :: v_dual_mov_b32 v99, v85
	v_dual_mov_b32 v106, v58 :: v_dual_mov_b32 v107, v59
	;; [unrolled: 1-line block ×8, first 2 shown]
	ds_store_2addr_b64 v102, v[98:99], v[106:107] offset0:16 offset1:17
	ds_store_2addr_b64 v102, v[108:109], v[110:111] offset0:18 offset1:19
	;; [unrolled: 1-line block ×4, first 2 shown]
	v_dual_mov_b32 v98, v80 :: v_dual_mov_b32 v99, v81
	v_dual_mov_b32 v106, v44 :: v_dual_mov_b32 v107, v45
	;; [unrolled: 1-line block ×12, first 2 shown]
	ds_store_2addr_b64 v102, v[98:99], v[106:107] offset0:24 offset1:25
	ds_store_2addr_b64 v102, v[108:109], v[110:111] offset0:26 offset1:27
	ds_store_2addr_b64 v102, v[112:113], v[114:115] offset0:28 offset1:29
	ds_store_2addr_b64 v102, v[116:117], v[118:119] offset0:30 offset1:31
	ds_store_2addr_b64 v102, v[120:121], v[122:123] offset0:32 offset1:33
	ds_store_2addr_b64 v102, v[124:125], v[126:127] offset0:34 offset1:35
	v_dual_mov_b32 v98, v70 :: v_dual_mov_b32 v99, v71
	v_dual_mov_b32 v108, v10 :: v_dual_mov_b32 v109, v11
	;; [unrolled: 1-line block ×9, first 2 shown]
	v_mov_b32_e32 v123, v15
	ds_store_2addr_b64 v102, v[98:99], v[108:109] offset0:36 offset1:37
	ds_store_2addr_b64 v102, v[110:111], v[112:113] offset0:38 offset1:39
	;; [unrolled: 1-line block ×5, first 2 shown]
.LBB90_333:
	s_or_b32 exec_lo, exec_lo, s0
	s_delay_alu instid0(SALU_CYCLE_1)
	s_mov_b32 s0, exec_lo
	s_wait_storecnt_dscnt 0x0
	s_barrier_signal -1
	s_barrier_wait -1
	v_cmpx_lt_i32_e32 15, v106
	s_cbranch_execz .LBB90_335
; %bb.334:
	v_pk_mul_f32 v[108:109], v[100:101], v[62:63] op_sel:[1,1] op_sel_hi:[0,1]
	s_delay_alu instid0(VALU_DEP_1)
	v_pk_fma_f32 v[98:99], v[100:101], v[62:63], v[108:109] op_sel_hi:[1,0,1] neg_lo:[0,0,1] neg_hi:[0,0,1]
	v_pk_fma_f32 v[100:101], v[100:101], v[62:63], v[108:109] op_sel_hi:[1,0,1]
	ds_load_2addr_b64 v[108:111], v102 offset0:16 offset1:17
	v_dual_mov_b32 v62, v98 :: v_dual_mov_b32 v63, v101
	s_wait_dscnt 0x0
	v_pk_mul_f32 v[112:113], v[108:109], v[100:101] op_sel:[0,1]
	s_delay_alu instid0(VALU_DEP_1) | instskip(SKIP_1) | instid1(VALU_DEP_1)
	v_pk_fma_f32 v[114:115], v[108:109], v[98:99], v[112:113] op_sel:[0,0,1] op_sel_hi:[1,1,0] neg_lo:[0,0,1] neg_hi:[0,0,1]
	v_pk_fma_f32 v[108:109], v[108:109], v[98:99], v[112:113] op_sel:[0,0,1] op_sel_hi:[1,0,0]
	v_mov_b32_e32 v115, v109
	v_pk_mul_f32 v[108:109], v[110:111], v[100:101] op_sel:[0,1]
	s_delay_alu instid0(VALU_DEP_1) | instskip(SKIP_1) | instid1(VALU_DEP_1)
	v_pk_fma_f32 v[112:113], v[110:111], v[98:99], v[108:109] op_sel:[0,0,1] op_sel_hi:[1,1,0] neg_lo:[0,0,1] neg_hi:[0,0,1]
	v_pk_fma_f32 v[108:109], v[110:111], v[98:99], v[108:109] op_sel:[0,0,1] op_sel_hi:[1,0,0]
	v_mov_b32_e32 v113, v109
	ds_load_2addr_b64 v[108:111], v102 offset0:18 offset1:19
	v_pk_add_f32 v[84:85], v[84:85], v[114:115] neg_lo:[0,1] neg_hi:[0,1]
	v_pk_add_f32 v[58:59], v[58:59], v[112:113] neg_lo:[0,1] neg_hi:[0,1]
	s_wait_dscnt 0x0
	v_pk_mul_f32 v[112:113], v[108:109], v[100:101] op_sel:[0,1]
	s_delay_alu instid0(VALU_DEP_1) | instskip(SKIP_2) | instid1(VALU_DEP_2)
	v_pk_fma_f32 v[114:115], v[108:109], v[98:99], v[112:113] op_sel:[0,0,1] op_sel_hi:[1,1,0] neg_lo:[0,0,1] neg_hi:[0,0,1]
	v_pk_fma_f32 v[108:109], v[108:109], v[98:99], v[112:113] op_sel:[0,0,1] op_sel_hi:[1,0,0]
	v_dual_mul_f32 v112, v111, v101 :: v_dual_mov_b32 v108, v111
	v_dual_mov_b32 v115, v109 :: v_dual_mov_b32 v109, v110
	s_delay_alu instid0(VALU_DEP_2) | instskip(SKIP_1) | instid1(VALU_DEP_3)
	v_pk_fma_f32 v[112:113], v[110:111], v[62:63], v[112:113] op_sel_hi:[1,1,0] neg_lo:[0,0,1] neg_hi:[0,0,1]
	v_mul_f32_e32 v110, v111, v98
	v_pk_add_f32 v[60:61], v[60:61], v[114:115] neg_lo:[0,1] neg_hi:[0,1]
	s_delay_alu instid0(VALU_DEP_2) | instskip(NEXT) | instid1(VALU_DEP_1)
	v_pk_fma_f32 v[108:109], v[108:109], v[62:63], v[110:111] op_sel_hi:[1,1,0]
	v_mov_b32_e32 v113, v109
	ds_load_2addr_b64 v[108:111], v102 offset0:20 offset1:21
	v_pk_add_f32 v[56:57], v[56:57], v[112:113] neg_lo:[0,1] neg_hi:[0,1]
	s_wait_dscnt 0x0
	v_pk_mul_f32 v[112:113], v[108:109], v[100:101] op_sel:[0,1]
	s_delay_alu instid0(VALU_DEP_1) | instskip(SKIP_1) | instid1(VALU_DEP_1)
	v_pk_fma_f32 v[114:115], v[108:109], v[98:99], v[112:113] op_sel:[0,0,1] op_sel_hi:[1,1,0] neg_lo:[0,0,1] neg_hi:[0,0,1]
	v_pk_fma_f32 v[108:109], v[108:109], v[98:99], v[112:113] op_sel:[0,0,1] op_sel_hi:[1,0,0]
	v_mov_b32_e32 v115, v109
	v_pk_mul_f32 v[108:109], v[110:111], v[100:101] op_sel:[0,1]
	s_delay_alu instid0(VALU_DEP_1) | instskip(SKIP_1) | instid1(VALU_DEP_1)
	v_pk_fma_f32 v[112:113], v[110:111], v[98:99], v[108:109] op_sel:[0,0,1] op_sel_hi:[1,1,0] neg_lo:[0,0,1] neg_hi:[0,0,1]
	v_pk_fma_f32 v[108:109], v[110:111], v[98:99], v[108:109] op_sel:[0,0,1] op_sel_hi:[1,0,0]
	v_mov_b32_e32 v113, v109
	ds_load_2addr_b64 v[108:111], v102 offset0:22 offset1:23
	v_pk_add_f32 v[82:83], v[82:83], v[114:115] neg_lo:[0,1] neg_hi:[0,1]
	v_pk_add_f32 v[50:51], v[50:51], v[112:113] neg_lo:[0,1] neg_hi:[0,1]
	s_wait_dscnt 0x0
	v_pk_mul_f32 v[112:113], v[108:109], v[100:101] op_sel:[0,1]
	s_delay_alu instid0(VALU_DEP_1) | instskip(SKIP_1) | instid1(VALU_DEP_1)
	v_pk_fma_f32 v[114:115], v[108:109], v[98:99], v[112:113] op_sel:[0,0,1] op_sel_hi:[1,1,0] neg_lo:[0,0,1] neg_hi:[0,0,1]
	v_pk_fma_f32 v[108:109], v[108:109], v[98:99], v[112:113] op_sel:[0,0,1] op_sel_hi:[1,0,0]
	v_mov_b32_e32 v115, v109
	v_pk_mul_f32 v[108:109], v[110:111], v[100:101] op_sel:[0,1]
	s_delay_alu instid0(VALU_DEP_1) | instskip(SKIP_1) | instid1(VALU_DEP_1)
	v_pk_fma_f32 v[112:113], v[110:111], v[98:99], v[108:109] op_sel:[0,0,1] op_sel_hi:[1,1,0] neg_lo:[0,0,1] neg_hi:[0,0,1]
	v_pk_fma_f32 v[108:109], v[110:111], v[98:99], v[108:109] op_sel:[0,0,1] op_sel_hi:[1,0,0]
	v_mov_b32_e32 v113, v109
	ds_load_2addr_b64 v[108:111], v102 offset0:24 offset1:25
	v_pk_add_f32 v[52:53], v[52:53], v[114:115] neg_lo:[0,1] neg_hi:[0,1]
	v_pk_add_f32 v[48:49], v[48:49], v[112:113] neg_lo:[0,1] neg_hi:[0,1]
	s_wait_dscnt 0x0
	v_dual_mul_f32 v112, v109, v101 :: v_dual_mul_f32 v114, v109, v98
	s_delay_alu instid0(VALU_DEP_1) | instskip(NEXT) | instid1(VALU_DEP_2)
	v_pk_fma_f32 v[112:113], v[108:109], v[62:63], v[112:113] op_sel_hi:[1,1,0] neg_lo:[0,0,1] neg_hi:[0,0,1]
	v_pk_fma_f32 v[108:109], v[108:109], v[62:63], v[114:115] op_sel:[1,0,0] op_sel_hi:[0,1,0]
	s_delay_alu instid0(VALU_DEP_1) | instskip(SKIP_1) | instid1(VALU_DEP_2)
	v_mov_b32_e32 v113, v109
	v_pk_mul_f32 v[108:109], v[110:111], v[100:101] op_sel:[0,1]
	v_pk_add_f32 v[80:81], v[80:81], v[112:113] neg_lo:[0,1] neg_hi:[0,1]
	s_delay_alu instid0(VALU_DEP_2) | instskip(SKIP_1) | instid1(VALU_DEP_1)
	v_pk_fma_f32 v[112:113], v[110:111], v[98:99], v[108:109] op_sel:[0,0,1] op_sel_hi:[1,1,0] neg_lo:[0,0,1] neg_hi:[0,0,1]
	v_pk_fma_f32 v[108:109], v[110:111], v[98:99], v[108:109] op_sel:[0,0,1] op_sel_hi:[1,0,0]
	v_mov_b32_e32 v113, v109
	ds_load_2addr_b64 v[108:111], v102 offset0:26 offset1:27
	v_pk_add_f32 v[44:45], v[44:45], v[112:113] neg_lo:[0,1] neg_hi:[0,1]
	s_wait_dscnt 0x0
	v_pk_mul_f32 v[112:113], v[108:109], v[100:101] op_sel:[0,1]
	s_delay_alu instid0(VALU_DEP_1) | instskip(SKIP_1) | instid1(VALU_DEP_1)
	v_pk_fma_f32 v[114:115], v[108:109], v[98:99], v[112:113] op_sel:[0,0,1] op_sel_hi:[1,1,0] neg_lo:[0,0,1] neg_hi:[0,0,1]
	v_pk_fma_f32 v[108:109], v[108:109], v[98:99], v[112:113] op_sel:[0,0,1] op_sel_hi:[1,0,0]
	v_mov_b32_e32 v115, v109
	v_pk_mul_f32 v[108:109], v[110:111], v[100:101] op_sel:[0,1]
	s_delay_alu instid0(VALU_DEP_2) | instskip(NEXT) | instid1(VALU_DEP_2)
	v_pk_add_f32 v[46:47], v[46:47], v[114:115] neg_lo:[0,1] neg_hi:[0,1]
	v_pk_fma_f32 v[112:113], v[110:111], v[98:99], v[108:109] op_sel:[0,0,1] op_sel_hi:[1,1,0] neg_lo:[0,0,1] neg_hi:[0,0,1]
	v_pk_fma_f32 v[108:109], v[110:111], v[98:99], v[108:109] op_sel:[0,0,1] op_sel_hi:[1,0,0]
	s_delay_alu instid0(VALU_DEP_1) | instskip(SKIP_4) | instid1(VALU_DEP_1)
	v_mov_b32_e32 v113, v109
	ds_load_2addr_b64 v[108:111], v102 offset0:28 offset1:29
	v_pk_add_f32 v[42:43], v[42:43], v[112:113] neg_lo:[0,1] neg_hi:[0,1]
	s_wait_dscnt 0x0
	v_pk_mul_f32 v[112:113], v[108:109], v[100:101] op_sel:[0,1]
	v_pk_fma_f32 v[114:115], v[108:109], v[98:99], v[112:113] op_sel:[0,0,1] op_sel_hi:[1,1,0] neg_lo:[0,0,1] neg_hi:[0,0,1]
	v_pk_fma_f32 v[108:109], v[108:109], v[98:99], v[112:113] op_sel:[0,0,1] op_sel_hi:[1,0,0]
	v_dual_mul_f32 v112, v111, v101 :: v_dual_mov_b32 v108, v111
	s_delay_alu instid0(VALU_DEP_2) | instskip(NEXT) | instid1(VALU_DEP_2)
	v_dual_mov_b32 v115, v109 :: v_dual_mov_b32 v109, v110
	v_pk_fma_f32 v[112:113], v[110:111], v[62:63], v[112:113] op_sel_hi:[1,1,0] neg_lo:[0,0,1] neg_hi:[0,0,1]
	v_mul_f32_e32 v110, v111, v98
	s_delay_alu instid0(VALU_DEP_3) | instskip(NEXT) | instid1(VALU_DEP_2)
	v_pk_add_f32 v[76:77], v[76:77], v[114:115] neg_lo:[0,1] neg_hi:[0,1]
	v_pk_fma_f32 v[108:109], v[108:109], v[62:63], v[110:111] op_sel_hi:[1,1,0]
	s_delay_alu instid0(VALU_DEP_1) | instskip(SKIP_4) | instid1(VALU_DEP_1)
	v_mov_b32_e32 v113, v109
	ds_load_2addr_b64 v[108:111], v102 offset0:30 offset1:31
	v_pk_add_f32 v[30:31], v[30:31], v[112:113] neg_lo:[0,1] neg_hi:[0,1]
	s_wait_dscnt 0x0
	v_pk_mul_f32 v[112:113], v[108:109], v[100:101] op_sel:[0,1]
	v_pk_fma_f32 v[114:115], v[108:109], v[98:99], v[112:113] op_sel:[0,0,1] op_sel_hi:[1,1,0] neg_lo:[0,0,1] neg_hi:[0,0,1]
	v_pk_fma_f32 v[108:109], v[108:109], v[98:99], v[112:113] op_sel:[0,0,1] op_sel_hi:[1,0,0]
	s_delay_alu instid0(VALU_DEP_1) | instskip(SKIP_1) | instid1(VALU_DEP_1)
	v_mov_b32_e32 v115, v109
	v_pk_mul_f32 v[108:109], v[110:111], v[100:101] op_sel:[0,1]
	v_pk_fma_f32 v[112:113], v[110:111], v[98:99], v[108:109] op_sel:[0,0,1] op_sel_hi:[1,1,0] neg_lo:[0,0,1] neg_hi:[0,0,1]
	v_pk_fma_f32 v[108:109], v[110:111], v[98:99], v[108:109] op_sel:[0,0,1] op_sel_hi:[1,0,0]
	s_delay_alu instid0(VALU_DEP_1)
	v_mov_b32_e32 v113, v109
	ds_load_2addr_b64 v[108:111], v102 offset0:32 offset1:33
	v_pk_add_f32 v[36:37], v[36:37], v[114:115] neg_lo:[0,1] neg_hi:[0,1]
	v_pk_add_f32 v[28:29], v[28:29], v[112:113] neg_lo:[0,1] neg_hi:[0,1]
	s_wait_dscnt 0x0
	v_pk_mul_f32 v[112:113], v[108:109], v[100:101] op_sel:[0,1]
	s_delay_alu instid0(VALU_DEP_1) | instskip(SKIP_1) | instid1(VALU_DEP_1)
	v_pk_fma_f32 v[114:115], v[108:109], v[98:99], v[112:113] op_sel:[0,0,1] op_sel_hi:[1,1,0] neg_lo:[0,0,1] neg_hi:[0,0,1]
	v_pk_fma_f32 v[108:109], v[108:109], v[98:99], v[112:113] op_sel:[0,0,1] op_sel_hi:[1,0,0]
	v_mov_b32_e32 v115, v109
	v_pk_mul_f32 v[108:109], v[110:111], v[100:101] op_sel:[0,1]
	s_delay_alu instid0(VALU_DEP_1) | instskip(SKIP_1) | instid1(VALU_DEP_1)
	v_pk_fma_f32 v[112:113], v[110:111], v[98:99], v[108:109] op_sel:[0,0,1] op_sel_hi:[1,1,0] neg_lo:[0,0,1] neg_hi:[0,0,1]
	v_pk_fma_f32 v[108:109], v[110:111], v[98:99], v[108:109] op_sel:[0,0,1] op_sel_hi:[1,0,0]
	v_mov_b32_e32 v113, v109
	ds_load_2addr_b64 v[108:111], v102 offset0:34 offset1:35
	v_pk_add_f32 v[72:73], v[72:73], v[114:115] neg_lo:[0,1] neg_hi:[0,1]
	v_pk_add_f32 v[18:19], v[18:19], v[112:113] neg_lo:[0,1] neg_hi:[0,1]
	s_wait_dscnt 0x0
	v_dual_mul_f32 v112, v109, v101 :: v_dual_mul_f32 v114, v109, v98
	s_delay_alu instid0(VALU_DEP_1) | instskip(NEXT) | instid1(VALU_DEP_2)
	v_pk_fma_f32 v[112:113], v[108:109], v[62:63], v[112:113] op_sel_hi:[1,1,0] neg_lo:[0,0,1] neg_hi:[0,0,1]
	v_pk_fma_f32 v[108:109], v[108:109], v[62:63], v[114:115] op_sel:[1,0,0] op_sel_hi:[0,1,0]
	s_delay_alu instid0(VALU_DEP_1) | instskip(SKIP_1) | instid1(VALU_DEP_2)
	v_mov_b32_e32 v113, v109
	v_pk_mul_f32 v[108:109], v[110:111], v[100:101] op_sel:[0,1]
	v_pk_add_f32 v[24:25], v[24:25], v[112:113] neg_lo:[0,1] neg_hi:[0,1]
	s_delay_alu instid0(VALU_DEP_2) | instskip(SKIP_1) | instid1(VALU_DEP_1)
	v_pk_fma_f32 v[112:113], v[110:111], v[98:99], v[108:109] op_sel:[0,0,1] op_sel_hi:[1,1,0] neg_lo:[0,0,1] neg_hi:[0,0,1]
	v_pk_fma_f32 v[108:109], v[110:111], v[98:99], v[108:109] op_sel:[0,0,1] op_sel_hi:[1,0,0]
	v_mov_b32_e32 v113, v109
	ds_load_2addr_b64 v[108:111], v102 offset0:36 offset1:37
	v_pk_add_f32 v[16:17], v[16:17], v[112:113] neg_lo:[0,1] neg_hi:[0,1]
	s_wait_dscnt 0x0
	v_pk_mul_f32 v[112:113], v[108:109], v[100:101] op_sel:[0,1]
	s_delay_alu instid0(VALU_DEP_1) | instskip(SKIP_1) | instid1(VALU_DEP_1)
	v_pk_fma_f32 v[114:115], v[108:109], v[98:99], v[112:113] op_sel:[0,0,1] op_sel_hi:[1,1,0] neg_lo:[0,0,1] neg_hi:[0,0,1]
	v_pk_fma_f32 v[108:109], v[108:109], v[98:99], v[112:113] op_sel:[0,0,1] op_sel_hi:[1,0,0]
	v_mov_b32_e32 v115, v109
	v_pk_mul_f32 v[108:109], v[110:111], v[100:101] op_sel:[0,1]
	s_delay_alu instid0(VALU_DEP_2) | instskip(NEXT) | instid1(VALU_DEP_2)
	v_pk_add_f32 v[70:71], v[70:71], v[114:115] neg_lo:[0,1] neg_hi:[0,1]
	v_pk_fma_f32 v[112:113], v[110:111], v[98:99], v[108:109] op_sel:[0,0,1] op_sel_hi:[1,1,0] neg_lo:[0,0,1] neg_hi:[0,0,1]
	v_pk_fma_f32 v[108:109], v[110:111], v[98:99], v[108:109] op_sel:[0,0,1] op_sel_hi:[1,0,0]
	s_delay_alu instid0(VALU_DEP_1) | instskip(SKIP_4) | instid1(VALU_DEP_1)
	v_mov_b32_e32 v113, v109
	ds_load_2addr_b64 v[108:111], v102 offset0:38 offset1:39
	v_pk_add_f32 v[10:11], v[10:11], v[112:113] neg_lo:[0,1] neg_hi:[0,1]
	s_wait_dscnt 0x0
	v_pk_mul_f32 v[112:113], v[108:109], v[100:101] op_sel:[0,1]
	v_pk_fma_f32 v[114:115], v[108:109], v[98:99], v[112:113] op_sel:[0,0,1] op_sel_hi:[1,1,0] neg_lo:[0,0,1] neg_hi:[0,0,1]
	v_pk_fma_f32 v[108:109], v[108:109], v[98:99], v[112:113] op_sel:[0,0,1] op_sel_hi:[1,0,0]
	v_dual_mul_f32 v112, v111, v101 :: v_dual_mov_b32 v108, v111
	s_delay_alu instid0(VALU_DEP_2) | instskip(NEXT) | instid1(VALU_DEP_2)
	v_dual_mov_b32 v115, v109 :: v_dual_mov_b32 v109, v110
	v_pk_fma_f32 v[112:113], v[110:111], v[62:63], v[112:113] op_sel_hi:[1,1,0] neg_lo:[0,0,1] neg_hi:[0,0,1]
	v_mul_f32_e32 v110, v111, v98
	s_delay_alu instid0(VALU_DEP_3) | instskip(NEXT) | instid1(VALU_DEP_2)
	v_pk_add_f32 v[12:13], v[12:13], v[114:115] neg_lo:[0,1] neg_hi:[0,1]
	v_pk_fma_f32 v[108:109], v[108:109], v[62:63], v[110:111] op_sel_hi:[1,1,0]
	s_delay_alu instid0(VALU_DEP_1) | instskip(SKIP_4) | instid1(VALU_DEP_1)
	v_mov_b32_e32 v113, v109
	ds_load_2addr_b64 v[108:111], v102 offset0:40 offset1:41
	v_pk_add_f32 v[8:9], v[8:9], v[112:113] neg_lo:[0,1] neg_hi:[0,1]
	s_wait_dscnt 0x0
	v_pk_mul_f32 v[112:113], v[108:109], v[100:101] op_sel:[0,1]
	v_pk_fma_f32 v[114:115], v[108:109], v[98:99], v[112:113] op_sel:[0,0,1] op_sel_hi:[1,1,0] neg_lo:[0,0,1] neg_hi:[0,0,1]
	v_pk_fma_f32 v[108:109], v[108:109], v[98:99], v[112:113] op_sel:[0,0,1] op_sel_hi:[1,0,0]
	s_delay_alu instid0(VALU_DEP_1) | instskip(SKIP_1) | instid1(VALU_DEP_1)
	v_mov_b32_e32 v115, v109
	v_pk_mul_f32 v[108:109], v[110:111], v[100:101] op_sel:[0,1]
	v_pk_fma_f32 v[112:113], v[110:111], v[98:99], v[108:109] op_sel:[0,0,1] op_sel_hi:[1,1,0] neg_lo:[0,0,1] neg_hi:[0,0,1]
	v_pk_fma_f32 v[108:109], v[110:111], v[98:99], v[108:109] op_sel:[0,0,1] op_sel_hi:[1,0,0]
	s_delay_alu instid0(VALU_DEP_1)
	v_mov_b32_e32 v113, v109
	ds_load_2addr_b64 v[108:111], v102 offset0:42 offset1:43
	v_pk_add_f32 v[68:69], v[68:69], v[114:115] neg_lo:[0,1] neg_hi:[0,1]
	v_pk_add_f32 v[6:7], v[6:7], v[112:113] neg_lo:[0,1] neg_hi:[0,1]
	s_wait_dscnt 0x0
	v_pk_mul_f32 v[112:113], v[108:109], v[100:101] op_sel:[0,1]
	s_delay_alu instid0(VALU_DEP_1) | instskip(SKIP_1) | instid1(VALU_DEP_1)
	v_pk_fma_f32 v[114:115], v[108:109], v[98:99], v[112:113] op_sel:[0,0,1] op_sel_hi:[1,1,0] neg_lo:[0,0,1] neg_hi:[0,0,1]
	v_pk_fma_f32 v[108:109], v[108:109], v[98:99], v[112:113] op_sel:[0,0,1] op_sel_hi:[1,0,0]
	v_mov_b32_e32 v115, v109
	v_pk_mul_f32 v[108:109], v[110:111], v[100:101] op_sel:[0,1]
	s_delay_alu instid0(VALU_DEP_1) | instskip(SKIP_1) | instid1(VALU_DEP_1)
	v_pk_fma_f32 v[112:113], v[110:111], v[98:99], v[108:109] op_sel:[0,0,1] op_sel_hi:[1,1,0] neg_lo:[0,0,1] neg_hi:[0,0,1]
	v_pk_fma_f32 v[108:109], v[110:111], v[98:99], v[108:109] op_sel:[0,0,1] op_sel_hi:[1,0,0]
	v_mov_b32_e32 v113, v109
	ds_load_2addr_b64 v[108:111], v102 offset0:44 offset1:45
	v_pk_add_f32 v[54:55], v[54:55], v[114:115] neg_lo:[0,1] neg_hi:[0,1]
	v_pk_add_f32 v[40:41], v[40:41], v[112:113] neg_lo:[0,1] neg_hi:[0,1]
	s_wait_dscnt 0x0
	v_mul_f32_e32 v100, v109, v101
	s_delay_alu instid0(VALU_DEP_1) | instskip(SKIP_1) | instid1(VALU_DEP_1)
	v_pk_fma_f32 v[112:113], v[108:109], v[62:63], v[100:101] op_sel_hi:[1,1,0] neg_lo:[0,0,1] neg_hi:[0,0,1]
	v_dual_mul_f32 v100, v109, v98 :: v_dual_mul_f32 v98, v111, v98
	v_pk_fma_f32 v[108:109], v[108:109], v[62:63], v[100:101] op_sel:[1,0,0] op_sel_hi:[0,1,0]
	v_dual_mov_b32 v108, v111 :: v_dual_mul_f32 v100, v111, v101
	s_delay_alu instid0(VALU_DEP_2) | instskip(NEXT) | instid1(VALU_DEP_2)
	v_dual_mov_b32 v113, v109 :: v_dual_mov_b32 v109, v110
	v_pk_fma_f32 v[100:101], v[110:111], v[62:63], v[100:101] op_sel_hi:[1,1,0] neg_lo:[0,0,1] neg_hi:[0,0,1]
	s_delay_alu instid0(VALU_DEP_2) | instskip(NEXT) | instid1(VALU_DEP_3)
	v_pk_add_f32 v[14:15], v[14:15], v[112:113] neg_lo:[0,1] neg_hi:[0,1]
	v_pk_fma_f32 v[98:99], v[108:109], v[62:63], v[98:99] op_sel_hi:[1,1,0]
	s_delay_alu instid0(VALU_DEP_1) | instskip(NEXT) | instid1(VALU_DEP_1)
	v_mov_b32_e32 v101, v99
	v_pk_add_f32 v[96:97], v[96:97], v[100:101] neg_lo:[0,1] neg_hi:[0,1]
.LBB90_335:
	s_or_b32 exec_lo, exec_lo, s0
	v_lshl_add_u32 v98, v106, 3, v102
	s_barrier_signal -1
	s_barrier_wait -1
	ds_store_b64 v98, v[84:85]
	s_wait_dscnt 0x0
	s_barrier_signal -1
	s_barrier_wait -1
	ds_load_b64 v[100:101], v102 offset:128
	v_mov_b32_e32 v98, 16
	s_cmp_lt_i32 s18, 18
	s_cbranch_scc1 .LBB90_338
; %bb.336:
	v_add3_u32 v99, v103, 0, 0x88
	v_mov_b32_e32 v98, 16
	s_mov_b32 s0, 17
.LBB90_337:                             ; =>This Inner Loop Header: Depth=1
	ds_load_b64 v[108:109], v99
	s_wait_dscnt 0x1
	v_cmp_gt_f32_e32 vcc_lo, 0, v100
	v_cndmask_b32_e64 v110, v100, -v100, vcc_lo
	v_cmp_gt_f32_e32 vcc_lo, 0, v101
	v_cndmask_b32_e64 v112, v101, -v101, vcc_lo
	s_wait_dscnt 0x0
	v_cmp_gt_f32_e32 vcc_lo, 0, v108
	v_cndmask_b32_e64 v111, v108, -v108, vcc_lo
	v_cmp_gt_f32_e32 vcc_lo, 0, v109
	v_cndmask_b32_e64 v113, v109, -v109, vcc_lo
	s_delay_alu instid0(VALU_DEP_1) | instskip(NEXT) | instid1(VALU_DEP_1)
	v_pk_add_f32 v[110:111], v[110:111], v[112:113]
	v_cmp_lt_f32_e32 vcc_lo, v110, v111
	v_dual_add_nc_u32 v99, 8, v99 :: v_dual_cndmask_b32 v101, v101, v109, vcc_lo
	v_cndmask_b32_e32 v100, v100, v108, vcc_lo
	v_cndmask_b32_e64 v98, v98, s0, vcc_lo
	s_add_co_i32 s0, s0, 1
	s_delay_alu instid0(SALU_CYCLE_1)
	s_cmp_lg_u32 s18, s0
	s_cbranch_scc1 .LBB90_337
.LBB90_338:
	s_wait_dscnt 0x0
	v_cmp_eq_f32_e32 vcc_lo, 0, v100
	v_cmp_eq_f32_e64 s0, 0, v101
	s_and_b32 s0, vcc_lo, s0
	s_delay_alu instid0(SALU_CYCLE_1) | instskip(NEXT) | instid1(SALU_CYCLE_1)
	s_and_saveexec_b32 s1, s0
	s_xor_b32 s0, exec_lo, s1
; %bb.339:
	v_cmp_ne_u32_e32 vcc_lo, 0, v104
	v_cndmask_b32_e32 v104, 17, v104, vcc_lo
; %bb.340:
	s_and_not1_saveexec_b32 s0, s0
	s_cbranch_execz .LBB90_346
; %bb.341:
	v_cmp_ngt_f32_e64 s1, |v100|, |v101|
	s_and_saveexec_b32 s12, s1
	s_delay_alu instid0(SALU_CYCLE_1)
	s_xor_b32 s1, exec_lo, s12
	s_cbranch_execz .LBB90_343
; %bb.342:
	v_div_scale_f32 v99, null, v101, v101, v100
	v_div_scale_f32 v109, vcc_lo, v100, v101, v100
	s_delay_alu instid0(VALU_DEP_2) | instskip(SKIP_1) | instid1(TRANS32_DEP_1)
	v_rcp_f32_e32 v107, v99
	v_nop
	v_fma_f32 v108, -v99, v107, 1.0
	s_delay_alu instid0(VALU_DEP_1) | instskip(NEXT) | instid1(VALU_DEP_1)
	v_fmac_f32_e32 v107, v108, v107
	v_mul_f32_e32 v108, v109, v107
	s_delay_alu instid0(VALU_DEP_1) | instskip(NEXT) | instid1(VALU_DEP_1)
	v_fma_f32 v110, -v99, v108, v109
	v_fmac_f32_e32 v108, v110, v107
	s_delay_alu instid0(VALU_DEP_1) | instskip(NEXT) | instid1(VALU_DEP_1)
	v_fma_f32 v99, -v99, v108, v109
	v_div_fmas_f32 v99, v99, v107, v108
	s_delay_alu instid0(VALU_DEP_1) | instskip(NEXT) | instid1(VALU_DEP_1)
	v_div_fixup_f32 v99, v99, v101, v100
	v_fmac_f32_e32 v101, v100, v99
	s_delay_alu instid0(VALU_DEP_1) | instskip(SKIP_1) | instid1(VALU_DEP_2)
	v_div_scale_f32 v100, null, v101, v101, 1.0
	v_div_scale_f32 v109, vcc_lo, 1.0, v101, 1.0
	v_rcp_f32_e32 v107, v100
	v_nop
	s_delay_alu instid0(TRANS32_DEP_1) | instskip(NEXT) | instid1(VALU_DEP_1)
	v_fma_f32 v108, -v100, v107, 1.0
	v_fmac_f32_e32 v107, v108, v107
	s_delay_alu instid0(VALU_DEP_1) | instskip(NEXT) | instid1(VALU_DEP_1)
	v_mul_f32_e32 v108, v109, v107
	v_fma_f32 v110, -v100, v108, v109
	s_delay_alu instid0(VALU_DEP_1) | instskip(NEXT) | instid1(VALU_DEP_1)
	v_fmac_f32_e32 v108, v110, v107
	v_fma_f32 v100, -v100, v108, v109
	s_delay_alu instid0(VALU_DEP_1) | instskip(NEXT) | instid1(VALU_DEP_1)
	v_div_fmas_f32 v100, v100, v107, v108
	v_div_fixup_f32 v101, v100, v101, 1.0
	s_delay_alu instid0(VALU_DEP_1)
	v_mul_f32_e32 v100, v99, v101
	v_xor_b32_e32 v101, 0x80000000, v101
.LBB90_343:
	s_and_not1_saveexec_b32 s1, s1
	s_cbranch_execz .LBB90_345
; %bb.344:
	s_delay_alu instid0(VALU_DEP_1) | instskip(SKIP_1) | instid1(VALU_DEP_2)
	v_div_scale_f32 v99, null, v100, v100, v101
	v_div_scale_f32 v109, vcc_lo, v101, v100, v101
	v_rcp_f32_e32 v107, v99
	v_nop
	s_delay_alu instid0(TRANS32_DEP_1) | instskip(NEXT) | instid1(VALU_DEP_1)
	v_fma_f32 v108, -v99, v107, 1.0
	v_fmac_f32_e32 v107, v108, v107
	s_delay_alu instid0(VALU_DEP_1) | instskip(NEXT) | instid1(VALU_DEP_1)
	v_mul_f32_e32 v108, v109, v107
	v_fma_f32 v110, -v99, v108, v109
	s_delay_alu instid0(VALU_DEP_1) | instskip(NEXT) | instid1(VALU_DEP_1)
	v_fmac_f32_e32 v108, v110, v107
	v_fma_f32 v99, -v99, v108, v109
	s_delay_alu instid0(VALU_DEP_1) | instskip(NEXT) | instid1(VALU_DEP_1)
	v_div_fmas_f32 v99, v99, v107, v108
	v_div_fixup_f32 v99, v99, v100, v101
	s_delay_alu instid0(VALU_DEP_1) | instskip(NEXT) | instid1(VALU_DEP_1)
	v_fmac_f32_e32 v100, v101, v99
	v_div_scale_f32 v101, null, v100, v100, 1.0
	s_delay_alu instid0(VALU_DEP_1) | instskip(SKIP_1) | instid1(TRANS32_DEP_1)
	v_rcp_f32_e32 v107, v101
	v_nop
	v_fma_f32 v108, -v101, v107, 1.0
	s_delay_alu instid0(VALU_DEP_1) | instskip(SKIP_1) | instid1(VALU_DEP_1)
	v_fmac_f32_e32 v107, v108, v107
	v_div_scale_f32 v108, vcc_lo, 1.0, v100, 1.0
	v_mul_f32_e32 v109, v108, v107
	s_delay_alu instid0(VALU_DEP_1) | instskip(NEXT) | instid1(VALU_DEP_1)
	v_fma_f32 v110, -v101, v109, v108
	v_fmac_f32_e32 v109, v110, v107
	s_delay_alu instid0(VALU_DEP_1) | instskip(NEXT) | instid1(VALU_DEP_1)
	v_fma_f32 v101, -v101, v109, v108
	v_div_fmas_f32 v101, v101, v107, v109
	s_delay_alu instid0(VALU_DEP_1) | instskip(NEXT) | instid1(VALU_DEP_1)
	v_div_fixup_f32 v100, v101, v100, 1.0
	v_mul_f32_e64 v101, v99, -v100
.LBB90_345:
	s_or_b32 exec_lo, exec_lo, s1
.LBB90_346:
	s_delay_alu instid0(SALU_CYCLE_1) | instskip(NEXT) | instid1(SALU_CYCLE_1)
	s_or_b32 exec_lo, exec_lo, s0
	s_mov_b32 s0, exec_lo
	v_cmpx_ne_u32_e64 v106, v98
	s_xor_b32 s0, exec_lo, s0
	s_cbranch_execz .LBB90_352
; %bb.347:
	s_mov_b32 s1, exec_lo
	v_cmpx_eq_u32_e32 16, v106
	s_cbranch_execz .LBB90_351
; %bb.348:
	v_cmp_ne_u32_e32 vcc_lo, 16, v98
	s_xor_b32 s12, s16, -1
	s_delay_alu instid0(SALU_CYCLE_1) | instskip(NEXT) | instid1(SALU_CYCLE_1)
	s_and_b32 s13, s12, vcc_lo
	s_and_saveexec_b32 s12, s13
	s_cbranch_execz .LBB90_350
; %bb.349:
	v_ashrrev_i32_e32 v99, 31, v98
	s_delay_alu instid0(VALU_DEP_1)
	v_lshl_add_u64 v[106:107], v[98:99], 2, v[4:5]
	s_clause 0x1
	global_load_b32 v99, v[106:107], off
	global_load_b32 v105, v[4:5], off offset:64
	s_wait_loadcnt 0x1
	global_store_b32 v[4:5], v99, off offset:64
	s_wait_loadcnt 0x0
	global_store_b32 v[106:107], v105, off
.LBB90_350:
	s_wait_xcnt 0x0
	s_or_b32 exec_lo, exec_lo, s12
	v_dual_mov_b32 v106, v98 :: v_dual_mov_b32 v105, v98
.LBB90_351:
	s_or_b32 exec_lo, exec_lo, s1
.LBB90_352:
	s_and_not1_saveexec_b32 s0, s0
	s_cbranch_execz .LBB90_354
; %bb.353:
	v_mov_b32_e32 v106, 16
	ds_store_2addr_b64 v102, v[58:59], v[60:61] offset0:17 offset1:18
	ds_store_2addr_b64 v102, v[56:57], v[82:83] offset0:19 offset1:20
	;; [unrolled: 1-line block ×14, first 2 shown]
	ds_store_b64 v102, v[96:97] offset:360
.LBB90_354:
	s_or_b32 exec_lo, exec_lo, s0
	s_delay_alu instid0(SALU_CYCLE_1)
	s_mov_b32 s0, exec_lo
	s_wait_storecnt_dscnt 0x0
	s_barrier_signal -1
	s_barrier_wait -1
	v_cmpx_lt_i32_e32 16, v106
	s_cbranch_execz .LBB90_356
; %bb.355:
	v_pk_mul_f32 v[108:109], v[100:101], v[84:85] op_sel:[1,1] op_sel_hi:[0,1]
	s_delay_alu instid0(VALU_DEP_1)
	v_pk_fma_f32 v[98:99], v[100:101], v[84:85], v[108:109] op_sel_hi:[1,0,1] neg_lo:[0,0,1] neg_hi:[0,0,1]
	v_pk_fma_f32 v[100:101], v[100:101], v[84:85], v[108:109] op_sel_hi:[1,0,1]
	ds_load_2addr_b64 v[108:111], v102 offset0:17 offset1:18
	v_dual_mov_b32 v84, v98 :: v_dual_mov_b32 v85, v101
	s_wait_dscnt 0x0
	v_pk_mul_f32 v[112:113], v[108:109], v[100:101] op_sel:[0,1]
	s_delay_alu instid0(VALU_DEP_1) | instskip(SKIP_1) | instid1(VALU_DEP_1)
	v_pk_fma_f32 v[114:115], v[108:109], v[98:99], v[112:113] op_sel:[0,0,1] op_sel_hi:[1,1,0] neg_lo:[0,0,1] neg_hi:[0,0,1]
	v_pk_fma_f32 v[108:109], v[108:109], v[98:99], v[112:113] op_sel:[0,0,1] op_sel_hi:[1,0,0]
	v_mov_b32_e32 v115, v109
	v_pk_mul_f32 v[108:109], v[110:111], v[100:101] op_sel:[0,1]
	s_delay_alu instid0(VALU_DEP_1) | instskip(SKIP_1) | instid1(VALU_DEP_1)
	v_pk_fma_f32 v[112:113], v[110:111], v[98:99], v[108:109] op_sel:[0,0,1] op_sel_hi:[1,1,0] neg_lo:[0,0,1] neg_hi:[0,0,1]
	v_pk_fma_f32 v[108:109], v[110:111], v[98:99], v[108:109] op_sel:[0,0,1] op_sel_hi:[1,0,0]
	v_mov_b32_e32 v113, v109
	ds_load_2addr_b64 v[108:111], v102 offset0:19 offset1:20
	v_pk_add_f32 v[58:59], v[58:59], v[114:115] neg_lo:[0,1] neg_hi:[0,1]
	v_pk_add_f32 v[60:61], v[60:61], v[112:113] neg_lo:[0,1] neg_hi:[0,1]
	s_wait_dscnt 0x0
	v_pk_mul_f32 v[112:113], v[108:109], v[100:101] op_sel:[0,1]
	s_delay_alu instid0(VALU_DEP_1) | instskip(SKIP_2) | instid1(VALU_DEP_2)
	v_pk_fma_f32 v[114:115], v[108:109], v[98:99], v[112:113] op_sel:[0,0,1] op_sel_hi:[1,1,0] neg_lo:[0,0,1] neg_hi:[0,0,1]
	v_pk_fma_f32 v[108:109], v[108:109], v[98:99], v[112:113] op_sel:[0,0,1] op_sel_hi:[1,0,0]
	v_dual_mul_f32 v112, v111, v101 :: v_dual_mov_b32 v108, v111
	v_dual_mov_b32 v115, v109 :: v_dual_mov_b32 v109, v110
	s_delay_alu instid0(VALU_DEP_2) | instskip(SKIP_1) | instid1(VALU_DEP_3)
	v_pk_fma_f32 v[112:113], v[110:111], v[84:85], v[112:113] op_sel_hi:[1,1,0] neg_lo:[0,0,1] neg_hi:[0,0,1]
	v_mul_f32_e32 v110, v111, v98
	v_pk_add_f32 v[56:57], v[56:57], v[114:115] neg_lo:[0,1] neg_hi:[0,1]
	s_delay_alu instid0(VALU_DEP_2) | instskip(NEXT) | instid1(VALU_DEP_1)
	v_pk_fma_f32 v[108:109], v[108:109], v[84:85], v[110:111] op_sel_hi:[1,1,0]
	v_mov_b32_e32 v113, v109
	ds_load_2addr_b64 v[108:111], v102 offset0:21 offset1:22
	v_pk_add_f32 v[82:83], v[82:83], v[112:113] neg_lo:[0,1] neg_hi:[0,1]
	s_wait_dscnt 0x0
	v_pk_mul_f32 v[112:113], v[108:109], v[100:101] op_sel:[0,1]
	s_delay_alu instid0(VALU_DEP_1) | instskip(SKIP_1) | instid1(VALU_DEP_1)
	v_pk_fma_f32 v[114:115], v[108:109], v[98:99], v[112:113] op_sel:[0,0,1] op_sel_hi:[1,1,0] neg_lo:[0,0,1] neg_hi:[0,0,1]
	v_pk_fma_f32 v[108:109], v[108:109], v[98:99], v[112:113] op_sel:[0,0,1] op_sel_hi:[1,0,0]
	v_mov_b32_e32 v115, v109
	v_pk_mul_f32 v[108:109], v[110:111], v[100:101] op_sel:[0,1]
	s_delay_alu instid0(VALU_DEP_1) | instskip(SKIP_1) | instid1(VALU_DEP_1)
	v_pk_fma_f32 v[112:113], v[110:111], v[98:99], v[108:109] op_sel:[0,0,1] op_sel_hi:[1,1,0] neg_lo:[0,0,1] neg_hi:[0,0,1]
	v_pk_fma_f32 v[108:109], v[110:111], v[98:99], v[108:109] op_sel:[0,0,1] op_sel_hi:[1,0,0]
	v_mov_b32_e32 v113, v109
	ds_load_2addr_b64 v[108:111], v102 offset0:23 offset1:24
	v_pk_add_f32 v[50:51], v[50:51], v[114:115] neg_lo:[0,1] neg_hi:[0,1]
	v_pk_add_f32 v[52:53], v[52:53], v[112:113] neg_lo:[0,1] neg_hi:[0,1]
	s_wait_dscnt 0x0
	v_pk_mul_f32 v[112:113], v[108:109], v[100:101] op_sel:[0,1]
	s_delay_alu instid0(VALU_DEP_1) | instskip(SKIP_1) | instid1(VALU_DEP_1)
	v_pk_fma_f32 v[114:115], v[108:109], v[98:99], v[112:113] op_sel:[0,0,1] op_sel_hi:[1,1,0] neg_lo:[0,0,1] neg_hi:[0,0,1]
	v_pk_fma_f32 v[108:109], v[108:109], v[98:99], v[112:113] op_sel:[0,0,1] op_sel_hi:[1,0,0]
	v_mov_b32_e32 v115, v109
	v_pk_mul_f32 v[108:109], v[110:111], v[100:101] op_sel:[0,1]
	s_delay_alu instid0(VALU_DEP_1) | instskip(SKIP_1) | instid1(VALU_DEP_1)
	v_pk_fma_f32 v[112:113], v[110:111], v[98:99], v[108:109] op_sel:[0,0,1] op_sel_hi:[1,1,0] neg_lo:[0,0,1] neg_hi:[0,0,1]
	v_pk_fma_f32 v[108:109], v[110:111], v[98:99], v[108:109] op_sel:[0,0,1] op_sel_hi:[1,0,0]
	v_mov_b32_e32 v113, v109
	ds_load_2addr_b64 v[108:111], v102 offset0:25 offset1:26
	v_pk_add_f32 v[48:49], v[48:49], v[114:115] neg_lo:[0,1] neg_hi:[0,1]
	v_pk_add_f32 v[80:81], v[80:81], v[112:113] neg_lo:[0,1] neg_hi:[0,1]
	s_wait_dscnt 0x0
	v_dual_mul_f32 v112, v109, v101 :: v_dual_mul_f32 v114, v109, v98
	s_delay_alu instid0(VALU_DEP_1) | instskip(NEXT) | instid1(VALU_DEP_2)
	v_pk_fma_f32 v[112:113], v[108:109], v[84:85], v[112:113] op_sel_hi:[1,1,0] neg_lo:[0,0,1] neg_hi:[0,0,1]
	v_pk_fma_f32 v[108:109], v[108:109], v[84:85], v[114:115] op_sel:[1,0,0] op_sel_hi:[0,1,0]
	s_delay_alu instid0(VALU_DEP_1) | instskip(SKIP_1) | instid1(VALU_DEP_2)
	v_mov_b32_e32 v113, v109
	v_pk_mul_f32 v[108:109], v[110:111], v[100:101] op_sel:[0,1]
	v_pk_add_f32 v[44:45], v[44:45], v[112:113] neg_lo:[0,1] neg_hi:[0,1]
	s_delay_alu instid0(VALU_DEP_2) | instskip(SKIP_1) | instid1(VALU_DEP_1)
	v_pk_fma_f32 v[112:113], v[110:111], v[98:99], v[108:109] op_sel:[0,0,1] op_sel_hi:[1,1,0] neg_lo:[0,0,1] neg_hi:[0,0,1]
	v_pk_fma_f32 v[108:109], v[110:111], v[98:99], v[108:109] op_sel:[0,0,1] op_sel_hi:[1,0,0]
	v_mov_b32_e32 v113, v109
	ds_load_2addr_b64 v[108:111], v102 offset0:27 offset1:28
	v_pk_add_f32 v[46:47], v[46:47], v[112:113] neg_lo:[0,1] neg_hi:[0,1]
	s_wait_dscnt 0x0
	v_pk_mul_f32 v[112:113], v[108:109], v[100:101] op_sel:[0,1]
	s_delay_alu instid0(VALU_DEP_1) | instskip(SKIP_1) | instid1(VALU_DEP_1)
	v_pk_fma_f32 v[114:115], v[108:109], v[98:99], v[112:113] op_sel:[0,0,1] op_sel_hi:[1,1,0] neg_lo:[0,0,1] neg_hi:[0,0,1]
	v_pk_fma_f32 v[108:109], v[108:109], v[98:99], v[112:113] op_sel:[0,0,1] op_sel_hi:[1,0,0]
	v_mov_b32_e32 v115, v109
	v_pk_mul_f32 v[108:109], v[110:111], v[100:101] op_sel:[0,1]
	s_delay_alu instid0(VALU_DEP_2) | instskip(NEXT) | instid1(VALU_DEP_2)
	v_pk_add_f32 v[42:43], v[42:43], v[114:115] neg_lo:[0,1] neg_hi:[0,1]
	v_pk_fma_f32 v[112:113], v[110:111], v[98:99], v[108:109] op_sel:[0,0,1] op_sel_hi:[1,1,0] neg_lo:[0,0,1] neg_hi:[0,0,1]
	v_pk_fma_f32 v[108:109], v[110:111], v[98:99], v[108:109] op_sel:[0,0,1] op_sel_hi:[1,0,0]
	s_delay_alu instid0(VALU_DEP_1) | instskip(SKIP_4) | instid1(VALU_DEP_1)
	v_mov_b32_e32 v113, v109
	ds_load_2addr_b64 v[108:111], v102 offset0:29 offset1:30
	v_pk_add_f32 v[76:77], v[76:77], v[112:113] neg_lo:[0,1] neg_hi:[0,1]
	s_wait_dscnt 0x0
	v_pk_mul_f32 v[112:113], v[108:109], v[100:101] op_sel:[0,1]
	v_pk_fma_f32 v[114:115], v[108:109], v[98:99], v[112:113] op_sel:[0,0,1] op_sel_hi:[1,1,0] neg_lo:[0,0,1] neg_hi:[0,0,1]
	v_pk_fma_f32 v[108:109], v[108:109], v[98:99], v[112:113] op_sel:[0,0,1] op_sel_hi:[1,0,0]
	v_dual_mul_f32 v112, v111, v101 :: v_dual_mov_b32 v108, v111
	s_delay_alu instid0(VALU_DEP_2) | instskip(NEXT) | instid1(VALU_DEP_2)
	v_dual_mov_b32 v115, v109 :: v_dual_mov_b32 v109, v110
	v_pk_fma_f32 v[112:113], v[110:111], v[84:85], v[112:113] op_sel_hi:[1,1,0] neg_lo:[0,0,1] neg_hi:[0,0,1]
	v_mul_f32_e32 v110, v111, v98
	s_delay_alu instid0(VALU_DEP_3) | instskip(NEXT) | instid1(VALU_DEP_2)
	v_pk_add_f32 v[30:31], v[30:31], v[114:115] neg_lo:[0,1] neg_hi:[0,1]
	v_pk_fma_f32 v[108:109], v[108:109], v[84:85], v[110:111] op_sel_hi:[1,1,0]
	s_delay_alu instid0(VALU_DEP_1) | instskip(SKIP_4) | instid1(VALU_DEP_1)
	v_mov_b32_e32 v113, v109
	ds_load_2addr_b64 v[108:111], v102 offset0:31 offset1:32
	v_pk_add_f32 v[36:37], v[36:37], v[112:113] neg_lo:[0,1] neg_hi:[0,1]
	s_wait_dscnt 0x0
	v_pk_mul_f32 v[112:113], v[108:109], v[100:101] op_sel:[0,1]
	v_pk_fma_f32 v[114:115], v[108:109], v[98:99], v[112:113] op_sel:[0,0,1] op_sel_hi:[1,1,0] neg_lo:[0,0,1] neg_hi:[0,0,1]
	v_pk_fma_f32 v[108:109], v[108:109], v[98:99], v[112:113] op_sel:[0,0,1] op_sel_hi:[1,0,0]
	s_delay_alu instid0(VALU_DEP_1) | instskip(SKIP_1) | instid1(VALU_DEP_1)
	v_mov_b32_e32 v115, v109
	v_pk_mul_f32 v[108:109], v[110:111], v[100:101] op_sel:[0,1]
	v_pk_fma_f32 v[112:113], v[110:111], v[98:99], v[108:109] op_sel:[0,0,1] op_sel_hi:[1,1,0] neg_lo:[0,0,1] neg_hi:[0,0,1]
	v_pk_fma_f32 v[108:109], v[110:111], v[98:99], v[108:109] op_sel:[0,0,1] op_sel_hi:[1,0,0]
	s_delay_alu instid0(VALU_DEP_1)
	v_mov_b32_e32 v113, v109
	ds_load_2addr_b64 v[108:111], v102 offset0:33 offset1:34
	v_pk_add_f32 v[28:29], v[28:29], v[114:115] neg_lo:[0,1] neg_hi:[0,1]
	v_pk_add_f32 v[72:73], v[72:73], v[112:113] neg_lo:[0,1] neg_hi:[0,1]
	s_wait_dscnt 0x0
	v_pk_mul_f32 v[112:113], v[108:109], v[100:101] op_sel:[0,1]
	s_delay_alu instid0(VALU_DEP_1) | instskip(SKIP_1) | instid1(VALU_DEP_1)
	v_pk_fma_f32 v[114:115], v[108:109], v[98:99], v[112:113] op_sel:[0,0,1] op_sel_hi:[1,1,0] neg_lo:[0,0,1] neg_hi:[0,0,1]
	v_pk_fma_f32 v[108:109], v[108:109], v[98:99], v[112:113] op_sel:[0,0,1] op_sel_hi:[1,0,0]
	v_mov_b32_e32 v115, v109
	v_pk_mul_f32 v[108:109], v[110:111], v[100:101] op_sel:[0,1]
	s_delay_alu instid0(VALU_DEP_1) | instskip(SKIP_1) | instid1(VALU_DEP_1)
	v_pk_fma_f32 v[112:113], v[110:111], v[98:99], v[108:109] op_sel:[0,0,1] op_sel_hi:[1,1,0] neg_lo:[0,0,1] neg_hi:[0,0,1]
	v_pk_fma_f32 v[108:109], v[110:111], v[98:99], v[108:109] op_sel:[0,0,1] op_sel_hi:[1,0,0]
	v_mov_b32_e32 v113, v109
	ds_load_2addr_b64 v[108:111], v102 offset0:35 offset1:36
	v_pk_add_f32 v[18:19], v[18:19], v[114:115] neg_lo:[0,1] neg_hi:[0,1]
	v_pk_add_f32 v[24:25], v[24:25], v[112:113] neg_lo:[0,1] neg_hi:[0,1]
	s_wait_dscnt 0x0
	v_dual_mul_f32 v112, v109, v101 :: v_dual_mul_f32 v114, v109, v98
	s_delay_alu instid0(VALU_DEP_1) | instskip(NEXT) | instid1(VALU_DEP_2)
	v_pk_fma_f32 v[112:113], v[108:109], v[84:85], v[112:113] op_sel_hi:[1,1,0] neg_lo:[0,0,1] neg_hi:[0,0,1]
	v_pk_fma_f32 v[108:109], v[108:109], v[84:85], v[114:115] op_sel:[1,0,0] op_sel_hi:[0,1,0]
	s_delay_alu instid0(VALU_DEP_1) | instskip(SKIP_1) | instid1(VALU_DEP_2)
	v_mov_b32_e32 v113, v109
	v_pk_mul_f32 v[108:109], v[110:111], v[100:101] op_sel:[0,1]
	v_pk_add_f32 v[16:17], v[16:17], v[112:113] neg_lo:[0,1] neg_hi:[0,1]
	s_delay_alu instid0(VALU_DEP_2) | instskip(SKIP_1) | instid1(VALU_DEP_1)
	v_pk_fma_f32 v[112:113], v[110:111], v[98:99], v[108:109] op_sel:[0,0,1] op_sel_hi:[1,1,0] neg_lo:[0,0,1] neg_hi:[0,0,1]
	v_pk_fma_f32 v[108:109], v[110:111], v[98:99], v[108:109] op_sel:[0,0,1] op_sel_hi:[1,0,0]
	v_mov_b32_e32 v113, v109
	ds_load_2addr_b64 v[108:111], v102 offset0:37 offset1:38
	v_pk_add_f32 v[70:71], v[70:71], v[112:113] neg_lo:[0,1] neg_hi:[0,1]
	s_wait_dscnt 0x0
	v_pk_mul_f32 v[112:113], v[108:109], v[100:101] op_sel:[0,1]
	s_delay_alu instid0(VALU_DEP_1) | instskip(SKIP_1) | instid1(VALU_DEP_1)
	v_pk_fma_f32 v[114:115], v[108:109], v[98:99], v[112:113] op_sel:[0,0,1] op_sel_hi:[1,1,0] neg_lo:[0,0,1] neg_hi:[0,0,1]
	v_pk_fma_f32 v[108:109], v[108:109], v[98:99], v[112:113] op_sel:[0,0,1] op_sel_hi:[1,0,0]
	v_mov_b32_e32 v115, v109
	v_pk_mul_f32 v[108:109], v[110:111], v[100:101] op_sel:[0,1]
	s_delay_alu instid0(VALU_DEP_2) | instskip(NEXT) | instid1(VALU_DEP_2)
	v_pk_add_f32 v[10:11], v[10:11], v[114:115] neg_lo:[0,1] neg_hi:[0,1]
	v_pk_fma_f32 v[112:113], v[110:111], v[98:99], v[108:109] op_sel:[0,0,1] op_sel_hi:[1,1,0] neg_lo:[0,0,1] neg_hi:[0,0,1]
	v_pk_fma_f32 v[108:109], v[110:111], v[98:99], v[108:109] op_sel:[0,0,1] op_sel_hi:[1,0,0]
	s_delay_alu instid0(VALU_DEP_1) | instskip(SKIP_4) | instid1(VALU_DEP_1)
	v_mov_b32_e32 v113, v109
	ds_load_2addr_b64 v[108:111], v102 offset0:39 offset1:40
	v_pk_add_f32 v[12:13], v[12:13], v[112:113] neg_lo:[0,1] neg_hi:[0,1]
	s_wait_dscnt 0x0
	v_pk_mul_f32 v[112:113], v[108:109], v[100:101] op_sel:[0,1]
	v_pk_fma_f32 v[114:115], v[108:109], v[98:99], v[112:113] op_sel:[0,0,1] op_sel_hi:[1,1,0] neg_lo:[0,0,1] neg_hi:[0,0,1]
	v_pk_fma_f32 v[108:109], v[108:109], v[98:99], v[112:113] op_sel:[0,0,1] op_sel_hi:[1,0,0]
	v_dual_mul_f32 v112, v111, v101 :: v_dual_mov_b32 v108, v111
	s_delay_alu instid0(VALU_DEP_2) | instskip(NEXT) | instid1(VALU_DEP_2)
	v_dual_mov_b32 v115, v109 :: v_dual_mov_b32 v109, v110
	v_pk_fma_f32 v[112:113], v[110:111], v[84:85], v[112:113] op_sel_hi:[1,1,0] neg_lo:[0,0,1] neg_hi:[0,0,1]
	v_mul_f32_e32 v110, v111, v98
	s_delay_alu instid0(VALU_DEP_3) | instskip(NEXT) | instid1(VALU_DEP_2)
	v_pk_add_f32 v[8:9], v[8:9], v[114:115] neg_lo:[0,1] neg_hi:[0,1]
	v_pk_fma_f32 v[108:109], v[108:109], v[84:85], v[110:111] op_sel_hi:[1,1,0]
	s_delay_alu instid0(VALU_DEP_1) | instskip(SKIP_4) | instid1(VALU_DEP_1)
	v_mov_b32_e32 v113, v109
	ds_load_2addr_b64 v[108:111], v102 offset0:41 offset1:42
	v_pk_add_f32 v[68:69], v[68:69], v[112:113] neg_lo:[0,1] neg_hi:[0,1]
	s_wait_dscnt 0x0
	v_pk_mul_f32 v[112:113], v[108:109], v[100:101] op_sel:[0,1]
	v_pk_fma_f32 v[114:115], v[108:109], v[98:99], v[112:113] op_sel:[0,0,1] op_sel_hi:[1,1,0] neg_lo:[0,0,1] neg_hi:[0,0,1]
	v_pk_fma_f32 v[108:109], v[108:109], v[98:99], v[112:113] op_sel:[0,0,1] op_sel_hi:[1,0,0]
	s_delay_alu instid0(VALU_DEP_1) | instskip(SKIP_1) | instid1(VALU_DEP_1)
	v_mov_b32_e32 v115, v109
	v_pk_mul_f32 v[108:109], v[110:111], v[100:101] op_sel:[0,1]
	v_pk_fma_f32 v[112:113], v[110:111], v[98:99], v[108:109] op_sel:[0,0,1] op_sel_hi:[1,1,0] neg_lo:[0,0,1] neg_hi:[0,0,1]
	v_pk_fma_f32 v[108:109], v[110:111], v[98:99], v[108:109] op_sel:[0,0,1] op_sel_hi:[1,0,0]
	s_delay_alu instid0(VALU_DEP_1)
	v_mov_b32_e32 v113, v109
	ds_load_2addr_b64 v[108:111], v102 offset0:43 offset1:44
	v_pk_add_f32 v[6:7], v[6:7], v[114:115] neg_lo:[0,1] neg_hi:[0,1]
	v_pk_add_f32 v[54:55], v[54:55], v[112:113] neg_lo:[0,1] neg_hi:[0,1]
	s_wait_dscnt 0x0
	v_pk_mul_f32 v[112:113], v[108:109], v[100:101] op_sel:[0,1]
	s_delay_alu instid0(VALU_DEP_1) | instskip(SKIP_1) | instid1(VALU_DEP_1)
	v_pk_fma_f32 v[114:115], v[108:109], v[98:99], v[112:113] op_sel:[0,0,1] op_sel_hi:[1,1,0] neg_lo:[0,0,1] neg_hi:[0,0,1]
	v_pk_fma_f32 v[108:109], v[108:109], v[98:99], v[112:113] op_sel:[0,0,1] op_sel_hi:[1,0,0]
	v_mov_b32_e32 v115, v109
	v_pk_mul_f32 v[108:109], v[110:111], v[100:101] op_sel:[0,1]
	s_delay_alu instid0(VALU_DEP_1) | instskip(SKIP_1) | instid1(VALU_DEP_1)
	v_pk_fma_f32 v[112:113], v[110:111], v[98:99], v[108:109] op_sel:[0,0,1] op_sel_hi:[1,1,0] neg_lo:[0,0,1] neg_hi:[0,0,1]
	v_pk_fma_f32 v[108:109], v[110:111], v[98:99], v[108:109] op_sel:[0,0,1] op_sel_hi:[1,0,0]
	v_mov_b32_e32 v113, v109
	ds_load_b64 v[108:109], v102 offset:360
	v_pk_add_f32 v[40:41], v[40:41], v[114:115] neg_lo:[0,1] neg_hi:[0,1]
	v_pk_add_f32 v[14:15], v[14:15], v[112:113] neg_lo:[0,1] neg_hi:[0,1]
	s_wait_dscnt 0x0
	v_pk_mul_f32 v[100:101], v[108:109], v[100:101] op_sel:[0,1]
	s_delay_alu instid0(VALU_DEP_1) | instskip(SKIP_1) | instid1(VALU_DEP_1)
	v_pk_fma_f32 v[110:111], v[108:109], v[98:99], v[100:101] op_sel:[0,0,1] op_sel_hi:[1,1,0] neg_lo:[0,0,1] neg_hi:[0,0,1]
	v_pk_fma_f32 v[98:99], v[108:109], v[98:99], v[100:101] op_sel:[0,0,1] op_sel_hi:[1,0,0]
	v_mov_b32_e32 v111, v99
	s_delay_alu instid0(VALU_DEP_1)
	v_pk_add_f32 v[96:97], v[96:97], v[110:111] neg_lo:[0,1] neg_hi:[0,1]
.LBB90_356:
	s_or_b32 exec_lo, exec_lo, s0
	v_lshl_add_u32 v98, v106, 3, v102
	s_barrier_signal -1
	s_barrier_wait -1
	ds_store_b64 v98, v[58:59]
	s_wait_dscnt 0x0
	s_barrier_signal -1
	s_barrier_wait -1
	ds_load_b64 v[100:101], v102 offset:136
	v_mov_b32_e32 v98, 17
	s_cmp_lt_i32 s18, 19
	s_cbranch_scc1 .LBB90_359
; %bb.357:
	v_add3_u32 v99, v103, 0, 0x90
	v_mov_b32_e32 v98, 17
	s_mov_b32 s0, 18
.LBB90_358:                             ; =>This Inner Loop Header: Depth=1
	ds_load_b64 v[108:109], v99
	s_wait_dscnt 0x1
	v_cmp_gt_f32_e32 vcc_lo, 0, v100
	v_cndmask_b32_e64 v110, v100, -v100, vcc_lo
	v_cmp_gt_f32_e32 vcc_lo, 0, v101
	v_cndmask_b32_e64 v112, v101, -v101, vcc_lo
	s_wait_dscnt 0x0
	v_cmp_gt_f32_e32 vcc_lo, 0, v108
	v_cndmask_b32_e64 v111, v108, -v108, vcc_lo
	v_cmp_gt_f32_e32 vcc_lo, 0, v109
	v_cndmask_b32_e64 v113, v109, -v109, vcc_lo
	s_delay_alu instid0(VALU_DEP_1) | instskip(NEXT) | instid1(VALU_DEP_1)
	v_pk_add_f32 v[110:111], v[110:111], v[112:113]
	v_cmp_lt_f32_e32 vcc_lo, v110, v111
	v_dual_add_nc_u32 v99, 8, v99 :: v_dual_cndmask_b32 v101, v101, v109, vcc_lo
	v_cndmask_b32_e32 v100, v100, v108, vcc_lo
	v_cndmask_b32_e64 v98, v98, s0, vcc_lo
	s_add_co_i32 s0, s0, 1
	s_delay_alu instid0(SALU_CYCLE_1)
	s_cmp_lg_u32 s18, s0
	s_cbranch_scc1 .LBB90_358
.LBB90_359:
	s_wait_dscnt 0x0
	v_cmp_eq_f32_e32 vcc_lo, 0, v100
	v_cmp_eq_f32_e64 s0, 0, v101
	s_and_b32 s0, vcc_lo, s0
	s_delay_alu instid0(SALU_CYCLE_1) | instskip(NEXT) | instid1(SALU_CYCLE_1)
	s_and_saveexec_b32 s1, s0
	s_xor_b32 s0, exec_lo, s1
; %bb.360:
	v_cmp_ne_u32_e32 vcc_lo, 0, v104
	v_cndmask_b32_e32 v104, 18, v104, vcc_lo
; %bb.361:
	s_and_not1_saveexec_b32 s0, s0
	s_cbranch_execz .LBB90_367
; %bb.362:
	v_cmp_ngt_f32_e64 s1, |v100|, |v101|
	s_and_saveexec_b32 s12, s1
	s_delay_alu instid0(SALU_CYCLE_1)
	s_xor_b32 s1, exec_lo, s12
	s_cbranch_execz .LBB90_364
; %bb.363:
	v_div_scale_f32 v99, null, v101, v101, v100
	v_div_scale_f32 v109, vcc_lo, v100, v101, v100
	s_delay_alu instid0(VALU_DEP_2) | instskip(SKIP_1) | instid1(TRANS32_DEP_1)
	v_rcp_f32_e32 v107, v99
	v_nop
	v_fma_f32 v108, -v99, v107, 1.0
	s_delay_alu instid0(VALU_DEP_1) | instskip(NEXT) | instid1(VALU_DEP_1)
	v_fmac_f32_e32 v107, v108, v107
	v_mul_f32_e32 v108, v109, v107
	s_delay_alu instid0(VALU_DEP_1) | instskip(NEXT) | instid1(VALU_DEP_1)
	v_fma_f32 v110, -v99, v108, v109
	v_fmac_f32_e32 v108, v110, v107
	s_delay_alu instid0(VALU_DEP_1) | instskip(NEXT) | instid1(VALU_DEP_1)
	v_fma_f32 v99, -v99, v108, v109
	v_div_fmas_f32 v99, v99, v107, v108
	s_delay_alu instid0(VALU_DEP_1) | instskip(NEXT) | instid1(VALU_DEP_1)
	v_div_fixup_f32 v99, v99, v101, v100
	v_fmac_f32_e32 v101, v100, v99
	s_delay_alu instid0(VALU_DEP_1) | instskip(SKIP_1) | instid1(VALU_DEP_2)
	v_div_scale_f32 v100, null, v101, v101, 1.0
	v_div_scale_f32 v109, vcc_lo, 1.0, v101, 1.0
	v_rcp_f32_e32 v107, v100
	v_nop
	s_delay_alu instid0(TRANS32_DEP_1) | instskip(NEXT) | instid1(VALU_DEP_1)
	v_fma_f32 v108, -v100, v107, 1.0
	v_fmac_f32_e32 v107, v108, v107
	s_delay_alu instid0(VALU_DEP_1) | instskip(NEXT) | instid1(VALU_DEP_1)
	v_mul_f32_e32 v108, v109, v107
	v_fma_f32 v110, -v100, v108, v109
	s_delay_alu instid0(VALU_DEP_1) | instskip(NEXT) | instid1(VALU_DEP_1)
	v_fmac_f32_e32 v108, v110, v107
	v_fma_f32 v100, -v100, v108, v109
	s_delay_alu instid0(VALU_DEP_1) | instskip(NEXT) | instid1(VALU_DEP_1)
	v_div_fmas_f32 v100, v100, v107, v108
	v_div_fixup_f32 v101, v100, v101, 1.0
	s_delay_alu instid0(VALU_DEP_1)
	v_mul_f32_e32 v100, v99, v101
	v_xor_b32_e32 v101, 0x80000000, v101
.LBB90_364:
	s_and_not1_saveexec_b32 s1, s1
	s_cbranch_execz .LBB90_366
; %bb.365:
	s_delay_alu instid0(VALU_DEP_1) | instskip(SKIP_1) | instid1(VALU_DEP_2)
	v_div_scale_f32 v99, null, v100, v100, v101
	v_div_scale_f32 v109, vcc_lo, v101, v100, v101
	v_rcp_f32_e32 v107, v99
	v_nop
	s_delay_alu instid0(TRANS32_DEP_1) | instskip(NEXT) | instid1(VALU_DEP_1)
	v_fma_f32 v108, -v99, v107, 1.0
	v_fmac_f32_e32 v107, v108, v107
	s_delay_alu instid0(VALU_DEP_1) | instskip(NEXT) | instid1(VALU_DEP_1)
	v_mul_f32_e32 v108, v109, v107
	v_fma_f32 v110, -v99, v108, v109
	s_delay_alu instid0(VALU_DEP_1) | instskip(NEXT) | instid1(VALU_DEP_1)
	v_fmac_f32_e32 v108, v110, v107
	v_fma_f32 v99, -v99, v108, v109
	s_delay_alu instid0(VALU_DEP_1) | instskip(NEXT) | instid1(VALU_DEP_1)
	v_div_fmas_f32 v99, v99, v107, v108
	v_div_fixup_f32 v99, v99, v100, v101
	s_delay_alu instid0(VALU_DEP_1) | instskip(NEXT) | instid1(VALU_DEP_1)
	v_fmac_f32_e32 v100, v101, v99
	v_div_scale_f32 v101, null, v100, v100, 1.0
	s_delay_alu instid0(VALU_DEP_1) | instskip(SKIP_1) | instid1(TRANS32_DEP_1)
	v_rcp_f32_e32 v107, v101
	v_nop
	v_fma_f32 v108, -v101, v107, 1.0
	s_delay_alu instid0(VALU_DEP_1) | instskip(SKIP_1) | instid1(VALU_DEP_1)
	v_fmac_f32_e32 v107, v108, v107
	v_div_scale_f32 v108, vcc_lo, 1.0, v100, 1.0
	v_mul_f32_e32 v109, v108, v107
	s_delay_alu instid0(VALU_DEP_1) | instskip(NEXT) | instid1(VALU_DEP_1)
	v_fma_f32 v110, -v101, v109, v108
	v_fmac_f32_e32 v109, v110, v107
	s_delay_alu instid0(VALU_DEP_1) | instskip(NEXT) | instid1(VALU_DEP_1)
	v_fma_f32 v101, -v101, v109, v108
	v_div_fmas_f32 v101, v101, v107, v109
	s_delay_alu instid0(VALU_DEP_1) | instskip(NEXT) | instid1(VALU_DEP_1)
	v_div_fixup_f32 v100, v101, v100, 1.0
	v_mul_f32_e64 v101, v99, -v100
.LBB90_366:
	s_or_b32 exec_lo, exec_lo, s1
.LBB90_367:
	s_delay_alu instid0(SALU_CYCLE_1) | instskip(NEXT) | instid1(SALU_CYCLE_1)
	s_or_b32 exec_lo, exec_lo, s0
	s_mov_b32 s0, exec_lo
	v_cmpx_ne_u32_e64 v106, v98
	s_xor_b32 s0, exec_lo, s0
	s_cbranch_execz .LBB90_373
; %bb.368:
	s_mov_b32 s1, exec_lo
	v_cmpx_eq_u32_e32 17, v106
	s_cbranch_execz .LBB90_372
; %bb.369:
	v_cmp_ne_u32_e32 vcc_lo, 17, v98
	s_xor_b32 s12, s16, -1
	s_delay_alu instid0(SALU_CYCLE_1) | instskip(NEXT) | instid1(SALU_CYCLE_1)
	s_and_b32 s13, s12, vcc_lo
	s_and_saveexec_b32 s12, s13
	s_cbranch_execz .LBB90_371
; %bb.370:
	v_ashrrev_i32_e32 v99, 31, v98
	s_delay_alu instid0(VALU_DEP_1)
	v_lshl_add_u64 v[106:107], v[98:99], 2, v[4:5]
	s_clause 0x1
	global_load_b32 v99, v[106:107], off
	global_load_b32 v105, v[4:5], off offset:68
	s_wait_loadcnt 0x1
	global_store_b32 v[4:5], v99, off offset:68
	s_wait_loadcnt 0x0
	global_store_b32 v[106:107], v105, off
.LBB90_371:
	s_wait_xcnt 0x0
	s_or_b32 exec_lo, exec_lo, s12
	v_dual_mov_b32 v106, v98 :: v_dual_mov_b32 v105, v98
.LBB90_372:
	s_or_b32 exec_lo, exec_lo, s1
.LBB90_373:
	s_and_not1_saveexec_b32 s0, s0
	s_cbranch_execz .LBB90_375
; %bb.374:
	v_dual_mov_b32 v98, v60 :: v_dual_mov_b32 v99, v61
	v_dual_mov_b32 v106, v56 :: v_dual_mov_b32 v107, v57
	;; [unrolled: 1-line block ×8, first 2 shown]
	ds_store_2addr_b64 v102, v[98:99], v[106:107] offset0:18 offset1:19
	ds_store_2addr_b64 v102, v[108:109], v[110:111] offset0:20 offset1:21
	;; [unrolled: 1-line block ×4, first 2 shown]
	v_dual_mov_b32 v98, v46 :: v_dual_mov_b32 v99, v47
	v_dual_mov_b32 v106, v42 :: v_dual_mov_b32 v107, v43
	;; [unrolled: 1-line block ×12, first 2 shown]
	ds_store_2addr_b64 v102, v[98:99], v[106:107] offset0:26 offset1:27
	ds_store_2addr_b64 v102, v[108:109], v[110:111] offset0:28 offset1:29
	;; [unrolled: 1-line block ×6, first 2 shown]
	v_dual_mov_b32 v98, v12 :: v_dual_mov_b32 v99, v13
	v_dual_mov_b32 v108, v8 :: v_dual_mov_b32 v109, v9
	;; [unrolled: 1-line block ×7, first 2 shown]
	v_mov_b32_e32 v119, v15
	ds_store_2addr_b64 v102, v[98:99], v[108:109] offset0:38 offset1:39
	ds_store_2addr_b64 v102, v[110:111], v[112:113] offset0:40 offset1:41
	;; [unrolled: 1-line block ×4, first 2 shown]
.LBB90_375:
	s_or_b32 exec_lo, exec_lo, s0
	s_delay_alu instid0(SALU_CYCLE_1)
	s_mov_b32 s0, exec_lo
	s_wait_storecnt_dscnt 0x0
	s_barrier_signal -1
	s_barrier_wait -1
	v_cmpx_lt_i32_e32 17, v106
	s_cbranch_execz .LBB90_377
; %bb.376:
	v_pk_mul_f32 v[108:109], v[100:101], v[58:59] op_sel:[1,1] op_sel_hi:[0,1]
	s_delay_alu instid0(VALU_DEP_1)
	v_pk_fma_f32 v[98:99], v[100:101], v[58:59], v[108:109] op_sel_hi:[1,0,1] neg_lo:[0,0,1] neg_hi:[0,0,1]
	v_pk_fma_f32 v[100:101], v[100:101], v[58:59], v[108:109] op_sel_hi:[1,0,1]
	ds_load_2addr_b64 v[108:111], v102 offset0:18 offset1:19
	v_dual_mov_b32 v58, v98 :: v_dual_mov_b32 v59, v101
	s_wait_dscnt 0x0
	v_pk_mul_f32 v[112:113], v[108:109], v[100:101] op_sel:[0,1]
	s_delay_alu instid0(VALU_DEP_1) | instskip(SKIP_1) | instid1(VALU_DEP_1)
	v_pk_fma_f32 v[114:115], v[108:109], v[98:99], v[112:113] op_sel:[0,0,1] op_sel_hi:[1,1,0] neg_lo:[0,0,1] neg_hi:[0,0,1]
	v_pk_fma_f32 v[108:109], v[108:109], v[98:99], v[112:113] op_sel:[0,0,1] op_sel_hi:[1,0,0]
	v_mov_b32_e32 v115, v109
	v_pk_mul_f32 v[108:109], v[110:111], v[100:101] op_sel:[0,1]
	s_delay_alu instid0(VALU_DEP_1) | instskip(SKIP_1) | instid1(VALU_DEP_1)
	v_pk_fma_f32 v[112:113], v[110:111], v[98:99], v[108:109] op_sel:[0,0,1] op_sel_hi:[1,1,0] neg_lo:[0,0,1] neg_hi:[0,0,1]
	v_pk_fma_f32 v[108:109], v[110:111], v[98:99], v[108:109] op_sel:[0,0,1] op_sel_hi:[1,0,0]
	v_mov_b32_e32 v113, v109
	ds_load_2addr_b64 v[108:111], v102 offset0:20 offset1:21
	v_pk_add_f32 v[60:61], v[60:61], v[114:115] neg_lo:[0,1] neg_hi:[0,1]
	v_pk_add_f32 v[56:57], v[56:57], v[112:113] neg_lo:[0,1] neg_hi:[0,1]
	s_wait_dscnt 0x0
	v_pk_mul_f32 v[112:113], v[108:109], v[100:101] op_sel:[0,1]
	s_delay_alu instid0(VALU_DEP_1) | instskip(SKIP_2) | instid1(VALU_DEP_2)
	v_pk_fma_f32 v[114:115], v[108:109], v[98:99], v[112:113] op_sel:[0,0,1] op_sel_hi:[1,1,0] neg_lo:[0,0,1] neg_hi:[0,0,1]
	v_pk_fma_f32 v[108:109], v[108:109], v[98:99], v[112:113] op_sel:[0,0,1] op_sel_hi:[1,0,0]
	v_dual_mul_f32 v112, v111, v101 :: v_dual_mov_b32 v108, v111
	v_dual_mov_b32 v115, v109 :: v_dual_mov_b32 v109, v110
	s_delay_alu instid0(VALU_DEP_2) | instskip(SKIP_1) | instid1(VALU_DEP_3)
	v_pk_fma_f32 v[112:113], v[110:111], v[58:59], v[112:113] op_sel_hi:[1,1,0] neg_lo:[0,0,1] neg_hi:[0,0,1]
	v_mul_f32_e32 v110, v111, v98
	v_pk_add_f32 v[82:83], v[82:83], v[114:115] neg_lo:[0,1] neg_hi:[0,1]
	s_delay_alu instid0(VALU_DEP_2) | instskip(NEXT) | instid1(VALU_DEP_1)
	v_pk_fma_f32 v[108:109], v[108:109], v[58:59], v[110:111] op_sel_hi:[1,1,0]
	v_mov_b32_e32 v113, v109
	ds_load_2addr_b64 v[108:111], v102 offset0:22 offset1:23
	v_pk_add_f32 v[50:51], v[50:51], v[112:113] neg_lo:[0,1] neg_hi:[0,1]
	s_wait_dscnt 0x0
	v_pk_mul_f32 v[112:113], v[108:109], v[100:101] op_sel:[0,1]
	s_delay_alu instid0(VALU_DEP_1) | instskip(SKIP_1) | instid1(VALU_DEP_1)
	v_pk_fma_f32 v[114:115], v[108:109], v[98:99], v[112:113] op_sel:[0,0,1] op_sel_hi:[1,1,0] neg_lo:[0,0,1] neg_hi:[0,0,1]
	v_pk_fma_f32 v[108:109], v[108:109], v[98:99], v[112:113] op_sel:[0,0,1] op_sel_hi:[1,0,0]
	v_mov_b32_e32 v115, v109
	v_pk_mul_f32 v[108:109], v[110:111], v[100:101] op_sel:[0,1]
	s_delay_alu instid0(VALU_DEP_1) | instskip(SKIP_1) | instid1(VALU_DEP_1)
	v_pk_fma_f32 v[112:113], v[110:111], v[98:99], v[108:109] op_sel:[0,0,1] op_sel_hi:[1,1,0] neg_lo:[0,0,1] neg_hi:[0,0,1]
	v_pk_fma_f32 v[108:109], v[110:111], v[98:99], v[108:109] op_sel:[0,0,1] op_sel_hi:[1,0,0]
	v_mov_b32_e32 v113, v109
	ds_load_2addr_b64 v[108:111], v102 offset0:24 offset1:25
	v_pk_add_f32 v[52:53], v[52:53], v[114:115] neg_lo:[0,1] neg_hi:[0,1]
	v_pk_add_f32 v[48:49], v[48:49], v[112:113] neg_lo:[0,1] neg_hi:[0,1]
	s_wait_dscnt 0x0
	v_pk_mul_f32 v[112:113], v[108:109], v[100:101] op_sel:[0,1]
	s_delay_alu instid0(VALU_DEP_1) | instskip(SKIP_1) | instid1(VALU_DEP_1)
	v_pk_fma_f32 v[114:115], v[108:109], v[98:99], v[112:113] op_sel:[0,0,1] op_sel_hi:[1,1,0] neg_lo:[0,0,1] neg_hi:[0,0,1]
	v_pk_fma_f32 v[108:109], v[108:109], v[98:99], v[112:113] op_sel:[0,0,1] op_sel_hi:[1,0,0]
	v_mov_b32_e32 v115, v109
	v_pk_mul_f32 v[108:109], v[110:111], v[100:101] op_sel:[0,1]
	s_delay_alu instid0(VALU_DEP_1) | instskip(SKIP_1) | instid1(VALU_DEP_1)
	v_pk_fma_f32 v[112:113], v[110:111], v[98:99], v[108:109] op_sel:[0,0,1] op_sel_hi:[1,1,0] neg_lo:[0,0,1] neg_hi:[0,0,1]
	v_pk_fma_f32 v[108:109], v[110:111], v[98:99], v[108:109] op_sel:[0,0,1] op_sel_hi:[1,0,0]
	v_mov_b32_e32 v113, v109
	ds_load_2addr_b64 v[108:111], v102 offset0:26 offset1:27
	v_pk_add_f32 v[80:81], v[80:81], v[114:115] neg_lo:[0,1] neg_hi:[0,1]
	v_pk_add_f32 v[44:45], v[44:45], v[112:113] neg_lo:[0,1] neg_hi:[0,1]
	s_wait_dscnt 0x0
	v_dual_mul_f32 v112, v109, v101 :: v_dual_mul_f32 v114, v109, v98
	s_delay_alu instid0(VALU_DEP_1) | instskip(NEXT) | instid1(VALU_DEP_2)
	v_pk_fma_f32 v[112:113], v[108:109], v[58:59], v[112:113] op_sel_hi:[1,1,0] neg_lo:[0,0,1] neg_hi:[0,0,1]
	v_pk_fma_f32 v[108:109], v[108:109], v[58:59], v[114:115] op_sel:[1,0,0] op_sel_hi:[0,1,0]
	s_delay_alu instid0(VALU_DEP_1) | instskip(SKIP_1) | instid1(VALU_DEP_2)
	v_mov_b32_e32 v113, v109
	v_pk_mul_f32 v[108:109], v[110:111], v[100:101] op_sel:[0,1]
	v_pk_add_f32 v[46:47], v[46:47], v[112:113] neg_lo:[0,1] neg_hi:[0,1]
	s_delay_alu instid0(VALU_DEP_2) | instskip(SKIP_1) | instid1(VALU_DEP_1)
	v_pk_fma_f32 v[112:113], v[110:111], v[98:99], v[108:109] op_sel:[0,0,1] op_sel_hi:[1,1,0] neg_lo:[0,0,1] neg_hi:[0,0,1]
	v_pk_fma_f32 v[108:109], v[110:111], v[98:99], v[108:109] op_sel:[0,0,1] op_sel_hi:[1,0,0]
	v_mov_b32_e32 v113, v109
	ds_load_2addr_b64 v[108:111], v102 offset0:28 offset1:29
	v_pk_add_f32 v[42:43], v[42:43], v[112:113] neg_lo:[0,1] neg_hi:[0,1]
	s_wait_dscnt 0x0
	v_pk_mul_f32 v[112:113], v[108:109], v[100:101] op_sel:[0,1]
	s_delay_alu instid0(VALU_DEP_1) | instskip(SKIP_1) | instid1(VALU_DEP_1)
	v_pk_fma_f32 v[114:115], v[108:109], v[98:99], v[112:113] op_sel:[0,0,1] op_sel_hi:[1,1,0] neg_lo:[0,0,1] neg_hi:[0,0,1]
	v_pk_fma_f32 v[108:109], v[108:109], v[98:99], v[112:113] op_sel:[0,0,1] op_sel_hi:[1,0,0]
	v_mov_b32_e32 v115, v109
	v_pk_mul_f32 v[108:109], v[110:111], v[100:101] op_sel:[0,1]
	s_delay_alu instid0(VALU_DEP_2) | instskip(NEXT) | instid1(VALU_DEP_2)
	v_pk_add_f32 v[76:77], v[76:77], v[114:115] neg_lo:[0,1] neg_hi:[0,1]
	v_pk_fma_f32 v[112:113], v[110:111], v[98:99], v[108:109] op_sel:[0,0,1] op_sel_hi:[1,1,0] neg_lo:[0,0,1] neg_hi:[0,0,1]
	v_pk_fma_f32 v[108:109], v[110:111], v[98:99], v[108:109] op_sel:[0,0,1] op_sel_hi:[1,0,0]
	s_delay_alu instid0(VALU_DEP_1) | instskip(SKIP_4) | instid1(VALU_DEP_1)
	v_mov_b32_e32 v113, v109
	ds_load_2addr_b64 v[108:111], v102 offset0:30 offset1:31
	v_pk_add_f32 v[30:31], v[30:31], v[112:113] neg_lo:[0,1] neg_hi:[0,1]
	s_wait_dscnt 0x0
	v_pk_mul_f32 v[112:113], v[108:109], v[100:101] op_sel:[0,1]
	v_pk_fma_f32 v[114:115], v[108:109], v[98:99], v[112:113] op_sel:[0,0,1] op_sel_hi:[1,1,0] neg_lo:[0,0,1] neg_hi:[0,0,1]
	v_pk_fma_f32 v[108:109], v[108:109], v[98:99], v[112:113] op_sel:[0,0,1] op_sel_hi:[1,0,0]
	v_dual_mul_f32 v112, v111, v101 :: v_dual_mov_b32 v108, v111
	s_delay_alu instid0(VALU_DEP_2) | instskip(NEXT) | instid1(VALU_DEP_2)
	v_dual_mov_b32 v115, v109 :: v_dual_mov_b32 v109, v110
	v_pk_fma_f32 v[112:113], v[110:111], v[58:59], v[112:113] op_sel_hi:[1,1,0] neg_lo:[0,0,1] neg_hi:[0,0,1]
	v_mul_f32_e32 v110, v111, v98
	s_delay_alu instid0(VALU_DEP_3) | instskip(NEXT) | instid1(VALU_DEP_2)
	v_pk_add_f32 v[36:37], v[36:37], v[114:115] neg_lo:[0,1] neg_hi:[0,1]
	v_pk_fma_f32 v[108:109], v[108:109], v[58:59], v[110:111] op_sel_hi:[1,1,0]
	s_delay_alu instid0(VALU_DEP_1) | instskip(SKIP_4) | instid1(VALU_DEP_1)
	v_mov_b32_e32 v113, v109
	ds_load_2addr_b64 v[108:111], v102 offset0:32 offset1:33
	v_pk_add_f32 v[28:29], v[28:29], v[112:113] neg_lo:[0,1] neg_hi:[0,1]
	s_wait_dscnt 0x0
	v_pk_mul_f32 v[112:113], v[108:109], v[100:101] op_sel:[0,1]
	v_pk_fma_f32 v[114:115], v[108:109], v[98:99], v[112:113] op_sel:[0,0,1] op_sel_hi:[1,1,0] neg_lo:[0,0,1] neg_hi:[0,0,1]
	v_pk_fma_f32 v[108:109], v[108:109], v[98:99], v[112:113] op_sel:[0,0,1] op_sel_hi:[1,0,0]
	s_delay_alu instid0(VALU_DEP_1) | instskip(SKIP_1) | instid1(VALU_DEP_1)
	v_mov_b32_e32 v115, v109
	v_pk_mul_f32 v[108:109], v[110:111], v[100:101] op_sel:[0,1]
	v_pk_fma_f32 v[112:113], v[110:111], v[98:99], v[108:109] op_sel:[0,0,1] op_sel_hi:[1,1,0] neg_lo:[0,0,1] neg_hi:[0,0,1]
	v_pk_fma_f32 v[108:109], v[110:111], v[98:99], v[108:109] op_sel:[0,0,1] op_sel_hi:[1,0,0]
	s_delay_alu instid0(VALU_DEP_1)
	v_mov_b32_e32 v113, v109
	ds_load_2addr_b64 v[108:111], v102 offset0:34 offset1:35
	v_pk_add_f32 v[72:73], v[72:73], v[114:115] neg_lo:[0,1] neg_hi:[0,1]
	v_pk_add_f32 v[18:19], v[18:19], v[112:113] neg_lo:[0,1] neg_hi:[0,1]
	s_wait_dscnt 0x0
	v_pk_mul_f32 v[112:113], v[108:109], v[100:101] op_sel:[0,1]
	s_delay_alu instid0(VALU_DEP_1) | instskip(SKIP_1) | instid1(VALU_DEP_1)
	v_pk_fma_f32 v[114:115], v[108:109], v[98:99], v[112:113] op_sel:[0,0,1] op_sel_hi:[1,1,0] neg_lo:[0,0,1] neg_hi:[0,0,1]
	v_pk_fma_f32 v[108:109], v[108:109], v[98:99], v[112:113] op_sel:[0,0,1] op_sel_hi:[1,0,0]
	v_mov_b32_e32 v115, v109
	v_pk_mul_f32 v[108:109], v[110:111], v[100:101] op_sel:[0,1]
	s_delay_alu instid0(VALU_DEP_1) | instskip(SKIP_1) | instid1(VALU_DEP_1)
	v_pk_fma_f32 v[112:113], v[110:111], v[98:99], v[108:109] op_sel:[0,0,1] op_sel_hi:[1,1,0] neg_lo:[0,0,1] neg_hi:[0,0,1]
	v_pk_fma_f32 v[108:109], v[110:111], v[98:99], v[108:109] op_sel:[0,0,1] op_sel_hi:[1,0,0]
	v_mov_b32_e32 v113, v109
	ds_load_2addr_b64 v[108:111], v102 offset0:36 offset1:37
	v_pk_add_f32 v[24:25], v[24:25], v[114:115] neg_lo:[0,1] neg_hi:[0,1]
	v_pk_add_f32 v[16:17], v[16:17], v[112:113] neg_lo:[0,1] neg_hi:[0,1]
	s_wait_dscnt 0x0
	v_dual_mul_f32 v112, v109, v101 :: v_dual_mul_f32 v114, v109, v98
	s_delay_alu instid0(VALU_DEP_1) | instskip(NEXT) | instid1(VALU_DEP_2)
	v_pk_fma_f32 v[112:113], v[108:109], v[58:59], v[112:113] op_sel_hi:[1,1,0] neg_lo:[0,0,1] neg_hi:[0,0,1]
	v_pk_fma_f32 v[108:109], v[108:109], v[58:59], v[114:115] op_sel:[1,0,0] op_sel_hi:[0,1,0]
	s_delay_alu instid0(VALU_DEP_1) | instskip(SKIP_1) | instid1(VALU_DEP_2)
	v_mov_b32_e32 v113, v109
	v_pk_mul_f32 v[108:109], v[110:111], v[100:101] op_sel:[0,1]
	v_pk_add_f32 v[70:71], v[70:71], v[112:113] neg_lo:[0,1] neg_hi:[0,1]
	s_delay_alu instid0(VALU_DEP_2) | instskip(SKIP_1) | instid1(VALU_DEP_1)
	v_pk_fma_f32 v[112:113], v[110:111], v[98:99], v[108:109] op_sel:[0,0,1] op_sel_hi:[1,1,0] neg_lo:[0,0,1] neg_hi:[0,0,1]
	v_pk_fma_f32 v[108:109], v[110:111], v[98:99], v[108:109] op_sel:[0,0,1] op_sel_hi:[1,0,0]
	v_mov_b32_e32 v113, v109
	ds_load_2addr_b64 v[108:111], v102 offset0:38 offset1:39
	v_pk_add_f32 v[10:11], v[10:11], v[112:113] neg_lo:[0,1] neg_hi:[0,1]
	s_wait_dscnt 0x0
	v_pk_mul_f32 v[112:113], v[108:109], v[100:101] op_sel:[0,1]
	s_delay_alu instid0(VALU_DEP_1) | instskip(SKIP_1) | instid1(VALU_DEP_1)
	v_pk_fma_f32 v[114:115], v[108:109], v[98:99], v[112:113] op_sel:[0,0,1] op_sel_hi:[1,1,0] neg_lo:[0,0,1] neg_hi:[0,0,1]
	v_pk_fma_f32 v[108:109], v[108:109], v[98:99], v[112:113] op_sel:[0,0,1] op_sel_hi:[1,0,0]
	v_mov_b32_e32 v115, v109
	v_pk_mul_f32 v[108:109], v[110:111], v[100:101] op_sel:[0,1]
	s_delay_alu instid0(VALU_DEP_2) | instskip(NEXT) | instid1(VALU_DEP_2)
	v_pk_add_f32 v[12:13], v[12:13], v[114:115] neg_lo:[0,1] neg_hi:[0,1]
	v_pk_fma_f32 v[112:113], v[110:111], v[98:99], v[108:109] op_sel:[0,0,1] op_sel_hi:[1,1,0] neg_lo:[0,0,1] neg_hi:[0,0,1]
	v_pk_fma_f32 v[108:109], v[110:111], v[98:99], v[108:109] op_sel:[0,0,1] op_sel_hi:[1,0,0]
	s_delay_alu instid0(VALU_DEP_1) | instskip(SKIP_4) | instid1(VALU_DEP_1)
	v_mov_b32_e32 v113, v109
	ds_load_2addr_b64 v[108:111], v102 offset0:40 offset1:41
	v_pk_add_f32 v[8:9], v[8:9], v[112:113] neg_lo:[0,1] neg_hi:[0,1]
	s_wait_dscnt 0x0
	v_pk_mul_f32 v[112:113], v[108:109], v[100:101] op_sel:[0,1]
	v_pk_fma_f32 v[114:115], v[108:109], v[98:99], v[112:113] op_sel:[0,0,1] op_sel_hi:[1,1,0] neg_lo:[0,0,1] neg_hi:[0,0,1]
	v_pk_fma_f32 v[108:109], v[108:109], v[98:99], v[112:113] op_sel:[0,0,1] op_sel_hi:[1,0,0]
	v_dual_mul_f32 v112, v111, v101 :: v_dual_mov_b32 v108, v111
	s_delay_alu instid0(VALU_DEP_2) | instskip(NEXT) | instid1(VALU_DEP_2)
	v_dual_mov_b32 v115, v109 :: v_dual_mov_b32 v109, v110
	v_pk_fma_f32 v[112:113], v[110:111], v[58:59], v[112:113] op_sel_hi:[1,1,0] neg_lo:[0,0,1] neg_hi:[0,0,1]
	v_mul_f32_e32 v110, v111, v98
	s_delay_alu instid0(VALU_DEP_3) | instskip(NEXT) | instid1(VALU_DEP_2)
	v_pk_add_f32 v[68:69], v[68:69], v[114:115] neg_lo:[0,1] neg_hi:[0,1]
	v_pk_fma_f32 v[108:109], v[108:109], v[58:59], v[110:111] op_sel_hi:[1,1,0]
	s_delay_alu instid0(VALU_DEP_1) | instskip(SKIP_4) | instid1(VALU_DEP_1)
	v_mov_b32_e32 v113, v109
	ds_load_2addr_b64 v[108:111], v102 offset0:42 offset1:43
	v_pk_add_f32 v[6:7], v[6:7], v[112:113] neg_lo:[0,1] neg_hi:[0,1]
	s_wait_dscnt 0x0
	v_pk_mul_f32 v[112:113], v[108:109], v[100:101] op_sel:[0,1]
	v_pk_fma_f32 v[114:115], v[108:109], v[98:99], v[112:113] op_sel:[0,0,1] op_sel_hi:[1,1,0] neg_lo:[0,0,1] neg_hi:[0,0,1]
	v_pk_fma_f32 v[108:109], v[108:109], v[98:99], v[112:113] op_sel:[0,0,1] op_sel_hi:[1,0,0]
	s_delay_alu instid0(VALU_DEP_1) | instskip(SKIP_1) | instid1(VALU_DEP_1)
	v_mov_b32_e32 v115, v109
	v_pk_mul_f32 v[108:109], v[110:111], v[100:101] op_sel:[0,1]
	v_pk_fma_f32 v[112:113], v[110:111], v[98:99], v[108:109] op_sel:[0,0,1] op_sel_hi:[1,1,0] neg_lo:[0,0,1] neg_hi:[0,0,1]
	v_pk_fma_f32 v[108:109], v[110:111], v[98:99], v[108:109] op_sel:[0,0,1] op_sel_hi:[1,0,0]
	s_delay_alu instid0(VALU_DEP_1)
	v_mov_b32_e32 v113, v109
	ds_load_2addr_b64 v[108:111], v102 offset0:44 offset1:45
	v_pk_add_f32 v[54:55], v[54:55], v[114:115] neg_lo:[0,1] neg_hi:[0,1]
	v_pk_add_f32 v[40:41], v[40:41], v[112:113] neg_lo:[0,1] neg_hi:[0,1]
	s_wait_dscnt 0x0
	v_pk_mul_f32 v[112:113], v[108:109], v[100:101] op_sel:[0,1]
	v_pk_mul_f32 v[100:101], v[110:111], v[100:101] op_sel:[0,1]
	s_delay_alu instid0(VALU_DEP_2) | instskip(SKIP_1) | instid1(VALU_DEP_1)
	v_pk_fma_f32 v[114:115], v[108:109], v[98:99], v[112:113] op_sel:[0,0,1] op_sel_hi:[1,1,0] neg_lo:[0,0,1] neg_hi:[0,0,1]
	v_pk_fma_f32 v[108:109], v[108:109], v[98:99], v[112:113] op_sel:[0,0,1] op_sel_hi:[1,0,0]
	v_mov_b32_e32 v115, v109
	s_delay_alu instid0(VALU_DEP_4) | instskip(SKIP_1) | instid1(VALU_DEP_1)
	v_pk_fma_f32 v[108:109], v[110:111], v[98:99], v[100:101] op_sel:[0,0,1] op_sel_hi:[1,1,0] neg_lo:[0,0,1] neg_hi:[0,0,1]
	v_pk_fma_f32 v[98:99], v[110:111], v[98:99], v[100:101] op_sel:[0,0,1] op_sel_hi:[1,0,0]
	v_mov_b32_e32 v109, v99
	s_delay_alu instid0(VALU_DEP_4) | instskip(NEXT) | instid1(VALU_DEP_2)
	v_pk_add_f32 v[14:15], v[14:15], v[114:115] neg_lo:[0,1] neg_hi:[0,1]
	v_pk_add_f32 v[96:97], v[96:97], v[108:109] neg_lo:[0,1] neg_hi:[0,1]
.LBB90_377:
	s_or_b32 exec_lo, exec_lo, s0
	v_lshl_add_u32 v98, v106, 3, v102
	s_barrier_signal -1
	s_barrier_wait -1
	ds_store_b64 v98, v[60:61]
	s_wait_dscnt 0x0
	s_barrier_signal -1
	s_barrier_wait -1
	ds_load_b64 v[100:101], v102 offset:144
	v_mov_b32_e32 v98, 18
	s_cmp_lt_i32 s18, 20
	s_cbranch_scc1 .LBB90_380
; %bb.378:
	v_add3_u32 v99, v103, 0, 0x98
	v_mov_b32_e32 v98, 18
	s_mov_b32 s0, 19
.LBB90_379:                             ; =>This Inner Loop Header: Depth=1
	ds_load_b64 v[108:109], v99
	s_wait_dscnt 0x1
	v_cmp_gt_f32_e32 vcc_lo, 0, v100
	v_cndmask_b32_e64 v110, v100, -v100, vcc_lo
	v_cmp_gt_f32_e32 vcc_lo, 0, v101
	v_cndmask_b32_e64 v112, v101, -v101, vcc_lo
	s_wait_dscnt 0x0
	v_cmp_gt_f32_e32 vcc_lo, 0, v108
	v_cndmask_b32_e64 v111, v108, -v108, vcc_lo
	v_cmp_gt_f32_e32 vcc_lo, 0, v109
	v_cndmask_b32_e64 v113, v109, -v109, vcc_lo
	s_delay_alu instid0(VALU_DEP_1) | instskip(NEXT) | instid1(VALU_DEP_1)
	v_pk_add_f32 v[110:111], v[110:111], v[112:113]
	v_cmp_lt_f32_e32 vcc_lo, v110, v111
	v_dual_add_nc_u32 v99, 8, v99 :: v_dual_cndmask_b32 v101, v101, v109, vcc_lo
	v_cndmask_b32_e32 v100, v100, v108, vcc_lo
	v_cndmask_b32_e64 v98, v98, s0, vcc_lo
	s_add_co_i32 s0, s0, 1
	s_delay_alu instid0(SALU_CYCLE_1)
	s_cmp_lg_u32 s18, s0
	s_cbranch_scc1 .LBB90_379
.LBB90_380:
	s_wait_dscnt 0x0
	v_cmp_eq_f32_e32 vcc_lo, 0, v100
	v_cmp_eq_f32_e64 s0, 0, v101
	s_and_b32 s0, vcc_lo, s0
	s_delay_alu instid0(SALU_CYCLE_1) | instskip(NEXT) | instid1(SALU_CYCLE_1)
	s_and_saveexec_b32 s1, s0
	s_xor_b32 s0, exec_lo, s1
; %bb.381:
	v_cmp_ne_u32_e32 vcc_lo, 0, v104
	v_cndmask_b32_e32 v104, 19, v104, vcc_lo
; %bb.382:
	s_and_not1_saveexec_b32 s0, s0
	s_cbranch_execz .LBB90_388
; %bb.383:
	v_cmp_ngt_f32_e64 s1, |v100|, |v101|
	s_and_saveexec_b32 s12, s1
	s_delay_alu instid0(SALU_CYCLE_1)
	s_xor_b32 s1, exec_lo, s12
	s_cbranch_execz .LBB90_385
; %bb.384:
	v_div_scale_f32 v99, null, v101, v101, v100
	v_div_scale_f32 v109, vcc_lo, v100, v101, v100
	s_delay_alu instid0(VALU_DEP_2) | instskip(SKIP_1) | instid1(TRANS32_DEP_1)
	v_rcp_f32_e32 v107, v99
	v_nop
	v_fma_f32 v108, -v99, v107, 1.0
	s_delay_alu instid0(VALU_DEP_1) | instskip(NEXT) | instid1(VALU_DEP_1)
	v_fmac_f32_e32 v107, v108, v107
	v_mul_f32_e32 v108, v109, v107
	s_delay_alu instid0(VALU_DEP_1) | instskip(NEXT) | instid1(VALU_DEP_1)
	v_fma_f32 v110, -v99, v108, v109
	v_fmac_f32_e32 v108, v110, v107
	s_delay_alu instid0(VALU_DEP_1) | instskip(NEXT) | instid1(VALU_DEP_1)
	v_fma_f32 v99, -v99, v108, v109
	v_div_fmas_f32 v99, v99, v107, v108
	s_delay_alu instid0(VALU_DEP_1) | instskip(NEXT) | instid1(VALU_DEP_1)
	v_div_fixup_f32 v99, v99, v101, v100
	v_fmac_f32_e32 v101, v100, v99
	s_delay_alu instid0(VALU_DEP_1) | instskip(SKIP_1) | instid1(VALU_DEP_2)
	v_div_scale_f32 v100, null, v101, v101, 1.0
	v_div_scale_f32 v109, vcc_lo, 1.0, v101, 1.0
	v_rcp_f32_e32 v107, v100
	v_nop
	s_delay_alu instid0(TRANS32_DEP_1) | instskip(NEXT) | instid1(VALU_DEP_1)
	v_fma_f32 v108, -v100, v107, 1.0
	v_fmac_f32_e32 v107, v108, v107
	s_delay_alu instid0(VALU_DEP_1) | instskip(NEXT) | instid1(VALU_DEP_1)
	v_mul_f32_e32 v108, v109, v107
	v_fma_f32 v110, -v100, v108, v109
	s_delay_alu instid0(VALU_DEP_1) | instskip(NEXT) | instid1(VALU_DEP_1)
	v_fmac_f32_e32 v108, v110, v107
	v_fma_f32 v100, -v100, v108, v109
	s_delay_alu instid0(VALU_DEP_1) | instskip(NEXT) | instid1(VALU_DEP_1)
	v_div_fmas_f32 v100, v100, v107, v108
	v_div_fixup_f32 v101, v100, v101, 1.0
	s_delay_alu instid0(VALU_DEP_1)
	v_mul_f32_e32 v100, v99, v101
	v_xor_b32_e32 v101, 0x80000000, v101
.LBB90_385:
	s_and_not1_saveexec_b32 s1, s1
	s_cbranch_execz .LBB90_387
; %bb.386:
	s_delay_alu instid0(VALU_DEP_1) | instskip(SKIP_1) | instid1(VALU_DEP_2)
	v_div_scale_f32 v99, null, v100, v100, v101
	v_div_scale_f32 v109, vcc_lo, v101, v100, v101
	v_rcp_f32_e32 v107, v99
	v_nop
	s_delay_alu instid0(TRANS32_DEP_1) | instskip(NEXT) | instid1(VALU_DEP_1)
	v_fma_f32 v108, -v99, v107, 1.0
	v_fmac_f32_e32 v107, v108, v107
	s_delay_alu instid0(VALU_DEP_1) | instskip(NEXT) | instid1(VALU_DEP_1)
	v_mul_f32_e32 v108, v109, v107
	v_fma_f32 v110, -v99, v108, v109
	s_delay_alu instid0(VALU_DEP_1) | instskip(NEXT) | instid1(VALU_DEP_1)
	v_fmac_f32_e32 v108, v110, v107
	v_fma_f32 v99, -v99, v108, v109
	s_delay_alu instid0(VALU_DEP_1) | instskip(NEXT) | instid1(VALU_DEP_1)
	v_div_fmas_f32 v99, v99, v107, v108
	v_div_fixup_f32 v99, v99, v100, v101
	s_delay_alu instid0(VALU_DEP_1) | instskip(NEXT) | instid1(VALU_DEP_1)
	v_fmac_f32_e32 v100, v101, v99
	v_div_scale_f32 v101, null, v100, v100, 1.0
	s_delay_alu instid0(VALU_DEP_1) | instskip(SKIP_1) | instid1(TRANS32_DEP_1)
	v_rcp_f32_e32 v107, v101
	v_nop
	v_fma_f32 v108, -v101, v107, 1.0
	s_delay_alu instid0(VALU_DEP_1) | instskip(SKIP_1) | instid1(VALU_DEP_1)
	v_fmac_f32_e32 v107, v108, v107
	v_div_scale_f32 v108, vcc_lo, 1.0, v100, 1.0
	v_mul_f32_e32 v109, v108, v107
	s_delay_alu instid0(VALU_DEP_1) | instskip(NEXT) | instid1(VALU_DEP_1)
	v_fma_f32 v110, -v101, v109, v108
	v_fmac_f32_e32 v109, v110, v107
	s_delay_alu instid0(VALU_DEP_1) | instskip(NEXT) | instid1(VALU_DEP_1)
	v_fma_f32 v101, -v101, v109, v108
	v_div_fmas_f32 v101, v101, v107, v109
	s_delay_alu instid0(VALU_DEP_1) | instskip(NEXT) | instid1(VALU_DEP_1)
	v_div_fixup_f32 v100, v101, v100, 1.0
	v_mul_f32_e64 v101, v99, -v100
.LBB90_387:
	s_or_b32 exec_lo, exec_lo, s1
.LBB90_388:
	s_delay_alu instid0(SALU_CYCLE_1) | instskip(NEXT) | instid1(SALU_CYCLE_1)
	s_or_b32 exec_lo, exec_lo, s0
	s_mov_b32 s0, exec_lo
	v_cmpx_ne_u32_e64 v106, v98
	s_xor_b32 s0, exec_lo, s0
	s_cbranch_execz .LBB90_394
; %bb.389:
	s_mov_b32 s1, exec_lo
	v_cmpx_eq_u32_e32 18, v106
	s_cbranch_execz .LBB90_393
; %bb.390:
	v_cmp_ne_u32_e32 vcc_lo, 18, v98
	s_xor_b32 s12, s16, -1
	s_delay_alu instid0(SALU_CYCLE_1) | instskip(NEXT) | instid1(SALU_CYCLE_1)
	s_and_b32 s13, s12, vcc_lo
	s_and_saveexec_b32 s12, s13
	s_cbranch_execz .LBB90_392
; %bb.391:
	v_ashrrev_i32_e32 v99, 31, v98
	s_delay_alu instid0(VALU_DEP_1)
	v_lshl_add_u64 v[106:107], v[98:99], 2, v[4:5]
	s_clause 0x1
	global_load_b32 v99, v[106:107], off
	global_load_b32 v105, v[4:5], off offset:72
	s_wait_loadcnt 0x1
	global_store_b32 v[4:5], v99, off offset:72
	s_wait_loadcnt 0x0
	global_store_b32 v[106:107], v105, off
.LBB90_392:
	s_wait_xcnt 0x0
	s_or_b32 exec_lo, exec_lo, s12
	v_dual_mov_b32 v106, v98 :: v_dual_mov_b32 v105, v98
.LBB90_393:
	s_or_b32 exec_lo, exec_lo, s1
.LBB90_394:
	s_and_not1_saveexec_b32 s0, s0
	s_cbranch_execz .LBB90_396
; %bb.395:
	v_mov_b32_e32 v106, 18
	ds_store_2addr_b64 v102, v[56:57], v[82:83] offset0:19 offset1:20
	ds_store_2addr_b64 v102, v[50:51], v[52:53] offset0:21 offset1:22
	ds_store_2addr_b64 v102, v[48:49], v[80:81] offset0:23 offset1:24
	ds_store_2addr_b64 v102, v[44:45], v[46:47] offset0:25 offset1:26
	ds_store_2addr_b64 v102, v[42:43], v[76:77] offset0:27 offset1:28
	ds_store_2addr_b64 v102, v[30:31], v[36:37] offset0:29 offset1:30
	ds_store_2addr_b64 v102, v[28:29], v[72:73] offset0:31 offset1:32
	ds_store_2addr_b64 v102, v[18:19], v[24:25] offset0:33 offset1:34
	ds_store_2addr_b64 v102, v[16:17], v[70:71] offset0:35 offset1:36
	ds_store_2addr_b64 v102, v[10:11], v[12:13] offset0:37 offset1:38
	ds_store_2addr_b64 v102, v[8:9], v[68:69] offset0:39 offset1:40
	ds_store_2addr_b64 v102, v[6:7], v[54:55] offset0:41 offset1:42
	ds_store_2addr_b64 v102, v[40:41], v[14:15] offset0:43 offset1:44
	ds_store_b64 v102, v[96:97] offset:360
.LBB90_396:
	s_or_b32 exec_lo, exec_lo, s0
	s_delay_alu instid0(SALU_CYCLE_1)
	s_mov_b32 s0, exec_lo
	s_wait_storecnt_dscnt 0x0
	s_barrier_signal -1
	s_barrier_wait -1
	v_cmpx_lt_i32_e32 18, v106
	s_cbranch_execz .LBB90_398
; %bb.397:
	v_pk_mul_f32 v[108:109], v[100:101], v[60:61] op_sel:[1,1] op_sel_hi:[0,1]
	s_delay_alu instid0(VALU_DEP_1)
	v_pk_fma_f32 v[98:99], v[100:101], v[60:61], v[108:109] op_sel_hi:[1,0,1] neg_lo:[0,0,1] neg_hi:[0,0,1]
	v_pk_fma_f32 v[100:101], v[100:101], v[60:61], v[108:109] op_sel_hi:[1,0,1]
	ds_load_2addr_b64 v[108:111], v102 offset0:19 offset1:20
	v_dual_mov_b32 v60, v98 :: v_dual_mov_b32 v61, v101
	s_wait_dscnt 0x0
	v_pk_mul_f32 v[112:113], v[108:109], v[100:101] op_sel:[0,1]
	s_delay_alu instid0(VALU_DEP_1) | instskip(SKIP_1) | instid1(VALU_DEP_1)
	v_pk_fma_f32 v[114:115], v[108:109], v[98:99], v[112:113] op_sel:[0,0,1] op_sel_hi:[1,1,0] neg_lo:[0,0,1] neg_hi:[0,0,1]
	v_pk_fma_f32 v[108:109], v[108:109], v[98:99], v[112:113] op_sel:[0,0,1] op_sel_hi:[1,0,0]
	v_mov_b32_e32 v115, v109
	v_pk_mul_f32 v[108:109], v[110:111], v[100:101] op_sel:[0,1]
	s_delay_alu instid0(VALU_DEP_1) | instskip(SKIP_1) | instid1(VALU_DEP_1)
	v_pk_fma_f32 v[112:113], v[110:111], v[98:99], v[108:109] op_sel:[0,0,1] op_sel_hi:[1,1,0] neg_lo:[0,0,1] neg_hi:[0,0,1]
	v_pk_fma_f32 v[108:109], v[110:111], v[98:99], v[108:109] op_sel:[0,0,1] op_sel_hi:[1,0,0]
	v_mov_b32_e32 v113, v109
	ds_load_2addr_b64 v[108:111], v102 offset0:21 offset1:22
	v_pk_add_f32 v[56:57], v[56:57], v[114:115] neg_lo:[0,1] neg_hi:[0,1]
	v_pk_add_f32 v[82:83], v[82:83], v[112:113] neg_lo:[0,1] neg_hi:[0,1]
	s_wait_dscnt 0x0
	v_pk_mul_f32 v[112:113], v[108:109], v[100:101] op_sel:[0,1]
	s_delay_alu instid0(VALU_DEP_1) | instskip(SKIP_2) | instid1(VALU_DEP_2)
	v_pk_fma_f32 v[114:115], v[108:109], v[98:99], v[112:113] op_sel:[0,0,1] op_sel_hi:[1,1,0] neg_lo:[0,0,1] neg_hi:[0,0,1]
	v_pk_fma_f32 v[108:109], v[108:109], v[98:99], v[112:113] op_sel:[0,0,1] op_sel_hi:[1,0,0]
	v_dual_mul_f32 v112, v111, v101 :: v_dual_mov_b32 v108, v111
	v_dual_mov_b32 v115, v109 :: v_dual_mov_b32 v109, v110
	s_delay_alu instid0(VALU_DEP_2) | instskip(SKIP_1) | instid1(VALU_DEP_3)
	v_pk_fma_f32 v[112:113], v[110:111], v[60:61], v[112:113] op_sel_hi:[1,1,0] neg_lo:[0,0,1] neg_hi:[0,0,1]
	v_mul_f32_e32 v110, v111, v98
	v_pk_add_f32 v[50:51], v[50:51], v[114:115] neg_lo:[0,1] neg_hi:[0,1]
	s_delay_alu instid0(VALU_DEP_2) | instskip(NEXT) | instid1(VALU_DEP_1)
	v_pk_fma_f32 v[108:109], v[108:109], v[60:61], v[110:111] op_sel_hi:[1,1,0]
	v_mov_b32_e32 v113, v109
	ds_load_2addr_b64 v[108:111], v102 offset0:23 offset1:24
	v_pk_add_f32 v[52:53], v[52:53], v[112:113] neg_lo:[0,1] neg_hi:[0,1]
	s_wait_dscnt 0x0
	v_pk_mul_f32 v[112:113], v[108:109], v[100:101] op_sel:[0,1]
	s_delay_alu instid0(VALU_DEP_1) | instskip(SKIP_1) | instid1(VALU_DEP_1)
	v_pk_fma_f32 v[114:115], v[108:109], v[98:99], v[112:113] op_sel:[0,0,1] op_sel_hi:[1,1,0] neg_lo:[0,0,1] neg_hi:[0,0,1]
	v_pk_fma_f32 v[108:109], v[108:109], v[98:99], v[112:113] op_sel:[0,0,1] op_sel_hi:[1,0,0]
	v_mov_b32_e32 v115, v109
	v_pk_mul_f32 v[108:109], v[110:111], v[100:101] op_sel:[0,1]
	s_delay_alu instid0(VALU_DEP_1) | instskip(SKIP_1) | instid1(VALU_DEP_1)
	v_pk_fma_f32 v[112:113], v[110:111], v[98:99], v[108:109] op_sel:[0,0,1] op_sel_hi:[1,1,0] neg_lo:[0,0,1] neg_hi:[0,0,1]
	v_pk_fma_f32 v[108:109], v[110:111], v[98:99], v[108:109] op_sel:[0,0,1] op_sel_hi:[1,0,0]
	v_mov_b32_e32 v113, v109
	ds_load_2addr_b64 v[108:111], v102 offset0:25 offset1:26
	v_pk_add_f32 v[48:49], v[48:49], v[114:115] neg_lo:[0,1] neg_hi:[0,1]
	v_pk_add_f32 v[80:81], v[80:81], v[112:113] neg_lo:[0,1] neg_hi:[0,1]
	s_wait_dscnt 0x0
	v_pk_mul_f32 v[112:113], v[108:109], v[100:101] op_sel:[0,1]
	s_delay_alu instid0(VALU_DEP_1) | instskip(SKIP_1) | instid1(VALU_DEP_1)
	v_pk_fma_f32 v[114:115], v[108:109], v[98:99], v[112:113] op_sel:[0,0,1] op_sel_hi:[1,1,0] neg_lo:[0,0,1] neg_hi:[0,0,1]
	v_pk_fma_f32 v[108:109], v[108:109], v[98:99], v[112:113] op_sel:[0,0,1] op_sel_hi:[1,0,0]
	v_mov_b32_e32 v115, v109
	v_pk_mul_f32 v[108:109], v[110:111], v[100:101] op_sel:[0,1]
	s_delay_alu instid0(VALU_DEP_1) | instskip(SKIP_1) | instid1(VALU_DEP_1)
	v_pk_fma_f32 v[112:113], v[110:111], v[98:99], v[108:109] op_sel:[0,0,1] op_sel_hi:[1,1,0] neg_lo:[0,0,1] neg_hi:[0,0,1]
	v_pk_fma_f32 v[108:109], v[110:111], v[98:99], v[108:109] op_sel:[0,0,1] op_sel_hi:[1,0,0]
	v_mov_b32_e32 v113, v109
	ds_load_2addr_b64 v[108:111], v102 offset0:27 offset1:28
	v_pk_add_f32 v[44:45], v[44:45], v[114:115] neg_lo:[0,1] neg_hi:[0,1]
	v_pk_add_f32 v[46:47], v[46:47], v[112:113] neg_lo:[0,1] neg_hi:[0,1]
	s_wait_dscnt 0x0
	v_dual_mul_f32 v112, v109, v101 :: v_dual_mul_f32 v114, v109, v98
	s_delay_alu instid0(VALU_DEP_1) | instskip(NEXT) | instid1(VALU_DEP_2)
	v_pk_fma_f32 v[112:113], v[108:109], v[60:61], v[112:113] op_sel_hi:[1,1,0] neg_lo:[0,0,1] neg_hi:[0,0,1]
	v_pk_fma_f32 v[108:109], v[108:109], v[60:61], v[114:115] op_sel:[1,0,0] op_sel_hi:[0,1,0]
	s_delay_alu instid0(VALU_DEP_1) | instskip(SKIP_1) | instid1(VALU_DEP_2)
	v_mov_b32_e32 v113, v109
	v_pk_mul_f32 v[108:109], v[110:111], v[100:101] op_sel:[0,1]
	v_pk_add_f32 v[42:43], v[42:43], v[112:113] neg_lo:[0,1] neg_hi:[0,1]
	s_delay_alu instid0(VALU_DEP_2) | instskip(SKIP_1) | instid1(VALU_DEP_1)
	v_pk_fma_f32 v[112:113], v[110:111], v[98:99], v[108:109] op_sel:[0,0,1] op_sel_hi:[1,1,0] neg_lo:[0,0,1] neg_hi:[0,0,1]
	v_pk_fma_f32 v[108:109], v[110:111], v[98:99], v[108:109] op_sel:[0,0,1] op_sel_hi:[1,0,0]
	v_mov_b32_e32 v113, v109
	ds_load_2addr_b64 v[108:111], v102 offset0:29 offset1:30
	v_pk_add_f32 v[76:77], v[76:77], v[112:113] neg_lo:[0,1] neg_hi:[0,1]
	s_wait_dscnt 0x0
	v_pk_mul_f32 v[112:113], v[108:109], v[100:101] op_sel:[0,1]
	s_delay_alu instid0(VALU_DEP_1) | instskip(SKIP_1) | instid1(VALU_DEP_1)
	v_pk_fma_f32 v[114:115], v[108:109], v[98:99], v[112:113] op_sel:[0,0,1] op_sel_hi:[1,1,0] neg_lo:[0,0,1] neg_hi:[0,0,1]
	v_pk_fma_f32 v[108:109], v[108:109], v[98:99], v[112:113] op_sel:[0,0,1] op_sel_hi:[1,0,0]
	v_mov_b32_e32 v115, v109
	v_pk_mul_f32 v[108:109], v[110:111], v[100:101] op_sel:[0,1]
	s_delay_alu instid0(VALU_DEP_2) | instskip(NEXT) | instid1(VALU_DEP_2)
	v_pk_add_f32 v[30:31], v[30:31], v[114:115] neg_lo:[0,1] neg_hi:[0,1]
	v_pk_fma_f32 v[112:113], v[110:111], v[98:99], v[108:109] op_sel:[0,0,1] op_sel_hi:[1,1,0] neg_lo:[0,0,1] neg_hi:[0,0,1]
	v_pk_fma_f32 v[108:109], v[110:111], v[98:99], v[108:109] op_sel:[0,0,1] op_sel_hi:[1,0,0]
	s_delay_alu instid0(VALU_DEP_1) | instskip(SKIP_4) | instid1(VALU_DEP_1)
	v_mov_b32_e32 v113, v109
	ds_load_2addr_b64 v[108:111], v102 offset0:31 offset1:32
	v_pk_add_f32 v[36:37], v[36:37], v[112:113] neg_lo:[0,1] neg_hi:[0,1]
	s_wait_dscnt 0x0
	v_pk_mul_f32 v[112:113], v[108:109], v[100:101] op_sel:[0,1]
	v_pk_fma_f32 v[114:115], v[108:109], v[98:99], v[112:113] op_sel:[0,0,1] op_sel_hi:[1,1,0] neg_lo:[0,0,1] neg_hi:[0,0,1]
	v_pk_fma_f32 v[108:109], v[108:109], v[98:99], v[112:113] op_sel:[0,0,1] op_sel_hi:[1,0,0]
	v_dual_mul_f32 v112, v111, v101 :: v_dual_mov_b32 v108, v111
	s_delay_alu instid0(VALU_DEP_2) | instskip(NEXT) | instid1(VALU_DEP_2)
	v_dual_mov_b32 v115, v109 :: v_dual_mov_b32 v109, v110
	v_pk_fma_f32 v[112:113], v[110:111], v[60:61], v[112:113] op_sel_hi:[1,1,0] neg_lo:[0,0,1] neg_hi:[0,0,1]
	v_mul_f32_e32 v110, v111, v98
	s_delay_alu instid0(VALU_DEP_3) | instskip(NEXT) | instid1(VALU_DEP_2)
	v_pk_add_f32 v[28:29], v[28:29], v[114:115] neg_lo:[0,1] neg_hi:[0,1]
	v_pk_fma_f32 v[108:109], v[108:109], v[60:61], v[110:111] op_sel_hi:[1,1,0]
	s_delay_alu instid0(VALU_DEP_1) | instskip(SKIP_4) | instid1(VALU_DEP_1)
	v_mov_b32_e32 v113, v109
	ds_load_2addr_b64 v[108:111], v102 offset0:33 offset1:34
	v_pk_add_f32 v[72:73], v[72:73], v[112:113] neg_lo:[0,1] neg_hi:[0,1]
	s_wait_dscnt 0x0
	v_pk_mul_f32 v[112:113], v[108:109], v[100:101] op_sel:[0,1]
	v_pk_fma_f32 v[114:115], v[108:109], v[98:99], v[112:113] op_sel:[0,0,1] op_sel_hi:[1,1,0] neg_lo:[0,0,1] neg_hi:[0,0,1]
	v_pk_fma_f32 v[108:109], v[108:109], v[98:99], v[112:113] op_sel:[0,0,1] op_sel_hi:[1,0,0]
	s_delay_alu instid0(VALU_DEP_1) | instskip(SKIP_1) | instid1(VALU_DEP_1)
	v_mov_b32_e32 v115, v109
	v_pk_mul_f32 v[108:109], v[110:111], v[100:101] op_sel:[0,1]
	v_pk_fma_f32 v[112:113], v[110:111], v[98:99], v[108:109] op_sel:[0,0,1] op_sel_hi:[1,1,0] neg_lo:[0,0,1] neg_hi:[0,0,1]
	v_pk_fma_f32 v[108:109], v[110:111], v[98:99], v[108:109] op_sel:[0,0,1] op_sel_hi:[1,0,0]
	s_delay_alu instid0(VALU_DEP_1)
	v_mov_b32_e32 v113, v109
	ds_load_2addr_b64 v[108:111], v102 offset0:35 offset1:36
	v_pk_add_f32 v[18:19], v[18:19], v[114:115] neg_lo:[0,1] neg_hi:[0,1]
	v_pk_add_f32 v[24:25], v[24:25], v[112:113] neg_lo:[0,1] neg_hi:[0,1]
	s_wait_dscnt 0x0
	v_pk_mul_f32 v[112:113], v[108:109], v[100:101] op_sel:[0,1]
	s_delay_alu instid0(VALU_DEP_1) | instskip(SKIP_1) | instid1(VALU_DEP_1)
	v_pk_fma_f32 v[114:115], v[108:109], v[98:99], v[112:113] op_sel:[0,0,1] op_sel_hi:[1,1,0] neg_lo:[0,0,1] neg_hi:[0,0,1]
	v_pk_fma_f32 v[108:109], v[108:109], v[98:99], v[112:113] op_sel:[0,0,1] op_sel_hi:[1,0,0]
	v_mov_b32_e32 v115, v109
	v_pk_mul_f32 v[108:109], v[110:111], v[100:101] op_sel:[0,1]
	s_delay_alu instid0(VALU_DEP_1) | instskip(SKIP_1) | instid1(VALU_DEP_1)
	v_pk_fma_f32 v[112:113], v[110:111], v[98:99], v[108:109] op_sel:[0,0,1] op_sel_hi:[1,1,0] neg_lo:[0,0,1] neg_hi:[0,0,1]
	v_pk_fma_f32 v[108:109], v[110:111], v[98:99], v[108:109] op_sel:[0,0,1] op_sel_hi:[1,0,0]
	v_mov_b32_e32 v113, v109
	ds_load_2addr_b64 v[108:111], v102 offset0:37 offset1:38
	v_pk_add_f32 v[16:17], v[16:17], v[114:115] neg_lo:[0,1] neg_hi:[0,1]
	v_pk_add_f32 v[70:71], v[70:71], v[112:113] neg_lo:[0,1] neg_hi:[0,1]
	s_wait_dscnt 0x0
	v_dual_mul_f32 v112, v109, v101 :: v_dual_mul_f32 v114, v109, v98
	s_delay_alu instid0(VALU_DEP_1) | instskip(NEXT) | instid1(VALU_DEP_2)
	v_pk_fma_f32 v[112:113], v[108:109], v[60:61], v[112:113] op_sel_hi:[1,1,0] neg_lo:[0,0,1] neg_hi:[0,0,1]
	v_pk_fma_f32 v[108:109], v[108:109], v[60:61], v[114:115] op_sel:[1,0,0] op_sel_hi:[0,1,0]
	s_delay_alu instid0(VALU_DEP_1) | instskip(SKIP_1) | instid1(VALU_DEP_2)
	v_mov_b32_e32 v113, v109
	v_pk_mul_f32 v[108:109], v[110:111], v[100:101] op_sel:[0,1]
	v_pk_add_f32 v[10:11], v[10:11], v[112:113] neg_lo:[0,1] neg_hi:[0,1]
	s_delay_alu instid0(VALU_DEP_2) | instskip(SKIP_1) | instid1(VALU_DEP_1)
	v_pk_fma_f32 v[112:113], v[110:111], v[98:99], v[108:109] op_sel:[0,0,1] op_sel_hi:[1,1,0] neg_lo:[0,0,1] neg_hi:[0,0,1]
	v_pk_fma_f32 v[108:109], v[110:111], v[98:99], v[108:109] op_sel:[0,0,1] op_sel_hi:[1,0,0]
	v_mov_b32_e32 v113, v109
	ds_load_2addr_b64 v[108:111], v102 offset0:39 offset1:40
	v_pk_add_f32 v[12:13], v[12:13], v[112:113] neg_lo:[0,1] neg_hi:[0,1]
	s_wait_dscnt 0x0
	v_pk_mul_f32 v[112:113], v[108:109], v[100:101] op_sel:[0,1]
	s_delay_alu instid0(VALU_DEP_1) | instskip(SKIP_1) | instid1(VALU_DEP_1)
	v_pk_fma_f32 v[114:115], v[108:109], v[98:99], v[112:113] op_sel:[0,0,1] op_sel_hi:[1,1,0] neg_lo:[0,0,1] neg_hi:[0,0,1]
	v_pk_fma_f32 v[108:109], v[108:109], v[98:99], v[112:113] op_sel:[0,0,1] op_sel_hi:[1,0,0]
	v_mov_b32_e32 v115, v109
	v_pk_mul_f32 v[108:109], v[110:111], v[100:101] op_sel:[0,1]
	s_delay_alu instid0(VALU_DEP_2) | instskip(NEXT) | instid1(VALU_DEP_2)
	v_pk_add_f32 v[8:9], v[8:9], v[114:115] neg_lo:[0,1] neg_hi:[0,1]
	v_pk_fma_f32 v[112:113], v[110:111], v[98:99], v[108:109] op_sel:[0,0,1] op_sel_hi:[1,1,0] neg_lo:[0,0,1] neg_hi:[0,0,1]
	v_pk_fma_f32 v[108:109], v[110:111], v[98:99], v[108:109] op_sel:[0,0,1] op_sel_hi:[1,0,0]
	s_delay_alu instid0(VALU_DEP_1) | instskip(SKIP_4) | instid1(VALU_DEP_1)
	v_mov_b32_e32 v113, v109
	ds_load_2addr_b64 v[108:111], v102 offset0:41 offset1:42
	v_pk_add_f32 v[68:69], v[68:69], v[112:113] neg_lo:[0,1] neg_hi:[0,1]
	s_wait_dscnt 0x0
	v_pk_mul_f32 v[112:113], v[108:109], v[100:101] op_sel:[0,1]
	v_pk_fma_f32 v[114:115], v[108:109], v[98:99], v[112:113] op_sel:[0,0,1] op_sel_hi:[1,1,0] neg_lo:[0,0,1] neg_hi:[0,0,1]
	v_pk_fma_f32 v[108:109], v[108:109], v[98:99], v[112:113] op_sel:[0,0,1] op_sel_hi:[1,0,0]
	v_dual_mul_f32 v112, v111, v101 :: v_dual_mov_b32 v108, v111
	s_delay_alu instid0(VALU_DEP_2) | instskip(NEXT) | instid1(VALU_DEP_2)
	v_dual_mov_b32 v115, v109 :: v_dual_mov_b32 v109, v110
	v_pk_fma_f32 v[112:113], v[110:111], v[60:61], v[112:113] op_sel_hi:[1,1,0] neg_lo:[0,0,1] neg_hi:[0,0,1]
	v_mul_f32_e32 v110, v111, v98
	s_delay_alu instid0(VALU_DEP_3) | instskip(NEXT) | instid1(VALU_DEP_2)
	v_pk_add_f32 v[6:7], v[6:7], v[114:115] neg_lo:[0,1] neg_hi:[0,1]
	v_pk_fma_f32 v[108:109], v[108:109], v[60:61], v[110:111] op_sel_hi:[1,1,0]
	s_delay_alu instid0(VALU_DEP_1) | instskip(SKIP_4) | instid1(VALU_DEP_1)
	v_mov_b32_e32 v113, v109
	ds_load_2addr_b64 v[108:111], v102 offset0:43 offset1:44
	v_pk_add_f32 v[54:55], v[54:55], v[112:113] neg_lo:[0,1] neg_hi:[0,1]
	s_wait_dscnt 0x0
	v_pk_mul_f32 v[112:113], v[108:109], v[100:101] op_sel:[0,1]
	v_pk_fma_f32 v[114:115], v[108:109], v[98:99], v[112:113] op_sel:[0,0,1] op_sel_hi:[1,1,0] neg_lo:[0,0,1] neg_hi:[0,0,1]
	v_pk_fma_f32 v[108:109], v[108:109], v[98:99], v[112:113] op_sel:[0,0,1] op_sel_hi:[1,0,0]
	s_delay_alu instid0(VALU_DEP_1) | instskip(SKIP_1) | instid1(VALU_DEP_1)
	v_mov_b32_e32 v115, v109
	v_pk_mul_f32 v[108:109], v[110:111], v[100:101] op_sel:[0,1]
	v_pk_fma_f32 v[112:113], v[110:111], v[98:99], v[108:109] op_sel:[0,0,1] op_sel_hi:[1,1,0] neg_lo:[0,0,1] neg_hi:[0,0,1]
	v_pk_fma_f32 v[108:109], v[110:111], v[98:99], v[108:109] op_sel:[0,0,1] op_sel_hi:[1,0,0]
	s_delay_alu instid0(VALU_DEP_1)
	v_mov_b32_e32 v113, v109
	ds_load_b64 v[108:109], v102 offset:360
	v_pk_add_f32 v[40:41], v[40:41], v[114:115] neg_lo:[0,1] neg_hi:[0,1]
	v_pk_add_f32 v[14:15], v[14:15], v[112:113] neg_lo:[0,1] neg_hi:[0,1]
	s_wait_dscnt 0x0
	v_pk_mul_f32 v[100:101], v[108:109], v[100:101] op_sel:[0,1]
	s_delay_alu instid0(VALU_DEP_1) | instskip(SKIP_1) | instid1(VALU_DEP_1)
	v_pk_fma_f32 v[110:111], v[108:109], v[98:99], v[100:101] op_sel:[0,0,1] op_sel_hi:[1,1,0] neg_lo:[0,0,1] neg_hi:[0,0,1]
	v_pk_fma_f32 v[98:99], v[108:109], v[98:99], v[100:101] op_sel:[0,0,1] op_sel_hi:[1,0,0]
	v_mov_b32_e32 v111, v99
	s_delay_alu instid0(VALU_DEP_1)
	v_pk_add_f32 v[96:97], v[96:97], v[110:111] neg_lo:[0,1] neg_hi:[0,1]
.LBB90_398:
	s_or_b32 exec_lo, exec_lo, s0
	v_lshl_add_u32 v98, v106, 3, v102
	s_barrier_signal -1
	s_barrier_wait -1
	ds_store_b64 v98, v[56:57]
	s_wait_dscnt 0x0
	s_barrier_signal -1
	s_barrier_wait -1
	ds_load_b64 v[100:101], v102 offset:152
	v_mov_b32_e32 v98, 19
	s_cmp_lt_i32 s18, 21
	s_cbranch_scc1 .LBB90_401
; %bb.399:
	v_add3_u32 v99, v103, 0, 0xa0
	v_mov_b32_e32 v98, 19
	s_mov_b32 s0, 20
.LBB90_400:                             ; =>This Inner Loop Header: Depth=1
	ds_load_b64 v[108:109], v99
	s_wait_dscnt 0x1
	v_cmp_gt_f32_e32 vcc_lo, 0, v100
	v_cndmask_b32_e64 v110, v100, -v100, vcc_lo
	v_cmp_gt_f32_e32 vcc_lo, 0, v101
	v_cndmask_b32_e64 v112, v101, -v101, vcc_lo
	s_wait_dscnt 0x0
	v_cmp_gt_f32_e32 vcc_lo, 0, v108
	v_cndmask_b32_e64 v111, v108, -v108, vcc_lo
	v_cmp_gt_f32_e32 vcc_lo, 0, v109
	v_cndmask_b32_e64 v113, v109, -v109, vcc_lo
	s_delay_alu instid0(VALU_DEP_1) | instskip(NEXT) | instid1(VALU_DEP_1)
	v_pk_add_f32 v[110:111], v[110:111], v[112:113]
	v_cmp_lt_f32_e32 vcc_lo, v110, v111
	v_dual_add_nc_u32 v99, 8, v99 :: v_dual_cndmask_b32 v101, v101, v109, vcc_lo
	v_cndmask_b32_e32 v100, v100, v108, vcc_lo
	v_cndmask_b32_e64 v98, v98, s0, vcc_lo
	s_add_co_i32 s0, s0, 1
	s_delay_alu instid0(SALU_CYCLE_1)
	s_cmp_lg_u32 s18, s0
	s_cbranch_scc1 .LBB90_400
.LBB90_401:
	s_wait_dscnt 0x0
	v_cmp_eq_f32_e32 vcc_lo, 0, v100
	v_cmp_eq_f32_e64 s0, 0, v101
	s_and_b32 s0, vcc_lo, s0
	s_delay_alu instid0(SALU_CYCLE_1) | instskip(NEXT) | instid1(SALU_CYCLE_1)
	s_and_saveexec_b32 s1, s0
	s_xor_b32 s0, exec_lo, s1
; %bb.402:
	v_cmp_ne_u32_e32 vcc_lo, 0, v104
	v_cndmask_b32_e32 v104, 20, v104, vcc_lo
; %bb.403:
	s_and_not1_saveexec_b32 s0, s0
	s_cbranch_execz .LBB90_409
; %bb.404:
	v_cmp_ngt_f32_e64 s1, |v100|, |v101|
	s_and_saveexec_b32 s12, s1
	s_delay_alu instid0(SALU_CYCLE_1)
	s_xor_b32 s1, exec_lo, s12
	s_cbranch_execz .LBB90_406
; %bb.405:
	v_div_scale_f32 v99, null, v101, v101, v100
	v_div_scale_f32 v109, vcc_lo, v100, v101, v100
	s_delay_alu instid0(VALU_DEP_2) | instskip(SKIP_1) | instid1(TRANS32_DEP_1)
	v_rcp_f32_e32 v107, v99
	v_nop
	v_fma_f32 v108, -v99, v107, 1.0
	s_delay_alu instid0(VALU_DEP_1) | instskip(NEXT) | instid1(VALU_DEP_1)
	v_fmac_f32_e32 v107, v108, v107
	v_mul_f32_e32 v108, v109, v107
	s_delay_alu instid0(VALU_DEP_1) | instskip(NEXT) | instid1(VALU_DEP_1)
	v_fma_f32 v110, -v99, v108, v109
	v_fmac_f32_e32 v108, v110, v107
	s_delay_alu instid0(VALU_DEP_1) | instskip(NEXT) | instid1(VALU_DEP_1)
	v_fma_f32 v99, -v99, v108, v109
	v_div_fmas_f32 v99, v99, v107, v108
	s_delay_alu instid0(VALU_DEP_1) | instskip(NEXT) | instid1(VALU_DEP_1)
	v_div_fixup_f32 v99, v99, v101, v100
	v_fmac_f32_e32 v101, v100, v99
	s_delay_alu instid0(VALU_DEP_1) | instskip(SKIP_1) | instid1(VALU_DEP_2)
	v_div_scale_f32 v100, null, v101, v101, 1.0
	v_div_scale_f32 v109, vcc_lo, 1.0, v101, 1.0
	v_rcp_f32_e32 v107, v100
	v_nop
	s_delay_alu instid0(TRANS32_DEP_1) | instskip(NEXT) | instid1(VALU_DEP_1)
	v_fma_f32 v108, -v100, v107, 1.0
	v_fmac_f32_e32 v107, v108, v107
	s_delay_alu instid0(VALU_DEP_1) | instskip(NEXT) | instid1(VALU_DEP_1)
	v_mul_f32_e32 v108, v109, v107
	v_fma_f32 v110, -v100, v108, v109
	s_delay_alu instid0(VALU_DEP_1) | instskip(NEXT) | instid1(VALU_DEP_1)
	v_fmac_f32_e32 v108, v110, v107
	v_fma_f32 v100, -v100, v108, v109
	s_delay_alu instid0(VALU_DEP_1) | instskip(NEXT) | instid1(VALU_DEP_1)
	v_div_fmas_f32 v100, v100, v107, v108
	v_div_fixup_f32 v101, v100, v101, 1.0
	s_delay_alu instid0(VALU_DEP_1)
	v_mul_f32_e32 v100, v99, v101
	v_xor_b32_e32 v101, 0x80000000, v101
.LBB90_406:
	s_and_not1_saveexec_b32 s1, s1
	s_cbranch_execz .LBB90_408
; %bb.407:
	s_delay_alu instid0(VALU_DEP_1) | instskip(SKIP_1) | instid1(VALU_DEP_2)
	v_div_scale_f32 v99, null, v100, v100, v101
	v_div_scale_f32 v109, vcc_lo, v101, v100, v101
	v_rcp_f32_e32 v107, v99
	v_nop
	s_delay_alu instid0(TRANS32_DEP_1) | instskip(NEXT) | instid1(VALU_DEP_1)
	v_fma_f32 v108, -v99, v107, 1.0
	v_fmac_f32_e32 v107, v108, v107
	s_delay_alu instid0(VALU_DEP_1) | instskip(NEXT) | instid1(VALU_DEP_1)
	v_mul_f32_e32 v108, v109, v107
	v_fma_f32 v110, -v99, v108, v109
	s_delay_alu instid0(VALU_DEP_1) | instskip(NEXT) | instid1(VALU_DEP_1)
	v_fmac_f32_e32 v108, v110, v107
	v_fma_f32 v99, -v99, v108, v109
	s_delay_alu instid0(VALU_DEP_1) | instskip(NEXT) | instid1(VALU_DEP_1)
	v_div_fmas_f32 v99, v99, v107, v108
	v_div_fixup_f32 v99, v99, v100, v101
	s_delay_alu instid0(VALU_DEP_1) | instskip(NEXT) | instid1(VALU_DEP_1)
	v_fmac_f32_e32 v100, v101, v99
	v_div_scale_f32 v101, null, v100, v100, 1.0
	s_delay_alu instid0(VALU_DEP_1) | instskip(SKIP_1) | instid1(TRANS32_DEP_1)
	v_rcp_f32_e32 v107, v101
	v_nop
	v_fma_f32 v108, -v101, v107, 1.0
	s_delay_alu instid0(VALU_DEP_1) | instskip(SKIP_1) | instid1(VALU_DEP_1)
	v_fmac_f32_e32 v107, v108, v107
	v_div_scale_f32 v108, vcc_lo, 1.0, v100, 1.0
	v_mul_f32_e32 v109, v108, v107
	s_delay_alu instid0(VALU_DEP_1) | instskip(NEXT) | instid1(VALU_DEP_1)
	v_fma_f32 v110, -v101, v109, v108
	v_fmac_f32_e32 v109, v110, v107
	s_delay_alu instid0(VALU_DEP_1) | instskip(NEXT) | instid1(VALU_DEP_1)
	v_fma_f32 v101, -v101, v109, v108
	v_div_fmas_f32 v101, v101, v107, v109
	s_delay_alu instid0(VALU_DEP_1) | instskip(NEXT) | instid1(VALU_DEP_1)
	v_div_fixup_f32 v100, v101, v100, 1.0
	v_mul_f32_e64 v101, v99, -v100
.LBB90_408:
	s_or_b32 exec_lo, exec_lo, s1
.LBB90_409:
	s_delay_alu instid0(SALU_CYCLE_1) | instskip(NEXT) | instid1(SALU_CYCLE_1)
	s_or_b32 exec_lo, exec_lo, s0
	s_mov_b32 s0, exec_lo
	v_cmpx_ne_u32_e64 v106, v98
	s_xor_b32 s0, exec_lo, s0
	s_cbranch_execz .LBB90_415
; %bb.410:
	s_mov_b32 s1, exec_lo
	v_cmpx_eq_u32_e32 19, v106
	s_cbranch_execz .LBB90_414
; %bb.411:
	v_cmp_ne_u32_e32 vcc_lo, 19, v98
	s_xor_b32 s12, s16, -1
	s_delay_alu instid0(SALU_CYCLE_1) | instskip(NEXT) | instid1(SALU_CYCLE_1)
	s_and_b32 s13, s12, vcc_lo
	s_and_saveexec_b32 s12, s13
	s_cbranch_execz .LBB90_413
; %bb.412:
	v_ashrrev_i32_e32 v99, 31, v98
	s_delay_alu instid0(VALU_DEP_1)
	v_lshl_add_u64 v[106:107], v[98:99], 2, v[4:5]
	s_clause 0x1
	global_load_b32 v99, v[106:107], off
	global_load_b32 v105, v[4:5], off offset:76
	s_wait_loadcnt 0x1
	global_store_b32 v[4:5], v99, off offset:76
	s_wait_loadcnt 0x0
	global_store_b32 v[106:107], v105, off
.LBB90_413:
	s_wait_xcnt 0x0
	s_or_b32 exec_lo, exec_lo, s12
	v_dual_mov_b32 v106, v98 :: v_dual_mov_b32 v105, v98
.LBB90_414:
	s_or_b32 exec_lo, exec_lo, s1
.LBB90_415:
	s_and_not1_saveexec_b32 s0, s0
	s_cbranch_execz .LBB90_417
; %bb.416:
	v_dual_mov_b32 v98, v82 :: v_dual_mov_b32 v99, v83
	v_dual_mov_b32 v106, v50 :: v_dual_mov_b32 v107, v51
	;; [unrolled: 1-line block ×4, first 2 shown]
	ds_store_2addr_b64 v102, v[98:99], v[106:107] offset0:20 offset1:21
	ds_store_2addr_b64 v102, v[108:109], v[110:111] offset0:22 offset1:23
	v_dual_mov_b32 v98, v80 :: v_dual_mov_b32 v99, v81
	v_dual_mov_b32 v106, v44 :: v_dual_mov_b32 v107, v45
	;; [unrolled: 1-line block ×12, first 2 shown]
	ds_store_2addr_b64 v102, v[98:99], v[106:107] offset0:24 offset1:25
	ds_store_2addr_b64 v102, v[108:109], v[110:111] offset0:26 offset1:27
	;; [unrolled: 1-line block ×6, first 2 shown]
	v_dual_mov_b32 v98, v70 :: v_dual_mov_b32 v99, v71
	v_dual_mov_b32 v108, v10 :: v_dual_mov_b32 v109, v11
	;; [unrolled: 1-line block ×9, first 2 shown]
	v_mov_b32_e32 v123, v15
	ds_store_2addr_b64 v102, v[98:99], v[108:109] offset0:36 offset1:37
	ds_store_2addr_b64 v102, v[110:111], v[112:113] offset0:38 offset1:39
	;; [unrolled: 1-line block ×5, first 2 shown]
.LBB90_417:
	s_or_b32 exec_lo, exec_lo, s0
	s_delay_alu instid0(SALU_CYCLE_1)
	s_mov_b32 s0, exec_lo
	s_wait_storecnt_dscnt 0x0
	s_barrier_signal -1
	s_barrier_wait -1
	v_cmpx_lt_i32_e32 19, v106
	s_cbranch_execz .LBB90_419
; %bb.418:
	v_pk_mul_f32 v[108:109], v[100:101], v[56:57] op_sel:[1,1] op_sel_hi:[0,1]
	s_delay_alu instid0(VALU_DEP_1)
	v_pk_fma_f32 v[98:99], v[100:101], v[56:57], v[108:109] op_sel_hi:[1,0,1] neg_lo:[0,0,1] neg_hi:[0,0,1]
	v_pk_fma_f32 v[100:101], v[100:101], v[56:57], v[108:109] op_sel_hi:[1,0,1]
	ds_load_2addr_b64 v[108:111], v102 offset0:20 offset1:21
	v_dual_mov_b32 v56, v98 :: v_dual_mov_b32 v57, v101
	s_wait_dscnt 0x0
	v_pk_mul_f32 v[112:113], v[108:109], v[100:101] op_sel:[0,1]
	s_delay_alu instid0(VALU_DEP_1) | instskip(SKIP_1) | instid1(VALU_DEP_1)
	v_pk_fma_f32 v[114:115], v[108:109], v[98:99], v[112:113] op_sel:[0,0,1] op_sel_hi:[1,1,0] neg_lo:[0,0,1] neg_hi:[0,0,1]
	v_pk_fma_f32 v[108:109], v[108:109], v[98:99], v[112:113] op_sel:[0,0,1] op_sel_hi:[1,0,0]
	v_mov_b32_e32 v115, v109
	v_pk_mul_f32 v[108:109], v[110:111], v[100:101] op_sel:[0,1]
	s_delay_alu instid0(VALU_DEP_1) | instskip(SKIP_1) | instid1(VALU_DEP_1)
	v_pk_fma_f32 v[112:113], v[110:111], v[98:99], v[108:109] op_sel:[0,0,1] op_sel_hi:[1,1,0] neg_lo:[0,0,1] neg_hi:[0,0,1]
	v_pk_fma_f32 v[108:109], v[110:111], v[98:99], v[108:109] op_sel:[0,0,1] op_sel_hi:[1,0,0]
	v_mov_b32_e32 v113, v109
	ds_load_2addr_b64 v[108:111], v102 offset0:22 offset1:23
	v_pk_add_f32 v[82:83], v[82:83], v[114:115] neg_lo:[0,1] neg_hi:[0,1]
	v_pk_add_f32 v[50:51], v[50:51], v[112:113] neg_lo:[0,1] neg_hi:[0,1]
	s_wait_dscnt 0x0
	v_pk_mul_f32 v[112:113], v[108:109], v[100:101] op_sel:[0,1]
	s_delay_alu instid0(VALU_DEP_1) | instskip(SKIP_2) | instid1(VALU_DEP_2)
	v_pk_fma_f32 v[114:115], v[108:109], v[98:99], v[112:113] op_sel:[0,0,1] op_sel_hi:[1,1,0] neg_lo:[0,0,1] neg_hi:[0,0,1]
	v_pk_fma_f32 v[108:109], v[108:109], v[98:99], v[112:113] op_sel:[0,0,1] op_sel_hi:[1,0,0]
	v_dual_mul_f32 v112, v111, v101 :: v_dual_mov_b32 v108, v111
	v_dual_mov_b32 v115, v109 :: v_dual_mov_b32 v109, v110
	s_delay_alu instid0(VALU_DEP_2) | instskip(SKIP_1) | instid1(VALU_DEP_3)
	v_pk_fma_f32 v[112:113], v[110:111], v[56:57], v[112:113] op_sel_hi:[1,1,0] neg_lo:[0,0,1] neg_hi:[0,0,1]
	v_mul_f32_e32 v110, v111, v98
	v_pk_add_f32 v[52:53], v[52:53], v[114:115] neg_lo:[0,1] neg_hi:[0,1]
	s_delay_alu instid0(VALU_DEP_2) | instskip(NEXT) | instid1(VALU_DEP_1)
	v_pk_fma_f32 v[108:109], v[108:109], v[56:57], v[110:111] op_sel_hi:[1,1,0]
	v_mov_b32_e32 v113, v109
	ds_load_2addr_b64 v[108:111], v102 offset0:24 offset1:25
	v_pk_add_f32 v[48:49], v[48:49], v[112:113] neg_lo:[0,1] neg_hi:[0,1]
	s_wait_dscnt 0x0
	v_pk_mul_f32 v[112:113], v[108:109], v[100:101] op_sel:[0,1]
	s_delay_alu instid0(VALU_DEP_1) | instskip(SKIP_1) | instid1(VALU_DEP_1)
	v_pk_fma_f32 v[114:115], v[108:109], v[98:99], v[112:113] op_sel:[0,0,1] op_sel_hi:[1,1,0] neg_lo:[0,0,1] neg_hi:[0,0,1]
	v_pk_fma_f32 v[108:109], v[108:109], v[98:99], v[112:113] op_sel:[0,0,1] op_sel_hi:[1,0,0]
	v_mov_b32_e32 v115, v109
	v_pk_mul_f32 v[108:109], v[110:111], v[100:101] op_sel:[0,1]
	s_delay_alu instid0(VALU_DEP_1) | instskip(SKIP_1) | instid1(VALU_DEP_1)
	v_pk_fma_f32 v[112:113], v[110:111], v[98:99], v[108:109] op_sel:[0,0,1] op_sel_hi:[1,1,0] neg_lo:[0,0,1] neg_hi:[0,0,1]
	v_pk_fma_f32 v[108:109], v[110:111], v[98:99], v[108:109] op_sel:[0,0,1] op_sel_hi:[1,0,0]
	v_mov_b32_e32 v113, v109
	ds_load_2addr_b64 v[108:111], v102 offset0:26 offset1:27
	v_pk_add_f32 v[80:81], v[80:81], v[114:115] neg_lo:[0,1] neg_hi:[0,1]
	v_pk_add_f32 v[44:45], v[44:45], v[112:113] neg_lo:[0,1] neg_hi:[0,1]
	s_wait_dscnt 0x0
	v_pk_mul_f32 v[112:113], v[108:109], v[100:101] op_sel:[0,1]
	s_delay_alu instid0(VALU_DEP_1) | instskip(SKIP_1) | instid1(VALU_DEP_1)
	v_pk_fma_f32 v[114:115], v[108:109], v[98:99], v[112:113] op_sel:[0,0,1] op_sel_hi:[1,1,0] neg_lo:[0,0,1] neg_hi:[0,0,1]
	v_pk_fma_f32 v[108:109], v[108:109], v[98:99], v[112:113] op_sel:[0,0,1] op_sel_hi:[1,0,0]
	v_mov_b32_e32 v115, v109
	v_pk_mul_f32 v[108:109], v[110:111], v[100:101] op_sel:[0,1]
	s_delay_alu instid0(VALU_DEP_1) | instskip(SKIP_1) | instid1(VALU_DEP_1)
	v_pk_fma_f32 v[112:113], v[110:111], v[98:99], v[108:109] op_sel:[0,0,1] op_sel_hi:[1,1,0] neg_lo:[0,0,1] neg_hi:[0,0,1]
	v_pk_fma_f32 v[108:109], v[110:111], v[98:99], v[108:109] op_sel:[0,0,1] op_sel_hi:[1,0,0]
	v_mov_b32_e32 v113, v109
	ds_load_2addr_b64 v[108:111], v102 offset0:28 offset1:29
	v_pk_add_f32 v[46:47], v[46:47], v[114:115] neg_lo:[0,1] neg_hi:[0,1]
	v_pk_add_f32 v[42:43], v[42:43], v[112:113] neg_lo:[0,1] neg_hi:[0,1]
	s_wait_dscnt 0x0
	v_dual_mul_f32 v112, v109, v101 :: v_dual_mul_f32 v114, v109, v98
	s_delay_alu instid0(VALU_DEP_1) | instskip(NEXT) | instid1(VALU_DEP_2)
	v_pk_fma_f32 v[112:113], v[108:109], v[56:57], v[112:113] op_sel_hi:[1,1,0] neg_lo:[0,0,1] neg_hi:[0,0,1]
	v_pk_fma_f32 v[108:109], v[108:109], v[56:57], v[114:115] op_sel:[1,0,0] op_sel_hi:[0,1,0]
	s_delay_alu instid0(VALU_DEP_1) | instskip(SKIP_1) | instid1(VALU_DEP_2)
	v_mov_b32_e32 v113, v109
	v_pk_mul_f32 v[108:109], v[110:111], v[100:101] op_sel:[0,1]
	v_pk_add_f32 v[76:77], v[76:77], v[112:113] neg_lo:[0,1] neg_hi:[0,1]
	s_delay_alu instid0(VALU_DEP_2) | instskip(SKIP_1) | instid1(VALU_DEP_1)
	v_pk_fma_f32 v[112:113], v[110:111], v[98:99], v[108:109] op_sel:[0,0,1] op_sel_hi:[1,1,0] neg_lo:[0,0,1] neg_hi:[0,0,1]
	v_pk_fma_f32 v[108:109], v[110:111], v[98:99], v[108:109] op_sel:[0,0,1] op_sel_hi:[1,0,0]
	v_mov_b32_e32 v113, v109
	ds_load_2addr_b64 v[108:111], v102 offset0:30 offset1:31
	v_pk_add_f32 v[30:31], v[30:31], v[112:113] neg_lo:[0,1] neg_hi:[0,1]
	s_wait_dscnt 0x0
	v_pk_mul_f32 v[112:113], v[108:109], v[100:101] op_sel:[0,1]
	s_delay_alu instid0(VALU_DEP_1) | instskip(SKIP_1) | instid1(VALU_DEP_1)
	v_pk_fma_f32 v[114:115], v[108:109], v[98:99], v[112:113] op_sel:[0,0,1] op_sel_hi:[1,1,0] neg_lo:[0,0,1] neg_hi:[0,0,1]
	v_pk_fma_f32 v[108:109], v[108:109], v[98:99], v[112:113] op_sel:[0,0,1] op_sel_hi:[1,0,0]
	v_mov_b32_e32 v115, v109
	v_pk_mul_f32 v[108:109], v[110:111], v[100:101] op_sel:[0,1]
	s_delay_alu instid0(VALU_DEP_2) | instskip(NEXT) | instid1(VALU_DEP_2)
	v_pk_add_f32 v[36:37], v[36:37], v[114:115] neg_lo:[0,1] neg_hi:[0,1]
	v_pk_fma_f32 v[112:113], v[110:111], v[98:99], v[108:109] op_sel:[0,0,1] op_sel_hi:[1,1,0] neg_lo:[0,0,1] neg_hi:[0,0,1]
	v_pk_fma_f32 v[108:109], v[110:111], v[98:99], v[108:109] op_sel:[0,0,1] op_sel_hi:[1,0,0]
	s_delay_alu instid0(VALU_DEP_1) | instskip(SKIP_4) | instid1(VALU_DEP_1)
	v_mov_b32_e32 v113, v109
	ds_load_2addr_b64 v[108:111], v102 offset0:32 offset1:33
	v_pk_add_f32 v[28:29], v[28:29], v[112:113] neg_lo:[0,1] neg_hi:[0,1]
	s_wait_dscnt 0x0
	v_pk_mul_f32 v[112:113], v[108:109], v[100:101] op_sel:[0,1]
	v_pk_fma_f32 v[114:115], v[108:109], v[98:99], v[112:113] op_sel:[0,0,1] op_sel_hi:[1,1,0] neg_lo:[0,0,1] neg_hi:[0,0,1]
	v_pk_fma_f32 v[108:109], v[108:109], v[98:99], v[112:113] op_sel:[0,0,1] op_sel_hi:[1,0,0]
	v_dual_mul_f32 v112, v111, v101 :: v_dual_mov_b32 v108, v111
	s_delay_alu instid0(VALU_DEP_2) | instskip(NEXT) | instid1(VALU_DEP_2)
	v_dual_mov_b32 v115, v109 :: v_dual_mov_b32 v109, v110
	v_pk_fma_f32 v[112:113], v[110:111], v[56:57], v[112:113] op_sel_hi:[1,1,0] neg_lo:[0,0,1] neg_hi:[0,0,1]
	v_mul_f32_e32 v110, v111, v98
	s_delay_alu instid0(VALU_DEP_3) | instskip(NEXT) | instid1(VALU_DEP_2)
	v_pk_add_f32 v[72:73], v[72:73], v[114:115] neg_lo:[0,1] neg_hi:[0,1]
	v_pk_fma_f32 v[108:109], v[108:109], v[56:57], v[110:111] op_sel_hi:[1,1,0]
	s_delay_alu instid0(VALU_DEP_1) | instskip(SKIP_4) | instid1(VALU_DEP_1)
	v_mov_b32_e32 v113, v109
	ds_load_2addr_b64 v[108:111], v102 offset0:34 offset1:35
	v_pk_add_f32 v[18:19], v[18:19], v[112:113] neg_lo:[0,1] neg_hi:[0,1]
	s_wait_dscnt 0x0
	v_pk_mul_f32 v[112:113], v[108:109], v[100:101] op_sel:[0,1]
	v_pk_fma_f32 v[114:115], v[108:109], v[98:99], v[112:113] op_sel:[0,0,1] op_sel_hi:[1,1,0] neg_lo:[0,0,1] neg_hi:[0,0,1]
	v_pk_fma_f32 v[108:109], v[108:109], v[98:99], v[112:113] op_sel:[0,0,1] op_sel_hi:[1,0,0]
	s_delay_alu instid0(VALU_DEP_1) | instskip(SKIP_1) | instid1(VALU_DEP_1)
	v_mov_b32_e32 v115, v109
	v_pk_mul_f32 v[108:109], v[110:111], v[100:101] op_sel:[0,1]
	v_pk_fma_f32 v[112:113], v[110:111], v[98:99], v[108:109] op_sel:[0,0,1] op_sel_hi:[1,1,0] neg_lo:[0,0,1] neg_hi:[0,0,1]
	v_pk_fma_f32 v[108:109], v[110:111], v[98:99], v[108:109] op_sel:[0,0,1] op_sel_hi:[1,0,0]
	s_delay_alu instid0(VALU_DEP_1)
	v_mov_b32_e32 v113, v109
	ds_load_2addr_b64 v[108:111], v102 offset0:36 offset1:37
	v_pk_add_f32 v[24:25], v[24:25], v[114:115] neg_lo:[0,1] neg_hi:[0,1]
	v_pk_add_f32 v[16:17], v[16:17], v[112:113] neg_lo:[0,1] neg_hi:[0,1]
	s_wait_dscnt 0x0
	v_pk_mul_f32 v[112:113], v[108:109], v[100:101] op_sel:[0,1]
	s_delay_alu instid0(VALU_DEP_1) | instskip(SKIP_1) | instid1(VALU_DEP_1)
	v_pk_fma_f32 v[114:115], v[108:109], v[98:99], v[112:113] op_sel:[0,0,1] op_sel_hi:[1,1,0] neg_lo:[0,0,1] neg_hi:[0,0,1]
	v_pk_fma_f32 v[108:109], v[108:109], v[98:99], v[112:113] op_sel:[0,0,1] op_sel_hi:[1,0,0]
	v_mov_b32_e32 v115, v109
	v_pk_mul_f32 v[108:109], v[110:111], v[100:101] op_sel:[0,1]
	s_delay_alu instid0(VALU_DEP_1) | instskip(SKIP_1) | instid1(VALU_DEP_1)
	v_pk_fma_f32 v[112:113], v[110:111], v[98:99], v[108:109] op_sel:[0,0,1] op_sel_hi:[1,1,0] neg_lo:[0,0,1] neg_hi:[0,0,1]
	v_pk_fma_f32 v[108:109], v[110:111], v[98:99], v[108:109] op_sel:[0,0,1] op_sel_hi:[1,0,0]
	v_mov_b32_e32 v113, v109
	ds_load_2addr_b64 v[108:111], v102 offset0:38 offset1:39
	v_pk_add_f32 v[70:71], v[70:71], v[114:115] neg_lo:[0,1] neg_hi:[0,1]
	v_pk_add_f32 v[10:11], v[10:11], v[112:113] neg_lo:[0,1] neg_hi:[0,1]
	s_wait_dscnt 0x0
	v_dual_mul_f32 v112, v109, v101 :: v_dual_mul_f32 v114, v109, v98
	s_delay_alu instid0(VALU_DEP_1) | instskip(NEXT) | instid1(VALU_DEP_2)
	v_pk_fma_f32 v[112:113], v[108:109], v[56:57], v[112:113] op_sel_hi:[1,1,0] neg_lo:[0,0,1] neg_hi:[0,0,1]
	v_pk_fma_f32 v[108:109], v[108:109], v[56:57], v[114:115] op_sel:[1,0,0] op_sel_hi:[0,1,0]
	s_delay_alu instid0(VALU_DEP_1) | instskip(SKIP_1) | instid1(VALU_DEP_2)
	v_mov_b32_e32 v113, v109
	v_pk_mul_f32 v[108:109], v[110:111], v[100:101] op_sel:[0,1]
	v_pk_add_f32 v[12:13], v[12:13], v[112:113] neg_lo:[0,1] neg_hi:[0,1]
	s_delay_alu instid0(VALU_DEP_2) | instskip(SKIP_1) | instid1(VALU_DEP_1)
	v_pk_fma_f32 v[112:113], v[110:111], v[98:99], v[108:109] op_sel:[0,0,1] op_sel_hi:[1,1,0] neg_lo:[0,0,1] neg_hi:[0,0,1]
	v_pk_fma_f32 v[108:109], v[110:111], v[98:99], v[108:109] op_sel:[0,0,1] op_sel_hi:[1,0,0]
	v_mov_b32_e32 v113, v109
	ds_load_2addr_b64 v[108:111], v102 offset0:40 offset1:41
	v_pk_add_f32 v[8:9], v[8:9], v[112:113] neg_lo:[0,1] neg_hi:[0,1]
	s_wait_dscnt 0x0
	v_pk_mul_f32 v[112:113], v[108:109], v[100:101] op_sel:[0,1]
	s_delay_alu instid0(VALU_DEP_1) | instskip(SKIP_1) | instid1(VALU_DEP_1)
	v_pk_fma_f32 v[114:115], v[108:109], v[98:99], v[112:113] op_sel:[0,0,1] op_sel_hi:[1,1,0] neg_lo:[0,0,1] neg_hi:[0,0,1]
	v_pk_fma_f32 v[108:109], v[108:109], v[98:99], v[112:113] op_sel:[0,0,1] op_sel_hi:[1,0,0]
	v_mov_b32_e32 v115, v109
	v_pk_mul_f32 v[108:109], v[110:111], v[100:101] op_sel:[0,1]
	s_delay_alu instid0(VALU_DEP_2) | instskip(NEXT) | instid1(VALU_DEP_2)
	v_pk_add_f32 v[68:69], v[68:69], v[114:115] neg_lo:[0,1] neg_hi:[0,1]
	v_pk_fma_f32 v[112:113], v[110:111], v[98:99], v[108:109] op_sel:[0,0,1] op_sel_hi:[1,1,0] neg_lo:[0,0,1] neg_hi:[0,0,1]
	v_pk_fma_f32 v[108:109], v[110:111], v[98:99], v[108:109] op_sel:[0,0,1] op_sel_hi:[1,0,0]
	s_delay_alu instid0(VALU_DEP_1) | instskip(SKIP_4) | instid1(VALU_DEP_1)
	v_mov_b32_e32 v113, v109
	ds_load_2addr_b64 v[108:111], v102 offset0:42 offset1:43
	v_pk_add_f32 v[6:7], v[6:7], v[112:113] neg_lo:[0,1] neg_hi:[0,1]
	s_wait_dscnt 0x0
	v_pk_mul_f32 v[112:113], v[108:109], v[100:101] op_sel:[0,1]
	v_pk_fma_f32 v[114:115], v[108:109], v[98:99], v[112:113] op_sel:[0,0,1] op_sel_hi:[1,1,0] neg_lo:[0,0,1] neg_hi:[0,0,1]
	v_pk_fma_f32 v[108:109], v[108:109], v[98:99], v[112:113] op_sel:[0,0,1] op_sel_hi:[1,0,0]
	v_dual_mul_f32 v112, v111, v101 :: v_dual_mov_b32 v108, v111
	s_delay_alu instid0(VALU_DEP_2) | instskip(NEXT) | instid1(VALU_DEP_2)
	v_dual_mov_b32 v115, v109 :: v_dual_mov_b32 v109, v110
	v_pk_fma_f32 v[112:113], v[110:111], v[56:57], v[112:113] op_sel_hi:[1,1,0] neg_lo:[0,0,1] neg_hi:[0,0,1]
	v_mul_f32_e32 v110, v111, v98
	s_delay_alu instid0(VALU_DEP_3) | instskip(NEXT) | instid1(VALU_DEP_2)
	v_pk_add_f32 v[54:55], v[54:55], v[114:115] neg_lo:[0,1] neg_hi:[0,1]
	v_pk_fma_f32 v[108:109], v[108:109], v[56:57], v[110:111] op_sel_hi:[1,1,0]
	s_delay_alu instid0(VALU_DEP_1)
	v_mov_b32_e32 v113, v109
	ds_load_2addr_b64 v[108:111], v102 offset0:44 offset1:45
	v_pk_add_f32 v[40:41], v[40:41], v[112:113] neg_lo:[0,1] neg_hi:[0,1]
	s_wait_dscnt 0x0
	v_pk_mul_f32 v[112:113], v[108:109], v[100:101] op_sel:[0,1]
	v_pk_mul_f32 v[100:101], v[110:111], v[100:101] op_sel:[0,1]
	s_delay_alu instid0(VALU_DEP_2) | instskip(SKIP_1) | instid1(VALU_DEP_1)
	v_pk_fma_f32 v[114:115], v[108:109], v[98:99], v[112:113] op_sel:[0,0,1] op_sel_hi:[1,1,0] neg_lo:[0,0,1] neg_hi:[0,0,1]
	v_pk_fma_f32 v[108:109], v[108:109], v[98:99], v[112:113] op_sel:[0,0,1] op_sel_hi:[1,0,0]
	v_mov_b32_e32 v115, v109
	s_delay_alu instid0(VALU_DEP_4) | instskip(SKIP_1) | instid1(VALU_DEP_1)
	v_pk_fma_f32 v[108:109], v[110:111], v[98:99], v[100:101] op_sel:[0,0,1] op_sel_hi:[1,1,0] neg_lo:[0,0,1] neg_hi:[0,0,1]
	v_pk_fma_f32 v[98:99], v[110:111], v[98:99], v[100:101] op_sel:[0,0,1] op_sel_hi:[1,0,0]
	v_mov_b32_e32 v109, v99
	s_delay_alu instid0(VALU_DEP_4) | instskip(NEXT) | instid1(VALU_DEP_2)
	v_pk_add_f32 v[14:15], v[14:15], v[114:115] neg_lo:[0,1] neg_hi:[0,1]
	v_pk_add_f32 v[96:97], v[96:97], v[108:109] neg_lo:[0,1] neg_hi:[0,1]
.LBB90_419:
	s_or_b32 exec_lo, exec_lo, s0
	v_lshl_add_u32 v98, v106, 3, v102
	s_barrier_signal -1
	s_barrier_wait -1
	ds_store_b64 v98, v[82:83]
	s_wait_dscnt 0x0
	s_barrier_signal -1
	s_barrier_wait -1
	ds_load_b64 v[100:101], v102 offset:160
	v_mov_b32_e32 v98, 20
	s_cmp_lt_i32 s18, 22
	s_cbranch_scc1 .LBB90_422
; %bb.420:
	v_add3_u32 v99, v103, 0, 0xa8
	v_mov_b32_e32 v98, 20
	s_mov_b32 s0, 21
.LBB90_421:                             ; =>This Inner Loop Header: Depth=1
	ds_load_b64 v[108:109], v99
	s_wait_dscnt 0x1
	v_cmp_gt_f32_e32 vcc_lo, 0, v100
	v_cndmask_b32_e64 v110, v100, -v100, vcc_lo
	v_cmp_gt_f32_e32 vcc_lo, 0, v101
	v_cndmask_b32_e64 v112, v101, -v101, vcc_lo
	s_wait_dscnt 0x0
	v_cmp_gt_f32_e32 vcc_lo, 0, v108
	v_cndmask_b32_e64 v111, v108, -v108, vcc_lo
	v_cmp_gt_f32_e32 vcc_lo, 0, v109
	v_cndmask_b32_e64 v113, v109, -v109, vcc_lo
	s_delay_alu instid0(VALU_DEP_1) | instskip(NEXT) | instid1(VALU_DEP_1)
	v_pk_add_f32 v[110:111], v[110:111], v[112:113]
	v_cmp_lt_f32_e32 vcc_lo, v110, v111
	v_dual_add_nc_u32 v99, 8, v99 :: v_dual_cndmask_b32 v101, v101, v109, vcc_lo
	v_cndmask_b32_e32 v100, v100, v108, vcc_lo
	v_cndmask_b32_e64 v98, v98, s0, vcc_lo
	s_add_co_i32 s0, s0, 1
	s_delay_alu instid0(SALU_CYCLE_1)
	s_cmp_lg_u32 s18, s0
	s_cbranch_scc1 .LBB90_421
.LBB90_422:
	s_wait_dscnt 0x0
	v_cmp_eq_f32_e32 vcc_lo, 0, v100
	v_cmp_eq_f32_e64 s0, 0, v101
	s_and_b32 s0, vcc_lo, s0
	s_delay_alu instid0(SALU_CYCLE_1) | instskip(NEXT) | instid1(SALU_CYCLE_1)
	s_and_saveexec_b32 s1, s0
	s_xor_b32 s0, exec_lo, s1
; %bb.423:
	v_cmp_ne_u32_e32 vcc_lo, 0, v104
	v_cndmask_b32_e32 v104, 21, v104, vcc_lo
; %bb.424:
	s_and_not1_saveexec_b32 s0, s0
	s_cbranch_execz .LBB90_430
; %bb.425:
	v_cmp_ngt_f32_e64 s1, |v100|, |v101|
	s_and_saveexec_b32 s12, s1
	s_delay_alu instid0(SALU_CYCLE_1)
	s_xor_b32 s1, exec_lo, s12
	s_cbranch_execz .LBB90_427
; %bb.426:
	v_div_scale_f32 v99, null, v101, v101, v100
	v_div_scale_f32 v109, vcc_lo, v100, v101, v100
	s_delay_alu instid0(VALU_DEP_2) | instskip(SKIP_1) | instid1(TRANS32_DEP_1)
	v_rcp_f32_e32 v107, v99
	v_nop
	v_fma_f32 v108, -v99, v107, 1.0
	s_delay_alu instid0(VALU_DEP_1) | instskip(NEXT) | instid1(VALU_DEP_1)
	v_fmac_f32_e32 v107, v108, v107
	v_mul_f32_e32 v108, v109, v107
	s_delay_alu instid0(VALU_DEP_1) | instskip(NEXT) | instid1(VALU_DEP_1)
	v_fma_f32 v110, -v99, v108, v109
	v_fmac_f32_e32 v108, v110, v107
	s_delay_alu instid0(VALU_DEP_1) | instskip(NEXT) | instid1(VALU_DEP_1)
	v_fma_f32 v99, -v99, v108, v109
	v_div_fmas_f32 v99, v99, v107, v108
	s_delay_alu instid0(VALU_DEP_1) | instskip(NEXT) | instid1(VALU_DEP_1)
	v_div_fixup_f32 v99, v99, v101, v100
	v_fmac_f32_e32 v101, v100, v99
	s_delay_alu instid0(VALU_DEP_1) | instskip(SKIP_1) | instid1(VALU_DEP_2)
	v_div_scale_f32 v100, null, v101, v101, 1.0
	v_div_scale_f32 v109, vcc_lo, 1.0, v101, 1.0
	v_rcp_f32_e32 v107, v100
	v_nop
	s_delay_alu instid0(TRANS32_DEP_1) | instskip(NEXT) | instid1(VALU_DEP_1)
	v_fma_f32 v108, -v100, v107, 1.0
	v_fmac_f32_e32 v107, v108, v107
	s_delay_alu instid0(VALU_DEP_1) | instskip(NEXT) | instid1(VALU_DEP_1)
	v_mul_f32_e32 v108, v109, v107
	v_fma_f32 v110, -v100, v108, v109
	s_delay_alu instid0(VALU_DEP_1) | instskip(NEXT) | instid1(VALU_DEP_1)
	v_fmac_f32_e32 v108, v110, v107
	v_fma_f32 v100, -v100, v108, v109
	s_delay_alu instid0(VALU_DEP_1) | instskip(NEXT) | instid1(VALU_DEP_1)
	v_div_fmas_f32 v100, v100, v107, v108
	v_div_fixup_f32 v101, v100, v101, 1.0
	s_delay_alu instid0(VALU_DEP_1)
	v_mul_f32_e32 v100, v99, v101
	v_xor_b32_e32 v101, 0x80000000, v101
.LBB90_427:
	s_and_not1_saveexec_b32 s1, s1
	s_cbranch_execz .LBB90_429
; %bb.428:
	s_delay_alu instid0(VALU_DEP_1) | instskip(SKIP_1) | instid1(VALU_DEP_2)
	v_div_scale_f32 v99, null, v100, v100, v101
	v_div_scale_f32 v109, vcc_lo, v101, v100, v101
	v_rcp_f32_e32 v107, v99
	v_nop
	s_delay_alu instid0(TRANS32_DEP_1) | instskip(NEXT) | instid1(VALU_DEP_1)
	v_fma_f32 v108, -v99, v107, 1.0
	v_fmac_f32_e32 v107, v108, v107
	s_delay_alu instid0(VALU_DEP_1) | instskip(NEXT) | instid1(VALU_DEP_1)
	v_mul_f32_e32 v108, v109, v107
	v_fma_f32 v110, -v99, v108, v109
	s_delay_alu instid0(VALU_DEP_1) | instskip(NEXT) | instid1(VALU_DEP_1)
	v_fmac_f32_e32 v108, v110, v107
	v_fma_f32 v99, -v99, v108, v109
	s_delay_alu instid0(VALU_DEP_1) | instskip(NEXT) | instid1(VALU_DEP_1)
	v_div_fmas_f32 v99, v99, v107, v108
	v_div_fixup_f32 v99, v99, v100, v101
	s_delay_alu instid0(VALU_DEP_1) | instskip(NEXT) | instid1(VALU_DEP_1)
	v_fmac_f32_e32 v100, v101, v99
	v_div_scale_f32 v101, null, v100, v100, 1.0
	s_delay_alu instid0(VALU_DEP_1) | instskip(SKIP_1) | instid1(TRANS32_DEP_1)
	v_rcp_f32_e32 v107, v101
	v_nop
	v_fma_f32 v108, -v101, v107, 1.0
	s_delay_alu instid0(VALU_DEP_1) | instskip(SKIP_1) | instid1(VALU_DEP_1)
	v_fmac_f32_e32 v107, v108, v107
	v_div_scale_f32 v108, vcc_lo, 1.0, v100, 1.0
	v_mul_f32_e32 v109, v108, v107
	s_delay_alu instid0(VALU_DEP_1) | instskip(NEXT) | instid1(VALU_DEP_1)
	v_fma_f32 v110, -v101, v109, v108
	v_fmac_f32_e32 v109, v110, v107
	s_delay_alu instid0(VALU_DEP_1) | instskip(NEXT) | instid1(VALU_DEP_1)
	v_fma_f32 v101, -v101, v109, v108
	v_div_fmas_f32 v101, v101, v107, v109
	s_delay_alu instid0(VALU_DEP_1) | instskip(NEXT) | instid1(VALU_DEP_1)
	v_div_fixup_f32 v100, v101, v100, 1.0
	v_mul_f32_e64 v101, v99, -v100
.LBB90_429:
	s_or_b32 exec_lo, exec_lo, s1
.LBB90_430:
	s_delay_alu instid0(SALU_CYCLE_1) | instskip(NEXT) | instid1(SALU_CYCLE_1)
	s_or_b32 exec_lo, exec_lo, s0
	s_mov_b32 s0, exec_lo
	v_cmpx_ne_u32_e64 v106, v98
	s_xor_b32 s0, exec_lo, s0
	s_cbranch_execz .LBB90_436
; %bb.431:
	s_mov_b32 s1, exec_lo
	v_cmpx_eq_u32_e32 20, v106
	s_cbranch_execz .LBB90_435
; %bb.432:
	v_cmp_ne_u32_e32 vcc_lo, 20, v98
	s_xor_b32 s12, s16, -1
	s_delay_alu instid0(SALU_CYCLE_1) | instskip(NEXT) | instid1(SALU_CYCLE_1)
	s_and_b32 s13, s12, vcc_lo
	s_and_saveexec_b32 s12, s13
	s_cbranch_execz .LBB90_434
; %bb.433:
	v_ashrrev_i32_e32 v99, 31, v98
	s_delay_alu instid0(VALU_DEP_1)
	v_lshl_add_u64 v[106:107], v[98:99], 2, v[4:5]
	s_clause 0x1
	global_load_b32 v99, v[106:107], off
	global_load_b32 v105, v[4:5], off offset:80
	s_wait_loadcnt 0x1
	global_store_b32 v[4:5], v99, off offset:80
	s_wait_loadcnt 0x0
	global_store_b32 v[106:107], v105, off
.LBB90_434:
	s_wait_xcnt 0x0
	s_or_b32 exec_lo, exec_lo, s12
	v_dual_mov_b32 v106, v98 :: v_dual_mov_b32 v105, v98
.LBB90_435:
	s_or_b32 exec_lo, exec_lo, s1
.LBB90_436:
	s_and_not1_saveexec_b32 s0, s0
	s_cbranch_execz .LBB90_438
; %bb.437:
	v_mov_b32_e32 v106, 20
	ds_store_2addr_b64 v102, v[50:51], v[52:53] offset0:21 offset1:22
	ds_store_2addr_b64 v102, v[48:49], v[80:81] offset0:23 offset1:24
	;; [unrolled: 1-line block ×12, first 2 shown]
	ds_store_b64 v102, v[96:97] offset:360
.LBB90_438:
	s_or_b32 exec_lo, exec_lo, s0
	s_delay_alu instid0(SALU_CYCLE_1)
	s_mov_b32 s0, exec_lo
	s_wait_storecnt_dscnt 0x0
	s_barrier_signal -1
	s_barrier_wait -1
	v_cmpx_lt_i32_e32 20, v106
	s_cbranch_execz .LBB90_440
; %bb.439:
	v_pk_mul_f32 v[108:109], v[100:101], v[82:83] op_sel:[1,1] op_sel_hi:[0,1]
	s_delay_alu instid0(VALU_DEP_1)
	v_pk_fma_f32 v[98:99], v[100:101], v[82:83], v[108:109] op_sel_hi:[1,0,1] neg_lo:[0,0,1] neg_hi:[0,0,1]
	v_pk_fma_f32 v[100:101], v[100:101], v[82:83], v[108:109] op_sel_hi:[1,0,1]
	ds_load_2addr_b64 v[108:111], v102 offset0:21 offset1:22
	v_dual_mov_b32 v82, v98 :: v_dual_mov_b32 v83, v101
	s_wait_dscnt 0x0
	v_pk_mul_f32 v[112:113], v[108:109], v[100:101] op_sel:[0,1]
	s_delay_alu instid0(VALU_DEP_1) | instskip(SKIP_1) | instid1(VALU_DEP_1)
	v_pk_fma_f32 v[114:115], v[108:109], v[98:99], v[112:113] op_sel:[0,0,1] op_sel_hi:[1,1,0] neg_lo:[0,0,1] neg_hi:[0,0,1]
	v_pk_fma_f32 v[108:109], v[108:109], v[98:99], v[112:113] op_sel:[0,0,1] op_sel_hi:[1,0,0]
	v_mov_b32_e32 v115, v109
	v_pk_mul_f32 v[108:109], v[110:111], v[100:101] op_sel:[0,1]
	s_delay_alu instid0(VALU_DEP_1) | instskip(SKIP_1) | instid1(VALU_DEP_1)
	v_pk_fma_f32 v[112:113], v[110:111], v[98:99], v[108:109] op_sel:[0,0,1] op_sel_hi:[1,1,0] neg_lo:[0,0,1] neg_hi:[0,0,1]
	v_pk_fma_f32 v[108:109], v[110:111], v[98:99], v[108:109] op_sel:[0,0,1] op_sel_hi:[1,0,0]
	v_mov_b32_e32 v113, v109
	ds_load_2addr_b64 v[108:111], v102 offset0:23 offset1:24
	v_pk_add_f32 v[50:51], v[50:51], v[114:115] neg_lo:[0,1] neg_hi:[0,1]
	v_pk_add_f32 v[52:53], v[52:53], v[112:113] neg_lo:[0,1] neg_hi:[0,1]
	s_wait_dscnt 0x0
	v_pk_mul_f32 v[112:113], v[108:109], v[100:101] op_sel:[0,1]
	s_delay_alu instid0(VALU_DEP_1) | instskip(SKIP_2) | instid1(VALU_DEP_2)
	v_pk_fma_f32 v[114:115], v[108:109], v[98:99], v[112:113] op_sel:[0,0,1] op_sel_hi:[1,1,0] neg_lo:[0,0,1] neg_hi:[0,0,1]
	v_pk_fma_f32 v[108:109], v[108:109], v[98:99], v[112:113] op_sel:[0,0,1] op_sel_hi:[1,0,0]
	v_dual_mul_f32 v112, v111, v101 :: v_dual_mov_b32 v108, v111
	v_dual_mov_b32 v115, v109 :: v_dual_mov_b32 v109, v110
	s_delay_alu instid0(VALU_DEP_2) | instskip(SKIP_1) | instid1(VALU_DEP_3)
	v_pk_fma_f32 v[112:113], v[110:111], v[82:83], v[112:113] op_sel_hi:[1,1,0] neg_lo:[0,0,1] neg_hi:[0,0,1]
	v_mul_f32_e32 v110, v111, v98
	v_pk_add_f32 v[48:49], v[48:49], v[114:115] neg_lo:[0,1] neg_hi:[0,1]
	s_delay_alu instid0(VALU_DEP_2) | instskip(NEXT) | instid1(VALU_DEP_1)
	v_pk_fma_f32 v[108:109], v[108:109], v[82:83], v[110:111] op_sel_hi:[1,1,0]
	v_mov_b32_e32 v113, v109
	ds_load_2addr_b64 v[108:111], v102 offset0:25 offset1:26
	v_pk_add_f32 v[80:81], v[80:81], v[112:113] neg_lo:[0,1] neg_hi:[0,1]
	s_wait_dscnt 0x0
	v_pk_mul_f32 v[112:113], v[108:109], v[100:101] op_sel:[0,1]
	s_delay_alu instid0(VALU_DEP_1) | instskip(SKIP_1) | instid1(VALU_DEP_1)
	v_pk_fma_f32 v[114:115], v[108:109], v[98:99], v[112:113] op_sel:[0,0,1] op_sel_hi:[1,1,0] neg_lo:[0,0,1] neg_hi:[0,0,1]
	v_pk_fma_f32 v[108:109], v[108:109], v[98:99], v[112:113] op_sel:[0,0,1] op_sel_hi:[1,0,0]
	v_mov_b32_e32 v115, v109
	v_pk_mul_f32 v[108:109], v[110:111], v[100:101] op_sel:[0,1]
	s_delay_alu instid0(VALU_DEP_1) | instskip(SKIP_1) | instid1(VALU_DEP_1)
	v_pk_fma_f32 v[112:113], v[110:111], v[98:99], v[108:109] op_sel:[0,0,1] op_sel_hi:[1,1,0] neg_lo:[0,0,1] neg_hi:[0,0,1]
	v_pk_fma_f32 v[108:109], v[110:111], v[98:99], v[108:109] op_sel:[0,0,1] op_sel_hi:[1,0,0]
	v_mov_b32_e32 v113, v109
	ds_load_2addr_b64 v[108:111], v102 offset0:27 offset1:28
	v_pk_add_f32 v[44:45], v[44:45], v[114:115] neg_lo:[0,1] neg_hi:[0,1]
	v_pk_add_f32 v[46:47], v[46:47], v[112:113] neg_lo:[0,1] neg_hi:[0,1]
	s_wait_dscnt 0x0
	v_pk_mul_f32 v[112:113], v[108:109], v[100:101] op_sel:[0,1]
	s_delay_alu instid0(VALU_DEP_1) | instskip(SKIP_1) | instid1(VALU_DEP_1)
	v_pk_fma_f32 v[114:115], v[108:109], v[98:99], v[112:113] op_sel:[0,0,1] op_sel_hi:[1,1,0] neg_lo:[0,0,1] neg_hi:[0,0,1]
	v_pk_fma_f32 v[108:109], v[108:109], v[98:99], v[112:113] op_sel:[0,0,1] op_sel_hi:[1,0,0]
	v_mov_b32_e32 v115, v109
	v_pk_mul_f32 v[108:109], v[110:111], v[100:101] op_sel:[0,1]
	s_delay_alu instid0(VALU_DEP_1) | instskip(SKIP_1) | instid1(VALU_DEP_1)
	v_pk_fma_f32 v[112:113], v[110:111], v[98:99], v[108:109] op_sel:[0,0,1] op_sel_hi:[1,1,0] neg_lo:[0,0,1] neg_hi:[0,0,1]
	v_pk_fma_f32 v[108:109], v[110:111], v[98:99], v[108:109] op_sel:[0,0,1] op_sel_hi:[1,0,0]
	v_mov_b32_e32 v113, v109
	ds_load_2addr_b64 v[108:111], v102 offset0:29 offset1:30
	v_pk_add_f32 v[42:43], v[42:43], v[114:115] neg_lo:[0,1] neg_hi:[0,1]
	v_pk_add_f32 v[76:77], v[76:77], v[112:113] neg_lo:[0,1] neg_hi:[0,1]
	s_wait_dscnt 0x0
	v_dual_mul_f32 v112, v109, v101 :: v_dual_mul_f32 v114, v109, v98
	s_delay_alu instid0(VALU_DEP_1) | instskip(NEXT) | instid1(VALU_DEP_2)
	v_pk_fma_f32 v[112:113], v[108:109], v[82:83], v[112:113] op_sel_hi:[1,1,0] neg_lo:[0,0,1] neg_hi:[0,0,1]
	v_pk_fma_f32 v[108:109], v[108:109], v[82:83], v[114:115] op_sel:[1,0,0] op_sel_hi:[0,1,0]
	s_delay_alu instid0(VALU_DEP_1) | instskip(SKIP_1) | instid1(VALU_DEP_2)
	v_mov_b32_e32 v113, v109
	v_pk_mul_f32 v[108:109], v[110:111], v[100:101] op_sel:[0,1]
	v_pk_add_f32 v[30:31], v[30:31], v[112:113] neg_lo:[0,1] neg_hi:[0,1]
	s_delay_alu instid0(VALU_DEP_2) | instskip(SKIP_1) | instid1(VALU_DEP_1)
	v_pk_fma_f32 v[112:113], v[110:111], v[98:99], v[108:109] op_sel:[0,0,1] op_sel_hi:[1,1,0] neg_lo:[0,0,1] neg_hi:[0,0,1]
	v_pk_fma_f32 v[108:109], v[110:111], v[98:99], v[108:109] op_sel:[0,0,1] op_sel_hi:[1,0,0]
	v_mov_b32_e32 v113, v109
	ds_load_2addr_b64 v[108:111], v102 offset0:31 offset1:32
	v_pk_add_f32 v[36:37], v[36:37], v[112:113] neg_lo:[0,1] neg_hi:[0,1]
	s_wait_dscnt 0x0
	v_pk_mul_f32 v[112:113], v[108:109], v[100:101] op_sel:[0,1]
	s_delay_alu instid0(VALU_DEP_1) | instskip(SKIP_1) | instid1(VALU_DEP_1)
	v_pk_fma_f32 v[114:115], v[108:109], v[98:99], v[112:113] op_sel:[0,0,1] op_sel_hi:[1,1,0] neg_lo:[0,0,1] neg_hi:[0,0,1]
	v_pk_fma_f32 v[108:109], v[108:109], v[98:99], v[112:113] op_sel:[0,0,1] op_sel_hi:[1,0,0]
	v_mov_b32_e32 v115, v109
	v_pk_mul_f32 v[108:109], v[110:111], v[100:101] op_sel:[0,1]
	s_delay_alu instid0(VALU_DEP_2) | instskip(NEXT) | instid1(VALU_DEP_2)
	v_pk_add_f32 v[28:29], v[28:29], v[114:115] neg_lo:[0,1] neg_hi:[0,1]
	v_pk_fma_f32 v[112:113], v[110:111], v[98:99], v[108:109] op_sel:[0,0,1] op_sel_hi:[1,1,0] neg_lo:[0,0,1] neg_hi:[0,0,1]
	v_pk_fma_f32 v[108:109], v[110:111], v[98:99], v[108:109] op_sel:[0,0,1] op_sel_hi:[1,0,0]
	s_delay_alu instid0(VALU_DEP_1) | instskip(SKIP_4) | instid1(VALU_DEP_1)
	v_mov_b32_e32 v113, v109
	ds_load_2addr_b64 v[108:111], v102 offset0:33 offset1:34
	v_pk_add_f32 v[72:73], v[72:73], v[112:113] neg_lo:[0,1] neg_hi:[0,1]
	s_wait_dscnt 0x0
	v_pk_mul_f32 v[112:113], v[108:109], v[100:101] op_sel:[0,1]
	v_pk_fma_f32 v[114:115], v[108:109], v[98:99], v[112:113] op_sel:[0,0,1] op_sel_hi:[1,1,0] neg_lo:[0,0,1] neg_hi:[0,0,1]
	v_pk_fma_f32 v[108:109], v[108:109], v[98:99], v[112:113] op_sel:[0,0,1] op_sel_hi:[1,0,0]
	v_dual_mul_f32 v112, v111, v101 :: v_dual_mov_b32 v108, v111
	s_delay_alu instid0(VALU_DEP_2) | instskip(NEXT) | instid1(VALU_DEP_2)
	v_dual_mov_b32 v115, v109 :: v_dual_mov_b32 v109, v110
	v_pk_fma_f32 v[112:113], v[110:111], v[82:83], v[112:113] op_sel_hi:[1,1,0] neg_lo:[0,0,1] neg_hi:[0,0,1]
	v_mul_f32_e32 v110, v111, v98
	s_delay_alu instid0(VALU_DEP_3) | instskip(NEXT) | instid1(VALU_DEP_2)
	v_pk_add_f32 v[18:19], v[18:19], v[114:115] neg_lo:[0,1] neg_hi:[0,1]
	v_pk_fma_f32 v[108:109], v[108:109], v[82:83], v[110:111] op_sel_hi:[1,1,0]
	s_delay_alu instid0(VALU_DEP_1) | instskip(SKIP_4) | instid1(VALU_DEP_1)
	v_mov_b32_e32 v113, v109
	ds_load_2addr_b64 v[108:111], v102 offset0:35 offset1:36
	v_pk_add_f32 v[24:25], v[24:25], v[112:113] neg_lo:[0,1] neg_hi:[0,1]
	s_wait_dscnt 0x0
	v_pk_mul_f32 v[112:113], v[108:109], v[100:101] op_sel:[0,1]
	v_pk_fma_f32 v[114:115], v[108:109], v[98:99], v[112:113] op_sel:[0,0,1] op_sel_hi:[1,1,0] neg_lo:[0,0,1] neg_hi:[0,0,1]
	v_pk_fma_f32 v[108:109], v[108:109], v[98:99], v[112:113] op_sel:[0,0,1] op_sel_hi:[1,0,0]
	s_delay_alu instid0(VALU_DEP_1) | instskip(SKIP_1) | instid1(VALU_DEP_1)
	v_mov_b32_e32 v115, v109
	v_pk_mul_f32 v[108:109], v[110:111], v[100:101] op_sel:[0,1]
	v_pk_fma_f32 v[112:113], v[110:111], v[98:99], v[108:109] op_sel:[0,0,1] op_sel_hi:[1,1,0] neg_lo:[0,0,1] neg_hi:[0,0,1]
	v_pk_fma_f32 v[108:109], v[110:111], v[98:99], v[108:109] op_sel:[0,0,1] op_sel_hi:[1,0,0]
	s_delay_alu instid0(VALU_DEP_1)
	v_mov_b32_e32 v113, v109
	ds_load_2addr_b64 v[108:111], v102 offset0:37 offset1:38
	v_pk_add_f32 v[16:17], v[16:17], v[114:115] neg_lo:[0,1] neg_hi:[0,1]
	v_pk_add_f32 v[70:71], v[70:71], v[112:113] neg_lo:[0,1] neg_hi:[0,1]
	s_wait_dscnt 0x0
	v_pk_mul_f32 v[112:113], v[108:109], v[100:101] op_sel:[0,1]
	s_delay_alu instid0(VALU_DEP_1) | instskip(SKIP_1) | instid1(VALU_DEP_1)
	v_pk_fma_f32 v[114:115], v[108:109], v[98:99], v[112:113] op_sel:[0,0,1] op_sel_hi:[1,1,0] neg_lo:[0,0,1] neg_hi:[0,0,1]
	v_pk_fma_f32 v[108:109], v[108:109], v[98:99], v[112:113] op_sel:[0,0,1] op_sel_hi:[1,0,0]
	v_mov_b32_e32 v115, v109
	v_pk_mul_f32 v[108:109], v[110:111], v[100:101] op_sel:[0,1]
	s_delay_alu instid0(VALU_DEP_1) | instskip(SKIP_1) | instid1(VALU_DEP_1)
	v_pk_fma_f32 v[112:113], v[110:111], v[98:99], v[108:109] op_sel:[0,0,1] op_sel_hi:[1,1,0] neg_lo:[0,0,1] neg_hi:[0,0,1]
	v_pk_fma_f32 v[108:109], v[110:111], v[98:99], v[108:109] op_sel:[0,0,1] op_sel_hi:[1,0,0]
	v_mov_b32_e32 v113, v109
	ds_load_2addr_b64 v[108:111], v102 offset0:39 offset1:40
	v_pk_add_f32 v[10:11], v[10:11], v[114:115] neg_lo:[0,1] neg_hi:[0,1]
	v_pk_add_f32 v[12:13], v[12:13], v[112:113] neg_lo:[0,1] neg_hi:[0,1]
	s_wait_dscnt 0x0
	v_dual_mul_f32 v112, v109, v101 :: v_dual_mul_f32 v114, v109, v98
	s_delay_alu instid0(VALU_DEP_1) | instskip(NEXT) | instid1(VALU_DEP_2)
	v_pk_fma_f32 v[112:113], v[108:109], v[82:83], v[112:113] op_sel_hi:[1,1,0] neg_lo:[0,0,1] neg_hi:[0,0,1]
	v_pk_fma_f32 v[108:109], v[108:109], v[82:83], v[114:115] op_sel:[1,0,0] op_sel_hi:[0,1,0]
	s_delay_alu instid0(VALU_DEP_1) | instskip(SKIP_1) | instid1(VALU_DEP_2)
	v_mov_b32_e32 v113, v109
	v_pk_mul_f32 v[108:109], v[110:111], v[100:101] op_sel:[0,1]
	v_pk_add_f32 v[8:9], v[8:9], v[112:113] neg_lo:[0,1] neg_hi:[0,1]
	s_delay_alu instid0(VALU_DEP_2) | instskip(SKIP_1) | instid1(VALU_DEP_1)
	v_pk_fma_f32 v[112:113], v[110:111], v[98:99], v[108:109] op_sel:[0,0,1] op_sel_hi:[1,1,0] neg_lo:[0,0,1] neg_hi:[0,0,1]
	v_pk_fma_f32 v[108:109], v[110:111], v[98:99], v[108:109] op_sel:[0,0,1] op_sel_hi:[1,0,0]
	v_mov_b32_e32 v113, v109
	ds_load_2addr_b64 v[108:111], v102 offset0:41 offset1:42
	v_pk_add_f32 v[68:69], v[68:69], v[112:113] neg_lo:[0,1] neg_hi:[0,1]
	s_wait_dscnt 0x0
	v_pk_mul_f32 v[112:113], v[108:109], v[100:101] op_sel:[0,1]
	s_delay_alu instid0(VALU_DEP_1) | instskip(SKIP_1) | instid1(VALU_DEP_1)
	v_pk_fma_f32 v[114:115], v[108:109], v[98:99], v[112:113] op_sel:[0,0,1] op_sel_hi:[1,1,0] neg_lo:[0,0,1] neg_hi:[0,0,1]
	v_pk_fma_f32 v[108:109], v[108:109], v[98:99], v[112:113] op_sel:[0,0,1] op_sel_hi:[1,0,0]
	v_mov_b32_e32 v115, v109
	v_pk_mul_f32 v[108:109], v[110:111], v[100:101] op_sel:[0,1]
	s_delay_alu instid0(VALU_DEP_2) | instskip(NEXT) | instid1(VALU_DEP_2)
	v_pk_add_f32 v[6:7], v[6:7], v[114:115] neg_lo:[0,1] neg_hi:[0,1]
	v_pk_fma_f32 v[112:113], v[110:111], v[98:99], v[108:109] op_sel:[0,0,1] op_sel_hi:[1,1,0] neg_lo:[0,0,1] neg_hi:[0,0,1]
	v_pk_fma_f32 v[108:109], v[110:111], v[98:99], v[108:109] op_sel:[0,0,1] op_sel_hi:[1,0,0]
	s_delay_alu instid0(VALU_DEP_1) | instskip(SKIP_4) | instid1(VALU_DEP_1)
	v_mov_b32_e32 v113, v109
	ds_load_2addr_b64 v[108:111], v102 offset0:43 offset1:44
	v_pk_add_f32 v[54:55], v[54:55], v[112:113] neg_lo:[0,1] neg_hi:[0,1]
	s_wait_dscnt 0x0
	v_pk_mul_f32 v[112:113], v[108:109], v[100:101] op_sel:[0,1]
	v_pk_fma_f32 v[114:115], v[108:109], v[98:99], v[112:113] op_sel:[0,0,1] op_sel_hi:[1,1,0] neg_lo:[0,0,1] neg_hi:[0,0,1]
	v_pk_fma_f32 v[108:109], v[108:109], v[98:99], v[112:113] op_sel:[0,0,1] op_sel_hi:[1,0,0]
	v_dual_mul_f32 v112, v111, v101 :: v_dual_mov_b32 v108, v111
	s_delay_alu instid0(VALU_DEP_2) | instskip(NEXT) | instid1(VALU_DEP_2)
	v_dual_mov_b32 v115, v109 :: v_dual_mov_b32 v109, v110
	v_pk_fma_f32 v[112:113], v[110:111], v[82:83], v[112:113] op_sel_hi:[1,1,0] neg_lo:[0,0,1] neg_hi:[0,0,1]
	v_mul_f32_e32 v110, v111, v98
	s_delay_alu instid0(VALU_DEP_3) | instskip(NEXT) | instid1(VALU_DEP_2)
	v_pk_add_f32 v[40:41], v[40:41], v[114:115] neg_lo:[0,1] neg_hi:[0,1]
	v_pk_fma_f32 v[108:109], v[108:109], v[82:83], v[110:111] op_sel_hi:[1,1,0]
	s_delay_alu instid0(VALU_DEP_1) | instskip(SKIP_4) | instid1(VALU_DEP_1)
	v_mov_b32_e32 v113, v109
	ds_load_b64 v[108:109], v102 offset:360
	v_pk_add_f32 v[14:15], v[14:15], v[112:113] neg_lo:[0,1] neg_hi:[0,1]
	s_wait_dscnt 0x0
	v_pk_mul_f32 v[100:101], v[108:109], v[100:101] op_sel:[0,1]
	v_pk_fma_f32 v[110:111], v[108:109], v[98:99], v[100:101] op_sel:[0,0,1] op_sel_hi:[1,1,0] neg_lo:[0,0,1] neg_hi:[0,0,1]
	v_pk_fma_f32 v[98:99], v[108:109], v[98:99], v[100:101] op_sel:[0,0,1] op_sel_hi:[1,0,0]
	s_delay_alu instid0(VALU_DEP_1) | instskip(NEXT) | instid1(VALU_DEP_1)
	v_mov_b32_e32 v111, v99
	v_pk_add_f32 v[96:97], v[96:97], v[110:111] neg_lo:[0,1] neg_hi:[0,1]
.LBB90_440:
	s_or_b32 exec_lo, exec_lo, s0
	v_lshl_add_u32 v98, v106, 3, v102
	s_barrier_signal -1
	s_barrier_wait -1
	ds_store_b64 v98, v[50:51]
	s_wait_dscnt 0x0
	s_barrier_signal -1
	s_barrier_wait -1
	ds_load_b64 v[100:101], v102 offset:168
	v_mov_b32_e32 v98, 21
	s_cmp_lt_i32 s18, 23
	s_cbranch_scc1 .LBB90_443
; %bb.441:
	v_add3_u32 v99, v103, 0, 0xb0
	v_mov_b32_e32 v98, 21
	s_mov_b32 s0, 22
.LBB90_442:                             ; =>This Inner Loop Header: Depth=1
	ds_load_b64 v[108:109], v99
	s_wait_dscnt 0x1
	v_cmp_gt_f32_e32 vcc_lo, 0, v100
	v_cndmask_b32_e64 v110, v100, -v100, vcc_lo
	v_cmp_gt_f32_e32 vcc_lo, 0, v101
	v_cndmask_b32_e64 v112, v101, -v101, vcc_lo
	s_wait_dscnt 0x0
	v_cmp_gt_f32_e32 vcc_lo, 0, v108
	v_cndmask_b32_e64 v111, v108, -v108, vcc_lo
	v_cmp_gt_f32_e32 vcc_lo, 0, v109
	v_cndmask_b32_e64 v113, v109, -v109, vcc_lo
	s_delay_alu instid0(VALU_DEP_1) | instskip(NEXT) | instid1(VALU_DEP_1)
	v_pk_add_f32 v[110:111], v[110:111], v[112:113]
	v_cmp_lt_f32_e32 vcc_lo, v110, v111
	v_dual_add_nc_u32 v99, 8, v99 :: v_dual_cndmask_b32 v101, v101, v109, vcc_lo
	v_cndmask_b32_e32 v100, v100, v108, vcc_lo
	v_cndmask_b32_e64 v98, v98, s0, vcc_lo
	s_add_co_i32 s0, s0, 1
	s_delay_alu instid0(SALU_CYCLE_1)
	s_cmp_lg_u32 s18, s0
	s_cbranch_scc1 .LBB90_442
.LBB90_443:
	s_wait_dscnt 0x0
	v_cmp_eq_f32_e32 vcc_lo, 0, v100
	v_cmp_eq_f32_e64 s0, 0, v101
	s_and_b32 s0, vcc_lo, s0
	s_delay_alu instid0(SALU_CYCLE_1) | instskip(NEXT) | instid1(SALU_CYCLE_1)
	s_and_saveexec_b32 s1, s0
	s_xor_b32 s0, exec_lo, s1
; %bb.444:
	v_cmp_ne_u32_e32 vcc_lo, 0, v104
	v_cndmask_b32_e32 v104, 22, v104, vcc_lo
; %bb.445:
	s_and_not1_saveexec_b32 s0, s0
	s_cbranch_execz .LBB90_451
; %bb.446:
	v_cmp_ngt_f32_e64 s1, |v100|, |v101|
	s_and_saveexec_b32 s12, s1
	s_delay_alu instid0(SALU_CYCLE_1)
	s_xor_b32 s1, exec_lo, s12
	s_cbranch_execz .LBB90_448
; %bb.447:
	v_div_scale_f32 v99, null, v101, v101, v100
	v_div_scale_f32 v109, vcc_lo, v100, v101, v100
	s_delay_alu instid0(VALU_DEP_2) | instskip(SKIP_1) | instid1(TRANS32_DEP_1)
	v_rcp_f32_e32 v107, v99
	v_nop
	v_fma_f32 v108, -v99, v107, 1.0
	s_delay_alu instid0(VALU_DEP_1) | instskip(NEXT) | instid1(VALU_DEP_1)
	v_fmac_f32_e32 v107, v108, v107
	v_mul_f32_e32 v108, v109, v107
	s_delay_alu instid0(VALU_DEP_1) | instskip(NEXT) | instid1(VALU_DEP_1)
	v_fma_f32 v110, -v99, v108, v109
	v_fmac_f32_e32 v108, v110, v107
	s_delay_alu instid0(VALU_DEP_1) | instskip(NEXT) | instid1(VALU_DEP_1)
	v_fma_f32 v99, -v99, v108, v109
	v_div_fmas_f32 v99, v99, v107, v108
	s_delay_alu instid0(VALU_DEP_1) | instskip(NEXT) | instid1(VALU_DEP_1)
	v_div_fixup_f32 v99, v99, v101, v100
	v_fmac_f32_e32 v101, v100, v99
	s_delay_alu instid0(VALU_DEP_1) | instskip(SKIP_1) | instid1(VALU_DEP_2)
	v_div_scale_f32 v100, null, v101, v101, 1.0
	v_div_scale_f32 v109, vcc_lo, 1.0, v101, 1.0
	v_rcp_f32_e32 v107, v100
	v_nop
	s_delay_alu instid0(TRANS32_DEP_1) | instskip(NEXT) | instid1(VALU_DEP_1)
	v_fma_f32 v108, -v100, v107, 1.0
	v_fmac_f32_e32 v107, v108, v107
	s_delay_alu instid0(VALU_DEP_1) | instskip(NEXT) | instid1(VALU_DEP_1)
	v_mul_f32_e32 v108, v109, v107
	v_fma_f32 v110, -v100, v108, v109
	s_delay_alu instid0(VALU_DEP_1) | instskip(NEXT) | instid1(VALU_DEP_1)
	v_fmac_f32_e32 v108, v110, v107
	v_fma_f32 v100, -v100, v108, v109
	s_delay_alu instid0(VALU_DEP_1) | instskip(NEXT) | instid1(VALU_DEP_1)
	v_div_fmas_f32 v100, v100, v107, v108
	v_div_fixup_f32 v101, v100, v101, 1.0
	s_delay_alu instid0(VALU_DEP_1)
	v_mul_f32_e32 v100, v99, v101
	v_xor_b32_e32 v101, 0x80000000, v101
.LBB90_448:
	s_and_not1_saveexec_b32 s1, s1
	s_cbranch_execz .LBB90_450
; %bb.449:
	s_delay_alu instid0(VALU_DEP_1) | instskip(SKIP_1) | instid1(VALU_DEP_2)
	v_div_scale_f32 v99, null, v100, v100, v101
	v_div_scale_f32 v109, vcc_lo, v101, v100, v101
	v_rcp_f32_e32 v107, v99
	v_nop
	s_delay_alu instid0(TRANS32_DEP_1) | instskip(NEXT) | instid1(VALU_DEP_1)
	v_fma_f32 v108, -v99, v107, 1.0
	v_fmac_f32_e32 v107, v108, v107
	s_delay_alu instid0(VALU_DEP_1) | instskip(NEXT) | instid1(VALU_DEP_1)
	v_mul_f32_e32 v108, v109, v107
	v_fma_f32 v110, -v99, v108, v109
	s_delay_alu instid0(VALU_DEP_1) | instskip(NEXT) | instid1(VALU_DEP_1)
	v_fmac_f32_e32 v108, v110, v107
	v_fma_f32 v99, -v99, v108, v109
	s_delay_alu instid0(VALU_DEP_1) | instskip(NEXT) | instid1(VALU_DEP_1)
	v_div_fmas_f32 v99, v99, v107, v108
	v_div_fixup_f32 v99, v99, v100, v101
	s_delay_alu instid0(VALU_DEP_1) | instskip(NEXT) | instid1(VALU_DEP_1)
	v_fmac_f32_e32 v100, v101, v99
	v_div_scale_f32 v101, null, v100, v100, 1.0
	s_delay_alu instid0(VALU_DEP_1) | instskip(SKIP_1) | instid1(TRANS32_DEP_1)
	v_rcp_f32_e32 v107, v101
	v_nop
	v_fma_f32 v108, -v101, v107, 1.0
	s_delay_alu instid0(VALU_DEP_1) | instskip(SKIP_1) | instid1(VALU_DEP_1)
	v_fmac_f32_e32 v107, v108, v107
	v_div_scale_f32 v108, vcc_lo, 1.0, v100, 1.0
	v_mul_f32_e32 v109, v108, v107
	s_delay_alu instid0(VALU_DEP_1) | instskip(NEXT) | instid1(VALU_DEP_1)
	v_fma_f32 v110, -v101, v109, v108
	v_fmac_f32_e32 v109, v110, v107
	s_delay_alu instid0(VALU_DEP_1) | instskip(NEXT) | instid1(VALU_DEP_1)
	v_fma_f32 v101, -v101, v109, v108
	v_div_fmas_f32 v101, v101, v107, v109
	s_delay_alu instid0(VALU_DEP_1) | instskip(NEXT) | instid1(VALU_DEP_1)
	v_div_fixup_f32 v100, v101, v100, 1.0
	v_mul_f32_e64 v101, v99, -v100
.LBB90_450:
	s_or_b32 exec_lo, exec_lo, s1
.LBB90_451:
	s_delay_alu instid0(SALU_CYCLE_1) | instskip(NEXT) | instid1(SALU_CYCLE_1)
	s_or_b32 exec_lo, exec_lo, s0
	s_mov_b32 s0, exec_lo
	v_cmpx_ne_u32_e64 v106, v98
	s_xor_b32 s0, exec_lo, s0
	s_cbranch_execz .LBB90_457
; %bb.452:
	s_mov_b32 s1, exec_lo
	v_cmpx_eq_u32_e32 21, v106
	s_cbranch_execz .LBB90_456
; %bb.453:
	v_cmp_ne_u32_e32 vcc_lo, 21, v98
	s_xor_b32 s12, s16, -1
	s_delay_alu instid0(SALU_CYCLE_1) | instskip(NEXT) | instid1(SALU_CYCLE_1)
	s_and_b32 s13, s12, vcc_lo
	s_and_saveexec_b32 s12, s13
	s_cbranch_execz .LBB90_455
; %bb.454:
	v_ashrrev_i32_e32 v99, 31, v98
	s_delay_alu instid0(VALU_DEP_1)
	v_lshl_add_u64 v[106:107], v[98:99], 2, v[4:5]
	s_clause 0x1
	global_load_b32 v99, v[106:107], off
	global_load_b32 v105, v[4:5], off offset:84
	s_wait_loadcnt 0x1
	global_store_b32 v[4:5], v99, off offset:84
	s_wait_loadcnt 0x0
	global_store_b32 v[106:107], v105, off
.LBB90_455:
	s_wait_xcnt 0x0
	s_or_b32 exec_lo, exec_lo, s12
	v_dual_mov_b32 v106, v98 :: v_dual_mov_b32 v105, v98
.LBB90_456:
	s_or_b32 exec_lo, exec_lo, s1
.LBB90_457:
	s_and_not1_saveexec_b32 s0, s0
	s_cbranch_execz .LBB90_459
; %bb.458:
	v_dual_mov_b32 v98, v52 :: v_dual_mov_b32 v99, v53
	v_dual_mov_b32 v106, v48 :: v_dual_mov_b32 v107, v49
	;; [unrolled: 1-line block ×4, first 2 shown]
	ds_store_2addr_b64 v102, v[98:99], v[106:107] offset0:22 offset1:23
	ds_store_2addr_b64 v102, v[108:109], v[110:111] offset0:24 offset1:25
	v_dual_mov_b32 v98, v46 :: v_dual_mov_b32 v99, v47
	v_dual_mov_b32 v106, v42 :: v_dual_mov_b32 v107, v43
	;; [unrolled: 1-line block ×12, first 2 shown]
	ds_store_2addr_b64 v102, v[98:99], v[106:107] offset0:26 offset1:27
	ds_store_2addr_b64 v102, v[108:109], v[110:111] offset0:28 offset1:29
	;; [unrolled: 1-line block ×6, first 2 shown]
	v_dual_mov_b32 v98, v12 :: v_dual_mov_b32 v99, v13
	v_dual_mov_b32 v108, v8 :: v_dual_mov_b32 v109, v9
	;; [unrolled: 1-line block ×7, first 2 shown]
	v_mov_b32_e32 v119, v15
	ds_store_2addr_b64 v102, v[98:99], v[108:109] offset0:38 offset1:39
	ds_store_2addr_b64 v102, v[110:111], v[112:113] offset0:40 offset1:41
	;; [unrolled: 1-line block ×4, first 2 shown]
.LBB90_459:
	s_or_b32 exec_lo, exec_lo, s0
	s_delay_alu instid0(SALU_CYCLE_1)
	s_mov_b32 s0, exec_lo
	s_wait_storecnt_dscnt 0x0
	s_barrier_signal -1
	s_barrier_wait -1
	v_cmpx_lt_i32_e32 21, v106
	s_cbranch_execz .LBB90_461
; %bb.460:
	v_pk_mul_f32 v[108:109], v[100:101], v[50:51] op_sel:[1,1] op_sel_hi:[0,1]
	s_delay_alu instid0(VALU_DEP_1)
	v_pk_fma_f32 v[98:99], v[100:101], v[50:51], v[108:109] op_sel_hi:[1,0,1] neg_lo:[0,0,1] neg_hi:[0,0,1]
	v_pk_fma_f32 v[100:101], v[100:101], v[50:51], v[108:109] op_sel_hi:[1,0,1]
	ds_load_2addr_b64 v[108:111], v102 offset0:22 offset1:23
	v_dual_mov_b32 v50, v98 :: v_dual_mov_b32 v51, v101
	s_wait_dscnt 0x0
	v_pk_mul_f32 v[112:113], v[108:109], v[100:101] op_sel:[0,1]
	s_delay_alu instid0(VALU_DEP_1) | instskip(SKIP_1) | instid1(VALU_DEP_1)
	v_pk_fma_f32 v[114:115], v[108:109], v[98:99], v[112:113] op_sel:[0,0,1] op_sel_hi:[1,1,0] neg_lo:[0,0,1] neg_hi:[0,0,1]
	v_pk_fma_f32 v[108:109], v[108:109], v[98:99], v[112:113] op_sel:[0,0,1] op_sel_hi:[1,0,0]
	v_mov_b32_e32 v115, v109
	v_pk_mul_f32 v[108:109], v[110:111], v[100:101] op_sel:[0,1]
	s_delay_alu instid0(VALU_DEP_1) | instskip(SKIP_1) | instid1(VALU_DEP_1)
	v_pk_fma_f32 v[112:113], v[110:111], v[98:99], v[108:109] op_sel:[0,0,1] op_sel_hi:[1,1,0] neg_lo:[0,0,1] neg_hi:[0,0,1]
	v_pk_fma_f32 v[108:109], v[110:111], v[98:99], v[108:109] op_sel:[0,0,1] op_sel_hi:[1,0,0]
	v_mov_b32_e32 v113, v109
	ds_load_2addr_b64 v[108:111], v102 offset0:24 offset1:25
	v_pk_add_f32 v[52:53], v[52:53], v[114:115] neg_lo:[0,1] neg_hi:[0,1]
	v_pk_add_f32 v[48:49], v[48:49], v[112:113] neg_lo:[0,1] neg_hi:[0,1]
	s_wait_dscnt 0x0
	v_pk_mul_f32 v[112:113], v[108:109], v[100:101] op_sel:[0,1]
	s_delay_alu instid0(VALU_DEP_1) | instskip(SKIP_2) | instid1(VALU_DEP_2)
	v_pk_fma_f32 v[114:115], v[108:109], v[98:99], v[112:113] op_sel:[0,0,1] op_sel_hi:[1,1,0] neg_lo:[0,0,1] neg_hi:[0,0,1]
	v_pk_fma_f32 v[108:109], v[108:109], v[98:99], v[112:113] op_sel:[0,0,1] op_sel_hi:[1,0,0]
	v_dual_mul_f32 v112, v111, v101 :: v_dual_mov_b32 v108, v111
	v_dual_mov_b32 v115, v109 :: v_dual_mov_b32 v109, v110
	s_delay_alu instid0(VALU_DEP_2) | instskip(SKIP_1) | instid1(VALU_DEP_3)
	v_pk_fma_f32 v[112:113], v[110:111], v[50:51], v[112:113] op_sel_hi:[1,1,0] neg_lo:[0,0,1] neg_hi:[0,0,1]
	v_mul_f32_e32 v110, v111, v98
	v_pk_add_f32 v[80:81], v[80:81], v[114:115] neg_lo:[0,1] neg_hi:[0,1]
	s_delay_alu instid0(VALU_DEP_2) | instskip(NEXT) | instid1(VALU_DEP_1)
	v_pk_fma_f32 v[108:109], v[108:109], v[50:51], v[110:111] op_sel_hi:[1,1,0]
	v_mov_b32_e32 v113, v109
	ds_load_2addr_b64 v[108:111], v102 offset0:26 offset1:27
	v_pk_add_f32 v[44:45], v[44:45], v[112:113] neg_lo:[0,1] neg_hi:[0,1]
	s_wait_dscnt 0x0
	v_pk_mul_f32 v[112:113], v[108:109], v[100:101] op_sel:[0,1]
	s_delay_alu instid0(VALU_DEP_1) | instskip(SKIP_1) | instid1(VALU_DEP_1)
	v_pk_fma_f32 v[114:115], v[108:109], v[98:99], v[112:113] op_sel:[0,0,1] op_sel_hi:[1,1,0] neg_lo:[0,0,1] neg_hi:[0,0,1]
	v_pk_fma_f32 v[108:109], v[108:109], v[98:99], v[112:113] op_sel:[0,0,1] op_sel_hi:[1,0,0]
	v_mov_b32_e32 v115, v109
	v_pk_mul_f32 v[108:109], v[110:111], v[100:101] op_sel:[0,1]
	s_delay_alu instid0(VALU_DEP_1) | instskip(SKIP_1) | instid1(VALU_DEP_1)
	v_pk_fma_f32 v[112:113], v[110:111], v[98:99], v[108:109] op_sel:[0,0,1] op_sel_hi:[1,1,0] neg_lo:[0,0,1] neg_hi:[0,0,1]
	v_pk_fma_f32 v[108:109], v[110:111], v[98:99], v[108:109] op_sel:[0,0,1] op_sel_hi:[1,0,0]
	v_mov_b32_e32 v113, v109
	ds_load_2addr_b64 v[108:111], v102 offset0:28 offset1:29
	v_pk_add_f32 v[46:47], v[46:47], v[114:115] neg_lo:[0,1] neg_hi:[0,1]
	v_pk_add_f32 v[42:43], v[42:43], v[112:113] neg_lo:[0,1] neg_hi:[0,1]
	s_wait_dscnt 0x0
	v_pk_mul_f32 v[112:113], v[108:109], v[100:101] op_sel:[0,1]
	s_delay_alu instid0(VALU_DEP_1) | instskip(SKIP_1) | instid1(VALU_DEP_1)
	v_pk_fma_f32 v[114:115], v[108:109], v[98:99], v[112:113] op_sel:[0,0,1] op_sel_hi:[1,1,0] neg_lo:[0,0,1] neg_hi:[0,0,1]
	v_pk_fma_f32 v[108:109], v[108:109], v[98:99], v[112:113] op_sel:[0,0,1] op_sel_hi:[1,0,0]
	v_mov_b32_e32 v115, v109
	v_pk_mul_f32 v[108:109], v[110:111], v[100:101] op_sel:[0,1]
	s_delay_alu instid0(VALU_DEP_1) | instskip(SKIP_1) | instid1(VALU_DEP_1)
	v_pk_fma_f32 v[112:113], v[110:111], v[98:99], v[108:109] op_sel:[0,0,1] op_sel_hi:[1,1,0] neg_lo:[0,0,1] neg_hi:[0,0,1]
	v_pk_fma_f32 v[108:109], v[110:111], v[98:99], v[108:109] op_sel:[0,0,1] op_sel_hi:[1,0,0]
	v_mov_b32_e32 v113, v109
	ds_load_2addr_b64 v[108:111], v102 offset0:30 offset1:31
	v_pk_add_f32 v[76:77], v[76:77], v[114:115] neg_lo:[0,1] neg_hi:[0,1]
	v_pk_add_f32 v[30:31], v[30:31], v[112:113] neg_lo:[0,1] neg_hi:[0,1]
	s_wait_dscnt 0x0
	v_dual_mul_f32 v112, v109, v101 :: v_dual_mul_f32 v114, v109, v98
	s_delay_alu instid0(VALU_DEP_1) | instskip(NEXT) | instid1(VALU_DEP_2)
	v_pk_fma_f32 v[112:113], v[108:109], v[50:51], v[112:113] op_sel_hi:[1,1,0] neg_lo:[0,0,1] neg_hi:[0,0,1]
	v_pk_fma_f32 v[108:109], v[108:109], v[50:51], v[114:115] op_sel:[1,0,0] op_sel_hi:[0,1,0]
	s_delay_alu instid0(VALU_DEP_1) | instskip(SKIP_1) | instid1(VALU_DEP_2)
	v_mov_b32_e32 v113, v109
	v_pk_mul_f32 v[108:109], v[110:111], v[100:101] op_sel:[0,1]
	v_pk_add_f32 v[36:37], v[36:37], v[112:113] neg_lo:[0,1] neg_hi:[0,1]
	s_delay_alu instid0(VALU_DEP_2) | instskip(SKIP_1) | instid1(VALU_DEP_1)
	v_pk_fma_f32 v[112:113], v[110:111], v[98:99], v[108:109] op_sel:[0,0,1] op_sel_hi:[1,1,0] neg_lo:[0,0,1] neg_hi:[0,0,1]
	v_pk_fma_f32 v[108:109], v[110:111], v[98:99], v[108:109] op_sel:[0,0,1] op_sel_hi:[1,0,0]
	v_mov_b32_e32 v113, v109
	ds_load_2addr_b64 v[108:111], v102 offset0:32 offset1:33
	v_pk_add_f32 v[28:29], v[28:29], v[112:113] neg_lo:[0,1] neg_hi:[0,1]
	s_wait_dscnt 0x0
	v_pk_mul_f32 v[112:113], v[108:109], v[100:101] op_sel:[0,1]
	s_delay_alu instid0(VALU_DEP_1) | instskip(SKIP_1) | instid1(VALU_DEP_1)
	v_pk_fma_f32 v[114:115], v[108:109], v[98:99], v[112:113] op_sel:[0,0,1] op_sel_hi:[1,1,0] neg_lo:[0,0,1] neg_hi:[0,0,1]
	v_pk_fma_f32 v[108:109], v[108:109], v[98:99], v[112:113] op_sel:[0,0,1] op_sel_hi:[1,0,0]
	v_mov_b32_e32 v115, v109
	v_pk_mul_f32 v[108:109], v[110:111], v[100:101] op_sel:[0,1]
	s_delay_alu instid0(VALU_DEP_2) | instskip(NEXT) | instid1(VALU_DEP_2)
	v_pk_add_f32 v[72:73], v[72:73], v[114:115] neg_lo:[0,1] neg_hi:[0,1]
	v_pk_fma_f32 v[112:113], v[110:111], v[98:99], v[108:109] op_sel:[0,0,1] op_sel_hi:[1,1,0] neg_lo:[0,0,1] neg_hi:[0,0,1]
	v_pk_fma_f32 v[108:109], v[110:111], v[98:99], v[108:109] op_sel:[0,0,1] op_sel_hi:[1,0,0]
	s_delay_alu instid0(VALU_DEP_1) | instskip(SKIP_4) | instid1(VALU_DEP_1)
	v_mov_b32_e32 v113, v109
	ds_load_2addr_b64 v[108:111], v102 offset0:34 offset1:35
	v_pk_add_f32 v[18:19], v[18:19], v[112:113] neg_lo:[0,1] neg_hi:[0,1]
	s_wait_dscnt 0x0
	v_pk_mul_f32 v[112:113], v[108:109], v[100:101] op_sel:[0,1]
	v_pk_fma_f32 v[114:115], v[108:109], v[98:99], v[112:113] op_sel:[0,0,1] op_sel_hi:[1,1,0] neg_lo:[0,0,1] neg_hi:[0,0,1]
	v_pk_fma_f32 v[108:109], v[108:109], v[98:99], v[112:113] op_sel:[0,0,1] op_sel_hi:[1,0,0]
	v_dual_mul_f32 v112, v111, v101 :: v_dual_mov_b32 v108, v111
	s_delay_alu instid0(VALU_DEP_2) | instskip(NEXT) | instid1(VALU_DEP_2)
	v_dual_mov_b32 v115, v109 :: v_dual_mov_b32 v109, v110
	v_pk_fma_f32 v[112:113], v[110:111], v[50:51], v[112:113] op_sel_hi:[1,1,0] neg_lo:[0,0,1] neg_hi:[0,0,1]
	v_mul_f32_e32 v110, v111, v98
	s_delay_alu instid0(VALU_DEP_3) | instskip(NEXT) | instid1(VALU_DEP_2)
	v_pk_add_f32 v[24:25], v[24:25], v[114:115] neg_lo:[0,1] neg_hi:[0,1]
	v_pk_fma_f32 v[108:109], v[108:109], v[50:51], v[110:111] op_sel_hi:[1,1,0]
	s_delay_alu instid0(VALU_DEP_1) | instskip(SKIP_4) | instid1(VALU_DEP_1)
	v_mov_b32_e32 v113, v109
	ds_load_2addr_b64 v[108:111], v102 offset0:36 offset1:37
	v_pk_add_f32 v[16:17], v[16:17], v[112:113] neg_lo:[0,1] neg_hi:[0,1]
	s_wait_dscnt 0x0
	v_pk_mul_f32 v[112:113], v[108:109], v[100:101] op_sel:[0,1]
	v_pk_fma_f32 v[114:115], v[108:109], v[98:99], v[112:113] op_sel:[0,0,1] op_sel_hi:[1,1,0] neg_lo:[0,0,1] neg_hi:[0,0,1]
	v_pk_fma_f32 v[108:109], v[108:109], v[98:99], v[112:113] op_sel:[0,0,1] op_sel_hi:[1,0,0]
	s_delay_alu instid0(VALU_DEP_1) | instskip(SKIP_1) | instid1(VALU_DEP_1)
	v_mov_b32_e32 v115, v109
	v_pk_mul_f32 v[108:109], v[110:111], v[100:101] op_sel:[0,1]
	v_pk_fma_f32 v[112:113], v[110:111], v[98:99], v[108:109] op_sel:[0,0,1] op_sel_hi:[1,1,0] neg_lo:[0,0,1] neg_hi:[0,0,1]
	v_pk_fma_f32 v[108:109], v[110:111], v[98:99], v[108:109] op_sel:[0,0,1] op_sel_hi:[1,0,0]
	s_delay_alu instid0(VALU_DEP_1)
	v_mov_b32_e32 v113, v109
	ds_load_2addr_b64 v[108:111], v102 offset0:38 offset1:39
	v_pk_add_f32 v[70:71], v[70:71], v[114:115] neg_lo:[0,1] neg_hi:[0,1]
	v_pk_add_f32 v[10:11], v[10:11], v[112:113] neg_lo:[0,1] neg_hi:[0,1]
	s_wait_dscnt 0x0
	v_pk_mul_f32 v[112:113], v[108:109], v[100:101] op_sel:[0,1]
	s_delay_alu instid0(VALU_DEP_1) | instskip(SKIP_1) | instid1(VALU_DEP_1)
	v_pk_fma_f32 v[114:115], v[108:109], v[98:99], v[112:113] op_sel:[0,0,1] op_sel_hi:[1,1,0] neg_lo:[0,0,1] neg_hi:[0,0,1]
	v_pk_fma_f32 v[108:109], v[108:109], v[98:99], v[112:113] op_sel:[0,0,1] op_sel_hi:[1,0,0]
	v_mov_b32_e32 v115, v109
	v_pk_mul_f32 v[108:109], v[110:111], v[100:101] op_sel:[0,1]
	s_delay_alu instid0(VALU_DEP_1) | instskip(SKIP_1) | instid1(VALU_DEP_1)
	v_pk_fma_f32 v[112:113], v[110:111], v[98:99], v[108:109] op_sel:[0,0,1] op_sel_hi:[1,1,0] neg_lo:[0,0,1] neg_hi:[0,0,1]
	v_pk_fma_f32 v[108:109], v[110:111], v[98:99], v[108:109] op_sel:[0,0,1] op_sel_hi:[1,0,0]
	v_mov_b32_e32 v113, v109
	ds_load_2addr_b64 v[108:111], v102 offset0:40 offset1:41
	v_pk_add_f32 v[12:13], v[12:13], v[114:115] neg_lo:[0,1] neg_hi:[0,1]
	v_pk_add_f32 v[8:9], v[8:9], v[112:113] neg_lo:[0,1] neg_hi:[0,1]
	s_wait_dscnt 0x0
	v_dual_mul_f32 v112, v109, v101 :: v_dual_mul_f32 v114, v109, v98
	s_delay_alu instid0(VALU_DEP_1) | instskip(NEXT) | instid1(VALU_DEP_2)
	v_pk_fma_f32 v[112:113], v[108:109], v[50:51], v[112:113] op_sel_hi:[1,1,0] neg_lo:[0,0,1] neg_hi:[0,0,1]
	v_pk_fma_f32 v[108:109], v[108:109], v[50:51], v[114:115] op_sel:[1,0,0] op_sel_hi:[0,1,0]
	s_delay_alu instid0(VALU_DEP_1) | instskip(SKIP_1) | instid1(VALU_DEP_2)
	v_mov_b32_e32 v113, v109
	v_pk_mul_f32 v[108:109], v[110:111], v[100:101] op_sel:[0,1]
	v_pk_add_f32 v[68:69], v[68:69], v[112:113] neg_lo:[0,1] neg_hi:[0,1]
	s_delay_alu instid0(VALU_DEP_2) | instskip(SKIP_1) | instid1(VALU_DEP_1)
	v_pk_fma_f32 v[112:113], v[110:111], v[98:99], v[108:109] op_sel:[0,0,1] op_sel_hi:[1,1,0] neg_lo:[0,0,1] neg_hi:[0,0,1]
	v_pk_fma_f32 v[108:109], v[110:111], v[98:99], v[108:109] op_sel:[0,0,1] op_sel_hi:[1,0,0]
	v_mov_b32_e32 v113, v109
	ds_load_2addr_b64 v[108:111], v102 offset0:42 offset1:43
	v_pk_add_f32 v[6:7], v[6:7], v[112:113] neg_lo:[0,1] neg_hi:[0,1]
	s_wait_dscnt 0x0
	v_pk_mul_f32 v[112:113], v[108:109], v[100:101] op_sel:[0,1]
	s_delay_alu instid0(VALU_DEP_1) | instskip(SKIP_1) | instid1(VALU_DEP_1)
	v_pk_fma_f32 v[114:115], v[108:109], v[98:99], v[112:113] op_sel:[0,0,1] op_sel_hi:[1,1,0] neg_lo:[0,0,1] neg_hi:[0,0,1]
	v_pk_fma_f32 v[108:109], v[108:109], v[98:99], v[112:113] op_sel:[0,0,1] op_sel_hi:[1,0,0]
	v_mov_b32_e32 v115, v109
	v_pk_mul_f32 v[108:109], v[110:111], v[100:101] op_sel:[0,1]
	s_delay_alu instid0(VALU_DEP_2) | instskip(NEXT) | instid1(VALU_DEP_2)
	v_pk_add_f32 v[54:55], v[54:55], v[114:115] neg_lo:[0,1] neg_hi:[0,1]
	v_pk_fma_f32 v[112:113], v[110:111], v[98:99], v[108:109] op_sel:[0,0,1] op_sel_hi:[1,1,0] neg_lo:[0,0,1] neg_hi:[0,0,1]
	v_pk_fma_f32 v[108:109], v[110:111], v[98:99], v[108:109] op_sel:[0,0,1] op_sel_hi:[1,0,0]
	s_delay_alu instid0(VALU_DEP_1)
	v_mov_b32_e32 v113, v109
	ds_load_2addr_b64 v[108:111], v102 offset0:44 offset1:45
	v_pk_add_f32 v[40:41], v[40:41], v[112:113] neg_lo:[0,1] neg_hi:[0,1]
	s_wait_dscnt 0x0
	v_pk_mul_f32 v[112:113], v[108:109], v[100:101] op_sel:[0,1]
	v_mul_f32_e32 v100, v111, v101
	s_delay_alu instid0(VALU_DEP_2) | instskip(SKIP_2) | instid1(VALU_DEP_4)
	v_pk_fma_f32 v[114:115], v[108:109], v[98:99], v[112:113] op_sel:[0,0,1] op_sel_hi:[1,1,0] neg_lo:[0,0,1] neg_hi:[0,0,1]
	v_pk_fma_f32 v[108:109], v[108:109], v[98:99], v[112:113] op_sel:[0,0,1] op_sel_hi:[1,0,0]
	v_dual_mov_b32 v108, v111 :: v_dual_mul_f32 v98, v111, v98
	v_pk_fma_f32 v[100:101], v[110:111], v[50:51], v[100:101] op_sel_hi:[1,1,0] neg_lo:[0,0,1] neg_hi:[0,0,1]
	s_delay_alu instid0(VALU_DEP_3) | instskip(NEXT) | instid1(VALU_DEP_1)
	v_dual_mov_b32 v115, v109 :: v_dual_mov_b32 v109, v110
	v_pk_add_f32 v[14:15], v[14:15], v[114:115] neg_lo:[0,1] neg_hi:[0,1]
	s_delay_alu instid0(VALU_DEP_2) | instskip(NEXT) | instid1(VALU_DEP_1)
	v_pk_fma_f32 v[98:99], v[108:109], v[50:51], v[98:99] op_sel_hi:[1,1,0]
	v_mov_b32_e32 v101, v99
	s_delay_alu instid0(VALU_DEP_1)
	v_pk_add_f32 v[96:97], v[96:97], v[100:101] neg_lo:[0,1] neg_hi:[0,1]
.LBB90_461:
	s_or_b32 exec_lo, exec_lo, s0
	v_lshl_add_u32 v98, v106, 3, v102
	s_barrier_signal -1
	s_barrier_wait -1
	ds_store_b64 v98, v[52:53]
	s_wait_dscnt 0x0
	s_barrier_signal -1
	s_barrier_wait -1
	ds_load_b64 v[100:101], v102 offset:176
	v_mov_b32_e32 v98, 22
	s_cmp_lt_i32 s18, 24
	s_cbranch_scc1 .LBB90_464
; %bb.462:
	v_add3_u32 v99, v103, 0, 0xb8
	v_mov_b32_e32 v98, 22
	s_mov_b32 s0, 23
.LBB90_463:                             ; =>This Inner Loop Header: Depth=1
	ds_load_b64 v[108:109], v99
	s_wait_dscnt 0x1
	v_cmp_gt_f32_e32 vcc_lo, 0, v100
	v_cndmask_b32_e64 v110, v100, -v100, vcc_lo
	v_cmp_gt_f32_e32 vcc_lo, 0, v101
	v_cndmask_b32_e64 v112, v101, -v101, vcc_lo
	s_wait_dscnt 0x0
	v_cmp_gt_f32_e32 vcc_lo, 0, v108
	v_cndmask_b32_e64 v111, v108, -v108, vcc_lo
	v_cmp_gt_f32_e32 vcc_lo, 0, v109
	v_cndmask_b32_e64 v113, v109, -v109, vcc_lo
	s_delay_alu instid0(VALU_DEP_1) | instskip(NEXT) | instid1(VALU_DEP_1)
	v_pk_add_f32 v[110:111], v[110:111], v[112:113]
	v_cmp_lt_f32_e32 vcc_lo, v110, v111
	v_dual_add_nc_u32 v99, 8, v99 :: v_dual_cndmask_b32 v101, v101, v109, vcc_lo
	v_cndmask_b32_e32 v100, v100, v108, vcc_lo
	v_cndmask_b32_e64 v98, v98, s0, vcc_lo
	s_add_co_i32 s0, s0, 1
	s_delay_alu instid0(SALU_CYCLE_1)
	s_cmp_lg_u32 s18, s0
	s_cbranch_scc1 .LBB90_463
.LBB90_464:
	s_wait_dscnt 0x0
	v_cmp_eq_f32_e32 vcc_lo, 0, v100
	v_cmp_eq_f32_e64 s0, 0, v101
	s_and_b32 s0, vcc_lo, s0
	s_delay_alu instid0(SALU_CYCLE_1) | instskip(NEXT) | instid1(SALU_CYCLE_1)
	s_and_saveexec_b32 s1, s0
	s_xor_b32 s0, exec_lo, s1
; %bb.465:
	v_cmp_ne_u32_e32 vcc_lo, 0, v104
	v_cndmask_b32_e32 v104, 23, v104, vcc_lo
; %bb.466:
	s_and_not1_saveexec_b32 s0, s0
	s_cbranch_execz .LBB90_472
; %bb.467:
	v_cmp_ngt_f32_e64 s1, |v100|, |v101|
	s_and_saveexec_b32 s12, s1
	s_delay_alu instid0(SALU_CYCLE_1)
	s_xor_b32 s1, exec_lo, s12
	s_cbranch_execz .LBB90_469
; %bb.468:
	v_div_scale_f32 v99, null, v101, v101, v100
	v_div_scale_f32 v109, vcc_lo, v100, v101, v100
	s_delay_alu instid0(VALU_DEP_2) | instskip(SKIP_1) | instid1(TRANS32_DEP_1)
	v_rcp_f32_e32 v107, v99
	v_nop
	v_fma_f32 v108, -v99, v107, 1.0
	s_delay_alu instid0(VALU_DEP_1) | instskip(NEXT) | instid1(VALU_DEP_1)
	v_fmac_f32_e32 v107, v108, v107
	v_mul_f32_e32 v108, v109, v107
	s_delay_alu instid0(VALU_DEP_1) | instskip(NEXT) | instid1(VALU_DEP_1)
	v_fma_f32 v110, -v99, v108, v109
	v_fmac_f32_e32 v108, v110, v107
	s_delay_alu instid0(VALU_DEP_1) | instskip(NEXT) | instid1(VALU_DEP_1)
	v_fma_f32 v99, -v99, v108, v109
	v_div_fmas_f32 v99, v99, v107, v108
	s_delay_alu instid0(VALU_DEP_1) | instskip(NEXT) | instid1(VALU_DEP_1)
	v_div_fixup_f32 v99, v99, v101, v100
	v_fmac_f32_e32 v101, v100, v99
	s_delay_alu instid0(VALU_DEP_1) | instskip(SKIP_1) | instid1(VALU_DEP_2)
	v_div_scale_f32 v100, null, v101, v101, 1.0
	v_div_scale_f32 v109, vcc_lo, 1.0, v101, 1.0
	v_rcp_f32_e32 v107, v100
	v_nop
	s_delay_alu instid0(TRANS32_DEP_1) | instskip(NEXT) | instid1(VALU_DEP_1)
	v_fma_f32 v108, -v100, v107, 1.0
	v_fmac_f32_e32 v107, v108, v107
	s_delay_alu instid0(VALU_DEP_1) | instskip(NEXT) | instid1(VALU_DEP_1)
	v_mul_f32_e32 v108, v109, v107
	v_fma_f32 v110, -v100, v108, v109
	s_delay_alu instid0(VALU_DEP_1) | instskip(NEXT) | instid1(VALU_DEP_1)
	v_fmac_f32_e32 v108, v110, v107
	v_fma_f32 v100, -v100, v108, v109
	s_delay_alu instid0(VALU_DEP_1) | instskip(NEXT) | instid1(VALU_DEP_1)
	v_div_fmas_f32 v100, v100, v107, v108
	v_div_fixup_f32 v101, v100, v101, 1.0
	s_delay_alu instid0(VALU_DEP_1)
	v_mul_f32_e32 v100, v99, v101
	v_xor_b32_e32 v101, 0x80000000, v101
.LBB90_469:
	s_and_not1_saveexec_b32 s1, s1
	s_cbranch_execz .LBB90_471
; %bb.470:
	s_delay_alu instid0(VALU_DEP_1) | instskip(SKIP_1) | instid1(VALU_DEP_2)
	v_div_scale_f32 v99, null, v100, v100, v101
	v_div_scale_f32 v109, vcc_lo, v101, v100, v101
	v_rcp_f32_e32 v107, v99
	v_nop
	s_delay_alu instid0(TRANS32_DEP_1) | instskip(NEXT) | instid1(VALU_DEP_1)
	v_fma_f32 v108, -v99, v107, 1.0
	v_fmac_f32_e32 v107, v108, v107
	s_delay_alu instid0(VALU_DEP_1) | instskip(NEXT) | instid1(VALU_DEP_1)
	v_mul_f32_e32 v108, v109, v107
	v_fma_f32 v110, -v99, v108, v109
	s_delay_alu instid0(VALU_DEP_1) | instskip(NEXT) | instid1(VALU_DEP_1)
	v_fmac_f32_e32 v108, v110, v107
	v_fma_f32 v99, -v99, v108, v109
	s_delay_alu instid0(VALU_DEP_1) | instskip(NEXT) | instid1(VALU_DEP_1)
	v_div_fmas_f32 v99, v99, v107, v108
	v_div_fixup_f32 v99, v99, v100, v101
	s_delay_alu instid0(VALU_DEP_1) | instskip(NEXT) | instid1(VALU_DEP_1)
	v_fmac_f32_e32 v100, v101, v99
	v_div_scale_f32 v101, null, v100, v100, 1.0
	s_delay_alu instid0(VALU_DEP_1) | instskip(SKIP_1) | instid1(TRANS32_DEP_1)
	v_rcp_f32_e32 v107, v101
	v_nop
	v_fma_f32 v108, -v101, v107, 1.0
	s_delay_alu instid0(VALU_DEP_1) | instskip(SKIP_1) | instid1(VALU_DEP_1)
	v_fmac_f32_e32 v107, v108, v107
	v_div_scale_f32 v108, vcc_lo, 1.0, v100, 1.0
	v_mul_f32_e32 v109, v108, v107
	s_delay_alu instid0(VALU_DEP_1) | instskip(NEXT) | instid1(VALU_DEP_1)
	v_fma_f32 v110, -v101, v109, v108
	v_fmac_f32_e32 v109, v110, v107
	s_delay_alu instid0(VALU_DEP_1) | instskip(NEXT) | instid1(VALU_DEP_1)
	v_fma_f32 v101, -v101, v109, v108
	v_div_fmas_f32 v101, v101, v107, v109
	s_delay_alu instid0(VALU_DEP_1) | instskip(NEXT) | instid1(VALU_DEP_1)
	v_div_fixup_f32 v100, v101, v100, 1.0
	v_mul_f32_e64 v101, v99, -v100
.LBB90_471:
	s_or_b32 exec_lo, exec_lo, s1
.LBB90_472:
	s_delay_alu instid0(SALU_CYCLE_1) | instskip(NEXT) | instid1(SALU_CYCLE_1)
	s_or_b32 exec_lo, exec_lo, s0
	s_mov_b32 s0, exec_lo
	v_cmpx_ne_u32_e64 v106, v98
	s_xor_b32 s0, exec_lo, s0
	s_cbranch_execz .LBB90_478
; %bb.473:
	s_mov_b32 s1, exec_lo
	v_cmpx_eq_u32_e32 22, v106
	s_cbranch_execz .LBB90_477
; %bb.474:
	v_cmp_ne_u32_e32 vcc_lo, 22, v98
	s_xor_b32 s12, s16, -1
	s_delay_alu instid0(SALU_CYCLE_1) | instskip(NEXT) | instid1(SALU_CYCLE_1)
	s_and_b32 s13, s12, vcc_lo
	s_and_saveexec_b32 s12, s13
	s_cbranch_execz .LBB90_476
; %bb.475:
	v_ashrrev_i32_e32 v99, 31, v98
	s_delay_alu instid0(VALU_DEP_1)
	v_lshl_add_u64 v[106:107], v[98:99], 2, v[4:5]
	s_clause 0x1
	global_load_b32 v99, v[106:107], off
	global_load_b32 v105, v[4:5], off offset:88
	s_wait_loadcnt 0x1
	global_store_b32 v[4:5], v99, off offset:88
	s_wait_loadcnt 0x0
	global_store_b32 v[106:107], v105, off
.LBB90_476:
	s_wait_xcnt 0x0
	s_or_b32 exec_lo, exec_lo, s12
	v_dual_mov_b32 v106, v98 :: v_dual_mov_b32 v105, v98
.LBB90_477:
	s_or_b32 exec_lo, exec_lo, s1
.LBB90_478:
	s_and_not1_saveexec_b32 s0, s0
	s_cbranch_execz .LBB90_480
; %bb.479:
	v_mov_b32_e32 v106, 22
	ds_store_2addr_b64 v102, v[48:49], v[80:81] offset0:23 offset1:24
	ds_store_2addr_b64 v102, v[44:45], v[46:47] offset0:25 offset1:26
	;; [unrolled: 1-line block ×11, first 2 shown]
	ds_store_b64 v102, v[96:97] offset:360
.LBB90_480:
	s_or_b32 exec_lo, exec_lo, s0
	s_delay_alu instid0(SALU_CYCLE_1)
	s_mov_b32 s0, exec_lo
	s_wait_storecnt_dscnt 0x0
	s_barrier_signal -1
	s_barrier_wait -1
	v_cmpx_lt_i32_e32 22, v106
	s_cbranch_execz .LBB90_482
; %bb.481:
	v_pk_mul_f32 v[108:109], v[100:101], v[52:53] op_sel:[1,1] op_sel_hi:[0,1]
	s_delay_alu instid0(VALU_DEP_1)
	v_pk_fma_f32 v[98:99], v[100:101], v[52:53], v[108:109] op_sel_hi:[1,0,1] neg_lo:[0,0,1] neg_hi:[0,0,1]
	v_pk_fma_f32 v[100:101], v[100:101], v[52:53], v[108:109] op_sel_hi:[1,0,1]
	ds_load_2addr_b64 v[108:111], v102 offset0:23 offset1:24
	v_dual_mov_b32 v52, v98 :: v_dual_mov_b32 v53, v101
	s_wait_dscnt 0x0
	v_pk_mul_f32 v[112:113], v[108:109], v[100:101] op_sel:[0,1]
	s_delay_alu instid0(VALU_DEP_1) | instskip(SKIP_1) | instid1(VALU_DEP_1)
	v_pk_fma_f32 v[114:115], v[108:109], v[98:99], v[112:113] op_sel:[0,0,1] op_sel_hi:[1,1,0] neg_lo:[0,0,1] neg_hi:[0,0,1]
	v_pk_fma_f32 v[108:109], v[108:109], v[98:99], v[112:113] op_sel:[0,0,1] op_sel_hi:[1,0,0]
	v_mov_b32_e32 v115, v109
	v_pk_mul_f32 v[108:109], v[110:111], v[100:101] op_sel:[0,1]
	s_delay_alu instid0(VALU_DEP_1) | instskip(SKIP_1) | instid1(VALU_DEP_1)
	v_pk_fma_f32 v[112:113], v[110:111], v[98:99], v[108:109] op_sel:[0,0,1] op_sel_hi:[1,1,0] neg_lo:[0,0,1] neg_hi:[0,0,1]
	v_pk_fma_f32 v[108:109], v[110:111], v[98:99], v[108:109] op_sel:[0,0,1] op_sel_hi:[1,0,0]
	v_mov_b32_e32 v113, v109
	ds_load_2addr_b64 v[108:111], v102 offset0:25 offset1:26
	v_pk_add_f32 v[48:49], v[48:49], v[114:115] neg_lo:[0,1] neg_hi:[0,1]
	v_pk_add_f32 v[80:81], v[80:81], v[112:113] neg_lo:[0,1] neg_hi:[0,1]
	s_wait_dscnt 0x0
	v_pk_mul_f32 v[112:113], v[108:109], v[100:101] op_sel:[0,1]
	s_delay_alu instid0(VALU_DEP_1) | instskip(SKIP_2) | instid1(VALU_DEP_2)
	v_pk_fma_f32 v[114:115], v[108:109], v[98:99], v[112:113] op_sel:[0,0,1] op_sel_hi:[1,1,0] neg_lo:[0,0,1] neg_hi:[0,0,1]
	v_pk_fma_f32 v[108:109], v[108:109], v[98:99], v[112:113] op_sel:[0,0,1] op_sel_hi:[1,0,0]
	v_dual_mul_f32 v112, v111, v101 :: v_dual_mov_b32 v108, v111
	v_dual_mov_b32 v115, v109 :: v_dual_mov_b32 v109, v110
	s_delay_alu instid0(VALU_DEP_2) | instskip(SKIP_1) | instid1(VALU_DEP_3)
	v_pk_fma_f32 v[112:113], v[110:111], v[52:53], v[112:113] op_sel_hi:[1,1,0] neg_lo:[0,0,1] neg_hi:[0,0,1]
	v_mul_f32_e32 v110, v111, v98
	v_pk_add_f32 v[44:45], v[44:45], v[114:115] neg_lo:[0,1] neg_hi:[0,1]
	s_delay_alu instid0(VALU_DEP_2) | instskip(NEXT) | instid1(VALU_DEP_1)
	v_pk_fma_f32 v[108:109], v[108:109], v[52:53], v[110:111] op_sel_hi:[1,1,0]
	v_mov_b32_e32 v113, v109
	ds_load_2addr_b64 v[108:111], v102 offset0:27 offset1:28
	v_pk_add_f32 v[46:47], v[46:47], v[112:113] neg_lo:[0,1] neg_hi:[0,1]
	s_wait_dscnt 0x0
	v_pk_mul_f32 v[112:113], v[108:109], v[100:101] op_sel:[0,1]
	s_delay_alu instid0(VALU_DEP_1) | instskip(SKIP_1) | instid1(VALU_DEP_1)
	v_pk_fma_f32 v[114:115], v[108:109], v[98:99], v[112:113] op_sel:[0,0,1] op_sel_hi:[1,1,0] neg_lo:[0,0,1] neg_hi:[0,0,1]
	v_pk_fma_f32 v[108:109], v[108:109], v[98:99], v[112:113] op_sel:[0,0,1] op_sel_hi:[1,0,0]
	v_mov_b32_e32 v115, v109
	v_pk_mul_f32 v[108:109], v[110:111], v[100:101] op_sel:[0,1]
	s_delay_alu instid0(VALU_DEP_1) | instskip(SKIP_1) | instid1(VALU_DEP_1)
	v_pk_fma_f32 v[112:113], v[110:111], v[98:99], v[108:109] op_sel:[0,0,1] op_sel_hi:[1,1,0] neg_lo:[0,0,1] neg_hi:[0,0,1]
	v_pk_fma_f32 v[108:109], v[110:111], v[98:99], v[108:109] op_sel:[0,0,1] op_sel_hi:[1,0,0]
	v_mov_b32_e32 v113, v109
	ds_load_2addr_b64 v[108:111], v102 offset0:29 offset1:30
	v_pk_add_f32 v[42:43], v[42:43], v[114:115] neg_lo:[0,1] neg_hi:[0,1]
	v_pk_add_f32 v[76:77], v[76:77], v[112:113] neg_lo:[0,1] neg_hi:[0,1]
	s_wait_dscnt 0x0
	v_pk_mul_f32 v[112:113], v[108:109], v[100:101] op_sel:[0,1]
	s_delay_alu instid0(VALU_DEP_1) | instskip(SKIP_1) | instid1(VALU_DEP_1)
	v_pk_fma_f32 v[114:115], v[108:109], v[98:99], v[112:113] op_sel:[0,0,1] op_sel_hi:[1,1,0] neg_lo:[0,0,1] neg_hi:[0,0,1]
	v_pk_fma_f32 v[108:109], v[108:109], v[98:99], v[112:113] op_sel:[0,0,1] op_sel_hi:[1,0,0]
	v_mov_b32_e32 v115, v109
	v_pk_mul_f32 v[108:109], v[110:111], v[100:101] op_sel:[0,1]
	s_delay_alu instid0(VALU_DEP_1) | instskip(SKIP_1) | instid1(VALU_DEP_1)
	v_pk_fma_f32 v[112:113], v[110:111], v[98:99], v[108:109] op_sel:[0,0,1] op_sel_hi:[1,1,0] neg_lo:[0,0,1] neg_hi:[0,0,1]
	v_pk_fma_f32 v[108:109], v[110:111], v[98:99], v[108:109] op_sel:[0,0,1] op_sel_hi:[1,0,0]
	v_mov_b32_e32 v113, v109
	ds_load_2addr_b64 v[108:111], v102 offset0:31 offset1:32
	v_pk_add_f32 v[30:31], v[30:31], v[114:115] neg_lo:[0,1] neg_hi:[0,1]
	v_pk_add_f32 v[36:37], v[36:37], v[112:113] neg_lo:[0,1] neg_hi:[0,1]
	s_wait_dscnt 0x0
	v_dual_mul_f32 v112, v109, v101 :: v_dual_mul_f32 v114, v109, v98
	s_delay_alu instid0(VALU_DEP_1) | instskip(NEXT) | instid1(VALU_DEP_2)
	v_pk_fma_f32 v[112:113], v[108:109], v[52:53], v[112:113] op_sel_hi:[1,1,0] neg_lo:[0,0,1] neg_hi:[0,0,1]
	v_pk_fma_f32 v[108:109], v[108:109], v[52:53], v[114:115] op_sel:[1,0,0] op_sel_hi:[0,1,0]
	s_delay_alu instid0(VALU_DEP_1) | instskip(SKIP_1) | instid1(VALU_DEP_2)
	v_mov_b32_e32 v113, v109
	v_pk_mul_f32 v[108:109], v[110:111], v[100:101] op_sel:[0,1]
	v_pk_add_f32 v[28:29], v[28:29], v[112:113] neg_lo:[0,1] neg_hi:[0,1]
	s_delay_alu instid0(VALU_DEP_2) | instskip(SKIP_1) | instid1(VALU_DEP_1)
	v_pk_fma_f32 v[112:113], v[110:111], v[98:99], v[108:109] op_sel:[0,0,1] op_sel_hi:[1,1,0] neg_lo:[0,0,1] neg_hi:[0,0,1]
	v_pk_fma_f32 v[108:109], v[110:111], v[98:99], v[108:109] op_sel:[0,0,1] op_sel_hi:[1,0,0]
	v_mov_b32_e32 v113, v109
	ds_load_2addr_b64 v[108:111], v102 offset0:33 offset1:34
	v_pk_add_f32 v[72:73], v[72:73], v[112:113] neg_lo:[0,1] neg_hi:[0,1]
	s_wait_dscnt 0x0
	v_pk_mul_f32 v[112:113], v[108:109], v[100:101] op_sel:[0,1]
	s_delay_alu instid0(VALU_DEP_1) | instskip(SKIP_1) | instid1(VALU_DEP_1)
	v_pk_fma_f32 v[114:115], v[108:109], v[98:99], v[112:113] op_sel:[0,0,1] op_sel_hi:[1,1,0] neg_lo:[0,0,1] neg_hi:[0,0,1]
	v_pk_fma_f32 v[108:109], v[108:109], v[98:99], v[112:113] op_sel:[0,0,1] op_sel_hi:[1,0,0]
	v_mov_b32_e32 v115, v109
	v_pk_mul_f32 v[108:109], v[110:111], v[100:101] op_sel:[0,1]
	s_delay_alu instid0(VALU_DEP_2) | instskip(NEXT) | instid1(VALU_DEP_2)
	v_pk_add_f32 v[18:19], v[18:19], v[114:115] neg_lo:[0,1] neg_hi:[0,1]
	v_pk_fma_f32 v[112:113], v[110:111], v[98:99], v[108:109] op_sel:[0,0,1] op_sel_hi:[1,1,0] neg_lo:[0,0,1] neg_hi:[0,0,1]
	v_pk_fma_f32 v[108:109], v[110:111], v[98:99], v[108:109] op_sel:[0,0,1] op_sel_hi:[1,0,0]
	s_delay_alu instid0(VALU_DEP_1) | instskip(SKIP_4) | instid1(VALU_DEP_1)
	v_mov_b32_e32 v113, v109
	ds_load_2addr_b64 v[108:111], v102 offset0:35 offset1:36
	v_pk_add_f32 v[24:25], v[24:25], v[112:113] neg_lo:[0,1] neg_hi:[0,1]
	s_wait_dscnt 0x0
	v_pk_mul_f32 v[112:113], v[108:109], v[100:101] op_sel:[0,1]
	v_pk_fma_f32 v[114:115], v[108:109], v[98:99], v[112:113] op_sel:[0,0,1] op_sel_hi:[1,1,0] neg_lo:[0,0,1] neg_hi:[0,0,1]
	v_pk_fma_f32 v[108:109], v[108:109], v[98:99], v[112:113] op_sel:[0,0,1] op_sel_hi:[1,0,0]
	v_dual_mul_f32 v112, v111, v101 :: v_dual_mov_b32 v108, v111
	s_delay_alu instid0(VALU_DEP_2) | instskip(NEXT) | instid1(VALU_DEP_2)
	v_dual_mov_b32 v115, v109 :: v_dual_mov_b32 v109, v110
	v_pk_fma_f32 v[112:113], v[110:111], v[52:53], v[112:113] op_sel_hi:[1,1,0] neg_lo:[0,0,1] neg_hi:[0,0,1]
	v_mul_f32_e32 v110, v111, v98
	s_delay_alu instid0(VALU_DEP_3) | instskip(NEXT) | instid1(VALU_DEP_2)
	v_pk_add_f32 v[16:17], v[16:17], v[114:115] neg_lo:[0,1] neg_hi:[0,1]
	v_pk_fma_f32 v[108:109], v[108:109], v[52:53], v[110:111] op_sel_hi:[1,1,0]
	s_delay_alu instid0(VALU_DEP_1) | instskip(SKIP_4) | instid1(VALU_DEP_1)
	v_mov_b32_e32 v113, v109
	ds_load_2addr_b64 v[108:111], v102 offset0:37 offset1:38
	v_pk_add_f32 v[70:71], v[70:71], v[112:113] neg_lo:[0,1] neg_hi:[0,1]
	s_wait_dscnt 0x0
	v_pk_mul_f32 v[112:113], v[108:109], v[100:101] op_sel:[0,1]
	v_pk_fma_f32 v[114:115], v[108:109], v[98:99], v[112:113] op_sel:[0,0,1] op_sel_hi:[1,1,0] neg_lo:[0,0,1] neg_hi:[0,0,1]
	v_pk_fma_f32 v[108:109], v[108:109], v[98:99], v[112:113] op_sel:[0,0,1] op_sel_hi:[1,0,0]
	s_delay_alu instid0(VALU_DEP_1) | instskip(SKIP_1) | instid1(VALU_DEP_1)
	v_mov_b32_e32 v115, v109
	v_pk_mul_f32 v[108:109], v[110:111], v[100:101] op_sel:[0,1]
	v_pk_fma_f32 v[112:113], v[110:111], v[98:99], v[108:109] op_sel:[0,0,1] op_sel_hi:[1,1,0] neg_lo:[0,0,1] neg_hi:[0,0,1]
	v_pk_fma_f32 v[108:109], v[110:111], v[98:99], v[108:109] op_sel:[0,0,1] op_sel_hi:[1,0,0]
	s_delay_alu instid0(VALU_DEP_1)
	v_mov_b32_e32 v113, v109
	ds_load_2addr_b64 v[108:111], v102 offset0:39 offset1:40
	v_pk_add_f32 v[10:11], v[10:11], v[114:115] neg_lo:[0,1] neg_hi:[0,1]
	v_pk_add_f32 v[12:13], v[12:13], v[112:113] neg_lo:[0,1] neg_hi:[0,1]
	s_wait_dscnt 0x0
	v_pk_mul_f32 v[112:113], v[108:109], v[100:101] op_sel:[0,1]
	s_delay_alu instid0(VALU_DEP_1) | instskip(SKIP_1) | instid1(VALU_DEP_1)
	v_pk_fma_f32 v[114:115], v[108:109], v[98:99], v[112:113] op_sel:[0,0,1] op_sel_hi:[1,1,0] neg_lo:[0,0,1] neg_hi:[0,0,1]
	v_pk_fma_f32 v[108:109], v[108:109], v[98:99], v[112:113] op_sel:[0,0,1] op_sel_hi:[1,0,0]
	v_mov_b32_e32 v115, v109
	v_pk_mul_f32 v[108:109], v[110:111], v[100:101] op_sel:[0,1]
	s_delay_alu instid0(VALU_DEP_1) | instskip(SKIP_1) | instid1(VALU_DEP_1)
	v_pk_fma_f32 v[112:113], v[110:111], v[98:99], v[108:109] op_sel:[0,0,1] op_sel_hi:[1,1,0] neg_lo:[0,0,1] neg_hi:[0,0,1]
	v_pk_fma_f32 v[108:109], v[110:111], v[98:99], v[108:109] op_sel:[0,0,1] op_sel_hi:[1,0,0]
	v_mov_b32_e32 v113, v109
	ds_load_2addr_b64 v[108:111], v102 offset0:41 offset1:42
	v_pk_add_f32 v[8:9], v[8:9], v[114:115] neg_lo:[0,1] neg_hi:[0,1]
	v_pk_add_f32 v[68:69], v[68:69], v[112:113] neg_lo:[0,1] neg_hi:[0,1]
	s_wait_dscnt 0x0
	v_dual_mul_f32 v112, v109, v101 :: v_dual_mul_f32 v114, v109, v98
	s_delay_alu instid0(VALU_DEP_1) | instskip(NEXT) | instid1(VALU_DEP_2)
	v_pk_fma_f32 v[112:113], v[108:109], v[52:53], v[112:113] op_sel_hi:[1,1,0] neg_lo:[0,0,1] neg_hi:[0,0,1]
	v_pk_fma_f32 v[108:109], v[108:109], v[52:53], v[114:115] op_sel:[1,0,0] op_sel_hi:[0,1,0]
	s_delay_alu instid0(VALU_DEP_1) | instskip(SKIP_1) | instid1(VALU_DEP_2)
	v_mov_b32_e32 v113, v109
	v_pk_mul_f32 v[108:109], v[110:111], v[100:101] op_sel:[0,1]
	v_pk_add_f32 v[6:7], v[6:7], v[112:113] neg_lo:[0,1] neg_hi:[0,1]
	s_delay_alu instid0(VALU_DEP_2) | instskip(SKIP_1) | instid1(VALU_DEP_1)
	v_pk_fma_f32 v[112:113], v[110:111], v[98:99], v[108:109] op_sel:[0,0,1] op_sel_hi:[1,1,0] neg_lo:[0,0,1] neg_hi:[0,0,1]
	v_pk_fma_f32 v[108:109], v[110:111], v[98:99], v[108:109] op_sel:[0,0,1] op_sel_hi:[1,0,0]
	v_mov_b32_e32 v113, v109
	ds_load_2addr_b64 v[108:111], v102 offset0:43 offset1:44
	v_pk_add_f32 v[54:55], v[54:55], v[112:113] neg_lo:[0,1] neg_hi:[0,1]
	s_wait_dscnt 0x0
	v_pk_mul_f32 v[112:113], v[108:109], v[100:101] op_sel:[0,1]
	s_delay_alu instid0(VALU_DEP_1) | instskip(SKIP_1) | instid1(VALU_DEP_1)
	v_pk_fma_f32 v[114:115], v[108:109], v[98:99], v[112:113] op_sel:[0,0,1] op_sel_hi:[1,1,0] neg_lo:[0,0,1] neg_hi:[0,0,1]
	v_pk_fma_f32 v[108:109], v[108:109], v[98:99], v[112:113] op_sel:[0,0,1] op_sel_hi:[1,0,0]
	v_mov_b32_e32 v115, v109
	v_pk_mul_f32 v[108:109], v[110:111], v[100:101] op_sel:[0,1]
	s_delay_alu instid0(VALU_DEP_2) | instskip(NEXT) | instid1(VALU_DEP_2)
	v_pk_add_f32 v[40:41], v[40:41], v[114:115] neg_lo:[0,1] neg_hi:[0,1]
	v_pk_fma_f32 v[112:113], v[110:111], v[98:99], v[108:109] op_sel:[0,0,1] op_sel_hi:[1,1,0] neg_lo:[0,0,1] neg_hi:[0,0,1]
	v_pk_fma_f32 v[108:109], v[110:111], v[98:99], v[108:109] op_sel:[0,0,1] op_sel_hi:[1,0,0]
	s_delay_alu instid0(VALU_DEP_1) | instskip(SKIP_4) | instid1(VALU_DEP_1)
	v_mov_b32_e32 v113, v109
	ds_load_b64 v[108:109], v102 offset:360
	v_pk_add_f32 v[14:15], v[14:15], v[112:113] neg_lo:[0,1] neg_hi:[0,1]
	s_wait_dscnt 0x0
	v_pk_mul_f32 v[100:101], v[108:109], v[100:101] op_sel:[0,1]
	v_pk_fma_f32 v[110:111], v[108:109], v[98:99], v[100:101] op_sel:[0,0,1] op_sel_hi:[1,1,0] neg_lo:[0,0,1] neg_hi:[0,0,1]
	v_pk_fma_f32 v[98:99], v[108:109], v[98:99], v[100:101] op_sel:[0,0,1] op_sel_hi:[1,0,0]
	s_delay_alu instid0(VALU_DEP_1) | instskip(NEXT) | instid1(VALU_DEP_1)
	v_mov_b32_e32 v111, v99
	v_pk_add_f32 v[96:97], v[96:97], v[110:111] neg_lo:[0,1] neg_hi:[0,1]
.LBB90_482:
	s_or_b32 exec_lo, exec_lo, s0
	v_lshl_add_u32 v98, v106, 3, v102
	s_barrier_signal -1
	s_barrier_wait -1
	ds_store_b64 v98, v[48:49]
	s_wait_dscnt 0x0
	s_barrier_signal -1
	s_barrier_wait -1
	ds_load_b64 v[100:101], v102 offset:184
	v_mov_b32_e32 v98, 23
	s_cmp_lt_i32 s18, 25
	s_cbranch_scc1 .LBB90_485
; %bb.483:
	v_add3_u32 v99, v103, 0, 0xc0
	v_mov_b32_e32 v98, 23
	s_mov_b32 s0, 24
.LBB90_484:                             ; =>This Inner Loop Header: Depth=1
	ds_load_b64 v[108:109], v99
	s_wait_dscnt 0x1
	v_cmp_gt_f32_e32 vcc_lo, 0, v100
	v_cndmask_b32_e64 v110, v100, -v100, vcc_lo
	v_cmp_gt_f32_e32 vcc_lo, 0, v101
	v_cndmask_b32_e64 v112, v101, -v101, vcc_lo
	s_wait_dscnt 0x0
	v_cmp_gt_f32_e32 vcc_lo, 0, v108
	v_cndmask_b32_e64 v111, v108, -v108, vcc_lo
	v_cmp_gt_f32_e32 vcc_lo, 0, v109
	v_cndmask_b32_e64 v113, v109, -v109, vcc_lo
	s_delay_alu instid0(VALU_DEP_1) | instskip(NEXT) | instid1(VALU_DEP_1)
	v_pk_add_f32 v[110:111], v[110:111], v[112:113]
	v_cmp_lt_f32_e32 vcc_lo, v110, v111
	v_dual_add_nc_u32 v99, 8, v99 :: v_dual_cndmask_b32 v101, v101, v109, vcc_lo
	v_cndmask_b32_e32 v100, v100, v108, vcc_lo
	v_cndmask_b32_e64 v98, v98, s0, vcc_lo
	s_add_co_i32 s0, s0, 1
	s_delay_alu instid0(SALU_CYCLE_1)
	s_cmp_lg_u32 s18, s0
	s_cbranch_scc1 .LBB90_484
.LBB90_485:
	s_wait_dscnt 0x0
	v_cmp_eq_f32_e32 vcc_lo, 0, v100
	v_cmp_eq_f32_e64 s0, 0, v101
	s_and_b32 s0, vcc_lo, s0
	s_delay_alu instid0(SALU_CYCLE_1) | instskip(NEXT) | instid1(SALU_CYCLE_1)
	s_and_saveexec_b32 s1, s0
	s_xor_b32 s0, exec_lo, s1
; %bb.486:
	v_cmp_ne_u32_e32 vcc_lo, 0, v104
	v_cndmask_b32_e32 v104, 24, v104, vcc_lo
; %bb.487:
	s_and_not1_saveexec_b32 s0, s0
	s_cbranch_execz .LBB90_493
; %bb.488:
	v_cmp_ngt_f32_e64 s1, |v100|, |v101|
	s_and_saveexec_b32 s12, s1
	s_delay_alu instid0(SALU_CYCLE_1)
	s_xor_b32 s1, exec_lo, s12
	s_cbranch_execz .LBB90_490
; %bb.489:
	v_div_scale_f32 v99, null, v101, v101, v100
	v_div_scale_f32 v109, vcc_lo, v100, v101, v100
	s_delay_alu instid0(VALU_DEP_2) | instskip(SKIP_1) | instid1(TRANS32_DEP_1)
	v_rcp_f32_e32 v107, v99
	v_nop
	v_fma_f32 v108, -v99, v107, 1.0
	s_delay_alu instid0(VALU_DEP_1) | instskip(NEXT) | instid1(VALU_DEP_1)
	v_fmac_f32_e32 v107, v108, v107
	v_mul_f32_e32 v108, v109, v107
	s_delay_alu instid0(VALU_DEP_1) | instskip(NEXT) | instid1(VALU_DEP_1)
	v_fma_f32 v110, -v99, v108, v109
	v_fmac_f32_e32 v108, v110, v107
	s_delay_alu instid0(VALU_DEP_1) | instskip(NEXT) | instid1(VALU_DEP_1)
	v_fma_f32 v99, -v99, v108, v109
	v_div_fmas_f32 v99, v99, v107, v108
	s_delay_alu instid0(VALU_DEP_1) | instskip(NEXT) | instid1(VALU_DEP_1)
	v_div_fixup_f32 v99, v99, v101, v100
	v_fmac_f32_e32 v101, v100, v99
	s_delay_alu instid0(VALU_DEP_1) | instskip(SKIP_1) | instid1(VALU_DEP_2)
	v_div_scale_f32 v100, null, v101, v101, 1.0
	v_div_scale_f32 v109, vcc_lo, 1.0, v101, 1.0
	v_rcp_f32_e32 v107, v100
	v_nop
	s_delay_alu instid0(TRANS32_DEP_1) | instskip(NEXT) | instid1(VALU_DEP_1)
	v_fma_f32 v108, -v100, v107, 1.0
	v_fmac_f32_e32 v107, v108, v107
	s_delay_alu instid0(VALU_DEP_1) | instskip(NEXT) | instid1(VALU_DEP_1)
	v_mul_f32_e32 v108, v109, v107
	v_fma_f32 v110, -v100, v108, v109
	s_delay_alu instid0(VALU_DEP_1) | instskip(NEXT) | instid1(VALU_DEP_1)
	v_fmac_f32_e32 v108, v110, v107
	v_fma_f32 v100, -v100, v108, v109
	s_delay_alu instid0(VALU_DEP_1) | instskip(NEXT) | instid1(VALU_DEP_1)
	v_div_fmas_f32 v100, v100, v107, v108
	v_div_fixup_f32 v101, v100, v101, 1.0
	s_delay_alu instid0(VALU_DEP_1)
	v_mul_f32_e32 v100, v99, v101
	v_xor_b32_e32 v101, 0x80000000, v101
.LBB90_490:
	s_and_not1_saveexec_b32 s1, s1
	s_cbranch_execz .LBB90_492
; %bb.491:
	s_delay_alu instid0(VALU_DEP_1) | instskip(SKIP_1) | instid1(VALU_DEP_2)
	v_div_scale_f32 v99, null, v100, v100, v101
	v_div_scale_f32 v109, vcc_lo, v101, v100, v101
	v_rcp_f32_e32 v107, v99
	v_nop
	s_delay_alu instid0(TRANS32_DEP_1) | instskip(NEXT) | instid1(VALU_DEP_1)
	v_fma_f32 v108, -v99, v107, 1.0
	v_fmac_f32_e32 v107, v108, v107
	s_delay_alu instid0(VALU_DEP_1) | instskip(NEXT) | instid1(VALU_DEP_1)
	v_mul_f32_e32 v108, v109, v107
	v_fma_f32 v110, -v99, v108, v109
	s_delay_alu instid0(VALU_DEP_1) | instskip(NEXT) | instid1(VALU_DEP_1)
	v_fmac_f32_e32 v108, v110, v107
	v_fma_f32 v99, -v99, v108, v109
	s_delay_alu instid0(VALU_DEP_1) | instskip(NEXT) | instid1(VALU_DEP_1)
	v_div_fmas_f32 v99, v99, v107, v108
	v_div_fixup_f32 v99, v99, v100, v101
	s_delay_alu instid0(VALU_DEP_1) | instskip(NEXT) | instid1(VALU_DEP_1)
	v_fmac_f32_e32 v100, v101, v99
	v_div_scale_f32 v101, null, v100, v100, 1.0
	s_delay_alu instid0(VALU_DEP_1) | instskip(SKIP_1) | instid1(TRANS32_DEP_1)
	v_rcp_f32_e32 v107, v101
	v_nop
	v_fma_f32 v108, -v101, v107, 1.0
	s_delay_alu instid0(VALU_DEP_1) | instskip(SKIP_1) | instid1(VALU_DEP_1)
	v_fmac_f32_e32 v107, v108, v107
	v_div_scale_f32 v108, vcc_lo, 1.0, v100, 1.0
	v_mul_f32_e32 v109, v108, v107
	s_delay_alu instid0(VALU_DEP_1) | instskip(NEXT) | instid1(VALU_DEP_1)
	v_fma_f32 v110, -v101, v109, v108
	v_fmac_f32_e32 v109, v110, v107
	s_delay_alu instid0(VALU_DEP_1) | instskip(NEXT) | instid1(VALU_DEP_1)
	v_fma_f32 v101, -v101, v109, v108
	v_div_fmas_f32 v101, v101, v107, v109
	s_delay_alu instid0(VALU_DEP_1) | instskip(NEXT) | instid1(VALU_DEP_1)
	v_div_fixup_f32 v100, v101, v100, 1.0
	v_mul_f32_e64 v101, v99, -v100
.LBB90_492:
	s_or_b32 exec_lo, exec_lo, s1
.LBB90_493:
	s_delay_alu instid0(SALU_CYCLE_1) | instskip(NEXT) | instid1(SALU_CYCLE_1)
	s_or_b32 exec_lo, exec_lo, s0
	s_mov_b32 s0, exec_lo
	v_cmpx_ne_u32_e64 v106, v98
	s_xor_b32 s0, exec_lo, s0
	s_cbranch_execz .LBB90_499
; %bb.494:
	s_mov_b32 s1, exec_lo
	v_cmpx_eq_u32_e32 23, v106
	s_cbranch_execz .LBB90_498
; %bb.495:
	v_cmp_ne_u32_e32 vcc_lo, 23, v98
	s_xor_b32 s12, s16, -1
	s_delay_alu instid0(SALU_CYCLE_1) | instskip(NEXT) | instid1(SALU_CYCLE_1)
	s_and_b32 s13, s12, vcc_lo
	s_and_saveexec_b32 s12, s13
	s_cbranch_execz .LBB90_497
; %bb.496:
	v_ashrrev_i32_e32 v99, 31, v98
	s_delay_alu instid0(VALU_DEP_1)
	v_lshl_add_u64 v[106:107], v[98:99], 2, v[4:5]
	s_clause 0x1
	global_load_b32 v99, v[106:107], off
	global_load_b32 v105, v[4:5], off offset:92
	s_wait_loadcnt 0x1
	global_store_b32 v[4:5], v99, off offset:92
	s_wait_loadcnt 0x0
	global_store_b32 v[106:107], v105, off
.LBB90_497:
	s_wait_xcnt 0x0
	s_or_b32 exec_lo, exec_lo, s12
	v_dual_mov_b32 v106, v98 :: v_dual_mov_b32 v105, v98
.LBB90_498:
	s_or_b32 exec_lo, exec_lo, s1
.LBB90_499:
	s_and_not1_saveexec_b32 s0, s0
	s_cbranch_execz .LBB90_501
; %bb.500:
	v_dual_mov_b32 v98, v80 :: v_dual_mov_b32 v99, v81
	v_dual_mov_b32 v106, v44 :: v_dual_mov_b32 v107, v45
	;; [unrolled: 1-line block ×12, first 2 shown]
	ds_store_2addr_b64 v102, v[98:99], v[106:107] offset0:24 offset1:25
	ds_store_2addr_b64 v102, v[108:109], v[110:111] offset0:26 offset1:27
	;; [unrolled: 1-line block ×6, first 2 shown]
	v_dual_mov_b32 v98, v70 :: v_dual_mov_b32 v99, v71
	v_dual_mov_b32 v108, v10 :: v_dual_mov_b32 v109, v11
	;; [unrolled: 1-line block ×9, first 2 shown]
	v_mov_b32_e32 v123, v15
	ds_store_2addr_b64 v102, v[98:99], v[108:109] offset0:36 offset1:37
	ds_store_2addr_b64 v102, v[110:111], v[112:113] offset0:38 offset1:39
	;; [unrolled: 1-line block ×5, first 2 shown]
.LBB90_501:
	s_or_b32 exec_lo, exec_lo, s0
	s_delay_alu instid0(SALU_CYCLE_1)
	s_mov_b32 s0, exec_lo
	s_wait_storecnt_dscnt 0x0
	s_barrier_signal -1
	s_barrier_wait -1
	v_cmpx_lt_i32_e32 23, v106
	s_cbranch_execz .LBB90_503
; %bb.502:
	v_pk_mul_f32 v[108:109], v[100:101], v[48:49] op_sel:[1,1] op_sel_hi:[0,1]
	s_delay_alu instid0(VALU_DEP_1)
	v_pk_fma_f32 v[98:99], v[100:101], v[48:49], v[108:109] op_sel_hi:[1,0,1] neg_lo:[0,0,1] neg_hi:[0,0,1]
	v_pk_fma_f32 v[100:101], v[100:101], v[48:49], v[108:109] op_sel_hi:[1,0,1]
	ds_load_2addr_b64 v[108:111], v102 offset0:24 offset1:25
	v_dual_mov_b32 v48, v98 :: v_dual_mov_b32 v49, v101
	s_wait_dscnt 0x0
	v_pk_mul_f32 v[112:113], v[108:109], v[100:101] op_sel:[0,1]
	s_delay_alu instid0(VALU_DEP_1) | instskip(SKIP_1) | instid1(VALU_DEP_1)
	v_pk_fma_f32 v[114:115], v[108:109], v[98:99], v[112:113] op_sel:[0,0,1] op_sel_hi:[1,1,0] neg_lo:[0,0,1] neg_hi:[0,0,1]
	v_pk_fma_f32 v[108:109], v[108:109], v[98:99], v[112:113] op_sel:[0,0,1] op_sel_hi:[1,0,0]
	v_mov_b32_e32 v115, v109
	v_pk_mul_f32 v[108:109], v[110:111], v[100:101] op_sel:[0,1]
	s_delay_alu instid0(VALU_DEP_1) | instskip(SKIP_1) | instid1(VALU_DEP_1)
	v_pk_fma_f32 v[112:113], v[110:111], v[98:99], v[108:109] op_sel:[0,0,1] op_sel_hi:[1,1,0] neg_lo:[0,0,1] neg_hi:[0,0,1]
	v_pk_fma_f32 v[108:109], v[110:111], v[98:99], v[108:109] op_sel:[0,0,1] op_sel_hi:[1,0,0]
	v_mov_b32_e32 v113, v109
	ds_load_2addr_b64 v[108:111], v102 offset0:26 offset1:27
	v_pk_add_f32 v[80:81], v[80:81], v[114:115] neg_lo:[0,1] neg_hi:[0,1]
	v_pk_add_f32 v[44:45], v[44:45], v[112:113] neg_lo:[0,1] neg_hi:[0,1]
	s_wait_dscnt 0x0
	v_pk_mul_f32 v[112:113], v[108:109], v[100:101] op_sel:[0,1]
	s_delay_alu instid0(VALU_DEP_1) | instskip(SKIP_2) | instid1(VALU_DEP_2)
	v_pk_fma_f32 v[114:115], v[108:109], v[98:99], v[112:113] op_sel:[0,0,1] op_sel_hi:[1,1,0] neg_lo:[0,0,1] neg_hi:[0,0,1]
	v_pk_fma_f32 v[108:109], v[108:109], v[98:99], v[112:113] op_sel:[0,0,1] op_sel_hi:[1,0,0]
	v_dual_mul_f32 v112, v111, v101 :: v_dual_mov_b32 v108, v111
	v_dual_mov_b32 v115, v109 :: v_dual_mov_b32 v109, v110
	s_delay_alu instid0(VALU_DEP_2) | instskip(SKIP_1) | instid1(VALU_DEP_3)
	v_pk_fma_f32 v[112:113], v[110:111], v[48:49], v[112:113] op_sel_hi:[1,1,0] neg_lo:[0,0,1] neg_hi:[0,0,1]
	v_mul_f32_e32 v110, v111, v98
	v_pk_add_f32 v[46:47], v[46:47], v[114:115] neg_lo:[0,1] neg_hi:[0,1]
	s_delay_alu instid0(VALU_DEP_2) | instskip(NEXT) | instid1(VALU_DEP_1)
	v_pk_fma_f32 v[108:109], v[108:109], v[48:49], v[110:111] op_sel_hi:[1,1,0]
	v_mov_b32_e32 v113, v109
	ds_load_2addr_b64 v[108:111], v102 offset0:28 offset1:29
	v_pk_add_f32 v[42:43], v[42:43], v[112:113] neg_lo:[0,1] neg_hi:[0,1]
	s_wait_dscnt 0x0
	v_pk_mul_f32 v[112:113], v[108:109], v[100:101] op_sel:[0,1]
	s_delay_alu instid0(VALU_DEP_1) | instskip(SKIP_1) | instid1(VALU_DEP_1)
	v_pk_fma_f32 v[114:115], v[108:109], v[98:99], v[112:113] op_sel:[0,0,1] op_sel_hi:[1,1,0] neg_lo:[0,0,1] neg_hi:[0,0,1]
	v_pk_fma_f32 v[108:109], v[108:109], v[98:99], v[112:113] op_sel:[0,0,1] op_sel_hi:[1,0,0]
	v_mov_b32_e32 v115, v109
	v_pk_mul_f32 v[108:109], v[110:111], v[100:101] op_sel:[0,1]
	s_delay_alu instid0(VALU_DEP_1) | instskip(SKIP_1) | instid1(VALU_DEP_1)
	v_pk_fma_f32 v[112:113], v[110:111], v[98:99], v[108:109] op_sel:[0,0,1] op_sel_hi:[1,1,0] neg_lo:[0,0,1] neg_hi:[0,0,1]
	v_pk_fma_f32 v[108:109], v[110:111], v[98:99], v[108:109] op_sel:[0,0,1] op_sel_hi:[1,0,0]
	v_mov_b32_e32 v113, v109
	ds_load_2addr_b64 v[108:111], v102 offset0:30 offset1:31
	v_pk_add_f32 v[76:77], v[76:77], v[114:115] neg_lo:[0,1] neg_hi:[0,1]
	v_pk_add_f32 v[30:31], v[30:31], v[112:113] neg_lo:[0,1] neg_hi:[0,1]
	s_wait_dscnt 0x0
	v_pk_mul_f32 v[112:113], v[108:109], v[100:101] op_sel:[0,1]
	s_delay_alu instid0(VALU_DEP_1) | instskip(SKIP_1) | instid1(VALU_DEP_1)
	v_pk_fma_f32 v[114:115], v[108:109], v[98:99], v[112:113] op_sel:[0,0,1] op_sel_hi:[1,1,0] neg_lo:[0,0,1] neg_hi:[0,0,1]
	v_pk_fma_f32 v[108:109], v[108:109], v[98:99], v[112:113] op_sel:[0,0,1] op_sel_hi:[1,0,0]
	v_mov_b32_e32 v115, v109
	v_pk_mul_f32 v[108:109], v[110:111], v[100:101] op_sel:[0,1]
	s_delay_alu instid0(VALU_DEP_1) | instskip(SKIP_1) | instid1(VALU_DEP_1)
	v_pk_fma_f32 v[112:113], v[110:111], v[98:99], v[108:109] op_sel:[0,0,1] op_sel_hi:[1,1,0] neg_lo:[0,0,1] neg_hi:[0,0,1]
	v_pk_fma_f32 v[108:109], v[110:111], v[98:99], v[108:109] op_sel:[0,0,1] op_sel_hi:[1,0,0]
	v_mov_b32_e32 v113, v109
	ds_load_2addr_b64 v[108:111], v102 offset0:32 offset1:33
	v_pk_add_f32 v[36:37], v[36:37], v[114:115] neg_lo:[0,1] neg_hi:[0,1]
	v_pk_add_f32 v[28:29], v[28:29], v[112:113] neg_lo:[0,1] neg_hi:[0,1]
	s_wait_dscnt 0x0
	v_dual_mul_f32 v112, v109, v101 :: v_dual_mul_f32 v114, v109, v98
	s_delay_alu instid0(VALU_DEP_1) | instskip(NEXT) | instid1(VALU_DEP_2)
	v_pk_fma_f32 v[112:113], v[108:109], v[48:49], v[112:113] op_sel_hi:[1,1,0] neg_lo:[0,0,1] neg_hi:[0,0,1]
	v_pk_fma_f32 v[108:109], v[108:109], v[48:49], v[114:115] op_sel:[1,0,0] op_sel_hi:[0,1,0]
	s_delay_alu instid0(VALU_DEP_1) | instskip(SKIP_1) | instid1(VALU_DEP_2)
	v_mov_b32_e32 v113, v109
	v_pk_mul_f32 v[108:109], v[110:111], v[100:101] op_sel:[0,1]
	v_pk_add_f32 v[72:73], v[72:73], v[112:113] neg_lo:[0,1] neg_hi:[0,1]
	s_delay_alu instid0(VALU_DEP_2) | instskip(SKIP_1) | instid1(VALU_DEP_1)
	v_pk_fma_f32 v[112:113], v[110:111], v[98:99], v[108:109] op_sel:[0,0,1] op_sel_hi:[1,1,0] neg_lo:[0,0,1] neg_hi:[0,0,1]
	v_pk_fma_f32 v[108:109], v[110:111], v[98:99], v[108:109] op_sel:[0,0,1] op_sel_hi:[1,0,0]
	v_mov_b32_e32 v113, v109
	ds_load_2addr_b64 v[108:111], v102 offset0:34 offset1:35
	v_pk_add_f32 v[18:19], v[18:19], v[112:113] neg_lo:[0,1] neg_hi:[0,1]
	s_wait_dscnt 0x0
	v_pk_mul_f32 v[112:113], v[108:109], v[100:101] op_sel:[0,1]
	s_delay_alu instid0(VALU_DEP_1) | instskip(SKIP_1) | instid1(VALU_DEP_1)
	v_pk_fma_f32 v[114:115], v[108:109], v[98:99], v[112:113] op_sel:[0,0,1] op_sel_hi:[1,1,0] neg_lo:[0,0,1] neg_hi:[0,0,1]
	v_pk_fma_f32 v[108:109], v[108:109], v[98:99], v[112:113] op_sel:[0,0,1] op_sel_hi:[1,0,0]
	v_mov_b32_e32 v115, v109
	v_pk_mul_f32 v[108:109], v[110:111], v[100:101] op_sel:[0,1]
	s_delay_alu instid0(VALU_DEP_2) | instskip(NEXT) | instid1(VALU_DEP_2)
	v_pk_add_f32 v[24:25], v[24:25], v[114:115] neg_lo:[0,1] neg_hi:[0,1]
	v_pk_fma_f32 v[112:113], v[110:111], v[98:99], v[108:109] op_sel:[0,0,1] op_sel_hi:[1,1,0] neg_lo:[0,0,1] neg_hi:[0,0,1]
	v_pk_fma_f32 v[108:109], v[110:111], v[98:99], v[108:109] op_sel:[0,0,1] op_sel_hi:[1,0,0]
	s_delay_alu instid0(VALU_DEP_1) | instskip(SKIP_4) | instid1(VALU_DEP_1)
	v_mov_b32_e32 v113, v109
	ds_load_2addr_b64 v[108:111], v102 offset0:36 offset1:37
	v_pk_add_f32 v[16:17], v[16:17], v[112:113] neg_lo:[0,1] neg_hi:[0,1]
	s_wait_dscnt 0x0
	v_pk_mul_f32 v[112:113], v[108:109], v[100:101] op_sel:[0,1]
	v_pk_fma_f32 v[114:115], v[108:109], v[98:99], v[112:113] op_sel:[0,0,1] op_sel_hi:[1,1,0] neg_lo:[0,0,1] neg_hi:[0,0,1]
	v_pk_fma_f32 v[108:109], v[108:109], v[98:99], v[112:113] op_sel:[0,0,1] op_sel_hi:[1,0,0]
	v_dual_mul_f32 v112, v111, v101 :: v_dual_mov_b32 v108, v111
	s_delay_alu instid0(VALU_DEP_2) | instskip(NEXT) | instid1(VALU_DEP_2)
	v_dual_mov_b32 v115, v109 :: v_dual_mov_b32 v109, v110
	v_pk_fma_f32 v[112:113], v[110:111], v[48:49], v[112:113] op_sel_hi:[1,1,0] neg_lo:[0,0,1] neg_hi:[0,0,1]
	v_mul_f32_e32 v110, v111, v98
	s_delay_alu instid0(VALU_DEP_3) | instskip(NEXT) | instid1(VALU_DEP_2)
	v_pk_add_f32 v[70:71], v[70:71], v[114:115] neg_lo:[0,1] neg_hi:[0,1]
	v_pk_fma_f32 v[108:109], v[108:109], v[48:49], v[110:111] op_sel_hi:[1,1,0]
	s_delay_alu instid0(VALU_DEP_1) | instskip(SKIP_4) | instid1(VALU_DEP_1)
	v_mov_b32_e32 v113, v109
	ds_load_2addr_b64 v[108:111], v102 offset0:38 offset1:39
	v_pk_add_f32 v[10:11], v[10:11], v[112:113] neg_lo:[0,1] neg_hi:[0,1]
	s_wait_dscnt 0x0
	v_pk_mul_f32 v[112:113], v[108:109], v[100:101] op_sel:[0,1]
	v_pk_fma_f32 v[114:115], v[108:109], v[98:99], v[112:113] op_sel:[0,0,1] op_sel_hi:[1,1,0] neg_lo:[0,0,1] neg_hi:[0,0,1]
	v_pk_fma_f32 v[108:109], v[108:109], v[98:99], v[112:113] op_sel:[0,0,1] op_sel_hi:[1,0,0]
	s_delay_alu instid0(VALU_DEP_1) | instskip(SKIP_1) | instid1(VALU_DEP_1)
	v_mov_b32_e32 v115, v109
	v_pk_mul_f32 v[108:109], v[110:111], v[100:101] op_sel:[0,1]
	v_pk_fma_f32 v[112:113], v[110:111], v[98:99], v[108:109] op_sel:[0,0,1] op_sel_hi:[1,1,0] neg_lo:[0,0,1] neg_hi:[0,0,1]
	v_pk_fma_f32 v[108:109], v[110:111], v[98:99], v[108:109] op_sel:[0,0,1] op_sel_hi:[1,0,0]
	s_delay_alu instid0(VALU_DEP_1)
	v_mov_b32_e32 v113, v109
	ds_load_2addr_b64 v[108:111], v102 offset0:40 offset1:41
	v_pk_add_f32 v[12:13], v[12:13], v[114:115] neg_lo:[0,1] neg_hi:[0,1]
	v_pk_add_f32 v[8:9], v[8:9], v[112:113] neg_lo:[0,1] neg_hi:[0,1]
	s_wait_dscnt 0x0
	v_pk_mul_f32 v[112:113], v[108:109], v[100:101] op_sel:[0,1]
	s_delay_alu instid0(VALU_DEP_1) | instskip(SKIP_1) | instid1(VALU_DEP_1)
	v_pk_fma_f32 v[114:115], v[108:109], v[98:99], v[112:113] op_sel:[0,0,1] op_sel_hi:[1,1,0] neg_lo:[0,0,1] neg_hi:[0,0,1]
	v_pk_fma_f32 v[108:109], v[108:109], v[98:99], v[112:113] op_sel:[0,0,1] op_sel_hi:[1,0,0]
	v_mov_b32_e32 v115, v109
	v_pk_mul_f32 v[108:109], v[110:111], v[100:101] op_sel:[0,1]
	s_delay_alu instid0(VALU_DEP_1) | instskip(SKIP_1) | instid1(VALU_DEP_1)
	v_pk_fma_f32 v[112:113], v[110:111], v[98:99], v[108:109] op_sel:[0,0,1] op_sel_hi:[1,1,0] neg_lo:[0,0,1] neg_hi:[0,0,1]
	v_pk_fma_f32 v[108:109], v[110:111], v[98:99], v[108:109] op_sel:[0,0,1] op_sel_hi:[1,0,0]
	v_mov_b32_e32 v113, v109
	ds_load_2addr_b64 v[108:111], v102 offset0:42 offset1:43
	v_pk_add_f32 v[68:69], v[68:69], v[114:115] neg_lo:[0,1] neg_hi:[0,1]
	v_pk_add_f32 v[6:7], v[6:7], v[112:113] neg_lo:[0,1] neg_hi:[0,1]
	s_wait_dscnt 0x0
	v_dual_mul_f32 v112, v109, v101 :: v_dual_mul_f32 v114, v109, v98
	s_delay_alu instid0(VALU_DEP_1) | instskip(NEXT) | instid1(VALU_DEP_2)
	v_pk_fma_f32 v[112:113], v[108:109], v[48:49], v[112:113] op_sel_hi:[1,1,0] neg_lo:[0,0,1] neg_hi:[0,0,1]
	v_pk_fma_f32 v[108:109], v[108:109], v[48:49], v[114:115] op_sel:[1,0,0] op_sel_hi:[0,1,0]
	s_delay_alu instid0(VALU_DEP_1) | instskip(SKIP_1) | instid1(VALU_DEP_2)
	v_mov_b32_e32 v113, v109
	v_pk_mul_f32 v[108:109], v[110:111], v[100:101] op_sel:[0,1]
	v_pk_add_f32 v[54:55], v[54:55], v[112:113] neg_lo:[0,1] neg_hi:[0,1]
	s_delay_alu instid0(VALU_DEP_2) | instskip(SKIP_1) | instid1(VALU_DEP_1)
	v_pk_fma_f32 v[112:113], v[110:111], v[98:99], v[108:109] op_sel:[0,0,1] op_sel_hi:[1,1,0] neg_lo:[0,0,1] neg_hi:[0,0,1]
	v_pk_fma_f32 v[108:109], v[110:111], v[98:99], v[108:109] op_sel:[0,0,1] op_sel_hi:[1,0,0]
	v_mov_b32_e32 v113, v109
	ds_load_2addr_b64 v[108:111], v102 offset0:44 offset1:45
	v_pk_add_f32 v[40:41], v[40:41], v[112:113] neg_lo:[0,1] neg_hi:[0,1]
	s_wait_dscnt 0x0
	v_pk_mul_f32 v[112:113], v[108:109], v[100:101] op_sel:[0,1]
	v_pk_mul_f32 v[100:101], v[110:111], v[100:101] op_sel:[0,1]
	s_delay_alu instid0(VALU_DEP_2) | instskip(SKIP_1) | instid1(VALU_DEP_1)
	v_pk_fma_f32 v[114:115], v[108:109], v[98:99], v[112:113] op_sel:[0,0,1] op_sel_hi:[1,1,0] neg_lo:[0,0,1] neg_hi:[0,0,1]
	v_pk_fma_f32 v[108:109], v[108:109], v[98:99], v[112:113] op_sel:[0,0,1] op_sel_hi:[1,0,0]
	v_mov_b32_e32 v115, v109
	s_delay_alu instid0(VALU_DEP_4) | instskip(SKIP_1) | instid1(VALU_DEP_3)
	v_pk_fma_f32 v[108:109], v[110:111], v[98:99], v[100:101] op_sel:[0,0,1] op_sel_hi:[1,1,0] neg_lo:[0,0,1] neg_hi:[0,0,1]
	v_pk_fma_f32 v[98:99], v[110:111], v[98:99], v[100:101] op_sel:[0,0,1] op_sel_hi:[1,0,0]
	v_pk_add_f32 v[14:15], v[14:15], v[114:115] neg_lo:[0,1] neg_hi:[0,1]
	s_delay_alu instid0(VALU_DEP_2) | instskip(NEXT) | instid1(VALU_DEP_1)
	v_mov_b32_e32 v109, v99
	v_pk_add_f32 v[96:97], v[96:97], v[108:109] neg_lo:[0,1] neg_hi:[0,1]
.LBB90_503:
	s_or_b32 exec_lo, exec_lo, s0
	v_lshl_add_u32 v98, v106, 3, v102
	s_barrier_signal -1
	s_barrier_wait -1
	ds_store_b64 v98, v[80:81]
	s_wait_dscnt 0x0
	s_barrier_signal -1
	s_barrier_wait -1
	ds_load_b64 v[100:101], v102 offset:192
	v_mov_b32_e32 v98, 24
	s_cmp_lt_i32 s18, 26
	s_cbranch_scc1 .LBB90_506
; %bb.504:
	v_add3_u32 v99, v103, 0, 0xc8
	v_mov_b32_e32 v98, 24
	s_mov_b32 s0, 25
.LBB90_505:                             ; =>This Inner Loop Header: Depth=1
	ds_load_b64 v[108:109], v99
	s_wait_dscnt 0x1
	v_cmp_gt_f32_e32 vcc_lo, 0, v100
	v_cndmask_b32_e64 v110, v100, -v100, vcc_lo
	v_cmp_gt_f32_e32 vcc_lo, 0, v101
	v_cndmask_b32_e64 v112, v101, -v101, vcc_lo
	s_wait_dscnt 0x0
	v_cmp_gt_f32_e32 vcc_lo, 0, v108
	v_cndmask_b32_e64 v111, v108, -v108, vcc_lo
	v_cmp_gt_f32_e32 vcc_lo, 0, v109
	v_cndmask_b32_e64 v113, v109, -v109, vcc_lo
	s_delay_alu instid0(VALU_DEP_1) | instskip(NEXT) | instid1(VALU_DEP_1)
	v_pk_add_f32 v[110:111], v[110:111], v[112:113]
	v_cmp_lt_f32_e32 vcc_lo, v110, v111
	v_dual_add_nc_u32 v99, 8, v99 :: v_dual_cndmask_b32 v101, v101, v109, vcc_lo
	v_cndmask_b32_e32 v100, v100, v108, vcc_lo
	v_cndmask_b32_e64 v98, v98, s0, vcc_lo
	s_add_co_i32 s0, s0, 1
	s_delay_alu instid0(SALU_CYCLE_1)
	s_cmp_lg_u32 s18, s0
	s_cbranch_scc1 .LBB90_505
.LBB90_506:
	s_wait_dscnt 0x0
	v_cmp_eq_f32_e32 vcc_lo, 0, v100
	v_cmp_eq_f32_e64 s0, 0, v101
	s_and_b32 s0, vcc_lo, s0
	s_delay_alu instid0(SALU_CYCLE_1) | instskip(NEXT) | instid1(SALU_CYCLE_1)
	s_and_saveexec_b32 s1, s0
	s_xor_b32 s0, exec_lo, s1
; %bb.507:
	v_cmp_ne_u32_e32 vcc_lo, 0, v104
	v_cndmask_b32_e32 v104, 25, v104, vcc_lo
; %bb.508:
	s_and_not1_saveexec_b32 s0, s0
	s_cbranch_execz .LBB90_514
; %bb.509:
	v_cmp_ngt_f32_e64 s1, |v100|, |v101|
	s_and_saveexec_b32 s12, s1
	s_delay_alu instid0(SALU_CYCLE_1)
	s_xor_b32 s1, exec_lo, s12
	s_cbranch_execz .LBB90_511
; %bb.510:
	v_div_scale_f32 v99, null, v101, v101, v100
	v_div_scale_f32 v109, vcc_lo, v100, v101, v100
	s_delay_alu instid0(VALU_DEP_2) | instskip(SKIP_1) | instid1(TRANS32_DEP_1)
	v_rcp_f32_e32 v107, v99
	v_nop
	v_fma_f32 v108, -v99, v107, 1.0
	s_delay_alu instid0(VALU_DEP_1) | instskip(NEXT) | instid1(VALU_DEP_1)
	v_fmac_f32_e32 v107, v108, v107
	v_mul_f32_e32 v108, v109, v107
	s_delay_alu instid0(VALU_DEP_1) | instskip(NEXT) | instid1(VALU_DEP_1)
	v_fma_f32 v110, -v99, v108, v109
	v_fmac_f32_e32 v108, v110, v107
	s_delay_alu instid0(VALU_DEP_1) | instskip(NEXT) | instid1(VALU_DEP_1)
	v_fma_f32 v99, -v99, v108, v109
	v_div_fmas_f32 v99, v99, v107, v108
	s_delay_alu instid0(VALU_DEP_1) | instskip(NEXT) | instid1(VALU_DEP_1)
	v_div_fixup_f32 v99, v99, v101, v100
	v_fmac_f32_e32 v101, v100, v99
	s_delay_alu instid0(VALU_DEP_1) | instskip(SKIP_1) | instid1(VALU_DEP_2)
	v_div_scale_f32 v100, null, v101, v101, 1.0
	v_div_scale_f32 v109, vcc_lo, 1.0, v101, 1.0
	v_rcp_f32_e32 v107, v100
	v_nop
	s_delay_alu instid0(TRANS32_DEP_1) | instskip(NEXT) | instid1(VALU_DEP_1)
	v_fma_f32 v108, -v100, v107, 1.0
	v_fmac_f32_e32 v107, v108, v107
	s_delay_alu instid0(VALU_DEP_1) | instskip(NEXT) | instid1(VALU_DEP_1)
	v_mul_f32_e32 v108, v109, v107
	v_fma_f32 v110, -v100, v108, v109
	s_delay_alu instid0(VALU_DEP_1) | instskip(NEXT) | instid1(VALU_DEP_1)
	v_fmac_f32_e32 v108, v110, v107
	v_fma_f32 v100, -v100, v108, v109
	s_delay_alu instid0(VALU_DEP_1) | instskip(NEXT) | instid1(VALU_DEP_1)
	v_div_fmas_f32 v100, v100, v107, v108
	v_div_fixup_f32 v101, v100, v101, 1.0
	s_delay_alu instid0(VALU_DEP_1)
	v_mul_f32_e32 v100, v99, v101
	v_xor_b32_e32 v101, 0x80000000, v101
.LBB90_511:
	s_and_not1_saveexec_b32 s1, s1
	s_cbranch_execz .LBB90_513
; %bb.512:
	s_delay_alu instid0(VALU_DEP_1) | instskip(SKIP_1) | instid1(VALU_DEP_2)
	v_div_scale_f32 v99, null, v100, v100, v101
	v_div_scale_f32 v109, vcc_lo, v101, v100, v101
	v_rcp_f32_e32 v107, v99
	v_nop
	s_delay_alu instid0(TRANS32_DEP_1) | instskip(NEXT) | instid1(VALU_DEP_1)
	v_fma_f32 v108, -v99, v107, 1.0
	v_fmac_f32_e32 v107, v108, v107
	s_delay_alu instid0(VALU_DEP_1) | instskip(NEXT) | instid1(VALU_DEP_1)
	v_mul_f32_e32 v108, v109, v107
	v_fma_f32 v110, -v99, v108, v109
	s_delay_alu instid0(VALU_DEP_1) | instskip(NEXT) | instid1(VALU_DEP_1)
	v_fmac_f32_e32 v108, v110, v107
	v_fma_f32 v99, -v99, v108, v109
	s_delay_alu instid0(VALU_DEP_1) | instskip(NEXT) | instid1(VALU_DEP_1)
	v_div_fmas_f32 v99, v99, v107, v108
	v_div_fixup_f32 v99, v99, v100, v101
	s_delay_alu instid0(VALU_DEP_1) | instskip(NEXT) | instid1(VALU_DEP_1)
	v_fmac_f32_e32 v100, v101, v99
	v_div_scale_f32 v101, null, v100, v100, 1.0
	s_delay_alu instid0(VALU_DEP_1) | instskip(SKIP_1) | instid1(TRANS32_DEP_1)
	v_rcp_f32_e32 v107, v101
	v_nop
	v_fma_f32 v108, -v101, v107, 1.0
	s_delay_alu instid0(VALU_DEP_1) | instskip(SKIP_1) | instid1(VALU_DEP_1)
	v_fmac_f32_e32 v107, v108, v107
	v_div_scale_f32 v108, vcc_lo, 1.0, v100, 1.0
	v_mul_f32_e32 v109, v108, v107
	s_delay_alu instid0(VALU_DEP_1) | instskip(NEXT) | instid1(VALU_DEP_1)
	v_fma_f32 v110, -v101, v109, v108
	v_fmac_f32_e32 v109, v110, v107
	s_delay_alu instid0(VALU_DEP_1) | instskip(NEXT) | instid1(VALU_DEP_1)
	v_fma_f32 v101, -v101, v109, v108
	v_div_fmas_f32 v101, v101, v107, v109
	s_delay_alu instid0(VALU_DEP_1) | instskip(NEXT) | instid1(VALU_DEP_1)
	v_div_fixup_f32 v100, v101, v100, 1.0
	v_mul_f32_e64 v101, v99, -v100
.LBB90_513:
	s_or_b32 exec_lo, exec_lo, s1
.LBB90_514:
	s_delay_alu instid0(SALU_CYCLE_1) | instskip(NEXT) | instid1(SALU_CYCLE_1)
	s_or_b32 exec_lo, exec_lo, s0
	s_mov_b32 s0, exec_lo
	v_cmpx_ne_u32_e64 v106, v98
	s_xor_b32 s0, exec_lo, s0
	s_cbranch_execz .LBB90_520
; %bb.515:
	s_mov_b32 s1, exec_lo
	v_cmpx_eq_u32_e32 24, v106
	s_cbranch_execz .LBB90_519
; %bb.516:
	v_cmp_ne_u32_e32 vcc_lo, 24, v98
	s_xor_b32 s12, s16, -1
	s_delay_alu instid0(SALU_CYCLE_1) | instskip(NEXT) | instid1(SALU_CYCLE_1)
	s_and_b32 s13, s12, vcc_lo
	s_and_saveexec_b32 s12, s13
	s_cbranch_execz .LBB90_518
; %bb.517:
	v_ashrrev_i32_e32 v99, 31, v98
	s_delay_alu instid0(VALU_DEP_1)
	v_lshl_add_u64 v[106:107], v[98:99], 2, v[4:5]
	s_clause 0x1
	global_load_b32 v99, v[106:107], off
	global_load_b32 v105, v[4:5], off offset:96
	s_wait_loadcnt 0x1
	global_store_b32 v[4:5], v99, off offset:96
	s_wait_loadcnt 0x0
	global_store_b32 v[106:107], v105, off
.LBB90_518:
	s_wait_xcnt 0x0
	s_or_b32 exec_lo, exec_lo, s12
	v_dual_mov_b32 v106, v98 :: v_dual_mov_b32 v105, v98
.LBB90_519:
	s_or_b32 exec_lo, exec_lo, s1
.LBB90_520:
	s_and_not1_saveexec_b32 s0, s0
	s_cbranch_execz .LBB90_522
; %bb.521:
	v_mov_b32_e32 v106, 24
	ds_store_2addr_b64 v102, v[44:45], v[46:47] offset0:25 offset1:26
	ds_store_2addr_b64 v102, v[42:43], v[76:77] offset0:27 offset1:28
	;; [unrolled: 1-line block ×10, first 2 shown]
	ds_store_b64 v102, v[96:97] offset:360
.LBB90_522:
	s_or_b32 exec_lo, exec_lo, s0
	s_delay_alu instid0(SALU_CYCLE_1)
	s_mov_b32 s0, exec_lo
	s_wait_storecnt_dscnt 0x0
	s_barrier_signal -1
	s_barrier_wait -1
	v_cmpx_lt_i32_e32 24, v106
	s_cbranch_execz .LBB90_524
; %bb.523:
	v_pk_mul_f32 v[108:109], v[100:101], v[80:81] op_sel:[1,1] op_sel_hi:[0,1]
	s_delay_alu instid0(VALU_DEP_1)
	v_pk_fma_f32 v[98:99], v[100:101], v[80:81], v[108:109] op_sel_hi:[1,0,1] neg_lo:[0,0,1] neg_hi:[0,0,1]
	v_pk_fma_f32 v[100:101], v[100:101], v[80:81], v[108:109] op_sel_hi:[1,0,1]
	ds_load_2addr_b64 v[108:111], v102 offset0:25 offset1:26
	v_dual_mov_b32 v80, v98 :: v_dual_mov_b32 v81, v101
	s_wait_dscnt 0x0
	v_pk_mul_f32 v[112:113], v[108:109], v[100:101] op_sel:[0,1]
	s_delay_alu instid0(VALU_DEP_1) | instskip(SKIP_1) | instid1(VALU_DEP_1)
	v_pk_fma_f32 v[114:115], v[108:109], v[98:99], v[112:113] op_sel:[0,0,1] op_sel_hi:[1,1,0] neg_lo:[0,0,1] neg_hi:[0,0,1]
	v_pk_fma_f32 v[108:109], v[108:109], v[98:99], v[112:113] op_sel:[0,0,1] op_sel_hi:[1,0,0]
	v_mov_b32_e32 v115, v109
	v_pk_mul_f32 v[108:109], v[110:111], v[100:101] op_sel:[0,1]
	s_delay_alu instid0(VALU_DEP_1) | instskip(SKIP_1) | instid1(VALU_DEP_1)
	v_pk_fma_f32 v[112:113], v[110:111], v[98:99], v[108:109] op_sel:[0,0,1] op_sel_hi:[1,1,0] neg_lo:[0,0,1] neg_hi:[0,0,1]
	v_pk_fma_f32 v[108:109], v[110:111], v[98:99], v[108:109] op_sel:[0,0,1] op_sel_hi:[1,0,0]
	v_mov_b32_e32 v113, v109
	ds_load_2addr_b64 v[108:111], v102 offset0:27 offset1:28
	v_pk_add_f32 v[44:45], v[44:45], v[114:115] neg_lo:[0,1] neg_hi:[0,1]
	v_pk_add_f32 v[46:47], v[46:47], v[112:113] neg_lo:[0,1] neg_hi:[0,1]
	s_wait_dscnt 0x0
	v_pk_mul_f32 v[112:113], v[108:109], v[100:101] op_sel:[0,1]
	s_delay_alu instid0(VALU_DEP_1) | instskip(SKIP_2) | instid1(VALU_DEP_2)
	v_pk_fma_f32 v[114:115], v[108:109], v[98:99], v[112:113] op_sel:[0,0,1] op_sel_hi:[1,1,0] neg_lo:[0,0,1] neg_hi:[0,0,1]
	v_pk_fma_f32 v[108:109], v[108:109], v[98:99], v[112:113] op_sel:[0,0,1] op_sel_hi:[1,0,0]
	v_dual_mul_f32 v112, v111, v101 :: v_dual_mov_b32 v108, v111
	v_dual_mov_b32 v115, v109 :: v_dual_mov_b32 v109, v110
	s_delay_alu instid0(VALU_DEP_2) | instskip(SKIP_1) | instid1(VALU_DEP_3)
	v_pk_fma_f32 v[112:113], v[110:111], v[80:81], v[112:113] op_sel_hi:[1,1,0] neg_lo:[0,0,1] neg_hi:[0,0,1]
	v_mul_f32_e32 v110, v111, v98
	v_pk_add_f32 v[42:43], v[42:43], v[114:115] neg_lo:[0,1] neg_hi:[0,1]
	s_delay_alu instid0(VALU_DEP_2) | instskip(NEXT) | instid1(VALU_DEP_1)
	v_pk_fma_f32 v[108:109], v[108:109], v[80:81], v[110:111] op_sel_hi:[1,1,0]
	v_mov_b32_e32 v113, v109
	ds_load_2addr_b64 v[108:111], v102 offset0:29 offset1:30
	v_pk_add_f32 v[76:77], v[76:77], v[112:113] neg_lo:[0,1] neg_hi:[0,1]
	s_wait_dscnt 0x0
	v_pk_mul_f32 v[112:113], v[108:109], v[100:101] op_sel:[0,1]
	s_delay_alu instid0(VALU_DEP_1) | instskip(SKIP_1) | instid1(VALU_DEP_1)
	v_pk_fma_f32 v[114:115], v[108:109], v[98:99], v[112:113] op_sel:[0,0,1] op_sel_hi:[1,1,0] neg_lo:[0,0,1] neg_hi:[0,0,1]
	v_pk_fma_f32 v[108:109], v[108:109], v[98:99], v[112:113] op_sel:[0,0,1] op_sel_hi:[1,0,0]
	v_mov_b32_e32 v115, v109
	v_pk_mul_f32 v[108:109], v[110:111], v[100:101] op_sel:[0,1]
	s_delay_alu instid0(VALU_DEP_1) | instskip(SKIP_1) | instid1(VALU_DEP_1)
	v_pk_fma_f32 v[112:113], v[110:111], v[98:99], v[108:109] op_sel:[0,0,1] op_sel_hi:[1,1,0] neg_lo:[0,0,1] neg_hi:[0,0,1]
	v_pk_fma_f32 v[108:109], v[110:111], v[98:99], v[108:109] op_sel:[0,0,1] op_sel_hi:[1,0,0]
	v_mov_b32_e32 v113, v109
	ds_load_2addr_b64 v[108:111], v102 offset0:31 offset1:32
	v_pk_add_f32 v[30:31], v[30:31], v[114:115] neg_lo:[0,1] neg_hi:[0,1]
	v_pk_add_f32 v[36:37], v[36:37], v[112:113] neg_lo:[0,1] neg_hi:[0,1]
	s_wait_dscnt 0x0
	v_pk_mul_f32 v[112:113], v[108:109], v[100:101] op_sel:[0,1]
	s_delay_alu instid0(VALU_DEP_1) | instskip(SKIP_1) | instid1(VALU_DEP_1)
	v_pk_fma_f32 v[114:115], v[108:109], v[98:99], v[112:113] op_sel:[0,0,1] op_sel_hi:[1,1,0] neg_lo:[0,0,1] neg_hi:[0,0,1]
	v_pk_fma_f32 v[108:109], v[108:109], v[98:99], v[112:113] op_sel:[0,0,1] op_sel_hi:[1,0,0]
	v_mov_b32_e32 v115, v109
	v_pk_mul_f32 v[108:109], v[110:111], v[100:101] op_sel:[0,1]
	s_delay_alu instid0(VALU_DEP_1) | instskip(SKIP_1) | instid1(VALU_DEP_1)
	v_pk_fma_f32 v[112:113], v[110:111], v[98:99], v[108:109] op_sel:[0,0,1] op_sel_hi:[1,1,0] neg_lo:[0,0,1] neg_hi:[0,0,1]
	v_pk_fma_f32 v[108:109], v[110:111], v[98:99], v[108:109] op_sel:[0,0,1] op_sel_hi:[1,0,0]
	v_mov_b32_e32 v113, v109
	ds_load_2addr_b64 v[108:111], v102 offset0:33 offset1:34
	v_pk_add_f32 v[28:29], v[28:29], v[114:115] neg_lo:[0,1] neg_hi:[0,1]
	v_pk_add_f32 v[72:73], v[72:73], v[112:113] neg_lo:[0,1] neg_hi:[0,1]
	s_wait_dscnt 0x0
	v_dual_mul_f32 v112, v109, v101 :: v_dual_mul_f32 v114, v109, v98
	s_delay_alu instid0(VALU_DEP_1) | instskip(NEXT) | instid1(VALU_DEP_2)
	v_pk_fma_f32 v[112:113], v[108:109], v[80:81], v[112:113] op_sel_hi:[1,1,0] neg_lo:[0,0,1] neg_hi:[0,0,1]
	v_pk_fma_f32 v[108:109], v[108:109], v[80:81], v[114:115] op_sel:[1,0,0] op_sel_hi:[0,1,0]
	s_delay_alu instid0(VALU_DEP_1) | instskip(SKIP_1) | instid1(VALU_DEP_2)
	v_mov_b32_e32 v113, v109
	v_pk_mul_f32 v[108:109], v[110:111], v[100:101] op_sel:[0,1]
	v_pk_add_f32 v[18:19], v[18:19], v[112:113] neg_lo:[0,1] neg_hi:[0,1]
	s_delay_alu instid0(VALU_DEP_2) | instskip(SKIP_1) | instid1(VALU_DEP_1)
	v_pk_fma_f32 v[112:113], v[110:111], v[98:99], v[108:109] op_sel:[0,0,1] op_sel_hi:[1,1,0] neg_lo:[0,0,1] neg_hi:[0,0,1]
	v_pk_fma_f32 v[108:109], v[110:111], v[98:99], v[108:109] op_sel:[0,0,1] op_sel_hi:[1,0,0]
	v_mov_b32_e32 v113, v109
	ds_load_2addr_b64 v[108:111], v102 offset0:35 offset1:36
	v_pk_add_f32 v[24:25], v[24:25], v[112:113] neg_lo:[0,1] neg_hi:[0,1]
	s_wait_dscnt 0x0
	v_pk_mul_f32 v[112:113], v[108:109], v[100:101] op_sel:[0,1]
	s_delay_alu instid0(VALU_DEP_1) | instskip(SKIP_1) | instid1(VALU_DEP_1)
	v_pk_fma_f32 v[114:115], v[108:109], v[98:99], v[112:113] op_sel:[0,0,1] op_sel_hi:[1,1,0] neg_lo:[0,0,1] neg_hi:[0,0,1]
	v_pk_fma_f32 v[108:109], v[108:109], v[98:99], v[112:113] op_sel:[0,0,1] op_sel_hi:[1,0,0]
	v_mov_b32_e32 v115, v109
	v_pk_mul_f32 v[108:109], v[110:111], v[100:101] op_sel:[0,1]
	s_delay_alu instid0(VALU_DEP_2) | instskip(NEXT) | instid1(VALU_DEP_2)
	v_pk_add_f32 v[16:17], v[16:17], v[114:115] neg_lo:[0,1] neg_hi:[0,1]
	v_pk_fma_f32 v[112:113], v[110:111], v[98:99], v[108:109] op_sel:[0,0,1] op_sel_hi:[1,1,0] neg_lo:[0,0,1] neg_hi:[0,0,1]
	v_pk_fma_f32 v[108:109], v[110:111], v[98:99], v[108:109] op_sel:[0,0,1] op_sel_hi:[1,0,0]
	s_delay_alu instid0(VALU_DEP_1) | instskip(SKIP_4) | instid1(VALU_DEP_1)
	v_mov_b32_e32 v113, v109
	ds_load_2addr_b64 v[108:111], v102 offset0:37 offset1:38
	v_pk_add_f32 v[70:71], v[70:71], v[112:113] neg_lo:[0,1] neg_hi:[0,1]
	s_wait_dscnt 0x0
	v_pk_mul_f32 v[112:113], v[108:109], v[100:101] op_sel:[0,1]
	v_pk_fma_f32 v[114:115], v[108:109], v[98:99], v[112:113] op_sel:[0,0,1] op_sel_hi:[1,1,0] neg_lo:[0,0,1] neg_hi:[0,0,1]
	v_pk_fma_f32 v[108:109], v[108:109], v[98:99], v[112:113] op_sel:[0,0,1] op_sel_hi:[1,0,0]
	v_dual_mul_f32 v112, v111, v101 :: v_dual_mov_b32 v108, v111
	s_delay_alu instid0(VALU_DEP_2) | instskip(NEXT) | instid1(VALU_DEP_2)
	v_dual_mov_b32 v115, v109 :: v_dual_mov_b32 v109, v110
	v_pk_fma_f32 v[112:113], v[110:111], v[80:81], v[112:113] op_sel_hi:[1,1,0] neg_lo:[0,0,1] neg_hi:[0,0,1]
	v_mul_f32_e32 v110, v111, v98
	s_delay_alu instid0(VALU_DEP_3) | instskip(NEXT) | instid1(VALU_DEP_2)
	v_pk_add_f32 v[10:11], v[10:11], v[114:115] neg_lo:[0,1] neg_hi:[0,1]
	v_pk_fma_f32 v[108:109], v[108:109], v[80:81], v[110:111] op_sel_hi:[1,1,0]
	s_delay_alu instid0(VALU_DEP_1) | instskip(SKIP_4) | instid1(VALU_DEP_1)
	v_mov_b32_e32 v113, v109
	ds_load_2addr_b64 v[108:111], v102 offset0:39 offset1:40
	v_pk_add_f32 v[12:13], v[12:13], v[112:113] neg_lo:[0,1] neg_hi:[0,1]
	s_wait_dscnt 0x0
	v_pk_mul_f32 v[112:113], v[108:109], v[100:101] op_sel:[0,1]
	v_pk_fma_f32 v[114:115], v[108:109], v[98:99], v[112:113] op_sel:[0,0,1] op_sel_hi:[1,1,0] neg_lo:[0,0,1] neg_hi:[0,0,1]
	v_pk_fma_f32 v[108:109], v[108:109], v[98:99], v[112:113] op_sel:[0,0,1] op_sel_hi:[1,0,0]
	s_delay_alu instid0(VALU_DEP_1) | instskip(SKIP_1) | instid1(VALU_DEP_1)
	v_mov_b32_e32 v115, v109
	v_pk_mul_f32 v[108:109], v[110:111], v[100:101] op_sel:[0,1]
	v_pk_fma_f32 v[112:113], v[110:111], v[98:99], v[108:109] op_sel:[0,0,1] op_sel_hi:[1,1,0] neg_lo:[0,0,1] neg_hi:[0,0,1]
	v_pk_fma_f32 v[108:109], v[110:111], v[98:99], v[108:109] op_sel:[0,0,1] op_sel_hi:[1,0,0]
	s_delay_alu instid0(VALU_DEP_1)
	v_mov_b32_e32 v113, v109
	ds_load_2addr_b64 v[108:111], v102 offset0:41 offset1:42
	v_pk_add_f32 v[8:9], v[8:9], v[114:115] neg_lo:[0,1] neg_hi:[0,1]
	v_pk_add_f32 v[68:69], v[68:69], v[112:113] neg_lo:[0,1] neg_hi:[0,1]
	s_wait_dscnt 0x0
	v_pk_mul_f32 v[112:113], v[108:109], v[100:101] op_sel:[0,1]
	s_delay_alu instid0(VALU_DEP_1) | instskip(SKIP_1) | instid1(VALU_DEP_1)
	v_pk_fma_f32 v[114:115], v[108:109], v[98:99], v[112:113] op_sel:[0,0,1] op_sel_hi:[1,1,0] neg_lo:[0,0,1] neg_hi:[0,0,1]
	v_pk_fma_f32 v[108:109], v[108:109], v[98:99], v[112:113] op_sel:[0,0,1] op_sel_hi:[1,0,0]
	v_mov_b32_e32 v115, v109
	v_pk_mul_f32 v[108:109], v[110:111], v[100:101] op_sel:[0,1]
	s_delay_alu instid0(VALU_DEP_1) | instskip(SKIP_1) | instid1(VALU_DEP_1)
	v_pk_fma_f32 v[112:113], v[110:111], v[98:99], v[108:109] op_sel:[0,0,1] op_sel_hi:[1,1,0] neg_lo:[0,0,1] neg_hi:[0,0,1]
	v_pk_fma_f32 v[108:109], v[110:111], v[98:99], v[108:109] op_sel:[0,0,1] op_sel_hi:[1,0,0]
	v_mov_b32_e32 v113, v109
	ds_load_2addr_b64 v[108:111], v102 offset0:43 offset1:44
	v_pk_add_f32 v[6:7], v[6:7], v[114:115] neg_lo:[0,1] neg_hi:[0,1]
	v_pk_add_f32 v[54:55], v[54:55], v[112:113] neg_lo:[0,1] neg_hi:[0,1]
	s_wait_dscnt 0x0
	v_dual_mul_f32 v112, v109, v101 :: v_dual_mul_f32 v114, v109, v98
	s_delay_alu instid0(VALU_DEP_1) | instskip(NEXT) | instid1(VALU_DEP_2)
	v_pk_fma_f32 v[112:113], v[108:109], v[80:81], v[112:113] op_sel_hi:[1,1,0] neg_lo:[0,0,1] neg_hi:[0,0,1]
	v_pk_fma_f32 v[108:109], v[108:109], v[80:81], v[114:115] op_sel:[1,0,0] op_sel_hi:[0,1,0]
	s_delay_alu instid0(VALU_DEP_1) | instskip(SKIP_1) | instid1(VALU_DEP_2)
	v_mov_b32_e32 v113, v109
	v_pk_mul_f32 v[108:109], v[110:111], v[100:101] op_sel:[0,1]
	v_pk_add_f32 v[40:41], v[40:41], v[112:113] neg_lo:[0,1] neg_hi:[0,1]
	s_delay_alu instid0(VALU_DEP_2) | instskip(SKIP_1) | instid1(VALU_DEP_1)
	v_pk_fma_f32 v[112:113], v[110:111], v[98:99], v[108:109] op_sel:[0,0,1] op_sel_hi:[1,1,0] neg_lo:[0,0,1] neg_hi:[0,0,1]
	v_pk_fma_f32 v[108:109], v[110:111], v[98:99], v[108:109] op_sel:[0,0,1] op_sel_hi:[1,0,0]
	v_mov_b32_e32 v113, v109
	ds_load_b64 v[108:109], v102 offset:360
	v_pk_add_f32 v[14:15], v[14:15], v[112:113] neg_lo:[0,1] neg_hi:[0,1]
	s_wait_dscnt 0x0
	v_pk_mul_f32 v[100:101], v[108:109], v[100:101] op_sel:[0,1]
	s_delay_alu instid0(VALU_DEP_1) | instskip(SKIP_1) | instid1(VALU_DEP_1)
	v_pk_fma_f32 v[110:111], v[108:109], v[98:99], v[100:101] op_sel:[0,0,1] op_sel_hi:[1,1,0] neg_lo:[0,0,1] neg_hi:[0,0,1]
	v_pk_fma_f32 v[98:99], v[108:109], v[98:99], v[100:101] op_sel:[0,0,1] op_sel_hi:[1,0,0]
	v_mov_b32_e32 v111, v99
	s_delay_alu instid0(VALU_DEP_1)
	v_pk_add_f32 v[96:97], v[96:97], v[110:111] neg_lo:[0,1] neg_hi:[0,1]
.LBB90_524:
	s_or_b32 exec_lo, exec_lo, s0
	v_lshl_add_u32 v98, v106, 3, v102
	s_barrier_signal -1
	s_barrier_wait -1
	ds_store_b64 v98, v[44:45]
	s_wait_dscnt 0x0
	s_barrier_signal -1
	s_barrier_wait -1
	ds_load_b64 v[100:101], v102 offset:200
	v_mov_b32_e32 v98, 25
	s_cmp_lt_i32 s18, 27
	s_cbranch_scc1 .LBB90_527
; %bb.525:
	v_add3_u32 v99, v103, 0, 0xd0
	v_mov_b32_e32 v98, 25
	s_mov_b32 s0, 26
.LBB90_526:                             ; =>This Inner Loop Header: Depth=1
	ds_load_b64 v[108:109], v99
	s_wait_dscnt 0x1
	v_cmp_gt_f32_e32 vcc_lo, 0, v100
	v_cndmask_b32_e64 v110, v100, -v100, vcc_lo
	v_cmp_gt_f32_e32 vcc_lo, 0, v101
	v_cndmask_b32_e64 v112, v101, -v101, vcc_lo
	s_wait_dscnt 0x0
	v_cmp_gt_f32_e32 vcc_lo, 0, v108
	v_cndmask_b32_e64 v111, v108, -v108, vcc_lo
	v_cmp_gt_f32_e32 vcc_lo, 0, v109
	v_cndmask_b32_e64 v113, v109, -v109, vcc_lo
	s_delay_alu instid0(VALU_DEP_1) | instskip(NEXT) | instid1(VALU_DEP_1)
	v_pk_add_f32 v[110:111], v[110:111], v[112:113]
	v_cmp_lt_f32_e32 vcc_lo, v110, v111
	v_dual_add_nc_u32 v99, 8, v99 :: v_dual_cndmask_b32 v101, v101, v109, vcc_lo
	v_cndmask_b32_e32 v100, v100, v108, vcc_lo
	v_cndmask_b32_e64 v98, v98, s0, vcc_lo
	s_add_co_i32 s0, s0, 1
	s_delay_alu instid0(SALU_CYCLE_1)
	s_cmp_lg_u32 s18, s0
	s_cbranch_scc1 .LBB90_526
.LBB90_527:
	s_wait_dscnt 0x0
	v_cmp_eq_f32_e32 vcc_lo, 0, v100
	v_cmp_eq_f32_e64 s0, 0, v101
	s_and_b32 s0, vcc_lo, s0
	s_delay_alu instid0(SALU_CYCLE_1) | instskip(NEXT) | instid1(SALU_CYCLE_1)
	s_and_saveexec_b32 s1, s0
	s_xor_b32 s0, exec_lo, s1
; %bb.528:
	v_cmp_ne_u32_e32 vcc_lo, 0, v104
	v_cndmask_b32_e32 v104, 26, v104, vcc_lo
; %bb.529:
	s_and_not1_saveexec_b32 s0, s0
	s_cbranch_execz .LBB90_535
; %bb.530:
	v_cmp_ngt_f32_e64 s1, |v100|, |v101|
	s_and_saveexec_b32 s12, s1
	s_delay_alu instid0(SALU_CYCLE_1)
	s_xor_b32 s1, exec_lo, s12
	s_cbranch_execz .LBB90_532
; %bb.531:
	v_div_scale_f32 v99, null, v101, v101, v100
	v_div_scale_f32 v109, vcc_lo, v100, v101, v100
	s_delay_alu instid0(VALU_DEP_2) | instskip(SKIP_1) | instid1(TRANS32_DEP_1)
	v_rcp_f32_e32 v107, v99
	v_nop
	v_fma_f32 v108, -v99, v107, 1.0
	s_delay_alu instid0(VALU_DEP_1) | instskip(NEXT) | instid1(VALU_DEP_1)
	v_fmac_f32_e32 v107, v108, v107
	v_mul_f32_e32 v108, v109, v107
	s_delay_alu instid0(VALU_DEP_1) | instskip(NEXT) | instid1(VALU_DEP_1)
	v_fma_f32 v110, -v99, v108, v109
	v_fmac_f32_e32 v108, v110, v107
	s_delay_alu instid0(VALU_DEP_1) | instskip(NEXT) | instid1(VALU_DEP_1)
	v_fma_f32 v99, -v99, v108, v109
	v_div_fmas_f32 v99, v99, v107, v108
	s_delay_alu instid0(VALU_DEP_1) | instskip(NEXT) | instid1(VALU_DEP_1)
	v_div_fixup_f32 v99, v99, v101, v100
	v_fmac_f32_e32 v101, v100, v99
	s_delay_alu instid0(VALU_DEP_1) | instskip(SKIP_1) | instid1(VALU_DEP_2)
	v_div_scale_f32 v100, null, v101, v101, 1.0
	v_div_scale_f32 v109, vcc_lo, 1.0, v101, 1.0
	v_rcp_f32_e32 v107, v100
	v_nop
	s_delay_alu instid0(TRANS32_DEP_1) | instskip(NEXT) | instid1(VALU_DEP_1)
	v_fma_f32 v108, -v100, v107, 1.0
	v_fmac_f32_e32 v107, v108, v107
	s_delay_alu instid0(VALU_DEP_1) | instskip(NEXT) | instid1(VALU_DEP_1)
	v_mul_f32_e32 v108, v109, v107
	v_fma_f32 v110, -v100, v108, v109
	s_delay_alu instid0(VALU_DEP_1) | instskip(NEXT) | instid1(VALU_DEP_1)
	v_fmac_f32_e32 v108, v110, v107
	v_fma_f32 v100, -v100, v108, v109
	s_delay_alu instid0(VALU_DEP_1) | instskip(NEXT) | instid1(VALU_DEP_1)
	v_div_fmas_f32 v100, v100, v107, v108
	v_div_fixup_f32 v101, v100, v101, 1.0
	s_delay_alu instid0(VALU_DEP_1)
	v_mul_f32_e32 v100, v99, v101
	v_xor_b32_e32 v101, 0x80000000, v101
.LBB90_532:
	s_and_not1_saveexec_b32 s1, s1
	s_cbranch_execz .LBB90_534
; %bb.533:
	s_delay_alu instid0(VALU_DEP_1) | instskip(SKIP_1) | instid1(VALU_DEP_2)
	v_div_scale_f32 v99, null, v100, v100, v101
	v_div_scale_f32 v109, vcc_lo, v101, v100, v101
	v_rcp_f32_e32 v107, v99
	v_nop
	s_delay_alu instid0(TRANS32_DEP_1) | instskip(NEXT) | instid1(VALU_DEP_1)
	v_fma_f32 v108, -v99, v107, 1.0
	v_fmac_f32_e32 v107, v108, v107
	s_delay_alu instid0(VALU_DEP_1) | instskip(NEXT) | instid1(VALU_DEP_1)
	v_mul_f32_e32 v108, v109, v107
	v_fma_f32 v110, -v99, v108, v109
	s_delay_alu instid0(VALU_DEP_1) | instskip(NEXT) | instid1(VALU_DEP_1)
	v_fmac_f32_e32 v108, v110, v107
	v_fma_f32 v99, -v99, v108, v109
	s_delay_alu instid0(VALU_DEP_1) | instskip(NEXT) | instid1(VALU_DEP_1)
	v_div_fmas_f32 v99, v99, v107, v108
	v_div_fixup_f32 v99, v99, v100, v101
	s_delay_alu instid0(VALU_DEP_1) | instskip(NEXT) | instid1(VALU_DEP_1)
	v_fmac_f32_e32 v100, v101, v99
	v_div_scale_f32 v101, null, v100, v100, 1.0
	s_delay_alu instid0(VALU_DEP_1) | instskip(SKIP_1) | instid1(TRANS32_DEP_1)
	v_rcp_f32_e32 v107, v101
	v_nop
	v_fma_f32 v108, -v101, v107, 1.0
	s_delay_alu instid0(VALU_DEP_1) | instskip(SKIP_1) | instid1(VALU_DEP_1)
	v_fmac_f32_e32 v107, v108, v107
	v_div_scale_f32 v108, vcc_lo, 1.0, v100, 1.0
	v_mul_f32_e32 v109, v108, v107
	s_delay_alu instid0(VALU_DEP_1) | instskip(NEXT) | instid1(VALU_DEP_1)
	v_fma_f32 v110, -v101, v109, v108
	v_fmac_f32_e32 v109, v110, v107
	s_delay_alu instid0(VALU_DEP_1) | instskip(NEXT) | instid1(VALU_DEP_1)
	v_fma_f32 v101, -v101, v109, v108
	v_div_fmas_f32 v101, v101, v107, v109
	s_delay_alu instid0(VALU_DEP_1) | instskip(NEXT) | instid1(VALU_DEP_1)
	v_div_fixup_f32 v100, v101, v100, 1.0
	v_mul_f32_e64 v101, v99, -v100
.LBB90_534:
	s_or_b32 exec_lo, exec_lo, s1
.LBB90_535:
	s_delay_alu instid0(SALU_CYCLE_1) | instskip(NEXT) | instid1(SALU_CYCLE_1)
	s_or_b32 exec_lo, exec_lo, s0
	s_mov_b32 s0, exec_lo
	v_cmpx_ne_u32_e64 v106, v98
	s_xor_b32 s0, exec_lo, s0
	s_cbranch_execz .LBB90_541
; %bb.536:
	s_mov_b32 s1, exec_lo
	v_cmpx_eq_u32_e32 25, v106
	s_cbranch_execz .LBB90_540
; %bb.537:
	v_cmp_ne_u32_e32 vcc_lo, 25, v98
	s_xor_b32 s12, s16, -1
	s_delay_alu instid0(SALU_CYCLE_1) | instskip(NEXT) | instid1(SALU_CYCLE_1)
	s_and_b32 s13, s12, vcc_lo
	s_and_saveexec_b32 s12, s13
	s_cbranch_execz .LBB90_539
; %bb.538:
	v_ashrrev_i32_e32 v99, 31, v98
	s_delay_alu instid0(VALU_DEP_1)
	v_lshl_add_u64 v[106:107], v[98:99], 2, v[4:5]
	s_clause 0x1
	global_load_b32 v99, v[106:107], off
	global_load_b32 v105, v[4:5], off offset:100
	s_wait_loadcnt 0x1
	global_store_b32 v[4:5], v99, off offset:100
	s_wait_loadcnt 0x0
	global_store_b32 v[106:107], v105, off
.LBB90_539:
	s_wait_xcnt 0x0
	s_or_b32 exec_lo, exec_lo, s12
	v_dual_mov_b32 v106, v98 :: v_dual_mov_b32 v105, v98
.LBB90_540:
	s_or_b32 exec_lo, exec_lo, s1
.LBB90_541:
	s_and_not1_saveexec_b32 s0, s0
	s_cbranch_execz .LBB90_543
; %bb.542:
	v_dual_mov_b32 v98, v46 :: v_dual_mov_b32 v99, v47
	v_dual_mov_b32 v106, v42 :: v_dual_mov_b32 v107, v43
	;; [unrolled: 1-line block ×12, first 2 shown]
	ds_store_2addr_b64 v102, v[98:99], v[106:107] offset0:26 offset1:27
	ds_store_2addr_b64 v102, v[108:109], v[110:111] offset0:28 offset1:29
	;; [unrolled: 1-line block ×6, first 2 shown]
	v_dual_mov_b32 v98, v12 :: v_dual_mov_b32 v99, v13
	v_dual_mov_b32 v108, v8 :: v_dual_mov_b32 v109, v9
	;; [unrolled: 1-line block ×7, first 2 shown]
	v_mov_b32_e32 v119, v15
	ds_store_2addr_b64 v102, v[98:99], v[108:109] offset0:38 offset1:39
	ds_store_2addr_b64 v102, v[110:111], v[112:113] offset0:40 offset1:41
	;; [unrolled: 1-line block ×4, first 2 shown]
.LBB90_543:
	s_or_b32 exec_lo, exec_lo, s0
	s_delay_alu instid0(SALU_CYCLE_1)
	s_mov_b32 s0, exec_lo
	s_wait_storecnt_dscnt 0x0
	s_barrier_signal -1
	s_barrier_wait -1
	v_cmpx_lt_i32_e32 25, v106
	s_cbranch_execz .LBB90_545
; %bb.544:
	v_pk_mul_f32 v[108:109], v[100:101], v[44:45] op_sel:[1,1] op_sel_hi:[0,1]
	s_delay_alu instid0(VALU_DEP_1)
	v_pk_fma_f32 v[98:99], v[100:101], v[44:45], v[108:109] op_sel_hi:[1,0,1] neg_lo:[0,0,1] neg_hi:[0,0,1]
	v_pk_fma_f32 v[100:101], v[100:101], v[44:45], v[108:109] op_sel_hi:[1,0,1]
	ds_load_2addr_b64 v[108:111], v102 offset0:26 offset1:27
	v_dual_mov_b32 v44, v98 :: v_dual_mov_b32 v45, v101
	s_wait_dscnt 0x0
	v_pk_mul_f32 v[112:113], v[108:109], v[100:101] op_sel:[0,1]
	s_delay_alu instid0(VALU_DEP_1) | instskip(SKIP_1) | instid1(VALU_DEP_1)
	v_pk_fma_f32 v[114:115], v[108:109], v[98:99], v[112:113] op_sel:[0,0,1] op_sel_hi:[1,1,0] neg_lo:[0,0,1] neg_hi:[0,0,1]
	v_pk_fma_f32 v[108:109], v[108:109], v[98:99], v[112:113] op_sel:[0,0,1] op_sel_hi:[1,0,0]
	v_mov_b32_e32 v115, v109
	v_pk_mul_f32 v[108:109], v[110:111], v[100:101] op_sel:[0,1]
	s_delay_alu instid0(VALU_DEP_1) | instskip(SKIP_1) | instid1(VALU_DEP_1)
	v_pk_fma_f32 v[112:113], v[110:111], v[98:99], v[108:109] op_sel:[0,0,1] op_sel_hi:[1,1,0] neg_lo:[0,0,1] neg_hi:[0,0,1]
	v_pk_fma_f32 v[108:109], v[110:111], v[98:99], v[108:109] op_sel:[0,0,1] op_sel_hi:[1,0,0]
	v_mov_b32_e32 v113, v109
	ds_load_2addr_b64 v[108:111], v102 offset0:28 offset1:29
	v_pk_add_f32 v[46:47], v[46:47], v[114:115] neg_lo:[0,1] neg_hi:[0,1]
	v_pk_add_f32 v[42:43], v[42:43], v[112:113] neg_lo:[0,1] neg_hi:[0,1]
	s_wait_dscnt 0x0
	v_pk_mul_f32 v[112:113], v[108:109], v[100:101] op_sel:[0,1]
	s_delay_alu instid0(VALU_DEP_1) | instskip(SKIP_2) | instid1(VALU_DEP_2)
	v_pk_fma_f32 v[114:115], v[108:109], v[98:99], v[112:113] op_sel:[0,0,1] op_sel_hi:[1,1,0] neg_lo:[0,0,1] neg_hi:[0,0,1]
	v_pk_fma_f32 v[108:109], v[108:109], v[98:99], v[112:113] op_sel:[0,0,1] op_sel_hi:[1,0,0]
	v_dual_mul_f32 v112, v111, v101 :: v_dual_mov_b32 v108, v111
	v_dual_mov_b32 v115, v109 :: v_dual_mov_b32 v109, v110
	s_delay_alu instid0(VALU_DEP_2) | instskip(SKIP_1) | instid1(VALU_DEP_3)
	v_pk_fma_f32 v[112:113], v[110:111], v[44:45], v[112:113] op_sel_hi:[1,1,0] neg_lo:[0,0,1] neg_hi:[0,0,1]
	v_mul_f32_e32 v110, v111, v98
	v_pk_add_f32 v[76:77], v[76:77], v[114:115] neg_lo:[0,1] neg_hi:[0,1]
	s_delay_alu instid0(VALU_DEP_2) | instskip(NEXT) | instid1(VALU_DEP_1)
	v_pk_fma_f32 v[108:109], v[108:109], v[44:45], v[110:111] op_sel_hi:[1,1,0]
	v_mov_b32_e32 v113, v109
	ds_load_2addr_b64 v[108:111], v102 offset0:30 offset1:31
	v_pk_add_f32 v[30:31], v[30:31], v[112:113] neg_lo:[0,1] neg_hi:[0,1]
	s_wait_dscnt 0x0
	v_pk_mul_f32 v[112:113], v[108:109], v[100:101] op_sel:[0,1]
	s_delay_alu instid0(VALU_DEP_1) | instskip(SKIP_1) | instid1(VALU_DEP_1)
	v_pk_fma_f32 v[114:115], v[108:109], v[98:99], v[112:113] op_sel:[0,0,1] op_sel_hi:[1,1,0] neg_lo:[0,0,1] neg_hi:[0,0,1]
	v_pk_fma_f32 v[108:109], v[108:109], v[98:99], v[112:113] op_sel:[0,0,1] op_sel_hi:[1,0,0]
	v_mov_b32_e32 v115, v109
	v_pk_mul_f32 v[108:109], v[110:111], v[100:101] op_sel:[0,1]
	s_delay_alu instid0(VALU_DEP_1) | instskip(SKIP_1) | instid1(VALU_DEP_1)
	v_pk_fma_f32 v[112:113], v[110:111], v[98:99], v[108:109] op_sel:[0,0,1] op_sel_hi:[1,1,0] neg_lo:[0,0,1] neg_hi:[0,0,1]
	v_pk_fma_f32 v[108:109], v[110:111], v[98:99], v[108:109] op_sel:[0,0,1] op_sel_hi:[1,0,0]
	v_mov_b32_e32 v113, v109
	ds_load_2addr_b64 v[108:111], v102 offset0:32 offset1:33
	v_pk_add_f32 v[36:37], v[36:37], v[114:115] neg_lo:[0,1] neg_hi:[0,1]
	v_pk_add_f32 v[28:29], v[28:29], v[112:113] neg_lo:[0,1] neg_hi:[0,1]
	s_wait_dscnt 0x0
	v_pk_mul_f32 v[112:113], v[108:109], v[100:101] op_sel:[0,1]
	s_delay_alu instid0(VALU_DEP_1) | instskip(SKIP_1) | instid1(VALU_DEP_1)
	v_pk_fma_f32 v[114:115], v[108:109], v[98:99], v[112:113] op_sel:[0,0,1] op_sel_hi:[1,1,0] neg_lo:[0,0,1] neg_hi:[0,0,1]
	v_pk_fma_f32 v[108:109], v[108:109], v[98:99], v[112:113] op_sel:[0,0,1] op_sel_hi:[1,0,0]
	v_mov_b32_e32 v115, v109
	v_pk_mul_f32 v[108:109], v[110:111], v[100:101] op_sel:[0,1]
	s_delay_alu instid0(VALU_DEP_1) | instskip(SKIP_1) | instid1(VALU_DEP_1)
	v_pk_fma_f32 v[112:113], v[110:111], v[98:99], v[108:109] op_sel:[0,0,1] op_sel_hi:[1,1,0] neg_lo:[0,0,1] neg_hi:[0,0,1]
	v_pk_fma_f32 v[108:109], v[110:111], v[98:99], v[108:109] op_sel:[0,0,1] op_sel_hi:[1,0,0]
	v_mov_b32_e32 v113, v109
	ds_load_2addr_b64 v[108:111], v102 offset0:34 offset1:35
	v_pk_add_f32 v[72:73], v[72:73], v[114:115] neg_lo:[0,1] neg_hi:[0,1]
	v_pk_add_f32 v[18:19], v[18:19], v[112:113] neg_lo:[0,1] neg_hi:[0,1]
	s_wait_dscnt 0x0
	v_dual_mul_f32 v112, v109, v101 :: v_dual_mul_f32 v114, v109, v98
	s_delay_alu instid0(VALU_DEP_1) | instskip(NEXT) | instid1(VALU_DEP_2)
	v_pk_fma_f32 v[112:113], v[108:109], v[44:45], v[112:113] op_sel_hi:[1,1,0] neg_lo:[0,0,1] neg_hi:[0,0,1]
	v_pk_fma_f32 v[108:109], v[108:109], v[44:45], v[114:115] op_sel:[1,0,0] op_sel_hi:[0,1,0]
	s_delay_alu instid0(VALU_DEP_1) | instskip(SKIP_1) | instid1(VALU_DEP_2)
	v_mov_b32_e32 v113, v109
	v_pk_mul_f32 v[108:109], v[110:111], v[100:101] op_sel:[0,1]
	v_pk_add_f32 v[24:25], v[24:25], v[112:113] neg_lo:[0,1] neg_hi:[0,1]
	s_delay_alu instid0(VALU_DEP_2) | instskip(SKIP_1) | instid1(VALU_DEP_1)
	v_pk_fma_f32 v[112:113], v[110:111], v[98:99], v[108:109] op_sel:[0,0,1] op_sel_hi:[1,1,0] neg_lo:[0,0,1] neg_hi:[0,0,1]
	v_pk_fma_f32 v[108:109], v[110:111], v[98:99], v[108:109] op_sel:[0,0,1] op_sel_hi:[1,0,0]
	v_mov_b32_e32 v113, v109
	ds_load_2addr_b64 v[108:111], v102 offset0:36 offset1:37
	v_pk_add_f32 v[16:17], v[16:17], v[112:113] neg_lo:[0,1] neg_hi:[0,1]
	s_wait_dscnt 0x0
	v_pk_mul_f32 v[112:113], v[108:109], v[100:101] op_sel:[0,1]
	s_delay_alu instid0(VALU_DEP_1) | instskip(SKIP_1) | instid1(VALU_DEP_1)
	v_pk_fma_f32 v[114:115], v[108:109], v[98:99], v[112:113] op_sel:[0,0,1] op_sel_hi:[1,1,0] neg_lo:[0,0,1] neg_hi:[0,0,1]
	v_pk_fma_f32 v[108:109], v[108:109], v[98:99], v[112:113] op_sel:[0,0,1] op_sel_hi:[1,0,0]
	v_mov_b32_e32 v115, v109
	v_pk_mul_f32 v[108:109], v[110:111], v[100:101] op_sel:[0,1]
	s_delay_alu instid0(VALU_DEP_2) | instskip(NEXT) | instid1(VALU_DEP_2)
	v_pk_add_f32 v[70:71], v[70:71], v[114:115] neg_lo:[0,1] neg_hi:[0,1]
	v_pk_fma_f32 v[112:113], v[110:111], v[98:99], v[108:109] op_sel:[0,0,1] op_sel_hi:[1,1,0] neg_lo:[0,0,1] neg_hi:[0,0,1]
	v_pk_fma_f32 v[108:109], v[110:111], v[98:99], v[108:109] op_sel:[0,0,1] op_sel_hi:[1,0,0]
	s_delay_alu instid0(VALU_DEP_1) | instskip(SKIP_4) | instid1(VALU_DEP_1)
	v_mov_b32_e32 v113, v109
	ds_load_2addr_b64 v[108:111], v102 offset0:38 offset1:39
	v_pk_add_f32 v[10:11], v[10:11], v[112:113] neg_lo:[0,1] neg_hi:[0,1]
	s_wait_dscnt 0x0
	v_pk_mul_f32 v[112:113], v[108:109], v[100:101] op_sel:[0,1]
	v_pk_fma_f32 v[114:115], v[108:109], v[98:99], v[112:113] op_sel:[0,0,1] op_sel_hi:[1,1,0] neg_lo:[0,0,1] neg_hi:[0,0,1]
	v_pk_fma_f32 v[108:109], v[108:109], v[98:99], v[112:113] op_sel:[0,0,1] op_sel_hi:[1,0,0]
	v_dual_mul_f32 v112, v111, v101 :: v_dual_mov_b32 v108, v111
	s_delay_alu instid0(VALU_DEP_2) | instskip(NEXT) | instid1(VALU_DEP_2)
	v_dual_mov_b32 v115, v109 :: v_dual_mov_b32 v109, v110
	v_pk_fma_f32 v[112:113], v[110:111], v[44:45], v[112:113] op_sel_hi:[1,1,0] neg_lo:[0,0,1] neg_hi:[0,0,1]
	v_mul_f32_e32 v110, v111, v98
	s_delay_alu instid0(VALU_DEP_3) | instskip(NEXT) | instid1(VALU_DEP_2)
	v_pk_add_f32 v[12:13], v[12:13], v[114:115] neg_lo:[0,1] neg_hi:[0,1]
	v_pk_fma_f32 v[108:109], v[108:109], v[44:45], v[110:111] op_sel_hi:[1,1,0]
	s_delay_alu instid0(VALU_DEP_1) | instskip(SKIP_4) | instid1(VALU_DEP_1)
	v_mov_b32_e32 v113, v109
	ds_load_2addr_b64 v[108:111], v102 offset0:40 offset1:41
	v_pk_add_f32 v[8:9], v[8:9], v[112:113] neg_lo:[0,1] neg_hi:[0,1]
	s_wait_dscnt 0x0
	v_pk_mul_f32 v[112:113], v[108:109], v[100:101] op_sel:[0,1]
	v_pk_fma_f32 v[114:115], v[108:109], v[98:99], v[112:113] op_sel:[0,0,1] op_sel_hi:[1,1,0] neg_lo:[0,0,1] neg_hi:[0,0,1]
	v_pk_fma_f32 v[108:109], v[108:109], v[98:99], v[112:113] op_sel:[0,0,1] op_sel_hi:[1,0,0]
	s_delay_alu instid0(VALU_DEP_1) | instskip(SKIP_1) | instid1(VALU_DEP_1)
	v_mov_b32_e32 v115, v109
	v_pk_mul_f32 v[108:109], v[110:111], v[100:101] op_sel:[0,1]
	v_pk_fma_f32 v[112:113], v[110:111], v[98:99], v[108:109] op_sel:[0,0,1] op_sel_hi:[1,1,0] neg_lo:[0,0,1] neg_hi:[0,0,1]
	v_pk_fma_f32 v[108:109], v[110:111], v[98:99], v[108:109] op_sel:[0,0,1] op_sel_hi:[1,0,0]
	s_delay_alu instid0(VALU_DEP_1)
	v_mov_b32_e32 v113, v109
	ds_load_2addr_b64 v[108:111], v102 offset0:42 offset1:43
	v_pk_add_f32 v[68:69], v[68:69], v[114:115] neg_lo:[0,1] neg_hi:[0,1]
	v_pk_add_f32 v[6:7], v[6:7], v[112:113] neg_lo:[0,1] neg_hi:[0,1]
	s_wait_dscnt 0x0
	v_pk_mul_f32 v[112:113], v[108:109], v[100:101] op_sel:[0,1]
	s_delay_alu instid0(VALU_DEP_1) | instskip(SKIP_1) | instid1(VALU_DEP_1)
	v_pk_fma_f32 v[114:115], v[108:109], v[98:99], v[112:113] op_sel:[0,0,1] op_sel_hi:[1,1,0] neg_lo:[0,0,1] neg_hi:[0,0,1]
	v_pk_fma_f32 v[108:109], v[108:109], v[98:99], v[112:113] op_sel:[0,0,1] op_sel_hi:[1,0,0]
	v_mov_b32_e32 v115, v109
	v_pk_mul_f32 v[108:109], v[110:111], v[100:101] op_sel:[0,1]
	s_delay_alu instid0(VALU_DEP_1) | instskip(SKIP_1) | instid1(VALU_DEP_1)
	v_pk_fma_f32 v[112:113], v[110:111], v[98:99], v[108:109] op_sel:[0,0,1] op_sel_hi:[1,1,0] neg_lo:[0,0,1] neg_hi:[0,0,1]
	v_pk_fma_f32 v[108:109], v[110:111], v[98:99], v[108:109] op_sel:[0,0,1] op_sel_hi:[1,0,0]
	v_mov_b32_e32 v113, v109
	ds_load_2addr_b64 v[108:111], v102 offset0:44 offset1:45
	v_pk_add_f32 v[54:55], v[54:55], v[114:115] neg_lo:[0,1] neg_hi:[0,1]
	v_pk_add_f32 v[40:41], v[40:41], v[112:113] neg_lo:[0,1] neg_hi:[0,1]
	s_wait_dscnt 0x0
	v_dual_mul_f32 v112, v109, v101 :: v_dual_mul_f32 v114, v109, v98
	v_pk_mul_f32 v[100:101], v[110:111], v[100:101] op_sel:[0,1]
	s_delay_alu instid0(VALU_DEP_2) | instskip(NEXT) | instid1(VALU_DEP_3)
	v_pk_fma_f32 v[112:113], v[108:109], v[44:45], v[112:113] op_sel_hi:[1,1,0] neg_lo:[0,0,1] neg_hi:[0,0,1]
	v_pk_fma_f32 v[108:109], v[108:109], v[44:45], v[114:115] op_sel:[1,0,0] op_sel_hi:[0,1,0]
	s_delay_alu instid0(VALU_DEP_1) | instskip(NEXT) | instid1(VALU_DEP_4)
	v_mov_b32_e32 v113, v109
	v_pk_fma_f32 v[108:109], v[110:111], v[98:99], v[100:101] op_sel:[0,0,1] op_sel_hi:[1,1,0] neg_lo:[0,0,1] neg_hi:[0,0,1]
	v_pk_fma_f32 v[98:99], v[110:111], v[98:99], v[100:101] op_sel:[0,0,1] op_sel_hi:[1,0,0]
	s_delay_alu instid0(VALU_DEP_1) | instskip(NEXT) | instid1(VALU_DEP_4)
	v_mov_b32_e32 v109, v99
	v_pk_add_f32 v[14:15], v[14:15], v[112:113] neg_lo:[0,1] neg_hi:[0,1]
	s_delay_alu instid0(VALU_DEP_2)
	v_pk_add_f32 v[96:97], v[96:97], v[108:109] neg_lo:[0,1] neg_hi:[0,1]
.LBB90_545:
	s_or_b32 exec_lo, exec_lo, s0
	v_lshl_add_u32 v98, v106, 3, v102
	s_barrier_signal -1
	s_barrier_wait -1
	ds_store_b64 v98, v[46:47]
	s_wait_dscnt 0x0
	s_barrier_signal -1
	s_barrier_wait -1
	ds_load_b64 v[100:101], v102 offset:208
	v_mov_b32_e32 v98, 26
	s_cmp_lt_i32 s18, 28
	s_cbranch_scc1 .LBB90_548
; %bb.546:
	v_add3_u32 v99, v103, 0, 0xd8
	v_mov_b32_e32 v98, 26
	s_mov_b32 s0, 27
.LBB90_547:                             ; =>This Inner Loop Header: Depth=1
	ds_load_b64 v[108:109], v99
	s_wait_dscnt 0x1
	v_cmp_gt_f32_e32 vcc_lo, 0, v100
	v_cndmask_b32_e64 v110, v100, -v100, vcc_lo
	v_cmp_gt_f32_e32 vcc_lo, 0, v101
	v_cndmask_b32_e64 v112, v101, -v101, vcc_lo
	s_wait_dscnt 0x0
	v_cmp_gt_f32_e32 vcc_lo, 0, v108
	v_cndmask_b32_e64 v111, v108, -v108, vcc_lo
	v_cmp_gt_f32_e32 vcc_lo, 0, v109
	v_cndmask_b32_e64 v113, v109, -v109, vcc_lo
	s_delay_alu instid0(VALU_DEP_1) | instskip(NEXT) | instid1(VALU_DEP_1)
	v_pk_add_f32 v[110:111], v[110:111], v[112:113]
	v_cmp_lt_f32_e32 vcc_lo, v110, v111
	v_dual_add_nc_u32 v99, 8, v99 :: v_dual_cndmask_b32 v101, v101, v109, vcc_lo
	v_cndmask_b32_e32 v100, v100, v108, vcc_lo
	v_cndmask_b32_e64 v98, v98, s0, vcc_lo
	s_add_co_i32 s0, s0, 1
	s_delay_alu instid0(SALU_CYCLE_1)
	s_cmp_lg_u32 s18, s0
	s_cbranch_scc1 .LBB90_547
.LBB90_548:
	s_wait_dscnt 0x0
	v_cmp_eq_f32_e32 vcc_lo, 0, v100
	v_cmp_eq_f32_e64 s0, 0, v101
	s_and_b32 s0, vcc_lo, s0
	s_delay_alu instid0(SALU_CYCLE_1) | instskip(NEXT) | instid1(SALU_CYCLE_1)
	s_and_saveexec_b32 s1, s0
	s_xor_b32 s0, exec_lo, s1
; %bb.549:
	v_cmp_ne_u32_e32 vcc_lo, 0, v104
	v_cndmask_b32_e32 v104, 27, v104, vcc_lo
; %bb.550:
	s_and_not1_saveexec_b32 s0, s0
	s_cbranch_execz .LBB90_556
; %bb.551:
	v_cmp_ngt_f32_e64 s1, |v100|, |v101|
	s_and_saveexec_b32 s12, s1
	s_delay_alu instid0(SALU_CYCLE_1)
	s_xor_b32 s1, exec_lo, s12
	s_cbranch_execz .LBB90_553
; %bb.552:
	v_div_scale_f32 v99, null, v101, v101, v100
	v_div_scale_f32 v109, vcc_lo, v100, v101, v100
	s_delay_alu instid0(VALU_DEP_2) | instskip(SKIP_1) | instid1(TRANS32_DEP_1)
	v_rcp_f32_e32 v107, v99
	v_nop
	v_fma_f32 v108, -v99, v107, 1.0
	s_delay_alu instid0(VALU_DEP_1) | instskip(NEXT) | instid1(VALU_DEP_1)
	v_fmac_f32_e32 v107, v108, v107
	v_mul_f32_e32 v108, v109, v107
	s_delay_alu instid0(VALU_DEP_1) | instskip(NEXT) | instid1(VALU_DEP_1)
	v_fma_f32 v110, -v99, v108, v109
	v_fmac_f32_e32 v108, v110, v107
	s_delay_alu instid0(VALU_DEP_1) | instskip(NEXT) | instid1(VALU_DEP_1)
	v_fma_f32 v99, -v99, v108, v109
	v_div_fmas_f32 v99, v99, v107, v108
	s_delay_alu instid0(VALU_DEP_1) | instskip(NEXT) | instid1(VALU_DEP_1)
	v_div_fixup_f32 v99, v99, v101, v100
	v_fmac_f32_e32 v101, v100, v99
	s_delay_alu instid0(VALU_DEP_1) | instskip(SKIP_1) | instid1(VALU_DEP_2)
	v_div_scale_f32 v100, null, v101, v101, 1.0
	v_div_scale_f32 v109, vcc_lo, 1.0, v101, 1.0
	v_rcp_f32_e32 v107, v100
	v_nop
	s_delay_alu instid0(TRANS32_DEP_1) | instskip(NEXT) | instid1(VALU_DEP_1)
	v_fma_f32 v108, -v100, v107, 1.0
	v_fmac_f32_e32 v107, v108, v107
	s_delay_alu instid0(VALU_DEP_1) | instskip(NEXT) | instid1(VALU_DEP_1)
	v_mul_f32_e32 v108, v109, v107
	v_fma_f32 v110, -v100, v108, v109
	s_delay_alu instid0(VALU_DEP_1) | instskip(NEXT) | instid1(VALU_DEP_1)
	v_fmac_f32_e32 v108, v110, v107
	v_fma_f32 v100, -v100, v108, v109
	s_delay_alu instid0(VALU_DEP_1) | instskip(NEXT) | instid1(VALU_DEP_1)
	v_div_fmas_f32 v100, v100, v107, v108
	v_div_fixup_f32 v101, v100, v101, 1.0
	s_delay_alu instid0(VALU_DEP_1)
	v_mul_f32_e32 v100, v99, v101
	v_xor_b32_e32 v101, 0x80000000, v101
.LBB90_553:
	s_and_not1_saveexec_b32 s1, s1
	s_cbranch_execz .LBB90_555
; %bb.554:
	s_delay_alu instid0(VALU_DEP_1) | instskip(SKIP_1) | instid1(VALU_DEP_2)
	v_div_scale_f32 v99, null, v100, v100, v101
	v_div_scale_f32 v109, vcc_lo, v101, v100, v101
	v_rcp_f32_e32 v107, v99
	v_nop
	s_delay_alu instid0(TRANS32_DEP_1) | instskip(NEXT) | instid1(VALU_DEP_1)
	v_fma_f32 v108, -v99, v107, 1.0
	v_fmac_f32_e32 v107, v108, v107
	s_delay_alu instid0(VALU_DEP_1) | instskip(NEXT) | instid1(VALU_DEP_1)
	v_mul_f32_e32 v108, v109, v107
	v_fma_f32 v110, -v99, v108, v109
	s_delay_alu instid0(VALU_DEP_1) | instskip(NEXT) | instid1(VALU_DEP_1)
	v_fmac_f32_e32 v108, v110, v107
	v_fma_f32 v99, -v99, v108, v109
	s_delay_alu instid0(VALU_DEP_1) | instskip(NEXT) | instid1(VALU_DEP_1)
	v_div_fmas_f32 v99, v99, v107, v108
	v_div_fixup_f32 v99, v99, v100, v101
	s_delay_alu instid0(VALU_DEP_1) | instskip(NEXT) | instid1(VALU_DEP_1)
	v_fmac_f32_e32 v100, v101, v99
	v_div_scale_f32 v101, null, v100, v100, 1.0
	s_delay_alu instid0(VALU_DEP_1) | instskip(SKIP_1) | instid1(TRANS32_DEP_1)
	v_rcp_f32_e32 v107, v101
	v_nop
	v_fma_f32 v108, -v101, v107, 1.0
	s_delay_alu instid0(VALU_DEP_1) | instskip(SKIP_1) | instid1(VALU_DEP_1)
	v_fmac_f32_e32 v107, v108, v107
	v_div_scale_f32 v108, vcc_lo, 1.0, v100, 1.0
	v_mul_f32_e32 v109, v108, v107
	s_delay_alu instid0(VALU_DEP_1) | instskip(NEXT) | instid1(VALU_DEP_1)
	v_fma_f32 v110, -v101, v109, v108
	v_fmac_f32_e32 v109, v110, v107
	s_delay_alu instid0(VALU_DEP_1) | instskip(NEXT) | instid1(VALU_DEP_1)
	v_fma_f32 v101, -v101, v109, v108
	v_div_fmas_f32 v101, v101, v107, v109
	s_delay_alu instid0(VALU_DEP_1) | instskip(NEXT) | instid1(VALU_DEP_1)
	v_div_fixup_f32 v100, v101, v100, 1.0
	v_mul_f32_e64 v101, v99, -v100
.LBB90_555:
	s_or_b32 exec_lo, exec_lo, s1
.LBB90_556:
	s_delay_alu instid0(SALU_CYCLE_1) | instskip(NEXT) | instid1(SALU_CYCLE_1)
	s_or_b32 exec_lo, exec_lo, s0
	s_mov_b32 s0, exec_lo
	v_cmpx_ne_u32_e64 v106, v98
	s_xor_b32 s0, exec_lo, s0
	s_cbranch_execz .LBB90_562
; %bb.557:
	s_mov_b32 s1, exec_lo
	v_cmpx_eq_u32_e32 26, v106
	s_cbranch_execz .LBB90_561
; %bb.558:
	v_cmp_ne_u32_e32 vcc_lo, 26, v98
	s_xor_b32 s12, s16, -1
	s_delay_alu instid0(SALU_CYCLE_1) | instskip(NEXT) | instid1(SALU_CYCLE_1)
	s_and_b32 s13, s12, vcc_lo
	s_and_saveexec_b32 s12, s13
	s_cbranch_execz .LBB90_560
; %bb.559:
	v_ashrrev_i32_e32 v99, 31, v98
	s_delay_alu instid0(VALU_DEP_1)
	v_lshl_add_u64 v[106:107], v[98:99], 2, v[4:5]
	s_clause 0x1
	global_load_b32 v99, v[106:107], off
	global_load_b32 v105, v[4:5], off offset:104
	s_wait_loadcnt 0x1
	global_store_b32 v[4:5], v99, off offset:104
	s_wait_loadcnt 0x0
	global_store_b32 v[106:107], v105, off
.LBB90_560:
	s_wait_xcnt 0x0
	s_or_b32 exec_lo, exec_lo, s12
	v_dual_mov_b32 v106, v98 :: v_dual_mov_b32 v105, v98
.LBB90_561:
	s_or_b32 exec_lo, exec_lo, s1
.LBB90_562:
	s_and_not1_saveexec_b32 s0, s0
	s_cbranch_execz .LBB90_564
; %bb.563:
	v_mov_b32_e32 v106, 26
	ds_store_2addr_b64 v102, v[42:43], v[76:77] offset0:27 offset1:28
	ds_store_2addr_b64 v102, v[30:31], v[36:37] offset0:29 offset1:30
	;; [unrolled: 1-line block ×9, first 2 shown]
	ds_store_b64 v102, v[96:97] offset:360
.LBB90_564:
	s_or_b32 exec_lo, exec_lo, s0
	s_delay_alu instid0(SALU_CYCLE_1)
	s_mov_b32 s0, exec_lo
	s_wait_storecnt_dscnt 0x0
	s_barrier_signal -1
	s_barrier_wait -1
	v_cmpx_lt_i32_e32 26, v106
	s_cbranch_execz .LBB90_566
; %bb.565:
	v_pk_mul_f32 v[108:109], v[100:101], v[46:47] op_sel:[1,1] op_sel_hi:[0,1]
	s_delay_alu instid0(VALU_DEP_1)
	v_pk_fma_f32 v[98:99], v[100:101], v[46:47], v[108:109] op_sel_hi:[1,0,1] neg_lo:[0,0,1] neg_hi:[0,0,1]
	v_pk_fma_f32 v[100:101], v[100:101], v[46:47], v[108:109] op_sel_hi:[1,0,1]
	ds_load_2addr_b64 v[108:111], v102 offset0:27 offset1:28
	v_dual_mov_b32 v46, v98 :: v_dual_mov_b32 v47, v101
	s_wait_dscnt 0x0
	v_pk_mul_f32 v[112:113], v[108:109], v[100:101] op_sel:[0,1]
	s_delay_alu instid0(VALU_DEP_1) | instskip(SKIP_1) | instid1(VALU_DEP_1)
	v_pk_fma_f32 v[114:115], v[108:109], v[98:99], v[112:113] op_sel:[0,0,1] op_sel_hi:[1,1,0] neg_lo:[0,0,1] neg_hi:[0,0,1]
	v_pk_fma_f32 v[108:109], v[108:109], v[98:99], v[112:113] op_sel:[0,0,1] op_sel_hi:[1,0,0]
	v_mov_b32_e32 v115, v109
	v_pk_mul_f32 v[108:109], v[110:111], v[100:101] op_sel:[0,1]
	s_delay_alu instid0(VALU_DEP_1) | instskip(SKIP_1) | instid1(VALU_DEP_1)
	v_pk_fma_f32 v[112:113], v[110:111], v[98:99], v[108:109] op_sel:[0,0,1] op_sel_hi:[1,1,0] neg_lo:[0,0,1] neg_hi:[0,0,1]
	v_pk_fma_f32 v[108:109], v[110:111], v[98:99], v[108:109] op_sel:[0,0,1] op_sel_hi:[1,0,0]
	v_mov_b32_e32 v113, v109
	ds_load_2addr_b64 v[108:111], v102 offset0:29 offset1:30
	v_pk_add_f32 v[42:43], v[42:43], v[114:115] neg_lo:[0,1] neg_hi:[0,1]
	v_pk_add_f32 v[76:77], v[76:77], v[112:113] neg_lo:[0,1] neg_hi:[0,1]
	s_wait_dscnt 0x0
	v_pk_mul_f32 v[112:113], v[108:109], v[100:101] op_sel:[0,1]
	s_delay_alu instid0(VALU_DEP_1) | instskip(SKIP_2) | instid1(VALU_DEP_2)
	v_pk_fma_f32 v[114:115], v[108:109], v[98:99], v[112:113] op_sel:[0,0,1] op_sel_hi:[1,1,0] neg_lo:[0,0,1] neg_hi:[0,0,1]
	v_pk_fma_f32 v[108:109], v[108:109], v[98:99], v[112:113] op_sel:[0,0,1] op_sel_hi:[1,0,0]
	v_dual_mul_f32 v112, v111, v101 :: v_dual_mov_b32 v108, v111
	v_dual_mov_b32 v115, v109 :: v_dual_mov_b32 v109, v110
	s_delay_alu instid0(VALU_DEP_2) | instskip(SKIP_1) | instid1(VALU_DEP_3)
	v_pk_fma_f32 v[112:113], v[110:111], v[46:47], v[112:113] op_sel_hi:[1,1,0] neg_lo:[0,0,1] neg_hi:[0,0,1]
	v_mul_f32_e32 v110, v111, v98
	v_pk_add_f32 v[30:31], v[30:31], v[114:115] neg_lo:[0,1] neg_hi:[0,1]
	s_delay_alu instid0(VALU_DEP_2) | instskip(NEXT) | instid1(VALU_DEP_1)
	v_pk_fma_f32 v[108:109], v[108:109], v[46:47], v[110:111] op_sel_hi:[1,1,0]
	v_mov_b32_e32 v113, v109
	ds_load_2addr_b64 v[108:111], v102 offset0:31 offset1:32
	v_pk_add_f32 v[36:37], v[36:37], v[112:113] neg_lo:[0,1] neg_hi:[0,1]
	s_wait_dscnt 0x0
	v_pk_mul_f32 v[112:113], v[108:109], v[100:101] op_sel:[0,1]
	s_delay_alu instid0(VALU_DEP_1) | instskip(SKIP_1) | instid1(VALU_DEP_1)
	v_pk_fma_f32 v[114:115], v[108:109], v[98:99], v[112:113] op_sel:[0,0,1] op_sel_hi:[1,1,0] neg_lo:[0,0,1] neg_hi:[0,0,1]
	v_pk_fma_f32 v[108:109], v[108:109], v[98:99], v[112:113] op_sel:[0,0,1] op_sel_hi:[1,0,0]
	v_mov_b32_e32 v115, v109
	v_pk_mul_f32 v[108:109], v[110:111], v[100:101] op_sel:[0,1]
	s_delay_alu instid0(VALU_DEP_1) | instskip(SKIP_1) | instid1(VALU_DEP_1)
	v_pk_fma_f32 v[112:113], v[110:111], v[98:99], v[108:109] op_sel:[0,0,1] op_sel_hi:[1,1,0] neg_lo:[0,0,1] neg_hi:[0,0,1]
	v_pk_fma_f32 v[108:109], v[110:111], v[98:99], v[108:109] op_sel:[0,0,1] op_sel_hi:[1,0,0]
	v_mov_b32_e32 v113, v109
	ds_load_2addr_b64 v[108:111], v102 offset0:33 offset1:34
	v_pk_add_f32 v[28:29], v[28:29], v[114:115] neg_lo:[0,1] neg_hi:[0,1]
	v_pk_add_f32 v[72:73], v[72:73], v[112:113] neg_lo:[0,1] neg_hi:[0,1]
	s_wait_dscnt 0x0
	v_pk_mul_f32 v[112:113], v[108:109], v[100:101] op_sel:[0,1]
	s_delay_alu instid0(VALU_DEP_1) | instskip(SKIP_1) | instid1(VALU_DEP_1)
	v_pk_fma_f32 v[114:115], v[108:109], v[98:99], v[112:113] op_sel:[0,0,1] op_sel_hi:[1,1,0] neg_lo:[0,0,1] neg_hi:[0,0,1]
	v_pk_fma_f32 v[108:109], v[108:109], v[98:99], v[112:113] op_sel:[0,0,1] op_sel_hi:[1,0,0]
	v_mov_b32_e32 v115, v109
	v_pk_mul_f32 v[108:109], v[110:111], v[100:101] op_sel:[0,1]
	s_delay_alu instid0(VALU_DEP_1) | instskip(SKIP_1) | instid1(VALU_DEP_1)
	v_pk_fma_f32 v[112:113], v[110:111], v[98:99], v[108:109] op_sel:[0,0,1] op_sel_hi:[1,1,0] neg_lo:[0,0,1] neg_hi:[0,0,1]
	v_pk_fma_f32 v[108:109], v[110:111], v[98:99], v[108:109] op_sel:[0,0,1] op_sel_hi:[1,0,0]
	v_mov_b32_e32 v113, v109
	ds_load_2addr_b64 v[108:111], v102 offset0:35 offset1:36
	v_pk_add_f32 v[18:19], v[18:19], v[114:115] neg_lo:[0,1] neg_hi:[0,1]
	v_pk_add_f32 v[24:25], v[24:25], v[112:113] neg_lo:[0,1] neg_hi:[0,1]
	s_wait_dscnt 0x0
	v_dual_mul_f32 v112, v109, v101 :: v_dual_mul_f32 v114, v109, v98
	s_delay_alu instid0(VALU_DEP_1) | instskip(NEXT) | instid1(VALU_DEP_2)
	v_pk_fma_f32 v[112:113], v[108:109], v[46:47], v[112:113] op_sel_hi:[1,1,0] neg_lo:[0,0,1] neg_hi:[0,0,1]
	v_pk_fma_f32 v[108:109], v[108:109], v[46:47], v[114:115] op_sel:[1,0,0] op_sel_hi:[0,1,0]
	s_delay_alu instid0(VALU_DEP_1) | instskip(SKIP_1) | instid1(VALU_DEP_2)
	v_mov_b32_e32 v113, v109
	v_pk_mul_f32 v[108:109], v[110:111], v[100:101] op_sel:[0,1]
	v_pk_add_f32 v[16:17], v[16:17], v[112:113] neg_lo:[0,1] neg_hi:[0,1]
	s_delay_alu instid0(VALU_DEP_2) | instskip(SKIP_1) | instid1(VALU_DEP_1)
	v_pk_fma_f32 v[112:113], v[110:111], v[98:99], v[108:109] op_sel:[0,0,1] op_sel_hi:[1,1,0] neg_lo:[0,0,1] neg_hi:[0,0,1]
	v_pk_fma_f32 v[108:109], v[110:111], v[98:99], v[108:109] op_sel:[0,0,1] op_sel_hi:[1,0,0]
	v_mov_b32_e32 v113, v109
	ds_load_2addr_b64 v[108:111], v102 offset0:37 offset1:38
	v_pk_add_f32 v[70:71], v[70:71], v[112:113] neg_lo:[0,1] neg_hi:[0,1]
	s_wait_dscnt 0x0
	v_pk_mul_f32 v[112:113], v[108:109], v[100:101] op_sel:[0,1]
	s_delay_alu instid0(VALU_DEP_1) | instskip(SKIP_1) | instid1(VALU_DEP_1)
	v_pk_fma_f32 v[114:115], v[108:109], v[98:99], v[112:113] op_sel:[0,0,1] op_sel_hi:[1,1,0] neg_lo:[0,0,1] neg_hi:[0,0,1]
	v_pk_fma_f32 v[108:109], v[108:109], v[98:99], v[112:113] op_sel:[0,0,1] op_sel_hi:[1,0,0]
	v_mov_b32_e32 v115, v109
	v_pk_mul_f32 v[108:109], v[110:111], v[100:101] op_sel:[0,1]
	s_delay_alu instid0(VALU_DEP_2) | instskip(NEXT) | instid1(VALU_DEP_2)
	v_pk_add_f32 v[10:11], v[10:11], v[114:115] neg_lo:[0,1] neg_hi:[0,1]
	v_pk_fma_f32 v[112:113], v[110:111], v[98:99], v[108:109] op_sel:[0,0,1] op_sel_hi:[1,1,0] neg_lo:[0,0,1] neg_hi:[0,0,1]
	v_pk_fma_f32 v[108:109], v[110:111], v[98:99], v[108:109] op_sel:[0,0,1] op_sel_hi:[1,0,0]
	s_delay_alu instid0(VALU_DEP_1) | instskip(SKIP_4) | instid1(VALU_DEP_1)
	v_mov_b32_e32 v113, v109
	ds_load_2addr_b64 v[108:111], v102 offset0:39 offset1:40
	v_pk_add_f32 v[12:13], v[12:13], v[112:113] neg_lo:[0,1] neg_hi:[0,1]
	s_wait_dscnt 0x0
	v_pk_mul_f32 v[112:113], v[108:109], v[100:101] op_sel:[0,1]
	v_pk_fma_f32 v[114:115], v[108:109], v[98:99], v[112:113] op_sel:[0,0,1] op_sel_hi:[1,1,0] neg_lo:[0,0,1] neg_hi:[0,0,1]
	v_pk_fma_f32 v[108:109], v[108:109], v[98:99], v[112:113] op_sel:[0,0,1] op_sel_hi:[1,0,0]
	v_dual_mul_f32 v112, v111, v101 :: v_dual_mov_b32 v108, v111
	s_delay_alu instid0(VALU_DEP_2) | instskip(NEXT) | instid1(VALU_DEP_2)
	v_dual_mov_b32 v115, v109 :: v_dual_mov_b32 v109, v110
	v_pk_fma_f32 v[112:113], v[110:111], v[46:47], v[112:113] op_sel_hi:[1,1,0] neg_lo:[0,0,1] neg_hi:[0,0,1]
	v_mul_f32_e32 v110, v111, v98
	s_delay_alu instid0(VALU_DEP_3) | instskip(NEXT) | instid1(VALU_DEP_2)
	v_pk_add_f32 v[8:9], v[8:9], v[114:115] neg_lo:[0,1] neg_hi:[0,1]
	v_pk_fma_f32 v[108:109], v[108:109], v[46:47], v[110:111] op_sel_hi:[1,1,0]
	s_delay_alu instid0(VALU_DEP_1) | instskip(SKIP_4) | instid1(VALU_DEP_1)
	v_mov_b32_e32 v113, v109
	ds_load_2addr_b64 v[108:111], v102 offset0:41 offset1:42
	v_pk_add_f32 v[68:69], v[68:69], v[112:113] neg_lo:[0,1] neg_hi:[0,1]
	s_wait_dscnt 0x0
	v_pk_mul_f32 v[112:113], v[108:109], v[100:101] op_sel:[0,1]
	v_pk_fma_f32 v[114:115], v[108:109], v[98:99], v[112:113] op_sel:[0,0,1] op_sel_hi:[1,1,0] neg_lo:[0,0,1] neg_hi:[0,0,1]
	v_pk_fma_f32 v[108:109], v[108:109], v[98:99], v[112:113] op_sel:[0,0,1] op_sel_hi:[1,0,0]
	s_delay_alu instid0(VALU_DEP_1) | instskip(SKIP_1) | instid1(VALU_DEP_1)
	v_mov_b32_e32 v115, v109
	v_pk_mul_f32 v[108:109], v[110:111], v[100:101] op_sel:[0,1]
	v_pk_fma_f32 v[112:113], v[110:111], v[98:99], v[108:109] op_sel:[0,0,1] op_sel_hi:[1,1,0] neg_lo:[0,0,1] neg_hi:[0,0,1]
	v_pk_fma_f32 v[108:109], v[110:111], v[98:99], v[108:109] op_sel:[0,0,1] op_sel_hi:[1,0,0]
	s_delay_alu instid0(VALU_DEP_1)
	v_mov_b32_e32 v113, v109
	ds_load_2addr_b64 v[108:111], v102 offset0:43 offset1:44
	v_pk_add_f32 v[6:7], v[6:7], v[114:115] neg_lo:[0,1] neg_hi:[0,1]
	v_pk_add_f32 v[54:55], v[54:55], v[112:113] neg_lo:[0,1] neg_hi:[0,1]
	s_wait_dscnt 0x0
	v_pk_mul_f32 v[112:113], v[108:109], v[100:101] op_sel:[0,1]
	s_delay_alu instid0(VALU_DEP_1) | instskip(SKIP_1) | instid1(VALU_DEP_1)
	v_pk_fma_f32 v[114:115], v[108:109], v[98:99], v[112:113] op_sel:[0,0,1] op_sel_hi:[1,1,0] neg_lo:[0,0,1] neg_hi:[0,0,1]
	v_pk_fma_f32 v[108:109], v[108:109], v[98:99], v[112:113] op_sel:[0,0,1] op_sel_hi:[1,0,0]
	v_mov_b32_e32 v115, v109
	v_pk_mul_f32 v[108:109], v[110:111], v[100:101] op_sel:[0,1]
	s_delay_alu instid0(VALU_DEP_1) | instskip(SKIP_1) | instid1(VALU_DEP_1)
	v_pk_fma_f32 v[112:113], v[110:111], v[98:99], v[108:109] op_sel:[0,0,1] op_sel_hi:[1,1,0] neg_lo:[0,0,1] neg_hi:[0,0,1]
	v_pk_fma_f32 v[108:109], v[110:111], v[98:99], v[108:109] op_sel:[0,0,1] op_sel_hi:[1,0,0]
	v_mov_b32_e32 v113, v109
	ds_load_b64 v[108:109], v102 offset:360
	v_pk_add_f32 v[40:41], v[40:41], v[114:115] neg_lo:[0,1] neg_hi:[0,1]
	v_pk_add_f32 v[14:15], v[14:15], v[112:113] neg_lo:[0,1] neg_hi:[0,1]
	s_wait_dscnt 0x0
	v_pk_mul_f32 v[100:101], v[108:109], v[100:101] op_sel:[0,1]
	s_delay_alu instid0(VALU_DEP_1) | instskip(SKIP_1) | instid1(VALU_DEP_1)
	v_pk_fma_f32 v[110:111], v[108:109], v[98:99], v[100:101] op_sel:[0,0,1] op_sel_hi:[1,1,0] neg_lo:[0,0,1] neg_hi:[0,0,1]
	v_pk_fma_f32 v[98:99], v[108:109], v[98:99], v[100:101] op_sel:[0,0,1] op_sel_hi:[1,0,0]
	v_mov_b32_e32 v111, v99
	s_delay_alu instid0(VALU_DEP_1)
	v_pk_add_f32 v[96:97], v[96:97], v[110:111] neg_lo:[0,1] neg_hi:[0,1]
.LBB90_566:
	s_or_b32 exec_lo, exec_lo, s0
	v_lshl_add_u32 v98, v106, 3, v102
	s_barrier_signal -1
	s_barrier_wait -1
	ds_store_b64 v98, v[42:43]
	s_wait_dscnt 0x0
	s_barrier_signal -1
	s_barrier_wait -1
	ds_load_b64 v[98:99], v102 offset:216
	v_mov_b32_e32 v100, 27
	s_cmp_lt_i32 s18, 29
	s_cbranch_scc1 .LBB90_569
; %bb.567:
	v_add3_u32 v101, v103, 0, 0xe0
	v_mov_b32_e32 v100, 27
	s_mov_b32 s0, 28
.LBB90_568:                             ; =>This Inner Loop Header: Depth=1
	ds_load_b64 v[108:109], v101
	s_wait_dscnt 0x1
	v_cmp_gt_f32_e32 vcc_lo, 0, v98
	v_cndmask_b32_e64 v110, v98, -v98, vcc_lo
	v_cmp_gt_f32_e32 vcc_lo, 0, v99
	v_cndmask_b32_e64 v112, v99, -v99, vcc_lo
	s_wait_dscnt 0x0
	v_cmp_gt_f32_e32 vcc_lo, 0, v108
	v_cndmask_b32_e64 v111, v108, -v108, vcc_lo
	v_cmp_gt_f32_e32 vcc_lo, 0, v109
	v_cndmask_b32_e64 v113, v109, -v109, vcc_lo
	s_delay_alu instid0(VALU_DEP_1) | instskip(NEXT) | instid1(VALU_DEP_1)
	v_pk_add_f32 v[110:111], v[110:111], v[112:113]
	v_cmp_lt_f32_e32 vcc_lo, v110, v111
	v_dual_cndmask_b32 v98, v98, v108 :: v_dual_add_nc_u32 v101, 8, v101
	v_cndmask_b32_e32 v99, v99, v109, vcc_lo
	v_cndmask_b32_e64 v100, v100, s0, vcc_lo
	s_add_co_i32 s0, s0, 1
	s_delay_alu instid0(SALU_CYCLE_1)
	s_cmp_lg_u32 s18, s0
	s_cbranch_scc1 .LBB90_568
.LBB90_569:
	s_wait_dscnt 0x0
	v_cmp_eq_f32_e32 vcc_lo, 0, v98
	v_cmp_eq_f32_e64 s0, 0, v99
	s_and_b32 s0, vcc_lo, s0
	s_delay_alu instid0(SALU_CYCLE_1) | instskip(NEXT) | instid1(SALU_CYCLE_1)
	s_and_saveexec_b32 s1, s0
	s_xor_b32 s0, exec_lo, s1
; %bb.570:
	v_cmp_ne_u32_e32 vcc_lo, 0, v104
	v_cndmask_b32_e32 v104, 28, v104, vcc_lo
; %bb.571:
	s_and_not1_saveexec_b32 s0, s0
	s_cbranch_execz .LBB90_577
; %bb.572:
	v_cmp_ngt_f32_e64 s1, |v98|, |v99|
	s_and_saveexec_b32 s12, s1
	s_delay_alu instid0(SALU_CYCLE_1)
	s_xor_b32 s1, exec_lo, s12
	s_cbranch_execz .LBB90_574
; %bb.573:
	v_div_scale_f32 v101, null, v99, v99, v98
	v_div_scale_f32 v109, vcc_lo, v98, v99, v98
	s_delay_alu instid0(VALU_DEP_2) | instskip(SKIP_1) | instid1(TRANS32_DEP_1)
	v_rcp_f32_e32 v107, v101
	v_nop
	v_fma_f32 v108, -v101, v107, 1.0
	s_delay_alu instid0(VALU_DEP_1) | instskip(NEXT) | instid1(VALU_DEP_1)
	v_fmac_f32_e32 v107, v108, v107
	v_mul_f32_e32 v108, v109, v107
	s_delay_alu instid0(VALU_DEP_1) | instskip(NEXT) | instid1(VALU_DEP_1)
	v_fma_f32 v110, -v101, v108, v109
	v_fmac_f32_e32 v108, v110, v107
	s_delay_alu instid0(VALU_DEP_1) | instskip(NEXT) | instid1(VALU_DEP_1)
	v_fma_f32 v101, -v101, v108, v109
	v_div_fmas_f32 v101, v101, v107, v108
	s_delay_alu instid0(VALU_DEP_1) | instskip(NEXT) | instid1(VALU_DEP_1)
	v_div_fixup_f32 v101, v101, v99, v98
	v_fmac_f32_e32 v99, v98, v101
	s_delay_alu instid0(VALU_DEP_1) | instskip(SKIP_1) | instid1(VALU_DEP_2)
	v_div_scale_f32 v98, null, v99, v99, 1.0
	v_div_scale_f32 v109, vcc_lo, 1.0, v99, 1.0
	v_rcp_f32_e32 v107, v98
	v_nop
	s_delay_alu instid0(TRANS32_DEP_1) | instskip(NEXT) | instid1(VALU_DEP_1)
	v_fma_f32 v108, -v98, v107, 1.0
	v_fmac_f32_e32 v107, v108, v107
	s_delay_alu instid0(VALU_DEP_1) | instskip(NEXT) | instid1(VALU_DEP_1)
	v_mul_f32_e32 v108, v109, v107
	v_fma_f32 v110, -v98, v108, v109
	s_delay_alu instid0(VALU_DEP_1) | instskip(NEXT) | instid1(VALU_DEP_1)
	v_fmac_f32_e32 v108, v110, v107
	v_fma_f32 v98, -v98, v108, v109
	s_delay_alu instid0(VALU_DEP_1) | instskip(NEXT) | instid1(VALU_DEP_1)
	v_div_fmas_f32 v98, v98, v107, v108
	v_div_fixup_f32 v99, v98, v99, 1.0
	s_delay_alu instid0(VALU_DEP_1)
	v_mul_f32_e32 v98, v101, v99
	v_xor_b32_e32 v99, 0x80000000, v99
.LBB90_574:
	s_and_not1_saveexec_b32 s1, s1
	s_cbranch_execz .LBB90_576
; %bb.575:
	s_delay_alu instid0(VALU_DEP_1) | instskip(SKIP_1) | instid1(VALU_DEP_2)
	v_div_scale_f32 v101, null, v98, v98, v99
	v_div_scale_f32 v109, vcc_lo, v99, v98, v99
	v_rcp_f32_e32 v107, v101
	v_nop
	s_delay_alu instid0(TRANS32_DEP_1) | instskip(NEXT) | instid1(VALU_DEP_1)
	v_fma_f32 v108, -v101, v107, 1.0
	v_fmac_f32_e32 v107, v108, v107
	s_delay_alu instid0(VALU_DEP_1) | instskip(NEXT) | instid1(VALU_DEP_1)
	v_mul_f32_e32 v108, v109, v107
	v_fma_f32 v110, -v101, v108, v109
	s_delay_alu instid0(VALU_DEP_1) | instskip(NEXT) | instid1(VALU_DEP_1)
	v_fmac_f32_e32 v108, v110, v107
	v_fma_f32 v101, -v101, v108, v109
	s_delay_alu instid0(VALU_DEP_1) | instskip(NEXT) | instid1(VALU_DEP_1)
	v_div_fmas_f32 v101, v101, v107, v108
	v_div_fixup_f32 v101, v101, v98, v99
	s_delay_alu instid0(VALU_DEP_1) | instskip(NEXT) | instid1(VALU_DEP_1)
	v_fmac_f32_e32 v98, v99, v101
	v_div_scale_f32 v99, null, v98, v98, 1.0
	s_delay_alu instid0(VALU_DEP_1) | instskip(SKIP_1) | instid1(TRANS32_DEP_1)
	v_rcp_f32_e32 v107, v99
	v_nop
	v_fma_f32 v108, -v99, v107, 1.0
	s_delay_alu instid0(VALU_DEP_1) | instskip(SKIP_1) | instid1(VALU_DEP_1)
	v_fmac_f32_e32 v107, v108, v107
	v_div_scale_f32 v108, vcc_lo, 1.0, v98, 1.0
	v_mul_f32_e32 v109, v108, v107
	s_delay_alu instid0(VALU_DEP_1) | instskip(NEXT) | instid1(VALU_DEP_1)
	v_fma_f32 v110, -v99, v109, v108
	v_fmac_f32_e32 v109, v110, v107
	s_delay_alu instid0(VALU_DEP_1) | instskip(NEXT) | instid1(VALU_DEP_1)
	v_fma_f32 v99, -v99, v109, v108
	v_div_fmas_f32 v99, v99, v107, v109
	s_delay_alu instid0(VALU_DEP_1) | instskip(NEXT) | instid1(VALU_DEP_1)
	v_div_fixup_f32 v98, v99, v98, 1.0
	v_mul_f32_e64 v99, v101, -v98
.LBB90_576:
	s_or_b32 exec_lo, exec_lo, s1
.LBB90_577:
	s_delay_alu instid0(SALU_CYCLE_1) | instskip(NEXT) | instid1(SALU_CYCLE_1)
	s_or_b32 exec_lo, exec_lo, s0
	s_mov_b32 s0, exec_lo
	v_cmpx_ne_u32_e64 v106, v100
	s_xor_b32 s0, exec_lo, s0
	s_cbranch_execz .LBB90_583
; %bb.578:
	s_mov_b32 s1, exec_lo
	v_cmpx_eq_u32_e32 27, v106
	s_cbranch_execz .LBB90_582
; %bb.579:
	v_cmp_ne_u32_e32 vcc_lo, 27, v100
	s_xor_b32 s12, s16, -1
	s_delay_alu instid0(SALU_CYCLE_1) | instskip(NEXT) | instid1(SALU_CYCLE_1)
	s_and_b32 s13, s12, vcc_lo
	s_and_saveexec_b32 s12, s13
	s_cbranch_execz .LBB90_581
; %bb.580:
	v_ashrrev_i32_e32 v101, 31, v100
	s_delay_alu instid0(VALU_DEP_1)
	v_lshl_add_u64 v[106:107], v[100:101], 2, v[4:5]
	s_clause 0x1
	global_load_b32 v101, v[106:107], off
	global_load_b32 v105, v[4:5], off offset:108
	s_wait_loadcnt 0x1
	global_store_b32 v[4:5], v101, off offset:108
	s_wait_loadcnt 0x0
	global_store_b32 v[106:107], v105, off
.LBB90_581:
	s_wait_xcnt 0x0
	s_or_b32 exec_lo, exec_lo, s12
	v_dual_mov_b32 v106, v100 :: v_dual_mov_b32 v105, v100
.LBB90_582:
	s_or_b32 exec_lo, exec_lo, s1
.LBB90_583:
	s_and_not1_saveexec_b32 s0, s0
	s_cbranch_execz .LBB90_585
; %bb.584:
	v_dual_mov_b32 v100, v76 :: v_dual_mov_b32 v101, v77
	v_dual_mov_b32 v106, v30 :: v_dual_mov_b32 v107, v31
	;; [unrolled: 1-line block ×8, first 2 shown]
	ds_store_2addr_b64 v102, v[100:101], v[106:107] offset0:28 offset1:29
	ds_store_2addr_b64 v102, v[108:109], v[110:111] offset0:30 offset1:31
	ds_store_2addr_b64 v102, v[112:113], v[114:115] offset0:32 offset1:33
	ds_store_2addr_b64 v102, v[116:117], v[118:119] offset0:34 offset1:35
	v_dual_mov_b32 v100, v70 :: v_dual_mov_b32 v101, v71
	v_dual_mov_b32 v108, v10 :: v_dual_mov_b32 v109, v11
	;; [unrolled: 1-line block ×9, first 2 shown]
	v_mov_b32_e32 v123, v15
	ds_store_2addr_b64 v102, v[100:101], v[108:109] offset0:36 offset1:37
	ds_store_2addr_b64 v102, v[110:111], v[112:113] offset0:38 offset1:39
	;; [unrolled: 1-line block ×5, first 2 shown]
.LBB90_585:
	s_or_b32 exec_lo, exec_lo, s0
	s_delay_alu instid0(SALU_CYCLE_1)
	s_mov_b32 s0, exec_lo
	s_wait_storecnt_dscnt 0x0
	s_barrier_signal -1
	s_barrier_wait -1
	v_cmpx_lt_i32_e32 27, v106
	s_cbranch_execz .LBB90_587
; %bb.586:
	v_pk_mul_f32 v[108:109], v[98:99], v[42:43] op_sel:[1,1] op_sel_hi:[0,1]
	s_delay_alu instid0(VALU_DEP_1)
	v_pk_fma_f32 v[100:101], v[98:99], v[42:43], v[108:109] op_sel_hi:[1,0,1] neg_lo:[0,0,1] neg_hi:[0,0,1]
	v_pk_fma_f32 v[98:99], v[98:99], v[42:43], v[108:109] op_sel_hi:[1,0,1]
	ds_load_2addr_b64 v[108:111], v102 offset0:28 offset1:29
	v_dual_mov_b32 v42, v100 :: v_dual_mov_b32 v43, v99
	s_wait_dscnt 0x0
	v_pk_mul_f32 v[112:113], v[108:109], v[98:99] op_sel:[0,1]
	s_delay_alu instid0(VALU_DEP_1) | instskip(SKIP_1) | instid1(VALU_DEP_1)
	v_pk_fma_f32 v[114:115], v[108:109], v[100:101], v[112:113] op_sel:[0,0,1] op_sel_hi:[1,1,0] neg_lo:[0,0,1] neg_hi:[0,0,1]
	v_pk_fma_f32 v[108:109], v[108:109], v[100:101], v[112:113] op_sel:[0,0,1] op_sel_hi:[1,0,0]
	v_mov_b32_e32 v115, v109
	v_pk_mul_f32 v[108:109], v[110:111], v[98:99] op_sel:[0,1]
	s_delay_alu instid0(VALU_DEP_1) | instskip(SKIP_1) | instid1(VALU_DEP_1)
	v_pk_fma_f32 v[112:113], v[110:111], v[100:101], v[108:109] op_sel:[0,0,1] op_sel_hi:[1,1,0] neg_lo:[0,0,1] neg_hi:[0,0,1]
	v_pk_fma_f32 v[108:109], v[110:111], v[100:101], v[108:109] op_sel:[0,0,1] op_sel_hi:[1,0,0]
	v_mov_b32_e32 v113, v109
	ds_load_2addr_b64 v[108:111], v102 offset0:30 offset1:31
	v_pk_add_f32 v[76:77], v[76:77], v[114:115] neg_lo:[0,1] neg_hi:[0,1]
	v_pk_add_f32 v[30:31], v[30:31], v[112:113] neg_lo:[0,1] neg_hi:[0,1]
	s_wait_dscnt 0x0
	v_pk_mul_f32 v[112:113], v[108:109], v[98:99] op_sel:[0,1]
	s_delay_alu instid0(VALU_DEP_1) | instskip(SKIP_2) | instid1(VALU_DEP_2)
	v_pk_fma_f32 v[114:115], v[108:109], v[100:101], v[112:113] op_sel:[0,0,1] op_sel_hi:[1,1,0] neg_lo:[0,0,1] neg_hi:[0,0,1]
	v_pk_fma_f32 v[108:109], v[108:109], v[100:101], v[112:113] op_sel:[0,0,1] op_sel_hi:[1,0,0]
	v_dual_mul_f32 v112, v111, v99 :: v_dual_mov_b32 v108, v111
	v_dual_mov_b32 v115, v109 :: v_dual_mov_b32 v109, v110
	s_delay_alu instid0(VALU_DEP_2) | instskip(SKIP_1) | instid1(VALU_DEP_3)
	v_pk_fma_f32 v[112:113], v[110:111], v[42:43], v[112:113] op_sel_hi:[1,1,0] neg_lo:[0,0,1] neg_hi:[0,0,1]
	v_mul_f32_e32 v110, v111, v100
	v_pk_add_f32 v[36:37], v[36:37], v[114:115] neg_lo:[0,1] neg_hi:[0,1]
	s_delay_alu instid0(VALU_DEP_2) | instskip(NEXT) | instid1(VALU_DEP_1)
	v_pk_fma_f32 v[108:109], v[108:109], v[42:43], v[110:111] op_sel_hi:[1,1,0]
	v_mov_b32_e32 v113, v109
	ds_load_2addr_b64 v[108:111], v102 offset0:32 offset1:33
	v_pk_add_f32 v[28:29], v[28:29], v[112:113] neg_lo:[0,1] neg_hi:[0,1]
	s_wait_dscnt 0x0
	v_pk_mul_f32 v[112:113], v[108:109], v[98:99] op_sel:[0,1]
	s_delay_alu instid0(VALU_DEP_1) | instskip(SKIP_1) | instid1(VALU_DEP_1)
	v_pk_fma_f32 v[114:115], v[108:109], v[100:101], v[112:113] op_sel:[0,0,1] op_sel_hi:[1,1,0] neg_lo:[0,0,1] neg_hi:[0,0,1]
	v_pk_fma_f32 v[108:109], v[108:109], v[100:101], v[112:113] op_sel:[0,0,1] op_sel_hi:[1,0,0]
	v_mov_b32_e32 v115, v109
	v_pk_mul_f32 v[108:109], v[110:111], v[98:99] op_sel:[0,1]
	s_delay_alu instid0(VALU_DEP_1) | instskip(SKIP_1) | instid1(VALU_DEP_1)
	v_pk_fma_f32 v[112:113], v[110:111], v[100:101], v[108:109] op_sel:[0,0,1] op_sel_hi:[1,1,0] neg_lo:[0,0,1] neg_hi:[0,0,1]
	v_pk_fma_f32 v[108:109], v[110:111], v[100:101], v[108:109] op_sel:[0,0,1] op_sel_hi:[1,0,0]
	v_mov_b32_e32 v113, v109
	ds_load_2addr_b64 v[108:111], v102 offset0:34 offset1:35
	v_pk_add_f32 v[72:73], v[72:73], v[114:115] neg_lo:[0,1] neg_hi:[0,1]
	v_pk_add_f32 v[18:19], v[18:19], v[112:113] neg_lo:[0,1] neg_hi:[0,1]
	s_wait_dscnt 0x0
	v_pk_mul_f32 v[112:113], v[108:109], v[98:99] op_sel:[0,1]
	s_delay_alu instid0(VALU_DEP_1) | instskip(SKIP_1) | instid1(VALU_DEP_1)
	v_pk_fma_f32 v[114:115], v[108:109], v[100:101], v[112:113] op_sel:[0,0,1] op_sel_hi:[1,1,0] neg_lo:[0,0,1] neg_hi:[0,0,1]
	v_pk_fma_f32 v[108:109], v[108:109], v[100:101], v[112:113] op_sel:[0,0,1] op_sel_hi:[1,0,0]
	v_mov_b32_e32 v115, v109
	v_pk_mul_f32 v[108:109], v[110:111], v[98:99] op_sel:[0,1]
	s_delay_alu instid0(VALU_DEP_1) | instskip(SKIP_1) | instid1(VALU_DEP_1)
	v_pk_fma_f32 v[112:113], v[110:111], v[100:101], v[108:109] op_sel:[0,0,1] op_sel_hi:[1,1,0] neg_lo:[0,0,1] neg_hi:[0,0,1]
	v_pk_fma_f32 v[108:109], v[110:111], v[100:101], v[108:109] op_sel:[0,0,1] op_sel_hi:[1,0,0]
	v_mov_b32_e32 v113, v109
	ds_load_2addr_b64 v[108:111], v102 offset0:36 offset1:37
	v_pk_add_f32 v[24:25], v[24:25], v[114:115] neg_lo:[0,1] neg_hi:[0,1]
	v_pk_add_f32 v[16:17], v[16:17], v[112:113] neg_lo:[0,1] neg_hi:[0,1]
	s_wait_dscnt 0x0
	v_dual_mul_f32 v112, v109, v99 :: v_dual_mul_f32 v114, v109, v100
	s_delay_alu instid0(VALU_DEP_1) | instskip(NEXT) | instid1(VALU_DEP_2)
	v_pk_fma_f32 v[112:113], v[108:109], v[42:43], v[112:113] op_sel_hi:[1,1,0] neg_lo:[0,0,1] neg_hi:[0,0,1]
	v_pk_fma_f32 v[108:109], v[108:109], v[42:43], v[114:115] op_sel:[1,0,0] op_sel_hi:[0,1,0]
	s_delay_alu instid0(VALU_DEP_1) | instskip(SKIP_1) | instid1(VALU_DEP_2)
	v_mov_b32_e32 v113, v109
	v_pk_mul_f32 v[108:109], v[110:111], v[98:99] op_sel:[0,1]
	v_pk_add_f32 v[70:71], v[70:71], v[112:113] neg_lo:[0,1] neg_hi:[0,1]
	s_delay_alu instid0(VALU_DEP_2) | instskip(SKIP_1) | instid1(VALU_DEP_1)
	v_pk_fma_f32 v[112:113], v[110:111], v[100:101], v[108:109] op_sel:[0,0,1] op_sel_hi:[1,1,0] neg_lo:[0,0,1] neg_hi:[0,0,1]
	v_pk_fma_f32 v[108:109], v[110:111], v[100:101], v[108:109] op_sel:[0,0,1] op_sel_hi:[1,0,0]
	v_mov_b32_e32 v113, v109
	ds_load_2addr_b64 v[108:111], v102 offset0:38 offset1:39
	v_pk_add_f32 v[10:11], v[10:11], v[112:113] neg_lo:[0,1] neg_hi:[0,1]
	s_wait_dscnt 0x0
	v_pk_mul_f32 v[112:113], v[108:109], v[98:99] op_sel:[0,1]
	s_delay_alu instid0(VALU_DEP_1) | instskip(SKIP_1) | instid1(VALU_DEP_1)
	v_pk_fma_f32 v[114:115], v[108:109], v[100:101], v[112:113] op_sel:[0,0,1] op_sel_hi:[1,1,0] neg_lo:[0,0,1] neg_hi:[0,0,1]
	v_pk_fma_f32 v[108:109], v[108:109], v[100:101], v[112:113] op_sel:[0,0,1] op_sel_hi:[1,0,0]
	v_mov_b32_e32 v115, v109
	v_pk_mul_f32 v[108:109], v[110:111], v[98:99] op_sel:[0,1]
	s_delay_alu instid0(VALU_DEP_2) | instskip(NEXT) | instid1(VALU_DEP_2)
	v_pk_add_f32 v[12:13], v[12:13], v[114:115] neg_lo:[0,1] neg_hi:[0,1]
	v_pk_fma_f32 v[112:113], v[110:111], v[100:101], v[108:109] op_sel:[0,0,1] op_sel_hi:[1,1,0] neg_lo:[0,0,1] neg_hi:[0,0,1]
	v_pk_fma_f32 v[108:109], v[110:111], v[100:101], v[108:109] op_sel:[0,0,1] op_sel_hi:[1,0,0]
	s_delay_alu instid0(VALU_DEP_1) | instskip(SKIP_4) | instid1(VALU_DEP_1)
	v_mov_b32_e32 v113, v109
	ds_load_2addr_b64 v[108:111], v102 offset0:40 offset1:41
	v_pk_add_f32 v[8:9], v[8:9], v[112:113] neg_lo:[0,1] neg_hi:[0,1]
	s_wait_dscnt 0x0
	v_pk_mul_f32 v[112:113], v[108:109], v[98:99] op_sel:[0,1]
	v_pk_fma_f32 v[114:115], v[108:109], v[100:101], v[112:113] op_sel:[0,0,1] op_sel_hi:[1,1,0] neg_lo:[0,0,1] neg_hi:[0,0,1]
	v_pk_fma_f32 v[108:109], v[108:109], v[100:101], v[112:113] op_sel:[0,0,1] op_sel_hi:[1,0,0]
	v_dual_mul_f32 v112, v111, v99 :: v_dual_mov_b32 v108, v111
	s_delay_alu instid0(VALU_DEP_2) | instskip(NEXT) | instid1(VALU_DEP_2)
	v_dual_mov_b32 v115, v109 :: v_dual_mov_b32 v109, v110
	v_pk_fma_f32 v[112:113], v[110:111], v[42:43], v[112:113] op_sel_hi:[1,1,0] neg_lo:[0,0,1] neg_hi:[0,0,1]
	v_mul_f32_e32 v110, v111, v100
	s_delay_alu instid0(VALU_DEP_3) | instskip(NEXT) | instid1(VALU_DEP_2)
	v_pk_add_f32 v[68:69], v[68:69], v[114:115] neg_lo:[0,1] neg_hi:[0,1]
	v_pk_fma_f32 v[108:109], v[108:109], v[42:43], v[110:111] op_sel_hi:[1,1,0]
	s_delay_alu instid0(VALU_DEP_1) | instskip(SKIP_4) | instid1(VALU_DEP_1)
	v_mov_b32_e32 v113, v109
	ds_load_2addr_b64 v[108:111], v102 offset0:42 offset1:43
	v_pk_add_f32 v[6:7], v[6:7], v[112:113] neg_lo:[0,1] neg_hi:[0,1]
	s_wait_dscnt 0x0
	v_pk_mul_f32 v[112:113], v[108:109], v[98:99] op_sel:[0,1]
	v_pk_fma_f32 v[114:115], v[108:109], v[100:101], v[112:113] op_sel:[0,0,1] op_sel_hi:[1,1,0] neg_lo:[0,0,1] neg_hi:[0,0,1]
	v_pk_fma_f32 v[108:109], v[108:109], v[100:101], v[112:113] op_sel:[0,0,1] op_sel_hi:[1,0,0]
	s_delay_alu instid0(VALU_DEP_1) | instskip(SKIP_1) | instid1(VALU_DEP_1)
	v_mov_b32_e32 v115, v109
	v_pk_mul_f32 v[108:109], v[110:111], v[98:99] op_sel:[0,1]
	v_pk_fma_f32 v[112:113], v[110:111], v[100:101], v[108:109] op_sel:[0,0,1] op_sel_hi:[1,1,0] neg_lo:[0,0,1] neg_hi:[0,0,1]
	v_pk_fma_f32 v[108:109], v[110:111], v[100:101], v[108:109] op_sel:[0,0,1] op_sel_hi:[1,0,0]
	s_delay_alu instid0(VALU_DEP_1)
	v_mov_b32_e32 v113, v109
	ds_load_2addr_b64 v[108:111], v102 offset0:44 offset1:45
	v_pk_add_f32 v[54:55], v[54:55], v[114:115] neg_lo:[0,1] neg_hi:[0,1]
	v_pk_add_f32 v[40:41], v[40:41], v[112:113] neg_lo:[0,1] neg_hi:[0,1]
	s_wait_dscnt 0x0
	v_pk_mul_f32 v[112:113], v[108:109], v[98:99] op_sel:[0,1]
	v_mul_f32_e32 v98, v111, v99
	s_delay_alu instid0(VALU_DEP_2) | instskip(SKIP_2) | instid1(VALU_DEP_4)
	v_pk_fma_f32 v[114:115], v[108:109], v[100:101], v[112:113] op_sel:[0,0,1] op_sel_hi:[1,1,0] neg_lo:[0,0,1] neg_hi:[0,0,1]
	v_pk_fma_f32 v[108:109], v[108:109], v[100:101], v[112:113] op_sel:[0,0,1] op_sel_hi:[1,0,0]
	v_dual_mov_b32 v108, v111 :: v_dual_mul_f32 v100, v111, v100
	v_pk_fma_f32 v[98:99], v[110:111], v[42:43], v[98:99] op_sel_hi:[1,1,0] neg_lo:[0,0,1] neg_hi:[0,0,1]
	s_delay_alu instid0(VALU_DEP_3) | instskip(NEXT) | instid1(VALU_DEP_1)
	v_dual_mov_b32 v115, v109 :: v_dual_mov_b32 v109, v110
	v_pk_add_f32 v[14:15], v[14:15], v[114:115] neg_lo:[0,1] neg_hi:[0,1]
	s_delay_alu instid0(VALU_DEP_2) | instskip(NEXT) | instid1(VALU_DEP_1)
	v_pk_fma_f32 v[100:101], v[108:109], v[42:43], v[100:101] op_sel_hi:[1,1,0]
	v_mov_b32_e32 v99, v101
	s_delay_alu instid0(VALU_DEP_1)
	v_pk_add_f32 v[96:97], v[96:97], v[98:99] neg_lo:[0,1] neg_hi:[0,1]
.LBB90_587:
	s_or_b32 exec_lo, exec_lo, s0
	v_lshl_add_u32 v98, v106, 3, v102
	s_barrier_signal -1
	s_barrier_wait -1
	ds_store_b64 v98, v[76:77]
	s_wait_dscnt 0x0
	s_barrier_signal -1
	s_barrier_wait -1
	ds_load_b64 v[98:99], v102 offset:224
	v_mov_b32_e32 v100, 28
	s_cmp_lt_i32 s18, 30
	s_cbranch_scc1 .LBB90_590
; %bb.588:
	v_add3_u32 v101, v103, 0, 0xe8
	v_mov_b32_e32 v100, 28
	s_mov_b32 s0, 29
.LBB90_589:                             ; =>This Inner Loop Header: Depth=1
	ds_load_b64 v[108:109], v101
	s_wait_dscnt 0x1
	v_cmp_gt_f32_e32 vcc_lo, 0, v98
	v_cndmask_b32_e64 v110, v98, -v98, vcc_lo
	v_cmp_gt_f32_e32 vcc_lo, 0, v99
	v_cndmask_b32_e64 v112, v99, -v99, vcc_lo
	s_wait_dscnt 0x0
	v_cmp_gt_f32_e32 vcc_lo, 0, v108
	v_cndmask_b32_e64 v111, v108, -v108, vcc_lo
	v_cmp_gt_f32_e32 vcc_lo, 0, v109
	v_cndmask_b32_e64 v113, v109, -v109, vcc_lo
	s_delay_alu instid0(VALU_DEP_1) | instskip(NEXT) | instid1(VALU_DEP_1)
	v_pk_add_f32 v[110:111], v[110:111], v[112:113]
	v_cmp_lt_f32_e32 vcc_lo, v110, v111
	v_dual_cndmask_b32 v98, v98, v108 :: v_dual_add_nc_u32 v101, 8, v101
	v_cndmask_b32_e32 v99, v99, v109, vcc_lo
	v_cndmask_b32_e64 v100, v100, s0, vcc_lo
	s_add_co_i32 s0, s0, 1
	s_delay_alu instid0(SALU_CYCLE_1)
	s_cmp_lg_u32 s18, s0
	s_cbranch_scc1 .LBB90_589
.LBB90_590:
	s_wait_dscnt 0x0
	v_cmp_eq_f32_e32 vcc_lo, 0, v98
	v_cmp_eq_f32_e64 s0, 0, v99
	s_and_b32 s0, vcc_lo, s0
	s_delay_alu instid0(SALU_CYCLE_1) | instskip(NEXT) | instid1(SALU_CYCLE_1)
	s_and_saveexec_b32 s1, s0
	s_xor_b32 s0, exec_lo, s1
; %bb.591:
	v_cmp_ne_u32_e32 vcc_lo, 0, v104
	v_cndmask_b32_e32 v104, 29, v104, vcc_lo
; %bb.592:
	s_and_not1_saveexec_b32 s0, s0
	s_cbranch_execz .LBB90_598
; %bb.593:
	v_cmp_ngt_f32_e64 s1, |v98|, |v99|
	s_and_saveexec_b32 s12, s1
	s_delay_alu instid0(SALU_CYCLE_1)
	s_xor_b32 s1, exec_lo, s12
	s_cbranch_execz .LBB90_595
; %bb.594:
	v_div_scale_f32 v101, null, v99, v99, v98
	v_div_scale_f32 v109, vcc_lo, v98, v99, v98
	s_delay_alu instid0(VALU_DEP_2) | instskip(SKIP_1) | instid1(TRANS32_DEP_1)
	v_rcp_f32_e32 v107, v101
	v_nop
	v_fma_f32 v108, -v101, v107, 1.0
	s_delay_alu instid0(VALU_DEP_1) | instskip(NEXT) | instid1(VALU_DEP_1)
	v_fmac_f32_e32 v107, v108, v107
	v_mul_f32_e32 v108, v109, v107
	s_delay_alu instid0(VALU_DEP_1) | instskip(NEXT) | instid1(VALU_DEP_1)
	v_fma_f32 v110, -v101, v108, v109
	v_fmac_f32_e32 v108, v110, v107
	s_delay_alu instid0(VALU_DEP_1) | instskip(NEXT) | instid1(VALU_DEP_1)
	v_fma_f32 v101, -v101, v108, v109
	v_div_fmas_f32 v101, v101, v107, v108
	s_delay_alu instid0(VALU_DEP_1) | instskip(NEXT) | instid1(VALU_DEP_1)
	v_div_fixup_f32 v101, v101, v99, v98
	v_fmac_f32_e32 v99, v98, v101
	s_delay_alu instid0(VALU_DEP_1) | instskip(SKIP_1) | instid1(VALU_DEP_2)
	v_div_scale_f32 v98, null, v99, v99, 1.0
	v_div_scale_f32 v109, vcc_lo, 1.0, v99, 1.0
	v_rcp_f32_e32 v107, v98
	v_nop
	s_delay_alu instid0(TRANS32_DEP_1) | instskip(NEXT) | instid1(VALU_DEP_1)
	v_fma_f32 v108, -v98, v107, 1.0
	v_fmac_f32_e32 v107, v108, v107
	s_delay_alu instid0(VALU_DEP_1) | instskip(NEXT) | instid1(VALU_DEP_1)
	v_mul_f32_e32 v108, v109, v107
	v_fma_f32 v110, -v98, v108, v109
	s_delay_alu instid0(VALU_DEP_1) | instskip(NEXT) | instid1(VALU_DEP_1)
	v_fmac_f32_e32 v108, v110, v107
	v_fma_f32 v98, -v98, v108, v109
	s_delay_alu instid0(VALU_DEP_1) | instskip(NEXT) | instid1(VALU_DEP_1)
	v_div_fmas_f32 v98, v98, v107, v108
	v_div_fixup_f32 v99, v98, v99, 1.0
	s_delay_alu instid0(VALU_DEP_1)
	v_mul_f32_e32 v98, v101, v99
	v_xor_b32_e32 v99, 0x80000000, v99
.LBB90_595:
	s_and_not1_saveexec_b32 s1, s1
	s_cbranch_execz .LBB90_597
; %bb.596:
	s_delay_alu instid0(VALU_DEP_1) | instskip(SKIP_1) | instid1(VALU_DEP_2)
	v_div_scale_f32 v101, null, v98, v98, v99
	v_div_scale_f32 v109, vcc_lo, v99, v98, v99
	v_rcp_f32_e32 v107, v101
	v_nop
	s_delay_alu instid0(TRANS32_DEP_1) | instskip(NEXT) | instid1(VALU_DEP_1)
	v_fma_f32 v108, -v101, v107, 1.0
	v_fmac_f32_e32 v107, v108, v107
	s_delay_alu instid0(VALU_DEP_1) | instskip(NEXT) | instid1(VALU_DEP_1)
	v_mul_f32_e32 v108, v109, v107
	v_fma_f32 v110, -v101, v108, v109
	s_delay_alu instid0(VALU_DEP_1) | instskip(NEXT) | instid1(VALU_DEP_1)
	v_fmac_f32_e32 v108, v110, v107
	v_fma_f32 v101, -v101, v108, v109
	s_delay_alu instid0(VALU_DEP_1) | instskip(NEXT) | instid1(VALU_DEP_1)
	v_div_fmas_f32 v101, v101, v107, v108
	v_div_fixup_f32 v101, v101, v98, v99
	s_delay_alu instid0(VALU_DEP_1) | instskip(NEXT) | instid1(VALU_DEP_1)
	v_fmac_f32_e32 v98, v99, v101
	v_div_scale_f32 v99, null, v98, v98, 1.0
	s_delay_alu instid0(VALU_DEP_1) | instskip(SKIP_1) | instid1(TRANS32_DEP_1)
	v_rcp_f32_e32 v107, v99
	v_nop
	v_fma_f32 v108, -v99, v107, 1.0
	s_delay_alu instid0(VALU_DEP_1) | instskip(SKIP_1) | instid1(VALU_DEP_1)
	v_fmac_f32_e32 v107, v108, v107
	v_div_scale_f32 v108, vcc_lo, 1.0, v98, 1.0
	v_mul_f32_e32 v109, v108, v107
	s_delay_alu instid0(VALU_DEP_1) | instskip(NEXT) | instid1(VALU_DEP_1)
	v_fma_f32 v110, -v99, v109, v108
	v_fmac_f32_e32 v109, v110, v107
	s_delay_alu instid0(VALU_DEP_1) | instskip(NEXT) | instid1(VALU_DEP_1)
	v_fma_f32 v99, -v99, v109, v108
	v_div_fmas_f32 v99, v99, v107, v109
	s_delay_alu instid0(VALU_DEP_1) | instskip(NEXT) | instid1(VALU_DEP_1)
	v_div_fixup_f32 v98, v99, v98, 1.0
	v_mul_f32_e64 v99, v101, -v98
.LBB90_597:
	s_or_b32 exec_lo, exec_lo, s1
.LBB90_598:
	s_delay_alu instid0(SALU_CYCLE_1) | instskip(NEXT) | instid1(SALU_CYCLE_1)
	s_or_b32 exec_lo, exec_lo, s0
	s_mov_b32 s0, exec_lo
	v_cmpx_ne_u32_e64 v106, v100
	s_xor_b32 s0, exec_lo, s0
	s_cbranch_execz .LBB90_604
; %bb.599:
	s_mov_b32 s1, exec_lo
	v_cmpx_eq_u32_e32 28, v106
	s_cbranch_execz .LBB90_603
; %bb.600:
	v_cmp_ne_u32_e32 vcc_lo, 28, v100
	s_xor_b32 s12, s16, -1
	s_delay_alu instid0(SALU_CYCLE_1) | instskip(NEXT) | instid1(SALU_CYCLE_1)
	s_and_b32 s13, s12, vcc_lo
	s_and_saveexec_b32 s12, s13
	s_cbranch_execz .LBB90_602
; %bb.601:
	v_ashrrev_i32_e32 v101, 31, v100
	s_delay_alu instid0(VALU_DEP_1)
	v_lshl_add_u64 v[106:107], v[100:101], 2, v[4:5]
	s_clause 0x1
	global_load_b32 v101, v[106:107], off
	global_load_b32 v105, v[4:5], off offset:112
	s_wait_loadcnt 0x1
	global_store_b32 v[4:5], v101, off offset:112
	s_wait_loadcnt 0x0
	global_store_b32 v[106:107], v105, off
.LBB90_602:
	s_wait_xcnt 0x0
	s_or_b32 exec_lo, exec_lo, s12
	v_dual_mov_b32 v106, v100 :: v_dual_mov_b32 v105, v100
.LBB90_603:
	s_or_b32 exec_lo, exec_lo, s1
.LBB90_604:
	s_and_not1_saveexec_b32 s0, s0
	s_cbranch_execz .LBB90_606
; %bb.605:
	v_mov_b32_e32 v106, 28
	ds_store_2addr_b64 v102, v[30:31], v[36:37] offset0:29 offset1:30
	ds_store_2addr_b64 v102, v[28:29], v[72:73] offset0:31 offset1:32
	;; [unrolled: 1-line block ×8, first 2 shown]
	ds_store_b64 v102, v[96:97] offset:360
.LBB90_606:
	s_or_b32 exec_lo, exec_lo, s0
	s_delay_alu instid0(SALU_CYCLE_1)
	s_mov_b32 s0, exec_lo
	s_wait_storecnt_dscnt 0x0
	s_barrier_signal -1
	s_barrier_wait -1
	v_cmpx_lt_i32_e32 28, v106
	s_cbranch_execz .LBB90_608
; %bb.607:
	v_pk_mul_f32 v[108:109], v[98:99], v[76:77] op_sel:[1,1] op_sel_hi:[0,1]
	s_delay_alu instid0(VALU_DEP_1)
	v_pk_fma_f32 v[100:101], v[98:99], v[76:77], v[108:109] op_sel_hi:[1,0,1] neg_lo:[0,0,1] neg_hi:[0,0,1]
	v_pk_fma_f32 v[98:99], v[98:99], v[76:77], v[108:109] op_sel_hi:[1,0,1]
	ds_load_2addr_b64 v[108:111], v102 offset0:29 offset1:30
	v_dual_mov_b32 v76, v100 :: v_dual_mov_b32 v77, v99
	s_wait_dscnt 0x0
	v_pk_mul_f32 v[112:113], v[108:109], v[98:99] op_sel:[0,1]
	s_delay_alu instid0(VALU_DEP_1) | instskip(SKIP_1) | instid1(VALU_DEP_1)
	v_pk_fma_f32 v[114:115], v[108:109], v[100:101], v[112:113] op_sel:[0,0,1] op_sel_hi:[1,1,0] neg_lo:[0,0,1] neg_hi:[0,0,1]
	v_pk_fma_f32 v[108:109], v[108:109], v[100:101], v[112:113] op_sel:[0,0,1] op_sel_hi:[1,0,0]
	v_mov_b32_e32 v115, v109
	v_pk_mul_f32 v[108:109], v[110:111], v[98:99] op_sel:[0,1]
	s_delay_alu instid0(VALU_DEP_1) | instskip(SKIP_1) | instid1(VALU_DEP_1)
	v_pk_fma_f32 v[112:113], v[110:111], v[100:101], v[108:109] op_sel:[0,0,1] op_sel_hi:[1,1,0] neg_lo:[0,0,1] neg_hi:[0,0,1]
	v_pk_fma_f32 v[108:109], v[110:111], v[100:101], v[108:109] op_sel:[0,0,1] op_sel_hi:[1,0,0]
	v_mov_b32_e32 v113, v109
	ds_load_2addr_b64 v[108:111], v102 offset0:31 offset1:32
	v_pk_add_f32 v[30:31], v[30:31], v[114:115] neg_lo:[0,1] neg_hi:[0,1]
	v_pk_add_f32 v[36:37], v[36:37], v[112:113] neg_lo:[0,1] neg_hi:[0,1]
	s_wait_dscnt 0x0
	v_pk_mul_f32 v[112:113], v[108:109], v[98:99] op_sel:[0,1]
	s_delay_alu instid0(VALU_DEP_1) | instskip(SKIP_2) | instid1(VALU_DEP_2)
	v_pk_fma_f32 v[114:115], v[108:109], v[100:101], v[112:113] op_sel:[0,0,1] op_sel_hi:[1,1,0] neg_lo:[0,0,1] neg_hi:[0,0,1]
	v_pk_fma_f32 v[108:109], v[108:109], v[100:101], v[112:113] op_sel:[0,0,1] op_sel_hi:[1,0,0]
	v_dual_mul_f32 v112, v111, v99 :: v_dual_mov_b32 v108, v111
	v_dual_mov_b32 v115, v109 :: v_dual_mov_b32 v109, v110
	s_delay_alu instid0(VALU_DEP_2) | instskip(SKIP_1) | instid1(VALU_DEP_3)
	v_pk_fma_f32 v[112:113], v[110:111], v[76:77], v[112:113] op_sel_hi:[1,1,0] neg_lo:[0,0,1] neg_hi:[0,0,1]
	v_mul_f32_e32 v110, v111, v100
	v_pk_add_f32 v[28:29], v[28:29], v[114:115] neg_lo:[0,1] neg_hi:[0,1]
	s_delay_alu instid0(VALU_DEP_2) | instskip(NEXT) | instid1(VALU_DEP_1)
	v_pk_fma_f32 v[108:109], v[108:109], v[76:77], v[110:111] op_sel_hi:[1,1,0]
	v_mov_b32_e32 v113, v109
	ds_load_2addr_b64 v[108:111], v102 offset0:33 offset1:34
	v_pk_add_f32 v[72:73], v[72:73], v[112:113] neg_lo:[0,1] neg_hi:[0,1]
	s_wait_dscnt 0x0
	v_pk_mul_f32 v[112:113], v[108:109], v[98:99] op_sel:[0,1]
	s_delay_alu instid0(VALU_DEP_1) | instskip(SKIP_1) | instid1(VALU_DEP_1)
	v_pk_fma_f32 v[114:115], v[108:109], v[100:101], v[112:113] op_sel:[0,0,1] op_sel_hi:[1,1,0] neg_lo:[0,0,1] neg_hi:[0,0,1]
	v_pk_fma_f32 v[108:109], v[108:109], v[100:101], v[112:113] op_sel:[0,0,1] op_sel_hi:[1,0,0]
	v_mov_b32_e32 v115, v109
	v_pk_mul_f32 v[108:109], v[110:111], v[98:99] op_sel:[0,1]
	s_delay_alu instid0(VALU_DEP_1) | instskip(SKIP_1) | instid1(VALU_DEP_1)
	v_pk_fma_f32 v[112:113], v[110:111], v[100:101], v[108:109] op_sel:[0,0,1] op_sel_hi:[1,1,0] neg_lo:[0,0,1] neg_hi:[0,0,1]
	v_pk_fma_f32 v[108:109], v[110:111], v[100:101], v[108:109] op_sel:[0,0,1] op_sel_hi:[1,0,0]
	v_mov_b32_e32 v113, v109
	ds_load_2addr_b64 v[108:111], v102 offset0:35 offset1:36
	v_pk_add_f32 v[18:19], v[18:19], v[114:115] neg_lo:[0,1] neg_hi:[0,1]
	v_pk_add_f32 v[24:25], v[24:25], v[112:113] neg_lo:[0,1] neg_hi:[0,1]
	s_wait_dscnt 0x0
	v_pk_mul_f32 v[112:113], v[108:109], v[98:99] op_sel:[0,1]
	s_delay_alu instid0(VALU_DEP_1) | instskip(SKIP_1) | instid1(VALU_DEP_1)
	v_pk_fma_f32 v[114:115], v[108:109], v[100:101], v[112:113] op_sel:[0,0,1] op_sel_hi:[1,1,0] neg_lo:[0,0,1] neg_hi:[0,0,1]
	v_pk_fma_f32 v[108:109], v[108:109], v[100:101], v[112:113] op_sel:[0,0,1] op_sel_hi:[1,0,0]
	v_mov_b32_e32 v115, v109
	v_pk_mul_f32 v[108:109], v[110:111], v[98:99] op_sel:[0,1]
	s_delay_alu instid0(VALU_DEP_1) | instskip(SKIP_1) | instid1(VALU_DEP_1)
	v_pk_fma_f32 v[112:113], v[110:111], v[100:101], v[108:109] op_sel:[0,0,1] op_sel_hi:[1,1,0] neg_lo:[0,0,1] neg_hi:[0,0,1]
	v_pk_fma_f32 v[108:109], v[110:111], v[100:101], v[108:109] op_sel:[0,0,1] op_sel_hi:[1,0,0]
	v_mov_b32_e32 v113, v109
	ds_load_2addr_b64 v[108:111], v102 offset0:37 offset1:38
	v_pk_add_f32 v[16:17], v[16:17], v[114:115] neg_lo:[0,1] neg_hi:[0,1]
	v_pk_add_f32 v[70:71], v[70:71], v[112:113] neg_lo:[0,1] neg_hi:[0,1]
	s_wait_dscnt 0x0
	v_dual_mul_f32 v112, v109, v99 :: v_dual_mul_f32 v114, v109, v100
	s_delay_alu instid0(VALU_DEP_1) | instskip(NEXT) | instid1(VALU_DEP_2)
	v_pk_fma_f32 v[112:113], v[108:109], v[76:77], v[112:113] op_sel_hi:[1,1,0] neg_lo:[0,0,1] neg_hi:[0,0,1]
	v_pk_fma_f32 v[108:109], v[108:109], v[76:77], v[114:115] op_sel:[1,0,0] op_sel_hi:[0,1,0]
	s_delay_alu instid0(VALU_DEP_1) | instskip(SKIP_1) | instid1(VALU_DEP_2)
	v_mov_b32_e32 v113, v109
	v_pk_mul_f32 v[108:109], v[110:111], v[98:99] op_sel:[0,1]
	v_pk_add_f32 v[10:11], v[10:11], v[112:113] neg_lo:[0,1] neg_hi:[0,1]
	s_delay_alu instid0(VALU_DEP_2) | instskip(SKIP_1) | instid1(VALU_DEP_1)
	v_pk_fma_f32 v[112:113], v[110:111], v[100:101], v[108:109] op_sel:[0,0,1] op_sel_hi:[1,1,0] neg_lo:[0,0,1] neg_hi:[0,0,1]
	v_pk_fma_f32 v[108:109], v[110:111], v[100:101], v[108:109] op_sel:[0,0,1] op_sel_hi:[1,0,0]
	v_mov_b32_e32 v113, v109
	ds_load_2addr_b64 v[108:111], v102 offset0:39 offset1:40
	v_pk_add_f32 v[12:13], v[12:13], v[112:113] neg_lo:[0,1] neg_hi:[0,1]
	s_wait_dscnt 0x0
	v_pk_mul_f32 v[112:113], v[108:109], v[98:99] op_sel:[0,1]
	s_delay_alu instid0(VALU_DEP_1) | instskip(SKIP_1) | instid1(VALU_DEP_1)
	v_pk_fma_f32 v[114:115], v[108:109], v[100:101], v[112:113] op_sel:[0,0,1] op_sel_hi:[1,1,0] neg_lo:[0,0,1] neg_hi:[0,0,1]
	v_pk_fma_f32 v[108:109], v[108:109], v[100:101], v[112:113] op_sel:[0,0,1] op_sel_hi:[1,0,0]
	v_mov_b32_e32 v115, v109
	v_pk_mul_f32 v[108:109], v[110:111], v[98:99] op_sel:[0,1]
	s_delay_alu instid0(VALU_DEP_2) | instskip(NEXT) | instid1(VALU_DEP_2)
	v_pk_add_f32 v[8:9], v[8:9], v[114:115] neg_lo:[0,1] neg_hi:[0,1]
	v_pk_fma_f32 v[112:113], v[110:111], v[100:101], v[108:109] op_sel:[0,0,1] op_sel_hi:[1,1,0] neg_lo:[0,0,1] neg_hi:[0,0,1]
	v_pk_fma_f32 v[108:109], v[110:111], v[100:101], v[108:109] op_sel:[0,0,1] op_sel_hi:[1,0,0]
	s_delay_alu instid0(VALU_DEP_1) | instskip(SKIP_4) | instid1(VALU_DEP_1)
	v_mov_b32_e32 v113, v109
	ds_load_2addr_b64 v[108:111], v102 offset0:41 offset1:42
	v_pk_add_f32 v[68:69], v[68:69], v[112:113] neg_lo:[0,1] neg_hi:[0,1]
	s_wait_dscnt 0x0
	v_pk_mul_f32 v[112:113], v[108:109], v[98:99] op_sel:[0,1]
	v_pk_fma_f32 v[114:115], v[108:109], v[100:101], v[112:113] op_sel:[0,0,1] op_sel_hi:[1,1,0] neg_lo:[0,0,1] neg_hi:[0,0,1]
	v_pk_fma_f32 v[108:109], v[108:109], v[100:101], v[112:113] op_sel:[0,0,1] op_sel_hi:[1,0,0]
	v_dual_mul_f32 v112, v111, v99 :: v_dual_mov_b32 v108, v111
	s_delay_alu instid0(VALU_DEP_2) | instskip(NEXT) | instid1(VALU_DEP_2)
	v_dual_mov_b32 v115, v109 :: v_dual_mov_b32 v109, v110
	v_pk_fma_f32 v[112:113], v[110:111], v[76:77], v[112:113] op_sel_hi:[1,1,0] neg_lo:[0,0,1] neg_hi:[0,0,1]
	v_mul_f32_e32 v110, v111, v100
	s_delay_alu instid0(VALU_DEP_3) | instskip(NEXT) | instid1(VALU_DEP_2)
	v_pk_add_f32 v[6:7], v[6:7], v[114:115] neg_lo:[0,1] neg_hi:[0,1]
	v_pk_fma_f32 v[108:109], v[108:109], v[76:77], v[110:111] op_sel_hi:[1,1,0]
	s_delay_alu instid0(VALU_DEP_1) | instskip(SKIP_4) | instid1(VALU_DEP_1)
	v_mov_b32_e32 v113, v109
	ds_load_2addr_b64 v[108:111], v102 offset0:43 offset1:44
	v_pk_add_f32 v[54:55], v[54:55], v[112:113] neg_lo:[0,1] neg_hi:[0,1]
	s_wait_dscnt 0x0
	v_pk_mul_f32 v[112:113], v[108:109], v[98:99] op_sel:[0,1]
	v_pk_fma_f32 v[114:115], v[108:109], v[100:101], v[112:113] op_sel:[0,0,1] op_sel_hi:[1,1,0] neg_lo:[0,0,1] neg_hi:[0,0,1]
	v_pk_fma_f32 v[108:109], v[108:109], v[100:101], v[112:113] op_sel:[0,0,1] op_sel_hi:[1,0,0]
	s_delay_alu instid0(VALU_DEP_1) | instskip(SKIP_1) | instid1(VALU_DEP_1)
	v_mov_b32_e32 v115, v109
	v_pk_mul_f32 v[108:109], v[110:111], v[98:99] op_sel:[0,1]
	v_pk_fma_f32 v[112:113], v[110:111], v[100:101], v[108:109] op_sel:[0,0,1] op_sel_hi:[1,1,0] neg_lo:[0,0,1] neg_hi:[0,0,1]
	v_pk_fma_f32 v[108:109], v[110:111], v[100:101], v[108:109] op_sel:[0,0,1] op_sel_hi:[1,0,0]
	s_delay_alu instid0(VALU_DEP_1)
	v_mov_b32_e32 v113, v109
	ds_load_b64 v[108:109], v102 offset:360
	v_pk_add_f32 v[40:41], v[40:41], v[114:115] neg_lo:[0,1] neg_hi:[0,1]
	v_pk_add_f32 v[14:15], v[14:15], v[112:113] neg_lo:[0,1] neg_hi:[0,1]
	s_wait_dscnt 0x0
	v_pk_mul_f32 v[98:99], v[108:109], v[98:99] op_sel:[0,1]
	s_delay_alu instid0(VALU_DEP_1) | instskip(SKIP_1) | instid1(VALU_DEP_1)
	v_pk_fma_f32 v[110:111], v[108:109], v[100:101], v[98:99] op_sel:[0,0,1] op_sel_hi:[1,1,0] neg_lo:[0,0,1] neg_hi:[0,0,1]
	v_pk_fma_f32 v[98:99], v[108:109], v[100:101], v[98:99] op_sel:[0,0,1] op_sel_hi:[1,0,0]
	v_mov_b32_e32 v111, v99
	s_delay_alu instid0(VALU_DEP_1)
	v_pk_add_f32 v[96:97], v[96:97], v[110:111] neg_lo:[0,1] neg_hi:[0,1]
.LBB90_608:
	s_or_b32 exec_lo, exec_lo, s0
	v_lshl_add_u32 v98, v106, 3, v102
	s_barrier_signal -1
	s_barrier_wait -1
	ds_store_b64 v98, v[30:31]
	s_wait_dscnt 0x0
	s_barrier_signal -1
	s_barrier_wait -1
	ds_load_b64 v[98:99], v102 offset:232
	v_mov_b32_e32 v100, 29
	s_cmp_lt_i32 s18, 31
	s_cbranch_scc1 .LBB90_611
; %bb.609:
	v_add3_u32 v101, v103, 0, 0xf0
	v_mov_b32_e32 v100, 29
	s_mov_b32 s0, 30
.LBB90_610:                             ; =>This Inner Loop Header: Depth=1
	ds_load_b64 v[108:109], v101
	s_wait_dscnt 0x1
	v_cmp_gt_f32_e32 vcc_lo, 0, v98
	v_cndmask_b32_e64 v110, v98, -v98, vcc_lo
	v_cmp_gt_f32_e32 vcc_lo, 0, v99
	v_cndmask_b32_e64 v112, v99, -v99, vcc_lo
	s_wait_dscnt 0x0
	v_cmp_gt_f32_e32 vcc_lo, 0, v108
	v_cndmask_b32_e64 v111, v108, -v108, vcc_lo
	v_cmp_gt_f32_e32 vcc_lo, 0, v109
	v_cndmask_b32_e64 v113, v109, -v109, vcc_lo
	s_delay_alu instid0(VALU_DEP_1) | instskip(NEXT) | instid1(VALU_DEP_1)
	v_pk_add_f32 v[110:111], v[110:111], v[112:113]
	v_cmp_lt_f32_e32 vcc_lo, v110, v111
	v_dual_cndmask_b32 v98, v98, v108 :: v_dual_add_nc_u32 v101, 8, v101
	v_cndmask_b32_e32 v99, v99, v109, vcc_lo
	v_cndmask_b32_e64 v100, v100, s0, vcc_lo
	s_add_co_i32 s0, s0, 1
	s_delay_alu instid0(SALU_CYCLE_1)
	s_cmp_lg_u32 s18, s0
	s_cbranch_scc1 .LBB90_610
.LBB90_611:
	s_wait_dscnt 0x0
	v_cmp_eq_f32_e32 vcc_lo, 0, v98
	v_cmp_eq_f32_e64 s0, 0, v99
	s_and_b32 s0, vcc_lo, s0
	s_delay_alu instid0(SALU_CYCLE_1) | instskip(NEXT) | instid1(SALU_CYCLE_1)
	s_and_saveexec_b32 s1, s0
	s_xor_b32 s0, exec_lo, s1
; %bb.612:
	v_cmp_ne_u32_e32 vcc_lo, 0, v104
	v_cndmask_b32_e32 v104, 30, v104, vcc_lo
; %bb.613:
	s_and_not1_saveexec_b32 s0, s0
	s_cbranch_execz .LBB90_619
; %bb.614:
	v_cmp_ngt_f32_e64 s1, |v98|, |v99|
	s_and_saveexec_b32 s12, s1
	s_delay_alu instid0(SALU_CYCLE_1)
	s_xor_b32 s1, exec_lo, s12
	s_cbranch_execz .LBB90_616
; %bb.615:
	v_div_scale_f32 v101, null, v99, v99, v98
	v_div_scale_f32 v109, vcc_lo, v98, v99, v98
	s_delay_alu instid0(VALU_DEP_2) | instskip(SKIP_1) | instid1(TRANS32_DEP_1)
	v_rcp_f32_e32 v107, v101
	v_nop
	v_fma_f32 v108, -v101, v107, 1.0
	s_delay_alu instid0(VALU_DEP_1) | instskip(NEXT) | instid1(VALU_DEP_1)
	v_fmac_f32_e32 v107, v108, v107
	v_mul_f32_e32 v108, v109, v107
	s_delay_alu instid0(VALU_DEP_1) | instskip(NEXT) | instid1(VALU_DEP_1)
	v_fma_f32 v110, -v101, v108, v109
	v_fmac_f32_e32 v108, v110, v107
	s_delay_alu instid0(VALU_DEP_1) | instskip(NEXT) | instid1(VALU_DEP_1)
	v_fma_f32 v101, -v101, v108, v109
	v_div_fmas_f32 v101, v101, v107, v108
	s_delay_alu instid0(VALU_DEP_1) | instskip(NEXT) | instid1(VALU_DEP_1)
	v_div_fixup_f32 v101, v101, v99, v98
	v_fmac_f32_e32 v99, v98, v101
	s_delay_alu instid0(VALU_DEP_1) | instskip(SKIP_1) | instid1(VALU_DEP_2)
	v_div_scale_f32 v98, null, v99, v99, 1.0
	v_div_scale_f32 v109, vcc_lo, 1.0, v99, 1.0
	v_rcp_f32_e32 v107, v98
	v_nop
	s_delay_alu instid0(TRANS32_DEP_1) | instskip(NEXT) | instid1(VALU_DEP_1)
	v_fma_f32 v108, -v98, v107, 1.0
	v_fmac_f32_e32 v107, v108, v107
	s_delay_alu instid0(VALU_DEP_1) | instskip(NEXT) | instid1(VALU_DEP_1)
	v_mul_f32_e32 v108, v109, v107
	v_fma_f32 v110, -v98, v108, v109
	s_delay_alu instid0(VALU_DEP_1) | instskip(NEXT) | instid1(VALU_DEP_1)
	v_fmac_f32_e32 v108, v110, v107
	v_fma_f32 v98, -v98, v108, v109
	s_delay_alu instid0(VALU_DEP_1) | instskip(NEXT) | instid1(VALU_DEP_1)
	v_div_fmas_f32 v98, v98, v107, v108
	v_div_fixup_f32 v99, v98, v99, 1.0
	s_delay_alu instid0(VALU_DEP_1)
	v_mul_f32_e32 v98, v101, v99
	v_xor_b32_e32 v99, 0x80000000, v99
.LBB90_616:
	s_and_not1_saveexec_b32 s1, s1
	s_cbranch_execz .LBB90_618
; %bb.617:
	s_delay_alu instid0(VALU_DEP_1) | instskip(SKIP_1) | instid1(VALU_DEP_2)
	v_div_scale_f32 v101, null, v98, v98, v99
	v_div_scale_f32 v109, vcc_lo, v99, v98, v99
	v_rcp_f32_e32 v107, v101
	v_nop
	s_delay_alu instid0(TRANS32_DEP_1) | instskip(NEXT) | instid1(VALU_DEP_1)
	v_fma_f32 v108, -v101, v107, 1.0
	v_fmac_f32_e32 v107, v108, v107
	s_delay_alu instid0(VALU_DEP_1) | instskip(NEXT) | instid1(VALU_DEP_1)
	v_mul_f32_e32 v108, v109, v107
	v_fma_f32 v110, -v101, v108, v109
	s_delay_alu instid0(VALU_DEP_1) | instskip(NEXT) | instid1(VALU_DEP_1)
	v_fmac_f32_e32 v108, v110, v107
	v_fma_f32 v101, -v101, v108, v109
	s_delay_alu instid0(VALU_DEP_1) | instskip(NEXT) | instid1(VALU_DEP_1)
	v_div_fmas_f32 v101, v101, v107, v108
	v_div_fixup_f32 v101, v101, v98, v99
	s_delay_alu instid0(VALU_DEP_1) | instskip(NEXT) | instid1(VALU_DEP_1)
	v_fmac_f32_e32 v98, v99, v101
	v_div_scale_f32 v99, null, v98, v98, 1.0
	s_delay_alu instid0(VALU_DEP_1) | instskip(SKIP_1) | instid1(TRANS32_DEP_1)
	v_rcp_f32_e32 v107, v99
	v_nop
	v_fma_f32 v108, -v99, v107, 1.0
	s_delay_alu instid0(VALU_DEP_1) | instskip(SKIP_1) | instid1(VALU_DEP_1)
	v_fmac_f32_e32 v107, v108, v107
	v_div_scale_f32 v108, vcc_lo, 1.0, v98, 1.0
	v_mul_f32_e32 v109, v108, v107
	s_delay_alu instid0(VALU_DEP_1) | instskip(NEXT) | instid1(VALU_DEP_1)
	v_fma_f32 v110, -v99, v109, v108
	v_fmac_f32_e32 v109, v110, v107
	s_delay_alu instid0(VALU_DEP_1) | instskip(NEXT) | instid1(VALU_DEP_1)
	v_fma_f32 v99, -v99, v109, v108
	v_div_fmas_f32 v99, v99, v107, v109
	s_delay_alu instid0(VALU_DEP_1) | instskip(NEXT) | instid1(VALU_DEP_1)
	v_div_fixup_f32 v98, v99, v98, 1.0
	v_mul_f32_e64 v99, v101, -v98
.LBB90_618:
	s_or_b32 exec_lo, exec_lo, s1
.LBB90_619:
	s_delay_alu instid0(SALU_CYCLE_1) | instskip(NEXT) | instid1(SALU_CYCLE_1)
	s_or_b32 exec_lo, exec_lo, s0
	s_mov_b32 s0, exec_lo
	v_cmpx_ne_u32_e64 v106, v100
	s_xor_b32 s0, exec_lo, s0
	s_cbranch_execz .LBB90_625
; %bb.620:
	s_mov_b32 s1, exec_lo
	v_cmpx_eq_u32_e32 29, v106
	s_cbranch_execz .LBB90_624
; %bb.621:
	v_cmp_ne_u32_e32 vcc_lo, 29, v100
	s_xor_b32 s12, s16, -1
	s_delay_alu instid0(SALU_CYCLE_1) | instskip(NEXT) | instid1(SALU_CYCLE_1)
	s_and_b32 s13, s12, vcc_lo
	s_and_saveexec_b32 s12, s13
	s_cbranch_execz .LBB90_623
; %bb.622:
	v_ashrrev_i32_e32 v101, 31, v100
	s_delay_alu instid0(VALU_DEP_1)
	v_lshl_add_u64 v[106:107], v[100:101], 2, v[4:5]
	s_clause 0x1
	global_load_b32 v101, v[106:107], off
	global_load_b32 v105, v[4:5], off offset:116
	s_wait_loadcnt 0x1
	global_store_b32 v[4:5], v101, off offset:116
	s_wait_loadcnt 0x0
	global_store_b32 v[106:107], v105, off
.LBB90_623:
	s_wait_xcnt 0x0
	s_or_b32 exec_lo, exec_lo, s12
	v_dual_mov_b32 v106, v100 :: v_dual_mov_b32 v105, v100
.LBB90_624:
	s_or_b32 exec_lo, exec_lo, s1
.LBB90_625:
	s_and_not1_saveexec_b32 s0, s0
	s_cbranch_execz .LBB90_627
; %bb.626:
	v_dual_mov_b32 v100, v36 :: v_dual_mov_b32 v101, v37
	v_dual_mov_b32 v106, v28 :: v_dual_mov_b32 v107, v29
	;; [unrolled: 1-line block ×8, first 2 shown]
	ds_store_2addr_b64 v102, v[100:101], v[106:107] offset0:30 offset1:31
	ds_store_2addr_b64 v102, v[108:109], v[110:111] offset0:32 offset1:33
	ds_store_2addr_b64 v102, v[112:113], v[114:115] offset0:34 offset1:35
	ds_store_2addr_b64 v102, v[116:117], v[118:119] offset0:36 offset1:37
	v_dual_mov_b32 v100, v12 :: v_dual_mov_b32 v101, v13
	v_dual_mov_b32 v108, v8 :: v_dual_mov_b32 v109, v9
	;; [unrolled: 1-line block ×7, first 2 shown]
	v_mov_b32_e32 v119, v15
	ds_store_2addr_b64 v102, v[100:101], v[108:109] offset0:38 offset1:39
	ds_store_2addr_b64 v102, v[110:111], v[112:113] offset0:40 offset1:41
	;; [unrolled: 1-line block ×4, first 2 shown]
.LBB90_627:
	s_or_b32 exec_lo, exec_lo, s0
	s_delay_alu instid0(SALU_CYCLE_1)
	s_mov_b32 s0, exec_lo
	s_wait_storecnt_dscnt 0x0
	s_barrier_signal -1
	s_barrier_wait -1
	v_cmpx_lt_i32_e32 29, v106
	s_cbranch_execz .LBB90_629
; %bb.628:
	v_pk_mul_f32 v[108:109], v[98:99], v[30:31] op_sel:[1,1] op_sel_hi:[0,1]
	s_delay_alu instid0(VALU_DEP_1)
	v_pk_fma_f32 v[100:101], v[98:99], v[30:31], v[108:109] op_sel_hi:[1,0,1] neg_lo:[0,0,1] neg_hi:[0,0,1]
	v_pk_fma_f32 v[98:99], v[98:99], v[30:31], v[108:109] op_sel_hi:[1,0,1]
	ds_load_2addr_b64 v[108:111], v102 offset0:30 offset1:31
	v_dual_mov_b32 v30, v100 :: v_dual_mov_b32 v31, v99
	s_wait_dscnt 0x0
	v_pk_mul_f32 v[112:113], v[108:109], v[98:99] op_sel:[0,1]
	s_delay_alu instid0(VALU_DEP_1) | instskip(SKIP_1) | instid1(VALU_DEP_1)
	v_pk_fma_f32 v[114:115], v[108:109], v[100:101], v[112:113] op_sel:[0,0,1] op_sel_hi:[1,1,0] neg_lo:[0,0,1] neg_hi:[0,0,1]
	v_pk_fma_f32 v[108:109], v[108:109], v[100:101], v[112:113] op_sel:[0,0,1] op_sel_hi:[1,0,0]
	v_mov_b32_e32 v115, v109
	v_pk_mul_f32 v[108:109], v[110:111], v[98:99] op_sel:[0,1]
	s_delay_alu instid0(VALU_DEP_1) | instskip(SKIP_1) | instid1(VALU_DEP_1)
	v_pk_fma_f32 v[112:113], v[110:111], v[100:101], v[108:109] op_sel:[0,0,1] op_sel_hi:[1,1,0] neg_lo:[0,0,1] neg_hi:[0,0,1]
	v_pk_fma_f32 v[108:109], v[110:111], v[100:101], v[108:109] op_sel:[0,0,1] op_sel_hi:[1,0,0]
	v_mov_b32_e32 v113, v109
	ds_load_2addr_b64 v[108:111], v102 offset0:32 offset1:33
	v_pk_add_f32 v[36:37], v[36:37], v[114:115] neg_lo:[0,1] neg_hi:[0,1]
	v_pk_add_f32 v[28:29], v[28:29], v[112:113] neg_lo:[0,1] neg_hi:[0,1]
	s_wait_dscnt 0x0
	v_pk_mul_f32 v[112:113], v[108:109], v[98:99] op_sel:[0,1]
	s_delay_alu instid0(VALU_DEP_1) | instskip(SKIP_2) | instid1(VALU_DEP_2)
	v_pk_fma_f32 v[114:115], v[108:109], v[100:101], v[112:113] op_sel:[0,0,1] op_sel_hi:[1,1,0] neg_lo:[0,0,1] neg_hi:[0,0,1]
	v_pk_fma_f32 v[108:109], v[108:109], v[100:101], v[112:113] op_sel:[0,0,1] op_sel_hi:[1,0,0]
	v_dual_mul_f32 v112, v111, v99 :: v_dual_mov_b32 v108, v111
	v_dual_mov_b32 v115, v109 :: v_dual_mov_b32 v109, v110
	s_delay_alu instid0(VALU_DEP_2) | instskip(SKIP_1) | instid1(VALU_DEP_3)
	v_pk_fma_f32 v[112:113], v[110:111], v[30:31], v[112:113] op_sel_hi:[1,1,0] neg_lo:[0,0,1] neg_hi:[0,0,1]
	v_mul_f32_e32 v110, v111, v100
	v_pk_add_f32 v[72:73], v[72:73], v[114:115] neg_lo:[0,1] neg_hi:[0,1]
	s_delay_alu instid0(VALU_DEP_2) | instskip(NEXT) | instid1(VALU_DEP_1)
	v_pk_fma_f32 v[108:109], v[108:109], v[30:31], v[110:111] op_sel_hi:[1,1,0]
	v_mov_b32_e32 v113, v109
	ds_load_2addr_b64 v[108:111], v102 offset0:34 offset1:35
	v_pk_add_f32 v[18:19], v[18:19], v[112:113] neg_lo:[0,1] neg_hi:[0,1]
	s_wait_dscnt 0x0
	v_pk_mul_f32 v[112:113], v[108:109], v[98:99] op_sel:[0,1]
	s_delay_alu instid0(VALU_DEP_1) | instskip(SKIP_1) | instid1(VALU_DEP_1)
	v_pk_fma_f32 v[114:115], v[108:109], v[100:101], v[112:113] op_sel:[0,0,1] op_sel_hi:[1,1,0] neg_lo:[0,0,1] neg_hi:[0,0,1]
	v_pk_fma_f32 v[108:109], v[108:109], v[100:101], v[112:113] op_sel:[0,0,1] op_sel_hi:[1,0,0]
	v_mov_b32_e32 v115, v109
	v_pk_mul_f32 v[108:109], v[110:111], v[98:99] op_sel:[0,1]
	s_delay_alu instid0(VALU_DEP_1) | instskip(SKIP_1) | instid1(VALU_DEP_1)
	v_pk_fma_f32 v[112:113], v[110:111], v[100:101], v[108:109] op_sel:[0,0,1] op_sel_hi:[1,1,0] neg_lo:[0,0,1] neg_hi:[0,0,1]
	v_pk_fma_f32 v[108:109], v[110:111], v[100:101], v[108:109] op_sel:[0,0,1] op_sel_hi:[1,0,0]
	v_mov_b32_e32 v113, v109
	ds_load_2addr_b64 v[108:111], v102 offset0:36 offset1:37
	v_pk_add_f32 v[24:25], v[24:25], v[114:115] neg_lo:[0,1] neg_hi:[0,1]
	v_pk_add_f32 v[16:17], v[16:17], v[112:113] neg_lo:[0,1] neg_hi:[0,1]
	s_wait_dscnt 0x0
	v_pk_mul_f32 v[112:113], v[108:109], v[98:99] op_sel:[0,1]
	s_delay_alu instid0(VALU_DEP_1) | instskip(SKIP_1) | instid1(VALU_DEP_1)
	v_pk_fma_f32 v[114:115], v[108:109], v[100:101], v[112:113] op_sel:[0,0,1] op_sel_hi:[1,1,0] neg_lo:[0,0,1] neg_hi:[0,0,1]
	v_pk_fma_f32 v[108:109], v[108:109], v[100:101], v[112:113] op_sel:[0,0,1] op_sel_hi:[1,0,0]
	v_mov_b32_e32 v115, v109
	v_pk_mul_f32 v[108:109], v[110:111], v[98:99] op_sel:[0,1]
	s_delay_alu instid0(VALU_DEP_1) | instskip(SKIP_1) | instid1(VALU_DEP_1)
	v_pk_fma_f32 v[112:113], v[110:111], v[100:101], v[108:109] op_sel:[0,0,1] op_sel_hi:[1,1,0] neg_lo:[0,0,1] neg_hi:[0,0,1]
	v_pk_fma_f32 v[108:109], v[110:111], v[100:101], v[108:109] op_sel:[0,0,1] op_sel_hi:[1,0,0]
	v_mov_b32_e32 v113, v109
	ds_load_2addr_b64 v[108:111], v102 offset0:38 offset1:39
	v_pk_add_f32 v[70:71], v[70:71], v[114:115] neg_lo:[0,1] neg_hi:[0,1]
	v_pk_add_f32 v[10:11], v[10:11], v[112:113] neg_lo:[0,1] neg_hi:[0,1]
	s_wait_dscnt 0x0
	v_dual_mul_f32 v112, v109, v99 :: v_dual_mul_f32 v114, v109, v100
	s_delay_alu instid0(VALU_DEP_1) | instskip(NEXT) | instid1(VALU_DEP_2)
	v_pk_fma_f32 v[112:113], v[108:109], v[30:31], v[112:113] op_sel_hi:[1,1,0] neg_lo:[0,0,1] neg_hi:[0,0,1]
	v_pk_fma_f32 v[108:109], v[108:109], v[30:31], v[114:115] op_sel:[1,0,0] op_sel_hi:[0,1,0]
	s_delay_alu instid0(VALU_DEP_1) | instskip(SKIP_1) | instid1(VALU_DEP_2)
	v_mov_b32_e32 v113, v109
	v_pk_mul_f32 v[108:109], v[110:111], v[98:99] op_sel:[0,1]
	v_pk_add_f32 v[12:13], v[12:13], v[112:113] neg_lo:[0,1] neg_hi:[0,1]
	s_delay_alu instid0(VALU_DEP_2) | instskip(SKIP_1) | instid1(VALU_DEP_1)
	v_pk_fma_f32 v[112:113], v[110:111], v[100:101], v[108:109] op_sel:[0,0,1] op_sel_hi:[1,1,0] neg_lo:[0,0,1] neg_hi:[0,0,1]
	v_pk_fma_f32 v[108:109], v[110:111], v[100:101], v[108:109] op_sel:[0,0,1] op_sel_hi:[1,0,0]
	v_mov_b32_e32 v113, v109
	ds_load_2addr_b64 v[108:111], v102 offset0:40 offset1:41
	v_pk_add_f32 v[8:9], v[8:9], v[112:113] neg_lo:[0,1] neg_hi:[0,1]
	s_wait_dscnt 0x0
	v_pk_mul_f32 v[112:113], v[108:109], v[98:99] op_sel:[0,1]
	s_delay_alu instid0(VALU_DEP_1) | instskip(SKIP_1) | instid1(VALU_DEP_1)
	v_pk_fma_f32 v[114:115], v[108:109], v[100:101], v[112:113] op_sel:[0,0,1] op_sel_hi:[1,1,0] neg_lo:[0,0,1] neg_hi:[0,0,1]
	v_pk_fma_f32 v[108:109], v[108:109], v[100:101], v[112:113] op_sel:[0,0,1] op_sel_hi:[1,0,0]
	v_mov_b32_e32 v115, v109
	v_pk_mul_f32 v[108:109], v[110:111], v[98:99] op_sel:[0,1]
	s_delay_alu instid0(VALU_DEP_2) | instskip(NEXT) | instid1(VALU_DEP_2)
	v_pk_add_f32 v[68:69], v[68:69], v[114:115] neg_lo:[0,1] neg_hi:[0,1]
	v_pk_fma_f32 v[112:113], v[110:111], v[100:101], v[108:109] op_sel:[0,0,1] op_sel_hi:[1,1,0] neg_lo:[0,0,1] neg_hi:[0,0,1]
	v_pk_fma_f32 v[108:109], v[110:111], v[100:101], v[108:109] op_sel:[0,0,1] op_sel_hi:[1,0,0]
	s_delay_alu instid0(VALU_DEP_1) | instskip(SKIP_4) | instid1(VALU_DEP_1)
	v_mov_b32_e32 v113, v109
	ds_load_2addr_b64 v[108:111], v102 offset0:42 offset1:43
	v_pk_add_f32 v[6:7], v[6:7], v[112:113] neg_lo:[0,1] neg_hi:[0,1]
	s_wait_dscnt 0x0
	v_pk_mul_f32 v[112:113], v[108:109], v[98:99] op_sel:[0,1]
	v_pk_fma_f32 v[114:115], v[108:109], v[100:101], v[112:113] op_sel:[0,0,1] op_sel_hi:[1,1,0] neg_lo:[0,0,1] neg_hi:[0,0,1]
	v_pk_fma_f32 v[108:109], v[108:109], v[100:101], v[112:113] op_sel:[0,0,1] op_sel_hi:[1,0,0]
	v_dual_mul_f32 v112, v111, v99 :: v_dual_mov_b32 v108, v111
	s_delay_alu instid0(VALU_DEP_2) | instskip(NEXT) | instid1(VALU_DEP_2)
	v_dual_mov_b32 v115, v109 :: v_dual_mov_b32 v109, v110
	v_pk_fma_f32 v[112:113], v[110:111], v[30:31], v[112:113] op_sel_hi:[1,1,0] neg_lo:[0,0,1] neg_hi:[0,0,1]
	v_mul_f32_e32 v110, v111, v100
	s_delay_alu instid0(VALU_DEP_3) | instskip(NEXT) | instid1(VALU_DEP_2)
	v_pk_add_f32 v[54:55], v[54:55], v[114:115] neg_lo:[0,1] neg_hi:[0,1]
	v_pk_fma_f32 v[108:109], v[108:109], v[30:31], v[110:111] op_sel_hi:[1,1,0]
	s_delay_alu instid0(VALU_DEP_1)
	v_mov_b32_e32 v113, v109
	ds_load_2addr_b64 v[108:111], v102 offset0:44 offset1:45
	v_pk_add_f32 v[40:41], v[40:41], v[112:113] neg_lo:[0,1] neg_hi:[0,1]
	s_wait_dscnt 0x0
	v_pk_mul_f32 v[112:113], v[108:109], v[98:99] op_sel:[0,1]
	v_pk_mul_f32 v[98:99], v[110:111], v[98:99] op_sel:[0,1]
	s_delay_alu instid0(VALU_DEP_2) | instskip(SKIP_1) | instid1(VALU_DEP_1)
	v_pk_fma_f32 v[114:115], v[108:109], v[100:101], v[112:113] op_sel:[0,0,1] op_sel_hi:[1,1,0] neg_lo:[0,0,1] neg_hi:[0,0,1]
	v_pk_fma_f32 v[108:109], v[108:109], v[100:101], v[112:113] op_sel:[0,0,1] op_sel_hi:[1,0,0]
	v_mov_b32_e32 v115, v109
	s_delay_alu instid0(VALU_DEP_4) | instskip(SKIP_1) | instid1(VALU_DEP_1)
	v_pk_fma_f32 v[108:109], v[110:111], v[100:101], v[98:99] op_sel:[0,0,1] op_sel_hi:[1,1,0] neg_lo:[0,0,1] neg_hi:[0,0,1]
	v_pk_fma_f32 v[98:99], v[110:111], v[100:101], v[98:99] op_sel:[0,0,1] op_sel_hi:[1,0,0]
	v_mov_b32_e32 v109, v99
	s_delay_alu instid0(VALU_DEP_4) | instskip(NEXT) | instid1(VALU_DEP_2)
	v_pk_add_f32 v[14:15], v[14:15], v[114:115] neg_lo:[0,1] neg_hi:[0,1]
	v_pk_add_f32 v[96:97], v[96:97], v[108:109] neg_lo:[0,1] neg_hi:[0,1]
.LBB90_629:
	s_or_b32 exec_lo, exec_lo, s0
	v_lshl_add_u32 v98, v106, 3, v102
	s_barrier_signal -1
	s_barrier_wait -1
	ds_store_b64 v98, v[36:37]
	s_wait_dscnt 0x0
	s_barrier_signal -1
	s_barrier_wait -1
	ds_load_b64 v[98:99], v102 offset:240
	v_mov_b32_e32 v100, 30
	s_cmp_lt_i32 s18, 32
	s_cbranch_scc1 .LBB90_632
; %bb.630:
	v_add3_u32 v101, v103, 0, 0xf8
	v_mov_b32_e32 v100, 30
	s_mov_b32 s0, 31
.LBB90_631:                             ; =>This Inner Loop Header: Depth=1
	ds_load_b64 v[108:109], v101
	s_wait_dscnt 0x1
	v_cmp_gt_f32_e32 vcc_lo, 0, v98
	v_cndmask_b32_e64 v110, v98, -v98, vcc_lo
	v_cmp_gt_f32_e32 vcc_lo, 0, v99
	v_cndmask_b32_e64 v112, v99, -v99, vcc_lo
	s_wait_dscnt 0x0
	v_cmp_gt_f32_e32 vcc_lo, 0, v108
	v_cndmask_b32_e64 v111, v108, -v108, vcc_lo
	v_cmp_gt_f32_e32 vcc_lo, 0, v109
	v_cndmask_b32_e64 v113, v109, -v109, vcc_lo
	s_delay_alu instid0(VALU_DEP_1) | instskip(NEXT) | instid1(VALU_DEP_1)
	v_pk_add_f32 v[110:111], v[110:111], v[112:113]
	v_cmp_lt_f32_e32 vcc_lo, v110, v111
	v_dual_cndmask_b32 v98, v98, v108 :: v_dual_add_nc_u32 v101, 8, v101
	v_cndmask_b32_e32 v99, v99, v109, vcc_lo
	v_cndmask_b32_e64 v100, v100, s0, vcc_lo
	s_add_co_i32 s0, s0, 1
	s_delay_alu instid0(SALU_CYCLE_1)
	s_cmp_lg_u32 s18, s0
	s_cbranch_scc1 .LBB90_631
.LBB90_632:
	s_wait_dscnt 0x0
	v_cmp_eq_f32_e32 vcc_lo, 0, v98
	v_cmp_eq_f32_e64 s0, 0, v99
	s_and_b32 s0, vcc_lo, s0
	s_delay_alu instid0(SALU_CYCLE_1) | instskip(NEXT) | instid1(SALU_CYCLE_1)
	s_and_saveexec_b32 s1, s0
	s_xor_b32 s0, exec_lo, s1
; %bb.633:
	v_cmp_ne_u32_e32 vcc_lo, 0, v104
	v_cndmask_b32_e32 v104, 31, v104, vcc_lo
; %bb.634:
	s_and_not1_saveexec_b32 s0, s0
	s_cbranch_execz .LBB90_640
; %bb.635:
	v_cmp_ngt_f32_e64 s1, |v98|, |v99|
	s_and_saveexec_b32 s12, s1
	s_delay_alu instid0(SALU_CYCLE_1)
	s_xor_b32 s1, exec_lo, s12
	s_cbranch_execz .LBB90_637
; %bb.636:
	v_div_scale_f32 v101, null, v99, v99, v98
	v_div_scale_f32 v109, vcc_lo, v98, v99, v98
	s_delay_alu instid0(VALU_DEP_2) | instskip(SKIP_1) | instid1(TRANS32_DEP_1)
	v_rcp_f32_e32 v107, v101
	v_nop
	v_fma_f32 v108, -v101, v107, 1.0
	s_delay_alu instid0(VALU_DEP_1) | instskip(NEXT) | instid1(VALU_DEP_1)
	v_fmac_f32_e32 v107, v108, v107
	v_mul_f32_e32 v108, v109, v107
	s_delay_alu instid0(VALU_DEP_1) | instskip(NEXT) | instid1(VALU_DEP_1)
	v_fma_f32 v110, -v101, v108, v109
	v_fmac_f32_e32 v108, v110, v107
	s_delay_alu instid0(VALU_DEP_1) | instskip(NEXT) | instid1(VALU_DEP_1)
	v_fma_f32 v101, -v101, v108, v109
	v_div_fmas_f32 v101, v101, v107, v108
	s_delay_alu instid0(VALU_DEP_1) | instskip(NEXT) | instid1(VALU_DEP_1)
	v_div_fixup_f32 v101, v101, v99, v98
	v_fmac_f32_e32 v99, v98, v101
	s_delay_alu instid0(VALU_DEP_1) | instskip(SKIP_1) | instid1(VALU_DEP_2)
	v_div_scale_f32 v98, null, v99, v99, 1.0
	v_div_scale_f32 v109, vcc_lo, 1.0, v99, 1.0
	v_rcp_f32_e32 v107, v98
	v_nop
	s_delay_alu instid0(TRANS32_DEP_1) | instskip(NEXT) | instid1(VALU_DEP_1)
	v_fma_f32 v108, -v98, v107, 1.0
	v_fmac_f32_e32 v107, v108, v107
	s_delay_alu instid0(VALU_DEP_1) | instskip(NEXT) | instid1(VALU_DEP_1)
	v_mul_f32_e32 v108, v109, v107
	v_fma_f32 v110, -v98, v108, v109
	s_delay_alu instid0(VALU_DEP_1) | instskip(NEXT) | instid1(VALU_DEP_1)
	v_fmac_f32_e32 v108, v110, v107
	v_fma_f32 v98, -v98, v108, v109
	s_delay_alu instid0(VALU_DEP_1) | instskip(NEXT) | instid1(VALU_DEP_1)
	v_div_fmas_f32 v98, v98, v107, v108
	v_div_fixup_f32 v99, v98, v99, 1.0
	s_delay_alu instid0(VALU_DEP_1)
	v_mul_f32_e32 v98, v101, v99
	v_xor_b32_e32 v99, 0x80000000, v99
.LBB90_637:
	s_and_not1_saveexec_b32 s1, s1
	s_cbranch_execz .LBB90_639
; %bb.638:
	s_delay_alu instid0(VALU_DEP_1) | instskip(SKIP_1) | instid1(VALU_DEP_2)
	v_div_scale_f32 v101, null, v98, v98, v99
	v_div_scale_f32 v109, vcc_lo, v99, v98, v99
	v_rcp_f32_e32 v107, v101
	v_nop
	s_delay_alu instid0(TRANS32_DEP_1) | instskip(NEXT) | instid1(VALU_DEP_1)
	v_fma_f32 v108, -v101, v107, 1.0
	v_fmac_f32_e32 v107, v108, v107
	s_delay_alu instid0(VALU_DEP_1) | instskip(NEXT) | instid1(VALU_DEP_1)
	v_mul_f32_e32 v108, v109, v107
	v_fma_f32 v110, -v101, v108, v109
	s_delay_alu instid0(VALU_DEP_1) | instskip(NEXT) | instid1(VALU_DEP_1)
	v_fmac_f32_e32 v108, v110, v107
	v_fma_f32 v101, -v101, v108, v109
	s_delay_alu instid0(VALU_DEP_1) | instskip(NEXT) | instid1(VALU_DEP_1)
	v_div_fmas_f32 v101, v101, v107, v108
	v_div_fixup_f32 v101, v101, v98, v99
	s_delay_alu instid0(VALU_DEP_1) | instskip(NEXT) | instid1(VALU_DEP_1)
	v_fmac_f32_e32 v98, v99, v101
	v_div_scale_f32 v99, null, v98, v98, 1.0
	s_delay_alu instid0(VALU_DEP_1) | instskip(SKIP_1) | instid1(TRANS32_DEP_1)
	v_rcp_f32_e32 v107, v99
	v_nop
	v_fma_f32 v108, -v99, v107, 1.0
	s_delay_alu instid0(VALU_DEP_1) | instskip(SKIP_1) | instid1(VALU_DEP_1)
	v_fmac_f32_e32 v107, v108, v107
	v_div_scale_f32 v108, vcc_lo, 1.0, v98, 1.0
	v_mul_f32_e32 v109, v108, v107
	s_delay_alu instid0(VALU_DEP_1) | instskip(NEXT) | instid1(VALU_DEP_1)
	v_fma_f32 v110, -v99, v109, v108
	v_fmac_f32_e32 v109, v110, v107
	s_delay_alu instid0(VALU_DEP_1) | instskip(NEXT) | instid1(VALU_DEP_1)
	v_fma_f32 v99, -v99, v109, v108
	v_div_fmas_f32 v99, v99, v107, v109
	s_delay_alu instid0(VALU_DEP_1) | instskip(NEXT) | instid1(VALU_DEP_1)
	v_div_fixup_f32 v98, v99, v98, 1.0
	v_mul_f32_e64 v99, v101, -v98
.LBB90_639:
	s_or_b32 exec_lo, exec_lo, s1
.LBB90_640:
	s_delay_alu instid0(SALU_CYCLE_1) | instskip(NEXT) | instid1(SALU_CYCLE_1)
	s_or_b32 exec_lo, exec_lo, s0
	s_mov_b32 s0, exec_lo
	v_cmpx_ne_u32_e64 v106, v100
	s_xor_b32 s0, exec_lo, s0
	s_cbranch_execz .LBB90_646
; %bb.641:
	s_mov_b32 s1, exec_lo
	v_cmpx_eq_u32_e32 30, v106
	s_cbranch_execz .LBB90_645
; %bb.642:
	v_cmp_ne_u32_e32 vcc_lo, 30, v100
	s_xor_b32 s12, s16, -1
	s_delay_alu instid0(SALU_CYCLE_1) | instskip(NEXT) | instid1(SALU_CYCLE_1)
	s_and_b32 s13, s12, vcc_lo
	s_and_saveexec_b32 s12, s13
	s_cbranch_execz .LBB90_644
; %bb.643:
	v_ashrrev_i32_e32 v101, 31, v100
	s_delay_alu instid0(VALU_DEP_1)
	v_lshl_add_u64 v[106:107], v[100:101], 2, v[4:5]
	s_clause 0x1
	global_load_b32 v101, v[106:107], off
	global_load_b32 v105, v[4:5], off offset:120
	s_wait_loadcnt 0x1
	global_store_b32 v[4:5], v101, off offset:120
	s_wait_loadcnt 0x0
	global_store_b32 v[106:107], v105, off
.LBB90_644:
	s_wait_xcnt 0x0
	s_or_b32 exec_lo, exec_lo, s12
	v_dual_mov_b32 v106, v100 :: v_dual_mov_b32 v105, v100
.LBB90_645:
	s_or_b32 exec_lo, exec_lo, s1
.LBB90_646:
	s_and_not1_saveexec_b32 s0, s0
	s_cbranch_execz .LBB90_648
; %bb.647:
	v_mov_b32_e32 v106, 30
	ds_store_2addr_b64 v102, v[28:29], v[72:73] offset0:31 offset1:32
	ds_store_2addr_b64 v102, v[18:19], v[24:25] offset0:33 offset1:34
	;; [unrolled: 1-line block ×7, first 2 shown]
	ds_store_b64 v102, v[96:97] offset:360
.LBB90_648:
	s_or_b32 exec_lo, exec_lo, s0
	s_delay_alu instid0(SALU_CYCLE_1)
	s_mov_b32 s0, exec_lo
	s_wait_storecnt_dscnt 0x0
	s_barrier_signal -1
	s_barrier_wait -1
	v_cmpx_lt_i32_e32 30, v106
	s_cbranch_execz .LBB90_650
; %bb.649:
	v_pk_mul_f32 v[108:109], v[98:99], v[36:37] op_sel:[1,1] op_sel_hi:[0,1]
	s_delay_alu instid0(VALU_DEP_1)
	v_pk_fma_f32 v[100:101], v[98:99], v[36:37], v[108:109] op_sel_hi:[1,0,1] neg_lo:[0,0,1] neg_hi:[0,0,1]
	v_pk_fma_f32 v[98:99], v[98:99], v[36:37], v[108:109] op_sel_hi:[1,0,1]
	ds_load_2addr_b64 v[108:111], v102 offset0:31 offset1:32
	v_dual_mov_b32 v36, v100 :: v_dual_mov_b32 v37, v99
	s_wait_dscnt 0x0
	v_pk_mul_f32 v[112:113], v[108:109], v[98:99] op_sel:[0,1]
	s_delay_alu instid0(VALU_DEP_1) | instskip(SKIP_1) | instid1(VALU_DEP_1)
	v_pk_fma_f32 v[114:115], v[108:109], v[100:101], v[112:113] op_sel:[0,0,1] op_sel_hi:[1,1,0] neg_lo:[0,0,1] neg_hi:[0,0,1]
	v_pk_fma_f32 v[108:109], v[108:109], v[100:101], v[112:113] op_sel:[0,0,1] op_sel_hi:[1,0,0]
	v_mov_b32_e32 v115, v109
	v_pk_mul_f32 v[108:109], v[110:111], v[98:99] op_sel:[0,1]
	s_delay_alu instid0(VALU_DEP_1) | instskip(SKIP_1) | instid1(VALU_DEP_1)
	v_pk_fma_f32 v[112:113], v[110:111], v[100:101], v[108:109] op_sel:[0,0,1] op_sel_hi:[1,1,0] neg_lo:[0,0,1] neg_hi:[0,0,1]
	v_pk_fma_f32 v[108:109], v[110:111], v[100:101], v[108:109] op_sel:[0,0,1] op_sel_hi:[1,0,0]
	v_mov_b32_e32 v113, v109
	ds_load_2addr_b64 v[108:111], v102 offset0:33 offset1:34
	v_pk_add_f32 v[28:29], v[28:29], v[114:115] neg_lo:[0,1] neg_hi:[0,1]
	v_pk_add_f32 v[72:73], v[72:73], v[112:113] neg_lo:[0,1] neg_hi:[0,1]
	s_wait_dscnt 0x0
	v_pk_mul_f32 v[112:113], v[108:109], v[98:99] op_sel:[0,1]
	s_delay_alu instid0(VALU_DEP_1) | instskip(SKIP_2) | instid1(VALU_DEP_2)
	v_pk_fma_f32 v[114:115], v[108:109], v[100:101], v[112:113] op_sel:[0,0,1] op_sel_hi:[1,1,0] neg_lo:[0,0,1] neg_hi:[0,0,1]
	v_pk_fma_f32 v[108:109], v[108:109], v[100:101], v[112:113] op_sel:[0,0,1] op_sel_hi:[1,0,0]
	v_dual_mul_f32 v112, v111, v99 :: v_dual_mov_b32 v108, v111
	v_dual_mov_b32 v115, v109 :: v_dual_mov_b32 v109, v110
	s_delay_alu instid0(VALU_DEP_2) | instskip(SKIP_1) | instid1(VALU_DEP_3)
	v_pk_fma_f32 v[112:113], v[110:111], v[36:37], v[112:113] op_sel_hi:[1,1,0] neg_lo:[0,0,1] neg_hi:[0,0,1]
	v_mul_f32_e32 v110, v111, v100
	v_pk_add_f32 v[18:19], v[18:19], v[114:115] neg_lo:[0,1] neg_hi:[0,1]
	s_delay_alu instid0(VALU_DEP_2) | instskip(NEXT) | instid1(VALU_DEP_1)
	v_pk_fma_f32 v[108:109], v[108:109], v[36:37], v[110:111] op_sel_hi:[1,1,0]
	v_mov_b32_e32 v113, v109
	ds_load_2addr_b64 v[108:111], v102 offset0:35 offset1:36
	v_pk_add_f32 v[24:25], v[24:25], v[112:113] neg_lo:[0,1] neg_hi:[0,1]
	s_wait_dscnt 0x0
	v_pk_mul_f32 v[112:113], v[108:109], v[98:99] op_sel:[0,1]
	s_delay_alu instid0(VALU_DEP_1) | instskip(SKIP_1) | instid1(VALU_DEP_1)
	v_pk_fma_f32 v[114:115], v[108:109], v[100:101], v[112:113] op_sel:[0,0,1] op_sel_hi:[1,1,0] neg_lo:[0,0,1] neg_hi:[0,0,1]
	v_pk_fma_f32 v[108:109], v[108:109], v[100:101], v[112:113] op_sel:[0,0,1] op_sel_hi:[1,0,0]
	v_mov_b32_e32 v115, v109
	v_pk_mul_f32 v[108:109], v[110:111], v[98:99] op_sel:[0,1]
	s_delay_alu instid0(VALU_DEP_1) | instskip(SKIP_1) | instid1(VALU_DEP_1)
	v_pk_fma_f32 v[112:113], v[110:111], v[100:101], v[108:109] op_sel:[0,0,1] op_sel_hi:[1,1,0] neg_lo:[0,0,1] neg_hi:[0,0,1]
	v_pk_fma_f32 v[108:109], v[110:111], v[100:101], v[108:109] op_sel:[0,0,1] op_sel_hi:[1,0,0]
	v_mov_b32_e32 v113, v109
	ds_load_2addr_b64 v[108:111], v102 offset0:37 offset1:38
	v_pk_add_f32 v[16:17], v[16:17], v[114:115] neg_lo:[0,1] neg_hi:[0,1]
	v_pk_add_f32 v[70:71], v[70:71], v[112:113] neg_lo:[0,1] neg_hi:[0,1]
	s_wait_dscnt 0x0
	v_pk_mul_f32 v[112:113], v[108:109], v[98:99] op_sel:[0,1]
	s_delay_alu instid0(VALU_DEP_1) | instskip(SKIP_1) | instid1(VALU_DEP_1)
	v_pk_fma_f32 v[114:115], v[108:109], v[100:101], v[112:113] op_sel:[0,0,1] op_sel_hi:[1,1,0] neg_lo:[0,0,1] neg_hi:[0,0,1]
	v_pk_fma_f32 v[108:109], v[108:109], v[100:101], v[112:113] op_sel:[0,0,1] op_sel_hi:[1,0,0]
	v_mov_b32_e32 v115, v109
	v_pk_mul_f32 v[108:109], v[110:111], v[98:99] op_sel:[0,1]
	s_delay_alu instid0(VALU_DEP_1) | instskip(SKIP_1) | instid1(VALU_DEP_1)
	v_pk_fma_f32 v[112:113], v[110:111], v[100:101], v[108:109] op_sel:[0,0,1] op_sel_hi:[1,1,0] neg_lo:[0,0,1] neg_hi:[0,0,1]
	v_pk_fma_f32 v[108:109], v[110:111], v[100:101], v[108:109] op_sel:[0,0,1] op_sel_hi:[1,0,0]
	v_mov_b32_e32 v113, v109
	ds_load_2addr_b64 v[108:111], v102 offset0:39 offset1:40
	v_pk_add_f32 v[10:11], v[10:11], v[114:115] neg_lo:[0,1] neg_hi:[0,1]
	v_pk_add_f32 v[12:13], v[12:13], v[112:113] neg_lo:[0,1] neg_hi:[0,1]
	s_wait_dscnt 0x0
	v_dual_mul_f32 v112, v109, v99 :: v_dual_mul_f32 v114, v109, v100
	s_delay_alu instid0(VALU_DEP_1) | instskip(NEXT) | instid1(VALU_DEP_2)
	v_pk_fma_f32 v[112:113], v[108:109], v[36:37], v[112:113] op_sel_hi:[1,1,0] neg_lo:[0,0,1] neg_hi:[0,0,1]
	v_pk_fma_f32 v[108:109], v[108:109], v[36:37], v[114:115] op_sel:[1,0,0] op_sel_hi:[0,1,0]
	s_delay_alu instid0(VALU_DEP_1) | instskip(SKIP_1) | instid1(VALU_DEP_2)
	v_mov_b32_e32 v113, v109
	v_pk_mul_f32 v[108:109], v[110:111], v[98:99] op_sel:[0,1]
	v_pk_add_f32 v[8:9], v[8:9], v[112:113] neg_lo:[0,1] neg_hi:[0,1]
	s_delay_alu instid0(VALU_DEP_2) | instskip(SKIP_1) | instid1(VALU_DEP_1)
	v_pk_fma_f32 v[112:113], v[110:111], v[100:101], v[108:109] op_sel:[0,0,1] op_sel_hi:[1,1,0] neg_lo:[0,0,1] neg_hi:[0,0,1]
	v_pk_fma_f32 v[108:109], v[110:111], v[100:101], v[108:109] op_sel:[0,0,1] op_sel_hi:[1,0,0]
	v_mov_b32_e32 v113, v109
	ds_load_2addr_b64 v[108:111], v102 offset0:41 offset1:42
	v_pk_add_f32 v[68:69], v[68:69], v[112:113] neg_lo:[0,1] neg_hi:[0,1]
	s_wait_dscnt 0x0
	v_pk_mul_f32 v[112:113], v[108:109], v[98:99] op_sel:[0,1]
	s_delay_alu instid0(VALU_DEP_1) | instskip(SKIP_1) | instid1(VALU_DEP_1)
	v_pk_fma_f32 v[114:115], v[108:109], v[100:101], v[112:113] op_sel:[0,0,1] op_sel_hi:[1,1,0] neg_lo:[0,0,1] neg_hi:[0,0,1]
	v_pk_fma_f32 v[108:109], v[108:109], v[100:101], v[112:113] op_sel:[0,0,1] op_sel_hi:[1,0,0]
	v_mov_b32_e32 v115, v109
	v_pk_mul_f32 v[108:109], v[110:111], v[98:99] op_sel:[0,1]
	s_delay_alu instid0(VALU_DEP_2) | instskip(NEXT) | instid1(VALU_DEP_2)
	v_pk_add_f32 v[6:7], v[6:7], v[114:115] neg_lo:[0,1] neg_hi:[0,1]
	v_pk_fma_f32 v[112:113], v[110:111], v[100:101], v[108:109] op_sel:[0,0,1] op_sel_hi:[1,1,0] neg_lo:[0,0,1] neg_hi:[0,0,1]
	v_pk_fma_f32 v[108:109], v[110:111], v[100:101], v[108:109] op_sel:[0,0,1] op_sel_hi:[1,0,0]
	s_delay_alu instid0(VALU_DEP_1) | instskip(SKIP_4) | instid1(VALU_DEP_1)
	v_mov_b32_e32 v113, v109
	ds_load_2addr_b64 v[108:111], v102 offset0:43 offset1:44
	v_pk_add_f32 v[54:55], v[54:55], v[112:113] neg_lo:[0,1] neg_hi:[0,1]
	s_wait_dscnt 0x0
	v_pk_mul_f32 v[112:113], v[108:109], v[98:99] op_sel:[0,1]
	v_pk_fma_f32 v[114:115], v[108:109], v[100:101], v[112:113] op_sel:[0,0,1] op_sel_hi:[1,1,0] neg_lo:[0,0,1] neg_hi:[0,0,1]
	v_pk_fma_f32 v[108:109], v[108:109], v[100:101], v[112:113] op_sel:[0,0,1] op_sel_hi:[1,0,0]
	v_dual_mul_f32 v112, v111, v99 :: v_dual_mov_b32 v108, v111
	s_delay_alu instid0(VALU_DEP_2) | instskip(NEXT) | instid1(VALU_DEP_2)
	v_dual_mov_b32 v115, v109 :: v_dual_mov_b32 v109, v110
	v_pk_fma_f32 v[112:113], v[110:111], v[36:37], v[112:113] op_sel_hi:[1,1,0] neg_lo:[0,0,1] neg_hi:[0,0,1]
	v_mul_f32_e32 v110, v111, v100
	s_delay_alu instid0(VALU_DEP_3) | instskip(NEXT) | instid1(VALU_DEP_2)
	v_pk_add_f32 v[40:41], v[40:41], v[114:115] neg_lo:[0,1] neg_hi:[0,1]
	v_pk_fma_f32 v[108:109], v[108:109], v[36:37], v[110:111] op_sel_hi:[1,1,0]
	s_delay_alu instid0(VALU_DEP_1) | instskip(SKIP_4) | instid1(VALU_DEP_1)
	v_mov_b32_e32 v113, v109
	ds_load_b64 v[108:109], v102 offset:360
	v_pk_add_f32 v[14:15], v[14:15], v[112:113] neg_lo:[0,1] neg_hi:[0,1]
	s_wait_dscnt 0x0
	v_pk_mul_f32 v[98:99], v[108:109], v[98:99] op_sel:[0,1]
	v_pk_fma_f32 v[110:111], v[108:109], v[100:101], v[98:99] op_sel:[0,0,1] op_sel_hi:[1,1,0] neg_lo:[0,0,1] neg_hi:[0,0,1]
	v_pk_fma_f32 v[98:99], v[108:109], v[100:101], v[98:99] op_sel:[0,0,1] op_sel_hi:[1,0,0]
	s_delay_alu instid0(VALU_DEP_1) | instskip(NEXT) | instid1(VALU_DEP_1)
	v_mov_b32_e32 v111, v99
	v_pk_add_f32 v[96:97], v[96:97], v[110:111] neg_lo:[0,1] neg_hi:[0,1]
.LBB90_650:
	s_or_b32 exec_lo, exec_lo, s0
	v_lshl_add_u32 v98, v106, 3, v102
	s_barrier_signal -1
	s_barrier_wait -1
	ds_store_b64 v98, v[28:29]
	s_wait_dscnt 0x0
	s_barrier_signal -1
	s_barrier_wait -1
	ds_load_b64 v[98:99], v102 offset:248
	v_mov_b32_e32 v100, 31
	s_cmp_lt_i32 s18, 33
	s_cbranch_scc1 .LBB90_653
; %bb.651:
	v_add3_u32 v101, v103, 0, 0x100
	v_mov_b32_e32 v100, 31
	s_mov_b32 s0, 32
.LBB90_652:                             ; =>This Inner Loop Header: Depth=1
	ds_load_b64 v[108:109], v101
	s_wait_dscnt 0x1
	v_cmp_gt_f32_e32 vcc_lo, 0, v98
	v_cndmask_b32_e64 v110, v98, -v98, vcc_lo
	v_cmp_gt_f32_e32 vcc_lo, 0, v99
	v_cndmask_b32_e64 v112, v99, -v99, vcc_lo
	s_wait_dscnt 0x0
	v_cmp_gt_f32_e32 vcc_lo, 0, v108
	v_cndmask_b32_e64 v111, v108, -v108, vcc_lo
	v_cmp_gt_f32_e32 vcc_lo, 0, v109
	v_cndmask_b32_e64 v113, v109, -v109, vcc_lo
	s_delay_alu instid0(VALU_DEP_1) | instskip(NEXT) | instid1(VALU_DEP_1)
	v_pk_add_f32 v[110:111], v[110:111], v[112:113]
	v_cmp_lt_f32_e32 vcc_lo, v110, v111
	v_dual_cndmask_b32 v98, v98, v108 :: v_dual_add_nc_u32 v101, 8, v101
	v_cndmask_b32_e32 v99, v99, v109, vcc_lo
	v_cndmask_b32_e64 v100, v100, s0, vcc_lo
	s_add_co_i32 s0, s0, 1
	s_delay_alu instid0(SALU_CYCLE_1)
	s_cmp_lg_u32 s18, s0
	s_cbranch_scc1 .LBB90_652
.LBB90_653:
	s_wait_dscnt 0x0
	v_cmp_eq_f32_e32 vcc_lo, 0, v98
	v_cmp_eq_f32_e64 s0, 0, v99
	s_and_b32 s0, vcc_lo, s0
	s_delay_alu instid0(SALU_CYCLE_1) | instskip(NEXT) | instid1(SALU_CYCLE_1)
	s_and_saveexec_b32 s1, s0
	s_xor_b32 s0, exec_lo, s1
; %bb.654:
	v_cmp_ne_u32_e32 vcc_lo, 0, v104
	v_cndmask_b32_e32 v104, 32, v104, vcc_lo
; %bb.655:
	s_and_not1_saveexec_b32 s0, s0
	s_cbranch_execz .LBB90_661
; %bb.656:
	v_cmp_ngt_f32_e64 s1, |v98|, |v99|
	s_and_saveexec_b32 s12, s1
	s_delay_alu instid0(SALU_CYCLE_1)
	s_xor_b32 s1, exec_lo, s12
	s_cbranch_execz .LBB90_658
; %bb.657:
	v_div_scale_f32 v101, null, v99, v99, v98
	v_div_scale_f32 v109, vcc_lo, v98, v99, v98
	s_delay_alu instid0(VALU_DEP_2) | instskip(SKIP_1) | instid1(TRANS32_DEP_1)
	v_rcp_f32_e32 v107, v101
	v_nop
	v_fma_f32 v108, -v101, v107, 1.0
	s_delay_alu instid0(VALU_DEP_1) | instskip(NEXT) | instid1(VALU_DEP_1)
	v_fmac_f32_e32 v107, v108, v107
	v_mul_f32_e32 v108, v109, v107
	s_delay_alu instid0(VALU_DEP_1) | instskip(NEXT) | instid1(VALU_DEP_1)
	v_fma_f32 v110, -v101, v108, v109
	v_fmac_f32_e32 v108, v110, v107
	s_delay_alu instid0(VALU_DEP_1) | instskip(NEXT) | instid1(VALU_DEP_1)
	v_fma_f32 v101, -v101, v108, v109
	v_div_fmas_f32 v101, v101, v107, v108
	s_delay_alu instid0(VALU_DEP_1) | instskip(NEXT) | instid1(VALU_DEP_1)
	v_div_fixup_f32 v101, v101, v99, v98
	v_fmac_f32_e32 v99, v98, v101
	s_delay_alu instid0(VALU_DEP_1) | instskip(SKIP_1) | instid1(VALU_DEP_2)
	v_div_scale_f32 v98, null, v99, v99, 1.0
	v_div_scale_f32 v109, vcc_lo, 1.0, v99, 1.0
	v_rcp_f32_e32 v107, v98
	v_nop
	s_delay_alu instid0(TRANS32_DEP_1) | instskip(NEXT) | instid1(VALU_DEP_1)
	v_fma_f32 v108, -v98, v107, 1.0
	v_fmac_f32_e32 v107, v108, v107
	s_delay_alu instid0(VALU_DEP_1) | instskip(NEXT) | instid1(VALU_DEP_1)
	v_mul_f32_e32 v108, v109, v107
	v_fma_f32 v110, -v98, v108, v109
	s_delay_alu instid0(VALU_DEP_1) | instskip(NEXT) | instid1(VALU_DEP_1)
	v_fmac_f32_e32 v108, v110, v107
	v_fma_f32 v98, -v98, v108, v109
	s_delay_alu instid0(VALU_DEP_1) | instskip(NEXT) | instid1(VALU_DEP_1)
	v_div_fmas_f32 v98, v98, v107, v108
	v_div_fixup_f32 v99, v98, v99, 1.0
	s_delay_alu instid0(VALU_DEP_1)
	v_mul_f32_e32 v98, v101, v99
	v_xor_b32_e32 v99, 0x80000000, v99
.LBB90_658:
	s_and_not1_saveexec_b32 s1, s1
	s_cbranch_execz .LBB90_660
; %bb.659:
	s_delay_alu instid0(VALU_DEP_1) | instskip(SKIP_1) | instid1(VALU_DEP_2)
	v_div_scale_f32 v101, null, v98, v98, v99
	v_div_scale_f32 v109, vcc_lo, v99, v98, v99
	v_rcp_f32_e32 v107, v101
	v_nop
	s_delay_alu instid0(TRANS32_DEP_1) | instskip(NEXT) | instid1(VALU_DEP_1)
	v_fma_f32 v108, -v101, v107, 1.0
	v_fmac_f32_e32 v107, v108, v107
	s_delay_alu instid0(VALU_DEP_1) | instskip(NEXT) | instid1(VALU_DEP_1)
	v_mul_f32_e32 v108, v109, v107
	v_fma_f32 v110, -v101, v108, v109
	s_delay_alu instid0(VALU_DEP_1) | instskip(NEXT) | instid1(VALU_DEP_1)
	v_fmac_f32_e32 v108, v110, v107
	v_fma_f32 v101, -v101, v108, v109
	s_delay_alu instid0(VALU_DEP_1) | instskip(NEXT) | instid1(VALU_DEP_1)
	v_div_fmas_f32 v101, v101, v107, v108
	v_div_fixup_f32 v101, v101, v98, v99
	s_delay_alu instid0(VALU_DEP_1) | instskip(NEXT) | instid1(VALU_DEP_1)
	v_fmac_f32_e32 v98, v99, v101
	v_div_scale_f32 v99, null, v98, v98, 1.0
	s_delay_alu instid0(VALU_DEP_1) | instskip(SKIP_1) | instid1(TRANS32_DEP_1)
	v_rcp_f32_e32 v107, v99
	v_nop
	v_fma_f32 v108, -v99, v107, 1.0
	s_delay_alu instid0(VALU_DEP_1) | instskip(SKIP_1) | instid1(VALU_DEP_1)
	v_fmac_f32_e32 v107, v108, v107
	v_div_scale_f32 v108, vcc_lo, 1.0, v98, 1.0
	v_mul_f32_e32 v109, v108, v107
	s_delay_alu instid0(VALU_DEP_1) | instskip(NEXT) | instid1(VALU_DEP_1)
	v_fma_f32 v110, -v99, v109, v108
	v_fmac_f32_e32 v109, v110, v107
	s_delay_alu instid0(VALU_DEP_1) | instskip(NEXT) | instid1(VALU_DEP_1)
	v_fma_f32 v99, -v99, v109, v108
	v_div_fmas_f32 v99, v99, v107, v109
	s_delay_alu instid0(VALU_DEP_1) | instskip(NEXT) | instid1(VALU_DEP_1)
	v_div_fixup_f32 v98, v99, v98, 1.0
	v_mul_f32_e64 v99, v101, -v98
.LBB90_660:
	s_or_b32 exec_lo, exec_lo, s1
.LBB90_661:
	s_delay_alu instid0(SALU_CYCLE_1) | instskip(NEXT) | instid1(SALU_CYCLE_1)
	s_or_b32 exec_lo, exec_lo, s0
	s_mov_b32 s0, exec_lo
	v_cmpx_ne_u32_e64 v106, v100
	s_xor_b32 s0, exec_lo, s0
	s_cbranch_execz .LBB90_667
; %bb.662:
	s_mov_b32 s1, exec_lo
	v_cmpx_eq_u32_e32 31, v106
	s_cbranch_execz .LBB90_666
; %bb.663:
	v_cmp_ne_u32_e32 vcc_lo, 31, v100
	s_xor_b32 s12, s16, -1
	s_delay_alu instid0(SALU_CYCLE_1) | instskip(NEXT) | instid1(SALU_CYCLE_1)
	s_and_b32 s13, s12, vcc_lo
	s_and_saveexec_b32 s12, s13
	s_cbranch_execz .LBB90_665
; %bb.664:
	v_ashrrev_i32_e32 v101, 31, v100
	s_delay_alu instid0(VALU_DEP_1)
	v_lshl_add_u64 v[106:107], v[100:101], 2, v[4:5]
	s_clause 0x1
	global_load_b32 v101, v[106:107], off
	global_load_b32 v105, v[4:5], off offset:124
	s_wait_loadcnt 0x1
	global_store_b32 v[4:5], v101, off offset:124
	s_wait_loadcnt 0x0
	global_store_b32 v[106:107], v105, off
.LBB90_665:
	s_wait_xcnt 0x0
	s_or_b32 exec_lo, exec_lo, s12
	v_dual_mov_b32 v106, v100 :: v_dual_mov_b32 v105, v100
.LBB90_666:
	s_or_b32 exec_lo, exec_lo, s1
.LBB90_667:
	s_and_not1_saveexec_b32 s0, s0
	s_cbranch_execz .LBB90_669
; %bb.668:
	v_dual_mov_b32 v100, v72 :: v_dual_mov_b32 v101, v73
	v_dual_mov_b32 v106, v18 :: v_dual_mov_b32 v107, v19
	;; [unrolled: 1-line block ×4, first 2 shown]
	ds_store_2addr_b64 v102, v[100:101], v[106:107] offset0:32 offset1:33
	ds_store_2addr_b64 v102, v[108:109], v[110:111] offset0:34 offset1:35
	v_dual_mov_b32 v100, v70 :: v_dual_mov_b32 v101, v71
	v_dual_mov_b32 v108, v10 :: v_dual_mov_b32 v109, v11
	;; [unrolled: 1-line block ×9, first 2 shown]
	v_mov_b32_e32 v123, v15
	ds_store_2addr_b64 v102, v[100:101], v[108:109] offset0:36 offset1:37
	ds_store_2addr_b64 v102, v[110:111], v[112:113] offset0:38 offset1:39
	;; [unrolled: 1-line block ×5, first 2 shown]
.LBB90_669:
	s_or_b32 exec_lo, exec_lo, s0
	s_delay_alu instid0(SALU_CYCLE_1)
	s_mov_b32 s0, exec_lo
	s_wait_storecnt_dscnt 0x0
	s_barrier_signal -1
	s_barrier_wait -1
	v_cmpx_lt_i32_e32 31, v106
	s_cbranch_execz .LBB90_671
; %bb.670:
	v_pk_mul_f32 v[100:101], v[98:99], v[28:29] op_sel:[1,1] op_sel_hi:[0,1]
	s_delay_alu instid0(VALU_DEP_1)
	v_pk_fma_f32 v[108:109], v[98:99], v[28:29], v[100:101] op_sel_hi:[1,0,1] neg_lo:[0,0,1] neg_hi:[0,0,1]
	v_pk_fma_f32 v[110:111], v[98:99], v[28:29], v[100:101] op_sel_hi:[1,0,1]
	ds_load_2addr_b64 v[98:101], v102 offset0:32 offset1:33
	v_dual_mov_b32 v28, v108 :: v_dual_mov_b32 v29, v111
	s_wait_dscnt 0x0
	v_pk_mul_f32 v[112:113], v[98:99], v[110:111] op_sel:[0,1]
	s_delay_alu instid0(VALU_DEP_1) | instskip(SKIP_1) | instid1(VALU_DEP_1)
	v_pk_fma_f32 v[114:115], v[98:99], v[108:109], v[112:113] op_sel:[0,0,1] op_sel_hi:[1,1,0] neg_lo:[0,0,1] neg_hi:[0,0,1]
	v_pk_fma_f32 v[98:99], v[98:99], v[108:109], v[112:113] op_sel:[0,0,1] op_sel_hi:[1,0,0]
	v_mov_b32_e32 v115, v99
	v_pk_mul_f32 v[98:99], v[100:101], v[110:111] op_sel:[0,1]
	s_delay_alu instid0(VALU_DEP_1) | instskip(SKIP_1) | instid1(VALU_DEP_1)
	v_pk_fma_f32 v[112:113], v[100:101], v[108:109], v[98:99] op_sel:[0,0,1] op_sel_hi:[1,1,0] neg_lo:[0,0,1] neg_hi:[0,0,1]
	v_pk_fma_f32 v[98:99], v[100:101], v[108:109], v[98:99] op_sel:[0,0,1] op_sel_hi:[1,0,0]
	v_mov_b32_e32 v113, v99
	ds_load_2addr_b64 v[98:101], v102 offset0:34 offset1:35
	v_pk_add_f32 v[72:73], v[72:73], v[114:115] neg_lo:[0,1] neg_hi:[0,1]
	v_pk_add_f32 v[18:19], v[18:19], v[112:113] neg_lo:[0,1] neg_hi:[0,1]
	s_wait_dscnt 0x0
	v_pk_mul_f32 v[112:113], v[98:99], v[110:111] op_sel:[0,1]
	s_delay_alu instid0(VALU_DEP_1) | instskip(SKIP_2) | instid1(VALU_DEP_2)
	v_pk_fma_f32 v[114:115], v[98:99], v[108:109], v[112:113] op_sel:[0,0,1] op_sel_hi:[1,1,0] neg_lo:[0,0,1] neg_hi:[0,0,1]
	v_pk_fma_f32 v[98:99], v[98:99], v[108:109], v[112:113] op_sel:[0,0,1] op_sel_hi:[1,0,0]
	v_dual_mul_f32 v112, v101, v111 :: v_dual_mov_b32 v98, v101
	v_dual_mov_b32 v115, v99 :: v_dual_mov_b32 v99, v100
	s_delay_alu instid0(VALU_DEP_2) | instskip(SKIP_1) | instid1(VALU_DEP_3)
	v_pk_fma_f32 v[112:113], v[100:101], v[28:29], v[112:113] op_sel_hi:[1,1,0] neg_lo:[0,0,1] neg_hi:[0,0,1]
	v_mul_f32_e32 v100, v101, v108
	v_pk_add_f32 v[24:25], v[24:25], v[114:115] neg_lo:[0,1] neg_hi:[0,1]
	s_delay_alu instid0(VALU_DEP_2) | instskip(NEXT) | instid1(VALU_DEP_1)
	v_pk_fma_f32 v[98:99], v[98:99], v[28:29], v[100:101] op_sel_hi:[1,1,0]
	v_mov_b32_e32 v113, v99
	ds_load_2addr_b64 v[98:101], v102 offset0:36 offset1:37
	v_pk_add_f32 v[16:17], v[16:17], v[112:113] neg_lo:[0,1] neg_hi:[0,1]
	s_wait_dscnt 0x0
	v_pk_mul_f32 v[112:113], v[98:99], v[110:111] op_sel:[0,1]
	s_delay_alu instid0(VALU_DEP_1) | instskip(SKIP_1) | instid1(VALU_DEP_1)
	v_pk_fma_f32 v[114:115], v[98:99], v[108:109], v[112:113] op_sel:[0,0,1] op_sel_hi:[1,1,0] neg_lo:[0,0,1] neg_hi:[0,0,1]
	v_pk_fma_f32 v[98:99], v[98:99], v[108:109], v[112:113] op_sel:[0,0,1] op_sel_hi:[1,0,0]
	v_mov_b32_e32 v115, v99
	v_pk_mul_f32 v[98:99], v[100:101], v[110:111] op_sel:[0,1]
	s_delay_alu instid0(VALU_DEP_1) | instskip(SKIP_1) | instid1(VALU_DEP_1)
	v_pk_fma_f32 v[112:113], v[100:101], v[108:109], v[98:99] op_sel:[0,0,1] op_sel_hi:[1,1,0] neg_lo:[0,0,1] neg_hi:[0,0,1]
	v_pk_fma_f32 v[98:99], v[100:101], v[108:109], v[98:99] op_sel:[0,0,1] op_sel_hi:[1,0,0]
	v_mov_b32_e32 v113, v99
	ds_load_2addr_b64 v[98:101], v102 offset0:38 offset1:39
	v_pk_add_f32 v[70:71], v[70:71], v[114:115] neg_lo:[0,1] neg_hi:[0,1]
	v_pk_add_f32 v[10:11], v[10:11], v[112:113] neg_lo:[0,1] neg_hi:[0,1]
	s_wait_dscnt 0x0
	v_pk_mul_f32 v[112:113], v[98:99], v[110:111] op_sel:[0,1]
	s_delay_alu instid0(VALU_DEP_1) | instskip(SKIP_1) | instid1(VALU_DEP_1)
	v_pk_fma_f32 v[114:115], v[98:99], v[108:109], v[112:113] op_sel:[0,0,1] op_sel_hi:[1,1,0] neg_lo:[0,0,1] neg_hi:[0,0,1]
	v_pk_fma_f32 v[98:99], v[98:99], v[108:109], v[112:113] op_sel:[0,0,1] op_sel_hi:[1,0,0]
	v_mov_b32_e32 v115, v99
	v_pk_mul_f32 v[98:99], v[100:101], v[110:111] op_sel:[0,1]
	s_delay_alu instid0(VALU_DEP_1) | instskip(SKIP_1) | instid1(VALU_DEP_1)
	v_pk_fma_f32 v[112:113], v[100:101], v[108:109], v[98:99] op_sel:[0,0,1] op_sel_hi:[1,1,0] neg_lo:[0,0,1] neg_hi:[0,0,1]
	v_pk_fma_f32 v[98:99], v[100:101], v[108:109], v[98:99] op_sel:[0,0,1] op_sel_hi:[1,0,0]
	v_mov_b32_e32 v113, v99
	ds_load_2addr_b64 v[98:101], v102 offset0:40 offset1:41
	v_pk_add_f32 v[12:13], v[12:13], v[114:115] neg_lo:[0,1] neg_hi:[0,1]
	v_pk_add_f32 v[8:9], v[8:9], v[112:113] neg_lo:[0,1] neg_hi:[0,1]
	s_wait_dscnt 0x0
	v_dual_mul_f32 v112, v99, v111 :: v_dual_mul_f32 v114, v99, v108
	s_delay_alu instid0(VALU_DEP_1) | instskip(NEXT) | instid1(VALU_DEP_2)
	v_pk_fma_f32 v[112:113], v[98:99], v[28:29], v[112:113] op_sel_hi:[1,1,0] neg_lo:[0,0,1] neg_hi:[0,0,1]
	v_pk_fma_f32 v[98:99], v[98:99], v[28:29], v[114:115] op_sel:[1,0,0] op_sel_hi:[0,1,0]
	s_delay_alu instid0(VALU_DEP_1) | instskip(SKIP_1) | instid1(VALU_DEP_2)
	v_mov_b32_e32 v113, v99
	v_pk_mul_f32 v[98:99], v[100:101], v[110:111] op_sel:[0,1]
	v_pk_add_f32 v[68:69], v[68:69], v[112:113] neg_lo:[0,1] neg_hi:[0,1]
	s_delay_alu instid0(VALU_DEP_2) | instskip(SKIP_1) | instid1(VALU_DEP_1)
	v_pk_fma_f32 v[112:113], v[100:101], v[108:109], v[98:99] op_sel:[0,0,1] op_sel_hi:[1,1,0] neg_lo:[0,0,1] neg_hi:[0,0,1]
	v_pk_fma_f32 v[98:99], v[100:101], v[108:109], v[98:99] op_sel:[0,0,1] op_sel_hi:[1,0,0]
	v_mov_b32_e32 v113, v99
	ds_load_2addr_b64 v[98:101], v102 offset0:42 offset1:43
	v_pk_add_f32 v[6:7], v[6:7], v[112:113] neg_lo:[0,1] neg_hi:[0,1]
	s_wait_dscnt 0x0
	v_pk_mul_f32 v[112:113], v[98:99], v[110:111] op_sel:[0,1]
	s_delay_alu instid0(VALU_DEP_1) | instskip(SKIP_1) | instid1(VALU_DEP_1)
	v_pk_fma_f32 v[114:115], v[98:99], v[108:109], v[112:113] op_sel:[0,0,1] op_sel_hi:[1,1,0] neg_lo:[0,0,1] neg_hi:[0,0,1]
	v_pk_fma_f32 v[98:99], v[98:99], v[108:109], v[112:113] op_sel:[0,0,1] op_sel_hi:[1,0,0]
	v_mov_b32_e32 v115, v99
	v_pk_mul_f32 v[98:99], v[100:101], v[110:111] op_sel:[0,1]
	s_delay_alu instid0(VALU_DEP_2) | instskip(NEXT) | instid1(VALU_DEP_2)
	v_pk_add_f32 v[54:55], v[54:55], v[114:115] neg_lo:[0,1] neg_hi:[0,1]
	v_pk_fma_f32 v[112:113], v[100:101], v[108:109], v[98:99] op_sel:[0,0,1] op_sel_hi:[1,1,0] neg_lo:[0,0,1] neg_hi:[0,0,1]
	v_pk_fma_f32 v[98:99], v[100:101], v[108:109], v[98:99] op_sel:[0,0,1] op_sel_hi:[1,0,0]
	s_delay_alu instid0(VALU_DEP_1) | instskip(SKIP_4) | instid1(VALU_DEP_1)
	v_mov_b32_e32 v113, v99
	ds_load_2addr_b64 v[98:101], v102 offset0:44 offset1:45
	v_pk_add_f32 v[40:41], v[40:41], v[112:113] neg_lo:[0,1] neg_hi:[0,1]
	s_wait_dscnt 0x0
	v_pk_mul_f32 v[112:113], v[98:99], v[110:111] op_sel:[0,1]
	v_pk_fma_f32 v[114:115], v[98:99], v[108:109], v[112:113] op_sel:[0,0,1] op_sel_hi:[1,1,0] neg_lo:[0,0,1] neg_hi:[0,0,1]
	v_pk_fma_f32 v[98:99], v[98:99], v[108:109], v[112:113] op_sel:[0,0,1] op_sel_hi:[1,0,0]
	s_delay_alu instid0(VALU_DEP_1) | instskip(SKIP_1) | instid1(VALU_DEP_2)
	v_mov_b32_e32 v115, v99
	v_pk_mul_f32 v[98:99], v[100:101], v[110:111] op_sel:[0,1]
	v_pk_add_f32 v[14:15], v[14:15], v[114:115] neg_lo:[0,1] neg_hi:[0,1]
	s_delay_alu instid0(VALU_DEP_2) | instskip(SKIP_1) | instid1(VALU_DEP_1)
	v_pk_fma_f32 v[110:111], v[100:101], v[108:109], v[98:99] op_sel:[0,0,1] op_sel_hi:[1,1,0] neg_lo:[0,0,1] neg_hi:[0,0,1]
	v_pk_fma_f32 v[98:99], v[100:101], v[108:109], v[98:99] op_sel:[0,0,1] op_sel_hi:[1,0,0]
	v_mov_b32_e32 v111, v99
	s_delay_alu instid0(VALU_DEP_1)
	v_pk_add_f32 v[96:97], v[96:97], v[110:111] neg_lo:[0,1] neg_hi:[0,1]
.LBB90_671:
	s_or_b32 exec_lo, exec_lo, s0
	v_lshl_add_u32 v98, v106, 3, v102
	s_barrier_signal -1
	s_barrier_wait -1
	ds_store_b64 v98, v[72:73]
	s_wait_dscnt 0x0
	s_barrier_signal -1
	s_barrier_wait -1
	ds_load_b64 v[98:99], v102 offset:256
	v_mov_b32_e32 v100, 32
	s_cmp_lt_i32 s18, 34
	s_cbranch_scc1 .LBB90_674
; %bb.672:
	v_add3_u32 v101, v103, 0, 0x108
	v_mov_b32_e32 v100, 32
	s_mov_b32 s0, 33
.LBB90_673:                             ; =>This Inner Loop Header: Depth=1
	ds_load_b64 v[108:109], v101
	s_wait_dscnt 0x1
	v_cmp_gt_f32_e32 vcc_lo, 0, v98
	v_cndmask_b32_e64 v110, v98, -v98, vcc_lo
	v_cmp_gt_f32_e32 vcc_lo, 0, v99
	v_cndmask_b32_e64 v112, v99, -v99, vcc_lo
	s_wait_dscnt 0x0
	v_cmp_gt_f32_e32 vcc_lo, 0, v108
	v_cndmask_b32_e64 v111, v108, -v108, vcc_lo
	v_cmp_gt_f32_e32 vcc_lo, 0, v109
	v_cndmask_b32_e64 v113, v109, -v109, vcc_lo
	s_delay_alu instid0(VALU_DEP_1) | instskip(NEXT) | instid1(VALU_DEP_1)
	v_pk_add_f32 v[110:111], v[110:111], v[112:113]
	v_cmp_lt_f32_e32 vcc_lo, v110, v111
	v_dual_cndmask_b32 v98, v98, v108 :: v_dual_add_nc_u32 v101, 8, v101
	v_cndmask_b32_e32 v99, v99, v109, vcc_lo
	v_cndmask_b32_e64 v100, v100, s0, vcc_lo
	s_add_co_i32 s0, s0, 1
	s_delay_alu instid0(SALU_CYCLE_1)
	s_cmp_lg_u32 s18, s0
	s_cbranch_scc1 .LBB90_673
.LBB90_674:
	s_wait_dscnt 0x0
	v_cmp_eq_f32_e32 vcc_lo, 0, v98
	v_cmp_eq_f32_e64 s0, 0, v99
	s_and_b32 s0, vcc_lo, s0
	s_delay_alu instid0(SALU_CYCLE_1) | instskip(NEXT) | instid1(SALU_CYCLE_1)
	s_and_saveexec_b32 s1, s0
	s_xor_b32 s0, exec_lo, s1
; %bb.675:
	v_cmp_ne_u32_e32 vcc_lo, 0, v104
	v_cndmask_b32_e32 v104, 33, v104, vcc_lo
; %bb.676:
	s_and_not1_saveexec_b32 s0, s0
	s_cbranch_execz .LBB90_682
; %bb.677:
	v_cmp_ngt_f32_e64 s1, |v98|, |v99|
	s_and_saveexec_b32 s12, s1
	s_delay_alu instid0(SALU_CYCLE_1)
	s_xor_b32 s1, exec_lo, s12
	s_cbranch_execz .LBB90_679
; %bb.678:
	v_div_scale_f32 v101, null, v99, v99, v98
	v_div_scale_f32 v109, vcc_lo, v98, v99, v98
	s_delay_alu instid0(VALU_DEP_2) | instskip(SKIP_1) | instid1(TRANS32_DEP_1)
	v_rcp_f32_e32 v107, v101
	v_nop
	v_fma_f32 v108, -v101, v107, 1.0
	s_delay_alu instid0(VALU_DEP_1) | instskip(NEXT) | instid1(VALU_DEP_1)
	v_fmac_f32_e32 v107, v108, v107
	v_mul_f32_e32 v108, v109, v107
	s_delay_alu instid0(VALU_DEP_1) | instskip(NEXT) | instid1(VALU_DEP_1)
	v_fma_f32 v110, -v101, v108, v109
	v_fmac_f32_e32 v108, v110, v107
	s_delay_alu instid0(VALU_DEP_1) | instskip(NEXT) | instid1(VALU_DEP_1)
	v_fma_f32 v101, -v101, v108, v109
	v_div_fmas_f32 v101, v101, v107, v108
	s_delay_alu instid0(VALU_DEP_1) | instskip(NEXT) | instid1(VALU_DEP_1)
	v_div_fixup_f32 v101, v101, v99, v98
	v_fmac_f32_e32 v99, v98, v101
	s_delay_alu instid0(VALU_DEP_1) | instskip(SKIP_1) | instid1(VALU_DEP_2)
	v_div_scale_f32 v98, null, v99, v99, 1.0
	v_div_scale_f32 v109, vcc_lo, 1.0, v99, 1.0
	v_rcp_f32_e32 v107, v98
	v_nop
	s_delay_alu instid0(TRANS32_DEP_1) | instskip(NEXT) | instid1(VALU_DEP_1)
	v_fma_f32 v108, -v98, v107, 1.0
	v_fmac_f32_e32 v107, v108, v107
	s_delay_alu instid0(VALU_DEP_1) | instskip(NEXT) | instid1(VALU_DEP_1)
	v_mul_f32_e32 v108, v109, v107
	v_fma_f32 v110, -v98, v108, v109
	s_delay_alu instid0(VALU_DEP_1) | instskip(NEXT) | instid1(VALU_DEP_1)
	v_fmac_f32_e32 v108, v110, v107
	v_fma_f32 v98, -v98, v108, v109
	s_delay_alu instid0(VALU_DEP_1) | instskip(NEXT) | instid1(VALU_DEP_1)
	v_div_fmas_f32 v98, v98, v107, v108
	v_div_fixup_f32 v99, v98, v99, 1.0
	s_delay_alu instid0(VALU_DEP_1)
	v_mul_f32_e32 v98, v101, v99
	v_xor_b32_e32 v99, 0x80000000, v99
.LBB90_679:
	s_and_not1_saveexec_b32 s1, s1
	s_cbranch_execz .LBB90_681
; %bb.680:
	s_delay_alu instid0(VALU_DEP_1) | instskip(SKIP_1) | instid1(VALU_DEP_2)
	v_div_scale_f32 v101, null, v98, v98, v99
	v_div_scale_f32 v109, vcc_lo, v99, v98, v99
	v_rcp_f32_e32 v107, v101
	v_nop
	s_delay_alu instid0(TRANS32_DEP_1) | instskip(NEXT) | instid1(VALU_DEP_1)
	v_fma_f32 v108, -v101, v107, 1.0
	v_fmac_f32_e32 v107, v108, v107
	s_delay_alu instid0(VALU_DEP_1) | instskip(NEXT) | instid1(VALU_DEP_1)
	v_mul_f32_e32 v108, v109, v107
	v_fma_f32 v110, -v101, v108, v109
	s_delay_alu instid0(VALU_DEP_1) | instskip(NEXT) | instid1(VALU_DEP_1)
	v_fmac_f32_e32 v108, v110, v107
	v_fma_f32 v101, -v101, v108, v109
	s_delay_alu instid0(VALU_DEP_1) | instskip(NEXT) | instid1(VALU_DEP_1)
	v_div_fmas_f32 v101, v101, v107, v108
	v_div_fixup_f32 v101, v101, v98, v99
	s_delay_alu instid0(VALU_DEP_1) | instskip(NEXT) | instid1(VALU_DEP_1)
	v_fmac_f32_e32 v98, v99, v101
	v_div_scale_f32 v99, null, v98, v98, 1.0
	s_delay_alu instid0(VALU_DEP_1) | instskip(SKIP_1) | instid1(TRANS32_DEP_1)
	v_rcp_f32_e32 v107, v99
	v_nop
	v_fma_f32 v108, -v99, v107, 1.0
	s_delay_alu instid0(VALU_DEP_1) | instskip(SKIP_1) | instid1(VALU_DEP_1)
	v_fmac_f32_e32 v107, v108, v107
	v_div_scale_f32 v108, vcc_lo, 1.0, v98, 1.0
	v_mul_f32_e32 v109, v108, v107
	s_delay_alu instid0(VALU_DEP_1) | instskip(NEXT) | instid1(VALU_DEP_1)
	v_fma_f32 v110, -v99, v109, v108
	v_fmac_f32_e32 v109, v110, v107
	s_delay_alu instid0(VALU_DEP_1) | instskip(NEXT) | instid1(VALU_DEP_1)
	v_fma_f32 v99, -v99, v109, v108
	v_div_fmas_f32 v99, v99, v107, v109
	s_delay_alu instid0(VALU_DEP_1) | instskip(NEXT) | instid1(VALU_DEP_1)
	v_div_fixup_f32 v98, v99, v98, 1.0
	v_mul_f32_e64 v99, v101, -v98
.LBB90_681:
	s_or_b32 exec_lo, exec_lo, s1
.LBB90_682:
	s_delay_alu instid0(SALU_CYCLE_1) | instskip(NEXT) | instid1(SALU_CYCLE_1)
	s_or_b32 exec_lo, exec_lo, s0
	s_mov_b32 s0, exec_lo
	v_cmpx_ne_u32_e64 v106, v100
	s_xor_b32 s0, exec_lo, s0
	s_cbranch_execz .LBB90_688
; %bb.683:
	s_mov_b32 s1, exec_lo
	v_cmpx_eq_u32_e32 32, v106
	s_cbranch_execz .LBB90_687
; %bb.684:
	v_cmp_ne_u32_e32 vcc_lo, 32, v100
	s_xor_b32 s12, s16, -1
	s_delay_alu instid0(SALU_CYCLE_1) | instskip(NEXT) | instid1(SALU_CYCLE_1)
	s_and_b32 s13, s12, vcc_lo
	s_and_saveexec_b32 s12, s13
	s_cbranch_execz .LBB90_686
; %bb.685:
	v_ashrrev_i32_e32 v101, 31, v100
	s_delay_alu instid0(VALU_DEP_1)
	v_lshl_add_u64 v[106:107], v[100:101], 2, v[4:5]
	s_clause 0x1
	global_load_b32 v101, v[106:107], off
	global_load_b32 v105, v[4:5], off offset:128
	s_wait_loadcnt 0x1
	global_store_b32 v[4:5], v101, off offset:128
	s_wait_loadcnt 0x0
	global_store_b32 v[106:107], v105, off
.LBB90_686:
	s_wait_xcnt 0x0
	s_or_b32 exec_lo, exec_lo, s12
	v_dual_mov_b32 v106, v100 :: v_dual_mov_b32 v105, v100
.LBB90_687:
	s_or_b32 exec_lo, exec_lo, s1
.LBB90_688:
	s_and_not1_saveexec_b32 s0, s0
	s_cbranch_execz .LBB90_690
; %bb.689:
	v_mov_b32_e32 v106, 32
	ds_store_2addr_b64 v102, v[18:19], v[24:25] offset0:33 offset1:34
	ds_store_2addr_b64 v102, v[16:17], v[70:71] offset0:35 offset1:36
	;; [unrolled: 1-line block ×6, first 2 shown]
	ds_store_b64 v102, v[96:97] offset:360
.LBB90_690:
	s_or_b32 exec_lo, exec_lo, s0
	s_delay_alu instid0(SALU_CYCLE_1)
	s_mov_b32 s0, exec_lo
	s_wait_storecnt_dscnt 0x0
	s_barrier_signal -1
	s_barrier_wait -1
	v_cmpx_lt_i32_e32 32, v106
	s_cbranch_execz .LBB90_692
; %bb.691:
	v_pk_mul_f32 v[100:101], v[98:99], v[72:73] op_sel:[1,1] op_sel_hi:[0,1]
	s_delay_alu instid0(VALU_DEP_1)
	v_pk_fma_f32 v[108:109], v[98:99], v[72:73], v[100:101] op_sel_hi:[1,0,1] neg_lo:[0,0,1] neg_hi:[0,0,1]
	v_pk_fma_f32 v[110:111], v[98:99], v[72:73], v[100:101] op_sel_hi:[1,0,1]
	ds_load_2addr_b64 v[98:101], v102 offset0:33 offset1:34
	v_dual_mov_b32 v72, v108 :: v_dual_mov_b32 v73, v111
	s_wait_dscnt 0x0
	v_pk_mul_f32 v[112:113], v[98:99], v[110:111] op_sel:[0,1]
	s_delay_alu instid0(VALU_DEP_1) | instskip(SKIP_1) | instid1(VALU_DEP_1)
	v_pk_fma_f32 v[114:115], v[98:99], v[108:109], v[112:113] op_sel:[0,0,1] op_sel_hi:[1,1,0] neg_lo:[0,0,1] neg_hi:[0,0,1]
	v_pk_fma_f32 v[98:99], v[98:99], v[108:109], v[112:113] op_sel:[0,0,1] op_sel_hi:[1,0,0]
	v_mov_b32_e32 v115, v99
	v_pk_mul_f32 v[98:99], v[100:101], v[110:111] op_sel:[0,1]
	s_delay_alu instid0(VALU_DEP_1) | instskip(SKIP_1) | instid1(VALU_DEP_1)
	v_pk_fma_f32 v[112:113], v[100:101], v[108:109], v[98:99] op_sel:[0,0,1] op_sel_hi:[1,1,0] neg_lo:[0,0,1] neg_hi:[0,0,1]
	v_pk_fma_f32 v[98:99], v[100:101], v[108:109], v[98:99] op_sel:[0,0,1] op_sel_hi:[1,0,0]
	v_mov_b32_e32 v113, v99
	ds_load_2addr_b64 v[98:101], v102 offset0:35 offset1:36
	v_pk_add_f32 v[18:19], v[18:19], v[114:115] neg_lo:[0,1] neg_hi:[0,1]
	v_pk_add_f32 v[24:25], v[24:25], v[112:113] neg_lo:[0,1] neg_hi:[0,1]
	s_wait_dscnt 0x0
	v_pk_mul_f32 v[112:113], v[98:99], v[110:111] op_sel:[0,1]
	s_delay_alu instid0(VALU_DEP_1) | instskip(SKIP_2) | instid1(VALU_DEP_2)
	v_pk_fma_f32 v[114:115], v[98:99], v[108:109], v[112:113] op_sel:[0,0,1] op_sel_hi:[1,1,0] neg_lo:[0,0,1] neg_hi:[0,0,1]
	v_pk_fma_f32 v[98:99], v[98:99], v[108:109], v[112:113] op_sel:[0,0,1] op_sel_hi:[1,0,0]
	v_dual_mul_f32 v112, v101, v111 :: v_dual_mov_b32 v98, v101
	v_dual_mov_b32 v115, v99 :: v_dual_mov_b32 v99, v100
	s_delay_alu instid0(VALU_DEP_2) | instskip(SKIP_1) | instid1(VALU_DEP_3)
	v_pk_fma_f32 v[112:113], v[100:101], v[72:73], v[112:113] op_sel_hi:[1,1,0] neg_lo:[0,0,1] neg_hi:[0,0,1]
	v_mul_f32_e32 v100, v101, v108
	v_pk_add_f32 v[16:17], v[16:17], v[114:115] neg_lo:[0,1] neg_hi:[0,1]
	s_delay_alu instid0(VALU_DEP_2) | instskip(NEXT) | instid1(VALU_DEP_1)
	v_pk_fma_f32 v[98:99], v[98:99], v[72:73], v[100:101] op_sel_hi:[1,1,0]
	v_mov_b32_e32 v113, v99
	ds_load_2addr_b64 v[98:101], v102 offset0:37 offset1:38
	v_pk_add_f32 v[70:71], v[70:71], v[112:113] neg_lo:[0,1] neg_hi:[0,1]
	s_wait_dscnt 0x0
	v_pk_mul_f32 v[112:113], v[98:99], v[110:111] op_sel:[0,1]
	s_delay_alu instid0(VALU_DEP_1) | instskip(SKIP_1) | instid1(VALU_DEP_1)
	v_pk_fma_f32 v[114:115], v[98:99], v[108:109], v[112:113] op_sel:[0,0,1] op_sel_hi:[1,1,0] neg_lo:[0,0,1] neg_hi:[0,0,1]
	v_pk_fma_f32 v[98:99], v[98:99], v[108:109], v[112:113] op_sel:[0,0,1] op_sel_hi:[1,0,0]
	v_mov_b32_e32 v115, v99
	v_pk_mul_f32 v[98:99], v[100:101], v[110:111] op_sel:[0,1]
	s_delay_alu instid0(VALU_DEP_1) | instskip(SKIP_1) | instid1(VALU_DEP_1)
	v_pk_fma_f32 v[112:113], v[100:101], v[108:109], v[98:99] op_sel:[0,0,1] op_sel_hi:[1,1,0] neg_lo:[0,0,1] neg_hi:[0,0,1]
	v_pk_fma_f32 v[98:99], v[100:101], v[108:109], v[98:99] op_sel:[0,0,1] op_sel_hi:[1,0,0]
	v_mov_b32_e32 v113, v99
	ds_load_2addr_b64 v[98:101], v102 offset0:39 offset1:40
	v_pk_add_f32 v[10:11], v[10:11], v[114:115] neg_lo:[0,1] neg_hi:[0,1]
	v_pk_add_f32 v[12:13], v[12:13], v[112:113] neg_lo:[0,1] neg_hi:[0,1]
	s_wait_dscnt 0x0
	v_pk_mul_f32 v[112:113], v[98:99], v[110:111] op_sel:[0,1]
	s_delay_alu instid0(VALU_DEP_1) | instskip(SKIP_1) | instid1(VALU_DEP_1)
	v_pk_fma_f32 v[114:115], v[98:99], v[108:109], v[112:113] op_sel:[0,0,1] op_sel_hi:[1,1,0] neg_lo:[0,0,1] neg_hi:[0,0,1]
	v_pk_fma_f32 v[98:99], v[98:99], v[108:109], v[112:113] op_sel:[0,0,1] op_sel_hi:[1,0,0]
	v_mov_b32_e32 v115, v99
	v_pk_mul_f32 v[98:99], v[100:101], v[110:111] op_sel:[0,1]
	s_delay_alu instid0(VALU_DEP_1) | instskip(SKIP_1) | instid1(VALU_DEP_1)
	v_pk_fma_f32 v[112:113], v[100:101], v[108:109], v[98:99] op_sel:[0,0,1] op_sel_hi:[1,1,0] neg_lo:[0,0,1] neg_hi:[0,0,1]
	v_pk_fma_f32 v[98:99], v[100:101], v[108:109], v[98:99] op_sel:[0,0,1] op_sel_hi:[1,0,0]
	v_mov_b32_e32 v113, v99
	ds_load_2addr_b64 v[98:101], v102 offset0:41 offset1:42
	v_pk_add_f32 v[8:9], v[8:9], v[114:115] neg_lo:[0,1] neg_hi:[0,1]
	v_pk_add_f32 v[68:69], v[68:69], v[112:113] neg_lo:[0,1] neg_hi:[0,1]
	s_wait_dscnt 0x0
	v_dual_mul_f32 v112, v99, v111 :: v_dual_mul_f32 v114, v99, v108
	s_delay_alu instid0(VALU_DEP_1) | instskip(NEXT) | instid1(VALU_DEP_2)
	v_pk_fma_f32 v[112:113], v[98:99], v[72:73], v[112:113] op_sel_hi:[1,1,0] neg_lo:[0,0,1] neg_hi:[0,0,1]
	v_pk_fma_f32 v[98:99], v[98:99], v[72:73], v[114:115] op_sel:[1,0,0] op_sel_hi:[0,1,0]
	s_delay_alu instid0(VALU_DEP_1) | instskip(SKIP_1) | instid1(VALU_DEP_2)
	v_mov_b32_e32 v113, v99
	v_pk_mul_f32 v[98:99], v[100:101], v[110:111] op_sel:[0,1]
	v_pk_add_f32 v[6:7], v[6:7], v[112:113] neg_lo:[0,1] neg_hi:[0,1]
	s_delay_alu instid0(VALU_DEP_2) | instskip(SKIP_1) | instid1(VALU_DEP_1)
	v_pk_fma_f32 v[112:113], v[100:101], v[108:109], v[98:99] op_sel:[0,0,1] op_sel_hi:[1,1,0] neg_lo:[0,0,1] neg_hi:[0,0,1]
	v_pk_fma_f32 v[98:99], v[100:101], v[108:109], v[98:99] op_sel:[0,0,1] op_sel_hi:[1,0,0]
	v_mov_b32_e32 v113, v99
	ds_load_2addr_b64 v[98:101], v102 offset0:43 offset1:44
	v_pk_add_f32 v[54:55], v[54:55], v[112:113] neg_lo:[0,1] neg_hi:[0,1]
	s_wait_dscnt 0x0
	v_pk_mul_f32 v[112:113], v[98:99], v[110:111] op_sel:[0,1]
	s_delay_alu instid0(VALU_DEP_1) | instskip(SKIP_1) | instid1(VALU_DEP_1)
	v_pk_fma_f32 v[114:115], v[98:99], v[108:109], v[112:113] op_sel:[0,0,1] op_sel_hi:[1,1,0] neg_lo:[0,0,1] neg_hi:[0,0,1]
	v_pk_fma_f32 v[98:99], v[98:99], v[108:109], v[112:113] op_sel:[0,0,1] op_sel_hi:[1,0,0]
	v_mov_b32_e32 v115, v99
	v_pk_mul_f32 v[98:99], v[100:101], v[110:111] op_sel:[0,1]
	s_delay_alu instid0(VALU_DEP_2) | instskip(NEXT) | instid1(VALU_DEP_2)
	v_pk_add_f32 v[40:41], v[40:41], v[114:115] neg_lo:[0,1] neg_hi:[0,1]
	v_pk_fma_f32 v[112:113], v[100:101], v[108:109], v[98:99] op_sel:[0,0,1] op_sel_hi:[1,1,0] neg_lo:[0,0,1] neg_hi:[0,0,1]
	v_pk_fma_f32 v[98:99], v[100:101], v[108:109], v[98:99] op_sel:[0,0,1] op_sel_hi:[1,0,0]
	s_delay_alu instid0(VALU_DEP_1) | instskip(SKIP_4) | instid1(VALU_DEP_1)
	v_mov_b32_e32 v113, v99
	ds_load_b64 v[98:99], v102 offset:360
	v_pk_add_f32 v[14:15], v[14:15], v[112:113] neg_lo:[0,1] neg_hi:[0,1]
	s_wait_dscnt 0x0
	v_pk_mul_f32 v[100:101], v[98:99], v[110:111] op_sel:[0,1]
	v_pk_fma_f32 v[110:111], v[98:99], v[108:109], v[100:101] op_sel:[0,0,1] op_sel_hi:[1,1,0] neg_lo:[0,0,1] neg_hi:[0,0,1]
	v_pk_fma_f32 v[98:99], v[98:99], v[108:109], v[100:101] op_sel:[0,0,1] op_sel_hi:[1,0,0]
	s_delay_alu instid0(VALU_DEP_1) | instskip(NEXT) | instid1(VALU_DEP_1)
	v_mov_b32_e32 v111, v99
	v_pk_add_f32 v[96:97], v[96:97], v[110:111] neg_lo:[0,1] neg_hi:[0,1]
.LBB90_692:
	s_or_b32 exec_lo, exec_lo, s0
	v_lshl_add_u32 v98, v106, 3, v102
	s_barrier_signal -1
	s_barrier_wait -1
	ds_store_b64 v98, v[18:19]
	s_wait_dscnt 0x0
	s_barrier_signal -1
	s_barrier_wait -1
	ds_load_b64 v[98:99], v102 offset:264
	v_mov_b32_e32 v100, 33
	s_cmp_lt_i32 s18, 35
	s_cbranch_scc1 .LBB90_695
; %bb.693:
	v_add3_u32 v101, v103, 0, 0x110
	v_mov_b32_e32 v100, 33
	s_mov_b32 s0, 34
.LBB90_694:                             ; =>This Inner Loop Header: Depth=1
	ds_load_b64 v[108:109], v101
	s_wait_dscnt 0x1
	v_cmp_gt_f32_e32 vcc_lo, 0, v98
	v_cndmask_b32_e64 v110, v98, -v98, vcc_lo
	v_cmp_gt_f32_e32 vcc_lo, 0, v99
	v_cndmask_b32_e64 v112, v99, -v99, vcc_lo
	s_wait_dscnt 0x0
	v_cmp_gt_f32_e32 vcc_lo, 0, v108
	v_cndmask_b32_e64 v111, v108, -v108, vcc_lo
	v_cmp_gt_f32_e32 vcc_lo, 0, v109
	v_cndmask_b32_e64 v113, v109, -v109, vcc_lo
	s_delay_alu instid0(VALU_DEP_1) | instskip(NEXT) | instid1(VALU_DEP_1)
	v_pk_add_f32 v[110:111], v[110:111], v[112:113]
	v_cmp_lt_f32_e32 vcc_lo, v110, v111
	v_dual_cndmask_b32 v98, v98, v108 :: v_dual_add_nc_u32 v101, 8, v101
	v_cndmask_b32_e32 v99, v99, v109, vcc_lo
	v_cndmask_b32_e64 v100, v100, s0, vcc_lo
	s_add_co_i32 s0, s0, 1
	s_delay_alu instid0(SALU_CYCLE_1)
	s_cmp_lg_u32 s18, s0
	s_cbranch_scc1 .LBB90_694
.LBB90_695:
	s_wait_dscnt 0x0
	v_cmp_eq_f32_e32 vcc_lo, 0, v98
	v_cmp_eq_f32_e64 s0, 0, v99
	s_and_b32 s0, vcc_lo, s0
	s_delay_alu instid0(SALU_CYCLE_1) | instskip(NEXT) | instid1(SALU_CYCLE_1)
	s_and_saveexec_b32 s1, s0
	s_xor_b32 s0, exec_lo, s1
; %bb.696:
	v_cmp_ne_u32_e32 vcc_lo, 0, v104
	v_cndmask_b32_e32 v104, 34, v104, vcc_lo
; %bb.697:
	s_and_not1_saveexec_b32 s0, s0
	s_cbranch_execz .LBB90_703
; %bb.698:
	v_cmp_ngt_f32_e64 s1, |v98|, |v99|
	s_and_saveexec_b32 s12, s1
	s_delay_alu instid0(SALU_CYCLE_1)
	s_xor_b32 s1, exec_lo, s12
	s_cbranch_execz .LBB90_700
; %bb.699:
	v_div_scale_f32 v101, null, v99, v99, v98
	v_div_scale_f32 v109, vcc_lo, v98, v99, v98
	s_delay_alu instid0(VALU_DEP_2) | instskip(SKIP_1) | instid1(TRANS32_DEP_1)
	v_rcp_f32_e32 v107, v101
	v_nop
	v_fma_f32 v108, -v101, v107, 1.0
	s_delay_alu instid0(VALU_DEP_1) | instskip(NEXT) | instid1(VALU_DEP_1)
	v_fmac_f32_e32 v107, v108, v107
	v_mul_f32_e32 v108, v109, v107
	s_delay_alu instid0(VALU_DEP_1) | instskip(NEXT) | instid1(VALU_DEP_1)
	v_fma_f32 v110, -v101, v108, v109
	v_fmac_f32_e32 v108, v110, v107
	s_delay_alu instid0(VALU_DEP_1) | instskip(NEXT) | instid1(VALU_DEP_1)
	v_fma_f32 v101, -v101, v108, v109
	v_div_fmas_f32 v101, v101, v107, v108
	s_delay_alu instid0(VALU_DEP_1) | instskip(NEXT) | instid1(VALU_DEP_1)
	v_div_fixup_f32 v101, v101, v99, v98
	v_fmac_f32_e32 v99, v98, v101
	s_delay_alu instid0(VALU_DEP_1) | instskip(SKIP_1) | instid1(VALU_DEP_2)
	v_div_scale_f32 v98, null, v99, v99, 1.0
	v_div_scale_f32 v109, vcc_lo, 1.0, v99, 1.0
	v_rcp_f32_e32 v107, v98
	v_nop
	s_delay_alu instid0(TRANS32_DEP_1) | instskip(NEXT) | instid1(VALU_DEP_1)
	v_fma_f32 v108, -v98, v107, 1.0
	v_fmac_f32_e32 v107, v108, v107
	s_delay_alu instid0(VALU_DEP_1) | instskip(NEXT) | instid1(VALU_DEP_1)
	v_mul_f32_e32 v108, v109, v107
	v_fma_f32 v110, -v98, v108, v109
	s_delay_alu instid0(VALU_DEP_1) | instskip(NEXT) | instid1(VALU_DEP_1)
	v_fmac_f32_e32 v108, v110, v107
	v_fma_f32 v98, -v98, v108, v109
	s_delay_alu instid0(VALU_DEP_1) | instskip(NEXT) | instid1(VALU_DEP_1)
	v_div_fmas_f32 v98, v98, v107, v108
	v_div_fixup_f32 v99, v98, v99, 1.0
	s_delay_alu instid0(VALU_DEP_1)
	v_mul_f32_e32 v98, v101, v99
	v_xor_b32_e32 v99, 0x80000000, v99
.LBB90_700:
	s_and_not1_saveexec_b32 s1, s1
	s_cbranch_execz .LBB90_702
; %bb.701:
	s_delay_alu instid0(VALU_DEP_1) | instskip(SKIP_1) | instid1(VALU_DEP_2)
	v_div_scale_f32 v101, null, v98, v98, v99
	v_div_scale_f32 v109, vcc_lo, v99, v98, v99
	v_rcp_f32_e32 v107, v101
	v_nop
	s_delay_alu instid0(TRANS32_DEP_1) | instskip(NEXT) | instid1(VALU_DEP_1)
	v_fma_f32 v108, -v101, v107, 1.0
	v_fmac_f32_e32 v107, v108, v107
	s_delay_alu instid0(VALU_DEP_1) | instskip(NEXT) | instid1(VALU_DEP_1)
	v_mul_f32_e32 v108, v109, v107
	v_fma_f32 v110, -v101, v108, v109
	s_delay_alu instid0(VALU_DEP_1) | instskip(NEXT) | instid1(VALU_DEP_1)
	v_fmac_f32_e32 v108, v110, v107
	v_fma_f32 v101, -v101, v108, v109
	s_delay_alu instid0(VALU_DEP_1) | instskip(NEXT) | instid1(VALU_DEP_1)
	v_div_fmas_f32 v101, v101, v107, v108
	v_div_fixup_f32 v101, v101, v98, v99
	s_delay_alu instid0(VALU_DEP_1) | instskip(NEXT) | instid1(VALU_DEP_1)
	v_fmac_f32_e32 v98, v99, v101
	v_div_scale_f32 v99, null, v98, v98, 1.0
	s_delay_alu instid0(VALU_DEP_1) | instskip(SKIP_1) | instid1(TRANS32_DEP_1)
	v_rcp_f32_e32 v107, v99
	v_nop
	v_fma_f32 v108, -v99, v107, 1.0
	s_delay_alu instid0(VALU_DEP_1) | instskip(SKIP_1) | instid1(VALU_DEP_1)
	v_fmac_f32_e32 v107, v108, v107
	v_div_scale_f32 v108, vcc_lo, 1.0, v98, 1.0
	v_mul_f32_e32 v109, v108, v107
	s_delay_alu instid0(VALU_DEP_1) | instskip(NEXT) | instid1(VALU_DEP_1)
	v_fma_f32 v110, -v99, v109, v108
	v_fmac_f32_e32 v109, v110, v107
	s_delay_alu instid0(VALU_DEP_1) | instskip(NEXT) | instid1(VALU_DEP_1)
	v_fma_f32 v99, -v99, v109, v108
	v_div_fmas_f32 v99, v99, v107, v109
	s_delay_alu instid0(VALU_DEP_1) | instskip(NEXT) | instid1(VALU_DEP_1)
	v_div_fixup_f32 v98, v99, v98, 1.0
	v_mul_f32_e64 v99, v101, -v98
.LBB90_702:
	s_or_b32 exec_lo, exec_lo, s1
.LBB90_703:
	s_delay_alu instid0(SALU_CYCLE_1) | instskip(NEXT) | instid1(SALU_CYCLE_1)
	s_or_b32 exec_lo, exec_lo, s0
	s_mov_b32 s0, exec_lo
	v_cmpx_ne_u32_e64 v106, v100
	s_xor_b32 s0, exec_lo, s0
	s_cbranch_execz .LBB90_709
; %bb.704:
	s_mov_b32 s1, exec_lo
	v_cmpx_eq_u32_e32 33, v106
	s_cbranch_execz .LBB90_708
; %bb.705:
	v_cmp_ne_u32_e32 vcc_lo, 33, v100
	s_xor_b32 s12, s16, -1
	s_delay_alu instid0(SALU_CYCLE_1) | instskip(NEXT) | instid1(SALU_CYCLE_1)
	s_and_b32 s13, s12, vcc_lo
	s_and_saveexec_b32 s12, s13
	s_cbranch_execz .LBB90_707
; %bb.706:
	v_ashrrev_i32_e32 v101, 31, v100
	s_delay_alu instid0(VALU_DEP_1)
	v_lshl_add_u64 v[106:107], v[100:101], 2, v[4:5]
	s_clause 0x1
	global_load_b32 v101, v[106:107], off
	global_load_b32 v105, v[4:5], off offset:132
	s_wait_loadcnt 0x1
	global_store_b32 v[4:5], v101, off offset:132
	s_wait_loadcnt 0x0
	global_store_b32 v[106:107], v105, off
.LBB90_707:
	s_wait_xcnt 0x0
	s_or_b32 exec_lo, exec_lo, s12
	v_dual_mov_b32 v106, v100 :: v_dual_mov_b32 v105, v100
.LBB90_708:
	s_or_b32 exec_lo, exec_lo, s1
.LBB90_709:
	s_and_not1_saveexec_b32 s0, s0
	s_cbranch_execz .LBB90_711
; %bb.710:
	v_dual_mov_b32 v100, v24 :: v_dual_mov_b32 v101, v25
	v_dual_mov_b32 v106, v16 :: v_dual_mov_b32 v107, v17
	;; [unrolled: 1-line block ×4, first 2 shown]
	ds_store_2addr_b64 v102, v[100:101], v[106:107] offset0:34 offset1:35
	ds_store_2addr_b64 v102, v[108:109], v[110:111] offset0:36 offset1:37
	v_dual_mov_b32 v100, v12 :: v_dual_mov_b32 v101, v13
	v_dual_mov_b32 v108, v8 :: v_dual_mov_b32 v109, v9
	;; [unrolled: 1-line block ×7, first 2 shown]
	v_mov_b32_e32 v119, v15
	ds_store_2addr_b64 v102, v[100:101], v[108:109] offset0:38 offset1:39
	ds_store_2addr_b64 v102, v[110:111], v[112:113] offset0:40 offset1:41
	ds_store_2addr_b64 v102, v[114:115], v[116:117] offset0:42 offset1:43
	ds_store_2addr_b64 v102, v[118:119], v[96:97] offset0:44 offset1:45
.LBB90_711:
	s_or_b32 exec_lo, exec_lo, s0
	s_delay_alu instid0(SALU_CYCLE_1)
	s_mov_b32 s0, exec_lo
	s_wait_storecnt_dscnt 0x0
	s_barrier_signal -1
	s_barrier_wait -1
	v_cmpx_lt_i32_e32 33, v106
	s_cbranch_execz .LBB90_713
; %bb.712:
	v_pk_mul_f32 v[100:101], v[98:99], v[18:19] op_sel:[1,1] op_sel_hi:[0,1]
	s_delay_alu instid0(VALU_DEP_1)
	v_pk_fma_f32 v[108:109], v[98:99], v[18:19], v[100:101] op_sel_hi:[1,0,1] neg_lo:[0,0,1] neg_hi:[0,0,1]
	v_pk_fma_f32 v[110:111], v[98:99], v[18:19], v[100:101] op_sel_hi:[1,0,1]
	ds_load_2addr_b64 v[98:101], v102 offset0:34 offset1:35
	v_dual_mov_b32 v18, v108 :: v_dual_mov_b32 v19, v111
	s_wait_dscnt 0x0
	v_pk_mul_f32 v[112:113], v[98:99], v[110:111] op_sel:[0,1]
	s_delay_alu instid0(VALU_DEP_1) | instskip(SKIP_1) | instid1(VALU_DEP_1)
	v_pk_fma_f32 v[114:115], v[98:99], v[108:109], v[112:113] op_sel:[0,0,1] op_sel_hi:[1,1,0] neg_lo:[0,0,1] neg_hi:[0,0,1]
	v_pk_fma_f32 v[98:99], v[98:99], v[108:109], v[112:113] op_sel:[0,0,1] op_sel_hi:[1,0,0]
	v_mov_b32_e32 v115, v99
	v_pk_mul_f32 v[98:99], v[100:101], v[110:111] op_sel:[0,1]
	s_delay_alu instid0(VALU_DEP_1) | instskip(SKIP_1) | instid1(VALU_DEP_1)
	v_pk_fma_f32 v[112:113], v[100:101], v[108:109], v[98:99] op_sel:[0,0,1] op_sel_hi:[1,1,0] neg_lo:[0,0,1] neg_hi:[0,0,1]
	v_pk_fma_f32 v[98:99], v[100:101], v[108:109], v[98:99] op_sel:[0,0,1] op_sel_hi:[1,0,0]
	v_mov_b32_e32 v113, v99
	ds_load_2addr_b64 v[98:101], v102 offset0:36 offset1:37
	v_pk_add_f32 v[24:25], v[24:25], v[114:115] neg_lo:[0,1] neg_hi:[0,1]
	v_pk_add_f32 v[16:17], v[16:17], v[112:113] neg_lo:[0,1] neg_hi:[0,1]
	s_wait_dscnt 0x0
	v_pk_mul_f32 v[112:113], v[98:99], v[110:111] op_sel:[0,1]
	s_delay_alu instid0(VALU_DEP_1) | instskip(SKIP_2) | instid1(VALU_DEP_2)
	v_pk_fma_f32 v[114:115], v[98:99], v[108:109], v[112:113] op_sel:[0,0,1] op_sel_hi:[1,1,0] neg_lo:[0,0,1] neg_hi:[0,0,1]
	v_pk_fma_f32 v[98:99], v[98:99], v[108:109], v[112:113] op_sel:[0,0,1] op_sel_hi:[1,0,0]
	v_dual_mul_f32 v112, v101, v111 :: v_dual_mov_b32 v98, v101
	v_dual_mov_b32 v115, v99 :: v_dual_mov_b32 v99, v100
	s_delay_alu instid0(VALU_DEP_2) | instskip(SKIP_1) | instid1(VALU_DEP_3)
	v_pk_fma_f32 v[112:113], v[100:101], v[18:19], v[112:113] op_sel_hi:[1,1,0] neg_lo:[0,0,1] neg_hi:[0,0,1]
	v_mul_f32_e32 v100, v101, v108
	v_pk_add_f32 v[70:71], v[70:71], v[114:115] neg_lo:[0,1] neg_hi:[0,1]
	s_delay_alu instid0(VALU_DEP_2) | instskip(NEXT) | instid1(VALU_DEP_1)
	v_pk_fma_f32 v[98:99], v[98:99], v[18:19], v[100:101] op_sel_hi:[1,1,0]
	v_mov_b32_e32 v113, v99
	ds_load_2addr_b64 v[98:101], v102 offset0:38 offset1:39
	v_pk_add_f32 v[10:11], v[10:11], v[112:113] neg_lo:[0,1] neg_hi:[0,1]
	s_wait_dscnt 0x0
	v_pk_mul_f32 v[112:113], v[98:99], v[110:111] op_sel:[0,1]
	s_delay_alu instid0(VALU_DEP_1) | instskip(SKIP_1) | instid1(VALU_DEP_1)
	v_pk_fma_f32 v[114:115], v[98:99], v[108:109], v[112:113] op_sel:[0,0,1] op_sel_hi:[1,1,0] neg_lo:[0,0,1] neg_hi:[0,0,1]
	v_pk_fma_f32 v[98:99], v[98:99], v[108:109], v[112:113] op_sel:[0,0,1] op_sel_hi:[1,0,0]
	v_mov_b32_e32 v115, v99
	v_pk_mul_f32 v[98:99], v[100:101], v[110:111] op_sel:[0,1]
	s_delay_alu instid0(VALU_DEP_1) | instskip(SKIP_1) | instid1(VALU_DEP_1)
	v_pk_fma_f32 v[112:113], v[100:101], v[108:109], v[98:99] op_sel:[0,0,1] op_sel_hi:[1,1,0] neg_lo:[0,0,1] neg_hi:[0,0,1]
	v_pk_fma_f32 v[98:99], v[100:101], v[108:109], v[98:99] op_sel:[0,0,1] op_sel_hi:[1,0,0]
	v_mov_b32_e32 v113, v99
	ds_load_2addr_b64 v[98:101], v102 offset0:40 offset1:41
	v_pk_add_f32 v[12:13], v[12:13], v[114:115] neg_lo:[0,1] neg_hi:[0,1]
	v_pk_add_f32 v[8:9], v[8:9], v[112:113] neg_lo:[0,1] neg_hi:[0,1]
	s_wait_dscnt 0x0
	v_pk_mul_f32 v[112:113], v[98:99], v[110:111] op_sel:[0,1]
	s_delay_alu instid0(VALU_DEP_1) | instskip(SKIP_1) | instid1(VALU_DEP_1)
	v_pk_fma_f32 v[114:115], v[98:99], v[108:109], v[112:113] op_sel:[0,0,1] op_sel_hi:[1,1,0] neg_lo:[0,0,1] neg_hi:[0,0,1]
	v_pk_fma_f32 v[98:99], v[98:99], v[108:109], v[112:113] op_sel:[0,0,1] op_sel_hi:[1,0,0]
	v_mov_b32_e32 v115, v99
	v_pk_mul_f32 v[98:99], v[100:101], v[110:111] op_sel:[0,1]
	s_delay_alu instid0(VALU_DEP_1) | instskip(SKIP_1) | instid1(VALU_DEP_1)
	v_pk_fma_f32 v[112:113], v[100:101], v[108:109], v[98:99] op_sel:[0,0,1] op_sel_hi:[1,1,0] neg_lo:[0,0,1] neg_hi:[0,0,1]
	v_pk_fma_f32 v[98:99], v[100:101], v[108:109], v[98:99] op_sel:[0,0,1] op_sel_hi:[1,0,0]
	v_mov_b32_e32 v113, v99
	ds_load_2addr_b64 v[98:101], v102 offset0:42 offset1:43
	v_pk_add_f32 v[68:69], v[68:69], v[114:115] neg_lo:[0,1] neg_hi:[0,1]
	v_pk_add_f32 v[6:7], v[6:7], v[112:113] neg_lo:[0,1] neg_hi:[0,1]
	s_wait_dscnt 0x0
	v_dual_mul_f32 v112, v99, v111 :: v_dual_mul_f32 v114, v99, v108
	s_delay_alu instid0(VALU_DEP_1) | instskip(NEXT) | instid1(VALU_DEP_2)
	v_pk_fma_f32 v[112:113], v[98:99], v[18:19], v[112:113] op_sel_hi:[1,1,0] neg_lo:[0,0,1] neg_hi:[0,0,1]
	v_pk_fma_f32 v[98:99], v[98:99], v[18:19], v[114:115] op_sel:[1,0,0] op_sel_hi:[0,1,0]
	s_delay_alu instid0(VALU_DEP_1) | instskip(SKIP_1) | instid1(VALU_DEP_2)
	v_mov_b32_e32 v113, v99
	v_pk_mul_f32 v[98:99], v[100:101], v[110:111] op_sel:[0,1]
	v_pk_add_f32 v[54:55], v[54:55], v[112:113] neg_lo:[0,1] neg_hi:[0,1]
	s_delay_alu instid0(VALU_DEP_2) | instskip(SKIP_1) | instid1(VALU_DEP_1)
	v_pk_fma_f32 v[112:113], v[100:101], v[108:109], v[98:99] op_sel:[0,0,1] op_sel_hi:[1,1,0] neg_lo:[0,0,1] neg_hi:[0,0,1]
	v_pk_fma_f32 v[98:99], v[100:101], v[108:109], v[98:99] op_sel:[0,0,1] op_sel_hi:[1,0,0]
	v_mov_b32_e32 v113, v99
	ds_load_2addr_b64 v[98:101], v102 offset0:44 offset1:45
	v_pk_add_f32 v[40:41], v[40:41], v[112:113] neg_lo:[0,1] neg_hi:[0,1]
	s_wait_dscnt 0x0
	v_pk_mul_f32 v[112:113], v[98:99], v[110:111] op_sel:[0,1]
	v_mul_f32_e32 v110, v101, v111
	s_delay_alu instid0(VALU_DEP_2) | instskip(SKIP_2) | instid1(VALU_DEP_4)
	v_pk_fma_f32 v[114:115], v[98:99], v[108:109], v[112:113] op_sel:[0,0,1] op_sel_hi:[1,1,0] neg_lo:[0,0,1] neg_hi:[0,0,1]
	v_pk_fma_f32 v[98:99], v[98:99], v[108:109], v[112:113] op_sel:[0,0,1] op_sel_hi:[1,0,0]
	v_mov_b32_e32 v98, v101
	v_pk_fma_f32 v[110:111], v[100:101], v[18:19], v[110:111] op_sel_hi:[1,1,0] neg_lo:[0,0,1] neg_hi:[0,0,1]
	s_delay_alu instid0(VALU_DEP_3) | instskip(SKIP_1) | instid1(VALU_DEP_2)
	v_dual_mov_b32 v115, v99 :: v_dual_mov_b32 v99, v100
	v_mul_f32_e32 v100, v101, v108
	v_pk_add_f32 v[14:15], v[14:15], v[114:115] neg_lo:[0,1] neg_hi:[0,1]
	s_delay_alu instid0(VALU_DEP_2) | instskip(NEXT) | instid1(VALU_DEP_1)
	v_pk_fma_f32 v[98:99], v[98:99], v[18:19], v[100:101] op_sel_hi:[1,1,0]
	v_mov_b32_e32 v111, v99
	s_delay_alu instid0(VALU_DEP_1)
	v_pk_add_f32 v[96:97], v[96:97], v[110:111] neg_lo:[0,1] neg_hi:[0,1]
.LBB90_713:
	s_or_b32 exec_lo, exec_lo, s0
	v_lshl_add_u32 v98, v106, 3, v102
	s_barrier_signal -1
	s_barrier_wait -1
	ds_store_b64 v98, v[24:25]
	s_wait_dscnt 0x0
	s_barrier_signal -1
	s_barrier_wait -1
	ds_load_b64 v[98:99], v102 offset:272
	v_mov_b32_e32 v100, 34
	s_cmp_lt_i32 s18, 36
	s_cbranch_scc1 .LBB90_716
; %bb.714:
	v_add3_u32 v101, v103, 0, 0x118
	v_mov_b32_e32 v100, 34
	s_mov_b32 s0, 35
.LBB90_715:                             ; =>This Inner Loop Header: Depth=1
	ds_load_b64 v[108:109], v101
	s_wait_dscnt 0x1
	v_cmp_gt_f32_e32 vcc_lo, 0, v98
	v_cndmask_b32_e64 v110, v98, -v98, vcc_lo
	v_cmp_gt_f32_e32 vcc_lo, 0, v99
	v_cndmask_b32_e64 v112, v99, -v99, vcc_lo
	s_wait_dscnt 0x0
	v_cmp_gt_f32_e32 vcc_lo, 0, v108
	v_cndmask_b32_e64 v111, v108, -v108, vcc_lo
	v_cmp_gt_f32_e32 vcc_lo, 0, v109
	v_cndmask_b32_e64 v113, v109, -v109, vcc_lo
	s_delay_alu instid0(VALU_DEP_1) | instskip(NEXT) | instid1(VALU_DEP_1)
	v_pk_add_f32 v[110:111], v[110:111], v[112:113]
	v_cmp_lt_f32_e32 vcc_lo, v110, v111
	v_dual_cndmask_b32 v98, v98, v108 :: v_dual_add_nc_u32 v101, 8, v101
	v_cndmask_b32_e32 v99, v99, v109, vcc_lo
	v_cndmask_b32_e64 v100, v100, s0, vcc_lo
	s_add_co_i32 s0, s0, 1
	s_delay_alu instid0(SALU_CYCLE_1)
	s_cmp_lg_u32 s18, s0
	s_cbranch_scc1 .LBB90_715
.LBB90_716:
	s_wait_dscnt 0x0
	v_cmp_eq_f32_e32 vcc_lo, 0, v98
	v_cmp_eq_f32_e64 s0, 0, v99
	s_and_b32 s0, vcc_lo, s0
	s_delay_alu instid0(SALU_CYCLE_1) | instskip(NEXT) | instid1(SALU_CYCLE_1)
	s_and_saveexec_b32 s1, s0
	s_xor_b32 s0, exec_lo, s1
; %bb.717:
	v_cmp_ne_u32_e32 vcc_lo, 0, v104
	v_cndmask_b32_e32 v104, 35, v104, vcc_lo
; %bb.718:
	s_and_not1_saveexec_b32 s0, s0
	s_cbranch_execz .LBB90_724
; %bb.719:
	v_cmp_ngt_f32_e64 s1, |v98|, |v99|
	s_and_saveexec_b32 s12, s1
	s_delay_alu instid0(SALU_CYCLE_1)
	s_xor_b32 s1, exec_lo, s12
	s_cbranch_execz .LBB90_721
; %bb.720:
	v_div_scale_f32 v101, null, v99, v99, v98
	v_div_scale_f32 v109, vcc_lo, v98, v99, v98
	s_delay_alu instid0(VALU_DEP_2) | instskip(SKIP_1) | instid1(TRANS32_DEP_1)
	v_rcp_f32_e32 v107, v101
	v_nop
	v_fma_f32 v108, -v101, v107, 1.0
	s_delay_alu instid0(VALU_DEP_1) | instskip(NEXT) | instid1(VALU_DEP_1)
	v_fmac_f32_e32 v107, v108, v107
	v_mul_f32_e32 v108, v109, v107
	s_delay_alu instid0(VALU_DEP_1) | instskip(NEXT) | instid1(VALU_DEP_1)
	v_fma_f32 v110, -v101, v108, v109
	v_fmac_f32_e32 v108, v110, v107
	s_delay_alu instid0(VALU_DEP_1) | instskip(NEXT) | instid1(VALU_DEP_1)
	v_fma_f32 v101, -v101, v108, v109
	v_div_fmas_f32 v101, v101, v107, v108
	s_delay_alu instid0(VALU_DEP_1) | instskip(NEXT) | instid1(VALU_DEP_1)
	v_div_fixup_f32 v101, v101, v99, v98
	v_fmac_f32_e32 v99, v98, v101
	s_delay_alu instid0(VALU_DEP_1) | instskip(SKIP_1) | instid1(VALU_DEP_2)
	v_div_scale_f32 v98, null, v99, v99, 1.0
	v_div_scale_f32 v109, vcc_lo, 1.0, v99, 1.0
	v_rcp_f32_e32 v107, v98
	v_nop
	s_delay_alu instid0(TRANS32_DEP_1) | instskip(NEXT) | instid1(VALU_DEP_1)
	v_fma_f32 v108, -v98, v107, 1.0
	v_fmac_f32_e32 v107, v108, v107
	s_delay_alu instid0(VALU_DEP_1) | instskip(NEXT) | instid1(VALU_DEP_1)
	v_mul_f32_e32 v108, v109, v107
	v_fma_f32 v110, -v98, v108, v109
	s_delay_alu instid0(VALU_DEP_1) | instskip(NEXT) | instid1(VALU_DEP_1)
	v_fmac_f32_e32 v108, v110, v107
	v_fma_f32 v98, -v98, v108, v109
	s_delay_alu instid0(VALU_DEP_1) | instskip(NEXT) | instid1(VALU_DEP_1)
	v_div_fmas_f32 v98, v98, v107, v108
	v_div_fixup_f32 v99, v98, v99, 1.0
	s_delay_alu instid0(VALU_DEP_1)
	v_mul_f32_e32 v98, v101, v99
	v_xor_b32_e32 v99, 0x80000000, v99
.LBB90_721:
	s_and_not1_saveexec_b32 s1, s1
	s_cbranch_execz .LBB90_723
; %bb.722:
	s_delay_alu instid0(VALU_DEP_1) | instskip(SKIP_1) | instid1(VALU_DEP_2)
	v_div_scale_f32 v101, null, v98, v98, v99
	v_div_scale_f32 v109, vcc_lo, v99, v98, v99
	v_rcp_f32_e32 v107, v101
	v_nop
	s_delay_alu instid0(TRANS32_DEP_1) | instskip(NEXT) | instid1(VALU_DEP_1)
	v_fma_f32 v108, -v101, v107, 1.0
	v_fmac_f32_e32 v107, v108, v107
	s_delay_alu instid0(VALU_DEP_1) | instskip(NEXT) | instid1(VALU_DEP_1)
	v_mul_f32_e32 v108, v109, v107
	v_fma_f32 v110, -v101, v108, v109
	s_delay_alu instid0(VALU_DEP_1) | instskip(NEXT) | instid1(VALU_DEP_1)
	v_fmac_f32_e32 v108, v110, v107
	v_fma_f32 v101, -v101, v108, v109
	s_delay_alu instid0(VALU_DEP_1) | instskip(NEXT) | instid1(VALU_DEP_1)
	v_div_fmas_f32 v101, v101, v107, v108
	v_div_fixup_f32 v101, v101, v98, v99
	s_delay_alu instid0(VALU_DEP_1) | instskip(NEXT) | instid1(VALU_DEP_1)
	v_fmac_f32_e32 v98, v99, v101
	v_div_scale_f32 v99, null, v98, v98, 1.0
	s_delay_alu instid0(VALU_DEP_1) | instskip(SKIP_1) | instid1(TRANS32_DEP_1)
	v_rcp_f32_e32 v107, v99
	v_nop
	v_fma_f32 v108, -v99, v107, 1.0
	s_delay_alu instid0(VALU_DEP_1) | instskip(SKIP_1) | instid1(VALU_DEP_1)
	v_fmac_f32_e32 v107, v108, v107
	v_div_scale_f32 v108, vcc_lo, 1.0, v98, 1.0
	v_mul_f32_e32 v109, v108, v107
	s_delay_alu instid0(VALU_DEP_1) | instskip(NEXT) | instid1(VALU_DEP_1)
	v_fma_f32 v110, -v99, v109, v108
	v_fmac_f32_e32 v109, v110, v107
	s_delay_alu instid0(VALU_DEP_1) | instskip(NEXT) | instid1(VALU_DEP_1)
	v_fma_f32 v99, -v99, v109, v108
	v_div_fmas_f32 v99, v99, v107, v109
	s_delay_alu instid0(VALU_DEP_1) | instskip(NEXT) | instid1(VALU_DEP_1)
	v_div_fixup_f32 v98, v99, v98, 1.0
	v_mul_f32_e64 v99, v101, -v98
.LBB90_723:
	s_or_b32 exec_lo, exec_lo, s1
.LBB90_724:
	s_delay_alu instid0(SALU_CYCLE_1) | instskip(NEXT) | instid1(SALU_CYCLE_1)
	s_or_b32 exec_lo, exec_lo, s0
	s_mov_b32 s0, exec_lo
	v_cmpx_ne_u32_e64 v106, v100
	s_xor_b32 s0, exec_lo, s0
	s_cbranch_execz .LBB90_730
; %bb.725:
	s_mov_b32 s1, exec_lo
	v_cmpx_eq_u32_e32 34, v106
	s_cbranch_execz .LBB90_729
; %bb.726:
	v_cmp_ne_u32_e32 vcc_lo, 34, v100
	s_xor_b32 s12, s16, -1
	s_delay_alu instid0(SALU_CYCLE_1) | instskip(NEXT) | instid1(SALU_CYCLE_1)
	s_and_b32 s13, s12, vcc_lo
	s_and_saveexec_b32 s12, s13
	s_cbranch_execz .LBB90_728
; %bb.727:
	v_ashrrev_i32_e32 v101, 31, v100
	s_delay_alu instid0(VALU_DEP_1)
	v_lshl_add_u64 v[106:107], v[100:101], 2, v[4:5]
	s_clause 0x1
	global_load_b32 v101, v[106:107], off
	global_load_b32 v105, v[4:5], off offset:136
	s_wait_loadcnt 0x1
	global_store_b32 v[4:5], v101, off offset:136
	s_wait_loadcnt 0x0
	global_store_b32 v[106:107], v105, off
.LBB90_728:
	s_wait_xcnt 0x0
	s_or_b32 exec_lo, exec_lo, s12
	v_dual_mov_b32 v106, v100 :: v_dual_mov_b32 v105, v100
.LBB90_729:
	s_or_b32 exec_lo, exec_lo, s1
.LBB90_730:
	s_and_not1_saveexec_b32 s0, s0
	s_cbranch_execz .LBB90_732
; %bb.731:
	v_mov_b32_e32 v106, 34
	ds_store_2addr_b64 v102, v[16:17], v[70:71] offset0:35 offset1:36
	ds_store_2addr_b64 v102, v[10:11], v[12:13] offset0:37 offset1:38
	;; [unrolled: 1-line block ×5, first 2 shown]
	ds_store_b64 v102, v[96:97] offset:360
.LBB90_732:
	s_or_b32 exec_lo, exec_lo, s0
	s_delay_alu instid0(SALU_CYCLE_1)
	s_mov_b32 s0, exec_lo
	s_wait_storecnt_dscnt 0x0
	s_barrier_signal -1
	s_barrier_wait -1
	v_cmpx_lt_i32_e32 34, v106
	s_cbranch_execz .LBB90_734
; %bb.733:
	v_pk_mul_f32 v[100:101], v[98:99], v[24:25] op_sel:[1,1] op_sel_hi:[0,1]
	s_delay_alu instid0(VALU_DEP_1)
	v_pk_fma_f32 v[108:109], v[98:99], v[24:25], v[100:101] op_sel_hi:[1,0,1] neg_lo:[0,0,1] neg_hi:[0,0,1]
	v_pk_fma_f32 v[110:111], v[98:99], v[24:25], v[100:101] op_sel_hi:[1,0,1]
	ds_load_2addr_b64 v[98:101], v102 offset0:35 offset1:36
	v_dual_mov_b32 v24, v108 :: v_dual_mov_b32 v25, v111
	s_wait_dscnt 0x0
	v_pk_mul_f32 v[112:113], v[98:99], v[110:111] op_sel:[0,1]
	s_delay_alu instid0(VALU_DEP_1) | instskip(SKIP_1) | instid1(VALU_DEP_1)
	v_pk_fma_f32 v[114:115], v[98:99], v[108:109], v[112:113] op_sel:[0,0,1] op_sel_hi:[1,1,0] neg_lo:[0,0,1] neg_hi:[0,0,1]
	v_pk_fma_f32 v[98:99], v[98:99], v[108:109], v[112:113] op_sel:[0,0,1] op_sel_hi:[1,0,0]
	v_mov_b32_e32 v115, v99
	v_pk_mul_f32 v[98:99], v[100:101], v[110:111] op_sel:[0,1]
	s_delay_alu instid0(VALU_DEP_1) | instskip(SKIP_1) | instid1(VALU_DEP_1)
	v_pk_fma_f32 v[112:113], v[100:101], v[108:109], v[98:99] op_sel:[0,0,1] op_sel_hi:[1,1,0] neg_lo:[0,0,1] neg_hi:[0,0,1]
	v_pk_fma_f32 v[98:99], v[100:101], v[108:109], v[98:99] op_sel:[0,0,1] op_sel_hi:[1,0,0]
	v_mov_b32_e32 v113, v99
	ds_load_2addr_b64 v[98:101], v102 offset0:37 offset1:38
	v_pk_add_f32 v[16:17], v[16:17], v[114:115] neg_lo:[0,1] neg_hi:[0,1]
	v_pk_add_f32 v[70:71], v[70:71], v[112:113] neg_lo:[0,1] neg_hi:[0,1]
	s_wait_dscnt 0x0
	v_pk_mul_f32 v[112:113], v[98:99], v[110:111] op_sel:[0,1]
	s_delay_alu instid0(VALU_DEP_1) | instskip(SKIP_2) | instid1(VALU_DEP_2)
	v_pk_fma_f32 v[114:115], v[98:99], v[108:109], v[112:113] op_sel:[0,0,1] op_sel_hi:[1,1,0] neg_lo:[0,0,1] neg_hi:[0,0,1]
	v_pk_fma_f32 v[98:99], v[98:99], v[108:109], v[112:113] op_sel:[0,0,1] op_sel_hi:[1,0,0]
	v_dual_mul_f32 v112, v101, v111 :: v_dual_mov_b32 v98, v101
	v_dual_mov_b32 v115, v99 :: v_dual_mov_b32 v99, v100
	s_delay_alu instid0(VALU_DEP_2) | instskip(SKIP_1) | instid1(VALU_DEP_3)
	v_pk_fma_f32 v[112:113], v[100:101], v[24:25], v[112:113] op_sel_hi:[1,1,0] neg_lo:[0,0,1] neg_hi:[0,0,1]
	v_mul_f32_e32 v100, v101, v108
	v_pk_add_f32 v[10:11], v[10:11], v[114:115] neg_lo:[0,1] neg_hi:[0,1]
	s_delay_alu instid0(VALU_DEP_2) | instskip(NEXT) | instid1(VALU_DEP_1)
	v_pk_fma_f32 v[98:99], v[98:99], v[24:25], v[100:101] op_sel_hi:[1,1,0]
	v_mov_b32_e32 v113, v99
	ds_load_2addr_b64 v[98:101], v102 offset0:39 offset1:40
	v_pk_add_f32 v[12:13], v[12:13], v[112:113] neg_lo:[0,1] neg_hi:[0,1]
	s_wait_dscnt 0x0
	v_pk_mul_f32 v[112:113], v[98:99], v[110:111] op_sel:[0,1]
	s_delay_alu instid0(VALU_DEP_1) | instskip(SKIP_1) | instid1(VALU_DEP_1)
	v_pk_fma_f32 v[114:115], v[98:99], v[108:109], v[112:113] op_sel:[0,0,1] op_sel_hi:[1,1,0] neg_lo:[0,0,1] neg_hi:[0,0,1]
	v_pk_fma_f32 v[98:99], v[98:99], v[108:109], v[112:113] op_sel:[0,0,1] op_sel_hi:[1,0,0]
	v_mov_b32_e32 v115, v99
	v_pk_mul_f32 v[98:99], v[100:101], v[110:111] op_sel:[0,1]
	s_delay_alu instid0(VALU_DEP_1) | instskip(SKIP_1) | instid1(VALU_DEP_1)
	v_pk_fma_f32 v[112:113], v[100:101], v[108:109], v[98:99] op_sel:[0,0,1] op_sel_hi:[1,1,0] neg_lo:[0,0,1] neg_hi:[0,0,1]
	v_pk_fma_f32 v[98:99], v[100:101], v[108:109], v[98:99] op_sel:[0,0,1] op_sel_hi:[1,0,0]
	v_mov_b32_e32 v113, v99
	ds_load_2addr_b64 v[98:101], v102 offset0:41 offset1:42
	v_pk_add_f32 v[8:9], v[8:9], v[114:115] neg_lo:[0,1] neg_hi:[0,1]
	v_pk_add_f32 v[68:69], v[68:69], v[112:113] neg_lo:[0,1] neg_hi:[0,1]
	s_wait_dscnt 0x0
	v_pk_mul_f32 v[112:113], v[98:99], v[110:111] op_sel:[0,1]
	s_delay_alu instid0(VALU_DEP_1) | instskip(SKIP_1) | instid1(VALU_DEP_1)
	v_pk_fma_f32 v[114:115], v[98:99], v[108:109], v[112:113] op_sel:[0,0,1] op_sel_hi:[1,1,0] neg_lo:[0,0,1] neg_hi:[0,0,1]
	v_pk_fma_f32 v[98:99], v[98:99], v[108:109], v[112:113] op_sel:[0,0,1] op_sel_hi:[1,0,0]
	v_mov_b32_e32 v115, v99
	v_pk_mul_f32 v[98:99], v[100:101], v[110:111] op_sel:[0,1]
	s_delay_alu instid0(VALU_DEP_1) | instskip(SKIP_1) | instid1(VALU_DEP_1)
	v_pk_fma_f32 v[112:113], v[100:101], v[108:109], v[98:99] op_sel:[0,0,1] op_sel_hi:[1,1,0] neg_lo:[0,0,1] neg_hi:[0,0,1]
	v_pk_fma_f32 v[98:99], v[100:101], v[108:109], v[98:99] op_sel:[0,0,1] op_sel_hi:[1,0,0]
	v_mov_b32_e32 v113, v99
	ds_load_2addr_b64 v[98:101], v102 offset0:43 offset1:44
	v_pk_add_f32 v[6:7], v[6:7], v[114:115] neg_lo:[0,1] neg_hi:[0,1]
	v_pk_add_f32 v[54:55], v[54:55], v[112:113] neg_lo:[0,1] neg_hi:[0,1]
	s_wait_dscnt 0x0
	v_dual_mul_f32 v112, v99, v111 :: v_dual_mul_f32 v114, v99, v108
	s_delay_alu instid0(VALU_DEP_1) | instskip(NEXT) | instid1(VALU_DEP_2)
	v_pk_fma_f32 v[112:113], v[98:99], v[24:25], v[112:113] op_sel_hi:[1,1,0] neg_lo:[0,0,1] neg_hi:[0,0,1]
	v_pk_fma_f32 v[98:99], v[98:99], v[24:25], v[114:115] op_sel:[1,0,0] op_sel_hi:[0,1,0]
	s_delay_alu instid0(VALU_DEP_1) | instskip(SKIP_1) | instid1(VALU_DEP_2)
	v_mov_b32_e32 v113, v99
	v_pk_mul_f32 v[98:99], v[100:101], v[110:111] op_sel:[0,1]
	v_pk_add_f32 v[40:41], v[40:41], v[112:113] neg_lo:[0,1] neg_hi:[0,1]
	s_delay_alu instid0(VALU_DEP_2) | instskip(SKIP_1) | instid1(VALU_DEP_1)
	v_pk_fma_f32 v[112:113], v[100:101], v[108:109], v[98:99] op_sel:[0,0,1] op_sel_hi:[1,1,0] neg_lo:[0,0,1] neg_hi:[0,0,1]
	v_pk_fma_f32 v[98:99], v[100:101], v[108:109], v[98:99] op_sel:[0,0,1] op_sel_hi:[1,0,0]
	v_mov_b32_e32 v113, v99
	ds_load_b64 v[98:99], v102 offset:360
	v_pk_add_f32 v[14:15], v[14:15], v[112:113] neg_lo:[0,1] neg_hi:[0,1]
	s_wait_dscnt 0x0
	v_pk_mul_f32 v[100:101], v[98:99], v[110:111] op_sel:[0,1]
	s_delay_alu instid0(VALU_DEP_1) | instskip(SKIP_1) | instid1(VALU_DEP_1)
	v_pk_fma_f32 v[110:111], v[98:99], v[108:109], v[100:101] op_sel:[0,0,1] op_sel_hi:[1,1,0] neg_lo:[0,0,1] neg_hi:[0,0,1]
	v_pk_fma_f32 v[98:99], v[98:99], v[108:109], v[100:101] op_sel:[0,0,1] op_sel_hi:[1,0,0]
	v_mov_b32_e32 v111, v99
	s_delay_alu instid0(VALU_DEP_1)
	v_pk_add_f32 v[96:97], v[96:97], v[110:111] neg_lo:[0,1] neg_hi:[0,1]
.LBB90_734:
	s_or_b32 exec_lo, exec_lo, s0
	v_lshl_add_u32 v98, v106, 3, v102
	s_barrier_signal -1
	s_barrier_wait -1
	ds_store_b64 v98, v[16:17]
	s_wait_dscnt 0x0
	s_barrier_signal -1
	s_barrier_wait -1
	ds_load_b64 v[98:99], v102 offset:280
	v_mov_b32_e32 v100, 35
	s_cmp_lt_i32 s18, 37
	s_cbranch_scc1 .LBB90_737
; %bb.735:
	v_add3_u32 v101, v103, 0, 0x120
	v_mov_b32_e32 v100, 35
	s_mov_b32 s0, 36
.LBB90_736:                             ; =>This Inner Loop Header: Depth=1
	ds_load_b64 v[108:109], v101
	s_wait_dscnt 0x1
	v_cmp_gt_f32_e32 vcc_lo, 0, v98
	v_cndmask_b32_e64 v110, v98, -v98, vcc_lo
	v_cmp_gt_f32_e32 vcc_lo, 0, v99
	v_cndmask_b32_e64 v112, v99, -v99, vcc_lo
	s_wait_dscnt 0x0
	v_cmp_gt_f32_e32 vcc_lo, 0, v108
	v_cndmask_b32_e64 v111, v108, -v108, vcc_lo
	v_cmp_gt_f32_e32 vcc_lo, 0, v109
	v_cndmask_b32_e64 v113, v109, -v109, vcc_lo
	s_delay_alu instid0(VALU_DEP_1) | instskip(NEXT) | instid1(VALU_DEP_1)
	v_pk_add_f32 v[110:111], v[110:111], v[112:113]
	v_cmp_lt_f32_e32 vcc_lo, v110, v111
	v_dual_cndmask_b32 v98, v98, v108 :: v_dual_add_nc_u32 v101, 8, v101
	v_cndmask_b32_e32 v99, v99, v109, vcc_lo
	v_cndmask_b32_e64 v100, v100, s0, vcc_lo
	s_add_co_i32 s0, s0, 1
	s_delay_alu instid0(SALU_CYCLE_1)
	s_cmp_lg_u32 s18, s0
	s_cbranch_scc1 .LBB90_736
.LBB90_737:
	s_wait_dscnt 0x0
	v_cmp_eq_f32_e32 vcc_lo, 0, v98
	v_cmp_eq_f32_e64 s0, 0, v99
	s_and_b32 s0, vcc_lo, s0
	s_delay_alu instid0(SALU_CYCLE_1) | instskip(NEXT) | instid1(SALU_CYCLE_1)
	s_and_saveexec_b32 s1, s0
	s_xor_b32 s0, exec_lo, s1
; %bb.738:
	v_cmp_ne_u32_e32 vcc_lo, 0, v104
	v_cndmask_b32_e32 v104, 36, v104, vcc_lo
; %bb.739:
	s_and_not1_saveexec_b32 s0, s0
	s_cbranch_execz .LBB90_745
; %bb.740:
	v_cmp_ngt_f32_e64 s1, |v98|, |v99|
	s_and_saveexec_b32 s12, s1
	s_delay_alu instid0(SALU_CYCLE_1)
	s_xor_b32 s1, exec_lo, s12
	s_cbranch_execz .LBB90_742
; %bb.741:
	v_div_scale_f32 v101, null, v99, v99, v98
	v_div_scale_f32 v109, vcc_lo, v98, v99, v98
	s_delay_alu instid0(VALU_DEP_2) | instskip(SKIP_1) | instid1(TRANS32_DEP_1)
	v_rcp_f32_e32 v107, v101
	v_nop
	v_fma_f32 v108, -v101, v107, 1.0
	s_delay_alu instid0(VALU_DEP_1) | instskip(NEXT) | instid1(VALU_DEP_1)
	v_fmac_f32_e32 v107, v108, v107
	v_mul_f32_e32 v108, v109, v107
	s_delay_alu instid0(VALU_DEP_1) | instskip(NEXT) | instid1(VALU_DEP_1)
	v_fma_f32 v110, -v101, v108, v109
	v_fmac_f32_e32 v108, v110, v107
	s_delay_alu instid0(VALU_DEP_1) | instskip(NEXT) | instid1(VALU_DEP_1)
	v_fma_f32 v101, -v101, v108, v109
	v_div_fmas_f32 v101, v101, v107, v108
	s_delay_alu instid0(VALU_DEP_1) | instskip(NEXT) | instid1(VALU_DEP_1)
	v_div_fixup_f32 v101, v101, v99, v98
	v_fmac_f32_e32 v99, v98, v101
	s_delay_alu instid0(VALU_DEP_1) | instskip(SKIP_1) | instid1(VALU_DEP_2)
	v_div_scale_f32 v98, null, v99, v99, 1.0
	v_div_scale_f32 v109, vcc_lo, 1.0, v99, 1.0
	v_rcp_f32_e32 v107, v98
	v_nop
	s_delay_alu instid0(TRANS32_DEP_1) | instskip(NEXT) | instid1(VALU_DEP_1)
	v_fma_f32 v108, -v98, v107, 1.0
	v_fmac_f32_e32 v107, v108, v107
	s_delay_alu instid0(VALU_DEP_1) | instskip(NEXT) | instid1(VALU_DEP_1)
	v_mul_f32_e32 v108, v109, v107
	v_fma_f32 v110, -v98, v108, v109
	s_delay_alu instid0(VALU_DEP_1) | instskip(NEXT) | instid1(VALU_DEP_1)
	v_fmac_f32_e32 v108, v110, v107
	v_fma_f32 v98, -v98, v108, v109
	s_delay_alu instid0(VALU_DEP_1) | instskip(NEXT) | instid1(VALU_DEP_1)
	v_div_fmas_f32 v98, v98, v107, v108
	v_div_fixup_f32 v99, v98, v99, 1.0
	s_delay_alu instid0(VALU_DEP_1)
	v_mul_f32_e32 v98, v101, v99
	v_xor_b32_e32 v99, 0x80000000, v99
.LBB90_742:
	s_and_not1_saveexec_b32 s1, s1
	s_cbranch_execz .LBB90_744
; %bb.743:
	s_delay_alu instid0(VALU_DEP_1) | instskip(SKIP_1) | instid1(VALU_DEP_2)
	v_div_scale_f32 v101, null, v98, v98, v99
	v_div_scale_f32 v109, vcc_lo, v99, v98, v99
	v_rcp_f32_e32 v107, v101
	v_nop
	s_delay_alu instid0(TRANS32_DEP_1) | instskip(NEXT) | instid1(VALU_DEP_1)
	v_fma_f32 v108, -v101, v107, 1.0
	v_fmac_f32_e32 v107, v108, v107
	s_delay_alu instid0(VALU_DEP_1) | instskip(NEXT) | instid1(VALU_DEP_1)
	v_mul_f32_e32 v108, v109, v107
	v_fma_f32 v110, -v101, v108, v109
	s_delay_alu instid0(VALU_DEP_1) | instskip(NEXT) | instid1(VALU_DEP_1)
	v_fmac_f32_e32 v108, v110, v107
	v_fma_f32 v101, -v101, v108, v109
	s_delay_alu instid0(VALU_DEP_1) | instskip(NEXT) | instid1(VALU_DEP_1)
	v_div_fmas_f32 v101, v101, v107, v108
	v_div_fixup_f32 v101, v101, v98, v99
	s_delay_alu instid0(VALU_DEP_1) | instskip(NEXT) | instid1(VALU_DEP_1)
	v_fmac_f32_e32 v98, v99, v101
	v_div_scale_f32 v99, null, v98, v98, 1.0
	s_delay_alu instid0(VALU_DEP_1) | instskip(SKIP_1) | instid1(TRANS32_DEP_1)
	v_rcp_f32_e32 v107, v99
	v_nop
	v_fma_f32 v108, -v99, v107, 1.0
	s_delay_alu instid0(VALU_DEP_1) | instskip(SKIP_1) | instid1(VALU_DEP_1)
	v_fmac_f32_e32 v107, v108, v107
	v_div_scale_f32 v108, vcc_lo, 1.0, v98, 1.0
	v_mul_f32_e32 v109, v108, v107
	s_delay_alu instid0(VALU_DEP_1) | instskip(NEXT) | instid1(VALU_DEP_1)
	v_fma_f32 v110, -v99, v109, v108
	v_fmac_f32_e32 v109, v110, v107
	s_delay_alu instid0(VALU_DEP_1) | instskip(NEXT) | instid1(VALU_DEP_1)
	v_fma_f32 v99, -v99, v109, v108
	v_div_fmas_f32 v99, v99, v107, v109
	s_delay_alu instid0(VALU_DEP_1) | instskip(NEXT) | instid1(VALU_DEP_1)
	v_div_fixup_f32 v98, v99, v98, 1.0
	v_mul_f32_e64 v99, v101, -v98
.LBB90_744:
	s_or_b32 exec_lo, exec_lo, s1
.LBB90_745:
	s_delay_alu instid0(SALU_CYCLE_1) | instskip(NEXT) | instid1(SALU_CYCLE_1)
	s_or_b32 exec_lo, exec_lo, s0
	s_mov_b32 s0, exec_lo
	v_cmpx_ne_u32_e64 v106, v100
	s_xor_b32 s0, exec_lo, s0
	s_cbranch_execz .LBB90_751
; %bb.746:
	s_mov_b32 s1, exec_lo
	v_cmpx_eq_u32_e32 35, v106
	s_cbranch_execz .LBB90_750
; %bb.747:
	v_cmp_ne_u32_e32 vcc_lo, 35, v100
	s_xor_b32 s12, s16, -1
	s_delay_alu instid0(SALU_CYCLE_1) | instskip(NEXT) | instid1(SALU_CYCLE_1)
	s_and_b32 s13, s12, vcc_lo
	s_and_saveexec_b32 s12, s13
	s_cbranch_execz .LBB90_749
; %bb.748:
	v_ashrrev_i32_e32 v101, 31, v100
	s_delay_alu instid0(VALU_DEP_1)
	v_lshl_add_u64 v[106:107], v[100:101], 2, v[4:5]
	s_clause 0x1
	global_load_b32 v101, v[106:107], off
	global_load_b32 v105, v[4:5], off offset:140
	s_wait_loadcnt 0x1
	global_store_b32 v[4:5], v101, off offset:140
	s_wait_loadcnt 0x0
	global_store_b32 v[106:107], v105, off
.LBB90_749:
	s_wait_xcnt 0x0
	s_or_b32 exec_lo, exec_lo, s12
	v_dual_mov_b32 v106, v100 :: v_dual_mov_b32 v105, v100
.LBB90_750:
	s_or_b32 exec_lo, exec_lo, s1
.LBB90_751:
	s_and_not1_saveexec_b32 s0, s0
	s_cbranch_execz .LBB90_753
; %bb.752:
	v_dual_mov_b32 v100, v70 :: v_dual_mov_b32 v101, v71
	v_dual_mov_b32 v108, v10 :: v_dual_mov_b32 v109, v11
	v_dual_mov_b32 v106, 35 :: v_dual_mov_b32 v110, v12
	v_dual_mov_b32 v111, v13 :: v_dual_mov_b32 v112, v8
	v_dual_mov_b32 v113, v9 :: v_dual_mov_b32 v114, v68
	v_dual_mov_b32 v115, v69 :: v_dual_mov_b32 v116, v6
	v_dual_mov_b32 v117, v7 :: v_dual_mov_b32 v118, v54
	v_dual_mov_b32 v119, v55 :: v_dual_mov_b32 v120, v40
	v_dual_mov_b32 v121, v41 :: v_dual_mov_b32 v122, v14
	v_mov_b32_e32 v123, v15
	ds_store_2addr_b64 v102, v[100:101], v[108:109] offset0:36 offset1:37
	ds_store_2addr_b64 v102, v[110:111], v[112:113] offset0:38 offset1:39
	;; [unrolled: 1-line block ×5, first 2 shown]
.LBB90_753:
	s_or_b32 exec_lo, exec_lo, s0
	s_delay_alu instid0(SALU_CYCLE_1)
	s_mov_b32 s0, exec_lo
	s_wait_storecnt_dscnt 0x0
	s_barrier_signal -1
	s_barrier_wait -1
	v_cmpx_lt_i32_e32 35, v106
	s_cbranch_execz .LBB90_755
; %bb.754:
	v_pk_mul_f32 v[100:101], v[98:99], v[16:17] op_sel:[1,1] op_sel_hi:[0,1]
	s_delay_alu instid0(VALU_DEP_1)
	v_pk_fma_f32 v[108:109], v[98:99], v[16:17], v[100:101] op_sel_hi:[1,0,1] neg_lo:[0,0,1] neg_hi:[0,0,1]
	v_pk_fma_f32 v[110:111], v[98:99], v[16:17], v[100:101] op_sel_hi:[1,0,1]
	ds_load_2addr_b64 v[98:101], v102 offset0:36 offset1:37
	v_dual_mov_b32 v16, v108 :: v_dual_mov_b32 v17, v111
	s_wait_dscnt 0x0
	v_pk_mul_f32 v[112:113], v[98:99], v[110:111] op_sel:[0,1]
	s_delay_alu instid0(VALU_DEP_1) | instskip(SKIP_1) | instid1(VALU_DEP_1)
	v_pk_fma_f32 v[114:115], v[98:99], v[108:109], v[112:113] op_sel:[0,0,1] op_sel_hi:[1,1,0] neg_lo:[0,0,1] neg_hi:[0,0,1]
	v_pk_fma_f32 v[98:99], v[98:99], v[108:109], v[112:113] op_sel:[0,0,1] op_sel_hi:[1,0,0]
	v_mov_b32_e32 v115, v99
	v_pk_mul_f32 v[98:99], v[100:101], v[110:111] op_sel:[0,1]
	s_delay_alu instid0(VALU_DEP_1) | instskip(SKIP_1) | instid1(VALU_DEP_1)
	v_pk_fma_f32 v[112:113], v[100:101], v[108:109], v[98:99] op_sel:[0,0,1] op_sel_hi:[1,1,0] neg_lo:[0,0,1] neg_hi:[0,0,1]
	v_pk_fma_f32 v[98:99], v[100:101], v[108:109], v[98:99] op_sel:[0,0,1] op_sel_hi:[1,0,0]
	v_mov_b32_e32 v113, v99
	ds_load_2addr_b64 v[98:101], v102 offset0:38 offset1:39
	v_pk_add_f32 v[70:71], v[70:71], v[114:115] neg_lo:[0,1] neg_hi:[0,1]
	v_pk_add_f32 v[10:11], v[10:11], v[112:113] neg_lo:[0,1] neg_hi:[0,1]
	s_wait_dscnt 0x0
	v_pk_mul_f32 v[112:113], v[98:99], v[110:111] op_sel:[0,1]
	s_delay_alu instid0(VALU_DEP_1) | instskip(SKIP_2) | instid1(VALU_DEP_2)
	v_pk_fma_f32 v[114:115], v[98:99], v[108:109], v[112:113] op_sel:[0,0,1] op_sel_hi:[1,1,0] neg_lo:[0,0,1] neg_hi:[0,0,1]
	v_pk_fma_f32 v[98:99], v[98:99], v[108:109], v[112:113] op_sel:[0,0,1] op_sel_hi:[1,0,0]
	v_dual_mul_f32 v112, v101, v111 :: v_dual_mov_b32 v98, v101
	v_dual_mov_b32 v115, v99 :: v_dual_mov_b32 v99, v100
	s_delay_alu instid0(VALU_DEP_2) | instskip(SKIP_1) | instid1(VALU_DEP_3)
	v_pk_fma_f32 v[112:113], v[100:101], v[16:17], v[112:113] op_sel_hi:[1,1,0] neg_lo:[0,0,1] neg_hi:[0,0,1]
	v_mul_f32_e32 v100, v101, v108
	v_pk_add_f32 v[12:13], v[12:13], v[114:115] neg_lo:[0,1] neg_hi:[0,1]
	s_delay_alu instid0(VALU_DEP_2) | instskip(NEXT) | instid1(VALU_DEP_1)
	v_pk_fma_f32 v[98:99], v[98:99], v[16:17], v[100:101] op_sel_hi:[1,1,0]
	v_mov_b32_e32 v113, v99
	ds_load_2addr_b64 v[98:101], v102 offset0:40 offset1:41
	v_pk_add_f32 v[8:9], v[8:9], v[112:113] neg_lo:[0,1] neg_hi:[0,1]
	s_wait_dscnt 0x0
	v_pk_mul_f32 v[112:113], v[98:99], v[110:111] op_sel:[0,1]
	s_delay_alu instid0(VALU_DEP_1) | instskip(SKIP_1) | instid1(VALU_DEP_1)
	v_pk_fma_f32 v[114:115], v[98:99], v[108:109], v[112:113] op_sel:[0,0,1] op_sel_hi:[1,1,0] neg_lo:[0,0,1] neg_hi:[0,0,1]
	v_pk_fma_f32 v[98:99], v[98:99], v[108:109], v[112:113] op_sel:[0,0,1] op_sel_hi:[1,0,0]
	v_mov_b32_e32 v115, v99
	v_pk_mul_f32 v[98:99], v[100:101], v[110:111] op_sel:[0,1]
	s_delay_alu instid0(VALU_DEP_1) | instskip(SKIP_1) | instid1(VALU_DEP_1)
	v_pk_fma_f32 v[112:113], v[100:101], v[108:109], v[98:99] op_sel:[0,0,1] op_sel_hi:[1,1,0] neg_lo:[0,0,1] neg_hi:[0,0,1]
	v_pk_fma_f32 v[98:99], v[100:101], v[108:109], v[98:99] op_sel:[0,0,1] op_sel_hi:[1,0,0]
	v_mov_b32_e32 v113, v99
	ds_load_2addr_b64 v[98:101], v102 offset0:42 offset1:43
	v_pk_add_f32 v[68:69], v[68:69], v[114:115] neg_lo:[0,1] neg_hi:[0,1]
	v_pk_add_f32 v[6:7], v[6:7], v[112:113] neg_lo:[0,1] neg_hi:[0,1]
	s_wait_dscnt 0x0
	v_pk_mul_f32 v[112:113], v[98:99], v[110:111] op_sel:[0,1]
	s_delay_alu instid0(VALU_DEP_1) | instskip(SKIP_1) | instid1(VALU_DEP_1)
	v_pk_fma_f32 v[114:115], v[98:99], v[108:109], v[112:113] op_sel:[0,0,1] op_sel_hi:[1,1,0] neg_lo:[0,0,1] neg_hi:[0,0,1]
	v_pk_fma_f32 v[98:99], v[98:99], v[108:109], v[112:113] op_sel:[0,0,1] op_sel_hi:[1,0,0]
	v_mov_b32_e32 v115, v99
	v_pk_mul_f32 v[98:99], v[100:101], v[110:111] op_sel:[0,1]
	s_delay_alu instid0(VALU_DEP_1) | instskip(SKIP_1) | instid1(VALU_DEP_1)
	v_pk_fma_f32 v[112:113], v[100:101], v[108:109], v[98:99] op_sel:[0,0,1] op_sel_hi:[1,1,0] neg_lo:[0,0,1] neg_hi:[0,0,1]
	v_pk_fma_f32 v[98:99], v[100:101], v[108:109], v[98:99] op_sel:[0,0,1] op_sel_hi:[1,0,0]
	v_mov_b32_e32 v113, v99
	ds_load_2addr_b64 v[98:101], v102 offset0:44 offset1:45
	v_pk_add_f32 v[54:55], v[54:55], v[114:115] neg_lo:[0,1] neg_hi:[0,1]
	v_pk_add_f32 v[40:41], v[40:41], v[112:113] neg_lo:[0,1] neg_hi:[0,1]
	s_wait_dscnt 0x0
	v_dual_mul_f32 v112, v99, v111 :: v_dual_mul_f32 v114, v99, v108
	s_delay_alu instid0(VALU_DEP_1) | instskip(NEXT) | instid1(VALU_DEP_2)
	v_pk_fma_f32 v[112:113], v[98:99], v[16:17], v[112:113] op_sel_hi:[1,1,0] neg_lo:[0,0,1] neg_hi:[0,0,1]
	v_pk_fma_f32 v[98:99], v[98:99], v[16:17], v[114:115] op_sel:[1,0,0] op_sel_hi:[0,1,0]
	s_delay_alu instid0(VALU_DEP_1) | instskip(SKIP_1) | instid1(VALU_DEP_1)
	v_mov_b32_e32 v113, v99
	v_pk_mul_f32 v[98:99], v[100:101], v[110:111] op_sel:[0,1]
	v_pk_fma_f32 v[110:111], v[100:101], v[108:109], v[98:99] op_sel:[0,0,1] op_sel_hi:[1,1,0] neg_lo:[0,0,1] neg_hi:[0,0,1]
	v_pk_fma_f32 v[98:99], v[100:101], v[108:109], v[98:99] op_sel:[0,0,1] op_sel_hi:[1,0,0]
	s_delay_alu instid0(VALU_DEP_1) | instskip(SKIP_1) | instid1(VALU_DEP_2)
	v_mov_b32_e32 v111, v99
	v_pk_add_f32 v[14:15], v[14:15], v[112:113] neg_lo:[0,1] neg_hi:[0,1]
	v_pk_add_f32 v[96:97], v[96:97], v[110:111] neg_lo:[0,1] neg_hi:[0,1]
.LBB90_755:
	s_or_b32 exec_lo, exec_lo, s0
	v_lshl_add_u32 v98, v106, 3, v102
	s_barrier_signal -1
	s_barrier_wait -1
	ds_store_b64 v98, v[70:71]
	s_wait_dscnt 0x0
	s_barrier_signal -1
	s_barrier_wait -1
	ds_load_b64 v[98:99], v102 offset:288
	v_mov_b32_e32 v100, 36
	s_cmp_lt_i32 s18, 38
	s_cbranch_scc1 .LBB90_758
; %bb.756:
	v_add3_u32 v101, v103, 0, 0x128
	v_mov_b32_e32 v100, 36
	s_mov_b32 s0, 37
.LBB90_757:                             ; =>This Inner Loop Header: Depth=1
	ds_load_b64 v[108:109], v101
	s_wait_dscnt 0x1
	v_cmp_gt_f32_e32 vcc_lo, 0, v98
	v_cndmask_b32_e64 v110, v98, -v98, vcc_lo
	v_cmp_gt_f32_e32 vcc_lo, 0, v99
	v_cndmask_b32_e64 v112, v99, -v99, vcc_lo
	s_wait_dscnt 0x0
	v_cmp_gt_f32_e32 vcc_lo, 0, v108
	v_cndmask_b32_e64 v111, v108, -v108, vcc_lo
	v_cmp_gt_f32_e32 vcc_lo, 0, v109
	v_cndmask_b32_e64 v113, v109, -v109, vcc_lo
	s_delay_alu instid0(VALU_DEP_1) | instskip(NEXT) | instid1(VALU_DEP_1)
	v_pk_add_f32 v[110:111], v[110:111], v[112:113]
	v_cmp_lt_f32_e32 vcc_lo, v110, v111
	v_dual_cndmask_b32 v98, v98, v108 :: v_dual_add_nc_u32 v101, 8, v101
	v_cndmask_b32_e32 v99, v99, v109, vcc_lo
	v_cndmask_b32_e64 v100, v100, s0, vcc_lo
	s_add_co_i32 s0, s0, 1
	s_delay_alu instid0(SALU_CYCLE_1)
	s_cmp_lg_u32 s18, s0
	s_cbranch_scc1 .LBB90_757
.LBB90_758:
	s_wait_dscnt 0x0
	v_cmp_eq_f32_e32 vcc_lo, 0, v98
	v_cmp_eq_f32_e64 s0, 0, v99
	s_and_b32 s0, vcc_lo, s0
	s_delay_alu instid0(SALU_CYCLE_1) | instskip(NEXT) | instid1(SALU_CYCLE_1)
	s_and_saveexec_b32 s1, s0
	s_xor_b32 s0, exec_lo, s1
; %bb.759:
	v_cmp_ne_u32_e32 vcc_lo, 0, v104
	v_cndmask_b32_e32 v104, 37, v104, vcc_lo
; %bb.760:
	s_and_not1_saveexec_b32 s0, s0
	s_cbranch_execz .LBB90_766
; %bb.761:
	v_cmp_ngt_f32_e64 s1, |v98|, |v99|
	s_and_saveexec_b32 s12, s1
	s_delay_alu instid0(SALU_CYCLE_1)
	s_xor_b32 s1, exec_lo, s12
	s_cbranch_execz .LBB90_763
; %bb.762:
	v_div_scale_f32 v101, null, v99, v99, v98
	v_div_scale_f32 v109, vcc_lo, v98, v99, v98
	s_delay_alu instid0(VALU_DEP_2) | instskip(SKIP_1) | instid1(TRANS32_DEP_1)
	v_rcp_f32_e32 v107, v101
	v_nop
	v_fma_f32 v108, -v101, v107, 1.0
	s_delay_alu instid0(VALU_DEP_1) | instskip(NEXT) | instid1(VALU_DEP_1)
	v_fmac_f32_e32 v107, v108, v107
	v_mul_f32_e32 v108, v109, v107
	s_delay_alu instid0(VALU_DEP_1) | instskip(NEXT) | instid1(VALU_DEP_1)
	v_fma_f32 v110, -v101, v108, v109
	v_fmac_f32_e32 v108, v110, v107
	s_delay_alu instid0(VALU_DEP_1) | instskip(NEXT) | instid1(VALU_DEP_1)
	v_fma_f32 v101, -v101, v108, v109
	v_div_fmas_f32 v101, v101, v107, v108
	s_delay_alu instid0(VALU_DEP_1) | instskip(NEXT) | instid1(VALU_DEP_1)
	v_div_fixup_f32 v101, v101, v99, v98
	v_fmac_f32_e32 v99, v98, v101
	s_delay_alu instid0(VALU_DEP_1) | instskip(SKIP_1) | instid1(VALU_DEP_2)
	v_div_scale_f32 v98, null, v99, v99, 1.0
	v_div_scale_f32 v109, vcc_lo, 1.0, v99, 1.0
	v_rcp_f32_e32 v107, v98
	v_nop
	s_delay_alu instid0(TRANS32_DEP_1) | instskip(NEXT) | instid1(VALU_DEP_1)
	v_fma_f32 v108, -v98, v107, 1.0
	v_fmac_f32_e32 v107, v108, v107
	s_delay_alu instid0(VALU_DEP_1) | instskip(NEXT) | instid1(VALU_DEP_1)
	v_mul_f32_e32 v108, v109, v107
	v_fma_f32 v110, -v98, v108, v109
	s_delay_alu instid0(VALU_DEP_1) | instskip(NEXT) | instid1(VALU_DEP_1)
	v_fmac_f32_e32 v108, v110, v107
	v_fma_f32 v98, -v98, v108, v109
	s_delay_alu instid0(VALU_DEP_1) | instskip(NEXT) | instid1(VALU_DEP_1)
	v_div_fmas_f32 v98, v98, v107, v108
	v_div_fixup_f32 v99, v98, v99, 1.0
	s_delay_alu instid0(VALU_DEP_1)
	v_mul_f32_e32 v98, v101, v99
	v_xor_b32_e32 v99, 0x80000000, v99
.LBB90_763:
	s_and_not1_saveexec_b32 s1, s1
	s_cbranch_execz .LBB90_765
; %bb.764:
	s_delay_alu instid0(VALU_DEP_1) | instskip(SKIP_1) | instid1(VALU_DEP_2)
	v_div_scale_f32 v101, null, v98, v98, v99
	v_div_scale_f32 v109, vcc_lo, v99, v98, v99
	v_rcp_f32_e32 v107, v101
	v_nop
	s_delay_alu instid0(TRANS32_DEP_1) | instskip(NEXT) | instid1(VALU_DEP_1)
	v_fma_f32 v108, -v101, v107, 1.0
	v_fmac_f32_e32 v107, v108, v107
	s_delay_alu instid0(VALU_DEP_1) | instskip(NEXT) | instid1(VALU_DEP_1)
	v_mul_f32_e32 v108, v109, v107
	v_fma_f32 v110, -v101, v108, v109
	s_delay_alu instid0(VALU_DEP_1) | instskip(NEXT) | instid1(VALU_DEP_1)
	v_fmac_f32_e32 v108, v110, v107
	v_fma_f32 v101, -v101, v108, v109
	s_delay_alu instid0(VALU_DEP_1) | instskip(NEXT) | instid1(VALU_DEP_1)
	v_div_fmas_f32 v101, v101, v107, v108
	v_div_fixup_f32 v101, v101, v98, v99
	s_delay_alu instid0(VALU_DEP_1) | instskip(NEXT) | instid1(VALU_DEP_1)
	v_fmac_f32_e32 v98, v99, v101
	v_div_scale_f32 v99, null, v98, v98, 1.0
	s_delay_alu instid0(VALU_DEP_1) | instskip(SKIP_1) | instid1(TRANS32_DEP_1)
	v_rcp_f32_e32 v107, v99
	v_nop
	v_fma_f32 v108, -v99, v107, 1.0
	s_delay_alu instid0(VALU_DEP_1) | instskip(SKIP_1) | instid1(VALU_DEP_1)
	v_fmac_f32_e32 v107, v108, v107
	v_div_scale_f32 v108, vcc_lo, 1.0, v98, 1.0
	v_mul_f32_e32 v109, v108, v107
	s_delay_alu instid0(VALU_DEP_1) | instskip(NEXT) | instid1(VALU_DEP_1)
	v_fma_f32 v110, -v99, v109, v108
	v_fmac_f32_e32 v109, v110, v107
	s_delay_alu instid0(VALU_DEP_1) | instskip(NEXT) | instid1(VALU_DEP_1)
	v_fma_f32 v99, -v99, v109, v108
	v_div_fmas_f32 v99, v99, v107, v109
	s_delay_alu instid0(VALU_DEP_1) | instskip(NEXT) | instid1(VALU_DEP_1)
	v_div_fixup_f32 v98, v99, v98, 1.0
	v_mul_f32_e64 v99, v101, -v98
.LBB90_765:
	s_or_b32 exec_lo, exec_lo, s1
.LBB90_766:
	s_delay_alu instid0(SALU_CYCLE_1) | instskip(NEXT) | instid1(SALU_CYCLE_1)
	s_or_b32 exec_lo, exec_lo, s0
	s_mov_b32 s0, exec_lo
	v_cmpx_ne_u32_e64 v106, v100
	s_xor_b32 s0, exec_lo, s0
	s_cbranch_execz .LBB90_772
; %bb.767:
	s_mov_b32 s1, exec_lo
	v_cmpx_eq_u32_e32 36, v106
	s_cbranch_execz .LBB90_771
; %bb.768:
	v_cmp_ne_u32_e32 vcc_lo, 36, v100
	s_xor_b32 s12, s16, -1
	s_delay_alu instid0(SALU_CYCLE_1) | instskip(NEXT) | instid1(SALU_CYCLE_1)
	s_and_b32 s13, s12, vcc_lo
	s_and_saveexec_b32 s12, s13
	s_cbranch_execz .LBB90_770
; %bb.769:
	v_ashrrev_i32_e32 v101, 31, v100
	s_delay_alu instid0(VALU_DEP_1)
	v_lshl_add_u64 v[106:107], v[100:101], 2, v[4:5]
	s_clause 0x1
	global_load_b32 v101, v[106:107], off
	global_load_b32 v105, v[4:5], off offset:144
	s_wait_loadcnt 0x1
	global_store_b32 v[4:5], v101, off offset:144
	s_wait_loadcnt 0x0
	global_store_b32 v[106:107], v105, off
.LBB90_770:
	s_wait_xcnt 0x0
	s_or_b32 exec_lo, exec_lo, s12
	v_dual_mov_b32 v106, v100 :: v_dual_mov_b32 v105, v100
.LBB90_771:
	s_or_b32 exec_lo, exec_lo, s1
.LBB90_772:
	s_and_not1_saveexec_b32 s0, s0
	s_cbranch_execz .LBB90_774
; %bb.773:
	v_mov_b32_e32 v106, 36
	ds_store_2addr_b64 v102, v[10:11], v[12:13] offset0:37 offset1:38
	ds_store_2addr_b64 v102, v[8:9], v[68:69] offset0:39 offset1:40
	;; [unrolled: 1-line block ×4, first 2 shown]
	ds_store_b64 v102, v[96:97] offset:360
.LBB90_774:
	s_or_b32 exec_lo, exec_lo, s0
	s_delay_alu instid0(SALU_CYCLE_1)
	s_mov_b32 s0, exec_lo
	s_wait_storecnt_dscnt 0x0
	s_barrier_signal -1
	s_barrier_wait -1
	v_cmpx_lt_i32_e32 36, v106
	s_cbranch_execz .LBB90_776
; %bb.775:
	v_pk_mul_f32 v[100:101], v[98:99], v[70:71] op_sel:[1,1] op_sel_hi:[0,1]
	s_delay_alu instid0(VALU_DEP_1)
	v_pk_fma_f32 v[108:109], v[98:99], v[70:71], v[100:101] op_sel_hi:[1,0,1] neg_lo:[0,0,1] neg_hi:[0,0,1]
	v_pk_fma_f32 v[110:111], v[98:99], v[70:71], v[100:101] op_sel_hi:[1,0,1]
	ds_load_2addr_b64 v[98:101], v102 offset0:37 offset1:38
	v_dual_mov_b32 v70, v108 :: v_dual_mov_b32 v71, v111
	s_wait_dscnt 0x0
	v_pk_mul_f32 v[112:113], v[98:99], v[110:111] op_sel:[0,1]
	s_delay_alu instid0(VALU_DEP_1) | instskip(SKIP_1) | instid1(VALU_DEP_1)
	v_pk_fma_f32 v[114:115], v[98:99], v[108:109], v[112:113] op_sel:[0,0,1] op_sel_hi:[1,1,0] neg_lo:[0,0,1] neg_hi:[0,0,1]
	v_pk_fma_f32 v[98:99], v[98:99], v[108:109], v[112:113] op_sel:[0,0,1] op_sel_hi:[1,0,0]
	v_mov_b32_e32 v115, v99
	v_pk_mul_f32 v[98:99], v[100:101], v[110:111] op_sel:[0,1]
	s_delay_alu instid0(VALU_DEP_1) | instskip(SKIP_1) | instid1(VALU_DEP_1)
	v_pk_fma_f32 v[112:113], v[100:101], v[108:109], v[98:99] op_sel:[0,0,1] op_sel_hi:[1,1,0] neg_lo:[0,0,1] neg_hi:[0,0,1]
	v_pk_fma_f32 v[98:99], v[100:101], v[108:109], v[98:99] op_sel:[0,0,1] op_sel_hi:[1,0,0]
	v_mov_b32_e32 v113, v99
	ds_load_2addr_b64 v[98:101], v102 offset0:39 offset1:40
	v_pk_add_f32 v[10:11], v[10:11], v[114:115] neg_lo:[0,1] neg_hi:[0,1]
	v_pk_add_f32 v[12:13], v[12:13], v[112:113] neg_lo:[0,1] neg_hi:[0,1]
	s_wait_dscnt 0x0
	v_pk_mul_f32 v[112:113], v[98:99], v[110:111] op_sel:[0,1]
	s_delay_alu instid0(VALU_DEP_1) | instskip(SKIP_2) | instid1(VALU_DEP_2)
	v_pk_fma_f32 v[114:115], v[98:99], v[108:109], v[112:113] op_sel:[0,0,1] op_sel_hi:[1,1,0] neg_lo:[0,0,1] neg_hi:[0,0,1]
	v_pk_fma_f32 v[98:99], v[98:99], v[108:109], v[112:113] op_sel:[0,0,1] op_sel_hi:[1,0,0]
	v_dual_mul_f32 v112, v101, v111 :: v_dual_mov_b32 v98, v101
	v_dual_mov_b32 v115, v99 :: v_dual_mov_b32 v99, v100
	s_delay_alu instid0(VALU_DEP_2) | instskip(SKIP_1) | instid1(VALU_DEP_3)
	v_pk_fma_f32 v[112:113], v[100:101], v[70:71], v[112:113] op_sel_hi:[1,1,0] neg_lo:[0,0,1] neg_hi:[0,0,1]
	v_mul_f32_e32 v100, v101, v108
	v_pk_add_f32 v[8:9], v[8:9], v[114:115] neg_lo:[0,1] neg_hi:[0,1]
	s_delay_alu instid0(VALU_DEP_2) | instskip(NEXT) | instid1(VALU_DEP_1)
	v_pk_fma_f32 v[98:99], v[98:99], v[70:71], v[100:101] op_sel_hi:[1,1,0]
	v_mov_b32_e32 v113, v99
	ds_load_2addr_b64 v[98:101], v102 offset0:41 offset1:42
	v_pk_add_f32 v[68:69], v[68:69], v[112:113] neg_lo:[0,1] neg_hi:[0,1]
	s_wait_dscnt 0x0
	v_pk_mul_f32 v[112:113], v[98:99], v[110:111] op_sel:[0,1]
	s_delay_alu instid0(VALU_DEP_1) | instskip(SKIP_1) | instid1(VALU_DEP_1)
	v_pk_fma_f32 v[114:115], v[98:99], v[108:109], v[112:113] op_sel:[0,0,1] op_sel_hi:[1,1,0] neg_lo:[0,0,1] neg_hi:[0,0,1]
	v_pk_fma_f32 v[98:99], v[98:99], v[108:109], v[112:113] op_sel:[0,0,1] op_sel_hi:[1,0,0]
	v_mov_b32_e32 v115, v99
	v_pk_mul_f32 v[98:99], v[100:101], v[110:111] op_sel:[0,1]
	s_delay_alu instid0(VALU_DEP_1) | instskip(SKIP_1) | instid1(VALU_DEP_1)
	v_pk_fma_f32 v[112:113], v[100:101], v[108:109], v[98:99] op_sel:[0,0,1] op_sel_hi:[1,1,0] neg_lo:[0,0,1] neg_hi:[0,0,1]
	v_pk_fma_f32 v[98:99], v[100:101], v[108:109], v[98:99] op_sel:[0,0,1] op_sel_hi:[1,0,0]
	v_mov_b32_e32 v113, v99
	ds_load_2addr_b64 v[98:101], v102 offset0:43 offset1:44
	v_pk_add_f32 v[6:7], v[6:7], v[114:115] neg_lo:[0,1] neg_hi:[0,1]
	v_pk_add_f32 v[54:55], v[54:55], v[112:113] neg_lo:[0,1] neg_hi:[0,1]
	s_wait_dscnt 0x0
	v_pk_mul_f32 v[112:113], v[98:99], v[110:111] op_sel:[0,1]
	s_delay_alu instid0(VALU_DEP_1) | instskip(SKIP_1) | instid1(VALU_DEP_1)
	v_pk_fma_f32 v[114:115], v[98:99], v[108:109], v[112:113] op_sel:[0,0,1] op_sel_hi:[1,1,0] neg_lo:[0,0,1] neg_hi:[0,0,1]
	v_pk_fma_f32 v[98:99], v[98:99], v[108:109], v[112:113] op_sel:[0,0,1] op_sel_hi:[1,0,0]
	v_mov_b32_e32 v115, v99
	v_pk_mul_f32 v[98:99], v[100:101], v[110:111] op_sel:[0,1]
	s_delay_alu instid0(VALU_DEP_1) | instskip(SKIP_1) | instid1(VALU_DEP_1)
	v_pk_fma_f32 v[112:113], v[100:101], v[108:109], v[98:99] op_sel:[0,0,1] op_sel_hi:[1,1,0] neg_lo:[0,0,1] neg_hi:[0,0,1]
	v_pk_fma_f32 v[98:99], v[100:101], v[108:109], v[98:99] op_sel:[0,0,1] op_sel_hi:[1,0,0]
	v_mov_b32_e32 v113, v99
	ds_load_b64 v[98:99], v102 offset:360
	v_pk_add_f32 v[40:41], v[40:41], v[114:115] neg_lo:[0,1] neg_hi:[0,1]
	v_pk_add_f32 v[14:15], v[14:15], v[112:113] neg_lo:[0,1] neg_hi:[0,1]
	s_wait_dscnt 0x0
	v_pk_mul_f32 v[100:101], v[98:99], v[110:111] op_sel:[0,1]
	s_delay_alu instid0(VALU_DEP_1) | instskip(SKIP_1) | instid1(VALU_DEP_1)
	v_pk_fma_f32 v[110:111], v[98:99], v[108:109], v[100:101] op_sel:[0,0,1] op_sel_hi:[1,1,0] neg_lo:[0,0,1] neg_hi:[0,0,1]
	v_pk_fma_f32 v[98:99], v[98:99], v[108:109], v[100:101] op_sel:[0,0,1] op_sel_hi:[1,0,0]
	v_mov_b32_e32 v111, v99
	s_delay_alu instid0(VALU_DEP_1)
	v_pk_add_f32 v[96:97], v[96:97], v[110:111] neg_lo:[0,1] neg_hi:[0,1]
.LBB90_776:
	s_or_b32 exec_lo, exec_lo, s0
	v_lshl_add_u32 v98, v106, 3, v102
	s_barrier_signal -1
	s_barrier_wait -1
	ds_store_b64 v98, v[10:11]
	s_wait_dscnt 0x0
	s_barrier_signal -1
	s_barrier_wait -1
	ds_load_b64 v[98:99], v102 offset:296
	v_mov_b32_e32 v100, 37
	s_cmp_lt_i32 s18, 39
	s_cbranch_scc1 .LBB90_779
; %bb.777:
	v_add3_u32 v101, v103, 0, 0x130
	v_mov_b32_e32 v100, 37
	s_mov_b32 s0, 38
.LBB90_778:                             ; =>This Inner Loop Header: Depth=1
	ds_load_b64 v[108:109], v101
	s_wait_dscnt 0x1
	v_cmp_gt_f32_e32 vcc_lo, 0, v98
	v_cndmask_b32_e64 v110, v98, -v98, vcc_lo
	v_cmp_gt_f32_e32 vcc_lo, 0, v99
	v_cndmask_b32_e64 v112, v99, -v99, vcc_lo
	s_wait_dscnt 0x0
	v_cmp_gt_f32_e32 vcc_lo, 0, v108
	v_cndmask_b32_e64 v111, v108, -v108, vcc_lo
	v_cmp_gt_f32_e32 vcc_lo, 0, v109
	v_cndmask_b32_e64 v113, v109, -v109, vcc_lo
	s_delay_alu instid0(VALU_DEP_1) | instskip(NEXT) | instid1(VALU_DEP_1)
	v_pk_add_f32 v[110:111], v[110:111], v[112:113]
	v_cmp_lt_f32_e32 vcc_lo, v110, v111
	v_dual_cndmask_b32 v98, v98, v108 :: v_dual_add_nc_u32 v101, 8, v101
	v_cndmask_b32_e32 v99, v99, v109, vcc_lo
	v_cndmask_b32_e64 v100, v100, s0, vcc_lo
	s_add_co_i32 s0, s0, 1
	s_delay_alu instid0(SALU_CYCLE_1)
	s_cmp_lg_u32 s18, s0
	s_cbranch_scc1 .LBB90_778
.LBB90_779:
	s_wait_dscnt 0x0
	v_cmp_eq_f32_e32 vcc_lo, 0, v98
	v_cmp_eq_f32_e64 s0, 0, v99
	s_and_b32 s0, vcc_lo, s0
	s_delay_alu instid0(SALU_CYCLE_1) | instskip(NEXT) | instid1(SALU_CYCLE_1)
	s_and_saveexec_b32 s1, s0
	s_xor_b32 s0, exec_lo, s1
; %bb.780:
	v_cmp_ne_u32_e32 vcc_lo, 0, v104
	v_cndmask_b32_e32 v104, 38, v104, vcc_lo
; %bb.781:
	s_and_not1_saveexec_b32 s0, s0
	s_cbranch_execz .LBB90_787
; %bb.782:
	v_cmp_ngt_f32_e64 s1, |v98|, |v99|
	s_and_saveexec_b32 s12, s1
	s_delay_alu instid0(SALU_CYCLE_1)
	s_xor_b32 s1, exec_lo, s12
	s_cbranch_execz .LBB90_784
; %bb.783:
	v_div_scale_f32 v101, null, v99, v99, v98
	v_div_scale_f32 v109, vcc_lo, v98, v99, v98
	s_delay_alu instid0(VALU_DEP_2) | instskip(SKIP_1) | instid1(TRANS32_DEP_1)
	v_rcp_f32_e32 v107, v101
	v_nop
	v_fma_f32 v108, -v101, v107, 1.0
	s_delay_alu instid0(VALU_DEP_1) | instskip(NEXT) | instid1(VALU_DEP_1)
	v_fmac_f32_e32 v107, v108, v107
	v_mul_f32_e32 v108, v109, v107
	s_delay_alu instid0(VALU_DEP_1) | instskip(NEXT) | instid1(VALU_DEP_1)
	v_fma_f32 v110, -v101, v108, v109
	v_fmac_f32_e32 v108, v110, v107
	s_delay_alu instid0(VALU_DEP_1) | instskip(NEXT) | instid1(VALU_DEP_1)
	v_fma_f32 v101, -v101, v108, v109
	v_div_fmas_f32 v101, v101, v107, v108
	s_delay_alu instid0(VALU_DEP_1) | instskip(NEXT) | instid1(VALU_DEP_1)
	v_div_fixup_f32 v101, v101, v99, v98
	v_fmac_f32_e32 v99, v98, v101
	s_delay_alu instid0(VALU_DEP_1) | instskip(SKIP_1) | instid1(VALU_DEP_2)
	v_div_scale_f32 v98, null, v99, v99, 1.0
	v_div_scale_f32 v109, vcc_lo, 1.0, v99, 1.0
	v_rcp_f32_e32 v107, v98
	v_nop
	s_delay_alu instid0(TRANS32_DEP_1) | instskip(NEXT) | instid1(VALU_DEP_1)
	v_fma_f32 v108, -v98, v107, 1.0
	v_fmac_f32_e32 v107, v108, v107
	s_delay_alu instid0(VALU_DEP_1) | instskip(NEXT) | instid1(VALU_DEP_1)
	v_mul_f32_e32 v108, v109, v107
	v_fma_f32 v110, -v98, v108, v109
	s_delay_alu instid0(VALU_DEP_1) | instskip(NEXT) | instid1(VALU_DEP_1)
	v_fmac_f32_e32 v108, v110, v107
	v_fma_f32 v98, -v98, v108, v109
	s_delay_alu instid0(VALU_DEP_1) | instskip(NEXT) | instid1(VALU_DEP_1)
	v_div_fmas_f32 v98, v98, v107, v108
	v_div_fixup_f32 v99, v98, v99, 1.0
	s_delay_alu instid0(VALU_DEP_1)
	v_mul_f32_e32 v98, v101, v99
	v_xor_b32_e32 v99, 0x80000000, v99
.LBB90_784:
	s_and_not1_saveexec_b32 s1, s1
	s_cbranch_execz .LBB90_786
; %bb.785:
	s_delay_alu instid0(VALU_DEP_1) | instskip(SKIP_1) | instid1(VALU_DEP_2)
	v_div_scale_f32 v101, null, v98, v98, v99
	v_div_scale_f32 v109, vcc_lo, v99, v98, v99
	v_rcp_f32_e32 v107, v101
	v_nop
	s_delay_alu instid0(TRANS32_DEP_1) | instskip(NEXT) | instid1(VALU_DEP_1)
	v_fma_f32 v108, -v101, v107, 1.0
	v_fmac_f32_e32 v107, v108, v107
	s_delay_alu instid0(VALU_DEP_1) | instskip(NEXT) | instid1(VALU_DEP_1)
	v_mul_f32_e32 v108, v109, v107
	v_fma_f32 v110, -v101, v108, v109
	s_delay_alu instid0(VALU_DEP_1) | instskip(NEXT) | instid1(VALU_DEP_1)
	v_fmac_f32_e32 v108, v110, v107
	v_fma_f32 v101, -v101, v108, v109
	s_delay_alu instid0(VALU_DEP_1) | instskip(NEXT) | instid1(VALU_DEP_1)
	v_div_fmas_f32 v101, v101, v107, v108
	v_div_fixup_f32 v101, v101, v98, v99
	s_delay_alu instid0(VALU_DEP_1) | instskip(NEXT) | instid1(VALU_DEP_1)
	v_fmac_f32_e32 v98, v99, v101
	v_div_scale_f32 v99, null, v98, v98, 1.0
	s_delay_alu instid0(VALU_DEP_1) | instskip(SKIP_1) | instid1(TRANS32_DEP_1)
	v_rcp_f32_e32 v107, v99
	v_nop
	v_fma_f32 v108, -v99, v107, 1.0
	s_delay_alu instid0(VALU_DEP_1) | instskip(SKIP_1) | instid1(VALU_DEP_1)
	v_fmac_f32_e32 v107, v108, v107
	v_div_scale_f32 v108, vcc_lo, 1.0, v98, 1.0
	v_mul_f32_e32 v109, v108, v107
	s_delay_alu instid0(VALU_DEP_1) | instskip(NEXT) | instid1(VALU_DEP_1)
	v_fma_f32 v110, -v99, v109, v108
	v_fmac_f32_e32 v109, v110, v107
	s_delay_alu instid0(VALU_DEP_1) | instskip(NEXT) | instid1(VALU_DEP_1)
	v_fma_f32 v99, -v99, v109, v108
	v_div_fmas_f32 v99, v99, v107, v109
	s_delay_alu instid0(VALU_DEP_1) | instskip(NEXT) | instid1(VALU_DEP_1)
	v_div_fixup_f32 v98, v99, v98, 1.0
	v_mul_f32_e64 v99, v101, -v98
.LBB90_786:
	s_or_b32 exec_lo, exec_lo, s1
.LBB90_787:
	s_delay_alu instid0(SALU_CYCLE_1) | instskip(NEXT) | instid1(SALU_CYCLE_1)
	s_or_b32 exec_lo, exec_lo, s0
	s_mov_b32 s0, exec_lo
	v_cmpx_ne_u32_e64 v106, v100
	s_xor_b32 s0, exec_lo, s0
	s_cbranch_execz .LBB90_793
; %bb.788:
	s_mov_b32 s1, exec_lo
	v_cmpx_eq_u32_e32 37, v106
	s_cbranch_execz .LBB90_792
; %bb.789:
	v_cmp_ne_u32_e32 vcc_lo, 37, v100
	s_xor_b32 s12, s16, -1
	s_delay_alu instid0(SALU_CYCLE_1) | instskip(NEXT) | instid1(SALU_CYCLE_1)
	s_and_b32 s13, s12, vcc_lo
	s_and_saveexec_b32 s12, s13
	s_cbranch_execz .LBB90_791
; %bb.790:
	v_ashrrev_i32_e32 v101, 31, v100
	s_delay_alu instid0(VALU_DEP_1)
	v_lshl_add_u64 v[106:107], v[100:101], 2, v[4:5]
	s_clause 0x1
	global_load_b32 v101, v[106:107], off
	global_load_b32 v105, v[4:5], off offset:148
	s_wait_loadcnt 0x1
	global_store_b32 v[4:5], v101, off offset:148
	s_wait_loadcnt 0x0
	global_store_b32 v[106:107], v105, off
.LBB90_791:
	s_wait_xcnt 0x0
	s_or_b32 exec_lo, exec_lo, s12
	v_dual_mov_b32 v106, v100 :: v_dual_mov_b32 v105, v100
.LBB90_792:
	s_or_b32 exec_lo, exec_lo, s1
.LBB90_793:
	s_and_not1_saveexec_b32 s0, s0
	s_cbranch_execz .LBB90_795
; %bb.794:
	v_dual_mov_b32 v100, v12 :: v_dual_mov_b32 v101, v13
	v_dual_mov_b32 v108, v8 :: v_dual_mov_b32 v109, v9
	;; [unrolled: 1-line block ×7, first 2 shown]
	v_mov_b32_e32 v119, v15
	ds_store_2addr_b64 v102, v[100:101], v[108:109] offset0:38 offset1:39
	ds_store_2addr_b64 v102, v[110:111], v[112:113] offset0:40 offset1:41
	;; [unrolled: 1-line block ×4, first 2 shown]
.LBB90_795:
	s_or_b32 exec_lo, exec_lo, s0
	s_delay_alu instid0(SALU_CYCLE_1)
	s_mov_b32 s0, exec_lo
	s_wait_storecnt_dscnt 0x0
	s_barrier_signal -1
	s_barrier_wait -1
	v_cmpx_lt_i32_e32 37, v106
	s_cbranch_execz .LBB90_797
; %bb.796:
	v_pk_mul_f32 v[100:101], v[98:99], v[10:11] op_sel:[1,1] op_sel_hi:[0,1]
	s_delay_alu instid0(VALU_DEP_1)
	v_pk_fma_f32 v[108:109], v[98:99], v[10:11], v[100:101] op_sel_hi:[1,0,1] neg_lo:[0,0,1] neg_hi:[0,0,1]
	v_pk_fma_f32 v[110:111], v[98:99], v[10:11], v[100:101] op_sel_hi:[1,0,1]
	ds_load_2addr_b64 v[98:101], v102 offset0:38 offset1:39
	v_dual_mov_b32 v10, v108 :: v_dual_mov_b32 v11, v111
	s_wait_dscnt 0x0
	v_pk_mul_f32 v[112:113], v[98:99], v[110:111] op_sel:[0,1]
	s_delay_alu instid0(VALU_DEP_1) | instskip(SKIP_1) | instid1(VALU_DEP_1)
	v_pk_fma_f32 v[114:115], v[98:99], v[108:109], v[112:113] op_sel:[0,0,1] op_sel_hi:[1,1,0] neg_lo:[0,0,1] neg_hi:[0,0,1]
	v_pk_fma_f32 v[98:99], v[98:99], v[108:109], v[112:113] op_sel:[0,0,1] op_sel_hi:[1,0,0]
	v_mov_b32_e32 v115, v99
	v_pk_mul_f32 v[98:99], v[100:101], v[110:111] op_sel:[0,1]
	s_delay_alu instid0(VALU_DEP_1) | instskip(SKIP_1) | instid1(VALU_DEP_1)
	v_pk_fma_f32 v[112:113], v[100:101], v[108:109], v[98:99] op_sel:[0,0,1] op_sel_hi:[1,1,0] neg_lo:[0,0,1] neg_hi:[0,0,1]
	v_pk_fma_f32 v[98:99], v[100:101], v[108:109], v[98:99] op_sel:[0,0,1] op_sel_hi:[1,0,0]
	v_mov_b32_e32 v113, v99
	ds_load_2addr_b64 v[98:101], v102 offset0:40 offset1:41
	v_pk_add_f32 v[12:13], v[12:13], v[114:115] neg_lo:[0,1] neg_hi:[0,1]
	v_pk_add_f32 v[8:9], v[8:9], v[112:113] neg_lo:[0,1] neg_hi:[0,1]
	s_wait_dscnt 0x0
	v_pk_mul_f32 v[112:113], v[98:99], v[110:111] op_sel:[0,1]
	s_delay_alu instid0(VALU_DEP_1) | instskip(SKIP_2) | instid1(VALU_DEP_2)
	v_pk_fma_f32 v[114:115], v[98:99], v[108:109], v[112:113] op_sel:[0,0,1] op_sel_hi:[1,1,0] neg_lo:[0,0,1] neg_hi:[0,0,1]
	v_pk_fma_f32 v[98:99], v[98:99], v[108:109], v[112:113] op_sel:[0,0,1] op_sel_hi:[1,0,0]
	v_dual_mul_f32 v112, v101, v111 :: v_dual_mov_b32 v98, v101
	v_dual_mov_b32 v115, v99 :: v_dual_mov_b32 v99, v100
	s_delay_alu instid0(VALU_DEP_2) | instskip(SKIP_1) | instid1(VALU_DEP_3)
	v_pk_fma_f32 v[112:113], v[100:101], v[10:11], v[112:113] op_sel_hi:[1,1,0] neg_lo:[0,0,1] neg_hi:[0,0,1]
	v_mul_f32_e32 v100, v101, v108
	v_pk_add_f32 v[68:69], v[68:69], v[114:115] neg_lo:[0,1] neg_hi:[0,1]
	s_delay_alu instid0(VALU_DEP_2) | instskip(NEXT) | instid1(VALU_DEP_1)
	v_pk_fma_f32 v[98:99], v[98:99], v[10:11], v[100:101] op_sel_hi:[1,1,0]
	v_mov_b32_e32 v113, v99
	ds_load_2addr_b64 v[98:101], v102 offset0:42 offset1:43
	v_pk_add_f32 v[6:7], v[6:7], v[112:113] neg_lo:[0,1] neg_hi:[0,1]
	s_wait_dscnt 0x0
	v_pk_mul_f32 v[112:113], v[98:99], v[110:111] op_sel:[0,1]
	s_delay_alu instid0(VALU_DEP_1) | instskip(SKIP_1) | instid1(VALU_DEP_1)
	v_pk_fma_f32 v[114:115], v[98:99], v[108:109], v[112:113] op_sel:[0,0,1] op_sel_hi:[1,1,0] neg_lo:[0,0,1] neg_hi:[0,0,1]
	v_pk_fma_f32 v[98:99], v[98:99], v[108:109], v[112:113] op_sel:[0,0,1] op_sel_hi:[1,0,0]
	v_mov_b32_e32 v115, v99
	v_pk_mul_f32 v[98:99], v[100:101], v[110:111] op_sel:[0,1]
	s_delay_alu instid0(VALU_DEP_1) | instskip(SKIP_1) | instid1(VALU_DEP_1)
	v_pk_fma_f32 v[112:113], v[100:101], v[108:109], v[98:99] op_sel:[0,0,1] op_sel_hi:[1,1,0] neg_lo:[0,0,1] neg_hi:[0,0,1]
	v_pk_fma_f32 v[98:99], v[100:101], v[108:109], v[98:99] op_sel:[0,0,1] op_sel_hi:[1,0,0]
	v_mov_b32_e32 v113, v99
	ds_load_2addr_b64 v[98:101], v102 offset0:44 offset1:45
	v_pk_add_f32 v[54:55], v[54:55], v[114:115] neg_lo:[0,1] neg_hi:[0,1]
	v_pk_add_f32 v[40:41], v[40:41], v[112:113] neg_lo:[0,1] neg_hi:[0,1]
	s_wait_dscnt 0x0
	v_pk_mul_f32 v[112:113], v[98:99], v[110:111] op_sel:[0,1]
	s_delay_alu instid0(VALU_DEP_1) | instskip(SKIP_1) | instid1(VALU_DEP_1)
	v_pk_fma_f32 v[114:115], v[98:99], v[108:109], v[112:113] op_sel:[0,0,1] op_sel_hi:[1,1,0] neg_lo:[0,0,1] neg_hi:[0,0,1]
	v_pk_fma_f32 v[98:99], v[98:99], v[108:109], v[112:113] op_sel:[0,0,1] op_sel_hi:[1,0,0]
	v_mov_b32_e32 v115, v99
	v_pk_mul_f32 v[98:99], v[100:101], v[110:111] op_sel:[0,1]
	s_delay_alu instid0(VALU_DEP_1) | instskip(SKIP_1) | instid1(VALU_DEP_1)
	v_pk_fma_f32 v[110:111], v[100:101], v[108:109], v[98:99] op_sel:[0,0,1] op_sel_hi:[1,1,0] neg_lo:[0,0,1] neg_hi:[0,0,1]
	v_pk_fma_f32 v[98:99], v[100:101], v[108:109], v[98:99] op_sel:[0,0,1] op_sel_hi:[1,0,0]
	v_mov_b32_e32 v111, v99
	v_pk_add_f32 v[14:15], v[14:15], v[114:115] neg_lo:[0,1] neg_hi:[0,1]
	s_delay_alu instid0(VALU_DEP_2)
	v_pk_add_f32 v[96:97], v[96:97], v[110:111] neg_lo:[0,1] neg_hi:[0,1]
.LBB90_797:
	s_or_b32 exec_lo, exec_lo, s0
	v_lshl_add_u32 v98, v106, 3, v102
	s_barrier_signal -1
	s_barrier_wait -1
	ds_store_b64 v98, v[12:13]
	s_wait_dscnt 0x0
	s_barrier_signal -1
	s_barrier_wait -1
	ds_load_b64 v[98:99], v102 offset:304
	v_mov_b32_e32 v100, 38
	s_cmp_lt_i32 s18, 40
	s_cbranch_scc1 .LBB90_800
; %bb.798:
	v_add3_u32 v101, v103, 0, 0x138
	v_mov_b32_e32 v100, 38
	s_mov_b32 s0, 39
.LBB90_799:                             ; =>This Inner Loop Header: Depth=1
	ds_load_b64 v[108:109], v101
	s_wait_dscnt 0x1
	v_cmp_gt_f32_e32 vcc_lo, 0, v98
	v_cndmask_b32_e64 v110, v98, -v98, vcc_lo
	v_cmp_gt_f32_e32 vcc_lo, 0, v99
	v_cndmask_b32_e64 v112, v99, -v99, vcc_lo
	s_wait_dscnt 0x0
	v_cmp_gt_f32_e32 vcc_lo, 0, v108
	v_cndmask_b32_e64 v111, v108, -v108, vcc_lo
	v_cmp_gt_f32_e32 vcc_lo, 0, v109
	v_cndmask_b32_e64 v113, v109, -v109, vcc_lo
	s_delay_alu instid0(VALU_DEP_1) | instskip(NEXT) | instid1(VALU_DEP_1)
	v_pk_add_f32 v[110:111], v[110:111], v[112:113]
	v_cmp_lt_f32_e32 vcc_lo, v110, v111
	v_dual_cndmask_b32 v98, v98, v108 :: v_dual_add_nc_u32 v101, 8, v101
	v_cndmask_b32_e32 v99, v99, v109, vcc_lo
	v_cndmask_b32_e64 v100, v100, s0, vcc_lo
	s_add_co_i32 s0, s0, 1
	s_delay_alu instid0(SALU_CYCLE_1)
	s_cmp_lg_u32 s18, s0
	s_cbranch_scc1 .LBB90_799
.LBB90_800:
	s_wait_dscnt 0x0
	v_cmp_eq_f32_e32 vcc_lo, 0, v98
	v_cmp_eq_f32_e64 s0, 0, v99
	s_and_b32 s0, vcc_lo, s0
	s_delay_alu instid0(SALU_CYCLE_1) | instskip(NEXT) | instid1(SALU_CYCLE_1)
	s_and_saveexec_b32 s1, s0
	s_xor_b32 s0, exec_lo, s1
; %bb.801:
	v_cmp_ne_u32_e32 vcc_lo, 0, v104
	v_cndmask_b32_e32 v104, 39, v104, vcc_lo
; %bb.802:
	s_and_not1_saveexec_b32 s0, s0
	s_cbranch_execz .LBB90_808
; %bb.803:
	v_cmp_ngt_f32_e64 s1, |v98|, |v99|
	s_and_saveexec_b32 s12, s1
	s_delay_alu instid0(SALU_CYCLE_1)
	s_xor_b32 s1, exec_lo, s12
	s_cbranch_execz .LBB90_805
; %bb.804:
	v_div_scale_f32 v101, null, v99, v99, v98
	v_div_scale_f32 v109, vcc_lo, v98, v99, v98
	s_delay_alu instid0(VALU_DEP_2) | instskip(SKIP_1) | instid1(TRANS32_DEP_1)
	v_rcp_f32_e32 v107, v101
	v_nop
	v_fma_f32 v108, -v101, v107, 1.0
	s_delay_alu instid0(VALU_DEP_1) | instskip(NEXT) | instid1(VALU_DEP_1)
	v_fmac_f32_e32 v107, v108, v107
	v_mul_f32_e32 v108, v109, v107
	s_delay_alu instid0(VALU_DEP_1) | instskip(NEXT) | instid1(VALU_DEP_1)
	v_fma_f32 v110, -v101, v108, v109
	v_fmac_f32_e32 v108, v110, v107
	s_delay_alu instid0(VALU_DEP_1) | instskip(NEXT) | instid1(VALU_DEP_1)
	v_fma_f32 v101, -v101, v108, v109
	v_div_fmas_f32 v101, v101, v107, v108
	s_delay_alu instid0(VALU_DEP_1) | instskip(NEXT) | instid1(VALU_DEP_1)
	v_div_fixup_f32 v101, v101, v99, v98
	v_fmac_f32_e32 v99, v98, v101
	s_delay_alu instid0(VALU_DEP_1) | instskip(SKIP_1) | instid1(VALU_DEP_2)
	v_div_scale_f32 v98, null, v99, v99, 1.0
	v_div_scale_f32 v109, vcc_lo, 1.0, v99, 1.0
	v_rcp_f32_e32 v107, v98
	v_nop
	s_delay_alu instid0(TRANS32_DEP_1) | instskip(NEXT) | instid1(VALU_DEP_1)
	v_fma_f32 v108, -v98, v107, 1.0
	v_fmac_f32_e32 v107, v108, v107
	s_delay_alu instid0(VALU_DEP_1) | instskip(NEXT) | instid1(VALU_DEP_1)
	v_mul_f32_e32 v108, v109, v107
	v_fma_f32 v110, -v98, v108, v109
	s_delay_alu instid0(VALU_DEP_1) | instskip(NEXT) | instid1(VALU_DEP_1)
	v_fmac_f32_e32 v108, v110, v107
	v_fma_f32 v98, -v98, v108, v109
	s_delay_alu instid0(VALU_DEP_1) | instskip(NEXT) | instid1(VALU_DEP_1)
	v_div_fmas_f32 v98, v98, v107, v108
	v_div_fixup_f32 v99, v98, v99, 1.0
	s_delay_alu instid0(VALU_DEP_1)
	v_mul_f32_e32 v98, v101, v99
	v_xor_b32_e32 v99, 0x80000000, v99
.LBB90_805:
	s_and_not1_saveexec_b32 s1, s1
	s_cbranch_execz .LBB90_807
; %bb.806:
	s_delay_alu instid0(VALU_DEP_1) | instskip(SKIP_1) | instid1(VALU_DEP_2)
	v_div_scale_f32 v101, null, v98, v98, v99
	v_div_scale_f32 v109, vcc_lo, v99, v98, v99
	v_rcp_f32_e32 v107, v101
	v_nop
	s_delay_alu instid0(TRANS32_DEP_1) | instskip(NEXT) | instid1(VALU_DEP_1)
	v_fma_f32 v108, -v101, v107, 1.0
	v_fmac_f32_e32 v107, v108, v107
	s_delay_alu instid0(VALU_DEP_1) | instskip(NEXT) | instid1(VALU_DEP_1)
	v_mul_f32_e32 v108, v109, v107
	v_fma_f32 v110, -v101, v108, v109
	s_delay_alu instid0(VALU_DEP_1) | instskip(NEXT) | instid1(VALU_DEP_1)
	v_fmac_f32_e32 v108, v110, v107
	v_fma_f32 v101, -v101, v108, v109
	s_delay_alu instid0(VALU_DEP_1) | instskip(NEXT) | instid1(VALU_DEP_1)
	v_div_fmas_f32 v101, v101, v107, v108
	v_div_fixup_f32 v101, v101, v98, v99
	s_delay_alu instid0(VALU_DEP_1) | instskip(NEXT) | instid1(VALU_DEP_1)
	v_fmac_f32_e32 v98, v99, v101
	v_div_scale_f32 v99, null, v98, v98, 1.0
	s_delay_alu instid0(VALU_DEP_1) | instskip(SKIP_1) | instid1(TRANS32_DEP_1)
	v_rcp_f32_e32 v107, v99
	v_nop
	v_fma_f32 v108, -v99, v107, 1.0
	s_delay_alu instid0(VALU_DEP_1) | instskip(SKIP_1) | instid1(VALU_DEP_1)
	v_fmac_f32_e32 v107, v108, v107
	v_div_scale_f32 v108, vcc_lo, 1.0, v98, 1.0
	v_mul_f32_e32 v109, v108, v107
	s_delay_alu instid0(VALU_DEP_1) | instskip(NEXT) | instid1(VALU_DEP_1)
	v_fma_f32 v110, -v99, v109, v108
	v_fmac_f32_e32 v109, v110, v107
	s_delay_alu instid0(VALU_DEP_1) | instskip(NEXT) | instid1(VALU_DEP_1)
	v_fma_f32 v99, -v99, v109, v108
	v_div_fmas_f32 v99, v99, v107, v109
	s_delay_alu instid0(VALU_DEP_1) | instskip(NEXT) | instid1(VALU_DEP_1)
	v_div_fixup_f32 v98, v99, v98, 1.0
	v_mul_f32_e64 v99, v101, -v98
.LBB90_807:
	s_or_b32 exec_lo, exec_lo, s1
.LBB90_808:
	s_delay_alu instid0(SALU_CYCLE_1) | instskip(NEXT) | instid1(SALU_CYCLE_1)
	s_or_b32 exec_lo, exec_lo, s0
	s_mov_b32 s0, exec_lo
	v_cmpx_ne_u32_e64 v106, v100
	s_xor_b32 s0, exec_lo, s0
	s_cbranch_execz .LBB90_814
; %bb.809:
	s_mov_b32 s1, exec_lo
	v_cmpx_eq_u32_e32 38, v106
	s_cbranch_execz .LBB90_813
; %bb.810:
	v_cmp_ne_u32_e32 vcc_lo, 38, v100
	s_xor_b32 s12, s16, -1
	s_delay_alu instid0(SALU_CYCLE_1) | instskip(NEXT) | instid1(SALU_CYCLE_1)
	s_and_b32 s13, s12, vcc_lo
	s_and_saveexec_b32 s12, s13
	s_cbranch_execz .LBB90_812
; %bb.811:
	v_ashrrev_i32_e32 v101, 31, v100
	s_delay_alu instid0(VALU_DEP_1)
	v_lshl_add_u64 v[106:107], v[100:101], 2, v[4:5]
	s_clause 0x1
	global_load_b32 v101, v[106:107], off
	global_load_b32 v105, v[4:5], off offset:152
	s_wait_loadcnt 0x1
	global_store_b32 v[4:5], v101, off offset:152
	s_wait_loadcnt 0x0
	global_store_b32 v[106:107], v105, off
.LBB90_812:
	s_wait_xcnt 0x0
	s_or_b32 exec_lo, exec_lo, s12
	v_dual_mov_b32 v106, v100 :: v_dual_mov_b32 v105, v100
.LBB90_813:
	s_or_b32 exec_lo, exec_lo, s1
.LBB90_814:
	s_and_not1_saveexec_b32 s0, s0
	s_cbranch_execz .LBB90_816
; %bb.815:
	v_mov_b32_e32 v106, 38
	ds_store_2addr_b64 v102, v[8:9], v[68:69] offset0:39 offset1:40
	ds_store_2addr_b64 v102, v[6:7], v[54:55] offset0:41 offset1:42
	;; [unrolled: 1-line block ×3, first 2 shown]
	ds_store_b64 v102, v[96:97] offset:360
.LBB90_816:
	s_or_b32 exec_lo, exec_lo, s0
	s_delay_alu instid0(SALU_CYCLE_1)
	s_mov_b32 s0, exec_lo
	s_wait_storecnt_dscnt 0x0
	s_barrier_signal -1
	s_barrier_wait -1
	v_cmpx_lt_i32_e32 38, v106
	s_cbranch_execz .LBB90_818
; %bb.817:
	v_pk_mul_f32 v[100:101], v[98:99], v[12:13] op_sel:[1,1] op_sel_hi:[0,1]
	s_delay_alu instid0(VALU_DEP_1)
	v_pk_fma_f32 v[108:109], v[98:99], v[12:13], v[100:101] op_sel_hi:[1,0,1] neg_lo:[0,0,1] neg_hi:[0,0,1]
	v_pk_fma_f32 v[110:111], v[98:99], v[12:13], v[100:101] op_sel_hi:[1,0,1]
	ds_load_2addr_b64 v[98:101], v102 offset0:39 offset1:40
	v_dual_mov_b32 v12, v108 :: v_dual_mov_b32 v13, v111
	s_wait_dscnt 0x0
	v_pk_mul_f32 v[112:113], v[98:99], v[110:111] op_sel:[0,1]
	s_delay_alu instid0(VALU_DEP_1) | instskip(SKIP_1) | instid1(VALU_DEP_1)
	v_pk_fma_f32 v[114:115], v[98:99], v[108:109], v[112:113] op_sel:[0,0,1] op_sel_hi:[1,1,0] neg_lo:[0,0,1] neg_hi:[0,0,1]
	v_pk_fma_f32 v[98:99], v[98:99], v[108:109], v[112:113] op_sel:[0,0,1] op_sel_hi:[1,0,0]
	v_mov_b32_e32 v115, v99
	v_pk_mul_f32 v[98:99], v[100:101], v[110:111] op_sel:[0,1]
	s_delay_alu instid0(VALU_DEP_1) | instskip(SKIP_1) | instid1(VALU_DEP_1)
	v_pk_fma_f32 v[112:113], v[100:101], v[108:109], v[98:99] op_sel:[0,0,1] op_sel_hi:[1,1,0] neg_lo:[0,0,1] neg_hi:[0,0,1]
	v_pk_fma_f32 v[98:99], v[100:101], v[108:109], v[98:99] op_sel:[0,0,1] op_sel_hi:[1,0,0]
	v_mov_b32_e32 v113, v99
	ds_load_2addr_b64 v[98:101], v102 offset0:41 offset1:42
	v_pk_add_f32 v[8:9], v[8:9], v[114:115] neg_lo:[0,1] neg_hi:[0,1]
	v_pk_add_f32 v[68:69], v[68:69], v[112:113] neg_lo:[0,1] neg_hi:[0,1]
	s_wait_dscnt 0x0
	v_pk_mul_f32 v[112:113], v[98:99], v[110:111] op_sel:[0,1]
	s_delay_alu instid0(VALU_DEP_1) | instskip(SKIP_2) | instid1(VALU_DEP_2)
	v_pk_fma_f32 v[114:115], v[98:99], v[108:109], v[112:113] op_sel:[0,0,1] op_sel_hi:[1,1,0] neg_lo:[0,0,1] neg_hi:[0,0,1]
	v_pk_fma_f32 v[98:99], v[98:99], v[108:109], v[112:113] op_sel:[0,0,1] op_sel_hi:[1,0,0]
	v_dual_mul_f32 v112, v101, v111 :: v_dual_mov_b32 v98, v101
	v_dual_mov_b32 v115, v99 :: v_dual_mov_b32 v99, v100
	s_delay_alu instid0(VALU_DEP_2) | instskip(SKIP_1) | instid1(VALU_DEP_3)
	v_pk_fma_f32 v[112:113], v[100:101], v[12:13], v[112:113] op_sel_hi:[1,1,0] neg_lo:[0,0,1] neg_hi:[0,0,1]
	v_mul_f32_e32 v100, v101, v108
	v_pk_add_f32 v[6:7], v[6:7], v[114:115] neg_lo:[0,1] neg_hi:[0,1]
	s_delay_alu instid0(VALU_DEP_2) | instskip(NEXT) | instid1(VALU_DEP_1)
	v_pk_fma_f32 v[98:99], v[98:99], v[12:13], v[100:101] op_sel_hi:[1,1,0]
	v_mov_b32_e32 v113, v99
	ds_load_2addr_b64 v[98:101], v102 offset0:43 offset1:44
	v_pk_add_f32 v[54:55], v[54:55], v[112:113] neg_lo:[0,1] neg_hi:[0,1]
	s_wait_dscnt 0x0
	v_pk_mul_f32 v[112:113], v[98:99], v[110:111] op_sel:[0,1]
	s_delay_alu instid0(VALU_DEP_1) | instskip(SKIP_1) | instid1(VALU_DEP_1)
	v_pk_fma_f32 v[114:115], v[98:99], v[108:109], v[112:113] op_sel:[0,0,1] op_sel_hi:[1,1,0] neg_lo:[0,0,1] neg_hi:[0,0,1]
	v_pk_fma_f32 v[98:99], v[98:99], v[108:109], v[112:113] op_sel:[0,0,1] op_sel_hi:[1,0,0]
	v_mov_b32_e32 v115, v99
	v_pk_mul_f32 v[98:99], v[100:101], v[110:111] op_sel:[0,1]
	s_delay_alu instid0(VALU_DEP_1) | instskip(SKIP_1) | instid1(VALU_DEP_1)
	v_pk_fma_f32 v[112:113], v[100:101], v[108:109], v[98:99] op_sel:[0,0,1] op_sel_hi:[1,1,0] neg_lo:[0,0,1] neg_hi:[0,0,1]
	v_pk_fma_f32 v[98:99], v[100:101], v[108:109], v[98:99] op_sel:[0,0,1] op_sel_hi:[1,0,0]
	v_mov_b32_e32 v113, v99
	ds_load_b64 v[98:99], v102 offset:360
	v_pk_add_f32 v[40:41], v[40:41], v[114:115] neg_lo:[0,1] neg_hi:[0,1]
	v_pk_add_f32 v[14:15], v[14:15], v[112:113] neg_lo:[0,1] neg_hi:[0,1]
	s_wait_dscnt 0x0
	v_pk_mul_f32 v[100:101], v[98:99], v[110:111] op_sel:[0,1]
	s_delay_alu instid0(VALU_DEP_1) | instskip(SKIP_1) | instid1(VALU_DEP_1)
	v_pk_fma_f32 v[110:111], v[98:99], v[108:109], v[100:101] op_sel:[0,0,1] op_sel_hi:[1,1,0] neg_lo:[0,0,1] neg_hi:[0,0,1]
	v_pk_fma_f32 v[98:99], v[98:99], v[108:109], v[100:101] op_sel:[0,0,1] op_sel_hi:[1,0,0]
	v_mov_b32_e32 v111, v99
	s_delay_alu instid0(VALU_DEP_1)
	v_pk_add_f32 v[96:97], v[96:97], v[110:111] neg_lo:[0,1] neg_hi:[0,1]
.LBB90_818:
	s_or_b32 exec_lo, exec_lo, s0
	v_lshl_add_u32 v98, v106, 3, v102
	s_barrier_signal -1
	s_barrier_wait -1
	ds_store_b64 v98, v[8:9]
	s_wait_dscnt 0x0
	s_barrier_signal -1
	s_barrier_wait -1
	ds_load_b64 v[98:99], v102 offset:312
	v_mov_b32_e32 v100, 39
	s_cmp_lt_i32 s18, 41
	s_cbranch_scc1 .LBB90_821
; %bb.819:
	v_add3_u32 v101, v103, 0, 0x140
	v_mov_b32_e32 v100, 39
	s_mov_b32 s0, 40
.LBB90_820:                             ; =>This Inner Loop Header: Depth=1
	ds_load_b64 v[108:109], v101
	s_wait_dscnt 0x1
	v_cmp_gt_f32_e32 vcc_lo, 0, v98
	v_cndmask_b32_e64 v110, v98, -v98, vcc_lo
	v_cmp_gt_f32_e32 vcc_lo, 0, v99
	v_cndmask_b32_e64 v112, v99, -v99, vcc_lo
	s_wait_dscnt 0x0
	v_cmp_gt_f32_e32 vcc_lo, 0, v108
	v_cndmask_b32_e64 v111, v108, -v108, vcc_lo
	v_cmp_gt_f32_e32 vcc_lo, 0, v109
	v_cndmask_b32_e64 v113, v109, -v109, vcc_lo
	s_delay_alu instid0(VALU_DEP_1) | instskip(NEXT) | instid1(VALU_DEP_1)
	v_pk_add_f32 v[110:111], v[110:111], v[112:113]
	v_cmp_lt_f32_e32 vcc_lo, v110, v111
	v_dual_cndmask_b32 v98, v98, v108 :: v_dual_add_nc_u32 v101, 8, v101
	v_cndmask_b32_e32 v99, v99, v109, vcc_lo
	v_cndmask_b32_e64 v100, v100, s0, vcc_lo
	s_add_co_i32 s0, s0, 1
	s_delay_alu instid0(SALU_CYCLE_1)
	s_cmp_lg_u32 s18, s0
	s_cbranch_scc1 .LBB90_820
.LBB90_821:
	s_wait_dscnt 0x0
	v_cmp_eq_f32_e32 vcc_lo, 0, v98
	v_cmp_eq_f32_e64 s0, 0, v99
	s_and_b32 s0, vcc_lo, s0
	s_delay_alu instid0(SALU_CYCLE_1) | instskip(NEXT) | instid1(SALU_CYCLE_1)
	s_and_saveexec_b32 s1, s0
	s_xor_b32 s0, exec_lo, s1
; %bb.822:
	v_cmp_ne_u32_e32 vcc_lo, 0, v104
	v_cndmask_b32_e32 v104, 40, v104, vcc_lo
; %bb.823:
	s_and_not1_saveexec_b32 s0, s0
	s_cbranch_execz .LBB90_829
; %bb.824:
	v_cmp_ngt_f32_e64 s1, |v98|, |v99|
	s_and_saveexec_b32 s12, s1
	s_delay_alu instid0(SALU_CYCLE_1)
	s_xor_b32 s1, exec_lo, s12
	s_cbranch_execz .LBB90_826
; %bb.825:
	v_div_scale_f32 v101, null, v99, v99, v98
	v_div_scale_f32 v109, vcc_lo, v98, v99, v98
	s_delay_alu instid0(VALU_DEP_2) | instskip(SKIP_1) | instid1(TRANS32_DEP_1)
	v_rcp_f32_e32 v107, v101
	v_nop
	v_fma_f32 v108, -v101, v107, 1.0
	s_delay_alu instid0(VALU_DEP_1) | instskip(NEXT) | instid1(VALU_DEP_1)
	v_fmac_f32_e32 v107, v108, v107
	v_mul_f32_e32 v108, v109, v107
	s_delay_alu instid0(VALU_DEP_1) | instskip(NEXT) | instid1(VALU_DEP_1)
	v_fma_f32 v110, -v101, v108, v109
	v_fmac_f32_e32 v108, v110, v107
	s_delay_alu instid0(VALU_DEP_1) | instskip(NEXT) | instid1(VALU_DEP_1)
	v_fma_f32 v101, -v101, v108, v109
	v_div_fmas_f32 v101, v101, v107, v108
	s_delay_alu instid0(VALU_DEP_1) | instskip(NEXT) | instid1(VALU_DEP_1)
	v_div_fixup_f32 v101, v101, v99, v98
	v_fmac_f32_e32 v99, v98, v101
	s_delay_alu instid0(VALU_DEP_1) | instskip(SKIP_1) | instid1(VALU_DEP_2)
	v_div_scale_f32 v98, null, v99, v99, 1.0
	v_div_scale_f32 v109, vcc_lo, 1.0, v99, 1.0
	v_rcp_f32_e32 v107, v98
	v_nop
	s_delay_alu instid0(TRANS32_DEP_1) | instskip(NEXT) | instid1(VALU_DEP_1)
	v_fma_f32 v108, -v98, v107, 1.0
	v_fmac_f32_e32 v107, v108, v107
	s_delay_alu instid0(VALU_DEP_1) | instskip(NEXT) | instid1(VALU_DEP_1)
	v_mul_f32_e32 v108, v109, v107
	v_fma_f32 v110, -v98, v108, v109
	s_delay_alu instid0(VALU_DEP_1) | instskip(NEXT) | instid1(VALU_DEP_1)
	v_fmac_f32_e32 v108, v110, v107
	v_fma_f32 v98, -v98, v108, v109
	s_delay_alu instid0(VALU_DEP_1) | instskip(NEXT) | instid1(VALU_DEP_1)
	v_div_fmas_f32 v98, v98, v107, v108
	v_div_fixup_f32 v99, v98, v99, 1.0
	s_delay_alu instid0(VALU_DEP_1)
	v_mul_f32_e32 v98, v101, v99
	v_xor_b32_e32 v99, 0x80000000, v99
.LBB90_826:
	s_and_not1_saveexec_b32 s1, s1
	s_cbranch_execz .LBB90_828
; %bb.827:
	s_delay_alu instid0(VALU_DEP_1) | instskip(SKIP_1) | instid1(VALU_DEP_2)
	v_div_scale_f32 v101, null, v98, v98, v99
	v_div_scale_f32 v109, vcc_lo, v99, v98, v99
	v_rcp_f32_e32 v107, v101
	v_nop
	s_delay_alu instid0(TRANS32_DEP_1) | instskip(NEXT) | instid1(VALU_DEP_1)
	v_fma_f32 v108, -v101, v107, 1.0
	v_fmac_f32_e32 v107, v108, v107
	s_delay_alu instid0(VALU_DEP_1) | instskip(NEXT) | instid1(VALU_DEP_1)
	v_mul_f32_e32 v108, v109, v107
	v_fma_f32 v110, -v101, v108, v109
	s_delay_alu instid0(VALU_DEP_1) | instskip(NEXT) | instid1(VALU_DEP_1)
	v_fmac_f32_e32 v108, v110, v107
	v_fma_f32 v101, -v101, v108, v109
	s_delay_alu instid0(VALU_DEP_1) | instskip(NEXT) | instid1(VALU_DEP_1)
	v_div_fmas_f32 v101, v101, v107, v108
	v_div_fixup_f32 v101, v101, v98, v99
	s_delay_alu instid0(VALU_DEP_1) | instskip(NEXT) | instid1(VALU_DEP_1)
	v_fmac_f32_e32 v98, v99, v101
	v_div_scale_f32 v99, null, v98, v98, 1.0
	s_delay_alu instid0(VALU_DEP_1) | instskip(SKIP_1) | instid1(TRANS32_DEP_1)
	v_rcp_f32_e32 v107, v99
	v_nop
	v_fma_f32 v108, -v99, v107, 1.0
	s_delay_alu instid0(VALU_DEP_1) | instskip(SKIP_1) | instid1(VALU_DEP_1)
	v_fmac_f32_e32 v107, v108, v107
	v_div_scale_f32 v108, vcc_lo, 1.0, v98, 1.0
	v_mul_f32_e32 v109, v108, v107
	s_delay_alu instid0(VALU_DEP_1) | instskip(NEXT) | instid1(VALU_DEP_1)
	v_fma_f32 v110, -v99, v109, v108
	v_fmac_f32_e32 v109, v110, v107
	s_delay_alu instid0(VALU_DEP_1) | instskip(NEXT) | instid1(VALU_DEP_1)
	v_fma_f32 v99, -v99, v109, v108
	v_div_fmas_f32 v99, v99, v107, v109
	s_delay_alu instid0(VALU_DEP_1) | instskip(NEXT) | instid1(VALU_DEP_1)
	v_div_fixup_f32 v98, v99, v98, 1.0
	v_mul_f32_e64 v99, v101, -v98
.LBB90_828:
	s_or_b32 exec_lo, exec_lo, s1
.LBB90_829:
	s_delay_alu instid0(SALU_CYCLE_1) | instskip(NEXT) | instid1(SALU_CYCLE_1)
	s_or_b32 exec_lo, exec_lo, s0
	s_mov_b32 s0, exec_lo
	v_cmpx_ne_u32_e64 v106, v100
	s_xor_b32 s0, exec_lo, s0
	s_cbranch_execz .LBB90_835
; %bb.830:
	s_mov_b32 s1, exec_lo
	v_cmpx_eq_u32_e32 39, v106
	s_cbranch_execz .LBB90_834
; %bb.831:
	v_cmp_ne_u32_e32 vcc_lo, 39, v100
	s_xor_b32 s12, s16, -1
	s_delay_alu instid0(SALU_CYCLE_1) | instskip(NEXT) | instid1(SALU_CYCLE_1)
	s_and_b32 s13, s12, vcc_lo
	s_and_saveexec_b32 s12, s13
	s_cbranch_execz .LBB90_833
; %bb.832:
	v_ashrrev_i32_e32 v101, 31, v100
	s_delay_alu instid0(VALU_DEP_1)
	v_lshl_add_u64 v[106:107], v[100:101], 2, v[4:5]
	s_clause 0x1
	global_load_b32 v101, v[106:107], off
	global_load_b32 v105, v[4:5], off offset:156
	s_wait_loadcnt 0x1
	global_store_b32 v[4:5], v101, off offset:156
	s_wait_loadcnt 0x0
	global_store_b32 v[106:107], v105, off
.LBB90_833:
	s_wait_xcnt 0x0
	s_or_b32 exec_lo, exec_lo, s12
	v_dual_mov_b32 v106, v100 :: v_dual_mov_b32 v105, v100
.LBB90_834:
	s_or_b32 exec_lo, exec_lo, s1
.LBB90_835:
	s_and_not1_saveexec_b32 s0, s0
	s_cbranch_execz .LBB90_837
; %bb.836:
	v_dual_mov_b32 v100, v68 :: v_dual_mov_b32 v101, v69
	v_dual_mov_b32 v108, v6 :: v_dual_mov_b32 v109, v7
	;; [unrolled: 1-line block ×5, first 2 shown]
	v_mov_b32_e32 v115, v15
	ds_store_2addr_b64 v102, v[100:101], v[108:109] offset0:40 offset1:41
	ds_store_2addr_b64 v102, v[110:111], v[112:113] offset0:42 offset1:43
	;; [unrolled: 1-line block ×3, first 2 shown]
.LBB90_837:
	s_or_b32 exec_lo, exec_lo, s0
	s_delay_alu instid0(SALU_CYCLE_1)
	s_mov_b32 s0, exec_lo
	s_wait_storecnt_dscnt 0x0
	s_barrier_signal -1
	s_barrier_wait -1
	v_cmpx_lt_i32_e32 39, v106
	s_cbranch_execz .LBB90_839
; %bb.838:
	v_pk_mul_f32 v[100:101], v[98:99], v[8:9] op_sel:[1,1] op_sel_hi:[0,1]
	s_delay_alu instid0(VALU_DEP_1)
	v_pk_fma_f32 v[108:109], v[98:99], v[8:9], v[100:101] op_sel_hi:[1,0,1] neg_lo:[0,0,1] neg_hi:[0,0,1]
	v_pk_fma_f32 v[110:111], v[98:99], v[8:9], v[100:101] op_sel_hi:[1,0,1]
	ds_load_2addr_b64 v[98:101], v102 offset0:40 offset1:41
	v_dual_mov_b32 v8, v108 :: v_dual_mov_b32 v9, v111
	s_wait_dscnt 0x0
	v_pk_mul_f32 v[112:113], v[98:99], v[110:111] op_sel:[0,1]
	s_delay_alu instid0(VALU_DEP_1) | instskip(SKIP_1) | instid1(VALU_DEP_1)
	v_pk_fma_f32 v[114:115], v[98:99], v[108:109], v[112:113] op_sel:[0,0,1] op_sel_hi:[1,1,0] neg_lo:[0,0,1] neg_hi:[0,0,1]
	v_pk_fma_f32 v[98:99], v[98:99], v[108:109], v[112:113] op_sel:[0,0,1] op_sel_hi:[1,0,0]
	v_mov_b32_e32 v115, v99
	v_pk_mul_f32 v[98:99], v[100:101], v[110:111] op_sel:[0,1]
	s_delay_alu instid0(VALU_DEP_1) | instskip(SKIP_1) | instid1(VALU_DEP_1)
	v_pk_fma_f32 v[112:113], v[100:101], v[108:109], v[98:99] op_sel:[0,0,1] op_sel_hi:[1,1,0] neg_lo:[0,0,1] neg_hi:[0,0,1]
	v_pk_fma_f32 v[98:99], v[100:101], v[108:109], v[98:99] op_sel:[0,0,1] op_sel_hi:[1,0,0]
	v_mov_b32_e32 v113, v99
	ds_load_2addr_b64 v[98:101], v102 offset0:42 offset1:43
	v_pk_add_f32 v[68:69], v[68:69], v[114:115] neg_lo:[0,1] neg_hi:[0,1]
	v_pk_add_f32 v[6:7], v[6:7], v[112:113] neg_lo:[0,1] neg_hi:[0,1]
	s_wait_dscnt 0x0
	v_pk_mul_f32 v[112:113], v[98:99], v[110:111] op_sel:[0,1]
	s_delay_alu instid0(VALU_DEP_1) | instskip(SKIP_2) | instid1(VALU_DEP_2)
	v_pk_fma_f32 v[114:115], v[98:99], v[108:109], v[112:113] op_sel:[0,0,1] op_sel_hi:[1,1,0] neg_lo:[0,0,1] neg_hi:[0,0,1]
	v_pk_fma_f32 v[98:99], v[98:99], v[108:109], v[112:113] op_sel:[0,0,1] op_sel_hi:[1,0,0]
	v_dual_mul_f32 v112, v101, v111 :: v_dual_mov_b32 v98, v101
	v_dual_mov_b32 v115, v99 :: v_dual_mov_b32 v99, v100
	s_delay_alu instid0(VALU_DEP_2) | instskip(SKIP_1) | instid1(VALU_DEP_3)
	v_pk_fma_f32 v[112:113], v[100:101], v[8:9], v[112:113] op_sel_hi:[1,1,0] neg_lo:[0,0,1] neg_hi:[0,0,1]
	v_mul_f32_e32 v100, v101, v108
	v_pk_add_f32 v[54:55], v[54:55], v[114:115] neg_lo:[0,1] neg_hi:[0,1]
	s_delay_alu instid0(VALU_DEP_2) | instskip(NEXT) | instid1(VALU_DEP_1)
	v_pk_fma_f32 v[98:99], v[98:99], v[8:9], v[100:101] op_sel_hi:[1,1,0]
	v_mov_b32_e32 v113, v99
	ds_load_2addr_b64 v[98:101], v102 offset0:44 offset1:45
	v_pk_add_f32 v[40:41], v[40:41], v[112:113] neg_lo:[0,1] neg_hi:[0,1]
	s_wait_dscnt 0x0
	v_pk_mul_f32 v[112:113], v[98:99], v[110:111] op_sel:[0,1]
	v_mul_f32_e32 v110, v101, v111
	s_delay_alu instid0(VALU_DEP_2) | instskip(SKIP_2) | instid1(VALU_DEP_4)
	v_pk_fma_f32 v[114:115], v[98:99], v[108:109], v[112:113] op_sel:[0,0,1] op_sel_hi:[1,1,0] neg_lo:[0,0,1] neg_hi:[0,0,1]
	v_pk_fma_f32 v[98:99], v[98:99], v[108:109], v[112:113] op_sel:[0,0,1] op_sel_hi:[1,0,0]
	v_mov_b32_e32 v98, v101
	v_pk_fma_f32 v[110:111], v[100:101], v[8:9], v[110:111] op_sel_hi:[1,1,0] neg_lo:[0,0,1] neg_hi:[0,0,1]
	s_delay_alu instid0(VALU_DEP_3) | instskip(SKIP_1) | instid1(VALU_DEP_2)
	v_dual_mov_b32 v115, v99 :: v_dual_mov_b32 v99, v100
	v_mul_f32_e32 v100, v101, v108
	v_pk_add_f32 v[14:15], v[14:15], v[114:115] neg_lo:[0,1] neg_hi:[0,1]
	s_delay_alu instid0(VALU_DEP_2) | instskip(NEXT) | instid1(VALU_DEP_1)
	v_pk_fma_f32 v[98:99], v[98:99], v[8:9], v[100:101] op_sel_hi:[1,1,0]
	v_mov_b32_e32 v111, v99
	s_delay_alu instid0(VALU_DEP_1)
	v_pk_add_f32 v[96:97], v[96:97], v[110:111] neg_lo:[0,1] neg_hi:[0,1]
.LBB90_839:
	s_or_b32 exec_lo, exec_lo, s0
	v_lshl_add_u32 v98, v106, 3, v102
	s_barrier_signal -1
	s_barrier_wait -1
	ds_store_b64 v98, v[68:69]
	s_wait_dscnt 0x0
	s_barrier_signal -1
	s_barrier_wait -1
	ds_load_b64 v[98:99], v102 offset:320
	v_mov_b32_e32 v100, 40
	s_cmp_lt_i32 s18, 42
	s_cbranch_scc1 .LBB90_842
; %bb.840:
	v_add3_u32 v101, v103, 0, 0x148
	v_mov_b32_e32 v100, 40
	s_mov_b32 s0, 41
.LBB90_841:                             ; =>This Inner Loop Header: Depth=1
	ds_load_b64 v[108:109], v101
	s_wait_dscnt 0x1
	v_cmp_gt_f32_e32 vcc_lo, 0, v98
	v_cndmask_b32_e64 v110, v98, -v98, vcc_lo
	v_cmp_gt_f32_e32 vcc_lo, 0, v99
	v_cndmask_b32_e64 v112, v99, -v99, vcc_lo
	s_wait_dscnt 0x0
	v_cmp_gt_f32_e32 vcc_lo, 0, v108
	v_cndmask_b32_e64 v111, v108, -v108, vcc_lo
	v_cmp_gt_f32_e32 vcc_lo, 0, v109
	v_cndmask_b32_e64 v113, v109, -v109, vcc_lo
	s_delay_alu instid0(VALU_DEP_1) | instskip(NEXT) | instid1(VALU_DEP_1)
	v_pk_add_f32 v[110:111], v[110:111], v[112:113]
	v_cmp_lt_f32_e32 vcc_lo, v110, v111
	v_dual_cndmask_b32 v98, v98, v108 :: v_dual_add_nc_u32 v101, 8, v101
	v_cndmask_b32_e32 v99, v99, v109, vcc_lo
	v_cndmask_b32_e64 v100, v100, s0, vcc_lo
	s_add_co_i32 s0, s0, 1
	s_delay_alu instid0(SALU_CYCLE_1)
	s_cmp_lg_u32 s18, s0
	s_cbranch_scc1 .LBB90_841
.LBB90_842:
	s_wait_dscnt 0x0
	v_cmp_eq_f32_e32 vcc_lo, 0, v98
	v_cmp_eq_f32_e64 s0, 0, v99
	s_and_b32 s0, vcc_lo, s0
	s_delay_alu instid0(SALU_CYCLE_1) | instskip(NEXT) | instid1(SALU_CYCLE_1)
	s_and_saveexec_b32 s1, s0
	s_xor_b32 s0, exec_lo, s1
; %bb.843:
	v_cmp_ne_u32_e32 vcc_lo, 0, v104
	v_cndmask_b32_e32 v104, 41, v104, vcc_lo
; %bb.844:
	s_and_not1_saveexec_b32 s0, s0
	s_cbranch_execz .LBB90_850
; %bb.845:
	v_cmp_ngt_f32_e64 s1, |v98|, |v99|
	s_and_saveexec_b32 s12, s1
	s_delay_alu instid0(SALU_CYCLE_1)
	s_xor_b32 s1, exec_lo, s12
	s_cbranch_execz .LBB90_847
; %bb.846:
	v_div_scale_f32 v101, null, v99, v99, v98
	v_div_scale_f32 v109, vcc_lo, v98, v99, v98
	s_delay_alu instid0(VALU_DEP_2) | instskip(SKIP_1) | instid1(TRANS32_DEP_1)
	v_rcp_f32_e32 v107, v101
	v_nop
	v_fma_f32 v108, -v101, v107, 1.0
	s_delay_alu instid0(VALU_DEP_1) | instskip(NEXT) | instid1(VALU_DEP_1)
	v_fmac_f32_e32 v107, v108, v107
	v_mul_f32_e32 v108, v109, v107
	s_delay_alu instid0(VALU_DEP_1) | instskip(NEXT) | instid1(VALU_DEP_1)
	v_fma_f32 v110, -v101, v108, v109
	v_fmac_f32_e32 v108, v110, v107
	s_delay_alu instid0(VALU_DEP_1) | instskip(NEXT) | instid1(VALU_DEP_1)
	v_fma_f32 v101, -v101, v108, v109
	v_div_fmas_f32 v101, v101, v107, v108
	s_delay_alu instid0(VALU_DEP_1) | instskip(NEXT) | instid1(VALU_DEP_1)
	v_div_fixup_f32 v101, v101, v99, v98
	v_fmac_f32_e32 v99, v98, v101
	s_delay_alu instid0(VALU_DEP_1) | instskip(SKIP_1) | instid1(VALU_DEP_2)
	v_div_scale_f32 v98, null, v99, v99, 1.0
	v_div_scale_f32 v109, vcc_lo, 1.0, v99, 1.0
	v_rcp_f32_e32 v107, v98
	v_nop
	s_delay_alu instid0(TRANS32_DEP_1) | instskip(NEXT) | instid1(VALU_DEP_1)
	v_fma_f32 v108, -v98, v107, 1.0
	v_fmac_f32_e32 v107, v108, v107
	s_delay_alu instid0(VALU_DEP_1) | instskip(NEXT) | instid1(VALU_DEP_1)
	v_mul_f32_e32 v108, v109, v107
	v_fma_f32 v110, -v98, v108, v109
	s_delay_alu instid0(VALU_DEP_1) | instskip(NEXT) | instid1(VALU_DEP_1)
	v_fmac_f32_e32 v108, v110, v107
	v_fma_f32 v98, -v98, v108, v109
	s_delay_alu instid0(VALU_DEP_1) | instskip(NEXT) | instid1(VALU_DEP_1)
	v_div_fmas_f32 v98, v98, v107, v108
	v_div_fixup_f32 v99, v98, v99, 1.0
	s_delay_alu instid0(VALU_DEP_1)
	v_mul_f32_e32 v98, v101, v99
	v_xor_b32_e32 v99, 0x80000000, v99
.LBB90_847:
	s_and_not1_saveexec_b32 s1, s1
	s_cbranch_execz .LBB90_849
; %bb.848:
	s_delay_alu instid0(VALU_DEP_1) | instskip(SKIP_1) | instid1(VALU_DEP_2)
	v_div_scale_f32 v101, null, v98, v98, v99
	v_div_scale_f32 v109, vcc_lo, v99, v98, v99
	v_rcp_f32_e32 v107, v101
	v_nop
	s_delay_alu instid0(TRANS32_DEP_1) | instskip(NEXT) | instid1(VALU_DEP_1)
	v_fma_f32 v108, -v101, v107, 1.0
	v_fmac_f32_e32 v107, v108, v107
	s_delay_alu instid0(VALU_DEP_1) | instskip(NEXT) | instid1(VALU_DEP_1)
	v_mul_f32_e32 v108, v109, v107
	v_fma_f32 v110, -v101, v108, v109
	s_delay_alu instid0(VALU_DEP_1) | instskip(NEXT) | instid1(VALU_DEP_1)
	v_fmac_f32_e32 v108, v110, v107
	v_fma_f32 v101, -v101, v108, v109
	s_delay_alu instid0(VALU_DEP_1) | instskip(NEXT) | instid1(VALU_DEP_1)
	v_div_fmas_f32 v101, v101, v107, v108
	v_div_fixup_f32 v101, v101, v98, v99
	s_delay_alu instid0(VALU_DEP_1) | instskip(NEXT) | instid1(VALU_DEP_1)
	v_fmac_f32_e32 v98, v99, v101
	v_div_scale_f32 v99, null, v98, v98, 1.0
	s_delay_alu instid0(VALU_DEP_1) | instskip(SKIP_1) | instid1(TRANS32_DEP_1)
	v_rcp_f32_e32 v107, v99
	v_nop
	v_fma_f32 v108, -v99, v107, 1.0
	s_delay_alu instid0(VALU_DEP_1) | instskip(SKIP_1) | instid1(VALU_DEP_1)
	v_fmac_f32_e32 v107, v108, v107
	v_div_scale_f32 v108, vcc_lo, 1.0, v98, 1.0
	v_mul_f32_e32 v109, v108, v107
	s_delay_alu instid0(VALU_DEP_1) | instskip(NEXT) | instid1(VALU_DEP_1)
	v_fma_f32 v110, -v99, v109, v108
	v_fmac_f32_e32 v109, v110, v107
	s_delay_alu instid0(VALU_DEP_1) | instskip(NEXT) | instid1(VALU_DEP_1)
	v_fma_f32 v99, -v99, v109, v108
	v_div_fmas_f32 v99, v99, v107, v109
	s_delay_alu instid0(VALU_DEP_1) | instskip(NEXT) | instid1(VALU_DEP_1)
	v_div_fixup_f32 v98, v99, v98, 1.0
	v_mul_f32_e64 v99, v101, -v98
.LBB90_849:
	s_or_b32 exec_lo, exec_lo, s1
.LBB90_850:
	s_delay_alu instid0(SALU_CYCLE_1) | instskip(NEXT) | instid1(SALU_CYCLE_1)
	s_or_b32 exec_lo, exec_lo, s0
	s_mov_b32 s0, exec_lo
	v_cmpx_ne_u32_e64 v106, v100
	s_xor_b32 s0, exec_lo, s0
	s_cbranch_execz .LBB90_856
; %bb.851:
	s_mov_b32 s1, exec_lo
	v_cmpx_eq_u32_e32 40, v106
	s_cbranch_execz .LBB90_855
; %bb.852:
	v_cmp_ne_u32_e32 vcc_lo, 40, v100
	s_xor_b32 s12, s16, -1
	s_delay_alu instid0(SALU_CYCLE_1) | instskip(NEXT) | instid1(SALU_CYCLE_1)
	s_and_b32 s13, s12, vcc_lo
	s_and_saveexec_b32 s12, s13
	s_cbranch_execz .LBB90_854
; %bb.853:
	v_ashrrev_i32_e32 v101, 31, v100
	s_delay_alu instid0(VALU_DEP_1)
	v_lshl_add_u64 v[106:107], v[100:101], 2, v[4:5]
	s_clause 0x1
	global_load_b32 v101, v[106:107], off
	global_load_b32 v105, v[4:5], off offset:160
	s_wait_loadcnt 0x1
	global_store_b32 v[4:5], v101, off offset:160
	s_wait_loadcnt 0x0
	global_store_b32 v[106:107], v105, off
.LBB90_854:
	s_wait_xcnt 0x0
	s_or_b32 exec_lo, exec_lo, s12
	v_dual_mov_b32 v106, v100 :: v_dual_mov_b32 v105, v100
.LBB90_855:
	s_or_b32 exec_lo, exec_lo, s1
.LBB90_856:
	s_and_not1_saveexec_b32 s0, s0
	s_cbranch_execz .LBB90_858
; %bb.857:
	v_mov_b32_e32 v106, 40
	ds_store_2addr_b64 v102, v[6:7], v[54:55] offset0:41 offset1:42
	ds_store_2addr_b64 v102, v[40:41], v[14:15] offset0:43 offset1:44
	ds_store_b64 v102, v[96:97] offset:360
.LBB90_858:
	s_or_b32 exec_lo, exec_lo, s0
	s_delay_alu instid0(SALU_CYCLE_1)
	s_mov_b32 s0, exec_lo
	s_wait_storecnt_dscnt 0x0
	s_barrier_signal -1
	s_barrier_wait -1
	v_cmpx_lt_i32_e32 40, v106
	s_cbranch_execz .LBB90_860
; %bb.859:
	v_pk_mul_f32 v[100:101], v[98:99], v[68:69] op_sel:[1,1] op_sel_hi:[0,1]
	s_delay_alu instid0(VALU_DEP_1)
	v_pk_fma_f32 v[108:109], v[98:99], v[68:69], v[100:101] op_sel_hi:[1,0,1] neg_lo:[0,0,1] neg_hi:[0,0,1]
	v_pk_fma_f32 v[110:111], v[98:99], v[68:69], v[100:101] op_sel_hi:[1,0,1]
	ds_load_2addr_b64 v[98:101], v102 offset0:41 offset1:42
	v_dual_mov_b32 v68, v108 :: v_dual_mov_b32 v69, v111
	s_wait_dscnt 0x0
	v_pk_mul_f32 v[112:113], v[98:99], v[110:111] op_sel:[0,1]
	s_delay_alu instid0(VALU_DEP_1) | instskip(SKIP_1) | instid1(VALU_DEP_1)
	v_pk_fma_f32 v[114:115], v[98:99], v[108:109], v[112:113] op_sel:[0,0,1] op_sel_hi:[1,1,0] neg_lo:[0,0,1] neg_hi:[0,0,1]
	v_pk_fma_f32 v[98:99], v[98:99], v[108:109], v[112:113] op_sel:[0,0,1] op_sel_hi:[1,0,0]
	v_mov_b32_e32 v115, v99
	v_pk_mul_f32 v[98:99], v[100:101], v[110:111] op_sel:[0,1]
	s_delay_alu instid0(VALU_DEP_1) | instskip(SKIP_1) | instid1(VALU_DEP_1)
	v_pk_fma_f32 v[112:113], v[100:101], v[108:109], v[98:99] op_sel:[0,0,1] op_sel_hi:[1,1,0] neg_lo:[0,0,1] neg_hi:[0,0,1]
	v_pk_fma_f32 v[98:99], v[100:101], v[108:109], v[98:99] op_sel:[0,0,1] op_sel_hi:[1,0,0]
	v_mov_b32_e32 v113, v99
	ds_load_2addr_b64 v[98:101], v102 offset0:43 offset1:44
	v_pk_add_f32 v[6:7], v[6:7], v[114:115] neg_lo:[0,1] neg_hi:[0,1]
	v_pk_add_f32 v[54:55], v[54:55], v[112:113] neg_lo:[0,1] neg_hi:[0,1]
	s_wait_dscnt 0x0
	v_pk_mul_f32 v[112:113], v[98:99], v[110:111] op_sel:[0,1]
	s_delay_alu instid0(VALU_DEP_1) | instskip(SKIP_2) | instid1(VALU_DEP_2)
	v_pk_fma_f32 v[114:115], v[98:99], v[108:109], v[112:113] op_sel:[0,0,1] op_sel_hi:[1,1,0] neg_lo:[0,0,1] neg_hi:[0,0,1]
	v_pk_fma_f32 v[98:99], v[98:99], v[108:109], v[112:113] op_sel:[0,0,1] op_sel_hi:[1,0,0]
	v_dual_mul_f32 v112, v101, v111 :: v_dual_mov_b32 v98, v101
	v_dual_mov_b32 v115, v99 :: v_dual_mov_b32 v99, v100
	s_delay_alu instid0(VALU_DEP_2) | instskip(SKIP_1) | instid1(VALU_DEP_3)
	v_pk_fma_f32 v[112:113], v[100:101], v[68:69], v[112:113] op_sel_hi:[1,1,0] neg_lo:[0,0,1] neg_hi:[0,0,1]
	v_mul_f32_e32 v100, v101, v108
	v_pk_add_f32 v[40:41], v[40:41], v[114:115] neg_lo:[0,1] neg_hi:[0,1]
	s_delay_alu instid0(VALU_DEP_2) | instskip(NEXT) | instid1(VALU_DEP_1)
	v_pk_fma_f32 v[98:99], v[98:99], v[68:69], v[100:101] op_sel_hi:[1,1,0]
	v_mov_b32_e32 v113, v99
	ds_load_b64 v[98:99], v102 offset:360
	v_pk_add_f32 v[14:15], v[14:15], v[112:113] neg_lo:[0,1] neg_hi:[0,1]
	s_wait_dscnt 0x0
	v_pk_mul_f32 v[100:101], v[98:99], v[110:111] op_sel:[0,1]
	s_delay_alu instid0(VALU_DEP_1) | instskip(SKIP_1) | instid1(VALU_DEP_1)
	v_pk_fma_f32 v[110:111], v[98:99], v[108:109], v[100:101] op_sel:[0,0,1] op_sel_hi:[1,1,0] neg_lo:[0,0,1] neg_hi:[0,0,1]
	v_pk_fma_f32 v[98:99], v[98:99], v[108:109], v[100:101] op_sel:[0,0,1] op_sel_hi:[1,0,0]
	v_mov_b32_e32 v111, v99
	s_delay_alu instid0(VALU_DEP_1)
	v_pk_add_f32 v[96:97], v[96:97], v[110:111] neg_lo:[0,1] neg_hi:[0,1]
.LBB90_860:
	s_or_b32 exec_lo, exec_lo, s0
	v_lshl_add_u32 v98, v106, 3, v102
	s_barrier_signal -1
	s_barrier_wait -1
	ds_store_b64 v98, v[6:7]
	s_wait_dscnt 0x0
	s_barrier_signal -1
	s_barrier_wait -1
	ds_load_b64 v[98:99], v102 offset:328
	v_mov_b32_e32 v100, 41
	s_cmp_lt_i32 s18, 43
	s_cbranch_scc1 .LBB90_863
; %bb.861:
	v_add3_u32 v101, v103, 0, 0x150
	v_mov_b32_e32 v100, 41
	s_mov_b32 s0, 42
.LBB90_862:                             ; =>This Inner Loop Header: Depth=1
	ds_load_b64 v[108:109], v101
	s_wait_dscnt 0x1
	v_cmp_gt_f32_e32 vcc_lo, 0, v98
	v_cndmask_b32_e64 v110, v98, -v98, vcc_lo
	v_cmp_gt_f32_e32 vcc_lo, 0, v99
	v_cndmask_b32_e64 v112, v99, -v99, vcc_lo
	s_wait_dscnt 0x0
	v_cmp_gt_f32_e32 vcc_lo, 0, v108
	v_cndmask_b32_e64 v111, v108, -v108, vcc_lo
	v_cmp_gt_f32_e32 vcc_lo, 0, v109
	v_cndmask_b32_e64 v113, v109, -v109, vcc_lo
	s_delay_alu instid0(VALU_DEP_1) | instskip(NEXT) | instid1(VALU_DEP_1)
	v_pk_add_f32 v[110:111], v[110:111], v[112:113]
	v_cmp_lt_f32_e32 vcc_lo, v110, v111
	v_dual_cndmask_b32 v98, v98, v108 :: v_dual_add_nc_u32 v101, 8, v101
	v_cndmask_b32_e32 v99, v99, v109, vcc_lo
	v_cndmask_b32_e64 v100, v100, s0, vcc_lo
	s_add_co_i32 s0, s0, 1
	s_delay_alu instid0(SALU_CYCLE_1)
	s_cmp_lg_u32 s18, s0
	s_cbranch_scc1 .LBB90_862
.LBB90_863:
	s_wait_dscnt 0x0
	v_cmp_eq_f32_e32 vcc_lo, 0, v98
	v_cmp_eq_f32_e64 s0, 0, v99
	s_and_b32 s0, vcc_lo, s0
	s_delay_alu instid0(SALU_CYCLE_1) | instskip(NEXT) | instid1(SALU_CYCLE_1)
	s_and_saveexec_b32 s1, s0
	s_xor_b32 s0, exec_lo, s1
; %bb.864:
	v_cmp_ne_u32_e32 vcc_lo, 0, v104
	v_cndmask_b32_e32 v104, 42, v104, vcc_lo
; %bb.865:
	s_and_not1_saveexec_b32 s0, s0
	s_cbranch_execz .LBB90_871
; %bb.866:
	v_cmp_ngt_f32_e64 s1, |v98|, |v99|
	s_and_saveexec_b32 s12, s1
	s_delay_alu instid0(SALU_CYCLE_1)
	s_xor_b32 s1, exec_lo, s12
	s_cbranch_execz .LBB90_868
; %bb.867:
	v_div_scale_f32 v101, null, v99, v99, v98
	v_div_scale_f32 v109, vcc_lo, v98, v99, v98
	s_delay_alu instid0(VALU_DEP_2) | instskip(SKIP_1) | instid1(TRANS32_DEP_1)
	v_rcp_f32_e32 v107, v101
	v_nop
	v_fma_f32 v108, -v101, v107, 1.0
	s_delay_alu instid0(VALU_DEP_1) | instskip(NEXT) | instid1(VALU_DEP_1)
	v_fmac_f32_e32 v107, v108, v107
	v_mul_f32_e32 v108, v109, v107
	s_delay_alu instid0(VALU_DEP_1) | instskip(NEXT) | instid1(VALU_DEP_1)
	v_fma_f32 v110, -v101, v108, v109
	v_fmac_f32_e32 v108, v110, v107
	s_delay_alu instid0(VALU_DEP_1) | instskip(NEXT) | instid1(VALU_DEP_1)
	v_fma_f32 v101, -v101, v108, v109
	v_div_fmas_f32 v101, v101, v107, v108
	s_delay_alu instid0(VALU_DEP_1) | instskip(NEXT) | instid1(VALU_DEP_1)
	v_div_fixup_f32 v101, v101, v99, v98
	v_fmac_f32_e32 v99, v98, v101
	s_delay_alu instid0(VALU_DEP_1) | instskip(SKIP_1) | instid1(VALU_DEP_2)
	v_div_scale_f32 v98, null, v99, v99, 1.0
	v_div_scale_f32 v109, vcc_lo, 1.0, v99, 1.0
	v_rcp_f32_e32 v107, v98
	v_nop
	s_delay_alu instid0(TRANS32_DEP_1) | instskip(NEXT) | instid1(VALU_DEP_1)
	v_fma_f32 v108, -v98, v107, 1.0
	v_fmac_f32_e32 v107, v108, v107
	s_delay_alu instid0(VALU_DEP_1) | instskip(NEXT) | instid1(VALU_DEP_1)
	v_mul_f32_e32 v108, v109, v107
	v_fma_f32 v110, -v98, v108, v109
	s_delay_alu instid0(VALU_DEP_1) | instskip(NEXT) | instid1(VALU_DEP_1)
	v_fmac_f32_e32 v108, v110, v107
	v_fma_f32 v98, -v98, v108, v109
	s_delay_alu instid0(VALU_DEP_1) | instskip(NEXT) | instid1(VALU_DEP_1)
	v_div_fmas_f32 v98, v98, v107, v108
	v_div_fixup_f32 v99, v98, v99, 1.0
	s_delay_alu instid0(VALU_DEP_1)
	v_mul_f32_e32 v98, v101, v99
	v_xor_b32_e32 v99, 0x80000000, v99
.LBB90_868:
	s_and_not1_saveexec_b32 s1, s1
	s_cbranch_execz .LBB90_870
; %bb.869:
	s_delay_alu instid0(VALU_DEP_1) | instskip(SKIP_1) | instid1(VALU_DEP_2)
	v_div_scale_f32 v101, null, v98, v98, v99
	v_div_scale_f32 v109, vcc_lo, v99, v98, v99
	v_rcp_f32_e32 v107, v101
	v_nop
	s_delay_alu instid0(TRANS32_DEP_1) | instskip(NEXT) | instid1(VALU_DEP_1)
	v_fma_f32 v108, -v101, v107, 1.0
	v_fmac_f32_e32 v107, v108, v107
	s_delay_alu instid0(VALU_DEP_1) | instskip(NEXT) | instid1(VALU_DEP_1)
	v_mul_f32_e32 v108, v109, v107
	v_fma_f32 v110, -v101, v108, v109
	s_delay_alu instid0(VALU_DEP_1) | instskip(NEXT) | instid1(VALU_DEP_1)
	v_fmac_f32_e32 v108, v110, v107
	v_fma_f32 v101, -v101, v108, v109
	s_delay_alu instid0(VALU_DEP_1) | instskip(NEXT) | instid1(VALU_DEP_1)
	v_div_fmas_f32 v101, v101, v107, v108
	v_div_fixup_f32 v101, v101, v98, v99
	s_delay_alu instid0(VALU_DEP_1) | instskip(NEXT) | instid1(VALU_DEP_1)
	v_fmac_f32_e32 v98, v99, v101
	v_div_scale_f32 v99, null, v98, v98, 1.0
	s_delay_alu instid0(VALU_DEP_1) | instskip(SKIP_1) | instid1(TRANS32_DEP_1)
	v_rcp_f32_e32 v107, v99
	v_nop
	v_fma_f32 v108, -v99, v107, 1.0
	s_delay_alu instid0(VALU_DEP_1) | instskip(SKIP_1) | instid1(VALU_DEP_1)
	v_fmac_f32_e32 v107, v108, v107
	v_div_scale_f32 v108, vcc_lo, 1.0, v98, 1.0
	v_mul_f32_e32 v109, v108, v107
	s_delay_alu instid0(VALU_DEP_1) | instskip(NEXT) | instid1(VALU_DEP_1)
	v_fma_f32 v110, -v99, v109, v108
	v_fmac_f32_e32 v109, v110, v107
	s_delay_alu instid0(VALU_DEP_1) | instskip(NEXT) | instid1(VALU_DEP_1)
	v_fma_f32 v99, -v99, v109, v108
	v_div_fmas_f32 v99, v99, v107, v109
	s_delay_alu instid0(VALU_DEP_1) | instskip(NEXT) | instid1(VALU_DEP_1)
	v_div_fixup_f32 v98, v99, v98, 1.0
	v_mul_f32_e64 v99, v101, -v98
.LBB90_870:
	s_or_b32 exec_lo, exec_lo, s1
.LBB90_871:
	s_delay_alu instid0(SALU_CYCLE_1) | instskip(NEXT) | instid1(SALU_CYCLE_1)
	s_or_b32 exec_lo, exec_lo, s0
	s_mov_b32 s0, exec_lo
	v_cmpx_ne_u32_e64 v106, v100
	s_xor_b32 s0, exec_lo, s0
	s_cbranch_execz .LBB90_877
; %bb.872:
	s_mov_b32 s1, exec_lo
	v_cmpx_eq_u32_e32 41, v106
	s_cbranch_execz .LBB90_876
; %bb.873:
	v_cmp_ne_u32_e32 vcc_lo, 41, v100
	s_xor_b32 s12, s16, -1
	s_delay_alu instid0(SALU_CYCLE_1) | instskip(NEXT) | instid1(SALU_CYCLE_1)
	s_and_b32 s13, s12, vcc_lo
	s_and_saveexec_b32 s12, s13
	s_cbranch_execz .LBB90_875
; %bb.874:
	v_ashrrev_i32_e32 v101, 31, v100
	s_delay_alu instid0(VALU_DEP_1)
	v_lshl_add_u64 v[106:107], v[100:101], 2, v[4:5]
	s_clause 0x1
	global_load_b32 v101, v[106:107], off
	global_load_b32 v105, v[4:5], off offset:164
	s_wait_loadcnt 0x1
	global_store_b32 v[4:5], v101, off offset:164
	s_wait_loadcnt 0x0
	global_store_b32 v[106:107], v105, off
.LBB90_875:
	s_wait_xcnt 0x0
	s_or_b32 exec_lo, exec_lo, s12
	v_dual_mov_b32 v106, v100 :: v_dual_mov_b32 v105, v100
.LBB90_876:
	s_or_b32 exec_lo, exec_lo, s1
.LBB90_877:
	s_and_not1_saveexec_b32 s0, s0
	s_cbranch_execz .LBB90_879
; %bb.878:
	v_dual_mov_b32 v100, v54 :: v_dual_mov_b32 v101, v55
	v_dual_mov_b32 v108, v40 :: v_dual_mov_b32 v109, v41
	;; [unrolled: 1-line block ×3, first 2 shown]
	v_mov_b32_e32 v111, v15
	ds_store_2addr_b64 v102, v[100:101], v[108:109] offset0:42 offset1:43
	ds_store_2addr_b64 v102, v[110:111], v[96:97] offset0:44 offset1:45
.LBB90_879:
	s_or_b32 exec_lo, exec_lo, s0
	s_delay_alu instid0(SALU_CYCLE_1)
	s_mov_b32 s0, exec_lo
	s_wait_storecnt_dscnt 0x0
	s_barrier_signal -1
	s_barrier_wait -1
	v_cmpx_lt_i32_e32 41, v106
	s_cbranch_execz .LBB90_881
; %bb.880:
	ds_load_2addr_b64 v[108:111], v102 offset0:42 offset1:43
	ds_load_2addr_b64 v[112:115], v102 offset0:44 offset1:45
	v_pk_mul_f32 v[100:101], v[98:99], v[6:7] op_sel:[1,1] op_sel_hi:[0,1]
	s_delay_alu instid0(VALU_DEP_1) | instskip(SKIP_1) | instid1(VALU_DEP_1)
	v_pk_fma_f32 v[116:117], v[98:99], v[6:7], v[100:101] op_sel_hi:[1,0,1] neg_lo:[0,0,1] neg_hi:[0,0,1]
	v_pk_fma_f32 v[98:99], v[98:99], v[6:7], v[100:101] op_sel_hi:[1,0,1]
	v_dual_mov_b32 v6, v116 :: v_dual_mov_b32 v7, v99
	s_wait_dscnt 0x1
	s_delay_alu instid0(VALU_DEP_2)
	v_pk_mul_f32 v[100:101], v[108:109], v[98:99] op_sel:[0,1]
	s_wait_dscnt 0x0
	v_mov_b32_e32 v118, v115
	v_pk_mul_f32 v[120:121], v[110:111], v[98:99] op_sel:[0,1]
	v_pk_mul_f32 v[122:123], v[112:113], v[98:99] op_sel:[0,1]
	v_pk_fma_f32 v[124:125], v[108:109], v[116:117], v[100:101] op_sel:[0,0,1] op_sel_hi:[1,1,0] neg_lo:[0,0,1] neg_hi:[0,0,1]
	v_pk_fma_f32 v[100:101], v[108:109], v[116:117], v[100:101] op_sel:[0,0,1] op_sel_hi:[1,0,0]
	s_delay_alu instid0(VALU_DEP_1) | instskip(NEXT) | instid1(VALU_DEP_1)
	v_dual_mov_b32 v119, v114 :: v_dual_mov_b32 v125, v101
	v_pk_mul_f32 v[108:109], v[118:119], v[98:99] op_sel:[0,1]
	v_pk_fma_f32 v[118:119], v[110:111], v[116:117], v[120:121] op_sel:[0,0,1] op_sel_hi:[1,0,0]
	v_pk_fma_f32 v[110:111], v[110:111], v[116:117], v[120:121] op_sel:[0,0,1] op_sel_hi:[1,1,0] neg_lo:[0,0,1] neg_hi:[0,0,1]
	v_pk_fma_f32 v[120:121], v[112:113], v[116:117], v[122:123] op_sel:[0,0,1] op_sel_hi:[1,0,0]
	v_pk_fma_f32 v[112:113], v[112:113], v[116:117], v[122:123] op_sel:[0,0,1] op_sel_hi:[1,1,0] neg_lo:[0,0,1] neg_hi:[0,0,1]
	v_pk_fma_f32 v[100:101], v[114:115], v[116:117], v[108:109] op_sel_hi:[1,0,1]
	v_pk_fma_f32 v[108:109], v[114:115], v[116:117], v[108:109] neg_lo:[0,0,1] neg_hi:[0,0,1]
	s_delay_alu instid0(VALU_DEP_4) | instskip(SKIP_1) | instid1(VALU_DEP_4)
	v_dual_mov_b32 v111, v119 :: v_dual_mov_b32 v113, v121
	v_pk_add_f32 v[54:55], v[54:55], v[124:125] neg_lo:[0,1] neg_hi:[0,1]
	v_mov_b32_e32 v109, v101
	s_delay_alu instid0(VALU_DEP_3) | instskip(NEXT) | instid1(VALU_DEP_4)
	v_pk_add_f32 v[40:41], v[40:41], v[110:111] neg_lo:[0,1] neg_hi:[0,1]
	v_pk_add_f32 v[14:15], v[14:15], v[112:113] neg_lo:[0,1] neg_hi:[0,1]
	s_delay_alu instid0(VALU_DEP_3)
	v_pk_add_f32 v[96:97], v[96:97], v[108:109] neg_lo:[0,1] neg_hi:[0,1]
.LBB90_881:
	s_or_b32 exec_lo, exec_lo, s0
	v_lshl_add_u32 v98, v106, 3, v102
	s_barrier_signal -1
	s_barrier_wait -1
	ds_store_b64 v98, v[54:55]
	s_wait_dscnt 0x0
	s_barrier_signal -1
	s_barrier_wait -1
	ds_load_b64 v[98:99], v102 offset:336
	v_mov_b32_e32 v100, 42
	s_cmp_lt_i32 s18, 44
	s_cbranch_scc1 .LBB90_884
; %bb.882:
	v_add3_u32 v101, v103, 0, 0x158
	v_mov_b32_e32 v100, 42
	s_mov_b32 s0, 43
.LBB90_883:                             ; =>This Inner Loop Header: Depth=1
	ds_load_b64 v[108:109], v101
	s_wait_dscnt 0x1
	v_cmp_gt_f32_e32 vcc_lo, 0, v98
	v_cndmask_b32_e64 v110, v98, -v98, vcc_lo
	v_cmp_gt_f32_e32 vcc_lo, 0, v99
	v_cndmask_b32_e64 v112, v99, -v99, vcc_lo
	s_wait_dscnt 0x0
	v_cmp_gt_f32_e32 vcc_lo, 0, v108
	v_cndmask_b32_e64 v111, v108, -v108, vcc_lo
	v_cmp_gt_f32_e32 vcc_lo, 0, v109
	v_cndmask_b32_e64 v113, v109, -v109, vcc_lo
	s_delay_alu instid0(VALU_DEP_1) | instskip(NEXT) | instid1(VALU_DEP_1)
	v_pk_add_f32 v[110:111], v[110:111], v[112:113]
	v_cmp_lt_f32_e32 vcc_lo, v110, v111
	v_dual_cndmask_b32 v98, v98, v108 :: v_dual_add_nc_u32 v101, 8, v101
	v_cndmask_b32_e32 v99, v99, v109, vcc_lo
	v_cndmask_b32_e64 v100, v100, s0, vcc_lo
	s_add_co_i32 s0, s0, 1
	s_delay_alu instid0(SALU_CYCLE_1)
	s_cmp_lg_u32 s18, s0
	s_cbranch_scc1 .LBB90_883
.LBB90_884:
	s_wait_dscnt 0x0
	v_cmp_eq_f32_e32 vcc_lo, 0, v98
	v_cmp_eq_f32_e64 s0, 0, v99
	s_and_b32 s0, vcc_lo, s0
	s_delay_alu instid0(SALU_CYCLE_1) | instskip(NEXT) | instid1(SALU_CYCLE_1)
	s_and_saveexec_b32 s1, s0
	s_xor_b32 s0, exec_lo, s1
; %bb.885:
	v_cmp_ne_u32_e32 vcc_lo, 0, v104
	v_cndmask_b32_e32 v104, 43, v104, vcc_lo
; %bb.886:
	s_and_not1_saveexec_b32 s0, s0
	s_cbranch_execz .LBB90_892
; %bb.887:
	v_cmp_ngt_f32_e64 s1, |v98|, |v99|
	s_and_saveexec_b32 s12, s1
	s_delay_alu instid0(SALU_CYCLE_1)
	s_xor_b32 s1, exec_lo, s12
	s_cbranch_execz .LBB90_889
; %bb.888:
	v_div_scale_f32 v101, null, v99, v99, v98
	v_div_scale_f32 v109, vcc_lo, v98, v99, v98
	s_delay_alu instid0(VALU_DEP_2) | instskip(SKIP_1) | instid1(TRANS32_DEP_1)
	v_rcp_f32_e32 v107, v101
	v_nop
	v_fma_f32 v108, -v101, v107, 1.0
	s_delay_alu instid0(VALU_DEP_1) | instskip(NEXT) | instid1(VALU_DEP_1)
	v_fmac_f32_e32 v107, v108, v107
	v_mul_f32_e32 v108, v109, v107
	s_delay_alu instid0(VALU_DEP_1) | instskip(NEXT) | instid1(VALU_DEP_1)
	v_fma_f32 v110, -v101, v108, v109
	v_fmac_f32_e32 v108, v110, v107
	s_delay_alu instid0(VALU_DEP_1) | instskip(NEXT) | instid1(VALU_DEP_1)
	v_fma_f32 v101, -v101, v108, v109
	v_div_fmas_f32 v101, v101, v107, v108
	s_delay_alu instid0(VALU_DEP_1) | instskip(NEXT) | instid1(VALU_DEP_1)
	v_div_fixup_f32 v101, v101, v99, v98
	v_fmac_f32_e32 v99, v98, v101
	s_delay_alu instid0(VALU_DEP_1) | instskip(SKIP_1) | instid1(VALU_DEP_2)
	v_div_scale_f32 v98, null, v99, v99, 1.0
	v_div_scale_f32 v109, vcc_lo, 1.0, v99, 1.0
	v_rcp_f32_e32 v107, v98
	v_nop
	s_delay_alu instid0(TRANS32_DEP_1) | instskip(NEXT) | instid1(VALU_DEP_1)
	v_fma_f32 v108, -v98, v107, 1.0
	v_fmac_f32_e32 v107, v108, v107
	s_delay_alu instid0(VALU_DEP_1) | instskip(NEXT) | instid1(VALU_DEP_1)
	v_mul_f32_e32 v108, v109, v107
	v_fma_f32 v110, -v98, v108, v109
	s_delay_alu instid0(VALU_DEP_1) | instskip(NEXT) | instid1(VALU_DEP_1)
	v_fmac_f32_e32 v108, v110, v107
	v_fma_f32 v98, -v98, v108, v109
	s_delay_alu instid0(VALU_DEP_1) | instskip(NEXT) | instid1(VALU_DEP_1)
	v_div_fmas_f32 v98, v98, v107, v108
	v_div_fixup_f32 v99, v98, v99, 1.0
	s_delay_alu instid0(VALU_DEP_1)
	v_mul_f32_e32 v98, v101, v99
	v_xor_b32_e32 v99, 0x80000000, v99
.LBB90_889:
	s_and_not1_saveexec_b32 s1, s1
	s_cbranch_execz .LBB90_891
; %bb.890:
	s_delay_alu instid0(VALU_DEP_1) | instskip(SKIP_1) | instid1(VALU_DEP_2)
	v_div_scale_f32 v101, null, v98, v98, v99
	v_div_scale_f32 v109, vcc_lo, v99, v98, v99
	v_rcp_f32_e32 v107, v101
	v_nop
	s_delay_alu instid0(TRANS32_DEP_1) | instskip(NEXT) | instid1(VALU_DEP_1)
	v_fma_f32 v108, -v101, v107, 1.0
	v_fmac_f32_e32 v107, v108, v107
	s_delay_alu instid0(VALU_DEP_1) | instskip(NEXT) | instid1(VALU_DEP_1)
	v_mul_f32_e32 v108, v109, v107
	v_fma_f32 v110, -v101, v108, v109
	s_delay_alu instid0(VALU_DEP_1) | instskip(NEXT) | instid1(VALU_DEP_1)
	v_fmac_f32_e32 v108, v110, v107
	v_fma_f32 v101, -v101, v108, v109
	s_delay_alu instid0(VALU_DEP_1) | instskip(NEXT) | instid1(VALU_DEP_1)
	v_div_fmas_f32 v101, v101, v107, v108
	v_div_fixup_f32 v101, v101, v98, v99
	s_delay_alu instid0(VALU_DEP_1) | instskip(NEXT) | instid1(VALU_DEP_1)
	v_fmac_f32_e32 v98, v99, v101
	v_div_scale_f32 v99, null, v98, v98, 1.0
	s_delay_alu instid0(VALU_DEP_1) | instskip(SKIP_1) | instid1(TRANS32_DEP_1)
	v_rcp_f32_e32 v107, v99
	v_nop
	v_fma_f32 v108, -v99, v107, 1.0
	s_delay_alu instid0(VALU_DEP_1) | instskip(SKIP_1) | instid1(VALU_DEP_1)
	v_fmac_f32_e32 v107, v108, v107
	v_div_scale_f32 v108, vcc_lo, 1.0, v98, 1.0
	v_mul_f32_e32 v109, v108, v107
	s_delay_alu instid0(VALU_DEP_1) | instskip(NEXT) | instid1(VALU_DEP_1)
	v_fma_f32 v110, -v99, v109, v108
	v_fmac_f32_e32 v109, v110, v107
	s_delay_alu instid0(VALU_DEP_1) | instskip(NEXT) | instid1(VALU_DEP_1)
	v_fma_f32 v99, -v99, v109, v108
	v_div_fmas_f32 v99, v99, v107, v109
	s_delay_alu instid0(VALU_DEP_1) | instskip(NEXT) | instid1(VALU_DEP_1)
	v_div_fixup_f32 v98, v99, v98, 1.0
	v_mul_f32_e64 v99, v101, -v98
.LBB90_891:
	s_or_b32 exec_lo, exec_lo, s1
.LBB90_892:
	s_delay_alu instid0(SALU_CYCLE_1) | instskip(NEXT) | instid1(SALU_CYCLE_1)
	s_or_b32 exec_lo, exec_lo, s0
	s_mov_b32 s0, exec_lo
	v_cmpx_ne_u32_e64 v106, v100
	s_xor_b32 s0, exec_lo, s0
	s_cbranch_execz .LBB90_898
; %bb.893:
	s_mov_b32 s1, exec_lo
	v_cmpx_eq_u32_e32 42, v106
	s_cbranch_execz .LBB90_897
; %bb.894:
	v_cmp_ne_u32_e32 vcc_lo, 42, v100
	s_xor_b32 s12, s16, -1
	s_delay_alu instid0(SALU_CYCLE_1) | instskip(NEXT) | instid1(SALU_CYCLE_1)
	s_and_b32 s13, s12, vcc_lo
	s_and_saveexec_b32 s12, s13
	s_cbranch_execz .LBB90_896
; %bb.895:
	v_ashrrev_i32_e32 v101, 31, v100
	s_delay_alu instid0(VALU_DEP_1)
	v_lshl_add_u64 v[106:107], v[100:101], 2, v[4:5]
	s_clause 0x1
	global_load_b32 v101, v[106:107], off
	global_load_b32 v105, v[4:5], off offset:168
	s_wait_loadcnt 0x1
	global_store_b32 v[4:5], v101, off offset:168
	s_wait_loadcnt 0x0
	global_store_b32 v[106:107], v105, off
.LBB90_896:
	s_wait_xcnt 0x0
	s_or_b32 exec_lo, exec_lo, s12
	v_dual_mov_b32 v106, v100 :: v_dual_mov_b32 v105, v100
.LBB90_897:
	s_or_b32 exec_lo, exec_lo, s1
.LBB90_898:
	s_and_not1_saveexec_b32 s0, s0
	s_cbranch_execz .LBB90_900
; %bb.899:
	v_mov_b32_e32 v106, 42
	ds_store_2addr_b64 v102, v[40:41], v[14:15] offset0:43 offset1:44
	ds_store_b64 v102, v[96:97] offset:360
.LBB90_900:
	s_or_b32 exec_lo, exec_lo, s0
	s_delay_alu instid0(SALU_CYCLE_1)
	s_mov_b32 s0, exec_lo
	s_wait_storecnt_dscnt 0x0
	s_barrier_signal -1
	s_barrier_wait -1
	v_cmpx_lt_i32_e32 42, v106
	s_cbranch_execz .LBB90_902
; %bb.901:
	ds_load_2addr_b64 v[108:111], v102 offset0:43 offset1:44
	ds_load_b64 v[100:101], v102 offset:360
	v_pk_mul_f32 v[112:113], v[98:99], v[54:55] op_sel:[1,1] op_sel_hi:[0,1]
	s_delay_alu instid0(VALU_DEP_1) | instskip(SKIP_2) | instid1(VALU_DEP_2)
	v_pk_fma_f32 v[114:115], v[98:99], v[54:55], v[112:113] op_sel_hi:[1,0,1]
	v_pk_fma_f32 v[54:55], v[98:99], v[54:55], v[112:113] op_sel_hi:[1,0,1] neg_lo:[0,0,1] neg_hi:[0,0,1]
	s_wait_dscnt 0x1
	v_pk_mul_f32 v[98:99], v[108:109], v[114:115] op_sel:[0,1]
	v_pk_mul_f32 v[112:113], v[110:111], v[114:115] op_sel:[0,1]
	s_wait_dscnt 0x0
	v_pk_mul_f32 v[116:117], v[100:101], v[114:115] op_sel:[1,1] op_sel_hi:[0,1]
	s_delay_alu instid0(VALU_DEP_3) | instskip(SKIP_2) | instid1(VALU_DEP_4)
	v_pk_fma_f32 v[118:119], v[108:109], v[54:55], v[98:99] op_sel:[0,0,1] op_sel_hi:[1,1,0] neg_lo:[0,0,1] neg_hi:[0,0,1]
	v_pk_fma_f32 v[98:99], v[108:109], v[54:55], v[98:99] op_sel:[0,0,1] op_sel_hi:[1,0,0]
	v_pk_fma_f32 v[108:109], v[110:111], v[54:55], v[112:113] op_sel:[0,0,1] op_sel_hi:[1,0,0]
	v_pk_fma_f32 v[120:121], v[100:101], v[54:55], v[116:117] op_sel_hi:[1,0,1]
	v_pk_fma_f32 v[110:111], v[110:111], v[54:55], v[112:113] op_sel:[0,0,1] op_sel_hi:[1,1,0] neg_lo:[0,0,1] neg_hi:[0,0,1]
	v_pk_fma_f32 v[100:101], v[100:101], v[54:55], v[116:117] neg_lo:[0,0,1] neg_hi:[0,0,1]
	s_delay_alu instid0(VALU_DEP_4) | instskip(NEXT) | instid1(VALU_DEP_4)
	v_dual_mov_b32 v119, v99 :: v_dual_mov_b32 v111, v109
	v_dual_mov_b32 v101, v121 :: v_dual_mov_b32 v55, v115
	s_delay_alu instid0(VALU_DEP_2) | instskip(NEXT) | instid1(VALU_DEP_3)
	v_pk_add_f32 v[40:41], v[40:41], v[118:119] neg_lo:[0,1] neg_hi:[0,1]
	v_pk_add_f32 v[14:15], v[14:15], v[110:111] neg_lo:[0,1] neg_hi:[0,1]
	s_delay_alu instid0(VALU_DEP_3)
	v_pk_add_f32 v[96:97], v[96:97], v[100:101] neg_lo:[0,1] neg_hi:[0,1]
.LBB90_902:
	s_or_b32 exec_lo, exec_lo, s0
	v_lshl_add_u32 v98, v106, 3, v102
	s_barrier_signal -1
	s_barrier_wait -1
	ds_store_b64 v98, v[40:41]
	s_wait_dscnt 0x0
	s_barrier_signal -1
	s_barrier_wait -1
	ds_load_b64 v[98:99], v102 offset:344
	v_mov_b32_e32 v100, 43
	s_cmp_lt_i32 s18, 45
	s_cbranch_scc1 .LBB90_905
; %bb.903:
	v_add3_u32 v101, v103, 0, 0x160
	v_mov_b32_e32 v100, 43
	s_mov_b32 s0, 44
.LBB90_904:                             ; =>This Inner Loop Header: Depth=1
	ds_load_b64 v[108:109], v101
	s_wait_dscnt 0x1
	v_cmp_gt_f32_e32 vcc_lo, 0, v98
	v_cndmask_b32_e64 v110, v98, -v98, vcc_lo
	v_cmp_gt_f32_e32 vcc_lo, 0, v99
	v_cndmask_b32_e64 v112, v99, -v99, vcc_lo
	s_wait_dscnt 0x0
	v_cmp_gt_f32_e32 vcc_lo, 0, v108
	v_cndmask_b32_e64 v111, v108, -v108, vcc_lo
	v_cmp_gt_f32_e32 vcc_lo, 0, v109
	v_cndmask_b32_e64 v113, v109, -v109, vcc_lo
	s_delay_alu instid0(VALU_DEP_1) | instskip(NEXT) | instid1(VALU_DEP_1)
	v_pk_add_f32 v[110:111], v[110:111], v[112:113]
	v_cmp_lt_f32_e32 vcc_lo, v110, v111
	v_dual_cndmask_b32 v98, v98, v108 :: v_dual_add_nc_u32 v101, 8, v101
	v_cndmask_b32_e32 v99, v99, v109, vcc_lo
	v_cndmask_b32_e64 v100, v100, s0, vcc_lo
	s_add_co_i32 s0, s0, 1
	s_delay_alu instid0(SALU_CYCLE_1)
	s_cmp_lg_u32 s18, s0
	s_cbranch_scc1 .LBB90_904
.LBB90_905:
	s_wait_dscnt 0x0
	v_cmp_eq_f32_e32 vcc_lo, 0, v98
	v_cmp_eq_f32_e64 s0, 0, v99
	s_and_b32 s0, vcc_lo, s0
	s_delay_alu instid0(SALU_CYCLE_1) | instskip(NEXT) | instid1(SALU_CYCLE_1)
	s_and_saveexec_b32 s1, s0
	s_xor_b32 s0, exec_lo, s1
; %bb.906:
	v_cmp_ne_u32_e32 vcc_lo, 0, v104
	v_cndmask_b32_e32 v104, 44, v104, vcc_lo
; %bb.907:
	s_and_not1_saveexec_b32 s0, s0
	s_cbranch_execz .LBB90_913
; %bb.908:
	v_cmp_ngt_f32_e64 s1, |v98|, |v99|
	s_and_saveexec_b32 s12, s1
	s_delay_alu instid0(SALU_CYCLE_1)
	s_xor_b32 s1, exec_lo, s12
	s_cbranch_execz .LBB90_910
; %bb.909:
	v_div_scale_f32 v101, null, v99, v99, v98
	v_div_scale_f32 v109, vcc_lo, v98, v99, v98
	s_delay_alu instid0(VALU_DEP_2) | instskip(SKIP_1) | instid1(TRANS32_DEP_1)
	v_rcp_f32_e32 v107, v101
	v_nop
	v_fma_f32 v108, -v101, v107, 1.0
	s_delay_alu instid0(VALU_DEP_1) | instskip(NEXT) | instid1(VALU_DEP_1)
	v_fmac_f32_e32 v107, v108, v107
	v_mul_f32_e32 v108, v109, v107
	s_delay_alu instid0(VALU_DEP_1) | instskip(NEXT) | instid1(VALU_DEP_1)
	v_fma_f32 v110, -v101, v108, v109
	v_fmac_f32_e32 v108, v110, v107
	s_delay_alu instid0(VALU_DEP_1) | instskip(NEXT) | instid1(VALU_DEP_1)
	v_fma_f32 v101, -v101, v108, v109
	v_div_fmas_f32 v101, v101, v107, v108
	s_delay_alu instid0(VALU_DEP_1) | instskip(NEXT) | instid1(VALU_DEP_1)
	v_div_fixup_f32 v101, v101, v99, v98
	v_fmac_f32_e32 v99, v98, v101
	s_delay_alu instid0(VALU_DEP_1) | instskip(SKIP_1) | instid1(VALU_DEP_2)
	v_div_scale_f32 v98, null, v99, v99, 1.0
	v_div_scale_f32 v109, vcc_lo, 1.0, v99, 1.0
	v_rcp_f32_e32 v107, v98
	v_nop
	s_delay_alu instid0(TRANS32_DEP_1) | instskip(NEXT) | instid1(VALU_DEP_1)
	v_fma_f32 v108, -v98, v107, 1.0
	v_fmac_f32_e32 v107, v108, v107
	s_delay_alu instid0(VALU_DEP_1) | instskip(NEXT) | instid1(VALU_DEP_1)
	v_mul_f32_e32 v108, v109, v107
	v_fma_f32 v110, -v98, v108, v109
	s_delay_alu instid0(VALU_DEP_1) | instskip(NEXT) | instid1(VALU_DEP_1)
	v_fmac_f32_e32 v108, v110, v107
	v_fma_f32 v98, -v98, v108, v109
	s_delay_alu instid0(VALU_DEP_1) | instskip(NEXT) | instid1(VALU_DEP_1)
	v_div_fmas_f32 v98, v98, v107, v108
	v_div_fixup_f32 v99, v98, v99, 1.0
	s_delay_alu instid0(VALU_DEP_1)
	v_mul_f32_e32 v98, v101, v99
	v_xor_b32_e32 v99, 0x80000000, v99
.LBB90_910:
	s_and_not1_saveexec_b32 s1, s1
	s_cbranch_execz .LBB90_912
; %bb.911:
	s_delay_alu instid0(VALU_DEP_1) | instskip(SKIP_1) | instid1(VALU_DEP_2)
	v_div_scale_f32 v101, null, v98, v98, v99
	v_div_scale_f32 v109, vcc_lo, v99, v98, v99
	v_rcp_f32_e32 v107, v101
	v_nop
	s_delay_alu instid0(TRANS32_DEP_1) | instskip(NEXT) | instid1(VALU_DEP_1)
	v_fma_f32 v108, -v101, v107, 1.0
	v_fmac_f32_e32 v107, v108, v107
	s_delay_alu instid0(VALU_DEP_1) | instskip(NEXT) | instid1(VALU_DEP_1)
	v_mul_f32_e32 v108, v109, v107
	v_fma_f32 v110, -v101, v108, v109
	s_delay_alu instid0(VALU_DEP_1) | instskip(NEXT) | instid1(VALU_DEP_1)
	v_fmac_f32_e32 v108, v110, v107
	v_fma_f32 v101, -v101, v108, v109
	s_delay_alu instid0(VALU_DEP_1) | instskip(NEXT) | instid1(VALU_DEP_1)
	v_div_fmas_f32 v101, v101, v107, v108
	v_div_fixup_f32 v101, v101, v98, v99
	s_delay_alu instid0(VALU_DEP_1) | instskip(NEXT) | instid1(VALU_DEP_1)
	v_fmac_f32_e32 v98, v99, v101
	v_div_scale_f32 v99, null, v98, v98, 1.0
	s_delay_alu instid0(VALU_DEP_1) | instskip(SKIP_1) | instid1(TRANS32_DEP_1)
	v_rcp_f32_e32 v107, v99
	v_nop
	v_fma_f32 v108, -v99, v107, 1.0
	s_delay_alu instid0(VALU_DEP_1) | instskip(SKIP_1) | instid1(VALU_DEP_1)
	v_fmac_f32_e32 v107, v108, v107
	v_div_scale_f32 v108, vcc_lo, 1.0, v98, 1.0
	v_mul_f32_e32 v109, v108, v107
	s_delay_alu instid0(VALU_DEP_1) | instskip(NEXT) | instid1(VALU_DEP_1)
	v_fma_f32 v110, -v99, v109, v108
	v_fmac_f32_e32 v109, v110, v107
	s_delay_alu instid0(VALU_DEP_1) | instskip(NEXT) | instid1(VALU_DEP_1)
	v_fma_f32 v99, -v99, v109, v108
	v_div_fmas_f32 v99, v99, v107, v109
	s_delay_alu instid0(VALU_DEP_1) | instskip(NEXT) | instid1(VALU_DEP_1)
	v_div_fixup_f32 v98, v99, v98, 1.0
	v_mul_f32_e64 v99, v101, -v98
.LBB90_912:
	s_or_b32 exec_lo, exec_lo, s1
.LBB90_913:
	s_delay_alu instid0(SALU_CYCLE_1) | instskip(NEXT) | instid1(SALU_CYCLE_1)
	s_or_b32 exec_lo, exec_lo, s0
	s_mov_b32 s0, exec_lo
	v_cmpx_ne_u32_e64 v106, v100
	s_xor_b32 s0, exec_lo, s0
	s_cbranch_execz .LBB90_919
; %bb.914:
	s_mov_b32 s1, exec_lo
	v_cmpx_eq_u32_e32 43, v106
	s_cbranch_execz .LBB90_918
; %bb.915:
	v_cmp_ne_u32_e32 vcc_lo, 43, v100
	s_xor_b32 s12, s16, -1
	s_delay_alu instid0(SALU_CYCLE_1) | instskip(NEXT) | instid1(SALU_CYCLE_1)
	s_and_b32 s13, s12, vcc_lo
	s_and_saveexec_b32 s12, s13
	s_cbranch_execz .LBB90_917
; %bb.916:
	v_ashrrev_i32_e32 v101, 31, v100
	s_delay_alu instid0(VALU_DEP_1)
	v_lshl_add_u64 v[106:107], v[100:101], 2, v[4:5]
	s_clause 0x1
	global_load_b32 v101, v[106:107], off
	global_load_b32 v105, v[4:5], off offset:172
	s_wait_loadcnt 0x1
	global_store_b32 v[4:5], v101, off offset:172
	s_wait_loadcnt 0x0
	global_store_b32 v[106:107], v105, off
.LBB90_917:
	s_wait_xcnt 0x0
	s_or_b32 exec_lo, exec_lo, s12
	v_dual_mov_b32 v106, v100 :: v_dual_mov_b32 v105, v100
.LBB90_918:
	s_or_b32 exec_lo, exec_lo, s1
.LBB90_919:
	s_and_not1_saveexec_b32 s0, s0
; %bb.920:
	v_dual_mov_b32 v100, v14 :: v_dual_mov_b32 v101, v15
	v_mov_b32_e32 v106, 43
	ds_store_2addr_b64 v102, v[100:101], v[96:97] offset0:44 offset1:45
; %bb.921:
	s_or_b32 exec_lo, exec_lo, s0
	s_delay_alu instid0(SALU_CYCLE_1)
	s_mov_b32 s0, exec_lo
	s_wait_storecnt_dscnt 0x0
	s_barrier_signal -1
	s_barrier_wait -1
	v_cmpx_lt_i32_e32 43, v106
	s_cbranch_execz .LBB90_923
; %bb.922:
	ds_load_2addr_b64 v[108:111], v102 offset0:44 offset1:45
	v_pk_mul_f32 v[100:101], v[98:99], v[40:41] op_sel:[1,1] op_sel_hi:[0,1]
	s_delay_alu instid0(VALU_DEP_1) | instskip(SKIP_3) | instid1(VALU_DEP_3)
	v_pk_fma_f32 v[112:113], v[98:99], v[40:41], v[100:101] op_sel_hi:[1,0,1]
	v_pk_fma_f32 v[40:41], v[98:99], v[40:41], v[100:101] op_sel_hi:[1,0,1] neg_lo:[0,0,1] neg_hi:[0,0,1]
	s_wait_dscnt 0x0
	v_dual_mov_b32 v114, v111 :: v_dual_mov_b32 v115, v110
	v_pk_mul_f32 v[98:99], v[108:109], v[112:113] op_sel:[0,1]
	s_delay_alu instid0(VALU_DEP_2) | instskip(NEXT) | instid1(VALU_DEP_2)
	v_pk_mul_f32 v[100:101], v[114:115], v[112:113] op_sel:[0,1]
	v_pk_fma_f32 v[114:115], v[108:109], v[40:41], v[98:99] op_sel:[0,0,1] op_sel_hi:[1,0,0]
	v_pk_fma_f32 v[98:99], v[108:109], v[40:41], v[98:99] op_sel:[0,0,1] op_sel_hi:[1,1,0] neg_lo:[0,0,1] neg_hi:[0,0,1]
	s_delay_alu instid0(VALU_DEP_3) | instskip(SKIP_1) | instid1(VALU_DEP_4)
	v_pk_fma_f32 v[116:117], v[110:111], v[40:41], v[100:101] op_sel_hi:[1,0,1]
	v_pk_fma_f32 v[100:101], v[110:111], v[40:41], v[100:101] neg_lo:[0,0,1] neg_hi:[0,0,1]
	v_dual_mov_b32 v99, v115 :: v_dual_mov_b32 v41, v113
	s_delay_alu instid0(VALU_DEP_3) | instskip(NEXT) | instid1(VALU_DEP_2)
	v_mov_b32_e32 v101, v117
	v_pk_add_f32 v[14:15], v[14:15], v[98:99] neg_lo:[0,1] neg_hi:[0,1]
	s_delay_alu instid0(VALU_DEP_2)
	v_pk_add_f32 v[96:97], v[96:97], v[100:101] neg_lo:[0,1] neg_hi:[0,1]
.LBB90_923:
	s_or_b32 exec_lo, exec_lo, s0
	v_lshl_add_u32 v98, v106, 3, v102
	s_barrier_signal -1
	s_barrier_wait -1
	ds_store_b64 v98, v[14:15]
	s_wait_dscnt 0x0
	s_barrier_signal -1
	s_barrier_wait -1
	ds_load_b64 v[98:99], v102 offset:352
	v_mov_b32_e32 v100, 44
	s_cmp_lt_i32 s18, 46
	s_cbranch_scc1 .LBB90_926
; %bb.924:
	v_add3_u32 v101, v103, 0, 0x168
	v_mov_b32_e32 v100, 44
	s_mov_b32 s0, 45
.LBB90_925:                             ; =>This Inner Loop Header: Depth=1
	ds_load_b64 v[108:109], v101
	s_wait_dscnt 0x1
	v_cmp_gt_f32_e32 vcc_lo, 0, v98
	v_cndmask_b32_e64 v110, v98, -v98, vcc_lo
	v_cmp_gt_f32_e32 vcc_lo, 0, v99
	v_cndmask_b32_e64 v112, v99, -v99, vcc_lo
	s_wait_dscnt 0x0
	v_cmp_gt_f32_e32 vcc_lo, 0, v108
	v_cndmask_b32_e64 v111, v108, -v108, vcc_lo
	v_cmp_gt_f32_e32 vcc_lo, 0, v109
	v_cndmask_b32_e64 v113, v109, -v109, vcc_lo
	s_delay_alu instid0(VALU_DEP_1) | instskip(NEXT) | instid1(VALU_DEP_1)
	v_pk_add_f32 v[110:111], v[110:111], v[112:113]
	v_cmp_lt_f32_e32 vcc_lo, v110, v111
	v_dual_cndmask_b32 v98, v98, v108 :: v_dual_add_nc_u32 v101, 8, v101
	v_cndmask_b32_e32 v99, v99, v109, vcc_lo
	v_cndmask_b32_e64 v100, v100, s0, vcc_lo
	s_add_co_i32 s0, s0, 1
	s_delay_alu instid0(SALU_CYCLE_1)
	s_cmp_lg_u32 s18, s0
	s_cbranch_scc1 .LBB90_925
.LBB90_926:
	s_wait_dscnt 0x0
	v_cmp_eq_f32_e32 vcc_lo, 0, v98
	v_cmp_eq_f32_e64 s0, 0, v99
	s_and_b32 s0, vcc_lo, s0
	s_delay_alu instid0(SALU_CYCLE_1) | instskip(NEXT) | instid1(SALU_CYCLE_1)
	s_and_saveexec_b32 s1, s0
	s_xor_b32 s0, exec_lo, s1
; %bb.927:
	v_cmp_ne_u32_e32 vcc_lo, 0, v104
	v_cndmask_b32_e32 v104, 45, v104, vcc_lo
; %bb.928:
	s_and_not1_saveexec_b32 s0, s0
	s_cbranch_execz .LBB90_934
; %bb.929:
	v_cmp_ngt_f32_e64 s1, |v98|, |v99|
	s_and_saveexec_b32 s12, s1
	s_delay_alu instid0(SALU_CYCLE_1)
	s_xor_b32 s1, exec_lo, s12
	s_cbranch_execz .LBB90_931
; %bb.930:
	v_div_scale_f32 v101, null, v99, v99, v98
	v_div_scale_f32 v109, vcc_lo, v98, v99, v98
	s_delay_alu instid0(VALU_DEP_2) | instskip(SKIP_1) | instid1(TRANS32_DEP_1)
	v_rcp_f32_e32 v107, v101
	v_nop
	v_fma_f32 v108, -v101, v107, 1.0
	s_delay_alu instid0(VALU_DEP_1) | instskip(NEXT) | instid1(VALU_DEP_1)
	v_fmac_f32_e32 v107, v108, v107
	v_mul_f32_e32 v108, v109, v107
	s_delay_alu instid0(VALU_DEP_1) | instskip(NEXT) | instid1(VALU_DEP_1)
	v_fma_f32 v110, -v101, v108, v109
	v_fmac_f32_e32 v108, v110, v107
	s_delay_alu instid0(VALU_DEP_1) | instskip(NEXT) | instid1(VALU_DEP_1)
	v_fma_f32 v101, -v101, v108, v109
	v_div_fmas_f32 v101, v101, v107, v108
	s_delay_alu instid0(VALU_DEP_1) | instskip(NEXT) | instid1(VALU_DEP_1)
	v_div_fixup_f32 v101, v101, v99, v98
	v_fmac_f32_e32 v99, v98, v101
	s_delay_alu instid0(VALU_DEP_1) | instskip(SKIP_1) | instid1(VALU_DEP_2)
	v_div_scale_f32 v98, null, v99, v99, 1.0
	v_div_scale_f32 v109, vcc_lo, 1.0, v99, 1.0
	v_rcp_f32_e32 v107, v98
	v_nop
	s_delay_alu instid0(TRANS32_DEP_1) | instskip(NEXT) | instid1(VALU_DEP_1)
	v_fma_f32 v108, -v98, v107, 1.0
	v_fmac_f32_e32 v107, v108, v107
	s_delay_alu instid0(VALU_DEP_1) | instskip(NEXT) | instid1(VALU_DEP_1)
	v_mul_f32_e32 v108, v109, v107
	v_fma_f32 v110, -v98, v108, v109
	s_delay_alu instid0(VALU_DEP_1) | instskip(NEXT) | instid1(VALU_DEP_1)
	v_fmac_f32_e32 v108, v110, v107
	v_fma_f32 v98, -v98, v108, v109
	s_delay_alu instid0(VALU_DEP_1) | instskip(NEXT) | instid1(VALU_DEP_1)
	v_div_fmas_f32 v98, v98, v107, v108
	v_div_fixup_f32 v99, v98, v99, 1.0
	s_delay_alu instid0(VALU_DEP_1)
	v_mul_f32_e32 v98, v101, v99
	v_xor_b32_e32 v99, 0x80000000, v99
.LBB90_931:
	s_and_not1_saveexec_b32 s1, s1
	s_cbranch_execz .LBB90_933
; %bb.932:
	s_delay_alu instid0(VALU_DEP_1) | instskip(SKIP_1) | instid1(VALU_DEP_2)
	v_div_scale_f32 v101, null, v98, v98, v99
	v_div_scale_f32 v109, vcc_lo, v99, v98, v99
	v_rcp_f32_e32 v107, v101
	v_nop
	s_delay_alu instid0(TRANS32_DEP_1) | instskip(NEXT) | instid1(VALU_DEP_1)
	v_fma_f32 v108, -v101, v107, 1.0
	v_fmac_f32_e32 v107, v108, v107
	s_delay_alu instid0(VALU_DEP_1) | instskip(NEXT) | instid1(VALU_DEP_1)
	v_mul_f32_e32 v108, v109, v107
	v_fma_f32 v110, -v101, v108, v109
	s_delay_alu instid0(VALU_DEP_1) | instskip(NEXT) | instid1(VALU_DEP_1)
	v_fmac_f32_e32 v108, v110, v107
	v_fma_f32 v101, -v101, v108, v109
	s_delay_alu instid0(VALU_DEP_1) | instskip(NEXT) | instid1(VALU_DEP_1)
	v_div_fmas_f32 v101, v101, v107, v108
	v_div_fixup_f32 v101, v101, v98, v99
	s_delay_alu instid0(VALU_DEP_1) | instskip(NEXT) | instid1(VALU_DEP_1)
	v_fmac_f32_e32 v98, v99, v101
	v_div_scale_f32 v99, null, v98, v98, 1.0
	s_delay_alu instid0(VALU_DEP_1) | instskip(SKIP_1) | instid1(TRANS32_DEP_1)
	v_rcp_f32_e32 v107, v99
	v_nop
	v_fma_f32 v108, -v99, v107, 1.0
	s_delay_alu instid0(VALU_DEP_1) | instskip(SKIP_1) | instid1(VALU_DEP_1)
	v_fmac_f32_e32 v107, v108, v107
	v_div_scale_f32 v108, vcc_lo, 1.0, v98, 1.0
	v_mul_f32_e32 v109, v108, v107
	s_delay_alu instid0(VALU_DEP_1) | instskip(NEXT) | instid1(VALU_DEP_1)
	v_fma_f32 v110, -v99, v109, v108
	v_fmac_f32_e32 v109, v110, v107
	s_delay_alu instid0(VALU_DEP_1) | instskip(NEXT) | instid1(VALU_DEP_1)
	v_fma_f32 v99, -v99, v109, v108
	v_div_fmas_f32 v99, v99, v107, v109
	s_delay_alu instid0(VALU_DEP_1) | instskip(NEXT) | instid1(VALU_DEP_1)
	v_div_fixup_f32 v98, v99, v98, 1.0
	v_mul_f32_e64 v99, v101, -v98
.LBB90_933:
	s_or_b32 exec_lo, exec_lo, s1
.LBB90_934:
	s_delay_alu instid0(SALU_CYCLE_1) | instskip(NEXT) | instid1(SALU_CYCLE_1)
	s_or_b32 exec_lo, exec_lo, s0
	s_mov_b32 s0, exec_lo
	v_cmpx_ne_u32_e64 v106, v100
	s_xor_b32 s0, exec_lo, s0
	s_cbranch_execz .LBB90_940
; %bb.935:
	s_mov_b32 s1, exec_lo
	v_cmpx_eq_u32_e32 44, v106
	s_cbranch_execz .LBB90_939
; %bb.936:
	v_cmp_ne_u32_e32 vcc_lo, 44, v100
	s_xor_b32 s12, s16, -1
	s_delay_alu instid0(SALU_CYCLE_1) | instskip(NEXT) | instid1(SALU_CYCLE_1)
	s_and_b32 s13, s12, vcc_lo
	s_and_saveexec_b32 s12, s13
	s_cbranch_execz .LBB90_938
; %bb.937:
	v_ashrrev_i32_e32 v101, 31, v100
	s_delay_alu instid0(VALU_DEP_1)
	v_lshl_add_u64 v[106:107], v[100:101], 2, v[4:5]
	s_clause 0x1
	global_load_b32 v101, v[106:107], off
	global_load_b32 v105, v[4:5], off offset:176
	s_wait_loadcnt 0x1
	global_store_b32 v[4:5], v101, off offset:176
	s_wait_loadcnt 0x0
	global_store_b32 v[106:107], v105, off
.LBB90_938:
	s_wait_xcnt 0x0
	s_or_b32 exec_lo, exec_lo, s12
	v_dual_mov_b32 v106, v100 :: v_dual_mov_b32 v105, v100
.LBB90_939:
	s_or_b32 exec_lo, exec_lo, s1
.LBB90_940:
	s_and_not1_saveexec_b32 s0, s0
; %bb.941:
	v_mov_b32_e32 v106, 44
	ds_store_b64 v102, v[96:97] offset:360
; %bb.942:
	s_or_b32 exec_lo, exec_lo, s0
	s_delay_alu instid0(SALU_CYCLE_1)
	s_mov_b32 s0, exec_lo
	s_wait_storecnt_dscnt 0x0
	s_barrier_signal -1
	s_barrier_wait -1
	v_cmpx_lt_i32_e32 44, v106
	s_cbranch_execz .LBB90_944
; %bb.943:
	ds_load_b64 v[100:101], v102 offset:360
	v_pk_mul_f32 v[108:109], v[98:99], v[14:15] op_sel:[1,1] op_sel_hi:[0,1]
	s_delay_alu instid0(VALU_DEP_1) | instskip(SKIP_2) | instid1(VALU_DEP_2)
	v_pk_fma_f32 v[110:111], v[98:99], v[14:15], v[108:109] op_sel_hi:[1,0,1]
	v_pk_fma_f32 v[14:15], v[98:99], v[14:15], v[108:109] op_sel_hi:[1,0,1] neg_lo:[0,0,1] neg_hi:[0,0,1]
	s_wait_dscnt 0x0
	v_pk_mul_f32 v[98:99], v[100:101], v[110:111] op_sel:[1,1] op_sel_hi:[0,1]
	s_delay_alu instid0(VALU_DEP_1) | instskip(SKIP_1) | instid1(VALU_DEP_2)
	v_pk_fma_f32 v[108:109], v[100:101], v[14:15], v[98:99] op_sel_hi:[1,0,1]
	v_pk_fma_f32 v[98:99], v[100:101], v[14:15], v[98:99] neg_lo:[0,0,1] neg_hi:[0,0,1]
	v_dual_mov_b32 v15, v111 :: v_dual_mov_b32 v99, v109
	s_delay_alu instid0(VALU_DEP_1)
	v_pk_add_f32 v[96:97], v[96:97], v[98:99] neg_lo:[0,1] neg_hi:[0,1]
.LBB90_944:
	s_or_b32 exec_lo, exec_lo, s0
	v_lshl_add_u32 v98, v106, 3, v102
	s_barrier_signal -1
	s_barrier_wait -1
	ds_store_b64 v98, v[96:97]
	s_wait_dscnt 0x0
	s_barrier_signal -1
	s_barrier_wait -1
	ds_load_b64 v[98:99], v102 offset:360
	v_mov_b32_e32 v100, 45
	s_cmp_lt_i32 s18, 47
	s_cbranch_scc1 .LBB90_947
; %bb.945:
	v_add3_u32 v101, v103, 0, 0x170
	v_mov_b32_e32 v100, 45
	s_mov_b32 s0, 46
.LBB90_946:                             ; =>This Inner Loop Header: Depth=1
	ds_load_b64 v[102:103], v101
	s_wait_dscnt 0x1
	v_cmp_gt_f32_e32 vcc_lo, 0, v98
	v_cndmask_b32_e64 v108, v98, -v98, vcc_lo
	v_cmp_gt_f32_e32 vcc_lo, 0, v99
	v_cndmask_b32_e64 v110, v99, -v99, vcc_lo
	s_wait_dscnt 0x0
	v_cmp_gt_f32_e32 vcc_lo, 0, v102
	v_cndmask_b32_e64 v109, v102, -v102, vcc_lo
	v_cmp_gt_f32_e32 vcc_lo, 0, v103
	v_cndmask_b32_e64 v111, v103, -v103, vcc_lo
	s_delay_alu instid0(VALU_DEP_1) | instskip(NEXT) | instid1(VALU_DEP_1)
	v_pk_add_f32 v[108:109], v[108:109], v[110:111]
	v_cmp_lt_f32_e32 vcc_lo, v108, v109
	v_dual_add_nc_u32 v101, 8, v101 :: v_dual_cndmask_b32 v99, v99, v103, vcc_lo
	v_cndmask_b32_e32 v98, v98, v102, vcc_lo
	v_cndmask_b32_e64 v100, v100, s0, vcc_lo
	s_add_co_i32 s0, s0, 1
	s_delay_alu instid0(SALU_CYCLE_1)
	s_cmp_lg_u32 s18, s0
	s_cbranch_scc1 .LBB90_946
.LBB90_947:
	s_wait_dscnt 0x0
	v_cmp_eq_f32_e32 vcc_lo, 0, v98
	v_cmp_eq_f32_e64 s0, 0, v99
	s_and_b32 s0, vcc_lo, s0
	s_delay_alu instid0(SALU_CYCLE_1) | instskip(NEXT) | instid1(SALU_CYCLE_1)
	s_and_saveexec_b32 s1, s0
	s_xor_b32 s0, exec_lo, s1
; %bb.948:
	v_cmp_ne_u32_e32 vcc_lo, 0, v104
	v_cndmask_b32_e32 v104, 46, v104, vcc_lo
; %bb.949:
	s_and_not1_saveexec_b32 s0, s0
	s_cbranch_execz .LBB90_955
; %bb.950:
	v_cmp_ngt_f32_e64 s1, |v98|, |v99|
	s_and_saveexec_b32 s12, s1
	s_delay_alu instid0(SALU_CYCLE_1)
	s_xor_b32 s1, exec_lo, s12
	s_cbranch_execz .LBB90_952
; %bb.951:
	v_div_scale_f32 v101, null, v99, v99, v98
	v_div_scale_f32 v107, vcc_lo, v98, v99, v98
	s_delay_alu instid0(VALU_DEP_2) | instskip(SKIP_1) | instid1(TRANS32_DEP_1)
	v_rcp_f32_e32 v102, v101
	v_nop
	v_fma_f32 v103, -v101, v102, 1.0
	s_delay_alu instid0(VALU_DEP_1) | instskip(NEXT) | instid1(VALU_DEP_1)
	v_fmac_f32_e32 v102, v103, v102
	v_mul_f32_e32 v103, v107, v102
	s_delay_alu instid0(VALU_DEP_1) | instskip(NEXT) | instid1(VALU_DEP_1)
	v_fma_f32 v108, -v101, v103, v107
	v_fmac_f32_e32 v103, v108, v102
	s_delay_alu instid0(VALU_DEP_1) | instskip(NEXT) | instid1(VALU_DEP_1)
	v_fma_f32 v101, -v101, v103, v107
	v_div_fmas_f32 v101, v101, v102, v103
	s_delay_alu instid0(VALU_DEP_1) | instskip(NEXT) | instid1(VALU_DEP_1)
	v_div_fixup_f32 v101, v101, v99, v98
	v_fmac_f32_e32 v99, v98, v101
	s_delay_alu instid0(VALU_DEP_1) | instskip(SKIP_1) | instid1(VALU_DEP_2)
	v_div_scale_f32 v98, null, v99, v99, 1.0
	v_div_scale_f32 v107, vcc_lo, 1.0, v99, 1.0
	v_rcp_f32_e32 v102, v98
	v_nop
	s_delay_alu instid0(TRANS32_DEP_1) | instskip(NEXT) | instid1(VALU_DEP_1)
	v_fma_f32 v103, -v98, v102, 1.0
	v_fmac_f32_e32 v102, v103, v102
	s_delay_alu instid0(VALU_DEP_1) | instskip(NEXT) | instid1(VALU_DEP_1)
	v_mul_f32_e32 v103, v107, v102
	v_fma_f32 v108, -v98, v103, v107
	s_delay_alu instid0(VALU_DEP_1) | instskip(NEXT) | instid1(VALU_DEP_1)
	v_fmac_f32_e32 v103, v108, v102
	v_fma_f32 v98, -v98, v103, v107
	s_delay_alu instid0(VALU_DEP_1) | instskip(NEXT) | instid1(VALU_DEP_1)
	v_div_fmas_f32 v98, v98, v102, v103
	v_div_fixup_f32 v99, v98, v99, 1.0
	s_delay_alu instid0(VALU_DEP_1)
	v_mul_f32_e32 v98, v101, v99
	v_xor_b32_e32 v99, 0x80000000, v99
.LBB90_952:
	s_and_not1_saveexec_b32 s1, s1
	s_cbranch_execz .LBB90_954
; %bb.953:
	s_delay_alu instid0(VALU_DEP_1) | instskip(SKIP_1) | instid1(VALU_DEP_2)
	v_div_scale_f32 v101, null, v98, v98, v99
	v_div_scale_f32 v107, vcc_lo, v99, v98, v99
	v_rcp_f32_e32 v102, v101
	v_nop
	s_delay_alu instid0(TRANS32_DEP_1) | instskip(NEXT) | instid1(VALU_DEP_1)
	v_fma_f32 v103, -v101, v102, 1.0
	v_fmac_f32_e32 v102, v103, v102
	s_delay_alu instid0(VALU_DEP_1) | instskip(NEXT) | instid1(VALU_DEP_1)
	v_mul_f32_e32 v103, v107, v102
	v_fma_f32 v108, -v101, v103, v107
	s_delay_alu instid0(VALU_DEP_1) | instskip(NEXT) | instid1(VALU_DEP_1)
	v_fmac_f32_e32 v103, v108, v102
	v_fma_f32 v101, -v101, v103, v107
	s_delay_alu instid0(VALU_DEP_1) | instskip(NEXT) | instid1(VALU_DEP_1)
	v_div_fmas_f32 v101, v101, v102, v103
	v_div_fixup_f32 v101, v101, v98, v99
	s_delay_alu instid0(VALU_DEP_1) | instskip(NEXT) | instid1(VALU_DEP_1)
	v_fmac_f32_e32 v98, v99, v101
	v_div_scale_f32 v99, null, v98, v98, 1.0
	s_delay_alu instid0(VALU_DEP_1) | instskip(SKIP_1) | instid1(TRANS32_DEP_1)
	v_rcp_f32_e32 v102, v99
	v_nop
	v_fma_f32 v103, -v99, v102, 1.0
	s_delay_alu instid0(VALU_DEP_1) | instskip(SKIP_1) | instid1(VALU_DEP_1)
	v_fmac_f32_e32 v102, v103, v102
	v_div_scale_f32 v103, vcc_lo, 1.0, v98, 1.0
	v_mul_f32_e32 v107, v103, v102
	s_delay_alu instid0(VALU_DEP_1) | instskip(NEXT) | instid1(VALU_DEP_1)
	v_fma_f32 v108, -v99, v107, v103
	v_fmac_f32_e32 v107, v108, v102
	s_delay_alu instid0(VALU_DEP_1) | instskip(NEXT) | instid1(VALU_DEP_1)
	v_fma_f32 v99, -v99, v107, v103
	v_div_fmas_f32 v99, v99, v102, v107
	s_delay_alu instid0(VALU_DEP_1) | instskip(NEXT) | instid1(VALU_DEP_1)
	v_div_fixup_f32 v98, v99, v98, 1.0
	v_mul_f32_e64 v99, v101, -v98
.LBB90_954:
	s_or_b32 exec_lo, exec_lo, s1
.LBB90_955:
	s_delay_alu instid0(SALU_CYCLE_1)
	s_or_b32 exec_lo, exec_lo, s0
	v_mov_b32_e32 v102, 45
	s_mov_b32 s0, exec_lo
	v_cmpx_ne_u32_e64 v106, v100
	s_cbranch_execz .LBB90_961
; %bb.956:
	s_mov_b32 s1, exec_lo
	v_cmpx_eq_u32_e32 45, v106
	s_cbranch_execz .LBB90_960
; %bb.957:
	v_cmp_ne_u32_e32 vcc_lo, 45, v100
	s_xor_b32 s12, s16, -1
	s_delay_alu instid0(SALU_CYCLE_1) | instskip(NEXT) | instid1(SALU_CYCLE_1)
	s_and_b32 s13, s12, vcc_lo
	s_and_saveexec_b32 s12, s13
	s_cbranch_execz .LBB90_959
; %bb.958:
	v_ashrrev_i32_e32 v101, 31, v100
	s_delay_alu instid0(VALU_DEP_1)
	v_lshl_add_u64 v[102:103], v[100:101], 2, v[4:5]
	s_clause 0x1
	global_load_b32 v101, v[102:103], off
	global_load_b32 v105, v[4:5], off offset:180
	s_wait_loadcnt 0x1
	global_store_b32 v[4:5], v101, off offset:180
	s_wait_loadcnt 0x0
	global_store_b32 v[102:103], v105, off
.LBB90_959:
	s_wait_xcnt 0x0
	s_or_b32 exec_lo, exec_lo, s12
	v_dual_mov_b32 v106, v100 :: v_dual_mov_b32 v105, v100
.LBB90_960:
	s_or_b32 exec_lo, exec_lo, s1
	s_delay_alu instid0(VALU_DEP_1)
	v_mov_b32_e32 v102, v106
.LBB90_961:
	s_or_b32 exec_lo, exec_lo, s0
	s_delay_alu instid0(VALU_DEP_1)
	v_ashrrev_i32_e32 v103, 31, v102
	s_mov_b32 s0, exec_lo
	s_wait_storecnt 0x0
	s_barrier_signal -1
	s_barrier_wait -1
	s_barrier_signal -1
	s_barrier_wait -1
	v_cmpx_gt_i32_e32 46, v102
	s_cbranch_execz .LBB90_963
; %bb.962:
	v_mul_u64_e32 v[4:5], s[10:11], v[2:3]
	v_add3_u32 v100, v105, s17, 1
	s_delay_alu instid0(VALU_DEP_2) | instskip(NEXT) | instid1(VALU_DEP_1)
	v_lshl_add_u64 v[4:5], v[4:5], 2, s[6:7]
	v_lshl_add_u64 v[4:5], s[8:9], 2, v[4:5]
	s_delay_alu instid0(VALU_DEP_1)
	v_lshl_add_u64 v[4:5], v[102:103], 2, v[4:5]
	global_store_b32 v[4:5], v100, off
.LBB90_963:
	s_wait_xcnt 0x0
	s_or_b32 exec_lo, exec_lo, s0
	s_delay_alu instid0(SALU_CYCLE_1)
	s_mov_b32 s1, exec_lo
	v_cmpx_eq_u32_e32 0, v102
	s_cbranch_execz .LBB90_966
; %bb.964:
	s_wait_kmcnt 0x0
	v_lshl_add_u64 v[2:3], v[2:3], 2, s[4:5]
	v_cmp_ne_u32_e64 s0, 0, v104
	global_load_b32 v4, v[2:3], off
	s_wait_loadcnt 0x0
	v_cmp_eq_u32_e32 vcc_lo, 0, v4
	s_and_b32 s0, vcc_lo, s0
	s_wait_xcnt 0x0
	s_and_b32 exec_lo, exec_lo, s0
	s_cbranch_execz .LBB90_966
; %bb.965:
	v_add_nc_u32_e32 v4, s17, v104
	global_store_b32 v[2:3], v4, off
.LBB90_966:
	s_wait_xcnt 0x0
	s_or_b32 exec_lo, exec_lo, s1
	v_add3_u32 v4, s2, s2, v102
	v_pk_mul_f32 v[2:3], v[98:99], v[96:97] op_sel:[1,1] op_sel_hi:[0,1]
	v_cmp_lt_i32_e32 vcc_lo, 45, v102
	s_delay_alu instid0(VALU_DEP_3) | instskip(NEXT) | instid1(VALU_DEP_3)
	v_add_nc_u32_e32 v100, s2, v4
	v_pk_fma_f32 v[122:123], v[98:99], v[96:97], v[2:3] op_sel_hi:[1,0,1]
	v_pk_fma_f32 v[2:3], v[98:99], v[96:97], v[2:3] neg_lo:[0,0,1] neg_hi:[0,0,1]
	v_ashrrev_i32_e32 v5, 31, v4
	s_delay_alu instid0(VALU_DEP_3) | instskip(NEXT) | instid1(VALU_DEP_3)
	v_dual_cndmask_b32 v3, v97, v123 :: v_dual_add_nc_u32 v104, s2, v100
	v_cndmask_b32_e32 v2, v96, v2, vcc_lo
	v_lshl_add_u64 v[96:97], v[102:103], 3, v[0:1]
	s_delay_alu instid0(VALU_DEP_4) | instskip(NEXT) | instid1(VALU_DEP_4)
	v_lshl_add_u64 v[4:5], v[4:5], 3, v[0:1]
	v_add_nc_u32_e32 v106, s2, v104
	global_store_b64 v[96:97], v[94:95], off
	s_wait_xcnt 0x0
	v_lshl_add_u64 v[96:97], s[2:3], 3, v[96:97]
	v_add_nc_u32_e32 v108, s2, v106
	global_store_b64 v[96:97], v[92:93], off
	v_add_nc_u32_e32 v110, s2, v108
	s_delay_alu instid0(VALU_DEP_1) | instskip(NEXT) | instid1(VALU_DEP_1)
	v_add_nc_u32_e32 v112, s2, v110
	v_add_nc_u32_e32 v114, s2, v112
	s_delay_alu instid0(VALU_DEP_1) | instskip(SKIP_1) | instid1(VALU_DEP_2)
	v_add_nc_u32_e32 v116, s2, v114
	v_ashrrev_i32_e32 v107, 31, v106
	v_dual_ashrrev_i32 v115, 31, v114 :: v_dual_add_nc_u32 v118, s2, v116
	s_delay_alu instid0(VALU_DEP_1) | instskip(SKIP_1) | instid1(VALU_DEP_2)
	v_dual_add_nc_u32 v120, s2, v118 :: v_dual_ashrrev_i32 v109, 31, v108
	v_ashrrev_i32_e32 v111, 31, v110
	v_dual_ashrrev_i32 v119, 31, v118 :: v_dual_add_nc_u32 v98, s2, v120
	s_delay_alu instid0(VALU_DEP_1) | instskip(NEXT) | instid1(VALU_DEP_1)
	v_add_nc_u32_e32 v102, s2, v98
	v_dual_add_nc_u32 v94, s2, v102 :: v_dual_ashrrev_i32 v101, 31, v100
	v_dual_ashrrev_i32 v121, 31, v120 :: v_dual_ashrrev_i32 v99, 31, v98
	v_ashrrev_i32_e32 v103, 31, v102
	s_delay_alu instid0(VALU_DEP_3) | instskip(SKIP_3) | instid1(VALU_DEP_3)
	v_dual_add_nc_u32 v122, s2, v94 :: v_dual_ashrrev_i32 v105, 31, v104
	s_wait_xcnt 0x0
	v_lshl_add_u64 v[92:93], v[100:101], 3, v[0:1]
	v_ashrrev_i32_e32 v95, 31, v94
	v_add_nc_u32_e32 v100, s2, v122
	v_lshl_add_u64 v[96:97], v[104:105], 3, v[0:1]
	s_clause 0x2
	global_store_b64 v[4:5], v[90:91], off
	global_store_b64 v[92:93], v[88:89], off
	;; [unrolled: 1-line block ×3, first 2 shown]
	s_wait_xcnt 0x2
	v_add_nc_u32_e32 v4, s2, v100
	s_wait_xcnt 0x1
	v_lshl_add_u64 v[88:89], v[106:107], 3, v[0:1]
	v_lshl_add_u64 v[90:91], v[108:109], 3, v[0:1]
	;; [unrolled: 1-line block ×3, first 2 shown]
	s_wait_xcnt 0x0
	v_add_nc_u32_e32 v74, s2, v4
	v_ashrrev_i32_e32 v113, 31, v112
	s_delay_alu instid0(VALU_DEP_2) | instskip(SKIP_1) | instid1(VALU_DEP_3)
	v_dual_ashrrev_i32 v101, 31, v100 :: v_dual_ashrrev_i32 v75, 31, v74
	v_add_nc_u32_e32 v104, s2, v74
	v_lshl_add_u64 v[96:97], v[112:113], 3, v[0:1]
	s_clause 0x3
	global_store_b64 v[88:89], v[22:23], off
	global_store_b64 v[90:91], v[26:27], off
	;; [unrolled: 1-line block ×4, first 2 shown]
	s_wait_xcnt 0x2
	v_lshl_add_u64 v[26:27], v[114:115], 3, v[0:1]
	s_wait_xcnt 0x1
	v_add_nc_u32_e32 v20, s2, v104
	v_lshl_add_u64 v[88:89], v[118:119], 3, v[0:1]
	v_lshl_add_u64 v[90:91], v[120:121], 3, v[0:1]
	s_delay_alu instid0(VALU_DEP_3) | instskip(SKIP_1) | instid1(VALU_DEP_2)
	v_add_nc_u32_e32 v22, s2, v20
	v_ashrrev_i32_e32 v117, 31, v116
	v_dual_ashrrev_i32 v21, 31, v20 :: v_dual_add_nc_u32 v92, s2, v22
	s_wait_xcnt 0x0
	s_delay_alu instid0(VALU_DEP_2)
	v_lshl_add_u64 v[78:79], v[116:117], 3, v[0:1]
	s_clause 0x3
	global_store_b64 v[26:27], v[34:35], off
	global_store_b64 v[78:79], v[38:39], off
	global_store_b64 v[88:89], v[32:33], off
	global_store_b64 v[90:91], v[86:87], off
	s_wait_xcnt 0x3
	v_add_nc_u32_e32 v26, s2, v92
	v_lshl_add_u64 v[34:35], v[98:99], 3, v[0:1]
	s_wait_xcnt 0x2
	v_lshl_add_u64 v[38:39], v[102:103], 3, v[0:1]
	v_lshl_add_u64 v[78:79], v[94:95], 3, v[0:1]
	v_dual_ashrrev_i32 v23, 31, v22 :: v_dual_ashrrev_i32 v93, 31, v92
	s_wait_xcnt 0x1
	v_add_nc_u32_e32 v32, s2, v26
	v_ashrrev_i32_e32 v123, 31, v122
	v_lshl_add_u64 v[20:21], v[20:21], 3, v[0:1]
	v_lshl_add_u64 v[22:23], v[22:23], 3, v[0:1]
	s_delay_alu instid0(VALU_DEP_4)
	v_add_nc_u32_e32 v88, s2, v32
	s_wait_xcnt 0x0
	v_lshl_add_u64 v[86:87], v[122:123], 3, v[0:1]
	s_clause 0x3
	global_store_b64 v[34:35], v[64:65], off
	global_store_b64 v[38:39], v[66:67], off
	;; [unrolled: 1-line block ×4, first 2 shown]
	s_wait_xcnt 0x1
	v_lshl_add_u64 v[62:63], v[100:101], 3, v[0:1]
	v_add_nc_u32_e32 v34, s2, v88
	v_ashrrev_i32_e32 v5, 31, v4
	v_lshl_add_u64 v[64:65], v[74:75], 3, v[0:1]
	s_delay_alu instid0(VALU_DEP_3) | instskip(NEXT) | instid1(VALU_DEP_3)
	v_dual_add_nc_u32 v38, s2, v34 :: v_dual_ashrrev_i32 v105, 31, v104
	v_lshl_add_u64 v[4:5], v[4:5], 3, v[0:1]
	v_ashrrev_i32_e32 v35, 31, v34
	s_delay_alu instid0(VALU_DEP_3) | instskip(NEXT) | instid1(VALU_DEP_4)
	v_add_nc_u32_e32 v74, s2, v38
	v_lshl_add_u64 v[66:67], v[104:105], 3, v[0:1]
	s_clause 0x3
	global_store_b64 v[62:63], v[58:59], off
	global_store_b64 v[4:5], v[60:61], off
	;; [unrolled: 1-line block ×4, first 2 shown]
	s_wait_xcnt 0x3
	v_lshl_add_u64 v[58:59], v[92:93], 3, v[0:1]
	s_wait_xcnt 0x2
	v_add_nc_u32_e32 v4, s2, v74
	v_dual_ashrrev_i32 v27, 31, v26 :: v_dual_ashrrev_i32 v89, 31, v88
	v_ashrrev_i32_e32 v75, 31, v74
	s_wait_xcnt 0x1
	s_delay_alu instid0(VALU_DEP_3) | instskip(NEXT) | instid1(VALU_DEP_3)
	v_dual_ashrrev_i32 v39, 31, v38 :: v_dual_add_nc_u32 v56, s2, v4
	v_lshl_add_u64 v[26:27], v[26:27], 3, v[0:1]
	s_clause 0x3
	global_store_b64 v[20:21], v[50:51], off
	global_store_b64 v[22:23], v[52:53], off
	;; [unrolled: 1-line block ×4, first 2 shown]
	v_lshl_add_u64 v[34:35], v[34:35], 3, v[0:1]
	v_dual_add_nc_u32 v60, s2, v56 :: v_dual_ashrrev_i32 v57, 31, v56
	v_lshl_add_u64 v[38:39], v[38:39], 3, v[0:1]
	s_wait_xcnt 0x3
	s_delay_alu instid0(VALU_DEP_2) | instskip(SKIP_1) | instid1(VALU_DEP_1)
	v_dual_add_nc_u32 v20, s2, v60 :: v_dual_ashrrev_i32 v61, 31, v60
	s_wait_xcnt 0x2
	v_add_nc_u32_e32 v22, s2, v20
	v_ashrrev_i32_e32 v33, 31, v32
	s_wait_xcnt 0x1
	s_delay_alu instid0(VALU_DEP_2) | instskip(SKIP_1) | instid1(VALU_DEP_2)
	v_dual_ashrrev_i32 v21, 31, v20 :: v_dual_add_nc_u32 v48, s2, v22
	s_wait_xcnt 0x0
	v_lshl_add_u64 v[26:27], v[32:33], 3, v[0:1]
	v_lshl_add_u64 v[32:33], v[88:89], 3, v[0:1]
	s_clause 0x3
	global_store_b64 v[26:27], v[44:45], off
	global_store_b64 v[32:33], v[46:47], off
	;; [unrolled: 1-line block ×4, first 2 shown]
	s_wait_xcnt 0x3
	v_add_nc_u32_e32 v26, s2, v48
	s_wait_xcnt 0x1
	v_lshl_add_u64 v[34:35], v[74:75], 3, v[0:1]
	s_wait_xcnt 0x0
	v_lshl_add_u64 v[38:39], v[56:57], 3, v[0:1]
	v_lshl_add_u64 v[42:43], v[60:61], 3, v[0:1]
	;; [unrolled: 1-line block ×3, first 2 shown]
	v_add_nc_u32_e32 v32, s2, v26
	v_dual_ashrrev_i32 v23, 31, v22 :: v_dual_ashrrev_i32 v5, 31, v4
	s_delay_alu instid0(VALU_DEP_2) | instskip(SKIP_1) | instid1(VALU_DEP_3)
	v_dual_ashrrev_i32 v27, 31, v26 :: v_dual_add_nc_u32 v44, s2, v32
	v_ashrrev_i32_e32 v33, 31, v32
	v_lshl_add_u64 v[4:5], v[4:5], 3, v[0:1]
	s_clause 0x3
	global_store_b64 v[34:35], v[30:31], off
	global_store_b64 v[4:5], v[36:37], off
	;; [unrolled: 1-line block ×4, first 2 shown]
	s_wait_xcnt 0x2
	v_dual_add_nc_u32 v4, s2, v44 :: v_dual_ashrrev_i32 v45, 31, v44
	v_lshl_add_u64 v[22:23], v[22:23], 3, v[0:1]
	v_lshl_add_u64 v[26:27], v[26:27], 3, v[0:1]
	s_wait_xcnt 0x1
	s_delay_alu instid0(VALU_DEP_3) | instskip(NEXT) | instid1(VALU_DEP_1)
	v_dual_add_nc_u32 v28, s2, v4 :: v_dual_ashrrev_i32 v5, 31, v4
	v_dual_add_nc_u32 v34, s2, v28 :: v_dual_ashrrev_i32 v29, 31, v28
	v_ashrrev_i32_e32 v49, 31, v48
	s_delay_alu instid0(VALU_DEP_3) | instskip(NEXT) | instid1(VALU_DEP_3)
	v_lshl_add_u64 v[4:5], v[4:5], 3, v[0:1]
	v_ashrrev_i32_e32 v35, 31, v34
	s_delay_alu instid0(VALU_DEP_3)
	v_lshl_add_u64 v[30:31], v[48:49], 3, v[0:1]
	s_clause 0x3
	global_store_b64 v[20:21], v[18:19], off
	global_store_b64 v[22:23], v[24:25], off
	global_store_b64 v[30:31], v[16:17], off
	global_store_b64 v[26:27], v[70:71], off
	s_wait_xcnt 0x1
	v_add_nc_u32_e32 v16, s2, v34
	v_lshl_add_u64 v[20:21], v[32:33], 3, v[0:1]
	v_lshl_add_u64 v[22:23], v[44:45], 3, v[0:1]
	;; [unrolled: 1-line block ×3, first 2 shown]
	s_clause 0x3
	global_store_b64 v[20:21], v[10:11], off
	global_store_b64 v[22:23], v[12:13], off
	;; [unrolled: 1-line block ×4, first 2 shown]
	v_dual_add_nc_u32 v18, s2, v16 :: v_dual_ashrrev_i32 v17, 31, v16
	s_wait_xcnt 0x1
	v_lshl_add_u64 v[8:9], v[34:35], 3, v[0:1]
	s_delay_alu instid0(VALU_DEP_2) | instskip(NEXT) | instid1(VALU_DEP_3)
	v_add_nc_u32_e32 v26, s2, v18
	v_lshl_add_u64 v[10:11], v[16:17], 3, v[0:1]
	s_delay_alu instid0(VALU_DEP_2) | instskip(SKIP_1) | instid1(VALU_DEP_2)
	v_add_nc_u32_e32 v4, s2, v26
	v_ashrrev_i32_e32 v19, 31, v18
	v_dual_ashrrev_i32 v27, 31, v26 :: v_dual_ashrrev_i32 v5, 31, v4
	s_delay_alu instid0(VALU_DEP_2) | instskip(NEXT) | instid1(VALU_DEP_2)
	v_lshl_add_u64 v[12:13], v[18:19], 3, v[0:1]
	v_lshl_add_u64 v[16:17], v[26:27], 3, v[0:1]
	s_delay_alu instid0(VALU_DEP_3)
	v_lshl_add_u64 v[0:1], v[4:5], 3, v[0:1]
	s_clause 0x4
	global_store_b64 v[8:9], v[6:7], off
	global_store_b64 v[10:11], v[54:55], off
	;; [unrolled: 1-line block ×5, first 2 shown]
.LBB90_967:
	s_sendmsg sendmsg(MSG_DEALLOC_VGPRS)
	s_endpgm
	.section	.rodata,"a",@progbits
	.p2align	6, 0x0
	.amdhsa_kernel _ZN9rocsolver6v33100L18getf2_small_kernelILi46E19rocblas_complex_numIfEiiPS3_EEvT1_T3_lS5_lPS5_llPT2_S5_S5_S7_l
		.amdhsa_group_segment_fixed_size 0
		.amdhsa_private_segment_fixed_size 0
		.amdhsa_kernarg_size 352
		.amdhsa_user_sgpr_count 2
		.amdhsa_user_sgpr_dispatch_ptr 0
		.amdhsa_user_sgpr_queue_ptr 0
		.amdhsa_user_sgpr_kernarg_segment_ptr 1
		.amdhsa_user_sgpr_dispatch_id 0
		.amdhsa_user_sgpr_kernarg_preload_length 0
		.amdhsa_user_sgpr_kernarg_preload_offset 0
		.amdhsa_user_sgpr_private_segment_size 0
		.amdhsa_wavefront_size32 1
		.amdhsa_uses_dynamic_stack 0
		.amdhsa_enable_private_segment 0
		.amdhsa_system_sgpr_workgroup_id_x 1
		.amdhsa_system_sgpr_workgroup_id_y 1
		.amdhsa_system_sgpr_workgroup_id_z 0
		.amdhsa_system_sgpr_workgroup_info 0
		.amdhsa_system_vgpr_workitem_id 1
		.amdhsa_next_free_vgpr 128
		.amdhsa_next_free_sgpr 19
		.amdhsa_named_barrier_count 0
		.amdhsa_reserve_vcc 1
		.amdhsa_float_round_mode_32 0
		.amdhsa_float_round_mode_16_64 0
		.amdhsa_float_denorm_mode_32 3
		.amdhsa_float_denorm_mode_16_64 3
		.amdhsa_fp16_overflow 0
		.amdhsa_memory_ordered 1
		.amdhsa_forward_progress 1
		.amdhsa_inst_pref_size 255
		.amdhsa_round_robin_scheduling 0
		.amdhsa_exception_fp_ieee_invalid_op 0
		.amdhsa_exception_fp_denorm_src 0
		.amdhsa_exception_fp_ieee_div_zero 0
		.amdhsa_exception_fp_ieee_overflow 0
		.amdhsa_exception_fp_ieee_underflow 0
		.amdhsa_exception_fp_ieee_inexact 0
		.amdhsa_exception_int_div_zero 0
	.end_amdhsa_kernel
	.section	.text._ZN9rocsolver6v33100L18getf2_small_kernelILi46E19rocblas_complex_numIfEiiPS3_EEvT1_T3_lS5_lPS5_llPT2_S5_S5_S7_l,"axG",@progbits,_ZN9rocsolver6v33100L18getf2_small_kernelILi46E19rocblas_complex_numIfEiiPS3_EEvT1_T3_lS5_lPS5_llPT2_S5_S5_S7_l,comdat
.Lfunc_end90:
	.size	_ZN9rocsolver6v33100L18getf2_small_kernelILi46E19rocblas_complex_numIfEiiPS3_EEvT1_T3_lS5_lPS5_llPT2_S5_S5_S7_l, .Lfunc_end90-_ZN9rocsolver6v33100L18getf2_small_kernelILi46E19rocblas_complex_numIfEiiPS3_EEvT1_T3_lS5_lPS5_llPT2_S5_S5_S7_l
                                        ; -- End function
	.set _ZN9rocsolver6v33100L18getf2_small_kernelILi46E19rocblas_complex_numIfEiiPS3_EEvT1_T3_lS5_lPS5_llPT2_S5_S5_S7_l.num_vgpr, 128
	.set _ZN9rocsolver6v33100L18getf2_small_kernelILi46E19rocblas_complex_numIfEiiPS3_EEvT1_T3_lS5_lPS5_llPT2_S5_S5_S7_l.num_agpr, 0
	.set _ZN9rocsolver6v33100L18getf2_small_kernelILi46E19rocblas_complex_numIfEiiPS3_EEvT1_T3_lS5_lPS5_llPT2_S5_S5_S7_l.numbered_sgpr, 19
	.set _ZN9rocsolver6v33100L18getf2_small_kernelILi46E19rocblas_complex_numIfEiiPS3_EEvT1_T3_lS5_lPS5_llPT2_S5_S5_S7_l.num_named_barrier, 0
	.set _ZN9rocsolver6v33100L18getf2_small_kernelILi46E19rocblas_complex_numIfEiiPS3_EEvT1_T3_lS5_lPS5_llPT2_S5_S5_S7_l.private_seg_size, 0
	.set _ZN9rocsolver6v33100L18getf2_small_kernelILi46E19rocblas_complex_numIfEiiPS3_EEvT1_T3_lS5_lPS5_llPT2_S5_S5_S7_l.uses_vcc, 1
	.set _ZN9rocsolver6v33100L18getf2_small_kernelILi46E19rocblas_complex_numIfEiiPS3_EEvT1_T3_lS5_lPS5_llPT2_S5_S5_S7_l.uses_flat_scratch, 0
	.set _ZN9rocsolver6v33100L18getf2_small_kernelILi46E19rocblas_complex_numIfEiiPS3_EEvT1_T3_lS5_lPS5_llPT2_S5_S5_S7_l.has_dyn_sized_stack, 0
	.set _ZN9rocsolver6v33100L18getf2_small_kernelILi46E19rocblas_complex_numIfEiiPS3_EEvT1_T3_lS5_lPS5_llPT2_S5_S5_S7_l.has_recursion, 0
	.set _ZN9rocsolver6v33100L18getf2_small_kernelILi46E19rocblas_complex_numIfEiiPS3_EEvT1_T3_lS5_lPS5_llPT2_S5_S5_S7_l.has_indirect_call, 0
	.section	.AMDGPU.csdata,"",@progbits
; Kernel info:
; codeLenInByte = 106276
; TotalNumSgprs: 21
; NumVgprs: 128
; ScratchSize: 0
; MemoryBound: 0
; FloatMode: 240
; IeeeMode: 1
; LDSByteSize: 0 bytes/workgroup (compile time only)
; SGPRBlocks: 0
; VGPRBlocks: 7
; NumSGPRsForWavesPerEU: 21
; NumVGPRsForWavesPerEU: 128
; NamedBarCnt: 0
; Occupancy: 8
; WaveLimiterHint : 0
; COMPUTE_PGM_RSRC2:SCRATCH_EN: 0
; COMPUTE_PGM_RSRC2:USER_SGPR: 2
; COMPUTE_PGM_RSRC2:TRAP_HANDLER: 0
; COMPUTE_PGM_RSRC2:TGID_X_EN: 1
; COMPUTE_PGM_RSRC2:TGID_Y_EN: 1
; COMPUTE_PGM_RSRC2:TGID_Z_EN: 0
; COMPUTE_PGM_RSRC2:TIDIG_COMP_CNT: 1
	.section	.text._ZN9rocsolver6v33100L23getf2_npvt_small_kernelILi46E19rocblas_complex_numIfEiiPS3_EEvT1_T3_lS5_lPT2_S5_S5_,"axG",@progbits,_ZN9rocsolver6v33100L23getf2_npvt_small_kernelILi46E19rocblas_complex_numIfEiiPS3_EEvT1_T3_lS5_lPT2_S5_S5_,comdat
	.globl	_ZN9rocsolver6v33100L23getf2_npvt_small_kernelILi46E19rocblas_complex_numIfEiiPS3_EEvT1_T3_lS5_lPT2_S5_S5_ ; -- Begin function _ZN9rocsolver6v33100L23getf2_npvt_small_kernelILi46E19rocblas_complex_numIfEiiPS3_EEvT1_T3_lS5_lPT2_S5_S5_
	.p2align	8
	.type	_ZN9rocsolver6v33100L23getf2_npvt_small_kernelILi46E19rocblas_complex_numIfEiiPS3_EEvT1_T3_lS5_lPT2_S5_S5_,@function
_ZN9rocsolver6v33100L23getf2_npvt_small_kernelILi46E19rocblas_complex_numIfEiiPS3_EEvT1_T3_lS5_lPT2_S5_S5_: ; @_ZN9rocsolver6v33100L23getf2_npvt_small_kernelILi46E19rocblas_complex_numIfEiiPS3_EEvT1_T3_lS5_lPT2_S5_S5_
; %bb.0:
	s_clause 0x1
	s_load_u16 s14, s[0:1], 0x46
	s_load_b64 s[2:3], s[0:1], 0x30
	s_bfe_u32 s4, ttmp6, 0x40010
	s_bfe_u32 s5, ttmp6, 0x40004
	s_add_co_i32 s4, s4, 1
	s_getreg_b32 s6, hwreg(HW_REG_IB_STS2, 6, 4)
	s_mul_i32 s4, ttmp7, s4
	v_bfe_u32 v35, v0, 10, 10
	s_add_co_i32 s5, s5, s4
	s_cmp_eq_u32 s6, 0
	s_cselect_b32 s4, ttmp7, s5
	s_wait_kmcnt 0x0
	v_mad_u32 v182, s4, s14, v35
	s_delay_alu instid0(VALU_DEP_1)
	v_cmp_gt_i32_e32 vcc_lo, s2, v182
	s_and_saveexec_b32 s2, vcc_lo
	s_cbranch_execz .LBB91_417
; %bb.1:
	s_clause 0x1
	s_load_b32 s12, s[0:1], 0x18
	s_load_b128 s[8:11], s[0:1], 0x8
	v_and_b32_e32 v34, 0x3ff, v0
	s_load_b128 s[4:7], s[0:1], 0x20
	v_mov_b32_e32 v31, 0
	s_mulk_i32 s14, 0x170
	v_ashrrev_i32_e32 v183, 31, v182
	v_lshlrev_b32_e32 v30, 3, v34
	s_wait_xcnt 0x0
	v_cmp_ne_u32_e64 s1, 0, v34
	v_cmp_eq_u32_e64 s0, 0, v34
	s_wait_kmcnt 0x0
	v_add3_u32 v28, s12, s12, v34
	s_ashr_i32 s13, s12, 31
	v_mul_u64_e32 v[16:17], s[4:5], v[182:183]
	s_delay_alu instid0(VALU_DEP_2) | instskip(NEXT) | instid1(VALU_DEP_1)
	v_dual_add_nc_u32 v14, s12, v28 :: v_dual_ashrrev_i32 v29, 31, v28
	v_add_nc_u32_e32 v18, s12, v14
	s_delay_alu instid0(VALU_DEP_1) | instskip(NEXT) | instid1(VALU_DEP_1)
	v_add_nc_u32_e32 v20, s12, v18
	v_dual_add_nc_u32 v22, s12, v20 :: v_dual_ashrrev_i32 v19, 31, v18
	s_delay_alu instid0(VALU_DEP_1) | instskip(NEXT) | instid1(VALU_DEP_1)
	v_dual_ashrrev_i32 v21, 31, v20 :: v_dual_add_nc_u32 v24, s12, v22
	v_add_nc_u32_e32 v26, s12, v24
	s_delay_alu instid0(VALU_DEP_1) | instskip(SKIP_1) | instid1(VALU_DEP_2)
	v_add_nc_u32_e32 v12, s12, v26
	v_lshl_add_u64 v[16:17], v[16:17], 3, s[8:9]
	v_dual_add_nc_u32 v8, s12, v12 :: v_dual_ashrrev_i32 v23, 31, v22
	v_ashrrev_i32_e32 v25, 31, v24
	s_delay_alu instid0(VALU_DEP_3) | instskip(NEXT) | instid1(VALU_DEP_3)
	v_lshl_add_u64 v[154:155], s[10:11], 3, v[16:17]
	v_add_nc_u32_e32 v0, s12, v8
	v_ashrrev_i32_e32 v13, 31, v12
	s_delay_alu instid0(VALU_DEP_3) | instskip(SKIP_1) | instid1(VALU_DEP_4)
	v_add_nc_u64_e32 v[16:17], v[154:155], v[30:31]
	v_lshl_add_u64 v[30:31], v[28:29], 3, v[154:155]
	v_add_nc_u32_e32 v4, s12, v0
	v_lshl_add_u64 v[32:33], v[18:19], 3, v[154:155]
	v_lshl_add_u64 v[18:19], v[20:21], 3, v[154:155]
	v_lshl_add_u64 v[20:21], v[22:23], 3, v[154:155]
	v_lshl_add_u64 v[22:23], v[24:25], 3, v[154:155]
	v_add_nc_u32_e32 v2, s12, v4
	v_ashrrev_i32_e32 v1, 31, v0
	s_clause 0x3
	scratch_store_b64 off, v[18:19], off
	scratch_store_b64 off, v[20:21], off offset:8
	scratch_store_b64 off, v[22:23], off offset:24
	;; [unrolled: 1-line block ×3, first 2 shown]
	v_add_nc_u32_e32 v6, s12, v2
	s_clause 0x3
	global_load_b64 v[54:55], v[18:19], off
	global_load_b64 v[56:57], v[20:21], off
	;; [unrolled: 1-line block ×4, first 2 shown]
	v_dual_add_nc_u32 v10, s12, v6 :: v_dual_ashrrev_i32 v5, 31, v4
	v_ashrrev_i32_e32 v7, 31, v6
	global_load_b64 v[82:83], v[30:31], off
	v_ashrrev_i32_e32 v3, 31, v2
	v_add_nc_u32_e32 v36, s12, v10
	v_ashrrev_i32_e32 v15, 31, v14
	s_delay_alu instid0(VALU_DEP_2) | instskip(SKIP_1) | instid1(VALU_DEP_3)
	v_dual_ashrrev_i32 v11, 31, v10 :: v_dual_ashrrev_i32 v37, 31, v36
	v_add_nc_u32_e32 v42, s12, v36
	v_lshl_add_u64 v[38:39], v[14:15], 3, v[154:155]
	s_delay_alu instid0(VALU_DEP_3) | instskip(NEXT) | instid1(VALU_DEP_3)
	v_lshl_add_u64 v[10:11], v[10:11], 3, v[154:155]
	v_add_nc_u32_e32 v44, s12, v42
	v_ashrrev_i32_e32 v27, 31, v26
	global_load_b64 v[58:59], v[38:39], off
	v_dual_ashrrev_i32 v43, 31, v42 :: v_dual_add_nc_u32 v28, s12, v44
	v_lshl_add_u64 v[24:25], v[26:27], 3, v[154:155]
	v_lshl_add_u64 v[26:27], v[12:13], 3, v[154:155]
	s_clause 0x1
	scratch_store_b64 off, v[32:33], off offset:48
	scratch_store_b64 off, v[38:39], off offset:40
	v_add_nc_u32_e32 v14, s12, v28
	v_ashrrev_i32_e32 v9, 31, v8
	s_clause 0x2
	global_load_b64 v[32:33], v[32:33], off
	global_load_b64 v[80:81], v[24:25], off
	;; [unrolled: 1-line block ×3, first 2 shown]
	v_add_nc_u32_e32 v12, s12, v14
	v_lshl_add_u64 v[20:21], v[8:9], 3, v[154:155]
	s_clause 0x1
	scratch_store_b64 off, v[24:25], off offset:32
	scratch_store_b64 off, v[26:27], off offset:56
	s_wait_xcnt 0x1
	v_lshl_add_u64 v[24:25], v[36:37], 3, v[154:155]
	v_add_nc_u32_e32 v18, s12, v12
	global_load_b64 v[78:79], v[20:21], off
	v_lshl_add_u64 v[22:23], s[12:13], 3, v[16:17]
	s_clause 0x2
	scratch_store_b64 off, v[20:21], off offset:64
	scratch_store_b64 off, v[10:11], off offset:112
	;; [unrolled: 1-line block ×3, first 2 shown]
	v_add_nc_u32_e32 v8, s12, v18
	scratch_store_b64 off, v[22:23], off offset:88 ; 8-byte Folded Spill
	s_wait_xcnt 0x3
	v_lshl_add_u64 v[20:21], v[2:3], 3, v[154:155]
	s_clause 0x1
	global_load_b64 v[96:97], v[22:23], off
	global_load_b64 v[36:37], v[10:11], off
	v_dual_ashrrev_i32 v29, 31, v28 :: v_dual_ashrrev_i32 v15, 31, v14
	global_load_b64 v[38:39], v[20:21], off
	s_wait_xcnt 0x2
	v_lshl_add_u64 v[22:23], v[0:1], 3, v[154:155]
	v_add_nc_u32_e32 v0, s12, v8
	v_lshl_add_u64 v[42:43], v[42:43], 3, v[154:155]
	v_lshl_add_u64 v[48:49], v[14:15], 3, v[154:155]
	;; [unrolled: 1-line block ×3, first 2 shown]
	global_load_b64 v[76:77], v[22:23], off
	v_lshl_add_u64 v[30:31], v[4:5], 3, v[154:155]
	v_add_nc_u32_e32 v4, s12, v0
	scratch_store_b64 off, v[22:23], off offset:72 ; 8-byte Folded Spill
	s_wait_xcnt 0x0
	v_lshl_add_u64 v[22:23], v[6:7], 3, v[154:155]
	v_ashrrev_i32_e32 v45, 31, v44
	s_clause 0x1
	scratch_store_b64 off, v[30:31], off offset:80
	scratch_store_b64 off, v[20:21], off offset:96
	v_add_nc_u32_e32 v2, s12, v4
	s_clause 0x1
	global_load_b64 v[104:105], v[30:31], off
	global_load_b64 v[40:41], v[22:23], off
	scratch_store_b64 off, v[22:23], off offset:104 ; 8-byte Folded Spill
	v_lshl_add_u64 v[44:45], v[44:45], 3, v[154:155]
	v_dual_add_nc_u32 v6, s12, v2 :: v_dual_ashrrev_i32 v13, 31, v12
	s_clause 0x3
	global_load_b64 v[66:67], v[24:25], off
	global_load_b64 v[62:63], v[42:43], off
	;; [unrolled: 1-line block ×4, first 2 shown]
	v_mad_u32_u24 v26, 0x170, v35, 0
	v_ashrrev_i32_e32 v19, 31, v18
	v_add_nc_u32_e32 v10, s12, v6
	v_lshl_add_u64 v[68:69], v[12:13], 3, v[154:155]
	v_dual_ashrrev_i32 v5, 31, v4 :: v_dual_ashrrev_i32 v3, 31, v2
	s_wait_xcnt 0x7
	s_delay_alu instid0(VALU_DEP_3) | instskip(SKIP_1) | instid1(VALU_DEP_3)
	v_dual_ashrrev_i32 v9, 31, v8 :: v_dual_add_nc_u32 v20, s12, v10
	v_lshl_add_u64 v[70:71], v[18:19], 3, v[154:155]
	v_lshl_add_u64 v[92:93], v[4:5], 3, v[154:155]
	;; [unrolled: 1-line block ×3, first 2 shown]
	s_delay_alu instid0(VALU_DEP_4)
	v_lshl_add_u64 v[72:73], v[8:9], 3, v[154:155]
	v_dual_add_nc_u32 v14, s12, v20 :: v_dual_ashrrev_i32 v21, 31, v20
	s_clause 0x3
	global_load_b64 v[90:91], v[48:49], off
	global_load_b64 v[86:87], v[68:69], off
	;; [unrolled: 1-line block ×4, first 2 shown]
	v_ashrrev_i32_e32 v7, 31, v6
	v_ashrrev_i32_e32 v11, 31, v10
	s_wait_xcnt 0x8
	v_dual_add_nc_u32 v22, s12, v14 :: v_dual_ashrrev_i32 v1, 31, v0
	v_ashrrev_i32_e32 v15, 31, v14
	v_lshl_add_u64 v[100:101], v[6:7], 3, v[154:155]
	v_lshl_add_u64 v[114:115], v[20:21], 3, v[154:155]
	s_delay_alu instid0(VALU_DEP_4)
	v_add_nc_u32_e32 v12, s12, v22
	v_lshl_add_u64 v[74:75], v[0:1], 3, v[154:155]
	v_lshl_add_u64 v[116:117], v[14:15], 3, v[154:155]
	s_clause 0x3
	global_load_b64 v[112:113], v[74:75], off
	global_load_b64 v[108:109], v[92:93], off
	;; [unrolled: 1-line block ×4, first 2 shown]
	v_add_nc_u32_e32 v0, s12, v12
	v_lshl_add_u64 v[102:103], v[10:11], 3, v[154:155]
	s_delay_alu instid0(VALU_DEP_2) | instskip(NEXT) | instid1(VALU_DEP_1)
	v_dual_ashrrev_i32 v23, 31, v22 :: v_dual_add_nc_u32 v8, s12, v0
	v_lshl_add_u64 v[118:119], v[22:23], 3, v[154:155]
	s_clause 0x3
	global_load_b64 v[128:129], v[102:103], off
	global_load_b64 v[124:125], v[114:115], off
	;; [unrolled: 1-line block ×4, first 2 shown]
	v_add_nc_u32_e32 v4, s12, v8
	s_delay_alu instid0(VALU_DEP_1) | instskip(NEXT) | instid1(VALU_DEP_1)
	v_add_nc_u32_e32 v2, s12, v4
	v_dual_add_nc_u32 v6, s12, v2 :: v_dual_ashrrev_i32 v13, 31, v12
	v_dual_ashrrev_i32 v5, 31, v4 :: v_dual_ashrrev_i32 v3, 31, v2
	s_delay_alu instid0(VALU_DEP_2) | instskip(NEXT) | instid1(VALU_DEP_3)
	v_add_nc_u32_e32 v10, s12, v6
	v_lshl_add_u64 v[120:121], v[12:13], 3, v[154:155]
	v_dual_ashrrev_i32 v1, 31, v0 :: v_dual_ashrrev_i32 v7, 31, v6
	s_delay_alu instid0(VALU_DEP_4) | instskip(NEXT) | instid1(VALU_DEP_4)
	v_lshl_add_u64 v[136:137], v[2:3], 3, v[154:155]
	v_add_nc_u32_e32 v12, s12, v10
	v_lshl_add_u64 v[134:135], v[4:5], 3, v[154:155]
	s_delay_alu instid0(VALU_DEP_4) | instskip(SKIP_1) | instid1(VALU_DEP_4)
	v_lshl_add_u64 v[130:131], v[0:1], 3, v[154:155]
	v_lshl_add_u64 v[146:147], v[6:7], 3, v[154:155]
	v_dual_ashrrev_i32 v11, 31, v10 :: v_dual_add_nc_u32 v14, s12, v12
	v_ashrrev_i32_e32 v9, 31, v8
	v_ashrrev_i32_e32 v13, 31, v12
	s_delay_alu instid0(VALU_DEP_3) | instskip(NEXT) | instid1(VALU_DEP_4)
	v_lshl_add_u64 v[148:149], v[10:11], 3, v[154:155]
	v_add_nc_u32_e32 v0, s12, v14
	s_delay_alu instid0(VALU_DEP_4)
	v_lshl_add_u64 v[132:133], v[8:9], 3, v[154:155]
	s_clause 0x3
	global_load_b64 v[144:145], v[120:121], off
	global_load_b64 v[140:141], v[130:131], off
	;; [unrolled: 1-line block ×4, first 2 shown]
	v_add_nc_u32_e32 v2, s12, v0
	v_lshl_add_u64 v[150:151], v[12:13], 3, v[154:155]
	s_clause 0x3
	global_load_b64 v[162:163], v[136:137], off
	global_load_b64 v[158:159], v[146:147], off
	;; [unrolled: 1-line block ×4, first 2 shown]
	v_add_nc_u32_e32 v4, s12, v2
	v_ashrrev_i32_e32 v15, 31, v14
	s_delay_alu instid0(VALU_DEP_2) | instskip(SKIP_2) | instid1(VALU_DEP_4)
	v_dual_ashrrev_i32 v3, 31, v2 :: v_dual_ashrrev_i32 v5, 31, v4
	v_add_nc_u32_e32 v6, s12, v4
	v_ashrrev_i32_e32 v1, 31, v0
	v_lshl_add_u64 v[152:153], v[14:15], 3, v[154:155]
	s_delay_alu instid0(VALU_DEP_4) | instskip(SKIP_3) | instid1(VALU_DEP_2)
	v_lshl_add_u64 v[166:167], v[2:3], 3, v[154:155]
	v_lshl_add_u64 v[168:169], v[4:5], 3, v[154:155]
	v_dual_add_nc_u32 v8, s12, v6 :: v_dual_ashrrev_i32 v7, 31, v6
	v_lshl_add_u64 v[164:165], v[0:1], 3, v[154:155]
	v_dual_lshlrev_b32 v0, 3, v35 :: v_dual_ashrrev_i32 v9, 31, v8
	s_delay_alu instid0(VALU_DEP_3) | instskip(NEXT) | instid1(VALU_DEP_2)
	v_lshl_add_u64 v[170:171], v[6:7], 3, v[154:155]
	v_add3_u32 v35, 0, s14, v0
	s_delay_alu instid0(VALU_DEP_3)
	v_lshl_add_u64 v[154:155], v[8:9], 3, v[154:155]
	s_clause 0x5
	global_load_b64 v[178:179], v[152:153], off
	global_load_b64 v[174:175], v[164:165], off
	;; [unrolled: 1-line block ×6, first 2 shown]
	s_wait_xcnt 0x0
	s_and_saveexec_b32 s4, s0
	s_cbranch_execz .LBB91_8
; %bb.2:
	s_wait_loadcnt 0x2b
	ds_store_b64 v35, v[94:95]
	s_wait_loadcnt 0x23
	ds_store_2addr_b64 v26, v[96:97], v[82:83] offset0:1 offset1:2
	ds_store_2addr_b64 v26, v[58:59], v[32:33] offset0:3 offset1:4
	;; [unrolled: 1-line block ×5, first 2 shown]
	s_wait_loadcnt 0x1f
	ds_store_2addr_b64 v26, v[76:77], v[104:105] offset0:11 offset1:12
	s_wait_loadcnt 0x1e
	ds_store_2addr_b64 v26, v[38:39], v[40:41] offset0:13 offset1:14
	;; [unrolled: 2-line block ×17, first 2 shown]
	s_wait_loadcnt 0x0
	ds_store_b64 v26, v[184:185] offset:360
	ds_load_b64 v[0:1], v35
	s_wait_dscnt 0x0
	v_cmp_neq_f32_e32 vcc_lo, 0, v0
	v_cmp_neq_f32_e64 s2, 0, v1
	s_or_b32 s2, vcc_lo, s2
	s_delay_alu instid0(SALU_CYCLE_1)
	s_and_b32 exec_lo, exec_lo, s2
	s_cbranch_execz .LBB91_8
; %bb.3:
	v_cmp_ngt_f32_e64 s2, |v0|, |v1|
                                        ; implicit-def: $vgpr2_vgpr3
	s_and_saveexec_b32 s5, s2
	s_delay_alu instid0(SALU_CYCLE_1)
	s_xor_b32 s2, exec_lo, s5
	s_cbranch_execz .LBB91_5
; %bb.4:
	v_div_scale_f32 v2, null, v1, v1, v0
	v_div_scale_f32 v5, vcc_lo, v0, v1, v0
	s_delay_alu instid0(VALU_DEP_2) | instskip(SKIP_1) | instid1(TRANS32_DEP_1)
	v_rcp_f32_e32 v3, v2
	v_nop
	v_fma_f32 v4, -v2, v3, 1.0
	s_delay_alu instid0(VALU_DEP_1) | instskip(NEXT) | instid1(VALU_DEP_1)
	v_fmac_f32_e32 v3, v4, v3
	v_mul_f32_e32 v4, v5, v3
	s_delay_alu instid0(VALU_DEP_1) | instskip(NEXT) | instid1(VALU_DEP_1)
	v_fma_f32 v6, -v2, v4, v5
	v_fmac_f32_e32 v4, v6, v3
	s_delay_alu instid0(VALU_DEP_1) | instskip(NEXT) | instid1(VALU_DEP_1)
	v_fma_f32 v2, -v2, v4, v5
	v_div_fmas_f32 v2, v2, v3, v4
	s_delay_alu instid0(VALU_DEP_1) | instskip(NEXT) | instid1(VALU_DEP_1)
	v_div_fixup_f32 v2, v2, v1, v0
	v_fmac_f32_e32 v1, v0, v2
	s_delay_alu instid0(VALU_DEP_1) | instskip(SKIP_1) | instid1(VALU_DEP_2)
	v_div_scale_f32 v0, null, v1, v1, 1.0
	v_div_scale_f32 v5, vcc_lo, 1.0, v1, 1.0
	v_rcp_f32_e32 v3, v0
	v_nop
	s_delay_alu instid0(TRANS32_DEP_1) | instskip(NEXT) | instid1(VALU_DEP_1)
	v_fma_f32 v4, -v0, v3, 1.0
	v_fmac_f32_e32 v3, v4, v3
	s_delay_alu instid0(VALU_DEP_1) | instskip(NEXT) | instid1(VALU_DEP_1)
	v_mul_f32_e32 v4, v5, v3
	v_fma_f32 v6, -v0, v4, v5
	s_delay_alu instid0(VALU_DEP_1) | instskip(NEXT) | instid1(VALU_DEP_1)
	v_fmac_f32_e32 v4, v6, v3
	v_fma_f32 v0, -v0, v4, v5
	s_delay_alu instid0(VALU_DEP_1) | instskip(NEXT) | instid1(VALU_DEP_1)
	v_div_fmas_f32 v0, v0, v3, v4
	v_div_fixup_f32 v0, v0, v1, 1.0
	s_delay_alu instid0(VALU_DEP_1)
	v_mul_f32_e32 v2, v2, v0
	v_xor_b32_e32 v3, 0x80000000, v0
                                        ; implicit-def: $vgpr0_vgpr1
.LBB91_5:
	s_and_not1_saveexec_b32 s2, s2
	s_cbranch_execz .LBB91_7
; %bb.6:
	v_div_scale_f32 v2, null, v0, v0, v1
	v_div_scale_f32 v5, vcc_lo, v1, v0, v1
	s_delay_alu instid0(VALU_DEP_2) | instskip(SKIP_1) | instid1(TRANS32_DEP_1)
	v_rcp_f32_e32 v3, v2
	v_nop
	v_fma_f32 v4, -v2, v3, 1.0
	s_delay_alu instid0(VALU_DEP_1) | instskip(NEXT) | instid1(VALU_DEP_1)
	v_fmac_f32_e32 v3, v4, v3
	v_mul_f32_e32 v4, v5, v3
	s_delay_alu instid0(VALU_DEP_1) | instskip(NEXT) | instid1(VALU_DEP_1)
	v_fma_f32 v6, -v2, v4, v5
	v_fmac_f32_e32 v4, v6, v3
	s_delay_alu instid0(VALU_DEP_1) | instskip(NEXT) | instid1(VALU_DEP_1)
	v_fma_f32 v2, -v2, v4, v5
	v_div_fmas_f32 v2, v2, v3, v4
	s_delay_alu instid0(VALU_DEP_1) | instskip(NEXT) | instid1(VALU_DEP_1)
	v_div_fixup_f32 v3, v2, v0, v1
	v_fmac_f32_e32 v0, v1, v3
	s_delay_alu instid0(VALU_DEP_1) | instskip(NEXT) | instid1(VALU_DEP_1)
	v_div_scale_f32 v1, null, v0, v0, 1.0
	v_rcp_f32_e32 v2, v1
	v_nop
	s_delay_alu instid0(TRANS32_DEP_1) | instskip(NEXT) | instid1(VALU_DEP_1)
	v_fma_f32 v4, -v1, v2, 1.0
	v_fmac_f32_e32 v2, v4, v2
	v_div_scale_f32 v4, vcc_lo, 1.0, v0, 1.0
	s_delay_alu instid0(VALU_DEP_1) | instskip(NEXT) | instid1(VALU_DEP_1)
	v_mul_f32_e32 v5, v4, v2
	v_fma_f32 v6, -v1, v5, v4
	s_delay_alu instid0(VALU_DEP_1) | instskip(NEXT) | instid1(VALU_DEP_1)
	v_fmac_f32_e32 v5, v6, v2
	v_fma_f32 v1, -v1, v5, v4
	s_delay_alu instid0(VALU_DEP_1) | instskip(NEXT) | instid1(VALU_DEP_1)
	v_div_fmas_f32 v1, v1, v2, v5
	v_div_fixup_f32 v2, v1, v0, 1.0
	s_delay_alu instid0(VALU_DEP_1)
	v_mul_f32_e64 v3, v3, -v2
.LBB91_7:
	s_or_b32 exec_lo, exec_lo, s2
	ds_store_b64 v35, v[2:3]
.LBB91_8:
	s_or_b32 exec_lo, exec_lo, s4
	s_wait_storecnt 0x0
	s_wait_loadcnt_dscnt 0x0
	s_barrier_signal -1
	s_barrier_wait -1
	ds_load_b64 v[186:187], v35
	s_and_saveexec_b32 s2, s1
	s_cbranch_execz .LBB91_10
; %bb.9:
	ds_load_2addr_b64 v[4:7], v26 offset0:1 offset1:2
	ds_load_2addr_b64 v[8:11], v26 offset0:3 offset1:4
	;; [unrolled: 1-line block ×3, first 2 shown]
	s_wait_dscnt 0x3
	v_pk_mul_f32 v[2:3], v[186:187], v[94:95] op_sel:[1,1] op_sel_hi:[0,1]
	ds_load_2addr_b64 v[18:21], v26 offset0:7 offset1:8
	ds_load_2addr_b64 v[188:191], v26 offset0:9 offset1:10
	v_pk_fma_f32 v[0:1], v[186:187], v[94:95], v[2:3] op_sel_hi:[1,0,1] neg_lo:[0,0,1] neg_hi:[0,0,1]
	v_pk_fma_f32 v[2:3], v[186:187], v[94:95], v[2:3] op_sel_hi:[1,0,1]
	s_delay_alu instid0(VALU_DEP_1) | instskip(SKIP_1) | instid1(VALU_DEP_2)
	v_dual_mov_b32 v94, v0 :: v_dual_mov_b32 v95, v3
	s_wait_dscnt 0x4
	v_pk_mul_f32 v[22:23], v[4:5], v[2:3] op_sel:[0,1]
	v_pk_mul_f32 v[28:29], v[6:7], v[2:3] op_sel:[0,1]
	s_wait_dscnt 0x3
	v_pk_mul_f32 v[30:31], v[8:9], v[2:3] op_sel:[0,1]
	s_wait_dscnt 0x2
	v_pk_mul_f32 v[198:199], v[12:13], v[2:3] op_sel:[0,1]
	v_dual_mov_b32 v192, v11 :: v_dual_mov_b32 v193, v10
	v_pk_fma_f32 v[202:203], v[4:5], v[0:1], v[22:23] op_sel:[0,0,1] op_sel_hi:[1,1,0] neg_lo:[0,0,1] neg_hi:[0,0,1]
	v_pk_fma_f32 v[4:5], v[4:5], v[0:1], v[22:23] op_sel:[0,0,1] op_sel_hi:[1,0,0]
	v_dual_mul_f32 v194, v11, v3 :: v_dual_mul_f32 v196, v11, v0
	v_pk_mul_f32 v[200:201], v[14:15], v[2:3] op_sel:[0,1]
	v_pk_fma_f32 v[22:23], v[6:7], v[0:1], v[28:29] op_sel:[0,0,1] op_sel_hi:[1,1,0] neg_lo:[0,0,1] neg_hi:[0,0,1]
	v_pk_fma_f32 v[6:7], v[6:7], v[0:1], v[28:29] op_sel:[0,0,1] op_sel_hi:[1,0,0]
	v_pk_fma_f32 v[28:29], v[8:9], v[0:1], v[30:31] op_sel:[0,0,1] op_sel_hi:[1,1,0] neg_lo:[0,0,1] neg_hi:[0,0,1]
	v_pk_fma_f32 v[8:9], v[8:9], v[0:1], v[30:31] op_sel:[0,0,1] op_sel_hi:[1,0,0]
	v_mov_b32_e32 v203, v5
	v_pk_fma_f32 v[4:5], v[12:13], v[0:1], v[198:199] op_sel:[0,0,1] op_sel_hi:[1,0,0]
	v_pk_fma_f32 v[30:31], v[192:193], v[94:95], v[196:197] op_sel_hi:[1,1,0]
	v_pk_fma_f32 v[192:193], v[12:13], v[0:1], v[198:199] op_sel:[0,0,1] op_sel_hi:[1,1,0] neg_lo:[0,0,1] neg_hi:[0,0,1]
	v_dual_mov_b32 v23, v7 :: v_dual_mov_b32 v29, v9
	v_pk_fma_f32 v[8:9], v[14:15], v[0:1], v[200:201] op_sel:[0,0,1] op_sel_hi:[1,0,0]
	s_wait_dscnt 0x1
	v_pk_mul_f32 v[12:13], v[18:19], v[2:3] op_sel:[0,1]
	v_mov_b32_e32 v193, v5
	ds_load_2addr_b64 v[4:7], v26 offset0:11 offset1:12
	v_pk_fma_f32 v[10:11], v[10:11], v[94:95], v[194:195] op_sel_hi:[1,1,0] neg_lo:[0,0,1] neg_hi:[0,0,1]
	v_pk_fma_f32 v[14:15], v[14:15], v[0:1], v[200:201] op_sel:[0,0,1] op_sel_hi:[1,1,0] neg_lo:[0,0,1] neg_hi:[0,0,1]
	v_mov_b32_e32 v11, v31
	v_pk_add_f32 v[82:83], v[82:83], v[22:23] neg_lo:[0,1] neg_hi:[0,1]
	v_mov_b32_e32 v15, v9
	v_pk_mul_f32 v[22:23], v[20:21], v[2:3] op_sel:[0,1]
	v_pk_fma_f32 v[8:9], v[18:19], v[0:1], v[12:13] op_sel:[0,0,1] op_sel_hi:[1,0,0]
	v_pk_fma_f32 v[12:13], v[18:19], v[0:1], v[12:13] op_sel:[0,0,1] op_sel_hi:[1,1,0] neg_lo:[0,0,1] neg_hi:[0,0,1]
	v_pk_add_f32 v[32:33], v[32:33], v[10:11] neg_lo:[0,1] neg_hi:[0,1]
	v_pk_add_f32 v[56:57], v[56:57], v[14:15] neg_lo:[0,1] neg_hi:[0,1]
	v_pk_fma_f32 v[14:15], v[20:21], v[0:1], v[22:23] op_sel:[0,0,1] op_sel_hi:[1,0,0]
	v_mov_b32_e32 v13, v9
	ds_load_2addr_b64 v[8:11], v26 offset0:13 offset1:14
	v_pk_fma_f32 v[18:19], v[20:21], v[0:1], v[22:23] op_sel:[0,0,1] op_sel_hi:[1,1,0] neg_lo:[0,0,1] neg_hi:[0,0,1]
	s_wait_dscnt 0x2
	v_dual_mul_f32 v14, v189, v0 :: v_dual_mul_f32 v20, v189, v3
	v_mov_b32_e32 v19, v15
	v_pk_add_f32 v[52:53], v[52:53], v[12:13] neg_lo:[0,1] neg_hi:[0,1]
	v_pk_mul_f32 v[12:13], v[190:191], v[2:3] op_sel:[0,1]
	s_delay_alu instid0(VALU_DEP_4)
	v_pk_fma_f32 v[14:15], v[188:189], v[94:95], v[14:15] op_sel:[1,0,0] op_sel_hi:[0,1,0]
	v_pk_fma_f32 v[20:21], v[188:189], v[94:95], v[20:21] op_sel_hi:[1,1,0] neg_lo:[0,0,1] neg_hi:[0,0,1]
	v_pk_add_f32 v[80:81], v[80:81], v[18:19] neg_lo:[0,1] neg_hi:[0,1]
	s_wait_dscnt 0x1
	v_pk_mul_f32 v[18:19], v[4:5], v[2:3] op_sel:[0,1]
	v_pk_add_f32 v[58:59], v[58:59], v[28:29] neg_lo:[0,1] neg_hi:[0,1]
	v_pk_fma_f32 v[22:23], v[190:191], v[0:1], v[12:13] op_sel:[0,0,1] op_sel_hi:[1,0,0]
	v_mov_b32_e32 v21, v15
	v_pk_fma_f32 v[28:29], v[190:191], v[0:1], v[12:13] op_sel:[0,0,1] op_sel_hi:[1,1,0] neg_lo:[0,0,1] neg_hi:[0,0,1]
	ds_load_2addr_b64 v[12:15], v26 offset0:15 offset1:16
	v_pk_fma_f32 v[30:31], v[4:5], v[0:1], v[18:19] op_sel:[0,0,1] op_sel_hi:[1,0,0]
	v_pk_fma_f32 v[4:5], v[4:5], v[0:1], v[18:19] op_sel:[0,0,1] op_sel_hi:[1,1,0] neg_lo:[0,0,1] neg_hi:[0,0,1]
	v_pk_mul_f32 v[18:19], v[6:7], v[2:3] op_sel:[0,1]
	v_mov_b32_e32 v29, v23
	s_wait_dscnt 0x1
	v_pk_mul_f32 v[22:23], v[8:9], v[2:3] op_sel:[0,1]
	v_pk_add_f32 v[50:51], v[50:51], v[20:21] neg_lo:[0,1] neg_hi:[0,1]
	v_pk_add_f32 v[96:97], v[96:97], v[202:203] neg_lo:[0,1] neg_hi:[0,1]
	v_pk_fma_f32 v[20:21], v[6:7], v[0:1], v[18:19] op_sel:[0,0,1] op_sel_hi:[1,0,0]
	v_mov_b32_e32 v5, v31
	v_pk_add_f32 v[78:79], v[78:79], v[28:29] neg_lo:[0,1] neg_hi:[0,1]
	v_pk_fma_f32 v[28:29], v[8:9], v[0:1], v[22:23] op_sel:[0,0,1] op_sel_hi:[1,0,0]
	v_pk_fma_f32 v[18:19], v[6:7], v[0:1], v[18:19] op_sel:[0,0,1] op_sel_hi:[1,1,0] neg_lo:[0,0,1] neg_hi:[0,0,1]
	v_mov_b32_e32 v19, v21
	v_pk_add_f32 v[76:77], v[76:77], v[4:5] neg_lo:[0,1] neg_hi:[0,1]
	ds_load_2addr_b64 v[4:7], v26 offset0:17 offset1:18
	v_pk_fma_f32 v[8:9], v[8:9], v[0:1], v[22:23] op_sel:[0,0,1] op_sel_hi:[1,1,0] neg_lo:[0,0,1] neg_hi:[0,0,1]
	v_dual_mov_b32 v9, v29 :: v_dual_mov_b32 v20, v11
	v_dual_mov_b32 v21, v10 :: v_dual_mul_f32 v22, v11, v0
	v_pk_add_f32 v[104:105], v[104:105], v[18:19] neg_lo:[0,1] neg_hi:[0,1]
	s_delay_alu instid0(VALU_DEP_3)
	v_pk_add_f32 v[38:39], v[38:39], v[8:9] neg_lo:[0,1] neg_hi:[0,1]
	s_wait_dscnt 0x1
	v_pk_mul_f32 v[8:9], v[12:13], v[2:3] op_sel:[0,1]
	v_pk_mul_f32 v[30:31], v[14:15], v[2:3] op_sel:[0,1]
	v_pk_fma_f32 v[22:23], v[20:21], v[94:95], v[22:23] op_sel_hi:[1,1,0]
	ds_load_2addr_b64 v[18:21], v26 offset0:19 offset1:20
	v_pk_add_f32 v[54:55], v[54:55], v[192:193] neg_lo:[0,1] neg_hi:[0,1]
	v_pk_fma_f32 v[188:189], v[12:13], v[0:1], v[8:9] op_sel:[0,0,1] op_sel_hi:[1,0,0]
	v_mul_f32_e32 v28, v11, v3
	v_pk_fma_f32 v[12:13], v[12:13], v[0:1], v[8:9] op_sel:[0,0,1] op_sel_hi:[1,1,0] neg_lo:[0,0,1] neg_hi:[0,0,1]
	s_delay_alu instid0(VALU_DEP_3) | instskip(NEXT) | instid1(VALU_DEP_3)
	v_mov_b32_e32 v13, v189
	v_pk_fma_f32 v[28:29], v[10:11], v[94:95], v[28:29] op_sel_hi:[1,1,0] neg_lo:[0,0,1] neg_hi:[0,0,1]
	v_mov_b32_e32 v29, v23
	v_pk_fma_f32 v[22:23], v[14:15], v[0:1], v[30:31] op_sel:[0,0,1] op_sel_hi:[1,0,0]
	s_wait_dscnt 0x1
	v_pk_mul_f32 v[188:189], v[4:5], v[2:3] op_sel:[0,1]
	ds_load_2addr_b64 v[8:11], v26 offset0:21 offset1:22
	v_pk_fma_f32 v[14:15], v[14:15], v[0:1], v[30:31] op_sel:[0,0,1] op_sel_hi:[1,1,0] neg_lo:[0,0,1] neg_hi:[0,0,1]
	v_pk_add_f32 v[36:37], v[36:37], v[12:13] neg_lo:[0,1] neg_hi:[0,1]
	v_mov_b32_e32 v15, v23
	v_pk_add_f32 v[40:41], v[40:41], v[28:29] neg_lo:[0,1] neg_hi:[0,1]
	v_pk_fma_f32 v[28:29], v[4:5], v[0:1], v[188:189] op_sel:[0,0,1] op_sel_hi:[1,0,0]
	v_pk_mul_f32 v[22:23], v[6:7], v[2:3] op_sel:[0,1]
	v_pk_fma_f32 v[4:5], v[4:5], v[0:1], v[188:189] op_sel:[0,0,1] op_sel_hi:[1,1,0] neg_lo:[0,0,1] neg_hi:[0,0,1]
	v_pk_add_f32 v[66:67], v[66:67], v[14:15] neg_lo:[0,1] neg_hi:[0,1]
	s_wait_dscnt 0x1
	v_dual_mul_f32 v28, v19, v0 :: v_dual_mov_b32 v5, v29
	v_pk_fma_f32 v[30:31], v[6:7], v[0:1], v[22:23] op_sel:[0,0,1] op_sel_hi:[1,0,0]
	ds_load_2addr_b64 v[12:15], v26 offset0:23 offset1:24
	v_pk_fma_f32 v[6:7], v[6:7], v[0:1], v[22:23] op_sel:[0,0,1] op_sel_hi:[1,1,0] neg_lo:[0,0,1] neg_hi:[0,0,1]
	v_pk_fma_f32 v[22:23], v[18:19], v[94:95], v[28:29] op_sel:[1,0,0] op_sel_hi:[0,1,0]
	v_pk_add_f32 v[62:63], v[62:63], v[4:5] neg_lo:[0,1] neg_hi:[0,1]
	v_mul_f32_e32 v4, v19, v3
	v_mov_b32_e32 v7, v31
	v_pk_mul_f32 v[28:29], v[20:21], v[2:3] op_sel:[0,1]
	s_wait_dscnt 0x1
	v_pk_mul_f32 v[30:31], v[8:9], v[2:3] op_sel:[0,1]
	v_pk_fma_f32 v[18:19], v[18:19], v[94:95], v[4:5] op_sel_hi:[1,1,0] neg_lo:[0,0,1] neg_hi:[0,0,1]
	v_mov_b32_e32 v19, v23
	v_pk_add_f32 v[64:65], v[64:65], v[6:7] neg_lo:[0,1] neg_hi:[0,1]
	ds_load_2addr_b64 v[4:7], v26 offset0:25 offset1:26
	v_pk_fma_f32 v[22:23], v[20:21], v[0:1], v[28:29] op_sel:[0,0,1] op_sel_hi:[1,0,0]
	v_pk_mul_f32 v[188:189], v[10:11], v[2:3] op_sel:[0,1]
	v_pk_fma_f32 v[20:21], v[20:21], v[0:1], v[28:29] op_sel:[0,0,1] op_sel_hi:[1,1,0] neg_lo:[0,0,1] neg_hi:[0,0,1]
	v_pk_fma_f32 v[190:191], v[8:9], v[0:1], v[30:31] op_sel:[0,0,1] op_sel_hi:[1,0,0]
	v_pk_fma_f32 v[8:9], v[8:9], v[0:1], v[30:31] op_sel:[0,0,1] op_sel_hi:[1,1,0] neg_lo:[0,0,1] neg_hi:[0,0,1]
	v_mov_b32_e32 v21, v23
	v_pk_fma_f32 v[22:23], v[10:11], v[0:1], v[188:189] op_sel:[0,0,1] op_sel_hi:[1,0,0]
	s_wait_dscnt 0x1
	v_pk_mul_f32 v[28:29], v[12:13], v[2:3] op_sel:[0,1]
	v_pk_fma_f32 v[10:11], v[10:11], v[0:1], v[188:189] op_sel:[0,0,1] op_sel_hi:[1,1,0] neg_lo:[0,0,1] neg_hi:[0,0,1]
	v_mov_b32_e32 v9, v191
	v_pk_add_f32 v[60:61], v[60:61], v[18:19] neg_lo:[0,1] neg_hi:[0,1]
	v_dual_mov_b32 v11, v23 :: v_dual_mov_b32 v22, v15
	v_pk_fma_f32 v[18:19], v[12:13], v[0:1], v[28:29] op_sel:[0,0,1] op_sel_hi:[1,0,0]
	s_delay_alu instid0(VALU_DEP_4) | instskip(SKIP_1) | instid1(VALU_DEP_4)
	v_pk_add_f32 v[86:87], v[86:87], v[8:9] neg_lo:[0,1] neg_hi:[0,1]
	v_pk_fma_f32 v[12:13], v[12:13], v[0:1], v[28:29] op_sel:[0,0,1] op_sel_hi:[1,1,0] neg_lo:[0,0,1] neg_hi:[0,0,1]
	v_pk_add_f32 v[88:89], v[88:89], v[10:11] neg_lo:[0,1] neg_hi:[0,1]
	ds_load_2addr_b64 v[8:11], v26 offset0:27 offset1:28
	v_mov_b32_e32 v13, v19
	s_wait_dscnt 0x1
	v_pk_mul_f32 v[30:31], v[4:5], v[2:3] op_sel:[0,1]
	v_dual_mov_b32 v23, v14 :: v_dual_mul_f32 v28, v15, v0
	v_pk_add_f32 v[90:91], v[90:91], v[20:21] neg_lo:[0,1] neg_hi:[0,1]
	ds_load_2addr_b64 v[18:21], v26 offset0:29 offset1:30
	v_pk_mul_f32 v[190:191], v[6:7], v[2:3] op_sel:[0,1]
	v_pk_add_f32 v[84:85], v[84:85], v[12:13] neg_lo:[0,1] neg_hi:[0,1]
	v_pk_fma_f32 v[12:13], v[4:5], v[0:1], v[30:31] op_sel:[0,0,1] op_sel_hi:[1,0,0]
	v_mul_f32_e32 v188, v15, v3
	v_pk_fma_f32 v[22:23], v[22:23], v[94:95], v[28:29] op_sel_hi:[1,1,0]
	v_pk_fma_f32 v[28:29], v[6:7], v[0:1], v[190:191] op_sel:[0,0,1] op_sel_hi:[1,0,0]
	s_delay_alu instid0(VALU_DEP_3) | instskip(NEXT) | instid1(VALU_DEP_3)
	v_pk_fma_f32 v[14:15], v[14:15], v[94:95], v[188:189] op_sel_hi:[1,1,0] neg_lo:[0,0,1] neg_hi:[0,0,1]
	v_mov_b32_e32 v15, v23
	v_pk_fma_f32 v[22:23], v[4:5], v[0:1], v[30:31] op_sel:[0,0,1] op_sel_hi:[1,1,0] neg_lo:[0,0,1] neg_hi:[0,0,1]
	v_mov_b32_e32 v23, v13
	v_pk_fma_f32 v[12:13], v[6:7], v[0:1], v[190:191] op_sel:[0,0,1] op_sel_hi:[1,1,0] neg_lo:[0,0,1] neg_hi:[0,0,1]
	v_mov_b32_e32 v13, v29
	ds_load_2addr_b64 v[4:7], v26 offset0:31 offset1:32
	s_wait_dscnt 0x2
	v_pk_mul_f32 v[28:29], v[8:9], v[2:3] op_sel:[0,1]
	v_pk_add_f32 v[112:113], v[112:113], v[14:15] neg_lo:[0,1] neg_hi:[0,1]
	v_pk_add_f32 v[108:109], v[108:109], v[22:23] neg_lo:[0,1] neg_hi:[0,1]
	;; [unrolled: 1-line block ×3, first 2 shown]
	ds_load_2addr_b64 v[12:15], v26 offset0:33 offset1:34
	v_pk_fma_f32 v[30:31], v[8:9], v[0:1], v[28:29] op_sel:[0,0,1] op_sel_hi:[1,1,0] neg_lo:[0,0,1] neg_hi:[0,0,1]
	v_pk_fma_f32 v[8:9], v[8:9], v[0:1], v[28:29] op_sel:[0,0,1] op_sel_hi:[1,0,0]
	v_pk_mul_f32 v[22:23], v[10:11], v[2:3] op_sel:[0,1]
	s_wait_dscnt 0x2
	v_dual_mul_f32 v188, v19, v0 :: v_dual_mul_f32 v8, v19, v3
	s_delay_alu instid0(VALU_DEP_2) | instskip(NEXT) | instid1(VALU_DEP_2)
	v_pk_fma_f32 v[28:29], v[10:11], v[0:1], v[22:23] op_sel:[0,0,1] op_sel_hi:[1,0,0]
	v_pk_fma_f32 v[188:189], v[18:19], v[94:95], v[188:189] op_sel:[1,0,0] op_sel_hi:[0,1,0]
	v_mov_b32_e32 v31, v9
	s_delay_alu instid0(VALU_DEP_4)
	v_pk_fma_f32 v[8:9], v[18:19], v[94:95], v[8:9] op_sel_hi:[1,1,0] neg_lo:[0,0,1] neg_hi:[0,0,1]
	v_pk_mul_f32 v[18:19], v[20:21], v[2:3] op_sel:[0,1]
	v_pk_fma_f32 v[10:11], v[10:11], v[0:1], v[22:23] op_sel:[0,0,1] op_sel_hi:[1,1,0] neg_lo:[0,0,1] neg_hi:[0,0,1]
	v_mov_b32_e32 v11, v29
	s_wait_dscnt 0x1
	v_pk_mul_f32 v[22:23], v[4:5], v[2:3] op_sel:[0,1]
	v_pk_add_f32 v[106:107], v[106:107], v[30:31] neg_lo:[0,1] neg_hi:[0,1]
	v_pk_fma_f32 v[28:29], v[20:21], v[0:1], v[18:19] op_sel:[0,0,1] op_sel_hi:[1,0,0]
	v_mov_b32_e32 v9, v189
	v_pk_fma_f32 v[30:31], v[20:21], v[0:1], v[18:19] op_sel:[0,0,1] op_sel_hi:[1,1,0] neg_lo:[0,0,1] neg_hi:[0,0,1]
	v_pk_add_f32 v[128:129], v[128:129], v[10:11] neg_lo:[0,1] neg_hi:[0,1]
	v_pk_fma_f32 v[18:19], v[4:5], v[0:1], v[22:23] op_sel:[0,0,1] op_sel_hi:[1,0,0]
	v_mov_b32_e32 v31, v29
	v_pk_add_f32 v[124:125], v[124:125], v[8:9] neg_lo:[0,1] neg_hi:[0,1]
	ds_load_2addr_b64 v[8:11], v26 offset0:35 offset1:36
	v_pk_fma_f32 v[4:5], v[4:5], v[0:1], v[22:23] op_sel:[0,0,1] op_sel_hi:[1,1,0] neg_lo:[0,0,1] neg_hi:[0,0,1]
	s_wait_dscnt 0x1
	v_pk_mul_f32 v[22:23], v[12:13], v[2:3] op_sel:[0,1]
	v_pk_add_f32 v[126:127], v[126:127], v[30:31] neg_lo:[0,1] neg_hi:[0,1]
	v_pk_mul_f32 v[188:189], v[6:7], v[2:3] op_sel:[0,1]
	s_delay_alu instid0(VALU_DEP_3)
	v_pk_fma_f32 v[30:31], v[12:13], v[0:1], v[22:23] op_sel:[0,0,1] op_sel_hi:[1,0,0]
	v_mov_b32_e32 v5, v19
	ds_load_2addr_b64 v[18:21], v26 offset0:37 offset1:38
	v_pk_fma_f32 v[28:29], v[6:7], v[0:1], v[188:189] op_sel:[0,0,1] op_sel_hi:[1,0,0]
	v_mul_f32_e32 v28, v15, v0
	v_pk_add_f32 v[122:123], v[122:123], v[4:5] neg_lo:[0,1] neg_hi:[0,1]
	v_pk_fma_f32 v[4:5], v[6:7], v[0:1], v[188:189] op_sel:[0,0,1] op_sel_hi:[1,1,0] neg_lo:[0,0,1] neg_hi:[0,0,1]
	v_pk_fma_f32 v[6:7], v[12:13], v[0:1], v[22:23] op_sel:[0,0,1] op_sel_hi:[1,1,0] neg_lo:[0,0,1] neg_hi:[0,0,1]
	v_dual_mov_b32 v5, v29 :: v_dual_mov_b32 v12, v15
	v_dual_mov_b32 v7, v31 :: v_dual_mov_b32 v13, v14
	v_mul_f32_e32 v22, v15, v3
	s_wait_dscnt 0x1
	v_pk_mul_f32 v[30:31], v[8:9], v[2:3] op_sel:[0,1]
	v_pk_add_f32 v[144:145], v[144:145], v[4:5] neg_lo:[0,1] neg_hi:[0,1]
	v_pk_add_f32 v[140:141], v[140:141], v[6:7] neg_lo:[0,1] neg_hi:[0,1]
	ds_load_2addr_b64 v[4:7], v26 offset0:39 offset1:40
	v_pk_fma_f32 v[14:15], v[14:15], v[94:95], v[22:23] op_sel_hi:[1,1,0] neg_lo:[0,0,1] neg_hi:[0,0,1]
	v_pk_fma_f32 v[12:13], v[12:13], v[94:95], v[28:29] op_sel_hi:[1,1,0]
	v_pk_mul_f32 v[22:23], v[10:11], v[2:3] op_sel:[0,1]
	v_pk_fma_f32 v[28:29], v[8:9], v[0:1], v[30:31] op_sel:[0,0,1] op_sel_hi:[1,0,0]
	s_wait_dscnt 0x1
	v_pk_mul_f32 v[188:189], v[18:19], v[2:3] op_sel:[0,1]
	v_mov_b32_e32 v15, v13
	v_pk_fma_f32 v[12:13], v[8:9], v[0:1], v[30:31] op_sel:[0,0,1] op_sel_hi:[1,1,0] neg_lo:[0,0,1] neg_hi:[0,0,1]
	v_pk_fma_f32 v[30:31], v[10:11], v[0:1], v[22:23] op_sel:[0,0,1] op_sel_hi:[1,0,0]
	v_pk_fma_f32 v[22:23], v[10:11], v[0:1], v[22:23] op_sel:[0,0,1] op_sel_hi:[1,1,0] neg_lo:[0,0,1] neg_hi:[0,0,1]
	ds_load_2addr_b64 v[8:11], v26 offset0:41 offset1:42
	v_mov_b32_e32 v13, v29
	v_pk_fma_f32 v[28:29], v[18:19], v[0:1], v[188:189] op_sel:[0,0,1] op_sel_hi:[1,0,0]
	v_pk_fma_f32 v[18:19], v[18:19], v[0:1], v[188:189] op_sel:[0,0,1] op_sel_hi:[1,1,0] neg_lo:[0,0,1] neg_hi:[0,0,1]
	v_mov_b32_e32 v23, v31
	v_pk_add_f32 v[142:143], v[142:143], v[14:15] neg_lo:[0,1] neg_hi:[0,1]
	v_pk_add_f32 v[138:139], v[138:139], v[12:13] neg_lo:[0,1] neg_hi:[0,1]
	v_mov_b32_e32 v19, v29
	v_pk_mul_f32 v[28:29], v[20:21], v[2:3] op_sel:[0,1]
	ds_load_2addr_b64 v[12:15], v26 offset0:43 offset1:44
	ds_load_b64 v[188:189], v26 offset:360
	v_pk_add_f32 v[162:163], v[162:163], v[22:23] neg_lo:[0,1] neg_hi:[0,1]
	v_pk_add_f32 v[158:159], v[158:159], v[18:19] neg_lo:[0,1] neg_hi:[0,1]
	v_pk_fma_f32 v[18:19], v[20:21], v[0:1], v[28:29] op_sel:[0,0,1] op_sel_hi:[1,1,0] neg_lo:[0,0,1] neg_hi:[0,0,1]
	v_pk_fma_f32 v[20:21], v[20:21], v[0:1], v[28:29] op_sel:[0,0,1] op_sel_hi:[1,0,0]
	s_wait_dscnt 0x3
	v_dual_mul_f32 v20, v5, v0 :: v_dual_mul_f32 v28, v5, v3
	v_pk_mul_f32 v[22:23], v[6:7], v[2:3] op_sel:[0,1]
	s_delay_alu instid0(VALU_DEP_1) | instskip(SKIP_1) | instid1(VALU_DEP_4)
	v_pk_fma_f32 v[30:31], v[6:7], v[0:1], v[22:23] op_sel:[0,0,1] op_sel_hi:[1,0,0]
	v_mov_b32_e32 v19, v21
	v_pk_fma_f32 v[20:21], v[4:5], v[94:95], v[20:21] op_sel:[1,0,0] op_sel_hi:[0,1,0]
	v_pk_fma_f32 v[4:5], v[4:5], v[94:95], v[28:29] op_sel_hi:[1,1,0] neg_lo:[0,0,1] neg_hi:[0,0,1]
	s_wait_dscnt 0x2
	v_pk_mul_f32 v[28:29], v[8:9], v[2:3] op_sel:[0,1]
	v_pk_fma_f32 v[6:7], v[6:7], v[0:1], v[22:23] op_sel:[0,0,1] op_sel_hi:[1,1,0] neg_lo:[0,0,1] neg_hi:[0,0,1]
	v_dual_mov_b32 v7, v31 :: v_dual_mov_b32 v5, v21
	v_pk_mul_f32 v[20:21], v[10:11], v[2:3] op_sel:[0,1]
	v_pk_add_f32 v[160:161], v[160:161], v[18:19] neg_lo:[0,1] neg_hi:[0,1]
	v_pk_fma_f32 v[18:19], v[8:9], v[0:1], v[28:29] op_sel:[0,0,1] op_sel_hi:[1,0,0]
	s_delay_alu instid0(VALU_DEP_4)
	v_pk_add_f32 v[178:179], v[178:179], v[6:7] neg_lo:[0,1] neg_hi:[0,1]
	v_pk_add_f32 v[156:157], v[156:157], v[4:5] neg_lo:[0,1] neg_hi:[0,1]
	v_pk_fma_f32 v[4:5], v[8:9], v[0:1], v[28:29] op_sel:[0,0,1] op_sel_hi:[1,1,0] neg_lo:[0,0,1] neg_hi:[0,0,1]
	v_pk_fma_f32 v[8:9], v[10:11], v[0:1], v[20:21] op_sel:[0,0,1] op_sel_hi:[1,0,0]
	s_wait_dscnt 0x1
	v_dual_mov_b32 v5, v19 :: v_dual_mov_b32 v18, v15
	v_pk_fma_f32 v[6:7], v[10:11], v[0:1], v[20:21] op_sel:[0,0,1] op_sel_hi:[1,1,0] neg_lo:[0,0,1] neg_hi:[0,0,1]
	v_pk_mul_f32 v[10:11], v[12:13], v[2:3] op_sel:[0,1]
	v_dual_mov_b32 v19, v14 :: v_dual_mul_f32 v8, v15, v0
	s_wait_dscnt 0x0
	v_pk_mul_f32 v[20:21], v[188:189], v[2:3] op_sel:[0,1]
	v_dual_mov_b32 v7, v9 :: v_dual_mul_f32 v2, v15, v3
	v_pk_fma_f32 v[22:23], v[12:13], v[0:1], v[10:11] op_sel:[0,0,1] op_sel_hi:[1,0,0]
	v_pk_fma_f32 v[8:9], v[18:19], v[94:95], v[8:9] op_sel_hi:[1,1,0]
	v_pk_fma_f32 v[10:11], v[12:13], v[0:1], v[10:11] op_sel:[0,0,1] op_sel_hi:[1,1,0] neg_lo:[0,0,1] neg_hi:[0,0,1]
	v_pk_fma_f32 v[12:13], v[188:189], v[0:1], v[20:21] op_sel:[0,0,1] op_sel_hi:[1,0,0]
	v_pk_fma_f32 v[2:3], v[14:15], v[94:95], v[2:3] op_sel_hi:[1,1,0] neg_lo:[0,0,1] neg_hi:[0,0,1]
	v_pk_fma_f32 v[0:1], v[188:189], v[0:1], v[20:21] op_sel:[0,0,1] op_sel_hi:[1,1,0] neg_lo:[0,0,1] neg_hi:[0,0,1]
	v_dual_mov_b32 v11, v23 :: v_dual_mov_b32 v3, v9
	s_delay_alu instid0(VALU_DEP_4) | instskip(SKIP_2) | instid1(VALU_DEP_4)
	v_mov_b32_e32 v1, v13
	v_pk_add_f32 v[174:175], v[174:175], v[4:5] neg_lo:[0,1] neg_hi:[0,1]
	v_pk_add_f32 v[176:177], v[176:177], v[6:7] neg_lo:[0,1] neg_hi:[0,1]
	;; [unrolled: 1-line block ×5, first 2 shown]
.LBB91_10:
	s_or_b32 exec_lo, exec_lo, s2
	s_delay_alu instid0(SALU_CYCLE_1)
	s_mov_b32 s2, exec_lo
	s_wait_dscnt 0x0
	s_barrier_signal -1
	s_barrier_wait -1
	v_cmpx_eq_u32_e32 1, v34
	s_cbranch_execz .LBB91_17
; %bb.11:
	v_dual_mov_b32 v0, v82 :: v_dual_mov_b32 v1, v83
	v_dual_mov_b32 v2, v58 :: v_dual_mov_b32 v3, v59
	v_dual_mov_b32 v4, v32 :: v_dual_mov_b32 v5, v33
	v_dual_mov_b32 v6, v54 :: v_dual_mov_b32 v7, v55
	v_dual_mov_b32 v8, v56 :: v_dual_mov_b32 v9, v57
	v_dual_mov_b32 v10, v52 :: v_dual_mov_b32 v11, v53
	v_dual_mov_b32 v12, v80 :: v_dual_mov_b32 v13, v81
	v_dual_mov_b32 v14, v50 :: v_dual_mov_b32 v15, v51
	ds_store_b64 v35, v[96:97]
	ds_store_2addr_b64 v26, v[0:1], v[2:3] offset0:2 offset1:3
	ds_store_2addr_b64 v26, v[4:5], v[6:7] offset0:4 offset1:5
	;; [unrolled: 1-line block ×4, first 2 shown]
	v_dual_mov_b32 v0, v78 :: v_dual_mov_b32 v1, v79
	v_dual_mov_b32 v2, v76 :: v_dual_mov_b32 v3, v77
	;; [unrolled: 1-line block ×12, first 2 shown]
	ds_store_2addr_b64 v26, v[0:1], v[2:3] offset0:10 offset1:11
	ds_store_2addr_b64 v26, v[4:5], v[6:7] offset0:12 offset1:13
	;; [unrolled: 1-line block ×6, first 2 shown]
	v_dual_mov_b32 v0, v88 :: v_dual_mov_b32 v1, v89
	v_dual_mov_b32 v2, v84 :: v_dual_mov_b32 v3, v85
	;; [unrolled: 1-line block ×12, first 2 shown]
	ds_store_2addr_b64 v26, v[0:1], v[2:3] offset0:22 offset1:23
	ds_store_2addr_b64 v26, v[4:5], v[6:7] offset0:24 offset1:25
	;; [unrolled: 1-line block ×6, first 2 shown]
	v_dual_mov_b32 v0, v142 :: v_dual_mov_b32 v1, v143
	v_dual_mov_b32 v2, v138 :: v_dual_mov_b32 v3, v139
	;; [unrolled: 1-line block ×11, first 2 shown]
	ds_store_2addr_b64 v26, v[0:1], v[2:3] offset0:34 offset1:35
	ds_store_2addr_b64 v26, v[4:5], v[6:7] offset0:36 offset1:37
	;; [unrolled: 1-line block ×6, first 2 shown]
	ds_load_b64 v[0:1], v35
	s_wait_dscnt 0x0
	v_cmp_neq_f32_e32 vcc_lo, 0, v0
	v_cmp_neq_f32_e64 s1, 0, v1
	s_or_b32 s1, vcc_lo, s1
	s_delay_alu instid0(SALU_CYCLE_1)
	s_and_b32 exec_lo, exec_lo, s1
	s_cbranch_execz .LBB91_17
; %bb.12:
	v_cmp_ngt_f32_e64 s1, |v0|, |v1|
                                        ; implicit-def: $vgpr2_vgpr3
	s_and_saveexec_b32 s4, s1
	s_delay_alu instid0(SALU_CYCLE_1)
	s_xor_b32 s1, exec_lo, s4
	s_cbranch_execz .LBB91_14
; %bb.13:
	v_div_scale_f32 v2, null, v1, v1, v0
	v_div_scale_f32 v5, vcc_lo, v0, v1, v0
	s_delay_alu instid0(VALU_DEP_2) | instskip(SKIP_1) | instid1(TRANS32_DEP_1)
	v_rcp_f32_e32 v3, v2
	v_nop
	v_fma_f32 v4, -v2, v3, 1.0
	s_delay_alu instid0(VALU_DEP_1) | instskip(NEXT) | instid1(VALU_DEP_1)
	v_fmac_f32_e32 v3, v4, v3
	v_mul_f32_e32 v4, v5, v3
	s_delay_alu instid0(VALU_DEP_1) | instskip(NEXT) | instid1(VALU_DEP_1)
	v_fma_f32 v6, -v2, v4, v5
	v_fmac_f32_e32 v4, v6, v3
	s_delay_alu instid0(VALU_DEP_1) | instskip(NEXT) | instid1(VALU_DEP_1)
	v_fma_f32 v2, -v2, v4, v5
	v_div_fmas_f32 v2, v2, v3, v4
	s_delay_alu instid0(VALU_DEP_1) | instskip(NEXT) | instid1(VALU_DEP_1)
	v_div_fixup_f32 v2, v2, v1, v0
	v_fmac_f32_e32 v1, v0, v2
	s_delay_alu instid0(VALU_DEP_1) | instskip(SKIP_1) | instid1(VALU_DEP_2)
	v_div_scale_f32 v0, null, v1, v1, 1.0
	v_div_scale_f32 v5, vcc_lo, 1.0, v1, 1.0
	v_rcp_f32_e32 v3, v0
	v_nop
	s_delay_alu instid0(TRANS32_DEP_1) | instskip(NEXT) | instid1(VALU_DEP_1)
	v_fma_f32 v4, -v0, v3, 1.0
	v_fmac_f32_e32 v3, v4, v3
	s_delay_alu instid0(VALU_DEP_1) | instskip(NEXT) | instid1(VALU_DEP_1)
	v_mul_f32_e32 v4, v5, v3
	v_fma_f32 v6, -v0, v4, v5
	s_delay_alu instid0(VALU_DEP_1) | instskip(NEXT) | instid1(VALU_DEP_1)
	v_fmac_f32_e32 v4, v6, v3
	v_fma_f32 v0, -v0, v4, v5
	s_delay_alu instid0(VALU_DEP_1) | instskip(NEXT) | instid1(VALU_DEP_1)
	v_div_fmas_f32 v0, v0, v3, v4
	v_div_fixup_f32 v0, v0, v1, 1.0
	s_delay_alu instid0(VALU_DEP_1)
	v_mul_f32_e32 v2, v2, v0
	v_xor_b32_e32 v3, 0x80000000, v0
                                        ; implicit-def: $vgpr0_vgpr1
.LBB91_14:
	s_and_not1_saveexec_b32 s1, s1
	s_cbranch_execz .LBB91_16
; %bb.15:
	v_div_scale_f32 v2, null, v0, v0, v1
	v_div_scale_f32 v5, vcc_lo, v1, v0, v1
	s_delay_alu instid0(VALU_DEP_2) | instskip(SKIP_1) | instid1(TRANS32_DEP_1)
	v_rcp_f32_e32 v3, v2
	v_nop
	v_fma_f32 v4, -v2, v3, 1.0
	s_delay_alu instid0(VALU_DEP_1) | instskip(NEXT) | instid1(VALU_DEP_1)
	v_fmac_f32_e32 v3, v4, v3
	v_mul_f32_e32 v4, v5, v3
	s_delay_alu instid0(VALU_DEP_1) | instskip(NEXT) | instid1(VALU_DEP_1)
	v_fma_f32 v6, -v2, v4, v5
	v_fmac_f32_e32 v4, v6, v3
	s_delay_alu instid0(VALU_DEP_1) | instskip(NEXT) | instid1(VALU_DEP_1)
	v_fma_f32 v2, -v2, v4, v5
	v_div_fmas_f32 v2, v2, v3, v4
	s_delay_alu instid0(VALU_DEP_1) | instskip(NEXT) | instid1(VALU_DEP_1)
	v_div_fixup_f32 v3, v2, v0, v1
	v_fmac_f32_e32 v0, v1, v3
	s_delay_alu instid0(VALU_DEP_1) | instskip(NEXT) | instid1(VALU_DEP_1)
	v_div_scale_f32 v1, null, v0, v0, 1.0
	v_rcp_f32_e32 v2, v1
	v_nop
	s_delay_alu instid0(TRANS32_DEP_1) | instskip(NEXT) | instid1(VALU_DEP_1)
	v_fma_f32 v4, -v1, v2, 1.0
	v_fmac_f32_e32 v2, v4, v2
	v_div_scale_f32 v4, vcc_lo, 1.0, v0, 1.0
	s_delay_alu instid0(VALU_DEP_1) | instskip(NEXT) | instid1(VALU_DEP_1)
	v_mul_f32_e32 v5, v4, v2
	v_fma_f32 v6, -v1, v5, v4
	s_delay_alu instid0(VALU_DEP_1) | instskip(NEXT) | instid1(VALU_DEP_1)
	v_fmac_f32_e32 v5, v6, v2
	v_fma_f32 v1, -v1, v5, v4
	s_delay_alu instid0(VALU_DEP_1) | instskip(NEXT) | instid1(VALU_DEP_1)
	v_div_fmas_f32 v1, v1, v2, v5
	v_div_fixup_f32 v2, v1, v0, 1.0
	s_delay_alu instid0(VALU_DEP_1)
	v_mul_f32_e64 v3, v3, -v2
.LBB91_16:
	s_or_b32 exec_lo, exec_lo, s1
	ds_store_b64 v35, v[2:3]
.LBB91_17:
	s_or_b32 exec_lo, exec_lo, s2
	s_wait_dscnt 0x0
	s_barrier_signal -1
	s_barrier_wait -1
	ds_load_b64 v[188:189], v35
	s_mov_b32 s1, exec_lo
	v_cmpx_lt_u32_e32 1, v34
	s_cbranch_execz .LBB91_19
; %bb.18:
	ds_load_2addr_b64 v[4:7], v26 offset0:2 offset1:3
	ds_load_2addr_b64 v[8:11], v26 offset0:4 offset1:5
	;; [unrolled: 1-line block ×3, first 2 shown]
	s_wait_dscnt 0x3
	v_pk_mul_f32 v[2:3], v[188:189], v[96:97] op_sel:[1,1] op_sel_hi:[0,1]
	ds_load_2addr_b64 v[18:21], v26 offset0:8 offset1:9
	ds_load_2addr_b64 v[190:193], v26 offset0:10 offset1:11
	v_pk_fma_f32 v[0:1], v[188:189], v[96:97], v[2:3] op_sel_hi:[1,0,1] neg_lo:[0,0,1] neg_hi:[0,0,1]
	v_pk_fma_f32 v[2:3], v[188:189], v[96:97], v[2:3] op_sel_hi:[1,0,1]
	s_delay_alu instid0(VALU_DEP_1) | instskip(SKIP_1) | instid1(VALU_DEP_2)
	v_dual_mov_b32 v96, v0 :: v_dual_mov_b32 v97, v3
	s_wait_dscnt 0x4
	v_pk_mul_f32 v[22:23], v[4:5], v[2:3] op_sel:[0,1]
	v_pk_mul_f32 v[28:29], v[6:7], v[2:3] op_sel:[0,1]
	s_wait_dscnt 0x3
	v_pk_mul_f32 v[30:31], v[8:9], v[2:3] op_sel:[0,1]
	v_dual_mov_b32 v194, v11 :: v_dual_mov_b32 v195, v10
	v_dual_mul_f32 v196, v11, v3 :: v_dual_mul_f32 v198, v11, v0
	v_pk_fma_f32 v[204:205], v[4:5], v[0:1], v[22:23] op_sel:[0,0,1] op_sel_hi:[1,1,0] neg_lo:[0,0,1] neg_hi:[0,0,1]
	v_pk_fma_f32 v[4:5], v[4:5], v[0:1], v[22:23] op_sel:[0,0,1] op_sel_hi:[1,0,0]
	v_pk_fma_f32 v[22:23], v[6:7], v[0:1], v[28:29] op_sel:[0,0,1] op_sel_hi:[1,1,0] neg_lo:[0,0,1] neg_hi:[0,0,1]
	v_pk_fma_f32 v[6:7], v[6:7], v[0:1], v[28:29] op_sel:[0,0,1] op_sel_hi:[1,0,0]
	v_pk_fma_f32 v[28:29], v[8:9], v[0:1], v[30:31] op_sel:[0,0,1] op_sel_hi:[1,1,0] neg_lo:[0,0,1] neg_hi:[0,0,1]
	v_pk_fma_f32 v[8:9], v[8:9], v[0:1], v[30:31] op_sel:[0,0,1] op_sel_hi:[1,0,0]
	v_pk_fma_f32 v[30:31], v[194:195], v[96:97], v[198:199] op_sel_hi:[1,1,0]
	v_pk_fma_f32 v[10:11], v[10:11], v[96:97], v[196:197] op_sel_hi:[1,1,0] neg_lo:[0,0,1] neg_hi:[0,0,1]
	s_wait_dscnt 0x2
	v_pk_mul_f32 v[200:201], v[12:13], v[2:3] op_sel:[0,1]
	v_pk_mul_f32 v[202:203], v[14:15], v[2:3] op_sel:[0,1]
	v_dual_mov_b32 v205, v5 :: v_dual_mov_b32 v23, v7
	v_dual_mov_b32 v29, v9 :: v_dual_mov_b32 v11, v31
	ds_load_2addr_b64 v[4:7], v26 offset0:12 offset1:13
	v_pk_fma_f32 v[8:9], v[12:13], v[0:1], v[200:201] op_sel:[0,0,1] op_sel_hi:[1,0,0]
	v_pk_add_f32 v[58:59], v[58:59], v[22:23] neg_lo:[0,1] neg_hi:[0,1]
	v_pk_fma_f32 v[22:23], v[14:15], v[0:1], v[202:203] op_sel:[0,0,1] op_sel_hi:[1,0,0]
	v_pk_add_f32 v[54:55], v[54:55], v[10:11] neg_lo:[0,1] neg_hi:[0,1]
	s_wait_dscnt 0x2
	v_pk_mul_f32 v[10:11], v[18:19], v[2:3] op_sel:[0,1]
	v_pk_fma_f32 v[12:13], v[12:13], v[0:1], v[200:201] op_sel:[0,0,1] op_sel_hi:[1,1,0] neg_lo:[0,0,1] neg_hi:[0,0,1]
	v_pk_fma_f32 v[14:15], v[14:15], v[0:1], v[202:203] op_sel:[0,0,1] op_sel_hi:[1,1,0] neg_lo:[0,0,1] neg_hi:[0,0,1]
	v_dual_mov_b32 v13, v9 :: v_dual_mov_b32 v15, v23
	s_delay_alu instid0(VALU_DEP_4) | instskip(SKIP_2) | instid1(VALU_DEP_4)
	v_pk_fma_f32 v[8:9], v[18:19], v[0:1], v[10:11] op_sel:[0,0,1] op_sel_hi:[1,0,0]
	v_pk_mul_f32 v[22:23], v[20:21], v[2:3] op_sel:[0,1]
	v_pk_fma_f32 v[18:19], v[18:19], v[0:1], v[10:11] op_sel:[0,0,1] op_sel_hi:[1,1,0] neg_lo:[0,0,1] neg_hi:[0,0,1]
	v_pk_add_f32 v[56:57], v[56:57], v[12:13] neg_lo:[0,1] neg_hi:[0,1]
	v_pk_add_f32 v[52:53], v[52:53], v[14:15] neg_lo:[0,1] neg_hi:[0,1]
	v_mov_b32_e32 v19, v9
	v_pk_fma_f32 v[12:13], v[20:21], v[0:1], v[22:23] op_sel:[0,0,1] op_sel_hi:[1,0,0]
	ds_load_2addr_b64 v[8:11], v26 offset0:14 offset1:15
	s_wait_dscnt 0x2
	v_mul_f32_e32 v12, v191, v0
	v_pk_fma_f32 v[14:15], v[20:21], v[0:1], v[22:23] op_sel:[0,0,1] op_sel_hi:[1,1,0] neg_lo:[0,0,1] neg_hi:[0,0,1]
	v_pk_add_f32 v[80:81], v[80:81], v[18:19] neg_lo:[0,1] neg_hi:[0,1]
	v_dual_mov_b32 v15, v13 :: v_dual_mul_f32 v18, v191, v3
	v_pk_mul_f32 v[20:21], v[192:193], v[2:3] op_sel:[0,1]
	v_pk_fma_f32 v[12:13], v[190:191], v[96:97], v[12:13] op_sel:[1,0,0] op_sel_hi:[0,1,0]
	s_wait_dscnt 0x1
	v_pk_mul_f32 v[22:23], v[4:5], v[2:3] op_sel:[0,1]
	v_pk_add_f32 v[32:33], v[32:33], v[28:29] neg_lo:[0,1] neg_hi:[0,1]
	v_pk_fma_f32 v[18:19], v[190:191], v[96:97], v[18:19] op_sel_hi:[1,1,0] neg_lo:[0,0,1] neg_hi:[0,0,1]
	v_pk_fma_f32 v[28:29], v[192:193], v[0:1], v[20:21] op_sel:[0,0,1] op_sel_hi:[1,0,0]
	v_mov_b32_e32 v19, v13
	v_pk_fma_f32 v[30:31], v[4:5], v[0:1], v[22:23] op_sel:[0,0,1] op_sel_hi:[1,0,0]
	v_pk_fma_f32 v[4:5], v[4:5], v[0:1], v[22:23] op_sel:[0,0,1] op_sel_hi:[1,1,0] neg_lo:[0,0,1] neg_hi:[0,0,1]
	v_pk_mul_f32 v[22:23], v[6:7], v[2:3] op_sel:[0,1]
	v_pk_fma_f32 v[20:21], v[192:193], v[0:1], v[20:21] op_sel:[0,0,1] op_sel_hi:[1,1,0] neg_lo:[0,0,1] neg_hi:[0,0,1]
	v_pk_add_f32 v[50:51], v[50:51], v[14:15] neg_lo:[0,1] neg_hi:[0,1]
	ds_load_2addr_b64 v[12:15], v26 offset0:16 offset1:17
	v_mov_b32_e32 v21, v29
	v_pk_add_f32 v[78:79], v[78:79], v[18:19] neg_lo:[0,1] neg_hi:[0,1]
	v_pk_fma_f32 v[18:19], v[6:7], v[0:1], v[22:23] op_sel:[0,0,1] op_sel_hi:[1,0,0]
	v_mov_b32_e32 v5, v31
	s_wait_dscnt 0x1
	v_pk_mul_f32 v[28:29], v[8:9], v[2:3] op_sel:[0,1]
	v_pk_fma_f32 v[22:23], v[6:7], v[0:1], v[22:23] op_sel:[0,0,1] op_sel_hi:[1,1,0] neg_lo:[0,0,1] neg_hi:[0,0,1]
	v_pk_add_f32 v[76:77], v[76:77], v[20:21] neg_lo:[0,1] neg_hi:[0,1]
	v_mov_b32_e32 v23, v19
	v_pk_add_f32 v[104:105], v[104:105], v[4:5] neg_lo:[0,1] neg_hi:[0,1]
	ds_load_2addr_b64 v[4:7], v26 offset0:18 offset1:19
	v_pk_fma_f32 v[20:21], v[8:9], v[0:1], v[28:29] op_sel:[0,0,1] op_sel_hi:[1,0,0]
	v_pk_fma_f32 v[8:9], v[8:9], v[0:1], v[28:29] op_sel:[0,0,1] op_sel_hi:[1,1,0] neg_lo:[0,0,1] neg_hi:[0,0,1]
	v_dual_mov_b32 v18, v11 :: v_dual_mov_b32 v19, v10
	s_delay_alu instid0(VALU_DEP_3)
	v_dual_mul_f32 v20, v11, v0 :: v_dual_mov_b32 v9, v21
	v_pk_add_f32 v[38:39], v[38:39], v[22:23] neg_lo:[0,1] neg_hi:[0,1]
	v_pk_add_f32 v[82:83], v[82:83], v[204:205] neg_lo:[0,1] neg_hi:[0,1]
	s_wait_dscnt 0x1
	v_pk_mul_f32 v[28:29], v[12:13], v[2:3] op_sel:[0,1]
	v_pk_add_f32 v[40:41], v[40:41], v[8:9] neg_lo:[0,1] neg_hi:[0,1]
	v_mul_f32_e32 v8, v11, v3
	v_pk_fma_f32 v[22:23], v[18:19], v[96:97], v[20:21] op_sel_hi:[1,1,0]
	v_pk_mul_f32 v[190:191], v[14:15], v[2:3] op_sel:[0,1]
	ds_load_2addr_b64 v[18:21], v26 offset0:20 offset1:21
	v_pk_fma_f32 v[30:31], v[12:13], v[0:1], v[28:29] op_sel:[0,0,1] op_sel_hi:[1,0,0]
	v_pk_fma_f32 v[192:193], v[10:11], v[96:97], v[8:9] op_sel_hi:[1,1,0] neg_lo:[0,0,1] neg_hi:[0,0,1]
	v_mov_b32_e32 v193, v23
	v_pk_fma_f32 v[12:13], v[12:13], v[0:1], v[28:29] op_sel:[0,0,1] op_sel_hi:[1,1,0] neg_lo:[0,0,1] neg_hi:[0,0,1]
	v_pk_fma_f32 v[22:23], v[14:15], v[0:1], v[190:191] op_sel:[0,0,1] op_sel_hi:[1,0,0]
	s_wait_dscnt 0x1
	v_pk_mul_f32 v[28:29], v[4:5], v[2:3] op_sel:[0,1]
	ds_load_2addr_b64 v[8:11], v26 offset0:22 offset1:23
	v_pk_fma_f32 v[14:15], v[14:15], v[0:1], v[190:191] op_sel:[0,0,1] op_sel_hi:[1,1,0] neg_lo:[0,0,1] neg_hi:[0,0,1]
	v_mov_b32_e32 v13, v31
	v_pk_add_f32 v[36:37], v[36:37], v[192:193] neg_lo:[0,1] neg_hi:[0,1]
	v_pk_fma_f32 v[30:31], v[4:5], v[0:1], v[28:29] op_sel:[0,0,1] op_sel_hi:[1,0,0]
	v_mov_b32_e32 v15, v23
	v_pk_mul_f32 v[22:23], v[6:7], v[2:3] op_sel:[0,1]
	v_pk_fma_f32 v[4:5], v[4:5], v[0:1], v[28:29] op_sel:[0,0,1] op_sel_hi:[1,1,0] neg_lo:[0,0,1] neg_hi:[0,0,1]
	v_pk_add_f32 v[66:67], v[66:67], v[12:13] neg_lo:[0,1] neg_hi:[0,1]
	v_mov_b32_e32 v5, v31
	v_pk_add_f32 v[62:63], v[62:63], v[14:15] neg_lo:[0,1] neg_hi:[0,1]
	v_pk_fma_f32 v[28:29], v[6:7], v[0:1], v[22:23] op_sel:[0,0,1] op_sel_hi:[1,0,0]
	ds_load_2addr_b64 v[12:15], v26 offset0:24 offset1:25
	v_pk_fma_f32 v[6:7], v[6:7], v[0:1], v[22:23] op_sel:[0,0,1] op_sel_hi:[1,1,0] neg_lo:[0,0,1] neg_hi:[0,0,1]
	s_wait_dscnt 0x2
	v_dual_mul_f32 v22, v19, v0 :: v_dual_mul_f32 v28, v19, v3
	v_mov_b32_e32 v7, v29
	v_pk_add_f32 v[64:65], v[64:65], v[4:5] neg_lo:[0,1] neg_hi:[0,1]
	v_pk_mul_f32 v[4:5], v[20:21], v[2:3] op_sel:[0,1]
	s_delay_alu instid0(VALU_DEP_4)
	v_pk_fma_f32 v[22:23], v[18:19], v[96:97], v[22:23] op_sel:[1,0,0] op_sel_hi:[0,1,0]
	s_wait_dscnt 0x1
	v_pk_mul_f32 v[30:31], v[8:9], v[2:3] op_sel:[0,1]
	v_pk_add_f32 v[60:61], v[60:61], v[6:7] neg_lo:[0,1] neg_hi:[0,1]
	v_pk_fma_f32 v[18:19], v[18:19], v[96:97], v[28:29] op_sel_hi:[1,1,0] neg_lo:[0,0,1] neg_hi:[0,0,1]
	v_pk_fma_f32 v[6:7], v[20:21], v[0:1], v[4:5] op_sel:[0,0,1] op_sel_hi:[1,0,0]
	v_pk_fma_f32 v[20:21], v[20:21], v[0:1], v[4:5] op_sel:[0,0,1] op_sel_hi:[1,1,0] neg_lo:[0,0,1] neg_hi:[0,0,1]
	v_mov_b32_e32 v19, v23
	v_pk_fma_f32 v[22:23], v[8:9], v[0:1], v[30:31] op_sel:[0,0,1] op_sel_hi:[1,0,0]
	v_pk_mul_f32 v[28:29], v[10:11], v[2:3] op_sel:[0,1]
	v_mov_b32_e32 v21, v7
	ds_load_2addr_b64 v[4:7], v26 offset0:26 offset1:27
	v_pk_fma_f32 v[8:9], v[8:9], v[0:1], v[30:31] op_sel:[0,0,1] op_sel_hi:[1,1,0] neg_lo:[0,0,1] neg_hi:[0,0,1]
	v_pk_add_f32 v[90:91], v[90:91], v[18:19] neg_lo:[0,1] neg_hi:[0,1]
	v_pk_fma_f32 v[18:19], v[10:11], v[0:1], v[28:29] op_sel:[0,0,1] op_sel_hi:[1,0,0]
	v_mov_b32_e32 v9, v23
	s_wait_dscnt 0x1
	v_pk_mul_f32 v[22:23], v[12:13], v[2:3] op_sel:[0,1]
	v_pk_fma_f32 v[28:29], v[10:11], v[0:1], v[28:29] op_sel:[0,0,1] op_sel_hi:[1,1,0] neg_lo:[0,0,1] neg_hi:[0,0,1]
	v_pk_add_f32 v[86:87], v[86:87], v[20:21] neg_lo:[0,1] neg_hi:[0,1]
	v_mov_b32_e32 v29, v19
	v_pk_add_f32 v[88:89], v[88:89], v[8:9] neg_lo:[0,1] neg_hi:[0,1]
	v_pk_fma_f32 v[20:21], v[12:13], v[0:1], v[22:23] op_sel:[0,0,1] op_sel_hi:[1,0,0]
	ds_load_2addr_b64 v[8:11], v26 offset0:28 offset1:29
	v_pk_fma_f32 v[12:13], v[12:13], v[0:1], v[22:23] op_sel:[0,0,1] op_sel_hi:[1,1,0] neg_lo:[0,0,1] neg_hi:[0,0,1]
	v_dual_mov_b32 v18, v15 :: v_dual_mov_b32 v19, v14
	v_dual_mul_f32 v20, v15, v0 :: v_dual_mov_b32 v13, v21
	v_pk_add_f32 v[84:85], v[84:85], v[28:29] neg_lo:[0,1] neg_hi:[0,1]
	s_delay_alu instid0(VALU_DEP_2) | instskip(NEXT) | instid1(VALU_DEP_3)
	v_pk_fma_f32 v[28:29], v[18:19], v[96:97], v[20:21] op_sel_hi:[1,1,0]
	v_pk_add_f32 v[112:113], v[112:113], v[12:13] neg_lo:[0,1] neg_hi:[0,1]
	s_wait_dscnt 0x1
	v_pk_mul_f32 v[12:13], v[4:5], v[2:3] op_sel:[0,1]
	v_mul_f32_e32 v22, v15, v3
	ds_load_2addr_b64 v[18:21], v26 offset0:30 offset1:31
	v_pk_mul_f32 v[30:31], v[6:7], v[2:3] op_sel:[0,1]
	v_pk_fma_f32 v[190:191], v[4:5], v[0:1], v[12:13] op_sel:[0,0,1] op_sel_hi:[1,0,0]
	v_pk_fma_f32 v[22:23], v[14:15], v[96:97], v[22:23] op_sel_hi:[1,1,0] neg_lo:[0,0,1] neg_hi:[0,0,1]
	v_pk_fma_f32 v[4:5], v[4:5], v[0:1], v[12:13] op_sel:[0,0,1] op_sel_hi:[1,1,0] neg_lo:[0,0,1] neg_hi:[0,0,1]
	ds_load_2addr_b64 v[12:15], v26 offset0:32 offset1:33
	v_mov_b32_e32 v23, v29
	v_pk_fma_f32 v[28:29], v[6:7], v[0:1], v[30:31] op_sel:[0,0,1] op_sel_hi:[1,0,0]
	v_mov_b32_e32 v5, v191
	s_wait_dscnt 0x2
	v_pk_mul_f32 v[190:191], v[8:9], v[2:3] op_sel:[0,1]
	v_pk_fma_f32 v[6:7], v[6:7], v[0:1], v[30:31] op_sel:[0,0,1] op_sel_hi:[1,1,0] neg_lo:[0,0,1] neg_hi:[0,0,1]
	v_pk_add_f32 v[108:109], v[108:109], v[22:23] neg_lo:[0,1] neg_hi:[0,1]
	v_mov_b32_e32 v7, v29
	v_pk_mul_f32 v[22:23], v[10:11], v[2:3] op_sel:[0,1]
	v_pk_fma_f32 v[28:29], v[8:9], v[0:1], v[190:191] op_sel:[0,0,1] op_sel_hi:[1,0,0]
	v_pk_fma_f32 v[8:9], v[8:9], v[0:1], v[190:191] op_sel:[0,0,1] op_sel_hi:[1,1,0] neg_lo:[0,0,1] neg_hi:[0,0,1]
	v_pk_add_f32 v[110:111], v[110:111], v[4:5] neg_lo:[0,1] neg_hi:[0,1]
	v_pk_add_f32 v[106:107], v[106:107], v[6:7] neg_lo:[0,1] neg_hi:[0,1]
	v_pk_fma_f32 v[30:31], v[10:11], v[0:1], v[22:23] op_sel:[0,0,1] op_sel_hi:[1,0,0]
	s_wait_dscnt 0x1
	v_dual_mov_b32 v9, v29 :: v_dual_mul_f32 v28, v19, v0
	v_pk_fma_f32 v[10:11], v[10:11], v[0:1], v[22:23] op_sel:[0,0,1] op_sel_hi:[1,1,0] neg_lo:[0,0,1] neg_hi:[0,0,1]
	ds_load_2addr_b64 v[4:7], v26 offset0:34 offset1:35
	v_pk_add_f32 v[128:129], v[128:129], v[8:9] neg_lo:[0,1] neg_hi:[0,1]
	v_pk_fma_f32 v[22:23], v[18:19], v[96:97], v[28:29] op_sel:[1,0,0] op_sel_hi:[0,1,0]
	v_mov_b32_e32 v11, v31
	s_wait_dscnt 0x1
	v_pk_mul_f32 v[30:31], v[12:13], v[2:3] op_sel:[0,1]
	v_pk_mul_f32 v[28:29], v[20:21], v[2:3] op_sel:[0,1]
	;; [unrolled: 1-line block ×3, first 2 shown]
	s_delay_alu instid0(VALU_DEP_3) | instskip(SKIP_2) | instid1(VALU_DEP_3)
	v_pk_fma_f32 v[192:193], v[12:13], v[0:1], v[30:31] op_sel:[0,0,1] op_sel_hi:[1,0,0]
	v_mul_f32_e32 v8, v19, v3
	v_pk_fma_f32 v[12:13], v[12:13], v[0:1], v[30:31] op_sel:[0,0,1] op_sel_hi:[1,1,0] neg_lo:[0,0,1] neg_hi:[0,0,1]
	v_mov_b32_e32 v13, v193
	s_delay_alu instid0(VALU_DEP_3)
	v_pk_fma_f32 v[18:19], v[18:19], v[96:97], v[8:9] op_sel_hi:[1,1,0] neg_lo:[0,0,1] neg_hi:[0,0,1]
	v_mov_b32_e32 v19, v23
	v_pk_fma_f32 v[22:23], v[20:21], v[0:1], v[28:29] op_sel:[0,0,1] op_sel_hi:[1,0,0]
	v_pk_add_f32 v[124:125], v[124:125], v[10:11] neg_lo:[0,1] neg_hi:[0,1]
	ds_load_2addr_b64 v[8:11], v26 offset0:36 offset1:37
	v_pk_fma_f32 v[20:21], v[20:21], v[0:1], v[28:29] op_sel:[0,0,1] op_sel_hi:[1,1,0] neg_lo:[0,0,1] neg_hi:[0,0,1]
	s_wait_dscnt 0x1
	v_pk_mul_f32 v[28:29], v[4:5], v[2:3] op_sel:[0,1]
	v_mov_b32_e32 v21, v23
	v_pk_fma_f32 v[22:23], v[14:15], v[0:1], v[190:191] op_sel:[0,0,1] op_sel_hi:[1,0,0]
	v_pk_fma_f32 v[14:15], v[14:15], v[0:1], v[190:191] op_sel:[0,0,1] op_sel_hi:[1,1,0] neg_lo:[0,0,1] neg_hi:[0,0,1]
	v_pk_add_f32 v[144:145], v[144:145], v[12:13] neg_lo:[0,1] neg_hi:[0,1]
	v_pk_add_f32 v[126:127], v[126:127], v[18:19] neg_lo:[0,1] neg_hi:[0,1]
	v_pk_fma_f32 v[18:19], v[4:5], v[0:1], v[28:29] op_sel:[0,0,1] op_sel_hi:[1,0,0]
	v_mov_b32_e32 v15, v23
	v_pk_fma_f32 v[4:5], v[4:5], v[0:1], v[28:29] op_sel:[0,0,1] op_sel_hi:[1,1,0] neg_lo:[0,0,1] neg_hi:[0,0,1]
	v_pk_add_f32 v[122:123], v[122:123], v[20:21] neg_lo:[0,1] neg_hi:[0,1]
	s_delay_alu instid0(VALU_DEP_4) | instskip(NEXT) | instid1(VALU_DEP_4)
	v_dual_mov_b32 v22, v7 :: v_dual_mov_b32 v5, v19
	v_pk_add_f32 v[140:141], v[140:141], v[14:15] neg_lo:[0,1] neg_hi:[0,1]
	ds_load_2addr_b64 v[12:15], v26 offset0:38 offset1:39
	ds_load_2addr_b64 v[18:21], v26 offset0:40 offset1:41
	v_dual_mov_b32 v23, v6 :: v_dual_mul_f32 v28, v7, v0
	v_pk_add_f32 v[142:143], v[142:143], v[4:5] neg_lo:[0,1] neg_hi:[0,1]
	s_wait_dscnt 0x2
	v_pk_mul_f32 v[30:31], v[8:9], v[2:3] op_sel:[0,1]
	v_pk_mul_f32 v[192:193], v[10:11], v[2:3] op_sel:[0,1]
	v_pk_fma_f32 v[22:23], v[22:23], v[96:97], v[28:29] op_sel_hi:[1,1,0]
	s_delay_alu instid0(VALU_DEP_3)
	v_pk_fma_f32 v[4:5], v[8:9], v[0:1], v[30:31] op_sel:[0,0,1] op_sel_hi:[1,0,0]
	v_mul_f32_e32 v190, v7, v3
	v_pk_fma_f32 v[8:9], v[8:9], v[0:1], v[30:31] op_sel:[0,0,1] op_sel_hi:[1,1,0] neg_lo:[0,0,1] neg_hi:[0,0,1]
	v_pk_fma_f32 v[28:29], v[10:11], v[0:1], v[192:193] op_sel:[0,0,1] op_sel_hi:[1,0,0]
	v_pk_fma_f32 v[10:11], v[10:11], v[0:1], v[192:193] op_sel:[0,0,1] op_sel_hi:[1,1,0] neg_lo:[0,0,1] neg_hi:[0,0,1]
	v_mov_b32_e32 v9, v5
	v_pk_fma_f32 v[6:7], v[6:7], v[96:97], v[190:191] op_sel_hi:[1,1,0] neg_lo:[0,0,1] neg_hi:[0,0,1]
	s_delay_alu instid0(VALU_DEP_4) | instskip(SKIP_3) | instid1(VALU_DEP_3)
	v_dual_mov_b32 v7, v23 :: v_dual_mov_b32 v11, v29
	s_wait_dscnt 0x1
	v_pk_mul_f32 v[22:23], v[12:13], v[2:3] op_sel:[0,1]
	v_pk_mul_f32 v[30:31], v[14:15], v[2:3] op_sel:[0,1]
	v_pk_add_f32 v[138:139], v[138:139], v[6:7] neg_lo:[0,1] neg_hi:[0,1]
	ds_load_2addr_b64 v[4:7], v26 offset0:42 offset1:43
	v_pk_add_f32 v[162:163], v[162:163], v[8:9] neg_lo:[0,1] neg_hi:[0,1]
	v_pk_fma_f32 v[28:29], v[12:13], v[0:1], v[22:23] op_sel:[0,0,1] op_sel_hi:[1,0,0]
	s_wait_dscnt 0x1
	v_mul_f32_e32 v28, v19, v0
	v_pk_add_f32 v[158:159], v[158:159], v[10:11] neg_lo:[0,1] neg_hi:[0,1]
	ds_load_2addr_b64 v[8:11], v26 offset0:44 offset1:45
	v_pk_fma_f32 v[12:13], v[12:13], v[0:1], v[22:23] op_sel:[0,0,1] op_sel_hi:[1,1,0] neg_lo:[0,0,1] neg_hi:[0,0,1]
	v_pk_fma_f32 v[22:23], v[14:15], v[0:1], v[30:31] op_sel:[0,0,1] op_sel_hi:[1,0,0]
	v_mov_b32_e32 v13, v29
	v_pk_fma_f32 v[28:29], v[18:19], v[96:97], v[28:29] op_sel:[1,0,0] op_sel_hi:[0,1,0]
	v_mul_f32_e32 v22, v19, v3
	v_pk_fma_f32 v[14:15], v[14:15], v[0:1], v[30:31] op_sel:[0,0,1] op_sel_hi:[1,1,0] neg_lo:[0,0,1] neg_hi:[0,0,1]
	v_pk_mul_f32 v[30:31], v[20:21], v[2:3] op_sel:[0,1]
	v_pk_add_f32 v[160:161], v[160:161], v[12:13] neg_lo:[0,1] neg_hi:[0,1]
	s_delay_alu instid0(VALU_DEP_4) | instskip(SKIP_1) | instid1(VALU_DEP_4)
	v_pk_fma_f32 v[18:19], v[18:19], v[96:97], v[22:23] op_sel_hi:[1,1,0] neg_lo:[0,0,1] neg_hi:[0,0,1]
	v_mov_b32_e32 v19, v29
	v_pk_fma_f32 v[12:13], v[20:21], v[0:1], v[30:31] op_sel:[0,0,1] op_sel_hi:[1,0,0]
	v_mov_b32_e32 v15, v23
	s_delay_alu instid0(VALU_DEP_3) | instskip(SKIP_1) | instid1(VALU_DEP_4)
	v_pk_add_f32 v[178:179], v[178:179], v[18:19] neg_lo:[0,1] neg_hi:[0,1]
	v_pk_fma_f32 v[18:19], v[20:21], v[0:1], v[30:31] op_sel:[0,0,1] op_sel_hi:[1,1,0] neg_lo:[0,0,1] neg_hi:[0,0,1]
	v_mov_b32_e32 v19, v13
	s_delay_alu instid0(VALU_DEP_4)
	v_pk_add_f32 v[156:157], v[156:157], v[14:15] neg_lo:[0,1] neg_hi:[0,1]
	s_wait_dscnt 0x1
	v_pk_mul_f32 v[14:15], v[4:5], v[2:3] op_sel:[0,1]
	v_pk_mul_f32 v[12:13], v[6:7], v[2:3] op_sel:[0,1]
	s_wait_dscnt 0x0
	v_pk_mul_f32 v[22:23], v[8:9], v[2:3] op_sel:[0,1]
	v_pk_mul_f32 v[2:3], v[10:11], v[2:3] op_sel:[0,1]
	v_pk_add_f32 v[174:175], v[174:175], v[18:19] neg_lo:[0,1] neg_hi:[0,1]
	v_pk_fma_f32 v[20:21], v[4:5], v[0:1], v[14:15] op_sel:[0,0,1] op_sel_hi:[1,0,0]
	v_pk_fma_f32 v[4:5], v[4:5], v[0:1], v[14:15] op_sel:[0,0,1] op_sel_hi:[1,1,0] neg_lo:[0,0,1] neg_hi:[0,0,1]
	v_pk_fma_f32 v[14:15], v[6:7], v[0:1], v[12:13] op_sel:[0,0,1] op_sel_hi:[1,0,0]
	v_pk_fma_f32 v[6:7], v[6:7], v[0:1], v[12:13] op_sel:[0,0,1] op_sel_hi:[1,1,0] neg_lo:[0,0,1] neg_hi:[0,0,1]
	v_pk_fma_f32 v[12:13], v[10:11], v[0:1], v[2:3] op_sel:[0,0,1] op_sel_hi:[1,0,0]
	v_mov_b32_e32 v5, v21
	v_pk_fma_f32 v[20:21], v[8:9], v[0:1], v[22:23] op_sel:[0,0,1] op_sel_hi:[1,0,0]
	v_pk_fma_f32 v[8:9], v[8:9], v[0:1], v[22:23] op_sel:[0,0,1] op_sel_hi:[1,1,0] neg_lo:[0,0,1] neg_hi:[0,0,1]
	v_pk_fma_f32 v[0:1], v[10:11], v[0:1], v[2:3] op_sel:[0,0,1] op_sel_hi:[1,1,0] neg_lo:[0,0,1] neg_hi:[0,0,1]
	v_dual_mov_b32 v7, v15 :: v_dual_mov_b32 v1, v13
	s_delay_alu instid0(VALU_DEP_4) | instskip(SKIP_1) | instid1(VALU_DEP_3)
	v_mov_b32_e32 v9, v21
	v_pk_add_f32 v[176:177], v[176:177], v[4:5] neg_lo:[0,1] neg_hi:[0,1]
	v_pk_add_f32 v[172:173], v[172:173], v[6:7] neg_lo:[0,1] neg_hi:[0,1]
	s_delay_alu instid0(VALU_DEP_4) | instskip(NEXT) | instid1(VALU_DEP_4)
	v_pk_add_f32 v[184:185], v[184:185], v[0:1] neg_lo:[0,1] neg_hi:[0,1]
	v_pk_add_f32 v[180:181], v[180:181], v[8:9] neg_lo:[0,1] neg_hi:[0,1]
.LBB91_19:
	s_or_b32 exec_lo, exec_lo, s1
	s_delay_alu instid0(SALU_CYCLE_1)
	s_mov_b32 s2, exec_lo
	s_wait_dscnt 0x0
	s_barrier_signal -1
	s_barrier_wait -1
	v_cmpx_eq_u32_e32 2, v34
	s_cbranch_execz .LBB91_26
; %bb.20:
	ds_store_b64 v35, v[82:83]
	ds_store_2addr_b64 v26, v[58:59], v[32:33] offset0:3 offset1:4
	ds_store_2addr_b64 v26, v[54:55], v[56:57] offset0:5 offset1:6
	;; [unrolled: 1-line block ×21, first 2 shown]
	ds_store_b64 v26, v[184:185] offset:360
	ds_load_b64 v[0:1], v35
	s_wait_dscnt 0x0
	v_cmp_neq_f32_e32 vcc_lo, 0, v0
	v_cmp_neq_f32_e64 s1, 0, v1
	s_or_b32 s1, vcc_lo, s1
	s_delay_alu instid0(SALU_CYCLE_1)
	s_and_b32 exec_lo, exec_lo, s1
	s_cbranch_execz .LBB91_26
; %bb.21:
	v_cmp_ngt_f32_e64 s1, |v0|, |v1|
                                        ; implicit-def: $vgpr2_vgpr3
	s_and_saveexec_b32 s4, s1
	s_delay_alu instid0(SALU_CYCLE_1)
	s_xor_b32 s1, exec_lo, s4
	s_cbranch_execz .LBB91_23
; %bb.22:
	v_div_scale_f32 v2, null, v1, v1, v0
	v_div_scale_f32 v5, vcc_lo, v0, v1, v0
	s_delay_alu instid0(VALU_DEP_2) | instskip(SKIP_1) | instid1(TRANS32_DEP_1)
	v_rcp_f32_e32 v3, v2
	v_nop
	v_fma_f32 v4, -v2, v3, 1.0
	s_delay_alu instid0(VALU_DEP_1) | instskip(NEXT) | instid1(VALU_DEP_1)
	v_fmac_f32_e32 v3, v4, v3
	v_mul_f32_e32 v4, v5, v3
	s_delay_alu instid0(VALU_DEP_1) | instskip(NEXT) | instid1(VALU_DEP_1)
	v_fma_f32 v6, -v2, v4, v5
	v_fmac_f32_e32 v4, v6, v3
	s_delay_alu instid0(VALU_DEP_1) | instskip(NEXT) | instid1(VALU_DEP_1)
	v_fma_f32 v2, -v2, v4, v5
	v_div_fmas_f32 v2, v2, v3, v4
	s_delay_alu instid0(VALU_DEP_1) | instskip(NEXT) | instid1(VALU_DEP_1)
	v_div_fixup_f32 v2, v2, v1, v0
	v_fmac_f32_e32 v1, v0, v2
	s_delay_alu instid0(VALU_DEP_1) | instskip(SKIP_1) | instid1(VALU_DEP_2)
	v_div_scale_f32 v0, null, v1, v1, 1.0
	v_div_scale_f32 v5, vcc_lo, 1.0, v1, 1.0
	v_rcp_f32_e32 v3, v0
	v_nop
	s_delay_alu instid0(TRANS32_DEP_1) | instskip(NEXT) | instid1(VALU_DEP_1)
	v_fma_f32 v4, -v0, v3, 1.0
	v_fmac_f32_e32 v3, v4, v3
	s_delay_alu instid0(VALU_DEP_1) | instskip(NEXT) | instid1(VALU_DEP_1)
	v_mul_f32_e32 v4, v5, v3
	v_fma_f32 v6, -v0, v4, v5
	s_delay_alu instid0(VALU_DEP_1) | instskip(NEXT) | instid1(VALU_DEP_1)
	v_fmac_f32_e32 v4, v6, v3
	v_fma_f32 v0, -v0, v4, v5
	s_delay_alu instid0(VALU_DEP_1) | instskip(NEXT) | instid1(VALU_DEP_1)
	v_div_fmas_f32 v0, v0, v3, v4
	v_div_fixup_f32 v0, v0, v1, 1.0
	s_delay_alu instid0(VALU_DEP_1)
	v_mul_f32_e32 v2, v2, v0
	v_xor_b32_e32 v3, 0x80000000, v0
                                        ; implicit-def: $vgpr0_vgpr1
.LBB91_23:
	s_and_not1_saveexec_b32 s1, s1
	s_cbranch_execz .LBB91_25
; %bb.24:
	v_div_scale_f32 v2, null, v0, v0, v1
	v_div_scale_f32 v5, vcc_lo, v1, v0, v1
	s_delay_alu instid0(VALU_DEP_2) | instskip(SKIP_1) | instid1(TRANS32_DEP_1)
	v_rcp_f32_e32 v3, v2
	v_nop
	v_fma_f32 v4, -v2, v3, 1.0
	s_delay_alu instid0(VALU_DEP_1) | instskip(NEXT) | instid1(VALU_DEP_1)
	v_fmac_f32_e32 v3, v4, v3
	v_mul_f32_e32 v4, v5, v3
	s_delay_alu instid0(VALU_DEP_1) | instskip(NEXT) | instid1(VALU_DEP_1)
	v_fma_f32 v6, -v2, v4, v5
	v_fmac_f32_e32 v4, v6, v3
	s_delay_alu instid0(VALU_DEP_1) | instskip(NEXT) | instid1(VALU_DEP_1)
	v_fma_f32 v2, -v2, v4, v5
	v_div_fmas_f32 v2, v2, v3, v4
	s_delay_alu instid0(VALU_DEP_1) | instskip(NEXT) | instid1(VALU_DEP_1)
	v_div_fixup_f32 v3, v2, v0, v1
	v_fmac_f32_e32 v0, v1, v3
	s_delay_alu instid0(VALU_DEP_1) | instskip(NEXT) | instid1(VALU_DEP_1)
	v_div_scale_f32 v1, null, v0, v0, 1.0
	v_rcp_f32_e32 v2, v1
	v_nop
	s_delay_alu instid0(TRANS32_DEP_1) | instskip(NEXT) | instid1(VALU_DEP_1)
	v_fma_f32 v4, -v1, v2, 1.0
	v_fmac_f32_e32 v2, v4, v2
	v_div_scale_f32 v4, vcc_lo, 1.0, v0, 1.0
	s_delay_alu instid0(VALU_DEP_1) | instskip(NEXT) | instid1(VALU_DEP_1)
	v_mul_f32_e32 v5, v4, v2
	v_fma_f32 v6, -v1, v5, v4
	s_delay_alu instid0(VALU_DEP_1) | instskip(NEXT) | instid1(VALU_DEP_1)
	v_fmac_f32_e32 v5, v6, v2
	v_fma_f32 v1, -v1, v5, v4
	s_delay_alu instid0(VALU_DEP_1) | instskip(NEXT) | instid1(VALU_DEP_1)
	v_div_fmas_f32 v1, v1, v2, v5
	v_div_fixup_f32 v2, v1, v0, 1.0
	s_delay_alu instid0(VALU_DEP_1)
	v_mul_f32_e64 v3, v3, -v2
.LBB91_25:
	s_or_b32 exec_lo, exec_lo, s1
	ds_store_b64 v35, v[2:3]
.LBB91_26:
	s_or_b32 exec_lo, exec_lo, s2
	s_wait_dscnt 0x0
	s_barrier_signal -1
	s_barrier_wait -1
	ds_load_b64 v[190:191], v35
	s_mov_b32 s1, exec_lo
	v_cmpx_lt_u32_e32 2, v34
	s_cbranch_execz .LBB91_28
; %bb.27:
	ds_load_2addr_b64 v[4:7], v26 offset0:3 offset1:4
	ds_load_2addr_b64 v[8:11], v26 offset0:5 offset1:6
	;; [unrolled: 1-line block ×3, first 2 shown]
	s_wait_dscnt 0x3
	v_pk_mul_f32 v[2:3], v[190:191], v[82:83] op_sel:[1,1] op_sel_hi:[0,1]
	ds_load_2addr_b64 v[18:21], v26 offset0:9 offset1:10
	ds_load_2addr_b64 v[192:195], v26 offset0:11 offset1:12
	v_pk_fma_f32 v[0:1], v[190:191], v[82:83], v[2:3] op_sel_hi:[1,0,1] neg_lo:[0,0,1] neg_hi:[0,0,1]
	v_pk_fma_f32 v[2:3], v[190:191], v[82:83], v[2:3] op_sel_hi:[1,0,1]
	s_delay_alu instid0(VALU_DEP_1) | instskip(SKIP_1) | instid1(VALU_DEP_2)
	v_dual_mov_b32 v82, v0 :: v_dual_mov_b32 v83, v3
	s_wait_dscnt 0x4
	v_pk_mul_f32 v[22:23], v[4:5], v[2:3] op_sel:[0,1]
	v_pk_mul_f32 v[28:29], v[6:7], v[2:3] op_sel:[0,1]
	s_wait_dscnt 0x3
	v_pk_mul_f32 v[30:31], v[8:9], v[2:3] op_sel:[0,1]
	v_dual_mov_b32 v196, v11 :: v_dual_mov_b32 v197, v10
	v_dual_mul_f32 v198, v11, v3 :: v_dual_mul_f32 v200, v11, v0
	v_pk_fma_f32 v[206:207], v[4:5], v[0:1], v[22:23] op_sel:[0,0,1] op_sel_hi:[1,1,0] neg_lo:[0,0,1] neg_hi:[0,0,1]
	v_pk_fma_f32 v[4:5], v[4:5], v[0:1], v[22:23] op_sel:[0,0,1] op_sel_hi:[1,0,0]
	v_pk_fma_f32 v[22:23], v[6:7], v[0:1], v[28:29] op_sel:[0,0,1] op_sel_hi:[1,1,0] neg_lo:[0,0,1] neg_hi:[0,0,1]
	v_pk_fma_f32 v[6:7], v[6:7], v[0:1], v[28:29] op_sel:[0,0,1] op_sel_hi:[1,0,0]
	;; [unrolled: 2-line block ×3, first 2 shown]
	v_pk_fma_f32 v[30:31], v[196:197], v[82:83], v[200:201] op_sel_hi:[1,1,0]
	v_pk_fma_f32 v[10:11], v[10:11], v[82:83], v[198:199] op_sel_hi:[1,1,0] neg_lo:[0,0,1] neg_hi:[0,0,1]
	s_wait_dscnt 0x2
	v_pk_mul_f32 v[202:203], v[12:13], v[2:3] op_sel:[0,1]
	v_pk_mul_f32 v[204:205], v[14:15], v[2:3] op_sel:[0,1]
	v_dual_mov_b32 v207, v5 :: v_dual_mov_b32 v23, v7
	v_dual_mov_b32 v29, v9 :: v_dual_mov_b32 v11, v31
	s_delay_alu instid0(VALU_DEP_4)
	v_pk_fma_f32 v[8:9], v[12:13], v[0:1], v[202:203] op_sel:[0,0,1] op_sel_hi:[1,0,0]
	ds_load_2addr_b64 v[4:7], v26 offset0:13 offset1:14
	v_pk_add_f32 v[32:33], v[32:33], v[22:23] neg_lo:[0,1] neg_hi:[0,1]
	v_pk_fma_f32 v[22:23], v[14:15], v[0:1], v[204:205] op_sel:[0,0,1] op_sel_hi:[1,0,0]
	v_pk_add_f32 v[56:57], v[56:57], v[10:11] neg_lo:[0,1] neg_hi:[0,1]
	s_wait_dscnt 0x2
	v_pk_mul_f32 v[10:11], v[18:19], v[2:3] op_sel:[0,1]
	v_pk_fma_f32 v[12:13], v[12:13], v[0:1], v[202:203] op_sel:[0,0,1] op_sel_hi:[1,1,0] neg_lo:[0,0,1] neg_hi:[0,0,1]
	v_pk_fma_f32 v[14:15], v[14:15], v[0:1], v[204:205] op_sel:[0,0,1] op_sel_hi:[1,1,0] neg_lo:[0,0,1] neg_hi:[0,0,1]
	v_dual_mov_b32 v13, v9 :: v_dual_mov_b32 v15, v23
	s_delay_alu instid0(VALU_DEP_4) | instskip(SKIP_2) | instid1(VALU_DEP_4)
	v_pk_fma_f32 v[8:9], v[18:19], v[0:1], v[10:11] op_sel:[0,0,1] op_sel_hi:[1,0,0]
	v_pk_mul_f32 v[22:23], v[20:21], v[2:3] op_sel:[0,1]
	v_pk_fma_f32 v[10:11], v[18:19], v[0:1], v[10:11] op_sel:[0,0,1] op_sel_hi:[1,1,0] neg_lo:[0,0,1] neg_hi:[0,0,1]
	v_pk_add_f32 v[52:53], v[52:53], v[12:13] neg_lo:[0,1] neg_hi:[0,1]
	v_pk_add_f32 v[80:81], v[80:81], v[14:15] neg_lo:[0,1] neg_hi:[0,1]
	v_mov_b32_e32 v11, v9
	v_pk_fma_f32 v[8:9], v[20:21], v[0:1], v[22:23] op_sel:[0,0,1] op_sel_hi:[1,0,0]
	s_wait_dscnt 0x1
	v_dual_mul_f32 v8, v193, v0 :: v_dual_mul_f32 v12, v193, v3
	v_pk_fma_f32 v[18:19], v[20:21], v[0:1], v[22:23] op_sel:[0,0,1] op_sel_hi:[1,1,0] neg_lo:[0,0,1] neg_hi:[0,0,1]
	v_pk_mul_f32 v[20:21], v[194:195], v[2:3] op_sel:[0,1]
	v_mov_b32_e32 v19, v9
	v_pk_add_f32 v[50:51], v[50:51], v[10:11] neg_lo:[0,1] neg_hi:[0,1]
	v_pk_fma_f32 v[14:15], v[192:193], v[82:83], v[8:9] op_sel:[1,0,0] op_sel_hi:[0,1,0]
	ds_load_2addr_b64 v[8:11], v26 offset0:15 offset1:16
	v_pk_add_f32 v[54:55], v[54:55], v[28:29] neg_lo:[0,1] neg_hi:[0,1]
	s_wait_dscnt 0x1
	v_pk_mul_f32 v[28:29], v[4:5], v[2:3] op_sel:[0,1]
	v_pk_mul_f32 v[30:31], v[6:7], v[2:3] op_sel:[0,1]
	v_pk_fma_f32 v[22:23], v[192:193], v[82:83], v[12:13] op_sel_hi:[1,1,0] neg_lo:[0,0,1] neg_hi:[0,0,1]
	v_pk_fma_f32 v[192:193], v[194:195], v[0:1], v[20:21] op_sel:[0,0,1] op_sel_hi:[1,0,0]
	v_mov_b32_e32 v23, v15
	ds_load_2addr_b64 v[12:15], v26 offset0:17 offset1:18
	v_pk_fma_f32 v[20:21], v[194:195], v[0:1], v[20:21] op_sel:[0,0,1] op_sel_hi:[1,1,0] neg_lo:[0,0,1] neg_hi:[0,0,1]
	v_pk_fma_f32 v[194:195], v[4:5], v[0:1], v[28:29] op_sel:[0,0,1] op_sel_hi:[1,0,0]
	v_pk_fma_f32 v[196:197], v[6:7], v[0:1], v[30:31] op_sel:[0,0,1] op_sel_hi:[1,0,0]
	v_pk_fma_f32 v[4:5], v[4:5], v[0:1], v[28:29] op_sel:[0,0,1] op_sel_hi:[1,1,0] neg_lo:[0,0,1] neg_hi:[0,0,1]
	v_pk_fma_f32 v[6:7], v[6:7], v[0:1], v[30:31] op_sel:[0,0,1] op_sel_hi:[1,1,0] neg_lo:[0,0,1] neg_hi:[0,0,1]
	s_delay_alu instid0(VALU_DEP_4) | instskip(NEXT) | instid1(VALU_DEP_4)
	v_dual_mov_b32 v21, v193 :: v_dual_mov_b32 v5, v195
	v_mov_b32_e32 v7, v197
	v_pk_add_f32 v[78:79], v[78:79], v[18:19] neg_lo:[0,1] neg_hi:[0,1]
	v_pk_add_f32 v[76:77], v[76:77], v[22:23] neg_lo:[0,1] neg_hi:[0,1]
	s_delay_alu instid0(VALU_DEP_4)
	v_pk_add_f32 v[104:105], v[104:105], v[20:21] neg_lo:[0,1] neg_hi:[0,1]
	v_pk_add_f32 v[38:39], v[38:39], v[4:5] neg_lo:[0,1] neg_hi:[0,1]
	;; [unrolled: 1-line block ×3, first 2 shown]
	ds_load_2addr_b64 v[4:7], v26 offset0:19 offset1:20
	s_wait_dscnt 0x2
	v_pk_mul_f32 v[18:19], v[8:9], v[2:3] op_sel:[0,1]
	v_dual_mov_b32 v20, v11 :: v_dual_mov_b32 v21, v10
	v_mul_f32_e32 v22, v11, v0
	v_pk_add_f32 v[58:59], v[58:59], v[206:207] neg_lo:[0,1] neg_hi:[0,1]
	s_delay_alu instid0(VALU_DEP_4)
	v_pk_fma_f32 v[28:29], v[8:9], v[0:1], v[18:19] op_sel:[0,0,1] op_sel_hi:[1,1,0] neg_lo:[0,0,1] neg_hi:[0,0,1]
	v_pk_fma_f32 v[8:9], v[8:9], v[0:1], v[18:19] op_sel:[0,0,1] op_sel_hi:[1,0,0]
	v_mul_f32_e32 v8, v11, v3
	s_wait_dscnt 0x1
	v_pk_mul_f32 v[30:31], v[12:13], v[2:3] op_sel:[0,1]
	v_pk_fma_f32 v[22:23], v[20:21], v[82:83], v[22:23] op_sel_hi:[1,1,0]
	v_pk_mul_f32 v[192:193], v[14:15], v[2:3] op_sel:[0,1]
	ds_load_2addr_b64 v[18:21], v26 offset0:21 offset1:22
	v_mov_b32_e32 v29, v9
	v_pk_fma_f32 v[194:195], v[12:13], v[0:1], v[30:31] op_sel:[0,0,1] op_sel_hi:[1,0,0]
	v_pk_fma_f32 v[8:9], v[10:11], v[82:83], v[8:9] op_sel_hi:[1,1,0] neg_lo:[0,0,1] neg_hi:[0,0,1]
	v_pk_fma_f32 v[10:11], v[14:15], v[0:1], v[192:193] op_sel:[0,0,1] op_sel_hi:[1,0,0]
	v_pk_fma_f32 v[12:13], v[12:13], v[0:1], v[30:31] op_sel:[0,0,1] op_sel_hi:[1,1,0] neg_lo:[0,0,1] neg_hi:[0,0,1]
	v_pk_fma_f32 v[14:15], v[14:15], v[0:1], v[192:193] op_sel:[0,0,1] op_sel_hi:[1,1,0] neg_lo:[0,0,1] neg_hi:[0,0,1]
	v_dual_mov_b32 v9, v23 :: v_dual_mov_b32 v13, v195
	s_delay_alu instid0(VALU_DEP_4)
	v_mov_b32_e32 v15, v11
	s_wait_dscnt 0x1
	v_pk_mul_f32 v[22:23], v[4:5], v[2:3] op_sel:[0,1]
	v_pk_add_f32 v[36:37], v[36:37], v[28:29] neg_lo:[0,1] neg_hi:[0,1]
	v_pk_add_f32 v[66:67], v[66:67], v[8:9] neg_lo:[0,1] neg_hi:[0,1]
	;; [unrolled: 1-line block ×4, first 2 shown]
	ds_load_2addr_b64 v[8:11], v26 offset0:23 offset1:24
	ds_load_2addr_b64 v[12:15], v26 offset0:25 offset1:26
	v_pk_fma_f32 v[28:29], v[4:5], v[0:1], v[22:23] op_sel:[0,0,1] op_sel_hi:[1,0,0]
	v_pk_fma_f32 v[4:5], v[4:5], v[0:1], v[22:23] op_sel:[0,0,1] op_sel_hi:[1,1,0] neg_lo:[0,0,1] neg_hi:[0,0,1]
	v_pk_mul_f32 v[22:23], v[6:7], v[2:3] op_sel:[0,1]
	s_wait_dscnt 0x2
	v_mul_f32_e32 v28, v19, v0
	v_pk_mul_f32 v[30:31], v[20:21], v[2:3] op_sel:[0,1]
	v_mov_b32_e32 v5, v29
	v_pk_fma_f32 v[192:193], v[6:7], v[0:1], v[22:23] op_sel:[0,0,1] op_sel_hi:[1,0,0]
	v_mul_f32_e32 v192, v19, v3
	v_pk_fma_f32 v[28:29], v[18:19], v[82:83], v[28:29] op_sel:[1,0,0] op_sel_hi:[0,1,0]
	v_pk_fma_f32 v[6:7], v[6:7], v[0:1], v[22:23] op_sel:[0,0,1] op_sel_hi:[1,1,0] neg_lo:[0,0,1] neg_hi:[0,0,1]
	v_pk_fma_f32 v[22:23], v[20:21], v[0:1], v[30:31] op_sel:[0,0,1] op_sel_hi:[1,0,0]
	v_mov_b32_e32 v7, v193
	v_pk_fma_f32 v[18:19], v[18:19], v[82:83], v[192:193] op_sel_hi:[1,1,0] neg_lo:[0,0,1] neg_hi:[0,0,1]
	v_mov_b32_e32 v19, v29
	v_pk_fma_f32 v[20:21], v[20:21], v[0:1], v[30:31] op_sel:[0,0,1] op_sel_hi:[1,1,0] neg_lo:[0,0,1] neg_hi:[0,0,1]
	v_mov_b32_e32 v21, v23
	v_pk_add_f32 v[60:61], v[60:61], v[4:5] neg_lo:[0,1] neg_hi:[0,1]
	v_pk_add_f32 v[90:91], v[90:91], v[6:7] neg_lo:[0,1] neg_hi:[0,1]
	;; [unrolled: 1-line block ×3, first 2 shown]
	s_wait_dscnt 0x1
	v_pk_mul_f32 v[18:19], v[8:9], v[2:3] op_sel:[0,1]
	ds_load_2addr_b64 v[4:7], v26 offset0:27 offset1:28
	s_wait_dscnt 0x1
	v_pk_mul_f32 v[28:29], v[12:13], v[2:3] op_sel:[0,1]
	v_pk_add_f32 v[88:89], v[88:89], v[20:21] neg_lo:[0,1] neg_hi:[0,1]
	v_pk_mul_f32 v[22:23], v[10:11], v[2:3] op_sel:[0,1]
	v_pk_fma_f32 v[30:31], v[8:9], v[0:1], v[18:19] op_sel:[0,0,1] op_sel_hi:[1,0,0]
	v_pk_fma_f32 v[8:9], v[8:9], v[0:1], v[18:19] op_sel:[0,0,1] op_sel_hi:[1,1,0] neg_lo:[0,0,1] neg_hi:[0,0,1]
	ds_load_2addr_b64 v[18:21], v26 offset0:29 offset1:30
	v_pk_fma_f32 v[194:195], v[12:13], v[0:1], v[28:29] op_sel:[0,0,1] op_sel_hi:[1,0,0]
	v_pk_fma_f32 v[12:13], v[12:13], v[0:1], v[28:29] op_sel:[0,0,1] op_sel_hi:[1,1,0] neg_lo:[0,0,1] neg_hi:[0,0,1]
	v_pk_fma_f32 v[192:193], v[10:11], v[0:1], v[22:23] op_sel:[0,0,1] op_sel_hi:[1,0,0]
	v_pk_fma_f32 v[10:11], v[10:11], v[0:1], v[22:23] op_sel:[0,0,1] op_sel_hi:[1,1,0] neg_lo:[0,0,1] neg_hi:[0,0,1]
	s_delay_alu instid0(VALU_DEP_4) | instskip(SKIP_1) | instid1(VALU_DEP_4)
	v_dual_mov_b32 v22, v15 :: v_dual_mov_b32 v13, v195
	v_dual_mov_b32 v23, v14 :: v_dual_mul_f32 v28, v15, v0
	v_dual_mov_b32 v9, v31 :: v_dual_mov_b32 v11, v193
	s_delay_alu instid0(VALU_DEP_3) | instskip(NEXT) | instid1(VALU_DEP_3)
	v_pk_add_f32 v[108:109], v[108:109], v[12:13] neg_lo:[0,1] neg_hi:[0,1]
	v_pk_fma_f32 v[12:13], v[22:23], v[82:83], v[28:29] op_sel_hi:[1,1,0]
	v_mul_f32_e32 v30, v15, v3
	s_delay_alu instid0(VALU_DEP_4)
	v_pk_add_f32 v[84:85], v[84:85], v[8:9] neg_lo:[0,1] neg_hi:[0,1]
	v_pk_add_f32 v[112:113], v[112:113], v[10:11] neg_lo:[0,1] neg_hi:[0,1]
	ds_load_2addr_b64 v[8:11], v26 offset0:31 offset1:32
	s_wait_dscnt 0x2
	v_pk_mul_f32 v[28:29], v[4:5], v[2:3] op_sel:[0,1]
	v_pk_fma_f32 v[22:23], v[14:15], v[82:83], v[30:31] op_sel_hi:[1,1,0] neg_lo:[0,0,1] neg_hi:[0,0,1]
	v_mov_b32_e32 v23, v13
	ds_load_2addr_b64 v[12:15], v26 offset0:33 offset1:34
	v_pk_mul_f32 v[30:31], v[6:7], v[2:3] op_sel:[0,1]
	s_wait_dscnt 0x2
	v_pk_mul_f32 v[192:193], v[18:19], v[2:3] op_sel:[0,1]
	v_pk_fma_f32 v[194:195], v[4:5], v[0:1], v[28:29] op_sel:[0,0,1] op_sel_hi:[1,0,0]
	v_pk_fma_f32 v[4:5], v[4:5], v[0:1], v[28:29] op_sel:[0,0,1] op_sel_hi:[1,1,0] neg_lo:[0,0,1] neg_hi:[0,0,1]
	v_pk_add_f32 v[110:111], v[110:111], v[22:23] neg_lo:[0,1] neg_hi:[0,1]
	v_pk_fma_f32 v[196:197], v[6:7], v[0:1], v[30:31] op_sel:[0,0,1] op_sel_hi:[1,0,0]
	v_pk_fma_f32 v[28:29], v[18:19], v[0:1], v[192:193] op_sel:[0,0,1] op_sel_hi:[1,0,0]
	v_pk_fma_f32 v[6:7], v[6:7], v[0:1], v[30:31] op_sel:[0,0,1] op_sel_hi:[1,1,0] neg_lo:[0,0,1] neg_hi:[0,0,1]
	v_pk_fma_f32 v[18:19], v[18:19], v[0:1], v[192:193] op_sel:[0,0,1] op_sel_hi:[1,1,0] neg_lo:[0,0,1] neg_hi:[0,0,1]
	s_delay_alu instid0(VALU_DEP_4) | instskip(NEXT) | instid1(VALU_DEP_4)
	v_dual_mov_b32 v5, v195 :: v_dual_mov_b32 v7, v197
	v_mov_b32_e32 v19, v29
	v_pk_mul_f32 v[28:29], v[20:21], v[2:3] op_sel:[0,1]
	s_delay_alu instid0(VALU_DEP_3) | instskip(NEXT) | instid1(VALU_DEP_4)
	v_pk_add_f32 v[106:107], v[106:107], v[4:5] neg_lo:[0,1] neg_hi:[0,1]
	v_pk_add_f32 v[128:129], v[128:129], v[6:7] neg_lo:[0,1] neg_hi:[0,1]
	s_delay_alu instid0(VALU_DEP_4) | instskip(NEXT) | instid1(VALU_DEP_4)
	v_pk_add_f32 v[124:125], v[124:125], v[18:19] neg_lo:[0,1] neg_hi:[0,1]
	v_pk_fma_f32 v[18:19], v[20:21], v[0:1], v[28:29] op_sel:[0,0,1] op_sel_hi:[1,1,0] neg_lo:[0,0,1] neg_hi:[0,0,1]
	v_pk_fma_f32 v[20:21], v[20:21], v[0:1], v[28:29] op_sel:[0,0,1] op_sel_hi:[1,0,0]
	ds_load_2addr_b64 v[4:7], v26 offset0:35 offset1:36
	s_wait_dscnt 0x2
	v_dual_mul_f32 v20, v9, v0 :: v_dual_mul_f32 v22, v9, v3
	s_wait_dscnt 0x1
	v_pk_mul_f32 v[30:31], v[12:13], v[2:3] op_sel:[0,1]
	v_pk_mul_f32 v[28:29], v[10:11], v[2:3] op_sel:[0,1]
	v_mov_b32_e32 v19, v21
	v_pk_fma_f32 v[192:193], v[8:9], v[82:83], v[20:21] op_sel:[1,0,0] op_sel_hi:[0,1,0]
	v_pk_fma_f32 v[22:23], v[8:9], v[82:83], v[22:23] op_sel_hi:[1,1,0] neg_lo:[0,0,1] neg_hi:[0,0,1]
	v_pk_fma_f32 v[8:9], v[12:13], v[0:1], v[30:31] op_sel:[0,0,1] op_sel_hi:[1,0,0]
	v_pk_fma_f32 v[12:13], v[12:13], v[0:1], v[30:31] op_sel:[0,0,1] op_sel_hi:[1,1,0] neg_lo:[0,0,1] neg_hi:[0,0,1]
	v_pk_fma_f32 v[20:21], v[10:11], v[0:1], v[28:29] op_sel:[0,0,1] op_sel_hi:[1,0,0]
	v_pk_fma_f32 v[28:29], v[10:11], v[0:1], v[28:29] op_sel:[0,0,1] op_sel_hi:[1,1,0] neg_lo:[0,0,1] neg_hi:[0,0,1]
	s_delay_alu instid0(VALU_DEP_4)
	v_dual_mov_b32 v23, v193 :: v_dual_mov_b32 v13, v9
	ds_load_2addr_b64 v[8:11], v26 offset0:37 offset1:38
	v_mov_b32_e32 v29, v21
	v_pk_mul_f32 v[20:21], v[14:15], v[2:3] op_sel:[0,1]
	v_pk_add_f32 v[122:123], v[122:123], v[22:23] neg_lo:[0,1] neg_hi:[0,1]
	v_pk_add_f32 v[126:127], v[126:127], v[18:19] neg_lo:[0,1] neg_hi:[0,1]
	s_wait_dscnt 0x1
	v_pk_mul_f32 v[22:23], v[4:5], v[2:3] op_sel:[0,1]
	v_pk_fma_f32 v[18:19], v[14:15], v[0:1], v[20:21] op_sel:[0,0,1] op_sel_hi:[1,1,0] neg_lo:[0,0,1] neg_hi:[0,0,1]
	v_pk_fma_f32 v[20:21], v[14:15], v[0:1], v[20:21] op_sel:[0,0,1] op_sel_hi:[1,0,0]
	v_pk_add_f32 v[144:145], v[144:145], v[28:29] neg_lo:[0,1] neg_hi:[0,1]
	v_mov_b32_e32 v28, v7
	v_pk_fma_f32 v[30:31], v[4:5], v[0:1], v[22:23] op_sel:[0,0,1] op_sel_hi:[1,0,0]
	v_pk_add_f32 v[140:141], v[140:141], v[12:13] neg_lo:[0,1] neg_hi:[0,1]
	v_dual_mov_b32 v29, v6 :: v_dual_mul_f32 v20, v7, v0
	ds_load_2addr_b64 v[12:15], v26 offset0:39 offset1:40
	v_dual_mul_f32 v30, v7, v3 :: v_dual_mov_b32 v19, v21
	v_pk_fma_f32 v[22:23], v[4:5], v[0:1], v[22:23] op_sel:[0,0,1] op_sel_hi:[1,1,0] neg_lo:[0,0,1] neg_hi:[0,0,1]
	v_pk_fma_f32 v[20:21], v[28:29], v[82:83], v[20:21] op_sel_hi:[1,1,0]
	v_mov_b32_e32 v23, v31
	s_delay_alu instid0(VALU_DEP_4)
	v_pk_fma_f32 v[28:29], v[6:7], v[82:83], v[30:31] op_sel_hi:[1,1,0] neg_lo:[0,0,1] neg_hi:[0,0,1]
	s_wait_dscnt 0x1
	v_pk_mul_f32 v[30:31], v[8:9], v[2:3] op_sel:[0,1]
	ds_load_2addr_b64 v[4:7], v26 offset0:41 offset1:42
	v_mov_b32_e32 v29, v21
	v_pk_add_f32 v[142:143], v[142:143], v[18:19] neg_lo:[0,1] neg_hi:[0,1]
	v_pk_mul_f32 v[18:19], v[10:11], v[2:3] op_sel:[0,1]
	v_pk_fma_f32 v[20:21], v[8:9], v[0:1], v[30:31] op_sel:[0,0,1] op_sel_hi:[1,0,0]
	v_pk_add_f32 v[138:139], v[138:139], v[22:23] neg_lo:[0,1] neg_hi:[0,1]
	v_pk_fma_f32 v[22:23], v[8:9], v[0:1], v[30:31] op_sel:[0,0,1] op_sel_hi:[1,1,0] neg_lo:[0,0,1] neg_hi:[0,0,1]
	v_pk_add_f32 v[162:163], v[162:163], v[28:29] neg_lo:[0,1] neg_hi:[0,1]
	v_pk_fma_f32 v[28:29], v[10:11], v[0:1], v[18:19] op_sel:[0,0,1] op_sel_hi:[1,0,0]
	v_mov_b32_e32 v23, v21
	v_pk_fma_f32 v[18:19], v[10:11], v[0:1], v[18:19] op_sel:[0,0,1] op_sel_hi:[1,1,0] neg_lo:[0,0,1] neg_hi:[0,0,1]
	ds_load_2addr_b64 v[8:11], v26 offset0:43 offset1:44
	s_wait_dscnt 0x2
	v_pk_mul_f32 v[20:21], v[12:13], v[2:3] op_sel:[0,1]
	v_mov_b32_e32 v19, v29
	v_pk_add_f32 v[158:159], v[158:159], v[22:23] neg_lo:[0,1] neg_hi:[0,1]
	ds_load_b64 v[22:23], v26 offset:360
	v_pk_mul_f32 v[28:29], v[14:15], v[2:3] op_sel:[0,1]
	v_pk_fma_f32 v[30:31], v[12:13], v[0:1], v[20:21] op_sel:[0,0,1] op_sel_hi:[1,0,0]
	v_pk_add_f32 v[160:161], v[160:161], v[18:19] neg_lo:[0,1] neg_hi:[0,1]
	v_pk_fma_f32 v[12:13], v[12:13], v[0:1], v[20:21] op_sel:[0,0,1] op_sel_hi:[1,1,0] neg_lo:[0,0,1] neg_hi:[0,0,1]
	s_wait_dscnt 0x2
	v_mul_f32_e32 v20, v5, v3
	v_pk_fma_f32 v[18:19], v[14:15], v[0:1], v[28:29] op_sel:[0,0,1] op_sel_hi:[1,0,0]
	v_dual_mul_f32 v18, v5, v0 :: v_dual_mov_b32 v13, v31
	v_pk_fma_f32 v[14:15], v[14:15], v[0:1], v[28:29] op_sel:[0,0,1] op_sel_hi:[1,1,0] neg_lo:[0,0,1] neg_hi:[0,0,1]
	s_delay_alu instid0(VALU_DEP_3) | instskip(NEXT) | instid1(VALU_DEP_3)
	v_mov_b32_e32 v15, v19
	v_pk_fma_f32 v[18:19], v[4:5], v[82:83], v[18:19] op_sel:[1,0,0] op_sel_hi:[0,1,0]
	s_delay_alu instid0(VALU_DEP_4)
	v_pk_add_f32 v[156:157], v[156:157], v[12:13] neg_lo:[0,1] neg_hi:[0,1]
	v_pk_mul_f32 v[12:13], v[6:7], v[2:3] op_sel:[0,1]
	v_pk_fma_f32 v[4:5], v[4:5], v[82:83], v[20:21] op_sel_hi:[1,1,0] neg_lo:[0,0,1] neg_hi:[0,0,1]
	v_pk_add_f32 v[178:179], v[178:179], v[14:15] neg_lo:[0,1] neg_hi:[0,1]
	v_mov_b32_e32 v5, v19
	s_wait_dscnt 0x1
	v_pk_mul_f32 v[14:15], v[8:9], v[2:3] op_sel:[0,1]
	v_pk_fma_f32 v[18:19], v[6:7], v[0:1], v[12:13] op_sel:[0,0,1] op_sel_hi:[1,0,0]
	v_pk_mul_f32 v[20:21], v[10:11], v[2:3] op_sel:[0,1]
	s_wait_dscnt 0x0
	v_pk_mul_f32 v[2:3], v[22:23], v[2:3] op_sel:[0,1]
	v_pk_fma_f32 v[6:7], v[6:7], v[0:1], v[12:13] op_sel:[0,0,1] op_sel_hi:[1,1,0] neg_lo:[0,0,1] neg_hi:[0,0,1]
	v_pk_fma_f32 v[12:13], v[8:9], v[0:1], v[14:15] op_sel:[0,0,1] op_sel_hi:[1,0,0]
	v_mov_b32_e32 v7, v19
	v_pk_fma_f32 v[18:19], v[10:11], v[0:1], v[20:21] op_sel:[0,0,1] op_sel_hi:[1,0,0]
	v_pk_fma_f32 v[8:9], v[8:9], v[0:1], v[14:15] op_sel:[0,0,1] op_sel_hi:[1,1,0] neg_lo:[0,0,1] neg_hi:[0,0,1]
	v_pk_fma_f32 v[14:15], v[22:23], v[0:1], v[2:3] op_sel:[0,0,1] op_sel_hi:[1,0,0]
	v_pk_fma_f32 v[10:11], v[10:11], v[0:1], v[20:21] op_sel:[0,0,1] op_sel_hi:[1,1,0] neg_lo:[0,0,1] neg_hi:[0,0,1]
	v_pk_fma_f32 v[0:1], v[22:23], v[0:1], v[2:3] op_sel:[0,0,1] op_sel_hi:[1,1,0] neg_lo:[0,0,1] neg_hi:[0,0,1]
	v_dual_mov_b32 v9, v13 :: v_dual_mov_b32 v11, v19
	s_delay_alu instid0(VALU_DEP_4) | instskip(SKIP_2) | instid1(VALU_DEP_4)
	v_mov_b32_e32 v1, v15
	v_pk_add_f32 v[174:175], v[174:175], v[4:5] neg_lo:[0,1] neg_hi:[0,1]
	v_pk_add_f32 v[176:177], v[176:177], v[6:7] neg_lo:[0,1] neg_hi:[0,1]
	;; [unrolled: 1-line block ×5, first 2 shown]
.LBB91_28:
	s_or_b32 exec_lo, exec_lo, s1
	s_delay_alu instid0(SALU_CYCLE_1)
	s_mov_b32 s2, exec_lo
	s_wait_dscnt 0x0
	s_barrier_signal -1
	s_barrier_wait -1
	v_cmpx_eq_u32_e32 3, v34
	s_cbranch_execz .LBB91_35
; %bb.29:
	v_dual_mov_b32 v0, v32 :: v_dual_mov_b32 v1, v33
	v_dual_mov_b32 v2, v54 :: v_dual_mov_b32 v3, v55
	;; [unrolled: 1-line block ×8, first 2 shown]
	ds_store_b64 v35, v[58:59]
	ds_store_2addr_b64 v26, v[0:1], v[2:3] offset0:4 offset1:5
	ds_store_2addr_b64 v26, v[4:5], v[6:7] offset0:6 offset1:7
	;; [unrolled: 1-line block ×4, first 2 shown]
	v_dual_mov_b32 v0, v104 :: v_dual_mov_b32 v1, v105
	v_dual_mov_b32 v2, v38 :: v_dual_mov_b32 v3, v39
	;; [unrolled: 1-line block ×12, first 2 shown]
	ds_store_2addr_b64 v26, v[0:1], v[2:3] offset0:12 offset1:13
	ds_store_2addr_b64 v26, v[4:5], v[6:7] offset0:14 offset1:15
	;; [unrolled: 1-line block ×6, first 2 shown]
	v_dual_mov_b32 v0, v112 :: v_dual_mov_b32 v1, v113
	v_dual_mov_b32 v2, v108 :: v_dual_mov_b32 v3, v109
	;; [unrolled: 1-line block ×12, first 2 shown]
	ds_store_2addr_b64 v26, v[0:1], v[2:3] offset0:24 offset1:25
	ds_store_2addr_b64 v26, v[4:5], v[6:7] offset0:26 offset1:27
	;; [unrolled: 1-line block ×6, first 2 shown]
	v_dual_mov_b32 v0, v162 :: v_dual_mov_b32 v1, v163
	v_dual_mov_b32 v2, v158 :: v_dual_mov_b32 v3, v159
	;; [unrolled: 1-line block ×9, first 2 shown]
	ds_store_2addr_b64 v26, v[0:1], v[2:3] offset0:36 offset1:37
	ds_store_2addr_b64 v26, v[4:5], v[6:7] offset0:38 offset1:39
	;; [unrolled: 1-line block ×5, first 2 shown]
	ds_load_b64 v[0:1], v35
	s_wait_dscnt 0x0
	v_cmp_neq_f32_e32 vcc_lo, 0, v0
	v_cmp_neq_f32_e64 s1, 0, v1
	s_or_b32 s1, vcc_lo, s1
	s_delay_alu instid0(SALU_CYCLE_1)
	s_and_b32 exec_lo, exec_lo, s1
	s_cbranch_execz .LBB91_35
; %bb.30:
	v_cmp_ngt_f32_e64 s1, |v0|, |v1|
                                        ; implicit-def: $vgpr2_vgpr3
	s_and_saveexec_b32 s4, s1
	s_delay_alu instid0(SALU_CYCLE_1)
	s_xor_b32 s1, exec_lo, s4
	s_cbranch_execz .LBB91_32
; %bb.31:
	v_div_scale_f32 v2, null, v1, v1, v0
	v_div_scale_f32 v5, vcc_lo, v0, v1, v0
	s_delay_alu instid0(VALU_DEP_2) | instskip(SKIP_1) | instid1(TRANS32_DEP_1)
	v_rcp_f32_e32 v3, v2
	v_nop
	v_fma_f32 v4, -v2, v3, 1.0
	s_delay_alu instid0(VALU_DEP_1) | instskip(NEXT) | instid1(VALU_DEP_1)
	v_fmac_f32_e32 v3, v4, v3
	v_mul_f32_e32 v4, v5, v3
	s_delay_alu instid0(VALU_DEP_1) | instskip(NEXT) | instid1(VALU_DEP_1)
	v_fma_f32 v6, -v2, v4, v5
	v_fmac_f32_e32 v4, v6, v3
	s_delay_alu instid0(VALU_DEP_1) | instskip(NEXT) | instid1(VALU_DEP_1)
	v_fma_f32 v2, -v2, v4, v5
	v_div_fmas_f32 v2, v2, v3, v4
	s_delay_alu instid0(VALU_DEP_1) | instskip(NEXT) | instid1(VALU_DEP_1)
	v_div_fixup_f32 v2, v2, v1, v0
	v_fmac_f32_e32 v1, v0, v2
	s_delay_alu instid0(VALU_DEP_1) | instskip(SKIP_1) | instid1(VALU_DEP_2)
	v_div_scale_f32 v0, null, v1, v1, 1.0
	v_div_scale_f32 v5, vcc_lo, 1.0, v1, 1.0
	v_rcp_f32_e32 v3, v0
	v_nop
	s_delay_alu instid0(TRANS32_DEP_1) | instskip(NEXT) | instid1(VALU_DEP_1)
	v_fma_f32 v4, -v0, v3, 1.0
	v_fmac_f32_e32 v3, v4, v3
	s_delay_alu instid0(VALU_DEP_1) | instskip(NEXT) | instid1(VALU_DEP_1)
	v_mul_f32_e32 v4, v5, v3
	v_fma_f32 v6, -v0, v4, v5
	s_delay_alu instid0(VALU_DEP_1) | instskip(NEXT) | instid1(VALU_DEP_1)
	v_fmac_f32_e32 v4, v6, v3
	v_fma_f32 v0, -v0, v4, v5
	s_delay_alu instid0(VALU_DEP_1) | instskip(NEXT) | instid1(VALU_DEP_1)
	v_div_fmas_f32 v0, v0, v3, v4
	v_div_fixup_f32 v0, v0, v1, 1.0
	s_delay_alu instid0(VALU_DEP_1)
	v_mul_f32_e32 v2, v2, v0
	v_xor_b32_e32 v3, 0x80000000, v0
                                        ; implicit-def: $vgpr0_vgpr1
.LBB91_32:
	s_and_not1_saveexec_b32 s1, s1
	s_cbranch_execz .LBB91_34
; %bb.33:
	v_div_scale_f32 v2, null, v0, v0, v1
	v_div_scale_f32 v5, vcc_lo, v1, v0, v1
	s_delay_alu instid0(VALU_DEP_2) | instskip(SKIP_1) | instid1(TRANS32_DEP_1)
	v_rcp_f32_e32 v3, v2
	v_nop
	v_fma_f32 v4, -v2, v3, 1.0
	s_delay_alu instid0(VALU_DEP_1) | instskip(NEXT) | instid1(VALU_DEP_1)
	v_fmac_f32_e32 v3, v4, v3
	v_mul_f32_e32 v4, v5, v3
	s_delay_alu instid0(VALU_DEP_1) | instskip(NEXT) | instid1(VALU_DEP_1)
	v_fma_f32 v6, -v2, v4, v5
	v_fmac_f32_e32 v4, v6, v3
	s_delay_alu instid0(VALU_DEP_1) | instskip(NEXT) | instid1(VALU_DEP_1)
	v_fma_f32 v2, -v2, v4, v5
	v_div_fmas_f32 v2, v2, v3, v4
	s_delay_alu instid0(VALU_DEP_1) | instskip(NEXT) | instid1(VALU_DEP_1)
	v_div_fixup_f32 v3, v2, v0, v1
	v_fmac_f32_e32 v0, v1, v3
	s_delay_alu instid0(VALU_DEP_1) | instskip(NEXT) | instid1(VALU_DEP_1)
	v_div_scale_f32 v1, null, v0, v0, 1.0
	v_rcp_f32_e32 v2, v1
	v_nop
	s_delay_alu instid0(TRANS32_DEP_1) | instskip(NEXT) | instid1(VALU_DEP_1)
	v_fma_f32 v4, -v1, v2, 1.0
	v_fmac_f32_e32 v2, v4, v2
	v_div_scale_f32 v4, vcc_lo, 1.0, v0, 1.0
	s_delay_alu instid0(VALU_DEP_1) | instskip(NEXT) | instid1(VALU_DEP_1)
	v_mul_f32_e32 v5, v4, v2
	v_fma_f32 v6, -v1, v5, v4
	s_delay_alu instid0(VALU_DEP_1) | instskip(NEXT) | instid1(VALU_DEP_1)
	v_fmac_f32_e32 v5, v6, v2
	v_fma_f32 v1, -v1, v5, v4
	s_delay_alu instid0(VALU_DEP_1) | instskip(NEXT) | instid1(VALU_DEP_1)
	v_div_fmas_f32 v1, v1, v2, v5
	v_div_fixup_f32 v2, v1, v0, 1.0
	s_delay_alu instid0(VALU_DEP_1)
	v_mul_f32_e64 v3, v3, -v2
.LBB91_34:
	s_or_b32 exec_lo, exec_lo, s1
	ds_store_b64 v35, v[2:3]
.LBB91_35:
	s_or_b32 exec_lo, exec_lo, s2
	s_wait_dscnt 0x0
	s_barrier_signal -1
	s_barrier_wait -1
	ds_load_b64 v[192:193], v35
	s_mov_b32 s1, exec_lo
	v_cmpx_lt_u32_e32 3, v34
	s_cbranch_execz .LBB91_37
; %bb.36:
	ds_load_2addr_b64 v[4:7], v26 offset0:4 offset1:5
	ds_load_2addr_b64 v[8:11], v26 offset0:6 offset1:7
	;; [unrolled: 1-line block ×3, first 2 shown]
	s_wait_dscnt 0x3
	v_pk_mul_f32 v[2:3], v[192:193], v[58:59] op_sel:[1,1] op_sel_hi:[0,1]
	ds_load_2addr_b64 v[18:21], v26 offset0:10 offset1:11
	ds_load_2addr_b64 v[194:197], v26 offset0:12 offset1:13
	v_pk_fma_f32 v[0:1], v[192:193], v[58:59], v[2:3] op_sel_hi:[1,0,1] neg_lo:[0,0,1] neg_hi:[0,0,1]
	v_pk_fma_f32 v[2:3], v[192:193], v[58:59], v[2:3] op_sel_hi:[1,0,1]
	s_delay_alu instid0(VALU_DEP_1) | instskip(SKIP_1) | instid1(VALU_DEP_2)
	v_dual_mov_b32 v58, v0 :: v_dual_mov_b32 v59, v3
	s_wait_dscnt 0x4
	v_pk_mul_f32 v[22:23], v[4:5], v[2:3] op_sel:[0,1]
	v_pk_mul_f32 v[28:29], v[6:7], v[2:3] op_sel:[0,1]
	s_wait_dscnt 0x3
	v_pk_mul_f32 v[30:31], v[8:9], v[2:3] op_sel:[0,1]
	v_dual_mov_b32 v198, v11 :: v_dual_mov_b32 v199, v10
	v_dual_mul_f32 v200, v11, v3 :: v_dual_mul_f32 v202, v11, v0
	s_wait_dscnt 0x2
	v_pk_mul_f32 v[204:205], v[12:13], v[2:3] op_sel:[0,1]
	v_pk_mul_f32 v[206:207], v[14:15], v[2:3] op_sel:[0,1]
	v_pk_fma_f32 v[210:211], v[4:5], v[0:1], v[22:23] op_sel:[0,0,1] op_sel_hi:[1,1,0] neg_lo:[0,0,1] neg_hi:[0,0,1]
	v_pk_fma_f32 v[4:5], v[4:5], v[0:1], v[22:23] op_sel:[0,0,1] op_sel_hi:[1,0,0]
	v_pk_fma_f32 v[22:23], v[6:7], v[0:1], v[28:29] op_sel:[0,0,1] op_sel_hi:[1,1,0] neg_lo:[0,0,1] neg_hi:[0,0,1]
	v_pk_fma_f32 v[6:7], v[6:7], v[0:1], v[28:29] op_sel:[0,0,1] op_sel_hi:[1,0,0]
	;; [unrolled: 2-line block ×3, first 2 shown]
	s_wait_dscnt 0x1
	v_pk_mul_f32 v[208:209], v[18:19], v[2:3] op_sel:[0,1]
	v_pk_fma_f32 v[30:31], v[198:199], v[58:59], v[202:203] op_sel_hi:[1,1,0]
	v_dual_mov_b32 v211, v5 :: v_dual_mov_b32 v23, v7
	v_mov_b32_e32 v29, v9
	v_pk_fma_f32 v[4:5], v[12:13], v[0:1], v[204:205] op_sel:[0,0,1] op_sel_hi:[1,0,0]
	v_pk_fma_f32 v[8:9], v[12:13], v[0:1], v[204:205] op_sel:[0,0,1] op_sel_hi:[1,1,0] neg_lo:[0,0,1] neg_hi:[0,0,1]
	v_pk_fma_f32 v[12:13], v[14:15], v[0:1], v[206:207] op_sel:[0,0,1] op_sel_hi:[1,0,0]
	v_pk_fma_f32 v[14:15], v[14:15], v[0:1], v[206:207] op_sel:[0,0,1] op_sel_hi:[1,1,0] neg_lo:[0,0,1] neg_hi:[0,0,1]
	v_pk_add_f32 v[54:55], v[54:55], v[22:23] neg_lo:[0,1] neg_hi:[0,1]
	v_mov_b32_e32 v9, v5
	v_pk_fma_f32 v[22:23], v[18:19], v[0:1], v[208:209] op_sel:[0,0,1] op_sel_hi:[1,0,0]
	v_mov_b32_e32 v15, v13
	v_pk_fma_f32 v[12:13], v[18:19], v[0:1], v[208:209] op_sel:[0,0,1] op_sel_hi:[1,1,0] neg_lo:[0,0,1] neg_hi:[0,0,1]
	v_pk_mul_f32 v[18:19], v[20:21], v[2:3] op_sel:[0,1]
	ds_load_2addr_b64 v[4:7], v26 offset0:14 offset1:15
	v_pk_fma_f32 v[10:11], v[10:11], v[58:59], v[200:201] op_sel_hi:[1,1,0] neg_lo:[0,0,1] neg_hi:[0,0,1]
	v_pk_add_f32 v[50:51], v[50:51], v[14:15] neg_lo:[0,1] neg_hi:[0,1]
	v_mov_b32_e32 v11, v31
	v_pk_fma_f32 v[14:15], v[20:21], v[0:1], v[18:19] op_sel:[0,0,1] op_sel_hi:[1,0,0]
	v_mov_b32_e32 v13, v23
	v_pk_fma_f32 v[18:19], v[20:21], v[0:1], v[18:19] op_sel:[0,0,1] op_sel_hi:[1,1,0] neg_lo:[0,0,1] neg_hi:[0,0,1]
	s_wait_dscnt 0x1
	v_pk_mul_f32 v[22:23], v[196:197], v[2:3] op_sel:[0,1]
	v_pk_add_f32 v[52:53], v[52:53], v[10:11] neg_lo:[0,1] neg_hi:[0,1]
	v_mov_b32_e32 v19, v15
	v_pk_add_f32 v[78:79], v[78:79], v[12:13] neg_lo:[0,1] neg_hi:[0,1]
	v_dual_mul_f32 v12, v195, v0 :: v_dual_mul_f32 v14, v195, v3
	v_pk_add_f32 v[80:81], v[80:81], v[8:9] neg_lo:[0,1] neg_hi:[0,1]
	ds_load_2addr_b64 v[8:11], v26 offset0:16 offset1:17
	v_pk_fma_f32 v[20:21], v[196:197], v[0:1], v[22:23] op_sel:[0,0,1] op_sel_hi:[1,0,0]
	v_pk_fma_f32 v[12:13], v[194:195], v[58:59], v[12:13] op_sel:[1,0,0] op_sel_hi:[0,1,0]
	v_pk_fma_f32 v[14:15], v[194:195], v[58:59], v[14:15] op_sel_hi:[1,1,0] neg_lo:[0,0,1] neg_hi:[0,0,1]
	v_pk_add_f32 v[56:57], v[56:57], v[28:29] neg_lo:[0,1] neg_hi:[0,1]
	v_pk_add_f32 v[76:77], v[76:77], v[18:19] neg_lo:[0,1] neg_hi:[0,1]
	s_wait_dscnt 0x1
	v_pk_mul_f32 v[28:29], v[4:5], v[2:3] op_sel:[0,1]
	v_mov_b32_e32 v15, v13
	v_pk_fma_f32 v[12:13], v[196:197], v[0:1], v[22:23] op_sel:[0,0,1] op_sel_hi:[1,1,0] neg_lo:[0,0,1] neg_hi:[0,0,1]
	v_mov_b32_e32 v13, v21
	v_pk_mul_f32 v[20:21], v[6:7], v[2:3] op_sel:[0,1]
	v_pk_fma_f32 v[18:19], v[4:5], v[0:1], v[28:29] op_sel:[0,0,1] op_sel_hi:[1,0,0]
	v_pk_add_f32 v[104:105], v[104:105], v[14:15] neg_lo:[0,1] neg_hi:[0,1]
	v_pk_fma_f32 v[22:23], v[4:5], v[0:1], v[28:29] op_sel:[0,0,1] op_sel_hi:[1,1,0] neg_lo:[0,0,1] neg_hi:[0,0,1]
	v_pk_add_f32 v[38:39], v[38:39], v[12:13] neg_lo:[0,1] neg_hi:[0,1]
	ds_load_2addr_b64 v[12:15], v26 offset0:18 offset1:19
	v_mov_b32_e32 v23, v19
	v_pk_fma_f32 v[18:19], v[6:7], v[0:1], v[20:21] op_sel:[0,0,1] op_sel_hi:[1,1,0] neg_lo:[0,0,1] neg_hi:[0,0,1]
	v_pk_fma_f32 v[20:21], v[6:7], v[0:1], v[20:21] op_sel:[0,0,1] op_sel_hi:[1,0,0]
	ds_load_2addr_b64 v[4:7], v26 offset0:20 offset1:21
	s_wait_dscnt 0x2
	v_pk_mul_f32 v[28:29], v[8:9], v[2:3] op_sel:[0,1]
	v_dual_mov_b32 v30, v11 :: v_dual_mov_b32 v31, v10
	v_dual_mul_f32 v20, v11, v0 :: v_dual_mov_b32 v19, v21
	v_pk_add_f32 v[40:41], v[40:41], v[22:23] neg_lo:[0,1] neg_hi:[0,1]
	s_delay_alu instid0(VALU_DEP_4) | instskip(SKIP_1) | instid1(VALU_DEP_4)
	v_pk_fma_f32 v[22:23], v[8:9], v[0:1], v[28:29] op_sel:[0,0,1] op_sel_hi:[1,0,0]
	v_mul_f32_e32 v22, v11, v3
	v_pk_fma_f32 v[20:21], v[30:31], v[58:59], v[20:21] op_sel_hi:[1,1,0]
	v_pk_add_f32 v[36:37], v[36:37], v[18:19] neg_lo:[0,1] neg_hi:[0,1]
	v_pk_fma_f32 v[18:19], v[8:9], v[0:1], v[28:29] op_sel:[0,0,1] op_sel_hi:[1,1,0] neg_lo:[0,0,1] neg_hi:[0,0,1]
	v_mov_b32_e32 v19, v23
	v_pk_fma_f32 v[22:23], v[10:11], v[58:59], v[22:23] op_sel_hi:[1,1,0] neg_lo:[0,0,1] neg_hi:[0,0,1]
	v_mov_b32_e32 v23, v21
	ds_load_2addr_b64 v[8:11], v26 offset0:22 offset1:23
	s_wait_dscnt 0x2
	v_pk_mul_f32 v[20:21], v[12:13], v[2:3] op_sel:[0,1]
	v_pk_mul_f32 v[28:29], v[14:15], v[2:3] op_sel:[0,1]
	v_pk_add_f32 v[66:67], v[66:67], v[18:19] neg_lo:[0,1] neg_hi:[0,1]
	v_pk_add_f32 v[62:63], v[62:63], v[22:23] neg_lo:[0,1] neg_hi:[0,1]
	s_wait_dscnt 0x1
	v_pk_mul_f32 v[194:195], v[4:5], v[2:3] op_sel:[0,1]
	v_pk_fma_f32 v[22:23], v[12:13], v[0:1], v[20:21] op_sel:[0,0,1] op_sel_hi:[1,0,0]
	v_pk_fma_f32 v[12:13], v[12:13], v[0:1], v[20:21] op_sel:[0,0,1] op_sel_hi:[1,1,0] neg_lo:[0,0,1] neg_hi:[0,0,1]
	v_pk_fma_f32 v[30:31], v[14:15], v[0:1], v[28:29] op_sel:[0,0,1] op_sel_hi:[1,0,0]
	ds_load_2addr_b64 v[18:21], v26 offset0:24 offset1:25
	v_pk_fma_f32 v[14:15], v[14:15], v[0:1], v[28:29] op_sel:[0,0,1] op_sel_hi:[1,1,0] neg_lo:[0,0,1] neg_hi:[0,0,1]
	v_mov_b32_e32 v13, v23
	v_pk_mul_f32 v[22:23], v[6:7], v[2:3] op_sel:[0,1]
	v_pk_fma_f32 v[28:29], v[4:5], v[0:1], v[194:195] op_sel:[0,0,1] op_sel_hi:[1,0,0]
	v_mov_b32_e32 v15, v31
	v_pk_fma_f32 v[4:5], v[4:5], v[0:1], v[194:195] op_sel:[0,0,1] op_sel_hi:[1,1,0] neg_lo:[0,0,1] neg_hi:[0,0,1]
	v_pk_add_f32 v[64:65], v[64:65], v[12:13] neg_lo:[0,1] neg_hi:[0,1]
	v_pk_fma_f32 v[12:13], v[6:7], v[0:1], v[22:23] op_sel:[0,0,1] op_sel_hi:[1,0,0]
	v_mov_b32_e32 v5, v29
	v_pk_add_f32 v[60:61], v[60:61], v[14:15] neg_lo:[0,1] neg_hi:[0,1]
	v_pk_fma_f32 v[14:15], v[6:7], v[0:1], v[22:23] op_sel:[0,0,1] op_sel_hi:[1,1,0] neg_lo:[0,0,1] neg_hi:[0,0,1]
	s_wait_dscnt 0x1
	v_dual_mul_f32 v12, v9, v0 :: v_dual_mul_f32 v22, v9, v3
	v_mov_b32_e32 v15, v13
	v_pk_add_f32 v[90:91], v[90:91], v[4:5] neg_lo:[0,1] neg_hi:[0,1]
	ds_load_2addr_b64 v[4:7], v26 offset0:26 offset1:27
	v_pk_fma_f32 v[12:13], v[8:9], v[58:59], v[12:13] op_sel:[1,0,0] op_sel_hi:[0,1,0]
	v_pk_mul_f32 v[28:29], v[10:11], v[2:3] op_sel:[0,1]
	v_pk_fma_f32 v[8:9], v[8:9], v[58:59], v[22:23] op_sel_hi:[1,1,0] neg_lo:[0,0,1] neg_hi:[0,0,1]
	s_wait_dscnt 0x1
	v_pk_mul_f32 v[30:31], v[18:19], v[2:3] op_sel:[0,1]
	v_pk_add_f32 v[86:87], v[86:87], v[14:15] neg_lo:[0,1] neg_hi:[0,1]
	v_pk_mul_f32 v[22:23], v[20:21], v[2:3] op_sel:[0,1]
	v_pk_fma_f32 v[194:195], v[10:11], v[0:1], v[28:29] op_sel:[0,0,1] op_sel_hi:[1,0,0]
	v_mov_b32_e32 v9, v13
	ds_load_2addr_b64 v[12:15], v26 offset0:28 offset1:29
	v_pk_fma_f32 v[196:197], v[18:19], v[0:1], v[30:31] op_sel:[0,0,1] op_sel_hi:[1,0,0]
	v_pk_fma_f32 v[10:11], v[10:11], v[0:1], v[28:29] op_sel:[0,0,1] op_sel_hi:[1,1,0] neg_lo:[0,0,1] neg_hi:[0,0,1]
	v_mov_b32_e32 v11, v195
	v_pk_fma_f32 v[18:19], v[18:19], v[0:1], v[30:31] op_sel:[0,0,1] op_sel_hi:[1,1,0] neg_lo:[0,0,1] neg_hi:[0,0,1]
	v_pk_fma_f32 v[28:29], v[20:21], v[0:1], v[22:23] op_sel:[0,0,1] op_sel_hi:[1,0,0]
	v_mov_b32_e32 v19, v197
	v_pk_fma_f32 v[20:21], v[20:21], v[0:1], v[22:23] op_sel:[0,0,1] op_sel_hi:[1,1,0] neg_lo:[0,0,1] neg_hi:[0,0,1]
	v_pk_add_f32 v[88:89], v[88:89], v[8:9] neg_lo:[0,1] neg_hi:[0,1]
	v_pk_add_f32 v[84:85], v[84:85], v[10:11] neg_lo:[0,1] neg_hi:[0,1]
	ds_load_2addr_b64 v[8:11], v26 offset0:30 offset1:31
	s_wait_dscnt 0x2
	v_pk_mul_f32 v[22:23], v[4:5], v[2:3] op_sel:[0,1]
	v_mov_b32_e32 v21, v29
	v_pk_add_f32 v[112:113], v[112:113], v[18:19] neg_lo:[0,1] neg_hi:[0,1]
	v_dual_mul_f32 v28, v7, v0 :: v_dual_mul_f32 v194, v7, v3
	s_delay_alu instid0(VALU_DEP_4)
	v_pk_fma_f32 v[18:19], v[4:5], v[0:1], v[22:23] op_sel:[0,0,1] op_sel_hi:[1,0,0]
	v_pk_fma_f32 v[4:5], v[4:5], v[0:1], v[22:23] op_sel:[0,0,1] op_sel_hi:[1,1,0] neg_lo:[0,0,1] neg_hi:[0,0,1]
	v_dual_mov_b32 v22, v7 :: v_dual_mov_b32 v23, v6
	v_pk_add_f32 v[108:109], v[108:109], v[20:21] neg_lo:[0,1] neg_hi:[0,1]
	s_wait_dscnt 0x1
	v_pk_mul_f32 v[30:31], v[12:13], v[2:3] op_sel:[0,1]
	v_pk_fma_f32 v[194:195], v[6:7], v[58:59], v[194:195] op_sel_hi:[1,1,0] neg_lo:[0,0,1] neg_hi:[0,0,1]
	v_pk_add_f32 v[32:33], v[32:33], v[210:211] neg_lo:[0,1] neg_hi:[0,1]
	v_pk_fma_f32 v[22:23], v[22:23], v[58:59], v[28:29] op_sel_hi:[1,1,0]
	v_mov_b32_e32 v5, v19
	ds_load_2addr_b64 v[18:21], v26 offset0:32 offset1:33
	v_pk_mul_f32 v[28:29], v[14:15], v[2:3] op_sel:[0,1]
	v_mov_b32_e32 v195, v23
	v_pk_add_f32 v[110:111], v[110:111], v[4:5] neg_lo:[0,1] neg_hi:[0,1]
	v_pk_fma_f32 v[4:5], v[12:13], v[0:1], v[30:31] op_sel:[0,0,1] op_sel_hi:[1,0,0]
	v_pk_fma_f32 v[12:13], v[12:13], v[0:1], v[30:31] op_sel:[0,0,1] op_sel_hi:[1,1,0] neg_lo:[0,0,1] neg_hi:[0,0,1]
	v_pk_fma_f32 v[6:7], v[14:15], v[0:1], v[28:29] op_sel:[0,0,1] op_sel_hi:[1,0,0]
	s_wait_dscnt 0x1
	v_pk_mul_f32 v[22:23], v[8:9], v[2:3] op_sel:[0,1]
	v_pk_fma_f32 v[14:15], v[14:15], v[0:1], v[28:29] op_sel:[0,0,1] op_sel_hi:[1,1,0] neg_lo:[0,0,1] neg_hi:[0,0,1]
	v_mov_b32_e32 v13, v5
	v_pk_mul_f32 v[28:29], v[10:11], v[2:3] op_sel:[0,1]
	v_mov_b32_e32 v15, v7
	ds_load_2addr_b64 v[4:7], v26 offset0:34 offset1:35
	v_pk_add_f32 v[106:107], v[106:107], v[194:195] neg_lo:[0,1] neg_hi:[0,1]
	v_pk_add_f32 v[128:129], v[128:129], v[12:13] neg_lo:[0,1] neg_hi:[0,1]
	v_pk_fma_f32 v[12:13], v[8:9], v[0:1], v[22:23] op_sel:[0,0,1] op_sel_hi:[1,0,0]
	v_pk_add_f32 v[124:125], v[124:125], v[14:15] neg_lo:[0,1] neg_hi:[0,1]
	v_pk_fma_f32 v[14:15], v[8:9], v[0:1], v[22:23] op_sel:[0,0,1] op_sel_hi:[1,1,0] neg_lo:[0,0,1] neg_hi:[0,0,1]
	v_pk_fma_f32 v[22:23], v[10:11], v[0:1], v[28:29] op_sel:[0,0,1] op_sel_hi:[1,0,0]
	s_wait_dscnt 0x1
	v_dual_mul_f32 v12, v19, v0 :: v_dual_mov_b32 v15, v13
	v_pk_fma_f32 v[28:29], v[10:11], v[0:1], v[28:29] op_sel:[0,0,1] op_sel_hi:[1,1,0] neg_lo:[0,0,1] neg_hi:[0,0,1]
	ds_load_2addr_b64 v[8:11], v26 offset0:36 offset1:37
	v_mov_b32_e32 v29, v23
	v_pk_fma_f32 v[12:13], v[18:19], v[58:59], v[12:13] op_sel:[1,0,0] op_sel_hi:[0,1,0]
	v_mul_f32_e32 v22, v19, v3
	v_pk_add_f32 v[126:127], v[126:127], v[14:15] neg_lo:[0,1] neg_hi:[0,1]
	s_delay_alu instid0(VALU_DEP_2)
	v_pk_fma_f32 v[18:19], v[18:19], v[58:59], v[22:23] op_sel_hi:[1,1,0] neg_lo:[0,0,1] neg_hi:[0,0,1]
	v_pk_mul_f32 v[22:23], v[20:21], v[2:3] op_sel:[0,1]
	v_mov_b32_e32 v19, v13
	ds_load_2addr_b64 v[12:15], v26 offset0:38 offset1:39
	v_pk_fma_f32 v[30:31], v[20:21], v[0:1], v[22:23] op_sel:[0,0,1] op_sel_hi:[1,0,0]
	v_pk_fma_f32 v[20:21], v[20:21], v[0:1], v[22:23] op_sel:[0,0,1] op_sel_hi:[1,1,0] neg_lo:[0,0,1] neg_hi:[0,0,1]
	v_pk_add_f32 v[144:145], v[144:145], v[18:19] neg_lo:[0,1] neg_hi:[0,1]
	s_wait_dscnt 0x2
	v_pk_mul_f32 v[18:19], v[6:7], v[2:3] op_sel:[0,1]
	v_mov_b32_e32 v21, v31
	v_pk_add_f32 v[122:123], v[122:123], v[28:29] neg_lo:[0,1] neg_hi:[0,1]
	v_pk_mul_f32 v[28:29], v[4:5], v[2:3] op_sel:[0,1]
	s_delay_alu instid0(VALU_DEP_4) | instskip(SKIP_2) | instid1(VALU_DEP_4)
	v_pk_fma_f32 v[22:23], v[6:7], v[0:1], v[18:19] op_sel:[0,0,1] op_sel_hi:[1,0,0]
	v_pk_fma_f32 v[18:19], v[6:7], v[0:1], v[18:19] op_sel:[0,0,1] op_sel_hi:[1,1,0] neg_lo:[0,0,1] neg_hi:[0,0,1]
	v_pk_add_f32 v[140:141], v[140:141], v[20:21] neg_lo:[0,1] neg_hi:[0,1]
	v_pk_fma_f32 v[194:195], v[4:5], v[0:1], v[28:29] op_sel:[0,0,1] op_sel_hi:[1,0,0]
	v_pk_fma_f32 v[4:5], v[4:5], v[0:1], v[28:29] op_sel:[0,0,1] op_sel_hi:[1,1,0] neg_lo:[0,0,1] neg_hi:[0,0,1]
	v_mov_b32_e32 v19, v23
	s_wait_dscnt 0x1
	v_pk_mul_f32 v[22:23], v[8:9], v[2:3] op_sel:[0,1]
	v_dual_mul_f32 v28, v11, v0 :: v_dual_mul_f32 v194, v11, v3
	v_mov_b32_e32 v5, v195
	v_pk_add_f32 v[138:139], v[138:139], v[18:19] neg_lo:[0,1] neg_hi:[0,1]
	s_delay_alu instid0(VALU_DEP_4)
	v_pk_fma_f32 v[18:19], v[8:9], v[0:1], v[22:23] op_sel:[0,0,1] op_sel_hi:[1,0,0]
	v_pk_fma_f32 v[8:9], v[8:9], v[0:1], v[22:23] op_sel:[0,0,1] op_sel_hi:[1,1,0] neg_lo:[0,0,1] neg_hi:[0,0,1]
	v_dual_mov_b32 v22, v11 :: v_dual_mov_b32 v23, v10
	v_pk_add_f32 v[142:143], v[142:143], v[4:5] neg_lo:[0,1] neg_hi:[0,1]
	ds_load_2addr_b64 v[4:7], v26 offset0:40 offset1:41
	s_wait_dscnt 0x1
	v_pk_mul_f32 v[30:31], v[12:13], v[2:3] op_sel:[0,1]
	v_pk_fma_f32 v[194:195], v[10:11], v[58:59], v[194:195] op_sel_hi:[1,1,0] neg_lo:[0,0,1] neg_hi:[0,0,1]
	v_pk_fma_f32 v[22:23], v[22:23], v[58:59], v[28:29] op_sel_hi:[1,1,0]
	v_mov_b32_e32 v9, v19
	ds_load_2addr_b64 v[18:21], v26 offset0:42 offset1:43
	v_pk_mul_f32 v[28:29], v[14:15], v[2:3] op_sel:[0,1]
	v_mov_b32_e32 v195, v23
	v_pk_add_f32 v[162:163], v[162:163], v[8:9] neg_lo:[0,1] neg_hi:[0,1]
	v_pk_fma_f32 v[8:9], v[12:13], v[0:1], v[30:31] op_sel:[0,0,1] op_sel_hi:[1,0,0]
	v_pk_fma_f32 v[12:13], v[12:13], v[0:1], v[30:31] op_sel:[0,0,1] op_sel_hi:[1,1,0] neg_lo:[0,0,1] neg_hi:[0,0,1]
	v_pk_fma_f32 v[22:23], v[14:15], v[0:1], v[28:29] op_sel:[0,0,1] op_sel_hi:[1,0,0]
	v_pk_add_f32 v[158:159], v[158:159], v[194:195] neg_lo:[0,1] neg_hi:[0,1]
	s_delay_alu instid0(VALU_DEP_4)
	v_mov_b32_e32 v13, v9
	ds_load_2addr_b64 v[8:11], v26 offset0:44 offset1:45
	s_wait_dscnt 0x2
	v_pk_mul_f32 v[30:31], v[4:5], v[2:3] op_sel:[0,1]
	v_pk_add_f32 v[160:161], v[160:161], v[12:13] neg_lo:[0,1] neg_hi:[0,1]
	v_pk_fma_f32 v[12:13], v[14:15], v[0:1], v[28:29] op_sel:[0,0,1] op_sel_hi:[1,1,0] neg_lo:[0,0,1] neg_hi:[0,0,1]
	s_delay_alu instid0(VALU_DEP_3)
	v_pk_fma_f32 v[14:15], v[4:5], v[0:1], v[30:31] op_sel:[0,0,1] op_sel_hi:[1,0,0]
	v_mov_b32_e32 v13, v23
	v_pk_mul_f32 v[22:23], v[6:7], v[2:3] op_sel:[0,1]
	s_wait_dscnt 0x1
	v_mul_f32_e32 v14, v19, v0
	v_pk_fma_f32 v[4:5], v[4:5], v[0:1], v[30:31] op_sel:[0,0,1] op_sel_hi:[1,1,0] neg_lo:[0,0,1] neg_hi:[0,0,1]
	v_mov_b32_e32 v5, v15
	v_pk_add_f32 v[156:157], v[156:157], v[12:13] neg_lo:[0,1] neg_hi:[0,1]
	v_pk_fma_f32 v[12:13], v[6:7], v[0:1], v[22:23] op_sel:[0,0,1] op_sel_hi:[1,0,0]
	v_mul_f32_e32 v12, v19, v3
	v_pk_fma_f32 v[14:15], v[18:19], v[58:59], v[14:15] op_sel:[1,0,0] op_sel_hi:[0,1,0]
	v_pk_add_f32 v[178:179], v[178:179], v[4:5] neg_lo:[0,1] neg_hi:[0,1]
	v_pk_fma_f32 v[4:5], v[6:7], v[0:1], v[22:23] op_sel:[0,0,1] op_sel_hi:[1,1,0] neg_lo:[0,0,1] neg_hi:[0,0,1]
	v_mov_b32_e32 v5, v13
	v_pk_fma_f32 v[6:7], v[18:19], v[58:59], v[12:13] op_sel_hi:[1,1,0] neg_lo:[0,0,1] neg_hi:[0,0,1]
	s_wait_dscnt 0x0
	v_dual_mov_b32 v7, v15 :: v_dual_mov_b32 v18, v11
	v_pk_mul_f32 v[12:13], v[20:21], v[2:3] op_sel:[0,1]
	v_pk_mul_f32 v[14:15], v[8:9], v[2:3] op_sel:[0,1]
	v_dual_mov_b32 v19, v10 :: v_dual_mul_f32 v2, v11, v0
	v_pk_add_f32 v[174:175], v[174:175], v[4:5] neg_lo:[0,1] neg_hi:[0,1]
	s_delay_alu instid0(VALU_DEP_4)
	v_pk_fma_f32 v[22:23], v[20:21], v[0:1], v[12:13] op_sel:[0,0,1] op_sel_hi:[1,0,0]
	v_pk_fma_f32 v[12:13], v[20:21], v[0:1], v[12:13] op_sel:[0,0,1] op_sel_hi:[1,1,0] neg_lo:[0,0,1] neg_hi:[0,0,1]
	v_pk_fma_f32 v[20:21], v[8:9], v[0:1], v[14:15] op_sel:[0,0,1] op_sel_hi:[1,0,0]
	v_mul_f32_e32 v20, v11, v3
	v_pk_fma_f32 v[2:3], v[18:19], v[58:59], v[2:3] op_sel_hi:[1,1,0]
	v_pk_fma_f32 v[0:1], v[8:9], v[0:1], v[14:15] op_sel:[0,0,1] op_sel_hi:[1,1,0] neg_lo:[0,0,1] neg_hi:[0,0,1]
	s_delay_alu instid0(VALU_DEP_4) | instskip(NEXT) | instid1(VALU_DEP_4)
	v_dual_mov_b32 v13, v23 :: v_dual_mov_b32 v1, v21
	v_pk_fma_f32 v[8:9], v[10:11], v[58:59], v[20:21] op_sel_hi:[1,1,0] neg_lo:[0,0,1] neg_hi:[0,0,1]
	s_delay_alu instid0(VALU_DEP_4) | instskip(SKIP_1) | instid1(VALU_DEP_4)
	v_mov_b32_e32 v9, v3
	v_pk_add_f32 v[176:177], v[176:177], v[6:7] neg_lo:[0,1] neg_hi:[0,1]
	v_pk_add_f32 v[172:173], v[172:173], v[12:13] neg_lo:[0,1] neg_hi:[0,1]
	;; [unrolled: 1-line block ×3, first 2 shown]
	s_delay_alu instid0(VALU_DEP_4)
	v_pk_add_f32 v[184:185], v[184:185], v[8:9] neg_lo:[0,1] neg_hi:[0,1]
.LBB91_37:
	s_or_b32 exec_lo, exec_lo, s1
	s_delay_alu instid0(SALU_CYCLE_1)
	s_mov_b32 s2, exec_lo
	s_wait_dscnt 0x0
	s_barrier_signal -1
	s_barrier_wait -1
	v_cmpx_eq_u32_e32 4, v34
	s_cbranch_execz .LBB91_44
; %bb.38:
	ds_store_b64 v35, v[32:33]
	ds_store_2addr_b64 v26, v[54:55], v[56:57] offset0:5 offset1:6
	ds_store_2addr_b64 v26, v[52:53], v[80:81] offset0:7 offset1:8
	;; [unrolled: 1-line block ×20, first 2 shown]
	ds_store_b64 v26, v[184:185] offset:360
	ds_load_b64 v[0:1], v35
	s_wait_dscnt 0x0
	v_cmp_neq_f32_e32 vcc_lo, 0, v0
	v_cmp_neq_f32_e64 s1, 0, v1
	s_or_b32 s1, vcc_lo, s1
	s_delay_alu instid0(SALU_CYCLE_1)
	s_and_b32 exec_lo, exec_lo, s1
	s_cbranch_execz .LBB91_44
; %bb.39:
	v_cmp_ngt_f32_e64 s1, |v0|, |v1|
                                        ; implicit-def: $vgpr2_vgpr3
	s_and_saveexec_b32 s4, s1
	s_delay_alu instid0(SALU_CYCLE_1)
	s_xor_b32 s1, exec_lo, s4
	s_cbranch_execz .LBB91_41
; %bb.40:
	v_div_scale_f32 v2, null, v1, v1, v0
	v_div_scale_f32 v5, vcc_lo, v0, v1, v0
	s_delay_alu instid0(VALU_DEP_2) | instskip(SKIP_1) | instid1(TRANS32_DEP_1)
	v_rcp_f32_e32 v3, v2
	v_nop
	v_fma_f32 v4, -v2, v3, 1.0
	s_delay_alu instid0(VALU_DEP_1) | instskip(NEXT) | instid1(VALU_DEP_1)
	v_fmac_f32_e32 v3, v4, v3
	v_mul_f32_e32 v4, v5, v3
	s_delay_alu instid0(VALU_DEP_1) | instskip(NEXT) | instid1(VALU_DEP_1)
	v_fma_f32 v6, -v2, v4, v5
	v_fmac_f32_e32 v4, v6, v3
	s_delay_alu instid0(VALU_DEP_1) | instskip(NEXT) | instid1(VALU_DEP_1)
	v_fma_f32 v2, -v2, v4, v5
	v_div_fmas_f32 v2, v2, v3, v4
	s_delay_alu instid0(VALU_DEP_1) | instskip(NEXT) | instid1(VALU_DEP_1)
	v_div_fixup_f32 v2, v2, v1, v0
	v_fmac_f32_e32 v1, v0, v2
	s_delay_alu instid0(VALU_DEP_1) | instskip(SKIP_1) | instid1(VALU_DEP_2)
	v_div_scale_f32 v0, null, v1, v1, 1.0
	v_div_scale_f32 v5, vcc_lo, 1.0, v1, 1.0
	v_rcp_f32_e32 v3, v0
	v_nop
	s_delay_alu instid0(TRANS32_DEP_1) | instskip(NEXT) | instid1(VALU_DEP_1)
	v_fma_f32 v4, -v0, v3, 1.0
	v_fmac_f32_e32 v3, v4, v3
	s_delay_alu instid0(VALU_DEP_1) | instskip(NEXT) | instid1(VALU_DEP_1)
	v_mul_f32_e32 v4, v5, v3
	v_fma_f32 v6, -v0, v4, v5
	s_delay_alu instid0(VALU_DEP_1) | instskip(NEXT) | instid1(VALU_DEP_1)
	v_fmac_f32_e32 v4, v6, v3
	v_fma_f32 v0, -v0, v4, v5
	s_delay_alu instid0(VALU_DEP_1) | instskip(NEXT) | instid1(VALU_DEP_1)
	v_div_fmas_f32 v0, v0, v3, v4
	v_div_fixup_f32 v0, v0, v1, 1.0
	s_delay_alu instid0(VALU_DEP_1)
	v_mul_f32_e32 v2, v2, v0
	v_xor_b32_e32 v3, 0x80000000, v0
                                        ; implicit-def: $vgpr0_vgpr1
.LBB91_41:
	s_and_not1_saveexec_b32 s1, s1
	s_cbranch_execz .LBB91_43
; %bb.42:
	v_div_scale_f32 v2, null, v0, v0, v1
	v_div_scale_f32 v5, vcc_lo, v1, v0, v1
	s_delay_alu instid0(VALU_DEP_2) | instskip(SKIP_1) | instid1(TRANS32_DEP_1)
	v_rcp_f32_e32 v3, v2
	v_nop
	v_fma_f32 v4, -v2, v3, 1.0
	s_delay_alu instid0(VALU_DEP_1) | instskip(NEXT) | instid1(VALU_DEP_1)
	v_fmac_f32_e32 v3, v4, v3
	v_mul_f32_e32 v4, v5, v3
	s_delay_alu instid0(VALU_DEP_1) | instskip(NEXT) | instid1(VALU_DEP_1)
	v_fma_f32 v6, -v2, v4, v5
	v_fmac_f32_e32 v4, v6, v3
	s_delay_alu instid0(VALU_DEP_1) | instskip(NEXT) | instid1(VALU_DEP_1)
	v_fma_f32 v2, -v2, v4, v5
	v_div_fmas_f32 v2, v2, v3, v4
	s_delay_alu instid0(VALU_DEP_1) | instskip(NEXT) | instid1(VALU_DEP_1)
	v_div_fixup_f32 v3, v2, v0, v1
	v_fmac_f32_e32 v0, v1, v3
	s_delay_alu instid0(VALU_DEP_1) | instskip(NEXT) | instid1(VALU_DEP_1)
	v_div_scale_f32 v1, null, v0, v0, 1.0
	v_rcp_f32_e32 v2, v1
	v_nop
	s_delay_alu instid0(TRANS32_DEP_1) | instskip(NEXT) | instid1(VALU_DEP_1)
	v_fma_f32 v4, -v1, v2, 1.0
	v_fmac_f32_e32 v2, v4, v2
	v_div_scale_f32 v4, vcc_lo, 1.0, v0, 1.0
	s_delay_alu instid0(VALU_DEP_1) | instskip(NEXT) | instid1(VALU_DEP_1)
	v_mul_f32_e32 v5, v4, v2
	v_fma_f32 v6, -v1, v5, v4
	s_delay_alu instid0(VALU_DEP_1) | instskip(NEXT) | instid1(VALU_DEP_1)
	v_fmac_f32_e32 v5, v6, v2
	v_fma_f32 v1, -v1, v5, v4
	s_delay_alu instid0(VALU_DEP_1) | instskip(NEXT) | instid1(VALU_DEP_1)
	v_div_fmas_f32 v1, v1, v2, v5
	v_div_fixup_f32 v2, v1, v0, 1.0
	s_delay_alu instid0(VALU_DEP_1)
	v_mul_f32_e64 v3, v3, -v2
.LBB91_43:
	s_or_b32 exec_lo, exec_lo, s1
	ds_store_b64 v35, v[2:3]
.LBB91_44:
	s_or_b32 exec_lo, exec_lo, s2
	s_wait_dscnt 0x0
	s_barrier_signal -1
	s_barrier_wait -1
	ds_load_b64 v[194:195], v35
	s_mov_b32 s1, exec_lo
	v_cmpx_lt_u32_e32 4, v34
	s_cbranch_execz .LBB91_46
; %bb.45:
	ds_load_2addr_b64 v[4:7], v26 offset0:5 offset1:6
	ds_load_2addr_b64 v[8:11], v26 offset0:7 offset1:8
	ds_load_2addr_b64 v[12:15], v26 offset0:9 offset1:10
	s_wait_dscnt 0x3
	v_pk_mul_f32 v[2:3], v[194:195], v[32:33] op_sel:[1,1] op_sel_hi:[0,1]
	ds_load_2addr_b64 v[18:21], v26 offset0:11 offset1:12
	ds_load_2addr_b64 v[196:199], v26 offset0:13 offset1:14
	v_pk_fma_f32 v[0:1], v[194:195], v[32:33], v[2:3] op_sel_hi:[1,0,1] neg_lo:[0,0,1] neg_hi:[0,0,1]
	v_pk_fma_f32 v[2:3], v[194:195], v[32:33], v[2:3] op_sel_hi:[1,0,1]
	s_delay_alu instid0(VALU_DEP_1) | instskip(SKIP_1) | instid1(VALU_DEP_2)
	v_dual_mov_b32 v32, v0 :: v_dual_mov_b32 v33, v3
	s_wait_dscnt 0x4
	v_pk_mul_f32 v[22:23], v[4:5], v[2:3] op_sel:[0,1]
	v_pk_mul_f32 v[28:29], v[6:7], v[2:3] op_sel:[0,1]
	s_wait_dscnt 0x3
	v_pk_mul_f32 v[30:31], v[8:9], v[2:3] op_sel:[0,1]
	s_wait_dscnt 0x2
	v_pk_mul_f32 v[206:207], v[12:13], v[2:3] op_sel:[0,1]
	v_dual_mov_b32 v200, v11 :: v_dual_mov_b32 v201, v10
	v_pk_fma_f32 v[212:213], v[4:5], v[0:1], v[22:23] op_sel:[0,0,1] op_sel_hi:[1,1,0] neg_lo:[0,0,1] neg_hi:[0,0,1]
	v_pk_fma_f32 v[4:5], v[4:5], v[0:1], v[22:23] op_sel:[0,0,1] op_sel_hi:[1,0,0]
	v_pk_fma_f32 v[22:23], v[6:7], v[0:1], v[28:29] op_sel:[0,0,1] op_sel_hi:[1,1,0] neg_lo:[0,0,1] neg_hi:[0,0,1]
	v_pk_fma_f32 v[6:7], v[6:7], v[0:1], v[28:29] op_sel:[0,0,1] op_sel_hi:[1,0,0]
	v_dual_mul_f32 v202, v11, v3 :: v_dual_mul_f32 v204, v11, v0
	v_pk_mul_f32 v[208:209], v[14:15], v[2:3] op_sel:[0,1]
	v_pk_fma_f32 v[28:29], v[8:9], v[0:1], v[30:31] op_sel:[0,0,1] op_sel_hi:[1,1,0] neg_lo:[0,0,1] neg_hi:[0,0,1]
	v_pk_fma_f32 v[8:9], v[8:9], v[0:1], v[30:31] op_sel:[0,0,1] op_sel_hi:[1,0,0]
	s_wait_dscnt 0x1
	v_pk_mul_f32 v[210:211], v[18:19], v[2:3] op_sel:[0,1]
	v_dual_mov_b32 v213, v5 :: v_dual_mov_b32 v23, v7
	v_pk_fma_f32 v[4:5], v[12:13], v[0:1], v[206:207] op_sel:[0,0,1] op_sel_hi:[1,0,0]
	v_pk_fma_f32 v[30:31], v[200:201], v[32:33], v[204:205] op_sel_hi:[1,1,0]
	v_mov_b32_e32 v29, v9
	v_pk_fma_f32 v[8:9], v[12:13], v[0:1], v[206:207] op_sel:[0,0,1] op_sel_hi:[1,1,0] neg_lo:[0,0,1] neg_hi:[0,0,1]
	v_pk_fma_f32 v[12:13], v[14:15], v[0:1], v[208:209] op_sel:[0,0,1] op_sel_hi:[1,0,0]
	v_pk_add_f32 v[56:57], v[56:57], v[22:23] neg_lo:[0,1] neg_hi:[0,1]
	v_pk_fma_f32 v[22:23], v[18:19], v[0:1], v[210:211] op_sel:[0,0,1] op_sel_hi:[1,0,0]
	v_mov_b32_e32 v9, v5
	ds_load_2addr_b64 v[4:7], v26 offset0:15 offset1:16
	v_pk_fma_f32 v[14:15], v[14:15], v[0:1], v[208:209] op_sel:[0,0,1] op_sel_hi:[1,1,0] neg_lo:[0,0,1] neg_hi:[0,0,1]
	v_mov_b32_e32 v15, v13
	v_pk_fma_f32 v[12:13], v[18:19], v[0:1], v[210:211] op_sel:[0,0,1] op_sel_hi:[1,1,0] neg_lo:[0,0,1] neg_hi:[0,0,1]
	v_mov_b32_e32 v13, v23
	v_pk_fma_f32 v[10:11], v[10:11], v[32:33], v[202:203] op_sel_hi:[1,1,0] neg_lo:[0,0,1] neg_hi:[0,0,1]
	v_pk_mul_f32 v[18:19], v[20:21], v[2:3] op_sel:[0,1]
	v_mov_b32_e32 v11, v31
	s_wait_dscnt 0x1
	v_pk_mul_f32 v[22:23], v[198:199], v[2:3] op_sel:[0,1]
	v_pk_add_f32 v[76:77], v[76:77], v[12:13] neg_lo:[0,1] neg_hi:[0,1]
	v_mul_f32_e32 v12, v197, v0
	v_pk_add_f32 v[78:79], v[78:79], v[14:15] neg_lo:[0,1] neg_hi:[0,1]
	v_pk_fma_f32 v[14:15], v[20:21], v[0:1], v[18:19] op_sel:[0,0,1] op_sel_hi:[1,0,0]
	v_pk_add_f32 v[80:81], v[80:81], v[10:11] neg_lo:[0,1] neg_hi:[0,1]
	v_pk_add_f32 v[50:51], v[50:51], v[8:9] neg_lo:[0,1] neg_hi:[0,1]
	v_mul_f32_e32 v14, v197, v3
	ds_load_2addr_b64 v[8:11], v26 offset0:17 offset1:18
	v_pk_fma_f32 v[12:13], v[196:197], v[32:33], v[12:13] op_sel:[1,0,0] op_sel_hi:[0,1,0]
	v_pk_fma_f32 v[18:19], v[20:21], v[0:1], v[18:19] op_sel:[0,0,1] op_sel_hi:[1,1,0] neg_lo:[0,0,1] neg_hi:[0,0,1]
	v_pk_fma_f32 v[20:21], v[198:199], v[0:1], v[22:23] op_sel:[0,0,1] op_sel_hi:[1,0,0]
	v_mov_b32_e32 v19, v15
	v_pk_fma_f32 v[14:15], v[196:197], v[32:33], v[14:15] op_sel_hi:[1,1,0] neg_lo:[0,0,1] neg_hi:[0,0,1]
	v_mov_b32_e32 v15, v13
	v_pk_fma_f32 v[12:13], v[198:199], v[0:1], v[22:23] op_sel:[0,0,1] op_sel_hi:[1,1,0] neg_lo:[0,0,1] neg_hi:[0,0,1]
	v_pk_add_f32 v[52:53], v[52:53], v[28:29] neg_lo:[0,1] neg_hi:[0,1]
	s_wait_dscnt 0x1
	v_pk_mul_f32 v[28:29], v[4:5], v[2:3] op_sel:[0,1]
	v_mov_b32_e32 v13, v21
	v_pk_add_f32 v[104:105], v[104:105], v[18:19] neg_lo:[0,1] neg_hi:[0,1]
	v_pk_add_f32 v[38:39], v[38:39], v[14:15] neg_lo:[0,1] neg_hi:[0,1]
	v_pk_mul_f32 v[20:21], v[6:7], v[2:3] op_sel:[0,1]
	v_pk_fma_f32 v[18:19], v[4:5], v[0:1], v[28:29] op_sel:[0,0,1] op_sel_hi:[1,0,0]
	v_pk_add_f32 v[40:41], v[40:41], v[12:13] neg_lo:[0,1] neg_hi:[0,1]
	ds_load_2addr_b64 v[12:15], v26 offset0:19 offset1:20
	v_pk_fma_f32 v[22:23], v[4:5], v[0:1], v[28:29] op_sel:[0,0,1] op_sel_hi:[1,1,0] neg_lo:[0,0,1] neg_hi:[0,0,1]
	v_pk_add_f32 v[54:55], v[54:55], v[212:213] neg_lo:[0,1] neg_hi:[0,1]
	s_wait_dscnt 0x1
	v_dual_mov_b32 v23, v19 :: v_dual_mov_b32 v30, v11
	v_pk_fma_f32 v[18:19], v[6:7], v[0:1], v[20:21] op_sel:[0,0,1] op_sel_hi:[1,1,0] neg_lo:[0,0,1] neg_hi:[0,0,1]
	v_pk_fma_f32 v[20:21], v[6:7], v[0:1], v[20:21] op_sel:[0,0,1] op_sel_hi:[1,0,0]
	ds_load_2addr_b64 v[4:7], v26 offset0:21 offset1:22
	v_pk_mul_f32 v[28:29], v[8:9], v[2:3] op_sel:[0,1]
	v_dual_mov_b32 v31, v10 :: v_dual_mul_f32 v20, v11, v0
	v_mov_b32_e32 v19, v21
	v_pk_add_f32 v[36:37], v[36:37], v[22:23] neg_lo:[0,1] neg_hi:[0,1]
	s_delay_alu instid0(VALU_DEP_4)
	v_pk_fma_f32 v[22:23], v[8:9], v[0:1], v[28:29] op_sel:[0,0,1] op_sel_hi:[1,0,0]
	v_mul_f32_e32 v22, v11, v3
	v_pk_fma_f32 v[20:21], v[30:31], v[32:33], v[20:21] op_sel_hi:[1,1,0]
	v_pk_add_f32 v[66:67], v[66:67], v[18:19] neg_lo:[0,1] neg_hi:[0,1]
	v_pk_fma_f32 v[18:19], v[8:9], v[0:1], v[28:29] op_sel:[0,0,1] op_sel_hi:[1,1,0] neg_lo:[0,0,1] neg_hi:[0,0,1]
	v_mov_b32_e32 v19, v23
	v_pk_fma_f32 v[22:23], v[10:11], v[32:33], v[22:23] op_sel_hi:[1,1,0] neg_lo:[0,0,1] neg_hi:[0,0,1]
	v_mov_b32_e32 v23, v21
	s_wait_dscnt 0x1
	v_pk_mul_f32 v[28:29], v[12:13], v[2:3] op_sel:[0,1]
	v_pk_mul_f32 v[30:31], v[14:15], v[2:3] op_sel:[0,1]
	ds_load_2addr_b64 v[8:11], v26 offset0:23 offset1:24
	v_pk_add_f32 v[62:63], v[62:63], v[18:19] neg_lo:[0,1] neg_hi:[0,1]
	v_pk_add_f32 v[64:65], v[64:65], v[22:23] neg_lo:[0,1] neg_hi:[0,1]
	v_pk_fma_f32 v[22:23], v[12:13], v[0:1], v[28:29] op_sel:[0,0,1] op_sel_hi:[1,0,0]
	s_wait_dscnt 0x1
	v_pk_mul_f32 v[196:197], v[4:5], v[2:3] op_sel:[0,1]
	v_pk_fma_f32 v[198:199], v[14:15], v[0:1], v[30:31] op_sel:[0,0,1] op_sel_hi:[1,0,0]
	ds_load_2addr_b64 v[18:21], v26 offset0:25 offset1:26
	v_pk_fma_f32 v[12:13], v[12:13], v[0:1], v[28:29] op_sel:[0,0,1] op_sel_hi:[1,1,0] neg_lo:[0,0,1] neg_hi:[0,0,1]
	v_pk_fma_f32 v[14:15], v[14:15], v[0:1], v[30:31] op_sel:[0,0,1] op_sel_hi:[1,1,0] neg_lo:[0,0,1] neg_hi:[0,0,1]
	v_dual_mov_b32 v13, v23 :: v_dual_mov_b32 v15, v199
	v_pk_fma_f32 v[22:23], v[4:5], v[0:1], v[196:197] op_sel:[0,0,1] op_sel_hi:[1,0,0]
	v_pk_mul_f32 v[28:29], v[6:7], v[2:3] op_sel:[0,1]
	v_pk_fma_f32 v[4:5], v[4:5], v[0:1], v[196:197] op_sel:[0,0,1] op_sel_hi:[1,1,0] neg_lo:[0,0,1] neg_hi:[0,0,1]
	s_delay_alu instid0(VALU_DEP_4)
	v_pk_add_f32 v[60:61], v[60:61], v[12:13] neg_lo:[0,1] neg_hi:[0,1]
	v_pk_add_f32 v[90:91], v[90:91], v[14:15] neg_lo:[0,1] neg_hi:[0,1]
	v_mov_b32_e32 v5, v23
	v_pk_fma_f32 v[22:23], v[6:7], v[0:1], v[28:29] op_sel:[0,0,1] op_sel_hi:[1,0,0]
	ds_load_2addr_b64 v[12:15], v26 offset0:27 offset1:28
	v_pk_fma_f32 v[6:7], v[6:7], v[0:1], v[28:29] op_sel:[0,0,1] op_sel_hi:[1,1,0] neg_lo:[0,0,1] neg_hi:[0,0,1]
	s_wait_dscnt 0x2
	v_mul_f32_e32 v22, v9, v3
	v_pk_add_f32 v[86:87], v[86:87], v[4:5] neg_lo:[0,1] neg_hi:[0,1]
	v_dual_mul_f32 v4, v9, v0 :: v_dual_mov_b32 v7, v23
	v_pk_mul_f32 v[28:29], v[10:11], v[2:3] op_sel:[0,1]
	s_wait_dscnt 0x1
	v_pk_mul_f32 v[30:31], v[18:19], v[2:3] op_sel:[0,1]
	s_delay_alu instid0(VALU_DEP_3)
	v_pk_fma_f32 v[4:5], v[8:9], v[32:33], v[4:5] op_sel:[1,0,0] op_sel_hi:[0,1,0]
	v_pk_fma_f32 v[8:9], v[8:9], v[32:33], v[22:23] op_sel_hi:[1,1,0] neg_lo:[0,0,1] neg_hi:[0,0,1]
	v_pk_fma_f32 v[22:23], v[10:11], v[0:1], v[28:29] op_sel:[0,0,1] op_sel_hi:[1,0,0]
	v_pk_fma_f32 v[10:11], v[10:11], v[0:1], v[28:29] op_sel:[0,0,1] op_sel_hi:[1,1,0] neg_lo:[0,0,1] neg_hi:[0,0,1]
	v_pk_fma_f32 v[196:197], v[18:19], v[0:1], v[30:31] op_sel:[0,0,1] op_sel_hi:[1,0,0]
	v_mov_b32_e32 v9, v5
	v_pk_add_f32 v[88:89], v[88:89], v[6:7] neg_lo:[0,1] neg_hi:[0,1]
	v_mov_b32_e32 v11, v23
	v_pk_mul_f32 v[22:23], v[20:21], v[2:3] op_sel:[0,1]
	ds_load_2addr_b64 v[4:7], v26 offset0:29 offset1:30
	v_pk_fma_f32 v[18:19], v[18:19], v[0:1], v[30:31] op_sel:[0,0,1] op_sel_hi:[1,1,0] neg_lo:[0,0,1] neg_hi:[0,0,1]
	s_wait_dscnt 0x1
	v_pk_mul_f32 v[28:29], v[12:13], v[2:3] op_sel:[0,1]
	v_pk_add_f32 v[84:85], v[84:85], v[8:9] neg_lo:[0,1] neg_hi:[0,1]
	v_pk_fma_f32 v[30:31], v[20:21], v[0:1], v[22:23] op_sel:[0,0,1] op_sel_hi:[1,0,0]
	v_mov_b32_e32 v19, v197
	v_pk_add_f32 v[112:113], v[112:113], v[10:11] neg_lo:[0,1] neg_hi:[0,1]
	ds_load_2addr_b64 v[8:11], v26 offset0:31 offset1:32
	v_pk_fma_f32 v[20:21], v[20:21], v[0:1], v[22:23] op_sel:[0,0,1] op_sel_hi:[1,1,0] neg_lo:[0,0,1] neg_hi:[0,0,1]
	v_mov_b32_e32 v21, v31
	v_pk_add_f32 v[108:109], v[108:109], v[18:19] neg_lo:[0,1] neg_hi:[0,1]
	v_pk_fma_f32 v[18:19], v[12:13], v[0:1], v[28:29] op_sel:[0,0,1] op_sel_hi:[1,0,0]
	v_pk_fma_f32 v[12:13], v[12:13], v[0:1], v[28:29] op_sel:[0,0,1] op_sel_hi:[1,1,0] neg_lo:[0,0,1] neg_hi:[0,0,1]
	v_dual_mov_b32 v18, v15 :: v_dual_mul_f32 v22, v15, v0
	v_pk_add_f32 v[110:111], v[110:111], v[20:21] neg_lo:[0,1] neg_hi:[0,1]
	s_delay_alu instid0(VALU_DEP_4) | instskip(SKIP_2) | instid1(VALU_DEP_2)
	v_dual_mov_b32 v13, v19 :: v_dual_mov_b32 v19, v14
	s_wait_dscnt 0x1
	v_pk_mul_f32 v[28:29], v[4:5], v[2:3] op_sel:[0,1]
	v_pk_add_f32 v[106:107], v[106:107], v[12:13] neg_lo:[0,1] neg_hi:[0,1]
	v_mul_f32_e32 v12, v15, v3
	v_pk_fma_f32 v[22:23], v[18:19], v[32:33], v[22:23] op_sel_hi:[1,1,0]
	v_pk_mul_f32 v[196:197], v[6:7], v[2:3] op_sel:[0,1]
	ds_load_2addr_b64 v[18:21], v26 offset0:33 offset1:34
	v_pk_fma_f32 v[30:31], v[4:5], v[0:1], v[28:29] op_sel:[0,0,1] op_sel_hi:[1,0,0]
	v_pk_fma_f32 v[198:199], v[14:15], v[32:33], v[12:13] op_sel_hi:[1,1,0] neg_lo:[0,0,1] neg_hi:[0,0,1]
	v_mov_b32_e32 v199, v23
	v_pk_fma_f32 v[4:5], v[4:5], v[0:1], v[28:29] op_sel:[0,0,1] op_sel_hi:[1,1,0] neg_lo:[0,0,1] neg_hi:[0,0,1]
	v_pk_fma_f32 v[22:23], v[6:7], v[0:1], v[196:197] op_sel:[0,0,1] op_sel_hi:[1,0,0]
	s_wait_dscnt 0x1
	v_pk_mul_f32 v[28:29], v[8:9], v[2:3] op_sel:[0,1]
	ds_load_2addr_b64 v[12:15], v26 offset0:35 offset1:36
	v_pk_fma_f32 v[6:7], v[6:7], v[0:1], v[196:197] op_sel:[0,0,1] op_sel_hi:[1,1,0] neg_lo:[0,0,1] neg_hi:[0,0,1]
	v_mov_b32_e32 v5, v31
	v_pk_add_f32 v[128:129], v[128:129], v[198:199] neg_lo:[0,1] neg_hi:[0,1]
	v_pk_fma_f32 v[30:31], v[8:9], v[0:1], v[28:29] op_sel:[0,0,1] op_sel_hi:[1,0,0]
	v_mov_b32_e32 v7, v23
	v_pk_mul_f32 v[22:23], v[10:11], v[2:3] op_sel:[0,1]
	v_pk_fma_f32 v[8:9], v[8:9], v[0:1], v[28:29] op_sel:[0,0,1] op_sel_hi:[1,1,0] neg_lo:[0,0,1] neg_hi:[0,0,1]
	v_pk_add_f32 v[124:125], v[124:125], v[4:5] neg_lo:[0,1] neg_hi:[0,1]
	v_mov_b32_e32 v9, v31
	v_pk_add_f32 v[126:127], v[126:127], v[6:7] neg_lo:[0,1] neg_hi:[0,1]
	v_pk_fma_f32 v[28:29], v[10:11], v[0:1], v[22:23] op_sel:[0,0,1] op_sel_hi:[1,0,0]
	ds_load_2addr_b64 v[4:7], v26 offset0:37 offset1:38
	v_pk_fma_f32 v[10:11], v[10:11], v[0:1], v[22:23] op_sel:[0,0,1] op_sel_hi:[1,1,0] neg_lo:[0,0,1] neg_hi:[0,0,1]
	s_wait_dscnt 0x2
	v_dual_mul_f32 v22, v19, v0 :: v_dual_mul_f32 v28, v19, v3
	v_mov_b32_e32 v11, v29
	v_pk_add_f32 v[122:123], v[122:123], v[8:9] neg_lo:[0,1] neg_hi:[0,1]
	v_pk_mul_f32 v[8:9], v[20:21], v[2:3] op_sel:[0,1]
	s_delay_alu instid0(VALU_DEP_4)
	v_pk_fma_f32 v[22:23], v[18:19], v[32:33], v[22:23] op_sel:[1,0,0] op_sel_hi:[0,1,0]
	v_pk_fma_f32 v[18:19], v[18:19], v[32:33], v[28:29] op_sel_hi:[1,1,0] neg_lo:[0,0,1] neg_hi:[0,0,1]
	v_pk_add_f32 v[144:145], v[144:145], v[10:11] neg_lo:[0,1] neg_hi:[0,1]
	s_wait_dscnt 0x1
	v_pk_mul_f32 v[10:11], v[12:13], v[2:3] op_sel:[0,1]
	v_pk_fma_f32 v[30:31], v[20:21], v[0:1], v[8:9] op_sel:[0,0,1] op_sel_hi:[1,0,0]
	v_mov_b32_e32 v19, v23
	v_pk_mul_f32 v[28:29], v[14:15], v[2:3] op_sel:[0,1]
	v_pk_fma_f32 v[20:21], v[20:21], v[0:1], v[8:9] op_sel:[0,0,1] op_sel_hi:[1,1,0] neg_lo:[0,0,1] neg_hi:[0,0,1]
	v_pk_fma_f32 v[22:23], v[12:13], v[0:1], v[10:11] op_sel:[0,0,1] op_sel_hi:[1,0,0]
	v_pk_fma_f32 v[12:13], v[12:13], v[0:1], v[10:11] op_sel:[0,0,1] op_sel_hi:[1,1,0] neg_lo:[0,0,1] neg_hi:[0,0,1]
	ds_load_2addr_b64 v[8:11], v26 offset0:39 offset1:40
	v_mov_b32_e32 v21, v31
	v_pk_add_f32 v[140:141], v[140:141], v[18:19] neg_lo:[0,1] neg_hi:[0,1]
	v_pk_fma_f32 v[18:19], v[14:15], v[0:1], v[28:29] op_sel:[0,0,1] op_sel_hi:[1,0,0]
	v_mov_b32_e32 v13, v23
	s_wait_dscnt 0x1
	v_pk_mul_f32 v[22:23], v[4:5], v[2:3] op_sel:[0,1]
	v_pk_fma_f32 v[28:29], v[14:15], v[0:1], v[28:29] op_sel:[0,0,1] op_sel_hi:[1,1,0] neg_lo:[0,0,1] neg_hi:[0,0,1]
	v_pk_add_f32 v[142:143], v[142:143], v[20:21] neg_lo:[0,1] neg_hi:[0,1]
	v_mov_b32_e32 v29, v19
	v_pk_add_f32 v[138:139], v[138:139], v[12:13] neg_lo:[0,1] neg_hi:[0,1]
	v_pk_fma_f32 v[20:21], v[4:5], v[0:1], v[22:23] op_sel:[0,0,1] op_sel_hi:[1,0,0]
	ds_load_2addr_b64 v[12:15], v26 offset0:41 offset1:42
	v_pk_fma_f32 v[4:5], v[4:5], v[0:1], v[22:23] op_sel:[0,0,1] op_sel_hi:[1,1,0] neg_lo:[0,0,1] neg_hi:[0,0,1]
	v_dual_mov_b32 v18, v7 :: v_dual_mov_b32 v19, v6
	v_dual_mul_f32 v20, v7, v0 :: v_dual_mov_b32 v5, v21
	v_pk_add_f32 v[162:163], v[162:163], v[28:29] neg_lo:[0,1] neg_hi:[0,1]
	ds_load_b64 v[196:197], v26 offset:360
	v_pk_fma_f32 v[28:29], v[18:19], v[32:33], v[20:21] op_sel_hi:[1,1,0]
	ds_load_2addr_b64 v[18:21], v26 offset0:43 offset1:44
	v_pk_add_f32 v[158:159], v[158:159], v[4:5] neg_lo:[0,1] neg_hi:[0,1]
	v_mul_f32_e32 v4, v7, v3
	s_wait_dscnt 0x3
	v_pk_mul_f32 v[22:23], v[8:9], v[2:3] op_sel:[0,1]
	v_pk_mul_f32 v[30:31], v[10:11], v[2:3] op_sel:[0,1]
	s_delay_alu instid0(VALU_DEP_3) | instskip(NEXT) | instid1(VALU_DEP_3)
	v_pk_fma_f32 v[4:5], v[6:7], v[32:33], v[4:5] op_sel_hi:[1,1,0] neg_lo:[0,0,1] neg_hi:[0,0,1]
	v_pk_fma_f32 v[6:7], v[8:9], v[0:1], v[22:23] op_sel:[0,0,1] op_sel_hi:[1,0,0]
	v_mov_b32_e32 v5, v29
	s_delay_alu instid0(VALU_DEP_4)
	v_pk_fma_f32 v[28:29], v[10:11], v[0:1], v[30:31] op_sel:[0,0,1] op_sel_hi:[1,0,0]
	v_pk_fma_f32 v[8:9], v[8:9], v[0:1], v[22:23] op_sel:[0,0,1] op_sel_hi:[1,1,0] neg_lo:[0,0,1] neg_hi:[0,0,1]
	s_wait_dscnt 0x2
	v_pk_mul_f32 v[22:23], v[12:13], v[2:3] op_sel:[0,1]
	v_mov_b32_e32 v9, v7
	v_pk_fma_f32 v[6:7], v[10:11], v[0:1], v[30:31] op_sel:[0,0,1] op_sel_hi:[1,1,0] neg_lo:[0,0,1] neg_hi:[0,0,1]
	v_mov_b32_e32 v7, v29
	v_pk_add_f32 v[160:161], v[160:161], v[4:5] neg_lo:[0,1] neg_hi:[0,1]
	v_pk_fma_f32 v[4:5], v[12:13], v[0:1], v[22:23] op_sel:[0,0,1] op_sel_hi:[1,0,0]
	v_pk_mul_f32 v[10:11], v[14:15], v[2:3] op_sel:[0,1]
	v_pk_add_f32 v[156:157], v[156:157], v[8:9] neg_lo:[0,1] neg_hi:[0,1]
	v_pk_add_f32 v[178:179], v[178:179], v[6:7] neg_lo:[0,1] neg_hi:[0,1]
	v_pk_fma_f32 v[6:7], v[12:13], v[0:1], v[22:23] op_sel:[0,0,1] op_sel_hi:[1,1,0] neg_lo:[0,0,1] neg_hi:[0,0,1]
	s_wait_dscnt 0x0
	v_dual_mov_b32 v7, v5 :: v_dual_mul_f32 v8, v19, v0
	v_pk_fma_f32 v[4:5], v[14:15], v[0:1], v[10:11] op_sel:[0,0,1] op_sel_hi:[1,1,0] neg_lo:[0,0,1] neg_hi:[0,0,1]
	v_pk_fma_f32 v[10:11], v[14:15], v[0:1], v[10:11] op_sel:[0,0,1] op_sel_hi:[1,0,0]
	v_pk_mul_f32 v[12:13], v[20:21], v[2:3] op_sel:[0,1]
	s_delay_alu instid0(VALU_DEP_4)
	v_pk_add_f32 v[174:175], v[174:175], v[6:7] neg_lo:[0,1] neg_hi:[0,1]
	v_pk_fma_f32 v[8:9], v[18:19], v[32:33], v[8:9] op_sel:[1,0,0] op_sel_hi:[0,1,0]
	v_mul_f32_e32 v10, v19, v3
	v_pk_mul_f32 v[2:3], v[196:197], v[2:3] op_sel:[0,1]
	v_pk_fma_f32 v[14:15], v[20:21], v[0:1], v[12:13] op_sel:[0,0,1] op_sel_hi:[1,0,0]
	v_mov_b32_e32 v5, v11
	s_delay_alu instid0(VALU_DEP_4) | instskip(NEXT) | instid1(VALU_DEP_4)
	v_pk_fma_f32 v[10:11], v[18:19], v[32:33], v[10:11] op_sel_hi:[1,1,0] neg_lo:[0,0,1] neg_hi:[0,0,1]
	v_pk_fma_f32 v[18:19], v[196:197], v[0:1], v[2:3] op_sel:[0,0,1] op_sel_hi:[1,0,0]
	v_mov_b32_e32 v11, v9
	v_pk_fma_f32 v[8:9], v[20:21], v[0:1], v[12:13] op_sel:[0,0,1] op_sel_hi:[1,1,0] neg_lo:[0,0,1] neg_hi:[0,0,1]
	v_pk_fma_f32 v[0:1], v[196:197], v[0:1], v[2:3] op_sel:[0,0,1] op_sel_hi:[1,1,0] neg_lo:[0,0,1] neg_hi:[0,0,1]
	s_delay_alu instid0(VALU_DEP_4) | instskip(SKIP_2) | instid1(VALU_DEP_3)
	v_dual_mov_b32 v9, v15 :: v_dual_mov_b32 v1, v19
	v_pk_add_f32 v[176:177], v[176:177], v[4:5] neg_lo:[0,1] neg_hi:[0,1]
	v_pk_add_f32 v[172:173], v[172:173], v[10:11] neg_lo:[0,1] neg_hi:[0,1]
	;; [unrolled: 1-line block ×3, first 2 shown]
	s_delay_alu instid0(VALU_DEP_4)
	v_pk_add_f32 v[184:185], v[184:185], v[0:1] neg_lo:[0,1] neg_hi:[0,1]
.LBB91_46:
	s_or_b32 exec_lo, exec_lo, s1
	s_delay_alu instid0(SALU_CYCLE_1)
	s_mov_b32 s2, exec_lo
	s_wait_dscnt 0x0
	s_barrier_signal -1
	s_barrier_wait -1
	v_cmpx_eq_u32_e32 5, v34
	s_cbranch_execz .LBB91_53
; %bb.47:
	v_dual_mov_b32 v0, v56 :: v_dual_mov_b32 v1, v57
	v_dual_mov_b32 v2, v52 :: v_dual_mov_b32 v3, v53
	;; [unrolled: 1-line block ×4, first 2 shown]
	ds_store_b64 v35, v[54:55]
	ds_store_2addr_b64 v26, v[0:1], v[2:3] offset0:6 offset1:7
	ds_store_2addr_b64 v26, v[4:5], v[6:7] offset0:8 offset1:9
	v_dual_mov_b32 v0, v78 :: v_dual_mov_b32 v1, v79
	v_dual_mov_b32 v2, v76 :: v_dual_mov_b32 v3, v77
	v_dual_mov_b32 v4, v104 :: v_dual_mov_b32 v5, v105
	v_dual_mov_b32 v6, v38 :: v_dual_mov_b32 v7, v39
	v_dual_mov_b32 v8, v40 :: v_dual_mov_b32 v9, v41
	v_dual_mov_b32 v10, v36 :: v_dual_mov_b32 v11, v37
	v_dual_mov_b32 v12, v66 :: v_dual_mov_b32 v13, v67
	v_dual_mov_b32 v14, v62 :: v_dual_mov_b32 v15, v63
	v_dual_mov_b32 v18, v64 :: v_dual_mov_b32 v19, v65
	v_dual_mov_b32 v20, v60 :: v_dual_mov_b32 v21, v61
	v_dual_mov_b32 v22, v90 :: v_dual_mov_b32 v23, v91
	v_dual_mov_b32 v28, v86 :: v_dual_mov_b32 v29, v87
	ds_store_2addr_b64 v26, v[0:1], v[2:3] offset0:10 offset1:11
	ds_store_2addr_b64 v26, v[4:5], v[6:7] offset0:12 offset1:13
	;; [unrolled: 1-line block ×6, first 2 shown]
	v_dual_mov_b32 v0, v88 :: v_dual_mov_b32 v1, v89
	v_dual_mov_b32 v2, v84 :: v_dual_mov_b32 v3, v85
	;; [unrolled: 1-line block ×12, first 2 shown]
	ds_store_2addr_b64 v26, v[0:1], v[2:3] offset0:22 offset1:23
	ds_store_2addr_b64 v26, v[4:5], v[6:7] offset0:24 offset1:25
	;; [unrolled: 1-line block ×6, first 2 shown]
	v_dual_mov_b32 v0, v142 :: v_dual_mov_b32 v1, v143
	v_dual_mov_b32 v2, v138 :: v_dual_mov_b32 v3, v139
	;; [unrolled: 1-line block ×11, first 2 shown]
	ds_store_2addr_b64 v26, v[0:1], v[2:3] offset0:34 offset1:35
	ds_store_2addr_b64 v26, v[4:5], v[6:7] offset0:36 offset1:37
	;; [unrolled: 1-line block ×6, first 2 shown]
	ds_load_b64 v[0:1], v35
	s_wait_dscnt 0x0
	v_cmp_neq_f32_e32 vcc_lo, 0, v0
	v_cmp_neq_f32_e64 s1, 0, v1
	s_or_b32 s1, vcc_lo, s1
	s_delay_alu instid0(SALU_CYCLE_1)
	s_and_b32 exec_lo, exec_lo, s1
	s_cbranch_execz .LBB91_53
; %bb.48:
	v_cmp_ngt_f32_e64 s1, |v0|, |v1|
                                        ; implicit-def: $vgpr2_vgpr3
	s_and_saveexec_b32 s4, s1
	s_delay_alu instid0(SALU_CYCLE_1)
	s_xor_b32 s1, exec_lo, s4
	s_cbranch_execz .LBB91_50
; %bb.49:
	v_div_scale_f32 v2, null, v1, v1, v0
	v_div_scale_f32 v5, vcc_lo, v0, v1, v0
	s_delay_alu instid0(VALU_DEP_2) | instskip(SKIP_1) | instid1(TRANS32_DEP_1)
	v_rcp_f32_e32 v3, v2
	v_nop
	v_fma_f32 v4, -v2, v3, 1.0
	s_delay_alu instid0(VALU_DEP_1) | instskip(NEXT) | instid1(VALU_DEP_1)
	v_fmac_f32_e32 v3, v4, v3
	v_mul_f32_e32 v4, v5, v3
	s_delay_alu instid0(VALU_DEP_1) | instskip(NEXT) | instid1(VALU_DEP_1)
	v_fma_f32 v6, -v2, v4, v5
	v_fmac_f32_e32 v4, v6, v3
	s_delay_alu instid0(VALU_DEP_1) | instskip(NEXT) | instid1(VALU_DEP_1)
	v_fma_f32 v2, -v2, v4, v5
	v_div_fmas_f32 v2, v2, v3, v4
	s_delay_alu instid0(VALU_DEP_1) | instskip(NEXT) | instid1(VALU_DEP_1)
	v_div_fixup_f32 v2, v2, v1, v0
	v_fmac_f32_e32 v1, v0, v2
	s_delay_alu instid0(VALU_DEP_1) | instskip(SKIP_1) | instid1(VALU_DEP_2)
	v_div_scale_f32 v0, null, v1, v1, 1.0
	v_div_scale_f32 v5, vcc_lo, 1.0, v1, 1.0
	v_rcp_f32_e32 v3, v0
	v_nop
	s_delay_alu instid0(TRANS32_DEP_1) | instskip(NEXT) | instid1(VALU_DEP_1)
	v_fma_f32 v4, -v0, v3, 1.0
	v_fmac_f32_e32 v3, v4, v3
	s_delay_alu instid0(VALU_DEP_1) | instskip(NEXT) | instid1(VALU_DEP_1)
	v_mul_f32_e32 v4, v5, v3
	v_fma_f32 v6, -v0, v4, v5
	s_delay_alu instid0(VALU_DEP_1) | instskip(NEXT) | instid1(VALU_DEP_1)
	v_fmac_f32_e32 v4, v6, v3
	v_fma_f32 v0, -v0, v4, v5
	s_delay_alu instid0(VALU_DEP_1) | instskip(NEXT) | instid1(VALU_DEP_1)
	v_div_fmas_f32 v0, v0, v3, v4
	v_div_fixup_f32 v0, v0, v1, 1.0
	s_delay_alu instid0(VALU_DEP_1)
	v_mul_f32_e32 v2, v2, v0
	v_xor_b32_e32 v3, 0x80000000, v0
                                        ; implicit-def: $vgpr0_vgpr1
.LBB91_50:
	s_and_not1_saveexec_b32 s1, s1
	s_cbranch_execz .LBB91_52
; %bb.51:
	v_div_scale_f32 v2, null, v0, v0, v1
	v_div_scale_f32 v5, vcc_lo, v1, v0, v1
	s_delay_alu instid0(VALU_DEP_2) | instskip(SKIP_1) | instid1(TRANS32_DEP_1)
	v_rcp_f32_e32 v3, v2
	v_nop
	v_fma_f32 v4, -v2, v3, 1.0
	s_delay_alu instid0(VALU_DEP_1) | instskip(NEXT) | instid1(VALU_DEP_1)
	v_fmac_f32_e32 v3, v4, v3
	v_mul_f32_e32 v4, v5, v3
	s_delay_alu instid0(VALU_DEP_1) | instskip(NEXT) | instid1(VALU_DEP_1)
	v_fma_f32 v6, -v2, v4, v5
	v_fmac_f32_e32 v4, v6, v3
	s_delay_alu instid0(VALU_DEP_1) | instskip(NEXT) | instid1(VALU_DEP_1)
	v_fma_f32 v2, -v2, v4, v5
	v_div_fmas_f32 v2, v2, v3, v4
	s_delay_alu instid0(VALU_DEP_1) | instskip(NEXT) | instid1(VALU_DEP_1)
	v_div_fixup_f32 v3, v2, v0, v1
	v_fmac_f32_e32 v0, v1, v3
	s_delay_alu instid0(VALU_DEP_1) | instskip(NEXT) | instid1(VALU_DEP_1)
	v_div_scale_f32 v1, null, v0, v0, 1.0
	v_rcp_f32_e32 v2, v1
	v_nop
	s_delay_alu instid0(TRANS32_DEP_1) | instskip(NEXT) | instid1(VALU_DEP_1)
	v_fma_f32 v4, -v1, v2, 1.0
	v_fmac_f32_e32 v2, v4, v2
	v_div_scale_f32 v4, vcc_lo, 1.0, v0, 1.0
	s_delay_alu instid0(VALU_DEP_1) | instskip(NEXT) | instid1(VALU_DEP_1)
	v_mul_f32_e32 v5, v4, v2
	v_fma_f32 v6, -v1, v5, v4
	s_delay_alu instid0(VALU_DEP_1) | instskip(NEXT) | instid1(VALU_DEP_1)
	v_fmac_f32_e32 v5, v6, v2
	v_fma_f32 v1, -v1, v5, v4
	s_delay_alu instid0(VALU_DEP_1) | instskip(NEXT) | instid1(VALU_DEP_1)
	v_div_fmas_f32 v1, v1, v2, v5
	v_div_fixup_f32 v2, v1, v0, 1.0
	s_delay_alu instid0(VALU_DEP_1)
	v_mul_f32_e64 v3, v3, -v2
.LBB91_52:
	s_or_b32 exec_lo, exec_lo, s1
	ds_store_b64 v35, v[2:3]
.LBB91_53:
	s_or_b32 exec_lo, exec_lo, s2
	s_wait_dscnt 0x0
	s_barrier_signal -1
	s_barrier_wait -1
	ds_load_b64 v[196:197], v35
	s_mov_b32 s1, exec_lo
	v_cmpx_lt_u32_e32 5, v34
	s_cbranch_execz .LBB91_55
; %bb.54:
	ds_load_2addr_b64 v[4:7], v26 offset0:6 offset1:7
	ds_load_2addr_b64 v[8:11], v26 offset0:8 offset1:9
	;; [unrolled: 1-line block ×3, first 2 shown]
	s_wait_dscnt 0x3
	v_pk_mul_f32 v[2:3], v[196:197], v[54:55] op_sel:[1,1] op_sel_hi:[0,1]
	ds_load_2addr_b64 v[18:21], v26 offset0:12 offset1:13
	ds_load_2addr_b64 v[198:201], v26 offset0:14 offset1:15
	v_pk_fma_f32 v[0:1], v[196:197], v[54:55], v[2:3] op_sel_hi:[1,0,1] neg_lo:[0,0,1] neg_hi:[0,0,1]
	v_pk_fma_f32 v[2:3], v[196:197], v[54:55], v[2:3] op_sel_hi:[1,0,1]
	s_delay_alu instid0(VALU_DEP_1) | instskip(SKIP_1) | instid1(VALU_DEP_2)
	v_dual_mov_b32 v54, v0 :: v_dual_mov_b32 v55, v3
	s_wait_dscnt 0x4
	v_pk_mul_f32 v[22:23], v[4:5], v[2:3] op_sel:[0,1]
	v_pk_mul_f32 v[28:29], v[6:7], v[2:3] op_sel:[0,1]
	s_wait_dscnt 0x3
	v_pk_mul_f32 v[30:31], v[8:9], v[2:3] op_sel:[0,1]
	v_dual_mov_b32 v202, v11 :: v_dual_mov_b32 v203, v10
	v_dual_mul_f32 v204, v11, v3 :: v_dual_mul_f32 v206, v11, v0
	s_wait_dscnt 0x2
	v_pk_mul_f32 v[208:209], v[12:13], v[2:3] op_sel:[0,1]
	v_pk_mul_f32 v[210:211], v[14:15], v[2:3] op_sel:[0,1]
	v_pk_fma_f32 v[212:213], v[4:5], v[0:1], v[22:23] op_sel:[0,0,1] op_sel_hi:[1,1,0] neg_lo:[0,0,1] neg_hi:[0,0,1]
	v_pk_fma_f32 v[4:5], v[4:5], v[0:1], v[22:23] op_sel:[0,0,1] op_sel_hi:[1,0,0]
	v_pk_fma_f32 v[22:23], v[6:7], v[0:1], v[28:29] op_sel:[0,0,1] op_sel_hi:[1,1,0] neg_lo:[0,0,1] neg_hi:[0,0,1]
	v_pk_fma_f32 v[6:7], v[6:7], v[0:1], v[28:29] op_sel:[0,0,1] op_sel_hi:[1,0,0]
	;; [unrolled: 2-line block ×3, first 2 shown]
	v_pk_fma_f32 v[30:31], v[202:203], v[54:55], v[206:207] op_sel_hi:[1,1,0]
	v_pk_fma_f32 v[202:203], v[12:13], v[0:1], v[208:209] op_sel:[0,0,1] op_sel_hi:[1,1,0] neg_lo:[0,0,1] neg_hi:[0,0,1]
	v_pk_fma_f32 v[12:13], v[12:13], v[0:1], v[208:209] op_sel:[0,0,1] op_sel_hi:[1,0,0]
	v_dual_mov_b32 v213, v5 :: v_dual_mov_b32 v23, v7
	v_pk_fma_f32 v[4:5], v[14:15], v[0:1], v[210:211] op_sel:[0,0,1] op_sel_hi:[1,0,0]
	v_pk_fma_f32 v[6:7], v[14:15], v[0:1], v[210:211] op_sel:[0,0,1] op_sel_hi:[1,1,0] neg_lo:[0,0,1] neg_hi:[0,0,1]
	v_pk_fma_f32 v[10:11], v[10:11], v[54:55], v[204:205] op_sel_hi:[1,1,0] neg_lo:[0,0,1] neg_hi:[0,0,1]
	v_dual_mov_b32 v203, v13 :: v_dual_mov_b32 v29, v9
	s_delay_alu instid0(VALU_DEP_4)
	v_dual_mov_b32 v11, v31 :: v_dual_mov_b32 v7, v5
	s_wait_dscnt 0x1
	v_pk_mul_f32 v[8:9], v[18:19], v[2:3] op_sel:[0,1]
	v_pk_add_f32 v[52:53], v[52:53], v[22:23] neg_lo:[0,1] neg_hi:[0,1]
	s_wait_dscnt 0x0
	v_pk_mul_f32 v[22:23], v[200:201], v[2:3] op_sel:[0,1]
	v_pk_add_f32 v[50:51], v[50:51], v[10:11] neg_lo:[0,1] neg_hi:[0,1]
	v_pk_add_f32 v[76:77], v[76:77], v[6:7] neg_lo:[0,1] neg_hi:[0,1]
	ds_load_2addr_b64 v[4:7], v26 offset0:16 offset1:17
	v_pk_fma_f32 v[12:13], v[18:19], v[0:1], v[8:9] op_sel:[0,0,1] op_sel_hi:[1,0,0]
	v_pk_fma_f32 v[14:15], v[18:19], v[0:1], v[8:9] op_sel:[0,0,1] op_sel_hi:[1,1,0] neg_lo:[0,0,1] neg_hi:[0,0,1]
	ds_load_2addr_b64 v[8:11], v26 offset0:18 offset1:19
	v_pk_mul_f32 v[18:19], v[20:21], v[2:3] op_sel:[0,1]
	v_dual_mul_f32 v12, v199, v0 :: v_dual_mov_b32 v15, v13
	v_pk_add_f32 v[80:81], v[80:81], v[28:29] neg_lo:[0,1] neg_hi:[0,1]
	v_pk_add_f32 v[78:79], v[78:79], v[202:203] neg_lo:[0,1] neg_hi:[0,1]
	s_delay_alu instid0(VALU_DEP_4)
	v_pk_fma_f32 v[28:29], v[20:21], v[0:1], v[18:19] op_sel:[0,0,1] op_sel_hi:[1,0,0]
	v_mul_f32_e32 v28, v199, v3
	v_pk_fma_f32 v[12:13], v[198:199], v[54:55], v[12:13] op_sel:[1,0,0] op_sel_hi:[0,1,0]
	v_pk_fma_f32 v[18:19], v[20:21], v[0:1], v[18:19] op_sel:[0,0,1] op_sel_hi:[1,1,0] neg_lo:[0,0,1] neg_hi:[0,0,1]
	v_pk_fma_f32 v[20:21], v[200:201], v[0:1], v[22:23] op_sel:[0,0,1] op_sel_hi:[1,0,0]
	v_mov_b32_e32 v19, v29
	v_pk_fma_f32 v[28:29], v[198:199], v[54:55], v[28:29] op_sel_hi:[1,1,0] neg_lo:[0,0,1] neg_hi:[0,0,1]
	v_mov_b32_e32 v29, v13
	v_pk_fma_f32 v[12:13], v[200:201], v[0:1], v[22:23] op_sel:[0,0,1] op_sel_hi:[1,1,0] neg_lo:[0,0,1] neg_hi:[0,0,1]
	v_mov_b32_e32 v13, v21
	v_pk_add_f32 v[38:39], v[38:39], v[18:19] neg_lo:[0,1] neg_hi:[0,1]
	s_wait_dscnt 0x1
	v_pk_mul_f32 v[18:19], v[4:5], v[2:3] op_sel:[0,1]
	v_pk_add_f32 v[104:105], v[104:105], v[14:15] neg_lo:[0,1] neg_hi:[0,1]
	v_pk_add_f32 v[40:41], v[40:41], v[28:29] neg_lo:[0,1] neg_hi:[0,1]
	;; [unrolled: 1-line block ×3, first 2 shown]
	ds_load_2addr_b64 v[12:15], v26 offset0:20 offset1:21
	s_wait_dscnt 0x1
	v_pk_mul_f32 v[28:29], v[8:9], v[2:3] op_sel:[0,1]
	v_pk_fma_f32 v[30:31], v[4:5], v[0:1], v[18:19] op_sel:[0,0,1] op_sel_hi:[1,0,0]
	v_pk_fma_f32 v[4:5], v[4:5], v[0:1], v[18:19] op_sel:[0,0,1] op_sel_hi:[1,1,0] neg_lo:[0,0,1] neg_hi:[0,0,1]
	ds_load_2addr_b64 v[18:21], v26 offset0:22 offset1:23
	v_pk_mul_f32 v[22:23], v[6:7], v[2:3] op_sel:[0,1]
	v_pk_fma_f32 v[200:201], v[8:9], v[0:1], v[28:29] op_sel:[0,0,1] op_sel_hi:[1,0,0]
	v_pk_fma_f32 v[8:9], v[8:9], v[0:1], v[28:29] op_sel:[0,0,1] op_sel_hi:[1,1,0] neg_lo:[0,0,1] neg_hi:[0,0,1]
	v_mul_f32_e32 v28, v11, v0
	v_pk_add_f32 v[56:57], v[56:57], v[212:213] neg_lo:[0,1] neg_hi:[0,1]
	v_pk_fma_f32 v[198:199], v[6:7], v[0:1], v[22:23] op_sel:[0,0,1] op_sel_hi:[1,0,0]
	v_pk_fma_f32 v[6:7], v[6:7], v[0:1], v[22:23] op_sel:[0,0,1] op_sel_hi:[1,1,0] neg_lo:[0,0,1] neg_hi:[0,0,1]
	v_dual_mov_b32 v9, v201 :: v_dual_mov_b32 v22, v11
	v_dual_mov_b32 v23, v10 :: v_dual_mov_b32 v5, v31
	s_delay_alu instid0(VALU_DEP_4) | instskip(NEXT) | instid1(VALU_DEP_3)
	v_mov_b32_e32 v7, v199
	v_pk_add_f32 v[64:65], v[64:65], v[8:9] neg_lo:[0,1] neg_hi:[0,1]
	s_delay_alu instid0(VALU_DEP_3)
	v_pk_fma_f32 v[8:9], v[22:23], v[54:55], v[28:29] op_sel_hi:[1,1,0]
	v_mul_f32_e32 v30, v11, v3
	v_pk_add_f32 v[66:67], v[66:67], v[4:5] neg_lo:[0,1] neg_hi:[0,1]
	v_pk_add_f32 v[62:63], v[62:63], v[6:7] neg_lo:[0,1] neg_hi:[0,1]
	s_wait_dscnt 0x1
	v_pk_mul_f32 v[28:29], v[12:13], v[2:3] op_sel:[0,1]
	ds_load_2addr_b64 v[4:7], v26 offset0:24 offset1:25
	v_pk_fma_f32 v[22:23], v[10:11], v[54:55], v[30:31] op_sel_hi:[1,1,0] neg_lo:[0,0,1] neg_hi:[0,0,1]
	v_pk_mul_f32 v[30:31], v[14:15], v[2:3] op_sel:[0,1]
	v_mov_b32_e32 v23, v9
	ds_load_2addr_b64 v[8:11], v26 offset0:26 offset1:27
	s_wait_dscnt 0x2
	v_pk_mul_f32 v[198:199], v[18:19], v[2:3] op_sel:[0,1]
	v_pk_fma_f32 v[200:201], v[12:13], v[0:1], v[28:29] op_sel:[0,0,1] op_sel_hi:[1,0,0]
	v_pk_fma_f32 v[202:203], v[14:15], v[0:1], v[30:31] op_sel:[0,0,1] op_sel_hi:[1,0,0]
	v_pk_fma_f32 v[12:13], v[12:13], v[0:1], v[28:29] op_sel:[0,0,1] op_sel_hi:[1,1,0] neg_lo:[0,0,1] neg_hi:[0,0,1]
	v_pk_fma_f32 v[14:15], v[14:15], v[0:1], v[30:31] op_sel:[0,0,1] op_sel_hi:[1,1,0] neg_lo:[0,0,1] neg_hi:[0,0,1]
	v_pk_fma_f32 v[28:29], v[18:19], v[0:1], v[198:199] op_sel:[0,0,1] op_sel_hi:[1,0,0]
	s_delay_alu instid0(VALU_DEP_4) | instskip(SKIP_2) | instid1(VALU_DEP_4)
	v_dual_mov_b32 v13, v201 :: v_dual_mov_b32 v15, v203
	v_pk_fma_f32 v[18:19], v[18:19], v[0:1], v[198:199] op_sel:[0,0,1] op_sel_hi:[1,1,0] neg_lo:[0,0,1] neg_hi:[0,0,1]
	v_pk_add_f32 v[60:61], v[60:61], v[22:23] neg_lo:[0,1] neg_hi:[0,1]
	v_mov_b32_e32 v19, v29
	v_pk_mul_f32 v[28:29], v[20:21], v[2:3] op_sel:[0,1]
	v_pk_add_f32 v[90:91], v[90:91], v[12:13] neg_lo:[0,1] neg_hi:[0,1]
	v_pk_add_f32 v[86:87], v[86:87], v[14:15] neg_lo:[0,1] neg_hi:[0,1]
	ds_load_2addr_b64 v[12:15], v26 offset0:28 offset1:29
	v_pk_add_f32 v[88:89], v[88:89], v[18:19] neg_lo:[0,1] neg_hi:[0,1]
	v_pk_fma_f32 v[18:19], v[20:21], v[0:1], v[28:29] op_sel:[0,0,1] op_sel_hi:[1,1,0] neg_lo:[0,0,1] neg_hi:[0,0,1]
	v_pk_fma_f32 v[20:21], v[20:21], v[0:1], v[28:29] op_sel:[0,0,1] op_sel_hi:[1,0,0]
	s_wait_dscnt 0x2
	v_dual_mul_f32 v20, v5, v0 :: v_dual_mul_f32 v28, v5, v3
	v_pk_mul_f32 v[22:23], v[6:7], v[2:3] op_sel:[0,1]
	s_wait_dscnt 0x1
	v_pk_mul_f32 v[30:31], v[8:9], v[2:3] op_sel:[0,1]
	v_mov_b32_e32 v19, v21
	v_pk_fma_f32 v[198:199], v[4:5], v[54:55], v[20:21] op_sel:[1,0,0] op_sel_hi:[0,1,0]
	v_pk_fma_f32 v[28:29], v[4:5], v[54:55], v[28:29] op_sel_hi:[1,1,0] neg_lo:[0,0,1] neg_hi:[0,0,1]
	v_pk_fma_f32 v[20:21], v[6:7], v[0:1], v[22:23] op_sel:[0,0,1] op_sel_hi:[1,0,0]
	v_pk_fma_f32 v[4:5], v[8:9], v[0:1], v[30:31] op_sel:[0,0,1] op_sel_hi:[1,0,0]
	v_pk_fma_f32 v[22:23], v[6:7], v[0:1], v[22:23] op_sel:[0,0,1] op_sel_hi:[1,1,0] neg_lo:[0,0,1] neg_hi:[0,0,1]
	v_pk_fma_f32 v[8:9], v[8:9], v[0:1], v[30:31] op_sel:[0,0,1] op_sel_hi:[1,1,0] neg_lo:[0,0,1] neg_hi:[0,0,1]
	s_delay_alu instid0(VALU_DEP_4) | instskip(NEXT) | instid1(VALU_DEP_4)
	v_dual_mov_b32 v29, v199 :: v_dual_mov_b32 v23, v21
	v_mov_b32_e32 v9, v5
	ds_load_2addr_b64 v[4:7], v26 offset0:30 offset1:31
	v_pk_mul_f32 v[30:31], v[10:11], v[2:3] op_sel:[0,1]
	v_pk_add_f32 v[84:85], v[84:85], v[18:19] neg_lo:[0,1] neg_hi:[0,1]
	v_pk_add_f32 v[108:109], v[108:109], v[22:23] neg_lo:[0,1] neg_hi:[0,1]
	s_wait_dscnt 0x1
	v_pk_mul_f32 v[22:23], v[12:13], v[2:3] op_sel:[0,1]
	v_pk_add_f32 v[112:113], v[112:113], v[28:29] neg_lo:[0,1] neg_hi:[0,1]
	ds_load_2addr_b64 v[18:21], v26 offset0:32 offset1:33
	v_mov_b32_e32 v28, v15
	v_pk_add_f32 v[110:111], v[110:111], v[8:9] neg_lo:[0,1] neg_hi:[0,1]
	v_pk_fma_f32 v[8:9], v[10:11], v[0:1], v[30:31] op_sel:[0,0,1] op_sel_hi:[1,0,0]
	v_dual_mov_b32 v29, v14 :: v_dual_mul_f32 v8, v15, v0
	v_pk_fma_f32 v[30:31], v[10:11], v[0:1], v[30:31] op_sel:[0,0,1] op_sel_hi:[1,1,0] neg_lo:[0,0,1] neg_hi:[0,0,1]
	v_pk_fma_f32 v[10:11], v[12:13], v[0:1], v[22:23] op_sel:[0,0,1] op_sel_hi:[1,0,0]
	s_delay_alu instid0(VALU_DEP_4) | instskip(NEXT) | instid1(VALU_DEP_4)
	v_dual_mul_f32 v10, v15, v3 :: v_dual_mov_b32 v31, v9
	v_pk_fma_f32 v[8:9], v[28:29], v[54:55], v[8:9] op_sel_hi:[1,1,0]
	v_pk_fma_f32 v[12:13], v[12:13], v[0:1], v[22:23] op_sel:[0,0,1] op_sel_hi:[1,1,0] neg_lo:[0,0,1] neg_hi:[0,0,1]
	s_delay_alu instid0(VALU_DEP_4) | instskip(NEXT) | instid1(VALU_DEP_4)
	v_mov_b32_e32 v13, v11
	v_pk_fma_f32 v[14:15], v[14:15], v[54:55], v[10:11] op_sel_hi:[1,1,0] neg_lo:[0,0,1] neg_hi:[0,0,1]
	s_wait_dscnt 0x1
	v_pk_mul_f32 v[22:23], v[4:5], v[2:3] op_sel:[0,1]
	v_mov_b32_e32 v15, v9
	ds_load_2addr_b64 v[8:11], v26 offset0:34 offset1:35
	v_pk_add_f32 v[106:107], v[106:107], v[30:31] neg_lo:[0,1] neg_hi:[0,1]
	v_pk_add_f32 v[128:129], v[128:129], v[12:13] neg_lo:[0,1] neg_hi:[0,1]
	v_pk_fma_f32 v[12:13], v[4:5], v[0:1], v[22:23] op_sel:[0,0,1] op_sel_hi:[1,0,0]
	v_pk_mul_f32 v[28:29], v[6:7], v[2:3] op_sel:[0,1]
	s_wait_dscnt 0x1
	v_pk_mul_f32 v[30:31], v[18:19], v[2:3] op_sel:[0,1]
	v_pk_fma_f32 v[4:5], v[4:5], v[0:1], v[22:23] op_sel:[0,0,1] op_sel_hi:[1,1,0] neg_lo:[0,0,1] neg_hi:[0,0,1]
	v_pk_add_f32 v[124:125], v[124:125], v[14:15] neg_lo:[0,1] neg_hi:[0,1]
	v_pk_fma_f32 v[22:23], v[6:7], v[0:1], v[28:29] op_sel:[0,0,1] op_sel_hi:[1,0,0]
	v_mov_b32_e32 v5, v13
	v_pk_fma_f32 v[198:199], v[18:19], v[0:1], v[30:31] op_sel:[0,0,1] op_sel_hi:[1,0,0]
	v_pk_fma_f32 v[6:7], v[6:7], v[0:1], v[28:29] op_sel:[0,0,1] op_sel_hi:[1,1,0] neg_lo:[0,0,1] neg_hi:[0,0,1]
	v_pk_mul_f32 v[28:29], v[20:21], v[2:3] op_sel:[0,1]
	ds_load_2addr_b64 v[12:15], v26 offset0:36 offset1:37
	v_pk_fma_f32 v[18:19], v[18:19], v[0:1], v[30:31] op_sel:[0,0,1] op_sel_hi:[1,1,0] neg_lo:[0,0,1] neg_hi:[0,0,1]
	v_dual_mov_b32 v7, v23 :: v_dual_mov_b32 v19, v199
	v_pk_add_f32 v[126:127], v[126:127], v[4:5] neg_lo:[0,1] neg_hi:[0,1]
	v_pk_fma_f32 v[4:5], v[20:21], v[0:1], v[28:29] op_sel:[0,0,1] op_sel_hi:[1,0,0]
	s_wait_dscnt 0x1
	v_mul_f32_e32 v4, v9, v0
	v_pk_add_f32 v[122:123], v[122:123], v[6:7] neg_lo:[0,1] neg_hi:[0,1]
	v_pk_add_f32 v[144:145], v[144:145], v[18:19] neg_lo:[0,1] neg_hi:[0,1]
	v_pk_fma_f32 v[18:19], v[20:21], v[0:1], v[28:29] op_sel:[0,0,1] op_sel_hi:[1,1,0] neg_lo:[0,0,1] neg_hi:[0,0,1]
	v_mul_f32_e32 v20, v9, v3
	v_pk_fma_f32 v[22:23], v[8:9], v[54:55], v[4:5] op_sel:[1,0,0] op_sel_hi:[0,1,0]
	v_mov_b32_e32 v19, v5
	ds_load_2addr_b64 v[4:7], v26 offset0:38 offset1:39
	v_pk_mul_f32 v[28:29], v[10:11], v[2:3] op_sel:[0,1]
	v_pk_fma_f32 v[8:9], v[8:9], v[54:55], v[20:21] op_sel_hi:[1,1,0] neg_lo:[0,0,1] neg_hi:[0,0,1]
	v_mov_b32_e32 v9, v23
	v_pk_add_f32 v[140:141], v[140:141], v[18:19] neg_lo:[0,1] neg_hi:[0,1]
	ds_load_2addr_b64 v[18:21], v26 offset0:40 offset1:41
	v_pk_fma_f32 v[22:23], v[10:11], v[0:1], v[28:29] op_sel:[0,0,1] op_sel_hi:[1,0,0]
	s_wait_dscnt 0x2
	v_pk_mul_f32 v[30:31], v[12:13], v[2:3] op_sel:[0,1]
	v_pk_mul_f32 v[198:199], v[14:15], v[2:3] op_sel:[0,1]
	v_pk_fma_f32 v[10:11], v[10:11], v[0:1], v[28:29] op_sel:[0,0,1] op_sel_hi:[1,1,0] neg_lo:[0,0,1] neg_hi:[0,0,1]
	v_pk_add_f32 v[142:143], v[142:143], v[8:9] neg_lo:[0,1] neg_hi:[0,1]
	v_mov_b32_e32 v11, v23
	v_pk_fma_f32 v[200:201], v[12:13], v[0:1], v[30:31] op_sel:[0,0,1] op_sel_hi:[1,0,0]
	v_pk_fma_f32 v[22:23], v[14:15], v[0:1], v[198:199] op_sel:[0,0,1] op_sel_hi:[1,0,0]
	v_pk_fma_f32 v[12:13], v[12:13], v[0:1], v[30:31] op_sel:[0,0,1] op_sel_hi:[1,1,0] neg_lo:[0,0,1] neg_hi:[0,0,1]
	v_pk_fma_f32 v[14:15], v[14:15], v[0:1], v[198:199] op_sel:[0,0,1] op_sel_hi:[1,1,0] neg_lo:[0,0,1] neg_hi:[0,0,1]
	v_pk_add_f32 v[138:139], v[138:139], v[10:11] neg_lo:[0,1] neg_hi:[0,1]
	ds_load_2addr_b64 v[8:11], v26 offset0:42 offset1:43
	v_dual_mov_b32 v13, v201 :: v_dual_mov_b32 v15, v23
	s_wait_dscnt 0x2
	v_pk_mul_f32 v[22:23], v[4:5], v[2:3] op_sel:[0,1]
	v_dual_mov_b32 v28, v7 :: v_dual_mov_b32 v29, v6
	v_mul_f32_e32 v30, v7, v0
	v_pk_add_f32 v[162:163], v[162:163], v[12:13] neg_lo:[0,1] neg_hi:[0,1]
	s_delay_alu instid0(VALU_DEP_4)
	v_pk_fma_f32 v[198:199], v[4:5], v[0:1], v[22:23] op_sel:[0,0,1] op_sel_hi:[1,0,0]
	v_mul_f32_e32 v198, v7, v3
	v_pk_add_f32 v[158:159], v[158:159], v[14:15] neg_lo:[0,1] neg_hi:[0,1]
	s_wait_dscnt 0x1
	v_pk_mul_f32 v[200:201], v[18:19], v[2:3] op_sel:[0,1]
	ds_load_2addr_b64 v[12:15], v26 offset0:44 offset1:45
	v_pk_fma_f32 v[28:29], v[28:29], v[54:55], v[30:31] op_sel_hi:[1,1,0]
	v_pk_fma_f32 v[4:5], v[4:5], v[0:1], v[22:23] op_sel:[0,0,1] op_sel_hi:[1,1,0] neg_lo:[0,0,1] neg_hi:[0,0,1]
	v_pk_fma_f32 v[6:7], v[6:7], v[54:55], v[198:199] op_sel_hi:[1,1,0] neg_lo:[0,0,1] neg_hi:[0,0,1]
	v_mov_b32_e32 v5, v199
	v_pk_fma_f32 v[22:23], v[18:19], v[0:1], v[200:201] op_sel:[0,0,1] op_sel_hi:[1,0,0]
	v_mov_b32_e32 v7, v29
	v_pk_mul_f32 v[28:29], v[20:21], v[2:3] op_sel:[0,1]
	v_pk_fma_f32 v[18:19], v[18:19], v[0:1], v[200:201] op_sel:[0,0,1] op_sel_hi:[1,1,0] neg_lo:[0,0,1] neg_hi:[0,0,1]
	v_pk_add_f32 v[160:161], v[160:161], v[4:5] neg_lo:[0,1] neg_hi:[0,1]
	v_mov_b32_e32 v19, v23
	s_wait_dscnt 0x1
	v_pk_mul_f32 v[4:5], v[8:9], v[2:3] op_sel:[0,1]
	v_pk_fma_f32 v[22:23], v[20:21], v[0:1], v[28:29] op_sel:[0,0,1] op_sel_hi:[1,0,0]
	v_pk_add_f32 v[156:157], v[156:157], v[6:7] neg_lo:[0,1] neg_hi:[0,1]
	v_pk_fma_f32 v[6:7], v[20:21], v[0:1], v[28:29] op_sel:[0,0,1] op_sel_hi:[1,1,0] neg_lo:[0,0,1] neg_hi:[0,0,1]
	v_pk_mul_f32 v[20:21], v[10:11], v[2:3] op_sel:[0,1]
	s_delay_alu instid0(VALU_DEP_4)
	v_mov_b32_e32 v7, v23
	v_pk_add_f32 v[178:179], v[178:179], v[18:19] neg_lo:[0,1] neg_hi:[0,1]
	v_pk_fma_f32 v[18:19], v[8:9], v[0:1], v[4:5] op_sel:[0,0,1] op_sel_hi:[1,0,0]
	v_pk_fma_f32 v[4:5], v[8:9], v[0:1], v[4:5] op_sel:[0,0,1] op_sel_hi:[1,1,0] neg_lo:[0,0,1] neg_hi:[0,0,1]
	s_wait_dscnt 0x0
	v_mul_f32_e32 v8, v13, v0
	v_pk_fma_f32 v[22:23], v[10:11], v[0:1], v[20:21] op_sel:[0,0,1] op_sel_hi:[1,0,0]
	v_pk_fma_f32 v[10:11], v[10:11], v[0:1], v[20:21] op_sel:[0,0,1] op_sel_hi:[1,1,0] neg_lo:[0,0,1] neg_hi:[0,0,1]
	v_mov_b32_e32 v5, v19
	v_pk_mul_f32 v[18:19], v[14:15], v[2:3] op_sel:[0,1]
	s_delay_alu instid0(VALU_DEP_4) | instskip(SKIP_2) | instid1(VALU_DEP_4)
	v_dual_mul_f32 v2, v13, v3 :: v_dual_mov_b32 v11, v23
	v_pk_fma_f32 v[8:9], v[12:13], v[54:55], v[8:9] op_sel:[1,0,0] op_sel_hi:[0,1,0]
	v_pk_add_f32 v[174:175], v[174:175], v[6:7] neg_lo:[0,1] neg_hi:[0,1]
	v_pk_fma_f32 v[20:21], v[14:15], v[0:1], v[18:19] op_sel:[0,0,1] op_sel_hi:[1,0,0]
	s_delay_alu instid0(VALU_DEP_4)
	v_pk_fma_f32 v[2:3], v[12:13], v[54:55], v[2:3] op_sel_hi:[1,1,0] neg_lo:[0,0,1] neg_hi:[0,0,1]
	v_pk_fma_f32 v[0:1], v[14:15], v[0:1], v[18:19] op_sel:[0,0,1] op_sel_hi:[1,1,0] neg_lo:[0,0,1] neg_hi:[0,0,1]
	v_mov_b32_e32 v3, v9
	v_pk_add_f32 v[176:177], v[176:177], v[4:5] neg_lo:[0,1] neg_hi:[0,1]
	v_mov_b32_e32 v1, v21
	v_pk_add_f32 v[172:173], v[172:173], v[10:11] neg_lo:[0,1] neg_hi:[0,1]
	s_delay_alu instid0(VALU_DEP_4) | instskip(NEXT) | instid1(VALU_DEP_3)
	v_pk_add_f32 v[180:181], v[180:181], v[2:3] neg_lo:[0,1] neg_hi:[0,1]
	v_pk_add_f32 v[184:185], v[184:185], v[0:1] neg_lo:[0,1] neg_hi:[0,1]
.LBB91_55:
	s_or_b32 exec_lo, exec_lo, s1
	s_delay_alu instid0(SALU_CYCLE_1)
	s_mov_b32 s2, exec_lo
	s_wait_dscnt 0x0
	s_barrier_signal -1
	s_barrier_wait -1
	v_cmpx_eq_u32_e32 6, v34
	s_cbranch_execz .LBB91_62
; %bb.56:
	ds_store_b64 v35, v[56:57]
	ds_store_2addr_b64 v26, v[52:53], v[80:81] offset0:7 offset1:8
	ds_store_2addr_b64 v26, v[50:51], v[78:79] offset0:9 offset1:10
	;; [unrolled: 1-line block ×19, first 2 shown]
	ds_store_b64 v26, v[184:185] offset:360
	ds_load_b64 v[0:1], v35
	s_wait_dscnt 0x0
	v_cmp_neq_f32_e32 vcc_lo, 0, v0
	v_cmp_neq_f32_e64 s1, 0, v1
	s_or_b32 s1, vcc_lo, s1
	s_delay_alu instid0(SALU_CYCLE_1)
	s_and_b32 exec_lo, exec_lo, s1
	s_cbranch_execz .LBB91_62
; %bb.57:
	v_cmp_ngt_f32_e64 s1, |v0|, |v1|
                                        ; implicit-def: $vgpr2_vgpr3
	s_and_saveexec_b32 s4, s1
	s_delay_alu instid0(SALU_CYCLE_1)
	s_xor_b32 s1, exec_lo, s4
	s_cbranch_execz .LBB91_59
; %bb.58:
	v_div_scale_f32 v2, null, v1, v1, v0
	v_div_scale_f32 v5, vcc_lo, v0, v1, v0
	s_delay_alu instid0(VALU_DEP_2) | instskip(SKIP_1) | instid1(TRANS32_DEP_1)
	v_rcp_f32_e32 v3, v2
	v_nop
	v_fma_f32 v4, -v2, v3, 1.0
	s_delay_alu instid0(VALU_DEP_1) | instskip(NEXT) | instid1(VALU_DEP_1)
	v_fmac_f32_e32 v3, v4, v3
	v_mul_f32_e32 v4, v5, v3
	s_delay_alu instid0(VALU_DEP_1) | instskip(NEXT) | instid1(VALU_DEP_1)
	v_fma_f32 v6, -v2, v4, v5
	v_fmac_f32_e32 v4, v6, v3
	s_delay_alu instid0(VALU_DEP_1) | instskip(NEXT) | instid1(VALU_DEP_1)
	v_fma_f32 v2, -v2, v4, v5
	v_div_fmas_f32 v2, v2, v3, v4
	s_delay_alu instid0(VALU_DEP_1) | instskip(NEXT) | instid1(VALU_DEP_1)
	v_div_fixup_f32 v2, v2, v1, v0
	v_fmac_f32_e32 v1, v0, v2
	s_delay_alu instid0(VALU_DEP_1) | instskip(SKIP_1) | instid1(VALU_DEP_2)
	v_div_scale_f32 v0, null, v1, v1, 1.0
	v_div_scale_f32 v5, vcc_lo, 1.0, v1, 1.0
	v_rcp_f32_e32 v3, v0
	v_nop
	s_delay_alu instid0(TRANS32_DEP_1) | instskip(NEXT) | instid1(VALU_DEP_1)
	v_fma_f32 v4, -v0, v3, 1.0
	v_fmac_f32_e32 v3, v4, v3
	s_delay_alu instid0(VALU_DEP_1) | instskip(NEXT) | instid1(VALU_DEP_1)
	v_mul_f32_e32 v4, v5, v3
	v_fma_f32 v6, -v0, v4, v5
	s_delay_alu instid0(VALU_DEP_1) | instskip(NEXT) | instid1(VALU_DEP_1)
	v_fmac_f32_e32 v4, v6, v3
	v_fma_f32 v0, -v0, v4, v5
	s_delay_alu instid0(VALU_DEP_1) | instskip(NEXT) | instid1(VALU_DEP_1)
	v_div_fmas_f32 v0, v0, v3, v4
	v_div_fixup_f32 v0, v0, v1, 1.0
	s_delay_alu instid0(VALU_DEP_1)
	v_mul_f32_e32 v2, v2, v0
	v_xor_b32_e32 v3, 0x80000000, v0
                                        ; implicit-def: $vgpr0_vgpr1
.LBB91_59:
	s_and_not1_saveexec_b32 s1, s1
	s_cbranch_execz .LBB91_61
; %bb.60:
	v_div_scale_f32 v2, null, v0, v0, v1
	v_div_scale_f32 v5, vcc_lo, v1, v0, v1
	s_delay_alu instid0(VALU_DEP_2) | instskip(SKIP_1) | instid1(TRANS32_DEP_1)
	v_rcp_f32_e32 v3, v2
	v_nop
	v_fma_f32 v4, -v2, v3, 1.0
	s_delay_alu instid0(VALU_DEP_1) | instskip(NEXT) | instid1(VALU_DEP_1)
	v_fmac_f32_e32 v3, v4, v3
	v_mul_f32_e32 v4, v5, v3
	s_delay_alu instid0(VALU_DEP_1) | instskip(NEXT) | instid1(VALU_DEP_1)
	v_fma_f32 v6, -v2, v4, v5
	v_fmac_f32_e32 v4, v6, v3
	s_delay_alu instid0(VALU_DEP_1) | instskip(NEXT) | instid1(VALU_DEP_1)
	v_fma_f32 v2, -v2, v4, v5
	v_div_fmas_f32 v2, v2, v3, v4
	s_delay_alu instid0(VALU_DEP_1) | instskip(NEXT) | instid1(VALU_DEP_1)
	v_div_fixup_f32 v3, v2, v0, v1
	v_fmac_f32_e32 v0, v1, v3
	s_delay_alu instid0(VALU_DEP_1) | instskip(NEXT) | instid1(VALU_DEP_1)
	v_div_scale_f32 v1, null, v0, v0, 1.0
	v_rcp_f32_e32 v2, v1
	v_nop
	s_delay_alu instid0(TRANS32_DEP_1) | instskip(NEXT) | instid1(VALU_DEP_1)
	v_fma_f32 v4, -v1, v2, 1.0
	v_fmac_f32_e32 v2, v4, v2
	v_div_scale_f32 v4, vcc_lo, 1.0, v0, 1.0
	s_delay_alu instid0(VALU_DEP_1) | instskip(NEXT) | instid1(VALU_DEP_1)
	v_mul_f32_e32 v5, v4, v2
	v_fma_f32 v6, -v1, v5, v4
	s_delay_alu instid0(VALU_DEP_1) | instskip(NEXT) | instid1(VALU_DEP_1)
	v_fmac_f32_e32 v5, v6, v2
	v_fma_f32 v1, -v1, v5, v4
	s_delay_alu instid0(VALU_DEP_1) | instskip(NEXT) | instid1(VALU_DEP_1)
	v_div_fmas_f32 v1, v1, v2, v5
	v_div_fixup_f32 v2, v1, v0, 1.0
	s_delay_alu instid0(VALU_DEP_1)
	v_mul_f32_e64 v3, v3, -v2
.LBB91_61:
	s_or_b32 exec_lo, exec_lo, s1
	ds_store_b64 v35, v[2:3]
.LBB91_62:
	s_or_b32 exec_lo, exec_lo, s2
	s_wait_dscnt 0x0
	s_barrier_signal -1
	s_barrier_wait -1
	ds_load_b64 v[198:199], v35
	s_mov_b32 s1, exec_lo
	v_cmpx_lt_u32_e32 6, v34
	s_cbranch_execz .LBB91_64
; %bb.63:
	ds_load_2addr_b64 v[4:7], v26 offset0:7 offset1:8
	ds_load_2addr_b64 v[8:11], v26 offset0:9 offset1:10
	;; [unrolled: 1-line block ×3, first 2 shown]
	s_wait_dscnt 0x3
	v_pk_mul_f32 v[2:3], v[198:199], v[56:57] op_sel:[1,1] op_sel_hi:[0,1]
	ds_load_2addr_b64 v[18:21], v26 offset0:13 offset1:14
	ds_load_2addr_b64 v[200:203], v26 offset0:15 offset1:16
	v_pk_fma_f32 v[0:1], v[198:199], v[56:57], v[2:3] op_sel_hi:[1,0,1] neg_lo:[0,0,1] neg_hi:[0,0,1]
	v_pk_fma_f32 v[2:3], v[198:199], v[56:57], v[2:3] op_sel_hi:[1,0,1]
	s_delay_alu instid0(VALU_DEP_1) | instskip(SKIP_1) | instid1(VALU_DEP_2)
	v_dual_mov_b32 v56, v0 :: v_dual_mov_b32 v57, v3
	s_wait_dscnt 0x4
	v_pk_mul_f32 v[22:23], v[4:5], v[2:3] op_sel:[0,1]
	v_pk_mul_f32 v[28:29], v[6:7], v[2:3] op_sel:[0,1]
	s_wait_dscnt 0x3
	v_pk_mul_f32 v[30:31], v[8:9], v[2:3] op_sel:[0,1]
	v_dual_mov_b32 v204, v11 :: v_dual_mov_b32 v205, v10
	v_dual_mul_f32 v206, v11, v3 :: v_dual_mul_f32 v208, v11, v0
	v_pk_fma_f32 v[214:215], v[4:5], v[0:1], v[22:23] op_sel:[0,0,1] op_sel_hi:[1,1,0] neg_lo:[0,0,1] neg_hi:[0,0,1]
	v_pk_fma_f32 v[4:5], v[4:5], v[0:1], v[22:23] op_sel:[0,0,1] op_sel_hi:[1,0,0]
	v_pk_fma_f32 v[22:23], v[6:7], v[0:1], v[28:29] op_sel:[0,0,1] op_sel_hi:[1,1,0] neg_lo:[0,0,1] neg_hi:[0,0,1]
	v_pk_fma_f32 v[6:7], v[6:7], v[0:1], v[28:29] op_sel:[0,0,1] op_sel_hi:[1,0,0]
	;; [unrolled: 2-line block ×3, first 2 shown]
	v_pk_fma_f32 v[30:31], v[204:205], v[56:57], v[208:209] op_sel_hi:[1,1,0]
	s_wait_dscnt 0x2
	v_pk_mul_f32 v[210:211], v[12:13], v[2:3] op_sel:[0,1]
	v_dual_mov_b32 v215, v5 :: v_dual_mov_b32 v23, v7
	v_pk_fma_f32 v[10:11], v[10:11], v[56:57], v[206:207] op_sel_hi:[1,1,0] neg_lo:[0,0,1] neg_hi:[0,0,1]
	v_dual_mov_b32 v29, v9 :: v_dual_mov_b32 v11, v31
	v_pk_mul_f32 v[212:213], v[14:15], v[2:3] op_sel:[0,1]
	v_pk_fma_f32 v[8:9], v[12:13], v[0:1], v[210:211] op_sel:[0,0,1] op_sel_hi:[1,0,0]
	ds_load_2addr_b64 v[4:7], v26 offset0:17 offset1:18
	v_pk_add_f32 v[80:81], v[80:81], v[22:23] neg_lo:[0,1] neg_hi:[0,1]
	s_wait_dscnt 0x2
	v_pk_mul_f32 v[22:23], v[18:19], v[2:3] op_sel:[0,1]
	v_pk_add_f32 v[78:79], v[78:79], v[10:11] neg_lo:[0,1] neg_hi:[0,1]
	v_pk_fma_f32 v[10:11], v[12:13], v[0:1], v[210:211] op_sel:[0,0,1] op_sel_hi:[1,1,0] neg_lo:[0,0,1] neg_hi:[0,0,1]
	v_pk_fma_f32 v[12:13], v[14:15], v[0:1], v[212:213] op_sel:[0,0,1] op_sel_hi:[1,0,0]
	v_mov_b32_e32 v11, v9
	v_pk_add_f32 v[50:51], v[50:51], v[28:29] neg_lo:[0,1] neg_hi:[0,1]
	v_pk_fma_f32 v[8:9], v[14:15], v[0:1], v[212:213] op_sel:[0,0,1] op_sel_hi:[1,1,0] neg_lo:[0,0,1] neg_hi:[0,0,1]
	v_pk_mul_f32 v[14:15], v[20:21], v[2:3] op_sel:[0,1]
	v_pk_fma_f32 v[28:29], v[18:19], v[0:1], v[22:23] op_sel:[0,0,1] op_sel_hi:[1,0,0]
	v_mov_b32_e32 v9, v13
	v_pk_add_f32 v[76:77], v[76:77], v[10:11] neg_lo:[0,1] neg_hi:[0,1]
	v_pk_fma_f32 v[10:11], v[18:19], v[0:1], v[22:23] op_sel:[0,0,1] op_sel_hi:[1,1,0] neg_lo:[0,0,1] neg_hi:[0,0,1]
	v_pk_fma_f32 v[12:13], v[20:21], v[0:1], v[14:15] op_sel:[0,0,1] op_sel_hi:[1,0,0]
	v_mov_b32_e32 v11, v29
	s_wait_dscnt 0x1
	v_dual_mul_f32 v12, v201, v0 :: v_dual_mul_f32 v18, v201, v3
	v_pk_fma_f32 v[14:15], v[20:21], v[0:1], v[14:15] op_sel:[0,0,1] op_sel_hi:[1,1,0] neg_lo:[0,0,1] neg_hi:[0,0,1]
	v_pk_add_f32 v[104:105], v[104:105], v[8:9] neg_lo:[0,1] neg_hi:[0,1]
	v_mov_b32_e32 v15, v13
	v_pk_add_f32 v[38:39], v[38:39], v[10:11] neg_lo:[0,1] neg_hi:[0,1]
	ds_load_2addr_b64 v[8:11], v26 offset0:19 offset1:20
	v_pk_fma_f32 v[12:13], v[200:201], v[56:57], v[12:13] op_sel:[1,0,0] op_sel_hi:[0,1,0]
	v_pk_mul_f32 v[20:21], v[202:203], v[2:3] op_sel:[0,1]
	s_wait_dscnt 0x1
	v_pk_mul_f32 v[22:23], v[4:5], v[2:3] op_sel:[0,1]
	v_pk_mul_f32 v[28:29], v[6:7], v[2:3] op_sel:[0,1]
	v_pk_fma_f32 v[18:19], v[200:201], v[56:57], v[18:19] op_sel_hi:[1,1,0] neg_lo:[0,0,1] neg_hi:[0,0,1]
	v_pk_add_f32 v[40:41], v[40:41], v[14:15] neg_lo:[0,1] neg_hi:[0,1]
	v_pk_fma_f32 v[30:31], v[202:203], v[0:1], v[20:21] op_sel:[0,0,1] op_sel_hi:[1,0,0]
	v_mov_b32_e32 v19, v13
	ds_load_2addr_b64 v[12:15], v26 offset0:21 offset1:22
	v_pk_fma_f32 v[200:201], v[4:5], v[0:1], v[22:23] op_sel:[0,0,1] op_sel_hi:[1,0,0]
	v_pk_fma_f32 v[20:21], v[202:203], v[0:1], v[20:21] op_sel:[0,0,1] op_sel_hi:[1,1,0] neg_lo:[0,0,1] neg_hi:[0,0,1]
	v_pk_fma_f32 v[202:203], v[6:7], v[0:1], v[28:29] op_sel:[0,0,1] op_sel_hi:[1,0,0]
	v_pk_fma_f32 v[4:5], v[4:5], v[0:1], v[22:23] op_sel:[0,0,1] op_sel_hi:[1,1,0] neg_lo:[0,0,1] neg_hi:[0,0,1]
	v_pk_fma_f32 v[6:7], v[6:7], v[0:1], v[28:29] op_sel:[0,0,1] op_sel_hi:[1,1,0] neg_lo:[0,0,1] neg_hi:[0,0,1]
	v_dual_mov_b32 v5, v201 :: v_dual_mov_b32 v21, v31
	s_delay_alu instid0(VALU_DEP_4) | instskip(SKIP_2) | instid1(VALU_DEP_4)
	v_mov_b32_e32 v7, v203
	v_pk_add_f32 v[36:37], v[36:37], v[18:19] neg_lo:[0,1] neg_hi:[0,1]
	v_pk_add_f32 v[52:53], v[52:53], v[214:215] neg_lo:[0,1] neg_hi:[0,1]
	;; [unrolled: 1-line block ×3, first 2 shown]
	s_wait_dscnt 0x1
	v_pk_mul_f32 v[18:19], v[8:9], v[2:3] op_sel:[0,1]
	v_pk_add_f32 v[64:65], v[64:65], v[6:7] neg_lo:[0,1] neg_hi:[0,1]
	ds_load_2addr_b64 v[4:7], v26 offset0:23 offset1:24
	v_dual_mov_b32 v28, v11 :: v_dual_mov_b32 v29, v10
	v_pk_fma_f32 v[22:23], v[8:9], v[0:1], v[18:19] op_sel:[0,0,1] op_sel_hi:[1,1,0] neg_lo:[0,0,1] neg_hi:[0,0,1]
	v_pk_fma_f32 v[8:9], v[8:9], v[0:1], v[18:19] op_sel:[0,0,1] op_sel_hi:[1,0,0]
	v_dual_mul_f32 v8, v11, v0 :: v_dual_mul_f32 v30, v11, v3
	s_wait_dscnt 0x1
	v_pk_mul_f32 v[200:201], v[12:13], v[2:3] op_sel:[0,1]
	v_pk_add_f32 v[66:67], v[66:67], v[20:21] neg_lo:[0,1] neg_hi:[0,1]
	v_pk_mul_f32 v[202:203], v[14:15], v[2:3] op_sel:[0,1]
	ds_load_2addr_b64 v[18:21], v26 offset0:25 offset1:26
	v_pk_fma_f32 v[28:29], v[28:29], v[56:57], v[8:9] op_sel_hi:[1,1,0]
	v_mov_b32_e32 v23, v9
	v_pk_fma_f32 v[8:9], v[12:13], v[0:1], v[200:201] op_sel:[0,0,1] op_sel_hi:[1,0,0]
	v_pk_fma_f32 v[10:11], v[10:11], v[56:57], v[30:31] op_sel_hi:[1,1,0] neg_lo:[0,0,1] neg_hi:[0,0,1]
	v_pk_fma_f32 v[30:31], v[14:15], v[0:1], v[202:203] op_sel:[0,0,1] op_sel_hi:[1,0,0]
	v_pk_fma_f32 v[12:13], v[12:13], v[0:1], v[200:201] op_sel:[0,0,1] op_sel_hi:[1,1,0] neg_lo:[0,0,1] neg_hi:[0,0,1]
	s_delay_alu instid0(VALU_DEP_4) | instskip(SKIP_1) | instid1(VALU_DEP_4)
	v_dual_mov_b32 v11, v29 :: v_dual_mov_b32 v13, v9
	v_pk_fma_f32 v[8:9], v[14:15], v[0:1], v[202:203] op_sel:[0,0,1] op_sel_hi:[1,1,0] neg_lo:[0,0,1] neg_hi:[0,0,1]
	v_mov_b32_e32 v9, v31
	s_wait_dscnt 0x1
	v_pk_mul_f32 v[14:15], v[4:5], v[2:3] op_sel:[0,1]
	v_pk_mul_f32 v[28:29], v[6:7], v[2:3] op_sel:[0,1]
	v_pk_add_f32 v[90:91], v[90:91], v[10:11] neg_lo:[0,1] neg_hi:[0,1]
	v_pk_add_f32 v[60:61], v[60:61], v[22:23] neg_lo:[0,1] neg_hi:[0,1]
	;; [unrolled: 1-line block ×3, first 2 shown]
	ds_load_2addr_b64 v[8:11], v26 offset0:27 offset1:28
	v_pk_add_f32 v[86:87], v[86:87], v[12:13] neg_lo:[0,1] neg_hi:[0,1]
	v_pk_fma_f32 v[22:23], v[4:5], v[0:1], v[14:15] op_sel:[0,0,1] op_sel_hi:[1,0,0]
	v_pk_fma_f32 v[4:5], v[4:5], v[0:1], v[14:15] op_sel:[0,0,1] op_sel_hi:[1,1,0] neg_lo:[0,0,1] neg_hi:[0,0,1]
	ds_load_2addr_b64 v[12:15], v26 offset0:29 offset1:30
	v_pk_fma_f32 v[200:201], v[6:7], v[0:1], v[28:29] op_sel:[0,0,1] op_sel_hi:[1,0,0]
	s_wait_dscnt 0x2
	v_dual_mul_f32 v22, v19, v0 :: v_dual_mul_f32 v200, v19, v3
	v_pk_fma_f32 v[6:7], v[6:7], v[0:1], v[28:29] op_sel:[0,0,1] op_sel_hi:[1,1,0] neg_lo:[0,0,1] neg_hi:[0,0,1]
	s_delay_alu instid0(VALU_DEP_3) | instskip(SKIP_1) | instid1(VALU_DEP_4)
	v_dual_mov_b32 v5, v23 :: v_dual_mov_b32 v7, v201
	v_pk_mul_f32 v[30:31], v[20:21], v[2:3] op_sel:[0,1]
	v_pk_fma_f32 v[22:23], v[18:19], v[56:57], v[22:23] op_sel:[1,0,0] op_sel_hi:[0,1,0]
	v_pk_fma_f32 v[18:19], v[18:19], v[56:57], v[200:201] op_sel_hi:[1,1,0] neg_lo:[0,0,1] neg_hi:[0,0,1]
	s_delay_alu instid0(VALU_DEP_4)
	v_pk_add_f32 v[84:85], v[84:85], v[4:5] neg_lo:[0,1] neg_hi:[0,1]
	v_pk_add_f32 v[112:113], v[112:113], v[6:7] neg_lo:[0,1] neg_hi:[0,1]
	ds_load_2addr_b64 v[4:7], v26 offset0:31 offset1:32
	v_pk_fma_f32 v[28:29], v[20:21], v[0:1], v[30:31] op_sel:[0,0,1] op_sel_hi:[1,0,0]
	v_mov_b32_e32 v19, v23
	v_pk_fma_f32 v[20:21], v[20:21], v[0:1], v[30:31] op_sel:[0,0,1] op_sel_hi:[1,1,0] neg_lo:[0,0,1] neg_hi:[0,0,1]
	s_wait_dscnt 0x2
	v_pk_mul_f32 v[22:23], v[10:11], v[2:3] op_sel:[0,1]
	v_mov_b32_e32 v21, v29
	v_pk_add_f32 v[108:109], v[108:109], v[18:19] neg_lo:[0,1] neg_hi:[0,1]
	v_pk_mul_f32 v[18:19], v[8:9], v[2:3] op_sel:[0,1]
	s_wait_dscnt 0x1
	v_pk_mul_f32 v[28:29], v[12:13], v[2:3] op_sel:[0,1]
	v_pk_fma_f32 v[200:201], v[10:11], v[0:1], v[22:23] op_sel:[0,0,1] op_sel_hi:[1,0,0]
	v_pk_add_f32 v[110:111], v[110:111], v[20:21] neg_lo:[0,1] neg_hi:[0,1]
	v_pk_fma_f32 v[10:11], v[10:11], v[0:1], v[22:23] op_sel:[0,0,1] op_sel_hi:[1,1,0] neg_lo:[0,0,1] neg_hi:[0,0,1]
	v_pk_fma_f32 v[30:31], v[8:9], v[0:1], v[18:19] op_sel:[0,0,1] op_sel_hi:[1,0,0]
	v_pk_fma_f32 v[8:9], v[8:9], v[0:1], v[18:19] op_sel:[0,0,1] op_sel_hi:[1,1,0] neg_lo:[0,0,1] neg_hi:[0,0,1]
	ds_load_2addr_b64 v[18:21], v26 offset0:33 offset1:34
	v_pk_fma_f32 v[202:203], v[12:13], v[0:1], v[28:29] op_sel:[0,0,1] op_sel_hi:[1,0,0]
	v_pk_fma_f32 v[12:13], v[12:13], v[0:1], v[28:29] op_sel:[0,0,1] op_sel_hi:[1,1,0] neg_lo:[0,0,1] neg_hi:[0,0,1]
	v_dual_mov_b32 v9, v31 :: v_dual_mov_b32 v11, v201
	s_wait_dscnt 0x1
	v_pk_mul_f32 v[30:31], v[6:7], v[2:3] op_sel:[0,1]
	v_dual_mov_b32 v13, v203 :: v_dual_mov_b32 v22, v15
	v_dual_mov_b32 v23, v14 :: v_dual_mul_f32 v28, v15, v0
	v_pk_add_f32 v[106:107], v[106:107], v[8:9] neg_lo:[0,1] neg_hi:[0,1]
	v_pk_add_f32 v[128:129], v[128:129], v[10:11] neg_lo:[0,1] neg_hi:[0,1]
	s_delay_alu instid0(VALU_DEP_4)
	v_pk_add_f32 v[124:125], v[124:125], v[12:13] neg_lo:[0,1] neg_hi:[0,1]
	ds_load_2addr_b64 v[8:11], v26 offset0:35 offset1:36
	v_pk_fma_f32 v[204:205], v[6:7], v[0:1], v[30:31] op_sel:[0,0,1] op_sel_hi:[1,0,0]
	v_mul_f32_e32 v12, v15, v3
	v_pk_fma_f32 v[22:23], v[22:23], v[56:57], v[28:29] op_sel_hi:[1,1,0]
	v_pk_mul_f32 v[28:29], v[4:5], v[2:3] op_sel:[0,1]
	v_pk_fma_f32 v[6:7], v[6:7], v[0:1], v[30:31] op_sel:[0,0,1] op_sel_hi:[1,1,0] neg_lo:[0,0,1] neg_hi:[0,0,1]
	v_mov_b32_e32 v7, v205
	v_pk_fma_f32 v[200:201], v[14:15], v[56:57], v[12:13] op_sel_hi:[1,1,0] neg_lo:[0,0,1] neg_hi:[0,0,1]
	ds_load_2addr_b64 v[12:15], v26 offset0:37 offset1:38
	v_pk_fma_f32 v[202:203], v[4:5], v[0:1], v[28:29] op_sel:[0,0,1] op_sel_hi:[1,0,0]
	v_mov_b32_e32 v201, v23
	s_wait_dscnt 0x2
	v_pk_mul_f32 v[22:23], v[18:19], v[2:3] op_sel:[0,1]
	v_pk_fma_f32 v[4:5], v[4:5], v[0:1], v[28:29] op_sel:[0,0,1] op_sel_hi:[1,1,0] neg_lo:[0,0,1] neg_hi:[0,0,1]
	v_pk_add_f32 v[144:145], v[144:145], v[6:7] neg_lo:[0,1] neg_hi:[0,1]
	v_mov_b32_e32 v5, v203
	v_pk_add_f32 v[126:127], v[126:127], v[200:201] neg_lo:[0,1] neg_hi:[0,1]
	v_pk_fma_f32 v[28:29], v[18:19], v[0:1], v[22:23] op_sel:[0,0,1] op_sel_hi:[1,0,0]
	v_pk_fma_f32 v[18:19], v[18:19], v[0:1], v[22:23] op_sel:[0,0,1] op_sel_hi:[1,1,0] neg_lo:[0,0,1] neg_hi:[0,0,1]
	v_pk_mul_f32 v[22:23], v[20:21], v[2:3] op_sel:[0,1]
	v_pk_add_f32 v[122:123], v[122:123], v[4:5] neg_lo:[0,1] neg_hi:[0,1]
	s_wait_dscnt 0x1
	v_mul_f32_e32 v28, v9, v0
	v_mov_b32_e32 v19, v29
	ds_load_2addr_b64 v[4:7], v26 offset0:39 offset1:40
	v_pk_add_f32 v[140:141], v[140:141], v[18:19] neg_lo:[0,1] neg_hi:[0,1]
	v_pk_fma_f32 v[18:19], v[20:21], v[0:1], v[22:23] op_sel:[0,0,1] op_sel_hi:[1,1,0] neg_lo:[0,0,1] neg_hi:[0,0,1]
	v_pk_fma_f32 v[20:21], v[20:21], v[0:1], v[22:23] op_sel:[0,0,1] op_sel_hi:[1,0,0]
	v_mul_f32_e32 v20, v9, v3
	v_pk_mul_f32 v[22:23], v[10:11], v[2:3] op_sel:[0,1]
	v_pk_fma_f32 v[28:29], v[8:9], v[56:57], v[28:29] op_sel:[1,0,0] op_sel_hi:[0,1,0]
	s_wait_dscnt 0x1
	v_pk_mul_f32 v[30:31], v[12:13], v[2:3] op_sel:[0,1]
	s_delay_alu instid0(VALU_DEP_3)
	v_pk_fma_f32 v[200:201], v[10:11], v[0:1], v[22:23] op_sel:[0,0,1] op_sel_hi:[1,0,0]
	v_mov_b32_e32 v19, v21
	v_pk_fma_f32 v[20:21], v[8:9], v[56:57], v[20:21] op_sel_hi:[1,1,0] neg_lo:[0,0,1] neg_hi:[0,0,1]
	v_mov_b32_e32 v21, v29
	v_pk_fma_f32 v[28:29], v[12:13], v[0:1], v[30:31] op_sel:[0,0,1] op_sel_hi:[1,0,0]
	v_pk_fma_f32 v[22:23], v[10:11], v[0:1], v[22:23] op_sel:[0,0,1] op_sel_hi:[1,1,0] neg_lo:[0,0,1] neg_hi:[0,0,1]
	ds_load_2addr_b64 v[8:11], v26 offset0:41 offset1:42
	v_pk_fma_f32 v[12:13], v[12:13], v[0:1], v[30:31] op_sel:[0,0,1] op_sel_hi:[1,1,0] neg_lo:[0,0,1] neg_hi:[0,0,1]
	v_dual_mov_b32 v23, v201 :: v_dual_mov_b32 v13, v29
	v_pk_mul_f32 v[28:29], v[14:15], v[2:3] op_sel:[0,1]
	v_pk_add_f32 v[142:143], v[142:143], v[18:19] neg_lo:[0,1] neg_hi:[0,1]
	v_pk_add_f32 v[138:139], v[138:139], v[20:21] neg_lo:[0,1] neg_hi:[0,1]
	s_delay_alu instid0(VALU_DEP_4)
	v_pk_add_f32 v[162:163], v[162:163], v[22:23] neg_lo:[0,1] neg_hi:[0,1]
	s_wait_dscnt 0x1
	v_pk_mul_f32 v[22:23], v[4:5], v[2:3] op_sel:[0,1]
	v_pk_fma_f32 v[18:19], v[14:15], v[0:1], v[28:29] op_sel:[0,0,1] op_sel_hi:[1,1,0] neg_lo:[0,0,1] neg_hi:[0,0,1]
	v_pk_fma_f32 v[20:21], v[14:15], v[0:1], v[28:29] op_sel:[0,0,1] op_sel_hi:[1,0,0]
	v_mov_b32_e32 v28, v7
	v_pk_add_f32 v[158:159], v[158:159], v[12:13] neg_lo:[0,1] neg_hi:[0,1]
	ds_load_2addr_b64 v[12:15], v26 offset0:43 offset1:44
	ds_load_b64 v[30:31], v26 offset:360
	v_dual_mov_b32 v29, v6 :: v_dual_mul_f32 v20, v7, v0
	v_pk_fma_f32 v[200:201], v[4:5], v[0:1], v[22:23] op_sel:[0,0,1] op_sel_hi:[1,0,0]
	v_dual_mov_b32 v19, v21 :: v_dual_mul_f32 v200, v7, v3
	v_pk_fma_f32 v[4:5], v[4:5], v[0:1], v[22:23] op_sel:[0,0,1] op_sel_hi:[1,1,0] neg_lo:[0,0,1] neg_hi:[0,0,1]
	s_delay_alu instid0(VALU_DEP_4)
	v_pk_fma_f32 v[20:21], v[28:29], v[56:57], v[20:21] op_sel_hi:[1,1,0]
	s_wait_dscnt 0x2
	v_pk_mul_f32 v[22:23], v[8:9], v[2:3] op_sel:[0,1]
	v_mov_b32_e32 v5, v201
	v_pk_fma_f32 v[6:7], v[6:7], v[56:57], v[200:201] op_sel_hi:[1,1,0] neg_lo:[0,0,1] neg_hi:[0,0,1]
	v_pk_add_f32 v[160:161], v[160:161], v[18:19] neg_lo:[0,1] neg_hi:[0,1]
	v_mov_b32_e32 v7, v21
	v_pk_fma_f32 v[18:19], v[8:9], v[0:1], v[22:23] op_sel:[0,0,1] op_sel_hi:[1,0,0]
	v_pk_add_f32 v[156:157], v[156:157], v[4:5] neg_lo:[0,1] neg_hi:[0,1]
	v_pk_mul_f32 v[4:5], v[10:11], v[2:3] op_sel:[0,1]
	s_delay_alu instid0(VALU_DEP_4)
	v_pk_add_f32 v[178:179], v[178:179], v[6:7] neg_lo:[0,1] neg_hi:[0,1]
	v_pk_fma_f32 v[6:7], v[8:9], v[0:1], v[22:23] op_sel:[0,0,1] op_sel_hi:[1,1,0] neg_lo:[0,0,1] neg_hi:[0,0,1]
	s_wait_dscnt 0x1
	v_pk_mul_f32 v[8:9], v[12:13], v[2:3] op_sel:[0,1]
	v_mov_b32_e32 v7, v19
	v_pk_fma_f32 v[18:19], v[10:11], v[0:1], v[4:5] op_sel:[0,0,1] op_sel_hi:[1,0,0]
	v_pk_mul_f32 v[20:21], v[14:15], v[2:3] op_sel:[0,1]
	s_wait_dscnt 0x0
	v_pk_mul_f32 v[2:3], v[30:31], v[2:3] op_sel:[0,1]
	v_pk_fma_f32 v[4:5], v[10:11], v[0:1], v[4:5] op_sel:[0,0,1] op_sel_hi:[1,1,0] neg_lo:[0,0,1] neg_hi:[0,0,1]
	v_pk_fma_f32 v[10:11], v[12:13], v[0:1], v[8:9] op_sel:[0,0,1] op_sel_hi:[1,0,0]
	v_mov_b32_e32 v5, v19
	v_pk_fma_f32 v[18:19], v[14:15], v[0:1], v[20:21] op_sel:[0,0,1] op_sel_hi:[1,0,0]
	v_pk_fma_f32 v[8:9], v[12:13], v[0:1], v[8:9] op_sel:[0,0,1] op_sel_hi:[1,1,0] neg_lo:[0,0,1] neg_hi:[0,0,1]
	v_pk_fma_f32 v[12:13], v[30:31], v[0:1], v[2:3] op_sel:[0,0,1] op_sel_hi:[1,0,0]
	v_mov_b32_e32 v9, v11
	v_pk_fma_f32 v[10:11], v[14:15], v[0:1], v[20:21] op_sel:[0,0,1] op_sel_hi:[1,1,0] neg_lo:[0,0,1] neg_hi:[0,0,1]
	v_pk_fma_f32 v[0:1], v[30:31], v[0:1], v[2:3] op_sel:[0,0,1] op_sel_hi:[1,1,0] neg_lo:[0,0,1] neg_hi:[0,0,1]
	s_delay_alu instid0(VALU_DEP_4) | instskip(SKIP_3) | instid1(VALU_DEP_4)
	v_dual_mov_b32 v11, v19 :: v_dual_mov_b32 v1, v13
	v_pk_add_f32 v[174:175], v[174:175], v[6:7] neg_lo:[0,1] neg_hi:[0,1]
	v_pk_add_f32 v[176:177], v[176:177], v[4:5] neg_lo:[0,1] neg_hi:[0,1]
	;; [unrolled: 1-line block ×5, first 2 shown]
.LBB91_64:
	s_or_b32 exec_lo, exec_lo, s1
	s_delay_alu instid0(SALU_CYCLE_1)
	s_mov_b32 s2, exec_lo
	s_wait_dscnt 0x0
	s_barrier_signal -1
	s_barrier_wait -1
	v_cmpx_eq_u32_e32 7, v34
	s_cbranch_execz .LBB91_71
; %bb.65:
	v_dual_mov_b32 v0, v80 :: v_dual_mov_b32 v1, v81
	v_dual_mov_b32 v2, v50 :: v_dual_mov_b32 v3, v51
	;; [unrolled: 1-line block ×4, first 2 shown]
	ds_store_b64 v35, v[52:53]
	ds_store_2addr_b64 v26, v[0:1], v[2:3] offset0:8 offset1:9
	ds_store_2addr_b64 v26, v[4:5], v[6:7] offset0:10 offset1:11
	v_dual_mov_b32 v0, v104 :: v_dual_mov_b32 v1, v105
	v_dual_mov_b32 v2, v38 :: v_dual_mov_b32 v3, v39
	v_dual_mov_b32 v4, v40 :: v_dual_mov_b32 v5, v41
	v_dual_mov_b32 v6, v36 :: v_dual_mov_b32 v7, v37
	v_dual_mov_b32 v8, v66 :: v_dual_mov_b32 v9, v67
	v_dual_mov_b32 v10, v62 :: v_dual_mov_b32 v11, v63
	v_dual_mov_b32 v12, v64 :: v_dual_mov_b32 v13, v65
	v_dual_mov_b32 v14, v60 :: v_dual_mov_b32 v15, v61
	v_dual_mov_b32 v18, v90 :: v_dual_mov_b32 v19, v91
	v_dual_mov_b32 v20, v86 :: v_dual_mov_b32 v21, v87
	v_dual_mov_b32 v22, v88 :: v_dual_mov_b32 v23, v89
	v_dual_mov_b32 v28, v84 :: v_dual_mov_b32 v29, v85
	ds_store_2addr_b64 v26, v[0:1], v[2:3] offset0:12 offset1:13
	ds_store_2addr_b64 v26, v[4:5], v[6:7] offset0:14 offset1:15
	;; [unrolled: 1-line block ×6, first 2 shown]
	v_dual_mov_b32 v0, v112 :: v_dual_mov_b32 v1, v113
	v_dual_mov_b32 v2, v108 :: v_dual_mov_b32 v3, v109
	;; [unrolled: 1-line block ×12, first 2 shown]
	ds_store_2addr_b64 v26, v[0:1], v[2:3] offset0:24 offset1:25
	ds_store_2addr_b64 v26, v[4:5], v[6:7] offset0:26 offset1:27
	;; [unrolled: 1-line block ×6, first 2 shown]
	v_dual_mov_b32 v0, v162 :: v_dual_mov_b32 v1, v163
	v_dual_mov_b32 v2, v158 :: v_dual_mov_b32 v3, v159
	;; [unrolled: 1-line block ×9, first 2 shown]
	ds_store_2addr_b64 v26, v[0:1], v[2:3] offset0:36 offset1:37
	ds_store_2addr_b64 v26, v[4:5], v[6:7] offset0:38 offset1:39
	;; [unrolled: 1-line block ×5, first 2 shown]
	ds_load_b64 v[0:1], v35
	s_wait_dscnt 0x0
	v_cmp_neq_f32_e32 vcc_lo, 0, v0
	v_cmp_neq_f32_e64 s1, 0, v1
	s_or_b32 s1, vcc_lo, s1
	s_delay_alu instid0(SALU_CYCLE_1)
	s_and_b32 exec_lo, exec_lo, s1
	s_cbranch_execz .LBB91_71
; %bb.66:
	v_cmp_ngt_f32_e64 s1, |v0|, |v1|
                                        ; implicit-def: $vgpr2_vgpr3
	s_and_saveexec_b32 s4, s1
	s_delay_alu instid0(SALU_CYCLE_1)
	s_xor_b32 s1, exec_lo, s4
	s_cbranch_execz .LBB91_68
; %bb.67:
	v_div_scale_f32 v2, null, v1, v1, v0
	v_div_scale_f32 v5, vcc_lo, v0, v1, v0
	s_delay_alu instid0(VALU_DEP_2) | instskip(SKIP_1) | instid1(TRANS32_DEP_1)
	v_rcp_f32_e32 v3, v2
	v_nop
	v_fma_f32 v4, -v2, v3, 1.0
	s_delay_alu instid0(VALU_DEP_1) | instskip(NEXT) | instid1(VALU_DEP_1)
	v_fmac_f32_e32 v3, v4, v3
	v_mul_f32_e32 v4, v5, v3
	s_delay_alu instid0(VALU_DEP_1) | instskip(NEXT) | instid1(VALU_DEP_1)
	v_fma_f32 v6, -v2, v4, v5
	v_fmac_f32_e32 v4, v6, v3
	s_delay_alu instid0(VALU_DEP_1) | instskip(NEXT) | instid1(VALU_DEP_1)
	v_fma_f32 v2, -v2, v4, v5
	v_div_fmas_f32 v2, v2, v3, v4
	s_delay_alu instid0(VALU_DEP_1) | instskip(NEXT) | instid1(VALU_DEP_1)
	v_div_fixup_f32 v2, v2, v1, v0
	v_fmac_f32_e32 v1, v0, v2
	s_delay_alu instid0(VALU_DEP_1) | instskip(SKIP_1) | instid1(VALU_DEP_2)
	v_div_scale_f32 v0, null, v1, v1, 1.0
	v_div_scale_f32 v5, vcc_lo, 1.0, v1, 1.0
	v_rcp_f32_e32 v3, v0
	v_nop
	s_delay_alu instid0(TRANS32_DEP_1) | instskip(NEXT) | instid1(VALU_DEP_1)
	v_fma_f32 v4, -v0, v3, 1.0
	v_fmac_f32_e32 v3, v4, v3
	s_delay_alu instid0(VALU_DEP_1) | instskip(NEXT) | instid1(VALU_DEP_1)
	v_mul_f32_e32 v4, v5, v3
	v_fma_f32 v6, -v0, v4, v5
	s_delay_alu instid0(VALU_DEP_1) | instskip(NEXT) | instid1(VALU_DEP_1)
	v_fmac_f32_e32 v4, v6, v3
	v_fma_f32 v0, -v0, v4, v5
	s_delay_alu instid0(VALU_DEP_1) | instskip(NEXT) | instid1(VALU_DEP_1)
	v_div_fmas_f32 v0, v0, v3, v4
	v_div_fixup_f32 v0, v0, v1, 1.0
	s_delay_alu instid0(VALU_DEP_1)
	v_mul_f32_e32 v2, v2, v0
	v_xor_b32_e32 v3, 0x80000000, v0
                                        ; implicit-def: $vgpr0_vgpr1
.LBB91_68:
	s_and_not1_saveexec_b32 s1, s1
	s_cbranch_execz .LBB91_70
; %bb.69:
	v_div_scale_f32 v2, null, v0, v0, v1
	v_div_scale_f32 v5, vcc_lo, v1, v0, v1
	s_delay_alu instid0(VALU_DEP_2) | instskip(SKIP_1) | instid1(TRANS32_DEP_1)
	v_rcp_f32_e32 v3, v2
	v_nop
	v_fma_f32 v4, -v2, v3, 1.0
	s_delay_alu instid0(VALU_DEP_1) | instskip(NEXT) | instid1(VALU_DEP_1)
	v_fmac_f32_e32 v3, v4, v3
	v_mul_f32_e32 v4, v5, v3
	s_delay_alu instid0(VALU_DEP_1) | instskip(NEXT) | instid1(VALU_DEP_1)
	v_fma_f32 v6, -v2, v4, v5
	v_fmac_f32_e32 v4, v6, v3
	s_delay_alu instid0(VALU_DEP_1) | instskip(NEXT) | instid1(VALU_DEP_1)
	v_fma_f32 v2, -v2, v4, v5
	v_div_fmas_f32 v2, v2, v3, v4
	s_delay_alu instid0(VALU_DEP_1) | instskip(NEXT) | instid1(VALU_DEP_1)
	v_div_fixup_f32 v3, v2, v0, v1
	v_fmac_f32_e32 v0, v1, v3
	s_delay_alu instid0(VALU_DEP_1) | instskip(NEXT) | instid1(VALU_DEP_1)
	v_div_scale_f32 v1, null, v0, v0, 1.0
	v_rcp_f32_e32 v2, v1
	v_nop
	s_delay_alu instid0(TRANS32_DEP_1) | instskip(NEXT) | instid1(VALU_DEP_1)
	v_fma_f32 v4, -v1, v2, 1.0
	v_fmac_f32_e32 v2, v4, v2
	v_div_scale_f32 v4, vcc_lo, 1.0, v0, 1.0
	s_delay_alu instid0(VALU_DEP_1) | instskip(NEXT) | instid1(VALU_DEP_1)
	v_mul_f32_e32 v5, v4, v2
	v_fma_f32 v6, -v1, v5, v4
	s_delay_alu instid0(VALU_DEP_1) | instskip(NEXT) | instid1(VALU_DEP_1)
	v_fmac_f32_e32 v5, v6, v2
	v_fma_f32 v1, -v1, v5, v4
	s_delay_alu instid0(VALU_DEP_1) | instskip(NEXT) | instid1(VALU_DEP_1)
	v_div_fmas_f32 v1, v1, v2, v5
	v_div_fixup_f32 v2, v1, v0, 1.0
	s_delay_alu instid0(VALU_DEP_1)
	v_mul_f32_e64 v3, v3, -v2
.LBB91_70:
	s_or_b32 exec_lo, exec_lo, s1
	ds_store_b64 v35, v[2:3]
.LBB91_71:
	s_or_b32 exec_lo, exec_lo, s2
	s_wait_dscnt 0x0
	s_barrier_signal -1
	s_barrier_wait -1
	ds_load_b64 v[200:201], v35
	s_mov_b32 s1, exec_lo
	v_cmpx_lt_u32_e32 7, v34
	s_cbranch_execz .LBB91_73
; %bb.72:
	ds_load_2addr_b64 v[4:7], v26 offset0:8 offset1:9
	ds_load_2addr_b64 v[8:11], v26 offset0:10 offset1:11
	;; [unrolled: 1-line block ×3, first 2 shown]
	s_wait_dscnt 0x3
	v_pk_mul_f32 v[2:3], v[200:201], v[52:53] op_sel:[1,1] op_sel_hi:[0,1]
	ds_load_2addr_b64 v[18:21], v26 offset0:14 offset1:15
	ds_load_2addr_b64 v[202:205], v26 offset0:16 offset1:17
	v_pk_fma_f32 v[0:1], v[200:201], v[52:53], v[2:3] op_sel_hi:[1,0,1] neg_lo:[0,0,1] neg_hi:[0,0,1]
	v_pk_fma_f32 v[2:3], v[200:201], v[52:53], v[2:3] op_sel_hi:[1,0,1]
	s_delay_alu instid0(VALU_DEP_1) | instskip(SKIP_1) | instid1(VALU_DEP_2)
	v_dual_mov_b32 v52, v0 :: v_dual_mov_b32 v53, v3
	s_wait_dscnt 0x4
	v_pk_mul_f32 v[22:23], v[4:5], v[2:3] op_sel:[0,1]
	v_pk_mul_f32 v[28:29], v[6:7], v[2:3] op_sel:[0,1]
	s_wait_dscnt 0x3
	v_pk_mul_f32 v[30:31], v[8:9], v[2:3] op_sel:[0,1]
	v_dual_mov_b32 v206, v11 :: v_dual_mov_b32 v207, v10
	v_dual_mul_f32 v208, v11, v3 :: v_dual_mul_f32 v210, v11, v0
	v_pk_fma_f32 v[216:217], v[4:5], v[0:1], v[22:23] op_sel:[0,0,1] op_sel_hi:[1,1,0] neg_lo:[0,0,1] neg_hi:[0,0,1]
	v_pk_fma_f32 v[4:5], v[4:5], v[0:1], v[22:23] op_sel:[0,0,1] op_sel_hi:[1,0,0]
	v_pk_fma_f32 v[22:23], v[6:7], v[0:1], v[28:29] op_sel:[0,0,1] op_sel_hi:[1,1,0] neg_lo:[0,0,1] neg_hi:[0,0,1]
	v_pk_fma_f32 v[6:7], v[6:7], v[0:1], v[28:29] op_sel:[0,0,1] op_sel_hi:[1,0,0]
	;; [unrolled: 2-line block ×3, first 2 shown]
	v_pk_fma_f32 v[30:31], v[206:207], v[52:53], v[210:211] op_sel_hi:[1,1,0]
	s_wait_dscnt 0x2
	v_pk_mul_f32 v[212:213], v[12:13], v[2:3] op_sel:[0,1]
	v_dual_mov_b32 v217, v5 :: v_dual_mov_b32 v23, v7
	v_pk_fma_f32 v[10:11], v[10:11], v[52:53], v[208:209] op_sel_hi:[1,1,0] neg_lo:[0,0,1] neg_hi:[0,0,1]
	v_dual_mov_b32 v29, v9 :: v_dual_mov_b32 v11, v31
	v_pk_mul_f32 v[214:215], v[14:15], v[2:3] op_sel:[0,1]
	v_pk_fma_f32 v[8:9], v[12:13], v[0:1], v[212:213] op_sel:[0,0,1] op_sel_hi:[1,0,0]
	v_pk_add_f32 v[50:51], v[50:51], v[22:23] neg_lo:[0,1] neg_hi:[0,1]
	s_wait_dscnt 0x1
	v_pk_mul_f32 v[22:23], v[18:19], v[2:3] op_sel:[0,1]
	v_pk_add_f32 v[76:77], v[76:77], v[10:11] neg_lo:[0,1] neg_hi:[0,1]
	v_pk_fma_f32 v[10:11], v[12:13], v[0:1], v[212:213] op_sel:[0,0,1] op_sel_hi:[1,1,0] neg_lo:[0,0,1] neg_hi:[0,0,1]
	v_pk_fma_f32 v[12:13], v[14:15], v[0:1], v[214:215] op_sel:[0,0,1] op_sel_hi:[1,0,0]
	v_mov_b32_e32 v11, v9
	v_pk_add_f32 v[78:79], v[78:79], v[28:29] neg_lo:[0,1] neg_hi:[0,1]
	ds_load_2addr_b64 v[4:7], v26 offset0:18 offset1:19
	v_pk_fma_f32 v[28:29], v[18:19], v[0:1], v[22:23] op_sel:[0,0,1] op_sel_hi:[1,0,0]
	v_pk_fma_f32 v[8:9], v[14:15], v[0:1], v[214:215] op_sel:[0,0,1] op_sel_hi:[1,1,0] neg_lo:[0,0,1] neg_hi:[0,0,1]
	v_pk_mul_f32 v[14:15], v[20:21], v[2:3] op_sel:[0,1]
	v_mov_b32_e32 v9, v13
	v_pk_add_f32 v[104:105], v[104:105], v[10:11] neg_lo:[0,1] neg_hi:[0,1]
	v_pk_fma_f32 v[10:11], v[18:19], v[0:1], v[22:23] op_sel:[0,0,1] op_sel_hi:[1,1,0] neg_lo:[0,0,1] neg_hi:[0,0,1]
	v_mov_b32_e32 v11, v29
	v_pk_fma_f32 v[12:13], v[20:21], v[0:1], v[14:15] op_sel:[0,0,1] op_sel_hi:[1,0,0]
	s_wait_dscnt 0x1
	v_mul_f32_e32 v12, v203, v0
	v_pk_add_f32 v[38:39], v[38:39], v[8:9] neg_lo:[0,1] neg_hi:[0,1]
	v_pk_fma_f32 v[14:15], v[20:21], v[0:1], v[14:15] op_sel:[0,0,1] op_sel_hi:[1,1,0] neg_lo:[0,0,1] neg_hi:[0,0,1]
	v_pk_add_f32 v[40:41], v[40:41], v[10:11] neg_lo:[0,1] neg_hi:[0,1]
	ds_load_2addr_b64 v[8:11], v26 offset0:20 offset1:21
	v_dual_mov_b32 v15, v13 :: v_dual_mul_f32 v18, v203, v3
	v_pk_fma_f32 v[12:13], v[202:203], v[52:53], v[12:13] op_sel:[1,0,0] op_sel_hi:[0,1,0]
	v_pk_mul_f32 v[20:21], v[204:205], v[2:3] op_sel:[0,1]
	v_pk_add_f32 v[80:81], v[80:81], v[216:217] neg_lo:[0,1] neg_hi:[0,1]
	s_delay_alu instid0(VALU_DEP_4)
	v_pk_add_f32 v[36:37], v[36:37], v[14:15] neg_lo:[0,1] neg_hi:[0,1]
	v_pk_fma_f32 v[18:19], v[202:203], v[52:53], v[18:19] op_sel_hi:[1,1,0] neg_lo:[0,0,1] neg_hi:[0,0,1]
	s_wait_dscnt 0x1
	v_pk_mul_f32 v[22:23], v[4:5], v[2:3] op_sel:[0,1]
	v_pk_fma_f32 v[30:31], v[204:205], v[0:1], v[20:21] op_sel:[0,0,1] op_sel_hi:[1,0,0]
	v_mov_b32_e32 v19, v13
	ds_load_2addr_b64 v[12:15], v26 offset0:22 offset1:23
	v_pk_mul_f32 v[28:29], v[6:7], v[2:3] op_sel:[0,1]
	v_pk_fma_f32 v[202:203], v[4:5], v[0:1], v[22:23] op_sel:[0,0,1] op_sel_hi:[1,0,0]
	v_pk_fma_f32 v[20:21], v[204:205], v[0:1], v[20:21] op_sel:[0,0,1] op_sel_hi:[1,1,0] neg_lo:[0,0,1] neg_hi:[0,0,1]
	v_pk_fma_f32 v[4:5], v[4:5], v[0:1], v[22:23] op_sel:[0,0,1] op_sel_hi:[1,1,0] neg_lo:[0,0,1] neg_hi:[0,0,1]
	v_mov_b32_e32 v21, v31
	v_pk_fma_f32 v[204:205], v[6:7], v[0:1], v[28:29] op_sel:[0,0,1] op_sel_hi:[1,0,0]
	v_pk_fma_f32 v[6:7], v[6:7], v[0:1], v[28:29] op_sel:[0,0,1] op_sel_hi:[1,1,0] neg_lo:[0,0,1] neg_hi:[0,0,1]
	v_mov_b32_e32 v5, v203
	v_pk_add_f32 v[66:67], v[66:67], v[18:19] neg_lo:[0,1] neg_hi:[0,1]
	s_wait_dscnt 0x1
	v_pk_mul_f32 v[18:19], v[8:9], v[2:3] op_sel:[0,1]
	v_mov_b32_e32 v7, v205
	v_pk_add_f32 v[62:63], v[62:63], v[20:21] neg_lo:[0,1] neg_hi:[0,1]
	v_pk_add_f32 v[64:65], v[64:65], v[4:5] neg_lo:[0,1] neg_hi:[0,1]
	v_dual_mov_b32 v22, v11 :: v_dual_mov_b32 v23, v10
	s_delay_alu instid0(VALU_DEP_4)
	v_pk_add_f32 v[60:61], v[60:61], v[6:7] neg_lo:[0,1] neg_hi:[0,1]
	ds_load_2addr_b64 v[4:7], v26 offset0:24 offset1:25
	v_pk_fma_f32 v[20:21], v[8:9], v[0:1], v[18:19] op_sel:[0,0,1] op_sel_hi:[1,0,0]
	v_pk_fma_f32 v[8:9], v[8:9], v[0:1], v[18:19] op_sel:[0,0,1] op_sel_hi:[1,1,0] neg_lo:[0,0,1] neg_hi:[0,0,1]
	v_mul_f32_e32 v28, v11, v0
	s_wait_dscnt 0x1
	v_pk_mul_f32 v[30:31], v[12:13], v[2:3] op_sel:[0,1]
	v_mov_b32_e32 v9, v21
	ds_load_2addr_b64 v[18:21], v26 offset0:26 offset1:27
	v_pk_fma_f32 v[22:23], v[22:23], v[52:53], v[28:29] op_sel_hi:[1,1,0]
	v_pk_fma_f32 v[28:29], v[12:13], v[0:1], v[30:31] op_sel:[0,0,1] op_sel_hi:[1,0,0]
	v_mul_f32_e32 v202, v11, v3
	v_pk_add_f32 v[90:91], v[90:91], v[8:9] neg_lo:[0,1] neg_hi:[0,1]
	v_pk_mul_f32 v[8:9], v[14:15], v[2:3] op_sel:[0,1]
	v_pk_fma_f32 v[12:13], v[12:13], v[0:1], v[30:31] op_sel:[0,0,1] op_sel_hi:[1,1,0] neg_lo:[0,0,1] neg_hi:[0,0,1]
	v_mov_b32_e32 v13, v29
	v_pk_fma_f32 v[202:203], v[10:11], v[52:53], v[202:203] op_sel_hi:[1,1,0] neg_lo:[0,0,1] neg_hi:[0,0,1]
	v_mov_b32_e32 v203, v23
	v_pk_fma_f32 v[22:23], v[14:15], v[0:1], v[8:9] op_sel:[0,0,1] op_sel_hi:[1,0,0]
	v_pk_fma_f32 v[14:15], v[14:15], v[0:1], v[8:9] op_sel:[0,0,1] op_sel_hi:[1,1,0] neg_lo:[0,0,1] neg_hi:[0,0,1]
	ds_load_2addr_b64 v[8:11], v26 offset0:28 offset1:29
	s_wait_dscnt 0x2
	v_pk_mul_f32 v[28:29], v[4:5], v[2:3] op_sel:[0,1]
	v_pk_add_f32 v[88:89], v[88:89], v[12:13] neg_lo:[0,1] neg_hi:[0,1]
	v_mov_b32_e32 v15, v23
	v_pk_mul_f32 v[22:23], v[6:7], v[2:3] op_sel:[0,1]
	v_pk_add_f32 v[86:87], v[86:87], v[202:203] neg_lo:[0,1] neg_hi:[0,1]
	v_pk_fma_f32 v[12:13], v[4:5], v[0:1], v[28:29] op_sel:[0,0,1] op_sel_hi:[1,0,0]
	s_delay_alu instid0(VALU_DEP_4)
	v_pk_add_f32 v[84:85], v[84:85], v[14:15] neg_lo:[0,1] neg_hi:[0,1]
	v_pk_fma_f32 v[14:15], v[4:5], v[0:1], v[28:29] op_sel:[0,0,1] op_sel_hi:[1,1,0] neg_lo:[0,0,1] neg_hi:[0,0,1]
	v_pk_fma_f32 v[28:29], v[6:7], v[0:1], v[22:23] op_sel:[0,0,1] op_sel_hi:[1,0,0]
	s_wait_dscnt 0x1
	v_dual_mul_f32 v12, v19, v0 :: v_dual_mov_b32 v15, v13
	v_mul_f32_e32 v28, v19, v3
	v_pk_fma_f32 v[22:23], v[6:7], v[0:1], v[22:23] op_sel:[0,0,1] op_sel_hi:[1,1,0] neg_lo:[0,0,1] neg_hi:[0,0,1]
	ds_load_2addr_b64 v[4:7], v26 offset0:30 offset1:31
	v_pk_fma_f32 v[12:13], v[18:19], v[52:53], v[12:13] op_sel:[1,0,0] op_sel_hi:[0,1,0]
	v_mov_b32_e32 v23, v29
	v_pk_fma_f32 v[18:19], v[18:19], v[52:53], v[28:29] op_sel_hi:[1,1,0] neg_lo:[0,0,1] neg_hi:[0,0,1]
	v_pk_mul_f32 v[28:29], v[20:21], v[2:3] op_sel:[0,1]
	s_wait_dscnt 0x1
	v_pk_mul_f32 v[30:31], v[8:9], v[2:3] op_sel:[0,1]
	v_pk_add_f32 v[112:113], v[112:113], v[14:15] neg_lo:[0,1] neg_hi:[0,1]
	v_pk_add_f32 v[108:109], v[108:109], v[22:23] neg_lo:[0,1] neg_hi:[0,1]
	v_pk_fma_f32 v[22:23], v[20:21], v[0:1], v[28:29] op_sel:[0,0,1] op_sel_hi:[1,0,0]
	v_mov_b32_e32 v19, v13
	v_pk_fma_f32 v[20:21], v[20:21], v[0:1], v[28:29] op_sel:[0,0,1] op_sel_hi:[1,1,0] neg_lo:[0,0,1] neg_hi:[0,0,1]
	ds_load_2addr_b64 v[12:15], v26 offset0:32 offset1:33
	v_pk_fma_f32 v[202:203], v[8:9], v[0:1], v[30:31] op_sel:[0,0,1] op_sel_hi:[1,0,0]
	v_mov_b32_e32 v21, v23
	v_pk_add_f32 v[110:111], v[110:111], v[18:19] neg_lo:[0,1] neg_hi:[0,1]
	v_pk_mul_f32 v[18:19], v[10:11], v[2:3] op_sel:[0,1]
	v_pk_fma_f32 v[8:9], v[8:9], v[0:1], v[30:31] op_sel:[0,0,1] op_sel_hi:[1,1,0] neg_lo:[0,0,1] neg_hi:[0,0,1]
	s_delay_alu instid0(VALU_DEP_4)
	v_pk_add_f32 v[106:107], v[106:107], v[20:21] neg_lo:[0,1] neg_hi:[0,1]
	s_wait_dscnt 0x1
	v_pk_mul_f32 v[22:23], v[4:5], v[2:3] op_sel:[0,1]
	v_pk_fma_f32 v[28:29], v[10:11], v[0:1], v[18:19] op_sel:[0,0,1] op_sel_hi:[1,0,0]
	v_mov_b32_e32 v9, v203
	v_pk_fma_f32 v[18:19], v[10:11], v[0:1], v[18:19] op_sel:[0,0,1] op_sel_hi:[1,1,0] neg_lo:[0,0,1] neg_hi:[0,0,1]
	v_dual_mul_f32 v28, v7, v0 :: v_dual_mul_f32 v30, v7, v3
	s_delay_alu instid0(VALU_DEP_4) | instskip(NEXT) | instid1(VALU_DEP_4)
	v_mov_b32_e32 v19, v29
	v_pk_add_f32 v[128:129], v[128:129], v[8:9] neg_lo:[0,1] neg_hi:[0,1]
	ds_load_2addr_b64 v[8:11], v26 offset0:34 offset1:35
	v_pk_fma_f32 v[30:31], v[6:7], v[52:53], v[30:31] op_sel_hi:[1,1,0] neg_lo:[0,0,1] neg_hi:[0,0,1]
	v_pk_add_f32 v[124:125], v[124:125], v[18:19] neg_lo:[0,1] neg_hi:[0,1]
	v_pk_fma_f32 v[18:19], v[4:5], v[0:1], v[22:23] op_sel:[0,0,1] op_sel_hi:[1,0,0]
	v_pk_fma_f32 v[4:5], v[4:5], v[0:1], v[22:23] op_sel:[0,0,1] op_sel_hi:[1,1,0] neg_lo:[0,0,1] neg_hi:[0,0,1]
	v_dual_mov_b32 v22, v7 :: v_dual_mov_b32 v23, v6
	s_wait_dscnt 0x1
	v_pk_mul_f32 v[202:203], v[12:13], v[2:3] op_sel:[0,1]
	s_delay_alu instid0(VALU_DEP_2)
	v_pk_fma_f32 v[22:23], v[22:23], v[52:53], v[28:29] op_sel_hi:[1,1,0]
	v_mov_b32_e32 v5, v19
	ds_load_2addr_b64 v[18:21], v26 offset0:36 offset1:37
	v_pk_mul_f32 v[28:29], v[14:15], v[2:3] op_sel:[0,1]
	v_mov_b32_e32 v31, v23
	v_pk_add_f32 v[126:127], v[126:127], v[4:5] neg_lo:[0,1] neg_hi:[0,1]
	v_pk_fma_f32 v[4:5], v[12:13], v[0:1], v[202:203] op_sel:[0,0,1] op_sel_hi:[1,0,0]
	v_pk_fma_f32 v[12:13], v[12:13], v[0:1], v[202:203] op_sel:[0,0,1] op_sel_hi:[1,1,0] neg_lo:[0,0,1] neg_hi:[0,0,1]
	v_pk_fma_f32 v[22:23], v[14:15], v[0:1], v[28:29] op_sel:[0,0,1] op_sel_hi:[1,0,0]
	s_wait_dscnt 0x1
	v_pk_mul_f32 v[202:203], v[8:9], v[2:3] op_sel:[0,1]
	v_pk_fma_f32 v[14:15], v[14:15], v[0:1], v[28:29] op_sel:[0,0,1] op_sel_hi:[1,1,0] neg_lo:[0,0,1] neg_hi:[0,0,1]
	v_mov_b32_e32 v13, v5
	ds_load_2addr_b64 v[4:7], v26 offset0:38 offset1:39
	v_mov_b32_e32 v15, v23
	v_pk_mul_f32 v[22:23], v[10:11], v[2:3] op_sel:[0,1]
	v_pk_add_f32 v[122:123], v[122:123], v[30:31] neg_lo:[0,1] neg_hi:[0,1]
	v_pk_add_f32 v[144:145], v[144:145], v[12:13] neg_lo:[0,1] neg_hi:[0,1]
	v_pk_fma_f32 v[12:13], v[8:9], v[0:1], v[202:203] op_sel:[0,0,1] op_sel_hi:[1,0,0]
	v_pk_fma_f32 v[8:9], v[8:9], v[0:1], v[202:203] op_sel:[0,0,1] op_sel_hi:[1,1,0] neg_lo:[0,0,1] neg_hi:[0,0,1]
	v_pk_add_f32 v[140:141], v[140:141], v[14:15] neg_lo:[0,1] neg_hi:[0,1]
	v_pk_fma_f32 v[30:31], v[10:11], v[0:1], v[22:23] op_sel:[0,0,1] op_sel_hi:[1,0,0]
	s_wait_dscnt 0x1
	v_dual_mul_f32 v28, v19, v0 :: v_dual_mov_b32 v9, v13
	ds_load_2addr_b64 v[12:15], v26 offset0:40 offset1:41
	v_pk_fma_f32 v[10:11], v[10:11], v[0:1], v[22:23] op_sel:[0,0,1] op_sel_hi:[1,1,0] neg_lo:[0,0,1] neg_hi:[0,0,1]
	v_pk_mul_f32 v[22:23], v[20:21], v[2:3] op_sel:[0,1]
	v_pk_fma_f32 v[28:29], v[18:19], v[52:53], v[28:29] op_sel:[1,0,0] op_sel_hi:[0,1,0]
	v_mul_f32_e32 v30, v19, v3
	v_pk_add_f32 v[142:143], v[142:143], v[8:9] neg_lo:[0,1] neg_hi:[0,1]
	s_delay_alu instid0(VALU_DEP_4) | instskip(SKIP_1) | instid1(VALU_DEP_4)
	v_pk_fma_f32 v[8:9], v[20:21], v[0:1], v[22:23] op_sel:[0,0,1] op_sel_hi:[1,0,0]
	v_mov_b32_e32 v11, v31
	v_pk_fma_f32 v[18:19], v[18:19], v[52:53], v[30:31] op_sel_hi:[1,1,0] neg_lo:[0,0,1] neg_hi:[0,0,1]
	v_mov_b32_e32 v19, v29
	s_wait_dscnt 0x1
	v_pk_mul_f32 v[28:29], v[4:5], v[2:3] op_sel:[0,1]
	v_pk_fma_f32 v[20:21], v[20:21], v[0:1], v[22:23] op_sel:[0,0,1] op_sel_hi:[1,1,0] neg_lo:[0,0,1] neg_hi:[0,0,1]
	v_mov_b32_e32 v21, v9
	v_pk_add_f32 v[138:139], v[138:139], v[10:11] neg_lo:[0,1] neg_hi:[0,1]
	v_pk_add_f32 v[162:163], v[162:163], v[18:19] neg_lo:[0,1] neg_hi:[0,1]
	v_pk_fma_f32 v[18:19], v[4:5], v[0:1], v[28:29] op_sel:[0,0,1] op_sel_hi:[1,0,0]
	ds_load_2addr_b64 v[8:11], v26 offset0:42 offset1:43
	v_pk_fma_f32 v[4:5], v[4:5], v[0:1], v[28:29] op_sel:[0,0,1] op_sel_hi:[1,1,0] neg_lo:[0,0,1] neg_hi:[0,0,1]
	v_pk_mul_f32 v[22:23], v[6:7], v[2:3] op_sel:[0,1]
	v_pk_add_f32 v[158:159], v[158:159], v[20:21] neg_lo:[0,1] neg_hi:[0,1]
	s_wait_dscnt 0x1
	v_dual_mov_b32 v5, v19 :: v_dual_mov_b32 v30, v15
	ds_load_2addr_b64 v[18:21], v26 offset0:44 offset1:45
	v_pk_mul_f32 v[28:29], v[12:13], v[2:3] op_sel:[0,1]
	v_mov_b32_e32 v31, v14
	v_pk_add_f32 v[160:161], v[160:161], v[4:5] neg_lo:[0,1] neg_hi:[0,1]
	v_pk_fma_f32 v[4:5], v[6:7], v[0:1], v[22:23] op_sel:[0,0,1] op_sel_hi:[1,1,0] neg_lo:[0,0,1] neg_hi:[0,0,1]
	v_pk_fma_f32 v[6:7], v[6:7], v[0:1], v[22:23] op_sel:[0,0,1] op_sel_hi:[1,0,0]
	v_pk_fma_f32 v[22:23], v[12:13], v[0:1], v[28:29] op_sel:[0,0,1] op_sel_hi:[1,0,0]
	v_mul_f32_e32 v6, v15, v0
	v_pk_fma_f32 v[12:13], v[12:13], v[0:1], v[28:29] op_sel:[0,0,1] op_sel_hi:[1,1,0] neg_lo:[0,0,1] neg_hi:[0,0,1]
	v_mul_f32_e32 v22, v15, v3
	s_delay_alu instid0(VALU_DEP_4) | instskip(NEXT) | instid1(VALU_DEP_4)
	v_dual_mov_b32 v5, v7 :: v_dual_mov_b32 v13, v23
	v_pk_fma_f32 v[6:7], v[30:31], v[52:53], v[6:7] op_sel_hi:[1,1,0]
	s_delay_alu instid0(VALU_DEP_2)
	v_pk_add_f32 v[156:157], v[156:157], v[4:5] neg_lo:[0,1] neg_hi:[0,1]
	s_wait_dscnt 0x1
	v_pk_mul_f32 v[4:5], v[8:9], v[2:3] op_sel:[0,1]
	v_pk_add_f32 v[178:179], v[178:179], v[12:13] neg_lo:[0,1] neg_hi:[0,1]
	v_pk_fma_f32 v[12:13], v[14:15], v[52:53], v[22:23] op_sel_hi:[1,1,0] neg_lo:[0,0,1] neg_hi:[0,0,1]
	v_mov_b32_e32 v13, v7
	v_pk_mul_f32 v[6:7], v[10:11], v[2:3] op_sel:[0,1]
	v_pk_fma_f32 v[14:15], v[8:9], v[0:1], v[4:5] op_sel:[0,0,1] op_sel_hi:[1,0,0]
	s_wait_dscnt 0x0
	v_pk_mul_f32 v[22:23], v[18:19], v[2:3] op_sel:[0,1]
	v_pk_mul_f32 v[2:3], v[20:21], v[2:3] op_sel:[0,1]
	v_pk_fma_f32 v[4:5], v[8:9], v[0:1], v[4:5] op_sel:[0,0,1] op_sel_hi:[1,1,0] neg_lo:[0,0,1] neg_hi:[0,0,1]
	v_pk_fma_f32 v[8:9], v[10:11], v[0:1], v[6:7] op_sel:[0,0,1] op_sel_hi:[1,0,0]
	v_mov_b32_e32 v5, v15
	v_pk_fma_f32 v[14:15], v[18:19], v[0:1], v[22:23] op_sel:[0,0,1] op_sel_hi:[1,0,0]
	v_pk_fma_f32 v[6:7], v[10:11], v[0:1], v[6:7] op_sel:[0,0,1] op_sel_hi:[1,1,0] neg_lo:[0,0,1] neg_hi:[0,0,1]
	v_pk_fma_f32 v[10:11], v[20:21], v[0:1], v[2:3] op_sel:[0,0,1] op_sel_hi:[1,0,0]
	v_mov_b32_e32 v7, v9
	v_pk_fma_f32 v[8:9], v[18:19], v[0:1], v[22:23] op_sel:[0,0,1] op_sel_hi:[1,1,0] neg_lo:[0,0,1] neg_hi:[0,0,1]
	v_pk_fma_f32 v[0:1], v[20:21], v[0:1], v[2:3] op_sel:[0,0,1] op_sel_hi:[1,1,0] neg_lo:[0,0,1] neg_hi:[0,0,1]
	s_delay_alu instid0(VALU_DEP_4) | instskip(SKIP_3) | instid1(VALU_DEP_4)
	v_dual_mov_b32 v9, v15 :: v_dual_mov_b32 v1, v11
	v_pk_add_f32 v[174:175], v[174:175], v[12:13] neg_lo:[0,1] neg_hi:[0,1]
	v_pk_add_f32 v[176:177], v[176:177], v[4:5] neg_lo:[0,1] neg_hi:[0,1]
	;; [unrolled: 1-line block ×5, first 2 shown]
.LBB91_73:
	s_or_b32 exec_lo, exec_lo, s1
	s_delay_alu instid0(SALU_CYCLE_1)
	s_mov_b32 s2, exec_lo
	s_wait_dscnt 0x0
	s_barrier_signal -1
	s_barrier_wait -1
	v_cmpx_eq_u32_e32 8, v34
	s_cbranch_execz .LBB91_80
; %bb.74:
	ds_store_b64 v35, v[80:81]
	ds_store_2addr_b64 v26, v[50:51], v[78:79] offset0:9 offset1:10
	ds_store_2addr_b64 v26, v[76:77], v[104:105] offset0:11 offset1:12
	;; [unrolled: 1-line block ×18, first 2 shown]
	ds_store_b64 v26, v[184:185] offset:360
	ds_load_b64 v[0:1], v35
	s_wait_dscnt 0x0
	v_cmp_neq_f32_e32 vcc_lo, 0, v0
	v_cmp_neq_f32_e64 s1, 0, v1
	s_or_b32 s1, vcc_lo, s1
	s_delay_alu instid0(SALU_CYCLE_1)
	s_and_b32 exec_lo, exec_lo, s1
	s_cbranch_execz .LBB91_80
; %bb.75:
	v_cmp_ngt_f32_e64 s1, |v0|, |v1|
                                        ; implicit-def: $vgpr2_vgpr3
	s_and_saveexec_b32 s4, s1
	s_delay_alu instid0(SALU_CYCLE_1)
	s_xor_b32 s1, exec_lo, s4
	s_cbranch_execz .LBB91_77
; %bb.76:
	v_div_scale_f32 v2, null, v1, v1, v0
	v_div_scale_f32 v5, vcc_lo, v0, v1, v0
	s_delay_alu instid0(VALU_DEP_2) | instskip(SKIP_1) | instid1(TRANS32_DEP_1)
	v_rcp_f32_e32 v3, v2
	v_nop
	v_fma_f32 v4, -v2, v3, 1.0
	s_delay_alu instid0(VALU_DEP_1) | instskip(NEXT) | instid1(VALU_DEP_1)
	v_fmac_f32_e32 v3, v4, v3
	v_mul_f32_e32 v4, v5, v3
	s_delay_alu instid0(VALU_DEP_1) | instskip(NEXT) | instid1(VALU_DEP_1)
	v_fma_f32 v6, -v2, v4, v5
	v_fmac_f32_e32 v4, v6, v3
	s_delay_alu instid0(VALU_DEP_1) | instskip(NEXT) | instid1(VALU_DEP_1)
	v_fma_f32 v2, -v2, v4, v5
	v_div_fmas_f32 v2, v2, v3, v4
	s_delay_alu instid0(VALU_DEP_1) | instskip(NEXT) | instid1(VALU_DEP_1)
	v_div_fixup_f32 v2, v2, v1, v0
	v_fmac_f32_e32 v1, v0, v2
	s_delay_alu instid0(VALU_DEP_1) | instskip(SKIP_1) | instid1(VALU_DEP_2)
	v_div_scale_f32 v0, null, v1, v1, 1.0
	v_div_scale_f32 v5, vcc_lo, 1.0, v1, 1.0
	v_rcp_f32_e32 v3, v0
	v_nop
	s_delay_alu instid0(TRANS32_DEP_1) | instskip(NEXT) | instid1(VALU_DEP_1)
	v_fma_f32 v4, -v0, v3, 1.0
	v_fmac_f32_e32 v3, v4, v3
	s_delay_alu instid0(VALU_DEP_1) | instskip(NEXT) | instid1(VALU_DEP_1)
	v_mul_f32_e32 v4, v5, v3
	v_fma_f32 v6, -v0, v4, v5
	s_delay_alu instid0(VALU_DEP_1) | instskip(NEXT) | instid1(VALU_DEP_1)
	v_fmac_f32_e32 v4, v6, v3
	v_fma_f32 v0, -v0, v4, v5
	s_delay_alu instid0(VALU_DEP_1) | instskip(NEXT) | instid1(VALU_DEP_1)
	v_div_fmas_f32 v0, v0, v3, v4
	v_div_fixup_f32 v0, v0, v1, 1.0
	s_delay_alu instid0(VALU_DEP_1)
	v_mul_f32_e32 v2, v2, v0
	v_xor_b32_e32 v3, 0x80000000, v0
                                        ; implicit-def: $vgpr0_vgpr1
.LBB91_77:
	s_and_not1_saveexec_b32 s1, s1
	s_cbranch_execz .LBB91_79
; %bb.78:
	v_div_scale_f32 v2, null, v0, v0, v1
	v_div_scale_f32 v5, vcc_lo, v1, v0, v1
	s_delay_alu instid0(VALU_DEP_2) | instskip(SKIP_1) | instid1(TRANS32_DEP_1)
	v_rcp_f32_e32 v3, v2
	v_nop
	v_fma_f32 v4, -v2, v3, 1.0
	s_delay_alu instid0(VALU_DEP_1) | instskip(NEXT) | instid1(VALU_DEP_1)
	v_fmac_f32_e32 v3, v4, v3
	v_mul_f32_e32 v4, v5, v3
	s_delay_alu instid0(VALU_DEP_1) | instskip(NEXT) | instid1(VALU_DEP_1)
	v_fma_f32 v6, -v2, v4, v5
	v_fmac_f32_e32 v4, v6, v3
	s_delay_alu instid0(VALU_DEP_1) | instskip(NEXT) | instid1(VALU_DEP_1)
	v_fma_f32 v2, -v2, v4, v5
	v_div_fmas_f32 v2, v2, v3, v4
	s_delay_alu instid0(VALU_DEP_1) | instskip(NEXT) | instid1(VALU_DEP_1)
	v_div_fixup_f32 v3, v2, v0, v1
	v_fmac_f32_e32 v0, v1, v3
	s_delay_alu instid0(VALU_DEP_1) | instskip(NEXT) | instid1(VALU_DEP_1)
	v_div_scale_f32 v1, null, v0, v0, 1.0
	v_rcp_f32_e32 v2, v1
	v_nop
	s_delay_alu instid0(TRANS32_DEP_1) | instskip(NEXT) | instid1(VALU_DEP_1)
	v_fma_f32 v4, -v1, v2, 1.0
	v_fmac_f32_e32 v2, v4, v2
	v_div_scale_f32 v4, vcc_lo, 1.0, v0, 1.0
	s_delay_alu instid0(VALU_DEP_1) | instskip(NEXT) | instid1(VALU_DEP_1)
	v_mul_f32_e32 v5, v4, v2
	v_fma_f32 v6, -v1, v5, v4
	s_delay_alu instid0(VALU_DEP_1) | instskip(NEXT) | instid1(VALU_DEP_1)
	v_fmac_f32_e32 v5, v6, v2
	v_fma_f32 v1, -v1, v5, v4
	s_delay_alu instid0(VALU_DEP_1) | instskip(NEXT) | instid1(VALU_DEP_1)
	v_div_fmas_f32 v1, v1, v2, v5
	v_div_fixup_f32 v2, v1, v0, 1.0
	s_delay_alu instid0(VALU_DEP_1)
	v_mul_f32_e64 v3, v3, -v2
.LBB91_79:
	s_or_b32 exec_lo, exec_lo, s1
	ds_store_b64 v35, v[2:3]
.LBB91_80:
	s_or_b32 exec_lo, exec_lo, s2
	s_wait_dscnt 0x0
	s_barrier_signal -1
	s_barrier_wait -1
	ds_load_b64 v[202:203], v35
	s_mov_b32 s1, exec_lo
	v_cmpx_lt_u32_e32 8, v34
	s_cbranch_execz .LBB91_82
; %bb.81:
	ds_load_2addr_b64 v[4:7], v26 offset0:9 offset1:10
	ds_load_2addr_b64 v[8:11], v26 offset0:11 offset1:12
	;; [unrolled: 1-line block ×3, first 2 shown]
	s_wait_dscnt 0x3
	v_pk_mul_f32 v[2:3], v[202:203], v[80:81] op_sel:[1,1] op_sel_hi:[0,1]
	ds_load_2addr_b64 v[18:21], v26 offset0:15 offset1:16
	ds_load_2addr_b64 v[204:207], v26 offset0:17 offset1:18
	v_pk_fma_f32 v[0:1], v[202:203], v[80:81], v[2:3] op_sel_hi:[1,0,1] neg_lo:[0,0,1] neg_hi:[0,0,1]
	v_pk_fma_f32 v[2:3], v[202:203], v[80:81], v[2:3] op_sel_hi:[1,0,1]
	s_delay_alu instid0(VALU_DEP_1) | instskip(SKIP_1) | instid1(VALU_DEP_2)
	v_dual_mov_b32 v80, v0 :: v_dual_mov_b32 v81, v3
	s_wait_dscnt 0x4
	v_pk_mul_f32 v[22:23], v[4:5], v[2:3] op_sel:[0,1]
	v_pk_mul_f32 v[28:29], v[6:7], v[2:3] op_sel:[0,1]
	s_wait_dscnt 0x3
	v_pk_mul_f32 v[30:31], v[8:9], v[2:3] op_sel:[0,1]
	v_dual_mov_b32 v208, v11 :: v_dual_mov_b32 v209, v10
	v_dual_mul_f32 v210, v11, v3 :: v_dual_mul_f32 v212, v11, v0
	v_pk_fma_f32 v[218:219], v[4:5], v[0:1], v[22:23] op_sel:[0,0,1] op_sel_hi:[1,1,0] neg_lo:[0,0,1] neg_hi:[0,0,1]
	v_pk_fma_f32 v[4:5], v[4:5], v[0:1], v[22:23] op_sel:[0,0,1] op_sel_hi:[1,0,0]
	v_pk_fma_f32 v[22:23], v[6:7], v[0:1], v[28:29] op_sel:[0,0,1] op_sel_hi:[1,1,0] neg_lo:[0,0,1] neg_hi:[0,0,1]
	v_pk_fma_f32 v[6:7], v[6:7], v[0:1], v[28:29] op_sel:[0,0,1] op_sel_hi:[1,0,0]
	;; [unrolled: 2-line block ×3, first 2 shown]
	v_pk_fma_f32 v[30:31], v[208:209], v[80:81], v[212:213] op_sel_hi:[1,1,0]
	v_pk_fma_f32 v[10:11], v[10:11], v[80:81], v[210:211] op_sel_hi:[1,1,0] neg_lo:[0,0,1] neg_hi:[0,0,1]
	s_wait_dscnt 0x2
	v_pk_mul_f32 v[214:215], v[12:13], v[2:3] op_sel:[0,1]
	v_pk_mul_f32 v[216:217], v[14:15], v[2:3] op_sel:[0,1]
	v_dual_mov_b32 v219, v5 :: v_dual_mov_b32 v23, v7
	v_dual_mov_b32 v29, v9 :: v_dual_mov_b32 v11, v31
	ds_load_2addr_b64 v[4:7], v26 offset0:19 offset1:20
	v_pk_fma_f32 v[8:9], v[12:13], v[0:1], v[214:215] op_sel:[0,0,1] op_sel_hi:[1,0,0]
	v_pk_add_f32 v[78:79], v[78:79], v[22:23] neg_lo:[0,1] neg_hi:[0,1]
	v_pk_fma_f32 v[22:23], v[14:15], v[0:1], v[216:217] op_sel:[0,0,1] op_sel_hi:[1,0,0]
	v_pk_add_f32 v[104:105], v[104:105], v[10:11] neg_lo:[0,1] neg_hi:[0,1]
	s_wait_dscnt 0x2
	v_pk_mul_f32 v[10:11], v[18:19], v[2:3] op_sel:[0,1]
	v_pk_fma_f32 v[12:13], v[12:13], v[0:1], v[214:215] op_sel:[0,0,1] op_sel_hi:[1,1,0] neg_lo:[0,0,1] neg_hi:[0,0,1]
	v_pk_fma_f32 v[14:15], v[14:15], v[0:1], v[216:217] op_sel:[0,0,1] op_sel_hi:[1,1,0] neg_lo:[0,0,1] neg_hi:[0,0,1]
	v_dual_mov_b32 v13, v9 :: v_dual_mov_b32 v15, v23
	s_delay_alu instid0(VALU_DEP_4) | instskip(SKIP_2) | instid1(VALU_DEP_4)
	v_pk_fma_f32 v[8:9], v[18:19], v[0:1], v[10:11] op_sel:[0,0,1] op_sel_hi:[1,0,0]
	v_pk_mul_f32 v[22:23], v[20:21], v[2:3] op_sel:[0,1]
	v_pk_fma_f32 v[18:19], v[18:19], v[0:1], v[10:11] op_sel:[0,0,1] op_sel_hi:[1,1,0] neg_lo:[0,0,1] neg_hi:[0,0,1]
	v_pk_add_f32 v[38:39], v[38:39], v[12:13] neg_lo:[0,1] neg_hi:[0,1]
	v_pk_add_f32 v[40:41], v[40:41], v[14:15] neg_lo:[0,1] neg_hi:[0,1]
	;; [unrolled: 1-line block ×3, first 2 shown]
	v_pk_fma_f32 v[12:13], v[20:21], v[0:1], v[22:23] op_sel:[0,0,1] op_sel_hi:[1,0,0]
	v_mov_b32_e32 v19, v9
	ds_load_2addr_b64 v[8:11], v26 offset0:21 offset1:22
	s_wait_dscnt 0x2
	v_mul_f32_e32 v12, v205, v0
	v_pk_fma_f32 v[14:15], v[20:21], v[0:1], v[22:23] op_sel:[0,0,1] op_sel_hi:[1,1,0] neg_lo:[0,0,1] neg_hi:[0,0,1]
	v_mov_b32_e32 v15, v13
	v_pk_add_f32 v[36:37], v[36:37], v[18:19] neg_lo:[0,1] neg_hi:[0,1]
	v_mul_f32_e32 v18, v205, v3
	v_pk_mul_f32 v[20:21], v[206:207], v[2:3] op_sel:[0,1]
	v_pk_fma_f32 v[12:13], v[204:205], v[80:81], v[12:13] op_sel:[1,0,0] op_sel_hi:[0,1,0]
	s_wait_dscnt 0x1
	v_pk_mul_f32 v[22:23], v[4:5], v[2:3] op_sel:[0,1]
	v_pk_add_f32 v[66:67], v[66:67], v[14:15] neg_lo:[0,1] neg_hi:[0,1]
	v_pk_fma_f32 v[18:19], v[204:205], v[80:81], v[18:19] op_sel_hi:[1,1,0] neg_lo:[0,0,1] neg_hi:[0,0,1]
	v_pk_fma_f32 v[28:29], v[206:207], v[0:1], v[20:21] op_sel:[0,0,1] op_sel_hi:[1,0,0]
	v_mov_b32_e32 v19, v13
	v_pk_fma_f32 v[30:31], v[4:5], v[0:1], v[22:23] op_sel:[0,0,1] op_sel_hi:[1,0,0]
	v_pk_fma_f32 v[4:5], v[4:5], v[0:1], v[22:23] op_sel:[0,0,1] op_sel_hi:[1,1,0] neg_lo:[0,0,1] neg_hi:[0,0,1]
	v_pk_mul_f32 v[22:23], v[6:7], v[2:3] op_sel:[0,1]
	v_pk_fma_f32 v[20:21], v[206:207], v[0:1], v[20:21] op_sel:[0,0,1] op_sel_hi:[1,1,0] neg_lo:[0,0,1] neg_hi:[0,0,1]
	ds_load_2addr_b64 v[12:15], v26 offset0:23 offset1:24
	v_mov_b32_e32 v21, v29
	v_pk_add_f32 v[62:63], v[62:63], v[18:19] neg_lo:[0,1] neg_hi:[0,1]
	v_pk_fma_f32 v[18:19], v[6:7], v[0:1], v[22:23] op_sel:[0,0,1] op_sel_hi:[1,0,0]
	v_mov_b32_e32 v5, v31
	s_wait_dscnt 0x1
	v_pk_mul_f32 v[28:29], v[8:9], v[2:3] op_sel:[0,1]
	v_pk_fma_f32 v[22:23], v[6:7], v[0:1], v[22:23] op_sel:[0,0,1] op_sel_hi:[1,1,0] neg_lo:[0,0,1] neg_hi:[0,0,1]
	v_pk_add_f32 v[64:65], v[64:65], v[20:21] neg_lo:[0,1] neg_hi:[0,1]
	v_mov_b32_e32 v23, v19
	v_pk_add_f32 v[60:61], v[60:61], v[4:5] neg_lo:[0,1] neg_hi:[0,1]
	ds_load_2addr_b64 v[4:7], v26 offset0:25 offset1:26
	v_pk_fma_f32 v[20:21], v[8:9], v[0:1], v[28:29] op_sel:[0,0,1] op_sel_hi:[1,0,0]
	v_pk_fma_f32 v[8:9], v[8:9], v[0:1], v[28:29] op_sel:[0,0,1] op_sel_hi:[1,1,0] neg_lo:[0,0,1] neg_hi:[0,0,1]
	v_dual_mov_b32 v18, v11 :: v_dual_mov_b32 v19, v10
	s_delay_alu instid0(VALU_DEP_3)
	v_dual_mul_f32 v20, v11, v0 :: v_dual_mov_b32 v9, v21
	v_pk_add_f32 v[90:91], v[90:91], v[22:23] neg_lo:[0,1] neg_hi:[0,1]
	v_pk_add_f32 v[50:51], v[50:51], v[218:219] neg_lo:[0,1] neg_hi:[0,1]
	s_wait_dscnt 0x1
	v_pk_mul_f32 v[28:29], v[12:13], v[2:3] op_sel:[0,1]
	v_pk_add_f32 v[86:87], v[86:87], v[8:9] neg_lo:[0,1] neg_hi:[0,1]
	v_mul_f32_e32 v8, v11, v3
	v_pk_fma_f32 v[22:23], v[18:19], v[80:81], v[20:21] op_sel_hi:[1,1,0]
	v_pk_mul_f32 v[204:205], v[14:15], v[2:3] op_sel:[0,1]
	ds_load_2addr_b64 v[18:21], v26 offset0:27 offset1:28
	v_pk_fma_f32 v[30:31], v[12:13], v[0:1], v[28:29] op_sel:[0,0,1] op_sel_hi:[1,0,0]
	v_pk_fma_f32 v[206:207], v[10:11], v[80:81], v[8:9] op_sel_hi:[1,1,0] neg_lo:[0,0,1] neg_hi:[0,0,1]
	v_mov_b32_e32 v207, v23
	v_pk_fma_f32 v[12:13], v[12:13], v[0:1], v[28:29] op_sel:[0,0,1] op_sel_hi:[1,1,0] neg_lo:[0,0,1] neg_hi:[0,0,1]
	v_pk_fma_f32 v[22:23], v[14:15], v[0:1], v[204:205] op_sel:[0,0,1] op_sel_hi:[1,0,0]
	s_wait_dscnt 0x1
	v_pk_mul_f32 v[28:29], v[4:5], v[2:3] op_sel:[0,1]
	ds_load_2addr_b64 v[8:11], v26 offset0:29 offset1:30
	v_pk_fma_f32 v[14:15], v[14:15], v[0:1], v[204:205] op_sel:[0,0,1] op_sel_hi:[1,1,0] neg_lo:[0,0,1] neg_hi:[0,0,1]
	v_mov_b32_e32 v13, v31
	v_pk_add_f32 v[88:89], v[88:89], v[206:207] neg_lo:[0,1] neg_hi:[0,1]
	v_pk_fma_f32 v[30:31], v[4:5], v[0:1], v[28:29] op_sel:[0,0,1] op_sel_hi:[1,0,0]
	v_mov_b32_e32 v15, v23
	v_pk_mul_f32 v[22:23], v[6:7], v[2:3] op_sel:[0,1]
	v_pk_fma_f32 v[4:5], v[4:5], v[0:1], v[28:29] op_sel:[0,0,1] op_sel_hi:[1,1,0] neg_lo:[0,0,1] neg_hi:[0,0,1]
	v_pk_add_f32 v[84:85], v[84:85], v[12:13] neg_lo:[0,1] neg_hi:[0,1]
	v_mov_b32_e32 v5, v31
	v_pk_add_f32 v[112:113], v[112:113], v[14:15] neg_lo:[0,1] neg_hi:[0,1]
	ds_load_2addr_b64 v[12:15], v26 offset0:31 offset1:32
	v_pk_fma_f32 v[28:29], v[6:7], v[0:1], v[22:23] op_sel:[0,0,1] op_sel_hi:[1,0,0]
	v_pk_fma_f32 v[6:7], v[6:7], v[0:1], v[22:23] op_sel:[0,0,1] op_sel_hi:[1,1,0] neg_lo:[0,0,1] neg_hi:[0,0,1]
	s_wait_dscnt 0x2
	v_dual_mul_f32 v22, v19, v0 :: v_dual_mul_f32 v28, v19, v3
	v_pk_add_f32 v[108:109], v[108:109], v[4:5] neg_lo:[0,1] neg_hi:[0,1]
	v_mov_b32_e32 v7, v29
	v_pk_mul_f32 v[4:5], v[20:21], v[2:3] op_sel:[0,1]
	s_delay_alu instid0(VALU_DEP_4)
	v_pk_fma_f32 v[22:23], v[18:19], v[80:81], v[22:23] op_sel:[1,0,0] op_sel_hi:[0,1,0]
	s_wait_dscnt 0x1
	v_pk_mul_f32 v[30:31], v[8:9], v[2:3] op_sel:[0,1]
	v_pk_fma_f32 v[18:19], v[18:19], v[80:81], v[28:29] op_sel_hi:[1,1,0] neg_lo:[0,0,1] neg_hi:[0,0,1]
	v_pk_add_f32 v[110:111], v[110:111], v[6:7] neg_lo:[0,1] neg_hi:[0,1]
	v_pk_fma_f32 v[6:7], v[20:21], v[0:1], v[4:5] op_sel:[0,0,1] op_sel_hi:[1,0,0]
	v_mov_b32_e32 v19, v23
	v_pk_fma_f32 v[20:21], v[20:21], v[0:1], v[4:5] op_sel:[0,0,1] op_sel_hi:[1,1,0] neg_lo:[0,0,1] neg_hi:[0,0,1]
	v_pk_fma_f32 v[22:23], v[8:9], v[0:1], v[30:31] op_sel:[0,0,1] op_sel_hi:[1,0,0]
	v_pk_mul_f32 v[28:29], v[10:11], v[2:3] op_sel:[0,1]
	v_mov_b32_e32 v21, v7
	ds_load_2addr_b64 v[4:7], v26 offset0:33 offset1:34
	v_pk_fma_f32 v[8:9], v[8:9], v[0:1], v[30:31] op_sel:[0,0,1] op_sel_hi:[1,1,0] neg_lo:[0,0,1] neg_hi:[0,0,1]
	v_pk_add_f32 v[106:107], v[106:107], v[18:19] neg_lo:[0,1] neg_hi:[0,1]
	v_pk_fma_f32 v[18:19], v[10:11], v[0:1], v[28:29] op_sel:[0,0,1] op_sel_hi:[1,0,0]
	v_mov_b32_e32 v9, v23
	s_wait_dscnt 0x1
	v_pk_mul_f32 v[22:23], v[12:13], v[2:3] op_sel:[0,1]
	v_pk_fma_f32 v[28:29], v[10:11], v[0:1], v[28:29] op_sel:[0,0,1] op_sel_hi:[1,1,0] neg_lo:[0,0,1] neg_hi:[0,0,1]
	v_pk_add_f32 v[128:129], v[128:129], v[20:21] neg_lo:[0,1] neg_hi:[0,1]
	v_mov_b32_e32 v29, v19
	v_pk_add_f32 v[124:125], v[124:125], v[8:9] neg_lo:[0,1] neg_hi:[0,1]
	v_pk_fma_f32 v[20:21], v[12:13], v[0:1], v[22:23] op_sel:[0,0,1] op_sel_hi:[1,0,0]
	ds_load_2addr_b64 v[8:11], v26 offset0:35 offset1:36
	v_pk_fma_f32 v[12:13], v[12:13], v[0:1], v[22:23] op_sel:[0,0,1] op_sel_hi:[1,1,0] neg_lo:[0,0,1] neg_hi:[0,0,1]
	v_dual_mov_b32 v18, v15 :: v_dual_mov_b32 v19, v14
	v_dual_mul_f32 v20, v15, v0 :: v_dual_mov_b32 v13, v21
	v_pk_add_f32 v[126:127], v[126:127], v[28:29] neg_lo:[0,1] neg_hi:[0,1]
	s_delay_alu instid0(VALU_DEP_2) | instskip(SKIP_1) | instid1(VALU_DEP_4)
	v_pk_fma_f32 v[28:29], v[18:19], v[80:81], v[20:21] op_sel_hi:[1,1,0]
	v_mul_f32_e32 v22, v15, v3
	v_pk_add_f32 v[122:123], v[122:123], v[12:13] neg_lo:[0,1] neg_hi:[0,1]
	s_wait_dscnt 0x1
	v_pk_mul_f32 v[12:13], v[4:5], v[2:3] op_sel:[0,1]
	v_pk_mul_f32 v[30:31], v[6:7], v[2:3] op_sel:[0,1]
	ds_load_2addr_b64 v[18:21], v26 offset0:37 offset1:38
	v_pk_fma_f32 v[14:15], v[14:15], v[80:81], v[22:23] op_sel_hi:[1,1,0] neg_lo:[0,0,1] neg_hi:[0,0,1]
	v_mov_b32_e32 v15, v29
	v_pk_fma_f32 v[204:205], v[4:5], v[0:1], v[12:13] op_sel:[0,0,1] op_sel_hi:[1,0,0]
	v_pk_fma_f32 v[12:13], v[4:5], v[0:1], v[12:13] op_sel:[0,0,1] op_sel_hi:[1,1,0] neg_lo:[0,0,1] neg_hi:[0,0,1]
	v_pk_fma_f32 v[22:23], v[6:7], v[0:1], v[30:31] op_sel:[0,0,1] op_sel_hi:[1,0,0]
	v_pk_fma_f32 v[28:29], v[6:7], v[0:1], v[30:31] op_sel:[0,0,1] op_sel_hi:[1,1,0] neg_lo:[0,0,1] neg_hi:[0,0,1]
	ds_load_2addr_b64 v[4:7], v26 offset0:39 offset1:40
	s_wait_dscnt 0x2
	v_pk_mul_f32 v[30:31], v[8:9], v[2:3] op_sel:[0,1]
	v_dual_mov_b32 v13, v205 :: v_dual_mov_b32 v29, v23
	v_pk_mul_f32 v[22:23], v[10:11], v[2:3] op_sel:[0,1]
	v_pk_add_f32 v[144:145], v[144:145], v[14:15] neg_lo:[0,1] neg_hi:[0,1]
	s_delay_alu instid0(VALU_DEP_4) | instskip(NEXT) | instid1(VALU_DEP_4)
	v_pk_fma_f32 v[14:15], v[8:9], v[0:1], v[30:31] op_sel:[0,0,1] op_sel_hi:[1,0,0]
	v_pk_add_f32 v[140:141], v[140:141], v[12:13] neg_lo:[0,1] neg_hi:[0,1]
	v_pk_add_f32 v[142:143], v[142:143], v[28:29] neg_lo:[0,1] neg_hi:[0,1]
	v_pk_fma_f32 v[28:29], v[8:9], v[0:1], v[30:31] op_sel:[0,0,1] op_sel_hi:[1,1,0] neg_lo:[0,0,1] neg_hi:[0,0,1]
	v_pk_fma_f32 v[12:13], v[10:11], v[0:1], v[22:23] op_sel:[0,0,1] op_sel_hi:[1,0,0]
	v_mov_b32_e32 v29, v15
	v_pk_fma_f32 v[14:15], v[10:11], v[0:1], v[22:23] op_sel:[0,0,1] op_sel_hi:[1,1,0] neg_lo:[0,0,1] neg_hi:[0,0,1]
	ds_load_2addr_b64 v[8:11], v26 offset0:41 offset1:42
	s_wait_dscnt 0x2
	v_dual_mul_f32 v12, v19, v0 :: v_dual_mul_f32 v22, v19, v3
	v_mov_b32_e32 v15, v13
	v_pk_add_f32 v[138:139], v[138:139], v[28:29] neg_lo:[0,1] neg_hi:[0,1]
	v_pk_mul_f32 v[28:29], v[20:21], v[2:3] op_sel:[0,1]
	s_delay_alu instid0(VALU_DEP_4)
	v_pk_fma_f32 v[12:13], v[18:19], v[80:81], v[12:13] op_sel:[1,0,0] op_sel_hi:[0,1,0]
	v_pk_fma_f32 v[18:19], v[18:19], v[80:81], v[22:23] op_sel_hi:[1,1,0] neg_lo:[0,0,1] neg_hi:[0,0,1]
	s_wait_dscnt 0x1
	v_pk_mul_f32 v[22:23], v[4:5], v[2:3] op_sel:[0,1]
	v_pk_add_f32 v[162:163], v[162:163], v[14:15] neg_lo:[0,1] neg_hi:[0,1]
	v_pk_fma_f32 v[30:31], v[20:21], v[0:1], v[28:29] op_sel:[0,0,1] op_sel_hi:[1,0,0]
	v_mov_b32_e32 v19, v13
	v_pk_mul_f32 v[204:205], v[6:7], v[2:3] op_sel:[0,1]
	v_pk_fma_f32 v[20:21], v[20:21], v[0:1], v[28:29] op_sel:[0,0,1] op_sel_hi:[1,1,0] neg_lo:[0,0,1] neg_hi:[0,0,1]
	v_pk_fma_f32 v[28:29], v[4:5], v[0:1], v[22:23] op_sel:[0,0,1] op_sel_hi:[1,0,0]
	ds_load_2addr_b64 v[12:15], v26 offset0:43 offset1:44
	v_pk_fma_f32 v[4:5], v[4:5], v[0:1], v[22:23] op_sel:[0,0,1] op_sel_hi:[1,1,0] neg_lo:[0,0,1] neg_hi:[0,0,1]
	ds_load_b64 v[22:23], v26 offset:360
	v_mov_b32_e32 v21, v31
	v_pk_fma_f32 v[30:31], v[6:7], v[0:1], v[204:205] op_sel:[0,0,1] op_sel_hi:[1,0,0]
	v_mov_b32_e32 v5, v29
	v_pk_fma_f32 v[6:7], v[6:7], v[0:1], v[204:205] op_sel:[0,0,1] op_sel_hi:[1,1,0] neg_lo:[0,0,1] neg_hi:[0,0,1]
	s_wait_dscnt 0x2
	v_pk_mul_f32 v[28:29], v[8:9], v[2:3] op_sel:[0,1]
	v_pk_add_f32 v[158:159], v[158:159], v[18:19] neg_lo:[0,1] neg_hi:[0,1]
	v_mov_b32_e32 v7, v31
	v_pk_add_f32 v[156:157], v[156:157], v[4:5] neg_lo:[0,1] neg_hi:[0,1]
	v_mul_f32_e32 v18, v11, v3
	v_pk_fma_f32 v[4:5], v[8:9], v[0:1], v[28:29] op_sel:[0,0,1] op_sel_hi:[1,0,0]
	v_mul_f32_e32 v4, v11, v0
	v_pk_add_f32 v[178:179], v[178:179], v[6:7] neg_lo:[0,1] neg_hi:[0,1]
	v_dual_mov_b32 v6, v11 :: v_dual_mov_b32 v7, v10
	v_pk_fma_f32 v[8:9], v[8:9], v[0:1], v[28:29] op_sel:[0,0,1] op_sel_hi:[1,1,0] neg_lo:[0,0,1] neg_hi:[0,0,1]
	v_pk_add_f32 v[160:161], v[160:161], v[20:21] neg_lo:[0,1] neg_hi:[0,1]
	v_mov_b32_e32 v9, v5
	s_wait_dscnt 0x1
	v_pk_mul_f32 v[20:21], v[12:13], v[2:3] op_sel:[0,1]
	v_pk_fma_f32 v[4:5], v[6:7], v[80:81], v[4:5] op_sel_hi:[1,1,0]
	v_pk_mul_f32 v[6:7], v[14:15], v[2:3] op_sel:[0,1]
	s_wait_dscnt 0x0
	v_pk_mul_f32 v[2:3], v[22:23], v[2:3] op_sel:[0,1]
	v_pk_fma_f32 v[10:11], v[10:11], v[80:81], v[18:19] op_sel_hi:[1,1,0] neg_lo:[0,0,1] neg_hi:[0,0,1]
	v_pk_fma_f32 v[18:19], v[12:13], v[0:1], v[20:21] op_sel:[0,0,1] op_sel_hi:[1,0,0]
	v_mov_b32_e32 v11, v5
	v_pk_fma_f32 v[4:5], v[14:15], v[0:1], v[6:7] op_sel:[0,0,1] op_sel_hi:[1,0,0]
	v_pk_fma_f32 v[12:13], v[12:13], v[0:1], v[20:21] op_sel:[0,0,1] op_sel_hi:[1,1,0] neg_lo:[0,0,1] neg_hi:[0,0,1]
	v_pk_fma_f32 v[20:21], v[22:23], v[0:1], v[2:3] op_sel:[0,0,1] op_sel_hi:[1,0,0]
	v_pk_fma_f32 v[6:7], v[14:15], v[0:1], v[6:7] op_sel:[0,0,1] op_sel_hi:[1,1,0] neg_lo:[0,0,1] neg_hi:[0,0,1]
	v_pk_fma_f32 v[0:1], v[22:23], v[0:1], v[2:3] op_sel:[0,0,1] op_sel_hi:[1,1,0] neg_lo:[0,0,1] neg_hi:[0,0,1]
	v_dual_mov_b32 v13, v19 :: v_dual_mov_b32 v7, v5
	s_delay_alu instid0(VALU_DEP_4) | instskip(SKIP_2) | instid1(VALU_DEP_4)
	v_mov_b32_e32 v1, v21
	v_pk_add_f32 v[174:175], v[174:175], v[8:9] neg_lo:[0,1] neg_hi:[0,1]
	v_pk_add_f32 v[176:177], v[176:177], v[10:11] neg_lo:[0,1] neg_hi:[0,1]
	;; [unrolled: 1-line block ×5, first 2 shown]
.LBB91_82:
	s_or_b32 exec_lo, exec_lo, s1
	s_delay_alu instid0(SALU_CYCLE_1)
	s_mov_b32 s2, exec_lo
	s_wait_dscnt 0x0
	s_barrier_signal -1
	s_barrier_wait -1
	v_cmpx_eq_u32_e32 9, v34
	s_cbranch_execz .LBB91_89
; %bb.83:
	v_dual_mov_b32 v0, v78 :: v_dual_mov_b32 v1, v79
	v_dual_mov_b32 v2, v76 :: v_dual_mov_b32 v3, v77
	v_dual_mov_b32 v4, v104 :: v_dual_mov_b32 v5, v105
	v_dual_mov_b32 v6, v38 :: v_dual_mov_b32 v7, v39
	v_dual_mov_b32 v8, v40 :: v_dual_mov_b32 v9, v41
	v_dual_mov_b32 v10, v36 :: v_dual_mov_b32 v11, v37
	v_dual_mov_b32 v12, v66 :: v_dual_mov_b32 v13, v67
	v_dual_mov_b32 v14, v62 :: v_dual_mov_b32 v15, v63
	v_dual_mov_b32 v18, v64 :: v_dual_mov_b32 v19, v65
	v_dual_mov_b32 v20, v60 :: v_dual_mov_b32 v21, v61
	ds_store_b64 v35, v[50:51]
	v_dual_mov_b32 v22, v90 :: v_dual_mov_b32 v23, v91
	v_dual_mov_b32 v28, v86 :: v_dual_mov_b32 v29, v87
	ds_store_2addr_b64 v26, v[0:1], v[2:3] offset0:10 offset1:11
	ds_store_2addr_b64 v26, v[4:5], v[6:7] offset0:12 offset1:13
	;; [unrolled: 1-line block ×6, first 2 shown]
	v_dual_mov_b32 v0, v88 :: v_dual_mov_b32 v1, v89
	v_dual_mov_b32 v2, v84 :: v_dual_mov_b32 v3, v85
	;; [unrolled: 1-line block ×12, first 2 shown]
	ds_store_2addr_b64 v26, v[0:1], v[2:3] offset0:22 offset1:23
	ds_store_2addr_b64 v26, v[4:5], v[6:7] offset0:24 offset1:25
	;; [unrolled: 1-line block ×6, first 2 shown]
	v_dual_mov_b32 v0, v142 :: v_dual_mov_b32 v1, v143
	v_dual_mov_b32 v2, v138 :: v_dual_mov_b32 v3, v139
	;; [unrolled: 1-line block ×11, first 2 shown]
	ds_store_2addr_b64 v26, v[0:1], v[2:3] offset0:34 offset1:35
	ds_store_2addr_b64 v26, v[4:5], v[6:7] offset0:36 offset1:37
	;; [unrolled: 1-line block ×6, first 2 shown]
	ds_load_b64 v[0:1], v35
	s_wait_dscnt 0x0
	v_cmp_neq_f32_e32 vcc_lo, 0, v0
	v_cmp_neq_f32_e64 s1, 0, v1
	s_or_b32 s1, vcc_lo, s1
	s_delay_alu instid0(SALU_CYCLE_1)
	s_and_b32 exec_lo, exec_lo, s1
	s_cbranch_execz .LBB91_89
; %bb.84:
	v_cmp_ngt_f32_e64 s1, |v0|, |v1|
                                        ; implicit-def: $vgpr2_vgpr3
	s_and_saveexec_b32 s4, s1
	s_delay_alu instid0(SALU_CYCLE_1)
	s_xor_b32 s1, exec_lo, s4
	s_cbranch_execz .LBB91_86
; %bb.85:
	v_div_scale_f32 v2, null, v1, v1, v0
	v_div_scale_f32 v5, vcc_lo, v0, v1, v0
	s_delay_alu instid0(VALU_DEP_2) | instskip(SKIP_1) | instid1(TRANS32_DEP_1)
	v_rcp_f32_e32 v3, v2
	v_nop
	v_fma_f32 v4, -v2, v3, 1.0
	s_delay_alu instid0(VALU_DEP_1) | instskip(NEXT) | instid1(VALU_DEP_1)
	v_fmac_f32_e32 v3, v4, v3
	v_mul_f32_e32 v4, v5, v3
	s_delay_alu instid0(VALU_DEP_1) | instskip(NEXT) | instid1(VALU_DEP_1)
	v_fma_f32 v6, -v2, v4, v5
	v_fmac_f32_e32 v4, v6, v3
	s_delay_alu instid0(VALU_DEP_1) | instskip(NEXT) | instid1(VALU_DEP_1)
	v_fma_f32 v2, -v2, v4, v5
	v_div_fmas_f32 v2, v2, v3, v4
	s_delay_alu instid0(VALU_DEP_1) | instskip(NEXT) | instid1(VALU_DEP_1)
	v_div_fixup_f32 v2, v2, v1, v0
	v_fmac_f32_e32 v1, v0, v2
	s_delay_alu instid0(VALU_DEP_1) | instskip(SKIP_1) | instid1(VALU_DEP_2)
	v_div_scale_f32 v0, null, v1, v1, 1.0
	v_div_scale_f32 v5, vcc_lo, 1.0, v1, 1.0
	v_rcp_f32_e32 v3, v0
	v_nop
	s_delay_alu instid0(TRANS32_DEP_1) | instskip(NEXT) | instid1(VALU_DEP_1)
	v_fma_f32 v4, -v0, v3, 1.0
	v_fmac_f32_e32 v3, v4, v3
	s_delay_alu instid0(VALU_DEP_1) | instskip(NEXT) | instid1(VALU_DEP_1)
	v_mul_f32_e32 v4, v5, v3
	v_fma_f32 v6, -v0, v4, v5
	s_delay_alu instid0(VALU_DEP_1) | instskip(NEXT) | instid1(VALU_DEP_1)
	v_fmac_f32_e32 v4, v6, v3
	v_fma_f32 v0, -v0, v4, v5
	s_delay_alu instid0(VALU_DEP_1) | instskip(NEXT) | instid1(VALU_DEP_1)
	v_div_fmas_f32 v0, v0, v3, v4
	v_div_fixup_f32 v0, v0, v1, 1.0
	s_delay_alu instid0(VALU_DEP_1)
	v_mul_f32_e32 v2, v2, v0
	v_xor_b32_e32 v3, 0x80000000, v0
                                        ; implicit-def: $vgpr0_vgpr1
.LBB91_86:
	s_and_not1_saveexec_b32 s1, s1
	s_cbranch_execz .LBB91_88
; %bb.87:
	v_div_scale_f32 v2, null, v0, v0, v1
	v_div_scale_f32 v5, vcc_lo, v1, v0, v1
	s_delay_alu instid0(VALU_DEP_2) | instskip(SKIP_1) | instid1(TRANS32_DEP_1)
	v_rcp_f32_e32 v3, v2
	v_nop
	v_fma_f32 v4, -v2, v3, 1.0
	s_delay_alu instid0(VALU_DEP_1) | instskip(NEXT) | instid1(VALU_DEP_1)
	v_fmac_f32_e32 v3, v4, v3
	v_mul_f32_e32 v4, v5, v3
	s_delay_alu instid0(VALU_DEP_1) | instskip(NEXT) | instid1(VALU_DEP_1)
	v_fma_f32 v6, -v2, v4, v5
	v_fmac_f32_e32 v4, v6, v3
	s_delay_alu instid0(VALU_DEP_1) | instskip(NEXT) | instid1(VALU_DEP_1)
	v_fma_f32 v2, -v2, v4, v5
	v_div_fmas_f32 v2, v2, v3, v4
	s_delay_alu instid0(VALU_DEP_1) | instskip(NEXT) | instid1(VALU_DEP_1)
	v_div_fixup_f32 v3, v2, v0, v1
	v_fmac_f32_e32 v0, v1, v3
	s_delay_alu instid0(VALU_DEP_1) | instskip(NEXT) | instid1(VALU_DEP_1)
	v_div_scale_f32 v1, null, v0, v0, 1.0
	v_rcp_f32_e32 v2, v1
	v_nop
	s_delay_alu instid0(TRANS32_DEP_1) | instskip(NEXT) | instid1(VALU_DEP_1)
	v_fma_f32 v4, -v1, v2, 1.0
	v_fmac_f32_e32 v2, v4, v2
	v_div_scale_f32 v4, vcc_lo, 1.0, v0, 1.0
	s_delay_alu instid0(VALU_DEP_1) | instskip(NEXT) | instid1(VALU_DEP_1)
	v_mul_f32_e32 v5, v4, v2
	v_fma_f32 v6, -v1, v5, v4
	s_delay_alu instid0(VALU_DEP_1) | instskip(NEXT) | instid1(VALU_DEP_1)
	v_fmac_f32_e32 v5, v6, v2
	v_fma_f32 v1, -v1, v5, v4
	s_delay_alu instid0(VALU_DEP_1) | instskip(NEXT) | instid1(VALU_DEP_1)
	v_div_fmas_f32 v1, v1, v2, v5
	v_div_fixup_f32 v2, v1, v0, 1.0
	s_delay_alu instid0(VALU_DEP_1)
	v_mul_f32_e64 v3, v3, -v2
.LBB91_88:
	s_or_b32 exec_lo, exec_lo, s1
	ds_store_b64 v35, v[2:3]
.LBB91_89:
	s_or_b32 exec_lo, exec_lo, s2
	s_wait_dscnt 0x0
	s_barrier_signal -1
	s_barrier_wait -1
	ds_load_b64 v[204:205], v35
	s_mov_b32 s1, exec_lo
	v_cmpx_lt_u32_e32 9, v34
	s_cbranch_execz .LBB91_91
; %bb.90:
	ds_load_2addr_b64 v[4:7], v26 offset0:10 offset1:11
	ds_load_2addr_b64 v[8:11], v26 offset0:12 offset1:13
	ds_load_2addr_b64 v[12:15], v26 offset0:14 offset1:15
	s_wait_dscnt 0x3
	v_pk_mul_f32 v[2:3], v[204:205], v[50:51] op_sel:[1,1] op_sel_hi:[0,1]
	ds_load_2addr_b64 v[18:21], v26 offset0:16 offset1:17
	ds_load_2addr_b64 v[206:209], v26 offset0:18 offset1:19
	v_pk_fma_f32 v[0:1], v[204:205], v[50:51], v[2:3] op_sel_hi:[1,0,1] neg_lo:[0,0,1] neg_hi:[0,0,1]
	v_pk_fma_f32 v[2:3], v[204:205], v[50:51], v[2:3] op_sel_hi:[1,0,1]
	s_delay_alu instid0(VALU_DEP_1) | instskip(SKIP_1) | instid1(VALU_DEP_2)
	v_dual_mov_b32 v50, v0 :: v_dual_mov_b32 v51, v3
	s_wait_dscnt 0x4
	v_pk_mul_f32 v[22:23], v[4:5], v[2:3] op_sel:[0,1]
	v_pk_mul_f32 v[28:29], v[6:7], v[2:3] op_sel:[0,1]
	s_wait_dscnt 0x3
	v_pk_mul_f32 v[30:31], v[8:9], v[2:3] op_sel:[0,1]
	v_dual_mov_b32 v210, v11 :: v_dual_mov_b32 v211, v10
	v_dual_mul_f32 v212, v11, v3 :: v_dual_mul_f32 v214, v11, v0
	s_wait_dscnt 0x2
	v_pk_mul_f32 v[216:217], v[12:13], v[2:3] op_sel:[0,1]
	v_pk_mul_f32 v[218:219], v[14:15], v[2:3] op_sel:[0,1]
	v_pk_fma_f32 v[222:223], v[4:5], v[0:1], v[22:23] op_sel:[0,0,1] op_sel_hi:[1,1,0] neg_lo:[0,0,1] neg_hi:[0,0,1]
	v_pk_fma_f32 v[4:5], v[4:5], v[0:1], v[22:23] op_sel:[0,0,1] op_sel_hi:[1,0,0]
	v_pk_fma_f32 v[22:23], v[6:7], v[0:1], v[28:29] op_sel:[0,0,1] op_sel_hi:[1,1,0] neg_lo:[0,0,1] neg_hi:[0,0,1]
	v_pk_fma_f32 v[6:7], v[6:7], v[0:1], v[28:29] op_sel:[0,0,1] op_sel_hi:[1,0,0]
	;; [unrolled: 2-line block ×3, first 2 shown]
	s_wait_dscnt 0x1
	v_pk_mul_f32 v[220:221], v[18:19], v[2:3] op_sel:[0,1]
	v_pk_fma_f32 v[30:31], v[210:211], v[50:51], v[214:215] op_sel_hi:[1,1,0]
	v_dual_mov_b32 v223, v5 :: v_dual_mov_b32 v23, v7
	v_mov_b32_e32 v29, v9
	v_pk_fma_f32 v[4:5], v[12:13], v[0:1], v[216:217] op_sel:[0,0,1] op_sel_hi:[1,0,0]
	v_pk_fma_f32 v[8:9], v[12:13], v[0:1], v[216:217] op_sel:[0,0,1] op_sel_hi:[1,1,0] neg_lo:[0,0,1] neg_hi:[0,0,1]
	v_pk_fma_f32 v[12:13], v[14:15], v[0:1], v[218:219] op_sel:[0,0,1] op_sel_hi:[1,0,0]
	v_pk_fma_f32 v[14:15], v[14:15], v[0:1], v[218:219] op_sel:[0,0,1] op_sel_hi:[1,1,0] neg_lo:[0,0,1] neg_hi:[0,0,1]
	v_pk_add_f32 v[76:77], v[76:77], v[22:23] neg_lo:[0,1] neg_hi:[0,1]
	v_mov_b32_e32 v9, v5
	v_pk_fma_f32 v[22:23], v[18:19], v[0:1], v[220:221] op_sel:[0,0,1] op_sel_hi:[1,0,0]
	v_mov_b32_e32 v15, v13
	v_pk_fma_f32 v[12:13], v[18:19], v[0:1], v[220:221] op_sel:[0,0,1] op_sel_hi:[1,1,0] neg_lo:[0,0,1] neg_hi:[0,0,1]
	v_pk_mul_f32 v[18:19], v[20:21], v[2:3] op_sel:[0,1]
	ds_load_2addr_b64 v[4:7], v26 offset0:20 offset1:21
	v_pk_fma_f32 v[10:11], v[10:11], v[50:51], v[212:213] op_sel_hi:[1,1,0] neg_lo:[0,0,1] neg_hi:[0,0,1]
	v_pk_add_f32 v[36:37], v[36:37], v[14:15] neg_lo:[0,1] neg_hi:[0,1]
	v_mov_b32_e32 v11, v31
	v_pk_fma_f32 v[14:15], v[20:21], v[0:1], v[18:19] op_sel:[0,0,1] op_sel_hi:[1,0,0]
	v_mov_b32_e32 v13, v23
	v_pk_fma_f32 v[18:19], v[20:21], v[0:1], v[18:19] op_sel:[0,0,1] op_sel_hi:[1,1,0] neg_lo:[0,0,1] neg_hi:[0,0,1]
	s_wait_dscnt 0x1
	v_pk_mul_f32 v[22:23], v[208:209], v[2:3] op_sel:[0,1]
	v_pk_add_f32 v[38:39], v[38:39], v[10:11] neg_lo:[0,1] neg_hi:[0,1]
	v_mov_b32_e32 v19, v15
	v_pk_add_f32 v[66:67], v[66:67], v[12:13] neg_lo:[0,1] neg_hi:[0,1]
	v_dual_mul_f32 v12, v207, v0 :: v_dual_mul_f32 v14, v207, v3
	v_pk_add_f32 v[40:41], v[40:41], v[8:9] neg_lo:[0,1] neg_hi:[0,1]
	ds_load_2addr_b64 v[8:11], v26 offset0:22 offset1:23
	v_pk_fma_f32 v[20:21], v[208:209], v[0:1], v[22:23] op_sel:[0,0,1] op_sel_hi:[1,0,0]
	v_pk_fma_f32 v[12:13], v[206:207], v[50:51], v[12:13] op_sel:[1,0,0] op_sel_hi:[0,1,0]
	v_pk_fma_f32 v[14:15], v[206:207], v[50:51], v[14:15] op_sel_hi:[1,1,0] neg_lo:[0,0,1] neg_hi:[0,0,1]
	v_pk_add_f32 v[104:105], v[104:105], v[28:29] neg_lo:[0,1] neg_hi:[0,1]
	v_pk_add_f32 v[62:63], v[62:63], v[18:19] neg_lo:[0,1] neg_hi:[0,1]
	s_wait_dscnt 0x1
	v_pk_mul_f32 v[28:29], v[4:5], v[2:3] op_sel:[0,1]
	v_mov_b32_e32 v15, v13
	v_pk_fma_f32 v[12:13], v[208:209], v[0:1], v[22:23] op_sel:[0,0,1] op_sel_hi:[1,1,0] neg_lo:[0,0,1] neg_hi:[0,0,1]
	v_mov_b32_e32 v13, v21
	v_pk_mul_f32 v[20:21], v[6:7], v[2:3] op_sel:[0,1]
	v_pk_fma_f32 v[18:19], v[4:5], v[0:1], v[28:29] op_sel:[0,0,1] op_sel_hi:[1,0,0]
	v_pk_add_f32 v[64:65], v[64:65], v[14:15] neg_lo:[0,1] neg_hi:[0,1]
	v_pk_fma_f32 v[22:23], v[4:5], v[0:1], v[28:29] op_sel:[0,0,1] op_sel_hi:[1,1,0] neg_lo:[0,0,1] neg_hi:[0,0,1]
	v_pk_add_f32 v[60:61], v[60:61], v[12:13] neg_lo:[0,1] neg_hi:[0,1]
	ds_load_2addr_b64 v[12:15], v26 offset0:24 offset1:25
	v_mov_b32_e32 v23, v19
	v_pk_fma_f32 v[18:19], v[6:7], v[0:1], v[20:21] op_sel:[0,0,1] op_sel_hi:[1,1,0] neg_lo:[0,0,1] neg_hi:[0,0,1]
	v_pk_fma_f32 v[20:21], v[6:7], v[0:1], v[20:21] op_sel:[0,0,1] op_sel_hi:[1,0,0]
	ds_load_2addr_b64 v[4:7], v26 offset0:26 offset1:27
	s_wait_dscnt 0x2
	v_pk_mul_f32 v[28:29], v[8:9], v[2:3] op_sel:[0,1]
	v_dual_mov_b32 v30, v11 :: v_dual_mov_b32 v31, v10
	v_dual_mul_f32 v20, v11, v0 :: v_dual_mov_b32 v19, v21
	v_pk_add_f32 v[90:91], v[90:91], v[22:23] neg_lo:[0,1] neg_hi:[0,1]
	s_delay_alu instid0(VALU_DEP_4) | instskip(SKIP_1) | instid1(VALU_DEP_4)
	v_pk_fma_f32 v[22:23], v[8:9], v[0:1], v[28:29] op_sel:[0,0,1] op_sel_hi:[1,0,0]
	v_mul_f32_e32 v22, v11, v3
	v_pk_fma_f32 v[20:21], v[30:31], v[50:51], v[20:21] op_sel_hi:[1,1,0]
	v_pk_add_f32 v[86:87], v[86:87], v[18:19] neg_lo:[0,1] neg_hi:[0,1]
	v_pk_fma_f32 v[18:19], v[8:9], v[0:1], v[28:29] op_sel:[0,0,1] op_sel_hi:[1,1,0] neg_lo:[0,0,1] neg_hi:[0,0,1]
	v_mov_b32_e32 v19, v23
	v_pk_fma_f32 v[22:23], v[10:11], v[50:51], v[22:23] op_sel_hi:[1,1,0] neg_lo:[0,0,1] neg_hi:[0,0,1]
	v_mov_b32_e32 v23, v21
	ds_load_2addr_b64 v[8:11], v26 offset0:28 offset1:29
	s_wait_dscnt 0x2
	v_pk_mul_f32 v[28:29], v[12:13], v[2:3] op_sel:[0,1]
	v_pk_mul_f32 v[30:31], v[14:15], v[2:3] op_sel:[0,1]
	v_pk_add_f32 v[88:89], v[88:89], v[18:19] neg_lo:[0,1] neg_hi:[0,1]
	v_pk_add_f32 v[84:85], v[84:85], v[22:23] neg_lo:[0,1] neg_hi:[0,1]
	s_wait_dscnt 0x1
	v_pk_mul_f32 v[206:207], v[4:5], v[2:3] op_sel:[0,1]
	v_pk_fma_f32 v[22:23], v[12:13], v[0:1], v[28:29] op_sel:[0,0,1] op_sel_hi:[1,0,0]
	v_pk_fma_f32 v[208:209], v[14:15], v[0:1], v[30:31] op_sel:[0,0,1] op_sel_hi:[1,0,0]
	ds_load_2addr_b64 v[18:21], v26 offset0:30 offset1:31
	v_pk_fma_f32 v[12:13], v[12:13], v[0:1], v[28:29] op_sel:[0,0,1] op_sel_hi:[1,1,0] neg_lo:[0,0,1] neg_hi:[0,0,1]
	v_pk_mul_f32 v[28:29], v[6:7], v[2:3] op_sel:[0,1]
	v_mov_b32_e32 v13, v23
	v_pk_fma_f32 v[22:23], v[4:5], v[0:1], v[206:207] op_sel:[0,0,1] op_sel_hi:[1,0,0]
	v_pk_fma_f32 v[14:15], v[14:15], v[0:1], v[30:31] op_sel:[0,0,1] op_sel_hi:[1,1,0] neg_lo:[0,0,1] neg_hi:[0,0,1]
	v_mov_b32_e32 v15, v209
	v_pk_fma_f32 v[4:5], v[4:5], v[0:1], v[206:207] op_sel:[0,0,1] op_sel_hi:[1,1,0] neg_lo:[0,0,1] neg_hi:[0,0,1]
	v_pk_add_f32 v[112:113], v[112:113], v[12:13] neg_lo:[0,1] neg_hi:[0,1]
	v_mov_b32_e32 v5, v23
	v_pk_fma_f32 v[22:23], v[6:7], v[0:1], v[28:29] op_sel:[0,0,1] op_sel_hi:[1,0,0]
	v_pk_add_f32 v[108:109], v[108:109], v[14:15] neg_lo:[0,1] neg_hi:[0,1]
	ds_load_2addr_b64 v[12:15], v26 offset0:32 offset1:33
	v_pk_fma_f32 v[6:7], v[6:7], v[0:1], v[28:29] op_sel:[0,0,1] op_sel_hi:[1,1,0] neg_lo:[0,0,1] neg_hi:[0,0,1]
	v_pk_add_f32 v[110:111], v[110:111], v[4:5] neg_lo:[0,1] neg_hi:[0,1]
	s_wait_dscnt 0x2
	v_dual_mul_f32 v4, v9, v0 :: v_dual_mov_b32 v7, v23
	v_mul_f32_e32 v22, v9, v3
	v_pk_mul_f32 v[28:29], v[10:11], v[2:3] op_sel:[0,1]
	v_pk_add_f32 v[78:79], v[78:79], v[222:223] neg_lo:[0,1] neg_hi:[0,1]
	s_delay_alu instid0(VALU_DEP_4)
	v_pk_fma_f32 v[4:5], v[8:9], v[50:51], v[4:5] op_sel:[1,0,0] op_sel_hi:[0,1,0]
	s_wait_dscnt 0x1
	v_pk_mul_f32 v[30:31], v[18:19], v[2:3] op_sel:[0,1]
	v_pk_fma_f32 v[8:9], v[8:9], v[50:51], v[22:23] op_sel_hi:[1,1,0] neg_lo:[0,0,1] neg_hi:[0,0,1]
	v_pk_fma_f32 v[22:23], v[10:11], v[0:1], v[28:29] op_sel:[0,0,1] op_sel_hi:[1,0,0]
	v_pk_fma_f32 v[10:11], v[10:11], v[0:1], v[28:29] op_sel:[0,0,1] op_sel_hi:[1,1,0] neg_lo:[0,0,1] neg_hi:[0,0,1]
	v_pk_add_f32 v[106:107], v[106:107], v[6:7] neg_lo:[0,1] neg_hi:[0,1]
	v_mov_b32_e32 v9, v5
	ds_load_2addr_b64 v[4:7], v26 offset0:34 offset1:35
	v_mov_b32_e32 v11, v23
	v_pk_mul_f32 v[22:23], v[20:21], v[2:3] op_sel:[0,1]
	v_pk_fma_f32 v[206:207], v[18:19], v[0:1], v[30:31] op_sel:[0,0,1] op_sel_hi:[1,0,0]
	v_pk_add_f32 v[128:129], v[128:129], v[8:9] neg_lo:[0,1] neg_hi:[0,1]
	v_pk_fma_f32 v[18:19], v[18:19], v[0:1], v[30:31] op_sel:[0,0,1] op_sel_hi:[1,1,0] neg_lo:[0,0,1] neg_hi:[0,0,1]
	s_wait_dscnt 0x1
	v_pk_mul_f32 v[28:29], v[12:13], v[2:3] op_sel:[0,1]
	v_pk_fma_f32 v[8:9], v[20:21], v[0:1], v[22:23] op_sel:[0,0,1] op_sel_hi:[1,0,0]
	v_mov_b32_e32 v19, v207
	v_pk_fma_f32 v[20:21], v[20:21], v[0:1], v[22:23] op_sel:[0,0,1] op_sel_hi:[1,1,0] neg_lo:[0,0,1] neg_hi:[0,0,1]
	v_pk_add_f32 v[124:125], v[124:125], v[10:11] neg_lo:[0,1] neg_hi:[0,1]
	s_delay_alu instid0(VALU_DEP_4)
	v_dual_mul_f32 v22, v15, v0 :: v_dual_mov_b32 v21, v9
	ds_load_2addr_b64 v[8:11], v26 offset0:36 offset1:37
	v_pk_add_f32 v[126:127], v[126:127], v[18:19] neg_lo:[0,1] neg_hi:[0,1]
	v_pk_fma_f32 v[18:19], v[12:13], v[0:1], v[28:29] op_sel:[0,0,1] op_sel_hi:[1,0,0]
	v_pk_fma_f32 v[12:13], v[12:13], v[0:1], v[28:29] op_sel:[0,0,1] op_sel_hi:[1,1,0] neg_lo:[0,0,1] neg_hi:[0,0,1]
	v_mov_b32_e32 v18, v15
	v_pk_add_f32 v[122:123], v[122:123], v[20:21] neg_lo:[0,1] neg_hi:[0,1]
	s_delay_alu instid0(VALU_DEP_4) | instskip(SKIP_3) | instid1(VALU_DEP_3)
	v_dual_mov_b32 v13, v19 :: v_dual_mov_b32 v19, v14
	s_wait_dscnt 0x1
	v_pk_mul_f32 v[28:29], v[4:5], v[2:3] op_sel:[0,1]
	v_pk_mul_f32 v[206:207], v[6:7], v[2:3] op_sel:[0,1]
	v_pk_add_f32 v[144:145], v[144:145], v[12:13] neg_lo:[0,1] neg_hi:[0,1]
	v_mul_f32_e32 v12, v15, v3
	v_pk_fma_f32 v[22:23], v[18:19], v[50:51], v[22:23] op_sel_hi:[1,1,0]
	v_pk_fma_f32 v[30:31], v[4:5], v[0:1], v[28:29] op_sel:[0,0,1] op_sel_hi:[1,0,0]
	ds_load_2addr_b64 v[18:21], v26 offset0:38 offset1:39
	v_pk_fma_f32 v[12:13], v[14:15], v[50:51], v[12:13] op_sel_hi:[1,1,0] neg_lo:[0,0,1] neg_hi:[0,0,1]
	v_pk_fma_f32 v[14:15], v[4:5], v[0:1], v[28:29] op_sel:[0,0,1] op_sel_hi:[1,1,0] neg_lo:[0,0,1] neg_hi:[0,0,1]
	v_dual_mov_b32 v13, v23 :: v_dual_mov_b32 v15, v31
	v_pk_fma_f32 v[22:23], v[6:7], v[0:1], v[206:207] op_sel:[0,0,1] op_sel_hi:[1,0,0]
	s_wait_dscnt 0x1
	v_pk_mul_f32 v[30:31], v[8:9], v[2:3] op_sel:[0,1]
	v_pk_fma_f32 v[28:29], v[6:7], v[0:1], v[206:207] op_sel:[0,0,1] op_sel_hi:[1,1,0] neg_lo:[0,0,1] neg_hi:[0,0,1]
	ds_load_2addr_b64 v[4:7], v26 offset0:40 offset1:41
	v_pk_add_f32 v[140:141], v[140:141], v[12:13] neg_lo:[0,1] neg_hi:[0,1]
	v_pk_add_f32 v[142:143], v[142:143], v[14:15] neg_lo:[0,1] neg_hi:[0,1]
	v_pk_fma_f32 v[206:207], v[8:9], v[0:1], v[30:31] op_sel:[0,0,1] op_sel_hi:[1,0,0]
	v_mov_b32_e32 v29, v23
	v_pk_mul_f32 v[22:23], v[10:11], v[2:3] op_sel:[0,1]
	ds_load_2addr_b64 v[12:15], v26 offset0:42 offset1:43
	v_pk_fma_f32 v[8:9], v[8:9], v[0:1], v[30:31] op_sel:[0,0,1] op_sel_hi:[1,1,0] neg_lo:[0,0,1] neg_hi:[0,0,1]
	v_mov_b32_e32 v9, v207
	v_pk_add_f32 v[138:139], v[138:139], v[28:29] neg_lo:[0,1] neg_hi:[0,1]
	v_pk_fma_f32 v[28:29], v[10:11], v[0:1], v[22:23] op_sel:[0,0,1] op_sel_hi:[1,0,0]
	v_pk_fma_f32 v[10:11], v[10:11], v[0:1], v[22:23] op_sel:[0,0,1] op_sel_hi:[1,1,0] neg_lo:[0,0,1] neg_hi:[0,0,1]
	s_wait_dscnt 0x2
	v_dual_mul_f32 v22, v19, v0 :: v_dual_mul_f32 v28, v19, v3
	v_pk_add_f32 v[162:163], v[162:163], v[8:9] neg_lo:[0,1] neg_hi:[0,1]
	v_mov_b32_e32 v11, v29
	v_pk_mul_f32 v[8:9], v[20:21], v[2:3] op_sel:[0,1]
	s_delay_alu instid0(VALU_DEP_4) | instskip(SKIP_1) | instid1(VALU_DEP_4)
	v_pk_fma_f32 v[22:23], v[18:19], v[50:51], v[22:23] op_sel:[1,0,0] op_sel_hi:[0,1,0]
	v_pk_fma_f32 v[18:19], v[18:19], v[50:51], v[28:29] op_sel_hi:[1,1,0] neg_lo:[0,0,1] neg_hi:[0,0,1]
	v_pk_add_f32 v[158:159], v[158:159], v[10:11] neg_lo:[0,1] neg_hi:[0,1]
	s_delay_alu instid0(VALU_DEP_4)
	v_pk_fma_f32 v[30:31], v[20:21], v[0:1], v[8:9] op_sel:[0,0,1] op_sel_hi:[1,0,0]
	v_pk_fma_f32 v[20:21], v[20:21], v[0:1], v[8:9] op_sel:[0,0,1] op_sel_hi:[1,1,0] neg_lo:[0,0,1] neg_hi:[0,0,1]
	ds_load_2addr_b64 v[8:11], v26 offset0:44 offset1:45
	s_wait_dscnt 0x2
	v_pk_mul_f32 v[28:29], v[4:5], v[2:3] op_sel:[0,1]
	v_dual_mov_b32 v19, v23 :: v_dual_mov_b32 v21, v31
	v_pk_mul_f32 v[30:31], v[6:7], v[2:3] op_sel:[0,1]
	s_delay_alu instid0(VALU_DEP_3)
	v_pk_fma_f32 v[22:23], v[4:5], v[0:1], v[28:29] op_sel:[0,0,1] op_sel_hi:[1,0,0]
	v_pk_fma_f32 v[4:5], v[4:5], v[0:1], v[28:29] op_sel:[0,0,1] op_sel_hi:[1,1,0] neg_lo:[0,0,1] neg_hi:[0,0,1]
	s_wait_dscnt 0x1
	v_pk_mul_f32 v[28:29], v[12:13], v[2:3] op_sel:[0,1]
	v_pk_add_f32 v[156:157], v[156:157], v[20:21] neg_lo:[0,1] neg_hi:[0,1]
	v_pk_add_f32 v[160:161], v[160:161], v[18:19] neg_lo:[0,1] neg_hi:[0,1]
	v_pk_fma_f32 v[18:19], v[6:7], v[0:1], v[30:31] op_sel:[0,0,1] op_sel_hi:[1,0,0]
	v_mul_f32_e32 v18, v15, v3
	v_pk_fma_f32 v[20:21], v[12:13], v[0:1], v[28:29] op_sel:[0,0,1] op_sel_hi:[1,0,0]
	v_mov_b32_e32 v5, v23
	v_mul_f32_e32 v20, v15, v0
	s_delay_alu instid0(VALU_DEP_2)
	v_pk_add_f32 v[178:179], v[178:179], v[4:5] neg_lo:[0,1] neg_hi:[0,1]
	v_pk_fma_f32 v[4:5], v[6:7], v[0:1], v[30:31] op_sel:[0,0,1] op_sel_hi:[1,1,0] neg_lo:[0,0,1] neg_hi:[0,0,1]
	v_mov_b32_e32 v5, v19
	v_pk_fma_f32 v[6:7], v[12:13], v[0:1], v[28:29] op_sel:[0,0,1] op_sel_hi:[1,1,0] neg_lo:[0,0,1] neg_hi:[0,0,1]
	v_dual_mov_b32 v12, v15 :: v_dual_mov_b32 v13, v14
	s_wait_dscnt 0x0
	v_pk_mul_f32 v[22:23], v[8:9], v[2:3] op_sel:[0,1]
	v_dual_mov_b32 v28, v11 :: v_dual_mul_f32 v2, v11, v0
	v_mov_b32_e32 v29, v10
	v_pk_fma_f32 v[12:13], v[12:13], v[50:51], v[20:21] op_sel_hi:[1,1,0]
	v_mul_f32_e32 v12, v11, v3
	v_pk_fma_f32 v[14:15], v[14:15], v[50:51], v[18:19] op_sel_hi:[1,1,0] neg_lo:[0,0,1] neg_hi:[0,0,1]
	v_pk_fma_f32 v[18:19], v[8:9], v[0:1], v[22:23] op_sel:[0,0,1] op_sel_hi:[1,0,0]
	v_pk_fma_f32 v[2:3], v[28:29], v[50:51], v[2:3] op_sel_hi:[1,1,0]
	v_mov_b32_e32 v15, v13
	v_pk_fma_f32 v[0:1], v[8:9], v[0:1], v[22:23] op_sel:[0,0,1] op_sel_hi:[1,1,0] neg_lo:[0,0,1] neg_hi:[0,0,1]
	v_pk_fma_f32 v[8:9], v[10:11], v[50:51], v[12:13] op_sel_hi:[1,1,0] neg_lo:[0,0,1] neg_hi:[0,0,1]
	v_dual_mov_b32 v7, v21 :: v_dual_mov_b32 v1, v19
	v_mov_b32_e32 v9, v3
	v_pk_add_f32 v[174:175], v[174:175], v[4:5] neg_lo:[0,1] neg_hi:[0,1]
	v_pk_add_f32 v[172:173], v[172:173], v[14:15] neg_lo:[0,1] neg_hi:[0,1]
	s_delay_alu instid0(VALU_DEP_4)
	v_pk_add_f32 v[176:177], v[176:177], v[6:7] neg_lo:[0,1] neg_hi:[0,1]
	v_pk_add_f32 v[180:181], v[180:181], v[0:1] neg_lo:[0,1] neg_hi:[0,1]
	;; [unrolled: 1-line block ×3, first 2 shown]
.LBB91_91:
	s_or_b32 exec_lo, exec_lo, s1
	s_delay_alu instid0(SALU_CYCLE_1)
	s_mov_b32 s2, exec_lo
	s_wait_dscnt 0x0
	s_barrier_signal -1
	s_barrier_wait -1
	v_cmpx_eq_u32_e32 10, v34
	s_cbranch_execz .LBB91_98
; %bb.92:
	ds_store_b64 v35, v[78:79]
	ds_store_2addr_b64 v26, v[76:77], v[104:105] offset0:11 offset1:12
	ds_store_2addr_b64 v26, v[38:39], v[40:41] offset0:13 offset1:14
	;; [unrolled: 1-line block ×17, first 2 shown]
	ds_store_b64 v26, v[184:185] offset:360
	ds_load_b64 v[0:1], v35
	s_wait_dscnt 0x0
	v_cmp_neq_f32_e32 vcc_lo, 0, v0
	v_cmp_neq_f32_e64 s1, 0, v1
	s_or_b32 s1, vcc_lo, s1
	s_delay_alu instid0(SALU_CYCLE_1)
	s_and_b32 exec_lo, exec_lo, s1
	s_cbranch_execz .LBB91_98
; %bb.93:
	v_cmp_ngt_f32_e64 s1, |v0|, |v1|
                                        ; implicit-def: $vgpr2_vgpr3
	s_and_saveexec_b32 s4, s1
	s_delay_alu instid0(SALU_CYCLE_1)
	s_xor_b32 s1, exec_lo, s4
	s_cbranch_execz .LBB91_95
; %bb.94:
	v_div_scale_f32 v2, null, v1, v1, v0
	v_div_scale_f32 v5, vcc_lo, v0, v1, v0
	s_delay_alu instid0(VALU_DEP_2) | instskip(SKIP_1) | instid1(TRANS32_DEP_1)
	v_rcp_f32_e32 v3, v2
	v_nop
	v_fma_f32 v4, -v2, v3, 1.0
	s_delay_alu instid0(VALU_DEP_1) | instskip(NEXT) | instid1(VALU_DEP_1)
	v_fmac_f32_e32 v3, v4, v3
	v_mul_f32_e32 v4, v5, v3
	s_delay_alu instid0(VALU_DEP_1) | instskip(NEXT) | instid1(VALU_DEP_1)
	v_fma_f32 v6, -v2, v4, v5
	v_fmac_f32_e32 v4, v6, v3
	s_delay_alu instid0(VALU_DEP_1) | instskip(NEXT) | instid1(VALU_DEP_1)
	v_fma_f32 v2, -v2, v4, v5
	v_div_fmas_f32 v2, v2, v3, v4
	s_delay_alu instid0(VALU_DEP_1) | instskip(NEXT) | instid1(VALU_DEP_1)
	v_div_fixup_f32 v2, v2, v1, v0
	v_fmac_f32_e32 v1, v0, v2
	s_delay_alu instid0(VALU_DEP_1) | instskip(SKIP_1) | instid1(VALU_DEP_2)
	v_div_scale_f32 v0, null, v1, v1, 1.0
	v_div_scale_f32 v5, vcc_lo, 1.0, v1, 1.0
	v_rcp_f32_e32 v3, v0
	v_nop
	s_delay_alu instid0(TRANS32_DEP_1) | instskip(NEXT) | instid1(VALU_DEP_1)
	v_fma_f32 v4, -v0, v3, 1.0
	v_fmac_f32_e32 v3, v4, v3
	s_delay_alu instid0(VALU_DEP_1) | instskip(NEXT) | instid1(VALU_DEP_1)
	v_mul_f32_e32 v4, v5, v3
	v_fma_f32 v6, -v0, v4, v5
	s_delay_alu instid0(VALU_DEP_1) | instskip(NEXT) | instid1(VALU_DEP_1)
	v_fmac_f32_e32 v4, v6, v3
	v_fma_f32 v0, -v0, v4, v5
	s_delay_alu instid0(VALU_DEP_1) | instskip(NEXT) | instid1(VALU_DEP_1)
	v_div_fmas_f32 v0, v0, v3, v4
	v_div_fixup_f32 v0, v0, v1, 1.0
	s_delay_alu instid0(VALU_DEP_1)
	v_mul_f32_e32 v2, v2, v0
	v_xor_b32_e32 v3, 0x80000000, v0
                                        ; implicit-def: $vgpr0_vgpr1
.LBB91_95:
	s_and_not1_saveexec_b32 s1, s1
	s_cbranch_execz .LBB91_97
; %bb.96:
	v_div_scale_f32 v2, null, v0, v0, v1
	v_div_scale_f32 v5, vcc_lo, v1, v0, v1
	s_delay_alu instid0(VALU_DEP_2) | instskip(SKIP_1) | instid1(TRANS32_DEP_1)
	v_rcp_f32_e32 v3, v2
	v_nop
	v_fma_f32 v4, -v2, v3, 1.0
	s_delay_alu instid0(VALU_DEP_1) | instskip(NEXT) | instid1(VALU_DEP_1)
	v_fmac_f32_e32 v3, v4, v3
	v_mul_f32_e32 v4, v5, v3
	s_delay_alu instid0(VALU_DEP_1) | instskip(NEXT) | instid1(VALU_DEP_1)
	v_fma_f32 v6, -v2, v4, v5
	v_fmac_f32_e32 v4, v6, v3
	s_delay_alu instid0(VALU_DEP_1) | instskip(NEXT) | instid1(VALU_DEP_1)
	v_fma_f32 v2, -v2, v4, v5
	v_div_fmas_f32 v2, v2, v3, v4
	s_delay_alu instid0(VALU_DEP_1) | instskip(NEXT) | instid1(VALU_DEP_1)
	v_div_fixup_f32 v3, v2, v0, v1
	v_fmac_f32_e32 v0, v1, v3
	s_delay_alu instid0(VALU_DEP_1) | instskip(NEXT) | instid1(VALU_DEP_1)
	v_div_scale_f32 v1, null, v0, v0, 1.0
	v_rcp_f32_e32 v2, v1
	v_nop
	s_delay_alu instid0(TRANS32_DEP_1) | instskip(NEXT) | instid1(VALU_DEP_1)
	v_fma_f32 v4, -v1, v2, 1.0
	v_fmac_f32_e32 v2, v4, v2
	v_div_scale_f32 v4, vcc_lo, 1.0, v0, 1.0
	s_delay_alu instid0(VALU_DEP_1) | instskip(NEXT) | instid1(VALU_DEP_1)
	v_mul_f32_e32 v5, v4, v2
	v_fma_f32 v6, -v1, v5, v4
	s_delay_alu instid0(VALU_DEP_1) | instskip(NEXT) | instid1(VALU_DEP_1)
	v_fmac_f32_e32 v5, v6, v2
	v_fma_f32 v1, -v1, v5, v4
	s_delay_alu instid0(VALU_DEP_1) | instskip(NEXT) | instid1(VALU_DEP_1)
	v_div_fmas_f32 v1, v1, v2, v5
	v_div_fixup_f32 v2, v1, v0, 1.0
	s_delay_alu instid0(VALU_DEP_1)
	v_mul_f32_e64 v3, v3, -v2
.LBB91_97:
	s_or_b32 exec_lo, exec_lo, s1
	ds_store_b64 v35, v[2:3]
.LBB91_98:
	s_or_b32 exec_lo, exec_lo, s2
	s_wait_dscnt 0x0
	s_barrier_signal -1
	s_barrier_wait -1
	ds_load_b64 v[206:207], v35
	s_mov_b32 s1, exec_lo
	v_cmpx_lt_u32_e32 10, v34
	s_cbranch_execz .LBB91_100
; %bb.99:
	ds_load_2addr_b64 v[4:7], v26 offset0:11 offset1:12
	ds_load_2addr_b64 v[8:11], v26 offset0:13 offset1:14
	;; [unrolled: 1-line block ×3, first 2 shown]
	s_wait_dscnt 0x3
	v_pk_mul_f32 v[2:3], v[206:207], v[78:79] op_sel:[1,1] op_sel_hi:[0,1]
	ds_load_2addr_b64 v[18:21], v26 offset0:17 offset1:18
	ds_load_2addr_b64 v[208:211], v26 offset0:19 offset1:20
	v_pk_fma_f32 v[0:1], v[206:207], v[78:79], v[2:3] op_sel_hi:[1,0,1] neg_lo:[0,0,1] neg_hi:[0,0,1]
	v_pk_fma_f32 v[2:3], v[206:207], v[78:79], v[2:3] op_sel_hi:[1,0,1]
	s_delay_alu instid0(VALU_DEP_1) | instskip(SKIP_1) | instid1(VALU_DEP_2)
	v_dual_mov_b32 v78, v0 :: v_dual_mov_b32 v79, v3
	s_wait_dscnt 0x4
	v_pk_mul_f32 v[22:23], v[4:5], v[2:3] op_sel:[0,1]
	v_pk_mul_f32 v[28:29], v[6:7], v[2:3] op_sel:[0,1]
	s_wait_dscnt 0x3
	v_pk_mul_f32 v[30:31], v[8:9], v[2:3] op_sel:[0,1]
	v_dual_mov_b32 v212, v11 :: v_dual_mov_b32 v213, v10
	v_dual_mul_f32 v214, v11, v3 :: v_dual_mul_f32 v216, v11, v0
	s_wait_dscnt 0x2
	v_pk_mul_f32 v[218:219], v[12:13], v[2:3] op_sel:[0,1]
	v_pk_mul_f32 v[220:221], v[14:15], v[2:3] op_sel:[0,1]
	v_pk_fma_f32 v[222:223], v[4:5], v[0:1], v[22:23] op_sel:[0,0,1] op_sel_hi:[1,1,0] neg_lo:[0,0,1] neg_hi:[0,0,1]
	v_pk_fma_f32 v[4:5], v[4:5], v[0:1], v[22:23] op_sel:[0,0,1] op_sel_hi:[1,0,0]
	v_pk_fma_f32 v[22:23], v[6:7], v[0:1], v[28:29] op_sel:[0,0,1] op_sel_hi:[1,1,0] neg_lo:[0,0,1] neg_hi:[0,0,1]
	v_pk_fma_f32 v[6:7], v[6:7], v[0:1], v[28:29] op_sel:[0,0,1] op_sel_hi:[1,0,0]
	;; [unrolled: 2-line block ×3, first 2 shown]
	v_pk_fma_f32 v[30:31], v[212:213], v[78:79], v[216:217] op_sel_hi:[1,1,0]
	v_pk_fma_f32 v[212:213], v[12:13], v[0:1], v[218:219] op_sel:[0,0,1] op_sel_hi:[1,1,0] neg_lo:[0,0,1] neg_hi:[0,0,1]
	v_dual_mov_b32 v223, v5 :: v_dual_mov_b32 v23, v7
	s_delay_alu instid0(VALU_DEP_4)
	v_mov_b32_e32 v29, v9
	v_pk_fma_f32 v[4:5], v[12:13], v[0:1], v[218:219] op_sel:[0,0,1] op_sel_hi:[1,0,0]
	v_pk_fma_f32 v[8:9], v[14:15], v[0:1], v[220:221] op_sel:[0,0,1] op_sel_hi:[1,0,0]
	s_wait_dscnt 0x1
	v_pk_mul_f32 v[12:13], v[18:19], v[2:3] op_sel:[0,1]
	v_pk_fma_f32 v[14:15], v[14:15], v[0:1], v[220:221] op_sel:[0,0,1] op_sel_hi:[1,1,0] neg_lo:[0,0,1] neg_hi:[0,0,1]
	v_pk_fma_f32 v[10:11], v[10:11], v[78:79], v[214:215] op_sel_hi:[1,1,0] neg_lo:[0,0,1] neg_hi:[0,0,1]
	v_pk_add_f32 v[104:105], v[104:105], v[22:23] neg_lo:[0,1] neg_hi:[0,1]
	v_dual_mov_b32 v213, v5 :: v_dual_mov_b32 v15, v9
	ds_load_2addr_b64 v[4:7], v26 offset0:21 offset1:22
	v_pk_mul_f32 v[22:23], v[20:21], v[2:3] op_sel:[0,1]
	v_pk_fma_f32 v[8:9], v[18:19], v[0:1], v[12:13] op_sel:[0,0,1] op_sel_hi:[1,0,0]
	v_mov_b32_e32 v11, v31
	v_pk_fma_f32 v[12:13], v[18:19], v[0:1], v[12:13] op_sel:[0,0,1] op_sel_hi:[1,1,0] neg_lo:[0,0,1] neg_hi:[0,0,1]
	v_pk_add_f32 v[66:67], v[66:67], v[14:15] neg_lo:[0,1] neg_hi:[0,1]
	v_pk_fma_f32 v[14:15], v[20:21], v[0:1], v[22:23] op_sel:[0,0,1] op_sel_hi:[1,0,0]
	v_mov_b32_e32 v13, v9
	v_pk_add_f32 v[40:41], v[40:41], v[10:11] neg_lo:[0,1] neg_hi:[0,1]
	s_wait_dscnt 0x1
	v_mul_f32_e32 v14, v209, v0
	ds_load_2addr_b64 v[8:11], v26 offset0:23 offset1:24
	v_pk_fma_f32 v[18:19], v[20:21], v[0:1], v[22:23] op_sel:[0,0,1] op_sel_hi:[1,1,0] neg_lo:[0,0,1] neg_hi:[0,0,1]
	v_mov_b32_e32 v19, v15
	v_pk_add_f32 v[62:63], v[62:63], v[12:13] neg_lo:[0,1] neg_hi:[0,1]
	v_mul_f32_e32 v12, v209, v3
	v_pk_fma_f32 v[14:15], v[208:209], v[78:79], v[14:15] op_sel:[1,0,0] op_sel_hi:[0,1,0]
	v_pk_mul_f32 v[20:21], v[210:211], v[2:3] op_sel:[0,1]
	v_pk_add_f32 v[38:39], v[38:39], v[28:29] neg_lo:[0,1] neg_hi:[0,1]
	v_pk_add_f32 v[64:65], v[64:65], v[18:19] neg_lo:[0,1] neg_hi:[0,1]
	v_pk_fma_f32 v[22:23], v[208:209], v[78:79], v[12:13] op_sel_hi:[1,1,0] neg_lo:[0,0,1] neg_hi:[0,0,1]
	s_wait_dscnt 0x1
	v_pk_mul_f32 v[18:19], v[4:5], v[2:3] op_sel:[0,1]
	v_pk_fma_f32 v[28:29], v[210:211], v[0:1], v[20:21] op_sel:[0,0,1] op_sel_hi:[1,0,0]
	v_mov_b32_e32 v23, v15
	ds_load_2addr_b64 v[12:15], v26 offset0:25 offset1:26
	v_pk_mul_f32 v[30:31], v[6:7], v[2:3] op_sel:[0,1]
	v_pk_fma_f32 v[20:21], v[210:211], v[0:1], v[20:21] op_sel:[0,0,1] op_sel_hi:[1,1,0] neg_lo:[0,0,1] neg_hi:[0,0,1]
	v_pk_fma_f32 v[208:209], v[4:5], v[0:1], v[18:19] op_sel:[0,0,1] op_sel_hi:[1,0,0]
	v_mov_b32_e32 v21, v29
	v_pk_fma_f32 v[4:5], v[4:5], v[0:1], v[18:19] op_sel:[0,0,1] op_sel_hi:[1,1,0] neg_lo:[0,0,1] neg_hi:[0,0,1]
	v_pk_fma_f32 v[28:29], v[6:7], v[0:1], v[30:31] op_sel:[0,0,1] op_sel_hi:[1,0,0]
	s_wait_dscnt 0x1
	v_pk_mul_f32 v[18:19], v[8:9], v[2:3] op_sel:[0,1]
	v_pk_fma_f32 v[6:7], v[6:7], v[0:1], v[30:31] op_sel:[0,0,1] op_sel_hi:[1,1,0] neg_lo:[0,0,1] neg_hi:[0,0,1]
	v_mov_b32_e32 v5, v209
	v_pk_add_f32 v[90:91], v[90:91], v[20:21] neg_lo:[0,1] neg_hi:[0,1]
	v_mov_b32_e32 v7, v29
	v_pk_fma_f32 v[20:21], v[8:9], v[0:1], v[18:19] op_sel:[0,0,1] op_sel_hi:[1,0,0]
	v_pk_fma_f32 v[8:9], v[8:9], v[0:1], v[18:19] op_sel:[0,0,1] op_sel_hi:[1,1,0] neg_lo:[0,0,1] neg_hi:[0,0,1]
	v_pk_add_f32 v[86:87], v[86:87], v[4:5] neg_lo:[0,1] neg_hi:[0,1]
	v_pk_add_f32 v[60:61], v[60:61], v[22:23] neg_lo:[0,1] neg_hi:[0,1]
	;; [unrolled: 1-line block ×3, first 2 shown]
	ds_load_2addr_b64 v[4:7], v26 offset0:27 offset1:28
	v_dual_mov_b32 v9, v21 :: v_dual_mov_b32 v22, v11
	s_wait_dscnt 0x1
	v_pk_mul_f32 v[30:31], v[12:13], v[2:3] op_sel:[0,1]
	v_dual_mov_b32 v23, v10 :: v_dual_mul_f32 v28, v11, v0
	ds_load_2addr_b64 v[18:21], v26 offset0:29 offset1:30
	v_pk_mul_f32 v[210:211], v[14:15], v[2:3] op_sel:[0,1]
	v_pk_add_f32 v[84:85], v[84:85], v[8:9] neg_lo:[0,1] neg_hi:[0,1]
	v_pk_fma_f32 v[8:9], v[12:13], v[0:1], v[30:31] op_sel:[0,0,1] op_sel_hi:[1,0,0]
	v_mul_f32_e32 v208, v11, v3
	v_pk_fma_f32 v[12:13], v[12:13], v[0:1], v[30:31] op_sel:[0,0,1] op_sel_hi:[1,1,0] neg_lo:[0,0,1] neg_hi:[0,0,1]
	v_pk_fma_f32 v[22:23], v[22:23], v[78:79], v[28:29] op_sel_hi:[1,1,0]
	v_pk_add_f32 v[76:77], v[76:77], v[222:223] neg_lo:[0,1] neg_hi:[0,1]
	v_mov_b32_e32 v13, v9
	v_pk_fma_f32 v[28:29], v[10:11], v[78:79], v[208:209] op_sel_hi:[1,1,0] neg_lo:[0,0,1] neg_hi:[0,0,1]
	v_pk_fma_f32 v[10:11], v[14:15], v[0:1], v[210:211] op_sel:[0,0,1] op_sel_hi:[1,0,0]
	v_pk_fma_f32 v[14:15], v[14:15], v[0:1], v[210:211] op_sel:[0,0,1] op_sel_hi:[1,1,0] neg_lo:[0,0,1] neg_hi:[0,0,1]
	v_mov_b32_e32 v29, v23
	v_pk_add_f32 v[108:109], v[108:109], v[12:13] neg_lo:[0,1] neg_hi:[0,1]
	s_wait_dscnt 0x1
	v_pk_mul_f32 v[22:23], v[4:5], v[2:3] op_sel:[0,1]
	v_mov_b32_e32 v15, v11
	ds_load_2addr_b64 v[8:11], v26 offset0:31 offset1:32
	v_pk_add_f32 v[112:113], v[112:113], v[28:29] neg_lo:[0,1] neg_hi:[0,1]
	v_pk_mul_f32 v[28:29], v[6:7], v[2:3] op_sel:[0,1]
	v_pk_fma_f32 v[30:31], v[4:5], v[0:1], v[22:23] op_sel:[0,0,1] op_sel_hi:[1,1,0] neg_lo:[0,0,1] neg_hi:[0,0,1]
	v_pk_add_f32 v[110:111], v[110:111], v[14:15] neg_lo:[0,1] neg_hi:[0,1]
	ds_load_2addr_b64 v[12:15], v26 offset0:33 offset1:34
	v_pk_fma_f32 v[4:5], v[4:5], v[0:1], v[22:23] op_sel:[0,0,1] op_sel_hi:[1,0,0]
	s_wait_dscnt 0x2
	v_dual_mul_f32 v208, v19, v0 :: v_dual_mul_f32 v4, v19, v3
	v_pk_fma_f32 v[22:23], v[6:7], v[0:1], v[28:29] op_sel:[0,0,1] op_sel_hi:[1,0,0]
	v_pk_fma_f32 v[6:7], v[6:7], v[0:1], v[28:29] op_sel:[0,0,1] op_sel_hi:[1,1,0] neg_lo:[0,0,1] neg_hi:[0,0,1]
	v_mov_b32_e32 v31, v5
	s_delay_alu instid0(VALU_DEP_4)
	v_pk_fma_f32 v[208:209], v[18:19], v[78:79], v[208:209] op_sel:[1,0,0] op_sel_hi:[0,1,0]
	v_pk_fma_f32 v[4:5], v[18:19], v[78:79], v[4:5] op_sel_hi:[1,1,0] neg_lo:[0,0,1] neg_hi:[0,0,1]
	v_pk_mul_f32 v[18:19], v[20:21], v[2:3] op_sel:[0,1]
	v_mov_b32_e32 v7, v23
	v_pk_add_f32 v[106:107], v[106:107], v[30:31] neg_lo:[0,1] neg_hi:[0,1]
	v_pk_add_f32 v[36:37], v[36:37], v[212:213] neg_lo:[0,1] neg_hi:[0,1]
	s_delay_alu instid0(VALU_DEP_4)
	v_pk_fma_f32 v[28:29], v[20:21], v[0:1], v[18:19] op_sel:[0,0,1] op_sel_hi:[1,0,0]
	v_mov_b32_e32 v5, v209
	s_wait_dscnt 0x1
	v_pk_mul_f32 v[22:23], v[8:9], v[2:3] op_sel:[0,1]
	v_pk_fma_f32 v[30:31], v[20:21], v[0:1], v[18:19] op_sel:[0,0,1] op_sel_hi:[1,1,0] neg_lo:[0,0,1] neg_hi:[0,0,1]
	v_pk_add_f32 v[128:129], v[128:129], v[6:7] neg_lo:[0,1] neg_hi:[0,1]
	v_mov_b32_e32 v31, v29
	v_pk_add_f32 v[124:125], v[124:125], v[4:5] neg_lo:[0,1] neg_hi:[0,1]
	v_pk_fma_f32 v[18:19], v[8:9], v[0:1], v[22:23] op_sel:[0,0,1] op_sel_hi:[1,0,0]
	ds_load_2addr_b64 v[4:7], v26 offset0:35 offset1:36
	v_pk_fma_f32 v[8:9], v[8:9], v[0:1], v[22:23] op_sel:[0,0,1] op_sel_hi:[1,1,0] neg_lo:[0,0,1] neg_hi:[0,0,1]
	s_wait_dscnt 0x1
	v_pk_mul_f32 v[22:23], v[12:13], v[2:3] op_sel:[0,1]
	v_pk_add_f32 v[126:127], v[126:127], v[30:31] neg_lo:[0,1] neg_hi:[0,1]
	v_pk_mul_f32 v[208:209], v[10:11], v[2:3] op_sel:[0,1]
	s_delay_alu instid0(VALU_DEP_3)
	v_pk_fma_f32 v[30:31], v[12:13], v[0:1], v[22:23] op_sel:[0,0,1] op_sel_hi:[1,0,0]
	v_mov_b32_e32 v9, v19
	ds_load_2addr_b64 v[18:21], v26 offset0:37 offset1:38
	v_pk_fma_f32 v[28:29], v[10:11], v[0:1], v[208:209] op_sel:[0,0,1] op_sel_hi:[1,0,0]
	v_mul_f32_e32 v28, v15, v0
	v_pk_add_f32 v[122:123], v[122:123], v[8:9] neg_lo:[0,1] neg_hi:[0,1]
	v_pk_fma_f32 v[8:9], v[10:11], v[0:1], v[208:209] op_sel:[0,0,1] op_sel_hi:[1,1,0] neg_lo:[0,0,1] neg_hi:[0,0,1]
	v_pk_fma_f32 v[10:11], v[12:13], v[0:1], v[22:23] op_sel:[0,0,1] op_sel_hi:[1,1,0] neg_lo:[0,0,1] neg_hi:[0,0,1]
	v_dual_mov_b32 v9, v29 :: v_dual_mov_b32 v12, v15
	v_dual_mov_b32 v11, v31 :: v_dual_mov_b32 v13, v14
	v_mul_f32_e32 v22, v15, v3
	s_wait_dscnt 0x1
	v_pk_mul_f32 v[30:31], v[4:5], v[2:3] op_sel:[0,1]
	v_pk_add_f32 v[144:145], v[144:145], v[8:9] neg_lo:[0,1] neg_hi:[0,1]
	v_pk_add_f32 v[140:141], v[140:141], v[10:11] neg_lo:[0,1] neg_hi:[0,1]
	ds_load_2addr_b64 v[8:11], v26 offset0:39 offset1:40
	v_pk_fma_f32 v[14:15], v[14:15], v[78:79], v[22:23] op_sel_hi:[1,1,0] neg_lo:[0,0,1] neg_hi:[0,0,1]
	v_pk_fma_f32 v[12:13], v[12:13], v[78:79], v[28:29] op_sel_hi:[1,1,0]
	v_pk_mul_f32 v[22:23], v[6:7], v[2:3] op_sel:[0,1]
	v_pk_fma_f32 v[28:29], v[4:5], v[0:1], v[30:31] op_sel:[0,0,1] op_sel_hi:[1,0,0]
	s_wait_dscnt 0x1
	v_pk_mul_f32 v[208:209], v[18:19], v[2:3] op_sel:[0,1]
	v_mov_b32_e32 v15, v13
	v_pk_fma_f32 v[12:13], v[4:5], v[0:1], v[30:31] op_sel:[0,0,1] op_sel_hi:[1,1,0] neg_lo:[0,0,1] neg_hi:[0,0,1]
	v_pk_fma_f32 v[30:31], v[6:7], v[0:1], v[22:23] op_sel:[0,0,1] op_sel_hi:[1,0,0]
	v_pk_fma_f32 v[22:23], v[6:7], v[0:1], v[22:23] op_sel:[0,0,1] op_sel_hi:[1,1,0] neg_lo:[0,0,1] neg_hi:[0,0,1]
	ds_load_2addr_b64 v[4:7], v26 offset0:41 offset1:42
	v_mov_b32_e32 v13, v29
	v_pk_fma_f32 v[28:29], v[18:19], v[0:1], v[208:209] op_sel:[0,0,1] op_sel_hi:[1,0,0]
	v_pk_fma_f32 v[18:19], v[18:19], v[0:1], v[208:209] op_sel:[0,0,1] op_sel_hi:[1,1,0] neg_lo:[0,0,1] neg_hi:[0,0,1]
	v_mov_b32_e32 v23, v31
	v_pk_add_f32 v[142:143], v[142:143], v[14:15] neg_lo:[0,1] neg_hi:[0,1]
	v_pk_add_f32 v[138:139], v[138:139], v[12:13] neg_lo:[0,1] neg_hi:[0,1]
	v_mov_b32_e32 v19, v29
	v_pk_mul_f32 v[28:29], v[20:21], v[2:3] op_sel:[0,1]
	ds_load_2addr_b64 v[12:15], v26 offset0:43 offset1:44
	ds_load_b64 v[208:209], v26 offset:360
	v_pk_add_f32 v[162:163], v[162:163], v[22:23] neg_lo:[0,1] neg_hi:[0,1]
	v_pk_add_f32 v[158:159], v[158:159], v[18:19] neg_lo:[0,1] neg_hi:[0,1]
	v_pk_fma_f32 v[18:19], v[20:21], v[0:1], v[28:29] op_sel:[0,0,1] op_sel_hi:[1,1,0] neg_lo:[0,0,1] neg_hi:[0,0,1]
	v_pk_fma_f32 v[20:21], v[20:21], v[0:1], v[28:29] op_sel:[0,0,1] op_sel_hi:[1,0,0]
	s_wait_dscnt 0x3
	v_dual_mul_f32 v20, v9, v0 :: v_dual_mul_f32 v28, v9, v3
	v_pk_mul_f32 v[22:23], v[10:11], v[2:3] op_sel:[0,1]
	s_delay_alu instid0(VALU_DEP_1) | instskip(SKIP_1) | instid1(VALU_DEP_4)
	v_pk_fma_f32 v[30:31], v[10:11], v[0:1], v[22:23] op_sel:[0,0,1] op_sel_hi:[1,0,0]
	v_mov_b32_e32 v19, v21
	v_pk_fma_f32 v[20:21], v[8:9], v[78:79], v[20:21] op_sel:[1,0,0] op_sel_hi:[0,1,0]
	v_pk_fma_f32 v[8:9], v[8:9], v[78:79], v[28:29] op_sel_hi:[1,1,0] neg_lo:[0,0,1] neg_hi:[0,0,1]
	s_wait_dscnt 0x2
	v_pk_mul_f32 v[28:29], v[4:5], v[2:3] op_sel:[0,1]
	v_pk_fma_f32 v[10:11], v[10:11], v[0:1], v[22:23] op_sel:[0,0,1] op_sel_hi:[1,1,0] neg_lo:[0,0,1] neg_hi:[0,0,1]
	v_dual_mov_b32 v11, v31 :: v_dual_mov_b32 v9, v21
	v_pk_mul_f32 v[20:21], v[6:7], v[2:3] op_sel:[0,1]
	v_pk_add_f32 v[160:161], v[160:161], v[18:19] neg_lo:[0,1] neg_hi:[0,1]
	v_pk_fma_f32 v[18:19], v[4:5], v[0:1], v[28:29] op_sel:[0,0,1] op_sel_hi:[1,0,0]
	s_delay_alu instid0(VALU_DEP_4)
	v_pk_add_f32 v[178:179], v[178:179], v[10:11] neg_lo:[0,1] neg_hi:[0,1]
	v_pk_add_f32 v[156:157], v[156:157], v[8:9] neg_lo:[0,1] neg_hi:[0,1]
	v_pk_fma_f32 v[4:5], v[4:5], v[0:1], v[28:29] op_sel:[0,0,1] op_sel_hi:[1,1,0] neg_lo:[0,0,1] neg_hi:[0,0,1]
	v_pk_fma_f32 v[8:9], v[6:7], v[0:1], v[20:21] op_sel:[0,0,1] op_sel_hi:[1,1,0] neg_lo:[0,0,1] neg_hi:[0,0,1]
	v_pk_fma_f32 v[6:7], v[6:7], v[0:1], v[20:21] op_sel:[0,0,1] op_sel_hi:[1,0,0]
	s_wait_dscnt 0x1
	v_pk_mul_f32 v[10:11], v[12:13], v[2:3] op_sel:[0,1]
	s_wait_dscnt 0x0
	v_pk_mul_f32 v[20:21], v[208:209], v[2:3] op_sel:[0,1]
	v_dual_mov_b32 v5, v19 :: v_dual_mov_b32 v18, v15
	v_dual_mov_b32 v19, v14 :: v_dual_mul_f32 v6, v15, v0
	v_pk_fma_f32 v[22:23], v[12:13], v[0:1], v[10:11] op_sel:[0,0,1] op_sel_hi:[1,0,0]
	v_pk_fma_f32 v[10:11], v[12:13], v[0:1], v[10:11] op_sel:[0,0,1] op_sel_hi:[1,1,0] neg_lo:[0,0,1] neg_hi:[0,0,1]
	v_pk_fma_f32 v[12:13], v[208:209], v[0:1], v[20:21] op_sel:[0,0,1] op_sel_hi:[1,0,0]
	v_mul_f32_e32 v2, v15, v3
	s_delay_alu instid0(VALU_DEP_4)
	v_dual_mov_b32 v9, v7 :: v_dual_mov_b32 v11, v23
	v_pk_fma_f32 v[6:7], v[18:19], v[78:79], v[6:7] op_sel_hi:[1,1,0]
	v_pk_fma_f32 v[0:1], v[208:209], v[0:1], v[20:21] op_sel:[0,0,1] op_sel_hi:[1,1,0] neg_lo:[0,0,1] neg_hi:[0,0,1]
	v_mov_b32_e32 v1, v13
	v_pk_fma_f32 v[2:3], v[14:15], v[78:79], v[2:3] op_sel_hi:[1,1,0] neg_lo:[0,0,1] neg_hi:[0,0,1]
	v_pk_add_f32 v[174:175], v[174:175], v[4:5] neg_lo:[0,1] neg_hi:[0,1]
	v_mov_b32_e32 v3, v7
	v_pk_add_f32 v[176:177], v[176:177], v[8:9] neg_lo:[0,1] neg_hi:[0,1]
	v_pk_add_f32 v[172:173], v[172:173], v[10:11] neg_lo:[0,1] neg_hi:[0,1]
	;; [unrolled: 1-line block ×3, first 2 shown]
	s_delay_alu instid0(VALU_DEP_4)
	v_pk_add_f32 v[180:181], v[180:181], v[2:3] neg_lo:[0,1] neg_hi:[0,1]
.LBB91_100:
	s_or_b32 exec_lo, exec_lo, s1
	s_delay_alu instid0(SALU_CYCLE_1)
	s_mov_b32 s2, exec_lo
	s_wait_dscnt 0x0
	s_barrier_signal -1
	s_barrier_wait -1
	v_cmpx_eq_u32_e32 11, v34
	s_cbranch_execz .LBB91_107
; %bb.101:
	v_dual_mov_b32 v0, v104 :: v_dual_mov_b32 v1, v105
	v_dual_mov_b32 v2, v38 :: v_dual_mov_b32 v3, v39
	;; [unrolled: 1-line block ×10, first 2 shown]
	ds_store_b64 v35, v[76:77]
	v_dual_mov_b32 v22, v88 :: v_dual_mov_b32 v23, v89
	v_dual_mov_b32 v28, v84 :: v_dual_mov_b32 v29, v85
	ds_store_2addr_b64 v26, v[0:1], v[2:3] offset0:12 offset1:13
	ds_store_2addr_b64 v26, v[4:5], v[6:7] offset0:14 offset1:15
	;; [unrolled: 1-line block ×6, first 2 shown]
	v_dual_mov_b32 v0, v112 :: v_dual_mov_b32 v1, v113
	v_dual_mov_b32 v2, v108 :: v_dual_mov_b32 v3, v109
	;; [unrolled: 1-line block ×12, first 2 shown]
	ds_store_2addr_b64 v26, v[0:1], v[2:3] offset0:24 offset1:25
	ds_store_2addr_b64 v26, v[4:5], v[6:7] offset0:26 offset1:27
	ds_store_2addr_b64 v26, v[8:9], v[10:11] offset0:28 offset1:29
	ds_store_2addr_b64 v26, v[12:13], v[14:15] offset0:30 offset1:31
	ds_store_2addr_b64 v26, v[18:19], v[20:21] offset0:32 offset1:33
	ds_store_2addr_b64 v26, v[22:23], v[28:29] offset0:34 offset1:35
	v_dual_mov_b32 v0, v162 :: v_dual_mov_b32 v1, v163
	v_dual_mov_b32 v2, v158 :: v_dual_mov_b32 v3, v159
	;; [unrolled: 1-line block ×9, first 2 shown]
	ds_store_2addr_b64 v26, v[0:1], v[2:3] offset0:36 offset1:37
	ds_store_2addr_b64 v26, v[4:5], v[6:7] offset0:38 offset1:39
	;; [unrolled: 1-line block ×5, first 2 shown]
	ds_load_b64 v[0:1], v35
	s_wait_dscnt 0x0
	v_cmp_neq_f32_e32 vcc_lo, 0, v0
	v_cmp_neq_f32_e64 s1, 0, v1
	s_or_b32 s1, vcc_lo, s1
	s_delay_alu instid0(SALU_CYCLE_1)
	s_and_b32 exec_lo, exec_lo, s1
	s_cbranch_execz .LBB91_107
; %bb.102:
	v_cmp_ngt_f32_e64 s1, |v0|, |v1|
                                        ; implicit-def: $vgpr2_vgpr3
	s_and_saveexec_b32 s4, s1
	s_delay_alu instid0(SALU_CYCLE_1)
	s_xor_b32 s1, exec_lo, s4
	s_cbranch_execz .LBB91_104
; %bb.103:
	v_div_scale_f32 v2, null, v1, v1, v0
	v_div_scale_f32 v5, vcc_lo, v0, v1, v0
	s_delay_alu instid0(VALU_DEP_2) | instskip(SKIP_1) | instid1(TRANS32_DEP_1)
	v_rcp_f32_e32 v3, v2
	v_nop
	v_fma_f32 v4, -v2, v3, 1.0
	s_delay_alu instid0(VALU_DEP_1) | instskip(NEXT) | instid1(VALU_DEP_1)
	v_fmac_f32_e32 v3, v4, v3
	v_mul_f32_e32 v4, v5, v3
	s_delay_alu instid0(VALU_DEP_1) | instskip(NEXT) | instid1(VALU_DEP_1)
	v_fma_f32 v6, -v2, v4, v5
	v_fmac_f32_e32 v4, v6, v3
	s_delay_alu instid0(VALU_DEP_1) | instskip(NEXT) | instid1(VALU_DEP_1)
	v_fma_f32 v2, -v2, v4, v5
	v_div_fmas_f32 v2, v2, v3, v4
	s_delay_alu instid0(VALU_DEP_1) | instskip(NEXT) | instid1(VALU_DEP_1)
	v_div_fixup_f32 v2, v2, v1, v0
	v_fmac_f32_e32 v1, v0, v2
	s_delay_alu instid0(VALU_DEP_1) | instskip(SKIP_1) | instid1(VALU_DEP_2)
	v_div_scale_f32 v0, null, v1, v1, 1.0
	v_div_scale_f32 v5, vcc_lo, 1.0, v1, 1.0
	v_rcp_f32_e32 v3, v0
	v_nop
	s_delay_alu instid0(TRANS32_DEP_1) | instskip(NEXT) | instid1(VALU_DEP_1)
	v_fma_f32 v4, -v0, v3, 1.0
	v_fmac_f32_e32 v3, v4, v3
	s_delay_alu instid0(VALU_DEP_1) | instskip(NEXT) | instid1(VALU_DEP_1)
	v_mul_f32_e32 v4, v5, v3
	v_fma_f32 v6, -v0, v4, v5
	s_delay_alu instid0(VALU_DEP_1) | instskip(NEXT) | instid1(VALU_DEP_1)
	v_fmac_f32_e32 v4, v6, v3
	v_fma_f32 v0, -v0, v4, v5
	s_delay_alu instid0(VALU_DEP_1) | instskip(NEXT) | instid1(VALU_DEP_1)
	v_div_fmas_f32 v0, v0, v3, v4
	v_div_fixup_f32 v0, v0, v1, 1.0
	s_delay_alu instid0(VALU_DEP_1)
	v_mul_f32_e32 v2, v2, v0
	v_xor_b32_e32 v3, 0x80000000, v0
                                        ; implicit-def: $vgpr0_vgpr1
.LBB91_104:
	s_and_not1_saveexec_b32 s1, s1
	s_cbranch_execz .LBB91_106
; %bb.105:
	v_div_scale_f32 v2, null, v0, v0, v1
	v_div_scale_f32 v5, vcc_lo, v1, v0, v1
	s_delay_alu instid0(VALU_DEP_2) | instskip(SKIP_1) | instid1(TRANS32_DEP_1)
	v_rcp_f32_e32 v3, v2
	v_nop
	v_fma_f32 v4, -v2, v3, 1.0
	s_delay_alu instid0(VALU_DEP_1) | instskip(NEXT) | instid1(VALU_DEP_1)
	v_fmac_f32_e32 v3, v4, v3
	v_mul_f32_e32 v4, v5, v3
	s_delay_alu instid0(VALU_DEP_1) | instskip(NEXT) | instid1(VALU_DEP_1)
	v_fma_f32 v6, -v2, v4, v5
	v_fmac_f32_e32 v4, v6, v3
	s_delay_alu instid0(VALU_DEP_1) | instskip(NEXT) | instid1(VALU_DEP_1)
	v_fma_f32 v2, -v2, v4, v5
	v_div_fmas_f32 v2, v2, v3, v4
	s_delay_alu instid0(VALU_DEP_1) | instskip(NEXT) | instid1(VALU_DEP_1)
	v_div_fixup_f32 v3, v2, v0, v1
	v_fmac_f32_e32 v0, v1, v3
	s_delay_alu instid0(VALU_DEP_1) | instskip(NEXT) | instid1(VALU_DEP_1)
	v_div_scale_f32 v1, null, v0, v0, 1.0
	v_rcp_f32_e32 v2, v1
	v_nop
	s_delay_alu instid0(TRANS32_DEP_1) | instskip(NEXT) | instid1(VALU_DEP_1)
	v_fma_f32 v4, -v1, v2, 1.0
	v_fmac_f32_e32 v2, v4, v2
	v_div_scale_f32 v4, vcc_lo, 1.0, v0, 1.0
	s_delay_alu instid0(VALU_DEP_1) | instskip(NEXT) | instid1(VALU_DEP_1)
	v_mul_f32_e32 v5, v4, v2
	v_fma_f32 v6, -v1, v5, v4
	s_delay_alu instid0(VALU_DEP_1) | instskip(NEXT) | instid1(VALU_DEP_1)
	v_fmac_f32_e32 v5, v6, v2
	v_fma_f32 v1, -v1, v5, v4
	s_delay_alu instid0(VALU_DEP_1) | instskip(NEXT) | instid1(VALU_DEP_1)
	v_div_fmas_f32 v1, v1, v2, v5
	v_div_fixup_f32 v2, v1, v0, 1.0
	s_delay_alu instid0(VALU_DEP_1)
	v_mul_f32_e64 v3, v3, -v2
.LBB91_106:
	s_or_b32 exec_lo, exec_lo, s1
	ds_store_b64 v35, v[2:3]
.LBB91_107:
	s_or_b32 exec_lo, exec_lo, s2
	s_wait_dscnt 0x0
	s_barrier_signal -1
	s_barrier_wait -1
	ds_load_b64 v[208:209], v35
	s_mov_b32 s1, exec_lo
	v_cmpx_lt_u32_e32 11, v34
	s_cbranch_execz .LBB91_109
; %bb.108:
	ds_load_2addr_b64 v[4:7], v26 offset0:12 offset1:13
	ds_load_2addr_b64 v[8:11], v26 offset0:14 offset1:15
	ds_load_2addr_b64 v[12:15], v26 offset0:16 offset1:17
	s_wait_dscnt 0x3
	v_pk_mul_f32 v[2:3], v[208:209], v[76:77] op_sel:[1,1] op_sel_hi:[0,1]
	ds_load_2addr_b64 v[18:21], v26 offset0:18 offset1:19
	ds_load_2addr_b64 v[210:213], v26 offset0:20 offset1:21
	v_pk_fma_f32 v[0:1], v[208:209], v[76:77], v[2:3] op_sel_hi:[1,0,1] neg_lo:[0,0,1] neg_hi:[0,0,1]
	v_pk_fma_f32 v[2:3], v[208:209], v[76:77], v[2:3] op_sel_hi:[1,0,1]
	s_delay_alu instid0(VALU_DEP_1) | instskip(SKIP_1) | instid1(VALU_DEP_2)
	v_dual_mov_b32 v76, v0 :: v_dual_mov_b32 v77, v3
	s_wait_dscnt 0x4
	v_pk_mul_f32 v[22:23], v[4:5], v[2:3] op_sel:[0,1]
	v_pk_mul_f32 v[28:29], v[6:7], v[2:3] op_sel:[0,1]
	s_wait_dscnt 0x3
	v_pk_mul_f32 v[30:31], v[8:9], v[2:3] op_sel:[0,1]
	s_wait_dscnt 0x2
	v_pk_mul_f32 v[220:221], v[12:13], v[2:3] op_sel:[0,1]
	v_dual_mov_b32 v214, v11 :: v_dual_mov_b32 v215, v10
	v_pk_fma_f32 v[224:225], v[4:5], v[0:1], v[22:23] op_sel:[0,0,1] op_sel_hi:[1,1,0] neg_lo:[0,0,1] neg_hi:[0,0,1]
	v_pk_fma_f32 v[4:5], v[4:5], v[0:1], v[22:23] op_sel:[0,0,1] op_sel_hi:[1,0,0]
	v_dual_mul_f32 v216, v11, v3 :: v_dual_mul_f32 v218, v11, v0
	v_pk_mul_f32 v[222:223], v[14:15], v[2:3] op_sel:[0,1]
	v_pk_fma_f32 v[22:23], v[6:7], v[0:1], v[28:29] op_sel:[0,0,1] op_sel_hi:[1,1,0] neg_lo:[0,0,1] neg_hi:[0,0,1]
	v_pk_fma_f32 v[6:7], v[6:7], v[0:1], v[28:29] op_sel:[0,0,1] op_sel_hi:[1,0,0]
	v_pk_fma_f32 v[28:29], v[8:9], v[0:1], v[30:31] op_sel:[0,0,1] op_sel_hi:[1,1,0] neg_lo:[0,0,1] neg_hi:[0,0,1]
	v_pk_fma_f32 v[8:9], v[8:9], v[0:1], v[30:31] op_sel:[0,0,1] op_sel_hi:[1,0,0]
	v_mov_b32_e32 v225, v5
	v_pk_fma_f32 v[4:5], v[12:13], v[0:1], v[220:221] op_sel:[0,0,1] op_sel_hi:[1,0,0]
	v_pk_fma_f32 v[30:31], v[214:215], v[76:77], v[218:219] op_sel_hi:[1,1,0]
	v_pk_fma_f32 v[214:215], v[12:13], v[0:1], v[220:221] op_sel:[0,0,1] op_sel_hi:[1,1,0] neg_lo:[0,0,1] neg_hi:[0,0,1]
	v_dual_mov_b32 v23, v7 :: v_dual_mov_b32 v29, v9
	v_pk_fma_f32 v[8:9], v[14:15], v[0:1], v[222:223] op_sel:[0,0,1] op_sel_hi:[1,0,0]
	v_mov_b32_e32 v215, v5
	s_wait_dscnt 0x1
	v_pk_mul_f32 v[12:13], v[18:19], v[2:3] op_sel:[0,1]
	ds_load_2addr_b64 v[4:7], v26 offset0:22 offset1:23
	v_pk_fma_f32 v[14:15], v[14:15], v[0:1], v[222:223] op_sel:[0,0,1] op_sel_hi:[1,1,0] neg_lo:[0,0,1] neg_hi:[0,0,1]
	v_pk_fma_f32 v[10:11], v[10:11], v[76:77], v[216:217] op_sel_hi:[1,1,0] neg_lo:[0,0,1] neg_hi:[0,0,1]
	v_pk_add_f32 v[38:39], v[38:39], v[22:23] neg_lo:[0,1] neg_hi:[0,1]
	v_mov_b32_e32 v15, v9
	v_pk_mul_f32 v[22:23], v[20:21], v[2:3] op_sel:[0,1]
	v_mov_b32_e32 v11, v31
	v_pk_fma_f32 v[8:9], v[18:19], v[0:1], v[12:13] op_sel:[0,0,1] op_sel_hi:[1,0,0]
	v_pk_fma_f32 v[12:13], v[18:19], v[0:1], v[12:13] op_sel:[0,0,1] op_sel_hi:[1,1,0] neg_lo:[0,0,1] neg_hi:[0,0,1]
	v_pk_add_f32 v[62:63], v[62:63], v[14:15] neg_lo:[0,1] neg_hi:[0,1]
	v_pk_fma_f32 v[14:15], v[20:21], v[0:1], v[22:23] op_sel:[0,0,1] op_sel_hi:[1,0,0]
	v_pk_add_f32 v[36:37], v[36:37], v[10:11] neg_lo:[0,1] neg_hi:[0,1]
	s_wait_dscnt 0x1
	v_dual_mov_b32 v13, v9 :: v_dual_mul_f32 v14, v211, v0
	ds_load_2addr_b64 v[8:11], v26 offset0:24 offset1:25
	v_pk_fma_f32 v[18:19], v[20:21], v[0:1], v[22:23] op_sel:[0,0,1] op_sel_hi:[1,1,0] neg_lo:[0,0,1] neg_hi:[0,0,1]
	v_mul_f32_e32 v20, v211, v3
	v_mov_b32_e32 v19, v15
	v_pk_fma_f32 v[14:15], v[210:211], v[76:77], v[14:15] op_sel:[1,0,0] op_sel_hi:[0,1,0]
	v_pk_add_f32 v[64:65], v[64:65], v[12:13] neg_lo:[0,1] neg_hi:[0,1]
	v_pk_mul_f32 v[12:13], v[212:213], v[2:3] op_sel:[0,1]
	v_pk_fma_f32 v[20:21], v[210:211], v[76:77], v[20:21] op_sel_hi:[1,1,0] neg_lo:[0,0,1] neg_hi:[0,0,1]
	v_pk_add_f32 v[40:41], v[40:41], v[28:29] neg_lo:[0,1] neg_hi:[0,1]
	v_mov_b32_e32 v21, v15
	v_pk_add_f32 v[60:61], v[60:61], v[18:19] neg_lo:[0,1] neg_hi:[0,1]
	s_wait_dscnt 0x1
	v_pk_mul_f32 v[18:19], v[4:5], v[2:3] op_sel:[0,1]
	v_pk_fma_f32 v[22:23], v[212:213], v[0:1], v[12:13] op_sel:[0,0,1] op_sel_hi:[1,0,0]
	v_pk_fma_f32 v[28:29], v[212:213], v[0:1], v[12:13] op_sel:[0,0,1] op_sel_hi:[1,1,0] neg_lo:[0,0,1] neg_hi:[0,0,1]
	ds_load_2addr_b64 v[12:15], v26 offset0:26 offset1:27
	v_pk_add_f32 v[90:91], v[90:91], v[20:21] neg_lo:[0,1] neg_hi:[0,1]
	v_pk_fma_f32 v[30:31], v[4:5], v[0:1], v[18:19] op_sel:[0,0,1] op_sel_hi:[1,0,0]
	v_pk_fma_f32 v[4:5], v[4:5], v[0:1], v[18:19] op_sel:[0,0,1] op_sel_hi:[1,1,0] neg_lo:[0,0,1] neg_hi:[0,0,1]
	v_mov_b32_e32 v29, v23
	v_pk_mul_f32 v[18:19], v[6:7], v[2:3] op_sel:[0,1]
	s_wait_dscnt 0x1
	v_pk_mul_f32 v[22:23], v[8:9], v[2:3] op_sel:[0,1]
	v_mov_b32_e32 v5, v31
	v_pk_add_f32 v[104:105], v[104:105], v[224:225] neg_lo:[0,1] neg_hi:[0,1]
	v_pk_add_f32 v[86:87], v[86:87], v[28:29] neg_lo:[0,1] neg_hi:[0,1]
	v_pk_fma_f32 v[20:21], v[6:7], v[0:1], v[18:19] op_sel:[0,0,1] op_sel_hi:[1,0,0]
	v_pk_fma_f32 v[28:29], v[8:9], v[0:1], v[22:23] op_sel:[0,0,1] op_sel_hi:[1,0,0]
	v_pk_add_f32 v[88:89], v[88:89], v[4:5] neg_lo:[0,1] neg_hi:[0,1]
	v_pk_fma_f32 v[18:19], v[6:7], v[0:1], v[18:19] op_sel:[0,0,1] op_sel_hi:[1,1,0] neg_lo:[0,0,1] neg_hi:[0,0,1]
	ds_load_2addr_b64 v[4:7], v26 offset0:28 offset1:29
	v_pk_fma_f32 v[8:9], v[8:9], v[0:1], v[22:23] op_sel:[0,0,1] op_sel_hi:[1,1,0] neg_lo:[0,0,1] neg_hi:[0,0,1]
	v_dual_mov_b32 v9, v29 :: v_dual_mov_b32 v20, v11
	v_dual_mov_b32 v19, v21 :: v_dual_mov_b32 v21, v10
	v_mul_f32_e32 v22, v11, v0
	s_delay_alu instid0(VALU_DEP_3)
	v_pk_add_f32 v[112:113], v[112:113], v[8:9] neg_lo:[0,1] neg_hi:[0,1]
	s_wait_dscnt 0x1
	v_pk_mul_f32 v[8:9], v[12:13], v[2:3] op_sel:[0,1]
	v_mul_f32_e32 v28, v11, v3
	v_pk_add_f32 v[84:85], v[84:85], v[18:19] neg_lo:[0,1] neg_hi:[0,1]
	v_pk_fma_f32 v[22:23], v[20:21], v[76:77], v[22:23] op_sel_hi:[1,1,0]
	ds_load_2addr_b64 v[18:21], v26 offset0:30 offset1:31
	v_pk_mul_f32 v[30:31], v[14:15], v[2:3] op_sel:[0,1]
	v_pk_fma_f32 v[210:211], v[12:13], v[0:1], v[8:9] op_sel:[0,0,1] op_sel_hi:[1,0,0]
	v_pk_fma_f32 v[28:29], v[10:11], v[76:77], v[28:29] op_sel_hi:[1,1,0] neg_lo:[0,0,1] neg_hi:[0,0,1]
	v_mov_b32_e32 v29, v23
	v_pk_fma_f32 v[12:13], v[12:13], v[0:1], v[8:9] op_sel:[0,0,1] op_sel_hi:[1,1,0] neg_lo:[0,0,1] neg_hi:[0,0,1]
	v_pk_fma_f32 v[22:23], v[14:15], v[0:1], v[30:31] op_sel:[0,0,1] op_sel_hi:[1,0,0]
	v_mov_b32_e32 v13, v211
	s_wait_dscnt 0x1
	v_pk_mul_f32 v[210:211], v[4:5], v[2:3] op_sel:[0,1]
	v_pk_fma_f32 v[14:15], v[14:15], v[0:1], v[30:31] op_sel:[0,0,1] op_sel_hi:[1,1,0] neg_lo:[0,0,1] neg_hi:[0,0,1]
	ds_load_2addr_b64 v[8:11], v26 offset0:32 offset1:33
	v_mov_b32_e32 v15, v23
	v_pk_mul_f32 v[22:23], v[6:7], v[2:3] op_sel:[0,1]
	v_pk_add_f32 v[108:109], v[108:109], v[28:29] neg_lo:[0,1] neg_hi:[0,1]
	v_pk_fma_f32 v[28:29], v[4:5], v[0:1], v[210:211] op_sel:[0,0,1] op_sel_hi:[1,0,0]
	v_pk_fma_f32 v[4:5], v[4:5], v[0:1], v[210:211] op_sel:[0,0,1] op_sel_hi:[1,1,0] neg_lo:[0,0,1] neg_hi:[0,0,1]
	v_pk_add_f32 v[110:111], v[110:111], v[12:13] neg_lo:[0,1] neg_hi:[0,1]
	v_pk_fma_f32 v[30:31], v[6:7], v[0:1], v[22:23] op_sel:[0,0,1] op_sel_hi:[1,0,0]
	v_pk_fma_f32 v[6:7], v[6:7], v[0:1], v[22:23] op_sel:[0,0,1] op_sel_hi:[1,1,0] neg_lo:[0,0,1] neg_hi:[0,0,1]
	s_wait_dscnt 0x1
	v_dual_mov_b32 v5, v29 :: v_dual_mul_f32 v28, v19, v0
	v_pk_add_f32 v[66:67], v[66:67], v[214:215] neg_lo:[0,1] neg_hi:[0,1]
	v_mov_b32_e32 v7, v31
	v_pk_add_f32 v[106:107], v[106:107], v[14:15] neg_lo:[0,1] neg_hi:[0,1]
	ds_load_2addr_b64 v[12:15], v26 offset0:34 offset1:35
	v_pk_add_f32 v[128:129], v[128:129], v[4:5] neg_lo:[0,1] neg_hi:[0,1]
	v_mul_f32_e32 v4, v19, v3
	v_pk_fma_f32 v[22:23], v[18:19], v[76:77], v[28:29] op_sel:[1,0,0] op_sel_hi:[0,1,0]
	v_pk_mul_f32 v[28:29], v[20:21], v[2:3] op_sel:[0,1]
	v_pk_add_f32 v[124:125], v[124:125], v[6:7] neg_lo:[0,1] neg_hi:[0,1]
	s_wait_dscnt 0x1
	v_pk_mul_f32 v[30:31], v[8:9], v[2:3] op_sel:[0,1]
	v_pk_fma_f32 v[18:19], v[18:19], v[76:77], v[4:5] op_sel_hi:[1,1,0] neg_lo:[0,0,1] neg_hi:[0,0,1]
	v_mov_b32_e32 v19, v23
	v_pk_fma_f32 v[22:23], v[20:21], v[0:1], v[28:29] op_sel:[0,0,1] op_sel_hi:[1,0,0]
	v_pk_mul_f32 v[210:211], v[10:11], v[2:3] op_sel:[0,1]
	ds_load_2addr_b64 v[4:7], v26 offset0:36 offset1:37
	v_pk_fma_f32 v[20:21], v[20:21], v[0:1], v[28:29] op_sel:[0,0,1] op_sel_hi:[1,1,0] neg_lo:[0,0,1] neg_hi:[0,0,1]
	v_pk_fma_f32 v[212:213], v[8:9], v[0:1], v[30:31] op_sel:[0,0,1] op_sel_hi:[1,0,0]
	v_mov_b32_e32 v21, v23
	v_pk_fma_f32 v[22:23], v[10:11], v[0:1], v[210:211] op_sel:[0,0,1] op_sel_hi:[1,0,0]
	v_pk_fma_f32 v[8:9], v[8:9], v[0:1], v[30:31] op_sel:[0,0,1] op_sel_hi:[1,1,0] neg_lo:[0,0,1] neg_hi:[0,0,1]
	v_pk_fma_f32 v[10:11], v[10:11], v[0:1], v[210:211] op_sel:[0,0,1] op_sel_hi:[1,1,0] neg_lo:[0,0,1] neg_hi:[0,0,1]
	v_mov_b32_e32 v9, v213
	v_pk_add_f32 v[126:127], v[126:127], v[18:19] neg_lo:[0,1] neg_hi:[0,1]
	s_wait_dscnt 0x1
	v_pk_mul_f32 v[28:29], v[12:13], v[2:3] op_sel:[0,1]
	v_mov_b32_e32 v11, v23
	v_pk_add_f32 v[122:123], v[122:123], v[20:21] neg_lo:[0,1] neg_hi:[0,1]
	v_pk_add_f32 v[144:145], v[144:145], v[8:9] neg_lo:[0,1] neg_hi:[0,1]
	v_mov_b32_e32 v22, v15
	v_pk_fma_f32 v[18:19], v[12:13], v[0:1], v[28:29] op_sel:[0,0,1] op_sel_hi:[1,0,0]
	v_pk_add_f32 v[140:141], v[140:141], v[10:11] neg_lo:[0,1] neg_hi:[0,1]
	ds_load_2addr_b64 v[8:11], v26 offset0:38 offset1:39
	v_pk_fma_f32 v[12:13], v[12:13], v[0:1], v[28:29] op_sel:[0,0,1] op_sel_hi:[1,1,0] neg_lo:[0,0,1] neg_hi:[0,0,1]
	v_dual_mov_b32 v23, v14 :: v_dual_mul_f32 v28, v15, v0
	v_mov_b32_e32 v13, v19
	s_wait_dscnt 0x1
	v_pk_mul_f32 v[30:31], v[4:5], v[2:3] op_sel:[0,1]
	ds_load_2addr_b64 v[18:21], v26 offset0:40 offset1:41
	v_pk_mul_f32 v[212:213], v[6:7], v[2:3] op_sel:[0,1]
	v_pk_fma_f32 v[22:23], v[22:23], v[76:77], v[28:29] op_sel_hi:[1,1,0]
	v_pk_add_f32 v[142:143], v[142:143], v[12:13] neg_lo:[0,1] neg_hi:[0,1]
	v_pk_fma_f32 v[12:13], v[4:5], v[0:1], v[30:31] op_sel:[0,0,1] op_sel_hi:[1,0,0]
	v_mul_f32_e32 v210, v15, v3
	v_pk_fma_f32 v[28:29], v[6:7], v[0:1], v[212:213] op_sel:[0,0,1] op_sel_hi:[1,0,0]
	s_delay_alu instid0(VALU_DEP_2)
	v_pk_fma_f32 v[14:15], v[14:15], v[76:77], v[210:211] op_sel_hi:[1,1,0] neg_lo:[0,0,1] neg_hi:[0,0,1]
	v_mov_b32_e32 v15, v23
	v_pk_fma_f32 v[22:23], v[4:5], v[0:1], v[30:31] op_sel:[0,0,1] op_sel_hi:[1,1,0] neg_lo:[0,0,1] neg_hi:[0,0,1]
	v_mov_b32_e32 v23, v13
	v_pk_fma_f32 v[12:13], v[6:7], v[0:1], v[212:213] op_sel:[0,0,1] op_sel_hi:[1,1,0] neg_lo:[0,0,1] neg_hi:[0,0,1]
	v_mov_b32_e32 v13, v29
	ds_load_2addr_b64 v[4:7], v26 offset0:42 offset1:43
	s_wait_dscnt 0x2
	v_pk_mul_f32 v[28:29], v[8:9], v[2:3] op_sel:[0,1]
	v_pk_add_f32 v[138:139], v[138:139], v[14:15] neg_lo:[0,1] neg_hi:[0,1]
	v_pk_mul_f32 v[30:31], v[10:11], v[2:3] op_sel:[0,1]
	v_pk_add_f32 v[158:159], v[158:159], v[12:13] neg_lo:[0,1] neg_hi:[0,1]
	ds_load_2addr_b64 v[12:15], v26 offset0:44 offset1:45
	v_pk_add_f32 v[162:163], v[162:163], v[22:23] neg_lo:[0,1] neg_hi:[0,1]
	v_pk_fma_f32 v[22:23], v[8:9], v[0:1], v[28:29] op_sel:[0,0,1] op_sel_hi:[1,0,0]
	s_wait_dscnt 0x2
	v_mul_f32_e32 v22, v19, v0
	v_pk_fma_f32 v[8:9], v[8:9], v[0:1], v[28:29] op_sel:[0,0,1] op_sel_hi:[1,1,0] neg_lo:[0,0,1] neg_hi:[0,0,1]
	v_pk_fma_f32 v[28:29], v[10:11], v[0:1], v[30:31] op_sel:[0,0,1] op_sel_hi:[1,0,0]
	v_mul_f32_e32 v28, v19, v3
	v_mov_b32_e32 v9, v23
	v_pk_fma_f32 v[22:23], v[18:19], v[76:77], v[22:23] op_sel:[1,0,0] op_sel_hi:[0,1,0]
	v_pk_fma_f32 v[10:11], v[10:11], v[0:1], v[30:31] op_sel:[0,0,1] op_sel_hi:[1,1,0] neg_lo:[0,0,1] neg_hi:[0,0,1]
	v_pk_mul_f32 v[30:31], v[20:21], v[2:3] op_sel:[0,1]
	v_mov_b32_e32 v11, v29
	v_pk_fma_f32 v[18:19], v[18:19], v[76:77], v[28:29] op_sel_hi:[1,1,0] neg_lo:[0,0,1] neg_hi:[0,0,1]
	v_mov_b32_e32 v19, v23
	v_pk_add_f32 v[160:161], v[160:161], v[8:9] neg_lo:[0,1] neg_hi:[0,1]
	v_pk_fma_f32 v[8:9], v[20:21], v[0:1], v[30:31] op_sel:[0,0,1] op_sel_hi:[1,0,0]
	v_pk_add_f32 v[156:157], v[156:157], v[10:11] neg_lo:[0,1] neg_hi:[0,1]
	s_wait_dscnt 0x1
	v_pk_mul_f32 v[10:11], v[4:5], v[2:3] op_sel:[0,1]
	v_pk_add_f32 v[178:179], v[178:179], v[18:19] neg_lo:[0,1] neg_hi:[0,1]
	v_pk_fma_f32 v[18:19], v[20:21], v[0:1], v[30:31] op_sel:[0,0,1] op_sel_hi:[1,1,0] neg_lo:[0,0,1] neg_hi:[0,0,1]
	v_mov_b32_e32 v19, v9
	v_pk_mul_f32 v[8:9], v[6:7], v[2:3] op_sel:[0,1]
	v_pk_fma_f32 v[20:21], v[4:5], v[0:1], v[10:11] op_sel:[0,0,1] op_sel_hi:[1,0,0]
	s_wait_dscnt 0x0
	v_pk_mul_f32 v[22:23], v[12:13], v[2:3] op_sel:[0,1]
	v_pk_mul_f32 v[2:3], v[14:15], v[2:3] op_sel:[0,1]
	v_pk_fma_f32 v[4:5], v[4:5], v[0:1], v[10:11] op_sel:[0,0,1] op_sel_hi:[1,1,0] neg_lo:[0,0,1] neg_hi:[0,0,1]
	v_pk_fma_f32 v[10:11], v[6:7], v[0:1], v[8:9] op_sel:[0,0,1] op_sel_hi:[1,0,0]
	v_mov_b32_e32 v5, v21
	v_pk_fma_f32 v[20:21], v[12:13], v[0:1], v[22:23] op_sel:[0,0,1] op_sel_hi:[1,0,0]
	v_pk_fma_f32 v[6:7], v[6:7], v[0:1], v[8:9] op_sel:[0,0,1] op_sel_hi:[1,1,0] neg_lo:[0,0,1] neg_hi:[0,0,1]
	v_pk_fma_f32 v[8:9], v[14:15], v[0:1], v[2:3] op_sel:[0,0,1] op_sel_hi:[1,0,0]
	v_mov_b32_e32 v7, v11
	v_pk_fma_f32 v[10:11], v[12:13], v[0:1], v[22:23] op_sel:[0,0,1] op_sel_hi:[1,1,0] neg_lo:[0,0,1] neg_hi:[0,0,1]
	v_pk_fma_f32 v[0:1], v[14:15], v[0:1], v[2:3] op_sel:[0,0,1] op_sel_hi:[1,1,0] neg_lo:[0,0,1] neg_hi:[0,0,1]
	s_delay_alu instid0(VALU_DEP_4) | instskip(SKIP_3) | instid1(VALU_DEP_4)
	v_dual_mov_b32 v11, v21 :: v_dual_mov_b32 v1, v9
	v_pk_add_f32 v[174:175], v[174:175], v[18:19] neg_lo:[0,1] neg_hi:[0,1]
	v_pk_add_f32 v[176:177], v[176:177], v[4:5] neg_lo:[0,1] neg_hi:[0,1]
	;; [unrolled: 1-line block ×5, first 2 shown]
.LBB91_109:
	s_or_b32 exec_lo, exec_lo, s1
	s_delay_alu instid0(SALU_CYCLE_1)
	s_mov_b32 s2, exec_lo
	s_wait_dscnt 0x0
	s_barrier_signal -1
	s_barrier_wait -1
	v_cmpx_eq_u32_e32 12, v34
	s_cbranch_execz .LBB91_116
; %bb.110:
	ds_store_b64 v35, v[104:105]
	ds_store_2addr_b64 v26, v[38:39], v[40:41] offset0:13 offset1:14
	ds_store_2addr_b64 v26, v[36:37], v[66:67] offset0:15 offset1:16
	;; [unrolled: 1-line block ×16, first 2 shown]
	ds_store_b64 v26, v[184:185] offset:360
	ds_load_b64 v[0:1], v35
	s_wait_dscnt 0x0
	v_cmp_neq_f32_e32 vcc_lo, 0, v0
	v_cmp_neq_f32_e64 s1, 0, v1
	s_or_b32 s1, vcc_lo, s1
	s_delay_alu instid0(SALU_CYCLE_1)
	s_and_b32 exec_lo, exec_lo, s1
	s_cbranch_execz .LBB91_116
; %bb.111:
	v_cmp_ngt_f32_e64 s1, |v0|, |v1|
                                        ; implicit-def: $vgpr2_vgpr3
	s_and_saveexec_b32 s4, s1
	s_delay_alu instid0(SALU_CYCLE_1)
	s_xor_b32 s1, exec_lo, s4
	s_cbranch_execz .LBB91_113
; %bb.112:
	v_div_scale_f32 v2, null, v1, v1, v0
	v_div_scale_f32 v5, vcc_lo, v0, v1, v0
	s_delay_alu instid0(VALU_DEP_2) | instskip(SKIP_1) | instid1(TRANS32_DEP_1)
	v_rcp_f32_e32 v3, v2
	v_nop
	v_fma_f32 v4, -v2, v3, 1.0
	s_delay_alu instid0(VALU_DEP_1) | instskip(NEXT) | instid1(VALU_DEP_1)
	v_fmac_f32_e32 v3, v4, v3
	v_mul_f32_e32 v4, v5, v3
	s_delay_alu instid0(VALU_DEP_1) | instskip(NEXT) | instid1(VALU_DEP_1)
	v_fma_f32 v6, -v2, v4, v5
	v_fmac_f32_e32 v4, v6, v3
	s_delay_alu instid0(VALU_DEP_1) | instskip(NEXT) | instid1(VALU_DEP_1)
	v_fma_f32 v2, -v2, v4, v5
	v_div_fmas_f32 v2, v2, v3, v4
	s_delay_alu instid0(VALU_DEP_1) | instskip(NEXT) | instid1(VALU_DEP_1)
	v_div_fixup_f32 v2, v2, v1, v0
	v_fmac_f32_e32 v1, v0, v2
	s_delay_alu instid0(VALU_DEP_1) | instskip(SKIP_1) | instid1(VALU_DEP_2)
	v_div_scale_f32 v0, null, v1, v1, 1.0
	v_div_scale_f32 v5, vcc_lo, 1.0, v1, 1.0
	v_rcp_f32_e32 v3, v0
	v_nop
	s_delay_alu instid0(TRANS32_DEP_1) | instskip(NEXT) | instid1(VALU_DEP_1)
	v_fma_f32 v4, -v0, v3, 1.0
	v_fmac_f32_e32 v3, v4, v3
	s_delay_alu instid0(VALU_DEP_1) | instskip(NEXT) | instid1(VALU_DEP_1)
	v_mul_f32_e32 v4, v5, v3
	v_fma_f32 v6, -v0, v4, v5
	s_delay_alu instid0(VALU_DEP_1) | instskip(NEXT) | instid1(VALU_DEP_1)
	v_fmac_f32_e32 v4, v6, v3
	v_fma_f32 v0, -v0, v4, v5
	s_delay_alu instid0(VALU_DEP_1) | instskip(NEXT) | instid1(VALU_DEP_1)
	v_div_fmas_f32 v0, v0, v3, v4
	v_div_fixup_f32 v0, v0, v1, 1.0
	s_delay_alu instid0(VALU_DEP_1)
	v_mul_f32_e32 v2, v2, v0
	v_xor_b32_e32 v3, 0x80000000, v0
                                        ; implicit-def: $vgpr0_vgpr1
.LBB91_113:
	s_and_not1_saveexec_b32 s1, s1
	s_cbranch_execz .LBB91_115
; %bb.114:
	v_div_scale_f32 v2, null, v0, v0, v1
	v_div_scale_f32 v5, vcc_lo, v1, v0, v1
	s_delay_alu instid0(VALU_DEP_2) | instskip(SKIP_1) | instid1(TRANS32_DEP_1)
	v_rcp_f32_e32 v3, v2
	v_nop
	v_fma_f32 v4, -v2, v3, 1.0
	s_delay_alu instid0(VALU_DEP_1) | instskip(NEXT) | instid1(VALU_DEP_1)
	v_fmac_f32_e32 v3, v4, v3
	v_mul_f32_e32 v4, v5, v3
	s_delay_alu instid0(VALU_DEP_1) | instskip(NEXT) | instid1(VALU_DEP_1)
	v_fma_f32 v6, -v2, v4, v5
	v_fmac_f32_e32 v4, v6, v3
	s_delay_alu instid0(VALU_DEP_1) | instskip(NEXT) | instid1(VALU_DEP_1)
	v_fma_f32 v2, -v2, v4, v5
	v_div_fmas_f32 v2, v2, v3, v4
	s_delay_alu instid0(VALU_DEP_1) | instskip(NEXT) | instid1(VALU_DEP_1)
	v_div_fixup_f32 v3, v2, v0, v1
	v_fmac_f32_e32 v0, v1, v3
	s_delay_alu instid0(VALU_DEP_1) | instskip(NEXT) | instid1(VALU_DEP_1)
	v_div_scale_f32 v1, null, v0, v0, 1.0
	v_rcp_f32_e32 v2, v1
	v_nop
	s_delay_alu instid0(TRANS32_DEP_1) | instskip(NEXT) | instid1(VALU_DEP_1)
	v_fma_f32 v4, -v1, v2, 1.0
	v_fmac_f32_e32 v2, v4, v2
	v_div_scale_f32 v4, vcc_lo, 1.0, v0, 1.0
	s_delay_alu instid0(VALU_DEP_1) | instskip(NEXT) | instid1(VALU_DEP_1)
	v_mul_f32_e32 v5, v4, v2
	v_fma_f32 v6, -v1, v5, v4
	s_delay_alu instid0(VALU_DEP_1) | instskip(NEXT) | instid1(VALU_DEP_1)
	v_fmac_f32_e32 v5, v6, v2
	v_fma_f32 v1, -v1, v5, v4
	s_delay_alu instid0(VALU_DEP_1) | instskip(NEXT) | instid1(VALU_DEP_1)
	v_div_fmas_f32 v1, v1, v2, v5
	v_div_fixup_f32 v2, v1, v0, 1.0
	s_delay_alu instid0(VALU_DEP_1)
	v_mul_f32_e64 v3, v3, -v2
.LBB91_115:
	s_or_b32 exec_lo, exec_lo, s1
	ds_store_b64 v35, v[2:3]
.LBB91_116:
	s_or_b32 exec_lo, exec_lo, s2
	s_wait_dscnt 0x0
	s_barrier_signal -1
	s_barrier_wait -1
	ds_load_b64 v[210:211], v35
	s_mov_b32 s1, exec_lo
	v_cmpx_lt_u32_e32 12, v34
	s_cbranch_execz .LBB91_118
; %bb.117:
	ds_load_2addr_b64 v[4:7], v26 offset0:13 offset1:14
	ds_load_2addr_b64 v[8:11], v26 offset0:15 offset1:16
	;; [unrolled: 1-line block ×3, first 2 shown]
	s_wait_dscnt 0x3
	v_pk_mul_f32 v[2:3], v[210:211], v[104:105] op_sel:[1,1] op_sel_hi:[0,1]
	ds_load_2addr_b64 v[18:21], v26 offset0:19 offset1:20
	ds_load_2addr_b64 v[212:215], v26 offset0:21 offset1:22
	v_pk_fma_f32 v[0:1], v[210:211], v[104:105], v[2:3] op_sel_hi:[1,0,1] neg_lo:[0,0,1] neg_hi:[0,0,1]
	v_pk_fma_f32 v[2:3], v[210:211], v[104:105], v[2:3] op_sel_hi:[1,0,1]
	s_delay_alu instid0(VALU_DEP_1) | instskip(SKIP_1) | instid1(VALU_DEP_2)
	v_dual_mov_b32 v104, v0 :: v_dual_mov_b32 v105, v3
	s_wait_dscnt 0x4
	v_pk_mul_f32 v[22:23], v[4:5], v[2:3] op_sel:[0,1]
	v_pk_mul_f32 v[28:29], v[6:7], v[2:3] op_sel:[0,1]
	s_wait_dscnt 0x3
	v_pk_mul_f32 v[30:31], v[8:9], v[2:3] op_sel:[0,1]
	v_dual_mov_b32 v216, v11 :: v_dual_mov_b32 v217, v10
	v_dual_mul_f32 v218, v11, v3 :: v_dual_mul_f32 v220, v11, v0
	s_wait_dscnt 0x2
	v_pk_mul_f32 v[222:223], v[12:13], v[2:3] op_sel:[0,1]
	v_pk_mul_f32 v[224:225], v[14:15], v[2:3] op_sel:[0,1]
	v_pk_fma_f32 v[226:227], v[4:5], v[0:1], v[22:23] op_sel:[0,0,1] op_sel_hi:[1,1,0] neg_lo:[0,0,1] neg_hi:[0,0,1]
	v_pk_fma_f32 v[4:5], v[4:5], v[0:1], v[22:23] op_sel:[0,0,1] op_sel_hi:[1,0,0]
	v_pk_fma_f32 v[22:23], v[6:7], v[0:1], v[28:29] op_sel:[0,0,1] op_sel_hi:[1,1,0] neg_lo:[0,0,1] neg_hi:[0,0,1]
	v_pk_fma_f32 v[6:7], v[6:7], v[0:1], v[28:29] op_sel:[0,0,1] op_sel_hi:[1,0,0]
	;; [unrolled: 2-line block ×3, first 2 shown]
	v_pk_fma_f32 v[30:31], v[216:217], v[104:105], v[220:221] op_sel_hi:[1,1,0]
	v_pk_fma_f32 v[216:217], v[12:13], v[0:1], v[222:223] op_sel:[0,0,1] op_sel_hi:[1,1,0] neg_lo:[0,0,1] neg_hi:[0,0,1]
	v_pk_fma_f32 v[12:13], v[12:13], v[0:1], v[222:223] op_sel:[0,0,1] op_sel_hi:[1,0,0]
	v_dual_mov_b32 v227, v5 :: v_dual_mov_b32 v23, v7
	v_pk_fma_f32 v[4:5], v[14:15], v[0:1], v[224:225] op_sel:[0,0,1] op_sel_hi:[1,0,0]
	v_pk_fma_f32 v[10:11], v[10:11], v[104:105], v[218:219] op_sel_hi:[1,1,0] neg_lo:[0,0,1] neg_hi:[0,0,1]
	v_pk_fma_f32 v[6:7], v[14:15], v[0:1], v[224:225] op_sel:[0,0,1] op_sel_hi:[1,1,0] neg_lo:[0,0,1] neg_hi:[0,0,1]
	v_dual_mov_b32 v29, v9 :: v_dual_mov_b32 v11, v31
	s_delay_alu instid0(VALU_DEP_4) | instskip(SKIP_2) | instid1(VALU_DEP_3)
	v_dual_mov_b32 v217, v13 :: v_dual_mov_b32 v7, v5
	s_wait_dscnt 0x1
	v_pk_mul_f32 v[8:9], v[18:19], v[2:3] op_sel:[0,1]
	v_pk_add_f32 v[36:37], v[36:37], v[28:29] neg_lo:[0,1] neg_hi:[0,1]
	v_pk_add_f32 v[66:67], v[66:67], v[10:11] neg_lo:[0,1] neg_hi:[0,1]
	;; [unrolled: 1-line block ×4, first 2 shown]
	v_pk_fma_f32 v[12:13], v[18:19], v[0:1], v[8:9] op_sel:[0,0,1] op_sel_hi:[1,0,0]
	ds_load_2addr_b64 v[4:7], v26 offset0:23 offset1:24
	v_pk_fma_f32 v[14:15], v[18:19], v[0:1], v[8:9] op_sel:[0,0,1] op_sel_hi:[1,1,0] neg_lo:[0,0,1] neg_hi:[0,0,1]
	ds_load_2addr_b64 v[8:11], v26 offset0:25 offset1:26
	v_pk_mul_f32 v[18:19], v[20:21], v[2:3] op_sel:[0,1]
	s_wait_dscnt 0x2
	v_mul_f32_e32 v12, v213, v0
	v_pk_mul_f32 v[22:23], v[214:215], v[2:3] op_sel:[0,1]
	v_pk_add_f32 v[62:63], v[62:63], v[216:217] neg_lo:[0,1] neg_hi:[0,1]
	v_pk_add_f32 v[38:39], v[38:39], v[226:227] neg_lo:[0,1] neg_hi:[0,1]
	v_pk_fma_f32 v[28:29], v[20:21], v[0:1], v[18:19] op_sel:[0,0,1] op_sel_hi:[1,0,0]
	v_mul_f32_e32 v28, v213, v3
	v_mov_b32_e32 v15, v13
	v_pk_fma_f32 v[12:13], v[212:213], v[104:105], v[12:13] op_sel:[1,0,0] op_sel_hi:[0,1,0]
	v_pk_fma_f32 v[18:19], v[20:21], v[0:1], v[18:19] op_sel:[0,0,1] op_sel_hi:[1,1,0] neg_lo:[0,0,1] neg_hi:[0,0,1]
	v_mov_b32_e32 v19, v29
	v_pk_fma_f32 v[28:29], v[212:213], v[104:105], v[28:29] op_sel_hi:[1,1,0] neg_lo:[0,0,1] neg_hi:[0,0,1]
	v_pk_fma_f32 v[20:21], v[214:215], v[0:1], v[22:23] op_sel:[0,0,1] op_sel_hi:[1,0,0]
	v_mov_b32_e32 v29, v13
	v_pk_fma_f32 v[12:13], v[214:215], v[0:1], v[22:23] op_sel:[0,0,1] op_sel_hi:[1,1,0] neg_lo:[0,0,1] neg_hi:[0,0,1]
	v_pk_add_f32 v[90:91], v[90:91], v[18:19] neg_lo:[0,1] neg_hi:[0,1]
	v_pk_add_f32 v[60:61], v[60:61], v[14:15] neg_lo:[0,1] neg_hi:[0,1]
	v_mov_b32_e32 v13, v21
	v_pk_add_f32 v[86:87], v[86:87], v[28:29] neg_lo:[0,1] neg_hi:[0,1]
	s_wait_dscnt 0x1
	v_pk_mul_f32 v[18:19], v[4:5], v[2:3] op_sel:[0,1]
	s_wait_dscnt 0x0
	v_pk_mul_f32 v[28:29], v[8:9], v[2:3] op_sel:[0,1]
	v_pk_mul_f32 v[22:23], v[6:7], v[2:3] op_sel:[0,1]
	v_pk_add_f32 v[88:89], v[88:89], v[12:13] neg_lo:[0,1] neg_hi:[0,1]
	ds_load_2addr_b64 v[12:15], v26 offset0:27 offset1:28
	v_pk_fma_f32 v[30:31], v[4:5], v[0:1], v[18:19] op_sel:[0,0,1] op_sel_hi:[1,0,0]
	v_pk_fma_f32 v[4:5], v[4:5], v[0:1], v[18:19] op_sel:[0,0,1] op_sel_hi:[1,1,0] neg_lo:[0,0,1] neg_hi:[0,0,1]
	ds_load_2addr_b64 v[18:21], v26 offset0:29 offset1:30
	v_pk_fma_f32 v[214:215], v[8:9], v[0:1], v[28:29] op_sel:[0,0,1] op_sel_hi:[1,0,0]
	v_pk_fma_f32 v[8:9], v[8:9], v[0:1], v[28:29] op_sel:[0,0,1] op_sel_hi:[1,1,0] neg_lo:[0,0,1] neg_hi:[0,0,1]
	v_pk_fma_f32 v[212:213], v[6:7], v[0:1], v[22:23] op_sel:[0,0,1] op_sel_hi:[1,0,0]
	v_pk_fma_f32 v[6:7], v[6:7], v[0:1], v[22:23] op_sel:[0,0,1] op_sel_hi:[1,1,0] neg_lo:[0,0,1] neg_hi:[0,0,1]
	s_delay_alu instid0(VALU_DEP_4) | instskip(SKIP_1) | instid1(VALU_DEP_4)
	v_dual_mov_b32 v22, v11 :: v_dual_mov_b32 v9, v215
	v_dual_mov_b32 v23, v10 :: v_dual_mul_f32 v28, v11, v0
	v_dual_mov_b32 v5, v31 :: v_dual_mov_b32 v7, v213
	s_delay_alu instid0(VALU_DEP_3) | instskip(NEXT) | instid1(VALU_DEP_3)
	v_pk_add_f32 v[108:109], v[108:109], v[8:9] neg_lo:[0,1] neg_hi:[0,1]
	v_pk_fma_f32 v[8:9], v[22:23], v[104:105], v[28:29] op_sel_hi:[1,1,0]
	v_mul_f32_e32 v30, v11, v3
	s_delay_alu instid0(VALU_DEP_4)
	v_pk_add_f32 v[84:85], v[84:85], v[4:5] neg_lo:[0,1] neg_hi:[0,1]
	v_pk_add_f32 v[112:113], v[112:113], v[6:7] neg_lo:[0,1] neg_hi:[0,1]
	ds_load_2addr_b64 v[4:7], v26 offset0:31 offset1:32
	s_wait_dscnt 0x2
	v_pk_mul_f32 v[28:29], v[12:13], v[2:3] op_sel:[0,1]
	v_pk_fma_f32 v[22:23], v[10:11], v[104:105], v[30:31] op_sel_hi:[1,1,0] neg_lo:[0,0,1] neg_hi:[0,0,1]
	v_mov_b32_e32 v23, v9
	ds_load_2addr_b64 v[8:11], v26 offset0:33 offset1:34
	v_pk_mul_f32 v[30:31], v[14:15], v[2:3] op_sel:[0,1]
	s_wait_dscnt 0x2
	v_pk_mul_f32 v[212:213], v[18:19], v[2:3] op_sel:[0,1]
	v_pk_fma_f32 v[214:215], v[12:13], v[0:1], v[28:29] op_sel:[0,0,1] op_sel_hi:[1,0,0]
	v_pk_fma_f32 v[12:13], v[12:13], v[0:1], v[28:29] op_sel:[0,0,1] op_sel_hi:[1,1,0] neg_lo:[0,0,1] neg_hi:[0,0,1]
	v_pk_add_f32 v[110:111], v[110:111], v[22:23] neg_lo:[0,1] neg_hi:[0,1]
	v_pk_fma_f32 v[216:217], v[14:15], v[0:1], v[30:31] op_sel:[0,0,1] op_sel_hi:[1,0,0]
	v_pk_fma_f32 v[28:29], v[18:19], v[0:1], v[212:213] op_sel:[0,0,1] op_sel_hi:[1,0,0]
	v_pk_fma_f32 v[14:15], v[14:15], v[0:1], v[30:31] op_sel:[0,0,1] op_sel_hi:[1,1,0] neg_lo:[0,0,1] neg_hi:[0,0,1]
	v_pk_fma_f32 v[18:19], v[18:19], v[0:1], v[212:213] op_sel:[0,0,1] op_sel_hi:[1,1,0] neg_lo:[0,0,1] neg_hi:[0,0,1]
	s_delay_alu instid0(VALU_DEP_4) | instskip(NEXT) | instid1(VALU_DEP_4)
	v_dual_mov_b32 v13, v215 :: v_dual_mov_b32 v15, v217
	v_mov_b32_e32 v19, v29
	v_pk_mul_f32 v[28:29], v[20:21], v[2:3] op_sel:[0,1]
	s_delay_alu instid0(VALU_DEP_3) | instskip(NEXT) | instid1(VALU_DEP_4)
	v_pk_add_f32 v[106:107], v[106:107], v[12:13] neg_lo:[0,1] neg_hi:[0,1]
	v_pk_add_f32 v[128:129], v[128:129], v[14:15] neg_lo:[0,1] neg_hi:[0,1]
	s_delay_alu instid0(VALU_DEP_4) | instskip(NEXT) | instid1(VALU_DEP_4)
	v_pk_add_f32 v[124:125], v[124:125], v[18:19] neg_lo:[0,1] neg_hi:[0,1]
	v_pk_fma_f32 v[18:19], v[20:21], v[0:1], v[28:29] op_sel:[0,0,1] op_sel_hi:[1,1,0] neg_lo:[0,0,1] neg_hi:[0,0,1]
	v_pk_fma_f32 v[20:21], v[20:21], v[0:1], v[28:29] op_sel:[0,0,1] op_sel_hi:[1,0,0]
	ds_load_2addr_b64 v[12:15], v26 offset0:35 offset1:36
	s_wait_dscnt 0x2
	v_dual_mul_f32 v20, v5, v0 :: v_dual_mul_f32 v22, v5, v3
	s_wait_dscnt 0x1
	v_pk_mul_f32 v[30:31], v[8:9], v[2:3] op_sel:[0,1]
	v_pk_mul_f32 v[28:29], v[6:7], v[2:3] op_sel:[0,1]
	v_mov_b32_e32 v19, v21
	v_pk_fma_f32 v[212:213], v[4:5], v[104:105], v[20:21] op_sel:[1,0,0] op_sel_hi:[0,1,0]
	v_pk_fma_f32 v[22:23], v[4:5], v[104:105], v[22:23] op_sel_hi:[1,1,0] neg_lo:[0,0,1] neg_hi:[0,0,1]
	v_pk_fma_f32 v[4:5], v[8:9], v[0:1], v[30:31] op_sel:[0,0,1] op_sel_hi:[1,0,0]
	v_pk_fma_f32 v[8:9], v[8:9], v[0:1], v[30:31] op_sel:[0,0,1] op_sel_hi:[1,1,0] neg_lo:[0,0,1] neg_hi:[0,0,1]
	v_pk_fma_f32 v[20:21], v[6:7], v[0:1], v[28:29] op_sel:[0,0,1] op_sel_hi:[1,0,0]
	v_pk_fma_f32 v[28:29], v[6:7], v[0:1], v[28:29] op_sel:[0,0,1] op_sel_hi:[1,1,0] neg_lo:[0,0,1] neg_hi:[0,0,1]
	s_delay_alu instid0(VALU_DEP_4)
	v_dual_mov_b32 v23, v213 :: v_dual_mov_b32 v9, v5
	ds_load_2addr_b64 v[4:7], v26 offset0:37 offset1:38
	v_mov_b32_e32 v29, v21
	v_pk_mul_f32 v[20:21], v[10:11], v[2:3] op_sel:[0,1]
	v_pk_add_f32 v[122:123], v[122:123], v[22:23] neg_lo:[0,1] neg_hi:[0,1]
	v_pk_add_f32 v[126:127], v[126:127], v[18:19] neg_lo:[0,1] neg_hi:[0,1]
	s_wait_dscnt 0x1
	v_pk_mul_f32 v[22:23], v[12:13], v[2:3] op_sel:[0,1]
	v_pk_fma_f32 v[18:19], v[10:11], v[0:1], v[20:21] op_sel:[0,0,1] op_sel_hi:[1,1,0] neg_lo:[0,0,1] neg_hi:[0,0,1]
	v_pk_fma_f32 v[20:21], v[10:11], v[0:1], v[20:21] op_sel:[0,0,1] op_sel_hi:[1,0,0]
	v_pk_add_f32 v[144:145], v[144:145], v[28:29] neg_lo:[0,1] neg_hi:[0,1]
	v_mov_b32_e32 v28, v15
	v_pk_fma_f32 v[30:31], v[12:13], v[0:1], v[22:23] op_sel:[0,0,1] op_sel_hi:[1,0,0]
	v_pk_add_f32 v[140:141], v[140:141], v[8:9] neg_lo:[0,1] neg_hi:[0,1]
	v_dual_mov_b32 v29, v14 :: v_dual_mul_f32 v20, v15, v0
	ds_load_2addr_b64 v[8:11], v26 offset0:39 offset1:40
	v_dual_mul_f32 v30, v15, v3 :: v_dual_mov_b32 v19, v21
	v_pk_fma_f32 v[22:23], v[12:13], v[0:1], v[22:23] op_sel:[0,0,1] op_sel_hi:[1,1,0] neg_lo:[0,0,1] neg_hi:[0,0,1]
	v_pk_fma_f32 v[20:21], v[28:29], v[104:105], v[20:21] op_sel_hi:[1,1,0]
	v_mov_b32_e32 v23, v31
	s_delay_alu instid0(VALU_DEP_4)
	v_pk_fma_f32 v[28:29], v[14:15], v[104:105], v[30:31] op_sel_hi:[1,1,0] neg_lo:[0,0,1] neg_hi:[0,0,1]
	s_wait_dscnt 0x1
	v_pk_mul_f32 v[30:31], v[4:5], v[2:3] op_sel:[0,1]
	ds_load_2addr_b64 v[12:15], v26 offset0:41 offset1:42
	v_mov_b32_e32 v29, v21
	v_pk_add_f32 v[142:143], v[142:143], v[18:19] neg_lo:[0,1] neg_hi:[0,1]
	v_pk_mul_f32 v[18:19], v[6:7], v[2:3] op_sel:[0,1]
	v_pk_fma_f32 v[20:21], v[4:5], v[0:1], v[30:31] op_sel:[0,0,1] op_sel_hi:[1,0,0]
	v_pk_add_f32 v[138:139], v[138:139], v[22:23] neg_lo:[0,1] neg_hi:[0,1]
	v_pk_fma_f32 v[22:23], v[4:5], v[0:1], v[30:31] op_sel:[0,0,1] op_sel_hi:[1,1,0] neg_lo:[0,0,1] neg_hi:[0,0,1]
	v_pk_add_f32 v[162:163], v[162:163], v[28:29] neg_lo:[0,1] neg_hi:[0,1]
	v_pk_fma_f32 v[28:29], v[6:7], v[0:1], v[18:19] op_sel:[0,0,1] op_sel_hi:[1,0,0]
	v_mov_b32_e32 v23, v21
	v_pk_fma_f32 v[18:19], v[6:7], v[0:1], v[18:19] op_sel:[0,0,1] op_sel_hi:[1,1,0] neg_lo:[0,0,1] neg_hi:[0,0,1]
	ds_load_2addr_b64 v[4:7], v26 offset0:43 offset1:44
	s_wait_dscnt 0x2
	v_pk_mul_f32 v[20:21], v[8:9], v[2:3] op_sel:[0,1]
	v_mov_b32_e32 v19, v29
	v_pk_add_f32 v[158:159], v[158:159], v[22:23] neg_lo:[0,1] neg_hi:[0,1]
	ds_load_b64 v[22:23], v26 offset:360
	v_pk_mul_f32 v[28:29], v[10:11], v[2:3] op_sel:[0,1]
	v_pk_fma_f32 v[30:31], v[8:9], v[0:1], v[20:21] op_sel:[0,0,1] op_sel_hi:[1,0,0]
	v_pk_add_f32 v[160:161], v[160:161], v[18:19] neg_lo:[0,1] neg_hi:[0,1]
	v_pk_fma_f32 v[8:9], v[8:9], v[0:1], v[20:21] op_sel:[0,0,1] op_sel_hi:[1,1,0] neg_lo:[0,0,1] neg_hi:[0,0,1]
	s_wait_dscnt 0x2
	v_mul_f32_e32 v20, v13, v3
	v_pk_fma_f32 v[18:19], v[10:11], v[0:1], v[28:29] op_sel:[0,0,1] op_sel_hi:[1,0,0]
	v_dual_mul_f32 v18, v13, v0 :: v_dual_mov_b32 v9, v31
	v_pk_fma_f32 v[10:11], v[10:11], v[0:1], v[28:29] op_sel:[0,0,1] op_sel_hi:[1,1,0] neg_lo:[0,0,1] neg_hi:[0,0,1]
	s_delay_alu instid0(VALU_DEP_3) | instskip(NEXT) | instid1(VALU_DEP_3)
	v_mov_b32_e32 v11, v19
	v_pk_fma_f32 v[18:19], v[12:13], v[104:105], v[18:19] op_sel:[1,0,0] op_sel_hi:[0,1,0]
	s_delay_alu instid0(VALU_DEP_4) | instskip(SKIP_1) | instid1(VALU_DEP_4)
	v_pk_add_f32 v[156:157], v[156:157], v[8:9] neg_lo:[0,1] neg_hi:[0,1]
	v_pk_mul_f32 v[8:9], v[14:15], v[2:3] op_sel:[0,1]
	v_pk_add_f32 v[178:179], v[178:179], v[10:11] neg_lo:[0,1] neg_hi:[0,1]
	v_pk_fma_f32 v[10:11], v[12:13], v[104:105], v[20:21] op_sel_hi:[1,1,0] neg_lo:[0,0,1] neg_hi:[0,0,1]
	v_mov_b32_e32 v11, v19
	s_wait_dscnt 0x1
	v_pk_mul_f32 v[12:13], v[4:5], v[2:3] op_sel:[0,1]
	v_pk_fma_f32 v[18:19], v[14:15], v[0:1], v[8:9] op_sel:[0,0,1] op_sel_hi:[1,0,0]
	v_pk_mul_f32 v[20:21], v[6:7], v[2:3] op_sel:[0,1]
	s_wait_dscnt 0x0
	v_pk_mul_f32 v[2:3], v[22:23], v[2:3] op_sel:[0,1]
	v_pk_fma_f32 v[8:9], v[14:15], v[0:1], v[8:9] op_sel:[0,0,1] op_sel_hi:[1,1,0] neg_lo:[0,0,1] neg_hi:[0,0,1]
	v_pk_fma_f32 v[14:15], v[4:5], v[0:1], v[12:13] op_sel:[0,0,1] op_sel_hi:[1,0,0]
	v_mov_b32_e32 v9, v19
	v_pk_fma_f32 v[18:19], v[6:7], v[0:1], v[20:21] op_sel:[0,0,1] op_sel_hi:[1,0,0]
	v_pk_fma_f32 v[4:5], v[4:5], v[0:1], v[12:13] op_sel:[0,0,1] op_sel_hi:[1,1,0] neg_lo:[0,0,1] neg_hi:[0,0,1]
	v_pk_fma_f32 v[12:13], v[22:23], v[0:1], v[2:3] op_sel:[0,0,1] op_sel_hi:[1,0,0]
	v_pk_fma_f32 v[6:7], v[6:7], v[0:1], v[20:21] op_sel:[0,0,1] op_sel_hi:[1,1,0] neg_lo:[0,0,1] neg_hi:[0,0,1]
	v_pk_fma_f32 v[0:1], v[22:23], v[0:1], v[2:3] op_sel:[0,0,1] op_sel_hi:[1,1,0] neg_lo:[0,0,1] neg_hi:[0,0,1]
	v_dual_mov_b32 v5, v15 :: v_dual_mov_b32 v7, v19
	s_delay_alu instid0(VALU_DEP_4) | instskip(SKIP_2) | instid1(VALU_DEP_4)
	v_mov_b32_e32 v1, v13
	v_pk_add_f32 v[174:175], v[174:175], v[10:11] neg_lo:[0,1] neg_hi:[0,1]
	v_pk_add_f32 v[176:177], v[176:177], v[8:9] neg_lo:[0,1] neg_hi:[0,1]
	v_pk_add_f32 v[172:173], v[172:173], v[4:5] neg_lo:[0,1] neg_hi:[0,1]
	v_pk_add_f32 v[180:181], v[180:181], v[6:7] neg_lo:[0,1] neg_hi:[0,1]
	v_pk_add_f32 v[184:185], v[184:185], v[0:1] neg_lo:[0,1] neg_hi:[0,1]
.LBB91_118:
	s_or_b32 exec_lo, exec_lo, s1
	s_delay_alu instid0(SALU_CYCLE_1)
	s_mov_b32 s2, exec_lo
	s_wait_dscnt 0x0
	s_barrier_signal -1
	s_barrier_wait -1
	v_cmpx_eq_u32_e32 13, v34
	s_cbranch_execz .LBB91_125
; %bb.119:
	v_dual_mov_b32 v0, v40 :: v_dual_mov_b32 v1, v41
	v_dual_mov_b32 v2, v36 :: v_dual_mov_b32 v3, v37
	;; [unrolled: 1-line block ×8, first 2 shown]
	ds_store_b64 v35, v[38:39]
	ds_store_2addr_b64 v26, v[0:1], v[2:3] offset0:14 offset1:15
	ds_store_2addr_b64 v26, v[4:5], v[6:7] offset0:16 offset1:17
	;; [unrolled: 1-line block ×4, first 2 shown]
	v_dual_mov_b32 v0, v88 :: v_dual_mov_b32 v1, v89
	v_dual_mov_b32 v2, v84 :: v_dual_mov_b32 v3, v85
	;; [unrolled: 1-line block ×12, first 2 shown]
	ds_store_2addr_b64 v26, v[0:1], v[2:3] offset0:22 offset1:23
	ds_store_2addr_b64 v26, v[4:5], v[6:7] offset0:24 offset1:25
	;; [unrolled: 1-line block ×6, first 2 shown]
	v_dual_mov_b32 v0, v142 :: v_dual_mov_b32 v1, v143
	v_dual_mov_b32 v2, v138 :: v_dual_mov_b32 v3, v139
	;; [unrolled: 1-line block ×11, first 2 shown]
	ds_store_2addr_b64 v26, v[0:1], v[2:3] offset0:34 offset1:35
	ds_store_2addr_b64 v26, v[4:5], v[6:7] offset0:36 offset1:37
	;; [unrolled: 1-line block ×6, first 2 shown]
	ds_load_b64 v[0:1], v35
	s_wait_dscnt 0x0
	v_cmp_neq_f32_e32 vcc_lo, 0, v0
	v_cmp_neq_f32_e64 s1, 0, v1
	s_or_b32 s1, vcc_lo, s1
	s_delay_alu instid0(SALU_CYCLE_1)
	s_and_b32 exec_lo, exec_lo, s1
	s_cbranch_execz .LBB91_125
; %bb.120:
	v_cmp_ngt_f32_e64 s1, |v0|, |v1|
                                        ; implicit-def: $vgpr2_vgpr3
	s_and_saveexec_b32 s4, s1
	s_delay_alu instid0(SALU_CYCLE_1)
	s_xor_b32 s1, exec_lo, s4
	s_cbranch_execz .LBB91_122
; %bb.121:
	v_div_scale_f32 v2, null, v1, v1, v0
	v_div_scale_f32 v5, vcc_lo, v0, v1, v0
	s_delay_alu instid0(VALU_DEP_2) | instskip(SKIP_1) | instid1(TRANS32_DEP_1)
	v_rcp_f32_e32 v3, v2
	v_nop
	v_fma_f32 v4, -v2, v3, 1.0
	s_delay_alu instid0(VALU_DEP_1) | instskip(NEXT) | instid1(VALU_DEP_1)
	v_fmac_f32_e32 v3, v4, v3
	v_mul_f32_e32 v4, v5, v3
	s_delay_alu instid0(VALU_DEP_1) | instskip(NEXT) | instid1(VALU_DEP_1)
	v_fma_f32 v6, -v2, v4, v5
	v_fmac_f32_e32 v4, v6, v3
	s_delay_alu instid0(VALU_DEP_1) | instskip(NEXT) | instid1(VALU_DEP_1)
	v_fma_f32 v2, -v2, v4, v5
	v_div_fmas_f32 v2, v2, v3, v4
	s_delay_alu instid0(VALU_DEP_1) | instskip(NEXT) | instid1(VALU_DEP_1)
	v_div_fixup_f32 v2, v2, v1, v0
	v_fmac_f32_e32 v1, v0, v2
	s_delay_alu instid0(VALU_DEP_1) | instskip(SKIP_1) | instid1(VALU_DEP_2)
	v_div_scale_f32 v0, null, v1, v1, 1.0
	v_div_scale_f32 v5, vcc_lo, 1.0, v1, 1.0
	v_rcp_f32_e32 v3, v0
	v_nop
	s_delay_alu instid0(TRANS32_DEP_1) | instskip(NEXT) | instid1(VALU_DEP_1)
	v_fma_f32 v4, -v0, v3, 1.0
	v_fmac_f32_e32 v3, v4, v3
	s_delay_alu instid0(VALU_DEP_1) | instskip(NEXT) | instid1(VALU_DEP_1)
	v_mul_f32_e32 v4, v5, v3
	v_fma_f32 v6, -v0, v4, v5
	s_delay_alu instid0(VALU_DEP_1) | instskip(NEXT) | instid1(VALU_DEP_1)
	v_fmac_f32_e32 v4, v6, v3
	v_fma_f32 v0, -v0, v4, v5
	s_delay_alu instid0(VALU_DEP_1) | instskip(NEXT) | instid1(VALU_DEP_1)
	v_div_fmas_f32 v0, v0, v3, v4
	v_div_fixup_f32 v0, v0, v1, 1.0
	s_delay_alu instid0(VALU_DEP_1)
	v_mul_f32_e32 v2, v2, v0
	v_xor_b32_e32 v3, 0x80000000, v0
                                        ; implicit-def: $vgpr0_vgpr1
.LBB91_122:
	s_and_not1_saveexec_b32 s1, s1
	s_cbranch_execz .LBB91_124
; %bb.123:
	v_div_scale_f32 v2, null, v0, v0, v1
	v_div_scale_f32 v5, vcc_lo, v1, v0, v1
	s_delay_alu instid0(VALU_DEP_2) | instskip(SKIP_1) | instid1(TRANS32_DEP_1)
	v_rcp_f32_e32 v3, v2
	v_nop
	v_fma_f32 v4, -v2, v3, 1.0
	s_delay_alu instid0(VALU_DEP_1) | instskip(NEXT) | instid1(VALU_DEP_1)
	v_fmac_f32_e32 v3, v4, v3
	v_mul_f32_e32 v4, v5, v3
	s_delay_alu instid0(VALU_DEP_1) | instskip(NEXT) | instid1(VALU_DEP_1)
	v_fma_f32 v6, -v2, v4, v5
	v_fmac_f32_e32 v4, v6, v3
	s_delay_alu instid0(VALU_DEP_1) | instskip(NEXT) | instid1(VALU_DEP_1)
	v_fma_f32 v2, -v2, v4, v5
	v_div_fmas_f32 v2, v2, v3, v4
	s_delay_alu instid0(VALU_DEP_1) | instskip(NEXT) | instid1(VALU_DEP_1)
	v_div_fixup_f32 v3, v2, v0, v1
	v_fmac_f32_e32 v0, v1, v3
	s_delay_alu instid0(VALU_DEP_1) | instskip(NEXT) | instid1(VALU_DEP_1)
	v_div_scale_f32 v1, null, v0, v0, 1.0
	v_rcp_f32_e32 v2, v1
	v_nop
	s_delay_alu instid0(TRANS32_DEP_1) | instskip(NEXT) | instid1(VALU_DEP_1)
	v_fma_f32 v4, -v1, v2, 1.0
	v_fmac_f32_e32 v2, v4, v2
	v_div_scale_f32 v4, vcc_lo, 1.0, v0, 1.0
	s_delay_alu instid0(VALU_DEP_1) | instskip(NEXT) | instid1(VALU_DEP_1)
	v_mul_f32_e32 v5, v4, v2
	v_fma_f32 v6, -v1, v5, v4
	s_delay_alu instid0(VALU_DEP_1) | instskip(NEXT) | instid1(VALU_DEP_1)
	v_fmac_f32_e32 v5, v6, v2
	v_fma_f32 v1, -v1, v5, v4
	s_delay_alu instid0(VALU_DEP_1) | instskip(NEXT) | instid1(VALU_DEP_1)
	v_div_fmas_f32 v1, v1, v2, v5
	v_div_fixup_f32 v2, v1, v0, 1.0
	s_delay_alu instid0(VALU_DEP_1)
	v_mul_f32_e64 v3, v3, -v2
.LBB91_124:
	s_or_b32 exec_lo, exec_lo, s1
	ds_store_b64 v35, v[2:3]
.LBB91_125:
	s_or_b32 exec_lo, exec_lo, s2
	s_wait_dscnt 0x0
	s_barrier_signal -1
	s_barrier_wait -1
	ds_load_b64 v[212:213], v35
	s_mov_b32 s1, exec_lo
	v_cmpx_lt_u32_e32 13, v34
	s_cbranch_execz .LBB91_127
; %bb.126:
	ds_load_2addr_b64 v[4:7], v26 offset0:14 offset1:15
	s_wait_dscnt 0x1
	v_pk_mul_f32 v[2:3], v[212:213], v[38:39] op_sel:[1,1] op_sel_hi:[0,1]
	s_delay_alu instid0(VALU_DEP_1) | instskip(SKIP_1) | instid1(VALU_DEP_1)
	v_pk_fma_f32 v[0:1], v[212:213], v[38:39], v[2:3] op_sel_hi:[1,0,1] neg_lo:[0,0,1] neg_hi:[0,0,1]
	v_pk_fma_f32 v[2:3], v[212:213], v[38:39], v[2:3] op_sel_hi:[1,0,1]
	v_dual_mov_b32 v38, v0 :: v_dual_mov_b32 v39, v3
	s_wait_dscnt 0x0
	s_delay_alu instid0(VALU_DEP_2) | instskip(NEXT) | instid1(VALU_DEP_1)
	v_pk_mul_f32 v[8:9], v[4:5], v[2:3] op_sel:[0,1]
	v_pk_fma_f32 v[10:11], v[4:5], v[0:1], v[8:9] op_sel:[0,0,1] op_sel_hi:[1,1,0] neg_lo:[0,0,1] neg_hi:[0,0,1]
	v_pk_fma_f32 v[4:5], v[4:5], v[0:1], v[8:9] op_sel:[0,0,1] op_sel_hi:[1,0,0]
	s_delay_alu instid0(VALU_DEP_1) | instskip(SKIP_1) | instid1(VALU_DEP_1)
	v_mov_b32_e32 v11, v5
	v_pk_mul_f32 v[4:5], v[6:7], v[2:3] op_sel:[0,1]
	v_pk_fma_f32 v[8:9], v[6:7], v[0:1], v[4:5] op_sel:[0,0,1] op_sel_hi:[1,1,0] neg_lo:[0,0,1] neg_hi:[0,0,1]
	v_pk_fma_f32 v[4:5], v[6:7], v[0:1], v[4:5] op_sel:[0,0,1] op_sel_hi:[1,0,0]
	s_delay_alu instid0(VALU_DEP_1)
	v_mov_b32_e32 v9, v5
	ds_load_2addr_b64 v[4:7], v26 offset0:16 offset1:17
	v_pk_add_f32 v[40:41], v[40:41], v[10:11] neg_lo:[0,1] neg_hi:[0,1]
	v_pk_add_f32 v[36:37], v[36:37], v[8:9] neg_lo:[0,1] neg_hi:[0,1]
	s_wait_dscnt 0x0
	v_pk_mul_f32 v[8:9], v[4:5], v[2:3] op_sel:[0,1]
	s_delay_alu instid0(VALU_DEP_1) | instskip(SKIP_2) | instid1(VALU_DEP_2)
	v_pk_fma_f32 v[10:11], v[4:5], v[0:1], v[8:9] op_sel:[0,0,1] op_sel_hi:[1,1,0] neg_lo:[0,0,1] neg_hi:[0,0,1]
	v_pk_fma_f32 v[4:5], v[4:5], v[0:1], v[8:9] op_sel:[0,0,1] op_sel_hi:[1,0,0]
	v_dual_mul_f32 v8, v7, v3 :: v_dual_mov_b32 v4, v7
	v_dual_mov_b32 v11, v5 :: v_dual_mov_b32 v5, v6
	s_delay_alu instid0(VALU_DEP_2) | instskip(SKIP_1) | instid1(VALU_DEP_3)
	v_pk_fma_f32 v[8:9], v[6:7], v[38:39], v[8:9] op_sel_hi:[1,1,0] neg_lo:[0,0,1] neg_hi:[0,0,1]
	v_mul_f32_e32 v6, v7, v0
	v_pk_add_f32 v[66:67], v[66:67], v[10:11] neg_lo:[0,1] neg_hi:[0,1]
	s_delay_alu instid0(VALU_DEP_2) | instskip(NEXT) | instid1(VALU_DEP_1)
	v_pk_fma_f32 v[4:5], v[4:5], v[38:39], v[6:7] op_sel_hi:[1,1,0]
	v_mov_b32_e32 v9, v5
	ds_load_2addr_b64 v[4:7], v26 offset0:18 offset1:19
	v_pk_add_f32 v[62:63], v[62:63], v[8:9] neg_lo:[0,1] neg_hi:[0,1]
	s_wait_dscnt 0x0
	v_pk_mul_f32 v[8:9], v[4:5], v[2:3] op_sel:[0,1]
	s_delay_alu instid0(VALU_DEP_1) | instskip(SKIP_1) | instid1(VALU_DEP_1)
	v_pk_fma_f32 v[10:11], v[4:5], v[0:1], v[8:9] op_sel:[0,0,1] op_sel_hi:[1,1,0] neg_lo:[0,0,1] neg_hi:[0,0,1]
	v_pk_fma_f32 v[4:5], v[4:5], v[0:1], v[8:9] op_sel:[0,0,1] op_sel_hi:[1,0,0]
	v_mov_b32_e32 v11, v5
	v_pk_mul_f32 v[4:5], v[6:7], v[2:3] op_sel:[0,1]
	s_delay_alu instid0(VALU_DEP_1) | instskip(SKIP_1) | instid1(VALU_DEP_1)
	v_pk_fma_f32 v[8:9], v[6:7], v[0:1], v[4:5] op_sel:[0,0,1] op_sel_hi:[1,1,0] neg_lo:[0,0,1] neg_hi:[0,0,1]
	v_pk_fma_f32 v[4:5], v[6:7], v[0:1], v[4:5] op_sel:[0,0,1] op_sel_hi:[1,0,0]
	v_mov_b32_e32 v9, v5
	ds_load_2addr_b64 v[4:7], v26 offset0:20 offset1:21
	v_pk_add_f32 v[64:65], v[64:65], v[10:11] neg_lo:[0,1] neg_hi:[0,1]
	v_pk_add_f32 v[60:61], v[60:61], v[8:9] neg_lo:[0,1] neg_hi:[0,1]
	s_wait_dscnt 0x0
	v_pk_mul_f32 v[8:9], v[4:5], v[2:3] op_sel:[0,1]
	s_delay_alu instid0(VALU_DEP_1) | instskip(SKIP_1) | instid1(VALU_DEP_1)
	v_pk_fma_f32 v[10:11], v[4:5], v[0:1], v[8:9] op_sel:[0,0,1] op_sel_hi:[1,1,0] neg_lo:[0,0,1] neg_hi:[0,0,1]
	v_pk_fma_f32 v[4:5], v[4:5], v[0:1], v[8:9] op_sel:[0,0,1] op_sel_hi:[1,0,0]
	v_mov_b32_e32 v11, v5
	v_pk_mul_f32 v[4:5], v[6:7], v[2:3] op_sel:[0,1]
	s_delay_alu instid0(VALU_DEP_1) | instskip(SKIP_1) | instid1(VALU_DEP_1)
	v_pk_fma_f32 v[8:9], v[6:7], v[0:1], v[4:5] op_sel:[0,0,1] op_sel_hi:[1,1,0] neg_lo:[0,0,1] neg_hi:[0,0,1]
	v_pk_fma_f32 v[4:5], v[6:7], v[0:1], v[4:5] op_sel:[0,0,1] op_sel_hi:[1,0,0]
	v_mov_b32_e32 v9, v5
	ds_load_2addr_b64 v[4:7], v26 offset0:22 offset1:23
	v_pk_add_f32 v[90:91], v[90:91], v[10:11] neg_lo:[0,1] neg_hi:[0,1]
	v_pk_add_f32 v[86:87], v[86:87], v[8:9] neg_lo:[0,1] neg_hi:[0,1]
	s_wait_dscnt 0x0
	v_dual_mul_f32 v8, v5, v3 :: v_dual_mul_f32 v10, v5, v0
	s_delay_alu instid0(VALU_DEP_1) | instskip(NEXT) | instid1(VALU_DEP_2)
	v_pk_fma_f32 v[8:9], v[4:5], v[38:39], v[8:9] op_sel_hi:[1,1,0] neg_lo:[0,0,1] neg_hi:[0,0,1]
	v_pk_fma_f32 v[4:5], v[4:5], v[38:39], v[10:11] op_sel:[1,0,0] op_sel_hi:[0,1,0]
	s_delay_alu instid0(VALU_DEP_1) | instskip(SKIP_1) | instid1(VALU_DEP_2)
	v_mov_b32_e32 v9, v5
	v_pk_mul_f32 v[4:5], v[6:7], v[2:3] op_sel:[0,1]
	v_pk_add_f32 v[88:89], v[88:89], v[8:9] neg_lo:[0,1] neg_hi:[0,1]
	s_delay_alu instid0(VALU_DEP_2) | instskip(SKIP_1) | instid1(VALU_DEP_1)
	v_pk_fma_f32 v[8:9], v[6:7], v[0:1], v[4:5] op_sel:[0,0,1] op_sel_hi:[1,1,0] neg_lo:[0,0,1] neg_hi:[0,0,1]
	v_pk_fma_f32 v[4:5], v[6:7], v[0:1], v[4:5] op_sel:[0,0,1] op_sel_hi:[1,0,0]
	v_mov_b32_e32 v9, v5
	ds_load_2addr_b64 v[4:7], v26 offset0:24 offset1:25
	v_pk_add_f32 v[84:85], v[84:85], v[8:9] neg_lo:[0,1] neg_hi:[0,1]
	s_wait_dscnt 0x0
	v_pk_mul_f32 v[8:9], v[4:5], v[2:3] op_sel:[0,1]
	s_delay_alu instid0(VALU_DEP_1) | instskip(SKIP_1) | instid1(VALU_DEP_1)
	v_pk_fma_f32 v[10:11], v[4:5], v[0:1], v[8:9] op_sel:[0,0,1] op_sel_hi:[1,1,0] neg_lo:[0,0,1] neg_hi:[0,0,1]
	v_pk_fma_f32 v[4:5], v[4:5], v[0:1], v[8:9] op_sel:[0,0,1] op_sel_hi:[1,0,0]
	v_mov_b32_e32 v11, v5
	v_pk_mul_f32 v[4:5], v[6:7], v[2:3] op_sel:[0,1]
	s_delay_alu instid0(VALU_DEP_2) | instskip(NEXT) | instid1(VALU_DEP_2)
	v_pk_add_f32 v[112:113], v[112:113], v[10:11] neg_lo:[0,1] neg_hi:[0,1]
	v_pk_fma_f32 v[8:9], v[6:7], v[0:1], v[4:5] op_sel:[0,0,1] op_sel_hi:[1,1,0] neg_lo:[0,0,1] neg_hi:[0,0,1]
	v_pk_fma_f32 v[4:5], v[6:7], v[0:1], v[4:5] op_sel:[0,0,1] op_sel_hi:[1,0,0]
	s_delay_alu instid0(VALU_DEP_1) | instskip(SKIP_4) | instid1(VALU_DEP_1)
	v_mov_b32_e32 v9, v5
	ds_load_2addr_b64 v[4:7], v26 offset0:26 offset1:27
	v_pk_add_f32 v[108:109], v[108:109], v[8:9] neg_lo:[0,1] neg_hi:[0,1]
	s_wait_dscnt 0x0
	v_pk_mul_f32 v[8:9], v[4:5], v[2:3] op_sel:[0,1]
	v_pk_fma_f32 v[10:11], v[4:5], v[0:1], v[8:9] op_sel:[0,0,1] op_sel_hi:[1,1,0] neg_lo:[0,0,1] neg_hi:[0,0,1]
	v_pk_fma_f32 v[4:5], v[4:5], v[0:1], v[8:9] op_sel:[0,0,1] op_sel_hi:[1,0,0]
	v_dual_mul_f32 v8, v7, v3 :: v_dual_mov_b32 v4, v7
	s_delay_alu instid0(VALU_DEP_2) | instskip(NEXT) | instid1(VALU_DEP_2)
	v_dual_mov_b32 v11, v5 :: v_dual_mov_b32 v5, v6
	v_pk_fma_f32 v[8:9], v[6:7], v[38:39], v[8:9] op_sel_hi:[1,1,0] neg_lo:[0,0,1] neg_hi:[0,0,1]
	v_mul_f32_e32 v6, v7, v0
	s_delay_alu instid0(VALU_DEP_3) | instskip(NEXT) | instid1(VALU_DEP_2)
	v_pk_add_f32 v[110:111], v[110:111], v[10:11] neg_lo:[0,1] neg_hi:[0,1]
	v_pk_fma_f32 v[4:5], v[4:5], v[38:39], v[6:7] op_sel_hi:[1,1,0]
	s_delay_alu instid0(VALU_DEP_1) | instskip(SKIP_4) | instid1(VALU_DEP_1)
	v_mov_b32_e32 v9, v5
	ds_load_2addr_b64 v[4:7], v26 offset0:28 offset1:29
	v_pk_add_f32 v[106:107], v[106:107], v[8:9] neg_lo:[0,1] neg_hi:[0,1]
	s_wait_dscnt 0x0
	v_pk_mul_f32 v[8:9], v[4:5], v[2:3] op_sel:[0,1]
	v_pk_fma_f32 v[10:11], v[4:5], v[0:1], v[8:9] op_sel:[0,0,1] op_sel_hi:[1,1,0] neg_lo:[0,0,1] neg_hi:[0,0,1]
	v_pk_fma_f32 v[4:5], v[4:5], v[0:1], v[8:9] op_sel:[0,0,1] op_sel_hi:[1,0,0]
	s_delay_alu instid0(VALU_DEP_1) | instskip(SKIP_1) | instid1(VALU_DEP_1)
	v_mov_b32_e32 v11, v5
	v_pk_mul_f32 v[4:5], v[6:7], v[2:3] op_sel:[0,1]
	v_pk_fma_f32 v[8:9], v[6:7], v[0:1], v[4:5] op_sel:[0,0,1] op_sel_hi:[1,1,0] neg_lo:[0,0,1] neg_hi:[0,0,1]
	v_pk_fma_f32 v[4:5], v[6:7], v[0:1], v[4:5] op_sel:[0,0,1] op_sel_hi:[1,0,0]
	s_delay_alu instid0(VALU_DEP_1)
	v_mov_b32_e32 v9, v5
	ds_load_2addr_b64 v[4:7], v26 offset0:30 offset1:31
	v_pk_add_f32 v[128:129], v[128:129], v[10:11] neg_lo:[0,1] neg_hi:[0,1]
	v_pk_add_f32 v[124:125], v[124:125], v[8:9] neg_lo:[0,1] neg_hi:[0,1]
	s_wait_dscnt 0x0
	v_pk_mul_f32 v[8:9], v[4:5], v[2:3] op_sel:[0,1]
	s_delay_alu instid0(VALU_DEP_1) | instskip(SKIP_1) | instid1(VALU_DEP_1)
	v_pk_fma_f32 v[10:11], v[4:5], v[0:1], v[8:9] op_sel:[0,0,1] op_sel_hi:[1,1,0] neg_lo:[0,0,1] neg_hi:[0,0,1]
	v_pk_fma_f32 v[4:5], v[4:5], v[0:1], v[8:9] op_sel:[0,0,1] op_sel_hi:[1,0,0]
	v_mov_b32_e32 v11, v5
	v_pk_mul_f32 v[4:5], v[6:7], v[2:3] op_sel:[0,1]
	s_delay_alu instid0(VALU_DEP_1) | instskip(SKIP_1) | instid1(VALU_DEP_1)
	v_pk_fma_f32 v[8:9], v[6:7], v[0:1], v[4:5] op_sel:[0,0,1] op_sel_hi:[1,1,0] neg_lo:[0,0,1] neg_hi:[0,0,1]
	v_pk_fma_f32 v[4:5], v[6:7], v[0:1], v[4:5] op_sel:[0,0,1] op_sel_hi:[1,0,0]
	v_mov_b32_e32 v9, v5
	ds_load_2addr_b64 v[4:7], v26 offset0:32 offset1:33
	v_pk_add_f32 v[126:127], v[126:127], v[10:11] neg_lo:[0,1] neg_hi:[0,1]
	v_pk_add_f32 v[122:123], v[122:123], v[8:9] neg_lo:[0,1] neg_hi:[0,1]
	s_wait_dscnt 0x0
	v_dual_mul_f32 v8, v5, v3 :: v_dual_mul_f32 v10, v5, v0
	s_delay_alu instid0(VALU_DEP_1) | instskip(NEXT) | instid1(VALU_DEP_2)
	v_pk_fma_f32 v[8:9], v[4:5], v[38:39], v[8:9] op_sel_hi:[1,1,0] neg_lo:[0,0,1] neg_hi:[0,0,1]
	v_pk_fma_f32 v[4:5], v[4:5], v[38:39], v[10:11] op_sel:[1,0,0] op_sel_hi:[0,1,0]
	s_delay_alu instid0(VALU_DEP_1) | instskip(SKIP_1) | instid1(VALU_DEP_2)
	v_mov_b32_e32 v9, v5
	v_pk_mul_f32 v[4:5], v[6:7], v[2:3] op_sel:[0,1]
	v_pk_add_f32 v[144:145], v[144:145], v[8:9] neg_lo:[0,1] neg_hi:[0,1]
	s_delay_alu instid0(VALU_DEP_2) | instskip(SKIP_1) | instid1(VALU_DEP_1)
	v_pk_fma_f32 v[8:9], v[6:7], v[0:1], v[4:5] op_sel:[0,0,1] op_sel_hi:[1,1,0] neg_lo:[0,0,1] neg_hi:[0,0,1]
	v_pk_fma_f32 v[4:5], v[6:7], v[0:1], v[4:5] op_sel:[0,0,1] op_sel_hi:[1,0,0]
	v_mov_b32_e32 v9, v5
	ds_load_2addr_b64 v[4:7], v26 offset0:34 offset1:35
	v_pk_add_f32 v[140:141], v[140:141], v[8:9] neg_lo:[0,1] neg_hi:[0,1]
	s_wait_dscnt 0x0
	v_pk_mul_f32 v[8:9], v[4:5], v[2:3] op_sel:[0,1]
	s_delay_alu instid0(VALU_DEP_1) | instskip(SKIP_1) | instid1(VALU_DEP_1)
	v_pk_fma_f32 v[10:11], v[4:5], v[0:1], v[8:9] op_sel:[0,0,1] op_sel_hi:[1,1,0] neg_lo:[0,0,1] neg_hi:[0,0,1]
	v_pk_fma_f32 v[4:5], v[4:5], v[0:1], v[8:9] op_sel:[0,0,1] op_sel_hi:[1,0,0]
	v_mov_b32_e32 v11, v5
	v_pk_mul_f32 v[4:5], v[6:7], v[2:3] op_sel:[0,1]
	s_delay_alu instid0(VALU_DEP_2) | instskip(NEXT) | instid1(VALU_DEP_2)
	v_pk_add_f32 v[142:143], v[142:143], v[10:11] neg_lo:[0,1] neg_hi:[0,1]
	v_pk_fma_f32 v[8:9], v[6:7], v[0:1], v[4:5] op_sel:[0,0,1] op_sel_hi:[1,1,0] neg_lo:[0,0,1] neg_hi:[0,0,1]
	v_pk_fma_f32 v[4:5], v[6:7], v[0:1], v[4:5] op_sel:[0,0,1] op_sel_hi:[1,0,0]
	s_delay_alu instid0(VALU_DEP_1) | instskip(SKIP_4) | instid1(VALU_DEP_1)
	v_mov_b32_e32 v9, v5
	ds_load_2addr_b64 v[4:7], v26 offset0:36 offset1:37
	v_pk_add_f32 v[138:139], v[138:139], v[8:9] neg_lo:[0,1] neg_hi:[0,1]
	s_wait_dscnt 0x0
	v_pk_mul_f32 v[8:9], v[4:5], v[2:3] op_sel:[0,1]
	v_pk_fma_f32 v[10:11], v[4:5], v[0:1], v[8:9] op_sel:[0,0,1] op_sel_hi:[1,1,0] neg_lo:[0,0,1] neg_hi:[0,0,1]
	v_pk_fma_f32 v[4:5], v[4:5], v[0:1], v[8:9] op_sel:[0,0,1] op_sel_hi:[1,0,0]
	v_dual_mul_f32 v8, v7, v3 :: v_dual_mov_b32 v4, v7
	s_delay_alu instid0(VALU_DEP_2) | instskip(NEXT) | instid1(VALU_DEP_2)
	v_dual_mov_b32 v11, v5 :: v_dual_mov_b32 v5, v6
	v_pk_fma_f32 v[8:9], v[6:7], v[38:39], v[8:9] op_sel_hi:[1,1,0] neg_lo:[0,0,1] neg_hi:[0,0,1]
	v_mul_f32_e32 v6, v7, v0
	s_delay_alu instid0(VALU_DEP_3) | instskip(NEXT) | instid1(VALU_DEP_2)
	v_pk_add_f32 v[162:163], v[162:163], v[10:11] neg_lo:[0,1] neg_hi:[0,1]
	v_pk_fma_f32 v[4:5], v[4:5], v[38:39], v[6:7] op_sel_hi:[1,1,0]
	s_delay_alu instid0(VALU_DEP_1) | instskip(SKIP_4) | instid1(VALU_DEP_1)
	v_mov_b32_e32 v9, v5
	ds_load_2addr_b64 v[4:7], v26 offset0:38 offset1:39
	v_pk_add_f32 v[158:159], v[158:159], v[8:9] neg_lo:[0,1] neg_hi:[0,1]
	s_wait_dscnt 0x0
	v_pk_mul_f32 v[8:9], v[4:5], v[2:3] op_sel:[0,1]
	v_pk_fma_f32 v[10:11], v[4:5], v[0:1], v[8:9] op_sel:[0,0,1] op_sel_hi:[1,1,0] neg_lo:[0,0,1] neg_hi:[0,0,1]
	v_pk_fma_f32 v[4:5], v[4:5], v[0:1], v[8:9] op_sel:[0,0,1] op_sel_hi:[1,0,0]
	s_delay_alu instid0(VALU_DEP_1) | instskip(SKIP_1) | instid1(VALU_DEP_1)
	v_mov_b32_e32 v11, v5
	v_pk_mul_f32 v[4:5], v[6:7], v[2:3] op_sel:[0,1]
	v_pk_fma_f32 v[8:9], v[6:7], v[0:1], v[4:5] op_sel:[0,0,1] op_sel_hi:[1,1,0] neg_lo:[0,0,1] neg_hi:[0,0,1]
	v_pk_fma_f32 v[4:5], v[6:7], v[0:1], v[4:5] op_sel:[0,0,1] op_sel_hi:[1,0,0]
	s_delay_alu instid0(VALU_DEP_1)
	v_mov_b32_e32 v9, v5
	ds_load_2addr_b64 v[4:7], v26 offset0:40 offset1:41
	v_pk_add_f32 v[160:161], v[160:161], v[10:11] neg_lo:[0,1] neg_hi:[0,1]
	v_pk_add_f32 v[156:157], v[156:157], v[8:9] neg_lo:[0,1] neg_hi:[0,1]
	s_wait_dscnt 0x0
	v_pk_mul_f32 v[8:9], v[4:5], v[2:3] op_sel:[0,1]
	s_delay_alu instid0(VALU_DEP_1) | instskip(SKIP_1) | instid1(VALU_DEP_1)
	v_pk_fma_f32 v[10:11], v[4:5], v[0:1], v[8:9] op_sel:[0,0,1] op_sel_hi:[1,1,0] neg_lo:[0,0,1] neg_hi:[0,0,1]
	v_pk_fma_f32 v[4:5], v[4:5], v[0:1], v[8:9] op_sel:[0,0,1] op_sel_hi:[1,0,0]
	v_mov_b32_e32 v11, v5
	v_pk_mul_f32 v[4:5], v[6:7], v[2:3] op_sel:[0,1]
	s_delay_alu instid0(VALU_DEP_1) | instskip(SKIP_1) | instid1(VALU_DEP_1)
	v_pk_fma_f32 v[8:9], v[6:7], v[0:1], v[4:5] op_sel:[0,0,1] op_sel_hi:[1,1,0] neg_lo:[0,0,1] neg_hi:[0,0,1]
	v_pk_fma_f32 v[4:5], v[6:7], v[0:1], v[4:5] op_sel:[0,0,1] op_sel_hi:[1,0,0]
	v_mov_b32_e32 v9, v5
	ds_load_2addr_b64 v[4:7], v26 offset0:42 offset1:43
	v_pk_add_f32 v[178:179], v[178:179], v[10:11] neg_lo:[0,1] neg_hi:[0,1]
	v_pk_add_f32 v[174:175], v[174:175], v[8:9] neg_lo:[0,1] neg_hi:[0,1]
	s_wait_dscnt 0x0
	v_dual_mul_f32 v8, v5, v3 :: v_dual_mul_f32 v10, v5, v0
	s_delay_alu instid0(VALU_DEP_1) | instskip(NEXT) | instid1(VALU_DEP_2)
	v_pk_fma_f32 v[8:9], v[4:5], v[38:39], v[8:9] op_sel_hi:[1,1,0] neg_lo:[0,0,1] neg_hi:[0,0,1]
	v_pk_fma_f32 v[4:5], v[4:5], v[38:39], v[10:11] op_sel:[1,0,0] op_sel_hi:[0,1,0]
	s_delay_alu instid0(VALU_DEP_1) | instskip(SKIP_1) | instid1(VALU_DEP_2)
	v_mov_b32_e32 v9, v5
	v_pk_mul_f32 v[4:5], v[6:7], v[2:3] op_sel:[0,1]
	v_pk_add_f32 v[176:177], v[176:177], v[8:9] neg_lo:[0,1] neg_hi:[0,1]
	s_delay_alu instid0(VALU_DEP_2) | instskip(SKIP_1) | instid1(VALU_DEP_1)
	v_pk_fma_f32 v[8:9], v[6:7], v[0:1], v[4:5] op_sel:[0,0,1] op_sel_hi:[1,1,0] neg_lo:[0,0,1] neg_hi:[0,0,1]
	v_pk_fma_f32 v[4:5], v[6:7], v[0:1], v[4:5] op_sel:[0,0,1] op_sel_hi:[1,0,0]
	v_mov_b32_e32 v9, v5
	ds_load_2addr_b64 v[4:7], v26 offset0:44 offset1:45
	v_pk_add_f32 v[172:173], v[172:173], v[8:9] neg_lo:[0,1] neg_hi:[0,1]
	s_wait_dscnt 0x0
	v_pk_mul_f32 v[8:9], v[4:5], v[2:3] op_sel:[0,1]
	v_pk_mul_f32 v[2:3], v[6:7], v[2:3] op_sel:[0,1]
	s_delay_alu instid0(VALU_DEP_2) | instskip(SKIP_1) | instid1(VALU_DEP_1)
	v_pk_fma_f32 v[10:11], v[4:5], v[0:1], v[8:9] op_sel:[0,0,1] op_sel_hi:[1,1,0] neg_lo:[0,0,1] neg_hi:[0,0,1]
	v_pk_fma_f32 v[4:5], v[4:5], v[0:1], v[8:9] op_sel:[0,0,1] op_sel_hi:[1,0,0]
	v_mov_b32_e32 v11, v5
	s_delay_alu instid0(VALU_DEP_4) | instskip(SKIP_1) | instid1(VALU_DEP_3)
	v_pk_fma_f32 v[4:5], v[6:7], v[0:1], v[2:3] op_sel:[0,0,1] op_sel_hi:[1,1,0] neg_lo:[0,0,1] neg_hi:[0,0,1]
	v_pk_fma_f32 v[0:1], v[6:7], v[0:1], v[2:3] op_sel:[0,0,1] op_sel_hi:[1,0,0]
	v_pk_add_f32 v[180:181], v[180:181], v[10:11] neg_lo:[0,1] neg_hi:[0,1]
	s_delay_alu instid0(VALU_DEP_2) | instskip(NEXT) | instid1(VALU_DEP_1)
	v_mov_b32_e32 v5, v1
	v_pk_add_f32 v[184:185], v[184:185], v[4:5] neg_lo:[0,1] neg_hi:[0,1]
.LBB91_127:
	s_or_b32 exec_lo, exec_lo, s1
	s_delay_alu instid0(SALU_CYCLE_1)
	s_mov_b32 s2, exec_lo
	s_wait_dscnt 0x0
	s_barrier_signal -1
	s_barrier_wait -1
	v_cmpx_eq_u32_e32 14, v34
	s_cbranch_execz .LBB91_134
; %bb.128:
	ds_store_b64 v35, v[40:41]
	ds_store_2addr_b64 v26, v[36:37], v[66:67] offset0:15 offset1:16
	ds_store_2addr_b64 v26, v[62:63], v[64:65] offset0:17 offset1:18
	;; [unrolled: 1-line block ×15, first 2 shown]
	ds_store_b64 v26, v[184:185] offset:360
	ds_load_b64 v[0:1], v35
	s_wait_dscnt 0x0
	v_cmp_neq_f32_e32 vcc_lo, 0, v0
	v_cmp_neq_f32_e64 s1, 0, v1
	s_or_b32 s1, vcc_lo, s1
	s_delay_alu instid0(SALU_CYCLE_1)
	s_and_b32 exec_lo, exec_lo, s1
	s_cbranch_execz .LBB91_134
; %bb.129:
	v_cmp_ngt_f32_e64 s1, |v0|, |v1|
                                        ; implicit-def: $vgpr2_vgpr3
	s_and_saveexec_b32 s4, s1
	s_delay_alu instid0(SALU_CYCLE_1)
	s_xor_b32 s1, exec_lo, s4
	s_cbranch_execz .LBB91_131
; %bb.130:
	v_div_scale_f32 v2, null, v1, v1, v0
	v_div_scale_f32 v5, vcc_lo, v0, v1, v0
	s_delay_alu instid0(VALU_DEP_2) | instskip(SKIP_1) | instid1(TRANS32_DEP_1)
	v_rcp_f32_e32 v3, v2
	v_nop
	v_fma_f32 v4, -v2, v3, 1.0
	s_delay_alu instid0(VALU_DEP_1) | instskip(NEXT) | instid1(VALU_DEP_1)
	v_fmac_f32_e32 v3, v4, v3
	v_mul_f32_e32 v4, v5, v3
	s_delay_alu instid0(VALU_DEP_1) | instskip(NEXT) | instid1(VALU_DEP_1)
	v_fma_f32 v6, -v2, v4, v5
	v_fmac_f32_e32 v4, v6, v3
	s_delay_alu instid0(VALU_DEP_1) | instskip(NEXT) | instid1(VALU_DEP_1)
	v_fma_f32 v2, -v2, v4, v5
	v_div_fmas_f32 v2, v2, v3, v4
	s_delay_alu instid0(VALU_DEP_1) | instskip(NEXT) | instid1(VALU_DEP_1)
	v_div_fixup_f32 v2, v2, v1, v0
	v_fmac_f32_e32 v1, v0, v2
	s_delay_alu instid0(VALU_DEP_1) | instskip(SKIP_1) | instid1(VALU_DEP_2)
	v_div_scale_f32 v0, null, v1, v1, 1.0
	v_div_scale_f32 v5, vcc_lo, 1.0, v1, 1.0
	v_rcp_f32_e32 v3, v0
	v_nop
	s_delay_alu instid0(TRANS32_DEP_1) | instskip(NEXT) | instid1(VALU_DEP_1)
	v_fma_f32 v4, -v0, v3, 1.0
	v_fmac_f32_e32 v3, v4, v3
	s_delay_alu instid0(VALU_DEP_1) | instskip(NEXT) | instid1(VALU_DEP_1)
	v_mul_f32_e32 v4, v5, v3
	v_fma_f32 v6, -v0, v4, v5
	s_delay_alu instid0(VALU_DEP_1) | instskip(NEXT) | instid1(VALU_DEP_1)
	v_fmac_f32_e32 v4, v6, v3
	v_fma_f32 v0, -v0, v4, v5
	s_delay_alu instid0(VALU_DEP_1) | instskip(NEXT) | instid1(VALU_DEP_1)
	v_div_fmas_f32 v0, v0, v3, v4
	v_div_fixup_f32 v0, v0, v1, 1.0
	s_delay_alu instid0(VALU_DEP_1)
	v_mul_f32_e32 v2, v2, v0
	v_xor_b32_e32 v3, 0x80000000, v0
                                        ; implicit-def: $vgpr0_vgpr1
.LBB91_131:
	s_and_not1_saveexec_b32 s1, s1
	s_cbranch_execz .LBB91_133
; %bb.132:
	v_div_scale_f32 v2, null, v0, v0, v1
	v_div_scale_f32 v5, vcc_lo, v1, v0, v1
	s_delay_alu instid0(VALU_DEP_2) | instskip(SKIP_1) | instid1(TRANS32_DEP_1)
	v_rcp_f32_e32 v3, v2
	v_nop
	v_fma_f32 v4, -v2, v3, 1.0
	s_delay_alu instid0(VALU_DEP_1) | instskip(NEXT) | instid1(VALU_DEP_1)
	v_fmac_f32_e32 v3, v4, v3
	v_mul_f32_e32 v4, v5, v3
	s_delay_alu instid0(VALU_DEP_1) | instskip(NEXT) | instid1(VALU_DEP_1)
	v_fma_f32 v6, -v2, v4, v5
	v_fmac_f32_e32 v4, v6, v3
	s_delay_alu instid0(VALU_DEP_1) | instskip(NEXT) | instid1(VALU_DEP_1)
	v_fma_f32 v2, -v2, v4, v5
	v_div_fmas_f32 v2, v2, v3, v4
	s_delay_alu instid0(VALU_DEP_1) | instskip(NEXT) | instid1(VALU_DEP_1)
	v_div_fixup_f32 v3, v2, v0, v1
	v_fmac_f32_e32 v0, v1, v3
	s_delay_alu instid0(VALU_DEP_1) | instskip(NEXT) | instid1(VALU_DEP_1)
	v_div_scale_f32 v1, null, v0, v0, 1.0
	v_rcp_f32_e32 v2, v1
	v_nop
	s_delay_alu instid0(TRANS32_DEP_1) | instskip(NEXT) | instid1(VALU_DEP_1)
	v_fma_f32 v4, -v1, v2, 1.0
	v_fmac_f32_e32 v2, v4, v2
	v_div_scale_f32 v4, vcc_lo, 1.0, v0, 1.0
	s_delay_alu instid0(VALU_DEP_1) | instskip(NEXT) | instid1(VALU_DEP_1)
	v_mul_f32_e32 v5, v4, v2
	v_fma_f32 v6, -v1, v5, v4
	s_delay_alu instid0(VALU_DEP_1) | instskip(NEXT) | instid1(VALU_DEP_1)
	v_fmac_f32_e32 v5, v6, v2
	v_fma_f32 v1, -v1, v5, v4
	s_delay_alu instid0(VALU_DEP_1) | instskip(NEXT) | instid1(VALU_DEP_1)
	v_div_fmas_f32 v1, v1, v2, v5
	v_div_fixup_f32 v2, v1, v0, 1.0
	s_delay_alu instid0(VALU_DEP_1)
	v_mul_f32_e64 v3, v3, -v2
.LBB91_133:
	s_or_b32 exec_lo, exec_lo, s1
	ds_store_b64 v35, v[2:3]
.LBB91_134:
	s_or_b32 exec_lo, exec_lo, s2
	s_wait_dscnt 0x0
	s_barrier_signal -1
	s_barrier_wait -1
	ds_load_b64 v[214:215], v35
	s_mov_b32 s1, exec_lo
	v_cmpx_lt_u32_e32 14, v34
	s_cbranch_execz .LBB91_136
; %bb.135:
	ds_load_2addr_b64 v[4:7], v26 offset0:15 offset1:16
	s_wait_dscnt 0x1
	v_pk_mul_f32 v[2:3], v[214:215], v[40:41] op_sel:[1,1] op_sel_hi:[0,1]
	s_delay_alu instid0(VALU_DEP_1) | instskip(SKIP_1) | instid1(VALU_DEP_1)
	v_pk_fma_f32 v[0:1], v[214:215], v[40:41], v[2:3] op_sel_hi:[1,0,1] neg_lo:[0,0,1] neg_hi:[0,0,1]
	v_pk_fma_f32 v[2:3], v[214:215], v[40:41], v[2:3] op_sel_hi:[1,0,1]
	v_dual_mov_b32 v40, v0 :: v_dual_mov_b32 v41, v3
	s_wait_dscnt 0x0
	s_delay_alu instid0(VALU_DEP_2) | instskip(NEXT) | instid1(VALU_DEP_1)
	v_pk_mul_f32 v[8:9], v[4:5], v[2:3] op_sel:[0,1]
	v_pk_fma_f32 v[10:11], v[4:5], v[0:1], v[8:9] op_sel:[0,0,1] op_sel_hi:[1,1,0] neg_lo:[0,0,1] neg_hi:[0,0,1]
	v_pk_fma_f32 v[4:5], v[4:5], v[0:1], v[8:9] op_sel:[0,0,1] op_sel_hi:[1,0,0]
	s_delay_alu instid0(VALU_DEP_1) | instskip(SKIP_1) | instid1(VALU_DEP_1)
	v_mov_b32_e32 v11, v5
	v_pk_mul_f32 v[4:5], v[6:7], v[2:3] op_sel:[0,1]
	v_pk_fma_f32 v[8:9], v[6:7], v[0:1], v[4:5] op_sel:[0,0,1] op_sel_hi:[1,1,0] neg_lo:[0,0,1] neg_hi:[0,0,1]
	v_pk_fma_f32 v[4:5], v[6:7], v[0:1], v[4:5] op_sel:[0,0,1] op_sel_hi:[1,0,0]
	s_delay_alu instid0(VALU_DEP_1)
	v_mov_b32_e32 v9, v5
	ds_load_2addr_b64 v[4:7], v26 offset0:17 offset1:18
	v_pk_add_f32 v[36:37], v[36:37], v[10:11] neg_lo:[0,1] neg_hi:[0,1]
	v_pk_add_f32 v[66:67], v[66:67], v[8:9] neg_lo:[0,1] neg_hi:[0,1]
	s_wait_dscnt 0x0
	v_pk_mul_f32 v[8:9], v[4:5], v[2:3] op_sel:[0,1]
	s_delay_alu instid0(VALU_DEP_1) | instskip(SKIP_2) | instid1(VALU_DEP_2)
	v_pk_fma_f32 v[10:11], v[4:5], v[0:1], v[8:9] op_sel:[0,0,1] op_sel_hi:[1,1,0] neg_lo:[0,0,1] neg_hi:[0,0,1]
	v_pk_fma_f32 v[4:5], v[4:5], v[0:1], v[8:9] op_sel:[0,0,1] op_sel_hi:[1,0,0]
	v_dual_mul_f32 v8, v7, v3 :: v_dual_mov_b32 v4, v7
	v_dual_mov_b32 v11, v5 :: v_dual_mov_b32 v5, v6
	s_delay_alu instid0(VALU_DEP_2) | instskip(SKIP_1) | instid1(VALU_DEP_3)
	v_pk_fma_f32 v[8:9], v[6:7], v[40:41], v[8:9] op_sel_hi:[1,1,0] neg_lo:[0,0,1] neg_hi:[0,0,1]
	v_mul_f32_e32 v6, v7, v0
	v_pk_add_f32 v[62:63], v[62:63], v[10:11] neg_lo:[0,1] neg_hi:[0,1]
	s_delay_alu instid0(VALU_DEP_2) | instskip(NEXT) | instid1(VALU_DEP_1)
	v_pk_fma_f32 v[4:5], v[4:5], v[40:41], v[6:7] op_sel_hi:[1,1,0]
	v_mov_b32_e32 v9, v5
	ds_load_2addr_b64 v[4:7], v26 offset0:19 offset1:20
	v_pk_add_f32 v[64:65], v[64:65], v[8:9] neg_lo:[0,1] neg_hi:[0,1]
	s_wait_dscnt 0x0
	v_pk_mul_f32 v[8:9], v[4:5], v[2:3] op_sel:[0,1]
	s_delay_alu instid0(VALU_DEP_1) | instskip(SKIP_1) | instid1(VALU_DEP_1)
	v_pk_fma_f32 v[10:11], v[4:5], v[0:1], v[8:9] op_sel:[0,0,1] op_sel_hi:[1,1,0] neg_lo:[0,0,1] neg_hi:[0,0,1]
	v_pk_fma_f32 v[4:5], v[4:5], v[0:1], v[8:9] op_sel:[0,0,1] op_sel_hi:[1,0,0]
	v_mov_b32_e32 v11, v5
	v_pk_mul_f32 v[4:5], v[6:7], v[2:3] op_sel:[0,1]
	s_delay_alu instid0(VALU_DEP_1) | instskip(SKIP_1) | instid1(VALU_DEP_1)
	v_pk_fma_f32 v[8:9], v[6:7], v[0:1], v[4:5] op_sel:[0,0,1] op_sel_hi:[1,1,0] neg_lo:[0,0,1] neg_hi:[0,0,1]
	v_pk_fma_f32 v[4:5], v[6:7], v[0:1], v[4:5] op_sel:[0,0,1] op_sel_hi:[1,0,0]
	v_mov_b32_e32 v9, v5
	ds_load_2addr_b64 v[4:7], v26 offset0:21 offset1:22
	v_pk_add_f32 v[60:61], v[60:61], v[10:11] neg_lo:[0,1] neg_hi:[0,1]
	v_pk_add_f32 v[90:91], v[90:91], v[8:9] neg_lo:[0,1] neg_hi:[0,1]
	s_wait_dscnt 0x0
	v_pk_mul_f32 v[8:9], v[4:5], v[2:3] op_sel:[0,1]
	s_delay_alu instid0(VALU_DEP_1) | instskip(SKIP_1) | instid1(VALU_DEP_1)
	v_pk_fma_f32 v[10:11], v[4:5], v[0:1], v[8:9] op_sel:[0,0,1] op_sel_hi:[1,1,0] neg_lo:[0,0,1] neg_hi:[0,0,1]
	v_pk_fma_f32 v[4:5], v[4:5], v[0:1], v[8:9] op_sel:[0,0,1] op_sel_hi:[1,0,0]
	v_mov_b32_e32 v11, v5
	v_pk_mul_f32 v[4:5], v[6:7], v[2:3] op_sel:[0,1]
	s_delay_alu instid0(VALU_DEP_1) | instskip(SKIP_1) | instid1(VALU_DEP_1)
	v_pk_fma_f32 v[8:9], v[6:7], v[0:1], v[4:5] op_sel:[0,0,1] op_sel_hi:[1,1,0] neg_lo:[0,0,1] neg_hi:[0,0,1]
	v_pk_fma_f32 v[4:5], v[6:7], v[0:1], v[4:5] op_sel:[0,0,1] op_sel_hi:[1,0,0]
	v_mov_b32_e32 v9, v5
	ds_load_2addr_b64 v[4:7], v26 offset0:23 offset1:24
	v_pk_add_f32 v[86:87], v[86:87], v[10:11] neg_lo:[0,1] neg_hi:[0,1]
	v_pk_add_f32 v[88:89], v[88:89], v[8:9] neg_lo:[0,1] neg_hi:[0,1]
	s_wait_dscnt 0x0
	v_dual_mul_f32 v8, v5, v3 :: v_dual_mul_f32 v10, v5, v0
	s_delay_alu instid0(VALU_DEP_1) | instskip(NEXT) | instid1(VALU_DEP_2)
	v_pk_fma_f32 v[8:9], v[4:5], v[40:41], v[8:9] op_sel_hi:[1,1,0] neg_lo:[0,0,1] neg_hi:[0,0,1]
	v_pk_fma_f32 v[4:5], v[4:5], v[40:41], v[10:11] op_sel:[1,0,0] op_sel_hi:[0,1,0]
	s_delay_alu instid0(VALU_DEP_1) | instskip(SKIP_1) | instid1(VALU_DEP_2)
	v_mov_b32_e32 v9, v5
	v_pk_mul_f32 v[4:5], v[6:7], v[2:3] op_sel:[0,1]
	v_pk_add_f32 v[84:85], v[84:85], v[8:9] neg_lo:[0,1] neg_hi:[0,1]
	s_delay_alu instid0(VALU_DEP_2) | instskip(SKIP_1) | instid1(VALU_DEP_1)
	v_pk_fma_f32 v[8:9], v[6:7], v[0:1], v[4:5] op_sel:[0,0,1] op_sel_hi:[1,1,0] neg_lo:[0,0,1] neg_hi:[0,0,1]
	v_pk_fma_f32 v[4:5], v[6:7], v[0:1], v[4:5] op_sel:[0,0,1] op_sel_hi:[1,0,0]
	v_mov_b32_e32 v9, v5
	ds_load_2addr_b64 v[4:7], v26 offset0:25 offset1:26
	v_pk_add_f32 v[112:113], v[112:113], v[8:9] neg_lo:[0,1] neg_hi:[0,1]
	s_wait_dscnt 0x0
	v_pk_mul_f32 v[8:9], v[4:5], v[2:3] op_sel:[0,1]
	s_delay_alu instid0(VALU_DEP_1) | instskip(SKIP_1) | instid1(VALU_DEP_1)
	v_pk_fma_f32 v[10:11], v[4:5], v[0:1], v[8:9] op_sel:[0,0,1] op_sel_hi:[1,1,0] neg_lo:[0,0,1] neg_hi:[0,0,1]
	v_pk_fma_f32 v[4:5], v[4:5], v[0:1], v[8:9] op_sel:[0,0,1] op_sel_hi:[1,0,0]
	v_mov_b32_e32 v11, v5
	v_pk_mul_f32 v[4:5], v[6:7], v[2:3] op_sel:[0,1]
	s_delay_alu instid0(VALU_DEP_2) | instskip(NEXT) | instid1(VALU_DEP_2)
	v_pk_add_f32 v[108:109], v[108:109], v[10:11] neg_lo:[0,1] neg_hi:[0,1]
	v_pk_fma_f32 v[8:9], v[6:7], v[0:1], v[4:5] op_sel:[0,0,1] op_sel_hi:[1,1,0] neg_lo:[0,0,1] neg_hi:[0,0,1]
	v_pk_fma_f32 v[4:5], v[6:7], v[0:1], v[4:5] op_sel:[0,0,1] op_sel_hi:[1,0,0]
	s_delay_alu instid0(VALU_DEP_1) | instskip(SKIP_4) | instid1(VALU_DEP_1)
	v_mov_b32_e32 v9, v5
	ds_load_2addr_b64 v[4:7], v26 offset0:27 offset1:28
	v_pk_add_f32 v[110:111], v[110:111], v[8:9] neg_lo:[0,1] neg_hi:[0,1]
	s_wait_dscnt 0x0
	v_pk_mul_f32 v[8:9], v[4:5], v[2:3] op_sel:[0,1]
	v_pk_fma_f32 v[10:11], v[4:5], v[0:1], v[8:9] op_sel:[0,0,1] op_sel_hi:[1,1,0] neg_lo:[0,0,1] neg_hi:[0,0,1]
	v_pk_fma_f32 v[4:5], v[4:5], v[0:1], v[8:9] op_sel:[0,0,1] op_sel_hi:[1,0,0]
	v_dual_mul_f32 v8, v7, v3 :: v_dual_mov_b32 v4, v7
	s_delay_alu instid0(VALU_DEP_2) | instskip(NEXT) | instid1(VALU_DEP_2)
	v_dual_mov_b32 v11, v5 :: v_dual_mov_b32 v5, v6
	v_pk_fma_f32 v[8:9], v[6:7], v[40:41], v[8:9] op_sel_hi:[1,1,0] neg_lo:[0,0,1] neg_hi:[0,0,1]
	v_mul_f32_e32 v6, v7, v0
	s_delay_alu instid0(VALU_DEP_3) | instskip(NEXT) | instid1(VALU_DEP_2)
	v_pk_add_f32 v[106:107], v[106:107], v[10:11] neg_lo:[0,1] neg_hi:[0,1]
	v_pk_fma_f32 v[4:5], v[4:5], v[40:41], v[6:7] op_sel_hi:[1,1,0]
	s_delay_alu instid0(VALU_DEP_1) | instskip(SKIP_4) | instid1(VALU_DEP_1)
	v_mov_b32_e32 v9, v5
	ds_load_2addr_b64 v[4:7], v26 offset0:29 offset1:30
	v_pk_add_f32 v[128:129], v[128:129], v[8:9] neg_lo:[0,1] neg_hi:[0,1]
	s_wait_dscnt 0x0
	v_pk_mul_f32 v[8:9], v[4:5], v[2:3] op_sel:[0,1]
	v_pk_fma_f32 v[10:11], v[4:5], v[0:1], v[8:9] op_sel:[0,0,1] op_sel_hi:[1,1,0] neg_lo:[0,0,1] neg_hi:[0,0,1]
	v_pk_fma_f32 v[4:5], v[4:5], v[0:1], v[8:9] op_sel:[0,0,1] op_sel_hi:[1,0,0]
	s_delay_alu instid0(VALU_DEP_1) | instskip(SKIP_1) | instid1(VALU_DEP_1)
	v_mov_b32_e32 v11, v5
	v_pk_mul_f32 v[4:5], v[6:7], v[2:3] op_sel:[0,1]
	v_pk_fma_f32 v[8:9], v[6:7], v[0:1], v[4:5] op_sel:[0,0,1] op_sel_hi:[1,1,0] neg_lo:[0,0,1] neg_hi:[0,0,1]
	v_pk_fma_f32 v[4:5], v[6:7], v[0:1], v[4:5] op_sel:[0,0,1] op_sel_hi:[1,0,0]
	s_delay_alu instid0(VALU_DEP_1)
	v_mov_b32_e32 v9, v5
	ds_load_2addr_b64 v[4:7], v26 offset0:31 offset1:32
	v_pk_add_f32 v[124:125], v[124:125], v[10:11] neg_lo:[0,1] neg_hi:[0,1]
	v_pk_add_f32 v[126:127], v[126:127], v[8:9] neg_lo:[0,1] neg_hi:[0,1]
	s_wait_dscnt 0x0
	v_pk_mul_f32 v[8:9], v[4:5], v[2:3] op_sel:[0,1]
	s_delay_alu instid0(VALU_DEP_1) | instskip(SKIP_1) | instid1(VALU_DEP_1)
	v_pk_fma_f32 v[10:11], v[4:5], v[0:1], v[8:9] op_sel:[0,0,1] op_sel_hi:[1,1,0] neg_lo:[0,0,1] neg_hi:[0,0,1]
	v_pk_fma_f32 v[4:5], v[4:5], v[0:1], v[8:9] op_sel:[0,0,1] op_sel_hi:[1,0,0]
	v_mov_b32_e32 v11, v5
	v_pk_mul_f32 v[4:5], v[6:7], v[2:3] op_sel:[0,1]
	s_delay_alu instid0(VALU_DEP_1) | instskip(SKIP_1) | instid1(VALU_DEP_1)
	v_pk_fma_f32 v[8:9], v[6:7], v[0:1], v[4:5] op_sel:[0,0,1] op_sel_hi:[1,1,0] neg_lo:[0,0,1] neg_hi:[0,0,1]
	v_pk_fma_f32 v[4:5], v[6:7], v[0:1], v[4:5] op_sel:[0,0,1] op_sel_hi:[1,0,0]
	v_mov_b32_e32 v9, v5
	ds_load_2addr_b64 v[4:7], v26 offset0:33 offset1:34
	v_pk_add_f32 v[122:123], v[122:123], v[10:11] neg_lo:[0,1] neg_hi:[0,1]
	v_pk_add_f32 v[144:145], v[144:145], v[8:9] neg_lo:[0,1] neg_hi:[0,1]
	s_wait_dscnt 0x0
	v_dual_mul_f32 v8, v5, v3 :: v_dual_mul_f32 v10, v5, v0
	s_delay_alu instid0(VALU_DEP_1) | instskip(NEXT) | instid1(VALU_DEP_2)
	v_pk_fma_f32 v[8:9], v[4:5], v[40:41], v[8:9] op_sel_hi:[1,1,0] neg_lo:[0,0,1] neg_hi:[0,0,1]
	v_pk_fma_f32 v[4:5], v[4:5], v[40:41], v[10:11] op_sel:[1,0,0] op_sel_hi:[0,1,0]
	s_delay_alu instid0(VALU_DEP_1) | instskip(SKIP_1) | instid1(VALU_DEP_2)
	v_mov_b32_e32 v9, v5
	v_pk_mul_f32 v[4:5], v[6:7], v[2:3] op_sel:[0,1]
	v_pk_add_f32 v[140:141], v[140:141], v[8:9] neg_lo:[0,1] neg_hi:[0,1]
	s_delay_alu instid0(VALU_DEP_2) | instskip(SKIP_1) | instid1(VALU_DEP_1)
	v_pk_fma_f32 v[8:9], v[6:7], v[0:1], v[4:5] op_sel:[0,0,1] op_sel_hi:[1,1,0] neg_lo:[0,0,1] neg_hi:[0,0,1]
	v_pk_fma_f32 v[4:5], v[6:7], v[0:1], v[4:5] op_sel:[0,0,1] op_sel_hi:[1,0,0]
	v_mov_b32_e32 v9, v5
	ds_load_2addr_b64 v[4:7], v26 offset0:35 offset1:36
	v_pk_add_f32 v[142:143], v[142:143], v[8:9] neg_lo:[0,1] neg_hi:[0,1]
	s_wait_dscnt 0x0
	v_pk_mul_f32 v[8:9], v[4:5], v[2:3] op_sel:[0,1]
	s_delay_alu instid0(VALU_DEP_1) | instskip(SKIP_1) | instid1(VALU_DEP_1)
	v_pk_fma_f32 v[10:11], v[4:5], v[0:1], v[8:9] op_sel:[0,0,1] op_sel_hi:[1,1,0] neg_lo:[0,0,1] neg_hi:[0,0,1]
	v_pk_fma_f32 v[4:5], v[4:5], v[0:1], v[8:9] op_sel:[0,0,1] op_sel_hi:[1,0,0]
	v_mov_b32_e32 v11, v5
	v_pk_mul_f32 v[4:5], v[6:7], v[2:3] op_sel:[0,1]
	s_delay_alu instid0(VALU_DEP_2) | instskip(NEXT) | instid1(VALU_DEP_2)
	v_pk_add_f32 v[138:139], v[138:139], v[10:11] neg_lo:[0,1] neg_hi:[0,1]
	v_pk_fma_f32 v[8:9], v[6:7], v[0:1], v[4:5] op_sel:[0,0,1] op_sel_hi:[1,1,0] neg_lo:[0,0,1] neg_hi:[0,0,1]
	v_pk_fma_f32 v[4:5], v[6:7], v[0:1], v[4:5] op_sel:[0,0,1] op_sel_hi:[1,0,0]
	s_delay_alu instid0(VALU_DEP_1) | instskip(SKIP_4) | instid1(VALU_DEP_1)
	v_mov_b32_e32 v9, v5
	ds_load_2addr_b64 v[4:7], v26 offset0:37 offset1:38
	v_pk_add_f32 v[162:163], v[162:163], v[8:9] neg_lo:[0,1] neg_hi:[0,1]
	s_wait_dscnt 0x0
	v_pk_mul_f32 v[8:9], v[4:5], v[2:3] op_sel:[0,1]
	v_pk_fma_f32 v[10:11], v[4:5], v[0:1], v[8:9] op_sel:[0,0,1] op_sel_hi:[1,1,0] neg_lo:[0,0,1] neg_hi:[0,0,1]
	v_pk_fma_f32 v[4:5], v[4:5], v[0:1], v[8:9] op_sel:[0,0,1] op_sel_hi:[1,0,0]
	v_dual_mul_f32 v8, v7, v3 :: v_dual_mov_b32 v4, v7
	s_delay_alu instid0(VALU_DEP_2) | instskip(NEXT) | instid1(VALU_DEP_2)
	v_dual_mov_b32 v11, v5 :: v_dual_mov_b32 v5, v6
	v_pk_fma_f32 v[8:9], v[6:7], v[40:41], v[8:9] op_sel_hi:[1,1,0] neg_lo:[0,0,1] neg_hi:[0,0,1]
	v_mul_f32_e32 v6, v7, v0
	s_delay_alu instid0(VALU_DEP_3) | instskip(NEXT) | instid1(VALU_DEP_2)
	v_pk_add_f32 v[158:159], v[158:159], v[10:11] neg_lo:[0,1] neg_hi:[0,1]
	v_pk_fma_f32 v[4:5], v[4:5], v[40:41], v[6:7] op_sel_hi:[1,1,0]
	s_delay_alu instid0(VALU_DEP_1) | instskip(SKIP_4) | instid1(VALU_DEP_1)
	v_mov_b32_e32 v9, v5
	ds_load_2addr_b64 v[4:7], v26 offset0:39 offset1:40
	v_pk_add_f32 v[160:161], v[160:161], v[8:9] neg_lo:[0,1] neg_hi:[0,1]
	s_wait_dscnt 0x0
	v_pk_mul_f32 v[8:9], v[4:5], v[2:3] op_sel:[0,1]
	v_pk_fma_f32 v[10:11], v[4:5], v[0:1], v[8:9] op_sel:[0,0,1] op_sel_hi:[1,1,0] neg_lo:[0,0,1] neg_hi:[0,0,1]
	v_pk_fma_f32 v[4:5], v[4:5], v[0:1], v[8:9] op_sel:[0,0,1] op_sel_hi:[1,0,0]
	s_delay_alu instid0(VALU_DEP_1) | instskip(SKIP_1) | instid1(VALU_DEP_1)
	v_mov_b32_e32 v11, v5
	v_pk_mul_f32 v[4:5], v[6:7], v[2:3] op_sel:[0,1]
	v_pk_fma_f32 v[8:9], v[6:7], v[0:1], v[4:5] op_sel:[0,0,1] op_sel_hi:[1,1,0] neg_lo:[0,0,1] neg_hi:[0,0,1]
	v_pk_fma_f32 v[4:5], v[6:7], v[0:1], v[4:5] op_sel:[0,0,1] op_sel_hi:[1,0,0]
	s_delay_alu instid0(VALU_DEP_1)
	v_mov_b32_e32 v9, v5
	ds_load_2addr_b64 v[4:7], v26 offset0:41 offset1:42
	v_pk_add_f32 v[156:157], v[156:157], v[10:11] neg_lo:[0,1] neg_hi:[0,1]
	v_pk_add_f32 v[178:179], v[178:179], v[8:9] neg_lo:[0,1] neg_hi:[0,1]
	s_wait_dscnt 0x0
	v_pk_mul_f32 v[8:9], v[4:5], v[2:3] op_sel:[0,1]
	s_delay_alu instid0(VALU_DEP_1) | instskip(SKIP_1) | instid1(VALU_DEP_1)
	v_pk_fma_f32 v[10:11], v[4:5], v[0:1], v[8:9] op_sel:[0,0,1] op_sel_hi:[1,1,0] neg_lo:[0,0,1] neg_hi:[0,0,1]
	v_pk_fma_f32 v[4:5], v[4:5], v[0:1], v[8:9] op_sel:[0,0,1] op_sel_hi:[1,0,0]
	v_mov_b32_e32 v11, v5
	v_pk_mul_f32 v[4:5], v[6:7], v[2:3] op_sel:[0,1]
	s_delay_alu instid0(VALU_DEP_1) | instskip(SKIP_1) | instid1(VALU_DEP_1)
	v_pk_fma_f32 v[8:9], v[6:7], v[0:1], v[4:5] op_sel:[0,0,1] op_sel_hi:[1,1,0] neg_lo:[0,0,1] neg_hi:[0,0,1]
	v_pk_fma_f32 v[4:5], v[6:7], v[0:1], v[4:5] op_sel:[0,0,1] op_sel_hi:[1,0,0]
	v_mov_b32_e32 v9, v5
	ds_load_2addr_b64 v[4:7], v26 offset0:43 offset1:44
	v_pk_add_f32 v[174:175], v[174:175], v[10:11] neg_lo:[0,1] neg_hi:[0,1]
	v_pk_add_f32 v[176:177], v[176:177], v[8:9] neg_lo:[0,1] neg_hi:[0,1]
	s_wait_dscnt 0x0
	v_dual_mul_f32 v8, v5, v3 :: v_dual_mul_f32 v10, v5, v0
	s_delay_alu instid0(VALU_DEP_1) | instskip(NEXT) | instid1(VALU_DEP_2)
	v_pk_fma_f32 v[8:9], v[4:5], v[40:41], v[8:9] op_sel_hi:[1,1,0] neg_lo:[0,0,1] neg_hi:[0,0,1]
	v_pk_fma_f32 v[4:5], v[4:5], v[40:41], v[10:11] op_sel:[1,0,0] op_sel_hi:[0,1,0]
	s_delay_alu instid0(VALU_DEP_1) | instskip(SKIP_1) | instid1(VALU_DEP_2)
	v_mov_b32_e32 v9, v5
	v_pk_mul_f32 v[4:5], v[6:7], v[2:3] op_sel:[0,1]
	v_pk_add_f32 v[172:173], v[172:173], v[8:9] neg_lo:[0,1] neg_hi:[0,1]
	s_delay_alu instid0(VALU_DEP_2) | instskip(SKIP_1) | instid1(VALU_DEP_1)
	v_pk_fma_f32 v[8:9], v[6:7], v[0:1], v[4:5] op_sel:[0,0,1] op_sel_hi:[1,1,0] neg_lo:[0,0,1] neg_hi:[0,0,1]
	v_pk_fma_f32 v[4:5], v[6:7], v[0:1], v[4:5] op_sel:[0,0,1] op_sel_hi:[1,0,0]
	v_mov_b32_e32 v9, v5
	ds_load_b64 v[4:5], v26 offset:360
	v_pk_add_f32 v[180:181], v[180:181], v[8:9] neg_lo:[0,1] neg_hi:[0,1]
	s_wait_dscnt 0x0
	v_pk_mul_f32 v[2:3], v[4:5], v[2:3] op_sel:[0,1]
	s_delay_alu instid0(VALU_DEP_1) | instskip(SKIP_1) | instid1(VALU_DEP_1)
	v_pk_fma_f32 v[6:7], v[4:5], v[0:1], v[2:3] op_sel:[0,0,1] op_sel_hi:[1,1,0] neg_lo:[0,0,1] neg_hi:[0,0,1]
	v_pk_fma_f32 v[0:1], v[4:5], v[0:1], v[2:3] op_sel:[0,0,1] op_sel_hi:[1,0,0]
	v_mov_b32_e32 v7, v1
	s_delay_alu instid0(VALU_DEP_1)
	v_pk_add_f32 v[184:185], v[184:185], v[6:7] neg_lo:[0,1] neg_hi:[0,1]
.LBB91_136:
	s_or_b32 exec_lo, exec_lo, s1
	s_delay_alu instid0(SALU_CYCLE_1)
	s_mov_b32 s2, exec_lo
	s_wait_dscnt 0x0
	s_barrier_signal -1
	s_barrier_wait -1
	v_cmpx_eq_u32_e32 15, v34
	s_cbranch_execz .LBB91_143
; %bb.137:
	v_dual_mov_b32 v0, v66 :: v_dual_mov_b32 v1, v67
	v_dual_mov_b32 v2, v62 :: v_dual_mov_b32 v3, v63
	;; [unrolled: 1-line block ×8, first 2 shown]
	ds_store_b64 v35, v[36:37]
	ds_store_2addr_b64 v26, v[0:1], v[2:3] offset0:16 offset1:17
	ds_store_2addr_b64 v26, v[4:5], v[6:7] offset0:18 offset1:19
	ds_store_2addr_b64 v26, v[8:9], v[10:11] offset0:20 offset1:21
	ds_store_2addr_b64 v26, v[12:13], v[14:15] offset0:22 offset1:23
	v_dual_mov_b32 v0, v112 :: v_dual_mov_b32 v1, v113
	v_dual_mov_b32 v2, v108 :: v_dual_mov_b32 v3, v109
	;; [unrolled: 1-line block ×12, first 2 shown]
	ds_store_2addr_b64 v26, v[0:1], v[2:3] offset0:24 offset1:25
	ds_store_2addr_b64 v26, v[4:5], v[6:7] offset0:26 offset1:27
	;; [unrolled: 1-line block ×6, first 2 shown]
	v_dual_mov_b32 v0, v162 :: v_dual_mov_b32 v1, v163
	v_dual_mov_b32 v2, v158 :: v_dual_mov_b32 v3, v159
	;; [unrolled: 1-line block ×9, first 2 shown]
	ds_store_2addr_b64 v26, v[0:1], v[2:3] offset0:36 offset1:37
	ds_store_2addr_b64 v26, v[4:5], v[6:7] offset0:38 offset1:39
	;; [unrolled: 1-line block ×5, first 2 shown]
	ds_load_b64 v[0:1], v35
	s_wait_dscnt 0x0
	v_cmp_neq_f32_e32 vcc_lo, 0, v0
	v_cmp_neq_f32_e64 s1, 0, v1
	s_or_b32 s1, vcc_lo, s1
	s_delay_alu instid0(SALU_CYCLE_1)
	s_and_b32 exec_lo, exec_lo, s1
	s_cbranch_execz .LBB91_143
; %bb.138:
	v_cmp_ngt_f32_e64 s1, |v0|, |v1|
                                        ; implicit-def: $vgpr2_vgpr3
	s_and_saveexec_b32 s4, s1
	s_delay_alu instid0(SALU_CYCLE_1)
	s_xor_b32 s1, exec_lo, s4
	s_cbranch_execz .LBB91_140
; %bb.139:
	v_div_scale_f32 v2, null, v1, v1, v0
	v_div_scale_f32 v5, vcc_lo, v0, v1, v0
	s_delay_alu instid0(VALU_DEP_2) | instskip(SKIP_1) | instid1(TRANS32_DEP_1)
	v_rcp_f32_e32 v3, v2
	v_nop
	v_fma_f32 v4, -v2, v3, 1.0
	s_delay_alu instid0(VALU_DEP_1) | instskip(NEXT) | instid1(VALU_DEP_1)
	v_fmac_f32_e32 v3, v4, v3
	v_mul_f32_e32 v4, v5, v3
	s_delay_alu instid0(VALU_DEP_1) | instskip(NEXT) | instid1(VALU_DEP_1)
	v_fma_f32 v6, -v2, v4, v5
	v_fmac_f32_e32 v4, v6, v3
	s_delay_alu instid0(VALU_DEP_1) | instskip(NEXT) | instid1(VALU_DEP_1)
	v_fma_f32 v2, -v2, v4, v5
	v_div_fmas_f32 v2, v2, v3, v4
	s_delay_alu instid0(VALU_DEP_1) | instskip(NEXT) | instid1(VALU_DEP_1)
	v_div_fixup_f32 v2, v2, v1, v0
	v_fmac_f32_e32 v1, v0, v2
	s_delay_alu instid0(VALU_DEP_1) | instskip(SKIP_1) | instid1(VALU_DEP_2)
	v_div_scale_f32 v0, null, v1, v1, 1.0
	v_div_scale_f32 v5, vcc_lo, 1.0, v1, 1.0
	v_rcp_f32_e32 v3, v0
	v_nop
	s_delay_alu instid0(TRANS32_DEP_1) | instskip(NEXT) | instid1(VALU_DEP_1)
	v_fma_f32 v4, -v0, v3, 1.0
	v_fmac_f32_e32 v3, v4, v3
	s_delay_alu instid0(VALU_DEP_1) | instskip(NEXT) | instid1(VALU_DEP_1)
	v_mul_f32_e32 v4, v5, v3
	v_fma_f32 v6, -v0, v4, v5
	s_delay_alu instid0(VALU_DEP_1) | instskip(NEXT) | instid1(VALU_DEP_1)
	v_fmac_f32_e32 v4, v6, v3
	v_fma_f32 v0, -v0, v4, v5
	s_delay_alu instid0(VALU_DEP_1) | instskip(NEXT) | instid1(VALU_DEP_1)
	v_div_fmas_f32 v0, v0, v3, v4
	v_div_fixup_f32 v0, v0, v1, 1.0
	s_delay_alu instid0(VALU_DEP_1)
	v_mul_f32_e32 v2, v2, v0
	v_xor_b32_e32 v3, 0x80000000, v0
                                        ; implicit-def: $vgpr0_vgpr1
.LBB91_140:
	s_and_not1_saveexec_b32 s1, s1
	s_cbranch_execz .LBB91_142
; %bb.141:
	v_div_scale_f32 v2, null, v0, v0, v1
	v_div_scale_f32 v5, vcc_lo, v1, v0, v1
	s_delay_alu instid0(VALU_DEP_2) | instskip(SKIP_1) | instid1(TRANS32_DEP_1)
	v_rcp_f32_e32 v3, v2
	v_nop
	v_fma_f32 v4, -v2, v3, 1.0
	s_delay_alu instid0(VALU_DEP_1) | instskip(NEXT) | instid1(VALU_DEP_1)
	v_fmac_f32_e32 v3, v4, v3
	v_mul_f32_e32 v4, v5, v3
	s_delay_alu instid0(VALU_DEP_1) | instskip(NEXT) | instid1(VALU_DEP_1)
	v_fma_f32 v6, -v2, v4, v5
	v_fmac_f32_e32 v4, v6, v3
	s_delay_alu instid0(VALU_DEP_1) | instskip(NEXT) | instid1(VALU_DEP_1)
	v_fma_f32 v2, -v2, v4, v5
	v_div_fmas_f32 v2, v2, v3, v4
	s_delay_alu instid0(VALU_DEP_1) | instskip(NEXT) | instid1(VALU_DEP_1)
	v_div_fixup_f32 v3, v2, v0, v1
	v_fmac_f32_e32 v0, v1, v3
	s_delay_alu instid0(VALU_DEP_1) | instskip(NEXT) | instid1(VALU_DEP_1)
	v_div_scale_f32 v1, null, v0, v0, 1.0
	v_rcp_f32_e32 v2, v1
	v_nop
	s_delay_alu instid0(TRANS32_DEP_1) | instskip(NEXT) | instid1(VALU_DEP_1)
	v_fma_f32 v4, -v1, v2, 1.0
	v_fmac_f32_e32 v2, v4, v2
	v_div_scale_f32 v4, vcc_lo, 1.0, v0, 1.0
	s_delay_alu instid0(VALU_DEP_1) | instskip(NEXT) | instid1(VALU_DEP_1)
	v_mul_f32_e32 v5, v4, v2
	v_fma_f32 v6, -v1, v5, v4
	s_delay_alu instid0(VALU_DEP_1) | instskip(NEXT) | instid1(VALU_DEP_1)
	v_fmac_f32_e32 v5, v6, v2
	v_fma_f32 v1, -v1, v5, v4
	s_delay_alu instid0(VALU_DEP_1) | instskip(NEXT) | instid1(VALU_DEP_1)
	v_div_fmas_f32 v1, v1, v2, v5
	v_div_fixup_f32 v2, v1, v0, 1.0
	s_delay_alu instid0(VALU_DEP_1)
	v_mul_f32_e64 v3, v3, -v2
.LBB91_142:
	s_or_b32 exec_lo, exec_lo, s1
	ds_store_b64 v35, v[2:3]
.LBB91_143:
	s_or_b32 exec_lo, exec_lo, s2
	s_wait_dscnt 0x0
	s_barrier_signal -1
	s_barrier_wait -1
	ds_load_b64 v[216:217], v35
	s_mov_b32 s1, exec_lo
	v_cmpx_lt_u32_e32 15, v34
	s_cbranch_execz .LBB91_145
; %bb.144:
	ds_load_2addr_b64 v[4:7], v26 offset0:16 offset1:17
	s_wait_dscnt 0x1
	v_pk_mul_f32 v[2:3], v[216:217], v[36:37] op_sel:[1,1] op_sel_hi:[0,1]
	s_delay_alu instid0(VALU_DEP_1) | instskip(SKIP_1) | instid1(VALU_DEP_1)
	v_pk_fma_f32 v[0:1], v[216:217], v[36:37], v[2:3] op_sel_hi:[1,0,1] neg_lo:[0,0,1] neg_hi:[0,0,1]
	v_pk_fma_f32 v[2:3], v[216:217], v[36:37], v[2:3] op_sel_hi:[1,0,1]
	v_dual_mov_b32 v36, v0 :: v_dual_mov_b32 v37, v3
	s_wait_dscnt 0x0
	s_delay_alu instid0(VALU_DEP_2) | instskip(NEXT) | instid1(VALU_DEP_1)
	v_pk_mul_f32 v[8:9], v[4:5], v[2:3] op_sel:[0,1]
	v_pk_fma_f32 v[10:11], v[4:5], v[0:1], v[8:9] op_sel:[0,0,1] op_sel_hi:[1,1,0] neg_lo:[0,0,1] neg_hi:[0,0,1]
	v_pk_fma_f32 v[4:5], v[4:5], v[0:1], v[8:9] op_sel:[0,0,1] op_sel_hi:[1,0,0]
	s_delay_alu instid0(VALU_DEP_1) | instskip(SKIP_1) | instid1(VALU_DEP_1)
	v_mov_b32_e32 v11, v5
	v_pk_mul_f32 v[4:5], v[6:7], v[2:3] op_sel:[0,1]
	v_pk_fma_f32 v[8:9], v[6:7], v[0:1], v[4:5] op_sel:[0,0,1] op_sel_hi:[1,1,0] neg_lo:[0,0,1] neg_hi:[0,0,1]
	v_pk_fma_f32 v[4:5], v[6:7], v[0:1], v[4:5] op_sel:[0,0,1] op_sel_hi:[1,0,0]
	s_delay_alu instid0(VALU_DEP_1)
	v_mov_b32_e32 v9, v5
	ds_load_2addr_b64 v[4:7], v26 offset0:18 offset1:19
	v_pk_add_f32 v[66:67], v[66:67], v[10:11] neg_lo:[0,1] neg_hi:[0,1]
	v_pk_add_f32 v[62:63], v[62:63], v[8:9] neg_lo:[0,1] neg_hi:[0,1]
	s_wait_dscnt 0x0
	v_pk_mul_f32 v[8:9], v[4:5], v[2:3] op_sel:[0,1]
	s_delay_alu instid0(VALU_DEP_1) | instskip(SKIP_2) | instid1(VALU_DEP_2)
	v_pk_fma_f32 v[10:11], v[4:5], v[0:1], v[8:9] op_sel:[0,0,1] op_sel_hi:[1,1,0] neg_lo:[0,0,1] neg_hi:[0,0,1]
	v_pk_fma_f32 v[4:5], v[4:5], v[0:1], v[8:9] op_sel:[0,0,1] op_sel_hi:[1,0,0]
	v_dual_mul_f32 v8, v7, v3 :: v_dual_mov_b32 v4, v7
	v_dual_mov_b32 v11, v5 :: v_dual_mov_b32 v5, v6
	s_delay_alu instid0(VALU_DEP_2) | instskip(SKIP_1) | instid1(VALU_DEP_3)
	v_pk_fma_f32 v[8:9], v[6:7], v[36:37], v[8:9] op_sel_hi:[1,1,0] neg_lo:[0,0,1] neg_hi:[0,0,1]
	v_mul_f32_e32 v6, v7, v0
	v_pk_add_f32 v[64:65], v[64:65], v[10:11] neg_lo:[0,1] neg_hi:[0,1]
	s_delay_alu instid0(VALU_DEP_2) | instskip(NEXT) | instid1(VALU_DEP_1)
	v_pk_fma_f32 v[4:5], v[4:5], v[36:37], v[6:7] op_sel_hi:[1,1,0]
	v_mov_b32_e32 v9, v5
	ds_load_2addr_b64 v[4:7], v26 offset0:20 offset1:21
	v_pk_add_f32 v[60:61], v[60:61], v[8:9] neg_lo:[0,1] neg_hi:[0,1]
	s_wait_dscnt 0x0
	v_pk_mul_f32 v[8:9], v[4:5], v[2:3] op_sel:[0,1]
	s_delay_alu instid0(VALU_DEP_1) | instskip(SKIP_1) | instid1(VALU_DEP_1)
	v_pk_fma_f32 v[10:11], v[4:5], v[0:1], v[8:9] op_sel:[0,0,1] op_sel_hi:[1,1,0] neg_lo:[0,0,1] neg_hi:[0,0,1]
	v_pk_fma_f32 v[4:5], v[4:5], v[0:1], v[8:9] op_sel:[0,0,1] op_sel_hi:[1,0,0]
	v_mov_b32_e32 v11, v5
	v_pk_mul_f32 v[4:5], v[6:7], v[2:3] op_sel:[0,1]
	s_delay_alu instid0(VALU_DEP_1) | instskip(SKIP_1) | instid1(VALU_DEP_1)
	v_pk_fma_f32 v[8:9], v[6:7], v[0:1], v[4:5] op_sel:[0,0,1] op_sel_hi:[1,1,0] neg_lo:[0,0,1] neg_hi:[0,0,1]
	v_pk_fma_f32 v[4:5], v[6:7], v[0:1], v[4:5] op_sel:[0,0,1] op_sel_hi:[1,0,0]
	v_mov_b32_e32 v9, v5
	ds_load_2addr_b64 v[4:7], v26 offset0:22 offset1:23
	v_pk_add_f32 v[90:91], v[90:91], v[10:11] neg_lo:[0,1] neg_hi:[0,1]
	v_pk_add_f32 v[86:87], v[86:87], v[8:9] neg_lo:[0,1] neg_hi:[0,1]
	s_wait_dscnt 0x0
	v_pk_mul_f32 v[8:9], v[4:5], v[2:3] op_sel:[0,1]
	s_delay_alu instid0(VALU_DEP_1) | instskip(SKIP_1) | instid1(VALU_DEP_1)
	v_pk_fma_f32 v[10:11], v[4:5], v[0:1], v[8:9] op_sel:[0,0,1] op_sel_hi:[1,1,0] neg_lo:[0,0,1] neg_hi:[0,0,1]
	v_pk_fma_f32 v[4:5], v[4:5], v[0:1], v[8:9] op_sel:[0,0,1] op_sel_hi:[1,0,0]
	v_mov_b32_e32 v11, v5
	v_pk_mul_f32 v[4:5], v[6:7], v[2:3] op_sel:[0,1]
	s_delay_alu instid0(VALU_DEP_1) | instskip(SKIP_1) | instid1(VALU_DEP_1)
	v_pk_fma_f32 v[8:9], v[6:7], v[0:1], v[4:5] op_sel:[0,0,1] op_sel_hi:[1,1,0] neg_lo:[0,0,1] neg_hi:[0,0,1]
	v_pk_fma_f32 v[4:5], v[6:7], v[0:1], v[4:5] op_sel:[0,0,1] op_sel_hi:[1,0,0]
	v_mov_b32_e32 v9, v5
	ds_load_2addr_b64 v[4:7], v26 offset0:24 offset1:25
	v_pk_add_f32 v[88:89], v[88:89], v[10:11] neg_lo:[0,1] neg_hi:[0,1]
	v_pk_add_f32 v[84:85], v[84:85], v[8:9] neg_lo:[0,1] neg_hi:[0,1]
	s_wait_dscnt 0x0
	v_dual_mul_f32 v8, v5, v3 :: v_dual_mul_f32 v10, v5, v0
	s_delay_alu instid0(VALU_DEP_1) | instskip(NEXT) | instid1(VALU_DEP_2)
	v_pk_fma_f32 v[8:9], v[4:5], v[36:37], v[8:9] op_sel_hi:[1,1,0] neg_lo:[0,0,1] neg_hi:[0,0,1]
	v_pk_fma_f32 v[4:5], v[4:5], v[36:37], v[10:11] op_sel:[1,0,0] op_sel_hi:[0,1,0]
	s_delay_alu instid0(VALU_DEP_1) | instskip(SKIP_1) | instid1(VALU_DEP_2)
	v_mov_b32_e32 v9, v5
	v_pk_mul_f32 v[4:5], v[6:7], v[2:3] op_sel:[0,1]
	v_pk_add_f32 v[112:113], v[112:113], v[8:9] neg_lo:[0,1] neg_hi:[0,1]
	s_delay_alu instid0(VALU_DEP_2) | instskip(SKIP_1) | instid1(VALU_DEP_1)
	v_pk_fma_f32 v[8:9], v[6:7], v[0:1], v[4:5] op_sel:[0,0,1] op_sel_hi:[1,1,0] neg_lo:[0,0,1] neg_hi:[0,0,1]
	v_pk_fma_f32 v[4:5], v[6:7], v[0:1], v[4:5] op_sel:[0,0,1] op_sel_hi:[1,0,0]
	v_mov_b32_e32 v9, v5
	ds_load_2addr_b64 v[4:7], v26 offset0:26 offset1:27
	v_pk_add_f32 v[108:109], v[108:109], v[8:9] neg_lo:[0,1] neg_hi:[0,1]
	s_wait_dscnt 0x0
	v_pk_mul_f32 v[8:9], v[4:5], v[2:3] op_sel:[0,1]
	s_delay_alu instid0(VALU_DEP_1) | instskip(SKIP_1) | instid1(VALU_DEP_1)
	v_pk_fma_f32 v[10:11], v[4:5], v[0:1], v[8:9] op_sel:[0,0,1] op_sel_hi:[1,1,0] neg_lo:[0,0,1] neg_hi:[0,0,1]
	v_pk_fma_f32 v[4:5], v[4:5], v[0:1], v[8:9] op_sel:[0,0,1] op_sel_hi:[1,0,0]
	v_mov_b32_e32 v11, v5
	v_pk_mul_f32 v[4:5], v[6:7], v[2:3] op_sel:[0,1]
	s_delay_alu instid0(VALU_DEP_2) | instskip(NEXT) | instid1(VALU_DEP_2)
	v_pk_add_f32 v[110:111], v[110:111], v[10:11] neg_lo:[0,1] neg_hi:[0,1]
	v_pk_fma_f32 v[8:9], v[6:7], v[0:1], v[4:5] op_sel:[0,0,1] op_sel_hi:[1,1,0] neg_lo:[0,0,1] neg_hi:[0,0,1]
	v_pk_fma_f32 v[4:5], v[6:7], v[0:1], v[4:5] op_sel:[0,0,1] op_sel_hi:[1,0,0]
	s_delay_alu instid0(VALU_DEP_1) | instskip(SKIP_4) | instid1(VALU_DEP_1)
	v_mov_b32_e32 v9, v5
	ds_load_2addr_b64 v[4:7], v26 offset0:28 offset1:29
	v_pk_add_f32 v[106:107], v[106:107], v[8:9] neg_lo:[0,1] neg_hi:[0,1]
	s_wait_dscnt 0x0
	v_pk_mul_f32 v[8:9], v[4:5], v[2:3] op_sel:[0,1]
	v_pk_fma_f32 v[10:11], v[4:5], v[0:1], v[8:9] op_sel:[0,0,1] op_sel_hi:[1,1,0] neg_lo:[0,0,1] neg_hi:[0,0,1]
	v_pk_fma_f32 v[4:5], v[4:5], v[0:1], v[8:9] op_sel:[0,0,1] op_sel_hi:[1,0,0]
	v_dual_mul_f32 v8, v7, v3 :: v_dual_mov_b32 v4, v7
	s_delay_alu instid0(VALU_DEP_2) | instskip(NEXT) | instid1(VALU_DEP_2)
	v_dual_mov_b32 v11, v5 :: v_dual_mov_b32 v5, v6
	v_pk_fma_f32 v[8:9], v[6:7], v[36:37], v[8:9] op_sel_hi:[1,1,0] neg_lo:[0,0,1] neg_hi:[0,0,1]
	v_mul_f32_e32 v6, v7, v0
	s_delay_alu instid0(VALU_DEP_3) | instskip(NEXT) | instid1(VALU_DEP_2)
	v_pk_add_f32 v[128:129], v[128:129], v[10:11] neg_lo:[0,1] neg_hi:[0,1]
	v_pk_fma_f32 v[4:5], v[4:5], v[36:37], v[6:7] op_sel_hi:[1,1,0]
	s_delay_alu instid0(VALU_DEP_1) | instskip(SKIP_4) | instid1(VALU_DEP_1)
	v_mov_b32_e32 v9, v5
	ds_load_2addr_b64 v[4:7], v26 offset0:30 offset1:31
	v_pk_add_f32 v[124:125], v[124:125], v[8:9] neg_lo:[0,1] neg_hi:[0,1]
	s_wait_dscnt 0x0
	v_pk_mul_f32 v[8:9], v[4:5], v[2:3] op_sel:[0,1]
	v_pk_fma_f32 v[10:11], v[4:5], v[0:1], v[8:9] op_sel:[0,0,1] op_sel_hi:[1,1,0] neg_lo:[0,0,1] neg_hi:[0,0,1]
	v_pk_fma_f32 v[4:5], v[4:5], v[0:1], v[8:9] op_sel:[0,0,1] op_sel_hi:[1,0,0]
	s_delay_alu instid0(VALU_DEP_1) | instskip(SKIP_1) | instid1(VALU_DEP_1)
	v_mov_b32_e32 v11, v5
	v_pk_mul_f32 v[4:5], v[6:7], v[2:3] op_sel:[0,1]
	v_pk_fma_f32 v[8:9], v[6:7], v[0:1], v[4:5] op_sel:[0,0,1] op_sel_hi:[1,1,0] neg_lo:[0,0,1] neg_hi:[0,0,1]
	v_pk_fma_f32 v[4:5], v[6:7], v[0:1], v[4:5] op_sel:[0,0,1] op_sel_hi:[1,0,0]
	s_delay_alu instid0(VALU_DEP_1)
	v_mov_b32_e32 v9, v5
	ds_load_2addr_b64 v[4:7], v26 offset0:32 offset1:33
	v_pk_add_f32 v[126:127], v[126:127], v[10:11] neg_lo:[0,1] neg_hi:[0,1]
	v_pk_add_f32 v[122:123], v[122:123], v[8:9] neg_lo:[0,1] neg_hi:[0,1]
	s_wait_dscnt 0x0
	v_pk_mul_f32 v[8:9], v[4:5], v[2:3] op_sel:[0,1]
	s_delay_alu instid0(VALU_DEP_1) | instskip(SKIP_1) | instid1(VALU_DEP_1)
	v_pk_fma_f32 v[10:11], v[4:5], v[0:1], v[8:9] op_sel:[0,0,1] op_sel_hi:[1,1,0] neg_lo:[0,0,1] neg_hi:[0,0,1]
	v_pk_fma_f32 v[4:5], v[4:5], v[0:1], v[8:9] op_sel:[0,0,1] op_sel_hi:[1,0,0]
	v_mov_b32_e32 v11, v5
	v_pk_mul_f32 v[4:5], v[6:7], v[2:3] op_sel:[0,1]
	s_delay_alu instid0(VALU_DEP_1) | instskip(SKIP_1) | instid1(VALU_DEP_1)
	v_pk_fma_f32 v[8:9], v[6:7], v[0:1], v[4:5] op_sel:[0,0,1] op_sel_hi:[1,1,0] neg_lo:[0,0,1] neg_hi:[0,0,1]
	v_pk_fma_f32 v[4:5], v[6:7], v[0:1], v[4:5] op_sel:[0,0,1] op_sel_hi:[1,0,0]
	v_mov_b32_e32 v9, v5
	ds_load_2addr_b64 v[4:7], v26 offset0:34 offset1:35
	v_pk_add_f32 v[144:145], v[144:145], v[10:11] neg_lo:[0,1] neg_hi:[0,1]
	v_pk_add_f32 v[140:141], v[140:141], v[8:9] neg_lo:[0,1] neg_hi:[0,1]
	s_wait_dscnt 0x0
	v_dual_mul_f32 v8, v5, v3 :: v_dual_mul_f32 v10, v5, v0
	s_delay_alu instid0(VALU_DEP_1) | instskip(NEXT) | instid1(VALU_DEP_2)
	v_pk_fma_f32 v[8:9], v[4:5], v[36:37], v[8:9] op_sel_hi:[1,1,0] neg_lo:[0,0,1] neg_hi:[0,0,1]
	v_pk_fma_f32 v[4:5], v[4:5], v[36:37], v[10:11] op_sel:[1,0,0] op_sel_hi:[0,1,0]
	s_delay_alu instid0(VALU_DEP_1) | instskip(SKIP_1) | instid1(VALU_DEP_2)
	v_mov_b32_e32 v9, v5
	v_pk_mul_f32 v[4:5], v[6:7], v[2:3] op_sel:[0,1]
	v_pk_add_f32 v[142:143], v[142:143], v[8:9] neg_lo:[0,1] neg_hi:[0,1]
	s_delay_alu instid0(VALU_DEP_2) | instskip(SKIP_1) | instid1(VALU_DEP_1)
	v_pk_fma_f32 v[8:9], v[6:7], v[0:1], v[4:5] op_sel:[0,0,1] op_sel_hi:[1,1,0] neg_lo:[0,0,1] neg_hi:[0,0,1]
	v_pk_fma_f32 v[4:5], v[6:7], v[0:1], v[4:5] op_sel:[0,0,1] op_sel_hi:[1,0,0]
	v_mov_b32_e32 v9, v5
	ds_load_2addr_b64 v[4:7], v26 offset0:36 offset1:37
	v_pk_add_f32 v[138:139], v[138:139], v[8:9] neg_lo:[0,1] neg_hi:[0,1]
	s_wait_dscnt 0x0
	v_pk_mul_f32 v[8:9], v[4:5], v[2:3] op_sel:[0,1]
	s_delay_alu instid0(VALU_DEP_1) | instskip(SKIP_1) | instid1(VALU_DEP_1)
	v_pk_fma_f32 v[10:11], v[4:5], v[0:1], v[8:9] op_sel:[0,0,1] op_sel_hi:[1,1,0] neg_lo:[0,0,1] neg_hi:[0,0,1]
	v_pk_fma_f32 v[4:5], v[4:5], v[0:1], v[8:9] op_sel:[0,0,1] op_sel_hi:[1,0,0]
	v_mov_b32_e32 v11, v5
	v_pk_mul_f32 v[4:5], v[6:7], v[2:3] op_sel:[0,1]
	s_delay_alu instid0(VALU_DEP_2) | instskip(NEXT) | instid1(VALU_DEP_2)
	v_pk_add_f32 v[162:163], v[162:163], v[10:11] neg_lo:[0,1] neg_hi:[0,1]
	v_pk_fma_f32 v[8:9], v[6:7], v[0:1], v[4:5] op_sel:[0,0,1] op_sel_hi:[1,1,0] neg_lo:[0,0,1] neg_hi:[0,0,1]
	v_pk_fma_f32 v[4:5], v[6:7], v[0:1], v[4:5] op_sel:[0,0,1] op_sel_hi:[1,0,0]
	s_delay_alu instid0(VALU_DEP_1) | instskip(SKIP_4) | instid1(VALU_DEP_1)
	v_mov_b32_e32 v9, v5
	ds_load_2addr_b64 v[4:7], v26 offset0:38 offset1:39
	v_pk_add_f32 v[158:159], v[158:159], v[8:9] neg_lo:[0,1] neg_hi:[0,1]
	s_wait_dscnt 0x0
	v_pk_mul_f32 v[8:9], v[4:5], v[2:3] op_sel:[0,1]
	v_pk_fma_f32 v[10:11], v[4:5], v[0:1], v[8:9] op_sel:[0,0,1] op_sel_hi:[1,1,0] neg_lo:[0,0,1] neg_hi:[0,0,1]
	v_pk_fma_f32 v[4:5], v[4:5], v[0:1], v[8:9] op_sel:[0,0,1] op_sel_hi:[1,0,0]
	v_dual_mul_f32 v8, v7, v3 :: v_dual_mov_b32 v4, v7
	s_delay_alu instid0(VALU_DEP_2) | instskip(NEXT) | instid1(VALU_DEP_2)
	v_dual_mov_b32 v11, v5 :: v_dual_mov_b32 v5, v6
	v_pk_fma_f32 v[8:9], v[6:7], v[36:37], v[8:9] op_sel_hi:[1,1,0] neg_lo:[0,0,1] neg_hi:[0,0,1]
	v_mul_f32_e32 v6, v7, v0
	s_delay_alu instid0(VALU_DEP_3) | instskip(NEXT) | instid1(VALU_DEP_2)
	v_pk_add_f32 v[160:161], v[160:161], v[10:11] neg_lo:[0,1] neg_hi:[0,1]
	v_pk_fma_f32 v[4:5], v[4:5], v[36:37], v[6:7] op_sel_hi:[1,1,0]
	s_delay_alu instid0(VALU_DEP_1) | instskip(SKIP_4) | instid1(VALU_DEP_1)
	v_mov_b32_e32 v9, v5
	ds_load_2addr_b64 v[4:7], v26 offset0:40 offset1:41
	v_pk_add_f32 v[156:157], v[156:157], v[8:9] neg_lo:[0,1] neg_hi:[0,1]
	s_wait_dscnt 0x0
	v_pk_mul_f32 v[8:9], v[4:5], v[2:3] op_sel:[0,1]
	v_pk_fma_f32 v[10:11], v[4:5], v[0:1], v[8:9] op_sel:[0,0,1] op_sel_hi:[1,1,0] neg_lo:[0,0,1] neg_hi:[0,0,1]
	v_pk_fma_f32 v[4:5], v[4:5], v[0:1], v[8:9] op_sel:[0,0,1] op_sel_hi:[1,0,0]
	s_delay_alu instid0(VALU_DEP_1) | instskip(SKIP_1) | instid1(VALU_DEP_1)
	v_mov_b32_e32 v11, v5
	v_pk_mul_f32 v[4:5], v[6:7], v[2:3] op_sel:[0,1]
	v_pk_fma_f32 v[8:9], v[6:7], v[0:1], v[4:5] op_sel:[0,0,1] op_sel_hi:[1,1,0] neg_lo:[0,0,1] neg_hi:[0,0,1]
	v_pk_fma_f32 v[4:5], v[6:7], v[0:1], v[4:5] op_sel:[0,0,1] op_sel_hi:[1,0,0]
	s_delay_alu instid0(VALU_DEP_1)
	v_mov_b32_e32 v9, v5
	ds_load_2addr_b64 v[4:7], v26 offset0:42 offset1:43
	v_pk_add_f32 v[178:179], v[178:179], v[10:11] neg_lo:[0,1] neg_hi:[0,1]
	v_pk_add_f32 v[174:175], v[174:175], v[8:9] neg_lo:[0,1] neg_hi:[0,1]
	s_wait_dscnt 0x0
	v_pk_mul_f32 v[8:9], v[4:5], v[2:3] op_sel:[0,1]
	s_delay_alu instid0(VALU_DEP_1) | instskip(SKIP_1) | instid1(VALU_DEP_1)
	v_pk_fma_f32 v[10:11], v[4:5], v[0:1], v[8:9] op_sel:[0,0,1] op_sel_hi:[1,1,0] neg_lo:[0,0,1] neg_hi:[0,0,1]
	v_pk_fma_f32 v[4:5], v[4:5], v[0:1], v[8:9] op_sel:[0,0,1] op_sel_hi:[1,0,0]
	v_mov_b32_e32 v11, v5
	v_pk_mul_f32 v[4:5], v[6:7], v[2:3] op_sel:[0,1]
	s_delay_alu instid0(VALU_DEP_1) | instskip(SKIP_1) | instid1(VALU_DEP_1)
	v_pk_fma_f32 v[8:9], v[6:7], v[0:1], v[4:5] op_sel:[0,0,1] op_sel_hi:[1,1,0] neg_lo:[0,0,1] neg_hi:[0,0,1]
	v_pk_fma_f32 v[4:5], v[6:7], v[0:1], v[4:5] op_sel:[0,0,1] op_sel_hi:[1,0,0]
	v_mov_b32_e32 v9, v5
	ds_load_2addr_b64 v[4:7], v26 offset0:44 offset1:45
	v_pk_add_f32 v[176:177], v[176:177], v[10:11] neg_lo:[0,1] neg_hi:[0,1]
	v_pk_add_f32 v[172:173], v[172:173], v[8:9] neg_lo:[0,1] neg_hi:[0,1]
	s_wait_dscnt 0x0
	v_mul_f32_e32 v2, v5, v3
	s_delay_alu instid0(VALU_DEP_1) | instskip(SKIP_1) | instid1(VALU_DEP_1)
	v_pk_fma_f32 v[8:9], v[4:5], v[36:37], v[2:3] op_sel_hi:[1,1,0] neg_lo:[0,0,1] neg_hi:[0,0,1]
	v_dual_mul_f32 v2, v5, v0 :: v_dual_mul_f32 v0, v7, v0
	v_pk_fma_f32 v[4:5], v[4:5], v[36:37], v[2:3] op_sel:[1,0,0] op_sel_hi:[0,1,0]
	v_dual_mov_b32 v4, v7 :: v_dual_mul_f32 v2, v7, v3
	s_delay_alu instid0(VALU_DEP_2) | instskip(NEXT) | instid1(VALU_DEP_2)
	v_dual_mov_b32 v9, v5 :: v_dual_mov_b32 v5, v6
	v_pk_fma_f32 v[2:3], v[6:7], v[36:37], v[2:3] op_sel_hi:[1,1,0] neg_lo:[0,0,1] neg_hi:[0,0,1]
	s_delay_alu instid0(VALU_DEP_2) | instskip(NEXT) | instid1(VALU_DEP_3)
	v_pk_add_f32 v[180:181], v[180:181], v[8:9] neg_lo:[0,1] neg_hi:[0,1]
	v_pk_fma_f32 v[0:1], v[4:5], v[36:37], v[0:1] op_sel_hi:[1,1,0]
	s_delay_alu instid0(VALU_DEP_1) | instskip(NEXT) | instid1(VALU_DEP_1)
	v_mov_b32_e32 v3, v1
	v_pk_add_f32 v[184:185], v[184:185], v[2:3] neg_lo:[0,1] neg_hi:[0,1]
.LBB91_145:
	s_or_b32 exec_lo, exec_lo, s1
	s_delay_alu instid0(SALU_CYCLE_1)
	s_mov_b32 s2, exec_lo
	s_wait_dscnt 0x0
	s_barrier_signal -1
	s_barrier_wait -1
	v_cmpx_eq_u32_e32 16, v34
	s_cbranch_execz .LBB91_152
; %bb.146:
	ds_store_b64 v35, v[66:67]
	ds_store_2addr_b64 v26, v[62:63], v[64:65] offset0:17 offset1:18
	ds_store_2addr_b64 v26, v[60:61], v[90:91] offset0:19 offset1:20
	;; [unrolled: 1-line block ×14, first 2 shown]
	ds_store_b64 v26, v[184:185] offset:360
	ds_load_b64 v[0:1], v35
	s_wait_dscnt 0x0
	v_cmp_neq_f32_e32 vcc_lo, 0, v0
	v_cmp_neq_f32_e64 s1, 0, v1
	s_or_b32 s1, vcc_lo, s1
	s_delay_alu instid0(SALU_CYCLE_1)
	s_and_b32 exec_lo, exec_lo, s1
	s_cbranch_execz .LBB91_152
; %bb.147:
	v_cmp_ngt_f32_e64 s1, |v0|, |v1|
                                        ; implicit-def: $vgpr2_vgpr3
	s_and_saveexec_b32 s4, s1
	s_delay_alu instid0(SALU_CYCLE_1)
	s_xor_b32 s1, exec_lo, s4
	s_cbranch_execz .LBB91_149
; %bb.148:
	v_div_scale_f32 v2, null, v1, v1, v0
	v_div_scale_f32 v5, vcc_lo, v0, v1, v0
	s_delay_alu instid0(VALU_DEP_2) | instskip(SKIP_1) | instid1(TRANS32_DEP_1)
	v_rcp_f32_e32 v3, v2
	v_nop
	v_fma_f32 v4, -v2, v3, 1.0
	s_delay_alu instid0(VALU_DEP_1) | instskip(NEXT) | instid1(VALU_DEP_1)
	v_fmac_f32_e32 v3, v4, v3
	v_mul_f32_e32 v4, v5, v3
	s_delay_alu instid0(VALU_DEP_1) | instskip(NEXT) | instid1(VALU_DEP_1)
	v_fma_f32 v6, -v2, v4, v5
	v_fmac_f32_e32 v4, v6, v3
	s_delay_alu instid0(VALU_DEP_1) | instskip(NEXT) | instid1(VALU_DEP_1)
	v_fma_f32 v2, -v2, v4, v5
	v_div_fmas_f32 v2, v2, v3, v4
	s_delay_alu instid0(VALU_DEP_1) | instskip(NEXT) | instid1(VALU_DEP_1)
	v_div_fixup_f32 v2, v2, v1, v0
	v_fmac_f32_e32 v1, v0, v2
	s_delay_alu instid0(VALU_DEP_1) | instskip(SKIP_1) | instid1(VALU_DEP_2)
	v_div_scale_f32 v0, null, v1, v1, 1.0
	v_div_scale_f32 v5, vcc_lo, 1.0, v1, 1.0
	v_rcp_f32_e32 v3, v0
	v_nop
	s_delay_alu instid0(TRANS32_DEP_1) | instskip(NEXT) | instid1(VALU_DEP_1)
	v_fma_f32 v4, -v0, v3, 1.0
	v_fmac_f32_e32 v3, v4, v3
	s_delay_alu instid0(VALU_DEP_1) | instskip(NEXT) | instid1(VALU_DEP_1)
	v_mul_f32_e32 v4, v5, v3
	v_fma_f32 v6, -v0, v4, v5
	s_delay_alu instid0(VALU_DEP_1) | instskip(NEXT) | instid1(VALU_DEP_1)
	v_fmac_f32_e32 v4, v6, v3
	v_fma_f32 v0, -v0, v4, v5
	s_delay_alu instid0(VALU_DEP_1) | instskip(NEXT) | instid1(VALU_DEP_1)
	v_div_fmas_f32 v0, v0, v3, v4
	v_div_fixup_f32 v0, v0, v1, 1.0
	s_delay_alu instid0(VALU_DEP_1)
	v_mul_f32_e32 v2, v2, v0
	v_xor_b32_e32 v3, 0x80000000, v0
                                        ; implicit-def: $vgpr0_vgpr1
.LBB91_149:
	s_and_not1_saveexec_b32 s1, s1
	s_cbranch_execz .LBB91_151
; %bb.150:
	v_div_scale_f32 v2, null, v0, v0, v1
	v_div_scale_f32 v5, vcc_lo, v1, v0, v1
	s_delay_alu instid0(VALU_DEP_2) | instskip(SKIP_1) | instid1(TRANS32_DEP_1)
	v_rcp_f32_e32 v3, v2
	v_nop
	v_fma_f32 v4, -v2, v3, 1.0
	s_delay_alu instid0(VALU_DEP_1) | instskip(NEXT) | instid1(VALU_DEP_1)
	v_fmac_f32_e32 v3, v4, v3
	v_mul_f32_e32 v4, v5, v3
	s_delay_alu instid0(VALU_DEP_1) | instskip(NEXT) | instid1(VALU_DEP_1)
	v_fma_f32 v6, -v2, v4, v5
	v_fmac_f32_e32 v4, v6, v3
	s_delay_alu instid0(VALU_DEP_1) | instskip(NEXT) | instid1(VALU_DEP_1)
	v_fma_f32 v2, -v2, v4, v5
	v_div_fmas_f32 v2, v2, v3, v4
	s_delay_alu instid0(VALU_DEP_1) | instskip(NEXT) | instid1(VALU_DEP_1)
	v_div_fixup_f32 v3, v2, v0, v1
	v_fmac_f32_e32 v0, v1, v3
	s_delay_alu instid0(VALU_DEP_1) | instskip(NEXT) | instid1(VALU_DEP_1)
	v_div_scale_f32 v1, null, v0, v0, 1.0
	v_rcp_f32_e32 v2, v1
	v_nop
	s_delay_alu instid0(TRANS32_DEP_1) | instskip(NEXT) | instid1(VALU_DEP_1)
	v_fma_f32 v4, -v1, v2, 1.0
	v_fmac_f32_e32 v2, v4, v2
	v_div_scale_f32 v4, vcc_lo, 1.0, v0, 1.0
	s_delay_alu instid0(VALU_DEP_1) | instskip(NEXT) | instid1(VALU_DEP_1)
	v_mul_f32_e32 v5, v4, v2
	v_fma_f32 v6, -v1, v5, v4
	s_delay_alu instid0(VALU_DEP_1) | instskip(NEXT) | instid1(VALU_DEP_1)
	v_fmac_f32_e32 v5, v6, v2
	v_fma_f32 v1, -v1, v5, v4
	s_delay_alu instid0(VALU_DEP_1) | instskip(NEXT) | instid1(VALU_DEP_1)
	v_div_fmas_f32 v1, v1, v2, v5
	v_div_fixup_f32 v2, v1, v0, 1.0
	s_delay_alu instid0(VALU_DEP_1)
	v_mul_f32_e64 v3, v3, -v2
.LBB91_151:
	s_or_b32 exec_lo, exec_lo, s1
	ds_store_b64 v35, v[2:3]
.LBB91_152:
	s_or_b32 exec_lo, exec_lo, s2
	s_wait_dscnt 0x0
	s_barrier_signal -1
	s_barrier_wait -1
	ds_load_b64 v[218:219], v35
	s_mov_b32 s1, exec_lo
	v_cmpx_lt_u32_e32 16, v34
	s_cbranch_execz .LBB91_154
; %bb.153:
	ds_load_2addr_b64 v[4:7], v26 offset0:17 offset1:18
	s_wait_dscnt 0x1
	v_pk_mul_f32 v[2:3], v[218:219], v[66:67] op_sel:[1,1] op_sel_hi:[0,1]
	s_delay_alu instid0(VALU_DEP_1) | instskip(SKIP_1) | instid1(VALU_DEP_1)
	v_pk_fma_f32 v[0:1], v[218:219], v[66:67], v[2:3] op_sel_hi:[1,0,1] neg_lo:[0,0,1] neg_hi:[0,0,1]
	v_pk_fma_f32 v[2:3], v[218:219], v[66:67], v[2:3] op_sel_hi:[1,0,1]
	v_dual_mov_b32 v66, v0 :: v_dual_mov_b32 v67, v3
	s_wait_dscnt 0x0
	s_delay_alu instid0(VALU_DEP_2) | instskip(NEXT) | instid1(VALU_DEP_1)
	v_pk_mul_f32 v[8:9], v[4:5], v[2:3] op_sel:[0,1]
	v_pk_fma_f32 v[10:11], v[4:5], v[0:1], v[8:9] op_sel:[0,0,1] op_sel_hi:[1,1,0] neg_lo:[0,0,1] neg_hi:[0,0,1]
	v_pk_fma_f32 v[4:5], v[4:5], v[0:1], v[8:9] op_sel:[0,0,1] op_sel_hi:[1,0,0]
	s_delay_alu instid0(VALU_DEP_1) | instskip(SKIP_1) | instid1(VALU_DEP_1)
	v_mov_b32_e32 v11, v5
	v_pk_mul_f32 v[4:5], v[6:7], v[2:3] op_sel:[0,1]
	v_pk_fma_f32 v[8:9], v[6:7], v[0:1], v[4:5] op_sel:[0,0,1] op_sel_hi:[1,1,0] neg_lo:[0,0,1] neg_hi:[0,0,1]
	v_pk_fma_f32 v[4:5], v[6:7], v[0:1], v[4:5] op_sel:[0,0,1] op_sel_hi:[1,0,0]
	s_delay_alu instid0(VALU_DEP_1)
	v_mov_b32_e32 v9, v5
	ds_load_2addr_b64 v[4:7], v26 offset0:19 offset1:20
	v_pk_add_f32 v[62:63], v[62:63], v[10:11] neg_lo:[0,1] neg_hi:[0,1]
	v_pk_add_f32 v[64:65], v[64:65], v[8:9] neg_lo:[0,1] neg_hi:[0,1]
	s_wait_dscnt 0x0
	v_pk_mul_f32 v[8:9], v[4:5], v[2:3] op_sel:[0,1]
	s_delay_alu instid0(VALU_DEP_1) | instskip(SKIP_2) | instid1(VALU_DEP_2)
	v_pk_fma_f32 v[10:11], v[4:5], v[0:1], v[8:9] op_sel:[0,0,1] op_sel_hi:[1,1,0] neg_lo:[0,0,1] neg_hi:[0,0,1]
	v_pk_fma_f32 v[4:5], v[4:5], v[0:1], v[8:9] op_sel:[0,0,1] op_sel_hi:[1,0,0]
	v_dual_mul_f32 v8, v7, v3 :: v_dual_mov_b32 v4, v7
	v_dual_mov_b32 v11, v5 :: v_dual_mov_b32 v5, v6
	s_delay_alu instid0(VALU_DEP_2) | instskip(SKIP_1) | instid1(VALU_DEP_3)
	v_pk_fma_f32 v[8:9], v[6:7], v[66:67], v[8:9] op_sel_hi:[1,1,0] neg_lo:[0,0,1] neg_hi:[0,0,1]
	v_mul_f32_e32 v6, v7, v0
	v_pk_add_f32 v[60:61], v[60:61], v[10:11] neg_lo:[0,1] neg_hi:[0,1]
	s_delay_alu instid0(VALU_DEP_2) | instskip(NEXT) | instid1(VALU_DEP_1)
	v_pk_fma_f32 v[4:5], v[4:5], v[66:67], v[6:7] op_sel_hi:[1,1,0]
	v_mov_b32_e32 v9, v5
	ds_load_2addr_b64 v[4:7], v26 offset0:21 offset1:22
	v_pk_add_f32 v[90:91], v[90:91], v[8:9] neg_lo:[0,1] neg_hi:[0,1]
	s_wait_dscnt 0x0
	v_pk_mul_f32 v[8:9], v[4:5], v[2:3] op_sel:[0,1]
	s_delay_alu instid0(VALU_DEP_1) | instskip(SKIP_1) | instid1(VALU_DEP_1)
	v_pk_fma_f32 v[10:11], v[4:5], v[0:1], v[8:9] op_sel:[0,0,1] op_sel_hi:[1,1,0] neg_lo:[0,0,1] neg_hi:[0,0,1]
	v_pk_fma_f32 v[4:5], v[4:5], v[0:1], v[8:9] op_sel:[0,0,1] op_sel_hi:[1,0,0]
	v_mov_b32_e32 v11, v5
	v_pk_mul_f32 v[4:5], v[6:7], v[2:3] op_sel:[0,1]
	s_delay_alu instid0(VALU_DEP_1) | instskip(SKIP_1) | instid1(VALU_DEP_1)
	v_pk_fma_f32 v[8:9], v[6:7], v[0:1], v[4:5] op_sel:[0,0,1] op_sel_hi:[1,1,0] neg_lo:[0,0,1] neg_hi:[0,0,1]
	v_pk_fma_f32 v[4:5], v[6:7], v[0:1], v[4:5] op_sel:[0,0,1] op_sel_hi:[1,0,0]
	v_mov_b32_e32 v9, v5
	ds_load_2addr_b64 v[4:7], v26 offset0:23 offset1:24
	v_pk_add_f32 v[86:87], v[86:87], v[10:11] neg_lo:[0,1] neg_hi:[0,1]
	v_pk_add_f32 v[88:89], v[88:89], v[8:9] neg_lo:[0,1] neg_hi:[0,1]
	s_wait_dscnt 0x0
	v_pk_mul_f32 v[8:9], v[4:5], v[2:3] op_sel:[0,1]
	s_delay_alu instid0(VALU_DEP_1) | instskip(SKIP_1) | instid1(VALU_DEP_1)
	v_pk_fma_f32 v[10:11], v[4:5], v[0:1], v[8:9] op_sel:[0,0,1] op_sel_hi:[1,1,0] neg_lo:[0,0,1] neg_hi:[0,0,1]
	v_pk_fma_f32 v[4:5], v[4:5], v[0:1], v[8:9] op_sel:[0,0,1] op_sel_hi:[1,0,0]
	v_mov_b32_e32 v11, v5
	v_pk_mul_f32 v[4:5], v[6:7], v[2:3] op_sel:[0,1]
	s_delay_alu instid0(VALU_DEP_1) | instskip(SKIP_1) | instid1(VALU_DEP_1)
	v_pk_fma_f32 v[8:9], v[6:7], v[0:1], v[4:5] op_sel:[0,0,1] op_sel_hi:[1,1,0] neg_lo:[0,0,1] neg_hi:[0,0,1]
	v_pk_fma_f32 v[4:5], v[6:7], v[0:1], v[4:5] op_sel:[0,0,1] op_sel_hi:[1,0,0]
	v_mov_b32_e32 v9, v5
	ds_load_2addr_b64 v[4:7], v26 offset0:25 offset1:26
	v_pk_add_f32 v[84:85], v[84:85], v[10:11] neg_lo:[0,1] neg_hi:[0,1]
	v_pk_add_f32 v[112:113], v[112:113], v[8:9] neg_lo:[0,1] neg_hi:[0,1]
	s_wait_dscnt 0x0
	v_dual_mul_f32 v8, v5, v3 :: v_dual_mul_f32 v10, v5, v0
	s_delay_alu instid0(VALU_DEP_1) | instskip(NEXT) | instid1(VALU_DEP_2)
	v_pk_fma_f32 v[8:9], v[4:5], v[66:67], v[8:9] op_sel_hi:[1,1,0] neg_lo:[0,0,1] neg_hi:[0,0,1]
	v_pk_fma_f32 v[4:5], v[4:5], v[66:67], v[10:11] op_sel:[1,0,0] op_sel_hi:[0,1,0]
	s_delay_alu instid0(VALU_DEP_1) | instskip(SKIP_1) | instid1(VALU_DEP_2)
	v_mov_b32_e32 v9, v5
	v_pk_mul_f32 v[4:5], v[6:7], v[2:3] op_sel:[0,1]
	v_pk_add_f32 v[108:109], v[108:109], v[8:9] neg_lo:[0,1] neg_hi:[0,1]
	s_delay_alu instid0(VALU_DEP_2) | instskip(SKIP_1) | instid1(VALU_DEP_1)
	v_pk_fma_f32 v[8:9], v[6:7], v[0:1], v[4:5] op_sel:[0,0,1] op_sel_hi:[1,1,0] neg_lo:[0,0,1] neg_hi:[0,0,1]
	v_pk_fma_f32 v[4:5], v[6:7], v[0:1], v[4:5] op_sel:[0,0,1] op_sel_hi:[1,0,0]
	v_mov_b32_e32 v9, v5
	ds_load_2addr_b64 v[4:7], v26 offset0:27 offset1:28
	v_pk_add_f32 v[110:111], v[110:111], v[8:9] neg_lo:[0,1] neg_hi:[0,1]
	s_wait_dscnt 0x0
	v_pk_mul_f32 v[8:9], v[4:5], v[2:3] op_sel:[0,1]
	s_delay_alu instid0(VALU_DEP_1) | instskip(SKIP_1) | instid1(VALU_DEP_1)
	v_pk_fma_f32 v[10:11], v[4:5], v[0:1], v[8:9] op_sel:[0,0,1] op_sel_hi:[1,1,0] neg_lo:[0,0,1] neg_hi:[0,0,1]
	v_pk_fma_f32 v[4:5], v[4:5], v[0:1], v[8:9] op_sel:[0,0,1] op_sel_hi:[1,0,0]
	v_mov_b32_e32 v11, v5
	v_pk_mul_f32 v[4:5], v[6:7], v[2:3] op_sel:[0,1]
	s_delay_alu instid0(VALU_DEP_2) | instskip(NEXT) | instid1(VALU_DEP_2)
	v_pk_add_f32 v[106:107], v[106:107], v[10:11] neg_lo:[0,1] neg_hi:[0,1]
	v_pk_fma_f32 v[8:9], v[6:7], v[0:1], v[4:5] op_sel:[0,0,1] op_sel_hi:[1,1,0] neg_lo:[0,0,1] neg_hi:[0,0,1]
	v_pk_fma_f32 v[4:5], v[6:7], v[0:1], v[4:5] op_sel:[0,0,1] op_sel_hi:[1,0,0]
	s_delay_alu instid0(VALU_DEP_1) | instskip(SKIP_4) | instid1(VALU_DEP_1)
	v_mov_b32_e32 v9, v5
	ds_load_2addr_b64 v[4:7], v26 offset0:29 offset1:30
	v_pk_add_f32 v[128:129], v[128:129], v[8:9] neg_lo:[0,1] neg_hi:[0,1]
	s_wait_dscnt 0x0
	v_pk_mul_f32 v[8:9], v[4:5], v[2:3] op_sel:[0,1]
	v_pk_fma_f32 v[10:11], v[4:5], v[0:1], v[8:9] op_sel:[0,0,1] op_sel_hi:[1,1,0] neg_lo:[0,0,1] neg_hi:[0,0,1]
	v_pk_fma_f32 v[4:5], v[4:5], v[0:1], v[8:9] op_sel:[0,0,1] op_sel_hi:[1,0,0]
	v_dual_mul_f32 v8, v7, v3 :: v_dual_mov_b32 v4, v7
	s_delay_alu instid0(VALU_DEP_2) | instskip(NEXT) | instid1(VALU_DEP_2)
	v_dual_mov_b32 v11, v5 :: v_dual_mov_b32 v5, v6
	v_pk_fma_f32 v[8:9], v[6:7], v[66:67], v[8:9] op_sel_hi:[1,1,0] neg_lo:[0,0,1] neg_hi:[0,0,1]
	v_mul_f32_e32 v6, v7, v0
	s_delay_alu instid0(VALU_DEP_3) | instskip(NEXT) | instid1(VALU_DEP_2)
	v_pk_add_f32 v[124:125], v[124:125], v[10:11] neg_lo:[0,1] neg_hi:[0,1]
	v_pk_fma_f32 v[4:5], v[4:5], v[66:67], v[6:7] op_sel_hi:[1,1,0]
	s_delay_alu instid0(VALU_DEP_1) | instskip(SKIP_4) | instid1(VALU_DEP_1)
	v_mov_b32_e32 v9, v5
	ds_load_2addr_b64 v[4:7], v26 offset0:31 offset1:32
	v_pk_add_f32 v[126:127], v[126:127], v[8:9] neg_lo:[0,1] neg_hi:[0,1]
	s_wait_dscnt 0x0
	v_pk_mul_f32 v[8:9], v[4:5], v[2:3] op_sel:[0,1]
	v_pk_fma_f32 v[10:11], v[4:5], v[0:1], v[8:9] op_sel:[0,0,1] op_sel_hi:[1,1,0] neg_lo:[0,0,1] neg_hi:[0,0,1]
	v_pk_fma_f32 v[4:5], v[4:5], v[0:1], v[8:9] op_sel:[0,0,1] op_sel_hi:[1,0,0]
	s_delay_alu instid0(VALU_DEP_1) | instskip(SKIP_1) | instid1(VALU_DEP_1)
	v_mov_b32_e32 v11, v5
	v_pk_mul_f32 v[4:5], v[6:7], v[2:3] op_sel:[0,1]
	v_pk_fma_f32 v[8:9], v[6:7], v[0:1], v[4:5] op_sel:[0,0,1] op_sel_hi:[1,1,0] neg_lo:[0,0,1] neg_hi:[0,0,1]
	v_pk_fma_f32 v[4:5], v[6:7], v[0:1], v[4:5] op_sel:[0,0,1] op_sel_hi:[1,0,0]
	s_delay_alu instid0(VALU_DEP_1)
	v_mov_b32_e32 v9, v5
	ds_load_2addr_b64 v[4:7], v26 offset0:33 offset1:34
	v_pk_add_f32 v[122:123], v[122:123], v[10:11] neg_lo:[0,1] neg_hi:[0,1]
	v_pk_add_f32 v[144:145], v[144:145], v[8:9] neg_lo:[0,1] neg_hi:[0,1]
	s_wait_dscnt 0x0
	v_pk_mul_f32 v[8:9], v[4:5], v[2:3] op_sel:[0,1]
	s_delay_alu instid0(VALU_DEP_1) | instskip(SKIP_1) | instid1(VALU_DEP_1)
	v_pk_fma_f32 v[10:11], v[4:5], v[0:1], v[8:9] op_sel:[0,0,1] op_sel_hi:[1,1,0] neg_lo:[0,0,1] neg_hi:[0,0,1]
	v_pk_fma_f32 v[4:5], v[4:5], v[0:1], v[8:9] op_sel:[0,0,1] op_sel_hi:[1,0,0]
	v_mov_b32_e32 v11, v5
	v_pk_mul_f32 v[4:5], v[6:7], v[2:3] op_sel:[0,1]
	s_delay_alu instid0(VALU_DEP_1) | instskip(SKIP_1) | instid1(VALU_DEP_1)
	v_pk_fma_f32 v[8:9], v[6:7], v[0:1], v[4:5] op_sel:[0,0,1] op_sel_hi:[1,1,0] neg_lo:[0,0,1] neg_hi:[0,0,1]
	v_pk_fma_f32 v[4:5], v[6:7], v[0:1], v[4:5] op_sel:[0,0,1] op_sel_hi:[1,0,0]
	v_mov_b32_e32 v9, v5
	ds_load_2addr_b64 v[4:7], v26 offset0:35 offset1:36
	v_pk_add_f32 v[140:141], v[140:141], v[10:11] neg_lo:[0,1] neg_hi:[0,1]
	v_pk_add_f32 v[142:143], v[142:143], v[8:9] neg_lo:[0,1] neg_hi:[0,1]
	s_wait_dscnt 0x0
	v_dual_mul_f32 v8, v5, v3 :: v_dual_mul_f32 v10, v5, v0
	s_delay_alu instid0(VALU_DEP_1) | instskip(NEXT) | instid1(VALU_DEP_2)
	v_pk_fma_f32 v[8:9], v[4:5], v[66:67], v[8:9] op_sel_hi:[1,1,0] neg_lo:[0,0,1] neg_hi:[0,0,1]
	v_pk_fma_f32 v[4:5], v[4:5], v[66:67], v[10:11] op_sel:[1,0,0] op_sel_hi:[0,1,0]
	s_delay_alu instid0(VALU_DEP_1) | instskip(SKIP_1) | instid1(VALU_DEP_2)
	v_mov_b32_e32 v9, v5
	v_pk_mul_f32 v[4:5], v[6:7], v[2:3] op_sel:[0,1]
	v_pk_add_f32 v[138:139], v[138:139], v[8:9] neg_lo:[0,1] neg_hi:[0,1]
	s_delay_alu instid0(VALU_DEP_2) | instskip(SKIP_1) | instid1(VALU_DEP_1)
	v_pk_fma_f32 v[8:9], v[6:7], v[0:1], v[4:5] op_sel:[0,0,1] op_sel_hi:[1,1,0] neg_lo:[0,0,1] neg_hi:[0,0,1]
	v_pk_fma_f32 v[4:5], v[6:7], v[0:1], v[4:5] op_sel:[0,0,1] op_sel_hi:[1,0,0]
	v_mov_b32_e32 v9, v5
	ds_load_2addr_b64 v[4:7], v26 offset0:37 offset1:38
	v_pk_add_f32 v[162:163], v[162:163], v[8:9] neg_lo:[0,1] neg_hi:[0,1]
	s_wait_dscnt 0x0
	v_pk_mul_f32 v[8:9], v[4:5], v[2:3] op_sel:[0,1]
	s_delay_alu instid0(VALU_DEP_1) | instskip(SKIP_1) | instid1(VALU_DEP_1)
	v_pk_fma_f32 v[10:11], v[4:5], v[0:1], v[8:9] op_sel:[0,0,1] op_sel_hi:[1,1,0] neg_lo:[0,0,1] neg_hi:[0,0,1]
	v_pk_fma_f32 v[4:5], v[4:5], v[0:1], v[8:9] op_sel:[0,0,1] op_sel_hi:[1,0,0]
	v_mov_b32_e32 v11, v5
	v_pk_mul_f32 v[4:5], v[6:7], v[2:3] op_sel:[0,1]
	s_delay_alu instid0(VALU_DEP_2) | instskip(NEXT) | instid1(VALU_DEP_2)
	v_pk_add_f32 v[158:159], v[158:159], v[10:11] neg_lo:[0,1] neg_hi:[0,1]
	v_pk_fma_f32 v[8:9], v[6:7], v[0:1], v[4:5] op_sel:[0,0,1] op_sel_hi:[1,1,0] neg_lo:[0,0,1] neg_hi:[0,0,1]
	v_pk_fma_f32 v[4:5], v[6:7], v[0:1], v[4:5] op_sel:[0,0,1] op_sel_hi:[1,0,0]
	s_delay_alu instid0(VALU_DEP_1) | instskip(SKIP_4) | instid1(VALU_DEP_1)
	v_mov_b32_e32 v9, v5
	ds_load_2addr_b64 v[4:7], v26 offset0:39 offset1:40
	v_pk_add_f32 v[160:161], v[160:161], v[8:9] neg_lo:[0,1] neg_hi:[0,1]
	s_wait_dscnt 0x0
	v_pk_mul_f32 v[8:9], v[4:5], v[2:3] op_sel:[0,1]
	v_pk_fma_f32 v[10:11], v[4:5], v[0:1], v[8:9] op_sel:[0,0,1] op_sel_hi:[1,1,0] neg_lo:[0,0,1] neg_hi:[0,0,1]
	v_pk_fma_f32 v[4:5], v[4:5], v[0:1], v[8:9] op_sel:[0,0,1] op_sel_hi:[1,0,0]
	v_dual_mul_f32 v8, v7, v3 :: v_dual_mov_b32 v4, v7
	s_delay_alu instid0(VALU_DEP_2) | instskip(NEXT) | instid1(VALU_DEP_2)
	v_dual_mov_b32 v11, v5 :: v_dual_mov_b32 v5, v6
	v_pk_fma_f32 v[8:9], v[6:7], v[66:67], v[8:9] op_sel_hi:[1,1,0] neg_lo:[0,0,1] neg_hi:[0,0,1]
	v_mul_f32_e32 v6, v7, v0
	s_delay_alu instid0(VALU_DEP_3) | instskip(NEXT) | instid1(VALU_DEP_2)
	v_pk_add_f32 v[156:157], v[156:157], v[10:11] neg_lo:[0,1] neg_hi:[0,1]
	v_pk_fma_f32 v[4:5], v[4:5], v[66:67], v[6:7] op_sel_hi:[1,1,0]
	s_delay_alu instid0(VALU_DEP_1) | instskip(SKIP_4) | instid1(VALU_DEP_1)
	v_mov_b32_e32 v9, v5
	ds_load_2addr_b64 v[4:7], v26 offset0:41 offset1:42
	v_pk_add_f32 v[178:179], v[178:179], v[8:9] neg_lo:[0,1] neg_hi:[0,1]
	s_wait_dscnt 0x0
	v_pk_mul_f32 v[8:9], v[4:5], v[2:3] op_sel:[0,1]
	v_pk_fma_f32 v[10:11], v[4:5], v[0:1], v[8:9] op_sel:[0,0,1] op_sel_hi:[1,1,0] neg_lo:[0,0,1] neg_hi:[0,0,1]
	v_pk_fma_f32 v[4:5], v[4:5], v[0:1], v[8:9] op_sel:[0,0,1] op_sel_hi:[1,0,0]
	s_delay_alu instid0(VALU_DEP_1) | instskip(SKIP_1) | instid1(VALU_DEP_1)
	v_mov_b32_e32 v11, v5
	v_pk_mul_f32 v[4:5], v[6:7], v[2:3] op_sel:[0,1]
	v_pk_fma_f32 v[8:9], v[6:7], v[0:1], v[4:5] op_sel:[0,0,1] op_sel_hi:[1,1,0] neg_lo:[0,0,1] neg_hi:[0,0,1]
	v_pk_fma_f32 v[4:5], v[6:7], v[0:1], v[4:5] op_sel:[0,0,1] op_sel_hi:[1,0,0]
	s_delay_alu instid0(VALU_DEP_1)
	v_mov_b32_e32 v9, v5
	ds_load_2addr_b64 v[4:7], v26 offset0:43 offset1:44
	v_pk_add_f32 v[174:175], v[174:175], v[10:11] neg_lo:[0,1] neg_hi:[0,1]
	v_pk_add_f32 v[176:177], v[176:177], v[8:9] neg_lo:[0,1] neg_hi:[0,1]
	s_wait_dscnt 0x0
	v_pk_mul_f32 v[8:9], v[4:5], v[2:3] op_sel:[0,1]
	s_delay_alu instid0(VALU_DEP_1) | instskip(SKIP_1) | instid1(VALU_DEP_1)
	v_pk_fma_f32 v[10:11], v[4:5], v[0:1], v[8:9] op_sel:[0,0,1] op_sel_hi:[1,1,0] neg_lo:[0,0,1] neg_hi:[0,0,1]
	v_pk_fma_f32 v[4:5], v[4:5], v[0:1], v[8:9] op_sel:[0,0,1] op_sel_hi:[1,0,0]
	v_mov_b32_e32 v11, v5
	v_pk_mul_f32 v[4:5], v[6:7], v[2:3] op_sel:[0,1]
	s_delay_alu instid0(VALU_DEP_1) | instskip(SKIP_1) | instid1(VALU_DEP_1)
	v_pk_fma_f32 v[8:9], v[6:7], v[0:1], v[4:5] op_sel:[0,0,1] op_sel_hi:[1,1,0] neg_lo:[0,0,1] neg_hi:[0,0,1]
	v_pk_fma_f32 v[4:5], v[6:7], v[0:1], v[4:5] op_sel:[0,0,1] op_sel_hi:[1,0,0]
	v_mov_b32_e32 v9, v5
	ds_load_b64 v[4:5], v26 offset:360
	v_pk_add_f32 v[172:173], v[172:173], v[10:11] neg_lo:[0,1] neg_hi:[0,1]
	v_pk_add_f32 v[180:181], v[180:181], v[8:9] neg_lo:[0,1] neg_hi:[0,1]
	s_wait_dscnt 0x0
	v_pk_mul_f32 v[2:3], v[4:5], v[2:3] op_sel:[0,1]
	s_delay_alu instid0(VALU_DEP_1) | instskip(SKIP_1) | instid1(VALU_DEP_1)
	v_pk_fma_f32 v[6:7], v[4:5], v[0:1], v[2:3] op_sel:[0,0,1] op_sel_hi:[1,1,0] neg_lo:[0,0,1] neg_hi:[0,0,1]
	v_pk_fma_f32 v[0:1], v[4:5], v[0:1], v[2:3] op_sel:[0,0,1] op_sel_hi:[1,0,0]
	v_mov_b32_e32 v7, v1
	s_delay_alu instid0(VALU_DEP_1)
	v_pk_add_f32 v[184:185], v[184:185], v[6:7] neg_lo:[0,1] neg_hi:[0,1]
.LBB91_154:
	s_or_b32 exec_lo, exec_lo, s1
	s_delay_alu instid0(SALU_CYCLE_1)
	s_mov_b32 s2, exec_lo
	s_wait_dscnt 0x0
	s_barrier_signal -1
	s_barrier_wait -1
	v_cmpx_eq_u32_e32 17, v34
	s_cbranch_execz .LBB91_161
; %bb.155:
	v_dual_mov_b32 v0, v64 :: v_dual_mov_b32 v1, v65
	v_dual_mov_b32 v2, v60 :: v_dual_mov_b32 v3, v61
	;; [unrolled: 1-line block ×4, first 2 shown]
	ds_store_b64 v35, v[62:63]
	ds_store_2addr_b64 v26, v[0:1], v[2:3] offset0:18 offset1:19
	ds_store_2addr_b64 v26, v[4:5], v[6:7] offset0:20 offset1:21
	v_dual_mov_b32 v0, v88 :: v_dual_mov_b32 v1, v89
	v_dual_mov_b32 v2, v84 :: v_dual_mov_b32 v3, v85
	;; [unrolled: 1-line block ×12, first 2 shown]
	ds_store_2addr_b64 v26, v[0:1], v[2:3] offset0:22 offset1:23
	ds_store_2addr_b64 v26, v[4:5], v[6:7] offset0:24 offset1:25
	;; [unrolled: 1-line block ×6, first 2 shown]
	v_dual_mov_b32 v0, v142 :: v_dual_mov_b32 v1, v143
	v_dual_mov_b32 v2, v138 :: v_dual_mov_b32 v3, v139
	;; [unrolled: 1-line block ×11, first 2 shown]
	ds_store_2addr_b64 v26, v[0:1], v[2:3] offset0:34 offset1:35
	ds_store_2addr_b64 v26, v[4:5], v[6:7] offset0:36 offset1:37
	;; [unrolled: 1-line block ×6, first 2 shown]
	ds_load_b64 v[0:1], v35
	s_wait_dscnt 0x0
	v_cmp_neq_f32_e32 vcc_lo, 0, v0
	v_cmp_neq_f32_e64 s1, 0, v1
	s_or_b32 s1, vcc_lo, s1
	s_delay_alu instid0(SALU_CYCLE_1)
	s_and_b32 exec_lo, exec_lo, s1
	s_cbranch_execz .LBB91_161
; %bb.156:
	v_cmp_ngt_f32_e64 s1, |v0|, |v1|
                                        ; implicit-def: $vgpr2_vgpr3
	s_and_saveexec_b32 s4, s1
	s_delay_alu instid0(SALU_CYCLE_1)
	s_xor_b32 s1, exec_lo, s4
	s_cbranch_execz .LBB91_158
; %bb.157:
	v_div_scale_f32 v2, null, v1, v1, v0
	v_div_scale_f32 v5, vcc_lo, v0, v1, v0
	s_delay_alu instid0(VALU_DEP_2) | instskip(SKIP_1) | instid1(TRANS32_DEP_1)
	v_rcp_f32_e32 v3, v2
	v_nop
	v_fma_f32 v4, -v2, v3, 1.0
	s_delay_alu instid0(VALU_DEP_1) | instskip(NEXT) | instid1(VALU_DEP_1)
	v_fmac_f32_e32 v3, v4, v3
	v_mul_f32_e32 v4, v5, v3
	s_delay_alu instid0(VALU_DEP_1) | instskip(NEXT) | instid1(VALU_DEP_1)
	v_fma_f32 v6, -v2, v4, v5
	v_fmac_f32_e32 v4, v6, v3
	s_delay_alu instid0(VALU_DEP_1) | instskip(NEXT) | instid1(VALU_DEP_1)
	v_fma_f32 v2, -v2, v4, v5
	v_div_fmas_f32 v2, v2, v3, v4
	s_delay_alu instid0(VALU_DEP_1) | instskip(NEXT) | instid1(VALU_DEP_1)
	v_div_fixup_f32 v2, v2, v1, v0
	v_fmac_f32_e32 v1, v0, v2
	s_delay_alu instid0(VALU_DEP_1) | instskip(SKIP_1) | instid1(VALU_DEP_2)
	v_div_scale_f32 v0, null, v1, v1, 1.0
	v_div_scale_f32 v5, vcc_lo, 1.0, v1, 1.0
	v_rcp_f32_e32 v3, v0
	v_nop
	s_delay_alu instid0(TRANS32_DEP_1) | instskip(NEXT) | instid1(VALU_DEP_1)
	v_fma_f32 v4, -v0, v3, 1.0
	v_fmac_f32_e32 v3, v4, v3
	s_delay_alu instid0(VALU_DEP_1) | instskip(NEXT) | instid1(VALU_DEP_1)
	v_mul_f32_e32 v4, v5, v3
	v_fma_f32 v6, -v0, v4, v5
	s_delay_alu instid0(VALU_DEP_1) | instskip(NEXT) | instid1(VALU_DEP_1)
	v_fmac_f32_e32 v4, v6, v3
	v_fma_f32 v0, -v0, v4, v5
	s_delay_alu instid0(VALU_DEP_1) | instskip(NEXT) | instid1(VALU_DEP_1)
	v_div_fmas_f32 v0, v0, v3, v4
	v_div_fixup_f32 v0, v0, v1, 1.0
	s_delay_alu instid0(VALU_DEP_1)
	v_mul_f32_e32 v2, v2, v0
	v_xor_b32_e32 v3, 0x80000000, v0
                                        ; implicit-def: $vgpr0_vgpr1
.LBB91_158:
	s_and_not1_saveexec_b32 s1, s1
	s_cbranch_execz .LBB91_160
; %bb.159:
	v_div_scale_f32 v2, null, v0, v0, v1
	v_div_scale_f32 v5, vcc_lo, v1, v0, v1
	s_delay_alu instid0(VALU_DEP_2) | instskip(SKIP_1) | instid1(TRANS32_DEP_1)
	v_rcp_f32_e32 v3, v2
	v_nop
	v_fma_f32 v4, -v2, v3, 1.0
	s_delay_alu instid0(VALU_DEP_1) | instskip(NEXT) | instid1(VALU_DEP_1)
	v_fmac_f32_e32 v3, v4, v3
	v_mul_f32_e32 v4, v5, v3
	s_delay_alu instid0(VALU_DEP_1) | instskip(NEXT) | instid1(VALU_DEP_1)
	v_fma_f32 v6, -v2, v4, v5
	v_fmac_f32_e32 v4, v6, v3
	s_delay_alu instid0(VALU_DEP_1) | instskip(NEXT) | instid1(VALU_DEP_1)
	v_fma_f32 v2, -v2, v4, v5
	v_div_fmas_f32 v2, v2, v3, v4
	s_delay_alu instid0(VALU_DEP_1) | instskip(NEXT) | instid1(VALU_DEP_1)
	v_div_fixup_f32 v3, v2, v0, v1
	v_fmac_f32_e32 v0, v1, v3
	s_delay_alu instid0(VALU_DEP_1) | instskip(NEXT) | instid1(VALU_DEP_1)
	v_div_scale_f32 v1, null, v0, v0, 1.0
	v_rcp_f32_e32 v2, v1
	v_nop
	s_delay_alu instid0(TRANS32_DEP_1) | instskip(NEXT) | instid1(VALU_DEP_1)
	v_fma_f32 v4, -v1, v2, 1.0
	v_fmac_f32_e32 v2, v4, v2
	v_div_scale_f32 v4, vcc_lo, 1.0, v0, 1.0
	s_delay_alu instid0(VALU_DEP_1) | instskip(NEXT) | instid1(VALU_DEP_1)
	v_mul_f32_e32 v5, v4, v2
	v_fma_f32 v6, -v1, v5, v4
	s_delay_alu instid0(VALU_DEP_1) | instskip(NEXT) | instid1(VALU_DEP_1)
	v_fmac_f32_e32 v5, v6, v2
	v_fma_f32 v1, -v1, v5, v4
	s_delay_alu instid0(VALU_DEP_1) | instskip(NEXT) | instid1(VALU_DEP_1)
	v_div_fmas_f32 v1, v1, v2, v5
	v_div_fixup_f32 v2, v1, v0, 1.0
	s_delay_alu instid0(VALU_DEP_1)
	v_mul_f32_e64 v3, v3, -v2
.LBB91_160:
	s_or_b32 exec_lo, exec_lo, s1
	ds_store_b64 v35, v[2:3]
.LBB91_161:
	s_or_b32 exec_lo, exec_lo, s2
	s_wait_dscnt 0x0
	s_barrier_signal -1
	s_barrier_wait -1
	ds_load_b64 v[220:221], v35
	s_mov_b32 s1, exec_lo
	v_cmpx_lt_u32_e32 17, v34
	s_cbranch_execz .LBB91_163
; %bb.162:
	ds_load_2addr_b64 v[4:7], v26 offset0:18 offset1:19
	s_wait_dscnt 0x1
	v_pk_mul_f32 v[2:3], v[220:221], v[62:63] op_sel:[1,1] op_sel_hi:[0,1]
	s_delay_alu instid0(VALU_DEP_1) | instskip(SKIP_1) | instid1(VALU_DEP_1)
	v_pk_fma_f32 v[0:1], v[220:221], v[62:63], v[2:3] op_sel_hi:[1,0,1] neg_lo:[0,0,1] neg_hi:[0,0,1]
	v_pk_fma_f32 v[2:3], v[220:221], v[62:63], v[2:3] op_sel_hi:[1,0,1]
	v_dual_mov_b32 v62, v0 :: v_dual_mov_b32 v63, v3
	s_wait_dscnt 0x0
	s_delay_alu instid0(VALU_DEP_2) | instskip(NEXT) | instid1(VALU_DEP_1)
	v_pk_mul_f32 v[8:9], v[4:5], v[2:3] op_sel:[0,1]
	v_pk_fma_f32 v[10:11], v[4:5], v[0:1], v[8:9] op_sel:[0,0,1] op_sel_hi:[1,1,0] neg_lo:[0,0,1] neg_hi:[0,0,1]
	v_pk_fma_f32 v[4:5], v[4:5], v[0:1], v[8:9] op_sel:[0,0,1] op_sel_hi:[1,0,0]
	s_delay_alu instid0(VALU_DEP_1) | instskip(SKIP_1) | instid1(VALU_DEP_1)
	v_mov_b32_e32 v11, v5
	v_pk_mul_f32 v[4:5], v[6:7], v[2:3] op_sel:[0,1]
	v_pk_fma_f32 v[8:9], v[6:7], v[0:1], v[4:5] op_sel:[0,0,1] op_sel_hi:[1,1,0] neg_lo:[0,0,1] neg_hi:[0,0,1]
	v_pk_fma_f32 v[4:5], v[6:7], v[0:1], v[4:5] op_sel:[0,0,1] op_sel_hi:[1,0,0]
	s_delay_alu instid0(VALU_DEP_1)
	v_mov_b32_e32 v9, v5
	ds_load_2addr_b64 v[4:7], v26 offset0:20 offset1:21
	v_pk_add_f32 v[64:65], v[64:65], v[10:11] neg_lo:[0,1] neg_hi:[0,1]
	v_pk_add_f32 v[60:61], v[60:61], v[8:9] neg_lo:[0,1] neg_hi:[0,1]
	s_wait_dscnt 0x0
	v_pk_mul_f32 v[8:9], v[4:5], v[2:3] op_sel:[0,1]
	s_delay_alu instid0(VALU_DEP_1) | instskip(SKIP_2) | instid1(VALU_DEP_2)
	v_pk_fma_f32 v[10:11], v[4:5], v[0:1], v[8:9] op_sel:[0,0,1] op_sel_hi:[1,1,0] neg_lo:[0,0,1] neg_hi:[0,0,1]
	v_pk_fma_f32 v[4:5], v[4:5], v[0:1], v[8:9] op_sel:[0,0,1] op_sel_hi:[1,0,0]
	v_dual_mul_f32 v8, v7, v3 :: v_dual_mov_b32 v4, v7
	v_dual_mov_b32 v11, v5 :: v_dual_mov_b32 v5, v6
	s_delay_alu instid0(VALU_DEP_2) | instskip(SKIP_1) | instid1(VALU_DEP_3)
	v_pk_fma_f32 v[8:9], v[6:7], v[62:63], v[8:9] op_sel_hi:[1,1,0] neg_lo:[0,0,1] neg_hi:[0,0,1]
	v_mul_f32_e32 v6, v7, v0
	v_pk_add_f32 v[90:91], v[90:91], v[10:11] neg_lo:[0,1] neg_hi:[0,1]
	s_delay_alu instid0(VALU_DEP_2) | instskip(NEXT) | instid1(VALU_DEP_1)
	v_pk_fma_f32 v[4:5], v[4:5], v[62:63], v[6:7] op_sel_hi:[1,1,0]
	v_mov_b32_e32 v9, v5
	ds_load_2addr_b64 v[4:7], v26 offset0:22 offset1:23
	v_pk_add_f32 v[86:87], v[86:87], v[8:9] neg_lo:[0,1] neg_hi:[0,1]
	s_wait_dscnt 0x0
	v_pk_mul_f32 v[8:9], v[4:5], v[2:3] op_sel:[0,1]
	s_delay_alu instid0(VALU_DEP_1) | instskip(SKIP_1) | instid1(VALU_DEP_1)
	v_pk_fma_f32 v[10:11], v[4:5], v[0:1], v[8:9] op_sel:[0,0,1] op_sel_hi:[1,1,0] neg_lo:[0,0,1] neg_hi:[0,0,1]
	v_pk_fma_f32 v[4:5], v[4:5], v[0:1], v[8:9] op_sel:[0,0,1] op_sel_hi:[1,0,0]
	v_mov_b32_e32 v11, v5
	v_pk_mul_f32 v[4:5], v[6:7], v[2:3] op_sel:[0,1]
	s_delay_alu instid0(VALU_DEP_1) | instskip(SKIP_1) | instid1(VALU_DEP_1)
	v_pk_fma_f32 v[8:9], v[6:7], v[0:1], v[4:5] op_sel:[0,0,1] op_sel_hi:[1,1,0] neg_lo:[0,0,1] neg_hi:[0,0,1]
	v_pk_fma_f32 v[4:5], v[6:7], v[0:1], v[4:5] op_sel:[0,0,1] op_sel_hi:[1,0,0]
	v_mov_b32_e32 v9, v5
	ds_load_2addr_b64 v[4:7], v26 offset0:24 offset1:25
	v_pk_add_f32 v[88:89], v[88:89], v[10:11] neg_lo:[0,1] neg_hi:[0,1]
	v_pk_add_f32 v[84:85], v[84:85], v[8:9] neg_lo:[0,1] neg_hi:[0,1]
	s_wait_dscnt 0x0
	v_pk_mul_f32 v[8:9], v[4:5], v[2:3] op_sel:[0,1]
	s_delay_alu instid0(VALU_DEP_1) | instskip(SKIP_1) | instid1(VALU_DEP_1)
	v_pk_fma_f32 v[10:11], v[4:5], v[0:1], v[8:9] op_sel:[0,0,1] op_sel_hi:[1,1,0] neg_lo:[0,0,1] neg_hi:[0,0,1]
	v_pk_fma_f32 v[4:5], v[4:5], v[0:1], v[8:9] op_sel:[0,0,1] op_sel_hi:[1,0,0]
	v_mov_b32_e32 v11, v5
	v_pk_mul_f32 v[4:5], v[6:7], v[2:3] op_sel:[0,1]
	s_delay_alu instid0(VALU_DEP_1) | instskip(SKIP_1) | instid1(VALU_DEP_1)
	v_pk_fma_f32 v[8:9], v[6:7], v[0:1], v[4:5] op_sel:[0,0,1] op_sel_hi:[1,1,0] neg_lo:[0,0,1] neg_hi:[0,0,1]
	v_pk_fma_f32 v[4:5], v[6:7], v[0:1], v[4:5] op_sel:[0,0,1] op_sel_hi:[1,0,0]
	v_mov_b32_e32 v9, v5
	ds_load_2addr_b64 v[4:7], v26 offset0:26 offset1:27
	v_pk_add_f32 v[112:113], v[112:113], v[10:11] neg_lo:[0,1] neg_hi:[0,1]
	v_pk_add_f32 v[108:109], v[108:109], v[8:9] neg_lo:[0,1] neg_hi:[0,1]
	s_wait_dscnt 0x0
	v_dual_mul_f32 v8, v5, v3 :: v_dual_mul_f32 v10, v5, v0
	s_delay_alu instid0(VALU_DEP_1) | instskip(NEXT) | instid1(VALU_DEP_2)
	v_pk_fma_f32 v[8:9], v[4:5], v[62:63], v[8:9] op_sel_hi:[1,1,0] neg_lo:[0,0,1] neg_hi:[0,0,1]
	v_pk_fma_f32 v[4:5], v[4:5], v[62:63], v[10:11] op_sel:[1,0,0] op_sel_hi:[0,1,0]
	s_delay_alu instid0(VALU_DEP_1) | instskip(SKIP_1) | instid1(VALU_DEP_2)
	v_mov_b32_e32 v9, v5
	v_pk_mul_f32 v[4:5], v[6:7], v[2:3] op_sel:[0,1]
	v_pk_add_f32 v[110:111], v[110:111], v[8:9] neg_lo:[0,1] neg_hi:[0,1]
	s_delay_alu instid0(VALU_DEP_2) | instskip(SKIP_1) | instid1(VALU_DEP_1)
	v_pk_fma_f32 v[8:9], v[6:7], v[0:1], v[4:5] op_sel:[0,0,1] op_sel_hi:[1,1,0] neg_lo:[0,0,1] neg_hi:[0,0,1]
	v_pk_fma_f32 v[4:5], v[6:7], v[0:1], v[4:5] op_sel:[0,0,1] op_sel_hi:[1,0,0]
	v_mov_b32_e32 v9, v5
	ds_load_2addr_b64 v[4:7], v26 offset0:28 offset1:29
	v_pk_add_f32 v[106:107], v[106:107], v[8:9] neg_lo:[0,1] neg_hi:[0,1]
	s_wait_dscnt 0x0
	v_pk_mul_f32 v[8:9], v[4:5], v[2:3] op_sel:[0,1]
	s_delay_alu instid0(VALU_DEP_1) | instskip(SKIP_1) | instid1(VALU_DEP_1)
	v_pk_fma_f32 v[10:11], v[4:5], v[0:1], v[8:9] op_sel:[0,0,1] op_sel_hi:[1,1,0] neg_lo:[0,0,1] neg_hi:[0,0,1]
	v_pk_fma_f32 v[4:5], v[4:5], v[0:1], v[8:9] op_sel:[0,0,1] op_sel_hi:[1,0,0]
	v_mov_b32_e32 v11, v5
	v_pk_mul_f32 v[4:5], v[6:7], v[2:3] op_sel:[0,1]
	s_delay_alu instid0(VALU_DEP_2) | instskip(NEXT) | instid1(VALU_DEP_2)
	v_pk_add_f32 v[128:129], v[128:129], v[10:11] neg_lo:[0,1] neg_hi:[0,1]
	v_pk_fma_f32 v[8:9], v[6:7], v[0:1], v[4:5] op_sel:[0,0,1] op_sel_hi:[1,1,0] neg_lo:[0,0,1] neg_hi:[0,0,1]
	v_pk_fma_f32 v[4:5], v[6:7], v[0:1], v[4:5] op_sel:[0,0,1] op_sel_hi:[1,0,0]
	s_delay_alu instid0(VALU_DEP_1) | instskip(SKIP_4) | instid1(VALU_DEP_1)
	v_mov_b32_e32 v9, v5
	ds_load_2addr_b64 v[4:7], v26 offset0:30 offset1:31
	v_pk_add_f32 v[124:125], v[124:125], v[8:9] neg_lo:[0,1] neg_hi:[0,1]
	s_wait_dscnt 0x0
	v_pk_mul_f32 v[8:9], v[4:5], v[2:3] op_sel:[0,1]
	v_pk_fma_f32 v[10:11], v[4:5], v[0:1], v[8:9] op_sel:[0,0,1] op_sel_hi:[1,1,0] neg_lo:[0,0,1] neg_hi:[0,0,1]
	v_pk_fma_f32 v[4:5], v[4:5], v[0:1], v[8:9] op_sel:[0,0,1] op_sel_hi:[1,0,0]
	v_dual_mul_f32 v8, v7, v3 :: v_dual_mov_b32 v4, v7
	s_delay_alu instid0(VALU_DEP_2) | instskip(NEXT) | instid1(VALU_DEP_2)
	v_dual_mov_b32 v11, v5 :: v_dual_mov_b32 v5, v6
	v_pk_fma_f32 v[8:9], v[6:7], v[62:63], v[8:9] op_sel_hi:[1,1,0] neg_lo:[0,0,1] neg_hi:[0,0,1]
	v_mul_f32_e32 v6, v7, v0
	s_delay_alu instid0(VALU_DEP_3) | instskip(NEXT) | instid1(VALU_DEP_2)
	v_pk_add_f32 v[126:127], v[126:127], v[10:11] neg_lo:[0,1] neg_hi:[0,1]
	v_pk_fma_f32 v[4:5], v[4:5], v[62:63], v[6:7] op_sel_hi:[1,1,0]
	s_delay_alu instid0(VALU_DEP_1) | instskip(SKIP_4) | instid1(VALU_DEP_1)
	v_mov_b32_e32 v9, v5
	ds_load_2addr_b64 v[4:7], v26 offset0:32 offset1:33
	v_pk_add_f32 v[122:123], v[122:123], v[8:9] neg_lo:[0,1] neg_hi:[0,1]
	s_wait_dscnt 0x0
	v_pk_mul_f32 v[8:9], v[4:5], v[2:3] op_sel:[0,1]
	v_pk_fma_f32 v[10:11], v[4:5], v[0:1], v[8:9] op_sel:[0,0,1] op_sel_hi:[1,1,0] neg_lo:[0,0,1] neg_hi:[0,0,1]
	v_pk_fma_f32 v[4:5], v[4:5], v[0:1], v[8:9] op_sel:[0,0,1] op_sel_hi:[1,0,0]
	s_delay_alu instid0(VALU_DEP_1) | instskip(SKIP_1) | instid1(VALU_DEP_1)
	v_mov_b32_e32 v11, v5
	v_pk_mul_f32 v[4:5], v[6:7], v[2:3] op_sel:[0,1]
	v_pk_fma_f32 v[8:9], v[6:7], v[0:1], v[4:5] op_sel:[0,0,1] op_sel_hi:[1,1,0] neg_lo:[0,0,1] neg_hi:[0,0,1]
	v_pk_fma_f32 v[4:5], v[6:7], v[0:1], v[4:5] op_sel:[0,0,1] op_sel_hi:[1,0,0]
	s_delay_alu instid0(VALU_DEP_1)
	v_mov_b32_e32 v9, v5
	ds_load_2addr_b64 v[4:7], v26 offset0:34 offset1:35
	v_pk_add_f32 v[144:145], v[144:145], v[10:11] neg_lo:[0,1] neg_hi:[0,1]
	v_pk_add_f32 v[140:141], v[140:141], v[8:9] neg_lo:[0,1] neg_hi:[0,1]
	s_wait_dscnt 0x0
	v_pk_mul_f32 v[8:9], v[4:5], v[2:3] op_sel:[0,1]
	s_delay_alu instid0(VALU_DEP_1) | instskip(SKIP_1) | instid1(VALU_DEP_1)
	v_pk_fma_f32 v[10:11], v[4:5], v[0:1], v[8:9] op_sel:[0,0,1] op_sel_hi:[1,1,0] neg_lo:[0,0,1] neg_hi:[0,0,1]
	v_pk_fma_f32 v[4:5], v[4:5], v[0:1], v[8:9] op_sel:[0,0,1] op_sel_hi:[1,0,0]
	v_mov_b32_e32 v11, v5
	v_pk_mul_f32 v[4:5], v[6:7], v[2:3] op_sel:[0,1]
	s_delay_alu instid0(VALU_DEP_1) | instskip(SKIP_1) | instid1(VALU_DEP_1)
	v_pk_fma_f32 v[8:9], v[6:7], v[0:1], v[4:5] op_sel:[0,0,1] op_sel_hi:[1,1,0] neg_lo:[0,0,1] neg_hi:[0,0,1]
	v_pk_fma_f32 v[4:5], v[6:7], v[0:1], v[4:5] op_sel:[0,0,1] op_sel_hi:[1,0,0]
	v_mov_b32_e32 v9, v5
	ds_load_2addr_b64 v[4:7], v26 offset0:36 offset1:37
	v_pk_add_f32 v[142:143], v[142:143], v[10:11] neg_lo:[0,1] neg_hi:[0,1]
	v_pk_add_f32 v[138:139], v[138:139], v[8:9] neg_lo:[0,1] neg_hi:[0,1]
	s_wait_dscnt 0x0
	v_dual_mul_f32 v8, v5, v3 :: v_dual_mul_f32 v10, v5, v0
	s_delay_alu instid0(VALU_DEP_1) | instskip(NEXT) | instid1(VALU_DEP_2)
	v_pk_fma_f32 v[8:9], v[4:5], v[62:63], v[8:9] op_sel_hi:[1,1,0] neg_lo:[0,0,1] neg_hi:[0,0,1]
	v_pk_fma_f32 v[4:5], v[4:5], v[62:63], v[10:11] op_sel:[1,0,0] op_sel_hi:[0,1,0]
	s_delay_alu instid0(VALU_DEP_1) | instskip(SKIP_1) | instid1(VALU_DEP_2)
	v_mov_b32_e32 v9, v5
	v_pk_mul_f32 v[4:5], v[6:7], v[2:3] op_sel:[0,1]
	v_pk_add_f32 v[162:163], v[162:163], v[8:9] neg_lo:[0,1] neg_hi:[0,1]
	s_delay_alu instid0(VALU_DEP_2) | instskip(SKIP_1) | instid1(VALU_DEP_1)
	v_pk_fma_f32 v[8:9], v[6:7], v[0:1], v[4:5] op_sel:[0,0,1] op_sel_hi:[1,1,0] neg_lo:[0,0,1] neg_hi:[0,0,1]
	v_pk_fma_f32 v[4:5], v[6:7], v[0:1], v[4:5] op_sel:[0,0,1] op_sel_hi:[1,0,0]
	v_mov_b32_e32 v9, v5
	ds_load_2addr_b64 v[4:7], v26 offset0:38 offset1:39
	v_pk_add_f32 v[158:159], v[158:159], v[8:9] neg_lo:[0,1] neg_hi:[0,1]
	s_wait_dscnt 0x0
	v_pk_mul_f32 v[8:9], v[4:5], v[2:3] op_sel:[0,1]
	s_delay_alu instid0(VALU_DEP_1) | instskip(SKIP_1) | instid1(VALU_DEP_1)
	v_pk_fma_f32 v[10:11], v[4:5], v[0:1], v[8:9] op_sel:[0,0,1] op_sel_hi:[1,1,0] neg_lo:[0,0,1] neg_hi:[0,0,1]
	v_pk_fma_f32 v[4:5], v[4:5], v[0:1], v[8:9] op_sel:[0,0,1] op_sel_hi:[1,0,0]
	v_mov_b32_e32 v11, v5
	v_pk_mul_f32 v[4:5], v[6:7], v[2:3] op_sel:[0,1]
	s_delay_alu instid0(VALU_DEP_2) | instskip(NEXT) | instid1(VALU_DEP_2)
	v_pk_add_f32 v[160:161], v[160:161], v[10:11] neg_lo:[0,1] neg_hi:[0,1]
	v_pk_fma_f32 v[8:9], v[6:7], v[0:1], v[4:5] op_sel:[0,0,1] op_sel_hi:[1,1,0] neg_lo:[0,0,1] neg_hi:[0,0,1]
	v_pk_fma_f32 v[4:5], v[6:7], v[0:1], v[4:5] op_sel:[0,0,1] op_sel_hi:[1,0,0]
	s_delay_alu instid0(VALU_DEP_1) | instskip(SKIP_4) | instid1(VALU_DEP_1)
	v_mov_b32_e32 v9, v5
	ds_load_2addr_b64 v[4:7], v26 offset0:40 offset1:41
	v_pk_add_f32 v[156:157], v[156:157], v[8:9] neg_lo:[0,1] neg_hi:[0,1]
	s_wait_dscnt 0x0
	v_pk_mul_f32 v[8:9], v[4:5], v[2:3] op_sel:[0,1]
	v_pk_fma_f32 v[10:11], v[4:5], v[0:1], v[8:9] op_sel:[0,0,1] op_sel_hi:[1,1,0] neg_lo:[0,0,1] neg_hi:[0,0,1]
	v_pk_fma_f32 v[4:5], v[4:5], v[0:1], v[8:9] op_sel:[0,0,1] op_sel_hi:[1,0,0]
	v_dual_mul_f32 v8, v7, v3 :: v_dual_mov_b32 v4, v7
	s_delay_alu instid0(VALU_DEP_2) | instskip(NEXT) | instid1(VALU_DEP_2)
	v_dual_mov_b32 v11, v5 :: v_dual_mov_b32 v5, v6
	v_pk_fma_f32 v[8:9], v[6:7], v[62:63], v[8:9] op_sel_hi:[1,1,0] neg_lo:[0,0,1] neg_hi:[0,0,1]
	v_mul_f32_e32 v6, v7, v0
	s_delay_alu instid0(VALU_DEP_3) | instskip(NEXT) | instid1(VALU_DEP_2)
	v_pk_add_f32 v[178:179], v[178:179], v[10:11] neg_lo:[0,1] neg_hi:[0,1]
	v_pk_fma_f32 v[4:5], v[4:5], v[62:63], v[6:7] op_sel_hi:[1,1,0]
	s_delay_alu instid0(VALU_DEP_1) | instskip(SKIP_4) | instid1(VALU_DEP_1)
	v_mov_b32_e32 v9, v5
	ds_load_2addr_b64 v[4:7], v26 offset0:42 offset1:43
	v_pk_add_f32 v[174:175], v[174:175], v[8:9] neg_lo:[0,1] neg_hi:[0,1]
	s_wait_dscnt 0x0
	v_pk_mul_f32 v[8:9], v[4:5], v[2:3] op_sel:[0,1]
	v_pk_fma_f32 v[10:11], v[4:5], v[0:1], v[8:9] op_sel:[0,0,1] op_sel_hi:[1,1,0] neg_lo:[0,0,1] neg_hi:[0,0,1]
	v_pk_fma_f32 v[4:5], v[4:5], v[0:1], v[8:9] op_sel:[0,0,1] op_sel_hi:[1,0,0]
	s_delay_alu instid0(VALU_DEP_1) | instskip(SKIP_1) | instid1(VALU_DEP_1)
	v_mov_b32_e32 v11, v5
	v_pk_mul_f32 v[4:5], v[6:7], v[2:3] op_sel:[0,1]
	v_pk_fma_f32 v[8:9], v[6:7], v[0:1], v[4:5] op_sel:[0,0,1] op_sel_hi:[1,1,0] neg_lo:[0,0,1] neg_hi:[0,0,1]
	v_pk_fma_f32 v[4:5], v[6:7], v[0:1], v[4:5] op_sel:[0,0,1] op_sel_hi:[1,0,0]
	s_delay_alu instid0(VALU_DEP_1)
	v_mov_b32_e32 v9, v5
	ds_load_2addr_b64 v[4:7], v26 offset0:44 offset1:45
	v_pk_add_f32 v[176:177], v[176:177], v[10:11] neg_lo:[0,1] neg_hi:[0,1]
	v_pk_add_f32 v[172:173], v[172:173], v[8:9] neg_lo:[0,1] neg_hi:[0,1]
	s_wait_dscnt 0x0
	v_pk_mul_f32 v[8:9], v[4:5], v[2:3] op_sel:[0,1]
	v_pk_mul_f32 v[2:3], v[6:7], v[2:3] op_sel:[0,1]
	s_delay_alu instid0(VALU_DEP_2) | instskip(SKIP_1) | instid1(VALU_DEP_1)
	v_pk_fma_f32 v[10:11], v[4:5], v[0:1], v[8:9] op_sel:[0,0,1] op_sel_hi:[1,1,0] neg_lo:[0,0,1] neg_hi:[0,0,1]
	v_pk_fma_f32 v[4:5], v[4:5], v[0:1], v[8:9] op_sel:[0,0,1] op_sel_hi:[1,0,0]
	v_mov_b32_e32 v11, v5
	s_delay_alu instid0(VALU_DEP_4) | instskip(SKIP_1) | instid1(VALU_DEP_1)
	v_pk_fma_f32 v[4:5], v[6:7], v[0:1], v[2:3] op_sel:[0,0,1] op_sel_hi:[1,1,0] neg_lo:[0,0,1] neg_hi:[0,0,1]
	v_pk_fma_f32 v[0:1], v[6:7], v[0:1], v[2:3] op_sel:[0,0,1] op_sel_hi:[1,0,0]
	v_mov_b32_e32 v5, v1
	s_delay_alu instid0(VALU_DEP_4) | instskip(NEXT) | instid1(VALU_DEP_2)
	v_pk_add_f32 v[180:181], v[180:181], v[10:11] neg_lo:[0,1] neg_hi:[0,1]
	v_pk_add_f32 v[184:185], v[184:185], v[4:5] neg_lo:[0,1] neg_hi:[0,1]
.LBB91_163:
	s_or_b32 exec_lo, exec_lo, s1
	s_delay_alu instid0(SALU_CYCLE_1)
	s_mov_b32 s2, exec_lo
	s_wait_dscnt 0x0
	s_barrier_signal -1
	s_barrier_wait -1
	v_cmpx_eq_u32_e32 18, v34
	s_cbranch_execz .LBB91_170
; %bb.164:
	ds_store_b64 v35, v[64:65]
	ds_store_2addr_b64 v26, v[60:61], v[90:91] offset0:19 offset1:20
	ds_store_2addr_b64 v26, v[86:87], v[88:89] offset0:21 offset1:22
	;; [unrolled: 1-line block ×13, first 2 shown]
	ds_store_b64 v26, v[184:185] offset:360
	ds_load_b64 v[0:1], v35
	s_wait_dscnt 0x0
	v_cmp_neq_f32_e32 vcc_lo, 0, v0
	v_cmp_neq_f32_e64 s1, 0, v1
	s_or_b32 s1, vcc_lo, s1
	s_delay_alu instid0(SALU_CYCLE_1)
	s_and_b32 exec_lo, exec_lo, s1
	s_cbranch_execz .LBB91_170
; %bb.165:
	v_cmp_ngt_f32_e64 s1, |v0|, |v1|
                                        ; implicit-def: $vgpr2_vgpr3
	s_and_saveexec_b32 s4, s1
	s_delay_alu instid0(SALU_CYCLE_1)
	s_xor_b32 s1, exec_lo, s4
	s_cbranch_execz .LBB91_167
; %bb.166:
	v_div_scale_f32 v2, null, v1, v1, v0
	v_div_scale_f32 v5, vcc_lo, v0, v1, v0
	s_delay_alu instid0(VALU_DEP_2) | instskip(SKIP_1) | instid1(TRANS32_DEP_1)
	v_rcp_f32_e32 v3, v2
	v_nop
	v_fma_f32 v4, -v2, v3, 1.0
	s_delay_alu instid0(VALU_DEP_1) | instskip(NEXT) | instid1(VALU_DEP_1)
	v_fmac_f32_e32 v3, v4, v3
	v_mul_f32_e32 v4, v5, v3
	s_delay_alu instid0(VALU_DEP_1) | instskip(NEXT) | instid1(VALU_DEP_1)
	v_fma_f32 v6, -v2, v4, v5
	v_fmac_f32_e32 v4, v6, v3
	s_delay_alu instid0(VALU_DEP_1) | instskip(NEXT) | instid1(VALU_DEP_1)
	v_fma_f32 v2, -v2, v4, v5
	v_div_fmas_f32 v2, v2, v3, v4
	s_delay_alu instid0(VALU_DEP_1) | instskip(NEXT) | instid1(VALU_DEP_1)
	v_div_fixup_f32 v2, v2, v1, v0
	v_fmac_f32_e32 v1, v0, v2
	s_delay_alu instid0(VALU_DEP_1) | instskip(SKIP_1) | instid1(VALU_DEP_2)
	v_div_scale_f32 v0, null, v1, v1, 1.0
	v_div_scale_f32 v5, vcc_lo, 1.0, v1, 1.0
	v_rcp_f32_e32 v3, v0
	v_nop
	s_delay_alu instid0(TRANS32_DEP_1) | instskip(NEXT) | instid1(VALU_DEP_1)
	v_fma_f32 v4, -v0, v3, 1.0
	v_fmac_f32_e32 v3, v4, v3
	s_delay_alu instid0(VALU_DEP_1) | instskip(NEXT) | instid1(VALU_DEP_1)
	v_mul_f32_e32 v4, v5, v3
	v_fma_f32 v6, -v0, v4, v5
	s_delay_alu instid0(VALU_DEP_1) | instskip(NEXT) | instid1(VALU_DEP_1)
	v_fmac_f32_e32 v4, v6, v3
	v_fma_f32 v0, -v0, v4, v5
	s_delay_alu instid0(VALU_DEP_1) | instskip(NEXT) | instid1(VALU_DEP_1)
	v_div_fmas_f32 v0, v0, v3, v4
	v_div_fixup_f32 v0, v0, v1, 1.0
	s_delay_alu instid0(VALU_DEP_1)
	v_mul_f32_e32 v2, v2, v0
	v_xor_b32_e32 v3, 0x80000000, v0
                                        ; implicit-def: $vgpr0_vgpr1
.LBB91_167:
	s_and_not1_saveexec_b32 s1, s1
	s_cbranch_execz .LBB91_169
; %bb.168:
	v_div_scale_f32 v2, null, v0, v0, v1
	v_div_scale_f32 v5, vcc_lo, v1, v0, v1
	s_delay_alu instid0(VALU_DEP_2) | instskip(SKIP_1) | instid1(TRANS32_DEP_1)
	v_rcp_f32_e32 v3, v2
	v_nop
	v_fma_f32 v4, -v2, v3, 1.0
	s_delay_alu instid0(VALU_DEP_1) | instskip(NEXT) | instid1(VALU_DEP_1)
	v_fmac_f32_e32 v3, v4, v3
	v_mul_f32_e32 v4, v5, v3
	s_delay_alu instid0(VALU_DEP_1) | instskip(NEXT) | instid1(VALU_DEP_1)
	v_fma_f32 v6, -v2, v4, v5
	v_fmac_f32_e32 v4, v6, v3
	s_delay_alu instid0(VALU_DEP_1) | instskip(NEXT) | instid1(VALU_DEP_1)
	v_fma_f32 v2, -v2, v4, v5
	v_div_fmas_f32 v2, v2, v3, v4
	s_delay_alu instid0(VALU_DEP_1) | instskip(NEXT) | instid1(VALU_DEP_1)
	v_div_fixup_f32 v3, v2, v0, v1
	v_fmac_f32_e32 v0, v1, v3
	s_delay_alu instid0(VALU_DEP_1) | instskip(NEXT) | instid1(VALU_DEP_1)
	v_div_scale_f32 v1, null, v0, v0, 1.0
	v_rcp_f32_e32 v2, v1
	v_nop
	s_delay_alu instid0(TRANS32_DEP_1) | instskip(NEXT) | instid1(VALU_DEP_1)
	v_fma_f32 v4, -v1, v2, 1.0
	v_fmac_f32_e32 v2, v4, v2
	v_div_scale_f32 v4, vcc_lo, 1.0, v0, 1.0
	s_delay_alu instid0(VALU_DEP_1) | instskip(NEXT) | instid1(VALU_DEP_1)
	v_mul_f32_e32 v5, v4, v2
	v_fma_f32 v6, -v1, v5, v4
	s_delay_alu instid0(VALU_DEP_1) | instskip(NEXT) | instid1(VALU_DEP_1)
	v_fmac_f32_e32 v5, v6, v2
	v_fma_f32 v1, -v1, v5, v4
	s_delay_alu instid0(VALU_DEP_1) | instskip(NEXT) | instid1(VALU_DEP_1)
	v_div_fmas_f32 v1, v1, v2, v5
	v_div_fixup_f32 v2, v1, v0, 1.0
	s_delay_alu instid0(VALU_DEP_1)
	v_mul_f32_e64 v3, v3, -v2
.LBB91_169:
	s_or_b32 exec_lo, exec_lo, s1
	ds_store_b64 v35, v[2:3]
.LBB91_170:
	s_or_b32 exec_lo, exec_lo, s2
	s_wait_dscnt 0x0
	s_barrier_signal -1
	s_barrier_wait -1
	ds_load_b64 v[222:223], v35
	s_mov_b32 s1, exec_lo
	v_cmpx_lt_u32_e32 18, v34
	s_cbranch_execz .LBB91_172
; %bb.171:
	ds_load_2addr_b64 v[4:7], v26 offset0:19 offset1:20
	s_wait_dscnt 0x1
	v_pk_mul_f32 v[2:3], v[222:223], v[64:65] op_sel:[1,1] op_sel_hi:[0,1]
	s_delay_alu instid0(VALU_DEP_1) | instskip(SKIP_1) | instid1(VALU_DEP_1)
	v_pk_fma_f32 v[0:1], v[222:223], v[64:65], v[2:3] op_sel_hi:[1,0,1] neg_lo:[0,0,1] neg_hi:[0,0,1]
	v_pk_fma_f32 v[2:3], v[222:223], v[64:65], v[2:3] op_sel_hi:[1,0,1]
	v_dual_mov_b32 v64, v0 :: v_dual_mov_b32 v65, v3
	s_wait_dscnt 0x0
	s_delay_alu instid0(VALU_DEP_2) | instskip(NEXT) | instid1(VALU_DEP_1)
	v_pk_mul_f32 v[8:9], v[4:5], v[2:3] op_sel:[0,1]
	v_pk_fma_f32 v[10:11], v[4:5], v[0:1], v[8:9] op_sel:[0,0,1] op_sel_hi:[1,1,0] neg_lo:[0,0,1] neg_hi:[0,0,1]
	v_pk_fma_f32 v[4:5], v[4:5], v[0:1], v[8:9] op_sel:[0,0,1] op_sel_hi:[1,0,0]
	s_delay_alu instid0(VALU_DEP_1) | instskip(SKIP_1) | instid1(VALU_DEP_1)
	v_mov_b32_e32 v11, v5
	v_pk_mul_f32 v[4:5], v[6:7], v[2:3] op_sel:[0,1]
	v_pk_fma_f32 v[8:9], v[6:7], v[0:1], v[4:5] op_sel:[0,0,1] op_sel_hi:[1,1,0] neg_lo:[0,0,1] neg_hi:[0,0,1]
	v_pk_fma_f32 v[4:5], v[6:7], v[0:1], v[4:5] op_sel:[0,0,1] op_sel_hi:[1,0,0]
	s_delay_alu instid0(VALU_DEP_1)
	v_mov_b32_e32 v9, v5
	ds_load_2addr_b64 v[4:7], v26 offset0:21 offset1:22
	v_pk_add_f32 v[60:61], v[60:61], v[10:11] neg_lo:[0,1] neg_hi:[0,1]
	v_pk_add_f32 v[90:91], v[90:91], v[8:9] neg_lo:[0,1] neg_hi:[0,1]
	s_wait_dscnt 0x0
	v_pk_mul_f32 v[8:9], v[4:5], v[2:3] op_sel:[0,1]
	s_delay_alu instid0(VALU_DEP_1) | instskip(SKIP_2) | instid1(VALU_DEP_2)
	v_pk_fma_f32 v[10:11], v[4:5], v[0:1], v[8:9] op_sel:[0,0,1] op_sel_hi:[1,1,0] neg_lo:[0,0,1] neg_hi:[0,0,1]
	v_pk_fma_f32 v[4:5], v[4:5], v[0:1], v[8:9] op_sel:[0,0,1] op_sel_hi:[1,0,0]
	v_dual_mul_f32 v8, v7, v3 :: v_dual_mov_b32 v4, v7
	v_dual_mov_b32 v11, v5 :: v_dual_mov_b32 v5, v6
	s_delay_alu instid0(VALU_DEP_2) | instskip(SKIP_1) | instid1(VALU_DEP_3)
	v_pk_fma_f32 v[8:9], v[6:7], v[64:65], v[8:9] op_sel_hi:[1,1,0] neg_lo:[0,0,1] neg_hi:[0,0,1]
	v_mul_f32_e32 v6, v7, v0
	v_pk_add_f32 v[86:87], v[86:87], v[10:11] neg_lo:[0,1] neg_hi:[0,1]
	s_delay_alu instid0(VALU_DEP_2) | instskip(NEXT) | instid1(VALU_DEP_1)
	v_pk_fma_f32 v[4:5], v[4:5], v[64:65], v[6:7] op_sel_hi:[1,1,0]
	v_mov_b32_e32 v9, v5
	ds_load_2addr_b64 v[4:7], v26 offset0:23 offset1:24
	v_pk_add_f32 v[88:89], v[88:89], v[8:9] neg_lo:[0,1] neg_hi:[0,1]
	s_wait_dscnt 0x0
	v_pk_mul_f32 v[8:9], v[4:5], v[2:3] op_sel:[0,1]
	s_delay_alu instid0(VALU_DEP_1) | instskip(SKIP_1) | instid1(VALU_DEP_1)
	v_pk_fma_f32 v[10:11], v[4:5], v[0:1], v[8:9] op_sel:[0,0,1] op_sel_hi:[1,1,0] neg_lo:[0,0,1] neg_hi:[0,0,1]
	v_pk_fma_f32 v[4:5], v[4:5], v[0:1], v[8:9] op_sel:[0,0,1] op_sel_hi:[1,0,0]
	v_mov_b32_e32 v11, v5
	v_pk_mul_f32 v[4:5], v[6:7], v[2:3] op_sel:[0,1]
	s_delay_alu instid0(VALU_DEP_1) | instskip(SKIP_1) | instid1(VALU_DEP_1)
	v_pk_fma_f32 v[8:9], v[6:7], v[0:1], v[4:5] op_sel:[0,0,1] op_sel_hi:[1,1,0] neg_lo:[0,0,1] neg_hi:[0,0,1]
	v_pk_fma_f32 v[4:5], v[6:7], v[0:1], v[4:5] op_sel:[0,0,1] op_sel_hi:[1,0,0]
	v_mov_b32_e32 v9, v5
	ds_load_2addr_b64 v[4:7], v26 offset0:25 offset1:26
	v_pk_add_f32 v[84:85], v[84:85], v[10:11] neg_lo:[0,1] neg_hi:[0,1]
	v_pk_add_f32 v[112:113], v[112:113], v[8:9] neg_lo:[0,1] neg_hi:[0,1]
	s_wait_dscnt 0x0
	v_pk_mul_f32 v[8:9], v[4:5], v[2:3] op_sel:[0,1]
	s_delay_alu instid0(VALU_DEP_1) | instskip(SKIP_1) | instid1(VALU_DEP_1)
	v_pk_fma_f32 v[10:11], v[4:5], v[0:1], v[8:9] op_sel:[0,0,1] op_sel_hi:[1,1,0] neg_lo:[0,0,1] neg_hi:[0,0,1]
	v_pk_fma_f32 v[4:5], v[4:5], v[0:1], v[8:9] op_sel:[0,0,1] op_sel_hi:[1,0,0]
	v_mov_b32_e32 v11, v5
	v_pk_mul_f32 v[4:5], v[6:7], v[2:3] op_sel:[0,1]
	s_delay_alu instid0(VALU_DEP_1) | instskip(SKIP_1) | instid1(VALU_DEP_1)
	v_pk_fma_f32 v[8:9], v[6:7], v[0:1], v[4:5] op_sel:[0,0,1] op_sel_hi:[1,1,0] neg_lo:[0,0,1] neg_hi:[0,0,1]
	v_pk_fma_f32 v[4:5], v[6:7], v[0:1], v[4:5] op_sel:[0,0,1] op_sel_hi:[1,0,0]
	v_mov_b32_e32 v9, v5
	ds_load_2addr_b64 v[4:7], v26 offset0:27 offset1:28
	v_pk_add_f32 v[108:109], v[108:109], v[10:11] neg_lo:[0,1] neg_hi:[0,1]
	v_pk_add_f32 v[110:111], v[110:111], v[8:9] neg_lo:[0,1] neg_hi:[0,1]
	s_wait_dscnt 0x0
	v_dual_mul_f32 v8, v5, v3 :: v_dual_mul_f32 v10, v5, v0
	s_delay_alu instid0(VALU_DEP_1) | instskip(NEXT) | instid1(VALU_DEP_2)
	v_pk_fma_f32 v[8:9], v[4:5], v[64:65], v[8:9] op_sel_hi:[1,1,0] neg_lo:[0,0,1] neg_hi:[0,0,1]
	v_pk_fma_f32 v[4:5], v[4:5], v[64:65], v[10:11] op_sel:[1,0,0] op_sel_hi:[0,1,0]
	s_delay_alu instid0(VALU_DEP_1) | instskip(SKIP_1) | instid1(VALU_DEP_2)
	v_mov_b32_e32 v9, v5
	v_pk_mul_f32 v[4:5], v[6:7], v[2:3] op_sel:[0,1]
	v_pk_add_f32 v[106:107], v[106:107], v[8:9] neg_lo:[0,1] neg_hi:[0,1]
	s_delay_alu instid0(VALU_DEP_2) | instskip(SKIP_1) | instid1(VALU_DEP_1)
	v_pk_fma_f32 v[8:9], v[6:7], v[0:1], v[4:5] op_sel:[0,0,1] op_sel_hi:[1,1,0] neg_lo:[0,0,1] neg_hi:[0,0,1]
	v_pk_fma_f32 v[4:5], v[6:7], v[0:1], v[4:5] op_sel:[0,0,1] op_sel_hi:[1,0,0]
	v_mov_b32_e32 v9, v5
	ds_load_2addr_b64 v[4:7], v26 offset0:29 offset1:30
	v_pk_add_f32 v[128:129], v[128:129], v[8:9] neg_lo:[0,1] neg_hi:[0,1]
	s_wait_dscnt 0x0
	v_pk_mul_f32 v[8:9], v[4:5], v[2:3] op_sel:[0,1]
	s_delay_alu instid0(VALU_DEP_1) | instskip(SKIP_1) | instid1(VALU_DEP_1)
	v_pk_fma_f32 v[10:11], v[4:5], v[0:1], v[8:9] op_sel:[0,0,1] op_sel_hi:[1,1,0] neg_lo:[0,0,1] neg_hi:[0,0,1]
	v_pk_fma_f32 v[4:5], v[4:5], v[0:1], v[8:9] op_sel:[0,0,1] op_sel_hi:[1,0,0]
	v_mov_b32_e32 v11, v5
	v_pk_mul_f32 v[4:5], v[6:7], v[2:3] op_sel:[0,1]
	s_delay_alu instid0(VALU_DEP_2) | instskip(NEXT) | instid1(VALU_DEP_2)
	v_pk_add_f32 v[124:125], v[124:125], v[10:11] neg_lo:[0,1] neg_hi:[0,1]
	v_pk_fma_f32 v[8:9], v[6:7], v[0:1], v[4:5] op_sel:[0,0,1] op_sel_hi:[1,1,0] neg_lo:[0,0,1] neg_hi:[0,0,1]
	v_pk_fma_f32 v[4:5], v[6:7], v[0:1], v[4:5] op_sel:[0,0,1] op_sel_hi:[1,0,0]
	s_delay_alu instid0(VALU_DEP_1) | instskip(SKIP_4) | instid1(VALU_DEP_1)
	v_mov_b32_e32 v9, v5
	ds_load_2addr_b64 v[4:7], v26 offset0:31 offset1:32
	v_pk_add_f32 v[126:127], v[126:127], v[8:9] neg_lo:[0,1] neg_hi:[0,1]
	s_wait_dscnt 0x0
	v_pk_mul_f32 v[8:9], v[4:5], v[2:3] op_sel:[0,1]
	v_pk_fma_f32 v[10:11], v[4:5], v[0:1], v[8:9] op_sel:[0,0,1] op_sel_hi:[1,1,0] neg_lo:[0,0,1] neg_hi:[0,0,1]
	v_pk_fma_f32 v[4:5], v[4:5], v[0:1], v[8:9] op_sel:[0,0,1] op_sel_hi:[1,0,0]
	v_dual_mul_f32 v8, v7, v3 :: v_dual_mov_b32 v4, v7
	s_delay_alu instid0(VALU_DEP_2) | instskip(NEXT) | instid1(VALU_DEP_2)
	v_dual_mov_b32 v11, v5 :: v_dual_mov_b32 v5, v6
	v_pk_fma_f32 v[8:9], v[6:7], v[64:65], v[8:9] op_sel_hi:[1,1,0] neg_lo:[0,0,1] neg_hi:[0,0,1]
	v_mul_f32_e32 v6, v7, v0
	s_delay_alu instid0(VALU_DEP_3) | instskip(NEXT) | instid1(VALU_DEP_2)
	v_pk_add_f32 v[122:123], v[122:123], v[10:11] neg_lo:[0,1] neg_hi:[0,1]
	v_pk_fma_f32 v[4:5], v[4:5], v[64:65], v[6:7] op_sel_hi:[1,1,0]
	s_delay_alu instid0(VALU_DEP_1) | instskip(SKIP_4) | instid1(VALU_DEP_1)
	v_mov_b32_e32 v9, v5
	ds_load_2addr_b64 v[4:7], v26 offset0:33 offset1:34
	v_pk_add_f32 v[144:145], v[144:145], v[8:9] neg_lo:[0,1] neg_hi:[0,1]
	s_wait_dscnt 0x0
	v_pk_mul_f32 v[8:9], v[4:5], v[2:3] op_sel:[0,1]
	v_pk_fma_f32 v[10:11], v[4:5], v[0:1], v[8:9] op_sel:[0,0,1] op_sel_hi:[1,1,0] neg_lo:[0,0,1] neg_hi:[0,0,1]
	v_pk_fma_f32 v[4:5], v[4:5], v[0:1], v[8:9] op_sel:[0,0,1] op_sel_hi:[1,0,0]
	s_delay_alu instid0(VALU_DEP_1) | instskip(SKIP_1) | instid1(VALU_DEP_1)
	v_mov_b32_e32 v11, v5
	v_pk_mul_f32 v[4:5], v[6:7], v[2:3] op_sel:[0,1]
	v_pk_fma_f32 v[8:9], v[6:7], v[0:1], v[4:5] op_sel:[0,0,1] op_sel_hi:[1,1,0] neg_lo:[0,0,1] neg_hi:[0,0,1]
	v_pk_fma_f32 v[4:5], v[6:7], v[0:1], v[4:5] op_sel:[0,0,1] op_sel_hi:[1,0,0]
	s_delay_alu instid0(VALU_DEP_1)
	v_mov_b32_e32 v9, v5
	ds_load_2addr_b64 v[4:7], v26 offset0:35 offset1:36
	v_pk_add_f32 v[140:141], v[140:141], v[10:11] neg_lo:[0,1] neg_hi:[0,1]
	v_pk_add_f32 v[142:143], v[142:143], v[8:9] neg_lo:[0,1] neg_hi:[0,1]
	s_wait_dscnt 0x0
	v_pk_mul_f32 v[8:9], v[4:5], v[2:3] op_sel:[0,1]
	s_delay_alu instid0(VALU_DEP_1) | instskip(SKIP_1) | instid1(VALU_DEP_1)
	v_pk_fma_f32 v[10:11], v[4:5], v[0:1], v[8:9] op_sel:[0,0,1] op_sel_hi:[1,1,0] neg_lo:[0,0,1] neg_hi:[0,0,1]
	v_pk_fma_f32 v[4:5], v[4:5], v[0:1], v[8:9] op_sel:[0,0,1] op_sel_hi:[1,0,0]
	v_mov_b32_e32 v11, v5
	v_pk_mul_f32 v[4:5], v[6:7], v[2:3] op_sel:[0,1]
	s_delay_alu instid0(VALU_DEP_1) | instskip(SKIP_1) | instid1(VALU_DEP_1)
	v_pk_fma_f32 v[8:9], v[6:7], v[0:1], v[4:5] op_sel:[0,0,1] op_sel_hi:[1,1,0] neg_lo:[0,0,1] neg_hi:[0,0,1]
	v_pk_fma_f32 v[4:5], v[6:7], v[0:1], v[4:5] op_sel:[0,0,1] op_sel_hi:[1,0,0]
	v_mov_b32_e32 v9, v5
	ds_load_2addr_b64 v[4:7], v26 offset0:37 offset1:38
	v_pk_add_f32 v[138:139], v[138:139], v[10:11] neg_lo:[0,1] neg_hi:[0,1]
	v_pk_add_f32 v[162:163], v[162:163], v[8:9] neg_lo:[0,1] neg_hi:[0,1]
	s_wait_dscnt 0x0
	v_dual_mul_f32 v8, v5, v3 :: v_dual_mul_f32 v10, v5, v0
	s_delay_alu instid0(VALU_DEP_1) | instskip(NEXT) | instid1(VALU_DEP_2)
	v_pk_fma_f32 v[8:9], v[4:5], v[64:65], v[8:9] op_sel_hi:[1,1,0] neg_lo:[0,0,1] neg_hi:[0,0,1]
	v_pk_fma_f32 v[4:5], v[4:5], v[64:65], v[10:11] op_sel:[1,0,0] op_sel_hi:[0,1,0]
	s_delay_alu instid0(VALU_DEP_1) | instskip(SKIP_1) | instid1(VALU_DEP_2)
	v_mov_b32_e32 v9, v5
	v_pk_mul_f32 v[4:5], v[6:7], v[2:3] op_sel:[0,1]
	v_pk_add_f32 v[158:159], v[158:159], v[8:9] neg_lo:[0,1] neg_hi:[0,1]
	s_delay_alu instid0(VALU_DEP_2) | instskip(SKIP_1) | instid1(VALU_DEP_1)
	v_pk_fma_f32 v[8:9], v[6:7], v[0:1], v[4:5] op_sel:[0,0,1] op_sel_hi:[1,1,0] neg_lo:[0,0,1] neg_hi:[0,0,1]
	v_pk_fma_f32 v[4:5], v[6:7], v[0:1], v[4:5] op_sel:[0,0,1] op_sel_hi:[1,0,0]
	v_mov_b32_e32 v9, v5
	ds_load_2addr_b64 v[4:7], v26 offset0:39 offset1:40
	v_pk_add_f32 v[160:161], v[160:161], v[8:9] neg_lo:[0,1] neg_hi:[0,1]
	s_wait_dscnt 0x0
	v_pk_mul_f32 v[8:9], v[4:5], v[2:3] op_sel:[0,1]
	s_delay_alu instid0(VALU_DEP_1) | instskip(SKIP_1) | instid1(VALU_DEP_1)
	v_pk_fma_f32 v[10:11], v[4:5], v[0:1], v[8:9] op_sel:[0,0,1] op_sel_hi:[1,1,0] neg_lo:[0,0,1] neg_hi:[0,0,1]
	v_pk_fma_f32 v[4:5], v[4:5], v[0:1], v[8:9] op_sel:[0,0,1] op_sel_hi:[1,0,0]
	v_mov_b32_e32 v11, v5
	v_pk_mul_f32 v[4:5], v[6:7], v[2:3] op_sel:[0,1]
	s_delay_alu instid0(VALU_DEP_2) | instskip(NEXT) | instid1(VALU_DEP_2)
	v_pk_add_f32 v[156:157], v[156:157], v[10:11] neg_lo:[0,1] neg_hi:[0,1]
	v_pk_fma_f32 v[8:9], v[6:7], v[0:1], v[4:5] op_sel:[0,0,1] op_sel_hi:[1,1,0] neg_lo:[0,0,1] neg_hi:[0,0,1]
	v_pk_fma_f32 v[4:5], v[6:7], v[0:1], v[4:5] op_sel:[0,0,1] op_sel_hi:[1,0,0]
	s_delay_alu instid0(VALU_DEP_1) | instskip(SKIP_4) | instid1(VALU_DEP_1)
	v_mov_b32_e32 v9, v5
	ds_load_2addr_b64 v[4:7], v26 offset0:41 offset1:42
	v_pk_add_f32 v[178:179], v[178:179], v[8:9] neg_lo:[0,1] neg_hi:[0,1]
	s_wait_dscnt 0x0
	v_pk_mul_f32 v[8:9], v[4:5], v[2:3] op_sel:[0,1]
	v_pk_fma_f32 v[10:11], v[4:5], v[0:1], v[8:9] op_sel:[0,0,1] op_sel_hi:[1,1,0] neg_lo:[0,0,1] neg_hi:[0,0,1]
	v_pk_fma_f32 v[4:5], v[4:5], v[0:1], v[8:9] op_sel:[0,0,1] op_sel_hi:[1,0,0]
	v_dual_mul_f32 v8, v7, v3 :: v_dual_mov_b32 v4, v7
	s_delay_alu instid0(VALU_DEP_2) | instskip(NEXT) | instid1(VALU_DEP_2)
	v_dual_mov_b32 v11, v5 :: v_dual_mov_b32 v5, v6
	v_pk_fma_f32 v[8:9], v[6:7], v[64:65], v[8:9] op_sel_hi:[1,1,0] neg_lo:[0,0,1] neg_hi:[0,0,1]
	v_mul_f32_e32 v6, v7, v0
	s_delay_alu instid0(VALU_DEP_3) | instskip(NEXT) | instid1(VALU_DEP_2)
	v_pk_add_f32 v[174:175], v[174:175], v[10:11] neg_lo:[0,1] neg_hi:[0,1]
	v_pk_fma_f32 v[4:5], v[4:5], v[64:65], v[6:7] op_sel_hi:[1,1,0]
	s_delay_alu instid0(VALU_DEP_1) | instskip(SKIP_4) | instid1(VALU_DEP_1)
	v_mov_b32_e32 v9, v5
	ds_load_2addr_b64 v[4:7], v26 offset0:43 offset1:44
	v_pk_add_f32 v[176:177], v[176:177], v[8:9] neg_lo:[0,1] neg_hi:[0,1]
	s_wait_dscnt 0x0
	v_pk_mul_f32 v[8:9], v[4:5], v[2:3] op_sel:[0,1]
	v_pk_fma_f32 v[10:11], v[4:5], v[0:1], v[8:9] op_sel:[0,0,1] op_sel_hi:[1,1,0] neg_lo:[0,0,1] neg_hi:[0,0,1]
	v_pk_fma_f32 v[4:5], v[4:5], v[0:1], v[8:9] op_sel:[0,0,1] op_sel_hi:[1,0,0]
	s_delay_alu instid0(VALU_DEP_1) | instskip(SKIP_1) | instid1(VALU_DEP_1)
	v_mov_b32_e32 v11, v5
	v_pk_mul_f32 v[4:5], v[6:7], v[2:3] op_sel:[0,1]
	v_pk_fma_f32 v[8:9], v[6:7], v[0:1], v[4:5] op_sel:[0,0,1] op_sel_hi:[1,1,0] neg_lo:[0,0,1] neg_hi:[0,0,1]
	v_pk_fma_f32 v[4:5], v[6:7], v[0:1], v[4:5] op_sel:[0,0,1] op_sel_hi:[1,0,0]
	s_delay_alu instid0(VALU_DEP_1)
	v_mov_b32_e32 v9, v5
	ds_load_b64 v[4:5], v26 offset:360
	v_pk_add_f32 v[172:173], v[172:173], v[10:11] neg_lo:[0,1] neg_hi:[0,1]
	v_pk_add_f32 v[180:181], v[180:181], v[8:9] neg_lo:[0,1] neg_hi:[0,1]
	s_wait_dscnt 0x0
	v_pk_mul_f32 v[2:3], v[4:5], v[2:3] op_sel:[0,1]
	s_delay_alu instid0(VALU_DEP_1) | instskip(SKIP_1) | instid1(VALU_DEP_1)
	v_pk_fma_f32 v[6:7], v[4:5], v[0:1], v[2:3] op_sel:[0,0,1] op_sel_hi:[1,1,0] neg_lo:[0,0,1] neg_hi:[0,0,1]
	v_pk_fma_f32 v[0:1], v[4:5], v[0:1], v[2:3] op_sel:[0,0,1] op_sel_hi:[1,0,0]
	v_mov_b32_e32 v7, v1
	s_delay_alu instid0(VALU_DEP_1)
	v_pk_add_f32 v[184:185], v[184:185], v[6:7] neg_lo:[0,1] neg_hi:[0,1]
.LBB91_172:
	s_or_b32 exec_lo, exec_lo, s1
	s_delay_alu instid0(SALU_CYCLE_1)
	s_mov_b32 s2, exec_lo
	s_wait_dscnt 0x0
	s_barrier_signal -1
	s_barrier_wait -1
	v_cmpx_eq_u32_e32 19, v34
	s_cbranch_execz .LBB91_179
; %bb.173:
	v_dual_mov_b32 v0, v90 :: v_dual_mov_b32 v1, v91
	v_dual_mov_b32 v2, v86 :: v_dual_mov_b32 v3, v87
	;; [unrolled: 1-line block ×4, first 2 shown]
	ds_store_b64 v35, v[60:61]
	ds_store_2addr_b64 v26, v[0:1], v[2:3] offset0:20 offset1:21
	ds_store_2addr_b64 v26, v[4:5], v[6:7] offset0:22 offset1:23
	v_dual_mov_b32 v0, v112 :: v_dual_mov_b32 v1, v113
	v_dual_mov_b32 v2, v108 :: v_dual_mov_b32 v3, v109
	;; [unrolled: 1-line block ×12, first 2 shown]
	ds_store_2addr_b64 v26, v[0:1], v[2:3] offset0:24 offset1:25
	ds_store_2addr_b64 v26, v[4:5], v[6:7] offset0:26 offset1:27
	;; [unrolled: 1-line block ×6, first 2 shown]
	v_dual_mov_b32 v0, v162 :: v_dual_mov_b32 v1, v163
	v_dual_mov_b32 v2, v158 :: v_dual_mov_b32 v3, v159
	;; [unrolled: 1-line block ×9, first 2 shown]
	ds_store_2addr_b64 v26, v[0:1], v[2:3] offset0:36 offset1:37
	ds_store_2addr_b64 v26, v[4:5], v[6:7] offset0:38 offset1:39
	;; [unrolled: 1-line block ×5, first 2 shown]
	ds_load_b64 v[0:1], v35
	s_wait_dscnt 0x0
	v_cmp_neq_f32_e32 vcc_lo, 0, v0
	v_cmp_neq_f32_e64 s1, 0, v1
	s_or_b32 s1, vcc_lo, s1
	s_delay_alu instid0(SALU_CYCLE_1)
	s_and_b32 exec_lo, exec_lo, s1
	s_cbranch_execz .LBB91_179
; %bb.174:
	v_cmp_ngt_f32_e64 s1, |v0|, |v1|
                                        ; implicit-def: $vgpr2_vgpr3
	s_and_saveexec_b32 s4, s1
	s_delay_alu instid0(SALU_CYCLE_1)
	s_xor_b32 s1, exec_lo, s4
	s_cbranch_execz .LBB91_176
; %bb.175:
	v_div_scale_f32 v2, null, v1, v1, v0
	v_div_scale_f32 v5, vcc_lo, v0, v1, v0
	s_delay_alu instid0(VALU_DEP_2) | instskip(SKIP_1) | instid1(TRANS32_DEP_1)
	v_rcp_f32_e32 v3, v2
	v_nop
	v_fma_f32 v4, -v2, v3, 1.0
	s_delay_alu instid0(VALU_DEP_1) | instskip(NEXT) | instid1(VALU_DEP_1)
	v_fmac_f32_e32 v3, v4, v3
	v_mul_f32_e32 v4, v5, v3
	s_delay_alu instid0(VALU_DEP_1) | instskip(NEXT) | instid1(VALU_DEP_1)
	v_fma_f32 v6, -v2, v4, v5
	v_fmac_f32_e32 v4, v6, v3
	s_delay_alu instid0(VALU_DEP_1) | instskip(NEXT) | instid1(VALU_DEP_1)
	v_fma_f32 v2, -v2, v4, v5
	v_div_fmas_f32 v2, v2, v3, v4
	s_delay_alu instid0(VALU_DEP_1) | instskip(NEXT) | instid1(VALU_DEP_1)
	v_div_fixup_f32 v2, v2, v1, v0
	v_fmac_f32_e32 v1, v0, v2
	s_delay_alu instid0(VALU_DEP_1) | instskip(SKIP_1) | instid1(VALU_DEP_2)
	v_div_scale_f32 v0, null, v1, v1, 1.0
	v_div_scale_f32 v5, vcc_lo, 1.0, v1, 1.0
	v_rcp_f32_e32 v3, v0
	v_nop
	s_delay_alu instid0(TRANS32_DEP_1) | instskip(NEXT) | instid1(VALU_DEP_1)
	v_fma_f32 v4, -v0, v3, 1.0
	v_fmac_f32_e32 v3, v4, v3
	s_delay_alu instid0(VALU_DEP_1) | instskip(NEXT) | instid1(VALU_DEP_1)
	v_mul_f32_e32 v4, v5, v3
	v_fma_f32 v6, -v0, v4, v5
	s_delay_alu instid0(VALU_DEP_1) | instskip(NEXT) | instid1(VALU_DEP_1)
	v_fmac_f32_e32 v4, v6, v3
	v_fma_f32 v0, -v0, v4, v5
	s_delay_alu instid0(VALU_DEP_1) | instskip(NEXT) | instid1(VALU_DEP_1)
	v_div_fmas_f32 v0, v0, v3, v4
	v_div_fixup_f32 v0, v0, v1, 1.0
	s_delay_alu instid0(VALU_DEP_1)
	v_mul_f32_e32 v2, v2, v0
	v_xor_b32_e32 v3, 0x80000000, v0
                                        ; implicit-def: $vgpr0_vgpr1
.LBB91_176:
	s_and_not1_saveexec_b32 s1, s1
	s_cbranch_execz .LBB91_178
; %bb.177:
	v_div_scale_f32 v2, null, v0, v0, v1
	v_div_scale_f32 v5, vcc_lo, v1, v0, v1
	s_delay_alu instid0(VALU_DEP_2) | instskip(SKIP_1) | instid1(TRANS32_DEP_1)
	v_rcp_f32_e32 v3, v2
	v_nop
	v_fma_f32 v4, -v2, v3, 1.0
	s_delay_alu instid0(VALU_DEP_1) | instskip(NEXT) | instid1(VALU_DEP_1)
	v_fmac_f32_e32 v3, v4, v3
	v_mul_f32_e32 v4, v5, v3
	s_delay_alu instid0(VALU_DEP_1) | instskip(NEXT) | instid1(VALU_DEP_1)
	v_fma_f32 v6, -v2, v4, v5
	v_fmac_f32_e32 v4, v6, v3
	s_delay_alu instid0(VALU_DEP_1) | instskip(NEXT) | instid1(VALU_DEP_1)
	v_fma_f32 v2, -v2, v4, v5
	v_div_fmas_f32 v2, v2, v3, v4
	s_delay_alu instid0(VALU_DEP_1) | instskip(NEXT) | instid1(VALU_DEP_1)
	v_div_fixup_f32 v3, v2, v0, v1
	v_fmac_f32_e32 v0, v1, v3
	s_delay_alu instid0(VALU_DEP_1) | instskip(NEXT) | instid1(VALU_DEP_1)
	v_div_scale_f32 v1, null, v0, v0, 1.0
	v_rcp_f32_e32 v2, v1
	v_nop
	s_delay_alu instid0(TRANS32_DEP_1) | instskip(NEXT) | instid1(VALU_DEP_1)
	v_fma_f32 v4, -v1, v2, 1.0
	v_fmac_f32_e32 v2, v4, v2
	v_div_scale_f32 v4, vcc_lo, 1.0, v0, 1.0
	s_delay_alu instid0(VALU_DEP_1) | instskip(NEXT) | instid1(VALU_DEP_1)
	v_mul_f32_e32 v5, v4, v2
	v_fma_f32 v6, -v1, v5, v4
	s_delay_alu instid0(VALU_DEP_1) | instskip(NEXT) | instid1(VALU_DEP_1)
	v_fmac_f32_e32 v5, v6, v2
	v_fma_f32 v1, -v1, v5, v4
	s_delay_alu instid0(VALU_DEP_1) | instskip(NEXT) | instid1(VALU_DEP_1)
	v_div_fmas_f32 v1, v1, v2, v5
	v_div_fixup_f32 v2, v1, v0, 1.0
	s_delay_alu instid0(VALU_DEP_1)
	v_mul_f32_e64 v3, v3, -v2
.LBB91_178:
	s_or_b32 exec_lo, exec_lo, s1
	ds_store_b64 v35, v[2:3]
.LBB91_179:
	s_or_b32 exec_lo, exec_lo, s2
	s_wait_dscnt 0x0
	s_barrier_signal -1
	s_barrier_wait -1
	ds_load_b64 v[224:225], v35
	s_mov_b32 s1, exec_lo
	v_cmpx_lt_u32_e32 19, v34
	s_cbranch_execz .LBB91_181
; %bb.180:
	ds_load_2addr_b64 v[4:7], v26 offset0:20 offset1:21
	s_wait_dscnt 0x1
	v_pk_mul_f32 v[2:3], v[224:225], v[60:61] op_sel:[1,1] op_sel_hi:[0,1]
	s_delay_alu instid0(VALU_DEP_1) | instskip(SKIP_1) | instid1(VALU_DEP_1)
	v_pk_fma_f32 v[0:1], v[224:225], v[60:61], v[2:3] op_sel_hi:[1,0,1] neg_lo:[0,0,1] neg_hi:[0,0,1]
	v_pk_fma_f32 v[2:3], v[224:225], v[60:61], v[2:3] op_sel_hi:[1,0,1]
	v_dual_mov_b32 v60, v0 :: v_dual_mov_b32 v61, v3
	s_wait_dscnt 0x0
	s_delay_alu instid0(VALU_DEP_2) | instskip(NEXT) | instid1(VALU_DEP_1)
	v_pk_mul_f32 v[8:9], v[4:5], v[2:3] op_sel:[0,1]
	v_pk_fma_f32 v[10:11], v[4:5], v[0:1], v[8:9] op_sel:[0,0,1] op_sel_hi:[1,1,0] neg_lo:[0,0,1] neg_hi:[0,0,1]
	v_pk_fma_f32 v[4:5], v[4:5], v[0:1], v[8:9] op_sel:[0,0,1] op_sel_hi:[1,0,0]
	s_delay_alu instid0(VALU_DEP_1) | instskip(SKIP_1) | instid1(VALU_DEP_1)
	v_mov_b32_e32 v11, v5
	v_pk_mul_f32 v[4:5], v[6:7], v[2:3] op_sel:[0,1]
	v_pk_fma_f32 v[8:9], v[6:7], v[0:1], v[4:5] op_sel:[0,0,1] op_sel_hi:[1,1,0] neg_lo:[0,0,1] neg_hi:[0,0,1]
	v_pk_fma_f32 v[4:5], v[6:7], v[0:1], v[4:5] op_sel:[0,0,1] op_sel_hi:[1,0,0]
	s_delay_alu instid0(VALU_DEP_1)
	v_mov_b32_e32 v9, v5
	ds_load_2addr_b64 v[4:7], v26 offset0:22 offset1:23
	v_pk_add_f32 v[90:91], v[90:91], v[10:11] neg_lo:[0,1] neg_hi:[0,1]
	v_pk_add_f32 v[86:87], v[86:87], v[8:9] neg_lo:[0,1] neg_hi:[0,1]
	s_wait_dscnt 0x0
	v_pk_mul_f32 v[8:9], v[4:5], v[2:3] op_sel:[0,1]
	s_delay_alu instid0(VALU_DEP_1) | instskip(SKIP_2) | instid1(VALU_DEP_2)
	v_pk_fma_f32 v[10:11], v[4:5], v[0:1], v[8:9] op_sel:[0,0,1] op_sel_hi:[1,1,0] neg_lo:[0,0,1] neg_hi:[0,0,1]
	v_pk_fma_f32 v[4:5], v[4:5], v[0:1], v[8:9] op_sel:[0,0,1] op_sel_hi:[1,0,0]
	v_dual_mul_f32 v8, v7, v3 :: v_dual_mov_b32 v4, v7
	v_dual_mov_b32 v11, v5 :: v_dual_mov_b32 v5, v6
	s_delay_alu instid0(VALU_DEP_2) | instskip(SKIP_1) | instid1(VALU_DEP_3)
	v_pk_fma_f32 v[8:9], v[6:7], v[60:61], v[8:9] op_sel_hi:[1,1,0] neg_lo:[0,0,1] neg_hi:[0,0,1]
	v_mul_f32_e32 v6, v7, v0
	v_pk_add_f32 v[88:89], v[88:89], v[10:11] neg_lo:[0,1] neg_hi:[0,1]
	s_delay_alu instid0(VALU_DEP_2) | instskip(NEXT) | instid1(VALU_DEP_1)
	v_pk_fma_f32 v[4:5], v[4:5], v[60:61], v[6:7] op_sel_hi:[1,1,0]
	v_mov_b32_e32 v9, v5
	ds_load_2addr_b64 v[4:7], v26 offset0:24 offset1:25
	v_pk_add_f32 v[84:85], v[84:85], v[8:9] neg_lo:[0,1] neg_hi:[0,1]
	s_wait_dscnt 0x0
	v_pk_mul_f32 v[8:9], v[4:5], v[2:3] op_sel:[0,1]
	s_delay_alu instid0(VALU_DEP_1) | instskip(SKIP_1) | instid1(VALU_DEP_1)
	v_pk_fma_f32 v[10:11], v[4:5], v[0:1], v[8:9] op_sel:[0,0,1] op_sel_hi:[1,1,0] neg_lo:[0,0,1] neg_hi:[0,0,1]
	v_pk_fma_f32 v[4:5], v[4:5], v[0:1], v[8:9] op_sel:[0,0,1] op_sel_hi:[1,0,0]
	v_mov_b32_e32 v11, v5
	v_pk_mul_f32 v[4:5], v[6:7], v[2:3] op_sel:[0,1]
	s_delay_alu instid0(VALU_DEP_1) | instskip(SKIP_1) | instid1(VALU_DEP_1)
	v_pk_fma_f32 v[8:9], v[6:7], v[0:1], v[4:5] op_sel:[0,0,1] op_sel_hi:[1,1,0] neg_lo:[0,0,1] neg_hi:[0,0,1]
	v_pk_fma_f32 v[4:5], v[6:7], v[0:1], v[4:5] op_sel:[0,0,1] op_sel_hi:[1,0,0]
	v_mov_b32_e32 v9, v5
	ds_load_2addr_b64 v[4:7], v26 offset0:26 offset1:27
	v_pk_add_f32 v[112:113], v[112:113], v[10:11] neg_lo:[0,1] neg_hi:[0,1]
	v_pk_add_f32 v[108:109], v[108:109], v[8:9] neg_lo:[0,1] neg_hi:[0,1]
	s_wait_dscnt 0x0
	v_pk_mul_f32 v[8:9], v[4:5], v[2:3] op_sel:[0,1]
	s_delay_alu instid0(VALU_DEP_1) | instskip(SKIP_1) | instid1(VALU_DEP_1)
	v_pk_fma_f32 v[10:11], v[4:5], v[0:1], v[8:9] op_sel:[0,0,1] op_sel_hi:[1,1,0] neg_lo:[0,0,1] neg_hi:[0,0,1]
	v_pk_fma_f32 v[4:5], v[4:5], v[0:1], v[8:9] op_sel:[0,0,1] op_sel_hi:[1,0,0]
	v_mov_b32_e32 v11, v5
	v_pk_mul_f32 v[4:5], v[6:7], v[2:3] op_sel:[0,1]
	s_delay_alu instid0(VALU_DEP_1) | instskip(SKIP_1) | instid1(VALU_DEP_1)
	v_pk_fma_f32 v[8:9], v[6:7], v[0:1], v[4:5] op_sel:[0,0,1] op_sel_hi:[1,1,0] neg_lo:[0,0,1] neg_hi:[0,0,1]
	v_pk_fma_f32 v[4:5], v[6:7], v[0:1], v[4:5] op_sel:[0,0,1] op_sel_hi:[1,0,0]
	v_mov_b32_e32 v9, v5
	ds_load_2addr_b64 v[4:7], v26 offset0:28 offset1:29
	v_pk_add_f32 v[110:111], v[110:111], v[10:11] neg_lo:[0,1] neg_hi:[0,1]
	v_pk_add_f32 v[106:107], v[106:107], v[8:9] neg_lo:[0,1] neg_hi:[0,1]
	s_wait_dscnt 0x0
	v_dual_mul_f32 v8, v5, v3 :: v_dual_mul_f32 v10, v5, v0
	s_delay_alu instid0(VALU_DEP_1) | instskip(NEXT) | instid1(VALU_DEP_2)
	v_pk_fma_f32 v[8:9], v[4:5], v[60:61], v[8:9] op_sel_hi:[1,1,0] neg_lo:[0,0,1] neg_hi:[0,0,1]
	v_pk_fma_f32 v[4:5], v[4:5], v[60:61], v[10:11] op_sel:[1,0,0] op_sel_hi:[0,1,0]
	s_delay_alu instid0(VALU_DEP_1) | instskip(SKIP_1) | instid1(VALU_DEP_2)
	v_mov_b32_e32 v9, v5
	v_pk_mul_f32 v[4:5], v[6:7], v[2:3] op_sel:[0,1]
	v_pk_add_f32 v[128:129], v[128:129], v[8:9] neg_lo:[0,1] neg_hi:[0,1]
	s_delay_alu instid0(VALU_DEP_2) | instskip(SKIP_1) | instid1(VALU_DEP_1)
	v_pk_fma_f32 v[8:9], v[6:7], v[0:1], v[4:5] op_sel:[0,0,1] op_sel_hi:[1,1,0] neg_lo:[0,0,1] neg_hi:[0,0,1]
	v_pk_fma_f32 v[4:5], v[6:7], v[0:1], v[4:5] op_sel:[0,0,1] op_sel_hi:[1,0,0]
	v_mov_b32_e32 v9, v5
	ds_load_2addr_b64 v[4:7], v26 offset0:30 offset1:31
	v_pk_add_f32 v[124:125], v[124:125], v[8:9] neg_lo:[0,1] neg_hi:[0,1]
	s_wait_dscnt 0x0
	v_pk_mul_f32 v[8:9], v[4:5], v[2:3] op_sel:[0,1]
	s_delay_alu instid0(VALU_DEP_1) | instskip(SKIP_1) | instid1(VALU_DEP_1)
	v_pk_fma_f32 v[10:11], v[4:5], v[0:1], v[8:9] op_sel:[0,0,1] op_sel_hi:[1,1,0] neg_lo:[0,0,1] neg_hi:[0,0,1]
	v_pk_fma_f32 v[4:5], v[4:5], v[0:1], v[8:9] op_sel:[0,0,1] op_sel_hi:[1,0,0]
	v_mov_b32_e32 v11, v5
	v_pk_mul_f32 v[4:5], v[6:7], v[2:3] op_sel:[0,1]
	s_delay_alu instid0(VALU_DEP_2) | instskip(NEXT) | instid1(VALU_DEP_2)
	v_pk_add_f32 v[126:127], v[126:127], v[10:11] neg_lo:[0,1] neg_hi:[0,1]
	v_pk_fma_f32 v[8:9], v[6:7], v[0:1], v[4:5] op_sel:[0,0,1] op_sel_hi:[1,1,0] neg_lo:[0,0,1] neg_hi:[0,0,1]
	v_pk_fma_f32 v[4:5], v[6:7], v[0:1], v[4:5] op_sel:[0,0,1] op_sel_hi:[1,0,0]
	s_delay_alu instid0(VALU_DEP_1) | instskip(SKIP_4) | instid1(VALU_DEP_1)
	v_mov_b32_e32 v9, v5
	ds_load_2addr_b64 v[4:7], v26 offset0:32 offset1:33
	v_pk_add_f32 v[122:123], v[122:123], v[8:9] neg_lo:[0,1] neg_hi:[0,1]
	s_wait_dscnt 0x0
	v_pk_mul_f32 v[8:9], v[4:5], v[2:3] op_sel:[0,1]
	v_pk_fma_f32 v[10:11], v[4:5], v[0:1], v[8:9] op_sel:[0,0,1] op_sel_hi:[1,1,0] neg_lo:[0,0,1] neg_hi:[0,0,1]
	v_pk_fma_f32 v[4:5], v[4:5], v[0:1], v[8:9] op_sel:[0,0,1] op_sel_hi:[1,0,0]
	v_dual_mul_f32 v8, v7, v3 :: v_dual_mov_b32 v4, v7
	s_delay_alu instid0(VALU_DEP_2) | instskip(NEXT) | instid1(VALU_DEP_2)
	v_dual_mov_b32 v11, v5 :: v_dual_mov_b32 v5, v6
	v_pk_fma_f32 v[8:9], v[6:7], v[60:61], v[8:9] op_sel_hi:[1,1,0] neg_lo:[0,0,1] neg_hi:[0,0,1]
	v_mul_f32_e32 v6, v7, v0
	s_delay_alu instid0(VALU_DEP_3) | instskip(NEXT) | instid1(VALU_DEP_2)
	v_pk_add_f32 v[144:145], v[144:145], v[10:11] neg_lo:[0,1] neg_hi:[0,1]
	v_pk_fma_f32 v[4:5], v[4:5], v[60:61], v[6:7] op_sel_hi:[1,1,0]
	s_delay_alu instid0(VALU_DEP_1) | instskip(SKIP_4) | instid1(VALU_DEP_1)
	v_mov_b32_e32 v9, v5
	ds_load_2addr_b64 v[4:7], v26 offset0:34 offset1:35
	v_pk_add_f32 v[140:141], v[140:141], v[8:9] neg_lo:[0,1] neg_hi:[0,1]
	s_wait_dscnt 0x0
	v_pk_mul_f32 v[8:9], v[4:5], v[2:3] op_sel:[0,1]
	v_pk_fma_f32 v[10:11], v[4:5], v[0:1], v[8:9] op_sel:[0,0,1] op_sel_hi:[1,1,0] neg_lo:[0,0,1] neg_hi:[0,0,1]
	v_pk_fma_f32 v[4:5], v[4:5], v[0:1], v[8:9] op_sel:[0,0,1] op_sel_hi:[1,0,0]
	s_delay_alu instid0(VALU_DEP_1) | instskip(SKIP_1) | instid1(VALU_DEP_1)
	v_mov_b32_e32 v11, v5
	v_pk_mul_f32 v[4:5], v[6:7], v[2:3] op_sel:[0,1]
	v_pk_fma_f32 v[8:9], v[6:7], v[0:1], v[4:5] op_sel:[0,0,1] op_sel_hi:[1,1,0] neg_lo:[0,0,1] neg_hi:[0,0,1]
	v_pk_fma_f32 v[4:5], v[6:7], v[0:1], v[4:5] op_sel:[0,0,1] op_sel_hi:[1,0,0]
	s_delay_alu instid0(VALU_DEP_1)
	v_mov_b32_e32 v9, v5
	ds_load_2addr_b64 v[4:7], v26 offset0:36 offset1:37
	v_pk_add_f32 v[142:143], v[142:143], v[10:11] neg_lo:[0,1] neg_hi:[0,1]
	v_pk_add_f32 v[138:139], v[138:139], v[8:9] neg_lo:[0,1] neg_hi:[0,1]
	s_wait_dscnt 0x0
	v_pk_mul_f32 v[8:9], v[4:5], v[2:3] op_sel:[0,1]
	s_delay_alu instid0(VALU_DEP_1) | instskip(SKIP_1) | instid1(VALU_DEP_1)
	v_pk_fma_f32 v[10:11], v[4:5], v[0:1], v[8:9] op_sel:[0,0,1] op_sel_hi:[1,1,0] neg_lo:[0,0,1] neg_hi:[0,0,1]
	v_pk_fma_f32 v[4:5], v[4:5], v[0:1], v[8:9] op_sel:[0,0,1] op_sel_hi:[1,0,0]
	v_mov_b32_e32 v11, v5
	v_pk_mul_f32 v[4:5], v[6:7], v[2:3] op_sel:[0,1]
	s_delay_alu instid0(VALU_DEP_1) | instskip(SKIP_1) | instid1(VALU_DEP_1)
	v_pk_fma_f32 v[8:9], v[6:7], v[0:1], v[4:5] op_sel:[0,0,1] op_sel_hi:[1,1,0] neg_lo:[0,0,1] neg_hi:[0,0,1]
	v_pk_fma_f32 v[4:5], v[6:7], v[0:1], v[4:5] op_sel:[0,0,1] op_sel_hi:[1,0,0]
	v_mov_b32_e32 v9, v5
	ds_load_2addr_b64 v[4:7], v26 offset0:38 offset1:39
	v_pk_add_f32 v[162:163], v[162:163], v[10:11] neg_lo:[0,1] neg_hi:[0,1]
	v_pk_add_f32 v[158:159], v[158:159], v[8:9] neg_lo:[0,1] neg_hi:[0,1]
	s_wait_dscnt 0x0
	v_dual_mul_f32 v8, v5, v3 :: v_dual_mul_f32 v10, v5, v0
	s_delay_alu instid0(VALU_DEP_1) | instskip(NEXT) | instid1(VALU_DEP_2)
	v_pk_fma_f32 v[8:9], v[4:5], v[60:61], v[8:9] op_sel_hi:[1,1,0] neg_lo:[0,0,1] neg_hi:[0,0,1]
	v_pk_fma_f32 v[4:5], v[4:5], v[60:61], v[10:11] op_sel:[1,0,0] op_sel_hi:[0,1,0]
	s_delay_alu instid0(VALU_DEP_1) | instskip(SKIP_1) | instid1(VALU_DEP_2)
	v_mov_b32_e32 v9, v5
	v_pk_mul_f32 v[4:5], v[6:7], v[2:3] op_sel:[0,1]
	v_pk_add_f32 v[160:161], v[160:161], v[8:9] neg_lo:[0,1] neg_hi:[0,1]
	s_delay_alu instid0(VALU_DEP_2) | instskip(SKIP_1) | instid1(VALU_DEP_1)
	v_pk_fma_f32 v[8:9], v[6:7], v[0:1], v[4:5] op_sel:[0,0,1] op_sel_hi:[1,1,0] neg_lo:[0,0,1] neg_hi:[0,0,1]
	v_pk_fma_f32 v[4:5], v[6:7], v[0:1], v[4:5] op_sel:[0,0,1] op_sel_hi:[1,0,0]
	v_mov_b32_e32 v9, v5
	ds_load_2addr_b64 v[4:7], v26 offset0:40 offset1:41
	v_pk_add_f32 v[156:157], v[156:157], v[8:9] neg_lo:[0,1] neg_hi:[0,1]
	s_wait_dscnt 0x0
	v_pk_mul_f32 v[8:9], v[4:5], v[2:3] op_sel:[0,1]
	s_delay_alu instid0(VALU_DEP_1) | instskip(SKIP_1) | instid1(VALU_DEP_1)
	v_pk_fma_f32 v[10:11], v[4:5], v[0:1], v[8:9] op_sel:[0,0,1] op_sel_hi:[1,1,0] neg_lo:[0,0,1] neg_hi:[0,0,1]
	v_pk_fma_f32 v[4:5], v[4:5], v[0:1], v[8:9] op_sel:[0,0,1] op_sel_hi:[1,0,0]
	v_mov_b32_e32 v11, v5
	v_pk_mul_f32 v[4:5], v[6:7], v[2:3] op_sel:[0,1]
	s_delay_alu instid0(VALU_DEP_2) | instskip(NEXT) | instid1(VALU_DEP_2)
	v_pk_add_f32 v[178:179], v[178:179], v[10:11] neg_lo:[0,1] neg_hi:[0,1]
	v_pk_fma_f32 v[8:9], v[6:7], v[0:1], v[4:5] op_sel:[0,0,1] op_sel_hi:[1,1,0] neg_lo:[0,0,1] neg_hi:[0,0,1]
	v_pk_fma_f32 v[4:5], v[6:7], v[0:1], v[4:5] op_sel:[0,0,1] op_sel_hi:[1,0,0]
	s_delay_alu instid0(VALU_DEP_1) | instskip(SKIP_4) | instid1(VALU_DEP_1)
	v_mov_b32_e32 v9, v5
	ds_load_2addr_b64 v[4:7], v26 offset0:42 offset1:43
	v_pk_add_f32 v[174:175], v[174:175], v[8:9] neg_lo:[0,1] neg_hi:[0,1]
	s_wait_dscnt 0x0
	v_pk_mul_f32 v[8:9], v[4:5], v[2:3] op_sel:[0,1]
	v_pk_fma_f32 v[10:11], v[4:5], v[0:1], v[8:9] op_sel:[0,0,1] op_sel_hi:[1,1,0] neg_lo:[0,0,1] neg_hi:[0,0,1]
	v_pk_fma_f32 v[4:5], v[4:5], v[0:1], v[8:9] op_sel:[0,0,1] op_sel_hi:[1,0,0]
	v_dual_mul_f32 v8, v7, v3 :: v_dual_mov_b32 v4, v7
	s_delay_alu instid0(VALU_DEP_2) | instskip(NEXT) | instid1(VALU_DEP_2)
	v_dual_mov_b32 v11, v5 :: v_dual_mov_b32 v5, v6
	v_pk_fma_f32 v[8:9], v[6:7], v[60:61], v[8:9] op_sel_hi:[1,1,0] neg_lo:[0,0,1] neg_hi:[0,0,1]
	v_mul_f32_e32 v6, v7, v0
	s_delay_alu instid0(VALU_DEP_3) | instskip(NEXT) | instid1(VALU_DEP_2)
	v_pk_add_f32 v[176:177], v[176:177], v[10:11] neg_lo:[0,1] neg_hi:[0,1]
	v_pk_fma_f32 v[4:5], v[4:5], v[60:61], v[6:7] op_sel_hi:[1,1,0]
	s_delay_alu instid0(VALU_DEP_1)
	v_mov_b32_e32 v9, v5
	ds_load_2addr_b64 v[4:7], v26 offset0:44 offset1:45
	v_pk_add_f32 v[172:173], v[172:173], v[8:9] neg_lo:[0,1] neg_hi:[0,1]
	s_wait_dscnt 0x0
	v_pk_mul_f32 v[8:9], v[4:5], v[2:3] op_sel:[0,1]
	v_pk_mul_f32 v[2:3], v[6:7], v[2:3] op_sel:[0,1]
	s_delay_alu instid0(VALU_DEP_2) | instskip(SKIP_1) | instid1(VALU_DEP_1)
	v_pk_fma_f32 v[10:11], v[4:5], v[0:1], v[8:9] op_sel:[0,0,1] op_sel_hi:[1,1,0] neg_lo:[0,0,1] neg_hi:[0,0,1]
	v_pk_fma_f32 v[4:5], v[4:5], v[0:1], v[8:9] op_sel:[0,0,1] op_sel_hi:[1,0,0]
	v_mov_b32_e32 v11, v5
	s_delay_alu instid0(VALU_DEP_4) | instskip(SKIP_1) | instid1(VALU_DEP_1)
	v_pk_fma_f32 v[4:5], v[6:7], v[0:1], v[2:3] op_sel:[0,0,1] op_sel_hi:[1,1,0] neg_lo:[0,0,1] neg_hi:[0,0,1]
	v_pk_fma_f32 v[0:1], v[6:7], v[0:1], v[2:3] op_sel:[0,0,1] op_sel_hi:[1,0,0]
	v_mov_b32_e32 v5, v1
	s_delay_alu instid0(VALU_DEP_4) | instskip(NEXT) | instid1(VALU_DEP_2)
	v_pk_add_f32 v[180:181], v[180:181], v[10:11] neg_lo:[0,1] neg_hi:[0,1]
	v_pk_add_f32 v[184:185], v[184:185], v[4:5] neg_lo:[0,1] neg_hi:[0,1]
.LBB91_181:
	s_or_b32 exec_lo, exec_lo, s1
	s_delay_alu instid0(SALU_CYCLE_1)
	s_mov_b32 s2, exec_lo
	s_wait_dscnt 0x0
	s_barrier_signal -1
	s_barrier_wait -1
	v_cmpx_eq_u32_e32 20, v34
	s_cbranch_execz .LBB91_188
; %bb.182:
	ds_store_b64 v35, v[90:91]
	ds_store_2addr_b64 v26, v[86:87], v[88:89] offset0:21 offset1:22
	ds_store_2addr_b64 v26, v[84:85], v[112:113] offset0:23 offset1:24
	;; [unrolled: 1-line block ×12, first 2 shown]
	ds_store_b64 v26, v[184:185] offset:360
	ds_load_b64 v[0:1], v35
	s_wait_dscnt 0x0
	v_cmp_neq_f32_e32 vcc_lo, 0, v0
	v_cmp_neq_f32_e64 s1, 0, v1
	s_or_b32 s1, vcc_lo, s1
	s_delay_alu instid0(SALU_CYCLE_1)
	s_and_b32 exec_lo, exec_lo, s1
	s_cbranch_execz .LBB91_188
; %bb.183:
	v_cmp_ngt_f32_e64 s1, |v0|, |v1|
                                        ; implicit-def: $vgpr2_vgpr3
	s_and_saveexec_b32 s4, s1
	s_delay_alu instid0(SALU_CYCLE_1)
	s_xor_b32 s1, exec_lo, s4
	s_cbranch_execz .LBB91_185
; %bb.184:
	v_div_scale_f32 v2, null, v1, v1, v0
	v_div_scale_f32 v5, vcc_lo, v0, v1, v0
	s_delay_alu instid0(VALU_DEP_2) | instskip(SKIP_1) | instid1(TRANS32_DEP_1)
	v_rcp_f32_e32 v3, v2
	v_nop
	v_fma_f32 v4, -v2, v3, 1.0
	s_delay_alu instid0(VALU_DEP_1) | instskip(NEXT) | instid1(VALU_DEP_1)
	v_fmac_f32_e32 v3, v4, v3
	v_mul_f32_e32 v4, v5, v3
	s_delay_alu instid0(VALU_DEP_1) | instskip(NEXT) | instid1(VALU_DEP_1)
	v_fma_f32 v6, -v2, v4, v5
	v_fmac_f32_e32 v4, v6, v3
	s_delay_alu instid0(VALU_DEP_1) | instskip(NEXT) | instid1(VALU_DEP_1)
	v_fma_f32 v2, -v2, v4, v5
	v_div_fmas_f32 v2, v2, v3, v4
	s_delay_alu instid0(VALU_DEP_1) | instskip(NEXT) | instid1(VALU_DEP_1)
	v_div_fixup_f32 v2, v2, v1, v0
	v_fmac_f32_e32 v1, v0, v2
	s_delay_alu instid0(VALU_DEP_1) | instskip(SKIP_1) | instid1(VALU_DEP_2)
	v_div_scale_f32 v0, null, v1, v1, 1.0
	v_div_scale_f32 v5, vcc_lo, 1.0, v1, 1.0
	v_rcp_f32_e32 v3, v0
	v_nop
	s_delay_alu instid0(TRANS32_DEP_1) | instskip(NEXT) | instid1(VALU_DEP_1)
	v_fma_f32 v4, -v0, v3, 1.0
	v_fmac_f32_e32 v3, v4, v3
	s_delay_alu instid0(VALU_DEP_1) | instskip(NEXT) | instid1(VALU_DEP_1)
	v_mul_f32_e32 v4, v5, v3
	v_fma_f32 v6, -v0, v4, v5
	s_delay_alu instid0(VALU_DEP_1) | instskip(NEXT) | instid1(VALU_DEP_1)
	v_fmac_f32_e32 v4, v6, v3
	v_fma_f32 v0, -v0, v4, v5
	s_delay_alu instid0(VALU_DEP_1) | instskip(NEXT) | instid1(VALU_DEP_1)
	v_div_fmas_f32 v0, v0, v3, v4
	v_div_fixup_f32 v0, v0, v1, 1.0
	s_delay_alu instid0(VALU_DEP_1)
	v_mul_f32_e32 v2, v2, v0
	v_xor_b32_e32 v3, 0x80000000, v0
                                        ; implicit-def: $vgpr0_vgpr1
.LBB91_185:
	s_and_not1_saveexec_b32 s1, s1
	s_cbranch_execz .LBB91_187
; %bb.186:
	v_div_scale_f32 v2, null, v0, v0, v1
	v_div_scale_f32 v5, vcc_lo, v1, v0, v1
	s_delay_alu instid0(VALU_DEP_2) | instskip(SKIP_1) | instid1(TRANS32_DEP_1)
	v_rcp_f32_e32 v3, v2
	v_nop
	v_fma_f32 v4, -v2, v3, 1.0
	s_delay_alu instid0(VALU_DEP_1) | instskip(NEXT) | instid1(VALU_DEP_1)
	v_fmac_f32_e32 v3, v4, v3
	v_mul_f32_e32 v4, v5, v3
	s_delay_alu instid0(VALU_DEP_1) | instskip(NEXT) | instid1(VALU_DEP_1)
	v_fma_f32 v6, -v2, v4, v5
	v_fmac_f32_e32 v4, v6, v3
	s_delay_alu instid0(VALU_DEP_1) | instskip(NEXT) | instid1(VALU_DEP_1)
	v_fma_f32 v2, -v2, v4, v5
	v_div_fmas_f32 v2, v2, v3, v4
	s_delay_alu instid0(VALU_DEP_1) | instskip(NEXT) | instid1(VALU_DEP_1)
	v_div_fixup_f32 v3, v2, v0, v1
	v_fmac_f32_e32 v0, v1, v3
	s_delay_alu instid0(VALU_DEP_1) | instskip(NEXT) | instid1(VALU_DEP_1)
	v_div_scale_f32 v1, null, v0, v0, 1.0
	v_rcp_f32_e32 v2, v1
	v_nop
	s_delay_alu instid0(TRANS32_DEP_1) | instskip(NEXT) | instid1(VALU_DEP_1)
	v_fma_f32 v4, -v1, v2, 1.0
	v_fmac_f32_e32 v2, v4, v2
	v_div_scale_f32 v4, vcc_lo, 1.0, v0, 1.0
	s_delay_alu instid0(VALU_DEP_1) | instskip(NEXT) | instid1(VALU_DEP_1)
	v_mul_f32_e32 v5, v4, v2
	v_fma_f32 v6, -v1, v5, v4
	s_delay_alu instid0(VALU_DEP_1) | instskip(NEXT) | instid1(VALU_DEP_1)
	v_fmac_f32_e32 v5, v6, v2
	v_fma_f32 v1, -v1, v5, v4
	s_delay_alu instid0(VALU_DEP_1) | instskip(NEXT) | instid1(VALU_DEP_1)
	v_div_fmas_f32 v1, v1, v2, v5
	v_div_fixup_f32 v2, v1, v0, 1.0
	s_delay_alu instid0(VALU_DEP_1)
	v_mul_f32_e64 v3, v3, -v2
.LBB91_187:
	s_or_b32 exec_lo, exec_lo, s1
	ds_store_b64 v35, v[2:3]
.LBB91_188:
	s_or_b32 exec_lo, exec_lo, s2
	s_wait_dscnt 0x0
	s_barrier_signal -1
	s_barrier_wait -1
	ds_load_b64 v[226:227], v35
	s_mov_b32 s1, exec_lo
	v_cmpx_lt_u32_e32 20, v34
	s_cbranch_execz .LBB91_190
; %bb.189:
	ds_load_2addr_b64 v[4:7], v26 offset0:21 offset1:22
	s_wait_dscnt 0x1
	v_pk_mul_f32 v[2:3], v[226:227], v[90:91] op_sel:[1,1] op_sel_hi:[0,1]
	s_delay_alu instid0(VALU_DEP_1) | instskip(SKIP_1) | instid1(VALU_DEP_1)
	v_pk_fma_f32 v[0:1], v[226:227], v[90:91], v[2:3] op_sel_hi:[1,0,1] neg_lo:[0,0,1] neg_hi:[0,0,1]
	v_pk_fma_f32 v[2:3], v[226:227], v[90:91], v[2:3] op_sel_hi:[1,0,1]
	v_dual_mov_b32 v90, v0 :: v_dual_mov_b32 v91, v3
	s_wait_dscnt 0x0
	s_delay_alu instid0(VALU_DEP_2) | instskip(NEXT) | instid1(VALU_DEP_1)
	v_pk_mul_f32 v[8:9], v[4:5], v[2:3] op_sel:[0,1]
	v_pk_fma_f32 v[10:11], v[4:5], v[0:1], v[8:9] op_sel:[0,0,1] op_sel_hi:[1,1,0] neg_lo:[0,0,1] neg_hi:[0,0,1]
	v_pk_fma_f32 v[4:5], v[4:5], v[0:1], v[8:9] op_sel:[0,0,1] op_sel_hi:[1,0,0]
	s_delay_alu instid0(VALU_DEP_1) | instskip(SKIP_1) | instid1(VALU_DEP_1)
	v_mov_b32_e32 v11, v5
	v_pk_mul_f32 v[4:5], v[6:7], v[2:3] op_sel:[0,1]
	v_pk_fma_f32 v[8:9], v[6:7], v[0:1], v[4:5] op_sel:[0,0,1] op_sel_hi:[1,1,0] neg_lo:[0,0,1] neg_hi:[0,0,1]
	v_pk_fma_f32 v[4:5], v[6:7], v[0:1], v[4:5] op_sel:[0,0,1] op_sel_hi:[1,0,0]
	s_delay_alu instid0(VALU_DEP_1)
	v_mov_b32_e32 v9, v5
	ds_load_2addr_b64 v[4:7], v26 offset0:23 offset1:24
	v_pk_add_f32 v[86:87], v[86:87], v[10:11] neg_lo:[0,1] neg_hi:[0,1]
	v_pk_add_f32 v[88:89], v[88:89], v[8:9] neg_lo:[0,1] neg_hi:[0,1]
	s_wait_dscnt 0x0
	v_pk_mul_f32 v[8:9], v[4:5], v[2:3] op_sel:[0,1]
	s_delay_alu instid0(VALU_DEP_1) | instskip(SKIP_2) | instid1(VALU_DEP_2)
	v_pk_fma_f32 v[10:11], v[4:5], v[0:1], v[8:9] op_sel:[0,0,1] op_sel_hi:[1,1,0] neg_lo:[0,0,1] neg_hi:[0,0,1]
	v_pk_fma_f32 v[4:5], v[4:5], v[0:1], v[8:9] op_sel:[0,0,1] op_sel_hi:[1,0,0]
	v_dual_mul_f32 v8, v7, v3 :: v_dual_mov_b32 v4, v7
	v_dual_mov_b32 v11, v5 :: v_dual_mov_b32 v5, v6
	s_delay_alu instid0(VALU_DEP_2) | instskip(SKIP_1) | instid1(VALU_DEP_3)
	v_pk_fma_f32 v[8:9], v[6:7], v[90:91], v[8:9] op_sel_hi:[1,1,0] neg_lo:[0,0,1] neg_hi:[0,0,1]
	v_mul_f32_e32 v6, v7, v0
	v_pk_add_f32 v[84:85], v[84:85], v[10:11] neg_lo:[0,1] neg_hi:[0,1]
	s_delay_alu instid0(VALU_DEP_2) | instskip(NEXT) | instid1(VALU_DEP_1)
	v_pk_fma_f32 v[4:5], v[4:5], v[90:91], v[6:7] op_sel_hi:[1,1,0]
	v_mov_b32_e32 v9, v5
	ds_load_2addr_b64 v[4:7], v26 offset0:25 offset1:26
	v_pk_add_f32 v[112:113], v[112:113], v[8:9] neg_lo:[0,1] neg_hi:[0,1]
	s_wait_dscnt 0x0
	v_pk_mul_f32 v[8:9], v[4:5], v[2:3] op_sel:[0,1]
	s_delay_alu instid0(VALU_DEP_1) | instskip(SKIP_1) | instid1(VALU_DEP_1)
	v_pk_fma_f32 v[10:11], v[4:5], v[0:1], v[8:9] op_sel:[0,0,1] op_sel_hi:[1,1,0] neg_lo:[0,0,1] neg_hi:[0,0,1]
	v_pk_fma_f32 v[4:5], v[4:5], v[0:1], v[8:9] op_sel:[0,0,1] op_sel_hi:[1,0,0]
	v_mov_b32_e32 v11, v5
	v_pk_mul_f32 v[4:5], v[6:7], v[2:3] op_sel:[0,1]
	s_delay_alu instid0(VALU_DEP_1) | instskip(SKIP_1) | instid1(VALU_DEP_1)
	v_pk_fma_f32 v[8:9], v[6:7], v[0:1], v[4:5] op_sel:[0,0,1] op_sel_hi:[1,1,0] neg_lo:[0,0,1] neg_hi:[0,0,1]
	v_pk_fma_f32 v[4:5], v[6:7], v[0:1], v[4:5] op_sel:[0,0,1] op_sel_hi:[1,0,0]
	v_mov_b32_e32 v9, v5
	ds_load_2addr_b64 v[4:7], v26 offset0:27 offset1:28
	v_pk_add_f32 v[108:109], v[108:109], v[10:11] neg_lo:[0,1] neg_hi:[0,1]
	v_pk_add_f32 v[110:111], v[110:111], v[8:9] neg_lo:[0,1] neg_hi:[0,1]
	s_wait_dscnt 0x0
	v_pk_mul_f32 v[8:9], v[4:5], v[2:3] op_sel:[0,1]
	s_delay_alu instid0(VALU_DEP_1) | instskip(SKIP_1) | instid1(VALU_DEP_1)
	v_pk_fma_f32 v[10:11], v[4:5], v[0:1], v[8:9] op_sel:[0,0,1] op_sel_hi:[1,1,0] neg_lo:[0,0,1] neg_hi:[0,0,1]
	v_pk_fma_f32 v[4:5], v[4:5], v[0:1], v[8:9] op_sel:[0,0,1] op_sel_hi:[1,0,0]
	v_mov_b32_e32 v11, v5
	v_pk_mul_f32 v[4:5], v[6:7], v[2:3] op_sel:[0,1]
	s_delay_alu instid0(VALU_DEP_1) | instskip(SKIP_1) | instid1(VALU_DEP_1)
	v_pk_fma_f32 v[8:9], v[6:7], v[0:1], v[4:5] op_sel:[0,0,1] op_sel_hi:[1,1,0] neg_lo:[0,0,1] neg_hi:[0,0,1]
	v_pk_fma_f32 v[4:5], v[6:7], v[0:1], v[4:5] op_sel:[0,0,1] op_sel_hi:[1,0,0]
	v_mov_b32_e32 v9, v5
	ds_load_2addr_b64 v[4:7], v26 offset0:29 offset1:30
	v_pk_add_f32 v[106:107], v[106:107], v[10:11] neg_lo:[0,1] neg_hi:[0,1]
	v_pk_add_f32 v[128:129], v[128:129], v[8:9] neg_lo:[0,1] neg_hi:[0,1]
	s_wait_dscnt 0x0
	v_dual_mul_f32 v8, v5, v3 :: v_dual_mul_f32 v10, v5, v0
	s_delay_alu instid0(VALU_DEP_1) | instskip(NEXT) | instid1(VALU_DEP_2)
	v_pk_fma_f32 v[8:9], v[4:5], v[90:91], v[8:9] op_sel_hi:[1,1,0] neg_lo:[0,0,1] neg_hi:[0,0,1]
	v_pk_fma_f32 v[4:5], v[4:5], v[90:91], v[10:11] op_sel:[1,0,0] op_sel_hi:[0,1,0]
	s_delay_alu instid0(VALU_DEP_1) | instskip(SKIP_1) | instid1(VALU_DEP_2)
	v_mov_b32_e32 v9, v5
	v_pk_mul_f32 v[4:5], v[6:7], v[2:3] op_sel:[0,1]
	v_pk_add_f32 v[124:125], v[124:125], v[8:9] neg_lo:[0,1] neg_hi:[0,1]
	s_delay_alu instid0(VALU_DEP_2) | instskip(SKIP_1) | instid1(VALU_DEP_1)
	v_pk_fma_f32 v[8:9], v[6:7], v[0:1], v[4:5] op_sel:[0,0,1] op_sel_hi:[1,1,0] neg_lo:[0,0,1] neg_hi:[0,0,1]
	v_pk_fma_f32 v[4:5], v[6:7], v[0:1], v[4:5] op_sel:[0,0,1] op_sel_hi:[1,0,0]
	v_mov_b32_e32 v9, v5
	ds_load_2addr_b64 v[4:7], v26 offset0:31 offset1:32
	v_pk_add_f32 v[126:127], v[126:127], v[8:9] neg_lo:[0,1] neg_hi:[0,1]
	s_wait_dscnt 0x0
	v_pk_mul_f32 v[8:9], v[4:5], v[2:3] op_sel:[0,1]
	s_delay_alu instid0(VALU_DEP_1) | instskip(SKIP_1) | instid1(VALU_DEP_1)
	v_pk_fma_f32 v[10:11], v[4:5], v[0:1], v[8:9] op_sel:[0,0,1] op_sel_hi:[1,1,0] neg_lo:[0,0,1] neg_hi:[0,0,1]
	v_pk_fma_f32 v[4:5], v[4:5], v[0:1], v[8:9] op_sel:[0,0,1] op_sel_hi:[1,0,0]
	v_mov_b32_e32 v11, v5
	v_pk_mul_f32 v[4:5], v[6:7], v[2:3] op_sel:[0,1]
	s_delay_alu instid0(VALU_DEP_2) | instskip(NEXT) | instid1(VALU_DEP_2)
	v_pk_add_f32 v[122:123], v[122:123], v[10:11] neg_lo:[0,1] neg_hi:[0,1]
	v_pk_fma_f32 v[8:9], v[6:7], v[0:1], v[4:5] op_sel:[0,0,1] op_sel_hi:[1,1,0] neg_lo:[0,0,1] neg_hi:[0,0,1]
	v_pk_fma_f32 v[4:5], v[6:7], v[0:1], v[4:5] op_sel:[0,0,1] op_sel_hi:[1,0,0]
	s_delay_alu instid0(VALU_DEP_1) | instskip(SKIP_4) | instid1(VALU_DEP_1)
	v_mov_b32_e32 v9, v5
	ds_load_2addr_b64 v[4:7], v26 offset0:33 offset1:34
	v_pk_add_f32 v[144:145], v[144:145], v[8:9] neg_lo:[0,1] neg_hi:[0,1]
	s_wait_dscnt 0x0
	v_pk_mul_f32 v[8:9], v[4:5], v[2:3] op_sel:[0,1]
	v_pk_fma_f32 v[10:11], v[4:5], v[0:1], v[8:9] op_sel:[0,0,1] op_sel_hi:[1,1,0] neg_lo:[0,0,1] neg_hi:[0,0,1]
	v_pk_fma_f32 v[4:5], v[4:5], v[0:1], v[8:9] op_sel:[0,0,1] op_sel_hi:[1,0,0]
	v_dual_mul_f32 v8, v7, v3 :: v_dual_mov_b32 v4, v7
	s_delay_alu instid0(VALU_DEP_2) | instskip(NEXT) | instid1(VALU_DEP_2)
	v_dual_mov_b32 v11, v5 :: v_dual_mov_b32 v5, v6
	v_pk_fma_f32 v[8:9], v[6:7], v[90:91], v[8:9] op_sel_hi:[1,1,0] neg_lo:[0,0,1] neg_hi:[0,0,1]
	v_mul_f32_e32 v6, v7, v0
	s_delay_alu instid0(VALU_DEP_3) | instskip(NEXT) | instid1(VALU_DEP_2)
	v_pk_add_f32 v[140:141], v[140:141], v[10:11] neg_lo:[0,1] neg_hi:[0,1]
	v_pk_fma_f32 v[4:5], v[4:5], v[90:91], v[6:7] op_sel_hi:[1,1,0]
	s_delay_alu instid0(VALU_DEP_1) | instskip(SKIP_4) | instid1(VALU_DEP_1)
	v_mov_b32_e32 v9, v5
	ds_load_2addr_b64 v[4:7], v26 offset0:35 offset1:36
	v_pk_add_f32 v[142:143], v[142:143], v[8:9] neg_lo:[0,1] neg_hi:[0,1]
	s_wait_dscnt 0x0
	v_pk_mul_f32 v[8:9], v[4:5], v[2:3] op_sel:[0,1]
	v_pk_fma_f32 v[10:11], v[4:5], v[0:1], v[8:9] op_sel:[0,0,1] op_sel_hi:[1,1,0] neg_lo:[0,0,1] neg_hi:[0,0,1]
	v_pk_fma_f32 v[4:5], v[4:5], v[0:1], v[8:9] op_sel:[0,0,1] op_sel_hi:[1,0,0]
	s_delay_alu instid0(VALU_DEP_1) | instskip(SKIP_1) | instid1(VALU_DEP_1)
	v_mov_b32_e32 v11, v5
	v_pk_mul_f32 v[4:5], v[6:7], v[2:3] op_sel:[0,1]
	v_pk_fma_f32 v[8:9], v[6:7], v[0:1], v[4:5] op_sel:[0,0,1] op_sel_hi:[1,1,0] neg_lo:[0,0,1] neg_hi:[0,0,1]
	v_pk_fma_f32 v[4:5], v[6:7], v[0:1], v[4:5] op_sel:[0,0,1] op_sel_hi:[1,0,0]
	s_delay_alu instid0(VALU_DEP_1)
	v_mov_b32_e32 v9, v5
	ds_load_2addr_b64 v[4:7], v26 offset0:37 offset1:38
	v_pk_add_f32 v[138:139], v[138:139], v[10:11] neg_lo:[0,1] neg_hi:[0,1]
	v_pk_add_f32 v[162:163], v[162:163], v[8:9] neg_lo:[0,1] neg_hi:[0,1]
	s_wait_dscnt 0x0
	v_pk_mul_f32 v[8:9], v[4:5], v[2:3] op_sel:[0,1]
	s_delay_alu instid0(VALU_DEP_1) | instskip(SKIP_1) | instid1(VALU_DEP_1)
	v_pk_fma_f32 v[10:11], v[4:5], v[0:1], v[8:9] op_sel:[0,0,1] op_sel_hi:[1,1,0] neg_lo:[0,0,1] neg_hi:[0,0,1]
	v_pk_fma_f32 v[4:5], v[4:5], v[0:1], v[8:9] op_sel:[0,0,1] op_sel_hi:[1,0,0]
	v_mov_b32_e32 v11, v5
	v_pk_mul_f32 v[4:5], v[6:7], v[2:3] op_sel:[0,1]
	s_delay_alu instid0(VALU_DEP_1) | instskip(SKIP_1) | instid1(VALU_DEP_1)
	v_pk_fma_f32 v[8:9], v[6:7], v[0:1], v[4:5] op_sel:[0,0,1] op_sel_hi:[1,1,0] neg_lo:[0,0,1] neg_hi:[0,0,1]
	v_pk_fma_f32 v[4:5], v[6:7], v[0:1], v[4:5] op_sel:[0,0,1] op_sel_hi:[1,0,0]
	v_mov_b32_e32 v9, v5
	ds_load_2addr_b64 v[4:7], v26 offset0:39 offset1:40
	v_pk_add_f32 v[158:159], v[158:159], v[10:11] neg_lo:[0,1] neg_hi:[0,1]
	v_pk_add_f32 v[160:161], v[160:161], v[8:9] neg_lo:[0,1] neg_hi:[0,1]
	s_wait_dscnt 0x0
	v_dual_mul_f32 v8, v5, v3 :: v_dual_mul_f32 v10, v5, v0
	s_delay_alu instid0(VALU_DEP_1) | instskip(NEXT) | instid1(VALU_DEP_2)
	v_pk_fma_f32 v[8:9], v[4:5], v[90:91], v[8:9] op_sel_hi:[1,1,0] neg_lo:[0,0,1] neg_hi:[0,0,1]
	v_pk_fma_f32 v[4:5], v[4:5], v[90:91], v[10:11] op_sel:[1,0,0] op_sel_hi:[0,1,0]
	s_delay_alu instid0(VALU_DEP_1) | instskip(SKIP_1) | instid1(VALU_DEP_2)
	v_mov_b32_e32 v9, v5
	v_pk_mul_f32 v[4:5], v[6:7], v[2:3] op_sel:[0,1]
	v_pk_add_f32 v[156:157], v[156:157], v[8:9] neg_lo:[0,1] neg_hi:[0,1]
	s_delay_alu instid0(VALU_DEP_2) | instskip(SKIP_1) | instid1(VALU_DEP_1)
	v_pk_fma_f32 v[8:9], v[6:7], v[0:1], v[4:5] op_sel:[0,0,1] op_sel_hi:[1,1,0] neg_lo:[0,0,1] neg_hi:[0,0,1]
	v_pk_fma_f32 v[4:5], v[6:7], v[0:1], v[4:5] op_sel:[0,0,1] op_sel_hi:[1,0,0]
	v_mov_b32_e32 v9, v5
	ds_load_2addr_b64 v[4:7], v26 offset0:41 offset1:42
	v_pk_add_f32 v[178:179], v[178:179], v[8:9] neg_lo:[0,1] neg_hi:[0,1]
	s_wait_dscnt 0x0
	v_pk_mul_f32 v[8:9], v[4:5], v[2:3] op_sel:[0,1]
	s_delay_alu instid0(VALU_DEP_1) | instskip(SKIP_1) | instid1(VALU_DEP_1)
	v_pk_fma_f32 v[10:11], v[4:5], v[0:1], v[8:9] op_sel:[0,0,1] op_sel_hi:[1,1,0] neg_lo:[0,0,1] neg_hi:[0,0,1]
	v_pk_fma_f32 v[4:5], v[4:5], v[0:1], v[8:9] op_sel:[0,0,1] op_sel_hi:[1,0,0]
	v_mov_b32_e32 v11, v5
	v_pk_mul_f32 v[4:5], v[6:7], v[2:3] op_sel:[0,1]
	s_delay_alu instid0(VALU_DEP_2) | instskip(NEXT) | instid1(VALU_DEP_2)
	v_pk_add_f32 v[174:175], v[174:175], v[10:11] neg_lo:[0,1] neg_hi:[0,1]
	v_pk_fma_f32 v[8:9], v[6:7], v[0:1], v[4:5] op_sel:[0,0,1] op_sel_hi:[1,1,0] neg_lo:[0,0,1] neg_hi:[0,0,1]
	v_pk_fma_f32 v[4:5], v[6:7], v[0:1], v[4:5] op_sel:[0,0,1] op_sel_hi:[1,0,0]
	s_delay_alu instid0(VALU_DEP_1) | instskip(SKIP_4) | instid1(VALU_DEP_1)
	v_mov_b32_e32 v9, v5
	ds_load_2addr_b64 v[4:7], v26 offset0:43 offset1:44
	v_pk_add_f32 v[176:177], v[176:177], v[8:9] neg_lo:[0,1] neg_hi:[0,1]
	s_wait_dscnt 0x0
	v_pk_mul_f32 v[8:9], v[4:5], v[2:3] op_sel:[0,1]
	v_pk_fma_f32 v[10:11], v[4:5], v[0:1], v[8:9] op_sel:[0,0,1] op_sel_hi:[1,1,0] neg_lo:[0,0,1] neg_hi:[0,0,1]
	v_pk_fma_f32 v[4:5], v[4:5], v[0:1], v[8:9] op_sel:[0,0,1] op_sel_hi:[1,0,0]
	v_dual_mul_f32 v8, v7, v3 :: v_dual_mov_b32 v4, v7
	s_delay_alu instid0(VALU_DEP_2) | instskip(NEXT) | instid1(VALU_DEP_2)
	v_dual_mov_b32 v11, v5 :: v_dual_mov_b32 v5, v6
	v_pk_fma_f32 v[8:9], v[6:7], v[90:91], v[8:9] op_sel_hi:[1,1,0] neg_lo:[0,0,1] neg_hi:[0,0,1]
	v_mul_f32_e32 v6, v7, v0
	s_delay_alu instid0(VALU_DEP_3) | instskip(NEXT) | instid1(VALU_DEP_2)
	v_pk_add_f32 v[172:173], v[172:173], v[10:11] neg_lo:[0,1] neg_hi:[0,1]
	v_pk_fma_f32 v[4:5], v[4:5], v[90:91], v[6:7] op_sel_hi:[1,1,0]
	s_delay_alu instid0(VALU_DEP_1) | instskip(SKIP_4) | instid1(VALU_DEP_1)
	v_mov_b32_e32 v9, v5
	ds_load_b64 v[4:5], v26 offset:360
	v_pk_add_f32 v[180:181], v[180:181], v[8:9] neg_lo:[0,1] neg_hi:[0,1]
	s_wait_dscnt 0x0
	v_pk_mul_f32 v[2:3], v[4:5], v[2:3] op_sel:[0,1]
	v_pk_fma_f32 v[6:7], v[4:5], v[0:1], v[2:3] op_sel:[0,0,1] op_sel_hi:[1,1,0] neg_lo:[0,0,1] neg_hi:[0,0,1]
	v_pk_fma_f32 v[0:1], v[4:5], v[0:1], v[2:3] op_sel:[0,0,1] op_sel_hi:[1,0,0]
	s_delay_alu instid0(VALU_DEP_1) | instskip(NEXT) | instid1(VALU_DEP_1)
	v_mov_b32_e32 v7, v1
	v_pk_add_f32 v[184:185], v[184:185], v[6:7] neg_lo:[0,1] neg_hi:[0,1]
.LBB91_190:
	s_or_b32 exec_lo, exec_lo, s1
	s_delay_alu instid0(SALU_CYCLE_1)
	s_mov_b32 s2, exec_lo
	s_wait_dscnt 0x0
	s_barrier_signal -1
	s_barrier_wait -1
	v_cmpx_eq_u32_e32 21, v34
	s_cbranch_execz .LBB91_197
; %bb.191:
	v_dual_mov_b32 v0, v88 :: v_dual_mov_b32 v1, v89
	v_dual_mov_b32 v2, v84 :: v_dual_mov_b32 v3, v85
	v_dual_mov_b32 v4, v112 :: v_dual_mov_b32 v5, v113
	v_dual_mov_b32 v6, v108 :: v_dual_mov_b32 v7, v109
	v_dual_mov_b32 v8, v110 :: v_dual_mov_b32 v9, v111
	v_dual_mov_b32 v10, v106 :: v_dual_mov_b32 v11, v107
	v_dual_mov_b32 v12, v128 :: v_dual_mov_b32 v13, v129
	v_dual_mov_b32 v14, v124 :: v_dual_mov_b32 v15, v125
	v_dual_mov_b32 v18, v126 :: v_dual_mov_b32 v19, v127
	v_dual_mov_b32 v20, v122 :: v_dual_mov_b32 v21, v123
	ds_store_b64 v35, v[86:87]
	v_dual_mov_b32 v22, v144 :: v_dual_mov_b32 v23, v145
	v_dual_mov_b32 v28, v140 :: v_dual_mov_b32 v29, v141
	ds_store_2addr_b64 v26, v[0:1], v[2:3] offset0:22 offset1:23
	ds_store_2addr_b64 v26, v[4:5], v[6:7] offset0:24 offset1:25
	;; [unrolled: 1-line block ×6, first 2 shown]
	v_dual_mov_b32 v0, v142 :: v_dual_mov_b32 v1, v143
	v_dual_mov_b32 v2, v138 :: v_dual_mov_b32 v3, v139
	;; [unrolled: 1-line block ×11, first 2 shown]
	ds_store_2addr_b64 v26, v[0:1], v[2:3] offset0:34 offset1:35
	ds_store_2addr_b64 v26, v[4:5], v[6:7] offset0:36 offset1:37
	;; [unrolled: 1-line block ×6, first 2 shown]
	ds_load_b64 v[0:1], v35
	s_wait_dscnt 0x0
	v_cmp_neq_f32_e32 vcc_lo, 0, v0
	v_cmp_neq_f32_e64 s1, 0, v1
	s_or_b32 s1, vcc_lo, s1
	s_delay_alu instid0(SALU_CYCLE_1)
	s_and_b32 exec_lo, exec_lo, s1
	s_cbranch_execz .LBB91_197
; %bb.192:
	v_cmp_ngt_f32_e64 s1, |v0|, |v1|
                                        ; implicit-def: $vgpr2_vgpr3
	s_and_saveexec_b32 s4, s1
	s_delay_alu instid0(SALU_CYCLE_1)
	s_xor_b32 s1, exec_lo, s4
	s_cbranch_execz .LBB91_194
; %bb.193:
	v_div_scale_f32 v2, null, v1, v1, v0
	v_div_scale_f32 v5, vcc_lo, v0, v1, v0
	s_delay_alu instid0(VALU_DEP_2) | instskip(SKIP_1) | instid1(TRANS32_DEP_1)
	v_rcp_f32_e32 v3, v2
	v_nop
	v_fma_f32 v4, -v2, v3, 1.0
	s_delay_alu instid0(VALU_DEP_1) | instskip(NEXT) | instid1(VALU_DEP_1)
	v_fmac_f32_e32 v3, v4, v3
	v_mul_f32_e32 v4, v5, v3
	s_delay_alu instid0(VALU_DEP_1) | instskip(NEXT) | instid1(VALU_DEP_1)
	v_fma_f32 v6, -v2, v4, v5
	v_fmac_f32_e32 v4, v6, v3
	s_delay_alu instid0(VALU_DEP_1) | instskip(NEXT) | instid1(VALU_DEP_1)
	v_fma_f32 v2, -v2, v4, v5
	v_div_fmas_f32 v2, v2, v3, v4
	s_delay_alu instid0(VALU_DEP_1) | instskip(NEXT) | instid1(VALU_DEP_1)
	v_div_fixup_f32 v2, v2, v1, v0
	v_fmac_f32_e32 v1, v0, v2
	s_delay_alu instid0(VALU_DEP_1) | instskip(SKIP_1) | instid1(VALU_DEP_2)
	v_div_scale_f32 v0, null, v1, v1, 1.0
	v_div_scale_f32 v5, vcc_lo, 1.0, v1, 1.0
	v_rcp_f32_e32 v3, v0
	v_nop
	s_delay_alu instid0(TRANS32_DEP_1) | instskip(NEXT) | instid1(VALU_DEP_1)
	v_fma_f32 v4, -v0, v3, 1.0
	v_fmac_f32_e32 v3, v4, v3
	s_delay_alu instid0(VALU_DEP_1) | instskip(NEXT) | instid1(VALU_DEP_1)
	v_mul_f32_e32 v4, v5, v3
	v_fma_f32 v6, -v0, v4, v5
	s_delay_alu instid0(VALU_DEP_1) | instskip(NEXT) | instid1(VALU_DEP_1)
	v_fmac_f32_e32 v4, v6, v3
	v_fma_f32 v0, -v0, v4, v5
	s_delay_alu instid0(VALU_DEP_1) | instskip(NEXT) | instid1(VALU_DEP_1)
	v_div_fmas_f32 v0, v0, v3, v4
	v_div_fixup_f32 v0, v0, v1, 1.0
	s_delay_alu instid0(VALU_DEP_1)
	v_mul_f32_e32 v2, v2, v0
	v_xor_b32_e32 v3, 0x80000000, v0
                                        ; implicit-def: $vgpr0_vgpr1
.LBB91_194:
	s_and_not1_saveexec_b32 s1, s1
	s_cbranch_execz .LBB91_196
; %bb.195:
	v_div_scale_f32 v2, null, v0, v0, v1
	v_div_scale_f32 v5, vcc_lo, v1, v0, v1
	s_delay_alu instid0(VALU_DEP_2) | instskip(SKIP_1) | instid1(TRANS32_DEP_1)
	v_rcp_f32_e32 v3, v2
	v_nop
	v_fma_f32 v4, -v2, v3, 1.0
	s_delay_alu instid0(VALU_DEP_1) | instskip(NEXT) | instid1(VALU_DEP_1)
	v_fmac_f32_e32 v3, v4, v3
	v_mul_f32_e32 v4, v5, v3
	s_delay_alu instid0(VALU_DEP_1) | instskip(NEXT) | instid1(VALU_DEP_1)
	v_fma_f32 v6, -v2, v4, v5
	v_fmac_f32_e32 v4, v6, v3
	s_delay_alu instid0(VALU_DEP_1) | instskip(NEXT) | instid1(VALU_DEP_1)
	v_fma_f32 v2, -v2, v4, v5
	v_div_fmas_f32 v2, v2, v3, v4
	s_delay_alu instid0(VALU_DEP_1) | instskip(NEXT) | instid1(VALU_DEP_1)
	v_div_fixup_f32 v3, v2, v0, v1
	v_fmac_f32_e32 v0, v1, v3
	s_delay_alu instid0(VALU_DEP_1) | instskip(NEXT) | instid1(VALU_DEP_1)
	v_div_scale_f32 v1, null, v0, v0, 1.0
	v_rcp_f32_e32 v2, v1
	v_nop
	s_delay_alu instid0(TRANS32_DEP_1) | instskip(NEXT) | instid1(VALU_DEP_1)
	v_fma_f32 v4, -v1, v2, 1.0
	v_fmac_f32_e32 v2, v4, v2
	v_div_scale_f32 v4, vcc_lo, 1.0, v0, 1.0
	s_delay_alu instid0(VALU_DEP_1) | instskip(NEXT) | instid1(VALU_DEP_1)
	v_mul_f32_e32 v5, v4, v2
	v_fma_f32 v6, -v1, v5, v4
	s_delay_alu instid0(VALU_DEP_1) | instskip(NEXT) | instid1(VALU_DEP_1)
	v_fmac_f32_e32 v5, v6, v2
	v_fma_f32 v1, -v1, v5, v4
	s_delay_alu instid0(VALU_DEP_1) | instskip(NEXT) | instid1(VALU_DEP_1)
	v_div_fmas_f32 v1, v1, v2, v5
	v_div_fixup_f32 v2, v1, v0, 1.0
	s_delay_alu instid0(VALU_DEP_1)
	v_mul_f32_e64 v3, v3, -v2
.LBB91_196:
	s_or_b32 exec_lo, exec_lo, s1
	ds_store_b64 v35, v[2:3]
.LBB91_197:
	s_or_b32 exec_lo, exec_lo, s2
	s_wait_dscnt 0x0
	s_barrier_signal -1
	s_barrier_wait -1
	ds_load_b64 v[228:229], v35
	s_mov_b32 s1, exec_lo
	v_cmpx_lt_u32_e32 21, v34
	s_cbranch_execz .LBB91_199
; %bb.198:
	ds_load_2addr_b64 v[4:7], v26 offset0:22 offset1:23
	s_wait_dscnt 0x1
	v_pk_mul_f32 v[2:3], v[228:229], v[86:87] op_sel:[1,1] op_sel_hi:[0,1]
	s_delay_alu instid0(VALU_DEP_1) | instskip(SKIP_1) | instid1(VALU_DEP_1)
	v_pk_fma_f32 v[0:1], v[228:229], v[86:87], v[2:3] op_sel_hi:[1,0,1] neg_lo:[0,0,1] neg_hi:[0,0,1]
	v_pk_fma_f32 v[2:3], v[228:229], v[86:87], v[2:3] op_sel_hi:[1,0,1]
	v_dual_mov_b32 v86, v0 :: v_dual_mov_b32 v87, v3
	s_wait_dscnt 0x0
	s_delay_alu instid0(VALU_DEP_2) | instskip(NEXT) | instid1(VALU_DEP_1)
	v_pk_mul_f32 v[8:9], v[4:5], v[2:3] op_sel:[0,1]
	v_pk_fma_f32 v[10:11], v[4:5], v[0:1], v[8:9] op_sel:[0,0,1] op_sel_hi:[1,1,0] neg_lo:[0,0,1] neg_hi:[0,0,1]
	v_pk_fma_f32 v[4:5], v[4:5], v[0:1], v[8:9] op_sel:[0,0,1] op_sel_hi:[1,0,0]
	s_delay_alu instid0(VALU_DEP_1) | instskip(SKIP_1) | instid1(VALU_DEP_1)
	v_mov_b32_e32 v11, v5
	v_pk_mul_f32 v[4:5], v[6:7], v[2:3] op_sel:[0,1]
	v_pk_fma_f32 v[8:9], v[6:7], v[0:1], v[4:5] op_sel:[0,0,1] op_sel_hi:[1,1,0] neg_lo:[0,0,1] neg_hi:[0,0,1]
	v_pk_fma_f32 v[4:5], v[6:7], v[0:1], v[4:5] op_sel:[0,0,1] op_sel_hi:[1,0,0]
	s_delay_alu instid0(VALU_DEP_1)
	v_mov_b32_e32 v9, v5
	ds_load_2addr_b64 v[4:7], v26 offset0:24 offset1:25
	v_pk_add_f32 v[88:89], v[88:89], v[10:11] neg_lo:[0,1] neg_hi:[0,1]
	v_pk_add_f32 v[84:85], v[84:85], v[8:9] neg_lo:[0,1] neg_hi:[0,1]
	s_wait_dscnt 0x0
	v_pk_mul_f32 v[8:9], v[4:5], v[2:3] op_sel:[0,1]
	s_delay_alu instid0(VALU_DEP_1) | instskip(SKIP_2) | instid1(VALU_DEP_2)
	v_pk_fma_f32 v[10:11], v[4:5], v[0:1], v[8:9] op_sel:[0,0,1] op_sel_hi:[1,1,0] neg_lo:[0,0,1] neg_hi:[0,0,1]
	v_pk_fma_f32 v[4:5], v[4:5], v[0:1], v[8:9] op_sel:[0,0,1] op_sel_hi:[1,0,0]
	v_dual_mul_f32 v8, v7, v3 :: v_dual_mov_b32 v4, v7
	v_dual_mov_b32 v11, v5 :: v_dual_mov_b32 v5, v6
	s_delay_alu instid0(VALU_DEP_2) | instskip(SKIP_1) | instid1(VALU_DEP_3)
	v_pk_fma_f32 v[8:9], v[6:7], v[86:87], v[8:9] op_sel_hi:[1,1,0] neg_lo:[0,0,1] neg_hi:[0,0,1]
	v_mul_f32_e32 v6, v7, v0
	v_pk_add_f32 v[112:113], v[112:113], v[10:11] neg_lo:[0,1] neg_hi:[0,1]
	s_delay_alu instid0(VALU_DEP_2) | instskip(NEXT) | instid1(VALU_DEP_1)
	v_pk_fma_f32 v[4:5], v[4:5], v[86:87], v[6:7] op_sel_hi:[1,1,0]
	v_mov_b32_e32 v9, v5
	ds_load_2addr_b64 v[4:7], v26 offset0:26 offset1:27
	v_pk_add_f32 v[108:109], v[108:109], v[8:9] neg_lo:[0,1] neg_hi:[0,1]
	s_wait_dscnt 0x0
	v_pk_mul_f32 v[8:9], v[4:5], v[2:3] op_sel:[0,1]
	s_delay_alu instid0(VALU_DEP_1) | instskip(SKIP_1) | instid1(VALU_DEP_1)
	v_pk_fma_f32 v[10:11], v[4:5], v[0:1], v[8:9] op_sel:[0,0,1] op_sel_hi:[1,1,0] neg_lo:[0,0,1] neg_hi:[0,0,1]
	v_pk_fma_f32 v[4:5], v[4:5], v[0:1], v[8:9] op_sel:[0,0,1] op_sel_hi:[1,0,0]
	v_mov_b32_e32 v11, v5
	v_pk_mul_f32 v[4:5], v[6:7], v[2:3] op_sel:[0,1]
	s_delay_alu instid0(VALU_DEP_1) | instskip(SKIP_1) | instid1(VALU_DEP_1)
	v_pk_fma_f32 v[8:9], v[6:7], v[0:1], v[4:5] op_sel:[0,0,1] op_sel_hi:[1,1,0] neg_lo:[0,0,1] neg_hi:[0,0,1]
	v_pk_fma_f32 v[4:5], v[6:7], v[0:1], v[4:5] op_sel:[0,0,1] op_sel_hi:[1,0,0]
	v_mov_b32_e32 v9, v5
	ds_load_2addr_b64 v[4:7], v26 offset0:28 offset1:29
	v_pk_add_f32 v[110:111], v[110:111], v[10:11] neg_lo:[0,1] neg_hi:[0,1]
	v_pk_add_f32 v[106:107], v[106:107], v[8:9] neg_lo:[0,1] neg_hi:[0,1]
	s_wait_dscnt 0x0
	v_pk_mul_f32 v[8:9], v[4:5], v[2:3] op_sel:[0,1]
	s_delay_alu instid0(VALU_DEP_1) | instskip(SKIP_1) | instid1(VALU_DEP_1)
	v_pk_fma_f32 v[10:11], v[4:5], v[0:1], v[8:9] op_sel:[0,0,1] op_sel_hi:[1,1,0] neg_lo:[0,0,1] neg_hi:[0,0,1]
	v_pk_fma_f32 v[4:5], v[4:5], v[0:1], v[8:9] op_sel:[0,0,1] op_sel_hi:[1,0,0]
	v_mov_b32_e32 v11, v5
	v_pk_mul_f32 v[4:5], v[6:7], v[2:3] op_sel:[0,1]
	s_delay_alu instid0(VALU_DEP_1) | instskip(SKIP_1) | instid1(VALU_DEP_1)
	v_pk_fma_f32 v[8:9], v[6:7], v[0:1], v[4:5] op_sel:[0,0,1] op_sel_hi:[1,1,0] neg_lo:[0,0,1] neg_hi:[0,0,1]
	v_pk_fma_f32 v[4:5], v[6:7], v[0:1], v[4:5] op_sel:[0,0,1] op_sel_hi:[1,0,0]
	v_mov_b32_e32 v9, v5
	ds_load_2addr_b64 v[4:7], v26 offset0:30 offset1:31
	v_pk_add_f32 v[128:129], v[128:129], v[10:11] neg_lo:[0,1] neg_hi:[0,1]
	v_pk_add_f32 v[124:125], v[124:125], v[8:9] neg_lo:[0,1] neg_hi:[0,1]
	s_wait_dscnt 0x0
	v_dual_mul_f32 v8, v5, v3 :: v_dual_mul_f32 v10, v5, v0
	s_delay_alu instid0(VALU_DEP_1) | instskip(NEXT) | instid1(VALU_DEP_2)
	v_pk_fma_f32 v[8:9], v[4:5], v[86:87], v[8:9] op_sel_hi:[1,1,0] neg_lo:[0,0,1] neg_hi:[0,0,1]
	v_pk_fma_f32 v[4:5], v[4:5], v[86:87], v[10:11] op_sel:[1,0,0] op_sel_hi:[0,1,0]
	s_delay_alu instid0(VALU_DEP_1) | instskip(SKIP_1) | instid1(VALU_DEP_2)
	v_mov_b32_e32 v9, v5
	v_pk_mul_f32 v[4:5], v[6:7], v[2:3] op_sel:[0,1]
	v_pk_add_f32 v[126:127], v[126:127], v[8:9] neg_lo:[0,1] neg_hi:[0,1]
	s_delay_alu instid0(VALU_DEP_2) | instskip(SKIP_1) | instid1(VALU_DEP_1)
	v_pk_fma_f32 v[8:9], v[6:7], v[0:1], v[4:5] op_sel:[0,0,1] op_sel_hi:[1,1,0] neg_lo:[0,0,1] neg_hi:[0,0,1]
	v_pk_fma_f32 v[4:5], v[6:7], v[0:1], v[4:5] op_sel:[0,0,1] op_sel_hi:[1,0,0]
	v_mov_b32_e32 v9, v5
	ds_load_2addr_b64 v[4:7], v26 offset0:32 offset1:33
	v_pk_add_f32 v[122:123], v[122:123], v[8:9] neg_lo:[0,1] neg_hi:[0,1]
	s_wait_dscnt 0x0
	v_pk_mul_f32 v[8:9], v[4:5], v[2:3] op_sel:[0,1]
	s_delay_alu instid0(VALU_DEP_1) | instskip(SKIP_1) | instid1(VALU_DEP_1)
	v_pk_fma_f32 v[10:11], v[4:5], v[0:1], v[8:9] op_sel:[0,0,1] op_sel_hi:[1,1,0] neg_lo:[0,0,1] neg_hi:[0,0,1]
	v_pk_fma_f32 v[4:5], v[4:5], v[0:1], v[8:9] op_sel:[0,0,1] op_sel_hi:[1,0,0]
	v_mov_b32_e32 v11, v5
	v_pk_mul_f32 v[4:5], v[6:7], v[2:3] op_sel:[0,1]
	s_delay_alu instid0(VALU_DEP_2) | instskip(NEXT) | instid1(VALU_DEP_2)
	v_pk_add_f32 v[144:145], v[144:145], v[10:11] neg_lo:[0,1] neg_hi:[0,1]
	v_pk_fma_f32 v[8:9], v[6:7], v[0:1], v[4:5] op_sel:[0,0,1] op_sel_hi:[1,1,0] neg_lo:[0,0,1] neg_hi:[0,0,1]
	v_pk_fma_f32 v[4:5], v[6:7], v[0:1], v[4:5] op_sel:[0,0,1] op_sel_hi:[1,0,0]
	s_delay_alu instid0(VALU_DEP_1) | instskip(SKIP_4) | instid1(VALU_DEP_1)
	v_mov_b32_e32 v9, v5
	ds_load_2addr_b64 v[4:7], v26 offset0:34 offset1:35
	v_pk_add_f32 v[140:141], v[140:141], v[8:9] neg_lo:[0,1] neg_hi:[0,1]
	s_wait_dscnt 0x0
	v_pk_mul_f32 v[8:9], v[4:5], v[2:3] op_sel:[0,1]
	v_pk_fma_f32 v[10:11], v[4:5], v[0:1], v[8:9] op_sel:[0,0,1] op_sel_hi:[1,1,0] neg_lo:[0,0,1] neg_hi:[0,0,1]
	v_pk_fma_f32 v[4:5], v[4:5], v[0:1], v[8:9] op_sel:[0,0,1] op_sel_hi:[1,0,0]
	v_dual_mul_f32 v8, v7, v3 :: v_dual_mov_b32 v4, v7
	s_delay_alu instid0(VALU_DEP_2) | instskip(NEXT) | instid1(VALU_DEP_2)
	v_dual_mov_b32 v11, v5 :: v_dual_mov_b32 v5, v6
	v_pk_fma_f32 v[8:9], v[6:7], v[86:87], v[8:9] op_sel_hi:[1,1,0] neg_lo:[0,0,1] neg_hi:[0,0,1]
	v_mul_f32_e32 v6, v7, v0
	s_delay_alu instid0(VALU_DEP_3) | instskip(NEXT) | instid1(VALU_DEP_2)
	v_pk_add_f32 v[142:143], v[142:143], v[10:11] neg_lo:[0,1] neg_hi:[0,1]
	v_pk_fma_f32 v[4:5], v[4:5], v[86:87], v[6:7] op_sel_hi:[1,1,0]
	s_delay_alu instid0(VALU_DEP_1) | instskip(SKIP_4) | instid1(VALU_DEP_1)
	v_mov_b32_e32 v9, v5
	ds_load_2addr_b64 v[4:7], v26 offset0:36 offset1:37
	v_pk_add_f32 v[138:139], v[138:139], v[8:9] neg_lo:[0,1] neg_hi:[0,1]
	s_wait_dscnt 0x0
	v_pk_mul_f32 v[8:9], v[4:5], v[2:3] op_sel:[0,1]
	v_pk_fma_f32 v[10:11], v[4:5], v[0:1], v[8:9] op_sel:[0,0,1] op_sel_hi:[1,1,0] neg_lo:[0,0,1] neg_hi:[0,0,1]
	v_pk_fma_f32 v[4:5], v[4:5], v[0:1], v[8:9] op_sel:[0,0,1] op_sel_hi:[1,0,0]
	s_delay_alu instid0(VALU_DEP_1) | instskip(SKIP_1) | instid1(VALU_DEP_1)
	v_mov_b32_e32 v11, v5
	v_pk_mul_f32 v[4:5], v[6:7], v[2:3] op_sel:[0,1]
	v_pk_fma_f32 v[8:9], v[6:7], v[0:1], v[4:5] op_sel:[0,0,1] op_sel_hi:[1,1,0] neg_lo:[0,0,1] neg_hi:[0,0,1]
	v_pk_fma_f32 v[4:5], v[6:7], v[0:1], v[4:5] op_sel:[0,0,1] op_sel_hi:[1,0,0]
	s_delay_alu instid0(VALU_DEP_1)
	v_mov_b32_e32 v9, v5
	ds_load_2addr_b64 v[4:7], v26 offset0:38 offset1:39
	v_pk_add_f32 v[162:163], v[162:163], v[10:11] neg_lo:[0,1] neg_hi:[0,1]
	v_pk_add_f32 v[158:159], v[158:159], v[8:9] neg_lo:[0,1] neg_hi:[0,1]
	s_wait_dscnt 0x0
	v_pk_mul_f32 v[8:9], v[4:5], v[2:3] op_sel:[0,1]
	s_delay_alu instid0(VALU_DEP_1) | instskip(SKIP_1) | instid1(VALU_DEP_1)
	v_pk_fma_f32 v[10:11], v[4:5], v[0:1], v[8:9] op_sel:[0,0,1] op_sel_hi:[1,1,0] neg_lo:[0,0,1] neg_hi:[0,0,1]
	v_pk_fma_f32 v[4:5], v[4:5], v[0:1], v[8:9] op_sel:[0,0,1] op_sel_hi:[1,0,0]
	v_mov_b32_e32 v11, v5
	v_pk_mul_f32 v[4:5], v[6:7], v[2:3] op_sel:[0,1]
	s_delay_alu instid0(VALU_DEP_1) | instskip(SKIP_1) | instid1(VALU_DEP_1)
	v_pk_fma_f32 v[8:9], v[6:7], v[0:1], v[4:5] op_sel:[0,0,1] op_sel_hi:[1,1,0] neg_lo:[0,0,1] neg_hi:[0,0,1]
	v_pk_fma_f32 v[4:5], v[6:7], v[0:1], v[4:5] op_sel:[0,0,1] op_sel_hi:[1,0,0]
	v_mov_b32_e32 v9, v5
	ds_load_2addr_b64 v[4:7], v26 offset0:40 offset1:41
	v_pk_add_f32 v[160:161], v[160:161], v[10:11] neg_lo:[0,1] neg_hi:[0,1]
	v_pk_add_f32 v[156:157], v[156:157], v[8:9] neg_lo:[0,1] neg_hi:[0,1]
	s_wait_dscnt 0x0
	v_dual_mul_f32 v8, v5, v3 :: v_dual_mul_f32 v10, v5, v0
	s_delay_alu instid0(VALU_DEP_1) | instskip(NEXT) | instid1(VALU_DEP_2)
	v_pk_fma_f32 v[8:9], v[4:5], v[86:87], v[8:9] op_sel_hi:[1,1,0] neg_lo:[0,0,1] neg_hi:[0,0,1]
	v_pk_fma_f32 v[4:5], v[4:5], v[86:87], v[10:11] op_sel:[1,0,0] op_sel_hi:[0,1,0]
	s_delay_alu instid0(VALU_DEP_1) | instskip(SKIP_1) | instid1(VALU_DEP_2)
	v_mov_b32_e32 v9, v5
	v_pk_mul_f32 v[4:5], v[6:7], v[2:3] op_sel:[0,1]
	v_pk_add_f32 v[178:179], v[178:179], v[8:9] neg_lo:[0,1] neg_hi:[0,1]
	s_delay_alu instid0(VALU_DEP_2) | instskip(SKIP_1) | instid1(VALU_DEP_1)
	v_pk_fma_f32 v[8:9], v[6:7], v[0:1], v[4:5] op_sel:[0,0,1] op_sel_hi:[1,1,0] neg_lo:[0,0,1] neg_hi:[0,0,1]
	v_pk_fma_f32 v[4:5], v[6:7], v[0:1], v[4:5] op_sel:[0,0,1] op_sel_hi:[1,0,0]
	v_mov_b32_e32 v9, v5
	ds_load_2addr_b64 v[4:7], v26 offset0:42 offset1:43
	v_pk_add_f32 v[174:175], v[174:175], v[8:9] neg_lo:[0,1] neg_hi:[0,1]
	s_wait_dscnt 0x0
	v_pk_mul_f32 v[8:9], v[4:5], v[2:3] op_sel:[0,1]
	s_delay_alu instid0(VALU_DEP_1) | instskip(SKIP_1) | instid1(VALU_DEP_1)
	v_pk_fma_f32 v[10:11], v[4:5], v[0:1], v[8:9] op_sel:[0,0,1] op_sel_hi:[1,1,0] neg_lo:[0,0,1] neg_hi:[0,0,1]
	v_pk_fma_f32 v[4:5], v[4:5], v[0:1], v[8:9] op_sel:[0,0,1] op_sel_hi:[1,0,0]
	v_mov_b32_e32 v11, v5
	v_pk_mul_f32 v[4:5], v[6:7], v[2:3] op_sel:[0,1]
	s_delay_alu instid0(VALU_DEP_2) | instskip(NEXT) | instid1(VALU_DEP_2)
	v_pk_add_f32 v[176:177], v[176:177], v[10:11] neg_lo:[0,1] neg_hi:[0,1]
	v_pk_fma_f32 v[8:9], v[6:7], v[0:1], v[4:5] op_sel:[0,0,1] op_sel_hi:[1,1,0] neg_lo:[0,0,1] neg_hi:[0,0,1]
	v_pk_fma_f32 v[4:5], v[6:7], v[0:1], v[4:5] op_sel:[0,0,1] op_sel_hi:[1,0,0]
	s_delay_alu instid0(VALU_DEP_1)
	v_mov_b32_e32 v9, v5
	ds_load_2addr_b64 v[4:7], v26 offset0:44 offset1:45
	v_pk_add_f32 v[172:173], v[172:173], v[8:9] neg_lo:[0,1] neg_hi:[0,1]
	s_wait_dscnt 0x0
	v_pk_mul_f32 v[8:9], v[4:5], v[2:3] op_sel:[0,1]
	v_mul_f32_e32 v2, v7, v3
	s_delay_alu instid0(VALU_DEP_2) | instskip(SKIP_2) | instid1(VALU_DEP_4)
	v_pk_fma_f32 v[10:11], v[4:5], v[0:1], v[8:9] op_sel:[0,0,1] op_sel_hi:[1,1,0] neg_lo:[0,0,1] neg_hi:[0,0,1]
	v_pk_fma_f32 v[4:5], v[4:5], v[0:1], v[8:9] op_sel:[0,0,1] op_sel_hi:[1,0,0]
	v_dual_mov_b32 v4, v7 :: v_dual_mul_f32 v0, v7, v0
	v_pk_fma_f32 v[2:3], v[6:7], v[86:87], v[2:3] op_sel_hi:[1,1,0] neg_lo:[0,0,1] neg_hi:[0,0,1]
	s_delay_alu instid0(VALU_DEP_3) | instskip(NEXT) | instid1(VALU_DEP_1)
	v_dual_mov_b32 v11, v5 :: v_dual_mov_b32 v5, v6
	v_pk_add_f32 v[180:181], v[180:181], v[10:11] neg_lo:[0,1] neg_hi:[0,1]
	s_delay_alu instid0(VALU_DEP_2) | instskip(NEXT) | instid1(VALU_DEP_1)
	v_pk_fma_f32 v[0:1], v[4:5], v[86:87], v[0:1] op_sel_hi:[1,1,0]
	v_mov_b32_e32 v3, v1
	s_delay_alu instid0(VALU_DEP_1)
	v_pk_add_f32 v[184:185], v[184:185], v[2:3] neg_lo:[0,1] neg_hi:[0,1]
.LBB91_199:
	s_or_b32 exec_lo, exec_lo, s1
	s_delay_alu instid0(SALU_CYCLE_1)
	s_mov_b32 s2, exec_lo
	s_wait_dscnt 0x0
	s_barrier_signal -1
	s_barrier_wait -1
	v_cmpx_eq_u32_e32 22, v34
	s_cbranch_execz .LBB91_206
; %bb.200:
	ds_store_b64 v35, v[88:89]
	ds_store_2addr_b64 v26, v[84:85], v[112:113] offset0:23 offset1:24
	ds_store_2addr_b64 v26, v[108:109], v[110:111] offset0:25 offset1:26
	;; [unrolled: 1-line block ×11, first 2 shown]
	ds_store_b64 v26, v[184:185] offset:360
	ds_load_b64 v[0:1], v35
	s_wait_dscnt 0x0
	v_cmp_neq_f32_e32 vcc_lo, 0, v0
	v_cmp_neq_f32_e64 s1, 0, v1
	s_or_b32 s1, vcc_lo, s1
	s_delay_alu instid0(SALU_CYCLE_1)
	s_and_b32 exec_lo, exec_lo, s1
	s_cbranch_execz .LBB91_206
; %bb.201:
	v_cmp_ngt_f32_e64 s1, |v0|, |v1|
                                        ; implicit-def: $vgpr2_vgpr3
	s_and_saveexec_b32 s4, s1
	s_delay_alu instid0(SALU_CYCLE_1)
	s_xor_b32 s1, exec_lo, s4
	s_cbranch_execz .LBB91_203
; %bb.202:
	v_div_scale_f32 v2, null, v1, v1, v0
	v_div_scale_f32 v5, vcc_lo, v0, v1, v0
	s_delay_alu instid0(VALU_DEP_2) | instskip(SKIP_1) | instid1(TRANS32_DEP_1)
	v_rcp_f32_e32 v3, v2
	v_nop
	v_fma_f32 v4, -v2, v3, 1.0
	s_delay_alu instid0(VALU_DEP_1) | instskip(NEXT) | instid1(VALU_DEP_1)
	v_fmac_f32_e32 v3, v4, v3
	v_mul_f32_e32 v4, v5, v3
	s_delay_alu instid0(VALU_DEP_1) | instskip(NEXT) | instid1(VALU_DEP_1)
	v_fma_f32 v6, -v2, v4, v5
	v_fmac_f32_e32 v4, v6, v3
	s_delay_alu instid0(VALU_DEP_1) | instskip(NEXT) | instid1(VALU_DEP_1)
	v_fma_f32 v2, -v2, v4, v5
	v_div_fmas_f32 v2, v2, v3, v4
	s_delay_alu instid0(VALU_DEP_1) | instskip(NEXT) | instid1(VALU_DEP_1)
	v_div_fixup_f32 v2, v2, v1, v0
	v_fmac_f32_e32 v1, v0, v2
	s_delay_alu instid0(VALU_DEP_1) | instskip(SKIP_1) | instid1(VALU_DEP_2)
	v_div_scale_f32 v0, null, v1, v1, 1.0
	v_div_scale_f32 v5, vcc_lo, 1.0, v1, 1.0
	v_rcp_f32_e32 v3, v0
	v_nop
	s_delay_alu instid0(TRANS32_DEP_1) | instskip(NEXT) | instid1(VALU_DEP_1)
	v_fma_f32 v4, -v0, v3, 1.0
	v_fmac_f32_e32 v3, v4, v3
	s_delay_alu instid0(VALU_DEP_1) | instskip(NEXT) | instid1(VALU_DEP_1)
	v_mul_f32_e32 v4, v5, v3
	v_fma_f32 v6, -v0, v4, v5
	s_delay_alu instid0(VALU_DEP_1) | instskip(NEXT) | instid1(VALU_DEP_1)
	v_fmac_f32_e32 v4, v6, v3
	v_fma_f32 v0, -v0, v4, v5
	s_delay_alu instid0(VALU_DEP_1) | instskip(NEXT) | instid1(VALU_DEP_1)
	v_div_fmas_f32 v0, v0, v3, v4
	v_div_fixup_f32 v0, v0, v1, 1.0
	s_delay_alu instid0(VALU_DEP_1)
	v_mul_f32_e32 v2, v2, v0
	v_xor_b32_e32 v3, 0x80000000, v0
                                        ; implicit-def: $vgpr0_vgpr1
.LBB91_203:
	s_and_not1_saveexec_b32 s1, s1
	s_cbranch_execz .LBB91_205
; %bb.204:
	v_div_scale_f32 v2, null, v0, v0, v1
	v_div_scale_f32 v5, vcc_lo, v1, v0, v1
	s_delay_alu instid0(VALU_DEP_2) | instskip(SKIP_1) | instid1(TRANS32_DEP_1)
	v_rcp_f32_e32 v3, v2
	v_nop
	v_fma_f32 v4, -v2, v3, 1.0
	s_delay_alu instid0(VALU_DEP_1) | instskip(NEXT) | instid1(VALU_DEP_1)
	v_fmac_f32_e32 v3, v4, v3
	v_mul_f32_e32 v4, v5, v3
	s_delay_alu instid0(VALU_DEP_1) | instskip(NEXT) | instid1(VALU_DEP_1)
	v_fma_f32 v6, -v2, v4, v5
	v_fmac_f32_e32 v4, v6, v3
	s_delay_alu instid0(VALU_DEP_1) | instskip(NEXT) | instid1(VALU_DEP_1)
	v_fma_f32 v2, -v2, v4, v5
	v_div_fmas_f32 v2, v2, v3, v4
	s_delay_alu instid0(VALU_DEP_1) | instskip(NEXT) | instid1(VALU_DEP_1)
	v_div_fixup_f32 v3, v2, v0, v1
	v_fmac_f32_e32 v0, v1, v3
	s_delay_alu instid0(VALU_DEP_1) | instskip(NEXT) | instid1(VALU_DEP_1)
	v_div_scale_f32 v1, null, v0, v0, 1.0
	v_rcp_f32_e32 v2, v1
	v_nop
	s_delay_alu instid0(TRANS32_DEP_1) | instskip(NEXT) | instid1(VALU_DEP_1)
	v_fma_f32 v4, -v1, v2, 1.0
	v_fmac_f32_e32 v2, v4, v2
	v_div_scale_f32 v4, vcc_lo, 1.0, v0, 1.0
	s_delay_alu instid0(VALU_DEP_1) | instskip(NEXT) | instid1(VALU_DEP_1)
	v_mul_f32_e32 v5, v4, v2
	v_fma_f32 v6, -v1, v5, v4
	s_delay_alu instid0(VALU_DEP_1) | instskip(NEXT) | instid1(VALU_DEP_1)
	v_fmac_f32_e32 v5, v6, v2
	v_fma_f32 v1, -v1, v5, v4
	s_delay_alu instid0(VALU_DEP_1) | instskip(NEXT) | instid1(VALU_DEP_1)
	v_div_fmas_f32 v1, v1, v2, v5
	v_div_fixup_f32 v2, v1, v0, 1.0
	s_delay_alu instid0(VALU_DEP_1)
	v_mul_f32_e64 v3, v3, -v2
.LBB91_205:
	s_or_b32 exec_lo, exec_lo, s1
	ds_store_b64 v35, v[2:3]
.LBB91_206:
	s_or_b32 exec_lo, exec_lo, s2
	s_wait_dscnt 0x0
	s_barrier_signal -1
	s_barrier_wait -1
	ds_load_b64 v[230:231], v35
	s_mov_b32 s1, exec_lo
	v_cmpx_lt_u32_e32 22, v34
	s_cbranch_execz .LBB91_208
; %bb.207:
	ds_load_2addr_b64 v[4:7], v26 offset0:23 offset1:24
	s_wait_dscnt 0x1
	v_pk_mul_f32 v[2:3], v[230:231], v[88:89] op_sel:[1,1] op_sel_hi:[0,1]
	s_delay_alu instid0(VALU_DEP_1) | instskip(SKIP_1) | instid1(VALU_DEP_1)
	v_pk_fma_f32 v[0:1], v[230:231], v[88:89], v[2:3] op_sel_hi:[1,0,1] neg_lo:[0,0,1] neg_hi:[0,0,1]
	v_pk_fma_f32 v[2:3], v[230:231], v[88:89], v[2:3] op_sel_hi:[1,0,1]
	v_dual_mov_b32 v88, v0 :: v_dual_mov_b32 v89, v3
	s_wait_dscnt 0x0
	s_delay_alu instid0(VALU_DEP_2) | instskip(NEXT) | instid1(VALU_DEP_1)
	v_pk_mul_f32 v[8:9], v[4:5], v[2:3] op_sel:[0,1]
	v_pk_fma_f32 v[10:11], v[4:5], v[0:1], v[8:9] op_sel:[0,0,1] op_sel_hi:[1,1,0] neg_lo:[0,0,1] neg_hi:[0,0,1]
	v_pk_fma_f32 v[4:5], v[4:5], v[0:1], v[8:9] op_sel:[0,0,1] op_sel_hi:[1,0,0]
	s_delay_alu instid0(VALU_DEP_1) | instskip(SKIP_1) | instid1(VALU_DEP_1)
	v_mov_b32_e32 v11, v5
	v_pk_mul_f32 v[4:5], v[6:7], v[2:3] op_sel:[0,1]
	v_pk_fma_f32 v[8:9], v[6:7], v[0:1], v[4:5] op_sel:[0,0,1] op_sel_hi:[1,1,0] neg_lo:[0,0,1] neg_hi:[0,0,1]
	v_pk_fma_f32 v[4:5], v[6:7], v[0:1], v[4:5] op_sel:[0,0,1] op_sel_hi:[1,0,0]
	s_delay_alu instid0(VALU_DEP_1)
	v_mov_b32_e32 v9, v5
	ds_load_2addr_b64 v[4:7], v26 offset0:25 offset1:26
	v_pk_add_f32 v[84:85], v[84:85], v[10:11] neg_lo:[0,1] neg_hi:[0,1]
	v_pk_add_f32 v[112:113], v[112:113], v[8:9] neg_lo:[0,1] neg_hi:[0,1]
	s_wait_dscnt 0x0
	v_pk_mul_f32 v[8:9], v[4:5], v[2:3] op_sel:[0,1]
	s_delay_alu instid0(VALU_DEP_1) | instskip(SKIP_2) | instid1(VALU_DEP_2)
	v_pk_fma_f32 v[10:11], v[4:5], v[0:1], v[8:9] op_sel:[0,0,1] op_sel_hi:[1,1,0] neg_lo:[0,0,1] neg_hi:[0,0,1]
	v_pk_fma_f32 v[4:5], v[4:5], v[0:1], v[8:9] op_sel:[0,0,1] op_sel_hi:[1,0,0]
	v_dual_mul_f32 v8, v7, v3 :: v_dual_mov_b32 v4, v7
	v_dual_mov_b32 v11, v5 :: v_dual_mov_b32 v5, v6
	s_delay_alu instid0(VALU_DEP_2) | instskip(SKIP_1) | instid1(VALU_DEP_3)
	v_pk_fma_f32 v[8:9], v[6:7], v[88:89], v[8:9] op_sel_hi:[1,1,0] neg_lo:[0,0,1] neg_hi:[0,0,1]
	v_mul_f32_e32 v6, v7, v0
	v_pk_add_f32 v[108:109], v[108:109], v[10:11] neg_lo:[0,1] neg_hi:[0,1]
	s_delay_alu instid0(VALU_DEP_2) | instskip(NEXT) | instid1(VALU_DEP_1)
	v_pk_fma_f32 v[4:5], v[4:5], v[88:89], v[6:7] op_sel_hi:[1,1,0]
	v_mov_b32_e32 v9, v5
	ds_load_2addr_b64 v[4:7], v26 offset0:27 offset1:28
	v_pk_add_f32 v[110:111], v[110:111], v[8:9] neg_lo:[0,1] neg_hi:[0,1]
	s_wait_dscnt 0x0
	v_pk_mul_f32 v[8:9], v[4:5], v[2:3] op_sel:[0,1]
	s_delay_alu instid0(VALU_DEP_1) | instskip(SKIP_1) | instid1(VALU_DEP_1)
	v_pk_fma_f32 v[10:11], v[4:5], v[0:1], v[8:9] op_sel:[0,0,1] op_sel_hi:[1,1,0] neg_lo:[0,0,1] neg_hi:[0,0,1]
	v_pk_fma_f32 v[4:5], v[4:5], v[0:1], v[8:9] op_sel:[0,0,1] op_sel_hi:[1,0,0]
	v_mov_b32_e32 v11, v5
	v_pk_mul_f32 v[4:5], v[6:7], v[2:3] op_sel:[0,1]
	s_delay_alu instid0(VALU_DEP_1) | instskip(SKIP_1) | instid1(VALU_DEP_1)
	v_pk_fma_f32 v[8:9], v[6:7], v[0:1], v[4:5] op_sel:[0,0,1] op_sel_hi:[1,1,0] neg_lo:[0,0,1] neg_hi:[0,0,1]
	v_pk_fma_f32 v[4:5], v[6:7], v[0:1], v[4:5] op_sel:[0,0,1] op_sel_hi:[1,0,0]
	v_mov_b32_e32 v9, v5
	ds_load_2addr_b64 v[4:7], v26 offset0:29 offset1:30
	v_pk_add_f32 v[106:107], v[106:107], v[10:11] neg_lo:[0,1] neg_hi:[0,1]
	v_pk_add_f32 v[128:129], v[128:129], v[8:9] neg_lo:[0,1] neg_hi:[0,1]
	s_wait_dscnt 0x0
	v_pk_mul_f32 v[8:9], v[4:5], v[2:3] op_sel:[0,1]
	s_delay_alu instid0(VALU_DEP_1) | instskip(SKIP_1) | instid1(VALU_DEP_1)
	v_pk_fma_f32 v[10:11], v[4:5], v[0:1], v[8:9] op_sel:[0,0,1] op_sel_hi:[1,1,0] neg_lo:[0,0,1] neg_hi:[0,0,1]
	v_pk_fma_f32 v[4:5], v[4:5], v[0:1], v[8:9] op_sel:[0,0,1] op_sel_hi:[1,0,0]
	v_mov_b32_e32 v11, v5
	v_pk_mul_f32 v[4:5], v[6:7], v[2:3] op_sel:[0,1]
	s_delay_alu instid0(VALU_DEP_1) | instskip(SKIP_1) | instid1(VALU_DEP_1)
	v_pk_fma_f32 v[8:9], v[6:7], v[0:1], v[4:5] op_sel:[0,0,1] op_sel_hi:[1,1,0] neg_lo:[0,0,1] neg_hi:[0,0,1]
	v_pk_fma_f32 v[4:5], v[6:7], v[0:1], v[4:5] op_sel:[0,0,1] op_sel_hi:[1,0,0]
	v_mov_b32_e32 v9, v5
	ds_load_2addr_b64 v[4:7], v26 offset0:31 offset1:32
	v_pk_add_f32 v[124:125], v[124:125], v[10:11] neg_lo:[0,1] neg_hi:[0,1]
	v_pk_add_f32 v[126:127], v[126:127], v[8:9] neg_lo:[0,1] neg_hi:[0,1]
	s_wait_dscnt 0x0
	v_dual_mul_f32 v8, v5, v3 :: v_dual_mul_f32 v10, v5, v0
	s_delay_alu instid0(VALU_DEP_1) | instskip(NEXT) | instid1(VALU_DEP_2)
	v_pk_fma_f32 v[8:9], v[4:5], v[88:89], v[8:9] op_sel_hi:[1,1,0] neg_lo:[0,0,1] neg_hi:[0,0,1]
	v_pk_fma_f32 v[4:5], v[4:5], v[88:89], v[10:11] op_sel:[1,0,0] op_sel_hi:[0,1,0]
	s_delay_alu instid0(VALU_DEP_1) | instskip(SKIP_1) | instid1(VALU_DEP_2)
	v_mov_b32_e32 v9, v5
	v_pk_mul_f32 v[4:5], v[6:7], v[2:3] op_sel:[0,1]
	v_pk_add_f32 v[122:123], v[122:123], v[8:9] neg_lo:[0,1] neg_hi:[0,1]
	s_delay_alu instid0(VALU_DEP_2) | instskip(SKIP_1) | instid1(VALU_DEP_1)
	v_pk_fma_f32 v[8:9], v[6:7], v[0:1], v[4:5] op_sel:[0,0,1] op_sel_hi:[1,1,0] neg_lo:[0,0,1] neg_hi:[0,0,1]
	v_pk_fma_f32 v[4:5], v[6:7], v[0:1], v[4:5] op_sel:[0,0,1] op_sel_hi:[1,0,0]
	v_mov_b32_e32 v9, v5
	ds_load_2addr_b64 v[4:7], v26 offset0:33 offset1:34
	v_pk_add_f32 v[144:145], v[144:145], v[8:9] neg_lo:[0,1] neg_hi:[0,1]
	s_wait_dscnt 0x0
	v_pk_mul_f32 v[8:9], v[4:5], v[2:3] op_sel:[0,1]
	s_delay_alu instid0(VALU_DEP_1) | instskip(SKIP_1) | instid1(VALU_DEP_1)
	v_pk_fma_f32 v[10:11], v[4:5], v[0:1], v[8:9] op_sel:[0,0,1] op_sel_hi:[1,1,0] neg_lo:[0,0,1] neg_hi:[0,0,1]
	v_pk_fma_f32 v[4:5], v[4:5], v[0:1], v[8:9] op_sel:[0,0,1] op_sel_hi:[1,0,0]
	v_mov_b32_e32 v11, v5
	v_pk_mul_f32 v[4:5], v[6:7], v[2:3] op_sel:[0,1]
	s_delay_alu instid0(VALU_DEP_2) | instskip(NEXT) | instid1(VALU_DEP_2)
	v_pk_add_f32 v[140:141], v[140:141], v[10:11] neg_lo:[0,1] neg_hi:[0,1]
	v_pk_fma_f32 v[8:9], v[6:7], v[0:1], v[4:5] op_sel:[0,0,1] op_sel_hi:[1,1,0] neg_lo:[0,0,1] neg_hi:[0,0,1]
	v_pk_fma_f32 v[4:5], v[6:7], v[0:1], v[4:5] op_sel:[0,0,1] op_sel_hi:[1,0,0]
	s_delay_alu instid0(VALU_DEP_1) | instskip(SKIP_4) | instid1(VALU_DEP_1)
	v_mov_b32_e32 v9, v5
	ds_load_2addr_b64 v[4:7], v26 offset0:35 offset1:36
	v_pk_add_f32 v[142:143], v[142:143], v[8:9] neg_lo:[0,1] neg_hi:[0,1]
	s_wait_dscnt 0x0
	v_pk_mul_f32 v[8:9], v[4:5], v[2:3] op_sel:[0,1]
	v_pk_fma_f32 v[10:11], v[4:5], v[0:1], v[8:9] op_sel:[0,0,1] op_sel_hi:[1,1,0] neg_lo:[0,0,1] neg_hi:[0,0,1]
	v_pk_fma_f32 v[4:5], v[4:5], v[0:1], v[8:9] op_sel:[0,0,1] op_sel_hi:[1,0,0]
	v_dual_mul_f32 v8, v7, v3 :: v_dual_mov_b32 v4, v7
	s_delay_alu instid0(VALU_DEP_2) | instskip(NEXT) | instid1(VALU_DEP_2)
	v_dual_mov_b32 v11, v5 :: v_dual_mov_b32 v5, v6
	v_pk_fma_f32 v[8:9], v[6:7], v[88:89], v[8:9] op_sel_hi:[1,1,0] neg_lo:[0,0,1] neg_hi:[0,0,1]
	v_mul_f32_e32 v6, v7, v0
	s_delay_alu instid0(VALU_DEP_3) | instskip(NEXT) | instid1(VALU_DEP_2)
	v_pk_add_f32 v[138:139], v[138:139], v[10:11] neg_lo:[0,1] neg_hi:[0,1]
	v_pk_fma_f32 v[4:5], v[4:5], v[88:89], v[6:7] op_sel_hi:[1,1,0]
	s_delay_alu instid0(VALU_DEP_1) | instskip(SKIP_4) | instid1(VALU_DEP_1)
	v_mov_b32_e32 v9, v5
	ds_load_2addr_b64 v[4:7], v26 offset0:37 offset1:38
	v_pk_add_f32 v[162:163], v[162:163], v[8:9] neg_lo:[0,1] neg_hi:[0,1]
	s_wait_dscnt 0x0
	v_pk_mul_f32 v[8:9], v[4:5], v[2:3] op_sel:[0,1]
	v_pk_fma_f32 v[10:11], v[4:5], v[0:1], v[8:9] op_sel:[0,0,1] op_sel_hi:[1,1,0] neg_lo:[0,0,1] neg_hi:[0,0,1]
	v_pk_fma_f32 v[4:5], v[4:5], v[0:1], v[8:9] op_sel:[0,0,1] op_sel_hi:[1,0,0]
	s_delay_alu instid0(VALU_DEP_1) | instskip(SKIP_1) | instid1(VALU_DEP_1)
	v_mov_b32_e32 v11, v5
	v_pk_mul_f32 v[4:5], v[6:7], v[2:3] op_sel:[0,1]
	v_pk_fma_f32 v[8:9], v[6:7], v[0:1], v[4:5] op_sel:[0,0,1] op_sel_hi:[1,1,0] neg_lo:[0,0,1] neg_hi:[0,0,1]
	v_pk_fma_f32 v[4:5], v[6:7], v[0:1], v[4:5] op_sel:[0,0,1] op_sel_hi:[1,0,0]
	s_delay_alu instid0(VALU_DEP_1)
	v_mov_b32_e32 v9, v5
	ds_load_2addr_b64 v[4:7], v26 offset0:39 offset1:40
	v_pk_add_f32 v[158:159], v[158:159], v[10:11] neg_lo:[0,1] neg_hi:[0,1]
	v_pk_add_f32 v[160:161], v[160:161], v[8:9] neg_lo:[0,1] neg_hi:[0,1]
	s_wait_dscnt 0x0
	v_pk_mul_f32 v[8:9], v[4:5], v[2:3] op_sel:[0,1]
	s_delay_alu instid0(VALU_DEP_1) | instskip(SKIP_1) | instid1(VALU_DEP_1)
	v_pk_fma_f32 v[10:11], v[4:5], v[0:1], v[8:9] op_sel:[0,0,1] op_sel_hi:[1,1,0] neg_lo:[0,0,1] neg_hi:[0,0,1]
	v_pk_fma_f32 v[4:5], v[4:5], v[0:1], v[8:9] op_sel:[0,0,1] op_sel_hi:[1,0,0]
	v_mov_b32_e32 v11, v5
	v_pk_mul_f32 v[4:5], v[6:7], v[2:3] op_sel:[0,1]
	s_delay_alu instid0(VALU_DEP_1) | instskip(SKIP_1) | instid1(VALU_DEP_1)
	v_pk_fma_f32 v[8:9], v[6:7], v[0:1], v[4:5] op_sel:[0,0,1] op_sel_hi:[1,1,0] neg_lo:[0,0,1] neg_hi:[0,0,1]
	v_pk_fma_f32 v[4:5], v[6:7], v[0:1], v[4:5] op_sel:[0,0,1] op_sel_hi:[1,0,0]
	v_mov_b32_e32 v9, v5
	ds_load_2addr_b64 v[4:7], v26 offset0:41 offset1:42
	v_pk_add_f32 v[156:157], v[156:157], v[10:11] neg_lo:[0,1] neg_hi:[0,1]
	v_pk_add_f32 v[178:179], v[178:179], v[8:9] neg_lo:[0,1] neg_hi:[0,1]
	s_wait_dscnt 0x0
	v_dual_mul_f32 v8, v5, v3 :: v_dual_mul_f32 v10, v5, v0
	s_delay_alu instid0(VALU_DEP_1) | instskip(NEXT) | instid1(VALU_DEP_2)
	v_pk_fma_f32 v[8:9], v[4:5], v[88:89], v[8:9] op_sel_hi:[1,1,0] neg_lo:[0,0,1] neg_hi:[0,0,1]
	v_pk_fma_f32 v[4:5], v[4:5], v[88:89], v[10:11] op_sel:[1,0,0] op_sel_hi:[0,1,0]
	s_delay_alu instid0(VALU_DEP_1) | instskip(SKIP_1) | instid1(VALU_DEP_2)
	v_mov_b32_e32 v9, v5
	v_pk_mul_f32 v[4:5], v[6:7], v[2:3] op_sel:[0,1]
	v_pk_add_f32 v[174:175], v[174:175], v[8:9] neg_lo:[0,1] neg_hi:[0,1]
	s_delay_alu instid0(VALU_DEP_2) | instskip(SKIP_1) | instid1(VALU_DEP_1)
	v_pk_fma_f32 v[8:9], v[6:7], v[0:1], v[4:5] op_sel:[0,0,1] op_sel_hi:[1,1,0] neg_lo:[0,0,1] neg_hi:[0,0,1]
	v_pk_fma_f32 v[4:5], v[6:7], v[0:1], v[4:5] op_sel:[0,0,1] op_sel_hi:[1,0,0]
	v_mov_b32_e32 v9, v5
	ds_load_2addr_b64 v[4:7], v26 offset0:43 offset1:44
	v_pk_add_f32 v[176:177], v[176:177], v[8:9] neg_lo:[0,1] neg_hi:[0,1]
	s_wait_dscnt 0x0
	v_pk_mul_f32 v[8:9], v[4:5], v[2:3] op_sel:[0,1]
	s_delay_alu instid0(VALU_DEP_1) | instskip(SKIP_1) | instid1(VALU_DEP_1)
	v_pk_fma_f32 v[10:11], v[4:5], v[0:1], v[8:9] op_sel:[0,0,1] op_sel_hi:[1,1,0] neg_lo:[0,0,1] neg_hi:[0,0,1]
	v_pk_fma_f32 v[4:5], v[4:5], v[0:1], v[8:9] op_sel:[0,0,1] op_sel_hi:[1,0,0]
	v_mov_b32_e32 v11, v5
	v_pk_mul_f32 v[4:5], v[6:7], v[2:3] op_sel:[0,1]
	s_delay_alu instid0(VALU_DEP_2) | instskip(NEXT) | instid1(VALU_DEP_2)
	v_pk_add_f32 v[172:173], v[172:173], v[10:11] neg_lo:[0,1] neg_hi:[0,1]
	v_pk_fma_f32 v[8:9], v[6:7], v[0:1], v[4:5] op_sel:[0,0,1] op_sel_hi:[1,1,0] neg_lo:[0,0,1] neg_hi:[0,0,1]
	v_pk_fma_f32 v[4:5], v[6:7], v[0:1], v[4:5] op_sel:[0,0,1] op_sel_hi:[1,0,0]
	s_delay_alu instid0(VALU_DEP_1) | instskip(SKIP_4) | instid1(VALU_DEP_1)
	v_mov_b32_e32 v9, v5
	ds_load_b64 v[4:5], v26 offset:360
	v_pk_add_f32 v[180:181], v[180:181], v[8:9] neg_lo:[0,1] neg_hi:[0,1]
	s_wait_dscnt 0x0
	v_pk_mul_f32 v[2:3], v[4:5], v[2:3] op_sel:[0,1]
	v_pk_fma_f32 v[6:7], v[4:5], v[0:1], v[2:3] op_sel:[0,0,1] op_sel_hi:[1,1,0] neg_lo:[0,0,1] neg_hi:[0,0,1]
	v_pk_fma_f32 v[0:1], v[4:5], v[0:1], v[2:3] op_sel:[0,0,1] op_sel_hi:[1,0,0]
	s_delay_alu instid0(VALU_DEP_1) | instskip(NEXT) | instid1(VALU_DEP_1)
	v_mov_b32_e32 v7, v1
	v_pk_add_f32 v[184:185], v[184:185], v[6:7] neg_lo:[0,1] neg_hi:[0,1]
.LBB91_208:
	s_or_b32 exec_lo, exec_lo, s1
	s_delay_alu instid0(SALU_CYCLE_1)
	s_mov_b32 s2, exec_lo
	s_wait_dscnt 0x0
	s_barrier_signal -1
	s_barrier_wait -1
	v_cmpx_eq_u32_e32 23, v34
	s_cbranch_execz .LBB91_215
; %bb.209:
	v_dual_mov_b32 v0, v112 :: v_dual_mov_b32 v1, v113
	v_dual_mov_b32 v2, v108 :: v_dual_mov_b32 v3, v109
	ds_store_b64 v35, v[84:85]
	ds_store_2addr_b64 v26, v[0:1], v[2:3] offset0:24 offset1:25
	v_dual_mov_b32 v0, v110 :: v_dual_mov_b32 v1, v111
	v_dual_mov_b32 v2, v106 :: v_dual_mov_b32 v3, v107
	ds_store_2addr_b64 v26, v[0:1], v[2:3] offset0:26 offset1:27
	v_dual_mov_b32 v0, v128 :: v_dual_mov_b32 v1, v129
	v_dual_mov_b32 v2, v124 :: v_dual_mov_b32 v3, v125
	;; [unrolled: 3-line block ×9, first 2 shown]
	ds_store_2addr_b64 v26, v[0:1], v[2:3] offset0:42 offset1:43
	v_dual_mov_b32 v0, v180 :: v_dual_mov_b32 v1, v181
	ds_store_2addr_b64 v26, v[0:1], v[184:185] offset0:44 offset1:45
	ds_load_b64 v[0:1], v35
	s_wait_dscnt 0x0
	v_cmp_neq_f32_e32 vcc_lo, 0, v0
	v_cmp_neq_f32_e64 s1, 0, v1
	s_or_b32 s1, vcc_lo, s1
	s_delay_alu instid0(SALU_CYCLE_1)
	s_and_b32 exec_lo, exec_lo, s1
	s_cbranch_execz .LBB91_215
; %bb.210:
	v_cmp_ngt_f32_e64 s1, |v0|, |v1|
                                        ; implicit-def: $vgpr2_vgpr3
	s_and_saveexec_b32 s4, s1
	s_delay_alu instid0(SALU_CYCLE_1)
	s_xor_b32 s1, exec_lo, s4
	s_cbranch_execz .LBB91_212
; %bb.211:
	v_div_scale_f32 v2, null, v1, v1, v0
	v_div_scale_f32 v5, vcc_lo, v0, v1, v0
	s_delay_alu instid0(VALU_DEP_2) | instskip(SKIP_1) | instid1(TRANS32_DEP_1)
	v_rcp_f32_e32 v3, v2
	v_nop
	v_fma_f32 v4, -v2, v3, 1.0
	s_delay_alu instid0(VALU_DEP_1) | instskip(NEXT) | instid1(VALU_DEP_1)
	v_fmac_f32_e32 v3, v4, v3
	v_mul_f32_e32 v4, v5, v3
	s_delay_alu instid0(VALU_DEP_1) | instskip(NEXT) | instid1(VALU_DEP_1)
	v_fma_f32 v6, -v2, v4, v5
	v_fmac_f32_e32 v4, v6, v3
	s_delay_alu instid0(VALU_DEP_1) | instskip(NEXT) | instid1(VALU_DEP_1)
	v_fma_f32 v2, -v2, v4, v5
	v_div_fmas_f32 v2, v2, v3, v4
	s_delay_alu instid0(VALU_DEP_1) | instskip(NEXT) | instid1(VALU_DEP_1)
	v_div_fixup_f32 v2, v2, v1, v0
	v_fmac_f32_e32 v1, v0, v2
	s_delay_alu instid0(VALU_DEP_1) | instskip(SKIP_1) | instid1(VALU_DEP_2)
	v_div_scale_f32 v0, null, v1, v1, 1.0
	v_div_scale_f32 v5, vcc_lo, 1.0, v1, 1.0
	v_rcp_f32_e32 v3, v0
	v_nop
	s_delay_alu instid0(TRANS32_DEP_1) | instskip(NEXT) | instid1(VALU_DEP_1)
	v_fma_f32 v4, -v0, v3, 1.0
	v_fmac_f32_e32 v3, v4, v3
	s_delay_alu instid0(VALU_DEP_1) | instskip(NEXT) | instid1(VALU_DEP_1)
	v_mul_f32_e32 v4, v5, v3
	v_fma_f32 v6, -v0, v4, v5
	s_delay_alu instid0(VALU_DEP_1) | instskip(NEXT) | instid1(VALU_DEP_1)
	v_fmac_f32_e32 v4, v6, v3
	v_fma_f32 v0, -v0, v4, v5
	s_delay_alu instid0(VALU_DEP_1) | instskip(NEXT) | instid1(VALU_DEP_1)
	v_div_fmas_f32 v0, v0, v3, v4
	v_div_fixup_f32 v0, v0, v1, 1.0
	s_delay_alu instid0(VALU_DEP_1)
	v_mul_f32_e32 v2, v2, v0
	v_xor_b32_e32 v3, 0x80000000, v0
                                        ; implicit-def: $vgpr0_vgpr1
.LBB91_212:
	s_and_not1_saveexec_b32 s1, s1
	s_cbranch_execz .LBB91_214
; %bb.213:
	v_div_scale_f32 v2, null, v0, v0, v1
	v_div_scale_f32 v5, vcc_lo, v1, v0, v1
	s_delay_alu instid0(VALU_DEP_2) | instskip(SKIP_1) | instid1(TRANS32_DEP_1)
	v_rcp_f32_e32 v3, v2
	v_nop
	v_fma_f32 v4, -v2, v3, 1.0
	s_delay_alu instid0(VALU_DEP_1) | instskip(NEXT) | instid1(VALU_DEP_1)
	v_fmac_f32_e32 v3, v4, v3
	v_mul_f32_e32 v4, v5, v3
	s_delay_alu instid0(VALU_DEP_1) | instskip(NEXT) | instid1(VALU_DEP_1)
	v_fma_f32 v6, -v2, v4, v5
	v_fmac_f32_e32 v4, v6, v3
	s_delay_alu instid0(VALU_DEP_1) | instskip(NEXT) | instid1(VALU_DEP_1)
	v_fma_f32 v2, -v2, v4, v5
	v_div_fmas_f32 v2, v2, v3, v4
	s_delay_alu instid0(VALU_DEP_1) | instskip(NEXT) | instid1(VALU_DEP_1)
	v_div_fixup_f32 v3, v2, v0, v1
	v_fmac_f32_e32 v0, v1, v3
	s_delay_alu instid0(VALU_DEP_1) | instskip(NEXT) | instid1(VALU_DEP_1)
	v_div_scale_f32 v1, null, v0, v0, 1.0
	v_rcp_f32_e32 v2, v1
	v_nop
	s_delay_alu instid0(TRANS32_DEP_1) | instskip(NEXT) | instid1(VALU_DEP_1)
	v_fma_f32 v4, -v1, v2, 1.0
	v_fmac_f32_e32 v2, v4, v2
	v_div_scale_f32 v4, vcc_lo, 1.0, v0, 1.0
	s_delay_alu instid0(VALU_DEP_1) | instskip(NEXT) | instid1(VALU_DEP_1)
	v_mul_f32_e32 v5, v4, v2
	v_fma_f32 v6, -v1, v5, v4
	s_delay_alu instid0(VALU_DEP_1) | instskip(NEXT) | instid1(VALU_DEP_1)
	v_fmac_f32_e32 v5, v6, v2
	v_fma_f32 v1, -v1, v5, v4
	s_delay_alu instid0(VALU_DEP_1) | instskip(NEXT) | instid1(VALU_DEP_1)
	v_div_fmas_f32 v1, v1, v2, v5
	v_div_fixup_f32 v2, v1, v0, 1.0
	s_delay_alu instid0(VALU_DEP_1)
	v_mul_f32_e64 v3, v3, -v2
.LBB91_214:
	s_or_b32 exec_lo, exec_lo, s1
	ds_store_b64 v35, v[2:3]
.LBB91_215:
	s_or_b32 exec_lo, exec_lo, s2
	s_wait_dscnt 0x0
	s_barrier_signal -1
	s_barrier_wait -1
	ds_load_b64 v[232:233], v35
	s_mov_b32 s1, exec_lo
	v_cmpx_lt_u32_e32 23, v34
	s_cbranch_execz .LBB91_217
; %bb.216:
	ds_load_2addr_b64 v[4:7], v26 offset0:24 offset1:25
	s_wait_dscnt 0x1
	v_pk_mul_f32 v[2:3], v[232:233], v[84:85] op_sel:[1,1] op_sel_hi:[0,1]
	s_delay_alu instid0(VALU_DEP_1) | instskip(SKIP_1) | instid1(VALU_DEP_1)
	v_pk_fma_f32 v[0:1], v[232:233], v[84:85], v[2:3] op_sel_hi:[1,0,1] neg_lo:[0,0,1] neg_hi:[0,0,1]
	v_pk_fma_f32 v[2:3], v[232:233], v[84:85], v[2:3] op_sel_hi:[1,0,1]
	v_dual_mov_b32 v84, v0 :: v_dual_mov_b32 v85, v3
	s_wait_dscnt 0x0
	s_delay_alu instid0(VALU_DEP_2) | instskip(NEXT) | instid1(VALU_DEP_1)
	v_pk_mul_f32 v[8:9], v[4:5], v[2:3] op_sel:[0,1]
	v_pk_fma_f32 v[10:11], v[4:5], v[0:1], v[8:9] op_sel:[0,0,1] op_sel_hi:[1,1,0] neg_lo:[0,0,1] neg_hi:[0,0,1]
	v_pk_fma_f32 v[4:5], v[4:5], v[0:1], v[8:9] op_sel:[0,0,1] op_sel_hi:[1,0,0]
	s_delay_alu instid0(VALU_DEP_1) | instskip(SKIP_1) | instid1(VALU_DEP_1)
	v_mov_b32_e32 v11, v5
	v_pk_mul_f32 v[4:5], v[6:7], v[2:3] op_sel:[0,1]
	v_pk_fma_f32 v[8:9], v[6:7], v[0:1], v[4:5] op_sel:[0,0,1] op_sel_hi:[1,1,0] neg_lo:[0,0,1] neg_hi:[0,0,1]
	v_pk_fma_f32 v[4:5], v[6:7], v[0:1], v[4:5] op_sel:[0,0,1] op_sel_hi:[1,0,0]
	s_delay_alu instid0(VALU_DEP_1)
	v_mov_b32_e32 v9, v5
	ds_load_2addr_b64 v[4:7], v26 offset0:26 offset1:27
	v_pk_add_f32 v[112:113], v[112:113], v[10:11] neg_lo:[0,1] neg_hi:[0,1]
	v_pk_add_f32 v[108:109], v[108:109], v[8:9] neg_lo:[0,1] neg_hi:[0,1]
	s_wait_dscnt 0x0
	v_pk_mul_f32 v[8:9], v[4:5], v[2:3] op_sel:[0,1]
	s_delay_alu instid0(VALU_DEP_1) | instskip(SKIP_2) | instid1(VALU_DEP_2)
	v_pk_fma_f32 v[10:11], v[4:5], v[0:1], v[8:9] op_sel:[0,0,1] op_sel_hi:[1,1,0] neg_lo:[0,0,1] neg_hi:[0,0,1]
	v_pk_fma_f32 v[4:5], v[4:5], v[0:1], v[8:9] op_sel:[0,0,1] op_sel_hi:[1,0,0]
	v_dual_mul_f32 v8, v7, v3 :: v_dual_mov_b32 v4, v7
	v_dual_mov_b32 v11, v5 :: v_dual_mov_b32 v5, v6
	s_delay_alu instid0(VALU_DEP_2) | instskip(SKIP_1) | instid1(VALU_DEP_3)
	v_pk_fma_f32 v[8:9], v[6:7], v[84:85], v[8:9] op_sel_hi:[1,1,0] neg_lo:[0,0,1] neg_hi:[0,0,1]
	v_mul_f32_e32 v6, v7, v0
	v_pk_add_f32 v[110:111], v[110:111], v[10:11] neg_lo:[0,1] neg_hi:[0,1]
	s_delay_alu instid0(VALU_DEP_2) | instskip(NEXT) | instid1(VALU_DEP_1)
	v_pk_fma_f32 v[4:5], v[4:5], v[84:85], v[6:7] op_sel_hi:[1,1,0]
	v_mov_b32_e32 v9, v5
	ds_load_2addr_b64 v[4:7], v26 offset0:28 offset1:29
	v_pk_add_f32 v[106:107], v[106:107], v[8:9] neg_lo:[0,1] neg_hi:[0,1]
	s_wait_dscnt 0x0
	v_pk_mul_f32 v[8:9], v[4:5], v[2:3] op_sel:[0,1]
	s_delay_alu instid0(VALU_DEP_1) | instskip(SKIP_1) | instid1(VALU_DEP_1)
	v_pk_fma_f32 v[10:11], v[4:5], v[0:1], v[8:9] op_sel:[0,0,1] op_sel_hi:[1,1,0] neg_lo:[0,0,1] neg_hi:[0,0,1]
	v_pk_fma_f32 v[4:5], v[4:5], v[0:1], v[8:9] op_sel:[0,0,1] op_sel_hi:[1,0,0]
	v_mov_b32_e32 v11, v5
	v_pk_mul_f32 v[4:5], v[6:7], v[2:3] op_sel:[0,1]
	s_delay_alu instid0(VALU_DEP_1) | instskip(SKIP_1) | instid1(VALU_DEP_1)
	v_pk_fma_f32 v[8:9], v[6:7], v[0:1], v[4:5] op_sel:[0,0,1] op_sel_hi:[1,1,0] neg_lo:[0,0,1] neg_hi:[0,0,1]
	v_pk_fma_f32 v[4:5], v[6:7], v[0:1], v[4:5] op_sel:[0,0,1] op_sel_hi:[1,0,0]
	v_mov_b32_e32 v9, v5
	ds_load_2addr_b64 v[4:7], v26 offset0:30 offset1:31
	v_pk_add_f32 v[128:129], v[128:129], v[10:11] neg_lo:[0,1] neg_hi:[0,1]
	v_pk_add_f32 v[124:125], v[124:125], v[8:9] neg_lo:[0,1] neg_hi:[0,1]
	s_wait_dscnt 0x0
	v_pk_mul_f32 v[8:9], v[4:5], v[2:3] op_sel:[0,1]
	s_delay_alu instid0(VALU_DEP_1) | instskip(SKIP_1) | instid1(VALU_DEP_1)
	v_pk_fma_f32 v[10:11], v[4:5], v[0:1], v[8:9] op_sel:[0,0,1] op_sel_hi:[1,1,0] neg_lo:[0,0,1] neg_hi:[0,0,1]
	v_pk_fma_f32 v[4:5], v[4:5], v[0:1], v[8:9] op_sel:[0,0,1] op_sel_hi:[1,0,0]
	v_mov_b32_e32 v11, v5
	v_pk_mul_f32 v[4:5], v[6:7], v[2:3] op_sel:[0,1]
	s_delay_alu instid0(VALU_DEP_1) | instskip(SKIP_1) | instid1(VALU_DEP_1)
	v_pk_fma_f32 v[8:9], v[6:7], v[0:1], v[4:5] op_sel:[0,0,1] op_sel_hi:[1,1,0] neg_lo:[0,0,1] neg_hi:[0,0,1]
	v_pk_fma_f32 v[4:5], v[6:7], v[0:1], v[4:5] op_sel:[0,0,1] op_sel_hi:[1,0,0]
	v_mov_b32_e32 v9, v5
	ds_load_2addr_b64 v[4:7], v26 offset0:32 offset1:33
	v_pk_add_f32 v[126:127], v[126:127], v[10:11] neg_lo:[0,1] neg_hi:[0,1]
	v_pk_add_f32 v[122:123], v[122:123], v[8:9] neg_lo:[0,1] neg_hi:[0,1]
	s_wait_dscnt 0x0
	v_dual_mul_f32 v8, v5, v3 :: v_dual_mul_f32 v10, v5, v0
	s_delay_alu instid0(VALU_DEP_1) | instskip(NEXT) | instid1(VALU_DEP_2)
	v_pk_fma_f32 v[8:9], v[4:5], v[84:85], v[8:9] op_sel_hi:[1,1,0] neg_lo:[0,0,1] neg_hi:[0,0,1]
	v_pk_fma_f32 v[4:5], v[4:5], v[84:85], v[10:11] op_sel:[1,0,0] op_sel_hi:[0,1,0]
	s_delay_alu instid0(VALU_DEP_1) | instskip(SKIP_1) | instid1(VALU_DEP_2)
	v_mov_b32_e32 v9, v5
	v_pk_mul_f32 v[4:5], v[6:7], v[2:3] op_sel:[0,1]
	v_pk_add_f32 v[144:145], v[144:145], v[8:9] neg_lo:[0,1] neg_hi:[0,1]
	s_delay_alu instid0(VALU_DEP_2) | instskip(SKIP_1) | instid1(VALU_DEP_1)
	v_pk_fma_f32 v[8:9], v[6:7], v[0:1], v[4:5] op_sel:[0,0,1] op_sel_hi:[1,1,0] neg_lo:[0,0,1] neg_hi:[0,0,1]
	v_pk_fma_f32 v[4:5], v[6:7], v[0:1], v[4:5] op_sel:[0,0,1] op_sel_hi:[1,0,0]
	v_mov_b32_e32 v9, v5
	ds_load_2addr_b64 v[4:7], v26 offset0:34 offset1:35
	v_pk_add_f32 v[140:141], v[140:141], v[8:9] neg_lo:[0,1] neg_hi:[0,1]
	s_wait_dscnt 0x0
	v_pk_mul_f32 v[8:9], v[4:5], v[2:3] op_sel:[0,1]
	s_delay_alu instid0(VALU_DEP_1) | instskip(SKIP_1) | instid1(VALU_DEP_1)
	v_pk_fma_f32 v[10:11], v[4:5], v[0:1], v[8:9] op_sel:[0,0,1] op_sel_hi:[1,1,0] neg_lo:[0,0,1] neg_hi:[0,0,1]
	v_pk_fma_f32 v[4:5], v[4:5], v[0:1], v[8:9] op_sel:[0,0,1] op_sel_hi:[1,0,0]
	v_mov_b32_e32 v11, v5
	v_pk_mul_f32 v[4:5], v[6:7], v[2:3] op_sel:[0,1]
	s_delay_alu instid0(VALU_DEP_2) | instskip(NEXT) | instid1(VALU_DEP_2)
	v_pk_add_f32 v[142:143], v[142:143], v[10:11] neg_lo:[0,1] neg_hi:[0,1]
	v_pk_fma_f32 v[8:9], v[6:7], v[0:1], v[4:5] op_sel:[0,0,1] op_sel_hi:[1,1,0] neg_lo:[0,0,1] neg_hi:[0,0,1]
	v_pk_fma_f32 v[4:5], v[6:7], v[0:1], v[4:5] op_sel:[0,0,1] op_sel_hi:[1,0,0]
	s_delay_alu instid0(VALU_DEP_1) | instskip(SKIP_4) | instid1(VALU_DEP_1)
	v_mov_b32_e32 v9, v5
	ds_load_2addr_b64 v[4:7], v26 offset0:36 offset1:37
	v_pk_add_f32 v[138:139], v[138:139], v[8:9] neg_lo:[0,1] neg_hi:[0,1]
	s_wait_dscnt 0x0
	v_pk_mul_f32 v[8:9], v[4:5], v[2:3] op_sel:[0,1]
	v_pk_fma_f32 v[10:11], v[4:5], v[0:1], v[8:9] op_sel:[0,0,1] op_sel_hi:[1,1,0] neg_lo:[0,0,1] neg_hi:[0,0,1]
	v_pk_fma_f32 v[4:5], v[4:5], v[0:1], v[8:9] op_sel:[0,0,1] op_sel_hi:[1,0,0]
	v_dual_mul_f32 v8, v7, v3 :: v_dual_mov_b32 v4, v7
	s_delay_alu instid0(VALU_DEP_2) | instskip(NEXT) | instid1(VALU_DEP_2)
	v_dual_mov_b32 v11, v5 :: v_dual_mov_b32 v5, v6
	v_pk_fma_f32 v[8:9], v[6:7], v[84:85], v[8:9] op_sel_hi:[1,1,0] neg_lo:[0,0,1] neg_hi:[0,0,1]
	v_mul_f32_e32 v6, v7, v0
	s_delay_alu instid0(VALU_DEP_3) | instskip(NEXT) | instid1(VALU_DEP_2)
	v_pk_add_f32 v[162:163], v[162:163], v[10:11] neg_lo:[0,1] neg_hi:[0,1]
	v_pk_fma_f32 v[4:5], v[4:5], v[84:85], v[6:7] op_sel_hi:[1,1,0]
	s_delay_alu instid0(VALU_DEP_1) | instskip(SKIP_4) | instid1(VALU_DEP_1)
	v_mov_b32_e32 v9, v5
	ds_load_2addr_b64 v[4:7], v26 offset0:38 offset1:39
	v_pk_add_f32 v[158:159], v[158:159], v[8:9] neg_lo:[0,1] neg_hi:[0,1]
	s_wait_dscnt 0x0
	v_pk_mul_f32 v[8:9], v[4:5], v[2:3] op_sel:[0,1]
	v_pk_fma_f32 v[10:11], v[4:5], v[0:1], v[8:9] op_sel:[0,0,1] op_sel_hi:[1,1,0] neg_lo:[0,0,1] neg_hi:[0,0,1]
	v_pk_fma_f32 v[4:5], v[4:5], v[0:1], v[8:9] op_sel:[0,0,1] op_sel_hi:[1,0,0]
	s_delay_alu instid0(VALU_DEP_1) | instskip(SKIP_1) | instid1(VALU_DEP_1)
	v_mov_b32_e32 v11, v5
	v_pk_mul_f32 v[4:5], v[6:7], v[2:3] op_sel:[0,1]
	v_pk_fma_f32 v[8:9], v[6:7], v[0:1], v[4:5] op_sel:[0,0,1] op_sel_hi:[1,1,0] neg_lo:[0,0,1] neg_hi:[0,0,1]
	v_pk_fma_f32 v[4:5], v[6:7], v[0:1], v[4:5] op_sel:[0,0,1] op_sel_hi:[1,0,0]
	s_delay_alu instid0(VALU_DEP_1)
	v_mov_b32_e32 v9, v5
	ds_load_2addr_b64 v[4:7], v26 offset0:40 offset1:41
	v_pk_add_f32 v[160:161], v[160:161], v[10:11] neg_lo:[0,1] neg_hi:[0,1]
	v_pk_add_f32 v[156:157], v[156:157], v[8:9] neg_lo:[0,1] neg_hi:[0,1]
	s_wait_dscnt 0x0
	v_pk_mul_f32 v[8:9], v[4:5], v[2:3] op_sel:[0,1]
	s_delay_alu instid0(VALU_DEP_1) | instskip(SKIP_1) | instid1(VALU_DEP_1)
	v_pk_fma_f32 v[10:11], v[4:5], v[0:1], v[8:9] op_sel:[0,0,1] op_sel_hi:[1,1,0] neg_lo:[0,0,1] neg_hi:[0,0,1]
	v_pk_fma_f32 v[4:5], v[4:5], v[0:1], v[8:9] op_sel:[0,0,1] op_sel_hi:[1,0,0]
	v_mov_b32_e32 v11, v5
	v_pk_mul_f32 v[4:5], v[6:7], v[2:3] op_sel:[0,1]
	s_delay_alu instid0(VALU_DEP_1) | instskip(SKIP_1) | instid1(VALU_DEP_1)
	v_pk_fma_f32 v[8:9], v[6:7], v[0:1], v[4:5] op_sel:[0,0,1] op_sel_hi:[1,1,0] neg_lo:[0,0,1] neg_hi:[0,0,1]
	v_pk_fma_f32 v[4:5], v[6:7], v[0:1], v[4:5] op_sel:[0,0,1] op_sel_hi:[1,0,0]
	v_mov_b32_e32 v9, v5
	ds_load_2addr_b64 v[4:7], v26 offset0:42 offset1:43
	v_pk_add_f32 v[178:179], v[178:179], v[10:11] neg_lo:[0,1] neg_hi:[0,1]
	v_pk_add_f32 v[174:175], v[174:175], v[8:9] neg_lo:[0,1] neg_hi:[0,1]
	s_wait_dscnt 0x0
	v_dual_mul_f32 v8, v5, v3 :: v_dual_mul_f32 v10, v5, v0
	s_delay_alu instid0(VALU_DEP_1) | instskip(NEXT) | instid1(VALU_DEP_2)
	v_pk_fma_f32 v[8:9], v[4:5], v[84:85], v[8:9] op_sel_hi:[1,1,0] neg_lo:[0,0,1] neg_hi:[0,0,1]
	v_pk_fma_f32 v[4:5], v[4:5], v[84:85], v[10:11] op_sel:[1,0,0] op_sel_hi:[0,1,0]
	s_delay_alu instid0(VALU_DEP_1) | instskip(SKIP_1) | instid1(VALU_DEP_2)
	v_mov_b32_e32 v9, v5
	v_pk_mul_f32 v[4:5], v[6:7], v[2:3] op_sel:[0,1]
	v_pk_add_f32 v[176:177], v[176:177], v[8:9] neg_lo:[0,1] neg_hi:[0,1]
	s_delay_alu instid0(VALU_DEP_2) | instskip(SKIP_1) | instid1(VALU_DEP_1)
	v_pk_fma_f32 v[8:9], v[6:7], v[0:1], v[4:5] op_sel:[0,0,1] op_sel_hi:[1,1,0] neg_lo:[0,0,1] neg_hi:[0,0,1]
	v_pk_fma_f32 v[4:5], v[6:7], v[0:1], v[4:5] op_sel:[0,0,1] op_sel_hi:[1,0,0]
	v_mov_b32_e32 v9, v5
	ds_load_2addr_b64 v[4:7], v26 offset0:44 offset1:45
	v_pk_add_f32 v[172:173], v[172:173], v[8:9] neg_lo:[0,1] neg_hi:[0,1]
	s_wait_dscnt 0x0
	v_pk_mul_f32 v[8:9], v[4:5], v[2:3] op_sel:[0,1]
	v_pk_mul_f32 v[2:3], v[6:7], v[2:3] op_sel:[0,1]
	s_delay_alu instid0(VALU_DEP_2) | instskip(SKIP_1) | instid1(VALU_DEP_1)
	v_pk_fma_f32 v[10:11], v[4:5], v[0:1], v[8:9] op_sel:[0,0,1] op_sel_hi:[1,1,0] neg_lo:[0,0,1] neg_hi:[0,0,1]
	v_pk_fma_f32 v[4:5], v[4:5], v[0:1], v[8:9] op_sel:[0,0,1] op_sel_hi:[1,0,0]
	v_mov_b32_e32 v11, v5
	s_delay_alu instid0(VALU_DEP_4) | instskip(SKIP_1) | instid1(VALU_DEP_3)
	v_pk_fma_f32 v[4:5], v[6:7], v[0:1], v[2:3] op_sel:[0,0,1] op_sel_hi:[1,1,0] neg_lo:[0,0,1] neg_hi:[0,0,1]
	v_pk_fma_f32 v[0:1], v[6:7], v[0:1], v[2:3] op_sel:[0,0,1] op_sel_hi:[1,0,0]
	v_pk_add_f32 v[180:181], v[180:181], v[10:11] neg_lo:[0,1] neg_hi:[0,1]
	s_delay_alu instid0(VALU_DEP_2) | instskip(NEXT) | instid1(VALU_DEP_1)
	v_mov_b32_e32 v5, v1
	v_pk_add_f32 v[184:185], v[184:185], v[4:5] neg_lo:[0,1] neg_hi:[0,1]
.LBB91_217:
	s_or_b32 exec_lo, exec_lo, s1
	s_delay_alu instid0(SALU_CYCLE_1)
	s_mov_b32 s2, exec_lo
	s_wait_dscnt 0x0
	s_barrier_signal -1
	s_barrier_wait -1
	v_cmpx_eq_u32_e32 24, v34
	s_cbranch_execz .LBB91_224
; %bb.218:
	ds_store_b64 v35, v[112:113]
	ds_store_2addr_b64 v26, v[108:109], v[110:111] offset0:25 offset1:26
	ds_store_2addr_b64 v26, v[106:107], v[128:129] offset0:27 offset1:28
	;; [unrolled: 1-line block ×10, first 2 shown]
	ds_store_b64 v26, v[184:185] offset:360
	ds_load_b64 v[0:1], v35
	s_wait_dscnt 0x0
	v_cmp_neq_f32_e32 vcc_lo, 0, v0
	v_cmp_neq_f32_e64 s1, 0, v1
	s_or_b32 s1, vcc_lo, s1
	s_delay_alu instid0(SALU_CYCLE_1)
	s_and_b32 exec_lo, exec_lo, s1
	s_cbranch_execz .LBB91_224
; %bb.219:
	v_cmp_ngt_f32_e64 s1, |v0|, |v1|
                                        ; implicit-def: $vgpr2_vgpr3
	s_and_saveexec_b32 s4, s1
	s_delay_alu instid0(SALU_CYCLE_1)
	s_xor_b32 s1, exec_lo, s4
	s_cbranch_execz .LBB91_221
; %bb.220:
	v_div_scale_f32 v2, null, v1, v1, v0
	v_div_scale_f32 v5, vcc_lo, v0, v1, v0
	s_delay_alu instid0(VALU_DEP_2) | instskip(SKIP_1) | instid1(TRANS32_DEP_1)
	v_rcp_f32_e32 v3, v2
	v_nop
	v_fma_f32 v4, -v2, v3, 1.0
	s_delay_alu instid0(VALU_DEP_1) | instskip(NEXT) | instid1(VALU_DEP_1)
	v_fmac_f32_e32 v3, v4, v3
	v_mul_f32_e32 v4, v5, v3
	s_delay_alu instid0(VALU_DEP_1) | instskip(NEXT) | instid1(VALU_DEP_1)
	v_fma_f32 v6, -v2, v4, v5
	v_fmac_f32_e32 v4, v6, v3
	s_delay_alu instid0(VALU_DEP_1) | instskip(NEXT) | instid1(VALU_DEP_1)
	v_fma_f32 v2, -v2, v4, v5
	v_div_fmas_f32 v2, v2, v3, v4
	s_delay_alu instid0(VALU_DEP_1) | instskip(NEXT) | instid1(VALU_DEP_1)
	v_div_fixup_f32 v2, v2, v1, v0
	v_fmac_f32_e32 v1, v0, v2
	s_delay_alu instid0(VALU_DEP_1) | instskip(SKIP_1) | instid1(VALU_DEP_2)
	v_div_scale_f32 v0, null, v1, v1, 1.0
	v_div_scale_f32 v5, vcc_lo, 1.0, v1, 1.0
	v_rcp_f32_e32 v3, v0
	v_nop
	s_delay_alu instid0(TRANS32_DEP_1) | instskip(NEXT) | instid1(VALU_DEP_1)
	v_fma_f32 v4, -v0, v3, 1.0
	v_fmac_f32_e32 v3, v4, v3
	s_delay_alu instid0(VALU_DEP_1) | instskip(NEXT) | instid1(VALU_DEP_1)
	v_mul_f32_e32 v4, v5, v3
	v_fma_f32 v6, -v0, v4, v5
	s_delay_alu instid0(VALU_DEP_1) | instskip(NEXT) | instid1(VALU_DEP_1)
	v_fmac_f32_e32 v4, v6, v3
	v_fma_f32 v0, -v0, v4, v5
	s_delay_alu instid0(VALU_DEP_1) | instskip(NEXT) | instid1(VALU_DEP_1)
	v_div_fmas_f32 v0, v0, v3, v4
	v_div_fixup_f32 v0, v0, v1, 1.0
	s_delay_alu instid0(VALU_DEP_1)
	v_mul_f32_e32 v2, v2, v0
	v_xor_b32_e32 v3, 0x80000000, v0
                                        ; implicit-def: $vgpr0_vgpr1
.LBB91_221:
	s_and_not1_saveexec_b32 s1, s1
	s_cbranch_execz .LBB91_223
; %bb.222:
	v_div_scale_f32 v2, null, v0, v0, v1
	v_div_scale_f32 v5, vcc_lo, v1, v0, v1
	s_delay_alu instid0(VALU_DEP_2) | instskip(SKIP_1) | instid1(TRANS32_DEP_1)
	v_rcp_f32_e32 v3, v2
	v_nop
	v_fma_f32 v4, -v2, v3, 1.0
	s_delay_alu instid0(VALU_DEP_1) | instskip(NEXT) | instid1(VALU_DEP_1)
	v_fmac_f32_e32 v3, v4, v3
	v_mul_f32_e32 v4, v5, v3
	s_delay_alu instid0(VALU_DEP_1) | instskip(NEXT) | instid1(VALU_DEP_1)
	v_fma_f32 v6, -v2, v4, v5
	v_fmac_f32_e32 v4, v6, v3
	s_delay_alu instid0(VALU_DEP_1) | instskip(NEXT) | instid1(VALU_DEP_1)
	v_fma_f32 v2, -v2, v4, v5
	v_div_fmas_f32 v2, v2, v3, v4
	s_delay_alu instid0(VALU_DEP_1) | instskip(NEXT) | instid1(VALU_DEP_1)
	v_div_fixup_f32 v3, v2, v0, v1
	v_fmac_f32_e32 v0, v1, v3
	s_delay_alu instid0(VALU_DEP_1) | instskip(NEXT) | instid1(VALU_DEP_1)
	v_div_scale_f32 v1, null, v0, v0, 1.0
	v_rcp_f32_e32 v2, v1
	v_nop
	s_delay_alu instid0(TRANS32_DEP_1) | instskip(NEXT) | instid1(VALU_DEP_1)
	v_fma_f32 v4, -v1, v2, 1.0
	v_fmac_f32_e32 v2, v4, v2
	v_div_scale_f32 v4, vcc_lo, 1.0, v0, 1.0
	s_delay_alu instid0(VALU_DEP_1) | instskip(NEXT) | instid1(VALU_DEP_1)
	v_mul_f32_e32 v5, v4, v2
	v_fma_f32 v6, -v1, v5, v4
	s_delay_alu instid0(VALU_DEP_1) | instskip(NEXT) | instid1(VALU_DEP_1)
	v_fmac_f32_e32 v5, v6, v2
	v_fma_f32 v1, -v1, v5, v4
	s_delay_alu instid0(VALU_DEP_1) | instskip(NEXT) | instid1(VALU_DEP_1)
	v_div_fmas_f32 v1, v1, v2, v5
	v_div_fixup_f32 v2, v1, v0, 1.0
	s_delay_alu instid0(VALU_DEP_1)
	v_mul_f32_e64 v3, v3, -v2
.LBB91_223:
	s_or_b32 exec_lo, exec_lo, s1
	ds_store_b64 v35, v[2:3]
.LBB91_224:
	s_or_b32 exec_lo, exec_lo, s2
	s_wait_dscnt 0x0
	s_barrier_signal -1
	s_barrier_wait -1
	ds_load_b64 v[234:235], v35
	s_mov_b32 s1, exec_lo
	v_cmpx_lt_u32_e32 24, v34
	s_cbranch_execz .LBB91_226
; %bb.225:
	ds_load_2addr_b64 v[4:7], v26 offset0:25 offset1:26
	s_wait_dscnt 0x1
	v_pk_mul_f32 v[2:3], v[234:235], v[112:113] op_sel:[1,1] op_sel_hi:[0,1]
	s_delay_alu instid0(VALU_DEP_1) | instskip(SKIP_1) | instid1(VALU_DEP_1)
	v_pk_fma_f32 v[0:1], v[234:235], v[112:113], v[2:3] op_sel_hi:[1,0,1] neg_lo:[0,0,1] neg_hi:[0,0,1]
	v_pk_fma_f32 v[2:3], v[234:235], v[112:113], v[2:3] op_sel_hi:[1,0,1]
	v_dual_mov_b32 v112, v0 :: v_dual_mov_b32 v113, v3
	s_wait_dscnt 0x0
	s_delay_alu instid0(VALU_DEP_2) | instskip(NEXT) | instid1(VALU_DEP_1)
	v_pk_mul_f32 v[8:9], v[4:5], v[2:3] op_sel:[0,1]
	v_pk_fma_f32 v[10:11], v[4:5], v[0:1], v[8:9] op_sel:[0,0,1] op_sel_hi:[1,1,0] neg_lo:[0,0,1] neg_hi:[0,0,1]
	v_pk_fma_f32 v[4:5], v[4:5], v[0:1], v[8:9] op_sel:[0,0,1] op_sel_hi:[1,0,0]
	s_delay_alu instid0(VALU_DEP_1) | instskip(SKIP_1) | instid1(VALU_DEP_1)
	v_mov_b32_e32 v11, v5
	v_pk_mul_f32 v[4:5], v[6:7], v[2:3] op_sel:[0,1]
	v_pk_fma_f32 v[8:9], v[6:7], v[0:1], v[4:5] op_sel:[0,0,1] op_sel_hi:[1,1,0] neg_lo:[0,0,1] neg_hi:[0,0,1]
	v_pk_fma_f32 v[4:5], v[6:7], v[0:1], v[4:5] op_sel:[0,0,1] op_sel_hi:[1,0,0]
	s_delay_alu instid0(VALU_DEP_1)
	v_mov_b32_e32 v9, v5
	ds_load_2addr_b64 v[4:7], v26 offset0:27 offset1:28
	v_pk_add_f32 v[108:109], v[108:109], v[10:11] neg_lo:[0,1] neg_hi:[0,1]
	v_pk_add_f32 v[110:111], v[110:111], v[8:9] neg_lo:[0,1] neg_hi:[0,1]
	s_wait_dscnt 0x0
	v_pk_mul_f32 v[8:9], v[4:5], v[2:3] op_sel:[0,1]
	s_delay_alu instid0(VALU_DEP_1) | instskip(SKIP_2) | instid1(VALU_DEP_2)
	v_pk_fma_f32 v[10:11], v[4:5], v[0:1], v[8:9] op_sel:[0,0,1] op_sel_hi:[1,1,0] neg_lo:[0,0,1] neg_hi:[0,0,1]
	v_pk_fma_f32 v[4:5], v[4:5], v[0:1], v[8:9] op_sel:[0,0,1] op_sel_hi:[1,0,0]
	v_dual_mul_f32 v8, v7, v3 :: v_dual_mov_b32 v4, v7
	v_dual_mov_b32 v11, v5 :: v_dual_mov_b32 v5, v6
	s_delay_alu instid0(VALU_DEP_2) | instskip(SKIP_1) | instid1(VALU_DEP_3)
	v_pk_fma_f32 v[8:9], v[6:7], v[112:113], v[8:9] op_sel_hi:[1,1,0] neg_lo:[0,0,1] neg_hi:[0,0,1]
	v_mul_f32_e32 v6, v7, v0
	v_pk_add_f32 v[106:107], v[106:107], v[10:11] neg_lo:[0,1] neg_hi:[0,1]
	s_delay_alu instid0(VALU_DEP_2) | instskip(NEXT) | instid1(VALU_DEP_1)
	v_pk_fma_f32 v[4:5], v[4:5], v[112:113], v[6:7] op_sel_hi:[1,1,0]
	v_mov_b32_e32 v9, v5
	ds_load_2addr_b64 v[4:7], v26 offset0:29 offset1:30
	v_pk_add_f32 v[128:129], v[128:129], v[8:9] neg_lo:[0,1] neg_hi:[0,1]
	s_wait_dscnt 0x0
	v_pk_mul_f32 v[8:9], v[4:5], v[2:3] op_sel:[0,1]
	s_delay_alu instid0(VALU_DEP_1) | instskip(SKIP_1) | instid1(VALU_DEP_1)
	v_pk_fma_f32 v[10:11], v[4:5], v[0:1], v[8:9] op_sel:[0,0,1] op_sel_hi:[1,1,0] neg_lo:[0,0,1] neg_hi:[0,0,1]
	v_pk_fma_f32 v[4:5], v[4:5], v[0:1], v[8:9] op_sel:[0,0,1] op_sel_hi:[1,0,0]
	v_mov_b32_e32 v11, v5
	v_pk_mul_f32 v[4:5], v[6:7], v[2:3] op_sel:[0,1]
	s_delay_alu instid0(VALU_DEP_1) | instskip(SKIP_1) | instid1(VALU_DEP_1)
	v_pk_fma_f32 v[8:9], v[6:7], v[0:1], v[4:5] op_sel:[0,0,1] op_sel_hi:[1,1,0] neg_lo:[0,0,1] neg_hi:[0,0,1]
	v_pk_fma_f32 v[4:5], v[6:7], v[0:1], v[4:5] op_sel:[0,0,1] op_sel_hi:[1,0,0]
	v_mov_b32_e32 v9, v5
	ds_load_2addr_b64 v[4:7], v26 offset0:31 offset1:32
	v_pk_add_f32 v[124:125], v[124:125], v[10:11] neg_lo:[0,1] neg_hi:[0,1]
	v_pk_add_f32 v[126:127], v[126:127], v[8:9] neg_lo:[0,1] neg_hi:[0,1]
	s_wait_dscnt 0x0
	v_pk_mul_f32 v[8:9], v[4:5], v[2:3] op_sel:[0,1]
	s_delay_alu instid0(VALU_DEP_1) | instskip(SKIP_1) | instid1(VALU_DEP_1)
	v_pk_fma_f32 v[10:11], v[4:5], v[0:1], v[8:9] op_sel:[0,0,1] op_sel_hi:[1,1,0] neg_lo:[0,0,1] neg_hi:[0,0,1]
	v_pk_fma_f32 v[4:5], v[4:5], v[0:1], v[8:9] op_sel:[0,0,1] op_sel_hi:[1,0,0]
	v_mov_b32_e32 v11, v5
	v_pk_mul_f32 v[4:5], v[6:7], v[2:3] op_sel:[0,1]
	s_delay_alu instid0(VALU_DEP_1) | instskip(SKIP_1) | instid1(VALU_DEP_1)
	v_pk_fma_f32 v[8:9], v[6:7], v[0:1], v[4:5] op_sel:[0,0,1] op_sel_hi:[1,1,0] neg_lo:[0,0,1] neg_hi:[0,0,1]
	v_pk_fma_f32 v[4:5], v[6:7], v[0:1], v[4:5] op_sel:[0,0,1] op_sel_hi:[1,0,0]
	v_mov_b32_e32 v9, v5
	ds_load_2addr_b64 v[4:7], v26 offset0:33 offset1:34
	v_pk_add_f32 v[122:123], v[122:123], v[10:11] neg_lo:[0,1] neg_hi:[0,1]
	v_pk_add_f32 v[144:145], v[144:145], v[8:9] neg_lo:[0,1] neg_hi:[0,1]
	s_wait_dscnt 0x0
	v_dual_mul_f32 v8, v5, v3 :: v_dual_mul_f32 v10, v5, v0
	s_delay_alu instid0(VALU_DEP_1) | instskip(NEXT) | instid1(VALU_DEP_2)
	v_pk_fma_f32 v[8:9], v[4:5], v[112:113], v[8:9] op_sel_hi:[1,1,0] neg_lo:[0,0,1] neg_hi:[0,0,1]
	v_pk_fma_f32 v[4:5], v[4:5], v[112:113], v[10:11] op_sel:[1,0,0] op_sel_hi:[0,1,0]
	s_delay_alu instid0(VALU_DEP_1) | instskip(SKIP_1) | instid1(VALU_DEP_2)
	v_mov_b32_e32 v9, v5
	v_pk_mul_f32 v[4:5], v[6:7], v[2:3] op_sel:[0,1]
	v_pk_add_f32 v[140:141], v[140:141], v[8:9] neg_lo:[0,1] neg_hi:[0,1]
	s_delay_alu instid0(VALU_DEP_2) | instskip(SKIP_1) | instid1(VALU_DEP_1)
	v_pk_fma_f32 v[8:9], v[6:7], v[0:1], v[4:5] op_sel:[0,0,1] op_sel_hi:[1,1,0] neg_lo:[0,0,1] neg_hi:[0,0,1]
	v_pk_fma_f32 v[4:5], v[6:7], v[0:1], v[4:5] op_sel:[0,0,1] op_sel_hi:[1,0,0]
	v_mov_b32_e32 v9, v5
	ds_load_2addr_b64 v[4:7], v26 offset0:35 offset1:36
	v_pk_add_f32 v[142:143], v[142:143], v[8:9] neg_lo:[0,1] neg_hi:[0,1]
	s_wait_dscnt 0x0
	v_pk_mul_f32 v[8:9], v[4:5], v[2:3] op_sel:[0,1]
	s_delay_alu instid0(VALU_DEP_1) | instskip(SKIP_1) | instid1(VALU_DEP_1)
	v_pk_fma_f32 v[10:11], v[4:5], v[0:1], v[8:9] op_sel:[0,0,1] op_sel_hi:[1,1,0] neg_lo:[0,0,1] neg_hi:[0,0,1]
	v_pk_fma_f32 v[4:5], v[4:5], v[0:1], v[8:9] op_sel:[0,0,1] op_sel_hi:[1,0,0]
	v_mov_b32_e32 v11, v5
	v_pk_mul_f32 v[4:5], v[6:7], v[2:3] op_sel:[0,1]
	s_delay_alu instid0(VALU_DEP_2) | instskip(NEXT) | instid1(VALU_DEP_2)
	v_pk_add_f32 v[138:139], v[138:139], v[10:11] neg_lo:[0,1] neg_hi:[0,1]
	v_pk_fma_f32 v[8:9], v[6:7], v[0:1], v[4:5] op_sel:[0,0,1] op_sel_hi:[1,1,0] neg_lo:[0,0,1] neg_hi:[0,0,1]
	v_pk_fma_f32 v[4:5], v[6:7], v[0:1], v[4:5] op_sel:[0,0,1] op_sel_hi:[1,0,0]
	s_delay_alu instid0(VALU_DEP_1) | instskip(SKIP_4) | instid1(VALU_DEP_1)
	v_mov_b32_e32 v9, v5
	ds_load_2addr_b64 v[4:7], v26 offset0:37 offset1:38
	v_pk_add_f32 v[162:163], v[162:163], v[8:9] neg_lo:[0,1] neg_hi:[0,1]
	s_wait_dscnt 0x0
	v_pk_mul_f32 v[8:9], v[4:5], v[2:3] op_sel:[0,1]
	v_pk_fma_f32 v[10:11], v[4:5], v[0:1], v[8:9] op_sel:[0,0,1] op_sel_hi:[1,1,0] neg_lo:[0,0,1] neg_hi:[0,0,1]
	v_pk_fma_f32 v[4:5], v[4:5], v[0:1], v[8:9] op_sel:[0,0,1] op_sel_hi:[1,0,0]
	v_dual_mul_f32 v8, v7, v3 :: v_dual_mov_b32 v4, v7
	s_delay_alu instid0(VALU_DEP_2) | instskip(NEXT) | instid1(VALU_DEP_2)
	v_dual_mov_b32 v11, v5 :: v_dual_mov_b32 v5, v6
	v_pk_fma_f32 v[8:9], v[6:7], v[112:113], v[8:9] op_sel_hi:[1,1,0] neg_lo:[0,0,1] neg_hi:[0,0,1]
	v_mul_f32_e32 v6, v7, v0
	s_delay_alu instid0(VALU_DEP_3) | instskip(NEXT) | instid1(VALU_DEP_2)
	v_pk_add_f32 v[158:159], v[158:159], v[10:11] neg_lo:[0,1] neg_hi:[0,1]
	v_pk_fma_f32 v[4:5], v[4:5], v[112:113], v[6:7] op_sel_hi:[1,1,0]
	s_delay_alu instid0(VALU_DEP_1) | instskip(SKIP_4) | instid1(VALU_DEP_1)
	v_mov_b32_e32 v9, v5
	ds_load_2addr_b64 v[4:7], v26 offset0:39 offset1:40
	v_pk_add_f32 v[160:161], v[160:161], v[8:9] neg_lo:[0,1] neg_hi:[0,1]
	s_wait_dscnt 0x0
	v_pk_mul_f32 v[8:9], v[4:5], v[2:3] op_sel:[0,1]
	v_pk_fma_f32 v[10:11], v[4:5], v[0:1], v[8:9] op_sel:[0,0,1] op_sel_hi:[1,1,0] neg_lo:[0,0,1] neg_hi:[0,0,1]
	v_pk_fma_f32 v[4:5], v[4:5], v[0:1], v[8:9] op_sel:[0,0,1] op_sel_hi:[1,0,0]
	s_delay_alu instid0(VALU_DEP_1) | instskip(SKIP_1) | instid1(VALU_DEP_1)
	v_mov_b32_e32 v11, v5
	v_pk_mul_f32 v[4:5], v[6:7], v[2:3] op_sel:[0,1]
	v_pk_fma_f32 v[8:9], v[6:7], v[0:1], v[4:5] op_sel:[0,0,1] op_sel_hi:[1,1,0] neg_lo:[0,0,1] neg_hi:[0,0,1]
	v_pk_fma_f32 v[4:5], v[6:7], v[0:1], v[4:5] op_sel:[0,0,1] op_sel_hi:[1,0,0]
	s_delay_alu instid0(VALU_DEP_1)
	v_mov_b32_e32 v9, v5
	ds_load_2addr_b64 v[4:7], v26 offset0:41 offset1:42
	v_pk_add_f32 v[156:157], v[156:157], v[10:11] neg_lo:[0,1] neg_hi:[0,1]
	v_pk_add_f32 v[178:179], v[178:179], v[8:9] neg_lo:[0,1] neg_hi:[0,1]
	s_wait_dscnt 0x0
	v_pk_mul_f32 v[8:9], v[4:5], v[2:3] op_sel:[0,1]
	s_delay_alu instid0(VALU_DEP_1) | instskip(SKIP_1) | instid1(VALU_DEP_1)
	v_pk_fma_f32 v[10:11], v[4:5], v[0:1], v[8:9] op_sel:[0,0,1] op_sel_hi:[1,1,0] neg_lo:[0,0,1] neg_hi:[0,0,1]
	v_pk_fma_f32 v[4:5], v[4:5], v[0:1], v[8:9] op_sel:[0,0,1] op_sel_hi:[1,0,0]
	v_mov_b32_e32 v11, v5
	v_pk_mul_f32 v[4:5], v[6:7], v[2:3] op_sel:[0,1]
	s_delay_alu instid0(VALU_DEP_1) | instskip(SKIP_1) | instid1(VALU_DEP_1)
	v_pk_fma_f32 v[8:9], v[6:7], v[0:1], v[4:5] op_sel:[0,0,1] op_sel_hi:[1,1,0] neg_lo:[0,0,1] neg_hi:[0,0,1]
	v_pk_fma_f32 v[4:5], v[6:7], v[0:1], v[4:5] op_sel:[0,0,1] op_sel_hi:[1,0,0]
	v_mov_b32_e32 v9, v5
	ds_load_2addr_b64 v[4:7], v26 offset0:43 offset1:44
	v_pk_add_f32 v[174:175], v[174:175], v[10:11] neg_lo:[0,1] neg_hi:[0,1]
	v_pk_add_f32 v[176:177], v[176:177], v[8:9] neg_lo:[0,1] neg_hi:[0,1]
	s_wait_dscnt 0x0
	v_dual_mul_f32 v8, v5, v3 :: v_dual_mul_f32 v10, v5, v0
	s_delay_alu instid0(VALU_DEP_1) | instskip(NEXT) | instid1(VALU_DEP_2)
	v_pk_fma_f32 v[8:9], v[4:5], v[112:113], v[8:9] op_sel_hi:[1,1,0] neg_lo:[0,0,1] neg_hi:[0,0,1]
	v_pk_fma_f32 v[4:5], v[4:5], v[112:113], v[10:11] op_sel:[1,0,0] op_sel_hi:[0,1,0]
	s_delay_alu instid0(VALU_DEP_1) | instskip(SKIP_1) | instid1(VALU_DEP_2)
	v_mov_b32_e32 v9, v5
	v_pk_mul_f32 v[4:5], v[6:7], v[2:3] op_sel:[0,1]
	v_pk_add_f32 v[172:173], v[172:173], v[8:9] neg_lo:[0,1] neg_hi:[0,1]
	s_delay_alu instid0(VALU_DEP_2) | instskip(SKIP_1) | instid1(VALU_DEP_1)
	v_pk_fma_f32 v[8:9], v[6:7], v[0:1], v[4:5] op_sel:[0,0,1] op_sel_hi:[1,1,0] neg_lo:[0,0,1] neg_hi:[0,0,1]
	v_pk_fma_f32 v[4:5], v[6:7], v[0:1], v[4:5] op_sel:[0,0,1] op_sel_hi:[1,0,0]
	v_mov_b32_e32 v9, v5
	ds_load_b64 v[4:5], v26 offset:360
	v_pk_add_f32 v[180:181], v[180:181], v[8:9] neg_lo:[0,1] neg_hi:[0,1]
	s_wait_dscnt 0x0
	v_pk_mul_f32 v[2:3], v[4:5], v[2:3] op_sel:[0,1]
	s_delay_alu instid0(VALU_DEP_1) | instskip(SKIP_1) | instid1(VALU_DEP_1)
	v_pk_fma_f32 v[6:7], v[4:5], v[0:1], v[2:3] op_sel:[0,0,1] op_sel_hi:[1,1,0] neg_lo:[0,0,1] neg_hi:[0,0,1]
	v_pk_fma_f32 v[0:1], v[4:5], v[0:1], v[2:3] op_sel:[0,0,1] op_sel_hi:[1,0,0]
	v_mov_b32_e32 v7, v1
	s_delay_alu instid0(VALU_DEP_1)
	v_pk_add_f32 v[184:185], v[184:185], v[6:7] neg_lo:[0,1] neg_hi:[0,1]
.LBB91_226:
	s_or_b32 exec_lo, exec_lo, s1
	s_delay_alu instid0(SALU_CYCLE_1)
	s_mov_b32 s2, exec_lo
	s_wait_dscnt 0x0
	s_barrier_signal -1
	s_barrier_wait -1
	v_cmpx_eq_u32_e32 25, v34
	s_cbranch_execz .LBB91_233
; %bb.227:
	v_dual_mov_b32 v0, v110 :: v_dual_mov_b32 v1, v111
	v_dual_mov_b32 v2, v106 :: v_dual_mov_b32 v3, v107
	ds_store_b64 v35, v[108:109]
	ds_store_2addr_b64 v26, v[0:1], v[2:3] offset0:26 offset1:27
	v_dual_mov_b32 v0, v128 :: v_dual_mov_b32 v1, v129
	v_dual_mov_b32 v2, v124 :: v_dual_mov_b32 v3, v125
	ds_store_2addr_b64 v26, v[0:1], v[2:3] offset0:28 offset1:29
	v_dual_mov_b32 v0, v126 :: v_dual_mov_b32 v1, v127
	v_dual_mov_b32 v2, v122 :: v_dual_mov_b32 v3, v123
	;; [unrolled: 3-line block ×8, first 2 shown]
	ds_store_2addr_b64 v26, v[0:1], v[2:3] offset0:42 offset1:43
	v_dual_mov_b32 v0, v180 :: v_dual_mov_b32 v1, v181
	ds_store_2addr_b64 v26, v[0:1], v[184:185] offset0:44 offset1:45
	ds_load_b64 v[0:1], v35
	s_wait_dscnt 0x0
	v_cmp_neq_f32_e32 vcc_lo, 0, v0
	v_cmp_neq_f32_e64 s1, 0, v1
	s_or_b32 s1, vcc_lo, s1
	s_delay_alu instid0(SALU_CYCLE_1)
	s_and_b32 exec_lo, exec_lo, s1
	s_cbranch_execz .LBB91_233
; %bb.228:
	v_cmp_ngt_f32_e64 s1, |v0|, |v1|
                                        ; implicit-def: $vgpr2_vgpr3
	s_and_saveexec_b32 s4, s1
	s_delay_alu instid0(SALU_CYCLE_1)
	s_xor_b32 s1, exec_lo, s4
	s_cbranch_execz .LBB91_230
; %bb.229:
	v_div_scale_f32 v2, null, v1, v1, v0
	v_div_scale_f32 v5, vcc_lo, v0, v1, v0
	s_delay_alu instid0(VALU_DEP_2) | instskip(SKIP_1) | instid1(TRANS32_DEP_1)
	v_rcp_f32_e32 v3, v2
	v_nop
	v_fma_f32 v4, -v2, v3, 1.0
	s_delay_alu instid0(VALU_DEP_1) | instskip(NEXT) | instid1(VALU_DEP_1)
	v_fmac_f32_e32 v3, v4, v3
	v_mul_f32_e32 v4, v5, v3
	s_delay_alu instid0(VALU_DEP_1) | instskip(NEXT) | instid1(VALU_DEP_1)
	v_fma_f32 v6, -v2, v4, v5
	v_fmac_f32_e32 v4, v6, v3
	s_delay_alu instid0(VALU_DEP_1) | instskip(NEXT) | instid1(VALU_DEP_1)
	v_fma_f32 v2, -v2, v4, v5
	v_div_fmas_f32 v2, v2, v3, v4
	s_delay_alu instid0(VALU_DEP_1) | instskip(NEXT) | instid1(VALU_DEP_1)
	v_div_fixup_f32 v2, v2, v1, v0
	v_fmac_f32_e32 v1, v0, v2
	s_delay_alu instid0(VALU_DEP_1) | instskip(SKIP_1) | instid1(VALU_DEP_2)
	v_div_scale_f32 v0, null, v1, v1, 1.0
	v_div_scale_f32 v5, vcc_lo, 1.0, v1, 1.0
	v_rcp_f32_e32 v3, v0
	v_nop
	s_delay_alu instid0(TRANS32_DEP_1) | instskip(NEXT) | instid1(VALU_DEP_1)
	v_fma_f32 v4, -v0, v3, 1.0
	v_fmac_f32_e32 v3, v4, v3
	s_delay_alu instid0(VALU_DEP_1) | instskip(NEXT) | instid1(VALU_DEP_1)
	v_mul_f32_e32 v4, v5, v3
	v_fma_f32 v6, -v0, v4, v5
	s_delay_alu instid0(VALU_DEP_1) | instskip(NEXT) | instid1(VALU_DEP_1)
	v_fmac_f32_e32 v4, v6, v3
	v_fma_f32 v0, -v0, v4, v5
	s_delay_alu instid0(VALU_DEP_1) | instskip(NEXT) | instid1(VALU_DEP_1)
	v_div_fmas_f32 v0, v0, v3, v4
	v_div_fixup_f32 v0, v0, v1, 1.0
	s_delay_alu instid0(VALU_DEP_1)
	v_mul_f32_e32 v2, v2, v0
	v_xor_b32_e32 v3, 0x80000000, v0
                                        ; implicit-def: $vgpr0_vgpr1
.LBB91_230:
	s_and_not1_saveexec_b32 s1, s1
	s_cbranch_execz .LBB91_232
; %bb.231:
	v_div_scale_f32 v2, null, v0, v0, v1
	v_div_scale_f32 v5, vcc_lo, v1, v0, v1
	s_delay_alu instid0(VALU_DEP_2) | instskip(SKIP_1) | instid1(TRANS32_DEP_1)
	v_rcp_f32_e32 v3, v2
	v_nop
	v_fma_f32 v4, -v2, v3, 1.0
	s_delay_alu instid0(VALU_DEP_1) | instskip(NEXT) | instid1(VALU_DEP_1)
	v_fmac_f32_e32 v3, v4, v3
	v_mul_f32_e32 v4, v5, v3
	s_delay_alu instid0(VALU_DEP_1) | instskip(NEXT) | instid1(VALU_DEP_1)
	v_fma_f32 v6, -v2, v4, v5
	v_fmac_f32_e32 v4, v6, v3
	s_delay_alu instid0(VALU_DEP_1) | instskip(NEXT) | instid1(VALU_DEP_1)
	v_fma_f32 v2, -v2, v4, v5
	v_div_fmas_f32 v2, v2, v3, v4
	s_delay_alu instid0(VALU_DEP_1) | instskip(NEXT) | instid1(VALU_DEP_1)
	v_div_fixup_f32 v3, v2, v0, v1
	v_fmac_f32_e32 v0, v1, v3
	s_delay_alu instid0(VALU_DEP_1) | instskip(NEXT) | instid1(VALU_DEP_1)
	v_div_scale_f32 v1, null, v0, v0, 1.0
	v_rcp_f32_e32 v2, v1
	v_nop
	s_delay_alu instid0(TRANS32_DEP_1) | instskip(NEXT) | instid1(VALU_DEP_1)
	v_fma_f32 v4, -v1, v2, 1.0
	v_fmac_f32_e32 v2, v4, v2
	v_div_scale_f32 v4, vcc_lo, 1.0, v0, 1.0
	s_delay_alu instid0(VALU_DEP_1) | instskip(NEXT) | instid1(VALU_DEP_1)
	v_mul_f32_e32 v5, v4, v2
	v_fma_f32 v6, -v1, v5, v4
	s_delay_alu instid0(VALU_DEP_1) | instskip(NEXT) | instid1(VALU_DEP_1)
	v_fmac_f32_e32 v5, v6, v2
	v_fma_f32 v1, -v1, v5, v4
	s_delay_alu instid0(VALU_DEP_1) | instskip(NEXT) | instid1(VALU_DEP_1)
	v_div_fmas_f32 v1, v1, v2, v5
	v_div_fixup_f32 v2, v1, v0, 1.0
	s_delay_alu instid0(VALU_DEP_1)
	v_mul_f32_e64 v3, v3, -v2
.LBB91_232:
	s_or_b32 exec_lo, exec_lo, s1
	ds_store_b64 v35, v[2:3]
.LBB91_233:
	s_or_b32 exec_lo, exec_lo, s2
	s_wait_dscnt 0x0
	s_barrier_signal -1
	s_barrier_wait -1
	ds_load_b64 v[236:237], v35
	s_mov_b32 s1, exec_lo
	v_cmpx_lt_u32_e32 25, v34
	s_cbranch_execz .LBB91_235
; %bb.234:
	ds_load_2addr_b64 v[4:7], v26 offset0:26 offset1:27
	s_wait_dscnt 0x1
	v_pk_mul_f32 v[2:3], v[236:237], v[108:109] op_sel:[1,1] op_sel_hi:[0,1]
	s_delay_alu instid0(VALU_DEP_1) | instskip(SKIP_1) | instid1(VALU_DEP_1)
	v_pk_fma_f32 v[0:1], v[236:237], v[108:109], v[2:3] op_sel_hi:[1,0,1] neg_lo:[0,0,1] neg_hi:[0,0,1]
	v_pk_fma_f32 v[2:3], v[236:237], v[108:109], v[2:3] op_sel_hi:[1,0,1]
	v_dual_mov_b32 v108, v0 :: v_dual_mov_b32 v109, v3
	s_wait_dscnt 0x0
	s_delay_alu instid0(VALU_DEP_2) | instskip(NEXT) | instid1(VALU_DEP_1)
	v_pk_mul_f32 v[8:9], v[4:5], v[2:3] op_sel:[0,1]
	v_pk_fma_f32 v[10:11], v[4:5], v[0:1], v[8:9] op_sel:[0,0,1] op_sel_hi:[1,1,0] neg_lo:[0,0,1] neg_hi:[0,0,1]
	v_pk_fma_f32 v[4:5], v[4:5], v[0:1], v[8:9] op_sel:[0,0,1] op_sel_hi:[1,0,0]
	s_delay_alu instid0(VALU_DEP_1) | instskip(SKIP_1) | instid1(VALU_DEP_1)
	v_mov_b32_e32 v11, v5
	v_pk_mul_f32 v[4:5], v[6:7], v[2:3] op_sel:[0,1]
	v_pk_fma_f32 v[8:9], v[6:7], v[0:1], v[4:5] op_sel:[0,0,1] op_sel_hi:[1,1,0] neg_lo:[0,0,1] neg_hi:[0,0,1]
	v_pk_fma_f32 v[4:5], v[6:7], v[0:1], v[4:5] op_sel:[0,0,1] op_sel_hi:[1,0,0]
	s_delay_alu instid0(VALU_DEP_1)
	v_mov_b32_e32 v9, v5
	ds_load_2addr_b64 v[4:7], v26 offset0:28 offset1:29
	v_pk_add_f32 v[110:111], v[110:111], v[10:11] neg_lo:[0,1] neg_hi:[0,1]
	v_pk_add_f32 v[106:107], v[106:107], v[8:9] neg_lo:[0,1] neg_hi:[0,1]
	s_wait_dscnt 0x0
	v_pk_mul_f32 v[8:9], v[4:5], v[2:3] op_sel:[0,1]
	s_delay_alu instid0(VALU_DEP_1) | instskip(SKIP_2) | instid1(VALU_DEP_2)
	v_pk_fma_f32 v[10:11], v[4:5], v[0:1], v[8:9] op_sel:[0,0,1] op_sel_hi:[1,1,0] neg_lo:[0,0,1] neg_hi:[0,0,1]
	v_pk_fma_f32 v[4:5], v[4:5], v[0:1], v[8:9] op_sel:[0,0,1] op_sel_hi:[1,0,0]
	v_dual_mul_f32 v8, v7, v3 :: v_dual_mov_b32 v4, v7
	v_dual_mov_b32 v11, v5 :: v_dual_mov_b32 v5, v6
	s_delay_alu instid0(VALU_DEP_2) | instskip(SKIP_1) | instid1(VALU_DEP_3)
	v_pk_fma_f32 v[8:9], v[6:7], v[108:109], v[8:9] op_sel_hi:[1,1,0] neg_lo:[0,0,1] neg_hi:[0,0,1]
	v_mul_f32_e32 v6, v7, v0
	v_pk_add_f32 v[128:129], v[128:129], v[10:11] neg_lo:[0,1] neg_hi:[0,1]
	s_delay_alu instid0(VALU_DEP_2) | instskip(NEXT) | instid1(VALU_DEP_1)
	v_pk_fma_f32 v[4:5], v[4:5], v[108:109], v[6:7] op_sel_hi:[1,1,0]
	v_mov_b32_e32 v9, v5
	ds_load_2addr_b64 v[4:7], v26 offset0:30 offset1:31
	v_pk_add_f32 v[124:125], v[124:125], v[8:9] neg_lo:[0,1] neg_hi:[0,1]
	s_wait_dscnt 0x0
	v_pk_mul_f32 v[8:9], v[4:5], v[2:3] op_sel:[0,1]
	s_delay_alu instid0(VALU_DEP_1) | instskip(SKIP_1) | instid1(VALU_DEP_1)
	v_pk_fma_f32 v[10:11], v[4:5], v[0:1], v[8:9] op_sel:[0,0,1] op_sel_hi:[1,1,0] neg_lo:[0,0,1] neg_hi:[0,0,1]
	v_pk_fma_f32 v[4:5], v[4:5], v[0:1], v[8:9] op_sel:[0,0,1] op_sel_hi:[1,0,0]
	v_mov_b32_e32 v11, v5
	v_pk_mul_f32 v[4:5], v[6:7], v[2:3] op_sel:[0,1]
	s_delay_alu instid0(VALU_DEP_1) | instskip(SKIP_1) | instid1(VALU_DEP_1)
	v_pk_fma_f32 v[8:9], v[6:7], v[0:1], v[4:5] op_sel:[0,0,1] op_sel_hi:[1,1,0] neg_lo:[0,0,1] neg_hi:[0,0,1]
	v_pk_fma_f32 v[4:5], v[6:7], v[0:1], v[4:5] op_sel:[0,0,1] op_sel_hi:[1,0,0]
	v_mov_b32_e32 v9, v5
	ds_load_2addr_b64 v[4:7], v26 offset0:32 offset1:33
	v_pk_add_f32 v[126:127], v[126:127], v[10:11] neg_lo:[0,1] neg_hi:[0,1]
	v_pk_add_f32 v[122:123], v[122:123], v[8:9] neg_lo:[0,1] neg_hi:[0,1]
	s_wait_dscnt 0x0
	v_pk_mul_f32 v[8:9], v[4:5], v[2:3] op_sel:[0,1]
	s_delay_alu instid0(VALU_DEP_1) | instskip(SKIP_1) | instid1(VALU_DEP_1)
	v_pk_fma_f32 v[10:11], v[4:5], v[0:1], v[8:9] op_sel:[0,0,1] op_sel_hi:[1,1,0] neg_lo:[0,0,1] neg_hi:[0,0,1]
	v_pk_fma_f32 v[4:5], v[4:5], v[0:1], v[8:9] op_sel:[0,0,1] op_sel_hi:[1,0,0]
	v_mov_b32_e32 v11, v5
	v_pk_mul_f32 v[4:5], v[6:7], v[2:3] op_sel:[0,1]
	s_delay_alu instid0(VALU_DEP_1) | instskip(SKIP_1) | instid1(VALU_DEP_1)
	v_pk_fma_f32 v[8:9], v[6:7], v[0:1], v[4:5] op_sel:[0,0,1] op_sel_hi:[1,1,0] neg_lo:[0,0,1] neg_hi:[0,0,1]
	v_pk_fma_f32 v[4:5], v[6:7], v[0:1], v[4:5] op_sel:[0,0,1] op_sel_hi:[1,0,0]
	v_mov_b32_e32 v9, v5
	ds_load_2addr_b64 v[4:7], v26 offset0:34 offset1:35
	v_pk_add_f32 v[144:145], v[144:145], v[10:11] neg_lo:[0,1] neg_hi:[0,1]
	v_pk_add_f32 v[140:141], v[140:141], v[8:9] neg_lo:[0,1] neg_hi:[0,1]
	s_wait_dscnt 0x0
	v_dual_mul_f32 v8, v5, v3 :: v_dual_mul_f32 v10, v5, v0
	s_delay_alu instid0(VALU_DEP_1) | instskip(NEXT) | instid1(VALU_DEP_2)
	v_pk_fma_f32 v[8:9], v[4:5], v[108:109], v[8:9] op_sel_hi:[1,1,0] neg_lo:[0,0,1] neg_hi:[0,0,1]
	v_pk_fma_f32 v[4:5], v[4:5], v[108:109], v[10:11] op_sel:[1,0,0] op_sel_hi:[0,1,0]
	s_delay_alu instid0(VALU_DEP_1) | instskip(SKIP_1) | instid1(VALU_DEP_2)
	v_mov_b32_e32 v9, v5
	v_pk_mul_f32 v[4:5], v[6:7], v[2:3] op_sel:[0,1]
	v_pk_add_f32 v[142:143], v[142:143], v[8:9] neg_lo:[0,1] neg_hi:[0,1]
	s_delay_alu instid0(VALU_DEP_2) | instskip(SKIP_1) | instid1(VALU_DEP_1)
	v_pk_fma_f32 v[8:9], v[6:7], v[0:1], v[4:5] op_sel:[0,0,1] op_sel_hi:[1,1,0] neg_lo:[0,0,1] neg_hi:[0,0,1]
	v_pk_fma_f32 v[4:5], v[6:7], v[0:1], v[4:5] op_sel:[0,0,1] op_sel_hi:[1,0,0]
	v_mov_b32_e32 v9, v5
	ds_load_2addr_b64 v[4:7], v26 offset0:36 offset1:37
	v_pk_add_f32 v[138:139], v[138:139], v[8:9] neg_lo:[0,1] neg_hi:[0,1]
	s_wait_dscnt 0x0
	v_pk_mul_f32 v[8:9], v[4:5], v[2:3] op_sel:[0,1]
	s_delay_alu instid0(VALU_DEP_1) | instskip(SKIP_1) | instid1(VALU_DEP_1)
	v_pk_fma_f32 v[10:11], v[4:5], v[0:1], v[8:9] op_sel:[0,0,1] op_sel_hi:[1,1,0] neg_lo:[0,0,1] neg_hi:[0,0,1]
	v_pk_fma_f32 v[4:5], v[4:5], v[0:1], v[8:9] op_sel:[0,0,1] op_sel_hi:[1,0,0]
	v_mov_b32_e32 v11, v5
	v_pk_mul_f32 v[4:5], v[6:7], v[2:3] op_sel:[0,1]
	s_delay_alu instid0(VALU_DEP_2) | instskip(NEXT) | instid1(VALU_DEP_2)
	v_pk_add_f32 v[162:163], v[162:163], v[10:11] neg_lo:[0,1] neg_hi:[0,1]
	v_pk_fma_f32 v[8:9], v[6:7], v[0:1], v[4:5] op_sel:[0,0,1] op_sel_hi:[1,1,0] neg_lo:[0,0,1] neg_hi:[0,0,1]
	v_pk_fma_f32 v[4:5], v[6:7], v[0:1], v[4:5] op_sel:[0,0,1] op_sel_hi:[1,0,0]
	s_delay_alu instid0(VALU_DEP_1) | instskip(SKIP_4) | instid1(VALU_DEP_1)
	v_mov_b32_e32 v9, v5
	ds_load_2addr_b64 v[4:7], v26 offset0:38 offset1:39
	v_pk_add_f32 v[158:159], v[158:159], v[8:9] neg_lo:[0,1] neg_hi:[0,1]
	s_wait_dscnt 0x0
	v_pk_mul_f32 v[8:9], v[4:5], v[2:3] op_sel:[0,1]
	v_pk_fma_f32 v[10:11], v[4:5], v[0:1], v[8:9] op_sel:[0,0,1] op_sel_hi:[1,1,0] neg_lo:[0,0,1] neg_hi:[0,0,1]
	v_pk_fma_f32 v[4:5], v[4:5], v[0:1], v[8:9] op_sel:[0,0,1] op_sel_hi:[1,0,0]
	v_dual_mul_f32 v8, v7, v3 :: v_dual_mov_b32 v4, v7
	s_delay_alu instid0(VALU_DEP_2) | instskip(NEXT) | instid1(VALU_DEP_2)
	v_dual_mov_b32 v11, v5 :: v_dual_mov_b32 v5, v6
	v_pk_fma_f32 v[8:9], v[6:7], v[108:109], v[8:9] op_sel_hi:[1,1,0] neg_lo:[0,0,1] neg_hi:[0,0,1]
	v_mul_f32_e32 v6, v7, v0
	s_delay_alu instid0(VALU_DEP_3) | instskip(NEXT) | instid1(VALU_DEP_2)
	v_pk_add_f32 v[160:161], v[160:161], v[10:11] neg_lo:[0,1] neg_hi:[0,1]
	v_pk_fma_f32 v[4:5], v[4:5], v[108:109], v[6:7] op_sel_hi:[1,1,0]
	s_delay_alu instid0(VALU_DEP_1) | instskip(SKIP_4) | instid1(VALU_DEP_1)
	v_mov_b32_e32 v9, v5
	ds_load_2addr_b64 v[4:7], v26 offset0:40 offset1:41
	v_pk_add_f32 v[156:157], v[156:157], v[8:9] neg_lo:[0,1] neg_hi:[0,1]
	s_wait_dscnt 0x0
	v_pk_mul_f32 v[8:9], v[4:5], v[2:3] op_sel:[0,1]
	v_pk_fma_f32 v[10:11], v[4:5], v[0:1], v[8:9] op_sel:[0,0,1] op_sel_hi:[1,1,0] neg_lo:[0,0,1] neg_hi:[0,0,1]
	v_pk_fma_f32 v[4:5], v[4:5], v[0:1], v[8:9] op_sel:[0,0,1] op_sel_hi:[1,0,0]
	s_delay_alu instid0(VALU_DEP_1) | instskip(SKIP_1) | instid1(VALU_DEP_1)
	v_mov_b32_e32 v11, v5
	v_pk_mul_f32 v[4:5], v[6:7], v[2:3] op_sel:[0,1]
	v_pk_fma_f32 v[8:9], v[6:7], v[0:1], v[4:5] op_sel:[0,0,1] op_sel_hi:[1,1,0] neg_lo:[0,0,1] neg_hi:[0,0,1]
	v_pk_fma_f32 v[4:5], v[6:7], v[0:1], v[4:5] op_sel:[0,0,1] op_sel_hi:[1,0,0]
	s_delay_alu instid0(VALU_DEP_1)
	v_mov_b32_e32 v9, v5
	ds_load_2addr_b64 v[4:7], v26 offset0:42 offset1:43
	v_pk_add_f32 v[178:179], v[178:179], v[10:11] neg_lo:[0,1] neg_hi:[0,1]
	v_pk_add_f32 v[174:175], v[174:175], v[8:9] neg_lo:[0,1] neg_hi:[0,1]
	s_wait_dscnt 0x0
	v_pk_mul_f32 v[8:9], v[4:5], v[2:3] op_sel:[0,1]
	s_delay_alu instid0(VALU_DEP_1) | instskip(SKIP_1) | instid1(VALU_DEP_1)
	v_pk_fma_f32 v[10:11], v[4:5], v[0:1], v[8:9] op_sel:[0,0,1] op_sel_hi:[1,1,0] neg_lo:[0,0,1] neg_hi:[0,0,1]
	v_pk_fma_f32 v[4:5], v[4:5], v[0:1], v[8:9] op_sel:[0,0,1] op_sel_hi:[1,0,0]
	v_mov_b32_e32 v11, v5
	v_pk_mul_f32 v[4:5], v[6:7], v[2:3] op_sel:[0,1]
	s_delay_alu instid0(VALU_DEP_1) | instskip(SKIP_1) | instid1(VALU_DEP_1)
	v_pk_fma_f32 v[8:9], v[6:7], v[0:1], v[4:5] op_sel:[0,0,1] op_sel_hi:[1,1,0] neg_lo:[0,0,1] neg_hi:[0,0,1]
	v_pk_fma_f32 v[4:5], v[6:7], v[0:1], v[4:5] op_sel:[0,0,1] op_sel_hi:[1,0,0]
	v_mov_b32_e32 v9, v5
	ds_load_2addr_b64 v[4:7], v26 offset0:44 offset1:45
	v_pk_add_f32 v[176:177], v[176:177], v[10:11] neg_lo:[0,1] neg_hi:[0,1]
	v_pk_add_f32 v[172:173], v[172:173], v[8:9] neg_lo:[0,1] neg_hi:[0,1]
	s_wait_dscnt 0x0
	v_dual_mul_f32 v8, v5, v3 :: v_dual_mul_f32 v10, v5, v0
	v_pk_mul_f32 v[2:3], v[6:7], v[2:3] op_sel:[0,1]
	s_delay_alu instid0(VALU_DEP_2) | instskip(NEXT) | instid1(VALU_DEP_3)
	v_pk_fma_f32 v[8:9], v[4:5], v[108:109], v[8:9] op_sel_hi:[1,1,0] neg_lo:[0,0,1] neg_hi:[0,0,1]
	v_pk_fma_f32 v[4:5], v[4:5], v[108:109], v[10:11] op_sel:[1,0,0] op_sel_hi:[0,1,0]
	s_delay_alu instid0(VALU_DEP_1) | instskip(NEXT) | instid1(VALU_DEP_4)
	v_mov_b32_e32 v9, v5
	v_pk_fma_f32 v[4:5], v[6:7], v[0:1], v[2:3] op_sel:[0,0,1] op_sel_hi:[1,1,0] neg_lo:[0,0,1] neg_hi:[0,0,1]
	v_pk_fma_f32 v[0:1], v[6:7], v[0:1], v[2:3] op_sel:[0,0,1] op_sel_hi:[1,0,0]
	s_delay_alu instid0(VALU_DEP_1) | instskip(NEXT) | instid1(VALU_DEP_4)
	v_mov_b32_e32 v5, v1
	v_pk_add_f32 v[180:181], v[180:181], v[8:9] neg_lo:[0,1] neg_hi:[0,1]
	s_delay_alu instid0(VALU_DEP_2)
	v_pk_add_f32 v[184:185], v[184:185], v[4:5] neg_lo:[0,1] neg_hi:[0,1]
.LBB91_235:
	s_or_b32 exec_lo, exec_lo, s1
	s_delay_alu instid0(SALU_CYCLE_1)
	s_mov_b32 s2, exec_lo
	s_wait_dscnt 0x0
	s_barrier_signal -1
	s_barrier_wait -1
	v_cmpx_eq_u32_e32 26, v34
	s_cbranch_execz .LBB91_242
; %bb.236:
	ds_store_b64 v35, v[110:111]
	ds_store_2addr_b64 v26, v[106:107], v[128:129] offset0:27 offset1:28
	ds_store_2addr_b64 v26, v[124:125], v[126:127] offset0:29 offset1:30
	ds_store_2addr_b64 v26, v[122:123], v[144:145] offset0:31 offset1:32
	ds_store_2addr_b64 v26, v[140:141], v[142:143] offset0:33 offset1:34
	ds_store_2addr_b64 v26, v[138:139], v[162:163] offset0:35 offset1:36
	ds_store_2addr_b64 v26, v[158:159], v[160:161] offset0:37 offset1:38
	ds_store_2addr_b64 v26, v[156:157], v[178:179] offset0:39 offset1:40
	ds_store_2addr_b64 v26, v[174:175], v[176:177] offset0:41 offset1:42
	ds_store_2addr_b64 v26, v[172:173], v[180:181] offset0:43 offset1:44
	ds_store_b64 v26, v[184:185] offset:360
	ds_load_b64 v[0:1], v35
	s_wait_dscnt 0x0
	v_cmp_neq_f32_e32 vcc_lo, 0, v0
	v_cmp_neq_f32_e64 s1, 0, v1
	s_or_b32 s1, vcc_lo, s1
	s_delay_alu instid0(SALU_CYCLE_1)
	s_and_b32 exec_lo, exec_lo, s1
	s_cbranch_execz .LBB91_242
; %bb.237:
	v_cmp_ngt_f32_e64 s1, |v0|, |v1|
                                        ; implicit-def: $vgpr2_vgpr3
	s_and_saveexec_b32 s4, s1
	s_delay_alu instid0(SALU_CYCLE_1)
	s_xor_b32 s1, exec_lo, s4
	s_cbranch_execz .LBB91_239
; %bb.238:
	v_div_scale_f32 v2, null, v1, v1, v0
	v_div_scale_f32 v5, vcc_lo, v0, v1, v0
	s_delay_alu instid0(VALU_DEP_2) | instskip(SKIP_1) | instid1(TRANS32_DEP_1)
	v_rcp_f32_e32 v3, v2
	v_nop
	v_fma_f32 v4, -v2, v3, 1.0
	s_delay_alu instid0(VALU_DEP_1) | instskip(NEXT) | instid1(VALU_DEP_1)
	v_fmac_f32_e32 v3, v4, v3
	v_mul_f32_e32 v4, v5, v3
	s_delay_alu instid0(VALU_DEP_1) | instskip(NEXT) | instid1(VALU_DEP_1)
	v_fma_f32 v6, -v2, v4, v5
	v_fmac_f32_e32 v4, v6, v3
	s_delay_alu instid0(VALU_DEP_1) | instskip(NEXT) | instid1(VALU_DEP_1)
	v_fma_f32 v2, -v2, v4, v5
	v_div_fmas_f32 v2, v2, v3, v4
	s_delay_alu instid0(VALU_DEP_1) | instskip(NEXT) | instid1(VALU_DEP_1)
	v_div_fixup_f32 v2, v2, v1, v0
	v_fmac_f32_e32 v1, v0, v2
	s_delay_alu instid0(VALU_DEP_1) | instskip(SKIP_1) | instid1(VALU_DEP_2)
	v_div_scale_f32 v0, null, v1, v1, 1.0
	v_div_scale_f32 v5, vcc_lo, 1.0, v1, 1.0
	v_rcp_f32_e32 v3, v0
	v_nop
	s_delay_alu instid0(TRANS32_DEP_1) | instskip(NEXT) | instid1(VALU_DEP_1)
	v_fma_f32 v4, -v0, v3, 1.0
	v_fmac_f32_e32 v3, v4, v3
	s_delay_alu instid0(VALU_DEP_1) | instskip(NEXT) | instid1(VALU_DEP_1)
	v_mul_f32_e32 v4, v5, v3
	v_fma_f32 v6, -v0, v4, v5
	s_delay_alu instid0(VALU_DEP_1) | instskip(NEXT) | instid1(VALU_DEP_1)
	v_fmac_f32_e32 v4, v6, v3
	v_fma_f32 v0, -v0, v4, v5
	s_delay_alu instid0(VALU_DEP_1) | instskip(NEXT) | instid1(VALU_DEP_1)
	v_div_fmas_f32 v0, v0, v3, v4
	v_div_fixup_f32 v0, v0, v1, 1.0
	s_delay_alu instid0(VALU_DEP_1)
	v_mul_f32_e32 v2, v2, v0
	v_xor_b32_e32 v3, 0x80000000, v0
                                        ; implicit-def: $vgpr0_vgpr1
.LBB91_239:
	s_and_not1_saveexec_b32 s1, s1
	s_cbranch_execz .LBB91_241
; %bb.240:
	v_div_scale_f32 v2, null, v0, v0, v1
	v_div_scale_f32 v5, vcc_lo, v1, v0, v1
	s_delay_alu instid0(VALU_DEP_2) | instskip(SKIP_1) | instid1(TRANS32_DEP_1)
	v_rcp_f32_e32 v3, v2
	v_nop
	v_fma_f32 v4, -v2, v3, 1.0
	s_delay_alu instid0(VALU_DEP_1) | instskip(NEXT) | instid1(VALU_DEP_1)
	v_fmac_f32_e32 v3, v4, v3
	v_mul_f32_e32 v4, v5, v3
	s_delay_alu instid0(VALU_DEP_1) | instskip(NEXT) | instid1(VALU_DEP_1)
	v_fma_f32 v6, -v2, v4, v5
	v_fmac_f32_e32 v4, v6, v3
	s_delay_alu instid0(VALU_DEP_1) | instskip(NEXT) | instid1(VALU_DEP_1)
	v_fma_f32 v2, -v2, v4, v5
	v_div_fmas_f32 v2, v2, v3, v4
	s_delay_alu instid0(VALU_DEP_1) | instskip(NEXT) | instid1(VALU_DEP_1)
	v_div_fixup_f32 v3, v2, v0, v1
	v_fmac_f32_e32 v0, v1, v3
	s_delay_alu instid0(VALU_DEP_1) | instskip(NEXT) | instid1(VALU_DEP_1)
	v_div_scale_f32 v1, null, v0, v0, 1.0
	v_rcp_f32_e32 v2, v1
	v_nop
	s_delay_alu instid0(TRANS32_DEP_1) | instskip(NEXT) | instid1(VALU_DEP_1)
	v_fma_f32 v4, -v1, v2, 1.0
	v_fmac_f32_e32 v2, v4, v2
	v_div_scale_f32 v4, vcc_lo, 1.0, v0, 1.0
	s_delay_alu instid0(VALU_DEP_1) | instskip(NEXT) | instid1(VALU_DEP_1)
	v_mul_f32_e32 v5, v4, v2
	v_fma_f32 v6, -v1, v5, v4
	s_delay_alu instid0(VALU_DEP_1) | instskip(NEXT) | instid1(VALU_DEP_1)
	v_fmac_f32_e32 v5, v6, v2
	v_fma_f32 v1, -v1, v5, v4
	s_delay_alu instid0(VALU_DEP_1) | instskip(NEXT) | instid1(VALU_DEP_1)
	v_div_fmas_f32 v1, v1, v2, v5
	v_div_fixup_f32 v2, v1, v0, 1.0
	s_delay_alu instid0(VALU_DEP_1)
	v_mul_f32_e64 v3, v3, -v2
.LBB91_241:
	s_or_b32 exec_lo, exec_lo, s1
	ds_store_b64 v35, v[2:3]
.LBB91_242:
	s_or_b32 exec_lo, exec_lo, s2
	s_wait_dscnt 0x0
	s_barrier_signal -1
	s_barrier_wait -1
	ds_load_b64 v[238:239], v35
	s_mov_b32 s1, exec_lo
	v_cmpx_lt_u32_e32 26, v34
	s_cbranch_execz .LBB91_244
; %bb.243:
	ds_load_2addr_b64 v[4:7], v26 offset0:27 offset1:28
	s_wait_dscnt 0x1
	v_pk_mul_f32 v[2:3], v[238:239], v[110:111] op_sel:[1,1] op_sel_hi:[0,1]
	s_delay_alu instid0(VALU_DEP_1) | instskip(SKIP_1) | instid1(VALU_DEP_1)
	v_pk_fma_f32 v[0:1], v[238:239], v[110:111], v[2:3] op_sel_hi:[1,0,1] neg_lo:[0,0,1] neg_hi:[0,0,1]
	v_pk_fma_f32 v[2:3], v[238:239], v[110:111], v[2:3] op_sel_hi:[1,0,1]
	v_dual_mov_b32 v110, v0 :: v_dual_mov_b32 v111, v3
	s_wait_dscnt 0x0
	s_delay_alu instid0(VALU_DEP_2) | instskip(NEXT) | instid1(VALU_DEP_1)
	v_pk_mul_f32 v[8:9], v[4:5], v[2:3] op_sel:[0,1]
	v_pk_fma_f32 v[10:11], v[4:5], v[0:1], v[8:9] op_sel:[0,0,1] op_sel_hi:[1,1,0] neg_lo:[0,0,1] neg_hi:[0,0,1]
	v_pk_fma_f32 v[4:5], v[4:5], v[0:1], v[8:9] op_sel:[0,0,1] op_sel_hi:[1,0,0]
	s_delay_alu instid0(VALU_DEP_1) | instskip(SKIP_1) | instid1(VALU_DEP_1)
	v_mov_b32_e32 v11, v5
	v_pk_mul_f32 v[4:5], v[6:7], v[2:3] op_sel:[0,1]
	v_pk_fma_f32 v[8:9], v[6:7], v[0:1], v[4:5] op_sel:[0,0,1] op_sel_hi:[1,1,0] neg_lo:[0,0,1] neg_hi:[0,0,1]
	v_pk_fma_f32 v[4:5], v[6:7], v[0:1], v[4:5] op_sel:[0,0,1] op_sel_hi:[1,0,0]
	s_delay_alu instid0(VALU_DEP_1)
	v_mov_b32_e32 v9, v5
	ds_load_2addr_b64 v[4:7], v26 offset0:29 offset1:30
	v_pk_add_f32 v[106:107], v[106:107], v[10:11] neg_lo:[0,1] neg_hi:[0,1]
	v_pk_add_f32 v[128:129], v[128:129], v[8:9] neg_lo:[0,1] neg_hi:[0,1]
	s_wait_dscnt 0x0
	v_pk_mul_f32 v[8:9], v[4:5], v[2:3] op_sel:[0,1]
	s_delay_alu instid0(VALU_DEP_1) | instskip(SKIP_2) | instid1(VALU_DEP_2)
	v_pk_fma_f32 v[10:11], v[4:5], v[0:1], v[8:9] op_sel:[0,0,1] op_sel_hi:[1,1,0] neg_lo:[0,0,1] neg_hi:[0,0,1]
	v_pk_fma_f32 v[4:5], v[4:5], v[0:1], v[8:9] op_sel:[0,0,1] op_sel_hi:[1,0,0]
	v_dual_mul_f32 v8, v7, v3 :: v_dual_mov_b32 v4, v7
	v_dual_mov_b32 v11, v5 :: v_dual_mov_b32 v5, v6
	s_delay_alu instid0(VALU_DEP_2) | instskip(SKIP_1) | instid1(VALU_DEP_3)
	v_pk_fma_f32 v[8:9], v[6:7], v[110:111], v[8:9] op_sel_hi:[1,1,0] neg_lo:[0,0,1] neg_hi:[0,0,1]
	v_mul_f32_e32 v6, v7, v0
	v_pk_add_f32 v[124:125], v[124:125], v[10:11] neg_lo:[0,1] neg_hi:[0,1]
	s_delay_alu instid0(VALU_DEP_2) | instskip(NEXT) | instid1(VALU_DEP_1)
	v_pk_fma_f32 v[4:5], v[4:5], v[110:111], v[6:7] op_sel_hi:[1,1,0]
	v_mov_b32_e32 v9, v5
	ds_load_2addr_b64 v[4:7], v26 offset0:31 offset1:32
	v_pk_add_f32 v[126:127], v[126:127], v[8:9] neg_lo:[0,1] neg_hi:[0,1]
	s_wait_dscnt 0x0
	v_pk_mul_f32 v[8:9], v[4:5], v[2:3] op_sel:[0,1]
	s_delay_alu instid0(VALU_DEP_1) | instskip(SKIP_1) | instid1(VALU_DEP_1)
	v_pk_fma_f32 v[10:11], v[4:5], v[0:1], v[8:9] op_sel:[0,0,1] op_sel_hi:[1,1,0] neg_lo:[0,0,1] neg_hi:[0,0,1]
	v_pk_fma_f32 v[4:5], v[4:5], v[0:1], v[8:9] op_sel:[0,0,1] op_sel_hi:[1,0,0]
	v_mov_b32_e32 v11, v5
	v_pk_mul_f32 v[4:5], v[6:7], v[2:3] op_sel:[0,1]
	s_delay_alu instid0(VALU_DEP_1) | instskip(SKIP_1) | instid1(VALU_DEP_1)
	v_pk_fma_f32 v[8:9], v[6:7], v[0:1], v[4:5] op_sel:[0,0,1] op_sel_hi:[1,1,0] neg_lo:[0,0,1] neg_hi:[0,0,1]
	v_pk_fma_f32 v[4:5], v[6:7], v[0:1], v[4:5] op_sel:[0,0,1] op_sel_hi:[1,0,0]
	v_mov_b32_e32 v9, v5
	ds_load_2addr_b64 v[4:7], v26 offset0:33 offset1:34
	v_pk_add_f32 v[122:123], v[122:123], v[10:11] neg_lo:[0,1] neg_hi:[0,1]
	v_pk_add_f32 v[144:145], v[144:145], v[8:9] neg_lo:[0,1] neg_hi:[0,1]
	s_wait_dscnt 0x0
	v_pk_mul_f32 v[8:9], v[4:5], v[2:3] op_sel:[0,1]
	s_delay_alu instid0(VALU_DEP_1) | instskip(SKIP_1) | instid1(VALU_DEP_1)
	v_pk_fma_f32 v[10:11], v[4:5], v[0:1], v[8:9] op_sel:[0,0,1] op_sel_hi:[1,1,0] neg_lo:[0,0,1] neg_hi:[0,0,1]
	v_pk_fma_f32 v[4:5], v[4:5], v[0:1], v[8:9] op_sel:[0,0,1] op_sel_hi:[1,0,0]
	v_mov_b32_e32 v11, v5
	v_pk_mul_f32 v[4:5], v[6:7], v[2:3] op_sel:[0,1]
	s_delay_alu instid0(VALU_DEP_1) | instskip(SKIP_1) | instid1(VALU_DEP_1)
	v_pk_fma_f32 v[8:9], v[6:7], v[0:1], v[4:5] op_sel:[0,0,1] op_sel_hi:[1,1,0] neg_lo:[0,0,1] neg_hi:[0,0,1]
	v_pk_fma_f32 v[4:5], v[6:7], v[0:1], v[4:5] op_sel:[0,0,1] op_sel_hi:[1,0,0]
	v_mov_b32_e32 v9, v5
	ds_load_2addr_b64 v[4:7], v26 offset0:35 offset1:36
	v_pk_add_f32 v[140:141], v[140:141], v[10:11] neg_lo:[0,1] neg_hi:[0,1]
	v_pk_add_f32 v[142:143], v[142:143], v[8:9] neg_lo:[0,1] neg_hi:[0,1]
	s_wait_dscnt 0x0
	v_dual_mul_f32 v8, v5, v3 :: v_dual_mul_f32 v10, v5, v0
	s_delay_alu instid0(VALU_DEP_1) | instskip(NEXT) | instid1(VALU_DEP_2)
	v_pk_fma_f32 v[8:9], v[4:5], v[110:111], v[8:9] op_sel_hi:[1,1,0] neg_lo:[0,0,1] neg_hi:[0,0,1]
	v_pk_fma_f32 v[4:5], v[4:5], v[110:111], v[10:11] op_sel:[1,0,0] op_sel_hi:[0,1,0]
	s_delay_alu instid0(VALU_DEP_1) | instskip(SKIP_1) | instid1(VALU_DEP_2)
	v_mov_b32_e32 v9, v5
	v_pk_mul_f32 v[4:5], v[6:7], v[2:3] op_sel:[0,1]
	v_pk_add_f32 v[138:139], v[138:139], v[8:9] neg_lo:[0,1] neg_hi:[0,1]
	s_delay_alu instid0(VALU_DEP_2) | instskip(SKIP_1) | instid1(VALU_DEP_1)
	v_pk_fma_f32 v[8:9], v[6:7], v[0:1], v[4:5] op_sel:[0,0,1] op_sel_hi:[1,1,0] neg_lo:[0,0,1] neg_hi:[0,0,1]
	v_pk_fma_f32 v[4:5], v[6:7], v[0:1], v[4:5] op_sel:[0,0,1] op_sel_hi:[1,0,0]
	v_mov_b32_e32 v9, v5
	ds_load_2addr_b64 v[4:7], v26 offset0:37 offset1:38
	v_pk_add_f32 v[162:163], v[162:163], v[8:9] neg_lo:[0,1] neg_hi:[0,1]
	s_wait_dscnt 0x0
	v_pk_mul_f32 v[8:9], v[4:5], v[2:3] op_sel:[0,1]
	s_delay_alu instid0(VALU_DEP_1) | instskip(SKIP_1) | instid1(VALU_DEP_1)
	v_pk_fma_f32 v[10:11], v[4:5], v[0:1], v[8:9] op_sel:[0,0,1] op_sel_hi:[1,1,0] neg_lo:[0,0,1] neg_hi:[0,0,1]
	v_pk_fma_f32 v[4:5], v[4:5], v[0:1], v[8:9] op_sel:[0,0,1] op_sel_hi:[1,0,0]
	v_mov_b32_e32 v11, v5
	v_pk_mul_f32 v[4:5], v[6:7], v[2:3] op_sel:[0,1]
	s_delay_alu instid0(VALU_DEP_2) | instskip(NEXT) | instid1(VALU_DEP_2)
	v_pk_add_f32 v[158:159], v[158:159], v[10:11] neg_lo:[0,1] neg_hi:[0,1]
	v_pk_fma_f32 v[8:9], v[6:7], v[0:1], v[4:5] op_sel:[0,0,1] op_sel_hi:[1,1,0] neg_lo:[0,0,1] neg_hi:[0,0,1]
	v_pk_fma_f32 v[4:5], v[6:7], v[0:1], v[4:5] op_sel:[0,0,1] op_sel_hi:[1,0,0]
	s_delay_alu instid0(VALU_DEP_1) | instskip(SKIP_4) | instid1(VALU_DEP_1)
	v_mov_b32_e32 v9, v5
	ds_load_2addr_b64 v[4:7], v26 offset0:39 offset1:40
	v_pk_add_f32 v[160:161], v[160:161], v[8:9] neg_lo:[0,1] neg_hi:[0,1]
	s_wait_dscnt 0x0
	v_pk_mul_f32 v[8:9], v[4:5], v[2:3] op_sel:[0,1]
	v_pk_fma_f32 v[10:11], v[4:5], v[0:1], v[8:9] op_sel:[0,0,1] op_sel_hi:[1,1,0] neg_lo:[0,0,1] neg_hi:[0,0,1]
	v_pk_fma_f32 v[4:5], v[4:5], v[0:1], v[8:9] op_sel:[0,0,1] op_sel_hi:[1,0,0]
	v_dual_mul_f32 v8, v7, v3 :: v_dual_mov_b32 v4, v7
	s_delay_alu instid0(VALU_DEP_2) | instskip(NEXT) | instid1(VALU_DEP_2)
	v_dual_mov_b32 v11, v5 :: v_dual_mov_b32 v5, v6
	v_pk_fma_f32 v[8:9], v[6:7], v[110:111], v[8:9] op_sel_hi:[1,1,0] neg_lo:[0,0,1] neg_hi:[0,0,1]
	v_mul_f32_e32 v6, v7, v0
	s_delay_alu instid0(VALU_DEP_3) | instskip(NEXT) | instid1(VALU_DEP_2)
	v_pk_add_f32 v[156:157], v[156:157], v[10:11] neg_lo:[0,1] neg_hi:[0,1]
	v_pk_fma_f32 v[4:5], v[4:5], v[110:111], v[6:7] op_sel_hi:[1,1,0]
	s_delay_alu instid0(VALU_DEP_1) | instskip(SKIP_4) | instid1(VALU_DEP_1)
	v_mov_b32_e32 v9, v5
	ds_load_2addr_b64 v[4:7], v26 offset0:41 offset1:42
	v_pk_add_f32 v[178:179], v[178:179], v[8:9] neg_lo:[0,1] neg_hi:[0,1]
	s_wait_dscnt 0x0
	v_pk_mul_f32 v[8:9], v[4:5], v[2:3] op_sel:[0,1]
	v_pk_fma_f32 v[10:11], v[4:5], v[0:1], v[8:9] op_sel:[0,0,1] op_sel_hi:[1,1,0] neg_lo:[0,0,1] neg_hi:[0,0,1]
	v_pk_fma_f32 v[4:5], v[4:5], v[0:1], v[8:9] op_sel:[0,0,1] op_sel_hi:[1,0,0]
	s_delay_alu instid0(VALU_DEP_1) | instskip(SKIP_1) | instid1(VALU_DEP_1)
	v_mov_b32_e32 v11, v5
	v_pk_mul_f32 v[4:5], v[6:7], v[2:3] op_sel:[0,1]
	v_pk_fma_f32 v[8:9], v[6:7], v[0:1], v[4:5] op_sel:[0,0,1] op_sel_hi:[1,1,0] neg_lo:[0,0,1] neg_hi:[0,0,1]
	v_pk_fma_f32 v[4:5], v[6:7], v[0:1], v[4:5] op_sel:[0,0,1] op_sel_hi:[1,0,0]
	s_delay_alu instid0(VALU_DEP_1)
	v_mov_b32_e32 v9, v5
	ds_load_2addr_b64 v[4:7], v26 offset0:43 offset1:44
	v_pk_add_f32 v[174:175], v[174:175], v[10:11] neg_lo:[0,1] neg_hi:[0,1]
	v_pk_add_f32 v[176:177], v[176:177], v[8:9] neg_lo:[0,1] neg_hi:[0,1]
	s_wait_dscnt 0x0
	v_pk_mul_f32 v[8:9], v[4:5], v[2:3] op_sel:[0,1]
	s_delay_alu instid0(VALU_DEP_1) | instskip(SKIP_1) | instid1(VALU_DEP_1)
	v_pk_fma_f32 v[10:11], v[4:5], v[0:1], v[8:9] op_sel:[0,0,1] op_sel_hi:[1,1,0] neg_lo:[0,0,1] neg_hi:[0,0,1]
	v_pk_fma_f32 v[4:5], v[4:5], v[0:1], v[8:9] op_sel:[0,0,1] op_sel_hi:[1,0,0]
	v_mov_b32_e32 v11, v5
	v_pk_mul_f32 v[4:5], v[6:7], v[2:3] op_sel:[0,1]
	s_delay_alu instid0(VALU_DEP_1) | instskip(SKIP_1) | instid1(VALU_DEP_1)
	v_pk_fma_f32 v[8:9], v[6:7], v[0:1], v[4:5] op_sel:[0,0,1] op_sel_hi:[1,1,0] neg_lo:[0,0,1] neg_hi:[0,0,1]
	v_pk_fma_f32 v[4:5], v[6:7], v[0:1], v[4:5] op_sel:[0,0,1] op_sel_hi:[1,0,0]
	v_mov_b32_e32 v9, v5
	ds_load_b64 v[4:5], v26 offset:360
	v_pk_add_f32 v[172:173], v[172:173], v[10:11] neg_lo:[0,1] neg_hi:[0,1]
	v_pk_add_f32 v[180:181], v[180:181], v[8:9] neg_lo:[0,1] neg_hi:[0,1]
	s_wait_dscnt 0x0
	v_pk_mul_f32 v[2:3], v[4:5], v[2:3] op_sel:[0,1]
	s_delay_alu instid0(VALU_DEP_1) | instskip(SKIP_1) | instid1(VALU_DEP_1)
	v_pk_fma_f32 v[6:7], v[4:5], v[0:1], v[2:3] op_sel:[0,0,1] op_sel_hi:[1,1,0] neg_lo:[0,0,1] neg_hi:[0,0,1]
	v_pk_fma_f32 v[0:1], v[4:5], v[0:1], v[2:3] op_sel:[0,0,1] op_sel_hi:[1,0,0]
	v_mov_b32_e32 v7, v1
	s_delay_alu instid0(VALU_DEP_1)
	v_pk_add_f32 v[184:185], v[184:185], v[6:7] neg_lo:[0,1] neg_hi:[0,1]
.LBB91_244:
	s_or_b32 exec_lo, exec_lo, s1
	s_delay_alu instid0(SALU_CYCLE_1)
	s_mov_b32 s2, exec_lo
	s_wait_dscnt 0x0
	s_barrier_signal -1
	s_barrier_wait -1
	v_cmpx_eq_u32_e32 27, v34
	s_cbranch_execz .LBB91_251
; %bb.245:
	v_dual_mov_b32 v0, v128 :: v_dual_mov_b32 v1, v129
	v_dual_mov_b32 v2, v124 :: v_dual_mov_b32 v3, v125
	ds_store_b64 v35, v[106:107]
	ds_store_2addr_b64 v26, v[0:1], v[2:3] offset0:28 offset1:29
	v_dual_mov_b32 v0, v126 :: v_dual_mov_b32 v1, v127
	v_dual_mov_b32 v2, v122 :: v_dual_mov_b32 v3, v123
	ds_store_2addr_b64 v26, v[0:1], v[2:3] offset0:30 offset1:31
	v_dual_mov_b32 v0, v144 :: v_dual_mov_b32 v1, v145
	v_dual_mov_b32 v2, v140 :: v_dual_mov_b32 v3, v141
	;; [unrolled: 3-line block ×7, first 2 shown]
	ds_store_2addr_b64 v26, v[0:1], v[2:3] offset0:42 offset1:43
	v_dual_mov_b32 v0, v180 :: v_dual_mov_b32 v1, v181
	ds_store_2addr_b64 v26, v[0:1], v[184:185] offset0:44 offset1:45
	ds_load_b64 v[0:1], v35
	s_wait_dscnt 0x0
	v_cmp_neq_f32_e32 vcc_lo, 0, v0
	v_cmp_neq_f32_e64 s1, 0, v1
	s_or_b32 s1, vcc_lo, s1
	s_delay_alu instid0(SALU_CYCLE_1)
	s_and_b32 exec_lo, exec_lo, s1
	s_cbranch_execz .LBB91_251
; %bb.246:
	v_cmp_ngt_f32_e64 s1, |v0|, |v1|
                                        ; implicit-def: $vgpr2_vgpr3
	s_and_saveexec_b32 s4, s1
	s_delay_alu instid0(SALU_CYCLE_1)
	s_xor_b32 s1, exec_lo, s4
	s_cbranch_execz .LBB91_248
; %bb.247:
	v_div_scale_f32 v2, null, v1, v1, v0
	v_div_scale_f32 v5, vcc_lo, v0, v1, v0
	s_delay_alu instid0(VALU_DEP_2) | instskip(SKIP_1) | instid1(TRANS32_DEP_1)
	v_rcp_f32_e32 v3, v2
	v_nop
	v_fma_f32 v4, -v2, v3, 1.0
	s_delay_alu instid0(VALU_DEP_1) | instskip(NEXT) | instid1(VALU_DEP_1)
	v_fmac_f32_e32 v3, v4, v3
	v_mul_f32_e32 v4, v5, v3
	s_delay_alu instid0(VALU_DEP_1) | instskip(NEXT) | instid1(VALU_DEP_1)
	v_fma_f32 v6, -v2, v4, v5
	v_fmac_f32_e32 v4, v6, v3
	s_delay_alu instid0(VALU_DEP_1) | instskip(NEXT) | instid1(VALU_DEP_1)
	v_fma_f32 v2, -v2, v4, v5
	v_div_fmas_f32 v2, v2, v3, v4
	s_delay_alu instid0(VALU_DEP_1) | instskip(NEXT) | instid1(VALU_DEP_1)
	v_div_fixup_f32 v2, v2, v1, v0
	v_fmac_f32_e32 v1, v0, v2
	s_delay_alu instid0(VALU_DEP_1) | instskip(SKIP_1) | instid1(VALU_DEP_2)
	v_div_scale_f32 v0, null, v1, v1, 1.0
	v_div_scale_f32 v5, vcc_lo, 1.0, v1, 1.0
	v_rcp_f32_e32 v3, v0
	v_nop
	s_delay_alu instid0(TRANS32_DEP_1) | instskip(NEXT) | instid1(VALU_DEP_1)
	v_fma_f32 v4, -v0, v3, 1.0
	v_fmac_f32_e32 v3, v4, v3
	s_delay_alu instid0(VALU_DEP_1) | instskip(NEXT) | instid1(VALU_DEP_1)
	v_mul_f32_e32 v4, v5, v3
	v_fma_f32 v6, -v0, v4, v5
	s_delay_alu instid0(VALU_DEP_1) | instskip(NEXT) | instid1(VALU_DEP_1)
	v_fmac_f32_e32 v4, v6, v3
	v_fma_f32 v0, -v0, v4, v5
	s_delay_alu instid0(VALU_DEP_1) | instskip(NEXT) | instid1(VALU_DEP_1)
	v_div_fmas_f32 v0, v0, v3, v4
	v_div_fixup_f32 v0, v0, v1, 1.0
	s_delay_alu instid0(VALU_DEP_1)
	v_mul_f32_e32 v2, v2, v0
	v_xor_b32_e32 v3, 0x80000000, v0
                                        ; implicit-def: $vgpr0_vgpr1
.LBB91_248:
	s_and_not1_saveexec_b32 s1, s1
	s_cbranch_execz .LBB91_250
; %bb.249:
	v_div_scale_f32 v2, null, v0, v0, v1
	v_div_scale_f32 v5, vcc_lo, v1, v0, v1
	s_delay_alu instid0(VALU_DEP_2) | instskip(SKIP_1) | instid1(TRANS32_DEP_1)
	v_rcp_f32_e32 v3, v2
	v_nop
	v_fma_f32 v4, -v2, v3, 1.0
	s_delay_alu instid0(VALU_DEP_1) | instskip(NEXT) | instid1(VALU_DEP_1)
	v_fmac_f32_e32 v3, v4, v3
	v_mul_f32_e32 v4, v5, v3
	s_delay_alu instid0(VALU_DEP_1) | instskip(NEXT) | instid1(VALU_DEP_1)
	v_fma_f32 v6, -v2, v4, v5
	v_fmac_f32_e32 v4, v6, v3
	s_delay_alu instid0(VALU_DEP_1) | instskip(NEXT) | instid1(VALU_DEP_1)
	v_fma_f32 v2, -v2, v4, v5
	v_div_fmas_f32 v2, v2, v3, v4
	s_delay_alu instid0(VALU_DEP_1) | instskip(NEXT) | instid1(VALU_DEP_1)
	v_div_fixup_f32 v3, v2, v0, v1
	v_fmac_f32_e32 v0, v1, v3
	s_delay_alu instid0(VALU_DEP_1) | instskip(NEXT) | instid1(VALU_DEP_1)
	v_div_scale_f32 v1, null, v0, v0, 1.0
	v_rcp_f32_e32 v2, v1
	v_nop
	s_delay_alu instid0(TRANS32_DEP_1) | instskip(NEXT) | instid1(VALU_DEP_1)
	v_fma_f32 v4, -v1, v2, 1.0
	v_fmac_f32_e32 v2, v4, v2
	v_div_scale_f32 v4, vcc_lo, 1.0, v0, 1.0
	s_delay_alu instid0(VALU_DEP_1) | instskip(NEXT) | instid1(VALU_DEP_1)
	v_mul_f32_e32 v5, v4, v2
	v_fma_f32 v6, -v1, v5, v4
	s_delay_alu instid0(VALU_DEP_1) | instskip(NEXT) | instid1(VALU_DEP_1)
	v_fmac_f32_e32 v5, v6, v2
	v_fma_f32 v1, -v1, v5, v4
	s_delay_alu instid0(VALU_DEP_1) | instskip(NEXT) | instid1(VALU_DEP_1)
	v_div_fmas_f32 v1, v1, v2, v5
	v_div_fixup_f32 v2, v1, v0, 1.0
	s_delay_alu instid0(VALU_DEP_1)
	v_mul_f32_e64 v3, v3, -v2
.LBB91_250:
	s_or_b32 exec_lo, exec_lo, s1
	ds_store_b64 v35, v[2:3]
.LBB91_251:
	s_or_b32 exec_lo, exec_lo, s2
	s_wait_dscnt 0x0
	s_barrier_signal -1
	s_barrier_wait -1
	ds_load_b64 v[240:241], v35
	s_mov_b32 s1, exec_lo
	v_cmpx_lt_u32_e32 27, v34
	s_cbranch_execz .LBB91_253
; %bb.252:
	ds_load_2addr_b64 v[4:7], v26 offset0:28 offset1:29
	s_wait_dscnt 0x1
	v_pk_mul_f32 v[2:3], v[240:241], v[106:107] op_sel:[1,1] op_sel_hi:[0,1]
	s_delay_alu instid0(VALU_DEP_1) | instskip(SKIP_1) | instid1(VALU_DEP_1)
	v_pk_fma_f32 v[0:1], v[240:241], v[106:107], v[2:3] op_sel_hi:[1,0,1] neg_lo:[0,0,1] neg_hi:[0,0,1]
	v_pk_fma_f32 v[2:3], v[240:241], v[106:107], v[2:3] op_sel_hi:[1,0,1]
	v_dual_mov_b32 v106, v0 :: v_dual_mov_b32 v107, v3
	s_wait_dscnt 0x0
	s_delay_alu instid0(VALU_DEP_2) | instskip(NEXT) | instid1(VALU_DEP_1)
	v_pk_mul_f32 v[8:9], v[4:5], v[2:3] op_sel:[0,1]
	v_pk_fma_f32 v[10:11], v[4:5], v[0:1], v[8:9] op_sel:[0,0,1] op_sel_hi:[1,1,0] neg_lo:[0,0,1] neg_hi:[0,0,1]
	v_pk_fma_f32 v[4:5], v[4:5], v[0:1], v[8:9] op_sel:[0,0,1] op_sel_hi:[1,0,0]
	s_delay_alu instid0(VALU_DEP_1) | instskip(SKIP_1) | instid1(VALU_DEP_1)
	v_mov_b32_e32 v11, v5
	v_pk_mul_f32 v[4:5], v[6:7], v[2:3] op_sel:[0,1]
	v_pk_fma_f32 v[8:9], v[6:7], v[0:1], v[4:5] op_sel:[0,0,1] op_sel_hi:[1,1,0] neg_lo:[0,0,1] neg_hi:[0,0,1]
	v_pk_fma_f32 v[4:5], v[6:7], v[0:1], v[4:5] op_sel:[0,0,1] op_sel_hi:[1,0,0]
	s_delay_alu instid0(VALU_DEP_1)
	v_mov_b32_e32 v9, v5
	ds_load_2addr_b64 v[4:7], v26 offset0:30 offset1:31
	v_pk_add_f32 v[128:129], v[128:129], v[10:11] neg_lo:[0,1] neg_hi:[0,1]
	v_pk_add_f32 v[124:125], v[124:125], v[8:9] neg_lo:[0,1] neg_hi:[0,1]
	s_wait_dscnt 0x0
	v_pk_mul_f32 v[8:9], v[4:5], v[2:3] op_sel:[0,1]
	s_delay_alu instid0(VALU_DEP_1) | instskip(SKIP_2) | instid1(VALU_DEP_2)
	v_pk_fma_f32 v[10:11], v[4:5], v[0:1], v[8:9] op_sel:[0,0,1] op_sel_hi:[1,1,0] neg_lo:[0,0,1] neg_hi:[0,0,1]
	v_pk_fma_f32 v[4:5], v[4:5], v[0:1], v[8:9] op_sel:[0,0,1] op_sel_hi:[1,0,0]
	v_dual_mul_f32 v8, v7, v3 :: v_dual_mov_b32 v4, v7
	v_dual_mov_b32 v11, v5 :: v_dual_mov_b32 v5, v6
	s_delay_alu instid0(VALU_DEP_2) | instskip(SKIP_1) | instid1(VALU_DEP_3)
	v_pk_fma_f32 v[8:9], v[6:7], v[106:107], v[8:9] op_sel_hi:[1,1,0] neg_lo:[0,0,1] neg_hi:[0,0,1]
	v_mul_f32_e32 v6, v7, v0
	v_pk_add_f32 v[126:127], v[126:127], v[10:11] neg_lo:[0,1] neg_hi:[0,1]
	s_delay_alu instid0(VALU_DEP_2) | instskip(NEXT) | instid1(VALU_DEP_1)
	v_pk_fma_f32 v[4:5], v[4:5], v[106:107], v[6:7] op_sel_hi:[1,1,0]
	v_mov_b32_e32 v9, v5
	ds_load_2addr_b64 v[4:7], v26 offset0:32 offset1:33
	v_pk_add_f32 v[122:123], v[122:123], v[8:9] neg_lo:[0,1] neg_hi:[0,1]
	s_wait_dscnt 0x0
	v_pk_mul_f32 v[8:9], v[4:5], v[2:3] op_sel:[0,1]
	s_delay_alu instid0(VALU_DEP_1) | instskip(SKIP_1) | instid1(VALU_DEP_1)
	v_pk_fma_f32 v[10:11], v[4:5], v[0:1], v[8:9] op_sel:[0,0,1] op_sel_hi:[1,1,0] neg_lo:[0,0,1] neg_hi:[0,0,1]
	v_pk_fma_f32 v[4:5], v[4:5], v[0:1], v[8:9] op_sel:[0,0,1] op_sel_hi:[1,0,0]
	v_mov_b32_e32 v11, v5
	v_pk_mul_f32 v[4:5], v[6:7], v[2:3] op_sel:[0,1]
	s_delay_alu instid0(VALU_DEP_1) | instskip(SKIP_1) | instid1(VALU_DEP_1)
	v_pk_fma_f32 v[8:9], v[6:7], v[0:1], v[4:5] op_sel:[0,0,1] op_sel_hi:[1,1,0] neg_lo:[0,0,1] neg_hi:[0,0,1]
	v_pk_fma_f32 v[4:5], v[6:7], v[0:1], v[4:5] op_sel:[0,0,1] op_sel_hi:[1,0,0]
	v_mov_b32_e32 v9, v5
	ds_load_2addr_b64 v[4:7], v26 offset0:34 offset1:35
	v_pk_add_f32 v[144:145], v[144:145], v[10:11] neg_lo:[0,1] neg_hi:[0,1]
	v_pk_add_f32 v[140:141], v[140:141], v[8:9] neg_lo:[0,1] neg_hi:[0,1]
	s_wait_dscnt 0x0
	v_pk_mul_f32 v[8:9], v[4:5], v[2:3] op_sel:[0,1]
	s_delay_alu instid0(VALU_DEP_1) | instskip(SKIP_1) | instid1(VALU_DEP_1)
	v_pk_fma_f32 v[10:11], v[4:5], v[0:1], v[8:9] op_sel:[0,0,1] op_sel_hi:[1,1,0] neg_lo:[0,0,1] neg_hi:[0,0,1]
	v_pk_fma_f32 v[4:5], v[4:5], v[0:1], v[8:9] op_sel:[0,0,1] op_sel_hi:[1,0,0]
	v_mov_b32_e32 v11, v5
	v_pk_mul_f32 v[4:5], v[6:7], v[2:3] op_sel:[0,1]
	s_delay_alu instid0(VALU_DEP_1) | instskip(SKIP_1) | instid1(VALU_DEP_1)
	v_pk_fma_f32 v[8:9], v[6:7], v[0:1], v[4:5] op_sel:[0,0,1] op_sel_hi:[1,1,0] neg_lo:[0,0,1] neg_hi:[0,0,1]
	v_pk_fma_f32 v[4:5], v[6:7], v[0:1], v[4:5] op_sel:[0,0,1] op_sel_hi:[1,0,0]
	v_mov_b32_e32 v9, v5
	ds_load_2addr_b64 v[4:7], v26 offset0:36 offset1:37
	v_pk_add_f32 v[142:143], v[142:143], v[10:11] neg_lo:[0,1] neg_hi:[0,1]
	v_pk_add_f32 v[138:139], v[138:139], v[8:9] neg_lo:[0,1] neg_hi:[0,1]
	s_wait_dscnt 0x0
	v_dual_mul_f32 v8, v5, v3 :: v_dual_mul_f32 v10, v5, v0
	s_delay_alu instid0(VALU_DEP_1) | instskip(NEXT) | instid1(VALU_DEP_2)
	v_pk_fma_f32 v[8:9], v[4:5], v[106:107], v[8:9] op_sel_hi:[1,1,0] neg_lo:[0,0,1] neg_hi:[0,0,1]
	v_pk_fma_f32 v[4:5], v[4:5], v[106:107], v[10:11] op_sel:[1,0,0] op_sel_hi:[0,1,0]
	s_delay_alu instid0(VALU_DEP_1) | instskip(SKIP_1) | instid1(VALU_DEP_2)
	v_mov_b32_e32 v9, v5
	v_pk_mul_f32 v[4:5], v[6:7], v[2:3] op_sel:[0,1]
	v_pk_add_f32 v[162:163], v[162:163], v[8:9] neg_lo:[0,1] neg_hi:[0,1]
	s_delay_alu instid0(VALU_DEP_2) | instskip(SKIP_1) | instid1(VALU_DEP_1)
	v_pk_fma_f32 v[8:9], v[6:7], v[0:1], v[4:5] op_sel:[0,0,1] op_sel_hi:[1,1,0] neg_lo:[0,0,1] neg_hi:[0,0,1]
	v_pk_fma_f32 v[4:5], v[6:7], v[0:1], v[4:5] op_sel:[0,0,1] op_sel_hi:[1,0,0]
	v_mov_b32_e32 v9, v5
	ds_load_2addr_b64 v[4:7], v26 offset0:38 offset1:39
	v_pk_add_f32 v[158:159], v[158:159], v[8:9] neg_lo:[0,1] neg_hi:[0,1]
	s_wait_dscnt 0x0
	v_pk_mul_f32 v[8:9], v[4:5], v[2:3] op_sel:[0,1]
	s_delay_alu instid0(VALU_DEP_1) | instskip(SKIP_1) | instid1(VALU_DEP_1)
	v_pk_fma_f32 v[10:11], v[4:5], v[0:1], v[8:9] op_sel:[0,0,1] op_sel_hi:[1,1,0] neg_lo:[0,0,1] neg_hi:[0,0,1]
	v_pk_fma_f32 v[4:5], v[4:5], v[0:1], v[8:9] op_sel:[0,0,1] op_sel_hi:[1,0,0]
	v_mov_b32_e32 v11, v5
	v_pk_mul_f32 v[4:5], v[6:7], v[2:3] op_sel:[0,1]
	s_delay_alu instid0(VALU_DEP_2) | instskip(NEXT) | instid1(VALU_DEP_2)
	v_pk_add_f32 v[160:161], v[160:161], v[10:11] neg_lo:[0,1] neg_hi:[0,1]
	v_pk_fma_f32 v[8:9], v[6:7], v[0:1], v[4:5] op_sel:[0,0,1] op_sel_hi:[1,1,0] neg_lo:[0,0,1] neg_hi:[0,0,1]
	v_pk_fma_f32 v[4:5], v[6:7], v[0:1], v[4:5] op_sel:[0,0,1] op_sel_hi:[1,0,0]
	s_delay_alu instid0(VALU_DEP_1) | instskip(SKIP_4) | instid1(VALU_DEP_1)
	v_mov_b32_e32 v9, v5
	ds_load_2addr_b64 v[4:7], v26 offset0:40 offset1:41
	v_pk_add_f32 v[156:157], v[156:157], v[8:9] neg_lo:[0,1] neg_hi:[0,1]
	s_wait_dscnt 0x0
	v_pk_mul_f32 v[8:9], v[4:5], v[2:3] op_sel:[0,1]
	v_pk_fma_f32 v[10:11], v[4:5], v[0:1], v[8:9] op_sel:[0,0,1] op_sel_hi:[1,1,0] neg_lo:[0,0,1] neg_hi:[0,0,1]
	v_pk_fma_f32 v[4:5], v[4:5], v[0:1], v[8:9] op_sel:[0,0,1] op_sel_hi:[1,0,0]
	v_dual_mul_f32 v8, v7, v3 :: v_dual_mov_b32 v4, v7
	s_delay_alu instid0(VALU_DEP_2) | instskip(NEXT) | instid1(VALU_DEP_2)
	v_dual_mov_b32 v11, v5 :: v_dual_mov_b32 v5, v6
	v_pk_fma_f32 v[8:9], v[6:7], v[106:107], v[8:9] op_sel_hi:[1,1,0] neg_lo:[0,0,1] neg_hi:[0,0,1]
	v_mul_f32_e32 v6, v7, v0
	s_delay_alu instid0(VALU_DEP_3) | instskip(NEXT) | instid1(VALU_DEP_2)
	v_pk_add_f32 v[178:179], v[178:179], v[10:11] neg_lo:[0,1] neg_hi:[0,1]
	v_pk_fma_f32 v[4:5], v[4:5], v[106:107], v[6:7] op_sel_hi:[1,1,0]
	s_delay_alu instid0(VALU_DEP_1) | instskip(SKIP_4) | instid1(VALU_DEP_1)
	v_mov_b32_e32 v9, v5
	ds_load_2addr_b64 v[4:7], v26 offset0:42 offset1:43
	v_pk_add_f32 v[174:175], v[174:175], v[8:9] neg_lo:[0,1] neg_hi:[0,1]
	s_wait_dscnt 0x0
	v_pk_mul_f32 v[8:9], v[4:5], v[2:3] op_sel:[0,1]
	v_pk_fma_f32 v[10:11], v[4:5], v[0:1], v[8:9] op_sel:[0,0,1] op_sel_hi:[1,1,0] neg_lo:[0,0,1] neg_hi:[0,0,1]
	v_pk_fma_f32 v[4:5], v[4:5], v[0:1], v[8:9] op_sel:[0,0,1] op_sel_hi:[1,0,0]
	s_delay_alu instid0(VALU_DEP_1) | instskip(SKIP_1) | instid1(VALU_DEP_1)
	v_mov_b32_e32 v11, v5
	v_pk_mul_f32 v[4:5], v[6:7], v[2:3] op_sel:[0,1]
	v_pk_fma_f32 v[8:9], v[6:7], v[0:1], v[4:5] op_sel:[0,0,1] op_sel_hi:[1,1,0] neg_lo:[0,0,1] neg_hi:[0,0,1]
	v_pk_fma_f32 v[4:5], v[6:7], v[0:1], v[4:5] op_sel:[0,0,1] op_sel_hi:[1,0,0]
	s_delay_alu instid0(VALU_DEP_1)
	v_mov_b32_e32 v9, v5
	ds_load_2addr_b64 v[4:7], v26 offset0:44 offset1:45
	v_pk_add_f32 v[176:177], v[176:177], v[10:11] neg_lo:[0,1] neg_hi:[0,1]
	v_pk_add_f32 v[172:173], v[172:173], v[8:9] neg_lo:[0,1] neg_hi:[0,1]
	s_wait_dscnt 0x0
	v_pk_mul_f32 v[8:9], v[4:5], v[2:3] op_sel:[0,1]
	v_mul_f32_e32 v2, v7, v3
	s_delay_alu instid0(VALU_DEP_2) | instskip(SKIP_2) | instid1(VALU_DEP_4)
	v_pk_fma_f32 v[10:11], v[4:5], v[0:1], v[8:9] op_sel:[0,0,1] op_sel_hi:[1,1,0] neg_lo:[0,0,1] neg_hi:[0,0,1]
	v_pk_fma_f32 v[4:5], v[4:5], v[0:1], v[8:9] op_sel:[0,0,1] op_sel_hi:[1,0,0]
	v_dual_mov_b32 v4, v7 :: v_dual_mul_f32 v0, v7, v0
	v_pk_fma_f32 v[2:3], v[6:7], v[106:107], v[2:3] op_sel_hi:[1,1,0] neg_lo:[0,0,1] neg_hi:[0,0,1]
	s_delay_alu instid0(VALU_DEP_3) | instskip(NEXT) | instid1(VALU_DEP_1)
	v_dual_mov_b32 v11, v5 :: v_dual_mov_b32 v5, v6
	v_pk_add_f32 v[180:181], v[180:181], v[10:11] neg_lo:[0,1] neg_hi:[0,1]
	s_delay_alu instid0(VALU_DEP_2) | instskip(NEXT) | instid1(VALU_DEP_1)
	v_pk_fma_f32 v[0:1], v[4:5], v[106:107], v[0:1] op_sel_hi:[1,1,0]
	v_mov_b32_e32 v3, v1
	s_delay_alu instid0(VALU_DEP_1)
	v_pk_add_f32 v[184:185], v[184:185], v[2:3] neg_lo:[0,1] neg_hi:[0,1]
.LBB91_253:
	s_or_b32 exec_lo, exec_lo, s1
	s_delay_alu instid0(SALU_CYCLE_1)
	s_mov_b32 s2, exec_lo
	s_wait_dscnt 0x0
	s_barrier_signal -1
	s_barrier_wait -1
	v_cmpx_eq_u32_e32 28, v34
	s_cbranch_execz .LBB91_260
; %bb.254:
	ds_store_b64 v35, v[128:129]
	ds_store_2addr_b64 v26, v[124:125], v[126:127] offset0:29 offset1:30
	ds_store_2addr_b64 v26, v[122:123], v[144:145] offset0:31 offset1:32
	;; [unrolled: 1-line block ×8, first 2 shown]
	ds_store_b64 v26, v[184:185] offset:360
	ds_load_b64 v[0:1], v35
	s_wait_dscnt 0x0
	v_cmp_neq_f32_e32 vcc_lo, 0, v0
	v_cmp_neq_f32_e64 s1, 0, v1
	s_or_b32 s1, vcc_lo, s1
	s_delay_alu instid0(SALU_CYCLE_1)
	s_and_b32 exec_lo, exec_lo, s1
	s_cbranch_execz .LBB91_260
; %bb.255:
	v_cmp_ngt_f32_e64 s1, |v0|, |v1|
                                        ; implicit-def: $vgpr2_vgpr3
	s_and_saveexec_b32 s4, s1
	s_delay_alu instid0(SALU_CYCLE_1)
	s_xor_b32 s1, exec_lo, s4
	s_cbranch_execz .LBB91_257
; %bb.256:
	v_div_scale_f32 v2, null, v1, v1, v0
	v_div_scale_f32 v5, vcc_lo, v0, v1, v0
	s_delay_alu instid0(VALU_DEP_2) | instskip(SKIP_1) | instid1(TRANS32_DEP_1)
	v_rcp_f32_e32 v3, v2
	v_nop
	v_fma_f32 v4, -v2, v3, 1.0
	s_delay_alu instid0(VALU_DEP_1) | instskip(NEXT) | instid1(VALU_DEP_1)
	v_fmac_f32_e32 v3, v4, v3
	v_mul_f32_e32 v4, v5, v3
	s_delay_alu instid0(VALU_DEP_1) | instskip(NEXT) | instid1(VALU_DEP_1)
	v_fma_f32 v6, -v2, v4, v5
	v_fmac_f32_e32 v4, v6, v3
	s_delay_alu instid0(VALU_DEP_1) | instskip(NEXT) | instid1(VALU_DEP_1)
	v_fma_f32 v2, -v2, v4, v5
	v_div_fmas_f32 v2, v2, v3, v4
	s_delay_alu instid0(VALU_DEP_1) | instskip(NEXT) | instid1(VALU_DEP_1)
	v_div_fixup_f32 v2, v2, v1, v0
	v_fmac_f32_e32 v1, v0, v2
	s_delay_alu instid0(VALU_DEP_1) | instskip(SKIP_1) | instid1(VALU_DEP_2)
	v_div_scale_f32 v0, null, v1, v1, 1.0
	v_div_scale_f32 v5, vcc_lo, 1.0, v1, 1.0
	v_rcp_f32_e32 v3, v0
	v_nop
	s_delay_alu instid0(TRANS32_DEP_1) | instskip(NEXT) | instid1(VALU_DEP_1)
	v_fma_f32 v4, -v0, v3, 1.0
	v_fmac_f32_e32 v3, v4, v3
	s_delay_alu instid0(VALU_DEP_1) | instskip(NEXT) | instid1(VALU_DEP_1)
	v_mul_f32_e32 v4, v5, v3
	v_fma_f32 v6, -v0, v4, v5
	s_delay_alu instid0(VALU_DEP_1) | instskip(NEXT) | instid1(VALU_DEP_1)
	v_fmac_f32_e32 v4, v6, v3
	v_fma_f32 v0, -v0, v4, v5
	s_delay_alu instid0(VALU_DEP_1) | instskip(NEXT) | instid1(VALU_DEP_1)
	v_div_fmas_f32 v0, v0, v3, v4
	v_div_fixup_f32 v0, v0, v1, 1.0
	s_delay_alu instid0(VALU_DEP_1)
	v_mul_f32_e32 v2, v2, v0
	v_xor_b32_e32 v3, 0x80000000, v0
                                        ; implicit-def: $vgpr0_vgpr1
.LBB91_257:
	s_and_not1_saveexec_b32 s1, s1
	s_cbranch_execz .LBB91_259
; %bb.258:
	v_div_scale_f32 v2, null, v0, v0, v1
	v_div_scale_f32 v5, vcc_lo, v1, v0, v1
	s_delay_alu instid0(VALU_DEP_2) | instskip(SKIP_1) | instid1(TRANS32_DEP_1)
	v_rcp_f32_e32 v3, v2
	v_nop
	v_fma_f32 v4, -v2, v3, 1.0
	s_delay_alu instid0(VALU_DEP_1) | instskip(NEXT) | instid1(VALU_DEP_1)
	v_fmac_f32_e32 v3, v4, v3
	v_mul_f32_e32 v4, v5, v3
	s_delay_alu instid0(VALU_DEP_1) | instskip(NEXT) | instid1(VALU_DEP_1)
	v_fma_f32 v6, -v2, v4, v5
	v_fmac_f32_e32 v4, v6, v3
	s_delay_alu instid0(VALU_DEP_1) | instskip(NEXT) | instid1(VALU_DEP_1)
	v_fma_f32 v2, -v2, v4, v5
	v_div_fmas_f32 v2, v2, v3, v4
	s_delay_alu instid0(VALU_DEP_1) | instskip(NEXT) | instid1(VALU_DEP_1)
	v_div_fixup_f32 v3, v2, v0, v1
	v_fmac_f32_e32 v0, v1, v3
	s_delay_alu instid0(VALU_DEP_1) | instskip(NEXT) | instid1(VALU_DEP_1)
	v_div_scale_f32 v1, null, v0, v0, 1.0
	v_rcp_f32_e32 v2, v1
	v_nop
	s_delay_alu instid0(TRANS32_DEP_1) | instskip(NEXT) | instid1(VALU_DEP_1)
	v_fma_f32 v4, -v1, v2, 1.0
	v_fmac_f32_e32 v2, v4, v2
	v_div_scale_f32 v4, vcc_lo, 1.0, v0, 1.0
	s_delay_alu instid0(VALU_DEP_1) | instskip(NEXT) | instid1(VALU_DEP_1)
	v_mul_f32_e32 v5, v4, v2
	v_fma_f32 v6, -v1, v5, v4
	s_delay_alu instid0(VALU_DEP_1) | instskip(NEXT) | instid1(VALU_DEP_1)
	v_fmac_f32_e32 v5, v6, v2
	v_fma_f32 v1, -v1, v5, v4
	s_delay_alu instid0(VALU_DEP_1) | instskip(NEXT) | instid1(VALU_DEP_1)
	v_div_fmas_f32 v1, v1, v2, v5
	v_div_fixup_f32 v2, v1, v0, 1.0
	s_delay_alu instid0(VALU_DEP_1)
	v_mul_f32_e64 v3, v3, -v2
.LBB91_259:
	s_or_b32 exec_lo, exec_lo, s1
	ds_store_b64 v35, v[2:3]
.LBB91_260:
	s_or_b32 exec_lo, exec_lo, s2
	s_wait_dscnt 0x0
	s_barrier_signal -1
	s_barrier_wait -1
	ds_load_b64 v[242:243], v35
	s_mov_b32 s1, exec_lo
	v_cmpx_lt_u32_e32 28, v34
	s_cbranch_execz .LBB91_262
; %bb.261:
	ds_load_2addr_b64 v[4:7], v26 offset0:29 offset1:30
	s_wait_dscnt 0x1
	v_pk_mul_f32 v[2:3], v[242:243], v[128:129] op_sel:[1,1] op_sel_hi:[0,1]
	s_delay_alu instid0(VALU_DEP_1) | instskip(SKIP_1) | instid1(VALU_DEP_1)
	v_pk_fma_f32 v[0:1], v[242:243], v[128:129], v[2:3] op_sel_hi:[1,0,1] neg_lo:[0,0,1] neg_hi:[0,0,1]
	v_pk_fma_f32 v[2:3], v[242:243], v[128:129], v[2:3] op_sel_hi:[1,0,1]
	v_dual_mov_b32 v128, v0 :: v_dual_mov_b32 v129, v3
	s_wait_dscnt 0x0
	s_delay_alu instid0(VALU_DEP_2) | instskip(NEXT) | instid1(VALU_DEP_1)
	v_pk_mul_f32 v[8:9], v[4:5], v[2:3] op_sel:[0,1]
	v_pk_fma_f32 v[10:11], v[4:5], v[0:1], v[8:9] op_sel:[0,0,1] op_sel_hi:[1,1,0] neg_lo:[0,0,1] neg_hi:[0,0,1]
	v_pk_fma_f32 v[4:5], v[4:5], v[0:1], v[8:9] op_sel:[0,0,1] op_sel_hi:[1,0,0]
	s_delay_alu instid0(VALU_DEP_1) | instskip(SKIP_1) | instid1(VALU_DEP_1)
	v_mov_b32_e32 v11, v5
	v_pk_mul_f32 v[4:5], v[6:7], v[2:3] op_sel:[0,1]
	v_pk_fma_f32 v[8:9], v[6:7], v[0:1], v[4:5] op_sel:[0,0,1] op_sel_hi:[1,1,0] neg_lo:[0,0,1] neg_hi:[0,0,1]
	v_pk_fma_f32 v[4:5], v[6:7], v[0:1], v[4:5] op_sel:[0,0,1] op_sel_hi:[1,0,0]
	s_delay_alu instid0(VALU_DEP_1)
	v_mov_b32_e32 v9, v5
	ds_load_2addr_b64 v[4:7], v26 offset0:31 offset1:32
	v_pk_add_f32 v[124:125], v[124:125], v[10:11] neg_lo:[0,1] neg_hi:[0,1]
	v_pk_add_f32 v[126:127], v[126:127], v[8:9] neg_lo:[0,1] neg_hi:[0,1]
	s_wait_dscnt 0x0
	v_pk_mul_f32 v[8:9], v[4:5], v[2:3] op_sel:[0,1]
	s_delay_alu instid0(VALU_DEP_1) | instskip(SKIP_2) | instid1(VALU_DEP_2)
	v_pk_fma_f32 v[10:11], v[4:5], v[0:1], v[8:9] op_sel:[0,0,1] op_sel_hi:[1,1,0] neg_lo:[0,0,1] neg_hi:[0,0,1]
	v_pk_fma_f32 v[4:5], v[4:5], v[0:1], v[8:9] op_sel:[0,0,1] op_sel_hi:[1,0,0]
	v_dual_mul_f32 v8, v7, v3 :: v_dual_mov_b32 v4, v7
	v_dual_mov_b32 v11, v5 :: v_dual_mov_b32 v5, v6
	s_delay_alu instid0(VALU_DEP_2) | instskip(SKIP_1) | instid1(VALU_DEP_3)
	v_pk_fma_f32 v[8:9], v[6:7], v[128:129], v[8:9] op_sel_hi:[1,1,0] neg_lo:[0,0,1] neg_hi:[0,0,1]
	v_mul_f32_e32 v6, v7, v0
	v_pk_add_f32 v[122:123], v[122:123], v[10:11] neg_lo:[0,1] neg_hi:[0,1]
	s_delay_alu instid0(VALU_DEP_2) | instskip(NEXT) | instid1(VALU_DEP_1)
	v_pk_fma_f32 v[4:5], v[4:5], v[128:129], v[6:7] op_sel_hi:[1,1,0]
	v_mov_b32_e32 v9, v5
	ds_load_2addr_b64 v[4:7], v26 offset0:33 offset1:34
	v_pk_add_f32 v[144:145], v[144:145], v[8:9] neg_lo:[0,1] neg_hi:[0,1]
	s_wait_dscnt 0x0
	v_pk_mul_f32 v[8:9], v[4:5], v[2:3] op_sel:[0,1]
	s_delay_alu instid0(VALU_DEP_1) | instskip(SKIP_1) | instid1(VALU_DEP_1)
	v_pk_fma_f32 v[10:11], v[4:5], v[0:1], v[8:9] op_sel:[0,0,1] op_sel_hi:[1,1,0] neg_lo:[0,0,1] neg_hi:[0,0,1]
	v_pk_fma_f32 v[4:5], v[4:5], v[0:1], v[8:9] op_sel:[0,0,1] op_sel_hi:[1,0,0]
	v_mov_b32_e32 v11, v5
	v_pk_mul_f32 v[4:5], v[6:7], v[2:3] op_sel:[0,1]
	s_delay_alu instid0(VALU_DEP_1) | instskip(SKIP_1) | instid1(VALU_DEP_1)
	v_pk_fma_f32 v[8:9], v[6:7], v[0:1], v[4:5] op_sel:[0,0,1] op_sel_hi:[1,1,0] neg_lo:[0,0,1] neg_hi:[0,0,1]
	v_pk_fma_f32 v[4:5], v[6:7], v[0:1], v[4:5] op_sel:[0,0,1] op_sel_hi:[1,0,0]
	v_mov_b32_e32 v9, v5
	ds_load_2addr_b64 v[4:7], v26 offset0:35 offset1:36
	v_pk_add_f32 v[140:141], v[140:141], v[10:11] neg_lo:[0,1] neg_hi:[0,1]
	v_pk_add_f32 v[142:143], v[142:143], v[8:9] neg_lo:[0,1] neg_hi:[0,1]
	s_wait_dscnt 0x0
	v_pk_mul_f32 v[8:9], v[4:5], v[2:3] op_sel:[0,1]
	s_delay_alu instid0(VALU_DEP_1) | instskip(SKIP_1) | instid1(VALU_DEP_1)
	v_pk_fma_f32 v[10:11], v[4:5], v[0:1], v[8:9] op_sel:[0,0,1] op_sel_hi:[1,1,0] neg_lo:[0,0,1] neg_hi:[0,0,1]
	v_pk_fma_f32 v[4:5], v[4:5], v[0:1], v[8:9] op_sel:[0,0,1] op_sel_hi:[1,0,0]
	v_mov_b32_e32 v11, v5
	v_pk_mul_f32 v[4:5], v[6:7], v[2:3] op_sel:[0,1]
	s_delay_alu instid0(VALU_DEP_1) | instskip(SKIP_1) | instid1(VALU_DEP_1)
	v_pk_fma_f32 v[8:9], v[6:7], v[0:1], v[4:5] op_sel:[0,0,1] op_sel_hi:[1,1,0] neg_lo:[0,0,1] neg_hi:[0,0,1]
	v_pk_fma_f32 v[4:5], v[6:7], v[0:1], v[4:5] op_sel:[0,0,1] op_sel_hi:[1,0,0]
	v_mov_b32_e32 v9, v5
	ds_load_2addr_b64 v[4:7], v26 offset0:37 offset1:38
	v_pk_add_f32 v[138:139], v[138:139], v[10:11] neg_lo:[0,1] neg_hi:[0,1]
	v_pk_add_f32 v[162:163], v[162:163], v[8:9] neg_lo:[0,1] neg_hi:[0,1]
	s_wait_dscnt 0x0
	v_dual_mul_f32 v8, v5, v3 :: v_dual_mul_f32 v10, v5, v0
	s_delay_alu instid0(VALU_DEP_1) | instskip(NEXT) | instid1(VALU_DEP_2)
	v_pk_fma_f32 v[8:9], v[4:5], v[128:129], v[8:9] op_sel_hi:[1,1,0] neg_lo:[0,0,1] neg_hi:[0,0,1]
	v_pk_fma_f32 v[4:5], v[4:5], v[128:129], v[10:11] op_sel:[1,0,0] op_sel_hi:[0,1,0]
	s_delay_alu instid0(VALU_DEP_1) | instskip(SKIP_1) | instid1(VALU_DEP_2)
	v_mov_b32_e32 v9, v5
	v_pk_mul_f32 v[4:5], v[6:7], v[2:3] op_sel:[0,1]
	v_pk_add_f32 v[158:159], v[158:159], v[8:9] neg_lo:[0,1] neg_hi:[0,1]
	s_delay_alu instid0(VALU_DEP_2) | instskip(SKIP_1) | instid1(VALU_DEP_1)
	v_pk_fma_f32 v[8:9], v[6:7], v[0:1], v[4:5] op_sel:[0,0,1] op_sel_hi:[1,1,0] neg_lo:[0,0,1] neg_hi:[0,0,1]
	v_pk_fma_f32 v[4:5], v[6:7], v[0:1], v[4:5] op_sel:[0,0,1] op_sel_hi:[1,0,0]
	v_mov_b32_e32 v9, v5
	ds_load_2addr_b64 v[4:7], v26 offset0:39 offset1:40
	v_pk_add_f32 v[160:161], v[160:161], v[8:9] neg_lo:[0,1] neg_hi:[0,1]
	s_wait_dscnt 0x0
	v_pk_mul_f32 v[8:9], v[4:5], v[2:3] op_sel:[0,1]
	s_delay_alu instid0(VALU_DEP_1) | instskip(SKIP_1) | instid1(VALU_DEP_1)
	v_pk_fma_f32 v[10:11], v[4:5], v[0:1], v[8:9] op_sel:[0,0,1] op_sel_hi:[1,1,0] neg_lo:[0,0,1] neg_hi:[0,0,1]
	v_pk_fma_f32 v[4:5], v[4:5], v[0:1], v[8:9] op_sel:[0,0,1] op_sel_hi:[1,0,0]
	v_mov_b32_e32 v11, v5
	v_pk_mul_f32 v[4:5], v[6:7], v[2:3] op_sel:[0,1]
	s_delay_alu instid0(VALU_DEP_2) | instskip(NEXT) | instid1(VALU_DEP_2)
	v_pk_add_f32 v[156:157], v[156:157], v[10:11] neg_lo:[0,1] neg_hi:[0,1]
	v_pk_fma_f32 v[8:9], v[6:7], v[0:1], v[4:5] op_sel:[0,0,1] op_sel_hi:[1,1,0] neg_lo:[0,0,1] neg_hi:[0,0,1]
	v_pk_fma_f32 v[4:5], v[6:7], v[0:1], v[4:5] op_sel:[0,0,1] op_sel_hi:[1,0,0]
	s_delay_alu instid0(VALU_DEP_1) | instskip(SKIP_4) | instid1(VALU_DEP_1)
	v_mov_b32_e32 v9, v5
	ds_load_2addr_b64 v[4:7], v26 offset0:41 offset1:42
	v_pk_add_f32 v[178:179], v[178:179], v[8:9] neg_lo:[0,1] neg_hi:[0,1]
	s_wait_dscnt 0x0
	v_pk_mul_f32 v[8:9], v[4:5], v[2:3] op_sel:[0,1]
	v_pk_fma_f32 v[10:11], v[4:5], v[0:1], v[8:9] op_sel:[0,0,1] op_sel_hi:[1,1,0] neg_lo:[0,0,1] neg_hi:[0,0,1]
	v_pk_fma_f32 v[4:5], v[4:5], v[0:1], v[8:9] op_sel:[0,0,1] op_sel_hi:[1,0,0]
	v_dual_mul_f32 v8, v7, v3 :: v_dual_mov_b32 v4, v7
	s_delay_alu instid0(VALU_DEP_2) | instskip(NEXT) | instid1(VALU_DEP_2)
	v_dual_mov_b32 v11, v5 :: v_dual_mov_b32 v5, v6
	v_pk_fma_f32 v[8:9], v[6:7], v[128:129], v[8:9] op_sel_hi:[1,1,0] neg_lo:[0,0,1] neg_hi:[0,0,1]
	v_mul_f32_e32 v6, v7, v0
	s_delay_alu instid0(VALU_DEP_3) | instskip(NEXT) | instid1(VALU_DEP_2)
	v_pk_add_f32 v[174:175], v[174:175], v[10:11] neg_lo:[0,1] neg_hi:[0,1]
	v_pk_fma_f32 v[4:5], v[4:5], v[128:129], v[6:7] op_sel_hi:[1,1,0]
	s_delay_alu instid0(VALU_DEP_1) | instskip(SKIP_4) | instid1(VALU_DEP_1)
	v_mov_b32_e32 v9, v5
	ds_load_2addr_b64 v[4:7], v26 offset0:43 offset1:44
	v_pk_add_f32 v[176:177], v[176:177], v[8:9] neg_lo:[0,1] neg_hi:[0,1]
	s_wait_dscnt 0x0
	v_pk_mul_f32 v[8:9], v[4:5], v[2:3] op_sel:[0,1]
	v_pk_fma_f32 v[10:11], v[4:5], v[0:1], v[8:9] op_sel:[0,0,1] op_sel_hi:[1,1,0] neg_lo:[0,0,1] neg_hi:[0,0,1]
	v_pk_fma_f32 v[4:5], v[4:5], v[0:1], v[8:9] op_sel:[0,0,1] op_sel_hi:[1,0,0]
	s_delay_alu instid0(VALU_DEP_1) | instskip(SKIP_1) | instid1(VALU_DEP_1)
	v_mov_b32_e32 v11, v5
	v_pk_mul_f32 v[4:5], v[6:7], v[2:3] op_sel:[0,1]
	v_pk_fma_f32 v[8:9], v[6:7], v[0:1], v[4:5] op_sel:[0,0,1] op_sel_hi:[1,1,0] neg_lo:[0,0,1] neg_hi:[0,0,1]
	v_pk_fma_f32 v[4:5], v[6:7], v[0:1], v[4:5] op_sel:[0,0,1] op_sel_hi:[1,0,0]
	s_delay_alu instid0(VALU_DEP_1)
	v_mov_b32_e32 v9, v5
	ds_load_b64 v[4:5], v26 offset:360
	v_pk_add_f32 v[172:173], v[172:173], v[10:11] neg_lo:[0,1] neg_hi:[0,1]
	v_pk_add_f32 v[180:181], v[180:181], v[8:9] neg_lo:[0,1] neg_hi:[0,1]
	s_wait_dscnt 0x0
	v_pk_mul_f32 v[2:3], v[4:5], v[2:3] op_sel:[0,1]
	s_delay_alu instid0(VALU_DEP_1) | instskip(SKIP_1) | instid1(VALU_DEP_1)
	v_pk_fma_f32 v[6:7], v[4:5], v[0:1], v[2:3] op_sel:[0,0,1] op_sel_hi:[1,1,0] neg_lo:[0,0,1] neg_hi:[0,0,1]
	v_pk_fma_f32 v[0:1], v[4:5], v[0:1], v[2:3] op_sel:[0,0,1] op_sel_hi:[1,0,0]
	v_mov_b32_e32 v7, v1
	s_delay_alu instid0(VALU_DEP_1)
	v_pk_add_f32 v[184:185], v[184:185], v[6:7] neg_lo:[0,1] neg_hi:[0,1]
.LBB91_262:
	s_or_b32 exec_lo, exec_lo, s1
	s_delay_alu instid0(SALU_CYCLE_1)
	s_mov_b32 s2, exec_lo
	s_wait_dscnt 0x0
	s_barrier_signal -1
	s_barrier_wait -1
	v_cmpx_eq_u32_e32 29, v34
	s_cbranch_execz .LBB91_269
; %bb.263:
	v_dual_mov_b32 v0, v126 :: v_dual_mov_b32 v1, v127
	v_dual_mov_b32 v2, v122 :: v_dual_mov_b32 v3, v123
	ds_store_b64 v35, v[124:125]
	ds_store_2addr_b64 v26, v[0:1], v[2:3] offset0:30 offset1:31
	v_dual_mov_b32 v0, v144 :: v_dual_mov_b32 v1, v145
	v_dual_mov_b32 v2, v140 :: v_dual_mov_b32 v3, v141
	ds_store_2addr_b64 v26, v[0:1], v[2:3] offset0:32 offset1:33
	v_dual_mov_b32 v0, v142 :: v_dual_mov_b32 v1, v143
	v_dual_mov_b32 v2, v138 :: v_dual_mov_b32 v3, v139
	;; [unrolled: 3-line block ×6, first 2 shown]
	ds_store_2addr_b64 v26, v[0:1], v[2:3] offset0:42 offset1:43
	v_dual_mov_b32 v0, v180 :: v_dual_mov_b32 v1, v181
	ds_store_2addr_b64 v26, v[0:1], v[184:185] offset0:44 offset1:45
	ds_load_b64 v[0:1], v35
	s_wait_dscnt 0x0
	v_cmp_neq_f32_e32 vcc_lo, 0, v0
	v_cmp_neq_f32_e64 s1, 0, v1
	s_or_b32 s1, vcc_lo, s1
	s_delay_alu instid0(SALU_CYCLE_1)
	s_and_b32 exec_lo, exec_lo, s1
	s_cbranch_execz .LBB91_269
; %bb.264:
	v_cmp_ngt_f32_e64 s1, |v0|, |v1|
                                        ; implicit-def: $vgpr2_vgpr3
	s_and_saveexec_b32 s4, s1
	s_delay_alu instid0(SALU_CYCLE_1)
	s_xor_b32 s1, exec_lo, s4
	s_cbranch_execz .LBB91_266
; %bb.265:
	v_div_scale_f32 v2, null, v1, v1, v0
	v_div_scale_f32 v5, vcc_lo, v0, v1, v0
	s_delay_alu instid0(VALU_DEP_2) | instskip(SKIP_1) | instid1(TRANS32_DEP_1)
	v_rcp_f32_e32 v3, v2
	v_nop
	v_fma_f32 v4, -v2, v3, 1.0
	s_delay_alu instid0(VALU_DEP_1) | instskip(NEXT) | instid1(VALU_DEP_1)
	v_fmac_f32_e32 v3, v4, v3
	v_mul_f32_e32 v4, v5, v3
	s_delay_alu instid0(VALU_DEP_1) | instskip(NEXT) | instid1(VALU_DEP_1)
	v_fma_f32 v6, -v2, v4, v5
	v_fmac_f32_e32 v4, v6, v3
	s_delay_alu instid0(VALU_DEP_1) | instskip(NEXT) | instid1(VALU_DEP_1)
	v_fma_f32 v2, -v2, v4, v5
	v_div_fmas_f32 v2, v2, v3, v4
	s_delay_alu instid0(VALU_DEP_1) | instskip(NEXT) | instid1(VALU_DEP_1)
	v_div_fixup_f32 v2, v2, v1, v0
	v_fmac_f32_e32 v1, v0, v2
	s_delay_alu instid0(VALU_DEP_1) | instskip(SKIP_1) | instid1(VALU_DEP_2)
	v_div_scale_f32 v0, null, v1, v1, 1.0
	v_div_scale_f32 v5, vcc_lo, 1.0, v1, 1.0
	v_rcp_f32_e32 v3, v0
	v_nop
	s_delay_alu instid0(TRANS32_DEP_1) | instskip(NEXT) | instid1(VALU_DEP_1)
	v_fma_f32 v4, -v0, v3, 1.0
	v_fmac_f32_e32 v3, v4, v3
	s_delay_alu instid0(VALU_DEP_1) | instskip(NEXT) | instid1(VALU_DEP_1)
	v_mul_f32_e32 v4, v5, v3
	v_fma_f32 v6, -v0, v4, v5
	s_delay_alu instid0(VALU_DEP_1) | instskip(NEXT) | instid1(VALU_DEP_1)
	v_fmac_f32_e32 v4, v6, v3
	v_fma_f32 v0, -v0, v4, v5
	s_delay_alu instid0(VALU_DEP_1) | instskip(NEXT) | instid1(VALU_DEP_1)
	v_div_fmas_f32 v0, v0, v3, v4
	v_div_fixup_f32 v0, v0, v1, 1.0
	s_delay_alu instid0(VALU_DEP_1)
	v_mul_f32_e32 v2, v2, v0
	v_xor_b32_e32 v3, 0x80000000, v0
                                        ; implicit-def: $vgpr0_vgpr1
.LBB91_266:
	s_and_not1_saveexec_b32 s1, s1
	s_cbranch_execz .LBB91_268
; %bb.267:
	v_div_scale_f32 v2, null, v0, v0, v1
	v_div_scale_f32 v5, vcc_lo, v1, v0, v1
	s_delay_alu instid0(VALU_DEP_2) | instskip(SKIP_1) | instid1(TRANS32_DEP_1)
	v_rcp_f32_e32 v3, v2
	v_nop
	v_fma_f32 v4, -v2, v3, 1.0
	s_delay_alu instid0(VALU_DEP_1) | instskip(NEXT) | instid1(VALU_DEP_1)
	v_fmac_f32_e32 v3, v4, v3
	v_mul_f32_e32 v4, v5, v3
	s_delay_alu instid0(VALU_DEP_1) | instskip(NEXT) | instid1(VALU_DEP_1)
	v_fma_f32 v6, -v2, v4, v5
	v_fmac_f32_e32 v4, v6, v3
	s_delay_alu instid0(VALU_DEP_1) | instskip(NEXT) | instid1(VALU_DEP_1)
	v_fma_f32 v2, -v2, v4, v5
	v_div_fmas_f32 v2, v2, v3, v4
	s_delay_alu instid0(VALU_DEP_1) | instskip(NEXT) | instid1(VALU_DEP_1)
	v_div_fixup_f32 v3, v2, v0, v1
	v_fmac_f32_e32 v0, v1, v3
	s_delay_alu instid0(VALU_DEP_1) | instskip(NEXT) | instid1(VALU_DEP_1)
	v_div_scale_f32 v1, null, v0, v0, 1.0
	v_rcp_f32_e32 v2, v1
	v_nop
	s_delay_alu instid0(TRANS32_DEP_1) | instskip(NEXT) | instid1(VALU_DEP_1)
	v_fma_f32 v4, -v1, v2, 1.0
	v_fmac_f32_e32 v2, v4, v2
	v_div_scale_f32 v4, vcc_lo, 1.0, v0, 1.0
	s_delay_alu instid0(VALU_DEP_1) | instskip(NEXT) | instid1(VALU_DEP_1)
	v_mul_f32_e32 v5, v4, v2
	v_fma_f32 v6, -v1, v5, v4
	s_delay_alu instid0(VALU_DEP_1) | instskip(NEXT) | instid1(VALU_DEP_1)
	v_fmac_f32_e32 v5, v6, v2
	v_fma_f32 v1, -v1, v5, v4
	s_delay_alu instid0(VALU_DEP_1) | instskip(NEXT) | instid1(VALU_DEP_1)
	v_div_fmas_f32 v1, v1, v2, v5
	v_div_fixup_f32 v2, v1, v0, 1.0
	s_delay_alu instid0(VALU_DEP_1)
	v_mul_f32_e64 v3, v3, -v2
.LBB91_268:
	s_or_b32 exec_lo, exec_lo, s1
	ds_store_b64 v35, v[2:3]
.LBB91_269:
	s_or_b32 exec_lo, exec_lo, s2
	s_wait_dscnt 0x0
	s_barrier_signal -1
	s_barrier_wait -1
	ds_load_b64 v[244:245], v35
	s_mov_b32 s1, exec_lo
	v_cmpx_lt_u32_e32 29, v34
	s_cbranch_execz .LBB91_271
; %bb.270:
	ds_load_2addr_b64 v[4:7], v26 offset0:30 offset1:31
	s_wait_dscnt 0x1
	v_pk_mul_f32 v[2:3], v[244:245], v[124:125] op_sel:[1,1] op_sel_hi:[0,1]
	s_delay_alu instid0(VALU_DEP_1) | instskip(SKIP_1) | instid1(VALU_DEP_1)
	v_pk_fma_f32 v[0:1], v[244:245], v[124:125], v[2:3] op_sel_hi:[1,0,1] neg_lo:[0,0,1] neg_hi:[0,0,1]
	v_pk_fma_f32 v[2:3], v[244:245], v[124:125], v[2:3] op_sel_hi:[1,0,1]
	v_dual_mov_b32 v124, v0 :: v_dual_mov_b32 v125, v3
	s_wait_dscnt 0x0
	s_delay_alu instid0(VALU_DEP_2) | instskip(NEXT) | instid1(VALU_DEP_1)
	v_pk_mul_f32 v[8:9], v[4:5], v[2:3] op_sel:[0,1]
	v_pk_fma_f32 v[10:11], v[4:5], v[0:1], v[8:9] op_sel:[0,0,1] op_sel_hi:[1,1,0] neg_lo:[0,0,1] neg_hi:[0,0,1]
	v_pk_fma_f32 v[4:5], v[4:5], v[0:1], v[8:9] op_sel:[0,0,1] op_sel_hi:[1,0,0]
	s_delay_alu instid0(VALU_DEP_1) | instskip(SKIP_1) | instid1(VALU_DEP_1)
	v_mov_b32_e32 v11, v5
	v_pk_mul_f32 v[4:5], v[6:7], v[2:3] op_sel:[0,1]
	v_pk_fma_f32 v[8:9], v[6:7], v[0:1], v[4:5] op_sel:[0,0,1] op_sel_hi:[1,1,0] neg_lo:[0,0,1] neg_hi:[0,0,1]
	v_pk_fma_f32 v[4:5], v[6:7], v[0:1], v[4:5] op_sel:[0,0,1] op_sel_hi:[1,0,0]
	s_delay_alu instid0(VALU_DEP_1)
	v_mov_b32_e32 v9, v5
	ds_load_2addr_b64 v[4:7], v26 offset0:32 offset1:33
	v_pk_add_f32 v[126:127], v[126:127], v[10:11] neg_lo:[0,1] neg_hi:[0,1]
	v_pk_add_f32 v[122:123], v[122:123], v[8:9] neg_lo:[0,1] neg_hi:[0,1]
	s_wait_dscnt 0x0
	v_pk_mul_f32 v[8:9], v[4:5], v[2:3] op_sel:[0,1]
	s_delay_alu instid0(VALU_DEP_1) | instskip(SKIP_2) | instid1(VALU_DEP_2)
	v_pk_fma_f32 v[10:11], v[4:5], v[0:1], v[8:9] op_sel:[0,0,1] op_sel_hi:[1,1,0] neg_lo:[0,0,1] neg_hi:[0,0,1]
	v_pk_fma_f32 v[4:5], v[4:5], v[0:1], v[8:9] op_sel:[0,0,1] op_sel_hi:[1,0,0]
	v_dual_mul_f32 v8, v7, v3 :: v_dual_mov_b32 v4, v7
	v_dual_mov_b32 v11, v5 :: v_dual_mov_b32 v5, v6
	s_delay_alu instid0(VALU_DEP_2) | instskip(SKIP_1) | instid1(VALU_DEP_3)
	v_pk_fma_f32 v[8:9], v[6:7], v[124:125], v[8:9] op_sel_hi:[1,1,0] neg_lo:[0,0,1] neg_hi:[0,0,1]
	v_mul_f32_e32 v6, v7, v0
	v_pk_add_f32 v[144:145], v[144:145], v[10:11] neg_lo:[0,1] neg_hi:[0,1]
	s_delay_alu instid0(VALU_DEP_2) | instskip(NEXT) | instid1(VALU_DEP_1)
	v_pk_fma_f32 v[4:5], v[4:5], v[124:125], v[6:7] op_sel_hi:[1,1,0]
	v_mov_b32_e32 v9, v5
	ds_load_2addr_b64 v[4:7], v26 offset0:34 offset1:35
	v_pk_add_f32 v[140:141], v[140:141], v[8:9] neg_lo:[0,1] neg_hi:[0,1]
	s_wait_dscnt 0x0
	v_pk_mul_f32 v[8:9], v[4:5], v[2:3] op_sel:[0,1]
	s_delay_alu instid0(VALU_DEP_1) | instskip(SKIP_1) | instid1(VALU_DEP_1)
	v_pk_fma_f32 v[10:11], v[4:5], v[0:1], v[8:9] op_sel:[0,0,1] op_sel_hi:[1,1,0] neg_lo:[0,0,1] neg_hi:[0,0,1]
	v_pk_fma_f32 v[4:5], v[4:5], v[0:1], v[8:9] op_sel:[0,0,1] op_sel_hi:[1,0,0]
	v_mov_b32_e32 v11, v5
	v_pk_mul_f32 v[4:5], v[6:7], v[2:3] op_sel:[0,1]
	s_delay_alu instid0(VALU_DEP_1) | instskip(SKIP_1) | instid1(VALU_DEP_1)
	v_pk_fma_f32 v[8:9], v[6:7], v[0:1], v[4:5] op_sel:[0,0,1] op_sel_hi:[1,1,0] neg_lo:[0,0,1] neg_hi:[0,0,1]
	v_pk_fma_f32 v[4:5], v[6:7], v[0:1], v[4:5] op_sel:[0,0,1] op_sel_hi:[1,0,0]
	v_mov_b32_e32 v9, v5
	ds_load_2addr_b64 v[4:7], v26 offset0:36 offset1:37
	v_pk_add_f32 v[142:143], v[142:143], v[10:11] neg_lo:[0,1] neg_hi:[0,1]
	v_pk_add_f32 v[138:139], v[138:139], v[8:9] neg_lo:[0,1] neg_hi:[0,1]
	s_wait_dscnt 0x0
	v_pk_mul_f32 v[8:9], v[4:5], v[2:3] op_sel:[0,1]
	s_delay_alu instid0(VALU_DEP_1) | instskip(SKIP_1) | instid1(VALU_DEP_1)
	v_pk_fma_f32 v[10:11], v[4:5], v[0:1], v[8:9] op_sel:[0,0,1] op_sel_hi:[1,1,0] neg_lo:[0,0,1] neg_hi:[0,0,1]
	v_pk_fma_f32 v[4:5], v[4:5], v[0:1], v[8:9] op_sel:[0,0,1] op_sel_hi:[1,0,0]
	v_mov_b32_e32 v11, v5
	v_pk_mul_f32 v[4:5], v[6:7], v[2:3] op_sel:[0,1]
	s_delay_alu instid0(VALU_DEP_1) | instskip(SKIP_1) | instid1(VALU_DEP_1)
	v_pk_fma_f32 v[8:9], v[6:7], v[0:1], v[4:5] op_sel:[0,0,1] op_sel_hi:[1,1,0] neg_lo:[0,0,1] neg_hi:[0,0,1]
	v_pk_fma_f32 v[4:5], v[6:7], v[0:1], v[4:5] op_sel:[0,0,1] op_sel_hi:[1,0,0]
	v_mov_b32_e32 v9, v5
	ds_load_2addr_b64 v[4:7], v26 offset0:38 offset1:39
	v_pk_add_f32 v[162:163], v[162:163], v[10:11] neg_lo:[0,1] neg_hi:[0,1]
	v_pk_add_f32 v[158:159], v[158:159], v[8:9] neg_lo:[0,1] neg_hi:[0,1]
	s_wait_dscnt 0x0
	v_dual_mul_f32 v8, v5, v3 :: v_dual_mul_f32 v10, v5, v0
	s_delay_alu instid0(VALU_DEP_1) | instskip(NEXT) | instid1(VALU_DEP_2)
	v_pk_fma_f32 v[8:9], v[4:5], v[124:125], v[8:9] op_sel_hi:[1,1,0] neg_lo:[0,0,1] neg_hi:[0,0,1]
	v_pk_fma_f32 v[4:5], v[4:5], v[124:125], v[10:11] op_sel:[1,0,0] op_sel_hi:[0,1,0]
	s_delay_alu instid0(VALU_DEP_1) | instskip(SKIP_1) | instid1(VALU_DEP_2)
	v_mov_b32_e32 v9, v5
	v_pk_mul_f32 v[4:5], v[6:7], v[2:3] op_sel:[0,1]
	v_pk_add_f32 v[160:161], v[160:161], v[8:9] neg_lo:[0,1] neg_hi:[0,1]
	s_delay_alu instid0(VALU_DEP_2) | instskip(SKIP_1) | instid1(VALU_DEP_1)
	v_pk_fma_f32 v[8:9], v[6:7], v[0:1], v[4:5] op_sel:[0,0,1] op_sel_hi:[1,1,0] neg_lo:[0,0,1] neg_hi:[0,0,1]
	v_pk_fma_f32 v[4:5], v[6:7], v[0:1], v[4:5] op_sel:[0,0,1] op_sel_hi:[1,0,0]
	v_mov_b32_e32 v9, v5
	ds_load_2addr_b64 v[4:7], v26 offset0:40 offset1:41
	v_pk_add_f32 v[156:157], v[156:157], v[8:9] neg_lo:[0,1] neg_hi:[0,1]
	s_wait_dscnt 0x0
	v_pk_mul_f32 v[8:9], v[4:5], v[2:3] op_sel:[0,1]
	s_delay_alu instid0(VALU_DEP_1) | instskip(SKIP_1) | instid1(VALU_DEP_1)
	v_pk_fma_f32 v[10:11], v[4:5], v[0:1], v[8:9] op_sel:[0,0,1] op_sel_hi:[1,1,0] neg_lo:[0,0,1] neg_hi:[0,0,1]
	v_pk_fma_f32 v[4:5], v[4:5], v[0:1], v[8:9] op_sel:[0,0,1] op_sel_hi:[1,0,0]
	v_mov_b32_e32 v11, v5
	v_pk_mul_f32 v[4:5], v[6:7], v[2:3] op_sel:[0,1]
	s_delay_alu instid0(VALU_DEP_2) | instskip(NEXT) | instid1(VALU_DEP_2)
	v_pk_add_f32 v[178:179], v[178:179], v[10:11] neg_lo:[0,1] neg_hi:[0,1]
	v_pk_fma_f32 v[8:9], v[6:7], v[0:1], v[4:5] op_sel:[0,0,1] op_sel_hi:[1,1,0] neg_lo:[0,0,1] neg_hi:[0,0,1]
	v_pk_fma_f32 v[4:5], v[6:7], v[0:1], v[4:5] op_sel:[0,0,1] op_sel_hi:[1,0,0]
	s_delay_alu instid0(VALU_DEP_1) | instskip(SKIP_4) | instid1(VALU_DEP_1)
	v_mov_b32_e32 v9, v5
	ds_load_2addr_b64 v[4:7], v26 offset0:42 offset1:43
	v_pk_add_f32 v[174:175], v[174:175], v[8:9] neg_lo:[0,1] neg_hi:[0,1]
	s_wait_dscnt 0x0
	v_pk_mul_f32 v[8:9], v[4:5], v[2:3] op_sel:[0,1]
	v_pk_fma_f32 v[10:11], v[4:5], v[0:1], v[8:9] op_sel:[0,0,1] op_sel_hi:[1,1,0] neg_lo:[0,0,1] neg_hi:[0,0,1]
	v_pk_fma_f32 v[4:5], v[4:5], v[0:1], v[8:9] op_sel:[0,0,1] op_sel_hi:[1,0,0]
	v_dual_mul_f32 v8, v7, v3 :: v_dual_mov_b32 v4, v7
	s_delay_alu instid0(VALU_DEP_2) | instskip(NEXT) | instid1(VALU_DEP_2)
	v_dual_mov_b32 v11, v5 :: v_dual_mov_b32 v5, v6
	v_pk_fma_f32 v[8:9], v[6:7], v[124:125], v[8:9] op_sel_hi:[1,1,0] neg_lo:[0,0,1] neg_hi:[0,0,1]
	v_mul_f32_e32 v6, v7, v0
	s_delay_alu instid0(VALU_DEP_3) | instskip(NEXT) | instid1(VALU_DEP_2)
	v_pk_add_f32 v[176:177], v[176:177], v[10:11] neg_lo:[0,1] neg_hi:[0,1]
	v_pk_fma_f32 v[4:5], v[4:5], v[124:125], v[6:7] op_sel_hi:[1,1,0]
	s_delay_alu instid0(VALU_DEP_1)
	v_mov_b32_e32 v9, v5
	ds_load_2addr_b64 v[4:7], v26 offset0:44 offset1:45
	v_pk_add_f32 v[172:173], v[172:173], v[8:9] neg_lo:[0,1] neg_hi:[0,1]
	s_wait_dscnt 0x0
	v_pk_mul_f32 v[8:9], v[4:5], v[2:3] op_sel:[0,1]
	v_pk_mul_f32 v[2:3], v[6:7], v[2:3] op_sel:[0,1]
	s_delay_alu instid0(VALU_DEP_2) | instskip(SKIP_1) | instid1(VALU_DEP_1)
	v_pk_fma_f32 v[10:11], v[4:5], v[0:1], v[8:9] op_sel:[0,0,1] op_sel_hi:[1,1,0] neg_lo:[0,0,1] neg_hi:[0,0,1]
	v_pk_fma_f32 v[4:5], v[4:5], v[0:1], v[8:9] op_sel:[0,0,1] op_sel_hi:[1,0,0]
	v_mov_b32_e32 v11, v5
	s_delay_alu instid0(VALU_DEP_4) | instskip(SKIP_1) | instid1(VALU_DEP_1)
	v_pk_fma_f32 v[4:5], v[6:7], v[0:1], v[2:3] op_sel:[0,0,1] op_sel_hi:[1,1,0] neg_lo:[0,0,1] neg_hi:[0,0,1]
	v_pk_fma_f32 v[0:1], v[6:7], v[0:1], v[2:3] op_sel:[0,0,1] op_sel_hi:[1,0,0]
	v_mov_b32_e32 v5, v1
	s_delay_alu instid0(VALU_DEP_4) | instskip(NEXT) | instid1(VALU_DEP_2)
	v_pk_add_f32 v[180:181], v[180:181], v[10:11] neg_lo:[0,1] neg_hi:[0,1]
	v_pk_add_f32 v[184:185], v[184:185], v[4:5] neg_lo:[0,1] neg_hi:[0,1]
.LBB91_271:
	s_or_b32 exec_lo, exec_lo, s1
	s_delay_alu instid0(SALU_CYCLE_1)
	s_mov_b32 s2, exec_lo
	s_wait_dscnt 0x0
	s_barrier_signal -1
	s_barrier_wait -1
	v_cmpx_eq_u32_e32 30, v34
	s_cbranch_execz .LBB91_278
; %bb.272:
	ds_store_b64 v35, v[126:127]
	ds_store_2addr_b64 v26, v[122:123], v[144:145] offset0:31 offset1:32
	ds_store_2addr_b64 v26, v[140:141], v[142:143] offset0:33 offset1:34
	;; [unrolled: 1-line block ×7, first 2 shown]
	ds_store_b64 v26, v[184:185] offset:360
	ds_load_b64 v[0:1], v35
	s_wait_dscnt 0x0
	v_cmp_neq_f32_e32 vcc_lo, 0, v0
	v_cmp_neq_f32_e64 s1, 0, v1
	s_or_b32 s1, vcc_lo, s1
	s_delay_alu instid0(SALU_CYCLE_1)
	s_and_b32 exec_lo, exec_lo, s1
	s_cbranch_execz .LBB91_278
; %bb.273:
	v_cmp_ngt_f32_e64 s1, |v0|, |v1|
                                        ; implicit-def: $vgpr2_vgpr3
	s_and_saveexec_b32 s4, s1
	s_delay_alu instid0(SALU_CYCLE_1)
	s_xor_b32 s1, exec_lo, s4
	s_cbranch_execz .LBB91_275
; %bb.274:
	v_div_scale_f32 v2, null, v1, v1, v0
	v_div_scale_f32 v5, vcc_lo, v0, v1, v0
	s_delay_alu instid0(VALU_DEP_2) | instskip(SKIP_1) | instid1(TRANS32_DEP_1)
	v_rcp_f32_e32 v3, v2
	v_nop
	v_fma_f32 v4, -v2, v3, 1.0
	s_delay_alu instid0(VALU_DEP_1) | instskip(NEXT) | instid1(VALU_DEP_1)
	v_fmac_f32_e32 v3, v4, v3
	v_mul_f32_e32 v4, v5, v3
	s_delay_alu instid0(VALU_DEP_1) | instskip(NEXT) | instid1(VALU_DEP_1)
	v_fma_f32 v6, -v2, v4, v5
	v_fmac_f32_e32 v4, v6, v3
	s_delay_alu instid0(VALU_DEP_1) | instskip(NEXT) | instid1(VALU_DEP_1)
	v_fma_f32 v2, -v2, v4, v5
	v_div_fmas_f32 v2, v2, v3, v4
	s_delay_alu instid0(VALU_DEP_1) | instskip(NEXT) | instid1(VALU_DEP_1)
	v_div_fixup_f32 v2, v2, v1, v0
	v_fmac_f32_e32 v1, v0, v2
	s_delay_alu instid0(VALU_DEP_1) | instskip(SKIP_1) | instid1(VALU_DEP_2)
	v_div_scale_f32 v0, null, v1, v1, 1.0
	v_div_scale_f32 v5, vcc_lo, 1.0, v1, 1.0
	v_rcp_f32_e32 v3, v0
	v_nop
	s_delay_alu instid0(TRANS32_DEP_1) | instskip(NEXT) | instid1(VALU_DEP_1)
	v_fma_f32 v4, -v0, v3, 1.0
	v_fmac_f32_e32 v3, v4, v3
	s_delay_alu instid0(VALU_DEP_1) | instskip(NEXT) | instid1(VALU_DEP_1)
	v_mul_f32_e32 v4, v5, v3
	v_fma_f32 v6, -v0, v4, v5
	s_delay_alu instid0(VALU_DEP_1) | instskip(NEXT) | instid1(VALU_DEP_1)
	v_fmac_f32_e32 v4, v6, v3
	v_fma_f32 v0, -v0, v4, v5
	s_delay_alu instid0(VALU_DEP_1) | instskip(NEXT) | instid1(VALU_DEP_1)
	v_div_fmas_f32 v0, v0, v3, v4
	v_div_fixup_f32 v0, v0, v1, 1.0
	s_delay_alu instid0(VALU_DEP_1)
	v_mul_f32_e32 v2, v2, v0
	v_xor_b32_e32 v3, 0x80000000, v0
                                        ; implicit-def: $vgpr0_vgpr1
.LBB91_275:
	s_and_not1_saveexec_b32 s1, s1
	s_cbranch_execz .LBB91_277
; %bb.276:
	v_div_scale_f32 v2, null, v0, v0, v1
	v_div_scale_f32 v5, vcc_lo, v1, v0, v1
	s_delay_alu instid0(VALU_DEP_2) | instskip(SKIP_1) | instid1(TRANS32_DEP_1)
	v_rcp_f32_e32 v3, v2
	v_nop
	v_fma_f32 v4, -v2, v3, 1.0
	s_delay_alu instid0(VALU_DEP_1) | instskip(NEXT) | instid1(VALU_DEP_1)
	v_fmac_f32_e32 v3, v4, v3
	v_mul_f32_e32 v4, v5, v3
	s_delay_alu instid0(VALU_DEP_1) | instskip(NEXT) | instid1(VALU_DEP_1)
	v_fma_f32 v6, -v2, v4, v5
	v_fmac_f32_e32 v4, v6, v3
	s_delay_alu instid0(VALU_DEP_1) | instskip(NEXT) | instid1(VALU_DEP_1)
	v_fma_f32 v2, -v2, v4, v5
	v_div_fmas_f32 v2, v2, v3, v4
	s_delay_alu instid0(VALU_DEP_1) | instskip(NEXT) | instid1(VALU_DEP_1)
	v_div_fixup_f32 v3, v2, v0, v1
	v_fmac_f32_e32 v0, v1, v3
	s_delay_alu instid0(VALU_DEP_1) | instskip(NEXT) | instid1(VALU_DEP_1)
	v_div_scale_f32 v1, null, v0, v0, 1.0
	v_rcp_f32_e32 v2, v1
	v_nop
	s_delay_alu instid0(TRANS32_DEP_1) | instskip(NEXT) | instid1(VALU_DEP_1)
	v_fma_f32 v4, -v1, v2, 1.0
	v_fmac_f32_e32 v2, v4, v2
	v_div_scale_f32 v4, vcc_lo, 1.0, v0, 1.0
	s_delay_alu instid0(VALU_DEP_1) | instskip(NEXT) | instid1(VALU_DEP_1)
	v_mul_f32_e32 v5, v4, v2
	v_fma_f32 v6, -v1, v5, v4
	s_delay_alu instid0(VALU_DEP_1) | instskip(NEXT) | instid1(VALU_DEP_1)
	v_fmac_f32_e32 v5, v6, v2
	v_fma_f32 v1, -v1, v5, v4
	s_delay_alu instid0(VALU_DEP_1) | instskip(NEXT) | instid1(VALU_DEP_1)
	v_div_fmas_f32 v1, v1, v2, v5
	v_div_fixup_f32 v2, v1, v0, 1.0
	s_delay_alu instid0(VALU_DEP_1)
	v_mul_f32_e64 v3, v3, -v2
.LBB91_277:
	s_or_b32 exec_lo, exec_lo, s1
	ds_store_b64 v35, v[2:3]
.LBB91_278:
	s_or_b32 exec_lo, exec_lo, s2
	s_wait_dscnt 0x0
	s_barrier_signal -1
	s_barrier_wait -1
	ds_load_b64 v[246:247], v35
	s_mov_b32 s1, exec_lo
	v_cmpx_lt_u32_e32 30, v34
	s_cbranch_execz .LBB91_280
; %bb.279:
	ds_load_2addr_b64 v[4:7], v26 offset0:31 offset1:32
	s_wait_dscnt 0x1
	v_pk_mul_f32 v[2:3], v[246:247], v[126:127] op_sel:[1,1] op_sel_hi:[0,1]
	s_delay_alu instid0(VALU_DEP_1) | instskip(SKIP_1) | instid1(VALU_DEP_1)
	v_pk_fma_f32 v[0:1], v[246:247], v[126:127], v[2:3] op_sel_hi:[1,0,1] neg_lo:[0,0,1] neg_hi:[0,0,1]
	v_pk_fma_f32 v[2:3], v[246:247], v[126:127], v[2:3] op_sel_hi:[1,0,1]
	v_dual_mov_b32 v126, v0 :: v_dual_mov_b32 v127, v3
	s_wait_dscnt 0x0
	s_delay_alu instid0(VALU_DEP_2) | instskip(NEXT) | instid1(VALU_DEP_1)
	v_pk_mul_f32 v[8:9], v[4:5], v[2:3] op_sel:[0,1]
	v_pk_fma_f32 v[10:11], v[4:5], v[0:1], v[8:9] op_sel:[0,0,1] op_sel_hi:[1,1,0] neg_lo:[0,0,1] neg_hi:[0,0,1]
	v_pk_fma_f32 v[4:5], v[4:5], v[0:1], v[8:9] op_sel:[0,0,1] op_sel_hi:[1,0,0]
	s_delay_alu instid0(VALU_DEP_1) | instskip(SKIP_1) | instid1(VALU_DEP_1)
	v_mov_b32_e32 v11, v5
	v_pk_mul_f32 v[4:5], v[6:7], v[2:3] op_sel:[0,1]
	v_pk_fma_f32 v[8:9], v[6:7], v[0:1], v[4:5] op_sel:[0,0,1] op_sel_hi:[1,1,0] neg_lo:[0,0,1] neg_hi:[0,0,1]
	v_pk_fma_f32 v[4:5], v[6:7], v[0:1], v[4:5] op_sel:[0,0,1] op_sel_hi:[1,0,0]
	s_delay_alu instid0(VALU_DEP_1)
	v_mov_b32_e32 v9, v5
	ds_load_2addr_b64 v[4:7], v26 offset0:33 offset1:34
	v_pk_add_f32 v[122:123], v[122:123], v[10:11] neg_lo:[0,1] neg_hi:[0,1]
	v_pk_add_f32 v[144:145], v[144:145], v[8:9] neg_lo:[0,1] neg_hi:[0,1]
	s_wait_dscnt 0x0
	v_pk_mul_f32 v[8:9], v[4:5], v[2:3] op_sel:[0,1]
	s_delay_alu instid0(VALU_DEP_1) | instskip(SKIP_2) | instid1(VALU_DEP_2)
	v_pk_fma_f32 v[10:11], v[4:5], v[0:1], v[8:9] op_sel:[0,0,1] op_sel_hi:[1,1,0] neg_lo:[0,0,1] neg_hi:[0,0,1]
	v_pk_fma_f32 v[4:5], v[4:5], v[0:1], v[8:9] op_sel:[0,0,1] op_sel_hi:[1,0,0]
	v_dual_mul_f32 v8, v7, v3 :: v_dual_mov_b32 v4, v7
	v_dual_mov_b32 v11, v5 :: v_dual_mov_b32 v5, v6
	s_delay_alu instid0(VALU_DEP_2) | instskip(SKIP_1) | instid1(VALU_DEP_3)
	v_pk_fma_f32 v[8:9], v[6:7], v[126:127], v[8:9] op_sel_hi:[1,1,0] neg_lo:[0,0,1] neg_hi:[0,0,1]
	v_mul_f32_e32 v6, v7, v0
	v_pk_add_f32 v[140:141], v[140:141], v[10:11] neg_lo:[0,1] neg_hi:[0,1]
	s_delay_alu instid0(VALU_DEP_2) | instskip(NEXT) | instid1(VALU_DEP_1)
	v_pk_fma_f32 v[4:5], v[4:5], v[126:127], v[6:7] op_sel_hi:[1,1,0]
	v_mov_b32_e32 v9, v5
	ds_load_2addr_b64 v[4:7], v26 offset0:35 offset1:36
	v_pk_add_f32 v[142:143], v[142:143], v[8:9] neg_lo:[0,1] neg_hi:[0,1]
	s_wait_dscnt 0x0
	v_pk_mul_f32 v[8:9], v[4:5], v[2:3] op_sel:[0,1]
	s_delay_alu instid0(VALU_DEP_1) | instskip(SKIP_1) | instid1(VALU_DEP_1)
	v_pk_fma_f32 v[10:11], v[4:5], v[0:1], v[8:9] op_sel:[0,0,1] op_sel_hi:[1,1,0] neg_lo:[0,0,1] neg_hi:[0,0,1]
	v_pk_fma_f32 v[4:5], v[4:5], v[0:1], v[8:9] op_sel:[0,0,1] op_sel_hi:[1,0,0]
	v_mov_b32_e32 v11, v5
	v_pk_mul_f32 v[4:5], v[6:7], v[2:3] op_sel:[0,1]
	s_delay_alu instid0(VALU_DEP_1) | instskip(SKIP_1) | instid1(VALU_DEP_1)
	v_pk_fma_f32 v[8:9], v[6:7], v[0:1], v[4:5] op_sel:[0,0,1] op_sel_hi:[1,1,0] neg_lo:[0,0,1] neg_hi:[0,0,1]
	v_pk_fma_f32 v[4:5], v[6:7], v[0:1], v[4:5] op_sel:[0,0,1] op_sel_hi:[1,0,0]
	v_mov_b32_e32 v9, v5
	ds_load_2addr_b64 v[4:7], v26 offset0:37 offset1:38
	v_pk_add_f32 v[138:139], v[138:139], v[10:11] neg_lo:[0,1] neg_hi:[0,1]
	v_pk_add_f32 v[162:163], v[162:163], v[8:9] neg_lo:[0,1] neg_hi:[0,1]
	s_wait_dscnt 0x0
	v_pk_mul_f32 v[8:9], v[4:5], v[2:3] op_sel:[0,1]
	s_delay_alu instid0(VALU_DEP_1) | instskip(SKIP_1) | instid1(VALU_DEP_1)
	v_pk_fma_f32 v[10:11], v[4:5], v[0:1], v[8:9] op_sel:[0,0,1] op_sel_hi:[1,1,0] neg_lo:[0,0,1] neg_hi:[0,0,1]
	v_pk_fma_f32 v[4:5], v[4:5], v[0:1], v[8:9] op_sel:[0,0,1] op_sel_hi:[1,0,0]
	v_mov_b32_e32 v11, v5
	v_pk_mul_f32 v[4:5], v[6:7], v[2:3] op_sel:[0,1]
	s_delay_alu instid0(VALU_DEP_1) | instskip(SKIP_1) | instid1(VALU_DEP_1)
	v_pk_fma_f32 v[8:9], v[6:7], v[0:1], v[4:5] op_sel:[0,0,1] op_sel_hi:[1,1,0] neg_lo:[0,0,1] neg_hi:[0,0,1]
	v_pk_fma_f32 v[4:5], v[6:7], v[0:1], v[4:5] op_sel:[0,0,1] op_sel_hi:[1,0,0]
	v_mov_b32_e32 v9, v5
	ds_load_2addr_b64 v[4:7], v26 offset0:39 offset1:40
	v_pk_add_f32 v[158:159], v[158:159], v[10:11] neg_lo:[0,1] neg_hi:[0,1]
	v_pk_add_f32 v[160:161], v[160:161], v[8:9] neg_lo:[0,1] neg_hi:[0,1]
	s_wait_dscnt 0x0
	v_dual_mul_f32 v8, v5, v3 :: v_dual_mul_f32 v10, v5, v0
	s_delay_alu instid0(VALU_DEP_1) | instskip(NEXT) | instid1(VALU_DEP_2)
	v_pk_fma_f32 v[8:9], v[4:5], v[126:127], v[8:9] op_sel_hi:[1,1,0] neg_lo:[0,0,1] neg_hi:[0,0,1]
	v_pk_fma_f32 v[4:5], v[4:5], v[126:127], v[10:11] op_sel:[1,0,0] op_sel_hi:[0,1,0]
	s_delay_alu instid0(VALU_DEP_1) | instskip(SKIP_1) | instid1(VALU_DEP_2)
	v_mov_b32_e32 v9, v5
	v_pk_mul_f32 v[4:5], v[6:7], v[2:3] op_sel:[0,1]
	v_pk_add_f32 v[156:157], v[156:157], v[8:9] neg_lo:[0,1] neg_hi:[0,1]
	s_delay_alu instid0(VALU_DEP_2) | instskip(SKIP_1) | instid1(VALU_DEP_1)
	v_pk_fma_f32 v[8:9], v[6:7], v[0:1], v[4:5] op_sel:[0,0,1] op_sel_hi:[1,1,0] neg_lo:[0,0,1] neg_hi:[0,0,1]
	v_pk_fma_f32 v[4:5], v[6:7], v[0:1], v[4:5] op_sel:[0,0,1] op_sel_hi:[1,0,0]
	v_mov_b32_e32 v9, v5
	ds_load_2addr_b64 v[4:7], v26 offset0:41 offset1:42
	v_pk_add_f32 v[178:179], v[178:179], v[8:9] neg_lo:[0,1] neg_hi:[0,1]
	s_wait_dscnt 0x0
	v_pk_mul_f32 v[8:9], v[4:5], v[2:3] op_sel:[0,1]
	s_delay_alu instid0(VALU_DEP_1) | instskip(SKIP_1) | instid1(VALU_DEP_1)
	v_pk_fma_f32 v[10:11], v[4:5], v[0:1], v[8:9] op_sel:[0,0,1] op_sel_hi:[1,1,0] neg_lo:[0,0,1] neg_hi:[0,0,1]
	v_pk_fma_f32 v[4:5], v[4:5], v[0:1], v[8:9] op_sel:[0,0,1] op_sel_hi:[1,0,0]
	v_mov_b32_e32 v11, v5
	v_pk_mul_f32 v[4:5], v[6:7], v[2:3] op_sel:[0,1]
	s_delay_alu instid0(VALU_DEP_2) | instskip(NEXT) | instid1(VALU_DEP_2)
	v_pk_add_f32 v[174:175], v[174:175], v[10:11] neg_lo:[0,1] neg_hi:[0,1]
	v_pk_fma_f32 v[8:9], v[6:7], v[0:1], v[4:5] op_sel:[0,0,1] op_sel_hi:[1,1,0] neg_lo:[0,0,1] neg_hi:[0,0,1]
	v_pk_fma_f32 v[4:5], v[6:7], v[0:1], v[4:5] op_sel:[0,0,1] op_sel_hi:[1,0,0]
	s_delay_alu instid0(VALU_DEP_1) | instskip(SKIP_4) | instid1(VALU_DEP_1)
	v_mov_b32_e32 v9, v5
	ds_load_2addr_b64 v[4:7], v26 offset0:43 offset1:44
	v_pk_add_f32 v[176:177], v[176:177], v[8:9] neg_lo:[0,1] neg_hi:[0,1]
	s_wait_dscnt 0x0
	v_pk_mul_f32 v[8:9], v[4:5], v[2:3] op_sel:[0,1]
	v_pk_fma_f32 v[10:11], v[4:5], v[0:1], v[8:9] op_sel:[0,0,1] op_sel_hi:[1,1,0] neg_lo:[0,0,1] neg_hi:[0,0,1]
	v_pk_fma_f32 v[4:5], v[4:5], v[0:1], v[8:9] op_sel:[0,0,1] op_sel_hi:[1,0,0]
	v_dual_mul_f32 v8, v7, v3 :: v_dual_mov_b32 v4, v7
	s_delay_alu instid0(VALU_DEP_2) | instskip(NEXT) | instid1(VALU_DEP_2)
	v_dual_mov_b32 v11, v5 :: v_dual_mov_b32 v5, v6
	v_pk_fma_f32 v[8:9], v[6:7], v[126:127], v[8:9] op_sel_hi:[1,1,0] neg_lo:[0,0,1] neg_hi:[0,0,1]
	v_mul_f32_e32 v6, v7, v0
	s_delay_alu instid0(VALU_DEP_3) | instskip(NEXT) | instid1(VALU_DEP_2)
	v_pk_add_f32 v[172:173], v[172:173], v[10:11] neg_lo:[0,1] neg_hi:[0,1]
	v_pk_fma_f32 v[4:5], v[4:5], v[126:127], v[6:7] op_sel_hi:[1,1,0]
	s_delay_alu instid0(VALU_DEP_1) | instskip(SKIP_4) | instid1(VALU_DEP_1)
	v_mov_b32_e32 v9, v5
	ds_load_b64 v[4:5], v26 offset:360
	v_pk_add_f32 v[180:181], v[180:181], v[8:9] neg_lo:[0,1] neg_hi:[0,1]
	s_wait_dscnt 0x0
	v_pk_mul_f32 v[2:3], v[4:5], v[2:3] op_sel:[0,1]
	v_pk_fma_f32 v[6:7], v[4:5], v[0:1], v[2:3] op_sel:[0,0,1] op_sel_hi:[1,1,0] neg_lo:[0,0,1] neg_hi:[0,0,1]
	v_pk_fma_f32 v[0:1], v[4:5], v[0:1], v[2:3] op_sel:[0,0,1] op_sel_hi:[1,0,0]
	s_delay_alu instid0(VALU_DEP_1) | instskip(NEXT) | instid1(VALU_DEP_1)
	v_mov_b32_e32 v7, v1
	v_pk_add_f32 v[184:185], v[184:185], v[6:7] neg_lo:[0,1] neg_hi:[0,1]
.LBB91_280:
	s_or_b32 exec_lo, exec_lo, s1
	s_delay_alu instid0(SALU_CYCLE_1)
	s_mov_b32 s2, exec_lo
	s_wait_dscnt 0x0
	s_barrier_signal -1
	s_barrier_wait -1
	v_cmpx_eq_u32_e32 31, v34
	s_cbranch_execz .LBB91_287
; %bb.281:
	v_dual_mov_b32 v0, v144 :: v_dual_mov_b32 v1, v145
	v_dual_mov_b32 v2, v140 :: v_dual_mov_b32 v3, v141
	ds_store_b64 v35, v[122:123]
	ds_store_2addr_b64 v26, v[0:1], v[2:3] offset0:32 offset1:33
	v_dual_mov_b32 v0, v142 :: v_dual_mov_b32 v1, v143
	v_dual_mov_b32 v2, v138 :: v_dual_mov_b32 v3, v139
	ds_store_2addr_b64 v26, v[0:1], v[2:3] offset0:34 offset1:35
	v_dual_mov_b32 v0, v162 :: v_dual_mov_b32 v1, v163
	v_dual_mov_b32 v2, v158 :: v_dual_mov_b32 v3, v159
	;; [unrolled: 3-line block ×5, first 2 shown]
	ds_store_2addr_b64 v26, v[0:1], v[2:3] offset0:42 offset1:43
	v_dual_mov_b32 v0, v180 :: v_dual_mov_b32 v1, v181
	ds_store_2addr_b64 v26, v[0:1], v[184:185] offset0:44 offset1:45
	ds_load_b64 v[0:1], v35
	s_wait_dscnt 0x0
	v_cmp_neq_f32_e32 vcc_lo, 0, v0
	v_cmp_neq_f32_e64 s1, 0, v1
	s_or_b32 s1, vcc_lo, s1
	s_delay_alu instid0(SALU_CYCLE_1)
	s_and_b32 exec_lo, exec_lo, s1
	s_cbranch_execz .LBB91_287
; %bb.282:
	v_cmp_ngt_f32_e64 s1, |v0|, |v1|
                                        ; implicit-def: $vgpr2_vgpr3
	s_and_saveexec_b32 s4, s1
	s_delay_alu instid0(SALU_CYCLE_1)
	s_xor_b32 s1, exec_lo, s4
	s_cbranch_execz .LBB91_284
; %bb.283:
	v_div_scale_f32 v2, null, v1, v1, v0
	v_div_scale_f32 v5, vcc_lo, v0, v1, v0
	s_delay_alu instid0(VALU_DEP_2) | instskip(SKIP_1) | instid1(TRANS32_DEP_1)
	v_rcp_f32_e32 v3, v2
	v_nop
	v_fma_f32 v4, -v2, v3, 1.0
	s_delay_alu instid0(VALU_DEP_1) | instskip(NEXT) | instid1(VALU_DEP_1)
	v_fmac_f32_e32 v3, v4, v3
	v_mul_f32_e32 v4, v5, v3
	s_delay_alu instid0(VALU_DEP_1) | instskip(NEXT) | instid1(VALU_DEP_1)
	v_fma_f32 v6, -v2, v4, v5
	v_fmac_f32_e32 v4, v6, v3
	s_delay_alu instid0(VALU_DEP_1) | instskip(NEXT) | instid1(VALU_DEP_1)
	v_fma_f32 v2, -v2, v4, v5
	v_div_fmas_f32 v2, v2, v3, v4
	s_delay_alu instid0(VALU_DEP_1) | instskip(NEXT) | instid1(VALU_DEP_1)
	v_div_fixup_f32 v2, v2, v1, v0
	v_fmac_f32_e32 v1, v0, v2
	s_delay_alu instid0(VALU_DEP_1) | instskip(SKIP_1) | instid1(VALU_DEP_2)
	v_div_scale_f32 v0, null, v1, v1, 1.0
	v_div_scale_f32 v5, vcc_lo, 1.0, v1, 1.0
	v_rcp_f32_e32 v3, v0
	v_nop
	s_delay_alu instid0(TRANS32_DEP_1) | instskip(NEXT) | instid1(VALU_DEP_1)
	v_fma_f32 v4, -v0, v3, 1.0
	v_fmac_f32_e32 v3, v4, v3
	s_delay_alu instid0(VALU_DEP_1) | instskip(NEXT) | instid1(VALU_DEP_1)
	v_mul_f32_e32 v4, v5, v3
	v_fma_f32 v6, -v0, v4, v5
	s_delay_alu instid0(VALU_DEP_1) | instskip(NEXT) | instid1(VALU_DEP_1)
	v_fmac_f32_e32 v4, v6, v3
	v_fma_f32 v0, -v0, v4, v5
	s_delay_alu instid0(VALU_DEP_1) | instskip(NEXT) | instid1(VALU_DEP_1)
	v_div_fmas_f32 v0, v0, v3, v4
	v_div_fixup_f32 v0, v0, v1, 1.0
	s_delay_alu instid0(VALU_DEP_1)
	v_mul_f32_e32 v2, v2, v0
	v_xor_b32_e32 v3, 0x80000000, v0
                                        ; implicit-def: $vgpr0_vgpr1
.LBB91_284:
	s_and_not1_saveexec_b32 s1, s1
	s_cbranch_execz .LBB91_286
; %bb.285:
	v_div_scale_f32 v2, null, v0, v0, v1
	v_div_scale_f32 v5, vcc_lo, v1, v0, v1
	s_delay_alu instid0(VALU_DEP_2) | instskip(SKIP_1) | instid1(TRANS32_DEP_1)
	v_rcp_f32_e32 v3, v2
	v_nop
	v_fma_f32 v4, -v2, v3, 1.0
	s_delay_alu instid0(VALU_DEP_1) | instskip(NEXT) | instid1(VALU_DEP_1)
	v_fmac_f32_e32 v3, v4, v3
	v_mul_f32_e32 v4, v5, v3
	s_delay_alu instid0(VALU_DEP_1) | instskip(NEXT) | instid1(VALU_DEP_1)
	v_fma_f32 v6, -v2, v4, v5
	v_fmac_f32_e32 v4, v6, v3
	s_delay_alu instid0(VALU_DEP_1) | instskip(NEXT) | instid1(VALU_DEP_1)
	v_fma_f32 v2, -v2, v4, v5
	v_div_fmas_f32 v2, v2, v3, v4
	s_delay_alu instid0(VALU_DEP_1) | instskip(NEXT) | instid1(VALU_DEP_1)
	v_div_fixup_f32 v3, v2, v0, v1
	v_fmac_f32_e32 v0, v1, v3
	s_delay_alu instid0(VALU_DEP_1) | instskip(NEXT) | instid1(VALU_DEP_1)
	v_div_scale_f32 v1, null, v0, v0, 1.0
	v_rcp_f32_e32 v2, v1
	v_nop
	s_delay_alu instid0(TRANS32_DEP_1) | instskip(NEXT) | instid1(VALU_DEP_1)
	v_fma_f32 v4, -v1, v2, 1.0
	v_fmac_f32_e32 v2, v4, v2
	v_div_scale_f32 v4, vcc_lo, 1.0, v0, 1.0
	s_delay_alu instid0(VALU_DEP_1) | instskip(NEXT) | instid1(VALU_DEP_1)
	v_mul_f32_e32 v5, v4, v2
	v_fma_f32 v6, -v1, v5, v4
	s_delay_alu instid0(VALU_DEP_1) | instskip(NEXT) | instid1(VALU_DEP_1)
	v_fmac_f32_e32 v5, v6, v2
	v_fma_f32 v1, -v1, v5, v4
	s_delay_alu instid0(VALU_DEP_1) | instskip(NEXT) | instid1(VALU_DEP_1)
	v_div_fmas_f32 v1, v1, v2, v5
	v_div_fixup_f32 v2, v1, v0, 1.0
	s_delay_alu instid0(VALU_DEP_1)
	v_mul_f32_e64 v3, v3, -v2
.LBB91_286:
	s_or_b32 exec_lo, exec_lo, s1
	ds_store_b64 v35, v[2:3]
.LBB91_287:
	s_or_b32 exec_lo, exec_lo, s2
	s_wait_dscnt 0x0
	s_barrier_signal -1
	s_barrier_wait -1
	ds_load_b64 v[248:249], v35
	s_mov_b32 s1, exec_lo
	v_cmpx_lt_u32_e32 31, v34
	s_cbranch_execz .LBB91_289
; %bb.288:
	ds_load_2addr_b64 v[4:7], v26 offset0:32 offset1:33
	s_wait_dscnt 0x1
	v_pk_mul_f32 v[2:3], v[248:249], v[122:123] op_sel:[1,1] op_sel_hi:[0,1]
	s_delay_alu instid0(VALU_DEP_1) | instskip(SKIP_1) | instid1(VALU_DEP_1)
	v_pk_fma_f32 v[0:1], v[248:249], v[122:123], v[2:3] op_sel_hi:[1,0,1] neg_lo:[0,0,1] neg_hi:[0,0,1]
	v_pk_fma_f32 v[2:3], v[248:249], v[122:123], v[2:3] op_sel_hi:[1,0,1]
	v_dual_mov_b32 v122, v0 :: v_dual_mov_b32 v123, v3
	s_wait_dscnt 0x0
	s_delay_alu instid0(VALU_DEP_2) | instskip(NEXT) | instid1(VALU_DEP_1)
	v_pk_mul_f32 v[8:9], v[4:5], v[2:3] op_sel:[0,1]
	v_pk_fma_f32 v[10:11], v[4:5], v[0:1], v[8:9] op_sel:[0,0,1] op_sel_hi:[1,1,0] neg_lo:[0,0,1] neg_hi:[0,0,1]
	v_pk_fma_f32 v[4:5], v[4:5], v[0:1], v[8:9] op_sel:[0,0,1] op_sel_hi:[1,0,0]
	s_delay_alu instid0(VALU_DEP_1) | instskip(SKIP_1) | instid1(VALU_DEP_1)
	v_mov_b32_e32 v11, v5
	v_pk_mul_f32 v[4:5], v[6:7], v[2:3] op_sel:[0,1]
	v_pk_fma_f32 v[8:9], v[6:7], v[0:1], v[4:5] op_sel:[0,0,1] op_sel_hi:[1,1,0] neg_lo:[0,0,1] neg_hi:[0,0,1]
	v_pk_fma_f32 v[4:5], v[6:7], v[0:1], v[4:5] op_sel:[0,0,1] op_sel_hi:[1,0,0]
	s_delay_alu instid0(VALU_DEP_1)
	v_mov_b32_e32 v9, v5
	ds_load_2addr_b64 v[4:7], v26 offset0:34 offset1:35
	v_pk_add_f32 v[144:145], v[144:145], v[10:11] neg_lo:[0,1] neg_hi:[0,1]
	v_pk_add_f32 v[140:141], v[140:141], v[8:9] neg_lo:[0,1] neg_hi:[0,1]
	s_wait_dscnt 0x0
	v_pk_mul_f32 v[8:9], v[4:5], v[2:3] op_sel:[0,1]
	s_delay_alu instid0(VALU_DEP_1) | instskip(SKIP_2) | instid1(VALU_DEP_2)
	v_pk_fma_f32 v[10:11], v[4:5], v[0:1], v[8:9] op_sel:[0,0,1] op_sel_hi:[1,1,0] neg_lo:[0,0,1] neg_hi:[0,0,1]
	v_pk_fma_f32 v[4:5], v[4:5], v[0:1], v[8:9] op_sel:[0,0,1] op_sel_hi:[1,0,0]
	v_dual_mul_f32 v8, v7, v3 :: v_dual_mov_b32 v4, v7
	v_dual_mov_b32 v11, v5 :: v_dual_mov_b32 v5, v6
	s_delay_alu instid0(VALU_DEP_2) | instskip(SKIP_1) | instid1(VALU_DEP_3)
	v_pk_fma_f32 v[8:9], v[6:7], v[122:123], v[8:9] op_sel_hi:[1,1,0] neg_lo:[0,0,1] neg_hi:[0,0,1]
	v_mul_f32_e32 v6, v7, v0
	v_pk_add_f32 v[142:143], v[142:143], v[10:11] neg_lo:[0,1] neg_hi:[0,1]
	s_delay_alu instid0(VALU_DEP_2) | instskip(NEXT) | instid1(VALU_DEP_1)
	v_pk_fma_f32 v[4:5], v[4:5], v[122:123], v[6:7] op_sel_hi:[1,1,0]
	v_mov_b32_e32 v9, v5
	ds_load_2addr_b64 v[4:7], v26 offset0:36 offset1:37
	v_pk_add_f32 v[138:139], v[138:139], v[8:9] neg_lo:[0,1] neg_hi:[0,1]
	s_wait_dscnt 0x0
	v_pk_mul_f32 v[8:9], v[4:5], v[2:3] op_sel:[0,1]
	s_delay_alu instid0(VALU_DEP_1) | instskip(SKIP_1) | instid1(VALU_DEP_1)
	v_pk_fma_f32 v[10:11], v[4:5], v[0:1], v[8:9] op_sel:[0,0,1] op_sel_hi:[1,1,0] neg_lo:[0,0,1] neg_hi:[0,0,1]
	v_pk_fma_f32 v[4:5], v[4:5], v[0:1], v[8:9] op_sel:[0,0,1] op_sel_hi:[1,0,0]
	v_mov_b32_e32 v11, v5
	v_pk_mul_f32 v[4:5], v[6:7], v[2:3] op_sel:[0,1]
	s_delay_alu instid0(VALU_DEP_1) | instskip(SKIP_1) | instid1(VALU_DEP_1)
	v_pk_fma_f32 v[8:9], v[6:7], v[0:1], v[4:5] op_sel:[0,0,1] op_sel_hi:[1,1,0] neg_lo:[0,0,1] neg_hi:[0,0,1]
	v_pk_fma_f32 v[4:5], v[6:7], v[0:1], v[4:5] op_sel:[0,0,1] op_sel_hi:[1,0,0]
	v_mov_b32_e32 v9, v5
	ds_load_2addr_b64 v[4:7], v26 offset0:38 offset1:39
	v_pk_add_f32 v[162:163], v[162:163], v[10:11] neg_lo:[0,1] neg_hi:[0,1]
	v_pk_add_f32 v[158:159], v[158:159], v[8:9] neg_lo:[0,1] neg_hi:[0,1]
	s_wait_dscnt 0x0
	v_pk_mul_f32 v[8:9], v[4:5], v[2:3] op_sel:[0,1]
	s_delay_alu instid0(VALU_DEP_1) | instskip(SKIP_1) | instid1(VALU_DEP_1)
	v_pk_fma_f32 v[10:11], v[4:5], v[0:1], v[8:9] op_sel:[0,0,1] op_sel_hi:[1,1,0] neg_lo:[0,0,1] neg_hi:[0,0,1]
	v_pk_fma_f32 v[4:5], v[4:5], v[0:1], v[8:9] op_sel:[0,0,1] op_sel_hi:[1,0,0]
	v_mov_b32_e32 v11, v5
	v_pk_mul_f32 v[4:5], v[6:7], v[2:3] op_sel:[0,1]
	s_delay_alu instid0(VALU_DEP_1) | instskip(SKIP_1) | instid1(VALU_DEP_1)
	v_pk_fma_f32 v[8:9], v[6:7], v[0:1], v[4:5] op_sel:[0,0,1] op_sel_hi:[1,1,0] neg_lo:[0,0,1] neg_hi:[0,0,1]
	v_pk_fma_f32 v[4:5], v[6:7], v[0:1], v[4:5] op_sel:[0,0,1] op_sel_hi:[1,0,0]
	v_mov_b32_e32 v9, v5
	ds_load_2addr_b64 v[4:7], v26 offset0:40 offset1:41
	v_pk_add_f32 v[160:161], v[160:161], v[10:11] neg_lo:[0,1] neg_hi:[0,1]
	v_pk_add_f32 v[156:157], v[156:157], v[8:9] neg_lo:[0,1] neg_hi:[0,1]
	s_wait_dscnt 0x0
	v_dual_mul_f32 v8, v5, v3 :: v_dual_mul_f32 v10, v5, v0
	s_delay_alu instid0(VALU_DEP_1) | instskip(NEXT) | instid1(VALU_DEP_2)
	v_pk_fma_f32 v[8:9], v[4:5], v[122:123], v[8:9] op_sel_hi:[1,1,0] neg_lo:[0,0,1] neg_hi:[0,0,1]
	v_pk_fma_f32 v[4:5], v[4:5], v[122:123], v[10:11] op_sel:[1,0,0] op_sel_hi:[0,1,0]
	s_delay_alu instid0(VALU_DEP_1) | instskip(SKIP_1) | instid1(VALU_DEP_2)
	v_mov_b32_e32 v9, v5
	v_pk_mul_f32 v[4:5], v[6:7], v[2:3] op_sel:[0,1]
	v_pk_add_f32 v[178:179], v[178:179], v[8:9] neg_lo:[0,1] neg_hi:[0,1]
	s_delay_alu instid0(VALU_DEP_2) | instskip(SKIP_1) | instid1(VALU_DEP_1)
	v_pk_fma_f32 v[8:9], v[6:7], v[0:1], v[4:5] op_sel:[0,0,1] op_sel_hi:[1,1,0] neg_lo:[0,0,1] neg_hi:[0,0,1]
	v_pk_fma_f32 v[4:5], v[6:7], v[0:1], v[4:5] op_sel:[0,0,1] op_sel_hi:[1,0,0]
	v_mov_b32_e32 v9, v5
	ds_load_2addr_b64 v[4:7], v26 offset0:42 offset1:43
	v_pk_add_f32 v[174:175], v[174:175], v[8:9] neg_lo:[0,1] neg_hi:[0,1]
	s_wait_dscnt 0x0
	v_pk_mul_f32 v[8:9], v[4:5], v[2:3] op_sel:[0,1]
	s_delay_alu instid0(VALU_DEP_1) | instskip(SKIP_1) | instid1(VALU_DEP_1)
	v_pk_fma_f32 v[10:11], v[4:5], v[0:1], v[8:9] op_sel:[0,0,1] op_sel_hi:[1,1,0] neg_lo:[0,0,1] neg_hi:[0,0,1]
	v_pk_fma_f32 v[4:5], v[4:5], v[0:1], v[8:9] op_sel:[0,0,1] op_sel_hi:[1,0,0]
	v_mov_b32_e32 v11, v5
	v_pk_mul_f32 v[4:5], v[6:7], v[2:3] op_sel:[0,1]
	s_delay_alu instid0(VALU_DEP_2) | instskip(NEXT) | instid1(VALU_DEP_2)
	v_pk_add_f32 v[176:177], v[176:177], v[10:11] neg_lo:[0,1] neg_hi:[0,1]
	v_pk_fma_f32 v[8:9], v[6:7], v[0:1], v[4:5] op_sel:[0,0,1] op_sel_hi:[1,1,0] neg_lo:[0,0,1] neg_hi:[0,0,1]
	v_pk_fma_f32 v[4:5], v[6:7], v[0:1], v[4:5] op_sel:[0,0,1] op_sel_hi:[1,0,0]
	s_delay_alu instid0(VALU_DEP_1)
	v_mov_b32_e32 v9, v5
	ds_load_2addr_b64 v[4:7], v26 offset0:44 offset1:45
	v_pk_add_f32 v[172:173], v[172:173], v[8:9] neg_lo:[0,1] neg_hi:[0,1]
	s_wait_dscnt 0x0
	v_pk_mul_f32 v[8:9], v[4:5], v[2:3] op_sel:[0,1]
	v_pk_mul_f32 v[2:3], v[6:7], v[2:3] op_sel:[0,1]
	s_delay_alu instid0(VALU_DEP_2) | instskip(SKIP_1) | instid1(VALU_DEP_1)
	v_pk_fma_f32 v[10:11], v[4:5], v[0:1], v[8:9] op_sel:[0,0,1] op_sel_hi:[1,1,0] neg_lo:[0,0,1] neg_hi:[0,0,1]
	v_pk_fma_f32 v[4:5], v[4:5], v[0:1], v[8:9] op_sel:[0,0,1] op_sel_hi:[1,0,0]
	v_mov_b32_e32 v11, v5
	s_delay_alu instid0(VALU_DEP_4) | instskip(SKIP_1) | instid1(VALU_DEP_3)
	v_pk_fma_f32 v[4:5], v[6:7], v[0:1], v[2:3] op_sel:[0,0,1] op_sel_hi:[1,1,0] neg_lo:[0,0,1] neg_hi:[0,0,1]
	v_pk_fma_f32 v[0:1], v[6:7], v[0:1], v[2:3] op_sel:[0,0,1] op_sel_hi:[1,0,0]
	v_pk_add_f32 v[180:181], v[180:181], v[10:11] neg_lo:[0,1] neg_hi:[0,1]
	s_delay_alu instid0(VALU_DEP_2) | instskip(NEXT) | instid1(VALU_DEP_1)
	v_mov_b32_e32 v5, v1
	v_pk_add_f32 v[184:185], v[184:185], v[4:5] neg_lo:[0,1] neg_hi:[0,1]
.LBB91_289:
	s_or_b32 exec_lo, exec_lo, s1
	s_delay_alu instid0(SALU_CYCLE_1)
	s_mov_b32 s2, exec_lo
	s_wait_dscnt 0x0
	s_barrier_signal -1
	s_barrier_wait -1
	v_cmpx_eq_u32_e32 32, v34
	s_cbranch_execz .LBB91_296
; %bb.290:
	ds_store_b64 v35, v[144:145]
	ds_store_2addr_b64 v26, v[140:141], v[142:143] offset0:33 offset1:34
	ds_store_2addr_b64 v26, v[138:139], v[162:163] offset0:35 offset1:36
	;; [unrolled: 1-line block ×6, first 2 shown]
	ds_store_b64 v26, v[184:185] offset:360
	ds_load_b64 v[0:1], v35
	s_wait_dscnt 0x0
	v_cmp_neq_f32_e32 vcc_lo, 0, v0
	v_cmp_neq_f32_e64 s1, 0, v1
	s_or_b32 s1, vcc_lo, s1
	s_delay_alu instid0(SALU_CYCLE_1)
	s_and_b32 exec_lo, exec_lo, s1
	s_cbranch_execz .LBB91_296
; %bb.291:
	v_cmp_ngt_f32_e64 s1, |v0|, |v1|
                                        ; implicit-def: $vgpr2_vgpr3
	s_and_saveexec_b32 s4, s1
	s_delay_alu instid0(SALU_CYCLE_1)
	s_xor_b32 s1, exec_lo, s4
	s_cbranch_execz .LBB91_293
; %bb.292:
	v_div_scale_f32 v2, null, v1, v1, v0
	v_div_scale_f32 v5, vcc_lo, v0, v1, v0
	s_delay_alu instid0(VALU_DEP_2) | instskip(SKIP_1) | instid1(TRANS32_DEP_1)
	v_rcp_f32_e32 v3, v2
	v_nop
	v_fma_f32 v4, -v2, v3, 1.0
	s_delay_alu instid0(VALU_DEP_1) | instskip(NEXT) | instid1(VALU_DEP_1)
	v_fmac_f32_e32 v3, v4, v3
	v_mul_f32_e32 v4, v5, v3
	s_delay_alu instid0(VALU_DEP_1) | instskip(NEXT) | instid1(VALU_DEP_1)
	v_fma_f32 v6, -v2, v4, v5
	v_fmac_f32_e32 v4, v6, v3
	s_delay_alu instid0(VALU_DEP_1) | instskip(NEXT) | instid1(VALU_DEP_1)
	v_fma_f32 v2, -v2, v4, v5
	v_div_fmas_f32 v2, v2, v3, v4
	s_delay_alu instid0(VALU_DEP_1) | instskip(NEXT) | instid1(VALU_DEP_1)
	v_div_fixup_f32 v2, v2, v1, v0
	v_fmac_f32_e32 v1, v0, v2
	s_delay_alu instid0(VALU_DEP_1) | instskip(SKIP_1) | instid1(VALU_DEP_2)
	v_div_scale_f32 v0, null, v1, v1, 1.0
	v_div_scale_f32 v5, vcc_lo, 1.0, v1, 1.0
	v_rcp_f32_e32 v3, v0
	v_nop
	s_delay_alu instid0(TRANS32_DEP_1) | instskip(NEXT) | instid1(VALU_DEP_1)
	v_fma_f32 v4, -v0, v3, 1.0
	v_fmac_f32_e32 v3, v4, v3
	s_delay_alu instid0(VALU_DEP_1) | instskip(NEXT) | instid1(VALU_DEP_1)
	v_mul_f32_e32 v4, v5, v3
	v_fma_f32 v6, -v0, v4, v5
	s_delay_alu instid0(VALU_DEP_1) | instskip(NEXT) | instid1(VALU_DEP_1)
	v_fmac_f32_e32 v4, v6, v3
	v_fma_f32 v0, -v0, v4, v5
	s_delay_alu instid0(VALU_DEP_1) | instskip(NEXT) | instid1(VALU_DEP_1)
	v_div_fmas_f32 v0, v0, v3, v4
	v_div_fixup_f32 v0, v0, v1, 1.0
	s_delay_alu instid0(VALU_DEP_1)
	v_mul_f32_e32 v2, v2, v0
	v_xor_b32_e32 v3, 0x80000000, v0
                                        ; implicit-def: $vgpr0_vgpr1
.LBB91_293:
	s_and_not1_saveexec_b32 s1, s1
	s_cbranch_execz .LBB91_295
; %bb.294:
	v_div_scale_f32 v2, null, v0, v0, v1
	v_div_scale_f32 v5, vcc_lo, v1, v0, v1
	s_delay_alu instid0(VALU_DEP_2) | instskip(SKIP_1) | instid1(TRANS32_DEP_1)
	v_rcp_f32_e32 v3, v2
	v_nop
	v_fma_f32 v4, -v2, v3, 1.0
	s_delay_alu instid0(VALU_DEP_1) | instskip(NEXT) | instid1(VALU_DEP_1)
	v_fmac_f32_e32 v3, v4, v3
	v_mul_f32_e32 v4, v5, v3
	s_delay_alu instid0(VALU_DEP_1) | instskip(NEXT) | instid1(VALU_DEP_1)
	v_fma_f32 v6, -v2, v4, v5
	v_fmac_f32_e32 v4, v6, v3
	s_delay_alu instid0(VALU_DEP_1) | instskip(NEXT) | instid1(VALU_DEP_1)
	v_fma_f32 v2, -v2, v4, v5
	v_div_fmas_f32 v2, v2, v3, v4
	s_delay_alu instid0(VALU_DEP_1) | instskip(NEXT) | instid1(VALU_DEP_1)
	v_div_fixup_f32 v3, v2, v0, v1
	v_fmac_f32_e32 v0, v1, v3
	s_delay_alu instid0(VALU_DEP_1) | instskip(NEXT) | instid1(VALU_DEP_1)
	v_div_scale_f32 v1, null, v0, v0, 1.0
	v_rcp_f32_e32 v2, v1
	v_nop
	s_delay_alu instid0(TRANS32_DEP_1) | instskip(NEXT) | instid1(VALU_DEP_1)
	v_fma_f32 v4, -v1, v2, 1.0
	v_fmac_f32_e32 v2, v4, v2
	v_div_scale_f32 v4, vcc_lo, 1.0, v0, 1.0
	s_delay_alu instid0(VALU_DEP_1) | instskip(NEXT) | instid1(VALU_DEP_1)
	v_mul_f32_e32 v5, v4, v2
	v_fma_f32 v6, -v1, v5, v4
	s_delay_alu instid0(VALU_DEP_1) | instskip(NEXT) | instid1(VALU_DEP_1)
	v_fmac_f32_e32 v5, v6, v2
	v_fma_f32 v1, -v1, v5, v4
	s_delay_alu instid0(VALU_DEP_1) | instskip(NEXT) | instid1(VALU_DEP_1)
	v_div_fmas_f32 v1, v1, v2, v5
	v_div_fixup_f32 v2, v1, v0, 1.0
	s_delay_alu instid0(VALU_DEP_1)
	v_mul_f32_e64 v3, v3, -v2
.LBB91_295:
	s_or_b32 exec_lo, exec_lo, s1
	ds_store_b64 v35, v[2:3]
.LBB91_296:
	s_or_b32 exec_lo, exec_lo, s2
	s_wait_dscnt 0x0
	s_barrier_signal -1
	s_barrier_wait -1
	ds_load_b64 v[250:251], v35
	s_mov_b32 s1, exec_lo
	v_cmpx_lt_u32_e32 32, v34
	s_cbranch_execz .LBB91_298
; %bb.297:
	ds_load_2addr_b64 v[4:7], v26 offset0:33 offset1:34
	s_wait_dscnt 0x1
	v_pk_mul_f32 v[2:3], v[250:251], v[144:145] op_sel:[1,1] op_sel_hi:[0,1]
	s_delay_alu instid0(VALU_DEP_1) | instskip(SKIP_1) | instid1(VALU_DEP_1)
	v_pk_fma_f32 v[0:1], v[250:251], v[144:145], v[2:3] op_sel_hi:[1,0,1] neg_lo:[0,0,1] neg_hi:[0,0,1]
	v_pk_fma_f32 v[2:3], v[250:251], v[144:145], v[2:3] op_sel_hi:[1,0,1]
	v_dual_mov_b32 v144, v0 :: v_dual_mov_b32 v145, v3
	s_wait_dscnt 0x0
	s_delay_alu instid0(VALU_DEP_2) | instskip(NEXT) | instid1(VALU_DEP_1)
	v_pk_mul_f32 v[8:9], v[4:5], v[2:3] op_sel:[0,1]
	v_pk_fma_f32 v[10:11], v[4:5], v[0:1], v[8:9] op_sel:[0,0,1] op_sel_hi:[1,1,0] neg_lo:[0,0,1] neg_hi:[0,0,1]
	v_pk_fma_f32 v[4:5], v[4:5], v[0:1], v[8:9] op_sel:[0,0,1] op_sel_hi:[1,0,0]
	s_delay_alu instid0(VALU_DEP_1) | instskip(SKIP_1) | instid1(VALU_DEP_1)
	v_mov_b32_e32 v11, v5
	v_pk_mul_f32 v[4:5], v[6:7], v[2:3] op_sel:[0,1]
	v_pk_fma_f32 v[8:9], v[6:7], v[0:1], v[4:5] op_sel:[0,0,1] op_sel_hi:[1,1,0] neg_lo:[0,0,1] neg_hi:[0,0,1]
	v_pk_fma_f32 v[4:5], v[6:7], v[0:1], v[4:5] op_sel:[0,0,1] op_sel_hi:[1,0,0]
	s_delay_alu instid0(VALU_DEP_1)
	v_mov_b32_e32 v9, v5
	ds_load_2addr_b64 v[4:7], v26 offset0:35 offset1:36
	v_pk_add_f32 v[140:141], v[140:141], v[10:11] neg_lo:[0,1] neg_hi:[0,1]
	v_pk_add_f32 v[142:143], v[142:143], v[8:9] neg_lo:[0,1] neg_hi:[0,1]
	s_wait_dscnt 0x0
	v_pk_mul_f32 v[8:9], v[4:5], v[2:3] op_sel:[0,1]
	s_delay_alu instid0(VALU_DEP_1) | instskip(SKIP_2) | instid1(VALU_DEP_2)
	v_pk_fma_f32 v[10:11], v[4:5], v[0:1], v[8:9] op_sel:[0,0,1] op_sel_hi:[1,1,0] neg_lo:[0,0,1] neg_hi:[0,0,1]
	v_pk_fma_f32 v[4:5], v[4:5], v[0:1], v[8:9] op_sel:[0,0,1] op_sel_hi:[1,0,0]
	v_dual_mul_f32 v8, v7, v3 :: v_dual_mov_b32 v4, v7
	v_dual_mov_b32 v11, v5 :: v_dual_mov_b32 v5, v6
	s_delay_alu instid0(VALU_DEP_2) | instskip(SKIP_1) | instid1(VALU_DEP_3)
	v_pk_fma_f32 v[8:9], v[6:7], v[144:145], v[8:9] op_sel_hi:[1,1,0] neg_lo:[0,0,1] neg_hi:[0,0,1]
	v_mul_f32_e32 v6, v7, v0
	v_pk_add_f32 v[138:139], v[138:139], v[10:11] neg_lo:[0,1] neg_hi:[0,1]
	s_delay_alu instid0(VALU_DEP_2) | instskip(NEXT) | instid1(VALU_DEP_1)
	v_pk_fma_f32 v[4:5], v[4:5], v[144:145], v[6:7] op_sel_hi:[1,1,0]
	v_mov_b32_e32 v9, v5
	ds_load_2addr_b64 v[4:7], v26 offset0:37 offset1:38
	v_pk_add_f32 v[162:163], v[162:163], v[8:9] neg_lo:[0,1] neg_hi:[0,1]
	s_wait_dscnt 0x0
	v_pk_mul_f32 v[8:9], v[4:5], v[2:3] op_sel:[0,1]
	s_delay_alu instid0(VALU_DEP_1) | instskip(SKIP_1) | instid1(VALU_DEP_1)
	v_pk_fma_f32 v[10:11], v[4:5], v[0:1], v[8:9] op_sel:[0,0,1] op_sel_hi:[1,1,0] neg_lo:[0,0,1] neg_hi:[0,0,1]
	v_pk_fma_f32 v[4:5], v[4:5], v[0:1], v[8:9] op_sel:[0,0,1] op_sel_hi:[1,0,0]
	v_mov_b32_e32 v11, v5
	v_pk_mul_f32 v[4:5], v[6:7], v[2:3] op_sel:[0,1]
	s_delay_alu instid0(VALU_DEP_1) | instskip(SKIP_1) | instid1(VALU_DEP_1)
	v_pk_fma_f32 v[8:9], v[6:7], v[0:1], v[4:5] op_sel:[0,0,1] op_sel_hi:[1,1,0] neg_lo:[0,0,1] neg_hi:[0,0,1]
	v_pk_fma_f32 v[4:5], v[6:7], v[0:1], v[4:5] op_sel:[0,0,1] op_sel_hi:[1,0,0]
	v_mov_b32_e32 v9, v5
	ds_load_2addr_b64 v[4:7], v26 offset0:39 offset1:40
	v_pk_add_f32 v[158:159], v[158:159], v[10:11] neg_lo:[0,1] neg_hi:[0,1]
	v_pk_add_f32 v[160:161], v[160:161], v[8:9] neg_lo:[0,1] neg_hi:[0,1]
	s_wait_dscnt 0x0
	v_pk_mul_f32 v[8:9], v[4:5], v[2:3] op_sel:[0,1]
	s_delay_alu instid0(VALU_DEP_1) | instskip(SKIP_1) | instid1(VALU_DEP_1)
	v_pk_fma_f32 v[10:11], v[4:5], v[0:1], v[8:9] op_sel:[0,0,1] op_sel_hi:[1,1,0] neg_lo:[0,0,1] neg_hi:[0,0,1]
	v_pk_fma_f32 v[4:5], v[4:5], v[0:1], v[8:9] op_sel:[0,0,1] op_sel_hi:[1,0,0]
	v_mov_b32_e32 v11, v5
	v_pk_mul_f32 v[4:5], v[6:7], v[2:3] op_sel:[0,1]
	s_delay_alu instid0(VALU_DEP_1) | instskip(SKIP_1) | instid1(VALU_DEP_1)
	v_pk_fma_f32 v[8:9], v[6:7], v[0:1], v[4:5] op_sel:[0,0,1] op_sel_hi:[1,1,0] neg_lo:[0,0,1] neg_hi:[0,0,1]
	v_pk_fma_f32 v[4:5], v[6:7], v[0:1], v[4:5] op_sel:[0,0,1] op_sel_hi:[1,0,0]
	v_mov_b32_e32 v9, v5
	ds_load_2addr_b64 v[4:7], v26 offset0:41 offset1:42
	v_pk_add_f32 v[156:157], v[156:157], v[10:11] neg_lo:[0,1] neg_hi:[0,1]
	v_pk_add_f32 v[178:179], v[178:179], v[8:9] neg_lo:[0,1] neg_hi:[0,1]
	s_wait_dscnt 0x0
	v_dual_mul_f32 v8, v5, v3 :: v_dual_mul_f32 v10, v5, v0
	s_delay_alu instid0(VALU_DEP_1) | instskip(NEXT) | instid1(VALU_DEP_2)
	v_pk_fma_f32 v[8:9], v[4:5], v[144:145], v[8:9] op_sel_hi:[1,1,0] neg_lo:[0,0,1] neg_hi:[0,0,1]
	v_pk_fma_f32 v[4:5], v[4:5], v[144:145], v[10:11] op_sel:[1,0,0] op_sel_hi:[0,1,0]
	s_delay_alu instid0(VALU_DEP_1) | instskip(SKIP_1) | instid1(VALU_DEP_2)
	v_mov_b32_e32 v9, v5
	v_pk_mul_f32 v[4:5], v[6:7], v[2:3] op_sel:[0,1]
	v_pk_add_f32 v[174:175], v[174:175], v[8:9] neg_lo:[0,1] neg_hi:[0,1]
	s_delay_alu instid0(VALU_DEP_2) | instskip(SKIP_1) | instid1(VALU_DEP_1)
	v_pk_fma_f32 v[8:9], v[6:7], v[0:1], v[4:5] op_sel:[0,0,1] op_sel_hi:[1,1,0] neg_lo:[0,0,1] neg_hi:[0,0,1]
	v_pk_fma_f32 v[4:5], v[6:7], v[0:1], v[4:5] op_sel:[0,0,1] op_sel_hi:[1,0,0]
	v_mov_b32_e32 v9, v5
	ds_load_2addr_b64 v[4:7], v26 offset0:43 offset1:44
	v_pk_add_f32 v[176:177], v[176:177], v[8:9] neg_lo:[0,1] neg_hi:[0,1]
	s_wait_dscnt 0x0
	v_pk_mul_f32 v[8:9], v[4:5], v[2:3] op_sel:[0,1]
	s_delay_alu instid0(VALU_DEP_1) | instskip(SKIP_1) | instid1(VALU_DEP_1)
	v_pk_fma_f32 v[10:11], v[4:5], v[0:1], v[8:9] op_sel:[0,0,1] op_sel_hi:[1,1,0] neg_lo:[0,0,1] neg_hi:[0,0,1]
	v_pk_fma_f32 v[4:5], v[4:5], v[0:1], v[8:9] op_sel:[0,0,1] op_sel_hi:[1,0,0]
	v_mov_b32_e32 v11, v5
	v_pk_mul_f32 v[4:5], v[6:7], v[2:3] op_sel:[0,1]
	s_delay_alu instid0(VALU_DEP_2) | instskip(NEXT) | instid1(VALU_DEP_2)
	v_pk_add_f32 v[172:173], v[172:173], v[10:11] neg_lo:[0,1] neg_hi:[0,1]
	v_pk_fma_f32 v[8:9], v[6:7], v[0:1], v[4:5] op_sel:[0,0,1] op_sel_hi:[1,1,0] neg_lo:[0,0,1] neg_hi:[0,0,1]
	v_pk_fma_f32 v[4:5], v[6:7], v[0:1], v[4:5] op_sel:[0,0,1] op_sel_hi:[1,0,0]
	s_delay_alu instid0(VALU_DEP_1) | instskip(SKIP_4) | instid1(VALU_DEP_1)
	v_mov_b32_e32 v9, v5
	ds_load_b64 v[4:5], v26 offset:360
	v_pk_add_f32 v[180:181], v[180:181], v[8:9] neg_lo:[0,1] neg_hi:[0,1]
	s_wait_dscnt 0x0
	v_pk_mul_f32 v[2:3], v[4:5], v[2:3] op_sel:[0,1]
	v_pk_fma_f32 v[6:7], v[4:5], v[0:1], v[2:3] op_sel:[0,0,1] op_sel_hi:[1,1,0] neg_lo:[0,0,1] neg_hi:[0,0,1]
	v_pk_fma_f32 v[0:1], v[4:5], v[0:1], v[2:3] op_sel:[0,0,1] op_sel_hi:[1,0,0]
	s_delay_alu instid0(VALU_DEP_1) | instskip(NEXT) | instid1(VALU_DEP_1)
	v_mov_b32_e32 v7, v1
	v_pk_add_f32 v[184:185], v[184:185], v[6:7] neg_lo:[0,1] neg_hi:[0,1]
.LBB91_298:
	s_or_b32 exec_lo, exec_lo, s1
	s_delay_alu instid0(SALU_CYCLE_1)
	s_mov_b32 s2, exec_lo
	s_wait_dscnt 0x0
	s_barrier_signal -1
	s_barrier_wait -1
	v_cmpx_eq_u32_e32 33, v34
	s_cbranch_execz .LBB91_305
; %bb.299:
	v_dual_mov_b32 v0, v142 :: v_dual_mov_b32 v1, v143
	v_dual_mov_b32 v2, v138 :: v_dual_mov_b32 v3, v139
	ds_store_b64 v35, v[140:141]
	ds_store_2addr_b64 v26, v[0:1], v[2:3] offset0:34 offset1:35
	v_dual_mov_b32 v0, v162 :: v_dual_mov_b32 v1, v163
	v_dual_mov_b32 v2, v158 :: v_dual_mov_b32 v3, v159
	ds_store_2addr_b64 v26, v[0:1], v[2:3] offset0:36 offset1:37
	v_dual_mov_b32 v0, v160 :: v_dual_mov_b32 v1, v161
	v_dual_mov_b32 v2, v156 :: v_dual_mov_b32 v3, v157
	;; [unrolled: 3-line block ×4, first 2 shown]
	ds_store_2addr_b64 v26, v[0:1], v[2:3] offset0:42 offset1:43
	v_dual_mov_b32 v0, v180 :: v_dual_mov_b32 v1, v181
	ds_store_2addr_b64 v26, v[0:1], v[184:185] offset0:44 offset1:45
	ds_load_b64 v[0:1], v35
	s_wait_dscnt 0x0
	v_cmp_neq_f32_e32 vcc_lo, 0, v0
	v_cmp_neq_f32_e64 s1, 0, v1
	s_or_b32 s1, vcc_lo, s1
	s_delay_alu instid0(SALU_CYCLE_1)
	s_and_b32 exec_lo, exec_lo, s1
	s_cbranch_execz .LBB91_305
; %bb.300:
	v_cmp_ngt_f32_e64 s1, |v0|, |v1|
                                        ; implicit-def: $vgpr2_vgpr3
	s_and_saveexec_b32 s4, s1
	s_delay_alu instid0(SALU_CYCLE_1)
	s_xor_b32 s1, exec_lo, s4
	s_cbranch_execz .LBB91_302
; %bb.301:
	v_div_scale_f32 v2, null, v1, v1, v0
	v_div_scale_f32 v5, vcc_lo, v0, v1, v0
	s_delay_alu instid0(VALU_DEP_2) | instskip(SKIP_1) | instid1(TRANS32_DEP_1)
	v_rcp_f32_e32 v3, v2
	v_nop
	v_fma_f32 v4, -v2, v3, 1.0
	s_delay_alu instid0(VALU_DEP_1) | instskip(NEXT) | instid1(VALU_DEP_1)
	v_fmac_f32_e32 v3, v4, v3
	v_mul_f32_e32 v4, v5, v3
	s_delay_alu instid0(VALU_DEP_1) | instskip(NEXT) | instid1(VALU_DEP_1)
	v_fma_f32 v6, -v2, v4, v5
	v_fmac_f32_e32 v4, v6, v3
	s_delay_alu instid0(VALU_DEP_1) | instskip(NEXT) | instid1(VALU_DEP_1)
	v_fma_f32 v2, -v2, v4, v5
	v_div_fmas_f32 v2, v2, v3, v4
	s_delay_alu instid0(VALU_DEP_1) | instskip(NEXT) | instid1(VALU_DEP_1)
	v_div_fixup_f32 v2, v2, v1, v0
	v_fmac_f32_e32 v1, v0, v2
	s_delay_alu instid0(VALU_DEP_1) | instskip(SKIP_1) | instid1(VALU_DEP_2)
	v_div_scale_f32 v0, null, v1, v1, 1.0
	v_div_scale_f32 v5, vcc_lo, 1.0, v1, 1.0
	v_rcp_f32_e32 v3, v0
	v_nop
	s_delay_alu instid0(TRANS32_DEP_1) | instskip(NEXT) | instid1(VALU_DEP_1)
	v_fma_f32 v4, -v0, v3, 1.0
	v_fmac_f32_e32 v3, v4, v3
	s_delay_alu instid0(VALU_DEP_1) | instskip(NEXT) | instid1(VALU_DEP_1)
	v_mul_f32_e32 v4, v5, v3
	v_fma_f32 v6, -v0, v4, v5
	s_delay_alu instid0(VALU_DEP_1) | instskip(NEXT) | instid1(VALU_DEP_1)
	v_fmac_f32_e32 v4, v6, v3
	v_fma_f32 v0, -v0, v4, v5
	s_delay_alu instid0(VALU_DEP_1) | instskip(NEXT) | instid1(VALU_DEP_1)
	v_div_fmas_f32 v0, v0, v3, v4
	v_div_fixup_f32 v0, v0, v1, 1.0
	s_delay_alu instid0(VALU_DEP_1)
	v_mul_f32_e32 v2, v2, v0
	v_xor_b32_e32 v3, 0x80000000, v0
                                        ; implicit-def: $vgpr0_vgpr1
.LBB91_302:
	s_and_not1_saveexec_b32 s1, s1
	s_cbranch_execz .LBB91_304
; %bb.303:
	v_div_scale_f32 v2, null, v0, v0, v1
	v_div_scale_f32 v5, vcc_lo, v1, v0, v1
	s_delay_alu instid0(VALU_DEP_2) | instskip(SKIP_1) | instid1(TRANS32_DEP_1)
	v_rcp_f32_e32 v3, v2
	v_nop
	v_fma_f32 v4, -v2, v3, 1.0
	s_delay_alu instid0(VALU_DEP_1) | instskip(NEXT) | instid1(VALU_DEP_1)
	v_fmac_f32_e32 v3, v4, v3
	v_mul_f32_e32 v4, v5, v3
	s_delay_alu instid0(VALU_DEP_1) | instskip(NEXT) | instid1(VALU_DEP_1)
	v_fma_f32 v6, -v2, v4, v5
	v_fmac_f32_e32 v4, v6, v3
	s_delay_alu instid0(VALU_DEP_1) | instskip(NEXT) | instid1(VALU_DEP_1)
	v_fma_f32 v2, -v2, v4, v5
	v_div_fmas_f32 v2, v2, v3, v4
	s_delay_alu instid0(VALU_DEP_1) | instskip(NEXT) | instid1(VALU_DEP_1)
	v_div_fixup_f32 v3, v2, v0, v1
	v_fmac_f32_e32 v0, v1, v3
	s_delay_alu instid0(VALU_DEP_1) | instskip(NEXT) | instid1(VALU_DEP_1)
	v_div_scale_f32 v1, null, v0, v0, 1.0
	v_rcp_f32_e32 v2, v1
	v_nop
	s_delay_alu instid0(TRANS32_DEP_1) | instskip(NEXT) | instid1(VALU_DEP_1)
	v_fma_f32 v4, -v1, v2, 1.0
	v_fmac_f32_e32 v2, v4, v2
	v_div_scale_f32 v4, vcc_lo, 1.0, v0, 1.0
	s_delay_alu instid0(VALU_DEP_1) | instskip(NEXT) | instid1(VALU_DEP_1)
	v_mul_f32_e32 v5, v4, v2
	v_fma_f32 v6, -v1, v5, v4
	s_delay_alu instid0(VALU_DEP_1) | instskip(NEXT) | instid1(VALU_DEP_1)
	v_fmac_f32_e32 v5, v6, v2
	v_fma_f32 v1, -v1, v5, v4
	s_delay_alu instid0(VALU_DEP_1) | instskip(NEXT) | instid1(VALU_DEP_1)
	v_div_fmas_f32 v1, v1, v2, v5
	v_div_fixup_f32 v2, v1, v0, 1.0
	s_delay_alu instid0(VALU_DEP_1)
	v_mul_f32_e64 v3, v3, -v2
.LBB91_304:
	s_or_b32 exec_lo, exec_lo, s1
	ds_store_b64 v35, v[2:3]
.LBB91_305:
	s_or_b32 exec_lo, exec_lo, s2
	s_wait_dscnt 0x0
	s_barrier_signal -1
	s_barrier_wait -1
	ds_load_b64 v[252:253], v35
	s_mov_b32 s1, exec_lo
	v_cmpx_lt_u32_e32 33, v34
	s_cbranch_execz .LBB91_307
; %bb.306:
	ds_load_2addr_b64 v[4:7], v26 offset0:34 offset1:35
	s_wait_dscnt 0x1
	v_pk_mul_f32 v[2:3], v[252:253], v[140:141] op_sel:[1,1] op_sel_hi:[0,1]
	s_delay_alu instid0(VALU_DEP_1) | instskip(SKIP_1) | instid1(VALU_DEP_1)
	v_pk_fma_f32 v[0:1], v[252:253], v[140:141], v[2:3] op_sel_hi:[1,0,1] neg_lo:[0,0,1] neg_hi:[0,0,1]
	v_pk_fma_f32 v[2:3], v[252:253], v[140:141], v[2:3] op_sel_hi:[1,0,1]
	v_dual_mov_b32 v140, v0 :: v_dual_mov_b32 v141, v3
	s_wait_dscnt 0x0
	s_delay_alu instid0(VALU_DEP_2) | instskip(NEXT) | instid1(VALU_DEP_1)
	v_pk_mul_f32 v[8:9], v[4:5], v[2:3] op_sel:[0,1]
	v_pk_fma_f32 v[10:11], v[4:5], v[0:1], v[8:9] op_sel:[0,0,1] op_sel_hi:[1,1,0] neg_lo:[0,0,1] neg_hi:[0,0,1]
	v_pk_fma_f32 v[4:5], v[4:5], v[0:1], v[8:9] op_sel:[0,0,1] op_sel_hi:[1,0,0]
	s_delay_alu instid0(VALU_DEP_1) | instskip(SKIP_1) | instid1(VALU_DEP_1)
	v_mov_b32_e32 v11, v5
	v_pk_mul_f32 v[4:5], v[6:7], v[2:3] op_sel:[0,1]
	v_pk_fma_f32 v[8:9], v[6:7], v[0:1], v[4:5] op_sel:[0,0,1] op_sel_hi:[1,1,0] neg_lo:[0,0,1] neg_hi:[0,0,1]
	v_pk_fma_f32 v[4:5], v[6:7], v[0:1], v[4:5] op_sel:[0,0,1] op_sel_hi:[1,0,0]
	s_delay_alu instid0(VALU_DEP_1)
	v_mov_b32_e32 v9, v5
	ds_load_2addr_b64 v[4:7], v26 offset0:36 offset1:37
	v_pk_add_f32 v[142:143], v[142:143], v[10:11] neg_lo:[0,1] neg_hi:[0,1]
	v_pk_add_f32 v[138:139], v[138:139], v[8:9] neg_lo:[0,1] neg_hi:[0,1]
	s_wait_dscnt 0x0
	v_pk_mul_f32 v[8:9], v[4:5], v[2:3] op_sel:[0,1]
	s_delay_alu instid0(VALU_DEP_1) | instskip(SKIP_2) | instid1(VALU_DEP_2)
	v_pk_fma_f32 v[10:11], v[4:5], v[0:1], v[8:9] op_sel:[0,0,1] op_sel_hi:[1,1,0] neg_lo:[0,0,1] neg_hi:[0,0,1]
	v_pk_fma_f32 v[4:5], v[4:5], v[0:1], v[8:9] op_sel:[0,0,1] op_sel_hi:[1,0,0]
	v_dual_mul_f32 v8, v7, v3 :: v_dual_mov_b32 v4, v7
	v_dual_mov_b32 v11, v5 :: v_dual_mov_b32 v5, v6
	s_delay_alu instid0(VALU_DEP_2) | instskip(SKIP_1) | instid1(VALU_DEP_3)
	v_pk_fma_f32 v[8:9], v[6:7], v[140:141], v[8:9] op_sel_hi:[1,1,0] neg_lo:[0,0,1] neg_hi:[0,0,1]
	v_mul_f32_e32 v6, v7, v0
	v_pk_add_f32 v[162:163], v[162:163], v[10:11] neg_lo:[0,1] neg_hi:[0,1]
	s_delay_alu instid0(VALU_DEP_2) | instskip(NEXT) | instid1(VALU_DEP_1)
	v_pk_fma_f32 v[4:5], v[4:5], v[140:141], v[6:7] op_sel_hi:[1,1,0]
	v_mov_b32_e32 v9, v5
	ds_load_2addr_b64 v[4:7], v26 offset0:38 offset1:39
	v_pk_add_f32 v[158:159], v[158:159], v[8:9] neg_lo:[0,1] neg_hi:[0,1]
	s_wait_dscnt 0x0
	v_pk_mul_f32 v[8:9], v[4:5], v[2:3] op_sel:[0,1]
	s_delay_alu instid0(VALU_DEP_1) | instskip(SKIP_1) | instid1(VALU_DEP_1)
	v_pk_fma_f32 v[10:11], v[4:5], v[0:1], v[8:9] op_sel:[0,0,1] op_sel_hi:[1,1,0] neg_lo:[0,0,1] neg_hi:[0,0,1]
	v_pk_fma_f32 v[4:5], v[4:5], v[0:1], v[8:9] op_sel:[0,0,1] op_sel_hi:[1,0,0]
	v_mov_b32_e32 v11, v5
	v_pk_mul_f32 v[4:5], v[6:7], v[2:3] op_sel:[0,1]
	s_delay_alu instid0(VALU_DEP_1) | instskip(SKIP_1) | instid1(VALU_DEP_1)
	v_pk_fma_f32 v[8:9], v[6:7], v[0:1], v[4:5] op_sel:[0,0,1] op_sel_hi:[1,1,0] neg_lo:[0,0,1] neg_hi:[0,0,1]
	v_pk_fma_f32 v[4:5], v[6:7], v[0:1], v[4:5] op_sel:[0,0,1] op_sel_hi:[1,0,0]
	v_mov_b32_e32 v9, v5
	ds_load_2addr_b64 v[4:7], v26 offset0:40 offset1:41
	v_pk_add_f32 v[160:161], v[160:161], v[10:11] neg_lo:[0,1] neg_hi:[0,1]
	v_pk_add_f32 v[156:157], v[156:157], v[8:9] neg_lo:[0,1] neg_hi:[0,1]
	s_wait_dscnt 0x0
	v_pk_mul_f32 v[8:9], v[4:5], v[2:3] op_sel:[0,1]
	s_delay_alu instid0(VALU_DEP_1) | instskip(SKIP_1) | instid1(VALU_DEP_1)
	v_pk_fma_f32 v[10:11], v[4:5], v[0:1], v[8:9] op_sel:[0,0,1] op_sel_hi:[1,1,0] neg_lo:[0,0,1] neg_hi:[0,0,1]
	v_pk_fma_f32 v[4:5], v[4:5], v[0:1], v[8:9] op_sel:[0,0,1] op_sel_hi:[1,0,0]
	v_mov_b32_e32 v11, v5
	v_pk_mul_f32 v[4:5], v[6:7], v[2:3] op_sel:[0,1]
	s_delay_alu instid0(VALU_DEP_1) | instskip(SKIP_1) | instid1(VALU_DEP_1)
	v_pk_fma_f32 v[8:9], v[6:7], v[0:1], v[4:5] op_sel:[0,0,1] op_sel_hi:[1,1,0] neg_lo:[0,0,1] neg_hi:[0,0,1]
	v_pk_fma_f32 v[4:5], v[6:7], v[0:1], v[4:5] op_sel:[0,0,1] op_sel_hi:[1,0,0]
	v_mov_b32_e32 v9, v5
	ds_load_2addr_b64 v[4:7], v26 offset0:42 offset1:43
	v_pk_add_f32 v[178:179], v[178:179], v[10:11] neg_lo:[0,1] neg_hi:[0,1]
	v_pk_add_f32 v[174:175], v[174:175], v[8:9] neg_lo:[0,1] neg_hi:[0,1]
	s_wait_dscnt 0x0
	v_dual_mul_f32 v8, v5, v3 :: v_dual_mul_f32 v10, v5, v0
	s_delay_alu instid0(VALU_DEP_1) | instskip(NEXT) | instid1(VALU_DEP_2)
	v_pk_fma_f32 v[8:9], v[4:5], v[140:141], v[8:9] op_sel_hi:[1,1,0] neg_lo:[0,0,1] neg_hi:[0,0,1]
	v_pk_fma_f32 v[4:5], v[4:5], v[140:141], v[10:11] op_sel:[1,0,0] op_sel_hi:[0,1,0]
	s_delay_alu instid0(VALU_DEP_1) | instskip(SKIP_1) | instid1(VALU_DEP_2)
	v_mov_b32_e32 v9, v5
	v_pk_mul_f32 v[4:5], v[6:7], v[2:3] op_sel:[0,1]
	v_pk_add_f32 v[176:177], v[176:177], v[8:9] neg_lo:[0,1] neg_hi:[0,1]
	s_delay_alu instid0(VALU_DEP_2) | instskip(SKIP_1) | instid1(VALU_DEP_1)
	v_pk_fma_f32 v[8:9], v[6:7], v[0:1], v[4:5] op_sel:[0,0,1] op_sel_hi:[1,1,0] neg_lo:[0,0,1] neg_hi:[0,0,1]
	v_pk_fma_f32 v[4:5], v[6:7], v[0:1], v[4:5] op_sel:[0,0,1] op_sel_hi:[1,0,0]
	v_mov_b32_e32 v9, v5
	ds_load_2addr_b64 v[4:7], v26 offset0:44 offset1:45
	v_pk_add_f32 v[172:173], v[172:173], v[8:9] neg_lo:[0,1] neg_hi:[0,1]
	s_wait_dscnt 0x0
	v_pk_mul_f32 v[8:9], v[4:5], v[2:3] op_sel:[0,1]
	v_mul_f32_e32 v2, v7, v3
	s_delay_alu instid0(VALU_DEP_2) | instskip(SKIP_2) | instid1(VALU_DEP_4)
	v_pk_fma_f32 v[10:11], v[4:5], v[0:1], v[8:9] op_sel:[0,0,1] op_sel_hi:[1,1,0] neg_lo:[0,0,1] neg_hi:[0,0,1]
	v_pk_fma_f32 v[4:5], v[4:5], v[0:1], v[8:9] op_sel:[0,0,1] op_sel_hi:[1,0,0]
	v_dual_mov_b32 v4, v7 :: v_dual_mul_f32 v0, v7, v0
	v_pk_fma_f32 v[2:3], v[6:7], v[140:141], v[2:3] op_sel_hi:[1,1,0] neg_lo:[0,0,1] neg_hi:[0,0,1]
	s_delay_alu instid0(VALU_DEP_3) | instskip(NEXT) | instid1(VALU_DEP_1)
	v_dual_mov_b32 v11, v5 :: v_dual_mov_b32 v5, v6
	v_pk_add_f32 v[180:181], v[180:181], v[10:11] neg_lo:[0,1] neg_hi:[0,1]
	s_delay_alu instid0(VALU_DEP_2) | instskip(NEXT) | instid1(VALU_DEP_1)
	v_pk_fma_f32 v[0:1], v[4:5], v[140:141], v[0:1] op_sel_hi:[1,1,0]
	v_mov_b32_e32 v3, v1
	s_delay_alu instid0(VALU_DEP_1)
	v_pk_add_f32 v[184:185], v[184:185], v[2:3] neg_lo:[0,1] neg_hi:[0,1]
.LBB91_307:
	s_or_b32 exec_lo, exec_lo, s1
	s_delay_alu instid0(SALU_CYCLE_1)
	s_mov_b32 s2, exec_lo
	s_wait_dscnt 0x0
	s_barrier_signal -1
	s_barrier_wait -1
	v_cmpx_eq_u32_e32 34, v34
	s_cbranch_execz .LBB91_314
; %bb.308:
	ds_store_b64 v35, v[142:143]
	ds_store_2addr_b64 v26, v[138:139], v[162:163] offset0:35 offset1:36
	ds_store_2addr_b64 v26, v[158:159], v[160:161] offset0:37 offset1:38
	;; [unrolled: 1-line block ×5, first 2 shown]
	ds_store_b64 v26, v[184:185] offset:360
	ds_load_b64 v[0:1], v35
	s_wait_dscnt 0x0
	v_cmp_neq_f32_e32 vcc_lo, 0, v0
	v_cmp_neq_f32_e64 s1, 0, v1
	s_or_b32 s1, vcc_lo, s1
	s_delay_alu instid0(SALU_CYCLE_1)
	s_and_b32 exec_lo, exec_lo, s1
	s_cbranch_execz .LBB91_314
; %bb.309:
	v_cmp_ngt_f32_e64 s1, |v0|, |v1|
                                        ; implicit-def: $vgpr2_vgpr3
	s_and_saveexec_b32 s4, s1
	s_delay_alu instid0(SALU_CYCLE_1)
	s_xor_b32 s1, exec_lo, s4
	s_cbranch_execz .LBB91_311
; %bb.310:
	v_div_scale_f32 v2, null, v1, v1, v0
	v_div_scale_f32 v5, vcc_lo, v0, v1, v0
	s_delay_alu instid0(VALU_DEP_2) | instskip(SKIP_1) | instid1(TRANS32_DEP_1)
	v_rcp_f32_e32 v3, v2
	v_nop
	v_fma_f32 v4, -v2, v3, 1.0
	s_delay_alu instid0(VALU_DEP_1) | instskip(NEXT) | instid1(VALU_DEP_1)
	v_fmac_f32_e32 v3, v4, v3
	v_mul_f32_e32 v4, v5, v3
	s_delay_alu instid0(VALU_DEP_1) | instskip(NEXT) | instid1(VALU_DEP_1)
	v_fma_f32 v6, -v2, v4, v5
	v_fmac_f32_e32 v4, v6, v3
	s_delay_alu instid0(VALU_DEP_1) | instskip(NEXT) | instid1(VALU_DEP_1)
	v_fma_f32 v2, -v2, v4, v5
	v_div_fmas_f32 v2, v2, v3, v4
	s_delay_alu instid0(VALU_DEP_1) | instskip(NEXT) | instid1(VALU_DEP_1)
	v_div_fixup_f32 v2, v2, v1, v0
	v_fmac_f32_e32 v1, v0, v2
	s_delay_alu instid0(VALU_DEP_1) | instskip(SKIP_1) | instid1(VALU_DEP_2)
	v_div_scale_f32 v0, null, v1, v1, 1.0
	v_div_scale_f32 v5, vcc_lo, 1.0, v1, 1.0
	v_rcp_f32_e32 v3, v0
	v_nop
	s_delay_alu instid0(TRANS32_DEP_1) | instskip(NEXT) | instid1(VALU_DEP_1)
	v_fma_f32 v4, -v0, v3, 1.0
	v_fmac_f32_e32 v3, v4, v3
	s_delay_alu instid0(VALU_DEP_1) | instskip(NEXT) | instid1(VALU_DEP_1)
	v_mul_f32_e32 v4, v5, v3
	v_fma_f32 v6, -v0, v4, v5
	s_delay_alu instid0(VALU_DEP_1) | instskip(NEXT) | instid1(VALU_DEP_1)
	v_fmac_f32_e32 v4, v6, v3
	v_fma_f32 v0, -v0, v4, v5
	s_delay_alu instid0(VALU_DEP_1) | instskip(NEXT) | instid1(VALU_DEP_1)
	v_div_fmas_f32 v0, v0, v3, v4
	v_div_fixup_f32 v0, v0, v1, 1.0
	s_delay_alu instid0(VALU_DEP_1)
	v_mul_f32_e32 v2, v2, v0
	v_xor_b32_e32 v3, 0x80000000, v0
                                        ; implicit-def: $vgpr0_vgpr1
.LBB91_311:
	s_and_not1_saveexec_b32 s1, s1
	s_cbranch_execz .LBB91_313
; %bb.312:
	v_div_scale_f32 v2, null, v0, v0, v1
	v_div_scale_f32 v5, vcc_lo, v1, v0, v1
	s_delay_alu instid0(VALU_DEP_2) | instskip(SKIP_1) | instid1(TRANS32_DEP_1)
	v_rcp_f32_e32 v3, v2
	v_nop
	v_fma_f32 v4, -v2, v3, 1.0
	s_delay_alu instid0(VALU_DEP_1) | instskip(NEXT) | instid1(VALU_DEP_1)
	v_fmac_f32_e32 v3, v4, v3
	v_mul_f32_e32 v4, v5, v3
	s_delay_alu instid0(VALU_DEP_1) | instskip(NEXT) | instid1(VALU_DEP_1)
	v_fma_f32 v6, -v2, v4, v5
	v_fmac_f32_e32 v4, v6, v3
	s_delay_alu instid0(VALU_DEP_1) | instskip(NEXT) | instid1(VALU_DEP_1)
	v_fma_f32 v2, -v2, v4, v5
	v_div_fmas_f32 v2, v2, v3, v4
	s_delay_alu instid0(VALU_DEP_1) | instskip(NEXT) | instid1(VALU_DEP_1)
	v_div_fixup_f32 v3, v2, v0, v1
	v_fmac_f32_e32 v0, v1, v3
	s_delay_alu instid0(VALU_DEP_1) | instskip(NEXT) | instid1(VALU_DEP_1)
	v_div_scale_f32 v1, null, v0, v0, 1.0
	v_rcp_f32_e32 v2, v1
	v_nop
	s_delay_alu instid0(TRANS32_DEP_1) | instskip(NEXT) | instid1(VALU_DEP_1)
	v_fma_f32 v4, -v1, v2, 1.0
	v_fmac_f32_e32 v2, v4, v2
	v_div_scale_f32 v4, vcc_lo, 1.0, v0, 1.0
	s_delay_alu instid0(VALU_DEP_1) | instskip(NEXT) | instid1(VALU_DEP_1)
	v_mul_f32_e32 v5, v4, v2
	v_fma_f32 v6, -v1, v5, v4
	s_delay_alu instid0(VALU_DEP_1) | instskip(NEXT) | instid1(VALU_DEP_1)
	v_fmac_f32_e32 v5, v6, v2
	v_fma_f32 v1, -v1, v5, v4
	s_delay_alu instid0(VALU_DEP_1) | instskip(NEXT) | instid1(VALU_DEP_1)
	v_div_fmas_f32 v1, v1, v2, v5
	v_div_fixup_f32 v2, v1, v0, 1.0
	s_delay_alu instid0(VALU_DEP_1)
	v_mul_f32_e64 v3, v3, -v2
.LBB91_313:
	s_or_b32 exec_lo, exec_lo, s1
	ds_store_b64 v35, v[2:3]
.LBB91_314:
	s_or_b32 exec_lo, exec_lo, s2
	s_wait_dscnt 0x0
	s_barrier_signal -1
	s_barrier_wait -1
	ds_load_b64 v[254:255], v35
	s_mov_b32 s1, exec_lo
	v_cmpx_lt_u32_e32 34, v34
	s_cbranch_execz .LBB91_316
; %bb.315:
	ds_load_2addr_b64 v[4:7], v26 offset0:35 offset1:36
	s_wait_dscnt 0x1
	v_pk_mul_f32 v[2:3], v[254:255], v[142:143] op_sel:[1,1] op_sel_hi:[0,1]
	s_delay_alu instid0(VALU_DEP_1) | instskip(SKIP_1) | instid1(VALU_DEP_1)
	v_pk_fma_f32 v[0:1], v[254:255], v[142:143], v[2:3] op_sel_hi:[1,0,1] neg_lo:[0,0,1] neg_hi:[0,0,1]
	v_pk_fma_f32 v[2:3], v[254:255], v[142:143], v[2:3] op_sel_hi:[1,0,1]
	v_dual_mov_b32 v142, v0 :: v_dual_mov_b32 v143, v3
	s_wait_dscnt 0x0
	s_delay_alu instid0(VALU_DEP_2) | instskip(NEXT) | instid1(VALU_DEP_1)
	v_pk_mul_f32 v[8:9], v[4:5], v[2:3] op_sel:[0,1]
	v_pk_fma_f32 v[10:11], v[4:5], v[0:1], v[8:9] op_sel:[0,0,1] op_sel_hi:[1,1,0] neg_lo:[0,0,1] neg_hi:[0,0,1]
	v_pk_fma_f32 v[4:5], v[4:5], v[0:1], v[8:9] op_sel:[0,0,1] op_sel_hi:[1,0,0]
	s_delay_alu instid0(VALU_DEP_1) | instskip(SKIP_1) | instid1(VALU_DEP_1)
	v_mov_b32_e32 v11, v5
	v_pk_mul_f32 v[4:5], v[6:7], v[2:3] op_sel:[0,1]
	v_pk_fma_f32 v[8:9], v[6:7], v[0:1], v[4:5] op_sel:[0,0,1] op_sel_hi:[1,1,0] neg_lo:[0,0,1] neg_hi:[0,0,1]
	v_pk_fma_f32 v[4:5], v[6:7], v[0:1], v[4:5] op_sel:[0,0,1] op_sel_hi:[1,0,0]
	s_delay_alu instid0(VALU_DEP_1)
	v_mov_b32_e32 v9, v5
	ds_load_2addr_b64 v[4:7], v26 offset0:37 offset1:38
	v_pk_add_f32 v[138:139], v[138:139], v[10:11] neg_lo:[0,1] neg_hi:[0,1]
	v_pk_add_f32 v[162:163], v[162:163], v[8:9] neg_lo:[0,1] neg_hi:[0,1]
	s_wait_dscnt 0x0
	v_pk_mul_f32 v[8:9], v[4:5], v[2:3] op_sel:[0,1]
	s_delay_alu instid0(VALU_DEP_1) | instskip(SKIP_2) | instid1(VALU_DEP_2)
	v_pk_fma_f32 v[10:11], v[4:5], v[0:1], v[8:9] op_sel:[0,0,1] op_sel_hi:[1,1,0] neg_lo:[0,0,1] neg_hi:[0,0,1]
	v_pk_fma_f32 v[4:5], v[4:5], v[0:1], v[8:9] op_sel:[0,0,1] op_sel_hi:[1,0,0]
	v_dual_mul_f32 v8, v7, v3 :: v_dual_mov_b32 v4, v7
	v_dual_mov_b32 v11, v5 :: v_dual_mov_b32 v5, v6
	s_delay_alu instid0(VALU_DEP_2) | instskip(SKIP_1) | instid1(VALU_DEP_3)
	v_pk_fma_f32 v[8:9], v[6:7], v[142:143], v[8:9] op_sel_hi:[1,1,0] neg_lo:[0,0,1] neg_hi:[0,0,1]
	v_mul_f32_e32 v6, v7, v0
	v_pk_add_f32 v[158:159], v[158:159], v[10:11] neg_lo:[0,1] neg_hi:[0,1]
	s_delay_alu instid0(VALU_DEP_2) | instskip(NEXT) | instid1(VALU_DEP_1)
	v_pk_fma_f32 v[4:5], v[4:5], v[142:143], v[6:7] op_sel_hi:[1,1,0]
	v_mov_b32_e32 v9, v5
	ds_load_2addr_b64 v[4:7], v26 offset0:39 offset1:40
	v_pk_add_f32 v[160:161], v[160:161], v[8:9] neg_lo:[0,1] neg_hi:[0,1]
	s_wait_dscnt 0x0
	v_pk_mul_f32 v[8:9], v[4:5], v[2:3] op_sel:[0,1]
	s_delay_alu instid0(VALU_DEP_1) | instskip(SKIP_1) | instid1(VALU_DEP_1)
	v_pk_fma_f32 v[10:11], v[4:5], v[0:1], v[8:9] op_sel:[0,0,1] op_sel_hi:[1,1,0] neg_lo:[0,0,1] neg_hi:[0,0,1]
	v_pk_fma_f32 v[4:5], v[4:5], v[0:1], v[8:9] op_sel:[0,0,1] op_sel_hi:[1,0,0]
	v_mov_b32_e32 v11, v5
	v_pk_mul_f32 v[4:5], v[6:7], v[2:3] op_sel:[0,1]
	s_delay_alu instid0(VALU_DEP_1) | instskip(SKIP_1) | instid1(VALU_DEP_1)
	v_pk_fma_f32 v[8:9], v[6:7], v[0:1], v[4:5] op_sel:[0,0,1] op_sel_hi:[1,1,0] neg_lo:[0,0,1] neg_hi:[0,0,1]
	v_pk_fma_f32 v[4:5], v[6:7], v[0:1], v[4:5] op_sel:[0,0,1] op_sel_hi:[1,0,0]
	v_mov_b32_e32 v9, v5
	ds_load_2addr_b64 v[4:7], v26 offset0:41 offset1:42
	v_pk_add_f32 v[156:157], v[156:157], v[10:11] neg_lo:[0,1] neg_hi:[0,1]
	v_pk_add_f32 v[178:179], v[178:179], v[8:9] neg_lo:[0,1] neg_hi:[0,1]
	s_wait_dscnt 0x0
	v_pk_mul_f32 v[8:9], v[4:5], v[2:3] op_sel:[0,1]
	s_delay_alu instid0(VALU_DEP_1) | instskip(SKIP_1) | instid1(VALU_DEP_1)
	v_pk_fma_f32 v[10:11], v[4:5], v[0:1], v[8:9] op_sel:[0,0,1] op_sel_hi:[1,1,0] neg_lo:[0,0,1] neg_hi:[0,0,1]
	v_pk_fma_f32 v[4:5], v[4:5], v[0:1], v[8:9] op_sel:[0,0,1] op_sel_hi:[1,0,0]
	v_mov_b32_e32 v11, v5
	v_pk_mul_f32 v[4:5], v[6:7], v[2:3] op_sel:[0,1]
	s_delay_alu instid0(VALU_DEP_1) | instskip(SKIP_1) | instid1(VALU_DEP_1)
	v_pk_fma_f32 v[8:9], v[6:7], v[0:1], v[4:5] op_sel:[0,0,1] op_sel_hi:[1,1,0] neg_lo:[0,0,1] neg_hi:[0,0,1]
	v_pk_fma_f32 v[4:5], v[6:7], v[0:1], v[4:5] op_sel:[0,0,1] op_sel_hi:[1,0,0]
	v_mov_b32_e32 v9, v5
	ds_load_2addr_b64 v[4:7], v26 offset0:43 offset1:44
	v_pk_add_f32 v[174:175], v[174:175], v[10:11] neg_lo:[0,1] neg_hi:[0,1]
	v_pk_add_f32 v[176:177], v[176:177], v[8:9] neg_lo:[0,1] neg_hi:[0,1]
	s_wait_dscnt 0x0
	v_dual_mul_f32 v8, v5, v3 :: v_dual_mul_f32 v10, v5, v0
	s_delay_alu instid0(VALU_DEP_1) | instskip(NEXT) | instid1(VALU_DEP_2)
	v_pk_fma_f32 v[8:9], v[4:5], v[142:143], v[8:9] op_sel_hi:[1,1,0] neg_lo:[0,0,1] neg_hi:[0,0,1]
	v_pk_fma_f32 v[4:5], v[4:5], v[142:143], v[10:11] op_sel:[1,0,0] op_sel_hi:[0,1,0]
	s_delay_alu instid0(VALU_DEP_1) | instskip(SKIP_1) | instid1(VALU_DEP_2)
	v_mov_b32_e32 v9, v5
	v_pk_mul_f32 v[4:5], v[6:7], v[2:3] op_sel:[0,1]
	v_pk_add_f32 v[172:173], v[172:173], v[8:9] neg_lo:[0,1] neg_hi:[0,1]
	s_delay_alu instid0(VALU_DEP_2) | instskip(SKIP_1) | instid1(VALU_DEP_1)
	v_pk_fma_f32 v[8:9], v[6:7], v[0:1], v[4:5] op_sel:[0,0,1] op_sel_hi:[1,1,0] neg_lo:[0,0,1] neg_hi:[0,0,1]
	v_pk_fma_f32 v[4:5], v[6:7], v[0:1], v[4:5] op_sel:[0,0,1] op_sel_hi:[1,0,0]
	v_mov_b32_e32 v9, v5
	ds_load_b64 v[4:5], v26 offset:360
	v_pk_add_f32 v[180:181], v[180:181], v[8:9] neg_lo:[0,1] neg_hi:[0,1]
	s_wait_dscnt 0x0
	v_pk_mul_f32 v[2:3], v[4:5], v[2:3] op_sel:[0,1]
	s_delay_alu instid0(VALU_DEP_1) | instskip(SKIP_1) | instid1(VALU_DEP_1)
	v_pk_fma_f32 v[6:7], v[4:5], v[0:1], v[2:3] op_sel:[0,0,1] op_sel_hi:[1,1,0] neg_lo:[0,0,1] neg_hi:[0,0,1]
	v_pk_fma_f32 v[0:1], v[4:5], v[0:1], v[2:3] op_sel:[0,0,1] op_sel_hi:[1,0,0]
	v_mov_b32_e32 v7, v1
	s_delay_alu instid0(VALU_DEP_1)
	v_pk_add_f32 v[184:185], v[184:185], v[6:7] neg_lo:[0,1] neg_hi:[0,1]
.LBB91_316:
	s_or_b32 exec_lo, exec_lo, s1
	s_delay_alu instid0(SALU_CYCLE_1)
	s_mov_b32 s2, exec_lo
	s_wait_dscnt 0x0
	s_barrier_signal -1
	s_barrier_wait -1
	v_cmpx_eq_u32_e32 35, v34
	s_cbranch_execz .LBB91_323
; %bb.317:
	v_dual_mov_b32 v0, v162 :: v_dual_mov_b32 v1, v163
	v_dual_mov_b32 v2, v158 :: v_dual_mov_b32 v3, v159
	ds_store_b64 v35, v[138:139]
	ds_store_2addr_b64 v26, v[0:1], v[2:3] offset0:36 offset1:37
	v_dual_mov_b32 v0, v160 :: v_dual_mov_b32 v1, v161
	v_dual_mov_b32 v2, v156 :: v_dual_mov_b32 v3, v157
	ds_store_2addr_b64 v26, v[0:1], v[2:3] offset0:38 offset1:39
	v_dual_mov_b32 v0, v178 :: v_dual_mov_b32 v1, v179
	v_dual_mov_b32 v2, v174 :: v_dual_mov_b32 v3, v175
	;; [unrolled: 3-line block ×3, first 2 shown]
	ds_store_2addr_b64 v26, v[0:1], v[2:3] offset0:42 offset1:43
	v_dual_mov_b32 v0, v180 :: v_dual_mov_b32 v1, v181
	ds_store_2addr_b64 v26, v[0:1], v[184:185] offset0:44 offset1:45
	ds_load_b64 v[0:1], v35
	s_wait_dscnt 0x0
	v_cmp_neq_f32_e32 vcc_lo, 0, v0
	v_cmp_neq_f32_e64 s1, 0, v1
	s_or_b32 s1, vcc_lo, s1
	s_delay_alu instid0(SALU_CYCLE_1)
	s_and_b32 exec_lo, exec_lo, s1
	s_cbranch_execz .LBB91_323
; %bb.318:
	v_cmp_ngt_f32_e64 s1, |v0|, |v1|
                                        ; implicit-def: $vgpr2_vgpr3
	s_and_saveexec_b32 s4, s1
	s_delay_alu instid0(SALU_CYCLE_1)
	s_xor_b32 s1, exec_lo, s4
	s_cbranch_execz .LBB91_320
; %bb.319:
	v_div_scale_f32 v2, null, v1, v1, v0
	v_div_scale_f32 v5, vcc_lo, v0, v1, v0
	s_delay_alu instid0(VALU_DEP_2) | instskip(SKIP_1) | instid1(TRANS32_DEP_1)
	v_rcp_f32_e32 v3, v2
	v_nop
	v_fma_f32 v4, -v2, v3, 1.0
	s_delay_alu instid0(VALU_DEP_1) | instskip(NEXT) | instid1(VALU_DEP_1)
	v_fmac_f32_e32 v3, v4, v3
	v_mul_f32_e32 v4, v5, v3
	s_delay_alu instid0(VALU_DEP_1) | instskip(NEXT) | instid1(VALU_DEP_1)
	v_fma_f32 v6, -v2, v4, v5
	v_fmac_f32_e32 v4, v6, v3
	s_delay_alu instid0(VALU_DEP_1) | instskip(NEXT) | instid1(VALU_DEP_1)
	v_fma_f32 v2, -v2, v4, v5
	v_div_fmas_f32 v2, v2, v3, v4
	s_delay_alu instid0(VALU_DEP_1) | instskip(NEXT) | instid1(VALU_DEP_1)
	v_div_fixup_f32 v2, v2, v1, v0
	v_fmac_f32_e32 v1, v0, v2
	s_delay_alu instid0(VALU_DEP_1) | instskip(SKIP_1) | instid1(VALU_DEP_2)
	v_div_scale_f32 v0, null, v1, v1, 1.0
	v_div_scale_f32 v5, vcc_lo, 1.0, v1, 1.0
	v_rcp_f32_e32 v3, v0
	v_nop
	s_delay_alu instid0(TRANS32_DEP_1) | instskip(NEXT) | instid1(VALU_DEP_1)
	v_fma_f32 v4, -v0, v3, 1.0
	v_fmac_f32_e32 v3, v4, v3
	s_delay_alu instid0(VALU_DEP_1) | instskip(NEXT) | instid1(VALU_DEP_1)
	v_mul_f32_e32 v4, v5, v3
	v_fma_f32 v6, -v0, v4, v5
	s_delay_alu instid0(VALU_DEP_1) | instskip(NEXT) | instid1(VALU_DEP_1)
	v_fmac_f32_e32 v4, v6, v3
	v_fma_f32 v0, -v0, v4, v5
	s_delay_alu instid0(VALU_DEP_1) | instskip(NEXT) | instid1(VALU_DEP_1)
	v_div_fmas_f32 v0, v0, v3, v4
	v_div_fixup_f32 v0, v0, v1, 1.0
	s_delay_alu instid0(VALU_DEP_1)
	v_mul_f32_e32 v2, v2, v0
	v_xor_b32_e32 v3, 0x80000000, v0
                                        ; implicit-def: $vgpr0_vgpr1
.LBB91_320:
	s_and_not1_saveexec_b32 s1, s1
	s_cbranch_execz .LBB91_322
; %bb.321:
	v_div_scale_f32 v2, null, v0, v0, v1
	v_div_scale_f32 v5, vcc_lo, v1, v0, v1
	s_delay_alu instid0(VALU_DEP_2) | instskip(SKIP_1) | instid1(TRANS32_DEP_1)
	v_rcp_f32_e32 v3, v2
	v_nop
	v_fma_f32 v4, -v2, v3, 1.0
	s_delay_alu instid0(VALU_DEP_1) | instskip(NEXT) | instid1(VALU_DEP_1)
	v_fmac_f32_e32 v3, v4, v3
	v_mul_f32_e32 v4, v5, v3
	s_delay_alu instid0(VALU_DEP_1) | instskip(NEXT) | instid1(VALU_DEP_1)
	v_fma_f32 v6, -v2, v4, v5
	v_fmac_f32_e32 v4, v6, v3
	s_delay_alu instid0(VALU_DEP_1) | instskip(NEXT) | instid1(VALU_DEP_1)
	v_fma_f32 v2, -v2, v4, v5
	v_div_fmas_f32 v2, v2, v3, v4
	s_delay_alu instid0(VALU_DEP_1) | instskip(NEXT) | instid1(VALU_DEP_1)
	v_div_fixup_f32 v3, v2, v0, v1
	v_fmac_f32_e32 v0, v1, v3
	s_delay_alu instid0(VALU_DEP_1) | instskip(NEXT) | instid1(VALU_DEP_1)
	v_div_scale_f32 v1, null, v0, v0, 1.0
	v_rcp_f32_e32 v2, v1
	v_nop
	s_delay_alu instid0(TRANS32_DEP_1) | instskip(NEXT) | instid1(VALU_DEP_1)
	v_fma_f32 v4, -v1, v2, 1.0
	v_fmac_f32_e32 v2, v4, v2
	v_div_scale_f32 v4, vcc_lo, 1.0, v0, 1.0
	s_delay_alu instid0(VALU_DEP_1) | instskip(NEXT) | instid1(VALU_DEP_1)
	v_mul_f32_e32 v5, v4, v2
	v_fma_f32 v6, -v1, v5, v4
	s_delay_alu instid0(VALU_DEP_1) | instskip(NEXT) | instid1(VALU_DEP_1)
	v_fmac_f32_e32 v5, v6, v2
	v_fma_f32 v1, -v1, v5, v4
	s_delay_alu instid0(VALU_DEP_1) | instskip(NEXT) | instid1(VALU_DEP_1)
	v_div_fmas_f32 v1, v1, v2, v5
	v_div_fixup_f32 v2, v1, v0, 1.0
	s_delay_alu instid0(VALU_DEP_1)
	v_mul_f32_e64 v3, v3, -v2
.LBB91_322:
	s_or_b32 exec_lo, exec_lo, s1
	ds_store_b64 v35, v[2:3]
.LBB91_323:
	s_or_b32 exec_lo, exec_lo, s2
	s_wait_dscnt 0x0
	s_barrier_signal -1
	s_barrier_wait -1
	ds_load_b64 v[0:1], v35
	s_mov_b32 s1, exec_lo
	v_cmpx_lt_u32_e32 35, v34
	s_cbranch_execz .LBB91_325
; %bb.324:
	ds_load_2addr_b64 v[6:9], v26 offset0:36 offset1:37
	s_wait_dscnt 0x1
	v_pk_mul_f32 v[4:5], v[0:1], v[138:139] op_sel:[1,1] op_sel_hi:[0,1]
	s_delay_alu instid0(VALU_DEP_1) | instskip(SKIP_1) | instid1(VALU_DEP_1)
	v_pk_fma_f32 v[2:3], v[0:1], v[138:139], v[4:5] op_sel_hi:[1,0,1] neg_lo:[0,0,1] neg_hi:[0,0,1]
	v_pk_fma_f32 v[4:5], v[0:1], v[138:139], v[4:5] op_sel_hi:[1,0,1]
	v_dual_mov_b32 v138, v2 :: v_dual_mov_b32 v139, v5
	s_wait_dscnt 0x0
	s_delay_alu instid0(VALU_DEP_2) | instskip(NEXT) | instid1(VALU_DEP_1)
	v_pk_mul_f32 v[10:11], v[6:7], v[4:5] op_sel:[0,1]
	v_pk_fma_f32 v[12:13], v[6:7], v[2:3], v[10:11] op_sel:[0,0,1] op_sel_hi:[1,1,0] neg_lo:[0,0,1] neg_hi:[0,0,1]
	v_pk_fma_f32 v[6:7], v[6:7], v[2:3], v[10:11] op_sel:[0,0,1] op_sel_hi:[1,0,0]
	s_delay_alu instid0(VALU_DEP_1) | instskip(SKIP_1) | instid1(VALU_DEP_1)
	v_mov_b32_e32 v13, v7
	v_pk_mul_f32 v[6:7], v[8:9], v[4:5] op_sel:[0,1]
	v_pk_fma_f32 v[10:11], v[8:9], v[2:3], v[6:7] op_sel:[0,0,1] op_sel_hi:[1,1,0] neg_lo:[0,0,1] neg_hi:[0,0,1]
	v_pk_fma_f32 v[6:7], v[8:9], v[2:3], v[6:7] op_sel:[0,0,1] op_sel_hi:[1,0,0]
	s_delay_alu instid0(VALU_DEP_1)
	v_mov_b32_e32 v11, v7
	ds_load_2addr_b64 v[6:9], v26 offset0:38 offset1:39
	v_pk_add_f32 v[162:163], v[162:163], v[12:13] neg_lo:[0,1] neg_hi:[0,1]
	v_pk_add_f32 v[158:159], v[158:159], v[10:11] neg_lo:[0,1] neg_hi:[0,1]
	s_wait_dscnt 0x0
	v_pk_mul_f32 v[10:11], v[6:7], v[4:5] op_sel:[0,1]
	s_delay_alu instid0(VALU_DEP_1) | instskip(SKIP_2) | instid1(VALU_DEP_2)
	v_pk_fma_f32 v[12:13], v[6:7], v[2:3], v[10:11] op_sel:[0,0,1] op_sel_hi:[1,1,0] neg_lo:[0,0,1] neg_hi:[0,0,1]
	v_pk_fma_f32 v[6:7], v[6:7], v[2:3], v[10:11] op_sel:[0,0,1] op_sel_hi:[1,0,0]
	v_dual_mul_f32 v10, v9, v5 :: v_dual_mov_b32 v6, v9
	v_dual_mov_b32 v13, v7 :: v_dual_mov_b32 v7, v8
	s_delay_alu instid0(VALU_DEP_2) | instskip(SKIP_1) | instid1(VALU_DEP_3)
	v_pk_fma_f32 v[10:11], v[8:9], v[138:139], v[10:11] op_sel_hi:[1,1,0] neg_lo:[0,0,1] neg_hi:[0,0,1]
	v_mul_f32_e32 v8, v9, v2
	v_pk_add_f32 v[160:161], v[160:161], v[12:13] neg_lo:[0,1] neg_hi:[0,1]
	s_delay_alu instid0(VALU_DEP_2) | instskip(NEXT) | instid1(VALU_DEP_1)
	v_pk_fma_f32 v[6:7], v[6:7], v[138:139], v[8:9] op_sel_hi:[1,1,0]
	v_mov_b32_e32 v11, v7
	ds_load_2addr_b64 v[6:9], v26 offset0:40 offset1:41
	v_pk_add_f32 v[156:157], v[156:157], v[10:11] neg_lo:[0,1] neg_hi:[0,1]
	s_wait_dscnt 0x0
	v_pk_mul_f32 v[10:11], v[6:7], v[4:5] op_sel:[0,1]
	s_delay_alu instid0(VALU_DEP_1) | instskip(SKIP_1) | instid1(VALU_DEP_1)
	v_pk_fma_f32 v[12:13], v[6:7], v[2:3], v[10:11] op_sel:[0,0,1] op_sel_hi:[1,1,0] neg_lo:[0,0,1] neg_hi:[0,0,1]
	v_pk_fma_f32 v[6:7], v[6:7], v[2:3], v[10:11] op_sel:[0,0,1] op_sel_hi:[1,0,0]
	v_mov_b32_e32 v13, v7
	v_pk_mul_f32 v[6:7], v[8:9], v[4:5] op_sel:[0,1]
	s_delay_alu instid0(VALU_DEP_1) | instskip(SKIP_1) | instid1(VALU_DEP_1)
	v_pk_fma_f32 v[10:11], v[8:9], v[2:3], v[6:7] op_sel:[0,0,1] op_sel_hi:[1,1,0] neg_lo:[0,0,1] neg_hi:[0,0,1]
	v_pk_fma_f32 v[6:7], v[8:9], v[2:3], v[6:7] op_sel:[0,0,1] op_sel_hi:[1,0,0]
	v_mov_b32_e32 v11, v7
	ds_load_2addr_b64 v[6:9], v26 offset0:42 offset1:43
	v_pk_add_f32 v[178:179], v[178:179], v[12:13] neg_lo:[0,1] neg_hi:[0,1]
	v_pk_add_f32 v[174:175], v[174:175], v[10:11] neg_lo:[0,1] neg_hi:[0,1]
	s_wait_dscnt 0x0
	v_pk_mul_f32 v[10:11], v[6:7], v[4:5] op_sel:[0,1]
	s_delay_alu instid0(VALU_DEP_1) | instskip(SKIP_1) | instid1(VALU_DEP_1)
	v_pk_fma_f32 v[12:13], v[6:7], v[2:3], v[10:11] op_sel:[0,0,1] op_sel_hi:[1,1,0] neg_lo:[0,0,1] neg_hi:[0,0,1]
	v_pk_fma_f32 v[6:7], v[6:7], v[2:3], v[10:11] op_sel:[0,0,1] op_sel_hi:[1,0,0]
	v_mov_b32_e32 v13, v7
	v_pk_mul_f32 v[6:7], v[8:9], v[4:5] op_sel:[0,1]
	s_delay_alu instid0(VALU_DEP_1) | instskip(SKIP_1) | instid1(VALU_DEP_1)
	v_pk_fma_f32 v[10:11], v[8:9], v[2:3], v[6:7] op_sel:[0,0,1] op_sel_hi:[1,1,0] neg_lo:[0,0,1] neg_hi:[0,0,1]
	v_pk_fma_f32 v[6:7], v[8:9], v[2:3], v[6:7] op_sel:[0,0,1] op_sel_hi:[1,0,0]
	v_mov_b32_e32 v11, v7
	ds_load_2addr_b64 v[6:9], v26 offset0:44 offset1:45
	v_pk_add_f32 v[176:177], v[176:177], v[12:13] neg_lo:[0,1] neg_hi:[0,1]
	v_pk_add_f32 v[172:173], v[172:173], v[10:11] neg_lo:[0,1] neg_hi:[0,1]
	s_wait_dscnt 0x0
	v_dual_mul_f32 v10, v7, v5 :: v_dual_mul_f32 v12, v7, v2
	v_pk_mul_f32 v[4:5], v[8:9], v[4:5] op_sel:[0,1]
	s_delay_alu instid0(VALU_DEP_2) | instskip(NEXT) | instid1(VALU_DEP_3)
	v_pk_fma_f32 v[10:11], v[6:7], v[138:139], v[10:11] op_sel_hi:[1,1,0] neg_lo:[0,0,1] neg_hi:[0,0,1]
	v_pk_fma_f32 v[6:7], v[6:7], v[138:139], v[12:13] op_sel:[1,0,0] op_sel_hi:[0,1,0]
	s_delay_alu instid0(VALU_DEP_1) | instskip(NEXT) | instid1(VALU_DEP_4)
	v_mov_b32_e32 v11, v7
	v_pk_fma_f32 v[6:7], v[8:9], v[2:3], v[4:5] op_sel:[0,0,1] op_sel_hi:[1,1,0] neg_lo:[0,0,1] neg_hi:[0,0,1]
	v_pk_fma_f32 v[2:3], v[8:9], v[2:3], v[4:5] op_sel:[0,0,1] op_sel_hi:[1,0,0]
	s_delay_alu instid0(VALU_DEP_1) | instskip(NEXT) | instid1(VALU_DEP_4)
	v_mov_b32_e32 v7, v3
	v_pk_add_f32 v[180:181], v[180:181], v[10:11] neg_lo:[0,1] neg_hi:[0,1]
	s_delay_alu instid0(VALU_DEP_2)
	v_pk_add_f32 v[184:185], v[184:185], v[6:7] neg_lo:[0,1] neg_hi:[0,1]
.LBB91_325:
	s_or_b32 exec_lo, exec_lo, s1
	s_delay_alu instid0(SALU_CYCLE_1)
	s_mov_b32 s2, exec_lo
	s_wait_dscnt 0x0
	s_barrier_signal -1
	s_barrier_wait -1
	v_cmpx_eq_u32_e32 36, v34
	s_cbranch_execz .LBB91_332
; %bb.326:
	ds_store_b64 v35, v[162:163]
	ds_store_2addr_b64 v26, v[158:159], v[160:161] offset0:37 offset1:38
	ds_store_2addr_b64 v26, v[156:157], v[178:179] offset0:39 offset1:40
	;; [unrolled: 1-line block ×4, first 2 shown]
	ds_store_b64 v26, v[184:185] offset:360
	ds_load_b64 v[2:3], v35
	s_wait_dscnt 0x0
	v_cmp_neq_f32_e32 vcc_lo, 0, v2
	v_cmp_neq_f32_e64 s1, 0, v3
	s_or_b32 s1, vcc_lo, s1
	s_delay_alu instid0(SALU_CYCLE_1)
	s_and_b32 exec_lo, exec_lo, s1
	s_cbranch_execz .LBB91_332
; %bb.327:
	v_cmp_ngt_f32_e64 s1, |v2|, |v3|
                                        ; implicit-def: $vgpr4_vgpr5
	s_and_saveexec_b32 s4, s1
	s_delay_alu instid0(SALU_CYCLE_1)
	s_xor_b32 s1, exec_lo, s4
	s_cbranch_execz .LBB91_329
; %bb.328:
	v_div_scale_f32 v4, null, v3, v3, v2
	v_div_scale_f32 v7, vcc_lo, v2, v3, v2
	s_delay_alu instid0(VALU_DEP_2) | instskip(SKIP_1) | instid1(TRANS32_DEP_1)
	v_rcp_f32_e32 v5, v4
	v_nop
	v_fma_f32 v6, -v4, v5, 1.0
	s_delay_alu instid0(VALU_DEP_1) | instskip(NEXT) | instid1(VALU_DEP_1)
	v_fmac_f32_e32 v5, v6, v5
	v_mul_f32_e32 v6, v7, v5
	s_delay_alu instid0(VALU_DEP_1) | instskip(NEXT) | instid1(VALU_DEP_1)
	v_fma_f32 v8, -v4, v6, v7
	v_fmac_f32_e32 v6, v8, v5
	s_delay_alu instid0(VALU_DEP_1) | instskip(NEXT) | instid1(VALU_DEP_1)
	v_fma_f32 v4, -v4, v6, v7
	v_div_fmas_f32 v4, v4, v5, v6
	s_delay_alu instid0(VALU_DEP_1) | instskip(NEXT) | instid1(VALU_DEP_1)
	v_div_fixup_f32 v4, v4, v3, v2
	v_fmac_f32_e32 v3, v2, v4
	s_delay_alu instid0(VALU_DEP_1) | instskip(SKIP_1) | instid1(VALU_DEP_2)
	v_div_scale_f32 v2, null, v3, v3, 1.0
	v_div_scale_f32 v7, vcc_lo, 1.0, v3, 1.0
	v_rcp_f32_e32 v5, v2
	v_nop
	s_delay_alu instid0(TRANS32_DEP_1) | instskip(NEXT) | instid1(VALU_DEP_1)
	v_fma_f32 v6, -v2, v5, 1.0
	v_fmac_f32_e32 v5, v6, v5
	s_delay_alu instid0(VALU_DEP_1) | instskip(NEXT) | instid1(VALU_DEP_1)
	v_mul_f32_e32 v6, v7, v5
	v_fma_f32 v8, -v2, v6, v7
	s_delay_alu instid0(VALU_DEP_1) | instskip(NEXT) | instid1(VALU_DEP_1)
	v_fmac_f32_e32 v6, v8, v5
	v_fma_f32 v2, -v2, v6, v7
	s_delay_alu instid0(VALU_DEP_1) | instskip(NEXT) | instid1(VALU_DEP_1)
	v_div_fmas_f32 v2, v2, v5, v6
	v_div_fixup_f32 v2, v2, v3, 1.0
	s_delay_alu instid0(VALU_DEP_1)
	v_mul_f32_e32 v4, v4, v2
	v_xor_b32_e32 v5, 0x80000000, v2
                                        ; implicit-def: $vgpr2_vgpr3
.LBB91_329:
	s_and_not1_saveexec_b32 s1, s1
	s_cbranch_execz .LBB91_331
; %bb.330:
	v_div_scale_f32 v4, null, v2, v2, v3
	v_div_scale_f32 v7, vcc_lo, v3, v2, v3
	s_delay_alu instid0(VALU_DEP_2) | instskip(SKIP_1) | instid1(TRANS32_DEP_1)
	v_rcp_f32_e32 v5, v4
	v_nop
	v_fma_f32 v6, -v4, v5, 1.0
	s_delay_alu instid0(VALU_DEP_1) | instskip(NEXT) | instid1(VALU_DEP_1)
	v_fmac_f32_e32 v5, v6, v5
	v_mul_f32_e32 v6, v7, v5
	s_delay_alu instid0(VALU_DEP_1) | instskip(NEXT) | instid1(VALU_DEP_1)
	v_fma_f32 v8, -v4, v6, v7
	v_fmac_f32_e32 v6, v8, v5
	s_delay_alu instid0(VALU_DEP_1) | instskip(NEXT) | instid1(VALU_DEP_1)
	v_fma_f32 v4, -v4, v6, v7
	v_div_fmas_f32 v4, v4, v5, v6
	s_delay_alu instid0(VALU_DEP_1) | instskip(NEXT) | instid1(VALU_DEP_1)
	v_div_fixup_f32 v5, v4, v2, v3
	v_fmac_f32_e32 v2, v3, v5
	s_delay_alu instid0(VALU_DEP_1) | instskip(NEXT) | instid1(VALU_DEP_1)
	v_div_scale_f32 v3, null, v2, v2, 1.0
	v_rcp_f32_e32 v4, v3
	v_nop
	s_delay_alu instid0(TRANS32_DEP_1) | instskip(NEXT) | instid1(VALU_DEP_1)
	v_fma_f32 v6, -v3, v4, 1.0
	v_fmac_f32_e32 v4, v6, v4
	v_div_scale_f32 v6, vcc_lo, 1.0, v2, 1.0
	s_delay_alu instid0(VALU_DEP_1) | instskip(NEXT) | instid1(VALU_DEP_1)
	v_mul_f32_e32 v7, v6, v4
	v_fma_f32 v8, -v3, v7, v6
	s_delay_alu instid0(VALU_DEP_1) | instskip(NEXT) | instid1(VALU_DEP_1)
	v_fmac_f32_e32 v7, v8, v4
	v_fma_f32 v3, -v3, v7, v6
	s_delay_alu instid0(VALU_DEP_1) | instskip(NEXT) | instid1(VALU_DEP_1)
	v_div_fmas_f32 v3, v3, v4, v7
	v_div_fixup_f32 v4, v3, v2, 1.0
	s_delay_alu instid0(VALU_DEP_1)
	v_mul_f32_e64 v5, v5, -v4
.LBB91_331:
	s_or_b32 exec_lo, exec_lo, s1
	ds_store_b64 v35, v[4:5]
.LBB91_332:
	s_or_b32 exec_lo, exec_lo, s2
	s_wait_dscnt 0x0
	s_barrier_signal -1
	s_barrier_wait -1
	ds_load_b64 v[2:3], v35
	s_mov_b32 s1, exec_lo
	v_cmpx_lt_u32_e32 36, v34
	s_cbranch_execz .LBB91_334
; %bb.333:
	ds_load_2addr_b64 v[8:11], v26 offset0:37 offset1:38
	s_wait_dscnt 0x1
	v_pk_mul_f32 v[6:7], v[2:3], v[162:163] op_sel:[1,1] op_sel_hi:[0,1]
	s_delay_alu instid0(VALU_DEP_1) | instskip(SKIP_1) | instid1(VALU_DEP_1)
	v_pk_fma_f32 v[4:5], v[2:3], v[162:163], v[6:7] op_sel_hi:[1,0,1] neg_lo:[0,0,1] neg_hi:[0,0,1]
	v_pk_fma_f32 v[6:7], v[2:3], v[162:163], v[6:7] op_sel_hi:[1,0,1]
	v_dual_mov_b32 v162, v4 :: v_dual_mov_b32 v163, v7
	s_wait_dscnt 0x0
	s_delay_alu instid0(VALU_DEP_2) | instskip(NEXT) | instid1(VALU_DEP_1)
	v_pk_mul_f32 v[12:13], v[8:9], v[6:7] op_sel:[0,1]
	v_pk_fma_f32 v[14:15], v[8:9], v[4:5], v[12:13] op_sel:[0,0,1] op_sel_hi:[1,1,0] neg_lo:[0,0,1] neg_hi:[0,0,1]
	v_pk_fma_f32 v[8:9], v[8:9], v[4:5], v[12:13] op_sel:[0,0,1] op_sel_hi:[1,0,0]
	s_delay_alu instid0(VALU_DEP_1) | instskip(SKIP_1) | instid1(VALU_DEP_1)
	v_mov_b32_e32 v15, v9
	v_pk_mul_f32 v[8:9], v[10:11], v[6:7] op_sel:[0,1]
	v_pk_fma_f32 v[12:13], v[10:11], v[4:5], v[8:9] op_sel:[0,0,1] op_sel_hi:[1,1,0] neg_lo:[0,0,1] neg_hi:[0,0,1]
	v_pk_fma_f32 v[8:9], v[10:11], v[4:5], v[8:9] op_sel:[0,0,1] op_sel_hi:[1,0,0]
	s_delay_alu instid0(VALU_DEP_1)
	v_mov_b32_e32 v13, v9
	ds_load_2addr_b64 v[8:11], v26 offset0:39 offset1:40
	v_pk_add_f32 v[158:159], v[158:159], v[14:15] neg_lo:[0,1] neg_hi:[0,1]
	v_pk_add_f32 v[160:161], v[160:161], v[12:13] neg_lo:[0,1] neg_hi:[0,1]
	s_wait_dscnt 0x0
	v_pk_mul_f32 v[12:13], v[8:9], v[6:7] op_sel:[0,1]
	s_delay_alu instid0(VALU_DEP_1) | instskip(SKIP_2) | instid1(VALU_DEP_2)
	v_pk_fma_f32 v[14:15], v[8:9], v[4:5], v[12:13] op_sel:[0,0,1] op_sel_hi:[1,1,0] neg_lo:[0,0,1] neg_hi:[0,0,1]
	v_pk_fma_f32 v[8:9], v[8:9], v[4:5], v[12:13] op_sel:[0,0,1] op_sel_hi:[1,0,0]
	v_dual_mul_f32 v12, v11, v7 :: v_dual_mov_b32 v8, v11
	v_dual_mov_b32 v15, v9 :: v_dual_mov_b32 v9, v10
	s_delay_alu instid0(VALU_DEP_2) | instskip(SKIP_1) | instid1(VALU_DEP_3)
	v_pk_fma_f32 v[12:13], v[10:11], v[162:163], v[12:13] op_sel_hi:[1,1,0] neg_lo:[0,0,1] neg_hi:[0,0,1]
	v_mul_f32_e32 v10, v11, v4
	v_pk_add_f32 v[156:157], v[156:157], v[14:15] neg_lo:[0,1] neg_hi:[0,1]
	s_delay_alu instid0(VALU_DEP_2) | instskip(NEXT) | instid1(VALU_DEP_1)
	v_pk_fma_f32 v[8:9], v[8:9], v[162:163], v[10:11] op_sel_hi:[1,1,0]
	v_mov_b32_e32 v13, v9
	ds_load_2addr_b64 v[8:11], v26 offset0:41 offset1:42
	v_pk_add_f32 v[178:179], v[178:179], v[12:13] neg_lo:[0,1] neg_hi:[0,1]
	s_wait_dscnt 0x0
	v_pk_mul_f32 v[12:13], v[8:9], v[6:7] op_sel:[0,1]
	s_delay_alu instid0(VALU_DEP_1) | instskip(SKIP_1) | instid1(VALU_DEP_1)
	v_pk_fma_f32 v[14:15], v[8:9], v[4:5], v[12:13] op_sel:[0,0,1] op_sel_hi:[1,1,0] neg_lo:[0,0,1] neg_hi:[0,0,1]
	v_pk_fma_f32 v[8:9], v[8:9], v[4:5], v[12:13] op_sel:[0,0,1] op_sel_hi:[1,0,0]
	v_mov_b32_e32 v15, v9
	v_pk_mul_f32 v[8:9], v[10:11], v[6:7] op_sel:[0,1]
	s_delay_alu instid0(VALU_DEP_1) | instskip(SKIP_1) | instid1(VALU_DEP_1)
	v_pk_fma_f32 v[12:13], v[10:11], v[4:5], v[8:9] op_sel:[0,0,1] op_sel_hi:[1,1,0] neg_lo:[0,0,1] neg_hi:[0,0,1]
	v_pk_fma_f32 v[8:9], v[10:11], v[4:5], v[8:9] op_sel:[0,0,1] op_sel_hi:[1,0,0]
	v_mov_b32_e32 v13, v9
	ds_load_2addr_b64 v[8:11], v26 offset0:43 offset1:44
	v_pk_add_f32 v[174:175], v[174:175], v[14:15] neg_lo:[0,1] neg_hi:[0,1]
	v_pk_add_f32 v[176:177], v[176:177], v[12:13] neg_lo:[0,1] neg_hi:[0,1]
	s_wait_dscnt 0x0
	v_pk_mul_f32 v[12:13], v[8:9], v[6:7] op_sel:[0,1]
	s_delay_alu instid0(VALU_DEP_1) | instskip(SKIP_1) | instid1(VALU_DEP_1)
	v_pk_fma_f32 v[14:15], v[8:9], v[4:5], v[12:13] op_sel:[0,0,1] op_sel_hi:[1,1,0] neg_lo:[0,0,1] neg_hi:[0,0,1]
	v_pk_fma_f32 v[8:9], v[8:9], v[4:5], v[12:13] op_sel:[0,0,1] op_sel_hi:[1,0,0]
	v_mov_b32_e32 v15, v9
	v_pk_mul_f32 v[8:9], v[10:11], v[6:7] op_sel:[0,1]
	s_delay_alu instid0(VALU_DEP_1) | instskip(SKIP_1) | instid1(VALU_DEP_1)
	v_pk_fma_f32 v[12:13], v[10:11], v[4:5], v[8:9] op_sel:[0,0,1] op_sel_hi:[1,1,0] neg_lo:[0,0,1] neg_hi:[0,0,1]
	v_pk_fma_f32 v[8:9], v[10:11], v[4:5], v[8:9] op_sel:[0,0,1] op_sel_hi:[1,0,0]
	v_mov_b32_e32 v13, v9
	ds_load_b64 v[8:9], v26 offset:360
	v_pk_add_f32 v[172:173], v[172:173], v[14:15] neg_lo:[0,1] neg_hi:[0,1]
	v_pk_add_f32 v[180:181], v[180:181], v[12:13] neg_lo:[0,1] neg_hi:[0,1]
	s_wait_dscnt 0x0
	v_pk_mul_f32 v[6:7], v[8:9], v[6:7] op_sel:[0,1]
	s_delay_alu instid0(VALU_DEP_1) | instskip(SKIP_1) | instid1(VALU_DEP_1)
	v_pk_fma_f32 v[10:11], v[8:9], v[4:5], v[6:7] op_sel:[0,0,1] op_sel_hi:[1,1,0] neg_lo:[0,0,1] neg_hi:[0,0,1]
	v_pk_fma_f32 v[4:5], v[8:9], v[4:5], v[6:7] op_sel:[0,0,1] op_sel_hi:[1,0,0]
	v_mov_b32_e32 v11, v5
	s_delay_alu instid0(VALU_DEP_1)
	v_pk_add_f32 v[184:185], v[184:185], v[10:11] neg_lo:[0,1] neg_hi:[0,1]
.LBB91_334:
	s_or_b32 exec_lo, exec_lo, s1
	s_delay_alu instid0(SALU_CYCLE_1)
	s_mov_b32 s2, exec_lo
	s_wait_dscnt 0x0
	s_barrier_signal -1
	s_barrier_wait -1
	v_cmpx_eq_u32_e32 37, v34
	s_cbranch_execz .LBB91_341
; %bb.335:
	v_dual_mov_b32 v4, v160 :: v_dual_mov_b32 v5, v161
	v_dual_mov_b32 v6, v156 :: v_dual_mov_b32 v7, v157
	ds_store_b64 v35, v[158:159]
	ds_store_2addr_b64 v26, v[4:5], v[6:7] offset0:38 offset1:39
	v_dual_mov_b32 v4, v178 :: v_dual_mov_b32 v5, v179
	v_dual_mov_b32 v6, v174 :: v_dual_mov_b32 v7, v175
	ds_store_2addr_b64 v26, v[4:5], v[6:7] offset0:40 offset1:41
	v_dual_mov_b32 v4, v176 :: v_dual_mov_b32 v5, v177
	v_dual_mov_b32 v6, v172 :: v_dual_mov_b32 v7, v173
	ds_store_2addr_b64 v26, v[4:5], v[6:7] offset0:42 offset1:43
	v_dual_mov_b32 v4, v180 :: v_dual_mov_b32 v5, v181
	ds_store_2addr_b64 v26, v[4:5], v[184:185] offset0:44 offset1:45
	ds_load_b64 v[4:5], v35
	s_wait_dscnt 0x0
	v_cmp_neq_f32_e32 vcc_lo, 0, v4
	v_cmp_neq_f32_e64 s1, 0, v5
	s_or_b32 s1, vcc_lo, s1
	s_delay_alu instid0(SALU_CYCLE_1)
	s_and_b32 exec_lo, exec_lo, s1
	s_cbranch_execz .LBB91_341
; %bb.336:
	v_cmp_ngt_f32_e64 s1, |v4|, |v5|
                                        ; implicit-def: $vgpr6_vgpr7
	s_and_saveexec_b32 s4, s1
	s_delay_alu instid0(SALU_CYCLE_1)
	s_xor_b32 s1, exec_lo, s4
	s_cbranch_execz .LBB91_338
; %bb.337:
	v_div_scale_f32 v6, null, v5, v5, v4
	v_div_scale_f32 v9, vcc_lo, v4, v5, v4
	s_delay_alu instid0(VALU_DEP_2) | instskip(SKIP_1) | instid1(TRANS32_DEP_1)
	v_rcp_f32_e32 v7, v6
	v_nop
	v_fma_f32 v8, -v6, v7, 1.0
	s_delay_alu instid0(VALU_DEP_1) | instskip(NEXT) | instid1(VALU_DEP_1)
	v_fmac_f32_e32 v7, v8, v7
	v_mul_f32_e32 v8, v9, v7
	s_delay_alu instid0(VALU_DEP_1) | instskip(NEXT) | instid1(VALU_DEP_1)
	v_fma_f32 v10, -v6, v8, v9
	v_fmac_f32_e32 v8, v10, v7
	s_delay_alu instid0(VALU_DEP_1) | instskip(NEXT) | instid1(VALU_DEP_1)
	v_fma_f32 v6, -v6, v8, v9
	v_div_fmas_f32 v6, v6, v7, v8
	s_delay_alu instid0(VALU_DEP_1) | instskip(NEXT) | instid1(VALU_DEP_1)
	v_div_fixup_f32 v6, v6, v5, v4
	v_fmac_f32_e32 v5, v4, v6
	s_delay_alu instid0(VALU_DEP_1) | instskip(SKIP_1) | instid1(VALU_DEP_2)
	v_div_scale_f32 v4, null, v5, v5, 1.0
	v_div_scale_f32 v9, vcc_lo, 1.0, v5, 1.0
	v_rcp_f32_e32 v7, v4
	v_nop
	s_delay_alu instid0(TRANS32_DEP_1) | instskip(NEXT) | instid1(VALU_DEP_1)
	v_fma_f32 v8, -v4, v7, 1.0
	v_fmac_f32_e32 v7, v8, v7
	s_delay_alu instid0(VALU_DEP_1) | instskip(NEXT) | instid1(VALU_DEP_1)
	v_mul_f32_e32 v8, v9, v7
	v_fma_f32 v10, -v4, v8, v9
	s_delay_alu instid0(VALU_DEP_1) | instskip(NEXT) | instid1(VALU_DEP_1)
	v_fmac_f32_e32 v8, v10, v7
	v_fma_f32 v4, -v4, v8, v9
	s_delay_alu instid0(VALU_DEP_1) | instskip(NEXT) | instid1(VALU_DEP_1)
	v_div_fmas_f32 v4, v4, v7, v8
	v_div_fixup_f32 v4, v4, v5, 1.0
	s_delay_alu instid0(VALU_DEP_1)
	v_mul_f32_e32 v6, v6, v4
	v_xor_b32_e32 v7, 0x80000000, v4
                                        ; implicit-def: $vgpr4_vgpr5
.LBB91_338:
	s_and_not1_saveexec_b32 s1, s1
	s_cbranch_execz .LBB91_340
; %bb.339:
	v_div_scale_f32 v6, null, v4, v4, v5
	v_div_scale_f32 v9, vcc_lo, v5, v4, v5
	s_delay_alu instid0(VALU_DEP_2) | instskip(SKIP_1) | instid1(TRANS32_DEP_1)
	v_rcp_f32_e32 v7, v6
	v_nop
	v_fma_f32 v8, -v6, v7, 1.0
	s_delay_alu instid0(VALU_DEP_1) | instskip(NEXT) | instid1(VALU_DEP_1)
	v_fmac_f32_e32 v7, v8, v7
	v_mul_f32_e32 v8, v9, v7
	s_delay_alu instid0(VALU_DEP_1) | instskip(NEXT) | instid1(VALU_DEP_1)
	v_fma_f32 v10, -v6, v8, v9
	v_fmac_f32_e32 v8, v10, v7
	s_delay_alu instid0(VALU_DEP_1) | instskip(NEXT) | instid1(VALU_DEP_1)
	v_fma_f32 v6, -v6, v8, v9
	v_div_fmas_f32 v6, v6, v7, v8
	s_delay_alu instid0(VALU_DEP_1) | instskip(NEXT) | instid1(VALU_DEP_1)
	v_div_fixup_f32 v7, v6, v4, v5
	v_fmac_f32_e32 v4, v5, v7
	s_delay_alu instid0(VALU_DEP_1) | instskip(NEXT) | instid1(VALU_DEP_1)
	v_div_scale_f32 v5, null, v4, v4, 1.0
	v_rcp_f32_e32 v6, v5
	v_nop
	s_delay_alu instid0(TRANS32_DEP_1) | instskip(NEXT) | instid1(VALU_DEP_1)
	v_fma_f32 v8, -v5, v6, 1.0
	v_fmac_f32_e32 v6, v8, v6
	v_div_scale_f32 v8, vcc_lo, 1.0, v4, 1.0
	s_delay_alu instid0(VALU_DEP_1) | instskip(NEXT) | instid1(VALU_DEP_1)
	v_mul_f32_e32 v9, v8, v6
	v_fma_f32 v10, -v5, v9, v8
	s_delay_alu instid0(VALU_DEP_1) | instskip(NEXT) | instid1(VALU_DEP_1)
	v_fmac_f32_e32 v9, v10, v6
	v_fma_f32 v5, -v5, v9, v8
	s_delay_alu instid0(VALU_DEP_1) | instskip(NEXT) | instid1(VALU_DEP_1)
	v_div_fmas_f32 v5, v5, v6, v9
	v_div_fixup_f32 v6, v5, v4, 1.0
	s_delay_alu instid0(VALU_DEP_1)
	v_mul_f32_e64 v7, v7, -v6
.LBB91_340:
	s_or_b32 exec_lo, exec_lo, s1
	ds_store_b64 v35, v[6:7]
.LBB91_341:
	s_or_b32 exec_lo, exec_lo, s2
	s_wait_dscnt 0x0
	s_barrier_signal -1
	s_barrier_wait -1
	ds_load_b64 v[4:5], v35
	s_mov_b32 s1, exec_lo
	v_cmpx_lt_u32_e32 37, v34
	s_cbranch_execz .LBB91_343
; %bb.342:
	ds_load_2addr_b64 v[10:13], v26 offset0:38 offset1:39
	s_wait_dscnt 0x1
	v_pk_mul_f32 v[8:9], v[4:5], v[158:159] op_sel:[1,1] op_sel_hi:[0,1]
	s_delay_alu instid0(VALU_DEP_1) | instskip(SKIP_1) | instid1(VALU_DEP_1)
	v_pk_fma_f32 v[6:7], v[4:5], v[158:159], v[8:9] op_sel_hi:[1,0,1] neg_lo:[0,0,1] neg_hi:[0,0,1]
	v_pk_fma_f32 v[8:9], v[4:5], v[158:159], v[8:9] op_sel_hi:[1,0,1]
	v_dual_mov_b32 v158, v6 :: v_dual_mov_b32 v159, v9
	s_wait_dscnt 0x0
	s_delay_alu instid0(VALU_DEP_2) | instskip(NEXT) | instid1(VALU_DEP_1)
	v_pk_mul_f32 v[14:15], v[10:11], v[8:9] op_sel:[0,1]
	v_pk_fma_f32 v[18:19], v[10:11], v[6:7], v[14:15] op_sel:[0,0,1] op_sel_hi:[1,1,0] neg_lo:[0,0,1] neg_hi:[0,0,1]
	v_pk_fma_f32 v[10:11], v[10:11], v[6:7], v[14:15] op_sel:[0,0,1] op_sel_hi:[1,0,0]
	s_delay_alu instid0(VALU_DEP_1) | instskip(SKIP_1) | instid1(VALU_DEP_1)
	v_mov_b32_e32 v19, v11
	v_pk_mul_f32 v[10:11], v[12:13], v[8:9] op_sel:[0,1]
	v_pk_fma_f32 v[14:15], v[12:13], v[6:7], v[10:11] op_sel:[0,0,1] op_sel_hi:[1,1,0] neg_lo:[0,0,1] neg_hi:[0,0,1]
	v_pk_fma_f32 v[10:11], v[12:13], v[6:7], v[10:11] op_sel:[0,0,1] op_sel_hi:[1,0,0]
	s_delay_alu instid0(VALU_DEP_1)
	v_mov_b32_e32 v15, v11
	ds_load_2addr_b64 v[10:13], v26 offset0:40 offset1:41
	v_pk_add_f32 v[160:161], v[160:161], v[18:19] neg_lo:[0,1] neg_hi:[0,1]
	v_pk_add_f32 v[156:157], v[156:157], v[14:15] neg_lo:[0,1] neg_hi:[0,1]
	s_wait_dscnt 0x0
	v_pk_mul_f32 v[14:15], v[10:11], v[8:9] op_sel:[0,1]
	s_delay_alu instid0(VALU_DEP_1) | instskip(SKIP_2) | instid1(VALU_DEP_2)
	v_pk_fma_f32 v[18:19], v[10:11], v[6:7], v[14:15] op_sel:[0,0,1] op_sel_hi:[1,1,0] neg_lo:[0,0,1] neg_hi:[0,0,1]
	v_pk_fma_f32 v[10:11], v[10:11], v[6:7], v[14:15] op_sel:[0,0,1] op_sel_hi:[1,0,0]
	v_dual_mul_f32 v14, v13, v9 :: v_dual_mov_b32 v10, v13
	v_dual_mov_b32 v19, v11 :: v_dual_mov_b32 v11, v12
	s_delay_alu instid0(VALU_DEP_2) | instskip(SKIP_1) | instid1(VALU_DEP_3)
	v_pk_fma_f32 v[14:15], v[12:13], v[158:159], v[14:15] op_sel_hi:[1,1,0] neg_lo:[0,0,1] neg_hi:[0,0,1]
	v_mul_f32_e32 v12, v13, v6
	v_pk_add_f32 v[178:179], v[178:179], v[18:19] neg_lo:[0,1] neg_hi:[0,1]
	s_delay_alu instid0(VALU_DEP_2) | instskip(NEXT) | instid1(VALU_DEP_1)
	v_pk_fma_f32 v[10:11], v[10:11], v[158:159], v[12:13] op_sel_hi:[1,1,0]
	v_mov_b32_e32 v15, v11
	ds_load_2addr_b64 v[10:13], v26 offset0:42 offset1:43
	v_pk_add_f32 v[174:175], v[174:175], v[14:15] neg_lo:[0,1] neg_hi:[0,1]
	s_wait_dscnt 0x0
	v_pk_mul_f32 v[14:15], v[10:11], v[8:9] op_sel:[0,1]
	s_delay_alu instid0(VALU_DEP_1) | instskip(SKIP_1) | instid1(VALU_DEP_1)
	v_pk_fma_f32 v[18:19], v[10:11], v[6:7], v[14:15] op_sel:[0,0,1] op_sel_hi:[1,1,0] neg_lo:[0,0,1] neg_hi:[0,0,1]
	v_pk_fma_f32 v[10:11], v[10:11], v[6:7], v[14:15] op_sel:[0,0,1] op_sel_hi:[1,0,0]
	v_mov_b32_e32 v19, v11
	v_pk_mul_f32 v[10:11], v[12:13], v[8:9] op_sel:[0,1]
	s_delay_alu instid0(VALU_DEP_1) | instskip(SKIP_1) | instid1(VALU_DEP_1)
	v_pk_fma_f32 v[14:15], v[12:13], v[6:7], v[10:11] op_sel:[0,0,1] op_sel_hi:[1,1,0] neg_lo:[0,0,1] neg_hi:[0,0,1]
	v_pk_fma_f32 v[10:11], v[12:13], v[6:7], v[10:11] op_sel:[0,0,1] op_sel_hi:[1,0,0]
	v_mov_b32_e32 v15, v11
	ds_load_2addr_b64 v[10:13], v26 offset0:44 offset1:45
	v_pk_add_f32 v[176:177], v[176:177], v[18:19] neg_lo:[0,1] neg_hi:[0,1]
	v_pk_add_f32 v[172:173], v[172:173], v[14:15] neg_lo:[0,1] neg_hi:[0,1]
	s_wait_dscnt 0x0
	v_pk_mul_f32 v[14:15], v[10:11], v[8:9] op_sel:[0,1]
	v_pk_mul_f32 v[8:9], v[12:13], v[8:9] op_sel:[0,1]
	s_delay_alu instid0(VALU_DEP_2) | instskip(SKIP_1) | instid1(VALU_DEP_1)
	v_pk_fma_f32 v[18:19], v[10:11], v[6:7], v[14:15] op_sel:[0,0,1] op_sel_hi:[1,1,0] neg_lo:[0,0,1] neg_hi:[0,0,1]
	v_pk_fma_f32 v[10:11], v[10:11], v[6:7], v[14:15] op_sel:[0,0,1] op_sel_hi:[1,0,0]
	v_mov_b32_e32 v19, v11
	s_delay_alu instid0(VALU_DEP_4) | instskip(SKIP_1) | instid1(VALU_DEP_1)
	v_pk_fma_f32 v[10:11], v[12:13], v[6:7], v[8:9] op_sel:[0,0,1] op_sel_hi:[1,1,0] neg_lo:[0,0,1] neg_hi:[0,0,1]
	v_pk_fma_f32 v[6:7], v[12:13], v[6:7], v[8:9] op_sel:[0,0,1] op_sel_hi:[1,0,0]
	v_mov_b32_e32 v11, v7
	s_delay_alu instid0(VALU_DEP_4) | instskip(NEXT) | instid1(VALU_DEP_2)
	v_pk_add_f32 v[180:181], v[180:181], v[18:19] neg_lo:[0,1] neg_hi:[0,1]
	v_pk_add_f32 v[184:185], v[184:185], v[10:11] neg_lo:[0,1] neg_hi:[0,1]
.LBB91_343:
	s_or_b32 exec_lo, exec_lo, s1
	s_delay_alu instid0(SALU_CYCLE_1)
	s_mov_b32 s2, exec_lo
	s_wait_dscnt 0x0
	s_barrier_signal -1
	s_barrier_wait -1
	v_cmpx_eq_u32_e32 38, v34
	s_cbranch_execz .LBB91_350
; %bb.344:
	ds_store_b64 v35, v[160:161]
	ds_store_2addr_b64 v26, v[156:157], v[178:179] offset0:39 offset1:40
	ds_store_2addr_b64 v26, v[174:175], v[176:177] offset0:41 offset1:42
	;; [unrolled: 1-line block ×3, first 2 shown]
	ds_store_b64 v26, v[184:185] offset:360
	ds_load_b64 v[6:7], v35
	s_wait_dscnt 0x0
	v_cmp_neq_f32_e32 vcc_lo, 0, v6
	v_cmp_neq_f32_e64 s1, 0, v7
	s_or_b32 s1, vcc_lo, s1
	s_delay_alu instid0(SALU_CYCLE_1)
	s_and_b32 exec_lo, exec_lo, s1
	s_cbranch_execz .LBB91_350
; %bb.345:
	v_cmp_ngt_f32_e64 s1, |v6|, |v7|
                                        ; implicit-def: $vgpr8_vgpr9
	s_and_saveexec_b32 s4, s1
	s_delay_alu instid0(SALU_CYCLE_1)
	s_xor_b32 s1, exec_lo, s4
	s_cbranch_execz .LBB91_347
; %bb.346:
	v_div_scale_f32 v8, null, v7, v7, v6
	v_div_scale_f32 v11, vcc_lo, v6, v7, v6
	s_delay_alu instid0(VALU_DEP_2) | instskip(SKIP_1) | instid1(TRANS32_DEP_1)
	v_rcp_f32_e32 v9, v8
	v_nop
	v_fma_f32 v10, -v8, v9, 1.0
	s_delay_alu instid0(VALU_DEP_1) | instskip(NEXT) | instid1(VALU_DEP_1)
	v_fmac_f32_e32 v9, v10, v9
	v_mul_f32_e32 v10, v11, v9
	s_delay_alu instid0(VALU_DEP_1) | instskip(NEXT) | instid1(VALU_DEP_1)
	v_fma_f32 v12, -v8, v10, v11
	v_fmac_f32_e32 v10, v12, v9
	s_delay_alu instid0(VALU_DEP_1) | instskip(NEXT) | instid1(VALU_DEP_1)
	v_fma_f32 v8, -v8, v10, v11
	v_div_fmas_f32 v8, v8, v9, v10
	s_delay_alu instid0(VALU_DEP_1) | instskip(NEXT) | instid1(VALU_DEP_1)
	v_div_fixup_f32 v8, v8, v7, v6
	v_fmac_f32_e32 v7, v6, v8
	s_delay_alu instid0(VALU_DEP_1) | instskip(SKIP_1) | instid1(VALU_DEP_2)
	v_div_scale_f32 v6, null, v7, v7, 1.0
	v_div_scale_f32 v11, vcc_lo, 1.0, v7, 1.0
	v_rcp_f32_e32 v9, v6
	v_nop
	s_delay_alu instid0(TRANS32_DEP_1) | instskip(NEXT) | instid1(VALU_DEP_1)
	v_fma_f32 v10, -v6, v9, 1.0
	v_fmac_f32_e32 v9, v10, v9
	s_delay_alu instid0(VALU_DEP_1) | instskip(NEXT) | instid1(VALU_DEP_1)
	v_mul_f32_e32 v10, v11, v9
	v_fma_f32 v12, -v6, v10, v11
	s_delay_alu instid0(VALU_DEP_1) | instskip(NEXT) | instid1(VALU_DEP_1)
	v_fmac_f32_e32 v10, v12, v9
	v_fma_f32 v6, -v6, v10, v11
	s_delay_alu instid0(VALU_DEP_1) | instskip(NEXT) | instid1(VALU_DEP_1)
	v_div_fmas_f32 v6, v6, v9, v10
	v_div_fixup_f32 v6, v6, v7, 1.0
	s_delay_alu instid0(VALU_DEP_1)
	v_mul_f32_e32 v8, v8, v6
	v_xor_b32_e32 v9, 0x80000000, v6
                                        ; implicit-def: $vgpr6_vgpr7
.LBB91_347:
	s_and_not1_saveexec_b32 s1, s1
	s_cbranch_execz .LBB91_349
; %bb.348:
	v_div_scale_f32 v8, null, v6, v6, v7
	v_div_scale_f32 v11, vcc_lo, v7, v6, v7
	s_delay_alu instid0(VALU_DEP_2) | instskip(SKIP_1) | instid1(TRANS32_DEP_1)
	v_rcp_f32_e32 v9, v8
	v_nop
	v_fma_f32 v10, -v8, v9, 1.0
	s_delay_alu instid0(VALU_DEP_1) | instskip(NEXT) | instid1(VALU_DEP_1)
	v_fmac_f32_e32 v9, v10, v9
	v_mul_f32_e32 v10, v11, v9
	s_delay_alu instid0(VALU_DEP_1) | instskip(NEXT) | instid1(VALU_DEP_1)
	v_fma_f32 v12, -v8, v10, v11
	v_fmac_f32_e32 v10, v12, v9
	s_delay_alu instid0(VALU_DEP_1) | instskip(NEXT) | instid1(VALU_DEP_1)
	v_fma_f32 v8, -v8, v10, v11
	v_div_fmas_f32 v8, v8, v9, v10
	s_delay_alu instid0(VALU_DEP_1) | instskip(NEXT) | instid1(VALU_DEP_1)
	v_div_fixup_f32 v9, v8, v6, v7
	v_fmac_f32_e32 v6, v7, v9
	s_delay_alu instid0(VALU_DEP_1) | instskip(NEXT) | instid1(VALU_DEP_1)
	v_div_scale_f32 v7, null, v6, v6, 1.0
	v_rcp_f32_e32 v8, v7
	v_nop
	s_delay_alu instid0(TRANS32_DEP_1) | instskip(NEXT) | instid1(VALU_DEP_1)
	v_fma_f32 v10, -v7, v8, 1.0
	v_fmac_f32_e32 v8, v10, v8
	v_div_scale_f32 v10, vcc_lo, 1.0, v6, 1.0
	s_delay_alu instid0(VALU_DEP_1) | instskip(NEXT) | instid1(VALU_DEP_1)
	v_mul_f32_e32 v11, v10, v8
	v_fma_f32 v12, -v7, v11, v10
	s_delay_alu instid0(VALU_DEP_1) | instskip(NEXT) | instid1(VALU_DEP_1)
	v_fmac_f32_e32 v11, v12, v8
	v_fma_f32 v7, -v7, v11, v10
	s_delay_alu instid0(VALU_DEP_1) | instskip(NEXT) | instid1(VALU_DEP_1)
	v_div_fmas_f32 v7, v7, v8, v11
	v_div_fixup_f32 v8, v7, v6, 1.0
	s_delay_alu instid0(VALU_DEP_1)
	v_mul_f32_e64 v9, v9, -v8
.LBB91_349:
	s_or_b32 exec_lo, exec_lo, s1
	ds_store_b64 v35, v[8:9]
.LBB91_350:
	s_or_b32 exec_lo, exec_lo, s2
	s_wait_dscnt 0x0
	s_barrier_signal -1
	s_barrier_wait -1
	ds_load_b64 v[6:7], v35
	s_mov_b32 s1, exec_lo
	v_cmpx_lt_u32_e32 38, v34
	s_cbranch_execz .LBB91_352
; %bb.351:
	s_wait_dscnt 0x0
	v_pk_mul_f32 v[10:11], v[6:7], v[160:161] op_sel:[1,1] op_sel_hi:[0,1]
	s_delay_alu instid0(VALU_DEP_1)
	v_pk_fma_f32 v[8:9], v[6:7], v[160:161], v[10:11] op_sel_hi:[1,0,1] neg_lo:[0,0,1] neg_hi:[0,0,1]
	v_pk_fma_f32 v[14:15], v[6:7], v[160:161], v[10:11] op_sel_hi:[1,0,1]
	ds_load_2addr_b64 v[10:13], v26 offset0:39 offset1:40
	v_dual_mov_b32 v160, v8 :: v_dual_mov_b32 v161, v15
	s_wait_dscnt 0x0
	v_pk_mul_f32 v[18:19], v[10:11], v[14:15] op_sel:[0,1]
	s_delay_alu instid0(VALU_DEP_1) | instskip(SKIP_1) | instid1(VALU_DEP_1)
	v_pk_fma_f32 v[20:21], v[10:11], v[8:9], v[18:19] op_sel:[0,0,1] op_sel_hi:[1,1,0] neg_lo:[0,0,1] neg_hi:[0,0,1]
	v_pk_fma_f32 v[10:11], v[10:11], v[8:9], v[18:19] op_sel:[0,0,1] op_sel_hi:[1,0,0]
	v_mov_b32_e32 v21, v11
	v_pk_mul_f32 v[10:11], v[12:13], v[14:15] op_sel:[0,1]
	s_delay_alu instid0(VALU_DEP_1) | instskip(SKIP_1) | instid1(VALU_DEP_1)
	v_pk_fma_f32 v[18:19], v[12:13], v[8:9], v[10:11] op_sel:[0,0,1] op_sel_hi:[1,1,0] neg_lo:[0,0,1] neg_hi:[0,0,1]
	v_pk_fma_f32 v[10:11], v[12:13], v[8:9], v[10:11] op_sel:[0,0,1] op_sel_hi:[1,0,0]
	v_mov_b32_e32 v19, v11
	ds_load_2addr_b64 v[10:13], v26 offset0:41 offset1:42
	v_pk_add_f32 v[156:157], v[156:157], v[20:21] neg_lo:[0,1] neg_hi:[0,1]
	v_pk_add_f32 v[178:179], v[178:179], v[18:19] neg_lo:[0,1] neg_hi:[0,1]
	s_wait_dscnt 0x0
	v_pk_mul_f32 v[18:19], v[10:11], v[14:15] op_sel:[0,1]
	s_delay_alu instid0(VALU_DEP_1) | instskip(SKIP_2) | instid1(VALU_DEP_2)
	v_pk_fma_f32 v[20:21], v[10:11], v[8:9], v[18:19] op_sel:[0,0,1] op_sel_hi:[1,1,0] neg_lo:[0,0,1] neg_hi:[0,0,1]
	v_pk_fma_f32 v[10:11], v[10:11], v[8:9], v[18:19] op_sel:[0,0,1] op_sel_hi:[1,0,0]
	v_dual_mul_f32 v18, v13, v15 :: v_dual_mov_b32 v10, v13
	v_dual_mov_b32 v21, v11 :: v_dual_mov_b32 v11, v12
	s_delay_alu instid0(VALU_DEP_2) | instskip(SKIP_1) | instid1(VALU_DEP_3)
	v_pk_fma_f32 v[18:19], v[12:13], v[160:161], v[18:19] op_sel_hi:[1,1,0] neg_lo:[0,0,1] neg_hi:[0,0,1]
	v_mul_f32_e32 v12, v13, v8
	v_pk_add_f32 v[174:175], v[174:175], v[20:21] neg_lo:[0,1] neg_hi:[0,1]
	s_delay_alu instid0(VALU_DEP_2) | instskip(NEXT) | instid1(VALU_DEP_1)
	v_pk_fma_f32 v[10:11], v[10:11], v[160:161], v[12:13] op_sel_hi:[1,1,0]
	v_mov_b32_e32 v19, v11
	ds_load_2addr_b64 v[10:13], v26 offset0:43 offset1:44
	v_pk_add_f32 v[176:177], v[176:177], v[18:19] neg_lo:[0,1] neg_hi:[0,1]
	s_wait_dscnt 0x0
	v_pk_mul_f32 v[18:19], v[10:11], v[14:15] op_sel:[0,1]
	s_delay_alu instid0(VALU_DEP_1) | instskip(SKIP_1) | instid1(VALU_DEP_1)
	v_pk_fma_f32 v[20:21], v[10:11], v[8:9], v[18:19] op_sel:[0,0,1] op_sel_hi:[1,1,0] neg_lo:[0,0,1] neg_hi:[0,0,1]
	v_pk_fma_f32 v[10:11], v[10:11], v[8:9], v[18:19] op_sel:[0,0,1] op_sel_hi:[1,0,0]
	v_mov_b32_e32 v21, v11
	v_pk_mul_f32 v[10:11], v[12:13], v[14:15] op_sel:[0,1]
	s_delay_alu instid0(VALU_DEP_1) | instskip(SKIP_1) | instid1(VALU_DEP_1)
	v_pk_fma_f32 v[18:19], v[12:13], v[8:9], v[10:11] op_sel:[0,0,1] op_sel_hi:[1,1,0] neg_lo:[0,0,1] neg_hi:[0,0,1]
	v_pk_fma_f32 v[10:11], v[12:13], v[8:9], v[10:11] op_sel:[0,0,1] op_sel_hi:[1,0,0]
	v_mov_b32_e32 v19, v11
	ds_load_b64 v[10:11], v26 offset:360
	v_pk_add_f32 v[172:173], v[172:173], v[20:21] neg_lo:[0,1] neg_hi:[0,1]
	v_pk_add_f32 v[180:181], v[180:181], v[18:19] neg_lo:[0,1] neg_hi:[0,1]
	s_wait_dscnt 0x0
	v_pk_mul_f32 v[12:13], v[10:11], v[14:15] op_sel:[0,1]
	s_delay_alu instid0(VALU_DEP_1) | instskip(SKIP_1) | instid1(VALU_DEP_1)
	v_pk_fma_f32 v[14:15], v[10:11], v[8:9], v[12:13] op_sel:[0,0,1] op_sel_hi:[1,1,0] neg_lo:[0,0,1] neg_hi:[0,0,1]
	v_pk_fma_f32 v[8:9], v[10:11], v[8:9], v[12:13] op_sel:[0,0,1] op_sel_hi:[1,0,0]
	v_mov_b32_e32 v15, v9
	s_delay_alu instid0(VALU_DEP_1)
	v_pk_add_f32 v[184:185], v[184:185], v[14:15] neg_lo:[0,1] neg_hi:[0,1]
.LBB91_352:
	s_or_b32 exec_lo, exec_lo, s1
	s_delay_alu instid0(SALU_CYCLE_1)
	s_mov_b32 s2, exec_lo
	s_wait_dscnt 0x0
	s_barrier_signal -1
	s_barrier_wait -1
	v_cmpx_eq_u32_e32 39, v34
	s_cbranch_execz .LBB91_359
; %bb.353:
	v_dual_mov_b32 v8, v178 :: v_dual_mov_b32 v9, v179
	v_dual_mov_b32 v10, v174 :: v_dual_mov_b32 v11, v175
	ds_store_b64 v35, v[156:157]
	ds_store_2addr_b64 v26, v[8:9], v[10:11] offset0:40 offset1:41
	v_dual_mov_b32 v8, v176 :: v_dual_mov_b32 v9, v177
	v_dual_mov_b32 v10, v172 :: v_dual_mov_b32 v11, v173
	ds_store_2addr_b64 v26, v[8:9], v[10:11] offset0:42 offset1:43
	v_dual_mov_b32 v8, v180 :: v_dual_mov_b32 v9, v181
	ds_store_2addr_b64 v26, v[8:9], v[184:185] offset0:44 offset1:45
	ds_load_b64 v[8:9], v35
	s_wait_dscnt 0x0
	v_cmp_neq_f32_e32 vcc_lo, 0, v8
	v_cmp_neq_f32_e64 s1, 0, v9
	s_or_b32 s1, vcc_lo, s1
	s_delay_alu instid0(SALU_CYCLE_1)
	s_and_b32 exec_lo, exec_lo, s1
	s_cbranch_execz .LBB91_359
; %bb.354:
	v_cmp_ngt_f32_e64 s1, |v8|, |v9|
                                        ; implicit-def: $vgpr10_vgpr11
	s_and_saveexec_b32 s4, s1
	s_delay_alu instid0(SALU_CYCLE_1)
	s_xor_b32 s1, exec_lo, s4
	s_cbranch_execz .LBB91_356
; %bb.355:
	v_div_scale_f32 v10, null, v9, v9, v8
	v_div_scale_f32 v13, vcc_lo, v8, v9, v8
	s_delay_alu instid0(VALU_DEP_2) | instskip(SKIP_1) | instid1(TRANS32_DEP_1)
	v_rcp_f32_e32 v11, v10
	v_nop
	v_fma_f32 v12, -v10, v11, 1.0
	s_delay_alu instid0(VALU_DEP_1) | instskip(NEXT) | instid1(VALU_DEP_1)
	v_fmac_f32_e32 v11, v12, v11
	v_mul_f32_e32 v12, v13, v11
	s_delay_alu instid0(VALU_DEP_1) | instskip(NEXT) | instid1(VALU_DEP_1)
	v_fma_f32 v14, -v10, v12, v13
	v_fmac_f32_e32 v12, v14, v11
	s_delay_alu instid0(VALU_DEP_1) | instskip(NEXT) | instid1(VALU_DEP_1)
	v_fma_f32 v10, -v10, v12, v13
	v_div_fmas_f32 v10, v10, v11, v12
	s_delay_alu instid0(VALU_DEP_1) | instskip(NEXT) | instid1(VALU_DEP_1)
	v_div_fixup_f32 v10, v10, v9, v8
	v_fmac_f32_e32 v9, v8, v10
	s_delay_alu instid0(VALU_DEP_1) | instskip(SKIP_1) | instid1(VALU_DEP_2)
	v_div_scale_f32 v8, null, v9, v9, 1.0
	v_div_scale_f32 v13, vcc_lo, 1.0, v9, 1.0
	v_rcp_f32_e32 v11, v8
	v_nop
	s_delay_alu instid0(TRANS32_DEP_1) | instskip(NEXT) | instid1(VALU_DEP_1)
	v_fma_f32 v12, -v8, v11, 1.0
	v_fmac_f32_e32 v11, v12, v11
	s_delay_alu instid0(VALU_DEP_1) | instskip(NEXT) | instid1(VALU_DEP_1)
	v_mul_f32_e32 v12, v13, v11
	v_fma_f32 v14, -v8, v12, v13
	s_delay_alu instid0(VALU_DEP_1) | instskip(NEXT) | instid1(VALU_DEP_1)
	v_fmac_f32_e32 v12, v14, v11
	v_fma_f32 v8, -v8, v12, v13
	s_delay_alu instid0(VALU_DEP_1) | instskip(NEXT) | instid1(VALU_DEP_1)
	v_div_fmas_f32 v8, v8, v11, v12
	v_div_fixup_f32 v8, v8, v9, 1.0
	s_delay_alu instid0(VALU_DEP_1)
	v_mul_f32_e32 v10, v10, v8
	v_xor_b32_e32 v11, 0x80000000, v8
                                        ; implicit-def: $vgpr8_vgpr9
.LBB91_356:
	s_and_not1_saveexec_b32 s1, s1
	s_cbranch_execz .LBB91_358
; %bb.357:
	v_div_scale_f32 v10, null, v8, v8, v9
	v_div_scale_f32 v13, vcc_lo, v9, v8, v9
	s_delay_alu instid0(VALU_DEP_2) | instskip(SKIP_1) | instid1(TRANS32_DEP_1)
	v_rcp_f32_e32 v11, v10
	v_nop
	v_fma_f32 v12, -v10, v11, 1.0
	s_delay_alu instid0(VALU_DEP_1) | instskip(NEXT) | instid1(VALU_DEP_1)
	v_fmac_f32_e32 v11, v12, v11
	v_mul_f32_e32 v12, v13, v11
	s_delay_alu instid0(VALU_DEP_1) | instskip(NEXT) | instid1(VALU_DEP_1)
	v_fma_f32 v14, -v10, v12, v13
	v_fmac_f32_e32 v12, v14, v11
	s_delay_alu instid0(VALU_DEP_1) | instskip(NEXT) | instid1(VALU_DEP_1)
	v_fma_f32 v10, -v10, v12, v13
	v_div_fmas_f32 v10, v10, v11, v12
	s_delay_alu instid0(VALU_DEP_1) | instskip(NEXT) | instid1(VALU_DEP_1)
	v_div_fixup_f32 v11, v10, v8, v9
	v_fmac_f32_e32 v8, v9, v11
	s_delay_alu instid0(VALU_DEP_1) | instskip(NEXT) | instid1(VALU_DEP_1)
	v_div_scale_f32 v9, null, v8, v8, 1.0
	v_rcp_f32_e32 v10, v9
	v_nop
	s_delay_alu instid0(TRANS32_DEP_1) | instskip(NEXT) | instid1(VALU_DEP_1)
	v_fma_f32 v12, -v9, v10, 1.0
	v_fmac_f32_e32 v10, v12, v10
	v_div_scale_f32 v12, vcc_lo, 1.0, v8, 1.0
	s_delay_alu instid0(VALU_DEP_1) | instskip(NEXT) | instid1(VALU_DEP_1)
	v_mul_f32_e32 v13, v12, v10
	v_fma_f32 v14, -v9, v13, v12
	s_delay_alu instid0(VALU_DEP_1) | instskip(NEXT) | instid1(VALU_DEP_1)
	v_fmac_f32_e32 v13, v14, v10
	v_fma_f32 v9, -v9, v13, v12
	s_delay_alu instid0(VALU_DEP_1) | instskip(NEXT) | instid1(VALU_DEP_1)
	v_div_fmas_f32 v9, v9, v10, v13
	v_div_fixup_f32 v10, v9, v8, 1.0
	s_delay_alu instid0(VALU_DEP_1)
	v_mul_f32_e64 v11, v11, -v10
.LBB91_358:
	s_or_b32 exec_lo, exec_lo, s1
	ds_store_b64 v35, v[10:11]
.LBB91_359:
	s_or_b32 exec_lo, exec_lo, s2
	s_wait_dscnt 0x0
	s_barrier_signal -1
	s_barrier_wait -1
	ds_load_b64 v[8:9], v35
	s_mov_b32 s1, exec_lo
	v_cmpx_lt_u32_e32 39, v34
	s_cbranch_execz .LBB91_361
; %bb.360:
	s_wait_dscnt 0x0
	v_pk_mul_f32 v[10:11], v[8:9], v[156:157] op_sel:[1,1] op_sel_hi:[0,1]
	s_delay_alu instid0(VALU_DEP_1)
	v_pk_fma_f32 v[14:15], v[8:9], v[156:157], v[10:11] op_sel_hi:[1,0,1] neg_lo:[0,0,1] neg_hi:[0,0,1]
	v_pk_fma_f32 v[18:19], v[8:9], v[156:157], v[10:11] op_sel_hi:[1,0,1]
	ds_load_2addr_b64 v[10:13], v26 offset0:40 offset1:41
	v_dual_mov_b32 v156, v14 :: v_dual_mov_b32 v157, v19
	s_wait_dscnt 0x0
	v_pk_mul_f32 v[20:21], v[10:11], v[18:19] op_sel:[0,1]
	s_delay_alu instid0(VALU_DEP_1) | instskip(SKIP_1) | instid1(VALU_DEP_1)
	v_pk_fma_f32 v[22:23], v[10:11], v[14:15], v[20:21] op_sel:[0,0,1] op_sel_hi:[1,1,0] neg_lo:[0,0,1] neg_hi:[0,0,1]
	v_pk_fma_f32 v[10:11], v[10:11], v[14:15], v[20:21] op_sel:[0,0,1] op_sel_hi:[1,0,0]
	v_mov_b32_e32 v23, v11
	v_pk_mul_f32 v[10:11], v[12:13], v[18:19] op_sel:[0,1]
	s_delay_alu instid0(VALU_DEP_1) | instskip(SKIP_1) | instid1(VALU_DEP_1)
	v_pk_fma_f32 v[20:21], v[12:13], v[14:15], v[10:11] op_sel:[0,0,1] op_sel_hi:[1,1,0] neg_lo:[0,0,1] neg_hi:[0,0,1]
	v_pk_fma_f32 v[10:11], v[12:13], v[14:15], v[10:11] op_sel:[0,0,1] op_sel_hi:[1,0,0]
	v_mov_b32_e32 v21, v11
	ds_load_2addr_b64 v[10:13], v26 offset0:42 offset1:43
	v_pk_add_f32 v[178:179], v[178:179], v[22:23] neg_lo:[0,1] neg_hi:[0,1]
	v_pk_add_f32 v[174:175], v[174:175], v[20:21] neg_lo:[0,1] neg_hi:[0,1]
	s_wait_dscnt 0x0
	v_pk_mul_f32 v[20:21], v[10:11], v[18:19] op_sel:[0,1]
	s_delay_alu instid0(VALU_DEP_1) | instskip(SKIP_2) | instid1(VALU_DEP_2)
	v_pk_fma_f32 v[22:23], v[10:11], v[14:15], v[20:21] op_sel:[0,0,1] op_sel_hi:[1,1,0] neg_lo:[0,0,1] neg_hi:[0,0,1]
	v_pk_fma_f32 v[10:11], v[10:11], v[14:15], v[20:21] op_sel:[0,0,1] op_sel_hi:[1,0,0]
	v_dual_mul_f32 v20, v13, v19 :: v_dual_mov_b32 v10, v13
	v_dual_mov_b32 v23, v11 :: v_dual_mov_b32 v11, v12
	s_delay_alu instid0(VALU_DEP_2) | instskip(SKIP_1) | instid1(VALU_DEP_3)
	v_pk_fma_f32 v[20:21], v[12:13], v[156:157], v[20:21] op_sel_hi:[1,1,0] neg_lo:[0,0,1] neg_hi:[0,0,1]
	v_mul_f32_e32 v12, v13, v14
	v_pk_add_f32 v[176:177], v[176:177], v[22:23] neg_lo:[0,1] neg_hi:[0,1]
	s_delay_alu instid0(VALU_DEP_2) | instskip(NEXT) | instid1(VALU_DEP_1)
	v_pk_fma_f32 v[10:11], v[10:11], v[156:157], v[12:13] op_sel_hi:[1,1,0]
	v_mov_b32_e32 v21, v11
	ds_load_2addr_b64 v[10:13], v26 offset0:44 offset1:45
	v_pk_add_f32 v[172:173], v[172:173], v[20:21] neg_lo:[0,1] neg_hi:[0,1]
	s_wait_dscnt 0x0
	v_pk_mul_f32 v[20:21], v[10:11], v[18:19] op_sel:[0,1]
	v_mul_f32_e32 v18, v13, v19
	s_delay_alu instid0(VALU_DEP_2) | instskip(SKIP_2) | instid1(VALU_DEP_4)
	v_pk_fma_f32 v[22:23], v[10:11], v[14:15], v[20:21] op_sel:[0,0,1] op_sel_hi:[1,1,0] neg_lo:[0,0,1] neg_hi:[0,0,1]
	v_pk_fma_f32 v[10:11], v[10:11], v[14:15], v[20:21] op_sel:[0,0,1] op_sel_hi:[1,0,0]
	v_mov_b32_e32 v10, v13
	v_pk_fma_f32 v[18:19], v[12:13], v[156:157], v[18:19] op_sel_hi:[1,1,0] neg_lo:[0,0,1] neg_hi:[0,0,1]
	s_delay_alu instid0(VALU_DEP_3) | instskip(SKIP_1) | instid1(VALU_DEP_2)
	v_dual_mov_b32 v23, v11 :: v_dual_mov_b32 v11, v12
	v_mul_f32_e32 v12, v13, v14
	v_pk_add_f32 v[180:181], v[180:181], v[22:23] neg_lo:[0,1] neg_hi:[0,1]
	s_delay_alu instid0(VALU_DEP_2) | instskip(NEXT) | instid1(VALU_DEP_1)
	v_pk_fma_f32 v[10:11], v[10:11], v[156:157], v[12:13] op_sel_hi:[1,1,0]
	v_mov_b32_e32 v19, v11
	s_delay_alu instid0(VALU_DEP_1)
	v_pk_add_f32 v[184:185], v[184:185], v[18:19] neg_lo:[0,1] neg_hi:[0,1]
.LBB91_361:
	s_or_b32 exec_lo, exec_lo, s1
	s_delay_alu instid0(SALU_CYCLE_1)
	s_mov_b32 s2, exec_lo
	s_wait_dscnt 0x0
	s_barrier_signal -1
	s_barrier_wait -1
	v_cmpx_eq_u32_e32 40, v34
	s_cbranch_execz .LBB91_368
; %bb.362:
	ds_store_b64 v35, v[178:179]
	ds_store_2addr_b64 v26, v[174:175], v[176:177] offset0:41 offset1:42
	ds_store_2addr_b64 v26, v[172:173], v[180:181] offset0:43 offset1:44
	ds_store_b64 v26, v[184:185] offset:360
	ds_load_b64 v[10:11], v35
	s_wait_dscnt 0x0
	v_cmp_neq_f32_e32 vcc_lo, 0, v10
	v_cmp_neq_f32_e64 s1, 0, v11
	s_or_b32 s1, vcc_lo, s1
	s_delay_alu instid0(SALU_CYCLE_1)
	s_and_b32 exec_lo, exec_lo, s1
	s_cbranch_execz .LBB91_368
; %bb.363:
	v_cmp_ngt_f32_e64 s1, |v10|, |v11|
                                        ; implicit-def: $vgpr12_vgpr13
	s_and_saveexec_b32 s4, s1
	s_delay_alu instid0(SALU_CYCLE_1)
	s_xor_b32 s1, exec_lo, s4
	s_cbranch_execz .LBB91_365
; %bb.364:
	v_div_scale_f32 v12, null, v11, v11, v10
	v_div_scale_f32 v15, vcc_lo, v10, v11, v10
	s_delay_alu instid0(VALU_DEP_2) | instskip(SKIP_1) | instid1(TRANS32_DEP_1)
	v_rcp_f32_e32 v13, v12
	v_nop
	v_fma_f32 v14, -v12, v13, 1.0
	s_delay_alu instid0(VALU_DEP_1) | instskip(NEXT) | instid1(VALU_DEP_1)
	v_fmac_f32_e32 v13, v14, v13
	v_mul_f32_e32 v14, v15, v13
	s_delay_alu instid0(VALU_DEP_1) | instskip(NEXT) | instid1(VALU_DEP_1)
	v_fma_f32 v18, -v12, v14, v15
	v_fmac_f32_e32 v14, v18, v13
	s_delay_alu instid0(VALU_DEP_1) | instskip(NEXT) | instid1(VALU_DEP_1)
	v_fma_f32 v12, -v12, v14, v15
	v_div_fmas_f32 v12, v12, v13, v14
	s_delay_alu instid0(VALU_DEP_1) | instskip(NEXT) | instid1(VALU_DEP_1)
	v_div_fixup_f32 v12, v12, v11, v10
	v_fmac_f32_e32 v11, v10, v12
	s_delay_alu instid0(VALU_DEP_1) | instskip(SKIP_1) | instid1(VALU_DEP_2)
	v_div_scale_f32 v10, null, v11, v11, 1.0
	v_div_scale_f32 v15, vcc_lo, 1.0, v11, 1.0
	v_rcp_f32_e32 v13, v10
	v_nop
	s_delay_alu instid0(TRANS32_DEP_1) | instskip(NEXT) | instid1(VALU_DEP_1)
	v_fma_f32 v14, -v10, v13, 1.0
	v_fmac_f32_e32 v13, v14, v13
	s_delay_alu instid0(VALU_DEP_1) | instskip(NEXT) | instid1(VALU_DEP_1)
	v_mul_f32_e32 v14, v15, v13
	v_fma_f32 v18, -v10, v14, v15
	s_delay_alu instid0(VALU_DEP_1) | instskip(NEXT) | instid1(VALU_DEP_1)
	v_fmac_f32_e32 v14, v18, v13
	v_fma_f32 v10, -v10, v14, v15
	s_delay_alu instid0(VALU_DEP_1) | instskip(NEXT) | instid1(VALU_DEP_1)
	v_div_fmas_f32 v10, v10, v13, v14
	v_div_fixup_f32 v10, v10, v11, 1.0
	s_delay_alu instid0(VALU_DEP_1)
	v_mul_f32_e32 v12, v12, v10
	v_xor_b32_e32 v13, 0x80000000, v10
                                        ; implicit-def: $vgpr10_vgpr11
.LBB91_365:
	s_and_not1_saveexec_b32 s1, s1
	s_cbranch_execz .LBB91_367
; %bb.366:
	v_div_scale_f32 v12, null, v10, v10, v11
	v_div_scale_f32 v15, vcc_lo, v11, v10, v11
	s_delay_alu instid0(VALU_DEP_2) | instskip(SKIP_1) | instid1(TRANS32_DEP_1)
	v_rcp_f32_e32 v13, v12
	v_nop
	v_fma_f32 v14, -v12, v13, 1.0
	s_delay_alu instid0(VALU_DEP_1) | instskip(NEXT) | instid1(VALU_DEP_1)
	v_fmac_f32_e32 v13, v14, v13
	v_mul_f32_e32 v14, v15, v13
	s_delay_alu instid0(VALU_DEP_1) | instskip(NEXT) | instid1(VALU_DEP_1)
	v_fma_f32 v18, -v12, v14, v15
	v_fmac_f32_e32 v14, v18, v13
	s_delay_alu instid0(VALU_DEP_1) | instskip(NEXT) | instid1(VALU_DEP_1)
	v_fma_f32 v12, -v12, v14, v15
	v_div_fmas_f32 v12, v12, v13, v14
	s_delay_alu instid0(VALU_DEP_1) | instskip(NEXT) | instid1(VALU_DEP_1)
	v_div_fixup_f32 v13, v12, v10, v11
	v_fmac_f32_e32 v10, v11, v13
	s_delay_alu instid0(VALU_DEP_1) | instskip(NEXT) | instid1(VALU_DEP_1)
	v_div_scale_f32 v11, null, v10, v10, 1.0
	v_rcp_f32_e32 v12, v11
	v_nop
	s_delay_alu instid0(TRANS32_DEP_1) | instskip(NEXT) | instid1(VALU_DEP_1)
	v_fma_f32 v14, -v11, v12, 1.0
	v_fmac_f32_e32 v12, v14, v12
	v_div_scale_f32 v14, vcc_lo, 1.0, v10, 1.0
	s_delay_alu instid0(VALU_DEP_1) | instskip(NEXT) | instid1(VALU_DEP_1)
	v_mul_f32_e32 v15, v14, v12
	v_fma_f32 v18, -v11, v15, v14
	s_delay_alu instid0(VALU_DEP_1) | instskip(NEXT) | instid1(VALU_DEP_1)
	v_fmac_f32_e32 v15, v18, v12
	v_fma_f32 v11, -v11, v15, v14
	s_delay_alu instid0(VALU_DEP_1) | instskip(NEXT) | instid1(VALU_DEP_1)
	v_div_fmas_f32 v11, v11, v12, v15
	v_div_fixup_f32 v12, v11, v10, 1.0
	s_delay_alu instid0(VALU_DEP_1)
	v_mul_f32_e64 v13, v13, -v12
.LBB91_367:
	s_or_b32 exec_lo, exec_lo, s1
	ds_store_b64 v35, v[12:13]
.LBB91_368:
	s_or_b32 exec_lo, exec_lo, s2
	s_wait_dscnt 0x0
	s_barrier_signal -1
	s_barrier_wait -1
	ds_load_b64 v[10:11], v35
	s_mov_b32 s1, exec_lo
	v_cmpx_lt_u32_e32 40, v34
	s_cbranch_execz .LBB91_370
; %bb.369:
	s_wait_dscnt 0x0
	v_pk_mul_f32 v[12:13], v[10:11], v[178:179] op_sel:[1,1] op_sel_hi:[0,1]
	s_delay_alu instid0(VALU_DEP_1)
	v_pk_fma_f32 v[18:19], v[10:11], v[178:179], v[12:13] op_sel_hi:[1,0,1] neg_lo:[0,0,1] neg_hi:[0,0,1]
	v_pk_fma_f32 v[20:21], v[10:11], v[178:179], v[12:13] op_sel_hi:[1,0,1]
	ds_load_2addr_b64 v[12:15], v26 offset0:41 offset1:42
	v_dual_mov_b32 v178, v18 :: v_dual_mov_b32 v179, v21
	s_wait_dscnt 0x0
	v_pk_mul_f32 v[22:23], v[12:13], v[20:21] op_sel:[0,1]
	s_delay_alu instid0(VALU_DEP_1) | instskip(SKIP_1) | instid1(VALU_DEP_1)
	v_pk_fma_f32 v[28:29], v[12:13], v[18:19], v[22:23] op_sel:[0,0,1] op_sel_hi:[1,1,0] neg_lo:[0,0,1] neg_hi:[0,0,1]
	v_pk_fma_f32 v[12:13], v[12:13], v[18:19], v[22:23] op_sel:[0,0,1] op_sel_hi:[1,0,0]
	v_mov_b32_e32 v29, v13
	v_pk_mul_f32 v[12:13], v[14:15], v[20:21] op_sel:[0,1]
	s_delay_alu instid0(VALU_DEP_1) | instskip(SKIP_1) | instid1(VALU_DEP_1)
	v_pk_fma_f32 v[22:23], v[14:15], v[18:19], v[12:13] op_sel:[0,0,1] op_sel_hi:[1,1,0] neg_lo:[0,0,1] neg_hi:[0,0,1]
	v_pk_fma_f32 v[12:13], v[14:15], v[18:19], v[12:13] op_sel:[0,0,1] op_sel_hi:[1,0,0]
	v_mov_b32_e32 v23, v13
	ds_load_2addr_b64 v[12:15], v26 offset0:43 offset1:44
	v_pk_add_f32 v[174:175], v[174:175], v[28:29] neg_lo:[0,1] neg_hi:[0,1]
	v_pk_add_f32 v[176:177], v[176:177], v[22:23] neg_lo:[0,1] neg_hi:[0,1]
	s_wait_dscnt 0x0
	v_pk_mul_f32 v[22:23], v[12:13], v[20:21] op_sel:[0,1]
	s_delay_alu instid0(VALU_DEP_1) | instskip(SKIP_2) | instid1(VALU_DEP_2)
	v_pk_fma_f32 v[28:29], v[12:13], v[18:19], v[22:23] op_sel:[0,0,1] op_sel_hi:[1,1,0] neg_lo:[0,0,1] neg_hi:[0,0,1]
	v_pk_fma_f32 v[12:13], v[12:13], v[18:19], v[22:23] op_sel:[0,0,1] op_sel_hi:[1,0,0]
	v_dual_mul_f32 v22, v15, v21 :: v_dual_mov_b32 v12, v15
	v_dual_mov_b32 v29, v13 :: v_dual_mov_b32 v13, v14
	s_delay_alu instid0(VALU_DEP_2) | instskip(SKIP_1) | instid1(VALU_DEP_3)
	v_pk_fma_f32 v[22:23], v[14:15], v[178:179], v[22:23] op_sel_hi:[1,1,0] neg_lo:[0,0,1] neg_hi:[0,0,1]
	v_mul_f32_e32 v14, v15, v18
	v_pk_add_f32 v[172:173], v[172:173], v[28:29] neg_lo:[0,1] neg_hi:[0,1]
	s_delay_alu instid0(VALU_DEP_2) | instskip(NEXT) | instid1(VALU_DEP_1)
	v_pk_fma_f32 v[12:13], v[12:13], v[178:179], v[14:15] op_sel_hi:[1,1,0]
	v_mov_b32_e32 v23, v13
	ds_load_b64 v[12:13], v26 offset:360
	v_pk_add_f32 v[180:181], v[180:181], v[22:23] neg_lo:[0,1] neg_hi:[0,1]
	s_wait_dscnt 0x0
	v_pk_mul_f32 v[14:15], v[12:13], v[20:21] op_sel:[0,1]
	s_delay_alu instid0(VALU_DEP_1) | instskip(SKIP_1) | instid1(VALU_DEP_1)
	v_pk_fma_f32 v[20:21], v[12:13], v[18:19], v[14:15] op_sel:[0,0,1] op_sel_hi:[1,1,0] neg_lo:[0,0,1] neg_hi:[0,0,1]
	v_pk_fma_f32 v[12:13], v[12:13], v[18:19], v[14:15] op_sel:[0,0,1] op_sel_hi:[1,0,0]
	v_mov_b32_e32 v21, v13
	s_delay_alu instid0(VALU_DEP_1)
	v_pk_add_f32 v[184:185], v[184:185], v[20:21] neg_lo:[0,1] neg_hi:[0,1]
.LBB91_370:
	s_or_b32 exec_lo, exec_lo, s1
	s_delay_alu instid0(SALU_CYCLE_1)
	s_mov_b32 s2, exec_lo
	s_wait_dscnt 0x0
	s_barrier_signal -1
	s_barrier_wait -1
	v_cmpx_eq_u32_e32 41, v34
	s_cbranch_execz .LBB91_377
; %bb.371:
	v_dual_mov_b32 v12, v176 :: v_dual_mov_b32 v13, v177
	v_dual_mov_b32 v14, v172 :: v_dual_mov_b32 v15, v173
	ds_store_b64 v35, v[174:175]
	ds_store_2addr_b64 v26, v[12:13], v[14:15] offset0:42 offset1:43
	v_dual_mov_b32 v12, v180 :: v_dual_mov_b32 v13, v181
	ds_store_2addr_b64 v26, v[12:13], v[184:185] offset0:44 offset1:45
	ds_load_b64 v[12:13], v35
	s_wait_dscnt 0x0
	v_cmp_neq_f32_e32 vcc_lo, 0, v12
	v_cmp_neq_f32_e64 s1, 0, v13
	s_or_b32 s1, vcc_lo, s1
	s_delay_alu instid0(SALU_CYCLE_1)
	s_and_b32 exec_lo, exec_lo, s1
	s_cbranch_execz .LBB91_377
; %bb.372:
	v_cmp_ngt_f32_e64 s1, |v12|, |v13|
                                        ; implicit-def: $vgpr14_vgpr15
	s_and_saveexec_b32 s4, s1
	s_delay_alu instid0(SALU_CYCLE_1)
	s_xor_b32 s1, exec_lo, s4
	s_cbranch_execz .LBB91_374
; %bb.373:
	v_div_scale_f32 v14, null, v13, v13, v12
	v_div_scale_f32 v19, vcc_lo, v12, v13, v12
	s_delay_alu instid0(VALU_DEP_2) | instskip(SKIP_1) | instid1(TRANS32_DEP_1)
	v_rcp_f32_e32 v15, v14
	v_nop
	v_fma_f32 v18, -v14, v15, 1.0
	s_delay_alu instid0(VALU_DEP_1) | instskip(NEXT) | instid1(VALU_DEP_1)
	v_fmac_f32_e32 v15, v18, v15
	v_mul_f32_e32 v18, v19, v15
	s_delay_alu instid0(VALU_DEP_1) | instskip(NEXT) | instid1(VALU_DEP_1)
	v_fma_f32 v20, -v14, v18, v19
	v_fmac_f32_e32 v18, v20, v15
	s_delay_alu instid0(VALU_DEP_1) | instskip(NEXT) | instid1(VALU_DEP_1)
	v_fma_f32 v14, -v14, v18, v19
	v_div_fmas_f32 v14, v14, v15, v18
	s_delay_alu instid0(VALU_DEP_1) | instskip(NEXT) | instid1(VALU_DEP_1)
	v_div_fixup_f32 v14, v14, v13, v12
	v_fmac_f32_e32 v13, v12, v14
	s_delay_alu instid0(VALU_DEP_1) | instskip(SKIP_1) | instid1(VALU_DEP_2)
	v_div_scale_f32 v12, null, v13, v13, 1.0
	v_div_scale_f32 v19, vcc_lo, 1.0, v13, 1.0
	v_rcp_f32_e32 v15, v12
	v_nop
	s_delay_alu instid0(TRANS32_DEP_1) | instskip(NEXT) | instid1(VALU_DEP_1)
	v_fma_f32 v18, -v12, v15, 1.0
	v_fmac_f32_e32 v15, v18, v15
	s_delay_alu instid0(VALU_DEP_1) | instskip(NEXT) | instid1(VALU_DEP_1)
	v_mul_f32_e32 v18, v19, v15
	v_fma_f32 v20, -v12, v18, v19
	s_delay_alu instid0(VALU_DEP_1) | instskip(NEXT) | instid1(VALU_DEP_1)
	v_fmac_f32_e32 v18, v20, v15
	v_fma_f32 v12, -v12, v18, v19
	s_delay_alu instid0(VALU_DEP_1) | instskip(NEXT) | instid1(VALU_DEP_1)
	v_div_fmas_f32 v12, v12, v15, v18
	v_div_fixup_f32 v12, v12, v13, 1.0
	s_delay_alu instid0(VALU_DEP_1)
	v_mul_f32_e32 v14, v14, v12
	v_xor_b32_e32 v15, 0x80000000, v12
                                        ; implicit-def: $vgpr12_vgpr13
.LBB91_374:
	s_and_not1_saveexec_b32 s1, s1
	s_cbranch_execz .LBB91_376
; %bb.375:
	v_div_scale_f32 v14, null, v12, v12, v13
	v_div_scale_f32 v19, vcc_lo, v13, v12, v13
	s_delay_alu instid0(VALU_DEP_2) | instskip(SKIP_1) | instid1(TRANS32_DEP_1)
	v_rcp_f32_e32 v15, v14
	v_nop
	v_fma_f32 v18, -v14, v15, 1.0
	s_delay_alu instid0(VALU_DEP_1) | instskip(NEXT) | instid1(VALU_DEP_1)
	v_fmac_f32_e32 v15, v18, v15
	v_mul_f32_e32 v18, v19, v15
	s_delay_alu instid0(VALU_DEP_1) | instskip(NEXT) | instid1(VALU_DEP_1)
	v_fma_f32 v20, -v14, v18, v19
	v_fmac_f32_e32 v18, v20, v15
	s_delay_alu instid0(VALU_DEP_1) | instskip(NEXT) | instid1(VALU_DEP_1)
	v_fma_f32 v14, -v14, v18, v19
	v_div_fmas_f32 v14, v14, v15, v18
	s_delay_alu instid0(VALU_DEP_1) | instskip(NEXT) | instid1(VALU_DEP_1)
	v_div_fixup_f32 v15, v14, v12, v13
	v_fmac_f32_e32 v12, v13, v15
	s_delay_alu instid0(VALU_DEP_1) | instskip(NEXT) | instid1(VALU_DEP_1)
	v_div_scale_f32 v13, null, v12, v12, 1.0
	v_rcp_f32_e32 v14, v13
	v_nop
	s_delay_alu instid0(TRANS32_DEP_1) | instskip(NEXT) | instid1(VALU_DEP_1)
	v_fma_f32 v18, -v13, v14, 1.0
	v_fmac_f32_e32 v14, v18, v14
	v_div_scale_f32 v18, vcc_lo, 1.0, v12, 1.0
	s_delay_alu instid0(VALU_DEP_1) | instskip(NEXT) | instid1(VALU_DEP_1)
	v_mul_f32_e32 v19, v18, v14
	v_fma_f32 v20, -v13, v19, v18
	s_delay_alu instid0(VALU_DEP_1) | instskip(NEXT) | instid1(VALU_DEP_1)
	v_fmac_f32_e32 v19, v20, v14
	v_fma_f32 v13, -v13, v19, v18
	s_delay_alu instid0(VALU_DEP_1) | instskip(NEXT) | instid1(VALU_DEP_1)
	v_div_fmas_f32 v13, v13, v14, v19
	v_div_fixup_f32 v14, v13, v12, 1.0
	s_delay_alu instid0(VALU_DEP_1)
	v_mul_f32_e64 v15, v15, -v14
.LBB91_376:
	s_or_b32 exec_lo, exec_lo, s1
	ds_store_b64 v35, v[14:15]
.LBB91_377:
	s_or_b32 exec_lo, exec_lo, s2
	s_wait_dscnt 0x0
	s_barrier_signal -1
	s_barrier_wait -1
	ds_load_b64 v[14:15], v35
	s_mov_b32 s1, exec_lo
	v_cmpx_lt_u32_e32 41, v34
	s_cbranch_execz .LBB91_379
; %bb.378:
	ds_load_2addr_b64 v[18:21], v26 offset0:42 offset1:43
	s_wait_dscnt 0x1
	v_pk_mul_f32 v[12:13], v[14:15], v[174:175] op_sel:[1,1] op_sel_hi:[0,1]
	s_delay_alu instid0(VALU_DEP_1) | instskip(SKIP_1) | instid1(VALU_DEP_1)
	v_pk_fma_f32 v[22:23], v[14:15], v[174:175], v[12:13] op_sel_hi:[1,0,1] neg_lo:[0,0,1] neg_hi:[0,0,1]
	v_pk_fma_f32 v[12:13], v[14:15], v[174:175], v[12:13] op_sel_hi:[1,0,1]
	v_dual_mov_b32 v174, v22 :: v_dual_mov_b32 v175, v13
	s_wait_dscnt 0x0
	s_delay_alu instid0(VALU_DEP_2) | instskip(NEXT) | instid1(VALU_DEP_1)
	v_pk_mul_f32 v[28:29], v[18:19], v[12:13] op_sel:[0,1]
	v_pk_fma_f32 v[30:31], v[18:19], v[22:23], v[28:29] op_sel:[0,0,1] op_sel_hi:[1,1,0] neg_lo:[0,0,1] neg_hi:[0,0,1]
	v_pk_fma_f32 v[18:19], v[18:19], v[22:23], v[28:29] op_sel:[0,0,1] op_sel_hi:[1,0,0]
	s_delay_alu instid0(VALU_DEP_1) | instskip(SKIP_1) | instid1(VALU_DEP_1)
	v_mov_b32_e32 v31, v19
	v_pk_mul_f32 v[18:19], v[20:21], v[12:13] op_sel:[0,1]
	v_pk_fma_f32 v[28:29], v[20:21], v[22:23], v[18:19] op_sel:[0,0,1] op_sel_hi:[1,1,0] neg_lo:[0,0,1] neg_hi:[0,0,1]
	v_pk_fma_f32 v[18:19], v[20:21], v[22:23], v[18:19] op_sel:[0,0,1] op_sel_hi:[1,0,0]
	s_delay_alu instid0(VALU_DEP_1)
	v_mov_b32_e32 v29, v19
	ds_load_2addr_b64 v[18:21], v26 offset0:44 offset1:45
	v_pk_add_f32 v[176:177], v[176:177], v[30:31] neg_lo:[0,1] neg_hi:[0,1]
	v_pk_add_f32 v[172:173], v[172:173], v[28:29] neg_lo:[0,1] neg_hi:[0,1]
	s_wait_dscnt 0x0
	v_pk_mul_f32 v[28:29], v[18:19], v[12:13] op_sel:[0,1]
	s_delay_alu instid0(VALU_DEP_1) | instskip(SKIP_1) | instid1(VALU_DEP_1)
	v_pk_fma_f32 v[30:31], v[18:19], v[22:23], v[28:29] op_sel:[0,0,1] op_sel_hi:[1,1,0] neg_lo:[0,0,1] neg_hi:[0,0,1]
	v_pk_fma_f32 v[18:19], v[18:19], v[22:23], v[28:29] op_sel:[0,0,1] op_sel_hi:[1,0,0]
	v_dual_mov_b32 v18, v21 :: v_dual_mov_b32 v31, v19
	v_mov_b32_e32 v19, v20
	s_delay_alu instid0(VALU_DEP_2) | instskip(NEXT) | instid1(VALU_DEP_2)
	v_pk_add_f32 v[180:181], v[180:181], v[30:31] neg_lo:[0,1] neg_hi:[0,1]
	v_pk_mul_f32 v[12:13], v[18:19], v[12:13] op_sel:[0,1]
	s_delay_alu instid0(VALU_DEP_1) | instskip(SKIP_1) | instid1(VALU_DEP_1)
	v_pk_fma_f32 v[18:19], v[20:21], v[22:23], v[12:13] neg_lo:[0,0,1] neg_hi:[0,0,1]
	v_pk_fma_f32 v[12:13], v[20:21], v[22:23], v[12:13] op_sel_hi:[1,0,1]
	v_mov_b32_e32 v19, v13
	s_delay_alu instid0(VALU_DEP_1)
	v_pk_add_f32 v[184:185], v[184:185], v[18:19] neg_lo:[0,1] neg_hi:[0,1]
.LBB91_379:
	s_or_b32 exec_lo, exec_lo, s1
	s_delay_alu instid0(SALU_CYCLE_1)
	s_mov_b32 s2, exec_lo
	s_wait_dscnt 0x0
	s_barrier_signal -1
	s_barrier_wait -1
	v_cmpx_eq_u32_e32 42, v34
	s_cbranch_execz .LBB91_386
; %bb.380:
	ds_store_b64 v35, v[176:177]
	ds_store_2addr_b64 v26, v[172:173], v[180:181] offset0:43 offset1:44
	ds_store_b64 v26, v[184:185] offset:360
	ds_load_b64 v[12:13], v35
	s_wait_dscnt 0x0
	v_cmp_neq_f32_e32 vcc_lo, 0, v12
	v_cmp_neq_f32_e64 s1, 0, v13
	s_or_b32 s1, vcc_lo, s1
	s_delay_alu instid0(SALU_CYCLE_1)
	s_and_b32 exec_lo, exec_lo, s1
	s_cbranch_execz .LBB91_386
; %bb.381:
	v_cmp_ngt_f32_e64 s1, |v12|, |v13|
                                        ; implicit-def: $vgpr18_vgpr19
	s_and_saveexec_b32 s4, s1
	s_delay_alu instid0(SALU_CYCLE_1)
	s_xor_b32 s1, exec_lo, s4
	s_cbranch_execz .LBB91_383
; %bb.382:
	v_div_scale_f32 v18, null, v13, v13, v12
	v_div_scale_f32 v21, vcc_lo, v12, v13, v12
	s_delay_alu instid0(VALU_DEP_2) | instskip(SKIP_1) | instid1(TRANS32_DEP_1)
	v_rcp_f32_e32 v19, v18
	v_nop
	v_fma_f32 v20, -v18, v19, 1.0
	s_delay_alu instid0(VALU_DEP_1) | instskip(NEXT) | instid1(VALU_DEP_1)
	v_fmac_f32_e32 v19, v20, v19
	v_mul_f32_e32 v20, v21, v19
	s_delay_alu instid0(VALU_DEP_1) | instskip(NEXT) | instid1(VALU_DEP_1)
	v_fma_f32 v22, -v18, v20, v21
	v_fmac_f32_e32 v20, v22, v19
	s_delay_alu instid0(VALU_DEP_1) | instskip(NEXT) | instid1(VALU_DEP_1)
	v_fma_f32 v18, -v18, v20, v21
	v_div_fmas_f32 v18, v18, v19, v20
	s_delay_alu instid0(VALU_DEP_1) | instskip(NEXT) | instid1(VALU_DEP_1)
	v_div_fixup_f32 v18, v18, v13, v12
	v_fmac_f32_e32 v13, v12, v18
	s_delay_alu instid0(VALU_DEP_1) | instskip(SKIP_1) | instid1(VALU_DEP_2)
	v_div_scale_f32 v12, null, v13, v13, 1.0
	v_div_scale_f32 v21, vcc_lo, 1.0, v13, 1.0
	v_rcp_f32_e32 v19, v12
	v_nop
	s_delay_alu instid0(TRANS32_DEP_1) | instskip(NEXT) | instid1(VALU_DEP_1)
	v_fma_f32 v20, -v12, v19, 1.0
	v_fmac_f32_e32 v19, v20, v19
	s_delay_alu instid0(VALU_DEP_1) | instskip(NEXT) | instid1(VALU_DEP_1)
	v_mul_f32_e32 v20, v21, v19
	v_fma_f32 v22, -v12, v20, v21
	s_delay_alu instid0(VALU_DEP_1) | instskip(NEXT) | instid1(VALU_DEP_1)
	v_fmac_f32_e32 v20, v22, v19
	v_fma_f32 v12, -v12, v20, v21
	s_delay_alu instid0(VALU_DEP_1) | instskip(NEXT) | instid1(VALU_DEP_1)
	v_div_fmas_f32 v12, v12, v19, v20
	v_div_fixup_f32 v12, v12, v13, 1.0
	s_delay_alu instid0(VALU_DEP_1)
	v_mul_f32_e32 v18, v18, v12
	v_xor_b32_e32 v19, 0x80000000, v12
                                        ; implicit-def: $vgpr12_vgpr13
.LBB91_383:
	s_and_not1_saveexec_b32 s1, s1
	s_cbranch_execz .LBB91_385
; %bb.384:
	v_div_scale_f32 v18, null, v12, v12, v13
	v_div_scale_f32 v21, vcc_lo, v13, v12, v13
	s_delay_alu instid0(VALU_DEP_2) | instskip(SKIP_1) | instid1(TRANS32_DEP_1)
	v_rcp_f32_e32 v19, v18
	v_nop
	v_fma_f32 v20, -v18, v19, 1.0
	s_delay_alu instid0(VALU_DEP_1) | instskip(NEXT) | instid1(VALU_DEP_1)
	v_fmac_f32_e32 v19, v20, v19
	v_mul_f32_e32 v20, v21, v19
	s_delay_alu instid0(VALU_DEP_1) | instskip(NEXT) | instid1(VALU_DEP_1)
	v_fma_f32 v22, -v18, v20, v21
	v_fmac_f32_e32 v20, v22, v19
	s_delay_alu instid0(VALU_DEP_1) | instskip(NEXT) | instid1(VALU_DEP_1)
	v_fma_f32 v18, -v18, v20, v21
	v_div_fmas_f32 v18, v18, v19, v20
	s_delay_alu instid0(VALU_DEP_1) | instskip(NEXT) | instid1(VALU_DEP_1)
	v_div_fixup_f32 v19, v18, v12, v13
	v_fmac_f32_e32 v12, v13, v19
	s_delay_alu instid0(VALU_DEP_1) | instskip(NEXT) | instid1(VALU_DEP_1)
	v_div_scale_f32 v13, null, v12, v12, 1.0
	v_rcp_f32_e32 v18, v13
	v_nop
	s_delay_alu instid0(TRANS32_DEP_1) | instskip(NEXT) | instid1(VALU_DEP_1)
	v_fma_f32 v20, -v13, v18, 1.0
	v_fmac_f32_e32 v18, v20, v18
	v_div_scale_f32 v20, vcc_lo, 1.0, v12, 1.0
	s_delay_alu instid0(VALU_DEP_1) | instskip(NEXT) | instid1(VALU_DEP_1)
	v_mul_f32_e32 v21, v20, v18
	v_fma_f32 v22, -v13, v21, v20
	s_delay_alu instid0(VALU_DEP_1) | instskip(NEXT) | instid1(VALU_DEP_1)
	v_fmac_f32_e32 v21, v22, v18
	v_fma_f32 v13, -v13, v21, v20
	s_delay_alu instid0(VALU_DEP_1) | instskip(NEXT) | instid1(VALU_DEP_1)
	v_div_fmas_f32 v13, v13, v18, v21
	v_div_fixup_f32 v18, v13, v12, 1.0
	s_delay_alu instid0(VALU_DEP_1)
	v_mul_f32_e64 v19, v19, -v18
.LBB91_385:
	s_or_b32 exec_lo, exec_lo, s1
	ds_store_b64 v35, v[18:19]
.LBB91_386:
	s_or_b32 exec_lo, exec_lo, s2
	s_wait_dscnt 0x0
	s_barrier_signal -1
	s_barrier_wait -1
	ds_load_b64 v[18:19], v35
	s_mov_b32 s1, exec_lo
	v_cmpx_lt_u32_e32 42, v34
	s_cbranch_execz .LBB91_388
; %bb.387:
	ds_load_2addr_b64 v[20:23], v26 offset0:43 offset1:44
	s_wait_dscnt 0x1
	v_pk_mul_f32 v[12:13], v[18:19], v[176:177] op_sel:[1,1] op_sel_hi:[0,1]
	s_delay_alu instid0(VALU_DEP_1) | instskip(SKIP_1) | instid1(VALU_DEP_1)
	v_pk_fma_f32 v[28:29], v[18:19], v[176:177], v[12:13] op_sel_hi:[1,0,1] neg_lo:[0,0,1] neg_hi:[0,0,1]
	v_pk_fma_f32 v[12:13], v[18:19], v[176:177], v[12:13] op_sel_hi:[1,0,1]
	v_dual_mov_b32 v176, v28 :: v_dual_mov_b32 v177, v13
	s_wait_dscnt 0x0
	s_delay_alu instid0(VALU_DEP_2) | instskip(NEXT) | instid1(VALU_DEP_1)
	v_pk_mul_f32 v[30:31], v[20:21], v[12:13] op_sel:[0,1]
	v_pk_fma_f32 v[24:25], v[20:21], v[28:29], v[30:31] op_sel:[0,0,1] op_sel_hi:[1,1,0] neg_lo:[0,0,1] neg_hi:[0,0,1]
	v_pk_fma_f32 v[20:21], v[20:21], v[28:29], v[30:31] op_sel:[0,0,1] op_sel_hi:[1,0,0]
	s_delay_alu instid0(VALU_DEP_1) | instskip(SKIP_1) | instid1(VALU_DEP_2)
	v_mov_b32_e32 v25, v21
	v_pk_mul_f32 v[20:21], v[22:23], v[12:13] op_sel:[0,1]
	v_pk_add_f32 v[172:173], v[172:173], v[24:25] neg_lo:[0,1] neg_hi:[0,1]
	s_delay_alu instid0(VALU_DEP_2) | instskip(SKIP_1) | instid1(VALU_DEP_1)
	v_pk_fma_f32 v[24:25], v[22:23], v[28:29], v[20:21] op_sel:[0,0,1] op_sel_hi:[1,1,0] neg_lo:[0,0,1] neg_hi:[0,0,1]
	v_pk_fma_f32 v[20:21], v[22:23], v[28:29], v[20:21] op_sel:[0,0,1] op_sel_hi:[1,0,0]
	v_mov_b32_e32 v25, v21
	ds_load_b64 v[20:21], v26 offset:360
	v_pk_add_f32 v[180:181], v[180:181], v[24:25] neg_lo:[0,1] neg_hi:[0,1]
	s_wait_dscnt 0x0
	v_pk_mul_f32 v[12:13], v[20:21], v[12:13] op_sel:[1,1] op_sel_hi:[0,1]
	s_delay_alu instid0(VALU_DEP_1) | instskip(SKIP_1) | instid1(VALU_DEP_1)
	v_pk_fma_f32 v[22:23], v[20:21], v[28:29], v[12:13] neg_lo:[0,0,1] neg_hi:[0,0,1]
	v_pk_fma_f32 v[12:13], v[20:21], v[28:29], v[12:13] op_sel_hi:[1,0,1]
	v_mov_b32_e32 v23, v13
	s_delay_alu instid0(VALU_DEP_1)
	v_pk_add_f32 v[184:185], v[184:185], v[22:23] neg_lo:[0,1] neg_hi:[0,1]
.LBB91_388:
	s_or_b32 exec_lo, exec_lo, s1
	s_delay_alu instid0(SALU_CYCLE_1)
	s_mov_b32 s2, exec_lo
	s_wait_dscnt 0x0
	s_barrier_signal -1
	s_barrier_wait -1
	v_cmpx_eq_u32_e32 43, v34
	s_cbranch_execz .LBB91_395
; %bb.389:
	v_dual_mov_b32 v12, v180 :: v_dual_mov_b32 v13, v181
	ds_store_b64 v35, v[172:173]
	ds_store_2addr_b64 v26, v[12:13], v[184:185] offset0:44 offset1:45
	ds_load_b64 v[12:13], v35
	s_wait_dscnt 0x0
	v_cmp_neq_f32_e32 vcc_lo, 0, v12
	v_cmp_neq_f32_e64 s1, 0, v13
	s_or_b32 s1, vcc_lo, s1
	s_delay_alu instid0(SALU_CYCLE_1)
	s_and_b32 exec_lo, exec_lo, s1
	s_cbranch_execz .LBB91_395
; %bb.390:
	v_cmp_ngt_f32_e64 s1, |v12|, |v13|
                                        ; implicit-def: $vgpr20_vgpr21
	s_and_saveexec_b32 s4, s1
	s_delay_alu instid0(SALU_CYCLE_1)
	s_xor_b32 s1, exec_lo, s4
	s_cbranch_execz .LBB91_392
; %bb.391:
	v_div_scale_f32 v20, null, v13, v13, v12
	v_div_scale_f32 v23, vcc_lo, v12, v13, v12
	s_delay_alu instid0(VALU_DEP_2) | instskip(SKIP_1) | instid1(TRANS32_DEP_1)
	v_rcp_f32_e32 v21, v20
	v_nop
	v_fma_f32 v22, -v20, v21, 1.0
	s_delay_alu instid0(VALU_DEP_1) | instskip(NEXT) | instid1(VALU_DEP_1)
	v_fmac_f32_e32 v21, v22, v21
	v_mul_f32_e32 v22, v23, v21
	s_delay_alu instid0(VALU_DEP_1) | instskip(NEXT) | instid1(VALU_DEP_1)
	v_fma_f32 v24, -v20, v22, v23
	v_fmac_f32_e32 v22, v24, v21
	s_delay_alu instid0(VALU_DEP_1) | instskip(NEXT) | instid1(VALU_DEP_1)
	v_fma_f32 v20, -v20, v22, v23
	v_div_fmas_f32 v20, v20, v21, v22
	s_delay_alu instid0(VALU_DEP_1) | instskip(NEXT) | instid1(VALU_DEP_1)
	v_div_fixup_f32 v20, v20, v13, v12
	v_fmac_f32_e32 v13, v12, v20
	s_delay_alu instid0(VALU_DEP_1) | instskip(SKIP_1) | instid1(VALU_DEP_2)
	v_div_scale_f32 v12, null, v13, v13, 1.0
	v_div_scale_f32 v23, vcc_lo, 1.0, v13, 1.0
	v_rcp_f32_e32 v21, v12
	v_nop
	s_delay_alu instid0(TRANS32_DEP_1) | instskip(NEXT) | instid1(VALU_DEP_1)
	v_fma_f32 v22, -v12, v21, 1.0
	v_fmac_f32_e32 v21, v22, v21
	s_delay_alu instid0(VALU_DEP_1) | instskip(NEXT) | instid1(VALU_DEP_1)
	v_mul_f32_e32 v22, v23, v21
	v_fma_f32 v24, -v12, v22, v23
	s_delay_alu instid0(VALU_DEP_1) | instskip(NEXT) | instid1(VALU_DEP_1)
	v_fmac_f32_e32 v22, v24, v21
	v_fma_f32 v12, -v12, v22, v23
	s_delay_alu instid0(VALU_DEP_1) | instskip(NEXT) | instid1(VALU_DEP_1)
	v_div_fmas_f32 v12, v12, v21, v22
	v_div_fixup_f32 v12, v12, v13, 1.0
	s_delay_alu instid0(VALU_DEP_1)
	v_mul_f32_e32 v20, v20, v12
	v_xor_b32_e32 v21, 0x80000000, v12
                                        ; implicit-def: $vgpr12_vgpr13
.LBB91_392:
	s_and_not1_saveexec_b32 s1, s1
	s_cbranch_execz .LBB91_394
; %bb.393:
	v_div_scale_f32 v20, null, v12, v12, v13
	v_div_scale_f32 v23, vcc_lo, v13, v12, v13
	s_delay_alu instid0(VALU_DEP_2) | instskip(SKIP_1) | instid1(TRANS32_DEP_1)
	v_rcp_f32_e32 v21, v20
	v_nop
	v_fma_f32 v22, -v20, v21, 1.0
	s_delay_alu instid0(VALU_DEP_1) | instskip(NEXT) | instid1(VALU_DEP_1)
	v_fmac_f32_e32 v21, v22, v21
	v_mul_f32_e32 v22, v23, v21
	s_delay_alu instid0(VALU_DEP_1) | instskip(NEXT) | instid1(VALU_DEP_1)
	v_fma_f32 v24, -v20, v22, v23
	v_fmac_f32_e32 v22, v24, v21
	s_delay_alu instid0(VALU_DEP_1) | instskip(NEXT) | instid1(VALU_DEP_1)
	v_fma_f32 v20, -v20, v22, v23
	v_div_fmas_f32 v20, v20, v21, v22
	s_delay_alu instid0(VALU_DEP_1) | instskip(NEXT) | instid1(VALU_DEP_1)
	v_div_fixup_f32 v21, v20, v12, v13
	v_fmac_f32_e32 v12, v13, v21
	s_delay_alu instid0(VALU_DEP_1) | instskip(NEXT) | instid1(VALU_DEP_1)
	v_div_scale_f32 v13, null, v12, v12, 1.0
	v_rcp_f32_e32 v20, v13
	v_nop
	s_delay_alu instid0(TRANS32_DEP_1) | instskip(NEXT) | instid1(VALU_DEP_1)
	v_fma_f32 v22, -v13, v20, 1.0
	v_fmac_f32_e32 v20, v22, v20
	v_div_scale_f32 v22, vcc_lo, 1.0, v12, 1.0
	s_delay_alu instid0(VALU_DEP_1) | instskip(NEXT) | instid1(VALU_DEP_1)
	v_mul_f32_e32 v23, v22, v20
	v_fma_f32 v24, -v13, v23, v22
	s_delay_alu instid0(VALU_DEP_1) | instskip(NEXT) | instid1(VALU_DEP_1)
	v_fmac_f32_e32 v23, v24, v20
	v_fma_f32 v13, -v13, v23, v22
	s_delay_alu instid0(VALU_DEP_1) | instskip(NEXT) | instid1(VALU_DEP_1)
	v_div_fmas_f32 v13, v13, v20, v23
	v_div_fixup_f32 v20, v13, v12, 1.0
	s_delay_alu instid0(VALU_DEP_1)
	v_mul_f32_e64 v21, v21, -v20
.LBB91_394:
	s_or_b32 exec_lo, exec_lo, s1
	ds_store_b64 v35, v[20:21]
.LBB91_395:
	s_or_b32 exec_lo, exec_lo, s2
	s_wait_dscnt 0x0
	s_barrier_signal -1
	s_barrier_wait -1
	ds_load_b64 v[20:21], v35
	s_mov_b32 s1, exec_lo
	v_cmpx_lt_u32_e32 43, v34
	s_cbranch_execz .LBB91_397
; %bb.396:
	ds_load_2addr_b64 v[28:31], v26 offset0:44 offset1:45
	s_wait_dscnt 0x1
	v_pk_mul_f32 v[12:13], v[20:21], v[172:173] op_sel:[1,1] op_sel_hi:[0,1]
	v_mov_b32_e32 v27, v34
	scratch_store_b64 off, v[20:21], off offset:128 ; 8-byte Folded Spill
	v_pk_fma_f32 v[22:23], v[20:21], v[172:173], v[12:13] op_sel_hi:[1,0,1] neg_lo:[0,0,1] neg_hi:[0,0,1]
	v_pk_fma_f32 v[12:13], v[20:21], v[172:173], v[12:13] op_sel_hi:[1,0,1]
	s_wait_xcnt 0x0
	v_mov_b64_e32 v[20:21], v[18:19]
	v_mov_b64_e32 v[18:19], v[14:15]
	v_mov_b32_e32 v14, v35
	v_mov_b64_e32 v[34:35], v[10:11]
	v_mov_b64_e32 v[10:11], v[176:177]
	v_mov_b64_e32 v[176:177], v[174:175]
	v_mov_b64_e32 v[174:175], v[178:179]
	v_mov_b64_e32 v[178:179], v[184:185]
	v_mov_b64_e32 v[184:185], v[156:157]
	v_mov_b64_e32 v[156:157], v[160:161]
	v_mov_b64_e32 v[160:161], v[158:159]
	v_mov_b64_e32 v[158:159], v[162:163]
	s_wait_dscnt 0x0
	v_pk_mul_f32 v[24:25], v[28:29], v[12:13] op_sel:[0,1]
	v_mov_b64_e32 v[162:163], v[138:139]
	v_mov_b64_e32 v[138:139], v[8:9]
	v_mov_b64_e32 v[8:9], v[142:143]
	v_mov_b64_e32 v[142:143], v[140:141]
	v_mov_b64_e32 v[140:141], v[144:145]
	v_mov_b64_e32 v[144:145], v[122:123]
	v_mov_b64_e32 v[122:123], v[126:127]
	v_mov_b64_e32 v[126:127], v[124:125]
	v_mov_b64_e32 v[124:125], v[128:129]
	v_mov_b64_e32 v[128:129], v[106:107]
	v_mov_b64_e32 v[106:107], v[6:7]
	v_mov_b64_e32 v[6:7], v[110:111]
	v_mov_b64_e32 v[110:111], v[108:109]
	v_mov_b64_e32 v[108:109], v[112:113]
	v_mov_b64_e32 v[112:113], v[84:85]
	v_mov_b64_e32 v[84:85], v[88:89]
	v_mov_b64_e32 v[88:89], v[86:87]
	v_mov_b64_e32 v[86:87], v[4:5]
	v_mov_b64_e32 v[4:5], v[90:91]
	v_mov_b64_e32 v[90:91], v[60:61]
	v_mov_b64_e32 v[60:61], v[64:65]
	v_mov_b64_e32 v[64:65], v[62:63]
	v_mov_b64_e32 v[62:63], v[2:3]
	v_mov_b64_e32 v[2:3], v[66:67]
	v_mov_b64_e32 v[66:67], v[36:37]
	v_mov_b64_e32 v[36:37], v[40:41]
	v_mov_b64_e32 v[40:41], v[38:39]
	v_mov_b64_e32 v[38:39], v[0:1]
	v_mov_b64_e32 v[0:1], v[104:105]
	v_mov_b64_e32 v[104:105], v[76:77]
	v_mov_b64_e32 v[76:77], v[78:79]
	v_mov_b64_e32 v[78:79], v[254:255]
	v_mov_b64_e32 v[254:255], v[50:51]
	v_mov_b64_e32 v[50:51], v[80:81]
	v_mov_b64_e32 v[80:81], v[252:253]
	v_mov_b64_e32 v[252:253], v[52:53]
	v_mov_b64_e32 v[52:53], v[56:57]
	v_mov_b64_e32 v[56:57], v[250:251]
	v_mov_b64_e32 v[250:251], v[54:55]
	v_mov_b64_e32 v[54:55], v[32:33]
	v_mov_b64_e32 v[32:33], v[248:249]
	v_mov_b64_e32 v[248:249], v[58:59]
	v_mov_b64_e32 v[58:59], v[246:247]
	v_mov_b64_e32 v[246:247], v[82:83]
	v_mov_b64_e32 v[82:83], v[244:245]
	v_mov_b64_e32 v[244:245], v[96:97]
	v_mov_b64_e32 v[96:97], v[242:243]
	v_mov_b64_e32 v[242:243], v[94:95]
	v_mov_b64_e32 v[94:95], v[240:241]
	v_mov_b64_e32 v[240:241], v[238:239]
	v_mov_b64_e32 v[238:239], v[236:237]
	v_mov_b64_e32 v[236:237], v[234:235]
	v_mov_b64_e32 v[234:235], v[232:233]
	v_mov_b64_e32 v[232:233], v[230:231]
	v_mov_b64_e32 v[230:231], v[228:229]
	v_mov_b64_e32 v[228:229], v[226:227]
	v_mov_b64_e32 v[226:227], v[182:183]
	v_mov_b64_e32 v[182:183], v[224:225]
	v_mov_b64_e32 v[224:225], v[222:223]
	v_mov_b64_e32 v[222:223], v[220:221]
	v_mov_b64_e32 v[220:221], v[218:219]
	v_mov_b64_e32 v[218:219], v[216:217]
	v_mov_b64_e32 v[216:217], v[214:215]
	v_mov_b64_e32 v[214:215], v[212:213]
	v_mov_b64_e32 v[212:213], v[210:211]
	v_mov_b64_e32 v[210:211], v[208:209]
	v_mov_b64_e32 v[208:209], v[206:207]
	v_mov_b64_e32 v[206:207], v[204:205]
	v_mov_b64_e32 v[204:205], v[202:203]
	v_mov_b64_e32 v[202:203], v[200:201]
	v_mov_b64_e32 v[200:201], v[198:199]
	v_mov_b64_e32 v[198:199], v[196:197]
	v_mov_b64_e32 v[196:197], v[194:195]
	v_mov_b64_e32 v[194:195], v[16:17]
	v_mov_b64_e32 v[16:17], v[192:193]
	v_mov_b64_e32 v[192:193], v[190:191]
	v_mov_b64_e32 v[190:191], v[188:189]
	v_mov_b64_e32 v[188:189], v[186:187]
	v_mov_b64_e32 v[186:187], v[170:171]
	v_mov_b64_e32 v[170:171], v[168:169]
	v_mov_b64_e32 v[168:169], v[166:167]
	v_mov_b64_e32 v[166:167], v[164:165]
	v_mov_b64_e32 v[164:165], v[154:155]
	v_mov_b64_e32 v[154:155], v[152:153]
	v_mov_b64_e32 v[152:153], v[150:151]
	v_mov_b64_e32 v[150:151], v[148:149]
	v_mov_b64_e32 v[148:149], v[146:147]
	v_mov_b64_e32 v[146:147], v[136:137]
	v_mov_b64_e32 v[136:137], v[134:135]
	v_mov_b64_e32 v[134:135], v[132:133]
	v_mov_b64_e32 v[132:133], v[130:131]
	v_mov_b64_e32 v[130:131], v[120:121]
	v_mov_b64_e32 v[120:121], v[118:119]
	v_mov_b64_e32 v[118:119], v[116:117]
	v_mov_b64_e32 v[116:117], v[114:115]
	v_mov_b64_e32 v[114:115], v[102:103]
	v_mov_b64_e32 v[102:103], v[100:101]
	v_mov_b64_e32 v[100:101], v[98:99]
	v_mov_b64_e32 v[98:99], v[92:93]
	v_mov_b64_e32 v[92:93], v[74:75]
	v_mov_b64_e32 v[74:75], v[72:73]
	v_mov_b64_e32 v[72:73], v[70:71]
	v_mov_b64_e32 v[70:71], v[68:69]
	v_mov_b64_e32 v[68:69], v[48:49]
	v_mov_b64_e32 v[48:49], v[46:47]
	v_mov_b64_e32 v[46:47], v[44:45]
	v_mov_b64_e32 v[44:45], v[42:43]
	v_pk_fma_f32 v[42:43], v[28:29], v[22:23], v[24:25] op_sel:[0,0,1] op_sel_hi:[1,1,0] neg_lo:[0,0,1] neg_hi:[0,0,1]
	v_pk_fma_f32 v[24:25], v[28:29], v[22:23], v[24:25] op_sel:[0,0,1] op_sel_hi:[1,0,0]
	v_dual_mov_b32 v24, v31 :: v_dual_mov_b32 v172, v22
	s_delay_alu instid0(VALU_DEP_2) | instskip(SKIP_1) | instid1(VALU_DEP_2)
	v_dual_mov_b32 v173, v13 :: v_dual_mov_b32 v43, v25
	v_mov_b32_e32 v25, v30
	v_pk_add_f32 v[180:181], v[180:181], v[42:43] neg_lo:[0,1] neg_hi:[0,1]
	v_mov_b64_e32 v[42:43], v[44:45]
	v_mov_b64_e32 v[44:45], v[46:47]
	;; [unrolled: 1-line block ×116, first 2 shown]
	v_mov_b32_e32 v35, v14
	v_mov_b64_e32 v[14:15], v[18:19]
	v_mov_b64_e32 v[18:19], v[20:21]
	scratch_load_b64 v[20:21], off, off offset:128 ; 8-byte Folded Reload
	v_mov_b32_e32 v34, v27
	v_pk_mul_f32 v[12:13], v[24:25], v[12:13] op_sel:[0,1]
	s_delay_alu instid0(VALU_DEP_1) | instskip(SKIP_1) | instid1(VALU_DEP_1)
	v_pk_fma_f32 v[24:25], v[30:31], v[22:23], v[12:13] neg_lo:[0,0,1] neg_hi:[0,0,1]
	v_pk_fma_f32 v[12:13], v[30:31], v[22:23], v[12:13] op_sel_hi:[1,0,1]
	v_mov_b32_e32 v25, v13
	s_delay_alu instid0(VALU_DEP_1)
	v_pk_add_f32 v[184:185], v[184:185], v[24:25] neg_lo:[0,1] neg_hi:[0,1]
.LBB91_397:
	s_wait_xcnt 0x0
	s_or_b32 exec_lo, exec_lo, s1
	s_delay_alu instid0(SALU_CYCLE_1)
	s_mov_b32 s2, exec_lo
	s_wait_storecnt 0x0
	s_wait_loadcnt_dscnt 0x0
	s_barrier_signal -1
	s_barrier_wait -1
	v_cmpx_eq_u32_e32 44, v34
	s_cbranch_execz .LBB91_404
; %bb.398:
	ds_store_b64 v35, v[180:181]
	ds_store_b64 v26, v[184:185] offset:360
	ds_load_b64 v[12:13], v35
	s_wait_dscnt 0x0
	v_cmp_neq_f32_e32 vcc_lo, 0, v12
	v_cmp_neq_f32_e64 s1, 0, v13
	s_or_b32 s1, vcc_lo, s1
	s_delay_alu instid0(SALU_CYCLE_1)
	s_and_b32 exec_lo, exec_lo, s1
	s_cbranch_execz .LBB91_404
; %bb.399:
	v_cmp_ngt_f32_e64 s1, |v12|, |v13|
                                        ; implicit-def: $vgpr22_vgpr23
	s_and_saveexec_b32 s4, s1
	s_delay_alu instid0(SALU_CYCLE_1)
	s_xor_b32 s1, exec_lo, s4
	s_cbranch_execz .LBB91_401
; %bb.400:
	v_div_scale_f32 v22, null, v13, v13, v12
	v_div_scale_f32 v25, vcc_lo, v12, v13, v12
	s_delay_alu instid0(VALU_DEP_2) | instskip(SKIP_1) | instid1(TRANS32_DEP_1)
	v_rcp_f32_e32 v23, v22
	v_nop
	v_fma_f32 v24, -v22, v23, 1.0
	s_delay_alu instid0(VALU_DEP_1) | instskip(NEXT) | instid1(VALU_DEP_1)
	v_fmac_f32_e32 v23, v24, v23
	v_mul_f32_e32 v24, v25, v23
	s_delay_alu instid0(VALU_DEP_1) | instskip(NEXT) | instid1(VALU_DEP_1)
	v_fma_f32 v27, -v22, v24, v25
	v_fmac_f32_e32 v24, v27, v23
	s_delay_alu instid0(VALU_DEP_1) | instskip(NEXT) | instid1(VALU_DEP_1)
	v_fma_f32 v22, -v22, v24, v25
	v_div_fmas_f32 v22, v22, v23, v24
	s_delay_alu instid0(VALU_DEP_1) | instskip(NEXT) | instid1(VALU_DEP_1)
	v_div_fixup_f32 v22, v22, v13, v12
	v_fmac_f32_e32 v13, v12, v22
	s_delay_alu instid0(VALU_DEP_1) | instskip(SKIP_1) | instid1(VALU_DEP_2)
	v_div_scale_f32 v12, null, v13, v13, 1.0
	v_div_scale_f32 v25, vcc_lo, 1.0, v13, 1.0
	v_rcp_f32_e32 v23, v12
	v_nop
	s_delay_alu instid0(TRANS32_DEP_1) | instskip(NEXT) | instid1(VALU_DEP_1)
	v_fma_f32 v24, -v12, v23, 1.0
	v_fmac_f32_e32 v23, v24, v23
	s_delay_alu instid0(VALU_DEP_1) | instskip(NEXT) | instid1(VALU_DEP_1)
	v_mul_f32_e32 v24, v25, v23
	v_fma_f32 v27, -v12, v24, v25
	s_delay_alu instid0(VALU_DEP_1) | instskip(NEXT) | instid1(VALU_DEP_1)
	v_fmac_f32_e32 v24, v27, v23
	v_fma_f32 v12, -v12, v24, v25
	s_delay_alu instid0(VALU_DEP_1) | instskip(NEXT) | instid1(VALU_DEP_1)
	v_div_fmas_f32 v12, v12, v23, v24
	v_div_fixup_f32 v12, v12, v13, 1.0
	s_delay_alu instid0(VALU_DEP_1)
	v_mul_f32_e32 v22, v22, v12
	v_xor_b32_e32 v23, 0x80000000, v12
                                        ; implicit-def: $vgpr12_vgpr13
.LBB91_401:
	s_and_not1_saveexec_b32 s1, s1
	s_cbranch_execz .LBB91_403
; %bb.402:
	v_div_scale_f32 v22, null, v12, v12, v13
	v_div_scale_f32 v25, vcc_lo, v13, v12, v13
	s_delay_alu instid0(VALU_DEP_2) | instskip(SKIP_1) | instid1(TRANS32_DEP_1)
	v_rcp_f32_e32 v23, v22
	v_nop
	v_fma_f32 v24, -v22, v23, 1.0
	s_delay_alu instid0(VALU_DEP_1) | instskip(NEXT) | instid1(VALU_DEP_1)
	v_fmac_f32_e32 v23, v24, v23
	v_mul_f32_e32 v24, v25, v23
	s_delay_alu instid0(VALU_DEP_1) | instskip(NEXT) | instid1(VALU_DEP_1)
	v_fma_f32 v27, -v22, v24, v25
	v_fmac_f32_e32 v24, v27, v23
	s_delay_alu instid0(VALU_DEP_1) | instskip(NEXT) | instid1(VALU_DEP_1)
	v_fma_f32 v22, -v22, v24, v25
	v_div_fmas_f32 v22, v22, v23, v24
	s_delay_alu instid0(VALU_DEP_1) | instskip(NEXT) | instid1(VALU_DEP_1)
	v_div_fixup_f32 v23, v22, v12, v13
	v_fmac_f32_e32 v12, v13, v23
	s_delay_alu instid0(VALU_DEP_1) | instskip(NEXT) | instid1(VALU_DEP_1)
	v_div_scale_f32 v13, null, v12, v12, 1.0
	v_rcp_f32_e32 v22, v13
	v_nop
	s_delay_alu instid0(TRANS32_DEP_1) | instskip(NEXT) | instid1(VALU_DEP_1)
	v_fma_f32 v24, -v13, v22, 1.0
	v_fmac_f32_e32 v22, v24, v22
	v_div_scale_f32 v24, vcc_lo, 1.0, v12, 1.0
	s_delay_alu instid0(VALU_DEP_1) | instskip(NEXT) | instid1(VALU_DEP_1)
	v_mul_f32_e32 v25, v24, v22
	v_fma_f32 v27, -v13, v25, v24
	s_delay_alu instid0(VALU_DEP_1) | instskip(NEXT) | instid1(VALU_DEP_1)
	v_fmac_f32_e32 v25, v27, v22
	v_fma_f32 v13, -v13, v25, v24
	s_delay_alu instid0(VALU_DEP_1) | instskip(NEXT) | instid1(VALU_DEP_1)
	v_div_fmas_f32 v13, v13, v22, v25
	v_div_fixup_f32 v22, v13, v12, 1.0
	s_delay_alu instid0(VALU_DEP_1)
	v_mul_f32_e64 v23, v23, -v22
.LBB91_403:
	s_or_b32 exec_lo, exec_lo, s1
	ds_store_b64 v35, v[22:23]
.LBB91_404:
	s_or_b32 exec_lo, exec_lo, s2
	s_wait_dscnt 0x0
	s_barrier_signal -1
	s_barrier_wait -1
	ds_load_b64 v[22:23], v35
	s_mov_b32 s1, exec_lo
	v_cmpx_lt_u32_e32 44, v34
	s_cbranch_execz .LBB91_406
; %bb.405:
	ds_load_b64 v[12:13], v26 offset:360
	s_wait_dscnt 0x1
	v_pk_mul_f32 v[24:25], v[22:23], v[180:181] op_sel:[1,1] op_sel_hi:[0,1]
	s_delay_alu instid0(VALU_DEP_1) | instskip(SKIP_2) | instid1(VALU_DEP_2)
	v_pk_fma_f32 v[26:27], v[22:23], v[180:181], v[24:25] op_sel_hi:[1,0,1]
	v_pk_fma_f32 v[180:181], v[22:23], v[180:181], v[24:25] op_sel_hi:[1,0,1] neg_lo:[0,0,1] neg_hi:[0,0,1]
	s_wait_dscnt 0x0
	v_pk_mul_f32 v[24:25], v[12:13], v[26:27] op_sel:[1,1] op_sel_hi:[0,1]
	s_delay_alu instid0(VALU_DEP_1) | instskip(SKIP_1) | instid1(VALU_DEP_2)
	v_pk_fma_f32 v[28:29], v[12:13], v[180:181], v[24:25] op_sel_hi:[1,0,1]
	v_pk_fma_f32 v[12:13], v[12:13], v[180:181], v[24:25] neg_lo:[0,0,1] neg_hi:[0,0,1]
	v_dual_mov_b32 v181, v27 :: v_dual_mov_b32 v13, v29
	s_delay_alu instid0(VALU_DEP_1)
	v_pk_add_f32 v[184:185], v[184:185], v[12:13] neg_lo:[0,1] neg_hi:[0,1]
.LBB91_406:
	s_or_b32 exec_lo, exec_lo, s1
	s_delay_alu instid0(SALU_CYCLE_1)
	s_mov_b32 s2, exec_lo
	s_wait_dscnt 0x0
	s_barrier_signal -1
	s_barrier_wait -1
	v_cmpx_eq_u32_e32 45, v34
	s_cbranch_execz .LBB91_413
; %bb.407:
	v_cmp_neq_f32_e32 vcc_lo, 0, v184
	v_cmp_neq_f32_e64 s1, 0, v185
	ds_store_b64 v35, v[184:185]
	s_or_b32 s1, vcc_lo, s1
	s_delay_alu instid0(SALU_CYCLE_1)
	s_and_b32 exec_lo, exec_lo, s1
	s_cbranch_execz .LBB91_413
; %bb.408:
	v_cmp_ngt_f32_e64 s1, |v184|, |v185|
                                        ; implicit-def: $vgpr12_vgpr13
	s_and_saveexec_b32 s4, s1
	s_delay_alu instid0(SALU_CYCLE_1)
	s_xor_b32 s1, exec_lo, s4
	s_cbranch_execz .LBB91_410
; %bb.409:
	v_div_scale_f32 v12, null, v185, v185, v184
	v_div_scale_f32 v25, vcc_lo, v184, v185, v184
	s_delay_alu instid0(VALU_DEP_2) | instskip(SKIP_1) | instid1(TRANS32_DEP_1)
	v_rcp_f32_e32 v13, v12
	v_nop
	v_fma_f32 v24, -v12, v13, 1.0
	s_delay_alu instid0(VALU_DEP_1) | instskip(NEXT) | instid1(VALU_DEP_1)
	v_fmac_f32_e32 v13, v24, v13
	v_mul_f32_e32 v24, v25, v13
	s_delay_alu instid0(VALU_DEP_1) | instskip(NEXT) | instid1(VALU_DEP_1)
	v_fma_f32 v26, -v12, v24, v25
	v_fmac_f32_e32 v24, v26, v13
	s_delay_alu instid0(VALU_DEP_1) | instskip(NEXT) | instid1(VALU_DEP_1)
	v_fma_f32 v12, -v12, v24, v25
	v_div_fmas_f32 v12, v12, v13, v24
	s_delay_alu instid0(VALU_DEP_1) | instskip(NEXT) | instid1(VALU_DEP_1)
	v_div_fixup_f32 v12, v12, v185, v184
	v_fma_f32 v13, v184, v12, v185
	s_delay_alu instid0(VALU_DEP_1) | instskip(SKIP_1) | instid1(VALU_DEP_2)
	v_div_scale_f32 v24, null, v13, v13, 1.0
	v_div_scale_f32 v27, vcc_lo, 1.0, v13, 1.0
	v_rcp_f32_e32 v25, v24
	v_nop
	s_delay_alu instid0(TRANS32_DEP_1) | instskip(NEXT) | instid1(VALU_DEP_1)
	v_fma_f32 v26, -v24, v25, 1.0
	v_fmac_f32_e32 v25, v26, v25
	s_delay_alu instid0(VALU_DEP_1) | instskip(NEXT) | instid1(VALU_DEP_1)
	v_mul_f32_e32 v26, v27, v25
	v_fma_f32 v28, -v24, v26, v27
	s_delay_alu instid0(VALU_DEP_1) | instskip(NEXT) | instid1(VALU_DEP_1)
	v_fmac_f32_e32 v26, v28, v25
	v_fma_f32 v24, -v24, v26, v27
	s_delay_alu instid0(VALU_DEP_1) | instskip(NEXT) | instid1(VALU_DEP_1)
	v_div_fmas_f32 v24, v24, v25, v26
	v_div_fixup_f32 v13, v24, v13, 1.0
	s_delay_alu instid0(VALU_DEP_1)
	v_mul_f32_e32 v12, v12, v13
	v_xor_b32_e32 v13, 0x80000000, v13
.LBB91_410:
	s_and_not1_saveexec_b32 s1, s1
	s_cbranch_execz .LBB91_412
; %bb.411:
	v_div_scale_f32 v12, null, v184, v184, v185
	v_div_scale_f32 v25, vcc_lo, v185, v184, v185
	s_delay_alu instid0(VALU_DEP_2) | instskip(SKIP_1) | instid1(TRANS32_DEP_1)
	v_rcp_f32_e32 v13, v12
	v_nop
	v_fma_f32 v24, -v12, v13, 1.0
	s_delay_alu instid0(VALU_DEP_1) | instskip(NEXT) | instid1(VALU_DEP_1)
	v_fmac_f32_e32 v13, v24, v13
	v_mul_f32_e32 v24, v25, v13
	s_delay_alu instid0(VALU_DEP_1) | instskip(NEXT) | instid1(VALU_DEP_1)
	v_fma_f32 v26, -v12, v24, v25
	v_fmac_f32_e32 v24, v26, v13
	s_delay_alu instid0(VALU_DEP_1) | instskip(NEXT) | instid1(VALU_DEP_1)
	v_fma_f32 v12, -v12, v24, v25
	v_div_fmas_f32 v12, v12, v13, v24
	s_delay_alu instid0(VALU_DEP_1) | instskip(NEXT) | instid1(VALU_DEP_1)
	v_div_fixup_f32 v13, v12, v184, v185
	v_fma_f32 v12, v185, v13, v184
	s_delay_alu instid0(VALU_DEP_1) | instskip(NEXT) | instid1(VALU_DEP_1)
	v_div_scale_f32 v24, null, v12, v12, 1.0
	v_rcp_f32_e32 v25, v24
	v_nop
	s_delay_alu instid0(TRANS32_DEP_1) | instskip(NEXT) | instid1(VALU_DEP_1)
	v_fma_f32 v26, -v24, v25, 1.0
	v_fmac_f32_e32 v25, v26, v25
	v_div_scale_f32 v26, vcc_lo, 1.0, v12, 1.0
	s_delay_alu instid0(VALU_DEP_1) | instskip(NEXT) | instid1(VALU_DEP_1)
	v_mul_f32_e32 v27, v26, v25
	v_fma_f32 v28, -v24, v27, v26
	s_delay_alu instid0(VALU_DEP_1) | instskip(NEXT) | instid1(VALU_DEP_1)
	v_fmac_f32_e32 v27, v28, v25
	v_fma_f32 v24, -v24, v27, v26
	s_delay_alu instid0(VALU_DEP_1) | instskip(NEXT) | instid1(VALU_DEP_1)
	v_div_fmas_f32 v24, v24, v25, v27
	v_div_fixup_f32 v12, v24, v12, 1.0
	s_delay_alu instid0(VALU_DEP_1)
	v_mul_f32_e64 v13, v13, -v12
.LBB91_412:
	s_or_b32 exec_lo, exec_lo, s1
	ds_store_b64 v35, v[12:13]
.LBB91_413:
	s_or_b32 exec_lo, exec_lo, s2
	s_wait_dscnt 0x0
	s_barrier_signal -1
	s_barrier_wait -1
	ds_load_b64 v[12:13], v35
	s_wait_dscnt 0x0
	s_barrier_signal -1
	s_barrier_wait -1
	s_and_saveexec_b32 s2, s0
	s_cbranch_execz .LBB91_416
; %bb.414:
	v_cmp_eq_f32_e32 vcc_lo, 0, v186
	v_cmp_eq_f32_e64 s0, 0, v187
	s_and_b32 s1, vcc_lo, s0
	v_cmp_neq_f32_e32 vcc_lo, 0, v188
	v_cmp_neq_f32_e64 s0, 0, v189
	v_cndmask_b32_e64 v24, 0, 1, s1
	s_or_b32 s0, vcc_lo, s0
	s_delay_alu instid0(SALU_CYCLE_1) | instskip(SKIP_1) | instid1(VALU_DEP_2)
	s_or_b32 vcc_lo, s0, s1
	v_cmp_eq_f32_e64 s0, 0, v191
	v_cndmask_b32_e32 v24, 2, v24, vcc_lo
	v_cmp_eq_f32_e32 vcc_lo, 0, v190
	v_cmp_eq_f32_e64 s1, 0, v13
	s_and_b32 s0, vcc_lo, s0
	v_cmp_eq_u32_e32 vcc_lo, 0, v24
	s_and_b32 s0, s0, vcc_lo
	v_cmp_eq_f32_e32 vcc_lo, 0, v192
	v_cndmask_b32_e64 v24, v24, 3, s0
	v_cmp_eq_f32_e64 s0, 0, v193
	s_and_b32 s0, vcc_lo, s0
	v_cmp_eq_u32_e32 vcc_lo, 0, v24
	s_and_b32 s0, s0, vcc_lo
	v_cmp_eq_f32_e32 vcc_lo, 0, v194
	v_cndmask_b32_e64 v24, v24, 4, s0
	;; [unrolled: 6-line block ×42, first 2 shown]
	v_cmp_eq_f32_e64 s0, 0, v23
	s_and_b32 s0, vcc_lo, s0
	v_cmp_eq_u32_e32 vcc_lo, 0, v0
	s_and_b32 s0, s0, vcc_lo
	s_delay_alu instid0(SALU_CYCLE_1) | instskip(SKIP_1) | instid1(VALU_DEP_2)
	v_cndmask_b32_e64 v0, v0, 45, s0
	v_cmp_eq_f32_e64 s0, 0, v12
	v_cmp_eq_u32_e32 vcc_lo, 0, v0
	s_and_b32 s0, s0, s1
	s_delay_alu instid0(SALU_CYCLE_1) | instskip(NEXT) | instid1(SALU_CYCLE_1)
	s_and_b32 s0, s0, vcc_lo
	v_cndmask_b32_e64 v2, v0, 46, s0
	v_lshl_add_u64 v[0:1], v[182:183], 2, s[6:7]
	s_delay_alu instid0(VALU_DEP_2) | instskip(SKIP_4) | instid1(SALU_CYCLE_1)
	v_cmp_ne_u32_e64 s0, 0, v2
	global_load_b32 v3, v[0:1], off
	s_wait_loadcnt 0x0
	v_cmp_eq_u32_e32 vcc_lo, 0, v3
	s_and_b32 s0, vcc_lo, s0
	s_and_b32 exec_lo, exec_lo, s0
	s_cbranch_execz .LBB91_416
; %bb.415:
	v_add_nc_u32_e32 v2, s3, v2
	global_store_b32 v[0:1], v2, off
.LBB91_416:
	s_wait_xcnt 0x0
	s_or_b32 exec_lo, exec_lo, s2
	s_clause 0x1
	scratch_load_b64 v[2:3], off, off offset:88 th:TH_LOAD_LU
	scratch_load_b64 v[4:5], off, off offset:16 th:TH_LOAD_LU
	v_pk_mul_f32 v[0:1], v[12:13], v[184:185] op_sel:[1,1] op_sel_hi:[0,1]
	global_store_b64 v[16:17], v[94:95], off
	v_cmp_lt_u32_e32 vcc_lo, 45, v34
	s_wait_loadcnt 0x1
	global_store_b64 v[2:3], v[96:97], off
	s_wait_xcnt 0x0
	v_pk_fma_f32 v[2:3], v[12:13], v[184:185], v[0:1] op_sel_hi:[1,0,1]
	v_pk_fma_f32 v[0:1], v[12:13], v[184:185], v[0:1] neg_lo:[0,0,1] neg_hi:[0,0,1]
	s_delay_alu instid0(VALU_DEP_1)
	v_dual_cndmask_b32 v1, v185, v3 :: v_dual_cndmask_b32 v0, v184, v0
	scratch_load_b64 v[2:3], off, off th:TH_LOAD_LU ; 8-byte Folded Reload
	s_wait_loadcnt 0x1
	global_store_b64 v[4:5], v[82:83], off
	scratch_load_b64 v[4:5], off, off offset:40 th:TH_LOAD_LU ; 8-byte Folded Reload
	s_wait_loadcnt 0x0
	global_store_b64 v[4:5], v[58:59], off
	scratch_load_b64 v[4:5], off, off offset:48 th:TH_LOAD_LU ; 8-byte Folded Reload
	s_wait_loadcnt 0x0
	s_clause 0x1
	global_store_b64 v[4:5], v[32:33], off
	global_store_b64 v[2:3], v[54:55], off
	scratch_load_b64 v[2:3], off, off offset:8 th:TH_LOAD_LU ; 8-byte Folded Reload
	s_wait_loadcnt 0x0
	global_store_b64 v[2:3], v[56:57], off
	scratch_load_b64 v[2:3], off, off offset:24 th:TH_LOAD_LU ; 8-byte Folded Reload
	s_wait_loadcnt 0x0
	;; [unrolled: 3-line block ×11, first 2 shown]
	s_clause 0x1d
	global_store_b64 v[2:3], v[66:67], off
	global_store_b64 v[42:43], v[62:63], off
	;; [unrolled: 1-line block ×30, first 2 shown]
.LBB91_417:
	s_sendmsg sendmsg(MSG_DEALLOC_VGPRS)
	s_endpgm
	.section	.rodata,"a",@progbits
	.p2align	6, 0x0
	.amdhsa_kernel _ZN9rocsolver6v33100L23getf2_npvt_small_kernelILi46E19rocblas_complex_numIfEiiPS3_EEvT1_T3_lS5_lPT2_S5_S5_
		.amdhsa_group_segment_fixed_size 0
		.amdhsa_private_segment_fixed_size 140
		.amdhsa_kernarg_size 312
		.amdhsa_user_sgpr_count 2
		.amdhsa_user_sgpr_dispatch_ptr 0
		.amdhsa_user_sgpr_queue_ptr 0
		.amdhsa_user_sgpr_kernarg_segment_ptr 1
		.amdhsa_user_sgpr_dispatch_id 0
		.amdhsa_user_sgpr_kernarg_preload_length 0
		.amdhsa_user_sgpr_kernarg_preload_offset 0
		.amdhsa_user_sgpr_private_segment_size 0
		.amdhsa_wavefront_size32 1
		.amdhsa_uses_dynamic_stack 0
		.amdhsa_enable_private_segment 1
		.amdhsa_system_sgpr_workgroup_id_x 1
		.amdhsa_system_sgpr_workgroup_id_y 1
		.amdhsa_system_sgpr_workgroup_id_z 0
		.amdhsa_system_sgpr_workgroup_info 0
		.amdhsa_system_vgpr_workitem_id 1
		.amdhsa_next_free_vgpr 256
		.amdhsa_next_free_sgpr 15
		.amdhsa_named_barrier_count 0
		.amdhsa_reserve_vcc 1
		.amdhsa_float_round_mode_32 0
		.amdhsa_float_round_mode_16_64 0
		.amdhsa_float_denorm_mode_32 3
		.amdhsa_float_denorm_mode_16_64 3
		.amdhsa_fp16_overflow 0
		.amdhsa_memory_ordered 1
		.amdhsa_forward_progress 1
		.amdhsa_inst_pref_size 255
		.amdhsa_round_robin_scheduling 0
		.amdhsa_exception_fp_ieee_invalid_op 0
		.amdhsa_exception_fp_denorm_src 0
		.amdhsa_exception_fp_ieee_div_zero 0
		.amdhsa_exception_fp_ieee_overflow 0
		.amdhsa_exception_fp_ieee_underflow 0
		.amdhsa_exception_fp_ieee_inexact 0
		.amdhsa_exception_int_div_zero 0
	.end_amdhsa_kernel
	.section	.text._ZN9rocsolver6v33100L23getf2_npvt_small_kernelILi46E19rocblas_complex_numIfEiiPS3_EEvT1_T3_lS5_lPT2_S5_S5_,"axG",@progbits,_ZN9rocsolver6v33100L23getf2_npvt_small_kernelILi46E19rocblas_complex_numIfEiiPS3_EEvT1_T3_lS5_lPT2_S5_S5_,comdat
.Lfunc_end91:
	.size	_ZN9rocsolver6v33100L23getf2_npvt_small_kernelILi46E19rocblas_complex_numIfEiiPS3_EEvT1_T3_lS5_lPT2_S5_S5_, .Lfunc_end91-_ZN9rocsolver6v33100L23getf2_npvt_small_kernelILi46E19rocblas_complex_numIfEiiPS3_EEvT1_T3_lS5_lPT2_S5_S5_
                                        ; -- End function
	.set _ZN9rocsolver6v33100L23getf2_npvt_small_kernelILi46E19rocblas_complex_numIfEiiPS3_EEvT1_T3_lS5_lPT2_S5_S5_.num_vgpr, 256
	.set _ZN9rocsolver6v33100L23getf2_npvt_small_kernelILi46E19rocblas_complex_numIfEiiPS3_EEvT1_T3_lS5_lPT2_S5_S5_.num_agpr, 0
	.set _ZN9rocsolver6v33100L23getf2_npvt_small_kernelILi46E19rocblas_complex_numIfEiiPS3_EEvT1_T3_lS5_lPT2_S5_S5_.numbered_sgpr, 15
	.set _ZN9rocsolver6v33100L23getf2_npvt_small_kernelILi46E19rocblas_complex_numIfEiiPS3_EEvT1_T3_lS5_lPT2_S5_S5_.num_named_barrier, 0
	.set _ZN9rocsolver6v33100L23getf2_npvt_small_kernelILi46E19rocblas_complex_numIfEiiPS3_EEvT1_T3_lS5_lPT2_S5_S5_.private_seg_size, 140
	.set _ZN9rocsolver6v33100L23getf2_npvt_small_kernelILi46E19rocblas_complex_numIfEiiPS3_EEvT1_T3_lS5_lPT2_S5_S5_.uses_vcc, 1
	.set _ZN9rocsolver6v33100L23getf2_npvt_small_kernelILi46E19rocblas_complex_numIfEiiPS3_EEvT1_T3_lS5_lPT2_S5_S5_.uses_flat_scratch, 1
	.set _ZN9rocsolver6v33100L23getf2_npvt_small_kernelILi46E19rocblas_complex_numIfEiiPS3_EEvT1_T3_lS5_lPT2_S5_S5_.has_dyn_sized_stack, 0
	.set _ZN9rocsolver6v33100L23getf2_npvt_small_kernelILi46E19rocblas_complex_numIfEiiPS3_EEvT1_T3_lS5_lPT2_S5_S5_.has_recursion, 0
	.set _ZN9rocsolver6v33100L23getf2_npvt_small_kernelILi46E19rocblas_complex_numIfEiiPS3_EEvT1_T3_lS5_lPT2_S5_S5_.has_indirect_call, 0
	.section	.AMDGPU.csdata,"",@progbits
; Kernel info:
; codeLenInByte = 90964
; TotalNumSgprs: 17
; NumVgprs: 256
; ScratchSize: 140
; MemoryBound: 0
; FloatMode: 240
; IeeeMode: 1
; LDSByteSize: 0 bytes/workgroup (compile time only)
; SGPRBlocks: 0
; VGPRBlocks: 15
; NumSGPRsForWavesPerEU: 17
; NumVGPRsForWavesPerEU: 256
; NamedBarCnt: 0
; Occupancy: 4
; WaveLimiterHint : 0
; COMPUTE_PGM_RSRC2:SCRATCH_EN: 1
; COMPUTE_PGM_RSRC2:USER_SGPR: 2
; COMPUTE_PGM_RSRC2:TRAP_HANDLER: 0
; COMPUTE_PGM_RSRC2:TGID_X_EN: 1
; COMPUTE_PGM_RSRC2:TGID_Y_EN: 1
; COMPUTE_PGM_RSRC2:TGID_Z_EN: 0
; COMPUTE_PGM_RSRC2:TIDIG_COMP_CNT: 1
	.section	.text._ZN9rocsolver6v33100L18getf2_small_kernelILi47E19rocblas_complex_numIfEiiPS3_EEvT1_T3_lS5_lPS5_llPT2_S5_S5_S7_l,"axG",@progbits,_ZN9rocsolver6v33100L18getf2_small_kernelILi47E19rocblas_complex_numIfEiiPS3_EEvT1_T3_lS5_lPS5_llPT2_S5_S5_S7_l,comdat
	.globl	_ZN9rocsolver6v33100L18getf2_small_kernelILi47E19rocblas_complex_numIfEiiPS3_EEvT1_T3_lS5_lPS5_llPT2_S5_S5_S7_l ; -- Begin function _ZN9rocsolver6v33100L18getf2_small_kernelILi47E19rocblas_complex_numIfEiiPS3_EEvT1_T3_lS5_lPS5_llPT2_S5_S5_S7_l
	.p2align	8
	.type	_ZN9rocsolver6v33100L18getf2_small_kernelILi47E19rocblas_complex_numIfEiiPS3_EEvT1_T3_lS5_lPS5_llPT2_S5_S5_S7_l,@function
_ZN9rocsolver6v33100L18getf2_small_kernelILi47E19rocblas_complex_numIfEiiPS3_EEvT1_T3_lS5_lPS5_llPT2_S5_S5_S7_l: ; @_ZN9rocsolver6v33100L18getf2_small_kernelILi47E19rocblas_complex_numIfEiiPS3_EEvT1_T3_lS5_lPS5_llPT2_S5_S5_S7_l
; %bb.0:
	s_clause 0x1
	s_load_u16 s2, s[0:1], 0x6e
	s_load_b64 s[16:17], s[0:1], 0x48
	s_bfe_u32 s3, ttmp6, 0x40010
	s_bfe_u32 s4, ttmp6, 0x40004
	s_add_co_i32 s3, s3, 1
	s_getreg_b32 s5, hwreg(HW_REG_IB_STS2, 6, 4)
	s_mul_i32 s3, ttmp7, s3
	v_bfe_u32 v102, v0, 10, 10
	s_add_co_i32 s4, s4, s3
	s_cmp_eq_u32 s5, 0
	s_cselect_b32 s3, ttmp7, s4
	s_wait_kmcnt 0x0
	v_mad_u32 v2, s3, s2, v102
	s_mov_b32 s2, exec_lo
	s_delay_alu instid0(VALU_DEP_1)
	v_cmpx_gt_i32_e64 s16, v2
	s_cbranch_execz .LBB92_988
; %bb.1:
	s_load_b128 s[4:7], s[0:1], 0x50
	v_mov_b64_e32 v[4:5], 0
	v_ashrrev_i32_e32 v3, 31, v2
	s_wait_kmcnt 0x0
	s_cmp_eq_u64 s[4:5], 0
	s_cselect_b32 s16, -1, 0
	s_delay_alu instid0(SALU_CYCLE_1)
	s_and_b32 vcc_lo, exec_lo, s16
	s_cbranch_vccnz .LBB92_3
; %bb.2:
	v_mul_u64_e32 v[4:5], s[6:7], v[2:3]
	s_delay_alu instid0(VALU_DEP_1)
	v_lshl_add_u64 v[4:5], v[4:5], 2, s[4:5]
.LBB92_3:
	s_clause 0x2
	s_load_b32 s2, s[0:1], 0x18
	s_load_b128 s[12:15], s[0:1], 0x8
	s_load_b32 s18, s[0:1], 0x0
	v_and_b32_e32 v107, 0x3ff, v0
	s_load_b256 s[4:11], s[0:1], 0x20
	s_delay_alu instid0(VALU_DEP_1) | instskip(SKIP_4) | instid1(VALU_DEP_2)
	v_dual_mov_b32 v101, 0 :: v_dual_lshlrev_b32 v100, 3, v107
	s_wait_kmcnt 0x0
	v_add3_u32 v6, s2, s2, v107
	s_ashr_i32 s3, s2, 31
	v_mul_u64_e32 v[0:1], s[4:5], v[2:3]
	v_add_nc_u32_e32 v8, s2, v6
	s_max_i32 s4, s18, 47
	s_cmp_lt_i32 s18, 2
	s_delay_alu instid0(VALU_DEP_1) | instskip(NEXT) | instid1(VALU_DEP_1)
	v_add_nc_u32_e32 v10, s2, v8
	v_add_nc_u32_e32 v12, s2, v10
	s_delay_alu instid0(VALU_DEP_1) | instskip(NEXT) | instid1(VALU_DEP_1)
	v_add_nc_u32_e32 v14, s2, v12
	v_dual_ashrrev_i32 v9, 31, v8 :: v_dual_add_nc_u32 v16, s2, v14
	s_delay_alu instid0(VALU_DEP_1) | instskip(SKIP_1) | instid1(VALU_DEP_1)
	v_dual_ashrrev_i32 v15, 31, v14 :: v_dual_ashrrev_i32 v17, 31, v16
	v_dual_add_nc_u32 v18, s2, v16 :: v_dual_ashrrev_i32 v11, 31, v10
	v_dual_ashrrev_i32 v13, 31, v12 :: v_dual_add_nc_u32 v20, s2, v18
	v_lshl_add_u64 v[0:1], v[0:1], 3, s[12:13]
	s_delay_alu instid0(VALU_DEP_2) | instskip(NEXT) | instid1(VALU_DEP_2)
	v_add_nc_u32_e32 v22, s2, v20
	v_lshl_add_u64 v[0:1], s[14:15], 3, v[0:1]
	s_delay_alu instid0(VALU_DEP_2) | instskip(NEXT) | instid1(VALU_DEP_2)
	v_add_nc_u32_e32 v26, s2, v22
	v_lshl_add_u64 v[10:11], v[10:11], 3, v[0:1]
	v_add_nc_u64_e32 v[32:33], v[0:1], v[100:101]
	v_lshl_add_u64 v[12:13], v[12:13], 3, v[0:1]
	v_lshl_add_u64 v[14:15], v[14:15], 3, v[0:1]
	v_add_nc_u32_e32 v30, s2, v26
	v_lshl_add_u64 v[16:17], v[16:17], 3, v[0:1]
	s_clause 0x3
	global_load_b64 v[72:73], v[10:11], off
	global_load_b64 v[68:69], v[12:13], off
	;; [unrolled: 1-line block ×4, first 2 shown]
	s_wait_xcnt 0x3
	v_lshl_add_u64 v[10:11], s[2:3], 3, v[32:33]
	v_add_nc_u32_e32 v36, s2, v30
	v_lshl_add_u64 v[8:9], v[8:9], 3, v[0:1]
	s_delay_alu instid0(VALU_DEP_2) | instskip(NEXT) | instid1(VALU_DEP_1)
	v_dual_add_nc_u32 v38, s2, v36 :: v_dual_ashrrev_i32 v37, 31, v36
	v_dual_ashrrev_i32 v21, 31, v20 :: v_dual_add_nc_u32 v40, s2, v38
	s_wait_xcnt 0x0
	s_delay_alu instid0(VALU_DEP_2) | instskip(NEXT) | instid1(VALU_DEP_2)
	v_lshl_add_u64 v[16:17], v[36:37], 3, v[0:1]
	v_lshl_add_u64 v[20:21], v[20:21], 3, v[0:1]
	s_delay_alu instid0(VALU_DEP_3) | instskip(NEXT) | instid1(VALU_DEP_1)
	v_dual_add_nc_u32 v42, s2, v40 :: v_dual_ashrrev_i32 v27, 31, v26
	v_dual_ashrrev_i32 v41, 31, v40 :: v_dual_add_nc_u32 v44, s2, v42
	s_delay_alu instid0(VALU_DEP_1) | instskip(NEXT) | instid1(VALU_DEP_1)
	v_dual_ashrrev_i32 v7, 31, v6 :: v_dual_add_nc_u32 v50, s2, v44
	v_lshl_add_u64 v[6:7], v[6:7], 3, v[0:1]
	s_clause 0x3
	global_load_b64 v[92:93], v[6:7], off
	global_load_b64 v[90:91], v[8:9], off
	;; [unrolled: 1-line block ×4, first 2 shown]
	v_add_nc_u32_e32 v52, s2, v50
	v_ashrrev_i32_e32 v19, 31, v18
	s_wait_xcnt 0x3
	v_lshl_add_u64 v[6:7], v[26:27], 3, v[0:1]
	v_dual_ashrrev_i32 v39, 31, v38 :: v_dual_ashrrev_i32 v45, 31, v44
	v_add_nc_u32_e32 v54, s2, v52
	v_lshl_add_u64 v[18:19], v[18:19], 3, v[0:1]
	s_delay_alu instid0(VALU_DEP_2) | instskip(NEXT) | instid1(VALU_DEP_1)
	v_dual_ashrrev_i32 v53, 31, v52 :: v_dual_add_nc_u32 v56, s2, v54
	v_dual_ashrrev_i32 v23, 31, v22 :: v_dual_add_nc_u32 v58, s2, v56
	s_delay_alu instid0(VALU_DEP_1)
	v_lshl_add_u64 v[12:13], v[22:23], 3, v[0:1]
	s_clause 0x3
	global_load_b64 v[76:77], v[18:19], off
	global_load_b64 v[74:75], v[20:21], off
	;; [unrolled: 1-line block ×4, first 2 shown]
	v_add_nc_u32_e32 v14, s2, v58
	s_wait_xcnt 0x3
	v_lshl_add_u64 v[18:19], v[38:39], 3, v[0:1]
	s_wait_xcnt 0x2
	v_lshl_add_u64 v[20:21], v[40:41], 3, v[0:1]
	v_add_nc_u32_e32 v8, s2, v14
	v_ashrrev_i32_e32 v51, 31, v50
	s_wait_xcnt 0x0
	s_delay_alu instid0(VALU_DEP_2) | instskip(SKIP_3) | instid1(VALU_DEP_4)
	v_dual_ashrrev_i32 v15, 31, v14 :: v_dual_add_nc_u32 v6, s2, v8
	v_dual_ashrrev_i32 v43, 31, v42 :: v_dual_ashrrev_i32 v57, 31, v56
	v_ashrrev_i32_e32 v9, 31, v8
	v_lshl_add_u64 v[26:27], v[50:51], 3, v[0:1]
	v_add_nc_u32_e32 v12, s2, v6
	v_ashrrev_i32_e32 v31, 31, v30
	v_lshl_add_u64 v[14:15], v[14:15], 3, v[0:1]
	v_ashrrev_i32_e32 v7, 31, v6
	v_lshl_add_u64 v[8:9], v[8:9], 3, v[0:1]
	v_add_nc_u32_e32 v22, s2, v12
	v_lshl_add_u64 v[10:11], v[30:31], 3, v[0:1]
	s_clause 0x3
	global_load_b64 v[88:89], v[10:11], off
	global_load_b64 v[86:87], v[16:17], off
	;; [unrolled: 1-line block ×4, first 2 shown]
	s_wait_xcnt 0x3
	v_add_nc_u32_e32 v10, s2, v22
	s_wait_xcnt 0x2
	v_lshl_add_u64 v[16:17], v[42:43], 3, v[0:1]
	s_wait_xcnt 0x0
	v_lshl_add_u64 v[20:21], v[44:45], 3, v[0:1]
	v_lshl_add_u64 v[30:31], v[52:53], 3, v[0:1]
	s_clause 0x3
	global_load_b64 v[84:85], v[16:17], off
	global_load_b64 v[82:83], v[20:21], off
	;; [unrolled: 1-line block ×4, first 2 shown]
	v_add_nc_u32_e32 v18, s2, v10
	s_wait_xcnt 0x1
	v_lshl_add_u64 v[26:27], v[56:57], 3, v[0:1]
	v_ashrrev_i32_e32 v23, 31, v22
	v_lshl_add_u64 v[6:7], v[6:7], 3, v[0:1]
	v_add_nc_u32_e32 v40, s2, v18
	s_delay_alu instid0(VALU_DEP_1) | instskip(SKIP_1) | instid1(VALU_DEP_2)
	v_dual_ashrrev_i32 v59, 31, v58 :: v_dual_add_nc_u32 v16, s2, v40
	v_dual_ashrrev_i32 v55, 31, v54 :: v_dual_ashrrev_i32 v13, 31, v12
	v_lshl_add_u64 v[50:51], v[58:59], 3, v[0:1]
	s_wait_xcnt 0x0
	s_delay_alu instid0(VALU_DEP_3) | instskip(NEXT) | instid1(VALU_DEP_3)
	v_add_nc_u32_e32 v30, s2, v16
	v_lshl_add_u64 v[20:21], v[54:55], 3, v[0:1]
	s_clause 0x3
	global_load_b64 v[80:81], v[20:21], off
	global_load_b64 v[78:79], v[26:27], off
	;; [unrolled: 1-line block ×4, first 2 shown]
	v_dual_add_nc_u32 v52, s2, v30 :: v_dual_ashrrev_i32 v17, 31, v16
	v_lshl_add_u64 v[12:13], v[12:13], 3, v[0:1]
	s_wait_xcnt 0x3
	v_lshl_add_u64 v[20:21], v[22:23], 3, v[0:1]
	s_wait_xcnt 0x0
	v_dual_ashrrev_i32 v11, 31, v10 :: v_dual_add_nc_u32 v14, s2, v52
	s_clause 0x3
	global_load_b64 v[70:71], v[8:9], off
	global_load_b64 v[66:67], v[6:7], off
	;; [unrolled: 1-line block ×4, first 2 shown]
	v_dual_ashrrev_i32 v53, 31, v52 :: v_dual_ashrrev_i32 v19, 31, v18
	s_wait_xcnt 0x3
	v_lshl_add_u64 v[8:9], v[10:11], 3, v[0:1]
	v_dual_add_nc_u32 v50, s2, v14 :: v_dual_ashrrev_i32 v41, 31, v40
	v_lshl_add_u64 v[16:17], v[16:17], 3, v[0:1]
	s_wait_xcnt 0x1
	v_lshl_add_u64 v[12:13], v[18:19], 3, v[0:1]
	v_ashrrev_i32_e32 v31, 31, v30
	v_add_nc_u32_e32 v54, s2, v50
	v_lshl_add_u64 v[40:41], v[40:41], 3, v[0:1]
	s_clause 0x3
	global_load_b64 v[64:65], v[8:9], off
	global_load_b64 v[62:63], v[12:13], off
	;; [unrolled: 1-line block ×4, first 2 shown]
	v_add_nc_u32_e32 v6, s2, v54
	s_wait_xcnt 0x2
	v_lshl_add_u64 v[12:13], v[30:31], 3, v[0:1]
	v_ashrrev_i32_e32 v51, 31, v50
	s_wait_xcnt 0x1
	v_lshl_add_u64 v[40:41], v[52:53], 3, v[0:1]
	v_add_nc_u32_e32 v10, s2, v6
	s_delay_alu instid0(VALU_DEP_3) | instskip(NEXT) | instid1(VALU_DEP_2)
	v_lshl_add_u64 v[50:51], v[50:51], 3, v[0:1]
	v_add_nc_u32_e32 v56, s2, v10
	s_delay_alu instid0(VALU_DEP_1) | instskip(SKIP_1) | instid1(VALU_DEP_2)
	v_dual_ashrrev_i32 v15, 31, v14 :: v_dual_ashrrev_i32 v57, 31, v56
	v_add_nc_u32_e32 v8, s2, v56
	v_lshl_add_u64 v[52:53], v[14:15], 3, v[0:1]
	s_clause 0x3
	global_load_b64 v[60:61], v[12:13], off
	global_load_b64 v[58:59], v[40:41], off
	;; [unrolled: 1-line block ×4, first 2 shown]
	v_dual_add_nc_u32 v30, s2, v8 :: v_dual_ashrrev_i32 v55, 31, v54
	v_ashrrev_i32_e32 v9, 31, v8
	v_lshl_add_u64 v[108:109], v[56:57], 3, v[0:1]
	s_delay_alu instid0(VALU_DEP_3) | instskip(SKIP_2) | instid1(VALU_DEP_2)
	v_add_nc_u32_e32 v98, s2, v30
	s_wait_xcnt 0x2
	v_lshl_add_u64 v[40:41], v[54:55], 3, v[0:1]
	v_dual_add_nc_u32 v12, s2, v98 :: v_dual_ashrrev_i32 v99, 31, v98
	s_delay_alu instid0(VALU_DEP_1) | instskip(SKIP_2) | instid1(VALU_DEP_2)
	v_dual_ashrrev_i32 v11, 31, v10 :: v_dual_ashrrev_i32 v13, 31, v12
	s_wait_xcnt 0x1
	v_dual_add_nc_u32 v52, s2, v12 :: v_dual_ashrrev_i32 v7, 31, v6
	v_lshl_add_u64 v[104:105], v[10:11], 3, v[0:1]
	v_ashrrev_i32_e32 v31, 31, v30
	v_lshl_add_u64 v[112:113], v[98:99], 3, v[0:1]
	s_delay_alu instid0(VALU_DEP_4)
	v_add_nc_u32_e32 v110, s2, v52
	s_wait_xcnt 0x0
	v_lshl_add_u64 v[50:51], v[6:7], 3, v[0:1]
	s_clause 0x3
	global_load_b64 v[56:57], v[40:41], off
	global_load_b64 v[54:55], v[50:51], off
	;; [unrolled: 1-line block ×4, first 2 shown]
	s_wait_xcnt 0x1
	v_lshl_add_u64 v[104:105], v[8:9], 3, v[0:1]
	v_dual_add_nc_u32 v8, s2, v110 :: v_dual_ashrrev_i32 v111, 31, v110
	v_ashrrev_i32_e32 v53, 31, v52
	s_wait_xcnt 0x0
	v_lshl_add_u64 v[108:109], v[30:31], 3, v[0:1]
	v_lshl_add_u64 v[114:115], v[12:13], 3, v[0:1]
	v_ashrrev_i32_e32 v9, 31, v8
	v_lshl_add_u64 v[110:111], v[110:111], 3, v[0:1]
	v_lshl_add_u64 v[116:117], v[52:53], 3, v[0:1]
	s_delay_alu instid0(VALU_DEP_3)
	v_lshl_add_u64 v[118:119], v[8:9], 3, v[0:1]
	s_clause 0x6
	global_load_b64 v[52:53], v[104:105], off
	global_load_b64 v[50:51], v[108:109], off
	;; [unrolled: 1-line block ×7, first 2 shown]
	s_wait_xcnt 0x6
	v_mul_lo_u32 v105, s4, v102
	s_load_b64 s[4:5], s[0:1], 0x40
	s_delay_alu instid0(VALU_DEP_1) | instskip(NEXT) | instid1(VALU_DEP_1)
	v_lshl_add_u32 v104, v105, 3, 0
	v_dual_lshlrev_b32 v105, 3, v105 :: v_dual_add_nc_u32 v100, v104, v100
	s_wait_loadcnt 0x28
	ds_store_b64 v100, v[96:97]
	s_wait_loadcnt_dscnt 0x0
	s_barrier_signal -1
	s_barrier_wait -1
	ds_load_b64 v[102:103], v104
	s_cbranch_scc1 .LBB92_6
; %bb.4:
	v_add3_u32 v100, v105, 0, 8
	v_mov_b32_e32 v101, 0
	s_wait_xcnt 0x0
	s_mov_b32 s1, 1
.LBB92_5:                               ; =>This Inner Loop Header: Depth=1
	ds_load_b64 v[108:109], v100
	s_wait_dscnt 0x1
	v_cmp_gt_f32_e32 vcc_lo, 0, v102
	v_cmp_gt_f32_e64 s0, 0, v103
	s_delay_alu instid0(VALU_DEP_1) | instskip(SKIP_3) | instid1(VALU_DEP_1)
	v_dual_cndmask_b32 v110, v102, -v102, vcc_lo :: v_dual_cndmask_b32 v112, v103, -v103, s0
	s_wait_dscnt 0x0
	v_cmp_gt_f32_e32 vcc_lo, 0, v108
	v_cmp_gt_f32_e64 s0, 0, v109
	v_dual_cndmask_b32 v111, v108, -v108, vcc_lo :: v_dual_cndmask_b32 v113, v109, -v109, s0
	s_delay_alu instid0(VALU_DEP_1) | instskip(NEXT) | instid1(VALU_DEP_1)
	v_pk_add_f32 v[110:111], v[110:111], v[112:113]
	v_cmp_lt_f32_e32 vcc_lo, v110, v111
	v_dual_cndmask_b32 v103, v103, v109 :: v_dual_add_nc_u32 v100, 8, v100
	v_cndmask_b32_e32 v102, v102, v108, vcc_lo
	v_cndmask_b32_e64 v101, v101, s1, vcc_lo
	s_add_co_i32 s1, s1, 1
	s_delay_alu instid0(SALU_CYCLE_1)
	s_cmp_eq_u32 s18, s1
	s_cbranch_scc0 .LBB92_5
.LBB92_6:
	s_wait_dscnt 0x0
	v_cmp_neq_f32_e32 vcc_lo, 0, v102
	s_wait_xcnt 0x0
	v_cmp_neq_f32_e64 s0, 0, v103
	v_dual_mov_b32 v106, 1 :: v_dual_mov_b32 v109, 1
	s_or_b32 s1, vcc_lo, s0
	s_delay_alu instid0(SALU_CYCLE_1)
	s_and_saveexec_b32 s0, s1
	s_cbranch_execz .LBB92_12
; %bb.7:
	v_cmp_ngt_f32_e64 s1, |v102|, |v103|
	s_and_saveexec_b32 s12, s1
	s_delay_alu instid0(SALU_CYCLE_1)
	s_xor_b32 s1, exec_lo, s12
	s_cbranch_execz .LBB92_9
; %bb.8:
	v_div_scale_f32 v100, null, v103, v103, v102
	v_div_scale_f32 v109, vcc_lo, v102, v103, v102
	s_delay_alu instid0(VALU_DEP_2) | instskip(SKIP_1) | instid1(TRANS32_DEP_1)
	v_rcp_f32_e32 v106, v100
	v_nop
	v_fma_f32 v108, -v100, v106, 1.0
	s_delay_alu instid0(VALU_DEP_1) | instskip(NEXT) | instid1(VALU_DEP_1)
	v_fmac_f32_e32 v106, v108, v106
	v_mul_f32_e32 v108, v109, v106
	s_delay_alu instid0(VALU_DEP_1) | instskip(NEXT) | instid1(VALU_DEP_1)
	v_fma_f32 v110, -v100, v108, v109
	v_fmac_f32_e32 v108, v110, v106
	s_delay_alu instid0(VALU_DEP_1) | instskip(NEXT) | instid1(VALU_DEP_1)
	v_fma_f32 v100, -v100, v108, v109
	v_div_fmas_f32 v100, v100, v106, v108
	s_delay_alu instid0(VALU_DEP_1) | instskip(NEXT) | instid1(VALU_DEP_1)
	v_div_fixup_f32 v100, v100, v103, v102
	v_fmac_f32_e32 v103, v102, v100
	s_delay_alu instid0(VALU_DEP_1) | instskip(SKIP_1) | instid1(VALU_DEP_2)
	v_div_scale_f32 v102, null, v103, v103, 1.0
	v_div_scale_f32 v109, vcc_lo, 1.0, v103, 1.0
	v_rcp_f32_e32 v106, v102
	v_nop
	s_delay_alu instid0(TRANS32_DEP_1) | instskip(NEXT) | instid1(VALU_DEP_1)
	v_fma_f32 v108, -v102, v106, 1.0
	v_fmac_f32_e32 v106, v108, v106
	s_delay_alu instid0(VALU_DEP_1) | instskip(NEXT) | instid1(VALU_DEP_1)
	v_mul_f32_e32 v108, v109, v106
	v_fma_f32 v110, -v102, v108, v109
	s_delay_alu instid0(VALU_DEP_1) | instskip(NEXT) | instid1(VALU_DEP_1)
	v_fmac_f32_e32 v108, v110, v106
	v_fma_f32 v102, -v102, v108, v109
	s_delay_alu instid0(VALU_DEP_1) | instskip(NEXT) | instid1(VALU_DEP_1)
	v_div_fmas_f32 v102, v102, v106, v108
	v_div_fixup_f32 v103, v102, v103, 1.0
	s_delay_alu instid0(VALU_DEP_1)
	v_mul_f32_e32 v102, v100, v103
	v_xor_b32_e32 v103, 0x80000000, v103
.LBB92_9:
	s_and_not1_saveexec_b32 s1, s1
	s_cbranch_execz .LBB92_11
; %bb.10:
	s_delay_alu instid0(VALU_DEP_1) | instskip(SKIP_1) | instid1(VALU_DEP_2)
	v_div_scale_f32 v100, null, v102, v102, v103
	v_div_scale_f32 v109, vcc_lo, v103, v102, v103
	v_rcp_f32_e32 v106, v100
	v_nop
	s_delay_alu instid0(TRANS32_DEP_1) | instskip(NEXT) | instid1(VALU_DEP_1)
	v_fma_f32 v108, -v100, v106, 1.0
	v_fmac_f32_e32 v106, v108, v106
	s_delay_alu instid0(VALU_DEP_1) | instskip(NEXT) | instid1(VALU_DEP_1)
	v_mul_f32_e32 v108, v109, v106
	v_fma_f32 v110, -v100, v108, v109
	s_delay_alu instid0(VALU_DEP_1) | instskip(NEXT) | instid1(VALU_DEP_1)
	v_fmac_f32_e32 v108, v110, v106
	v_fma_f32 v100, -v100, v108, v109
	s_delay_alu instid0(VALU_DEP_1) | instskip(NEXT) | instid1(VALU_DEP_1)
	v_div_fmas_f32 v100, v100, v106, v108
	v_div_fixup_f32 v100, v100, v102, v103
	s_delay_alu instid0(VALU_DEP_1) | instskip(NEXT) | instid1(VALU_DEP_1)
	v_fmac_f32_e32 v102, v103, v100
	v_div_scale_f32 v103, null, v102, v102, 1.0
	s_delay_alu instid0(VALU_DEP_1) | instskip(SKIP_1) | instid1(TRANS32_DEP_1)
	v_rcp_f32_e32 v106, v103
	v_nop
	v_fma_f32 v108, -v103, v106, 1.0
	s_delay_alu instid0(VALU_DEP_1) | instskip(SKIP_1) | instid1(VALU_DEP_1)
	v_fmac_f32_e32 v106, v108, v106
	v_div_scale_f32 v108, vcc_lo, 1.0, v102, 1.0
	v_mul_f32_e32 v109, v108, v106
	s_delay_alu instid0(VALU_DEP_1) | instskip(NEXT) | instid1(VALU_DEP_1)
	v_fma_f32 v110, -v103, v109, v108
	v_fmac_f32_e32 v109, v110, v106
	s_delay_alu instid0(VALU_DEP_1) | instskip(NEXT) | instid1(VALU_DEP_1)
	v_fma_f32 v103, -v103, v109, v108
	v_div_fmas_f32 v103, v103, v106, v109
	s_delay_alu instid0(VALU_DEP_1) | instskip(NEXT) | instid1(VALU_DEP_1)
	v_div_fixup_f32 v102, v103, v102, 1.0
	v_mul_f32_e64 v103, v100, -v102
.LBB92_11:
	s_or_b32 exec_lo, exec_lo, s1
	v_dual_mov_b32 v109, 0 :: v_dual_mov_b32 v106, 2
.LBB92_12:
	s_or_b32 exec_lo, exec_lo, s0
	s_delay_alu instid0(SALU_CYCLE_1)
	s_mov_b32 s0, exec_lo
	v_cmpx_ne_u32_e64 v107, v101
	s_xor_b32 s0, exec_lo, s0
	s_cbranch_execz .LBB92_18
; %bb.13:
	s_mov_b32 s1, exec_lo
	v_cmpx_eq_u32_e32 0, v107
	s_cbranch_execz .LBB92_17
; %bb.14:
	v_cmp_ne_u32_e32 vcc_lo, 0, v101
	s_xor_b32 s12, s16, -1
	s_delay_alu instid0(SALU_CYCLE_1) | instskip(NEXT) | instid1(SALU_CYCLE_1)
	s_and_b32 s13, s12, vcc_lo
	s_and_saveexec_b32 s12, s13
	s_cbranch_execz .LBB92_16
; %bb.15:
	v_dual_mov_b32 v110, v101 :: v_dual_ashrrev_i32 v111, 31, v101
	s_delay_alu instid0(VALU_DEP_1)
	v_lshl_add_u64 v[110:111], v[110:111], 2, v[4:5]
	s_clause 0x1
	global_load_b32 v100, v[110:111], off
	global_load_b32 v107, v[4:5], off
	s_wait_loadcnt 0x1
	global_store_b32 v[4:5], v100, off
	s_wait_loadcnt 0x0
	global_store_b32 v[110:111], v107, off
.LBB92_16:
	s_wait_xcnt 0x0
	s_or_b32 exec_lo, exec_lo, s12
	v_mov_b32_e32 v107, v101
.LBB92_17:
	s_or_b32 exec_lo, exec_lo, s1
.LBB92_18:
	s_or_saveexec_b32 s0, s0
	s_delay_alu instid0(VALU_DEP_1)
	v_mov_b32_e32 v108, v107
	s_xor_b32 exec_lo, exec_lo, s0
	s_cbranch_execz .LBB92_20
; %bb.19:
	v_mov_b32_e32 v108, 0
	ds_store_2addr_b64 v104, v[94:95], v[92:93] offset0:1 offset1:2
	ds_store_2addr_b64 v104, v[90:91], v[72:73] offset0:3 offset1:4
	;; [unrolled: 1-line block ×23, first 2 shown]
.LBB92_20:
	s_or_b32 exec_lo, exec_lo, s0
	s_delay_alu instid0(SALU_CYCLE_1)
	s_mov_b32 s0, exec_lo
	s_wait_storecnt_dscnt 0x0
	s_barrier_signal -1
	s_barrier_wait -1
	v_cmpx_lt_i32_e32 0, v108
	s_cbranch_execz .LBB92_22
; %bb.21:
	v_pk_mul_f32 v[110:111], v[102:103], v[96:97] op_sel:[1,1] op_sel_hi:[0,1]
	s_delay_alu instid0(VALU_DEP_1)
	v_pk_fma_f32 v[100:101], v[102:103], v[96:97], v[110:111] op_sel_hi:[1,0,1] neg_lo:[0,0,1] neg_hi:[0,0,1]
	v_pk_fma_f32 v[102:103], v[102:103], v[96:97], v[110:111] op_sel_hi:[1,0,1]
	ds_load_2addr_b64 v[110:113], v104 offset0:1 offset1:2
	v_dual_mov_b32 v96, v100 :: v_dual_mov_b32 v97, v103
	s_wait_dscnt 0x0
	v_pk_mul_f32 v[114:115], v[110:111], v[102:103] op_sel:[0,1]
	s_delay_alu instid0(VALU_DEP_1) | instskip(SKIP_1) | instid1(VALU_DEP_1)
	v_pk_fma_f32 v[116:117], v[110:111], v[100:101], v[114:115] op_sel:[0,0,1] op_sel_hi:[1,1,0] neg_lo:[0,0,1] neg_hi:[0,0,1]
	v_pk_fma_f32 v[110:111], v[110:111], v[100:101], v[114:115] op_sel:[0,0,1] op_sel_hi:[1,0,0]
	v_mov_b32_e32 v117, v111
	v_pk_mul_f32 v[110:111], v[112:113], v[102:103] op_sel:[0,1]
	s_delay_alu instid0(VALU_DEP_1) | instskip(SKIP_1) | instid1(VALU_DEP_1)
	v_pk_fma_f32 v[114:115], v[112:113], v[100:101], v[110:111] op_sel:[0,0,1] op_sel_hi:[1,1,0] neg_lo:[0,0,1] neg_hi:[0,0,1]
	v_pk_fma_f32 v[110:111], v[112:113], v[100:101], v[110:111] op_sel:[0,0,1] op_sel_hi:[1,0,0]
	v_mov_b32_e32 v115, v111
	ds_load_2addr_b64 v[110:113], v104 offset0:3 offset1:4
	v_pk_add_f32 v[94:95], v[94:95], v[116:117] neg_lo:[0,1] neg_hi:[0,1]
	v_pk_add_f32 v[92:93], v[92:93], v[114:115] neg_lo:[0,1] neg_hi:[0,1]
	s_wait_dscnt 0x0
	v_pk_mul_f32 v[114:115], v[110:111], v[102:103] op_sel:[0,1]
	s_delay_alu instid0(VALU_DEP_1) | instskip(SKIP_2) | instid1(VALU_DEP_2)
	v_pk_fma_f32 v[116:117], v[110:111], v[100:101], v[114:115] op_sel:[0,0,1] op_sel_hi:[1,1,0] neg_lo:[0,0,1] neg_hi:[0,0,1]
	v_pk_fma_f32 v[110:111], v[110:111], v[100:101], v[114:115] op_sel:[0,0,1] op_sel_hi:[1,0,0]
	v_dual_mul_f32 v114, v113, v103 :: v_dual_mov_b32 v110, v113
	v_dual_mov_b32 v117, v111 :: v_dual_mov_b32 v111, v112
	s_delay_alu instid0(VALU_DEP_2) | instskip(SKIP_1) | instid1(VALU_DEP_3)
	v_pk_fma_f32 v[114:115], v[112:113], v[96:97], v[114:115] op_sel_hi:[1,1,0] neg_lo:[0,0,1] neg_hi:[0,0,1]
	v_mul_f32_e32 v112, v113, v100
	v_pk_add_f32 v[90:91], v[90:91], v[116:117] neg_lo:[0,1] neg_hi:[0,1]
	s_delay_alu instid0(VALU_DEP_2) | instskip(NEXT) | instid1(VALU_DEP_1)
	v_pk_fma_f32 v[110:111], v[110:111], v[96:97], v[112:113] op_sel_hi:[1,1,0]
	v_mov_b32_e32 v115, v111
	ds_load_2addr_b64 v[110:113], v104 offset0:5 offset1:6
	v_pk_add_f32 v[72:73], v[72:73], v[114:115] neg_lo:[0,1] neg_hi:[0,1]
	s_wait_dscnt 0x0
	v_pk_mul_f32 v[114:115], v[110:111], v[102:103] op_sel:[0,1]
	s_delay_alu instid0(VALU_DEP_1) | instskip(SKIP_1) | instid1(VALU_DEP_1)
	v_pk_fma_f32 v[116:117], v[110:111], v[100:101], v[114:115] op_sel:[0,0,1] op_sel_hi:[1,1,0] neg_lo:[0,0,1] neg_hi:[0,0,1]
	v_pk_fma_f32 v[110:111], v[110:111], v[100:101], v[114:115] op_sel:[0,0,1] op_sel_hi:[1,0,0]
	v_mov_b32_e32 v117, v111
	v_pk_mul_f32 v[110:111], v[112:113], v[102:103] op_sel:[0,1]
	s_delay_alu instid0(VALU_DEP_1) | instskip(SKIP_1) | instid1(VALU_DEP_1)
	v_pk_fma_f32 v[114:115], v[112:113], v[100:101], v[110:111] op_sel:[0,0,1] op_sel_hi:[1,1,0] neg_lo:[0,0,1] neg_hi:[0,0,1]
	v_pk_fma_f32 v[110:111], v[112:113], v[100:101], v[110:111] op_sel:[0,0,1] op_sel_hi:[1,0,0]
	v_mov_b32_e32 v115, v111
	ds_load_2addr_b64 v[110:113], v104 offset0:7 offset1:8
	v_pk_add_f32 v[68:69], v[68:69], v[116:117] neg_lo:[0,1] neg_hi:[0,1]
	v_pk_add_f32 v[28:29], v[28:29], v[114:115] neg_lo:[0,1] neg_hi:[0,1]
	s_wait_dscnt 0x0
	v_pk_mul_f32 v[114:115], v[110:111], v[102:103] op_sel:[0,1]
	s_delay_alu instid0(VALU_DEP_1) | instskip(SKIP_1) | instid1(VALU_DEP_1)
	v_pk_fma_f32 v[116:117], v[110:111], v[100:101], v[114:115] op_sel:[0,0,1] op_sel_hi:[1,1,0] neg_lo:[0,0,1] neg_hi:[0,0,1]
	v_pk_fma_f32 v[110:111], v[110:111], v[100:101], v[114:115] op_sel:[0,0,1] op_sel_hi:[1,0,0]
	v_mov_b32_e32 v117, v111
	v_pk_mul_f32 v[110:111], v[112:113], v[102:103] op_sel:[0,1]
	s_delay_alu instid0(VALU_DEP_1) | instskip(SKIP_1) | instid1(VALU_DEP_1)
	v_pk_fma_f32 v[114:115], v[112:113], v[100:101], v[110:111] op_sel:[0,0,1] op_sel_hi:[1,1,0] neg_lo:[0,0,1] neg_hi:[0,0,1]
	v_pk_fma_f32 v[110:111], v[112:113], v[100:101], v[110:111] op_sel:[0,0,1] op_sel_hi:[1,0,0]
	v_mov_b32_e32 v115, v111
	ds_load_2addr_b64 v[110:113], v104 offset0:9 offset1:10
	v_pk_add_f32 v[24:25], v[24:25], v[116:117] neg_lo:[0,1] neg_hi:[0,1]
	v_pk_add_f32 v[76:77], v[76:77], v[114:115] neg_lo:[0,1] neg_hi:[0,1]
	s_wait_dscnt 0x0
	v_dual_mul_f32 v114, v111, v103 :: v_dual_mul_f32 v116, v111, v100
	s_delay_alu instid0(VALU_DEP_1) | instskip(NEXT) | instid1(VALU_DEP_2)
	v_pk_fma_f32 v[114:115], v[110:111], v[96:97], v[114:115] op_sel_hi:[1,1,0] neg_lo:[0,0,1] neg_hi:[0,0,1]
	v_pk_fma_f32 v[110:111], v[110:111], v[96:97], v[116:117] op_sel:[1,0,0] op_sel_hi:[0,1,0]
	s_delay_alu instid0(VALU_DEP_1) | instskip(SKIP_1) | instid1(VALU_DEP_2)
	v_mov_b32_e32 v115, v111
	v_pk_mul_f32 v[110:111], v[112:113], v[102:103] op_sel:[0,1]
	v_pk_add_f32 v[74:75], v[74:75], v[114:115] neg_lo:[0,1] neg_hi:[0,1]
	s_delay_alu instid0(VALU_DEP_2) | instskip(SKIP_1) | instid1(VALU_DEP_1)
	v_pk_fma_f32 v[114:115], v[112:113], v[100:101], v[110:111] op_sel:[0,0,1] op_sel_hi:[1,1,0] neg_lo:[0,0,1] neg_hi:[0,0,1]
	v_pk_fma_f32 v[110:111], v[112:113], v[100:101], v[110:111] op_sel:[0,0,1] op_sel_hi:[1,0,0]
	v_mov_b32_e32 v115, v111
	ds_load_2addr_b64 v[110:113], v104 offset0:11 offset1:12
	v_pk_add_f32 v[34:35], v[34:35], v[114:115] neg_lo:[0,1] neg_hi:[0,1]
	s_wait_dscnt 0x0
	v_pk_mul_f32 v[114:115], v[110:111], v[102:103] op_sel:[0,1]
	s_delay_alu instid0(VALU_DEP_1) | instskip(SKIP_1) | instid1(VALU_DEP_1)
	v_pk_fma_f32 v[116:117], v[110:111], v[100:101], v[114:115] op_sel:[0,0,1] op_sel_hi:[1,1,0] neg_lo:[0,0,1] neg_hi:[0,0,1]
	v_pk_fma_f32 v[110:111], v[110:111], v[100:101], v[114:115] op_sel:[0,0,1] op_sel_hi:[1,0,0]
	v_mov_b32_e32 v117, v111
	v_pk_mul_f32 v[110:111], v[112:113], v[102:103] op_sel:[0,1]
	s_delay_alu instid0(VALU_DEP_2) | instskip(NEXT) | instid1(VALU_DEP_2)
	v_pk_add_f32 v[32:33], v[32:33], v[116:117] neg_lo:[0,1] neg_hi:[0,1]
	v_pk_fma_f32 v[114:115], v[112:113], v[100:101], v[110:111] op_sel:[0,0,1] op_sel_hi:[1,1,0] neg_lo:[0,0,1] neg_hi:[0,0,1]
	v_pk_fma_f32 v[110:111], v[112:113], v[100:101], v[110:111] op_sel:[0,0,1] op_sel_hi:[1,0,0]
	s_delay_alu instid0(VALU_DEP_1) | instskip(SKIP_4) | instid1(VALU_DEP_1)
	v_mov_b32_e32 v115, v111
	ds_load_2addr_b64 v[110:113], v104 offset0:13 offset1:14
	v_pk_add_f32 v[88:89], v[88:89], v[114:115] neg_lo:[0,1] neg_hi:[0,1]
	s_wait_dscnt 0x0
	v_pk_mul_f32 v[114:115], v[110:111], v[102:103] op_sel:[0,1]
	v_pk_fma_f32 v[116:117], v[110:111], v[100:101], v[114:115] op_sel:[0,0,1] op_sel_hi:[1,1,0] neg_lo:[0,0,1] neg_hi:[0,0,1]
	v_pk_fma_f32 v[110:111], v[110:111], v[100:101], v[114:115] op_sel:[0,0,1] op_sel_hi:[1,0,0]
	v_dual_mul_f32 v114, v113, v103 :: v_dual_mov_b32 v110, v113
	s_delay_alu instid0(VALU_DEP_2) | instskip(NEXT) | instid1(VALU_DEP_2)
	v_dual_mov_b32 v117, v111 :: v_dual_mov_b32 v111, v112
	v_pk_fma_f32 v[114:115], v[112:113], v[96:97], v[114:115] op_sel_hi:[1,1,0] neg_lo:[0,0,1] neg_hi:[0,0,1]
	v_mul_f32_e32 v112, v113, v100
	s_delay_alu instid0(VALU_DEP_3) | instskip(NEXT) | instid1(VALU_DEP_2)
	v_pk_add_f32 v[86:87], v[86:87], v[116:117] neg_lo:[0,1] neg_hi:[0,1]
	v_pk_fma_f32 v[110:111], v[110:111], v[96:97], v[112:113] op_sel_hi:[1,1,0]
	s_delay_alu instid0(VALU_DEP_1) | instskip(SKIP_4) | instid1(VALU_DEP_1)
	v_mov_b32_e32 v115, v111
	ds_load_2addr_b64 v[110:113], v104 offset0:15 offset1:16
	v_pk_add_f32 v[48:49], v[48:49], v[114:115] neg_lo:[0,1] neg_hi:[0,1]
	s_wait_dscnt 0x0
	v_pk_mul_f32 v[114:115], v[110:111], v[102:103] op_sel:[0,1]
	v_pk_fma_f32 v[116:117], v[110:111], v[100:101], v[114:115] op_sel:[0,0,1] op_sel_hi:[1,1,0] neg_lo:[0,0,1] neg_hi:[0,0,1]
	v_pk_fma_f32 v[110:111], v[110:111], v[100:101], v[114:115] op_sel:[0,0,1] op_sel_hi:[1,0,0]
	s_delay_alu instid0(VALU_DEP_1) | instskip(SKIP_1) | instid1(VALU_DEP_1)
	v_mov_b32_e32 v117, v111
	v_pk_mul_f32 v[110:111], v[112:113], v[102:103] op_sel:[0,1]
	v_pk_fma_f32 v[114:115], v[112:113], v[100:101], v[110:111] op_sel:[0,0,1] op_sel_hi:[1,1,0] neg_lo:[0,0,1] neg_hi:[0,0,1]
	v_pk_fma_f32 v[110:111], v[112:113], v[100:101], v[110:111] op_sel:[0,0,1] op_sel_hi:[1,0,0]
	s_delay_alu instid0(VALU_DEP_1)
	v_mov_b32_e32 v115, v111
	ds_load_2addr_b64 v[110:113], v104 offset0:17 offset1:18
	v_pk_add_f32 v[46:47], v[46:47], v[116:117] neg_lo:[0,1] neg_hi:[0,1]
	v_pk_add_f32 v[84:85], v[84:85], v[114:115] neg_lo:[0,1] neg_hi:[0,1]
	s_wait_dscnt 0x0
	v_pk_mul_f32 v[114:115], v[110:111], v[102:103] op_sel:[0,1]
	s_delay_alu instid0(VALU_DEP_1) | instskip(SKIP_1) | instid1(VALU_DEP_1)
	v_pk_fma_f32 v[116:117], v[110:111], v[100:101], v[114:115] op_sel:[0,0,1] op_sel_hi:[1,1,0] neg_lo:[0,0,1] neg_hi:[0,0,1]
	v_pk_fma_f32 v[110:111], v[110:111], v[100:101], v[114:115] op_sel:[0,0,1] op_sel_hi:[1,0,0]
	v_mov_b32_e32 v117, v111
	v_pk_mul_f32 v[110:111], v[112:113], v[102:103] op_sel:[0,1]
	s_delay_alu instid0(VALU_DEP_1) | instskip(SKIP_1) | instid1(VALU_DEP_1)
	v_pk_fma_f32 v[114:115], v[112:113], v[100:101], v[110:111] op_sel:[0,0,1] op_sel_hi:[1,1,0] neg_lo:[0,0,1] neg_hi:[0,0,1]
	v_pk_fma_f32 v[110:111], v[112:113], v[100:101], v[110:111] op_sel:[0,0,1] op_sel_hi:[1,0,0]
	v_mov_b32_e32 v115, v111
	ds_load_2addr_b64 v[110:113], v104 offset0:19 offset1:20
	v_pk_add_f32 v[82:83], v[82:83], v[116:117] neg_lo:[0,1] neg_hi:[0,1]
	v_pk_add_f32 v[44:45], v[44:45], v[114:115] neg_lo:[0,1] neg_hi:[0,1]
	s_wait_dscnt 0x0
	v_dual_mul_f32 v114, v111, v103 :: v_dual_mul_f32 v116, v111, v100
	s_delay_alu instid0(VALU_DEP_1) | instskip(NEXT) | instid1(VALU_DEP_2)
	v_pk_fma_f32 v[114:115], v[110:111], v[96:97], v[114:115] op_sel_hi:[1,1,0] neg_lo:[0,0,1] neg_hi:[0,0,1]
	v_pk_fma_f32 v[110:111], v[110:111], v[96:97], v[116:117] op_sel:[1,0,0] op_sel_hi:[0,1,0]
	s_delay_alu instid0(VALU_DEP_1) | instskip(SKIP_1) | instid1(VALU_DEP_2)
	v_mov_b32_e32 v115, v111
	v_pk_mul_f32 v[110:111], v[112:113], v[102:103] op_sel:[0,1]
	v_pk_add_f32 v[42:43], v[42:43], v[114:115] neg_lo:[0,1] neg_hi:[0,1]
	s_delay_alu instid0(VALU_DEP_2) | instskip(SKIP_1) | instid1(VALU_DEP_1)
	v_pk_fma_f32 v[114:115], v[112:113], v[100:101], v[110:111] op_sel:[0,0,1] op_sel_hi:[1,1,0] neg_lo:[0,0,1] neg_hi:[0,0,1]
	v_pk_fma_f32 v[110:111], v[112:113], v[100:101], v[110:111] op_sel:[0,0,1] op_sel_hi:[1,0,0]
	v_mov_b32_e32 v115, v111
	ds_load_2addr_b64 v[110:113], v104 offset0:21 offset1:22
	v_pk_add_f32 v[80:81], v[80:81], v[114:115] neg_lo:[0,1] neg_hi:[0,1]
	s_wait_dscnt 0x0
	v_pk_mul_f32 v[114:115], v[110:111], v[102:103] op_sel:[0,1]
	s_delay_alu instid0(VALU_DEP_1) | instskip(SKIP_1) | instid1(VALU_DEP_1)
	v_pk_fma_f32 v[116:117], v[110:111], v[100:101], v[114:115] op_sel:[0,0,1] op_sel_hi:[1,1,0] neg_lo:[0,0,1] neg_hi:[0,0,1]
	v_pk_fma_f32 v[110:111], v[110:111], v[100:101], v[114:115] op_sel:[0,0,1] op_sel_hi:[1,0,0]
	v_mov_b32_e32 v117, v111
	v_pk_mul_f32 v[110:111], v[112:113], v[102:103] op_sel:[0,1]
	s_delay_alu instid0(VALU_DEP_2) | instskip(NEXT) | instid1(VALU_DEP_2)
	v_pk_add_f32 v[78:79], v[78:79], v[116:117] neg_lo:[0,1] neg_hi:[0,1]
	v_pk_fma_f32 v[114:115], v[112:113], v[100:101], v[110:111] op_sel:[0,0,1] op_sel_hi:[1,1,0] neg_lo:[0,0,1] neg_hi:[0,0,1]
	v_pk_fma_f32 v[110:111], v[112:113], v[100:101], v[110:111] op_sel:[0,0,1] op_sel_hi:[1,0,0]
	s_delay_alu instid0(VALU_DEP_1) | instskip(SKIP_4) | instid1(VALU_DEP_1)
	v_mov_b32_e32 v115, v111
	ds_load_2addr_b64 v[110:113], v104 offset0:23 offset1:24
	v_pk_add_f32 v[38:39], v[38:39], v[114:115] neg_lo:[0,1] neg_hi:[0,1]
	s_wait_dscnt 0x0
	v_pk_mul_f32 v[114:115], v[110:111], v[102:103] op_sel:[0,1]
	v_pk_fma_f32 v[116:117], v[110:111], v[100:101], v[114:115] op_sel:[0,0,1] op_sel_hi:[1,1,0] neg_lo:[0,0,1] neg_hi:[0,0,1]
	v_pk_fma_f32 v[110:111], v[110:111], v[100:101], v[114:115] op_sel:[0,0,1] op_sel_hi:[1,0,0]
	v_dual_mul_f32 v114, v113, v103 :: v_dual_mov_b32 v110, v113
	s_delay_alu instid0(VALU_DEP_2) | instskip(NEXT) | instid1(VALU_DEP_2)
	v_dual_mov_b32 v117, v111 :: v_dual_mov_b32 v111, v112
	v_pk_fma_f32 v[114:115], v[112:113], v[96:97], v[114:115] op_sel_hi:[1,1,0] neg_lo:[0,0,1] neg_hi:[0,0,1]
	v_mul_f32_e32 v112, v113, v100
	s_delay_alu instid0(VALU_DEP_3) | instskip(NEXT) | instid1(VALU_DEP_2)
	v_pk_add_f32 v[36:37], v[36:37], v[116:117] neg_lo:[0,1] neg_hi:[0,1]
	v_pk_fma_f32 v[110:111], v[110:111], v[96:97], v[112:113] op_sel_hi:[1,1,0]
	s_delay_alu instid0(VALU_DEP_1) | instskip(SKIP_4) | instid1(VALU_DEP_1)
	v_mov_b32_e32 v115, v111
	ds_load_2addr_b64 v[110:113], v104 offset0:25 offset1:26
	v_pk_add_f32 v[70:71], v[70:71], v[114:115] neg_lo:[0,1] neg_hi:[0,1]
	s_wait_dscnt 0x0
	v_pk_mul_f32 v[114:115], v[110:111], v[102:103] op_sel:[0,1]
	v_pk_fma_f32 v[116:117], v[110:111], v[100:101], v[114:115] op_sel:[0,0,1] op_sel_hi:[1,1,0] neg_lo:[0,0,1] neg_hi:[0,0,1]
	v_pk_fma_f32 v[110:111], v[110:111], v[100:101], v[114:115] op_sel:[0,0,1] op_sel_hi:[1,0,0]
	s_delay_alu instid0(VALU_DEP_1) | instskip(SKIP_1) | instid1(VALU_DEP_1)
	v_mov_b32_e32 v117, v111
	v_pk_mul_f32 v[110:111], v[112:113], v[102:103] op_sel:[0,1]
	v_pk_fma_f32 v[114:115], v[112:113], v[100:101], v[110:111] op_sel:[0,0,1] op_sel_hi:[1,1,0] neg_lo:[0,0,1] neg_hi:[0,0,1]
	v_pk_fma_f32 v[110:111], v[112:113], v[100:101], v[110:111] op_sel:[0,0,1] op_sel_hi:[1,0,0]
	s_delay_alu instid0(VALU_DEP_1)
	v_mov_b32_e32 v115, v111
	ds_load_2addr_b64 v[110:113], v104 offset0:27 offset1:28
	v_pk_add_f32 v[66:67], v[66:67], v[116:117] neg_lo:[0,1] neg_hi:[0,1]
	v_pk_add_f32 v[26:27], v[26:27], v[114:115] neg_lo:[0,1] neg_hi:[0,1]
	s_wait_dscnt 0x0
	v_pk_mul_f32 v[114:115], v[110:111], v[102:103] op_sel:[0,1]
	s_delay_alu instid0(VALU_DEP_1) | instskip(SKIP_1) | instid1(VALU_DEP_1)
	v_pk_fma_f32 v[116:117], v[110:111], v[100:101], v[114:115] op_sel:[0,0,1] op_sel_hi:[1,1,0] neg_lo:[0,0,1] neg_hi:[0,0,1]
	v_pk_fma_f32 v[110:111], v[110:111], v[100:101], v[114:115] op_sel:[0,0,1] op_sel_hi:[1,0,0]
	v_mov_b32_e32 v117, v111
	v_pk_mul_f32 v[110:111], v[112:113], v[102:103] op_sel:[0,1]
	s_delay_alu instid0(VALU_DEP_1) | instskip(SKIP_1) | instid1(VALU_DEP_1)
	v_pk_fma_f32 v[114:115], v[112:113], v[100:101], v[110:111] op_sel:[0,0,1] op_sel_hi:[1,1,0] neg_lo:[0,0,1] neg_hi:[0,0,1]
	v_pk_fma_f32 v[110:111], v[112:113], v[100:101], v[110:111] op_sel:[0,0,1] op_sel_hi:[1,0,0]
	v_mov_b32_e32 v115, v111
	ds_load_2addr_b64 v[110:113], v104 offset0:29 offset1:30
	v_pk_add_f32 v[22:23], v[22:23], v[116:117] neg_lo:[0,1] neg_hi:[0,1]
	v_pk_add_f32 v[64:65], v[64:65], v[114:115] neg_lo:[0,1] neg_hi:[0,1]
	s_wait_dscnt 0x0
	v_dual_mul_f32 v114, v111, v103 :: v_dual_mul_f32 v116, v111, v100
	s_delay_alu instid0(VALU_DEP_1) | instskip(NEXT) | instid1(VALU_DEP_2)
	v_pk_fma_f32 v[114:115], v[110:111], v[96:97], v[114:115] op_sel_hi:[1,1,0] neg_lo:[0,0,1] neg_hi:[0,0,1]
	v_pk_fma_f32 v[110:111], v[110:111], v[96:97], v[116:117] op_sel:[1,0,0] op_sel_hi:[0,1,0]
	s_delay_alu instid0(VALU_DEP_1) | instskip(SKIP_1) | instid1(VALU_DEP_2)
	v_mov_b32_e32 v115, v111
	v_pk_mul_f32 v[110:111], v[112:113], v[102:103] op_sel:[0,1]
	v_pk_add_f32 v[62:63], v[62:63], v[114:115] neg_lo:[0,1] neg_hi:[0,1]
	s_delay_alu instid0(VALU_DEP_2) | instskip(SKIP_1) | instid1(VALU_DEP_1)
	v_pk_fma_f32 v[114:115], v[112:113], v[100:101], v[110:111] op_sel:[0,0,1] op_sel_hi:[1,1,0] neg_lo:[0,0,1] neg_hi:[0,0,1]
	v_pk_fma_f32 v[110:111], v[112:113], v[100:101], v[110:111] op_sel:[0,0,1] op_sel_hi:[1,0,0]
	v_mov_b32_e32 v115, v111
	ds_load_2addr_b64 v[110:113], v104 offset0:31 offset1:32
	v_pk_add_f32 v[20:21], v[20:21], v[114:115] neg_lo:[0,1] neg_hi:[0,1]
	s_wait_dscnt 0x0
	v_pk_mul_f32 v[114:115], v[110:111], v[102:103] op_sel:[0,1]
	s_delay_alu instid0(VALU_DEP_1) | instskip(SKIP_1) | instid1(VALU_DEP_1)
	v_pk_fma_f32 v[116:117], v[110:111], v[100:101], v[114:115] op_sel:[0,0,1] op_sel_hi:[1,1,0] neg_lo:[0,0,1] neg_hi:[0,0,1]
	v_pk_fma_f32 v[110:111], v[110:111], v[100:101], v[114:115] op_sel:[0,0,1] op_sel_hi:[1,0,0]
	v_mov_b32_e32 v117, v111
	v_pk_mul_f32 v[110:111], v[112:113], v[102:103] op_sel:[0,1]
	s_delay_alu instid0(VALU_DEP_2) | instskip(NEXT) | instid1(VALU_DEP_2)
	v_pk_add_f32 v[18:19], v[18:19], v[116:117] neg_lo:[0,1] neg_hi:[0,1]
	v_pk_fma_f32 v[114:115], v[112:113], v[100:101], v[110:111] op_sel:[0,0,1] op_sel_hi:[1,1,0] neg_lo:[0,0,1] neg_hi:[0,0,1]
	v_pk_fma_f32 v[110:111], v[112:113], v[100:101], v[110:111] op_sel:[0,0,1] op_sel_hi:[1,0,0]
	s_delay_alu instid0(VALU_DEP_1) | instskip(SKIP_4) | instid1(VALU_DEP_1)
	v_mov_b32_e32 v115, v111
	ds_load_2addr_b64 v[110:113], v104 offset0:33 offset1:34
	v_pk_add_f32 v[60:61], v[60:61], v[114:115] neg_lo:[0,1] neg_hi:[0,1]
	s_wait_dscnt 0x0
	v_pk_mul_f32 v[114:115], v[110:111], v[102:103] op_sel:[0,1]
	v_pk_fma_f32 v[116:117], v[110:111], v[100:101], v[114:115] op_sel:[0,0,1] op_sel_hi:[1,1,0] neg_lo:[0,0,1] neg_hi:[0,0,1]
	v_pk_fma_f32 v[110:111], v[110:111], v[100:101], v[114:115] op_sel:[0,0,1] op_sel_hi:[1,0,0]
	v_dual_mul_f32 v114, v113, v103 :: v_dual_mov_b32 v110, v113
	s_delay_alu instid0(VALU_DEP_2) | instskip(NEXT) | instid1(VALU_DEP_2)
	v_dual_mov_b32 v117, v111 :: v_dual_mov_b32 v111, v112
	v_pk_fma_f32 v[114:115], v[112:113], v[96:97], v[114:115] op_sel_hi:[1,1,0] neg_lo:[0,0,1] neg_hi:[0,0,1]
	v_mul_f32_e32 v112, v113, v100
	s_delay_alu instid0(VALU_DEP_3) | instskip(NEXT) | instid1(VALU_DEP_2)
	v_pk_add_f32 v[58:59], v[58:59], v[116:117] neg_lo:[0,1] neg_hi:[0,1]
	v_pk_fma_f32 v[110:111], v[110:111], v[96:97], v[112:113] op_sel_hi:[1,1,0]
	s_delay_alu instid0(VALU_DEP_1) | instskip(SKIP_4) | instid1(VALU_DEP_1)
	v_mov_b32_e32 v115, v111
	ds_load_2addr_b64 v[110:113], v104 offset0:35 offset1:36
	v_pk_add_f32 v[16:17], v[16:17], v[114:115] neg_lo:[0,1] neg_hi:[0,1]
	s_wait_dscnt 0x0
	v_pk_mul_f32 v[114:115], v[110:111], v[102:103] op_sel:[0,1]
	v_pk_fma_f32 v[116:117], v[110:111], v[100:101], v[114:115] op_sel:[0,0,1] op_sel_hi:[1,1,0] neg_lo:[0,0,1] neg_hi:[0,0,1]
	v_pk_fma_f32 v[110:111], v[110:111], v[100:101], v[114:115] op_sel:[0,0,1] op_sel_hi:[1,0,0]
	s_delay_alu instid0(VALU_DEP_1) | instskip(SKIP_1) | instid1(VALU_DEP_1)
	v_mov_b32_e32 v117, v111
	v_pk_mul_f32 v[110:111], v[112:113], v[102:103] op_sel:[0,1]
	v_pk_fma_f32 v[114:115], v[112:113], v[100:101], v[110:111] op_sel:[0,0,1] op_sel_hi:[1,1,0] neg_lo:[0,0,1] neg_hi:[0,0,1]
	v_pk_fma_f32 v[110:111], v[112:113], v[100:101], v[110:111] op_sel:[0,0,1] op_sel_hi:[1,0,0]
	s_delay_alu instid0(VALU_DEP_1)
	v_mov_b32_e32 v115, v111
	ds_load_2addr_b64 v[110:113], v104 offset0:37 offset1:38
	v_pk_add_f32 v[14:15], v[14:15], v[116:117] neg_lo:[0,1] neg_hi:[0,1]
	v_pk_add_f32 v[56:57], v[56:57], v[114:115] neg_lo:[0,1] neg_hi:[0,1]
	s_wait_dscnt 0x0
	v_pk_mul_f32 v[114:115], v[110:111], v[102:103] op_sel:[0,1]
	s_delay_alu instid0(VALU_DEP_1) | instskip(SKIP_1) | instid1(VALU_DEP_1)
	v_pk_fma_f32 v[116:117], v[110:111], v[100:101], v[114:115] op_sel:[0,0,1] op_sel_hi:[1,1,0] neg_lo:[0,0,1] neg_hi:[0,0,1]
	v_pk_fma_f32 v[110:111], v[110:111], v[100:101], v[114:115] op_sel:[0,0,1] op_sel_hi:[1,0,0]
	v_mov_b32_e32 v117, v111
	v_pk_mul_f32 v[110:111], v[112:113], v[102:103] op_sel:[0,1]
	s_delay_alu instid0(VALU_DEP_1) | instskip(SKIP_1) | instid1(VALU_DEP_1)
	v_pk_fma_f32 v[114:115], v[112:113], v[100:101], v[110:111] op_sel:[0,0,1] op_sel_hi:[1,1,0] neg_lo:[0,0,1] neg_hi:[0,0,1]
	v_pk_fma_f32 v[110:111], v[112:113], v[100:101], v[110:111] op_sel:[0,0,1] op_sel_hi:[1,0,0]
	v_mov_b32_e32 v115, v111
	ds_load_2addr_b64 v[110:113], v104 offset0:39 offset1:40
	v_pk_add_f32 v[54:55], v[54:55], v[116:117] neg_lo:[0,1] neg_hi:[0,1]
	v_pk_add_f32 v[10:11], v[10:11], v[114:115] neg_lo:[0,1] neg_hi:[0,1]
	s_wait_dscnt 0x0
	v_dual_mul_f32 v114, v111, v103 :: v_dual_mul_f32 v116, v111, v100
	s_delay_alu instid0(VALU_DEP_1) | instskip(NEXT) | instid1(VALU_DEP_2)
	v_pk_fma_f32 v[114:115], v[110:111], v[96:97], v[114:115] op_sel_hi:[1,1,0] neg_lo:[0,0,1] neg_hi:[0,0,1]
	v_pk_fma_f32 v[110:111], v[110:111], v[96:97], v[116:117] op_sel:[1,0,0] op_sel_hi:[0,1,0]
	s_delay_alu instid0(VALU_DEP_1) | instskip(SKIP_1) | instid1(VALU_DEP_2)
	v_mov_b32_e32 v115, v111
	v_pk_mul_f32 v[110:111], v[112:113], v[102:103] op_sel:[0,1]
	v_pk_add_f32 v[6:7], v[6:7], v[114:115] neg_lo:[0,1] neg_hi:[0,1]
	s_delay_alu instid0(VALU_DEP_2) | instskip(SKIP_1) | instid1(VALU_DEP_1)
	v_pk_fma_f32 v[114:115], v[112:113], v[100:101], v[110:111] op_sel:[0,0,1] op_sel_hi:[1,1,0] neg_lo:[0,0,1] neg_hi:[0,0,1]
	v_pk_fma_f32 v[110:111], v[112:113], v[100:101], v[110:111] op_sel:[0,0,1] op_sel_hi:[1,0,0]
	v_mov_b32_e32 v115, v111
	ds_load_2addr_b64 v[110:113], v104 offset0:41 offset1:42
	v_pk_add_f32 v[52:53], v[52:53], v[114:115] neg_lo:[0,1] neg_hi:[0,1]
	s_wait_dscnt 0x0
	v_pk_mul_f32 v[114:115], v[110:111], v[102:103] op_sel:[0,1]
	s_delay_alu instid0(VALU_DEP_1) | instskip(SKIP_1) | instid1(VALU_DEP_1)
	v_pk_fma_f32 v[116:117], v[110:111], v[100:101], v[114:115] op_sel:[0,0,1] op_sel_hi:[1,1,0] neg_lo:[0,0,1] neg_hi:[0,0,1]
	v_pk_fma_f32 v[110:111], v[110:111], v[100:101], v[114:115] op_sel:[0,0,1] op_sel_hi:[1,0,0]
	v_mov_b32_e32 v117, v111
	v_pk_mul_f32 v[110:111], v[112:113], v[102:103] op_sel:[0,1]
	s_delay_alu instid0(VALU_DEP_2) | instskip(NEXT) | instid1(VALU_DEP_2)
	v_pk_add_f32 v[50:51], v[50:51], v[116:117] neg_lo:[0,1] neg_hi:[0,1]
	v_pk_fma_f32 v[114:115], v[112:113], v[100:101], v[110:111] op_sel:[0,0,1] op_sel_hi:[1,1,0] neg_lo:[0,0,1] neg_hi:[0,0,1]
	v_pk_fma_f32 v[110:111], v[112:113], v[100:101], v[110:111] op_sel:[0,0,1] op_sel_hi:[1,0,0]
	s_delay_alu instid0(VALU_DEP_1) | instskip(SKIP_4) | instid1(VALU_DEP_1)
	v_mov_b32_e32 v115, v111
	ds_load_2addr_b64 v[110:113], v104 offset0:43 offset1:44
	v_pk_add_f32 v[8:9], v[8:9], v[114:115] neg_lo:[0,1] neg_hi:[0,1]
	s_wait_dscnt 0x0
	v_pk_mul_f32 v[114:115], v[110:111], v[102:103] op_sel:[0,1]
	v_pk_fma_f32 v[116:117], v[110:111], v[100:101], v[114:115] op_sel:[0,0,1] op_sel_hi:[1,1,0] neg_lo:[0,0,1] neg_hi:[0,0,1]
	v_pk_fma_f32 v[110:111], v[110:111], v[100:101], v[114:115] op_sel:[0,0,1] op_sel_hi:[1,0,0]
	v_dual_mul_f32 v114, v113, v103 :: v_dual_mov_b32 v110, v113
	s_delay_alu instid0(VALU_DEP_2) | instskip(NEXT) | instid1(VALU_DEP_2)
	v_dual_mov_b32 v117, v111 :: v_dual_mov_b32 v111, v112
	v_pk_fma_f32 v[114:115], v[112:113], v[96:97], v[114:115] op_sel_hi:[1,1,0] neg_lo:[0,0,1] neg_hi:[0,0,1]
	v_mul_f32_e32 v112, v113, v100
	s_delay_alu instid0(VALU_DEP_3) | instskip(NEXT) | instid1(VALU_DEP_2)
	v_pk_add_f32 v[40:41], v[40:41], v[116:117] neg_lo:[0,1] neg_hi:[0,1]
	v_pk_fma_f32 v[110:111], v[110:111], v[96:97], v[112:113] op_sel_hi:[1,1,0]
	s_delay_alu instid0(VALU_DEP_1)
	v_mov_b32_e32 v115, v111
	ds_load_2addr_b64 v[110:113], v104 offset0:45 offset1:46
	v_pk_add_f32 v[30:31], v[30:31], v[114:115] neg_lo:[0,1] neg_hi:[0,1]
	s_wait_dscnt 0x0
	v_pk_mul_f32 v[114:115], v[110:111], v[102:103] op_sel:[0,1]
	v_pk_mul_f32 v[102:103], v[112:113], v[102:103] op_sel:[0,1]
	s_delay_alu instid0(VALU_DEP_2) | instskip(SKIP_1) | instid1(VALU_DEP_1)
	v_pk_fma_f32 v[116:117], v[110:111], v[100:101], v[114:115] op_sel:[0,0,1] op_sel_hi:[1,1,0] neg_lo:[0,0,1] neg_hi:[0,0,1]
	v_pk_fma_f32 v[110:111], v[110:111], v[100:101], v[114:115] op_sel:[0,0,1] op_sel_hi:[1,0,0]
	v_mov_b32_e32 v117, v111
	s_delay_alu instid0(VALU_DEP_4) | instskip(SKIP_1) | instid1(VALU_DEP_1)
	v_pk_fma_f32 v[110:111], v[112:113], v[100:101], v[102:103] op_sel:[0,0,1] op_sel_hi:[1,1,0] neg_lo:[0,0,1] neg_hi:[0,0,1]
	v_pk_fma_f32 v[100:101], v[112:113], v[100:101], v[102:103] op_sel:[0,0,1] op_sel_hi:[1,0,0]
	v_mov_b32_e32 v111, v101
	s_delay_alu instid0(VALU_DEP_4) | instskip(NEXT) | instid1(VALU_DEP_2)
	v_pk_add_f32 v[12:13], v[12:13], v[116:117] neg_lo:[0,1] neg_hi:[0,1]
	v_pk_add_f32 v[98:99], v[98:99], v[110:111] neg_lo:[0,1] neg_hi:[0,1]
.LBB92_22:
	s_or_b32 exec_lo, exec_lo, s0
	v_lshl_add_u32 v100, v108, 3, v104
	s_barrier_signal -1
	s_barrier_wait -1
	ds_store_b64 v100, v[94:95]
	s_wait_dscnt 0x0
	s_barrier_signal -1
	s_barrier_wait -1
	ds_load_b64 v[102:103], v104 offset:8
	v_mov_b32_e32 v100, 1
	s_cmp_lt_i32 s18, 3
	s_cbranch_scc1 .LBB92_25
; %bb.23:
	v_add3_u32 v101, v105, 0, 16
	v_mov_b32_e32 v100, 1
	s_mov_b32 s0, 2
.LBB92_24:                              ; =>This Inner Loop Header: Depth=1
	ds_load_b64 v[110:111], v101
	s_wait_dscnt 0x1
	v_cmp_gt_f32_e32 vcc_lo, 0, v102
	v_cndmask_b32_e64 v112, v102, -v102, vcc_lo
	v_cmp_gt_f32_e32 vcc_lo, 0, v103
	v_cndmask_b32_e64 v114, v103, -v103, vcc_lo
	s_wait_dscnt 0x0
	v_cmp_gt_f32_e32 vcc_lo, 0, v110
	v_cndmask_b32_e64 v113, v110, -v110, vcc_lo
	v_cmp_gt_f32_e32 vcc_lo, 0, v111
	v_cndmask_b32_e64 v115, v111, -v111, vcc_lo
	s_delay_alu instid0(VALU_DEP_1) | instskip(NEXT) | instid1(VALU_DEP_1)
	v_pk_add_f32 v[112:113], v[112:113], v[114:115]
	v_cmp_lt_f32_e32 vcc_lo, v112, v113
	v_dual_add_nc_u32 v101, 8, v101 :: v_dual_cndmask_b32 v103, v103, v111, vcc_lo
	v_cndmask_b32_e32 v102, v102, v110, vcc_lo
	v_cndmask_b32_e64 v100, v100, s0, vcc_lo
	s_add_co_i32 s0, s0, 1
	s_delay_alu instid0(SALU_CYCLE_1)
	s_cmp_lg_u32 s18, s0
	s_cbranch_scc1 .LBB92_24
.LBB92_25:
	s_wait_dscnt 0x0
	v_cmp_neq_f32_e32 vcc_lo, 0, v102
	v_cmp_neq_f32_e64 s0, 0, v103
	s_or_b32 s1, vcc_lo, s0
	s_delay_alu instid0(SALU_CYCLE_1)
	s_and_saveexec_b32 s0, s1
	s_cbranch_execz .LBB92_31
; %bb.26:
	v_cmp_ngt_f32_e64 s1, |v102|, |v103|
	s_and_saveexec_b32 s12, s1
	s_delay_alu instid0(SALU_CYCLE_1)
	s_xor_b32 s1, exec_lo, s12
	s_cbranch_execz .LBB92_28
; %bb.27:
	v_div_scale_f32 v101, null, v103, v103, v102
	v_div_scale_f32 v111, vcc_lo, v102, v103, v102
	s_delay_alu instid0(VALU_DEP_2) | instskip(SKIP_1) | instid1(TRANS32_DEP_1)
	v_rcp_f32_e32 v106, v101
	v_nop
	v_fma_f32 v110, -v101, v106, 1.0
	s_delay_alu instid0(VALU_DEP_1) | instskip(NEXT) | instid1(VALU_DEP_1)
	v_fmac_f32_e32 v106, v110, v106
	v_mul_f32_e32 v110, v111, v106
	s_delay_alu instid0(VALU_DEP_1) | instskip(NEXT) | instid1(VALU_DEP_1)
	v_fma_f32 v112, -v101, v110, v111
	v_fmac_f32_e32 v110, v112, v106
	s_delay_alu instid0(VALU_DEP_1) | instskip(NEXT) | instid1(VALU_DEP_1)
	v_fma_f32 v101, -v101, v110, v111
	v_div_fmas_f32 v101, v101, v106, v110
	s_delay_alu instid0(VALU_DEP_1) | instskip(NEXT) | instid1(VALU_DEP_1)
	v_div_fixup_f32 v101, v101, v103, v102
	v_fmac_f32_e32 v103, v102, v101
	s_delay_alu instid0(VALU_DEP_1) | instskip(SKIP_1) | instid1(VALU_DEP_2)
	v_div_scale_f32 v102, null, v103, v103, 1.0
	v_div_scale_f32 v111, vcc_lo, 1.0, v103, 1.0
	v_rcp_f32_e32 v106, v102
	v_nop
	s_delay_alu instid0(TRANS32_DEP_1) | instskip(NEXT) | instid1(VALU_DEP_1)
	v_fma_f32 v110, -v102, v106, 1.0
	v_fmac_f32_e32 v106, v110, v106
	s_delay_alu instid0(VALU_DEP_1) | instskip(NEXT) | instid1(VALU_DEP_1)
	v_mul_f32_e32 v110, v111, v106
	v_fma_f32 v112, -v102, v110, v111
	s_delay_alu instid0(VALU_DEP_1) | instskip(NEXT) | instid1(VALU_DEP_1)
	v_fmac_f32_e32 v110, v112, v106
	v_fma_f32 v102, -v102, v110, v111
	s_delay_alu instid0(VALU_DEP_1) | instskip(NEXT) | instid1(VALU_DEP_1)
	v_div_fmas_f32 v102, v102, v106, v110
	v_div_fixup_f32 v103, v102, v103, 1.0
	s_delay_alu instid0(VALU_DEP_1)
	v_mul_f32_e32 v102, v101, v103
	v_xor_b32_e32 v103, 0x80000000, v103
.LBB92_28:
	s_and_not1_saveexec_b32 s1, s1
	s_cbranch_execz .LBB92_30
; %bb.29:
	s_delay_alu instid0(VALU_DEP_1) | instskip(SKIP_1) | instid1(VALU_DEP_2)
	v_div_scale_f32 v101, null, v102, v102, v103
	v_div_scale_f32 v111, vcc_lo, v103, v102, v103
	v_rcp_f32_e32 v106, v101
	v_nop
	s_delay_alu instid0(TRANS32_DEP_1) | instskip(NEXT) | instid1(VALU_DEP_1)
	v_fma_f32 v110, -v101, v106, 1.0
	v_fmac_f32_e32 v106, v110, v106
	s_delay_alu instid0(VALU_DEP_1) | instskip(NEXT) | instid1(VALU_DEP_1)
	v_mul_f32_e32 v110, v111, v106
	v_fma_f32 v112, -v101, v110, v111
	s_delay_alu instid0(VALU_DEP_1) | instskip(NEXT) | instid1(VALU_DEP_1)
	v_fmac_f32_e32 v110, v112, v106
	v_fma_f32 v101, -v101, v110, v111
	s_delay_alu instid0(VALU_DEP_1) | instskip(NEXT) | instid1(VALU_DEP_1)
	v_div_fmas_f32 v101, v101, v106, v110
	v_div_fixup_f32 v101, v101, v102, v103
	s_delay_alu instid0(VALU_DEP_1) | instskip(NEXT) | instid1(VALU_DEP_1)
	v_fmac_f32_e32 v102, v103, v101
	v_div_scale_f32 v103, null, v102, v102, 1.0
	s_delay_alu instid0(VALU_DEP_1) | instskip(SKIP_1) | instid1(TRANS32_DEP_1)
	v_rcp_f32_e32 v106, v103
	v_nop
	v_fma_f32 v110, -v103, v106, 1.0
	s_delay_alu instid0(VALU_DEP_1) | instskip(SKIP_1) | instid1(VALU_DEP_1)
	v_fmac_f32_e32 v106, v110, v106
	v_div_scale_f32 v110, vcc_lo, 1.0, v102, 1.0
	v_mul_f32_e32 v111, v110, v106
	s_delay_alu instid0(VALU_DEP_1) | instskip(NEXT) | instid1(VALU_DEP_1)
	v_fma_f32 v112, -v103, v111, v110
	v_fmac_f32_e32 v111, v112, v106
	s_delay_alu instid0(VALU_DEP_1) | instskip(NEXT) | instid1(VALU_DEP_1)
	v_fma_f32 v103, -v103, v111, v110
	v_div_fmas_f32 v103, v103, v106, v111
	s_delay_alu instid0(VALU_DEP_1) | instskip(NEXT) | instid1(VALU_DEP_1)
	v_div_fixup_f32 v102, v103, v102, 1.0
	v_mul_f32_e64 v103, v101, -v102
.LBB92_30:
	s_or_b32 exec_lo, exec_lo, s1
	v_mov_b32_e32 v106, v109
.LBB92_31:
	s_or_b32 exec_lo, exec_lo, s0
	s_delay_alu instid0(SALU_CYCLE_1)
	s_mov_b32 s0, exec_lo
	v_cmpx_ne_u32_e64 v108, v100
	s_xor_b32 s0, exec_lo, s0
	s_cbranch_execz .LBB92_37
; %bb.32:
	s_mov_b32 s1, exec_lo
	v_cmpx_eq_u32_e32 1, v108
	s_cbranch_execz .LBB92_36
; %bb.33:
	v_cmp_ne_u32_e32 vcc_lo, 1, v100
	s_xor_b32 s12, s16, -1
	s_delay_alu instid0(SALU_CYCLE_1) | instskip(NEXT) | instid1(SALU_CYCLE_1)
	s_and_b32 s13, s12, vcc_lo
	s_and_saveexec_b32 s12, s13
	s_cbranch_execz .LBB92_35
; %bb.34:
	v_ashrrev_i32_e32 v101, 31, v100
	s_delay_alu instid0(VALU_DEP_1)
	v_lshl_add_u64 v[108:109], v[100:101], 2, v[4:5]
	s_clause 0x1
	global_load_b32 v101, v[108:109], off
	global_load_b32 v107, v[4:5], off offset:4
	s_wait_loadcnt 0x1
	global_store_b32 v[4:5], v101, off offset:4
	s_wait_loadcnt 0x0
	global_store_b32 v[108:109], v107, off
.LBB92_35:
	s_wait_xcnt 0x0
	s_or_b32 exec_lo, exec_lo, s12
	v_dual_mov_b32 v108, v100 :: v_dual_mov_b32 v107, v100
.LBB92_36:
	s_or_b32 exec_lo, exec_lo, s1
.LBB92_37:
	s_and_not1_saveexec_b32 s0, s0
	s_cbranch_execz .LBB92_39
; %bb.38:
	v_dual_mov_b32 v100, v92 :: v_dual_mov_b32 v101, v93
	v_dual_mov_b32 v108, v90 :: v_dual_mov_b32 v109, v91
	ds_store_2addr_b64 v104, v[100:101], v[108:109] offset0:2 offset1:3
	v_dual_mov_b32 v100, v72 :: v_dual_mov_b32 v101, v73
	v_dual_mov_b32 v108, v68 :: v_dual_mov_b32 v109, v69
	ds_store_2addr_b64 v104, v[100:101], v[108:109] offset0:4 offset1:5
	v_dual_mov_b32 v100, v28 :: v_dual_mov_b32 v101, v29
	v_dual_mov_b32 v108, v24 :: v_dual_mov_b32 v109, v25
	ds_store_2addr_b64 v104, v[100:101], v[108:109] offset0:6 offset1:7
	v_dual_mov_b32 v100, v76 :: v_dual_mov_b32 v101, v77
	v_dual_mov_b32 v108, v74 :: v_dual_mov_b32 v109, v75
	ds_store_2addr_b64 v104, v[100:101], v[108:109] offset0:8 offset1:9
	v_dual_mov_b32 v100, v34 :: v_dual_mov_b32 v101, v35
	v_dual_mov_b32 v108, v32 :: v_dual_mov_b32 v109, v33
	ds_store_2addr_b64 v104, v[100:101], v[108:109] offset0:10 offset1:11
	v_dual_mov_b32 v100, v88 :: v_dual_mov_b32 v101, v89
	v_dual_mov_b32 v108, v86 :: v_dual_mov_b32 v109, v87
	ds_store_2addr_b64 v104, v[100:101], v[108:109] offset0:12 offset1:13
	v_dual_mov_b32 v100, v48 :: v_dual_mov_b32 v101, v49
	v_dual_mov_b32 v108, v46 :: v_dual_mov_b32 v109, v47
	ds_store_2addr_b64 v104, v[100:101], v[108:109] offset0:14 offset1:15
	v_dual_mov_b32 v100, v84 :: v_dual_mov_b32 v101, v85
	v_dual_mov_b32 v108, v82 :: v_dual_mov_b32 v109, v83
	ds_store_2addr_b64 v104, v[100:101], v[108:109] offset0:16 offset1:17
	v_dual_mov_b32 v100, v44 :: v_dual_mov_b32 v101, v45
	v_dual_mov_b32 v108, v42 :: v_dual_mov_b32 v109, v43
	ds_store_2addr_b64 v104, v[100:101], v[108:109] offset0:18 offset1:19
	v_dual_mov_b32 v100, v80 :: v_dual_mov_b32 v101, v81
	v_dual_mov_b32 v108, v78 :: v_dual_mov_b32 v109, v79
	ds_store_2addr_b64 v104, v[100:101], v[108:109] offset0:20 offset1:21
	v_dual_mov_b32 v100, v38 :: v_dual_mov_b32 v101, v39
	v_dual_mov_b32 v108, v36 :: v_dual_mov_b32 v109, v37
	ds_store_2addr_b64 v104, v[100:101], v[108:109] offset0:22 offset1:23
	v_dual_mov_b32 v100, v70 :: v_dual_mov_b32 v101, v71
	v_dual_mov_b32 v108, v66 :: v_dual_mov_b32 v109, v67
	ds_store_2addr_b64 v104, v[100:101], v[108:109] offset0:24 offset1:25
	v_dual_mov_b32 v100, v26 :: v_dual_mov_b32 v101, v27
	v_dual_mov_b32 v108, v22 :: v_dual_mov_b32 v109, v23
	ds_store_2addr_b64 v104, v[100:101], v[108:109] offset0:26 offset1:27
	v_dual_mov_b32 v100, v64 :: v_dual_mov_b32 v101, v65
	v_dual_mov_b32 v108, v62 :: v_dual_mov_b32 v109, v63
	ds_store_2addr_b64 v104, v[100:101], v[108:109] offset0:28 offset1:29
	v_dual_mov_b32 v100, v20 :: v_dual_mov_b32 v101, v21
	v_dual_mov_b32 v108, v18 :: v_dual_mov_b32 v109, v19
	ds_store_2addr_b64 v104, v[100:101], v[108:109] offset0:30 offset1:31
	v_dual_mov_b32 v100, v60 :: v_dual_mov_b32 v101, v61
	v_dual_mov_b32 v108, v58 :: v_dual_mov_b32 v109, v59
	ds_store_2addr_b64 v104, v[100:101], v[108:109] offset0:32 offset1:33
	v_dual_mov_b32 v100, v16 :: v_dual_mov_b32 v101, v17
	v_dual_mov_b32 v108, v14 :: v_dual_mov_b32 v109, v15
	ds_store_2addr_b64 v104, v[100:101], v[108:109] offset0:34 offset1:35
	v_dual_mov_b32 v100, v56 :: v_dual_mov_b32 v101, v57
	v_dual_mov_b32 v108, v54 :: v_dual_mov_b32 v109, v55
	ds_store_2addr_b64 v104, v[100:101], v[108:109] offset0:36 offset1:37
	v_dual_mov_b32 v100, v10 :: v_dual_mov_b32 v101, v11
	v_dual_mov_b32 v108, v6 :: v_dual_mov_b32 v109, v7
	ds_store_2addr_b64 v104, v[100:101], v[108:109] offset0:38 offset1:39
	v_dual_mov_b32 v100, v52 :: v_dual_mov_b32 v101, v53
	v_dual_mov_b32 v108, v50 :: v_dual_mov_b32 v109, v51
	ds_store_2addr_b64 v104, v[100:101], v[108:109] offset0:40 offset1:41
	v_dual_mov_b32 v100, v8 :: v_dual_mov_b32 v101, v9
	v_dual_mov_b32 v108, v40 :: v_dual_mov_b32 v109, v41
	ds_store_2addr_b64 v104, v[100:101], v[108:109] offset0:42 offset1:43
	v_dual_mov_b32 v100, v30 :: v_dual_mov_b32 v101, v31
	v_dual_mov_b32 v108, v12 :: v_dual_mov_b32 v109, v13
	ds_store_2addr_b64 v104, v[100:101], v[108:109] offset0:44 offset1:45
	ds_store_b64 v104, v[98:99] offset:368
	v_mov_b32_e32 v108, 1
.LBB92_39:
	s_or_b32 exec_lo, exec_lo, s0
	s_delay_alu instid0(SALU_CYCLE_1)
	s_mov_b32 s0, exec_lo
	s_wait_storecnt_dscnt 0x0
	s_barrier_signal -1
	s_barrier_wait -1
	v_cmpx_lt_i32_e32 1, v108
	s_cbranch_execz .LBB92_41
; %bb.40:
	v_pk_mul_f32 v[110:111], v[102:103], v[94:95] op_sel:[1,1] op_sel_hi:[0,1]
	s_delay_alu instid0(VALU_DEP_1)
	v_pk_fma_f32 v[100:101], v[102:103], v[94:95], v[110:111] op_sel_hi:[1,0,1] neg_lo:[0,0,1] neg_hi:[0,0,1]
	v_pk_fma_f32 v[102:103], v[102:103], v[94:95], v[110:111] op_sel_hi:[1,0,1]
	ds_load_2addr_b64 v[110:113], v104 offset0:2 offset1:3
	v_dual_mov_b32 v94, v100 :: v_dual_mov_b32 v95, v103
	s_wait_dscnt 0x0
	v_pk_mul_f32 v[114:115], v[110:111], v[102:103] op_sel:[0,1]
	s_delay_alu instid0(VALU_DEP_1) | instskip(SKIP_1) | instid1(VALU_DEP_1)
	v_pk_fma_f32 v[116:117], v[110:111], v[100:101], v[114:115] op_sel:[0,0,1] op_sel_hi:[1,1,0] neg_lo:[0,0,1] neg_hi:[0,0,1]
	v_pk_fma_f32 v[110:111], v[110:111], v[100:101], v[114:115] op_sel:[0,0,1] op_sel_hi:[1,0,0]
	v_mov_b32_e32 v117, v111
	v_pk_mul_f32 v[110:111], v[112:113], v[102:103] op_sel:[0,1]
	s_delay_alu instid0(VALU_DEP_1) | instskip(SKIP_1) | instid1(VALU_DEP_1)
	v_pk_fma_f32 v[114:115], v[112:113], v[100:101], v[110:111] op_sel:[0,0,1] op_sel_hi:[1,1,0] neg_lo:[0,0,1] neg_hi:[0,0,1]
	v_pk_fma_f32 v[110:111], v[112:113], v[100:101], v[110:111] op_sel:[0,0,1] op_sel_hi:[1,0,0]
	v_mov_b32_e32 v115, v111
	ds_load_2addr_b64 v[110:113], v104 offset0:4 offset1:5
	v_pk_add_f32 v[92:93], v[92:93], v[116:117] neg_lo:[0,1] neg_hi:[0,1]
	v_pk_add_f32 v[90:91], v[90:91], v[114:115] neg_lo:[0,1] neg_hi:[0,1]
	s_wait_dscnt 0x0
	v_pk_mul_f32 v[114:115], v[110:111], v[102:103] op_sel:[0,1]
	s_delay_alu instid0(VALU_DEP_1) | instskip(SKIP_2) | instid1(VALU_DEP_2)
	v_pk_fma_f32 v[116:117], v[110:111], v[100:101], v[114:115] op_sel:[0,0,1] op_sel_hi:[1,1,0] neg_lo:[0,0,1] neg_hi:[0,0,1]
	v_pk_fma_f32 v[110:111], v[110:111], v[100:101], v[114:115] op_sel:[0,0,1] op_sel_hi:[1,0,0]
	v_dual_mul_f32 v114, v113, v103 :: v_dual_mov_b32 v110, v113
	v_dual_mov_b32 v117, v111 :: v_dual_mov_b32 v111, v112
	s_delay_alu instid0(VALU_DEP_2) | instskip(SKIP_1) | instid1(VALU_DEP_3)
	v_pk_fma_f32 v[114:115], v[112:113], v[94:95], v[114:115] op_sel_hi:[1,1,0] neg_lo:[0,0,1] neg_hi:[0,0,1]
	v_mul_f32_e32 v112, v113, v100
	v_pk_add_f32 v[72:73], v[72:73], v[116:117] neg_lo:[0,1] neg_hi:[0,1]
	s_delay_alu instid0(VALU_DEP_2) | instskip(NEXT) | instid1(VALU_DEP_1)
	v_pk_fma_f32 v[110:111], v[110:111], v[94:95], v[112:113] op_sel_hi:[1,1,0]
	v_mov_b32_e32 v115, v111
	ds_load_2addr_b64 v[110:113], v104 offset0:6 offset1:7
	v_pk_add_f32 v[68:69], v[68:69], v[114:115] neg_lo:[0,1] neg_hi:[0,1]
	s_wait_dscnt 0x0
	v_pk_mul_f32 v[114:115], v[110:111], v[102:103] op_sel:[0,1]
	s_delay_alu instid0(VALU_DEP_1) | instskip(SKIP_1) | instid1(VALU_DEP_1)
	v_pk_fma_f32 v[116:117], v[110:111], v[100:101], v[114:115] op_sel:[0,0,1] op_sel_hi:[1,1,0] neg_lo:[0,0,1] neg_hi:[0,0,1]
	v_pk_fma_f32 v[110:111], v[110:111], v[100:101], v[114:115] op_sel:[0,0,1] op_sel_hi:[1,0,0]
	v_mov_b32_e32 v117, v111
	v_pk_mul_f32 v[110:111], v[112:113], v[102:103] op_sel:[0,1]
	s_delay_alu instid0(VALU_DEP_1) | instskip(SKIP_1) | instid1(VALU_DEP_1)
	v_pk_fma_f32 v[114:115], v[112:113], v[100:101], v[110:111] op_sel:[0,0,1] op_sel_hi:[1,1,0] neg_lo:[0,0,1] neg_hi:[0,0,1]
	v_pk_fma_f32 v[110:111], v[112:113], v[100:101], v[110:111] op_sel:[0,0,1] op_sel_hi:[1,0,0]
	v_mov_b32_e32 v115, v111
	ds_load_2addr_b64 v[110:113], v104 offset0:8 offset1:9
	v_pk_add_f32 v[28:29], v[28:29], v[116:117] neg_lo:[0,1] neg_hi:[0,1]
	v_pk_add_f32 v[24:25], v[24:25], v[114:115] neg_lo:[0,1] neg_hi:[0,1]
	s_wait_dscnt 0x0
	v_pk_mul_f32 v[114:115], v[110:111], v[102:103] op_sel:[0,1]
	s_delay_alu instid0(VALU_DEP_1) | instskip(SKIP_1) | instid1(VALU_DEP_1)
	v_pk_fma_f32 v[116:117], v[110:111], v[100:101], v[114:115] op_sel:[0,0,1] op_sel_hi:[1,1,0] neg_lo:[0,0,1] neg_hi:[0,0,1]
	v_pk_fma_f32 v[110:111], v[110:111], v[100:101], v[114:115] op_sel:[0,0,1] op_sel_hi:[1,0,0]
	v_mov_b32_e32 v117, v111
	v_pk_mul_f32 v[110:111], v[112:113], v[102:103] op_sel:[0,1]
	s_delay_alu instid0(VALU_DEP_1) | instskip(SKIP_1) | instid1(VALU_DEP_1)
	v_pk_fma_f32 v[114:115], v[112:113], v[100:101], v[110:111] op_sel:[0,0,1] op_sel_hi:[1,1,0] neg_lo:[0,0,1] neg_hi:[0,0,1]
	v_pk_fma_f32 v[110:111], v[112:113], v[100:101], v[110:111] op_sel:[0,0,1] op_sel_hi:[1,0,0]
	v_mov_b32_e32 v115, v111
	ds_load_2addr_b64 v[110:113], v104 offset0:10 offset1:11
	v_pk_add_f32 v[76:77], v[76:77], v[116:117] neg_lo:[0,1] neg_hi:[0,1]
	v_pk_add_f32 v[74:75], v[74:75], v[114:115] neg_lo:[0,1] neg_hi:[0,1]
	s_wait_dscnt 0x0
	v_dual_mul_f32 v114, v111, v103 :: v_dual_mul_f32 v116, v111, v100
	s_delay_alu instid0(VALU_DEP_1) | instskip(NEXT) | instid1(VALU_DEP_2)
	v_pk_fma_f32 v[114:115], v[110:111], v[94:95], v[114:115] op_sel_hi:[1,1,0] neg_lo:[0,0,1] neg_hi:[0,0,1]
	v_pk_fma_f32 v[110:111], v[110:111], v[94:95], v[116:117] op_sel:[1,0,0] op_sel_hi:[0,1,0]
	s_delay_alu instid0(VALU_DEP_1) | instskip(SKIP_1) | instid1(VALU_DEP_2)
	v_mov_b32_e32 v115, v111
	v_pk_mul_f32 v[110:111], v[112:113], v[102:103] op_sel:[0,1]
	v_pk_add_f32 v[34:35], v[34:35], v[114:115] neg_lo:[0,1] neg_hi:[0,1]
	s_delay_alu instid0(VALU_DEP_2) | instskip(SKIP_1) | instid1(VALU_DEP_1)
	v_pk_fma_f32 v[114:115], v[112:113], v[100:101], v[110:111] op_sel:[0,0,1] op_sel_hi:[1,1,0] neg_lo:[0,0,1] neg_hi:[0,0,1]
	v_pk_fma_f32 v[110:111], v[112:113], v[100:101], v[110:111] op_sel:[0,0,1] op_sel_hi:[1,0,0]
	v_mov_b32_e32 v115, v111
	ds_load_2addr_b64 v[110:113], v104 offset0:12 offset1:13
	v_pk_add_f32 v[32:33], v[32:33], v[114:115] neg_lo:[0,1] neg_hi:[0,1]
	s_wait_dscnt 0x0
	v_pk_mul_f32 v[114:115], v[110:111], v[102:103] op_sel:[0,1]
	s_delay_alu instid0(VALU_DEP_1) | instskip(SKIP_1) | instid1(VALU_DEP_1)
	v_pk_fma_f32 v[116:117], v[110:111], v[100:101], v[114:115] op_sel:[0,0,1] op_sel_hi:[1,1,0] neg_lo:[0,0,1] neg_hi:[0,0,1]
	v_pk_fma_f32 v[110:111], v[110:111], v[100:101], v[114:115] op_sel:[0,0,1] op_sel_hi:[1,0,0]
	v_mov_b32_e32 v117, v111
	v_pk_mul_f32 v[110:111], v[112:113], v[102:103] op_sel:[0,1]
	s_delay_alu instid0(VALU_DEP_2) | instskip(NEXT) | instid1(VALU_DEP_2)
	v_pk_add_f32 v[88:89], v[88:89], v[116:117] neg_lo:[0,1] neg_hi:[0,1]
	v_pk_fma_f32 v[114:115], v[112:113], v[100:101], v[110:111] op_sel:[0,0,1] op_sel_hi:[1,1,0] neg_lo:[0,0,1] neg_hi:[0,0,1]
	v_pk_fma_f32 v[110:111], v[112:113], v[100:101], v[110:111] op_sel:[0,0,1] op_sel_hi:[1,0,0]
	s_delay_alu instid0(VALU_DEP_1) | instskip(SKIP_4) | instid1(VALU_DEP_1)
	v_mov_b32_e32 v115, v111
	ds_load_2addr_b64 v[110:113], v104 offset0:14 offset1:15
	v_pk_add_f32 v[86:87], v[86:87], v[114:115] neg_lo:[0,1] neg_hi:[0,1]
	s_wait_dscnt 0x0
	v_pk_mul_f32 v[114:115], v[110:111], v[102:103] op_sel:[0,1]
	v_pk_fma_f32 v[116:117], v[110:111], v[100:101], v[114:115] op_sel:[0,0,1] op_sel_hi:[1,1,0] neg_lo:[0,0,1] neg_hi:[0,0,1]
	v_pk_fma_f32 v[110:111], v[110:111], v[100:101], v[114:115] op_sel:[0,0,1] op_sel_hi:[1,0,0]
	v_dual_mul_f32 v114, v113, v103 :: v_dual_mov_b32 v110, v113
	s_delay_alu instid0(VALU_DEP_2) | instskip(NEXT) | instid1(VALU_DEP_2)
	v_dual_mov_b32 v117, v111 :: v_dual_mov_b32 v111, v112
	v_pk_fma_f32 v[114:115], v[112:113], v[94:95], v[114:115] op_sel_hi:[1,1,0] neg_lo:[0,0,1] neg_hi:[0,0,1]
	v_mul_f32_e32 v112, v113, v100
	s_delay_alu instid0(VALU_DEP_3) | instskip(NEXT) | instid1(VALU_DEP_2)
	v_pk_add_f32 v[48:49], v[48:49], v[116:117] neg_lo:[0,1] neg_hi:[0,1]
	v_pk_fma_f32 v[110:111], v[110:111], v[94:95], v[112:113] op_sel_hi:[1,1,0]
	s_delay_alu instid0(VALU_DEP_1) | instskip(SKIP_4) | instid1(VALU_DEP_1)
	v_mov_b32_e32 v115, v111
	ds_load_2addr_b64 v[110:113], v104 offset0:16 offset1:17
	v_pk_add_f32 v[46:47], v[46:47], v[114:115] neg_lo:[0,1] neg_hi:[0,1]
	s_wait_dscnt 0x0
	v_pk_mul_f32 v[114:115], v[110:111], v[102:103] op_sel:[0,1]
	v_pk_fma_f32 v[116:117], v[110:111], v[100:101], v[114:115] op_sel:[0,0,1] op_sel_hi:[1,1,0] neg_lo:[0,0,1] neg_hi:[0,0,1]
	v_pk_fma_f32 v[110:111], v[110:111], v[100:101], v[114:115] op_sel:[0,0,1] op_sel_hi:[1,0,0]
	s_delay_alu instid0(VALU_DEP_1) | instskip(SKIP_1) | instid1(VALU_DEP_1)
	v_mov_b32_e32 v117, v111
	v_pk_mul_f32 v[110:111], v[112:113], v[102:103] op_sel:[0,1]
	v_pk_fma_f32 v[114:115], v[112:113], v[100:101], v[110:111] op_sel:[0,0,1] op_sel_hi:[1,1,0] neg_lo:[0,0,1] neg_hi:[0,0,1]
	v_pk_fma_f32 v[110:111], v[112:113], v[100:101], v[110:111] op_sel:[0,0,1] op_sel_hi:[1,0,0]
	s_delay_alu instid0(VALU_DEP_1)
	v_mov_b32_e32 v115, v111
	ds_load_2addr_b64 v[110:113], v104 offset0:18 offset1:19
	v_pk_add_f32 v[84:85], v[84:85], v[116:117] neg_lo:[0,1] neg_hi:[0,1]
	v_pk_add_f32 v[82:83], v[82:83], v[114:115] neg_lo:[0,1] neg_hi:[0,1]
	s_wait_dscnt 0x0
	v_pk_mul_f32 v[114:115], v[110:111], v[102:103] op_sel:[0,1]
	s_delay_alu instid0(VALU_DEP_1) | instskip(SKIP_1) | instid1(VALU_DEP_1)
	v_pk_fma_f32 v[116:117], v[110:111], v[100:101], v[114:115] op_sel:[0,0,1] op_sel_hi:[1,1,0] neg_lo:[0,0,1] neg_hi:[0,0,1]
	v_pk_fma_f32 v[110:111], v[110:111], v[100:101], v[114:115] op_sel:[0,0,1] op_sel_hi:[1,0,0]
	v_mov_b32_e32 v117, v111
	v_pk_mul_f32 v[110:111], v[112:113], v[102:103] op_sel:[0,1]
	s_delay_alu instid0(VALU_DEP_1) | instskip(SKIP_1) | instid1(VALU_DEP_1)
	v_pk_fma_f32 v[114:115], v[112:113], v[100:101], v[110:111] op_sel:[0,0,1] op_sel_hi:[1,1,0] neg_lo:[0,0,1] neg_hi:[0,0,1]
	v_pk_fma_f32 v[110:111], v[112:113], v[100:101], v[110:111] op_sel:[0,0,1] op_sel_hi:[1,0,0]
	v_mov_b32_e32 v115, v111
	ds_load_2addr_b64 v[110:113], v104 offset0:20 offset1:21
	v_pk_add_f32 v[44:45], v[44:45], v[116:117] neg_lo:[0,1] neg_hi:[0,1]
	v_pk_add_f32 v[42:43], v[42:43], v[114:115] neg_lo:[0,1] neg_hi:[0,1]
	s_wait_dscnt 0x0
	v_dual_mul_f32 v114, v111, v103 :: v_dual_mul_f32 v116, v111, v100
	s_delay_alu instid0(VALU_DEP_1) | instskip(NEXT) | instid1(VALU_DEP_2)
	v_pk_fma_f32 v[114:115], v[110:111], v[94:95], v[114:115] op_sel_hi:[1,1,0] neg_lo:[0,0,1] neg_hi:[0,0,1]
	v_pk_fma_f32 v[110:111], v[110:111], v[94:95], v[116:117] op_sel:[1,0,0] op_sel_hi:[0,1,0]
	s_delay_alu instid0(VALU_DEP_1) | instskip(SKIP_1) | instid1(VALU_DEP_2)
	v_mov_b32_e32 v115, v111
	v_pk_mul_f32 v[110:111], v[112:113], v[102:103] op_sel:[0,1]
	v_pk_add_f32 v[80:81], v[80:81], v[114:115] neg_lo:[0,1] neg_hi:[0,1]
	s_delay_alu instid0(VALU_DEP_2) | instskip(SKIP_1) | instid1(VALU_DEP_1)
	v_pk_fma_f32 v[114:115], v[112:113], v[100:101], v[110:111] op_sel:[0,0,1] op_sel_hi:[1,1,0] neg_lo:[0,0,1] neg_hi:[0,0,1]
	v_pk_fma_f32 v[110:111], v[112:113], v[100:101], v[110:111] op_sel:[0,0,1] op_sel_hi:[1,0,0]
	v_mov_b32_e32 v115, v111
	ds_load_2addr_b64 v[110:113], v104 offset0:22 offset1:23
	v_pk_add_f32 v[78:79], v[78:79], v[114:115] neg_lo:[0,1] neg_hi:[0,1]
	s_wait_dscnt 0x0
	v_pk_mul_f32 v[114:115], v[110:111], v[102:103] op_sel:[0,1]
	s_delay_alu instid0(VALU_DEP_1) | instskip(SKIP_1) | instid1(VALU_DEP_1)
	v_pk_fma_f32 v[116:117], v[110:111], v[100:101], v[114:115] op_sel:[0,0,1] op_sel_hi:[1,1,0] neg_lo:[0,0,1] neg_hi:[0,0,1]
	v_pk_fma_f32 v[110:111], v[110:111], v[100:101], v[114:115] op_sel:[0,0,1] op_sel_hi:[1,0,0]
	v_mov_b32_e32 v117, v111
	v_pk_mul_f32 v[110:111], v[112:113], v[102:103] op_sel:[0,1]
	s_delay_alu instid0(VALU_DEP_2) | instskip(NEXT) | instid1(VALU_DEP_2)
	v_pk_add_f32 v[38:39], v[38:39], v[116:117] neg_lo:[0,1] neg_hi:[0,1]
	v_pk_fma_f32 v[114:115], v[112:113], v[100:101], v[110:111] op_sel:[0,0,1] op_sel_hi:[1,1,0] neg_lo:[0,0,1] neg_hi:[0,0,1]
	v_pk_fma_f32 v[110:111], v[112:113], v[100:101], v[110:111] op_sel:[0,0,1] op_sel_hi:[1,0,0]
	s_delay_alu instid0(VALU_DEP_1) | instskip(SKIP_4) | instid1(VALU_DEP_1)
	v_mov_b32_e32 v115, v111
	ds_load_2addr_b64 v[110:113], v104 offset0:24 offset1:25
	v_pk_add_f32 v[36:37], v[36:37], v[114:115] neg_lo:[0,1] neg_hi:[0,1]
	s_wait_dscnt 0x0
	v_pk_mul_f32 v[114:115], v[110:111], v[102:103] op_sel:[0,1]
	v_pk_fma_f32 v[116:117], v[110:111], v[100:101], v[114:115] op_sel:[0,0,1] op_sel_hi:[1,1,0] neg_lo:[0,0,1] neg_hi:[0,0,1]
	v_pk_fma_f32 v[110:111], v[110:111], v[100:101], v[114:115] op_sel:[0,0,1] op_sel_hi:[1,0,0]
	v_dual_mul_f32 v114, v113, v103 :: v_dual_mov_b32 v110, v113
	s_delay_alu instid0(VALU_DEP_2) | instskip(NEXT) | instid1(VALU_DEP_2)
	v_dual_mov_b32 v117, v111 :: v_dual_mov_b32 v111, v112
	v_pk_fma_f32 v[114:115], v[112:113], v[94:95], v[114:115] op_sel_hi:[1,1,0] neg_lo:[0,0,1] neg_hi:[0,0,1]
	v_mul_f32_e32 v112, v113, v100
	s_delay_alu instid0(VALU_DEP_3) | instskip(NEXT) | instid1(VALU_DEP_2)
	v_pk_add_f32 v[70:71], v[70:71], v[116:117] neg_lo:[0,1] neg_hi:[0,1]
	v_pk_fma_f32 v[110:111], v[110:111], v[94:95], v[112:113] op_sel_hi:[1,1,0]
	s_delay_alu instid0(VALU_DEP_1) | instskip(SKIP_4) | instid1(VALU_DEP_1)
	v_mov_b32_e32 v115, v111
	ds_load_2addr_b64 v[110:113], v104 offset0:26 offset1:27
	v_pk_add_f32 v[66:67], v[66:67], v[114:115] neg_lo:[0,1] neg_hi:[0,1]
	s_wait_dscnt 0x0
	v_pk_mul_f32 v[114:115], v[110:111], v[102:103] op_sel:[0,1]
	v_pk_fma_f32 v[116:117], v[110:111], v[100:101], v[114:115] op_sel:[0,0,1] op_sel_hi:[1,1,0] neg_lo:[0,0,1] neg_hi:[0,0,1]
	v_pk_fma_f32 v[110:111], v[110:111], v[100:101], v[114:115] op_sel:[0,0,1] op_sel_hi:[1,0,0]
	s_delay_alu instid0(VALU_DEP_1) | instskip(SKIP_1) | instid1(VALU_DEP_1)
	v_mov_b32_e32 v117, v111
	v_pk_mul_f32 v[110:111], v[112:113], v[102:103] op_sel:[0,1]
	v_pk_fma_f32 v[114:115], v[112:113], v[100:101], v[110:111] op_sel:[0,0,1] op_sel_hi:[1,1,0] neg_lo:[0,0,1] neg_hi:[0,0,1]
	v_pk_fma_f32 v[110:111], v[112:113], v[100:101], v[110:111] op_sel:[0,0,1] op_sel_hi:[1,0,0]
	s_delay_alu instid0(VALU_DEP_1)
	v_mov_b32_e32 v115, v111
	ds_load_2addr_b64 v[110:113], v104 offset0:28 offset1:29
	v_pk_add_f32 v[26:27], v[26:27], v[116:117] neg_lo:[0,1] neg_hi:[0,1]
	v_pk_add_f32 v[22:23], v[22:23], v[114:115] neg_lo:[0,1] neg_hi:[0,1]
	s_wait_dscnt 0x0
	v_pk_mul_f32 v[114:115], v[110:111], v[102:103] op_sel:[0,1]
	s_delay_alu instid0(VALU_DEP_1) | instskip(SKIP_1) | instid1(VALU_DEP_1)
	v_pk_fma_f32 v[116:117], v[110:111], v[100:101], v[114:115] op_sel:[0,0,1] op_sel_hi:[1,1,0] neg_lo:[0,0,1] neg_hi:[0,0,1]
	v_pk_fma_f32 v[110:111], v[110:111], v[100:101], v[114:115] op_sel:[0,0,1] op_sel_hi:[1,0,0]
	v_mov_b32_e32 v117, v111
	v_pk_mul_f32 v[110:111], v[112:113], v[102:103] op_sel:[0,1]
	s_delay_alu instid0(VALU_DEP_1) | instskip(SKIP_1) | instid1(VALU_DEP_1)
	v_pk_fma_f32 v[114:115], v[112:113], v[100:101], v[110:111] op_sel:[0,0,1] op_sel_hi:[1,1,0] neg_lo:[0,0,1] neg_hi:[0,0,1]
	v_pk_fma_f32 v[110:111], v[112:113], v[100:101], v[110:111] op_sel:[0,0,1] op_sel_hi:[1,0,0]
	v_mov_b32_e32 v115, v111
	ds_load_2addr_b64 v[110:113], v104 offset0:30 offset1:31
	v_pk_add_f32 v[64:65], v[64:65], v[116:117] neg_lo:[0,1] neg_hi:[0,1]
	v_pk_add_f32 v[62:63], v[62:63], v[114:115] neg_lo:[0,1] neg_hi:[0,1]
	s_wait_dscnt 0x0
	v_dual_mul_f32 v114, v111, v103 :: v_dual_mul_f32 v116, v111, v100
	s_delay_alu instid0(VALU_DEP_1) | instskip(NEXT) | instid1(VALU_DEP_2)
	v_pk_fma_f32 v[114:115], v[110:111], v[94:95], v[114:115] op_sel_hi:[1,1,0] neg_lo:[0,0,1] neg_hi:[0,0,1]
	v_pk_fma_f32 v[110:111], v[110:111], v[94:95], v[116:117] op_sel:[1,0,0] op_sel_hi:[0,1,0]
	s_delay_alu instid0(VALU_DEP_1) | instskip(SKIP_1) | instid1(VALU_DEP_2)
	v_mov_b32_e32 v115, v111
	v_pk_mul_f32 v[110:111], v[112:113], v[102:103] op_sel:[0,1]
	v_pk_add_f32 v[20:21], v[20:21], v[114:115] neg_lo:[0,1] neg_hi:[0,1]
	s_delay_alu instid0(VALU_DEP_2) | instskip(SKIP_1) | instid1(VALU_DEP_1)
	v_pk_fma_f32 v[114:115], v[112:113], v[100:101], v[110:111] op_sel:[0,0,1] op_sel_hi:[1,1,0] neg_lo:[0,0,1] neg_hi:[0,0,1]
	v_pk_fma_f32 v[110:111], v[112:113], v[100:101], v[110:111] op_sel:[0,0,1] op_sel_hi:[1,0,0]
	v_mov_b32_e32 v115, v111
	ds_load_2addr_b64 v[110:113], v104 offset0:32 offset1:33
	v_pk_add_f32 v[18:19], v[18:19], v[114:115] neg_lo:[0,1] neg_hi:[0,1]
	s_wait_dscnt 0x0
	v_pk_mul_f32 v[114:115], v[110:111], v[102:103] op_sel:[0,1]
	s_delay_alu instid0(VALU_DEP_1) | instskip(SKIP_1) | instid1(VALU_DEP_1)
	v_pk_fma_f32 v[116:117], v[110:111], v[100:101], v[114:115] op_sel:[0,0,1] op_sel_hi:[1,1,0] neg_lo:[0,0,1] neg_hi:[0,0,1]
	v_pk_fma_f32 v[110:111], v[110:111], v[100:101], v[114:115] op_sel:[0,0,1] op_sel_hi:[1,0,0]
	v_mov_b32_e32 v117, v111
	v_pk_mul_f32 v[110:111], v[112:113], v[102:103] op_sel:[0,1]
	s_delay_alu instid0(VALU_DEP_2) | instskip(NEXT) | instid1(VALU_DEP_2)
	v_pk_add_f32 v[60:61], v[60:61], v[116:117] neg_lo:[0,1] neg_hi:[0,1]
	v_pk_fma_f32 v[114:115], v[112:113], v[100:101], v[110:111] op_sel:[0,0,1] op_sel_hi:[1,1,0] neg_lo:[0,0,1] neg_hi:[0,0,1]
	v_pk_fma_f32 v[110:111], v[112:113], v[100:101], v[110:111] op_sel:[0,0,1] op_sel_hi:[1,0,0]
	s_delay_alu instid0(VALU_DEP_1) | instskip(SKIP_4) | instid1(VALU_DEP_1)
	v_mov_b32_e32 v115, v111
	ds_load_2addr_b64 v[110:113], v104 offset0:34 offset1:35
	v_pk_add_f32 v[58:59], v[58:59], v[114:115] neg_lo:[0,1] neg_hi:[0,1]
	s_wait_dscnt 0x0
	v_pk_mul_f32 v[114:115], v[110:111], v[102:103] op_sel:[0,1]
	v_pk_fma_f32 v[116:117], v[110:111], v[100:101], v[114:115] op_sel:[0,0,1] op_sel_hi:[1,1,0] neg_lo:[0,0,1] neg_hi:[0,0,1]
	v_pk_fma_f32 v[110:111], v[110:111], v[100:101], v[114:115] op_sel:[0,0,1] op_sel_hi:[1,0,0]
	v_dual_mul_f32 v114, v113, v103 :: v_dual_mov_b32 v110, v113
	s_delay_alu instid0(VALU_DEP_2) | instskip(NEXT) | instid1(VALU_DEP_2)
	v_dual_mov_b32 v117, v111 :: v_dual_mov_b32 v111, v112
	v_pk_fma_f32 v[114:115], v[112:113], v[94:95], v[114:115] op_sel_hi:[1,1,0] neg_lo:[0,0,1] neg_hi:[0,0,1]
	v_mul_f32_e32 v112, v113, v100
	s_delay_alu instid0(VALU_DEP_3) | instskip(NEXT) | instid1(VALU_DEP_2)
	v_pk_add_f32 v[16:17], v[16:17], v[116:117] neg_lo:[0,1] neg_hi:[0,1]
	v_pk_fma_f32 v[110:111], v[110:111], v[94:95], v[112:113] op_sel_hi:[1,1,0]
	s_delay_alu instid0(VALU_DEP_1) | instskip(SKIP_4) | instid1(VALU_DEP_1)
	v_mov_b32_e32 v115, v111
	ds_load_2addr_b64 v[110:113], v104 offset0:36 offset1:37
	v_pk_add_f32 v[14:15], v[14:15], v[114:115] neg_lo:[0,1] neg_hi:[0,1]
	s_wait_dscnt 0x0
	v_pk_mul_f32 v[114:115], v[110:111], v[102:103] op_sel:[0,1]
	v_pk_fma_f32 v[116:117], v[110:111], v[100:101], v[114:115] op_sel:[0,0,1] op_sel_hi:[1,1,0] neg_lo:[0,0,1] neg_hi:[0,0,1]
	v_pk_fma_f32 v[110:111], v[110:111], v[100:101], v[114:115] op_sel:[0,0,1] op_sel_hi:[1,0,0]
	s_delay_alu instid0(VALU_DEP_1) | instskip(SKIP_1) | instid1(VALU_DEP_1)
	v_mov_b32_e32 v117, v111
	v_pk_mul_f32 v[110:111], v[112:113], v[102:103] op_sel:[0,1]
	v_pk_fma_f32 v[114:115], v[112:113], v[100:101], v[110:111] op_sel:[0,0,1] op_sel_hi:[1,1,0] neg_lo:[0,0,1] neg_hi:[0,0,1]
	v_pk_fma_f32 v[110:111], v[112:113], v[100:101], v[110:111] op_sel:[0,0,1] op_sel_hi:[1,0,0]
	s_delay_alu instid0(VALU_DEP_1)
	v_mov_b32_e32 v115, v111
	ds_load_2addr_b64 v[110:113], v104 offset0:38 offset1:39
	v_pk_add_f32 v[56:57], v[56:57], v[116:117] neg_lo:[0,1] neg_hi:[0,1]
	v_pk_add_f32 v[54:55], v[54:55], v[114:115] neg_lo:[0,1] neg_hi:[0,1]
	s_wait_dscnt 0x0
	v_pk_mul_f32 v[114:115], v[110:111], v[102:103] op_sel:[0,1]
	s_delay_alu instid0(VALU_DEP_1) | instskip(SKIP_1) | instid1(VALU_DEP_1)
	v_pk_fma_f32 v[116:117], v[110:111], v[100:101], v[114:115] op_sel:[0,0,1] op_sel_hi:[1,1,0] neg_lo:[0,0,1] neg_hi:[0,0,1]
	v_pk_fma_f32 v[110:111], v[110:111], v[100:101], v[114:115] op_sel:[0,0,1] op_sel_hi:[1,0,0]
	v_mov_b32_e32 v117, v111
	v_pk_mul_f32 v[110:111], v[112:113], v[102:103] op_sel:[0,1]
	s_delay_alu instid0(VALU_DEP_1) | instskip(SKIP_1) | instid1(VALU_DEP_1)
	v_pk_fma_f32 v[114:115], v[112:113], v[100:101], v[110:111] op_sel:[0,0,1] op_sel_hi:[1,1,0] neg_lo:[0,0,1] neg_hi:[0,0,1]
	v_pk_fma_f32 v[110:111], v[112:113], v[100:101], v[110:111] op_sel:[0,0,1] op_sel_hi:[1,0,0]
	v_mov_b32_e32 v115, v111
	ds_load_2addr_b64 v[110:113], v104 offset0:40 offset1:41
	v_pk_add_f32 v[10:11], v[10:11], v[116:117] neg_lo:[0,1] neg_hi:[0,1]
	v_pk_add_f32 v[6:7], v[6:7], v[114:115] neg_lo:[0,1] neg_hi:[0,1]
	s_wait_dscnt 0x0
	v_dual_mul_f32 v114, v111, v103 :: v_dual_mul_f32 v116, v111, v100
	s_delay_alu instid0(VALU_DEP_1) | instskip(NEXT) | instid1(VALU_DEP_2)
	v_pk_fma_f32 v[114:115], v[110:111], v[94:95], v[114:115] op_sel_hi:[1,1,0] neg_lo:[0,0,1] neg_hi:[0,0,1]
	v_pk_fma_f32 v[110:111], v[110:111], v[94:95], v[116:117] op_sel:[1,0,0] op_sel_hi:[0,1,0]
	s_delay_alu instid0(VALU_DEP_1) | instskip(SKIP_1) | instid1(VALU_DEP_2)
	v_mov_b32_e32 v115, v111
	v_pk_mul_f32 v[110:111], v[112:113], v[102:103] op_sel:[0,1]
	v_pk_add_f32 v[52:53], v[52:53], v[114:115] neg_lo:[0,1] neg_hi:[0,1]
	s_delay_alu instid0(VALU_DEP_2) | instskip(SKIP_1) | instid1(VALU_DEP_1)
	v_pk_fma_f32 v[114:115], v[112:113], v[100:101], v[110:111] op_sel:[0,0,1] op_sel_hi:[1,1,0] neg_lo:[0,0,1] neg_hi:[0,0,1]
	v_pk_fma_f32 v[110:111], v[112:113], v[100:101], v[110:111] op_sel:[0,0,1] op_sel_hi:[1,0,0]
	v_mov_b32_e32 v115, v111
	ds_load_2addr_b64 v[110:113], v104 offset0:42 offset1:43
	v_pk_add_f32 v[50:51], v[50:51], v[114:115] neg_lo:[0,1] neg_hi:[0,1]
	s_wait_dscnt 0x0
	v_pk_mul_f32 v[114:115], v[110:111], v[102:103] op_sel:[0,1]
	s_delay_alu instid0(VALU_DEP_1) | instskip(SKIP_1) | instid1(VALU_DEP_1)
	v_pk_fma_f32 v[116:117], v[110:111], v[100:101], v[114:115] op_sel:[0,0,1] op_sel_hi:[1,1,0] neg_lo:[0,0,1] neg_hi:[0,0,1]
	v_pk_fma_f32 v[110:111], v[110:111], v[100:101], v[114:115] op_sel:[0,0,1] op_sel_hi:[1,0,0]
	v_mov_b32_e32 v117, v111
	v_pk_mul_f32 v[110:111], v[112:113], v[102:103] op_sel:[0,1]
	s_delay_alu instid0(VALU_DEP_2) | instskip(NEXT) | instid1(VALU_DEP_2)
	v_pk_add_f32 v[8:9], v[8:9], v[116:117] neg_lo:[0,1] neg_hi:[0,1]
	v_pk_fma_f32 v[114:115], v[112:113], v[100:101], v[110:111] op_sel:[0,0,1] op_sel_hi:[1,1,0] neg_lo:[0,0,1] neg_hi:[0,0,1]
	v_pk_fma_f32 v[110:111], v[112:113], v[100:101], v[110:111] op_sel:[0,0,1] op_sel_hi:[1,0,0]
	s_delay_alu instid0(VALU_DEP_1) | instskip(SKIP_4) | instid1(VALU_DEP_1)
	v_mov_b32_e32 v115, v111
	ds_load_2addr_b64 v[110:113], v104 offset0:44 offset1:45
	v_pk_add_f32 v[40:41], v[40:41], v[114:115] neg_lo:[0,1] neg_hi:[0,1]
	s_wait_dscnt 0x0
	v_pk_mul_f32 v[114:115], v[110:111], v[102:103] op_sel:[0,1]
	v_pk_fma_f32 v[116:117], v[110:111], v[100:101], v[114:115] op_sel:[0,0,1] op_sel_hi:[1,1,0] neg_lo:[0,0,1] neg_hi:[0,0,1]
	v_pk_fma_f32 v[110:111], v[110:111], v[100:101], v[114:115] op_sel:[0,0,1] op_sel_hi:[1,0,0]
	v_dual_mul_f32 v114, v113, v103 :: v_dual_mov_b32 v110, v113
	s_delay_alu instid0(VALU_DEP_2) | instskip(NEXT) | instid1(VALU_DEP_2)
	v_dual_mov_b32 v117, v111 :: v_dual_mov_b32 v111, v112
	v_pk_fma_f32 v[114:115], v[112:113], v[94:95], v[114:115] op_sel_hi:[1,1,0] neg_lo:[0,0,1] neg_hi:[0,0,1]
	v_mul_f32_e32 v112, v113, v100
	s_delay_alu instid0(VALU_DEP_3) | instskip(NEXT) | instid1(VALU_DEP_2)
	v_pk_add_f32 v[30:31], v[30:31], v[116:117] neg_lo:[0,1] neg_hi:[0,1]
	v_pk_fma_f32 v[110:111], v[110:111], v[94:95], v[112:113] op_sel_hi:[1,1,0]
	s_delay_alu instid0(VALU_DEP_1) | instskip(SKIP_4) | instid1(VALU_DEP_1)
	v_mov_b32_e32 v115, v111
	ds_load_b64 v[110:111], v104 offset:368
	v_pk_add_f32 v[12:13], v[12:13], v[114:115] neg_lo:[0,1] neg_hi:[0,1]
	s_wait_dscnt 0x0
	v_pk_mul_f32 v[102:103], v[110:111], v[102:103] op_sel:[0,1]
	v_pk_fma_f32 v[112:113], v[110:111], v[100:101], v[102:103] op_sel:[0,0,1] op_sel_hi:[1,1,0] neg_lo:[0,0,1] neg_hi:[0,0,1]
	v_pk_fma_f32 v[100:101], v[110:111], v[100:101], v[102:103] op_sel:[0,0,1] op_sel_hi:[1,0,0]
	s_delay_alu instid0(VALU_DEP_1) | instskip(NEXT) | instid1(VALU_DEP_1)
	v_mov_b32_e32 v113, v101
	v_pk_add_f32 v[98:99], v[98:99], v[112:113] neg_lo:[0,1] neg_hi:[0,1]
.LBB92_41:
	s_or_b32 exec_lo, exec_lo, s0
	v_lshl_add_u32 v100, v108, 3, v104
	s_barrier_signal -1
	s_barrier_wait -1
	ds_store_b64 v100, v[92:93]
	s_wait_dscnt 0x0
	s_barrier_signal -1
	s_barrier_wait -1
	ds_load_b64 v[102:103], v104 offset:16
	v_mov_b32_e32 v100, 2
	s_cmp_lt_i32 s18, 4
	s_mov_b32 s0, 3
	s_cbranch_scc1 .LBB92_44
; %bb.42:
	v_add3_u32 v101, v105, 0, 24
	v_mov_b32_e32 v100, 2
.LBB92_43:                              ; =>This Inner Loop Header: Depth=1
	ds_load_b64 v[110:111], v101
	s_wait_dscnt 0x1
	v_cmp_gt_f32_e32 vcc_lo, 0, v102
	v_cndmask_b32_e64 v112, v102, -v102, vcc_lo
	v_cmp_gt_f32_e32 vcc_lo, 0, v103
	v_cndmask_b32_e64 v114, v103, -v103, vcc_lo
	s_wait_dscnt 0x0
	v_cmp_gt_f32_e32 vcc_lo, 0, v110
	v_cndmask_b32_e64 v113, v110, -v110, vcc_lo
	v_cmp_gt_f32_e32 vcc_lo, 0, v111
	v_cndmask_b32_e64 v115, v111, -v111, vcc_lo
	s_delay_alu instid0(VALU_DEP_1) | instskip(NEXT) | instid1(VALU_DEP_1)
	v_pk_add_f32 v[112:113], v[112:113], v[114:115]
	v_cmp_lt_f32_e32 vcc_lo, v112, v113
	v_dual_add_nc_u32 v101, 8, v101 :: v_dual_cndmask_b32 v103, v103, v111, vcc_lo
	v_cndmask_b32_e32 v102, v102, v110, vcc_lo
	v_cndmask_b32_e64 v100, v100, s0, vcc_lo
	s_add_co_i32 s0, s0, 1
	s_delay_alu instid0(SALU_CYCLE_1)
	s_cmp_lg_u32 s18, s0
	s_cbranch_scc1 .LBB92_43
.LBB92_44:
	s_wait_dscnt 0x0
	v_cmp_eq_f32_e32 vcc_lo, 0, v102
	v_cmp_eq_f32_e64 s0, 0, v103
	s_and_b32 s0, vcc_lo, s0
	s_delay_alu instid0(SALU_CYCLE_1) | instskip(NEXT) | instid1(SALU_CYCLE_1)
	s_and_saveexec_b32 s1, s0
	s_xor_b32 s0, exec_lo, s1
; %bb.45:
	v_cmp_ne_u32_e32 vcc_lo, 0, v106
	v_cndmask_b32_e32 v106, 3, v106, vcc_lo
; %bb.46:
	s_and_not1_saveexec_b32 s0, s0
	s_cbranch_execz .LBB92_52
; %bb.47:
	v_cmp_ngt_f32_e64 s1, |v102|, |v103|
	s_and_saveexec_b32 s12, s1
	s_delay_alu instid0(SALU_CYCLE_1)
	s_xor_b32 s1, exec_lo, s12
	s_cbranch_execz .LBB92_49
; %bb.48:
	v_div_scale_f32 v101, null, v103, v103, v102
	v_div_scale_f32 v111, vcc_lo, v102, v103, v102
	s_delay_alu instid0(VALU_DEP_2) | instskip(SKIP_1) | instid1(TRANS32_DEP_1)
	v_rcp_f32_e32 v109, v101
	v_nop
	v_fma_f32 v110, -v101, v109, 1.0
	s_delay_alu instid0(VALU_DEP_1) | instskip(NEXT) | instid1(VALU_DEP_1)
	v_fmac_f32_e32 v109, v110, v109
	v_mul_f32_e32 v110, v111, v109
	s_delay_alu instid0(VALU_DEP_1) | instskip(NEXT) | instid1(VALU_DEP_1)
	v_fma_f32 v112, -v101, v110, v111
	v_fmac_f32_e32 v110, v112, v109
	s_delay_alu instid0(VALU_DEP_1) | instskip(NEXT) | instid1(VALU_DEP_1)
	v_fma_f32 v101, -v101, v110, v111
	v_div_fmas_f32 v101, v101, v109, v110
	s_delay_alu instid0(VALU_DEP_1) | instskip(NEXT) | instid1(VALU_DEP_1)
	v_div_fixup_f32 v101, v101, v103, v102
	v_fmac_f32_e32 v103, v102, v101
	s_delay_alu instid0(VALU_DEP_1) | instskip(SKIP_1) | instid1(VALU_DEP_2)
	v_div_scale_f32 v102, null, v103, v103, 1.0
	v_div_scale_f32 v111, vcc_lo, 1.0, v103, 1.0
	v_rcp_f32_e32 v109, v102
	v_nop
	s_delay_alu instid0(TRANS32_DEP_1) | instskip(NEXT) | instid1(VALU_DEP_1)
	v_fma_f32 v110, -v102, v109, 1.0
	v_fmac_f32_e32 v109, v110, v109
	s_delay_alu instid0(VALU_DEP_1) | instskip(NEXT) | instid1(VALU_DEP_1)
	v_mul_f32_e32 v110, v111, v109
	v_fma_f32 v112, -v102, v110, v111
	s_delay_alu instid0(VALU_DEP_1) | instskip(NEXT) | instid1(VALU_DEP_1)
	v_fmac_f32_e32 v110, v112, v109
	v_fma_f32 v102, -v102, v110, v111
	s_delay_alu instid0(VALU_DEP_1) | instskip(NEXT) | instid1(VALU_DEP_1)
	v_div_fmas_f32 v102, v102, v109, v110
	v_div_fixup_f32 v103, v102, v103, 1.0
	s_delay_alu instid0(VALU_DEP_1)
	v_mul_f32_e32 v102, v101, v103
	v_xor_b32_e32 v103, 0x80000000, v103
.LBB92_49:
	s_and_not1_saveexec_b32 s1, s1
	s_cbranch_execz .LBB92_51
; %bb.50:
	s_delay_alu instid0(VALU_DEP_1) | instskip(SKIP_1) | instid1(VALU_DEP_2)
	v_div_scale_f32 v101, null, v102, v102, v103
	v_div_scale_f32 v111, vcc_lo, v103, v102, v103
	v_rcp_f32_e32 v109, v101
	v_nop
	s_delay_alu instid0(TRANS32_DEP_1) | instskip(NEXT) | instid1(VALU_DEP_1)
	v_fma_f32 v110, -v101, v109, 1.0
	v_fmac_f32_e32 v109, v110, v109
	s_delay_alu instid0(VALU_DEP_1) | instskip(NEXT) | instid1(VALU_DEP_1)
	v_mul_f32_e32 v110, v111, v109
	v_fma_f32 v112, -v101, v110, v111
	s_delay_alu instid0(VALU_DEP_1) | instskip(NEXT) | instid1(VALU_DEP_1)
	v_fmac_f32_e32 v110, v112, v109
	v_fma_f32 v101, -v101, v110, v111
	s_delay_alu instid0(VALU_DEP_1) | instskip(NEXT) | instid1(VALU_DEP_1)
	v_div_fmas_f32 v101, v101, v109, v110
	v_div_fixup_f32 v101, v101, v102, v103
	s_delay_alu instid0(VALU_DEP_1) | instskip(NEXT) | instid1(VALU_DEP_1)
	v_fmac_f32_e32 v102, v103, v101
	v_div_scale_f32 v103, null, v102, v102, 1.0
	s_delay_alu instid0(VALU_DEP_1) | instskip(SKIP_1) | instid1(TRANS32_DEP_1)
	v_rcp_f32_e32 v109, v103
	v_nop
	v_fma_f32 v110, -v103, v109, 1.0
	s_delay_alu instid0(VALU_DEP_1) | instskip(SKIP_1) | instid1(VALU_DEP_1)
	v_fmac_f32_e32 v109, v110, v109
	v_div_scale_f32 v110, vcc_lo, 1.0, v102, 1.0
	v_mul_f32_e32 v111, v110, v109
	s_delay_alu instid0(VALU_DEP_1) | instskip(NEXT) | instid1(VALU_DEP_1)
	v_fma_f32 v112, -v103, v111, v110
	v_fmac_f32_e32 v111, v112, v109
	s_delay_alu instid0(VALU_DEP_1) | instskip(NEXT) | instid1(VALU_DEP_1)
	v_fma_f32 v103, -v103, v111, v110
	v_div_fmas_f32 v103, v103, v109, v111
	s_delay_alu instid0(VALU_DEP_1) | instskip(NEXT) | instid1(VALU_DEP_1)
	v_div_fixup_f32 v102, v103, v102, 1.0
	v_mul_f32_e64 v103, v101, -v102
.LBB92_51:
	s_or_b32 exec_lo, exec_lo, s1
.LBB92_52:
	s_delay_alu instid0(SALU_CYCLE_1) | instskip(NEXT) | instid1(SALU_CYCLE_1)
	s_or_b32 exec_lo, exec_lo, s0
	s_mov_b32 s0, exec_lo
	v_cmpx_ne_u32_e64 v108, v100
	s_xor_b32 s0, exec_lo, s0
	s_cbranch_execz .LBB92_58
; %bb.53:
	s_mov_b32 s1, exec_lo
	v_cmpx_eq_u32_e32 2, v108
	s_cbranch_execz .LBB92_57
; %bb.54:
	v_cmp_ne_u32_e32 vcc_lo, 2, v100
	s_xor_b32 s12, s16, -1
	s_delay_alu instid0(SALU_CYCLE_1) | instskip(NEXT) | instid1(SALU_CYCLE_1)
	s_and_b32 s13, s12, vcc_lo
	s_and_saveexec_b32 s12, s13
	s_cbranch_execz .LBB92_56
; %bb.55:
	v_ashrrev_i32_e32 v101, 31, v100
	s_delay_alu instid0(VALU_DEP_1)
	v_lshl_add_u64 v[108:109], v[100:101], 2, v[4:5]
	s_clause 0x1
	global_load_b32 v101, v[108:109], off
	global_load_b32 v107, v[4:5], off offset:8
	s_wait_loadcnt 0x1
	global_store_b32 v[4:5], v101, off offset:8
	s_wait_loadcnt 0x0
	global_store_b32 v[108:109], v107, off
.LBB92_56:
	s_wait_xcnt 0x0
	s_or_b32 exec_lo, exec_lo, s12
	v_dual_mov_b32 v108, v100 :: v_dual_mov_b32 v107, v100
.LBB92_57:
	s_or_b32 exec_lo, exec_lo, s1
.LBB92_58:
	s_and_not1_saveexec_b32 s0, s0
	s_cbranch_execz .LBB92_60
; %bb.59:
	v_mov_b32_e32 v108, 2
	ds_store_2addr_b64 v104, v[90:91], v[72:73] offset0:3 offset1:4
	ds_store_2addr_b64 v104, v[68:69], v[28:29] offset0:5 offset1:6
	ds_store_2addr_b64 v104, v[24:25], v[76:77] offset0:7 offset1:8
	ds_store_2addr_b64 v104, v[74:75], v[34:35] offset0:9 offset1:10
	ds_store_2addr_b64 v104, v[32:33], v[88:89] offset0:11 offset1:12
	ds_store_2addr_b64 v104, v[86:87], v[48:49] offset0:13 offset1:14
	ds_store_2addr_b64 v104, v[46:47], v[84:85] offset0:15 offset1:16
	ds_store_2addr_b64 v104, v[82:83], v[44:45] offset0:17 offset1:18
	ds_store_2addr_b64 v104, v[42:43], v[80:81] offset0:19 offset1:20
	ds_store_2addr_b64 v104, v[78:79], v[38:39] offset0:21 offset1:22
	ds_store_2addr_b64 v104, v[36:37], v[70:71] offset0:23 offset1:24
	ds_store_2addr_b64 v104, v[66:67], v[26:27] offset0:25 offset1:26
	ds_store_2addr_b64 v104, v[22:23], v[64:65] offset0:27 offset1:28
	ds_store_2addr_b64 v104, v[62:63], v[20:21] offset0:29 offset1:30
	ds_store_2addr_b64 v104, v[18:19], v[60:61] offset0:31 offset1:32
	ds_store_2addr_b64 v104, v[58:59], v[16:17] offset0:33 offset1:34
	ds_store_2addr_b64 v104, v[14:15], v[56:57] offset0:35 offset1:36
	ds_store_2addr_b64 v104, v[54:55], v[10:11] offset0:37 offset1:38
	ds_store_2addr_b64 v104, v[6:7], v[52:53] offset0:39 offset1:40
	ds_store_2addr_b64 v104, v[50:51], v[8:9] offset0:41 offset1:42
	ds_store_2addr_b64 v104, v[40:41], v[30:31] offset0:43 offset1:44
	ds_store_2addr_b64 v104, v[12:13], v[98:99] offset0:45 offset1:46
.LBB92_60:
	s_or_b32 exec_lo, exec_lo, s0
	s_delay_alu instid0(SALU_CYCLE_1)
	s_mov_b32 s0, exec_lo
	s_wait_storecnt_dscnt 0x0
	s_barrier_signal -1
	s_barrier_wait -1
	v_cmpx_lt_i32_e32 2, v108
	s_cbranch_execz .LBB92_62
; %bb.61:
	v_pk_mul_f32 v[110:111], v[102:103], v[92:93] op_sel:[1,1] op_sel_hi:[0,1]
	s_delay_alu instid0(VALU_DEP_1)
	v_pk_fma_f32 v[100:101], v[102:103], v[92:93], v[110:111] op_sel_hi:[1,0,1] neg_lo:[0,0,1] neg_hi:[0,0,1]
	v_pk_fma_f32 v[102:103], v[102:103], v[92:93], v[110:111] op_sel_hi:[1,0,1]
	ds_load_2addr_b64 v[110:113], v104 offset0:3 offset1:4
	v_dual_mov_b32 v92, v100 :: v_dual_mov_b32 v93, v103
	s_wait_dscnt 0x0
	v_pk_mul_f32 v[114:115], v[110:111], v[102:103] op_sel:[0,1]
	s_delay_alu instid0(VALU_DEP_1) | instskip(SKIP_1) | instid1(VALU_DEP_1)
	v_pk_fma_f32 v[116:117], v[110:111], v[100:101], v[114:115] op_sel:[0,0,1] op_sel_hi:[1,1,0] neg_lo:[0,0,1] neg_hi:[0,0,1]
	v_pk_fma_f32 v[110:111], v[110:111], v[100:101], v[114:115] op_sel:[0,0,1] op_sel_hi:[1,0,0]
	v_mov_b32_e32 v117, v111
	v_pk_mul_f32 v[110:111], v[112:113], v[102:103] op_sel:[0,1]
	s_delay_alu instid0(VALU_DEP_1) | instskip(SKIP_1) | instid1(VALU_DEP_1)
	v_pk_fma_f32 v[114:115], v[112:113], v[100:101], v[110:111] op_sel:[0,0,1] op_sel_hi:[1,1,0] neg_lo:[0,0,1] neg_hi:[0,0,1]
	v_pk_fma_f32 v[110:111], v[112:113], v[100:101], v[110:111] op_sel:[0,0,1] op_sel_hi:[1,0,0]
	v_mov_b32_e32 v115, v111
	ds_load_2addr_b64 v[110:113], v104 offset0:5 offset1:6
	v_pk_add_f32 v[90:91], v[90:91], v[116:117] neg_lo:[0,1] neg_hi:[0,1]
	v_pk_add_f32 v[72:73], v[72:73], v[114:115] neg_lo:[0,1] neg_hi:[0,1]
	s_wait_dscnt 0x0
	v_pk_mul_f32 v[114:115], v[110:111], v[102:103] op_sel:[0,1]
	s_delay_alu instid0(VALU_DEP_1) | instskip(SKIP_2) | instid1(VALU_DEP_2)
	v_pk_fma_f32 v[116:117], v[110:111], v[100:101], v[114:115] op_sel:[0,0,1] op_sel_hi:[1,1,0] neg_lo:[0,0,1] neg_hi:[0,0,1]
	v_pk_fma_f32 v[110:111], v[110:111], v[100:101], v[114:115] op_sel:[0,0,1] op_sel_hi:[1,0,0]
	v_dual_mul_f32 v114, v113, v103 :: v_dual_mov_b32 v110, v113
	v_dual_mov_b32 v117, v111 :: v_dual_mov_b32 v111, v112
	s_delay_alu instid0(VALU_DEP_2) | instskip(SKIP_1) | instid1(VALU_DEP_3)
	v_pk_fma_f32 v[114:115], v[112:113], v[92:93], v[114:115] op_sel_hi:[1,1,0] neg_lo:[0,0,1] neg_hi:[0,0,1]
	v_mul_f32_e32 v112, v113, v100
	v_pk_add_f32 v[68:69], v[68:69], v[116:117] neg_lo:[0,1] neg_hi:[0,1]
	s_delay_alu instid0(VALU_DEP_2) | instskip(NEXT) | instid1(VALU_DEP_1)
	v_pk_fma_f32 v[110:111], v[110:111], v[92:93], v[112:113] op_sel_hi:[1,1,0]
	v_mov_b32_e32 v115, v111
	ds_load_2addr_b64 v[110:113], v104 offset0:7 offset1:8
	v_pk_add_f32 v[28:29], v[28:29], v[114:115] neg_lo:[0,1] neg_hi:[0,1]
	s_wait_dscnt 0x0
	v_pk_mul_f32 v[114:115], v[110:111], v[102:103] op_sel:[0,1]
	s_delay_alu instid0(VALU_DEP_1) | instskip(SKIP_1) | instid1(VALU_DEP_1)
	v_pk_fma_f32 v[116:117], v[110:111], v[100:101], v[114:115] op_sel:[0,0,1] op_sel_hi:[1,1,0] neg_lo:[0,0,1] neg_hi:[0,0,1]
	v_pk_fma_f32 v[110:111], v[110:111], v[100:101], v[114:115] op_sel:[0,0,1] op_sel_hi:[1,0,0]
	v_mov_b32_e32 v117, v111
	v_pk_mul_f32 v[110:111], v[112:113], v[102:103] op_sel:[0,1]
	s_delay_alu instid0(VALU_DEP_1) | instskip(SKIP_1) | instid1(VALU_DEP_1)
	v_pk_fma_f32 v[114:115], v[112:113], v[100:101], v[110:111] op_sel:[0,0,1] op_sel_hi:[1,1,0] neg_lo:[0,0,1] neg_hi:[0,0,1]
	v_pk_fma_f32 v[110:111], v[112:113], v[100:101], v[110:111] op_sel:[0,0,1] op_sel_hi:[1,0,0]
	v_mov_b32_e32 v115, v111
	ds_load_2addr_b64 v[110:113], v104 offset0:9 offset1:10
	v_pk_add_f32 v[24:25], v[24:25], v[116:117] neg_lo:[0,1] neg_hi:[0,1]
	v_pk_add_f32 v[76:77], v[76:77], v[114:115] neg_lo:[0,1] neg_hi:[0,1]
	s_wait_dscnt 0x0
	v_pk_mul_f32 v[114:115], v[110:111], v[102:103] op_sel:[0,1]
	s_delay_alu instid0(VALU_DEP_1) | instskip(SKIP_1) | instid1(VALU_DEP_1)
	v_pk_fma_f32 v[116:117], v[110:111], v[100:101], v[114:115] op_sel:[0,0,1] op_sel_hi:[1,1,0] neg_lo:[0,0,1] neg_hi:[0,0,1]
	v_pk_fma_f32 v[110:111], v[110:111], v[100:101], v[114:115] op_sel:[0,0,1] op_sel_hi:[1,0,0]
	v_mov_b32_e32 v117, v111
	v_pk_mul_f32 v[110:111], v[112:113], v[102:103] op_sel:[0,1]
	s_delay_alu instid0(VALU_DEP_1) | instskip(SKIP_1) | instid1(VALU_DEP_1)
	v_pk_fma_f32 v[114:115], v[112:113], v[100:101], v[110:111] op_sel:[0,0,1] op_sel_hi:[1,1,0] neg_lo:[0,0,1] neg_hi:[0,0,1]
	v_pk_fma_f32 v[110:111], v[112:113], v[100:101], v[110:111] op_sel:[0,0,1] op_sel_hi:[1,0,0]
	v_mov_b32_e32 v115, v111
	ds_load_2addr_b64 v[110:113], v104 offset0:11 offset1:12
	v_pk_add_f32 v[74:75], v[74:75], v[116:117] neg_lo:[0,1] neg_hi:[0,1]
	v_pk_add_f32 v[34:35], v[34:35], v[114:115] neg_lo:[0,1] neg_hi:[0,1]
	s_wait_dscnt 0x0
	v_dual_mul_f32 v114, v111, v103 :: v_dual_mul_f32 v116, v111, v100
	s_delay_alu instid0(VALU_DEP_1) | instskip(NEXT) | instid1(VALU_DEP_2)
	v_pk_fma_f32 v[114:115], v[110:111], v[92:93], v[114:115] op_sel_hi:[1,1,0] neg_lo:[0,0,1] neg_hi:[0,0,1]
	v_pk_fma_f32 v[110:111], v[110:111], v[92:93], v[116:117] op_sel:[1,0,0] op_sel_hi:[0,1,0]
	s_delay_alu instid0(VALU_DEP_1) | instskip(SKIP_1) | instid1(VALU_DEP_2)
	v_mov_b32_e32 v115, v111
	v_pk_mul_f32 v[110:111], v[112:113], v[102:103] op_sel:[0,1]
	v_pk_add_f32 v[32:33], v[32:33], v[114:115] neg_lo:[0,1] neg_hi:[0,1]
	s_delay_alu instid0(VALU_DEP_2) | instskip(SKIP_1) | instid1(VALU_DEP_1)
	v_pk_fma_f32 v[114:115], v[112:113], v[100:101], v[110:111] op_sel:[0,0,1] op_sel_hi:[1,1,0] neg_lo:[0,0,1] neg_hi:[0,0,1]
	v_pk_fma_f32 v[110:111], v[112:113], v[100:101], v[110:111] op_sel:[0,0,1] op_sel_hi:[1,0,0]
	v_mov_b32_e32 v115, v111
	ds_load_2addr_b64 v[110:113], v104 offset0:13 offset1:14
	v_pk_add_f32 v[88:89], v[88:89], v[114:115] neg_lo:[0,1] neg_hi:[0,1]
	s_wait_dscnt 0x0
	v_pk_mul_f32 v[114:115], v[110:111], v[102:103] op_sel:[0,1]
	s_delay_alu instid0(VALU_DEP_1) | instskip(SKIP_1) | instid1(VALU_DEP_1)
	v_pk_fma_f32 v[116:117], v[110:111], v[100:101], v[114:115] op_sel:[0,0,1] op_sel_hi:[1,1,0] neg_lo:[0,0,1] neg_hi:[0,0,1]
	v_pk_fma_f32 v[110:111], v[110:111], v[100:101], v[114:115] op_sel:[0,0,1] op_sel_hi:[1,0,0]
	v_mov_b32_e32 v117, v111
	v_pk_mul_f32 v[110:111], v[112:113], v[102:103] op_sel:[0,1]
	s_delay_alu instid0(VALU_DEP_2) | instskip(NEXT) | instid1(VALU_DEP_2)
	v_pk_add_f32 v[86:87], v[86:87], v[116:117] neg_lo:[0,1] neg_hi:[0,1]
	v_pk_fma_f32 v[114:115], v[112:113], v[100:101], v[110:111] op_sel:[0,0,1] op_sel_hi:[1,1,0] neg_lo:[0,0,1] neg_hi:[0,0,1]
	v_pk_fma_f32 v[110:111], v[112:113], v[100:101], v[110:111] op_sel:[0,0,1] op_sel_hi:[1,0,0]
	s_delay_alu instid0(VALU_DEP_1) | instskip(SKIP_4) | instid1(VALU_DEP_1)
	v_mov_b32_e32 v115, v111
	ds_load_2addr_b64 v[110:113], v104 offset0:15 offset1:16
	v_pk_add_f32 v[48:49], v[48:49], v[114:115] neg_lo:[0,1] neg_hi:[0,1]
	s_wait_dscnt 0x0
	v_pk_mul_f32 v[114:115], v[110:111], v[102:103] op_sel:[0,1]
	v_pk_fma_f32 v[116:117], v[110:111], v[100:101], v[114:115] op_sel:[0,0,1] op_sel_hi:[1,1,0] neg_lo:[0,0,1] neg_hi:[0,0,1]
	v_pk_fma_f32 v[110:111], v[110:111], v[100:101], v[114:115] op_sel:[0,0,1] op_sel_hi:[1,0,0]
	v_dual_mul_f32 v114, v113, v103 :: v_dual_mov_b32 v110, v113
	s_delay_alu instid0(VALU_DEP_2) | instskip(NEXT) | instid1(VALU_DEP_2)
	v_dual_mov_b32 v117, v111 :: v_dual_mov_b32 v111, v112
	v_pk_fma_f32 v[114:115], v[112:113], v[92:93], v[114:115] op_sel_hi:[1,1,0] neg_lo:[0,0,1] neg_hi:[0,0,1]
	v_mul_f32_e32 v112, v113, v100
	s_delay_alu instid0(VALU_DEP_3) | instskip(NEXT) | instid1(VALU_DEP_2)
	v_pk_add_f32 v[46:47], v[46:47], v[116:117] neg_lo:[0,1] neg_hi:[0,1]
	v_pk_fma_f32 v[110:111], v[110:111], v[92:93], v[112:113] op_sel_hi:[1,1,0]
	s_delay_alu instid0(VALU_DEP_1) | instskip(SKIP_4) | instid1(VALU_DEP_1)
	v_mov_b32_e32 v115, v111
	ds_load_2addr_b64 v[110:113], v104 offset0:17 offset1:18
	v_pk_add_f32 v[84:85], v[84:85], v[114:115] neg_lo:[0,1] neg_hi:[0,1]
	s_wait_dscnt 0x0
	v_pk_mul_f32 v[114:115], v[110:111], v[102:103] op_sel:[0,1]
	v_pk_fma_f32 v[116:117], v[110:111], v[100:101], v[114:115] op_sel:[0,0,1] op_sel_hi:[1,1,0] neg_lo:[0,0,1] neg_hi:[0,0,1]
	v_pk_fma_f32 v[110:111], v[110:111], v[100:101], v[114:115] op_sel:[0,0,1] op_sel_hi:[1,0,0]
	s_delay_alu instid0(VALU_DEP_1) | instskip(SKIP_1) | instid1(VALU_DEP_1)
	v_mov_b32_e32 v117, v111
	v_pk_mul_f32 v[110:111], v[112:113], v[102:103] op_sel:[0,1]
	v_pk_fma_f32 v[114:115], v[112:113], v[100:101], v[110:111] op_sel:[0,0,1] op_sel_hi:[1,1,0] neg_lo:[0,0,1] neg_hi:[0,0,1]
	v_pk_fma_f32 v[110:111], v[112:113], v[100:101], v[110:111] op_sel:[0,0,1] op_sel_hi:[1,0,0]
	s_delay_alu instid0(VALU_DEP_1)
	v_mov_b32_e32 v115, v111
	ds_load_2addr_b64 v[110:113], v104 offset0:19 offset1:20
	v_pk_add_f32 v[82:83], v[82:83], v[116:117] neg_lo:[0,1] neg_hi:[0,1]
	v_pk_add_f32 v[44:45], v[44:45], v[114:115] neg_lo:[0,1] neg_hi:[0,1]
	s_wait_dscnt 0x0
	v_pk_mul_f32 v[114:115], v[110:111], v[102:103] op_sel:[0,1]
	s_delay_alu instid0(VALU_DEP_1) | instskip(SKIP_1) | instid1(VALU_DEP_1)
	v_pk_fma_f32 v[116:117], v[110:111], v[100:101], v[114:115] op_sel:[0,0,1] op_sel_hi:[1,1,0] neg_lo:[0,0,1] neg_hi:[0,0,1]
	v_pk_fma_f32 v[110:111], v[110:111], v[100:101], v[114:115] op_sel:[0,0,1] op_sel_hi:[1,0,0]
	v_mov_b32_e32 v117, v111
	v_pk_mul_f32 v[110:111], v[112:113], v[102:103] op_sel:[0,1]
	s_delay_alu instid0(VALU_DEP_1) | instskip(SKIP_1) | instid1(VALU_DEP_1)
	v_pk_fma_f32 v[114:115], v[112:113], v[100:101], v[110:111] op_sel:[0,0,1] op_sel_hi:[1,1,0] neg_lo:[0,0,1] neg_hi:[0,0,1]
	v_pk_fma_f32 v[110:111], v[112:113], v[100:101], v[110:111] op_sel:[0,0,1] op_sel_hi:[1,0,0]
	v_mov_b32_e32 v115, v111
	ds_load_2addr_b64 v[110:113], v104 offset0:21 offset1:22
	v_pk_add_f32 v[42:43], v[42:43], v[116:117] neg_lo:[0,1] neg_hi:[0,1]
	v_pk_add_f32 v[80:81], v[80:81], v[114:115] neg_lo:[0,1] neg_hi:[0,1]
	s_wait_dscnt 0x0
	v_dual_mul_f32 v114, v111, v103 :: v_dual_mul_f32 v116, v111, v100
	s_delay_alu instid0(VALU_DEP_1) | instskip(NEXT) | instid1(VALU_DEP_2)
	v_pk_fma_f32 v[114:115], v[110:111], v[92:93], v[114:115] op_sel_hi:[1,1,0] neg_lo:[0,0,1] neg_hi:[0,0,1]
	v_pk_fma_f32 v[110:111], v[110:111], v[92:93], v[116:117] op_sel:[1,0,0] op_sel_hi:[0,1,0]
	s_delay_alu instid0(VALU_DEP_1) | instskip(SKIP_1) | instid1(VALU_DEP_2)
	v_mov_b32_e32 v115, v111
	v_pk_mul_f32 v[110:111], v[112:113], v[102:103] op_sel:[0,1]
	v_pk_add_f32 v[78:79], v[78:79], v[114:115] neg_lo:[0,1] neg_hi:[0,1]
	s_delay_alu instid0(VALU_DEP_2) | instskip(SKIP_1) | instid1(VALU_DEP_1)
	v_pk_fma_f32 v[114:115], v[112:113], v[100:101], v[110:111] op_sel:[0,0,1] op_sel_hi:[1,1,0] neg_lo:[0,0,1] neg_hi:[0,0,1]
	v_pk_fma_f32 v[110:111], v[112:113], v[100:101], v[110:111] op_sel:[0,0,1] op_sel_hi:[1,0,0]
	v_mov_b32_e32 v115, v111
	ds_load_2addr_b64 v[110:113], v104 offset0:23 offset1:24
	v_pk_add_f32 v[38:39], v[38:39], v[114:115] neg_lo:[0,1] neg_hi:[0,1]
	s_wait_dscnt 0x0
	v_pk_mul_f32 v[114:115], v[110:111], v[102:103] op_sel:[0,1]
	s_delay_alu instid0(VALU_DEP_1) | instskip(SKIP_1) | instid1(VALU_DEP_1)
	v_pk_fma_f32 v[116:117], v[110:111], v[100:101], v[114:115] op_sel:[0,0,1] op_sel_hi:[1,1,0] neg_lo:[0,0,1] neg_hi:[0,0,1]
	v_pk_fma_f32 v[110:111], v[110:111], v[100:101], v[114:115] op_sel:[0,0,1] op_sel_hi:[1,0,0]
	v_mov_b32_e32 v117, v111
	v_pk_mul_f32 v[110:111], v[112:113], v[102:103] op_sel:[0,1]
	s_delay_alu instid0(VALU_DEP_2) | instskip(NEXT) | instid1(VALU_DEP_2)
	v_pk_add_f32 v[36:37], v[36:37], v[116:117] neg_lo:[0,1] neg_hi:[0,1]
	v_pk_fma_f32 v[114:115], v[112:113], v[100:101], v[110:111] op_sel:[0,0,1] op_sel_hi:[1,1,0] neg_lo:[0,0,1] neg_hi:[0,0,1]
	v_pk_fma_f32 v[110:111], v[112:113], v[100:101], v[110:111] op_sel:[0,0,1] op_sel_hi:[1,0,0]
	s_delay_alu instid0(VALU_DEP_1) | instskip(SKIP_4) | instid1(VALU_DEP_1)
	v_mov_b32_e32 v115, v111
	ds_load_2addr_b64 v[110:113], v104 offset0:25 offset1:26
	v_pk_add_f32 v[70:71], v[70:71], v[114:115] neg_lo:[0,1] neg_hi:[0,1]
	s_wait_dscnt 0x0
	v_pk_mul_f32 v[114:115], v[110:111], v[102:103] op_sel:[0,1]
	v_pk_fma_f32 v[116:117], v[110:111], v[100:101], v[114:115] op_sel:[0,0,1] op_sel_hi:[1,1,0] neg_lo:[0,0,1] neg_hi:[0,0,1]
	v_pk_fma_f32 v[110:111], v[110:111], v[100:101], v[114:115] op_sel:[0,0,1] op_sel_hi:[1,0,0]
	v_dual_mul_f32 v114, v113, v103 :: v_dual_mov_b32 v110, v113
	s_delay_alu instid0(VALU_DEP_2) | instskip(NEXT) | instid1(VALU_DEP_2)
	v_dual_mov_b32 v117, v111 :: v_dual_mov_b32 v111, v112
	v_pk_fma_f32 v[114:115], v[112:113], v[92:93], v[114:115] op_sel_hi:[1,1,0] neg_lo:[0,0,1] neg_hi:[0,0,1]
	v_mul_f32_e32 v112, v113, v100
	s_delay_alu instid0(VALU_DEP_3) | instskip(NEXT) | instid1(VALU_DEP_2)
	v_pk_add_f32 v[66:67], v[66:67], v[116:117] neg_lo:[0,1] neg_hi:[0,1]
	v_pk_fma_f32 v[110:111], v[110:111], v[92:93], v[112:113] op_sel_hi:[1,1,0]
	s_delay_alu instid0(VALU_DEP_1) | instskip(SKIP_4) | instid1(VALU_DEP_1)
	v_mov_b32_e32 v115, v111
	ds_load_2addr_b64 v[110:113], v104 offset0:27 offset1:28
	v_pk_add_f32 v[26:27], v[26:27], v[114:115] neg_lo:[0,1] neg_hi:[0,1]
	s_wait_dscnt 0x0
	v_pk_mul_f32 v[114:115], v[110:111], v[102:103] op_sel:[0,1]
	v_pk_fma_f32 v[116:117], v[110:111], v[100:101], v[114:115] op_sel:[0,0,1] op_sel_hi:[1,1,0] neg_lo:[0,0,1] neg_hi:[0,0,1]
	v_pk_fma_f32 v[110:111], v[110:111], v[100:101], v[114:115] op_sel:[0,0,1] op_sel_hi:[1,0,0]
	s_delay_alu instid0(VALU_DEP_1) | instskip(SKIP_1) | instid1(VALU_DEP_1)
	v_mov_b32_e32 v117, v111
	v_pk_mul_f32 v[110:111], v[112:113], v[102:103] op_sel:[0,1]
	v_pk_fma_f32 v[114:115], v[112:113], v[100:101], v[110:111] op_sel:[0,0,1] op_sel_hi:[1,1,0] neg_lo:[0,0,1] neg_hi:[0,0,1]
	v_pk_fma_f32 v[110:111], v[112:113], v[100:101], v[110:111] op_sel:[0,0,1] op_sel_hi:[1,0,0]
	s_delay_alu instid0(VALU_DEP_1)
	v_mov_b32_e32 v115, v111
	ds_load_2addr_b64 v[110:113], v104 offset0:29 offset1:30
	v_pk_add_f32 v[22:23], v[22:23], v[116:117] neg_lo:[0,1] neg_hi:[0,1]
	v_pk_add_f32 v[64:65], v[64:65], v[114:115] neg_lo:[0,1] neg_hi:[0,1]
	s_wait_dscnt 0x0
	v_pk_mul_f32 v[114:115], v[110:111], v[102:103] op_sel:[0,1]
	s_delay_alu instid0(VALU_DEP_1) | instskip(SKIP_1) | instid1(VALU_DEP_1)
	v_pk_fma_f32 v[116:117], v[110:111], v[100:101], v[114:115] op_sel:[0,0,1] op_sel_hi:[1,1,0] neg_lo:[0,0,1] neg_hi:[0,0,1]
	v_pk_fma_f32 v[110:111], v[110:111], v[100:101], v[114:115] op_sel:[0,0,1] op_sel_hi:[1,0,0]
	v_mov_b32_e32 v117, v111
	v_pk_mul_f32 v[110:111], v[112:113], v[102:103] op_sel:[0,1]
	s_delay_alu instid0(VALU_DEP_1) | instskip(SKIP_1) | instid1(VALU_DEP_1)
	v_pk_fma_f32 v[114:115], v[112:113], v[100:101], v[110:111] op_sel:[0,0,1] op_sel_hi:[1,1,0] neg_lo:[0,0,1] neg_hi:[0,0,1]
	v_pk_fma_f32 v[110:111], v[112:113], v[100:101], v[110:111] op_sel:[0,0,1] op_sel_hi:[1,0,0]
	v_mov_b32_e32 v115, v111
	ds_load_2addr_b64 v[110:113], v104 offset0:31 offset1:32
	v_pk_add_f32 v[62:63], v[62:63], v[116:117] neg_lo:[0,1] neg_hi:[0,1]
	v_pk_add_f32 v[20:21], v[20:21], v[114:115] neg_lo:[0,1] neg_hi:[0,1]
	s_wait_dscnt 0x0
	v_dual_mul_f32 v114, v111, v103 :: v_dual_mul_f32 v116, v111, v100
	s_delay_alu instid0(VALU_DEP_1) | instskip(NEXT) | instid1(VALU_DEP_2)
	v_pk_fma_f32 v[114:115], v[110:111], v[92:93], v[114:115] op_sel_hi:[1,1,0] neg_lo:[0,0,1] neg_hi:[0,0,1]
	v_pk_fma_f32 v[110:111], v[110:111], v[92:93], v[116:117] op_sel:[1,0,0] op_sel_hi:[0,1,0]
	s_delay_alu instid0(VALU_DEP_1) | instskip(SKIP_1) | instid1(VALU_DEP_2)
	v_mov_b32_e32 v115, v111
	v_pk_mul_f32 v[110:111], v[112:113], v[102:103] op_sel:[0,1]
	v_pk_add_f32 v[18:19], v[18:19], v[114:115] neg_lo:[0,1] neg_hi:[0,1]
	s_delay_alu instid0(VALU_DEP_2) | instskip(SKIP_1) | instid1(VALU_DEP_1)
	v_pk_fma_f32 v[114:115], v[112:113], v[100:101], v[110:111] op_sel:[0,0,1] op_sel_hi:[1,1,0] neg_lo:[0,0,1] neg_hi:[0,0,1]
	v_pk_fma_f32 v[110:111], v[112:113], v[100:101], v[110:111] op_sel:[0,0,1] op_sel_hi:[1,0,0]
	v_mov_b32_e32 v115, v111
	ds_load_2addr_b64 v[110:113], v104 offset0:33 offset1:34
	v_pk_add_f32 v[60:61], v[60:61], v[114:115] neg_lo:[0,1] neg_hi:[0,1]
	s_wait_dscnt 0x0
	v_pk_mul_f32 v[114:115], v[110:111], v[102:103] op_sel:[0,1]
	s_delay_alu instid0(VALU_DEP_1) | instskip(SKIP_1) | instid1(VALU_DEP_1)
	v_pk_fma_f32 v[116:117], v[110:111], v[100:101], v[114:115] op_sel:[0,0,1] op_sel_hi:[1,1,0] neg_lo:[0,0,1] neg_hi:[0,0,1]
	v_pk_fma_f32 v[110:111], v[110:111], v[100:101], v[114:115] op_sel:[0,0,1] op_sel_hi:[1,0,0]
	v_mov_b32_e32 v117, v111
	v_pk_mul_f32 v[110:111], v[112:113], v[102:103] op_sel:[0,1]
	s_delay_alu instid0(VALU_DEP_2) | instskip(NEXT) | instid1(VALU_DEP_2)
	v_pk_add_f32 v[58:59], v[58:59], v[116:117] neg_lo:[0,1] neg_hi:[0,1]
	v_pk_fma_f32 v[114:115], v[112:113], v[100:101], v[110:111] op_sel:[0,0,1] op_sel_hi:[1,1,0] neg_lo:[0,0,1] neg_hi:[0,0,1]
	v_pk_fma_f32 v[110:111], v[112:113], v[100:101], v[110:111] op_sel:[0,0,1] op_sel_hi:[1,0,0]
	s_delay_alu instid0(VALU_DEP_1) | instskip(SKIP_4) | instid1(VALU_DEP_1)
	v_mov_b32_e32 v115, v111
	ds_load_2addr_b64 v[110:113], v104 offset0:35 offset1:36
	v_pk_add_f32 v[16:17], v[16:17], v[114:115] neg_lo:[0,1] neg_hi:[0,1]
	s_wait_dscnt 0x0
	v_pk_mul_f32 v[114:115], v[110:111], v[102:103] op_sel:[0,1]
	v_pk_fma_f32 v[116:117], v[110:111], v[100:101], v[114:115] op_sel:[0,0,1] op_sel_hi:[1,1,0] neg_lo:[0,0,1] neg_hi:[0,0,1]
	v_pk_fma_f32 v[110:111], v[110:111], v[100:101], v[114:115] op_sel:[0,0,1] op_sel_hi:[1,0,0]
	v_dual_mul_f32 v114, v113, v103 :: v_dual_mov_b32 v110, v113
	s_delay_alu instid0(VALU_DEP_2) | instskip(NEXT) | instid1(VALU_DEP_2)
	v_dual_mov_b32 v117, v111 :: v_dual_mov_b32 v111, v112
	v_pk_fma_f32 v[114:115], v[112:113], v[92:93], v[114:115] op_sel_hi:[1,1,0] neg_lo:[0,0,1] neg_hi:[0,0,1]
	v_mul_f32_e32 v112, v113, v100
	s_delay_alu instid0(VALU_DEP_3) | instskip(NEXT) | instid1(VALU_DEP_2)
	v_pk_add_f32 v[14:15], v[14:15], v[116:117] neg_lo:[0,1] neg_hi:[0,1]
	v_pk_fma_f32 v[110:111], v[110:111], v[92:93], v[112:113] op_sel_hi:[1,1,0]
	s_delay_alu instid0(VALU_DEP_1) | instskip(SKIP_4) | instid1(VALU_DEP_1)
	v_mov_b32_e32 v115, v111
	ds_load_2addr_b64 v[110:113], v104 offset0:37 offset1:38
	v_pk_add_f32 v[56:57], v[56:57], v[114:115] neg_lo:[0,1] neg_hi:[0,1]
	s_wait_dscnt 0x0
	v_pk_mul_f32 v[114:115], v[110:111], v[102:103] op_sel:[0,1]
	v_pk_fma_f32 v[116:117], v[110:111], v[100:101], v[114:115] op_sel:[0,0,1] op_sel_hi:[1,1,0] neg_lo:[0,0,1] neg_hi:[0,0,1]
	v_pk_fma_f32 v[110:111], v[110:111], v[100:101], v[114:115] op_sel:[0,0,1] op_sel_hi:[1,0,0]
	s_delay_alu instid0(VALU_DEP_1) | instskip(SKIP_1) | instid1(VALU_DEP_1)
	v_mov_b32_e32 v117, v111
	v_pk_mul_f32 v[110:111], v[112:113], v[102:103] op_sel:[0,1]
	v_pk_fma_f32 v[114:115], v[112:113], v[100:101], v[110:111] op_sel:[0,0,1] op_sel_hi:[1,1,0] neg_lo:[0,0,1] neg_hi:[0,0,1]
	v_pk_fma_f32 v[110:111], v[112:113], v[100:101], v[110:111] op_sel:[0,0,1] op_sel_hi:[1,0,0]
	s_delay_alu instid0(VALU_DEP_1)
	v_mov_b32_e32 v115, v111
	ds_load_2addr_b64 v[110:113], v104 offset0:39 offset1:40
	v_pk_add_f32 v[54:55], v[54:55], v[116:117] neg_lo:[0,1] neg_hi:[0,1]
	v_pk_add_f32 v[10:11], v[10:11], v[114:115] neg_lo:[0,1] neg_hi:[0,1]
	s_wait_dscnt 0x0
	v_pk_mul_f32 v[114:115], v[110:111], v[102:103] op_sel:[0,1]
	s_delay_alu instid0(VALU_DEP_1) | instskip(SKIP_1) | instid1(VALU_DEP_1)
	v_pk_fma_f32 v[116:117], v[110:111], v[100:101], v[114:115] op_sel:[0,0,1] op_sel_hi:[1,1,0] neg_lo:[0,0,1] neg_hi:[0,0,1]
	v_pk_fma_f32 v[110:111], v[110:111], v[100:101], v[114:115] op_sel:[0,0,1] op_sel_hi:[1,0,0]
	v_mov_b32_e32 v117, v111
	v_pk_mul_f32 v[110:111], v[112:113], v[102:103] op_sel:[0,1]
	s_delay_alu instid0(VALU_DEP_1) | instskip(SKIP_1) | instid1(VALU_DEP_1)
	v_pk_fma_f32 v[114:115], v[112:113], v[100:101], v[110:111] op_sel:[0,0,1] op_sel_hi:[1,1,0] neg_lo:[0,0,1] neg_hi:[0,0,1]
	v_pk_fma_f32 v[110:111], v[112:113], v[100:101], v[110:111] op_sel:[0,0,1] op_sel_hi:[1,0,0]
	v_mov_b32_e32 v115, v111
	ds_load_2addr_b64 v[110:113], v104 offset0:41 offset1:42
	v_pk_add_f32 v[6:7], v[6:7], v[116:117] neg_lo:[0,1] neg_hi:[0,1]
	v_pk_add_f32 v[52:53], v[52:53], v[114:115] neg_lo:[0,1] neg_hi:[0,1]
	s_wait_dscnt 0x0
	v_dual_mul_f32 v114, v111, v103 :: v_dual_mul_f32 v116, v111, v100
	s_delay_alu instid0(VALU_DEP_1) | instskip(NEXT) | instid1(VALU_DEP_2)
	v_pk_fma_f32 v[114:115], v[110:111], v[92:93], v[114:115] op_sel_hi:[1,1,0] neg_lo:[0,0,1] neg_hi:[0,0,1]
	v_pk_fma_f32 v[110:111], v[110:111], v[92:93], v[116:117] op_sel:[1,0,0] op_sel_hi:[0,1,0]
	s_delay_alu instid0(VALU_DEP_1) | instskip(SKIP_1) | instid1(VALU_DEP_2)
	v_mov_b32_e32 v115, v111
	v_pk_mul_f32 v[110:111], v[112:113], v[102:103] op_sel:[0,1]
	v_pk_add_f32 v[50:51], v[50:51], v[114:115] neg_lo:[0,1] neg_hi:[0,1]
	s_delay_alu instid0(VALU_DEP_2) | instskip(SKIP_1) | instid1(VALU_DEP_1)
	v_pk_fma_f32 v[114:115], v[112:113], v[100:101], v[110:111] op_sel:[0,0,1] op_sel_hi:[1,1,0] neg_lo:[0,0,1] neg_hi:[0,0,1]
	v_pk_fma_f32 v[110:111], v[112:113], v[100:101], v[110:111] op_sel:[0,0,1] op_sel_hi:[1,0,0]
	v_mov_b32_e32 v115, v111
	ds_load_2addr_b64 v[110:113], v104 offset0:43 offset1:44
	v_pk_add_f32 v[8:9], v[8:9], v[114:115] neg_lo:[0,1] neg_hi:[0,1]
	s_wait_dscnt 0x0
	v_pk_mul_f32 v[114:115], v[110:111], v[102:103] op_sel:[0,1]
	s_delay_alu instid0(VALU_DEP_1) | instskip(SKIP_1) | instid1(VALU_DEP_1)
	v_pk_fma_f32 v[116:117], v[110:111], v[100:101], v[114:115] op_sel:[0,0,1] op_sel_hi:[1,1,0] neg_lo:[0,0,1] neg_hi:[0,0,1]
	v_pk_fma_f32 v[110:111], v[110:111], v[100:101], v[114:115] op_sel:[0,0,1] op_sel_hi:[1,0,0]
	v_mov_b32_e32 v117, v111
	v_pk_mul_f32 v[110:111], v[112:113], v[102:103] op_sel:[0,1]
	s_delay_alu instid0(VALU_DEP_2) | instskip(NEXT) | instid1(VALU_DEP_2)
	v_pk_add_f32 v[40:41], v[40:41], v[116:117] neg_lo:[0,1] neg_hi:[0,1]
	v_pk_fma_f32 v[114:115], v[112:113], v[100:101], v[110:111] op_sel:[0,0,1] op_sel_hi:[1,1,0] neg_lo:[0,0,1] neg_hi:[0,0,1]
	v_pk_fma_f32 v[110:111], v[112:113], v[100:101], v[110:111] op_sel:[0,0,1] op_sel_hi:[1,0,0]
	s_delay_alu instid0(VALU_DEP_1)
	v_mov_b32_e32 v115, v111
	ds_load_2addr_b64 v[110:113], v104 offset0:45 offset1:46
	v_pk_add_f32 v[30:31], v[30:31], v[114:115] neg_lo:[0,1] neg_hi:[0,1]
	s_wait_dscnt 0x0
	v_pk_mul_f32 v[114:115], v[110:111], v[102:103] op_sel:[0,1]
	v_pk_mul_f32 v[102:103], v[112:113], v[102:103] op_sel:[0,1]
	s_delay_alu instid0(VALU_DEP_2) | instskip(SKIP_1) | instid1(VALU_DEP_1)
	v_pk_fma_f32 v[116:117], v[110:111], v[100:101], v[114:115] op_sel:[0,0,1] op_sel_hi:[1,1,0] neg_lo:[0,0,1] neg_hi:[0,0,1]
	v_pk_fma_f32 v[110:111], v[110:111], v[100:101], v[114:115] op_sel:[0,0,1] op_sel_hi:[1,0,0]
	v_mov_b32_e32 v117, v111
	s_delay_alu instid0(VALU_DEP_4) | instskip(SKIP_1) | instid1(VALU_DEP_3)
	v_pk_fma_f32 v[110:111], v[112:113], v[100:101], v[102:103] op_sel:[0,0,1] op_sel_hi:[1,1,0] neg_lo:[0,0,1] neg_hi:[0,0,1]
	v_pk_fma_f32 v[100:101], v[112:113], v[100:101], v[102:103] op_sel:[0,0,1] op_sel_hi:[1,0,0]
	v_pk_add_f32 v[12:13], v[12:13], v[116:117] neg_lo:[0,1] neg_hi:[0,1]
	s_delay_alu instid0(VALU_DEP_2) | instskip(NEXT) | instid1(VALU_DEP_1)
	v_mov_b32_e32 v111, v101
	v_pk_add_f32 v[98:99], v[98:99], v[110:111] neg_lo:[0,1] neg_hi:[0,1]
.LBB92_62:
	s_or_b32 exec_lo, exec_lo, s0
	v_lshl_add_u32 v100, v108, 3, v104
	s_barrier_signal -1
	s_barrier_wait -1
	ds_store_b64 v100, v[90:91]
	s_wait_dscnt 0x0
	s_barrier_signal -1
	s_barrier_wait -1
	ds_load_b64 v[102:103], v104 offset:24
	v_mov_b32_e32 v100, 3
	s_cmp_lt_i32 s18, 5
	s_cbranch_scc1 .LBB92_65
; %bb.63:
	v_mov_b32_e32 v100, 3
	v_add3_u32 v101, v105, 0, 32
	s_mov_b32 s0, 4
.LBB92_64:                              ; =>This Inner Loop Header: Depth=1
	ds_load_b64 v[110:111], v101
	s_wait_dscnt 0x1
	v_cmp_gt_f32_e32 vcc_lo, 0, v102
	v_cndmask_b32_e64 v112, v102, -v102, vcc_lo
	v_cmp_gt_f32_e32 vcc_lo, 0, v103
	v_cndmask_b32_e64 v114, v103, -v103, vcc_lo
	s_wait_dscnt 0x0
	v_cmp_gt_f32_e32 vcc_lo, 0, v110
	v_cndmask_b32_e64 v113, v110, -v110, vcc_lo
	v_cmp_gt_f32_e32 vcc_lo, 0, v111
	v_cndmask_b32_e64 v115, v111, -v111, vcc_lo
	s_delay_alu instid0(VALU_DEP_1) | instskip(NEXT) | instid1(VALU_DEP_1)
	v_pk_add_f32 v[112:113], v[112:113], v[114:115]
	v_cmp_lt_f32_e32 vcc_lo, v112, v113
	v_dual_add_nc_u32 v101, 8, v101 :: v_dual_cndmask_b32 v103, v103, v111, vcc_lo
	v_cndmask_b32_e32 v102, v102, v110, vcc_lo
	v_cndmask_b32_e64 v100, v100, s0, vcc_lo
	s_add_co_i32 s0, s0, 1
	s_delay_alu instid0(SALU_CYCLE_1)
	s_cmp_lg_u32 s18, s0
	s_cbranch_scc1 .LBB92_64
.LBB92_65:
	s_wait_dscnt 0x0
	v_cmp_eq_f32_e32 vcc_lo, 0, v102
	v_cmp_eq_f32_e64 s0, 0, v103
	s_and_b32 s0, vcc_lo, s0
	s_delay_alu instid0(SALU_CYCLE_1) | instskip(NEXT) | instid1(SALU_CYCLE_1)
	s_and_saveexec_b32 s1, s0
	s_xor_b32 s0, exec_lo, s1
; %bb.66:
	v_cmp_ne_u32_e32 vcc_lo, 0, v106
	v_cndmask_b32_e32 v106, 4, v106, vcc_lo
; %bb.67:
	s_and_not1_saveexec_b32 s0, s0
	s_cbranch_execz .LBB92_73
; %bb.68:
	v_cmp_ngt_f32_e64 s1, |v102|, |v103|
	s_and_saveexec_b32 s12, s1
	s_delay_alu instid0(SALU_CYCLE_1)
	s_xor_b32 s1, exec_lo, s12
	s_cbranch_execz .LBB92_70
; %bb.69:
	v_div_scale_f32 v101, null, v103, v103, v102
	v_div_scale_f32 v111, vcc_lo, v102, v103, v102
	s_delay_alu instid0(VALU_DEP_2) | instskip(SKIP_1) | instid1(TRANS32_DEP_1)
	v_rcp_f32_e32 v109, v101
	v_nop
	v_fma_f32 v110, -v101, v109, 1.0
	s_delay_alu instid0(VALU_DEP_1) | instskip(NEXT) | instid1(VALU_DEP_1)
	v_fmac_f32_e32 v109, v110, v109
	v_mul_f32_e32 v110, v111, v109
	s_delay_alu instid0(VALU_DEP_1) | instskip(NEXT) | instid1(VALU_DEP_1)
	v_fma_f32 v112, -v101, v110, v111
	v_fmac_f32_e32 v110, v112, v109
	s_delay_alu instid0(VALU_DEP_1) | instskip(NEXT) | instid1(VALU_DEP_1)
	v_fma_f32 v101, -v101, v110, v111
	v_div_fmas_f32 v101, v101, v109, v110
	s_delay_alu instid0(VALU_DEP_1) | instskip(NEXT) | instid1(VALU_DEP_1)
	v_div_fixup_f32 v101, v101, v103, v102
	v_fmac_f32_e32 v103, v102, v101
	s_delay_alu instid0(VALU_DEP_1) | instskip(SKIP_1) | instid1(VALU_DEP_2)
	v_div_scale_f32 v102, null, v103, v103, 1.0
	v_div_scale_f32 v111, vcc_lo, 1.0, v103, 1.0
	v_rcp_f32_e32 v109, v102
	v_nop
	s_delay_alu instid0(TRANS32_DEP_1) | instskip(NEXT) | instid1(VALU_DEP_1)
	v_fma_f32 v110, -v102, v109, 1.0
	v_fmac_f32_e32 v109, v110, v109
	s_delay_alu instid0(VALU_DEP_1) | instskip(NEXT) | instid1(VALU_DEP_1)
	v_mul_f32_e32 v110, v111, v109
	v_fma_f32 v112, -v102, v110, v111
	s_delay_alu instid0(VALU_DEP_1) | instskip(NEXT) | instid1(VALU_DEP_1)
	v_fmac_f32_e32 v110, v112, v109
	v_fma_f32 v102, -v102, v110, v111
	s_delay_alu instid0(VALU_DEP_1) | instskip(NEXT) | instid1(VALU_DEP_1)
	v_div_fmas_f32 v102, v102, v109, v110
	v_div_fixup_f32 v103, v102, v103, 1.0
	s_delay_alu instid0(VALU_DEP_1)
	v_mul_f32_e32 v102, v101, v103
	v_xor_b32_e32 v103, 0x80000000, v103
.LBB92_70:
	s_and_not1_saveexec_b32 s1, s1
	s_cbranch_execz .LBB92_72
; %bb.71:
	s_delay_alu instid0(VALU_DEP_1) | instskip(SKIP_1) | instid1(VALU_DEP_2)
	v_div_scale_f32 v101, null, v102, v102, v103
	v_div_scale_f32 v111, vcc_lo, v103, v102, v103
	v_rcp_f32_e32 v109, v101
	v_nop
	s_delay_alu instid0(TRANS32_DEP_1) | instskip(NEXT) | instid1(VALU_DEP_1)
	v_fma_f32 v110, -v101, v109, 1.0
	v_fmac_f32_e32 v109, v110, v109
	s_delay_alu instid0(VALU_DEP_1) | instskip(NEXT) | instid1(VALU_DEP_1)
	v_mul_f32_e32 v110, v111, v109
	v_fma_f32 v112, -v101, v110, v111
	s_delay_alu instid0(VALU_DEP_1) | instskip(NEXT) | instid1(VALU_DEP_1)
	v_fmac_f32_e32 v110, v112, v109
	v_fma_f32 v101, -v101, v110, v111
	s_delay_alu instid0(VALU_DEP_1) | instskip(NEXT) | instid1(VALU_DEP_1)
	v_div_fmas_f32 v101, v101, v109, v110
	v_div_fixup_f32 v101, v101, v102, v103
	s_delay_alu instid0(VALU_DEP_1) | instskip(NEXT) | instid1(VALU_DEP_1)
	v_fmac_f32_e32 v102, v103, v101
	v_div_scale_f32 v103, null, v102, v102, 1.0
	s_delay_alu instid0(VALU_DEP_1) | instskip(SKIP_1) | instid1(TRANS32_DEP_1)
	v_rcp_f32_e32 v109, v103
	v_nop
	v_fma_f32 v110, -v103, v109, 1.0
	s_delay_alu instid0(VALU_DEP_1) | instskip(SKIP_1) | instid1(VALU_DEP_1)
	v_fmac_f32_e32 v109, v110, v109
	v_div_scale_f32 v110, vcc_lo, 1.0, v102, 1.0
	v_mul_f32_e32 v111, v110, v109
	s_delay_alu instid0(VALU_DEP_1) | instskip(NEXT) | instid1(VALU_DEP_1)
	v_fma_f32 v112, -v103, v111, v110
	v_fmac_f32_e32 v111, v112, v109
	s_delay_alu instid0(VALU_DEP_1) | instskip(NEXT) | instid1(VALU_DEP_1)
	v_fma_f32 v103, -v103, v111, v110
	v_div_fmas_f32 v103, v103, v109, v111
	s_delay_alu instid0(VALU_DEP_1) | instskip(NEXT) | instid1(VALU_DEP_1)
	v_div_fixup_f32 v102, v103, v102, 1.0
	v_mul_f32_e64 v103, v101, -v102
.LBB92_72:
	s_or_b32 exec_lo, exec_lo, s1
.LBB92_73:
	s_delay_alu instid0(SALU_CYCLE_1) | instskip(NEXT) | instid1(SALU_CYCLE_1)
	s_or_b32 exec_lo, exec_lo, s0
	s_mov_b32 s0, exec_lo
	v_cmpx_ne_u32_e64 v108, v100
	s_xor_b32 s0, exec_lo, s0
	s_cbranch_execz .LBB92_79
; %bb.74:
	s_mov_b32 s1, exec_lo
	v_cmpx_eq_u32_e32 3, v108
	s_cbranch_execz .LBB92_78
; %bb.75:
	v_cmp_ne_u32_e32 vcc_lo, 3, v100
	s_xor_b32 s12, s16, -1
	s_delay_alu instid0(SALU_CYCLE_1) | instskip(NEXT) | instid1(SALU_CYCLE_1)
	s_and_b32 s13, s12, vcc_lo
	s_and_saveexec_b32 s12, s13
	s_cbranch_execz .LBB92_77
; %bb.76:
	v_ashrrev_i32_e32 v101, 31, v100
	s_delay_alu instid0(VALU_DEP_1)
	v_lshl_add_u64 v[108:109], v[100:101], 2, v[4:5]
	s_clause 0x1
	global_load_b32 v101, v[108:109], off
	global_load_b32 v107, v[4:5], off offset:12
	s_wait_loadcnt 0x1
	global_store_b32 v[4:5], v101, off offset:12
	s_wait_loadcnt 0x0
	global_store_b32 v[108:109], v107, off
.LBB92_77:
	s_wait_xcnt 0x0
	s_or_b32 exec_lo, exec_lo, s12
	v_dual_mov_b32 v108, v100 :: v_dual_mov_b32 v107, v100
.LBB92_78:
	s_or_b32 exec_lo, exec_lo, s1
.LBB92_79:
	s_and_not1_saveexec_b32 s0, s0
	s_cbranch_execz .LBB92_81
; %bb.80:
	v_dual_mov_b32 v100, v72 :: v_dual_mov_b32 v101, v73
	v_dual_mov_b32 v108, v68 :: v_dual_mov_b32 v109, v69
	ds_store_2addr_b64 v104, v[100:101], v[108:109] offset0:4 offset1:5
	v_dual_mov_b32 v100, v28 :: v_dual_mov_b32 v101, v29
	v_dual_mov_b32 v108, v24 :: v_dual_mov_b32 v109, v25
	ds_store_2addr_b64 v104, v[100:101], v[108:109] offset0:6 offset1:7
	;; [unrolled: 3-line block ×21, first 2 shown]
	ds_store_b64 v104, v[98:99] offset:368
	v_mov_b32_e32 v108, 3
.LBB92_81:
	s_or_b32 exec_lo, exec_lo, s0
	s_delay_alu instid0(SALU_CYCLE_1)
	s_mov_b32 s0, exec_lo
	s_wait_storecnt_dscnt 0x0
	s_barrier_signal -1
	s_barrier_wait -1
	v_cmpx_lt_i32_e32 3, v108
	s_cbranch_execz .LBB92_83
; %bb.82:
	v_pk_mul_f32 v[110:111], v[102:103], v[90:91] op_sel:[1,1] op_sel_hi:[0,1]
	s_delay_alu instid0(VALU_DEP_1)
	v_pk_fma_f32 v[100:101], v[102:103], v[90:91], v[110:111] op_sel_hi:[1,0,1] neg_lo:[0,0,1] neg_hi:[0,0,1]
	v_pk_fma_f32 v[102:103], v[102:103], v[90:91], v[110:111] op_sel_hi:[1,0,1]
	ds_load_2addr_b64 v[110:113], v104 offset0:4 offset1:5
	v_dual_mov_b32 v90, v100 :: v_dual_mov_b32 v91, v103
	s_wait_dscnt 0x0
	v_pk_mul_f32 v[114:115], v[110:111], v[102:103] op_sel:[0,1]
	s_delay_alu instid0(VALU_DEP_1) | instskip(SKIP_1) | instid1(VALU_DEP_1)
	v_pk_fma_f32 v[116:117], v[110:111], v[100:101], v[114:115] op_sel:[0,0,1] op_sel_hi:[1,1,0] neg_lo:[0,0,1] neg_hi:[0,0,1]
	v_pk_fma_f32 v[110:111], v[110:111], v[100:101], v[114:115] op_sel:[0,0,1] op_sel_hi:[1,0,0]
	v_mov_b32_e32 v117, v111
	v_pk_mul_f32 v[110:111], v[112:113], v[102:103] op_sel:[0,1]
	s_delay_alu instid0(VALU_DEP_1) | instskip(SKIP_1) | instid1(VALU_DEP_1)
	v_pk_fma_f32 v[114:115], v[112:113], v[100:101], v[110:111] op_sel:[0,0,1] op_sel_hi:[1,1,0] neg_lo:[0,0,1] neg_hi:[0,0,1]
	v_pk_fma_f32 v[110:111], v[112:113], v[100:101], v[110:111] op_sel:[0,0,1] op_sel_hi:[1,0,0]
	v_mov_b32_e32 v115, v111
	ds_load_2addr_b64 v[110:113], v104 offset0:6 offset1:7
	v_pk_add_f32 v[72:73], v[72:73], v[116:117] neg_lo:[0,1] neg_hi:[0,1]
	v_pk_add_f32 v[68:69], v[68:69], v[114:115] neg_lo:[0,1] neg_hi:[0,1]
	s_wait_dscnt 0x0
	v_pk_mul_f32 v[114:115], v[110:111], v[102:103] op_sel:[0,1]
	s_delay_alu instid0(VALU_DEP_1) | instskip(SKIP_2) | instid1(VALU_DEP_2)
	v_pk_fma_f32 v[116:117], v[110:111], v[100:101], v[114:115] op_sel:[0,0,1] op_sel_hi:[1,1,0] neg_lo:[0,0,1] neg_hi:[0,0,1]
	v_pk_fma_f32 v[110:111], v[110:111], v[100:101], v[114:115] op_sel:[0,0,1] op_sel_hi:[1,0,0]
	v_dual_mul_f32 v114, v113, v103 :: v_dual_mov_b32 v110, v113
	v_dual_mov_b32 v117, v111 :: v_dual_mov_b32 v111, v112
	s_delay_alu instid0(VALU_DEP_2) | instskip(SKIP_1) | instid1(VALU_DEP_3)
	v_pk_fma_f32 v[114:115], v[112:113], v[90:91], v[114:115] op_sel_hi:[1,1,0] neg_lo:[0,0,1] neg_hi:[0,0,1]
	v_mul_f32_e32 v112, v113, v100
	v_pk_add_f32 v[28:29], v[28:29], v[116:117] neg_lo:[0,1] neg_hi:[0,1]
	s_delay_alu instid0(VALU_DEP_2) | instskip(NEXT) | instid1(VALU_DEP_1)
	v_pk_fma_f32 v[110:111], v[110:111], v[90:91], v[112:113] op_sel_hi:[1,1,0]
	v_mov_b32_e32 v115, v111
	ds_load_2addr_b64 v[110:113], v104 offset0:8 offset1:9
	v_pk_add_f32 v[24:25], v[24:25], v[114:115] neg_lo:[0,1] neg_hi:[0,1]
	s_wait_dscnt 0x0
	v_pk_mul_f32 v[114:115], v[110:111], v[102:103] op_sel:[0,1]
	s_delay_alu instid0(VALU_DEP_1) | instskip(SKIP_1) | instid1(VALU_DEP_1)
	v_pk_fma_f32 v[116:117], v[110:111], v[100:101], v[114:115] op_sel:[0,0,1] op_sel_hi:[1,1,0] neg_lo:[0,0,1] neg_hi:[0,0,1]
	v_pk_fma_f32 v[110:111], v[110:111], v[100:101], v[114:115] op_sel:[0,0,1] op_sel_hi:[1,0,0]
	v_mov_b32_e32 v117, v111
	v_pk_mul_f32 v[110:111], v[112:113], v[102:103] op_sel:[0,1]
	s_delay_alu instid0(VALU_DEP_1) | instskip(SKIP_1) | instid1(VALU_DEP_1)
	v_pk_fma_f32 v[114:115], v[112:113], v[100:101], v[110:111] op_sel:[0,0,1] op_sel_hi:[1,1,0] neg_lo:[0,0,1] neg_hi:[0,0,1]
	v_pk_fma_f32 v[110:111], v[112:113], v[100:101], v[110:111] op_sel:[0,0,1] op_sel_hi:[1,0,0]
	v_mov_b32_e32 v115, v111
	ds_load_2addr_b64 v[110:113], v104 offset0:10 offset1:11
	v_pk_add_f32 v[76:77], v[76:77], v[116:117] neg_lo:[0,1] neg_hi:[0,1]
	v_pk_add_f32 v[74:75], v[74:75], v[114:115] neg_lo:[0,1] neg_hi:[0,1]
	s_wait_dscnt 0x0
	v_pk_mul_f32 v[114:115], v[110:111], v[102:103] op_sel:[0,1]
	s_delay_alu instid0(VALU_DEP_1) | instskip(SKIP_1) | instid1(VALU_DEP_1)
	v_pk_fma_f32 v[116:117], v[110:111], v[100:101], v[114:115] op_sel:[0,0,1] op_sel_hi:[1,1,0] neg_lo:[0,0,1] neg_hi:[0,0,1]
	v_pk_fma_f32 v[110:111], v[110:111], v[100:101], v[114:115] op_sel:[0,0,1] op_sel_hi:[1,0,0]
	v_mov_b32_e32 v117, v111
	v_pk_mul_f32 v[110:111], v[112:113], v[102:103] op_sel:[0,1]
	s_delay_alu instid0(VALU_DEP_1) | instskip(SKIP_1) | instid1(VALU_DEP_1)
	v_pk_fma_f32 v[114:115], v[112:113], v[100:101], v[110:111] op_sel:[0,0,1] op_sel_hi:[1,1,0] neg_lo:[0,0,1] neg_hi:[0,0,1]
	v_pk_fma_f32 v[110:111], v[112:113], v[100:101], v[110:111] op_sel:[0,0,1] op_sel_hi:[1,0,0]
	v_mov_b32_e32 v115, v111
	ds_load_2addr_b64 v[110:113], v104 offset0:12 offset1:13
	v_pk_add_f32 v[34:35], v[34:35], v[116:117] neg_lo:[0,1] neg_hi:[0,1]
	v_pk_add_f32 v[32:33], v[32:33], v[114:115] neg_lo:[0,1] neg_hi:[0,1]
	s_wait_dscnt 0x0
	v_dual_mul_f32 v114, v111, v103 :: v_dual_mul_f32 v116, v111, v100
	s_delay_alu instid0(VALU_DEP_1) | instskip(NEXT) | instid1(VALU_DEP_2)
	v_pk_fma_f32 v[114:115], v[110:111], v[90:91], v[114:115] op_sel_hi:[1,1,0] neg_lo:[0,0,1] neg_hi:[0,0,1]
	v_pk_fma_f32 v[110:111], v[110:111], v[90:91], v[116:117] op_sel:[1,0,0] op_sel_hi:[0,1,0]
	s_delay_alu instid0(VALU_DEP_1) | instskip(SKIP_1) | instid1(VALU_DEP_2)
	v_mov_b32_e32 v115, v111
	v_pk_mul_f32 v[110:111], v[112:113], v[102:103] op_sel:[0,1]
	v_pk_add_f32 v[88:89], v[88:89], v[114:115] neg_lo:[0,1] neg_hi:[0,1]
	s_delay_alu instid0(VALU_DEP_2) | instskip(SKIP_1) | instid1(VALU_DEP_1)
	v_pk_fma_f32 v[114:115], v[112:113], v[100:101], v[110:111] op_sel:[0,0,1] op_sel_hi:[1,1,0] neg_lo:[0,0,1] neg_hi:[0,0,1]
	v_pk_fma_f32 v[110:111], v[112:113], v[100:101], v[110:111] op_sel:[0,0,1] op_sel_hi:[1,0,0]
	v_mov_b32_e32 v115, v111
	ds_load_2addr_b64 v[110:113], v104 offset0:14 offset1:15
	v_pk_add_f32 v[86:87], v[86:87], v[114:115] neg_lo:[0,1] neg_hi:[0,1]
	s_wait_dscnt 0x0
	v_pk_mul_f32 v[114:115], v[110:111], v[102:103] op_sel:[0,1]
	s_delay_alu instid0(VALU_DEP_1) | instskip(SKIP_1) | instid1(VALU_DEP_1)
	v_pk_fma_f32 v[116:117], v[110:111], v[100:101], v[114:115] op_sel:[0,0,1] op_sel_hi:[1,1,0] neg_lo:[0,0,1] neg_hi:[0,0,1]
	v_pk_fma_f32 v[110:111], v[110:111], v[100:101], v[114:115] op_sel:[0,0,1] op_sel_hi:[1,0,0]
	v_mov_b32_e32 v117, v111
	v_pk_mul_f32 v[110:111], v[112:113], v[102:103] op_sel:[0,1]
	s_delay_alu instid0(VALU_DEP_2) | instskip(NEXT) | instid1(VALU_DEP_2)
	v_pk_add_f32 v[48:49], v[48:49], v[116:117] neg_lo:[0,1] neg_hi:[0,1]
	v_pk_fma_f32 v[114:115], v[112:113], v[100:101], v[110:111] op_sel:[0,0,1] op_sel_hi:[1,1,0] neg_lo:[0,0,1] neg_hi:[0,0,1]
	v_pk_fma_f32 v[110:111], v[112:113], v[100:101], v[110:111] op_sel:[0,0,1] op_sel_hi:[1,0,0]
	s_delay_alu instid0(VALU_DEP_1) | instskip(SKIP_4) | instid1(VALU_DEP_1)
	v_mov_b32_e32 v115, v111
	ds_load_2addr_b64 v[110:113], v104 offset0:16 offset1:17
	v_pk_add_f32 v[46:47], v[46:47], v[114:115] neg_lo:[0,1] neg_hi:[0,1]
	s_wait_dscnt 0x0
	v_pk_mul_f32 v[114:115], v[110:111], v[102:103] op_sel:[0,1]
	v_pk_fma_f32 v[116:117], v[110:111], v[100:101], v[114:115] op_sel:[0,0,1] op_sel_hi:[1,1,0] neg_lo:[0,0,1] neg_hi:[0,0,1]
	v_pk_fma_f32 v[110:111], v[110:111], v[100:101], v[114:115] op_sel:[0,0,1] op_sel_hi:[1,0,0]
	v_dual_mul_f32 v114, v113, v103 :: v_dual_mov_b32 v110, v113
	s_delay_alu instid0(VALU_DEP_2) | instskip(NEXT) | instid1(VALU_DEP_2)
	v_dual_mov_b32 v117, v111 :: v_dual_mov_b32 v111, v112
	v_pk_fma_f32 v[114:115], v[112:113], v[90:91], v[114:115] op_sel_hi:[1,1,0] neg_lo:[0,0,1] neg_hi:[0,0,1]
	v_mul_f32_e32 v112, v113, v100
	s_delay_alu instid0(VALU_DEP_3) | instskip(NEXT) | instid1(VALU_DEP_2)
	v_pk_add_f32 v[84:85], v[84:85], v[116:117] neg_lo:[0,1] neg_hi:[0,1]
	v_pk_fma_f32 v[110:111], v[110:111], v[90:91], v[112:113] op_sel_hi:[1,1,0]
	s_delay_alu instid0(VALU_DEP_1) | instskip(SKIP_4) | instid1(VALU_DEP_1)
	v_mov_b32_e32 v115, v111
	ds_load_2addr_b64 v[110:113], v104 offset0:18 offset1:19
	v_pk_add_f32 v[82:83], v[82:83], v[114:115] neg_lo:[0,1] neg_hi:[0,1]
	s_wait_dscnt 0x0
	v_pk_mul_f32 v[114:115], v[110:111], v[102:103] op_sel:[0,1]
	v_pk_fma_f32 v[116:117], v[110:111], v[100:101], v[114:115] op_sel:[0,0,1] op_sel_hi:[1,1,0] neg_lo:[0,0,1] neg_hi:[0,0,1]
	v_pk_fma_f32 v[110:111], v[110:111], v[100:101], v[114:115] op_sel:[0,0,1] op_sel_hi:[1,0,0]
	s_delay_alu instid0(VALU_DEP_1) | instskip(SKIP_1) | instid1(VALU_DEP_1)
	v_mov_b32_e32 v117, v111
	v_pk_mul_f32 v[110:111], v[112:113], v[102:103] op_sel:[0,1]
	v_pk_fma_f32 v[114:115], v[112:113], v[100:101], v[110:111] op_sel:[0,0,1] op_sel_hi:[1,1,0] neg_lo:[0,0,1] neg_hi:[0,0,1]
	v_pk_fma_f32 v[110:111], v[112:113], v[100:101], v[110:111] op_sel:[0,0,1] op_sel_hi:[1,0,0]
	s_delay_alu instid0(VALU_DEP_1)
	v_mov_b32_e32 v115, v111
	ds_load_2addr_b64 v[110:113], v104 offset0:20 offset1:21
	v_pk_add_f32 v[44:45], v[44:45], v[116:117] neg_lo:[0,1] neg_hi:[0,1]
	v_pk_add_f32 v[42:43], v[42:43], v[114:115] neg_lo:[0,1] neg_hi:[0,1]
	s_wait_dscnt 0x0
	v_pk_mul_f32 v[114:115], v[110:111], v[102:103] op_sel:[0,1]
	s_delay_alu instid0(VALU_DEP_1) | instskip(SKIP_1) | instid1(VALU_DEP_1)
	v_pk_fma_f32 v[116:117], v[110:111], v[100:101], v[114:115] op_sel:[0,0,1] op_sel_hi:[1,1,0] neg_lo:[0,0,1] neg_hi:[0,0,1]
	v_pk_fma_f32 v[110:111], v[110:111], v[100:101], v[114:115] op_sel:[0,0,1] op_sel_hi:[1,0,0]
	v_mov_b32_e32 v117, v111
	v_pk_mul_f32 v[110:111], v[112:113], v[102:103] op_sel:[0,1]
	s_delay_alu instid0(VALU_DEP_1) | instskip(SKIP_1) | instid1(VALU_DEP_1)
	v_pk_fma_f32 v[114:115], v[112:113], v[100:101], v[110:111] op_sel:[0,0,1] op_sel_hi:[1,1,0] neg_lo:[0,0,1] neg_hi:[0,0,1]
	v_pk_fma_f32 v[110:111], v[112:113], v[100:101], v[110:111] op_sel:[0,0,1] op_sel_hi:[1,0,0]
	v_mov_b32_e32 v115, v111
	ds_load_2addr_b64 v[110:113], v104 offset0:22 offset1:23
	v_pk_add_f32 v[80:81], v[80:81], v[116:117] neg_lo:[0,1] neg_hi:[0,1]
	v_pk_add_f32 v[78:79], v[78:79], v[114:115] neg_lo:[0,1] neg_hi:[0,1]
	s_wait_dscnt 0x0
	v_dual_mul_f32 v114, v111, v103 :: v_dual_mul_f32 v116, v111, v100
	s_delay_alu instid0(VALU_DEP_1) | instskip(NEXT) | instid1(VALU_DEP_2)
	v_pk_fma_f32 v[114:115], v[110:111], v[90:91], v[114:115] op_sel_hi:[1,1,0] neg_lo:[0,0,1] neg_hi:[0,0,1]
	v_pk_fma_f32 v[110:111], v[110:111], v[90:91], v[116:117] op_sel:[1,0,0] op_sel_hi:[0,1,0]
	s_delay_alu instid0(VALU_DEP_1) | instskip(SKIP_1) | instid1(VALU_DEP_2)
	v_mov_b32_e32 v115, v111
	v_pk_mul_f32 v[110:111], v[112:113], v[102:103] op_sel:[0,1]
	v_pk_add_f32 v[38:39], v[38:39], v[114:115] neg_lo:[0,1] neg_hi:[0,1]
	s_delay_alu instid0(VALU_DEP_2) | instskip(SKIP_1) | instid1(VALU_DEP_1)
	v_pk_fma_f32 v[114:115], v[112:113], v[100:101], v[110:111] op_sel:[0,0,1] op_sel_hi:[1,1,0] neg_lo:[0,0,1] neg_hi:[0,0,1]
	v_pk_fma_f32 v[110:111], v[112:113], v[100:101], v[110:111] op_sel:[0,0,1] op_sel_hi:[1,0,0]
	v_mov_b32_e32 v115, v111
	ds_load_2addr_b64 v[110:113], v104 offset0:24 offset1:25
	v_pk_add_f32 v[36:37], v[36:37], v[114:115] neg_lo:[0,1] neg_hi:[0,1]
	s_wait_dscnt 0x0
	v_pk_mul_f32 v[114:115], v[110:111], v[102:103] op_sel:[0,1]
	s_delay_alu instid0(VALU_DEP_1) | instskip(SKIP_1) | instid1(VALU_DEP_1)
	v_pk_fma_f32 v[116:117], v[110:111], v[100:101], v[114:115] op_sel:[0,0,1] op_sel_hi:[1,1,0] neg_lo:[0,0,1] neg_hi:[0,0,1]
	v_pk_fma_f32 v[110:111], v[110:111], v[100:101], v[114:115] op_sel:[0,0,1] op_sel_hi:[1,0,0]
	v_mov_b32_e32 v117, v111
	v_pk_mul_f32 v[110:111], v[112:113], v[102:103] op_sel:[0,1]
	s_delay_alu instid0(VALU_DEP_2) | instskip(NEXT) | instid1(VALU_DEP_2)
	v_pk_add_f32 v[70:71], v[70:71], v[116:117] neg_lo:[0,1] neg_hi:[0,1]
	v_pk_fma_f32 v[114:115], v[112:113], v[100:101], v[110:111] op_sel:[0,0,1] op_sel_hi:[1,1,0] neg_lo:[0,0,1] neg_hi:[0,0,1]
	v_pk_fma_f32 v[110:111], v[112:113], v[100:101], v[110:111] op_sel:[0,0,1] op_sel_hi:[1,0,0]
	s_delay_alu instid0(VALU_DEP_1) | instskip(SKIP_4) | instid1(VALU_DEP_1)
	v_mov_b32_e32 v115, v111
	ds_load_2addr_b64 v[110:113], v104 offset0:26 offset1:27
	v_pk_add_f32 v[66:67], v[66:67], v[114:115] neg_lo:[0,1] neg_hi:[0,1]
	s_wait_dscnt 0x0
	v_pk_mul_f32 v[114:115], v[110:111], v[102:103] op_sel:[0,1]
	v_pk_fma_f32 v[116:117], v[110:111], v[100:101], v[114:115] op_sel:[0,0,1] op_sel_hi:[1,1,0] neg_lo:[0,0,1] neg_hi:[0,0,1]
	v_pk_fma_f32 v[110:111], v[110:111], v[100:101], v[114:115] op_sel:[0,0,1] op_sel_hi:[1,0,0]
	v_dual_mul_f32 v114, v113, v103 :: v_dual_mov_b32 v110, v113
	s_delay_alu instid0(VALU_DEP_2) | instskip(NEXT) | instid1(VALU_DEP_2)
	v_dual_mov_b32 v117, v111 :: v_dual_mov_b32 v111, v112
	v_pk_fma_f32 v[114:115], v[112:113], v[90:91], v[114:115] op_sel_hi:[1,1,0] neg_lo:[0,0,1] neg_hi:[0,0,1]
	v_mul_f32_e32 v112, v113, v100
	s_delay_alu instid0(VALU_DEP_3) | instskip(NEXT) | instid1(VALU_DEP_2)
	v_pk_add_f32 v[26:27], v[26:27], v[116:117] neg_lo:[0,1] neg_hi:[0,1]
	v_pk_fma_f32 v[110:111], v[110:111], v[90:91], v[112:113] op_sel_hi:[1,1,0]
	s_delay_alu instid0(VALU_DEP_1) | instskip(SKIP_4) | instid1(VALU_DEP_1)
	v_mov_b32_e32 v115, v111
	ds_load_2addr_b64 v[110:113], v104 offset0:28 offset1:29
	v_pk_add_f32 v[22:23], v[22:23], v[114:115] neg_lo:[0,1] neg_hi:[0,1]
	s_wait_dscnt 0x0
	v_pk_mul_f32 v[114:115], v[110:111], v[102:103] op_sel:[0,1]
	v_pk_fma_f32 v[116:117], v[110:111], v[100:101], v[114:115] op_sel:[0,0,1] op_sel_hi:[1,1,0] neg_lo:[0,0,1] neg_hi:[0,0,1]
	v_pk_fma_f32 v[110:111], v[110:111], v[100:101], v[114:115] op_sel:[0,0,1] op_sel_hi:[1,0,0]
	s_delay_alu instid0(VALU_DEP_1) | instskip(SKIP_1) | instid1(VALU_DEP_1)
	v_mov_b32_e32 v117, v111
	v_pk_mul_f32 v[110:111], v[112:113], v[102:103] op_sel:[0,1]
	v_pk_fma_f32 v[114:115], v[112:113], v[100:101], v[110:111] op_sel:[0,0,1] op_sel_hi:[1,1,0] neg_lo:[0,0,1] neg_hi:[0,0,1]
	v_pk_fma_f32 v[110:111], v[112:113], v[100:101], v[110:111] op_sel:[0,0,1] op_sel_hi:[1,0,0]
	s_delay_alu instid0(VALU_DEP_1)
	v_mov_b32_e32 v115, v111
	ds_load_2addr_b64 v[110:113], v104 offset0:30 offset1:31
	v_pk_add_f32 v[64:65], v[64:65], v[116:117] neg_lo:[0,1] neg_hi:[0,1]
	v_pk_add_f32 v[62:63], v[62:63], v[114:115] neg_lo:[0,1] neg_hi:[0,1]
	s_wait_dscnt 0x0
	v_pk_mul_f32 v[114:115], v[110:111], v[102:103] op_sel:[0,1]
	s_delay_alu instid0(VALU_DEP_1) | instskip(SKIP_1) | instid1(VALU_DEP_1)
	v_pk_fma_f32 v[116:117], v[110:111], v[100:101], v[114:115] op_sel:[0,0,1] op_sel_hi:[1,1,0] neg_lo:[0,0,1] neg_hi:[0,0,1]
	v_pk_fma_f32 v[110:111], v[110:111], v[100:101], v[114:115] op_sel:[0,0,1] op_sel_hi:[1,0,0]
	v_mov_b32_e32 v117, v111
	v_pk_mul_f32 v[110:111], v[112:113], v[102:103] op_sel:[0,1]
	s_delay_alu instid0(VALU_DEP_1) | instskip(SKIP_1) | instid1(VALU_DEP_1)
	v_pk_fma_f32 v[114:115], v[112:113], v[100:101], v[110:111] op_sel:[0,0,1] op_sel_hi:[1,1,0] neg_lo:[0,0,1] neg_hi:[0,0,1]
	v_pk_fma_f32 v[110:111], v[112:113], v[100:101], v[110:111] op_sel:[0,0,1] op_sel_hi:[1,0,0]
	v_mov_b32_e32 v115, v111
	ds_load_2addr_b64 v[110:113], v104 offset0:32 offset1:33
	v_pk_add_f32 v[20:21], v[20:21], v[116:117] neg_lo:[0,1] neg_hi:[0,1]
	v_pk_add_f32 v[18:19], v[18:19], v[114:115] neg_lo:[0,1] neg_hi:[0,1]
	s_wait_dscnt 0x0
	v_dual_mul_f32 v114, v111, v103 :: v_dual_mul_f32 v116, v111, v100
	s_delay_alu instid0(VALU_DEP_1) | instskip(NEXT) | instid1(VALU_DEP_2)
	v_pk_fma_f32 v[114:115], v[110:111], v[90:91], v[114:115] op_sel_hi:[1,1,0] neg_lo:[0,0,1] neg_hi:[0,0,1]
	v_pk_fma_f32 v[110:111], v[110:111], v[90:91], v[116:117] op_sel:[1,0,0] op_sel_hi:[0,1,0]
	s_delay_alu instid0(VALU_DEP_1) | instskip(SKIP_1) | instid1(VALU_DEP_2)
	v_mov_b32_e32 v115, v111
	v_pk_mul_f32 v[110:111], v[112:113], v[102:103] op_sel:[0,1]
	v_pk_add_f32 v[60:61], v[60:61], v[114:115] neg_lo:[0,1] neg_hi:[0,1]
	s_delay_alu instid0(VALU_DEP_2) | instskip(SKIP_1) | instid1(VALU_DEP_1)
	v_pk_fma_f32 v[114:115], v[112:113], v[100:101], v[110:111] op_sel:[0,0,1] op_sel_hi:[1,1,0] neg_lo:[0,0,1] neg_hi:[0,0,1]
	v_pk_fma_f32 v[110:111], v[112:113], v[100:101], v[110:111] op_sel:[0,0,1] op_sel_hi:[1,0,0]
	v_mov_b32_e32 v115, v111
	ds_load_2addr_b64 v[110:113], v104 offset0:34 offset1:35
	v_pk_add_f32 v[58:59], v[58:59], v[114:115] neg_lo:[0,1] neg_hi:[0,1]
	s_wait_dscnt 0x0
	v_pk_mul_f32 v[114:115], v[110:111], v[102:103] op_sel:[0,1]
	s_delay_alu instid0(VALU_DEP_1) | instskip(SKIP_1) | instid1(VALU_DEP_1)
	v_pk_fma_f32 v[116:117], v[110:111], v[100:101], v[114:115] op_sel:[0,0,1] op_sel_hi:[1,1,0] neg_lo:[0,0,1] neg_hi:[0,0,1]
	v_pk_fma_f32 v[110:111], v[110:111], v[100:101], v[114:115] op_sel:[0,0,1] op_sel_hi:[1,0,0]
	v_mov_b32_e32 v117, v111
	v_pk_mul_f32 v[110:111], v[112:113], v[102:103] op_sel:[0,1]
	s_delay_alu instid0(VALU_DEP_2) | instskip(NEXT) | instid1(VALU_DEP_2)
	v_pk_add_f32 v[16:17], v[16:17], v[116:117] neg_lo:[0,1] neg_hi:[0,1]
	v_pk_fma_f32 v[114:115], v[112:113], v[100:101], v[110:111] op_sel:[0,0,1] op_sel_hi:[1,1,0] neg_lo:[0,0,1] neg_hi:[0,0,1]
	v_pk_fma_f32 v[110:111], v[112:113], v[100:101], v[110:111] op_sel:[0,0,1] op_sel_hi:[1,0,0]
	s_delay_alu instid0(VALU_DEP_1) | instskip(SKIP_4) | instid1(VALU_DEP_1)
	v_mov_b32_e32 v115, v111
	ds_load_2addr_b64 v[110:113], v104 offset0:36 offset1:37
	v_pk_add_f32 v[14:15], v[14:15], v[114:115] neg_lo:[0,1] neg_hi:[0,1]
	s_wait_dscnt 0x0
	v_pk_mul_f32 v[114:115], v[110:111], v[102:103] op_sel:[0,1]
	v_pk_fma_f32 v[116:117], v[110:111], v[100:101], v[114:115] op_sel:[0,0,1] op_sel_hi:[1,1,0] neg_lo:[0,0,1] neg_hi:[0,0,1]
	v_pk_fma_f32 v[110:111], v[110:111], v[100:101], v[114:115] op_sel:[0,0,1] op_sel_hi:[1,0,0]
	v_dual_mul_f32 v114, v113, v103 :: v_dual_mov_b32 v110, v113
	s_delay_alu instid0(VALU_DEP_2) | instskip(NEXT) | instid1(VALU_DEP_2)
	v_dual_mov_b32 v117, v111 :: v_dual_mov_b32 v111, v112
	v_pk_fma_f32 v[114:115], v[112:113], v[90:91], v[114:115] op_sel_hi:[1,1,0] neg_lo:[0,0,1] neg_hi:[0,0,1]
	v_mul_f32_e32 v112, v113, v100
	s_delay_alu instid0(VALU_DEP_3) | instskip(NEXT) | instid1(VALU_DEP_2)
	v_pk_add_f32 v[56:57], v[56:57], v[116:117] neg_lo:[0,1] neg_hi:[0,1]
	v_pk_fma_f32 v[110:111], v[110:111], v[90:91], v[112:113] op_sel_hi:[1,1,0]
	s_delay_alu instid0(VALU_DEP_1) | instskip(SKIP_4) | instid1(VALU_DEP_1)
	v_mov_b32_e32 v115, v111
	ds_load_2addr_b64 v[110:113], v104 offset0:38 offset1:39
	v_pk_add_f32 v[54:55], v[54:55], v[114:115] neg_lo:[0,1] neg_hi:[0,1]
	s_wait_dscnt 0x0
	v_pk_mul_f32 v[114:115], v[110:111], v[102:103] op_sel:[0,1]
	v_pk_fma_f32 v[116:117], v[110:111], v[100:101], v[114:115] op_sel:[0,0,1] op_sel_hi:[1,1,0] neg_lo:[0,0,1] neg_hi:[0,0,1]
	v_pk_fma_f32 v[110:111], v[110:111], v[100:101], v[114:115] op_sel:[0,0,1] op_sel_hi:[1,0,0]
	s_delay_alu instid0(VALU_DEP_1) | instskip(SKIP_1) | instid1(VALU_DEP_1)
	v_mov_b32_e32 v117, v111
	v_pk_mul_f32 v[110:111], v[112:113], v[102:103] op_sel:[0,1]
	v_pk_fma_f32 v[114:115], v[112:113], v[100:101], v[110:111] op_sel:[0,0,1] op_sel_hi:[1,1,0] neg_lo:[0,0,1] neg_hi:[0,0,1]
	v_pk_fma_f32 v[110:111], v[112:113], v[100:101], v[110:111] op_sel:[0,0,1] op_sel_hi:[1,0,0]
	s_delay_alu instid0(VALU_DEP_1)
	v_mov_b32_e32 v115, v111
	ds_load_2addr_b64 v[110:113], v104 offset0:40 offset1:41
	v_pk_add_f32 v[10:11], v[10:11], v[116:117] neg_lo:[0,1] neg_hi:[0,1]
	v_pk_add_f32 v[6:7], v[6:7], v[114:115] neg_lo:[0,1] neg_hi:[0,1]
	s_wait_dscnt 0x0
	v_pk_mul_f32 v[114:115], v[110:111], v[102:103] op_sel:[0,1]
	s_delay_alu instid0(VALU_DEP_1) | instskip(SKIP_1) | instid1(VALU_DEP_1)
	v_pk_fma_f32 v[116:117], v[110:111], v[100:101], v[114:115] op_sel:[0,0,1] op_sel_hi:[1,1,0] neg_lo:[0,0,1] neg_hi:[0,0,1]
	v_pk_fma_f32 v[110:111], v[110:111], v[100:101], v[114:115] op_sel:[0,0,1] op_sel_hi:[1,0,0]
	v_mov_b32_e32 v117, v111
	v_pk_mul_f32 v[110:111], v[112:113], v[102:103] op_sel:[0,1]
	s_delay_alu instid0(VALU_DEP_1) | instskip(SKIP_1) | instid1(VALU_DEP_1)
	v_pk_fma_f32 v[114:115], v[112:113], v[100:101], v[110:111] op_sel:[0,0,1] op_sel_hi:[1,1,0] neg_lo:[0,0,1] neg_hi:[0,0,1]
	v_pk_fma_f32 v[110:111], v[112:113], v[100:101], v[110:111] op_sel:[0,0,1] op_sel_hi:[1,0,0]
	v_mov_b32_e32 v115, v111
	ds_load_2addr_b64 v[110:113], v104 offset0:42 offset1:43
	v_pk_add_f32 v[52:53], v[52:53], v[116:117] neg_lo:[0,1] neg_hi:[0,1]
	v_pk_add_f32 v[50:51], v[50:51], v[114:115] neg_lo:[0,1] neg_hi:[0,1]
	s_wait_dscnt 0x0
	v_dual_mul_f32 v114, v111, v103 :: v_dual_mul_f32 v116, v111, v100
	s_delay_alu instid0(VALU_DEP_1) | instskip(NEXT) | instid1(VALU_DEP_2)
	v_pk_fma_f32 v[114:115], v[110:111], v[90:91], v[114:115] op_sel_hi:[1,1,0] neg_lo:[0,0,1] neg_hi:[0,0,1]
	v_pk_fma_f32 v[110:111], v[110:111], v[90:91], v[116:117] op_sel:[1,0,0] op_sel_hi:[0,1,0]
	s_delay_alu instid0(VALU_DEP_1) | instskip(SKIP_1) | instid1(VALU_DEP_2)
	v_mov_b32_e32 v115, v111
	v_pk_mul_f32 v[110:111], v[112:113], v[102:103] op_sel:[0,1]
	v_pk_add_f32 v[8:9], v[8:9], v[114:115] neg_lo:[0,1] neg_hi:[0,1]
	s_delay_alu instid0(VALU_DEP_2) | instskip(SKIP_1) | instid1(VALU_DEP_1)
	v_pk_fma_f32 v[114:115], v[112:113], v[100:101], v[110:111] op_sel:[0,0,1] op_sel_hi:[1,1,0] neg_lo:[0,0,1] neg_hi:[0,0,1]
	v_pk_fma_f32 v[110:111], v[112:113], v[100:101], v[110:111] op_sel:[0,0,1] op_sel_hi:[1,0,0]
	v_mov_b32_e32 v115, v111
	ds_load_2addr_b64 v[110:113], v104 offset0:44 offset1:45
	v_pk_add_f32 v[40:41], v[40:41], v[114:115] neg_lo:[0,1] neg_hi:[0,1]
	s_wait_dscnt 0x0
	v_pk_mul_f32 v[114:115], v[110:111], v[102:103] op_sel:[0,1]
	s_delay_alu instid0(VALU_DEP_1) | instskip(SKIP_1) | instid1(VALU_DEP_1)
	v_pk_fma_f32 v[116:117], v[110:111], v[100:101], v[114:115] op_sel:[0,0,1] op_sel_hi:[1,1,0] neg_lo:[0,0,1] neg_hi:[0,0,1]
	v_pk_fma_f32 v[110:111], v[110:111], v[100:101], v[114:115] op_sel:[0,0,1] op_sel_hi:[1,0,0]
	v_mov_b32_e32 v117, v111
	v_pk_mul_f32 v[110:111], v[112:113], v[102:103] op_sel:[0,1]
	s_delay_alu instid0(VALU_DEP_2) | instskip(NEXT) | instid1(VALU_DEP_2)
	v_pk_add_f32 v[30:31], v[30:31], v[116:117] neg_lo:[0,1] neg_hi:[0,1]
	v_pk_fma_f32 v[114:115], v[112:113], v[100:101], v[110:111] op_sel:[0,0,1] op_sel_hi:[1,1,0] neg_lo:[0,0,1] neg_hi:[0,0,1]
	v_pk_fma_f32 v[110:111], v[112:113], v[100:101], v[110:111] op_sel:[0,0,1] op_sel_hi:[1,0,0]
	s_delay_alu instid0(VALU_DEP_1) | instskip(SKIP_4) | instid1(VALU_DEP_1)
	v_mov_b32_e32 v115, v111
	ds_load_b64 v[110:111], v104 offset:368
	v_pk_add_f32 v[12:13], v[12:13], v[114:115] neg_lo:[0,1] neg_hi:[0,1]
	s_wait_dscnt 0x0
	v_pk_mul_f32 v[102:103], v[110:111], v[102:103] op_sel:[0,1]
	v_pk_fma_f32 v[112:113], v[110:111], v[100:101], v[102:103] op_sel:[0,0,1] op_sel_hi:[1,1,0] neg_lo:[0,0,1] neg_hi:[0,0,1]
	v_pk_fma_f32 v[100:101], v[110:111], v[100:101], v[102:103] op_sel:[0,0,1] op_sel_hi:[1,0,0]
	s_delay_alu instid0(VALU_DEP_1) | instskip(NEXT) | instid1(VALU_DEP_1)
	v_mov_b32_e32 v113, v101
	v_pk_add_f32 v[98:99], v[98:99], v[112:113] neg_lo:[0,1] neg_hi:[0,1]
.LBB92_83:
	s_or_b32 exec_lo, exec_lo, s0
	v_lshl_add_u32 v100, v108, 3, v104
	s_barrier_signal -1
	s_barrier_wait -1
	ds_store_b64 v100, v[72:73]
	s_wait_dscnt 0x0
	s_barrier_signal -1
	s_barrier_wait -1
	ds_load_b64 v[102:103], v104 offset:32
	v_mov_b32_e32 v100, 4
	s_cmp_lt_i32 s18, 6
	s_cbranch_scc1 .LBB92_86
; %bb.84:
	v_add3_u32 v101, v105, 0, 40
	v_mov_b32_e32 v100, 4
	s_mov_b32 s0, 5
.LBB92_85:                              ; =>This Inner Loop Header: Depth=1
	ds_load_b64 v[110:111], v101
	s_wait_dscnt 0x1
	v_cmp_gt_f32_e32 vcc_lo, 0, v102
	v_cndmask_b32_e64 v112, v102, -v102, vcc_lo
	v_cmp_gt_f32_e32 vcc_lo, 0, v103
	v_cndmask_b32_e64 v114, v103, -v103, vcc_lo
	s_wait_dscnt 0x0
	v_cmp_gt_f32_e32 vcc_lo, 0, v110
	v_cndmask_b32_e64 v113, v110, -v110, vcc_lo
	v_cmp_gt_f32_e32 vcc_lo, 0, v111
	v_cndmask_b32_e64 v115, v111, -v111, vcc_lo
	s_delay_alu instid0(VALU_DEP_1) | instskip(NEXT) | instid1(VALU_DEP_1)
	v_pk_add_f32 v[112:113], v[112:113], v[114:115]
	v_cmp_lt_f32_e32 vcc_lo, v112, v113
	v_dual_add_nc_u32 v101, 8, v101 :: v_dual_cndmask_b32 v103, v103, v111, vcc_lo
	v_cndmask_b32_e32 v102, v102, v110, vcc_lo
	v_cndmask_b32_e64 v100, v100, s0, vcc_lo
	s_add_co_i32 s0, s0, 1
	s_delay_alu instid0(SALU_CYCLE_1)
	s_cmp_lg_u32 s18, s0
	s_cbranch_scc1 .LBB92_85
.LBB92_86:
	s_wait_dscnt 0x0
	v_cmp_eq_f32_e32 vcc_lo, 0, v102
	v_cmp_eq_f32_e64 s0, 0, v103
	s_and_b32 s0, vcc_lo, s0
	s_delay_alu instid0(SALU_CYCLE_1) | instskip(NEXT) | instid1(SALU_CYCLE_1)
	s_and_saveexec_b32 s1, s0
	s_xor_b32 s0, exec_lo, s1
; %bb.87:
	v_cmp_ne_u32_e32 vcc_lo, 0, v106
	v_cndmask_b32_e32 v106, 5, v106, vcc_lo
; %bb.88:
	s_and_not1_saveexec_b32 s0, s0
	s_cbranch_execz .LBB92_94
; %bb.89:
	v_cmp_ngt_f32_e64 s1, |v102|, |v103|
	s_and_saveexec_b32 s12, s1
	s_delay_alu instid0(SALU_CYCLE_1)
	s_xor_b32 s1, exec_lo, s12
	s_cbranch_execz .LBB92_91
; %bb.90:
	v_div_scale_f32 v101, null, v103, v103, v102
	v_div_scale_f32 v111, vcc_lo, v102, v103, v102
	s_delay_alu instid0(VALU_DEP_2) | instskip(SKIP_1) | instid1(TRANS32_DEP_1)
	v_rcp_f32_e32 v109, v101
	v_nop
	v_fma_f32 v110, -v101, v109, 1.0
	s_delay_alu instid0(VALU_DEP_1) | instskip(NEXT) | instid1(VALU_DEP_1)
	v_fmac_f32_e32 v109, v110, v109
	v_mul_f32_e32 v110, v111, v109
	s_delay_alu instid0(VALU_DEP_1) | instskip(NEXT) | instid1(VALU_DEP_1)
	v_fma_f32 v112, -v101, v110, v111
	v_fmac_f32_e32 v110, v112, v109
	s_delay_alu instid0(VALU_DEP_1) | instskip(NEXT) | instid1(VALU_DEP_1)
	v_fma_f32 v101, -v101, v110, v111
	v_div_fmas_f32 v101, v101, v109, v110
	s_delay_alu instid0(VALU_DEP_1) | instskip(NEXT) | instid1(VALU_DEP_1)
	v_div_fixup_f32 v101, v101, v103, v102
	v_fmac_f32_e32 v103, v102, v101
	s_delay_alu instid0(VALU_DEP_1) | instskip(SKIP_1) | instid1(VALU_DEP_2)
	v_div_scale_f32 v102, null, v103, v103, 1.0
	v_div_scale_f32 v111, vcc_lo, 1.0, v103, 1.0
	v_rcp_f32_e32 v109, v102
	v_nop
	s_delay_alu instid0(TRANS32_DEP_1) | instskip(NEXT) | instid1(VALU_DEP_1)
	v_fma_f32 v110, -v102, v109, 1.0
	v_fmac_f32_e32 v109, v110, v109
	s_delay_alu instid0(VALU_DEP_1) | instskip(NEXT) | instid1(VALU_DEP_1)
	v_mul_f32_e32 v110, v111, v109
	v_fma_f32 v112, -v102, v110, v111
	s_delay_alu instid0(VALU_DEP_1) | instskip(NEXT) | instid1(VALU_DEP_1)
	v_fmac_f32_e32 v110, v112, v109
	v_fma_f32 v102, -v102, v110, v111
	s_delay_alu instid0(VALU_DEP_1) | instskip(NEXT) | instid1(VALU_DEP_1)
	v_div_fmas_f32 v102, v102, v109, v110
	v_div_fixup_f32 v103, v102, v103, 1.0
	s_delay_alu instid0(VALU_DEP_1)
	v_mul_f32_e32 v102, v101, v103
	v_xor_b32_e32 v103, 0x80000000, v103
.LBB92_91:
	s_and_not1_saveexec_b32 s1, s1
	s_cbranch_execz .LBB92_93
; %bb.92:
	s_delay_alu instid0(VALU_DEP_1) | instskip(SKIP_1) | instid1(VALU_DEP_2)
	v_div_scale_f32 v101, null, v102, v102, v103
	v_div_scale_f32 v111, vcc_lo, v103, v102, v103
	v_rcp_f32_e32 v109, v101
	v_nop
	s_delay_alu instid0(TRANS32_DEP_1) | instskip(NEXT) | instid1(VALU_DEP_1)
	v_fma_f32 v110, -v101, v109, 1.0
	v_fmac_f32_e32 v109, v110, v109
	s_delay_alu instid0(VALU_DEP_1) | instskip(NEXT) | instid1(VALU_DEP_1)
	v_mul_f32_e32 v110, v111, v109
	v_fma_f32 v112, -v101, v110, v111
	s_delay_alu instid0(VALU_DEP_1) | instskip(NEXT) | instid1(VALU_DEP_1)
	v_fmac_f32_e32 v110, v112, v109
	v_fma_f32 v101, -v101, v110, v111
	s_delay_alu instid0(VALU_DEP_1) | instskip(NEXT) | instid1(VALU_DEP_1)
	v_div_fmas_f32 v101, v101, v109, v110
	v_div_fixup_f32 v101, v101, v102, v103
	s_delay_alu instid0(VALU_DEP_1) | instskip(NEXT) | instid1(VALU_DEP_1)
	v_fmac_f32_e32 v102, v103, v101
	v_div_scale_f32 v103, null, v102, v102, 1.0
	s_delay_alu instid0(VALU_DEP_1) | instskip(SKIP_1) | instid1(TRANS32_DEP_1)
	v_rcp_f32_e32 v109, v103
	v_nop
	v_fma_f32 v110, -v103, v109, 1.0
	s_delay_alu instid0(VALU_DEP_1) | instskip(SKIP_1) | instid1(VALU_DEP_1)
	v_fmac_f32_e32 v109, v110, v109
	v_div_scale_f32 v110, vcc_lo, 1.0, v102, 1.0
	v_mul_f32_e32 v111, v110, v109
	s_delay_alu instid0(VALU_DEP_1) | instskip(NEXT) | instid1(VALU_DEP_1)
	v_fma_f32 v112, -v103, v111, v110
	v_fmac_f32_e32 v111, v112, v109
	s_delay_alu instid0(VALU_DEP_1) | instskip(NEXT) | instid1(VALU_DEP_1)
	v_fma_f32 v103, -v103, v111, v110
	v_div_fmas_f32 v103, v103, v109, v111
	s_delay_alu instid0(VALU_DEP_1) | instskip(NEXT) | instid1(VALU_DEP_1)
	v_div_fixup_f32 v102, v103, v102, 1.0
	v_mul_f32_e64 v103, v101, -v102
.LBB92_93:
	s_or_b32 exec_lo, exec_lo, s1
.LBB92_94:
	s_delay_alu instid0(SALU_CYCLE_1) | instskip(NEXT) | instid1(SALU_CYCLE_1)
	s_or_b32 exec_lo, exec_lo, s0
	s_mov_b32 s0, exec_lo
	v_cmpx_ne_u32_e64 v108, v100
	s_xor_b32 s0, exec_lo, s0
	s_cbranch_execz .LBB92_100
; %bb.95:
	s_mov_b32 s1, exec_lo
	v_cmpx_eq_u32_e32 4, v108
	s_cbranch_execz .LBB92_99
; %bb.96:
	v_cmp_ne_u32_e32 vcc_lo, 4, v100
	s_xor_b32 s12, s16, -1
	s_delay_alu instid0(SALU_CYCLE_1) | instskip(NEXT) | instid1(SALU_CYCLE_1)
	s_and_b32 s13, s12, vcc_lo
	s_and_saveexec_b32 s12, s13
	s_cbranch_execz .LBB92_98
; %bb.97:
	v_ashrrev_i32_e32 v101, 31, v100
	s_delay_alu instid0(VALU_DEP_1)
	v_lshl_add_u64 v[108:109], v[100:101], 2, v[4:5]
	s_clause 0x1
	global_load_b32 v101, v[108:109], off
	global_load_b32 v107, v[4:5], off offset:16
	s_wait_loadcnt 0x1
	global_store_b32 v[4:5], v101, off offset:16
	s_wait_loadcnt 0x0
	global_store_b32 v[108:109], v107, off
.LBB92_98:
	s_wait_xcnt 0x0
	s_or_b32 exec_lo, exec_lo, s12
	v_dual_mov_b32 v108, v100 :: v_dual_mov_b32 v107, v100
.LBB92_99:
	s_or_b32 exec_lo, exec_lo, s1
.LBB92_100:
	s_and_not1_saveexec_b32 s0, s0
	s_cbranch_execz .LBB92_102
; %bb.101:
	v_mov_b32_e32 v108, 4
	ds_store_2addr_b64 v104, v[68:69], v[28:29] offset0:5 offset1:6
	ds_store_2addr_b64 v104, v[24:25], v[76:77] offset0:7 offset1:8
	;; [unrolled: 1-line block ×21, first 2 shown]
.LBB92_102:
	s_or_b32 exec_lo, exec_lo, s0
	s_delay_alu instid0(SALU_CYCLE_1)
	s_mov_b32 s0, exec_lo
	s_wait_storecnt_dscnt 0x0
	s_barrier_signal -1
	s_barrier_wait -1
	v_cmpx_lt_i32_e32 4, v108
	s_cbranch_execz .LBB92_104
; %bb.103:
	v_pk_mul_f32 v[110:111], v[102:103], v[72:73] op_sel:[1,1] op_sel_hi:[0,1]
	s_delay_alu instid0(VALU_DEP_1)
	v_pk_fma_f32 v[100:101], v[102:103], v[72:73], v[110:111] op_sel_hi:[1,0,1] neg_lo:[0,0,1] neg_hi:[0,0,1]
	v_pk_fma_f32 v[102:103], v[102:103], v[72:73], v[110:111] op_sel_hi:[1,0,1]
	ds_load_2addr_b64 v[110:113], v104 offset0:5 offset1:6
	v_dual_mov_b32 v72, v100 :: v_dual_mov_b32 v73, v103
	s_wait_dscnt 0x0
	v_pk_mul_f32 v[114:115], v[110:111], v[102:103] op_sel:[0,1]
	s_delay_alu instid0(VALU_DEP_1) | instskip(SKIP_1) | instid1(VALU_DEP_1)
	v_pk_fma_f32 v[116:117], v[110:111], v[100:101], v[114:115] op_sel:[0,0,1] op_sel_hi:[1,1,0] neg_lo:[0,0,1] neg_hi:[0,0,1]
	v_pk_fma_f32 v[110:111], v[110:111], v[100:101], v[114:115] op_sel:[0,0,1] op_sel_hi:[1,0,0]
	v_mov_b32_e32 v117, v111
	v_pk_mul_f32 v[110:111], v[112:113], v[102:103] op_sel:[0,1]
	s_delay_alu instid0(VALU_DEP_1) | instskip(SKIP_1) | instid1(VALU_DEP_1)
	v_pk_fma_f32 v[114:115], v[112:113], v[100:101], v[110:111] op_sel:[0,0,1] op_sel_hi:[1,1,0] neg_lo:[0,0,1] neg_hi:[0,0,1]
	v_pk_fma_f32 v[110:111], v[112:113], v[100:101], v[110:111] op_sel:[0,0,1] op_sel_hi:[1,0,0]
	v_mov_b32_e32 v115, v111
	ds_load_2addr_b64 v[110:113], v104 offset0:7 offset1:8
	v_pk_add_f32 v[68:69], v[68:69], v[116:117] neg_lo:[0,1] neg_hi:[0,1]
	v_pk_add_f32 v[28:29], v[28:29], v[114:115] neg_lo:[0,1] neg_hi:[0,1]
	s_wait_dscnt 0x0
	v_pk_mul_f32 v[114:115], v[110:111], v[102:103] op_sel:[0,1]
	s_delay_alu instid0(VALU_DEP_1) | instskip(SKIP_2) | instid1(VALU_DEP_2)
	v_pk_fma_f32 v[116:117], v[110:111], v[100:101], v[114:115] op_sel:[0,0,1] op_sel_hi:[1,1,0] neg_lo:[0,0,1] neg_hi:[0,0,1]
	v_pk_fma_f32 v[110:111], v[110:111], v[100:101], v[114:115] op_sel:[0,0,1] op_sel_hi:[1,0,0]
	v_dual_mul_f32 v114, v113, v103 :: v_dual_mov_b32 v110, v113
	v_dual_mov_b32 v117, v111 :: v_dual_mov_b32 v111, v112
	s_delay_alu instid0(VALU_DEP_2) | instskip(SKIP_1) | instid1(VALU_DEP_3)
	v_pk_fma_f32 v[114:115], v[112:113], v[72:73], v[114:115] op_sel_hi:[1,1,0] neg_lo:[0,0,1] neg_hi:[0,0,1]
	v_mul_f32_e32 v112, v113, v100
	v_pk_add_f32 v[24:25], v[24:25], v[116:117] neg_lo:[0,1] neg_hi:[0,1]
	s_delay_alu instid0(VALU_DEP_2) | instskip(NEXT) | instid1(VALU_DEP_1)
	v_pk_fma_f32 v[110:111], v[110:111], v[72:73], v[112:113] op_sel_hi:[1,1,0]
	v_mov_b32_e32 v115, v111
	ds_load_2addr_b64 v[110:113], v104 offset0:9 offset1:10
	v_pk_add_f32 v[76:77], v[76:77], v[114:115] neg_lo:[0,1] neg_hi:[0,1]
	s_wait_dscnt 0x0
	v_pk_mul_f32 v[114:115], v[110:111], v[102:103] op_sel:[0,1]
	s_delay_alu instid0(VALU_DEP_1) | instskip(SKIP_1) | instid1(VALU_DEP_1)
	v_pk_fma_f32 v[116:117], v[110:111], v[100:101], v[114:115] op_sel:[0,0,1] op_sel_hi:[1,1,0] neg_lo:[0,0,1] neg_hi:[0,0,1]
	v_pk_fma_f32 v[110:111], v[110:111], v[100:101], v[114:115] op_sel:[0,0,1] op_sel_hi:[1,0,0]
	v_mov_b32_e32 v117, v111
	v_pk_mul_f32 v[110:111], v[112:113], v[102:103] op_sel:[0,1]
	s_delay_alu instid0(VALU_DEP_1) | instskip(SKIP_1) | instid1(VALU_DEP_1)
	v_pk_fma_f32 v[114:115], v[112:113], v[100:101], v[110:111] op_sel:[0,0,1] op_sel_hi:[1,1,0] neg_lo:[0,0,1] neg_hi:[0,0,1]
	v_pk_fma_f32 v[110:111], v[112:113], v[100:101], v[110:111] op_sel:[0,0,1] op_sel_hi:[1,0,0]
	v_mov_b32_e32 v115, v111
	ds_load_2addr_b64 v[110:113], v104 offset0:11 offset1:12
	v_pk_add_f32 v[74:75], v[74:75], v[116:117] neg_lo:[0,1] neg_hi:[0,1]
	v_pk_add_f32 v[34:35], v[34:35], v[114:115] neg_lo:[0,1] neg_hi:[0,1]
	s_wait_dscnt 0x0
	v_pk_mul_f32 v[114:115], v[110:111], v[102:103] op_sel:[0,1]
	s_delay_alu instid0(VALU_DEP_1) | instskip(SKIP_1) | instid1(VALU_DEP_1)
	v_pk_fma_f32 v[116:117], v[110:111], v[100:101], v[114:115] op_sel:[0,0,1] op_sel_hi:[1,1,0] neg_lo:[0,0,1] neg_hi:[0,0,1]
	v_pk_fma_f32 v[110:111], v[110:111], v[100:101], v[114:115] op_sel:[0,0,1] op_sel_hi:[1,0,0]
	v_mov_b32_e32 v117, v111
	v_pk_mul_f32 v[110:111], v[112:113], v[102:103] op_sel:[0,1]
	s_delay_alu instid0(VALU_DEP_1) | instskip(SKIP_1) | instid1(VALU_DEP_1)
	v_pk_fma_f32 v[114:115], v[112:113], v[100:101], v[110:111] op_sel:[0,0,1] op_sel_hi:[1,1,0] neg_lo:[0,0,1] neg_hi:[0,0,1]
	v_pk_fma_f32 v[110:111], v[112:113], v[100:101], v[110:111] op_sel:[0,0,1] op_sel_hi:[1,0,0]
	v_mov_b32_e32 v115, v111
	ds_load_2addr_b64 v[110:113], v104 offset0:13 offset1:14
	v_pk_add_f32 v[32:33], v[32:33], v[116:117] neg_lo:[0,1] neg_hi:[0,1]
	v_pk_add_f32 v[88:89], v[88:89], v[114:115] neg_lo:[0,1] neg_hi:[0,1]
	s_wait_dscnt 0x0
	v_dual_mul_f32 v114, v111, v103 :: v_dual_mul_f32 v116, v111, v100
	s_delay_alu instid0(VALU_DEP_1) | instskip(NEXT) | instid1(VALU_DEP_2)
	v_pk_fma_f32 v[114:115], v[110:111], v[72:73], v[114:115] op_sel_hi:[1,1,0] neg_lo:[0,0,1] neg_hi:[0,0,1]
	v_pk_fma_f32 v[110:111], v[110:111], v[72:73], v[116:117] op_sel:[1,0,0] op_sel_hi:[0,1,0]
	s_delay_alu instid0(VALU_DEP_1) | instskip(SKIP_1) | instid1(VALU_DEP_2)
	v_mov_b32_e32 v115, v111
	v_pk_mul_f32 v[110:111], v[112:113], v[102:103] op_sel:[0,1]
	v_pk_add_f32 v[86:87], v[86:87], v[114:115] neg_lo:[0,1] neg_hi:[0,1]
	s_delay_alu instid0(VALU_DEP_2) | instskip(SKIP_1) | instid1(VALU_DEP_1)
	v_pk_fma_f32 v[114:115], v[112:113], v[100:101], v[110:111] op_sel:[0,0,1] op_sel_hi:[1,1,0] neg_lo:[0,0,1] neg_hi:[0,0,1]
	v_pk_fma_f32 v[110:111], v[112:113], v[100:101], v[110:111] op_sel:[0,0,1] op_sel_hi:[1,0,0]
	v_mov_b32_e32 v115, v111
	ds_load_2addr_b64 v[110:113], v104 offset0:15 offset1:16
	v_pk_add_f32 v[48:49], v[48:49], v[114:115] neg_lo:[0,1] neg_hi:[0,1]
	s_wait_dscnt 0x0
	v_pk_mul_f32 v[114:115], v[110:111], v[102:103] op_sel:[0,1]
	s_delay_alu instid0(VALU_DEP_1) | instskip(SKIP_1) | instid1(VALU_DEP_1)
	v_pk_fma_f32 v[116:117], v[110:111], v[100:101], v[114:115] op_sel:[0,0,1] op_sel_hi:[1,1,0] neg_lo:[0,0,1] neg_hi:[0,0,1]
	v_pk_fma_f32 v[110:111], v[110:111], v[100:101], v[114:115] op_sel:[0,0,1] op_sel_hi:[1,0,0]
	v_mov_b32_e32 v117, v111
	v_pk_mul_f32 v[110:111], v[112:113], v[102:103] op_sel:[0,1]
	s_delay_alu instid0(VALU_DEP_2) | instskip(NEXT) | instid1(VALU_DEP_2)
	v_pk_add_f32 v[46:47], v[46:47], v[116:117] neg_lo:[0,1] neg_hi:[0,1]
	v_pk_fma_f32 v[114:115], v[112:113], v[100:101], v[110:111] op_sel:[0,0,1] op_sel_hi:[1,1,0] neg_lo:[0,0,1] neg_hi:[0,0,1]
	v_pk_fma_f32 v[110:111], v[112:113], v[100:101], v[110:111] op_sel:[0,0,1] op_sel_hi:[1,0,0]
	s_delay_alu instid0(VALU_DEP_1) | instskip(SKIP_4) | instid1(VALU_DEP_1)
	v_mov_b32_e32 v115, v111
	ds_load_2addr_b64 v[110:113], v104 offset0:17 offset1:18
	v_pk_add_f32 v[84:85], v[84:85], v[114:115] neg_lo:[0,1] neg_hi:[0,1]
	s_wait_dscnt 0x0
	v_pk_mul_f32 v[114:115], v[110:111], v[102:103] op_sel:[0,1]
	v_pk_fma_f32 v[116:117], v[110:111], v[100:101], v[114:115] op_sel:[0,0,1] op_sel_hi:[1,1,0] neg_lo:[0,0,1] neg_hi:[0,0,1]
	v_pk_fma_f32 v[110:111], v[110:111], v[100:101], v[114:115] op_sel:[0,0,1] op_sel_hi:[1,0,0]
	v_dual_mul_f32 v114, v113, v103 :: v_dual_mov_b32 v110, v113
	s_delay_alu instid0(VALU_DEP_2) | instskip(NEXT) | instid1(VALU_DEP_2)
	v_dual_mov_b32 v117, v111 :: v_dual_mov_b32 v111, v112
	v_pk_fma_f32 v[114:115], v[112:113], v[72:73], v[114:115] op_sel_hi:[1,1,0] neg_lo:[0,0,1] neg_hi:[0,0,1]
	v_mul_f32_e32 v112, v113, v100
	s_delay_alu instid0(VALU_DEP_3) | instskip(NEXT) | instid1(VALU_DEP_2)
	v_pk_add_f32 v[82:83], v[82:83], v[116:117] neg_lo:[0,1] neg_hi:[0,1]
	v_pk_fma_f32 v[110:111], v[110:111], v[72:73], v[112:113] op_sel_hi:[1,1,0]
	s_delay_alu instid0(VALU_DEP_1) | instskip(SKIP_4) | instid1(VALU_DEP_1)
	v_mov_b32_e32 v115, v111
	ds_load_2addr_b64 v[110:113], v104 offset0:19 offset1:20
	v_pk_add_f32 v[44:45], v[44:45], v[114:115] neg_lo:[0,1] neg_hi:[0,1]
	s_wait_dscnt 0x0
	v_pk_mul_f32 v[114:115], v[110:111], v[102:103] op_sel:[0,1]
	v_pk_fma_f32 v[116:117], v[110:111], v[100:101], v[114:115] op_sel:[0,0,1] op_sel_hi:[1,1,0] neg_lo:[0,0,1] neg_hi:[0,0,1]
	v_pk_fma_f32 v[110:111], v[110:111], v[100:101], v[114:115] op_sel:[0,0,1] op_sel_hi:[1,0,0]
	s_delay_alu instid0(VALU_DEP_1) | instskip(SKIP_1) | instid1(VALU_DEP_1)
	v_mov_b32_e32 v117, v111
	v_pk_mul_f32 v[110:111], v[112:113], v[102:103] op_sel:[0,1]
	v_pk_fma_f32 v[114:115], v[112:113], v[100:101], v[110:111] op_sel:[0,0,1] op_sel_hi:[1,1,0] neg_lo:[0,0,1] neg_hi:[0,0,1]
	v_pk_fma_f32 v[110:111], v[112:113], v[100:101], v[110:111] op_sel:[0,0,1] op_sel_hi:[1,0,0]
	s_delay_alu instid0(VALU_DEP_1)
	v_mov_b32_e32 v115, v111
	ds_load_2addr_b64 v[110:113], v104 offset0:21 offset1:22
	v_pk_add_f32 v[42:43], v[42:43], v[116:117] neg_lo:[0,1] neg_hi:[0,1]
	v_pk_add_f32 v[80:81], v[80:81], v[114:115] neg_lo:[0,1] neg_hi:[0,1]
	s_wait_dscnt 0x0
	v_pk_mul_f32 v[114:115], v[110:111], v[102:103] op_sel:[0,1]
	s_delay_alu instid0(VALU_DEP_1) | instskip(SKIP_1) | instid1(VALU_DEP_1)
	v_pk_fma_f32 v[116:117], v[110:111], v[100:101], v[114:115] op_sel:[0,0,1] op_sel_hi:[1,1,0] neg_lo:[0,0,1] neg_hi:[0,0,1]
	v_pk_fma_f32 v[110:111], v[110:111], v[100:101], v[114:115] op_sel:[0,0,1] op_sel_hi:[1,0,0]
	v_mov_b32_e32 v117, v111
	v_pk_mul_f32 v[110:111], v[112:113], v[102:103] op_sel:[0,1]
	s_delay_alu instid0(VALU_DEP_1) | instskip(SKIP_1) | instid1(VALU_DEP_1)
	v_pk_fma_f32 v[114:115], v[112:113], v[100:101], v[110:111] op_sel:[0,0,1] op_sel_hi:[1,1,0] neg_lo:[0,0,1] neg_hi:[0,0,1]
	v_pk_fma_f32 v[110:111], v[112:113], v[100:101], v[110:111] op_sel:[0,0,1] op_sel_hi:[1,0,0]
	v_mov_b32_e32 v115, v111
	ds_load_2addr_b64 v[110:113], v104 offset0:23 offset1:24
	v_pk_add_f32 v[78:79], v[78:79], v[116:117] neg_lo:[0,1] neg_hi:[0,1]
	v_pk_add_f32 v[38:39], v[38:39], v[114:115] neg_lo:[0,1] neg_hi:[0,1]
	s_wait_dscnt 0x0
	v_dual_mul_f32 v114, v111, v103 :: v_dual_mul_f32 v116, v111, v100
	s_delay_alu instid0(VALU_DEP_1) | instskip(NEXT) | instid1(VALU_DEP_2)
	v_pk_fma_f32 v[114:115], v[110:111], v[72:73], v[114:115] op_sel_hi:[1,1,0] neg_lo:[0,0,1] neg_hi:[0,0,1]
	v_pk_fma_f32 v[110:111], v[110:111], v[72:73], v[116:117] op_sel:[1,0,0] op_sel_hi:[0,1,0]
	s_delay_alu instid0(VALU_DEP_1) | instskip(SKIP_1) | instid1(VALU_DEP_2)
	v_mov_b32_e32 v115, v111
	v_pk_mul_f32 v[110:111], v[112:113], v[102:103] op_sel:[0,1]
	v_pk_add_f32 v[36:37], v[36:37], v[114:115] neg_lo:[0,1] neg_hi:[0,1]
	s_delay_alu instid0(VALU_DEP_2) | instskip(SKIP_1) | instid1(VALU_DEP_1)
	v_pk_fma_f32 v[114:115], v[112:113], v[100:101], v[110:111] op_sel:[0,0,1] op_sel_hi:[1,1,0] neg_lo:[0,0,1] neg_hi:[0,0,1]
	v_pk_fma_f32 v[110:111], v[112:113], v[100:101], v[110:111] op_sel:[0,0,1] op_sel_hi:[1,0,0]
	v_mov_b32_e32 v115, v111
	ds_load_2addr_b64 v[110:113], v104 offset0:25 offset1:26
	v_pk_add_f32 v[70:71], v[70:71], v[114:115] neg_lo:[0,1] neg_hi:[0,1]
	s_wait_dscnt 0x0
	v_pk_mul_f32 v[114:115], v[110:111], v[102:103] op_sel:[0,1]
	s_delay_alu instid0(VALU_DEP_1) | instskip(SKIP_1) | instid1(VALU_DEP_1)
	v_pk_fma_f32 v[116:117], v[110:111], v[100:101], v[114:115] op_sel:[0,0,1] op_sel_hi:[1,1,0] neg_lo:[0,0,1] neg_hi:[0,0,1]
	v_pk_fma_f32 v[110:111], v[110:111], v[100:101], v[114:115] op_sel:[0,0,1] op_sel_hi:[1,0,0]
	v_mov_b32_e32 v117, v111
	v_pk_mul_f32 v[110:111], v[112:113], v[102:103] op_sel:[0,1]
	s_delay_alu instid0(VALU_DEP_2) | instskip(NEXT) | instid1(VALU_DEP_2)
	v_pk_add_f32 v[66:67], v[66:67], v[116:117] neg_lo:[0,1] neg_hi:[0,1]
	v_pk_fma_f32 v[114:115], v[112:113], v[100:101], v[110:111] op_sel:[0,0,1] op_sel_hi:[1,1,0] neg_lo:[0,0,1] neg_hi:[0,0,1]
	v_pk_fma_f32 v[110:111], v[112:113], v[100:101], v[110:111] op_sel:[0,0,1] op_sel_hi:[1,0,0]
	s_delay_alu instid0(VALU_DEP_1) | instskip(SKIP_4) | instid1(VALU_DEP_1)
	v_mov_b32_e32 v115, v111
	ds_load_2addr_b64 v[110:113], v104 offset0:27 offset1:28
	v_pk_add_f32 v[26:27], v[26:27], v[114:115] neg_lo:[0,1] neg_hi:[0,1]
	s_wait_dscnt 0x0
	v_pk_mul_f32 v[114:115], v[110:111], v[102:103] op_sel:[0,1]
	v_pk_fma_f32 v[116:117], v[110:111], v[100:101], v[114:115] op_sel:[0,0,1] op_sel_hi:[1,1,0] neg_lo:[0,0,1] neg_hi:[0,0,1]
	v_pk_fma_f32 v[110:111], v[110:111], v[100:101], v[114:115] op_sel:[0,0,1] op_sel_hi:[1,0,0]
	v_dual_mul_f32 v114, v113, v103 :: v_dual_mov_b32 v110, v113
	s_delay_alu instid0(VALU_DEP_2) | instskip(NEXT) | instid1(VALU_DEP_2)
	v_dual_mov_b32 v117, v111 :: v_dual_mov_b32 v111, v112
	v_pk_fma_f32 v[114:115], v[112:113], v[72:73], v[114:115] op_sel_hi:[1,1,0] neg_lo:[0,0,1] neg_hi:[0,0,1]
	v_mul_f32_e32 v112, v113, v100
	s_delay_alu instid0(VALU_DEP_3) | instskip(NEXT) | instid1(VALU_DEP_2)
	v_pk_add_f32 v[22:23], v[22:23], v[116:117] neg_lo:[0,1] neg_hi:[0,1]
	v_pk_fma_f32 v[110:111], v[110:111], v[72:73], v[112:113] op_sel_hi:[1,1,0]
	s_delay_alu instid0(VALU_DEP_1) | instskip(SKIP_4) | instid1(VALU_DEP_1)
	v_mov_b32_e32 v115, v111
	ds_load_2addr_b64 v[110:113], v104 offset0:29 offset1:30
	v_pk_add_f32 v[64:65], v[64:65], v[114:115] neg_lo:[0,1] neg_hi:[0,1]
	s_wait_dscnt 0x0
	v_pk_mul_f32 v[114:115], v[110:111], v[102:103] op_sel:[0,1]
	v_pk_fma_f32 v[116:117], v[110:111], v[100:101], v[114:115] op_sel:[0,0,1] op_sel_hi:[1,1,0] neg_lo:[0,0,1] neg_hi:[0,0,1]
	v_pk_fma_f32 v[110:111], v[110:111], v[100:101], v[114:115] op_sel:[0,0,1] op_sel_hi:[1,0,0]
	s_delay_alu instid0(VALU_DEP_1) | instskip(SKIP_1) | instid1(VALU_DEP_1)
	v_mov_b32_e32 v117, v111
	v_pk_mul_f32 v[110:111], v[112:113], v[102:103] op_sel:[0,1]
	v_pk_fma_f32 v[114:115], v[112:113], v[100:101], v[110:111] op_sel:[0,0,1] op_sel_hi:[1,1,0] neg_lo:[0,0,1] neg_hi:[0,0,1]
	v_pk_fma_f32 v[110:111], v[112:113], v[100:101], v[110:111] op_sel:[0,0,1] op_sel_hi:[1,0,0]
	s_delay_alu instid0(VALU_DEP_1)
	v_mov_b32_e32 v115, v111
	ds_load_2addr_b64 v[110:113], v104 offset0:31 offset1:32
	v_pk_add_f32 v[62:63], v[62:63], v[116:117] neg_lo:[0,1] neg_hi:[0,1]
	v_pk_add_f32 v[20:21], v[20:21], v[114:115] neg_lo:[0,1] neg_hi:[0,1]
	s_wait_dscnt 0x0
	v_pk_mul_f32 v[114:115], v[110:111], v[102:103] op_sel:[0,1]
	s_delay_alu instid0(VALU_DEP_1) | instskip(SKIP_1) | instid1(VALU_DEP_1)
	v_pk_fma_f32 v[116:117], v[110:111], v[100:101], v[114:115] op_sel:[0,0,1] op_sel_hi:[1,1,0] neg_lo:[0,0,1] neg_hi:[0,0,1]
	v_pk_fma_f32 v[110:111], v[110:111], v[100:101], v[114:115] op_sel:[0,0,1] op_sel_hi:[1,0,0]
	v_mov_b32_e32 v117, v111
	v_pk_mul_f32 v[110:111], v[112:113], v[102:103] op_sel:[0,1]
	s_delay_alu instid0(VALU_DEP_1) | instskip(SKIP_1) | instid1(VALU_DEP_1)
	v_pk_fma_f32 v[114:115], v[112:113], v[100:101], v[110:111] op_sel:[0,0,1] op_sel_hi:[1,1,0] neg_lo:[0,0,1] neg_hi:[0,0,1]
	v_pk_fma_f32 v[110:111], v[112:113], v[100:101], v[110:111] op_sel:[0,0,1] op_sel_hi:[1,0,0]
	v_mov_b32_e32 v115, v111
	ds_load_2addr_b64 v[110:113], v104 offset0:33 offset1:34
	v_pk_add_f32 v[18:19], v[18:19], v[116:117] neg_lo:[0,1] neg_hi:[0,1]
	v_pk_add_f32 v[60:61], v[60:61], v[114:115] neg_lo:[0,1] neg_hi:[0,1]
	s_wait_dscnt 0x0
	v_dual_mul_f32 v114, v111, v103 :: v_dual_mul_f32 v116, v111, v100
	s_delay_alu instid0(VALU_DEP_1) | instskip(NEXT) | instid1(VALU_DEP_2)
	v_pk_fma_f32 v[114:115], v[110:111], v[72:73], v[114:115] op_sel_hi:[1,1,0] neg_lo:[0,0,1] neg_hi:[0,0,1]
	v_pk_fma_f32 v[110:111], v[110:111], v[72:73], v[116:117] op_sel:[1,0,0] op_sel_hi:[0,1,0]
	s_delay_alu instid0(VALU_DEP_1) | instskip(SKIP_1) | instid1(VALU_DEP_2)
	v_mov_b32_e32 v115, v111
	v_pk_mul_f32 v[110:111], v[112:113], v[102:103] op_sel:[0,1]
	v_pk_add_f32 v[58:59], v[58:59], v[114:115] neg_lo:[0,1] neg_hi:[0,1]
	s_delay_alu instid0(VALU_DEP_2) | instskip(SKIP_1) | instid1(VALU_DEP_1)
	v_pk_fma_f32 v[114:115], v[112:113], v[100:101], v[110:111] op_sel:[0,0,1] op_sel_hi:[1,1,0] neg_lo:[0,0,1] neg_hi:[0,0,1]
	v_pk_fma_f32 v[110:111], v[112:113], v[100:101], v[110:111] op_sel:[0,0,1] op_sel_hi:[1,0,0]
	v_mov_b32_e32 v115, v111
	ds_load_2addr_b64 v[110:113], v104 offset0:35 offset1:36
	v_pk_add_f32 v[16:17], v[16:17], v[114:115] neg_lo:[0,1] neg_hi:[0,1]
	s_wait_dscnt 0x0
	v_pk_mul_f32 v[114:115], v[110:111], v[102:103] op_sel:[0,1]
	s_delay_alu instid0(VALU_DEP_1) | instskip(SKIP_1) | instid1(VALU_DEP_1)
	v_pk_fma_f32 v[116:117], v[110:111], v[100:101], v[114:115] op_sel:[0,0,1] op_sel_hi:[1,1,0] neg_lo:[0,0,1] neg_hi:[0,0,1]
	v_pk_fma_f32 v[110:111], v[110:111], v[100:101], v[114:115] op_sel:[0,0,1] op_sel_hi:[1,0,0]
	v_mov_b32_e32 v117, v111
	v_pk_mul_f32 v[110:111], v[112:113], v[102:103] op_sel:[0,1]
	s_delay_alu instid0(VALU_DEP_2) | instskip(NEXT) | instid1(VALU_DEP_2)
	v_pk_add_f32 v[14:15], v[14:15], v[116:117] neg_lo:[0,1] neg_hi:[0,1]
	v_pk_fma_f32 v[114:115], v[112:113], v[100:101], v[110:111] op_sel:[0,0,1] op_sel_hi:[1,1,0] neg_lo:[0,0,1] neg_hi:[0,0,1]
	v_pk_fma_f32 v[110:111], v[112:113], v[100:101], v[110:111] op_sel:[0,0,1] op_sel_hi:[1,0,0]
	s_delay_alu instid0(VALU_DEP_1) | instskip(SKIP_4) | instid1(VALU_DEP_1)
	v_mov_b32_e32 v115, v111
	ds_load_2addr_b64 v[110:113], v104 offset0:37 offset1:38
	v_pk_add_f32 v[56:57], v[56:57], v[114:115] neg_lo:[0,1] neg_hi:[0,1]
	s_wait_dscnt 0x0
	v_pk_mul_f32 v[114:115], v[110:111], v[102:103] op_sel:[0,1]
	v_pk_fma_f32 v[116:117], v[110:111], v[100:101], v[114:115] op_sel:[0,0,1] op_sel_hi:[1,1,0] neg_lo:[0,0,1] neg_hi:[0,0,1]
	v_pk_fma_f32 v[110:111], v[110:111], v[100:101], v[114:115] op_sel:[0,0,1] op_sel_hi:[1,0,0]
	v_dual_mul_f32 v114, v113, v103 :: v_dual_mov_b32 v110, v113
	s_delay_alu instid0(VALU_DEP_2) | instskip(NEXT) | instid1(VALU_DEP_2)
	v_dual_mov_b32 v117, v111 :: v_dual_mov_b32 v111, v112
	v_pk_fma_f32 v[114:115], v[112:113], v[72:73], v[114:115] op_sel_hi:[1,1,0] neg_lo:[0,0,1] neg_hi:[0,0,1]
	v_mul_f32_e32 v112, v113, v100
	s_delay_alu instid0(VALU_DEP_3) | instskip(NEXT) | instid1(VALU_DEP_2)
	v_pk_add_f32 v[54:55], v[54:55], v[116:117] neg_lo:[0,1] neg_hi:[0,1]
	v_pk_fma_f32 v[110:111], v[110:111], v[72:73], v[112:113] op_sel_hi:[1,1,0]
	s_delay_alu instid0(VALU_DEP_1) | instskip(SKIP_4) | instid1(VALU_DEP_1)
	v_mov_b32_e32 v115, v111
	ds_load_2addr_b64 v[110:113], v104 offset0:39 offset1:40
	v_pk_add_f32 v[10:11], v[10:11], v[114:115] neg_lo:[0,1] neg_hi:[0,1]
	s_wait_dscnt 0x0
	v_pk_mul_f32 v[114:115], v[110:111], v[102:103] op_sel:[0,1]
	v_pk_fma_f32 v[116:117], v[110:111], v[100:101], v[114:115] op_sel:[0,0,1] op_sel_hi:[1,1,0] neg_lo:[0,0,1] neg_hi:[0,0,1]
	v_pk_fma_f32 v[110:111], v[110:111], v[100:101], v[114:115] op_sel:[0,0,1] op_sel_hi:[1,0,0]
	s_delay_alu instid0(VALU_DEP_1) | instskip(SKIP_1) | instid1(VALU_DEP_1)
	v_mov_b32_e32 v117, v111
	v_pk_mul_f32 v[110:111], v[112:113], v[102:103] op_sel:[0,1]
	v_pk_fma_f32 v[114:115], v[112:113], v[100:101], v[110:111] op_sel:[0,0,1] op_sel_hi:[1,1,0] neg_lo:[0,0,1] neg_hi:[0,0,1]
	v_pk_fma_f32 v[110:111], v[112:113], v[100:101], v[110:111] op_sel:[0,0,1] op_sel_hi:[1,0,0]
	s_delay_alu instid0(VALU_DEP_1)
	v_mov_b32_e32 v115, v111
	ds_load_2addr_b64 v[110:113], v104 offset0:41 offset1:42
	v_pk_add_f32 v[6:7], v[6:7], v[116:117] neg_lo:[0,1] neg_hi:[0,1]
	v_pk_add_f32 v[52:53], v[52:53], v[114:115] neg_lo:[0,1] neg_hi:[0,1]
	s_wait_dscnt 0x0
	v_pk_mul_f32 v[114:115], v[110:111], v[102:103] op_sel:[0,1]
	s_delay_alu instid0(VALU_DEP_1) | instskip(SKIP_1) | instid1(VALU_DEP_1)
	v_pk_fma_f32 v[116:117], v[110:111], v[100:101], v[114:115] op_sel:[0,0,1] op_sel_hi:[1,1,0] neg_lo:[0,0,1] neg_hi:[0,0,1]
	v_pk_fma_f32 v[110:111], v[110:111], v[100:101], v[114:115] op_sel:[0,0,1] op_sel_hi:[1,0,0]
	v_mov_b32_e32 v117, v111
	v_pk_mul_f32 v[110:111], v[112:113], v[102:103] op_sel:[0,1]
	s_delay_alu instid0(VALU_DEP_1) | instskip(SKIP_1) | instid1(VALU_DEP_1)
	v_pk_fma_f32 v[114:115], v[112:113], v[100:101], v[110:111] op_sel:[0,0,1] op_sel_hi:[1,1,0] neg_lo:[0,0,1] neg_hi:[0,0,1]
	v_pk_fma_f32 v[110:111], v[112:113], v[100:101], v[110:111] op_sel:[0,0,1] op_sel_hi:[1,0,0]
	v_mov_b32_e32 v115, v111
	ds_load_2addr_b64 v[110:113], v104 offset0:43 offset1:44
	v_pk_add_f32 v[50:51], v[50:51], v[116:117] neg_lo:[0,1] neg_hi:[0,1]
	v_pk_add_f32 v[8:9], v[8:9], v[114:115] neg_lo:[0,1] neg_hi:[0,1]
	s_wait_dscnt 0x0
	v_dual_mul_f32 v114, v111, v103 :: v_dual_mul_f32 v116, v111, v100
	s_delay_alu instid0(VALU_DEP_1) | instskip(NEXT) | instid1(VALU_DEP_2)
	v_pk_fma_f32 v[114:115], v[110:111], v[72:73], v[114:115] op_sel_hi:[1,1,0] neg_lo:[0,0,1] neg_hi:[0,0,1]
	v_pk_fma_f32 v[110:111], v[110:111], v[72:73], v[116:117] op_sel:[1,0,0] op_sel_hi:[0,1,0]
	s_delay_alu instid0(VALU_DEP_1) | instskip(SKIP_1) | instid1(VALU_DEP_2)
	v_mov_b32_e32 v115, v111
	v_pk_mul_f32 v[110:111], v[112:113], v[102:103] op_sel:[0,1]
	v_pk_add_f32 v[40:41], v[40:41], v[114:115] neg_lo:[0,1] neg_hi:[0,1]
	s_delay_alu instid0(VALU_DEP_2) | instskip(SKIP_1) | instid1(VALU_DEP_1)
	v_pk_fma_f32 v[114:115], v[112:113], v[100:101], v[110:111] op_sel:[0,0,1] op_sel_hi:[1,1,0] neg_lo:[0,0,1] neg_hi:[0,0,1]
	v_pk_fma_f32 v[110:111], v[112:113], v[100:101], v[110:111] op_sel:[0,0,1] op_sel_hi:[1,0,0]
	v_mov_b32_e32 v115, v111
	ds_load_2addr_b64 v[110:113], v104 offset0:45 offset1:46
	v_pk_add_f32 v[30:31], v[30:31], v[114:115] neg_lo:[0,1] neg_hi:[0,1]
	s_wait_dscnt 0x0
	v_pk_mul_f32 v[114:115], v[110:111], v[102:103] op_sel:[0,1]
	v_mul_f32_e32 v102, v113, v103
	s_delay_alu instid0(VALU_DEP_2) | instskip(SKIP_2) | instid1(VALU_DEP_4)
	v_pk_fma_f32 v[116:117], v[110:111], v[100:101], v[114:115] op_sel:[0,0,1] op_sel_hi:[1,1,0] neg_lo:[0,0,1] neg_hi:[0,0,1]
	v_pk_fma_f32 v[110:111], v[110:111], v[100:101], v[114:115] op_sel:[0,0,1] op_sel_hi:[1,0,0]
	v_dual_mov_b32 v110, v113 :: v_dual_mul_f32 v100, v113, v100
	v_pk_fma_f32 v[102:103], v[112:113], v[72:73], v[102:103] op_sel_hi:[1,1,0] neg_lo:[0,0,1] neg_hi:[0,0,1]
	s_delay_alu instid0(VALU_DEP_3) | instskip(NEXT) | instid1(VALU_DEP_1)
	v_dual_mov_b32 v117, v111 :: v_dual_mov_b32 v111, v112
	v_pk_add_f32 v[12:13], v[12:13], v[116:117] neg_lo:[0,1] neg_hi:[0,1]
	s_delay_alu instid0(VALU_DEP_2) | instskip(NEXT) | instid1(VALU_DEP_1)
	v_pk_fma_f32 v[100:101], v[110:111], v[72:73], v[100:101] op_sel_hi:[1,1,0]
	v_mov_b32_e32 v103, v101
	s_delay_alu instid0(VALU_DEP_1)
	v_pk_add_f32 v[98:99], v[98:99], v[102:103] neg_lo:[0,1] neg_hi:[0,1]
.LBB92_104:
	s_or_b32 exec_lo, exec_lo, s0
	v_lshl_add_u32 v100, v108, 3, v104
	s_barrier_signal -1
	s_barrier_wait -1
	ds_store_b64 v100, v[68:69]
	s_wait_dscnt 0x0
	s_barrier_signal -1
	s_barrier_wait -1
	ds_load_b64 v[102:103], v104 offset:40
	v_mov_b32_e32 v100, 5
	s_cmp_lt_i32 s18, 7
	s_cbranch_scc1 .LBB92_107
; %bb.105:
	v_add3_u32 v101, v105, 0, 48
	v_mov_b32_e32 v100, 5
	s_mov_b32 s0, 6
.LBB92_106:                             ; =>This Inner Loop Header: Depth=1
	ds_load_b64 v[110:111], v101
	s_wait_dscnt 0x1
	v_cmp_gt_f32_e32 vcc_lo, 0, v102
	v_cndmask_b32_e64 v112, v102, -v102, vcc_lo
	v_cmp_gt_f32_e32 vcc_lo, 0, v103
	v_cndmask_b32_e64 v114, v103, -v103, vcc_lo
	s_wait_dscnt 0x0
	v_cmp_gt_f32_e32 vcc_lo, 0, v110
	v_cndmask_b32_e64 v113, v110, -v110, vcc_lo
	v_cmp_gt_f32_e32 vcc_lo, 0, v111
	v_cndmask_b32_e64 v115, v111, -v111, vcc_lo
	s_delay_alu instid0(VALU_DEP_1) | instskip(NEXT) | instid1(VALU_DEP_1)
	v_pk_add_f32 v[112:113], v[112:113], v[114:115]
	v_cmp_lt_f32_e32 vcc_lo, v112, v113
	v_dual_add_nc_u32 v101, 8, v101 :: v_dual_cndmask_b32 v103, v103, v111, vcc_lo
	v_cndmask_b32_e32 v102, v102, v110, vcc_lo
	v_cndmask_b32_e64 v100, v100, s0, vcc_lo
	s_add_co_i32 s0, s0, 1
	s_delay_alu instid0(SALU_CYCLE_1)
	s_cmp_lg_u32 s18, s0
	s_cbranch_scc1 .LBB92_106
.LBB92_107:
	s_wait_dscnt 0x0
	v_cmp_eq_f32_e32 vcc_lo, 0, v102
	v_cmp_eq_f32_e64 s0, 0, v103
	s_and_b32 s0, vcc_lo, s0
	s_delay_alu instid0(SALU_CYCLE_1) | instskip(NEXT) | instid1(SALU_CYCLE_1)
	s_and_saveexec_b32 s1, s0
	s_xor_b32 s0, exec_lo, s1
; %bb.108:
	v_cmp_ne_u32_e32 vcc_lo, 0, v106
	v_cndmask_b32_e32 v106, 6, v106, vcc_lo
; %bb.109:
	s_and_not1_saveexec_b32 s0, s0
	s_cbranch_execz .LBB92_115
; %bb.110:
	v_cmp_ngt_f32_e64 s1, |v102|, |v103|
	s_and_saveexec_b32 s12, s1
	s_delay_alu instid0(SALU_CYCLE_1)
	s_xor_b32 s1, exec_lo, s12
	s_cbranch_execz .LBB92_112
; %bb.111:
	v_div_scale_f32 v101, null, v103, v103, v102
	v_div_scale_f32 v111, vcc_lo, v102, v103, v102
	s_delay_alu instid0(VALU_DEP_2) | instskip(SKIP_1) | instid1(TRANS32_DEP_1)
	v_rcp_f32_e32 v109, v101
	v_nop
	v_fma_f32 v110, -v101, v109, 1.0
	s_delay_alu instid0(VALU_DEP_1) | instskip(NEXT) | instid1(VALU_DEP_1)
	v_fmac_f32_e32 v109, v110, v109
	v_mul_f32_e32 v110, v111, v109
	s_delay_alu instid0(VALU_DEP_1) | instskip(NEXT) | instid1(VALU_DEP_1)
	v_fma_f32 v112, -v101, v110, v111
	v_fmac_f32_e32 v110, v112, v109
	s_delay_alu instid0(VALU_DEP_1) | instskip(NEXT) | instid1(VALU_DEP_1)
	v_fma_f32 v101, -v101, v110, v111
	v_div_fmas_f32 v101, v101, v109, v110
	s_delay_alu instid0(VALU_DEP_1) | instskip(NEXT) | instid1(VALU_DEP_1)
	v_div_fixup_f32 v101, v101, v103, v102
	v_fmac_f32_e32 v103, v102, v101
	s_delay_alu instid0(VALU_DEP_1) | instskip(SKIP_1) | instid1(VALU_DEP_2)
	v_div_scale_f32 v102, null, v103, v103, 1.0
	v_div_scale_f32 v111, vcc_lo, 1.0, v103, 1.0
	v_rcp_f32_e32 v109, v102
	v_nop
	s_delay_alu instid0(TRANS32_DEP_1) | instskip(NEXT) | instid1(VALU_DEP_1)
	v_fma_f32 v110, -v102, v109, 1.0
	v_fmac_f32_e32 v109, v110, v109
	s_delay_alu instid0(VALU_DEP_1) | instskip(NEXT) | instid1(VALU_DEP_1)
	v_mul_f32_e32 v110, v111, v109
	v_fma_f32 v112, -v102, v110, v111
	s_delay_alu instid0(VALU_DEP_1) | instskip(NEXT) | instid1(VALU_DEP_1)
	v_fmac_f32_e32 v110, v112, v109
	v_fma_f32 v102, -v102, v110, v111
	s_delay_alu instid0(VALU_DEP_1) | instskip(NEXT) | instid1(VALU_DEP_1)
	v_div_fmas_f32 v102, v102, v109, v110
	v_div_fixup_f32 v103, v102, v103, 1.0
	s_delay_alu instid0(VALU_DEP_1)
	v_mul_f32_e32 v102, v101, v103
	v_xor_b32_e32 v103, 0x80000000, v103
.LBB92_112:
	s_and_not1_saveexec_b32 s1, s1
	s_cbranch_execz .LBB92_114
; %bb.113:
	s_delay_alu instid0(VALU_DEP_1) | instskip(SKIP_1) | instid1(VALU_DEP_2)
	v_div_scale_f32 v101, null, v102, v102, v103
	v_div_scale_f32 v111, vcc_lo, v103, v102, v103
	v_rcp_f32_e32 v109, v101
	v_nop
	s_delay_alu instid0(TRANS32_DEP_1) | instskip(NEXT) | instid1(VALU_DEP_1)
	v_fma_f32 v110, -v101, v109, 1.0
	v_fmac_f32_e32 v109, v110, v109
	s_delay_alu instid0(VALU_DEP_1) | instskip(NEXT) | instid1(VALU_DEP_1)
	v_mul_f32_e32 v110, v111, v109
	v_fma_f32 v112, -v101, v110, v111
	s_delay_alu instid0(VALU_DEP_1) | instskip(NEXT) | instid1(VALU_DEP_1)
	v_fmac_f32_e32 v110, v112, v109
	v_fma_f32 v101, -v101, v110, v111
	s_delay_alu instid0(VALU_DEP_1) | instskip(NEXT) | instid1(VALU_DEP_1)
	v_div_fmas_f32 v101, v101, v109, v110
	v_div_fixup_f32 v101, v101, v102, v103
	s_delay_alu instid0(VALU_DEP_1) | instskip(NEXT) | instid1(VALU_DEP_1)
	v_fmac_f32_e32 v102, v103, v101
	v_div_scale_f32 v103, null, v102, v102, 1.0
	s_delay_alu instid0(VALU_DEP_1) | instskip(SKIP_1) | instid1(TRANS32_DEP_1)
	v_rcp_f32_e32 v109, v103
	v_nop
	v_fma_f32 v110, -v103, v109, 1.0
	s_delay_alu instid0(VALU_DEP_1) | instskip(SKIP_1) | instid1(VALU_DEP_1)
	v_fmac_f32_e32 v109, v110, v109
	v_div_scale_f32 v110, vcc_lo, 1.0, v102, 1.0
	v_mul_f32_e32 v111, v110, v109
	s_delay_alu instid0(VALU_DEP_1) | instskip(NEXT) | instid1(VALU_DEP_1)
	v_fma_f32 v112, -v103, v111, v110
	v_fmac_f32_e32 v111, v112, v109
	s_delay_alu instid0(VALU_DEP_1) | instskip(NEXT) | instid1(VALU_DEP_1)
	v_fma_f32 v103, -v103, v111, v110
	v_div_fmas_f32 v103, v103, v109, v111
	s_delay_alu instid0(VALU_DEP_1) | instskip(NEXT) | instid1(VALU_DEP_1)
	v_div_fixup_f32 v102, v103, v102, 1.0
	v_mul_f32_e64 v103, v101, -v102
.LBB92_114:
	s_or_b32 exec_lo, exec_lo, s1
.LBB92_115:
	s_delay_alu instid0(SALU_CYCLE_1) | instskip(NEXT) | instid1(SALU_CYCLE_1)
	s_or_b32 exec_lo, exec_lo, s0
	s_mov_b32 s0, exec_lo
	v_cmpx_ne_u32_e64 v108, v100
	s_xor_b32 s0, exec_lo, s0
	s_cbranch_execz .LBB92_121
; %bb.116:
	s_mov_b32 s1, exec_lo
	v_cmpx_eq_u32_e32 5, v108
	s_cbranch_execz .LBB92_120
; %bb.117:
	v_cmp_ne_u32_e32 vcc_lo, 5, v100
	s_xor_b32 s12, s16, -1
	s_delay_alu instid0(SALU_CYCLE_1) | instskip(NEXT) | instid1(SALU_CYCLE_1)
	s_and_b32 s13, s12, vcc_lo
	s_and_saveexec_b32 s12, s13
	s_cbranch_execz .LBB92_119
; %bb.118:
	v_ashrrev_i32_e32 v101, 31, v100
	s_delay_alu instid0(VALU_DEP_1)
	v_lshl_add_u64 v[108:109], v[100:101], 2, v[4:5]
	s_clause 0x1
	global_load_b32 v101, v[108:109], off
	global_load_b32 v107, v[4:5], off offset:20
	s_wait_loadcnt 0x1
	global_store_b32 v[4:5], v101, off offset:20
	s_wait_loadcnt 0x0
	global_store_b32 v[108:109], v107, off
.LBB92_119:
	s_wait_xcnt 0x0
	s_or_b32 exec_lo, exec_lo, s12
	v_dual_mov_b32 v108, v100 :: v_dual_mov_b32 v107, v100
.LBB92_120:
	s_or_b32 exec_lo, exec_lo, s1
.LBB92_121:
	s_and_not1_saveexec_b32 s0, s0
	s_cbranch_execz .LBB92_123
; %bb.122:
	v_dual_mov_b32 v100, v28 :: v_dual_mov_b32 v101, v29
	v_dual_mov_b32 v108, v24 :: v_dual_mov_b32 v109, v25
	ds_store_2addr_b64 v104, v[100:101], v[108:109] offset0:6 offset1:7
	v_dual_mov_b32 v100, v76 :: v_dual_mov_b32 v101, v77
	v_dual_mov_b32 v108, v74 :: v_dual_mov_b32 v109, v75
	ds_store_2addr_b64 v104, v[100:101], v[108:109] offset0:8 offset1:9
	;; [unrolled: 3-line block ×20, first 2 shown]
	ds_store_b64 v104, v[98:99] offset:368
	v_mov_b32_e32 v108, 5
.LBB92_123:
	s_or_b32 exec_lo, exec_lo, s0
	s_delay_alu instid0(SALU_CYCLE_1)
	s_mov_b32 s0, exec_lo
	s_wait_storecnt_dscnt 0x0
	s_barrier_signal -1
	s_barrier_wait -1
	v_cmpx_lt_i32_e32 5, v108
	s_cbranch_execz .LBB92_125
; %bb.124:
	v_pk_mul_f32 v[110:111], v[102:103], v[68:69] op_sel:[1,1] op_sel_hi:[0,1]
	s_delay_alu instid0(VALU_DEP_1)
	v_pk_fma_f32 v[100:101], v[102:103], v[68:69], v[110:111] op_sel_hi:[1,0,1] neg_lo:[0,0,1] neg_hi:[0,0,1]
	v_pk_fma_f32 v[102:103], v[102:103], v[68:69], v[110:111] op_sel_hi:[1,0,1]
	ds_load_2addr_b64 v[110:113], v104 offset0:6 offset1:7
	v_dual_mov_b32 v68, v100 :: v_dual_mov_b32 v69, v103
	s_wait_dscnt 0x0
	v_pk_mul_f32 v[114:115], v[110:111], v[102:103] op_sel:[0,1]
	s_delay_alu instid0(VALU_DEP_1) | instskip(SKIP_1) | instid1(VALU_DEP_1)
	v_pk_fma_f32 v[116:117], v[110:111], v[100:101], v[114:115] op_sel:[0,0,1] op_sel_hi:[1,1,0] neg_lo:[0,0,1] neg_hi:[0,0,1]
	v_pk_fma_f32 v[110:111], v[110:111], v[100:101], v[114:115] op_sel:[0,0,1] op_sel_hi:[1,0,0]
	v_mov_b32_e32 v117, v111
	v_pk_mul_f32 v[110:111], v[112:113], v[102:103] op_sel:[0,1]
	s_delay_alu instid0(VALU_DEP_1) | instskip(SKIP_1) | instid1(VALU_DEP_1)
	v_pk_fma_f32 v[114:115], v[112:113], v[100:101], v[110:111] op_sel:[0,0,1] op_sel_hi:[1,1,0] neg_lo:[0,0,1] neg_hi:[0,0,1]
	v_pk_fma_f32 v[110:111], v[112:113], v[100:101], v[110:111] op_sel:[0,0,1] op_sel_hi:[1,0,0]
	v_mov_b32_e32 v115, v111
	ds_load_2addr_b64 v[110:113], v104 offset0:8 offset1:9
	v_pk_add_f32 v[28:29], v[28:29], v[116:117] neg_lo:[0,1] neg_hi:[0,1]
	v_pk_add_f32 v[24:25], v[24:25], v[114:115] neg_lo:[0,1] neg_hi:[0,1]
	s_wait_dscnt 0x0
	v_pk_mul_f32 v[114:115], v[110:111], v[102:103] op_sel:[0,1]
	s_delay_alu instid0(VALU_DEP_1) | instskip(SKIP_2) | instid1(VALU_DEP_2)
	v_pk_fma_f32 v[116:117], v[110:111], v[100:101], v[114:115] op_sel:[0,0,1] op_sel_hi:[1,1,0] neg_lo:[0,0,1] neg_hi:[0,0,1]
	v_pk_fma_f32 v[110:111], v[110:111], v[100:101], v[114:115] op_sel:[0,0,1] op_sel_hi:[1,0,0]
	v_dual_mul_f32 v114, v113, v103 :: v_dual_mov_b32 v110, v113
	v_dual_mov_b32 v117, v111 :: v_dual_mov_b32 v111, v112
	s_delay_alu instid0(VALU_DEP_2) | instskip(SKIP_1) | instid1(VALU_DEP_3)
	v_pk_fma_f32 v[114:115], v[112:113], v[68:69], v[114:115] op_sel_hi:[1,1,0] neg_lo:[0,0,1] neg_hi:[0,0,1]
	v_mul_f32_e32 v112, v113, v100
	v_pk_add_f32 v[76:77], v[76:77], v[116:117] neg_lo:[0,1] neg_hi:[0,1]
	s_delay_alu instid0(VALU_DEP_2) | instskip(NEXT) | instid1(VALU_DEP_1)
	v_pk_fma_f32 v[110:111], v[110:111], v[68:69], v[112:113] op_sel_hi:[1,1,0]
	v_mov_b32_e32 v115, v111
	ds_load_2addr_b64 v[110:113], v104 offset0:10 offset1:11
	v_pk_add_f32 v[74:75], v[74:75], v[114:115] neg_lo:[0,1] neg_hi:[0,1]
	s_wait_dscnt 0x0
	v_pk_mul_f32 v[114:115], v[110:111], v[102:103] op_sel:[0,1]
	s_delay_alu instid0(VALU_DEP_1) | instskip(SKIP_1) | instid1(VALU_DEP_1)
	v_pk_fma_f32 v[116:117], v[110:111], v[100:101], v[114:115] op_sel:[0,0,1] op_sel_hi:[1,1,0] neg_lo:[0,0,1] neg_hi:[0,0,1]
	v_pk_fma_f32 v[110:111], v[110:111], v[100:101], v[114:115] op_sel:[0,0,1] op_sel_hi:[1,0,0]
	v_mov_b32_e32 v117, v111
	v_pk_mul_f32 v[110:111], v[112:113], v[102:103] op_sel:[0,1]
	s_delay_alu instid0(VALU_DEP_1) | instskip(SKIP_1) | instid1(VALU_DEP_1)
	v_pk_fma_f32 v[114:115], v[112:113], v[100:101], v[110:111] op_sel:[0,0,1] op_sel_hi:[1,1,0] neg_lo:[0,0,1] neg_hi:[0,0,1]
	v_pk_fma_f32 v[110:111], v[112:113], v[100:101], v[110:111] op_sel:[0,0,1] op_sel_hi:[1,0,0]
	v_mov_b32_e32 v115, v111
	ds_load_2addr_b64 v[110:113], v104 offset0:12 offset1:13
	v_pk_add_f32 v[34:35], v[34:35], v[116:117] neg_lo:[0,1] neg_hi:[0,1]
	v_pk_add_f32 v[32:33], v[32:33], v[114:115] neg_lo:[0,1] neg_hi:[0,1]
	s_wait_dscnt 0x0
	v_pk_mul_f32 v[114:115], v[110:111], v[102:103] op_sel:[0,1]
	s_delay_alu instid0(VALU_DEP_1) | instskip(SKIP_1) | instid1(VALU_DEP_1)
	v_pk_fma_f32 v[116:117], v[110:111], v[100:101], v[114:115] op_sel:[0,0,1] op_sel_hi:[1,1,0] neg_lo:[0,0,1] neg_hi:[0,0,1]
	v_pk_fma_f32 v[110:111], v[110:111], v[100:101], v[114:115] op_sel:[0,0,1] op_sel_hi:[1,0,0]
	v_mov_b32_e32 v117, v111
	v_pk_mul_f32 v[110:111], v[112:113], v[102:103] op_sel:[0,1]
	s_delay_alu instid0(VALU_DEP_1) | instskip(SKIP_1) | instid1(VALU_DEP_1)
	v_pk_fma_f32 v[114:115], v[112:113], v[100:101], v[110:111] op_sel:[0,0,1] op_sel_hi:[1,1,0] neg_lo:[0,0,1] neg_hi:[0,0,1]
	v_pk_fma_f32 v[110:111], v[112:113], v[100:101], v[110:111] op_sel:[0,0,1] op_sel_hi:[1,0,0]
	v_mov_b32_e32 v115, v111
	ds_load_2addr_b64 v[110:113], v104 offset0:14 offset1:15
	v_pk_add_f32 v[88:89], v[88:89], v[116:117] neg_lo:[0,1] neg_hi:[0,1]
	v_pk_add_f32 v[86:87], v[86:87], v[114:115] neg_lo:[0,1] neg_hi:[0,1]
	s_wait_dscnt 0x0
	v_dual_mul_f32 v114, v111, v103 :: v_dual_mul_f32 v116, v111, v100
	s_delay_alu instid0(VALU_DEP_1) | instskip(NEXT) | instid1(VALU_DEP_2)
	v_pk_fma_f32 v[114:115], v[110:111], v[68:69], v[114:115] op_sel_hi:[1,1,0] neg_lo:[0,0,1] neg_hi:[0,0,1]
	v_pk_fma_f32 v[110:111], v[110:111], v[68:69], v[116:117] op_sel:[1,0,0] op_sel_hi:[0,1,0]
	s_delay_alu instid0(VALU_DEP_1) | instskip(SKIP_1) | instid1(VALU_DEP_2)
	v_mov_b32_e32 v115, v111
	v_pk_mul_f32 v[110:111], v[112:113], v[102:103] op_sel:[0,1]
	v_pk_add_f32 v[48:49], v[48:49], v[114:115] neg_lo:[0,1] neg_hi:[0,1]
	s_delay_alu instid0(VALU_DEP_2) | instskip(SKIP_1) | instid1(VALU_DEP_1)
	v_pk_fma_f32 v[114:115], v[112:113], v[100:101], v[110:111] op_sel:[0,0,1] op_sel_hi:[1,1,0] neg_lo:[0,0,1] neg_hi:[0,0,1]
	v_pk_fma_f32 v[110:111], v[112:113], v[100:101], v[110:111] op_sel:[0,0,1] op_sel_hi:[1,0,0]
	v_mov_b32_e32 v115, v111
	ds_load_2addr_b64 v[110:113], v104 offset0:16 offset1:17
	v_pk_add_f32 v[46:47], v[46:47], v[114:115] neg_lo:[0,1] neg_hi:[0,1]
	s_wait_dscnt 0x0
	v_pk_mul_f32 v[114:115], v[110:111], v[102:103] op_sel:[0,1]
	s_delay_alu instid0(VALU_DEP_1) | instskip(SKIP_1) | instid1(VALU_DEP_1)
	v_pk_fma_f32 v[116:117], v[110:111], v[100:101], v[114:115] op_sel:[0,0,1] op_sel_hi:[1,1,0] neg_lo:[0,0,1] neg_hi:[0,0,1]
	v_pk_fma_f32 v[110:111], v[110:111], v[100:101], v[114:115] op_sel:[0,0,1] op_sel_hi:[1,0,0]
	v_mov_b32_e32 v117, v111
	v_pk_mul_f32 v[110:111], v[112:113], v[102:103] op_sel:[0,1]
	s_delay_alu instid0(VALU_DEP_2) | instskip(NEXT) | instid1(VALU_DEP_2)
	v_pk_add_f32 v[84:85], v[84:85], v[116:117] neg_lo:[0,1] neg_hi:[0,1]
	v_pk_fma_f32 v[114:115], v[112:113], v[100:101], v[110:111] op_sel:[0,0,1] op_sel_hi:[1,1,0] neg_lo:[0,0,1] neg_hi:[0,0,1]
	v_pk_fma_f32 v[110:111], v[112:113], v[100:101], v[110:111] op_sel:[0,0,1] op_sel_hi:[1,0,0]
	s_delay_alu instid0(VALU_DEP_1) | instskip(SKIP_4) | instid1(VALU_DEP_1)
	v_mov_b32_e32 v115, v111
	ds_load_2addr_b64 v[110:113], v104 offset0:18 offset1:19
	v_pk_add_f32 v[82:83], v[82:83], v[114:115] neg_lo:[0,1] neg_hi:[0,1]
	s_wait_dscnt 0x0
	v_pk_mul_f32 v[114:115], v[110:111], v[102:103] op_sel:[0,1]
	v_pk_fma_f32 v[116:117], v[110:111], v[100:101], v[114:115] op_sel:[0,0,1] op_sel_hi:[1,1,0] neg_lo:[0,0,1] neg_hi:[0,0,1]
	v_pk_fma_f32 v[110:111], v[110:111], v[100:101], v[114:115] op_sel:[0,0,1] op_sel_hi:[1,0,0]
	v_dual_mul_f32 v114, v113, v103 :: v_dual_mov_b32 v110, v113
	s_delay_alu instid0(VALU_DEP_2) | instskip(NEXT) | instid1(VALU_DEP_2)
	v_dual_mov_b32 v117, v111 :: v_dual_mov_b32 v111, v112
	v_pk_fma_f32 v[114:115], v[112:113], v[68:69], v[114:115] op_sel_hi:[1,1,0] neg_lo:[0,0,1] neg_hi:[0,0,1]
	v_mul_f32_e32 v112, v113, v100
	s_delay_alu instid0(VALU_DEP_3) | instskip(NEXT) | instid1(VALU_DEP_2)
	v_pk_add_f32 v[44:45], v[44:45], v[116:117] neg_lo:[0,1] neg_hi:[0,1]
	v_pk_fma_f32 v[110:111], v[110:111], v[68:69], v[112:113] op_sel_hi:[1,1,0]
	s_delay_alu instid0(VALU_DEP_1) | instskip(SKIP_4) | instid1(VALU_DEP_1)
	v_mov_b32_e32 v115, v111
	ds_load_2addr_b64 v[110:113], v104 offset0:20 offset1:21
	v_pk_add_f32 v[42:43], v[42:43], v[114:115] neg_lo:[0,1] neg_hi:[0,1]
	s_wait_dscnt 0x0
	v_pk_mul_f32 v[114:115], v[110:111], v[102:103] op_sel:[0,1]
	v_pk_fma_f32 v[116:117], v[110:111], v[100:101], v[114:115] op_sel:[0,0,1] op_sel_hi:[1,1,0] neg_lo:[0,0,1] neg_hi:[0,0,1]
	v_pk_fma_f32 v[110:111], v[110:111], v[100:101], v[114:115] op_sel:[0,0,1] op_sel_hi:[1,0,0]
	s_delay_alu instid0(VALU_DEP_1) | instskip(SKIP_1) | instid1(VALU_DEP_1)
	v_mov_b32_e32 v117, v111
	v_pk_mul_f32 v[110:111], v[112:113], v[102:103] op_sel:[0,1]
	v_pk_fma_f32 v[114:115], v[112:113], v[100:101], v[110:111] op_sel:[0,0,1] op_sel_hi:[1,1,0] neg_lo:[0,0,1] neg_hi:[0,0,1]
	v_pk_fma_f32 v[110:111], v[112:113], v[100:101], v[110:111] op_sel:[0,0,1] op_sel_hi:[1,0,0]
	s_delay_alu instid0(VALU_DEP_1)
	v_mov_b32_e32 v115, v111
	ds_load_2addr_b64 v[110:113], v104 offset0:22 offset1:23
	v_pk_add_f32 v[80:81], v[80:81], v[116:117] neg_lo:[0,1] neg_hi:[0,1]
	v_pk_add_f32 v[78:79], v[78:79], v[114:115] neg_lo:[0,1] neg_hi:[0,1]
	s_wait_dscnt 0x0
	v_pk_mul_f32 v[114:115], v[110:111], v[102:103] op_sel:[0,1]
	s_delay_alu instid0(VALU_DEP_1) | instskip(SKIP_1) | instid1(VALU_DEP_1)
	v_pk_fma_f32 v[116:117], v[110:111], v[100:101], v[114:115] op_sel:[0,0,1] op_sel_hi:[1,1,0] neg_lo:[0,0,1] neg_hi:[0,0,1]
	v_pk_fma_f32 v[110:111], v[110:111], v[100:101], v[114:115] op_sel:[0,0,1] op_sel_hi:[1,0,0]
	v_mov_b32_e32 v117, v111
	v_pk_mul_f32 v[110:111], v[112:113], v[102:103] op_sel:[0,1]
	s_delay_alu instid0(VALU_DEP_1) | instskip(SKIP_1) | instid1(VALU_DEP_1)
	v_pk_fma_f32 v[114:115], v[112:113], v[100:101], v[110:111] op_sel:[0,0,1] op_sel_hi:[1,1,0] neg_lo:[0,0,1] neg_hi:[0,0,1]
	v_pk_fma_f32 v[110:111], v[112:113], v[100:101], v[110:111] op_sel:[0,0,1] op_sel_hi:[1,0,0]
	v_mov_b32_e32 v115, v111
	ds_load_2addr_b64 v[110:113], v104 offset0:24 offset1:25
	v_pk_add_f32 v[38:39], v[38:39], v[116:117] neg_lo:[0,1] neg_hi:[0,1]
	v_pk_add_f32 v[36:37], v[36:37], v[114:115] neg_lo:[0,1] neg_hi:[0,1]
	s_wait_dscnt 0x0
	v_dual_mul_f32 v114, v111, v103 :: v_dual_mul_f32 v116, v111, v100
	s_delay_alu instid0(VALU_DEP_1) | instskip(NEXT) | instid1(VALU_DEP_2)
	v_pk_fma_f32 v[114:115], v[110:111], v[68:69], v[114:115] op_sel_hi:[1,1,0] neg_lo:[0,0,1] neg_hi:[0,0,1]
	v_pk_fma_f32 v[110:111], v[110:111], v[68:69], v[116:117] op_sel:[1,0,0] op_sel_hi:[0,1,0]
	s_delay_alu instid0(VALU_DEP_1) | instskip(SKIP_1) | instid1(VALU_DEP_2)
	v_mov_b32_e32 v115, v111
	v_pk_mul_f32 v[110:111], v[112:113], v[102:103] op_sel:[0,1]
	v_pk_add_f32 v[70:71], v[70:71], v[114:115] neg_lo:[0,1] neg_hi:[0,1]
	s_delay_alu instid0(VALU_DEP_2) | instskip(SKIP_1) | instid1(VALU_DEP_1)
	v_pk_fma_f32 v[114:115], v[112:113], v[100:101], v[110:111] op_sel:[0,0,1] op_sel_hi:[1,1,0] neg_lo:[0,0,1] neg_hi:[0,0,1]
	v_pk_fma_f32 v[110:111], v[112:113], v[100:101], v[110:111] op_sel:[0,0,1] op_sel_hi:[1,0,0]
	v_mov_b32_e32 v115, v111
	ds_load_2addr_b64 v[110:113], v104 offset0:26 offset1:27
	v_pk_add_f32 v[66:67], v[66:67], v[114:115] neg_lo:[0,1] neg_hi:[0,1]
	s_wait_dscnt 0x0
	v_pk_mul_f32 v[114:115], v[110:111], v[102:103] op_sel:[0,1]
	s_delay_alu instid0(VALU_DEP_1) | instskip(SKIP_1) | instid1(VALU_DEP_1)
	v_pk_fma_f32 v[116:117], v[110:111], v[100:101], v[114:115] op_sel:[0,0,1] op_sel_hi:[1,1,0] neg_lo:[0,0,1] neg_hi:[0,0,1]
	v_pk_fma_f32 v[110:111], v[110:111], v[100:101], v[114:115] op_sel:[0,0,1] op_sel_hi:[1,0,0]
	v_mov_b32_e32 v117, v111
	v_pk_mul_f32 v[110:111], v[112:113], v[102:103] op_sel:[0,1]
	s_delay_alu instid0(VALU_DEP_2) | instskip(NEXT) | instid1(VALU_DEP_2)
	v_pk_add_f32 v[26:27], v[26:27], v[116:117] neg_lo:[0,1] neg_hi:[0,1]
	v_pk_fma_f32 v[114:115], v[112:113], v[100:101], v[110:111] op_sel:[0,0,1] op_sel_hi:[1,1,0] neg_lo:[0,0,1] neg_hi:[0,0,1]
	v_pk_fma_f32 v[110:111], v[112:113], v[100:101], v[110:111] op_sel:[0,0,1] op_sel_hi:[1,0,0]
	s_delay_alu instid0(VALU_DEP_1) | instskip(SKIP_4) | instid1(VALU_DEP_1)
	v_mov_b32_e32 v115, v111
	ds_load_2addr_b64 v[110:113], v104 offset0:28 offset1:29
	v_pk_add_f32 v[22:23], v[22:23], v[114:115] neg_lo:[0,1] neg_hi:[0,1]
	s_wait_dscnt 0x0
	v_pk_mul_f32 v[114:115], v[110:111], v[102:103] op_sel:[0,1]
	v_pk_fma_f32 v[116:117], v[110:111], v[100:101], v[114:115] op_sel:[0,0,1] op_sel_hi:[1,1,0] neg_lo:[0,0,1] neg_hi:[0,0,1]
	v_pk_fma_f32 v[110:111], v[110:111], v[100:101], v[114:115] op_sel:[0,0,1] op_sel_hi:[1,0,0]
	v_dual_mul_f32 v114, v113, v103 :: v_dual_mov_b32 v110, v113
	s_delay_alu instid0(VALU_DEP_2) | instskip(NEXT) | instid1(VALU_DEP_2)
	v_dual_mov_b32 v117, v111 :: v_dual_mov_b32 v111, v112
	v_pk_fma_f32 v[114:115], v[112:113], v[68:69], v[114:115] op_sel_hi:[1,1,0] neg_lo:[0,0,1] neg_hi:[0,0,1]
	v_mul_f32_e32 v112, v113, v100
	s_delay_alu instid0(VALU_DEP_3) | instskip(NEXT) | instid1(VALU_DEP_2)
	v_pk_add_f32 v[64:65], v[64:65], v[116:117] neg_lo:[0,1] neg_hi:[0,1]
	v_pk_fma_f32 v[110:111], v[110:111], v[68:69], v[112:113] op_sel_hi:[1,1,0]
	s_delay_alu instid0(VALU_DEP_1) | instskip(SKIP_4) | instid1(VALU_DEP_1)
	v_mov_b32_e32 v115, v111
	ds_load_2addr_b64 v[110:113], v104 offset0:30 offset1:31
	v_pk_add_f32 v[62:63], v[62:63], v[114:115] neg_lo:[0,1] neg_hi:[0,1]
	s_wait_dscnt 0x0
	v_pk_mul_f32 v[114:115], v[110:111], v[102:103] op_sel:[0,1]
	v_pk_fma_f32 v[116:117], v[110:111], v[100:101], v[114:115] op_sel:[0,0,1] op_sel_hi:[1,1,0] neg_lo:[0,0,1] neg_hi:[0,0,1]
	v_pk_fma_f32 v[110:111], v[110:111], v[100:101], v[114:115] op_sel:[0,0,1] op_sel_hi:[1,0,0]
	s_delay_alu instid0(VALU_DEP_1) | instskip(SKIP_1) | instid1(VALU_DEP_1)
	v_mov_b32_e32 v117, v111
	v_pk_mul_f32 v[110:111], v[112:113], v[102:103] op_sel:[0,1]
	v_pk_fma_f32 v[114:115], v[112:113], v[100:101], v[110:111] op_sel:[0,0,1] op_sel_hi:[1,1,0] neg_lo:[0,0,1] neg_hi:[0,0,1]
	v_pk_fma_f32 v[110:111], v[112:113], v[100:101], v[110:111] op_sel:[0,0,1] op_sel_hi:[1,0,0]
	s_delay_alu instid0(VALU_DEP_1)
	v_mov_b32_e32 v115, v111
	ds_load_2addr_b64 v[110:113], v104 offset0:32 offset1:33
	v_pk_add_f32 v[20:21], v[20:21], v[116:117] neg_lo:[0,1] neg_hi:[0,1]
	v_pk_add_f32 v[18:19], v[18:19], v[114:115] neg_lo:[0,1] neg_hi:[0,1]
	s_wait_dscnt 0x0
	v_pk_mul_f32 v[114:115], v[110:111], v[102:103] op_sel:[0,1]
	s_delay_alu instid0(VALU_DEP_1) | instskip(SKIP_1) | instid1(VALU_DEP_1)
	v_pk_fma_f32 v[116:117], v[110:111], v[100:101], v[114:115] op_sel:[0,0,1] op_sel_hi:[1,1,0] neg_lo:[0,0,1] neg_hi:[0,0,1]
	v_pk_fma_f32 v[110:111], v[110:111], v[100:101], v[114:115] op_sel:[0,0,1] op_sel_hi:[1,0,0]
	v_mov_b32_e32 v117, v111
	v_pk_mul_f32 v[110:111], v[112:113], v[102:103] op_sel:[0,1]
	s_delay_alu instid0(VALU_DEP_1) | instskip(SKIP_1) | instid1(VALU_DEP_1)
	v_pk_fma_f32 v[114:115], v[112:113], v[100:101], v[110:111] op_sel:[0,0,1] op_sel_hi:[1,1,0] neg_lo:[0,0,1] neg_hi:[0,0,1]
	v_pk_fma_f32 v[110:111], v[112:113], v[100:101], v[110:111] op_sel:[0,0,1] op_sel_hi:[1,0,0]
	v_mov_b32_e32 v115, v111
	ds_load_2addr_b64 v[110:113], v104 offset0:34 offset1:35
	v_pk_add_f32 v[60:61], v[60:61], v[116:117] neg_lo:[0,1] neg_hi:[0,1]
	v_pk_add_f32 v[58:59], v[58:59], v[114:115] neg_lo:[0,1] neg_hi:[0,1]
	s_wait_dscnt 0x0
	v_dual_mul_f32 v114, v111, v103 :: v_dual_mul_f32 v116, v111, v100
	s_delay_alu instid0(VALU_DEP_1) | instskip(NEXT) | instid1(VALU_DEP_2)
	v_pk_fma_f32 v[114:115], v[110:111], v[68:69], v[114:115] op_sel_hi:[1,1,0] neg_lo:[0,0,1] neg_hi:[0,0,1]
	v_pk_fma_f32 v[110:111], v[110:111], v[68:69], v[116:117] op_sel:[1,0,0] op_sel_hi:[0,1,0]
	s_delay_alu instid0(VALU_DEP_1) | instskip(SKIP_1) | instid1(VALU_DEP_2)
	v_mov_b32_e32 v115, v111
	v_pk_mul_f32 v[110:111], v[112:113], v[102:103] op_sel:[0,1]
	v_pk_add_f32 v[16:17], v[16:17], v[114:115] neg_lo:[0,1] neg_hi:[0,1]
	s_delay_alu instid0(VALU_DEP_2) | instskip(SKIP_1) | instid1(VALU_DEP_1)
	v_pk_fma_f32 v[114:115], v[112:113], v[100:101], v[110:111] op_sel:[0,0,1] op_sel_hi:[1,1,0] neg_lo:[0,0,1] neg_hi:[0,0,1]
	v_pk_fma_f32 v[110:111], v[112:113], v[100:101], v[110:111] op_sel:[0,0,1] op_sel_hi:[1,0,0]
	v_mov_b32_e32 v115, v111
	ds_load_2addr_b64 v[110:113], v104 offset0:36 offset1:37
	v_pk_add_f32 v[14:15], v[14:15], v[114:115] neg_lo:[0,1] neg_hi:[0,1]
	s_wait_dscnt 0x0
	v_pk_mul_f32 v[114:115], v[110:111], v[102:103] op_sel:[0,1]
	s_delay_alu instid0(VALU_DEP_1) | instskip(SKIP_1) | instid1(VALU_DEP_1)
	v_pk_fma_f32 v[116:117], v[110:111], v[100:101], v[114:115] op_sel:[0,0,1] op_sel_hi:[1,1,0] neg_lo:[0,0,1] neg_hi:[0,0,1]
	v_pk_fma_f32 v[110:111], v[110:111], v[100:101], v[114:115] op_sel:[0,0,1] op_sel_hi:[1,0,0]
	v_mov_b32_e32 v117, v111
	v_pk_mul_f32 v[110:111], v[112:113], v[102:103] op_sel:[0,1]
	s_delay_alu instid0(VALU_DEP_2) | instskip(NEXT) | instid1(VALU_DEP_2)
	v_pk_add_f32 v[56:57], v[56:57], v[116:117] neg_lo:[0,1] neg_hi:[0,1]
	v_pk_fma_f32 v[114:115], v[112:113], v[100:101], v[110:111] op_sel:[0,0,1] op_sel_hi:[1,1,0] neg_lo:[0,0,1] neg_hi:[0,0,1]
	v_pk_fma_f32 v[110:111], v[112:113], v[100:101], v[110:111] op_sel:[0,0,1] op_sel_hi:[1,0,0]
	s_delay_alu instid0(VALU_DEP_1) | instskip(SKIP_4) | instid1(VALU_DEP_1)
	v_mov_b32_e32 v115, v111
	ds_load_2addr_b64 v[110:113], v104 offset0:38 offset1:39
	v_pk_add_f32 v[54:55], v[54:55], v[114:115] neg_lo:[0,1] neg_hi:[0,1]
	s_wait_dscnt 0x0
	v_pk_mul_f32 v[114:115], v[110:111], v[102:103] op_sel:[0,1]
	v_pk_fma_f32 v[116:117], v[110:111], v[100:101], v[114:115] op_sel:[0,0,1] op_sel_hi:[1,1,0] neg_lo:[0,0,1] neg_hi:[0,0,1]
	v_pk_fma_f32 v[110:111], v[110:111], v[100:101], v[114:115] op_sel:[0,0,1] op_sel_hi:[1,0,0]
	v_dual_mul_f32 v114, v113, v103 :: v_dual_mov_b32 v110, v113
	s_delay_alu instid0(VALU_DEP_2) | instskip(NEXT) | instid1(VALU_DEP_2)
	v_dual_mov_b32 v117, v111 :: v_dual_mov_b32 v111, v112
	v_pk_fma_f32 v[114:115], v[112:113], v[68:69], v[114:115] op_sel_hi:[1,1,0] neg_lo:[0,0,1] neg_hi:[0,0,1]
	v_mul_f32_e32 v112, v113, v100
	s_delay_alu instid0(VALU_DEP_3) | instskip(NEXT) | instid1(VALU_DEP_2)
	v_pk_add_f32 v[10:11], v[10:11], v[116:117] neg_lo:[0,1] neg_hi:[0,1]
	v_pk_fma_f32 v[110:111], v[110:111], v[68:69], v[112:113] op_sel_hi:[1,1,0]
	s_delay_alu instid0(VALU_DEP_1) | instskip(SKIP_4) | instid1(VALU_DEP_1)
	v_mov_b32_e32 v115, v111
	ds_load_2addr_b64 v[110:113], v104 offset0:40 offset1:41
	v_pk_add_f32 v[6:7], v[6:7], v[114:115] neg_lo:[0,1] neg_hi:[0,1]
	s_wait_dscnt 0x0
	v_pk_mul_f32 v[114:115], v[110:111], v[102:103] op_sel:[0,1]
	v_pk_fma_f32 v[116:117], v[110:111], v[100:101], v[114:115] op_sel:[0,0,1] op_sel_hi:[1,1,0] neg_lo:[0,0,1] neg_hi:[0,0,1]
	v_pk_fma_f32 v[110:111], v[110:111], v[100:101], v[114:115] op_sel:[0,0,1] op_sel_hi:[1,0,0]
	s_delay_alu instid0(VALU_DEP_1) | instskip(SKIP_1) | instid1(VALU_DEP_1)
	v_mov_b32_e32 v117, v111
	v_pk_mul_f32 v[110:111], v[112:113], v[102:103] op_sel:[0,1]
	v_pk_fma_f32 v[114:115], v[112:113], v[100:101], v[110:111] op_sel:[0,0,1] op_sel_hi:[1,1,0] neg_lo:[0,0,1] neg_hi:[0,0,1]
	v_pk_fma_f32 v[110:111], v[112:113], v[100:101], v[110:111] op_sel:[0,0,1] op_sel_hi:[1,0,0]
	s_delay_alu instid0(VALU_DEP_1)
	v_mov_b32_e32 v115, v111
	ds_load_2addr_b64 v[110:113], v104 offset0:42 offset1:43
	v_pk_add_f32 v[52:53], v[52:53], v[116:117] neg_lo:[0,1] neg_hi:[0,1]
	v_pk_add_f32 v[50:51], v[50:51], v[114:115] neg_lo:[0,1] neg_hi:[0,1]
	s_wait_dscnt 0x0
	v_pk_mul_f32 v[114:115], v[110:111], v[102:103] op_sel:[0,1]
	s_delay_alu instid0(VALU_DEP_1) | instskip(SKIP_1) | instid1(VALU_DEP_1)
	v_pk_fma_f32 v[116:117], v[110:111], v[100:101], v[114:115] op_sel:[0,0,1] op_sel_hi:[1,1,0] neg_lo:[0,0,1] neg_hi:[0,0,1]
	v_pk_fma_f32 v[110:111], v[110:111], v[100:101], v[114:115] op_sel:[0,0,1] op_sel_hi:[1,0,0]
	v_mov_b32_e32 v117, v111
	v_pk_mul_f32 v[110:111], v[112:113], v[102:103] op_sel:[0,1]
	s_delay_alu instid0(VALU_DEP_1) | instskip(SKIP_1) | instid1(VALU_DEP_1)
	v_pk_fma_f32 v[114:115], v[112:113], v[100:101], v[110:111] op_sel:[0,0,1] op_sel_hi:[1,1,0] neg_lo:[0,0,1] neg_hi:[0,0,1]
	v_pk_fma_f32 v[110:111], v[112:113], v[100:101], v[110:111] op_sel:[0,0,1] op_sel_hi:[1,0,0]
	v_mov_b32_e32 v115, v111
	ds_load_2addr_b64 v[110:113], v104 offset0:44 offset1:45
	v_pk_add_f32 v[8:9], v[8:9], v[116:117] neg_lo:[0,1] neg_hi:[0,1]
	v_pk_add_f32 v[40:41], v[40:41], v[114:115] neg_lo:[0,1] neg_hi:[0,1]
	s_wait_dscnt 0x0
	v_dual_mul_f32 v114, v111, v103 :: v_dual_mul_f32 v116, v111, v100
	s_delay_alu instid0(VALU_DEP_1) | instskip(NEXT) | instid1(VALU_DEP_2)
	v_pk_fma_f32 v[114:115], v[110:111], v[68:69], v[114:115] op_sel_hi:[1,1,0] neg_lo:[0,0,1] neg_hi:[0,0,1]
	v_pk_fma_f32 v[110:111], v[110:111], v[68:69], v[116:117] op_sel:[1,0,0] op_sel_hi:[0,1,0]
	s_delay_alu instid0(VALU_DEP_1) | instskip(SKIP_1) | instid1(VALU_DEP_2)
	v_mov_b32_e32 v115, v111
	v_pk_mul_f32 v[110:111], v[112:113], v[102:103] op_sel:[0,1]
	v_pk_add_f32 v[30:31], v[30:31], v[114:115] neg_lo:[0,1] neg_hi:[0,1]
	s_delay_alu instid0(VALU_DEP_2) | instskip(SKIP_1) | instid1(VALU_DEP_1)
	v_pk_fma_f32 v[114:115], v[112:113], v[100:101], v[110:111] op_sel:[0,0,1] op_sel_hi:[1,1,0] neg_lo:[0,0,1] neg_hi:[0,0,1]
	v_pk_fma_f32 v[110:111], v[112:113], v[100:101], v[110:111] op_sel:[0,0,1] op_sel_hi:[1,0,0]
	v_mov_b32_e32 v115, v111
	ds_load_b64 v[110:111], v104 offset:368
	v_pk_add_f32 v[12:13], v[12:13], v[114:115] neg_lo:[0,1] neg_hi:[0,1]
	s_wait_dscnt 0x0
	v_pk_mul_f32 v[102:103], v[110:111], v[102:103] op_sel:[0,1]
	s_delay_alu instid0(VALU_DEP_1) | instskip(SKIP_1) | instid1(VALU_DEP_1)
	v_pk_fma_f32 v[112:113], v[110:111], v[100:101], v[102:103] op_sel:[0,0,1] op_sel_hi:[1,1,0] neg_lo:[0,0,1] neg_hi:[0,0,1]
	v_pk_fma_f32 v[100:101], v[110:111], v[100:101], v[102:103] op_sel:[0,0,1] op_sel_hi:[1,0,0]
	v_mov_b32_e32 v113, v101
	s_delay_alu instid0(VALU_DEP_1)
	v_pk_add_f32 v[98:99], v[98:99], v[112:113] neg_lo:[0,1] neg_hi:[0,1]
.LBB92_125:
	s_or_b32 exec_lo, exec_lo, s0
	v_lshl_add_u32 v100, v108, 3, v104
	s_barrier_signal -1
	s_barrier_wait -1
	ds_store_b64 v100, v[28:29]
	s_wait_dscnt 0x0
	s_barrier_signal -1
	s_barrier_wait -1
	ds_load_b64 v[102:103], v104 offset:48
	v_mov_b32_e32 v100, 6
	s_cmp_lt_i32 s18, 8
	s_cbranch_scc1 .LBB92_128
; %bb.126:
	v_add3_u32 v101, v105, 0, 56
	v_mov_b32_e32 v100, 6
	s_mov_b32 s0, 7
.LBB92_127:                             ; =>This Inner Loop Header: Depth=1
	ds_load_b64 v[110:111], v101
	s_wait_dscnt 0x1
	v_cmp_gt_f32_e32 vcc_lo, 0, v102
	v_cndmask_b32_e64 v112, v102, -v102, vcc_lo
	v_cmp_gt_f32_e32 vcc_lo, 0, v103
	v_cndmask_b32_e64 v114, v103, -v103, vcc_lo
	s_wait_dscnt 0x0
	v_cmp_gt_f32_e32 vcc_lo, 0, v110
	v_cndmask_b32_e64 v113, v110, -v110, vcc_lo
	v_cmp_gt_f32_e32 vcc_lo, 0, v111
	v_cndmask_b32_e64 v115, v111, -v111, vcc_lo
	s_delay_alu instid0(VALU_DEP_1) | instskip(NEXT) | instid1(VALU_DEP_1)
	v_pk_add_f32 v[112:113], v[112:113], v[114:115]
	v_cmp_lt_f32_e32 vcc_lo, v112, v113
	v_dual_add_nc_u32 v101, 8, v101 :: v_dual_cndmask_b32 v103, v103, v111, vcc_lo
	v_cndmask_b32_e32 v102, v102, v110, vcc_lo
	v_cndmask_b32_e64 v100, v100, s0, vcc_lo
	s_add_co_i32 s0, s0, 1
	s_delay_alu instid0(SALU_CYCLE_1)
	s_cmp_lg_u32 s18, s0
	s_cbranch_scc1 .LBB92_127
.LBB92_128:
	s_wait_dscnt 0x0
	v_cmp_eq_f32_e32 vcc_lo, 0, v102
	v_cmp_eq_f32_e64 s0, 0, v103
	s_and_b32 s0, vcc_lo, s0
	s_delay_alu instid0(SALU_CYCLE_1) | instskip(NEXT) | instid1(SALU_CYCLE_1)
	s_and_saveexec_b32 s1, s0
	s_xor_b32 s0, exec_lo, s1
; %bb.129:
	v_cmp_ne_u32_e32 vcc_lo, 0, v106
	v_cndmask_b32_e32 v106, 7, v106, vcc_lo
; %bb.130:
	s_and_not1_saveexec_b32 s0, s0
	s_cbranch_execz .LBB92_136
; %bb.131:
	v_cmp_ngt_f32_e64 s1, |v102|, |v103|
	s_and_saveexec_b32 s12, s1
	s_delay_alu instid0(SALU_CYCLE_1)
	s_xor_b32 s1, exec_lo, s12
	s_cbranch_execz .LBB92_133
; %bb.132:
	v_div_scale_f32 v101, null, v103, v103, v102
	v_div_scale_f32 v111, vcc_lo, v102, v103, v102
	s_delay_alu instid0(VALU_DEP_2) | instskip(SKIP_1) | instid1(TRANS32_DEP_1)
	v_rcp_f32_e32 v109, v101
	v_nop
	v_fma_f32 v110, -v101, v109, 1.0
	s_delay_alu instid0(VALU_DEP_1) | instskip(NEXT) | instid1(VALU_DEP_1)
	v_fmac_f32_e32 v109, v110, v109
	v_mul_f32_e32 v110, v111, v109
	s_delay_alu instid0(VALU_DEP_1) | instskip(NEXT) | instid1(VALU_DEP_1)
	v_fma_f32 v112, -v101, v110, v111
	v_fmac_f32_e32 v110, v112, v109
	s_delay_alu instid0(VALU_DEP_1) | instskip(NEXT) | instid1(VALU_DEP_1)
	v_fma_f32 v101, -v101, v110, v111
	v_div_fmas_f32 v101, v101, v109, v110
	s_delay_alu instid0(VALU_DEP_1) | instskip(NEXT) | instid1(VALU_DEP_1)
	v_div_fixup_f32 v101, v101, v103, v102
	v_fmac_f32_e32 v103, v102, v101
	s_delay_alu instid0(VALU_DEP_1) | instskip(SKIP_1) | instid1(VALU_DEP_2)
	v_div_scale_f32 v102, null, v103, v103, 1.0
	v_div_scale_f32 v111, vcc_lo, 1.0, v103, 1.0
	v_rcp_f32_e32 v109, v102
	v_nop
	s_delay_alu instid0(TRANS32_DEP_1) | instskip(NEXT) | instid1(VALU_DEP_1)
	v_fma_f32 v110, -v102, v109, 1.0
	v_fmac_f32_e32 v109, v110, v109
	s_delay_alu instid0(VALU_DEP_1) | instskip(NEXT) | instid1(VALU_DEP_1)
	v_mul_f32_e32 v110, v111, v109
	v_fma_f32 v112, -v102, v110, v111
	s_delay_alu instid0(VALU_DEP_1) | instskip(NEXT) | instid1(VALU_DEP_1)
	v_fmac_f32_e32 v110, v112, v109
	v_fma_f32 v102, -v102, v110, v111
	s_delay_alu instid0(VALU_DEP_1) | instskip(NEXT) | instid1(VALU_DEP_1)
	v_div_fmas_f32 v102, v102, v109, v110
	v_div_fixup_f32 v103, v102, v103, 1.0
	s_delay_alu instid0(VALU_DEP_1)
	v_mul_f32_e32 v102, v101, v103
	v_xor_b32_e32 v103, 0x80000000, v103
.LBB92_133:
	s_and_not1_saveexec_b32 s1, s1
	s_cbranch_execz .LBB92_135
; %bb.134:
	s_delay_alu instid0(VALU_DEP_1) | instskip(SKIP_1) | instid1(VALU_DEP_2)
	v_div_scale_f32 v101, null, v102, v102, v103
	v_div_scale_f32 v111, vcc_lo, v103, v102, v103
	v_rcp_f32_e32 v109, v101
	v_nop
	s_delay_alu instid0(TRANS32_DEP_1) | instskip(NEXT) | instid1(VALU_DEP_1)
	v_fma_f32 v110, -v101, v109, 1.0
	v_fmac_f32_e32 v109, v110, v109
	s_delay_alu instid0(VALU_DEP_1) | instskip(NEXT) | instid1(VALU_DEP_1)
	v_mul_f32_e32 v110, v111, v109
	v_fma_f32 v112, -v101, v110, v111
	s_delay_alu instid0(VALU_DEP_1) | instskip(NEXT) | instid1(VALU_DEP_1)
	v_fmac_f32_e32 v110, v112, v109
	v_fma_f32 v101, -v101, v110, v111
	s_delay_alu instid0(VALU_DEP_1) | instskip(NEXT) | instid1(VALU_DEP_1)
	v_div_fmas_f32 v101, v101, v109, v110
	v_div_fixup_f32 v101, v101, v102, v103
	s_delay_alu instid0(VALU_DEP_1) | instskip(NEXT) | instid1(VALU_DEP_1)
	v_fmac_f32_e32 v102, v103, v101
	v_div_scale_f32 v103, null, v102, v102, 1.0
	s_delay_alu instid0(VALU_DEP_1) | instskip(SKIP_1) | instid1(TRANS32_DEP_1)
	v_rcp_f32_e32 v109, v103
	v_nop
	v_fma_f32 v110, -v103, v109, 1.0
	s_delay_alu instid0(VALU_DEP_1) | instskip(SKIP_1) | instid1(VALU_DEP_1)
	v_fmac_f32_e32 v109, v110, v109
	v_div_scale_f32 v110, vcc_lo, 1.0, v102, 1.0
	v_mul_f32_e32 v111, v110, v109
	s_delay_alu instid0(VALU_DEP_1) | instskip(NEXT) | instid1(VALU_DEP_1)
	v_fma_f32 v112, -v103, v111, v110
	v_fmac_f32_e32 v111, v112, v109
	s_delay_alu instid0(VALU_DEP_1) | instskip(NEXT) | instid1(VALU_DEP_1)
	v_fma_f32 v103, -v103, v111, v110
	v_div_fmas_f32 v103, v103, v109, v111
	s_delay_alu instid0(VALU_DEP_1) | instskip(NEXT) | instid1(VALU_DEP_1)
	v_div_fixup_f32 v102, v103, v102, 1.0
	v_mul_f32_e64 v103, v101, -v102
.LBB92_135:
	s_or_b32 exec_lo, exec_lo, s1
.LBB92_136:
	s_delay_alu instid0(SALU_CYCLE_1) | instskip(NEXT) | instid1(SALU_CYCLE_1)
	s_or_b32 exec_lo, exec_lo, s0
	s_mov_b32 s0, exec_lo
	v_cmpx_ne_u32_e64 v108, v100
	s_xor_b32 s0, exec_lo, s0
	s_cbranch_execz .LBB92_142
; %bb.137:
	s_mov_b32 s1, exec_lo
	v_cmpx_eq_u32_e32 6, v108
	s_cbranch_execz .LBB92_141
; %bb.138:
	v_cmp_ne_u32_e32 vcc_lo, 6, v100
	s_xor_b32 s12, s16, -1
	s_delay_alu instid0(SALU_CYCLE_1) | instskip(NEXT) | instid1(SALU_CYCLE_1)
	s_and_b32 s13, s12, vcc_lo
	s_and_saveexec_b32 s12, s13
	s_cbranch_execz .LBB92_140
; %bb.139:
	v_ashrrev_i32_e32 v101, 31, v100
	s_delay_alu instid0(VALU_DEP_1)
	v_lshl_add_u64 v[108:109], v[100:101], 2, v[4:5]
	s_clause 0x1
	global_load_b32 v101, v[108:109], off
	global_load_b32 v107, v[4:5], off offset:24
	s_wait_loadcnt 0x1
	global_store_b32 v[4:5], v101, off offset:24
	s_wait_loadcnt 0x0
	global_store_b32 v[108:109], v107, off
.LBB92_140:
	s_wait_xcnt 0x0
	s_or_b32 exec_lo, exec_lo, s12
	v_dual_mov_b32 v108, v100 :: v_dual_mov_b32 v107, v100
.LBB92_141:
	s_or_b32 exec_lo, exec_lo, s1
.LBB92_142:
	s_and_not1_saveexec_b32 s0, s0
	s_cbranch_execz .LBB92_144
; %bb.143:
	v_mov_b32_e32 v108, 6
	ds_store_2addr_b64 v104, v[24:25], v[76:77] offset0:7 offset1:8
	ds_store_2addr_b64 v104, v[74:75], v[34:35] offset0:9 offset1:10
	ds_store_2addr_b64 v104, v[32:33], v[88:89] offset0:11 offset1:12
	ds_store_2addr_b64 v104, v[86:87], v[48:49] offset0:13 offset1:14
	ds_store_2addr_b64 v104, v[46:47], v[84:85] offset0:15 offset1:16
	ds_store_2addr_b64 v104, v[82:83], v[44:45] offset0:17 offset1:18
	ds_store_2addr_b64 v104, v[42:43], v[80:81] offset0:19 offset1:20
	ds_store_2addr_b64 v104, v[78:79], v[38:39] offset0:21 offset1:22
	ds_store_2addr_b64 v104, v[36:37], v[70:71] offset0:23 offset1:24
	ds_store_2addr_b64 v104, v[66:67], v[26:27] offset0:25 offset1:26
	ds_store_2addr_b64 v104, v[22:23], v[64:65] offset0:27 offset1:28
	ds_store_2addr_b64 v104, v[62:63], v[20:21] offset0:29 offset1:30
	ds_store_2addr_b64 v104, v[18:19], v[60:61] offset0:31 offset1:32
	ds_store_2addr_b64 v104, v[58:59], v[16:17] offset0:33 offset1:34
	ds_store_2addr_b64 v104, v[14:15], v[56:57] offset0:35 offset1:36
	ds_store_2addr_b64 v104, v[54:55], v[10:11] offset0:37 offset1:38
	ds_store_2addr_b64 v104, v[6:7], v[52:53] offset0:39 offset1:40
	ds_store_2addr_b64 v104, v[50:51], v[8:9] offset0:41 offset1:42
	ds_store_2addr_b64 v104, v[40:41], v[30:31] offset0:43 offset1:44
	ds_store_2addr_b64 v104, v[12:13], v[98:99] offset0:45 offset1:46
.LBB92_144:
	s_or_b32 exec_lo, exec_lo, s0
	s_delay_alu instid0(SALU_CYCLE_1)
	s_mov_b32 s0, exec_lo
	s_wait_storecnt_dscnt 0x0
	s_barrier_signal -1
	s_barrier_wait -1
	v_cmpx_lt_i32_e32 6, v108
	s_cbranch_execz .LBB92_146
; %bb.145:
	v_pk_mul_f32 v[110:111], v[102:103], v[28:29] op_sel:[1,1] op_sel_hi:[0,1]
	s_delay_alu instid0(VALU_DEP_1)
	v_pk_fma_f32 v[100:101], v[102:103], v[28:29], v[110:111] op_sel_hi:[1,0,1] neg_lo:[0,0,1] neg_hi:[0,0,1]
	v_pk_fma_f32 v[102:103], v[102:103], v[28:29], v[110:111] op_sel_hi:[1,0,1]
	ds_load_2addr_b64 v[110:113], v104 offset0:7 offset1:8
	v_dual_mov_b32 v28, v100 :: v_dual_mov_b32 v29, v103
	s_wait_dscnt 0x0
	v_pk_mul_f32 v[114:115], v[110:111], v[102:103] op_sel:[0,1]
	s_delay_alu instid0(VALU_DEP_1) | instskip(SKIP_1) | instid1(VALU_DEP_1)
	v_pk_fma_f32 v[116:117], v[110:111], v[100:101], v[114:115] op_sel:[0,0,1] op_sel_hi:[1,1,0] neg_lo:[0,0,1] neg_hi:[0,0,1]
	v_pk_fma_f32 v[110:111], v[110:111], v[100:101], v[114:115] op_sel:[0,0,1] op_sel_hi:[1,0,0]
	v_mov_b32_e32 v117, v111
	v_pk_mul_f32 v[110:111], v[112:113], v[102:103] op_sel:[0,1]
	s_delay_alu instid0(VALU_DEP_1) | instskip(SKIP_1) | instid1(VALU_DEP_1)
	v_pk_fma_f32 v[114:115], v[112:113], v[100:101], v[110:111] op_sel:[0,0,1] op_sel_hi:[1,1,0] neg_lo:[0,0,1] neg_hi:[0,0,1]
	v_pk_fma_f32 v[110:111], v[112:113], v[100:101], v[110:111] op_sel:[0,0,1] op_sel_hi:[1,0,0]
	v_mov_b32_e32 v115, v111
	ds_load_2addr_b64 v[110:113], v104 offset0:9 offset1:10
	v_pk_add_f32 v[24:25], v[24:25], v[116:117] neg_lo:[0,1] neg_hi:[0,1]
	v_pk_add_f32 v[76:77], v[76:77], v[114:115] neg_lo:[0,1] neg_hi:[0,1]
	s_wait_dscnt 0x0
	v_pk_mul_f32 v[114:115], v[110:111], v[102:103] op_sel:[0,1]
	s_delay_alu instid0(VALU_DEP_1) | instskip(SKIP_2) | instid1(VALU_DEP_2)
	v_pk_fma_f32 v[116:117], v[110:111], v[100:101], v[114:115] op_sel:[0,0,1] op_sel_hi:[1,1,0] neg_lo:[0,0,1] neg_hi:[0,0,1]
	v_pk_fma_f32 v[110:111], v[110:111], v[100:101], v[114:115] op_sel:[0,0,1] op_sel_hi:[1,0,0]
	v_dual_mul_f32 v114, v113, v103 :: v_dual_mov_b32 v110, v113
	v_dual_mov_b32 v117, v111 :: v_dual_mov_b32 v111, v112
	s_delay_alu instid0(VALU_DEP_2) | instskip(SKIP_1) | instid1(VALU_DEP_3)
	v_pk_fma_f32 v[114:115], v[112:113], v[28:29], v[114:115] op_sel_hi:[1,1,0] neg_lo:[0,0,1] neg_hi:[0,0,1]
	v_mul_f32_e32 v112, v113, v100
	v_pk_add_f32 v[74:75], v[74:75], v[116:117] neg_lo:[0,1] neg_hi:[0,1]
	s_delay_alu instid0(VALU_DEP_2) | instskip(NEXT) | instid1(VALU_DEP_1)
	v_pk_fma_f32 v[110:111], v[110:111], v[28:29], v[112:113] op_sel_hi:[1,1,0]
	v_mov_b32_e32 v115, v111
	ds_load_2addr_b64 v[110:113], v104 offset0:11 offset1:12
	v_pk_add_f32 v[34:35], v[34:35], v[114:115] neg_lo:[0,1] neg_hi:[0,1]
	s_wait_dscnt 0x0
	v_pk_mul_f32 v[114:115], v[110:111], v[102:103] op_sel:[0,1]
	s_delay_alu instid0(VALU_DEP_1) | instskip(SKIP_1) | instid1(VALU_DEP_1)
	v_pk_fma_f32 v[116:117], v[110:111], v[100:101], v[114:115] op_sel:[0,0,1] op_sel_hi:[1,1,0] neg_lo:[0,0,1] neg_hi:[0,0,1]
	v_pk_fma_f32 v[110:111], v[110:111], v[100:101], v[114:115] op_sel:[0,0,1] op_sel_hi:[1,0,0]
	v_mov_b32_e32 v117, v111
	v_pk_mul_f32 v[110:111], v[112:113], v[102:103] op_sel:[0,1]
	s_delay_alu instid0(VALU_DEP_1) | instskip(SKIP_1) | instid1(VALU_DEP_1)
	v_pk_fma_f32 v[114:115], v[112:113], v[100:101], v[110:111] op_sel:[0,0,1] op_sel_hi:[1,1,0] neg_lo:[0,0,1] neg_hi:[0,0,1]
	v_pk_fma_f32 v[110:111], v[112:113], v[100:101], v[110:111] op_sel:[0,0,1] op_sel_hi:[1,0,0]
	v_mov_b32_e32 v115, v111
	ds_load_2addr_b64 v[110:113], v104 offset0:13 offset1:14
	v_pk_add_f32 v[32:33], v[32:33], v[116:117] neg_lo:[0,1] neg_hi:[0,1]
	v_pk_add_f32 v[88:89], v[88:89], v[114:115] neg_lo:[0,1] neg_hi:[0,1]
	s_wait_dscnt 0x0
	v_pk_mul_f32 v[114:115], v[110:111], v[102:103] op_sel:[0,1]
	s_delay_alu instid0(VALU_DEP_1) | instskip(SKIP_1) | instid1(VALU_DEP_1)
	v_pk_fma_f32 v[116:117], v[110:111], v[100:101], v[114:115] op_sel:[0,0,1] op_sel_hi:[1,1,0] neg_lo:[0,0,1] neg_hi:[0,0,1]
	v_pk_fma_f32 v[110:111], v[110:111], v[100:101], v[114:115] op_sel:[0,0,1] op_sel_hi:[1,0,0]
	v_mov_b32_e32 v117, v111
	v_pk_mul_f32 v[110:111], v[112:113], v[102:103] op_sel:[0,1]
	s_delay_alu instid0(VALU_DEP_1) | instskip(SKIP_1) | instid1(VALU_DEP_1)
	v_pk_fma_f32 v[114:115], v[112:113], v[100:101], v[110:111] op_sel:[0,0,1] op_sel_hi:[1,1,0] neg_lo:[0,0,1] neg_hi:[0,0,1]
	v_pk_fma_f32 v[110:111], v[112:113], v[100:101], v[110:111] op_sel:[0,0,1] op_sel_hi:[1,0,0]
	v_mov_b32_e32 v115, v111
	ds_load_2addr_b64 v[110:113], v104 offset0:15 offset1:16
	v_pk_add_f32 v[86:87], v[86:87], v[116:117] neg_lo:[0,1] neg_hi:[0,1]
	v_pk_add_f32 v[48:49], v[48:49], v[114:115] neg_lo:[0,1] neg_hi:[0,1]
	s_wait_dscnt 0x0
	v_dual_mul_f32 v114, v111, v103 :: v_dual_mul_f32 v116, v111, v100
	s_delay_alu instid0(VALU_DEP_1) | instskip(NEXT) | instid1(VALU_DEP_2)
	v_pk_fma_f32 v[114:115], v[110:111], v[28:29], v[114:115] op_sel_hi:[1,1,0] neg_lo:[0,0,1] neg_hi:[0,0,1]
	v_pk_fma_f32 v[110:111], v[110:111], v[28:29], v[116:117] op_sel:[1,0,0] op_sel_hi:[0,1,0]
	s_delay_alu instid0(VALU_DEP_1) | instskip(SKIP_1) | instid1(VALU_DEP_2)
	v_mov_b32_e32 v115, v111
	v_pk_mul_f32 v[110:111], v[112:113], v[102:103] op_sel:[0,1]
	v_pk_add_f32 v[46:47], v[46:47], v[114:115] neg_lo:[0,1] neg_hi:[0,1]
	s_delay_alu instid0(VALU_DEP_2) | instskip(SKIP_1) | instid1(VALU_DEP_1)
	v_pk_fma_f32 v[114:115], v[112:113], v[100:101], v[110:111] op_sel:[0,0,1] op_sel_hi:[1,1,0] neg_lo:[0,0,1] neg_hi:[0,0,1]
	v_pk_fma_f32 v[110:111], v[112:113], v[100:101], v[110:111] op_sel:[0,0,1] op_sel_hi:[1,0,0]
	v_mov_b32_e32 v115, v111
	ds_load_2addr_b64 v[110:113], v104 offset0:17 offset1:18
	v_pk_add_f32 v[84:85], v[84:85], v[114:115] neg_lo:[0,1] neg_hi:[0,1]
	s_wait_dscnt 0x0
	v_pk_mul_f32 v[114:115], v[110:111], v[102:103] op_sel:[0,1]
	s_delay_alu instid0(VALU_DEP_1) | instskip(SKIP_1) | instid1(VALU_DEP_1)
	v_pk_fma_f32 v[116:117], v[110:111], v[100:101], v[114:115] op_sel:[0,0,1] op_sel_hi:[1,1,0] neg_lo:[0,0,1] neg_hi:[0,0,1]
	v_pk_fma_f32 v[110:111], v[110:111], v[100:101], v[114:115] op_sel:[0,0,1] op_sel_hi:[1,0,0]
	v_mov_b32_e32 v117, v111
	v_pk_mul_f32 v[110:111], v[112:113], v[102:103] op_sel:[0,1]
	s_delay_alu instid0(VALU_DEP_2) | instskip(NEXT) | instid1(VALU_DEP_2)
	v_pk_add_f32 v[82:83], v[82:83], v[116:117] neg_lo:[0,1] neg_hi:[0,1]
	v_pk_fma_f32 v[114:115], v[112:113], v[100:101], v[110:111] op_sel:[0,0,1] op_sel_hi:[1,1,0] neg_lo:[0,0,1] neg_hi:[0,0,1]
	v_pk_fma_f32 v[110:111], v[112:113], v[100:101], v[110:111] op_sel:[0,0,1] op_sel_hi:[1,0,0]
	s_delay_alu instid0(VALU_DEP_1) | instskip(SKIP_4) | instid1(VALU_DEP_1)
	v_mov_b32_e32 v115, v111
	ds_load_2addr_b64 v[110:113], v104 offset0:19 offset1:20
	v_pk_add_f32 v[44:45], v[44:45], v[114:115] neg_lo:[0,1] neg_hi:[0,1]
	s_wait_dscnt 0x0
	v_pk_mul_f32 v[114:115], v[110:111], v[102:103] op_sel:[0,1]
	v_pk_fma_f32 v[116:117], v[110:111], v[100:101], v[114:115] op_sel:[0,0,1] op_sel_hi:[1,1,0] neg_lo:[0,0,1] neg_hi:[0,0,1]
	v_pk_fma_f32 v[110:111], v[110:111], v[100:101], v[114:115] op_sel:[0,0,1] op_sel_hi:[1,0,0]
	v_dual_mul_f32 v114, v113, v103 :: v_dual_mov_b32 v110, v113
	s_delay_alu instid0(VALU_DEP_2) | instskip(NEXT) | instid1(VALU_DEP_2)
	v_dual_mov_b32 v117, v111 :: v_dual_mov_b32 v111, v112
	v_pk_fma_f32 v[114:115], v[112:113], v[28:29], v[114:115] op_sel_hi:[1,1,0] neg_lo:[0,0,1] neg_hi:[0,0,1]
	v_mul_f32_e32 v112, v113, v100
	s_delay_alu instid0(VALU_DEP_3) | instskip(NEXT) | instid1(VALU_DEP_2)
	v_pk_add_f32 v[42:43], v[42:43], v[116:117] neg_lo:[0,1] neg_hi:[0,1]
	v_pk_fma_f32 v[110:111], v[110:111], v[28:29], v[112:113] op_sel_hi:[1,1,0]
	s_delay_alu instid0(VALU_DEP_1) | instskip(SKIP_4) | instid1(VALU_DEP_1)
	v_mov_b32_e32 v115, v111
	ds_load_2addr_b64 v[110:113], v104 offset0:21 offset1:22
	v_pk_add_f32 v[80:81], v[80:81], v[114:115] neg_lo:[0,1] neg_hi:[0,1]
	s_wait_dscnt 0x0
	v_pk_mul_f32 v[114:115], v[110:111], v[102:103] op_sel:[0,1]
	v_pk_fma_f32 v[116:117], v[110:111], v[100:101], v[114:115] op_sel:[0,0,1] op_sel_hi:[1,1,0] neg_lo:[0,0,1] neg_hi:[0,0,1]
	v_pk_fma_f32 v[110:111], v[110:111], v[100:101], v[114:115] op_sel:[0,0,1] op_sel_hi:[1,0,0]
	s_delay_alu instid0(VALU_DEP_1) | instskip(SKIP_1) | instid1(VALU_DEP_1)
	v_mov_b32_e32 v117, v111
	v_pk_mul_f32 v[110:111], v[112:113], v[102:103] op_sel:[0,1]
	v_pk_fma_f32 v[114:115], v[112:113], v[100:101], v[110:111] op_sel:[0,0,1] op_sel_hi:[1,1,0] neg_lo:[0,0,1] neg_hi:[0,0,1]
	v_pk_fma_f32 v[110:111], v[112:113], v[100:101], v[110:111] op_sel:[0,0,1] op_sel_hi:[1,0,0]
	s_delay_alu instid0(VALU_DEP_1)
	v_mov_b32_e32 v115, v111
	ds_load_2addr_b64 v[110:113], v104 offset0:23 offset1:24
	v_pk_add_f32 v[78:79], v[78:79], v[116:117] neg_lo:[0,1] neg_hi:[0,1]
	v_pk_add_f32 v[38:39], v[38:39], v[114:115] neg_lo:[0,1] neg_hi:[0,1]
	s_wait_dscnt 0x0
	v_pk_mul_f32 v[114:115], v[110:111], v[102:103] op_sel:[0,1]
	s_delay_alu instid0(VALU_DEP_1) | instskip(SKIP_1) | instid1(VALU_DEP_1)
	v_pk_fma_f32 v[116:117], v[110:111], v[100:101], v[114:115] op_sel:[0,0,1] op_sel_hi:[1,1,0] neg_lo:[0,0,1] neg_hi:[0,0,1]
	v_pk_fma_f32 v[110:111], v[110:111], v[100:101], v[114:115] op_sel:[0,0,1] op_sel_hi:[1,0,0]
	v_mov_b32_e32 v117, v111
	v_pk_mul_f32 v[110:111], v[112:113], v[102:103] op_sel:[0,1]
	s_delay_alu instid0(VALU_DEP_1) | instskip(SKIP_1) | instid1(VALU_DEP_1)
	v_pk_fma_f32 v[114:115], v[112:113], v[100:101], v[110:111] op_sel:[0,0,1] op_sel_hi:[1,1,0] neg_lo:[0,0,1] neg_hi:[0,0,1]
	v_pk_fma_f32 v[110:111], v[112:113], v[100:101], v[110:111] op_sel:[0,0,1] op_sel_hi:[1,0,0]
	v_mov_b32_e32 v115, v111
	ds_load_2addr_b64 v[110:113], v104 offset0:25 offset1:26
	v_pk_add_f32 v[36:37], v[36:37], v[116:117] neg_lo:[0,1] neg_hi:[0,1]
	v_pk_add_f32 v[70:71], v[70:71], v[114:115] neg_lo:[0,1] neg_hi:[0,1]
	s_wait_dscnt 0x0
	v_dual_mul_f32 v114, v111, v103 :: v_dual_mul_f32 v116, v111, v100
	s_delay_alu instid0(VALU_DEP_1) | instskip(NEXT) | instid1(VALU_DEP_2)
	v_pk_fma_f32 v[114:115], v[110:111], v[28:29], v[114:115] op_sel_hi:[1,1,0] neg_lo:[0,0,1] neg_hi:[0,0,1]
	v_pk_fma_f32 v[110:111], v[110:111], v[28:29], v[116:117] op_sel:[1,0,0] op_sel_hi:[0,1,0]
	s_delay_alu instid0(VALU_DEP_1) | instskip(SKIP_1) | instid1(VALU_DEP_2)
	v_mov_b32_e32 v115, v111
	v_pk_mul_f32 v[110:111], v[112:113], v[102:103] op_sel:[0,1]
	v_pk_add_f32 v[66:67], v[66:67], v[114:115] neg_lo:[0,1] neg_hi:[0,1]
	s_delay_alu instid0(VALU_DEP_2) | instskip(SKIP_1) | instid1(VALU_DEP_1)
	v_pk_fma_f32 v[114:115], v[112:113], v[100:101], v[110:111] op_sel:[0,0,1] op_sel_hi:[1,1,0] neg_lo:[0,0,1] neg_hi:[0,0,1]
	v_pk_fma_f32 v[110:111], v[112:113], v[100:101], v[110:111] op_sel:[0,0,1] op_sel_hi:[1,0,0]
	v_mov_b32_e32 v115, v111
	ds_load_2addr_b64 v[110:113], v104 offset0:27 offset1:28
	v_pk_add_f32 v[26:27], v[26:27], v[114:115] neg_lo:[0,1] neg_hi:[0,1]
	s_wait_dscnt 0x0
	v_pk_mul_f32 v[114:115], v[110:111], v[102:103] op_sel:[0,1]
	s_delay_alu instid0(VALU_DEP_1) | instskip(SKIP_1) | instid1(VALU_DEP_1)
	v_pk_fma_f32 v[116:117], v[110:111], v[100:101], v[114:115] op_sel:[0,0,1] op_sel_hi:[1,1,0] neg_lo:[0,0,1] neg_hi:[0,0,1]
	v_pk_fma_f32 v[110:111], v[110:111], v[100:101], v[114:115] op_sel:[0,0,1] op_sel_hi:[1,0,0]
	v_mov_b32_e32 v117, v111
	v_pk_mul_f32 v[110:111], v[112:113], v[102:103] op_sel:[0,1]
	s_delay_alu instid0(VALU_DEP_2) | instskip(NEXT) | instid1(VALU_DEP_2)
	v_pk_add_f32 v[22:23], v[22:23], v[116:117] neg_lo:[0,1] neg_hi:[0,1]
	v_pk_fma_f32 v[114:115], v[112:113], v[100:101], v[110:111] op_sel:[0,0,1] op_sel_hi:[1,1,0] neg_lo:[0,0,1] neg_hi:[0,0,1]
	v_pk_fma_f32 v[110:111], v[112:113], v[100:101], v[110:111] op_sel:[0,0,1] op_sel_hi:[1,0,0]
	s_delay_alu instid0(VALU_DEP_1) | instskip(SKIP_4) | instid1(VALU_DEP_1)
	v_mov_b32_e32 v115, v111
	ds_load_2addr_b64 v[110:113], v104 offset0:29 offset1:30
	v_pk_add_f32 v[64:65], v[64:65], v[114:115] neg_lo:[0,1] neg_hi:[0,1]
	s_wait_dscnt 0x0
	v_pk_mul_f32 v[114:115], v[110:111], v[102:103] op_sel:[0,1]
	v_pk_fma_f32 v[116:117], v[110:111], v[100:101], v[114:115] op_sel:[0,0,1] op_sel_hi:[1,1,0] neg_lo:[0,0,1] neg_hi:[0,0,1]
	v_pk_fma_f32 v[110:111], v[110:111], v[100:101], v[114:115] op_sel:[0,0,1] op_sel_hi:[1,0,0]
	v_dual_mul_f32 v114, v113, v103 :: v_dual_mov_b32 v110, v113
	s_delay_alu instid0(VALU_DEP_2) | instskip(NEXT) | instid1(VALU_DEP_2)
	v_dual_mov_b32 v117, v111 :: v_dual_mov_b32 v111, v112
	v_pk_fma_f32 v[114:115], v[112:113], v[28:29], v[114:115] op_sel_hi:[1,1,0] neg_lo:[0,0,1] neg_hi:[0,0,1]
	v_mul_f32_e32 v112, v113, v100
	s_delay_alu instid0(VALU_DEP_3) | instskip(NEXT) | instid1(VALU_DEP_2)
	v_pk_add_f32 v[62:63], v[62:63], v[116:117] neg_lo:[0,1] neg_hi:[0,1]
	v_pk_fma_f32 v[110:111], v[110:111], v[28:29], v[112:113] op_sel_hi:[1,1,0]
	s_delay_alu instid0(VALU_DEP_1) | instskip(SKIP_4) | instid1(VALU_DEP_1)
	v_mov_b32_e32 v115, v111
	ds_load_2addr_b64 v[110:113], v104 offset0:31 offset1:32
	v_pk_add_f32 v[20:21], v[20:21], v[114:115] neg_lo:[0,1] neg_hi:[0,1]
	s_wait_dscnt 0x0
	v_pk_mul_f32 v[114:115], v[110:111], v[102:103] op_sel:[0,1]
	v_pk_fma_f32 v[116:117], v[110:111], v[100:101], v[114:115] op_sel:[0,0,1] op_sel_hi:[1,1,0] neg_lo:[0,0,1] neg_hi:[0,0,1]
	v_pk_fma_f32 v[110:111], v[110:111], v[100:101], v[114:115] op_sel:[0,0,1] op_sel_hi:[1,0,0]
	s_delay_alu instid0(VALU_DEP_1) | instskip(SKIP_1) | instid1(VALU_DEP_1)
	v_mov_b32_e32 v117, v111
	v_pk_mul_f32 v[110:111], v[112:113], v[102:103] op_sel:[0,1]
	v_pk_fma_f32 v[114:115], v[112:113], v[100:101], v[110:111] op_sel:[0,0,1] op_sel_hi:[1,1,0] neg_lo:[0,0,1] neg_hi:[0,0,1]
	v_pk_fma_f32 v[110:111], v[112:113], v[100:101], v[110:111] op_sel:[0,0,1] op_sel_hi:[1,0,0]
	s_delay_alu instid0(VALU_DEP_1)
	v_mov_b32_e32 v115, v111
	ds_load_2addr_b64 v[110:113], v104 offset0:33 offset1:34
	v_pk_add_f32 v[18:19], v[18:19], v[116:117] neg_lo:[0,1] neg_hi:[0,1]
	v_pk_add_f32 v[60:61], v[60:61], v[114:115] neg_lo:[0,1] neg_hi:[0,1]
	s_wait_dscnt 0x0
	v_pk_mul_f32 v[114:115], v[110:111], v[102:103] op_sel:[0,1]
	s_delay_alu instid0(VALU_DEP_1) | instskip(SKIP_1) | instid1(VALU_DEP_1)
	v_pk_fma_f32 v[116:117], v[110:111], v[100:101], v[114:115] op_sel:[0,0,1] op_sel_hi:[1,1,0] neg_lo:[0,0,1] neg_hi:[0,0,1]
	v_pk_fma_f32 v[110:111], v[110:111], v[100:101], v[114:115] op_sel:[0,0,1] op_sel_hi:[1,0,0]
	v_mov_b32_e32 v117, v111
	v_pk_mul_f32 v[110:111], v[112:113], v[102:103] op_sel:[0,1]
	s_delay_alu instid0(VALU_DEP_1) | instskip(SKIP_1) | instid1(VALU_DEP_1)
	v_pk_fma_f32 v[114:115], v[112:113], v[100:101], v[110:111] op_sel:[0,0,1] op_sel_hi:[1,1,0] neg_lo:[0,0,1] neg_hi:[0,0,1]
	v_pk_fma_f32 v[110:111], v[112:113], v[100:101], v[110:111] op_sel:[0,0,1] op_sel_hi:[1,0,0]
	v_mov_b32_e32 v115, v111
	ds_load_2addr_b64 v[110:113], v104 offset0:35 offset1:36
	v_pk_add_f32 v[58:59], v[58:59], v[116:117] neg_lo:[0,1] neg_hi:[0,1]
	v_pk_add_f32 v[16:17], v[16:17], v[114:115] neg_lo:[0,1] neg_hi:[0,1]
	s_wait_dscnt 0x0
	v_dual_mul_f32 v114, v111, v103 :: v_dual_mul_f32 v116, v111, v100
	s_delay_alu instid0(VALU_DEP_1) | instskip(NEXT) | instid1(VALU_DEP_2)
	v_pk_fma_f32 v[114:115], v[110:111], v[28:29], v[114:115] op_sel_hi:[1,1,0] neg_lo:[0,0,1] neg_hi:[0,0,1]
	v_pk_fma_f32 v[110:111], v[110:111], v[28:29], v[116:117] op_sel:[1,0,0] op_sel_hi:[0,1,0]
	s_delay_alu instid0(VALU_DEP_1) | instskip(SKIP_1) | instid1(VALU_DEP_2)
	v_mov_b32_e32 v115, v111
	v_pk_mul_f32 v[110:111], v[112:113], v[102:103] op_sel:[0,1]
	v_pk_add_f32 v[14:15], v[14:15], v[114:115] neg_lo:[0,1] neg_hi:[0,1]
	s_delay_alu instid0(VALU_DEP_2) | instskip(SKIP_1) | instid1(VALU_DEP_1)
	v_pk_fma_f32 v[114:115], v[112:113], v[100:101], v[110:111] op_sel:[0,0,1] op_sel_hi:[1,1,0] neg_lo:[0,0,1] neg_hi:[0,0,1]
	v_pk_fma_f32 v[110:111], v[112:113], v[100:101], v[110:111] op_sel:[0,0,1] op_sel_hi:[1,0,0]
	v_mov_b32_e32 v115, v111
	ds_load_2addr_b64 v[110:113], v104 offset0:37 offset1:38
	v_pk_add_f32 v[56:57], v[56:57], v[114:115] neg_lo:[0,1] neg_hi:[0,1]
	s_wait_dscnt 0x0
	v_pk_mul_f32 v[114:115], v[110:111], v[102:103] op_sel:[0,1]
	s_delay_alu instid0(VALU_DEP_1) | instskip(SKIP_1) | instid1(VALU_DEP_1)
	v_pk_fma_f32 v[116:117], v[110:111], v[100:101], v[114:115] op_sel:[0,0,1] op_sel_hi:[1,1,0] neg_lo:[0,0,1] neg_hi:[0,0,1]
	v_pk_fma_f32 v[110:111], v[110:111], v[100:101], v[114:115] op_sel:[0,0,1] op_sel_hi:[1,0,0]
	v_mov_b32_e32 v117, v111
	v_pk_mul_f32 v[110:111], v[112:113], v[102:103] op_sel:[0,1]
	s_delay_alu instid0(VALU_DEP_2) | instskip(NEXT) | instid1(VALU_DEP_2)
	v_pk_add_f32 v[54:55], v[54:55], v[116:117] neg_lo:[0,1] neg_hi:[0,1]
	v_pk_fma_f32 v[114:115], v[112:113], v[100:101], v[110:111] op_sel:[0,0,1] op_sel_hi:[1,1,0] neg_lo:[0,0,1] neg_hi:[0,0,1]
	v_pk_fma_f32 v[110:111], v[112:113], v[100:101], v[110:111] op_sel:[0,0,1] op_sel_hi:[1,0,0]
	s_delay_alu instid0(VALU_DEP_1) | instskip(SKIP_4) | instid1(VALU_DEP_1)
	v_mov_b32_e32 v115, v111
	ds_load_2addr_b64 v[110:113], v104 offset0:39 offset1:40
	v_pk_add_f32 v[10:11], v[10:11], v[114:115] neg_lo:[0,1] neg_hi:[0,1]
	s_wait_dscnt 0x0
	v_pk_mul_f32 v[114:115], v[110:111], v[102:103] op_sel:[0,1]
	v_pk_fma_f32 v[116:117], v[110:111], v[100:101], v[114:115] op_sel:[0,0,1] op_sel_hi:[1,1,0] neg_lo:[0,0,1] neg_hi:[0,0,1]
	v_pk_fma_f32 v[110:111], v[110:111], v[100:101], v[114:115] op_sel:[0,0,1] op_sel_hi:[1,0,0]
	v_dual_mul_f32 v114, v113, v103 :: v_dual_mov_b32 v110, v113
	s_delay_alu instid0(VALU_DEP_2) | instskip(NEXT) | instid1(VALU_DEP_2)
	v_dual_mov_b32 v117, v111 :: v_dual_mov_b32 v111, v112
	v_pk_fma_f32 v[114:115], v[112:113], v[28:29], v[114:115] op_sel_hi:[1,1,0] neg_lo:[0,0,1] neg_hi:[0,0,1]
	v_mul_f32_e32 v112, v113, v100
	s_delay_alu instid0(VALU_DEP_3) | instskip(NEXT) | instid1(VALU_DEP_2)
	v_pk_add_f32 v[6:7], v[6:7], v[116:117] neg_lo:[0,1] neg_hi:[0,1]
	v_pk_fma_f32 v[110:111], v[110:111], v[28:29], v[112:113] op_sel_hi:[1,1,0]
	s_delay_alu instid0(VALU_DEP_1) | instskip(SKIP_4) | instid1(VALU_DEP_1)
	v_mov_b32_e32 v115, v111
	ds_load_2addr_b64 v[110:113], v104 offset0:41 offset1:42
	v_pk_add_f32 v[52:53], v[52:53], v[114:115] neg_lo:[0,1] neg_hi:[0,1]
	s_wait_dscnt 0x0
	v_pk_mul_f32 v[114:115], v[110:111], v[102:103] op_sel:[0,1]
	v_pk_fma_f32 v[116:117], v[110:111], v[100:101], v[114:115] op_sel:[0,0,1] op_sel_hi:[1,1,0] neg_lo:[0,0,1] neg_hi:[0,0,1]
	v_pk_fma_f32 v[110:111], v[110:111], v[100:101], v[114:115] op_sel:[0,0,1] op_sel_hi:[1,0,0]
	s_delay_alu instid0(VALU_DEP_1) | instskip(SKIP_1) | instid1(VALU_DEP_1)
	v_mov_b32_e32 v117, v111
	v_pk_mul_f32 v[110:111], v[112:113], v[102:103] op_sel:[0,1]
	v_pk_fma_f32 v[114:115], v[112:113], v[100:101], v[110:111] op_sel:[0,0,1] op_sel_hi:[1,1,0] neg_lo:[0,0,1] neg_hi:[0,0,1]
	v_pk_fma_f32 v[110:111], v[112:113], v[100:101], v[110:111] op_sel:[0,0,1] op_sel_hi:[1,0,0]
	s_delay_alu instid0(VALU_DEP_1)
	v_mov_b32_e32 v115, v111
	ds_load_2addr_b64 v[110:113], v104 offset0:43 offset1:44
	v_pk_add_f32 v[50:51], v[50:51], v[116:117] neg_lo:[0,1] neg_hi:[0,1]
	v_pk_add_f32 v[8:9], v[8:9], v[114:115] neg_lo:[0,1] neg_hi:[0,1]
	s_wait_dscnt 0x0
	v_pk_mul_f32 v[114:115], v[110:111], v[102:103] op_sel:[0,1]
	s_delay_alu instid0(VALU_DEP_1) | instskip(SKIP_1) | instid1(VALU_DEP_1)
	v_pk_fma_f32 v[116:117], v[110:111], v[100:101], v[114:115] op_sel:[0,0,1] op_sel_hi:[1,1,0] neg_lo:[0,0,1] neg_hi:[0,0,1]
	v_pk_fma_f32 v[110:111], v[110:111], v[100:101], v[114:115] op_sel:[0,0,1] op_sel_hi:[1,0,0]
	v_mov_b32_e32 v117, v111
	v_pk_mul_f32 v[110:111], v[112:113], v[102:103] op_sel:[0,1]
	s_delay_alu instid0(VALU_DEP_1) | instskip(SKIP_1) | instid1(VALU_DEP_1)
	v_pk_fma_f32 v[114:115], v[112:113], v[100:101], v[110:111] op_sel:[0,0,1] op_sel_hi:[1,1,0] neg_lo:[0,0,1] neg_hi:[0,0,1]
	v_pk_fma_f32 v[110:111], v[112:113], v[100:101], v[110:111] op_sel:[0,0,1] op_sel_hi:[1,0,0]
	v_mov_b32_e32 v115, v111
	ds_load_2addr_b64 v[110:113], v104 offset0:45 offset1:46
	v_pk_add_f32 v[40:41], v[40:41], v[116:117] neg_lo:[0,1] neg_hi:[0,1]
	v_pk_add_f32 v[30:31], v[30:31], v[114:115] neg_lo:[0,1] neg_hi:[0,1]
	s_wait_dscnt 0x0
	v_dual_mul_f32 v114, v111, v103 :: v_dual_mul_f32 v116, v111, v100
	v_pk_mul_f32 v[102:103], v[112:113], v[102:103] op_sel:[0,1]
	s_delay_alu instid0(VALU_DEP_2) | instskip(NEXT) | instid1(VALU_DEP_3)
	v_pk_fma_f32 v[114:115], v[110:111], v[28:29], v[114:115] op_sel_hi:[1,1,0] neg_lo:[0,0,1] neg_hi:[0,0,1]
	v_pk_fma_f32 v[110:111], v[110:111], v[28:29], v[116:117] op_sel:[1,0,0] op_sel_hi:[0,1,0]
	s_delay_alu instid0(VALU_DEP_1) | instskip(NEXT) | instid1(VALU_DEP_4)
	v_mov_b32_e32 v115, v111
	v_pk_fma_f32 v[110:111], v[112:113], v[100:101], v[102:103] op_sel:[0,0,1] op_sel_hi:[1,1,0] neg_lo:[0,0,1] neg_hi:[0,0,1]
	v_pk_fma_f32 v[100:101], v[112:113], v[100:101], v[102:103] op_sel:[0,0,1] op_sel_hi:[1,0,0]
	s_delay_alu instid0(VALU_DEP_1) | instskip(NEXT) | instid1(VALU_DEP_4)
	v_mov_b32_e32 v111, v101
	v_pk_add_f32 v[12:13], v[12:13], v[114:115] neg_lo:[0,1] neg_hi:[0,1]
	s_delay_alu instid0(VALU_DEP_2)
	v_pk_add_f32 v[98:99], v[98:99], v[110:111] neg_lo:[0,1] neg_hi:[0,1]
.LBB92_146:
	s_or_b32 exec_lo, exec_lo, s0
	v_lshl_add_u32 v100, v108, 3, v104
	s_barrier_signal -1
	s_barrier_wait -1
	ds_store_b64 v100, v[24:25]
	s_wait_dscnt 0x0
	s_barrier_signal -1
	s_barrier_wait -1
	ds_load_b64 v[102:103], v104 offset:56
	v_mov_b32_e32 v100, 7
	s_cmp_lt_i32 s18, 9
	s_cbranch_scc1 .LBB92_149
; %bb.147:
	v_add3_u32 v101, v105, 0, 64
	v_mov_b32_e32 v100, 7
	s_mov_b32 s0, 8
.LBB92_148:                             ; =>This Inner Loop Header: Depth=1
	ds_load_b64 v[110:111], v101
	s_wait_dscnt 0x1
	v_cmp_gt_f32_e32 vcc_lo, 0, v102
	v_cndmask_b32_e64 v112, v102, -v102, vcc_lo
	v_cmp_gt_f32_e32 vcc_lo, 0, v103
	v_cndmask_b32_e64 v114, v103, -v103, vcc_lo
	s_wait_dscnt 0x0
	v_cmp_gt_f32_e32 vcc_lo, 0, v110
	v_cndmask_b32_e64 v113, v110, -v110, vcc_lo
	v_cmp_gt_f32_e32 vcc_lo, 0, v111
	v_cndmask_b32_e64 v115, v111, -v111, vcc_lo
	s_delay_alu instid0(VALU_DEP_1) | instskip(NEXT) | instid1(VALU_DEP_1)
	v_pk_add_f32 v[112:113], v[112:113], v[114:115]
	v_cmp_lt_f32_e32 vcc_lo, v112, v113
	v_dual_add_nc_u32 v101, 8, v101 :: v_dual_cndmask_b32 v103, v103, v111, vcc_lo
	v_cndmask_b32_e32 v102, v102, v110, vcc_lo
	v_cndmask_b32_e64 v100, v100, s0, vcc_lo
	s_add_co_i32 s0, s0, 1
	s_delay_alu instid0(SALU_CYCLE_1)
	s_cmp_lg_u32 s18, s0
	s_cbranch_scc1 .LBB92_148
.LBB92_149:
	s_wait_dscnt 0x0
	v_cmp_eq_f32_e32 vcc_lo, 0, v102
	v_cmp_eq_f32_e64 s0, 0, v103
	s_and_b32 s0, vcc_lo, s0
	s_delay_alu instid0(SALU_CYCLE_1) | instskip(NEXT) | instid1(SALU_CYCLE_1)
	s_and_saveexec_b32 s1, s0
	s_xor_b32 s0, exec_lo, s1
; %bb.150:
	v_cmp_ne_u32_e32 vcc_lo, 0, v106
	v_cndmask_b32_e32 v106, 8, v106, vcc_lo
; %bb.151:
	s_and_not1_saveexec_b32 s0, s0
	s_cbranch_execz .LBB92_157
; %bb.152:
	v_cmp_ngt_f32_e64 s1, |v102|, |v103|
	s_and_saveexec_b32 s12, s1
	s_delay_alu instid0(SALU_CYCLE_1)
	s_xor_b32 s1, exec_lo, s12
	s_cbranch_execz .LBB92_154
; %bb.153:
	v_div_scale_f32 v101, null, v103, v103, v102
	v_div_scale_f32 v111, vcc_lo, v102, v103, v102
	s_delay_alu instid0(VALU_DEP_2) | instskip(SKIP_1) | instid1(TRANS32_DEP_1)
	v_rcp_f32_e32 v109, v101
	v_nop
	v_fma_f32 v110, -v101, v109, 1.0
	s_delay_alu instid0(VALU_DEP_1) | instskip(NEXT) | instid1(VALU_DEP_1)
	v_fmac_f32_e32 v109, v110, v109
	v_mul_f32_e32 v110, v111, v109
	s_delay_alu instid0(VALU_DEP_1) | instskip(NEXT) | instid1(VALU_DEP_1)
	v_fma_f32 v112, -v101, v110, v111
	v_fmac_f32_e32 v110, v112, v109
	s_delay_alu instid0(VALU_DEP_1) | instskip(NEXT) | instid1(VALU_DEP_1)
	v_fma_f32 v101, -v101, v110, v111
	v_div_fmas_f32 v101, v101, v109, v110
	s_delay_alu instid0(VALU_DEP_1) | instskip(NEXT) | instid1(VALU_DEP_1)
	v_div_fixup_f32 v101, v101, v103, v102
	v_fmac_f32_e32 v103, v102, v101
	s_delay_alu instid0(VALU_DEP_1) | instskip(SKIP_1) | instid1(VALU_DEP_2)
	v_div_scale_f32 v102, null, v103, v103, 1.0
	v_div_scale_f32 v111, vcc_lo, 1.0, v103, 1.0
	v_rcp_f32_e32 v109, v102
	v_nop
	s_delay_alu instid0(TRANS32_DEP_1) | instskip(NEXT) | instid1(VALU_DEP_1)
	v_fma_f32 v110, -v102, v109, 1.0
	v_fmac_f32_e32 v109, v110, v109
	s_delay_alu instid0(VALU_DEP_1) | instskip(NEXT) | instid1(VALU_DEP_1)
	v_mul_f32_e32 v110, v111, v109
	v_fma_f32 v112, -v102, v110, v111
	s_delay_alu instid0(VALU_DEP_1) | instskip(NEXT) | instid1(VALU_DEP_1)
	v_fmac_f32_e32 v110, v112, v109
	v_fma_f32 v102, -v102, v110, v111
	s_delay_alu instid0(VALU_DEP_1) | instskip(NEXT) | instid1(VALU_DEP_1)
	v_div_fmas_f32 v102, v102, v109, v110
	v_div_fixup_f32 v103, v102, v103, 1.0
	s_delay_alu instid0(VALU_DEP_1)
	v_mul_f32_e32 v102, v101, v103
	v_xor_b32_e32 v103, 0x80000000, v103
.LBB92_154:
	s_and_not1_saveexec_b32 s1, s1
	s_cbranch_execz .LBB92_156
; %bb.155:
	s_delay_alu instid0(VALU_DEP_1) | instskip(SKIP_1) | instid1(VALU_DEP_2)
	v_div_scale_f32 v101, null, v102, v102, v103
	v_div_scale_f32 v111, vcc_lo, v103, v102, v103
	v_rcp_f32_e32 v109, v101
	v_nop
	s_delay_alu instid0(TRANS32_DEP_1) | instskip(NEXT) | instid1(VALU_DEP_1)
	v_fma_f32 v110, -v101, v109, 1.0
	v_fmac_f32_e32 v109, v110, v109
	s_delay_alu instid0(VALU_DEP_1) | instskip(NEXT) | instid1(VALU_DEP_1)
	v_mul_f32_e32 v110, v111, v109
	v_fma_f32 v112, -v101, v110, v111
	s_delay_alu instid0(VALU_DEP_1) | instskip(NEXT) | instid1(VALU_DEP_1)
	v_fmac_f32_e32 v110, v112, v109
	v_fma_f32 v101, -v101, v110, v111
	s_delay_alu instid0(VALU_DEP_1) | instskip(NEXT) | instid1(VALU_DEP_1)
	v_div_fmas_f32 v101, v101, v109, v110
	v_div_fixup_f32 v101, v101, v102, v103
	s_delay_alu instid0(VALU_DEP_1) | instskip(NEXT) | instid1(VALU_DEP_1)
	v_fmac_f32_e32 v102, v103, v101
	v_div_scale_f32 v103, null, v102, v102, 1.0
	s_delay_alu instid0(VALU_DEP_1) | instskip(SKIP_1) | instid1(TRANS32_DEP_1)
	v_rcp_f32_e32 v109, v103
	v_nop
	v_fma_f32 v110, -v103, v109, 1.0
	s_delay_alu instid0(VALU_DEP_1) | instskip(SKIP_1) | instid1(VALU_DEP_1)
	v_fmac_f32_e32 v109, v110, v109
	v_div_scale_f32 v110, vcc_lo, 1.0, v102, 1.0
	v_mul_f32_e32 v111, v110, v109
	s_delay_alu instid0(VALU_DEP_1) | instskip(NEXT) | instid1(VALU_DEP_1)
	v_fma_f32 v112, -v103, v111, v110
	v_fmac_f32_e32 v111, v112, v109
	s_delay_alu instid0(VALU_DEP_1) | instskip(NEXT) | instid1(VALU_DEP_1)
	v_fma_f32 v103, -v103, v111, v110
	v_div_fmas_f32 v103, v103, v109, v111
	s_delay_alu instid0(VALU_DEP_1) | instskip(NEXT) | instid1(VALU_DEP_1)
	v_div_fixup_f32 v102, v103, v102, 1.0
	v_mul_f32_e64 v103, v101, -v102
.LBB92_156:
	s_or_b32 exec_lo, exec_lo, s1
.LBB92_157:
	s_delay_alu instid0(SALU_CYCLE_1) | instskip(NEXT) | instid1(SALU_CYCLE_1)
	s_or_b32 exec_lo, exec_lo, s0
	s_mov_b32 s0, exec_lo
	v_cmpx_ne_u32_e64 v108, v100
	s_xor_b32 s0, exec_lo, s0
	s_cbranch_execz .LBB92_163
; %bb.158:
	s_mov_b32 s1, exec_lo
	v_cmpx_eq_u32_e32 7, v108
	s_cbranch_execz .LBB92_162
; %bb.159:
	v_cmp_ne_u32_e32 vcc_lo, 7, v100
	s_xor_b32 s12, s16, -1
	s_delay_alu instid0(SALU_CYCLE_1) | instskip(NEXT) | instid1(SALU_CYCLE_1)
	s_and_b32 s13, s12, vcc_lo
	s_and_saveexec_b32 s12, s13
	s_cbranch_execz .LBB92_161
; %bb.160:
	v_ashrrev_i32_e32 v101, 31, v100
	s_delay_alu instid0(VALU_DEP_1)
	v_lshl_add_u64 v[108:109], v[100:101], 2, v[4:5]
	s_clause 0x1
	global_load_b32 v101, v[108:109], off
	global_load_b32 v107, v[4:5], off offset:28
	s_wait_loadcnt 0x1
	global_store_b32 v[4:5], v101, off offset:28
	s_wait_loadcnt 0x0
	global_store_b32 v[108:109], v107, off
.LBB92_161:
	s_wait_xcnt 0x0
	s_or_b32 exec_lo, exec_lo, s12
	v_dual_mov_b32 v108, v100 :: v_dual_mov_b32 v107, v100
.LBB92_162:
	s_or_b32 exec_lo, exec_lo, s1
.LBB92_163:
	s_and_not1_saveexec_b32 s0, s0
	s_cbranch_execz .LBB92_165
; %bb.164:
	v_dual_mov_b32 v100, v76 :: v_dual_mov_b32 v101, v77
	v_dual_mov_b32 v108, v74 :: v_dual_mov_b32 v109, v75
	ds_store_2addr_b64 v104, v[100:101], v[108:109] offset0:8 offset1:9
	v_dual_mov_b32 v100, v34 :: v_dual_mov_b32 v101, v35
	v_dual_mov_b32 v108, v32 :: v_dual_mov_b32 v109, v33
	ds_store_2addr_b64 v104, v[100:101], v[108:109] offset0:10 offset1:11
	;; [unrolled: 3-line block ×19, first 2 shown]
	ds_store_b64 v104, v[98:99] offset:368
	v_mov_b32_e32 v108, 7
.LBB92_165:
	s_or_b32 exec_lo, exec_lo, s0
	s_delay_alu instid0(SALU_CYCLE_1)
	s_mov_b32 s0, exec_lo
	s_wait_storecnt_dscnt 0x0
	s_barrier_signal -1
	s_barrier_wait -1
	v_cmpx_lt_i32_e32 7, v108
	s_cbranch_execz .LBB92_167
; %bb.166:
	v_pk_mul_f32 v[110:111], v[102:103], v[24:25] op_sel:[1,1] op_sel_hi:[0,1]
	s_delay_alu instid0(VALU_DEP_1)
	v_pk_fma_f32 v[100:101], v[102:103], v[24:25], v[110:111] op_sel_hi:[1,0,1] neg_lo:[0,0,1] neg_hi:[0,0,1]
	v_pk_fma_f32 v[102:103], v[102:103], v[24:25], v[110:111] op_sel_hi:[1,0,1]
	ds_load_2addr_b64 v[110:113], v104 offset0:8 offset1:9
	v_dual_mov_b32 v24, v100 :: v_dual_mov_b32 v25, v103
	s_wait_dscnt 0x0
	v_pk_mul_f32 v[114:115], v[110:111], v[102:103] op_sel:[0,1]
	s_delay_alu instid0(VALU_DEP_1) | instskip(SKIP_1) | instid1(VALU_DEP_1)
	v_pk_fma_f32 v[116:117], v[110:111], v[100:101], v[114:115] op_sel:[0,0,1] op_sel_hi:[1,1,0] neg_lo:[0,0,1] neg_hi:[0,0,1]
	v_pk_fma_f32 v[110:111], v[110:111], v[100:101], v[114:115] op_sel:[0,0,1] op_sel_hi:[1,0,0]
	v_mov_b32_e32 v117, v111
	v_pk_mul_f32 v[110:111], v[112:113], v[102:103] op_sel:[0,1]
	s_delay_alu instid0(VALU_DEP_1) | instskip(SKIP_1) | instid1(VALU_DEP_1)
	v_pk_fma_f32 v[114:115], v[112:113], v[100:101], v[110:111] op_sel:[0,0,1] op_sel_hi:[1,1,0] neg_lo:[0,0,1] neg_hi:[0,0,1]
	v_pk_fma_f32 v[110:111], v[112:113], v[100:101], v[110:111] op_sel:[0,0,1] op_sel_hi:[1,0,0]
	v_mov_b32_e32 v115, v111
	ds_load_2addr_b64 v[110:113], v104 offset0:10 offset1:11
	v_pk_add_f32 v[76:77], v[76:77], v[116:117] neg_lo:[0,1] neg_hi:[0,1]
	v_pk_add_f32 v[74:75], v[74:75], v[114:115] neg_lo:[0,1] neg_hi:[0,1]
	s_wait_dscnt 0x0
	v_pk_mul_f32 v[114:115], v[110:111], v[102:103] op_sel:[0,1]
	s_delay_alu instid0(VALU_DEP_1) | instskip(SKIP_2) | instid1(VALU_DEP_2)
	v_pk_fma_f32 v[116:117], v[110:111], v[100:101], v[114:115] op_sel:[0,0,1] op_sel_hi:[1,1,0] neg_lo:[0,0,1] neg_hi:[0,0,1]
	v_pk_fma_f32 v[110:111], v[110:111], v[100:101], v[114:115] op_sel:[0,0,1] op_sel_hi:[1,0,0]
	v_dual_mul_f32 v114, v113, v103 :: v_dual_mov_b32 v110, v113
	v_dual_mov_b32 v117, v111 :: v_dual_mov_b32 v111, v112
	s_delay_alu instid0(VALU_DEP_2) | instskip(SKIP_1) | instid1(VALU_DEP_3)
	v_pk_fma_f32 v[114:115], v[112:113], v[24:25], v[114:115] op_sel_hi:[1,1,0] neg_lo:[0,0,1] neg_hi:[0,0,1]
	v_mul_f32_e32 v112, v113, v100
	v_pk_add_f32 v[34:35], v[34:35], v[116:117] neg_lo:[0,1] neg_hi:[0,1]
	s_delay_alu instid0(VALU_DEP_2) | instskip(NEXT) | instid1(VALU_DEP_1)
	v_pk_fma_f32 v[110:111], v[110:111], v[24:25], v[112:113] op_sel_hi:[1,1,0]
	v_mov_b32_e32 v115, v111
	ds_load_2addr_b64 v[110:113], v104 offset0:12 offset1:13
	v_pk_add_f32 v[32:33], v[32:33], v[114:115] neg_lo:[0,1] neg_hi:[0,1]
	s_wait_dscnt 0x0
	v_pk_mul_f32 v[114:115], v[110:111], v[102:103] op_sel:[0,1]
	s_delay_alu instid0(VALU_DEP_1) | instskip(SKIP_1) | instid1(VALU_DEP_1)
	v_pk_fma_f32 v[116:117], v[110:111], v[100:101], v[114:115] op_sel:[0,0,1] op_sel_hi:[1,1,0] neg_lo:[0,0,1] neg_hi:[0,0,1]
	v_pk_fma_f32 v[110:111], v[110:111], v[100:101], v[114:115] op_sel:[0,0,1] op_sel_hi:[1,0,0]
	v_mov_b32_e32 v117, v111
	v_pk_mul_f32 v[110:111], v[112:113], v[102:103] op_sel:[0,1]
	s_delay_alu instid0(VALU_DEP_1) | instskip(SKIP_1) | instid1(VALU_DEP_1)
	v_pk_fma_f32 v[114:115], v[112:113], v[100:101], v[110:111] op_sel:[0,0,1] op_sel_hi:[1,1,0] neg_lo:[0,0,1] neg_hi:[0,0,1]
	v_pk_fma_f32 v[110:111], v[112:113], v[100:101], v[110:111] op_sel:[0,0,1] op_sel_hi:[1,0,0]
	v_mov_b32_e32 v115, v111
	ds_load_2addr_b64 v[110:113], v104 offset0:14 offset1:15
	v_pk_add_f32 v[88:89], v[88:89], v[116:117] neg_lo:[0,1] neg_hi:[0,1]
	v_pk_add_f32 v[86:87], v[86:87], v[114:115] neg_lo:[0,1] neg_hi:[0,1]
	s_wait_dscnt 0x0
	v_pk_mul_f32 v[114:115], v[110:111], v[102:103] op_sel:[0,1]
	s_delay_alu instid0(VALU_DEP_1) | instskip(SKIP_1) | instid1(VALU_DEP_1)
	v_pk_fma_f32 v[116:117], v[110:111], v[100:101], v[114:115] op_sel:[0,0,1] op_sel_hi:[1,1,0] neg_lo:[0,0,1] neg_hi:[0,0,1]
	v_pk_fma_f32 v[110:111], v[110:111], v[100:101], v[114:115] op_sel:[0,0,1] op_sel_hi:[1,0,0]
	v_mov_b32_e32 v117, v111
	v_pk_mul_f32 v[110:111], v[112:113], v[102:103] op_sel:[0,1]
	s_delay_alu instid0(VALU_DEP_1) | instskip(SKIP_1) | instid1(VALU_DEP_1)
	v_pk_fma_f32 v[114:115], v[112:113], v[100:101], v[110:111] op_sel:[0,0,1] op_sel_hi:[1,1,0] neg_lo:[0,0,1] neg_hi:[0,0,1]
	v_pk_fma_f32 v[110:111], v[112:113], v[100:101], v[110:111] op_sel:[0,0,1] op_sel_hi:[1,0,0]
	v_mov_b32_e32 v115, v111
	ds_load_2addr_b64 v[110:113], v104 offset0:16 offset1:17
	v_pk_add_f32 v[48:49], v[48:49], v[116:117] neg_lo:[0,1] neg_hi:[0,1]
	v_pk_add_f32 v[46:47], v[46:47], v[114:115] neg_lo:[0,1] neg_hi:[0,1]
	s_wait_dscnt 0x0
	v_dual_mul_f32 v114, v111, v103 :: v_dual_mul_f32 v116, v111, v100
	s_delay_alu instid0(VALU_DEP_1) | instskip(NEXT) | instid1(VALU_DEP_2)
	v_pk_fma_f32 v[114:115], v[110:111], v[24:25], v[114:115] op_sel_hi:[1,1,0] neg_lo:[0,0,1] neg_hi:[0,0,1]
	v_pk_fma_f32 v[110:111], v[110:111], v[24:25], v[116:117] op_sel:[1,0,0] op_sel_hi:[0,1,0]
	s_delay_alu instid0(VALU_DEP_1) | instskip(SKIP_1) | instid1(VALU_DEP_2)
	v_mov_b32_e32 v115, v111
	v_pk_mul_f32 v[110:111], v[112:113], v[102:103] op_sel:[0,1]
	v_pk_add_f32 v[84:85], v[84:85], v[114:115] neg_lo:[0,1] neg_hi:[0,1]
	s_delay_alu instid0(VALU_DEP_2) | instskip(SKIP_1) | instid1(VALU_DEP_1)
	v_pk_fma_f32 v[114:115], v[112:113], v[100:101], v[110:111] op_sel:[0,0,1] op_sel_hi:[1,1,0] neg_lo:[0,0,1] neg_hi:[0,0,1]
	v_pk_fma_f32 v[110:111], v[112:113], v[100:101], v[110:111] op_sel:[0,0,1] op_sel_hi:[1,0,0]
	v_mov_b32_e32 v115, v111
	ds_load_2addr_b64 v[110:113], v104 offset0:18 offset1:19
	v_pk_add_f32 v[82:83], v[82:83], v[114:115] neg_lo:[0,1] neg_hi:[0,1]
	s_wait_dscnt 0x0
	v_pk_mul_f32 v[114:115], v[110:111], v[102:103] op_sel:[0,1]
	s_delay_alu instid0(VALU_DEP_1) | instskip(SKIP_1) | instid1(VALU_DEP_1)
	v_pk_fma_f32 v[116:117], v[110:111], v[100:101], v[114:115] op_sel:[0,0,1] op_sel_hi:[1,1,0] neg_lo:[0,0,1] neg_hi:[0,0,1]
	v_pk_fma_f32 v[110:111], v[110:111], v[100:101], v[114:115] op_sel:[0,0,1] op_sel_hi:[1,0,0]
	v_mov_b32_e32 v117, v111
	v_pk_mul_f32 v[110:111], v[112:113], v[102:103] op_sel:[0,1]
	s_delay_alu instid0(VALU_DEP_2) | instskip(NEXT) | instid1(VALU_DEP_2)
	v_pk_add_f32 v[44:45], v[44:45], v[116:117] neg_lo:[0,1] neg_hi:[0,1]
	v_pk_fma_f32 v[114:115], v[112:113], v[100:101], v[110:111] op_sel:[0,0,1] op_sel_hi:[1,1,0] neg_lo:[0,0,1] neg_hi:[0,0,1]
	v_pk_fma_f32 v[110:111], v[112:113], v[100:101], v[110:111] op_sel:[0,0,1] op_sel_hi:[1,0,0]
	s_delay_alu instid0(VALU_DEP_1) | instskip(SKIP_4) | instid1(VALU_DEP_1)
	v_mov_b32_e32 v115, v111
	ds_load_2addr_b64 v[110:113], v104 offset0:20 offset1:21
	v_pk_add_f32 v[42:43], v[42:43], v[114:115] neg_lo:[0,1] neg_hi:[0,1]
	s_wait_dscnt 0x0
	v_pk_mul_f32 v[114:115], v[110:111], v[102:103] op_sel:[0,1]
	v_pk_fma_f32 v[116:117], v[110:111], v[100:101], v[114:115] op_sel:[0,0,1] op_sel_hi:[1,1,0] neg_lo:[0,0,1] neg_hi:[0,0,1]
	v_pk_fma_f32 v[110:111], v[110:111], v[100:101], v[114:115] op_sel:[0,0,1] op_sel_hi:[1,0,0]
	v_dual_mul_f32 v114, v113, v103 :: v_dual_mov_b32 v110, v113
	s_delay_alu instid0(VALU_DEP_2) | instskip(NEXT) | instid1(VALU_DEP_2)
	v_dual_mov_b32 v117, v111 :: v_dual_mov_b32 v111, v112
	v_pk_fma_f32 v[114:115], v[112:113], v[24:25], v[114:115] op_sel_hi:[1,1,0] neg_lo:[0,0,1] neg_hi:[0,0,1]
	v_mul_f32_e32 v112, v113, v100
	s_delay_alu instid0(VALU_DEP_3) | instskip(NEXT) | instid1(VALU_DEP_2)
	v_pk_add_f32 v[80:81], v[80:81], v[116:117] neg_lo:[0,1] neg_hi:[0,1]
	v_pk_fma_f32 v[110:111], v[110:111], v[24:25], v[112:113] op_sel_hi:[1,1,0]
	s_delay_alu instid0(VALU_DEP_1) | instskip(SKIP_4) | instid1(VALU_DEP_1)
	v_mov_b32_e32 v115, v111
	ds_load_2addr_b64 v[110:113], v104 offset0:22 offset1:23
	v_pk_add_f32 v[78:79], v[78:79], v[114:115] neg_lo:[0,1] neg_hi:[0,1]
	s_wait_dscnt 0x0
	v_pk_mul_f32 v[114:115], v[110:111], v[102:103] op_sel:[0,1]
	v_pk_fma_f32 v[116:117], v[110:111], v[100:101], v[114:115] op_sel:[0,0,1] op_sel_hi:[1,1,0] neg_lo:[0,0,1] neg_hi:[0,0,1]
	v_pk_fma_f32 v[110:111], v[110:111], v[100:101], v[114:115] op_sel:[0,0,1] op_sel_hi:[1,0,0]
	s_delay_alu instid0(VALU_DEP_1) | instskip(SKIP_1) | instid1(VALU_DEP_1)
	v_mov_b32_e32 v117, v111
	v_pk_mul_f32 v[110:111], v[112:113], v[102:103] op_sel:[0,1]
	v_pk_fma_f32 v[114:115], v[112:113], v[100:101], v[110:111] op_sel:[0,0,1] op_sel_hi:[1,1,0] neg_lo:[0,0,1] neg_hi:[0,0,1]
	v_pk_fma_f32 v[110:111], v[112:113], v[100:101], v[110:111] op_sel:[0,0,1] op_sel_hi:[1,0,0]
	s_delay_alu instid0(VALU_DEP_1)
	v_mov_b32_e32 v115, v111
	ds_load_2addr_b64 v[110:113], v104 offset0:24 offset1:25
	v_pk_add_f32 v[38:39], v[38:39], v[116:117] neg_lo:[0,1] neg_hi:[0,1]
	v_pk_add_f32 v[36:37], v[36:37], v[114:115] neg_lo:[0,1] neg_hi:[0,1]
	s_wait_dscnt 0x0
	v_pk_mul_f32 v[114:115], v[110:111], v[102:103] op_sel:[0,1]
	s_delay_alu instid0(VALU_DEP_1) | instskip(SKIP_1) | instid1(VALU_DEP_1)
	v_pk_fma_f32 v[116:117], v[110:111], v[100:101], v[114:115] op_sel:[0,0,1] op_sel_hi:[1,1,0] neg_lo:[0,0,1] neg_hi:[0,0,1]
	v_pk_fma_f32 v[110:111], v[110:111], v[100:101], v[114:115] op_sel:[0,0,1] op_sel_hi:[1,0,0]
	v_mov_b32_e32 v117, v111
	v_pk_mul_f32 v[110:111], v[112:113], v[102:103] op_sel:[0,1]
	s_delay_alu instid0(VALU_DEP_1) | instskip(SKIP_1) | instid1(VALU_DEP_1)
	v_pk_fma_f32 v[114:115], v[112:113], v[100:101], v[110:111] op_sel:[0,0,1] op_sel_hi:[1,1,0] neg_lo:[0,0,1] neg_hi:[0,0,1]
	v_pk_fma_f32 v[110:111], v[112:113], v[100:101], v[110:111] op_sel:[0,0,1] op_sel_hi:[1,0,0]
	v_mov_b32_e32 v115, v111
	ds_load_2addr_b64 v[110:113], v104 offset0:26 offset1:27
	v_pk_add_f32 v[70:71], v[70:71], v[116:117] neg_lo:[0,1] neg_hi:[0,1]
	v_pk_add_f32 v[66:67], v[66:67], v[114:115] neg_lo:[0,1] neg_hi:[0,1]
	s_wait_dscnt 0x0
	v_dual_mul_f32 v114, v111, v103 :: v_dual_mul_f32 v116, v111, v100
	s_delay_alu instid0(VALU_DEP_1) | instskip(NEXT) | instid1(VALU_DEP_2)
	v_pk_fma_f32 v[114:115], v[110:111], v[24:25], v[114:115] op_sel_hi:[1,1,0] neg_lo:[0,0,1] neg_hi:[0,0,1]
	v_pk_fma_f32 v[110:111], v[110:111], v[24:25], v[116:117] op_sel:[1,0,0] op_sel_hi:[0,1,0]
	s_delay_alu instid0(VALU_DEP_1) | instskip(SKIP_1) | instid1(VALU_DEP_2)
	v_mov_b32_e32 v115, v111
	v_pk_mul_f32 v[110:111], v[112:113], v[102:103] op_sel:[0,1]
	v_pk_add_f32 v[26:27], v[26:27], v[114:115] neg_lo:[0,1] neg_hi:[0,1]
	s_delay_alu instid0(VALU_DEP_2) | instskip(SKIP_1) | instid1(VALU_DEP_1)
	v_pk_fma_f32 v[114:115], v[112:113], v[100:101], v[110:111] op_sel:[0,0,1] op_sel_hi:[1,1,0] neg_lo:[0,0,1] neg_hi:[0,0,1]
	v_pk_fma_f32 v[110:111], v[112:113], v[100:101], v[110:111] op_sel:[0,0,1] op_sel_hi:[1,0,0]
	v_mov_b32_e32 v115, v111
	ds_load_2addr_b64 v[110:113], v104 offset0:28 offset1:29
	v_pk_add_f32 v[22:23], v[22:23], v[114:115] neg_lo:[0,1] neg_hi:[0,1]
	s_wait_dscnt 0x0
	v_pk_mul_f32 v[114:115], v[110:111], v[102:103] op_sel:[0,1]
	s_delay_alu instid0(VALU_DEP_1) | instskip(SKIP_1) | instid1(VALU_DEP_1)
	v_pk_fma_f32 v[116:117], v[110:111], v[100:101], v[114:115] op_sel:[0,0,1] op_sel_hi:[1,1,0] neg_lo:[0,0,1] neg_hi:[0,0,1]
	v_pk_fma_f32 v[110:111], v[110:111], v[100:101], v[114:115] op_sel:[0,0,1] op_sel_hi:[1,0,0]
	v_mov_b32_e32 v117, v111
	v_pk_mul_f32 v[110:111], v[112:113], v[102:103] op_sel:[0,1]
	s_delay_alu instid0(VALU_DEP_2) | instskip(NEXT) | instid1(VALU_DEP_2)
	v_pk_add_f32 v[64:65], v[64:65], v[116:117] neg_lo:[0,1] neg_hi:[0,1]
	v_pk_fma_f32 v[114:115], v[112:113], v[100:101], v[110:111] op_sel:[0,0,1] op_sel_hi:[1,1,0] neg_lo:[0,0,1] neg_hi:[0,0,1]
	v_pk_fma_f32 v[110:111], v[112:113], v[100:101], v[110:111] op_sel:[0,0,1] op_sel_hi:[1,0,0]
	s_delay_alu instid0(VALU_DEP_1) | instskip(SKIP_4) | instid1(VALU_DEP_1)
	v_mov_b32_e32 v115, v111
	ds_load_2addr_b64 v[110:113], v104 offset0:30 offset1:31
	v_pk_add_f32 v[62:63], v[62:63], v[114:115] neg_lo:[0,1] neg_hi:[0,1]
	s_wait_dscnt 0x0
	v_pk_mul_f32 v[114:115], v[110:111], v[102:103] op_sel:[0,1]
	v_pk_fma_f32 v[116:117], v[110:111], v[100:101], v[114:115] op_sel:[0,0,1] op_sel_hi:[1,1,0] neg_lo:[0,0,1] neg_hi:[0,0,1]
	v_pk_fma_f32 v[110:111], v[110:111], v[100:101], v[114:115] op_sel:[0,0,1] op_sel_hi:[1,0,0]
	v_dual_mul_f32 v114, v113, v103 :: v_dual_mov_b32 v110, v113
	s_delay_alu instid0(VALU_DEP_2) | instskip(NEXT) | instid1(VALU_DEP_2)
	v_dual_mov_b32 v117, v111 :: v_dual_mov_b32 v111, v112
	v_pk_fma_f32 v[114:115], v[112:113], v[24:25], v[114:115] op_sel_hi:[1,1,0] neg_lo:[0,0,1] neg_hi:[0,0,1]
	v_mul_f32_e32 v112, v113, v100
	s_delay_alu instid0(VALU_DEP_3) | instskip(NEXT) | instid1(VALU_DEP_2)
	v_pk_add_f32 v[20:21], v[20:21], v[116:117] neg_lo:[0,1] neg_hi:[0,1]
	v_pk_fma_f32 v[110:111], v[110:111], v[24:25], v[112:113] op_sel_hi:[1,1,0]
	s_delay_alu instid0(VALU_DEP_1) | instskip(SKIP_4) | instid1(VALU_DEP_1)
	v_mov_b32_e32 v115, v111
	ds_load_2addr_b64 v[110:113], v104 offset0:32 offset1:33
	v_pk_add_f32 v[18:19], v[18:19], v[114:115] neg_lo:[0,1] neg_hi:[0,1]
	s_wait_dscnt 0x0
	v_pk_mul_f32 v[114:115], v[110:111], v[102:103] op_sel:[0,1]
	v_pk_fma_f32 v[116:117], v[110:111], v[100:101], v[114:115] op_sel:[0,0,1] op_sel_hi:[1,1,0] neg_lo:[0,0,1] neg_hi:[0,0,1]
	v_pk_fma_f32 v[110:111], v[110:111], v[100:101], v[114:115] op_sel:[0,0,1] op_sel_hi:[1,0,0]
	s_delay_alu instid0(VALU_DEP_1) | instskip(SKIP_1) | instid1(VALU_DEP_1)
	v_mov_b32_e32 v117, v111
	v_pk_mul_f32 v[110:111], v[112:113], v[102:103] op_sel:[0,1]
	v_pk_fma_f32 v[114:115], v[112:113], v[100:101], v[110:111] op_sel:[0,0,1] op_sel_hi:[1,1,0] neg_lo:[0,0,1] neg_hi:[0,0,1]
	v_pk_fma_f32 v[110:111], v[112:113], v[100:101], v[110:111] op_sel:[0,0,1] op_sel_hi:[1,0,0]
	s_delay_alu instid0(VALU_DEP_1)
	v_mov_b32_e32 v115, v111
	ds_load_2addr_b64 v[110:113], v104 offset0:34 offset1:35
	v_pk_add_f32 v[60:61], v[60:61], v[116:117] neg_lo:[0,1] neg_hi:[0,1]
	v_pk_add_f32 v[58:59], v[58:59], v[114:115] neg_lo:[0,1] neg_hi:[0,1]
	s_wait_dscnt 0x0
	v_pk_mul_f32 v[114:115], v[110:111], v[102:103] op_sel:[0,1]
	s_delay_alu instid0(VALU_DEP_1) | instskip(SKIP_1) | instid1(VALU_DEP_1)
	v_pk_fma_f32 v[116:117], v[110:111], v[100:101], v[114:115] op_sel:[0,0,1] op_sel_hi:[1,1,0] neg_lo:[0,0,1] neg_hi:[0,0,1]
	v_pk_fma_f32 v[110:111], v[110:111], v[100:101], v[114:115] op_sel:[0,0,1] op_sel_hi:[1,0,0]
	v_mov_b32_e32 v117, v111
	v_pk_mul_f32 v[110:111], v[112:113], v[102:103] op_sel:[0,1]
	s_delay_alu instid0(VALU_DEP_1) | instskip(SKIP_1) | instid1(VALU_DEP_1)
	v_pk_fma_f32 v[114:115], v[112:113], v[100:101], v[110:111] op_sel:[0,0,1] op_sel_hi:[1,1,0] neg_lo:[0,0,1] neg_hi:[0,0,1]
	v_pk_fma_f32 v[110:111], v[112:113], v[100:101], v[110:111] op_sel:[0,0,1] op_sel_hi:[1,0,0]
	v_mov_b32_e32 v115, v111
	ds_load_2addr_b64 v[110:113], v104 offset0:36 offset1:37
	v_pk_add_f32 v[16:17], v[16:17], v[116:117] neg_lo:[0,1] neg_hi:[0,1]
	v_pk_add_f32 v[14:15], v[14:15], v[114:115] neg_lo:[0,1] neg_hi:[0,1]
	s_wait_dscnt 0x0
	v_dual_mul_f32 v114, v111, v103 :: v_dual_mul_f32 v116, v111, v100
	s_delay_alu instid0(VALU_DEP_1) | instskip(NEXT) | instid1(VALU_DEP_2)
	v_pk_fma_f32 v[114:115], v[110:111], v[24:25], v[114:115] op_sel_hi:[1,1,0] neg_lo:[0,0,1] neg_hi:[0,0,1]
	v_pk_fma_f32 v[110:111], v[110:111], v[24:25], v[116:117] op_sel:[1,0,0] op_sel_hi:[0,1,0]
	s_delay_alu instid0(VALU_DEP_1) | instskip(SKIP_1) | instid1(VALU_DEP_2)
	v_mov_b32_e32 v115, v111
	v_pk_mul_f32 v[110:111], v[112:113], v[102:103] op_sel:[0,1]
	v_pk_add_f32 v[56:57], v[56:57], v[114:115] neg_lo:[0,1] neg_hi:[0,1]
	s_delay_alu instid0(VALU_DEP_2) | instskip(SKIP_1) | instid1(VALU_DEP_1)
	v_pk_fma_f32 v[114:115], v[112:113], v[100:101], v[110:111] op_sel:[0,0,1] op_sel_hi:[1,1,0] neg_lo:[0,0,1] neg_hi:[0,0,1]
	v_pk_fma_f32 v[110:111], v[112:113], v[100:101], v[110:111] op_sel:[0,0,1] op_sel_hi:[1,0,0]
	v_mov_b32_e32 v115, v111
	ds_load_2addr_b64 v[110:113], v104 offset0:38 offset1:39
	v_pk_add_f32 v[54:55], v[54:55], v[114:115] neg_lo:[0,1] neg_hi:[0,1]
	s_wait_dscnt 0x0
	v_pk_mul_f32 v[114:115], v[110:111], v[102:103] op_sel:[0,1]
	s_delay_alu instid0(VALU_DEP_1) | instskip(SKIP_1) | instid1(VALU_DEP_1)
	v_pk_fma_f32 v[116:117], v[110:111], v[100:101], v[114:115] op_sel:[0,0,1] op_sel_hi:[1,1,0] neg_lo:[0,0,1] neg_hi:[0,0,1]
	v_pk_fma_f32 v[110:111], v[110:111], v[100:101], v[114:115] op_sel:[0,0,1] op_sel_hi:[1,0,0]
	v_mov_b32_e32 v117, v111
	v_pk_mul_f32 v[110:111], v[112:113], v[102:103] op_sel:[0,1]
	s_delay_alu instid0(VALU_DEP_2) | instskip(NEXT) | instid1(VALU_DEP_2)
	v_pk_add_f32 v[10:11], v[10:11], v[116:117] neg_lo:[0,1] neg_hi:[0,1]
	v_pk_fma_f32 v[114:115], v[112:113], v[100:101], v[110:111] op_sel:[0,0,1] op_sel_hi:[1,1,0] neg_lo:[0,0,1] neg_hi:[0,0,1]
	v_pk_fma_f32 v[110:111], v[112:113], v[100:101], v[110:111] op_sel:[0,0,1] op_sel_hi:[1,0,0]
	s_delay_alu instid0(VALU_DEP_1) | instskip(SKIP_4) | instid1(VALU_DEP_1)
	v_mov_b32_e32 v115, v111
	ds_load_2addr_b64 v[110:113], v104 offset0:40 offset1:41
	v_pk_add_f32 v[6:7], v[6:7], v[114:115] neg_lo:[0,1] neg_hi:[0,1]
	s_wait_dscnt 0x0
	v_pk_mul_f32 v[114:115], v[110:111], v[102:103] op_sel:[0,1]
	v_pk_fma_f32 v[116:117], v[110:111], v[100:101], v[114:115] op_sel:[0,0,1] op_sel_hi:[1,1,0] neg_lo:[0,0,1] neg_hi:[0,0,1]
	v_pk_fma_f32 v[110:111], v[110:111], v[100:101], v[114:115] op_sel:[0,0,1] op_sel_hi:[1,0,0]
	v_dual_mul_f32 v114, v113, v103 :: v_dual_mov_b32 v110, v113
	s_delay_alu instid0(VALU_DEP_2) | instskip(NEXT) | instid1(VALU_DEP_2)
	v_dual_mov_b32 v117, v111 :: v_dual_mov_b32 v111, v112
	v_pk_fma_f32 v[114:115], v[112:113], v[24:25], v[114:115] op_sel_hi:[1,1,0] neg_lo:[0,0,1] neg_hi:[0,0,1]
	v_mul_f32_e32 v112, v113, v100
	s_delay_alu instid0(VALU_DEP_3) | instskip(NEXT) | instid1(VALU_DEP_2)
	v_pk_add_f32 v[52:53], v[52:53], v[116:117] neg_lo:[0,1] neg_hi:[0,1]
	v_pk_fma_f32 v[110:111], v[110:111], v[24:25], v[112:113] op_sel_hi:[1,1,0]
	s_delay_alu instid0(VALU_DEP_1) | instskip(SKIP_4) | instid1(VALU_DEP_1)
	v_mov_b32_e32 v115, v111
	ds_load_2addr_b64 v[110:113], v104 offset0:42 offset1:43
	v_pk_add_f32 v[50:51], v[50:51], v[114:115] neg_lo:[0,1] neg_hi:[0,1]
	s_wait_dscnt 0x0
	v_pk_mul_f32 v[114:115], v[110:111], v[102:103] op_sel:[0,1]
	v_pk_fma_f32 v[116:117], v[110:111], v[100:101], v[114:115] op_sel:[0,0,1] op_sel_hi:[1,1,0] neg_lo:[0,0,1] neg_hi:[0,0,1]
	v_pk_fma_f32 v[110:111], v[110:111], v[100:101], v[114:115] op_sel:[0,0,1] op_sel_hi:[1,0,0]
	s_delay_alu instid0(VALU_DEP_1) | instskip(SKIP_1) | instid1(VALU_DEP_1)
	v_mov_b32_e32 v117, v111
	v_pk_mul_f32 v[110:111], v[112:113], v[102:103] op_sel:[0,1]
	v_pk_fma_f32 v[114:115], v[112:113], v[100:101], v[110:111] op_sel:[0,0,1] op_sel_hi:[1,1,0] neg_lo:[0,0,1] neg_hi:[0,0,1]
	v_pk_fma_f32 v[110:111], v[112:113], v[100:101], v[110:111] op_sel:[0,0,1] op_sel_hi:[1,0,0]
	s_delay_alu instid0(VALU_DEP_1)
	v_mov_b32_e32 v115, v111
	ds_load_2addr_b64 v[110:113], v104 offset0:44 offset1:45
	v_pk_add_f32 v[8:9], v[8:9], v[116:117] neg_lo:[0,1] neg_hi:[0,1]
	v_pk_add_f32 v[40:41], v[40:41], v[114:115] neg_lo:[0,1] neg_hi:[0,1]
	s_wait_dscnt 0x0
	v_pk_mul_f32 v[114:115], v[110:111], v[102:103] op_sel:[0,1]
	s_delay_alu instid0(VALU_DEP_1) | instskip(SKIP_1) | instid1(VALU_DEP_1)
	v_pk_fma_f32 v[116:117], v[110:111], v[100:101], v[114:115] op_sel:[0,0,1] op_sel_hi:[1,1,0] neg_lo:[0,0,1] neg_hi:[0,0,1]
	v_pk_fma_f32 v[110:111], v[110:111], v[100:101], v[114:115] op_sel:[0,0,1] op_sel_hi:[1,0,0]
	v_mov_b32_e32 v117, v111
	v_pk_mul_f32 v[110:111], v[112:113], v[102:103] op_sel:[0,1]
	s_delay_alu instid0(VALU_DEP_1) | instskip(SKIP_1) | instid1(VALU_DEP_1)
	v_pk_fma_f32 v[114:115], v[112:113], v[100:101], v[110:111] op_sel:[0,0,1] op_sel_hi:[1,1,0] neg_lo:[0,0,1] neg_hi:[0,0,1]
	v_pk_fma_f32 v[110:111], v[112:113], v[100:101], v[110:111] op_sel:[0,0,1] op_sel_hi:[1,0,0]
	v_mov_b32_e32 v115, v111
	ds_load_b64 v[110:111], v104 offset:368
	v_pk_add_f32 v[30:31], v[30:31], v[116:117] neg_lo:[0,1] neg_hi:[0,1]
	v_pk_add_f32 v[12:13], v[12:13], v[114:115] neg_lo:[0,1] neg_hi:[0,1]
	s_wait_dscnt 0x0
	v_pk_mul_f32 v[102:103], v[110:111], v[102:103] op_sel:[0,1]
	s_delay_alu instid0(VALU_DEP_1) | instskip(SKIP_1) | instid1(VALU_DEP_1)
	v_pk_fma_f32 v[112:113], v[110:111], v[100:101], v[102:103] op_sel:[0,0,1] op_sel_hi:[1,1,0] neg_lo:[0,0,1] neg_hi:[0,0,1]
	v_pk_fma_f32 v[100:101], v[110:111], v[100:101], v[102:103] op_sel:[0,0,1] op_sel_hi:[1,0,0]
	v_mov_b32_e32 v113, v101
	s_delay_alu instid0(VALU_DEP_1)
	v_pk_add_f32 v[98:99], v[98:99], v[112:113] neg_lo:[0,1] neg_hi:[0,1]
.LBB92_167:
	s_or_b32 exec_lo, exec_lo, s0
	v_lshl_add_u32 v100, v108, 3, v104
	s_barrier_signal -1
	s_barrier_wait -1
	ds_store_b64 v100, v[76:77]
	s_wait_dscnt 0x0
	s_barrier_signal -1
	s_barrier_wait -1
	ds_load_b64 v[102:103], v104 offset:64
	v_mov_b32_e32 v100, 8
	s_cmp_lt_i32 s18, 10
	s_cbranch_scc1 .LBB92_170
; %bb.168:
	v_add3_u32 v101, v105, 0, 0x48
	v_mov_b32_e32 v100, 8
	s_mov_b32 s0, 9
.LBB92_169:                             ; =>This Inner Loop Header: Depth=1
	ds_load_b64 v[110:111], v101
	s_wait_dscnt 0x1
	v_cmp_gt_f32_e32 vcc_lo, 0, v102
	v_cndmask_b32_e64 v112, v102, -v102, vcc_lo
	v_cmp_gt_f32_e32 vcc_lo, 0, v103
	v_cndmask_b32_e64 v114, v103, -v103, vcc_lo
	s_wait_dscnt 0x0
	v_cmp_gt_f32_e32 vcc_lo, 0, v110
	v_cndmask_b32_e64 v113, v110, -v110, vcc_lo
	v_cmp_gt_f32_e32 vcc_lo, 0, v111
	v_cndmask_b32_e64 v115, v111, -v111, vcc_lo
	s_delay_alu instid0(VALU_DEP_1) | instskip(NEXT) | instid1(VALU_DEP_1)
	v_pk_add_f32 v[112:113], v[112:113], v[114:115]
	v_cmp_lt_f32_e32 vcc_lo, v112, v113
	v_dual_add_nc_u32 v101, 8, v101 :: v_dual_cndmask_b32 v103, v103, v111, vcc_lo
	v_cndmask_b32_e32 v102, v102, v110, vcc_lo
	v_cndmask_b32_e64 v100, v100, s0, vcc_lo
	s_add_co_i32 s0, s0, 1
	s_delay_alu instid0(SALU_CYCLE_1)
	s_cmp_lg_u32 s18, s0
	s_cbranch_scc1 .LBB92_169
.LBB92_170:
	s_wait_dscnt 0x0
	v_cmp_eq_f32_e32 vcc_lo, 0, v102
	v_cmp_eq_f32_e64 s0, 0, v103
	s_and_b32 s0, vcc_lo, s0
	s_delay_alu instid0(SALU_CYCLE_1) | instskip(NEXT) | instid1(SALU_CYCLE_1)
	s_and_saveexec_b32 s1, s0
	s_xor_b32 s0, exec_lo, s1
; %bb.171:
	v_cmp_ne_u32_e32 vcc_lo, 0, v106
	v_cndmask_b32_e32 v106, 9, v106, vcc_lo
; %bb.172:
	s_and_not1_saveexec_b32 s0, s0
	s_cbranch_execz .LBB92_178
; %bb.173:
	v_cmp_ngt_f32_e64 s1, |v102|, |v103|
	s_and_saveexec_b32 s12, s1
	s_delay_alu instid0(SALU_CYCLE_1)
	s_xor_b32 s1, exec_lo, s12
	s_cbranch_execz .LBB92_175
; %bb.174:
	v_div_scale_f32 v101, null, v103, v103, v102
	v_div_scale_f32 v111, vcc_lo, v102, v103, v102
	s_delay_alu instid0(VALU_DEP_2) | instskip(SKIP_1) | instid1(TRANS32_DEP_1)
	v_rcp_f32_e32 v109, v101
	v_nop
	v_fma_f32 v110, -v101, v109, 1.0
	s_delay_alu instid0(VALU_DEP_1) | instskip(NEXT) | instid1(VALU_DEP_1)
	v_fmac_f32_e32 v109, v110, v109
	v_mul_f32_e32 v110, v111, v109
	s_delay_alu instid0(VALU_DEP_1) | instskip(NEXT) | instid1(VALU_DEP_1)
	v_fma_f32 v112, -v101, v110, v111
	v_fmac_f32_e32 v110, v112, v109
	s_delay_alu instid0(VALU_DEP_1) | instskip(NEXT) | instid1(VALU_DEP_1)
	v_fma_f32 v101, -v101, v110, v111
	v_div_fmas_f32 v101, v101, v109, v110
	s_delay_alu instid0(VALU_DEP_1) | instskip(NEXT) | instid1(VALU_DEP_1)
	v_div_fixup_f32 v101, v101, v103, v102
	v_fmac_f32_e32 v103, v102, v101
	s_delay_alu instid0(VALU_DEP_1) | instskip(SKIP_1) | instid1(VALU_DEP_2)
	v_div_scale_f32 v102, null, v103, v103, 1.0
	v_div_scale_f32 v111, vcc_lo, 1.0, v103, 1.0
	v_rcp_f32_e32 v109, v102
	v_nop
	s_delay_alu instid0(TRANS32_DEP_1) | instskip(NEXT) | instid1(VALU_DEP_1)
	v_fma_f32 v110, -v102, v109, 1.0
	v_fmac_f32_e32 v109, v110, v109
	s_delay_alu instid0(VALU_DEP_1) | instskip(NEXT) | instid1(VALU_DEP_1)
	v_mul_f32_e32 v110, v111, v109
	v_fma_f32 v112, -v102, v110, v111
	s_delay_alu instid0(VALU_DEP_1) | instskip(NEXT) | instid1(VALU_DEP_1)
	v_fmac_f32_e32 v110, v112, v109
	v_fma_f32 v102, -v102, v110, v111
	s_delay_alu instid0(VALU_DEP_1) | instskip(NEXT) | instid1(VALU_DEP_1)
	v_div_fmas_f32 v102, v102, v109, v110
	v_div_fixup_f32 v103, v102, v103, 1.0
	s_delay_alu instid0(VALU_DEP_1)
	v_mul_f32_e32 v102, v101, v103
	v_xor_b32_e32 v103, 0x80000000, v103
.LBB92_175:
	s_and_not1_saveexec_b32 s1, s1
	s_cbranch_execz .LBB92_177
; %bb.176:
	s_delay_alu instid0(VALU_DEP_1) | instskip(SKIP_1) | instid1(VALU_DEP_2)
	v_div_scale_f32 v101, null, v102, v102, v103
	v_div_scale_f32 v111, vcc_lo, v103, v102, v103
	v_rcp_f32_e32 v109, v101
	v_nop
	s_delay_alu instid0(TRANS32_DEP_1) | instskip(NEXT) | instid1(VALU_DEP_1)
	v_fma_f32 v110, -v101, v109, 1.0
	v_fmac_f32_e32 v109, v110, v109
	s_delay_alu instid0(VALU_DEP_1) | instskip(NEXT) | instid1(VALU_DEP_1)
	v_mul_f32_e32 v110, v111, v109
	v_fma_f32 v112, -v101, v110, v111
	s_delay_alu instid0(VALU_DEP_1) | instskip(NEXT) | instid1(VALU_DEP_1)
	v_fmac_f32_e32 v110, v112, v109
	v_fma_f32 v101, -v101, v110, v111
	s_delay_alu instid0(VALU_DEP_1) | instskip(NEXT) | instid1(VALU_DEP_1)
	v_div_fmas_f32 v101, v101, v109, v110
	v_div_fixup_f32 v101, v101, v102, v103
	s_delay_alu instid0(VALU_DEP_1) | instskip(NEXT) | instid1(VALU_DEP_1)
	v_fmac_f32_e32 v102, v103, v101
	v_div_scale_f32 v103, null, v102, v102, 1.0
	s_delay_alu instid0(VALU_DEP_1) | instskip(SKIP_1) | instid1(TRANS32_DEP_1)
	v_rcp_f32_e32 v109, v103
	v_nop
	v_fma_f32 v110, -v103, v109, 1.0
	s_delay_alu instid0(VALU_DEP_1) | instskip(SKIP_1) | instid1(VALU_DEP_1)
	v_fmac_f32_e32 v109, v110, v109
	v_div_scale_f32 v110, vcc_lo, 1.0, v102, 1.0
	v_mul_f32_e32 v111, v110, v109
	s_delay_alu instid0(VALU_DEP_1) | instskip(NEXT) | instid1(VALU_DEP_1)
	v_fma_f32 v112, -v103, v111, v110
	v_fmac_f32_e32 v111, v112, v109
	s_delay_alu instid0(VALU_DEP_1) | instskip(NEXT) | instid1(VALU_DEP_1)
	v_fma_f32 v103, -v103, v111, v110
	v_div_fmas_f32 v103, v103, v109, v111
	s_delay_alu instid0(VALU_DEP_1) | instskip(NEXT) | instid1(VALU_DEP_1)
	v_div_fixup_f32 v102, v103, v102, 1.0
	v_mul_f32_e64 v103, v101, -v102
.LBB92_177:
	s_or_b32 exec_lo, exec_lo, s1
.LBB92_178:
	s_delay_alu instid0(SALU_CYCLE_1) | instskip(NEXT) | instid1(SALU_CYCLE_1)
	s_or_b32 exec_lo, exec_lo, s0
	s_mov_b32 s0, exec_lo
	v_cmpx_ne_u32_e64 v108, v100
	s_xor_b32 s0, exec_lo, s0
	s_cbranch_execz .LBB92_184
; %bb.179:
	s_mov_b32 s1, exec_lo
	v_cmpx_eq_u32_e32 8, v108
	s_cbranch_execz .LBB92_183
; %bb.180:
	v_cmp_ne_u32_e32 vcc_lo, 8, v100
	s_xor_b32 s12, s16, -1
	s_delay_alu instid0(SALU_CYCLE_1) | instskip(NEXT) | instid1(SALU_CYCLE_1)
	s_and_b32 s13, s12, vcc_lo
	s_and_saveexec_b32 s12, s13
	s_cbranch_execz .LBB92_182
; %bb.181:
	v_ashrrev_i32_e32 v101, 31, v100
	s_delay_alu instid0(VALU_DEP_1)
	v_lshl_add_u64 v[108:109], v[100:101], 2, v[4:5]
	s_clause 0x1
	global_load_b32 v101, v[108:109], off
	global_load_b32 v107, v[4:5], off offset:32
	s_wait_loadcnt 0x1
	global_store_b32 v[4:5], v101, off offset:32
	s_wait_loadcnt 0x0
	global_store_b32 v[108:109], v107, off
.LBB92_182:
	s_wait_xcnt 0x0
	s_or_b32 exec_lo, exec_lo, s12
	v_dual_mov_b32 v108, v100 :: v_dual_mov_b32 v107, v100
.LBB92_183:
	s_or_b32 exec_lo, exec_lo, s1
.LBB92_184:
	s_and_not1_saveexec_b32 s0, s0
	s_cbranch_execz .LBB92_186
; %bb.185:
	v_mov_b32_e32 v108, 8
	ds_store_2addr_b64 v104, v[74:75], v[34:35] offset0:9 offset1:10
	ds_store_2addr_b64 v104, v[32:33], v[88:89] offset0:11 offset1:12
	;; [unrolled: 1-line block ×19, first 2 shown]
.LBB92_186:
	s_or_b32 exec_lo, exec_lo, s0
	s_delay_alu instid0(SALU_CYCLE_1)
	s_mov_b32 s0, exec_lo
	s_wait_storecnt_dscnt 0x0
	s_barrier_signal -1
	s_barrier_wait -1
	v_cmpx_lt_i32_e32 8, v108
	s_cbranch_execz .LBB92_188
; %bb.187:
	v_pk_mul_f32 v[110:111], v[102:103], v[76:77] op_sel:[1,1] op_sel_hi:[0,1]
	s_delay_alu instid0(VALU_DEP_1)
	v_pk_fma_f32 v[100:101], v[102:103], v[76:77], v[110:111] op_sel_hi:[1,0,1] neg_lo:[0,0,1] neg_hi:[0,0,1]
	v_pk_fma_f32 v[102:103], v[102:103], v[76:77], v[110:111] op_sel_hi:[1,0,1]
	ds_load_2addr_b64 v[110:113], v104 offset0:9 offset1:10
	v_dual_mov_b32 v76, v100 :: v_dual_mov_b32 v77, v103
	s_wait_dscnt 0x0
	v_pk_mul_f32 v[114:115], v[110:111], v[102:103] op_sel:[0,1]
	s_delay_alu instid0(VALU_DEP_1) | instskip(SKIP_1) | instid1(VALU_DEP_1)
	v_pk_fma_f32 v[116:117], v[110:111], v[100:101], v[114:115] op_sel:[0,0,1] op_sel_hi:[1,1,0] neg_lo:[0,0,1] neg_hi:[0,0,1]
	v_pk_fma_f32 v[110:111], v[110:111], v[100:101], v[114:115] op_sel:[0,0,1] op_sel_hi:[1,0,0]
	v_mov_b32_e32 v117, v111
	v_pk_mul_f32 v[110:111], v[112:113], v[102:103] op_sel:[0,1]
	s_delay_alu instid0(VALU_DEP_1) | instskip(SKIP_1) | instid1(VALU_DEP_1)
	v_pk_fma_f32 v[114:115], v[112:113], v[100:101], v[110:111] op_sel:[0,0,1] op_sel_hi:[1,1,0] neg_lo:[0,0,1] neg_hi:[0,0,1]
	v_pk_fma_f32 v[110:111], v[112:113], v[100:101], v[110:111] op_sel:[0,0,1] op_sel_hi:[1,0,0]
	v_mov_b32_e32 v115, v111
	ds_load_2addr_b64 v[110:113], v104 offset0:11 offset1:12
	v_pk_add_f32 v[74:75], v[74:75], v[116:117] neg_lo:[0,1] neg_hi:[0,1]
	v_pk_add_f32 v[34:35], v[34:35], v[114:115] neg_lo:[0,1] neg_hi:[0,1]
	s_wait_dscnt 0x0
	v_pk_mul_f32 v[114:115], v[110:111], v[102:103] op_sel:[0,1]
	s_delay_alu instid0(VALU_DEP_1) | instskip(SKIP_2) | instid1(VALU_DEP_2)
	v_pk_fma_f32 v[116:117], v[110:111], v[100:101], v[114:115] op_sel:[0,0,1] op_sel_hi:[1,1,0] neg_lo:[0,0,1] neg_hi:[0,0,1]
	v_pk_fma_f32 v[110:111], v[110:111], v[100:101], v[114:115] op_sel:[0,0,1] op_sel_hi:[1,0,0]
	v_dual_mul_f32 v114, v113, v103 :: v_dual_mov_b32 v110, v113
	v_dual_mov_b32 v117, v111 :: v_dual_mov_b32 v111, v112
	s_delay_alu instid0(VALU_DEP_2) | instskip(SKIP_1) | instid1(VALU_DEP_3)
	v_pk_fma_f32 v[114:115], v[112:113], v[76:77], v[114:115] op_sel_hi:[1,1,0] neg_lo:[0,0,1] neg_hi:[0,0,1]
	v_mul_f32_e32 v112, v113, v100
	v_pk_add_f32 v[32:33], v[32:33], v[116:117] neg_lo:[0,1] neg_hi:[0,1]
	s_delay_alu instid0(VALU_DEP_2) | instskip(NEXT) | instid1(VALU_DEP_1)
	v_pk_fma_f32 v[110:111], v[110:111], v[76:77], v[112:113] op_sel_hi:[1,1,0]
	v_mov_b32_e32 v115, v111
	ds_load_2addr_b64 v[110:113], v104 offset0:13 offset1:14
	v_pk_add_f32 v[88:89], v[88:89], v[114:115] neg_lo:[0,1] neg_hi:[0,1]
	s_wait_dscnt 0x0
	v_pk_mul_f32 v[114:115], v[110:111], v[102:103] op_sel:[0,1]
	s_delay_alu instid0(VALU_DEP_1) | instskip(SKIP_1) | instid1(VALU_DEP_1)
	v_pk_fma_f32 v[116:117], v[110:111], v[100:101], v[114:115] op_sel:[0,0,1] op_sel_hi:[1,1,0] neg_lo:[0,0,1] neg_hi:[0,0,1]
	v_pk_fma_f32 v[110:111], v[110:111], v[100:101], v[114:115] op_sel:[0,0,1] op_sel_hi:[1,0,0]
	v_mov_b32_e32 v117, v111
	v_pk_mul_f32 v[110:111], v[112:113], v[102:103] op_sel:[0,1]
	s_delay_alu instid0(VALU_DEP_1) | instskip(SKIP_1) | instid1(VALU_DEP_1)
	v_pk_fma_f32 v[114:115], v[112:113], v[100:101], v[110:111] op_sel:[0,0,1] op_sel_hi:[1,1,0] neg_lo:[0,0,1] neg_hi:[0,0,1]
	v_pk_fma_f32 v[110:111], v[112:113], v[100:101], v[110:111] op_sel:[0,0,1] op_sel_hi:[1,0,0]
	v_mov_b32_e32 v115, v111
	ds_load_2addr_b64 v[110:113], v104 offset0:15 offset1:16
	v_pk_add_f32 v[86:87], v[86:87], v[116:117] neg_lo:[0,1] neg_hi:[0,1]
	v_pk_add_f32 v[48:49], v[48:49], v[114:115] neg_lo:[0,1] neg_hi:[0,1]
	s_wait_dscnt 0x0
	v_pk_mul_f32 v[114:115], v[110:111], v[102:103] op_sel:[0,1]
	s_delay_alu instid0(VALU_DEP_1) | instskip(SKIP_1) | instid1(VALU_DEP_1)
	v_pk_fma_f32 v[116:117], v[110:111], v[100:101], v[114:115] op_sel:[0,0,1] op_sel_hi:[1,1,0] neg_lo:[0,0,1] neg_hi:[0,0,1]
	v_pk_fma_f32 v[110:111], v[110:111], v[100:101], v[114:115] op_sel:[0,0,1] op_sel_hi:[1,0,0]
	v_mov_b32_e32 v117, v111
	v_pk_mul_f32 v[110:111], v[112:113], v[102:103] op_sel:[0,1]
	s_delay_alu instid0(VALU_DEP_1) | instskip(SKIP_1) | instid1(VALU_DEP_1)
	v_pk_fma_f32 v[114:115], v[112:113], v[100:101], v[110:111] op_sel:[0,0,1] op_sel_hi:[1,1,0] neg_lo:[0,0,1] neg_hi:[0,0,1]
	v_pk_fma_f32 v[110:111], v[112:113], v[100:101], v[110:111] op_sel:[0,0,1] op_sel_hi:[1,0,0]
	v_mov_b32_e32 v115, v111
	ds_load_2addr_b64 v[110:113], v104 offset0:17 offset1:18
	v_pk_add_f32 v[46:47], v[46:47], v[116:117] neg_lo:[0,1] neg_hi:[0,1]
	v_pk_add_f32 v[84:85], v[84:85], v[114:115] neg_lo:[0,1] neg_hi:[0,1]
	s_wait_dscnt 0x0
	v_dual_mul_f32 v114, v111, v103 :: v_dual_mul_f32 v116, v111, v100
	s_delay_alu instid0(VALU_DEP_1) | instskip(NEXT) | instid1(VALU_DEP_2)
	v_pk_fma_f32 v[114:115], v[110:111], v[76:77], v[114:115] op_sel_hi:[1,1,0] neg_lo:[0,0,1] neg_hi:[0,0,1]
	v_pk_fma_f32 v[110:111], v[110:111], v[76:77], v[116:117] op_sel:[1,0,0] op_sel_hi:[0,1,0]
	s_delay_alu instid0(VALU_DEP_1) | instskip(SKIP_1) | instid1(VALU_DEP_2)
	v_mov_b32_e32 v115, v111
	v_pk_mul_f32 v[110:111], v[112:113], v[102:103] op_sel:[0,1]
	v_pk_add_f32 v[82:83], v[82:83], v[114:115] neg_lo:[0,1] neg_hi:[0,1]
	s_delay_alu instid0(VALU_DEP_2) | instskip(SKIP_1) | instid1(VALU_DEP_1)
	v_pk_fma_f32 v[114:115], v[112:113], v[100:101], v[110:111] op_sel:[0,0,1] op_sel_hi:[1,1,0] neg_lo:[0,0,1] neg_hi:[0,0,1]
	v_pk_fma_f32 v[110:111], v[112:113], v[100:101], v[110:111] op_sel:[0,0,1] op_sel_hi:[1,0,0]
	v_mov_b32_e32 v115, v111
	ds_load_2addr_b64 v[110:113], v104 offset0:19 offset1:20
	v_pk_add_f32 v[44:45], v[44:45], v[114:115] neg_lo:[0,1] neg_hi:[0,1]
	s_wait_dscnt 0x0
	v_pk_mul_f32 v[114:115], v[110:111], v[102:103] op_sel:[0,1]
	s_delay_alu instid0(VALU_DEP_1) | instskip(SKIP_1) | instid1(VALU_DEP_1)
	v_pk_fma_f32 v[116:117], v[110:111], v[100:101], v[114:115] op_sel:[0,0,1] op_sel_hi:[1,1,0] neg_lo:[0,0,1] neg_hi:[0,0,1]
	v_pk_fma_f32 v[110:111], v[110:111], v[100:101], v[114:115] op_sel:[0,0,1] op_sel_hi:[1,0,0]
	v_mov_b32_e32 v117, v111
	v_pk_mul_f32 v[110:111], v[112:113], v[102:103] op_sel:[0,1]
	s_delay_alu instid0(VALU_DEP_2) | instskip(NEXT) | instid1(VALU_DEP_2)
	v_pk_add_f32 v[42:43], v[42:43], v[116:117] neg_lo:[0,1] neg_hi:[0,1]
	v_pk_fma_f32 v[114:115], v[112:113], v[100:101], v[110:111] op_sel:[0,0,1] op_sel_hi:[1,1,0] neg_lo:[0,0,1] neg_hi:[0,0,1]
	v_pk_fma_f32 v[110:111], v[112:113], v[100:101], v[110:111] op_sel:[0,0,1] op_sel_hi:[1,0,0]
	s_delay_alu instid0(VALU_DEP_1) | instskip(SKIP_4) | instid1(VALU_DEP_1)
	v_mov_b32_e32 v115, v111
	ds_load_2addr_b64 v[110:113], v104 offset0:21 offset1:22
	v_pk_add_f32 v[80:81], v[80:81], v[114:115] neg_lo:[0,1] neg_hi:[0,1]
	s_wait_dscnt 0x0
	v_pk_mul_f32 v[114:115], v[110:111], v[102:103] op_sel:[0,1]
	v_pk_fma_f32 v[116:117], v[110:111], v[100:101], v[114:115] op_sel:[0,0,1] op_sel_hi:[1,1,0] neg_lo:[0,0,1] neg_hi:[0,0,1]
	v_pk_fma_f32 v[110:111], v[110:111], v[100:101], v[114:115] op_sel:[0,0,1] op_sel_hi:[1,0,0]
	v_dual_mul_f32 v114, v113, v103 :: v_dual_mov_b32 v110, v113
	s_delay_alu instid0(VALU_DEP_2) | instskip(NEXT) | instid1(VALU_DEP_2)
	v_dual_mov_b32 v117, v111 :: v_dual_mov_b32 v111, v112
	v_pk_fma_f32 v[114:115], v[112:113], v[76:77], v[114:115] op_sel_hi:[1,1,0] neg_lo:[0,0,1] neg_hi:[0,0,1]
	v_mul_f32_e32 v112, v113, v100
	s_delay_alu instid0(VALU_DEP_3) | instskip(NEXT) | instid1(VALU_DEP_2)
	v_pk_add_f32 v[78:79], v[78:79], v[116:117] neg_lo:[0,1] neg_hi:[0,1]
	v_pk_fma_f32 v[110:111], v[110:111], v[76:77], v[112:113] op_sel_hi:[1,1,0]
	s_delay_alu instid0(VALU_DEP_1) | instskip(SKIP_4) | instid1(VALU_DEP_1)
	v_mov_b32_e32 v115, v111
	ds_load_2addr_b64 v[110:113], v104 offset0:23 offset1:24
	v_pk_add_f32 v[38:39], v[38:39], v[114:115] neg_lo:[0,1] neg_hi:[0,1]
	s_wait_dscnt 0x0
	v_pk_mul_f32 v[114:115], v[110:111], v[102:103] op_sel:[0,1]
	v_pk_fma_f32 v[116:117], v[110:111], v[100:101], v[114:115] op_sel:[0,0,1] op_sel_hi:[1,1,0] neg_lo:[0,0,1] neg_hi:[0,0,1]
	v_pk_fma_f32 v[110:111], v[110:111], v[100:101], v[114:115] op_sel:[0,0,1] op_sel_hi:[1,0,0]
	s_delay_alu instid0(VALU_DEP_1) | instskip(SKIP_1) | instid1(VALU_DEP_1)
	v_mov_b32_e32 v117, v111
	v_pk_mul_f32 v[110:111], v[112:113], v[102:103] op_sel:[0,1]
	v_pk_fma_f32 v[114:115], v[112:113], v[100:101], v[110:111] op_sel:[0,0,1] op_sel_hi:[1,1,0] neg_lo:[0,0,1] neg_hi:[0,0,1]
	v_pk_fma_f32 v[110:111], v[112:113], v[100:101], v[110:111] op_sel:[0,0,1] op_sel_hi:[1,0,0]
	s_delay_alu instid0(VALU_DEP_1)
	v_mov_b32_e32 v115, v111
	ds_load_2addr_b64 v[110:113], v104 offset0:25 offset1:26
	v_pk_add_f32 v[36:37], v[36:37], v[116:117] neg_lo:[0,1] neg_hi:[0,1]
	v_pk_add_f32 v[70:71], v[70:71], v[114:115] neg_lo:[0,1] neg_hi:[0,1]
	s_wait_dscnt 0x0
	v_pk_mul_f32 v[114:115], v[110:111], v[102:103] op_sel:[0,1]
	s_delay_alu instid0(VALU_DEP_1) | instskip(SKIP_1) | instid1(VALU_DEP_1)
	v_pk_fma_f32 v[116:117], v[110:111], v[100:101], v[114:115] op_sel:[0,0,1] op_sel_hi:[1,1,0] neg_lo:[0,0,1] neg_hi:[0,0,1]
	v_pk_fma_f32 v[110:111], v[110:111], v[100:101], v[114:115] op_sel:[0,0,1] op_sel_hi:[1,0,0]
	v_mov_b32_e32 v117, v111
	v_pk_mul_f32 v[110:111], v[112:113], v[102:103] op_sel:[0,1]
	s_delay_alu instid0(VALU_DEP_1) | instskip(SKIP_1) | instid1(VALU_DEP_1)
	v_pk_fma_f32 v[114:115], v[112:113], v[100:101], v[110:111] op_sel:[0,0,1] op_sel_hi:[1,1,0] neg_lo:[0,0,1] neg_hi:[0,0,1]
	v_pk_fma_f32 v[110:111], v[112:113], v[100:101], v[110:111] op_sel:[0,0,1] op_sel_hi:[1,0,0]
	v_mov_b32_e32 v115, v111
	ds_load_2addr_b64 v[110:113], v104 offset0:27 offset1:28
	v_pk_add_f32 v[66:67], v[66:67], v[116:117] neg_lo:[0,1] neg_hi:[0,1]
	v_pk_add_f32 v[26:27], v[26:27], v[114:115] neg_lo:[0,1] neg_hi:[0,1]
	s_wait_dscnt 0x0
	v_dual_mul_f32 v114, v111, v103 :: v_dual_mul_f32 v116, v111, v100
	s_delay_alu instid0(VALU_DEP_1) | instskip(NEXT) | instid1(VALU_DEP_2)
	v_pk_fma_f32 v[114:115], v[110:111], v[76:77], v[114:115] op_sel_hi:[1,1,0] neg_lo:[0,0,1] neg_hi:[0,0,1]
	v_pk_fma_f32 v[110:111], v[110:111], v[76:77], v[116:117] op_sel:[1,0,0] op_sel_hi:[0,1,0]
	s_delay_alu instid0(VALU_DEP_1) | instskip(SKIP_1) | instid1(VALU_DEP_2)
	v_mov_b32_e32 v115, v111
	v_pk_mul_f32 v[110:111], v[112:113], v[102:103] op_sel:[0,1]
	v_pk_add_f32 v[22:23], v[22:23], v[114:115] neg_lo:[0,1] neg_hi:[0,1]
	s_delay_alu instid0(VALU_DEP_2) | instskip(SKIP_1) | instid1(VALU_DEP_1)
	v_pk_fma_f32 v[114:115], v[112:113], v[100:101], v[110:111] op_sel:[0,0,1] op_sel_hi:[1,1,0] neg_lo:[0,0,1] neg_hi:[0,0,1]
	v_pk_fma_f32 v[110:111], v[112:113], v[100:101], v[110:111] op_sel:[0,0,1] op_sel_hi:[1,0,0]
	v_mov_b32_e32 v115, v111
	ds_load_2addr_b64 v[110:113], v104 offset0:29 offset1:30
	v_pk_add_f32 v[64:65], v[64:65], v[114:115] neg_lo:[0,1] neg_hi:[0,1]
	s_wait_dscnt 0x0
	v_pk_mul_f32 v[114:115], v[110:111], v[102:103] op_sel:[0,1]
	s_delay_alu instid0(VALU_DEP_1) | instskip(SKIP_1) | instid1(VALU_DEP_1)
	v_pk_fma_f32 v[116:117], v[110:111], v[100:101], v[114:115] op_sel:[0,0,1] op_sel_hi:[1,1,0] neg_lo:[0,0,1] neg_hi:[0,0,1]
	v_pk_fma_f32 v[110:111], v[110:111], v[100:101], v[114:115] op_sel:[0,0,1] op_sel_hi:[1,0,0]
	v_mov_b32_e32 v117, v111
	v_pk_mul_f32 v[110:111], v[112:113], v[102:103] op_sel:[0,1]
	s_delay_alu instid0(VALU_DEP_2) | instskip(NEXT) | instid1(VALU_DEP_2)
	v_pk_add_f32 v[62:63], v[62:63], v[116:117] neg_lo:[0,1] neg_hi:[0,1]
	v_pk_fma_f32 v[114:115], v[112:113], v[100:101], v[110:111] op_sel:[0,0,1] op_sel_hi:[1,1,0] neg_lo:[0,0,1] neg_hi:[0,0,1]
	v_pk_fma_f32 v[110:111], v[112:113], v[100:101], v[110:111] op_sel:[0,0,1] op_sel_hi:[1,0,0]
	s_delay_alu instid0(VALU_DEP_1) | instskip(SKIP_4) | instid1(VALU_DEP_1)
	v_mov_b32_e32 v115, v111
	ds_load_2addr_b64 v[110:113], v104 offset0:31 offset1:32
	v_pk_add_f32 v[20:21], v[20:21], v[114:115] neg_lo:[0,1] neg_hi:[0,1]
	s_wait_dscnt 0x0
	v_pk_mul_f32 v[114:115], v[110:111], v[102:103] op_sel:[0,1]
	v_pk_fma_f32 v[116:117], v[110:111], v[100:101], v[114:115] op_sel:[0,0,1] op_sel_hi:[1,1,0] neg_lo:[0,0,1] neg_hi:[0,0,1]
	v_pk_fma_f32 v[110:111], v[110:111], v[100:101], v[114:115] op_sel:[0,0,1] op_sel_hi:[1,0,0]
	v_dual_mul_f32 v114, v113, v103 :: v_dual_mov_b32 v110, v113
	s_delay_alu instid0(VALU_DEP_2) | instskip(NEXT) | instid1(VALU_DEP_2)
	v_dual_mov_b32 v117, v111 :: v_dual_mov_b32 v111, v112
	v_pk_fma_f32 v[114:115], v[112:113], v[76:77], v[114:115] op_sel_hi:[1,1,0] neg_lo:[0,0,1] neg_hi:[0,0,1]
	v_mul_f32_e32 v112, v113, v100
	s_delay_alu instid0(VALU_DEP_3) | instskip(NEXT) | instid1(VALU_DEP_2)
	v_pk_add_f32 v[18:19], v[18:19], v[116:117] neg_lo:[0,1] neg_hi:[0,1]
	v_pk_fma_f32 v[110:111], v[110:111], v[76:77], v[112:113] op_sel_hi:[1,1,0]
	s_delay_alu instid0(VALU_DEP_1) | instskip(SKIP_4) | instid1(VALU_DEP_1)
	v_mov_b32_e32 v115, v111
	ds_load_2addr_b64 v[110:113], v104 offset0:33 offset1:34
	v_pk_add_f32 v[60:61], v[60:61], v[114:115] neg_lo:[0,1] neg_hi:[0,1]
	s_wait_dscnt 0x0
	v_pk_mul_f32 v[114:115], v[110:111], v[102:103] op_sel:[0,1]
	v_pk_fma_f32 v[116:117], v[110:111], v[100:101], v[114:115] op_sel:[0,0,1] op_sel_hi:[1,1,0] neg_lo:[0,0,1] neg_hi:[0,0,1]
	v_pk_fma_f32 v[110:111], v[110:111], v[100:101], v[114:115] op_sel:[0,0,1] op_sel_hi:[1,0,0]
	s_delay_alu instid0(VALU_DEP_1) | instskip(SKIP_1) | instid1(VALU_DEP_1)
	v_mov_b32_e32 v117, v111
	v_pk_mul_f32 v[110:111], v[112:113], v[102:103] op_sel:[0,1]
	v_pk_fma_f32 v[114:115], v[112:113], v[100:101], v[110:111] op_sel:[0,0,1] op_sel_hi:[1,1,0] neg_lo:[0,0,1] neg_hi:[0,0,1]
	v_pk_fma_f32 v[110:111], v[112:113], v[100:101], v[110:111] op_sel:[0,0,1] op_sel_hi:[1,0,0]
	s_delay_alu instid0(VALU_DEP_1)
	v_mov_b32_e32 v115, v111
	ds_load_2addr_b64 v[110:113], v104 offset0:35 offset1:36
	v_pk_add_f32 v[58:59], v[58:59], v[116:117] neg_lo:[0,1] neg_hi:[0,1]
	v_pk_add_f32 v[16:17], v[16:17], v[114:115] neg_lo:[0,1] neg_hi:[0,1]
	s_wait_dscnt 0x0
	v_pk_mul_f32 v[114:115], v[110:111], v[102:103] op_sel:[0,1]
	s_delay_alu instid0(VALU_DEP_1) | instskip(SKIP_1) | instid1(VALU_DEP_1)
	v_pk_fma_f32 v[116:117], v[110:111], v[100:101], v[114:115] op_sel:[0,0,1] op_sel_hi:[1,1,0] neg_lo:[0,0,1] neg_hi:[0,0,1]
	v_pk_fma_f32 v[110:111], v[110:111], v[100:101], v[114:115] op_sel:[0,0,1] op_sel_hi:[1,0,0]
	v_mov_b32_e32 v117, v111
	v_pk_mul_f32 v[110:111], v[112:113], v[102:103] op_sel:[0,1]
	s_delay_alu instid0(VALU_DEP_1) | instskip(SKIP_1) | instid1(VALU_DEP_1)
	v_pk_fma_f32 v[114:115], v[112:113], v[100:101], v[110:111] op_sel:[0,0,1] op_sel_hi:[1,1,0] neg_lo:[0,0,1] neg_hi:[0,0,1]
	v_pk_fma_f32 v[110:111], v[112:113], v[100:101], v[110:111] op_sel:[0,0,1] op_sel_hi:[1,0,0]
	v_mov_b32_e32 v115, v111
	ds_load_2addr_b64 v[110:113], v104 offset0:37 offset1:38
	v_pk_add_f32 v[14:15], v[14:15], v[116:117] neg_lo:[0,1] neg_hi:[0,1]
	v_pk_add_f32 v[56:57], v[56:57], v[114:115] neg_lo:[0,1] neg_hi:[0,1]
	s_wait_dscnt 0x0
	v_dual_mul_f32 v114, v111, v103 :: v_dual_mul_f32 v116, v111, v100
	s_delay_alu instid0(VALU_DEP_1) | instskip(NEXT) | instid1(VALU_DEP_2)
	v_pk_fma_f32 v[114:115], v[110:111], v[76:77], v[114:115] op_sel_hi:[1,1,0] neg_lo:[0,0,1] neg_hi:[0,0,1]
	v_pk_fma_f32 v[110:111], v[110:111], v[76:77], v[116:117] op_sel:[1,0,0] op_sel_hi:[0,1,0]
	s_delay_alu instid0(VALU_DEP_1) | instskip(SKIP_1) | instid1(VALU_DEP_2)
	v_mov_b32_e32 v115, v111
	v_pk_mul_f32 v[110:111], v[112:113], v[102:103] op_sel:[0,1]
	v_pk_add_f32 v[54:55], v[54:55], v[114:115] neg_lo:[0,1] neg_hi:[0,1]
	s_delay_alu instid0(VALU_DEP_2) | instskip(SKIP_1) | instid1(VALU_DEP_1)
	v_pk_fma_f32 v[114:115], v[112:113], v[100:101], v[110:111] op_sel:[0,0,1] op_sel_hi:[1,1,0] neg_lo:[0,0,1] neg_hi:[0,0,1]
	v_pk_fma_f32 v[110:111], v[112:113], v[100:101], v[110:111] op_sel:[0,0,1] op_sel_hi:[1,0,0]
	v_mov_b32_e32 v115, v111
	ds_load_2addr_b64 v[110:113], v104 offset0:39 offset1:40
	v_pk_add_f32 v[10:11], v[10:11], v[114:115] neg_lo:[0,1] neg_hi:[0,1]
	s_wait_dscnt 0x0
	v_pk_mul_f32 v[114:115], v[110:111], v[102:103] op_sel:[0,1]
	s_delay_alu instid0(VALU_DEP_1) | instskip(SKIP_1) | instid1(VALU_DEP_1)
	v_pk_fma_f32 v[116:117], v[110:111], v[100:101], v[114:115] op_sel:[0,0,1] op_sel_hi:[1,1,0] neg_lo:[0,0,1] neg_hi:[0,0,1]
	v_pk_fma_f32 v[110:111], v[110:111], v[100:101], v[114:115] op_sel:[0,0,1] op_sel_hi:[1,0,0]
	v_mov_b32_e32 v117, v111
	v_pk_mul_f32 v[110:111], v[112:113], v[102:103] op_sel:[0,1]
	s_delay_alu instid0(VALU_DEP_2) | instskip(NEXT) | instid1(VALU_DEP_2)
	v_pk_add_f32 v[6:7], v[6:7], v[116:117] neg_lo:[0,1] neg_hi:[0,1]
	v_pk_fma_f32 v[114:115], v[112:113], v[100:101], v[110:111] op_sel:[0,0,1] op_sel_hi:[1,1,0] neg_lo:[0,0,1] neg_hi:[0,0,1]
	v_pk_fma_f32 v[110:111], v[112:113], v[100:101], v[110:111] op_sel:[0,0,1] op_sel_hi:[1,0,0]
	s_delay_alu instid0(VALU_DEP_1) | instskip(SKIP_4) | instid1(VALU_DEP_1)
	v_mov_b32_e32 v115, v111
	ds_load_2addr_b64 v[110:113], v104 offset0:41 offset1:42
	v_pk_add_f32 v[52:53], v[52:53], v[114:115] neg_lo:[0,1] neg_hi:[0,1]
	s_wait_dscnt 0x0
	v_pk_mul_f32 v[114:115], v[110:111], v[102:103] op_sel:[0,1]
	v_pk_fma_f32 v[116:117], v[110:111], v[100:101], v[114:115] op_sel:[0,0,1] op_sel_hi:[1,1,0] neg_lo:[0,0,1] neg_hi:[0,0,1]
	v_pk_fma_f32 v[110:111], v[110:111], v[100:101], v[114:115] op_sel:[0,0,1] op_sel_hi:[1,0,0]
	v_dual_mul_f32 v114, v113, v103 :: v_dual_mov_b32 v110, v113
	s_delay_alu instid0(VALU_DEP_2) | instskip(NEXT) | instid1(VALU_DEP_2)
	v_dual_mov_b32 v117, v111 :: v_dual_mov_b32 v111, v112
	v_pk_fma_f32 v[114:115], v[112:113], v[76:77], v[114:115] op_sel_hi:[1,1,0] neg_lo:[0,0,1] neg_hi:[0,0,1]
	v_mul_f32_e32 v112, v113, v100
	s_delay_alu instid0(VALU_DEP_3) | instskip(NEXT) | instid1(VALU_DEP_2)
	v_pk_add_f32 v[50:51], v[50:51], v[116:117] neg_lo:[0,1] neg_hi:[0,1]
	v_pk_fma_f32 v[110:111], v[110:111], v[76:77], v[112:113] op_sel_hi:[1,1,0]
	s_delay_alu instid0(VALU_DEP_1) | instskip(SKIP_4) | instid1(VALU_DEP_1)
	v_mov_b32_e32 v115, v111
	ds_load_2addr_b64 v[110:113], v104 offset0:43 offset1:44
	v_pk_add_f32 v[8:9], v[8:9], v[114:115] neg_lo:[0,1] neg_hi:[0,1]
	s_wait_dscnt 0x0
	v_pk_mul_f32 v[114:115], v[110:111], v[102:103] op_sel:[0,1]
	v_pk_fma_f32 v[116:117], v[110:111], v[100:101], v[114:115] op_sel:[0,0,1] op_sel_hi:[1,1,0] neg_lo:[0,0,1] neg_hi:[0,0,1]
	v_pk_fma_f32 v[110:111], v[110:111], v[100:101], v[114:115] op_sel:[0,0,1] op_sel_hi:[1,0,0]
	s_delay_alu instid0(VALU_DEP_1) | instskip(SKIP_1) | instid1(VALU_DEP_1)
	v_mov_b32_e32 v117, v111
	v_pk_mul_f32 v[110:111], v[112:113], v[102:103] op_sel:[0,1]
	v_pk_fma_f32 v[114:115], v[112:113], v[100:101], v[110:111] op_sel:[0,0,1] op_sel_hi:[1,1,0] neg_lo:[0,0,1] neg_hi:[0,0,1]
	v_pk_fma_f32 v[110:111], v[112:113], v[100:101], v[110:111] op_sel:[0,0,1] op_sel_hi:[1,0,0]
	s_delay_alu instid0(VALU_DEP_1)
	v_mov_b32_e32 v115, v111
	ds_load_2addr_b64 v[110:113], v104 offset0:45 offset1:46
	v_pk_add_f32 v[40:41], v[40:41], v[116:117] neg_lo:[0,1] neg_hi:[0,1]
	v_pk_add_f32 v[30:31], v[30:31], v[114:115] neg_lo:[0,1] neg_hi:[0,1]
	s_wait_dscnt 0x0
	v_pk_mul_f32 v[114:115], v[110:111], v[102:103] op_sel:[0,1]
	v_pk_mul_f32 v[102:103], v[112:113], v[102:103] op_sel:[0,1]
	s_delay_alu instid0(VALU_DEP_2) | instskip(SKIP_1) | instid1(VALU_DEP_1)
	v_pk_fma_f32 v[116:117], v[110:111], v[100:101], v[114:115] op_sel:[0,0,1] op_sel_hi:[1,1,0] neg_lo:[0,0,1] neg_hi:[0,0,1]
	v_pk_fma_f32 v[110:111], v[110:111], v[100:101], v[114:115] op_sel:[0,0,1] op_sel_hi:[1,0,0]
	v_mov_b32_e32 v117, v111
	s_delay_alu instid0(VALU_DEP_4) | instskip(SKIP_1) | instid1(VALU_DEP_1)
	v_pk_fma_f32 v[110:111], v[112:113], v[100:101], v[102:103] op_sel:[0,0,1] op_sel_hi:[1,1,0] neg_lo:[0,0,1] neg_hi:[0,0,1]
	v_pk_fma_f32 v[100:101], v[112:113], v[100:101], v[102:103] op_sel:[0,0,1] op_sel_hi:[1,0,0]
	v_mov_b32_e32 v111, v101
	s_delay_alu instid0(VALU_DEP_4) | instskip(NEXT) | instid1(VALU_DEP_2)
	v_pk_add_f32 v[12:13], v[12:13], v[116:117] neg_lo:[0,1] neg_hi:[0,1]
	v_pk_add_f32 v[98:99], v[98:99], v[110:111] neg_lo:[0,1] neg_hi:[0,1]
.LBB92_188:
	s_or_b32 exec_lo, exec_lo, s0
	v_lshl_add_u32 v100, v108, 3, v104
	s_barrier_signal -1
	s_barrier_wait -1
	ds_store_b64 v100, v[74:75]
	s_wait_dscnt 0x0
	s_barrier_signal -1
	s_barrier_wait -1
	ds_load_b64 v[102:103], v104 offset:72
	v_mov_b32_e32 v100, 9
	s_cmp_lt_i32 s18, 11
	s_cbranch_scc1 .LBB92_191
; %bb.189:
	v_add3_u32 v101, v105, 0, 0x50
	v_mov_b32_e32 v100, 9
	s_mov_b32 s0, 10
.LBB92_190:                             ; =>This Inner Loop Header: Depth=1
	ds_load_b64 v[110:111], v101
	s_wait_dscnt 0x1
	v_cmp_gt_f32_e32 vcc_lo, 0, v102
	v_cndmask_b32_e64 v112, v102, -v102, vcc_lo
	v_cmp_gt_f32_e32 vcc_lo, 0, v103
	v_cndmask_b32_e64 v114, v103, -v103, vcc_lo
	s_wait_dscnt 0x0
	v_cmp_gt_f32_e32 vcc_lo, 0, v110
	v_cndmask_b32_e64 v113, v110, -v110, vcc_lo
	v_cmp_gt_f32_e32 vcc_lo, 0, v111
	v_cndmask_b32_e64 v115, v111, -v111, vcc_lo
	s_delay_alu instid0(VALU_DEP_1) | instskip(NEXT) | instid1(VALU_DEP_1)
	v_pk_add_f32 v[112:113], v[112:113], v[114:115]
	v_cmp_lt_f32_e32 vcc_lo, v112, v113
	v_dual_add_nc_u32 v101, 8, v101 :: v_dual_cndmask_b32 v103, v103, v111, vcc_lo
	v_cndmask_b32_e32 v102, v102, v110, vcc_lo
	v_cndmask_b32_e64 v100, v100, s0, vcc_lo
	s_add_co_i32 s0, s0, 1
	s_delay_alu instid0(SALU_CYCLE_1)
	s_cmp_lg_u32 s18, s0
	s_cbranch_scc1 .LBB92_190
.LBB92_191:
	s_wait_dscnt 0x0
	v_cmp_eq_f32_e32 vcc_lo, 0, v102
	v_cmp_eq_f32_e64 s0, 0, v103
	s_and_b32 s0, vcc_lo, s0
	s_delay_alu instid0(SALU_CYCLE_1) | instskip(NEXT) | instid1(SALU_CYCLE_1)
	s_and_saveexec_b32 s1, s0
	s_xor_b32 s0, exec_lo, s1
; %bb.192:
	v_cmp_ne_u32_e32 vcc_lo, 0, v106
	v_cndmask_b32_e32 v106, 10, v106, vcc_lo
; %bb.193:
	s_and_not1_saveexec_b32 s0, s0
	s_cbranch_execz .LBB92_199
; %bb.194:
	v_cmp_ngt_f32_e64 s1, |v102|, |v103|
	s_and_saveexec_b32 s12, s1
	s_delay_alu instid0(SALU_CYCLE_1)
	s_xor_b32 s1, exec_lo, s12
	s_cbranch_execz .LBB92_196
; %bb.195:
	v_div_scale_f32 v101, null, v103, v103, v102
	v_div_scale_f32 v111, vcc_lo, v102, v103, v102
	s_delay_alu instid0(VALU_DEP_2) | instskip(SKIP_1) | instid1(TRANS32_DEP_1)
	v_rcp_f32_e32 v109, v101
	v_nop
	v_fma_f32 v110, -v101, v109, 1.0
	s_delay_alu instid0(VALU_DEP_1) | instskip(NEXT) | instid1(VALU_DEP_1)
	v_fmac_f32_e32 v109, v110, v109
	v_mul_f32_e32 v110, v111, v109
	s_delay_alu instid0(VALU_DEP_1) | instskip(NEXT) | instid1(VALU_DEP_1)
	v_fma_f32 v112, -v101, v110, v111
	v_fmac_f32_e32 v110, v112, v109
	s_delay_alu instid0(VALU_DEP_1) | instskip(NEXT) | instid1(VALU_DEP_1)
	v_fma_f32 v101, -v101, v110, v111
	v_div_fmas_f32 v101, v101, v109, v110
	s_delay_alu instid0(VALU_DEP_1) | instskip(NEXT) | instid1(VALU_DEP_1)
	v_div_fixup_f32 v101, v101, v103, v102
	v_fmac_f32_e32 v103, v102, v101
	s_delay_alu instid0(VALU_DEP_1) | instskip(SKIP_1) | instid1(VALU_DEP_2)
	v_div_scale_f32 v102, null, v103, v103, 1.0
	v_div_scale_f32 v111, vcc_lo, 1.0, v103, 1.0
	v_rcp_f32_e32 v109, v102
	v_nop
	s_delay_alu instid0(TRANS32_DEP_1) | instskip(NEXT) | instid1(VALU_DEP_1)
	v_fma_f32 v110, -v102, v109, 1.0
	v_fmac_f32_e32 v109, v110, v109
	s_delay_alu instid0(VALU_DEP_1) | instskip(NEXT) | instid1(VALU_DEP_1)
	v_mul_f32_e32 v110, v111, v109
	v_fma_f32 v112, -v102, v110, v111
	s_delay_alu instid0(VALU_DEP_1) | instskip(NEXT) | instid1(VALU_DEP_1)
	v_fmac_f32_e32 v110, v112, v109
	v_fma_f32 v102, -v102, v110, v111
	s_delay_alu instid0(VALU_DEP_1) | instskip(NEXT) | instid1(VALU_DEP_1)
	v_div_fmas_f32 v102, v102, v109, v110
	v_div_fixup_f32 v103, v102, v103, 1.0
	s_delay_alu instid0(VALU_DEP_1)
	v_mul_f32_e32 v102, v101, v103
	v_xor_b32_e32 v103, 0x80000000, v103
.LBB92_196:
	s_and_not1_saveexec_b32 s1, s1
	s_cbranch_execz .LBB92_198
; %bb.197:
	s_delay_alu instid0(VALU_DEP_1) | instskip(SKIP_1) | instid1(VALU_DEP_2)
	v_div_scale_f32 v101, null, v102, v102, v103
	v_div_scale_f32 v111, vcc_lo, v103, v102, v103
	v_rcp_f32_e32 v109, v101
	v_nop
	s_delay_alu instid0(TRANS32_DEP_1) | instskip(NEXT) | instid1(VALU_DEP_1)
	v_fma_f32 v110, -v101, v109, 1.0
	v_fmac_f32_e32 v109, v110, v109
	s_delay_alu instid0(VALU_DEP_1) | instskip(NEXT) | instid1(VALU_DEP_1)
	v_mul_f32_e32 v110, v111, v109
	v_fma_f32 v112, -v101, v110, v111
	s_delay_alu instid0(VALU_DEP_1) | instskip(NEXT) | instid1(VALU_DEP_1)
	v_fmac_f32_e32 v110, v112, v109
	v_fma_f32 v101, -v101, v110, v111
	s_delay_alu instid0(VALU_DEP_1) | instskip(NEXT) | instid1(VALU_DEP_1)
	v_div_fmas_f32 v101, v101, v109, v110
	v_div_fixup_f32 v101, v101, v102, v103
	s_delay_alu instid0(VALU_DEP_1) | instskip(NEXT) | instid1(VALU_DEP_1)
	v_fmac_f32_e32 v102, v103, v101
	v_div_scale_f32 v103, null, v102, v102, 1.0
	s_delay_alu instid0(VALU_DEP_1) | instskip(SKIP_1) | instid1(TRANS32_DEP_1)
	v_rcp_f32_e32 v109, v103
	v_nop
	v_fma_f32 v110, -v103, v109, 1.0
	s_delay_alu instid0(VALU_DEP_1) | instskip(SKIP_1) | instid1(VALU_DEP_1)
	v_fmac_f32_e32 v109, v110, v109
	v_div_scale_f32 v110, vcc_lo, 1.0, v102, 1.0
	v_mul_f32_e32 v111, v110, v109
	s_delay_alu instid0(VALU_DEP_1) | instskip(NEXT) | instid1(VALU_DEP_1)
	v_fma_f32 v112, -v103, v111, v110
	v_fmac_f32_e32 v111, v112, v109
	s_delay_alu instid0(VALU_DEP_1) | instskip(NEXT) | instid1(VALU_DEP_1)
	v_fma_f32 v103, -v103, v111, v110
	v_div_fmas_f32 v103, v103, v109, v111
	s_delay_alu instid0(VALU_DEP_1) | instskip(NEXT) | instid1(VALU_DEP_1)
	v_div_fixup_f32 v102, v103, v102, 1.0
	v_mul_f32_e64 v103, v101, -v102
.LBB92_198:
	s_or_b32 exec_lo, exec_lo, s1
.LBB92_199:
	s_delay_alu instid0(SALU_CYCLE_1) | instskip(NEXT) | instid1(SALU_CYCLE_1)
	s_or_b32 exec_lo, exec_lo, s0
	s_mov_b32 s0, exec_lo
	v_cmpx_ne_u32_e64 v108, v100
	s_xor_b32 s0, exec_lo, s0
	s_cbranch_execz .LBB92_205
; %bb.200:
	s_mov_b32 s1, exec_lo
	v_cmpx_eq_u32_e32 9, v108
	s_cbranch_execz .LBB92_204
; %bb.201:
	v_cmp_ne_u32_e32 vcc_lo, 9, v100
	s_xor_b32 s12, s16, -1
	s_delay_alu instid0(SALU_CYCLE_1) | instskip(NEXT) | instid1(SALU_CYCLE_1)
	s_and_b32 s13, s12, vcc_lo
	s_and_saveexec_b32 s12, s13
	s_cbranch_execz .LBB92_203
; %bb.202:
	v_ashrrev_i32_e32 v101, 31, v100
	s_delay_alu instid0(VALU_DEP_1)
	v_lshl_add_u64 v[108:109], v[100:101], 2, v[4:5]
	s_clause 0x1
	global_load_b32 v101, v[108:109], off
	global_load_b32 v107, v[4:5], off offset:36
	s_wait_loadcnt 0x1
	global_store_b32 v[4:5], v101, off offset:36
	s_wait_loadcnt 0x0
	global_store_b32 v[108:109], v107, off
.LBB92_203:
	s_wait_xcnt 0x0
	s_or_b32 exec_lo, exec_lo, s12
	v_dual_mov_b32 v108, v100 :: v_dual_mov_b32 v107, v100
.LBB92_204:
	s_or_b32 exec_lo, exec_lo, s1
.LBB92_205:
	s_and_not1_saveexec_b32 s0, s0
	s_cbranch_execz .LBB92_207
; %bb.206:
	v_dual_mov_b32 v100, v34 :: v_dual_mov_b32 v101, v35
	v_dual_mov_b32 v108, v32 :: v_dual_mov_b32 v109, v33
	ds_store_2addr_b64 v104, v[100:101], v[108:109] offset0:10 offset1:11
	v_dual_mov_b32 v100, v88 :: v_dual_mov_b32 v101, v89
	v_dual_mov_b32 v108, v86 :: v_dual_mov_b32 v109, v87
	ds_store_2addr_b64 v104, v[100:101], v[108:109] offset0:12 offset1:13
	;; [unrolled: 3-line block ×18, first 2 shown]
	ds_store_b64 v104, v[98:99] offset:368
	v_mov_b32_e32 v108, 9
.LBB92_207:
	s_or_b32 exec_lo, exec_lo, s0
	s_delay_alu instid0(SALU_CYCLE_1)
	s_mov_b32 s0, exec_lo
	s_wait_storecnt_dscnt 0x0
	s_barrier_signal -1
	s_barrier_wait -1
	v_cmpx_lt_i32_e32 9, v108
	s_cbranch_execz .LBB92_209
; %bb.208:
	v_pk_mul_f32 v[110:111], v[102:103], v[74:75] op_sel:[1,1] op_sel_hi:[0,1]
	s_delay_alu instid0(VALU_DEP_1)
	v_pk_fma_f32 v[100:101], v[102:103], v[74:75], v[110:111] op_sel_hi:[1,0,1] neg_lo:[0,0,1] neg_hi:[0,0,1]
	v_pk_fma_f32 v[102:103], v[102:103], v[74:75], v[110:111] op_sel_hi:[1,0,1]
	ds_load_2addr_b64 v[110:113], v104 offset0:10 offset1:11
	v_dual_mov_b32 v74, v100 :: v_dual_mov_b32 v75, v103
	s_wait_dscnt 0x0
	v_pk_mul_f32 v[114:115], v[110:111], v[102:103] op_sel:[0,1]
	s_delay_alu instid0(VALU_DEP_1) | instskip(SKIP_1) | instid1(VALU_DEP_1)
	v_pk_fma_f32 v[116:117], v[110:111], v[100:101], v[114:115] op_sel:[0,0,1] op_sel_hi:[1,1,0] neg_lo:[0,0,1] neg_hi:[0,0,1]
	v_pk_fma_f32 v[110:111], v[110:111], v[100:101], v[114:115] op_sel:[0,0,1] op_sel_hi:[1,0,0]
	v_mov_b32_e32 v117, v111
	v_pk_mul_f32 v[110:111], v[112:113], v[102:103] op_sel:[0,1]
	s_delay_alu instid0(VALU_DEP_1) | instskip(SKIP_1) | instid1(VALU_DEP_1)
	v_pk_fma_f32 v[114:115], v[112:113], v[100:101], v[110:111] op_sel:[0,0,1] op_sel_hi:[1,1,0] neg_lo:[0,0,1] neg_hi:[0,0,1]
	v_pk_fma_f32 v[110:111], v[112:113], v[100:101], v[110:111] op_sel:[0,0,1] op_sel_hi:[1,0,0]
	v_mov_b32_e32 v115, v111
	ds_load_2addr_b64 v[110:113], v104 offset0:12 offset1:13
	v_pk_add_f32 v[34:35], v[34:35], v[116:117] neg_lo:[0,1] neg_hi:[0,1]
	v_pk_add_f32 v[32:33], v[32:33], v[114:115] neg_lo:[0,1] neg_hi:[0,1]
	s_wait_dscnt 0x0
	v_pk_mul_f32 v[114:115], v[110:111], v[102:103] op_sel:[0,1]
	s_delay_alu instid0(VALU_DEP_1) | instskip(SKIP_2) | instid1(VALU_DEP_2)
	v_pk_fma_f32 v[116:117], v[110:111], v[100:101], v[114:115] op_sel:[0,0,1] op_sel_hi:[1,1,0] neg_lo:[0,0,1] neg_hi:[0,0,1]
	v_pk_fma_f32 v[110:111], v[110:111], v[100:101], v[114:115] op_sel:[0,0,1] op_sel_hi:[1,0,0]
	v_dual_mul_f32 v114, v113, v103 :: v_dual_mov_b32 v110, v113
	v_dual_mov_b32 v117, v111 :: v_dual_mov_b32 v111, v112
	s_delay_alu instid0(VALU_DEP_2) | instskip(SKIP_1) | instid1(VALU_DEP_3)
	v_pk_fma_f32 v[114:115], v[112:113], v[74:75], v[114:115] op_sel_hi:[1,1,0] neg_lo:[0,0,1] neg_hi:[0,0,1]
	v_mul_f32_e32 v112, v113, v100
	v_pk_add_f32 v[88:89], v[88:89], v[116:117] neg_lo:[0,1] neg_hi:[0,1]
	s_delay_alu instid0(VALU_DEP_2) | instskip(NEXT) | instid1(VALU_DEP_1)
	v_pk_fma_f32 v[110:111], v[110:111], v[74:75], v[112:113] op_sel_hi:[1,1,0]
	v_mov_b32_e32 v115, v111
	ds_load_2addr_b64 v[110:113], v104 offset0:14 offset1:15
	v_pk_add_f32 v[86:87], v[86:87], v[114:115] neg_lo:[0,1] neg_hi:[0,1]
	s_wait_dscnt 0x0
	v_pk_mul_f32 v[114:115], v[110:111], v[102:103] op_sel:[0,1]
	s_delay_alu instid0(VALU_DEP_1) | instskip(SKIP_1) | instid1(VALU_DEP_1)
	v_pk_fma_f32 v[116:117], v[110:111], v[100:101], v[114:115] op_sel:[0,0,1] op_sel_hi:[1,1,0] neg_lo:[0,0,1] neg_hi:[0,0,1]
	v_pk_fma_f32 v[110:111], v[110:111], v[100:101], v[114:115] op_sel:[0,0,1] op_sel_hi:[1,0,0]
	v_mov_b32_e32 v117, v111
	v_pk_mul_f32 v[110:111], v[112:113], v[102:103] op_sel:[0,1]
	s_delay_alu instid0(VALU_DEP_1) | instskip(SKIP_1) | instid1(VALU_DEP_1)
	v_pk_fma_f32 v[114:115], v[112:113], v[100:101], v[110:111] op_sel:[0,0,1] op_sel_hi:[1,1,0] neg_lo:[0,0,1] neg_hi:[0,0,1]
	v_pk_fma_f32 v[110:111], v[112:113], v[100:101], v[110:111] op_sel:[0,0,1] op_sel_hi:[1,0,0]
	v_mov_b32_e32 v115, v111
	ds_load_2addr_b64 v[110:113], v104 offset0:16 offset1:17
	v_pk_add_f32 v[48:49], v[48:49], v[116:117] neg_lo:[0,1] neg_hi:[0,1]
	v_pk_add_f32 v[46:47], v[46:47], v[114:115] neg_lo:[0,1] neg_hi:[0,1]
	s_wait_dscnt 0x0
	v_pk_mul_f32 v[114:115], v[110:111], v[102:103] op_sel:[0,1]
	s_delay_alu instid0(VALU_DEP_1) | instskip(SKIP_1) | instid1(VALU_DEP_1)
	v_pk_fma_f32 v[116:117], v[110:111], v[100:101], v[114:115] op_sel:[0,0,1] op_sel_hi:[1,1,0] neg_lo:[0,0,1] neg_hi:[0,0,1]
	v_pk_fma_f32 v[110:111], v[110:111], v[100:101], v[114:115] op_sel:[0,0,1] op_sel_hi:[1,0,0]
	v_mov_b32_e32 v117, v111
	v_pk_mul_f32 v[110:111], v[112:113], v[102:103] op_sel:[0,1]
	s_delay_alu instid0(VALU_DEP_1) | instskip(SKIP_1) | instid1(VALU_DEP_1)
	v_pk_fma_f32 v[114:115], v[112:113], v[100:101], v[110:111] op_sel:[0,0,1] op_sel_hi:[1,1,0] neg_lo:[0,0,1] neg_hi:[0,0,1]
	v_pk_fma_f32 v[110:111], v[112:113], v[100:101], v[110:111] op_sel:[0,0,1] op_sel_hi:[1,0,0]
	v_mov_b32_e32 v115, v111
	ds_load_2addr_b64 v[110:113], v104 offset0:18 offset1:19
	v_pk_add_f32 v[84:85], v[84:85], v[116:117] neg_lo:[0,1] neg_hi:[0,1]
	v_pk_add_f32 v[82:83], v[82:83], v[114:115] neg_lo:[0,1] neg_hi:[0,1]
	s_wait_dscnt 0x0
	v_dual_mul_f32 v114, v111, v103 :: v_dual_mul_f32 v116, v111, v100
	s_delay_alu instid0(VALU_DEP_1) | instskip(NEXT) | instid1(VALU_DEP_2)
	v_pk_fma_f32 v[114:115], v[110:111], v[74:75], v[114:115] op_sel_hi:[1,1,0] neg_lo:[0,0,1] neg_hi:[0,0,1]
	v_pk_fma_f32 v[110:111], v[110:111], v[74:75], v[116:117] op_sel:[1,0,0] op_sel_hi:[0,1,0]
	s_delay_alu instid0(VALU_DEP_1) | instskip(SKIP_1) | instid1(VALU_DEP_2)
	v_mov_b32_e32 v115, v111
	v_pk_mul_f32 v[110:111], v[112:113], v[102:103] op_sel:[0,1]
	v_pk_add_f32 v[44:45], v[44:45], v[114:115] neg_lo:[0,1] neg_hi:[0,1]
	s_delay_alu instid0(VALU_DEP_2) | instskip(SKIP_1) | instid1(VALU_DEP_1)
	v_pk_fma_f32 v[114:115], v[112:113], v[100:101], v[110:111] op_sel:[0,0,1] op_sel_hi:[1,1,0] neg_lo:[0,0,1] neg_hi:[0,0,1]
	v_pk_fma_f32 v[110:111], v[112:113], v[100:101], v[110:111] op_sel:[0,0,1] op_sel_hi:[1,0,0]
	v_mov_b32_e32 v115, v111
	ds_load_2addr_b64 v[110:113], v104 offset0:20 offset1:21
	v_pk_add_f32 v[42:43], v[42:43], v[114:115] neg_lo:[0,1] neg_hi:[0,1]
	s_wait_dscnt 0x0
	v_pk_mul_f32 v[114:115], v[110:111], v[102:103] op_sel:[0,1]
	s_delay_alu instid0(VALU_DEP_1) | instskip(SKIP_1) | instid1(VALU_DEP_1)
	v_pk_fma_f32 v[116:117], v[110:111], v[100:101], v[114:115] op_sel:[0,0,1] op_sel_hi:[1,1,0] neg_lo:[0,0,1] neg_hi:[0,0,1]
	v_pk_fma_f32 v[110:111], v[110:111], v[100:101], v[114:115] op_sel:[0,0,1] op_sel_hi:[1,0,0]
	v_mov_b32_e32 v117, v111
	v_pk_mul_f32 v[110:111], v[112:113], v[102:103] op_sel:[0,1]
	s_delay_alu instid0(VALU_DEP_2) | instskip(NEXT) | instid1(VALU_DEP_2)
	v_pk_add_f32 v[80:81], v[80:81], v[116:117] neg_lo:[0,1] neg_hi:[0,1]
	v_pk_fma_f32 v[114:115], v[112:113], v[100:101], v[110:111] op_sel:[0,0,1] op_sel_hi:[1,1,0] neg_lo:[0,0,1] neg_hi:[0,0,1]
	v_pk_fma_f32 v[110:111], v[112:113], v[100:101], v[110:111] op_sel:[0,0,1] op_sel_hi:[1,0,0]
	s_delay_alu instid0(VALU_DEP_1) | instskip(SKIP_4) | instid1(VALU_DEP_1)
	v_mov_b32_e32 v115, v111
	ds_load_2addr_b64 v[110:113], v104 offset0:22 offset1:23
	v_pk_add_f32 v[78:79], v[78:79], v[114:115] neg_lo:[0,1] neg_hi:[0,1]
	s_wait_dscnt 0x0
	v_pk_mul_f32 v[114:115], v[110:111], v[102:103] op_sel:[0,1]
	v_pk_fma_f32 v[116:117], v[110:111], v[100:101], v[114:115] op_sel:[0,0,1] op_sel_hi:[1,1,0] neg_lo:[0,0,1] neg_hi:[0,0,1]
	v_pk_fma_f32 v[110:111], v[110:111], v[100:101], v[114:115] op_sel:[0,0,1] op_sel_hi:[1,0,0]
	v_dual_mul_f32 v114, v113, v103 :: v_dual_mov_b32 v110, v113
	s_delay_alu instid0(VALU_DEP_2) | instskip(NEXT) | instid1(VALU_DEP_2)
	v_dual_mov_b32 v117, v111 :: v_dual_mov_b32 v111, v112
	v_pk_fma_f32 v[114:115], v[112:113], v[74:75], v[114:115] op_sel_hi:[1,1,0] neg_lo:[0,0,1] neg_hi:[0,0,1]
	v_mul_f32_e32 v112, v113, v100
	s_delay_alu instid0(VALU_DEP_3) | instskip(NEXT) | instid1(VALU_DEP_2)
	v_pk_add_f32 v[38:39], v[38:39], v[116:117] neg_lo:[0,1] neg_hi:[0,1]
	v_pk_fma_f32 v[110:111], v[110:111], v[74:75], v[112:113] op_sel_hi:[1,1,0]
	s_delay_alu instid0(VALU_DEP_1) | instskip(SKIP_4) | instid1(VALU_DEP_1)
	v_mov_b32_e32 v115, v111
	ds_load_2addr_b64 v[110:113], v104 offset0:24 offset1:25
	v_pk_add_f32 v[36:37], v[36:37], v[114:115] neg_lo:[0,1] neg_hi:[0,1]
	s_wait_dscnt 0x0
	v_pk_mul_f32 v[114:115], v[110:111], v[102:103] op_sel:[0,1]
	v_pk_fma_f32 v[116:117], v[110:111], v[100:101], v[114:115] op_sel:[0,0,1] op_sel_hi:[1,1,0] neg_lo:[0,0,1] neg_hi:[0,0,1]
	v_pk_fma_f32 v[110:111], v[110:111], v[100:101], v[114:115] op_sel:[0,0,1] op_sel_hi:[1,0,0]
	s_delay_alu instid0(VALU_DEP_1) | instskip(SKIP_1) | instid1(VALU_DEP_1)
	v_mov_b32_e32 v117, v111
	v_pk_mul_f32 v[110:111], v[112:113], v[102:103] op_sel:[0,1]
	v_pk_fma_f32 v[114:115], v[112:113], v[100:101], v[110:111] op_sel:[0,0,1] op_sel_hi:[1,1,0] neg_lo:[0,0,1] neg_hi:[0,0,1]
	v_pk_fma_f32 v[110:111], v[112:113], v[100:101], v[110:111] op_sel:[0,0,1] op_sel_hi:[1,0,0]
	s_delay_alu instid0(VALU_DEP_1)
	v_mov_b32_e32 v115, v111
	ds_load_2addr_b64 v[110:113], v104 offset0:26 offset1:27
	v_pk_add_f32 v[70:71], v[70:71], v[116:117] neg_lo:[0,1] neg_hi:[0,1]
	v_pk_add_f32 v[66:67], v[66:67], v[114:115] neg_lo:[0,1] neg_hi:[0,1]
	s_wait_dscnt 0x0
	v_pk_mul_f32 v[114:115], v[110:111], v[102:103] op_sel:[0,1]
	s_delay_alu instid0(VALU_DEP_1) | instskip(SKIP_1) | instid1(VALU_DEP_1)
	v_pk_fma_f32 v[116:117], v[110:111], v[100:101], v[114:115] op_sel:[0,0,1] op_sel_hi:[1,1,0] neg_lo:[0,0,1] neg_hi:[0,0,1]
	v_pk_fma_f32 v[110:111], v[110:111], v[100:101], v[114:115] op_sel:[0,0,1] op_sel_hi:[1,0,0]
	v_mov_b32_e32 v117, v111
	v_pk_mul_f32 v[110:111], v[112:113], v[102:103] op_sel:[0,1]
	s_delay_alu instid0(VALU_DEP_1) | instskip(SKIP_1) | instid1(VALU_DEP_1)
	v_pk_fma_f32 v[114:115], v[112:113], v[100:101], v[110:111] op_sel:[0,0,1] op_sel_hi:[1,1,0] neg_lo:[0,0,1] neg_hi:[0,0,1]
	v_pk_fma_f32 v[110:111], v[112:113], v[100:101], v[110:111] op_sel:[0,0,1] op_sel_hi:[1,0,0]
	v_mov_b32_e32 v115, v111
	ds_load_2addr_b64 v[110:113], v104 offset0:28 offset1:29
	v_pk_add_f32 v[26:27], v[26:27], v[116:117] neg_lo:[0,1] neg_hi:[0,1]
	v_pk_add_f32 v[22:23], v[22:23], v[114:115] neg_lo:[0,1] neg_hi:[0,1]
	s_wait_dscnt 0x0
	v_dual_mul_f32 v114, v111, v103 :: v_dual_mul_f32 v116, v111, v100
	s_delay_alu instid0(VALU_DEP_1) | instskip(NEXT) | instid1(VALU_DEP_2)
	v_pk_fma_f32 v[114:115], v[110:111], v[74:75], v[114:115] op_sel_hi:[1,1,0] neg_lo:[0,0,1] neg_hi:[0,0,1]
	v_pk_fma_f32 v[110:111], v[110:111], v[74:75], v[116:117] op_sel:[1,0,0] op_sel_hi:[0,1,0]
	s_delay_alu instid0(VALU_DEP_1) | instskip(SKIP_1) | instid1(VALU_DEP_2)
	v_mov_b32_e32 v115, v111
	v_pk_mul_f32 v[110:111], v[112:113], v[102:103] op_sel:[0,1]
	v_pk_add_f32 v[64:65], v[64:65], v[114:115] neg_lo:[0,1] neg_hi:[0,1]
	s_delay_alu instid0(VALU_DEP_2) | instskip(SKIP_1) | instid1(VALU_DEP_1)
	v_pk_fma_f32 v[114:115], v[112:113], v[100:101], v[110:111] op_sel:[0,0,1] op_sel_hi:[1,1,0] neg_lo:[0,0,1] neg_hi:[0,0,1]
	v_pk_fma_f32 v[110:111], v[112:113], v[100:101], v[110:111] op_sel:[0,0,1] op_sel_hi:[1,0,0]
	v_mov_b32_e32 v115, v111
	ds_load_2addr_b64 v[110:113], v104 offset0:30 offset1:31
	v_pk_add_f32 v[62:63], v[62:63], v[114:115] neg_lo:[0,1] neg_hi:[0,1]
	s_wait_dscnt 0x0
	v_pk_mul_f32 v[114:115], v[110:111], v[102:103] op_sel:[0,1]
	s_delay_alu instid0(VALU_DEP_1) | instskip(SKIP_1) | instid1(VALU_DEP_1)
	v_pk_fma_f32 v[116:117], v[110:111], v[100:101], v[114:115] op_sel:[0,0,1] op_sel_hi:[1,1,0] neg_lo:[0,0,1] neg_hi:[0,0,1]
	v_pk_fma_f32 v[110:111], v[110:111], v[100:101], v[114:115] op_sel:[0,0,1] op_sel_hi:[1,0,0]
	v_mov_b32_e32 v117, v111
	v_pk_mul_f32 v[110:111], v[112:113], v[102:103] op_sel:[0,1]
	s_delay_alu instid0(VALU_DEP_2) | instskip(NEXT) | instid1(VALU_DEP_2)
	v_pk_add_f32 v[20:21], v[20:21], v[116:117] neg_lo:[0,1] neg_hi:[0,1]
	v_pk_fma_f32 v[114:115], v[112:113], v[100:101], v[110:111] op_sel:[0,0,1] op_sel_hi:[1,1,0] neg_lo:[0,0,1] neg_hi:[0,0,1]
	v_pk_fma_f32 v[110:111], v[112:113], v[100:101], v[110:111] op_sel:[0,0,1] op_sel_hi:[1,0,0]
	s_delay_alu instid0(VALU_DEP_1) | instskip(SKIP_4) | instid1(VALU_DEP_1)
	v_mov_b32_e32 v115, v111
	ds_load_2addr_b64 v[110:113], v104 offset0:32 offset1:33
	v_pk_add_f32 v[18:19], v[18:19], v[114:115] neg_lo:[0,1] neg_hi:[0,1]
	s_wait_dscnt 0x0
	v_pk_mul_f32 v[114:115], v[110:111], v[102:103] op_sel:[0,1]
	v_pk_fma_f32 v[116:117], v[110:111], v[100:101], v[114:115] op_sel:[0,0,1] op_sel_hi:[1,1,0] neg_lo:[0,0,1] neg_hi:[0,0,1]
	v_pk_fma_f32 v[110:111], v[110:111], v[100:101], v[114:115] op_sel:[0,0,1] op_sel_hi:[1,0,0]
	v_dual_mul_f32 v114, v113, v103 :: v_dual_mov_b32 v110, v113
	s_delay_alu instid0(VALU_DEP_2) | instskip(NEXT) | instid1(VALU_DEP_2)
	v_dual_mov_b32 v117, v111 :: v_dual_mov_b32 v111, v112
	v_pk_fma_f32 v[114:115], v[112:113], v[74:75], v[114:115] op_sel_hi:[1,1,0] neg_lo:[0,0,1] neg_hi:[0,0,1]
	v_mul_f32_e32 v112, v113, v100
	s_delay_alu instid0(VALU_DEP_3) | instskip(NEXT) | instid1(VALU_DEP_2)
	v_pk_add_f32 v[60:61], v[60:61], v[116:117] neg_lo:[0,1] neg_hi:[0,1]
	v_pk_fma_f32 v[110:111], v[110:111], v[74:75], v[112:113] op_sel_hi:[1,1,0]
	s_delay_alu instid0(VALU_DEP_1) | instskip(SKIP_4) | instid1(VALU_DEP_1)
	v_mov_b32_e32 v115, v111
	ds_load_2addr_b64 v[110:113], v104 offset0:34 offset1:35
	v_pk_add_f32 v[58:59], v[58:59], v[114:115] neg_lo:[0,1] neg_hi:[0,1]
	s_wait_dscnt 0x0
	v_pk_mul_f32 v[114:115], v[110:111], v[102:103] op_sel:[0,1]
	v_pk_fma_f32 v[116:117], v[110:111], v[100:101], v[114:115] op_sel:[0,0,1] op_sel_hi:[1,1,0] neg_lo:[0,0,1] neg_hi:[0,0,1]
	v_pk_fma_f32 v[110:111], v[110:111], v[100:101], v[114:115] op_sel:[0,0,1] op_sel_hi:[1,0,0]
	s_delay_alu instid0(VALU_DEP_1) | instskip(SKIP_1) | instid1(VALU_DEP_1)
	v_mov_b32_e32 v117, v111
	v_pk_mul_f32 v[110:111], v[112:113], v[102:103] op_sel:[0,1]
	v_pk_fma_f32 v[114:115], v[112:113], v[100:101], v[110:111] op_sel:[0,0,1] op_sel_hi:[1,1,0] neg_lo:[0,0,1] neg_hi:[0,0,1]
	v_pk_fma_f32 v[110:111], v[112:113], v[100:101], v[110:111] op_sel:[0,0,1] op_sel_hi:[1,0,0]
	s_delay_alu instid0(VALU_DEP_1)
	v_mov_b32_e32 v115, v111
	ds_load_2addr_b64 v[110:113], v104 offset0:36 offset1:37
	v_pk_add_f32 v[16:17], v[16:17], v[116:117] neg_lo:[0,1] neg_hi:[0,1]
	v_pk_add_f32 v[14:15], v[14:15], v[114:115] neg_lo:[0,1] neg_hi:[0,1]
	s_wait_dscnt 0x0
	v_pk_mul_f32 v[114:115], v[110:111], v[102:103] op_sel:[0,1]
	s_delay_alu instid0(VALU_DEP_1) | instskip(SKIP_1) | instid1(VALU_DEP_1)
	v_pk_fma_f32 v[116:117], v[110:111], v[100:101], v[114:115] op_sel:[0,0,1] op_sel_hi:[1,1,0] neg_lo:[0,0,1] neg_hi:[0,0,1]
	v_pk_fma_f32 v[110:111], v[110:111], v[100:101], v[114:115] op_sel:[0,0,1] op_sel_hi:[1,0,0]
	v_mov_b32_e32 v117, v111
	v_pk_mul_f32 v[110:111], v[112:113], v[102:103] op_sel:[0,1]
	s_delay_alu instid0(VALU_DEP_1) | instskip(SKIP_1) | instid1(VALU_DEP_1)
	v_pk_fma_f32 v[114:115], v[112:113], v[100:101], v[110:111] op_sel:[0,0,1] op_sel_hi:[1,1,0] neg_lo:[0,0,1] neg_hi:[0,0,1]
	v_pk_fma_f32 v[110:111], v[112:113], v[100:101], v[110:111] op_sel:[0,0,1] op_sel_hi:[1,0,0]
	v_mov_b32_e32 v115, v111
	ds_load_2addr_b64 v[110:113], v104 offset0:38 offset1:39
	v_pk_add_f32 v[56:57], v[56:57], v[116:117] neg_lo:[0,1] neg_hi:[0,1]
	v_pk_add_f32 v[54:55], v[54:55], v[114:115] neg_lo:[0,1] neg_hi:[0,1]
	s_wait_dscnt 0x0
	v_dual_mul_f32 v114, v111, v103 :: v_dual_mul_f32 v116, v111, v100
	s_delay_alu instid0(VALU_DEP_1) | instskip(NEXT) | instid1(VALU_DEP_2)
	v_pk_fma_f32 v[114:115], v[110:111], v[74:75], v[114:115] op_sel_hi:[1,1,0] neg_lo:[0,0,1] neg_hi:[0,0,1]
	v_pk_fma_f32 v[110:111], v[110:111], v[74:75], v[116:117] op_sel:[1,0,0] op_sel_hi:[0,1,0]
	s_delay_alu instid0(VALU_DEP_1) | instskip(SKIP_1) | instid1(VALU_DEP_2)
	v_mov_b32_e32 v115, v111
	v_pk_mul_f32 v[110:111], v[112:113], v[102:103] op_sel:[0,1]
	v_pk_add_f32 v[10:11], v[10:11], v[114:115] neg_lo:[0,1] neg_hi:[0,1]
	s_delay_alu instid0(VALU_DEP_2) | instskip(SKIP_1) | instid1(VALU_DEP_1)
	v_pk_fma_f32 v[114:115], v[112:113], v[100:101], v[110:111] op_sel:[0,0,1] op_sel_hi:[1,1,0] neg_lo:[0,0,1] neg_hi:[0,0,1]
	v_pk_fma_f32 v[110:111], v[112:113], v[100:101], v[110:111] op_sel:[0,0,1] op_sel_hi:[1,0,0]
	v_mov_b32_e32 v115, v111
	ds_load_2addr_b64 v[110:113], v104 offset0:40 offset1:41
	v_pk_add_f32 v[6:7], v[6:7], v[114:115] neg_lo:[0,1] neg_hi:[0,1]
	s_wait_dscnt 0x0
	v_pk_mul_f32 v[114:115], v[110:111], v[102:103] op_sel:[0,1]
	s_delay_alu instid0(VALU_DEP_1) | instskip(SKIP_1) | instid1(VALU_DEP_1)
	v_pk_fma_f32 v[116:117], v[110:111], v[100:101], v[114:115] op_sel:[0,0,1] op_sel_hi:[1,1,0] neg_lo:[0,0,1] neg_hi:[0,0,1]
	v_pk_fma_f32 v[110:111], v[110:111], v[100:101], v[114:115] op_sel:[0,0,1] op_sel_hi:[1,0,0]
	v_mov_b32_e32 v117, v111
	v_pk_mul_f32 v[110:111], v[112:113], v[102:103] op_sel:[0,1]
	s_delay_alu instid0(VALU_DEP_2) | instskip(NEXT) | instid1(VALU_DEP_2)
	v_pk_add_f32 v[52:53], v[52:53], v[116:117] neg_lo:[0,1] neg_hi:[0,1]
	v_pk_fma_f32 v[114:115], v[112:113], v[100:101], v[110:111] op_sel:[0,0,1] op_sel_hi:[1,1,0] neg_lo:[0,0,1] neg_hi:[0,0,1]
	v_pk_fma_f32 v[110:111], v[112:113], v[100:101], v[110:111] op_sel:[0,0,1] op_sel_hi:[1,0,0]
	s_delay_alu instid0(VALU_DEP_1) | instskip(SKIP_4) | instid1(VALU_DEP_1)
	v_mov_b32_e32 v115, v111
	ds_load_2addr_b64 v[110:113], v104 offset0:42 offset1:43
	v_pk_add_f32 v[50:51], v[50:51], v[114:115] neg_lo:[0,1] neg_hi:[0,1]
	s_wait_dscnt 0x0
	v_pk_mul_f32 v[114:115], v[110:111], v[102:103] op_sel:[0,1]
	v_pk_fma_f32 v[116:117], v[110:111], v[100:101], v[114:115] op_sel:[0,0,1] op_sel_hi:[1,1,0] neg_lo:[0,0,1] neg_hi:[0,0,1]
	v_pk_fma_f32 v[110:111], v[110:111], v[100:101], v[114:115] op_sel:[0,0,1] op_sel_hi:[1,0,0]
	v_dual_mul_f32 v114, v113, v103 :: v_dual_mov_b32 v110, v113
	s_delay_alu instid0(VALU_DEP_2) | instskip(NEXT) | instid1(VALU_DEP_2)
	v_dual_mov_b32 v117, v111 :: v_dual_mov_b32 v111, v112
	v_pk_fma_f32 v[114:115], v[112:113], v[74:75], v[114:115] op_sel_hi:[1,1,0] neg_lo:[0,0,1] neg_hi:[0,0,1]
	v_mul_f32_e32 v112, v113, v100
	s_delay_alu instid0(VALU_DEP_3) | instskip(NEXT) | instid1(VALU_DEP_2)
	v_pk_add_f32 v[8:9], v[8:9], v[116:117] neg_lo:[0,1] neg_hi:[0,1]
	v_pk_fma_f32 v[110:111], v[110:111], v[74:75], v[112:113] op_sel_hi:[1,1,0]
	s_delay_alu instid0(VALU_DEP_1) | instskip(SKIP_4) | instid1(VALU_DEP_1)
	v_mov_b32_e32 v115, v111
	ds_load_2addr_b64 v[110:113], v104 offset0:44 offset1:45
	v_pk_add_f32 v[40:41], v[40:41], v[114:115] neg_lo:[0,1] neg_hi:[0,1]
	s_wait_dscnt 0x0
	v_pk_mul_f32 v[114:115], v[110:111], v[102:103] op_sel:[0,1]
	v_pk_fma_f32 v[116:117], v[110:111], v[100:101], v[114:115] op_sel:[0,0,1] op_sel_hi:[1,1,0] neg_lo:[0,0,1] neg_hi:[0,0,1]
	v_pk_fma_f32 v[110:111], v[110:111], v[100:101], v[114:115] op_sel:[0,0,1] op_sel_hi:[1,0,0]
	s_delay_alu instid0(VALU_DEP_1) | instskip(SKIP_1) | instid1(VALU_DEP_1)
	v_mov_b32_e32 v117, v111
	v_pk_mul_f32 v[110:111], v[112:113], v[102:103] op_sel:[0,1]
	v_pk_fma_f32 v[114:115], v[112:113], v[100:101], v[110:111] op_sel:[0,0,1] op_sel_hi:[1,1,0] neg_lo:[0,0,1] neg_hi:[0,0,1]
	v_pk_fma_f32 v[110:111], v[112:113], v[100:101], v[110:111] op_sel:[0,0,1] op_sel_hi:[1,0,0]
	s_delay_alu instid0(VALU_DEP_1)
	v_mov_b32_e32 v115, v111
	ds_load_b64 v[110:111], v104 offset:368
	v_pk_add_f32 v[30:31], v[30:31], v[116:117] neg_lo:[0,1] neg_hi:[0,1]
	v_pk_add_f32 v[12:13], v[12:13], v[114:115] neg_lo:[0,1] neg_hi:[0,1]
	s_wait_dscnt 0x0
	v_pk_mul_f32 v[102:103], v[110:111], v[102:103] op_sel:[0,1]
	s_delay_alu instid0(VALU_DEP_1) | instskip(SKIP_1) | instid1(VALU_DEP_1)
	v_pk_fma_f32 v[112:113], v[110:111], v[100:101], v[102:103] op_sel:[0,0,1] op_sel_hi:[1,1,0] neg_lo:[0,0,1] neg_hi:[0,0,1]
	v_pk_fma_f32 v[100:101], v[110:111], v[100:101], v[102:103] op_sel:[0,0,1] op_sel_hi:[1,0,0]
	v_mov_b32_e32 v113, v101
	s_delay_alu instid0(VALU_DEP_1)
	v_pk_add_f32 v[98:99], v[98:99], v[112:113] neg_lo:[0,1] neg_hi:[0,1]
.LBB92_209:
	s_or_b32 exec_lo, exec_lo, s0
	v_lshl_add_u32 v100, v108, 3, v104
	s_barrier_signal -1
	s_barrier_wait -1
	ds_store_b64 v100, v[34:35]
	s_wait_dscnt 0x0
	s_barrier_signal -1
	s_barrier_wait -1
	ds_load_b64 v[102:103], v104 offset:80
	v_mov_b32_e32 v100, 10
	s_cmp_lt_i32 s18, 12
	s_cbranch_scc1 .LBB92_212
; %bb.210:
	v_add3_u32 v101, v105, 0, 0x58
	v_mov_b32_e32 v100, 10
	s_mov_b32 s0, 11
.LBB92_211:                             ; =>This Inner Loop Header: Depth=1
	ds_load_b64 v[110:111], v101
	s_wait_dscnt 0x1
	v_cmp_gt_f32_e32 vcc_lo, 0, v102
	v_cndmask_b32_e64 v112, v102, -v102, vcc_lo
	v_cmp_gt_f32_e32 vcc_lo, 0, v103
	v_cndmask_b32_e64 v114, v103, -v103, vcc_lo
	s_wait_dscnt 0x0
	v_cmp_gt_f32_e32 vcc_lo, 0, v110
	v_cndmask_b32_e64 v113, v110, -v110, vcc_lo
	v_cmp_gt_f32_e32 vcc_lo, 0, v111
	v_cndmask_b32_e64 v115, v111, -v111, vcc_lo
	s_delay_alu instid0(VALU_DEP_1) | instskip(NEXT) | instid1(VALU_DEP_1)
	v_pk_add_f32 v[112:113], v[112:113], v[114:115]
	v_cmp_lt_f32_e32 vcc_lo, v112, v113
	v_dual_add_nc_u32 v101, 8, v101 :: v_dual_cndmask_b32 v103, v103, v111, vcc_lo
	v_cndmask_b32_e32 v102, v102, v110, vcc_lo
	v_cndmask_b32_e64 v100, v100, s0, vcc_lo
	s_add_co_i32 s0, s0, 1
	s_delay_alu instid0(SALU_CYCLE_1)
	s_cmp_lg_u32 s18, s0
	s_cbranch_scc1 .LBB92_211
.LBB92_212:
	s_wait_dscnt 0x0
	v_cmp_eq_f32_e32 vcc_lo, 0, v102
	v_cmp_eq_f32_e64 s0, 0, v103
	s_and_b32 s0, vcc_lo, s0
	s_delay_alu instid0(SALU_CYCLE_1) | instskip(NEXT) | instid1(SALU_CYCLE_1)
	s_and_saveexec_b32 s1, s0
	s_xor_b32 s0, exec_lo, s1
; %bb.213:
	v_cmp_ne_u32_e32 vcc_lo, 0, v106
	v_cndmask_b32_e32 v106, 11, v106, vcc_lo
; %bb.214:
	s_and_not1_saveexec_b32 s0, s0
	s_cbranch_execz .LBB92_220
; %bb.215:
	v_cmp_ngt_f32_e64 s1, |v102|, |v103|
	s_and_saveexec_b32 s12, s1
	s_delay_alu instid0(SALU_CYCLE_1)
	s_xor_b32 s1, exec_lo, s12
	s_cbranch_execz .LBB92_217
; %bb.216:
	v_div_scale_f32 v101, null, v103, v103, v102
	v_div_scale_f32 v111, vcc_lo, v102, v103, v102
	s_delay_alu instid0(VALU_DEP_2) | instskip(SKIP_1) | instid1(TRANS32_DEP_1)
	v_rcp_f32_e32 v109, v101
	v_nop
	v_fma_f32 v110, -v101, v109, 1.0
	s_delay_alu instid0(VALU_DEP_1) | instskip(NEXT) | instid1(VALU_DEP_1)
	v_fmac_f32_e32 v109, v110, v109
	v_mul_f32_e32 v110, v111, v109
	s_delay_alu instid0(VALU_DEP_1) | instskip(NEXT) | instid1(VALU_DEP_1)
	v_fma_f32 v112, -v101, v110, v111
	v_fmac_f32_e32 v110, v112, v109
	s_delay_alu instid0(VALU_DEP_1) | instskip(NEXT) | instid1(VALU_DEP_1)
	v_fma_f32 v101, -v101, v110, v111
	v_div_fmas_f32 v101, v101, v109, v110
	s_delay_alu instid0(VALU_DEP_1) | instskip(NEXT) | instid1(VALU_DEP_1)
	v_div_fixup_f32 v101, v101, v103, v102
	v_fmac_f32_e32 v103, v102, v101
	s_delay_alu instid0(VALU_DEP_1) | instskip(SKIP_1) | instid1(VALU_DEP_2)
	v_div_scale_f32 v102, null, v103, v103, 1.0
	v_div_scale_f32 v111, vcc_lo, 1.0, v103, 1.0
	v_rcp_f32_e32 v109, v102
	v_nop
	s_delay_alu instid0(TRANS32_DEP_1) | instskip(NEXT) | instid1(VALU_DEP_1)
	v_fma_f32 v110, -v102, v109, 1.0
	v_fmac_f32_e32 v109, v110, v109
	s_delay_alu instid0(VALU_DEP_1) | instskip(NEXT) | instid1(VALU_DEP_1)
	v_mul_f32_e32 v110, v111, v109
	v_fma_f32 v112, -v102, v110, v111
	s_delay_alu instid0(VALU_DEP_1) | instskip(NEXT) | instid1(VALU_DEP_1)
	v_fmac_f32_e32 v110, v112, v109
	v_fma_f32 v102, -v102, v110, v111
	s_delay_alu instid0(VALU_DEP_1) | instskip(NEXT) | instid1(VALU_DEP_1)
	v_div_fmas_f32 v102, v102, v109, v110
	v_div_fixup_f32 v103, v102, v103, 1.0
	s_delay_alu instid0(VALU_DEP_1)
	v_mul_f32_e32 v102, v101, v103
	v_xor_b32_e32 v103, 0x80000000, v103
.LBB92_217:
	s_and_not1_saveexec_b32 s1, s1
	s_cbranch_execz .LBB92_219
; %bb.218:
	s_delay_alu instid0(VALU_DEP_1) | instskip(SKIP_1) | instid1(VALU_DEP_2)
	v_div_scale_f32 v101, null, v102, v102, v103
	v_div_scale_f32 v111, vcc_lo, v103, v102, v103
	v_rcp_f32_e32 v109, v101
	v_nop
	s_delay_alu instid0(TRANS32_DEP_1) | instskip(NEXT) | instid1(VALU_DEP_1)
	v_fma_f32 v110, -v101, v109, 1.0
	v_fmac_f32_e32 v109, v110, v109
	s_delay_alu instid0(VALU_DEP_1) | instskip(NEXT) | instid1(VALU_DEP_1)
	v_mul_f32_e32 v110, v111, v109
	v_fma_f32 v112, -v101, v110, v111
	s_delay_alu instid0(VALU_DEP_1) | instskip(NEXT) | instid1(VALU_DEP_1)
	v_fmac_f32_e32 v110, v112, v109
	v_fma_f32 v101, -v101, v110, v111
	s_delay_alu instid0(VALU_DEP_1) | instskip(NEXT) | instid1(VALU_DEP_1)
	v_div_fmas_f32 v101, v101, v109, v110
	v_div_fixup_f32 v101, v101, v102, v103
	s_delay_alu instid0(VALU_DEP_1) | instskip(NEXT) | instid1(VALU_DEP_1)
	v_fmac_f32_e32 v102, v103, v101
	v_div_scale_f32 v103, null, v102, v102, 1.0
	s_delay_alu instid0(VALU_DEP_1) | instskip(SKIP_1) | instid1(TRANS32_DEP_1)
	v_rcp_f32_e32 v109, v103
	v_nop
	v_fma_f32 v110, -v103, v109, 1.0
	s_delay_alu instid0(VALU_DEP_1) | instskip(SKIP_1) | instid1(VALU_DEP_1)
	v_fmac_f32_e32 v109, v110, v109
	v_div_scale_f32 v110, vcc_lo, 1.0, v102, 1.0
	v_mul_f32_e32 v111, v110, v109
	s_delay_alu instid0(VALU_DEP_1) | instskip(NEXT) | instid1(VALU_DEP_1)
	v_fma_f32 v112, -v103, v111, v110
	v_fmac_f32_e32 v111, v112, v109
	s_delay_alu instid0(VALU_DEP_1) | instskip(NEXT) | instid1(VALU_DEP_1)
	v_fma_f32 v103, -v103, v111, v110
	v_div_fmas_f32 v103, v103, v109, v111
	s_delay_alu instid0(VALU_DEP_1) | instskip(NEXT) | instid1(VALU_DEP_1)
	v_div_fixup_f32 v102, v103, v102, 1.0
	v_mul_f32_e64 v103, v101, -v102
.LBB92_219:
	s_or_b32 exec_lo, exec_lo, s1
.LBB92_220:
	s_delay_alu instid0(SALU_CYCLE_1) | instskip(NEXT) | instid1(SALU_CYCLE_1)
	s_or_b32 exec_lo, exec_lo, s0
	s_mov_b32 s0, exec_lo
	v_cmpx_ne_u32_e64 v108, v100
	s_xor_b32 s0, exec_lo, s0
	s_cbranch_execz .LBB92_226
; %bb.221:
	s_mov_b32 s1, exec_lo
	v_cmpx_eq_u32_e32 10, v108
	s_cbranch_execz .LBB92_225
; %bb.222:
	v_cmp_ne_u32_e32 vcc_lo, 10, v100
	s_xor_b32 s12, s16, -1
	s_delay_alu instid0(SALU_CYCLE_1) | instskip(NEXT) | instid1(SALU_CYCLE_1)
	s_and_b32 s13, s12, vcc_lo
	s_and_saveexec_b32 s12, s13
	s_cbranch_execz .LBB92_224
; %bb.223:
	v_ashrrev_i32_e32 v101, 31, v100
	s_delay_alu instid0(VALU_DEP_1)
	v_lshl_add_u64 v[108:109], v[100:101], 2, v[4:5]
	s_clause 0x1
	global_load_b32 v101, v[108:109], off
	global_load_b32 v107, v[4:5], off offset:40
	s_wait_loadcnt 0x1
	global_store_b32 v[4:5], v101, off offset:40
	s_wait_loadcnt 0x0
	global_store_b32 v[108:109], v107, off
.LBB92_224:
	s_wait_xcnt 0x0
	s_or_b32 exec_lo, exec_lo, s12
	v_dual_mov_b32 v108, v100 :: v_dual_mov_b32 v107, v100
.LBB92_225:
	s_or_b32 exec_lo, exec_lo, s1
.LBB92_226:
	s_and_not1_saveexec_b32 s0, s0
	s_cbranch_execz .LBB92_228
; %bb.227:
	v_mov_b32_e32 v108, 10
	ds_store_2addr_b64 v104, v[32:33], v[88:89] offset0:11 offset1:12
	ds_store_2addr_b64 v104, v[86:87], v[48:49] offset0:13 offset1:14
	;; [unrolled: 1-line block ×18, first 2 shown]
.LBB92_228:
	s_or_b32 exec_lo, exec_lo, s0
	s_delay_alu instid0(SALU_CYCLE_1)
	s_mov_b32 s0, exec_lo
	s_wait_storecnt_dscnt 0x0
	s_barrier_signal -1
	s_barrier_wait -1
	v_cmpx_lt_i32_e32 10, v108
	s_cbranch_execz .LBB92_230
; %bb.229:
	v_pk_mul_f32 v[110:111], v[102:103], v[34:35] op_sel:[1,1] op_sel_hi:[0,1]
	s_delay_alu instid0(VALU_DEP_1)
	v_pk_fma_f32 v[100:101], v[102:103], v[34:35], v[110:111] op_sel_hi:[1,0,1] neg_lo:[0,0,1] neg_hi:[0,0,1]
	v_pk_fma_f32 v[102:103], v[102:103], v[34:35], v[110:111] op_sel_hi:[1,0,1]
	ds_load_2addr_b64 v[110:113], v104 offset0:11 offset1:12
	v_dual_mov_b32 v34, v100 :: v_dual_mov_b32 v35, v103
	s_wait_dscnt 0x0
	v_pk_mul_f32 v[114:115], v[110:111], v[102:103] op_sel:[0,1]
	s_delay_alu instid0(VALU_DEP_1) | instskip(SKIP_1) | instid1(VALU_DEP_1)
	v_pk_fma_f32 v[116:117], v[110:111], v[100:101], v[114:115] op_sel:[0,0,1] op_sel_hi:[1,1,0] neg_lo:[0,0,1] neg_hi:[0,0,1]
	v_pk_fma_f32 v[110:111], v[110:111], v[100:101], v[114:115] op_sel:[0,0,1] op_sel_hi:[1,0,0]
	v_mov_b32_e32 v117, v111
	v_pk_mul_f32 v[110:111], v[112:113], v[102:103] op_sel:[0,1]
	s_delay_alu instid0(VALU_DEP_1) | instskip(SKIP_1) | instid1(VALU_DEP_1)
	v_pk_fma_f32 v[114:115], v[112:113], v[100:101], v[110:111] op_sel:[0,0,1] op_sel_hi:[1,1,0] neg_lo:[0,0,1] neg_hi:[0,0,1]
	v_pk_fma_f32 v[110:111], v[112:113], v[100:101], v[110:111] op_sel:[0,0,1] op_sel_hi:[1,0,0]
	v_mov_b32_e32 v115, v111
	ds_load_2addr_b64 v[110:113], v104 offset0:13 offset1:14
	v_pk_add_f32 v[32:33], v[32:33], v[116:117] neg_lo:[0,1] neg_hi:[0,1]
	v_pk_add_f32 v[88:89], v[88:89], v[114:115] neg_lo:[0,1] neg_hi:[0,1]
	s_wait_dscnt 0x0
	v_pk_mul_f32 v[114:115], v[110:111], v[102:103] op_sel:[0,1]
	s_delay_alu instid0(VALU_DEP_1) | instskip(SKIP_2) | instid1(VALU_DEP_2)
	v_pk_fma_f32 v[116:117], v[110:111], v[100:101], v[114:115] op_sel:[0,0,1] op_sel_hi:[1,1,0] neg_lo:[0,0,1] neg_hi:[0,0,1]
	v_pk_fma_f32 v[110:111], v[110:111], v[100:101], v[114:115] op_sel:[0,0,1] op_sel_hi:[1,0,0]
	v_dual_mul_f32 v114, v113, v103 :: v_dual_mov_b32 v110, v113
	v_dual_mov_b32 v117, v111 :: v_dual_mov_b32 v111, v112
	s_delay_alu instid0(VALU_DEP_2) | instskip(SKIP_1) | instid1(VALU_DEP_3)
	v_pk_fma_f32 v[114:115], v[112:113], v[34:35], v[114:115] op_sel_hi:[1,1,0] neg_lo:[0,0,1] neg_hi:[0,0,1]
	v_mul_f32_e32 v112, v113, v100
	v_pk_add_f32 v[86:87], v[86:87], v[116:117] neg_lo:[0,1] neg_hi:[0,1]
	s_delay_alu instid0(VALU_DEP_2) | instskip(NEXT) | instid1(VALU_DEP_1)
	v_pk_fma_f32 v[110:111], v[110:111], v[34:35], v[112:113] op_sel_hi:[1,1,0]
	v_mov_b32_e32 v115, v111
	ds_load_2addr_b64 v[110:113], v104 offset0:15 offset1:16
	v_pk_add_f32 v[48:49], v[48:49], v[114:115] neg_lo:[0,1] neg_hi:[0,1]
	s_wait_dscnt 0x0
	v_pk_mul_f32 v[114:115], v[110:111], v[102:103] op_sel:[0,1]
	s_delay_alu instid0(VALU_DEP_1) | instskip(SKIP_1) | instid1(VALU_DEP_1)
	v_pk_fma_f32 v[116:117], v[110:111], v[100:101], v[114:115] op_sel:[0,0,1] op_sel_hi:[1,1,0] neg_lo:[0,0,1] neg_hi:[0,0,1]
	v_pk_fma_f32 v[110:111], v[110:111], v[100:101], v[114:115] op_sel:[0,0,1] op_sel_hi:[1,0,0]
	v_mov_b32_e32 v117, v111
	v_pk_mul_f32 v[110:111], v[112:113], v[102:103] op_sel:[0,1]
	s_delay_alu instid0(VALU_DEP_1) | instskip(SKIP_1) | instid1(VALU_DEP_1)
	v_pk_fma_f32 v[114:115], v[112:113], v[100:101], v[110:111] op_sel:[0,0,1] op_sel_hi:[1,1,0] neg_lo:[0,0,1] neg_hi:[0,0,1]
	v_pk_fma_f32 v[110:111], v[112:113], v[100:101], v[110:111] op_sel:[0,0,1] op_sel_hi:[1,0,0]
	v_mov_b32_e32 v115, v111
	ds_load_2addr_b64 v[110:113], v104 offset0:17 offset1:18
	v_pk_add_f32 v[46:47], v[46:47], v[116:117] neg_lo:[0,1] neg_hi:[0,1]
	v_pk_add_f32 v[84:85], v[84:85], v[114:115] neg_lo:[0,1] neg_hi:[0,1]
	s_wait_dscnt 0x0
	v_pk_mul_f32 v[114:115], v[110:111], v[102:103] op_sel:[0,1]
	s_delay_alu instid0(VALU_DEP_1) | instskip(SKIP_1) | instid1(VALU_DEP_1)
	v_pk_fma_f32 v[116:117], v[110:111], v[100:101], v[114:115] op_sel:[0,0,1] op_sel_hi:[1,1,0] neg_lo:[0,0,1] neg_hi:[0,0,1]
	v_pk_fma_f32 v[110:111], v[110:111], v[100:101], v[114:115] op_sel:[0,0,1] op_sel_hi:[1,0,0]
	v_mov_b32_e32 v117, v111
	v_pk_mul_f32 v[110:111], v[112:113], v[102:103] op_sel:[0,1]
	s_delay_alu instid0(VALU_DEP_1) | instskip(SKIP_1) | instid1(VALU_DEP_1)
	v_pk_fma_f32 v[114:115], v[112:113], v[100:101], v[110:111] op_sel:[0,0,1] op_sel_hi:[1,1,0] neg_lo:[0,0,1] neg_hi:[0,0,1]
	v_pk_fma_f32 v[110:111], v[112:113], v[100:101], v[110:111] op_sel:[0,0,1] op_sel_hi:[1,0,0]
	v_mov_b32_e32 v115, v111
	ds_load_2addr_b64 v[110:113], v104 offset0:19 offset1:20
	v_pk_add_f32 v[82:83], v[82:83], v[116:117] neg_lo:[0,1] neg_hi:[0,1]
	v_pk_add_f32 v[44:45], v[44:45], v[114:115] neg_lo:[0,1] neg_hi:[0,1]
	s_wait_dscnt 0x0
	v_dual_mul_f32 v114, v111, v103 :: v_dual_mul_f32 v116, v111, v100
	s_delay_alu instid0(VALU_DEP_1) | instskip(NEXT) | instid1(VALU_DEP_2)
	v_pk_fma_f32 v[114:115], v[110:111], v[34:35], v[114:115] op_sel_hi:[1,1,0] neg_lo:[0,0,1] neg_hi:[0,0,1]
	v_pk_fma_f32 v[110:111], v[110:111], v[34:35], v[116:117] op_sel:[1,0,0] op_sel_hi:[0,1,0]
	s_delay_alu instid0(VALU_DEP_1) | instskip(SKIP_1) | instid1(VALU_DEP_2)
	v_mov_b32_e32 v115, v111
	v_pk_mul_f32 v[110:111], v[112:113], v[102:103] op_sel:[0,1]
	v_pk_add_f32 v[42:43], v[42:43], v[114:115] neg_lo:[0,1] neg_hi:[0,1]
	s_delay_alu instid0(VALU_DEP_2) | instskip(SKIP_1) | instid1(VALU_DEP_1)
	v_pk_fma_f32 v[114:115], v[112:113], v[100:101], v[110:111] op_sel:[0,0,1] op_sel_hi:[1,1,0] neg_lo:[0,0,1] neg_hi:[0,0,1]
	v_pk_fma_f32 v[110:111], v[112:113], v[100:101], v[110:111] op_sel:[0,0,1] op_sel_hi:[1,0,0]
	v_mov_b32_e32 v115, v111
	ds_load_2addr_b64 v[110:113], v104 offset0:21 offset1:22
	v_pk_add_f32 v[80:81], v[80:81], v[114:115] neg_lo:[0,1] neg_hi:[0,1]
	s_wait_dscnt 0x0
	v_pk_mul_f32 v[114:115], v[110:111], v[102:103] op_sel:[0,1]
	s_delay_alu instid0(VALU_DEP_1) | instskip(SKIP_1) | instid1(VALU_DEP_1)
	v_pk_fma_f32 v[116:117], v[110:111], v[100:101], v[114:115] op_sel:[0,0,1] op_sel_hi:[1,1,0] neg_lo:[0,0,1] neg_hi:[0,0,1]
	v_pk_fma_f32 v[110:111], v[110:111], v[100:101], v[114:115] op_sel:[0,0,1] op_sel_hi:[1,0,0]
	v_mov_b32_e32 v117, v111
	v_pk_mul_f32 v[110:111], v[112:113], v[102:103] op_sel:[0,1]
	s_delay_alu instid0(VALU_DEP_2) | instskip(NEXT) | instid1(VALU_DEP_2)
	v_pk_add_f32 v[78:79], v[78:79], v[116:117] neg_lo:[0,1] neg_hi:[0,1]
	v_pk_fma_f32 v[114:115], v[112:113], v[100:101], v[110:111] op_sel:[0,0,1] op_sel_hi:[1,1,0] neg_lo:[0,0,1] neg_hi:[0,0,1]
	v_pk_fma_f32 v[110:111], v[112:113], v[100:101], v[110:111] op_sel:[0,0,1] op_sel_hi:[1,0,0]
	s_delay_alu instid0(VALU_DEP_1) | instskip(SKIP_4) | instid1(VALU_DEP_1)
	v_mov_b32_e32 v115, v111
	ds_load_2addr_b64 v[110:113], v104 offset0:23 offset1:24
	v_pk_add_f32 v[38:39], v[38:39], v[114:115] neg_lo:[0,1] neg_hi:[0,1]
	s_wait_dscnt 0x0
	v_pk_mul_f32 v[114:115], v[110:111], v[102:103] op_sel:[0,1]
	v_pk_fma_f32 v[116:117], v[110:111], v[100:101], v[114:115] op_sel:[0,0,1] op_sel_hi:[1,1,0] neg_lo:[0,0,1] neg_hi:[0,0,1]
	v_pk_fma_f32 v[110:111], v[110:111], v[100:101], v[114:115] op_sel:[0,0,1] op_sel_hi:[1,0,0]
	v_dual_mul_f32 v114, v113, v103 :: v_dual_mov_b32 v110, v113
	s_delay_alu instid0(VALU_DEP_2) | instskip(NEXT) | instid1(VALU_DEP_2)
	v_dual_mov_b32 v117, v111 :: v_dual_mov_b32 v111, v112
	v_pk_fma_f32 v[114:115], v[112:113], v[34:35], v[114:115] op_sel_hi:[1,1,0] neg_lo:[0,0,1] neg_hi:[0,0,1]
	v_mul_f32_e32 v112, v113, v100
	s_delay_alu instid0(VALU_DEP_3) | instskip(NEXT) | instid1(VALU_DEP_2)
	v_pk_add_f32 v[36:37], v[36:37], v[116:117] neg_lo:[0,1] neg_hi:[0,1]
	v_pk_fma_f32 v[110:111], v[110:111], v[34:35], v[112:113] op_sel_hi:[1,1,0]
	s_delay_alu instid0(VALU_DEP_1) | instskip(SKIP_4) | instid1(VALU_DEP_1)
	v_mov_b32_e32 v115, v111
	ds_load_2addr_b64 v[110:113], v104 offset0:25 offset1:26
	v_pk_add_f32 v[70:71], v[70:71], v[114:115] neg_lo:[0,1] neg_hi:[0,1]
	s_wait_dscnt 0x0
	v_pk_mul_f32 v[114:115], v[110:111], v[102:103] op_sel:[0,1]
	v_pk_fma_f32 v[116:117], v[110:111], v[100:101], v[114:115] op_sel:[0,0,1] op_sel_hi:[1,1,0] neg_lo:[0,0,1] neg_hi:[0,0,1]
	v_pk_fma_f32 v[110:111], v[110:111], v[100:101], v[114:115] op_sel:[0,0,1] op_sel_hi:[1,0,0]
	s_delay_alu instid0(VALU_DEP_1) | instskip(SKIP_1) | instid1(VALU_DEP_1)
	v_mov_b32_e32 v117, v111
	v_pk_mul_f32 v[110:111], v[112:113], v[102:103] op_sel:[0,1]
	v_pk_fma_f32 v[114:115], v[112:113], v[100:101], v[110:111] op_sel:[0,0,1] op_sel_hi:[1,1,0] neg_lo:[0,0,1] neg_hi:[0,0,1]
	v_pk_fma_f32 v[110:111], v[112:113], v[100:101], v[110:111] op_sel:[0,0,1] op_sel_hi:[1,0,0]
	s_delay_alu instid0(VALU_DEP_1)
	v_mov_b32_e32 v115, v111
	ds_load_2addr_b64 v[110:113], v104 offset0:27 offset1:28
	v_pk_add_f32 v[66:67], v[66:67], v[116:117] neg_lo:[0,1] neg_hi:[0,1]
	v_pk_add_f32 v[26:27], v[26:27], v[114:115] neg_lo:[0,1] neg_hi:[0,1]
	s_wait_dscnt 0x0
	v_pk_mul_f32 v[114:115], v[110:111], v[102:103] op_sel:[0,1]
	s_delay_alu instid0(VALU_DEP_1) | instskip(SKIP_1) | instid1(VALU_DEP_1)
	v_pk_fma_f32 v[116:117], v[110:111], v[100:101], v[114:115] op_sel:[0,0,1] op_sel_hi:[1,1,0] neg_lo:[0,0,1] neg_hi:[0,0,1]
	v_pk_fma_f32 v[110:111], v[110:111], v[100:101], v[114:115] op_sel:[0,0,1] op_sel_hi:[1,0,0]
	v_mov_b32_e32 v117, v111
	v_pk_mul_f32 v[110:111], v[112:113], v[102:103] op_sel:[0,1]
	s_delay_alu instid0(VALU_DEP_1) | instskip(SKIP_1) | instid1(VALU_DEP_1)
	v_pk_fma_f32 v[114:115], v[112:113], v[100:101], v[110:111] op_sel:[0,0,1] op_sel_hi:[1,1,0] neg_lo:[0,0,1] neg_hi:[0,0,1]
	v_pk_fma_f32 v[110:111], v[112:113], v[100:101], v[110:111] op_sel:[0,0,1] op_sel_hi:[1,0,0]
	v_mov_b32_e32 v115, v111
	ds_load_2addr_b64 v[110:113], v104 offset0:29 offset1:30
	v_pk_add_f32 v[22:23], v[22:23], v[116:117] neg_lo:[0,1] neg_hi:[0,1]
	v_pk_add_f32 v[64:65], v[64:65], v[114:115] neg_lo:[0,1] neg_hi:[0,1]
	s_wait_dscnt 0x0
	v_dual_mul_f32 v114, v111, v103 :: v_dual_mul_f32 v116, v111, v100
	s_delay_alu instid0(VALU_DEP_1) | instskip(NEXT) | instid1(VALU_DEP_2)
	v_pk_fma_f32 v[114:115], v[110:111], v[34:35], v[114:115] op_sel_hi:[1,1,0] neg_lo:[0,0,1] neg_hi:[0,0,1]
	v_pk_fma_f32 v[110:111], v[110:111], v[34:35], v[116:117] op_sel:[1,0,0] op_sel_hi:[0,1,0]
	s_delay_alu instid0(VALU_DEP_1) | instskip(SKIP_1) | instid1(VALU_DEP_2)
	v_mov_b32_e32 v115, v111
	v_pk_mul_f32 v[110:111], v[112:113], v[102:103] op_sel:[0,1]
	v_pk_add_f32 v[62:63], v[62:63], v[114:115] neg_lo:[0,1] neg_hi:[0,1]
	s_delay_alu instid0(VALU_DEP_2) | instskip(SKIP_1) | instid1(VALU_DEP_1)
	v_pk_fma_f32 v[114:115], v[112:113], v[100:101], v[110:111] op_sel:[0,0,1] op_sel_hi:[1,1,0] neg_lo:[0,0,1] neg_hi:[0,0,1]
	v_pk_fma_f32 v[110:111], v[112:113], v[100:101], v[110:111] op_sel:[0,0,1] op_sel_hi:[1,0,0]
	v_mov_b32_e32 v115, v111
	ds_load_2addr_b64 v[110:113], v104 offset0:31 offset1:32
	v_pk_add_f32 v[20:21], v[20:21], v[114:115] neg_lo:[0,1] neg_hi:[0,1]
	s_wait_dscnt 0x0
	v_pk_mul_f32 v[114:115], v[110:111], v[102:103] op_sel:[0,1]
	s_delay_alu instid0(VALU_DEP_1) | instskip(SKIP_1) | instid1(VALU_DEP_1)
	v_pk_fma_f32 v[116:117], v[110:111], v[100:101], v[114:115] op_sel:[0,0,1] op_sel_hi:[1,1,0] neg_lo:[0,0,1] neg_hi:[0,0,1]
	v_pk_fma_f32 v[110:111], v[110:111], v[100:101], v[114:115] op_sel:[0,0,1] op_sel_hi:[1,0,0]
	v_mov_b32_e32 v117, v111
	v_pk_mul_f32 v[110:111], v[112:113], v[102:103] op_sel:[0,1]
	s_delay_alu instid0(VALU_DEP_2) | instskip(NEXT) | instid1(VALU_DEP_2)
	v_pk_add_f32 v[18:19], v[18:19], v[116:117] neg_lo:[0,1] neg_hi:[0,1]
	v_pk_fma_f32 v[114:115], v[112:113], v[100:101], v[110:111] op_sel:[0,0,1] op_sel_hi:[1,1,0] neg_lo:[0,0,1] neg_hi:[0,0,1]
	v_pk_fma_f32 v[110:111], v[112:113], v[100:101], v[110:111] op_sel:[0,0,1] op_sel_hi:[1,0,0]
	s_delay_alu instid0(VALU_DEP_1) | instskip(SKIP_4) | instid1(VALU_DEP_1)
	v_mov_b32_e32 v115, v111
	ds_load_2addr_b64 v[110:113], v104 offset0:33 offset1:34
	v_pk_add_f32 v[60:61], v[60:61], v[114:115] neg_lo:[0,1] neg_hi:[0,1]
	s_wait_dscnt 0x0
	v_pk_mul_f32 v[114:115], v[110:111], v[102:103] op_sel:[0,1]
	v_pk_fma_f32 v[116:117], v[110:111], v[100:101], v[114:115] op_sel:[0,0,1] op_sel_hi:[1,1,0] neg_lo:[0,0,1] neg_hi:[0,0,1]
	v_pk_fma_f32 v[110:111], v[110:111], v[100:101], v[114:115] op_sel:[0,0,1] op_sel_hi:[1,0,0]
	v_dual_mul_f32 v114, v113, v103 :: v_dual_mov_b32 v110, v113
	s_delay_alu instid0(VALU_DEP_2) | instskip(NEXT) | instid1(VALU_DEP_2)
	v_dual_mov_b32 v117, v111 :: v_dual_mov_b32 v111, v112
	v_pk_fma_f32 v[114:115], v[112:113], v[34:35], v[114:115] op_sel_hi:[1,1,0] neg_lo:[0,0,1] neg_hi:[0,0,1]
	v_mul_f32_e32 v112, v113, v100
	s_delay_alu instid0(VALU_DEP_3) | instskip(NEXT) | instid1(VALU_DEP_2)
	v_pk_add_f32 v[58:59], v[58:59], v[116:117] neg_lo:[0,1] neg_hi:[0,1]
	v_pk_fma_f32 v[110:111], v[110:111], v[34:35], v[112:113] op_sel_hi:[1,1,0]
	s_delay_alu instid0(VALU_DEP_1) | instskip(SKIP_4) | instid1(VALU_DEP_1)
	v_mov_b32_e32 v115, v111
	ds_load_2addr_b64 v[110:113], v104 offset0:35 offset1:36
	v_pk_add_f32 v[16:17], v[16:17], v[114:115] neg_lo:[0,1] neg_hi:[0,1]
	s_wait_dscnt 0x0
	v_pk_mul_f32 v[114:115], v[110:111], v[102:103] op_sel:[0,1]
	v_pk_fma_f32 v[116:117], v[110:111], v[100:101], v[114:115] op_sel:[0,0,1] op_sel_hi:[1,1,0] neg_lo:[0,0,1] neg_hi:[0,0,1]
	v_pk_fma_f32 v[110:111], v[110:111], v[100:101], v[114:115] op_sel:[0,0,1] op_sel_hi:[1,0,0]
	s_delay_alu instid0(VALU_DEP_1) | instskip(SKIP_1) | instid1(VALU_DEP_1)
	v_mov_b32_e32 v117, v111
	v_pk_mul_f32 v[110:111], v[112:113], v[102:103] op_sel:[0,1]
	v_pk_fma_f32 v[114:115], v[112:113], v[100:101], v[110:111] op_sel:[0,0,1] op_sel_hi:[1,1,0] neg_lo:[0,0,1] neg_hi:[0,0,1]
	v_pk_fma_f32 v[110:111], v[112:113], v[100:101], v[110:111] op_sel:[0,0,1] op_sel_hi:[1,0,0]
	s_delay_alu instid0(VALU_DEP_1)
	v_mov_b32_e32 v115, v111
	ds_load_2addr_b64 v[110:113], v104 offset0:37 offset1:38
	v_pk_add_f32 v[14:15], v[14:15], v[116:117] neg_lo:[0,1] neg_hi:[0,1]
	v_pk_add_f32 v[56:57], v[56:57], v[114:115] neg_lo:[0,1] neg_hi:[0,1]
	s_wait_dscnt 0x0
	v_pk_mul_f32 v[114:115], v[110:111], v[102:103] op_sel:[0,1]
	s_delay_alu instid0(VALU_DEP_1) | instskip(SKIP_1) | instid1(VALU_DEP_1)
	v_pk_fma_f32 v[116:117], v[110:111], v[100:101], v[114:115] op_sel:[0,0,1] op_sel_hi:[1,1,0] neg_lo:[0,0,1] neg_hi:[0,0,1]
	v_pk_fma_f32 v[110:111], v[110:111], v[100:101], v[114:115] op_sel:[0,0,1] op_sel_hi:[1,0,0]
	v_mov_b32_e32 v117, v111
	v_pk_mul_f32 v[110:111], v[112:113], v[102:103] op_sel:[0,1]
	s_delay_alu instid0(VALU_DEP_1) | instskip(SKIP_1) | instid1(VALU_DEP_1)
	v_pk_fma_f32 v[114:115], v[112:113], v[100:101], v[110:111] op_sel:[0,0,1] op_sel_hi:[1,1,0] neg_lo:[0,0,1] neg_hi:[0,0,1]
	v_pk_fma_f32 v[110:111], v[112:113], v[100:101], v[110:111] op_sel:[0,0,1] op_sel_hi:[1,0,0]
	v_mov_b32_e32 v115, v111
	ds_load_2addr_b64 v[110:113], v104 offset0:39 offset1:40
	v_pk_add_f32 v[54:55], v[54:55], v[116:117] neg_lo:[0,1] neg_hi:[0,1]
	v_pk_add_f32 v[10:11], v[10:11], v[114:115] neg_lo:[0,1] neg_hi:[0,1]
	s_wait_dscnt 0x0
	v_dual_mul_f32 v114, v111, v103 :: v_dual_mul_f32 v116, v111, v100
	s_delay_alu instid0(VALU_DEP_1) | instskip(NEXT) | instid1(VALU_DEP_2)
	v_pk_fma_f32 v[114:115], v[110:111], v[34:35], v[114:115] op_sel_hi:[1,1,0] neg_lo:[0,0,1] neg_hi:[0,0,1]
	v_pk_fma_f32 v[110:111], v[110:111], v[34:35], v[116:117] op_sel:[1,0,0] op_sel_hi:[0,1,0]
	s_delay_alu instid0(VALU_DEP_1) | instskip(SKIP_1) | instid1(VALU_DEP_2)
	v_mov_b32_e32 v115, v111
	v_pk_mul_f32 v[110:111], v[112:113], v[102:103] op_sel:[0,1]
	v_pk_add_f32 v[6:7], v[6:7], v[114:115] neg_lo:[0,1] neg_hi:[0,1]
	s_delay_alu instid0(VALU_DEP_2) | instskip(SKIP_1) | instid1(VALU_DEP_1)
	v_pk_fma_f32 v[114:115], v[112:113], v[100:101], v[110:111] op_sel:[0,0,1] op_sel_hi:[1,1,0] neg_lo:[0,0,1] neg_hi:[0,0,1]
	v_pk_fma_f32 v[110:111], v[112:113], v[100:101], v[110:111] op_sel:[0,0,1] op_sel_hi:[1,0,0]
	v_mov_b32_e32 v115, v111
	ds_load_2addr_b64 v[110:113], v104 offset0:41 offset1:42
	v_pk_add_f32 v[52:53], v[52:53], v[114:115] neg_lo:[0,1] neg_hi:[0,1]
	s_wait_dscnt 0x0
	v_pk_mul_f32 v[114:115], v[110:111], v[102:103] op_sel:[0,1]
	s_delay_alu instid0(VALU_DEP_1) | instskip(SKIP_1) | instid1(VALU_DEP_1)
	v_pk_fma_f32 v[116:117], v[110:111], v[100:101], v[114:115] op_sel:[0,0,1] op_sel_hi:[1,1,0] neg_lo:[0,0,1] neg_hi:[0,0,1]
	v_pk_fma_f32 v[110:111], v[110:111], v[100:101], v[114:115] op_sel:[0,0,1] op_sel_hi:[1,0,0]
	v_mov_b32_e32 v117, v111
	v_pk_mul_f32 v[110:111], v[112:113], v[102:103] op_sel:[0,1]
	s_delay_alu instid0(VALU_DEP_2) | instskip(NEXT) | instid1(VALU_DEP_2)
	v_pk_add_f32 v[50:51], v[50:51], v[116:117] neg_lo:[0,1] neg_hi:[0,1]
	v_pk_fma_f32 v[114:115], v[112:113], v[100:101], v[110:111] op_sel:[0,0,1] op_sel_hi:[1,1,0] neg_lo:[0,0,1] neg_hi:[0,0,1]
	v_pk_fma_f32 v[110:111], v[112:113], v[100:101], v[110:111] op_sel:[0,0,1] op_sel_hi:[1,0,0]
	s_delay_alu instid0(VALU_DEP_1) | instskip(SKIP_4) | instid1(VALU_DEP_1)
	v_mov_b32_e32 v115, v111
	ds_load_2addr_b64 v[110:113], v104 offset0:43 offset1:44
	v_pk_add_f32 v[8:9], v[8:9], v[114:115] neg_lo:[0,1] neg_hi:[0,1]
	s_wait_dscnt 0x0
	v_pk_mul_f32 v[114:115], v[110:111], v[102:103] op_sel:[0,1]
	v_pk_fma_f32 v[116:117], v[110:111], v[100:101], v[114:115] op_sel:[0,0,1] op_sel_hi:[1,1,0] neg_lo:[0,0,1] neg_hi:[0,0,1]
	v_pk_fma_f32 v[110:111], v[110:111], v[100:101], v[114:115] op_sel:[0,0,1] op_sel_hi:[1,0,0]
	v_dual_mul_f32 v114, v113, v103 :: v_dual_mov_b32 v110, v113
	s_delay_alu instid0(VALU_DEP_2) | instskip(NEXT) | instid1(VALU_DEP_2)
	v_dual_mov_b32 v117, v111 :: v_dual_mov_b32 v111, v112
	v_pk_fma_f32 v[114:115], v[112:113], v[34:35], v[114:115] op_sel_hi:[1,1,0] neg_lo:[0,0,1] neg_hi:[0,0,1]
	v_mul_f32_e32 v112, v113, v100
	s_delay_alu instid0(VALU_DEP_3) | instskip(NEXT) | instid1(VALU_DEP_2)
	v_pk_add_f32 v[40:41], v[40:41], v[116:117] neg_lo:[0,1] neg_hi:[0,1]
	v_pk_fma_f32 v[110:111], v[110:111], v[34:35], v[112:113] op_sel_hi:[1,1,0]
	s_delay_alu instid0(VALU_DEP_1)
	v_mov_b32_e32 v115, v111
	ds_load_2addr_b64 v[110:113], v104 offset0:45 offset1:46
	v_pk_add_f32 v[30:31], v[30:31], v[114:115] neg_lo:[0,1] neg_hi:[0,1]
	s_wait_dscnt 0x0
	v_pk_mul_f32 v[114:115], v[110:111], v[102:103] op_sel:[0,1]
	v_mul_f32_e32 v102, v113, v103
	s_delay_alu instid0(VALU_DEP_2) | instskip(SKIP_2) | instid1(VALU_DEP_4)
	v_pk_fma_f32 v[116:117], v[110:111], v[100:101], v[114:115] op_sel:[0,0,1] op_sel_hi:[1,1,0] neg_lo:[0,0,1] neg_hi:[0,0,1]
	v_pk_fma_f32 v[110:111], v[110:111], v[100:101], v[114:115] op_sel:[0,0,1] op_sel_hi:[1,0,0]
	v_dual_mov_b32 v110, v113 :: v_dual_mul_f32 v100, v113, v100
	v_pk_fma_f32 v[102:103], v[112:113], v[34:35], v[102:103] op_sel_hi:[1,1,0] neg_lo:[0,0,1] neg_hi:[0,0,1]
	s_delay_alu instid0(VALU_DEP_3) | instskip(NEXT) | instid1(VALU_DEP_1)
	v_dual_mov_b32 v117, v111 :: v_dual_mov_b32 v111, v112
	v_pk_add_f32 v[12:13], v[12:13], v[116:117] neg_lo:[0,1] neg_hi:[0,1]
	s_delay_alu instid0(VALU_DEP_2) | instskip(NEXT) | instid1(VALU_DEP_1)
	v_pk_fma_f32 v[100:101], v[110:111], v[34:35], v[100:101] op_sel_hi:[1,1,0]
	v_mov_b32_e32 v103, v101
	s_delay_alu instid0(VALU_DEP_1)
	v_pk_add_f32 v[98:99], v[98:99], v[102:103] neg_lo:[0,1] neg_hi:[0,1]
.LBB92_230:
	s_or_b32 exec_lo, exec_lo, s0
	v_lshl_add_u32 v100, v108, 3, v104
	s_barrier_signal -1
	s_barrier_wait -1
	ds_store_b64 v100, v[32:33]
	s_wait_dscnt 0x0
	s_barrier_signal -1
	s_barrier_wait -1
	ds_load_b64 v[102:103], v104 offset:88
	v_mov_b32_e32 v100, 11
	s_cmp_lt_i32 s18, 13
	s_cbranch_scc1 .LBB92_233
; %bb.231:
	v_add3_u32 v101, v105, 0, 0x60
	v_mov_b32_e32 v100, 11
	s_mov_b32 s0, 12
.LBB92_232:                             ; =>This Inner Loop Header: Depth=1
	ds_load_b64 v[110:111], v101
	s_wait_dscnt 0x1
	v_cmp_gt_f32_e32 vcc_lo, 0, v102
	v_cndmask_b32_e64 v112, v102, -v102, vcc_lo
	v_cmp_gt_f32_e32 vcc_lo, 0, v103
	v_cndmask_b32_e64 v114, v103, -v103, vcc_lo
	s_wait_dscnt 0x0
	v_cmp_gt_f32_e32 vcc_lo, 0, v110
	v_cndmask_b32_e64 v113, v110, -v110, vcc_lo
	v_cmp_gt_f32_e32 vcc_lo, 0, v111
	v_cndmask_b32_e64 v115, v111, -v111, vcc_lo
	s_delay_alu instid0(VALU_DEP_1) | instskip(NEXT) | instid1(VALU_DEP_1)
	v_pk_add_f32 v[112:113], v[112:113], v[114:115]
	v_cmp_lt_f32_e32 vcc_lo, v112, v113
	v_dual_add_nc_u32 v101, 8, v101 :: v_dual_cndmask_b32 v103, v103, v111, vcc_lo
	v_cndmask_b32_e32 v102, v102, v110, vcc_lo
	v_cndmask_b32_e64 v100, v100, s0, vcc_lo
	s_add_co_i32 s0, s0, 1
	s_delay_alu instid0(SALU_CYCLE_1)
	s_cmp_lg_u32 s18, s0
	s_cbranch_scc1 .LBB92_232
.LBB92_233:
	s_wait_dscnt 0x0
	v_cmp_eq_f32_e32 vcc_lo, 0, v102
	v_cmp_eq_f32_e64 s0, 0, v103
	s_and_b32 s0, vcc_lo, s0
	s_delay_alu instid0(SALU_CYCLE_1) | instskip(NEXT) | instid1(SALU_CYCLE_1)
	s_and_saveexec_b32 s1, s0
	s_xor_b32 s0, exec_lo, s1
; %bb.234:
	v_cmp_ne_u32_e32 vcc_lo, 0, v106
	v_cndmask_b32_e32 v106, 12, v106, vcc_lo
; %bb.235:
	s_and_not1_saveexec_b32 s0, s0
	s_cbranch_execz .LBB92_241
; %bb.236:
	v_cmp_ngt_f32_e64 s1, |v102|, |v103|
	s_and_saveexec_b32 s12, s1
	s_delay_alu instid0(SALU_CYCLE_1)
	s_xor_b32 s1, exec_lo, s12
	s_cbranch_execz .LBB92_238
; %bb.237:
	v_div_scale_f32 v101, null, v103, v103, v102
	v_div_scale_f32 v111, vcc_lo, v102, v103, v102
	s_delay_alu instid0(VALU_DEP_2) | instskip(SKIP_1) | instid1(TRANS32_DEP_1)
	v_rcp_f32_e32 v109, v101
	v_nop
	v_fma_f32 v110, -v101, v109, 1.0
	s_delay_alu instid0(VALU_DEP_1) | instskip(NEXT) | instid1(VALU_DEP_1)
	v_fmac_f32_e32 v109, v110, v109
	v_mul_f32_e32 v110, v111, v109
	s_delay_alu instid0(VALU_DEP_1) | instskip(NEXT) | instid1(VALU_DEP_1)
	v_fma_f32 v112, -v101, v110, v111
	v_fmac_f32_e32 v110, v112, v109
	s_delay_alu instid0(VALU_DEP_1) | instskip(NEXT) | instid1(VALU_DEP_1)
	v_fma_f32 v101, -v101, v110, v111
	v_div_fmas_f32 v101, v101, v109, v110
	s_delay_alu instid0(VALU_DEP_1) | instskip(NEXT) | instid1(VALU_DEP_1)
	v_div_fixup_f32 v101, v101, v103, v102
	v_fmac_f32_e32 v103, v102, v101
	s_delay_alu instid0(VALU_DEP_1) | instskip(SKIP_1) | instid1(VALU_DEP_2)
	v_div_scale_f32 v102, null, v103, v103, 1.0
	v_div_scale_f32 v111, vcc_lo, 1.0, v103, 1.0
	v_rcp_f32_e32 v109, v102
	v_nop
	s_delay_alu instid0(TRANS32_DEP_1) | instskip(NEXT) | instid1(VALU_DEP_1)
	v_fma_f32 v110, -v102, v109, 1.0
	v_fmac_f32_e32 v109, v110, v109
	s_delay_alu instid0(VALU_DEP_1) | instskip(NEXT) | instid1(VALU_DEP_1)
	v_mul_f32_e32 v110, v111, v109
	v_fma_f32 v112, -v102, v110, v111
	s_delay_alu instid0(VALU_DEP_1) | instskip(NEXT) | instid1(VALU_DEP_1)
	v_fmac_f32_e32 v110, v112, v109
	v_fma_f32 v102, -v102, v110, v111
	s_delay_alu instid0(VALU_DEP_1) | instskip(NEXT) | instid1(VALU_DEP_1)
	v_div_fmas_f32 v102, v102, v109, v110
	v_div_fixup_f32 v103, v102, v103, 1.0
	s_delay_alu instid0(VALU_DEP_1)
	v_mul_f32_e32 v102, v101, v103
	v_xor_b32_e32 v103, 0x80000000, v103
.LBB92_238:
	s_and_not1_saveexec_b32 s1, s1
	s_cbranch_execz .LBB92_240
; %bb.239:
	s_delay_alu instid0(VALU_DEP_1) | instskip(SKIP_1) | instid1(VALU_DEP_2)
	v_div_scale_f32 v101, null, v102, v102, v103
	v_div_scale_f32 v111, vcc_lo, v103, v102, v103
	v_rcp_f32_e32 v109, v101
	v_nop
	s_delay_alu instid0(TRANS32_DEP_1) | instskip(NEXT) | instid1(VALU_DEP_1)
	v_fma_f32 v110, -v101, v109, 1.0
	v_fmac_f32_e32 v109, v110, v109
	s_delay_alu instid0(VALU_DEP_1) | instskip(NEXT) | instid1(VALU_DEP_1)
	v_mul_f32_e32 v110, v111, v109
	v_fma_f32 v112, -v101, v110, v111
	s_delay_alu instid0(VALU_DEP_1) | instskip(NEXT) | instid1(VALU_DEP_1)
	v_fmac_f32_e32 v110, v112, v109
	v_fma_f32 v101, -v101, v110, v111
	s_delay_alu instid0(VALU_DEP_1) | instskip(NEXT) | instid1(VALU_DEP_1)
	v_div_fmas_f32 v101, v101, v109, v110
	v_div_fixup_f32 v101, v101, v102, v103
	s_delay_alu instid0(VALU_DEP_1) | instskip(NEXT) | instid1(VALU_DEP_1)
	v_fmac_f32_e32 v102, v103, v101
	v_div_scale_f32 v103, null, v102, v102, 1.0
	s_delay_alu instid0(VALU_DEP_1) | instskip(SKIP_1) | instid1(TRANS32_DEP_1)
	v_rcp_f32_e32 v109, v103
	v_nop
	v_fma_f32 v110, -v103, v109, 1.0
	s_delay_alu instid0(VALU_DEP_1) | instskip(SKIP_1) | instid1(VALU_DEP_1)
	v_fmac_f32_e32 v109, v110, v109
	v_div_scale_f32 v110, vcc_lo, 1.0, v102, 1.0
	v_mul_f32_e32 v111, v110, v109
	s_delay_alu instid0(VALU_DEP_1) | instskip(NEXT) | instid1(VALU_DEP_1)
	v_fma_f32 v112, -v103, v111, v110
	v_fmac_f32_e32 v111, v112, v109
	s_delay_alu instid0(VALU_DEP_1) | instskip(NEXT) | instid1(VALU_DEP_1)
	v_fma_f32 v103, -v103, v111, v110
	v_div_fmas_f32 v103, v103, v109, v111
	s_delay_alu instid0(VALU_DEP_1) | instskip(NEXT) | instid1(VALU_DEP_1)
	v_div_fixup_f32 v102, v103, v102, 1.0
	v_mul_f32_e64 v103, v101, -v102
.LBB92_240:
	s_or_b32 exec_lo, exec_lo, s1
.LBB92_241:
	s_delay_alu instid0(SALU_CYCLE_1) | instskip(NEXT) | instid1(SALU_CYCLE_1)
	s_or_b32 exec_lo, exec_lo, s0
	s_mov_b32 s0, exec_lo
	v_cmpx_ne_u32_e64 v108, v100
	s_xor_b32 s0, exec_lo, s0
	s_cbranch_execz .LBB92_247
; %bb.242:
	s_mov_b32 s1, exec_lo
	v_cmpx_eq_u32_e32 11, v108
	s_cbranch_execz .LBB92_246
; %bb.243:
	v_cmp_ne_u32_e32 vcc_lo, 11, v100
	s_xor_b32 s12, s16, -1
	s_delay_alu instid0(SALU_CYCLE_1) | instskip(NEXT) | instid1(SALU_CYCLE_1)
	s_and_b32 s13, s12, vcc_lo
	s_and_saveexec_b32 s12, s13
	s_cbranch_execz .LBB92_245
; %bb.244:
	v_ashrrev_i32_e32 v101, 31, v100
	s_delay_alu instid0(VALU_DEP_1)
	v_lshl_add_u64 v[108:109], v[100:101], 2, v[4:5]
	s_clause 0x1
	global_load_b32 v101, v[108:109], off
	global_load_b32 v107, v[4:5], off offset:44
	s_wait_loadcnt 0x1
	global_store_b32 v[4:5], v101, off offset:44
	s_wait_loadcnt 0x0
	global_store_b32 v[108:109], v107, off
.LBB92_245:
	s_wait_xcnt 0x0
	s_or_b32 exec_lo, exec_lo, s12
	v_dual_mov_b32 v108, v100 :: v_dual_mov_b32 v107, v100
.LBB92_246:
	s_or_b32 exec_lo, exec_lo, s1
.LBB92_247:
	s_and_not1_saveexec_b32 s0, s0
	s_cbranch_execz .LBB92_249
; %bb.248:
	v_dual_mov_b32 v100, v88 :: v_dual_mov_b32 v101, v89
	v_dual_mov_b32 v108, v86 :: v_dual_mov_b32 v109, v87
	ds_store_2addr_b64 v104, v[100:101], v[108:109] offset0:12 offset1:13
	v_dual_mov_b32 v100, v48 :: v_dual_mov_b32 v101, v49
	v_dual_mov_b32 v108, v46 :: v_dual_mov_b32 v109, v47
	ds_store_2addr_b64 v104, v[100:101], v[108:109] offset0:14 offset1:15
	;; [unrolled: 3-line block ×17, first 2 shown]
	ds_store_b64 v104, v[98:99] offset:368
	v_mov_b32_e32 v108, 11
.LBB92_249:
	s_or_b32 exec_lo, exec_lo, s0
	s_delay_alu instid0(SALU_CYCLE_1)
	s_mov_b32 s0, exec_lo
	s_wait_storecnt_dscnt 0x0
	s_barrier_signal -1
	s_barrier_wait -1
	v_cmpx_lt_i32_e32 11, v108
	s_cbranch_execz .LBB92_251
; %bb.250:
	v_pk_mul_f32 v[110:111], v[102:103], v[32:33] op_sel:[1,1] op_sel_hi:[0,1]
	s_delay_alu instid0(VALU_DEP_1)
	v_pk_fma_f32 v[100:101], v[102:103], v[32:33], v[110:111] op_sel_hi:[1,0,1] neg_lo:[0,0,1] neg_hi:[0,0,1]
	v_pk_fma_f32 v[102:103], v[102:103], v[32:33], v[110:111] op_sel_hi:[1,0,1]
	ds_load_2addr_b64 v[110:113], v104 offset0:12 offset1:13
	v_dual_mov_b32 v32, v100 :: v_dual_mov_b32 v33, v103
	s_wait_dscnt 0x0
	v_pk_mul_f32 v[114:115], v[110:111], v[102:103] op_sel:[0,1]
	s_delay_alu instid0(VALU_DEP_1) | instskip(SKIP_1) | instid1(VALU_DEP_1)
	v_pk_fma_f32 v[116:117], v[110:111], v[100:101], v[114:115] op_sel:[0,0,1] op_sel_hi:[1,1,0] neg_lo:[0,0,1] neg_hi:[0,0,1]
	v_pk_fma_f32 v[110:111], v[110:111], v[100:101], v[114:115] op_sel:[0,0,1] op_sel_hi:[1,0,0]
	v_mov_b32_e32 v117, v111
	v_pk_mul_f32 v[110:111], v[112:113], v[102:103] op_sel:[0,1]
	s_delay_alu instid0(VALU_DEP_1) | instskip(SKIP_1) | instid1(VALU_DEP_1)
	v_pk_fma_f32 v[114:115], v[112:113], v[100:101], v[110:111] op_sel:[0,0,1] op_sel_hi:[1,1,0] neg_lo:[0,0,1] neg_hi:[0,0,1]
	v_pk_fma_f32 v[110:111], v[112:113], v[100:101], v[110:111] op_sel:[0,0,1] op_sel_hi:[1,0,0]
	v_mov_b32_e32 v115, v111
	ds_load_2addr_b64 v[110:113], v104 offset0:14 offset1:15
	v_pk_add_f32 v[88:89], v[88:89], v[116:117] neg_lo:[0,1] neg_hi:[0,1]
	v_pk_add_f32 v[86:87], v[86:87], v[114:115] neg_lo:[0,1] neg_hi:[0,1]
	s_wait_dscnt 0x0
	v_pk_mul_f32 v[114:115], v[110:111], v[102:103] op_sel:[0,1]
	s_delay_alu instid0(VALU_DEP_1) | instskip(SKIP_2) | instid1(VALU_DEP_2)
	v_pk_fma_f32 v[116:117], v[110:111], v[100:101], v[114:115] op_sel:[0,0,1] op_sel_hi:[1,1,0] neg_lo:[0,0,1] neg_hi:[0,0,1]
	v_pk_fma_f32 v[110:111], v[110:111], v[100:101], v[114:115] op_sel:[0,0,1] op_sel_hi:[1,0,0]
	v_dual_mul_f32 v114, v113, v103 :: v_dual_mov_b32 v110, v113
	v_dual_mov_b32 v117, v111 :: v_dual_mov_b32 v111, v112
	s_delay_alu instid0(VALU_DEP_2) | instskip(SKIP_1) | instid1(VALU_DEP_3)
	v_pk_fma_f32 v[114:115], v[112:113], v[32:33], v[114:115] op_sel_hi:[1,1,0] neg_lo:[0,0,1] neg_hi:[0,0,1]
	v_mul_f32_e32 v112, v113, v100
	v_pk_add_f32 v[48:49], v[48:49], v[116:117] neg_lo:[0,1] neg_hi:[0,1]
	s_delay_alu instid0(VALU_DEP_2) | instskip(NEXT) | instid1(VALU_DEP_1)
	v_pk_fma_f32 v[110:111], v[110:111], v[32:33], v[112:113] op_sel_hi:[1,1,0]
	v_mov_b32_e32 v115, v111
	ds_load_2addr_b64 v[110:113], v104 offset0:16 offset1:17
	v_pk_add_f32 v[46:47], v[46:47], v[114:115] neg_lo:[0,1] neg_hi:[0,1]
	s_wait_dscnt 0x0
	v_pk_mul_f32 v[114:115], v[110:111], v[102:103] op_sel:[0,1]
	s_delay_alu instid0(VALU_DEP_1) | instskip(SKIP_1) | instid1(VALU_DEP_1)
	v_pk_fma_f32 v[116:117], v[110:111], v[100:101], v[114:115] op_sel:[0,0,1] op_sel_hi:[1,1,0] neg_lo:[0,0,1] neg_hi:[0,0,1]
	v_pk_fma_f32 v[110:111], v[110:111], v[100:101], v[114:115] op_sel:[0,0,1] op_sel_hi:[1,0,0]
	v_mov_b32_e32 v117, v111
	v_pk_mul_f32 v[110:111], v[112:113], v[102:103] op_sel:[0,1]
	s_delay_alu instid0(VALU_DEP_1) | instskip(SKIP_1) | instid1(VALU_DEP_1)
	v_pk_fma_f32 v[114:115], v[112:113], v[100:101], v[110:111] op_sel:[0,0,1] op_sel_hi:[1,1,0] neg_lo:[0,0,1] neg_hi:[0,0,1]
	v_pk_fma_f32 v[110:111], v[112:113], v[100:101], v[110:111] op_sel:[0,0,1] op_sel_hi:[1,0,0]
	v_mov_b32_e32 v115, v111
	ds_load_2addr_b64 v[110:113], v104 offset0:18 offset1:19
	v_pk_add_f32 v[84:85], v[84:85], v[116:117] neg_lo:[0,1] neg_hi:[0,1]
	v_pk_add_f32 v[82:83], v[82:83], v[114:115] neg_lo:[0,1] neg_hi:[0,1]
	s_wait_dscnt 0x0
	v_pk_mul_f32 v[114:115], v[110:111], v[102:103] op_sel:[0,1]
	s_delay_alu instid0(VALU_DEP_1) | instskip(SKIP_1) | instid1(VALU_DEP_1)
	v_pk_fma_f32 v[116:117], v[110:111], v[100:101], v[114:115] op_sel:[0,0,1] op_sel_hi:[1,1,0] neg_lo:[0,0,1] neg_hi:[0,0,1]
	v_pk_fma_f32 v[110:111], v[110:111], v[100:101], v[114:115] op_sel:[0,0,1] op_sel_hi:[1,0,0]
	v_mov_b32_e32 v117, v111
	v_pk_mul_f32 v[110:111], v[112:113], v[102:103] op_sel:[0,1]
	s_delay_alu instid0(VALU_DEP_1) | instskip(SKIP_1) | instid1(VALU_DEP_1)
	v_pk_fma_f32 v[114:115], v[112:113], v[100:101], v[110:111] op_sel:[0,0,1] op_sel_hi:[1,1,0] neg_lo:[0,0,1] neg_hi:[0,0,1]
	v_pk_fma_f32 v[110:111], v[112:113], v[100:101], v[110:111] op_sel:[0,0,1] op_sel_hi:[1,0,0]
	v_mov_b32_e32 v115, v111
	ds_load_2addr_b64 v[110:113], v104 offset0:20 offset1:21
	v_pk_add_f32 v[44:45], v[44:45], v[116:117] neg_lo:[0,1] neg_hi:[0,1]
	v_pk_add_f32 v[42:43], v[42:43], v[114:115] neg_lo:[0,1] neg_hi:[0,1]
	s_wait_dscnt 0x0
	v_dual_mul_f32 v114, v111, v103 :: v_dual_mul_f32 v116, v111, v100
	s_delay_alu instid0(VALU_DEP_1) | instskip(NEXT) | instid1(VALU_DEP_2)
	v_pk_fma_f32 v[114:115], v[110:111], v[32:33], v[114:115] op_sel_hi:[1,1,0] neg_lo:[0,0,1] neg_hi:[0,0,1]
	v_pk_fma_f32 v[110:111], v[110:111], v[32:33], v[116:117] op_sel:[1,0,0] op_sel_hi:[0,1,0]
	s_delay_alu instid0(VALU_DEP_1) | instskip(SKIP_1) | instid1(VALU_DEP_2)
	v_mov_b32_e32 v115, v111
	v_pk_mul_f32 v[110:111], v[112:113], v[102:103] op_sel:[0,1]
	v_pk_add_f32 v[80:81], v[80:81], v[114:115] neg_lo:[0,1] neg_hi:[0,1]
	s_delay_alu instid0(VALU_DEP_2) | instskip(SKIP_1) | instid1(VALU_DEP_1)
	v_pk_fma_f32 v[114:115], v[112:113], v[100:101], v[110:111] op_sel:[0,0,1] op_sel_hi:[1,1,0] neg_lo:[0,0,1] neg_hi:[0,0,1]
	v_pk_fma_f32 v[110:111], v[112:113], v[100:101], v[110:111] op_sel:[0,0,1] op_sel_hi:[1,0,0]
	v_mov_b32_e32 v115, v111
	ds_load_2addr_b64 v[110:113], v104 offset0:22 offset1:23
	v_pk_add_f32 v[78:79], v[78:79], v[114:115] neg_lo:[0,1] neg_hi:[0,1]
	s_wait_dscnt 0x0
	v_pk_mul_f32 v[114:115], v[110:111], v[102:103] op_sel:[0,1]
	s_delay_alu instid0(VALU_DEP_1) | instskip(SKIP_1) | instid1(VALU_DEP_1)
	v_pk_fma_f32 v[116:117], v[110:111], v[100:101], v[114:115] op_sel:[0,0,1] op_sel_hi:[1,1,0] neg_lo:[0,0,1] neg_hi:[0,0,1]
	v_pk_fma_f32 v[110:111], v[110:111], v[100:101], v[114:115] op_sel:[0,0,1] op_sel_hi:[1,0,0]
	v_mov_b32_e32 v117, v111
	v_pk_mul_f32 v[110:111], v[112:113], v[102:103] op_sel:[0,1]
	s_delay_alu instid0(VALU_DEP_2) | instskip(NEXT) | instid1(VALU_DEP_2)
	v_pk_add_f32 v[38:39], v[38:39], v[116:117] neg_lo:[0,1] neg_hi:[0,1]
	v_pk_fma_f32 v[114:115], v[112:113], v[100:101], v[110:111] op_sel:[0,0,1] op_sel_hi:[1,1,0] neg_lo:[0,0,1] neg_hi:[0,0,1]
	v_pk_fma_f32 v[110:111], v[112:113], v[100:101], v[110:111] op_sel:[0,0,1] op_sel_hi:[1,0,0]
	s_delay_alu instid0(VALU_DEP_1) | instskip(SKIP_4) | instid1(VALU_DEP_1)
	v_mov_b32_e32 v115, v111
	ds_load_2addr_b64 v[110:113], v104 offset0:24 offset1:25
	v_pk_add_f32 v[36:37], v[36:37], v[114:115] neg_lo:[0,1] neg_hi:[0,1]
	s_wait_dscnt 0x0
	v_pk_mul_f32 v[114:115], v[110:111], v[102:103] op_sel:[0,1]
	v_pk_fma_f32 v[116:117], v[110:111], v[100:101], v[114:115] op_sel:[0,0,1] op_sel_hi:[1,1,0] neg_lo:[0,0,1] neg_hi:[0,0,1]
	v_pk_fma_f32 v[110:111], v[110:111], v[100:101], v[114:115] op_sel:[0,0,1] op_sel_hi:[1,0,0]
	v_dual_mul_f32 v114, v113, v103 :: v_dual_mov_b32 v110, v113
	s_delay_alu instid0(VALU_DEP_2) | instskip(NEXT) | instid1(VALU_DEP_2)
	v_dual_mov_b32 v117, v111 :: v_dual_mov_b32 v111, v112
	v_pk_fma_f32 v[114:115], v[112:113], v[32:33], v[114:115] op_sel_hi:[1,1,0] neg_lo:[0,0,1] neg_hi:[0,0,1]
	v_mul_f32_e32 v112, v113, v100
	s_delay_alu instid0(VALU_DEP_3) | instskip(NEXT) | instid1(VALU_DEP_2)
	v_pk_add_f32 v[70:71], v[70:71], v[116:117] neg_lo:[0,1] neg_hi:[0,1]
	v_pk_fma_f32 v[110:111], v[110:111], v[32:33], v[112:113] op_sel_hi:[1,1,0]
	s_delay_alu instid0(VALU_DEP_1) | instskip(SKIP_4) | instid1(VALU_DEP_1)
	v_mov_b32_e32 v115, v111
	ds_load_2addr_b64 v[110:113], v104 offset0:26 offset1:27
	v_pk_add_f32 v[66:67], v[66:67], v[114:115] neg_lo:[0,1] neg_hi:[0,1]
	s_wait_dscnt 0x0
	v_pk_mul_f32 v[114:115], v[110:111], v[102:103] op_sel:[0,1]
	v_pk_fma_f32 v[116:117], v[110:111], v[100:101], v[114:115] op_sel:[0,0,1] op_sel_hi:[1,1,0] neg_lo:[0,0,1] neg_hi:[0,0,1]
	v_pk_fma_f32 v[110:111], v[110:111], v[100:101], v[114:115] op_sel:[0,0,1] op_sel_hi:[1,0,0]
	s_delay_alu instid0(VALU_DEP_1) | instskip(SKIP_1) | instid1(VALU_DEP_1)
	v_mov_b32_e32 v117, v111
	v_pk_mul_f32 v[110:111], v[112:113], v[102:103] op_sel:[0,1]
	v_pk_fma_f32 v[114:115], v[112:113], v[100:101], v[110:111] op_sel:[0,0,1] op_sel_hi:[1,1,0] neg_lo:[0,0,1] neg_hi:[0,0,1]
	v_pk_fma_f32 v[110:111], v[112:113], v[100:101], v[110:111] op_sel:[0,0,1] op_sel_hi:[1,0,0]
	s_delay_alu instid0(VALU_DEP_1)
	v_mov_b32_e32 v115, v111
	ds_load_2addr_b64 v[110:113], v104 offset0:28 offset1:29
	v_pk_add_f32 v[26:27], v[26:27], v[116:117] neg_lo:[0,1] neg_hi:[0,1]
	v_pk_add_f32 v[22:23], v[22:23], v[114:115] neg_lo:[0,1] neg_hi:[0,1]
	s_wait_dscnt 0x0
	v_pk_mul_f32 v[114:115], v[110:111], v[102:103] op_sel:[0,1]
	s_delay_alu instid0(VALU_DEP_1) | instskip(SKIP_1) | instid1(VALU_DEP_1)
	v_pk_fma_f32 v[116:117], v[110:111], v[100:101], v[114:115] op_sel:[0,0,1] op_sel_hi:[1,1,0] neg_lo:[0,0,1] neg_hi:[0,0,1]
	v_pk_fma_f32 v[110:111], v[110:111], v[100:101], v[114:115] op_sel:[0,0,1] op_sel_hi:[1,0,0]
	v_mov_b32_e32 v117, v111
	v_pk_mul_f32 v[110:111], v[112:113], v[102:103] op_sel:[0,1]
	s_delay_alu instid0(VALU_DEP_1) | instskip(SKIP_1) | instid1(VALU_DEP_1)
	v_pk_fma_f32 v[114:115], v[112:113], v[100:101], v[110:111] op_sel:[0,0,1] op_sel_hi:[1,1,0] neg_lo:[0,0,1] neg_hi:[0,0,1]
	v_pk_fma_f32 v[110:111], v[112:113], v[100:101], v[110:111] op_sel:[0,0,1] op_sel_hi:[1,0,0]
	v_mov_b32_e32 v115, v111
	ds_load_2addr_b64 v[110:113], v104 offset0:30 offset1:31
	v_pk_add_f32 v[64:65], v[64:65], v[116:117] neg_lo:[0,1] neg_hi:[0,1]
	v_pk_add_f32 v[62:63], v[62:63], v[114:115] neg_lo:[0,1] neg_hi:[0,1]
	s_wait_dscnt 0x0
	v_dual_mul_f32 v114, v111, v103 :: v_dual_mul_f32 v116, v111, v100
	s_delay_alu instid0(VALU_DEP_1) | instskip(NEXT) | instid1(VALU_DEP_2)
	v_pk_fma_f32 v[114:115], v[110:111], v[32:33], v[114:115] op_sel_hi:[1,1,0] neg_lo:[0,0,1] neg_hi:[0,0,1]
	v_pk_fma_f32 v[110:111], v[110:111], v[32:33], v[116:117] op_sel:[1,0,0] op_sel_hi:[0,1,0]
	s_delay_alu instid0(VALU_DEP_1) | instskip(SKIP_1) | instid1(VALU_DEP_2)
	v_mov_b32_e32 v115, v111
	v_pk_mul_f32 v[110:111], v[112:113], v[102:103] op_sel:[0,1]
	v_pk_add_f32 v[20:21], v[20:21], v[114:115] neg_lo:[0,1] neg_hi:[0,1]
	s_delay_alu instid0(VALU_DEP_2) | instskip(SKIP_1) | instid1(VALU_DEP_1)
	v_pk_fma_f32 v[114:115], v[112:113], v[100:101], v[110:111] op_sel:[0,0,1] op_sel_hi:[1,1,0] neg_lo:[0,0,1] neg_hi:[0,0,1]
	v_pk_fma_f32 v[110:111], v[112:113], v[100:101], v[110:111] op_sel:[0,0,1] op_sel_hi:[1,0,0]
	v_mov_b32_e32 v115, v111
	ds_load_2addr_b64 v[110:113], v104 offset0:32 offset1:33
	v_pk_add_f32 v[18:19], v[18:19], v[114:115] neg_lo:[0,1] neg_hi:[0,1]
	s_wait_dscnt 0x0
	v_pk_mul_f32 v[114:115], v[110:111], v[102:103] op_sel:[0,1]
	s_delay_alu instid0(VALU_DEP_1) | instskip(SKIP_1) | instid1(VALU_DEP_1)
	v_pk_fma_f32 v[116:117], v[110:111], v[100:101], v[114:115] op_sel:[0,0,1] op_sel_hi:[1,1,0] neg_lo:[0,0,1] neg_hi:[0,0,1]
	v_pk_fma_f32 v[110:111], v[110:111], v[100:101], v[114:115] op_sel:[0,0,1] op_sel_hi:[1,0,0]
	v_mov_b32_e32 v117, v111
	v_pk_mul_f32 v[110:111], v[112:113], v[102:103] op_sel:[0,1]
	s_delay_alu instid0(VALU_DEP_2) | instskip(NEXT) | instid1(VALU_DEP_2)
	v_pk_add_f32 v[60:61], v[60:61], v[116:117] neg_lo:[0,1] neg_hi:[0,1]
	v_pk_fma_f32 v[114:115], v[112:113], v[100:101], v[110:111] op_sel:[0,0,1] op_sel_hi:[1,1,0] neg_lo:[0,0,1] neg_hi:[0,0,1]
	v_pk_fma_f32 v[110:111], v[112:113], v[100:101], v[110:111] op_sel:[0,0,1] op_sel_hi:[1,0,0]
	s_delay_alu instid0(VALU_DEP_1) | instskip(SKIP_4) | instid1(VALU_DEP_1)
	v_mov_b32_e32 v115, v111
	ds_load_2addr_b64 v[110:113], v104 offset0:34 offset1:35
	v_pk_add_f32 v[58:59], v[58:59], v[114:115] neg_lo:[0,1] neg_hi:[0,1]
	s_wait_dscnt 0x0
	v_pk_mul_f32 v[114:115], v[110:111], v[102:103] op_sel:[0,1]
	v_pk_fma_f32 v[116:117], v[110:111], v[100:101], v[114:115] op_sel:[0,0,1] op_sel_hi:[1,1,0] neg_lo:[0,0,1] neg_hi:[0,0,1]
	v_pk_fma_f32 v[110:111], v[110:111], v[100:101], v[114:115] op_sel:[0,0,1] op_sel_hi:[1,0,0]
	v_dual_mul_f32 v114, v113, v103 :: v_dual_mov_b32 v110, v113
	s_delay_alu instid0(VALU_DEP_2) | instskip(NEXT) | instid1(VALU_DEP_2)
	v_dual_mov_b32 v117, v111 :: v_dual_mov_b32 v111, v112
	v_pk_fma_f32 v[114:115], v[112:113], v[32:33], v[114:115] op_sel_hi:[1,1,0] neg_lo:[0,0,1] neg_hi:[0,0,1]
	v_mul_f32_e32 v112, v113, v100
	s_delay_alu instid0(VALU_DEP_3) | instskip(NEXT) | instid1(VALU_DEP_2)
	v_pk_add_f32 v[16:17], v[16:17], v[116:117] neg_lo:[0,1] neg_hi:[0,1]
	v_pk_fma_f32 v[110:111], v[110:111], v[32:33], v[112:113] op_sel_hi:[1,1,0]
	s_delay_alu instid0(VALU_DEP_1) | instskip(SKIP_4) | instid1(VALU_DEP_1)
	v_mov_b32_e32 v115, v111
	ds_load_2addr_b64 v[110:113], v104 offset0:36 offset1:37
	v_pk_add_f32 v[14:15], v[14:15], v[114:115] neg_lo:[0,1] neg_hi:[0,1]
	s_wait_dscnt 0x0
	v_pk_mul_f32 v[114:115], v[110:111], v[102:103] op_sel:[0,1]
	v_pk_fma_f32 v[116:117], v[110:111], v[100:101], v[114:115] op_sel:[0,0,1] op_sel_hi:[1,1,0] neg_lo:[0,0,1] neg_hi:[0,0,1]
	v_pk_fma_f32 v[110:111], v[110:111], v[100:101], v[114:115] op_sel:[0,0,1] op_sel_hi:[1,0,0]
	s_delay_alu instid0(VALU_DEP_1) | instskip(SKIP_1) | instid1(VALU_DEP_1)
	v_mov_b32_e32 v117, v111
	v_pk_mul_f32 v[110:111], v[112:113], v[102:103] op_sel:[0,1]
	v_pk_fma_f32 v[114:115], v[112:113], v[100:101], v[110:111] op_sel:[0,0,1] op_sel_hi:[1,1,0] neg_lo:[0,0,1] neg_hi:[0,0,1]
	v_pk_fma_f32 v[110:111], v[112:113], v[100:101], v[110:111] op_sel:[0,0,1] op_sel_hi:[1,0,0]
	s_delay_alu instid0(VALU_DEP_1)
	v_mov_b32_e32 v115, v111
	ds_load_2addr_b64 v[110:113], v104 offset0:38 offset1:39
	v_pk_add_f32 v[56:57], v[56:57], v[116:117] neg_lo:[0,1] neg_hi:[0,1]
	v_pk_add_f32 v[54:55], v[54:55], v[114:115] neg_lo:[0,1] neg_hi:[0,1]
	s_wait_dscnt 0x0
	v_pk_mul_f32 v[114:115], v[110:111], v[102:103] op_sel:[0,1]
	s_delay_alu instid0(VALU_DEP_1) | instskip(SKIP_1) | instid1(VALU_DEP_1)
	v_pk_fma_f32 v[116:117], v[110:111], v[100:101], v[114:115] op_sel:[0,0,1] op_sel_hi:[1,1,0] neg_lo:[0,0,1] neg_hi:[0,0,1]
	v_pk_fma_f32 v[110:111], v[110:111], v[100:101], v[114:115] op_sel:[0,0,1] op_sel_hi:[1,0,0]
	v_mov_b32_e32 v117, v111
	v_pk_mul_f32 v[110:111], v[112:113], v[102:103] op_sel:[0,1]
	s_delay_alu instid0(VALU_DEP_1) | instskip(SKIP_1) | instid1(VALU_DEP_1)
	v_pk_fma_f32 v[114:115], v[112:113], v[100:101], v[110:111] op_sel:[0,0,1] op_sel_hi:[1,1,0] neg_lo:[0,0,1] neg_hi:[0,0,1]
	v_pk_fma_f32 v[110:111], v[112:113], v[100:101], v[110:111] op_sel:[0,0,1] op_sel_hi:[1,0,0]
	v_mov_b32_e32 v115, v111
	ds_load_2addr_b64 v[110:113], v104 offset0:40 offset1:41
	v_pk_add_f32 v[10:11], v[10:11], v[116:117] neg_lo:[0,1] neg_hi:[0,1]
	v_pk_add_f32 v[6:7], v[6:7], v[114:115] neg_lo:[0,1] neg_hi:[0,1]
	s_wait_dscnt 0x0
	v_dual_mul_f32 v114, v111, v103 :: v_dual_mul_f32 v116, v111, v100
	s_delay_alu instid0(VALU_DEP_1) | instskip(NEXT) | instid1(VALU_DEP_2)
	v_pk_fma_f32 v[114:115], v[110:111], v[32:33], v[114:115] op_sel_hi:[1,1,0] neg_lo:[0,0,1] neg_hi:[0,0,1]
	v_pk_fma_f32 v[110:111], v[110:111], v[32:33], v[116:117] op_sel:[1,0,0] op_sel_hi:[0,1,0]
	s_delay_alu instid0(VALU_DEP_1) | instskip(SKIP_1) | instid1(VALU_DEP_2)
	v_mov_b32_e32 v115, v111
	v_pk_mul_f32 v[110:111], v[112:113], v[102:103] op_sel:[0,1]
	v_pk_add_f32 v[52:53], v[52:53], v[114:115] neg_lo:[0,1] neg_hi:[0,1]
	s_delay_alu instid0(VALU_DEP_2) | instskip(SKIP_1) | instid1(VALU_DEP_1)
	v_pk_fma_f32 v[114:115], v[112:113], v[100:101], v[110:111] op_sel:[0,0,1] op_sel_hi:[1,1,0] neg_lo:[0,0,1] neg_hi:[0,0,1]
	v_pk_fma_f32 v[110:111], v[112:113], v[100:101], v[110:111] op_sel:[0,0,1] op_sel_hi:[1,0,0]
	v_mov_b32_e32 v115, v111
	ds_load_2addr_b64 v[110:113], v104 offset0:42 offset1:43
	v_pk_add_f32 v[50:51], v[50:51], v[114:115] neg_lo:[0,1] neg_hi:[0,1]
	s_wait_dscnt 0x0
	v_pk_mul_f32 v[114:115], v[110:111], v[102:103] op_sel:[0,1]
	s_delay_alu instid0(VALU_DEP_1) | instskip(SKIP_1) | instid1(VALU_DEP_1)
	v_pk_fma_f32 v[116:117], v[110:111], v[100:101], v[114:115] op_sel:[0,0,1] op_sel_hi:[1,1,0] neg_lo:[0,0,1] neg_hi:[0,0,1]
	v_pk_fma_f32 v[110:111], v[110:111], v[100:101], v[114:115] op_sel:[0,0,1] op_sel_hi:[1,0,0]
	v_mov_b32_e32 v117, v111
	v_pk_mul_f32 v[110:111], v[112:113], v[102:103] op_sel:[0,1]
	s_delay_alu instid0(VALU_DEP_2) | instskip(NEXT) | instid1(VALU_DEP_2)
	v_pk_add_f32 v[8:9], v[8:9], v[116:117] neg_lo:[0,1] neg_hi:[0,1]
	v_pk_fma_f32 v[114:115], v[112:113], v[100:101], v[110:111] op_sel:[0,0,1] op_sel_hi:[1,1,0] neg_lo:[0,0,1] neg_hi:[0,0,1]
	v_pk_fma_f32 v[110:111], v[112:113], v[100:101], v[110:111] op_sel:[0,0,1] op_sel_hi:[1,0,0]
	s_delay_alu instid0(VALU_DEP_1) | instskip(SKIP_4) | instid1(VALU_DEP_1)
	v_mov_b32_e32 v115, v111
	ds_load_2addr_b64 v[110:113], v104 offset0:44 offset1:45
	v_pk_add_f32 v[40:41], v[40:41], v[114:115] neg_lo:[0,1] neg_hi:[0,1]
	s_wait_dscnt 0x0
	v_pk_mul_f32 v[114:115], v[110:111], v[102:103] op_sel:[0,1]
	v_pk_fma_f32 v[116:117], v[110:111], v[100:101], v[114:115] op_sel:[0,0,1] op_sel_hi:[1,1,0] neg_lo:[0,0,1] neg_hi:[0,0,1]
	v_pk_fma_f32 v[110:111], v[110:111], v[100:101], v[114:115] op_sel:[0,0,1] op_sel_hi:[1,0,0]
	v_dual_mul_f32 v114, v113, v103 :: v_dual_mov_b32 v110, v113
	s_delay_alu instid0(VALU_DEP_2) | instskip(NEXT) | instid1(VALU_DEP_2)
	v_dual_mov_b32 v117, v111 :: v_dual_mov_b32 v111, v112
	v_pk_fma_f32 v[114:115], v[112:113], v[32:33], v[114:115] op_sel_hi:[1,1,0] neg_lo:[0,0,1] neg_hi:[0,0,1]
	v_mul_f32_e32 v112, v113, v100
	s_delay_alu instid0(VALU_DEP_3) | instskip(NEXT) | instid1(VALU_DEP_2)
	v_pk_add_f32 v[30:31], v[30:31], v[116:117] neg_lo:[0,1] neg_hi:[0,1]
	v_pk_fma_f32 v[110:111], v[110:111], v[32:33], v[112:113] op_sel_hi:[1,1,0]
	s_delay_alu instid0(VALU_DEP_1) | instskip(SKIP_4) | instid1(VALU_DEP_1)
	v_mov_b32_e32 v115, v111
	ds_load_b64 v[110:111], v104 offset:368
	v_pk_add_f32 v[12:13], v[12:13], v[114:115] neg_lo:[0,1] neg_hi:[0,1]
	s_wait_dscnt 0x0
	v_pk_mul_f32 v[102:103], v[110:111], v[102:103] op_sel:[0,1]
	v_pk_fma_f32 v[112:113], v[110:111], v[100:101], v[102:103] op_sel:[0,0,1] op_sel_hi:[1,1,0] neg_lo:[0,0,1] neg_hi:[0,0,1]
	v_pk_fma_f32 v[100:101], v[110:111], v[100:101], v[102:103] op_sel:[0,0,1] op_sel_hi:[1,0,0]
	s_delay_alu instid0(VALU_DEP_1) | instskip(NEXT) | instid1(VALU_DEP_1)
	v_mov_b32_e32 v113, v101
	v_pk_add_f32 v[98:99], v[98:99], v[112:113] neg_lo:[0,1] neg_hi:[0,1]
.LBB92_251:
	s_or_b32 exec_lo, exec_lo, s0
	v_lshl_add_u32 v100, v108, 3, v104
	s_barrier_signal -1
	s_barrier_wait -1
	ds_store_b64 v100, v[88:89]
	s_wait_dscnt 0x0
	s_barrier_signal -1
	s_barrier_wait -1
	ds_load_b64 v[102:103], v104 offset:96
	v_mov_b32_e32 v100, 12
	s_cmp_lt_i32 s18, 14
	s_cbranch_scc1 .LBB92_254
; %bb.252:
	v_add3_u32 v101, v105, 0, 0x68
	v_mov_b32_e32 v100, 12
	s_mov_b32 s0, 13
.LBB92_253:                             ; =>This Inner Loop Header: Depth=1
	ds_load_b64 v[110:111], v101
	s_wait_dscnt 0x1
	v_cmp_gt_f32_e32 vcc_lo, 0, v102
	v_cndmask_b32_e64 v112, v102, -v102, vcc_lo
	v_cmp_gt_f32_e32 vcc_lo, 0, v103
	v_cndmask_b32_e64 v114, v103, -v103, vcc_lo
	s_wait_dscnt 0x0
	v_cmp_gt_f32_e32 vcc_lo, 0, v110
	v_cndmask_b32_e64 v113, v110, -v110, vcc_lo
	v_cmp_gt_f32_e32 vcc_lo, 0, v111
	v_cndmask_b32_e64 v115, v111, -v111, vcc_lo
	s_delay_alu instid0(VALU_DEP_1) | instskip(NEXT) | instid1(VALU_DEP_1)
	v_pk_add_f32 v[112:113], v[112:113], v[114:115]
	v_cmp_lt_f32_e32 vcc_lo, v112, v113
	v_dual_add_nc_u32 v101, 8, v101 :: v_dual_cndmask_b32 v103, v103, v111, vcc_lo
	v_cndmask_b32_e32 v102, v102, v110, vcc_lo
	v_cndmask_b32_e64 v100, v100, s0, vcc_lo
	s_add_co_i32 s0, s0, 1
	s_delay_alu instid0(SALU_CYCLE_1)
	s_cmp_lg_u32 s18, s0
	s_cbranch_scc1 .LBB92_253
.LBB92_254:
	s_wait_dscnt 0x0
	v_cmp_eq_f32_e32 vcc_lo, 0, v102
	v_cmp_eq_f32_e64 s0, 0, v103
	s_and_b32 s0, vcc_lo, s0
	s_delay_alu instid0(SALU_CYCLE_1) | instskip(NEXT) | instid1(SALU_CYCLE_1)
	s_and_saveexec_b32 s1, s0
	s_xor_b32 s0, exec_lo, s1
; %bb.255:
	v_cmp_ne_u32_e32 vcc_lo, 0, v106
	v_cndmask_b32_e32 v106, 13, v106, vcc_lo
; %bb.256:
	s_and_not1_saveexec_b32 s0, s0
	s_cbranch_execz .LBB92_262
; %bb.257:
	v_cmp_ngt_f32_e64 s1, |v102|, |v103|
	s_and_saveexec_b32 s12, s1
	s_delay_alu instid0(SALU_CYCLE_1)
	s_xor_b32 s1, exec_lo, s12
	s_cbranch_execz .LBB92_259
; %bb.258:
	v_div_scale_f32 v101, null, v103, v103, v102
	v_div_scale_f32 v111, vcc_lo, v102, v103, v102
	s_delay_alu instid0(VALU_DEP_2) | instskip(SKIP_1) | instid1(TRANS32_DEP_1)
	v_rcp_f32_e32 v109, v101
	v_nop
	v_fma_f32 v110, -v101, v109, 1.0
	s_delay_alu instid0(VALU_DEP_1) | instskip(NEXT) | instid1(VALU_DEP_1)
	v_fmac_f32_e32 v109, v110, v109
	v_mul_f32_e32 v110, v111, v109
	s_delay_alu instid0(VALU_DEP_1) | instskip(NEXT) | instid1(VALU_DEP_1)
	v_fma_f32 v112, -v101, v110, v111
	v_fmac_f32_e32 v110, v112, v109
	s_delay_alu instid0(VALU_DEP_1) | instskip(NEXT) | instid1(VALU_DEP_1)
	v_fma_f32 v101, -v101, v110, v111
	v_div_fmas_f32 v101, v101, v109, v110
	s_delay_alu instid0(VALU_DEP_1) | instskip(NEXT) | instid1(VALU_DEP_1)
	v_div_fixup_f32 v101, v101, v103, v102
	v_fmac_f32_e32 v103, v102, v101
	s_delay_alu instid0(VALU_DEP_1) | instskip(SKIP_1) | instid1(VALU_DEP_2)
	v_div_scale_f32 v102, null, v103, v103, 1.0
	v_div_scale_f32 v111, vcc_lo, 1.0, v103, 1.0
	v_rcp_f32_e32 v109, v102
	v_nop
	s_delay_alu instid0(TRANS32_DEP_1) | instskip(NEXT) | instid1(VALU_DEP_1)
	v_fma_f32 v110, -v102, v109, 1.0
	v_fmac_f32_e32 v109, v110, v109
	s_delay_alu instid0(VALU_DEP_1) | instskip(NEXT) | instid1(VALU_DEP_1)
	v_mul_f32_e32 v110, v111, v109
	v_fma_f32 v112, -v102, v110, v111
	s_delay_alu instid0(VALU_DEP_1) | instskip(NEXT) | instid1(VALU_DEP_1)
	v_fmac_f32_e32 v110, v112, v109
	v_fma_f32 v102, -v102, v110, v111
	s_delay_alu instid0(VALU_DEP_1) | instskip(NEXT) | instid1(VALU_DEP_1)
	v_div_fmas_f32 v102, v102, v109, v110
	v_div_fixup_f32 v103, v102, v103, 1.0
	s_delay_alu instid0(VALU_DEP_1)
	v_mul_f32_e32 v102, v101, v103
	v_xor_b32_e32 v103, 0x80000000, v103
.LBB92_259:
	s_and_not1_saveexec_b32 s1, s1
	s_cbranch_execz .LBB92_261
; %bb.260:
	s_delay_alu instid0(VALU_DEP_1) | instskip(SKIP_1) | instid1(VALU_DEP_2)
	v_div_scale_f32 v101, null, v102, v102, v103
	v_div_scale_f32 v111, vcc_lo, v103, v102, v103
	v_rcp_f32_e32 v109, v101
	v_nop
	s_delay_alu instid0(TRANS32_DEP_1) | instskip(NEXT) | instid1(VALU_DEP_1)
	v_fma_f32 v110, -v101, v109, 1.0
	v_fmac_f32_e32 v109, v110, v109
	s_delay_alu instid0(VALU_DEP_1) | instskip(NEXT) | instid1(VALU_DEP_1)
	v_mul_f32_e32 v110, v111, v109
	v_fma_f32 v112, -v101, v110, v111
	s_delay_alu instid0(VALU_DEP_1) | instskip(NEXT) | instid1(VALU_DEP_1)
	v_fmac_f32_e32 v110, v112, v109
	v_fma_f32 v101, -v101, v110, v111
	s_delay_alu instid0(VALU_DEP_1) | instskip(NEXT) | instid1(VALU_DEP_1)
	v_div_fmas_f32 v101, v101, v109, v110
	v_div_fixup_f32 v101, v101, v102, v103
	s_delay_alu instid0(VALU_DEP_1) | instskip(NEXT) | instid1(VALU_DEP_1)
	v_fmac_f32_e32 v102, v103, v101
	v_div_scale_f32 v103, null, v102, v102, 1.0
	s_delay_alu instid0(VALU_DEP_1) | instskip(SKIP_1) | instid1(TRANS32_DEP_1)
	v_rcp_f32_e32 v109, v103
	v_nop
	v_fma_f32 v110, -v103, v109, 1.0
	s_delay_alu instid0(VALU_DEP_1) | instskip(SKIP_1) | instid1(VALU_DEP_1)
	v_fmac_f32_e32 v109, v110, v109
	v_div_scale_f32 v110, vcc_lo, 1.0, v102, 1.0
	v_mul_f32_e32 v111, v110, v109
	s_delay_alu instid0(VALU_DEP_1) | instskip(NEXT) | instid1(VALU_DEP_1)
	v_fma_f32 v112, -v103, v111, v110
	v_fmac_f32_e32 v111, v112, v109
	s_delay_alu instid0(VALU_DEP_1) | instskip(NEXT) | instid1(VALU_DEP_1)
	v_fma_f32 v103, -v103, v111, v110
	v_div_fmas_f32 v103, v103, v109, v111
	s_delay_alu instid0(VALU_DEP_1) | instskip(NEXT) | instid1(VALU_DEP_1)
	v_div_fixup_f32 v102, v103, v102, 1.0
	v_mul_f32_e64 v103, v101, -v102
.LBB92_261:
	s_or_b32 exec_lo, exec_lo, s1
.LBB92_262:
	s_delay_alu instid0(SALU_CYCLE_1) | instskip(NEXT) | instid1(SALU_CYCLE_1)
	s_or_b32 exec_lo, exec_lo, s0
	s_mov_b32 s0, exec_lo
	v_cmpx_ne_u32_e64 v108, v100
	s_xor_b32 s0, exec_lo, s0
	s_cbranch_execz .LBB92_268
; %bb.263:
	s_mov_b32 s1, exec_lo
	v_cmpx_eq_u32_e32 12, v108
	s_cbranch_execz .LBB92_267
; %bb.264:
	v_cmp_ne_u32_e32 vcc_lo, 12, v100
	s_xor_b32 s12, s16, -1
	s_delay_alu instid0(SALU_CYCLE_1) | instskip(NEXT) | instid1(SALU_CYCLE_1)
	s_and_b32 s13, s12, vcc_lo
	s_and_saveexec_b32 s12, s13
	s_cbranch_execz .LBB92_266
; %bb.265:
	v_ashrrev_i32_e32 v101, 31, v100
	s_delay_alu instid0(VALU_DEP_1)
	v_lshl_add_u64 v[108:109], v[100:101], 2, v[4:5]
	s_clause 0x1
	global_load_b32 v101, v[108:109], off
	global_load_b32 v107, v[4:5], off offset:48
	s_wait_loadcnt 0x1
	global_store_b32 v[4:5], v101, off offset:48
	s_wait_loadcnt 0x0
	global_store_b32 v[108:109], v107, off
.LBB92_266:
	s_wait_xcnt 0x0
	s_or_b32 exec_lo, exec_lo, s12
	v_dual_mov_b32 v108, v100 :: v_dual_mov_b32 v107, v100
.LBB92_267:
	s_or_b32 exec_lo, exec_lo, s1
.LBB92_268:
	s_and_not1_saveexec_b32 s0, s0
	s_cbranch_execz .LBB92_270
; %bb.269:
	v_mov_b32_e32 v108, 12
	ds_store_2addr_b64 v104, v[86:87], v[48:49] offset0:13 offset1:14
	ds_store_2addr_b64 v104, v[46:47], v[84:85] offset0:15 offset1:16
	;; [unrolled: 1-line block ×17, first 2 shown]
.LBB92_270:
	s_or_b32 exec_lo, exec_lo, s0
	s_delay_alu instid0(SALU_CYCLE_1)
	s_mov_b32 s0, exec_lo
	s_wait_storecnt_dscnt 0x0
	s_barrier_signal -1
	s_barrier_wait -1
	v_cmpx_lt_i32_e32 12, v108
	s_cbranch_execz .LBB92_272
; %bb.271:
	v_pk_mul_f32 v[110:111], v[102:103], v[88:89] op_sel:[1,1] op_sel_hi:[0,1]
	s_delay_alu instid0(VALU_DEP_1)
	v_pk_fma_f32 v[100:101], v[102:103], v[88:89], v[110:111] op_sel_hi:[1,0,1] neg_lo:[0,0,1] neg_hi:[0,0,1]
	v_pk_fma_f32 v[102:103], v[102:103], v[88:89], v[110:111] op_sel_hi:[1,0,1]
	ds_load_2addr_b64 v[110:113], v104 offset0:13 offset1:14
	v_dual_mov_b32 v88, v100 :: v_dual_mov_b32 v89, v103
	s_wait_dscnt 0x0
	v_pk_mul_f32 v[114:115], v[110:111], v[102:103] op_sel:[0,1]
	s_delay_alu instid0(VALU_DEP_1) | instskip(SKIP_1) | instid1(VALU_DEP_1)
	v_pk_fma_f32 v[116:117], v[110:111], v[100:101], v[114:115] op_sel:[0,0,1] op_sel_hi:[1,1,0] neg_lo:[0,0,1] neg_hi:[0,0,1]
	v_pk_fma_f32 v[110:111], v[110:111], v[100:101], v[114:115] op_sel:[0,0,1] op_sel_hi:[1,0,0]
	v_mov_b32_e32 v117, v111
	v_pk_mul_f32 v[110:111], v[112:113], v[102:103] op_sel:[0,1]
	s_delay_alu instid0(VALU_DEP_1) | instskip(SKIP_1) | instid1(VALU_DEP_1)
	v_pk_fma_f32 v[114:115], v[112:113], v[100:101], v[110:111] op_sel:[0,0,1] op_sel_hi:[1,1,0] neg_lo:[0,0,1] neg_hi:[0,0,1]
	v_pk_fma_f32 v[110:111], v[112:113], v[100:101], v[110:111] op_sel:[0,0,1] op_sel_hi:[1,0,0]
	v_mov_b32_e32 v115, v111
	ds_load_2addr_b64 v[110:113], v104 offset0:15 offset1:16
	v_pk_add_f32 v[86:87], v[86:87], v[116:117] neg_lo:[0,1] neg_hi:[0,1]
	v_pk_add_f32 v[48:49], v[48:49], v[114:115] neg_lo:[0,1] neg_hi:[0,1]
	s_wait_dscnt 0x0
	v_pk_mul_f32 v[114:115], v[110:111], v[102:103] op_sel:[0,1]
	s_delay_alu instid0(VALU_DEP_1) | instskip(SKIP_2) | instid1(VALU_DEP_2)
	v_pk_fma_f32 v[116:117], v[110:111], v[100:101], v[114:115] op_sel:[0,0,1] op_sel_hi:[1,1,0] neg_lo:[0,0,1] neg_hi:[0,0,1]
	v_pk_fma_f32 v[110:111], v[110:111], v[100:101], v[114:115] op_sel:[0,0,1] op_sel_hi:[1,0,0]
	v_dual_mul_f32 v114, v113, v103 :: v_dual_mov_b32 v110, v113
	v_dual_mov_b32 v117, v111 :: v_dual_mov_b32 v111, v112
	s_delay_alu instid0(VALU_DEP_2) | instskip(SKIP_1) | instid1(VALU_DEP_3)
	v_pk_fma_f32 v[114:115], v[112:113], v[88:89], v[114:115] op_sel_hi:[1,1,0] neg_lo:[0,0,1] neg_hi:[0,0,1]
	v_mul_f32_e32 v112, v113, v100
	v_pk_add_f32 v[46:47], v[46:47], v[116:117] neg_lo:[0,1] neg_hi:[0,1]
	s_delay_alu instid0(VALU_DEP_2) | instskip(NEXT) | instid1(VALU_DEP_1)
	v_pk_fma_f32 v[110:111], v[110:111], v[88:89], v[112:113] op_sel_hi:[1,1,0]
	v_mov_b32_e32 v115, v111
	ds_load_2addr_b64 v[110:113], v104 offset0:17 offset1:18
	v_pk_add_f32 v[84:85], v[84:85], v[114:115] neg_lo:[0,1] neg_hi:[0,1]
	s_wait_dscnt 0x0
	v_pk_mul_f32 v[114:115], v[110:111], v[102:103] op_sel:[0,1]
	s_delay_alu instid0(VALU_DEP_1) | instskip(SKIP_1) | instid1(VALU_DEP_1)
	v_pk_fma_f32 v[116:117], v[110:111], v[100:101], v[114:115] op_sel:[0,0,1] op_sel_hi:[1,1,0] neg_lo:[0,0,1] neg_hi:[0,0,1]
	v_pk_fma_f32 v[110:111], v[110:111], v[100:101], v[114:115] op_sel:[0,0,1] op_sel_hi:[1,0,0]
	v_mov_b32_e32 v117, v111
	v_pk_mul_f32 v[110:111], v[112:113], v[102:103] op_sel:[0,1]
	s_delay_alu instid0(VALU_DEP_1) | instskip(SKIP_1) | instid1(VALU_DEP_1)
	v_pk_fma_f32 v[114:115], v[112:113], v[100:101], v[110:111] op_sel:[0,0,1] op_sel_hi:[1,1,0] neg_lo:[0,0,1] neg_hi:[0,0,1]
	v_pk_fma_f32 v[110:111], v[112:113], v[100:101], v[110:111] op_sel:[0,0,1] op_sel_hi:[1,0,0]
	v_mov_b32_e32 v115, v111
	ds_load_2addr_b64 v[110:113], v104 offset0:19 offset1:20
	v_pk_add_f32 v[82:83], v[82:83], v[116:117] neg_lo:[0,1] neg_hi:[0,1]
	v_pk_add_f32 v[44:45], v[44:45], v[114:115] neg_lo:[0,1] neg_hi:[0,1]
	s_wait_dscnt 0x0
	v_pk_mul_f32 v[114:115], v[110:111], v[102:103] op_sel:[0,1]
	s_delay_alu instid0(VALU_DEP_1) | instskip(SKIP_1) | instid1(VALU_DEP_1)
	v_pk_fma_f32 v[116:117], v[110:111], v[100:101], v[114:115] op_sel:[0,0,1] op_sel_hi:[1,1,0] neg_lo:[0,0,1] neg_hi:[0,0,1]
	v_pk_fma_f32 v[110:111], v[110:111], v[100:101], v[114:115] op_sel:[0,0,1] op_sel_hi:[1,0,0]
	v_mov_b32_e32 v117, v111
	v_pk_mul_f32 v[110:111], v[112:113], v[102:103] op_sel:[0,1]
	s_delay_alu instid0(VALU_DEP_1) | instskip(SKIP_1) | instid1(VALU_DEP_1)
	v_pk_fma_f32 v[114:115], v[112:113], v[100:101], v[110:111] op_sel:[0,0,1] op_sel_hi:[1,1,0] neg_lo:[0,0,1] neg_hi:[0,0,1]
	v_pk_fma_f32 v[110:111], v[112:113], v[100:101], v[110:111] op_sel:[0,0,1] op_sel_hi:[1,0,0]
	v_mov_b32_e32 v115, v111
	ds_load_2addr_b64 v[110:113], v104 offset0:21 offset1:22
	v_pk_add_f32 v[42:43], v[42:43], v[116:117] neg_lo:[0,1] neg_hi:[0,1]
	v_pk_add_f32 v[80:81], v[80:81], v[114:115] neg_lo:[0,1] neg_hi:[0,1]
	s_wait_dscnt 0x0
	v_dual_mul_f32 v114, v111, v103 :: v_dual_mul_f32 v116, v111, v100
	s_delay_alu instid0(VALU_DEP_1) | instskip(NEXT) | instid1(VALU_DEP_2)
	v_pk_fma_f32 v[114:115], v[110:111], v[88:89], v[114:115] op_sel_hi:[1,1,0] neg_lo:[0,0,1] neg_hi:[0,0,1]
	v_pk_fma_f32 v[110:111], v[110:111], v[88:89], v[116:117] op_sel:[1,0,0] op_sel_hi:[0,1,0]
	s_delay_alu instid0(VALU_DEP_1) | instskip(SKIP_1) | instid1(VALU_DEP_2)
	v_mov_b32_e32 v115, v111
	v_pk_mul_f32 v[110:111], v[112:113], v[102:103] op_sel:[0,1]
	v_pk_add_f32 v[78:79], v[78:79], v[114:115] neg_lo:[0,1] neg_hi:[0,1]
	s_delay_alu instid0(VALU_DEP_2) | instskip(SKIP_1) | instid1(VALU_DEP_1)
	v_pk_fma_f32 v[114:115], v[112:113], v[100:101], v[110:111] op_sel:[0,0,1] op_sel_hi:[1,1,0] neg_lo:[0,0,1] neg_hi:[0,0,1]
	v_pk_fma_f32 v[110:111], v[112:113], v[100:101], v[110:111] op_sel:[0,0,1] op_sel_hi:[1,0,0]
	v_mov_b32_e32 v115, v111
	ds_load_2addr_b64 v[110:113], v104 offset0:23 offset1:24
	v_pk_add_f32 v[38:39], v[38:39], v[114:115] neg_lo:[0,1] neg_hi:[0,1]
	s_wait_dscnt 0x0
	v_pk_mul_f32 v[114:115], v[110:111], v[102:103] op_sel:[0,1]
	s_delay_alu instid0(VALU_DEP_1) | instskip(SKIP_1) | instid1(VALU_DEP_1)
	v_pk_fma_f32 v[116:117], v[110:111], v[100:101], v[114:115] op_sel:[0,0,1] op_sel_hi:[1,1,0] neg_lo:[0,0,1] neg_hi:[0,0,1]
	v_pk_fma_f32 v[110:111], v[110:111], v[100:101], v[114:115] op_sel:[0,0,1] op_sel_hi:[1,0,0]
	v_mov_b32_e32 v117, v111
	v_pk_mul_f32 v[110:111], v[112:113], v[102:103] op_sel:[0,1]
	s_delay_alu instid0(VALU_DEP_2) | instskip(NEXT) | instid1(VALU_DEP_2)
	v_pk_add_f32 v[36:37], v[36:37], v[116:117] neg_lo:[0,1] neg_hi:[0,1]
	v_pk_fma_f32 v[114:115], v[112:113], v[100:101], v[110:111] op_sel:[0,0,1] op_sel_hi:[1,1,0] neg_lo:[0,0,1] neg_hi:[0,0,1]
	v_pk_fma_f32 v[110:111], v[112:113], v[100:101], v[110:111] op_sel:[0,0,1] op_sel_hi:[1,0,0]
	s_delay_alu instid0(VALU_DEP_1) | instskip(SKIP_4) | instid1(VALU_DEP_1)
	v_mov_b32_e32 v115, v111
	ds_load_2addr_b64 v[110:113], v104 offset0:25 offset1:26
	v_pk_add_f32 v[70:71], v[70:71], v[114:115] neg_lo:[0,1] neg_hi:[0,1]
	s_wait_dscnt 0x0
	v_pk_mul_f32 v[114:115], v[110:111], v[102:103] op_sel:[0,1]
	v_pk_fma_f32 v[116:117], v[110:111], v[100:101], v[114:115] op_sel:[0,0,1] op_sel_hi:[1,1,0] neg_lo:[0,0,1] neg_hi:[0,0,1]
	v_pk_fma_f32 v[110:111], v[110:111], v[100:101], v[114:115] op_sel:[0,0,1] op_sel_hi:[1,0,0]
	v_dual_mul_f32 v114, v113, v103 :: v_dual_mov_b32 v110, v113
	s_delay_alu instid0(VALU_DEP_2) | instskip(NEXT) | instid1(VALU_DEP_2)
	v_dual_mov_b32 v117, v111 :: v_dual_mov_b32 v111, v112
	v_pk_fma_f32 v[114:115], v[112:113], v[88:89], v[114:115] op_sel_hi:[1,1,0] neg_lo:[0,0,1] neg_hi:[0,0,1]
	v_mul_f32_e32 v112, v113, v100
	s_delay_alu instid0(VALU_DEP_3) | instskip(NEXT) | instid1(VALU_DEP_2)
	v_pk_add_f32 v[66:67], v[66:67], v[116:117] neg_lo:[0,1] neg_hi:[0,1]
	v_pk_fma_f32 v[110:111], v[110:111], v[88:89], v[112:113] op_sel_hi:[1,1,0]
	s_delay_alu instid0(VALU_DEP_1) | instskip(SKIP_4) | instid1(VALU_DEP_1)
	v_mov_b32_e32 v115, v111
	ds_load_2addr_b64 v[110:113], v104 offset0:27 offset1:28
	v_pk_add_f32 v[26:27], v[26:27], v[114:115] neg_lo:[0,1] neg_hi:[0,1]
	s_wait_dscnt 0x0
	v_pk_mul_f32 v[114:115], v[110:111], v[102:103] op_sel:[0,1]
	v_pk_fma_f32 v[116:117], v[110:111], v[100:101], v[114:115] op_sel:[0,0,1] op_sel_hi:[1,1,0] neg_lo:[0,0,1] neg_hi:[0,0,1]
	v_pk_fma_f32 v[110:111], v[110:111], v[100:101], v[114:115] op_sel:[0,0,1] op_sel_hi:[1,0,0]
	s_delay_alu instid0(VALU_DEP_1) | instskip(SKIP_1) | instid1(VALU_DEP_1)
	v_mov_b32_e32 v117, v111
	v_pk_mul_f32 v[110:111], v[112:113], v[102:103] op_sel:[0,1]
	v_pk_fma_f32 v[114:115], v[112:113], v[100:101], v[110:111] op_sel:[0,0,1] op_sel_hi:[1,1,0] neg_lo:[0,0,1] neg_hi:[0,0,1]
	v_pk_fma_f32 v[110:111], v[112:113], v[100:101], v[110:111] op_sel:[0,0,1] op_sel_hi:[1,0,0]
	s_delay_alu instid0(VALU_DEP_1)
	v_mov_b32_e32 v115, v111
	ds_load_2addr_b64 v[110:113], v104 offset0:29 offset1:30
	v_pk_add_f32 v[22:23], v[22:23], v[116:117] neg_lo:[0,1] neg_hi:[0,1]
	v_pk_add_f32 v[64:65], v[64:65], v[114:115] neg_lo:[0,1] neg_hi:[0,1]
	s_wait_dscnt 0x0
	v_pk_mul_f32 v[114:115], v[110:111], v[102:103] op_sel:[0,1]
	s_delay_alu instid0(VALU_DEP_1) | instskip(SKIP_1) | instid1(VALU_DEP_1)
	v_pk_fma_f32 v[116:117], v[110:111], v[100:101], v[114:115] op_sel:[0,0,1] op_sel_hi:[1,1,0] neg_lo:[0,0,1] neg_hi:[0,0,1]
	v_pk_fma_f32 v[110:111], v[110:111], v[100:101], v[114:115] op_sel:[0,0,1] op_sel_hi:[1,0,0]
	v_mov_b32_e32 v117, v111
	v_pk_mul_f32 v[110:111], v[112:113], v[102:103] op_sel:[0,1]
	s_delay_alu instid0(VALU_DEP_1) | instskip(SKIP_1) | instid1(VALU_DEP_1)
	v_pk_fma_f32 v[114:115], v[112:113], v[100:101], v[110:111] op_sel:[0,0,1] op_sel_hi:[1,1,0] neg_lo:[0,0,1] neg_hi:[0,0,1]
	v_pk_fma_f32 v[110:111], v[112:113], v[100:101], v[110:111] op_sel:[0,0,1] op_sel_hi:[1,0,0]
	v_mov_b32_e32 v115, v111
	ds_load_2addr_b64 v[110:113], v104 offset0:31 offset1:32
	v_pk_add_f32 v[62:63], v[62:63], v[116:117] neg_lo:[0,1] neg_hi:[0,1]
	v_pk_add_f32 v[20:21], v[20:21], v[114:115] neg_lo:[0,1] neg_hi:[0,1]
	s_wait_dscnt 0x0
	v_dual_mul_f32 v114, v111, v103 :: v_dual_mul_f32 v116, v111, v100
	s_delay_alu instid0(VALU_DEP_1) | instskip(NEXT) | instid1(VALU_DEP_2)
	v_pk_fma_f32 v[114:115], v[110:111], v[88:89], v[114:115] op_sel_hi:[1,1,0] neg_lo:[0,0,1] neg_hi:[0,0,1]
	v_pk_fma_f32 v[110:111], v[110:111], v[88:89], v[116:117] op_sel:[1,0,0] op_sel_hi:[0,1,0]
	s_delay_alu instid0(VALU_DEP_1) | instskip(SKIP_1) | instid1(VALU_DEP_2)
	v_mov_b32_e32 v115, v111
	v_pk_mul_f32 v[110:111], v[112:113], v[102:103] op_sel:[0,1]
	v_pk_add_f32 v[18:19], v[18:19], v[114:115] neg_lo:[0,1] neg_hi:[0,1]
	s_delay_alu instid0(VALU_DEP_2) | instskip(SKIP_1) | instid1(VALU_DEP_1)
	v_pk_fma_f32 v[114:115], v[112:113], v[100:101], v[110:111] op_sel:[0,0,1] op_sel_hi:[1,1,0] neg_lo:[0,0,1] neg_hi:[0,0,1]
	v_pk_fma_f32 v[110:111], v[112:113], v[100:101], v[110:111] op_sel:[0,0,1] op_sel_hi:[1,0,0]
	v_mov_b32_e32 v115, v111
	ds_load_2addr_b64 v[110:113], v104 offset0:33 offset1:34
	v_pk_add_f32 v[60:61], v[60:61], v[114:115] neg_lo:[0,1] neg_hi:[0,1]
	s_wait_dscnt 0x0
	v_pk_mul_f32 v[114:115], v[110:111], v[102:103] op_sel:[0,1]
	s_delay_alu instid0(VALU_DEP_1) | instskip(SKIP_1) | instid1(VALU_DEP_1)
	v_pk_fma_f32 v[116:117], v[110:111], v[100:101], v[114:115] op_sel:[0,0,1] op_sel_hi:[1,1,0] neg_lo:[0,0,1] neg_hi:[0,0,1]
	v_pk_fma_f32 v[110:111], v[110:111], v[100:101], v[114:115] op_sel:[0,0,1] op_sel_hi:[1,0,0]
	v_mov_b32_e32 v117, v111
	v_pk_mul_f32 v[110:111], v[112:113], v[102:103] op_sel:[0,1]
	s_delay_alu instid0(VALU_DEP_2) | instskip(NEXT) | instid1(VALU_DEP_2)
	v_pk_add_f32 v[58:59], v[58:59], v[116:117] neg_lo:[0,1] neg_hi:[0,1]
	v_pk_fma_f32 v[114:115], v[112:113], v[100:101], v[110:111] op_sel:[0,0,1] op_sel_hi:[1,1,0] neg_lo:[0,0,1] neg_hi:[0,0,1]
	v_pk_fma_f32 v[110:111], v[112:113], v[100:101], v[110:111] op_sel:[0,0,1] op_sel_hi:[1,0,0]
	s_delay_alu instid0(VALU_DEP_1) | instskip(SKIP_4) | instid1(VALU_DEP_1)
	v_mov_b32_e32 v115, v111
	ds_load_2addr_b64 v[110:113], v104 offset0:35 offset1:36
	v_pk_add_f32 v[16:17], v[16:17], v[114:115] neg_lo:[0,1] neg_hi:[0,1]
	s_wait_dscnt 0x0
	v_pk_mul_f32 v[114:115], v[110:111], v[102:103] op_sel:[0,1]
	v_pk_fma_f32 v[116:117], v[110:111], v[100:101], v[114:115] op_sel:[0,0,1] op_sel_hi:[1,1,0] neg_lo:[0,0,1] neg_hi:[0,0,1]
	v_pk_fma_f32 v[110:111], v[110:111], v[100:101], v[114:115] op_sel:[0,0,1] op_sel_hi:[1,0,0]
	v_dual_mul_f32 v114, v113, v103 :: v_dual_mov_b32 v110, v113
	s_delay_alu instid0(VALU_DEP_2) | instskip(NEXT) | instid1(VALU_DEP_2)
	v_dual_mov_b32 v117, v111 :: v_dual_mov_b32 v111, v112
	v_pk_fma_f32 v[114:115], v[112:113], v[88:89], v[114:115] op_sel_hi:[1,1,0] neg_lo:[0,0,1] neg_hi:[0,0,1]
	v_mul_f32_e32 v112, v113, v100
	s_delay_alu instid0(VALU_DEP_3) | instskip(NEXT) | instid1(VALU_DEP_2)
	v_pk_add_f32 v[14:15], v[14:15], v[116:117] neg_lo:[0,1] neg_hi:[0,1]
	v_pk_fma_f32 v[110:111], v[110:111], v[88:89], v[112:113] op_sel_hi:[1,1,0]
	s_delay_alu instid0(VALU_DEP_1) | instskip(SKIP_4) | instid1(VALU_DEP_1)
	v_mov_b32_e32 v115, v111
	ds_load_2addr_b64 v[110:113], v104 offset0:37 offset1:38
	v_pk_add_f32 v[56:57], v[56:57], v[114:115] neg_lo:[0,1] neg_hi:[0,1]
	s_wait_dscnt 0x0
	v_pk_mul_f32 v[114:115], v[110:111], v[102:103] op_sel:[0,1]
	v_pk_fma_f32 v[116:117], v[110:111], v[100:101], v[114:115] op_sel:[0,0,1] op_sel_hi:[1,1,0] neg_lo:[0,0,1] neg_hi:[0,0,1]
	v_pk_fma_f32 v[110:111], v[110:111], v[100:101], v[114:115] op_sel:[0,0,1] op_sel_hi:[1,0,0]
	s_delay_alu instid0(VALU_DEP_1) | instskip(SKIP_1) | instid1(VALU_DEP_1)
	v_mov_b32_e32 v117, v111
	v_pk_mul_f32 v[110:111], v[112:113], v[102:103] op_sel:[0,1]
	v_pk_fma_f32 v[114:115], v[112:113], v[100:101], v[110:111] op_sel:[0,0,1] op_sel_hi:[1,1,0] neg_lo:[0,0,1] neg_hi:[0,0,1]
	v_pk_fma_f32 v[110:111], v[112:113], v[100:101], v[110:111] op_sel:[0,0,1] op_sel_hi:[1,0,0]
	s_delay_alu instid0(VALU_DEP_1)
	v_mov_b32_e32 v115, v111
	ds_load_2addr_b64 v[110:113], v104 offset0:39 offset1:40
	v_pk_add_f32 v[54:55], v[54:55], v[116:117] neg_lo:[0,1] neg_hi:[0,1]
	v_pk_add_f32 v[10:11], v[10:11], v[114:115] neg_lo:[0,1] neg_hi:[0,1]
	s_wait_dscnt 0x0
	v_pk_mul_f32 v[114:115], v[110:111], v[102:103] op_sel:[0,1]
	s_delay_alu instid0(VALU_DEP_1) | instskip(SKIP_1) | instid1(VALU_DEP_1)
	v_pk_fma_f32 v[116:117], v[110:111], v[100:101], v[114:115] op_sel:[0,0,1] op_sel_hi:[1,1,0] neg_lo:[0,0,1] neg_hi:[0,0,1]
	v_pk_fma_f32 v[110:111], v[110:111], v[100:101], v[114:115] op_sel:[0,0,1] op_sel_hi:[1,0,0]
	v_mov_b32_e32 v117, v111
	v_pk_mul_f32 v[110:111], v[112:113], v[102:103] op_sel:[0,1]
	s_delay_alu instid0(VALU_DEP_1) | instskip(SKIP_1) | instid1(VALU_DEP_1)
	v_pk_fma_f32 v[114:115], v[112:113], v[100:101], v[110:111] op_sel:[0,0,1] op_sel_hi:[1,1,0] neg_lo:[0,0,1] neg_hi:[0,0,1]
	v_pk_fma_f32 v[110:111], v[112:113], v[100:101], v[110:111] op_sel:[0,0,1] op_sel_hi:[1,0,0]
	v_mov_b32_e32 v115, v111
	ds_load_2addr_b64 v[110:113], v104 offset0:41 offset1:42
	v_pk_add_f32 v[6:7], v[6:7], v[116:117] neg_lo:[0,1] neg_hi:[0,1]
	v_pk_add_f32 v[52:53], v[52:53], v[114:115] neg_lo:[0,1] neg_hi:[0,1]
	s_wait_dscnt 0x0
	v_dual_mul_f32 v114, v111, v103 :: v_dual_mul_f32 v116, v111, v100
	s_delay_alu instid0(VALU_DEP_1) | instskip(NEXT) | instid1(VALU_DEP_2)
	v_pk_fma_f32 v[114:115], v[110:111], v[88:89], v[114:115] op_sel_hi:[1,1,0] neg_lo:[0,0,1] neg_hi:[0,0,1]
	v_pk_fma_f32 v[110:111], v[110:111], v[88:89], v[116:117] op_sel:[1,0,0] op_sel_hi:[0,1,0]
	s_delay_alu instid0(VALU_DEP_1) | instskip(SKIP_1) | instid1(VALU_DEP_2)
	v_mov_b32_e32 v115, v111
	v_pk_mul_f32 v[110:111], v[112:113], v[102:103] op_sel:[0,1]
	v_pk_add_f32 v[50:51], v[50:51], v[114:115] neg_lo:[0,1] neg_hi:[0,1]
	s_delay_alu instid0(VALU_DEP_2) | instskip(SKIP_1) | instid1(VALU_DEP_1)
	v_pk_fma_f32 v[114:115], v[112:113], v[100:101], v[110:111] op_sel:[0,0,1] op_sel_hi:[1,1,0] neg_lo:[0,0,1] neg_hi:[0,0,1]
	v_pk_fma_f32 v[110:111], v[112:113], v[100:101], v[110:111] op_sel:[0,0,1] op_sel_hi:[1,0,0]
	v_mov_b32_e32 v115, v111
	ds_load_2addr_b64 v[110:113], v104 offset0:43 offset1:44
	v_pk_add_f32 v[8:9], v[8:9], v[114:115] neg_lo:[0,1] neg_hi:[0,1]
	s_wait_dscnt 0x0
	v_pk_mul_f32 v[114:115], v[110:111], v[102:103] op_sel:[0,1]
	s_delay_alu instid0(VALU_DEP_1) | instskip(SKIP_1) | instid1(VALU_DEP_1)
	v_pk_fma_f32 v[116:117], v[110:111], v[100:101], v[114:115] op_sel:[0,0,1] op_sel_hi:[1,1,0] neg_lo:[0,0,1] neg_hi:[0,0,1]
	v_pk_fma_f32 v[110:111], v[110:111], v[100:101], v[114:115] op_sel:[0,0,1] op_sel_hi:[1,0,0]
	v_mov_b32_e32 v117, v111
	v_pk_mul_f32 v[110:111], v[112:113], v[102:103] op_sel:[0,1]
	s_delay_alu instid0(VALU_DEP_2) | instskip(NEXT) | instid1(VALU_DEP_2)
	v_pk_add_f32 v[40:41], v[40:41], v[116:117] neg_lo:[0,1] neg_hi:[0,1]
	v_pk_fma_f32 v[114:115], v[112:113], v[100:101], v[110:111] op_sel:[0,0,1] op_sel_hi:[1,1,0] neg_lo:[0,0,1] neg_hi:[0,0,1]
	v_pk_fma_f32 v[110:111], v[112:113], v[100:101], v[110:111] op_sel:[0,0,1] op_sel_hi:[1,0,0]
	s_delay_alu instid0(VALU_DEP_1)
	v_mov_b32_e32 v115, v111
	ds_load_2addr_b64 v[110:113], v104 offset0:45 offset1:46
	v_pk_add_f32 v[30:31], v[30:31], v[114:115] neg_lo:[0,1] neg_hi:[0,1]
	s_wait_dscnt 0x0
	v_pk_mul_f32 v[114:115], v[110:111], v[102:103] op_sel:[0,1]
	v_pk_mul_f32 v[102:103], v[112:113], v[102:103] op_sel:[0,1]
	s_delay_alu instid0(VALU_DEP_2) | instskip(SKIP_1) | instid1(VALU_DEP_1)
	v_pk_fma_f32 v[116:117], v[110:111], v[100:101], v[114:115] op_sel:[0,0,1] op_sel_hi:[1,1,0] neg_lo:[0,0,1] neg_hi:[0,0,1]
	v_pk_fma_f32 v[110:111], v[110:111], v[100:101], v[114:115] op_sel:[0,0,1] op_sel_hi:[1,0,0]
	v_mov_b32_e32 v117, v111
	s_delay_alu instid0(VALU_DEP_4) | instskip(SKIP_1) | instid1(VALU_DEP_3)
	v_pk_fma_f32 v[110:111], v[112:113], v[100:101], v[102:103] op_sel:[0,0,1] op_sel_hi:[1,1,0] neg_lo:[0,0,1] neg_hi:[0,0,1]
	v_pk_fma_f32 v[100:101], v[112:113], v[100:101], v[102:103] op_sel:[0,0,1] op_sel_hi:[1,0,0]
	v_pk_add_f32 v[12:13], v[12:13], v[116:117] neg_lo:[0,1] neg_hi:[0,1]
	s_delay_alu instid0(VALU_DEP_2) | instskip(NEXT) | instid1(VALU_DEP_1)
	v_mov_b32_e32 v111, v101
	v_pk_add_f32 v[98:99], v[98:99], v[110:111] neg_lo:[0,1] neg_hi:[0,1]
.LBB92_272:
	s_or_b32 exec_lo, exec_lo, s0
	v_lshl_add_u32 v100, v108, 3, v104
	s_barrier_signal -1
	s_barrier_wait -1
	ds_store_b64 v100, v[86:87]
	s_wait_dscnt 0x0
	s_barrier_signal -1
	s_barrier_wait -1
	ds_load_b64 v[102:103], v104 offset:104
	v_mov_b32_e32 v100, 13
	s_cmp_lt_i32 s18, 15
	s_cbranch_scc1 .LBB92_275
; %bb.273:
	v_add3_u32 v101, v105, 0, 0x70
	v_mov_b32_e32 v100, 13
	s_mov_b32 s0, 14
.LBB92_274:                             ; =>This Inner Loop Header: Depth=1
	ds_load_b64 v[110:111], v101
	s_wait_dscnt 0x1
	v_cmp_gt_f32_e32 vcc_lo, 0, v102
	v_cndmask_b32_e64 v112, v102, -v102, vcc_lo
	v_cmp_gt_f32_e32 vcc_lo, 0, v103
	v_cndmask_b32_e64 v114, v103, -v103, vcc_lo
	s_wait_dscnt 0x0
	v_cmp_gt_f32_e32 vcc_lo, 0, v110
	v_cndmask_b32_e64 v113, v110, -v110, vcc_lo
	v_cmp_gt_f32_e32 vcc_lo, 0, v111
	v_cndmask_b32_e64 v115, v111, -v111, vcc_lo
	s_delay_alu instid0(VALU_DEP_1) | instskip(NEXT) | instid1(VALU_DEP_1)
	v_pk_add_f32 v[112:113], v[112:113], v[114:115]
	v_cmp_lt_f32_e32 vcc_lo, v112, v113
	v_dual_add_nc_u32 v101, 8, v101 :: v_dual_cndmask_b32 v103, v103, v111, vcc_lo
	v_cndmask_b32_e32 v102, v102, v110, vcc_lo
	v_cndmask_b32_e64 v100, v100, s0, vcc_lo
	s_add_co_i32 s0, s0, 1
	s_delay_alu instid0(SALU_CYCLE_1)
	s_cmp_lg_u32 s18, s0
	s_cbranch_scc1 .LBB92_274
.LBB92_275:
	s_wait_dscnt 0x0
	v_cmp_eq_f32_e32 vcc_lo, 0, v102
	v_cmp_eq_f32_e64 s0, 0, v103
	s_and_b32 s0, vcc_lo, s0
	s_delay_alu instid0(SALU_CYCLE_1) | instskip(NEXT) | instid1(SALU_CYCLE_1)
	s_and_saveexec_b32 s1, s0
	s_xor_b32 s0, exec_lo, s1
; %bb.276:
	v_cmp_ne_u32_e32 vcc_lo, 0, v106
	v_cndmask_b32_e32 v106, 14, v106, vcc_lo
; %bb.277:
	s_and_not1_saveexec_b32 s0, s0
	s_cbranch_execz .LBB92_283
; %bb.278:
	v_cmp_ngt_f32_e64 s1, |v102|, |v103|
	s_and_saveexec_b32 s12, s1
	s_delay_alu instid0(SALU_CYCLE_1)
	s_xor_b32 s1, exec_lo, s12
	s_cbranch_execz .LBB92_280
; %bb.279:
	v_div_scale_f32 v101, null, v103, v103, v102
	v_div_scale_f32 v111, vcc_lo, v102, v103, v102
	s_delay_alu instid0(VALU_DEP_2) | instskip(SKIP_1) | instid1(TRANS32_DEP_1)
	v_rcp_f32_e32 v109, v101
	v_nop
	v_fma_f32 v110, -v101, v109, 1.0
	s_delay_alu instid0(VALU_DEP_1) | instskip(NEXT) | instid1(VALU_DEP_1)
	v_fmac_f32_e32 v109, v110, v109
	v_mul_f32_e32 v110, v111, v109
	s_delay_alu instid0(VALU_DEP_1) | instskip(NEXT) | instid1(VALU_DEP_1)
	v_fma_f32 v112, -v101, v110, v111
	v_fmac_f32_e32 v110, v112, v109
	s_delay_alu instid0(VALU_DEP_1) | instskip(NEXT) | instid1(VALU_DEP_1)
	v_fma_f32 v101, -v101, v110, v111
	v_div_fmas_f32 v101, v101, v109, v110
	s_delay_alu instid0(VALU_DEP_1) | instskip(NEXT) | instid1(VALU_DEP_1)
	v_div_fixup_f32 v101, v101, v103, v102
	v_fmac_f32_e32 v103, v102, v101
	s_delay_alu instid0(VALU_DEP_1) | instskip(SKIP_1) | instid1(VALU_DEP_2)
	v_div_scale_f32 v102, null, v103, v103, 1.0
	v_div_scale_f32 v111, vcc_lo, 1.0, v103, 1.0
	v_rcp_f32_e32 v109, v102
	v_nop
	s_delay_alu instid0(TRANS32_DEP_1) | instskip(NEXT) | instid1(VALU_DEP_1)
	v_fma_f32 v110, -v102, v109, 1.0
	v_fmac_f32_e32 v109, v110, v109
	s_delay_alu instid0(VALU_DEP_1) | instskip(NEXT) | instid1(VALU_DEP_1)
	v_mul_f32_e32 v110, v111, v109
	v_fma_f32 v112, -v102, v110, v111
	s_delay_alu instid0(VALU_DEP_1) | instskip(NEXT) | instid1(VALU_DEP_1)
	v_fmac_f32_e32 v110, v112, v109
	v_fma_f32 v102, -v102, v110, v111
	s_delay_alu instid0(VALU_DEP_1) | instskip(NEXT) | instid1(VALU_DEP_1)
	v_div_fmas_f32 v102, v102, v109, v110
	v_div_fixup_f32 v103, v102, v103, 1.0
	s_delay_alu instid0(VALU_DEP_1)
	v_mul_f32_e32 v102, v101, v103
	v_xor_b32_e32 v103, 0x80000000, v103
.LBB92_280:
	s_and_not1_saveexec_b32 s1, s1
	s_cbranch_execz .LBB92_282
; %bb.281:
	s_delay_alu instid0(VALU_DEP_1) | instskip(SKIP_1) | instid1(VALU_DEP_2)
	v_div_scale_f32 v101, null, v102, v102, v103
	v_div_scale_f32 v111, vcc_lo, v103, v102, v103
	v_rcp_f32_e32 v109, v101
	v_nop
	s_delay_alu instid0(TRANS32_DEP_1) | instskip(NEXT) | instid1(VALU_DEP_1)
	v_fma_f32 v110, -v101, v109, 1.0
	v_fmac_f32_e32 v109, v110, v109
	s_delay_alu instid0(VALU_DEP_1) | instskip(NEXT) | instid1(VALU_DEP_1)
	v_mul_f32_e32 v110, v111, v109
	v_fma_f32 v112, -v101, v110, v111
	s_delay_alu instid0(VALU_DEP_1) | instskip(NEXT) | instid1(VALU_DEP_1)
	v_fmac_f32_e32 v110, v112, v109
	v_fma_f32 v101, -v101, v110, v111
	s_delay_alu instid0(VALU_DEP_1) | instskip(NEXT) | instid1(VALU_DEP_1)
	v_div_fmas_f32 v101, v101, v109, v110
	v_div_fixup_f32 v101, v101, v102, v103
	s_delay_alu instid0(VALU_DEP_1) | instskip(NEXT) | instid1(VALU_DEP_1)
	v_fmac_f32_e32 v102, v103, v101
	v_div_scale_f32 v103, null, v102, v102, 1.0
	s_delay_alu instid0(VALU_DEP_1) | instskip(SKIP_1) | instid1(TRANS32_DEP_1)
	v_rcp_f32_e32 v109, v103
	v_nop
	v_fma_f32 v110, -v103, v109, 1.0
	s_delay_alu instid0(VALU_DEP_1) | instskip(SKIP_1) | instid1(VALU_DEP_1)
	v_fmac_f32_e32 v109, v110, v109
	v_div_scale_f32 v110, vcc_lo, 1.0, v102, 1.0
	v_mul_f32_e32 v111, v110, v109
	s_delay_alu instid0(VALU_DEP_1) | instskip(NEXT) | instid1(VALU_DEP_1)
	v_fma_f32 v112, -v103, v111, v110
	v_fmac_f32_e32 v111, v112, v109
	s_delay_alu instid0(VALU_DEP_1) | instskip(NEXT) | instid1(VALU_DEP_1)
	v_fma_f32 v103, -v103, v111, v110
	v_div_fmas_f32 v103, v103, v109, v111
	s_delay_alu instid0(VALU_DEP_1) | instskip(NEXT) | instid1(VALU_DEP_1)
	v_div_fixup_f32 v102, v103, v102, 1.0
	v_mul_f32_e64 v103, v101, -v102
.LBB92_282:
	s_or_b32 exec_lo, exec_lo, s1
.LBB92_283:
	s_delay_alu instid0(SALU_CYCLE_1) | instskip(NEXT) | instid1(SALU_CYCLE_1)
	s_or_b32 exec_lo, exec_lo, s0
	s_mov_b32 s0, exec_lo
	v_cmpx_ne_u32_e64 v108, v100
	s_xor_b32 s0, exec_lo, s0
	s_cbranch_execz .LBB92_289
; %bb.284:
	s_mov_b32 s1, exec_lo
	v_cmpx_eq_u32_e32 13, v108
	s_cbranch_execz .LBB92_288
; %bb.285:
	v_cmp_ne_u32_e32 vcc_lo, 13, v100
	s_xor_b32 s12, s16, -1
	s_delay_alu instid0(SALU_CYCLE_1) | instskip(NEXT) | instid1(SALU_CYCLE_1)
	s_and_b32 s13, s12, vcc_lo
	s_and_saveexec_b32 s12, s13
	s_cbranch_execz .LBB92_287
; %bb.286:
	v_ashrrev_i32_e32 v101, 31, v100
	s_delay_alu instid0(VALU_DEP_1)
	v_lshl_add_u64 v[108:109], v[100:101], 2, v[4:5]
	s_clause 0x1
	global_load_b32 v101, v[108:109], off
	global_load_b32 v107, v[4:5], off offset:52
	s_wait_loadcnt 0x1
	global_store_b32 v[4:5], v101, off offset:52
	s_wait_loadcnt 0x0
	global_store_b32 v[108:109], v107, off
.LBB92_287:
	s_wait_xcnt 0x0
	s_or_b32 exec_lo, exec_lo, s12
	v_dual_mov_b32 v108, v100 :: v_dual_mov_b32 v107, v100
.LBB92_288:
	s_or_b32 exec_lo, exec_lo, s1
.LBB92_289:
	s_and_not1_saveexec_b32 s0, s0
	s_cbranch_execz .LBB92_291
; %bb.290:
	v_dual_mov_b32 v100, v48 :: v_dual_mov_b32 v101, v49
	v_dual_mov_b32 v108, v46 :: v_dual_mov_b32 v109, v47
	ds_store_2addr_b64 v104, v[100:101], v[108:109] offset0:14 offset1:15
	v_dual_mov_b32 v100, v84 :: v_dual_mov_b32 v101, v85
	v_dual_mov_b32 v108, v82 :: v_dual_mov_b32 v109, v83
	ds_store_2addr_b64 v104, v[100:101], v[108:109] offset0:16 offset1:17
	;; [unrolled: 3-line block ×16, first 2 shown]
	ds_store_b64 v104, v[98:99] offset:368
	v_mov_b32_e32 v108, 13
.LBB92_291:
	s_or_b32 exec_lo, exec_lo, s0
	s_delay_alu instid0(SALU_CYCLE_1)
	s_mov_b32 s0, exec_lo
	s_wait_storecnt_dscnt 0x0
	s_barrier_signal -1
	s_barrier_wait -1
	v_cmpx_lt_i32_e32 13, v108
	s_cbranch_execz .LBB92_293
; %bb.292:
	v_pk_mul_f32 v[110:111], v[102:103], v[86:87] op_sel:[1,1] op_sel_hi:[0,1]
	s_delay_alu instid0(VALU_DEP_1)
	v_pk_fma_f32 v[100:101], v[102:103], v[86:87], v[110:111] op_sel_hi:[1,0,1] neg_lo:[0,0,1] neg_hi:[0,0,1]
	v_pk_fma_f32 v[102:103], v[102:103], v[86:87], v[110:111] op_sel_hi:[1,0,1]
	ds_load_2addr_b64 v[110:113], v104 offset0:14 offset1:15
	v_dual_mov_b32 v86, v100 :: v_dual_mov_b32 v87, v103
	s_wait_dscnt 0x0
	v_pk_mul_f32 v[114:115], v[110:111], v[102:103] op_sel:[0,1]
	s_delay_alu instid0(VALU_DEP_1) | instskip(SKIP_1) | instid1(VALU_DEP_1)
	v_pk_fma_f32 v[116:117], v[110:111], v[100:101], v[114:115] op_sel:[0,0,1] op_sel_hi:[1,1,0] neg_lo:[0,0,1] neg_hi:[0,0,1]
	v_pk_fma_f32 v[110:111], v[110:111], v[100:101], v[114:115] op_sel:[0,0,1] op_sel_hi:[1,0,0]
	v_mov_b32_e32 v117, v111
	v_pk_mul_f32 v[110:111], v[112:113], v[102:103] op_sel:[0,1]
	s_delay_alu instid0(VALU_DEP_1) | instskip(SKIP_1) | instid1(VALU_DEP_1)
	v_pk_fma_f32 v[114:115], v[112:113], v[100:101], v[110:111] op_sel:[0,0,1] op_sel_hi:[1,1,0] neg_lo:[0,0,1] neg_hi:[0,0,1]
	v_pk_fma_f32 v[110:111], v[112:113], v[100:101], v[110:111] op_sel:[0,0,1] op_sel_hi:[1,0,0]
	v_mov_b32_e32 v115, v111
	ds_load_2addr_b64 v[110:113], v104 offset0:16 offset1:17
	v_pk_add_f32 v[48:49], v[48:49], v[116:117] neg_lo:[0,1] neg_hi:[0,1]
	v_pk_add_f32 v[46:47], v[46:47], v[114:115] neg_lo:[0,1] neg_hi:[0,1]
	s_wait_dscnt 0x0
	v_pk_mul_f32 v[114:115], v[110:111], v[102:103] op_sel:[0,1]
	s_delay_alu instid0(VALU_DEP_1) | instskip(SKIP_2) | instid1(VALU_DEP_2)
	v_pk_fma_f32 v[116:117], v[110:111], v[100:101], v[114:115] op_sel:[0,0,1] op_sel_hi:[1,1,0] neg_lo:[0,0,1] neg_hi:[0,0,1]
	v_pk_fma_f32 v[110:111], v[110:111], v[100:101], v[114:115] op_sel:[0,0,1] op_sel_hi:[1,0,0]
	v_dual_mul_f32 v114, v113, v103 :: v_dual_mov_b32 v110, v113
	v_dual_mov_b32 v117, v111 :: v_dual_mov_b32 v111, v112
	s_delay_alu instid0(VALU_DEP_2) | instskip(SKIP_1) | instid1(VALU_DEP_3)
	v_pk_fma_f32 v[114:115], v[112:113], v[86:87], v[114:115] op_sel_hi:[1,1,0] neg_lo:[0,0,1] neg_hi:[0,0,1]
	v_mul_f32_e32 v112, v113, v100
	v_pk_add_f32 v[84:85], v[84:85], v[116:117] neg_lo:[0,1] neg_hi:[0,1]
	s_delay_alu instid0(VALU_DEP_2) | instskip(NEXT) | instid1(VALU_DEP_1)
	v_pk_fma_f32 v[110:111], v[110:111], v[86:87], v[112:113] op_sel_hi:[1,1,0]
	v_mov_b32_e32 v115, v111
	ds_load_2addr_b64 v[110:113], v104 offset0:18 offset1:19
	v_pk_add_f32 v[82:83], v[82:83], v[114:115] neg_lo:[0,1] neg_hi:[0,1]
	s_wait_dscnt 0x0
	v_pk_mul_f32 v[114:115], v[110:111], v[102:103] op_sel:[0,1]
	s_delay_alu instid0(VALU_DEP_1) | instskip(SKIP_1) | instid1(VALU_DEP_1)
	v_pk_fma_f32 v[116:117], v[110:111], v[100:101], v[114:115] op_sel:[0,0,1] op_sel_hi:[1,1,0] neg_lo:[0,0,1] neg_hi:[0,0,1]
	v_pk_fma_f32 v[110:111], v[110:111], v[100:101], v[114:115] op_sel:[0,0,1] op_sel_hi:[1,0,0]
	v_mov_b32_e32 v117, v111
	v_pk_mul_f32 v[110:111], v[112:113], v[102:103] op_sel:[0,1]
	s_delay_alu instid0(VALU_DEP_1) | instskip(SKIP_1) | instid1(VALU_DEP_1)
	v_pk_fma_f32 v[114:115], v[112:113], v[100:101], v[110:111] op_sel:[0,0,1] op_sel_hi:[1,1,0] neg_lo:[0,0,1] neg_hi:[0,0,1]
	v_pk_fma_f32 v[110:111], v[112:113], v[100:101], v[110:111] op_sel:[0,0,1] op_sel_hi:[1,0,0]
	v_mov_b32_e32 v115, v111
	ds_load_2addr_b64 v[110:113], v104 offset0:20 offset1:21
	v_pk_add_f32 v[44:45], v[44:45], v[116:117] neg_lo:[0,1] neg_hi:[0,1]
	v_pk_add_f32 v[42:43], v[42:43], v[114:115] neg_lo:[0,1] neg_hi:[0,1]
	s_wait_dscnt 0x0
	v_pk_mul_f32 v[114:115], v[110:111], v[102:103] op_sel:[0,1]
	s_delay_alu instid0(VALU_DEP_1) | instskip(SKIP_1) | instid1(VALU_DEP_1)
	v_pk_fma_f32 v[116:117], v[110:111], v[100:101], v[114:115] op_sel:[0,0,1] op_sel_hi:[1,1,0] neg_lo:[0,0,1] neg_hi:[0,0,1]
	v_pk_fma_f32 v[110:111], v[110:111], v[100:101], v[114:115] op_sel:[0,0,1] op_sel_hi:[1,0,0]
	v_mov_b32_e32 v117, v111
	v_pk_mul_f32 v[110:111], v[112:113], v[102:103] op_sel:[0,1]
	s_delay_alu instid0(VALU_DEP_1) | instskip(SKIP_1) | instid1(VALU_DEP_1)
	v_pk_fma_f32 v[114:115], v[112:113], v[100:101], v[110:111] op_sel:[0,0,1] op_sel_hi:[1,1,0] neg_lo:[0,0,1] neg_hi:[0,0,1]
	v_pk_fma_f32 v[110:111], v[112:113], v[100:101], v[110:111] op_sel:[0,0,1] op_sel_hi:[1,0,0]
	v_mov_b32_e32 v115, v111
	ds_load_2addr_b64 v[110:113], v104 offset0:22 offset1:23
	v_pk_add_f32 v[80:81], v[80:81], v[116:117] neg_lo:[0,1] neg_hi:[0,1]
	v_pk_add_f32 v[78:79], v[78:79], v[114:115] neg_lo:[0,1] neg_hi:[0,1]
	s_wait_dscnt 0x0
	v_dual_mul_f32 v114, v111, v103 :: v_dual_mul_f32 v116, v111, v100
	s_delay_alu instid0(VALU_DEP_1) | instskip(NEXT) | instid1(VALU_DEP_2)
	v_pk_fma_f32 v[114:115], v[110:111], v[86:87], v[114:115] op_sel_hi:[1,1,0] neg_lo:[0,0,1] neg_hi:[0,0,1]
	v_pk_fma_f32 v[110:111], v[110:111], v[86:87], v[116:117] op_sel:[1,0,0] op_sel_hi:[0,1,0]
	s_delay_alu instid0(VALU_DEP_1) | instskip(SKIP_1) | instid1(VALU_DEP_2)
	v_mov_b32_e32 v115, v111
	v_pk_mul_f32 v[110:111], v[112:113], v[102:103] op_sel:[0,1]
	v_pk_add_f32 v[38:39], v[38:39], v[114:115] neg_lo:[0,1] neg_hi:[0,1]
	s_delay_alu instid0(VALU_DEP_2) | instskip(SKIP_1) | instid1(VALU_DEP_1)
	v_pk_fma_f32 v[114:115], v[112:113], v[100:101], v[110:111] op_sel:[0,0,1] op_sel_hi:[1,1,0] neg_lo:[0,0,1] neg_hi:[0,0,1]
	v_pk_fma_f32 v[110:111], v[112:113], v[100:101], v[110:111] op_sel:[0,0,1] op_sel_hi:[1,0,0]
	v_mov_b32_e32 v115, v111
	ds_load_2addr_b64 v[110:113], v104 offset0:24 offset1:25
	v_pk_add_f32 v[36:37], v[36:37], v[114:115] neg_lo:[0,1] neg_hi:[0,1]
	s_wait_dscnt 0x0
	v_pk_mul_f32 v[114:115], v[110:111], v[102:103] op_sel:[0,1]
	s_delay_alu instid0(VALU_DEP_1) | instskip(SKIP_1) | instid1(VALU_DEP_1)
	v_pk_fma_f32 v[116:117], v[110:111], v[100:101], v[114:115] op_sel:[0,0,1] op_sel_hi:[1,1,0] neg_lo:[0,0,1] neg_hi:[0,0,1]
	v_pk_fma_f32 v[110:111], v[110:111], v[100:101], v[114:115] op_sel:[0,0,1] op_sel_hi:[1,0,0]
	v_mov_b32_e32 v117, v111
	v_pk_mul_f32 v[110:111], v[112:113], v[102:103] op_sel:[0,1]
	s_delay_alu instid0(VALU_DEP_2) | instskip(NEXT) | instid1(VALU_DEP_2)
	v_pk_add_f32 v[70:71], v[70:71], v[116:117] neg_lo:[0,1] neg_hi:[0,1]
	v_pk_fma_f32 v[114:115], v[112:113], v[100:101], v[110:111] op_sel:[0,0,1] op_sel_hi:[1,1,0] neg_lo:[0,0,1] neg_hi:[0,0,1]
	v_pk_fma_f32 v[110:111], v[112:113], v[100:101], v[110:111] op_sel:[0,0,1] op_sel_hi:[1,0,0]
	s_delay_alu instid0(VALU_DEP_1) | instskip(SKIP_4) | instid1(VALU_DEP_1)
	v_mov_b32_e32 v115, v111
	ds_load_2addr_b64 v[110:113], v104 offset0:26 offset1:27
	v_pk_add_f32 v[66:67], v[66:67], v[114:115] neg_lo:[0,1] neg_hi:[0,1]
	s_wait_dscnt 0x0
	v_pk_mul_f32 v[114:115], v[110:111], v[102:103] op_sel:[0,1]
	v_pk_fma_f32 v[116:117], v[110:111], v[100:101], v[114:115] op_sel:[0,0,1] op_sel_hi:[1,1,0] neg_lo:[0,0,1] neg_hi:[0,0,1]
	v_pk_fma_f32 v[110:111], v[110:111], v[100:101], v[114:115] op_sel:[0,0,1] op_sel_hi:[1,0,0]
	v_dual_mul_f32 v114, v113, v103 :: v_dual_mov_b32 v110, v113
	s_delay_alu instid0(VALU_DEP_2) | instskip(NEXT) | instid1(VALU_DEP_2)
	v_dual_mov_b32 v117, v111 :: v_dual_mov_b32 v111, v112
	v_pk_fma_f32 v[114:115], v[112:113], v[86:87], v[114:115] op_sel_hi:[1,1,0] neg_lo:[0,0,1] neg_hi:[0,0,1]
	v_mul_f32_e32 v112, v113, v100
	s_delay_alu instid0(VALU_DEP_3) | instskip(NEXT) | instid1(VALU_DEP_2)
	v_pk_add_f32 v[26:27], v[26:27], v[116:117] neg_lo:[0,1] neg_hi:[0,1]
	v_pk_fma_f32 v[110:111], v[110:111], v[86:87], v[112:113] op_sel_hi:[1,1,0]
	s_delay_alu instid0(VALU_DEP_1) | instskip(SKIP_4) | instid1(VALU_DEP_1)
	v_mov_b32_e32 v115, v111
	ds_load_2addr_b64 v[110:113], v104 offset0:28 offset1:29
	v_pk_add_f32 v[22:23], v[22:23], v[114:115] neg_lo:[0,1] neg_hi:[0,1]
	s_wait_dscnt 0x0
	v_pk_mul_f32 v[114:115], v[110:111], v[102:103] op_sel:[0,1]
	v_pk_fma_f32 v[116:117], v[110:111], v[100:101], v[114:115] op_sel:[0,0,1] op_sel_hi:[1,1,0] neg_lo:[0,0,1] neg_hi:[0,0,1]
	v_pk_fma_f32 v[110:111], v[110:111], v[100:101], v[114:115] op_sel:[0,0,1] op_sel_hi:[1,0,0]
	s_delay_alu instid0(VALU_DEP_1) | instskip(SKIP_1) | instid1(VALU_DEP_1)
	v_mov_b32_e32 v117, v111
	v_pk_mul_f32 v[110:111], v[112:113], v[102:103] op_sel:[0,1]
	v_pk_fma_f32 v[114:115], v[112:113], v[100:101], v[110:111] op_sel:[0,0,1] op_sel_hi:[1,1,0] neg_lo:[0,0,1] neg_hi:[0,0,1]
	v_pk_fma_f32 v[110:111], v[112:113], v[100:101], v[110:111] op_sel:[0,0,1] op_sel_hi:[1,0,0]
	s_delay_alu instid0(VALU_DEP_1)
	v_mov_b32_e32 v115, v111
	ds_load_2addr_b64 v[110:113], v104 offset0:30 offset1:31
	v_pk_add_f32 v[64:65], v[64:65], v[116:117] neg_lo:[0,1] neg_hi:[0,1]
	v_pk_add_f32 v[62:63], v[62:63], v[114:115] neg_lo:[0,1] neg_hi:[0,1]
	s_wait_dscnt 0x0
	v_pk_mul_f32 v[114:115], v[110:111], v[102:103] op_sel:[0,1]
	s_delay_alu instid0(VALU_DEP_1) | instskip(SKIP_1) | instid1(VALU_DEP_1)
	v_pk_fma_f32 v[116:117], v[110:111], v[100:101], v[114:115] op_sel:[0,0,1] op_sel_hi:[1,1,0] neg_lo:[0,0,1] neg_hi:[0,0,1]
	v_pk_fma_f32 v[110:111], v[110:111], v[100:101], v[114:115] op_sel:[0,0,1] op_sel_hi:[1,0,0]
	v_mov_b32_e32 v117, v111
	v_pk_mul_f32 v[110:111], v[112:113], v[102:103] op_sel:[0,1]
	s_delay_alu instid0(VALU_DEP_1) | instskip(SKIP_1) | instid1(VALU_DEP_1)
	v_pk_fma_f32 v[114:115], v[112:113], v[100:101], v[110:111] op_sel:[0,0,1] op_sel_hi:[1,1,0] neg_lo:[0,0,1] neg_hi:[0,0,1]
	v_pk_fma_f32 v[110:111], v[112:113], v[100:101], v[110:111] op_sel:[0,0,1] op_sel_hi:[1,0,0]
	v_mov_b32_e32 v115, v111
	ds_load_2addr_b64 v[110:113], v104 offset0:32 offset1:33
	v_pk_add_f32 v[20:21], v[20:21], v[116:117] neg_lo:[0,1] neg_hi:[0,1]
	v_pk_add_f32 v[18:19], v[18:19], v[114:115] neg_lo:[0,1] neg_hi:[0,1]
	s_wait_dscnt 0x0
	v_dual_mul_f32 v114, v111, v103 :: v_dual_mul_f32 v116, v111, v100
	s_delay_alu instid0(VALU_DEP_1) | instskip(NEXT) | instid1(VALU_DEP_2)
	v_pk_fma_f32 v[114:115], v[110:111], v[86:87], v[114:115] op_sel_hi:[1,1,0] neg_lo:[0,0,1] neg_hi:[0,0,1]
	v_pk_fma_f32 v[110:111], v[110:111], v[86:87], v[116:117] op_sel:[1,0,0] op_sel_hi:[0,1,0]
	s_delay_alu instid0(VALU_DEP_1) | instskip(SKIP_1) | instid1(VALU_DEP_2)
	v_mov_b32_e32 v115, v111
	v_pk_mul_f32 v[110:111], v[112:113], v[102:103] op_sel:[0,1]
	v_pk_add_f32 v[60:61], v[60:61], v[114:115] neg_lo:[0,1] neg_hi:[0,1]
	s_delay_alu instid0(VALU_DEP_2) | instskip(SKIP_1) | instid1(VALU_DEP_1)
	v_pk_fma_f32 v[114:115], v[112:113], v[100:101], v[110:111] op_sel:[0,0,1] op_sel_hi:[1,1,0] neg_lo:[0,0,1] neg_hi:[0,0,1]
	v_pk_fma_f32 v[110:111], v[112:113], v[100:101], v[110:111] op_sel:[0,0,1] op_sel_hi:[1,0,0]
	v_mov_b32_e32 v115, v111
	ds_load_2addr_b64 v[110:113], v104 offset0:34 offset1:35
	v_pk_add_f32 v[58:59], v[58:59], v[114:115] neg_lo:[0,1] neg_hi:[0,1]
	s_wait_dscnt 0x0
	v_pk_mul_f32 v[114:115], v[110:111], v[102:103] op_sel:[0,1]
	s_delay_alu instid0(VALU_DEP_1) | instskip(SKIP_1) | instid1(VALU_DEP_1)
	v_pk_fma_f32 v[116:117], v[110:111], v[100:101], v[114:115] op_sel:[0,0,1] op_sel_hi:[1,1,0] neg_lo:[0,0,1] neg_hi:[0,0,1]
	v_pk_fma_f32 v[110:111], v[110:111], v[100:101], v[114:115] op_sel:[0,0,1] op_sel_hi:[1,0,0]
	v_mov_b32_e32 v117, v111
	v_pk_mul_f32 v[110:111], v[112:113], v[102:103] op_sel:[0,1]
	s_delay_alu instid0(VALU_DEP_2) | instskip(NEXT) | instid1(VALU_DEP_2)
	v_pk_add_f32 v[16:17], v[16:17], v[116:117] neg_lo:[0,1] neg_hi:[0,1]
	v_pk_fma_f32 v[114:115], v[112:113], v[100:101], v[110:111] op_sel:[0,0,1] op_sel_hi:[1,1,0] neg_lo:[0,0,1] neg_hi:[0,0,1]
	v_pk_fma_f32 v[110:111], v[112:113], v[100:101], v[110:111] op_sel:[0,0,1] op_sel_hi:[1,0,0]
	s_delay_alu instid0(VALU_DEP_1) | instskip(SKIP_4) | instid1(VALU_DEP_1)
	v_mov_b32_e32 v115, v111
	ds_load_2addr_b64 v[110:113], v104 offset0:36 offset1:37
	v_pk_add_f32 v[14:15], v[14:15], v[114:115] neg_lo:[0,1] neg_hi:[0,1]
	s_wait_dscnt 0x0
	v_pk_mul_f32 v[114:115], v[110:111], v[102:103] op_sel:[0,1]
	v_pk_fma_f32 v[116:117], v[110:111], v[100:101], v[114:115] op_sel:[0,0,1] op_sel_hi:[1,1,0] neg_lo:[0,0,1] neg_hi:[0,0,1]
	v_pk_fma_f32 v[110:111], v[110:111], v[100:101], v[114:115] op_sel:[0,0,1] op_sel_hi:[1,0,0]
	v_dual_mul_f32 v114, v113, v103 :: v_dual_mov_b32 v110, v113
	s_delay_alu instid0(VALU_DEP_2) | instskip(NEXT) | instid1(VALU_DEP_2)
	v_dual_mov_b32 v117, v111 :: v_dual_mov_b32 v111, v112
	v_pk_fma_f32 v[114:115], v[112:113], v[86:87], v[114:115] op_sel_hi:[1,1,0] neg_lo:[0,0,1] neg_hi:[0,0,1]
	v_mul_f32_e32 v112, v113, v100
	s_delay_alu instid0(VALU_DEP_3) | instskip(NEXT) | instid1(VALU_DEP_2)
	v_pk_add_f32 v[56:57], v[56:57], v[116:117] neg_lo:[0,1] neg_hi:[0,1]
	v_pk_fma_f32 v[110:111], v[110:111], v[86:87], v[112:113] op_sel_hi:[1,1,0]
	s_delay_alu instid0(VALU_DEP_1) | instskip(SKIP_4) | instid1(VALU_DEP_1)
	v_mov_b32_e32 v115, v111
	ds_load_2addr_b64 v[110:113], v104 offset0:38 offset1:39
	v_pk_add_f32 v[54:55], v[54:55], v[114:115] neg_lo:[0,1] neg_hi:[0,1]
	s_wait_dscnt 0x0
	v_pk_mul_f32 v[114:115], v[110:111], v[102:103] op_sel:[0,1]
	v_pk_fma_f32 v[116:117], v[110:111], v[100:101], v[114:115] op_sel:[0,0,1] op_sel_hi:[1,1,0] neg_lo:[0,0,1] neg_hi:[0,0,1]
	v_pk_fma_f32 v[110:111], v[110:111], v[100:101], v[114:115] op_sel:[0,0,1] op_sel_hi:[1,0,0]
	s_delay_alu instid0(VALU_DEP_1) | instskip(SKIP_1) | instid1(VALU_DEP_1)
	v_mov_b32_e32 v117, v111
	v_pk_mul_f32 v[110:111], v[112:113], v[102:103] op_sel:[0,1]
	v_pk_fma_f32 v[114:115], v[112:113], v[100:101], v[110:111] op_sel:[0,0,1] op_sel_hi:[1,1,0] neg_lo:[0,0,1] neg_hi:[0,0,1]
	v_pk_fma_f32 v[110:111], v[112:113], v[100:101], v[110:111] op_sel:[0,0,1] op_sel_hi:[1,0,0]
	s_delay_alu instid0(VALU_DEP_1)
	v_mov_b32_e32 v115, v111
	ds_load_2addr_b64 v[110:113], v104 offset0:40 offset1:41
	v_pk_add_f32 v[10:11], v[10:11], v[116:117] neg_lo:[0,1] neg_hi:[0,1]
	v_pk_add_f32 v[6:7], v[6:7], v[114:115] neg_lo:[0,1] neg_hi:[0,1]
	s_wait_dscnt 0x0
	v_pk_mul_f32 v[114:115], v[110:111], v[102:103] op_sel:[0,1]
	s_delay_alu instid0(VALU_DEP_1) | instskip(SKIP_1) | instid1(VALU_DEP_1)
	v_pk_fma_f32 v[116:117], v[110:111], v[100:101], v[114:115] op_sel:[0,0,1] op_sel_hi:[1,1,0] neg_lo:[0,0,1] neg_hi:[0,0,1]
	v_pk_fma_f32 v[110:111], v[110:111], v[100:101], v[114:115] op_sel:[0,0,1] op_sel_hi:[1,0,0]
	v_mov_b32_e32 v117, v111
	v_pk_mul_f32 v[110:111], v[112:113], v[102:103] op_sel:[0,1]
	s_delay_alu instid0(VALU_DEP_1) | instskip(SKIP_1) | instid1(VALU_DEP_1)
	v_pk_fma_f32 v[114:115], v[112:113], v[100:101], v[110:111] op_sel:[0,0,1] op_sel_hi:[1,1,0] neg_lo:[0,0,1] neg_hi:[0,0,1]
	v_pk_fma_f32 v[110:111], v[112:113], v[100:101], v[110:111] op_sel:[0,0,1] op_sel_hi:[1,0,0]
	v_mov_b32_e32 v115, v111
	ds_load_2addr_b64 v[110:113], v104 offset0:42 offset1:43
	v_pk_add_f32 v[52:53], v[52:53], v[116:117] neg_lo:[0,1] neg_hi:[0,1]
	v_pk_add_f32 v[50:51], v[50:51], v[114:115] neg_lo:[0,1] neg_hi:[0,1]
	s_wait_dscnt 0x0
	v_dual_mul_f32 v114, v111, v103 :: v_dual_mul_f32 v116, v111, v100
	s_delay_alu instid0(VALU_DEP_1) | instskip(NEXT) | instid1(VALU_DEP_2)
	v_pk_fma_f32 v[114:115], v[110:111], v[86:87], v[114:115] op_sel_hi:[1,1,0] neg_lo:[0,0,1] neg_hi:[0,0,1]
	v_pk_fma_f32 v[110:111], v[110:111], v[86:87], v[116:117] op_sel:[1,0,0] op_sel_hi:[0,1,0]
	s_delay_alu instid0(VALU_DEP_1) | instskip(SKIP_1) | instid1(VALU_DEP_2)
	v_mov_b32_e32 v115, v111
	v_pk_mul_f32 v[110:111], v[112:113], v[102:103] op_sel:[0,1]
	v_pk_add_f32 v[8:9], v[8:9], v[114:115] neg_lo:[0,1] neg_hi:[0,1]
	s_delay_alu instid0(VALU_DEP_2) | instskip(SKIP_1) | instid1(VALU_DEP_1)
	v_pk_fma_f32 v[114:115], v[112:113], v[100:101], v[110:111] op_sel:[0,0,1] op_sel_hi:[1,1,0] neg_lo:[0,0,1] neg_hi:[0,0,1]
	v_pk_fma_f32 v[110:111], v[112:113], v[100:101], v[110:111] op_sel:[0,0,1] op_sel_hi:[1,0,0]
	v_mov_b32_e32 v115, v111
	ds_load_2addr_b64 v[110:113], v104 offset0:44 offset1:45
	v_pk_add_f32 v[40:41], v[40:41], v[114:115] neg_lo:[0,1] neg_hi:[0,1]
	s_wait_dscnt 0x0
	v_pk_mul_f32 v[114:115], v[110:111], v[102:103] op_sel:[0,1]
	s_delay_alu instid0(VALU_DEP_1) | instskip(SKIP_1) | instid1(VALU_DEP_1)
	v_pk_fma_f32 v[116:117], v[110:111], v[100:101], v[114:115] op_sel:[0,0,1] op_sel_hi:[1,1,0] neg_lo:[0,0,1] neg_hi:[0,0,1]
	v_pk_fma_f32 v[110:111], v[110:111], v[100:101], v[114:115] op_sel:[0,0,1] op_sel_hi:[1,0,0]
	v_mov_b32_e32 v117, v111
	v_pk_mul_f32 v[110:111], v[112:113], v[102:103] op_sel:[0,1]
	s_delay_alu instid0(VALU_DEP_2) | instskip(NEXT) | instid1(VALU_DEP_2)
	v_pk_add_f32 v[30:31], v[30:31], v[116:117] neg_lo:[0,1] neg_hi:[0,1]
	v_pk_fma_f32 v[114:115], v[112:113], v[100:101], v[110:111] op_sel:[0,0,1] op_sel_hi:[1,1,0] neg_lo:[0,0,1] neg_hi:[0,0,1]
	v_pk_fma_f32 v[110:111], v[112:113], v[100:101], v[110:111] op_sel:[0,0,1] op_sel_hi:[1,0,0]
	s_delay_alu instid0(VALU_DEP_1) | instskip(SKIP_4) | instid1(VALU_DEP_1)
	v_mov_b32_e32 v115, v111
	ds_load_b64 v[110:111], v104 offset:368
	v_pk_add_f32 v[12:13], v[12:13], v[114:115] neg_lo:[0,1] neg_hi:[0,1]
	s_wait_dscnt 0x0
	v_pk_mul_f32 v[102:103], v[110:111], v[102:103] op_sel:[0,1]
	v_pk_fma_f32 v[112:113], v[110:111], v[100:101], v[102:103] op_sel:[0,0,1] op_sel_hi:[1,1,0] neg_lo:[0,0,1] neg_hi:[0,0,1]
	v_pk_fma_f32 v[100:101], v[110:111], v[100:101], v[102:103] op_sel:[0,0,1] op_sel_hi:[1,0,0]
	s_delay_alu instid0(VALU_DEP_1) | instskip(NEXT) | instid1(VALU_DEP_1)
	v_mov_b32_e32 v113, v101
	v_pk_add_f32 v[98:99], v[98:99], v[112:113] neg_lo:[0,1] neg_hi:[0,1]
.LBB92_293:
	s_or_b32 exec_lo, exec_lo, s0
	v_lshl_add_u32 v100, v108, 3, v104
	s_barrier_signal -1
	s_barrier_wait -1
	ds_store_b64 v100, v[48:49]
	s_wait_dscnt 0x0
	s_barrier_signal -1
	s_barrier_wait -1
	ds_load_b64 v[102:103], v104 offset:112
	v_mov_b32_e32 v100, 14
	s_cmp_lt_i32 s18, 16
	s_cbranch_scc1 .LBB92_296
; %bb.294:
	v_add3_u32 v101, v105, 0, 0x78
	v_mov_b32_e32 v100, 14
	s_mov_b32 s0, 15
.LBB92_295:                             ; =>This Inner Loop Header: Depth=1
	ds_load_b64 v[110:111], v101
	s_wait_dscnt 0x1
	v_cmp_gt_f32_e32 vcc_lo, 0, v102
	v_cndmask_b32_e64 v112, v102, -v102, vcc_lo
	v_cmp_gt_f32_e32 vcc_lo, 0, v103
	v_cndmask_b32_e64 v114, v103, -v103, vcc_lo
	s_wait_dscnt 0x0
	v_cmp_gt_f32_e32 vcc_lo, 0, v110
	v_cndmask_b32_e64 v113, v110, -v110, vcc_lo
	v_cmp_gt_f32_e32 vcc_lo, 0, v111
	v_cndmask_b32_e64 v115, v111, -v111, vcc_lo
	s_delay_alu instid0(VALU_DEP_1) | instskip(NEXT) | instid1(VALU_DEP_1)
	v_pk_add_f32 v[112:113], v[112:113], v[114:115]
	v_cmp_lt_f32_e32 vcc_lo, v112, v113
	v_dual_add_nc_u32 v101, 8, v101 :: v_dual_cndmask_b32 v103, v103, v111, vcc_lo
	v_cndmask_b32_e32 v102, v102, v110, vcc_lo
	v_cndmask_b32_e64 v100, v100, s0, vcc_lo
	s_add_co_i32 s0, s0, 1
	s_delay_alu instid0(SALU_CYCLE_1)
	s_cmp_lg_u32 s18, s0
	s_cbranch_scc1 .LBB92_295
.LBB92_296:
	s_wait_dscnt 0x0
	v_cmp_eq_f32_e32 vcc_lo, 0, v102
	v_cmp_eq_f32_e64 s0, 0, v103
	s_and_b32 s0, vcc_lo, s0
	s_delay_alu instid0(SALU_CYCLE_1) | instskip(NEXT) | instid1(SALU_CYCLE_1)
	s_and_saveexec_b32 s1, s0
	s_xor_b32 s0, exec_lo, s1
; %bb.297:
	v_cmp_ne_u32_e32 vcc_lo, 0, v106
	v_cndmask_b32_e32 v106, 15, v106, vcc_lo
; %bb.298:
	s_and_not1_saveexec_b32 s0, s0
	s_cbranch_execz .LBB92_304
; %bb.299:
	v_cmp_ngt_f32_e64 s1, |v102|, |v103|
	s_and_saveexec_b32 s12, s1
	s_delay_alu instid0(SALU_CYCLE_1)
	s_xor_b32 s1, exec_lo, s12
	s_cbranch_execz .LBB92_301
; %bb.300:
	v_div_scale_f32 v101, null, v103, v103, v102
	v_div_scale_f32 v111, vcc_lo, v102, v103, v102
	s_delay_alu instid0(VALU_DEP_2) | instskip(SKIP_1) | instid1(TRANS32_DEP_1)
	v_rcp_f32_e32 v109, v101
	v_nop
	v_fma_f32 v110, -v101, v109, 1.0
	s_delay_alu instid0(VALU_DEP_1) | instskip(NEXT) | instid1(VALU_DEP_1)
	v_fmac_f32_e32 v109, v110, v109
	v_mul_f32_e32 v110, v111, v109
	s_delay_alu instid0(VALU_DEP_1) | instskip(NEXT) | instid1(VALU_DEP_1)
	v_fma_f32 v112, -v101, v110, v111
	v_fmac_f32_e32 v110, v112, v109
	s_delay_alu instid0(VALU_DEP_1) | instskip(NEXT) | instid1(VALU_DEP_1)
	v_fma_f32 v101, -v101, v110, v111
	v_div_fmas_f32 v101, v101, v109, v110
	s_delay_alu instid0(VALU_DEP_1) | instskip(NEXT) | instid1(VALU_DEP_1)
	v_div_fixup_f32 v101, v101, v103, v102
	v_fmac_f32_e32 v103, v102, v101
	s_delay_alu instid0(VALU_DEP_1) | instskip(SKIP_1) | instid1(VALU_DEP_2)
	v_div_scale_f32 v102, null, v103, v103, 1.0
	v_div_scale_f32 v111, vcc_lo, 1.0, v103, 1.0
	v_rcp_f32_e32 v109, v102
	v_nop
	s_delay_alu instid0(TRANS32_DEP_1) | instskip(NEXT) | instid1(VALU_DEP_1)
	v_fma_f32 v110, -v102, v109, 1.0
	v_fmac_f32_e32 v109, v110, v109
	s_delay_alu instid0(VALU_DEP_1) | instskip(NEXT) | instid1(VALU_DEP_1)
	v_mul_f32_e32 v110, v111, v109
	v_fma_f32 v112, -v102, v110, v111
	s_delay_alu instid0(VALU_DEP_1) | instskip(NEXT) | instid1(VALU_DEP_1)
	v_fmac_f32_e32 v110, v112, v109
	v_fma_f32 v102, -v102, v110, v111
	s_delay_alu instid0(VALU_DEP_1) | instskip(NEXT) | instid1(VALU_DEP_1)
	v_div_fmas_f32 v102, v102, v109, v110
	v_div_fixup_f32 v103, v102, v103, 1.0
	s_delay_alu instid0(VALU_DEP_1)
	v_mul_f32_e32 v102, v101, v103
	v_xor_b32_e32 v103, 0x80000000, v103
.LBB92_301:
	s_and_not1_saveexec_b32 s1, s1
	s_cbranch_execz .LBB92_303
; %bb.302:
	s_delay_alu instid0(VALU_DEP_1) | instskip(SKIP_1) | instid1(VALU_DEP_2)
	v_div_scale_f32 v101, null, v102, v102, v103
	v_div_scale_f32 v111, vcc_lo, v103, v102, v103
	v_rcp_f32_e32 v109, v101
	v_nop
	s_delay_alu instid0(TRANS32_DEP_1) | instskip(NEXT) | instid1(VALU_DEP_1)
	v_fma_f32 v110, -v101, v109, 1.0
	v_fmac_f32_e32 v109, v110, v109
	s_delay_alu instid0(VALU_DEP_1) | instskip(NEXT) | instid1(VALU_DEP_1)
	v_mul_f32_e32 v110, v111, v109
	v_fma_f32 v112, -v101, v110, v111
	s_delay_alu instid0(VALU_DEP_1) | instskip(NEXT) | instid1(VALU_DEP_1)
	v_fmac_f32_e32 v110, v112, v109
	v_fma_f32 v101, -v101, v110, v111
	s_delay_alu instid0(VALU_DEP_1) | instskip(NEXT) | instid1(VALU_DEP_1)
	v_div_fmas_f32 v101, v101, v109, v110
	v_div_fixup_f32 v101, v101, v102, v103
	s_delay_alu instid0(VALU_DEP_1) | instskip(NEXT) | instid1(VALU_DEP_1)
	v_fmac_f32_e32 v102, v103, v101
	v_div_scale_f32 v103, null, v102, v102, 1.0
	s_delay_alu instid0(VALU_DEP_1) | instskip(SKIP_1) | instid1(TRANS32_DEP_1)
	v_rcp_f32_e32 v109, v103
	v_nop
	v_fma_f32 v110, -v103, v109, 1.0
	s_delay_alu instid0(VALU_DEP_1) | instskip(SKIP_1) | instid1(VALU_DEP_1)
	v_fmac_f32_e32 v109, v110, v109
	v_div_scale_f32 v110, vcc_lo, 1.0, v102, 1.0
	v_mul_f32_e32 v111, v110, v109
	s_delay_alu instid0(VALU_DEP_1) | instskip(NEXT) | instid1(VALU_DEP_1)
	v_fma_f32 v112, -v103, v111, v110
	v_fmac_f32_e32 v111, v112, v109
	s_delay_alu instid0(VALU_DEP_1) | instskip(NEXT) | instid1(VALU_DEP_1)
	v_fma_f32 v103, -v103, v111, v110
	v_div_fmas_f32 v103, v103, v109, v111
	s_delay_alu instid0(VALU_DEP_1) | instskip(NEXT) | instid1(VALU_DEP_1)
	v_div_fixup_f32 v102, v103, v102, 1.0
	v_mul_f32_e64 v103, v101, -v102
.LBB92_303:
	s_or_b32 exec_lo, exec_lo, s1
.LBB92_304:
	s_delay_alu instid0(SALU_CYCLE_1) | instskip(NEXT) | instid1(SALU_CYCLE_1)
	s_or_b32 exec_lo, exec_lo, s0
	s_mov_b32 s0, exec_lo
	v_cmpx_ne_u32_e64 v108, v100
	s_xor_b32 s0, exec_lo, s0
	s_cbranch_execz .LBB92_310
; %bb.305:
	s_mov_b32 s1, exec_lo
	v_cmpx_eq_u32_e32 14, v108
	s_cbranch_execz .LBB92_309
; %bb.306:
	v_cmp_ne_u32_e32 vcc_lo, 14, v100
	s_xor_b32 s12, s16, -1
	s_delay_alu instid0(SALU_CYCLE_1) | instskip(NEXT) | instid1(SALU_CYCLE_1)
	s_and_b32 s13, s12, vcc_lo
	s_and_saveexec_b32 s12, s13
	s_cbranch_execz .LBB92_308
; %bb.307:
	v_ashrrev_i32_e32 v101, 31, v100
	s_delay_alu instid0(VALU_DEP_1)
	v_lshl_add_u64 v[108:109], v[100:101], 2, v[4:5]
	s_clause 0x1
	global_load_b32 v101, v[108:109], off
	global_load_b32 v107, v[4:5], off offset:56
	s_wait_loadcnt 0x1
	global_store_b32 v[4:5], v101, off offset:56
	s_wait_loadcnt 0x0
	global_store_b32 v[108:109], v107, off
.LBB92_308:
	s_wait_xcnt 0x0
	s_or_b32 exec_lo, exec_lo, s12
	v_dual_mov_b32 v108, v100 :: v_dual_mov_b32 v107, v100
.LBB92_309:
	s_or_b32 exec_lo, exec_lo, s1
.LBB92_310:
	s_and_not1_saveexec_b32 s0, s0
	s_cbranch_execz .LBB92_312
; %bb.311:
	v_mov_b32_e32 v108, 14
	ds_store_2addr_b64 v104, v[46:47], v[84:85] offset0:15 offset1:16
	ds_store_2addr_b64 v104, v[82:83], v[44:45] offset0:17 offset1:18
	;; [unrolled: 1-line block ×16, first 2 shown]
.LBB92_312:
	s_or_b32 exec_lo, exec_lo, s0
	s_delay_alu instid0(SALU_CYCLE_1)
	s_mov_b32 s0, exec_lo
	s_wait_storecnt_dscnt 0x0
	s_barrier_signal -1
	s_barrier_wait -1
	v_cmpx_lt_i32_e32 14, v108
	s_cbranch_execz .LBB92_314
; %bb.313:
	v_pk_mul_f32 v[110:111], v[102:103], v[48:49] op_sel:[1,1] op_sel_hi:[0,1]
	s_delay_alu instid0(VALU_DEP_1)
	v_pk_fma_f32 v[100:101], v[102:103], v[48:49], v[110:111] op_sel_hi:[1,0,1] neg_lo:[0,0,1] neg_hi:[0,0,1]
	v_pk_fma_f32 v[102:103], v[102:103], v[48:49], v[110:111] op_sel_hi:[1,0,1]
	ds_load_2addr_b64 v[110:113], v104 offset0:15 offset1:16
	v_dual_mov_b32 v48, v100 :: v_dual_mov_b32 v49, v103
	s_wait_dscnt 0x0
	v_pk_mul_f32 v[114:115], v[110:111], v[102:103] op_sel:[0,1]
	s_delay_alu instid0(VALU_DEP_1) | instskip(SKIP_1) | instid1(VALU_DEP_1)
	v_pk_fma_f32 v[116:117], v[110:111], v[100:101], v[114:115] op_sel:[0,0,1] op_sel_hi:[1,1,0] neg_lo:[0,0,1] neg_hi:[0,0,1]
	v_pk_fma_f32 v[110:111], v[110:111], v[100:101], v[114:115] op_sel:[0,0,1] op_sel_hi:[1,0,0]
	v_mov_b32_e32 v117, v111
	v_pk_mul_f32 v[110:111], v[112:113], v[102:103] op_sel:[0,1]
	s_delay_alu instid0(VALU_DEP_1) | instskip(SKIP_1) | instid1(VALU_DEP_1)
	v_pk_fma_f32 v[114:115], v[112:113], v[100:101], v[110:111] op_sel:[0,0,1] op_sel_hi:[1,1,0] neg_lo:[0,0,1] neg_hi:[0,0,1]
	v_pk_fma_f32 v[110:111], v[112:113], v[100:101], v[110:111] op_sel:[0,0,1] op_sel_hi:[1,0,0]
	v_mov_b32_e32 v115, v111
	ds_load_2addr_b64 v[110:113], v104 offset0:17 offset1:18
	v_pk_add_f32 v[46:47], v[46:47], v[116:117] neg_lo:[0,1] neg_hi:[0,1]
	v_pk_add_f32 v[84:85], v[84:85], v[114:115] neg_lo:[0,1] neg_hi:[0,1]
	s_wait_dscnt 0x0
	v_pk_mul_f32 v[114:115], v[110:111], v[102:103] op_sel:[0,1]
	s_delay_alu instid0(VALU_DEP_1) | instskip(SKIP_2) | instid1(VALU_DEP_2)
	v_pk_fma_f32 v[116:117], v[110:111], v[100:101], v[114:115] op_sel:[0,0,1] op_sel_hi:[1,1,0] neg_lo:[0,0,1] neg_hi:[0,0,1]
	v_pk_fma_f32 v[110:111], v[110:111], v[100:101], v[114:115] op_sel:[0,0,1] op_sel_hi:[1,0,0]
	v_dual_mul_f32 v114, v113, v103 :: v_dual_mov_b32 v110, v113
	v_dual_mov_b32 v117, v111 :: v_dual_mov_b32 v111, v112
	s_delay_alu instid0(VALU_DEP_2) | instskip(SKIP_1) | instid1(VALU_DEP_3)
	v_pk_fma_f32 v[114:115], v[112:113], v[48:49], v[114:115] op_sel_hi:[1,1,0] neg_lo:[0,0,1] neg_hi:[0,0,1]
	v_mul_f32_e32 v112, v113, v100
	v_pk_add_f32 v[82:83], v[82:83], v[116:117] neg_lo:[0,1] neg_hi:[0,1]
	s_delay_alu instid0(VALU_DEP_2) | instskip(NEXT) | instid1(VALU_DEP_1)
	v_pk_fma_f32 v[110:111], v[110:111], v[48:49], v[112:113] op_sel_hi:[1,1,0]
	v_mov_b32_e32 v115, v111
	ds_load_2addr_b64 v[110:113], v104 offset0:19 offset1:20
	v_pk_add_f32 v[44:45], v[44:45], v[114:115] neg_lo:[0,1] neg_hi:[0,1]
	s_wait_dscnt 0x0
	v_pk_mul_f32 v[114:115], v[110:111], v[102:103] op_sel:[0,1]
	s_delay_alu instid0(VALU_DEP_1) | instskip(SKIP_1) | instid1(VALU_DEP_1)
	v_pk_fma_f32 v[116:117], v[110:111], v[100:101], v[114:115] op_sel:[0,0,1] op_sel_hi:[1,1,0] neg_lo:[0,0,1] neg_hi:[0,0,1]
	v_pk_fma_f32 v[110:111], v[110:111], v[100:101], v[114:115] op_sel:[0,0,1] op_sel_hi:[1,0,0]
	v_mov_b32_e32 v117, v111
	v_pk_mul_f32 v[110:111], v[112:113], v[102:103] op_sel:[0,1]
	s_delay_alu instid0(VALU_DEP_1) | instskip(SKIP_1) | instid1(VALU_DEP_1)
	v_pk_fma_f32 v[114:115], v[112:113], v[100:101], v[110:111] op_sel:[0,0,1] op_sel_hi:[1,1,0] neg_lo:[0,0,1] neg_hi:[0,0,1]
	v_pk_fma_f32 v[110:111], v[112:113], v[100:101], v[110:111] op_sel:[0,0,1] op_sel_hi:[1,0,0]
	v_mov_b32_e32 v115, v111
	ds_load_2addr_b64 v[110:113], v104 offset0:21 offset1:22
	v_pk_add_f32 v[42:43], v[42:43], v[116:117] neg_lo:[0,1] neg_hi:[0,1]
	v_pk_add_f32 v[80:81], v[80:81], v[114:115] neg_lo:[0,1] neg_hi:[0,1]
	s_wait_dscnt 0x0
	v_pk_mul_f32 v[114:115], v[110:111], v[102:103] op_sel:[0,1]
	s_delay_alu instid0(VALU_DEP_1) | instskip(SKIP_1) | instid1(VALU_DEP_1)
	v_pk_fma_f32 v[116:117], v[110:111], v[100:101], v[114:115] op_sel:[0,0,1] op_sel_hi:[1,1,0] neg_lo:[0,0,1] neg_hi:[0,0,1]
	v_pk_fma_f32 v[110:111], v[110:111], v[100:101], v[114:115] op_sel:[0,0,1] op_sel_hi:[1,0,0]
	v_mov_b32_e32 v117, v111
	v_pk_mul_f32 v[110:111], v[112:113], v[102:103] op_sel:[0,1]
	s_delay_alu instid0(VALU_DEP_1) | instskip(SKIP_1) | instid1(VALU_DEP_1)
	v_pk_fma_f32 v[114:115], v[112:113], v[100:101], v[110:111] op_sel:[0,0,1] op_sel_hi:[1,1,0] neg_lo:[0,0,1] neg_hi:[0,0,1]
	v_pk_fma_f32 v[110:111], v[112:113], v[100:101], v[110:111] op_sel:[0,0,1] op_sel_hi:[1,0,0]
	v_mov_b32_e32 v115, v111
	ds_load_2addr_b64 v[110:113], v104 offset0:23 offset1:24
	v_pk_add_f32 v[78:79], v[78:79], v[116:117] neg_lo:[0,1] neg_hi:[0,1]
	v_pk_add_f32 v[38:39], v[38:39], v[114:115] neg_lo:[0,1] neg_hi:[0,1]
	s_wait_dscnt 0x0
	v_dual_mul_f32 v114, v111, v103 :: v_dual_mul_f32 v116, v111, v100
	s_delay_alu instid0(VALU_DEP_1) | instskip(NEXT) | instid1(VALU_DEP_2)
	v_pk_fma_f32 v[114:115], v[110:111], v[48:49], v[114:115] op_sel_hi:[1,1,0] neg_lo:[0,0,1] neg_hi:[0,0,1]
	v_pk_fma_f32 v[110:111], v[110:111], v[48:49], v[116:117] op_sel:[1,0,0] op_sel_hi:[0,1,0]
	s_delay_alu instid0(VALU_DEP_1) | instskip(SKIP_1) | instid1(VALU_DEP_2)
	v_mov_b32_e32 v115, v111
	v_pk_mul_f32 v[110:111], v[112:113], v[102:103] op_sel:[0,1]
	v_pk_add_f32 v[36:37], v[36:37], v[114:115] neg_lo:[0,1] neg_hi:[0,1]
	s_delay_alu instid0(VALU_DEP_2) | instskip(SKIP_1) | instid1(VALU_DEP_1)
	v_pk_fma_f32 v[114:115], v[112:113], v[100:101], v[110:111] op_sel:[0,0,1] op_sel_hi:[1,1,0] neg_lo:[0,0,1] neg_hi:[0,0,1]
	v_pk_fma_f32 v[110:111], v[112:113], v[100:101], v[110:111] op_sel:[0,0,1] op_sel_hi:[1,0,0]
	v_mov_b32_e32 v115, v111
	ds_load_2addr_b64 v[110:113], v104 offset0:25 offset1:26
	v_pk_add_f32 v[70:71], v[70:71], v[114:115] neg_lo:[0,1] neg_hi:[0,1]
	s_wait_dscnt 0x0
	v_pk_mul_f32 v[114:115], v[110:111], v[102:103] op_sel:[0,1]
	s_delay_alu instid0(VALU_DEP_1) | instskip(SKIP_1) | instid1(VALU_DEP_1)
	v_pk_fma_f32 v[116:117], v[110:111], v[100:101], v[114:115] op_sel:[0,0,1] op_sel_hi:[1,1,0] neg_lo:[0,0,1] neg_hi:[0,0,1]
	v_pk_fma_f32 v[110:111], v[110:111], v[100:101], v[114:115] op_sel:[0,0,1] op_sel_hi:[1,0,0]
	v_mov_b32_e32 v117, v111
	v_pk_mul_f32 v[110:111], v[112:113], v[102:103] op_sel:[0,1]
	s_delay_alu instid0(VALU_DEP_2) | instskip(NEXT) | instid1(VALU_DEP_2)
	v_pk_add_f32 v[66:67], v[66:67], v[116:117] neg_lo:[0,1] neg_hi:[0,1]
	v_pk_fma_f32 v[114:115], v[112:113], v[100:101], v[110:111] op_sel:[0,0,1] op_sel_hi:[1,1,0] neg_lo:[0,0,1] neg_hi:[0,0,1]
	v_pk_fma_f32 v[110:111], v[112:113], v[100:101], v[110:111] op_sel:[0,0,1] op_sel_hi:[1,0,0]
	s_delay_alu instid0(VALU_DEP_1) | instskip(SKIP_4) | instid1(VALU_DEP_1)
	v_mov_b32_e32 v115, v111
	ds_load_2addr_b64 v[110:113], v104 offset0:27 offset1:28
	v_pk_add_f32 v[26:27], v[26:27], v[114:115] neg_lo:[0,1] neg_hi:[0,1]
	s_wait_dscnt 0x0
	v_pk_mul_f32 v[114:115], v[110:111], v[102:103] op_sel:[0,1]
	v_pk_fma_f32 v[116:117], v[110:111], v[100:101], v[114:115] op_sel:[0,0,1] op_sel_hi:[1,1,0] neg_lo:[0,0,1] neg_hi:[0,0,1]
	v_pk_fma_f32 v[110:111], v[110:111], v[100:101], v[114:115] op_sel:[0,0,1] op_sel_hi:[1,0,0]
	v_dual_mul_f32 v114, v113, v103 :: v_dual_mov_b32 v110, v113
	s_delay_alu instid0(VALU_DEP_2) | instskip(NEXT) | instid1(VALU_DEP_2)
	v_dual_mov_b32 v117, v111 :: v_dual_mov_b32 v111, v112
	v_pk_fma_f32 v[114:115], v[112:113], v[48:49], v[114:115] op_sel_hi:[1,1,0] neg_lo:[0,0,1] neg_hi:[0,0,1]
	v_mul_f32_e32 v112, v113, v100
	s_delay_alu instid0(VALU_DEP_3) | instskip(NEXT) | instid1(VALU_DEP_2)
	v_pk_add_f32 v[22:23], v[22:23], v[116:117] neg_lo:[0,1] neg_hi:[0,1]
	v_pk_fma_f32 v[110:111], v[110:111], v[48:49], v[112:113] op_sel_hi:[1,1,0]
	s_delay_alu instid0(VALU_DEP_1) | instskip(SKIP_4) | instid1(VALU_DEP_1)
	v_mov_b32_e32 v115, v111
	ds_load_2addr_b64 v[110:113], v104 offset0:29 offset1:30
	v_pk_add_f32 v[64:65], v[64:65], v[114:115] neg_lo:[0,1] neg_hi:[0,1]
	s_wait_dscnt 0x0
	v_pk_mul_f32 v[114:115], v[110:111], v[102:103] op_sel:[0,1]
	v_pk_fma_f32 v[116:117], v[110:111], v[100:101], v[114:115] op_sel:[0,0,1] op_sel_hi:[1,1,0] neg_lo:[0,0,1] neg_hi:[0,0,1]
	v_pk_fma_f32 v[110:111], v[110:111], v[100:101], v[114:115] op_sel:[0,0,1] op_sel_hi:[1,0,0]
	s_delay_alu instid0(VALU_DEP_1) | instskip(SKIP_1) | instid1(VALU_DEP_1)
	v_mov_b32_e32 v117, v111
	v_pk_mul_f32 v[110:111], v[112:113], v[102:103] op_sel:[0,1]
	v_pk_fma_f32 v[114:115], v[112:113], v[100:101], v[110:111] op_sel:[0,0,1] op_sel_hi:[1,1,0] neg_lo:[0,0,1] neg_hi:[0,0,1]
	v_pk_fma_f32 v[110:111], v[112:113], v[100:101], v[110:111] op_sel:[0,0,1] op_sel_hi:[1,0,0]
	s_delay_alu instid0(VALU_DEP_1)
	v_mov_b32_e32 v115, v111
	ds_load_2addr_b64 v[110:113], v104 offset0:31 offset1:32
	v_pk_add_f32 v[62:63], v[62:63], v[116:117] neg_lo:[0,1] neg_hi:[0,1]
	v_pk_add_f32 v[20:21], v[20:21], v[114:115] neg_lo:[0,1] neg_hi:[0,1]
	s_wait_dscnt 0x0
	v_pk_mul_f32 v[114:115], v[110:111], v[102:103] op_sel:[0,1]
	s_delay_alu instid0(VALU_DEP_1) | instskip(SKIP_1) | instid1(VALU_DEP_1)
	v_pk_fma_f32 v[116:117], v[110:111], v[100:101], v[114:115] op_sel:[0,0,1] op_sel_hi:[1,1,0] neg_lo:[0,0,1] neg_hi:[0,0,1]
	v_pk_fma_f32 v[110:111], v[110:111], v[100:101], v[114:115] op_sel:[0,0,1] op_sel_hi:[1,0,0]
	v_mov_b32_e32 v117, v111
	v_pk_mul_f32 v[110:111], v[112:113], v[102:103] op_sel:[0,1]
	s_delay_alu instid0(VALU_DEP_1) | instskip(SKIP_1) | instid1(VALU_DEP_1)
	v_pk_fma_f32 v[114:115], v[112:113], v[100:101], v[110:111] op_sel:[0,0,1] op_sel_hi:[1,1,0] neg_lo:[0,0,1] neg_hi:[0,0,1]
	v_pk_fma_f32 v[110:111], v[112:113], v[100:101], v[110:111] op_sel:[0,0,1] op_sel_hi:[1,0,0]
	v_mov_b32_e32 v115, v111
	ds_load_2addr_b64 v[110:113], v104 offset0:33 offset1:34
	v_pk_add_f32 v[18:19], v[18:19], v[116:117] neg_lo:[0,1] neg_hi:[0,1]
	v_pk_add_f32 v[60:61], v[60:61], v[114:115] neg_lo:[0,1] neg_hi:[0,1]
	s_wait_dscnt 0x0
	v_dual_mul_f32 v114, v111, v103 :: v_dual_mul_f32 v116, v111, v100
	s_delay_alu instid0(VALU_DEP_1) | instskip(NEXT) | instid1(VALU_DEP_2)
	v_pk_fma_f32 v[114:115], v[110:111], v[48:49], v[114:115] op_sel_hi:[1,1,0] neg_lo:[0,0,1] neg_hi:[0,0,1]
	v_pk_fma_f32 v[110:111], v[110:111], v[48:49], v[116:117] op_sel:[1,0,0] op_sel_hi:[0,1,0]
	s_delay_alu instid0(VALU_DEP_1) | instskip(SKIP_1) | instid1(VALU_DEP_2)
	v_mov_b32_e32 v115, v111
	v_pk_mul_f32 v[110:111], v[112:113], v[102:103] op_sel:[0,1]
	v_pk_add_f32 v[58:59], v[58:59], v[114:115] neg_lo:[0,1] neg_hi:[0,1]
	s_delay_alu instid0(VALU_DEP_2) | instskip(SKIP_1) | instid1(VALU_DEP_1)
	v_pk_fma_f32 v[114:115], v[112:113], v[100:101], v[110:111] op_sel:[0,0,1] op_sel_hi:[1,1,0] neg_lo:[0,0,1] neg_hi:[0,0,1]
	v_pk_fma_f32 v[110:111], v[112:113], v[100:101], v[110:111] op_sel:[0,0,1] op_sel_hi:[1,0,0]
	v_mov_b32_e32 v115, v111
	ds_load_2addr_b64 v[110:113], v104 offset0:35 offset1:36
	v_pk_add_f32 v[16:17], v[16:17], v[114:115] neg_lo:[0,1] neg_hi:[0,1]
	s_wait_dscnt 0x0
	v_pk_mul_f32 v[114:115], v[110:111], v[102:103] op_sel:[0,1]
	s_delay_alu instid0(VALU_DEP_1) | instskip(SKIP_1) | instid1(VALU_DEP_1)
	v_pk_fma_f32 v[116:117], v[110:111], v[100:101], v[114:115] op_sel:[0,0,1] op_sel_hi:[1,1,0] neg_lo:[0,0,1] neg_hi:[0,0,1]
	v_pk_fma_f32 v[110:111], v[110:111], v[100:101], v[114:115] op_sel:[0,0,1] op_sel_hi:[1,0,0]
	v_mov_b32_e32 v117, v111
	v_pk_mul_f32 v[110:111], v[112:113], v[102:103] op_sel:[0,1]
	s_delay_alu instid0(VALU_DEP_2) | instskip(NEXT) | instid1(VALU_DEP_2)
	v_pk_add_f32 v[14:15], v[14:15], v[116:117] neg_lo:[0,1] neg_hi:[0,1]
	v_pk_fma_f32 v[114:115], v[112:113], v[100:101], v[110:111] op_sel:[0,0,1] op_sel_hi:[1,1,0] neg_lo:[0,0,1] neg_hi:[0,0,1]
	v_pk_fma_f32 v[110:111], v[112:113], v[100:101], v[110:111] op_sel:[0,0,1] op_sel_hi:[1,0,0]
	s_delay_alu instid0(VALU_DEP_1) | instskip(SKIP_4) | instid1(VALU_DEP_1)
	v_mov_b32_e32 v115, v111
	ds_load_2addr_b64 v[110:113], v104 offset0:37 offset1:38
	v_pk_add_f32 v[56:57], v[56:57], v[114:115] neg_lo:[0,1] neg_hi:[0,1]
	s_wait_dscnt 0x0
	v_pk_mul_f32 v[114:115], v[110:111], v[102:103] op_sel:[0,1]
	v_pk_fma_f32 v[116:117], v[110:111], v[100:101], v[114:115] op_sel:[0,0,1] op_sel_hi:[1,1,0] neg_lo:[0,0,1] neg_hi:[0,0,1]
	v_pk_fma_f32 v[110:111], v[110:111], v[100:101], v[114:115] op_sel:[0,0,1] op_sel_hi:[1,0,0]
	v_dual_mul_f32 v114, v113, v103 :: v_dual_mov_b32 v110, v113
	s_delay_alu instid0(VALU_DEP_2) | instskip(NEXT) | instid1(VALU_DEP_2)
	v_dual_mov_b32 v117, v111 :: v_dual_mov_b32 v111, v112
	v_pk_fma_f32 v[114:115], v[112:113], v[48:49], v[114:115] op_sel_hi:[1,1,0] neg_lo:[0,0,1] neg_hi:[0,0,1]
	v_mul_f32_e32 v112, v113, v100
	s_delay_alu instid0(VALU_DEP_3) | instskip(NEXT) | instid1(VALU_DEP_2)
	v_pk_add_f32 v[54:55], v[54:55], v[116:117] neg_lo:[0,1] neg_hi:[0,1]
	v_pk_fma_f32 v[110:111], v[110:111], v[48:49], v[112:113] op_sel_hi:[1,1,0]
	s_delay_alu instid0(VALU_DEP_1) | instskip(SKIP_4) | instid1(VALU_DEP_1)
	v_mov_b32_e32 v115, v111
	ds_load_2addr_b64 v[110:113], v104 offset0:39 offset1:40
	v_pk_add_f32 v[10:11], v[10:11], v[114:115] neg_lo:[0,1] neg_hi:[0,1]
	s_wait_dscnt 0x0
	v_pk_mul_f32 v[114:115], v[110:111], v[102:103] op_sel:[0,1]
	v_pk_fma_f32 v[116:117], v[110:111], v[100:101], v[114:115] op_sel:[0,0,1] op_sel_hi:[1,1,0] neg_lo:[0,0,1] neg_hi:[0,0,1]
	v_pk_fma_f32 v[110:111], v[110:111], v[100:101], v[114:115] op_sel:[0,0,1] op_sel_hi:[1,0,0]
	s_delay_alu instid0(VALU_DEP_1) | instskip(SKIP_1) | instid1(VALU_DEP_1)
	v_mov_b32_e32 v117, v111
	v_pk_mul_f32 v[110:111], v[112:113], v[102:103] op_sel:[0,1]
	v_pk_fma_f32 v[114:115], v[112:113], v[100:101], v[110:111] op_sel:[0,0,1] op_sel_hi:[1,1,0] neg_lo:[0,0,1] neg_hi:[0,0,1]
	v_pk_fma_f32 v[110:111], v[112:113], v[100:101], v[110:111] op_sel:[0,0,1] op_sel_hi:[1,0,0]
	s_delay_alu instid0(VALU_DEP_1)
	v_mov_b32_e32 v115, v111
	ds_load_2addr_b64 v[110:113], v104 offset0:41 offset1:42
	v_pk_add_f32 v[6:7], v[6:7], v[116:117] neg_lo:[0,1] neg_hi:[0,1]
	v_pk_add_f32 v[52:53], v[52:53], v[114:115] neg_lo:[0,1] neg_hi:[0,1]
	s_wait_dscnt 0x0
	v_pk_mul_f32 v[114:115], v[110:111], v[102:103] op_sel:[0,1]
	s_delay_alu instid0(VALU_DEP_1) | instskip(SKIP_1) | instid1(VALU_DEP_1)
	v_pk_fma_f32 v[116:117], v[110:111], v[100:101], v[114:115] op_sel:[0,0,1] op_sel_hi:[1,1,0] neg_lo:[0,0,1] neg_hi:[0,0,1]
	v_pk_fma_f32 v[110:111], v[110:111], v[100:101], v[114:115] op_sel:[0,0,1] op_sel_hi:[1,0,0]
	v_mov_b32_e32 v117, v111
	v_pk_mul_f32 v[110:111], v[112:113], v[102:103] op_sel:[0,1]
	s_delay_alu instid0(VALU_DEP_1) | instskip(SKIP_1) | instid1(VALU_DEP_1)
	v_pk_fma_f32 v[114:115], v[112:113], v[100:101], v[110:111] op_sel:[0,0,1] op_sel_hi:[1,1,0] neg_lo:[0,0,1] neg_hi:[0,0,1]
	v_pk_fma_f32 v[110:111], v[112:113], v[100:101], v[110:111] op_sel:[0,0,1] op_sel_hi:[1,0,0]
	v_mov_b32_e32 v115, v111
	ds_load_2addr_b64 v[110:113], v104 offset0:43 offset1:44
	v_pk_add_f32 v[50:51], v[50:51], v[116:117] neg_lo:[0,1] neg_hi:[0,1]
	v_pk_add_f32 v[8:9], v[8:9], v[114:115] neg_lo:[0,1] neg_hi:[0,1]
	s_wait_dscnt 0x0
	v_dual_mul_f32 v114, v111, v103 :: v_dual_mul_f32 v116, v111, v100
	s_delay_alu instid0(VALU_DEP_1) | instskip(NEXT) | instid1(VALU_DEP_2)
	v_pk_fma_f32 v[114:115], v[110:111], v[48:49], v[114:115] op_sel_hi:[1,1,0] neg_lo:[0,0,1] neg_hi:[0,0,1]
	v_pk_fma_f32 v[110:111], v[110:111], v[48:49], v[116:117] op_sel:[1,0,0] op_sel_hi:[0,1,0]
	s_delay_alu instid0(VALU_DEP_1) | instskip(SKIP_1) | instid1(VALU_DEP_2)
	v_mov_b32_e32 v115, v111
	v_pk_mul_f32 v[110:111], v[112:113], v[102:103] op_sel:[0,1]
	v_pk_add_f32 v[40:41], v[40:41], v[114:115] neg_lo:[0,1] neg_hi:[0,1]
	s_delay_alu instid0(VALU_DEP_2) | instskip(SKIP_1) | instid1(VALU_DEP_1)
	v_pk_fma_f32 v[114:115], v[112:113], v[100:101], v[110:111] op_sel:[0,0,1] op_sel_hi:[1,1,0] neg_lo:[0,0,1] neg_hi:[0,0,1]
	v_pk_fma_f32 v[110:111], v[112:113], v[100:101], v[110:111] op_sel:[0,0,1] op_sel_hi:[1,0,0]
	v_mov_b32_e32 v115, v111
	ds_load_2addr_b64 v[110:113], v104 offset0:45 offset1:46
	v_pk_add_f32 v[30:31], v[30:31], v[114:115] neg_lo:[0,1] neg_hi:[0,1]
	s_wait_dscnt 0x0
	v_pk_mul_f32 v[114:115], v[110:111], v[102:103] op_sel:[0,1]
	v_pk_mul_f32 v[102:103], v[112:113], v[102:103] op_sel:[0,1]
	s_delay_alu instid0(VALU_DEP_2) | instskip(SKIP_1) | instid1(VALU_DEP_1)
	v_pk_fma_f32 v[116:117], v[110:111], v[100:101], v[114:115] op_sel:[0,0,1] op_sel_hi:[1,1,0] neg_lo:[0,0,1] neg_hi:[0,0,1]
	v_pk_fma_f32 v[110:111], v[110:111], v[100:101], v[114:115] op_sel:[0,0,1] op_sel_hi:[1,0,0]
	v_mov_b32_e32 v117, v111
	s_delay_alu instid0(VALU_DEP_4) | instskip(SKIP_1) | instid1(VALU_DEP_3)
	v_pk_fma_f32 v[110:111], v[112:113], v[100:101], v[102:103] op_sel:[0,0,1] op_sel_hi:[1,1,0] neg_lo:[0,0,1] neg_hi:[0,0,1]
	v_pk_fma_f32 v[100:101], v[112:113], v[100:101], v[102:103] op_sel:[0,0,1] op_sel_hi:[1,0,0]
	v_pk_add_f32 v[12:13], v[12:13], v[116:117] neg_lo:[0,1] neg_hi:[0,1]
	s_delay_alu instid0(VALU_DEP_2) | instskip(NEXT) | instid1(VALU_DEP_1)
	v_mov_b32_e32 v111, v101
	v_pk_add_f32 v[98:99], v[98:99], v[110:111] neg_lo:[0,1] neg_hi:[0,1]
.LBB92_314:
	s_or_b32 exec_lo, exec_lo, s0
	v_lshl_add_u32 v100, v108, 3, v104
	s_barrier_signal -1
	s_barrier_wait -1
	ds_store_b64 v100, v[46:47]
	s_wait_dscnt 0x0
	s_barrier_signal -1
	s_barrier_wait -1
	ds_load_b64 v[102:103], v104 offset:120
	v_mov_b32_e32 v100, 15
	s_cmp_lt_i32 s18, 17
	s_cbranch_scc1 .LBB92_317
; %bb.315:
	v_add3_u32 v101, v105, 0, 0x80
	v_mov_b32_e32 v100, 15
	s_mov_b32 s0, 16
.LBB92_316:                             ; =>This Inner Loop Header: Depth=1
	ds_load_b64 v[110:111], v101
	s_wait_dscnt 0x1
	v_cmp_gt_f32_e32 vcc_lo, 0, v102
	v_cndmask_b32_e64 v112, v102, -v102, vcc_lo
	v_cmp_gt_f32_e32 vcc_lo, 0, v103
	v_cndmask_b32_e64 v114, v103, -v103, vcc_lo
	s_wait_dscnt 0x0
	v_cmp_gt_f32_e32 vcc_lo, 0, v110
	v_cndmask_b32_e64 v113, v110, -v110, vcc_lo
	v_cmp_gt_f32_e32 vcc_lo, 0, v111
	v_cndmask_b32_e64 v115, v111, -v111, vcc_lo
	s_delay_alu instid0(VALU_DEP_1) | instskip(NEXT) | instid1(VALU_DEP_1)
	v_pk_add_f32 v[112:113], v[112:113], v[114:115]
	v_cmp_lt_f32_e32 vcc_lo, v112, v113
	v_dual_add_nc_u32 v101, 8, v101 :: v_dual_cndmask_b32 v103, v103, v111, vcc_lo
	v_cndmask_b32_e32 v102, v102, v110, vcc_lo
	v_cndmask_b32_e64 v100, v100, s0, vcc_lo
	s_add_co_i32 s0, s0, 1
	s_delay_alu instid0(SALU_CYCLE_1)
	s_cmp_lg_u32 s18, s0
	s_cbranch_scc1 .LBB92_316
.LBB92_317:
	s_wait_dscnt 0x0
	v_cmp_eq_f32_e32 vcc_lo, 0, v102
	v_cmp_eq_f32_e64 s0, 0, v103
	s_and_b32 s0, vcc_lo, s0
	s_delay_alu instid0(SALU_CYCLE_1) | instskip(NEXT) | instid1(SALU_CYCLE_1)
	s_and_saveexec_b32 s1, s0
	s_xor_b32 s0, exec_lo, s1
; %bb.318:
	v_cmp_ne_u32_e32 vcc_lo, 0, v106
	v_cndmask_b32_e32 v106, 16, v106, vcc_lo
; %bb.319:
	s_and_not1_saveexec_b32 s0, s0
	s_cbranch_execz .LBB92_325
; %bb.320:
	v_cmp_ngt_f32_e64 s1, |v102|, |v103|
	s_and_saveexec_b32 s12, s1
	s_delay_alu instid0(SALU_CYCLE_1)
	s_xor_b32 s1, exec_lo, s12
	s_cbranch_execz .LBB92_322
; %bb.321:
	v_div_scale_f32 v101, null, v103, v103, v102
	v_div_scale_f32 v111, vcc_lo, v102, v103, v102
	s_delay_alu instid0(VALU_DEP_2) | instskip(SKIP_1) | instid1(TRANS32_DEP_1)
	v_rcp_f32_e32 v109, v101
	v_nop
	v_fma_f32 v110, -v101, v109, 1.0
	s_delay_alu instid0(VALU_DEP_1) | instskip(NEXT) | instid1(VALU_DEP_1)
	v_fmac_f32_e32 v109, v110, v109
	v_mul_f32_e32 v110, v111, v109
	s_delay_alu instid0(VALU_DEP_1) | instskip(NEXT) | instid1(VALU_DEP_1)
	v_fma_f32 v112, -v101, v110, v111
	v_fmac_f32_e32 v110, v112, v109
	s_delay_alu instid0(VALU_DEP_1) | instskip(NEXT) | instid1(VALU_DEP_1)
	v_fma_f32 v101, -v101, v110, v111
	v_div_fmas_f32 v101, v101, v109, v110
	s_delay_alu instid0(VALU_DEP_1) | instskip(NEXT) | instid1(VALU_DEP_1)
	v_div_fixup_f32 v101, v101, v103, v102
	v_fmac_f32_e32 v103, v102, v101
	s_delay_alu instid0(VALU_DEP_1) | instskip(SKIP_1) | instid1(VALU_DEP_2)
	v_div_scale_f32 v102, null, v103, v103, 1.0
	v_div_scale_f32 v111, vcc_lo, 1.0, v103, 1.0
	v_rcp_f32_e32 v109, v102
	v_nop
	s_delay_alu instid0(TRANS32_DEP_1) | instskip(NEXT) | instid1(VALU_DEP_1)
	v_fma_f32 v110, -v102, v109, 1.0
	v_fmac_f32_e32 v109, v110, v109
	s_delay_alu instid0(VALU_DEP_1) | instskip(NEXT) | instid1(VALU_DEP_1)
	v_mul_f32_e32 v110, v111, v109
	v_fma_f32 v112, -v102, v110, v111
	s_delay_alu instid0(VALU_DEP_1) | instskip(NEXT) | instid1(VALU_DEP_1)
	v_fmac_f32_e32 v110, v112, v109
	v_fma_f32 v102, -v102, v110, v111
	s_delay_alu instid0(VALU_DEP_1) | instskip(NEXT) | instid1(VALU_DEP_1)
	v_div_fmas_f32 v102, v102, v109, v110
	v_div_fixup_f32 v103, v102, v103, 1.0
	s_delay_alu instid0(VALU_DEP_1)
	v_mul_f32_e32 v102, v101, v103
	v_xor_b32_e32 v103, 0x80000000, v103
.LBB92_322:
	s_and_not1_saveexec_b32 s1, s1
	s_cbranch_execz .LBB92_324
; %bb.323:
	s_delay_alu instid0(VALU_DEP_1) | instskip(SKIP_1) | instid1(VALU_DEP_2)
	v_div_scale_f32 v101, null, v102, v102, v103
	v_div_scale_f32 v111, vcc_lo, v103, v102, v103
	v_rcp_f32_e32 v109, v101
	v_nop
	s_delay_alu instid0(TRANS32_DEP_1) | instskip(NEXT) | instid1(VALU_DEP_1)
	v_fma_f32 v110, -v101, v109, 1.0
	v_fmac_f32_e32 v109, v110, v109
	s_delay_alu instid0(VALU_DEP_1) | instskip(NEXT) | instid1(VALU_DEP_1)
	v_mul_f32_e32 v110, v111, v109
	v_fma_f32 v112, -v101, v110, v111
	s_delay_alu instid0(VALU_DEP_1) | instskip(NEXT) | instid1(VALU_DEP_1)
	v_fmac_f32_e32 v110, v112, v109
	v_fma_f32 v101, -v101, v110, v111
	s_delay_alu instid0(VALU_DEP_1) | instskip(NEXT) | instid1(VALU_DEP_1)
	v_div_fmas_f32 v101, v101, v109, v110
	v_div_fixup_f32 v101, v101, v102, v103
	s_delay_alu instid0(VALU_DEP_1) | instskip(NEXT) | instid1(VALU_DEP_1)
	v_fmac_f32_e32 v102, v103, v101
	v_div_scale_f32 v103, null, v102, v102, 1.0
	s_delay_alu instid0(VALU_DEP_1) | instskip(SKIP_1) | instid1(TRANS32_DEP_1)
	v_rcp_f32_e32 v109, v103
	v_nop
	v_fma_f32 v110, -v103, v109, 1.0
	s_delay_alu instid0(VALU_DEP_1) | instskip(SKIP_1) | instid1(VALU_DEP_1)
	v_fmac_f32_e32 v109, v110, v109
	v_div_scale_f32 v110, vcc_lo, 1.0, v102, 1.0
	v_mul_f32_e32 v111, v110, v109
	s_delay_alu instid0(VALU_DEP_1) | instskip(NEXT) | instid1(VALU_DEP_1)
	v_fma_f32 v112, -v103, v111, v110
	v_fmac_f32_e32 v111, v112, v109
	s_delay_alu instid0(VALU_DEP_1) | instskip(NEXT) | instid1(VALU_DEP_1)
	v_fma_f32 v103, -v103, v111, v110
	v_div_fmas_f32 v103, v103, v109, v111
	s_delay_alu instid0(VALU_DEP_1) | instskip(NEXT) | instid1(VALU_DEP_1)
	v_div_fixup_f32 v102, v103, v102, 1.0
	v_mul_f32_e64 v103, v101, -v102
.LBB92_324:
	s_or_b32 exec_lo, exec_lo, s1
.LBB92_325:
	s_delay_alu instid0(SALU_CYCLE_1) | instskip(NEXT) | instid1(SALU_CYCLE_1)
	s_or_b32 exec_lo, exec_lo, s0
	s_mov_b32 s0, exec_lo
	v_cmpx_ne_u32_e64 v108, v100
	s_xor_b32 s0, exec_lo, s0
	s_cbranch_execz .LBB92_331
; %bb.326:
	s_mov_b32 s1, exec_lo
	v_cmpx_eq_u32_e32 15, v108
	s_cbranch_execz .LBB92_330
; %bb.327:
	v_cmp_ne_u32_e32 vcc_lo, 15, v100
	s_xor_b32 s12, s16, -1
	s_delay_alu instid0(SALU_CYCLE_1) | instskip(NEXT) | instid1(SALU_CYCLE_1)
	s_and_b32 s13, s12, vcc_lo
	s_and_saveexec_b32 s12, s13
	s_cbranch_execz .LBB92_329
; %bb.328:
	v_ashrrev_i32_e32 v101, 31, v100
	s_delay_alu instid0(VALU_DEP_1)
	v_lshl_add_u64 v[108:109], v[100:101], 2, v[4:5]
	s_clause 0x1
	global_load_b32 v101, v[108:109], off
	global_load_b32 v107, v[4:5], off offset:60
	s_wait_loadcnt 0x1
	global_store_b32 v[4:5], v101, off offset:60
	s_wait_loadcnt 0x0
	global_store_b32 v[108:109], v107, off
.LBB92_329:
	s_wait_xcnt 0x0
	s_or_b32 exec_lo, exec_lo, s12
	v_dual_mov_b32 v108, v100 :: v_dual_mov_b32 v107, v100
.LBB92_330:
	s_or_b32 exec_lo, exec_lo, s1
.LBB92_331:
	s_and_not1_saveexec_b32 s0, s0
	s_cbranch_execz .LBB92_333
; %bb.332:
	v_dual_mov_b32 v100, v84 :: v_dual_mov_b32 v101, v85
	v_dual_mov_b32 v108, v82 :: v_dual_mov_b32 v109, v83
	ds_store_2addr_b64 v104, v[100:101], v[108:109] offset0:16 offset1:17
	v_dual_mov_b32 v100, v44 :: v_dual_mov_b32 v101, v45
	v_dual_mov_b32 v108, v42 :: v_dual_mov_b32 v109, v43
	ds_store_2addr_b64 v104, v[100:101], v[108:109] offset0:18 offset1:19
	;; [unrolled: 3-line block ×15, first 2 shown]
	ds_store_b64 v104, v[98:99] offset:368
	v_mov_b32_e32 v108, 15
.LBB92_333:
	s_or_b32 exec_lo, exec_lo, s0
	s_delay_alu instid0(SALU_CYCLE_1)
	s_mov_b32 s0, exec_lo
	s_wait_storecnt_dscnt 0x0
	s_barrier_signal -1
	s_barrier_wait -1
	v_cmpx_lt_i32_e32 15, v108
	s_cbranch_execz .LBB92_335
; %bb.334:
	v_pk_mul_f32 v[110:111], v[102:103], v[46:47] op_sel:[1,1] op_sel_hi:[0,1]
	s_delay_alu instid0(VALU_DEP_1)
	v_pk_fma_f32 v[100:101], v[102:103], v[46:47], v[110:111] op_sel_hi:[1,0,1] neg_lo:[0,0,1] neg_hi:[0,0,1]
	v_pk_fma_f32 v[102:103], v[102:103], v[46:47], v[110:111] op_sel_hi:[1,0,1]
	ds_load_2addr_b64 v[110:113], v104 offset0:16 offset1:17
	v_dual_mov_b32 v46, v100 :: v_dual_mov_b32 v47, v103
	s_wait_dscnt 0x0
	v_pk_mul_f32 v[114:115], v[110:111], v[102:103] op_sel:[0,1]
	s_delay_alu instid0(VALU_DEP_1) | instskip(SKIP_1) | instid1(VALU_DEP_1)
	v_pk_fma_f32 v[116:117], v[110:111], v[100:101], v[114:115] op_sel:[0,0,1] op_sel_hi:[1,1,0] neg_lo:[0,0,1] neg_hi:[0,0,1]
	v_pk_fma_f32 v[110:111], v[110:111], v[100:101], v[114:115] op_sel:[0,0,1] op_sel_hi:[1,0,0]
	v_mov_b32_e32 v117, v111
	v_pk_mul_f32 v[110:111], v[112:113], v[102:103] op_sel:[0,1]
	s_delay_alu instid0(VALU_DEP_1) | instskip(SKIP_1) | instid1(VALU_DEP_1)
	v_pk_fma_f32 v[114:115], v[112:113], v[100:101], v[110:111] op_sel:[0,0,1] op_sel_hi:[1,1,0] neg_lo:[0,0,1] neg_hi:[0,0,1]
	v_pk_fma_f32 v[110:111], v[112:113], v[100:101], v[110:111] op_sel:[0,0,1] op_sel_hi:[1,0,0]
	v_mov_b32_e32 v115, v111
	ds_load_2addr_b64 v[110:113], v104 offset0:18 offset1:19
	v_pk_add_f32 v[84:85], v[84:85], v[116:117] neg_lo:[0,1] neg_hi:[0,1]
	v_pk_add_f32 v[82:83], v[82:83], v[114:115] neg_lo:[0,1] neg_hi:[0,1]
	s_wait_dscnt 0x0
	v_pk_mul_f32 v[114:115], v[110:111], v[102:103] op_sel:[0,1]
	s_delay_alu instid0(VALU_DEP_1) | instskip(SKIP_2) | instid1(VALU_DEP_2)
	v_pk_fma_f32 v[116:117], v[110:111], v[100:101], v[114:115] op_sel:[0,0,1] op_sel_hi:[1,1,0] neg_lo:[0,0,1] neg_hi:[0,0,1]
	v_pk_fma_f32 v[110:111], v[110:111], v[100:101], v[114:115] op_sel:[0,0,1] op_sel_hi:[1,0,0]
	v_dual_mul_f32 v114, v113, v103 :: v_dual_mov_b32 v110, v113
	v_dual_mov_b32 v117, v111 :: v_dual_mov_b32 v111, v112
	s_delay_alu instid0(VALU_DEP_2) | instskip(SKIP_1) | instid1(VALU_DEP_3)
	v_pk_fma_f32 v[114:115], v[112:113], v[46:47], v[114:115] op_sel_hi:[1,1,0] neg_lo:[0,0,1] neg_hi:[0,0,1]
	v_mul_f32_e32 v112, v113, v100
	v_pk_add_f32 v[44:45], v[44:45], v[116:117] neg_lo:[0,1] neg_hi:[0,1]
	s_delay_alu instid0(VALU_DEP_2) | instskip(NEXT) | instid1(VALU_DEP_1)
	v_pk_fma_f32 v[110:111], v[110:111], v[46:47], v[112:113] op_sel_hi:[1,1,0]
	v_mov_b32_e32 v115, v111
	ds_load_2addr_b64 v[110:113], v104 offset0:20 offset1:21
	v_pk_add_f32 v[42:43], v[42:43], v[114:115] neg_lo:[0,1] neg_hi:[0,1]
	s_wait_dscnt 0x0
	v_pk_mul_f32 v[114:115], v[110:111], v[102:103] op_sel:[0,1]
	s_delay_alu instid0(VALU_DEP_1) | instskip(SKIP_1) | instid1(VALU_DEP_1)
	v_pk_fma_f32 v[116:117], v[110:111], v[100:101], v[114:115] op_sel:[0,0,1] op_sel_hi:[1,1,0] neg_lo:[0,0,1] neg_hi:[0,0,1]
	v_pk_fma_f32 v[110:111], v[110:111], v[100:101], v[114:115] op_sel:[0,0,1] op_sel_hi:[1,0,0]
	v_mov_b32_e32 v117, v111
	v_pk_mul_f32 v[110:111], v[112:113], v[102:103] op_sel:[0,1]
	s_delay_alu instid0(VALU_DEP_1) | instskip(SKIP_1) | instid1(VALU_DEP_1)
	v_pk_fma_f32 v[114:115], v[112:113], v[100:101], v[110:111] op_sel:[0,0,1] op_sel_hi:[1,1,0] neg_lo:[0,0,1] neg_hi:[0,0,1]
	v_pk_fma_f32 v[110:111], v[112:113], v[100:101], v[110:111] op_sel:[0,0,1] op_sel_hi:[1,0,0]
	v_mov_b32_e32 v115, v111
	ds_load_2addr_b64 v[110:113], v104 offset0:22 offset1:23
	v_pk_add_f32 v[80:81], v[80:81], v[116:117] neg_lo:[0,1] neg_hi:[0,1]
	v_pk_add_f32 v[78:79], v[78:79], v[114:115] neg_lo:[0,1] neg_hi:[0,1]
	s_wait_dscnt 0x0
	v_pk_mul_f32 v[114:115], v[110:111], v[102:103] op_sel:[0,1]
	s_delay_alu instid0(VALU_DEP_1) | instskip(SKIP_1) | instid1(VALU_DEP_1)
	v_pk_fma_f32 v[116:117], v[110:111], v[100:101], v[114:115] op_sel:[0,0,1] op_sel_hi:[1,1,0] neg_lo:[0,0,1] neg_hi:[0,0,1]
	v_pk_fma_f32 v[110:111], v[110:111], v[100:101], v[114:115] op_sel:[0,0,1] op_sel_hi:[1,0,0]
	v_mov_b32_e32 v117, v111
	v_pk_mul_f32 v[110:111], v[112:113], v[102:103] op_sel:[0,1]
	s_delay_alu instid0(VALU_DEP_1) | instskip(SKIP_1) | instid1(VALU_DEP_1)
	v_pk_fma_f32 v[114:115], v[112:113], v[100:101], v[110:111] op_sel:[0,0,1] op_sel_hi:[1,1,0] neg_lo:[0,0,1] neg_hi:[0,0,1]
	v_pk_fma_f32 v[110:111], v[112:113], v[100:101], v[110:111] op_sel:[0,0,1] op_sel_hi:[1,0,0]
	v_mov_b32_e32 v115, v111
	ds_load_2addr_b64 v[110:113], v104 offset0:24 offset1:25
	v_pk_add_f32 v[38:39], v[38:39], v[116:117] neg_lo:[0,1] neg_hi:[0,1]
	v_pk_add_f32 v[36:37], v[36:37], v[114:115] neg_lo:[0,1] neg_hi:[0,1]
	s_wait_dscnt 0x0
	v_dual_mul_f32 v114, v111, v103 :: v_dual_mul_f32 v116, v111, v100
	s_delay_alu instid0(VALU_DEP_1) | instskip(NEXT) | instid1(VALU_DEP_2)
	v_pk_fma_f32 v[114:115], v[110:111], v[46:47], v[114:115] op_sel_hi:[1,1,0] neg_lo:[0,0,1] neg_hi:[0,0,1]
	v_pk_fma_f32 v[110:111], v[110:111], v[46:47], v[116:117] op_sel:[1,0,0] op_sel_hi:[0,1,0]
	s_delay_alu instid0(VALU_DEP_1) | instskip(SKIP_1) | instid1(VALU_DEP_2)
	v_mov_b32_e32 v115, v111
	v_pk_mul_f32 v[110:111], v[112:113], v[102:103] op_sel:[0,1]
	v_pk_add_f32 v[70:71], v[70:71], v[114:115] neg_lo:[0,1] neg_hi:[0,1]
	s_delay_alu instid0(VALU_DEP_2) | instskip(SKIP_1) | instid1(VALU_DEP_1)
	v_pk_fma_f32 v[114:115], v[112:113], v[100:101], v[110:111] op_sel:[0,0,1] op_sel_hi:[1,1,0] neg_lo:[0,0,1] neg_hi:[0,0,1]
	v_pk_fma_f32 v[110:111], v[112:113], v[100:101], v[110:111] op_sel:[0,0,1] op_sel_hi:[1,0,0]
	v_mov_b32_e32 v115, v111
	ds_load_2addr_b64 v[110:113], v104 offset0:26 offset1:27
	v_pk_add_f32 v[66:67], v[66:67], v[114:115] neg_lo:[0,1] neg_hi:[0,1]
	s_wait_dscnt 0x0
	v_pk_mul_f32 v[114:115], v[110:111], v[102:103] op_sel:[0,1]
	s_delay_alu instid0(VALU_DEP_1) | instskip(SKIP_1) | instid1(VALU_DEP_1)
	v_pk_fma_f32 v[116:117], v[110:111], v[100:101], v[114:115] op_sel:[0,0,1] op_sel_hi:[1,1,0] neg_lo:[0,0,1] neg_hi:[0,0,1]
	v_pk_fma_f32 v[110:111], v[110:111], v[100:101], v[114:115] op_sel:[0,0,1] op_sel_hi:[1,0,0]
	v_mov_b32_e32 v117, v111
	v_pk_mul_f32 v[110:111], v[112:113], v[102:103] op_sel:[0,1]
	s_delay_alu instid0(VALU_DEP_2) | instskip(NEXT) | instid1(VALU_DEP_2)
	v_pk_add_f32 v[26:27], v[26:27], v[116:117] neg_lo:[0,1] neg_hi:[0,1]
	v_pk_fma_f32 v[114:115], v[112:113], v[100:101], v[110:111] op_sel:[0,0,1] op_sel_hi:[1,1,0] neg_lo:[0,0,1] neg_hi:[0,0,1]
	v_pk_fma_f32 v[110:111], v[112:113], v[100:101], v[110:111] op_sel:[0,0,1] op_sel_hi:[1,0,0]
	s_delay_alu instid0(VALU_DEP_1) | instskip(SKIP_4) | instid1(VALU_DEP_1)
	v_mov_b32_e32 v115, v111
	ds_load_2addr_b64 v[110:113], v104 offset0:28 offset1:29
	v_pk_add_f32 v[22:23], v[22:23], v[114:115] neg_lo:[0,1] neg_hi:[0,1]
	s_wait_dscnt 0x0
	v_pk_mul_f32 v[114:115], v[110:111], v[102:103] op_sel:[0,1]
	v_pk_fma_f32 v[116:117], v[110:111], v[100:101], v[114:115] op_sel:[0,0,1] op_sel_hi:[1,1,0] neg_lo:[0,0,1] neg_hi:[0,0,1]
	v_pk_fma_f32 v[110:111], v[110:111], v[100:101], v[114:115] op_sel:[0,0,1] op_sel_hi:[1,0,0]
	v_dual_mul_f32 v114, v113, v103 :: v_dual_mov_b32 v110, v113
	s_delay_alu instid0(VALU_DEP_2) | instskip(NEXT) | instid1(VALU_DEP_2)
	v_dual_mov_b32 v117, v111 :: v_dual_mov_b32 v111, v112
	v_pk_fma_f32 v[114:115], v[112:113], v[46:47], v[114:115] op_sel_hi:[1,1,0] neg_lo:[0,0,1] neg_hi:[0,0,1]
	v_mul_f32_e32 v112, v113, v100
	s_delay_alu instid0(VALU_DEP_3) | instskip(NEXT) | instid1(VALU_DEP_2)
	v_pk_add_f32 v[64:65], v[64:65], v[116:117] neg_lo:[0,1] neg_hi:[0,1]
	v_pk_fma_f32 v[110:111], v[110:111], v[46:47], v[112:113] op_sel_hi:[1,1,0]
	s_delay_alu instid0(VALU_DEP_1) | instskip(SKIP_4) | instid1(VALU_DEP_1)
	v_mov_b32_e32 v115, v111
	ds_load_2addr_b64 v[110:113], v104 offset0:30 offset1:31
	v_pk_add_f32 v[62:63], v[62:63], v[114:115] neg_lo:[0,1] neg_hi:[0,1]
	s_wait_dscnt 0x0
	v_pk_mul_f32 v[114:115], v[110:111], v[102:103] op_sel:[0,1]
	v_pk_fma_f32 v[116:117], v[110:111], v[100:101], v[114:115] op_sel:[0,0,1] op_sel_hi:[1,1,0] neg_lo:[0,0,1] neg_hi:[0,0,1]
	v_pk_fma_f32 v[110:111], v[110:111], v[100:101], v[114:115] op_sel:[0,0,1] op_sel_hi:[1,0,0]
	s_delay_alu instid0(VALU_DEP_1) | instskip(SKIP_1) | instid1(VALU_DEP_1)
	v_mov_b32_e32 v117, v111
	v_pk_mul_f32 v[110:111], v[112:113], v[102:103] op_sel:[0,1]
	v_pk_fma_f32 v[114:115], v[112:113], v[100:101], v[110:111] op_sel:[0,0,1] op_sel_hi:[1,1,0] neg_lo:[0,0,1] neg_hi:[0,0,1]
	v_pk_fma_f32 v[110:111], v[112:113], v[100:101], v[110:111] op_sel:[0,0,1] op_sel_hi:[1,0,0]
	s_delay_alu instid0(VALU_DEP_1)
	v_mov_b32_e32 v115, v111
	ds_load_2addr_b64 v[110:113], v104 offset0:32 offset1:33
	v_pk_add_f32 v[20:21], v[20:21], v[116:117] neg_lo:[0,1] neg_hi:[0,1]
	v_pk_add_f32 v[18:19], v[18:19], v[114:115] neg_lo:[0,1] neg_hi:[0,1]
	s_wait_dscnt 0x0
	v_pk_mul_f32 v[114:115], v[110:111], v[102:103] op_sel:[0,1]
	s_delay_alu instid0(VALU_DEP_1) | instskip(SKIP_1) | instid1(VALU_DEP_1)
	v_pk_fma_f32 v[116:117], v[110:111], v[100:101], v[114:115] op_sel:[0,0,1] op_sel_hi:[1,1,0] neg_lo:[0,0,1] neg_hi:[0,0,1]
	v_pk_fma_f32 v[110:111], v[110:111], v[100:101], v[114:115] op_sel:[0,0,1] op_sel_hi:[1,0,0]
	v_mov_b32_e32 v117, v111
	v_pk_mul_f32 v[110:111], v[112:113], v[102:103] op_sel:[0,1]
	s_delay_alu instid0(VALU_DEP_1) | instskip(SKIP_1) | instid1(VALU_DEP_1)
	v_pk_fma_f32 v[114:115], v[112:113], v[100:101], v[110:111] op_sel:[0,0,1] op_sel_hi:[1,1,0] neg_lo:[0,0,1] neg_hi:[0,0,1]
	v_pk_fma_f32 v[110:111], v[112:113], v[100:101], v[110:111] op_sel:[0,0,1] op_sel_hi:[1,0,0]
	v_mov_b32_e32 v115, v111
	ds_load_2addr_b64 v[110:113], v104 offset0:34 offset1:35
	v_pk_add_f32 v[60:61], v[60:61], v[116:117] neg_lo:[0,1] neg_hi:[0,1]
	v_pk_add_f32 v[58:59], v[58:59], v[114:115] neg_lo:[0,1] neg_hi:[0,1]
	s_wait_dscnt 0x0
	v_dual_mul_f32 v114, v111, v103 :: v_dual_mul_f32 v116, v111, v100
	s_delay_alu instid0(VALU_DEP_1) | instskip(NEXT) | instid1(VALU_DEP_2)
	v_pk_fma_f32 v[114:115], v[110:111], v[46:47], v[114:115] op_sel_hi:[1,1,0] neg_lo:[0,0,1] neg_hi:[0,0,1]
	v_pk_fma_f32 v[110:111], v[110:111], v[46:47], v[116:117] op_sel:[1,0,0] op_sel_hi:[0,1,0]
	s_delay_alu instid0(VALU_DEP_1) | instskip(SKIP_1) | instid1(VALU_DEP_2)
	v_mov_b32_e32 v115, v111
	v_pk_mul_f32 v[110:111], v[112:113], v[102:103] op_sel:[0,1]
	v_pk_add_f32 v[16:17], v[16:17], v[114:115] neg_lo:[0,1] neg_hi:[0,1]
	s_delay_alu instid0(VALU_DEP_2) | instskip(SKIP_1) | instid1(VALU_DEP_1)
	v_pk_fma_f32 v[114:115], v[112:113], v[100:101], v[110:111] op_sel:[0,0,1] op_sel_hi:[1,1,0] neg_lo:[0,0,1] neg_hi:[0,0,1]
	v_pk_fma_f32 v[110:111], v[112:113], v[100:101], v[110:111] op_sel:[0,0,1] op_sel_hi:[1,0,0]
	v_mov_b32_e32 v115, v111
	ds_load_2addr_b64 v[110:113], v104 offset0:36 offset1:37
	v_pk_add_f32 v[14:15], v[14:15], v[114:115] neg_lo:[0,1] neg_hi:[0,1]
	s_wait_dscnt 0x0
	v_pk_mul_f32 v[114:115], v[110:111], v[102:103] op_sel:[0,1]
	s_delay_alu instid0(VALU_DEP_1) | instskip(SKIP_1) | instid1(VALU_DEP_1)
	v_pk_fma_f32 v[116:117], v[110:111], v[100:101], v[114:115] op_sel:[0,0,1] op_sel_hi:[1,1,0] neg_lo:[0,0,1] neg_hi:[0,0,1]
	v_pk_fma_f32 v[110:111], v[110:111], v[100:101], v[114:115] op_sel:[0,0,1] op_sel_hi:[1,0,0]
	v_mov_b32_e32 v117, v111
	v_pk_mul_f32 v[110:111], v[112:113], v[102:103] op_sel:[0,1]
	s_delay_alu instid0(VALU_DEP_2) | instskip(NEXT) | instid1(VALU_DEP_2)
	v_pk_add_f32 v[56:57], v[56:57], v[116:117] neg_lo:[0,1] neg_hi:[0,1]
	v_pk_fma_f32 v[114:115], v[112:113], v[100:101], v[110:111] op_sel:[0,0,1] op_sel_hi:[1,1,0] neg_lo:[0,0,1] neg_hi:[0,0,1]
	v_pk_fma_f32 v[110:111], v[112:113], v[100:101], v[110:111] op_sel:[0,0,1] op_sel_hi:[1,0,0]
	s_delay_alu instid0(VALU_DEP_1) | instskip(SKIP_4) | instid1(VALU_DEP_1)
	v_mov_b32_e32 v115, v111
	ds_load_2addr_b64 v[110:113], v104 offset0:38 offset1:39
	v_pk_add_f32 v[54:55], v[54:55], v[114:115] neg_lo:[0,1] neg_hi:[0,1]
	s_wait_dscnt 0x0
	v_pk_mul_f32 v[114:115], v[110:111], v[102:103] op_sel:[0,1]
	v_pk_fma_f32 v[116:117], v[110:111], v[100:101], v[114:115] op_sel:[0,0,1] op_sel_hi:[1,1,0] neg_lo:[0,0,1] neg_hi:[0,0,1]
	v_pk_fma_f32 v[110:111], v[110:111], v[100:101], v[114:115] op_sel:[0,0,1] op_sel_hi:[1,0,0]
	v_dual_mul_f32 v114, v113, v103 :: v_dual_mov_b32 v110, v113
	s_delay_alu instid0(VALU_DEP_2) | instskip(NEXT) | instid1(VALU_DEP_2)
	v_dual_mov_b32 v117, v111 :: v_dual_mov_b32 v111, v112
	v_pk_fma_f32 v[114:115], v[112:113], v[46:47], v[114:115] op_sel_hi:[1,1,0] neg_lo:[0,0,1] neg_hi:[0,0,1]
	v_mul_f32_e32 v112, v113, v100
	s_delay_alu instid0(VALU_DEP_3) | instskip(NEXT) | instid1(VALU_DEP_2)
	v_pk_add_f32 v[10:11], v[10:11], v[116:117] neg_lo:[0,1] neg_hi:[0,1]
	v_pk_fma_f32 v[110:111], v[110:111], v[46:47], v[112:113] op_sel_hi:[1,1,0]
	s_delay_alu instid0(VALU_DEP_1) | instskip(SKIP_4) | instid1(VALU_DEP_1)
	v_mov_b32_e32 v115, v111
	ds_load_2addr_b64 v[110:113], v104 offset0:40 offset1:41
	v_pk_add_f32 v[6:7], v[6:7], v[114:115] neg_lo:[0,1] neg_hi:[0,1]
	s_wait_dscnt 0x0
	v_pk_mul_f32 v[114:115], v[110:111], v[102:103] op_sel:[0,1]
	v_pk_fma_f32 v[116:117], v[110:111], v[100:101], v[114:115] op_sel:[0,0,1] op_sel_hi:[1,1,0] neg_lo:[0,0,1] neg_hi:[0,0,1]
	v_pk_fma_f32 v[110:111], v[110:111], v[100:101], v[114:115] op_sel:[0,0,1] op_sel_hi:[1,0,0]
	s_delay_alu instid0(VALU_DEP_1) | instskip(SKIP_1) | instid1(VALU_DEP_1)
	v_mov_b32_e32 v117, v111
	v_pk_mul_f32 v[110:111], v[112:113], v[102:103] op_sel:[0,1]
	v_pk_fma_f32 v[114:115], v[112:113], v[100:101], v[110:111] op_sel:[0,0,1] op_sel_hi:[1,1,0] neg_lo:[0,0,1] neg_hi:[0,0,1]
	v_pk_fma_f32 v[110:111], v[112:113], v[100:101], v[110:111] op_sel:[0,0,1] op_sel_hi:[1,0,0]
	s_delay_alu instid0(VALU_DEP_1)
	v_mov_b32_e32 v115, v111
	ds_load_2addr_b64 v[110:113], v104 offset0:42 offset1:43
	v_pk_add_f32 v[52:53], v[52:53], v[116:117] neg_lo:[0,1] neg_hi:[0,1]
	v_pk_add_f32 v[50:51], v[50:51], v[114:115] neg_lo:[0,1] neg_hi:[0,1]
	s_wait_dscnt 0x0
	v_pk_mul_f32 v[114:115], v[110:111], v[102:103] op_sel:[0,1]
	s_delay_alu instid0(VALU_DEP_1) | instskip(SKIP_1) | instid1(VALU_DEP_1)
	v_pk_fma_f32 v[116:117], v[110:111], v[100:101], v[114:115] op_sel:[0,0,1] op_sel_hi:[1,1,0] neg_lo:[0,0,1] neg_hi:[0,0,1]
	v_pk_fma_f32 v[110:111], v[110:111], v[100:101], v[114:115] op_sel:[0,0,1] op_sel_hi:[1,0,0]
	v_mov_b32_e32 v117, v111
	v_pk_mul_f32 v[110:111], v[112:113], v[102:103] op_sel:[0,1]
	s_delay_alu instid0(VALU_DEP_1) | instskip(SKIP_1) | instid1(VALU_DEP_1)
	v_pk_fma_f32 v[114:115], v[112:113], v[100:101], v[110:111] op_sel:[0,0,1] op_sel_hi:[1,1,0] neg_lo:[0,0,1] neg_hi:[0,0,1]
	v_pk_fma_f32 v[110:111], v[112:113], v[100:101], v[110:111] op_sel:[0,0,1] op_sel_hi:[1,0,0]
	v_mov_b32_e32 v115, v111
	ds_load_2addr_b64 v[110:113], v104 offset0:44 offset1:45
	v_pk_add_f32 v[8:9], v[8:9], v[116:117] neg_lo:[0,1] neg_hi:[0,1]
	v_pk_add_f32 v[40:41], v[40:41], v[114:115] neg_lo:[0,1] neg_hi:[0,1]
	s_wait_dscnt 0x0
	v_dual_mul_f32 v114, v111, v103 :: v_dual_mul_f32 v116, v111, v100
	s_delay_alu instid0(VALU_DEP_1) | instskip(NEXT) | instid1(VALU_DEP_2)
	v_pk_fma_f32 v[114:115], v[110:111], v[46:47], v[114:115] op_sel_hi:[1,1,0] neg_lo:[0,0,1] neg_hi:[0,0,1]
	v_pk_fma_f32 v[110:111], v[110:111], v[46:47], v[116:117] op_sel:[1,0,0] op_sel_hi:[0,1,0]
	s_delay_alu instid0(VALU_DEP_1) | instskip(SKIP_1) | instid1(VALU_DEP_2)
	v_mov_b32_e32 v115, v111
	v_pk_mul_f32 v[110:111], v[112:113], v[102:103] op_sel:[0,1]
	v_pk_add_f32 v[30:31], v[30:31], v[114:115] neg_lo:[0,1] neg_hi:[0,1]
	s_delay_alu instid0(VALU_DEP_2) | instskip(SKIP_1) | instid1(VALU_DEP_1)
	v_pk_fma_f32 v[114:115], v[112:113], v[100:101], v[110:111] op_sel:[0,0,1] op_sel_hi:[1,1,0] neg_lo:[0,0,1] neg_hi:[0,0,1]
	v_pk_fma_f32 v[110:111], v[112:113], v[100:101], v[110:111] op_sel:[0,0,1] op_sel_hi:[1,0,0]
	v_mov_b32_e32 v115, v111
	ds_load_b64 v[110:111], v104 offset:368
	v_pk_add_f32 v[12:13], v[12:13], v[114:115] neg_lo:[0,1] neg_hi:[0,1]
	s_wait_dscnt 0x0
	v_pk_mul_f32 v[102:103], v[110:111], v[102:103] op_sel:[0,1]
	s_delay_alu instid0(VALU_DEP_1) | instskip(SKIP_1) | instid1(VALU_DEP_1)
	v_pk_fma_f32 v[112:113], v[110:111], v[100:101], v[102:103] op_sel:[0,0,1] op_sel_hi:[1,1,0] neg_lo:[0,0,1] neg_hi:[0,0,1]
	v_pk_fma_f32 v[100:101], v[110:111], v[100:101], v[102:103] op_sel:[0,0,1] op_sel_hi:[1,0,0]
	v_mov_b32_e32 v113, v101
	s_delay_alu instid0(VALU_DEP_1)
	v_pk_add_f32 v[98:99], v[98:99], v[112:113] neg_lo:[0,1] neg_hi:[0,1]
.LBB92_335:
	s_or_b32 exec_lo, exec_lo, s0
	v_lshl_add_u32 v100, v108, 3, v104
	s_barrier_signal -1
	s_barrier_wait -1
	ds_store_b64 v100, v[84:85]
	s_wait_dscnt 0x0
	s_barrier_signal -1
	s_barrier_wait -1
	ds_load_b64 v[102:103], v104 offset:128
	v_mov_b32_e32 v100, 16
	s_cmp_lt_i32 s18, 18
	s_cbranch_scc1 .LBB92_338
; %bb.336:
	v_add3_u32 v101, v105, 0, 0x88
	v_mov_b32_e32 v100, 16
	s_mov_b32 s0, 17
.LBB92_337:                             ; =>This Inner Loop Header: Depth=1
	ds_load_b64 v[110:111], v101
	s_wait_dscnt 0x1
	v_cmp_gt_f32_e32 vcc_lo, 0, v102
	v_cndmask_b32_e64 v112, v102, -v102, vcc_lo
	v_cmp_gt_f32_e32 vcc_lo, 0, v103
	v_cndmask_b32_e64 v114, v103, -v103, vcc_lo
	s_wait_dscnt 0x0
	v_cmp_gt_f32_e32 vcc_lo, 0, v110
	v_cndmask_b32_e64 v113, v110, -v110, vcc_lo
	v_cmp_gt_f32_e32 vcc_lo, 0, v111
	v_cndmask_b32_e64 v115, v111, -v111, vcc_lo
	s_delay_alu instid0(VALU_DEP_1) | instskip(NEXT) | instid1(VALU_DEP_1)
	v_pk_add_f32 v[112:113], v[112:113], v[114:115]
	v_cmp_lt_f32_e32 vcc_lo, v112, v113
	v_dual_add_nc_u32 v101, 8, v101 :: v_dual_cndmask_b32 v103, v103, v111, vcc_lo
	v_cndmask_b32_e32 v102, v102, v110, vcc_lo
	v_cndmask_b32_e64 v100, v100, s0, vcc_lo
	s_add_co_i32 s0, s0, 1
	s_delay_alu instid0(SALU_CYCLE_1)
	s_cmp_lg_u32 s18, s0
	s_cbranch_scc1 .LBB92_337
.LBB92_338:
	s_wait_dscnt 0x0
	v_cmp_eq_f32_e32 vcc_lo, 0, v102
	v_cmp_eq_f32_e64 s0, 0, v103
	s_and_b32 s0, vcc_lo, s0
	s_delay_alu instid0(SALU_CYCLE_1) | instskip(NEXT) | instid1(SALU_CYCLE_1)
	s_and_saveexec_b32 s1, s0
	s_xor_b32 s0, exec_lo, s1
; %bb.339:
	v_cmp_ne_u32_e32 vcc_lo, 0, v106
	v_cndmask_b32_e32 v106, 17, v106, vcc_lo
; %bb.340:
	s_and_not1_saveexec_b32 s0, s0
	s_cbranch_execz .LBB92_346
; %bb.341:
	v_cmp_ngt_f32_e64 s1, |v102|, |v103|
	s_and_saveexec_b32 s12, s1
	s_delay_alu instid0(SALU_CYCLE_1)
	s_xor_b32 s1, exec_lo, s12
	s_cbranch_execz .LBB92_343
; %bb.342:
	v_div_scale_f32 v101, null, v103, v103, v102
	v_div_scale_f32 v111, vcc_lo, v102, v103, v102
	s_delay_alu instid0(VALU_DEP_2) | instskip(SKIP_1) | instid1(TRANS32_DEP_1)
	v_rcp_f32_e32 v109, v101
	v_nop
	v_fma_f32 v110, -v101, v109, 1.0
	s_delay_alu instid0(VALU_DEP_1) | instskip(NEXT) | instid1(VALU_DEP_1)
	v_fmac_f32_e32 v109, v110, v109
	v_mul_f32_e32 v110, v111, v109
	s_delay_alu instid0(VALU_DEP_1) | instskip(NEXT) | instid1(VALU_DEP_1)
	v_fma_f32 v112, -v101, v110, v111
	v_fmac_f32_e32 v110, v112, v109
	s_delay_alu instid0(VALU_DEP_1) | instskip(NEXT) | instid1(VALU_DEP_1)
	v_fma_f32 v101, -v101, v110, v111
	v_div_fmas_f32 v101, v101, v109, v110
	s_delay_alu instid0(VALU_DEP_1) | instskip(NEXT) | instid1(VALU_DEP_1)
	v_div_fixup_f32 v101, v101, v103, v102
	v_fmac_f32_e32 v103, v102, v101
	s_delay_alu instid0(VALU_DEP_1) | instskip(SKIP_1) | instid1(VALU_DEP_2)
	v_div_scale_f32 v102, null, v103, v103, 1.0
	v_div_scale_f32 v111, vcc_lo, 1.0, v103, 1.0
	v_rcp_f32_e32 v109, v102
	v_nop
	s_delay_alu instid0(TRANS32_DEP_1) | instskip(NEXT) | instid1(VALU_DEP_1)
	v_fma_f32 v110, -v102, v109, 1.0
	v_fmac_f32_e32 v109, v110, v109
	s_delay_alu instid0(VALU_DEP_1) | instskip(NEXT) | instid1(VALU_DEP_1)
	v_mul_f32_e32 v110, v111, v109
	v_fma_f32 v112, -v102, v110, v111
	s_delay_alu instid0(VALU_DEP_1) | instskip(NEXT) | instid1(VALU_DEP_1)
	v_fmac_f32_e32 v110, v112, v109
	v_fma_f32 v102, -v102, v110, v111
	s_delay_alu instid0(VALU_DEP_1) | instskip(NEXT) | instid1(VALU_DEP_1)
	v_div_fmas_f32 v102, v102, v109, v110
	v_div_fixup_f32 v103, v102, v103, 1.0
	s_delay_alu instid0(VALU_DEP_1)
	v_mul_f32_e32 v102, v101, v103
	v_xor_b32_e32 v103, 0x80000000, v103
.LBB92_343:
	s_and_not1_saveexec_b32 s1, s1
	s_cbranch_execz .LBB92_345
; %bb.344:
	s_delay_alu instid0(VALU_DEP_1) | instskip(SKIP_1) | instid1(VALU_DEP_2)
	v_div_scale_f32 v101, null, v102, v102, v103
	v_div_scale_f32 v111, vcc_lo, v103, v102, v103
	v_rcp_f32_e32 v109, v101
	v_nop
	s_delay_alu instid0(TRANS32_DEP_1) | instskip(NEXT) | instid1(VALU_DEP_1)
	v_fma_f32 v110, -v101, v109, 1.0
	v_fmac_f32_e32 v109, v110, v109
	s_delay_alu instid0(VALU_DEP_1) | instskip(NEXT) | instid1(VALU_DEP_1)
	v_mul_f32_e32 v110, v111, v109
	v_fma_f32 v112, -v101, v110, v111
	s_delay_alu instid0(VALU_DEP_1) | instskip(NEXT) | instid1(VALU_DEP_1)
	v_fmac_f32_e32 v110, v112, v109
	v_fma_f32 v101, -v101, v110, v111
	s_delay_alu instid0(VALU_DEP_1) | instskip(NEXT) | instid1(VALU_DEP_1)
	v_div_fmas_f32 v101, v101, v109, v110
	v_div_fixup_f32 v101, v101, v102, v103
	s_delay_alu instid0(VALU_DEP_1) | instskip(NEXT) | instid1(VALU_DEP_1)
	v_fmac_f32_e32 v102, v103, v101
	v_div_scale_f32 v103, null, v102, v102, 1.0
	s_delay_alu instid0(VALU_DEP_1) | instskip(SKIP_1) | instid1(TRANS32_DEP_1)
	v_rcp_f32_e32 v109, v103
	v_nop
	v_fma_f32 v110, -v103, v109, 1.0
	s_delay_alu instid0(VALU_DEP_1) | instskip(SKIP_1) | instid1(VALU_DEP_1)
	v_fmac_f32_e32 v109, v110, v109
	v_div_scale_f32 v110, vcc_lo, 1.0, v102, 1.0
	v_mul_f32_e32 v111, v110, v109
	s_delay_alu instid0(VALU_DEP_1) | instskip(NEXT) | instid1(VALU_DEP_1)
	v_fma_f32 v112, -v103, v111, v110
	v_fmac_f32_e32 v111, v112, v109
	s_delay_alu instid0(VALU_DEP_1) | instskip(NEXT) | instid1(VALU_DEP_1)
	v_fma_f32 v103, -v103, v111, v110
	v_div_fmas_f32 v103, v103, v109, v111
	s_delay_alu instid0(VALU_DEP_1) | instskip(NEXT) | instid1(VALU_DEP_1)
	v_div_fixup_f32 v102, v103, v102, 1.0
	v_mul_f32_e64 v103, v101, -v102
.LBB92_345:
	s_or_b32 exec_lo, exec_lo, s1
.LBB92_346:
	s_delay_alu instid0(SALU_CYCLE_1) | instskip(NEXT) | instid1(SALU_CYCLE_1)
	s_or_b32 exec_lo, exec_lo, s0
	s_mov_b32 s0, exec_lo
	v_cmpx_ne_u32_e64 v108, v100
	s_xor_b32 s0, exec_lo, s0
	s_cbranch_execz .LBB92_352
; %bb.347:
	s_mov_b32 s1, exec_lo
	v_cmpx_eq_u32_e32 16, v108
	s_cbranch_execz .LBB92_351
; %bb.348:
	v_cmp_ne_u32_e32 vcc_lo, 16, v100
	s_xor_b32 s12, s16, -1
	s_delay_alu instid0(SALU_CYCLE_1) | instskip(NEXT) | instid1(SALU_CYCLE_1)
	s_and_b32 s13, s12, vcc_lo
	s_and_saveexec_b32 s12, s13
	s_cbranch_execz .LBB92_350
; %bb.349:
	v_ashrrev_i32_e32 v101, 31, v100
	s_delay_alu instid0(VALU_DEP_1)
	v_lshl_add_u64 v[108:109], v[100:101], 2, v[4:5]
	s_clause 0x1
	global_load_b32 v101, v[108:109], off
	global_load_b32 v107, v[4:5], off offset:64
	s_wait_loadcnt 0x1
	global_store_b32 v[4:5], v101, off offset:64
	s_wait_loadcnt 0x0
	global_store_b32 v[108:109], v107, off
.LBB92_350:
	s_wait_xcnt 0x0
	s_or_b32 exec_lo, exec_lo, s12
	v_dual_mov_b32 v108, v100 :: v_dual_mov_b32 v107, v100
.LBB92_351:
	s_or_b32 exec_lo, exec_lo, s1
.LBB92_352:
	s_and_not1_saveexec_b32 s0, s0
	s_cbranch_execz .LBB92_354
; %bb.353:
	v_mov_b32_e32 v108, 16
	ds_store_2addr_b64 v104, v[82:83], v[44:45] offset0:17 offset1:18
	ds_store_2addr_b64 v104, v[42:43], v[80:81] offset0:19 offset1:20
	ds_store_2addr_b64 v104, v[78:79], v[38:39] offset0:21 offset1:22
	ds_store_2addr_b64 v104, v[36:37], v[70:71] offset0:23 offset1:24
	ds_store_2addr_b64 v104, v[66:67], v[26:27] offset0:25 offset1:26
	ds_store_2addr_b64 v104, v[22:23], v[64:65] offset0:27 offset1:28
	ds_store_2addr_b64 v104, v[62:63], v[20:21] offset0:29 offset1:30
	ds_store_2addr_b64 v104, v[18:19], v[60:61] offset0:31 offset1:32
	ds_store_2addr_b64 v104, v[58:59], v[16:17] offset0:33 offset1:34
	ds_store_2addr_b64 v104, v[14:15], v[56:57] offset0:35 offset1:36
	ds_store_2addr_b64 v104, v[54:55], v[10:11] offset0:37 offset1:38
	ds_store_2addr_b64 v104, v[6:7], v[52:53] offset0:39 offset1:40
	ds_store_2addr_b64 v104, v[50:51], v[8:9] offset0:41 offset1:42
	ds_store_2addr_b64 v104, v[40:41], v[30:31] offset0:43 offset1:44
	ds_store_2addr_b64 v104, v[12:13], v[98:99] offset0:45 offset1:46
.LBB92_354:
	s_or_b32 exec_lo, exec_lo, s0
	s_delay_alu instid0(SALU_CYCLE_1)
	s_mov_b32 s0, exec_lo
	s_wait_storecnt_dscnt 0x0
	s_barrier_signal -1
	s_barrier_wait -1
	v_cmpx_lt_i32_e32 16, v108
	s_cbranch_execz .LBB92_356
; %bb.355:
	v_pk_mul_f32 v[110:111], v[102:103], v[84:85] op_sel:[1,1] op_sel_hi:[0,1]
	s_delay_alu instid0(VALU_DEP_1)
	v_pk_fma_f32 v[100:101], v[102:103], v[84:85], v[110:111] op_sel_hi:[1,0,1] neg_lo:[0,0,1] neg_hi:[0,0,1]
	v_pk_fma_f32 v[102:103], v[102:103], v[84:85], v[110:111] op_sel_hi:[1,0,1]
	ds_load_2addr_b64 v[110:113], v104 offset0:17 offset1:18
	v_dual_mov_b32 v84, v100 :: v_dual_mov_b32 v85, v103
	s_wait_dscnt 0x0
	v_pk_mul_f32 v[114:115], v[110:111], v[102:103] op_sel:[0,1]
	s_delay_alu instid0(VALU_DEP_1) | instskip(SKIP_1) | instid1(VALU_DEP_1)
	v_pk_fma_f32 v[116:117], v[110:111], v[100:101], v[114:115] op_sel:[0,0,1] op_sel_hi:[1,1,0] neg_lo:[0,0,1] neg_hi:[0,0,1]
	v_pk_fma_f32 v[110:111], v[110:111], v[100:101], v[114:115] op_sel:[0,0,1] op_sel_hi:[1,0,0]
	v_mov_b32_e32 v117, v111
	v_pk_mul_f32 v[110:111], v[112:113], v[102:103] op_sel:[0,1]
	s_delay_alu instid0(VALU_DEP_1) | instskip(SKIP_1) | instid1(VALU_DEP_1)
	v_pk_fma_f32 v[114:115], v[112:113], v[100:101], v[110:111] op_sel:[0,0,1] op_sel_hi:[1,1,0] neg_lo:[0,0,1] neg_hi:[0,0,1]
	v_pk_fma_f32 v[110:111], v[112:113], v[100:101], v[110:111] op_sel:[0,0,1] op_sel_hi:[1,0,0]
	v_mov_b32_e32 v115, v111
	ds_load_2addr_b64 v[110:113], v104 offset0:19 offset1:20
	v_pk_add_f32 v[82:83], v[82:83], v[116:117] neg_lo:[0,1] neg_hi:[0,1]
	v_pk_add_f32 v[44:45], v[44:45], v[114:115] neg_lo:[0,1] neg_hi:[0,1]
	s_wait_dscnt 0x0
	v_pk_mul_f32 v[114:115], v[110:111], v[102:103] op_sel:[0,1]
	s_delay_alu instid0(VALU_DEP_1) | instskip(SKIP_2) | instid1(VALU_DEP_2)
	v_pk_fma_f32 v[116:117], v[110:111], v[100:101], v[114:115] op_sel:[0,0,1] op_sel_hi:[1,1,0] neg_lo:[0,0,1] neg_hi:[0,0,1]
	v_pk_fma_f32 v[110:111], v[110:111], v[100:101], v[114:115] op_sel:[0,0,1] op_sel_hi:[1,0,0]
	v_dual_mul_f32 v114, v113, v103 :: v_dual_mov_b32 v110, v113
	v_dual_mov_b32 v117, v111 :: v_dual_mov_b32 v111, v112
	s_delay_alu instid0(VALU_DEP_2) | instskip(SKIP_1) | instid1(VALU_DEP_3)
	v_pk_fma_f32 v[114:115], v[112:113], v[84:85], v[114:115] op_sel_hi:[1,1,0] neg_lo:[0,0,1] neg_hi:[0,0,1]
	v_mul_f32_e32 v112, v113, v100
	v_pk_add_f32 v[42:43], v[42:43], v[116:117] neg_lo:[0,1] neg_hi:[0,1]
	s_delay_alu instid0(VALU_DEP_2) | instskip(NEXT) | instid1(VALU_DEP_1)
	v_pk_fma_f32 v[110:111], v[110:111], v[84:85], v[112:113] op_sel_hi:[1,1,0]
	v_mov_b32_e32 v115, v111
	ds_load_2addr_b64 v[110:113], v104 offset0:21 offset1:22
	v_pk_add_f32 v[80:81], v[80:81], v[114:115] neg_lo:[0,1] neg_hi:[0,1]
	s_wait_dscnt 0x0
	v_pk_mul_f32 v[114:115], v[110:111], v[102:103] op_sel:[0,1]
	s_delay_alu instid0(VALU_DEP_1) | instskip(SKIP_1) | instid1(VALU_DEP_1)
	v_pk_fma_f32 v[116:117], v[110:111], v[100:101], v[114:115] op_sel:[0,0,1] op_sel_hi:[1,1,0] neg_lo:[0,0,1] neg_hi:[0,0,1]
	v_pk_fma_f32 v[110:111], v[110:111], v[100:101], v[114:115] op_sel:[0,0,1] op_sel_hi:[1,0,0]
	v_mov_b32_e32 v117, v111
	v_pk_mul_f32 v[110:111], v[112:113], v[102:103] op_sel:[0,1]
	s_delay_alu instid0(VALU_DEP_1) | instskip(SKIP_1) | instid1(VALU_DEP_1)
	v_pk_fma_f32 v[114:115], v[112:113], v[100:101], v[110:111] op_sel:[0,0,1] op_sel_hi:[1,1,0] neg_lo:[0,0,1] neg_hi:[0,0,1]
	v_pk_fma_f32 v[110:111], v[112:113], v[100:101], v[110:111] op_sel:[0,0,1] op_sel_hi:[1,0,0]
	v_mov_b32_e32 v115, v111
	ds_load_2addr_b64 v[110:113], v104 offset0:23 offset1:24
	v_pk_add_f32 v[78:79], v[78:79], v[116:117] neg_lo:[0,1] neg_hi:[0,1]
	v_pk_add_f32 v[38:39], v[38:39], v[114:115] neg_lo:[0,1] neg_hi:[0,1]
	s_wait_dscnt 0x0
	v_pk_mul_f32 v[114:115], v[110:111], v[102:103] op_sel:[0,1]
	s_delay_alu instid0(VALU_DEP_1) | instskip(SKIP_1) | instid1(VALU_DEP_1)
	v_pk_fma_f32 v[116:117], v[110:111], v[100:101], v[114:115] op_sel:[0,0,1] op_sel_hi:[1,1,0] neg_lo:[0,0,1] neg_hi:[0,0,1]
	v_pk_fma_f32 v[110:111], v[110:111], v[100:101], v[114:115] op_sel:[0,0,1] op_sel_hi:[1,0,0]
	v_mov_b32_e32 v117, v111
	v_pk_mul_f32 v[110:111], v[112:113], v[102:103] op_sel:[0,1]
	s_delay_alu instid0(VALU_DEP_1) | instskip(SKIP_1) | instid1(VALU_DEP_1)
	v_pk_fma_f32 v[114:115], v[112:113], v[100:101], v[110:111] op_sel:[0,0,1] op_sel_hi:[1,1,0] neg_lo:[0,0,1] neg_hi:[0,0,1]
	v_pk_fma_f32 v[110:111], v[112:113], v[100:101], v[110:111] op_sel:[0,0,1] op_sel_hi:[1,0,0]
	v_mov_b32_e32 v115, v111
	ds_load_2addr_b64 v[110:113], v104 offset0:25 offset1:26
	v_pk_add_f32 v[36:37], v[36:37], v[116:117] neg_lo:[0,1] neg_hi:[0,1]
	v_pk_add_f32 v[70:71], v[70:71], v[114:115] neg_lo:[0,1] neg_hi:[0,1]
	s_wait_dscnt 0x0
	v_dual_mul_f32 v114, v111, v103 :: v_dual_mul_f32 v116, v111, v100
	s_delay_alu instid0(VALU_DEP_1) | instskip(NEXT) | instid1(VALU_DEP_2)
	v_pk_fma_f32 v[114:115], v[110:111], v[84:85], v[114:115] op_sel_hi:[1,1,0] neg_lo:[0,0,1] neg_hi:[0,0,1]
	v_pk_fma_f32 v[110:111], v[110:111], v[84:85], v[116:117] op_sel:[1,0,0] op_sel_hi:[0,1,0]
	s_delay_alu instid0(VALU_DEP_1) | instskip(SKIP_1) | instid1(VALU_DEP_2)
	v_mov_b32_e32 v115, v111
	v_pk_mul_f32 v[110:111], v[112:113], v[102:103] op_sel:[0,1]
	v_pk_add_f32 v[66:67], v[66:67], v[114:115] neg_lo:[0,1] neg_hi:[0,1]
	s_delay_alu instid0(VALU_DEP_2) | instskip(SKIP_1) | instid1(VALU_DEP_1)
	v_pk_fma_f32 v[114:115], v[112:113], v[100:101], v[110:111] op_sel:[0,0,1] op_sel_hi:[1,1,0] neg_lo:[0,0,1] neg_hi:[0,0,1]
	v_pk_fma_f32 v[110:111], v[112:113], v[100:101], v[110:111] op_sel:[0,0,1] op_sel_hi:[1,0,0]
	v_mov_b32_e32 v115, v111
	ds_load_2addr_b64 v[110:113], v104 offset0:27 offset1:28
	v_pk_add_f32 v[26:27], v[26:27], v[114:115] neg_lo:[0,1] neg_hi:[0,1]
	s_wait_dscnt 0x0
	v_pk_mul_f32 v[114:115], v[110:111], v[102:103] op_sel:[0,1]
	s_delay_alu instid0(VALU_DEP_1) | instskip(SKIP_1) | instid1(VALU_DEP_1)
	v_pk_fma_f32 v[116:117], v[110:111], v[100:101], v[114:115] op_sel:[0,0,1] op_sel_hi:[1,1,0] neg_lo:[0,0,1] neg_hi:[0,0,1]
	v_pk_fma_f32 v[110:111], v[110:111], v[100:101], v[114:115] op_sel:[0,0,1] op_sel_hi:[1,0,0]
	v_mov_b32_e32 v117, v111
	v_pk_mul_f32 v[110:111], v[112:113], v[102:103] op_sel:[0,1]
	s_delay_alu instid0(VALU_DEP_2) | instskip(NEXT) | instid1(VALU_DEP_2)
	v_pk_add_f32 v[22:23], v[22:23], v[116:117] neg_lo:[0,1] neg_hi:[0,1]
	v_pk_fma_f32 v[114:115], v[112:113], v[100:101], v[110:111] op_sel:[0,0,1] op_sel_hi:[1,1,0] neg_lo:[0,0,1] neg_hi:[0,0,1]
	v_pk_fma_f32 v[110:111], v[112:113], v[100:101], v[110:111] op_sel:[0,0,1] op_sel_hi:[1,0,0]
	s_delay_alu instid0(VALU_DEP_1) | instskip(SKIP_4) | instid1(VALU_DEP_1)
	v_mov_b32_e32 v115, v111
	ds_load_2addr_b64 v[110:113], v104 offset0:29 offset1:30
	v_pk_add_f32 v[64:65], v[64:65], v[114:115] neg_lo:[0,1] neg_hi:[0,1]
	s_wait_dscnt 0x0
	v_pk_mul_f32 v[114:115], v[110:111], v[102:103] op_sel:[0,1]
	v_pk_fma_f32 v[116:117], v[110:111], v[100:101], v[114:115] op_sel:[0,0,1] op_sel_hi:[1,1,0] neg_lo:[0,0,1] neg_hi:[0,0,1]
	v_pk_fma_f32 v[110:111], v[110:111], v[100:101], v[114:115] op_sel:[0,0,1] op_sel_hi:[1,0,0]
	v_dual_mul_f32 v114, v113, v103 :: v_dual_mov_b32 v110, v113
	s_delay_alu instid0(VALU_DEP_2) | instskip(NEXT) | instid1(VALU_DEP_2)
	v_dual_mov_b32 v117, v111 :: v_dual_mov_b32 v111, v112
	v_pk_fma_f32 v[114:115], v[112:113], v[84:85], v[114:115] op_sel_hi:[1,1,0] neg_lo:[0,0,1] neg_hi:[0,0,1]
	v_mul_f32_e32 v112, v113, v100
	s_delay_alu instid0(VALU_DEP_3) | instskip(NEXT) | instid1(VALU_DEP_2)
	v_pk_add_f32 v[62:63], v[62:63], v[116:117] neg_lo:[0,1] neg_hi:[0,1]
	v_pk_fma_f32 v[110:111], v[110:111], v[84:85], v[112:113] op_sel_hi:[1,1,0]
	s_delay_alu instid0(VALU_DEP_1) | instskip(SKIP_4) | instid1(VALU_DEP_1)
	v_mov_b32_e32 v115, v111
	ds_load_2addr_b64 v[110:113], v104 offset0:31 offset1:32
	v_pk_add_f32 v[20:21], v[20:21], v[114:115] neg_lo:[0,1] neg_hi:[0,1]
	s_wait_dscnt 0x0
	v_pk_mul_f32 v[114:115], v[110:111], v[102:103] op_sel:[0,1]
	v_pk_fma_f32 v[116:117], v[110:111], v[100:101], v[114:115] op_sel:[0,0,1] op_sel_hi:[1,1,0] neg_lo:[0,0,1] neg_hi:[0,0,1]
	v_pk_fma_f32 v[110:111], v[110:111], v[100:101], v[114:115] op_sel:[0,0,1] op_sel_hi:[1,0,0]
	s_delay_alu instid0(VALU_DEP_1) | instskip(SKIP_1) | instid1(VALU_DEP_1)
	v_mov_b32_e32 v117, v111
	v_pk_mul_f32 v[110:111], v[112:113], v[102:103] op_sel:[0,1]
	v_pk_fma_f32 v[114:115], v[112:113], v[100:101], v[110:111] op_sel:[0,0,1] op_sel_hi:[1,1,0] neg_lo:[0,0,1] neg_hi:[0,0,1]
	v_pk_fma_f32 v[110:111], v[112:113], v[100:101], v[110:111] op_sel:[0,0,1] op_sel_hi:[1,0,0]
	s_delay_alu instid0(VALU_DEP_1)
	v_mov_b32_e32 v115, v111
	ds_load_2addr_b64 v[110:113], v104 offset0:33 offset1:34
	v_pk_add_f32 v[18:19], v[18:19], v[116:117] neg_lo:[0,1] neg_hi:[0,1]
	v_pk_add_f32 v[60:61], v[60:61], v[114:115] neg_lo:[0,1] neg_hi:[0,1]
	s_wait_dscnt 0x0
	v_pk_mul_f32 v[114:115], v[110:111], v[102:103] op_sel:[0,1]
	s_delay_alu instid0(VALU_DEP_1) | instskip(SKIP_1) | instid1(VALU_DEP_1)
	v_pk_fma_f32 v[116:117], v[110:111], v[100:101], v[114:115] op_sel:[0,0,1] op_sel_hi:[1,1,0] neg_lo:[0,0,1] neg_hi:[0,0,1]
	v_pk_fma_f32 v[110:111], v[110:111], v[100:101], v[114:115] op_sel:[0,0,1] op_sel_hi:[1,0,0]
	v_mov_b32_e32 v117, v111
	v_pk_mul_f32 v[110:111], v[112:113], v[102:103] op_sel:[0,1]
	s_delay_alu instid0(VALU_DEP_1) | instskip(SKIP_1) | instid1(VALU_DEP_1)
	v_pk_fma_f32 v[114:115], v[112:113], v[100:101], v[110:111] op_sel:[0,0,1] op_sel_hi:[1,1,0] neg_lo:[0,0,1] neg_hi:[0,0,1]
	v_pk_fma_f32 v[110:111], v[112:113], v[100:101], v[110:111] op_sel:[0,0,1] op_sel_hi:[1,0,0]
	v_mov_b32_e32 v115, v111
	ds_load_2addr_b64 v[110:113], v104 offset0:35 offset1:36
	v_pk_add_f32 v[58:59], v[58:59], v[116:117] neg_lo:[0,1] neg_hi:[0,1]
	v_pk_add_f32 v[16:17], v[16:17], v[114:115] neg_lo:[0,1] neg_hi:[0,1]
	s_wait_dscnt 0x0
	v_dual_mul_f32 v114, v111, v103 :: v_dual_mul_f32 v116, v111, v100
	s_delay_alu instid0(VALU_DEP_1) | instskip(NEXT) | instid1(VALU_DEP_2)
	v_pk_fma_f32 v[114:115], v[110:111], v[84:85], v[114:115] op_sel_hi:[1,1,0] neg_lo:[0,0,1] neg_hi:[0,0,1]
	v_pk_fma_f32 v[110:111], v[110:111], v[84:85], v[116:117] op_sel:[1,0,0] op_sel_hi:[0,1,0]
	s_delay_alu instid0(VALU_DEP_1) | instskip(SKIP_1) | instid1(VALU_DEP_2)
	v_mov_b32_e32 v115, v111
	v_pk_mul_f32 v[110:111], v[112:113], v[102:103] op_sel:[0,1]
	v_pk_add_f32 v[14:15], v[14:15], v[114:115] neg_lo:[0,1] neg_hi:[0,1]
	s_delay_alu instid0(VALU_DEP_2) | instskip(SKIP_1) | instid1(VALU_DEP_1)
	v_pk_fma_f32 v[114:115], v[112:113], v[100:101], v[110:111] op_sel:[0,0,1] op_sel_hi:[1,1,0] neg_lo:[0,0,1] neg_hi:[0,0,1]
	v_pk_fma_f32 v[110:111], v[112:113], v[100:101], v[110:111] op_sel:[0,0,1] op_sel_hi:[1,0,0]
	v_mov_b32_e32 v115, v111
	ds_load_2addr_b64 v[110:113], v104 offset0:37 offset1:38
	v_pk_add_f32 v[56:57], v[56:57], v[114:115] neg_lo:[0,1] neg_hi:[0,1]
	s_wait_dscnt 0x0
	v_pk_mul_f32 v[114:115], v[110:111], v[102:103] op_sel:[0,1]
	s_delay_alu instid0(VALU_DEP_1) | instskip(SKIP_1) | instid1(VALU_DEP_1)
	v_pk_fma_f32 v[116:117], v[110:111], v[100:101], v[114:115] op_sel:[0,0,1] op_sel_hi:[1,1,0] neg_lo:[0,0,1] neg_hi:[0,0,1]
	v_pk_fma_f32 v[110:111], v[110:111], v[100:101], v[114:115] op_sel:[0,0,1] op_sel_hi:[1,0,0]
	v_mov_b32_e32 v117, v111
	v_pk_mul_f32 v[110:111], v[112:113], v[102:103] op_sel:[0,1]
	s_delay_alu instid0(VALU_DEP_2) | instskip(NEXT) | instid1(VALU_DEP_2)
	v_pk_add_f32 v[54:55], v[54:55], v[116:117] neg_lo:[0,1] neg_hi:[0,1]
	v_pk_fma_f32 v[114:115], v[112:113], v[100:101], v[110:111] op_sel:[0,0,1] op_sel_hi:[1,1,0] neg_lo:[0,0,1] neg_hi:[0,0,1]
	v_pk_fma_f32 v[110:111], v[112:113], v[100:101], v[110:111] op_sel:[0,0,1] op_sel_hi:[1,0,0]
	s_delay_alu instid0(VALU_DEP_1) | instskip(SKIP_4) | instid1(VALU_DEP_1)
	v_mov_b32_e32 v115, v111
	ds_load_2addr_b64 v[110:113], v104 offset0:39 offset1:40
	v_pk_add_f32 v[10:11], v[10:11], v[114:115] neg_lo:[0,1] neg_hi:[0,1]
	s_wait_dscnt 0x0
	v_pk_mul_f32 v[114:115], v[110:111], v[102:103] op_sel:[0,1]
	v_pk_fma_f32 v[116:117], v[110:111], v[100:101], v[114:115] op_sel:[0,0,1] op_sel_hi:[1,1,0] neg_lo:[0,0,1] neg_hi:[0,0,1]
	v_pk_fma_f32 v[110:111], v[110:111], v[100:101], v[114:115] op_sel:[0,0,1] op_sel_hi:[1,0,0]
	v_dual_mul_f32 v114, v113, v103 :: v_dual_mov_b32 v110, v113
	s_delay_alu instid0(VALU_DEP_2) | instskip(NEXT) | instid1(VALU_DEP_2)
	v_dual_mov_b32 v117, v111 :: v_dual_mov_b32 v111, v112
	v_pk_fma_f32 v[114:115], v[112:113], v[84:85], v[114:115] op_sel_hi:[1,1,0] neg_lo:[0,0,1] neg_hi:[0,0,1]
	v_mul_f32_e32 v112, v113, v100
	s_delay_alu instid0(VALU_DEP_3) | instskip(NEXT) | instid1(VALU_DEP_2)
	v_pk_add_f32 v[6:7], v[6:7], v[116:117] neg_lo:[0,1] neg_hi:[0,1]
	v_pk_fma_f32 v[110:111], v[110:111], v[84:85], v[112:113] op_sel_hi:[1,1,0]
	s_delay_alu instid0(VALU_DEP_1) | instskip(SKIP_4) | instid1(VALU_DEP_1)
	v_mov_b32_e32 v115, v111
	ds_load_2addr_b64 v[110:113], v104 offset0:41 offset1:42
	v_pk_add_f32 v[52:53], v[52:53], v[114:115] neg_lo:[0,1] neg_hi:[0,1]
	s_wait_dscnt 0x0
	v_pk_mul_f32 v[114:115], v[110:111], v[102:103] op_sel:[0,1]
	v_pk_fma_f32 v[116:117], v[110:111], v[100:101], v[114:115] op_sel:[0,0,1] op_sel_hi:[1,1,0] neg_lo:[0,0,1] neg_hi:[0,0,1]
	v_pk_fma_f32 v[110:111], v[110:111], v[100:101], v[114:115] op_sel:[0,0,1] op_sel_hi:[1,0,0]
	s_delay_alu instid0(VALU_DEP_1) | instskip(SKIP_1) | instid1(VALU_DEP_1)
	v_mov_b32_e32 v117, v111
	v_pk_mul_f32 v[110:111], v[112:113], v[102:103] op_sel:[0,1]
	v_pk_fma_f32 v[114:115], v[112:113], v[100:101], v[110:111] op_sel:[0,0,1] op_sel_hi:[1,1,0] neg_lo:[0,0,1] neg_hi:[0,0,1]
	v_pk_fma_f32 v[110:111], v[112:113], v[100:101], v[110:111] op_sel:[0,0,1] op_sel_hi:[1,0,0]
	s_delay_alu instid0(VALU_DEP_1)
	v_mov_b32_e32 v115, v111
	ds_load_2addr_b64 v[110:113], v104 offset0:43 offset1:44
	v_pk_add_f32 v[50:51], v[50:51], v[116:117] neg_lo:[0,1] neg_hi:[0,1]
	v_pk_add_f32 v[8:9], v[8:9], v[114:115] neg_lo:[0,1] neg_hi:[0,1]
	s_wait_dscnt 0x0
	v_pk_mul_f32 v[114:115], v[110:111], v[102:103] op_sel:[0,1]
	s_delay_alu instid0(VALU_DEP_1) | instskip(SKIP_1) | instid1(VALU_DEP_1)
	v_pk_fma_f32 v[116:117], v[110:111], v[100:101], v[114:115] op_sel:[0,0,1] op_sel_hi:[1,1,0] neg_lo:[0,0,1] neg_hi:[0,0,1]
	v_pk_fma_f32 v[110:111], v[110:111], v[100:101], v[114:115] op_sel:[0,0,1] op_sel_hi:[1,0,0]
	v_mov_b32_e32 v117, v111
	v_pk_mul_f32 v[110:111], v[112:113], v[102:103] op_sel:[0,1]
	s_delay_alu instid0(VALU_DEP_1) | instskip(SKIP_1) | instid1(VALU_DEP_1)
	v_pk_fma_f32 v[114:115], v[112:113], v[100:101], v[110:111] op_sel:[0,0,1] op_sel_hi:[1,1,0] neg_lo:[0,0,1] neg_hi:[0,0,1]
	v_pk_fma_f32 v[110:111], v[112:113], v[100:101], v[110:111] op_sel:[0,0,1] op_sel_hi:[1,0,0]
	v_mov_b32_e32 v115, v111
	ds_load_2addr_b64 v[110:113], v104 offset0:45 offset1:46
	v_pk_add_f32 v[40:41], v[40:41], v[116:117] neg_lo:[0,1] neg_hi:[0,1]
	v_pk_add_f32 v[30:31], v[30:31], v[114:115] neg_lo:[0,1] neg_hi:[0,1]
	s_wait_dscnt 0x0
	v_mul_f32_e32 v102, v111, v103
	s_delay_alu instid0(VALU_DEP_1) | instskip(SKIP_1) | instid1(VALU_DEP_1)
	v_pk_fma_f32 v[114:115], v[110:111], v[84:85], v[102:103] op_sel_hi:[1,1,0] neg_lo:[0,0,1] neg_hi:[0,0,1]
	v_dual_mul_f32 v102, v111, v100 :: v_dual_mul_f32 v100, v113, v100
	v_pk_fma_f32 v[110:111], v[110:111], v[84:85], v[102:103] op_sel:[1,0,0] op_sel_hi:[0,1,0]
	v_dual_mov_b32 v110, v113 :: v_dual_mul_f32 v102, v113, v103
	s_delay_alu instid0(VALU_DEP_2) | instskip(NEXT) | instid1(VALU_DEP_2)
	v_dual_mov_b32 v115, v111 :: v_dual_mov_b32 v111, v112
	v_pk_fma_f32 v[102:103], v[112:113], v[84:85], v[102:103] op_sel_hi:[1,1,0] neg_lo:[0,0,1] neg_hi:[0,0,1]
	s_delay_alu instid0(VALU_DEP_2) | instskip(NEXT) | instid1(VALU_DEP_3)
	v_pk_add_f32 v[12:13], v[12:13], v[114:115] neg_lo:[0,1] neg_hi:[0,1]
	v_pk_fma_f32 v[100:101], v[110:111], v[84:85], v[100:101] op_sel_hi:[1,1,0]
	s_delay_alu instid0(VALU_DEP_1) | instskip(NEXT) | instid1(VALU_DEP_1)
	v_mov_b32_e32 v103, v101
	v_pk_add_f32 v[98:99], v[98:99], v[102:103] neg_lo:[0,1] neg_hi:[0,1]
.LBB92_356:
	s_or_b32 exec_lo, exec_lo, s0
	v_lshl_add_u32 v100, v108, 3, v104
	s_barrier_signal -1
	s_barrier_wait -1
	ds_store_b64 v100, v[82:83]
	s_wait_dscnt 0x0
	s_barrier_signal -1
	s_barrier_wait -1
	ds_load_b64 v[102:103], v104 offset:136
	v_mov_b32_e32 v100, 17
	s_cmp_lt_i32 s18, 19
	s_cbranch_scc1 .LBB92_359
; %bb.357:
	v_add3_u32 v101, v105, 0, 0x90
	v_mov_b32_e32 v100, 17
	s_mov_b32 s0, 18
.LBB92_358:                             ; =>This Inner Loop Header: Depth=1
	ds_load_b64 v[110:111], v101
	s_wait_dscnt 0x1
	v_cmp_gt_f32_e32 vcc_lo, 0, v102
	v_cndmask_b32_e64 v112, v102, -v102, vcc_lo
	v_cmp_gt_f32_e32 vcc_lo, 0, v103
	v_cndmask_b32_e64 v114, v103, -v103, vcc_lo
	s_wait_dscnt 0x0
	v_cmp_gt_f32_e32 vcc_lo, 0, v110
	v_cndmask_b32_e64 v113, v110, -v110, vcc_lo
	v_cmp_gt_f32_e32 vcc_lo, 0, v111
	v_cndmask_b32_e64 v115, v111, -v111, vcc_lo
	s_delay_alu instid0(VALU_DEP_1) | instskip(NEXT) | instid1(VALU_DEP_1)
	v_pk_add_f32 v[112:113], v[112:113], v[114:115]
	v_cmp_lt_f32_e32 vcc_lo, v112, v113
	v_dual_add_nc_u32 v101, 8, v101 :: v_dual_cndmask_b32 v103, v103, v111, vcc_lo
	v_cndmask_b32_e32 v102, v102, v110, vcc_lo
	v_cndmask_b32_e64 v100, v100, s0, vcc_lo
	s_add_co_i32 s0, s0, 1
	s_delay_alu instid0(SALU_CYCLE_1)
	s_cmp_lg_u32 s18, s0
	s_cbranch_scc1 .LBB92_358
.LBB92_359:
	s_wait_dscnt 0x0
	v_cmp_eq_f32_e32 vcc_lo, 0, v102
	v_cmp_eq_f32_e64 s0, 0, v103
	s_and_b32 s0, vcc_lo, s0
	s_delay_alu instid0(SALU_CYCLE_1) | instskip(NEXT) | instid1(SALU_CYCLE_1)
	s_and_saveexec_b32 s1, s0
	s_xor_b32 s0, exec_lo, s1
; %bb.360:
	v_cmp_ne_u32_e32 vcc_lo, 0, v106
	v_cndmask_b32_e32 v106, 18, v106, vcc_lo
; %bb.361:
	s_and_not1_saveexec_b32 s0, s0
	s_cbranch_execz .LBB92_367
; %bb.362:
	v_cmp_ngt_f32_e64 s1, |v102|, |v103|
	s_and_saveexec_b32 s12, s1
	s_delay_alu instid0(SALU_CYCLE_1)
	s_xor_b32 s1, exec_lo, s12
	s_cbranch_execz .LBB92_364
; %bb.363:
	v_div_scale_f32 v101, null, v103, v103, v102
	v_div_scale_f32 v111, vcc_lo, v102, v103, v102
	s_delay_alu instid0(VALU_DEP_2) | instskip(SKIP_1) | instid1(TRANS32_DEP_1)
	v_rcp_f32_e32 v109, v101
	v_nop
	v_fma_f32 v110, -v101, v109, 1.0
	s_delay_alu instid0(VALU_DEP_1) | instskip(NEXT) | instid1(VALU_DEP_1)
	v_fmac_f32_e32 v109, v110, v109
	v_mul_f32_e32 v110, v111, v109
	s_delay_alu instid0(VALU_DEP_1) | instskip(NEXT) | instid1(VALU_DEP_1)
	v_fma_f32 v112, -v101, v110, v111
	v_fmac_f32_e32 v110, v112, v109
	s_delay_alu instid0(VALU_DEP_1) | instskip(NEXT) | instid1(VALU_DEP_1)
	v_fma_f32 v101, -v101, v110, v111
	v_div_fmas_f32 v101, v101, v109, v110
	s_delay_alu instid0(VALU_DEP_1) | instskip(NEXT) | instid1(VALU_DEP_1)
	v_div_fixup_f32 v101, v101, v103, v102
	v_fmac_f32_e32 v103, v102, v101
	s_delay_alu instid0(VALU_DEP_1) | instskip(SKIP_1) | instid1(VALU_DEP_2)
	v_div_scale_f32 v102, null, v103, v103, 1.0
	v_div_scale_f32 v111, vcc_lo, 1.0, v103, 1.0
	v_rcp_f32_e32 v109, v102
	v_nop
	s_delay_alu instid0(TRANS32_DEP_1) | instskip(NEXT) | instid1(VALU_DEP_1)
	v_fma_f32 v110, -v102, v109, 1.0
	v_fmac_f32_e32 v109, v110, v109
	s_delay_alu instid0(VALU_DEP_1) | instskip(NEXT) | instid1(VALU_DEP_1)
	v_mul_f32_e32 v110, v111, v109
	v_fma_f32 v112, -v102, v110, v111
	s_delay_alu instid0(VALU_DEP_1) | instskip(NEXT) | instid1(VALU_DEP_1)
	v_fmac_f32_e32 v110, v112, v109
	v_fma_f32 v102, -v102, v110, v111
	s_delay_alu instid0(VALU_DEP_1) | instskip(NEXT) | instid1(VALU_DEP_1)
	v_div_fmas_f32 v102, v102, v109, v110
	v_div_fixup_f32 v103, v102, v103, 1.0
	s_delay_alu instid0(VALU_DEP_1)
	v_mul_f32_e32 v102, v101, v103
	v_xor_b32_e32 v103, 0x80000000, v103
.LBB92_364:
	s_and_not1_saveexec_b32 s1, s1
	s_cbranch_execz .LBB92_366
; %bb.365:
	s_delay_alu instid0(VALU_DEP_1) | instskip(SKIP_1) | instid1(VALU_DEP_2)
	v_div_scale_f32 v101, null, v102, v102, v103
	v_div_scale_f32 v111, vcc_lo, v103, v102, v103
	v_rcp_f32_e32 v109, v101
	v_nop
	s_delay_alu instid0(TRANS32_DEP_1) | instskip(NEXT) | instid1(VALU_DEP_1)
	v_fma_f32 v110, -v101, v109, 1.0
	v_fmac_f32_e32 v109, v110, v109
	s_delay_alu instid0(VALU_DEP_1) | instskip(NEXT) | instid1(VALU_DEP_1)
	v_mul_f32_e32 v110, v111, v109
	v_fma_f32 v112, -v101, v110, v111
	s_delay_alu instid0(VALU_DEP_1) | instskip(NEXT) | instid1(VALU_DEP_1)
	v_fmac_f32_e32 v110, v112, v109
	v_fma_f32 v101, -v101, v110, v111
	s_delay_alu instid0(VALU_DEP_1) | instskip(NEXT) | instid1(VALU_DEP_1)
	v_div_fmas_f32 v101, v101, v109, v110
	v_div_fixup_f32 v101, v101, v102, v103
	s_delay_alu instid0(VALU_DEP_1) | instskip(NEXT) | instid1(VALU_DEP_1)
	v_fmac_f32_e32 v102, v103, v101
	v_div_scale_f32 v103, null, v102, v102, 1.0
	s_delay_alu instid0(VALU_DEP_1) | instskip(SKIP_1) | instid1(TRANS32_DEP_1)
	v_rcp_f32_e32 v109, v103
	v_nop
	v_fma_f32 v110, -v103, v109, 1.0
	s_delay_alu instid0(VALU_DEP_1) | instskip(SKIP_1) | instid1(VALU_DEP_1)
	v_fmac_f32_e32 v109, v110, v109
	v_div_scale_f32 v110, vcc_lo, 1.0, v102, 1.0
	v_mul_f32_e32 v111, v110, v109
	s_delay_alu instid0(VALU_DEP_1) | instskip(NEXT) | instid1(VALU_DEP_1)
	v_fma_f32 v112, -v103, v111, v110
	v_fmac_f32_e32 v111, v112, v109
	s_delay_alu instid0(VALU_DEP_1) | instskip(NEXT) | instid1(VALU_DEP_1)
	v_fma_f32 v103, -v103, v111, v110
	v_div_fmas_f32 v103, v103, v109, v111
	s_delay_alu instid0(VALU_DEP_1) | instskip(NEXT) | instid1(VALU_DEP_1)
	v_div_fixup_f32 v102, v103, v102, 1.0
	v_mul_f32_e64 v103, v101, -v102
.LBB92_366:
	s_or_b32 exec_lo, exec_lo, s1
.LBB92_367:
	s_delay_alu instid0(SALU_CYCLE_1) | instskip(NEXT) | instid1(SALU_CYCLE_1)
	s_or_b32 exec_lo, exec_lo, s0
	s_mov_b32 s0, exec_lo
	v_cmpx_ne_u32_e64 v108, v100
	s_xor_b32 s0, exec_lo, s0
	s_cbranch_execz .LBB92_373
; %bb.368:
	s_mov_b32 s1, exec_lo
	v_cmpx_eq_u32_e32 17, v108
	s_cbranch_execz .LBB92_372
; %bb.369:
	v_cmp_ne_u32_e32 vcc_lo, 17, v100
	s_xor_b32 s12, s16, -1
	s_delay_alu instid0(SALU_CYCLE_1) | instskip(NEXT) | instid1(SALU_CYCLE_1)
	s_and_b32 s13, s12, vcc_lo
	s_and_saveexec_b32 s12, s13
	s_cbranch_execz .LBB92_371
; %bb.370:
	v_ashrrev_i32_e32 v101, 31, v100
	s_delay_alu instid0(VALU_DEP_1)
	v_lshl_add_u64 v[108:109], v[100:101], 2, v[4:5]
	s_clause 0x1
	global_load_b32 v101, v[108:109], off
	global_load_b32 v107, v[4:5], off offset:68
	s_wait_loadcnt 0x1
	global_store_b32 v[4:5], v101, off offset:68
	s_wait_loadcnt 0x0
	global_store_b32 v[108:109], v107, off
.LBB92_371:
	s_wait_xcnt 0x0
	s_or_b32 exec_lo, exec_lo, s12
	v_dual_mov_b32 v108, v100 :: v_dual_mov_b32 v107, v100
.LBB92_372:
	s_or_b32 exec_lo, exec_lo, s1
.LBB92_373:
	s_and_not1_saveexec_b32 s0, s0
	s_cbranch_execz .LBB92_375
; %bb.374:
	v_dual_mov_b32 v100, v44 :: v_dual_mov_b32 v101, v45
	v_dual_mov_b32 v108, v42 :: v_dual_mov_b32 v109, v43
	ds_store_2addr_b64 v104, v[100:101], v[108:109] offset0:18 offset1:19
	v_dual_mov_b32 v100, v80 :: v_dual_mov_b32 v101, v81
	v_dual_mov_b32 v108, v78 :: v_dual_mov_b32 v109, v79
	ds_store_2addr_b64 v104, v[100:101], v[108:109] offset0:20 offset1:21
	;; [unrolled: 3-line block ×14, first 2 shown]
	ds_store_b64 v104, v[98:99] offset:368
	v_mov_b32_e32 v108, 17
.LBB92_375:
	s_or_b32 exec_lo, exec_lo, s0
	s_delay_alu instid0(SALU_CYCLE_1)
	s_mov_b32 s0, exec_lo
	s_wait_storecnt_dscnt 0x0
	s_barrier_signal -1
	s_barrier_wait -1
	v_cmpx_lt_i32_e32 17, v108
	s_cbranch_execz .LBB92_377
; %bb.376:
	v_pk_mul_f32 v[110:111], v[102:103], v[82:83] op_sel:[1,1] op_sel_hi:[0,1]
	s_delay_alu instid0(VALU_DEP_1)
	v_pk_fma_f32 v[100:101], v[102:103], v[82:83], v[110:111] op_sel_hi:[1,0,1] neg_lo:[0,0,1] neg_hi:[0,0,1]
	v_pk_fma_f32 v[102:103], v[102:103], v[82:83], v[110:111] op_sel_hi:[1,0,1]
	ds_load_2addr_b64 v[110:113], v104 offset0:18 offset1:19
	v_dual_mov_b32 v82, v100 :: v_dual_mov_b32 v83, v103
	s_wait_dscnt 0x0
	v_pk_mul_f32 v[114:115], v[110:111], v[102:103] op_sel:[0,1]
	s_delay_alu instid0(VALU_DEP_1) | instskip(SKIP_1) | instid1(VALU_DEP_1)
	v_pk_fma_f32 v[116:117], v[110:111], v[100:101], v[114:115] op_sel:[0,0,1] op_sel_hi:[1,1,0] neg_lo:[0,0,1] neg_hi:[0,0,1]
	v_pk_fma_f32 v[110:111], v[110:111], v[100:101], v[114:115] op_sel:[0,0,1] op_sel_hi:[1,0,0]
	v_mov_b32_e32 v117, v111
	v_pk_mul_f32 v[110:111], v[112:113], v[102:103] op_sel:[0,1]
	s_delay_alu instid0(VALU_DEP_1) | instskip(SKIP_1) | instid1(VALU_DEP_1)
	v_pk_fma_f32 v[114:115], v[112:113], v[100:101], v[110:111] op_sel:[0,0,1] op_sel_hi:[1,1,0] neg_lo:[0,0,1] neg_hi:[0,0,1]
	v_pk_fma_f32 v[110:111], v[112:113], v[100:101], v[110:111] op_sel:[0,0,1] op_sel_hi:[1,0,0]
	v_mov_b32_e32 v115, v111
	ds_load_2addr_b64 v[110:113], v104 offset0:20 offset1:21
	v_pk_add_f32 v[44:45], v[44:45], v[116:117] neg_lo:[0,1] neg_hi:[0,1]
	v_pk_add_f32 v[42:43], v[42:43], v[114:115] neg_lo:[0,1] neg_hi:[0,1]
	s_wait_dscnt 0x0
	v_pk_mul_f32 v[114:115], v[110:111], v[102:103] op_sel:[0,1]
	s_delay_alu instid0(VALU_DEP_1) | instskip(SKIP_2) | instid1(VALU_DEP_2)
	v_pk_fma_f32 v[116:117], v[110:111], v[100:101], v[114:115] op_sel:[0,0,1] op_sel_hi:[1,1,0] neg_lo:[0,0,1] neg_hi:[0,0,1]
	v_pk_fma_f32 v[110:111], v[110:111], v[100:101], v[114:115] op_sel:[0,0,1] op_sel_hi:[1,0,0]
	v_dual_mul_f32 v114, v113, v103 :: v_dual_mov_b32 v110, v113
	v_dual_mov_b32 v117, v111 :: v_dual_mov_b32 v111, v112
	s_delay_alu instid0(VALU_DEP_2) | instskip(SKIP_1) | instid1(VALU_DEP_3)
	v_pk_fma_f32 v[114:115], v[112:113], v[82:83], v[114:115] op_sel_hi:[1,1,0] neg_lo:[0,0,1] neg_hi:[0,0,1]
	v_mul_f32_e32 v112, v113, v100
	v_pk_add_f32 v[80:81], v[80:81], v[116:117] neg_lo:[0,1] neg_hi:[0,1]
	s_delay_alu instid0(VALU_DEP_2) | instskip(NEXT) | instid1(VALU_DEP_1)
	v_pk_fma_f32 v[110:111], v[110:111], v[82:83], v[112:113] op_sel_hi:[1,1,0]
	v_mov_b32_e32 v115, v111
	ds_load_2addr_b64 v[110:113], v104 offset0:22 offset1:23
	v_pk_add_f32 v[78:79], v[78:79], v[114:115] neg_lo:[0,1] neg_hi:[0,1]
	s_wait_dscnt 0x0
	v_pk_mul_f32 v[114:115], v[110:111], v[102:103] op_sel:[0,1]
	s_delay_alu instid0(VALU_DEP_1) | instskip(SKIP_1) | instid1(VALU_DEP_1)
	v_pk_fma_f32 v[116:117], v[110:111], v[100:101], v[114:115] op_sel:[0,0,1] op_sel_hi:[1,1,0] neg_lo:[0,0,1] neg_hi:[0,0,1]
	v_pk_fma_f32 v[110:111], v[110:111], v[100:101], v[114:115] op_sel:[0,0,1] op_sel_hi:[1,0,0]
	v_mov_b32_e32 v117, v111
	v_pk_mul_f32 v[110:111], v[112:113], v[102:103] op_sel:[0,1]
	s_delay_alu instid0(VALU_DEP_1) | instskip(SKIP_1) | instid1(VALU_DEP_1)
	v_pk_fma_f32 v[114:115], v[112:113], v[100:101], v[110:111] op_sel:[0,0,1] op_sel_hi:[1,1,0] neg_lo:[0,0,1] neg_hi:[0,0,1]
	v_pk_fma_f32 v[110:111], v[112:113], v[100:101], v[110:111] op_sel:[0,0,1] op_sel_hi:[1,0,0]
	v_mov_b32_e32 v115, v111
	ds_load_2addr_b64 v[110:113], v104 offset0:24 offset1:25
	v_pk_add_f32 v[38:39], v[38:39], v[116:117] neg_lo:[0,1] neg_hi:[0,1]
	v_pk_add_f32 v[36:37], v[36:37], v[114:115] neg_lo:[0,1] neg_hi:[0,1]
	s_wait_dscnt 0x0
	v_pk_mul_f32 v[114:115], v[110:111], v[102:103] op_sel:[0,1]
	s_delay_alu instid0(VALU_DEP_1) | instskip(SKIP_1) | instid1(VALU_DEP_1)
	v_pk_fma_f32 v[116:117], v[110:111], v[100:101], v[114:115] op_sel:[0,0,1] op_sel_hi:[1,1,0] neg_lo:[0,0,1] neg_hi:[0,0,1]
	v_pk_fma_f32 v[110:111], v[110:111], v[100:101], v[114:115] op_sel:[0,0,1] op_sel_hi:[1,0,0]
	v_mov_b32_e32 v117, v111
	v_pk_mul_f32 v[110:111], v[112:113], v[102:103] op_sel:[0,1]
	s_delay_alu instid0(VALU_DEP_1) | instskip(SKIP_1) | instid1(VALU_DEP_1)
	v_pk_fma_f32 v[114:115], v[112:113], v[100:101], v[110:111] op_sel:[0,0,1] op_sel_hi:[1,1,0] neg_lo:[0,0,1] neg_hi:[0,0,1]
	v_pk_fma_f32 v[110:111], v[112:113], v[100:101], v[110:111] op_sel:[0,0,1] op_sel_hi:[1,0,0]
	v_mov_b32_e32 v115, v111
	ds_load_2addr_b64 v[110:113], v104 offset0:26 offset1:27
	v_pk_add_f32 v[70:71], v[70:71], v[116:117] neg_lo:[0,1] neg_hi:[0,1]
	v_pk_add_f32 v[66:67], v[66:67], v[114:115] neg_lo:[0,1] neg_hi:[0,1]
	s_wait_dscnt 0x0
	v_dual_mul_f32 v114, v111, v103 :: v_dual_mul_f32 v116, v111, v100
	s_delay_alu instid0(VALU_DEP_1) | instskip(NEXT) | instid1(VALU_DEP_2)
	v_pk_fma_f32 v[114:115], v[110:111], v[82:83], v[114:115] op_sel_hi:[1,1,0] neg_lo:[0,0,1] neg_hi:[0,0,1]
	v_pk_fma_f32 v[110:111], v[110:111], v[82:83], v[116:117] op_sel:[1,0,0] op_sel_hi:[0,1,0]
	s_delay_alu instid0(VALU_DEP_1) | instskip(SKIP_1) | instid1(VALU_DEP_2)
	v_mov_b32_e32 v115, v111
	v_pk_mul_f32 v[110:111], v[112:113], v[102:103] op_sel:[0,1]
	v_pk_add_f32 v[26:27], v[26:27], v[114:115] neg_lo:[0,1] neg_hi:[0,1]
	s_delay_alu instid0(VALU_DEP_2) | instskip(SKIP_1) | instid1(VALU_DEP_1)
	v_pk_fma_f32 v[114:115], v[112:113], v[100:101], v[110:111] op_sel:[0,0,1] op_sel_hi:[1,1,0] neg_lo:[0,0,1] neg_hi:[0,0,1]
	v_pk_fma_f32 v[110:111], v[112:113], v[100:101], v[110:111] op_sel:[0,0,1] op_sel_hi:[1,0,0]
	v_mov_b32_e32 v115, v111
	ds_load_2addr_b64 v[110:113], v104 offset0:28 offset1:29
	v_pk_add_f32 v[22:23], v[22:23], v[114:115] neg_lo:[0,1] neg_hi:[0,1]
	s_wait_dscnt 0x0
	v_pk_mul_f32 v[114:115], v[110:111], v[102:103] op_sel:[0,1]
	s_delay_alu instid0(VALU_DEP_1) | instskip(SKIP_1) | instid1(VALU_DEP_1)
	v_pk_fma_f32 v[116:117], v[110:111], v[100:101], v[114:115] op_sel:[0,0,1] op_sel_hi:[1,1,0] neg_lo:[0,0,1] neg_hi:[0,0,1]
	v_pk_fma_f32 v[110:111], v[110:111], v[100:101], v[114:115] op_sel:[0,0,1] op_sel_hi:[1,0,0]
	v_mov_b32_e32 v117, v111
	v_pk_mul_f32 v[110:111], v[112:113], v[102:103] op_sel:[0,1]
	s_delay_alu instid0(VALU_DEP_2) | instskip(NEXT) | instid1(VALU_DEP_2)
	v_pk_add_f32 v[64:65], v[64:65], v[116:117] neg_lo:[0,1] neg_hi:[0,1]
	v_pk_fma_f32 v[114:115], v[112:113], v[100:101], v[110:111] op_sel:[0,0,1] op_sel_hi:[1,1,0] neg_lo:[0,0,1] neg_hi:[0,0,1]
	v_pk_fma_f32 v[110:111], v[112:113], v[100:101], v[110:111] op_sel:[0,0,1] op_sel_hi:[1,0,0]
	s_delay_alu instid0(VALU_DEP_1) | instskip(SKIP_4) | instid1(VALU_DEP_1)
	v_mov_b32_e32 v115, v111
	ds_load_2addr_b64 v[110:113], v104 offset0:30 offset1:31
	v_pk_add_f32 v[62:63], v[62:63], v[114:115] neg_lo:[0,1] neg_hi:[0,1]
	s_wait_dscnt 0x0
	v_pk_mul_f32 v[114:115], v[110:111], v[102:103] op_sel:[0,1]
	v_pk_fma_f32 v[116:117], v[110:111], v[100:101], v[114:115] op_sel:[0,0,1] op_sel_hi:[1,1,0] neg_lo:[0,0,1] neg_hi:[0,0,1]
	v_pk_fma_f32 v[110:111], v[110:111], v[100:101], v[114:115] op_sel:[0,0,1] op_sel_hi:[1,0,0]
	v_dual_mul_f32 v114, v113, v103 :: v_dual_mov_b32 v110, v113
	s_delay_alu instid0(VALU_DEP_2) | instskip(NEXT) | instid1(VALU_DEP_2)
	v_dual_mov_b32 v117, v111 :: v_dual_mov_b32 v111, v112
	v_pk_fma_f32 v[114:115], v[112:113], v[82:83], v[114:115] op_sel_hi:[1,1,0] neg_lo:[0,0,1] neg_hi:[0,0,1]
	v_mul_f32_e32 v112, v113, v100
	s_delay_alu instid0(VALU_DEP_3) | instskip(NEXT) | instid1(VALU_DEP_2)
	v_pk_add_f32 v[20:21], v[20:21], v[116:117] neg_lo:[0,1] neg_hi:[0,1]
	v_pk_fma_f32 v[110:111], v[110:111], v[82:83], v[112:113] op_sel_hi:[1,1,0]
	s_delay_alu instid0(VALU_DEP_1) | instskip(SKIP_4) | instid1(VALU_DEP_1)
	v_mov_b32_e32 v115, v111
	ds_load_2addr_b64 v[110:113], v104 offset0:32 offset1:33
	v_pk_add_f32 v[18:19], v[18:19], v[114:115] neg_lo:[0,1] neg_hi:[0,1]
	s_wait_dscnt 0x0
	v_pk_mul_f32 v[114:115], v[110:111], v[102:103] op_sel:[0,1]
	v_pk_fma_f32 v[116:117], v[110:111], v[100:101], v[114:115] op_sel:[0,0,1] op_sel_hi:[1,1,0] neg_lo:[0,0,1] neg_hi:[0,0,1]
	v_pk_fma_f32 v[110:111], v[110:111], v[100:101], v[114:115] op_sel:[0,0,1] op_sel_hi:[1,0,0]
	s_delay_alu instid0(VALU_DEP_1) | instskip(SKIP_1) | instid1(VALU_DEP_1)
	v_mov_b32_e32 v117, v111
	v_pk_mul_f32 v[110:111], v[112:113], v[102:103] op_sel:[0,1]
	v_pk_fma_f32 v[114:115], v[112:113], v[100:101], v[110:111] op_sel:[0,0,1] op_sel_hi:[1,1,0] neg_lo:[0,0,1] neg_hi:[0,0,1]
	v_pk_fma_f32 v[110:111], v[112:113], v[100:101], v[110:111] op_sel:[0,0,1] op_sel_hi:[1,0,0]
	s_delay_alu instid0(VALU_DEP_1)
	v_mov_b32_e32 v115, v111
	ds_load_2addr_b64 v[110:113], v104 offset0:34 offset1:35
	v_pk_add_f32 v[60:61], v[60:61], v[116:117] neg_lo:[0,1] neg_hi:[0,1]
	v_pk_add_f32 v[58:59], v[58:59], v[114:115] neg_lo:[0,1] neg_hi:[0,1]
	s_wait_dscnt 0x0
	v_pk_mul_f32 v[114:115], v[110:111], v[102:103] op_sel:[0,1]
	s_delay_alu instid0(VALU_DEP_1) | instskip(SKIP_1) | instid1(VALU_DEP_1)
	v_pk_fma_f32 v[116:117], v[110:111], v[100:101], v[114:115] op_sel:[0,0,1] op_sel_hi:[1,1,0] neg_lo:[0,0,1] neg_hi:[0,0,1]
	v_pk_fma_f32 v[110:111], v[110:111], v[100:101], v[114:115] op_sel:[0,0,1] op_sel_hi:[1,0,0]
	v_mov_b32_e32 v117, v111
	v_pk_mul_f32 v[110:111], v[112:113], v[102:103] op_sel:[0,1]
	s_delay_alu instid0(VALU_DEP_1) | instskip(SKIP_1) | instid1(VALU_DEP_1)
	v_pk_fma_f32 v[114:115], v[112:113], v[100:101], v[110:111] op_sel:[0,0,1] op_sel_hi:[1,1,0] neg_lo:[0,0,1] neg_hi:[0,0,1]
	v_pk_fma_f32 v[110:111], v[112:113], v[100:101], v[110:111] op_sel:[0,0,1] op_sel_hi:[1,0,0]
	v_mov_b32_e32 v115, v111
	ds_load_2addr_b64 v[110:113], v104 offset0:36 offset1:37
	v_pk_add_f32 v[16:17], v[16:17], v[116:117] neg_lo:[0,1] neg_hi:[0,1]
	v_pk_add_f32 v[14:15], v[14:15], v[114:115] neg_lo:[0,1] neg_hi:[0,1]
	s_wait_dscnt 0x0
	v_dual_mul_f32 v114, v111, v103 :: v_dual_mul_f32 v116, v111, v100
	s_delay_alu instid0(VALU_DEP_1) | instskip(NEXT) | instid1(VALU_DEP_2)
	v_pk_fma_f32 v[114:115], v[110:111], v[82:83], v[114:115] op_sel_hi:[1,1,0] neg_lo:[0,0,1] neg_hi:[0,0,1]
	v_pk_fma_f32 v[110:111], v[110:111], v[82:83], v[116:117] op_sel:[1,0,0] op_sel_hi:[0,1,0]
	s_delay_alu instid0(VALU_DEP_1) | instskip(SKIP_1) | instid1(VALU_DEP_2)
	v_mov_b32_e32 v115, v111
	v_pk_mul_f32 v[110:111], v[112:113], v[102:103] op_sel:[0,1]
	v_pk_add_f32 v[56:57], v[56:57], v[114:115] neg_lo:[0,1] neg_hi:[0,1]
	s_delay_alu instid0(VALU_DEP_2) | instskip(SKIP_1) | instid1(VALU_DEP_1)
	v_pk_fma_f32 v[114:115], v[112:113], v[100:101], v[110:111] op_sel:[0,0,1] op_sel_hi:[1,1,0] neg_lo:[0,0,1] neg_hi:[0,0,1]
	v_pk_fma_f32 v[110:111], v[112:113], v[100:101], v[110:111] op_sel:[0,0,1] op_sel_hi:[1,0,0]
	v_mov_b32_e32 v115, v111
	ds_load_2addr_b64 v[110:113], v104 offset0:38 offset1:39
	v_pk_add_f32 v[54:55], v[54:55], v[114:115] neg_lo:[0,1] neg_hi:[0,1]
	s_wait_dscnt 0x0
	v_pk_mul_f32 v[114:115], v[110:111], v[102:103] op_sel:[0,1]
	s_delay_alu instid0(VALU_DEP_1) | instskip(SKIP_1) | instid1(VALU_DEP_1)
	v_pk_fma_f32 v[116:117], v[110:111], v[100:101], v[114:115] op_sel:[0,0,1] op_sel_hi:[1,1,0] neg_lo:[0,0,1] neg_hi:[0,0,1]
	v_pk_fma_f32 v[110:111], v[110:111], v[100:101], v[114:115] op_sel:[0,0,1] op_sel_hi:[1,0,0]
	v_mov_b32_e32 v117, v111
	v_pk_mul_f32 v[110:111], v[112:113], v[102:103] op_sel:[0,1]
	s_delay_alu instid0(VALU_DEP_2) | instskip(NEXT) | instid1(VALU_DEP_2)
	v_pk_add_f32 v[10:11], v[10:11], v[116:117] neg_lo:[0,1] neg_hi:[0,1]
	v_pk_fma_f32 v[114:115], v[112:113], v[100:101], v[110:111] op_sel:[0,0,1] op_sel_hi:[1,1,0] neg_lo:[0,0,1] neg_hi:[0,0,1]
	v_pk_fma_f32 v[110:111], v[112:113], v[100:101], v[110:111] op_sel:[0,0,1] op_sel_hi:[1,0,0]
	s_delay_alu instid0(VALU_DEP_1) | instskip(SKIP_4) | instid1(VALU_DEP_1)
	v_mov_b32_e32 v115, v111
	ds_load_2addr_b64 v[110:113], v104 offset0:40 offset1:41
	v_pk_add_f32 v[6:7], v[6:7], v[114:115] neg_lo:[0,1] neg_hi:[0,1]
	s_wait_dscnt 0x0
	v_pk_mul_f32 v[114:115], v[110:111], v[102:103] op_sel:[0,1]
	v_pk_fma_f32 v[116:117], v[110:111], v[100:101], v[114:115] op_sel:[0,0,1] op_sel_hi:[1,1,0] neg_lo:[0,0,1] neg_hi:[0,0,1]
	v_pk_fma_f32 v[110:111], v[110:111], v[100:101], v[114:115] op_sel:[0,0,1] op_sel_hi:[1,0,0]
	v_dual_mul_f32 v114, v113, v103 :: v_dual_mov_b32 v110, v113
	s_delay_alu instid0(VALU_DEP_2) | instskip(NEXT) | instid1(VALU_DEP_2)
	v_dual_mov_b32 v117, v111 :: v_dual_mov_b32 v111, v112
	v_pk_fma_f32 v[114:115], v[112:113], v[82:83], v[114:115] op_sel_hi:[1,1,0] neg_lo:[0,0,1] neg_hi:[0,0,1]
	v_mul_f32_e32 v112, v113, v100
	s_delay_alu instid0(VALU_DEP_3) | instskip(NEXT) | instid1(VALU_DEP_2)
	v_pk_add_f32 v[52:53], v[52:53], v[116:117] neg_lo:[0,1] neg_hi:[0,1]
	v_pk_fma_f32 v[110:111], v[110:111], v[82:83], v[112:113] op_sel_hi:[1,1,0]
	s_delay_alu instid0(VALU_DEP_1) | instskip(SKIP_4) | instid1(VALU_DEP_1)
	v_mov_b32_e32 v115, v111
	ds_load_2addr_b64 v[110:113], v104 offset0:42 offset1:43
	v_pk_add_f32 v[50:51], v[50:51], v[114:115] neg_lo:[0,1] neg_hi:[0,1]
	s_wait_dscnt 0x0
	v_pk_mul_f32 v[114:115], v[110:111], v[102:103] op_sel:[0,1]
	v_pk_fma_f32 v[116:117], v[110:111], v[100:101], v[114:115] op_sel:[0,0,1] op_sel_hi:[1,1,0] neg_lo:[0,0,1] neg_hi:[0,0,1]
	v_pk_fma_f32 v[110:111], v[110:111], v[100:101], v[114:115] op_sel:[0,0,1] op_sel_hi:[1,0,0]
	s_delay_alu instid0(VALU_DEP_1) | instskip(SKIP_1) | instid1(VALU_DEP_1)
	v_mov_b32_e32 v117, v111
	v_pk_mul_f32 v[110:111], v[112:113], v[102:103] op_sel:[0,1]
	v_pk_fma_f32 v[114:115], v[112:113], v[100:101], v[110:111] op_sel:[0,0,1] op_sel_hi:[1,1,0] neg_lo:[0,0,1] neg_hi:[0,0,1]
	v_pk_fma_f32 v[110:111], v[112:113], v[100:101], v[110:111] op_sel:[0,0,1] op_sel_hi:[1,0,0]
	s_delay_alu instid0(VALU_DEP_1)
	v_mov_b32_e32 v115, v111
	ds_load_2addr_b64 v[110:113], v104 offset0:44 offset1:45
	v_pk_add_f32 v[8:9], v[8:9], v[116:117] neg_lo:[0,1] neg_hi:[0,1]
	v_pk_add_f32 v[40:41], v[40:41], v[114:115] neg_lo:[0,1] neg_hi:[0,1]
	s_wait_dscnt 0x0
	v_pk_mul_f32 v[114:115], v[110:111], v[102:103] op_sel:[0,1]
	s_delay_alu instid0(VALU_DEP_1) | instskip(SKIP_1) | instid1(VALU_DEP_1)
	v_pk_fma_f32 v[116:117], v[110:111], v[100:101], v[114:115] op_sel:[0,0,1] op_sel_hi:[1,1,0] neg_lo:[0,0,1] neg_hi:[0,0,1]
	v_pk_fma_f32 v[110:111], v[110:111], v[100:101], v[114:115] op_sel:[0,0,1] op_sel_hi:[1,0,0]
	v_mov_b32_e32 v117, v111
	v_pk_mul_f32 v[110:111], v[112:113], v[102:103] op_sel:[0,1]
	s_delay_alu instid0(VALU_DEP_1) | instskip(SKIP_1) | instid1(VALU_DEP_1)
	v_pk_fma_f32 v[114:115], v[112:113], v[100:101], v[110:111] op_sel:[0,0,1] op_sel_hi:[1,1,0] neg_lo:[0,0,1] neg_hi:[0,0,1]
	v_pk_fma_f32 v[110:111], v[112:113], v[100:101], v[110:111] op_sel:[0,0,1] op_sel_hi:[1,0,0]
	v_mov_b32_e32 v115, v111
	ds_load_b64 v[110:111], v104 offset:368
	v_pk_add_f32 v[30:31], v[30:31], v[116:117] neg_lo:[0,1] neg_hi:[0,1]
	v_pk_add_f32 v[12:13], v[12:13], v[114:115] neg_lo:[0,1] neg_hi:[0,1]
	s_wait_dscnt 0x0
	v_pk_mul_f32 v[102:103], v[110:111], v[102:103] op_sel:[0,1]
	s_delay_alu instid0(VALU_DEP_1) | instskip(SKIP_1) | instid1(VALU_DEP_1)
	v_pk_fma_f32 v[112:113], v[110:111], v[100:101], v[102:103] op_sel:[0,0,1] op_sel_hi:[1,1,0] neg_lo:[0,0,1] neg_hi:[0,0,1]
	v_pk_fma_f32 v[100:101], v[110:111], v[100:101], v[102:103] op_sel:[0,0,1] op_sel_hi:[1,0,0]
	v_mov_b32_e32 v113, v101
	s_delay_alu instid0(VALU_DEP_1)
	v_pk_add_f32 v[98:99], v[98:99], v[112:113] neg_lo:[0,1] neg_hi:[0,1]
.LBB92_377:
	s_or_b32 exec_lo, exec_lo, s0
	v_lshl_add_u32 v100, v108, 3, v104
	s_barrier_signal -1
	s_barrier_wait -1
	ds_store_b64 v100, v[44:45]
	s_wait_dscnt 0x0
	s_barrier_signal -1
	s_barrier_wait -1
	ds_load_b64 v[102:103], v104 offset:144
	v_mov_b32_e32 v100, 18
	s_cmp_lt_i32 s18, 20
	s_cbranch_scc1 .LBB92_380
; %bb.378:
	v_add3_u32 v101, v105, 0, 0x98
	v_mov_b32_e32 v100, 18
	s_mov_b32 s0, 19
.LBB92_379:                             ; =>This Inner Loop Header: Depth=1
	ds_load_b64 v[110:111], v101
	s_wait_dscnt 0x1
	v_cmp_gt_f32_e32 vcc_lo, 0, v102
	v_cndmask_b32_e64 v112, v102, -v102, vcc_lo
	v_cmp_gt_f32_e32 vcc_lo, 0, v103
	v_cndmask_b32_e64 v114, v103, -v103, vcc_lo
	s_wait_dscnt 0x0
	v_cmp_gt_f32_e32 vcc_lo, 0, v110
	v_cndmask_b32_e64 v113, v110, -v110, vcc_lo
	v_cmp_gt_f32_e32 vcc_lo, 0, v111
	v_cndmask_b32_e64 v115, v111, -v111, vcc_lo
	s_delay_alu instid0(VALU_DEP_1) | instskip(NEXT) | instid1(VALU_DEP_1)
	v_pk_add_f32 v[112:113], v[112:113], v[114:115]
	v_cmp_lt_f32_e32 vcc_lo, v112, v113
	v_dual_add_nc_u32 v101, 8, v101 :: v_dual_cndmask_b32 v103, v103, v111, vcc_lo
	v_cndmask_b32_e32 v102, v102, v110, vcc_lo
	v_cndmask_b32_e64 v100, v100, s0, vcc_lo
	s_add_co_i32 s0, s0, 1
	s_delay_alu instid0(SALU_CYCLE_1)
	s_cmp_lg_u32 s18, s0
	s_cbranch_scc1 .LBB92_379
.LBB92_380:
	s_wait_dscnt 0x0
	v_cmp_eq_f32_e32 vcc_lo, 0, v102
	v_cmp_eq_f32_e64 s0, 0, v103
	s_and_b32 s0, vcc_lo, s0
	s_delay_alu instid0(SALU_CYCLE_1) | instskip(NEXT) | instid1(SALU_CYCLE_1)
	s_and_saveexec_b32 s1, s0
	s_xor_b32 s0, exec_lo, s1
; %bb.381:
	v_cmp_ne_u32_e32 vcc_lo, 0, v106
	v_cndmask_b32_e32 v106, 19, v106, vcc_lo
; %bb.382:
	s_and_not1_saveexec_b32 s0, s0
	s_cbranch_execz .LBB92_388
; %bb.383:
	v_cmp_ngt_f32_e64 s1, |v102|, |v103|
	s_and_saveexec_b32 s12, s1
	s_delay_alu instid0(SALU_CYCLE_1)
	s_xor_b32 s1, exec_lo, s12
	s_cbranch_execz .LBB92_385
; %bb.384:
	v_div_scale_f32 v101, null, v103, v103, v102
	v_div_scale_f32 v111, vcc_lo, v102, v103, v102
	s_delay_alu instid0(VALU_DEP_2) | instskip(SKIP_1) | instid1(TRANS32_DEP_1)
	v_rcp_f32_e32 v109, v101
	v_nop
	v_fma_f32 v110, -v101, v109, 1.0
	s_delay_alu instid0(VALU_DEP_1) | instskip(NEXT) | instid1(VALU_DEP_1)
	v_fmac_f32_e32 v109, v110, v109
	v_mul_f32_e32 v110, v111, v109
	s_delay_alu instid0(VALU_DEP_1) | instskip(NEXT) | instid1(VALU_DEP_1)
	v_fma_f32 v112, -v101, v110, v111
	v_fmac_f32_e32 v110, v112, v109
	s_delay_alu instid0(VALU_DEP_1) | instskip(NEXT) | instid1(VALU_DEP_1)
	v_fma_f32 v101, -v101, v110, v111
	v_div_fmas_f32 v101, v101, v109, v110
	s_delay_alu instid0(VALU_DEP_1) | instskip(NEXT) | instid1(VALU_DEP_1)
	v_div_fixup_f32 v101, v101, v103, v102
	v_fmac_f32_e32 v103, v102, v101
	s_delay_alu instid0(VALU_DEP_1) | instskip(SKIP_1) | instid1(VALU_DEP_2)
	v_div_scale_f32 v102, null, v103, v103, 1.0
	v_div_scale_f32 v111, vcc_lo, 1.0, v103, 1.0
	v_rcp_f32_e32 v109, v102
	v_nop
	s_delay_alu instid0(TRANS32_DEP_1) | instskip(NEXT) | instid1(VALU_DEP_1)
	v_fma_f32 v110, -v102, v109, 1.0
	v_fmac_f32_e32 v109, v110, v109
	s_delay_alu instid0(VALU_DEP_1) | instskip(NEXT) | instid1(VALU_DEP_1)
	v_mul_f32_e32 v110, v111, v109
	v_fma_f32 v112, -v102, v110, v111
	s_delay_alu instid0(VALU_DEP_1) | instskip(NEXT) | instid1(VALU_DEP_1)
	v_fmac_f32_e32 v110, v112, v109
	v_fma_f32 v102, -v102, v110, v111
	s_delay_alu instid0(VALU_DEP_1) | instskip(NEXT) | instid1(VALU_DEP_1)
	v_div_fmas_f32 v102, v102, v109, v110
	v_div_fixup_f32 v103, v102, v103, 1.0
	s_delay_alu instid0(VALU_DEP_1)
	v_mul_f32_e32 v102, v101, v103
	v_xor_b32_e32 v103, 0x80000000, v103
.LBB92_385:
	s_and_not1_saveexec_b32 s1, s1
	s_cbranch_execz .LBB92_387
; %bb.386:
	s_delay_alu instid0(VALU_DEP_1) | instskip(SKIP_1) | instid1(VALU_DEP_2)
	v_div_scale_f32 v101, null, v102, v102, v103
	v_div_scale_f32 v111, vcc_lo, v103, v102, v103
	v_rcp_f32_e32 v109, v101
	v_nop
	s_delay_alu instid0(TRANS32_DEP_1) | instskip(NEXT) | instid1(VALU_DEP_1)
	v_fma_f32 v110, -v101, v109, 1.0
	v_fmac_f32_e32 v109, v110, v109
	s_delay_alu instid0(VALU_DEP_1) | instskip(NEXT) | instid1(VALU_DEP_1)
	v_mul_f32_e32 v110, v111, v109
	v_fma_f32 v112, -v101, v110, v111
	s_delay_alu instid0(VALU_DEP_1) | instskip(NEXT) | instid1(VALU_DEP_1)
	v_fmac_f32_e32 v110, v112, v109
	v_fma_f32 v101, -v101, v110, v111
	s_delay_alu instid0(VALU_DEP_1) | instskip(NEXT) | instid1(VALU_DEP_1)
	v_div_fmas_f32 v101, v101, v109, v110
	v_div_fixup_f32 v101, v101, v102, v103
	s_delay_alu instid0(VALU_DEP_1) | instskip(NEXT) | instid1(VALU_DEP_1)
	v_fmac_f32_e32 v102, v103, v101
	v_div_scale_f32 v103, null, v102, v102, 1.0
	s_delay_alu instid0(VALU_DEP_1) | instskip(SKIP_1) | instid1(TRANS32_DEP_1)
	v_rcp_f32_e32 v109, v103
	v_nop
	v_fma_f32 v110, -v103, v109, 1.0
	s_delay_alu instid0(VALU_DEP_1) | instskip(SKIP_1) | instid1(VALU_DEP_1)
	v_fmac_f32_e32 v109, v110, v109
	v_div_scale_f32 v110, vcc_lo, 1.0, v102, 1.0
	v_mul_f32_e32 v111, v110, v109
	s_delay_alu instid0(VALU_DEP_1) | instskip(NEXT) | instid1(VALU_DEP_1)
	v_fma_f32 v112, -v103, v111, v110
	v_fmac_f32_e32 v111, v112, v109
	s_delay_alu instid0(VALU_DEP_1) | instskip(NEXT) | instid1(VALU_DEP_1)
	v_fma_f32 v103, -v103, v111, v110
	v_div_fmas_f32 v103, v103, v109, v111
	s_delay_alu instid0(VALU_DEP_1) | instskip(NEXT) | instid1(VALU_DEP_1)
	v_div_fixup_f32 v102, v103, v102, 1.0
	v_mul_f32_e64 v103, v101, -v102
.LBB92_387:
	s_or_b32 exec_lo, exec_lo, s1
.LBB92_388:
	s_delay_alu instid0(SALU_CYCLE_1) | instskip(NEXT) | instid1(SALU_CYCLE_1)
	s_or_b32 exec_lo, exec_lo, s0
	s_mov_b32 s0, exec_lo
	v_cmpx_ne_u32_e64 v108, v100
	s_xor_b32 s0, exec_lo, s0
	s_cbranch_execz .LBB92_394
; %bb.389:
	s_mov_b32 s1, exec_lo
	v_cmpx_eq_u32_e32 18, v108
	s_cbranch_execz .LBB92_393
; %bb.390:
	v_cmp_ne_u32_e32 vcc_lo, 18, v100
	s_xor_b32 s12, s16, -1
	s_delay_alu instid0(SALU_CYCLE_1) | instskip(NEXT) | instid1(SALU_CYCLE_1)
	s_and_b32 s13, s12, vcc_lo
	s_and_saveexec_b32 s12, s13
	s_cbranch_execz .LBB92_392
; %bb.391:
	v_ashrrev_i32_e32 v101, 31, v100
	s_delay_alu instid0(VALU_DEP_1)
	v_lshl_add_u64 v[108:109], v[100:101], 2, v[4:5]
	s_clause 0x1
	global_load_b32 v101, v[108:109], off
	global_load_b32 v107, v[4:5], off offset:72
	s_wait_loadcnt 0x1
	global_store_b32 v[4:5], v101, off offset:72
	s_wait_loadcnt 0x0
	global_store_b32 v[108:109], v107, off
.LBB92_392:
	s_wait_xcnt 0x0
	s_or_b32 exec_lo, exec_lo, s12
	v_dual_mov_b32 v108, v100 :: v_dual_mov_b32 v107, v100
.LBB92_393:
	s_or_b32 exec_lo, exec_lo, s1
.LBB92_394:
	s_and_not1_saveexec_b32 s0, s0
	s_cbranch_execz .LBB92_396
; %bb.395:
	v_mov_b32_e32 v108, 18
	ds_store_2addr_b64 v104, v[42:43], v[80:81] offset0:19 offset1:20
	ds_store_2addr_b64 v104, v[78:79], v[38:39] offset0:21 offset1:22
	;; [unrolled: 1-line block ×14, first 2 shown]
.LBB92_396:
	s_or_b32 exec_lo, exec_lo, s0
	s_delay_alu instid0(SALU_CYCLE_1)
	s_mov_b32 s0, exec_lo
	s_wait_storecnt_dscnt 0x0
	s_barrier_signal -1
	s_barrier_wait -1
	v_cmpx_lt_i32_e32 18, v108
	s_cbranch_execz .LBB92_398
; %bb.397:
	v_pk_mul_f32 v[110:111], v[102:103], v[44:45] op_sel:[1,1] op_sel_hi:[0,1]
	s_delay_alu instid0(VALU_DEP_1)
	v_pk_fma_f32 v[100:101], v[102:103], v[44:45], v[110:111] op_sel_hi:[1,0,1] neg_lo:[0,0,1] neg_hi:[0,0,1]
	v_pk_fma_f32 v[102:103], v[102:103], v[44:45], v[110:111] op_sel_hi:[1,0,1]
	ds_load_2addr_b64 v[110:113], v104 offset0:19 offset1:20
	v_dual_mov_b32 v44, v100 :: v_dual_mov_b32 v45, v103
	s_wait_dscnt 0x0
	v_pk_mul_f32 v[114:115], v[110:111], v[102:103] op_sel:[0,1]
	s_delay_alu instid0(VALU_DEP_1) | instskip(SKIP_1) | instid1(VALU_DEP_1)
	v_pk_fma_f32 v[116:117], v[110:111], v[100:101], v[114:115] op_sel:[0,0,1] op_sel_hi:[1,1,0] neg_lo:[0,0,1] neg_hi:[0,0,1]
	v_pk_fma_f32 v[110:111], v[110:111], v[100:101], v[114:115] op_sel:[0,0,1] op_sel_hi:[1,0,0]
	v_mov_b32_e32 v117, v111
	v_pk_mul_f32 v[110:111], v[112:113], v[102:103] op_sel:[0,1]
	s_delay_alu instid0(VALU_DEP_1) | instskip(SKIP_1) | instid1(VALU_DEP_1)
	v_pk_fma_f32 v[114:115], v[112:113], v[100:101], v[110:111] op_sel:[0,0,1] op_sel_hi:[1,1,0] neg_lo:[0,0,1] neg_hi:[0,0,1]
	v_pk_fma_f32 v[110:111], v[112:113], v[100:101], v[110:111] op_sel:[0,0,1] op_sel_hi:[1,0,0]
	v_mov_b32_e32 v115, v111
	ds_load_2addr_b64 v[110:113], v104 offset0:21 offset1:22
	v_pk_add_f32 v[42:43], v[42:43], v[116:117] neg_lo:[0,1] neg_hi:[0,1]
	v_pk_add_f32 v[80:81], v[80:81], v[114:115] neg_lo:[0,1] neg_hi:[0,1]
	s_wait_dscnt 0x0
	v_pk_mul_f32 v[114:115], v[110:111], v[102:103] op_sel:[0,1]
	s_delay_alu instid0(VALU_DEP_1) | instskip(SKIP_2) | instid1(VALU_DEP_2)
	v_pk_fma_f32 v[116:117], v[110:111], v[100:101], v[114:115] op_sel:[0,0,1] op_sel_hi:[1,1,0] neg_lo:[0,0,1] neg_hi:[0,0,1]
	v_pk_fma_f32 v[110:111], v[110:111], v[100:101], v[114:115] op_sel:[0,0,1] op_sel_hi:[1,0,0]
	v_dual_mul_f32 v114, v113, v103 :: v_dual_mov_b32 v110, v113
	v_dual_mov_b32 v117, v111 :: v_dual_mov_b32 v111, v112
	s_delay_alu instid0(VALU_DEP_2) | instskip(SKIP_1) | instid1(VALU_DEP_3)
	v_pk_fma_f32 v[114:115], v[112:113], v[44:45], v[114:115] op_sel_hi:[1,1,0] neg_lo:[0,0,1] neg_hi:[0,0,1]
	v_mul_f32_e32 v112, v113, v100
	v_pk_add_f32 v[78:79], v[78:79], v[116:117] neg_lo:[0,1] neg_hi:[0,1]
	s_delay_alu instid0(VALU_DEP_2) | instskip(NEXT) | instid1(VALU_DEP_1)
	v_pk_fma_f32 v[110:111], v[110:111], v[44:45], v[112:113] op_sel_hi:[1,1,0]
	v_mov_b32_e32 v115, v111
	ds_load_2addr_b64 v[110:113], v104 offset0:23 offset1:24
	v_pk_add_f32 v[38:39], v[38:39], v[114:115] neg_lo:[0,1] neg_hi:[0,1]
	s_wait_dscnt 0x0
	v_pk_mul_f32 v[114:115], v[110:111], v[102:103] op_sel:[0,1]
	s_delay_alu instid0(VALU_DEP_1) | instskip(SKIP_1) | instid1(VALU_DEP_1)
	v_pk_fma_f32 v[116:117], v[110:111], v[100:101], v[114:115] op_sel:[0,0,1] op_sel_hi:[1,1,0] neg_lo:[0,0,1] neg_hi:[0,0,1]
	v_pk_fma_f32 v[110:111], v[110:111], v[100:101], v[114:115] op_sel:[0,0,1] op_sel_hi:[1,0,0]
	v_mov_b32_e32 v117, v111
	v_pk_mul_f32 v[110:111], v[112:113], v[102:103] op_sel:[0,1]
	s_delay_alu instid0(VALU_DEP_1) | instskip(SKIP_1) | instid1(VALU_DEP_1)
	v_pk_fma_f32 v[114:115], v[112:113], v[100:101], v[110:111] op_sel:[0,0,1] op_sel_hi:[1,1,0] neg_lo:[0,0,1] neg_hi:[0,0,1]
	v_pk_fma_f32 v[110:111], v[112:113], v[100:101], v[110:111] op_sel:[0,0,1] op_sel_hi:[1,0,0]
	v_mov_b32_e32 v115, v111
	ds_load_2addr_b64 v[110:113], v104 offset0:25 offset1:26
	v_pk_add_f32 v[36:37], v[36:37], v[116:117] neg_lo:[0,1] neg_hi:[0,1]
	v_pk_add_f32 v[70:71], v[70:71], v[114:115] neg_lo:[0,1] neg_hi:[0,1]
	s_wait_dscnt 0x0
	v_pk_mul_f32 v[114:115], v[110:111], v[102:103] op_sel:[0,1]
	s_delay_alu instid0(VALU_DEP_1) | instskip(SKIP_1) | instid1(VALU_DEP_1)
	v_pk_fma_f32 v[116:117], v[110:111], v[100:101], v[114:115] op_sel:[0,0,1] op_sel_hi:[1,1,0] neg_lo:[0,0,1] neg_hi:[0,0,1]
	v_pk_fma_f32 v[110:111], v[110:111], v[100:101], v[114:115] op_sel:[0,0,1] op_sel_hi:[1,0,0]
	v_mov_b32_e32 v117, v111
	v_pk_mul_f32 v[110:111], v[112:113], v[102:103] op_sel:[0,1]
	s_delay_alu instid0(VALU_DEP_1) | instskip(SKIP_1) | instid1(VALU_DEP_1)
	v_pk_fma_f32 v[114:115], v[112:113], v[100:101], v[110:111] op_sel:[0,0,1] op_sel_hi:[1,1,0] neg_lo:[0,0,1] neg_hi:[0,0,1]
	v_pk_fma_f32 v[110:111], v[112:113], v[100:101], v[110:111] op_sel:[0,0,1] op_sel_hi:[1,0,0]
	v_mov_b32_e32 v115, v111
	ds_load_2addr_b64 v[110:113], v104 offset0:27 offset1:28
	v_pk_add_f32 v[66:67], v[66:67], v[116:117] neg_lo:[0,1] neg_hi:[0,1]
	v_pk_add_f32 v[26:27], v[26:27], v[114:115] neg_lo:[0,1] neg_hi:[0,1]
	s_wait_dscnt 0x0
	v_dual_mul_f32 v114, v111, v103 :: v_dual_mul_f32 v116, v111, v100
	s_delay_alu instid0(VALU_DEP_1) | instskip(NEXT) | instid1(VALU_DEP_2)
	v_pk_fma_f32 v[114:115], v[110:111], v[44:45], v[114:115] op_sel_hi:[1,1,0] neg_lo:[0,0,1] neg_hi:[0,0,1]
	v_pk_fma_f32 v[110:111], v[110:111], v[44:45], v[116:117] op_sel:[1,0,0] op_sel_hi:[0,1,0]
	s_delay_alu instid0(VALU_DEP_1) | instskip(SKIP_1) | instid1(VALU_DEP_2)
	v_mov_b32_e32 v115, v111
	v_pk_mul_f32 v[110:111], v[112:113], v[102:103] op_sel:[0,1]
	v_pk_add_f32 v[22:23], v[22:23], v[114:115] neg_lo:[0,1] neg_hi:[0,1]
	s_delay_alu instid0(VALU_DEP_2) | instskip(SKIP_1) | instid1(VALU_DEP_1)
	v_pk_fma_f32 v[114:115], v[112:113], v[100:101], v[110:111] op_sel:[0,0,1] op_sel_hi:[1,1,0] neg_lo:[0,0,1] neg_hi:[0,0,1]
	v_pk_fma_f32 v[110:111], v[112:113], v[100:101], v[110:111] op_sel:[0,0,1] op_sel_hi:[1,0,0]
	v_mov_b32_e32 v115, v111
	ds_load_2addr_b64 v[110:113], v104 offset0:29 offset1:30
	v_pk_add_f32 v[64:65], v[64:65], v[114:115] neg_lo:[0,1] neg_hi:[0,1]
	s_wait_dscnt 0x0
	v_pk_mul_f32 v[114:115], v[110:111], v[102:103] op_sel:[0,1]
	s_delay_alu instid0(VALU_DEP_1) | instskip(SKIP_1) | instid1(VALU_DEP_1)
	v_pk_fma_f32 v[116:117], v[110:111], v[100:101], v[114:115] op_sel:[0,0,1] op_sel_hi:[1,1,0] neg_lo:[0,0,1] neg_hi:[0,0,1]
	v_pk_fma_f32 v[110:111], v[110:111], v[100:101], v[114:115] op_sel:[0,0,1] op_sel_hi:[1,0,0]
	v_mov_b32_e32 v117, v111
	v_pk_mul_f32 v[110:111], v[112:113], v[102:103] op_sel:[0,1]
	s_delay_alu instid0(VALU_DEP_2) | instskip(NEXT) | instid1(VALU_DEP_2)
	v_pk_add_f32 v[62:63], v[62:63], v[116:117] neg_lo:[0,1] neg_hi:[0,1]
	v_pk_fma_f32 v[114:115], v[112:113], v[100:101], v[110:111] op_sel:[0,0,1] op_sel_hi:[1,1,0] neg_lo:[0,0,1] neg_hi:[0,0,1]
	v_pk_fma_f32 v[110:111], v[112:113], v[100:101], v[110:111] op_sel:[0,0,1] op_sel_hi:[1,0,0]
	s_delay_alu instid0(VALU_DEP_1) | instskip(SKIP_4) | instid1(VALU_DEP_1)
	v_mov_b32_e32 v115, v111
	ds_load_2addr_b64 v[110:113], v104 offset0:31 offset1:32
	v_pk_add_f32 v[20:21], v[20:21], v[114:115] neg_lo:[0,1] neg_hi:[0,1]
	s_wait_dscnt 0x0
	v_pk_mul_f32 v[114:115], v[110:111], v[102:103] op_sel:[0,1]
	v_pk_fma_f32 v[116:117], v[110:111], v[100:101], v[114:115] op_sel:[0,0,1] op_sel_hi:[1,1,0] neg_lo:[0,0,1] neg_hi:[0,0,1]
	v_pk_fma_f32 v[110:111], v[110:111], v[100:101], v[114:115] op_sel:[0,0,1] op_sel_hi:[1,0,0]
	v_dual_mul_f32 v114, v113, v103 :: v_dual_mov_b32 v110, v113
	s_delay_alu instid0(VALU_DEP_2) | instskip(NEXT) | instid1(VALU_DEP_2)
	v_dual_mov_b32 v117, v111 :: v_dual_mov_b32 v111, v112
	v_pk_fma_f32 v[114:115], v[112:113], v[44:45], v[114:115] op_sel_hi:[1,1,0] neg_lo:[0,0,1] neg_hi:[0,0,1]
	v_mul_f32_e32 v112, v113, v100
	s_delay_alu instid0(VALU_DEP_3) | instskip(NEXT) | instid1(VALU_DEP_2)
	v_pk_add_f32 v[18:19], v[18:19], v[116:117] neg_lo:[0,1] neg_hi:[0,1]
	v_pk_fma_f32 v[110:111], v[110:111], v[44:45], v[112:113] op_sel_hi:[1,1,0]
	s_delay_alu instid0(VALU_DEP_1) | instskip(SKIP_4) | instid1(VALU_DEP_1)
	v_mov_b32_e32 v115, v111
	ds_load_2addr_b64 v[110:113], v104 offset0:33 offset1:34
	v_pk_add_f32 v[60:61], v[60:61], v[114:115] neg_lo:[0,1] neg_hi:[0,1]
	s_wait_dscnt 0x0
	v_pk_mul_f32 v[114:115], v[110:111], v[102:103] op_sel:[0,1]
	v_pk_fma_f32 v[116:117], v[110:111], v[100:101], v[114:115] op_sel:[0,0,1] op_sel_hi:[1,1,0] neg_lo:[0,0,1] neg_hi:[0,0,1]
	v_pk_fma_f32 v[110:111], v[110:111], v[100:101], v[114:115] op_sel:[0,0,1] op_sel_hi:[1,0,0]
	s_delay_alu instid0(VALU_DEP_1) | instskip(SKIP_1) | instid1(VALU_DEP_1)
	v_mov_b32_e32 v117, v111
	v_pk_mul_f32 v[110:111], v[112:113], v[102:103] op_sel:[0,1]
	v_pk_fma_f32 v[114:115], v[112:113], v[100:101], v[110:111] op_sel:[0,0,1] op_sel_hi:[1,1,0] neg_lo:[0,0,1] neg_hi:[0,0,1]
	v_pk_fma_f32 v[110:111], v[112:113], v[100:101], v[110:111] op_sel:[0,0,1] op_sel_hi:[1,0,0]
	s_delay_alu instid0(VALU_DEP_1)
	v_mov_b32_e32 v115, v111
	ds_load_2addr_b64 v[110:113], v104 offset0:35 offset1:36
	v_pk_add_f32 v[58:59], v[58:59], v[116:117] neg_lo:[0,1] neg_hi:[0,1]
	v_pk_add_f32 v[16:17], v[16:17], v[114:115] neg_lo:[0,1] neg_hi:[0,1]
	s_wait_dscnt 0x0
	v_pk_mul_f32 v[114:115], v[110:111], v[102:103] op_sel:[0,1]
	s_delay_alu instid0(VALU_DEP_1) | instskip(SKIP_1) | instid1(VALU_DEP_1)
	v_pk_fma_f32 v[116:117], v[110:111], v[100:101], v[114:115] op_sel:[0,0,1] op_sel_hi:[1,1,0] neg_lo:[0,0,1] neg_hi:[0,0,1]
	v_pk_fma_f32 v[110:111], v[110:111], v[100:101], v[114:115] op_sel:[0,0,1] op_sel_hi:[1,0,0]
	v_mov_b32_e32 v117, v111
	v_pk_mul_f32 v[110:111], v[112:113], v[102:103] op_sel:[0,1]
	s_delay_alu instid0(VALU_DEP_1) | instskip(SKIP_1) | instid1(VALU_DEP_1)
	v_pk_fma_f32 v[114:115], v[112:113], v[100:101], v[110:111] op_sel:[0,0,1] op_sel_hi:[1,1,0] neg_lo:[0,0,1] neg_hi:[0,0,1]
	v_pk_fma_f32 v[110:111], v[112:113], v[100:101], v[110:111] op_sel:[0,0,1] op_sel_hi:[1,0,0]
	v_mov_b32_e32 v115, v111
	ds_load_2addr_b64 v[110:113], v104 offset0:37 offset1:38
	v_pk_add_f32 v[14:15], v[14:15], v[116:117] neg_lo:[0,1] neg_hi:[0,1]
	v_pk_add_f32 v[56:57], v[56:57], v[114:115] neg_lo:[0,1] neg_hi:[0,1]
	s_wait_dscnt 0x0
	v_dual_mul_f32 v114, v111, v103 :: v_dual_mul_f32 v116, v111, v100
	s_delay_alu instid0(VALU_DEP_1) | instskip(NEXT) | instid1(VALU_DEP_2)
	v_pk_fma_f32 v[114:115], v[110:111], v[44:45], v[114:115] op_sel_hi:[1,1,0] neg_lo:[0,0,1] neg_hi:[0,0,1]
	v_pk_fma_f32 v[110:111], v[110:111], v[44:45], v[116:117] op_sel:[1,0,0] op_sel_hi:[0,1,0]
	s_delay_alu instid0(VALU_DEP_1) | instskip(SKIP_1) | instid1(VALU_DEP_2)
	v_mov_b32_e32 v115, v111
	v_pk_mul_f32 v[110:111], v[112:113], v[102:103] op_sel:[0,1]
	v_pk_add_f32 v[54:55], v[54:55], v[114:115] neg_lo:[0,1] neg_hi:[0,1]
	s_delay_alu instid0(VALU_DEP_2) | instskip(SKIP_1) | instid1(VALU_DEP_1)
	v_pk_fma_f32 v[114:115], v[112:113], v[100:101], v[110:111] op_sel:[0,0,1] op_sel_hi:[1,1,0] neg_lo:[0,0,1] neg_hi:[0,0,1]
	v_pk_fma_f32 v[110:111], v[112:113], v[100:101], v[110:111] op_sel:[0,0,1] op_sel_hi:[1,0,0]
	v_mov_b32_e32 v115, v111
	ds_load_2addr_b64 v[110:113], v104 offset0:39 offset1:40
	v_pk_add_f32 v[10:11], v[10:11], v[114:115] neg_lo:[0,1] neg_hi:[0,1]
	s_wait_dscnt 0x0
	v_pk_mul_f32 v[114:115], v[110:111], v[102:103] op_sel:[0,1]
	s_delay_alu instid0(VALU_DEP_1) | instskip(SKIP_1) | instid1(VALU_DEP_1)
	v_pk_fma_f32 v[116:117], v[110:111], v[100:101], v[114:115] op_sel:[0,0,1] op_sel_hi:[1,1,0] neg_lo:[0,0,1] neg_hi:[0,0,1]
	v_pk_fma_f32 v[110:111], v[110:111], v[100:101], v[114:115] op_sel:[0,0,1] op_sel_hi:[1,0,0]
	v_mov_b32_e32 v117, v111
	v_pk_mul_f32 v[110:111], v[112:113], v[102:103] op_sel:[0,1]
	s_delay_alu instid0(VALU_DEP_2) | instskip(NEXT) | instid1(VALU_DEP_2)
	v_pk_add_f32 v[6:7], v[6:7], v[116:117] neg_lo:[0,1] neg_hi:[0,1]
	v_pk_fma_f32 v[114:115], v[112:113], v[100:101], v[110:111] op_sel:[0,0,1] op_sel_hi:[1,1,0] neg_lo:[0,0,1] neg_hi:[0,0,1]
	v_pk_fma_f32 v[110:111], v[112:113], v[100:101], v[110:111] op_sel:[0,0,1] op_sel_hi:[1,0,0]
	s_delay_alu instid0(VALU_DEP_1) | instskip(SKIP_4) | instid1(VALU_DEP_1)
	v_mov_b32_e32 v115, v111
	ds_load_2addr_b64 v[110:113], v104 offset0:41 offset1:42
	v_pk_add_f32 v[52:53], v[52:53], v[114:115] neg_lo:[0,1] neg_hi:[0,1]
	s_wait_dscnt 0x0
	v_pk_mul_f32 v[114:115], v[110:111], v[102:103] op_sel:[0,1]
	v_pk_fma_f32 v[116:117], v[110:111], v[100:101], v[114:115] op_sel:[0,0,1] op_sel_hi:[1,1,0] neg_lo:[0,0,1] neg_hi:[0,0,1]
	v_pk_fma_f32 v[110:111], v[110:111], v[100:101], v[114:115] op_sel:[0,0,1] op_sel_hi:[1,0,0]
	v_dual_mul_f32 v114, v113, v103 :: v_dual_mov_b32 v110, v113
	s_delay_alu instid0(VALU_DEP_2) | instskip(NEXT) | instid1(VALU_DEP_2)
	v_dual_mov_b32 v117, v111 :: v_dual_mov_b32 v111, v112
	v_pk_fma_f32 v[114:115], v[112:113], v[44:45], v[114:115] op_sel_hi:[1,1,0] neg_lo:[0,0,1] neg_hi:[0,0,1]
	v_mul_f32_e32 v112, v113, v100
	s_delay_alu instid0(VALU_DEP_3) | instskip(NEXT) | instid1(VALU_DEP_2)
	v_pk_add_f32 v[50:51], v[50:51], v[116:117] neg_lo:[0,1] neg_hi:[0,1]
	v_pk_fma_f32 v[110:111], v[110:111], v[44:45], v[112:113] op_sel_hi:[1,1,0]
	s_delay_alu instid0(VALU_DEP_1) | instskip(SKIP_4) | instid1(VALU_DEP_1)
	v_mov_b32_e32 v115, v111
	ds_load_2addr_b64 v[110:113], v104 offset0:43 offset1:44
	v_pk_add_f32 v[8:9], v[8:9], v[114:115] neg_lo:[0,1] neg_hi:[0,1]
	s_wait_dscnt 0x0
	v_pk_mul_f32 v[114:115], v[110:111], v[102:103] op_sel:[0,1]
	v_pk_fma_f32 v[116:117], v[110:111], v[100:101], v[114:115] op_sel:[0,0,1] op_sel_hi:[1,1,0] neg_lo:[0,0,1] neg_hi:[0,0,1]
	v_pk_fma_f32 v[110:111], v[110:111], v[100:101], v[114:115] op_sel:[0,0,1] op_sel_hi:[1,0,0]
	s_delay_alu instid0(VALU_DEP_1) | instskip(SKIP_1) | instid1(VALU_DEP_1)
	v_mov_b32_e32 v117, v111
	v_pk_mul_f32 v[110:111], v[112:113], v[102:103] op_sel:[0,1]
	v_pk_fma_f32 v[114:115], v[112:113], v[100:101], v[110:111] op_sel:[0,0,1] op_sel_hi:[1,1,0] neg_lo:[0,0,1] neg_hi:[0,0,1]
	v_pk_fma_f32 v[110:111], v[112:113], v[100:101], v[110:111] op_sel:[0,0,1] op_sel_hi:[1,0,0]
	s_delay_alu instid0(VALU_DEP_1)
	v_mov_b32_e32 v115, v111
	ds_load_2addr_b64 v[110:113], v104 offset0:45 offset1:46
	v_pk_add_f32 v[40:41], v[40:41], v[116:117] neg_lo:[0,1] neg_hi:[0,1]
	v_pk_add_f32 v[30:31], v[30:31], v[114:115] neg_lo:[0,1] neg_hi:[0,1]
	s_wait_dscnt 0x0
	v_pk_mul_f32 v[114:115], v[110:111], v[102:103] op_sel:[0,1]
	v_pk_mul_f32 v[102:103], v[112:113], v[102:103] op_sel:[0,1]
	s_delay_alu instid0(VALU_DEP_2) | instskip(SKIP_1) | instid1(VALU_DEP_1)
	v_pk_fma_f32 v[116:117], v[110:111], v[100:101], v[114:115] op_sel:[0,0,1] op_sel_hi:[1,1,0] neg_lo:[0,0,1] neg_hi:[0,0,1]
	v_pk_fma_f32 v[110:111], v[110:111], v[100:101], v[114:115] op_sel:[0,0,1] op_sel_hi:[1,0,0]
	v_mov_b32_e32 v117, v111
	s_delay_alu instid0(VALU_DEP_4) | instskip(SKIP_1) | instid1(VALU_DEP_1)
	v_pk_fma_f32 v[110:111], v[112:113], v[100:101], v[102:103] op_sel:[0,0,1] op_sel_hi:[1,1,0] neg_lo:[0,0,1] neg_hi:[0,0,1]
	v_pk_fma_f32 v[100:101], v[112:113], v[100:101], v[102:103] op_sel:[0,0,1] op_sel_hi:[1,0,0]
	v_mov_b32_e32 v111, v101
	s_delay_alu instid0(VALU_DEP_4) | instskip(NEXT) | instid1(VALU_DEP_2)
	v_pk_add_f32 v[12:13], v[12:13], v[116:117] neg_lo:[0,1] neg_hi:[0,1]
	v_pk_add_f32 v[98:99], v[98:99], v[110:111] neg_lo:[0,1] neg_hi:[0,1]
.LBB92_398:
	s_or_b32 exec_lo, exec_lo, s0
	v_lshl_add_u32 v100, v108, 3, v104
	s_barrier_signal -1
	s_barrier_wait -1
	ds_store_b64 v100, v[42:43]
	s_wait_dscnt 0x0
	s_barrier_signal -1
	s_barrier_wait -1
	ds_load_b64 v[102:103], v104 offset:152
	v_mov_b32_e32 v100, 19
	s_cmp_lt_i32 s18, 21
	s_cbranch_scc1 .LBB92_401
; %bb.399:
	v_add3_u32 v101, v105, 0, 0xa0
	v_mov_b32_e32 v100, 19
	s_mov_b32 s0, 20
.LBB92_400:                             ; =>This Inner Loop Header: Depth=1
	ds_load_b64 v[110:111], v101
	s_wait_dscnt 0x1
	v_cmp_gt_f32_e32 vcc_lo, 0, v102
	v_cndmask_b32_e64 v112, v102, -v102, vcc_lo
	v_cmp_gt_f32_e32 vcc_lo, 0, v103
	v_cndmask_b32_e64 v114, v103, -v103, vcc_lo
	s_wait_dscnt 0x0
	v_cmp_gt_f32_e32 vcc_lo, 0, v110
	v_cndmask_b32_e64 v113, v110, -v110, vcc_lo
	v_cmp_gt_f32_e32 vcc_lo, 0, v111
	v_cndmask_b32_e64 v115, v111, -v111, vcc_lo
	s_delay_alu instid0(VALU_DEP_1) | instskip(NEXT) | instid1(VALU_DEP_1)
	v_pk_add_f32 v[112:113], v[112:113], v[114:115]
	v_cmp_lt_f32_e32 vcc_lo, v112, v113
	v_dual_add_nc_u32 v101, 8, v101 :: v_dual_cndmask_b32 v103, v103, v111, vcc_lo
	v_cndmask_b32_e32 v102, v102, v110, vcc_lo
	v_cndmask_b32_e64 v100, v100, s0, vcc_lo
	s_add_co_i32 s0, s0, 1
	s_delay_alu instid0(SALU_CYCLE_1)
	s_cmp_lg_u32 s18, s0
	s_cbranch_scc1 .LBB92_400
.LBB92_401:
	s_wait_dscnt 0x0
	v_cmp_eq_f32_e32 vcc_lo, 0, v102
	v_cmp_eq_f32_e64 s0, 0, v103
	s_and_b32 s0, vcc_lo, s0
	s_delay_alu instid0(SALU_CYCLE_1) | instskip(NEXT) | instid1(SALU_CYCLE_1)
	s_and_saveexec_b32 s1, s0
	s_xor_b32 s0, exec_lo, s1
; %bb.402:
	v_cmp_ne_u32_e32 vcc_lo, 0, v106
	v_cndmask_b32_e32 v106, 20, v106, vcc_lo
; %bb.403:
	s_and_not1_saveexec_b32 s0, s0
	s_cbranch_execz .LBB92_409
; %bb.404:
	v_cmp_ngt_f32_e64 s1, |v102|, |v103|
	s_and_saveexec_b32 s12, s1
	s_delay_alu instid0(SALU_CYCLE_1)
	s_xor_b32 s1, exec_lo, s12
	s_cbranch_execz .LBB92_406
; %bb.405:
	v_div_scale_f32 v101, null, v103, v103, v102
	v_div_scale_f32 v111, vcc_lo, v102, v103, v102
	s_delay_alu instid0(VALU_DEP_2) | instskip(SKIP_1) | instid1(TRANS32_DEP_1)
	v_rcp_f32_e32 v109, v101
	v_nop
	v_fma_f32 v110, -v101, v109, 1.0
	s_delay_alu instid0(VALU_DEP_1) | instskip(NEXT) | instid1(VALU_DEP_1)
	v_fmac_f32_e32 v109, v110, v109
	v_mul_f32_e32 v110, v111, v109
	s_delay_alu instid0(VALU_DEP_1) | instskip(NEXT) | instid1(VALU_DEP_1)
	v_fma_f32 v112, -v101, v110, v111
	v_fmac_f32_e32 v110, v112, v109
	s_delay_alu instid0(VALU_DEP_1) | instskip(NEXT) | instid1(VALU_DEP_1)
	v_fma_f32 v101, -v101, v110, v111
	v_div_fmas_f32 v101, v101, v109, v110
	s_delay_alu instid0(VALU_DEP_1) | instskip(NEXT) | instid1(VALU_DEP_1)
	v_div_fixup_f32 v101, v101, v103, v102
	v_fmac_f32_e32 v103, v102, v101
	s_delay_alu instid0(VALU_DEP_1) | instskip(SKIP_1) | instid1(VALU_DEP_2)
	v_div_scale_f32 v102, null, v103, v103, 1.0
	v_div_scale_f32 v111, vcc_lo, 1.0, v103, 1.0
	v_rcp_f32_e32 v109, v102
	v_nop
	s_delay_alu instid0(TRANS32_DEP_1) | instskip(NEXT) | instid1(VALU_DEP_1)
	v_fma_f32 v110, -v102, v109, 1.0
	v_fmac_f32_e32 v109, v110, v109
	s_delay_alu instid0(VALU_DEP_1) | instskip(NEXT) | instid1(VALU_DEP_1)
	v_mul_f32_e32 v110, v111, v109
	v_fma_f32 v112, -v102, v110, v111
	s_delay_alu instid0(VALU_DEP_1) | instskip(NEXT) | instid1(VALU_DEP_1)
	v_fmac_f32_e32 v110, v112, v109
	v_fma_f32 v102, -v102, v110, v111
	s_delay_alu instid0(VALU_DEP_1) | instskip(NEXT) | instid1(VALU_DEP_1)
	v_div_fmas_f32 v102, v102, v109, v110
	v_div_fixup_f32 v103, v102, v103, 1.0
	s_delay_alu instid0(VALU_DEP_1)
	v_mul_f32_e32 v102, v101, v103
	v_xor_b32_e32 v103, 0x80000000, v103
.LBB92_406:
	s_and_not1_saveexec_b32 s1, s1
	s_cbranch_execz .LBB92_408
; %bb.407:
	s_delay_alu instid0(VALU_DEP_1) | instskip(SKIP_1) | instid1(VALU_DEP_2)
	v_div_scale_f32 v101, null, v102, v102, v103
	v_div_scale_f32 v111, vcc_lo, v103, v102, v103
	v_rcp_f32_e32 v109, v101
	v_nop
	s_delay_alu instid0(TRANS32_DEP_1) | instskip(NEXT) | instid1(VALU_DEP_1)
	v_fma_f32 v110, -v101, v109, 1.0
	v_fmac_f32_e32 v109, v110, v109
	s_delay_alu instid0(VALU_DEP_1) | instskip(NEXT) | instid1(VALU_DEP_1)
	v_mul_f32_e32 v110, v111, v109
	v_fma_f32 v112, -v101, v110, v111
	s_delay_alu instid0(VALU_DEP_1) | instskip(NEXT) | instid1(VALU_DEP_1)
	v_fmac_f32_e32 v110, v112, v109
	v_fma_f32 v101, -v101, v110, v111
	s_delay_alu instid0(VALU_DEP_1) | instskip(NEXT) | instid1(VALU_DEP_1)
	v_div_fmas_f32 v101, v101, v109, v110
	v_div_fixup_f32 v101, v101, v102, v103
	s_delay_alu instid0(VALU_DEP_1) | instskip(NEXT) | instid1(VALU_DEP_1)
	v_fmac_f32_e32 v102, v103, v101
	v_div_scale_f32 v103, null, v102, v102, 1.0
	s_delay_alu instid0(VALU_DEP_1) | instskip(SKIP_1) | instid1(TRANS32_DEP_1)
	v_rcp_f32_e32 v109, v103
	v_nop
	v_fma_f32 v110, -v103, v109, 1.0
	s_delay_alu instid0(VALU_DEP_1) | instskip(SKIP_1) | instid1(VALU_DEP_1)
	v_fmac_f32_e32 v109, v110, v109
	v_div_scale_f32 v110, vcc_lo, 1.0, v102, 1.0
	v_mul_f32_e32 v111, v110, v109
	s_delay_alu instid0(VALU_DEP_1) | instskip(NEXT) | instid1(VALU_DEP_1)
	v_fma_f32 v112, -v103, v111, v110
	v_fmac_f32_e32 v111, v112, v109
	s_delay_alu instid0(VALU_DEP_1) | instskip(NEXT) | instid1(VALU_DEP_1)
	v_fma_f32 v103, -v103, v111, v110
	v_div_fmas_f32 v103, v103, v109, v111
	s_delay_alu instid0(VALU_DEP_1) | instskip(NEXT) | instid1(VALU_DEP_1)
	v_div_fixup_f32 v102, v103, v102, 1.0
	v_mul_f32_e64 v103, v101, -v102
.LBB92_408:
	s_or_b32 exec_lo, exec_lo, s1
.LBB92_409:
	s_delay_alu instid0(SALU_CYCLE_1) | instskip(NEXT) | instid1(SALU_CYCLE_1)
	s_or_b32 exec_lo, exec_lo, s0
	s_mov_b32 s0, exec_lo
	v_cmpx_ne_u32_e64 v108, v100
	s_xor_b32 s0, exec_lo, s0
	s_cbranch_execz .LBB92_415
; %bb.410:
	s_mov_b32 s1, exec_lo
	v_cmpx_eq_u32_e32 19, v108
	s_cbranch_execz .LBB92_414
; %bb.411:
	v_cmp_ne_u32_e32 vcc_lo, 19, v100
	s_xor_b32 s12, s16, -1
	s_delay_alu instid0(SALU_CYCLE_1) | instskip(NEXT) | instid1(SALU_CYCLE_1)
	s_and_b32 s13, s12, vcc_lo
	s_and_saveexec_b32 s12, s13
	s_cbranch_execz .LBB92_413
; %bb.412:
	v_ashrrev_i32_e32 v101, 31, v100
	s_delay_alu instid0(VALU_DEP_1)
	v_lshl_add_u64 v[108:109], v[100:101], 2, v[4:5]
	s_clause 0x1
	global_load_b32 v101, v[108:109], off
	global_load_b32 v107, v[4:5], off offset:76
	s_wait_loadcnt 0x1
	global_store_b32 v[4:5], v101, off offset:76
	s_wait_loadcnt 0x0
	global_store_b32 v[108:109], v107, off
.LBB92_413:
	s_wait_xcnt 0x0
	s_or_b32 exec_lo, exec_lo, s12
	v_dual_mov_b32 v108, v100 :: v_dual_mov_b32 v107, v100
.LBB92_414:
	s_or_b32 exec_lo, exec_lo, s1
.LBB92_415:
	s_and_not1_saveexec_b32 s0, s0
	s_cbranch_execz .LBB92_417
; %bb.416:
	v_dual_mov_b32 v100, v80 :: v_dual_mov_b32 v101, v81
	v_dual_mov_b32 v108, v78 :: v_dual_mov_b32 v109, v79
	ds_store_2addr_b64 v104, v[100:101], v[108:109] offset0:20 offset1:21
	v_dual_mov_b32 v100, v38 :: v_dual_mov_b32 v101, v39
	v_dual_mov_b32 v108, v36 :: v_dual_mov_b32 v109, v37
	ds_store_2addr_b64 v104, v[100:101], v[108:109] offset0:22 offset1:23
	;; [unrolled: 3-line block ×13, first 2 shown]
	ds_store_b64 v104, v[98:99] offset:368
	v_mov_b32_e32 v108, 19
.LBB92_417:
	s_or_b32 exec_lo, exec_lo, s0
	s_delay_alu instid0(SALU_CYCLE_1)
	s_mov_b32 s0, exec_lo
	s_wait_storecnt_dscnt 0x0
	s_barrier_signal -1
	s_barrier_wait -1
	v_cmpx_lt_i32_e32 19, v108
	s_cbranch_execz .LBB92_419
; %bb.418:
	v_pk_mul_f32 v[110:111], v[102:103], v[42:43] op_sel:[1,1] op_sel_hi:[0,1]
	s_delay_alu instid0(VALU_DEP_1)
	v_pk_fma_f32 v[100:101], v[102:103], v[42:43], v[110:111] op_sel_hi:[1,0,1] neg_lo:[0,0,1] neg_hi:[0,0,1]
	v_pk_fma_f32 v[102:103], v[102:103], v[42:43], v[110:111] op_sel_hi:[1,0,1]
	ds_load_2addr_b64 v[110:113], v104 offset0:20 offset1:21
	v_dual_mov_b32 v42, v100 :: v_dual_mov_b32 v43, v103
	s_wait_dscnt 0x0
	v_pk_mul_f32 v[114:115], v[110:111], v[102:103] op_sel:[0,1]
	s_delay_alu instid0(VALU_DEP_1) | instskip(SKIP_1) | instid1(VALU_DEP_1)
	v_pk_fma_f32 v[116:117], v[110:111], v[100:101], v[114:115] op_sel:[0,0,1] op_sel_hi:[1,1,0] neg_lo:[0,0,1] neg_hi:[0,0,1]
	v_pk_fma_f32 v[110:111], v[110:111], v[100:101], v[114:115] op_sel:[0,0,1] op_sel_hi:[1,0,0]
	v_mov_b32_e32 v117, v111
	v_pk_mul_f32 v[110:111], v[112:113], v[102:103] op_sel:[0,1]
	s_delay_alu instid0(VALU_DEP_1) | instskip(SKIP_1) | instid1(VALU_DEP_1)
	v_pk_fma_f32 v[114:115], v[112:113], v[100:101], v[110:111] op_sel:[0,0,1] op_sel_hi:[1,1,0] neg_lo:[0,0,1] neg_hi:[0,0,1]
	v_pk_fma_f32 v[110:111], v[112:113], v[100:101], v[110:111] op_sel:[0,0,1] op_sel_hi:[1,0,0]
	v_mov_b32_e32 v115, v111
	ds_load_2addr_b64 v[110:113], v104 offset0:22 offset1:23
	v_pk_add_f32 v[80:81], v[80:81], v[116:117] neg_lo:[0,1] neg_hi:[0,1]
	v_pk_add_f32 v[78:79], v[78:79], v[114:115] neg_lo:[0,1] neg_hi:[0,1]
	s_wait_dscnt 0x0
	v_pk_mul_f32 v[114:115], v[110:111], v[102:103] op_sel:[0,1]
	s_delay_alu instid0(VALU_DEP_1) | instskip(SKIP_2) | instid1(VALU_DEP_2)
	v_pk_fma_f32 v[116:117], v[110:111], v[100:101], v[114:115] op_sel:[0,0,1] op_sel_hi:[1,1,0] neg_lo:[0,0,1] neg_hi:[0,0,1]
	v_pk_fma_f32 v[110:111], v[110:111], v[100:101], v[114:115] op_sel:[0,0,1] op_sel_hi:[1,0,0]
	v_dual_mul_f32 v114, v113, v103 :: v_dual_mov_b32 v110, v113
	v_dual_mov_b32 v117, v111 :: v_dual_mov_b32 v111, v112
	s_delay_alu instid0(VALU_DEP_2) | instskip(SKIP_1) | instid1(VALU_DEP_3)
	v_pk_fma_f32 v[114:115], v[112:113], v[42:43], v[114:115] op_sel_hi:[1,1,0] neg_lo:[0,0,1] neg_hi:[0,0,1]
	v_mul_f32_e32 v112, v113, v100
	v_pk_add_f32 v[38:39], v[38:39], v[116:117] neg_lo:[0,1] neg_hi:[0,1]
	s_delay_alu instid0(VALU_DEP_2) | instskip(NEXT) | instid1(VALU_DEP_1)
	v_pk_fma_f32 v[110:111], v[110:111], v[42:43], v[112:113] op_sel_hi:[1,1,0]
	v_mov_b32_e32 v115, v111
	ds_load_2addr_b64 v[110:113], v104 offset0:24 offset1:25
	v_pk_add_f32 v[36:37], v[36:37], v[114:115] neg_lo:[0,1] neg_hi:[0,1]
	s_wait_dscnt 0x0
	v_pk_mul_f32 v[114:115], v[110:111], v[102:103] op_sel:[0,1]
	s_delay_alu instid0(VALU_DEP_1) | instskip(SKIP_1) | instid1(VALU_DEP_1)
	v_pk_fma_f32 v[116:117], v[110:111], v[100:101], v[114:115] op_sel:[0,0,1] op_sel_hi:[1,1,0] neg_lo:[0,0,1] neg_hi:[0,0,1]
	v_pk_fma_f32 v[110:111], v[110:111], v[100:101], v[114:115] op_sel:[0,0,1] op_sel_hi:[1,0,0]
	v_mov_b32_e32 v117, v111
	v_pk_mul_f32 v[110:111], v[112:113], v[102:103] op_sel:[0,1]
	s_delay_alu instid0(VALU_DEP_1) | instskip(SKIP_1) | instid1(VALU_DEP_1)
	v_pk_fma_f32 v[114:115], v[112:113], v[100:101], v[110:111] op_sel:[0,0,1] op_sel_hi:[1,1,0] neg_lo:[0,0,1] neg_hi:[0,0,1]
	v_pk_fma_f32 v[110:111], v[112:113], v[100:101], v[110:111] op_sel:[0,0,1] op_sel_hi:[1,0,0]
	v_mov_b32_e32 v115, v111
	ds_load_2addr_b64 v[110:113], v104 offset0:26 offset1:27
	v_pk_add_f32 v[70:71], v[70:71], v[116:117] neg_lo:[0,1] neg_hi:[0,1]
	v_pk_add_f32 v[66:67], v[66:67], v[114:115] neg_lo:[0,1] neg_hi:[0,1]
	s_wait_dscnt 0x0
	v_pk_mul_f32 v[114:115], v[110:111], v[102:103] op_sel:[0,1]
	s_delay_alu instid0(VALU_DEP_1) | instskip(SKIP_1) | instid1(VALU_DEP_1)
	v_pk_fma_f32 v[116:117], v[110:111], v[100:101], v[114:115] op_sel:[0,0,1] op_sel_hi:[1,1,0] neg_lo:[0,0,1] neg_hi:[0,0,1]
	v_pk_fma_f32 v[110:111], v[110:111], v[100:101], v[114:115] op_sel:[0,0,1] op_sel_hi:[1,0,0]
	v_mov_b32_e32 v117, v111
	v_pk_mul_f32 v[110:111], v[112:113], v[102:103] op_sel:[0,1]
	s_delay_alu instid0(VALU_DEP_1) | instskip(SKIP_1) | instid1(VALU_DEP_1)
	v_pk_fma_f32 v[114:115], v[112:113], v[100:101], v[110:111] op_sel:[0,0,1] op_sel_hi:[1,1,0] neg_lo:[0,0,1] neg_hi:[0,0,1]
	v_pk_fma_f32 v[110:111], v[112:113], v[100:101], v[110:111] op_sel:[0,0,1] op_sel_hi:[1,0,0]
	v_mov_b32_e32 v115, v111
	ds_load_2addr_b64 v[110:113], v104 offset0:28 offset1:29
	v_pk_add_f32 v[26:27], v[26:27], v[116:117] neg_lo:[0,1] neg_hi:[0,1]
	v_pk_add_f32 v[22:23], v[22:23], v[114:115] neg_lo:[0,1] neg_hi:[0,1]
	s_wait_dscnt 0x0
	v_dual_mul_f32 v114, v111, v103 :: v_dual_mul_f32 v116, v111, v100
	s_delay_alu instid0(VALU_DEP_1) | instskip(NEXT) | instid1(VALU_DEP_2)
	v_pk_fma_f32 v[114:115], v[110:111], v[42:43], v[114:115] op_sel_hi:[1,1,0] neg_lo:[0,0,1] neg_hi:[0,0,1]
	v_pk_fma_f32 v[110:111], v[110:111], v[42:43], v[116:117] op_sel:[1,0,0] op_sel_hi:[0,1,0]
	s_delay_alu instid0(VALU_DEP_1) | instskip(SKIP_1) | instid1(VALU_DEP_2)
	v_mov_b32_e32 v115, v111
	v_pk_mul_f32 v[110:111], v[112:113], v[102:103] op_sel:[0,1]
	v_pk_add_f32 v[64:65], v[64:65], v[114:115] neg_lo:[0,1] neg_hi:[0,1]
	s_delay_alu instid0(VALU_DEP_2) | instskip(SKIP_1) | instid1(VALU_DEP_1)
	v_pk_fma_f32 v[114:115], v[112:113], v[100:101], v[110:111] op_sel:[0,0,1] op_sel_hi:[1,1,0] neg_lo:[0,0,1] neg_hi:[0,0,1]
	v_pk_fma_f32 v[110:111], v[112:113], v[100:101], v[110:111] op_sel:[0,0,1] op_sel_hi:[1,0,0]
	v_mov_b32_e32 v115, v111
	ds_load_2addr_b64 v[110:113], v104 offset0:30 offset1:31
	v_pk_add_f32 v[62:63], v[62:63], v[114:115] neg_lo:[0,1] neg_hi:[0,1]
	s_wait_dscnt 0x0
	v_pk_mul_f32 v[114:115], v[110:111], v[102:103] op_sel:[0,1]
	s_delay_alu instid0(VALU_DEP_1) | instskip(SKIP_1) | instid1(VALU_DEP_1)
	v_pk_fma_f32 v[116:117], v[110:111], v[100:101], v[114:115] op_sel:[0,0,1] op_sel_hi:[1,1,0] neg_lo:[0,0,1] neg_hi:[0,0,1]
	v_pk_fma_f32 v[110:111], v[110:111], v[100:101], v[114:115] op_sel:[0,0,1] op_sel_hi:[1,0,0]
	v_mov_b32_e32 v117, v111
	v_pk_mul_f32 v[110:111], v[112:113], v[102:103] op_sel:[0,1]
	s_delay_alu instid0(VALU_DEP_2) | instskip(NEXT) | instid1(VALU_DEP_2)
	v_pk_add_f32 v[20:21], v[20:21], v[116:117] neg_lo:[0,1] neg_hi:[0,1]
	v_pk_fma_f32 v[114:115], v[112:113], v[100:101], v[110:111] op_sel:[0,0,1] op_sel_hi:[1,1,0] neg_lo:[0,0,1] neg_hi:[0,0,1]
	v_pk_fma_f32 v[110:111], v[112:113], v[100:101], v[110:111] op_sel:[0,0,1] op_sel_hi:[1,0,0]
	s_delay_alu instid0(VALU_DEP_1) | instskip(SKIP_4) | instid1(VALU_DEP_1)
	v_mov_b32_e32 v115, v111
	ds_load_2addr_b64 v[110:113], v104 offset0:32 offset1:33
	v_pk_add_f32 v[18:19], v[18:19], v[114:115] neg_lo:[0,1] neg_hi:[0,1]
	s_wait_dscnt 0x0
	v_pk_mul_f32 v[114:115], v[110:111], v[102:103] op_sel:[0,1]
	v_pk_fma_f32 v[116:117], v[110:111], v[100:101], v[114:115] op_sel:[0,0,1] op_sel_hi:[1,1,0] neg_lo:[0,0,1] neg_hi:[0,0,1]
	v_pk_fma_f32 v[110:111], v[110:111], v[100:101], v[114:115] op_sel:[0,0,1] op_sel_hi:[1,0,0]
	v_dual_mul_f32 v114, v113, v103 :: v_dual_mov_b32 v110, v113
	s_delay_alu instid0(VALU_DEP_2) | instskip(NEXT) | instid1(VALU_DEP_2)
	v_dual_mov_b32 v117, v111 :: v_dual_mov_b32 v111, v112
	v_pk_fma_f32 v[114:115], v[112:113], v[42:43], v[114:115] op_sel_hi:[1,1,0] neg_lo:[0,0,1] neg_hi:[0,0,1]
	v_mul_f32_e32 v112, v113, v100
	s_delay_alu instid0(VALU_DEP_3) | instskip(NEXT) | instid1(VALU_DEP_2)
	v_pk_add_f32 v[60:61], v[60:61], v[116:117] neg_lo:[0,1] neg_hi:[0,1]
	v_pk_fma_f32 v[110:111], v[110:111], v[42:43], v[112:113] op_sel_hi:[1,1,0]
	s_delay_alu instid0(VALU_DEP_1) | instskip(SKIP_4) | instid1(VALU_DEP_1)
	v_mov_b32_e32 v115, v111
	ds_load_2addr_b64 v[110:113], v104 offset0:34 offset1:35
	v_pk_add_f32 v[58:59], v[58:59], v[114:115] neg_lo:[0,1] neg_hi:[0,1]
	s_wait_dscnt 0x0
	v_pk_mul_f32 v[114:115], v[110:111], v[102:103] op_sel:[0,1]
	v_pk_fma_f32 v[116:117], v[110:111], v[100:101], v[114:115] op_sel:[0,0,1] op_sel_hi:[1,1,0] neg_lo:[0,0,1] neg_hi:[0,0,1]
	v_pk_fma_f32 v[110:111], v[110:111], v[100:101], v[114:115] op_sel:[0,0,1] op_sel_hi:[1,0,0]
	s_delay_alu instid0(VALU_DEP_1) | instskip(SKIP_1) | instid1(VALU_DEP_1)
	v_mov_b32_e32 v117, v111
	v_pk_mul_f32 v[110:111], v[112:113], v[102:103] op_sel:[0,1]
	v_pk_fma_f32 v[114:115], v[112:113], v[100:101], v[110:111] op_sel:[0,0,1] op_sel_hi:[1,1,0] neg_lo:[0,0,1] neg_hi:[0,0,1]
	v_pk_fma_f32 v[110:111], v[112:113], v[100:101], v[110:111] op_sel:[0,0,1] op_sel_hi:[1,0,0]
	s_delay_alu instid0(VALU_DEP_1)
	v_mov_b32_e32 v115, v111
	ds_load_2addr_b64 v[110:113], v104 offset0:36 offset1:37
	v_pk_add_f32 v[16:17], v[16:17], v[116:117] neg_lo:[0,1] neg_hi:[0,1]
	v_pk_add_f32 v[14:15], v[14:15], v[114:115] neg_lo:[0,1] neg_hi:[0,1]
	s_wait_dscnt 0x0
	v_pk_mul_f32 v[114:115], v[110:111], v[102:103] op_sel:[0,1]
	s_delay_alu instid0(VALU_DEP_1) | instskip(SKIP_1) | instid1(VALU_DEP_1)
	v_pk_fma_f32 v[116:117], v[110:111], v[100:101], v[114:115] op_sel:[0,0,1] op_sel_hi:[1,1,0] neg_lo:[0,0,1] neg_hi:[0,0,1]
	v_pk_fma_f32 v[110:111], v[110:111], v[100:101], v[114:115] op_sel:[0,0,1] op_sel_hi:[1,0,0]
	v_mov_b32_e32 v117, v111
	v_pk_mul_f32 v[110:111], v[112:113], v[102:103] op_sel:[0,1]
	s_delay_alu instid0(VALU_DEP_1) | instskip(SKIP_1) | instid1(VALU_DEP_1)
	v_pk_fma_f32 v[114:115], v[112:113], v[100:101], v[110:111] op_sel:[0,0,1] op_sel_hi:[1,1,0] neg_lo:[0,0,1] neg_hi:[0,0,1]
	v_pk_fma_f32 v[110:111], v[112:113], v[100:101], v[110:111] op_sel:[0,0,1] op_sel_hi:[1,0,0]
	v_mov_b32_e32 v115, v111
	ds_load_2addr_b64 v[110:113], v104 offset0:38 offset1:39
	v_pk_add_f32 v[56:57], v[56:57], v[116:117] neg_lo:[0,1] neg_hi:[0,1]
	v_pk_add_f32 v[54:55], v[54:55], v[114:115] neg_lo:[0,1] neg_hi:[0,1]
	s_wait_dscnt 0x0
	v_dual_mul_f32 v114, v111, v103 :: v_dual_mul_f32 v116, v111, v100
	s_delay_alu instid0(VALU_DEP_1) | instskip(NEXT) | instid1(VALU_DEP_2)
	v_pk_fma_f32 v[114:115], v[110:111], v[42:43], v[114:115] op_sel_hi:[1,1,0] neg_lo:[0,0,1] neg_hi:[0,0,1]
	v_pk_fma_f32 v[110:111], v[110:111], v[42:43], v[116:117] op_sel:[1,0,0] op_sel_hi:[0,1,0]
	s_delay_alu instid0(VALU_DEP_1) | instskip(SKIP_1) | instid1(VALU_DEP_2)
	v_mov_b32_e32 v115, v111
	v_pk_mul_f32 v[110:111], v[112:113], v[102:103] op_sel:[0,1]
	v_pk_add_f32 v[10:11], v[10:11], v[114:115] neg_lo:[0,1] neg_hi:[0,1]
	s_delay_alu instid0(VALU_DEP_2) | instskip(SKIP_1) | instid1(VALU_DEP_1)
	v_pk_fma_f32 v[114:115], v[112:113], v[100:101], v[110:111] op_sel:[0,0,1] op_sel_hi:[1,1,0] neg_lo:[0,0,1] neg_hi:[0,0,1]
	v_pk_fma_f32 v[110:111], v[112:113], v[100:101], v[110:111] op_sel:[0,0,1] op_sel_hi:[1,0,0]
	v_mov_b32_e32 v115, v111
	ds_load_2addr_b64 v[110:113], v104 offset0:40 offset1:41
	v_pk_add_f32 v[6:7], v[6:7], v[114:115] neg_lo:[0,1] neg_hi:[0,1]
	s_wait_dscnt 0x0
	v_pk_mul_f32 v[114:115], v[110:111], v[102:103] op_sel:[0,1]
	s_delay_alu instid0(VALU_DEP_1) | instskip(SKIP_1) | instid1(VALU_DEP_1)
	v_pk_fma_f32 v[116:117], v[110:111], v[100:101], v[114:115] op_sel:[0,0,1] op_sel_hi:[1,1,0] neg_lo:[0,0,1] neg_hi:[0,0,1]
	v_pk_fma_f32 v[110:111], v[110:111], v[100:101], v[114:115] op_sel:[0,0,1] op_sel_hi:[1,0,0]
	v_mov_b32_e32 v117, v111
	v_pk_mul_f32 v[110:111], v[112:113], v[102:103] op_sel:[0,1]
	s_delay_alu instid0(VALU_DEP_2) | instskip(NEXT) | instid1(VALU_DEP_2)
	v_pk_add_f32 v[52:53], v[52:53], v[116:117] neg_lo:[0,1] neg_hi:[0,1]
	v_pk_fma_f32 v[114:115], v[112:113], v[100:101], v[110:111] op_sel:[0,0,1] op_sel_hi:[1,1,0] neg_lo:[0,0,1] neg_hi:[0,0,1]
	v_pk_fma_f32 v[110:111], v[112:113], v[100:101], v[110:111] op_sel:[0,0,1] op_sel_hi:[1,0,0]
	s_delay_alu instid0(VALU_DEP_1) | instskip(SKIP_4) | instid1(VALU_DEP_1)
	v_mov_b32_e32 v115, v111
	ds_load_2addr_b64 v[110:113], v104 offset0:42 offset1:43
	v_pk_add_f32 v[50:51], v[50:51], v[114:115] neg_lo:[0,1] neg_hi:[0,1]
	s_wait_dscnt 0x0
	v_pk_mul_f32 v[114:115], v[110:111], v[102:103] op_sel:[0,1]
	v_pk_fma_f32 v[116:117], v[110:111], v[100:101], v[114:115] op_sel:[0,0,1] op_sel_hi:[1,1,0] neg_lo:[0,0,1] neg_hi:[0,0,1]
	v_pk_fma_f32 v[110:111], v[110:111], v[100:101], v[114:115] op_sel:[0,0,1] op_sel_hi:[1,0,0]
	v_dual_mul_f32 v114, v113, v103 :: v_dual_mov_b32 v110, v113
	s_delay_alu instid0(VALU_DEP_2) | instskip(NEXT) | instid1(VALU_DEP_2)
	v_dual_mov_b32 v117, v111 :: v_dual_mov_b32 v111, v112
	v_pk_fma_f32 v[114:115], v[112:113], v[42:43], v[114:115] op_sel_hi:[1,1,0] neg_lo:[0,0,1] neg_hi:[0,0,1]
	v_mul_f32_e32 v112, v113, v100
	s_delay_alu instid0(VALU_DEP_3) | instskip(NEXT) | instid1(VALU_DEP_2)
	v_pk_add_f32 v[8:9], v[8:9], v[116:117] neg_lo:[0,1] neg_hi:[0,1]
	v_pk_fma_f32 v[110:111], v[110:111], v[42:43], v[112:113] op_sel_hi:[1,1,0]
	s_delay_alu instid0(VALU_DEP_1) | instskip(SKIP_4) | instid1(VALU_DEP_1)
	v_mov_b32_e32 v115, v111
	ds_load_2addr_b64 v[110:113], v104 offset0:44 offset1:45
	v_pk_add_f32 v[40:41], v[40:41], v[114:115] neg_lo:[0,1] neg_hi:[0,1]
	s_wait_dscnt 0x0
	v_pk_mul_f32 v[114:115], v[110:111], v[102:103] op_sel:[0,1]
	v_pk_fma_f32 v[116:117], v[110:111], v[100:101], v[114:115] op_sel:[0,0,1] op_sel_hi:[1,1,0] neg_lo:[0,0,1] neg_hi:[0,0,1]
	v_pk_fma_f32 v[110:111], v[110:111], v[100:101], v[114:115] op_sel:[0,0,1] op_sel_hi:[1,0,0]
	s_delay_alu instid0(VALU_DEP_1) | instskip(SKIP_1) | instid1(VALU_DEP_1)
	v_mov_b32_e32 v117, v111
	v_pk_mul_f32 v[110:111], v[112:113], v[102:103] op_sel:[0,1]
	v_pk_fma_f32 v[114:115], v[112:113], v[100:101], v[110:111] op_sel:[0,0,1] op_sel_hi:[1,1,0] neg_lo:[0,0,1] neg_hi:[0,0,1]
	v_pk_fma_f32 v[110:111], v[112:113], v[100:101], v[110:111] op_sel:[0,0,1] op_sel_hi:[1,0,0]
	s_delay_alu instid0(VALU_DEP_1)
	v_mov_b32_e32 v115, v111
	ds_load_b64 v[110:111], v104 offset:368
	v_pk_add_f32 v[30:31], v[30:31], v[116:117] neg_lo:[0,1] neg_hi:[0,1]
	v_pk_add_f32 v[12:13], v[12:13], v[114:115] neg_lo:[0,1] neg_hi:[0,1]
	s_wait_dscnt 0x0
	v_pk_mul_f32 v[102:103], v[110:111], v[102:103] op_sel:[0,1]
	s_delay_alu instid0(VALU_DEP_1) | instskip(SKIP_1) | instid1(VALU_DEP_1)
	v_pk_fma_f32 v[112:113], v[110:111], v[100:101], v[102:103] op_sel:[0,0,1] op_sel_hi:[1,1,0] neg_lo:[0,0,1] neg_hi:[0,0,1]
	v_pk_fma_f32 v[100:101], v[110:111], v[100:101], v[102:103] op_sel:[0,0,1] op_sel_hi:[1,0,0]
	v_mov_b32_e32 v113, v101
	s_delay_alu instid0(VALU_DEP_1)
	v_pk_add_f32 v[98:99], v[98:99], v[112:113] neg_lo:[0,1] neg_hi:[0,1]
.LBB92_419:
	s_or_b32 exec_lo, exec_lo, s0
	v_lshl_add_u32 v100, v108, 3, v104
	s_barrier_signal -1
	s_barrier_wait -1
	ds_store_b64 v100, v[80:81]
	s_wait_dscnt 0x0
	s_barrier_signal -1
	s_barrier_wait -1
	ds_load_b64 v[102:103], v104 offset:160
	v_mov_b32_e32 v100, 20
	s_cmp_lt_i32 s18, 22
	s_cbranch_scc1 .LBB92_422
; %bb.420:
	v_add3_u32 v101, v105, 0, 0xa8
	v_mov_b32_e32 v100, 20
	s_mov_b32 s0, 21
.LBB92_421:                             ; =>This Inner Loop Header: Depth=1
	ds_load_b64 v[110:111], v101
	s_wait_dscnt 0x1
	v_cmp_gt_f32_e32 vcc_lo, 0, v102
	v_cndmask_b32_e64 v112, v102, -v102, vcc_lo
	v_cmp_gt_f32_e32 vcc_lo, 0, v103
	v_cndmask_b32_e64 v114, v103, -v103, vcc_lo
	s_wait_dscnt 0x0
	v_cmp_gt_f32_e32 vcc_lo, 0, v110
	v_cndmask_b32_e64 v113, v110, -v110, vcc_lo
	v_cmp_gt_f32_e32 vcc_lo, 0, v111
	v_cndmask_b32_e64 v115, v111, -v111, vcc_lo
	s_delay_alu instid0(VALU_DEP_1) | instskip(NEXT) | instid1(VALU_DEP_1)
	v_pk_add_f32 v[112:113], v[112:113], v[114:115]
	v_cmp_lt_f32_e32 vcc_lo, v112, v113
	v_dual_add_nc_u32 v101, 8, v101 :: v_dual_cndmask_b32 v103, v103, v111, vcc_lo
	v_cndmask_b32_e32 v102, v102, v110, vcc_lo
	v_cndmask_b32_e64 v100, v100, s0, vcc_lo
	s_add_co_i32 s0, s0, 1
	s_delay_alu instid0(SALU_CYCLE_1)
	s_cmp_lg_u32 s18, s0
	s_cbranch_scc1 .LBB92_421
.LBB92_422:
	s_wait_dscnt 0x0
	v_cmp_eq_f32_e32 vcc_lo, 0, v102
	v_cmp_eq_f32_e64 s0, 0, v103
	s_and_b32 s0, vcc_lo, s0
	s_delay_alu instid0(SALU_CYCLE_1) | instskip(NEXT) | instid1(SALU_CYCLE_1)
	s_and_saveexec_b32 s1, s0
	s_xor_b32 s0, exec_lo, s1
; %bb.423:
	v_cmp_ne_u32_e32 vcc_lo, 0, v106
	v_cndmask_b32_e32 v106, 21, v106, vcc_lo
; %bb.424:
	s_and_not1_saveexec_b32 s0, s0
	s_cbranch_execz .LBB92_430
; %bb.425:
	v_cmp_ngt_f32_e64 s1, |v102|, |v103|
	s_and_saveexec_b32 s12, s1
	s_delay_alu instid0(SALU_CYCLE_1)
	s_xor_b32 s1, exec_lo, s12
	s_cbranch_execz .LBB92_427
; %bb.426:
	v_div_scale_f32 v101, null, v103, v103, v102
	v_div_scale_f32 v111, vcc_lo, v102, v103, v102
	s_delay_alu instid0(VALU_DEP_2) | instskip(SKIP_1) | instid1(TRANS32_DEP_1)
	v_rcp_f32_e32 v109, v101
	v_nop
	v_fma_f32 v110, -v101, v109, 1.0
	s_delay_alu instid0(VALU_DEP_1) | instskip(NEXT) | instid1(VALU_DEP_1)
	v_fmac_f32_e32 v109, v110, v109
	v_mul_f32_e32 v110, v111, v109
	s_delay_alu instid0(VALU_DEP_1) | instskip(NEXT) | instid1(VALU_DEP_1)
	v_fma_f32 v112, -v101, v110, v111
	v_fmac_f32_e32 v110, v112, v109
	s_delay_alu instid0(VALU_DEP_1) | instskip(NEXT) | instid1(VALU_DEP_1)
	v_fma_f32 v101, -v101, v110, v111
	v_div_fmas_f32 v101, v101, v109, v110
	s_delay_alu instid0(VALU_DEP_1) | instskip(NEXT) | instid1(VALU_DEP_1)
	v_div_fixup_f32 v101, v101, v103, v102
	v_fmac_f32_e32 v103, v102, v101
	s_delay_alu instid0(VALU_DEP_1) | instskip(SKIP_1) | instid1(VALU_DEP_2)
	v_div_scale_f32 v102, null, v103, v103, 1.0
	v_div_scale_f32 v111, vcc_lo, 1.0, v103, 1.0
	v_rcp_f32_e32 v109, v102
	v_nop
	s_delay_alu instid0(TRANS32_DEP_1) | instskip(NEXT) | instid1(VALU_DEP_1)
	v_fma_f32 v110, -v102, v109, 1.0
	v_fmac_f32_e32 v109, v110, v109
	s_delay_alu instid0(VALU_DEP_1) | instskip(NEXT) | instid1(VALU_DEP_1)
	v_mul_f32_e32 v110, v111, v109
	v_fma_f32 v112, -v102, v110, v111
	s_delay_alu instid0(VALU_DEP_1) | instskip(NEXT) | instid1(VALU_DEP_1)
	v_fmac_f32_e32 v110, v112, v109
	v_fma_f32 v102, -v102, v110, v111
	s_delay_alu instid0(VALU_DEP_1) | instskip(NEXT) | instid1(VALU_DEP_1)
	v_div_fmas_f32 v102, v102, v109, v110
	v_div_fixup_f32 v103, v102, v103, 1.0
	s_delay_alu instid0(VALU_DEP_1)
	v_mul_f32_e32 v102, v101, v103
	v_xor_b32_e32 v103, 0x80000000, v103
.LBB92_427:
	s_and_not1_saveexec_b32 s1, s1
	s_cbranch_execz .LBB92_429
; %bb.428:
	s_delay_alu instid0(VALU_DEP_1) | instskip(SKIP_1) | instid1(VALU_DEP_2)
	v_div_scale_f32 v101, null, v102, v102, v103
	v_div_scale_f32 v111, vcc_lo, v103, v102, v103
	v_rcp_f32_e32 v109, v101
	v_nop
	s_delay_alu instid0(TRANS32_DEP_1) | instskip(NEXT) | instid1(VALU_DEP_1)
	v_fma_f32 v110, -v101, v109, 1.0
	v_fmac_f32_e32 v109, v110, v109
	s_delay_alu instid0(VALU_DEP_1) | instskip(NEXT) | instid1(VALU_DEP_1)
	v_mul_f32_e32 v110, v111, v109
	v_fma_f32 v112, -v101, v110, v111
	s_delay_alu instid0(VALU_DEP_1) | instskip(NEXT) | instid1(VALU_DEP_1)
	v_fmac_f32_e32 v110, v112, v109
	v_fma_f32 v101, -v101, v110, v111
	s_delay_alu instid0(VALU_DEP_1) | instskip(NEXT) | instid1(VALU_DEP_1)
	v_div_fmas_f32 v101, v101, v109, v110
	v_div_fixup_f32 v101, v101, v102, v103
	s_delay_alu instid0(VALU_DEP_1) | instskip(NEXT) | instid1(VALU_DEP_1)
	v_fmac_f32_e32 v102, v103, v101
	v_div_scale_f32 v103, null, v102, v102, 1.0
	s_delay_alu instid0(VALU_DEP_1) | instskip(SKIP_1) | instid1(TRANS32_DEP_1)
	v_rcp_f32_e32 v109, v103
	v_nop
	v_fma_f32 v110, -v103, v109, 1.0
	s_delay_alu instid0(VALU_DEP_1) | instskip(SKIP_1) | instid1(VALU_DEP_1)
	v_fmac_f32_e32 v109, v110, v109
	v_div_scale_f32 v110, vcc_lo, 1.0, v102, 1.0
	v_mul_f32_e32 v111, v110, v109
	s_delay_alu instid0(VALU_DEP_1) | instskip(NEXT) | instid1(VALU_DEP_1)
	v_fma_f32 v112, -v103, v111, v110
	v_fmac_f32_e32 v111, v112, v109
	s_delay_alu instid0(VALU_DEP_1) | instskip(NEXT) | instid1(VALU_DEP_1)
	v_fma_f32 v103, -v103, v111, v110
	v_div_fmas_f32 v103, v103, v109, v111
	s_delay_alu instid0(VALU_DEP_1) | instskip(NEXT) | instid1(VALU_DEP_1)
	v_div_fixup_f32 v102, v103, v102, 1.0
	v_mul_f32_e64 v103, v101, -v102
.LBB92_429:
	s_or_b32 exec_lo, exec_lo, s1
.LBB92_430:
	s_delay_alu instid0(SALU_CYCLE_1) | instskip(NEXT) | instid1(SALU_CYCLE_1)
	s_or_b32 exec_lo, exec_lo, s0
	s_mov_b32 s0, exec_lo
	v_cmpx_ne_u32_e64 v108, v100
	s_xor_b32 s0, exec_lo, s0
	s_cbranch_execz .LBB92_436
; %bb.431:
	s_mov_b32 s1, exec_lo
	v_cmpx_eq_u32_e32 20, v108
	s_cbranch_execz .LBB92_435
; %bb.432:
	v_cmp_ne_u32_e32 vcc_lo, 20, v100
	s_xor_b32 s12, s16, -1
	s_delay_alu instid0(SALU_CYCLE_1) | instskip(NEXT) | instid1(SALU_CYCLE_1)
	s_and_b32 s13, s12, vcc_lo
	s_and_saveexec_b32 s12, s13
	s_cbranch_execz .LBB92_434
; %bb.433:
	v_ashrrev_i32_e32 v101, 31, v100
	s_delay_alu instid0(VALU_DEP_1)
	v_lshl_add_u64 v[108:109], v[100:101], 2, v[4:5]
	s_clause 0x1
	global_load_b32 v101, v[108:109], off
	global_load_b32 v107, v[4:5], off offset:80
	s_wait_loadcnt 0x1
	global_store_b32 v[4:5], v101, off offset:80
	s_wait_loadcnt 0x0
	global_store_b32 v[108:109], v107, off
.LBB92_434:
	s_wait_xcnt 0x0
	s_or_b32 exec_lo, exec_lo, s12
	v_dual_mov_b32 v108, v100 :: v_dual_mov_b32 v107, v100
.LBB92_435:
	s_or_b32 exec_lo, exec_lo, s1
.LBB92_436:
	s_and_not1_saveexec_b32 s0, s0
	s_cbranch_execz .LBB92_438
; %bb.437:
	v_mov_b32_e32 v108, 20
	ds_store_2addr_b64 v104, v[78:79], v[38:39] offset0:21 offset1:22
	ds_store_2addr_b64 v104, v[36:37], v[70:71] offset0:23 offset1:24
	;; [unrolled: 1-line block ×13, first 2 shown]
.LBB92_438:
	s_or_b32 exec_lo, exec_lo, s0
	s_delay_alu instid0(SALU_CYCLE_1)
	s_mov_b32 s0, exec_lo
	s_wait_storecnt_dscnt 0x0
	s_barrier_signal -1
	s_barrier_wait -1
	v_cmpx_lt_i32_e32 20, v108
	s_cbranch_execz .LBB92_440
; %bb.439:
	v_pk_mul_f32 v[110:111], v[102:103], v[80:81] op_sel:[1,1] op_sel_hi:[0,1]
	s_delay_alu instid0(VALU_DEP_1)
	v_pk_fma_f32 v[100:101], v[102:103], v[80:81], v[110:111] op_sel_hi:[1,0,1] neg_lo:[0,0,1] neg_hi:[0,0,1]
	v_pk_fma_f32 v[102:103], v[102:103], v[80:81], v[110:111] op_sel_hi:[1,0,1]
	ds_load_2addr_b64 v[110:113], v104 offset0:21 offset1:22
	v_dual_mov_b32 v80, v100 :: v_dual_mov_b32 v81, v103
	s_wait_dscnt 0x0
	v_pk_mul_f32 v[114:115], v[110:111], v[102:103] op_sel:[0,1]
	s_delay_alu instid0(VALU_DEP_1) | instskip(SKIP_1) | instid1(VALU_DEP_1)
	v_pk_fma_f32 v[116:117], v[110:111], v[100:101], v[114:115] op_sel:[0,0,1] op_sel_hi:[1,1,0] neg_lo:[0,0,1] neg_hi:[0,0,1]
	v_pk_fma_f32 v[110:111], v[110:111], v[100:101], v[114:115] op_sel:[0,0,1] op_sel_hi:[1,0,0]
	v_mov_b32_e32 v117, v111
	v_pk_mul_f32 v[110:111], v[112:113], v[102:103] op_sel:[0,1]
	s_delay_alu instid0(VALU_DEP_1) | instskip(SKIP_1) | instid1(VALU_DEP_1)
	v_pk_fma_f32 v[114:115], v[112:113], v[100:101], v[110:111] op_sel:[0,0,1] op_sel_hi:[1,1,0] neg_lo:[0,0,1] neg_hi:[0,0,1]
	v_pk_fma_f32 v[110:111], v[112:113], v[100:101], v[110:111] op_sel:[0,0,1] op_sel_hi:[1,0,0]
	v_mov_b32_e32 v115, v111
	ds_load_2addr_b64 v[110:113], v104 offset0:23 offset1:24
	v_pk_add_f32 v[78:79], v[78:79], v[116:117] neg_lo:[0,1] neg_hi:[0,1]
	v_pk_add_f32 v[38:39], v[38:39], v[114:115] neg_lo:[0,1] neg_hi:[0,1]
	s_wait_dscnt 0x0
	v_pk_mul_f32 v[114:115], v[110:111], v[102:103] op_sel:[0,1]
	s_delay_alu instid0(VALU_DEP_1) | instskip(SKIP_2) | instid1(VALU_DEP_2)
	v_pk_fma_f32 v[116:117], v[110:111], v[100:101], v[114:115] op_sel:[0,0,1] op_sel_hi:[1,1,0] neg_lo:[0,0,1] neg_hi:[0,0,1]
	v_pk_fma_f32 v[110:111], v[110:111], v[100:101], v[114:115] op_sel:[0,0,1] op_sel_hi:[1,0,0]
	v_dual_mul_f32 v114, v113, v103 :: v_dual_mov_b32 v110, v113
	v_dual_mov_b32 v117, v111 :: v_dual_mov_b32 v111, v112
	s_delay_alu instid0(VALU_DEP_2) | instskip(SKIP_1) | instid1(VALU_DEP_3)
	v_pk_fma_f32 v[114:115], v[112:113], v[80:81], v[114:115] op_sel_hi:[1,1,0] neg_lo:[0,0,1] neg_hi:[0,0,1]
	v_mul_f32_e32 v112, v113, v100
	v_pk_add_f32 v[36:37], v[36:37], v[116:117] neg_lo:[0,1] neg_hi:[0,1]
	s_delay_alu instid0(VALU_DEP_2) | instskip(NEXT) | instid1(VALU_DEP_1)
	v_pk_fma_f32 v[110:111], v[110:111], v[80:81], v[112:113] op_sel_hi:[1,1,0]
	v_mov_b32_e32 v115, v111
	ds_load_2addr_b64 v[110:113], v104 offset0:25 offset1:26
	v_pk_add_f32 v[70:71], v[70:71], v[114:115] neg_lo:[0,1] neg_hi:[0,1]
	s_wait_dscnt 0x0
	v_pk_mul_f32 v[114:115], v[110:111], v[102:103] op_sel:[0,1]
	s_delay_alu instid0(VALU_DEP_1) | instskip(SKIP_1) | instid1(VALU_DEP_1)
	v_pk_fma_f32 v[116:117], v[110:111], v[100:101], v[114:115] op_sel:[0,0,1] op_sel_hi:[1,1,0] neg_lo:[0,0,1] neg_hi:[0,0,1]
	v_pk_fma_f32 v[110:111], v[110:111], v[100:101], v[114:115] op_sel:[0,0,1] op_sel_hi:[1,0,0]
	v_mov_b32_e32 v117, v111
	v_pk_mul_f32 v[110:111], v[112:113], v[102:103] op_sel:[0,1]
	s_delay_alu instid0(VALU_DEP_1) | instskip(SKIP_1) | instid1(VALU_DEP_1)
	v_pk_fma_f32 v[114:115], v[112:113], v[100:101], v[110:111] op_sel:[0,0,1] op_sel_hi:[1,1,0] neg_lo:[0,0,1] neg_hi:[0,0,1]
	v_pk_fma_f32 v[110:111], v[112:113], v[100:101], v[110:111] op_sel:[0,0,1] op_sel_hi:[1,0,0]
	v_mov_b32_e32 v115, v111
	ds_load_2addr_b64 v[110:113], v104 offset0:27 offset1:28
	v_pk_add_f32 v[66:67], v[66:67], v[116:117] neg_lo:[0,1] neg_hi:[0,1]
	v_pk_add_f32 v[26:27], v[26:27], v[114:115] neg_lo:[0,1] neg_hi:[0,1]
	s_wait_dscnt 0x0
	v_pk_mul_f32 v[114:115], v[110:111], v[102:103] op_sel:[0,1]
	s_delay_alu instid0(VALU_DEP_1) | instskip(SKIP_1) | instid1(VALU_DEP_1)
	v_pk_fma_f32 v[116:117], v[110:111], v[100:101], v[114:115] op_sel:[0,0,1] op_sel_hi:[1,1,0] neg_lo:[0,0,1] neg_hi:[0,0,1]
	v_pk_fma_f32 v[110:111], v[110:111], v[100:101], v[114:115] op_sel:[0,0,1] op_sel_hi:[1,0,0]
	v_mov_b32_e32 v117, v111
	v_pk_mul_f32 v[110:111], v[112:113], v[102:103] op_sel:[0,1]
	s_delay_alu instid0(VALU_DEP_1) | instskip(SKIP_1) | instid1(VALU_DEP_1)
	v_pk_fma_f32 v[114:115], v[112:113], v[100:101], v[110:111] op_sel:[0,0,1] op_sel_hi:[1,1,0] neg_lo:[0,0,1] neg_hi:[0,0,1]
	v_pk_fma_f32 v[110:111], v[112:113], v[100:101], v[110:111] op_sel:[0,0,1] op_sel_hi:[1,0,0]
	v_mov_b32_e32 v115, v111
	ds_load_2addr_b64 v[110:113], v104 offset0:29 offset1:30
	v_pk_add_f32 v[22:23], v[22:23], v[116:117] neg_lo:[0,1] neg_hi:[0,1]
	v_pk_add_f32 v[64:65], v[64:65], v[114:115] neg_lo:[0,1] neg_hi:[0,1]
	s_wait_dscnt 0x0
	v_dual_mul_f32 v114, v111, v103 :: v_dual_mul_f32 v116, v111, v100
	s_delay_alu instid0(VALU_DEP_1) | instskip(NEXT) | instid1(VALU_DEP_2)
	v_pk_fma_f32 v[114:115], v[110:111], v[80:81], v[114:115] op_sel_hi:[1,1,0] neg_lo:[0,0,1] neg_hi:[0,0,1]
	v_pk_fma_f32 v[110:111], v[110:111], v[80:81], v[116:117] op_sel:[1,0,0] op_sel_hi:[0,1,0]
	s_delay_alu instid0(VALU_DEP_1) | instskip(SKIP_1) | instid1(VALU_DEP_2)
	v_mov_b32_e32 v115, v111
	v_pk_mul_f32 v[110:111], v[112:113], v[102:103] op_sel:[0,1]
	v_pk_add_f32 v[62:63], v[62:63], v[114:115] neg_lo:[0,1] neg_hi:[0,1]
	s_delay_alu instid0(VALU_DEP_2) | instskip(SKIP_1) | instid1(VALU_DEP_1)
	v_pk_fma_f32 v[114:115], v[112:113], v[100:101], v[110:111] op_sel:[0,0,1] op_sel_hi:[1,1,0] neg_lo:[0,0,1] neg_hi:[0,0,1]
	v_pk_fma_f32 v[110:111], v[112:113], v[100:101], v[110:111] op_sel:[0,0,1] op_sel_hi:[1,0,0]
	v_mov_b32_e32 v115, v111
	ds_load_2addr_b64 v[110:113], v104 offset0:31 offset1:32
	v_pk_add_f32 v[20:21], v[20:21], v[114:115] neg_lo:[0,1] neg_hi:[0,1]
	s_wait_dscnt 0x0
	v_pk_mul_f32 v[114:115], v[110:111], v[102:103] op_sel:[0,1]
	s_delay_alu instid0(VALU_DEP_1) | instskip(SKIP_1) | instid1(VALU_DEP_1)
	v_pk_fma_f32 v[116:117], v[110:111], v[100:101], v[114:115] op_sel:[0,0,1] op_sel_hi:[1,1,0] neg_lo:[0,0,1] neg_hi:[0,0,1]
	v_pk_fma_f32 v[110:111], v[110:111], v[100:101], v[114:115] op_sel:[0,0,1] op_sel_hi:[1,0,0]
	v_mov_b32_e32 v117, v111
	v_pk_mul_f32 v[110:111], v[112:113], v[102:103] op_sel:[0,1]
	s_delay_alu instid0(VALU_DEP_2) | instskip(NEXT) | instid1(VALU_DEP_2)
	v_pk_add_f32 v[18:19], v[18:19], v[116:117] neg_lo:[0,1] neg_hi:[0,1]
	v_pk_fma_f32 v[114:115], v[112:113], v[100:101], v[110:111] op_sel:[0,0,1] op_sel_hi:[1,1,0] neg_lo:[0,0,1] neg_hi:[0,0,1]
	v_pk_fma_f32 v[110:111], v[112:113], v[100:101], v[110:111] op_sel:[0,0,1] op_sel_hi:[1,0,0]
	s_delay_alu instid0(VALU_DEP_1) | instskip(SKIP_4) | instid1(VALU_DEP_1)
	v_mov_b32_e32 v115, v111
	ds_load_2addr_b64 v[110:113], v104 offset0:33 offset1:34
	v_pk_add_f32 v[60:61], v[60:61], v[114:115] neg_lo:[0,1] neg_hi:[0,1]
	s_wait_dscnt 0x0
	v_pk_mul_f32 v[114:115], v[110:111], v[102:103] op_sel:[0,1]
	v_pk_fma_f32 v[116:117], v[110:111], v[100:101], v[114:115] op_sel:[0,0,1] op_sel_hi:[1,1,0] neg_lo:[0,0,1] neg_hi:[0,0,1]
	v_pk_fma_f32 v[110:111], v[110:111], v[100:101], v[114:115] op_sel:[0,0,1] op_sel_hi:[1,0,0]
	v_dual_mul_f32 v114, v113, v103 :: v_dual_mov_b32 v110, v113
	s_delay_alu instid0(VALU_DEP_2) | instskip(NEXT) | instid1(VALU_DEP_2)
	v_dual_mov_b32 v117, v111 :: v_dual_mov_b32 v111, v112
	v_pk_fma_f32 v[114:115], v[112:113], v[80:81], v[114:115] op_sel_hi:[1,1,0] neg_lo:[0,0,1] neg_hi:[0,0,1]
	v_mul_f32_e32 v112, v113, v100
	s_delay_alu instid0(VALU_DEP_3) | instskip(NEXT) | instid1(VALU_DEP_2)
	v_pk_add_f32 v[58:59], v[58:59], v[116:117] neg_lo:[0,1] neg_hi:[0,1]
	v_pk_fma_f32 v[110:111], v[110:111], v[80:81], v[112:113] op_sel_hi:[1,1,0]
	s_delay_alu instid0(VALU_DEP_1) | instskip(SKIP_4) | instid1(VALU_DEP_1)
	v_mov_b32_e32 v115, v111
	ds_load_2addr_b64 v[110:113], v104 offset0:35 offset1:36
	v_pk_add_f32 v[16:17], v[16:17], v[114:115] neg_lo:[0,1] neg_hi:[0,1]
	s_wait_dscnt 0x0
	v_pk_mul_f32 v[114:115], v[110:111], v[102:103] op_sel:[0,1]
	v_pk_fma_f32 v[116:117], v[110:111], v[100:101], v[114:115] op_sel:[0,0,1] op_sel_hi:[1,1,0] neg_lo:[0,0,1] neg_hi:[0,0,1]
	v_pk_fma_f32 v[110:111], v[110:111], v[100:101], v[114:115] op_sel:[0,0,1] op_sel_hi:[1,0,0]
	s_delay_alu instid0(VALU_DEP_1) | instskip(SKIP_1) | instid1(VALU_DEP_1)
	v_mov_b32_e32 v117, v111
	v_pk_mul_f32 v[110:111], v[112:113], v[102:103] op_sel:[0,1]
	v_pk_fma_f32 v[114:115], v[112:113], v[100:101], v[110:111] op_sel:[0,0,1] op_sel_hi:[1,1,0] neg_lo:[0,0,1] neg_hi:[0,0,1]
	v_pk_fma_f32 v[110:111], v[112:113], v[100:101], v[110:111] op_sel:[0,0,1] op_sel_hi:[1,0,0]
	s_delay_alu instid0(VALU_DEP_1)
	v_mov_b32_e32 v115, v111
	ds_load_2addr_b64 v[110:113], v104 offset0:37 offset1:38
	v_pk_add_f32 v[14:15], v[14:15], v[116:117] neg_lo:[0,1] neg_hi:[0,1]
	v_pk_add_f32 v[56:57], v[56:57], v[114:115] neg_lo:[0,1] neg_hi:[0,1]
	s_wait_dscnt 0x0
	v_pk_mul_f32 v[114:115], v[110:111], v[102:103] op_sel:[0,1]
	s_delay_alu instid0(VALU_DEP_1) | instskip(SKIP_1) | instid1(VALU_DEP_1)
	v_pk_fma_f32 v[116:117], v[110:111], v[100:101], v[114:115] op_sel:[0,0,1] op_sel_hi:[1,1,0] neg_lo:[0,0,1] neg_hi:[0,0,1]
	v_pk_fma_f32 v[110:111], v[110:111], v[100:101], v[114:115] op_sel:[0,0,1] op_sel_hi:[1,0,0]
	v_mov_b32_e32 v117, v111
	v_pk_mul_f32 v[110:111], v[112:113], v[102:103] op_sel:[0,1]
	s_delay_alu instid0(VALU_DEP_1) | instskip(SKIP_1) | instid1(VALU_DEP_1)
	v_pk_fma_f32 v[114:115], v[112:113], v[100:101], v[110:111] op_sel:[0,0,1] op_sel_hi:[1,1,0] neg_lo:[0,0,1] neg_hi:[0,0,1]
	v_pk_fma_f32 v[110:111], v[112:113], v[100:101], v[110:111] op_sel:[0,0,1] op_sel_hi:[1,0,0]
	v_mov_b32_e32 v115, v111
	ds_load_2addr_b64 v[110:113], v104 offset0:39 offset1:40
	v_pk_add_f32 v[54:55], v[54:55], v[116:117] neg_lo:[0,1] neg_hi:[0,1]
	v_pk_add_f32 v[10:11], v[10:11], v[114:115] neg_lo:[0,1] neg_hi:[0,1]
	s_wait_dscnt 0x0
	v_dual_mul_f32 v114, v111, v103 :: v_dual_mul_f32 v116, v111, v100
	s_delay_alu instid0(VALU_DEP_1) | instskip(NEXT) | instid1(VALU_DEP_2)
	v_pk_fma_f32 v[114:115], v[110:111], v[80:81], v[114:115] op_sel_hi:[1,1,0] neg_lo:[0,0,1] neg_hi:[0,0,1]
	v_pk_fma_f32 v[110:111], v[110:111], v[80:81], v[116:117] op_sel:[1,0,0] op_sel_hi:[0,1,0]
	s_delay_alu instid0(VALU_DEP_1) | instskip(SKIP_1) | instid1(VALU_DEP_2)
	v_mov_b32_e32 v115, v111
	v_pk_mul_f32 v[110:111], v[112:113], v[102:103] op_sel:[0,1]
	v_pk_add_f32 v[6:7], v[6:7], v[114:115] neg_lo:[0,1] neg_hi:[0,1]
	s_delay_alu instid0(VALU_DEP_2) | instskip(SKIP_1) | instid1(VALU_DEP_1)
	v_pk_fma_f32 v[114:115], v[112:113], v[100:101], v[110:111] op_sel:[0,0,1] op_sel_hi:[1,1,0] neg_lo:[0,0,1] neg_hi:[0,0,1]
	v_pk_fma_f32 v[110:111], v[112:113], v[100:101], v[110:111] op_sel:[0,0,1] op_sel_hi:[1,0,0]
	v_mov_b32_e32 v115, v111
	ds_load_2addr_b64 v[110:113], v104 offset0:41 offset1:42
	v_pk_add_f32 v[52:53], v[52:53], v[114:115] neg_lo:[0,1] neg_hi:[0,1]
	s_wait_dscnt 0x0
	v_pk_mul_f32 v[114:115], v[110:111], v[102:103] op_sel:[0,1]
	s_delay_alu instid0(VALU_DEP_1) | instskip(SKIP_1) | instid1(VALU_DEP_1)
	v_pk_fma_f32 v[116:117], v[110:111], v[100:101], v[114:115] op_sel:[0,0,1] op_sel_hi:[1,1,0] neg_lo:[0,0,1] neg_hi:[0,0,1]
	v_pk_fma_f32 v[110:111], v[110:111], v[100:101], v[114:115] op_sel:[0,0,1] op_sel_hi:[1,0,0]
	v_mov_b32_e32 v117, v111
	v_pk_mul_f32 v[110:111], v[112:113], v[102:103] op_sel:[0,1]
	s_delay_alu instid0(VALU_DEP_2) | instskip(NEXT) | instid1(VALU_DEP_2)
	v_pk_add_f32 v[50:51], v[50:51], v[116:117] neg_lo:[0,1] neg_hi:[0,1]
	v_pk_fma_f32 v[114:115], v[112:113], v[100:101], v[110:111] op_sel:[0,0,1] op_sel_hi:[1,1,0] neg_lo:[0,0,1] neg_hi:[0,0,1]
	v_pk_fma_f32 v[110:111], v[112:113], v[100:101], v[110:111] op_sel:[0,0,1] op_sel_hi:[1,0,0]
	s_delay_alu instid0(VALU_DEP_1) | instskip(SKIP_4) | instid1(VALU_DEP_1)
	v_mov_b32_e32 v115, v111
	ds_load_2addr_b64 v[110:113], v104 offset0:43 offset1:44
	v_pk_add_f32 v[8:9], v[8:9], v[114:115] neg_lo:[0,1] neg_hi:[0,1]
	s_wait_dscnt 0x0
	v_pk_mul_f32 v[114:115], v[110:111], v[102:103] op_sel:[0,1]
	v_pk_fma_f32 v[116:117], v[110:111], v[100:101], v[114:115] op_sel:[0,0,1] op_sel_hi:[1,1,0] neg_lo:[0,0,1] neg_hi:[0,0,1]
	v_pk_fma_f32 v[110:111], v[110:111], v[100:101], v[114:115] op_sel:[0,0,1] op_sel_hi:[1,0,0]
	v_dual_mul_f32 v114, v113, v103 :: v_dual_mov_b32 v110, v113
	s_delay_alu instid0(VALU_DEP_2) | instskip(NEXT) | instid1(VALU_DEP_2)
	v_dual_mov_b32 v117, v111 :: v_dual_mov_b32 v111, v112
	v_pk_fma_f32 v[114:115], v[112:113], v[80:81], v[114:115] op_sel_hi:[1,1,0] neg_lo:[0,0,1] neg_hi:[0,0,1]
	v_mul_f32_e32 v112, v113, v100
	s_delay_alu instid0(VALU_DEP_3) | instskip(NEXT) | instid1(VALU_DEP_2)
	v_pk_add_f32 v[40:41], v[40:41], v[116:117] neg_lo:[0,1] neg_hi:[0,1]
	v_pk_fma_f32 v[110:111], v[110:111], v[80:81], v[112:113] op_sel_hi:[1,1,0]
	s_delay_alu instid0(VALU_DEP_1)
	v_mov_b32_e32 v115, v111
	ds_load_2addr_b64 v[110:113], v104 offset0:45 offset1:46
	v_pk_add_f32 v[30:31], v[30:31], v[114:115] neg_lo:[0,1] neg_hi:[0,1]
	s_wait_dscnt 0x0
	v_pk_mul_f32 v[114:115], v[110:111], v[102:103] op_sel:[0,1]
	v_pk_mul_f32 v[102:103], v[112:113], v[102:103] op_sel:[0,1]
	s_delay_alu instid0(VALU_DEP_2) | instskip(SKIP_1) | instid1(VALU_DEP_1)
	v_pk_fma_f32 v[116:117], v[110:111], v[100:101], v[114:115] op_sel:[0,0,1] op_sel_hi:[1,1,0] neg_lo:[0,0,1] neg_hi:[0,0,1]
	v_pk_fma_f32 v[110:111], v[110:111], v[100:101], v[114:115] op_sel:[0,0,1] op_sel_hi:[1,0,0]
	v_mov_b32_e32 v117, v111
	s_delay_alu instid0(VALU_DEP_4) | instskip(SKIP_1) | instid1(VALU_DEP_1)
	v_pk_fma_f32 v[110:111], v[112:113], v[100:101], v[102:103] op_sel:[0,0,1] op_sel_hi:[1,1,0] neg_lo:[0,0,1] neg_hi:[0,0,1]
	v_pk_fma_f32 v[100:101], v[112:113], v[100:101], v[102:103] op_sel:[0,0,1] op_sel_hi:[1,0,0]
	v_mov_b32_e32 v111, v101
	s_delay_alu instid0(VALU_DEP_4) | instskip(NEXT) | instid1(VALU_DEP_2)
	v_pk_add_f32 v[12:13], v[12:13], v[116:117] neg_lo:[0,1] neg_hi:[0,1]
	v_pk_add_f32 v[98:99], v[98:99], v[110:111] neg_lo:[0,1] neg_hi:[0,1]
.LBB92_440:
	s_or_b32 exec_lo, exec_lo, s0
	v_lshl_add_u32 v100, v108, 3, v104
	s_barrier_signal -1
	s_barrier_wait -1
	ds_store_b64 v100, v[78:79]
	s_wait_dscnt 0x0
	s_barrier_signal -1
	s_barrier_wait -1
	ds_load_b64 v[102:103], v104 offset:168
	v_mov_b32_e32 v100, 21
	s_cmp_lt_i32 s18, 23
	s_cbranch_scc1 .LBB92_443
; %bb.441:
	v_add3_u32 v101, v105, 0, 0xb0
	v_mov_b32_e32 v100, 21
	s_mov_b32 s0, 22
.LBB92_442:                             ; =>This Inner Loop Header: Depth=1
	ds_load_b64 v[110:111], v101
	s_wait_dscnt 0x1
	v_cmp_gt_f32_e32 vcc_lo, 0, v102
	v_cndmask_b32_e64 v112, v102, -v102, vcc_lo
	v_cmp_gt_f32_e32 vcc_lo, 0, v103
	v_cndmask_b32_e64 v114, v103, -v103, vcc_lo
	s_wait_dscnt 0x0
	v_cmp_gt_f32_e32 vcc_lo, 0, v110
	v_cndmask_b32_e64 v113, v110, -v110, vcc_lo
	v_cmp_gt_f32_e32 vcc_lo, 0, v111
	v_cndmask_b32_e64 v115, v111, -v111, vcc_lo
	s_delay_alu instid0(VALU_DEP_1) | instskip(NEXT) | instid1(VALU_DEP_1)
	v_pk_add_f32 v[112:113], v[112:113], v[114:115]
	v_cmp_lt_f32_e32 vcc_lo, v112, v113
	v_dual_add_nc_u32 v101, 8, v101 :: v_dual_cndmask_b32 v103, v103, v111, vcc_lo
	v_cndmask_b32_e32 v102, v102, v110, vcc_lo
	v_cndmask_b32_e64 v100, v100, s0, vcc_lo
	s_add_co_i32 s0, s0, 1
	s_delay_alu instid0(SALU_CYCLE_1)
	s_cmp_lg_u32 s18, s0
	s_cbranch_scc1 .LBB92_442
.LBB92_443:
	s_wait_dscnt 0x0
	v_cmp_eq_f32_e32 vcc_lo, 0, v102
	v_cmp_eq_f32_e64 s0, 0, v103
	s_and_b32 s0, vcc_lo, s0
	s_delay_alu instid0(SALU_CYCLE_1) | instskip(NEXT) | instid1(SALU_CYCLE_1)
	s_and_saveexec_b32 s1, s0
	s_xor_b32 s0, exec_lo, s1
; %bb.444:
	v_cmp_ne_u32_e32 vcc_lo, 0, v106
	v_cndmask_b32_e32 v106, 22, v106, vcc_lo
; %bb.445:
	s_and_not1_saveexec_b32 s0, s0
	s_cbranch_execz .LBB92_451
; %bb.446:
	v_cmp_ngt_f32_e64 s1, |v102|, |v103|
	s_and_saveexec_b32 s12, s1
	s_delay_alu instid0(SALU_CYCLE_1)
	s_xor_b32 s1, exec_lo, s12
	s_cbranch_execz .LBB92_448
; %bb.447:
	v_div_scale_f32 v101, null, v103, v103, v102
	v_div_scale_f32 v111, vcc_lo, v102, v103, v102
	s_delay_alu instid0(VALU_DEP_2) | instskip(SKIP_1) | instid1(TRANS32_DEP_1)
	v_rcp_f32_e32 v109, v101
	v_nop
	v_fma_f32 v110, -v101, v109, 1.0
	s_delay_alu instid0(VALU_DEP_1) | instskip(NEXT) | instid1(VALU_DEP_1)
	v_fmac_f32_e32 v109, v110, v109
	v_mul_f32_e32 v110, v111, v109
	s_delay_alu instid0(VALU_DEP_1) | instskip(NEXT) | instid1(VALU_DEP_1)
	v_fma_f32 v112, -v101, v110, v111
	v_fmac_f32_e32 v110, v112, v109
	s_delay_alu instid0(VALU_DEP_1) | instskip(NEXT) | instid1(VALU_DEP_1)
	v_fma_f32 v101, -v101, v110, v111
	v_div_fmas_f32 v101, v101, v109, v110
	s_delay_alu instid0(VALU_DEP_1) | instskip(NEXT) | instid1(VALU_DEP_1)
	v_div_fixup_f32 v101, v101, v103, v102
	v_fmac_f32_e32 v103, v102, v101
	s_delay_alu instid0(VALU_DEP_1) | instskip(SKIP_1) | instid1(VALU_DEP_2)
	v_div_scale_f32 v102, null, v103, v103, 1.0
	v_div_scale_f32 v111, vcc_lo, 1.0, v103, 1.0
	v_rcp_f32_e32 v109, v102
	v_nop
	s_delay_alu instid0(TRANS32_DEP_1) | instskip(NEXT) | instid1(VALU_DEP_1)
	v_fma_f32 v110, -v102, v109, 1.0
	v_fmac_f32_e32 v109, v110, v109
	s_delay_alu instid0(VALU_DEP_1) | instskip(NEXT) | instid1(VALU_DEP_1)
	v_mul_f32_e32 v110, v111, v109
	v_fma_f32 v112, -v102, v110, v111
	s_delay_alu instid0(VALU_DEP_1) | instskip(NEXT) | instid1(VALU_DEP_1)
	v_fmac_f32_e32 v110, v112, v109
	v_fma_f32 v102, -v102, v110, v111
	s_delay_alu instid0(VALU_DEP_1) | instskip(NEXT) | instid1(VALU_DEP_1)
	v_div_fmas_f32 v102, v102, v109, v110
	v_div_fixup_f32 v103, v102, v103, 1.0
	s_delay_alu instid0(VALU_DEP_1)
	v_mul_f32_e32 v102, v101, v103
	v_xor_b32_e32 v103, 0x80000000, v103
.LBB92_448:
	s_and_not1_saveexec_b32 s1, s1
	s_cbranch_execz .LBB92_450
; %bb.449:
	s_delay_alu instid0(VALU_DEP_1) | instskip(SKIP_1) | instid1(VALU_DEP_2)
	v_div_scale_f32 v101, null, v102, v102, v103
	v_div_scale_f32 v111, vcc_lo, v103, v102, v103
	v_rcp_f32_e32 v109, v101
	v_nop
	s_delay_alu instid0(TRANS32_DEP_1) | instskip(NEXT) | instid1(VALU_DEP_1)
	v_fma_f32 v110, -v101, v109, 1.0
	v_fmac_f32_e32 v109, v110, v109
	s_delay_alu instid0(VALU_DEP_1) | instskip(NEXT) | instid1(VALU_DEP_1)
	v_mul_f32_e32 v110, v111, v109
	v_fma_f32 v112, -v101, v110, v111
	s_delay_alu instid0(VALU_DEP_1) | instskip(NEXT) | instid1(VALU_DEP_1)
	v_fmac_f32_e32 v110, v112, v109
	v_fma_f32 v101, -v101, v110, v111
	s_delay_alu instid0(VALU_DEP_1) | instskip(NEXT) | instid1(VALU_DEP_1)
	v_div_fmas_f32 v101, v101, v109, v110
	v_div_fixup_f32 v101, v101, v102, v103
	s_delay_alu instid0(VALU_DEP_1) | instskip(NEXT) | instid1(VALU_DEP_1)
	v_fmac_f32_e32 v102, v103, v101
	v_div_scale_f32 v103, null, v102, v102, 1.0
	s_delay_alu instid0(VALU_DEP_1) | instskip(SKIP_1) | instid1(TRANS32_DEP_1)
	v_rcp_f32_e32 v109, v103
	v_nop
	v_fma_f32 v110, -v103, v109, 1.0
	s_delay_alu instid0(VALU_DEP_1) | instskip(SKIP_1) | instid1(VALU_DEP_1)
	v_fmac_f32_e32 v109, v110, v109
	v_div_scale_f32 v110, vcc_lo, 1.0, v102, 1.0
	v_mul_f32_e32 v111, v110, v109
	s_delay_alu instid0(VALU_DEP_1) | instskip(NEXT) | instid1(VALU_DEP_1)
	v_fma_f32 v112, -v103, v111, v110
	v_fmac_f32_e32 v111, v112, v109
	s_delay_alu instid0(VALU_DEP_1) | instskip(NEXT) | instid1(VALU_DEP_1)
	v_fma_f32 v103, -v103, v111, v110
	v_div_fmas_f32 v103, v103, v109, v111
	s_delay_alu instid0(VALU_DEP_1) | instskip(NEXT) | instid1(VALU_DEP_1)
	v_div_fixup_f32 v102, v103, v102, 1.0
	v_mul_f32_e64 v103, v101, -v102
.LBB92_450:
	s_or_b32 exec_lo, exec_lo, s1
.LBB92_451:
	s_delay_alu instid0(SALU_CYCLE_1) | instskip(NEXT) | instid1(SALU_CYCLE_1)
	s_or_b32 exec_lo, exec_lo, s0
	s_mov_b32 s0, exec_lo
	v_cmpx_ne_u32_e64 v108, v100
	s_xor_b32 s0, exec_lo, s0
	s_cbranch_execz .LBB92_457
; %bb.452:
	s_mov_b32 s1, exec_lo
	v_cmpx_eq_u32_e32 21, v108
	s_cbranch_execz .LBB92_456
; %bb.453:
	v_cmp_ne_u32_e32 vcc_lo, 21, v100
	s_xor_b32 s12, s16, -1
	s_delay_alu instid0(SALU_CYCLE_1) | instskip(NEXT) | instid1(SALU_CYCLE_1)
	s_and_b32 s13, s12, vcc_lo
	s_and_saveexec_b32 s12, s13
	s_cbranch_execz .LBB92_455
; %bb.454:
	v_ashrrev_i32_e32 v101, 31, v100
	s_delay_alu instid0(VALU_DEP_1)
	v_lshl_add_u64 v[108:109], v[100:101], 2, v[4:5]
	s_clause 0x1
	global_load_b32 v101, v[108:109], off
	global_load_b32 v107, v[4:5], off offset:84
	s_wait_loadcnt 0x1
	global_store_b32 v[4:5], v101, off offset:84
	s_wait_loadcnt 0x0
	global_store_b32 v[108:109], v107, off
.LBB92_455:
	s_wait_xcnt 0x0
	s_or_b32 exec_lo, exec_lo, s12
	v_dual_mov_b32 v108, v100 :: v_dual_mov_b32 v107, v100
.LBB92_456:
	s_or_b32 exec_lo, exec_lo, s1
.LBB92_457:
	s_and_not1_saveexec_b32 s0, s0
	s_cbranch_execz .LBB92_459
; %bb.458:
	v_dual_mov_b32 v100, v38 :: v_dual_mov_b32 v101, v39
	v_dual_mov_b32 v108, v36 :: v_dual_mov_b32 v109, v37
	ds_store_2addr_b64 v104, v[100:101], v[108:109] offset0:22 offset1:23
	v_dual_mov_b32 v100, v70 :: v_dual_mov_b32 v101, v71
	v_dual_mov_b32 v108, v66 :: v_dual_mov_b32 v109, v67
	ds_store_2addr_b64 v104, v[100:101], v[108:109] offset0:24 offset1:25
	v_dual_mov_b32 v100, v26 :: v_dual_mov_b32 v101, v27
	v_dual_mov_b32 v108, v22 :: v_dual_mov_b32 v109, v23
	ds_store_2addr_b64 v104, v[100:101], v[108:109] offset0:26 offset1:27
	v_dual_mov_b32 v100, v64 :: v_dual_mov_b32 v101, v65
	v_dual_mov_b32 v108, v62 :: v_dual_mov_b32 v109, v63
	ds_store_2addr_b64 v104, v[100:101], v[108:109] offset0:28 offset1:29
	v_dual_mov_b32 v100, v20 :: v_dual_mov_b32 v101, v21
	v_dual_mov_b32 v108, v18 :: v_dual_mov_b32 v109, v19
	ds_store_2addr_b64 v104, v[100:101], v[108:109] offset0:30 offset1:31
	v_dual_mov_b32 v100, v60 :: v_dual_mov_b32 v101, v61
	v_dual_mov_b32 v108, v58 :: v_dual_mov_b32 v109, v59
	ds_store_2addr_b64 v104, v[100:101], v[108:109] offset0:32 offset1:33
	v_dual_mov_b32 v100, v16 :: v_dual_mov_b32 v101, v17
	v_dual_mov_b32 v108, v14 :: v_dual_mov_b32 v109, v15
	ds_store_2addr_b64 v104, v[100:101], v[108:109] offset0:34 offset1:35
	v_dual_mov_b32 v100, v56 :: v_dual_mov_b32 v101, v57
	v_dual_mov_b32 v108, v54 :: v_dual_mov_b32 v109, v55
	ds_store_2addr_b64 v104, v[100:101], v[108:109] offset0:36 offset1:37
	v_dual_mov_b32 v100, v10 :: v_dual_mov_b32 v101, v11
	v_dual_mov_b32 v108, v6 :: v_dual_mov_b32 v109, v7
	ds_store_2addr_b64 v104, v[100:101], v[108:109] offset0:38 offset1:39
	v_dual_mov_b32 v100, v52 :: v_dual_mov_b32 v101, v53
	v_dual_mov_b32 v108, v50 :: v_dual_mov_b32 v109, v51
	ds_store_2addr_b64 v104, v[100:101], v[108:109] offset0:40 offset1:41
	v_dual_mov_b32 v100, v8 :: v_dual_mov_b32 v101, v9
	v_dual_mov_b32 v108, v40 :: v_dual_mov_b32 v109, v41
	ds_store_2addr_b64 v104, v[100:101], v[108:109] offset0:42 offset1:43
	v_dual_mov_b32 v100, v30 :: v_dual_mov_b32 v101, v31
	v_dual_mov_b32 v108, v12 :: v_dual_mov_b32 v109, v13
	ds_store_2addr_b64 v104, v[100:101], v[108:109] offset0:44 offset1:45
	ds_store_b64 v104, v[98:99] offset:368
	v_mov_b32_e32 v108, 21
.LBB92_459:
	s_or_b32 exec_lo, exec_lo, s0
	s_delay_alu instid0(SALU_CYCLE_1)
	s_mov_b32 s0, exec_lo
	s_wait_storecnt_dscnt 0x0
	s_barrier_signal -1
	s_barrier_wait -1
	v_cmpx_lt_i32_e32 21, v108
	s_cbranch_execz .LBB92_461
; %bb.460:
	v_pk_mul_f32 v[110:111], v[102:103], v[78:79] op_sel:[1,1] op_sel_hi:[0,1]
	s_delay_alu instid0(VALU_DEP_1)
	v_pk_fma_f32 v[100:101], v[102:103], v[78:79], v[110:111] op_sel_hi:[1,0,1] neg_lo:[0,0,1] neg_hi:[0,0,1]
	v_pk_fma_f32 v[102:103], v[102:103], v[78:79], v[110:111] op_sel_hi:[1,0,1]
	ds_load_2addr_b64 v[110:113], v104 offset0:22 offset1:23
	v_dual_mov_b32 v78, v100 :: v_dual_mov_b32 v79, v103
	s_wait_dscnt 0x0
	v_pk_mul_f32 v[114:115], v[110:111], v[102:103] op_sel:[0,1]
	s_delay_alu instid0(VALU_DEP_1) | instskip(SKIP_1) | instid1(VALU_DEP_1)
	v_pk_fma_f32 v[116:117], v[110:111], v[100:101], v[114:115] op_sel:[0,0,1] op_sel_hi:[1,1,0] neg_lo:[0,0,1] neg_hi:[0,0,1]
	v_pk_fma_f32 v[110:111], v[110:111], v[100:101], v[114:115] op_sel:[0,0,1] op_sel_hi:[1,0,0]
	v_mov_b32_e32 v117, v111
	v_pk_mul_f32 v[110:111], v[112:113], v[102:103] op_sel:[0,1]
	s_delay_alu instid0(VALU_DEP_1) | instskip(SKIP_1) | instid1(VALU_DEP_1)
	v_pk_fma_f32 v[114:115], v[112:113], v[100:101], v[110:111] op_sel:[0,0,1] op_sel_hi:[1,1,0] neg_lo:[0,0,1] neg_hi:[0,0,1]
	v_pk_fma_f32 v[110:111], v[112:113], v[100:101], v[110:111] op_sel:[0,0,1] op_sel_hi:[1,0,0]
	v_mov_b32_e32 v115, v111
	ds_load_2addr_b64 v[110:113], v104 offset0:24 offset1:25
	v_pk_add_f32 v[38:39], v[38:39], v[116:117] neg_lo:[0,1] neg_hi:[0,1]
	v_pk_add_f32 v[36:37], v[36:37], v[114:115] neg_lo:[0,1] neg_hi:[0,1]
	s_wait_dscnt 0x0
	v_pk_mul_f32 v[114:115], v[110:111], v[102:103] op_sel:[0,1]
	s_delay_alu instid0(VALU_DEP_1) | instskip(SKIP_2) | instid1(VALU_DEP_2)
	v_pk_fma_f32 v[116:117], v[110:111], v[100:101], v[114:115] op_sel:[0,0,1] op_sel_hi:[1,1,0] neg_lo:[0,0,1] neg_hi:[0,0,1]
	v_pk_fma_f32 v[110:111], v[110:111], v[100:101], v[114:115] op_sel:[0,0,1] op_sel_hi:[1,0,0]
	v_dual_mul_f32 v114, v113, v103 :: v_dual_mov_b32 v110, v113
	v_dual_mov_b32 v117, v111 :: v_dual_mov_b32 v111, v112
	s_delay_alu instid0(VALU_DEP_2) | instskip(SKIP_1) | instid1(VALU_DEP_3)
	v_pk_fma_f32 v[114:115], v[112:113], v[78:79], v[114:115] op_sel_hi:[1,1,0] neg_lo:[0,0,1] neg_hi:[0,0,1]
	v_mul_f32_e32 v112, v113, v100
	v_pk_add_f32 v[70:71], v[70:71], v[116:117] neg_lo:[0,1] neg_hi:[0,1]
	s_delay_alu instid0(VALU_DEP_2) | instskip(NEXT) | instid1(VALU_DEP_1)
	v_pk_fma_f32 v[110:111], v[110:111], v[78:79], v[112:113] op_sel_hi:[1,1,0]
	v_mov_b32_e32 v115, v111
	ds_load_2addr_b64 v[110:113], v104 offset0:26 offset1:27
	v_pk_add_f32 v[66:67], v[66:67], v[114:115] neg_lo:[0,1] neg_hi:[0,1]
	s_wait_dscnt 0x0
	v_pk_mul_f32 v[114:115], v[110:111], v[102:103] op_sel:[0,1]
	s_delay_alu instid0(VALU_DEP_1) | instskip(SKIP_1) | instid1(VALU_DEP_1)
	v_pk_fma_f32 v[116:117], v[110:111], v[100:101], v[114:115] op_sel:[0,0,1] op_sel_hi:[1,1,0] neg_lo:[0,0,1] neg_hi:[0,0,1]
	v_pk_fma_f32 v[110:111], v[110:111], v[100:101], v[114:115] op_sel:[0,0,1] op_sel_hi:[1,0,0]
	v_mov_b32_e32 v117, v111
	v_pk_mul_f32 v[110:111], v[112:113], v[102:103] op_sel:[0,1]
	s_delay_alu instid0(VALU_DEP_1) | instskip(SKIP_1) | instid1(VALU_DEP_1)
	v_pk_fma_f32 v[114:115], v[112:113], v[100:101], v[110:111] op_sel:[0,0,1] op_sel_hi:[1,1,0] neg_lo:[0,0,1] neg_hi:[0,0,1]
	v_pk_fma_f32 v[110:111], v[112:113], v[100:101], v[110:111] op_sel:[0,0,1] op_sel_hi:[1,0,0]
	v_mov_b32_e32 v115, v111
	ds_load_2addr_b64 v[110:113], v104 offset0:28 offset1:29
	v_pk_add_f32 v[26:27], v[26:27], v[116:117] neg_lo:[0,1] neg_hi:[0,1]
	v_pk_add_f32 v[22:23], v[22:23], v[114:115] neg_lo:[0,1] neg_hi:[0,1]
	s_wait_dscnt 0x0
	v_pk_mul_f32 v[114:115], v[110:111], v[102:103] op_sel:[0,1]
	s_delay_alu instid0(VALU_DEP_1) | instskip(SKIP_1) | instid1(VALU_DEP_1)
	v_pk_fma_f32 v[116:117], v[110:111], v[100:101], v[114:115] op_sel:[0,0,1] op_sel_hi:[1,1,0] neg_lo:[0,0,1] neg_hi:[0,0,1]
	v_pk_fma_f32 v[110:111], v[110:111], v[100:101], v[114:115] op_sel:[0,0,1] op_sel_hi:[1,0,0]
	v_mov_b32_e32 v117, v111
	v_pk_mul_f32 v[110:111], v[112:113], v[102:103] op_sel:[0,1]
	s_delay_alu instid0(VALU_DEP_1) | instskip(SKIP_1) | instid1(VALU_DEP_1)
	v_pk_fma_f32 v[114:115], v[112:113], v[100:101], v[110:111] op_sel:[0,0,1] op_sel_hi:[1,1,0] neg_lo:[0,0,1] neg_hi:[0,0,1]
	v_pk_fma_f32 v[110:111], v[112:113], v[100:101], v[110:111] op_sel:[0,0,1] op_sel_hi:[1,0,0]
	v_mov_b32_e32 v115, v111
	ds_load_2addr_b64 v[110:113], v104 offset0:30 offset1:31
	v_pk_add_f32 v[64:65], v[64:65], v[116:117] neg_lo:[0,1] neg_hi:[0,1]
	v_pk_add_f32 v[62:63], v[62:63], v[114:115] neg_lo:[0,1] neg_hi:[0,1]
	s_wait_dscnt 0x0
	v_dual_mul_f32 v114, v111, v103 :: v_dual_mul_f32 v116, v111, v100
	s_delay_alu instid0(VALU_DEP_1) | instskip(NEXT) | instid1(VALU_DEP_2)
	v_pk_fma_f32 v[114:115], v[110:111], v[78:79], v[114:115] op_sel_hi:[1,1,0] neg_lo:[0,0,1] neg_hi:[0,0,1]
	v_pk_fma_f32 v[110:111], v[110:111], v[78:79], v[116:117] op_sel:[1,0,0] op_sel_hi:[0,1,0]
	s_delay_alu instid0(VALU_DEP_1) | instskip(SKIP_1) | instid1(VALU_DEP_2)
	v_mov_b32_e32 v115, v111
	v_pk_mul_f32 v[110:111], v[112:113], v[102:103] op_sel:[0,1]
	v_pk_add_f32 v[20:21], v[20:21], v[114:115] neg_lo:[0,1] neg_hi:[0,1]
	s_delay_alu instid0(VALU_DEP_2) | instskip(SKIP_1) | instid1(VALU_DEP_1)
	v_pk_fma_f32 v[114:115], v[112:113], v[100:101], v[110:111] op_sel:[0,0,1] op_sel_hi:[1,1,0] neg_lo:[0,0,1] neg_hi:[0,0,1]
	v_pk_fma_f32 v[110:111], v[112:113], v[100:101], v[110:111] op_sel:[0,0,1] op_sel_hi:[1,0,0]
	v_mov_b32_e32 v115, v111
	ds_load_2addr_b64 v[110:113], v104 offset0:32 offset1:33
	v_pk_add_f32 v[18:19], v[18:19], v[114:115] neg_lo:[0,1] neg_hi:[0,1]
	s_wait_dscnt 0x0
	v_pk_mul_f32 v[114:115], v[110:111], v[102:103] op_sel:[0,1]
	s_delay_alu instid0(VALU_DEP_1) | instskip(SKIP_1) | instid1(VALU_DEP_1)
	v_pk_fma_f32 v[116:117], v[110:111], v[100:101], v[114:115] op_sel:[0,0,1] op_sel_hi:[1,1,0] neg_lo:[0,0,1] neg_hi:[0,0,1]
	v_pk_fma_f32 v[110:111], v[110:111], v[100:101], v[114:115] op_sel:[0,0,1] op_sel_hi:[1,0,0]
	v_mov_b32_e32 v117, v111
	v_pk_mul_f32 v[110:111], v[112:113], v[102:103] op_sel:[0,1]
	s_delay_alu instid0(VALU_DEP_2) | instskip(NEXT) | instid1(VALU_DEP_2)
	v_pk_add_f32 v[60:61], v[60:61], v[116:117] neg_lo:[0,1] neg_hi:[0,1]
	v_pk_fma_f32 v[114:115], v[112:113], v[100:101], v[110:111] op_sel:[0,0,1] op_sel_hi:[1,1,0] neg_lo:[0,0,1] neg_hi:[0,0,1]
	v_pk_fma_f32 v[110:111], v[112:113], v[100:101], v[110:111] op_sel:[0,0,1] op_sel_hi:[1,0,0]
	s_delay_alu instid0(VALU_DEP_1) | instskip(SKIP_4) | instid1(VALU_DEP_1)
	v_mov_b32_e32 v115, v111
	ds_load_2addr_b64 v[110:113], v104 offset0:34 offset1:35
	v_pk_add_f32 v[58:59], v[58:59], v[114:115] neg_lo:[0,1] neg_hi:[0,1]
	s_wait_dscnt 0x0
	v_pk_mul_f32 v[114:115], v[110:111], v[102:103] op_sel:[0,1]
	v_pk_fma_f32 v[116:117], v[110:111], v[100:101], v[114:115] op_sel:[0,0,1] op_sel_hi:[1,1,0] neg_lo:[0,0,1] neg_hi:[0,0,1]
	v_pk_fma_f32 v[110:111], v[110:111], v[100:101], v[114:115] op_sel:[0,0,1] op_sel_hi:[1,0,0]
	v_dual_mul_f32 v114, v113, v103 :: v_dual_mov_b32 v110, v113
	s_delay_alu instid0(VALU_DEP_2) | instskip(NEXT) | instid1(VALU_DEP_2)
	v_dual_mov_b32 v117, v111 :: v_dual_mov_b32 v111, v112
	v_pk_fma_f32 v[114:115], v[112:113], v[78:79], v[114:115] op_sel_hi:[1,1,0] neg_lo:[0,0,1] neg_hi:[0,0,1]
	v_mul_f32_e32 v112, v113, v100
	s_delay_alu instid0(VALU_DEP_3) | instskip(NEXT) | instid1(VALU_DEP_2)
	v_pk_add_f32 v[16:17], v[16:17], v[116:117] neg_lo:[0,1] neg_hi:[0,1]
	v_pk_fma_f32 v[110:111], v[110:111], v[78:79], v[112:113] op_sel_hi:[1,1,0]
	s_delay_alu instid0(VALU_DEP_1) | instskip(SKIP_4) | instid1(VALU_DEP_1)
	v_mov_b32_e32 v115, v111
	ds_load_2addr_b64 v[110:113], v104 offset0:36 offset1:37
	v_pk_add_f32 v[14:15], v[14:15], v[114:115] neg_lo:[0,1] neg_hi:[0,1]
	s_wait_dscnt 0x0
	v_pk_mul_f32 v[114:115], v[110:111], v[102:103] op_sel:[0,1]
	v_pk_fma_f32 v[116:117], v[110:111], v[100:101], v[114:115] op_sel:[0,0,1] op_sel_hi:[1,1,0] neg_lo:[0,0,1] neg_hi:[0,0,1]
	v_pk_fma_f32 v[110:111], v[110:111], v[100:101], v[114:115] op_sel:[0,0,1] op_sel_hi:[1,0,0]
	s_delay_alu instid0(VALU_DEP_1) | instskip(SKIP_1) | instid1(VALU_DEP_1)
	v_mov_b32_e32 v117, v111
	v_pk_mul_f32 v[110:111], v[112:113], v[102:103] op_sel:[0,1]
	v_pk_fma_f32 v[114:115], v[112:113], v[100:101], v[110:111] op_sel:[0,0,1] op_sel_hi:[1,1,0] neg_lo:[0,0,1] neg_hi:[0,0,1]
	v_pk_fma_f32 v[110:111], v[112:113], v[100:101], v[110:111] op_sel:[0,0,1] op_sel_hi:[1,0,0]
	s_delay_alu instid0(VALU_DEP_1)
	v_mov_b32_e32 v115, v111
	ds_load_2addr_b64 v[110:113], v104 offset0:38 offset1:39
	v_pk_add_f32 v[56:57], v[56:57], v[116:117] neg_lo:[0,1] neg_hi:[0,1]
	v_pk_add_f32 v[54:55], v[54:55], v[114:115] neg_lo:[0,1] neg_hi:[0,1]
	s_wait_dscnt 0x0
	v_pk_mul_f32 v[114:115], v[110:111], v[102:103] op_sel:[0,1]
	s_delay_alu instid0(VALU_DEP_1) | instskip(SKIP_1) | instid1(VALU_DEP_1)
	v_pk_fma_f32 v[116:117], v[110:111], v[100:101], v[114:115] op_sel:[0,0,1] op_sel_hi:[1,1,0] neg_lo:[0,0,1] neg_hi:[0,0,1]
	v_pk_fma_f32 v[110:111], v[110:111], v[100:101], v[114:115] op_sel:[0,0,1] op_sel_hi:[1,0,0]
	v_mov_b32_e32 v117, v111
	v_pk_mul_f32 v[110:111], v[112:113], v[102:103] op_sel:[0,1]
	s_delay_alu instid0(VALU_DEP_1) | instskip(SKIP_1) | instid1(VALU_DEP_1)
	v_pk_fma_f32 v[114:115], v[112:113], v[100:101], v[110:111] op_sel:[0,0,1] op_sel_hi:[1,1,0] neg_lo:[0,0,1] neg_hi:[0,0,1]
	v_pk_fma_f32 v[110:111], v[112:113], v[100:101], v[110:111] op_sel:[0,0,1] op_sel_hi:[1,0,0]
	v_mov_b32_e32 v115, v111
	ds_load_2addr_b64 v[110:113], v104 offset0:40 offset1:41
	v_pk_add_f32 v[10:11], v[10:11], v[116:117] neg_lo:[0,1] neg_hi:[0,1]
	v_pk_add_f32 v[6:7], v[6:7], v[114:115] neg_lo:[0,1] neg_hi:[0,1]
	s_wait_dscnt 0x0
	v_dual_mul_f32 v114, v111, v103 :: v_dual_mul_f32 v116, v111, v100
	s_delay_alu instid0(VALU_DEP_1) | instskip(NEXT) | instid1(VALU_DEP_2)
	v_pk_fma_f32 v[114:115], v[110:111], v[78:79], v[114:115] op_sel_hi:[1,1,0] neg_lo:[0,0,1] neg_hi:[0,0,1]
	v_pk_fma_f32 v[110:111], v[110:111], v[78:79], v[116:117] op_sel:[1,0,0] op_sel_hi:[0,1,0]
	s_delay_alu instid0(VALU_DEP_1) | instskip(SKIP_1) | instid1(VALU_DEP_2)
	v_mov_b32_e32 v115, v111
	v_pk_mul_f32 v[110:111], v[112:113], v[102:103] op_sel:[0,1]
	v_pk_add_f32 v[52:53], v[52:53], v[114:115] neg_lo:[0,1] neg_hi:[0,1]
	s_delay_alu instid0(VALU_DEP_2) | instskip(SKIP_1) | instid1(VALU_DEP_1)
	v_pk_fma_f32 v[114:115], v[112:113], v[100:101], v[110:111] op_sel:[0,0,1] op_sel_hi:[1,1,0] neg_lo:[0,0,1] neg_hi:[0,0,1]
	v_pk_fma_f32 v[110:111], v[112:113], v[100:101], v[110:111] op_sel:[0,0,1] op_sel_hi:[1,0,0]
	v_mov_b32_e32 v115, v111
	ds_load_2addr_b64 v[110:113], v104 offset0:42 offset1:43
	v_pk_add_f32 v[50:51], v[50:51], v[114:115] neg_lo:[0,1] neg_hi:[0,1]
	s_wait_dscnt 0x0
	v_pk_mul_f32 v[114:115], v[110:111], v[102:103] op_sel:[0,1]
	s_delay_alu instid0(VALU_DEP_1) | instskip(SKIP_1) | instid1(VALU_DEP_1)
	v_pk_fma_f32 v[116:117], v[110:111], v[100:101], v[114:115] op_sel:[0,0,1] op_sel_hi:[1,1,0] neg_lo:[0,0,1] neg_hi:[0,0,1]
	v_pk_fma_f32 v[110:111], v[110:111], v[100:101], v[114:115] op_sel:[0,0,1] op_sel_hi:[1,0,0]
	v_mov_b32_e32 v117, v111
	v_pk_mul_f32 v[110:111], v[112:113], v[102:103] op_sel:[0,1]
	s_delay_alu instid0(VALU_DEP_2) | instskip(NEXT) | instid1(VALU_DEP_2)
	v_pk_add_f32 v[8:9], v[8:9], v[116:117] neg_lo:[0,1] neg_hi:[0,1]
	v_pk_fma_f32 v[114:115], v[112:113], v[100:101], v[110:111] op_sel:[0,0,1] op_sel_hi:[1,1,0] neg_lo:[0,0,1] neg_hi:[0,0,1]
	v_pk_fma_f32 v[110:111], v[112:113], v[100:101], v[110:111] op_sel:[0,0,1] op_sel_hi:[1,0,0]
	s_delay_alu instid0(VALU_DEP_1) | instskip(SKIP_4) | instid1(VALU_DEP_1)
	v_mov_b32_e32 v115, v111
	ds_load_2addr_b64 v[110:113], v104 offset0:44 offset1:45
	v_pk_add_f32 v[40:41], v[40:41], v[114:115] neg_lo:[0,1] neg_hi:[0,1]
	s_wait_dscnt 0x0
	v_pk_mul_f32 v[114:115], v[110:111], v[102:103] op_sel:[0,1]
	v_pk_fma_f32 v[116:117], v[110:111], v[100:101], v[114:115] op_sel:[0,0,1] op_sel_hi:[1,1,0] neg_lo:[0,0,1] neg_hi:[0,0,1]
	v_pk_fma_f32 v[110:111], v[110:111], v[100:101], v[114:115] op_sel:[0,0,1] op_sel_hi:[1,0,0]
	v_dual_mul_f32 v114, v113, v103 :: v_dual_mov_b32 v110, v113
	s_delay_alu instid0(VALU_DEP_2) | instskip(NEXT) | instid1(VALU_DEP_2)
	v_dual_mov_b32 v117, v111 :: v_dual_mov_b32 v111, v112
	v_pk_fma_f32 v[114:115], v[112:113], v[78:79], v[114:115] op_sel_hi:[1,1,0] neg_lo:[0,0,1] neg_hi:[0,0,1]
	v_mul_f32_e32 v112, v113, v100
	s_delay_alu instid0(VALU_DEP_3) | instskip(NEXT) | instid1(VALU_DEP_2)
	v_pk_add_f32 v[30:31], v[30:31], v[116:117] neg_lo:[0,1] neg_hi:[0,1]
	v_pk_fma_f32 v[110:111], v[110:111], v[78:79], v[112:113] op_sel_hi:[1,1,0]
	s_delay_alu instid0(VALU_DEP_1) | instskip(SKIP_4) | instid1(VALU_DEP_1)
	v_mov_b32_e32 v115, v111
	ds_load_b64 v[110:111], v104 offset:368
	v_pk_add_f32 v[12:13], v[12:13], v[114:115] neg_lo:[0,1] neg_hi:[0,1]
	s_wait_dscnt 0x0
	v_pk_mul_f32 v[102:103], v[110:111], v[102:103] op_sel:[0,1]
	v_pk_fma_f32 v[112:113], v[110:111], v[100:101], v[102:103] op_sel:[0,0,1] op_sel_hi:[1,1,0] neg_lo:[0,0,1] neg_hi:[0,0,1]
	v_pk_fma_f32 v[100:101], v[110:111], v[100:101], v[102:103] op_sel:[0,0,1] op_sel_hi:[1,0,0]
	s_delay_alu instid0(VALU_DEP_1) | instskip(NEXT) | instid1(VALU_DEP_1)
	v_mov_b32_e32 v113, v101
	v_pk_add_f32 v[98:99], v[98:99], v[112:113] neg_lo:[0,1] neg_hi:[0,1]
.LBB92_461:
	s_or_b32 exec_lo, exec_lo, s0
	v_lshl_add_u32 v100, v108, 3, v104
	s_barrier_signal -1
	s_barrier_wait -1
	ds_store_b64 v100, v[38:39]
	s_wait_dscnt 0x0
	s_barrier_signal -1
	s_barrier_wait -1
	ds_load_b64 v[102:103], v104 offset:176
	v_mov_b32_e32 v100, 22
	s_cmp_lt_i32 s18, 24
	s_cbranch_scc1 .LBB92_464
; %bb.462:
	v_add3_u32 v101, v105, 0, 0xb8
	v_mov_b32_e32 v100, 22
	s_mov_b32 s0, 23
.LBB92_463:                             ; =>This Inner Loop Header: Depth=1
	ds_load_b64 v[110:111], v101
	s_wait_dscnt 0x1
	v_cmp_gt_f32_e32 vcc_lo, 0, v102
	v_cndmask_b32_e64 v112, v102, -v102, vcc_lo
	v_cmp_gt_f32_e32 vcc_lo, 0, v103
	v_cndmask_b32_e64 v114, v103, -v103, vcc_lo
	s_wait_dscnt 0x0
	v_cmp_gt_f32_e32 vcc_lo, 0, v110
	v_cndmask_b32_e64 v113, v110, -v110, vcc_lo
	v_cmp_gt_f32_e32 vcc_lo, 0, v111
	v_cndmask_b32_e64 v115, v111, -v111, vcc_lo
	s_delay_alu instid0(VALU_DEP_1) | instskip(NEXT) | instid1(VALU_DEP_1)
	v_pk_add_f32 v[112:113], v[112:113], v[114:115]
	v_cmp_lt_f32_e32 vcc_lo, v112, v113
	v_dual_add_nc_u32 v101, 8, v101 :: v_dual_cndmask_b32 v103, v103, v111, vcc_lo
	v_cndmask_b32_e32 v102, v102, v110, vcc_lo
	v_cndmask_b32_e64 v100, v100, s0, vcc_lo
	s_add_co_i32 s0, s0, 1
	s_delay_alu instid0(SALU_CYCLE_1)
	s_cmp_lg_u32 s18, s0
	s_cbranch_scc1 .LBB92_463
.LBB92_464:
	s_wait_dscnt 0x0
	v_cmp_eq_f32_e32 vcc_lo, 0, v102
	v_cmp_eq_f32_e64 s0, 0, v103
	s_and_b32 s0, vcc_lo, s0
	s_delay_alu instid0(SALU_CYCLE_1) | instskip(NEXT) | instid1(SALU_CYCLE_1)
	s_and_saveexec_b32 s1, s0
	s_xor_b32 s0, exec_lo, s1
; %bb.465:
	v_cmp_ne_u32_e32 vcc_lo, 0, v106
	v_cndmask_b32_e32 v106, 23, v106, vcc_lo
; %bb.466:
	s_and_not1_saveexec_b32 s0, s0
	s_cbranch_execz .LBB92_472
; %bb.467:
	v_cmp_ngt_f32_e64 s1, |v102|, |v103|
	s_and_saveexec_b32 s12, s1
	s_delay_alu instid0(SALU_CYCLE_1)
	s_xor_b32 s1, exec_lo, s12
	s_cbranch_execz .LBB92_469
; %bb.468:
	v_div_scale_f32 v101, null, v103, v103, v102
	v_div_scale_f32 v111, vcc_lo, v102, v103, v102
	s_delay_alu instid0(VALU_DEP_2) | instskip(SKIP_1) | instid1(TRANS32_DEP_1)
	v_rcp_f32_e32 v109, v101
	v_nop
	v_fma_f32 v110, -v101, v109, 1.0
	s_delay_alu instid0(VALU_DEP_1) | instskip(NEXT) | instid1(VALU_DEP_1)
	v_fmac_f32_e32 v109, v110, v109
	v_mul_f32_e32 v110, v111, v109
	s_delay_alu instid0(VALU_DEP_1) | instskip(NEXT) | instid1(VALU_DEP_1)
	v_fma_f32 v112, -v101, v110, v111
	v_fmac_f32_e32 v110, v112, v109
	s_delay_alu instid0(VALU_DEP_1) | instskip(NEXT) | instid1(VALU_DEP_1)
	v_fma_f32 v101, -v101, v110, v111
	v_div_fmas_f32 v101, v101, v109, v110
	s_delay_alu instid0(VALU_DEP_1) | instskip(NEXT) | instid1(VALU_DEP_1)
	v_div_fixup_f32 v101, v101, v103, v102
	v_fmac_f32_e32 v103, v102, v101
	s_delay_alu instid0(VALU_DEP_1) | instskip(SKIP_1) | instid1(VALU_DEP_2)
	v_div_scale_f32 v102, null, v103, v103, 1.0
	v_div_scale_f32 v111, vcc_lo, 1.0, v103, 1.0
	v_rcp_f32_e32 v109, v102
	v_nop
	s_delay_alu instid0(TRANS32_DEP_1) | instskip(NEXT) | instid1(VALU_DEP_1)
	v_fma_f32 v110, -v102, v109, 1.0
	v_fmac_f32_e32 v109, v110, v109
	s_delay_alu instid0(VALU_DEP_1) | instskip(NEXT) | instid1(VALU_DEP_1)
	v_mul_f32_e32 v110, v111, v109
	v_fma_f32 v112, -v102, v110, v111
	s_delay_alu instid0(VALU_DEP_1) | instskip(NEXT) | instid1(VALU_DEP_1)
	v_fmac_f32_e32 v110, v112, v109
	v_fma_f32 v102, -v102, v110, v111
	s_delay_alu instid0(VALU_DEP_1) | instskip(NEXT) | instid1(VALU_DEP_1)
	v_div_fmas_f32 v102, v102, v109, v110
	v_div_fixup_f32 v103, v102, v103, 1.0
	s_delay_alu instid0(VALU_DEP_1)
	v_mul_f32_e32 v102, v101, v103
	v_xor_b32_e32 v103, 0x80000000, v103
.LBB92_469:
	s_and_not1_saveexec_b32 s1, s1
	s_cbranch_execz .LBB92_471
; %bb.470:
	s_delay_alu instid0(VALU_DEP_1) | instskip(SKIP_1) | instid1(VALU_DEP_2)
	v_div_scale_f32 v101, null, v102, v102, v103
	v_div_scale_f32 v111, vcc_lo, v103, v102, v103
	v_rcp_f32_e32 v109, v101
	v_nop
	s_delay_alu instid0(TRANS32_DEP_1) | instskip(NEXT) | instid1(VALU_DEP_1)
	v_fma_f32 v110, -v101, v109, 1.0
	v_fmac_f32_e32 v109, v110, v109
	s_delay_alu instid0(VALU_DEP_1) | instskip(NEXT) | instid1(VALU_DEP_1)
	v_mul_f32_e32 v110, v111, v109
	v_fma_f32 v112, -v101, v110, v111
	s_delay_alu instid0(VALU_DEP_1) | instskip(NEXT) | instid1(VALU_DEP_1)
	v_fmac_f32_e32 v110, v112, v109
	v_fma_f32 v101, -v101, v110, v111
	s_delay_alu instid0(VALU_DEP_1) | instskip(NEXT) | instid1(VALU_DEP_1)
	v_div_fmas_f32 v101, v101, v109, v110
	v_div_fixup_f32 v101, v101, v102, v103
	s_delay_alu instid0(VALU_DEP_1) | instskip(NEXT) | instid1(VALU_DEP_1)
	v_fmac_f32_e32 v102, v103, v101
	v_div_scale_f32 v103, null, v102, v102, 1.0
	s_delay_alu instid0(VALU_DEP_1) | instskip(SKIP_1) | instid1(TRANS32_DEP_1)
	v_rcp_f32_e32 v109, v103
	v_nop
	v_fma_f32 v110, -v103, v109, 1.0
	s_delay_alu instid0(VALU_DEP_1) | instskip(SKIP_1) | instid1(VALU_DEP_1)
	v_fmac_f32_e32 v109, v110, v109
	v_div_scale_f32 v110, vcc_lo, 1.0, v102, 1.0
	v_mul_f32_e32 v111, v110, v109
	s_delay_alu instid0(VALU_DEP_1) | instskip(NEXT) | instid1(VALU_DEP_1)
	v_fma_f32 v112, -v103, v111, v110
	v_fmac_f32_e32 v111, v112, v109
	s_delay_alu instid0(VALU_DEP_1) | instskip(NEXT) | instid1(VALU_DEP_1)
	v_fma_f32 v103, -v103, v111, v110
	v_div_fmas_f32 v103, v103, v109, v111
	s_delay_alu instid0(VALU_DEP_1) | instskip(NEXT) | instid1(VALU_DEP_1)
	v_div_fixup_f32 v102, v103, v102, 1.0
	v_mul_f32_e64 v103, v101, -v102
.LBB92_471:
	s_or_b32 exec_lo, exec_lo, s1
.LBB92_472:
	s_delay_alu instid0(SALU_CYCLE_1) | instskip(NEXT) | instid1(SALU_CYCLE_1)
	s_or_b32 exec_lo, exec_lo, s0
	s_mov_b32 s0, exec_lo
	v_cmpx_ne_u32_e64 v108, v100
	s_xor_b32 s0, exec_lo, s0
	s_cbranch_execz .LBB92_478
; %bb.473:
	s_mov_b32 s1, exec_lo
	v_cmpx_eq_u32_e32 22, v108
	s_cbranch_execz .LBB92_477
; %bb.474:
	v_cmp_ne_u32_e32 vcc_lo, 22, v100
	s_xor_b32 s12, s16, -1
	s_delay_alu instid0(SALU_CYCLE_1) | instskip(NEXT) | instid1(SALU_CYCLE_1)
	s_and_b32 s13, s12, vcc_lo
	s_and_saveexec_b32 s12, s13
	s_cbranch_execz .LBB92_476
; %bb.475:
	v_ashrrev_i32_e32 v101, 31, v100
	s_delay_alu instid0(VALU_DEP_1)
	v_lshl_add_u64 v[108:109], v[100:101], 2, v[4:5]
	s_clause 0x1
	global_load_b32 v101, v[108:109], off
	global_load_b32 v107, v[4:5], off offset:88
	s_wait_loadcnt 0x1
	global_store_b32 v[4:5], v101, off offset:88
	s_wait_loadcnt 0x0
	global_store_b32 v[108:109], v107, off
.LBB92_476:
	s_wait_xcnt 0x0
	s_or_b32 exec_lo, exec_lo, s12
	v_dual_mov_b32 v108, v100 :: v_dual_mov_b32 v107, v100
.LBB92_477:
	s_or_b32 exec_lo, exec_lo, s1
.LBB92_478:
	s_and_not1_saveexec_b32 s0, s0
	s_cbranch_execz .LBB92_480
; %bb.479:
	v_mov_b32_e32 v108, 22
	ds_store_2addr_b64 v104, v[36:37], v[70:71] offset0:23 offset1:24
	ds_store_2addr_b64 v104, v[66:67], v[26:27] offset0:25 offset1:26
	;; [unrolled: 1-line block ×12, first 2 shown]
.LBB92_480:
	s_or_b32 exec_lo, exec_lo, s0
	s_delay_alu instid0(SALU_CYCLE_1)
	s_mov_b32 s0, exec_lo
	s_wait_storecnt_dscnt 0x0
	s_barrier_signal -1
	s_barrier_wait -1
	v_cmpx_lt_i32_e32 22, v108
	s_cbranch_execz .LBB92_482
; %bb.481:
	v_pk_mul_f32 v[110:111], v[102:103], v[38:39] op_sel:[1,1] op_sel_hi:[0,1]
	s_delay_alu instid0(VALU_DEP_1)
	v_pk_fma_f32 v[100:101], v[102:103], v[38:39], v[110:111] op_sel_hi:[1,0,1] neg_lo:[0,0,1] neg_hi:[0,0,1]
	v_pk_fma_f32 v[102:103], v[102:103], v[38:39], v[110:111] op_sel_hi:[1,0,1]
	ds_load_2addr_b64 v[110:113], v104 offset0:23 offset1:24
	v_dual_mov_b32 v38, v100 :: v_dual_mov_b32 v39, v103
	s_wait_dscnt 0x0
	v_pk_mul_f32 v[114:115], v[110:111], v[102:103] op_sel:[0,1]
	s_delay_alu instid0(VALU_DEP_1) | instskip(SKIP_1) | instid1(VALU_DEP_1)
	v_pk_fma_f32 v[116:117], v[110:111], v[100:101], v[114:115] op_sel:[0,0,1] op_sel_hi:[1,1,0] neg_lo:[0,0,1] neg_hi:[0,0,1]
	v_pk_fma_f32 v[110:111], v[110:111], v[100:101], v[114:115] op_sel:[0,0,1] op_sel_hi:[1,0,0]
	v_mov_b32_e32 v117, v111
	v_pk_mul_f32 v[110:111], v[112:113], v[102:103] op_sel:[0,1]
	s_delay_alu instid0(VALU_DEP_1) | instskip(SKIP_1) | instid1(VALU_DEP_1)
	v_pk_fma_f32 v[114:115], v[112:113], v[100:101], v[110:111] op_sel:[0,0,1] op_sel_hi:[1,1,0] neg_lo:[0,0,1] neg_hi:[0,0,1]
	v_pk_fma_f32 v[110:111], v[112:113], v[100:101], v[110:111] op_sel:[0,0,1] op_sel_hi:[1,0,0]
	v_mov_b32_e32 v115, v111
	ds_load_2addr_b64 v[110:113], v104 offset0:25 offset1:26
	v_pk_add_f32 v[36:37], v[36:37], v[116:117] neg_lo:[0,1] neg_hi:[0,1]
	v_pk_add_f32 v[70:71], v[70:71], v[114:115] neg_lo:[0,1] neg_hi:[0,1]
	s_wait_dscnt 0x0
	v_pk_mul_f32 v[114:115], v[110:111], v[102:103] op_sel:[0,1]
	s_delay_alu instid0(VALU_DEP_1) | instskip(SKIP_2) | instid1(VALU_DEP_2)
	v_pk_fma_f32 v[116:117], v[110:111], v[100:101], v[114:115] op_sel:[0,0,1] op_sel_hi:[1,1,0] neg_lo:[0,0,1] neg_hi:[0,0,1]
	v_pk_fma_f32 v[110:111], v[110:111], v[100:101], v[114:115] op_sel:[0,0,1] op_sel_hi:[1,0,0]
	v_dual_mul_f32 v114, v113, v103 :: v_dual_mov_b32 v110, v113
	v_dual_mov_b32 v117, v111 :: v_dual_mov_b32 v111, v112
	s_delay_alu instid0(VALU_DEP_2) | instskip(SKIP_1) | instid1(VALU_DEP_3)
	v_pk_fma_f32 v[114:115], v[112:113], v[38:39], v[114:115] op_sel_hi:[1,1,0] neg_lo:[0,0,1] neg_hi:[0,0,1]
	v_mul_f32_e32 v112, v113, v100
	v_pk_add_f32 v[66:67], v[66:67], v[116:117] neg_lo:[0,1] neg_hi:[0,1]
	s_delay_alu instid0(VALU_DEP_2) | instskip(NEXT) | instid1(VALU_DEP_1)
	v_pk_fma_f32 v[110:111], v[110:111], v[38:39], v[112:113] op_sel_hi:[1,1,0]
	v_mov_b32_e32 v115, v111
	ds_load_2addr_b64 v[110:113], v104 offset0:27 offset1:28
	v_pk_add_f32 v[26:27], v[26:27], v[114:115] neg_lo:[0,1] neg_hi:[0,1]
	s_wait_dscnt 0x0
	v_pk_mul_f32 v[114:115], v[110:111], v[102:103] op_sel:[0,1]
	s_delay_alu instid0(VALU_DEP_1) | instskip(SKIP_1) | instid1(VALU_DEP_1)
	v_pk_fma_f32 v[116:117], v[110:111], v[100:101], v[114:115] op_sel:[0,0,1] op_sel_hi:[1,1,0] neg_lo:[0,0,1] neg_hi:[0,0,1]
	v_pk_fma_f32 v[110:111], v[110:111], v[100:101], v[114:115] op_sel:[0,0,1] op_sel_hi:[1,0,0]
	v_mov_b32_e32 v117, v111
	v_pk_mul_f32 v[110:111], v[112:113], v[102:103] op_sel:[0,1]
	s_delay_alu instid0(VALU_DEP_1) | instskip(SKIP_1) | instid1(VALU_DEP_1)
	v_pk_fma_f32 v[114:115], v[112:113], v[100:101], v[110:111] op_sel:[0,0,1] op_sel_hi:[1,1,0] neg_lo:[0,0,1] neg_hi:[0,0,1]
	v_pk_fma_f32 v[110:111], v[112:113], v[100:101], v[110:111] op_sel:[0,0,1] op_sel_hi:[1,0,0]
	v_mov_b32_e32 v115, v111
	ds_load_2addr_b64 v[110:113], v104 offset0:29 offset1:30
	v_pk_add_f32 v[22:23], v[22:23], v[116:117] neg_lo:[0,1] neg_hi:[0,1]
	v_pk_add_f32 v[64:65], v[64:65], v[114:115] neg_lo:[0,1] neg_hi:[0,1]
	s_wait_dscnt 0x0
	v_pk_mul_f32 v[114:115], v[110:111], v[102:103] op_sel:[0,1]
	s_delay_alu instid0(VALU_DEP_1) | instskip(SKIP_1) | instid1(VALU_DEP_1)
	v_pk_fma_f32 v[116:117], v[110:111], v[100:101], v[114:115] op_sel:[0,0,1] op_sel_hi:[1,1,0] neg_lo:[0,0,1] neg_hi:[0,0,1]
	v_pk_fma_f32 v[110:111], v[110:111], v[100:101], v[114:115] op_sel:[0,0,1] op_sel_hi:[1,0,0]
	v_mov_b32_e32 v117, v111
	v_pk_mul_f32 v[110:111], v[112:113], v[102:103] op_sel:[0,1]
	s_delay_alu instid0(VALU_DEP_1) | instskip(SKIP_1) | instid1(VALU_DEP_1)
	v_pk_fma_f32 v[114:115], v[112:113], v[100:101], v[110:111] op_sel:[0,0,1] op_sel_hi:[1,1,0] neg_lo:[0,0,1] neg_hi:[0,0,1]
	v_pk_fma_f32 v[110:111], v[112:113], v[100:101], v[110:111] op_sel:[0,0,1] op_sel_hi:[1,0,0]
	v_mov_b32_e32 v115, v111
	ds_load_2addr_b64 v[110:113], v104 offset0:31 offset1:32
	v_pk_add_f32 v[62:63], v[62:63], v[116:117] neg_lo:[0,1] neg_hi:[0,1]
	v_pk_add_f32 v[20:21], v[20:21], v[114:115] neg_lo:[0,1] neg_hi:[0,1]
	s_wait_dscnt 0x0
	v_dual_mul_f32 v114, v111, v103 :: v_dual_mul_f32 v116, v111, v100
	s_delay_alu instid0(VALU_DEP_1) | instskip(NEXT) | instid1(VALU_DEP_2)
	v_pk_fma_f32 v[114:115], v[110:111], v[38:39], v[114:115] op_sel_hi:[1,1,0] neg_lo:[0,0,1] neg_hi:[0,0,1]
	v_pk_fma_f32 v[110:111], v[110:111], v[38:39], v[116:117] op_sel:[1,0,0] op_sel_hi:[0,1,0]
	s_delay_alu instid0(VALU_DEP_1) | instskip(SKIP_1) | instid1(VALU_DEP_2)
	v_mov_b32_e32 v115, v111
	v_pk_mul_f32 v[110:111], v[112:113], v[102:103] op_sel:[0,1]
	v_pk_add_f32 v[18:19], v[18:19], v[114:115] neg_lo:[0,1] neg_hi:[0,1]
	s_delay_alu instid0(VALU_DEP_2) | instskip(SKIP_1) | instid1(VALU_DEP_1)
	v_pk_fma_f32 v[114:115], v[112:113], v[100:101], v[110:111] op_sel:[0,0,1] op_sel_hi:[1,1,0] neg_lo:[0,0,1] neg_hi:[0,0,1]
	v_pk_fma_f32 v[110:111], v[112:113], v[100:101], v[110:111] op_sel:[0,0,1] op_sel_hi:[1,0,0]
	v_mov_b32_e32 v115, v111
	ds_load_2addr_b64 v[110:113], v104 offset0:33 offset1:34
	v_pk_add_f32 v[60:61], v[60:61], v[114:115] neg_lo:[0,1] neg_hi:[0,1]
	s_wait_dscnt 0x0
	v_pk_mul_f32 v[114:115], v[110:111], v[102:103] op_sel:[0,1]
	s_delay_alu instid0(VALU_DEP_1) | instskip(SKIP_1) | instid1(VALU_DEP_1)
	v_pk_fma_f32 v[116:117], v[110:111], v[100:101], v[114:115] op_sel:[0,0,1] op_sel_hi:[1,1,0] neg_lo:[0,0,1] neg_hi:[0,0,1]
	v_pk_fma_f32 v[110:111], v[110:111], v[100:101], v[114:115] op_sel:[0,0,1] op_sel_hi:[1,0,0]
	v_mov_b32_e32 v117, v111
	v_pk_mul_f32 v[110:111], v[112:113], v[102:103] op_sel:[0,1]
	s_delay_alu instid0(VALU_DEP_2) | instskip(NEXT) | instid1(VALU_DEP_2)
	v_pk_add_f32 v[58:59], v[58:59], v[116:117] neg_lo:[0,1] neg_hi:[0,1]
	v_pk_fma_f32 v[114:115], v[112:113], v[100:101], v[110:111] op_sel:[0,0,1] op_sel_hi:[1,1,0] neg_lo:[0,0,1] neg_hi:[0,0,1]
	v_pk_fma_f32 v[110:111], v[112:113], v[100:101], v[110:111] op_sel:[0,0,1] op_sel_hi:[1,0,0]
	s_delay_alu instid0(VALU_DEP_1) | instskip(SKIP_4) | instid1(VALU_DEP_1)
	v_mov_b32_e32 v115, v111
	ds_load_2addr_b64 v[110:113], v104 offset0:35 offset1:36
	v_pk_add_f32 v[16:17], v[16:17], v[114:115] neg_lo:[0,1] neg_hi:[0,1]
	s_wait_dscnt 0x0
	v_pk_mul_f32 v[114:115], v[110:111], v[102:103] op_sel:[0,1]
	v_pk_fma_f32 v[116:117], v[110:111], v[100:101], v[114:115] op_sel:[0,0,1] op_sel_hi:[1,1,0] neg_lo:[0,0,1] neg_hi:[0,0,1]
	v_pk_fma_f32 v[110:111], v[110:111], v[100:101], v[114:115] op_sel:[0,0,1] op_sel_hi:[1,0,0]
	v_dual_mul_f32 v114, v113, v103 :: v_dual_mov_b32 v110, v113
	s_delay_alu instid0(VALU_DEP_2) | instskip(NEXT) | instid1(VALU_DEP_2)
	v_dual_mov_b32 v117, v111 :: v_dual_mov_b32 v111, v112
	v_pk_fma_f32 v[114:115], v[112:113], v[38:39], v[114:115] op_sel_hi:[1,1,0] neg_lo:[0,0,1] neg_hi:[0,0,1]
	v_mul_f32_e32 v112, v113, v100
	s_delay_alu instid0(VALU_DEP_3) | instskip(NEXT) | instid1(VALU_DEP_2)
	v_pk_add_f32 v[14:15], v[14:15], v[116:117] neg_lo:[0,1] neg_hi:[0,1]
	v_pk_fma_f32 v[110:111], v[110:111], v[38:39], v[112:113] op_sel_hi:[1,1,0]
	s_delay_alu instid0(VALU_DEP_1) | instskip(SKIP_4) | instid1(VALU_DEP_1)
	v_mov_b32_e32 v115, v111
	ds_load_2addr_b64 v[110:113], v104 offset0:37 offset1:38
	v_pk_add_f32 v[56:57], v[56:57], v[114:115] neg_lo:[0,1] neg_hi:[0,1]
	s_wait_dscnt 0x0
	v_pk_mul_f32 v[114:115], v[110:111], v[102:103] op_sel:[0,1]
	v_pk_fma_f32 v[116:117], v[110:111], v[100:101], v[114:115] op_sel:[0,0,1] op_sel_hi:[1,1,0] neg_lo:[0,0,1] neg_hi:[0,0,1]
	v_pk_fma_f32 v[110:111], v[110:111], v[100:101], v[114:115] op_sel:[0,0,1] op_sel_hi:[1,0,0]
	s_delay_alu instid0(VALU_DEP_1) | instskip(SKIP_1) | instid1(VALU_DEP_1)
	v_mov_b32_e32 v117, v111
	v_pk_mul_f32 v[110:111], v[112:113], v[102:103] op_sel:[0,1]
	v_pk_fma_f32 v[114:115], v[112:113], v[100:101], v[110:111] op_sel:[0,0,1] op_sel_hi:[1,1,0] neg_lo:[0,0,1] neg_hi:[0,0,1]
	v_pk_fma_f32 v[110:111], v[112:113], v[100:101], v[110:111] op_sel:[0,0,1] op_sel_hi:[1,0,0]
	s_delay_alu instid0(VALU_DEP_1)
	v_mov_b32_e32 v115, v111
	ds_load_2addr_b64 v[110:113], v104 offset0:39 offset1:40
	v_pk_add_f32 v[54:55], v[54:55], v[116:117] neg_lo:[0,1] neg_hi:[0,1]
	v_pk_add_f32 v[10:11], v[10:11], v[114:115] neg_lo:[0,1] neg_hi:[0,1]
	s_wait_dscnt 0x0
	v_pk_mul_f32 v[114:115], v[110:111], v[102:103] op_sel:[0,1]
	s_delay_alu instid0(VALU_DEP_1) | instskip(SKIP_1) | instid1(VALU_DEP_1)
	v_pk_fma_f32 v[116:117], v[110:111], v[100:101], v[114:115] op_sel:[0,0,1] op_sel_hi:[1,1,0] neg_lo:[0,0,1] neg_hi:[0,0,1]
	v_pk_fma_f32 v[110:111], v[110:111], v[100:101], v[114:115] op_sel:[0,0,1] op_sel_hi:[1,0,0]
	v_mov_b32_e32 v117, v111
	v_pk_mul_f32 v[110:111], v[112:113], v[102:103] op_sel:[0,1]
	s_delay_alu instid0(VALU_DEP_1) | instskip(SKIP_1) | instid1(VALU_DEP_1)
	v_pk_fma_f32 v[114:115], v[112:113], v[100:101], v[110:111] op_sel:[0,0,1] op_sel_hi:[1,1,0] neg_lo:[0,0,1] neg_hi:[0,0,1]
	v_pk_fma_f32 v[110:111], v[112:113], v[100:101], v[110:111] op_sel:[0,0,1] op_sel_hi:[1,0,0]
	v_mov_b32_e32 v115, v111
	ds_load_2addr_b64 v[110:113], v104 offset0:41 offset1:42
	v_pk_add_f32 v[6:7], v[6:7], v[116:117] neg_lo:[0,1] neg_hi:[0,1]
	v_pk_add_f32 v[52:53], v[52:53], v[114:115] neg_lo:[0,1] neg_hi:[0,1]
	s_wait_dscnt 0x0
	v_dual_mul_f32 v114, v111, v103 :: v_dual_mul_f32 v116, v111, v100
	s_delay_alu instid0(VALU_DEP_1) | instskip(NEXT) | instid1(VALU_DEP_2)
	v_pk_fma_f32 v[114:115], v[110:111], v[38:39], v[114:115] op_sel_hi:[1,1,0] neg_lo:[0,0,1] neg_hi:[0,0,1]
	v_pk_fma_f32 v[110:111], v[110:111], v[38:39], v[116:117] op_sel:[1,0,0] op_sel_hi:[0,1,0]
	s_delay_alu instid0(VALU_DEP_1) | instskip(SKIP_1) | instid1(VALU_DEP_2)
	v_mov_b32_e32 v115, v111
	v_pk_mul_f32 v[110:111], v[112:113], v[102:103] op_sel:[0,1]
	v_pk_add_f32 v[50:51], v[50:51], v[114:115] neg_lo:[0,1] neg_hi:[0,1]
	s_delay_alu instid0(VALU_DEP_2) | instskip(SKIP_1) | instid1(VALU_DEP_1)
	v_pk_fma_f32 v[114:115], v[112:113], v[100:101], v[110:111] op_sel:[0,0,1] op_sel_hi:[1,1,0] neg_lo:[0,0,1] neg_hi:[0,0,1]
	v_pk_fma_f32 v[110:111], v[112:113], v[100:101], v[110:111] op_sel:[0,0,1] op_sel_hi:[1,0,0]
	v_mov_b32_e32 v115, v111
	ds_load_2addr_b64 v[110:113], v104 offset0:43 offset1:44
	v_pk_add_f32 v[8:9], v[8:9], v[114:115] neg_lo:[0,1] neg_hi:[0,1]
	s_wait_dscnt 0x0
	v_pk_mul_f32 v[114:115], v[110:111], v[102:103] op_sel:[0,1]
	s_delay_alu instid0(VALU_DEP_1) | instskip(SKIP_1) | instid1(VALU_DEP_1)
	v_pk_fma_f32 v[116:117], v[110:111], v[100:101], v[114:115] op_sel:[0,0,1] op_sel_hi:[1,1,0] neg_lo:[0,0,1] neg_hi:[0,0,1]
	v_pk_fma_f32 v[110:111], v[110:111], v[100:101], v[114:115] op_sel:[0,0,1] op_sel_hi:[1,0,0]
	v_mov_b32_e32 v117, v111
	v_pk_mul_f32 v[110:111], v[112:113], v[102:103] op_sel:[0,1]
	s_delay_alu instid0(VALU_DEP_2) | instskip(NEXT) | instid1(VALU_DEP_2)
	v_pk_add_f32 v[40:41], v[40:41], v[116:117] neg_lo:[0,1] neg_hi:[0,1]
	v_pk_fma_f32 v[114:115], v[112:113], v[100:101], v[110:111] op_sel:[0,0,1] op_sel_hi:[1,1,0] neg_lo:[0,0,1] neg_hi:[0,0,1]
	v_pk_fma_f32 v[110:111], v[112:113], v[100:101], v[110:111] op_sel:[0,0,1] op_sel_hi:[1,0,0]
	s_delay_alu instid0(VALU_DEP_1)
	v_mov_b32_e32 v115, v111
	ds_load_2addr_b64 v[110:113], v104 offset0:45 offset1:46
	v_pk_add_f32 v[30:31], v[30:31], v[114:115] neg_lo:[0,1] neg_hi:[0,1]
	s_wait_dscnt 0x0
	v_pk_mul_f32 v[114:115], v[110:111], v[102:103] op_sel:[0,1]
	v_mul_f32_e32 v102, v113, v103
	s_delay_alu instid0(VALU_DEP_2) | instskip(SKIP_2) | instid1(VALU_DEP_4)
	v_pk_fma_f32 v[116:117], v[110:111], v[100:101], v[114:115] op_sel:[0,0,1] op_sel_hi:[1,1,0] neg_lo:[0,0,1] neg_hi:[0,0,1]
	v_pk_fma_f32 v[110:111], v[110:111], v[100:101], v[114:115] op_sel:[0,0,1] op_sel_hi:[1,0,0]
	v_dual_mov_b32 v110, v113 :: v_dual_mul_f32 v100, v113, v100
	v_pk_fma_f32 v[102:103], v[112:113], v[38:39], v[102:103] op_sel_hi:[1,1,0] neg_lo:[0,0,1] neg_hi:[0,0,1]
	s_delay_alu instid0(VALU_DEP_3) | instskip(NEXT) | instid1(VALU_DEP_1)
	v_dual_mov_b32 v117, v111 :: v_dual_mov_b32 v111, v112
	v_pk_add_f32 v[12:13], v[12:13], v[116:117] neg_lo:[0,1] neg_hi:[0,1]
	s_delay_alu instid0(VALU_DEP_2) | instskip(NEXT) | instid1(VALU_DEP_1)
	v_pk_fma_f32 v[100:101], v[110:111], v[38:39], v[100:101] op_sel_hi:[1,1,0]
	v_mov_b32_e32 v103, v101
	s_delay_alu instid0(VALU_DEP_1)
	v_pk_add_f32 v[98:99], v[98:99], v[102:103] neg_lo:[0,1] neg_hi:[0,1]
.LBB92_482:
	s_or_b32 exec_lo, exec_lo, s0
	v_lshl_add_u32 v100, v108, 3, v104
	s_barrier_signal -1
	s_barrier_wait -1
	ds_store_b64 v100, v[36:37]
	s_wait_dscnt 0x0
	s_barrier_signal -1
	s_barrier_wait -1
	ds_load_b64 v[102:103], v104 offset:184
	v_mov_b32_e32 v100, 23
	s_cmp_lt_i32 s18, 25
	s_cbranch_scc1 .LBB92_485
; %bb.483:
	v_add3_u32 v101, v105, 0, 0xc0
	v_mov_b32_e32 v100, 23
	s_mov_b32 s0, 24
.LBB92_484:                             ; =>This Inner Loop Header: Depth=1
	ds_load_b64 v[110:111], v101
	s_wait_dscnt 0x1
	v_cmp_gt_f32_e32 vcc_lo, 0, v102
	v_cndmask_b32_e64 v112, v102, -v102, vcc_lo
	v_cmp_gt_f32_e32 vcc_lo, 0, v103
	v_cndmask_b32_e64 v114, v103, -v103, vcc_lo
	s_wait_dscnt 0x0
	v_cmp_gt_f32_e32 vcc_lo, 0, v110
	v_cndmask_b32_e64 v113, v110, -v110, vcc_lo
	v_cmp_gt_f32_e32 vcc_lo, 0, v111
	v_cndmask_b32_e64 v115, v111, -v111, vcc_lo
	s_delay_alu instid0(VALU_DEP_1) | instskip(NEXT) | instid1(VALU_DEP_1)
	v_pk_add_f32 v[112:113], v[112:113], v[114:115]
	v_cmp_lt_f32_e32 vcc_lo, v112, v113
	v_dual_add_nc_u32 v101, 8, v101 :: v_dual_cndmask_b32 v103, v103, v111, vcc_lo
	v_cndmask_b32_e32 v102, v102, v110, vcc_lo
	v_cndmask_b32_e64 v100, v100, s0, vcc_lo
	s_add_co_i32 s0, s0, 1
	s_delay_alu instid0(SALU_CYCLE_1)
	s_cmp_lg_u32 s18, s0
	s_cbranch_scc1 .LBB92_484
.LBB92_485:
	s_wait_dscnt 0x0
	v_cmp_eq_f32_e32 vcc_lo, 0, v102
	v_cmp_eq_f32_e64 s0, 0, v103
	s_and_b32 s0, vcc_lo, s0
	s_delay_alu instid0(SALU_CYCLE_1) | instskip(NEXT) | instid1(SALU_CYCLE_1)
	s_and_saveexec_b32 s1, s0
	s_xor_b32 s0, exec_lo, s1
; %bb.486:
	v_cmp_ne_u32_e32 vcc_lo, 0, v106
	v_cndmask_b32_e32 v106, 24, v106, vcc_lo
; %bb.487:
	s_and_not1_saveexec_b32 s0, s0
	s_cbranch_execz .LBB92_493
; %bb.488:
	v_cmp_ngt_f32_e64 s1, |v102|, |v103|
	s_and_saveexec_b32 s12, s1
	s_delay_alu instid0(SALU_CYCLE_1)
	s_xor_b32 s1, exec_lo, s12
	s_cbranch_execz .LBB92_490
; %bb.489:
	v_div_scale_f32 v101, null, v103, v103, v102
	v_div_scale_f32 v111, vcc_lo, v102, v103, v102
	s_delay_alu instid0(VALU_DEP_2) | instskip(SKIP_1) | instid1(TRANS32_DEP_1)
	v_rcp_f32_e32 v109, v101
	v_nop
	v_fma_f32 v110, -v101, v109, 1.0
	s_delay_alu instid0(VALU_DEP_1) | instskip(NEXT) | instid1(VALU_DEP_1)
	v_fmac_f32_e32 v109, v110, v109
	v_mul_f32_e32 v110, v111, v109
	s_delay_alu instid0(VALU_DEP_1) | instskip(NEXT) | instid1(VALU_DEP_1)
	v_fma_f32 v112, -v101, v110, v111
	v_fmac_f32_e32 v110, v112, v109
	s_delay_alu instid0(VALU_DEP_1) | instskip(NEXT) | instid1(VALU_DEP_1)
	v_fma_f32 v101, -v101, v110, v111
	v_div_fmas_f32 v101, v101, v109, v110
	s_delay_alu instid0(VALU_DEP_1) | instskip(NEXT) | instid1(VALU_DEP_1)
	v_div_fixup_f32 v101, v101, v103, v102
	v_fmac_f32_e32 v103, v102, v101
	s_delay_alu instid0(VALU_DEP_1) | instskip(SKIP_1) | instid1(VALU_DEP_2)
	v_div_scale_f32 v102, null, v103, v103, 1.0
	v_div_scale_f32 v111, vcc_lo, 1.0, v103, 1.0
	v_rcp_f32_e32 v109, v102
	v_nop
	s_delay_alu instid0(TRANS32_DEP_1) | instskip(NEXT) | instid1(VALU_DEP_1)
	v_fma_f32 v110, -v102, v109, 1.0
	v_fmac_f32_e32 v109, v110, v109
	s_delay_alu instid0(VALU_DEP_1) | instskip(NEXT) | instid1(VALU_DEP_1)
	v_mul_f32_e32 v110, v111, v109
	v_fma_f32 v112, -v102, v110, v111
	s_delay_alu instid0(VALU_DEP_1) | instskip(NEXT) | instid1(VALU_DEP_1)
	v_fmac_f32_e32 v110, v112, v109
	v_fma_f32 v102, -v102, v110, v111
	s_delay_alu instid0(VALU_DEP_1) | instskip(NEXT) | instid1(VALU_DEP_1)
	v_div_fmas_f32 v102, v102, v109, v110
	v_div_fixup_f32 v103, v102, v103, 1.0
	s_delay_alu instid0(VALU_DEP_1)
	v_mul_f32_e32 v102, v101, v103
	v_xor_b32_e32 v103, 0x80000000, v103
.LBB92_490:
	s_and_not1_saveexec_b32 s1, s1
	s_cbranch_execz .LBB92_492
; %bb.491:
	s_delay_alu instid0(VALU_DEP_1) | instskip(SKIP_1) | instid1(VALU_DEP_2)
	v_div_scale_f32 v101, null, v102, v102, v103
	v_div_scale_f32 v111, vcc_lo, v103, v102, v103
	v_rcp_f32_e32 v109, v101
	v_nop
	s_delay_alu instid0(TRANS32_DEP_1) | instskip(NEXT) | instid1(VALU_DEP_1)
	v_fma_f32 v110, -v101, v109, 1.0
	v_fmac_f32_e32 v109, v110, v109
	s_delay_alu instid0(VALU_DEP_1) | instskip(NEXT) | instid1(VALU_DEP_1)
	v_mul_f32_e32 v110, v111, v109
	v_fma_f32 v112, -v101, v110, v111
	s_delay_alu instid0(VALU_DEP_1) | instskip(NEXT) | instid1(VALU_DEP_1)
	v_fmac_f32_e32 v110, v112, v109
	v_fma_f32 v101, -v101, v110, v111
	s_delay_alu instid0(VALU_DEP_1) | instskip(NEXT) | instid1(VALU_DEP_1)
	v_div_fmas_f32 v101, v101, v109, v110
	v_div_fixup_f32 v101, v101, v102, v103
	s_delay_alu instid0(VALU_DEP_1) | instskip(NEXT) | instid1(VALU_DEP_1)
	v_fmac_f32_e32 v102, v103, v101
	v_div_scale_f32 v103, null, v102, v102, 1.0
	s_delay_alu instid0(VALU_DEP_1) | instskip(SKIP_1) | instid1(TRANS32_DEP_1)
	v_rcp_f32_e32 v109, v103
	v_nop
	v_fma_f32 v110, -v103, v109, 1.0
	s_delay_alu instid0(VALU_DEP_1) | instskip(SKIP_1) | instid1(VALU_DEP_1)
	v_fmac_f32_e32 v109, v110, v109
	v_div_scale_f32 v110, vcc_lo, 1.0, v102, 1.0
	v_mul_f32_e32 v111, v110, v109
	s_delay_alu instid0(VALU_DEP_1) | instskip(NEXT) | instid1(VALU_DEP_1)
	v_fma_f32 v112, -v103, v111, v110
	v_fmac_f32_e32 v111, v112, v109
	s_delay_alu instid0(VALU_DEP_1) | instskip(NEXT) | instid1(VALU_DEP_1)
	v_fma_f32 v103, -v103, v111, v110
	v_div_fmas_f32 v103, v103, v109, v111
	s_delay_alu instid0(VALU_DEP_1) | instskip(NEXT) | instid1(VALU_DEP_1)
	v_div_fixup_f32 v102, v103, v102, 1.0
	v_mul_f32_e64 v103, v101, -v102
.LBB92_492:
	s_or_b32 exec_lo, exec_lo, s1
.LBB92_493:
	s_delay_alu instid0(SALU_CYCLE_1) | instskip(NEXT) | instid1(SALU_CYCLE_1)
	s_or_b32 exec_lo, exec_lo, s0
	s_mov_b32 s0, exec_lo
	v_cmpx_ne_u32_e64 v108, v100
	s_xor_b32 s0, exec_lo, s0
	s_cbranch_execz .LBB92_499
; %bb.494:
	s_mov_b32 s1, exec_lo
	v_cmpx_eq_u32_e32 23, v108
	s_cbranch_execz .LBB92_498
; %bb.495:
	v_cmp_ne_u32_e32 vcc_lo, 23, v100
	s_xor_b32 s12, s16, -1
	s_delay_alu instid0(SALU_CYCLE_1) | instskip(NEXT) | instid1(SALU_CYCLE_1)
	s_and_b32 s13, s12, vcc_lo
	s_and_saveexec_b32 s12, s13
	s_cbranch_execz .LBB92_497
; %bb.496:
	v_ashrrev_i32_e32 v101, 31, v100
	s_delay_alu instid0(VALU_DEP_1)
	v_lshl_add_u64 v[108:109], v[100:101], 2, v[4:5]
	s_clause 0x1
	global_load_b32 v101, v[108:109], off
	global_load_b32 v107, v[4:5], off offset:92
	s_wait_loadcnt 0x1
	global_store_b32 v[4:5], v101, off offset:92
	s_wait_loadcnt 0x0
	global_store_b32 v[108:109], v107, off
.LBB92_497:
	s_wait_xcnt 0x0
	s_or_b32 exec_lo, exec_lo, s12
	v_dual_mov_b32 v108, v100 :: v_dual_mov_b32 v107, v100
.LBB92_498:
	s_or_b32 exec_lo, exec_lo, s1
.LBB92_499:
	s_and_not1_saveexec_b32 s0, s0
	s_cbranch_execz .LBB92_501
; %bb.500:
	v_dual_mov_b32 v100, v70 :: v_dual_mov_b32 v101, v71
	v_dual_mov_b32 v108, v66 :: v_dual_mov_b32 v109, v67
	ds_store_2addr_b64 v104, v[100:101], v[108:109] offset0:24 offset1:25
	v_dual_mov_b32 v100, v26 :: v_dual_mov_b32 v101, v27
	v_dual_mov_b32 v108, v22 :: v_dual_mov_b32 v109, v23
	ds_store_2addr_b64 v104, v[100:101], v[108:109] offset0:26 offset1:27
	;; [unrolled: 3-line block ×11, first 2 shown]
	ds_store_b64 v104, v[98:99] offset:368
	v_mov_b32_e32 v108, 23
.LBB92_501:
	s_or_b32 exec_lo, exec_lo, s0
	s_delay_alu instid0(SALU_CYCLE_1)
	s_mov_b32 s0, exec_lo
	s_wait_storecnt_dscnt 0x0
	s_barrier_signal -1
	s_barrier_wait -1
	v_cmpx_lt_i32_e32 23, v108
	s_cbranch_execz .LBB92_503
; %bb.502:
	v_pk_mul_f32 v[110:111], v[102:103], v[36:37] op_sel:[1,1] op_sel_hi:[0,1]
	s_delay_alu instid0(VALU_DEP_1)
	v_pk_fma_f32 v[100:101], v[102:103], v[36:37], v[110:111] op_sel_hi:[1,0,1] neg_lo:[0,0,1] neg_hi:[0,0,1]
	v_pk_fma_f32 v[102:103], v[102:103], v[36:37], v[110:111] op_sel_hi:[1,0,1]
	ds_load_2addr_b64 v[110:113], v104 offset0:24 offset1:25
	v_dual_mov_b32 v36, v100 :: v_dual_mov_b32 v37, v103
	s_wait_dscnt 0x0
	v_pk_mul_f32 v[114:115], v[110:111], v[102:103] op_sel:[0,1]
	s_delay_alu instid0(VALU_DEP_1) | instskip(SKIP_1) | instid1(VALU_DEP_1)
	v_pk_fma_f32 v[116:117], v[110:111], v[100:101], v[114:115] op_sel:[0,0,1] op_sel_hi:[1,1,0] neg_lo:[0,0,1] neg_hi:[0,0,1]
	v_pk_fma_f32 v[110:111], v[110:111], v[100:101], v[114:115] op_sel:[0,0,1] op_sel_hi:[1,0,0]
	v_mov_b32_e32 v117, v111
	v_pk_mul_f32 v[110:111], v[112:113], v[102:103] op_sel:[0,1]
	s_delay_alu instid0(VALU_DEP_1) | instskip(SKIP_1) | instid1(VALU_DEP_1)
	v_pk_fma_f32 v[114:115], v[112:113], v[100:101], v[110:111] op_sel:[0,0,1] op_sel_hi:[1,1,0] neg_lo:[0,0,1] neg_hi:[0,0,1]
	v_pk_fma_f32 v[110:111], v[112:113], v[100:101], v[110:111] op_sel:[0,0,1] op_sel_hi:[1,0,0]
	v_mov_b32_e32 v115, v111
	ds_load_2addr_b64 v[110:113], v104 offset0:26 offset1:27
	v_pk_add_f32 v[70:71], v[70:71], v[116:117] neg_lo:[0,1] neg_hi:[0,1]
	v_pk_add_f32 v[66:67], v[66:67], v[114:115] neg_lo:[0,1] neg_hi:[0,1]
	s_wait_dscnt 0x0
	v_pk_mul_f32 v[114:115], v[110:111], v[102:103] op_sel:[0,1]
	s_delay_alu instid0(VALU_DEP_1) | instskip(SKIP_2) | instid1(VALU_DEP_2)
	v_pk_fma_f32 v[116:117], v[110:111], v[100:101], v[114:115] op_sel:[0,0,1] op_sel_hi:[1,1,0] neg_lo:[0,0,1] neg_hi:[0,0,1]
	v_pk_fma_f32 v[110:111], v[110:111], v[100:101], v[114:115] op_sel:[0,0,1] op_sel_hi:[1,0,0]
	v_dual_mul_f32 v114, v113, v103 :: v_dual_mov_b32 v110, v113
	v_dual_mov_b32 v117, v111 :: v_dual_mov_b32 v111, v112
	s_delay_alu instid0(VALU_DEP_2) | instskip(SKIP_1) | instid1(VALU_DEP_3)
	v_pk_fma_f32 v[114:115], v[112:113], v[36:37], v[114:115] op_sel_hi:[1,1,0] neg_lo:[0,0,1] neg_hi:[0,0,1]
	v_mul_f32_e32 v112, v113, v100
	v_pk_add_f32 v[26:27], v[26:27], v[116:117] neg_lo:[0,1] neg_hi:[0,1]
	s_delay_alu instid0(VALU_DEP_2) | instskip(NEXT) | instid1(VALU_DEP_1)
	v_pk_fma_f32 v[110:111], v[110:111], v[36:37], v[112:113] op_sel_hi:[1,1,0]
	v_mov_b32_e32 v115, v111
	ds_load_2addr_b64 v[110:113], v104 offset0:28 offset1:29
	v_pk_add_f32 v[22:23], v[22:23], v[114:115] neg_lo:[0,1] neg_hi:[0,1]
	s_wait_dscnt 0x0
	v_pk_mul_f32 v[114:115], v[110:111], v[102:103] op_sel:[0,1]
	s_delay_alu instid0(VALU_DEP_1) | instskip(SKIP_1) | instid1(VALU_DEP_1)
	v_pk_fma_f32 v[116:117], v[110:111], v[100:101], v[114:115] op_sel:[0,0,1] op_sel_hi:[1,1,0] neg_lo:[0,0,1] neg_hi:[0,0,1]
	v_pk_fma_f32 v[110:111], v[110:111], v[100:101], v[114:115] op_sel:[0,0,1] op_sel_hi:[1,0,0]
	v_mov_b32_e32 v117, v111
	v_pk_mul_f32 v[110:111], v[112:113], v[102:103] op_sel:[0,1]
	s_delay_alu instid0(VALU_DEP_1) | instskip(SKIP_1) | instid1(VALU_DEP_1)
	v_pk_fma_f32 v[114:115], v[112:113], v[100:101], v[110:111] op_sel:[0,0,1] op_sel_hi:[1,1,0] neg_lo:[0,0,1] neg_hi:[0,0,1]
	v_pk_fma_f32 v[110:111], v[112:113], v[100:101], v[110:111] op_sel:[0,0,1] op_sel_hi:[1,0,0]
	v_mov_b32_e32 v115, v111
	ds_load_2addr_b64 v[110:113], v104 offset0:30 offset1:31
	v_pk_add_f32 v[64:65], v[64:65], v[116:117] neg_lo:[0,1] neg_hi:[0,1]
	v_pk_add_f32 v[62:63], v[62:63], v[114:115] neg_lo:[0,1] neg_hi:[0,1]
	s_wait_dscnt 0x0
	v_pk_mul_f32 v[114:115], v[110:111], v[102:103] op_sel:[0,1]
	s_delay_alu instid0(VALU_DEP_1) | instskip(SKIP_1) | instid1(VALU_DEP_1)
	v_pk_fma_f32 v[116:117], v[110:111], v[100:101], v[114:115] op_sel:[0,0,1] op_sel_hi:[1,1,0] neg_lo:[0,0,1] neg_hi:[0,0,1]
	v_pk_fma_f32 v[110:111], v[110:111], v[100:101], v[114:115] op_sel:[0,0,1] op_sel_hi:[1,0,0]
	v_mov_b32_e32 v117, v111
	v_pk_mul_f32 v[110:111], v[112:113], v[102:103] op_sel:[0,1]
	s_delay_alu instid0(VALU_DEP_1) | instskip(SKIP_1) | instid1(VALU_DEP_1)
	v_pk_fma_f32 v[114:115], v[112:113], v[100:101], v[110:111] op_sel:[0,0,1] op_sel_hi:[1,1,0] neg_lo:[0,0,1] neg_hi:[0,0,1]
	v_pk_fma_f32 v[110:111], v[112:113], v[100:101], v[110:111] op_sel:[0,0,1] op_sel_hi:[1,0,0]
	v_mov_b32_e32 v115, v111
	ds_load_2addr_b64 v[110:113], v104 offset0:32 offset1:33
	v_pk_add_f32 v[20:21], v[20:21], v[116:117] neg_lo:[0,1] neg_hi:[0,1]
	v_pk_add_f32 v[18:19], v[18:19], v[114:115] neg_lo:[0,1] neg_hi:[0,1]
	s_wait_dscnt 0x0
	v_dual_mul_f32 v114, v111, v103 :: v_dual_mul_f32 v116, v111, v100
	s_delay_alu instid0(VALU_DEP_1) | instskip(NEXT) | instid1(VALU_DEP_2)
	v_pk_fma_f32 v[114:115], v[110:111], v[36:37], v[114:115] op_sel_hi:[1,1,0] neg_lo:[0,0,1] neg_hi:[0,0,1]
	v_pk_fma_f32 v[110:111], v[110:111], v[36:37], v[116:117] op_sel:[1,0,0] op_sel_hi:[0,1,0]
	s_delay_alu instid0(VALU_DEP_1) | instskip(SKIP_1) | instid1(VALU_DEP_2)
	v_mov_b32_e32 v115, v111
	v_pk_mul_f32 v[110:111], v[112:113], v[102:103] op_sel:[0,1]
	v_pk_add_f32 v[60:61], v[60:61], v[114:115] neg_lo:[0,1] neg_hi:[0,1]
	s_delay_alu instid0(VALU_DEP_2) | instskip(SKIP_1) | instid1(VALU_DEP_1)
	v_pk_fma_f32 v[114:115], v[112:113], v[100:101], v[110:111] op_sel:[0,0,1] op_sel_hi:[1,1,0] neg_lo:[0,0,1] neg_hi:[0,0,1]
	v_pk_fma_f32 v[110:111], v[112:113], v[100:101], v[110:111] op_sel:[0,0,1] op_sel_hi:[1,0,0]
	v_mov_b32_e32 v115, v111
	ds_load_2addr_b64 v[110:113], v104 offset0:34 offset1:35
	v_pk_add_f32 v[58:59], v[58:59], v[114:115] neg_lo:[0,1] neg_hi:[0,1]
	s_wait_dscnt 0x0
	v_pk_mul_f32 v[114:115], v[110:111], v[102:103] op_sel:[0,1]
	s_delay_alu instid0(VALU_DEP_1) | instskip(SKIP_1) | instid1(VALU_DEP_1)
	v_pk_fma_f32 v[116:117], v[110:111], v[100:101], v[114:115] op_sel:[0,0,1] op_sel_hi:[1,1,0] neg_lo:[0,0,1] neg_hi:[0,0,1]
	v_pk_fma_f32 v[110:111], v[110:111], v[100:101], v[114:115] op_sel:[0,0,1] op_sel_hi:[1,0,0]
	v_mov_b32_e32 v117, v111
	v_pk_mul_f32 v[110:111], v[112:113], v[102:103] op_sel:[0,1]
	s_delay_alu instid0(VALU_DEP_2) | instskip(NEXT) | instid1(VALU_DEP_2)
	v_pk_add_f32 v[16:17], v[16:17], v[116:117] neg_lo:[0,1] neg_hi:[0,1]
	v_pk_fma_f32 v[114:115], v[112:113], v[100:101], v[110:111] op_sel:[0,0,1] op_sel_hi:[1,1,0] neg_lo:[0,0,1] neg_hi:[0,0,1]
	v_pk_fma_f32 v[110:111], v[112:113], v[100:101], v[110:111] op_sel:[0,0,1] op_sel_hi:[1,0,0]
	s_delay_alu instid0(VALU_DEP_1) | instskip(SKIP_4) | instid1(VALU_DEP_1)
	v_mov_b32_e32 v115, v111
	ds_load_2addr_b64 v[110:113], v104 offset0:36 offset1:37
	v_pk_add_f32 v[14:15], v[14:15], v[114:115] neg_lo:[0,1] neg_hi:[0,1]
	s_wait_dscnt 0x0
	v_pk_mul_f32 v[114:115], v[110:111], v[102:103] op_sel:[0,1]
	v_pk_fma_f32 v[116:117], v[110:111], v[100:101], v[114:115] op_sel:[0,0,1] op_sel_hi:[1,1,0] neg_lo:[0,0,1] neg_hi:[0,0,1]
	v_pk_fma_f32 v[110:111], v[110:111], v[100:101], v[114:115] op_sel:[0,0,1] op_sel_hi:[1,0,0]
	v_dual_mul_f32 v114, v113, v103 :: v_dual_mov_b32 v110, v113
	s_delay_alu instid0(VALU_DEP_2) | instskip(NEXT) | instid1(VALU_DEP_2)
	v_dual_mov_b32 v117, v111 :: v_dual_mov_b32 v111, v112
	v_pk_fma_f32 v[114:115], v[112:113], v[36:37], v[114:115] op_sel_hi:[1,1,0] neg_lo:[0,0,1] neg_hi:[0,0,1]
	v_mul_f32_e32 v112, v113, v100
	s_delay_alu instid0(VALU_DEP_3) | instskip(NEXT) | instid1(VALU_DEP_2)
	v_pk_add_f32 v[56:57], v[56:57], v[116:117] neg_lo:[0,1] neg_hi:[0,1]
	v_pk_fma_f32 v[110:111], v[110:111], v[36:37], v[112:113] op_sel_hi:[1,1,0]
	s_delay_alu instid0(VALU_DEP_1) | instskip(SKIP_4) | instid1(VALU_DEP_1)
	v_mov_b32_e32 v115, v111
	ds_load_2addr_b64 v[110:113], v104 offset0:38 offset1:39
	v_pk_add_f32 v[54:55], v[54:55], v[114:115] neg_lo:[0,1] neg_hi:[0,1]
	s_wait_dscnt 0x0
	v_pk_mul_f32 v[114:115], v[110:111], v[102:103] op_sel:[0,1]
	v_pk_fma_f32 v[116:117], v[110:111], v[100:101], v[114:115] op_sel:[0,0,1] op_sel_hi:[1,1,0] neg_lo:[0,0,1] neg_hi:[0,0,1]
	v_pk_fma_f32 v[110:111], v[110:111], v[100:101], v[114:115] op_sel:[0,0,1] op_sel_hi:[1,0,0]
	s_delay_alu instid0(VALU_DEP_1) | instskip(SKIP_1) | instid1(VALU_DEP_1)
	v_mov_b32_e32 v117, v111
	v_pk_mul_f32 v[110:111], v[112:113], v[102:103] op_sel:[0,1]
	v_pk_fma_f32 v[114:115], v[112:113], v[100:101], v[110:111] op_sel:[0,0,1] op_sel_hi:[1,1,0] neg_lo:[0,0,1] neg_hi:[0,0,1]
	v_pk_fma_f32 v[110:111], v[112:113], v[100:101], v[110:111] op_sel:[0,0,1] op_sel_hi:[1,0,0]
	s_delay_alu instid0(VALU_DEP_1)
	v_mov_b32_e32 v115, v111
	ds_load_2addr_b64 v[110:113], v104 offset0:40 offset1:41
	v_pk_add_f32 v[10:11], v[10:11], v[116:117] neg_lo:[0,1] neg_hi:[0,1]
	v_pk_add_f32 v[6:7], v[6:7], v[114:115] neg_lo:[0,1] neg_hi:[0,1]
	s_wait_dscnt 0x0
	v_pk_mul_f32 v[114:115], v[110:111], v[102:103] op_sel:[0,1]
	s_delay_alu instid0(VALU_DEP_1) | instskip(SKIP_1) | instid1(VALU_DEP_1)
	v_pk_fma_f32 v[116:117], v[110:111], v[100:101], v[114:115] op_sel:[0,0,1] op_sel_hi:[1,1,0] neg_lo:[0,0,1] neg_hi:[0,0,1]
	v_pk_fma_f32 v[110:111], v[110:111], v[100:101], v[114:115] op_sel:[0,0,1] op_sel_hi:[1,0,0]
	v_mov_b32_e32 v117, v111
	v_pk_mul_f32 v[110:111], v[112:113], v[102:103] op_sel:[0,1]
	s_delay_alu instid0(VALU_DEP_1) | instskip(SKIP_1) | instid1(VALU_DEP_1)
	v_pk_fma_f32 v[114:115], v[112:113], v[100:101], v[110:111] op_sel:[0,0,1] op_sel_hi:[1,1,0] neg_lo:[0,0,1] neg_hi:[0,0,1]
	v_pk_fma_f32 v[110:111], v[112:113], v[100:101], v[110:111] op_sel:[0,0,1] op_sel_hi:[1,0,0]
	v_mov_b32_e32 v115, v111
	ds_load_2addr_b64 v[110:113], v104 offset0:42 offset1:43
	v_pk_add_f32 v[52:53], v[52:53], v[116:117] neg_lo:[0,1] neg_hi:[0,1]
	v_pk_add_f32 v[50:51], v[50:51], v[114:115] neg_lo:[0,1] neg_hi:[0,1]
	s_wait_dscnt 0x0
	v_dual_mul_f32 v114, v111, v103 :: v_dual_mul_f32 v116, v111, v100
	s_delay_alu instid0(VALU_DEP_1) | instskip(NEXT) | instid1(VALU_DEP_2)
	v_pk_fma_f32 v[114:115], v[110:111], v[36:37], v[114:115] op_sel_hi:[1,1,0] neg_lo:[0,0,1] neg_hi:[0,0,1]
	v_pk_fma_f32 v[110:111], v[110:111], v[36:37], v[116:117] op_sel:[1,0,0] op_sel_hi:[0,1,0]
	s_delay_alu instid0(VALU_DEP_1) | instskip(SKIP_1) | instid1(VALU_DEP_2)
	v_mov_b32_e32 v115, v111
	v_pk_mul_f32 v[110:111], v[112:113], v[102:103] op_sel:[0,1]
	v_pk_add_f32 v[8:9], v[8:9], v[114:115] neg_lo:[0,1] neg_hi:[0,1]
	s_delay_alu instid0(VALU_DEP_2) | instskip(SKIP_1) | instid1(VALU_DEP_1)
	v_pk_fma_f32 v[114:115], v[112:113], v[100:101], v[110:111] op_sel:[0,0,1] op_sel_hi:[1,1,0] neg_lo:[0,0,1] neg_hi:[0,0,1]
	v_pk_fma_f32 v[110:111], v[112:113], v[100:101], v[110:111] op_sel:[0,0,1] op_sel_hi:[1,0,0]
	v_mov_b32_e32 v115, v111
	ds_load_2addr_b64 v[110:113], v104 offset0:44 offset1:45
	v_pk_add_f32 v[40:41], v[40:41], v[114:115] neg_lo:[0,1] neg_hi:[0,1]
	s_wait_dscnt 0x0
	v_pk_mul_f32 v[114:115], v[110:111], v[102:103] op_sel:[0,1]
	s_delay_alu instid0(VALU_DEP_1) | instskip(SKIP_1) | instid1(VALU_DEP_1)
	v_pk_fma_f32 v[116:117], v[110:111], v[100:101], v[114:115] op_sel:[0,0,1] op_sel_hi:[1,1,0] neg_lo:[0,0,1] neg_hi:[0,0,1]
	v_pk_fma_f32 v[110:111], v[110:111], v[100:101], v[114:115] op_sel:[0,0,1] op_sel_hi:[1,0,0]
	v_mov_b32_e32 v117, v111
	v_pk_mul_f32 v[110:111], v[112:113], v[102:103] op_sel:[0,1]
	s_delay_alu instid0(VALU_DEP_2) | instskip(NEXT) | instid1(VALU_DEP_2)
	v_pk_add_f32 v[30:31], v[30:31], v[116:117] neg_lo:[0,1] neg_hi:[0,1]
	v_pk_fma_f32 v[114:115], v[112:113], v[100:101], v[110:111] op_sel:[0,0,1] op_sel_hi:[1,1,0] neg_lo:[0,0,1] neg_hi:[0,0,1]
	v_pk_fma_f32 v[110:111], v[112:113], v[100:101], v[110:111] op_sel:[0,0,1] op_sel_hi:[1,0,0]
	s_delay_alu instid0(VALU_DEP_1) | instskip(SKIP_4) | instid1(VALU_DEP_1)
	v_mov_b32_e32 v115, v111
	ds_load_b64 v[110:111], v104 offset:368
	v_pk_add_f32 v[12:13], v[12:13], v[114:115] neg_lo:[0,1] neg_hi:[0,1]
	s_wait_dscnt 0x0
	v_pk_mul_f32 v[102:103], v[110:111], v[102:103] op_sel:[0,1]
	v_pk_fma_f32 v[112:113], v[110:111], v[100:101], v[102:103] op_sel:[0,0,1] op_sel_hi:[1,1,0] neg_lo:[0,0,1] neg_hi:[0,0,1]
	v_pk_fma_f32 v[100:101], v[110:111], v[100:101], v[102:103] op_sel:[0,0,1] op_sel_hi:[1,0,0]
	s_delay_alu instid0(VALU_DEP_1) | instskip(NEXT) | instid1(VALU_DEP_1)
	v_mov_b32_e32 v113, v101
	v_pk_add_f32 v[98:99], v[98:99], v[112:113] neg_lo:[0,1] neg_hi:[0,1]
.LBB92_503:
	s_or_b32 exec_lo, exec_lo, s0
	v_lshl_add_u32 v100, v108, 3, v104
	s_barrier_signal -1
	s_barrier_wait -1
	ds_store_b64 v100, v[70:71]
	s_wait_dscnt 0x0
	s_barrier_signal -1
	s_barrier_wait -1
	ds_load_b64 v[102:103], v104 offset:192
	v_mov_b32_e32 v100, 24
	s_cmp_lt_i32 s18, 26
	s_cbranch_scc1 .LBB92_506
; %bb.504:
	v_add3_u32 v101, v105, 0, 0xc8
	v_mov_b32_e32 v100, 24
	s_mov_b32 s0, 25
.LBB92_505:                             ; =>This Inner Loop Header: Depth=1
	ds_load_b64 v[110:111], v101
	s_wait_dscnt 0x1
	v_cmp_gt_f32_e32 vcc_lo, 0, v102
	v_cndmask_b32_e64 v112, v102, -v102, vcc_lo
	v_cmp_gt_f32_e32 vcc_lo, 0, v103
	v_cndmask_b32_e64 v114, v103, -v103, vcc_lo
	s_wait_dscnt 0x0
	v_cmp_gt_f32_e32 vcc_lo, 0, v110
	v_cndmask_b32_e64 v113, v110, -v110, vcc_lo
	v_cmp_gt_f32_e32 vcc_lo, 0, v111
	v_cndmask_b32_e64 v115, v111, -v111, vcc_lo
	s_delay_alu instid0(VALU_DEP_1) | instskip(NEXT) | instid1(VALU_DEP_1)
	v_pk_add_f32 v[112:113], v[112:113], v[114:115]
	v_cmp_lt_f32_e32 vcc_lo, v112, v113
	v_dual_add_nc_u32 v101, 8, v101 :: v_dual_cndmask_b32 v103, v103, v111, vcc_lo
	v_cndmask_b32_e32 v102, v102, v110, vcc_lo
	v_cndmask_b32_e64 v100, v100, s0, vcc_lo
	s_add_co_i32 s0, s0, 1
	s_delay_alu instid0(SALU_CYCLE_1)
	s_cmp_lg_u32 s18, s0
	s_cbranch_scc1 .LBB92_505
.LBB92_506:
	s_wait_dscnt 0x0
	v_cmp_eq_f32_e32 vcc_lo, 0, v102
	v_cmp_eq_f32_e64 s0, 0, v103
	s_and_b32 s0, vcc_lo, s0
	s_delay_alu instid0(SALU_CYCLE_1) | instskip(NEXT) | instid1(SALU_CYCLE_1)
	s_and_saveexec_b32 s1, s0
	s_xor_b32 s0, exec_lo, s1
; %bb.507:
	v_cmp_ne_u32_e32 vcc_lo, 0, v106
	v_cndmask_b32_e32 v106, 25, v106, vcc_lo
; %bb.508:
	s_and_not1_saveexec_b32 s0, s0
	s_cbranch_execz .LBB92_514
; %bb.509:
	v_cmp_ngt_f32_e64 s1, |v102|, |v103|
	s_and_saveexec_b32 s12, s1
	s_delay_alu instid0(SALU_CYCLE_1)
	s_xor_b32 s1, exec_lo, s12
	s_cbranch_execz .LBB92_511
; %bb.510:
	v_div_scale_f32 v101, null, v103, v103, v102
	v_div_scale_f32 v111, vcc_lo, v102, v103, v102
	s_delay_alu instid0(VALU_DEP_2) | instskip(SKIP_1) | instid1(TRANS32_DEP_1)
	v_rcp_f32_e32 v109, v101
	v_nop
	v_fma_f32 v110, -v101, v109, 1.0
	s_delay_alu instid0(VALU_DEP_1) | instskip(NEXT) | instid1(VALU_DEP_1)
	v_fmac_f32_e32 v109, v110, v109
	v_mul_f32_e32 v110, v111, v109
	s_delay_alu instid0(VALU_DEP_1) | instskip(NEXT) | instid1(VALU_DEP_1)
	v_fma_f32 v112, -v101, v110, v111
	v_fmac_f32_e32 v110, v112, v109
	s_delay_alu instid0(VALU_DEP_1) | instskip(NEXT) | instid1(VALU_DEP_1)
	v_fma_f32 v101, -v101, v110, v111
	v_div_fmas_f32 v101, v101, v109, v110
	s_delay_alu instid0(VALU_DEP_1) | instskip(NEXT) | instid1(VALU_DEP_1)
	v_div_fixup_f32 v101, v101, v103, v102
	v_fmac_f32_e32 v103, v102, v101
	s_delay_alu instid0(VALU_DEP_1) | instskip(SKIP_1) | instid1(VALU_DEP_2)
	v_div_scale_f32 v102, null, v103, v103, 1.0
	v_div_scale_f32 v111, vcc_lo, 1.0, v103, 1.0
	v_rcp_f32_e32 v109, v102
	v_nop
	s_delay_alu instid0(TRANS32_DEP_1) | instskip(NEXT) | instid1(VALU_DEP_1)
	v_fma_f32 v110, -v102, v109, 1.0
	v_fmac_f32_e32 v109, v110, v109
	s_delay_alu instid0(VALU_DEP_1) | instskip(NEXT) | instid1(VALU_DEP_1)
	v_mul_f32_e32 v110, v111, v109
	v_fma_f32 v112, -v102, v110, v111
	s_delay_alu instid0(VALU_DEP_1) | instskip(NEXT) | instid1(VALU_DEP_1)
	v_fmac_f32_e32 v110, v112, v109
	v_fma_f32 v102, -v102, v110, v111
	s_delay_alu instid0(VALU_DEP_1) | instskip(NEXT) | instid1(VALU_DEP_1)
	v_div_fmas_f32 v102, v102, v109, v110
	v_div_fixup_f32 v103, v102, v103, 1.0
	s_delay_alu instid0(VALU_DEP_1)
	v_mul_f32_e32 v102, v101, v103
	v_xor_b32_e32 v103, 0x80000000, v103
.LBB92_511:
	s_and_not1_saveexec_b32 s1, s1
	s_cbranch_execz .LBB92_513
; %bb.512:
	s_delay_alu instid0(VALU_DEP_1) | instskip(SKIP_1) | instid1(VALU_DEP_2)
	v_div_scale_f32 v101, null, v102, v102, v103
	v_div_scale_f32 v111, vcc_lo, v103, v102, v103
	v_rcp_f32_e32 v109, v101
	v_nop
	s_delay_alu instid0(TRANS32_DEP_1) | instskip(NEXT) | instid1(VALU_DEP_1)
	v_fma_f32 v110, -v101, v109, 1.0
	v_fmac_f32_e32 v109, v110, v109
	s_delay_alu instid0(VALU_DEP_1) | instskip(NEXT) | instid1(VALU_DEP_1)
	v_mul_f32_e32 v110, v111, v109
	v_fma_f32 v112, -v101, v110, v111
	s_delay_alu instid0(VALU_DEP_1) | instskip(NEXT) | instid1(VALU_DEP_1)
	v_fmac_f32_e32 v110, v112, v109
	v_fma_f32 v101, -v101, v110, v111
	s_delay_alu instid0(VALU_DEP_1) | instskip(NEXT) | instid1(VALU_DEP_1)
	v_div_fmas_f32 v101, v101, v109, v110
	v_div_fixup_f32 v101, v101, v102, v103
	s_delay_alu instid0(VALU_DEP_1) | instskip(NEXT) | instid1(VALU_DEP_1)
	v_fmac_f32_e32 v102, v103, v101
	v_div_scale_f32 v103, null, v102, v102, 1.0
	s_delay_alu instid0(VALU_DEP_1) | instskip(SKIP_1) | instid1(TRANS32_DEP_1)
	v_rcp_f32_e32 v109, v103
	v_nop
	v_fma_f32 v110, -v103, v109, 1.0
	s_delay_alu instid0(VALU_DEP_1) | instskip(SKIP_1) | instid1(VALU_DEP_1)
	v_fmac_f32_e32 v109, v110, v109
	v_div_scale_f32 v110, vcc_lo, 1.0, v102, 1.0
	v_mul_f32_e32 v111, v110, v109
	s_delay_alu instid0(VALU_DEP_1) | instskip(NEXT) | instid1(VALU_DEP_1)
	v_fma_f32 v112, -v103, v111, v110
	v_fmac_f32_e32 v111, v112, v109
	s_delay_alu instid0(VALU_DEP_1) | instskip(NEXT) | instid1(VALU_DEP_1)
	v_fma_f32 v103, -v103, v111, v110
	v_div_fmas_f32 v103, v103, v109, v111
	s_delay_alu instid0(VALU_DEP_1) | instskip(NEXT) | instid1(VALU_DEP_1)
	v_div_fixup_f32 v102, v103, v102, 1.0
	v_mul_f32_e64 v103, v101, -v102
.LBB92_513:
	s_or_b32 exec_lo, exec_lo, s1
.LBB92_514:
	s_delay_alu instid0(SALU_CYCLE_1) | instskip(NEXT) | instid1(SALU_CYCLE_1)
	s_or_b32 exec_lo, exec_lo, s0
	s_mov_b32 s0, exec_lo
	v_cmpx_ne_u32_e64 v108, v100
	s_xor_b32 s0, exec_lo, s0
	s_cbranch_execz .LBB92_520
; %bb.515:
	s_mov_b32 s1, exec_lo
	v_cmpx_eq_u32_e32 24, v108
	s_cbranch_execz .LBB92_519
; %bb.516:
	v_cmp_ne_u32_e32 vcc_lo, 24, v100
	s_xor_b32 s12, s16, -1
	s_delay_alu instid0(SALU_CYCLE_1) | instskip(NEXT) | instid1(SALU_CYCLE_1)
	s_and_b32 s13, s12, vcc_lo
	s_and_saveexec_b32 s12, s13
	s_cbranch_execz .LBB92_518
; %bb.517:
	v_ashrrev_i32_e32 v101, 31, v100
	s_delay_alu instid0(VALU_DEP_1)
	v_lshl_add_u64 v[108:109], v[100:101], 2, v[4:5]
	s_clause 0x1
	global_load_b32 v101, v[108:109], off
	global_load_b32 v107, v[4:5], off offset:96
	s_wait_loadcnt 0x1
	global_store_b32 v[4:5], v101, off offset:96
	s_wait_loadcnt 0x0
	global_store_b32 v[108:109], v107, off
.LBB92_518:
	s_wait_xcnt 0x0
	s_or_b32 exec_lo, exec_lo, s12
	v_dual_mov_b32 v108, v100 :: v_dual_mov_b32 v107, v100
.LBB92_519:
	s_or_b32 exec_lo, exec_lo, s1
.LBB92_520:
	s_and_not1_saveexec_b32 s0, s0
	s_cbranch_execz .LBB92_522
; %bb.521:
	v_mov_b32_e32 v108, 24
	ds_store_2addr_b64 v104, v[66:67], v[26:27] offset0:25 offset1:26
	ds_store_2addr_b64 v104, v[22:23], v[64:65] offset0:27 offset1:28
	;; [unrolled: 1-line block ×11, first 2 shown]
.LBB92_522:
	s_or_b32 exec_lo, exec_lo, s0
	s_delay_alu instid0(SALU_CYCLE_1)
	s_mov_b32 s0, exec_lo
	s_wait_storecnt_dscnt 0x0
	s_barrier_signal -1
	s_barrier_wait -1
	v_cmpx_lt_i32_e32 24, v108
	s_cbranch_execz .LBB92_524
; %bb.523:
	v_pk_mul_f32 v[110:111], v[102:103], v[70:71] op_sel:[1,1] op_sel_hi:[0,1]
	s_delay_alu instid0(VALU_DEP_1)
	v_pk_fma_f32 v[100:101], v[102:103], v[70:71], v[110:111] op_sel_hi:[1,0,1] neg_lo:[0,0,1] neg_hi:[0,0,1]
	v_pk_fma_f32 v[102:103], v[102:103], v[70:71], v[110:111] op_sel_hi:[1,0,1]
	ds_load_2addr_b64 v[110:113], v104 offset0:25 offset1:26
	v_dual_mov_b32 v70, v100 :: v_dual_mov_b32 v71, v103
	s_wait_dscnt 0x0
	v_pk_mul_f32 v[114:115], v[110:111], v[102:103] op_sel:[0,1]
	s_delay_alu instid0(VALU_DEP_1) | instskip(SKIP_1) | instid1(VALU_DEP_1)
	v_pk_fma_f32 v[116:117], v[110:111], v[100:101], v[114:115] op_sel:[0,0,1] op_sel_hi:[1,1,0] neg_lo:[0,0,1] neg_hi:[0,0,1]
	v_pk_fma_f32 v[110:111], v[110:111], v[100:101], v[114:115] op_sel:[0,0,1] op_sel_hi:[1,0,0]
	v_mov_b32_e32 v117, v111
	v_pk_mul_f32 v[110:111], v[112:113], v[102:103] op_sel:[0,1]
	s_delay_alu instid0(VALU_DEP_1) | instskip(SKIP_1) | instid1(VALU_DEP_1)
	v_pk_fma_f32 v[114:115], v[112:113], v[100:101], v[110:111] op_sel:[0,0,1] op_sel_hi:[1,1,0] neg_lo:[0,0,1] neg_hi:[0,0,1]
	v_pk_fma_f32 v[110:111], v[112:113], v[100:101], v[110:111] op_sel:[0,0,1] op_sel_hi:[1,0,0]
	v_mov_b32_e32 v115, v111
	ds_load_2addr_b64 v[110:113], v104 offset0:27 offset1:28
	v_pk_add_f32 v[66:67], v[66:67], v[116:117] neg_lo:[0,1] neg_hi:[0,1]
	v_pk_add_f32 v[26:27], v[26:27], v[114:115] neg_lo:[0,1] neg_hi:[0,1]
	s_wait_dscnt 0x0
	v_pk_mul_f32 v[114:115], v[110:111], v[102:103] op_sel:[0,1]
	s_delay_alu instid0(VALU_DEP_1) | instskip(SKIP_2) | instid1(VALU_DEP_2)
	v_pk_fma_f32 v[116:117], v[110:111], v[100:101], v[114:115] op_sel:[0,0,1] op_sel_hi:[1,1,0] neg_lo:[0,0,1] neg_hi:[0,0,1]
	v_pk_fma_f32 v[110:111], v[110:111], v[100:101], v[114:115] op_sel:[0,0,1] op_sel_hi:[1,0,0]
	v_dual_mul_f32 v114, v113, v103 :: v_dual_mov_b32 v110, v113
	v_dual_mov_b32 v117, v111 :: v_dual_mov_b32 v111, v112
	s_delay_alu instid0(VALU_DEP_2) | instskip(SKIP_1) | instid1(VALU_DEP_3)
	v_pk_fma_f32 v[114:115], v[112:113], v[70:71], v[114:115] op_sel_hi:[1,1,0] neg_lo:[0,0,1] neg_hi:[0,0,1]
	v_mul_f32_e32 v112, v113, v100
	v_pk_add_f32 v[22:23], v[22:23], v[116:117] neg_lo:[0,1] neg_hi:[0,1]
	s_delay_alu instid0(VALU_DEP_2) | instskip(NEXT) | instid1(VALU_DEP_1)
	v_pk_fma_f32 v[110:111], v[110:111], v[70:71], v[112:113] op_sel_hi:[1,1,0]
	v_mov_b32_e32 v115, v111
	ds_load_2addr_b64 v[110:113], v104 offset0:29 offset1:30
	v_pk_add_f32 v[64:65], v[64:65], v[114:115] neg_lo:[0,1] neg_hi:[0,1]
	s_wait_dscnt 0x0
	v_pk_mul_f32 v[114:115], v[110:111], v[102:103] op_sel:[0,1]
	s_delay_alu instid0(VALU_DEP_1) | instskip(SKIP_1) | instid1(VALU_DEP_1)
	v_pk_fma_f32 v[116:117], v[110:111], v[100:101], v[114:115] op_sel:[0,0,1] op_sel_hi:[1,1,0] neg_lo:[0,0,1] neg_hi:[0,0,1]
	v_pk_fma_f32 v[110:111], v[110:111], v[100:101], v[114:115] op_sel:[0,0,1] op_sel_hi:[1,0,0]
	v_mov_b32_e32 v117, v111
	v_pk_mul_f32 v[110:111], v[112:113], v[102:103] op_sel:[0,1]
	s_delay_alu instid0(VALU_DEP_1) | instskip(SKIP_1) | instid1(VALU_DEP_1)
	v_pk_fma_f32 v[114:115], v[112:113], v[100:101], v[110:111] op_sel:[0,0,1] op_sel_hi:[1,1,0] neg_lo:[0,0,1] neg_hi:[0,0,1]
	v_pk_fma_f32 v[110:111], v[112:113], v[100:101], v[110:111] op_sel:[0,0,1] op_sel_hi:[1,0,0]
	v_mov_b32_e32 v115, v111
	ds_load_2addr_b64 v[110:113], v104 offset0:31 offset1:32
	v_pk_add_f32 v[62:63], v[62:63], v[116:117] neg_lo:[0,1] neg_hi:[0,1]
	v_pk_add_f32 v[20:21], v[20:21], v[114:115] neg_lo:[0,1] neg_hi:[0,1]
	s_wait_dscnt 0x0
	v_pk_mul_f32 v[114:115], v[110:111], v[102:103] op_sel:[0,1]
	s_delay_alu instid0(VALU_DEP_1) | instskip(SKIP_1) | instid1(VALU_DEP_1)
	v_pk_fma_f32 v[116:117], v[110:111], v[100:101], v[114:115] op_sel:[0,0,1] op_sel_hi:[1,1,0] neg_lo:[0,0,1] neg_hi:[0,0,1]
	v_pk_fma_f32 v[110:111], v[110:111], v[100:101], v[114:115] op_sel:[0,0,1] op_sel_hi:[1,0,0]
	v_mov_b32_e32 v117, v111
	v_pk_mul_f32 v[110:111], v[112:113], v[102:103] op_sel:[0,1]
	s_delay_alu instid0(VALU_DEP_1) | instskip(SKIP_1) | instid1(VALU_DEP_1)
	v_pk_fma_f32 v[114:115], v[112:113], v[100:101], v[110:111] op_sel:[0,0,1] op_sel_hi:[1,1,0] neg_lo:[0,0,1] neg_hi:[0,0,1]
	v_pk_fma_f32 v[110:111], v[112:113], v[100:101], v[110:111] op_sel:[0,0,1] op_sel_hi:[1,0,0]
	v_mov_b32_e32 v115, v111
	ds_load_2addr_b64 v[110:113], v104 offset0:33 offset1:34
	v_pk_add_f32 v[18:19], v[18:19], v[116:117] neg_lo:[0,1] neg_hi:[0,1]
	v_pk_add_f32 v[60:61], v[60:61], v[114:115] neg_lo:[0,1] neg_hi:[0,1]
	s_wait_dscnt 0x0
	v_dual_mul_f32 v114, v111, v103 :: v_dual_mul_f32 v116, v111, v100
	s_delay_alu instid0(VALU_DEP_1) | instskip(NEXT) | instid1(VALU_DEP_2)
	v_pk_fma_f32 v[114:115], v[110:111], v[70:71], v[114:115] op_sel_hi:[1,1,0] neg_lo:[0,0,1] neg_hi:[0,0,1]
	v_pk_fma_f32 v[110:111], v[110:111], v[70:71], v[116:117] op_sel:[1,0,0] op_sel_hi:[0,1,0]
	s_delay_alu instid0(VALU_DEP_1) | instskip(SKIP_1) | instid1(VALU_DEP_2)
	v_mov_b32_e32 v115, v111
	v_pk_mul_f32 v[110:111], v[112:113], v[102:103] op_sel:[0,1]
	v_pk_add_f32 v[58:59], v[58:59], v[114:115] neg_lo:[0,1] neg_hi:[0,1]
	s_delay_alu instid0(VALU_DEP_2) | instskip(SKIP_1) | instid1(VALU_DEP_1)
	v_pk_fma_f32 v[114:115], v[112:113], v[100:101], v[110:111] op_sel:[0,0,1] op_sel_hi:[1,1,0] neg_lo:[0,0,1] neg_hi:[0,0,1]
	v_pk_fma_f32 v[110:111], v[112:113], v[100:101], v[110:111] op_sel:[0,0,1] op_sel_hi:[1,0,0]
	v_mov_b32_e32 v115, v111
	ds_load_2addr_b64 v[110:113], v104 offset0:35 offset1:36
	v_pk_add_f32 v[16:17], v[16:17], v[114:115] neg_lo:[0,1] neg_hi:[0,1]
	s_wait_dscnt 0x0
	v_pk_mul_f32 v[114:115], v[110:111], v[102:103] op_sel:[0,1]
	s_delay_alu instid0(VALU_DEP_1) | instskip(SKIP_1) | instid1(VALU_DEP_1)
	v_pk_fma_f32 v[116:117], v[110:111], v[100:101], v[114:115] op_sel:[0,0,1] op_sel_hi:[1,1,0] neg_lo:[0,0,1] neg_hi:[0,0,1]
	v_pk_fma_f32 v[110:111], v[110:111], v[100:101], v[114:115] op_sel:[0,0,1] op_sel_hi:[1,0,0]
	v_mov_b32_e32 v117, v111
	v_pk_mul_f32 v[110:111], v[112:113], v[102:103] op_sel:[0,1]
	s_delay_alu instid0(VALU_DEP_2) | instskip(NEXT) | instid1(VALU_DEP_2)
	v_pk_add_f32 v[14:15], v[14:15], v[116:117] neg_lo:[0,1] neg_hi:[0,1]
	v_pk_fma_f32 v[114:115], v[112:113], v[100:101], v[110:111] op_sel:[0,0,1] op_sel_hi:[1,1,0] neg_lo:[0,0,1] neg_hi:[0,0,1]
	v_pk_fma_f32 v[110:111], v[112:113], v[100:101], v[110:111] op_sel:[0,0,1] op_sel_hi:[1,0,0]
	s_delay_alu instid0(VALU_DEP_1) | instskip(SKIP_4) | instid1(VALU_DEP_1)
	v_mov_b32_e32 v115, v111
	ds_load_2addr_b64 v[110:113], v104 offset0:37 offset1:38
	v_pk_add_f32 v[56:57], v[56:57], v[114:115] neg_lo:[0,1] neg_hi:[0,1]
	s_wait_dscnt 0x0
	v_pk_mul_f32 v[114:115], v[110:111], v[102:103] op_sel:[0,1]
	v_pk_fma_f32 v[116:117], v[110:111], v[100:101], v[114:115] op_sel:[0,0,1] op_sel_hi:[1,1,0] neg_lo:[0,0,1] neg_hi:[0,0,1]
	v_pk_fma_f32 v[110:111], v[110:111], v[100:101], v[114:115] op_sel:[0,0,1] op_sel_hi:[1,0,0]
	v_dual_mul_f32 v114, v113, v103 :: v_dual_mov_b32 v110, v113
	s_delay_alu instid0(VALU_DEP_2) | instskip(NEXT) | instid1(VALU_DEP_2)
	v_dual_mov_b32 v117, v111 :: v_dual_mov_b32 v111, v112
	v_pk_fma_f32 v[114:115], v[112:113], v[70:71], v[114:115] op_sel_hi:[1,1,0] neg_lo:[0,0,1] neg_hi:[0,0,1]
	v_mul_f32_e32 v112, v113, v100
	s_delay_alu instid0(VALU_DEP_3) | instskip(NEXT) | instid1(VALU_DEP_2)
	v_pk_add_f32 v[54:55], v[54:55], v[116:117] neg_lo:[0,1] neg_hi:[0,1]
	v_pk_fma_f32 v[110:111], v[110:111], v[70:71], v[112:113] op_sel_hi:[1,1,0]
	s_delay_alu instid0(VALU_DEP_1) | instskip(SKIP_4) | instid1(VALU_DEP_1)
	v_mov_b32_e32 v115, v111
	ds_load_2addr_b64 v[110:113], v104 offset0:39 offset1:40
	v_pk_add_f32 v[10:11], v[10:11], v[114:115] neg_lo:[0,1] neg_hi:[0,1]
	s_wait_dscnt 0x0
	v_pk_mul_f32 v[114:115], v[110:111], v[102:103] op_sel:[0,1]
	v_pk_fma_f32 v[116:117], v[110:111], v[100:101], v[114:115] op_sel:[0,0,1] op_sel_hi:[1,1,0] neg_lo:[0,0,1] neg_hi:[0,0,1]
	v_pk_fma_f32 v[110:111], v[110:111], v[100:101], v[114:115] op_sel:[0,0,1] op_sel_hi:[1,0,0]
	s_delay_alu instid0(VALU_DEP_1) | instskip(SKIP_1) | instid1(VALU_DEP_1)
	v_mov_b32_e32 v117, v111
	v_pk_mul_f32 v[110:111], v[112:113], v[102:103] op_sel:[0,1]
	v_pk_fma_f32 v[114:115], v[112:113], v[100:101], v[110:111] op_sel:[0,0,1] op_sel_hi:[1,1,0] neg_lo:[0,0,1] neg_hi:[0,0,1]
	v_pk_fma_f32 v[110:111], v[112:113], v[100:101], v[110:111] op_sel:[0,0,1] op_sel_hi:[1,0,0]
	s_delay_alu instid0(VALU_DEP_1)
	v_mov_b32_e32 v115, v111
	ds_load_2addr_b64 v[110:113], v104 offset0:41 offset1:42
	v_pk_add_f32 v[6:7], v[6:7], v[116:117] neg_lo:[0,1] neg_hi:[0,1]
	v_pk_add_f32 v[52:53], v[52:53], v[114:115] neg_lo:[0,1] neg_hi:[0,1]
	s_wait_dscnt 0x0
	v_pk_mul_f32 v[114:115], v[110:111], v[102:103] op_sel:[0,1]
	s_delay_alu instid0(VALU_DEP_1) | instskip(SKIP_1) | instid1(VALU_DEP_1)
	v_pk_fma_f32 v[116:117], v[110:111], v[100:101], v[114:115] op_sel:[0,0,1] op_sel_hi:[1,1,0] neg_lo:[0,0,1] neg_hi:[0,0,1]
	v_pk_fma_f32 v[110:111], v[110:111], v[100:101], v[114:115] op_sel:[0,0,1] op_sel_hi:[1,0,0]
	v_mov_b32_e32 v117, v111
	v_pk_mul_f32 v[110:111], v[112:113], v[102:103] op_sel:[0,1]
	s_delay_alu instid0(VALU_DEP_1) | instskip(SKIP_1) | instid1(VALU_DEP_1)
	v_pk_fma_f32 v[114:115], v[112:113], v[100:101], v[110:111] op_sel:[0,0,1] op_sel_hi:[1,1,0] neg_lo:[0,0,1] neg_hi:[0,0,1]
	v_pk_fma_f32 v[110:111], v[112:113], v[100:101], v[110:111] op_sel:[0,0,1] op_sel_hi:[1,0,0]
	v_mov_b32_e32 v115, v111
	ds_load_2addr_b64 v[110:113], v104 offset0:43 offset1:44
	v_pk_add_f32 v[50:51], v[50:51], v[116:117] neg_lo:[0,1] neg_hi:[0,1]
	v_pk_add_f32 v[8:9], v[8:9], v[114:115] neg_lo:[0,1] neg_hi:[0,1]
	s_wait_dscnt 0x0
	v_dual_mul_f32 v114, v111, v103 :: v_dual_mul_f32 v116, v111, v100
	s_delay_alu instid0(VALU_DEP_1) | instskip(NEXT) | instid1(VALU_DEP_2)
	v_pk_fma_f32 v[114:115], v[110:111], v[70:71], v[114:115] op_sel_hi:[1,1,0] neg_lo:[0,0,1] neg_hi:[0,0,1]
	v_pk_fma_f32 v[110:111], v[110:111], v[70:71], v[116:117] op_sel:[1,0,0] op_sel_hi:[0,1,0]
	s_delay_alu instid0(VALU_DEP_1) | instskip(SKIP_1) | instid1(VALU_DEP_2)
	v_mov_b32_e32 v115, v111
	v_pk_mul_f32 v[110:111], v[112:113], v[102:103] op_sel:[0,1]
	v_pk_add_f32 v[40:41], v[40:41], v[114:115] neg_lo:[0,1] neg_hi:[0,1]
	s_delay_alu instid0(VALU_DEP_2) | instskip(SKIP_1) | instid1(VALU_DEP_1)
	v_pk_fma_f32 v[114:115], v[112:113], v[100:101], v[110:111] op_sel:[0,0,1] op_sel_hi:[1,1,0] neg_lo:[0,0,1] neg_hi:[0,0,1]
	v_pk_fma_f32 v[110:111], v[112:113], v[100:101], v[110:111] op_sel:[0,0,1] op_sel_hi:[1,0,0]
	v_mov_b32_e32 v115, v111
	ds_load_2addr_b64 v[110:113], v104 offset0:45 offset1:46
	v_pk_add_f32 v[30:31], v[30:31], v[114:115] neg_lo:[0,1] neg_hi:[0,1]
	s_wait_dscnt 0x0
	v_pk_mul_f32 v[114:115], v[110:111], v[102:103] op_sel:[0,1]
	v_pk_mul_f32 v[102:103], v[112:113], v[102:103] op_sel:[0,1]
	s_delay_alu instid0(VALU_DEP_2) | instskip(SKIP_1) | instid1(VALU_DEP_1)
	v_pk_fma_f32 v[116:117], v[110:111], v[100:101], v[114:115] op_sel:[0,0,1] op_sel_hi:[1,1,0] neg_lo:[0,0,1] neg_hi:[0,0,1]
	v_pk_fma_f32 v[110:111], v[110:111], v[100:101], v[114:115] op_sel:[0,0,1] op_sel_hi:[1,0,0]
	v_mov_b32_e32 v117, v111
	s_delay_alu instid0(VALU_DEP_4) | instskip(SKIP_1) | instid1(VALU_DEP_3)
	v_pk_fma_f32 v[110:111], v[112:113], v[100:101], v[102:103] op_sel:[0,0,1] op_sel_hi:[1,1,0] neg_lo:[0,0,1] neg_hi:[0,0,1]
	v_pk_fma_f32 v[100:101], v[112:113], v[100:101], v[102:103] op_sel:[0,0,1] op_sel_hi:[1,0,0]
	v_pk_add_f32 v[12:13], v[12:13], v[116:117] neg_lo:[0,1] neg_hi:[0,1]
	s_delay_alu instid0(VALU_DEP_2) | instskip(NEXT) | instid1(VALU_DEP_1)
	v_mov_b32_e32 v111, v101
	v_pk_add_f32 v[98:99], v[98:99], v[110:111] neg_lo:[0,1] neg_hi:[0,1]
.LBB92_524:
	s_or_b32 exec_lo, exec_lo, s0
	v_lshl_add_u32 v100, v108, 3, v104
	s_barrier_signal -1
	s_barrier_wait -1
	ds_store_b64 v100, v[66:67]
	s_wait_dscnt 0x0
	s_barrier_signal -1
	s_barrier_wait -1
	ds_load_b64 v[102:103], v104 offset:200
	v_mov_b32_e32 v100, 25
	s_cmp_lt_i32 s18, 27
	s_cbranch_scc1 .LBB92_527
; %bb.525:
	v_add3_u32 v101, v105, 0, 0xd0
	v_mov_b32_e32 v100, 25
	s_mov_b32 s0, 26
.LBB92_526:                             ; =>This Inner Loop Header: Depth=1
	ds_load_b64 v[110:111], v101
	s_wait_dscnt 0x1
	v_cmp_gt_f32_e32 vcc_lo, 0, v102
	v_cndmask_b32_e64 v112, v102, -v102, vcc_lo
	v_cmp_gt_f32_e32 vcc_lo, 0, v103
	v_cndmask_b32_e64 v114, v103, -v103, vcc_lo
	s_wait_dscnt 0x0
	v_cmp_gt_f32_e32 vcc_lo, 0, v110
	v_cndmask_b32_e64 v113, v110, -v110, vcc_lo
	v_cmp_gt_f32_e32 vcc_lo, 0, v111
	v_cndmask_b32_e64 v115, v111, -v111, vcc_lo
	s_delay_alu instid0(VALU_DEP_1) | instskip(NEXT) | instid1(VALU_DEP_1)
	v_pk_add_f32 v[112:113], v[112:113], v[114:115]
	v_cmp_lt_f32_e32 vcc_lo, v112, v113
	v_dual_add_nc_u32 v101, 8, v101 :: v_dual_cndmask_b32 v103, v103, v111, vcc_lo
	v_cndmask_b32_e32 v102, v102, v110, vcc_lo
	v_cndmask_b32_e64 v100, v100, s0, vcc_lo
	s_add_co_i32 s0, s0, 1
	s_delay_alu instid0(SALU_CYCLE_1)
	s_cmp_lg_u32 s18, s0
	s_cbranch_scc1 .LBB92_526
.LBB92_527:
	s_wait_dscnt 0x0
	v_cmp_eq_f32_e32 vcc_lo, 0, v102
	v_cmp_eq_f32_e64 s0, 0, v103
	s_and_b32 s0, vcc_lo, s0
	s_delay_alu instid0(SALU_CYCLE_1) | instskip(NEXT) | instid1(SALU_CYCLE_1)
	s_and_saveexec_b32 s1, s0
	s_xor_b32 s0, exec_lo, s1
; %bb.528:
	v_cmp_ne_u32_e32 vcc_lo, 0, v106
	v_cndmask_b32_e32 v106, 26, v106, vcc_lo
; %bb.529:
	s_and_not1_saveexec_b32 s0, s0
	s_cbranch_execz .LBB92_535
; %bb.530:
	v_cmp_ngt_f32_e64 s1, |v102|, |v103|
	s_and_saveexec_b32 s12, s1
	s_delay_alu instid0(SALU_CYCLE_1)
	s_xor_b32 s1, exec_lo, s12
	s_cbranch_execz .LBB92_532
; %bb.531:
	v_div_scale_f32 v101, null, v103, v103, v102
	v_div_scale_f32 v111, vcc_lo, v102, v103, v102
	s_delay_alu instid0(VALU_DEP_2) | instskip(SKIP_1) | instid1(TRANS32_DEP_1)
	v_rcp_f32_e32 v109, v101
	v_nop
	v_fma_f32 v110, -v101, v109, 1.0
	s_delay_alu instid0(VALU_DEP_1) | instskip(NEXT) | instid1(VALU_DEP_1)
	v_fmac_f32_e32 v109, v110, v109
	v_mul_f32_e32 v110, v111, v109
	s_delay_alu instid0(VALU_DEP_1) | instskip(NEXT) | instid1(VALU_DEP_1)
	v_fma_f32 v112, -v101, v110, v111
	v_fmac_f32_e32 v110, v112, v109
	s_delay_alu instid0(VALU_DEP_1) | instskip(NEXT) | instid1(VALU_DEP_1)
	v_fma_f32 v101, -v101, v110, v111
	v_div_fmas_f32 v101, v101, v109, v110
	s_delay_alu instid0(VALU_DEP_1) | instskip(NEXT) | instid1(VALU_DEP_1)
	v_div_fixup_f32 v101, v101, v103, v102
	v_fmac_f32_e32 v103, v102, v101
	s_delay_alu instid0(VALU_DEP_1) | instskip(SKIP_1) | instid1(VALU_DEP_2)
	v_div_scale_f32 v102, null, v103, v103, 1.0
	v_div_scale_f32 v111, vcc_lo, 1.0, v103, 1.0
	v_rcp_f32_e32 v109, v102
	v_nop
	s_delay_alu instid0(TRANS32_DEP_1) | instskip(NEXT) | instid1(VALU_DEP_1)
	v_fma_f32 v110, -v102, v109, 1.0
	v_fmac_f32_e32 v109, v110, v109
	s_delay_alu instid0(VALU_DEP_1) | instskip(NEXT) | instid1(VALU_DEP_1)
	v_mul_f32_e32 v110, v111, v109
	v_fma_f32 v112, -v102, v110, v111
	s_delay_alu instid0(VALU_DEP_1) | instskip(NEXT) | instid1(VALU_DEP_1)
	v_fmac_f32_e32 v110, v112, v109
	v_fma_f32 v102, -v102, v110, v111
	s_delay_alu instid0(VALU_DEP_1) | instskip(NEXT) | instid1(VALU_DEP_1)
	v_div_fmas_f32 v102, v102, v109, v110
	v_div_fixup_f32 v103, v102, v103, 1.0
	s_delay_alu instid0(VALU_DEP_1)
	v_mul_f32_e32 v102, v101, v103
	v_xor_b32_e32 v103, 0x80000000, v103
.LBB92_532:
	s_and_not1_saveexec_b32 s1, s1
	s_cbranch_execz .LBB92_534
; %bb.533:
	s_delay_alu instid0(VALU_DEP_1) | instskip(SKIP_1) | instid1(VALU_DEP_2)
	v_div_scale_f32 v101, null, v102, v102, v103
	v_div_scale_f32 v111, vcc_lo, v103, v102, v103
	v_rcp_f32_e32 v109, v101
	v_nop
	s_delay_alu instid0(TRANS32_DEP_1) | instskip(NEXT) | instid1(VALU_DEP_1)
	v_fma_f32 v110, -v101, v109, 1.0
	v_fmac_f32_e32 v109, v110, v109
	s_delay_alu instid0(VALU_DEP_1) | instskip(NEXT) | instid1(VALU_DEP_1)
	v_mul_f32_e32 v110, v111, v109
	v_fma_f32 v112, -v101, v110, v111
	s_delay_alu instid0(VALU_DEP_1) | instskip(NEXT) | instid1(VALU_DEP_1)
	v_fmac_f32_e32 v110, v112, v109
	v_fma_f32 v101, -v101, v110, v111
	s_delay_alu instid0(VALU_DEP_1) | instskip(NEXT) | instid1(VALU_DEP_1)
	v_div_fmas_f32 v101, v101, v109, v110
	v_div_fixup_f32 v101, v101, v102, v103
	s_delay_alu instid0(VALU_DEP_1) | instskip(NEXT) | instid1(VALU_DEP_1)
	v_fmac_f32_e32 v102, v103, v101
	v_div_scale_f32 v103, null, v102, v102, 1.0
	s_delay_alu instid0(VALU_DEP_1) | instskip(SKIP_1) | instid1(TRANS32_DEP_1)
	v_rcp_f32_e32 v109, v103
	v_nop
	v_fma_f32 v110, -v103, v109, 1.0
	s_delay_alu instid0(VALU_DEP_1) | instskip(SKIP_1) | instid1(VALU_DEP_1)
	v_fmac_f32_e32 v109, v110, v109
	v_div_scale_f32 v110, vcc_lo, 1.0, v102, 1.0
	v_mul_f32_e32 v111, v110, v109
	s_delay_alu instid0(VALU_DEP_1) | instskip(NEXT) | instid1(VALU_DEP_1)
	v_fma_f32 v112, -v103, v111, v110
	v_fmac_f32_e32 v111, v112, v109
	s_delay_alu instid0(VALU_DEP_1) | instskip(NEXT) | instid1(VALU_DEP_1)
	v_fma_f32 v103, -v103, v111, v110
	v_div_fmas_f32 v103, v103, v109, v111
	s_delay_alu instid0(VALU_DEP_1) | instskip(NEXT) | instid1(VALU_DEP_1)
	v_div_fixup_f32 v102, v103, v102, 1.0
	v_mul_f32_e64 v103, v101, -v102
.LBB92_534:
	s_or_b32 exec_lo, exec_lo, s1
.LBB92_535:
	s_delay_alu instid0(SALU_CYCLE_1) | instskip(NEXT) | instid1(SALU_CYCLE_1)
	s_or_b32 exec_lo, exec_lo, s0
	s_mov_b32 s0, exec_lo
	v_cmpx_ne_u32_e64 v108, v100
	s_xor_b32 s0, exec_lo, s0
	s_cbranch_execz .LBB92_541
; %bb.536:
	s_mov_b32 s1, exec_lo
	v_cmpx_eq_u32_e32 25, v108
	s_cbranch_execz .LBB92_540
; %bb.537:
	v_cmp_ne_u32_e32 vcc_lo, 25, v100
	s_xor_b32 s12, s16, -1
	s_delay_alu instid0(SALU_CYCLE_1) | instskip(NEXT) | instid1(SALU_CYCLE_1)
	s_and_b32 s13, s12, vcc_lo
	s_and_saveexec_b32 s12, s13
	s_cbranch_execz .LBB92_539
; %bb.538:
	v_ashrrev_i32_e32 v101, 31, v100
	s_delay_alu instid0(VALU_DEP_1)
	v_lshl_add_u64 v[108:109], v[100:101], 2, v[4:5]
	s_clause 0x1
	global_load_b32 v101, v[108:109], off
	global_load_b32 v107, v[4:5], off offset:100
	s_wait_loadcnt 0x1
	global_store_b32 v[4:5], v101, off offset:100
	s_wait_loadcnt 0x0
	global_store_b32 v[108:109], v107, off
.LBB92_539:
	s_wait_xcnt 0x0
	s_or_b32 exec_lo, exec_lo, s12
	v_dual_mov_b32 v108, v100 :: v_dual_mov_b32 v107, v100
.LBB92_540:
	s_or_b32 exec_lo, exec_lo, s1
.LBB92_541:
	s_and_not1_saveexec_b32 s0, s0
	s_cbranch_execz .LBB92_543
; %bb.542:
	v_dual_mov_b32 v100, v26 :: v_dual_mov_b32 v101, v27
	v_dual_mov_b32 v108, v22 :: v_dual_mov_b32 v109, v23
	ds_store_2addr_b64 v104, v[100:101], v[108:109] offset0:26 offset1:27
	v_dual_mov_b32 v100, v64 :: v_dual_mov_b32 v101, v65
	v_dual_mov_b32 v108, v62 :: v_dual_mov_b32 v109, v63
	ds_store_2addr_b64 v104, v[100:101], v[108:109] offset0:28 offset1:29
	;; [unrolled: 3-line block ×10, first 2 shown]
	ds_store_b64 v104, v[98:99] offset:368
	v_mov_b32_e32 v108, 25
.LBB92_543:
	s_or_b32 exec_lo, exec_lo, s0
	s_delay_alu instid0(SALU_CYCLE_1)
	s_mov_b32 s0, exec_lo
	s_wait_storecnt_dscnt 0x0
	s_barrier_signal -1
	s_barrier_wait -1
	v_cmpx_lt_i32_e32 25, v108
	s_cbranch_execz .LBB92_545
; %bb.544:
	v_pk_mul_f32 v[110:111], v[102:103], v[66:67] op_sel:[1,1] op_sel_hi:[0,1]
	s_delay_alu instid0(VALU_DEP_1)
	v_pk_fma_f32 v[100:101], v[102:103], v[66:67], v[110:111] op_sel_hi:[1,0,1] neg_lo:[0,0,1] neg_hi:[0,0,1]
	v_pk_fma_f32 v[102:103], v[102:103], v[66:67], v[110:111] op_sel_hi:[1,0,1]
	ds_load_2addr_b64 v[110:113], v104 offset0:26 offset1:27
	v_dual_mov_b32 v66, v100 :: v_dual_mov_b32 v67, v103
	s_wait_dscnt 0x0
	v_pk_mul_f32 v[114:115], v[110:111], v[102:103] op_sel:[0,1]
	s_delay_alu instid0(VALU_DEP_1) | instskip(SKIP_1) | instid1(VALU_DEP_1)
	v_pk_fma_f32 v[116:117], v[110:111], v[100:101], v[114:115] op_sel:[0,0,1] op_sel_hi:[1,1,0] neg_lo:[0,0,1] neg_hi:[0,0,1]
	v_pk_fma_f32 v[110:111], v[110:111], v[100:101], v[114:115] op_sel:[0,0,1] op_sel_hi:[1,0,0]
	v_mov_b32_e32 v117, v111
	v_pk_mul_f32 v[110:111], v[112:113], v[102:103] op_sel:[0,1]
	s_delay_alu instid0(VALU_DEP_1) | instskip(SKIP_1) | instid1(VALU_DEP_1)
	v_pk_fma_f32 v[114:115], v[112:113], v[100:101], v[110:111] op_sel:[0,0,1] op_sel_hi:[1,1,0] neg_lo:[0,0,1] neg_hi:[0,0,1]
	v_pk_fma_f32 v[110:111], v[112:113], v[100:101], v[110:111] op_sel:[0,0,1] op_sel_hi:[1,0,0]
	v_mov_b32_e32 v115, v111
	ds_load_2addr_b64 v[110:113], v104 offset0:28 offset1:29
	v_pk_add_f32 v[26:27], v[26:27], v[116:117] neg_lo:[0,1] neg_hi:[0,1]
	v_pk_add_f32 v[22:23], v[22:23], v[114:115] neg_lo:[0,1] neg_hi:[0,1]
	s_wait_dscnt 0x0
	v_pk_mul_f32 v[114:115], v[110:111], v[102:103] op_sel:[0,1]
	s_delay_alu instid0(VALU_DEP_1) | instskip(SKIP_2) | instid1(VALU_DEP_2)
	v_pk_fma_f32 v[116:117], v[110:111], v[100:101], v[114:115] op_sel:[0,0,1] op_sel_hi:[1,1,0] neg_lo:[0,0,1] neg_hi:[0,0,1]
	v_pk_fma_f32 v[110:111], v[110:111], v[100:101], v[114:115] op_sel:[0,0,1] op_sel_hi:[1,0,0]
	v_dual_mul_f32 v114, v113, v103 :: v_dual_mov_b32 v110, v113
	v_dual_mov_b32 v117, v111 :: v_dual_mov_b32 v111, v112
	s_delay_alu instid0(VALU_DEP_2) | instskip(SKIP_1) | instid1(VALU_DEP_3)
	v_pk_fma_f32 v[114:115], v[112:113], v[66:67], v[114:115] op_sel_hi:[1,1,0] neg_lo:[0,0,1] neg_hi:[0,0,1]
	v_mul_f32_e32 v112, v113, v100
	v_pk_add_f32 v[64:65], v[64:65], v[116:117] neg_lo:[0,1] neg_hi:[0,1]
	s_delay_alu instid0(VALU_DEP_2) | instskip(NEXT) | instid1(VALU_DEP_1)
	v_pk_fma_f32 v[110:111], v[110:111], v[66:67], v[112:113] op_sel_hi:[1,1,0]
	v_mov_b32_e32 v115, v111
	ds_load_2addr_b64 v[110:113], v104 offset0:30 offset1:31
	v_pk_add_f32 v[62:63], v[62:63], v[114:115] neg_lo:[0,1] neg_hi:[0,1]
	s_wait_dscnt 0x0
	v_pk_mul_f32 v[114:115], v[110:111], v[102:103] op_sel:[0,1]
	s_delay_alu instid0(VALU_DEP_1) | instskip(SKIP_1) | instid1(VALU_DEP_1)
	v_pk_fma_f32 v[116:117], v[110:111], v[100:101], v[114:115] op_sel:[0,0,1] op_sel_hi:[1,1,0] neg_lo:[0,0,1] neg_hi:[0,0,1]
	v_pk_fma_f32 v[110:111], v[110:111], v[100:101], v[114:115] op_sel:[0,0,1] op_sel_hi:[1,0,0]
	v_mov_b32_e32 v117, v111
	v_pk_mul_f32 v[110:111], v[112:113], v[102:103] op_sel:[0,1]
	s_delay_alu instid0(VALU_DEP_1) | instskip(SKIP_1) | instid1(VALU_DEP_1)
	v_pk_fma_f32 v[114:115], v[112:113], v[100:101], v[110:111] op_sel:[0,0,1] op_sel_hi:[1,1,0] neg_lo:[0,0,1] neg_hi:[0,0,1]
	v_pk_fma_f32 v[110:111], v[112:113], v[100:101], v[110:111] op_sel:[0,0,1] op_sel_hi:[1,0,0]
	v_mov_b32_e32 v115, v111
	ds_load_2addr_b64 v[110:113], v104 offset0:32 offset1:33
	v_pk_add_f32 v[20:21], v[20:21], v[116:117] neg_lo:[0,1] neg_hi:[0,1]
	v_pk_add_f32 v[18:19], v[18:19], v[114:115] neg_lo:[0,1] neg_hi:[0,1]
	s_wait_dscnt 0x0
	v_pk_mul_f32 v[114:115], v[110:111], v[102:103] op_sel:[0,1]
	s_delay_alu instid0(VALU_DEP_1) | instskip(SKIP_1) | instid1(VALU_DEP_1)
	v_pk_fma_f32 v[116:117], v[110:111], v[100:101], v[114:115] op_sel:[0,0,1] op_sel_hi:[1,1,0] neg_lo:[0,0,1] neg_hi:[0,0,1]
	v_pk_fma_f32 v[110:111], v[110:111], v[100:101], v[114:115] op_sel:[0,0,1] op_sel_hi:[1,0,0]
	v_mov_b32_e32 v117, v111
	v_pk_mul_f32 v[110:111], v[112:113], v[102:103] op_sel:[0,1]
	s_delay_alu instid0(VALU_DEP_1) | instskip(SKIP_1) | instid1(VALU_DEP_1)
	v_pk_fma_f32 v[114:115], v[112:113], v[100:101], v[110:111] op_sel:[0,0,1] op_sel_hi:[1,1,0] neg_lo:[0,0,1] neg_hi:[0,0,1]
	v_pk_fma_f32 v[110:111], v[112:113], v[100:101], v[110:111] op_sel:[0,0,1] op_sel_hi:[1,0,0]
	v_mov_b32_e32 v115, v111
	ds_load_2addr_b64 v[110:113], v104 offset0:34 offset1:35
	v_pk_add_f32 v[60:61], v[60:61], v[116:117] neg_lo:[0,1] neg_hi:[0,1]
	v_pk_add_f32 v[58:59], v[58:59], v[114:115] neg_lo:[0,1] neg_hi:[0,1]
	s_wait_dscnt 0x0
	v_dual_mul_f32 v114, v111, v103 :: v_dual_mul_f32 v116, v111, v100
	s_delay_alu instid0(VALU_DEP_1) | instskip(NEXT) | instid1(VALU_DEP_2)
	v_pk_fma_f32 v[114:115], v[110:111], v[66:67], v[114:115] op_sel_hi:[1,1,0] neg_lo:[0,0,1] neg_hi:[0,0,1]
	v_pk_fma_f32 v[110:111], v[110:111], v[66:67], v[116:117] op_sel:[1,0,0] op_sel_hi:[0,1,0]
	s_delay_alu instid0(VALU_DEP_1) | instskip(SKIP_1) | instid1(VALU_DEP_2)
	v_mov_b32_e32 v115, v111
	v_pk_mul_f32 v[110:111], v[112:113], v[102:103] op_sel:[0,1]
	v_pk_add_f32 v[16:17], v[16:17], v[114:115] neg_lo:[0,1] neg_hi:[0,1]
	s_delay_alu instid0(VALU_DEP_2) | instskip(SKIP_1) | instid1(VALU_DEP_1)
	v_pk_fma_f32 v[114:115], v[112:113], v[100:101], v[110:111] op_sel:[0,0,1] op_sel_hi:[1,1,0] neg_lo:[0,0,1] neg_hi:[0,0,1]
	v_pk_fma_f32 v[110:111], v[112:113], v[100:101], v[110:111] op_sel:[0,0,1] op_sel_hi:[1,0,0]
	v_mov_b32_e32 v115, v111
	ds_load_2addr_b64 v[110:113], v104 offset0:36 offset1:37
	v_pk_add_f32 v[14:15], v[14:15], v[114:115] neg_lo:[0,1] neg_hi:[0,1]
	s_wait_dscnt 0x0
	v_pk_mul_f32 v[114:115], v[110:111], v[102:103] op_sel:[0,1]
	s_delay_alu instid0(VALU_DEP_1) | instskip(SKIP_1) | instid1(VALU_DEP_1)
	v_pk_fma_f32 v[116:117], v[110:111], v[100:101], v[114:115] op_sel:[0,0,1] op_sel_hi:[1,1,0] neg_lo:[0,0,1] neg_hi:[0,0,1]
	v_pk_fma_f32 v[110:111], v[110:111], v[100:101], v[114:115] op_sel:[0,0,1] op_sel_hi:[1,0,0]
	v_mov_b32_e32 v117, v111
	v_pk_mul_f32 v[110:111], v[112:113], v[102:103] op_sel:[0,1]
	s_delay_alu instid0(VALU_DEP_2) | instskip(NEXT) | instid1(VALU_DEP_2)
	v_pk_add_f32 v[56:57], v[56:57], v[116:117] neg_lo:[0,1] neg_hi:[0,1]
	v_pk_fma_f32 v[114:115], v[112:113], v[100:101], v[110:111] op_sel:[0,0,1] op_sel_hi:[1,1,0] neg_lo:[0,0,1] neg_hi:[0,0,1]
	v_pk_fma_f32 v[110:111], v[112:113], v[100:101], v[110:111] op_sel:[0,0,1] op_sel_hi:[1,0,0]
	s_delay_alu instid0(VALU_DEP_1) | instskip(SKIP_4) | instid1(VALU_DEP_1)
	v_mov_b32_e32 v115, v111
	ds_load_2addr_b64 v[110:113], v104 offset0:38 offset1:39
	v_pk_add_f32 v[54:55], v[54:55], v[114:115] neg_lo:[0,1] neg_hi:[0,1]
	s_wait_dscnt 0x0
	v_pk_mul_f32 v[114:115], v[110:111], v[102:103] op_sel:[0,1]
	v_pk_fma_f32 v[116:117], v[110:111], v[100:101], v[114:115] op_sel:[0,0,1] op_sel_hi:[1,1,0] neg_lo:[0,0,1] neg_hi:[0,0,1]
	v_pk_fma_f32 v[110:111], v[110:111], v[100:101], v[114:115] op_sel:[0,0,1] op_sel_hi:[1,0,0]
	v_dual_mul_f32 v114, v113, v103 :: v_dual_mov_b32 v110, v113
	s_delay_alu instid0(VALU_DEP_2) | instskip(NEXT) | instid1(VALU_DEP_2)
	v_dual_mov_b32 v117, v111 :: v_dual_mov_b32 v111, v112
	v_pk_fma_f32 v[114:115], v[112:113], v[66:67], v[114:115] op_sel_hi:[1,1,0] neg_lo:[0,0,1] neg_hi:[0,0,1]
	v_mul_f32_e32 v112, v113, v100
	s_delay_alu instid0(VALU_DEP_3) | instskip(NEXT) | instid1(VALU_DEP_2)
	v_pk_add_f32 v[10:11], v[10:11], v[116:117] neg_lo:[0,1] neg_hi:[0,1]
	v_pk_fma_f32 v[110:111], v[110:111], v[66:67], v[112:113] op_sel_hi:[1,1,0]
	s_delay_alu instid0(VALU_DEP_1) | instskip(SKIP_4) | instid1(VALU_DEP_1)
	v_mov_b32_e32 v115, v111
	ds_load_2addr_b64 v[110:113], v104 offset0:40 offset1:41
	v_pk_add_f32 v[6:7], v[6:7], v[114:115] neg_lo:[0,1] neg_hi:[0,1]
	s_wait_dscnt 0x0
	v_pk_mul_f32 v[114:115], v[110:111], v[102:103] op_sel:[0,1]
	v_pk_fma_f32 v[116:117], v[110:111], v[100:101], v[114:115] op_sel:[0,0,1] op_sel_hi:[1,1,0] neg_lo:[0,0,1] neg_hi:[0,0,1]
	v_pk_fma_f32 v[110:111], v[110:111], v[100:101], v[114:115] op_sel:[0,0,1] op_sel_hi:[1,0,0]
	s_delay_alu instid0(VALU_DEP_1) | instskip(SKIP_1) | instid1(VALU_DEP_1)
	v_mov_b32_e32 v117, v111
	v_pk_mul_f32 v[110:111], v[112:113], v[102:103] op_sel:[0,1]
	v_pk_fma_f32 v[114:115], v[112:113], v[100:101], v[110:111] op_sel:[0,0,1] op_sel_hi:[1,1,0] neg_lo:[0,0,1] neg_hi:[0,0,1]
	v_pk_fma_f32 v[110:111], v[112:113], v[100:101], v[110:111] op_sel:[0,0,1] op_sel_hi:[1,0,0]
	s_delay_alu instid0(VALU_DEP_1)
	v_mov_b32_e32 v115, v111
	ds_load_2addr_b64 v[110:113], v104 offset0:42 offset1:43
	v_pk_add_f32 v[52:53], v[52:53], v[116:117] neg_lo:[0,1] neg_hi:[0,1]
	v_pk_add_f32 v[50:51], v[50:51], v[114:115] neg_lo:[0,1] neg_hi:[0,1]
	s_wait_dscnt 0x0
	v_pk_mul_f32 v[114:115], v[110:111], v[102:103] op_sel:[0,1]
	s_delay_alu instid0(VALU_DEP_1) | instskip(SKIP_1) | instid1(VALU_DEP_1)
	v_pk_fma_f32 v[116:117], v[110:111], v[100:101], v[114:115] op_sel:[0,0,1] op_sel_hi:[1,1,0] neg_lo:[0,0,1] neg_hi:[0,0,1]
	v_pk_fma_f32 v[110:111], v[110:111], v[100:101], v[114:115] op_sel:[0,0,1] op_sel_hi:[1,0,0]
	v_mov_b32_e32 v117, v111
	v_pk_mul_f32 v[110:111], v[112:113], v[102:103] op_sel:[0,1]
	s_delay_alu instid0(VALU_DEP_1) | instskip(SKIP_1) | instid1(VALU_DEP_1)
	v_pk_fma_f32 v[114:115], v[112:113], v[100:101], v[110:111] op_sel:[0,0,1] op_sel_hi:[1,1,0] neg_lo:[0,0,1] neg_hi:[0,0,1]
	v_pk_fma_f32 v[110:111], v[112:113], v[100:101], v[110:111] op_sel:[0,0,1] op_sel_hi:[1,0,0]
	v_mov_b32_e32 v115, v111
	ds_load_2addr_b64 v[110:113], v104 offset0:44 offset1:45
	v_pk_add_f32 v[8:9], v[8:9], v[116:117] neg_lo:[0,1] neg_hi:[0,1]
	v_pk_add_f32 v[40:41], v[40:41], v[114:115] neg_lo:[0,1] neg_hi:[0,1]
	s_wait_dscnt 0x0
	v_dual_mul_f32 v114, v111, v103 :: v_dual_mul_f32 v116, v111, v100
	s_delay_alu instid0(VALU_DEP_1) | instskip(NEXT) | instid1(VALU_DEP_2)
	v_pk_fma_f32 v[114:115], v[110:111], v[66:67], v[114:115] op_sel_hi:[1,1,0] neg_lo:[0,0,1] neg_hi:[0,0,1]
	v_pk_fma_f32 v[110:111], v[110:111], v[66:67], v[116:117] op_sel:[1,0,0] op_sel_hi:[0,1,0]
	s_delay_alu instid0(VALU_DEP_1) | instskip(SKIP_1) | instid1(VALU_DEP_2)
	v_mov_b32_e32 v115, v111
	v_pk_mul_f32 v[110:111], v[112:113], v[102:103] op_sel:[0,1]
	v_pk_add_f32 v[30:31], v[30:31], v[114:115] neg_lo:[0,1] neg_hi:[0,1]
	s_delay_alu instid0(VALU_DEP_2) | instskip(SKIP_1) | instid1(VALU_DEP_1)
	v_pk_fma_f32 v[114:115], v[112:113], v[100:101], v[110:111] op_sel:[0,0,1] op_sel_hi:[1,1,0] neg_lo:[0,0,1] neg_hi:[0,0,1]
	v_pk_fma_f32 v[110:111], v[112:113], v[100:101], v[110:111] op_sel:[0,0,1] op_sel_hi:[1,0,0]
	v_mov_b32_e32 v115, v111
	ds_load_b64 v[110:111], v104 offset:368
	v_pk_add_f32 v[12:13], v[12:13], v[114:115] neg_lo:[0,1] neg_hi:[0,1]
	s_wait_dscnt 0x0
	v_pk_mul_f32 v[102:103], v[110:111], v[102:103] op_sel:[0,1]
	s_delay_alu instid0(VALU_DEP_1) | instskip(SKIP_1) | instid1(VALU_DEP_1)
	v_pk_fma_f32 v[112:113], v[110:111], v[100:101], v[102:103] op_sel:[0,0,1] op_sel_hi:[1,1,0] neg_lo:[0,0,1] neg_hi:[0,0,1]
	v_pk_fma_f32 v[100:101], v[110:111], v[100:101], v[102:103] op_sel:[0,0,1] op_sel_hi:[1,0,0]
	v_mov_b32_e32 v113, v101
	s_delay_alu instid0(VALU_DEP_1)
	v_pk_add_f32 v[98:99], v[98:99], v[112:113] neg_lo:[0,1] neg_hi:[0,1]
.LBB92_545:
	s_or_b32 exec_lo, exec_lo, s0
	v_lshl_add_u32 v100, v108, 3, v104
	s_barrier_signal -1
	s_barrier_wait -1
	ds_store_b64 v100, v[26:27]
	s_wait_dscnt 0x0
	s_barrier_signal -1
	s_barrier_wait -1
	ds_load_b64 v[102:103], v104 offset:208
	v_mov_b32_e32 v100, 26
	s_cmp_lt_i32 s18, 28
	s_cbranch_scc1 .LBB92_548
; %bb.546:
	v_add3_u32 v101, v105, 0, 0xd8
	v_mov_b32_e32 v100, 26
	s_mov_b32 s0, 27
.LBB92_547:                             ; =>This Inner Loop Header: Depth=1
	ds_load_b64 v[110:111], v101
	s_wait_dscnt 0x1
	v_cmp_gt_f32_e32 vcc_lo, 0, v102
	v_cndmask_b32_e64 v112, v102, -v102, vcc_lo
	v_cmp_gt_f32_e32 vcc_lo, 0, v103
	v_cndmask_b32_e64 v114, v103, -v103, vcc_lo
	s_wait_dscnt 0x0
	v_cmp_gt_f32_e32 vcc_lo, 0, v110
	v_cndmask_b32_e64 v113, v110, -v110, vcc_lo
	v_cmp_gt_f32_e32 vcc_lo, 0, v111
	v_cndmask_b32_e64 v115, v111, -v111, vcc_lo
	s_delay_alu instid0(VALU_DEP_1) | instskip(NEXT) | instid1(VALU_DEP_1)
	v_pk_add_f32 v[112:113], v[112:113], v[114:115]
	v_cmp_lt_f32_e32 vcc_lo, v112, v113
	v_dual_add_nc_u32 v101, 8, v101 :: v_dual_cndmask_b32 v103, v103, v111, vcc_lo
	v_cndmask_b32_e32 v102, v102, v110, vcc_lo
	v_cndmask_b32_e64 v100, v100, s0, vcc_lo
	s_add_co_i32 s0, s0, 1
	s_delay_alu instid0(SALU_CYCLE_1)
	s_cmp_lg_u32 s18, s0
	s_cbranch_scc1 .LBB92_547
.LBB92_548:
	s_wait_dscnt 0x0
	v_cmp_eq_f32_e32 vcc_lo, 0, v102
	v_cmp_eq_f32_e64 s0, 0, v103
	s_and_b32 s0, vcc_lo, s0
	s_delay_alu instid0(SALU_CYCLE_1) | instskip(NEXT) | instid1(SALU_CYCLE_1)
	s_and_saveexec_b32 s1, s0
	s_xor_b32 s0, exec_lo, s1
; %bb.549:
	v_cmp_ne_u32_e32 vcc_lo, 0, v106
	v_cndmask_b32_e32 v106, 27, v106, vcc_lo
; %bb.550:
	s_and_not1_saveexec_b32 s0, s0
	s_cbranch_execz .LBB92_556
; %bb.551:
	v_cmp_ngt_f32_e64 s1, |v102|, |v103|
	s_and_saveexec_b32 s12, s1
	s_delay_alu instid0(SALU_CYCLE_1)
	s_xor_b32 s1, exec_lo, s12
	s_cbranch_execz .LBB92_553
; %bb.552:
	v_div_scale_f32 v101, null, v103, v103, v102
	v_div_scale_f32 v111, vcc_lo, v102, v103, v102
	s_delay_alu instid0(VALU_DEP_2) | instskip(SKIP_1) | instid1(TRANS32_DEP_1)
	v_rcp_f32_e32 v109, v101
	v_nop
	v_fma_f32 v110, -v101, v109, 1.0
	s_delay_alu instid0(VALU_DEP_1) | instskip(NEXT) | instid1(VALU_DEP_1)
	v_fmac_f32_e32 v109, v110, v109
	v_mul_f32_e32 v110, v111, v109
	s_delay_alu instid0(VALU_DEP_1) | instskip(NEXT) | instid1(VALU_DEP_1)
	v_fma_f32 v112, -v101, v110, v111
	v_fmac_f32_e32 v110, v112, v109
	s_delay_alu instid0(VALU_DEP_1) | instskip(NEXT) | instid1(VALU_DEP_1)
	v_fma_f32 v101, -v101, v110, v111
	v_div_fmas_f32 v101, v101, v109, v110
	s_delay_alu instid0(VALU_DEP_1) | instskip(NEXT) | instid1(VALU_DEP_1)
	v_div_fixup_f32 v101, v101, v103, v102
	v_fmac_f32_e32 v103, v102, v101
	s_delay_alu instid0(VALU_DEP_1) | instskip(SKIP_1) | instid1(VALU_DEP_2)
	v_div_scale_f32 v102, null, v103, v103, 1.0
	v_div_scale_f32 v111, vcc_lo, 1.0, v103, 1.0
	v_rcp_f32_e32 v109, v102
	v_nop
	s_delay_alu instid0(TRANS32_DEP_1) | instskip(NEXT) | instid1(VALU_DEP_1)
	v_fma_f32 v110, -v102, v109, 1.0
	v_fmac_f32_e32 v109, v110, v109
	s_delay_alu instid0(VALU_DEP_1) | instskip(NEXT) | instid1(VALU_DEP_1)
	v_mul_f32_e32 v110, v111, v109
	v_fma_f32 v112, -v102, v110, v111
	s_delay_alu instid0(VALU_DEP_1) | instskip(NEXT) | instid1(VALU_DEP_1)
	v_fmac_f32_e32 v110, v112, v109
	v_fma_f32 v102, -v102, v110, v111
	s_delay_alu instid0(VALU_DEP_1) | instskip(NEXT) | instid1(VALU_DEP_1)
	v_div_fmas_f32 v102, v102, v109, v110
	v_div_fixup_f32 v103, v102, v103, 1.0
	s_delay_alu instid0(VALU_DEP_1)
	v_mul_f32_e32 v102, v101, v103
	v_xor_b32_e32 v103, 0x80000000, v103
.LBB92_553:
	s_and_not1_saveexec_b32 s1, s1
	s_cbranch_execz .LBB92_555
; %bb.554:
	s_delay_alu instid0(VALU_DEP_1) | instskip(SKIP_1) | instid1(VALU_DEP_2)
	v_div_scale_f32 v101, null, v102, v102, v103
	v_div_scale_f32 v111, vcc_lo, v103, v102, v103
	v_rcp_f32_e32 v109, v101
	v_nop
	s_delay_alu instid0(TRANS32_DEP_1) | instskip(NEXT) | instid1(VALU_DEP_1)
	v_fma_f32 v110, -v101, v109, 1.0
	v_fmac_f32_e32 v109, v110, v109
	s_delay_alu instid0(VALU_DEP_1) | instskip(NEXT) | instid1(VALU_DEP_1)
	v_mul_f32_e32 v110, v111, v109
	v_fma_f32 v112, -v101, v110, v111
	s_delay_alu instid0(VALU_DEP_1) | instskip(NEXT) | instid1(VALU_DEP_1)
	v_fmac_f32_e32 v110, v112, v109
	v_fma_f32 v101, -v101, v110, v111
	s_delay_alu instid0(VALU_DEP_1) | instskip(NEXT) | instid1(VALU_DEP_1)
	v_div_fmas_f32 v101, v101, v109, v110
	v_div_fixup_f32 v101, v101, v102, v103
	s_delay_alu instid0(VALU_DEP_1) | instskip(NEXT) | instid1(VALU_DEP_1)
	v_fmac_f32_e32 v102, v103, v101
	v_div_scale_f32 v103, null, v102, v102, 1.0
	s_delay_alu instid0(VALU_DEP_1) | instskip(SKIP_1) | instid1(TRANS32_DEP_1)
	v_rcp_f32_e32 v109, v103
	v_nop
	v_fma_f32 v110, -v103, v109, 1.0
	s_delay_alu instid0(VALU_DEP_1) | instskip(SKIP_1) | instid1(VALU_DEP_1)
	v_fmac_f32_e32 v109, v110, v109
	v_div_scale_f32 v110, vcc_lo, 1.0, v102, 1.0
	v_mul_f32_e32 v111, v110, v109
	s_delay_alu instid0(VALU_DEP_1) | instskip(NEXT) | instid1(VALU_DEP_1)
	v_fma_f32 v112, -v103, v111, v110
	v_fmac_f32_e32 v111, v112, v109
	s_delay_alu instid0(VALU_DEP_1) | instskip(NEXT) | instid1(VALU_DEP_1)
	v_fma_f32 v103, -v103, v111, v110
	v_div_fmas_f32 v103, v103, v109, v111
	s_delay_alu instid0(VALU_DEP_1) | instskip(NEXT) | instid1(VALU_DEP_1)
	v_div_fixup_f32 v102, v103, v102, 1.0
	v_mul_f32_e64 v103, v101, -v102
.LBB92_555:
	s_or_b32 exec_lo, exec_lo, s1
.LBB92_556:
	s_delay_alu instid0(SALU_CYCLE_1) | instskip(NEXT) | instid1(SALU_CYCLE_1)
	s_or_b32 exec_lo, exec_lo, s0
	s_mov_b32 s0, exec_lo
	v_cmpx_ne_u32_e64 v108, v100
	s_xor_b32 s0, exec_lo, s0
	s_cbranch_execz .LBB92_562
; %bb.557:
	s_mov_b32 s1, exec_lo
	v_cmpx_eq_u32_e32 26, v108
	s_cbranch_execz .LBB92_561
; %bb.558:
	v_cmp_ne_u32_e32 vcc_lo, 26, v100
	s_xor_b32 s12, s16, -1
	s_delay_alu instid0(SALU_CYCLE_1) | instskip(NEXT) | instid1(SALU_CYCLE_1)
	s_and_b32 s13, s12, vcc_lo
	s_and_saveexec_b32 s12, s13
	s_cbranch_execz .LBB92_560
; %bb.559:
	v_ashrrev_i32_e32 v101, 31, v100
	s_delay_alu instid0(VALU_DEP_1)
	v_lshl_add_u64 v[108:109], v[100:101], 2, v[4:5]
	s_clause 0x1
	global_load_b32 v101, v[108:109], off
	global_load_b32 v107, v[4:5], off offset:104
	s_wait_loadcnt 0x1
	global_store_b32 v[4:5], v101, off offset:104
	s_wait_loadcnt 0x0
	global_store_b32 v[108:109], v107, off
.LBB92_560:
	s_wait_xcnt 0x0
	s_or_b32 exec_lo, exec_lo, s12
	v_dual_mov_b32 v108, v100 :: v_dual_mov_b32 v107, v100
.LBB92_561:
	s_or_b32 exec_lo, exec_lo, s1
.LBB92_562:
	s_and_not1_saveexec_b32 s0, s0
	s_cbranch_execz .LBB92_564
; %bb.563:
	v_mov_b32_e32 v108, 26
	ds_store_2addr_b64 v104, v[22:23], v[64:65] offset0:27 offset1:28
	ds_store_2addr_b64 v104, v[62:63], v[20:21] offset0:29 offset1:30
	;; [unrolled: 1-line block ×10, first 2 shown]
.LBB92_564:
	s_or_b32 exec_lo, exec_lo, s0
	s_delay_alu instid0(SALU_CYCLE_1)
	s_mov_b32 s0, exec_lo
	s_wait_storecnt_dscnt 0x0
	s_barrier_signal -1
	s_barrier_wait -1
	v_cmpx_lt_i32_e32 26, v108
	s_cbranch_execz .LBB92_566
; %bb.565:
	v_pk_mul_f32 v[110:111], v[102:103], v[26:27] op_sel:[1,1] op_sel_hi:[0,1]
	s_delay_alu instid0(VALU_DEP_1)
	v_pk_fma_f32 v[100:101], v[102:103], v[26:27], v[110:111] op_sel_hi:[1,0,1] neg_lo:[0,0,1] neg_hi:[0,0,1]
	v_pk_fma_f32 v[102:103], v[102:103], v[26:27], v[110:111] op_sel_hi:[1,0,1]
	ds_load_2addr_b64 v[110:113], v104 offset0:27 offset1:28
	v_dual_mov_b32 v26, v100 :: v_dual_mov_b32 v27, v103
	s_wait_dscnt 0x0
	v_pk_mul_f32 v[114:115], v[110:111], v[102:103] op_sel:[0,1]
	s_delay_alu instid0(VALU_DEP_1) | instskip(SKIP_1) | instid1(VALU_DEP_1)
	v_pk_fma_f32 v[116:117], v[110:111], v[100:101], v[114:115] op_sel:[0,0,1] op_sel_hi:[1,1,0] neg_lo:[0,0,1] neg_hi:[0,0,1]
	v_pk_fma_f32 v[110:111], v[110:111], v[100:101], v[114:115] op_sel:[0,0,1] op_sel_hi:[1,0,0]
	v_mov_b32_e32 v117, v111
	v_pk_mul_f32 v[110:111], v[112:113], v[102:103] op_sel:[0,1]
	s_delay_alu instid0(VALU_DEP_1) | instskip(SKIP_1) | instid1(VALU_DEP_1)
	v_pk_fma_f32 v[114:115], v[112:113], v[100:101], v[110:111] op_sel:[0,0,1] op_sel_hi:[1,1,0] neg_lo:[0,0,1] neg_hi:[0,0,1]
	v_pk_fma_f32 v[110:111], v[112:113], v[100:101], v[110:111] op_sel:[0,0,1] op_sel_hi:[1,0,0]
	v_mov_b32_e32 v115, v111
	ds_load_2addr_b64 v[110:113], v104 offset0:29 offset1:30
	v_pk_add_f32 v[22:23], v[22:23], v[116:117] neg_lo:[0,1] neg_hi:[0,1]
	v_pk_add_f32 v[64:65], v[64:65], v[114:115] neg_lo:[0,1] neg_hi:[0,1]
	s_wait_dscnt 0x0
	v_pk_mul_f32 v[114:115], v[110:111], v[102:103] op_sel:[0,1]
	s_delay_alu instid0(VALU_DEP_1) | instskip(SKIP_2) | instid1(VALU_DEP_2)
	v_pk_fma_f32 v[116:117], v[110:111], v[100:101], v[114:115] op_sel:[0,0,1] op_sel_hi:[1,1,0] neg_lo:[0,0,1] neg_hi:[0,0,1]
	v_pk_fma_f32 v[110:111], v[110:111], v[100:101], v[114:115] op_sel:[0,0,1] op_sel_hi:[1,0,0]
	v_dual_mul_f32 v114, v113, v103 :: v_dual_mov_b32 v110, v113
	v_dual_mov_b32 v117, v111 :: v_dual_mov_b32 v111, v112
	s_delay_alu instid0(VALU_DEP_2) | instskip(SKIP_1) | instid1(VALU_DEP_3)
	v_pk_fma_f32 v[114:115], v[112:113], v[26:27], v[114:115] op_sel_hi:[1,1,0] neg_lo:[0,0,1] neg_hi:[0,0,1]
	v_mul_f32_e32 v112, v113, v100
	v_pk_add_f32 v[62:63], v[62:63], v[116:117] neg_lo:[0,1] neg_hi:[0,1]
	s_delay_alu instid0(VALU_DEP_2) | instskip(NEXT) | instid1(VALU_DEP_1)
	v_pk_fma_f32 v[110:111], v[110:111], v[26:27], v[112:113] op_sel_hi:[1,1,0]
	v_mov_b32_e32 v115, v111
	ds_load_2addr_b64 v[110:113], v104 offset0:31 offset1:32
	v_pk_add_f32 v[20:21], v[20:21], v[114:115] neg_lo:[0,1] neg_hi:[0,1]
	s_wait_dscnt 0x0
	v_pk_mul_f32 v[114:115], v[110:111], v[102:103] op_sel:[0,1]
	s_delay_alu instid0(VALU_DEP_1) | instskip(SKIP_1) | instid1(VALU_DEP_1)
	v_pk_fma_f32 v[116:117], v[110:111], v[100:101], v[114:115] op_sel:[0,0,1] op_sel_hi:[1,1,0] neg_lo:[0,0,1] neg_hi:[0,0,1]
	v_pk_fma_f32 v[110:111], v[110:111], v[100:101], v[114:115] op_sel:[0,0,1] op_sel_hi:[1,0,0]
	v_mov_b32_e32 v117, v111
	v_pk_mul_f32 v[110:111], v[112:113], v[102:103] op_sel:[0,1]
	s_delay_alu instid0(VALU_DEP_1) | instskip(SKIP_1) | instid1(VALU_DEP_1)
	v_pk_fma_f32 v[114:115], v[112:113], v[100:101], v[110:111] op_sel:[0,0,1] op_sel_hi:[1,1,0] neg_lo:[0,0,1] neg_hi:[0,0,1]
	v_pk_fma_f32 v[110:111], v[112:113], v[100:101], v[110:111] op_sel:[0,0,1] op_sel_hi:[1,0,0]
	v_mov_b32_e32 v115, v111
	ds_load_2addr_b64 v[110:113], v104 offset0:33 offset1:34
	v_pk_add_f32 v[18:19], v[18:19], v[116:117] neg_lo:[0,1] neg_hi:[0,1]
	v_pk_add_f32 v[60:61], v[60:61], v[114:115] neg_lo:[0,1] neg_hi:[0,1]
	s_wait_dscnt 0x0
	v_pk_mul_f32 v[114:115], v[110:111], v[102:103] op_sel:[0,1]
	s_delay_alu instid0(VALU_DEP_1) | instskip(SKIP_1) | instid1(VALU_DEP_1)
	v_pk_fma_f32 v[116:117], v[110:111], v[100:101], v[114:115] op_sel:[0,0,1] op_sel_hi:[1,1,0] neg_lo:[0,0,1] neg_hi:[0,0,1]
	v_pk_fma_f32 v[110:111], v[110:111], v[100:101], v[114:115] op_sel:[0,0,1] op_sel_hi:[1,0,0]
	v_mov_b32_e32 v117, v111
	v_pk_mul_f32 v[110:111], v[112:113], v[102:103] op_sel:[0,1]
	s_delay_alu instid0(VALU_DEP_1) | instskip(SKIP_1) | instid1(VALU_DEP_1)
	v_pk_fma_f32 v[114:115], v[112:113], v[100:101], v[110:111] op_sel:[0,0,1] op_sel_hi:[1,1,0] neg_lo:[0,0,1] neg_hi:[0,0,1]
	v_pk_fma_f32 v[110:111], v[112:113], v[100:101], v[110:111] op_sel:[0,0,1] op_sel_hi:[1,0,0]
	v_mov_b32_e32 v115, v111
	ds_load_2addr_b64 v[110:113], v104 offset0:35 offset1:36
	v_pk_add_f32 v[58:59], v[58:59], v[116:117] neg_lo:[0,1] neg_hi:[0,1]
	v_pk_add_f32 v[16:17], v[16:17], v[114:115] neg_lo:[0,1] neg_hi:[0,1]
	s_wait_dscnt 0x0
	v_dual_mul_f32 v114, v111, v103 :: v_dual_mul_f32 v116, v111, v100
	s_delay_alu instid0(VALU_DEP_1) | instskip(NEXT) | instid1(VALU_DEP_2)
	v_pk_fma_f32 v[114:115], v[110:111], v[26:27], v[114:115] op_sel_hi:[1,1,0] neg_lo:[0,0,1] neg_hi:[0,0,1]
	v_pk_fma_f32 v[110:111], v[110:111], v[26:27], v[116:117] op_sel:[1,0,0] op_sel_hi:[0,1,0]
	s_delay_alu instid0(VALU_DEP_1) | instskip(SKIP_1) | instid1(VALU_DEP_2)
	v_mov_b32_e32 v115, v111
	v_pk_mul_f32 v[110:111], v[112:113], v[102:103] op_sel:[0,1]
	v_pk_add_f32 v[14:15], v[14:15], v[114:115] neg_lo:[0,1] neg_hi:[0,1]
	s_delay_alu instid0(VALU_DEP_2) | instskip(SKIP_1) | instid1(VALU_DEP_1)
	v_pk_fma_f32 v[114:115], v[112:113], v[100:101], v[110:111] op_sel:[0,0,1] op_sel_hi:[1,1,0] neg_lo:[0,0,1] neg_hi:[0,0,1]
	v_pk_fma_f32 v[110:111], v[112:113], v[100:101], v[110:111] op_sel:[0,0,1] op_sel_hi:[1,0,0]
	v_mov_b32_e32 v115, v111
	ds_load_2addr_b64 v[110:113], v104 offset0:37 offset1:38
	v_pk_add_f32 v[56:57], v[56:57], v[114:115] neg_lo:[0,1] neg_hi:[0,1]
	s_wait_dscnt 0x0
	v_pk_mul_f32 v[114:115], v[110:111], v[102:103] op_sel:[0,1]
	s_delay_alu instid0(VALU_DEP_1) | instskip(SKIP_1) | instid1(VALU_DEP_1)
	v_pk_fma_f32 v[116:117], v[110:111], v[100:101], v[114:115] op_sel:[0,0,1] op_sel_hi:[1,1,0] neg_lo:[0,0,1] neg_hi:[0,0,1]
	v_pk_fma_f32 v[110:111], v[110:111], v[100:101], v[114:115] op_sel:[0,0,1] op_sel_hi:[1,0,0]
	v_mov_b32_e32 v117, v111
	v_pk_mul_f32 v[110:111], v[112:113], v[102:103] op_sel:[0,1]
	s_delay_alu instid0(VALU_DEP_2) | instskip(NEXT) | instid1(VALU_DEP_2)
	v_pk_add_f32 v[54:55], v[54:55], v[116:117] neg_lo:[0,1] neg_hi:[0,1]
	v_pk_fma_f32 v[114:115], v[112:113], v[100:101], v[110:111] op_sel:[0,0,1] op_sel_hi:[1,1,0] neg_lo:[0,0,1] neg_hi:[0,0,1]
	v_pk_fma_f32 v[110:111], v[112:113], v[100:101], v[110:111] op_sel:[0,0,1] op_sel_hi:[1,0,0]
	s_delay_alu instid0(VALU_DEP_1) | instskip(SKIP_4) | instid1(VALU_DEP_1)
	v_mov_b32_e32 v115, v111
	ds_load_2addr_b64 v[110:113], v104 offset0:39 offset1:40
	v_pk_add_f32 v[10:11], v[10:11], v[114:115] neg_lo:[0,1] neg_hi:[0,1]
	s_wait_dscnt 0x0
	v_pk_mul_f32 v[114:115], v[110:111], v[102:103] op_sel:[0,1]
	v_pk_fma_f32 v[116:117], v[110:111], v[100:101], v[114:115] op_sel:[0,0,1] op_sel_hi:[1,1,0] neg_lo:[0,0,1] neg_hi:[0,0,1]
	v_pk_fma_f32 v[110:111], v[110:111], v[100:101], v[114:115] op_sel:[0,0,1] op_sel_hi:[1,0,0]
	v_dual_mul_f32 v114, v113, v103 :: v_dual_mov_b32 v110, v113
	s_delay_alu instid0(VALU_DEP_2) | instskip(NEXT) | instid1(VALU_DEP_2)
	v_dual_mov_b32 v117, v111 :: v_dual_mov_b32 v111, v112
	v_pk_fma_f32 v[114:115], v[112:113], v[26:27], v[114:115] op_sel_hi:[1,1,0] neg_lo:[0,0,1] neg_hi:[0,0,1]
	v_mul_f32_e32 v112, v113, v100
	s_delay_alu instid0(VALU_DEP_3) | instskip(NEXT) | instid1(VALU_DEP_2)
	v_pk_add_f32 v[6:7], v[6:7], v[116:117] neg_lo:[0,1] neg_hi:[0,1]
	v_pk_fma_f32 v[110:111], v[110:111], v[26:27], v[112:113] op_sel_hi:[1,1,0]
	s_delay_alu instid0(VALU_DEP_1) | instskip(SKIP_4) | instid1(VALU_DEP_1)
	v_mov_b32_e32 v115, v111
	ds_load_2addr_b64 v[110:113], v104 offset0:41 offset1:42
	v_pk_add_f32 v[52:53], v[52:53], v[114:115] neg_lo:[0,1] neg_hi:[0,1]
	s_wait_dscnt 0x0
	v_pk_mul_f32 v[114:115], v[110:111], v[102:103] op_sel:[0,1]
	v_pk_fma_f32 v[116:117], v[110:111], v[100:101], v[114:115] op_sel:[0,0,1] op_sel_hi:[1,1,0] neg_lo:[0,0,1] neg_hi:[0,0,1]
	v_pk_fma_f32 v[110:111], v[110:111], v[100:101], v[114:115] op_sel:[0,0,1] op_sel_hi:[1,0,0]
	s_delay_alu instid0(VALU_DEP_1) | instskip(SKIP_1) | instid1(VALU_DEP_1)
	v_mov_b32_e32 v117, v111
	v_pk_mul_f32 v[110:111], v[112:113], v[102:103] op_sel:[0,1]
	v_pk_fma_f32 v[114:115], v[112:113], v[100:101], v[110:111] op_sel:[0,0,1] op_sel_hi:[1,1,0] neg_lo:[0,0,1] neg_hi:[0,0,1]
	v_pk_fma_f32 v[110:111], v[112:113], v[100:101], v[110:111] op_sel:[0,0,1] op_sel_hi:[1,0,0]
	s_delay_alu instid0(VALU_DEP_1)
	v_mov_b32_e32 v115, v111
	ds_load_2addr_b64 v[110:113], v104 offset0:43 offset1:44
	v_pk_add_f32 v[50:51], v[50:51], v[116:117] neg_lo:[0,1] neg_hi:[0,1]
	v_pk_add_f32 v[8:9], v[8:9], v[114:115] neg_lo:[0,1] neg_hi:[0,1]
	s_wait_dscnt 0x0
	v_pk_mul_f32 v[114:115], v[110:111], v[102:103] op_sel:[0,1]
	s_delay_alu instid0(VALU_DEP_1) | instskip(SKIP_1) | instid1(VALU_DEP_1)
	v_pk_fma_f32 v[116:117], v[110:111], v[100:101], v[114:115] op_sel:[0,0,1] op_sel_hi:[1,1,0] neg_lo:[0,0,1] neg_hi:[0,0,1]
	v_pk_fma_f32 v[110:111], v[110:111], v[100:101], v[114:115] op_sel:[0,0,1] op_sel_hi:[1,0,0]
	v_mov_b32_e32 v117, v111
	v_pk_mul_f32 v[110:111], v[112:113], v[102:103] op_sel:[0,1]
	s_delay_alu instid0(VALU_DEP_1) | instskip(SKIP_1) | instid1(VALU_DEP_1)
	v_pk_fma_f32 v[114:115], v[112:113], v[100:101], v[110:111] op_sel:[0,0,1] op_sel_hi:[1,1,0] neg_lo:[0,0,1] neg_hi:[0,0,1]
	v_pk_fma_f32 v[110:111], v[112:113], v[100:101], v[110:111] op_sel:[0,0,1] op_sel_hi:[1,0,0]
	v_mov_b32_e32 v115, v111
	ds_load_2addr_b64 v[110:113], v104 offset0:45 offset1:46
	v_pk_add_f32 v[40:41], v[40:41], v[116:117] neg_lo:[0,1] neg_hi:[0,1]
	v_pk_add_f32 v[30:31], v[30:31], v[114:115] neg_lo:[0,1] neg_hi:[0,1]
	s_wait_dscnt 0x0
	v_dual_mul_f32 v114, v111, v103 :: v_dual_mul_f32 v116, v111, v100
	v_pk_mul_f32 v[102:103], v[112:113], v[102:103] op_sel:[0,1]
	s_delay_alu instid0(VALU_DEP_2) | instskip(NEXT) | instid1(VALU_DEP_3)
	v_pk_fma_f32 v[114:115], v[110:111], v[26:27], v[114:115] op_sel_hi:[1,1,0] neg_lo:[0,0,1] neg_hi:[0,0,1]
	v_pk_fma_f32 v[110:111], v[110:111], v[26:27], v[116:117] op_sel:[1,0,0] op_sel_hi:[0,1,0]
	s_delay_alu instid0(VALU_DEP_1) | instskip(NEXT) | instid1(VALU_DEP_4)
	v_mov_b32_e32 v115, v111
	v_pk_fma_f32 v[110:111], v[112:113], v[100:101], v[102:103] op_sel:[0,0,1] op_sel_hi:[1,1,0] neg_lo:[0,0,1] neg_hi:[0,0,1]
	v_pk_fma_f32 v[100:101], v[112:113], v[100:101], v[102:103] op_sel:[0,0,1] op_sel_hi:[1,0,0]
	s_delay_alu instid0(VALU_DEP_1) | instskip(NEXT) | instid1(VALU_DEP_4)
	v_mov_b32_e32 v111, v101
	v_pk_add_f32 v[12:13], v[12:13], v[114:115] neg_lo:[0,1] neg_hi:[0,1]
	s_delay_alu instid0(VALU_DEP_2)
	v_pk_add_f32 v[98:99], v[98:99], v[110:111] neg_lo:[0,1] neg_hi:[0,1]
.LBB92_566:
	s_or_b32 exec_lo, exec_lo, s0
	v_lshl_add_u32 v100, v108, 3, v104
	s_barrier_signal -1
	s_barrier_wait -1
	ds_store_b64 v100, v[22:23]
	s_wait_dscnt 0x0
	s_barrier_signal -1
	s_barrier_wait -1
	ds_load_b64 v[100:101], v104 offset:216
	v_mov_b32_e32 v102, 27
	s_cmp_lt_i32 s18, 29
	s_cbranch_scc1 .LBB92_569
; %bb.567:
	v_add3_u32 v103, v105, 0, 0xe0
	v_mov_b32_e32 v102, 27
	s_mov_b32 s0, 28
.LBB92_568:                             ; =>This Inner Loop Header: Depth=1
	ds_load_b64 v[110:111], v103
	s_wait_dscnt 0x1
	v_cmp_gt_f32_e32 vcc_lo, 0, v100
	v_cndmask_b32_e64 v112, v100, -v100, vcc_lo
	v_cmp_gt_f32_e32 vcc_lo, 0, v101
	v_cndmask_b32_e64 v114, v101, -v101, vcc_lo
	s_wait_dscnt 0x0
	v_cmp_gt_f32_e32 vcc_lo, 0, v110
	v_cndmask_b32_e64 v113, v110, -v110, vcc_lo
	v_cmp_gt_f32_e32 vcc_lo, 0, v111
	v_cndmask_b32_e64 v115, v111, -v111, vcc_lo
	s_delay_alu instid0(VALU_DEP_1) | instskip(NEXT) | instid1(VALU_DEP_1)
	v_pk_add_f32 v[112:113], v[112:113], v[114:115]
	v_cmp_lt_f32_e32 vcc_lo, v112, v113
	v_dual_cndmask_b32 v100, v100, v110 :: v_dual_add_nc_u32 v103, 8, v103
	v_cndmask_b32_e32 v101, v101, v111, vcc_lo
	v_cndmask_b32_e64 v102, v102, s0, vcc_lo
	s_add_co_i32 s0, s0, 1
	s_delay_alu instid0(SALU_CYCLE_1)
	s_cmp_lg_u32 s18, s0
	s_cbranch_scc1 .LBB92_568
.LBB92_569:
	s_wait_dscnt 0x0
	v_cmp_eq_f32_e32 vcc_lo, 0, v100
	v_cmp_eq_f32_e64 s0, 0, v101
	s_and_b32 s0, vcc_lo, s0
	s_delay_alu instid0(SALU_CYCLE_1) | instskip(NEXT) | instid1(SALU_CYCLE_1)
	s_and_saveexec_b32 s1, s0
	s_xor_b32 s0, exec_lo, s1
; %bb.570:
	v_cmp_ne_u32_e32 vcc_lo, 0, v106
	v_cndmask_b32_e32 v106, 28, v106, vcc_lo
; %bb.571:
	s_and_not1_saveexec_b32 s0, s0
	s_cbranch_execz .LBB92_577
; %bb.572:
	v_cmp_ngt_f32_e64 s1, |v100|, |v101|
	s_and_saveexec_b32 s12, s1
	s_delay_alu instid0(SALU_CYCLE_1)
	s_xor_b32 s1, exec_lo, s12
	s_cbranch_execz .LBB92_574
; %bb.573:
	v_div_scale_f32 v103, null, v101, v101, v100
	v_div_scale_f32 v111, vcc_lo, v100, v101, v100
	s_delay_alu instid0(VALU_DEP_2) | instskip(SKIP_1) | instid1(TRANS32_DEP_1)
	v_rcp_f32_e32 v109, v103
	v_nop
	v_fma_f32 v110, -v103, v109, 1.0
	s_delay_alu instid0(VALU_DEP_1) | instskip(NEXT) | instid1(VALU_DEP_1)
	v_fmac_f32_e32 v109, v110, v109
	v_mul_f32_e32 v110, v111, v109
	s_delay_alu instid0(VALU_DEP_1) | instskip(NEXT) | instid1(VALU_DEP_1)
	v_fma_f32 v112, -v103, v110, v111
	v_fmac_f32_e32 v110, v112, v109
	s_delay_alu instid0(VALU_DEP_1) | instskip(NEXT) | instid1(VALU_DEP_1)
	v_fma_f32 v103, -v103, v110, v111
	v_div_fmas_f32 v103, v103, v109, v110
	s_delay_alu instid0(VALU_DEP_1) | instskip(NEXT) | instid1(VALU_DEP_1)
	v_div_fixup_f32 v103, v103, v101, v100
	v_fmac_f32_e32 v101, v100, v103
	s_delay_alu instid0(VALU_DEP_1) | instskip(SKIP_1) | instid1(VALU_DEP_2)
	v_div_scale_f32 v100, null, v101, v101, 1.0
	v_div_scale_f32 v111, vcc_lo, 1.0, v101, 1.0
	v_rcp_f32_e32 v109, v100
	v_nop
	s_delay_alu instid0(TRANS32_DEP_1) | instskip(NEXT) | instid1(VALU_DEP_1)
	v_fma_f32 v110, -v100, v109, 1.0
	v_fmac_f32_e32 v109, v110, v109
	s_delay_alu instid0(VALU_DEP_1) | instskip(NEXT) | instid1(VALU_DEP_1)
	v_mul_f32_e32 v110, v111, v109
	v_fma_f32 v112, -v100, v110, v111
	s_delay_alu instid0(VALU_DEP_1) | instskip(NEXT) | instid1(VALU_DEP_1)
	v_fmac_f32_e32 v110, v112, v109
	v_fma_f32 v100, -v100, v110, v111
	s_delay_alu instid0(VALU_DEP_1) | instskip(NEXT) | instid1(VALU_DEP_1)
	v_div_fmas_f32 v100, v100, v109, v110
	v_div_fixup_f32 v101, v100, v101, 1.0
	s_delay_alu instid0(VALU_DEP_1)
	v_mul_f32_e32 v100, v103, v101
	v_xor_b32_e32 v101, 0x80000000, v101
.LBB92_574:
	s_and_not1_saveexec_b32 s1, s1
	s_cbranch_execz .LBB92_576
; %bb.575:
	s_delay_alu instid0(VALU_DEP_1) | instskip(SKIP_1) | instid1(VALU_DEP_2)
	v_div_scale_f32 v103, null, v100, v100, v101
	v_div_scale_f32 v111, vcc_lo, v101, v100, v101
	v_rcp_f32_e32 v109, v103
	v_nop
	s_delay_alu instid0(TRANS32_DEP_1) | instskip(NEXT) | instid1(VALU_DEP_1)
	v_fma_f32 v110, -v103, v109, 1.0
	v_fmac_f32_e32 v109, v110, v109
	s_delay_alu instid0(VALU_DEP_1) | instskip(NEXT) | instid1(VALU_DEP_1)
	v_mul_f32_e32 v110, v111, v109
	v_fma_f32 v112, -v103, v110, v111
	s_delay_alu instid0(VALU_DEP_1) | instskip(NEXT) | instid1(VALU_DEP_1)
	v_fmac_f32_e32 v110, v112, v109
	v_fma_f32 v103, -v103, v110, v111
	s_delay_alu instid0(VALU_DEP_1) | instskip(NEXT) | instid1(VALU_DEP_1)
	v_div_fmas_f32 v103, v103, v109, v110
	v_div_fixup_f32 v103, v103, v100, v101
	s_delay_alu instid0(VALU_DEP_1) | instskip(NEXT) | instid1(VALU_DEP_1)
	v_fmac_f32_e32 v100, v101, v103
	v_div_scale_f32 v101, null, v100, v100, 1.0
	s_delay_alu instid0(VALU_DEP_1) | instskip(SKIP_1) | instid1(TRANS32_DEP_1)
	v_rcp_f32_e32 v109, v101
	v_nop
	v_fma_f32 v110, -v101, v109, 1.0
	s_delay_alu instid0(VALU_DEP_1) | instskip(SKIP_1) | instid1(VALU_DEP_1)
	v_fmac_f32_e32 v109, v110, v109
	v_div_scale_f32 v110, vcc_lo, 1.0, v100, 1.0
	v_mul_f32_e32 v111, v110, v109
	s_delay_alu instid0(VALU_DEP_1) | instskip(NEXT) | instid1(VALU_DEP_1)
	v_fma_f32 v112, -v101, v111, v110
	v_fmac_f32_e32 v111, v112, v109
	s_delay_alu instid0(VALU_DEP_1) | instskip(NEXT) | instid1(VALU_DEP_1)
	v_fma_f32 v101, -v101, v111, v110
	v_div_fmas_f32 v101, v101, v109, v111
	s_delay_alu instid0(VALU_DEP_1) | instskip(NEXT) | instid1(VALU_DEP_1)
	v_div_fixup_f32 v100, v101, v100, 1.0
	v_mul_f32_e64 v101, v103, -v100
.LBB92_576:
	s_or_b32 exec_lo, exec_lo, s1
.LBB92_577:
	s_delay_alu instid0(SALU_CYCLE_1) | instskip(NEXT) | instid1(SALU_CYCLE_1)
	s_or_b32 exec_lo, exec_lo, s0
	s_mov_b32 s0, exec_lo
	v_cmpx_ne_u32_e64 v108, v102
	s_xor_b32 s0, exec_lo, s0
	s_cbranch_execz .LBB92_583
; %bb.578:
	s_mov_b32 s1, exec_lo
	v_cmpx_eq_u32_e32 27, v108
	s_cbranch_execz .LBB92_582
; %bb.579:
	v_cmp_ne_u32_e32 vcc_lo, 27, v102
	s_xor_b32 s12, s16, -1
	s_delay_alu instid0(SALU_CYCLE_1) | instskip(NEXT) | instid1(SALU_CYCLE_1)
	s_and_b32 s13, s12, vcc_lo
	s_and_saveexec_b32 s12, s13
	s_cbranch_execz .LBB92_581
; %bb.580:
	v_ashrrev_i32_e32 v103, 31, v102
	s_delay_alu instid0(VALU_DEP_1)
	v_lshl_add_u64 v[108:109], v[102:103], 2, v[4:5]
	s_clause 0x1
	global_load_b32 v103, v[108:109], off
	global_load_b32 v107, v[4:5], off offset:108
	s_wait_loadcnt 0x1
	global_store_b32 v[4:5], v103, off offset:108
	s_wait_loadcnt 0x0
	global_store_b32 v[108:109], v107, off
.LBB92_581:
	s_wait_xcnt 0x0
	s_or_b32 exec_lo, exec_lo, s12
	v_dual_mov_b32 v108, v102 :: v_dual_mov_b32 v107, v102
.LBB92_582:
	s_or_b32 exec_lo, exec_lo, s1
.LBB92_583:
	s_and_not1_saveexec_b32 s0, s0
	s_cbranch_execz .LBB92_585
; %bb.584:
	v_dual_mov_b32 v102, v64 :: v_dual_mov_b32 v103, v65
	v_dual_mov_b32 v108, v62 :: v_dual_mov_b32 v109, v63
	;; [unrolled: 1-line block ×8, first 2 shown]
	ds_store_2addr_b64 v104, v[102:103], v[108:109] offset0:28 offset1:29
	ds_store_2addr_b64 v104, v[110:111], v[112:113] offset0:30 offset1:31
	;; [unrolled: 1-line block ×4, first 2 shown]
	v_dual_mov_b32 v102, v56 :: v_dual_mov_b32 v103, v57
	v_dual_mov_b32 v108, v54 :: v_dual_mov_b32 v109, v55
	;; [unrolled: 1-line block ×6, first 2 shown]
	ds_store_2addr_b64 v104, v[102:103], v[108:109] offset0:36 offset1:37
	ds_store_2addr_b64 v104, v[110:111], v[112:113] offset0:38 offset1:39
	v_dual_mov_b32 v108, 27 :: v_dual_mov_b32 v118, v8
	v_dual_mov_b32 v119, v9 :: v_dual_mov_b32 v120, v40
	;; [unrolled: 1-line block ×4, first 2 shown]
	v_mov_b32_e32 v125, v13
	ds_store_2addr_b64 v104, v[114:115], v[116:117] offset0:40 offset1:41
	ds_store_2addr_b64 v104, v[118:119], v[120:121] offset0:42 offset1:43
	;; [unrolled: 1-line block ×3, first 2 shown]
	ds_store_b64 v104, v[98:99] offset:368
.LBB92_585:
	s_or_b32 exec_lo, exec_lo, s0
	s_delay_alu instid0(SALU_CYCLE_1)
	s_mov_b32 s0, exec_lo
	s_wait_storecnt_dscnt 0x0
	s_barrier_signal -1
	s_barrier_wait -1
	v_cmpx_lt_i32_e32 27, v108
	s_cbranch_execz .LBB92_587
; %bb.586:
	v_pk_mul_f32 v[110:111], v[100:101], v[22:23] op_sel:[1,1] op_sel_hi:[0,1]
	s_delay_alu instid0(VALU_DEP_1)
	v_pk_fma_f32 v[102:103], v[100:101], v[22:23], v[110:111] op_sel_hi:[1,0,1] neg_lo:[0,0,1] neg_hi:[0,0,1]
	v_pk_fma_f32 v[100:101], v[100:101], v[22:23], v[110:111] op_sel_hi:[1,0,1]
	ds_load_2addr_b64 v[110:113], v104 offset0:28 offset1:29
	v_dual_mov_b32 v22, v102 :: v_dual_mov_b32 v23, v101
	s_wait_dscnt 0x0
	v_pk_mul_f32 v[114:115], v[110:111], v[100:101] op_sel:[0,1]
	s_delay_alu instid0(VALU_DEP_1) | instskip(SKIP_1) | instid1(VALU_DEP_1)
	v_pk_fma_f32 v[116:117], v[110:111], v[102:103], v[114:115] op_sel:[0,0,1] op_sel_hi:[1,1,0] neg_lo:[0,0,1] neg_hi:[0,0,1]
	v_pk_fma_f32 v[110:111], v[110:111], v[102:103], v[114:115] op_sel:[0,0,1] op_sel_hi:[1,0,0]
	v_mov_b32_e32 v117, v111
	v_pk_mul_f32 v[110:111], v[112:113], v[100:101] op_sel:[0,1]
	s_delay_alu instid0(VALU_DEP_1) | instskip(SKIP_1) | instid1(VALU_DEP_1)
	v_pk_fma_f32 v[114:115], v[112:113], v[102:103], v[110:111] op_sel:[0,0,1] op_sel_hi:[1,1,0] neg_lo:[0,0,1] neg_hi:[0,0,1]
	v_pk_fma_f32 v[110:111], v[112:113], v[102:103], v[110:111] op_sel:[0,0,1] op_sel_hi:[1,0,0]
	v_mov_b32_e32 v115, v111
	ds_load_2addr_b64 v[110:113], v104 offset0:30 offset1:31
	v_pk_add_f32 v[64:65], v[64:65], v[116:117] neg_lo:[0,1] neg_hi:[0,1]
	v_pk_add_f32 v[62:63], v[62:63], v[114:115] neg_lo:[0,1] neg_hi:[0,1]
	s_wait_dscnt 0x0
	v_pk_mul_f32 v[114:115], v[110:111], v[100:101] op_sel:[0,1]
	s_delay_alu instid0(VALU_DEP_1) | instskip(SKIP_2) | instid1(VALU_DEP_2)
	v_pk_fma_f32 v[116:117], v[110:111], v[102:103], v[114:115] op_sel:[0,0,1] op_sel_hi:[1,1,0] neg_lo:[0,0,1] neg_hi:[0,0,1]
	v_pk_fma_f32 v[110:111], v[110:111], v[102:103], v[114:115] op_sel:[0,0,1] op_sel_hi:[1,0,0]
	v_dual_mul_f32 v114, v113, v101 :: v_dual_mov_b32 v110, v113
	v_dual_mov_b32 v117, v111 :: v_dual_mov_b32 v111, v112
	s_delay_alu instid0(VALU_DEP_2) | instskip(SKIP_1) | instid1(VALU_DEP_3)
	v_pk_fma_f32 v[114:115], v[112:113], v[22:23], v[114:115] op_sel_hi:[1,1,0] neg_lo:[0,0,1] neg_hi:[0,0,1]
	v_mul_f32_e32 v112, v113, v102
	v_pk_add_f32 v[20:21], v[20:21], v[116:117] neg_lo:[0,1] neg_hi:[0,1]
	s_delay_alu instid0(VALU_DEP_2) | instskip(NEXT) | instid1(VALU_DEP_1)
	v_pk_fma_f32 v[110:111], v[110:111], v[22:23], v[112:113] op_sel_hi:[1,1,0]
	v_mov_b32_e32 v115, v111
	ds_load_2addr_b64 v[110:113], v104 offset0:32 offset1:33
	v_pk_add_f32 v[18:19], v[18:19], v[114:115] neg_lo:[0,1] neg_hi:[0,1]
	s_wait_dscnt 0x0
	v_pk_mul_f32 v[114:115], v[110:111], v[100:101] op_sel:[0,1]
	s_delay_alu instid0(VALU_DEP_1) | instskip(SKIP_1) | instid1(VALU_DEP_1)
	v_pk_fma_f32 v[116:117], v[110:111], v[102:103], v[114:115] op_sel:[0,0,1] op_sel_hi:[1,1,0] neg_lo:[0,0,1] neg_hi:[0,0,1]
	v_pk_fma_f32 v[110:111], v[110:111], v[102:103], v[114:115] op_sel:[0,0,1] op_sel_hi:[1,0,0]
	v_mov_b32_e32 v117, v111
	v_pk_mul_f32 v[110:111], v[112:113], v[100:101] op_sel:[0,1]
	s_delay_alu instid0(VALU_DEP_1) | instskip(SKIP_1) | instid1(VALU_DEP_1)
	v_pk_fma_f32 v[114:115], v[112:113], v[102:103], v[110:111] op_sel:[0,0,1] op_sel_hi:[1,1,0] neg_lo:[0,0,1] neg_hi:[0,0,1]
	v_pk_fma_f32 v[110:111], v[112:113], v[102:103], v[110:111] op_sel:[0,0,1] op_sel_hi:[1,0,0]
	v_mov_b32_e32 v115, v111
	ds_load_2addr_b64 v[110:113], v104 offset0:34 offset1:35
	v_pk_add_f32 v[60:61], v[60:61], v[116:117] neg_lo:[0,1] neg_hi:[0,1]
	v_pk_add_f32 v[58:59], v[58:59], v[114:115] neg_lo:[0,1] neg_hi:[0,1]
	s_wait_dscnt 0x0
	v_pk_mul_f32 v[114:115], v[110:111], v[100:101] op_sel:[0,1]
	s_delay_alu instid0(VALU_DEP_1) | instskip(SKIP_1) | instid1(VALU_DEP_1)
	v_pk_fma_f32 v[116:117], v[110:111], v[102:103], v[114:115] op_sel:[0,0,1] op_sel_hi:[1,1,0] neg_lo:[0,0,1] neg_hi:[0,0,1]
	v_pk_fma_f32 v[110:111], v[110:111], v[102:103], v[114:115] op_sel:[0,0,1] op_sel_hi:[1,0,0]
	v_mov_b32_e32 v117, v111
	v_pk_mul_f32 v[110:111], v[112:113], v[100:101] op_sel:[0,1]
	s_delay_alu instid0(VALU_DEP_1) | instskip(SKIP_1) | instid1(VALU_DEP_1)
	v_pk_fma_f32 v[114:115], v[112:113], v[102:103], v[110:111] op_sel:[0,0,1] op_sel_hi:[1,1,0] neg_lo:[0,0,1] neg_hi:[0,0,1]
	v_pk_fma_f32 v[110:111], v[112:113], v[102:103], v[110:111] op_sel:[0,0,1] op_sel_hi:[1,0,0]
	v_mov_b32_e32 v115, v111
	ds_load_2addr_b64 v[110:113], v104 offset0:36 offset1:37
	v_pk_add_f32 v[16:17], v[16:17], v[116:117] neg_lo:[0,1] neg_hi:[0,1]
	v_pk_add_f32 v[14:15], v[14:15], v[114:115] neg_lo:[0,1] neg_hi:[0,1]
	s_wait_dscnt 0x0
	v_dual_mul_f32 v114, v111, v101 :: v_dual_mul_f32 v116, v111, v102
	s_delay_alu instid0(VALU_DEP_1) | instskip(NEXT) | instid1(VALU_DEP_2)
	v_pk_fma_f32 v[114:115], v[110:111], v[22:23], v[114:115] op_sel_hi:[1,1,0] neg_lo:[0,0,1] neg_hi:[0,0,1]
	v_pk_fma_f32 v[110:111], v[110:111], v[22:23], v[116:117] op_sel:[1,0,0] op_sel_hi:[0,1,0]
	s_delay_alu instid0(VALU_DEP_1) | instskip(SKIP_1) | instid1(VALU_DEP_2)
	v_mov_b32_e32 v115, v111
	v_pk_mul_f32 v[110:111], v[112:113], v[100:101] op_sel:[0,1]
	v_pk_add_f32 v[56:57], v[56:57], v[114:115] neg_lo:[0,1] neg_hi:[0,1]
	s_delay_alu instid0(VALU_DEP_2) | instskip(SKIP_1) | instid1(VALU_DEP_1)
	v_pk_fma_f32 v[114:115], v[112:113], v[102:103], v[110:111] op_sel:[0,0,1] op_sel_hi:[1,1,0] neg_lo:[0,0,1] neg_hi:[0,0,1]
	v_pk_fma_f32 v[110:111], v[112:113], v[102:103], v[110:111] op_sel:[0,0,1] op_sel_hi:[1,0,0]
	v_mov_b32_e32 v115, v111
	ds_load_2addr_b64 v[110:113], v104 offset0:38 offset1:39
	v_pk_add_f32 v[54:55], v[54:55], v[114:115] neg_lo:[0,1] neg_hi:[0,1]
	s_wait_dscnt 0x0
	v_pk_mul_f32 v[114:115], v[110:111], v[100:101] op_sel:[0,1]
	s_delay_alu instid0(VALU_DEP_1) | instskip(SKIP_1) | instid1(VALU_DEP_1)
	v_pk_fma_f32 v[116:117], v[110:111], v[102:103], v[114:115] op_sel:[0,0,1] op_sel_hi:[1,1,0] neg_lo:[0,0,1] neg_hi:[0,0,1]
	v_pk_fma_f32 v[110:111], v[110:111], v[102:103], v[114:115] op_sel:[0,0,1] op_sel_hi:[1,0,0]
	v_mov_b32_e32 v117, v111
	v_pk_mul_f32 v[110:111], v[112:113], v[100:101] op_sel:[0,1]
	s_delay_alu instid0(VALU_DEP_2) | instskip(NEXT) | instid1(VALU_DEP_2)
	v_pk_add_f32 v[10:11], v[10:11], v[116:117] neg_lo:[0,1] neg_hi:[0,1]
	v_pk_fma_f32 v[114:115], v[112:113], v[102:103], v[110:111] op_sel:[0,0,1] op_sel_hi:[1,1,0] neg_lo:[0,0,1] neg_hi:[0,0,1]
	v_pk_fma_f32 v[110:111], v[112:113], v[102:103], v[110:111] op_sel:[0,0,1] op_sel_hi:[1,0,0]
	s_delay_alu instid0(VALU_DEP_1) | instskip(SKIP_4) | instid1(VALU_DEP_1)
	v_mov_b32_e32 v115, v111
	ds_load_2addr_b64 v[110:113], v104 offset0:40 offset1:41
	v_pk_add_f32 v[6:7], v[6:7], v[114:115] neg_lo:[0,1] neg_hi:[0,1]
	s_wait_dscnt 0x0
	v_pk_mul_f32 v[114:115], v[110:111], v[100:101] op_sel:[0,1]
	v_pk_fma_f32 v[116:117], v[110:111], v[102:103], v[114:115] op_sel:[0,0,1] op_sel_hi:[1,1,0] neg_lo:[0,0,1] neg_hi:[0,0,1]
	v_pk_fma_f32 v[110:111], v[110:111], v[102:103], v[114:115] op_sel:[0,0,1] op_sel_hi:[1,0,0]
	v_dual_mul_f32 v114, v113, v101 :: v_dual_mov_b32 v110, v113
	s_delay_alu instid0(VALU_DEP_2) | instskip(NEXT) | instid1(VALU_DEP_2)
	v_dual_mov_b32 v117, v111 :: v_dual_mov_b32 v111, v112
	v_pk_fma_f32 v[114:115], v[112:113], v[22:23], v[114:115] op_sel_hi:[1,1,0] neg_lo:[0,0,1] neg_hi:[0,0,1]
	v_mul_f32_e32 v112, v113, v102
	s_delay_alu instid0(VALU_DEP_3) | instskip(NEXT) | instid1(VALU_DEP_2)
	v_pk_add_f32 v[52:53], v[52:53], v[116:117] neg_lo:[0,1] neg_hi:[0,1]
	v_pk_fma_f32 v[110:111], v[110:111], v[22:23], v[112:113] op_sel_hi:[1,1,0]
	s_delay_alu instid0(VALU_DEP_1) | instskip(SKIP_4) | instid1(VALU_DEP_1)
	v_mov_b32_e32 v115, v111
	ds_load_2addr_b64 v[110:113], v104 offset0:42 offset1:43
	v_pk_add_f32 v[50:51], v[50:51], v[114:115] neg_lo:[0,1] neg_hi:[0,1]
	s_wait_dscnt 0x0
	v_pk_mul_f32 v[114:115], v[110:111], v[100:101] op_sel:[0,1]
	v_pk_fma_f32 v[116:117], v[110:111], v[102:103], v[114:115] op_sel:[0,0,1] op_sel_hi:[1,1,0] neg_lo:[0,0,1] neg_hi:[0,0,1]
	v_pk_fma_f32 v[110:111], v[110:111], v[102:103], v[114:115] op_sel:[0,0,1] op_sel_hi:[1,0,0]
	s_delay_alu instid0(VALU_DEP_1) | instskip(SKIP_1) | instid1(VALU_DEP_1)
	v_mov_b32_e32 v117, v111
	v_pk_mul_f32 v[110:111], v[112:113], v[100:101] op_sel:[0,1]
	v_pk_fma_f32 v[114:115], v[112:113], v[102:103], v[110:111] op_sel:[0,0,1] op_sel_hi:[1,1,0] neg_lo:[0,0,1] neg_hi:[0,0,1]
	v_pk_fma_f32 v[110:111], v[112:113], v[102:103], v[110:111] op_sel:[0,0,1] op_sel_hi:[1,0,0]
	s_delay_alu instid0(VALU_DEP_1)
	v_mov_b32_e32 v115, v111
	ds_load_2addr_b64 v[110:113], v104 offset0:44 offset1:45
	v_pk_add_f32 v[8:9], v[8:9], v[116:117] neg_lo:[0,1] neg_hi:[0,1]
	v_pk_add_f32 v[40:41], v[40:41], v[114:115] neg_lo:[0,1] neg_hi:[0,1]
	s_wait_dscnt 0x0
	v_pk_mul_f32 v[114:115], v[110:111], v[100:101] op_sel:[0,1]
	s_delay_alu instid0(VALU_DEP_1) | instskip(SKIP_1) | instid1(VALU_DEP_1)
	v_pk_fma_f32 v[116:117], v[110:111], v[102:103], v[114:115] op_sel:[0,0,1] op_sel_hi:[1,1,0] neg_lo:[0,0,1] neg_hi:[0,0,1]
	v_pk_fma_f32 v[110:111], v[110:111], v[102:103], v[114:115] op_sel:[0,0,1] op_sel_hi:[1,0,0]
	v_mov_b32_e32 v117, v111
	v_pk_mul_f32 v[110:111], v[112:113], v[100:101] op_sel:[0,1]
	s_delay_alu instid0(VALU_DEP_1) | instskip(SKIP_1) | instid1(VALU_DEP_1)
	v_pk_fma_f32 v[114:115], v[112:113], v[102:103], v[110:111] op_sel:[0,0,1] op_sel_hi:[1,1,0] neg_lo:[0,0,1] neg_hi:[0,0,1]
	v_pk_fma_f32 v[110:111], v[112:113], v[102:103], v[110:111] op_sel:[0,0,1] op_sel_hi:[1,0,0]
	v_mov_b32_e32 v115, v111
	ds_load_b64 v[110:111], v104 offset:368
	v_pk_add_f32 v[30:31], v[30:31], v[116:117] neg_lo:[0,1] neg_hi:[0,1]
	v_pk_add_f32 v[12:13], v[12:13], v[114:115] neg_lo:[0,1] neg_hi:[0,1]
	s_wait_dscnt 0x0
	v_pk_mul_f32 v[100:101], v[110:111], v[100:101] op_sel:[0,1]
	s_delay_alu instid0(VALU_DEP_1) | instskip(SKIP_1) | instid1(VALU_DEP_1)
	v_pk_fma_f32 v[112:113], v[110:111], v[102:103], v[100:101] op_sel:[0,0,1] op_sel_hi:[1,1,0] neg_lo:[0,0,1] neg_hi:[0,0,1]
	v_pk_fma_f32 v[100:101], v[110:111], v[102:103], v[100:101] op_sel:[0,0,1] op_sel_hi:[1,0,0]
	v_mov_b32_e32 v113, v101
	s_delay_alu instid0(VALU_DEP_1)
	v_pk_add_f32 v[98:99], v[98:99], v[112:113] neg_lo:[0,1] neg_hi:[0,1]
.LBB92_587:
	s_or_b32 exec_lo, exec_lo, s0
	v_lshl_add_u32 v100, v108, 3, v104
	s_barrier_signal -1
	s_barrier_wait -1
	ds_store_b64 v100, v[64:65]
	s_wait_dscnt 0x0
	s_barrier_signal -1
	s_barrier_wait -1
	ds_load_b64 v[100:101], v104 offset:224
	v_mov_b32_e32 v102, 28
	s_cmp_lt_i32 s18, 30
	s_cbranch_scc1 .LBB92_590
; %bb.588:
	v_add3_u32 v103, v105, 0, 0xe8
	v_mov_b32_e32 v102, 28
	s_mov_b32 s0, 29
.LBB92_589:                             ; =>This Inner Loop Header: Depth=1
	ds_load_b64 v[110:111], v103
	s_wait_dscnt 0x1
	v_cmp_gt_f32_e32 vcc_lo, 0, v100
	v_cndmask_b32_e64 v112, v100, -v100, vcc_lo
	v_cmp_gt_f32_e32 vcc_lo, 0, v101
	v_cndmask_b32_e64 v114, v101, -v101, vcc_lo
	s_wait_dscnt 0x0
	v_cmp_gt_f32_e32 vcc_lo, 0, v110
	v_cndmask_b32_e64 v113, v110, -v110, vcc_lo
	v_cmp_gt_f32_e32 vcc_lo, 0, v111
	v_cndmask_b32_e64 v115, v111, -v111, vcc_lo
	s_delay_alu instid0(VALU_DEP_1) | instskip(NEXT) | instid1(VALU_DEP_1)
	v_pk_add_f32 v[112:113], v[112:113], v[114:115]
	v_cmp_lt_f32_e32 vcc_lo, v112, v113
	v_dual_cndmask_b32 v100, v100, v110 :: v_dual_add_nc_u32 v103, 8, v103
	v_cndmask_b32_e32 v101, v101, v111, vcc_lo
	v_cndmask_b32_e64 v102, v102, s0, vcc_lo
	s_add_co_i32 s0, s0, 1
	s_delay_alu instid0(SALU_CYCLE_1)
	s_cmp_lg_u32 s18, s0
	s_cbranch_scc1 .LBB92_589
.LBB92_590:
	s_wait_dscnt 0x0
	v_cmp_eq_f32_e32 vcc_lo, 0, v100
	v_cmp_eq_f32_e64 s0, 0, v101
	s_and_b32 s0, vcc_lo, s0
	s_delay_alu instid0(SALU_CYCLE_1) | instskip(NEXT) | instid1(SALU_CYCLE_1)
	s_and_saveexec_b32 s1, s0
	s_xor_b32 s0, exec_lo, s1
; %bb.591:
	v_cmp_ne_u32_e32 vcc_lo, 0, v106
	v_cndmask_b32_e32 v106, 29, v106, vcc_lo
; %bb.592:
	s_and_not1_saveexec_b32 s0, s0
	s_cbranch_execz .LBB92_598
; %bb.593:
	v_cmp_ngt_f32_e64 s1, |v100|, |v101|
	s_and_saveexec_b32 s12, s1
	s_delay_alu instid0(SALU_CYCLE_1)
	s_xor_b32 s1, exec_lo, s12
	s_cbranch_execz .LBB92_595
; %bb.594:
	v_div_scale_f32 v103, null, v101, v101, v100
	v_div_scale_f32 v111, vcc_lo, v100, v101, v100
	s_delay_alu instid0(VALU_DEP_2) | instskip(SKIP_1) | instid1(TRANS32_DEP_1)
	v_rcp_f32_e32 v109, v103
	v_nop
	v_fma_f32 v110, -v103, v109, 1.0
	s_delay_alu instid0(VALU_DEP_1) | instskip(NEXT) | instid1(VALU_DEP_1)
	v_fmac_f32_e32 v109, v110, v109
	v_mul_f32_e32 v110, v111, v109
	s_delay_alu instid0(VALU_DEP_1) | instskip(NEXT) | instid1(VALU_DEP_1)
	v_fma_f32 v112, -v103, v110, v111
	v_fmac_f32_e32 v110, v112, v109
	s_delay_alu instid0(VALU_DEP_1) | instskip(NEXT) | instid1(VALU_DEP_1)
	v_fma_f32 v103, -v103, v110, v111
	v_div_fmas_f32 v103, v103, v109, v110
	s_delay_alu instid0(VALU_DEP_1) | instskip(NEXT) | instid1(VALU_DEP_1)
	v_div_fixup_f32 v103, v103, v101, v100
	v_fmac_f32_e32 v101, v100, v103
	s_delay_alu instid0(VALU_DEP_1) | instskip(SKIP_1) | instid1(VALU_DEP_2)
	v_div_scale_f32 v100, null, v101, v101, 1.0
	v_div_scale_f32 v111, vcc_lo, 1.0, v101, 1.0
	v_rcp_f32_e32 v109, v100
	v_nop
	s_delay_alu instid0(TRANS32_DEP_1) | instskip(NEXT) | instid1(VALU_DEP_1)
	v_fma_f32 v110, -v100, v109, 1.0
	v_fmac_f32_e32 v109, v110, v109
	s_delay_alu instid0(VALU_DEP_1) | instskip(NEXT) | instid1(VALU_DEP_1)
	v_mul_f32_e32 v110, v111, v109
	v_fma_f32 v112, -v100, v110, v111
	s_delay_alu instid0(VALU_DEP_1) | instskip(NEXT) | instid1(VALU_DEP_1)
	v_fmac_f32_e32 v110, v112, v109
	v_fma_f32 v100, -v100, v110, v111
	s_delay_alu instid0(VALU_DEP_1) | instskip(NEXT) | instid1(VALU_DEP_1)
	v_div_fmas_f32 v100, v100, v109, v110
	v_div_fixup_f32 v101, v100, v101, 1.0
	s_delay_alu instid0(VALU_DEP_1)
	v_mul_f32_e32 v100, v103, v101
	v_xor_b32_e32 v101, 0x80000000, v101
.LBB92_595:
	s_and_not1_saveexec_b32 s1, s1
	s_cbranch_execz .LBB92_597
; %bb.596:
	s_delay_alu instid0(VALU_DEP_1) | instskip(SKIP_1) | instid1(VALU_DEP_2)
	v_div_scale_f32 v103, null, v100, v100, v101
	v_div_scale_f32 v111, vcc_lo, v101, v100, v101
	v_rcp_f32_e32 v109, v103
	v_nop
	s_delay_alu instid0(TRANS32_DEP_1) | instskip(NEXT) | instid1(VALU_DEP_1)
	v_fma_f32 v110, -v103, v109, 1.0
	v_fmac_f32_e32 v109, v110, v109
	s_delay_alu instid0(VALU_DEP_1) | instskip(NEXT) | instid1(VALU_DEP_1)
	v_mul_f32_e32 v110, v111, v109
	v_fma_f32 v112, -v103, v110, v111
	s_delay_alu instid0(VALU_DEP_1) | instskip(NEXT) | instid1(VALU_DEP_1)
	v_fmac_f32_e32 v110, v112, v109
	v_fma_f32 v103, -v103, v110, v111
	s_delay_alu instid0(VALU_DEP_1) | instskip(NEXT) | instid1(VALU_DEP_1)
	v_div_fmas_f32 v103, v103, v109, v110
	v_div_fixup_f32 v103, v103, v100, v101
	s_delay_alu instid0(VALU_DEP_1) | instskip(NEXT) | instid1(VALU_DEP_1)
	v_fmac_f32_e32 v100, v101, v103
	v_div_scale_f32 v101, null, v100, v100, 1.0
	s_delay_alu instid0(VALU_DEP_1) | instskip(SKIP_1) | instid1(TRANS32_DEP_1)
	v_rcp_f32_e32 v109, v101
	v_nop
	v_fma_f32 v110, -v101, v109, 1.0
	s_delay_alu instid0(VALU_DEP_1) | instskip(SKIP_1) | instid1(VALU_DEP_1)
	v_fmac_f32_e32 v109, v110, v109
	v_div_scale_f32 v110, vcc_lo, 1.0, v100, 1.0
	v_mul_f32_e32 v111, v110, v109
	s_delay_alu instid0(VALU_DEP_1) | instskip(NEXT) | instid1(VALU_DEP_1)
	v_fma_f32 v112, -v101, v111, v110
	v_fmac_f32_e32 v111, v112, v109
	s_delay_alu instid0(VALU_DEP_1) | instskip(NEXT) | instid1(VALU_DEP_1)
	v_fma_f32 v101, -v101, v111, v110
	v_div_fmas_f32 v101, v101, v109, v111
	s_delay_alu instid0(VALU_DEP_1) | instskip(NEXT) | instid1(VALU_DEP_1)
	v_div_fixup_f32 v100, v101, v100, 1.0
	v_mul_f32_e64 v101, v103, -v100
.LBB92_597:
	s_or_b32 exec_lo, exec_lo, s1
.LBB92_598:
	s_delay_alu instid0(SALU_CYCLE_1) | instskip(NEXT) | instid1(SALU_CYCLE_1)
	s_or_b32 exec_lo, exec_lo, s0
	s_mov_b32 s0, exec_lo
	v_cmpx_ne_u32_e64 v108, v102
	s_xor_b32 s0, exec_lo, s0
	s_cbranch_execz .LBB92_604
; %bb.599:
	s_mov_b32 s1, exec_lo
	v_cmpx_eq_u32_e32 28, v108
	s_cbranch_execz .LBB92_603
; %bb.600:
	v_cmp_ne_u32_e32 vcc_lo, 28, v102
	s_xor_b32 s12, s16, -1
	s_delay_alu instid0(SALU_CYCLE_1) | instskip(NEXT) | instid1(SALU_CYCLE_1)
	s_and_b32 s13, s12, vcc_lo
	s_and_saveexec_b32 s12, s13
	s_cbranch_execz .LBB92_602
; %bb.601:
	v_ashrrev_i32_e32 v103, 31, v102
	s_delay_alu instid0(VALU_DEP_1)
	v_lshl_add_u64 v[108:109], v[102:103], 2, v[4:5]
	s_clause 0x1
	global_load_b32 v103, v[108:109], off
	global_load_b32 v107, v[4:5], off offset:112
	s_wait_loadcnt 0x1
	global_store_b32 v[4:5], v103, off offset:112
	s_wait_loadcnt 0x0
	global_store_b32 v[108:109], v107, off
.LBB92_602:
	s_wait_xcnt 0x0
	s_or_b32 exec_lo, exec_lo, s12
	v_dual_mov_b32 v108, v102 :: v_dual_mov_b32 v107, v102
.LBB92_603:
	s_or_b32 exec_lo, exec_lo, s1
.LBB92_604:
	s_and_not1_saveexec_b32 s0, s0
	s_cbranch_execz .LBB92_606
; %bb.605:
	v_mov_b32_e32 v108, 28
	ds_store_2addr_b64 v104, v[62:63], v[20:21] offset0:29 offset1:30
	ds_store_2addr_b64 v104, v[18:19], v[60:61] offset0:31 offset1:32
	;; [unrolled: 1-line block ×9, first 2 shown]
.LBB92_606:
	s_or_b32 exec_lo, exec_lo, s0
	s_delay_alu instid0(SALU_CYCLE_1)
	s_mov_b32 s0, exec_lo
	s_wait_storecnt_dscnt 0x0
	s_barrier_signal -1
	s_barrier_wait -1
	v_cmpx_lt_i32_e32 28, v108
	s_cbranch_execz .LBB92_608
; %bb.607:
	v_pk_mul_f32 v[110:111], v[100:101], v[64:65] op_sel:[1,1] op_sel_hi:[0,1]
	s_delay_alu instid0(VALU_DEP_1)
	v_pk_fma_f32 v[102:103], v[100:101], v[64:65], v[110:111] op_sel_hi:[1,0,1] neg_lo:[0,0,1] neg_hi:[0,0,1]
	v_pk_fma_f32 v[100:101], v[100:101], v[64:65], v[110:111] op_sel_hi:[1,0,1]
	ds_load_2addr_b64 v[110:113], v104 offset0:29 offset1:30
	v_dual_mov_b32 v64, v102 :: v_dual_mov_b32 v65, v101
	s_wait_dscnt 0x0
	v_pk_mul_f32 v[114:115], v[110:111], v[100:101] op_sel:[0,1]
	s_delay_alu instid0(VALU_DEP_1) | instskip(SKIP_1) | instid1(VALU_DEP_1)
	v_pk_fma_f32 v[116:117], v[110:111], v[102:103], v[114:115] op_sel:[0,0,1] op_sel_hi:[1,1,0] neg_lo:[0,0,1] neg_hi:[0,0,1]
	v_pk_fma_f32 v[110:111], v[110:111], v[102:103], v[114:115] op_sel:[0,0,1] op_sel_hi:[1,0,0]
	v_mov_b32_e32 v117, v111
	v_pk_mul_f32 v[110:111], v[112:113], v[100:101] op_sel:[0,1]
	s_delay_alu instid0(VALU_DEP_1) | instskip(SKIP_1) | instid1(VALU_DEP_1)
	v_pk_fma_f32 v[114:115], v[112:113], v[102:103], v[110:111] op_sel:[0,0,1] op_sel_hi:[1,1,0] neg_lo:[0,0,1] neg_hi:[0,0,1]
	v_pk_fma_f32 v[110:111], v[112:113], v[102:103], v[110:111] op_sel:[0,0,1] op_sel_hi:[1,0,0]
	v_mov_b32_e32 v115, v111
	ds_load_2addr_b64 v[110:113], v104 offset0:31 offset1:32
	v_pk_add_f32 v[62:63], v[62:63], v[116:117] neg_lo:[0,1] neg_hi:[0,1]
	v_pk_add_f32 v[20:21], v[20:21], v[114:115] neg_lo:[0,1] neg_hi:[0,1]
	s_wait_dscnt 0x0
	v_pk_mul_f32 v[114:115], v[110:111], v[100:101] op_sel:[0,1]
	s_delay_alu instid0(VALU_DEP_1) | instskip(SKIP_2) | instid1(VALU_DEP_2)
	v_pk_fma_f32 v[116:117], v[110:111], v[102:103], v[114:115] op_sel:[0,0,1] op_sel_hi:[1,1,0] neg_lo:[0,0,1] neg_hi:[0,0,1]
	v_pk_fma_f32 v[110:111], v[110:111], v[102:103], v[114:115] op_sel:[0,0,1] op_sel_hi:[1,0,0]
	v_dual_mul_f32 v114, v113, v101 :: v_dual_mov_b32 v110, v113
	v_dual_mov_b32 v117, v111 :: v_dual_mov_b32 v111, v112
	s_delay_alu instid0(VALU_DEP_2) | instskip(SKIP_1) | instid1(VALU_DEP_3)
	v_pk_fma_f32 v[114:115], v[112:113], v[64:65], v[114:115] op_sel_hi:[1,1,0] neg_lo:[0,0,1] neg_hi:[0,0,1]
	v_mul_f32_e32 v112, v113, v102
	v_pk_add_f32 v[18:19], v[18:19], v[116:117] neg_lo:[0,1] neg_hi:[0,1]
	s_delay_alu instid0(VALU_DEP_2) | instskip(NEXT) | instid1(VALU_DEP_1)
	v_pk_fma_f32 v[110:111], v[110:111], v[64:65], v[112:113] op_sel_hi:[1,1,0]
	v_mov_b32_e32 v115, v111
	ds_load_2addr_b64 v[110:113], v104 offset0:33 offset1:34
	v_pk_add_f32 v[60:61], v[60:61], v[114:115] neg_lo:[0,1] neg_hi:[0,1]
	s_wait_dscnt 0x0
	v_pk_mul_f32 v[114:115], v[110:111], v[100:101] op_sel:[0,1]
	s_delay_alu instid0(VALU_DEP_1) | instskip(SKIP_1) | instid1(VALU_DEP_1)
	v_pk_fma_f32 v[116:117], v[110:111], v[102:103], v[114:115] op_sel:[0,0,1] op_sel_hi:[1,1,0] neg_lo:[0,0,1] neg_hi:[0,0,1]
	v_pk_fma_f32 v[110:111], v[110:111], v[102:103], v[114:115] op_sel:[0,0,1] op_sel_hi:[1,0,0]
	v_mov_b32_e32 v117, v111
	v_pk_mul_f32 v[110:111], v[112:113], v[100:101] op_sel:[0,1]
	s_delay_alu instid0(VALU_DEP_1) | instskip(SKIP_1) | instid1(VALU_DEP_1)
	v_pk_fma_f32 v[114:115], v[112:113], v[102:103], v[110:111] op_sel:[0,0,1] op_sel_hi:[1,1,0] neg_lo:[0,0,1] neg_hi:[0,0,1]
	v_pk_fma_f32 v[110:111], v[112:113], v[102:103], v[110:111] op_sel:[0,0,1] op_sel_hi:[1,0,0]
	v_mov_b32_e32 v115, v111
	ds_load_2addr_b64 v[110:113], v104 offset0:35 offset1:36
	v_pk_add_f32 v[58:59], v[58:59], v[116:117] neg_lo:[0,1] neg_hi:[0,1]
	v_pk_add_f32 v[16:17], v[16:17], v[114:115] neg_lo:[0,1] neg_hi:[0,1]
	s_wait_dscnt 0x0
	v_pk_mul_f32 v[114:115], v[110:111], v[100:101] op_sel:[0,1]
	s_delay_alu instid0(VALU_DEP_1) | instskip(SKIP_1) | instid1(VALU_DEP_1)
	v_pk_fma_f32 v[116:117], v[110:111], v[102:103], v[114:115] op_sel:[0,0,1] op_sel_hi:[1,1,0] neg_lo:[0,0,1] neg_hi:[0,0,1]
	v_pk_fma_f32 v[110:111], v[110:111], v[102:103], v[114:115] op_sel:[0,0,1] op_sel_hi:[1,0,0]
	v_mov_b32_e32 v117, v111
	v_pk_mul_f32 v[110:111], v[112:113], v[100:101] op_sel:[0,1]
	s_delay_alu instid0(VALU_DEP_1) | instskip(SKIP_1) | instid1(VALU_DEP_1)
	v_pk_fma_f32 v[114:115], v[112:113], v[102:103], v[110:111] op_sel:[0,0,1] op_sel_hi:[1,1,0] neg_lo:[0,0,1] neg_hi:[0,0,1]
	v_pk_fma_f32 v[110:111], v[112:113], v[102:103], v[110:111] op_sel:[0,0,1] op_sel_hi:[1,0,0]
	v_mov_b32_e32 v115, v111
	ds_load_2addr_b64 v[110:113], v104 offset0:37 offset1:38
	v_pk_add_f32 v[14:15], v[14:15], v[116:117] neg_lo:[0,1] neg_hi:[0,1]
	v_pk_add_f32 v[56:57], v[56:57], v[114:115] neg_lo:[0,1] neg_hi:[0,1]
	s_wait_dscnt 0x0
	v_dual_mul_f32 v114, v111, v101 :: v_dual_mul_f32 v116, v111, v102
	s_delay_alu instid0(VALU_DEP_1) | instskip(NEXT) | instid1(VALU_DEP_2)
	v_pk_fma_f32 v[114:115], v[110:111], v[64:65], v[114:115] op_sel_hi:[1,1,0] neg_lo:[0,0,1] neg_hi:[0,0,1]
	v_pk_fma_f32 v[110:111], v[110:111], v[64:65], v[116:117] op_sel:[1,0,0] op_sel_hi:[0,1,0]
	s_delay_alu instid0(VALU_DEP_1) | instskip(SKIP_1) | instid1(VALU_DEP_2)
	v_mov_b32_e32 v115, v111
	v_pk_mul_f32 v[110:111], v[112:113], v[100:101] op_sel:[0,1]
	v_pk_add_f32 v[54:55], v[54:55], v[114:115] neg_lo:[0,1] neg_hi:[0,1]
	s_delay_alu instid0(VALU_DEP_2) | instskip(SKIP_1) | instid1(VALU_DEP_1)
	v_pk_fma_f32 v[114:115], v[112:113], v[102:103], v[110:111] op_sel:[0,0,1] op_sel_hi:[1,1,0] neg_lo:[0,0,1] neg_hi:[0,0,1]
	v_pk_fma_f32 v[110:111], v[112:113], v[102:103], v[110:111] op_sel:[0,0,1] op_sel_hi:[1,0,0]
	v_mov_b32_e32 v115, v111
	ds_load_2addr_b64 v[110:113], v104 offset0:39 offset1:40
	v_pk_add_f32 v[10:11], v[10:11], v[114:115] neg_lo:[0,1] neg_hi:[0,1]
	s_wait_dscnt 0x0
	v_pk_mul_f32 v[114:115], v[110:111], v[100:101] op_sel:[0,1]
	s_delay_alu instid0(VALU_DEP_1) | instskip(SKIP_1) | instid1(VALU_DEP_1)
	v_pk_fma_f32 v[116:117], v[110:111], v[102:103], v[114:115] op_sel:[0,0,1] op_sel_hi:[1,1,0] neg_lo:[0,0,1] neg_hi:[0,0,1]
	v_pk_fma_f32 v[110:111], v[110:111], v[102:103], v[114:115] op_sel:[0,0,1] op_sel_hi:[1,0,0]
	v_mov_b32_e32 v117, v111
	v_pk_mul_f32 v[110:111], v[112:113], v[100:101] op_sel:[0,1]
	s_delay_alu instid0(VALU_DEP_2) | instskip(NEXT) | instid1(VALU_DEP_2)
	v_pk_add_f32 v[6:7], v[6:7], v[116:117] neg_lo:[0,1] neg_hi:[0,1]
	v_pk_fma_f32 v[114:115], v[112:113], v[102:103], v[110:111] op_sel:[0,0,1] op_sel_hi:[1,1,0] neg_lo:[0,0,1] neg_hi:[0,0,1]
	v_pk_fma_f32 v[110:111], v[112:113], v[102:103], v[110:111] op_sel:[0,0,1] op_sel_hi:[1,0,0]
	s_delay_alu instid0(VALU_DEP_1) | instskip(SKIP_4) | instid1(VALU_DEP_1)
	v_mov_b32_e32 v115, v111
	ds_load_2addr_b64 v[110:113], v104 offset0:41 offset1:42
	v_pk_add_f32 v[52:53], v[52:53], v[114:115] neg_lo:[0,1] neg_hi:[0,1]
	s_wait_dscnt 0x0
	v_pk_mul_f32 v[114:115], v[110:111], v[100:101] op_sel:[0,1]
	v_pk_fma_f32 v[116:117], v[110:111], v[102:103], v[114:115] op_sel:[0,0,1] op_sel_hi:[1,1,0] neg_lo:[0,0,1] neg_hi:[0,0,1]
	v_pk_fma_f32 v[110:111], v[110:111], v[102:103], v[114:115] op_sel:[0,0,1] op_sel_hi:[1,0,0]
	v_dual_mul_f32 v114, v113, v101 :: v_dual_mov_b32 v110, v113
	s_delay_alu instid0(VALU_DEP_2) | instskip(NEXT) | instid1(VALU_DEP_2)
	v_dual_mov_b32 v117, v111 :: v_dual_mov_b32 v111, v112
	v_pk_fma_f32 v[114:115], v[112:113], v[64:65], v[114:115] op_sel_hi:[1,1,0] neg_lo:[0,0,1] neg_hi:[0,0,1]
	v_mul_f32_e32 v112, v113, v102
	s_delay_alu instid0(VALU_DEP_3) | instskip(NEXT) | instid1(VALU_DEP_2)
	v_pk_add_f32 v[50:51], v[50:51], v[116:117] neg_lo:[0,1] neg_hi:[0,1]
	v_pk_fma_f32 v[110:111], v[110:111], v[64:65], v[112:113] op_sel_hi:[1,1,0]
	s_delay_alu instid0(VALU_DEP_1) | instskip(SKIP_4) | instid1(VALU_DEP_1)
	v_mov_b32_e32 v115, v111
	ds_load_2addr_b64 v[110:113], v104 offset0:43 offset1:44
	v_pk_add_f32 v[8:9], v[8:9], v[114:115] neg_lo:[0,1] neg_hi:[0,1]
	s_wait_dscnt 0x0
	v_pk_mul_f32 v[114:115], v[110:111], v[100:101] op_sel:[0,1]
	v_pk_fma_f32 v[116:117], v[110:111], v[102:103], v[114:115] op_sel:[0,0,1] op_sel_hi:[1,1,0] neg_lo:[0,0,1] neg_hi:[0,0,1]
	v_pk_fma_f32 v[110:111], v[110:111], v[102:103], v[114:115] op_sel:[0,0,1] op_sel_hi:[1,0,0]
	s_delay_alu instid0(VALU_DEP_1) | instskip(SKIP_1) | instid1(VALU_DEP_1)
	v_mov_b32_e32 v117, v111
	v_pk_mul_f32 v[110:111], v[112:113], v[100:101] op_sel:[0,1]
	v_pk_fma_f32 v[114:115], v[112:113], v[102:103], v[110:111] op_sel:[0,0,1] op_sel_hi:[1,1,0] neg_lo:[0,0,1] neg_hi:[0,0,1]
	v_pk_fma_f32 v[110:111], v[112:113], v[102:103], v[110:111] op_sel:[0,0,1] op_sel_hi:[1,0,0]
	s_delay_alu instid0(VALU_DEP_1)
	v_mov_b32_e32 v115, v111
	ds_load_2addr_b64 v[110:113], v104 offset0:45 offset1:46
	v_pk_add_f32 v[40:41], v[40:41], v[116:117] neg_lo:[0,1] neg_hi:[0,1]
	v_pk_add_f32 v[30:31], v[30:31], v[114:115] neg_lo:[0,1] neg_hi:[0,1]
	s_wait_dscnt 0x0
	v_pk_mul_f32 v[114:115], v[110:111], v[100:101] op_sel:[0,1]
	v_mul_f32_e32 v100, v113, v101
	s_delay_alu instid0(VALU_DEP_2) | instskip(SKIP_2) | instid1(VALU_DEP_4)
	v_pk_fma_f32 v[116:117], v[110:111], v[102:103], v[114:115] op_sel:[0,0,1] op_sel_hi:[1,1,0] neg_lo:[0,0,1] neg_hi:[0,0,1]
	v_pk_fma_f32 v[110:111], v[110:111], v[102:103], v[114:115] op_sel:[0,0,1] op_sel_hi:[1,0,0]
	v_dual_mov_b32 v110, v113 :: v_dual_mul_f32 v102, v113, v102
	v_pk_fma_f32 v[100:101], v[112:113], v[64:65], v[100:101] op_sel_hi:[1,1,0] neg_lo:[0,0,1] neg_hi:[0,0,1]
	s_delay_alu instid0(VALU_DEP_3) | instskip(NEXT) | instid1(VALU_DEP_1)
	v_dual_mov_b32 v117, v111 :: v_dual_mov_b32 v111, v112
	v_pk_add_f32 v[12:13], v[12:13], v[116:117] neg_lo:[0,1] neg_hi:[0,1]
	s_delay_alu instid0(VALU_DEP_2) | instskip(NEXT) | instid1(VALU_DEP_1)
	v_pk_fma_f32 v[102:103], v[110:111], v[64:65], v[102:103] op_sel_hi:[1,1,0]
	v_mov_b32_e32 v101, v103
	s_delay_alu instid0(VALU_DEP_1)
	v_pk_add_f32 v[98:99], v[98:99], v[100:101] neg_lo:[0,1] neg_hi:[0,1]
.LBB92_608:
	s_or_b32 exec_lo, exec_lo, s0
	v_lshl_add_u32 v100, v108, 3, v104
	s_barrier_signal -1
	s_barrier_wait -1
	ds_store_b64 v100, v[62:63]
	s_wait_dscnt 0x0
	s_barrier_signal -1
	s_barrier_wait -1
	ds_load_b64 v[100:101], v104 offset:232
	v_mov_b32_e32 v102, 29
	s_cmp_lt_i32 s18, 31
	s_cbranch_scc1 .LBB92_611
; %bb.609:
	v_add3_u32 v103, v105, 0, 0xf0
	v_mov_b32_e32 v102, 29
	s_mov_b32 s0, 30
.LBB92_610:                             ; =>This Inner Loop Header: Depth=1
	ds_load_b64 v[110:111], v103
	s_wait_dscnt 0x1
	v_cmp_gt_f32_e32 vcc_lo, 0, v100
	v_cndmask_b32_e64 v112, v100, -v100, vcc_lo
	v_cmp_gt_f32_e32 vcc_lo, 0, v101
	v_cndmask_b32_e64 v114, v101, -v101, vcc_lo
	s_wait_dscnt 0x0
	v_cmp_gt_f32_e32 vcc_lo, 0, v110
	v_cndmask_b32_e64 v113, v110, -v110, vcc_lo
	v_cmp_gt_f32_e32 vcc_lo, 0, v111
	v_cndmask_b32_e64 v115, v111, -v111, vcc_lo
	s_delay_alu instid0(VALU_DEP_1) | instskip(NEXT) | instid1(VALU_DEP_1)
	v_pk_add_f32 v[112:113], v[112:113], v[114:115]
	v_cmp_lt_f32_e32 vcc_lo, v112, v113
	v_dual_cndmask_b32 v100, v100, v110 :: v_dual_add_nc_u32 v103, 8, v103
	v_cndmask_b32_e32 v101, v101, v111, vcc_lo
	v_cndmask_b32_e64 v102, v102, s0, vcc_lo
	s_add_co_i32 s0, s0, 1
	s_delay_alu instid0(SALU_CYCLE_1)
	s_cmp_lg_u32 s18, s0
	s_cbranch_scc1 .LBB92_610
.LBB92_611:
	s_wait_dscnt 0x0
	v_cmp_eq_f32_e32 vcc_lo, 0, v100
	v_cmp_eq_f32_e64 s0, 0, v101
	s_and_b32 s0, vcc_lo, s0
	s_delay_alu instid0(SALU_CYCLE_1) | instskip(NEXT) | instid1(SALU_CYCLE_1)
	s_and_saveexec_b32 s1, s0
	s_xor_b32 s0, exec_lo, s1
; %bb.612:
	v_cmp_ne_u32_e32 vcc_lo, 0, v106
	v_cndmask_b32_e32 v106, 30, v106, vcc_lo
; %bb.613:
	s_and_not1_saveexec_b32 s0, s0
	s_cbranch_execz .LBB92_619
; %bb.614:
	v_cmp_ngt_f32_e64 s1, |v100|, |v101|
	s_and_saveexec_b32 s12, s1
	s_delay_alu instid0(SALU_CYCLE_1)
	s_xor_b32 s1, exec_lo, s12
	s_cbranch_execz .LBB92_616
; %bb.615:
	v_div_scale_f32 v103, null, v101, v101, v100
	v_div_scale_f32 v111, vcc_lo, v100, v101, v100
	s_delay_alu instid0(VALU_DEP_2) | instskip(SKIP_1) | instid1(TRANS32_DEP_1)
	v_rcp_f32_e32 v109, v103
	v_nop
	v_fma_f32 v110, -v103, v109, 1.0
	s_delay_alu instid0(VALU_DEP_1) | instskip(NEXT) | instid1(VALU_DEP_1)
	v_fmac_f32_e32 v109, v110, v109
	v_mul_f32_e32 v110, v111, v109
	s_delay_alu instid0(VALU_DEP_1) | instskip(NEXT) | instid1(VALU_DEP_1)
	v_fma_f32 v112, -v103, v110, v111
	v_fmac_f32_e32 v110, v112, v109
	s_delay_alu instid0(VALU_DEP_1) | instskip(NEXT) | instid1(VALU_DEP_1)
	v_fma_f32 v103, -v103, v110, v111
	v_div_fmas_f32 v103, v103, v109, v110
	s_delay_alu instid0(VALU_DEP_1) | instskip(NEXT) | instid1(VALU_DEP_1)
	v_div_fixup_f32 v103, v103, v101, v100
	v_fmac_f32_e32 v101, v100, v103
	s_delay_alu instid0(VALU_DEP_1) | instskip(SKIP_1) | instid1(VALU_DEP_2)
	v_div_scale_f32 v100, null, v101, v101, 1.0
	v_div_scale_f32 v111, vcc_lo, 1.0, v101, 1.0
	v_rcp_f32_e32 v109, v100
	v_nop
	s_delay_alu instid0(TRANS32_DEP_1) | instskip(NEXT) | instid1(VALU_DEP_1)
	v_fma_f32 v110, -v100, v109, 1.0
	v_fmac_f32_e32 v109, v110, v109
	s_delay_alu instid0(VALU_DEP_1) | instskip(NEXT) | instid1(VALU_DEP_1)
	v_mul_f32_e32 v110, v111, v109
	v_fma_f32 v112, -v100, v110, v111
	s_delay_alu instid0(VALU_DEP_1) | instskip(NEXT) | instid1(VALU_DEP_1)
	v_fmac_f32_e32 v110, v112, v109
	v_fma_f32 v100, -v100, v110, v111
	s_delay_alu instid0(VALU_DEP_1) | instskip(NEXT) | instid1(VALU_DEP_1)
	v_div_fmas_f32 v100, v100, v109, v110
	v_div_fixup_f32 v101, v100, v101, 1.0
	s_delay_alu instid0(VALU_DEP_1)
	v_mul_f32_e32 v100, v103, v101
	v_xor_b32_e32 v101, 0x80000000, v101
.LBB92_616:
	s_and_not1_saveexec_b32 s1, s1
	s_cbranch_execz .LBB92_618
; %bb.617:
	s_delay_alu instid0(VALU_DEP_1) | instskip(SKIP_1) | instid1(VALU_DEP_2)
	v_div_scale_f32 v103, null, v100, v100, v101
	v_div_scale_f32 v111, vcc_lo, v101, v100, v101
	v_rcp_f32_e32 v109, v103
	v_nop
	s_delay_alu instid0(TRANS32_DEP_1) | instskip(NEXT) | instid1(VALU_DEP_1)
	v_fma_f32 v110, -v103, v109, 1.0
	v_fmac_f32_e32 v109, v110, v109
	s_delay_alu instid0(VALU_DEP_1) | instskip(NEXT) | instid1(VALU_DEP_1)
	v_mul_f32_e32 v110, v111, v109
	v_fma_f32 v112, -v103, v110, v111
	s_delay_alu instid0(VALU_DEP_1) | instskip(NEXT) | instid1(VALU_DEP_1)
	v_fmac_f32_e32 v110, v112, v109
	v_fma_f32 v103, -v103, v110, v111
	s_delay_alu instid0(VALU_DEP_1) | instskip(NEXT) | instid1(VALU_DEP_1)
	v_div_fmas_f32 v103, v103, v109, v110
	v_div_fixup_f32 v103, v103, v100, v101
	s_delay_alu instid0(VALU_DEP_1) | instskip(NEXT) | instid1(VALU_DEP_1)
	v_fmac_f32_e32 v100, v101, v103
	v_div_scale_f32 v101, null, v100, v100, 1.0
	s_delay_alu instid0(VALU_DEP_1) | instskip(SKIP_1) | instid1(TRANS32_DEP_1)
	v_rcp_f32_e32 v109, v101
	v_nop
	v_fma_f32 v110, -v101, v109, 1.0
	s_delay_alu instid0(VALU_DEP_1) | instskip(SKIP_1) | instid1(VALU_DEP_1)
	v_fmac_f32_e32 v109, v110, v109
	v_div_scale_f32 v110, vcc_lo, 1.0, v100, 1.0
	v_mul_f32_e32 v111, v110, v109
	s_delay_alu instid0(VALU_DEP_1) | instskip(NEXT) | instid1(VALU_DEP_1)
	v_fma_f32 v112, -v101, v111, v110
	v_fmac_f32_e32 v111, v112, v109
	s_delay_alu instid0(VALU_DEP_1) | instskip(NEXT) | instid1(VALU_DEP_1)
	v_fma_f32 v101, -v101, v111, v110
	v_div_fmas_f32 v101, v101, v109, v111
	s_delay_alu instid0(VALU_DEP_1) | instskip(NEXT) | instid1(VALU_DEP_1)
	v_div_fixup_f32 v100, v101, v100, 1.0
	v_mul_f32_e64 v101, v103, -v100
.LBB92_618:
	s_or_b32 exec_lo, exec_lo, s1
.LBB92_619:
	s_delay_alu instid0(SALU_CYCLE_1) | instskip(NEXT) | instid1(SALU_CYCLE_1)
	s_or_b32 exec_lo, exec_lo, s0
	s_mov_b32 s0, exec_lo
	v_cmpx_ne_u32_e64 v108, v102
	s_xor_b32 s0, exec_lo, s0
	s_cbranch_execz .LBB92_625
; %bb.620:
	s_mov_b32 s1, exec_lo
	v_cmpx_eq_u32_e32 29, v108
	s_cbranch_execz .LBB92_624
; %bb.621:
	v_cmp_ne_u32_e32 vcc_lo, 29, v102
	s_xor_b32 s12, s16, -1
	s_delay_alu instid0(SALU_CYCLE_1) | instskip(NEXT) | instid1(SALU_CYCLE_1)
	s_and_b32 s13, s12, vcc_lo
	s_and_saveexec_b32 s12, s13
	s_cbranch_execz .LBB92_623
; %bb.622:
	v_ashrrev_i32_e32 v103, 31, v102
	s_delay_alu instid0(VALU_DEP_1)
	v_lshl_add_u64 v[108:109], v[102:103], 2, v[4:5]
	s_clause 0x1
	global_load_b32 v103, v[108:109], off
	global_load_b32 v107, v[4:5], off offset:116
	s_wait_loadcnt 0x1
	global_store_b32 v[4:5], v103, off offset:116
	s_wait_loadcnt 0x0
	global_store_b32 v[108:109], v107, off
.LBB92_623:
	s_wait_xcnt 0x0
	s_or_b32 exec_lo, exec_lo, s12
	v_dual_mov_b32 v108, v102 :: v_dual_mov_b32 v107, v102
.LBB92_624:
	s_or_b32 exec_lo, exec_lo, s1
.LBB92_625:
	s_and_not1_saveexec_b32 s0, s0
	s_cbranch_execz .LBB92_627
; %bb.626:
	v_dual_mov_b32 v102, v20 :: v_dual_mov_b32 v103, v21
	v_dual_mov_b32 v108, v18 :: v_dual_mov_b32 v109, v19
	v_dual_mov_b32 v110, v60 :: v_dual_mov_b32 v111, v61
	v_dual_mov_b32 v112, v58 :: v_dual_mov_b32 v113, v59
	v_dual_mov_b32 v114, v16 :: v_dual_mov_b32 v115, v17
	v_dual_mov_b32 v116, v14 :: v_dual_mov_b32 v117, v15
	v_dual_mov_b32 v118, v56 :: v_dual_mov_b32 v119, v57
	v_dual_mov_b32 v120, v54 :: v_dual_mov_b32 v121, v55
	ds_store_2addr_b64 v104, v[102:103], v[108:109] offset0:30 offset1:31
	ds_store_2addr_b64 v104, v[110:111], v[112:113] offset0:32 offset1:33
	;; [unrolled: 1-line block ×4, first 2 shown]
	v_dual_mov_b32 v102, v10 :: v_dual_mov_b32 v103, v11
	v_dual_mov_b32 v110, v6 :: v_dual_mov_b32 v111, v7
	;; [unrolled: 1-line block ×8, first 2 shown]
	v_mov_b32_e32 v123, v13
	ds_store_2addr_b64 v104, v[102:103], v[110:111] offset0:38 offset1:39
	ds_store_2addr_b64 v104, v[112:113], v[114:115] offset0:40 offset1:41
	;; [unrolled: 1-line block ×4, first 2 shown]
	ds_store_b64 v104, v[98:99] offset:368
.LBB92_627:
	s_or_b32 exec_lo, exec_lo, s0
	s_delay_alu instid0(SALU_CYCLE_1)
	s_mov_b32 s0, exec_lo
	s_wait_storecnt_dscnt 0x0
	s_barrier_signal -1
	s_barrier_wait -1
	v_cmpx_lt_i32_e32 29, v108
	s_cbranch_execz .LBB92_629
; %bb.628:
	v_pk_mul_f32 v[110:111], v[100:101], v[62:63] op_sel:[1,1] op_sel_hi:[0,1]
	s_delay_alu instid0(VALU_DEP_1)
	v_pk_fma_f32 v[102:103], v[100:101], v[62:63], v[110:111] op_sel_hi:[1,0,1] neg_lo:[0,0,1] neg_hi:[0,0,1]
	v_pk_fma_f32 v[100:101], v[100:101], v[62:63], v[110:111] op_sel_hi:[1,0,1]
	ds_load_2addr_b64 v[110:113], v104 offset0:30 offset1:31
	v_dual_mov_b32 v62, v102 :: v_dual_mov_b32 v63, v101
	s_wait_dscnt 0x0
	v_pk_mul_f32 v[114:115], v[110:111], v[100:101] op_sel:[0,1]
	s_delay_alu instid0(VALU_DEP_1) | instskip(SKIP_1) | instid1(VALU_DEP_1)
	v_pk_fma_f32 v[116:117], v[110:111], v[102:103], v[114:115] op_sel:[0,0,1] op_sel_hi:[1,1,0] neg_lo:[0,0,1] neg_hi:[0,0,1]
	v_pk_fma_f32 v[110:111], v[110:111], v[102:103], v[114:115] op_sel:[0,0,1] op_sel_hi:[1,0,0]
	v_mov_b32_e32 v117, v111
	v_pk_mul_f32 v[110:111], v[112:113], v[100:101] op_sel:[0,1]
	s_delay_alu instid0(VALU_DEP_1) | instskip(SKIP_1) | instid1(VALU_DEP_1)
	v_pk_fma_f32 v[114:115], v[112:113], v[102:103], v[110:111] op_sel:[0,0,1] op_sel_hi:[1,1,0] neg_lo:[0,0,1] neg_hi:[0,0,1]
	v_pk_fma_f32 v[110:111], v[112:113], v[102:103], v[110:111] op_sel:[0,0,1] op_sel_hi:[1,0,0]
	v_mov_b32_e32 v115, v111
	ds_load_2addr_b64 v[110:113], v104 offset0:32 offset1:33
	v_pk_add_f32 v[20:21], v[20:21], v[116:117] neg_lo:[0,1] neg_hi:[0,1]
	v_pk_add_f32 v[18:19], v[18:19], v[114:115] neg_lo:[0,1] neg_hi:[0,1]
	s_wait_dscnt 0x0
	v_pk_mul_f32 v[114:115], v[110:111], v[100:101] op_sel:[0,1]
	s_delay_alu instid0(VALU_DEP_1) | instskip(SKIP_2) | instid1(VALU_DEP_2)
	v_pk_fma_f32 v[116:117], v[110:111], v[102:103], v[114:115] op_sel:[0,0,1] op_sel_hi:[1,1,0] neg_lo:[0,0,1] neg_hi:[0,0,1]
	v_pk_fma_f32 v[110:111], v[110:111], v[102:103], v[114:115] op_sel:[0,0,1] op_sel_hi:[1,0,0]
	v_dual_mul_f32 v114, v113, v101 :: v_dual_mov_b32 v110, v113
	v_dual_mov_b32 v117, v111 :: v_dual_mov_b32 v111, v112
	s_delay_alu instid0(VALU_DEP_2) | instskip(SKIP_1) | instid1(VALU_DEP_3)
	v_pk_fma_f32 v[114:115], v[112:113], v[62:63], v[114:115] op_sel_hi:[1,1,0] neg_lo:[0,0,1] neg_hi:[0,0,1]
	v_mul_f32_e32 v112, v113, v102
	v_pk_add_f32 v[60:61], v[60:61], v[116:117] neg_lo:[0,1] neg_hi:[0,1]
	s_delay_alu instid0(VALU_DEP_2) | instskip(NEXT) | instid1(VALU_DEP_1)
	v_pk_fma_f32 v[110:111], v[110:111], v[62:63], v[112:113] op_sel_hi:[1,1,0]
	v_mov_b32_e32 v115, v111
	ds_load_2addr_b64 v[110:113], v104 offset0:34 offset1:35
	v_pk_add_f32 v[58:59], v[58:59], v[114:115] neg_lo:[0,1] neg_hi:[0,1]
	s_wait_dscnt 0x0
	v_pk_mul_f32 v[114:115], v[110:111], v[100:101] op_sel:[0,1]
	s_delay_alu instid0(VALU_DEP_1) | instskip(SKIP_1) | instid1(VALU_DEP_1)
	v_pk_fma_f32 v[116:117], v[110:111], v[102:103], v[114:115] op_sel:[0,0,1] op_sel_hi:[1,1,0] neg_lo:[0,0,1] neg_hi:[0,0,1]
	v_pk_fma_f32 v[110:111], v[110:111], v[102:103], v[114:115] op_sel:[0,0,1] op_sel_hi:[1,0,0]
	v_mov_b32_e32 v117, v111
	v_pk_mul_f32 v[110:111], v[112:113], v[100:101] op_sel:[0,1]
	s_delay_alu instid0(VALU_DEP_1) | instskip(SKIP_1) | instid1(VALU_DEP_1)
	v_pk_fma_f32 v[114:115], v[112:113], v[102:103], v[110:111] op_sel:[0,0,1] op_sel_hi:[1,1,0] neg_lo:[0,0,1] neg_hi:[0,0,1]
	v_pk_fma_f32 v[110:111], v[112:113], v[102:103], v[110:111] op_sel:[0,0,1] op_sel_hi:[1,0,0]
	v_mov_b32_e32 v115, v111
	ds_load_2addr_b64 v[110:113], v104 offset0:36 offset1:37
	v_pk_add_f32 v[16:17], v[16:17], v[116:117] neg_lo:[0,1] neg_hi:[0,1]
	v_pk_add_f32 v[14:15], v[14:15], v[114:115] neg_lo:[0,1] neg_hi:[0,1]
	s_wait_dscnt 0x0
	v_pk_mul_f32 v[114:115], v[110:111], v[100:101] op_sel:[0,1]
	s_delay_alu instid0(VALU_DEP_1) | instskip(SKIP_1) | instid1(VALU_DEP_1)
	v_pk_fma_f32 v[116:117], v[110:111], v[102:103], v[114:115] op_sel:[0,0,1] op_sel_hi:[1,1,0] neg_lo:[0,0,1] neg_hi:[0,0,1]
	v_pk_fma_f32 v[110:111], v[110:111], v[102:103], v[114:115] op_sel:[0,0,1] op_sel_hi:[1,0,0]
	v_mov_b32_e32 v117, v111
	v_pk_mul_f32 v[110:111], v[112:113], v[100:101] op_sel:[0,1]
	s_delay_alu instid0(VALU_DEP_1) | instskip(SKIP_1) | instid1(VALU_DEP_1)
	v_pk_fma_f32 v[114:115], v[112:113], v[102:103], v[110:111] op_sel:[0,0,1] op_sel_hi:[1,1,0] neg_lo:[0,0,1] neg_hi:[0,0,1]
	v_pk_fma_f32 v[110:111], v[112:113], v[102:103], v[110:111] op_sel:[0,0,1] op_sel_hi:[1,0,0]
	v_mov_b32_e32 v115, v111
	ds_load_2addr_b64 v[110:113], v104 offset0:38 offset1:39
	v_pk_add_f32 v[56:57], v[56:57], v[116:117] neg_lo:[0,1] neg_hi:[0,1]
	v_pk_add_f32 v[54:55], v[54:55], v[114:115] neg_lo:[0,1] neg_hi:[0,1]
	s_wait_dscnt 0x0
	v_dual_mul_f32 v114, v111, v101 :: v_dual_mul_f32 v116, v111, v102
	s_delay_alu instid0(VALU_DEP_1) | instskip(NEXT) | instid1(VALU_DEP_2)
	v_pk_fma_f32 v[114:115], v[110:111], v[62:63], v[114:115] op_sel_hi:[1,1,0] neg_lo:[0,0,1] neg_hi:[0,0,1]
	v_pk_fma_f32 v[110:111], v[110:111], v[62:63], v[116:117] op_sel:[1,0,0] op_sel_hi:[0,1,0]
	s_delay_alu instid0(VALU_DEP_1) | instskip(SKIP_1) | instid1(VALU_DEP_2)
	v_mov_b32_e32 v115, v111
	v_pk_mul_f32 v[110:111], v[112:113], v[100:101] op_sel:[0,1]
	v_pk_add_f32 v[10:11], v[10:11], v[114:115] neg_lo:[0,1] neg_hi:[0,1]
	s_delay_alu instid0(VALU_DEP_2) | instskip(SKIP_1) | instid1(VALU_DEP_1)
	v_pk_fma_f32 v[114:115], v[112:113], v[102:103], v[110:111] op_sel:[0,0,1] op_sel_hi:[1,1,0] neg_lo:[0,0,1] neg_hi:[0,0,1]
	v_pk_fma_f32 v[110:111], v[112:113], v[102:103], v[110:111] op_sel:[0,0,1] op_sel_hi:[1,0,0]
	v_mov_b32_e32 v115, v111
	ds_load_2addr_b64 v[110:113], v104 offset0:40 offset1:41
	v_pk_add_f32 v[6:7], v[6:7], v[114:115] neg_lo:[0,1] neg_hi:[0,1]
	s_wait_dscnt 0x0
	v_pk_mul_f32 v[114:115], v[110:111], v[100:101] op_sel:[0,1]
	s_delay_alu instid0(VALU_DEP_1) | instskip(SKIP_1) | instid1(VALU_DEP_1)
	v_pk_fma_f32 v[116:117], v[110:111], v[102:103], v[114:115] op_sel:[0,0,1] op_sel_hi:[1,1,0] neg_lo:[0,0,1] neg_hi:[0,0,1]
	v_pk_fma_f32 v[110:111], v[110:111], v[102:103], v[114:115] op_sel:[0,0,1] op_sel_hi:[1,0,0]
	v_mov_b32_e32 v117, v111
	v_pk_mul_f32 v[110:111], v[112:113], v[100:101] op_sel:[0,1]
	s_delay_alu instid0(VALU_DEP_2) | instskip(NEXT) | instid1(VALU_DEP_2)
	v_pk_add_f32 v[52:53], v[52:53], v[116:117] neg_lo:[0,1] neg_hi:[0,1]
	v_pk_fma_f32 v[114:115], v[112:113], v[102:103], v[110:111] op_sel:[0,0,1] op_sel_hi:[1,1,0] neg_lo:[0,0,1] neg_hi:[0,0,1]
	v_pk_fma_f32 v[110:111], v[112:113], v[102:103], v[110:111] op_sel:[0,0,1] op_sel_hi:[1,0,0]
	s_delay_alu instid0(VALU_DEP_1) | instskip(SKIP_4) | instid1(VALU_DEP_1)
	v_mov_b32_e32 v115, v111
	ds_load_2addr_b64 v[110:113], v104 offset0:42 offset1:43
	v_pk_add_f32 v[50:51], v[50:51], v[114:115] neg_lo:[0,1] neg_hi:[0,1]
	s_wait_dscnt 0x0
	v_pk_mul_f32 v[114:115], v[110:111], v[100:101] op_sel:[0,1]
	v_pk_fma_f32 v[116:117], v[110:111], v[102:103], v[114:115] op_sel:[0,0,1] op_sel_hi:[1,1,0] neg_lo:[0,0,1] neg_hi:[0,0,1]
	v_pk_fma_f32 v[110:111], v[110:111], v[102:103], v[114:115] op_sel:[0,0,1] op_sel_hi:[1,0,0]
	v_dual_mul_f32 v114, v113, v101 :: v_dual_mov_b32 v110, v113
	s_delay_alu instid0(VALU_DEP_2) | instskip(NEXT) | instid1(VALU_DEP_2)
	v_dual_mov_b32 v117, v111 :: v_dual_mov_b32 v111, v112
	v_pk_fma_f32 v[114:115], v[112:113], v[62:63], v[114:115] op_sel_hi:[1,1,0] neg_lo:[0,0,1] neg_hi:[0,0,1]
	v_mul_f32_e32 v112, v113, v102
	s_delay_alu instid0(VALU_DEP_3) | instskip(NEXT) | instid1(VALU_DEP_2)
	v_pk_add_f32 v[8:9], v[8:9], v[116:117] neg_lo:[0,1] neg_hi:[0,1]
	v_pk_fma_f32 v[110:111], v[110:111], v[62:63], v[112:113] op_sel_hi:[1,1,0]
	s_delay_alu instid0(VALU_DEP_1) | instskip(SKIP_4) | instid1(VALU_DEP_1)
	v_mov_b32_e32 v115, v111
	ds_load_2addr_b64 v[110:113], v104 offset0:44 offset1:45
	v_pk_add_f32 v[40:41], v[40:41], v[114:115] neg_lo:[0,1] neg_hi:[0,1]
	s_wait_dscnt 0x0
	v_pk_mul_f32 v[114:115], v[110:111], v[100:101] op_sel:[0,1]
	v_pk_fma_f32 v[116:117], v[110:111], v[102:103], v[114:115] op_sel:[0,0,1] op_sel_hi:[1,1,0] neg_lo:[0,0,1] neg_hi:[0,0,1]
	v_pk_fma_f32 v[110:111], v[110:111], v[102:103], v[114:115] op_sel:[0,0,1] op_sel_hi:[1,0,0]
	s_delay_alu instid0(VALU_DEP_1) | instskip(SKIP_1) | instid1(VALU_DEP_1)
	v_mov_b32_e32 v117, v111
	v_pk_mul_f32 v[110:111], v[112:113], v[100:101] op_sel:[0,1]
	v_pk_fma_f32 v[114:115], v[112:113], v[102:103], v[110:111] op_sel:[0,0,1] op_sel_hi:[1,1,0] neg_lo:[0,0,1] neg_hi:[0,0,1]
	v_pk_fma_f32 v[110:111], v[112:113], v[102:103], v[110:111] op_sel:[0,0,1] op_sel_hi:[1,0,0]
	s_delay_alu instid0(VALU_DEP_1)
	v_mov_b32_e32 v115, v111
	ds_load_b64 v[110:111], v104 offset:368
	v_pk_add_f32 v[30:31], v[30:31], v[116:117] neg_lo:[0,1] neg_hi:[0,1]
	v_pk_add_f32 v[12:13], v[12:13], v[114:115] neg_lo:[0,1] neg_hi:[0,1]
	s_wait_dscnt 0x0
	v_pk_mul_f32 v[100:101], v[110:111], v[100:101] op_sel:[0,1]
	s_delay_alu instid0(VALU_DEP_1) | instskip(SKIP_1) | instid1(VALU_DEP_1)
	v_pk_fma_f32 v[112:113], v[110:111], v[102:103], v[100:101] op_sel:[0,0,1] op_sel_hi:[1,1,0] neg_lo:[0,0,1] neg_hi:[0,0,1]
	v_pk_fma_f32 v[100:101], v[110:111], v[102:103], v[100:101] op_sel:[0,0,1] op_sel_hi:[1,0,0]
	v_mov_b32_e32 v113, v101
	s_delay_alu instid0(VALU_DEP_1)
	v_pk_add_f32 v[98:99], v[98:99], v[112:113] neg_lo:[0,1] neg_hi:[0,1]
.LBB92_629:
	s_or_b32 exec_lo, exec_lo, s0
	v_lshl_add_u32 v100, v108, 3, v104
	s_barrier_signal -1
	s_barrier_wait -1
	ds_store_b64 v100, v[20:21]
	s_wait_dscnt 0x0
	s_barrier_signal -1
	s_barrier_wait -1
	ds_load_b64 v[100:101], v104 offset:240
	v_mov_b32_e32 v102, 30
	s_cmp_lt_i32 s18, 32
	s_cbranch_scc1 .LBB92_632
; %bb.630:
	v_add3_u32 v103, v105, 0, 0xf8
	v_mov_b32_e32 v102, 30
	s_mov_b32 s0, 31
.LBB92_631:                             ; =>This Inner Loop Header: Depth=1
	ds_load_b64 v[110:111], v103
	s_wait_dscnt 0x1
	v_cmp_gt_f32_e32 vcc_lo, 0, v100
	v_cndmask_b32_e64 v112, v100, -v100, vcc_lo
	v_cmp_gt_f32_e32 vcc_lo, 0, v101
	v_cndmask_b32_e64 v114, v101, -v101, vcc_lo
	s_wait_dscnt 0x0
	v_cmp_gt_f32_e32 vcc_lo, 0, v110
	v_cndmask_b32_e64 v113, v110, -v110, vcc_lo
	v_cmp_gt_f32_e32 vcc_lo, 0, v111
	v_cndmask_b32_e64 v115, v111, -v111, vcc_lo
	s_delay_alu instid0(VALU_DEP_1) | instskip(NEXT) | instid1(VALU_DEP_1)
	v_pk_add_f32 v[112:113], v[112:113], v[114:115]
	v_cmp_lt_f32_e32 vcc_lo, v112, v113
	v_dual_cndmask_b32 v100, v100, v110 :: v_dual_add_nc_u32 v103, 8, v103
	v_cndmask_b32_e32 v101, v101, v111, vcc_lo
	v_cndmask_b32_e64 v102, v102, s0, vcc_lo
	s_add_co_i32 s0, s0, 1
	s_delay_alu instid0(SALU_CYCLE_1)
	s_cmp_lg_u32 s18, s0
	s_cbranch_scc1 .LBB92_631
.LBB92_632:
	s_wait_dscnt 0x0
	v_cmp_eq_f32_e32 vcc_lo, 0, v100
	v_cmp_eq_f32_e64 s0, 0, v101
	s_and_b32 s0, vcc_lo, s0
	s_delay_alu instid0(SALU_CYCLE_1) | instskip(NEXT) | instid1(SALU_CYCLE_1)
	s_and_saveexec_b32 s1, s0
	s_xor_b32 s0, exec_lo, s1
; %bb.633:
	v_cmp_ne_u32_e32 vcc_lo, 0, v106
	v_cndmask_b32_e32 v106, 31, v106, vcc_lo
; %bb.634:
	s_and_not1_saveexec_b32 s0, s0
	s_cbranch_execz .LBB92_640
; %bb.635:
	v_cmp_ngt_f32_e64 s1, |v100|, |v101|
	s_and_saveexec_b32 s12, s1
	s_delay_alu instid0(SALU_CYCLE_1)
	s_xor_b32 s1, exec_lo, s12
	s_cbranch_execz .LBB92_637
; %bb.636:
	v_div_scale_f32 v103, null, v101, v101, v100
	v_div_scale_f32 v111, vcc_lo, v100, v101, v100
	s_delay_alu instid0(VALU_DEP_2) | instskip(SKIP_1) | instid1(TRANS32_DEP_1)
	v_rcp_f32_e32 v109, v103
	v_nop
	v_fma_f32 v110, -v103, v109, 1.0
	s_delay_alu instid0(VALU_DEP_1) | instskip(NEXT) | instid1(VALU_DEP_1)
	v_fmac_f32_e32 v109, v110, v109
	v_mul_f32_e32 v110, v111, v109
	s_delay_alu instid0(VALU_DEP_1) | instskip(NEXT) | instid1(VALU_DEP_1)
	v_fma_f32 v112, -v103, v110, v111
	v_fmac_f32_e32 v110, v112, v109
	s_delay_alu instid0(VALU_DEP_1) | instskip(NEXT) | instid1(VALU_DEP_1)
	v_fma_f32 v103, -v103, v110, v111
	v_div_fmas_f32 v103, v103, v109, v110
	s_delay_alu instid0(VALU_DEP_1) | instskip(NEXT) | instid1(VALU_DEP_1)
	v_div_fixup_f32 v103, v103, v101, v100
	v_fmac_f32_e32 v101, v100, v103
	s_delay_alu instid0(VALU_DEP_1) | instskip(SKIP_1) | instid1(VALU_DEP_2)
	v_div_scale_f32 v100, null, v101, v101, 1.0
	v_div_scale_f32 v111, vcc_lo, 1.0, v101, 1.0
	v_rcp_f32_e32 v109, v100
	v_nop
	s_delay_alu instid0(TRANS32_DEP_1) | instskip(NEXT) | instid1(VALU_DEP_1)
	v_fma_f32 v110, -v100, v109, 1.0
	v_fmac_f32_e32 v109, v110, v109
	s_delay_alu instid0(VALU_DEP_1) | instskip(NEXT) | instid1(VALU_DEP_1)
	v_mul_f32_e32 v110, v111, v109
	v_fma_f32 v112, -v100, v110, v111
	s_delay_alu instid0(VALU_DEP_1) | instskip(NEXT) | instid1(VALU_DEP_1)
	v_fmac_f32_e32 v110, v112, v109
	v_fma_f32 v100, -v100, v110, v111
	s_delay_alu instid0(VALU_DEP_1) | instskip(NEXT) | instid1(VALU_DEP_1)
	v_div_fmas_f32 v100, v100, v109, v110
	v_div_fixup_f32 v101, v100, v101, 1.0
	s_delay_alu instid0(VALU_DEP_1)
	v_mul_f32_e32 v100, v103, v101
	v_xor_b32_e32 v101, 0x80000000, v101
.LBB92_637:
	s_and_not1_saveexec_b32 s1, s1
	s_cbranch_execz .LBB92_639
; %bb.638:
	s_delay_alu instid0(VALU_DEP_1) | instskip(SKIP_1) | instid1(VALU_DEP_2)
	v_div_scale_f32 v103, null, v100, v100, v101
	v_div_scale_f32 v111, vcc_lo, v101, v100, v101
	v_rcp_f32_e32 v109, v103
	v_nop
	s_delay_alu instid0(TRANS32_DEP_1) | instskip(NEXT) | instid1(VALU_DEP_1)
	v_fma_f32 v110, -v103, v109, 1.0
	v_fmac_f32_e32 v109, v110, v109
	s_delay_alu instid0(VALU_DEP_1) | instskip(NEXT) | instid1(VALU_DEP_1)
	v_mul_f32_e32 v110, v111, v109
	v_fma_f32 v112, -v103, v110, v111
	s_delay_alu instid0(VALU_DEP_1) | instskip(NEXT) | instid1(VALU_DEP_1)
	v_fmac_f32_e32 v110, v112, v109
	v_fma_f32 v103, -v103, v110, v111
	s_delay_alu instid0(VALU_DEP_1) | instskip(NEXT) | instid1(VALU_DEP_1)
	v_div_fmas_f32 v103, v103, v109, v110
	v_div_fixup_f32 v103, v103, v100, v101
	s_delay_alu instid0(VALU_DEP_1) | instskip(NEXT) | instid1(VALU_DEP_1)
	v_fmac_f32_e32 v100, v101, v103
	v_div_scale_f32 v101, null, v100, v100, 1.0
	s_delay_alu instid0(VALU_DEP_1) | instskip(SKIP_1) | instid1(TRANS32_DEP_1)
	v_rcp_f32_e32 v109, v101
	v_nop
	v_fma_f32 v110, -v101, v109, 1.0
	s_delay_alu instid0(VALU_DEP_1) | instskip(SKIP_1) | instid1(VALU_DEP_1)
	v_fmac_f32_e32 v109, v110, v109
	v_div_scale_f32 v110, vcc_lo, 1.0, v100, 1.0
	v_mul_f32_e32 v111, v110, v109
	s_delay_alu instid0(VALU_DEP_1) | instskip(NEXT) | instid1(VALU_DEP_1)
	v_fma_f32 v112, -v101, v111, v110
	v_fmac_f32_e32 v111, v112, v109
	s_delay_alu instid0(VALU_DEP_1) | instskip(NEXT) | instid1(VALU_DEP_1)
	v_fma_f32 v101, -v101, v111, v110
	v_div_fmas_f32 v101, v101, v109, v111
	s_delay_alu instid0(VALU_DEP_1) | instskip(NEXT) | instid1(VALU_DEP_1)
	v_div_fixup_f32 v100, v101, v100, 1.0
	v_mul_f32_e64 v101, v103, -v100
.LBB92_639:
	s_or_b32 exec_lo, exec_lo, s1
.LBB92_640:
	s_delay_alu instid0(SALU_CYCLE_1) | instskip(NEXT) | instid1(SALU_CYCLE_1)
	s_or_b32 exec_lo, exec_lo, s0
	s_mov_b32 s0, exec_lo
	v_cmpx_ne_u32_e64 v108, v102
	s_xor_b32 s0, exec_lo, s0
	s_cbranch_execz .LBB92_646
; %bb.641:
	s_mov_b32 s1, exec_lo
	v_cmpx_eq_u32_e32 30, v108
	s_cbranch_execz .LBB92_645
; %bb.642:
	v_cmp_ne_u32_e32 vcc_lo, 30, v102
	s_xor_b32 s12, s16, -1
	s_delay_alu instid0(SALU_CYCLE_1) | instskip(NEXT) | instid1(SALU_CYCLE_1)
	s_and_b32 s13, s12, vcc_lo
	s_and_saveexec_b32 s12, s13
	s_cbranch_execz .LBB92_644
; %bb.643:
	v_ashrrev_i32_e32 v103, 31, v102
	s_delay_alu instid0(VALU_DEP_1)
	v_lshl_add_u64 v[108:109], v[102:103], 2, v[4:5]
	s_clause 0x1
	global_load_b32 v103, v[108:109], off
	global_load_b32 v107, v[4:5], off offset:120
	s_wait_loadcnt 0x1
	global_store_b32 v[4:5], v103, off offset:120
	s_wait_loadcnt 0x0
	global_store_b32 v[108:109], v107, off
.LBB92_644:
	s_wait_xcnt 0x0
	s_or_b32 exec_lo, exec_lo, s12
	v_dual_mov_b32 v108, v102 :: v_dual_mov_b32 v107, v102
.LBB92_645:
	s_or_b32 exec_lo, exec_lo, s1
.LBB92_646:
	s_and_not1_saveexec_b32 s0, s0
	s_cbranch_execz .LBB92_648
; %bb.647:
	v_mov_b32_e32 v108, 30
	ds_store_2addr_b64 v104, v[18:19], v[60:61] offset0:31 offset1:32
	ds_store_2addr_b64 v104, v[58:59], v[16:17] offset0:33 offset1:34
	ds_store_2addr_b64 v104, v[14:15], v[56:57] offset0:35 offset1:36
	ds_store_2addr_b64 v104, v[54:55], v[10:11] offset0:37 offset1:38
	ds_store_2addr_b64 v104, v[6:7], v[52:53] offset0:39 offset1:40
	ds_store_2addr_b64 v104, v[50:51], v[8:9] offset0:41 offset1:42
	ds_store_2addr_b64 v104, v[40:41], v[30:31] offset0:43 offset1:44
	ds_store_2addr_b64 v104, v[12:13], v[98:99] offset0:45 offset1:46
.LBB92_648:
	s_or_b32 exec_lo, exec_lo, s0
	s_delay_alu instid0(SALU_CYCLE_1)
	s_mov_b32 s0, exec_lo
	s_wait_storecnt_dscnt 0x0
	s_barrier_signal -1
	s_barrier_wait -1
	v_cmpx_lt_i32_e32 30, v108
	s_cbranch_execz .LBB92_650
; %bb.649:
	v_pk_mul_f32 v[110:111], v[100:101], v[20:21] op_sel:[1,1] op_sel_hi:[0,1]
	s_delay_alu instid0(VALU_DEP_1)
	v_pk_fma_f32 v[102:103], v[100:101], v[20:21], v[110:111] op_sel_hi:[1,0,1] neg_lo:[0,0,1] neg_hi:[0,0,1]
	v_pk_fma_f32 v[100:101], v[100:101], v[20:21], v[110:111] op_sel_hi:[1,0,1]
	ds_load_2addr_b64 v[110:113], v104 offset0:31 offset1:32
	v_dual_mov_b32 v20, v102 :: v_dual_mov_b32 v21, v101
	s_wait_dscnt 0x0
	v_pk_mul_f32 v[114:115], v[110:111], v[100:101] op_sel:[0,1]
	s_delay_alu instid0(VALU_DEP_1) | instskip(SKIP_1) | instid1(VALU_DEP_1)
	v_pk_fma_f32 v[116:117], v[110:111], v[102:103], v[114:115] op_sel:[0,0,1] op_sel_hi:[1,1,0] neg_lo:[0,0,1] neg_hi:[0,0,1]
	v_pk_fma_f32 v[110:111], v[110:111], v[102:103], v[114:115] op_sel:[0,0,1] op_sel_hi:[1,0,0]
	v_mov_b32_e32 v117, v111
	v_pk_mul_f32 v[110:111], v[112:113], v[100:101] op_sel:[0,1]
	s_delay_alu instid0(VALU_DEP_1) | instskip(SKIP_1) | instid1(VALU_DEP_1)
	v_pk_fma_f32 v[114:115], v[112:113], v[102:103], v[110:111] op_sel:[0,0,1] op_sel_hi:[1,1,0] neg_lo:[0,0,1] neg_hi:[0,0,1]
	v_pk_fma_f32 v[110:111], v[112:113], v[102:103], v[110:111] op_sel:[0,0,1] op_sel_hi:[1,0,0]
	v_mov_b32_e32 v115, v111
	ds_load_2addr_b64 v[110:113], v104 offset0:33 offset1:34
	v_pk_add_f32 v[18:19], v[18:19], v[116:117] neg_lo:[0,1] neg_hi:[0,1]
	v_pk_add_f32 v[60:61], v[60:61], v[114:115] neg_lo:[0,1] neg_hi:[0,1]
	s_wait_dscnt 0x0
	v_pk_mul_f32 v[114:115], v[110:111], v[100:101] op_sel:[0,1]
	s_delay_alu instid0(VALU_DEP_1) | instskip(SKIP_2) | instid1(VALU_DEP_2)
	v_pk_fma_f32 v[116:117], v[110:111], v[102:103], v[114:115] op_sel:[0,0,1] op_sel_hi:[1,1,0] neg_lo:[0,0,1] neg_hi:[0,0,1]
	v_pk_fma_f32 v[110:111], v[110:111], v[102:103], v[114:115] op_sel:[0,0,1] op_sel_hi:[1,0,0]
	v_dual_mul_f32 v114, v113, v101 :: v_dual_mov_b32 v110, v113
	v_dual_mov_b32 v117, v111 :: v_dual_mov_b32 v111, v112
	s_delay_alu instid0(VALU_DEP_2) | instskip(SKIP_1) | instid1(VALU_DEP_3)
	v_pk_fma_f32 v[114:115], v[112:113], v[20:21], v[114:115] op_sel_hi:[1,1,0] neg_lo:[0,0,1] neg_hi:[0,0,1]
	v_mul_f32_e32 v112, v113, v102
	v_pk_add_f32 v[58:59], v[58:59], v[116:117] neg_lo:[0,1] neg_hi:[0,1]
	s_delay_alu instid0(VALU_DEP_2) | instskip(NEXT) | instid1(VALU_DEP_1)
	v_pk_fma_f32 v[110:111], v[110:111], v[20:21], v[112:113] op_sel_hi:[1,1,0]
	v_mov_b32_e32 v115, v111
	ds_load_2addr_b64 v[110:113], v104 offset0:35 offset1:36
	v_pk_add_f32 v[16:17], v[16:17], v[114:115] neg_lo:[0,1] neg_hi:[0,1]
	s_wait_dscnt 0x0
	v_pk_mul_f32 v[114:115], v[110:111], v[100:101] op_sel:[0,1]
	s_delay_alu instid0(VALU_DEP_1) | instskip(SKIP_1) | instid1(VALU_DEP_1)
	v_pk_fma_f32 v[116:117], v[110:111], v[102:103], v[114:115] op_sel:[0,0,1] op_sel_hi:[1,1,0] neg_lo:[0,0,1] neg_hi:[0,0,1]
	v_pk_fma_f32 v[110:111], v[110:111], v[102:103], v[114:115] op_sel:[0,0,1] op_sel_hi:[1,0,0]
	v_mov_b32_e32 v117, v111
	v_pk_mul_f32 v[110:111], v[112:113], v[100:101] op_sel:[0,1]
	s_delay_alu instid0(VALU_DEP_1) | instskip(SKIP_1) | instid1(VALU_DEP_1)
	v_pk_fma_f32 v[114:115], v[112:113], v[102:103], v[110:111] op_sel:[0,0,1] op_sel_hi:[1,1,0] neg_lo:[0,0,1] neg_hi:[0,0,1]
	v_pk_fma_f32 v[110:111], v[112:113], v[102:103], v[110:111] op_sel:[0,0,1] op_sel_hi:[1,0,0]
	v_mov_b32_e32 v115, v111
	ds_load_2addr_b64 v[110:113], v104 offset0:37 offset1:38
	v_pk_add_f32 v[14:15], v[14:15], v[116:117] neg_lo:[0,1] neg_hi:[0,1]
	v_pk_add_f32 v[56:57], v[56:57], v[114:115] neg_lo:[0,1] neg_hi:[0,1]
	s_wait_dscnt 0x0
	v_pk_mul_f32 v[114:115], v[110:111], v[100:101] op_sel:[0,1]
	s_delay_alu instid0(VALU_DEP_1) | instskip(SKIP_1) | instid1(VALU_DEP_1)
	v_pk_fma_f32 v[116:117], v[110:111], v[102:103], v[114:115] op_sel:[0,0,1] op_sel_hi:[1,1,0] neg_lo:[0,0,1] neg_hi:[0,0,1]
	v_pk_fma_f32 v[110:111], v[110:111], v[102:103], v[114:115] op_sel:[0,0,1] op_sel_hi:[1,0,0]
	v_mov_b32_e32 v117, v111
	v_pk_mul_f32 v[110:111], v[112:113], v[100:101] op_sel:[0,1]
	s_delay_alu instid0(VALU_DEP_1) | instskip(SKIP_1) | instid1(VALU_DEP_1)
	v_pk_fma_f32 v[114:115], v[112:113], v[102:103], v[110:111] op_sel:[0,0,1] op_sel_hi:[1,1,0] neg_lo:[0,0,1] neg_hi:[0,0,1]
	v_pk_fma_f32 v[110:111], v[112:113], v[102:103], v[110:111] op_sel:[0,0,1] op_sel_hi:[1,0,0]
	v_mov_b32_e32 v115, v111
	ds_load_2addr_b64 v[110:113], v104 offset0:39 offset1:40
	v_pk_add_f32 v[54:55], v[54:55], v[116:117] neg_lo:[0,1] neg_hi:[0,1]
	v_pk_add_f32 v[10:11], v[10:11], v[114:115] neg_lo:[0,1] neg_hi:[0,1]
	s_wait_dscnt 0x0
	v_dual_mul_f32 v114, v111, v101 :: v_dual_mul_f32 v116, v111, v102
	s_delay_alu instid0(VALU_DEP_1) | instskip(NEXT) | instid1(VALU_DEP_2)
	v_pk_fma_f32 v[114:115], v[110:111], v[20:21], v[114:115] op_sel_hi:[1,1,0] neg_lo:[0,0,1] neg_hi:[0,0,1]
	v_pk_fma_f32 v[110:111], v[110:111], v[20:21], v[116:117] op_sel:[1,0,0] op_sel_hi:[0,1,0]
	s_delay_alu instid0(VALU_DEP_1) | instskip(SKIP_1) | instid1(VALU_DEP_2)
	v_mov_b32_e32 v115, v111
	v_pk_mul_f32 v[110:111], v[112:113], v[100:101] op_sel:[0,1]
	v_pk_add_f32 v[6:7], v[6:7], v[114:115] neg_lo:[0,1] neg_hi:[0,1]
	s_delay_alu instid0(VALU_DEP_2) | instskip(SKIP_1) | instid1(VALU_DEP_1)
	v_pk_fma_f32 v[114:115], v[112:113], v[102:103], v[110:111] op_sel:[0,0,1] op_sel_hi:[1,1,0] neg_lo:[0,0,1] neg_hi:[0,0,1]
	v_pk_fma_f32 v[110:111], v[112:113], v[102:103], v[110:111] op_sel:[0,0,1] op_sel_hi:[1,0,0]
	v_mov_b32_e32 v115, v111
	ds_load_2addr_b64 v[110:113], v104 offset0:41 offset1:42
	v_pk_add_f32 v[52:53], v[52:53], v[114:115] neg_lo:[0,1] neg_hi:[0,1]
	s_wait_dscnt 0x0
	v_pk_mul_f32 v[114:115], v[110:111], v[100:101] op_sel:[0,1]
	s_delay_alu instid0(VALU_DEP_1) | instskip(SKIP_1) | instid1(VALU_DEP_1)
	v_pk_fma_f32 v[116:117], v[110:111], v[102:103], v[114:115] op_sel:[0,0,1] op_sel_hi:[1,1,0] neg_lo:[0,0,1] neg_hi:[0,0,1]
	v_pk_fma_f32 v[110:111], v[110:111], v[102:103], v[114:115] op_sel:[0,0,1] op_sel_hi:[1,0,0]
	v_mov_b32_e32 v117, v111
	v_pk_mul_f32 v[110:111], v[112:113], v[100:101] op_sel:[0,1]
	s_delay_alu instid0(VALU_DEP_2) | instskip(NEXT) | instid1(VALU_DEP_2)
	v_pk_add_f32 v[50:51], v[50:51], v[116:117] neg_lo:[0,1] neg_hi:[0,1]
	v_pk_fma_f32 v[114:115], v[112:113], v[102:103], v[110:111] op_sel:[0,0,1] op_sel_hi:[1,1,0] neg_lo:[0,0,1] neg_hi:[0,0,1]
	v_pk_fma_f32 v[110:111], v[112:113], v[102:103], v[110:111] op_sel:[0,0,1] op_sel_hi:[1,0,0]
	s_delay_alu instid0(VALU_DEP_1) | instskip(SKIP_4) | instid1(VALU_DEP_1)
	v_mov_b32_e32 v115, v111
	ds_load_2addr_b64 v[110:113], v104 offset0:43 offset1:44
	v_pk_add_f32 v[8:9], v[8:9], v[114:115] neg_lo:[0,1] neg_hi:[0,1]
	s_wait_dscnt 0x0
	v_pk_mul_f32 v[114:115], v[110:111], v[100:101] op_sel:[0,1]
	v_pk_fma_f32 v[116:117], v[110:111], v[102:103], v[114:115] op_sel:[0,0,1] op_sel_hi:[1,1,0] neg_lo:[0,0,1] neg_hi:[0,0,1]
	v_pk_fma_f32 v[110:111], v[110:111], v[102:103], v[114:115] op_sel:[0,0,1] op_sel_hi:[1,0,0]
	v_dual_mul_f32 v114, v113, v101 :: v_dual_mov_b32 v110, v113
	s_delay_alu instid0(VALU_DEP_2) | instskip(NEXT) | instid1(VALU_DEP_2)
	v_dual_mov_b32 v117, v111 :: v_dual_mov_b32 v111, v112
	v_pk_fma_f32 v[114:115], v[112:113], v[20:21], v[114:115] op_sel_hi:[1,1,0] neg_lo:[0,0,1] neg_hi:[0,0,1]
	v_mul_f32_e32 v112, v113, v102
	s_delay_alu instid0(VALU_DEP_3) | instskip(NEXT) | instid1(VALU_DEP_2)
	v_pk_add_f32 v[40:41], v[40:41], v[116:117] neg_lo:[0,1] neg_hi:[0,1]
	v_pk_fma_f32 v[110:111], v[110:111], v[20:21], v[112:113] op_sel_hi:[1,1,0]
	s_delay_alu instid0(VALU_DEP_1)
	v_mov_b32_e32 v115, v111
	ds_load_2addr_b64 v[110:113], v104 offset0:45 offset1:46
	v_pk_add_f32 v[30:31], v[30:31], v[114:115] neg_lo:[0,1] neg_hi:[0,1]
	s_wait_dscnt 0x0
	v_pk_mul_f32 v[114:115], v[110:111], v[100:101] op_sel:[0,1]
	v_pk_mul_f32 v[100:101], v[112:113], v[100:101] op_sel:[0,1]
	s_delay_alu instid0(VALU_DEP_2) | instskip(SKIP_1) | instid1(VALU_DEP_1)
	v_pk_fma_f32 v[116:117], v[110:111], v[102:103], v[114:115] op_sel:[0,0,1] op_sel_hi:[1,1,0] neg_lo:[0,0,1] neg_hi:[0,0,1]
	v_pk_fma_f32 v[110:111], v[110:111], v[102:103], v[114:115] op_sel:[0,0,1] op_sel_hi:[1,0,0]
	v_mov_b32_e32 v117, v111
	s_delay_alu instid0(VALU_DEP_4) | instskip(SKIP_1) | instid1(VALU_DEP_1)
	v_pk_fma_f32 v[110:111], v[112:113], v[102:103], v[100:101] op_sel:[0,0,1] op_sel_hi:[1,1,0] neg_lo:[0,0,1] neg_hi:[0,0,1]
	v_pk_fma_f32 v[100:101], v[112:113], v[102:103], v[100:101] op_sel:[0,0,1] op_sel_hi:[1,0,0]
	v_mov_b32_e32 v111, v101
	s_delay_alu instid0(VALU_DEP_4) | instskip(NEXT) | instid1(VALU_DEP_2)
	v_pk_add_f32 v[12:13], v[12:13], v[116:117] neg_lo:[0,1] neg_hi:[0,1]
	v_pk_add_f32 v[98:99], v[98:99], v[110:111] neg_lo:[0,1] neg_hi:[0,1]
.LBB92_650:
	s_or_b32 exec_lo, exec_lo, s0
	v_lshl_add_u32 v100, v108, 3, v104
	s_barrier_signal -1
	s_barrier_wait -1
	ds_store_b64 v100, v[18:19]
	s_wait_dscnt 0x0
	s_barrier_signal -1
	s_barrier_wait -1
	ds_load_b64 v[100:101], v104 offset:248
	v_mov_b32_e32 v102, 31
	s_cmp_lt_i32 s18, 33
	s_cbranch_scc1 .LBB92_653
; %bb.651:
	v_add3_u32 v103, v105, 0, 0x100
	v_mov_b32_e32 v102, 31
	s_mov_b32 s0, 32
.LBB92_652:                             ; =>This Inner Loop Header: Depth=1
	ds_load_b64 v[110:111], v103
	s_wait_dscnt 0x1
	v_cmp_gt_f32_e32 vcc_lo, 0, v100
	v_cndmask_b32_e64 v112, v100, -v100, vcc_lo
	v_cmp_gt_f32_e32 vcc_lo, 0, v101
	v_cndmask_b32_e64 v114, v101, -v101, vcc_lo
	s_wait_dscnt 0x0
	v_cmp_gt_f32_e32 vcc_lo, 0, v110
	v_cndmask_b32_e64 v113, v110, -v110, vcc_lo
	v_cmp_gt_f32_e32 vcc_lo, 0, v111
	v_cndmask_b32_e64 v115, v111, -v111, vcc_lo
	s_delay_alu instid0(VALU_DEP_1) | instskip(NEXT) | instid1(VALU_DEP_1)
	v_pk_add_f32 v[112:113], v[112:113], v[114:115]
	v_cmp_lt_f32_e32 vcc_lo, v112, v113
	v_dual_cndmask_b32 v100, v100, v110 :: v_dual_add_nc_u32 v103, 8, v103
	v_cndmask_b32_e32 v101, v101, v111, vcc_lo
	v_cndmask_b32_e64 v102, v102, s0, vcc_lo
	s_add_co_i32 s0, s0, 1
	s_delay_alu instid0(SALU_CYCLE_1)
	s_cmp_lg_u32 s18, s0
	s_cbranch_scc1 .LBB92_652
.LBB92_653:
	s_wait_dscnt 0x0
	v_cmp_eq_f32_e32 vcc_lo, 0, v100
	v_cmp_eq_f32_e64 s0, 0, v101
	s_and_b32 s0, vcc_lo, s0
	s_delay_alu instid0(SALU_CYCLE_1) | instskip(NEXT) | instid1(SALU_CYCLE_1)
	s_and_saveexec_b32 s1, s0
	s_xor_b32 s0, exec_lo, s1
; %bb.654:
	v_cmp_ne_u32_e32 vcc_lo, 0, v106
	v_cndmask_b32_e32 v106, 32, v106, vcc_lo
; %bb.655:
	s_and_not1_saveexec_b32 s0, s0
	s_cbranch_execz .LBB92_661
; %bb.656:
	v_cmp_ngt_f32_e64 s1, |v100|, |v101|
	s_and_saveexec_b32 s12, s1
	s_delay_alu instid0(SALU_CYCLE_1)
	s_xor_b32 s1, exec_lo, s12
	s_cbranch_execz .LBB92_658
; %bb.657:
	v_div_scale_f32 v103, null, v101, v101, v100
	v_div_scale_f32 v111, vcc_lo, v100, v101, v100
	s_delay_alu instid0(VALU_DEP_2) | instskip(SKIP_1) | instid1(TRANS32_DEP_1)
	v_rcp_f32_e32 v109, v103
	v_nop
	v_fma_f32 v110, -v103, v109, 1.0
	s_delay_alu instid0(VALU_DEP_1) | instskip(NEXT) | instid1(VALU_DEP_1)
	v_fmac_f32_e32 v109, v110, v109
	v_mul_f32_e32 v110, v111, v109
	s_delay_alu instid0(VALU_DEP_1) | instskip(NEXT) | instid1(VALU_DEP_1)
	v_fma_f32 v112, -v103, v110, v111
	v_fmac_f32_e32 v110, v112, v109
	s_delay_alu instid0(VALU_DEP_1) | instskip(NEXT) | instid1(VALU_DEP_1)
	v_fma_f32 v103, -v103, v110, v111
	v_div_fmas_f32 v103, v103, v109, v110
	s_delay_alu instid0(VALU_DEP_1) | instskip(NEXT) | instid1(VALU_DEP_1)
	v_div_fixup_f32 v103, v103, v101, v100
	v_fmac_f32_e32 v101, v100, v103
	s_delay_alu instid0(VALU_DEP_1) | instskip(SKIP_1) | instid1(VALU_DEP_2)
	v_div_scale_f32 v100, null, v101, v101, 1.0
	v_div_scale_f32 v111, vcc_lo, 1.0, v101, 1.0
	v_rcp_f32_e32 v109, v100
	v_nop
	s_delay_alu instid0(TRANS32_DEP_1) | instskip(NEXT) | instid1(VALU_DEP_1)
	v_fma_f32 v110, -v100, v109, 1.0
	v_fmac_f32_e32 v109, v110, v109
	s_delay_alu instid0(VALU_DEP_1) | instskip(NEXT) | instid1(VALU_DEP_1)
	v_mul_f32_e32 v110, v111, v109
	v_fma_f32 v112, -v100, v110, v111
	s_delay_alu instid0(VALU_DEP_1) | instskip(NEXT) | instid1(VALU_DEP_1)
	v_fmac_f32_e32 v110, v112, v109
	v_fma_f32 v100, -v100, v110, v111
	s_delay_alu instid0(VALU_DEP_1) | instskip(NEXT) | instid1(VALU_DEP_1)
	v_div_fmas_f32 v100, v100, v109, v110
	v_div_fixup_f32 v101, v100, v101, 1.0
	s_delay_alu instid0(VALU_DEP_1)
	v_mul_f32_e32 v100, v103, v101
	v_xor_b32_e32 v101, 0x80000000, v101
.LBB92_658:
	s_and_not1_saveexec_b32 s1, s1
	s_cbranch_execz .LBB92_660
; %bb.659:
	s_delay_alu instid0(VALU_DEP_1) | instskip(SKIP_1) | instid1(VALU_DEP_2)
	v_div_scale_f32 v103, null, v100, v100, v101
	v_div_scale_f32 v111, vcc_lo, v101, v100, v101
	v_rcp_f32_e32 v109, v103
	v_nop
	s_delay_alu instid0(TRANS32_DEP_1) | instskip(NEXT) | instid1(VALU_DEP_1)
	v_fma_f32 v110, -v103, v109, 1.0
	v_fmac_f32_e32 v109, v110, v109
	s_delay_alu instid0(VALU_DEP_1) | instskip(NEXT) | instid1(VALU_DEP_1)
	v_mul_f32_e32 v110, v111, v109
	v_fma_f32 v112, -v103, v110, v111
	s_delay_alu instid0(VALU_DEP_1) | instskip(NEXT) | instid1(VALU_DEP_1)
	v_fmac_f32_e32 v110, v112, v109
	v_fma_f32 v103, -v103, v110, v111
	s_delay_alu instid0(VALU_DEP_1) | instskip(NEXT) | instid1(VALU_DEP_1)
	v_div_fmas_f32 v103, v103, v109, v110
	v_div_fixup_f32 v103, v103, v100, v101
	s_delay_alu instid0(VALU_DEP_1) | instskip(NEXT) | instid1(VALU_DEP_1)
	v_fmac_f32_e32 v100, v101, v103
	v_div_scale_f32 v101, null, v100, v100, 1.0
	s_delay_alu instid0(VALU_DEP_1) | instskip(SKIP_1) | instid1(TRANS32_DEP_1)
	v_rcp_f32_e32 v109, v101
	v_nop
	v_fma_f32 v110, -v101, v109, 1.0
	s_delay_alu instid0(VALU_DEP_1) | instskip(SKIP_1) | instid1(VALU_DEP_1)
	v_fmac_f32_e32 v109, v110, v109
	v_div_scale_f32 v110, vcc_lo, 1.0, v100, 1.0
	v_mul_f32_e32 v111, v110, v109
	s_delay_alu instid0(VALU_DEP_1) | instskip(NEXT) | instid1(VALU_DEP_1)
	v_fma_f32 v112, -v101, v111, v110
	v_fmac_f32_e32 v111, v112, v109
	s_delay_alu instid0(VALU_DEP_1) | instskip(NEXT) | instid1(VALU_DEP_1)
	v_fma_f32 v101, -v101, v111, v110
	v_div_fmas_f32 v101, v101, v109, v111
	s_delay_alu instid0(VALU_DEP_1) | instskip(NEXT) | instid1(VALU_DEP_1)
	v_div_fixup_f32 v100, v101, v100, 1.0
	v_mul_f32_e64 v101, v103, -v100
.LBB92_660:
	s_or_b32 exec_lo, exec_lo, s1
.LBB92_661:
	s_delay_alu instid0(SALU_CYCLE_1) | instskip(NEXT) | instid1(SALU_CYCLE_1)
	s_or_b32 exec_lo, exec_lo, s0
	s_mov_b32 s0, exec_lo
	v_cmpx_ne_u32_e64 v108, v102
	s_xor_b32 s0, exec_lo, s0
	s_cbranch_execz .LBB92_667
; %bb.662:
	s_mov_b32 s1, exec_lo
	v_cmpx_eq_u32_e32 31, v108
	s_cbranch_execz .LBB92_666
; %bb.663:
	v_cmp_ne_u32_e32 vcc_lo, 31, v102
	s_xor_b32 s12, s16, -1
	s_delay_alu instid0(SALU_CYCLE_1) | instskip(NEXT) | instid1(SALU_CYCLE_1)
	s_and_b32 s13, s12, vcc_lo
	s_and_saveexec_b32 s12, s13
	s_cbranch_execz .LBB92_665
; %bb.664:
	v_ashrrev_i32_e32 v103, 31, v102
	s_delay_alu instid0(VALU_DEP_1)
	v_lshl_add_u64 v[108:109], v[102:103], 2, v[4:5]
	s_clause 0x1
	global_load_b32 v103, v[108:109], off
	global_load_b32 v107, v[4:5], off offset:124
	s_wait_loadcnt 0x1
	global_store_b32 v[4:5], v103, off offset:124
	s_wait_loadcnt 0x0
	global_store_b32 v[108:109], v107, off
.LBB92_665:
	s_wait_xcnt 0x0
	s_or_b32 exec_lo, exec_lo, s12
	v_dual_mov_b32 v108, v102 :: v_dual_mov_b32 v107, v102
.LBB92_666:
	s_or_b32 exec_lo, exec_lo, s1
.LBB92_667:
	s_and_not1_saveexec_b32 s0, s0
	s_cbranch_execz .LBB92_669
; %bb.668:
	v_dual_mov_b32 v102, v60 :: v_dual_mov_b32 v103, v61
	v_dual_mov_b32 v108, v58 :: v_dual_mov_b32 v109, v59
	;; [unrolled: 1-line block ×4, first 2 shown]
	ds_store_2addr_b64 v104, v[102:103], v[108:109] offset0:32 offset1:33
	ds_store_2addr_b64 v104, v[110:111], v[112:113] offset0:34 offset1:35
	v_dual_mov_b32 v102, v56 :: v_dual_mov_b32 v103, v57
	v_dual_mov_b32 v108, v54 :: v_dual_mov_b32 v109, v55
	;; [unrolled: 1-line block ×6, first 2 shown]
	ds_store_2addr_b64 v104, v[102:103], v[108:109] offset0:36 offset1:37
	ds_store_2addr_b64 v104, v[110:111], v[112:113] offset0:38 offset1:39
	v_dual_mov_b32 v108, 31 :: v_dual_mov_b32 v118, v8
	v_dual_mov_b32 v119, v9 :: v_dual_mov_b32 v120, v40
	;; [unrolled: 1-line block ×4, first 2 shown]
	v_mov_b32_e32 v125, v13
	ds_store_2addr_b64 v104, v[114:115], v[116:117] offset0:40 offset1:41
	ds_store_2addr_b64 v104, v[118:119], v[120:121] offset0:42 offset1:43
	ds_store_2addr_b64 v104, v[122:123], v[124:125] offset0:44 offset1:45
	ds_store_b64 v104, v[98:99] offset:368
.LBB92_669:
	s_or_b32 exec_lo, exec_lo, s0
	s_delay_alu instid0(SALU_CYCLE_1)
	s_mov_b32 s0, exec_lo
	s_wait_storecnt_dscnt 0x0
	s_barrier_signal -1
	s_barrier_wait -1
	v_cmpx_lt_i32_e32 31, v108
	s_cbranch_execz .LBB92_671
; %bb.670:
	v_pk_mul_f32 v[110:111], v[100:101], v[18:19] op_sel:[1,1] op_sel_hi:[0,1]
	s_delay_alu instid0(VALU_DEP_1)
	v_pk_fma_f32 v[102:103], v[100:101], v[18:19], v[110:111] op_sel_hi:[1,0,1] neg_lo:[0,0,1] neg_hi:[0,0,1]
	v_pk_fma_f32 v[100:101], v[100:101], v[18:19], v[110:111] op_sel_hi:[1,0,1]
	ds_load_2addr_b64 v[110:113], v104 offset0:32 offset1:33
	v_dual_mov_b32 v18, v102 :: v_dual_mov_b32 v19, v101
	s_wait_dscnt 0x0
	v_pk_mul_f32 v[114:115], v[110:111], v[100:101] op_sel:[0,1]
	s_delay_alu instid0(VALU_DEP_1) | instskip(SKIP_1) | instid1(VALU_DEP_1)
	v_pk_fma_f32 v[116:117], v[110:111], v[102:103], v[114:115] op_sel:[0,0,1] op_sel_hi:[1,1,0] neg_lo:[0,0,1] neg_hi:[0,0,1]
	v_pk_fma_f32 v[110:111], v[110:111], v[102:103], v[114:115] op_sel:[0,0,1] op_sel_hi:[1,0,0]
	v_mov_b32_e32 v117, v111
	v_pk_mul_f32 v[110:111], v[112:113], v[100:101] op_sel:[0,1]
	s_delay_alu instid0(VALU_DEP_1) | instskip(SKIP_1) | instid1(VALU_DEP_1)
	v_pk_fma_f32 v[114:115], v[112:113], v[102:103], v[110:111] op_sel:[0,0,1] op_sel_hi:[1,1,0] neg_lo:[0,0,1] neg_hi:[0,0,1]
	v_pk_fma_f32 v[110:111], v[112:113], v[102:103], v[110:111] op_sel:[0,0,1] op_sel_hi:[1,0,0]
	v_mov_b32_e32 v115, v111
	ds_load_2addr_b64 v[110:113], v104 offset0:34 offset1:35
	v_pk_add_f32 v[60:61], v[60:61], v[116:117] neg_lo:[0,1] neg_hi:[0,1]
	v_pk_add_f32 v[58:59], v[58:59], v[114:115] neg_lo:[0,1] neg_hi:[0,1]
	s_wait_dscnt 0x0
	v_pk_mul_f32 v[114:115], v[110:111], v[100:101] op_sel:[0,1]
	s_delay_alu instid0(VALU_DEP_1) | instskip(SKIP_2) | instid1(VALU_DEP_2)
	v_pk_fma_f32 v[116:117], v[110:111], v[102:103], v[114:115] op_sel:[0,0,1] op_sel_hi:[1,1,0] neg_lo:[0,0,1] neg_hi:[0,0,1]
	v_pk_fma_f32 v[110:111], v[110:111], v[102:103], v[114:115] op_sel:[0,0,1] op_sel_hi:[1,0,0]
	v_dual_mul_f32 v114, v113, v101 :: v_dual_mov_b32 v110, v113
	v_dual_mov_b32 v117, v111 :: v_dual_mov_b32 v111, v112
	s_delay_alu instid0(VALU_DEP_2) | instskip(SKIP_1) | instid1(VALU_DEP_3)
	v_pk_fma_f32 v[114:115], v[112:113], v[18:19], v[114:115] op_sel_hi:[1,1,0] neg_lo:[0,0,1] neg_hi:[0,0,1]
	v_mul_f32_e32 v112, v113, v102
	v_pk_add_f32 v[16:17], v[16:17], v[116:117] neg_lo:[0,1] neg_hi:[0,1]
	s_delay_alu instid0(VALU_DEP_2) | instskip(NEXT) | instid1(VALU_DEP_1)
	v_pk_fma_f32 v[110:111], v[110:111], v[18:19], v[112:113] op_sel_hi:[1,1,0]
	v_mov_b32_e32 v115, v111
	ds_load_2addr_b64 v[110:113], v104 offset0:36 offset1:37
	v_pk_add_f32 v[14:15], v[14:15], v[114:115] neg_lo:[0,1] neg_hi:[0,1]
	s_wait_dscnt 0x0
	v_pk_mul_f32 v[114:115], v[110:111], v[100:101] op_sel:[0,1]
	s_delay_alu instid0(VALU_DEP_1) | instskip(SKIP_1) | instid1(VALU_DEP_1)
	v_pk_fma_f32 v[116:117], v[110:111], v[102:103], v[114:115] op_sel:[0,0,1] op_sel_hi:[1,1,0] neg_lo:[0,0,1] neg_hi:[0,0,1]
	v_pk_fma_f32 v[110:111], v[110:111], v[102:103], v[114:115] op_sel:[0,0,1] op_sel_hi:[1,0,0]
	v_mov_b32_e32 v117, v111
	v_pk_mul_f32 v[110:111], v[112:113], v[100:101] op_sel:[0,1]
	s_delay_alu instid0(VALU_DEP_1) | instskip(SKIP_1) | instid1(VALU_DEP_1)
	v_pk_fma_f32 v[114:115], v[112:113], v[102:103], v[110:111] op_sel:[0,0,1] op_sel_hi:[1,1,0] neg_lo:[0,0,1] neg_hi:[0,0,1]
	v_pk_fma_f32 v[110:111], v[112:113], v[102:103], v[110:111] op_sel:[0,0,1] op_sel_hi:[1,0,0]
	v_mov_b32_e32 v115, v111
	ds_load_2addr_b64 v[110:113], v104 offset0:38 offset1:39
	v_pk_add_f32 v[56:57], v[56:57], v[116:117] neg_lo:[0,1] neg_hi:[0,1]
	v_pk_add_f32 v[54:55], v[54:55], v[114:115] neg_lo:[0,1] neg_hi:[0,1]
	s_wait_dscnt 0x0
	v_pk_mul_f32 v[114:115], v[110:111], v[100:101] op_sel:[0,1]
	s_delay_alu instid0(VALU_DEP_1) | instskip(SKIP_1) | instid1(VALU_DEP_1)
	v_pk_fma_f32 v[116:117], v[110:111], v[102:103], v[114:115] op_sel:[0,0,1] op_sel_hi:[1,1,0] neg_lo:[0,0,1] neg_hi:[0,0,1]
	v_pk_fma_f32 v[110:111], v[110:111], v[102:103], v[114:115] op_sel:[0,0,1] op_sel_hi:[1,0,0]
	v_mov_b32_e32 v117, v111
	v_pk_mul_f32 v[110:111], v[112:113], v[100:101] op_sel:[0,1]
	s_delay_alu instid0(VALU_DEP_1) | instskip(SKIP_1) | instid1(VALU_DEP_1)
	v_pk_fma_f32 v[114:115], v[112:113], v[102:103], v[110:111] op_sel:[0,0,1] op_sel_hi:[1,1,0] neg_lo:[0,0,1] neg_hi:[0,0,1]
	v_pk_fma_f32 v[110:111], v[112:113], v[102:103], v[110:111] op_sel:[0,0,1] op_sel_hi:[1,0,0]
	v_mov_b32_e32 v115, v111
	ds_load_2addr_b64 v[110:113], v104 offset0:40 offset1:41
	v_pk_add_f32 v[10:11], v[10:11], v[116:117] neg_lo:[0,1] neg_hi:[0,1]
	v_pk_add_f32 v[6:7], v[6:7], v[114:115] neg_lo:[0,1] neg_hi:[0,1]
	s_wait_dscnt 0x0
	v_dual_mul_f32 v114, v111, v101 :: v_dual_mul_f32 v116, v111, v102
	s_delay_alu instid0(VALU_DEP_1) | instskip(NEXT) | instid1(VALU_DEP_2)
	v_pk_fma_f32 v[114:115], v[110:111], v[18:19], v[114:115] op_sel_hi:[1,1,0] neg_lo:[0,0,1] neg_hi:[0,0,1]
	v_pk_fma_f32 v[110:111], v[110:111], v[18:19], v[116:117] op_sel:[1,0,0] op_sel_hi:[0,1,0]
	s_delay_alu instid0(VALU_DEP_1) | instskip(SKIP_1) | instid1(VALU_DEP_2)
	v_mov_b32_e32 v115, v111
	v_pk_mul_f32 v[110:111], v[112:113], v[100:101] op_sel:[0,1]
	v_pk_add_f32 v[52:53], v[52:53], v[114:115] neg_lo:[0,1] neg_hi:[0,1]
	s_delay_alu instid0(VALU_DEP_2) | instskip(SKIP_1) | instid1(VALU_DEP_1)
	v_pk_fma_f32 v[114:115], v[112:113], v[102:103], v[110:111] op_sel:[0,0,1] op_sel_hi:[1,1,0] neg_lo:[0,0,1] neg_hi:[0,0,1]
	v_pk_fma_f32 v[110:111], v[112:113], v[102:103], v[110:111] op_sel:[0,0,1] op_sel_hi:[1,0,0]
	v_mov_b32_e32 v115, v111
	ds_load_2addr_b64 v[110:113], v104 offset0:42 offset1:43
	v_pk_add_f32 v[50:51], v[50:51], v[114:115] neg_lo:[0,1] neg_hi:[0,1]
	s_wait_dscnt 0x0
	v_pk_mul_f32 v[114:115], v[110:111], v[100:101] op_sel:[0,1]
	s_delay_alu instid0(VALU_DEP_1) | instskip(SKIP_1) | instid1(VALU_DEP_1)
	v_pk_fma_f32 v[116:117], v[110:111], v[102:103], v[114:115] op_sel:[0,0,1] op_sel_hi:[1,1,0] neg_lo:[0,0,1] neg_hi:[0,0,1]
	v_pk_fma_f32 v[110:111], v[110:111], v[102:103], v[114:115] op_sel:[0,0,1] op_sel_hi:[1,0,0]
	v_mov_b32_e32 v117, v111
	v_pk_mul_f32 v[110:111], v[112:113], v[100:101] op_sel:[0,1]
	s_delay_alu instid0(VALU_DEP_2) | instskip(NEXT) | instid1(VALU_DEP_2)
	v_pk_add_f32 v[8:9], v[8:9], v[116:117] neg_lo:[0,1] neg_hi:[0,1]
	v_pk_fma_f32 v[114:115], v[112:113], v[102:103], v[110:111] op_sel:[0,0,1] op_sel_hi:[1,1,0] neg_lo:[0,0,1] neg_hi:[0,0,1]
	v_pk_fma_f32 v[110:111], v[112:113], v[102:103], v[110:111] op_sel:[0,0,1] op_sel_hi:[1,0,0]
	s_delay_alu instid0(VALU_DEP_1) | instskip(SKIP_4) | instid1(VALU_DEP_1)
	v_mov_b32_e32 v115, v111
	ds_load_2addr_b64 v[110:113], v104 offset0:44 offset1:45
	v_pk_add_f32 v[40:41], v[40:41], v[114:115] neg_lo:[0,1] neg_hi:[0,1]
	s_wait_dscnt 0x0
	v_pk_mul_f32 v[114:115], v[110:111], v[100:101] op_sel:[0,1]
	v_pk_fma_f32 v[116:117], v[110:111], v[102:103], v[114:115] op_sel:[0,0,1] op_sel_hi:[1,1,0] neg_lo:[0,0,1] neg_hi:[0,0,1]
	v_pk_fma_f32 v[110:111], v[110:111], v[102:103], v[114:115] op_sel:[0,0,1] op_sel_hi:[1,0,0]
	v_dual_mul_f32 v114, v113, v101 :: v_dual_mov_b32 v110, v113
	s_delay_alu instid0(VALU_DEP_2) | instskip(NEXT) | instid1(VALU_DEP_2)
	v_dual_mov_b32 v117, v111 :: v_dual_mov_b32 v111, v112
	v_pk_fma_f32 v[114:115], v[112:113], v[18:19], v[114:115] op_sel_hi:[1,1,0] neg_lo:[0,0,1] neg_hi:[0,0,1]
	v_mul_f32_e32 v112, v113, v102
	s_delay_alu instid0(VALU_DEP_3) | instskip(NEXT) | instid1(VALU_DEP_2)
	v_pk_add_f32 v[30:31], v[30:31], v[116:117] neg_lo:[0,1] neg_hi:[0,1]
	v_pk_fma_f32 v[110:111], v[110:111], v[18:19], v[112:113] op_sel_hi:[1,1,0]
	s_delay_alu instid0(VALU_DEP_1) | instskip(SKIP_4) | instid1(VALU_DEP_1)
	v_mov_b32_e32 v115, v111
	ds_load_b64 v[110:111], v104 offset:368
	v_pk_add_f32 v[12:13], v[12:13], v[114:115] neg_lo:[0,1] neg_hi:[0,1]
	s_wait_dscnt 0x0
	v_pk_mul_f32 v[100:101], v[110:111], v[100:101] op_sel:[0,1]
	v_pk_fma_f32 v[112:113], v[110:111], v[102:103], v[100:101] op_sel:[0,0,1] op_sel_hi:[1,1,0] neg_lo:[0,0,1] neg_hi:[0,0,1]
	v_pk_fma_f32 v[100:101], v[110:111], v[102:103], v[100:101] op_sel:[0,0,1] op_sel_hi:[1,0,0]
	s_delay_alu instid0(VALU_DEP_1) | instskip(NEXT) | instid1(VALU_DEP_1)
	v_mov_b32_e32 v113, v101
	v_pk_add_f32 v[98:99], v[98:99], v[112:113] neg_lo:[0,1] neg_hi:[0,1]
.LBB92_671:
	s_or_b32 exec_lo, exec_lo, s0
	v_lshl_add_u32 v100, v108, 3, v104
	s_barrier_signal -1
	s_barrier_wait -1
	ds_store_b64 v100, v[60:61]
	s_wait_dscnt 0x0
	s_barrier_signal -1
	s_barrier_wait -1
	ds_load_b64 v[100:101], v104 offset:256
	v_mov_b32_e32 v102, 32
	s_cmp_lt_i32 s18, 34
	s_cbranch_scc1 .LBB92_674
; %bb.672:
	v_add3_u32 v103, v105, 0, 0x108
	v_mov_b32_e32 v102, 32
	s_mov_b32 s0, 33
.LBB92_673:                             ; =>This Inner Loop Header: Depth=1
	ds_load_b64 v[110:111], v103
	s_wait_dscnt 0x1
	v_cmp_gt_f32_e32 vcc_lo, 0, v100
	v_cndmask_b32_e64 v112, v100, -v100, vcc_lo
	v_cmp_gt_f32_e32 vcc_lo, 0, v101
	v_cndmask_b32_e64 v114, v101, -v101, vcc_lo
	s_wait_dscnt 0x0
	v_cmp_gt_f32_e32 vcc_lo, 0, v110
	v_cndmask_b32_e64 v113, v110, -v110, vcc_lo
	v_cmp_gt_f32_e32 vcc_lo, 0, v111
	v_cndmask_b32_e64 v115, v111, -v111, vcc_lo
	s_delay_alu instid0(VALU_DEP_1) | instskip(NEXT) | instid1(VALU_DEP_1)
	v_pk_add_f32 v[112:113], v[112:113], v[114:115]
	v_cmp_lt_f32_e32 vcc_lo, v112, v113
	v_dual_cndmask_b32 v100, v100, v110 :: v_dual_add_nc_u32 v103, 8, v103
	v_cndmask_b32_e32 v101, v101, v111, vcc_lo
	v_cndmask_b32_e64 v102, v102, s0, vcc_lo
	s_add_co_i32 s0, s0, 1
	s_delay_alu instid0(SALU_CYCLE_1)
	s_cmp_lg_u32 s18, s0
	s_cbranch_scc1 .LBB92_673
.LBB92_674:
	s_wait_dscnt 0x0
	v_cmp_eq_f32_e32 vcc_lo, 0, v100
	v_cmp_eq_f32_e64 s0, 0, v101
	s_and_b32 s0, vcc_lo, s0
	s_delay_alu instid0(SALU_CYCLE_1) | instskip(NEXT) | instid1(SALU_CYCLE_1)
	s_and_saveexec_b32 s1, s0
	s_xor_b32 s0, exec_lo, s1
; %bb.675:
	v_cmp_ne_u32_e32 vcc_lo, 0, v106
	v_cndmask_b32_e32 v106, 33, v106, vcc_lo
; %bb.676:
	s_and_not1_saveexec_b32 s0, s0
	s_cbranch_execz .LBB92_682
; %bb.677:
	v_cmp_ngt_f32_e64 s1, |v100|, |v101|
	s_and_saveexec_b32 s12, s1
	s_delay_alu instid0(SALU_CYCLE_1)
	s_xor_b32 s1, exec_lo, s12
	s_cbranch_execz .LBB92_679
; %bb.678:
	v_div_scale_f32 v103, null, v101, v101, v100
	v_div_scale_f32 v111, vcc_lo, v100, v101, v100
	s_delay_alu instid0(VALU_DEP_2) | instskip(SKIP_1) | instid1(TRANS32_DEP_1)
	v_rcp_f32_e32 v109, v103
	v_nop
	v_fma_f32 v110, -v103, v109, 1.0
	s_delay_alu instid0(VALU_DEP_1) | instskip(NEXT) | instid1(VALU_DEP_1)
	v_fmac_f32_e32 v109, v110, v109
	v_mul_f32_e32 v110, v111, v109
	s_delay_alu instid0(VALU_DEP_1) | instskip(NEXT) | instid1(VALU_DEP_1)
	v_fma_f32 v112, -v103, v110, v111
	v_fmac_f32_e32 v110, v112, v109
	s_delay_alu instid0(VALU_DEP_1) | instskip(NEXT) | instid1(VALU_DEP_1)
	v_fma_f32 v103, -v103, v110, v111
	v_div_fmas_f32 v103, v103, v109, v110
	s_delay_alu instid0(VALU_DEP_1) | instskip(NEXT) | instid1(VALU_DEP_1)
	v_div_fixup_f32 v103, v103, v101, v100
	v_fmac_f32_e32 v101, v100, v103
	s_delay_alu instid0(VALU_DEP_1) | instskip(SKIP_1) | instid1(VALU_DEP_2)
	v_div_scale_f32 v100, null, v101, v101, 1.0
	v_div_scale_f32 v111, vcc_lo, 1.0, v101, 1.0
	v_rcp_f32_e32 v109, v100
	v_nop
	s_delay_alu instid0(TRANS32_DEP_1) | instskip(NEXT) | instid1(VALU_DEP_1)
	v_fma_f32 v110, -v100, v109, 1.0
	v_fmac_f32_e32 v109, v110, v109
	s_delay_alu instid0(VALU_DEP_1) | instskip(NEXT) | instid1(VALU_DEP_1)
	v_mul_f32_e32 v110, v111, v109
	v_fma_f32 v112, -v100, v110, v111
	s_delay_alu instid0(VALU_DEP_1) | instskip(NEXT) | instid1(VALU_DEP_1)
	v_fmac_f32_e32 v110, v112, v109
	v_fma_f32 v100, -v100, v110, v111
	s_delay_alu instid0(VALU_DEP_1) | instskip(NEXT) | instid1(VALU_DEP_1)
	v_div_fmas_f32 v100, v100, v109, v110
	v_div_fixup_f32 v101, v100, v101, 1.0
	s_delay_alu instid0(VALU_DEP_1)
	v_mul_f32_e32 v100, v103, v101
	v_xor_b32_e32 v101, 0x80000000, v101
.LBB92_679:
	s_and_not1_saveexec_b32 s1, s1
	s_cbranch_execz .LBB92_681
; %bb.680:
	s_delay_alu instid0(VALU_DEP_1) | instskip(SKIP_1) | instid1(VALU_DEP_2)
	v_div_scale_f32 v103, null, v100, v100, v101
	v_div_scale_f32 v111, vcc_lo, v101, v100, v101
	v_rcp_f32_e32 v109, v103
	v_nop
	s_delay_alu instid0(TRANS32_DEP_1) | instskip(NEXT) | instid1(VALU_DEP_1)
	v_fma_f32 v110, -v103, v109, 1.0
	v_fmac_f32_e32 v109, v110, v109
	s_delay_alu instid0(VALU_DEP_1) | instskip(NEXT) | instid1(VALU_DEP_1)
	v_mul_f32_e32 v110, v111, v109
	v_fma_f32 v112, -v103, v110, v111
	s_delay_alu instid0(VALU_DEP_1) | instskip(NEXT) | instid1(VALU_DEP_1)
	v_fmac_f32_e32 v110, v112, v109
	v_fma_f32 v103, -v103, v110, v111
	s_delay_alu instid0(VALU_DEP_1) | instskip(NEXT) | instid1(VALU_DEP_1)
	v_div_fmas_f32 v103, v103, v109, v110
	v_div_fixup_f32 v103, v103, v100, v101
	s_delay_alu instid0(VALU_DEP_1) | instskip(NEXT) | instid1(VALU_DEP_1)
	v_fmac_f32_e32 v100, v101, v103
	v_div_scale_f32 v101, null, v100, v100, 1.0
	s_delay_alu instid0(VALU_DEP_1) | instskip(SKIP_1) | instid1(TRANS32_DEP_1)
	v_rcp_f32_e32 v109, v101
	v_nop
	v_fma_f32 v110, -v101, v109, 1.0
	s_delay_alu instid0(VALU_DEP_1) | instskip(SKIP_1) | instid1(VALU_DEP_1)
	v_fmac_f32_e32 v109, v110, v109
	v_div_scale_f32 v110, vcc_lo, 1.0, v100, 1.0
	v_mul_f32_e32 v111, v110, v109
	s_delay_alu instid0(VALU_DEP_1) | instskip(NEXT) | instid1(VALU_DEP_1)
	v_fma_f32 v112, -v101, v111, v110
	v_fmac_f32_e32 v111, v112, v109
	s_delay_alu instid0(VALU_DEP_1) | instskip(NEXT) | instid1(VALU_DEP_1)
	v_fma_f32 v101, -v101, v111, v110
	v_div_fmas_f32 v101, v101, v109, v111
	s_delay_alu instid0(VALU_DEP_1) | instskip(NEXT) | instid1(VALU_DEP_1)
	v_div_fixup_f32 v100, v101, v100, 1.0
	v_mul_f32_e64 v101, v103, -v100
.LBB92_681:
	s_or_b32 exec_lo, exec_lo, s1
.LBB92_682:
	s_delay_alu instid0(SALU_CYCLE_1) | instskip(NEXT) | instid1(SALU_CYCLE_1)
	s_or_b32 exec_lo, exec_lo, s0
	s_mov_b32 s0, exec_lo
	v_cmpx_ne_u32_e64 v108, v102
	s_xor_b32 s0, exec_lo, s0
	s_cbranch_execz .LBB92_688
; %bb.683:
	s_mov_b32 s1, exec_lo
	v_cmpx_eq_u32_e32 32, v108
	s_cbranch_execz .LBB92_687
; %bb.684:
	v_cmp_ne_u32_e32 vcc_lo, 32, v102
	s_xor_b32 s12, s16, -1
	s_delay_alu instid0(SALU_CYCLE_1) | instskip(NEXT) | instid1(SALU_CYCLE_1)
	s_and_b32 s13, s12, vcc_lo
	s_and_saveexec_b32 s12, s13
	s_cbranch_execz .LBB92_686
; %bb.685:
	v_ashrrev_i32_e32 v103, 31, v102
	s_delay_alu instid0(VALU_DEP_1)
	v_lshl_add_u64 v[108:109], v[102:103], 2, v[4:5]
	s_clause 0x1
	global_load_b32 v103, v[108:109], off
	global_load_b32 v107, v[4:5], off offset:128
	s_wait_loadcnt 0x1
	global_store_b32 v[4:5], v103, off offset:128
	s_wait_loadcnt 0x0
	global_store_b32 v[108:109], v107, off
.LBB92_686:
	s_wait_xcnt 0x0
	s_or_b32 exec_lo, exec_lo, s12
	v_dual_mov_b32 v108, v102 :: v_dual_mov_b32 v107, v102
.LBB92_687:
	s_or_b32 exec_lo, exec_lo, s1
.LBB92_688:
	s_and_not1_saveexec_b32 s0, s0
	s_cbranch_execz .LBB92_690
; %bb.689:
	v_mov_b32_e32 v108, 32
	ds_store_2addr_b64 v104, v[58:59], v[16:17] offset0:33 offset1:34
	ds_store_2addr_b64 v104, v[14:15], v[56:57] offset0:35 offset1:36
	;; [unrolled: 1-line block ×7, first 2 shown]
.LBB92_690:
	s_or_b32 exec_lo, exec_lo, s0
	s_delay_alu instid0(SALU_CYCLE_1)
	s_mov_b32 s0, exec_lo
	s_wait_storecnt_dscnt 0x0
	s_barrier_signal -1
	s_barrier_wait -1
	v_cmpx_lt_i32_e32 32, v108
	s_cbranch_execz .LBB92_692
; %bb.691:
	v_pk_mul_f32 v[102:103], v[100:101], v[60:61] op_sel:[1,1] op_sel_hi:[0,1]
	s_delay_alu instid0(VALU_DEP_1)
	v_pk_fma_f32 v[110:111], v[100:101], v[60:61], v[102:103] op_sel_hi:[1,0,1] neg_lo:[0,0,1] neg_hi:[0,0,1]
	v_pk_fma_f32 v[112:113], v[100:101], v[60:61], v[102:103] op_sel_hi:[1,0,1]
	ds_load_2addr_b64 v[100:103], v104 offset0:33 offset1:34
	v_dual_mov_b32 v60, v110 :: v_dual_mov_b32 v61, v113
	s_wait_dscnt 0x0
	v_pk_mul_f32 v[114:115], v[100:101], v[112:113] op_sel:[0,1]
	s_delay_alu instid0(VALU_DEP_1) | instskip(SKIP_1) | instid1(VALU_DEP_1)
	v_pk_fma_f32 v[116:117], v[100:101], v[110:111], v[114:115] op_sel:[0,0,1] op_sel_hi:[1,1,0] neg_lo:[0,0,1] neg_hi:[0,0,1]
	v_pk_fma_f32 v[100:101], v[100:101], v[110:111], v[114:115] op_sel:[0,0,1] op_sel_hi:[1,0,0]
	v_mov_b32_e32 v117, v101
	v_pk_mul_f32 v[100:101], v[102:103], v[112:113] op_sel:[0,1]
	s_delay_alu instid0(VALU_DEP_1) | instskip(SKIP_1) | instid1(VALU_DEP_1)
	v_pk_fma_f32 v[114:115], v[102:103], v[110:111], v[100:101] op_sel:[0,0,1] op_sel_hi:[1,1,0] neg_lo:[0,0,1] neg_hi:[0,0,1]
	v_pk_fma_f32 v[100:101], v[102:103], v[110:111], v[100:101] op_sel:[0,0,1] op_sel_hi:[1,0,0]
	v_mov_b32_e32 v115, v101
	ds_load_2addr_b64 v[100:103], v104 offset0:35 offset1:36
	v_pk_add_f32 v[58:59], v[58:59], v[116:117] neg_lo:[0,1] neg_hi:[0,1]
	v_pk_add_f32 v[16:17], v[16:17], v[114:115] neg_lo:[0,1] neg_hi:[0,1]
	s_wait_dscnt 0x0
	v_pk_mul_f32 v[114:115], v[100:101], v[112:113] op_sel:[0,1]
	s_delay_alu instid0(VALU_DEP_1) | instskip(SKIP_2) | instid1(VALU_DEP_2)
	v_pk_fma_f32 v[116:117], v[100:101], v[110:111], v[114:115] op_sel:[0,0,1] op_sel_hi:[1,1,0] neg_lo:[0,0,1] neg_hi:[0,0,1]
	v_pk_fma_f32 v[100:101], v[100:101], v[110:111], v[114:115] op_sel:[0,0,1] op_sel_hi:[1,0,0]
	v_dual_mul_f32 v114, v103, v113 :: v_dual_mov_b32 v100, v103
	v_dual_mov_b32 v117, v101 :: v_dual_mov_b32 v101, v102
	s_delay_alu instid0(VALU_DEP_2) | instskip(SKIP_1) | instid1(VALU_DEP_3)
	v_pk_fma_f32 v[114:115], v[102:103], v[60:61], v[114:115] op_sel_hi:[1,1,0] neg_lo:[0,0,1] neg_hi:[0,0,1]
	v_mul_f32_e32 v102, v103, v110
	v_pk_add_f32 v[14:15], v[14:15], v[116:117] neg_lo:[0,1] neg_hi:[0,1]
	s_delay_alu instid0(VALU_DEP_2) | instskip(NEXT) | instid1(VALU_DEP_1)
	v_pk_fma_f32 v[100:101], v[100:101], v[60:61], v[102:103] op_sel_hi:[1,1,0]
	v_mov_b32_e32 v115, v101
	ds_load_2addr_b64 v[100:103], v104 offset0:37 offset1:38
	v_pk_add_f32 v[56:57], v[56:57], v[114:115] neg_lo:[0,1] neg_hi:[0,1]
	s_wait_dscnt 0x0
	v_pk_mul_f32 v[114:115], v[100:101], v[112:113] op_sel:[0,1]
	s_delay_alu instid0(VALU_DEP_1) | instskip(SKIP_1) | instid1(VALU_DEP_1)
	v_pk_fma_f32 v[116:117], v[100:101], v[110:111], v[114:115] op_sel:[0,0,1] op_sel_hi:[1,1,0] neg_lo:[0,0,1] neg_hi:[0,0,1]
	v_pk_fma_f32 v[100:101], v[100:101], v[110:111], v[114:115] op_sel:[0,0,1] op_sel_hi:[1,0,0]
	v_mov_b32_e32 v117, v101
	v_pk_mul_f32 v[100:101], v[102:103], v[112:113] op_sel:[0,1]
	s_delay_alu instid0(VALU_DEP_1) | instskip(SKIP_1) | instid1(VALU_DEP_1)
	v_pk_fma_f32 v[114:115], v[102:103], v[110:111], v[100:101] op_sel:[0,0,1] op_sel_hi:[1,1,0] neg_lo:[0,0,1] neg_hi:[0,0,1]
	v_pk_fma_f32 v[100:101], v[102:103], v[110:111], v[100:101] op_sel:[0,0,1] op_sel_hi:[1,0,0]
	v_mov_b32_e32 v115, v101
	ds_load_2addr_b64 v[100:103], v104 offset0:39 offset1:40
	v_pk_add_f32 v[54:55], v[54:55], v[116:117] neg_lo:[0,1] neg_hi:[0,1]
	v_pk_add_f32 v[10:11], v[10:11], v[114:115] neg_lo:[0,1] neg_hi:[0,1]
	s_wait_dscnt 0x0
	v_pk_mul_f32 v[114:115], v[100:101], v[112:113] op_sel:[0,1]
	s_delay_alu instid0(VALU_DEP_1) | instskip(SKIP_1) | instid1(VALU_DEP_1)
	v_pk_fma_f32 v[116:117], v[100:101], v[110:111], v[114:115] op_sel:[0,0,1] op_sel_hi:[1,1,0] neg_lo:[0,0,1] neg_hi:[0,0,1]
	v_pk_fma_f32 v[100:101], v[100:101], v[110:111], v[114:115] op_sel:[0,0,1] op_sel_hi:[1,0,0]
	v_mov_b32_e32 v117, v101
	v_pk_mul_f32 v[100:101], v[102:103], v[112:113] op_sel:[0,1]
	s_delay_alu instid0(VALU_DEP_1) | instskip(SKIP_1) | instid1(VALU_DEP_1)
	v_pk_fma_f32 v[114:115], v[102:103], v[110:111], v[100:101] op_sel:[0,0,1] op_sel_hi:[1,1,0] neg_lo:[0,0,1] neg_hi:[0,0,1]
	v_pk_fma_f32 v[100:101], v[102:103], v[110:111], v[100:101] op_sel:[0,0,1] op_sel_hi:[1,0,0]
	v_mov_b32_e32 v115, v101
	ds_load_2addr_b64 v[100:103], v104 offset0:41 offset1:42
	v_pk_add_f32 v[6:7], v[6:7], v[116:117] neg_lo:[0,1] neg_hi:[0,1]
	v_pk_add_f32 v[52:53], v[52:53], v[114:115] neg_lo:[0,1] neg_hi:[0,1]
	s_wait_dscnt 0x0
	v_dual_mul_f32 v114, v101, v113 :: v_dual_mul_f32 v116, v101, v110
	s_delay_alu instid0(VALU_DEP_1) | instskip(NEXT) | instid1(VALU_DEP_2)
	v_pk_fma_f32 v[114:115], v[100:101], v[60:61], v[114:115] op_sel_hi:[1,1,0] neg_lo:[0,0,1] neg_hi:[0,0,1]
	v_pk_fma_f32 v[100:101], v[100:101], v[60:61], v[116:117] op_sel:[1,0,0] op_sel_hi:[0,1,0]
	s_delay_alu instid0(VALU_DEP_1) | instskip(SKIP_1) | instid1(VALU_DEP_2)
	v_mov_b32_e32 v115, v101
	v_pk_mul_f32 v[100:101], v[102:103], v[112:113] op_sel:[0,1]
	v_pk_add_f32 v[50:51], v[50:51], v[114:115] neg_lo:[0,1] neg_hi:[0,1]
	s_delay_alu instid0(VALU_DEP_2) | instskip(SKIP_1) | instid1(VALU_DEP_1)
	v_pk_fma_f32 v[114:115], v[102:103], v[110:111], v[100:101] op_sel:[0,0,1] op_sel_hi:[1,1,0] neg_lo:[0,0,1] neg_hi:[0,0,1]
	v_pk_fma_f32 v[100:101], v[102:103], v[110:111], v[100:101] op_sel:[0,0,1] op_sel_hi:[1,0,0]
	v_mov_b32_e32 v115, v101
	ds_load_2addr_b64 v[100:103], v104 offset0:43 offset1:44
	v_pk_add_f32 v[8:9], v[8:9], v[114:115] neg_lo:[0,1] neg_hi:[0,1]
	s_wait_dscnt 0x0
	v_pk_mul_f32 v[114:115], v[100:101], v[112:113] op_sel:[0,1]
	s_delay_alu instid0(VALU_DEP_1) | instskip(SKIP_1) | instid1(VALU_DEP_1)
	v_pk_fma_f32 v[116:117], v[100:101], v[110:111], v[114:115] op_sel:[0,0,1] op_sel_hi:[1,1,0] neg_lo:[0,0,1] neg_hi:[0,0,1]
	v_pk_fma_f32 v[100:101], v[100:101], v[110:111], v[114:115] op_sel:[0,0,1] op_sel_hi:[1,0,0]
	v_mov_b32_e32 v117, v101
	v_pk_mul_f32 v[100:101], v[102:103], v[112:113] op_sel:[0,1]
	s_delay_alu instid0(VALU_DEP_2) | instskip(NEXT) | instid1(VALU_DEP_2)
	v_pk_add_f32 v[40:41], v[40:41], v[116:117] neg_lo:[0,1] neg_hi:[0,1]
	v_pk_fma_f32 v[114:115], v[102:103], v[110:111], v[100:101] op_sel:[0,0,1] op_sel_hi:[1,1,0] neg_lo:[0,0,1] neg_hi:[0,0,1]
	v_pk_fma_f32 v[100:101], v[102:103], v[110:111], v[100:101] op_sel:[0,0,1] op_sel_hi:[1,0,0]
	s_delay_alu instid0(VALU_DEP_1) | instskip(SKIP_4) | instid1(VALU_DEP_1)
	v_mov_b32_e32 v115, v101
	ds_load_2addr_b64 v[100:103], v104 offset0:45 offset1:46
	v_pk_add_f32 v[30:31], v[30:31], v[114:115] neg_lo:[0,1] neg_hi:[0,1]
	s_wait_dscnt 0x0
	v_pk_mul_f32 v[114:115], v[100:101], v[112:113] op_sel:[0,1]
	v_pk_fma_f32 v[116:117], v[100:101], v[110:111], v[114:115] op_sel:[0,0,1] op_sel_hi:[1,1,0] neg_lo:[0,0,1] neg_hi:[0,0,1]
	v_pk_fma_f32 v[100:101], v[100:101], v[110:111], v[114:115] op_sel:[0,0,1] op_sel_hi:[1,0,0]
	s_delay_alu instid0(VALU_DEP_1) | instskip(SKIP_1) | instid1(VALU_DEP_2)
	v_mov_b32_e32 v117, v101
	v_pk_mul_f32 v[100:101], v[102:103], v[112:113] op_sel:[0,1]
	v_pk_add_f32 v[12:13], v[12:13], v[116:117] neg_lo:[0,1] neg_hi:[0,1]
	s_delay_alu instid0(VALU_DEP_2) | instskip(SKIP_1) | instid1(VALU_DEP_1)
	v_pk_fma_f32 v[112:113], v[102:103], v[110:111], v[100:101] op_sel:[0,0,1] op_sel_hi:[1,1,0] neg_lo:[0,0,1] neg_hi:[0,0,1]
	v_pk_fma_f32 v[100:101], v[102:103], v[110:111], v[100:101] op_sel:[0,0,1] op_sel_hi:[1,0,0]
	v_mov_b32_e32 v113, v101
	s_delay_alu instid0(VALU_DEP_1)
	v_pk_add_f32 v[98:99], v[98:99], v[112:113] neg_lo:[0,1] neg_hi:[0,1]
.LBB92_692:
	s_or_b32 exec_lo, exec_lo, s0
	v_lshl_add_u32 v100, v108, 3, v104
	s_barrier_signal -1
	s_barrier_wait -1
	ds_store_b64 v100, v[58:59]
	s_wait_dscnt 0x0
	s_barrier_signal -1
	s_barrier_wait -1
	ds_load_b64 v[100:101], v104 offset:264
	v_mov_b32_e32 v102, 33
	s_cmp_lt_i32 s18, 35
	s_cbranch_scc1 .LBB92_695
; %bb.693:
	v_add3_u32 v103, v105, 0, 0x110
	v_mov_b32_e32 v102, 33
	s_mov_b32 s0, 34
.LBB92_694:                             ; =>This Inner Loop Header: Depth=1
	ds_load_b64 v[110:111], v103
	s_wait_dscnt 0x1
	v_cmp_gt_f32_e32 vcc_lo, 0, v100
	v_cndmask_b32_e64 v112, v100, -v100, vcc_lo
	v_cmp_gt_f32_e32 vcc_lo, 0, v101
	v_cndmask_b32_e64 v114, v101, -v101, vcc_lo
	s_wait_dscnt 0x0
	v_cmp_gt_f32_e32 vcc_lo, 0, v110
	v_cndmask_b32_e64 v113, v110, -v110, vcc_lo
	v_cmp_gt_f32_e32 vcc_lo, 0, v111
	v_cndmask_b32_e64 v115, v111, -v111, vcc_lo
	s_delay_alu instid0(VALU_DEP_1) | instskip(NEXT) | instid1(VALU_DEP_1)
	v_pk_add_f32 v[112:113], v[112:113], v[114:115]
	v_cmp_lt_f32_e32 vcc_lo, v112, v113
	v_dual_cndmask_b32 v100, v100, v110 :: v_dual_add_nc_u32 v103, 8, v103
	v_cndmask_b32_e32 v101, v101, v111, vcc_lo
	v_cndmask_b32_e64 v102, v102, s0, vcc_lo
	s_add_co_i32 s0, s0, 1
	s_delay_alu instid0(SALU_CYCLE_1)
	s_cmp_lg_u32 s18, s0
	s_cbranch_scc1 .LBB92_694
.LBB92_695:
	s_wait_dscnt 0x0
	v_cmp_eq_f32_e32 vcc_lo, 0, v100
	v_cmp_eq_f32_e64 s0, 0, v101
	s_and_b32 s0, vcc_lo, s0
	s_delay_alu instid0(SALU_CYCLE_1) | instskip(NEXT) | instid1(SALU_CYCLE_1)
	s_and_saveexec_b32 s1, s0
	s_xor_b32 s0, exec_lo, s1
; %bb.696:
	v_cmp_ne_u32_e32 vcc_lo, 0, v106
	v_cndmask_b32_e32 v106, 34, v106, vcc_lo
; %bb.697:
	s_and_not1_saveexec_b32 s0, s0
	s_cbranch_execz .LBB92_703
; %bb.698:
	v_cmp_ngt_f32_e64 s1, |v100|, |v101|
	s_and_saveexec_b32 s12, s1
	s_delay_alu instid0(SALU_CYCLE_1)
	s_xor_b32 s1, exec_lo, s12
	s_cbranch_execz .LBB92_700
; %bb.699:
	v_div_scale_f32 v103, null, v101, v101, v100
	v_div_scale_f32 v111, vcc_lo, v100, v101, v100
	s_delay_alu instid0(VALU_DEP_2) | instskip(SKIP_1) | instid1(TRANS32_DEP_1)
	v_rcp_f32_e32 v109, v103
	v_nop
	v_fma_f32 v110, -v103, v109, 1.0
	s_delay_alu instid0(VALU_DEP_1) | instskip(NEXT) | instid1(VALU_DEP_1)
	v_fmac_f32_e32 v109, v110, v109
	v_mul_f32_e32 v110, v111, v109
	s_delay_alu instid0(VALU_DEP_1) | instskip(NEXT) | instid1(VALU_DEP_1)
	v_fma_f32 v112, -v103, v110, v111
	v_fmac_f32_e32 v110, v112, v109
	s_delay_alu instid0(VALU_DEP_1) | instskip(NEXT) | instid1(VALU_DEP_1)
	v_fma_f32 v103, -v103, v110, v111
	v_div_fmas_f32 v103, v103, v109, v110
	s_delay_alu instid0(VALU_DEP_1) | instskip(NEXT) | instid1(VALU_DEP_1)
	v_div_fixup_f32 v103, v103, v101, v100
	v_fmac_f32_e32 v101, v100, v103
	s_delay_alu instid0(VALU_DEP_1) | instskip(SKIP_1) | instid1(VALU_DEP_2)
	v_div_scale_f32 v100, null, v101, v101, 1.0
	v_div_scale_f32 v111, vcc_lo, 1.0, v101, 1.0
	v_rcp_f32_e32 v109, v100
	v_nop
	s_delay_alu instid0(TRANS32_DEP_1) | instskip(NEXT) | instid1(VALU_DEP_1)
	v_fma_f32 v110, -v100, v109, 1.0
	v_fmac_f32_e32 v109, v110, v109
	s_delay_alu instid0(VALU_DEP_1) | instskip(NEXT) | instid1(VALU_DEP_1)
	v_mul_f32_e32 v110, v111, v109
	v_fma_f32 v112, -v100, v110, v111
	s_delay_alu instid0(VALU_DEP_1) | instskip(NEXT) | instid1(VALU_DEP_1)
	v_fmac_f32_e32 v110, v112, v109
	v_fma_f32 v100, -v100, v110, v111
	s_delay_alu instid0(VALU_DEP_1) | instskip(NEXT) | instid1(VALU_DEP_1)
	v_div_fmas_f32 v100, v100, v109, v110
	v_div_fixup_f32 v101, v100, v101, 1.0
	s_delay_alu instid0(VALU_DEP_1)
	v_mul_f32_e32 v100, v103, v101
	v_xor_b32_e32 v101, 0x80000000, v101
.LBB92_700:
	s_and_not1_saveexec_b32 s1, s1
	s_cbranch_execz .LBB92_702
; %bb.701:
	s_delay_alu instid0(VALU_DEP_1) | instskip(SKIP_1) | instid1(VALU_DEP_2)
	v_div_scale_f32 v103, null, v100, v100, v101
	v_div_scale_f32 v111, vcc_lo, v101, v100, v101
	v_rcp_f32_e32 v109, v103
	v_nop
	s_delay_alu instid0(TRANS32_DEP_1) | instskip(NEXT) | instid1(VALU_DEP_1)
	v_fma_f32 v110, -v103, v109, 1.0
	v_fmac_f32_e32 v109, v110, v109
	s_delay_alu instid0(VALU_DEP_1) | instskip(NEXT) | instid1(VALU_DEP_1)
	v_mul_f32_e32 v110, v111, v109
	v_fma_f32 v112, -v103, v110, v111
	s_delay_alu instid0(VALU_DEP_1) | instskip(NEXT) | instid1(VALU_DEP_1)
	v_fmac_f32_e32 v110, v112, v109
	v_fma_f32 v103, -v103, v110, v111
	s_delay_alu instid0(VALU_DEP_1) | instskip(NEXT) | instid1(VALU_DEP_1)
	v_div_fmas_f32 v103, v103, v109, v110
	v_div_fixup_f32 v103, v103, v100, v101
	s_delay_alu instid0(VALU_DEP_1) | instskip(NEXT) | instid1(VALU_DEP_1)
	v_fmac_f32_e32 v100, v101, v103
	v_div_scale_f32 v101, null, v100, v100, 1.0
	s_delay_alu instid0(VALU_DEP_1) | instskip(SKIP_1) | instid1(TRANS32_DEP_1)
	v_rcp_f32_e32 v109, v101
	v_nop
	v_fma_f32 v110, -v101, v109, 1.0
	s_delay_alu instid0(VALU_DEP_1) | instskip(SKIP_1) | instid1(VALU_DEP_1)
	v_fmac_f32_e32 v109, v110, v109
	v_div_scale_f32 v110, vcc_lo, 1.0, v100, 1.0
	v_mul_f32_e32 v111, v110, v109
	s_delay_alu instid0(VALU_DEP_1) | instskip(NEXT) | instid1(VALU_DEP_1)
	v_fma_f32 v112, -v101, v111, v110
	v_fmac_f32_e32 v111, v112, v109
	s_delay_alu instid0(VALU_DEP_1) | instskip(NEXT) | instid1(VALU_DEP_1)
	v_fma_f32 v101, -v101, v111, v110
	v_div_fmas_f32 v101, v101, v109, v111
	s_delay_alu instid0(VALU_DEP_1) | instskip(NEXT) | instid1(VALU_DEP_1)
	v_div_fixup_f32 v100, v101, v100, 1.0
	v_mul_f32_e64 v101, v103, -v100
.LBB92_702:
	s_or_b32 exec_lo, exec_lo, s1
.LBB92_703:
	s_delay_alu instid0(SALU_CYCLE_1) | instskip(NEXT) | instid1(SALU_CYCLE_1)
	s_or_b32 exec_lo, exec_lo, s0
	s_mov_b32 s0, exec_lo
	v_cmpx_ne_u32_e64 v108, v102
	s_xor_b32 s0, exec_lo, s0
	s_cbranch_execz .LBB92_709
; %bb.704:
	s_mov_b32 s1, exec_lo
	v_cmpx_eq_u32_e32 33, v108
	s_cbranch_execz .LBB92_708
; %bb.705:
	v_cmp_ne_u32_e32 vcc_lo, 33, v102
	s_xor_b32 s12, s16, -1
	s_delay_alu instid0(SALU_CYCLE_1) | instskip(NEXT) | instid1(SALU_CYCLE_1)
	s_and_b32 s13, s12, vcc_lo
	s_and_saveexec_b32 s12, s13
	s_cbranch_execz .LBB92_707
; %bb.706:
	v_ashrrev_i32_e32 v103, 31, v102
	s_delay_alu instid0(VALU_DEP_1)
	v_lshl_add_u64 v[108:109], v[102:103], 2, v[4:5]
	s_clause 0x1
	global_load_b32 v103, v[108:109], off
	global_load_b32 v107, v[4:5], off offset:132
	s_wait_loadcnt 0x1
	global_store_b32 v[4:5], v103, off offset:132
	s_wait_loadcnt 0x0
	global_store_b32 v[108:109], v107, off
.LBB92_707:
	s_wait_xcnt 0x0
	s_or_b32 exec_lo, exec_lo, s12
	v_dual_mov_b32 v108, v102 :: v_dual_mov_b32 v107, v102
.LBB92_708:
	s_or_b32 exec_lo, exec_lo, s1
.LBB92_709:
	s_and_not1_saveexec_b32 s0, s0
	s_cbranch_execz .LBB92_711
; %bb.710:
	v_dual_mov_b32 v102, v16 :: v_dual_mov_b32 v103, v17
	v_dual_mov_b32 v108, v14 :: v_dual_mov_b32 v109, v15
	;; [unrolled: 1-line block ×4, first 2 shown]
	ds_store_2addr_b64 v104, v[102:103], v[108:109] offset0:34 offset1:35
	ds_store_2addr_b64 v104, v[110:111], v[112:113] offset0:36 offset1:37
	v_dual_mov_b32 v102, v10 :: v_dual_mov_b32 v103, v11
	v_dual_mov_b32 v110, v6 :: v_dual_mov_b32 v111, v7
	;; [unrolled: 1-line block ×8, first 2 shown]
	v_mov_b32_e32 v123, v13
	ds_store_2addr_b64 v104, v[102:103], v[110:111] offset0:38 offset1:39
	ds_store_2addr_b64 v104, v[112:113], v[114:115] offset0:40 offset1:41
	;; [unrolled: 1-line block ×4, first 2 shown]
	ds_store_b64 v104, v[98:99] offset:368
.LBB92_711:
	s_or_b32 exec_lo, exec_lo, s0
	s_delay_alu instid0(SALU_CYCLE_1)
	s_mov_b32 s0, exec_lo
	s_wait_storecnt_dscnt 0x0
	s_barrier_signal -1
	s_barrier_wait -1
	v_cmpx_lt_i32_e32 33, v108
	s_cbranch_execz .LBB92_713
; %bb.712:
	v_pk_mul_f32 v[102:103], v[100:101], v[58:59] op_sel:[1,1] op_sel_hi:[0,1]
	s_delay_alu instid0(VALU_DEP_1)
	v_pk_fma_f32 v[110:111], v[100:101], v[58:59], v[102:103] op_sel_hi:[1,0,1] neg_lo:[0,0,1] neg_hi:[0,0,1]
	v_pk_fma_f32 v[112:113], v[100:101], v[58:59], v[102:103] op_sel_hi:[1,0,1]
	ds_load_2addr_b64 v[100:103], v104 offset0:34 offset1:35
	v_dual_mov_b32 v58, v110 :: v_dual_mov_b32 v59, v113
	s_wait_dscnt 0x0
	v_pk_mul_f32 v[114:115], v[100:101], v[112:113] op_sel:[0,1]
	s_delay_alu instid0(VALU_DEP_1) | instskip(SKIP_1) | instid1(VALU_DEP_1)
	v_pk_fma_f32 v[116:117], v[100:101], v[110:111], v[114:115] op_sel:[0,0,1] op_sel_hi:[1,1,0] neg_lo:[0,0,1] neg_hi:[0,0,1]
	v_pk_fma_f32 v[100:101], v[100:101], v[110:111], v[114:115] op_sel:[0,0,1] op_sel_hi:[1,0,0]
	v_mov_b32_e32 v117, v101
	v_pk_mul_f32 v[100:101], v[102:103], v[112:113] op_sel:[0,1]
	s_delay_alu instid0(VALU_DEP_1) | instskip(SKIP_1) | instid1(VALU_DEP_1)
	v_pk_fma_f32 v[114:115], v[102:103], v[110:111], v[100:101] op_sel:[0,0,1] op_sel_hi:[1,1,0] neg_lo:[0,0,1] neg_hi:[0,0,1]
	v_pk_fma_f32 v[100:101], v[102:103], v[110:111], v[100:101] op_sel:[0,0,1] op_sel_hi:[1,0,0]
	v_mov_b32_e32 v115, v101
	ds_load_2addr_b64 v[100:103], v104 offset0:36 offset1:37
	v_pk_add_f32 v[16:17], v[16:17], v[116:117] neg_lo:[0,1] neg_hi:[0,1]
	v_pk_add_f32 v[14:15], v[14:15], v[114:115] neg_lo:[0,1] neg_hi:[0,1]
	s_wait_dscnt 0x0
	v_pk_mul_f32 v[114:115], v[100:101], v[112:113] op_sel:[0,1]
	s_delay_alu instid0(VALU_DEP_1) | instskip(SKIP_2) | instid1(VALU_DEP_2)
	v_pk_fma_f32 v[116:117], v[100:101], v[110:111], v[114:115] op_sel:[0,0,1] op_sel_hi:[1,1,0] neg_lo:[0,0,1] neg_hi:[0,0,1]
	v_pk_fma_f32 v[100:101], v[100:101], v[110:111], v[114:115] op_sel:[0,0,1] op_sel_hi:[1,0,0]
	v_dual_mul_f32 v114, v103, v113 :: v_dual_mov_b32 v100, v103
	v_dual_mov_b32 v117, v101 :: v_dual_mov_b32 v101, v102
	s_delay_alu instid0(VALU_DEP_2) | instskip(SKIP_1) | instid1(VALU_DEP_3)
	v_pk_fma_f32 v[114:115], v[102:103], v[58:59], v[114:115] op_sel_hi:[1,1,0] neg_lo:[0,0,1] neg_hi:[0,0,1]
	v_mul_f32_e32 v102, v103, v110
	v_pk_add_f32 v[56:57], v[56:57], v[116:117] neg_lo:[0,1] neg_hi:[0,1]
	s_delay_alu instid0(VALU_DEP_2) | instskip(NEXT) | instid1(VALU_DEP_1)
	v_pk_fma_f32 v[100:101], v[100:101], v[58:59], v[102:103] op_sel_hi:[1,1,0]
	v_mov_b32_e32 v115, v101
	ds_load_2addr_b64 v[100:103], v104 offset0:38 offset1:39
	v_pk_add_f32 v[54:55], v[54:55], v[114:115] neg_lo:[0,1] neg_hi:[0,1]
	s_wait_dscnt 0x0
	v_pk_mul_f32 v[114:115], v[100:101], v[112:113] op_sel:[0,1]
	s_delay_alu instid0(VALU_DEP_1) | instskip(SKIP_1) | instid1(VALU_DEP_1)
	v_pk_fma_f32 v[116:117], v[100:101], v[110:111], v[114:115] op_sel:[0,0,1] op_sel_hi:[1,1,0] neg_lo:[0,0,1] neg_hi:[0,0,1]
	v_pk_fma_f32 v[100:101], v[100:101], v[110:111], v[114:115] op_sel:[0,0,1] op_sel_hi:[1,0,0]
	v_mov_b32_e32 v117, v101
	v_pk_mul_f32 v[100:101], v[102:103], v[112:113] op_sel:[0,1]
	s_delay_alu instid0(VALU_DEP_1) | instskip(SKIP_1) | instid1(VALU_DEP_1)
	v_pk_fma_f32 v[114:115], v[102:103], v[110:111], v[100:101] op_sel:[0,0,1] op_sel_hi:[1,1,0] neg_lo:[0,0,1] neg_hi:[0,0,1]
	v_pk_fma_f32 v[100:101], v[102:103], v[110:111], v[100:101] op_sel:[0,0,1] op_sel_hi:[1,0,0]
	v_mov_b32_e32 v115, v101
	ds_load_2addr_b64 v[100:103], v104 offset0:40 offset1:41
	v_pk_add_f32 v[10:11], v[10:11], v[116:117] neg_lo:[0,1] neg_hi:[0,1]
	v_pk_add_f32 v[6:7], v[6:7], v[114:115] neg_lo:[0,1] neg_hi:[0,1]
	s_wait_dscnt 0x0
	v_pk_mul_f32 v[114:115], v[100:101], v[112:113] op_sel:[0,1]
	s_delay_alu instid0(VALU_DEP_1) | instskip(SKIP_1) | instid1(VALU_DEP_1)
	v_pk_fma_f32 v[116:117], v[100:101], v[110:111], v[114:115] op_sel:[0,0,1] op_sel_hi:[1,1,0] neg_lo:[0,0,1] neg_hi:[0,0,1]
	v_pk_fma_f32 v[100:101], v[100:101], v[110:111], v[114:115] op_sel:[0,0,1] op_sel_hi:[1,0,0]
	v_mov_b32_e32 v117, v101
	v_pk_mul_f32 v[100:101], v[102:103], v[112:113] op_sel:[0,1]
	s_delay_alu instid0(VALU_DEP_1) | instskip(SKIP_1) | instid1(VALU_DEP_1)
	v_pk_fma_f32 v[114:115], v[102:103], v[110:111], v[100:101] op_sel:[0,0,1] op_sel_hi:[1,1,0] neg_lo:[0,0,1] neg_hi:[0,0,1]
	v_pk_fma_f32 v[100:101], v[102:103], v[110:111], v[100:101] op_sel:[0,0,1] op_sel_hi:[1,0,0]
	v_mov_b32_e32 v115, v101
	ds_load_2addr_b64 v[100:103], v104 offset0:42 offset1:43
	v_pk_add_f32 v[52:53], v[52:53], v[116:117] neg_lo:[0,1] neg_hi:[0,1]
	v_pk_add_f32 v[50:51], v[50:51], v[114:115] neg_lo:[0,1] neg_hi:[0,1]
	s_wait_dscnt 0x0
	v_dual_mul_f32 v114, v101, v113 :: v_dual_mul_f32 v116, v101, v110
	s_delay_alu instid0(VALU_DEP_1) | instskip(NEXT) | instid1(VALU_DEP_2)
	v_pk_fma_f32 v[114:115], v[100:101], v[58:59], v[114:115] op_sel_hi:[1,1,0] neg_lo:[0,0,1] neg_hi:[0,0,1]
	v_pk_fma_f32 v[100:101], v[100:101], v[58:59], v[116:117] op_sel:[1,0,0] op_sel_hi:[0,1,0]
	s_delay_alu instid0(VALU_DEP_1) | instskip(SKIP_1) | instid1(VALU_DEP_2)
	v_mov_b32_e32 v115, v101
	v_pk_mul_f32 v[100:101], v[102:103], v[112:113] op_sel:[0,1]
	v_pk_add_f32 v[8:9], v[8:9], v[114:115] neg_lo:[0,1] neg_hi:[0,1]
	s_delay_alu instid0(VALU_DEP_2) | instskip(SKIP_1) | instid1(VALU_DEP_1)
	v_pk_fma_f32 v[114:115], v[102:103], v[110:111], v[100:101] op_sel:[0,0,1] op_sel_hi:[1,1,0] neg_lo:[0,0,1] neg_hi:[0,0,1]
	v_pk_fma_f32 v[100:101], v[102:103], v[110:111], v[100:101] op_sel:[0,0,1] op_sel_hi:[1,0,0]
	v_mov_b32_e32 v115, v101
	ds_load_2addr_b64 v[100:103], v104 offset0:44 offset1:45
	v_pk_add_f32 v[40:41], v[40:41], v[114:115] neg_lo:[0,1] neg_hi:[0,1]
	s_wait_dscnt 0x0
	v_pk_mul_f32 v[114:115], v[100:101], v[112:113] op_sel:[0,1]
	s_delay_alu instid0(VALU_DEP_1) | instskip(SKIP_1) | instid1(VALU_DEP_1)
	v_pk_fma_f32 v[116:117], v[100:101], v[110:111], v[114:115] op_sel:[0,0,1] op_sel_hi:[1,1,0] neg_lo:[0,0,1] neg_hi:[0,0,1]
	v_pk_fma_f32 v[100:101], v[100:101], v[110:111], v[114:115] op_sel:[0,0,1] op_sel_hi:[1,0,0]
	v_mov_b32_e32 v117, v101
	v_pk_mul_f32 v[100:101], v[102:103], v[112:113] op_sel:[0,1]
	s_delay_alu instid0(VALU_DEP_2) | instskip(NEXT) | instid1(VALU_DEP_2)
	v_pk_add_f32 v[30:31], v[30:31], v[116:117] neg_lo:[0,1] neg_hi:[0,1]
	v_pk_fma_f32 v[114:115], v[102:103], v[110:111], v[100:101] op_sel:[0,0,1] op_sel_hi:[1,1,0] neg_lo:[0,0,1] neg_hi:[0,0,1]
	v_pk_fma_f32 v[100:101], v[102:103], v[110:111], v[100:101] op_sel:[0,0,1] op_sel_hi:[1,0,0]
	s_delay_alu instid0(VALU_DEP_1) | instskip(SKIP_4) | instid1(VALU_DEP_1)
	v_mov_b32_e32 v115, v101
	ds_load_b64 v[100:101], v104 offset:368
	v_pk_add_f32 v[12:13], v[12:13], v[114:115] neg_lo:[0,1] neg_hi:[0,1]
	s_wait_dscnt 0x0
	v_pk_mul_f32 v[102:103], v[100:101], v[112:113] op_sel:[0,1]
	v_pk_fma_f32 v[112:113], v[100:101], v[110:111], v[102:103] op_sel:[0,0,1] op_sel_hi:[1,1,0] neg_lo:[0,0,1] neg_hi:[0,0,1]
	v_pk_fma_f32 v[100:101], v[100:101], v[110:111], v[102:103] op_sel:[0,0,1] op_sel_hi:[1,0,0]
	s_delay_alu instid0(VALU_DEP_1) | instskip(NEXT) | instid1(VALU_DEP_1)
	v_mov_b32_e32 v113, v101
	v_pk_add_f32 v[98:99], v[98:99], v[112:113] neg_lo:[0,1] neg_hi:[0,1]
.LBB92_713:
	s_or_b32 exec_lo, exec_lo, s0
	v_lshl_add_u32 v100, v108, 3, v104
	s_barrier_signal -1
	s_barrier_wait -1
	ds_store_b64 v100, v[16:17]
	s_wait_dscnt 0x0
	s_barrier_signal -1
	s_barrier_wait -1
	ds_load_b64 v[100:101], v104 offset:272
	v_mov_b32_e32 v102, 34
	s_cmp_lt_i32 s18, 36
	s_cbranch_scc1 .LBB92_716
; %bb.714:
	v_add3_u32 v103, v105, 0, 0x118
	v_mov_b32_e32 v102, 34
	s_mov_b32 s0, 35
.LBB92_715:                             ; =>This Inner Loop Header: Depth=1
	ds_load_b64 v[110:111], v103
	s_wait_dscnt 0x1
	v_cmp_gt_f32_e32 vcc_lo, 0, v100
	v_cndmask_b32_e64 v112, v100, -v100, vcc_lo
	v_cmp_gt_f32_e32 vcc_lo, 0, v101
	v_cndmask_b32_e64 v114, v101, -v101, vcc_lo
	s_wait_dscnt 0x0
	v_cmp_gt_f32_e32 vcc_lo, 0, v110
	v_cndmask_b32_e64 v113, v110, -v110, vcc_lo
	v_cmp_gt_f32_e32 vcc_lo, 0, v111
	v_cndmask_b32_e64 v115, v111, -v111, vcc_lo
	s_delay_alu instid0(VALU_DEP_1) | instskip(NEXT) | instid1(VALU_DEP_1)
	v_pk_add_f32 v[112:113], v[112:113], v[114:115]
	v_cmp_lt_f32_e32 vcc_lo, v112, v113
	v_dual_cndmask_b32 v100, v100, v110 :: v_dual_add_nc_u32 v103, 8, v103
	v_cndmask_b32_e32 v101, v101, v111, vcc_lo
	v_cndmask_b32_e64 v102, v102, s0, vcc_lo
	s_add_co_i32 s0, s0, 1
	s_delay_alu instid0(SALU_CYCLE_1)
	s_cmp_lg_u32 s18, s0
	s_cbranch_scc1 .LBB92_715
.LBB92_716:
	s_wait_dscnt 0x0
	v_cmp_eq_f32_e32 vcc_lo, 0, v100
	v_cmp_eq_f32_e64 s0, 0, v101
	s_and_b32 s0, vcc_lo, s0
	s_delay_alu instid0(SALU_CYCLE_1) | instskip(NEXT) | instid1(SALU_CYCLE_1)
	s_and_saveexec_b32 s1, s0
	s_xor_b32 s0, exec_lo, s1
; %bb.717:
	v_cmp_ne_u32_e32 vcc_lo, 0, v106
	v_cndmask_b32_e32 v106, 35, v106, vcc_lo
; %bb.718:
	s_and_not1_saveexec_b32 s0, s0
	s_cbranch_execz .LBB92_724
; %bb.719:
	v_cmp_ngt_f32_e64 s1, |v100|, |v101|
	s_and_saveexec_b32 s12, s1
	s_delay_alu instid0(SALU_CYCLE_1)
	s_xor_b32 s1, exec_lo, s12
	s_cbranch_execz .LBB92_721
; %bb.720:
	v_div_scale_f32 v103, null, v101, v101, v100
	v_div_scale_f32 v111, vcc_lo, v100, v101, v100
	s_delay_alu instid0(VALU_DEP_2) | instskip(SKIP_1) | instid1(TRANS32_DEP_1)
	v_rcp_f32_e32 v109, v103
	v_nop
	v_fma_f32 v110, -v103, v109, 1.0
	s_delay_alu instid0(VALU_DEP_1) | instskip(NEXT) | instid1(VALU_DEP_1)
	v_fmac_f32_e32 v109, v110, v109
	v_mul_f32_e32 v110, v111, v109
	s_delay_alu instid0(VALU_DEP_1) | instskip(NEXT) | instid1(VALU_DEP_1)
	v_fma_f32 v112, -v103, v110, v111
	v_fmac_f32_e32 v110, v112, v109
	s_delay_alu instid0(VALU_DEP_1) | instskip(NEXT) | instid1(VALU_DEP_1)
	v_fma_f32 v103, -v103, v110, v111
	v_div_fmas_f32 v103, v103, v109, v110
	s_delay_alu instid0(VALU_DEP_1) | instskip(NEXT) | instid1(VALU_DEP_1)
	v_div_fixup_f32 v103, v103, v101, v100
	v_fmac_f32_e32 v101, v100, v103
	s_delay_alu instid0(VALU_DEP_1) | instskip(SKIP_1) | instid1(VALU_DEP_2)
	v_div_scale_f32 v100, null, v101, v101, 1.0
	v_div_scale_f32 v111, vcc_lo, 1.0, v101, 1.0
	v_rcp_f32_e32 v109, v100
	v_nop
	s_delay_alu instid0(TRANS32_DEP_1) | instskip(NEXT) | instid1(VALU_DEP_1)
	v_fma_f32 v110, -v100, v109, 1.0
	v_fmac_f32_e32 v109, v110, v109
	s_delay_alu instid0(VALU_DEP_1) | instskip(NEXT) | instid1(VALU_DEP_1)
	v_mul_f32_e32 v110, v111, v109
	v_fma_f32 v112, -v100, v110, v111
	s_delay_alu instid0(VALU_DEP_1) | instskip(NEXT) | instid1(VALU_DEP_1)
	v_fmac_f32_e32 v110, v112, v109
	v_fma_f32 v100, -v100, v110, v111
	s_delay_alu instid0(VALU_DEP_1) | instskip(NEXT) | instid1(VALU_DEP_1)
	v_div_fmas_f32 v100, v100, v109, v110
	v_div_fixup_f32 v101, v100, v101, 1.0
	s_delay_alu instid0(VALU_DEP_1)
	v_mul_f32_e32 v100, v103, v101
	v_xor_b32_e32 v101, 0x80000000, v101
.LBB92_721:
	s_and_not1_saveexec_b32 s1, s1
	s_cbranch_execz .LBB92_723
; %bb.722:
	s_delay_alu instid0(VALU_DEP_1) | instskip(SKIP_1) | instid1(VALU_DEP_2)
	v_div_scale_f32 v103, null, v100, v100, v101
	v_div_scale_f32 v111, vcc_lo, v101, v100, v101
	v_rcp_f32_e32 v109, v103
	v_nop
	s_delay_alu instid0(TRANS32_DEP_1) | instskip(NEXT) | instid1(VALU_DEP_1)
	v_fma_f32 v110, -v103, v109, 1.0
	v_fmac_f32_e32 v109, v110, v109
	s_delay_alu instid0(VALU_DEP_1) | instskip(NEXT) | instid1(VALU_DEP_1)
	v_mul_f32_e32 v110, v111, v109
	v_fma_f32 v112, -v103, v110, v111
	s_delay_alu instid0(VALU_DEP_1) | instskip(NEXT) | instid1(VALU_DEP_1)
	v_fmac_f32_e32 v110, v112, v109
	v_fma_f32 v103, -v103, v110, v111
	s_delay_alu instid0(VALU_DEP_1) | instskip(NEXT) | instid1(VALU_DEP_1)
	v_div_fmas_f32 v103, v103, v109, v110
	v_div_fixup_f32 v103, v103, v100, v101
	s_delay_alu instid0(VALU_DEP_1) | instskip(NEXT) | instid1(VALU_DEP_1)
	v_fmac_f32_e32 v100, v101, v103
	v_div_scale_f32 v101, null, v100, v100, 1.0
	s_delay_alu instid0(VALU_DEP_1) | instskip(SKIP_1) | instid1(TRANS32_DEP_1)
	v_rcp_f32_e32 v109, v101
	v_nop
	v_fma_f32 v110, -v101, v109, 1.0
	s_delay_alu instid0(VALU_DEP_1) | instskip(SKIP_1) | instid1(VALU_DEP_1)
	v_fmac_f32_e32 v109, v110, v109
	v_div_scale_f32 v110, vcc_lo, 1.0, v100, 1.0
	v_mul_f32_e32 v111, v110, v109
	s_delay_alu instid0(VALU_DEP_1) | instskip(NEXT) | instid1(VALU_DEP_1)
	v_fma_f32 v112, -v101, v111, v110
	v_fmac_f32_e32 v111, v112, v109
	s_delay_alu instid0(VALU_DEP_1) | instskip(NEXT) | instid1(VALU_DEP_1)
	v_fma_f32 v101, -v101, v111, v110
	v_div_fmas_f32 v101, v101, v109, v111
	s_delay_alu instid0(VALU_DEP_1) | instskip(NEXT) | instid1(VALU_DEP_1)
	v_div_fixup_f32 v100, v101, v100, 1.0
	v_mul_f32_e64 v101, v103, -v100
.LBB92_723:
	s_or_b32 exec_lo, exec_lo, s1
.LBB92_724:
	s_delay_alu instid0(SALU_CYCLE_1) | instskip(NEXT) | instid1(SALU_CYCLE_1)
	s_or_b32 exec_lo, exec_lo, s0
	s_mov_b32 s0, exec_lo
	v_cmpx_ne_u32_e64 v108, v102
	s_xor_b32 s0, exec_lo, s0
	s_cbranch_execz .LBB92_730
; %bb.725:
	s_mov_b32 s1, exec_lo
	v_cmpx_eq_u32_e32 34, v108
	s_cbranch_execz .LBB92_729
; %bb.726:
	v_cmp_ne_u32_e32 vcc_lo, 34, v102
	s_xor_b32 s12, s16, -1
	s_delay_alu instid0(SALU_CYCLE_1) | instskip(NEXT) | instid1(SALU_CYCLE_1)
	s_and_b32 s13, s12, vcc_lo
	s_and_saveexec_b32 s12, s13
	s_cbranch_execz .LBB92_728
; %bb.727:
	v_ashrrev_i32_e32 v103, 31, v102
	s_delay_alu instid0(VALU_DEP_1)
	v_lshl_add_u64 v[108:109], v[102:103], 2, v[4:5]
	s_clause 0x1
	global_load_b32 v103, v[108:109], off
	global_load_b32 v107, v[4:5], off offset:136
	s_wait_loadcnt 0x1
	global_store_b32 v[4:5], v103, off offset:136
	s_wait_loadcnt 0x0
	global_store_b32 v[108:109], v107, off
.LBB92_728:
	s_wait_xcnt 0x0
	s_or_b32 exec_lo, exec_lo, s12
	v_dual_mov_b32 v108, v102 :: v_dual_mov_b32 v107, v102
.LBB92_729:
	s_or_b32 exec_lo, exec_lo, s1
.LBB92_730:
	s_and_not1_saveexec_b32 s0, s0
	s_cbranch_execz .LBB92_732
; %bb.731:
	v_mov_b32_e32 v108, 34
	ds_store_2addr_b64 v104, v[14:15], v[56:57] offset0:35 offset1:36
	ds_store_2addr_b64 v104, v[54:55], v[10:11] offset0:37 offset1:38
	;; [unrolled: 1-line block ×6, first 2 shown]
.LBB92_732:
	s_or_b32 exec_lo, exec_lo, s0
	s_delay_alu instid0(SALU_CYCLE_1)
	s_mov_b32 s0, exec_lo
	s_wait_storecnt_dscnt 0x0
	s_barrier_signal -1
	s_barrier_wait -1
	v_cmpx_lt_i32_e32 34, v108
	s_cbranch_execz .LBB92_734
; %bb.733:
	v_pk_mul_f32 v[102:103], v[100:101], v[16:17] op_sel:[1,1] op_sel_hi:[0,1]
	s_delay_alu instid0(VALU_DEP_1)
	v_pk_fma_f32 v[110:111], v[100:101], v[16:17], v[102:103] op_sel_hi:[1,0,1] neg_lo:[0,0,1] neg_hi:[0,0,1]
	v_pk_fma_f32 v[112:113], v[100:101], v[16:17], v[102:103] op_sel_hi:[1,0,1]
	ds_load_2addr_b64 v[100:103], v104 offset0:35 offset1:36
	v_dual_mov_b32 v16, v110 :: v_dual_mov_b32 v17, v113
	s_wait_dscnt 0x0
	v_pk_mul_f32 v[114:115], v[100:101], v[112:113] op_sel:[0,1]
	s_delay_alu instid0(VALU_DEP_1) | instskip(SKIP_1) | instid1(VALU_DEP_1)
	v_pk_fma_f32 v[116:117], v[100:101], v[110:111], v[114:115] op_sel:[0,0,1] op_sel_hi:[1,1,0] neg_lo:[0,0,1] neg_hi:[0,0,1]
	v_pk_fma_f32 v[100:101], v[100:101], v[110:111], v[114:115] op_sel:[0,0,1] op_sel_hi:[1,0,0]
	v_mov_b32_e32 v117, v101
	v_pk_mul_f32 v[100:101], v[102:103], v[112:113] op_sel:[0,1]
	s_delay_alu instid0(VALU_DEP_1) | instskip(SKIP_1) | instid1(VALU_DEP_1)
	v_pk_fma_f32 v[114:115], v[102:103], v[110:111], v[100:101] op_sel:[0,0,1] op_sel_hi:[1,1,0] neg_lo:[0,0,1] neg_hi:[0,0,1]
	v_pk_fma_f32 v[100:101], v[102:103], v[110:111], v[100:101] op_sel:[0,0,1] op_sel_hi:[1,0,0]
	v_mov_b32_e32 v115, v101
	ds_load_2addr_b64 v[100:103], v104 offset0:37 offset1:38
	v_pk_add_f32 v[14:15], v[14:15], v[116:117] neg_lo:[0,1] neg_hi:[0,1]
	v_pk_add_f32 v[56:57], v[56:57], v[114:115] neg_lo:[0,1] neg_hi:[0,1]
	s_wait_dscnt 0x0
	v_pk_mul_f32 v[114:115], v[100:101], v[112:113] op_sel:[0,1]
	s_delay_alu instid0(VALU_DEP_1) | instskip(SKIP_2) | instid1(VALU_DEP_2)
	v_pk_fma_f32 v[116:117], v[100:101], v[110:111], v[114:115] op_sel:[0,0,1] op_sel_hi:[1,1,0] neg_lo:[0,0,1] neg_hi:[0,0,1]
	v_pk_fma_f32 v[100:101], v[100:101], v[110:111], v[114:115] op_sel:[0,0,1] op_sel_hi:[1,0,0]
	v_dual_mul_f32 v114, v103, v113 :: v_dual_mov_b32 v100, v103
	v_dual_mov_b32 v117, v101 :: v_dual_mov_b32 v101, v102
	s_delay_alu instid0(VALU_DEP_2) | instskip(SKIP_1) | instid1(VALU_DEP_3)
	v_pk_fma_f32 v[114:115], v[102:103], v[16:17], v[114:115] op_sel_hi:[1,1,0] neg_lo:[0,0,1] neg_hi:[0,0,1]
	v_mul_f32_e32 v102, v103, v110
	v_pk_add_f32 v[54:55], v[54:55], v[116:117] neg_lo:[0,1] neg_hi:[0,1]
	s_delay_alu instid0(VALU_DEP_2) | instskip(NEXT) | instid1(VALU_DEP_1)
	v_pk_fma_f32 v[100:101], v[100:101], v[16:17], v[102:103] op_sel_hi:[1,1,0]
	v_mov_b32_e32 v115, v101
	ds_load_2addr_b64 v[100:103], v104 offset0:39 offset1:40
	v_pk_add_f32 v[10:11], v[10:11], v[114:115] neg_lo:[0,1] neg_hi:[0,1]
	s_wait_dscnt 0x0
	v_pk_mul_f32 v[114:115], v[100:101], v[112:113] op_sel:[0,1]
	s_delay_alu instid0(VALU_DEP_1) | instskip(SKIP_1) | instid1(VALU_DEP_1)
	v_pk_fma_f32 v[116:117], v[100:101], v[110:111], v[114:115] op_sel:[0,0,1] op_sel_hi:[1,1,0] neg_lo:[0,0,1] neg_hi:[0,0,1]
	v_pk_fma_f32 v[100:101], v[100:101], v[110:111], v[114:115] op_sel:[0,0,1] op_sel_hi:[1,0,0]
	v_mov_b32_e32 v117, v101
	v_pk_mul_f32 v[100:101], v[102:103], v[112:113] op_sel:[0,1]
	s_delay_alu instid0(VALU_DEP_1) | instskip(SKIP_1) | instid1(VALU_DEP_1)
	v_pk_fma_f32 v[114:115], v[102:103], v[110:111], v[100:101] op_sel:[0,0,1] op_sel_hi:[1,1,0] neg_lo:[0,0,1] neg_hi:[0,0,1]
	v_pk_fma_f32 v[100:101], v[102:103], v[110:111], v[100:101] op_sel:[0,0,1] op_sel_hi:[1,0,0]
	v_mov_b32_e32 v115, v101
	ds_load_2addr_b64 v[100:103], v104 offset0:41 offset1:42
	v_pk_add_f32 v[6:7], v[6:7], v[116:117] neg_lo:[0,1] neg_hi:[0,1]
	v_pk_add_f32 v[52:53], v[52:53], v[114:115] neg_lo:[0,1] neg_hi:[0,1]
	s_wait_dscnt 0x0
	v_pk_mul_f32 v[114:115], v[100:101], v[112:113] op_sel:[0,1]
	s_delay_alu instid0(VALU_DEP_1) | instskip(SKIP_1) | instid1(VALU_DEP_1)
	v_pk_fma_f32 v[116:117], v[100:101], v[110:111], v[114:115] op_sel:[0,0,1] op_sel_hi:[1,1,0] neg_lo:[0,0,1] neg_hi:[0,0,1]
	v_pk_fma_f32 v[100:101], v[100:101], v[110:111], v[114:115] op_sel:[0,0,1] op_sel_hi:[1,0,0]
	v_mov_b32_e32 v117, v101
	v_pk_mul_f32 v[100:101], v[102:103], v[112:113] op_sel:[0,1]
	s_delay_alu instid0(VALU_DEP_1) | instskip(SKIP_1) | instid1(VALU_DEP_1)
	v_pk_fma_f32 v[114:115], v[102:103], v[110:111], v[100:101] op_sel:[0,0,1] op_sel_hi:[1,1,0] neg_lo:[0,0,1] neg_hi:[0,0,1]
	v_pk_fma_f32 v[100:101], v[102:103], v[110:111], v[100:101] op_sel:[0,0,1] op_sel_hi:[1,0,0]
	v_mov_b32_e32 v115, v101
	ds_load_2addr_b64 v[100:103], v104 offset0:43 offset1:44
	v_pk_add_f32 v[50:51], v[50:51], v[116:117] neg_lo:[0,1] neg_hi:[0,1]
	v_pk_add_f32 v[8:9], v[8:9], v[114:115] neg_lo:[0,1] neg_hi:[0,1]
	s_wait_dscnt 0x0
	v_dual_mul_f32 v114, v101, v113 :: v_dual_mul_f32 v116, v101, v110
	s_delay_alu instid0(VALU_DEP_1) | instskip(NEXT) | instid1(VALU_DEP_2)
	v_pk_fma_f32 v[114:115], v[100:101], v[16:17], v[114:115] op_sel_hi:[1,1,0] neg_lo:[0,0,1] neg_hi:[0,0,1]
	v_pk_fma_f32 v[100:101], v[100:101], v[16:17], v[116:117] op_sel:[1,0,0] op_sel_hi:[0,1,0]
	s_delay_alu instid0(VALU_DEP_1) | instskip(SKIP_1) | instid1(VALU_DEP_2)
	v_mov_b32_e32 v115, v101
	v_pk_mul_f32 v[100:101], v[102:103], v[112:113] op_sel:[0,1]
	v_pk_add_f32 v[40:41], v[40:41], v[114:115] neg_lo:[0,1] neg_hi:[0,1]
	s_delay_alu instid0(VALU_DEP_2) | instskip(SKIP_1) | instid1(VALU_DEP_1)
	v_pk_fma_f32 v[114:115], v[102:103], v[110:111], v[100:101] op_sel:[0,0,1] op_sel_hi:[1,1,0] neg_lo:[0,0,1] neg_hi:[0,0,1]
	v_pk_fma_f32 v[100:101], v[102:103], v[110:111], v[100:101] op_sel:[0,0,1] op_sel_hi:[1,0,0]
	v_mov_b32_e32 v115, v101
	ds_load_2addr_b64 v[100:103], v104 offset0:45 offset1:46
	v_pk_add_f32 v[30:31], v[30:31], v[114:115] neg_lo:[0,1] neg_hi:[0,1]
	s_wait_dscnt 0x0
	v_pk_mul_f32 v[114:115], v[100:101], v[112:113] op_sel:[0,1]
	v_mul_f32_e32 v112, v103, v113
	s_delay_alu instid0(VALU_DEP_2) | instskip(SKIP_2) | instid1(VALU_DEP_4)
	v_pk_fma_f32 v[116:117], v[100:101], v[110:111], v[114:115] op_sel:[0,0,1] op_sel_hi:[1,1,0] neg_lo:[0,0,1] neg_hi:[0,0,1]
	v_pk_fma_f32 v[100:101], v[100:101], v[110:111], v[114:115] op_sel:[0,0,1] op_sel_hi:[1,0,0]
	v_mov_b32_e32 v100, v103
	v_pk_fma_f32 v[112:113], v[102:103], v[16:17], v[112:113] op_sel_hi:[1,1,0] neg_lo:[0,0,1] neg_hi:[0,0,1]
	s_delay_alu instid0(VALU_DEP_3) | instskip(SKIP_1) | instid1(VALU_DEP_2)
	v_dual_mov_b32 v117, v101 :: v_dual_mov_b32 v101, v102
	v_mul_f32_e32 v102, v103, v110
	v_pk_add_f32 v[12:13], v[12:13], v[116:117] neg_lo:[0,1] neg_hi:[0,1]
	s_delay_alu instid0(VALU_DEP_2) | instskip(NEXT) | instid1(VALU_DEP_1)
	v_pk_fma_f32 v[100:101], v[100:101], v[16:17], v[102:103] op_sel_hi:[1,1,0]
	v_mov_b32_e32 v113, v101
	s_delay_alu instid0(VALU_DEP_1)
	v_pk_add_f32 v[98:99], v[98:99], v[112:113] neg_lo:[0,1] neg_hi:[0,1]
.LBB92_734:
	s_or_b32 exec_lo, exec_lo, s0
	v_lshl_add_u32 v100, v108, 3, v104
	s_barrier_signal -1
	s_barrier_wait -1
	ds_store_b64 v100, v[14:15]
	s_wait_dscnt 0x0
	s_barrier_signal -1
	s_barrier_wait -1
	ds_load_b64 v[100:101], v104 offset:280
	v_mov_b32_e32 v102, 35
	s_cmp_lt_i32 s18, 37
	s_cbranch_scc1 .LBB92_737
; %bb.735:
	v_add3_u32 v103, v105, 0, 0x120
	v_mov_b32_e32 v102, 35
	s_mov_b32 s0, 36
.LBB92_736:                             ; =>This Inner Loop Header: Depth=1
	ds_load_b64 v[110:111], v103
	s_wait_dscnt 0x1
	v_cmp_gt_f32_e32 vcc_lo, 0, v100
	v_cndmask_b32_e64 v112, v100, -v100, vcc_lo
	v_cmp_gt_f32_e32 vcc_lo, 0, v101
	v_cndmask_b32_e64 v114, v101, -v101, vcc_lo
	s_wait_dscnt 0x0
	v_cmp_gt_f32_e32 vcc_lo, 0, v110
	v_cndmask_b32_e64 v113, v110, -v110, vcc_lo
	v_cmp_gt_f32_e32 vcc_lo, 0, v111
	v_cndmask_b32_e64 v115, v111, -v111, vcc_lo
	s_delay_alu instid0(VALU_DEP_1) | instskip(NEXT) | instid1(VALU_DEP_1)
	v_pk_add_f32 v[112:113], v[112:113], v[114:115]
	v_cmp_lt_f32_e32 vcc_lo, v112, v113
	v_dual_cndmask_b32 v100, v100, v110 :: v_dual_add_nc_u32 v103, 8, v103
	v_cndmask_b32_e32 v101, v101, v111, vcc_lo
	v_cndmask_b32_e64 v102, v102, s0, vcc_lo
	s_add_co_i32 s0, s0, 1
	s_delay_alu instid0(SALU_CYCLE_1)
	s_cmp_lg_u32 s18, s0
	s_cbranch_scc1 .LBB92_736
.LBB92_737:
	s_wait_dscnt 0x0
	v_cmp_eq_f32_e32 vcc_lo, 0, v100
	v_cmp_eq_f32_e64 s0, 0, v101
	s_and_b32 s0, vcc_lo, s0
	s_delay_alu instid0(SALU_CYCLE_1) | instskip(NEXT) | instid1(SALU_CYCLE_1)
	s_and_saveexec_b32 s1, s0
	s_xor_b32 s0, exec_lo, s1
; %bb.738:
	v_cmp_ne_u32_e32 vcc_lo, 0, v106
	v_cndmask_b32_e32 v106, 36, v106, vcc_lo
; %bb.739:
	s_and_not1_saveexec_b32 s0, s0
	s_cbranch_execz .LBB92_745
; %bb.740:
	v_cmp_ngt_f32_e64 s1, |v100|, |v101|
	s_and_saveexec_b32 s12, s1
	s_delay_alu instid0(SALU_CYCLE_1)
	s_xor_b32 s1, exec_lo, s12
	s_cbranch_execz .LBB92_742
; %bb.741:
	v_div_scale_f32 v103, null, v101, v101, v100
	v_div_scale_f32 v111, vcc_lo, v100, v101, v100
	s_delay_alu instid0(VALU_DEP_2) | instskip(SKIP_1) | instid1(TRANS32_DEP_1)
	v_rcp_f32_e32 v109, v103
	v_nop
	v_fma_f32 v110, -v103, v109, 1.0
	s_delay_alu instid0(VALU_DEP_1) | instskip(NEXT) | instid1(VALU_DEP_1)
	v_fmac_f32_e32 v109, v110, v109
	v_mul_f32_e32 v110, v111, v109
	s_delay_alu instid0(VALU_DEP_1) | instskip(NEXT) | instid1(VALU_DEP_1)
	v_fma_f32 v112, -v103, v110, v111
	v_fmac_f32_e32 v110, v112, v109
	s_delay_alu instid0(VALU_DEP_1) | instskip(NEXT) | instid1(VALU_DEP_1)
	v_fma_f32 v103, -v103, v110, v111
	v_div_fmas_f32 v103, v103, v109, v110
	s_delay_alu instid0(VALU_DEP_1) | instskip(NEXT) | instid1(VALU_DEP_1)
	v_div_fixup_f32 v103, v103, v101, v100
	v_fmac_f32_e32 v101, v100, v103
	s_delay_alu instid0(VALU_DEP_1) | instskip(SKIP_1) | instid1(VALU_DEP_2)
	v_div_scale_f32 v100, null, v101, v101, 1.0
	v_div_scale_f32 v111, vcc_lo, 1.0, v101, 1.0
	v_rcp_f32_e32 v109, v100
	v_nop
	s_delay_alu instid0(TRANS32_DEP_1) | instskip(NEXT) | instid1(VALU_DEP_1)
	v_fma_f32 v110, -v100, v109, 1.0
	v_fmac_f32_e32 v109, v110, v109
	s_delay_alu instid0(VALU_DEP_1) | instskip(NEXT) | instid1(VALU_DEP_1)
	v_mul_f32_e32 v110, v111, v109
	v_fma_f32 v112, -v100, v110, v111
	s_delay_alu instid0(VALU_DEP_1) | instskip(NEXT) | instid1(VALU_DEP_1)
	v_fmac_f32_e32 v110, v112, v109
	v_fma_f32 v100, -v100, v110, v111
	s_delay_alu instid0(VALU_DEP_1) | instskip(NEXT) | instid1(VALU_DEP_1)
	v_div_fmas_f32 v100, v100, v109, v110
	v_div_fixup_f32 v101, v100, v101, 1.0
	s_delay_alu instid0(VALU_DEP_1)
	v_mul_f32_e32 v100, v103, v101
	v_xor_b32_e32 v101, 0x80000000, v101
.LBB92_742:
	s_and_not1_saveexec_b32 s1, s1
	s_cbranch_execz .LBB92_744
; %bb.743:
	s_delay_alu instid0(VALU_DEP_1) | instskip(SKIP_1) | instid1(VALU_DEP_2)
	v_div_scale_f32 v103, null, v100, v100, v101
	v_div_scale_f32 v111, vcc_lo, v101, v100, v101
	v_rcp_f32_e32 v109, v103
	v_nop
	s_delay_alu instid0(TRANS32_DEP_1) | instskip(NEXT) | instid1(VALU_DEP_1)
	v_fma_f32 v110, -v103, v109, 1.0
	v_fmac_f32_e32 v109, v110, v109
	s_delay_alu instid0(VALU_DEP_1) | instskip(NEXT) | instid1(VALU_DEP_1)
	v_mul_f32_e32 v110, v111, v109
	v_fma_f32 v112, -v103, v110, v111
	s_delay_alu instid0(VALU_DEP_1) | instskip(NEXT) | instid1(VALU_DEP_1)
	v_fmac_f32_e32 v110, v112, v109
	v_fma_f32 v103, -v103, v110, v111
	s_delay_alu instid0(VALU_DEP_1) | instskip(NEXT) | instid1(VALU_DEP_1)
	v_div_fmas_f32 v103, v103, v109, v110
	v_div_fixup_f32 v103, v103, v100, v101
	s_delay_alu instid0(VALU_DEP_1) | instskip(NEXT) | instid1(VALU_DEP_1)
	v_fmac_f32_e32 v100, v101, v103
	v_div_scale_f32 v101, null, v100, v100, 1.0
	s_delay_alu instid0(VALU_DEP_1) | instskip(SKIP_1) | instid1(TRANS32_DEP_1)
	v_rcp_f32_e32 v109, v101
	v_nop
	v_fma_f32 v110, -v101, v109, 1.0
	s_delay_alu instid0(VALU_DEP_1) | instskip(SKIP_1) | instid1(VALU_DEP_1)
	v_fmac_f32_e32 v109, v110, v109
	v_div_scale_f32 v110, vcc_lo, 1.0, v100, 1.0
	v_mul_f32_e32 v111, v110, v109
	s_delay_alu instid0(VALU_DEP_1) | instskip(NEXT) | instid1(VALU_DEP_1)
	v_fma_f32 v112, -v101, v111, v110
	v_fmac_f32_e32 v111, v112, v109
	s_delay_alu instid0(VALU_DEP_1) | instskip(NEXT) | instid1(VALU_DEP_1)
	v_fma_f32 v101, -v101, v111, v110
	v_div_fmas_f32 v101, v101, v109, v111
	s_delay_alu instid0(VALU_DEP_1) | instskip(NEXT) | instid1(VALU_DEP_1)
	v_div_fixup_f32 v100, v101, v100, 1.0
	v_mul_f32_e64 v101, v103, -v100
.LBB92_744:
	s_or_b32 exec_lo, exec_lo, s1
.LBB92_745:
	s_delay_alu instid0(SALU_CYCLE_1) | instskip(NEXT) | instid1(SALU_CYCLE_1)
	s_or_b32 exec_lo, exec_lo, s0
	s_mov_b32 s0, exec_lo
	v_cmpx_ne_u32_e64 v108, v102
	s_xor_b32 s0, exec_lo, s0
	s_cbranch_execz .LBB92_751
; %bb.746:
	s_mov_b32 s1, exec_lo
	v_cmpx_eq_u32_e32 35, v108
	s_cbranch_execz .LBB92_750
; %bb.747:
	v_cmp_ne_u32_e32 vcc_lo, 35, v102
	s_xor_b32 s12, s16, -1
	s_delay_alu instid0(SALU_CYCLE_1) | instskip(NEXT) | instid1(SALU_CYCLE_1)
	s_and_b32 s13, s12, vcc_lo
	s_and_saveexec_b32 s12, s13
	s_cbranch_execz .LBB92_749
; %bb.748:
	v_ashrrev_i32_e32 v103, 31, v102
	s_delay_alu instid0(VALU_DEP_1)
	v_lshl_add_u64 v[108:109], v[102:103], 2, v[4:5]
	s_clause 0x1
	global_load_b32 v103, v[108:109], off
	global_load_b32 v107, v[4:5], off offset:140
	s_wait_loadcnt 0x1
	global_store_b32 v[4:5], v103, off offset:140
	s_wait_loadcnt 0x0
	global_store_b32 v[108:109], v107, off
.LBB92_749:
	s_wait_xcnt 0x0
	s_or_b32 exec_lo, exec_lo, s12
	v_dual_mov_b32 v108, v102 :: v_dual_mov_b32 v107, v102
.LBB92_750:
	s_or_b32 exec_lo, exec_lo, s1
.LBB92_751:
	s_and_not1_saveexec_b32 s0, s0
	s_cbranch_execz .LBB92_753
; %bb.752:
	v_dual_mov_b32 v102, v56 :: v_dual_mov_b32 v103, v57
	v_dual_mov_b32 v108, v54 :: v_dual_mov_b32 v109, v55
	;; [unrolled: 1-line block ×6, first 2 shown]
	ds_store_2addr_b64 v104, v[102:103], v[108:109] offset0:36 offset1:37
	ds_store_2addr_b64 v104, v[110:111], v[112:113] offset0:38 offset1:39
	v_dual_mov_b32 v108, 35 :: v_dual_mov_b32 v118, v8
	v_dual_mov_b32 v119, v9 :: v_dual_mov_b32 v120, v40
	;; [unrolled: 1-line block ×4, first 2 shown]
	v_mov_b32_e32 v125, v13
	ds_store_2addr_b64 v104, v[114:115], v[116:117] offset0:40 offset1:41
	ds_store_2addr_b64 v104, v[118:119], v[120:121] offset0:42 offset1:43
	;; [unrolled: 1-line block ×3, first 2 shown]
	ds_store_b64 v104, v[98:99] offset:368
.LBB92_753:
	s_or_b32 exec_lo, exec_lo, s0
	s_delay_alu instid0(SALU_CYCLE_1)
	s_mov_b32 s0, exec_lo
	s_wait_storecnt_dscnt 0x0
	s_barrier_signal -1
	s_barrier_wait -1
	v_cmpx_lt_i32_e32 35, v108
	s_cbranch_execz .LBB92_755
; %bb.754:
	v_pk_mul_f32 v[102:103], v[100:101], v[14:15] op_sel:[1,1] op_sel_hi:[0,1]
	s_delay_alu instid0(VALU_DEP_1)
	v_pk_fma_f32 v[110:111], v[100:101], v[14:15], v[102:103] op_sel_hi:[1,0,1] neg_lo:[0,0,1] neg_hi:[0,0,1]
	v_pk_fma_f32 v[112:113], v[100:101], v[14:15], v[102:103] op_sel_hi:[1,0,1]
	ds_load_2addr_b64 v[100:103], v104 offset0:36 offset1:37
	v_dual_mov_b32 v14, v110 :: v_dual_mov_b32 v15, v113
	s_wait_dscnt 0x0
	v_pk_mul_f32 v[114:115], v[100:101], v[112:113] op_sel:[0,1]
	s_delay_alu instid0(VALU_DEP_1) | instskip(SKIP_1) | instid1(VALU_DEP_1)
	v_pk_fma_f32 v[116:117], v[100:101], v[110:111], v[114:115] op_sel:[0,0,1] op_sel_hi:[1,1,0] neg_lo:[0,0,1] neg_hi:[0,0,1]
	v_pk_fma_f32 v[100:101], v[100:101], v[110:111], v[114:115] op_sel:[0,0,1] op_sel_hi:[1,0,0]
	v_mov_b32_e32 v117, v101
	v_pk_mul_f32 v[100:101], v[102:103], v[112:113] op_sel:[0,1]
	s_delay_alu instid0(VALU_DEP_1) | instskip(SKIP_1) | instid1(VALU_DEP_1)
	v_pk_fma_f32 v[114:115], v[102:103], v[110:111], v[100:101] op_sel:[0,0,1] op_sel_hi:[1,1,0] neg_lo:[0,0,1] neg_hi:[0,0,1]
	v_pk_fma_f32 v[100:101], v[102:103], v[110:111], v[100:101] op_sel:[0,0,1] op_sel_hi:[1,0,0]
	v_mov_b32_e32 v115, v101
	ds_load_2addr_b64 v[100:103], v104 offset0:38 offset1:39
	v_pk_add_f32 v[56:57], v[56:57], v[116:117] neg_lo:[0,1] neg_hi:[0,1]
	v_pk_add_f32 v[54:55], v[54:55], v[114:115] neg_lo:[0,1] neg_hi:[0,1]
	s_wait_dscnt 0x0
	v_pk_mul_f32 v[114:115], v[100:101], v[112:113] op_sel:[0,1]
	s_delay_alu instid0(VALU_DEP_1) | instskip(SKIP_2) | instid1(VALU_DEP_2)
	v_pk_fma_f32 v[116:117], v[100:101], v[110:111], v[114:115] op_sel:[0,0,1] op_sel_hi:[1,1,0] neg_lo:[0,0,1] neg_hi:[0,0,1]
	v_pk_fma_f32 v[100:101], v[100:101], v[110:111], v[114:115] op_sel:[0,0,1] op_sel_hi:[1,0,0]
	v_dual_mul_f32 v114, v103, v113 :: v_dual_mov_b32 v100, v103
	v_dual_mov_b32 v117, v101 :: v_dual_mov_b32 v101, v102
	s_delay_alu instid0(VALU_DEP_2) | instskip(SKIP_1) | instid1(VALU_DEP_3)
	v_pk_fma_f32 v[114:115], v[102:103], v[14:15], v[114:115] op_sel_hi:[1,1,0] neg_lo:[0,0,1] neg_hi:[0,0,1]
	v_mul_f32_e32 v102, v103, v110
	v_pk_add_f32 v[10:11], v[10:11], v[116:117] neg_lo:[0,1] neg_hi:[0,1]
	s_delay_alu instid0(VALU_DEP_2) | instskip(NEXT) | instid1(VALU_DEP_1)
	v_pk_fma_f32 v[100:101], v[100:101], v[14:15], v[102:103] op_sel_hi:[1,1,0]
	v_mov_b32_e32 v115, v101
	ds_load_2addr_b64 v[100:103], v104 offset0:40 offset1:41
	v_pk_add_f32 v[6:7], v[6:7], v[114:115] neg_lo:[0,1] neg_hi:[0,1]
	s_wait_dscnt 0x0
	v_pk_mul_f32 v[114:115], v[100:101], v[112:113] op_sel:[0,1]
	s_delay_alu instid0(VALU_DEP_1) | instskip(SKIP_1) | instid1(VALU_DEP_1)
	v_pk_fma_f32 v[116:117], v[100:101], v[110:111], v[114:115] op_sel:[0,0,1] op_sel_hi:[1,1,0] neg_lo:[0,0,1] neg_hi:[0,0,1]
	v_pk_fma_f32 v[100:101], v[100:101], v[110:111], v[114:115] op_sel:[0,0,1] op_sel_hi:[1,0,0]
	v_mov_b32_e32 v117, v101
	v_pk_mul_f32 v[100:101], v[102:103], v[112:113] op_sel:[0,1]
	s_delay_alu instid0(VALU_DEP_1) | instskip(SKIP_1) | instid1(VALU_DEP_1)
	v_pk_fma_f32 v[114:115], v[102:103], v[110:111], v[100:101] op_sel:[0,0,1] op_sel_hi:[1,1,0] neg_lo:[0,0,1] neg_hi:[0,0,1]
	v_pk_fma_f32 v[100:101], v[102:103], v[110:111], v[100:101] op_sel:[0,0,1] op_sel_hi:[1,0,0]
	v_mov_b32_e32 v115, v101
	ds_load_2addr_b64 v[100:103], v104 offset0:42 offset1:43
	v_pk_add_f32 v[52:53], v[52:53], v[116:117] neg_lo:[0,1] neg_hi:[0,1]
	v_pk_add_f32 v[50:51], v[50:51], v[114:115] neg_lo:[0,1] neg_hi:[0,1]
	s_wait_dscnt 0x0
	v_pk_mul_f32 v[114:115], v[100:101], v[112:113] op_sel:[0,1]
	s_delay_alu instid0(VALU_DEP_1) | instskip(SKIP_1) | instid1(VALU_DEP_1)
	v_pk_fma_f32 v[116:117], v[100:101], v[110:111], v[114:115] op_sel:[0,0,1] op_sel_hi:[1,1,0] neg_lo:[0,0,1] neg_hi:[0,0,1]
	v_pk_fma_f32 v[100:101], v[100:101], v[110:111], v[114:115] op_sel:[0,0,1] op_sel_hi:[1,0,0]
	v_mov_b32_e32 v117, v101
	v_pk_mul_f32 v[100:101], v[102:103], v[112:113] op_sel:[0,1]
	s_delay_alu instid0(VALU_DEP_1) | instskip(SKIP_1) | instid1(VALU_DEP_1)
	v_pk_fma_f32 v[114:115], v[102:103], v[110:111], v[100:101] op_sel:[0,0,1] op_sel_hi:[1,1,0] neg_lo:[0,0,1] neg_hi:[0,0,1]
	v_pk_fma_f32 v[100:101], v[102:103], v[110:111], v[100:101] op_sel:[0,0,1] op_sel_hi:[1,0,0]
	v_mov_b32_e32 v115, v101
	ds_load_2addr_b64 v[100:103], v104 offset0:44 offset1:45
	v_pk_add_f32 v[8:9], v[8:9], v[116:117] neg_lo:[0,1] neg_hi:[0,1]
	v_pk_add_f32 v[40:41], v[40:41], v[114:115] neg_lo:[0,1] neg_hi:[0,1]
	s_wait_dscnt 0x0
	v_dual_mul_f32 v114, v101, v113 :: v_dual_mul_f32 v116, v101, v110
	s_delay_alu instid0(VALU_DEP_1) | instskip(NEXT) | instid1(VALU_DEP_2)
	v_pk_fma_f32 v[114:115], v[100:101], v[14:15], v[114:115] op_sel_hi:[1,1,0] neg_lo:[0,0,1] neg_hi:[0,0,1]
	v_pk_fma_f32 v[100:101], v[100:101], v[14:15], v[116:117] op_sel:[1,0,0] op_sel_hi:[0,1,0]
	s_delay_alu instid0(VALU_DEP_1) | instskip(SKIP_1) | instid1(VALU_DEP_2)
	v_mov_b32_e32 v115, v101
	v_pk_mul_f32 v[100:101], v[102:103], v[112:113] op_sel:[0,1]
	v_pk_add_f32 v[30:31], v[30:31], v[114:115] neg_lo:[0,1] neg_hi:[0,1]
	s_delay_alu instid0(VALU_DEP_2) | instskip(SKIP_1) | instid1(VALU_DEP_1)
	v_pk_fma_f32 v[114:115], v[102:103], v[110:111], v[100:101] op_sel:[0,0,1] op_sel_hi:[1,1,0] neg_lo:[0,0,1] neg_hi:[0,0,1]
	v_pk_fma_f32 v[100:101], v[102:103], v[110:111], v[100:101] op_sel:[0,0,1] op_sel_hi:[1,0,0]
	v_mov_b32_e32 v115, v101
	ds_load_b64 v[100:101], v104 offset:368
	v_pk_add_f32 v[12:13], v[12:13], v[114:115] neg_lo:[0,1] neg_hi:[0,1]
	s_wait_dscnt 0x0
	v_pk_mul_f32 v[102:103], v[100:101], v[112:113] op_sel:[0,1]
	s_delay_alu instid0(VALU_DEP_1) | instskip(SKIP_1) | instid1(VALU_DEP_1)
	v_pk_fma_f32 v[112:113], v[100:101], v[110:111], v[102:103] op_sel:[0,0,1] op_sel_hi:[1,1,0] neg_lo:[0,0,1] neg_hi:[0,0,1]
	v_pk_fma_f32 v[100:101], v[100:101], v[110:111], v[102:103] op_sel:[0,0,1] op_sel_hi:[1,0,0]
	v_mov_b32_e32 v113, v101
	s_delay_alu instid0(VALU_DEP_1)
	v_pk_add_f32 v[98:99], v[98:99], v[112:113] neg_lo:[0,1] neg_hi:[0,1]
.LBB92_755:
	s_or_b32 exec_lo, exec_lo, s0
	v_lshl_add_u32 v100, v108, 3, v104
	s_barrier_signal -1
	s_barrier_wait -1
	ds_store_b64 v100, v[56:57]
	s_wait_dscnt 0x0
	s_barrier_signal -1
	s_barrier_wait -1
	ds_load_b64 v[100:101], v104 offset:288
	v_mov_b32_e32 v102, 36
	s_cmp_lt_i32 s18, 38
	s_cbranch_scc1 .LBB92_758
; %bb.756:
	v_add3_u32 v103, v105, 0, 0x128
	v_mov_b32_e32 v102, 36
	s_mov_b32 s0, 37
.LBB92_757:                             ; =>This Inner Loop Header: Depth=1
	ds_load_b64 v[110:111], v103
	s_wait_dscnt 0x1
	v_cmp_gt_f32_e32 vcc_lo, 0, v100
	v_cndmask_b32_e64 v112, v100, -v100, vcc_lo
	v_cmp_gt_f32_e32 vcc_lo, 0, v101
	v_cndmask_b32_e64 v114, v101, -v101, vcc_lo
	s_wait_dscnt 0x0
	v_cmp_gt_f32_e32 vcc_lo, 0, v110
	v_cndmask_b32_e64 v113, v110, -v110, vcc_lo
	v_cmp_gt_f32_e32 vcc_lo, 0, v111
	v_cndmask_b32_e64 v115, v111, -v111, vcc_lo
	s_delay_alu instid0(VALU_DEP_1) | instskip(NEXT) | instid1(VALU_DEP_1)
	v_pk_add_f32 v[112:113], v[112:113], v[114:115]
	v_cmp_lt_f32_e32 vcc_lo, v112, v113
	v_dual_cndmask_b32 v100, v100, v110 :: v_dual_add_nc_u32 v103, 8, v103
	v_cndmask_b32_e32 v101, v101, v111, vcc_lo
	v_cndmask_b32_e64 v102, v102, s0, vcc_lo
	s_add_co_i32 s0, s0, 1
	s_delay_alu instid0(SALU_CYCLE_1)
	s_cmp_lg_u32 s18, s0
	s_cbranch_scc1 .LBB92_757
.LBB92_758:
	s_wait_dscnt 0x0
	v_cmp_eq_f32_e32 vcc_lo, 0, v100
	v_cmp_eq_f32_e64 s0, 0, v101
	s_and_b32 s0, vcc_lo, s0
	s_delay_alu instid0(SALU_CYCLE_1) | instskip(NEXT) | instid1(SALU_CYCLE_1)
	s_and_saveexec_b32 s1, s0
	s_xor_b32 s0, exec_lo, s1
; %bb.759:
	v_cmp_ne_u32_e32 vcc_lo, 0, v106
	v_cndmask_b32_e32 v106, 37, v106, vcc_lo
; %bb.760:
	s_and_not1_saveexec_b32 s0, s0
	s_cbranch_execz .LBB92_766
; %bb.761:
	v_cmp_ngt_f32_e64 s1, |v100|, |v101|
	s_and_saveexec_b32 s12, s1
	s_delay_alu instid0(SALU_CYCLE_1)
	s_xor_b32 s1, exec_lo, s12
	s_cbranch_execz .LBB92_763
; %bb.762:
	v_div_scale_f32 v103, null, v101, v101, v100
	v_div_scale_f32 v111, vcc_lo, v100, v101, v100
	s_delay_alu instid0(VALU_DEP_2) | instskip(SKIP_1) | instid1(TRANS32_DEP_1)
	v_rcp_f32_e32 v109, v103
	v_nop
	v_fma_f32 v110, -v103, v109, 1.0
	s_delay_alu instid0(VALU_DEP_1) | instskip(NEXT) | instid1(VALU_DEP_1)
	v_fmac_f32_e32 v109, v110, v109
	v_mul_f32_e32 v110, v111, v109
	s_delay_alu instid0(VALU_DEP_1) | instskip(NEXT) | instid1(VALU_DEP_1)
	v_fma_f32 v112, -v103, v110, v111
	v_fmac_f32_e32 v110, v112, v109
	s_delay_alu instid0(VALU_DEP_1) | instskip(NEXT) | instid1(VALU_DEP_1)
	v_fma_f32 v103, -v103, v110, v111
	v_div_fmas_f32 v103, v103, v109, v110
	s_delay_alu instid0(VALU_DEP_1) | instskip(NEXT) | instid1(VALU_DEP_1)
	v_div_fixup_f32 v103, v103, v101, v100
	v_fmac_f32_e32 v101, v100, v103
	s_delay_alu instid0(VALU_DEP_1) | instskip(SKIP_1) | instid1(VALU_DEP_2)
	v_div_scale_f32 v100, null, v101, v101, 1.0
	v_div_scale_f32 v111, vcc_lo, 1.0, v101, 1.0
	v_rcp_f32_e32 v109, v100
	v_nop
	s_delay_alu instid0(TRANS32_DEP_1) | instskip(NEXT) | instid1(VALU_DEP_1)
	v_fma_f32 v110, -v100, v109, 1.0
	v_fmac_f32_e32 v109, v110, v109
	s_delay_alu instid0(VALU_DEP_1) | instskip(NEXT) | instid1(VALU_DEP_1)
	v_mul_f32_e32 v110, v111, v109
	v_fma_f32 v112, -v100, v110, v111
	s_delay_alu instid0(VALU_DEP_1) | instskip(NEXT) | instid1(VALU_DEP_1)
	v_fmac_f32_e32 v110, v112, v109
	v_fma_f32 v100, -v100, v110, v111
	s_delay_alu instid0(VALU_DEP_1) | instskip(NEXT) | instid1(VALU_DEP_1)
	v_div_fmas_f32 v100, v100, v109, v110
	v_div_fixup_f32 v101, v100, v101, 1.0
	s_delay_alu instid0(VALU_DEP_1)
	v_mul_f32_e32 v100, v103, v101
	v_xor_b32_e32 v101, 0x80000000, v101
.LBB92_763:
	s_and_not1_saveexec_b32 s1, s1
	s_cbranch_execz .LBB92_765
; %bb.764:
	s_delay_alu instid0(VALU_DEP_1) | instskip(SKIP_1) | instid1(VALU_DEP_2)
	v_div_scale_f32 v103, null, v100, v100, v101
	v_div_scale_f32 v111, vcc_lo, v101, v100, v101
	v_rcp_f32_e32 v109, v103
	v_nop
	s_delay_alu instid0(TRANS32_DEP_1) | instskip(NEXT) | instid1(VALU_DEP_1)
	v_fma_f32 v110, -v103, v109, 1.0
	v_fmac_f32_e32 v109, v110, v109
	s_delay_alu instid0(VALU_DEP_1) | instskip(NEXT) | instid1(VALU_DEP_1)
	v_mul_f32_e32 v110, v111, v109
	v_fma_f32 v112, -v103, v110, v111
	s_delay_alu instid0(VALU_DEP_1) | instskip(NEXT) | instid1(VALU_DEP_1)
	v_fmac_f32_e32 v110, v112, v109
	v_fma_f32 v103, -v103, v110, v111
	s_delay_alu instid0(VALU_DEP_1) | instskip(NEXT) | instid1(VALU_DEP_1)
	v_div_fmas_f32 v103, v103, v109, v110
	v_div_fixup_f32 v103, v103, v100, v101
	s_delay_alu instid0(VALU_DEP_1) | instskip(NEXT) | instid1(VALU_DEP_1)
	v_fmac_f32_e32 v100, v101, v103
	v_div_scale_f32 v101, null, v100, v100, 1.0
	s_delay_alu instid0(VALU_DEP_1) | instskip(SKIP_1) | instid1(TRANS32_DEP_1)
	v_rcp_f32_e32 v109, v101
	v_nop
	v_fma_f32 v110, -v101, v109, 1.0
	s_delay_alu instid0(VALU_DEP_1) | instskip(SKIP_1) | instid1(VALU_DEP_1)
	v_fmac_f32_e32 v109, v110, v109
	v_div_scale_f32 v110, vcc_lo, 1.0, v100, 1.0
	v_mul_f32_e32 v111, v110, v109
	s_delay_alu instid0(VALU_DEP_1) | instskip(NEXT) | instid1(VALU_DEP_1)
	v_fma_f32 v112, -v101, v111, v110
	v_fmac_f32_e32 v111, v112, v109
	s_delay_alu instid0(VALU_DEP_1) | instskip(NEXT) | instid1(VALU_DEP_1)
	v_fma_f32 v101, -v101, v111, v110
	v_div_fmas_f32 v101, v101, v109, v111
	s_delay_alu instid0(VALU_DEP_1) | instskip(NEXT) | instid1(VALU_DEP_1)
	v_div_fixup_f32 v100, v101, v100, 1.0
	v_mul_f32_e64 v101, v103, -v100
.LBB92_765:
	s_or_b32 exec_lo, exec_lo, s1
.LBB92_766:
	s_delay_alu instid0(SALU_CYCLE_1) | instskip(NEXT) | instid1(SALU_CYCLE_1)
	s_or_b32 exec_lo, exec_lo, s0
	s_mov_b32 s0, exec_lo
	v_cmpx_ne_u32_e64 v108, v102
	s_xor_b32 s0, exec_lo, s0
	s_cbranch_execz .LBB92_772
; %bb.767:
	s_mov_b32 s1, exec_lo
	v_cmpx_eq_u32_e32 36, v108
	s_cbranch_execz .LBB92_771
; %bb.768:
	v_cmp_ne_u32_e32 vcc_lo, 36, v102
	s_xor_b32 s12, s16, -1
	s_delay_alu instid0(SALU_CYCLE_1) | instskip(NEXT) | instid1(SALU_CYCLE_1)
	s_and_b32 s13, s12, vcc_lo
	s_and_saveexec_b32 s12, s13
	s_cbranch_execz .LBB92_770
; %bb.769:
	v_ashrrev_i32_e32 v103, 31, v102
	s_delay_alu instid0(VALU_DEP_1)
	v_lshl_add_u64 v[108:109], v[102:103], 2, v[4:5]
	s_clause 0x1
	global_load_b32 v103, v[108:109], off
	global_load_b32 v107, v[4:5], off offset:144
	s_wait_loadcnt 0x1
	global_store_b32 v[4:5], v103, off offset:144
	s_wait_loadcnt 0x0
	global_store_b32 v[108:109], v107, off
.LBB92_770:
	s_wait_xcnt 0x0
	s_or_b32 exec_lo, exec_lo, s12
	v_dual_mov_b32 v108, v102 :: v_dual_mov_b32 v107, v102
.LBB92_771:
	s_or_b32 exec_lo, exec_lo, s1
.LBB92_772:
	s_and_not1_saveexec_b32 s0, s0
	s_cbranch_execz .LBB92_774
; %bb.773:
	v_mov_b32_e32 v108, 36
	ds_store_2addr_b64 v104, v[54:55], v[10:11] offset0:37 offset1:38
	ds_store_2addr_b64 v104, v[6:7], v[52:53] offset0:39 offset1:40
	;; [unrolled: 1-line block ×5, first 2 shown]
.LBB92_774:
	s_or_b32 exec_lo, exec_lo, s0
	s_delay_alu instid0(SALU_CYCLE_1)
	s_mov_b32 s0, exec_lo
	s_wait_storecnt_dscnt 0x0
	s_barrier_signal -1
	s_barrier_wait -1
	v_cmpx_lt_i32_e32 36, v108
	s_cbranch_execz .LBB92_776
; %bb.775:
	v_pk_mul_f32 v[102:103], v[100:101], v[56:57] op_sel:[1,1] op_sel_hi:[0,1]
	s_delay_alu instid0(VALU_DEP_1)
	v_pk_fma_f32 v[110:111], v[100:101], v[56:57], v[102:103] op_sel_hi:[1,0,1] neg_lo:[0,0,1] neg_hi:[0,0,1]
	v_pk_fma_f32 v[112:113], v[100:101], v[56:57], v[102:103] op_sel_hi:[1,0,1]
	ds_load_2addr_b64 v[100:103], v104 offset0:37 offset1:38
	v_dual_mov_b32 v56, v110 :: v_dual_mov_b32 v57, v113
	s_wait_dscnt 0x0
	v_pk_mul_f32 v[114:115], v[100:101], v[112:113] op_sel:[0,1]
	s_delay_alu instid0(VALU_DEP_1) | instskip(SKIP_1) | instid1(VALU_DEP_1)
	v_pk_fma_f32 v[116:117], v[100:101], v[110:111], v[114:115] op_sel:[0,0,1] op_sel_hi:[1,1,0] neg_lo:[0,0,1] neg_hi:[0,0,1]
	v_pk_fma_f32 v[100:101], v[100:101], v[110:111], v[114:115] op_sel:[0,0,1] op_sel_hi:[1,0,0]
	v_mov_b32_e32 v117, v101
	v_pk_mul_f32 v[100:101], v[102:103], v[112:113] op_sel:[0,1]
	s_delay_alu instid0(VALU_DEP_1) | instskip(SKIP_1) | instid1(VALU_DEP_1)
	v_pk_fma_f32 v[114:115], v[102:103], v[110:111], v[100:101] op_sel:[0,0,1] op_sel_hi:[1,1,0] neg_lo:[0,0,1] neg_hi:[0,0,1]
	v_pk_fma_f32 v[100:101], v[102:103], v[110:111], v[100:101] op_sel:[0,0,1] op_sel_hi:[1,0,0]
	v_mov_b32_e32 v115, v101
	ds_load_2addr_b64 v[100:103], v104 offset0:39 offset1:40
	v_pk_add_f32 v[54:55], v[54:55], v[116:117] neg_lo:[0,1] neg_hi:[0,1]
	v_pk_add_f32 v[10:11], v[10:11], v[114:115] neg_lo:[0,1] neg_hi:[0,1]
	s_wait_dscnt 0x0
	v_pk_mul_f32 v[114:115], v[100:101], v[112:113] op_sel:[0,1]
	s_delay_alu instid0(VALU_DEP_1) | instskip(SKIP_2) | instid1(VALU_DEP_2)
	v_pk_fma_f32 v[116:117], v[100:101], v[110:111], v[114:115] op_sel:[0,0,1] op_sel_hi:[1,1,0] neg_lo:[0,0,1] neg_hi:[0,0,1]
	v_pk_fma_f32 v[100:101], v[100:101], v[110:111], v[114:115] op_sel:[0,0,1] op_sel_hi:[1,0,0]
	v_dual_mul_f32 v114, v103, v113 :: v_dual_mov_b32 v100, v103
	v_dual_mov_b32 v117, v101 :: v_dual_mov_b32 v101, v102
	s_delay_alu instid0(VALU_DEP_2) | instskip(SKIP_1) | instid1(VALU_DEP_3)
	v_pk_fma_f32 v[114:115], v[102:103], v[56:57], v[114:115] op_sel_hi:[1,1,0] neg_lo:[0,0,1] neg_hi:[0,0,1]
	v_mul_f32_e32 v102, v103, v110
	v_pk_add_f32 v[6:7], v[6:7], v[116:117] neg_lo:[0,1] neg_hi:[0,1]
	s_delay_alu instid0(VALU_DEP_2) | instskip(NEXT) | instid1(VALU_DEP_1)
	v_pk_fma_f32 v[100:101], v[100:101], v[56:57], v[102:103] op_sel_hi:[1,1,0]
	v_mov_b32_e32 v115, v101
	ds_load_2addr_b64 v[100:103], v104 offset0:41 offset1:42
	v_pk_add_f32 v[52:53], v[52:53], v[114:115] neg_lo:[0,1] neg_hi:[0,1]
	s_wait_dscnt 0x0
	v_pk_mul_f32 v[114:115], v[100:101], v[112:113] op_sel:[0,1]
	s_delay_alu instid0(VALU_DEP_1) | instskip(SKIP_1) | instid1(VALU_DEP_1)
	v_pk_fma_f32 v[116:117], v[100:101], v[110:111], v[114:115] op_sel:[0,0,1] op_sel_hi:[1,1,0] neg_lo:[0,0,1] neg_hi:[0,0,1]
	v_pk_fma_f32 v[100:101], v[100:101], v[110:111], v[114:115] op_sel:[0,0,1] op_sel_hi:[1,0,0]
	v_mov_b32_e32 v117, v101
	v_pk_mul_f32 v[100:101], v[102:103], v[112:113] op_sel:[0,1]
	s_delay_alu instid0(VALU_DEP_1) | instskip(SKIP_1) | instid1(VALU_DEP_1)
	v_pk_fma_f32 v[114:115], v[102:103], v[110:111], v[100:101] op_sel:[0,0,1] op_sel_hi:[1,1,0] neg_lo:[0,0,1] neg_hi:[0,0,1]
	v_pk_fma_f32 v[100:101], v[102:103], v[110:111], v[100:101] op_sel:[0,0,1] op_sel_hi:[1,0,0]
	v_mov_b32_e32 v115, v101
	ds_load_2addr_b64 v[100:103], v104 offset0:43 offset1:44
	v_pk_add_f32 v[50:51], v[50:51], v[116:117] neg_lo:[0,1] neg_hi:[0,1]
	v_pk_add_f32 v[8:9], v[8:9], v[114:115] neg_lo:[0,1] neg_hi:[0,1]
	s_wait_dscnt 0x0
	v_pk_mul_f32 v[114:115], v[100:101], v[112:113] op_sel:[0,1]
	s_delay_alu instid0(VALU_DEP_1) | instskip(SKIP_1) | instid1(VALU_DEP_1)
	v_pk_fma_f32 v[116:117], v[100:101], v[110:111], v[114:115] op_sel:[0,0,1] op_sel_hi:[1,1,0] neg_lo:[0,0,1] neg_hi:[0,0,1]
	v_pk_fma_f32 v[100:101], v[100:101], v[110:111], v[114:115] op_sel:[0,0,1] op_sel_hi:[1,0,0]
	v_mov_b32_e32 v117, v101
	v_pk_mul_f32 v[100:101], v[102:103], v[112:113] op_sel:[0,1]
	s_delay_alu instid0(VALU_DEP_1) | instskip(SKIP_1) | instid1(VALU_DEP_1)
	v_pk_fma_f32 v[114:115], v[102:103], v[110:111], v[100:101] op_sel:[0,0,1] op_sel_hi:[1,1,0] neg_lo:[0,0,1] neg_hi:[0,0,1]
	v_pk_fma_f32 v[100:101], v[102:103], v[110:111], v[100:101] op_sel:[0,0,1] op_sel_hi:[1,0,0]
	v_mov_b32_e32 v115, v101
	ds_load_2addr_b64 v[100:103], v104 offset0:45 offset1:46
	v_pk_add_f32 v[40:41], v[40:41], v[116:117] neg_lo:[0,1] neg_hi:[0,1]
	v_pk_add_f32 v[30:31], v[30:31], v[114:115] neg_lo:[0,1] neg_hi:[0,1]
	s_wait_dscnt 0x0
	v_dual_mul_f32 v114, v101, v113 :: v_dual_mul_f32 v116, v101, v110
	s_delay_alu instid0(VALU_DEP_1) | instskip(NEXT) | instid1(VALU_DEP_2)
	v_pk_fma_f32 v[114:115], v[100:101], v[56:57], v[114:115] op_sel_hi:[1,1,0] neg_lo:[0,0,1] neg_hi:[0,0,1]
	v_pk_fma_f32 v[100:101], v[100:101], v[56:57], v[116:117] op_sel:[1,0,0] op_sel_hi:[0,1,0]
	s_delay_alu instid0(VALU_DEP_1) | instskip(SKIP_1) | instid1(VALU_DEP_1)
	v_mov_b32_e32 v115, v101
	v_pk_mul_f32 v[100:101], v[102:103], v[112:113] op_sel:[0,1]
	v_pk_fma_f32 v[112:113], v[102:103], v[110:111], v[100:101] op_sel:[0,0,1] op_sel_hi:[1,1,0] neg_lo:[0,0,1] neg_hi:[0,0,1]
	v_pk_fma_f32 v[100:101], v[102:103], v[110:111], v[100:101] op_sel:[0,0,1] op_sel_hi:[1,0,0]
	s_delay_alu instid0(VALU_DEP_1) | instskip(SKIP_1) | instid1(VALU_DEP_2)
	v_mov_b32_e32 v113, v101
	v_pk_add_f32 v[12:13], v[12:13], v[114:115] neg_lo:[0,1] neg_hi:[0,1]
	v_pk_add_f32 v[98:99], v[98:99], v[112:113] neg_lo:[0,1] neg_hi:[0,1]
.LBB92_776:
	s_or_b32 exec_lo, exec_lo, s0
	v_lshl_add_u32 v100, v108, 3, v104
	s_barrier_signal -1
	s_barrier_wait -1
	ds_store_b64 v100, v[54:55]
	s_wait_dscnt 0x0
	s_barrier_signal -1
	s_barrier_wait -1
	ds_load_b64 v[100:101], v104 offset:296
	v_mov_b32_e32 v102, 37
	s_cmp_lt_i32 s18, 39
	s_cbranch_scc1 .LBB92_779
; %bb.777:
	v_add3_u32 v103, v105, 0, 0x130
	v_mov_b32_e32 v102, 37
	s_mov_b32 s0, 38
.LBB92_778:                             ; =>This Inner Loop Header: Depth=1
	ds_load_b64 v[110:111], v103
	s_wait_dscnt 0x1
	v_cmp_gt_f32_e32 vcc_lo, 0, v100
	v_cndmask_b32_e64 v112, v100, -v100, vcc_lo
	v_cmp_gt_f32_e32 vcc_lo, 0, v101
	v_cndmask_b32_e64 v114, v101, -v101, vcc_lo
	s_wait_dscnt 0x0
	v_cmp_gt_f32_e32 vcc_lo, 0, v110
	v_cndmask_b32_e64 v113, v110, -v110, vcc_lo
	v_cmp_gt_f32_e32 vcc_lo, 0, v111
	v_cndmask_b32_e64 v115, v111, -v111, vcc_lo
	s_delay_alu instid0(VALU_DEP_1) | instskip(NEXT) | instid1(VALU_DEP_1)
	v_pk_add_f32 v[112:113], v[112:113], v[114:115]
	v_cmp_lt_f32_e32 vcc_lo, v112, v113
	v_dual_cndmask_b32 v100, v100, v110 :: v_dual_add_nc_u32 v103, 8, v103
	v_cndmask_b32_e32 v101, v101, v111, vcc_lo
	v_cndmask_b32_e64 v102, v102, s0, vcc_lo
	s_add_co_i32 s0, s0, 1
	s_delay_alu instid0(SALU_CYCLE_1)
	s_cmp_lg_u32 s18, s0
	s_cbranch_scc1 .LBB92_778
.LBB92_779:
	s_wait_dscnt 0x0
	v_cmp_eq_f32_e32 vcc_lo, 0, v100
	v_cmp_eq_f32_e64 s0, 0, v101
	s_and_b32 s0, vcc_lo, s0
	s_delay_alu instid0(SALU_CYCLE_1) | instskip(NEXT) | instid1(SALU_CYCLE_1)
	s_and_saveexec_b32 s1, s0
	s_xor_b32 s0, exec_lo, s1
; %bb.780:
	v_cmp_ne_u32_e32 vcc_lo, 0, v106
	v_cndmask_b32_e32 v106, 38, v106, vcc_lo
; %bb.781:
	s_and_not1_saveexec_b32 s0, s0
	s_cbranch_execz .LBB92_787
; %bb.782:
	v_cmp_ngt_f32_e64 s1, |v100|, |v101|
	s_and_saveexec_b32 s12, s1
	s_delay_alu instid0(SALU_CYCLE_1)
	s_xor_b32 s1, exec_lo, s12
	s_cbranch_execz .LBB92_784
; %bb.783:
	v_div_scale_f32 v103, null, v101, v101, v100
	v_div_scale_f32 v111, vcc_lo, v100, v101, v100
	s_delay_alu instid0(VALU_DEP_2) | instskip(SKIP_1) | instid1(TRANS32_DEP_1)
	v_rcp_f32_e32 v109, v103
	v_nop
	v_fma_f32 v110, -v103, v109, 1.0
	s_delay_alu instid0(VALU_DEP_1) | instskip(NEXT) | instid1(VALU_DEP_1)
	v_fmac_f32_e32 v109, v110, v109
	v_mul_f32_e32 v110, v111, v109
	s_delay_alu instid0(VALU_DEP_1) | instskip(NEXT) | instid1(VALU_DEP_1)
	v_fma_f32 v112, -v103, v110, v111
	v_fmac_f32_e32 v110, v112, v109
	s_delay_alu instid0(VALU_DEP_1) | instskip(NEXT) | instid1(VALU_DEP_1)
	v_fma_f32 v103, -v103, v110, v111
	v_div_fmas_f32 v103, v103, v109, v110
	s_delay_alu instid0(VALU_DEP_1) | instskip(NEXT) | instid1(VALU_DEP_1)
	v_div_fixup_f32 v103, v103, v101, v100
	v_fmac_f32_e32 v101, v100, v103
	s_delay_alu instid0(VALU_DEP_1) | instskip(SKIP_1) | instid1(VALU_DEP_2)
	v_div_scale_f32 v100, null, v101, v101, 1.0
	v_div_scale_f32 v111, vcc_lo, 1.0, v101, 1.0
	v_rcp_f32_e32 v109, v100
	v_nop
	s_delay_alu instid0(TRANS32_DEP_1) | instskip(NEXT) | instid1(VALU_DEP_1)
	v_fma_f32 v110, -v100, v109, 1.0
	v_fmac_f32_e32 v109, v110, v109
	s_delay_alu instid0(VALU_DEP_1) | instskip(NEXT) | instid1(VALU_DEP_1)
	v_mul_f32_e32 v110, v111, v109
	v_fma_f32 v112, -v100, v110, v111
	s_delay_alu instid0(VALU_DEP_1) | instskip(NEXT) | instid1(VALU_DEP_1)
	v_fmac_f32_e32 v110, v112, v109
	v_fma_f32 v100, -v100, v110, v111
	s_delay_alu instid0(VALU_DEP_1) | instskip(NEXT) | instid1(VALU_DEP_1)
	v_div_fmas_f32 v100, v100, v109, v110
	v_div_fixup_f32 v101, v100, v101, 1.0
	s_delay_alu instid0(VALU_DEP_1)
	v_mul_f32_e32 v100, v103, v101
	v_xor_b32_e32 v101, 0x80000000, v101
.LBB92_784:
	s_and_not1_saveexec_b32 s1, s1
	s_cbranch_execz .LBB92_786
; %bb.785:
	s_delay_alu instid0(VALU_DEP_1) | instskip(SKIP_1) | instid1(VALU_DEP_2)
	v_div_scale_f32 v103, null, v100, v100, v101
	v_div_scale_f32 v111, vcc_lo, v101, v100, v101
	v_rcp_f32_e32 v109, v103
	v_nop
	s_delay_alu instid0(TRANS32_DEP_1) | instskip(NEXT) | instid1(VALU_DEP_1)
	v_fma_f32 v110, -v103, v109, 1.0
	v_fmac_f32_e32 v109, v110, v109
	s_delay_alu instid0(VALU_DEP_1) | instskip(NEXT) | instid1(VALU_DEP_1)
	v_mul_f32_e32 v110, v111, v109
	v_fma_f32 v112, -v103, v110, v111
	s_delay_alu instid0(VALU_DEP_1) | instskip(NEXT) | instid1(VALU_DEP_1)
	v_fmac_f32_e32 v110, v112, v109
	v_fma_f32 v103, -v103, v110, v111
	s_delay_alu instid0(VALU_DEP_1) | instskip(NEXT) | instid1(VALU_DEP_1)
	v_div_fmas_f32 v103, v103, v109, v110
	v_div_fixup_f32 v103, v103, v100, v101
	s_delay_alu instid0(VALU_DEP_1) | instskip(NEXT) | instid1(VALU_DEP_1)
	v_fmac_f32_e32 v100, v101, v103
	v_div_scale_f32 v101, null, v100, v100, 1.0
	s_delay_alu instid0(VALU_DEP_1) | instskip(SKIP_1) | instid1(TRANS32_DEP_1)
	v_rcp_f32_e32 v109, v101
	v_nop
	v_fma_f32 v110, -v101, v109, 1.0
	s_delay_alu instid0(VALU_DEP_1) | instskip(SKIP_1) | instid1(VALU_DEP_1)
	v_fmac_f32_e32 v109, v110, v109
	v_div_scale_f32 v110, vcc_lo, 1.0, v100, 1.0
	v_mul_f32_e32 v111, v110, v109
	s_delay_alu instid0(VALU_DEP_1) | instskip(NEXT) | instid1(VALU_DEP_1)
	v_fma_f32 v112, -v101, v111, v110
	v_fmac_f32_e32 v111, v112, v109
	s_delay_alu instid0(VALU_DEP_1) | instskip(NEXT) | instid1(VALU_DEP_1)
	v_fma_f32 v101, -v101, v111, v110
	v_div_fmas_f32 v101, v101, v109, v111
	s_delay_alu instid0(VALU_DEP_1) | instskip(NEXT) | instid1(VALU_DEP_1)
	v_div_fixup_f32 v100, v101, v100, 1.0
	v_mul_f32_e64 v101, v103, -v100
.LBB92_786:
	s_or_b32 exec_lo, exec_lo, s1
.LBB92_787:
	s_delay_alu instid0(SALU_CYCLE_1) | instskip(NEXT) | instid1(SALU_CYCLE_1)
	s_or_b32 exec_lo, exec_lo, s0
	s_mov_b32 s0, exec_lo
	v_cmpx_ne_u32_e64 v108, v102
	s_xor_b32 s0, exec_lo, s0
	s_cbranch_execz .LBB92_793
; %bb.788:
	s_mov_b32 s1, exec_lo
	v_cmpx_eq_u32_e32 37, v108
	s_cbranch_execz .LBB92_792
; %bb.789:
	v_cmp_ne_u32_e32 vcc_lo, 37, v102
	s_xor_b32 s12, s16, -1
	s_delay_alu instid0(SALU_CYCLE_1) | instskip(NEXT) | instid1(SALU_CYCLE_1)
	s_and_b32 s13, s12, vcc_lo
	s_and_saveexec_b32 s12, s13
	s_cbranch_execz .LBB92_791
; %bb.790:
	v_ashrrev_i32_e32 v103, 31, v102
	s_delay_alu instid0(VALU_DEP_1)
	v_lshl_add_u64 v[108:109], v[102:103], 2, v[4:5]
	s_clause 0x1
	global_load_b32 v103, v[108:109], off
	global_load_b32 v107, v[4:5], off offset:148
	s_wait_loadcnt 0x1
	global_store_b32 v[4:5], v103, off offset:148
	s_wait_loadcnt 0x0
	global_store_b32 v[108:109], v107, off
.LBB92_791:
	s_wait_xcnt 0x0
	s_or_b32 exec_lo, exec_lo, s12
	v_dual_mov_b32 v108, v102 :: v_dual_mov_b32 v107, v102
.LBB92_792:
	s_or_b32 exec_lo, exec_lo, s1
.LBB92_793:
	s_and_not1_saveexec_b32 s0, s0
	s_cbranch_execz .LBB92_795
; %bb.794:
	v_dual_mov_b32 v102, v10 :: v_dual_mov_b32 v103, v11
	v_dual_mov_b32 v110, v6 :: v_dual_mov_b32 v111, v7
	;; [unrolled: 1-line block ×8, first 2 shown]
	v_mov_b32_e32 v123, v13
	ds_store_2addr_b64 v104, v[102:103], v[110:111] offset0:38 offset1:39
	ds_store_2addr_b64 v104, v[112:113], v[114:115] offset0:40 offset1:41
	;; [unrolled: 1-line block ×4, first 2 shown]
	ds_store_b64 v104, v[98:99] offset:368
.LBB92_795:
	s_or_b32 exec_lo, exec_lo, s0
	s_delay_alu instid0(SALU_CYCLE_1)
	s_mov_b32 s0, exec_lo
	s_wait_storecnt_dscnt 0x0
	s_barrier_signal -1
	s_barrier_wait -1
	v_cmpx_lt_i32_e32 37, v108
	s_cbranch_execz .LBB92_797
; %bb.796:
	v_pk_mul_f32 v[102:103], v[100:101], v[54:55] op_sel:[1,1] op_sel_hi:[0,1]
	s_delay_alu instid0(VALU_DEP_1)
	v_pk_fma_f32 v[110:111], v[100:101], v[54:55], v[102:103] op_sel_hi:[1,0,1] neg_lo:[0,0,1] neg_hi:[0,0,1]
	v_pk_fma_f32 v[112:113], v[100:101], v[54:55], v[102:103] op_sel_hi:[1,0,1]
	ds_load_2addr_b64 v[100:103], v104 offset0:38 offset1:39
	v_dual_mov_b32 v54, v110 :: v_dual_mov_b32 v55, v113
	s_wait_dscnt 0x0
	v_pk_mul_f32 v[114:115], v[100:101], v[112:113] op_sel:[0,1]
	s_delay_alu instid0(VALU_DEP_1) | instskip(SKIP_1) | instid1(VALU_DEP_1)
	v_pk_fma_f32 v[116:117], v[100:101], v[110:111], v[114:115] op_sel:[0,0,1] op_sel_hi:[1,1,0] neg_lo:[0,0,1] neg_hi:[0,0,1]
	v_pk_fma_f32 v[100:101], v[100:101], v[110:111], v[114:115] op_sel:[0,0,1] op_sel_hi:[1,0,0]
	v_mov_b32_e32 v117, v101
	v_pk_mul_f32 v[100:101], v[102:103], v[112:113] op_sel:[0,1]
	s_delay_alu instid0(VALU_DEP_1) | instskip(SKIP_1) | instid1(VALU_DEP_1)
	v_pk_fma_f32 v[114:115], v[102:103], v[110:111], v[100:101] op_sel:[0,0,1] op_sel_hi:[1,1,0] neg_lo:[0,0,1] neg_hi:[0,0,1]
	v_pk_fma_f32 v[100:101], v[102:103], v[110:111], v[100:101] op_sel:[0,0,1] op_sel_hi:[1,0,0]
	v_mov_b32_e32 v115, v101
	ds_load_2addr_b64 v[100:103], v104 offset0:40 offset1:41
	v_pk_add_f32 v[10:11], v[10:11], v[116:117] neg_lo:[0,1] neg_hi:[0,1]
	v_pk_add_f32 v[6:7], v[6:7], v[114:115] neg_lo:[0,1] neg_hi:[0,1]
	s_wait_dscnt 0x0
	v_pk_mul_f32 v[114:115], v[100:101], v[112:113] op_sel:[0,1]
	s_delay_alu instid0(VALU_DEP_1) | instskip(SKIP_2) | instid1(VALU_DEP_2)
	v_pk_fma_f32 v[116:117], v[100:101], v[110:111], v[114:115] op_sel:[0,0,1] op_sel_hi:[1,1,0] neg_lo:[0,0,1] neg_hi:[0,0,1]
	v_pk_fma_f32 v[100:101], v[100:101], v[110:111], v[114:115] op_sel:[0,0,1] op_sel_hi:[1,0,0]
	v_dual_mul_f32 v114, v103, v113 :: v_dual_mov_b32 v100, v103
	v_dual_mov_b32 v117, v101 :: v_dual_mov_b32 v101, v102
	s_delay_alu instid0(VALU_DEP_2) | instskip(SKIP_1) | instid1(VALU_DEP_3)
	v_pk_fma_f32 v[114:115], v[102:103], v[54:55], v[114:115] op_sel_hi:[1,1,0] neg_lo:[0,0,1] neg_hi:[0,0,1]
	v_mul_f32_e32 v102, v103, v110
	v_pk_add_f32 v[52:53], v[52:53], v[116:117] neg_lo:[0,1] neg_hi:[0,1]
	s_delay_alu instid0(VALU_DEP_2) | instskip(NEXT) | instid1(VALU_DEP_1)
	v_pk_fma_f32 v[100:101], v[100:101], v[54:55], v[102:103] op_sel_hi:[1,1,0]
	v_mov_b32_e32 v115, v101
	ds_load_2addr_b64 v[100:103], v104 offset0:42 offset1:43
	v_pk_add_f32 v[50:51], v[50:51], v[114:115] neg_lo:[0,1] neg_hi:[0,1]
	s_wait_dscnt 0x0
	v_pk_mul_f32 v[114:115], v[100:101], v[112:113] op_sel:[0,1]
	s_delay_alu instid0(VALU_DEP_1) | instskip(SKIP_1) | instid1(VALU_DEP_1)
	v_pk_fma_f32 v[116:117], v[100:101], v[110:111], v[114:115] op_sel:[0,0,1] op_sel_hi:[1,1,0] neg_lo:[0,0,1] neg_hi:[0,0,1]
	v_pk_fma_f32 v[100:101], v[100:101], v[110:111], v[114:115] op_sel:[0,0,1] op_sel_hi:[1,0,0]
	v_mov_b32_e32 v117, v101
	v_pk_mul_f32 v[100:101], v[102:103], v[112:113] op_sel:[0,1]
	s_delay_alu instid0(VALU_DEP_1) | instskip(SKIP_1) | instid1(VALU_DEP_1)
	v_pk_fma_f32 v[114:115], v[102:103], v[110:111], v[100:101] op_sel:[0,0,1] op_sel_hi:[1,1,0] neg_lo:[0,0,1] neg_hi:[0,0,1]
	v_pk_fma_f32 v[100:101], v[102:103], v[110:111], v[100:101] op_sel:[0,0,1] op_sel_hi:[1,0,0]
	v_mov_b32_e32 v115, v101
	ds_load_2addr_b64 v[100:103], v104 offset0:44 offset1:45
	v_pk_add_f32 v[8:9], v[8:9], v[116:117] neg_lo:[0,1] neg_hi:[0,1]
	v_pk_add_f32 v[40:41], v[40:41], v[114:115] neg_lo:[0,1] neg_hi:[0,1]
	s_wait_dscnt 0x0
	v_pk_mul_f32 v[114:115], v[100:101], v[112:113] op_sel:[0,1]
	s_delay_alu instid0(VALU_DEP_1) | instskip(SKIP_1) | instid1(VALU_DEP_1)
	v_pk_fma_f32 v[116:117], v[100:101], v[110:111], v[114:115] op_sel:[0,0,1] op_sel_hi:[1,1,0] neg_lo:[0,0,1] neg_hi:[0,0,1]
	v_pk_fma_f32 v[100:101], v[100:101], v[110:111], v[114:115] op_sel:[0,0,1] op_sel_hi:[1,0,0]
	v_mov_b32_e32 v117, v101
	v_pk_mul_f32 v[100:101], v[102:103], v[112:113] op_sel:[0,1]
	s_delay_alu instid0(VALU_DEP_1) | instskip(SKIP_1) | instid1(VALU_DEP_1)
	v_pk_fma_f32 v[114:115], v[102:103], v[110:111], v[100:101] op_sel:[0,0,1] op_sel_hi:[1,1,0] neg_lo:[0,0,1] neg_hi:[0,0,1]
	v_pk_fma_f32 v[100:101], v[102:103], v[110:111], v[100:101] op_sel:[0,0,1] op_sel_hi:[1,0,0]
	v_mov_b32_e32 v115, v101
	ds_load_b64 v[100:101], v104 offset:368
	v_pk_add_f32 v[30:31], v[30:31], v[116:117] neg_lo:[0,1] neg_hi:[0,1]
	v_pk_add_f32 v[12:13], v[12:13], v[114:115] neg_lo:[0,1] neg_hi:[0,1]
	s_wait_dscnt 0x0
	v_pk_mul_f32 v[102:103], v[100:101], v[112:113] op_sel:[0,1]
	s_delay_alu instid0(VALU_DEP_1) | instskip(SKIP_1) | instid1(VALU_DEP_1)
	v_pk_fma_f32 v[112:113], v[100:101], v[110:111], v[102:103] op_sel:[0,0,1] op_sel_hi:[1,1,0] neg_lo:[0,0,1] neg_hi:[0,0,1]
	v_pk_fma_f32 v[100:101], v[100:101], v[110:111], v[102:103] op_sel:[0,0,1] op_sel_hi:[1,0,0]
	v_mov_b32_e32 v113, v101
	s_delay_alu instid0(VALU_DEP_1)
	v_pk_add_f32 v[98:99], v[98:99], v[112:113] neg_lo:[0,1] neg_hi:[0,1]
.LBB92_797:
	s_or_b32 exec_lo, exec_lo, s0
	v_lshl_add_u32 v100, v108, 3, v104
	s_barrier_signal -1
	s_barrier_wait -1
	ds_store_b64 v100, v[10:11]
	s_wait_dscnt 0x0
	s_barrier_signal -1
	s_barrier_wait -1
	ds_load_b64 v[100:101], v104 offset:304
	v_mov_b32_e32 v102, 38
	s_cmp_lt_i32 s18, 40
	s_cbranch_scc1 .LBB92_800
; %bb.798:
	v_add3_u32 v103, v105, 0, 0x138
	v_mov_b32_e32 v102, 38
	s_mov_b32 s0, 39
.LBB92_799:                             ; =>This Inner Loop Header: Depth=1
	ds_load_b64 v[110:111], v103
	s_wait_dscnt 0x1
	v_cmp_gt_f32_e32 vcc_lo, 0, v100
	v_cndmask_b32_e64 v112, v100, -v100, vcc_lo
	v_cmp_gt_f32_e32 vcc_lo, 0, v101
	v_cndmask_b32_e64 v114, v101, -v101, vcc_lo
	s_wait_dscnt 0x0
	v_cmp_gt_f32_e32 vcc_lo, 0, v110
	v_cndmask_b32_e64 v113, v110, -v110, vcc_lo
	v_cmp_gt_f32_e32 vcc_lo, 0, v111
	v_cndmask_b32_e64 v115, v111, -v111, vcc_lo
	s_delay_alu instid0(VALU_DEP_1) | instskip(NEXT) | instid1(VALU_DEP_1)
	v_pk_add_f32 v[112:113], v[112:113], v[114:115]
	v_cmp_lt_f32_e32 vcc_lo, v112, v113
	v_dual_cndmask_b32 v100, v100, v110 :: v_dual_add_nc_u32 v103, 8, v103
	v_cndmask_b32_e32 v101, v101, v111, vcc_lo
	v_cndmask_b32_e64 v102, v102, s0, vcc_lo
	s_add_co_i32 s0, s0, 1
	s_delay_alu instid0(SALU_CYCLE_1)
	s_cmp_lg_u32 s18, s0
	s_cbranch_scc1 .LBB92_799
.LBB92_800:
	s_wait_dscnt 0x0
	v_cmp_eq_f32_e32 vcc_lo, 0, v100
	v_cmp_eq_f32_e64 s0, 0, v101
	s_and_b32 s0, vcc_lo, s0
	s_delay_alu instid0(SALU_CYCLE_1) | instskip(NEXT) | instid1(SALU_CYCLE_1)
	s_and_saveexec_b32 s1, s0
	s_xor_b32 s0, exec_lo, s1
; %bb.801:
	v_cmp_ne_u32_e32 vcc_lo, 0, v106
	v_cndmask_b32_e32 v106, 39, v106, vcc_lo
; %bb.802:
	s_and_not1_saveexec_b32 s0, s0
	s_cbranch_execz .LBB92_808
; %bb.803:
	v_cmp_ngt_f32_e64 s1, |v100|, |v101|
	s_and_saveexec_b32 s12, s1
	s_delay_alu instid0(SALU_CYCLE_1)
	s_xor_b32 s1, exec_lo, s12
	s_cbranch_execz .LBB92_805
; %bb.804:
	v_div_scale_f32 v103, null, v101, v101, v100
	v_div_scale_f32 v111, vcc_lo, v100, v101, v100
	s_delay_alu instid0(VALU_DEP_2) | instskip(SKIP_1) | instid1(TRANS32_DEP_1)
	v_rcp_f32_e32 v109, v103
	v_nop
	v_fma_f32 v110, -v103, v109, 1.0
	s_delay_alu instid0(VALU_DEP_1) | instskip(NEXT) | instid1(VALU_DEP_1)
	v_fmac_f32_e32 v109, v110, v109
	v_mul_f32_e32 v110, v111, v109
	s_delay_alu instid0(VALU_DEP_1) | instskip(NEXT) | instid1(VALU_DEP_1)
	v_fma_f32 v112, -v103, v110, v111
	v_fmac_f32_e32 v110, v112, v109
	s_delay_alu instid0(VALU_DEP_1) | instskip(NEXT) | instid1(VALU_DEP_1)
	v_fma_f32 v103, -v103, v110, v111
	v_div_fmas_f32 v103, v103, v109, v110
	s_delay_alu instid0(VALU_DEP_1) | instskip(NEXT) | instid1(VALU_DEP_1)
	v_div_fixup_f32 v103, v103, v101, v100
	v_fmac_f32_e32 v101, v100, v103
	s_delay_alu instid0(VALU_DEP_1) | instskip(SKIP_1) | instid1(VALU_DEP_2)
	v_div_scale_f32 v100, null, v101, v101, 1.0
	v_div_scale_f32 v111, vcc_lo, 1.0, v101, 1.0
	v_rcp_f32_e32 v109, v100
	v_nop
	s_delay_alu instid0(TRANS32_DEP_1) | instskip(NEXT) | instid1(VALU_DEP_1)
	v_fma_f32 v110, -v100, v109, 1.0
	v_fmac_f32_e32 v109, v110, v109
	s_delay_alu instid0(VALU_DEP_1) | instskip(NEXT) | instid1(VALU_DEP_1)
	v_mul_f32_e32 v110, v111, v109
	v_fma_f32 v112, -v100, v110, v111
	s_delay_alu instid0(VALU_DEP_1) | instskip(NEXT) | instid1(VALU_DEP_1)
	v_fmac_f32_e32 v110, v112, v109
	v_fma_f32 v100, -v100, v110, v111
	s_delay_alu instid0(VALU_DEP_1) | instskip(NEXT) | instid1(VALU_DEP_1)
	v_div_fmas_f32 v100, v100, v109, v110
	v_div_fixup_f32 v101, v100, v101, 1.0
	s_delay_alu instid0(VALU_DEP_1)
	v_mul_f32_e32 v100, v103, v101
	v_xor_b32_e32 v101, 0x80000000, v101
.LBB92_805:
	s_and_not1_saveexec_b32 s1, s1
	s_cbranch_execz .LBB92_807
; %bb.806:
	s_delay_alu instid0(VALU_DEP_1) | instskip(SKIP_1) | instid1(VALU_DEP_2)
	v_div_scale_f32 v103, null, v100, v100, v101
	v_div_scale_f32 v111, vcc_lo, v101, v100, v101
	v_rcp_f32_e32 v109, v103
	v_nop
	s_delay_alu instid0(TRANS32_DEP_1) | instskip(NEXT) | instid1(VALU_DEP_1)
	v_fma_f32 v110, -v103, v109, 1.0
	v_fmac_f32_e32 v109, v110, v109
	s_delay_alu instid0(VALU_DEP_1) | instskip(NEXT) | instid1(VALU_DEP_1)
	v_mul_f32_e32 v110, v111, v109
	v_fma_f32 v112, -v103, v110, v111
	s_delay_alu instid0(VALU_DEP_1) | instskip(NEXT) | instid1(VALU_DEP_1)
	v_fmac_f32_e32 v110, v112, v109
	v_fma_f32 v103, -v103, v110, v111
	s_delay_alu instid0(VALU_DEP_1) | instskip(NEXT) | instid1(VALU_DEP_1)
	v_div_fmas_f32 v103, v103, v109, v110
	v_div_fixup_f32 v103, v103, v100, v101
	s_delay_alu instid0(VALU_DEP_1) | instskip(NEXT) | instid1(VALU_DEP_1)
	v_fmac_f32_e32 v100, v101, v103
	v_div_scale_f32 v101, null, v100, v100, 1.0
	s_delay_alu instid0(VALU_DEP_1) | instskip(SKIP_1) | instid1(TRANS32_DEP_1)
	v_rcp_f32_e32 v109, v101
	v_nop
	v_fma_f32 v110, -v101, v109, 1.0
	s_delay_alu instid0(VALU_DEP_1) | instskip(SKIP_1) | instid1(VALU_DEP_1)
	v_fmac_f32_e32 v109, v110, v109
	v_div_scale_f32 v110, vcc_lo, 1.0, v100, 1.0
	v_mul_f32_e32 v111, v110, v109
	s_delay_alu instid0(VALU_DEP_1) | instskip(NEXT) | instid1(VALU_DEP_1)
	v_fma_f32 v112, -v101, v111, v110
	v_fmac_f32_e32 v111, v112, v109
	s_delay_alu instid0(VALU_DEP_1) | instskip(NEXT) | instid1(VALU_DEP_1)
	v_fma_f32 v101, -v101, v111, v110
	v_div_fmas_f32 v101, v101, v109, v111
	s_delay_alu instid0(VALU_DEP_1) | instskip(NEXT) | instid1(VALU_DEP_1)
	v_div_fixup_f32 v100, v101, v100, 1.0
	v_mul_f32_e64 v101, v103, -v100
.LBB92_807:
	s_or_b32 exec_lo, exec_lo, s1
.LBB92_808:
	s_delay_alu instid0(SALU_CYCLE_1) | instskip(NEXT) | instid1(SALU_CYCLE_1)
	s_or_b32 exec_lo, exec_lo, s0
	s_mov_b32 s0, exec_lo
	v_cmpx_ne_u32_e64 v108, v102
	s_xor_b32 s0, exec_lo, s0
	s_cbranch_execz .LBB92_814
; %bb.809:
	s_mov_b32 s1, exec_lo
	v_cmpx_eq_u32_e32 38, v108
	s_cbranch_execz .LBB92_813
; %bb.810:
	v_cmp_ne_u32_e32 vcc_lo, 38, v102
	s_xor_b32 s12, s16, -1
	s_delay_alu instid0(SALU_CYCLE_1) | instskip(NEXT) | instid1(SALU_CYCLE_1)
	s_and_b32 s13, s12, vcc_lo
	s_and_saveexec_b32 s12, s13
	s_cbranch_execz .LBB92_812
; %bb.811:
	v_ashrrev_i32_e32 v103, 31, v102
	s_delay_alu instid0(VALU_DEP_1)
	v_lshl_add_u64 v[108:109], v[102:103], 2, v[4:5]
	s_clause 0x1
	global_load_b32 v103, v[108:109], off
	global_load_b32 v107, v[4:5], off offset:152
	s_wait_loadcnt 0x1
	global_store_b32 v[4:5], v103, off offset:152
	s_wait_loadcnt 0x0
	global_store_b32 v[108:109], v107, off
.LBB92_812:
	s_wait_xcnt 0x0
	s_or_b32 exec_lo, exec_lo, s12
	v_dual_mov_b32 v108, v102 :: v_dual_mov_b32 v107, v102
.LBB92_813:
	s_or_b32 exec_lo, exec_lo, s1
.LBB92_814:
	s_and_not1_saveexec_b32 s0, s0
	s_cbranch_execz .LBB92_816
; %bb.815:
	v_mov_b32_e32 v108, 38
	ds_store_2addr_b64 v104, v[6:7], v[52:53] offset0:39 offset1:40
	ds_store_2addr_b64 v104, v[50:51], v[8:9] offset0:41 offset1:42
	;; [unrolled: 1-line block ×4, first 2 shown]
.LBB92_816:
	s_or_b32 exec_lo, exec_lo, s0
	s_delay_alu instid0(SALU_CYCLE_1)
	s_mov_b32 s0, exec_lo
	s_wait_storecnt_dscnt 0x0
	s_barrier_signal -1
	s_barrier_wait -1
	v_cmpx_lt_i32_e32 38, v108
	s_cbranch_execz .LBB92_818
; %bb.817:
	v_pk_mul_f32 v[102:103], v[100:101], v[10:11] op_sel:[1,1] op_sel_hi:[0,1]
	s_delay_alu instid0(VALU_DEP_1)
	v_pk_fma_f32 v[110:111], v[100:101], v[10:11], v[102:103] op_sel_hi:[1,0,1] neg_lo:[0,0,1] neg_hi:[0,0,1]
	v_pk_fma_f32 v[112:113], v[100:101], v[10:11], v[102:103] op_sel_hi:[1,0,1]
	ds_load_2addr_b64 v[100:103], v104 offset0:39 offset1:40
	v_dual_mov_b32 v10, v110 :: v_dual_mov_b32 v11, v113
	s_wait_dscnt 0x0
	v_pk_mul_f32 v[114:115], v[100:101], v[112:113] op_sel:[0,1]
	s_delay_alu instid0(VALU_DEP_1) | instskip(SKIP_1) | instid1(VALU_DEP_1)
	v_pk_fma_f32 v[116:117], v[100:101], v[110:111], v[114:115] op_sel:[0,0,1] op_sel_hi:[1,1,0] neg_lo:[0,0,1] neg_hi:[0,0,1]
	v_pk_fma_f32 v[100:101], v[100:101], v[110:111], v[114:115] op_sel:[0,0,1] op_sel_hi:[1,0,0]
	v_mov_b32_e32 v117, v101
	v_pk_mul_f32 v[100:101], v[102:103], v[112:113] op_sel:[0,1]
	s_delay_alu instid0(VALU_DEP_1) | instskip(SKIP_1) | instid1(VALU_DEP_1)
	v_pk_fma_f32 v[114:115], v[102:103], v[110:111], v[100:101] op_sel:[0,0,1] op_sel_hi:[1,1,0] neg_lo:[0,0,1] neg_hi:[0,0,1]
	v_pk_fma_f32 v[100:101], v[102:103], v[110:111], v[100:101] op_sel:[0,0,1] op_sel_hi:[1,0,0]
	v_mov_b32_e32 v115, v101
	ds_load_2addr_b64 v[100:103], v104 offset0:41 offset1:42
	v_pk_add_f32 v[6:7], v[6:7], v[116:117] neg_lo:[0,1] neg_hi:[0,1]
	v_pk_add_f32 v[52:53], v[52:53], v[114:115] neg_lo:[0,1] neg_hi:[0,1]
	s_wait_dscnt 0x0
	v_pk_mul_f32 v[114:115], v[100:101], v[112:113] op_sel:[0,1]
	s_delay_alu instid0(VALU_DEP_1) | instskip(SKIP_2) | instid1(VALU_DEP_2)
	v_pk_fma_f32 v[116:117], v[100:101], v[110:111], v[114:115] op_sel:[0,0,1] op_sel_hi:[1,1,0] neg_lo:[0,0,1] neg_hi:[0,0,1]
	v_pk_fma_f32 v[100:101], v[100:101], v[110:111], v[114:115] op_sel:[0,0,1] op_sel_hi:[1,0,0]
	v_dual_mul_f32 v114, v103, v113 :: v_dual_mov_b32 v100, v103
	v_dual_mov_b32 v117, v101 :: v_dual_mov_b32 v101, v102
	s_delay_alu instid0(VALU_DEP_2) | instskip(SKIP_1) | instid1(VALU_DEP_3)
	v_pk_fma_f32 v[114:115], v[102:103], v[10:11], v[114:115] op_sel_hi:[1,1,0] neg_lo:[0,0,1] neg_hi:[0,0,1]
	v_mul_f32_e32 v102, v103, v110
	v_pk_add_f32 v[50:51], v[50:51], v[116:117] neg_lo:[0,1] neg_hi:[0,1]
	s_delay_alu instid0(VALU_DEP_2) | instskip(NEXT) | instid1(VALU_DEP_1)
	v_pk_fma_f32 v[100:101], v[100:101], v[10:11], v[102:103] op_sel_hi:[1,1,0]
	v_mov_b32_e32 v115, v101
	ds_load_2addr_b64 v[100:103], v104 offset0:43 offset1:44
	v_pk_add_f32 v[8:9], v[8:9], v[114:115] neg_lo:[0,1] neg_hi:[0,1]
	s_wait_dscnt 0x0
	v_pk_mul_f32 v[114:115], v[100:101], v[112:113] op_sel:[0,1]
	s_delay_alu instid0(VALU_DEP_1) | instskip(SKIP_1) | instid1(VALU_DEP_1)
	v_pk_fma_f32 v[116:117], v[100:101], v[110:111], v[114:115] op_sel:[0,0,1] op_sel_hi:[1,1,0] neg_lo:[0,0,1] neg_hi:[0,0,1]
	v_pk_fma_f32 v[100:101], v[100:101], v[110:111], v[114:115] op_sel:[0,0,1] op_sel_hi:[1,0,0]
	v_mov_b32_e32 v117, v101
	v_pk_mul_f32 v[100:101], v[102:103], v[112:113] op_sel:[0,1]
	s_delay_alu instid0(VALU_DEP_1) | instskip(SKIP_1) | instid1(VALU_DEP_1)
	v_pk_fma_f32 v[114:115], v[102:103], v[110:111], v[100:101] op_sel:[0,0,1] op_sel_hi:[1,1,0] neg_lo:[0,0,1] neg_hi:[0,0,1]
	v_pk_fma_f32 v[100:101], v[102:103], v[110:111], v[100:101] op_sel:[0,0,1] op_sel_hi:[1,0,0]
	v_mov_b32_e32 v115, v101
	ds_load_2addr_b64 v[100:103], v104 offset0:45 offset1:46
	v_pk_add_f32 v[40:41], v[40:41], v[116:117] neg_lo:[0,1] neg_hi:[0,1]
	v_pk_add_f32 v[30:31], v[30:31], v[114:115] neg_lo:[0,1] neg_hi:[0,1]
	s_wait_dscnt 0x0
	v_pk_mul_f32 v[114:115], v[100:101], v[112:113] op_sel:[0,1]
	s_delay_alu instid0(VALU_DEP_1) | instskip(SKIP_1) | instid1(VALU_DEP_1)
	v_pk_fma_f32 v[116:117], v[100:101], v[110:111], v[114:115] op_sel:[0,0,1] op_sel_hi:[1,1,0] neg_lo:[0,0,1] neg_hi:[0,0,1]
	v_pk_fma_f32 v[100:101], v[100:101], v[110:111], v[114:115] op_sel:[0,0,1] op_sel_hi:[1,0,0]
	v_mov_b32_e32 v117, v101
	v_pk_mul_f32 v[100:101], v[102:103], v[112:113] op_sel:[0,1]
	s_delay_alu instid0(VALU_DEP_1) | instskip(SKIP_1) | instid1(VALU_DEP_1)
	v_pk_fma_f32 v[112:113], v[102:103], v[110:111], v[100:101] op_sel:[0,0,1] op_sel_hi:[1,1,0] neg_lo:[0,0,1] neg_hi:[0,0,1]
	v_pk_fma_f32 v[100:101], v[102:103], v[110:111], v[100:101] op_sel:[0,0,1] op_sel_hi:[1,0,0]
	v_mov_b32_e32 v113, v101
	v_pk_add_f32 v[12:13], v[12:13], v[116:117] neg_lo:[0,1] neg_hi:[0,1]
	s_delay_alu instid0(VALU_DEP_2)
	v_pk_add_f32 v[98:99], v[98:99], v[112:113] neg_lo:[0,1] neg_hi:[0,1]
.LBB92_818:
	s_or_b32 exec_lo, exec_lo, s0
	v_lshl_add_u32 v100, v108, 3, v104
	s_barrier_signal -1
	s_barrier_wait -1
	ds_store_b64 v100, v[6:7]
	s_wait_dscnt 0x0
	s_barrier_signal -1
	s_barrier_wait -1
	ds_load_b64 v[100:101], v104 offset:312
	v_mov_b32_e32 v102, 39
	s_cmp_lt_i32 s18, 41
	s_cbranch_scc1 .LBB92_821
; %bb.819:
	v_add3_u32 v103, v105, 0, 0x140
	v_mov_b32_e32 v102, 39
	s_mov_b32 s0, 40
.LBB92_820:                             ; =>This Inner Loop Header: Depth=1
	ds_load_b64 v[110:111], v103
	s_wait_dscnt 0x1
	v_cmp_gt_f32_e32 vcc_lo, 0, v100
	v_cndmask_b32_e64 v112, v100, -v100, vcc_lo
	v_cmp_gt_f32_e32 vcc_lo, 0, v101
	v_cndmask_b32_e64 v114, v101, -v101, vcc_lo
	s_wait_dscnt 0x0
	v_cmp_gt_f32_e32 vcc_lo, 0, v110
	v_cndmask_b32_e64 v113, v110, -v110, vcc_lo
	v_cmp_gt_f32_e32 vcc_lo, 0, v111
	v_cndmask_b32_e64 v115, v111, -v111, vcc_lo
	s_delay_alu instid0(VALU_DEP_1) | instskip(NEXT) | instid1(VALU_DEP_1)
	v_pk_add_f32 v[112:113], v[112:113], v[114:115]
	v_cmp_lt_f32_e32 vcc_lo, v112, v113
	v_dual_cndmask_b32 v100, v100, v110 :: v_dual_add_nc_u32 v103, 8, v103
	v_cndmask_b32_e32 v101, v101, v111, vcc_lo
	v_cndmask_b32_e64 v102, v102, s0, vcc_lo
	s_add_co_i32 s0, s0, 1
	s_delay_alu instid0(SALU_CYCLE_1)
	s_cmp_lg_u32 s18, s0
	s_cbranch_scc1 .LBB92_820
.LBB92_821:
	s_wait_dscnt 0x0
	v_cmp_eq_f32_e32 vcc_lo, 0, v100
	v_cmp_eq_f32_e64 s0, 0, v101
	s_and_b32 s0, vcc_lo, s0
	s_delay_alu instid0(SALU_CYCLE_1) | instskip(NEXT) | instid1(SALU_CYCLE_1)
	s_and_saveexec_b32 s1, s0
	s_xor_b32 s0, exec_lo, s1
; %bb.822:
	v_cmp_ne_u32_e32 vcc_lo, 0, v106
	v_cndmask_b32_e32 v106, 40, v106, vcc_lo
; %bb.823:
	s_and_not1_saveexec_b32 s0, s0
	s_cbranch_execz .LBB92_829
; %bb.824:
	v_cmp_ngt_f32_e64 s1, |v100|, |v101|
	s_and_saveexec_b32 s12, s1
	s_delay_alu instid0(SALU_CYCLE_1)
	s_xor_b32 s1, exec_lo, s12
	s_cbranch_execz .LBB92_826
; %bb.825:
	v_div_scale_f32 v103, null, v101, v101, v100
	v_div_scale_f32 v111, vcc_lo, v100, v101, v100
	s_delay_alu instid0(VALU_DEP_2) | instskip(SKIP_1) | instid1(TRANS32_DEP_1)
	v_rcp_f32_e32 v109, v103
	v_nop
	v_fma_f32 v110, -v103, v109, 1.0
	s_delay_alu instid0(VALU_DEP_1) | instskip(NEXT) | instid1(VALU_DEP_1)
	v_fmac_f32_e32 v109, v110, v109
	v_mul_f32_e32 v110, v111, v109
	s_delay_alu instid0(VALU_DEP_1) | instskip(NEXT) | instid1(VALU_DEP_1)
	v_fma_f32 v112, -v103, v110, v111
	v_fmac_f32_e32 v110, v112, v109
	s_delay_alu instid0(VALU_DEP_1) | instskip(NEXT) | instid1(VALU_DEP_1)
	v_fma_f32 v103, -v103, v110, v111
	v_div_fmas_f32 v103, v103, v109, v110
	s_delay_alu instid0(VALU_DEP_1) | instskip(NEXT) | instid1(VALU_DEP_1)
	v_div_fixup_f32 v103, v103, v101, v100
	v_fmac_f32_e32 v101, v100, v103
	s_delay_alu instid0(VALU_DEP_1) | instskip(SKIP_1) | instid1(VALU_DEP_2)
	v_div_scale_f32 v100, null, v101, v101, 1.0
	v_div_scale_f32 v111, vcc_lo, 1.0, v101, 1.0
	v_rcp_f32_e32 v109, v100
	v_nop
	s_delay_alu instid0(TRANS32_DEP_1) | instskip(NEXT) | instid1(VALU_DEP_1)
	v_fma_f32 v110, -v100, v109, 1.0
	v_fmac_f32_e32 v109, v110, v109
	s_delay_alu instid0(VALU_DEP_1) | instskip(NEXT) | instid1(VALU_DEP_1)
	v_mul_f32_e32 v110, v111, v109
	v_fma_f32 v112, -v100, v110, v111
	s_delay_alu instid0(VALU_DEP_1) | instskip(NEXT) | instid1(VALU_DEP_1)
	v_fmac_f32_e32 v110, v112, v109
	v_fma_f32 v100, -v100, v110, v111
	s_delay_alu instid0(VALU_DEP_1) | instskip(NEXT) | instid1(VALU_DEP_1)
	v_div_fmas_f32 v100, v100, v109, v110
	v_div_fixup_f32 v101, v100, v101, 1.0
	s_delay_alu instid0(VALU_DEP_1)
	v_mul_f32_e32 v100, v103, v101
	v_xor_b32_e32 v101, 0x80000000, v101
.LBB92_826:
	s_and_not1_saveexec_b32 s1, s1
	s_cbranch_execz .LBB92_828
; %bb.827:
	s_delay_alu instid0(VALU_DEP_1) | instskip(SKIP_1) | instid1(VALU_DEP_2)
	v_div_scale_f32 v103, null, v100, v100, v101
	v_div_scale_f32 v111, vcc_lo, v101, v100, v101
	v_rcp_f32_e32 v109, v103
	v_nop
	s_delay_alu instid0(TRANS32_DEP_1) | instskip(NEXT) | instid1(VALU_DEP_1)
	v_fma_f32 v110, -v103, v109, 1.0
	v_fmac_f32_e32 v109, v110, v109
	s_delay_alu instid0(VALU_DEP_1) | instskip(NEXT) | instid1(VALU_DEP_1)
	v_mul_f32_e32 v110, v111, v109
	v_fma_f32 v112, -v103, v110, v111
	s_delay_alu instid0(VALU_DEP_1) | instskip(NEXT) | instid1(VALU_DEP_1)
	v_fmac_f32_e32 v110, v112, v109
	v_fma_f32 v103, -v103, v110, v111
	s_delay_alu instid0(VALU_DEP_1) | instskip(NEXT) | instid1(VALU_DEP_1)
	v_div_fmas_f32 v103, v103, v109, v110
	v_div_fixup_f32 v103, v103, v100, v101
	s_delay_alu instid0(VALU_DEP_1) | instskip(NEXT) | instid1(VALU_DEP_1)
	v_fmac_f32_e32 v100, v101, v103
	v_div_scale_f32 v101, null, v100, v100, 1.0
	s_delay_alu instid0(VALU_DEP_1) | instskip(SKIP_1) | instid1(TRANS32_DEP_1)
	v_rcp_f32_e32 v109, v101
	v_nop
	v_fma_f32 v110, -v101, v109, 1.0
	s_delay_alu instid0(VALU_DEP_1) | instskip(SKIP_1) | instid1(VALU_DEP_1)
	v_fmac_f32_e32 v109, v110, v109
	v_div_scale_f32 v110, vcc_lo, 1.0, v100, 1.0
	v_mul_f32_e32 v111, v110, v109
	s_delay_alu instid0(VALU_DEP_1) | instskip(NEXT) | instid1(VALU_DEP_1)
	v_fma_f32 v112, -v101, v111, v110
	v_fmac_f32_e32 v111, v112, v109
	s_delay_alu instid0(VALU_DEP_1) | instskip(NEXT) | instid1(VALU_DEP_1)
	v_fma_f32 v101, -v101, v111, v110
	v_div_fmas_f32 v101, v101, v109, v111
	s_delay_alu instid0(VALU_DEP_1) | instskip(NEXT) | instid1(VALU_DEP_1)
	v_div_fixup_f32 v100, v101, v100, 1.0
	v_mul_f32_e64 v101, v103, -v100
.LBB92_828:
	s_or_b32 exec_lo, exec_lo, s1
.LBB92_829:
	s_delay_alu instid0(SALU_CYCLE_1) | instskip(NEXT) | instid1(SALU_CYCLE_1)
	s_or_b32 exec_lo, exec_lo, s0
	s_mov_b32 s0, exec_lo
	v_cmpx_ne_u32_e64 v108, v102
	s_xor_b32 s0, exec_lo, s0
	s_cbranch_execz .LBB92_835
; %bb.830:
	s_mov_b32 s1, exec_lo
	v_cmpx_eq_u32_e32 39, v108
	s_cbranch_execz .LBB92_834
; %bb.831:
	v_cmp_ne_u32_e32 vcc_lo, 39, v102
	s_xor_b32 s12, s16, -1
	s_delay_alu instid0(SALU_CYCLE_1) | instskip(NEXT) | instid1(SALU_CYCLE_1)
	s_and_b32 s13, s12, vcc_lo
	s_and_saveexec_b32 s12, s13
	s_cbranch_execz .LBB92_833
; %bb.832:
	v_ashrrev_i32_e32 v103, 31, v102
	s_delay_alu instid0(VALU_DEP_1)
	v_lshl_add_u64 v[108:109], v[102:103], 2, v[4:5]
	s_clause 0x1
	global_load_b32 v103, v[108:109], off
	global_load_b32 v107, v[4:5], off offset:156
	s_wait_loadcnt 0x1
	global_store_b32 v[4:5], v103, off offset:156
	s_wait_loadcnt 0x0
	global_store_b32 v[108:109], v107, off
.LBB92_833:
	s_wait_xcnt 0x0
	s_or_b32 exec_lo, exec_lo, s12
	v_dual_mov_b32 v108, v102 :: v_dual_mov_b32 v107, v102
.LBB92_834:
	s_or_b32 exec_lo, exec_lo, s1
.LBB92_835:
	s_and_not1_saveexec_b32 s0, s0
	s_cbranch_execz .LBB92_837
; %bb.836:
	v_dual_mov_b32 v102, v52 :: v_dual_mov_b32 v103, v53
	v_dual_mov_b32 v110, v50 :: v_dual_mov_b32 v111, v51
	;; [unrolled: 1-line block ×6, first 2 shown]
	v_mov_b32_e32 v119, v13
	ds_store_2addr_b64 v104, v[102:103], v[110:111] offset0:40 offset1:41
	ds_store_2addr_b64 v104, v[112:113], v[114:115] offset0:42 offset1:43
	;; [unrolled: 1-line block ×3, first 2 shown]
	ds_store_b64 v104, v[98:99] offset:368
.LBB92_837:
	s_or_b32 exec_lo, exec_lo, s0
	s_delay_alu instid0(SALU_CYCLE_1)
	s_mov_b32 s0, exec_lo
	s_wait_storecnt_dscnt 0x0
	s_barrier_signal -1
	s_barrier_wait -1
	v_cmpx_lt_i32_e32 39, v108
	s_cbranch_execz .LBB92_839
; %bb.838:
	v_pk_mul_f32 v[102:103], v[100:101], v[6:7] op_sel:[1,1] op_sel_hi:[0,1]
	s_delay_alu instid0(VALU_DEP_1)
	v_pk_fma_f32 v[110:111], v[100:101], v[6:7], v[102:103] op_sel_hi:[1,0,1] neg_lo:[0,0,1] neg_hi:[0,0,1]
	v_pk_fma_f32 v[112:113], v[100:101], v[6:7], v[102:103] op_sel_hi:[1,0,1]
	ds_load_2addr_b64 v[100:103], v104 offset0:40 offset1:41
	v_dual_mov_b32 v6, v110 :: v_dual_mov_b32 v7, v113
	s_wait_dscnt 0x0
	v_pk_mul_f32 v[114:115], v[100:101], v[112:113] op_sel:[0,1]
	s_delay_alu instid0(VALU_DEP_1) | instskip(SKIP_1) | instid1(VALU_DEP_1)
	v_pk_fma_f32 v[116:117], v[100:101], v[110:111], v[114:115] op_sel:[0,0,1] op_sel_hi:[1,1,0] neg_lo:[0,0,1] neg_hi:[0,0,1]
	v_pk_fma_f32 v[100:101], v[100:101], v[110:111], v[114:115] op_sel:[0,0,1] op_sel_hi:[1,0,0]
	v_mov_b32_e32 v117, v101
	v_pk_mul_f32 v[100:101], v[102:103], v[112:113] op_sel:[0,1]
	s_delay_alu instid0(VALU_DEP_1) | instskip(SKIP_1) | instid1(VALU_DEP_1)
	v_pk_fma_f32 v[114:115], v[102:103], v[110:111], v[100:101] op_sel:[0,0,1] op_sel_hi:[1,1,0] neg_lo:[0,0,1] neg_hi:[0,0,1]
	v_pk_fma_f32 v[100:101], v[102:103], v[110:111], v[100:101] op_sel:[0,0,1] op_sel_hi:[1,0,0]
	v_mov_b32_e32 v115, v101
	ds_load_2addr_b64 v[100:103], v104 offset0:42 offset1:43
	v_pk_add_f32 v[52:53], v[52:53], v[116:117] neg_lo:[0,1] neg_hi:[0,1]
	v_pk_add_f32 v[50:51], v[50:51], v[114:115] neg_lo:[0,1] neg_hi:[0,1]
	s_wait_dscnt 0x0
	v_pk_mul_f32 v[114:115], v[100:101], v[112:113] op_sel:[0,1]
	s_delay_alu instid0(VALU_DEP_1) | instskip(SKIP_2) | instid1(VALU_DEP_2)
	v_pk_fma_f32 v[116:117], v[100:101], v[110:111], v[114:115] op_sel:[0,0,1] op_sel_hi:[1,1,0] neg_lo:[0,0,1] neg_hi:[0,0,1]
	v_pk_fma_f32 v[100:101], v[100:101], v[110:111], v[114:115] op_sel:[0,0,1] op_sel_hi:[1,0,0]
	v_dual_mul_f32 v114, v103, v113 :: v_dual_mov_b32 v100, v103
	v_dual_mov_b32 v117, v101 :: v_dual_mov_b32 v101, v102
	s_delay_alu instid0(VALU_DEP_2) | instskip(SKIP_1) | instid1(VALU_DEP_3)
	v_pk_fma_f32 v[114:115], v[102:103], v[6:7], v[114:115] op_sel_hi:[1,1,0] neg_lo:[0,0,1] neg_hi:[0,0,1]
	v_mul_f32_e32 v102, v103, v110
	v_pk_add_f32 v[8:9], v[8:9], v[116:117] neg_lo:[0,1] neg_hi:[0,1]
	s_delay_alu instid0(VALU_DEP_2) | instskip(NEXT) | instid1(VALU_DEP_1)
	v_pk_fma_f32 v[100:101], v[100:101], v[6:7], v[102:103] op_sel_hi:[1,1,0]
	v_mov_b32_e32 v115, v101
	ds_load_2addr_b64 v[100:103], v104 offset0:44 offset1:45
	v_pk_add_f32 v[40:41], v[40:41], v[114:115] neg_lo:[0,1] neg_hi:[0,1]
	s_wait_dscnt 0x0
	v_pk_mul_f32 v[114:115], v[100:101], v[112:113] op_sel:[0,1]
	s_delay_alu instid0(VALU_DEP_1) | instskip(SKIP_1) | instid1(VALU_DEP_1)
	v_pk_fma_f32 v[116:117], v[100:101], v[110:111], v[114:115] op_sel:[0,0,1] op_sel_hi:[1,1,0] neg_lo:[0,0,1] neg_hi:[0,0,1]
	v_pk_fma_f32 v[100:101], v[100:101], v[110:111], v[114:115] op_sel:[0,0,1] op_sel_hi:[1,0,0]
	v_mov_b32_e32 v117, v101
	v_pk_mul_f32 v[100:101], v[102:103], v[112:113] op_sel:[0,1]
	s_delay_alu instid0(VALU_DEP_1) | instskip(SKIP_1) | instid1(VALU_DEP_1)
	v_pk_fma_f32 v[114:115], v[102:103], v[110:111], v[100:101] op_sel:[0,0,1] op_sel_hi:[1,1,0] neg_lo:[0,0,1] neg_hi:[0,0,1]
	v_pk_fma_f32 v[100:101], v[102:103], v[110:111], v[100:101] op_sel:[0,0,1] op_sel_hi:[1,0,0]
	v_mov_b32_e32 v115, v101
	ds_load_b64 v[100:101], v104 offset:368
	v_pk_add_f32 v[30:31], v[30:31], v[116:117] neg_lo:[0,1] neg_hi:[0,1]
	v_pk_add_f32 v[12:13], v[12:13], v[114:115] neg_lo:[0,1] neg_hi:[0,1]
	s_wait_dscnt 0x0
	v_pk_mul_f32 v[102:103], v[100:101], v[112:113] op_sel:[0,1]
	s_delay_alu instid0(VALU_DEP_1) | instskip(SKIP_1) | instid1(VALU_DEP_1)
	v_pk_fma_f32 v[112:113], v[100:101], v[110:111], v[102:103] op_sel:[0,0,1] op_sel_hi:[1,1,0] neg_lo:[0,0,1] neg_hi:[0,0,1]
	v_pk_fma_f32 v[100:101], v[100:101], v[110:111], v[102:103] op_sel:[0,0,1] op_sel_hi:[1,0,0]
	v_mov_b32_e32 v113, v101
	s_delay_alu instid0(VALU_DEP_1)
	v_pk_add_f32 v[98:99], v[98:99], v[112:113] neg_lo:[0,1] neg_hi:[0,1]
.LBB92_839:
	s_or_b32 exec_lo, exec_lo, s0
	v_lshl_add_u32 v100, v108, 3, v104
	s_barrier_signal -1
	s_barrier_wait -1
	ds_store_b64 v100, v[52:53]
	s_wait_dscnt 0x0
	s_barrier_signal -1
	s_barrier_wait -1
	ds_load_b64 v[100:101], v104 offset:320
	v_mov_b32_e32 v102, 40
	s_cmp_lt_i32 s18, 42
	s_cbranch_scc1 .LBB92_842
; %bb.840:
	v_add3_u32 v103, v105, 0, 0x148
	v_mov_b32_e32 v102, 40
	s_mov_b32 s0, 41
.LBB92_841:                             ; =>This Inner Loop Header: Depth=1
	ds_load_b64 v[110:111], v103
	s_wait_dscnt 0x1
	v_cmp_gt_f32_e32 vcc_lo, 0, v100
	v_cndmask_b32_e64 v112, v100, -v100, vcc_lo
	v_cmp_gt_f32_e32 vcc_lo, 0, v101
	v_cndmask_b32_e64 v114, v101, -v101, vcc_lo
	s_wait_dscnt 0x0
	v_cmp_gt_f32_e32 vcc_lo, 0, v110
	v_cndmask_b32_e64 v113, v110, -v110, vcc_lo
	v_cmp_gt_f32_e32 vcc_lo, 0, v111
	v_cndmask_b32_e64 v115, v111, -v111, vcc_lo
	s_delay_alu instid0(VALU_DEP_1) | instskip(NEXT) | instid1(VALU_DEP_1)
	v_pk_add_f32 v[112:113], v[112:113], v[114:115]
	v_cmp_lt_f32_e32 vcc_lo, v112, v113
	v_dual_cndmask_b32 v100, v100, v110 :: v_dual_add_nc_u32 v103, 8, v103
	v_cndmask_b32_e32 v101, v101, v111, vcc_lo
	v_cndmask_b32_e64 v102, v102, s0, vcc_lo
	s_add_co_i32 s0, s0, 1
	s_delay_alu instid0(SALU_CYCLE_1)
	s_cmp_lg_u32 s18, s0
	s_cbranch_scc1 .LBB92_841
.LBB92_842:
	s_wait_dscnt 0x0
	v_cmp_eq_f32_e32 vcc_lo, 0, v100
	v_cmp_eq_f32_e64 s0, 0, v101
	s_and_b32 s0, vcc_lo, s0
	s_delay_alu instid0(SALU_CYCLE_1) | instskip(NEXT) | instid1(SALU_CYCLE_1)
	s_and_saveexec_b32 s1, s0
	s_xor_b32 s0, exec_lo, s1
; %bb.843:
	v_cmp_ne_u32_e32 vcc_lo, 0, v106
	v_cndmask_b32_e32 v106, 41, v106, vcc_lo
; %bb.844:
	s_and_not1_saveexec_b32 s0, s0
	s_cbranch_execz .LBB92_850
; %bb.845:
	v_cmp_ngt_f32_e64 s1, |v100|, |v101|
	s_and_saveexec_b32 s12, s1
	s_delay_alu instid0(SALU_CYCLE_1)
	s_xor_b32 s1, exec_lo, s12
	s_cbranch_execz .LBB92_847
; %bb.846:
	v_div_scale_f32 v103, null, v101, v101, v100
	v_div_scale_f32 v111, vcc_lo, v100, v101, v100
	s_delay_alu instid0(VALU_DEP_2) | instskip(SKIP_1) | instid1(TRANS32_DEP_1)
	v_rcp_f32_e32 v109, v103
	v_nop
	v_fma_f32 v110, -v103, v109, 1.0
	s_delay_alu instid0(VALU_DEP_1) | instskip(NEXT) | instid1(VALU_DEP_1)
	v_fmac_f32_e32 v109, v110, v109
	v_mul_f32_e32 v110, v111, v109
	s_delay_alu instid0(VALU_DEP_1) | instskip(NEXT) | instid1(VALU_DEP_1)
	v_fma_f32 v112, -v103, v110, v111
	v_fmac_f32_e32 v110, v112, v109
	s_delay_alu instid0(VALU_DEP_1) | instskip(NEXT) | instid1(VALU_DEP_1)
	v_fma_f32 v103, -v103, v110, v111
	v_div_fmas_f32 v103, v103, v109, v110
	s_delay_alu instid0(VALU_DEP_1) | instskip(NEXT) | instid1(VALU_DEP_1)
	v_div_fixup_f32 v103, v103, v101, v100
	v_fmac_f32_e32 v101, v100, v103
	s_delay_alu instid0(VALU_DEP_1) | instskip(SKIP_1) | instid1(VALU_DEP_2)
	v_div_scale_f32 v100, null, v101, v101, 1.0
	v_div_scale_f32 v111, vcc_lo, 1.0, v101, 1.0
	v_rcp_f32_e32 v109, v100
	v_nop
	s_delay_alu instid0(TRANS32_DEP_1) | instskip(NEXT) | instid1(VALU_DEP_1)
	v_fma_f32 v110, -v100, v109, 1.0
	v_fmac_f32_e32 v109, v110, v109
	s_delay_alu instid0(VALU_DEP_1) | instskip(NEXT) | instid1(VALU_DEP_1)
	v_mul_f32_e32 v110, v111, v109
	v_fma_f32 v112, -v100, v110, v111
	s_delay_alu instid0(VALU_DEP_1) | instskip(NEXT) | instid1(VALU_DEP_1)
	v_fmac_f32_e32 v110, v112, v109
	v_fma_f32 v100, -v100, v110, v111
	s_delay_alu instid0(VALU_DEP_1) | instskip(NEXT) | instid1(VALU_DEP_1)
	v_div_fmas_f32 v100, v100, v109, v110
	v_div_fixup_f32 v101, v100, v101, 1.0
	s_delay_alu instid0(VALU_DEP_1)
	v_mul_f32_e32 v100, v103, v101
	v_xor_b32_e32 v101, 0x80000000, v101
.LBB92_847:
	s_and_not1_saveexec_b32 s1, s1
	s_cbranch_execz .LBB92_849
; %bb.848:
	s_delay_alu instid0(VALU_DEP_1) | instskip(SKIP_1) | instid1(VALU_DEP_2)
	v_div_scale_f32 v103, null, v100, v100, v101
	v_div_scale_f32 v111, vcc_lo, v101, v100, v101
	v_rcp_f32_e32 v109, v103
	v_nop
	s_delay_alu instid0(TRANS32_DEP_1) | instskip(NEXT) | instid1(VALU_DEP_1)
	v_fma_f32 v110, -v103, v109, 1.0
	v_fmac_f32_e32 v109, v110, v109
	s_delay_alu instid0(VALU_DEP_1) | instskip(NEXT) | instid1(VALU_DEP_1)
	v_mul_f32_e32 v110, v111, v109
	v_fma_f32 v112, -v103, v110, v111
	s_delay_alu instid0(VALU_DEP_1) | instskip(NEXT) | instid1(VALU_DEP_1)
	v_fmac_f32_e32 v110, v112, v109
	v_fma_f32 v103, -v103, v110, v111
	s_delay_alu instid0(VALU_DEP_1) | instskip(NEXT) | instid1(VALU_DEP_1)
	v_div_fmas_f32 v103, v103, v109, v110
	v_div_fixup_f32 v103, v103, v100, v101
	s_delay_alu instid0(VALU_DEP_1) | instskip(NEXT) | instid1(VALU_DEP_1)
	v_fmac_f32_e32 v100, v101, v103
	v_div_scale_f32 v101, null, v100, v100, 1.0
	s_delay_alu instid0(VALU_DEP_1) | instskip(SKIP_1) | instid1(TRANS32_DEP_1)
	v_rcp_f32_e32 v109, v101
	v_nop
	v_fma_f32 v110, -v101, v109, 1.0
	s_delay_alu instid0(VALU_DEP_1) | instskip(SKIP_1) | instid1(VALU_DEP_1)
	v_fmac_f32_e32 v109, v110, v109
	v_div_scale_f32 v110, vcc_lo, 1.0, v100, 1.0
	v_mul_f32_e32 v111, v110, v109
	s_delay_alu instid0(VALU_DEP_1) | instskip(NEXT) | instid1(VALU_DEP_1)
	v_fma_f32 v112, -v101, v111, v110
	v_fmac_f32_e32 v111, v112, v109
	s_delay_alu instid0(VALU_DEP_1) | instskip(NEXT) | instid1(VALU_DEP_1)
	v_fma_f32 v101, -v101, v111, v110
	v_div_fmas_f32 v101, v101, v109, v111
	s_delay_alu instid0(VALU_DEP_1) | instskip(NEXT) | instid1(VALU_DEP_1)
	v_div_fixup_f32 v100, v101, v100, 1.0
	v_mul_f32_e64 v101, v103, -v100
.LBB92_849:
	s_or_b32 exec_lo, exec_lo, s1
.LBB92_850:
	s_delay_alu instid0(SALU_CYCLE_1) | instskip(NEXT) | instid1(SALU_CYCLE_1)
	s_or_b32 exec_lo, exec_lo, s0
	s_mov_b32 s0, exec_lo
	v_cmpx_ne_u32_e64 v108, v102
	s_xor_b32 s0, exec_lo, s0
	s_cbranch_execz .LBB92_856
; %bb.851:
	s_mov_b32 s1, exec_lo
	v_cmpx_eq_u32_e32 40, v108
	s_cbranch_execz .LBB92_855
; %bb.852:
	v_cmp_ne_u32_e32 vcc_lo, 40, v102
	s_xor_b32 s12, s16, -1
	s_delay_alu instid0(SALU_CYCLE_1) | instskip(NEXT) | instid1(SALU_CYCLE_1)
	s_and_b32 s13, s12, vcc_lo
	s_and_saveexec_b32 s12, s13
	s_cbranch_execz .LBB92_854
; %bb.853:
	v_ashrrev_i32_e32 v103, 31, v102
	s_delay_alu instid0(VALU_DEP_1)
	v_lshl_add_u64 v[108:109], v[102:103], 2, v[4:5]
	s_clause 0x1
	global_load_b32 v103, v[108:109], off
	global_load_b32 v107, v[4:5], off offset:160
	s_wait_loadcnt 0x1
	global_store_b32 v[4:5], v103, off offset:160
	s_wait_loadcnt 0x0
	global_store_b32 v[108:109], v107, off
.LBB92_854:
	s_wait_xcnt 0x0
	s_or_b32 exec_lo, exec_lo, s12
	v_dual_mov_b32 v108, v102 :: v_dual_mov_b32 v107, v102
.LBB92_855:
	s_or_b32 exec_lo, exec_lo, s1
.LBB92_856:
	s_and_not1_saveexec_b32 s0, s0
	s_cbranch_execz .LBB92_858
; %bb.857:
	v_mov_b32_e32 v108, 40
	ds_store_2addr_b64 v104, v[50:51], v[8:9] offset0:41 offset1:42
	ds_store_2addr_b64 v104, v[40:41], v[30:31] offset0:43 offset1:44
	;; [unrolled: 1-line block ×3, first 2 shown]
.LBB92_858:
	s_or_b32 exec_lo, exec_lo, s0
	s_delay_alu instid0(SALU_CYCLE_1)
	s_mov_b32 s0, exec_lo
	s_wait_storecnt_dscnt 0x0
	s_barrier_signal -1
	s_barrier_wait -1
	v_cmpx_lt_i32_e32 40, v108
	s_cbranch_execz .LBB92_860
; %bb.859:
	v_pk_mul_f32 v[102:103], v[100:101], v[52:53] op_sel:[1,1] op_sel_hi:[0,1]
	s_delay_alu instid0(VALU_DEP_1)
	v_pk_fma_f32 v[110:111], v[100:101], v[52:53], v[102:103] op_sel_hi:[1,0,1] neg_lo:[0,0,1] neg_hi:[0,0,1]
	v_pk_fma_f32 v[112:113], v[100:101], v[52:53], v[102:103] op_sel_hi:[1,0,1]
	ds_load_2addr_b64 v[100:103], v104 offset0:41 offset1:42
	v_dual_mov_b32 v52, v110 :: v_dual_mov_b32 v53, v113
	s_wait_dscnt 0x0
	v_pk_mul_f32 v[114:115], v[100:101], v[112:113] op_sel:[0,1]
	s_delay_alu instid0(VALU_DEP_1) | instskip(SKIP_1) | instid1(VALU_DEP_1)
	v_pk_fma_f32 v[116:117], v[100:101], v[110:111], v[114:115] op_sel:[0,0,1] op_sel_hi:[1,1,0] neg_lo:[0,0,1] neg_hi:[0,0,1]
	v_pk_fma_f32 v[100:101], v[100:101], v[110:111], v[114:115] op_sel:[0,0,1] op_sel_hi:[1,0,0]
	v_mov_b32_e32 v117, v101
	v_pk_mul_f32 v[100:101], v[102:103], v[112:113] op_sel:[0,1]
	s_delay_alu instid0(VALU_DEP_1) | instskip(SKIP_1) | instid1(VALU_DEP_1)
	v_pk_fma_f32 v[114:115], v[102:103], v[110:111], v[100:101] op_sel:[0,0,1] op_sel_hi:[1,1,0] neg_lo:[0,0,1] neg_hi:[0,0,1]
	v_pk_fma_f32 v[100:101], v[102:103], v[110:111], v[100:101] op_sel:[0,0,1] op_sel_hi:[1,0,0]
	v_mov_b32_e32 v115, v101
	ds_load_2addr_b64 v[100:103], v104 offset0:43 offset1:44
	v_pk_add_f32 v[50:51], v[50:51], v[116:117] neg_lo:[0,1] neg_hi:[0,1]
	v_pk_add_f32 v[8:9], v[8:9], v[114:115] neg_lo:[0,1] neg_hi:[0,1]
	s_wait_dscnt 0x0
	v_pk_mul_f32 v[114:115], v[100:101], v[112:113] op_sel:[0,1]
	s_delay_alu instid0(VALU_DEP_1) | instskip(SKIP_2) | instid1(VALU_DEP_2)
	v_pk_fma_f32 v[116:117], v[100:101], v[110:111], v[114:115] op_sel:[0,0,1] op_sel_hi:[1,1,0] neg_lo:[0,0,1] neg_hi:[0,0,1]
	v_pk_fma_f32 v[100:101], v[100:101], v[110:111], v[114:115] op_sel:[0,0,1] op_sel_hi:[1,0,0]
	v_dual_mul_f32 v114, v103, v113 :: v_dual_mov_b32 v100, v103
	v_dual_mov_b32 v117, v101 :: v_dual_mov_b32 v101, v102
	s_delay_alu instid0(VALU_DEP_2) | instskip(SKIP_1) | instid1(VALU_DEP_3)
	v_pk_fma_f32 v[114:115], v[102:103], v[52:53], v[114:115] op_sel_hi:[1,1,0] neg_lo:[0,0,1] neg_hi:[0,0,1]
	v_mul_f32_e32 v102, v103, v110
	v_pk_add_f32 v[40:41], v[40:41], v[116:117] neg_lo:[0,1] neg_hi:[0,1]
	s_delay_alu instid0(VALU_DEP_2) | instskip(NEXT) | instid1(VALU_DEP_1)
	v_pk_fma_f32 v[100:101], v[100:101], v[52:53], v[102:103] op_sel_hi:[1,1,0]
	v_mov_b32_e32 v115, v101
	ds_load_2addr_b64 v[100:103], v104 offset0:45 offset1:46
	v_pk_add_f32 v[30:31], v[30:31], v[114:115] neg_lo:[0,1] neg_hi:[0,1]
	s_wait_dscnt 0x0
	v_pk_mul_f32 v[114:115], v[100:101], v[112:113] op_sel:[0,1]
	v_mul_f32_e32 v112, v103, v113
	s_delay_alu instid0(VALU_DEP_2) | instskip(SKIP_2) | instid1(VALU_DEP_4)
	v_pk_fma_f32 v[116:117], v[100:101], v[110:111], v[114:115] op_sel:[0,0,1] op_sel_hi:[1,1,0] neg_lo:[0,0,1] neg_hi:[0,0,1]
	v_pk_fma_f32 v[100:101], v[100:101], v[110:111], v[114:115] op_sel:[0,0,1] op_sel_hi:[1,0,0]
	v_mov_b32_e32 v100, v103
	v_pk_fma_f32 v[112:113], v[102:103], v[52:53], v[112:113] op_sel_hi:[1,1,0] neg_lo:[0,0,1] neg_hi:[0,0,1]
	s_delay_alu instid0(VALU_DEP_3) | instskip(SKIP_1) | instid1(VALU_DEP_2)
	v_dual_mov_b32 v117, v101 :: v_dual_mov_b32 v101, v102
	v_mul_f32_e32 v102, v103, v110
	v_pk_add_f32 v[12:13], v[12:13], v[116:117] neg_lo:[0,1] neg_hi:[0,1]
	s_delay_alu instid0(VALU_DEP_2) | instskip(NEXT) | instid1(VALU_DEP_1)
	v_pk_fma_f32 v[100:101], v[100:101], v[52:53], v[102:103] op_sel_hi:[1,1,0]
	v_mov_b32_e32 v113, v101
	s_delay_alu instid0(VALU_DEP_1)
	v_pk_add_f32 v[98:99], v[98:99], v[112:113] neg_lo:[0,1] neg_hi:[0,1]
.LBB92_860:
	s_or_b32 exec_lo, exec_lo, s0
	v_lshl_add_u32 v100, v108, 3, v104
	s_barrier_signal -1
	s_barrier_wait -1
	ds_store_b64 v100, v[50:51]
	s_wait_dscnt 0x0
	s_barrier_signal -1
	s_barrier_wait -1
	ds_load_b64 v[100:101], v104 offset:328
	v_mov_b32_e32 v102, 41
	s_cmp_lt_i32 s18, 43
	s_cbranch_scc1 .LBB92_863
; %bb.861:
	v_add3_u32 v103, v105, 0, 0x150
	v_mov_b32_e32 v102, 41
	s_mov_b32 s0, 42
.LBB92_862:                             ; =>This Inner Loop Header: Depth=1
	ds_load_b64 v[110:111], v103
	s_wait_dscnt 0x1
	v_cmp_gt_f32_e32 vcc_lo, 0, v100
	v_cndmask_b32_e64 v112, v100, -v100, vcc_lo
	v_cmp_gt_f32_e32 vcc_lo, 0, v101
	v_cndmask_b32_e64 v114, v101, -v101, vcc_lo
	s_wait_dscnt 0x0
	v_cmp_gt_f32_e32 vcc_lo, 0, v110
	v_cndmask_b32_e64 v113, v110, -v110, vcc_lo
	v_cmp_gt_f32_e32 vcc_lo, 0, v111
	v_cndmask_b32_e64 v115, v111, -v111, vcc_lo
	s_delay_alu instid0(VALU_DEP_1) | instskip(NEXT) | instid1(VALU_DEP_1)
	v_pk_add_f32 v[112:113], v[112:113], v[114:115]
	v_cmp_lt_f32_e32 vcc_lo, v112, v113
	v_dual_cndmask_b32 v100, v100, v110 :: v_dual_add_nc_u32 v103, 8, v103
	v_cndmask_b32_e32 v101, v101, v111, vcc_lo
	v_cndmask_b32_e64 v102, v102, s0, vcc_lo
	s_add_co_i32 s0, s0, 1
	s_delay_alu instid0(SALU_CYCLE_1)
	s_cmp_lg_u32 s18, s0
	s_cbranch_scc1 .LBB92_862
.LBB92_863:
	s_wait_dscnt 0x0
	v_cmp_eq_f32_e32 vcc_lo, 0, v100
	v_cmp_eq_f32_e64 s0, 0, v101
	s_and_b32 s0, vcc_lo, s0
	s_delay_alu instid0(SALU_CYCLE_1) | instskip(NEXT) | instid1(SALU_CYCLE_1)
	s_and_saveexec_b32 s1, s0
	s_xor_b32 s0, exec_lo, s1
; %bb.864:
	v_cmp_ne_u32_e32 vcc_lo, 0, v106
	v_cndmask_b32_e32 v106, 42, v106, vcc_lo
; %bb.865:
	s_and_not1_saveexec_b32 s0, s0
	s_cbranch_execz .LBB92_871
; %bb.866:
	v_cmp_ngt_f32_e64 s1, |v100|, |v101|
	s_and_saveexec_b32 s12, s1
	s_delay_alu instid0(SALU_CYCLE_1)
	s_xor_b32 s1, exec_lo, s12
	s_cbranch_execz .LBB92_868
; %bb.867:
	v_div_scale_f32 v103, null, v101, v101, v100
	v_div_scale_f32 v111, vcc_lo, v100, v101, v100
	s_delay_alu instid0(VALU_DEP_2) | instskip(SKIP_1) | instid1(TRANS32_DEP_1)
	v_rcp_f32_e32 v109, v103
	v_nop
	v_fma_f32 v110, -v103, v109, 1.0
	s_delay_alu instid0(VALU_DEP_1) | instskip(NEXT) | instid1(VALU_DEP_1)
	v_fmac_f32_e32 v109, v110, v109
	v_mul_f32_e32 v110, v111, v109
	s_delay_alu instid0(VALU_DEP_1) | instskip(NEXT) | instid1(VALU_DEP_1)
	v_fma_f32 v112, -v103, v110, v111
	v_fmac_f32_e32 v110, v112, v109
	s_delay_alu instid0(VALU_DEP_1) | instskip(NEXT) | instid1(VALU_DEP_1)
	v_fma_f32 v103, -v103, v110, v111
	v_div_fmas_f32 v103, v103, v109, v110
	s_delay_alu instid0(VALU_DEP_1) | instskip(NEXT) | instid1(VALU_DEP_1)
	v_div_fixup_f32 v103, v103, v101, v100
	v_fmac_f32_e32 v101, v100, v103
	s_delay_alu instid0(VALU_DEP_1) | instskip(SKIP_1) | instid1(VALU_DEP_2)
	v_div_scale_f32 v100, null, v101, v101, 1.0
	v_div_scale_f32 v111, vcc_lo, 1.0, v101, 1.0
	v_rcp_f32_e32 v109, v100
	v_nop
	s_delay_alu instid0(TRANS32_DEP_1) | instskip(NEXT) | instid1(VALU_DEP_1)
	v_fma_f32 v110, -v100, v109, 1.0
	v_fmac_f32_e32 v109, v110, v109
	s_delay_alu instid0(VALU_DEP_1) | instskip(NEXT) | instid1(VALU_DEP_1)
	v_mul_f32_e32 v110, v111, v109
	v_fma_f32 v112, -v100, v110, v111
	s_delay_alu instid0(VALU_DEP_1) | instskip(NEXT) | instid1(VALU_DEP_1)
	v_fmac_f32_e32 v110, v112, v109
	v_fma_f32 v100, -v100, v110, v111
	s_delay_alu instid0(VALU_DEP_1) | instskip(NEXT) | instid1(VALU_DEP_1)
	v_div_fmas_f32 v100, v100, v109, v110
	v_div_fixup_f32 v101, v100, v101, 1.0
	s_delay_alu instid0(VALU_DEP_1)
	v_mul_f32_e32 v100, v103, v101
	v_xor_b32_e32 v101, 0x80000000, v101
.LBB92_868:
	s_and_not1_saveexec_b32 s1, s1
	s_cbranch_execz .LBB92_870
; %bb.869:
	s_delay_alu instid0(VALU_DEP_1) | instskip(SKIP_1) | instid1(VALU_DEP_2)
	v_div_scale_f32 v103, null, v100, v100, v101
	v_div_scale_f32 v111, vcc_lo, v101, v100, v101
	v_rcp_f32_e32 v109, v103
	v_nop
	s_delay_alu instid0(TRANS32_DEP_1) | instskip(NEXT) | instid1(VALU_DEP_1)
	v_fma_f32 v110, -v103, v109, 1.0
	v_fmac_f32_e32 v109, v110, v109
	s_delay_alu instid0(VALU_DEP_1) | instskip(NEXT) | instid1(VALU_DEP_1)
	v_mul_f32_e32 v110, v111, v109
	v_fma_f32 v112, -v103, v110, v111
	s_delay_alu instid0(VALU_DEP_1) | instskip(NEXT) | instid1(VALU_DEP_1)
	v_fmac_f32_e32 v110, v112, v109
	v_fma_f32 v103, -v103, v110, v111
	s_delay_alu instid0(VALU_DEP_1) | instskip(NEXT) | instid1(VALU_DEP_1)
	v_div_fmas_f32 v103, v103, v109, v110
	v_div_fixup_f32 v103, v103, v100, v101
	s_delay_alu instid0(VALU_DEP_1) | instskip(NEXT) | instid1(VALU_DEP_1)
	v_fmac_f32_e32 v100, v101, v103
	v_div_scale_f32 v101, null, v100, v100, 1.0
	s_delay_alu instid0(VALU_DEP_1) | instskip(SKIP_1) | instid1(TRANS32_DEP_1)
	v_rcp_f32_e32 v109, v101
	v_nop
	v_fma_f32 v110, -v101, v109, 1.0
	s_delay_alu instid0(VALU_DEP_1) | instskip(SKIP_1) | instid1(VALU_DEP_1)
	v_fmac_f32_e32 v109, v110, v109
	v_div_scale_f32 v110, vcc_lo, 1.0, v100, 1.0
	v_mul_f32_e32 v111, v110, v109
	s_delay_alu instid0(VALU_DEP_1) | instskip(NEXT) | instid1(VALU_DEP_1)
	v_fma_f32 v112, -v101, v111, v110
	v_fmac_f32_e32 v111, v112, v109
	s_delay_alu instid0(VALU_DEP_1) | instskip(NEXT) | instid1(VALU_DEP_1)
	v_fma_f32 v101, -v101, v111, v110
	v_div_fmas_f32 v101, v101, v109, v111
	s_delay_alu instid0(VALU_DEP_1) | instskip(NEXT) | instid1(VALU_DEP_1)
	v_div_fixup_f32 v100, v101, v100, 1.0
	v_mul_f32_e64 v101, v103, -v100
.LBB92_870:
	s_or_b32 exec_lo, exec_lo, s1
.LBB92_871:
	s_delay_alu instid0(SALU_CYCLE_1) | instskip(NEXT) | instid1(SALU_CYCLE_1)
	s_or_b32 exec_lo, exec_lo, s0
	s_mov_b32 s0, exec_lo
	v_cmpx_ne_u32_e64 v108, v102
	s_xor_b32 s0, exec_lo, s0
	s_cbranch_execz .LBB92_877
; %bb.872:
	s_mov_b32 s1, exec_lo
	v_cmpx_eq_u32_e32 41, v108
	s_cbranch_execz .LBB92_876
; %bb.873:
	v_cmp_ne_u32_e32 vcc_lo, 41, v102
	s_xor_b32 s12, s16, -1
	s_delay_alu instid0(SALU_CYCLE_1) | instskip(NEXT) | instid1(SALU_CYCLE_1)
	s_and_b32 s13, s12, vcc_lo
	s_and_saveexec_b32 s12, s13
	s_cbranch_execz .LBB92_875
; %bb.874:
	v_ashrrev_i32_e32 v103, 31, v102
	s_delay_alu instid0(VALU_DEP_1)
	v_lshl_add_u64 v[108:109], v[102:103], 2, v[4:5]
	s_clause 0x1
	global_load_b32 v103, v[108:109], off
	global_load_b32 v107, v[4:5], off offset:164
	s_wait_loadcnt 0x1
	global_store_b32 v[4:5], v103, off offset:164
	s_wait_loadcnt 0x0
	global_store_b32 v[108:109], v107, off
.LBB92_875:
	s_wait_xcnt 0x0
	s_or_b32 exec_lo, exec_lo, s12
	v_dual_mov_b32 v108, v102 :: v_dual_mov_b32 v107, v102
.LBB92_876:
	s_or_b32 exec_lo, exec_lo, s1
.LBB92_877:
	s_and_not1_saveexec_b32 s0, s0
	s_cbranch_execz .LBB92_879
; %bb.878:
	v_dual_mov_b32 v102, v8 :: v_dual_mov_b32 v103, v9
	v_dual_mov_b32 v110, v40 :: v_dual_mov_b32 v111, v41
	;; [unrolled: 1-line block ×4, first 2 shown]
	v_mov_b32_e32 v115, v13
	ds_store_2addr_b64 v104, v[102:103], v[110:111] offset0:42 offset1:43
	ds_store_2addr_b64 v104, v[112:113], v[114:115] offset0:44 offset1:45
	ds_store_b64 v104, v[98:99] offset:368
.LBB92_879:
	s_or_b32 exec_lo, exec_lo, s0
	s_delay_alu instid0(SALU_CYCLE_1)
	s_mov_b32 s0, exec_lo
	s_wait_storecnt_dscnt 0x0
	s_barrier_signal -1
	s_barrier_wait -1
	v_cmpx_lt_i32_e32 41, v108
	s_cbranch_execz .LBB92_881
; %bb.880:
	v_pk_mul_f32 v[102:103], v[100:101], v[50:51] op_sel:[1,1] op_sel_hi:[0,1]
	s_delay_alu instid0(VALU_DEP_1)
	v_pk_fma_f32 v[110:111], v[100:101], v[50:51], v[102:103] op_sel_hi:[1,0,1] neg_lo:[0,0,1] neg_hi:[0,0,1]
	v_pk_fma_f32 v[112:113], v[100:101], v[50:51], v[102:103] op_sel_hi:[1,0,1]
	ds_load_2addr_b64 v[100:103], v104 offset0:42 offset1:43
	v_dual_mov_b32 v50, v110 :: v_dual_mov_b32 v51, v113
	s_wait_dscnt 0x0
	v_pk_mul_f32 v[114:115], v[100:101], v[112:113] op_sel:[0,1]
	s_delay_alu instid0(VALU_DEP_1) | instskip(SKIP_1) | instid1(VALU_DEP_1)
	v_pk_fma_f32 v[116:117], v[100:101], v[110:111], v[114:115] op_sel:[0,0,1] op_sel_hi:[1,1,0] neg_lo:[0,0,1] neg_hi:[0,0,1]
	v_pk_fma_f32 v[100:101], v[100:101], v[110:111], v[114:115] op_sel:[0,0,1] op_sel_hi:[1,0,0]
	v_mov_b32_e32 v117, v101
	v_pk_mul_f32 v[100:101], v[102:103], v[112:113] op_sel:[0,1]
	s_delay_alu instid0(VALU_DEP_1) | instskip(SKIP_1) | instid1(VALU_DEP_1)
	v_pk_fma_f32 v[114:115], v[102:103], v[110:111], v[100:101] op_sel:[0,0,1] op_sel_hi:[1,1,0] neg_lo:[0,0,1] neg_hi:[0,0,1]
	v_pk_fma_f32 v[100:101], v[102:103], v[110:111], v[100:101] op_sel:[0,0,1] op_sel_hi:[1,0,0]
	v_mov_b32_e32 v115, v101
	ds_load_2addr_b64 v[100:103], v104 offset0:44 offset1:45
	v_pk_add_f32 v[8:9], v[8:9], v[116:117] neg_lo:[0,1] neg_hi:[0,1]
	v_pk_add_f32 v[40:41], v[40:41], v[114:115] neg_lo:[0,1] neg_hi:[0,1]
	s_wait_dscnt 0x0
	v_pk_mul_f32 v[114:115], v[100:101], v[112:113] op_sel:[0,1]
	s_delay_alu instid0(VALU_DEP_1) | instskip(SKIP_2) | instid1(VALU_DEP_2)
	v_pk_fma_f32 v[116:117], v[100:101], v[110:111], v[114:115] op_sel:[0,0,1] op_sel_hi:[1,1,0] neg_lo:[0,0,1] neg_hi:[0,0,1]
	v_pk_fma_f32 v[100:101], v[100:101], v[110:111], v[114:115] op_sel:[0,0,1] op_sel_hi:[1,0,0]
	v_dual_mul_f32 v114, v103, v113 :: v_dual_mov_b32 v100, v103
	v_dual_mov_b32 v117, v101 :: v_dual_mov_b32 v101, v102
	s_delay_alu instid0(VALU_DEP_2) | instskip(SKIP_1) | instid1(VALU_DEP_3)
	v_pk_fma_f32 v[114:115], v[102:103], v[50:51], v[114:115] op_sel_hi:[1,1,0] neg_lo:[0,0,1] neg_hi:[0,0,1]
	v_mul_f32_e32 v102, v103, v110
	v_pk_add_f32 v[30:31], v[30:31], v[116:117] neg_lo:[0,1] neg_hi:[0,1]
	s_delay_alu instid0(VALU_DEP_2) | instskip(NEXT) | instid1(VALU_DEP_1)
	v_pk_fma_f32 v[100:101], v[100:101], v[50:51], v[102:103] op_sel_hi:[1,1,0]
	v_mov_b32_e32 v115, v101
	ds_load_b64 v[100:101], v104 offset:368
	v_pk_add_f32 v[12:13], v[12:13], v[114:115] neg_lo:[0,1] neg_hi:[0,1]
	s_wait_dscnt 0x0
	v_pk_mul_f32 v[102:103], v[100:101], v[112:113] op_sel:[0,1]
	s_delay_alu instid0(VALU_DEP_1) | instskip(SKIP_1) | instid1(VALU_DEP_1)
	v_pk_fma_f32 v[112:113], v[100:101], v[110:111], v[102:103] op_sel:[0,0,1] op_sel_hi:[1,1,0] neg_lo:[0,0,1] neg_hi:[0,0,1]
	v_pk_fma_f32 v[100:101], v[100:101], v[110:111], v[102:103] op_sel:[0,0,1] op_sel_hi:[1,0,0]
	v_mov_b32_e32 v113, v101
	s_delay_alu instid0(VALU_DEP_1)
	v_pk_add_f32 v[98:99], v[98:99], v[112:113] neg_lo:[0,1] neg_hi:[0,1]
.LBB92_881:
	s_or_b32 exec_lo, exec_lo, s0
	v_lshl_add_u32 v100, v108, 3, v104
	s_barrier_signal -1
	s_barrier_wait -1
	ds_store_b64 v100, v[8:9]
	s_wait_dscnt 0x0
	s_barrier_signal -1
	s_barrier_wait -1
	ds_load_b64 v[100:101], v104 offset:336
	v_mov_b32_e32 v102, 42
	s_cmp_lt_i32 s18, 44
	s_cbranch_scc1 .LBB92_884
; %bb.882:
	v_add3_u32 v103, v105, 0, 0x158
	v_mov_b32_e32 v102, 42
	s_mov_b32 s0, 43
.LBB92_883:                             ; =>This Inner Loop Header: Depth=1
	ds_load_b64 v[110:111], v103
	s_wait_dscnt 0x1
	v_cmp_gt_f32_e32 vcc_lo, 0, v100
	v_cndmask_b32_e64 v112, v100, -v100, vcc_lo
	v_cmp_gt_f32_e32 vcc_lo, 0, v101
	v_cndmask_b32_e64 v114, v101, -v101, vcc_lo
	s_wait_dscnt 0x0
	v_cmp_gt_f32_e32 vcc_lo, 0, v110
	v_cndmask_b32_e64 v113, v110, -v110, vcc_lo
	v_cmp_gt_f32_e32 vcc_lo, 0, v111
	v_cndmask_b32_e64 v115, v111, -v111, vcc_lo
	s_delay_alu instid0(VALU_DEP_1) | instskip(NEXT) | instid1(VALU_DEP_1)
	v_pk_add_f32 v[112:113], v[112:113], v[114:115]
	v_cmp_lt_f32_e32 vcc_lo, v112, v113
	v_dual_cndmask_b32 v100, v100, v110 :: v_dual_add_nc_u32 v103, 8, v103
	v_cndmask_b32_e32 v101, v101, v111, vcc_lo
	v_cndmask_b32_e64 v102, v102, s0, vcc_lo
	s_add_co_i32 s0, s0, 1
	s_delay_alu instid0(SALU_CYCLE_1)
	s_cmp_lg_u32 s18, s0
	s_cbranch_scc1 .LBB92_883
.LBB92_884:
	s_wait_dscnt 0x0
	v_cmp_eq_f32_e32 vcc_lo, 0, v100
	v_cmp_eq_f32_e64 s0, 0, v101
	s_and_b32 s0, vcc_lo, s0
	s_delay_alu instid0(SALU_CYCLE_1) | instskip(NEXT) | instid1(SALU_CYCLE_1)
	s_and_saveexec_b32 s1, s0
	s_xor_b32 s0, exec_lo, s1
; %bb.885:
	v_cmp_ne_u32_e32 vcc_lo, 0, v106
	v_cndmask_b32_e32 v106, 43, v106, vcc_lo
; %bb.886:
	s_and_not1_saveexec_b32 s0, s0
	s_cbranch_execz .LBB92_892
; %bb.887:
	v_cmp_ngt_f32_e64 s1, |v100|, |v101|
	s_and_saveexec_b32 s12, s1
	s_delay_alu instid0(SALU_CYCLE_1)
	s_xor_b32 s1, exec_lo, s12
	s_cbranch_execz .LBB92_889
; %bb.888:
	v_div_scale_f32 v103, null, v101, v101, v100
	v_div_scale_f32 v111, vcc_lo, v100, v101, v100
	s_delay_alu instid0(VALU_DEP_2) | instskip(SKIP_1) | instid1(TRANS32_DEP_1)
	v_rcp_f32_e32 v109, v103
	v_nop
	v_fma_f32 v110, -v103, v109, 1.0
	s_delay_alu instid0(VALU_DEP_1) | instskip(NEXT) | instid1(VALU_DEP_1)
	v_fmac_f32_e32 v109, v110, v109
	v_mul_f32_e32 v110, v111, v109
	s_delay_alu instid0(VALU_DEP_1) | instskip(NEXT) | instid1(VALU_DEP_1)
	v_fma_f32 v112, -v103, v110, v111
	v_fmac_f32_e32 v110, v112, v109
	s_delay_alu instid0(VALU_DEP_1) | instskip(NEXT) | instid1(VALU_DEP_1)
	v_fma_f32 v103, -v103, v110, v111
	v_div_fmas_f32 v103, v103, v109, v110
	s_delay_alu instid0(VALU_DEP_1) | instskip(NEXT) | instid1(VALU_DEP_1)
	v_div_fixup_f32 v103, v103, v101, v100
	v_fmac_f32_e32 v101, v100, v103
	s_delay_alu instid0(VALU_DEP_1) | instskip(SKIP_1) | instid1(VALU_DEP_2)
	v_div_scale_f32 v100, null, v101, v101, 1.0
	v_div_scale_f32 v111, vcc_lo, 1.0, v101, 1.0
	v_rcp_f32_e32 v109, v100
	v_nop
	s_delay_alu instid0(TRANS32_DEP_1) | instskip(NEXT) | instid1(VALU_DEP_1)
	v_fma_f32 v110, -v100, v109, 1.0
	v_fmac_f32_e32 v109, v110, v109
	s_delay_alu instid0(VALU_DEP_1) | instskip(NEXT) | instid1(VALU_DEP_1)
	v_mul_f32_e32 v110, v111, v109
	v_fma_f32 v112, -v100, v110, v111
	s_delay_alu instid0(VALU_DEP_1) | instskip(NEXT) | instid1(VALU_DEP_1)
	v_fmac_f32_e32 v110, v112, v109
	v_fma_f32 v100, -v100, v110, v111
	s_delay_alu instid0(VALU_DEP_1) | instskip(NEXT) | instid1(VALU_DEP_1)
	v_div_fmas_f32 v100, v100, v109, v110
	v_div_fixup_f32 v101, v100, v101, 1.0
	s_delay_alu instid0(VALU_DEP_1)
	v_mul_f32_e32 v100, v103, v101
	v_xor_b32_e32 v101, 0x80000000, v101
.LBB92_889:
	s_and_not1_saveexec_b32 s1, s1
	s_cbranch_execz .LBB92_891
; %bb.890:
	s_delay_alu instid0(VALU_DEP_1) | instskip(SKIP_1) | instid1(VALU_DEP_2)
	v_div_scale_f32 v103, null, v100, v100, v101
	v_div_scale_f32 v111, vcc_lo, v101, v100, v101
	v_rcp_f32_e32 v109, v103
	v_nop
	s_delay_alu instid0(TRANS32_DEP_1) | instskip(NEXT) | instid1(VALU_DEP_1)
	v_fma_f32 v110, -v103, v109, 1.0
	v_fmac_f32_e32 v109, v110, v109
	s_delay_alu instid0(VALU_DEP_1) | instskip(NEXT) | instid1(VALU_DEP_1)
	v_mul_f32_e32 v110, v111, v109
	v_fma_f32 v112, -v103, v110, v111
	s_delay_alu instid0(VALU_DEP_1) | instskip(NEXT) | instid1(VALU_DEP_1)
	v_fmac_f32_e32 v110, v112, v109
	v_fma_f32 v103, -v103, v110, v111
	s_delay_alu instid0(VALU_DEP_1) | instskip(NEXT) | instid1(VALU_DEP_1)
	v_div_fmas_f32 v103, v103, v109, v110
	v_div_fixup_f32 v103, v103, v100, v101
	s_delay_alu instid0(VALU_DEP_1) | instskip(NEXT) | instid1(VALU_DEP_1)
	v_fmac_f32_e32 v100, v101, v103
	v_div_scale_f32 v101, null, v100, v100, 1.0
	s_delay_alu instid0(VALU_DEP_1) | instskip(SKIP_1) | instid1(TRANS32_DEP_1)
	v_rcp_f32_e32 v109, v101
	v_nop
	v_fma_f32 v110, -v101, v109, 1.0
	s_delay_alu instid0(VALU_DEP_1) | instskip(SKIP_1) | instid1(VALU_DEP_1)
	v_fmac_f32_e32 v109, v110, v109
	v_div_scale_f32 v110, vcc_lo, 1.0, v100, 1.0
	v_mul_f32_e32 v111, v110, v109
	s_delay_alu instid0(VALU_DEP_1) | instskip(NEXT) | instid1(VALU_DEP_1)
	v_fma_f32 v112, -v101, v111, v110
	v_fmac_f32_e32 v111, v112, v109
	s_delay_alu instid0(VALU_DEP_1) | instskip(NEXT) | instid1(VALU_DEP_1)
	v_fma_f32 v101, -v101, v111, v110
	v_div_fmas_f32 v101, v101, v109, v111
	s_delay_alu instid0(VALU_DEP_1) | instskip(NEXT) | instid1(VALU_DEP_1)
	v_div_fixup_f32 v100, v101, v100, 1.0
	v_mul_f32_e64 v101, v103, -v100
.LBB92_891:
	s_or_b32 exec_lo, exec_lo, s1
.LBB92_892:
	s_delay_alu instid0(SALU_CYCLE_1) | instskip(NEXT) | instid1(SALU_CYCLE_1)
	s_or_b32 exec_lo, exec_lo, s0
	s_mov_b32 s0, exec_lo
	v_cmpx_ne_u32_e64 v108, v102
	s_xor_b32 s0, exec_lo, s0
	s_cbranch_execz .LBB92_898
; %bb.893:
	s_mov_b32 s1, exec_lo
	v_cmpx_eq_u32_e32 42, v108
	s_cbranch_execz .LBB92_897
; %bb.894:
	v_cmp_ne_u32_e32 vcc_lo, 42, v102
	s_xor_b32 s12, s16, -1
	s_delay_alu instid0(SALU_CYCLE_1) | instskip(NEXT) | instid1(SALU_CYCLE_1)
	s_and_b32 s13, s12, vcc_lo
	s_and_saveexec_b32 s12, s13
	s_cbranch_execz .LBB92_896
; %bb.895:
	v_ashrrev_i32_e32 v103, 31, v102
	s_delay_alu instid0(VALU_DEP_1)
	v_lshl_add_u64 v[108:109], v[102:103], 2, v[4:5]
	s_clause 0x1
	global_load_b32 v103, v[108:109], off
	global_load_b32 v107, v[4:5], off offset:168
	s_wait_loadcnt 0x1
	global_store_b32 v[4:5], v103, off offset:168
	s_wait_loadcnt 0x0
	global_store_b32 v[108:109], v107, off
.LBB92_896:
	s_wait_xcnt 0x0
	s_or_b32 exec_lo, exec_lo, s12
	v_dual_mov_b32 v108, v102 :: v_dual_mov_b32 v107, v102
.LBB92_897:
	s_or_b32 exec_lo, exec_lo, s1
.LBB92_898:
	s_and_not1_saveexec_b32 s0, s0
	s_cbranch_execz .LBB92_900
; %bb.899:
	v_mov_b32_e32 v108, 42
	ds_store_2addr_b64 v104, v[40:41], v[30:31] offset0:43 offset1:44
	ds_store_2addr_b64 v104, v[12:13], v[98:99] offset0:45 offset1:46
.LBB92_900:
	s_or_b32 exec_lo, exec_lo, s0
	s_delay_alu instid0(SALU_CYCLE_1)
	s_mov_b32 s0, exec_lo
	s_wait_storecnt_dscnt 0x0
	s_barrier_signal -1
	s_barrier_wait -1
	v_cmpx_lt_i32_e32 42, v108
	s_cbranch_execz .LBB92_902
; %bb.901:
	ds_load_2addr_b64 v[110:113], v104 offset0:43 offset1:44
	ds_load_2addr_b64 v[114:117], v104 offset0:45 offset1:46
	v_pk_mul_f32 v[102:103], v[100:101], v[8:9] op_sel:[1,1] op_sel_hi:[0,1]
	s_delay_alu instid0(VALU_DEP_1) | instskip(SKIP_1) | instid1(VALU_DEP_1)
	v_pk_fma_f32 v[118:119], v[100:101], v[8:9], v[102:103] op_sel_hi:[1,0,1] neg_lo:[0,0,1] neg_hi:[0,0,1]
	v_pk_fma_f32 v[100:101], v[100:101], v[8:9], v[102:103] op_sel_hi:[1,0,1]
	v_dual_mov_b32 v8, v118 :: v_dual_mov_b32 v9, v101
	s_wait_dscnt 0x1
	s_delay_alu instid0(VALU_DEP_2)
	v_pk_mul_f32 v[102:103], v[110:111], v[100:101] op_sel:[0,1]
	s_wait_dscnt 0x0
	v_mov_b32_e32 v120, v117
	v_pk_mul_f32 v[122:123], v[112:113], v[100:101] op_sel:[0,1]
	v_pk_mul_f32 v[124:125], v[114:115], v[100:101] op_sel:[0,1]
	v_pk_fma_f32 v[126:127], v[110:111], v[118:119], v[102:103] op_sel:[0,0,1] op_sel_hi:[1,1,0] neg_lo:[0,0,1] neg_hi:[0,0,1]
	v_pk_fma_f32 v[102:103], v[110:111], v[118:119], v[102:103] op_sel:[0,0,1] op_sel_hi:[1,0,0]
	s_delay_alu instid0(VALU_DEP_1) | instskip(NEXT) | instid1(VALU_DEP_1)
	v_dual_mov_b32 v121, v116 :: v_dual_mov_b32 v127, v103
	v_pk_mul_f32 v[110:111], v[120:121], v[100:101] op_sel:[0,1]
	v_pk_fma_f32 v[120:121], v[112:113], v[118:119], v[122:123] op_sel:[0,0,1] op_sel_hi:[1,0,0]
	v_pk_fma_f32 v[112:113], v[112:113], v[118:119], v[122:123] op_sel:[0,0,1] op_sel_hi:[1,1,0] neg_lo:[0,0,1] neg_hi:[0,0,1]
	v_pk_fma_f32 v[122:123], v[114:115], v[118:119], v[124:125] op_sel:[0,0,1] op_sel_hi:[1,0,0]
	v_pk_fma_f32 v[114:115], v[114:115], v[118:119], v[124:125] op_sel:[0,0,1] op_sel_hi:[1,1,0] neg_lo:[0,0,1] neg_hi:[0,0,1]
	v_pk_fma_f32 v[102:103], v[116:117], v[118:119], v[110:111] op_sel_hi:[1,0,1]
	v_pk_fma_f32 v[110:111], v[116:117], v[118:119], v[110:111] neg_lo:[0,0,1] neg_hi:[0,0,1]
	s_delay_alu instid0(VALU_DEP_4) | instskip(SKIP_1) | instid1(VALU_DEP_4)
	v_dual_mov_b32 v113, v121 :: v_dual_mov_b32 v115, v123
	v_pk_add_f32 v[40:41], v[40:41], v[126:127] neg_lo:[0,1] neg_hi:[0,1]
	v_mov_b32_e32 v111, v103
	s_delay_alu instid0(VALU_DEP_3) | instskip(NEXT) | instid1(VALU_DEP_4)
	v_pk_add_f32 v[30:31], v[30:31], v[112:113] neg_lo:[0,1] neg_hi:[0,1]
	v_pk_add_f32 v[12:13], v[12:13], v[114:115] neg_lo:[0,1] neg_hi:[0,1]
	s_delay_alu instid0(VALU_DEP_3)
	v_pk_add_f32 v[98:99], v[98:99], v[110:111] neg_lo:[0,1] neg_hi:[0,1]
.LBB92_902:
	s_or_b32 exec_lo, exec_lo, s0
	v_lshl_add_u32 v100, v108, 3, v104
	s_barrier_signal -1
	s_barrier_wait -1
	ds_store_b64 v100, v[40:41]
	s_wait_dscnt 0x0
	s_barrier_signal -1
	s_barrier_wait -1
	ds_load_b64 v[100:101], v104 offset:344
	v_mov_b32_e32 v102, 43
	s_cmp_lt_i32 s18, 45
	s_cbranch_scc1 .LBB92_905
; %bb.903:
	v_add3_u32 v103, v105, 0, 0x160
	v_mov_b32_e32 v102, 43
	s_mov_b32 s0, 44
.LBB92_904:                             ; =>This Inner Loop Header: Depth=1
	ds_load_b64 v[110:111], v103
	s_wait_dscnt 0x1
	v_cmp_gt_f32_e32 vcc_lo, 0, v100
	v_cndmask_b32_e64 v112, v100, -v100, vcc_lo
	v_cmp_gt_f32_e32 vcc_lo, 0, v101
	v_cndmask_b32_e64 v114, v101, -v101, vcc_lo
	s_wait_dscnt 0x0
	v_cmp_gt_f32_e32 vcc_lo, 0, v110
	v_cndmask_b32_e64 v113, v110, -v110, vcc_lo
	v_cmp_gt_f32_e32 vcc_lo, 0, v111
	v_cndmask_b32_e64 v115, v111, -v111, vcc_lo
	s_delay_alu instid0(VALU_DEP_1) | instskip(NEXT) | instid1(VALU_DEP_1)
	v_pk_add_f32 v[112:113], v[112:113], v[114:115]
	v_cmp_lt_f32_e32 vcc_lo, v112, v113
	v_dual_cndmask_b32 v100, v100, v110 :: v_dual_add_nc_u32 v103, 8, v103
	v_cndmask_b32_e32 v101, v101, v111, vcc_lo
	v_cndmask_b32_e64 v102, v102, s0, vcc_lo
	s_add_co_i32 s0, s0, 1
	s_delay_alu instid0(SALU_CYCLE_1)
	s_cmp_lg_u32 s18, s0
	s_cbranch_scc1 .LBB92_904
.LBB92_905:
	s_wait_dscnt 0x0
	v_cmp_eq_f32_e32 vcc_lo, 0, v100
	v_cmp_eq_f32_e64 s0, 0, v101
	s_and_b32 s0, vcc_lo, s0
	s_delay_alu instid0(SALU_CYCLE_1) | instskip(NEXT) | instid1(SALU_CYCLE_1)
	s_and_saveexec_b32 s1, s0
	s_xor_b32 s0, exec_lo, s1
; %bb.906:
	v_cmp_ne_u32_e32 vcc_lo, 0, v106
	v_cndmask_b32_e32 v106, 44, v106, vcc_lo
; %bb.907:
	s_and_not1_saveexec_b32 s0, s0
	s_cbranch_execz .LBB92_913
; %bb.908:
	v_cmp_ngt_f32_e64 s1, |v100|, |v101|
	s_and_saveexec_b32 s12, s1
	s_delay_alu instid0(SALU_CYCLE_1)
	s_xor_b32 s1, exec_lo, s12
	s_cbranch_execz .LBB92_910
; %bb.909:
	v_div_scale_f32 v103, null, v101, v101, v100
	v_div_scale_f32 v111, vcc_lo, v100, v101, v100
	s_delay_alu instid0(VALU_DEP_2) | instskip(SKIP_1) | instid1(TRANS32_DEP_1)
	v_rcp_f32_e32 v109, v103
	v_nop
	v_fma_f32 v110, -v103, v109, 1.0
	s_delay_alu instid0(VALU_DEP_1) | instskip(NEXT) | instid1(VALU_DEP_1)
	v_fmac_f32_e32 v109, v110, v109
	v_mul_f32_e32 v110, v111, v109
	s_delay_alu instid0(VALU_DEP_1) | instskip(NEXT) | instid1(VALU_DEP_1)
	v_fma_f32 v112, -v103, v110, v111
	v_fmac_f32_e32 v110, v112, v109
	s_delay_alu instid0(VALU_DEP_1) | instskip(NEXT) | instid1(VALU_DEP_1)
	v_fma_f32 v103, -v103, v110, v111
	v_div_fmas_f32 v103, v103, v109, v110
	s_delay_alu instid0(VALU_DEP_1) | instskip(NEXT) | instid1(VALU_DEP_1)
	v_div_fixup_f32 v103, v103, v101, v100
	v_fmac_f32_e32 v101, v100, v103
	s_delay_alu instid0(VALU_DEP_1) | instskip(SKIP_1) | instid1(VALU_DEP_2)
	v_div_scale_f32 v100, null, v101, v101, 1.0
	v_div_scale_f32 v111, vcc_lo, 1.0, v101, 1.0
	v_rcp_f32_e32 v109, v100
	v_nop
	s_delay_alu instid0(TRANS32_DEP_1) | instskip(NEXT) | instid1(VALU_DEP_1)
	v_fma_f32 v110, -v100, v109, 1.0
	v_fmac_f32_e32 v109, v110, v109
	s_delay_alu instid0(VALU_DEP_1) | instskip(NEXT) | instid1(VALU_DEP_1)
	v_mul_f32_e32 v110, v111, v109
	v_fma_f32 v112, -v100, v110, v111
	s_delay_alu instid0(VALU_DEP_1) | instskip(NEXT) | instid1(VALU_DEP_1)
	v_fmac_f32_e32 v110, v112, v109
	v_fma_f32 v100, -v100, v110, v111
	s_delay_alu instid0(VALU_DEP_1) | instskip(NEXT) | instid1(VALU_DEP_1)
	v_div_fmas_f32 v100, v100, v109, v110
	v_div_fixup_f32 v101, v100, v101, 1.0
	s_delay_alu instid0(VALU_DEP_1)
	v_mul_f32_e32 v100, v103, v101
	v_xor_b32_e32 v101, 0x80000000, v101
.LBB92_910:
	s_and_not1_saveexec_b32 s1, s1
	s_cbranch_execz .LBB92_912
; %bb.911:
	s_delay_alu instid0(VALU_DEP_1) | instskip(SKIP_1) | instid1(VALU_DEP_2)
	v_div_scale_f32 v103, null, v100, v100, v101
	v_div_scale_f32 v111, vcc_lo, v101, v100, v101
	v_rcp_f32_e32 v109, v103
	v_nop
	s_delay_alu instid0(TRANS32_DEP_1) | instskip(NEXT) | instid1(VALU_DEP_1)
	v_fma_f32 v110, -v103, v109, 1.0
	v_fmac_f32_e32 v109, v110, v109
	s_delay_alu instid0(VALU_DEP_1) | instskip(NEXT) | instid1(VALU_DEP_1)
	v_mul_f32_e32 v110, v111, v109
	v_fma_f32 v112, -v103, v110, v111
	s_delay_alu instid0(VALU_DEP_1) | instskip(NEXT) | instid1(VALU_DEP_1)
	v_fmac_f32_e32 v110, v112, v109
	v_fma_f32 v103, -v103, v110, v111
	s_delay_alu instid0(VALU_DEP_1) | instskip(NEXT) | instid1(VALU_DEP_1)
	v_div_fmas_f32 v103, v103, v109, v110
	v_div_fixup_f32 v103, v103, v100, v101
	s_delay_alu instid0(VALU_DEP_1) | instskip(NEXT) | instid1(VALU_DEP_1)
	v_fmac_f32_e32 v100, v101, v103
	v_div_scale_f32 v101, null, v100, v100, 1.0
	s_delay_alu instid0(VALU_DEP_1) | instskip(SKIP_1) | instid1(TRANS32_DEP_1)
	v_rcp_f32_e32 v109, v101
	v_nop
	v_fma_f32 v110, -v101, v109, 1.0
	s_delay_alu instid0(VALU_DEP_1) | instskip(SKIP_1) | instid1(VALU_DEP_1)
	v_fmac_f32_e32 v109, v110, v109
	v_div_scale_f32 v110, vcc_lo, 1.0, v100, 1.0
	v_mul_f32_e32 v111, v110, v109
	s_delay_alu instid0(VALU_DEP_1) | instskip(NEXT) | instid1(VALU_DEP_1)
	v_fma_f32 v112, -v101, v111, v110
	v_fmac_f32_e32 v111, v112, v109
	s_delay_alu instid0(VALU_DEP_1) | instskip(NEXT) | instid1(VALU_DEP_1)
	v_fma_f32 v101, -v101, v111, v110
	v_div_fmas_f32 v101, v101, v109, v111
	s_delay_alu instid0(VALU_DEP_1) | instskip(NEXT) | instid1(VALU_DEP_1)
	v_div_fixup_f32 v100, v101, v100, 1.0
	v_mul_f32_e64 v101, v103, -v100
.LBB92_912:
	s_or_b32 exec_lo, exec_lo, s1
.LBB92_913:
	s_delay_alu instid0(SALU_CYCLE_1) | instskip(NEXT) | instid1(SALU_CYCLE_1)
	s_or_b32 exec_lo, exec_lo, s0
	s_mov_b32 s0, exec_lo
	v_cmpx_ne_u32_e64 v108, v102
	s_xor_b32 s0, exec_lo, s0
	s_cbranch_execz .LBB92_919
; %bb.914:
	s_mov_b32 s1, exec_lo
	v_cmpx_eq_u32_e32 43, v108
	s_cbranch_execz .LBB92_918
; %bb.915:
	v_cmp_ne_u32_e32 vcc_lo, 43, v102
	s_xor_b32 s12, s16, -1
	s_delay_alu instid0(SALU_CYCLE_1) | instskip(NEXT) | instid1(SALU_CYCLE_1)
	s_and_b32 s13, s12, vcc_lo
	s_and_saveexec_b32 s12, s13
	s_cbranch_execz .LBB92_917
; %bb.916:
	v_ashrrev_i32_e32 v103, 31, v102
	s_delay_alu instid0(VALU_DEP_1)
	v_lshl_add_u64 v[108:109], v[102:103], 2, v[4:5]
	s_clause 0x1
	global_load_b32 v103, v[108:109], off
	global_load_b32 v107, v[4:5], off offset:172
	s_wait_loadcnt 0x1
	global_store_b32 v[4:5], v103, off offset:172
	s_wait_loadcnt 0x0
	global_store_b32 v[108:109], v107, off
.LBB92_917:
	s_wait_xcnt 0x0
	s_or_b32 exec_lo, exec_lo, s12
	v_dual_mov_b32 v108, v102 :: v_dual_mov_b32 v107, v102
.LBB92_918:
	s_or_b32 exec_lo, exec_lo, s1
.LBB92_919:
	s_and_not1_saveexec_b32 s0, s0
	s_cbranch_execz .LBB92_921
; %bb.920:
	v_dual_mov_b32 v102, v30 :: v_dual_mov_b32 v103, v31
	v_dual_mov_b32 v110, v12 :: v_dual_mov_b32 v111, v13
	v_mov_b32_e32 v108, 43
	ds_store_2addr_b64 v104, v[102:103], v[110:111] offset0:44 offset1:45
	ds_store_b64 v104, v[98:99] offset:368
.LBB92_921:
	s_or_b32 exec_lo, exec_lo, s0
	s_delay_alu instid0(SALU_CYCLE_1)
	s_mov_b32 s0, exec_lo
	s_wait_storecnt_dscnt 0x0
	s_barrier_signal -1
	s_barrier_wait -1
	v_cmpx_lt_i32_e32 43, v108
	s_cbranch_execz .LBB92_923
; %bb.922:
	ds_load_2addr_b64 v[110:113], v104 offset0:44 offset1:45
	ds_load_b64 v[102:103], v104 offset:368
	v_pk_mul_f32 v[114:115], v[100:101], v[40:41] op_sel:[1,1] op_sel_hi:[0,1]
	s_delay_alu instid0(VALU_DEP_1) | instskip(SKIP_2) | instid1(VALU_DEP_2)
	v_pk_fma_f32 v[116:117], v[100:101], v[40:41], v[114:115] op_sel_hi:[1,0,1]
	v_pk_fma_f32 v[40:41], v[100:101], v[40:41], v[114:115] op_sel_hi:[1,0,1] neg_lo:[0,0,1] neg_hi:[0,0,1]
	s_wait_dscnt 0x1
	v_pk_mul_f32 v[100:101], v[110:111], v[116:117] op_sel:[0,1]
	v_pk_mul_f32 v[114:115], v[112:113], v[116:117] op_sel:[0,1]
	s_wait_dscnt 0x0
	v_pk_mul_f32 v[118:119], v[102:103], v[116:117] op_sel:[1,1] op_sel_hi:[0,1]
	s_delay_alu instid0(VALU_DEP_3) | instskip(SKIP_2) | instid1(VALU_DEP_4)
	v_pk_fma_f32 v[120:121], v[110:111], v[40:41], v[100:101] op_sel:[0,0,1] op_sel_hi:[1,1,0] neg_lo:[0,0,1] neg_hi:[0,0,1]
	v_pk_fma_f32 v[100:101], v[110:111], v[40:41], v[100:101] op_sel:[0,0,1] op_sel_hi:[1,0,0]
	v_pk_fma_f32 v[110:111], v[112:113], v[40:41], v[114:115] op_sel:[0,0,1] op_sel_hi:[1,0,0]
	v_pk_fma_f32 v[122:123], v[102:103], v[40:41], v[118:119] op_sel_hi:[1,0,1]
	v_pk_fma_f32 v[112:113], v[112:113], v[40:41], v[114:115] op_sel:[0,0,1] op_sel_hi:[1,1,0] neg_lo:[0,0,1] neg_hi:[0,0,1]
	v_pk_fma_f32 v[102:103], v[102:103], v[40:41], v[118:119] neg_lo:[0,0,1] neg_hi:[0,0,1]
	s_delay_alu instid0(VALU_DEP_4) | instskip(NEXT) | instid1(VALU_DEP_4)
	v_dual_mov_b32 v121, v101 :: v_dual_mov_b32 v113, v111
	v_dual_mov_b32 v103, v123 :: v_dual_mov_b32 v41, v117
	s_delay_alu instid0(VALU_DEP_2) | instskip(NEXT) | instid1(VALU_DEP_3)
	v_pk_add_f32 v[30:31], v[30:31], v[120:121] neg_lo:[0,1] neg_hi:[0,1]
	v_pk_add_f32 v[12:13], v[12:13], v[112:113] neg_lo:[0,1] neg_hi:[0,1]
	s_delay_alu instid0(VALU_DEP_3)
	v_pk_add_f32 v[98:99], v[98:99], v[102:103] neg_lo:[0,1] neg_hi:[0,1]
.LBB92_923:
	s_or_b32 exec_lo, exec_lo, s0
	v_lshl_add_u32 v100, v108, 3, v104
	s_barrier_signal -1
	s_barrier_wait -1
	ds_store_b64 v100, v[30:31]
	s_wait_dscnt 0x0
	s_barrier_signal -1
	s_barrier_wait -1
	ds_load_b64 v[100:101], v104 offset:352
	v_mov_b32_e32 v102, 44
	s_cmp_lt_i32 s18, 46
	s_cbranch_scc1 .LBB92_926
; %bb.924:
	v_add3_u32 v103, v105, 0, 0x168
	v_mov_b32_e32 v102, 44
	s_mov_b32 s0, 45
.LBB92_925:                             ; =>This Inner Loop Header: Depth=1
	ds_load_b64 v[110:111], v103
	s_wait_dscnt 0x1
	v_cmp_gt_f32_e32 vcc_lo, 0, v100
	v_cndmask_b32_e64 v112, v100, -v100, vcc_lo
	v_cmp_gt_f32_e32 vcc_lo, 0, v101
	v_cndmask_b32_e64 v114, v101, -v101, vcc_lo
	s_wait_dscnt 0x0
	v_cmp_gt_f32_e32 vcc_lo, 0, v110
	v_cndmask_b32_e64 v113, v110, -v110, vcc_lo
	v_cmp_gt_f32_e32 vcc_lo, 0, v111
	v_cndmask_b32_e64 v115, v111, -v111, vcc_lo
	s_delay_alu instid0(VALU_DEP_1) | instskip(NEXT) | instid1(VALU_DEP_1)
	v_pk_add_f32 v[112:113], v[112:113], v[114:115]
	v_cmp_lt_f32_e32 vcc_lo, v112, v113
	v_dual_cndmask_b32 v100, v100, v110 :: v_dual_add_nc_u32 v103, 8, v103
	v_cndmask_b32_e32 v101, v101, v111, vcc_lo
	v_cndmask_b32_e64 v102, v102, s0, vcc_lo
	s_add_co_i32 s0, s0, 1
	s_delay_alu instid0(SALU_CYCLE_1)
	s_cmp_lg_u32 s18, s0
	s_cbranch_scc1 .LBB92_925
.LBB92_926:
	s_wait_dscnt 0x0
	v_cmp_eq_f32_e32 vcc_lo, 0, v100
	v_cmp_eq_f32_e64 s0, 0, v101
	s_and_b32 s0, vcc_lo, s0
	s_delay_alu instid0(SALU_CYCLE_1) | instskip(NEXT) | instid1(SALU_CYCLE_1)
	s_and_saveexec_b32 s1, s0
	s_xor_b32 s0, exec_lo, s1
; %bb.927:
	v_cmp_ne_u32_e32 vcc_lo, 0, v106
	v_cndmask_b32_e32 v106, 45, v106, vcc_lo
; %bb.928:
	s_and_not1_saveexec_b32 s0, s0
	s_cbranch_execz .LBB92_934
; %bb.929:
	v_cmp_ngt_f32_e64 s1, |v100|, |v101|
	s_and_saveexec_b32 s12, s1
	s_delay_alu instid0(SALU_CYCLE_1)
	s_xor_b32 s1, exec_lo, s12
	s_cbranch_execz .LBB92_931
; %bb.930:
	v_div_scale_f32 v103, null, v101, v101, v100
	v_div_scale_f32 v111, vcc_lo, v100, v101, v100
	s_delay_alu instid0(VALU_DEP_2) | instskip(SKIP_1) | instid1(TRANS32_DEP_1)
	v_rcp_f32_e32 v109, v103
	v_nop
	v_fma_f32 v110, -v103, v109, 1.0
	s_delay_alu instid0(VALU_DEP_1) | instskip(NEXT) | instid1(VALU_DEP_1)
	v_fmac_f32_e32 v109, v110, v109
	v_mul_f32_e32 v110, v111, v109
	s_delay_alu instid0(VALU_DEP_1) | instskip(NEXT) | instid1(VALU_DEP_1)
	v_fma_f32 v112, -v103, v110, v111
	v_fmac_f32_e32 v110, v112, v109
	s_delay_alu instid0(VALU_DEP_1) | instskip(NEXT) | instid1(VALU_DEP_1)
	v_fma_f32 v103, -v103, v110, v111
	v_div_fmas_f32 v103, v103, v109, v110
	s_delay_alu instid0(VALU_DEP_1) | instskip(NEXT) | instid1(VALU_DEP_1)
	v_div_fixup_f32 v103, v103, v101, v100
	v_fmac_f32_e32 v101, v100, v103
	s_delay_alu instid0(VALU_DEP_1) | instskip(SKIP_1) | instid1(VALU_DEP_2)
	v_div_scale_f32 v100, null, v101, v101, 1.0
	v_div_scale_f32 v111, vcc_lo, 1.0, v101, 1.0
	v_rcp_f32_e32 v109, v100
	v_nop
	s_delay_alu instid0(TRANS32_DEP_1) | instskip(NEXT) | instid1(VALU_DEP_1)
	v_fma_f32 v110, -v100, v109, 1.0
	v_fmac_f32_e32 v109, v110, v109
	s_delay_alu instid0(VALU_DEP_1) | instskip(NEXT) | instid1(VALU_DEP_1)
	v_mul_f32_e32 v110, v111, v109
	v_fma_f32 v112, -v100, v110, v111
	s_delay_alu instid0(VALU_DEP_1) | instskip(NEXT) | instid1(VALU_DEP_1)
	v_fmac_f32_e32 v110, v112, v109
	v_fma_f32 v100, -v100, v110, v111
	s_delay_alu instid0(VALU_DEP_1) | instskip(NEXT) | instid1(VALU_DEP_1)
	v_div_fmas_f32 v100, v100, v109, v110
	v_div_fixup_f32 v101, v100, v101, 1.0
	s_delay_alu instid0(VALU_DEP_1)
	v_mul_f32_e32 v100, v103, v101
	v_xor_b32_e32 v101, 0x80000000, v101
.LBB92_931:
	s_and_not1_saveexec_b32 s1, s1
	s_cbranch_execz .LBB92_933
; %bb.932:
	s_delay_alu instid0(VALU_DEP_1) | instskip(SKIP_1) | instid1(VALU_DEP_2)
	v_div_scale_f32 v103, null, v100, v100, v101
	v_div_scale_f32 v111, vcc_lo, v101, v100, v101
	v_rcp_f32_e32 v109, v103
	v_nop
	s_delay_alu instid0(TRANS32_DEP_1) | instskip(NEXT) | instid1(VALU_DEP_1)
	v_fma_f32 v110, -v103, v109, 1.0
	v_fmac_f32_e32 v109, v110, v109
	s_delay_alu instid0(VALU_DEP_1) | instskip(NEXT) | instid1(VALU_DEP_1)
	v_mul_f32_e32 v110, v111, v109
	v_fma_f32 v112, -v103, v110, v111
	s_delay_alu instid0(VALU_DEP_1) | instskip(NEXT) | instid1(VALU_DEP_1)
	v_fmac_f32_e32 v110, v112, v109
	v_fma_f32 v103, -v103, v110, v111
	s_delay_alu instid0(VALU_DEP_1) | instskip(NEXT) | instid1(VALU_DEP_1)
	v_div_fmas_f32 v103, v103, v109, v110
	v_div_fixup_f32 v103, v103, v100, v101
	s_delay_alu instid0(VALU_DEP_1) | instskip(NEXT) | instid1(VALU_DEP_1)
	v_fmac_f32_e32 v100, v101, v103
	v_div_scale_f32 v101, null, v100, v100, 1.0
	s_delay_alu instid0(VALU_DEP_1) | instskip(SKIP_1) | instid1(TRANS32_DEP_1)
	v_rcp_f32_e32 v109, v101
	v_nop
	v_fma_f32 v110, -v101, v109, 1.0
	s_delay_alu instid0(VALU_DEP_1) | instskip(SKIP_1) | instid1(VALU_DEP_1)
	v_fmac_f32_e32 v109, v110, v109
	v_div_scale_f32 v110, vcc_lo, 1.0, v100, 1.0
	v_mul_f32_e32 v111, v110, v109
	s_delay_alu instid0(VALU_DEP_1) | instskip(NEXT) | instid1(VALU_DEP_1)
	v_fma_f32 v112, -v101, v111, v110
	v_fmac_f32_e32 v111, v112, v109
	s_delay_alu instid0(VALU_DEP_1) | instskip(NEXT) | instid1(VALU_DEP_1)
	v_fma_f32 v101, -v101, v111, v110
	v_div_fmas_f32 v101, v101, v109, v111
	s_delay_alu instid0(VALU_DEP_1) | instskip(NEXT) | instid1(VALU_DEP_1)
	v_div_fixup_f32 v100, v101, v100, 1.0
	v_mul_f32_e64 v101, v103, -v100
.LBB92_933:
	s_or_b32 exec_lo, exec_lo, s1
.LBB92_934:
	s_delay_alu instid0(SALU_CYCLE_1) | instskip(NEXT) | instid1(SALU_CYCLE_1)
	s_or_b32 exec_lo, exec_lo, s0
	s_mov_b32 s0, exec_lo
	v_cmpx_ne_u32_e64 v108, v102
	s_xor_b32 s0, exec_lo, s0
	s_cbranch_execz .LBB92_940
; %bb.935:
	s_mov_b32 s1, exec_lo
	v_cmpx_eq_u32_e32 44, v108
	s_cbranch_execz .LBB92_939
; %bb.936:
	v_cmp_ne_u32_e32 vcc_lo, 44, v102
	s_xor_b32 s12, s16, -1
	s_delay_alu instid0(SALU_CYCLE_1) | instskip(NEXT) | instid1(SALU_CYCLE_1)
	s_and_b32 s13, s12, vcc_lo
	s_and_saveexec_b32 s12, s13
	s_cbranch_execz .LBB92_938
; %bb.937:
	v_ashrrev_i32_e32 v103, 31, v102
	s_delay_alu instid0(VALU_DEP_1)
	v_lshl_add_u64 v[108:109], v[102:103], 2, v[4:5]
	s_clause 0x1
	global_load_b32 v103, v[108:109], off
	global_load_b32 v107, v[4:5], off offset:176
	s_wait_loadcnt 0x1
	global_store_b32 v[4:5], v103, off offset:176
	s_wait_loadcnt 0x0
	global_store_b32 v[108:109], v107, off
.LBB92_938:
	s_wait_xcnt 0x0
	s_or_b32 exec_lo, exec_lo, s12
	v_dual_mov_b32 v108, v102 :: v_dual_mov_b32 v107, v102
.LBB92_939:
	s_or_b32 exec_lo, exec_lo, s1
.LBB92_940:
	s_and_not1_saveexec_b32 s0, s0
; %bb.941:
	v_mov_b32_e32 v108, 44
	ds_store_2addr_b64 v104, v[12:13], v[98:99] offset0:45 offset1:46
; %bb.942:
	s_or_b32 exec_lo, exec_lo, s0
	s_delay_alu instid0(SALU_CYCLE_1)
	s_mov_b32 s0, exec_lo
	s_wait_storecnt_dscnt 0x0
	s_barrier_signal -1
	s_barrier_wait -1
	v_cmpx_lt_i32_e32 44, v108
	s_cbranch_execz .LBB92_944
; %bb.943:
	ds_load_2addr_b64 v[110:113], v104 offset0:45 offset1:46
	v_pk_mul_f32 v[102:103], v[100:101], v[30:31] op_sel:[1,1] op_sel_hi:[0,1]
	s_delay_alu instid0(VALU_DEP_1) | instskip(SKIP_3) | instid1(VALU_DEP_3)
	v_pk_fma_f32 v[114:115], v[100:101], v[30:31], v[102:103] op_sel_hi:[1,0,1]
	v_pk_fma_f32 v[30:31], v[100:101], v[30:31], v[102:103] op_sel_hi:[1,0,1] neg_lo:[0,0,1] neg_hi:[0,0,1]
	s_wait_dscnt 0x0
	v_dual_mov_b32 v116, v113 :: v_dual_mov_b32 v117, v112
	v_pk_mul_f32 v[100:101], v[110:111], v[114:115] op_sel:[0,1]
	s_delay_alu instid0(VALU_DEP_2) | instskip(NEXT) | instid1(VALU_DEP_2)
	v_pk_mul_f32 v[102:103], v[116:117], v[114:115] op_sel:[0,1]
	v_pk_fma_f32 v[116:117], v[110:111], v[30:31], v[100:101] op_sel:[0,0,1] op_sel_hi:[1,0,0]
	v_pk_fma_f32 v[100:101], v[110:111], v[30:31], v[100:101] op_sel:[0,0,1] op_sel_hi:[1,1,0] neg_lo:[0,0,1] neg_hi:[0,0,1]
	s_delay_alu instid0(VALU_DEP_3) | instskip(SKIP_1) | instid1(VALU_DEP_4)
	v_pk_fma_f32 v[118:119], v[112:113], v[30:31], v[102:103] op_sel_hi:[1,0,1]
	v_pk_fma_f32 v[102:103], v[112:113], v[30:31], v[102:103] neg_lo:[0,0,1] neg_hi:[0,0,1]
	v_dual_mov_b32 v101, v117 :: v_dual_mov_b32 v31, v115
	s_delay_alu instid0(VALU_DEP_3) | instskip(NEXT) | instid1(VALU_DEP_2)
	v_mov_b32_e32 v103, v119
	v_pk_add_f32 v[12:13], v[12:13], v[100:101] neg_lo:[0,1] neg_hi:[0,1]
	s_delay_alu instid0(VALU_DEP_2)
	v_pk_add_f32 v[98:99], v[98:99], v[102:103] neg_lo:[0,1] neg_hi:[0,1]
.LBB92_944:
	s_or_b32 exec_lo, exec_lo, s0
	v_lshl_add_u32 v100, v108, 3, v104
	s_barrier_signal -1
	s_barrier_wait -1
	ds_store_b64 v100, v[12:13]
	s_wait_dscnt 0x0
	s_barrier_signal -1
	s_barrier_wait -1
	ds_load_b64 v[100:101], v104 offset:360
	v_mov_b32_e32 v102, 45
	s_cmp_lt_i32 s18, 47
	s_cbranch_scc1 .LBB92_947
; %bb.945:
	v_add3_u32 v103, v105, 0, 0x170
	v_mov_b32_e32 v102, 45
	s_mov_b32 s0, 46
.LBB92_946:                             ; =>This Inner Loop Header: Depth=1
	ds_load_b64 v[110:111], v103
	s_wait_dscnt 0x1
	v_cmp_gt_f32_e32 vcc_lo, 0, v100
	v_cndmask_b32_e64 v112, v100, -v100, vcc_lo
	v_cmp_gt_f32_e32 vcc_lo, 0, v101
	v_cndmask_b32_e64 v114, v101, -v101, vcc_lo
	s_wait_dscnt 0x0
	v_cmp_gt_f32_e32 vcc_lo, 0, v110
	v_cndmask_b32_e64 v113, v110, -v110, vcc_lo
	v_cmp_gt_f32_e32 vcc_lo, 0, v111
	v_cndmask_b32_e64 v115, v111, -v111, vcc_lo
	s_delay_alu instid0(VALU_DEP_1) | instskip(NEXT) | instid1(VALU_DEP_1)
	v_pk_add_f32 v[112:113], v[112:113], v[114:115]
	v_cmp_lt_f32_e32 vcc_lo, v112, v113
	v_dual_cndmask_b32 v100, v100, v110 :: v_dual_add_nc_u32 v103, 8, v103
	v_cndmask_b32_e32 v101, v101, v111, vcc_lo
	v_cndmask_b32_e64 v102, v102, s0, vcc_lo
	s_add_co_i32 s0, s0, 1
	s_delay_alu instid0(SALU_CYCLE_1)
	s_cmp_lg_u32 s18, s0
	s_cbranch_scc1 .LBB92_946
.LBB92_947:
	s_wait_dscnt 0x0
	v_cmp_eq_f32_e32 vcc_lo, 0, v100
	v_cmp_eq_f32_e64 s0, 0, v101
	s_and_b32 s0, vcc_lo, s0
	s_delay_alu instid0(SALU_CYCLE_1) | instskip(NEXT) | instid1(SALU_CYCLE_1)
	s_and_saveexec_b32 s1, s0
	s_xor_b32 s0, exec_lo, s1
; %bb.948:
	v_cmp_ne_u32_e32 vcc_lo, 0, v106
	v_cndmask_b32_e32 v106, 46, v106, vcc_lo
; %bb.949:
	s_and_not1_saveexec_b32 s0, s0
	s_cbranch_execz .LBB92_955
; %bb.950:
	v_cmp_ngt_f32_e64 s1, |v100|, |v101|
	s_and_saveexec_b32 s12, s1
	s_delay_alu instid0(SALU_CYCLE_1)
	s_xor_b32 s1, exec_lo, s12
	s_cbranch_execz .LBB92_952
; %bb.951:
	v_div_scale_f32 v103, null, v101, v101, v100
	v_div_scale_f32 v111, vcc_lo, v100, v101, v100
	s_delay_alu instid0(VALU_DEP_2) | instskip(SKIP_1) | instid1(TRANS32_DEP_1)
	v_rcp_f32_e32 v109, v103
	v_nop
	v_fma_f32 v110, -v103, v109, 1.0
	s_delay_alu instid0(VALU_DEP_1) | instskip(NEXT) | instid1(VALU_DEP_1)
	v_fmac_f32_e32 v109, v110, v109
	v_mul_f32_e32 v110, v111, v109
	s_delay_alu instid0(VALU_DEP_1) | instskip(NEXT) | instid1(VALU_DEP_1)
	v_fma_f32 v112, -v103, v110, v111
	v_fmac_f32_e32 v110, v112, v109
	s_delay_alu instid0(VALU_DEP_1) | instskip(NEXT) | instid1(VALU_DEP_1)
	v_fma_f32 v103, -v103, v110, v111
	v_div_fmas_f32 v103, v103, v109, v110
	s_delay_alu instid0(VALU_DEP_1) | instskip(NEXT) | instid1(VALU_DEP_1)
	v_div_fixup_f32 v103, v103, v101, v100
	v_fmac_f32_e32 v101, v100, v103
	s_delay_alu instid0(VALU_DEP_1) | instskip(SKIP_1) | instid1(VALU_DEP_2)
	v_div_scale_f32 v100, null, v101, v101, 1.0
	v_div_scale_f32 v111, vcc_lo, 1.0, v101, 1.0
	v_rcp_f32_e32 v109, v100
	v_nop
	s_delay_alu instid0(TRANS32_DEP_1) | instskip(NEXT) | instid1(VALU_DEP_1)
	v_fma_f32 v110, -v100, v109, 1.0
	v_fmac_f32_e32 v109, v110, v109
	s_delay_alu instid0(VALU_DEP_1) | instskip(NEXT) | instid1(VALU_DEP_1)
	v_mul_f32_e32 v110, v111, v109
	v_fma_f32 v112, -v100, v110, v111
	s_delay_alu instid0(VALU_DEP_1) | instskip(NEXT) | instid1(VALU_DEP_1)
	v_fmac_f32_e32 v110, v112, v109
	v_fma_f32 v100, -v100, v110, v111
	s_delay_alu instid0(VALU_DEP_1) | instskip(NEXT) | instid1(VALU_DEP_1)
	v_div_fmas_f32 v100, v100, v109, v110
	v_div_fixup_f32 v101, v100, v101, 1.0
	s_delay_alu instid0(VALU_DEP_1)
	v_mul_f32_e32 v100, v103, v101
	v_xor_b32_e32 v101, 0x80000000, v101
.LBB92_952:
	s_and_not1_saveexec_b32 s1, s1
	s_cbranch_execz .LBB92_954
; %bb.953:
	s_delay_alu instid0(VALU_DEP_1) | instskip(SKIP_1) | instid1(VALU_DEP_2)
	v_div_scale_f32 v103, null, v100, v100, v101
	v_div_scale_f32 v111, vcc_lo, v101, v100, v101
	v_rcp_f32_e32 v109, v103
	v_nop
	s_delay_alu instid0(TRANS32_DEP_1) | instskip(NEXT) | instid1(VALU_DEP_1)
	v_fma_f32 v110, -v103, v109, 1.0
	v_fmac_f32_e32 v109, v110, v109
	s_delay_alu instid0(VALU_DEP_1) | instskip(NEXT) | instid1(VALU_DEP_1)
	v_mul_f32_e32 v110, v111, v109
	v_fma_f32 v112, -v103, v110, v111
	s_delay_alu instid0(VALU_DEP_1) | instskip(NEXT) | instid1(VALU_DEP_1)
	v_fmac_f32_e32 v110, v112, v109
	v_fma_f32 v103, -v103, v110, v111
	s_delay_alu instid0(VALU_DEP_1) | instskip(NEXT) | instid1(VALU_DEP_1)
	v_div_fmas_f32 v103, v103, v109, v110
	v_div_fixup_f32 v103, v103, v100, v101
	s_delay_alu instid0(VALU_DEP_1) | instskip(NEXT) | instid1(VALU_DEP_1)
	v_fmac_f32_e32 v100, v101, v103
	v_div_scale_f32 v101, null, v100, v100, 1.0
	s_delay_alu instid0(VALU_DEP_1) | instskip(SKIP_1) | instid1(TRANS32_DEP_1)
	v_rcp_f32_e32 v109, v101
	v_nop
	v_fma_f32 v110, -v101, v109, 1.0
	s_delay_alu instid0(VALU_DEP_1) | instskip(SKIP_1) | instid1(VALU_DEP_1)
	v_fmac_f32_e32 v109, v110, v109
	v_div_scale_f32 v110, vcc_lo, 1.0, v100, 1.0
	v_mul_f32_e32 v111, v110, v109
	s_delay_alu instid0(VALU_DEP_1) | instskip(NEXT) | instid1(VALU_DEP_1)
	v_fma_f32 v112, -v101, v111, v110
	v_fmac_f32_e32 v111, v112, v109
	s_delay_alu instid0(VALU_DEP_1) | instskip(NEXT) | instid1(VALU_DEP_1)
	v_fma_f32 v101, -v101, v111, v110
	v_div_fmas_f32 v101, v101, v109, v111
	s_delay_alu instid0(VALU_DEP_1) | instskip(NEXT) | instid1(VALU_DEP_1)
	v_div_fixup_f32 v100, v101, v100, 1.0
	v_mul_f32_e64 v101, v103, -v100
.LBB92_954:
	s_or_b32 exec_lo, exec_lo, s1
.LBB92_955:
	s_delay_alu instid0(SALU_CYCLE_1) | instskip(NEXT) | instid1(SALU_CYCLE_1)
	s_or_b32 exec_lo, exec_lo, s0
	s_mov_b32 s0, exec_lo
	v_cmpx_ne_u32_e64 v108, v102
	s_xor_b32 s0, exec_lo, s0
	s_cbranch_execz .LBB92_961
; %bb.956:
	s_mov_b32 s1, exec_lo
	v_cmpx_eq_u32_e32 45, v108
	s_cbranch_execz .LBB92_960
; %bb.957:
	v_cmp_ne_u32_e32 vcc_lo, 45, v102
	s_xor_b32 s12, s16, -1
	s_delay_alu instid0(SALU_CYCLE_1) | instskip(NEXT) | instid1(SALU_CYCLE_1)
	s_and_b32 s13, s12, vcc_lo
	s_and_saveexec_b32 s12, s13
	s_cbranch_execz .LBB92_959
; %bb.958:
	v_ashrrev_i32_e32 v103, 31, v102
	s_delay_alu instid0(VALU_DEP_1)
	v_lshl_add_u64 v[108:109], v[102:103], 2, v[4:5]
	s_clause 0x1
	global_load_b32 v103, v[108:109], off
	global_load_b32 v107, v[4:5], off offset:180
	s_wait_loadcnt 0x1
	global_store_b32 v[4:5], v103, off offset:180
	s_wait_loadcnt 0x0
	global_store_b32 v[108:109], v107, off
.LBB92_959:
	s_wait_xcnt 0x0
	s_or_b32 exec_lo, exec_lo, s12
	v_dual_mov_b32 v108, v102 :: v_dual_mov_b32 v107, v102
.LBB92_960:
	s_or_b32 exec_lo, exec_lo, s1
.LBB92_961:
	s_and_not1_saveexec_b32 s0, s0
; %bb.962:
	v_mov_b32_e32 v108, 45
	ds_store_b64 v104, v[98:99] offset:368
; %bb.963:
	s_or_b32 exec_lo, exec_lo, s0
	s_delay_alu instid0(SALU_CYCLE_1)
	s_mov_b32 s0, exec_lo
	s_wait_storecnt_dscnt 0x0
	s_barrier_signal -1
	s_barrier_wait -1
	v_cmpx_lt_i32_e32 45, v108
	s_cbranch_execz .LBB92_965
; %bb.964:
	ds_load_b64 v[102:103], v104 offset:368
	v_pk_mul_f32 v[110:111], v[100:101], v[12:13] op_sel:[1,1] op_sel_hi:[0,1]
	s_delay_alu instid0(VALU_DEP_1) | instskip(SKIP_2) | instid1(VALU_DEP_2)
	v_pk_fma_f32 v[112:113], v[100:101], v[12:13], v[110:111] op_sel_hi:[1,0,1]
	v_pk_fma_f32 v[12:13], v[100:101], v[12:13], v[110:111] op_sel_hi:[1,0,1] neg_lo:[0,0,1] neg_hi:[0,0,1]
	s_wait_dscnt 0x0
	v_pk_mul_f32 v[100:101], v[102:103], v[112:113] op_sel:[1,1] op_sel_hi:[0,1]
	s_delay_alu instid0(VALU_DEP_1) | instskip(SKIP_1) | instid1(VALU_DEP_2)
	v_pk_fma_f32 v[110:111], v[102:103], v[12:13], v[100:101] op_sel_hi:[1,0,1]
	v_pk_fma_f32 v[100:101], v[102:103], v[12:13], v[100:101] neg_lo:[0,0,1] neg_hi:[0,0,1]
	v_dual_mov_b32 v13, v113 :: v_dual_mov_b32 v101, v111
	s_delay_alu instid0(VALU_DEP_1)
	v_pk_add_f32 v[98:99], v[98:99], v[100:101] neg_lo:[0,1] neg_hi:[0,1]
.LBB92_965:
	s_or_b32 exec_lo, exec_lo, s0
	v_lshl_add_u32 v100, v108, 3, v104
	s_barrier_signal -1
	s_barrier_wait -1
	ds_store_b64 v100, v[98:99]
	s_wait_dscnt 0x0
	s_barrier_signal -1
	s_barrier_wait -1
	ds_load_b64 v[100:101], v104 offset:368
	v_mov_b32_e32 v102, 46
	s_cmp_lt_i32 s18, 48
	s_cbranch_scc1 .LBB92_968
; %bb.966:
	v_add3_u32 v103, v105, 0, 0x178
	v_mov_b32_e32 v102, 46
	s_mov_b32 s0, 47
.LBB92_967:                             ; =>This Inner Loop Header: Depth=1
	ds_load_b64 v[104:105], v103
	s_wait_dscnt 0x1
	v_cmp_gt_f32_e32 vcc_lo, 0, v100
	v_cndmask_b32_e64 v110, v100, -v100, vcc_lo
	v_cmp_gt_f32_e32 vcc_lo, 0, v101
	v_cndmask_b32_e64 v112, v101, -v101, vcc_lo
	s_wait_dscnt 0x0
	v_cmp_gt_f32_e32 vcc_lo, 0, v104
	v_cndmask_b32_e64 v111, v104, -v104, vcc_lo
	v_cmp_gt_f32_e32 vcc_lo, 0, v105
	v_cndmask_b32_e64 v113, v105, -v105, vcc_lo
	s_delay_alu instid0(VALU_DEP_1) | instskip(NEXT) | instid1(VALU_DEP_1)
	v_pk_add_f32 v[110:111], v[110:111], v[112:113]
	v_cmp_lt_f32_e32 vcc_lo, v110, v111
	v_dual_add_nc_u32 v103, 8, v103 :: v_dual_cndmask_b32 v101, v101, v105, vcc_lo
	v_cndmask_b32_e32 v100, v100, v104, vcc_lo
	v_cndmask_b32_e64 v102, v102, s0, vcc_lo
	s_add_co_i32 s0, s0, 1
	s_delay_alu instid0(SALU_CYCLE_1)
	s_cmp_lg_u32 s18, s0
	s_cbranch_scc1 .LBB92_967
.LBB92_968:
	s_wait_dscnt 0x0
	v_cmp_eq_f32_e32 vcc_lo, 0, v100
	v_cmp_eq_f32_e64 s0, 0, v101
	s_and_b32 s0, vcc_lo, s0
	s_delay_alu instid0(SALU_CYCLE_1) | instskip(NEXT) | instid1(SALU_CYCLE_1)
	s_and_saveexec_b32 s1, s0
	s_xor_b32 s0, exec_lo, s1
; %bb.969:
	v_cmp_ne_u32_e32 vcc_lo, 0, v106
	v_cndmask_b32_e32 v106, 47, v106, vcc_lo
; %bb.970:
	s_and_not1_saveexec_b32 s0, s0
	s_cbranch_execz .LBB92_976
; %bb.971:
	v_cmp_ngt_f32_e64 s1, |v100|, |v101|
	s_and_saveexec_b32 s12, s1
	s_delay_alu instid0(SALU_CYCLE_1)
	s_xor_b32 s1, exec_lo, s12
	s_cbranch_execz .LBB92_973
; %bb.972:
	v_div_scale_f32 v103, null, v101, v101, v100
	v_div_scale_f32 v109, vcc_lo, v100, v101, v100
	s_delay_alu instid0(VALU_DEP_2) | instskip(SKIP_1) | instid1(TRANS32_DEP_1)
	v_rcp_f32_e32 v104, v103
	v_nop
	v_fma_f32 v105, -v103, v104, 1.0
	s_delay_alu instid0(VALU_DEP_1) | instskip(NEXT) | instid1(VALU_DEP_1)
	v_fmac_f32_e32 v104, v105, v104
	v_mul_f32_e32 v105, v109, v104
	s_delay_alu instid0(VALU_DEP_1) | instskip(NEXT) | instid1(VALU_DEP_1)
	v_fma_f32 v110, -v103, v105, v109
	v_fmac_f32_e32 v105, v110, v104
	s_delay_alu instid0(VALU_DEP_1) | instskip(NEXT) | instid1(VALU_DEP_1)
	v_fma_f32 v103, -v103, v105, v109
	v_div_fmas_f32 v103, v103, v104, v105
	s_delay_alu instid0(VALU_DEP_1) | instskip(NEXT) | instid1(VALU_DEP_1)
	v_div_fixup_f32 v103, v103, v101, v100
	v_fmac_f32_e32 v101, v100, v103
	s_delay_alu instid0(VALU_DEP_1) | instskip(SKIP_1) | instid1(VALU_DEP_2)
	v_div_scale_f32 v100, null, v101, v101, 1.0
	v_div_scale_f32 v109, vcc_lo, 1.0, v101, 1.0
	v_rcp_f32_e32 v104, v100
	v_nop
	s_delay_alu instid0(TRANS32_DEP_1) | instskip(NEXT) | instid1(VALU_DEP_1)
	v_fma_f32 v105, -v100, v104, 1.0
	v_fmac_f32_e32 v104, v105, v104
	s_delay_alu instid0(VALU_DEP_1) | instskip(NEXT) | instid1(VALU_DEP_1)
	v_mul_f32_e32 v105, v109, v104
	v_fma_f32 v110, -v100, v105, v109
	s_delay_alu instid0(VALU_DEP_1) | instskip(NEXT) | instid1(VALU_DEP_1)
	v_fmac_f32_e32 v105, v110, v104
	v_fma_f32 v100, -v100, v105, v109
	s_delay_alu instid0(VALU_DEP_1) | instskip(NEXT) | instid1(VALU_DEP_1)
	v_div_fmas_f32 v100, v100, v104, v105
	v_div_fixup_f32 v101, v100, v101, 1.0
	s_delay_alu instid0(VALU_DEP_1)
	v_mul_f32_e32 v100, v103, v101
	v_xor_b32_e32 v101, 0x80000000, v101
.LBB92_973:
	s_and_not1_saveexec_b32 s1, s1
	s_cbranch_execz .LBB92_975
; %bb.974:
	s_delay_alu instid0(VALU_DEP_1) | instskip(SKIP_1) | instid1(VALU_DEP_2)
	v_div_scale_f32 v103, null, v100, v100, v101
	v_div_scale_f32 v109, vcc_lo, v101, v100, v101
	v_rcp_f32_e32 v104, v103
	v_nop
	s_delay_alu instid0(TRANS32_DEP_1) | instskip(NEXT) | instid1(VALU_DEP_1)
	v_fma_f32 v105, -v103, v104, 1.0
	v_fmac_f32_e32 v104, v105, v104
	s_delay_alu instid0(VALU_DEP_1) | instskip(NEXT) | instid1(VALU_DEP_1)
	v_mul_f32_e32 v105, v109, v104
	v_fma_f32 v110, -v103, v105, v109
	s_delay_alu instid0(VALU_DEP_1) | instskip(NEXT) | instid1(VALU_DEP_1)
	v_fmac_f32_e32 v105, v110, v104
	v_fma_f32 v103, -v103, v105, v109
	s_delay_alu instid0(VALU_DEP_1) | instskip(NEXT) | instid1(VALU_DEP_1)
	v_div_fmas_f32 v103, v103, v104, v105
	v_div_fixup_f32 v103, v103, v100, v101
	s_delay_alu instid0(VALU_DEP_1) | instskip(NEXT) | instid1(VALU_DEP_1)
	v_fmac_f32_e32 v100, v101, v103
	v_div_scale_f32 v101, null, v100, v100, 1.0
	s_delay_alu instid0(VALU_DEP_1) | instskip(SKIP_1) | instid1(TRANS32_DEP_1)
	v_rcp_f32_e32 v104, v101
	v_nop
	v_fma_f32 v105, -v101, v104, 1.0
	s_delay_alu instid0(VALU_DEP_1) | instskip(SKIP_1) | instid1(VALU_DEP_1)
	v_fmac_f32_e32 v104, v105, v104
	v_div_scale_f32 v105, vcc_lo, 1.0, v100, 1.0
	v_mul_f32_e32 v109, v105, v104
	s_delay_alu instid0(VALU_DEP_1) | instskip(NEXT) | instid1(VALU_DEP_1)
	v_fma_f32 v110, -v101, v109, v105
	v_fmac_f32_e32 v109, v110, v104
	s_delay_alu instid0(VALU_DEP_1) | instskip(NEXT) | instid1(VALU_DEP_1)
	v_fma_f32 v101, -v101, v109, v105
	v_div_fmas_f32 v101, v101, v104, v109
	s_delay_alu instid0(VALU_DEP_1) | instskip(NEXT) | instid1(VALU_DEP_1)
	v_div_fixup_f32 v100, v101, v100, 1.0
	v_mul_f32_e64 v101, v103, -v100
.LBB92_975:
	s_or_b32 exec_lo, exec_lo, s1
.LBB92_976:
	s_delay_alu instid0(SALU_CYCLE_1)
	s_or_b32 exec_lo, exec_lo, s0
	v_mov_b32_e32 v104, 46
	s_mov_b32 s0, exec_lo
	v_cmpx_ne_u32_e64 v108, v102
	s_cbranch_execz .LBB92_982
; %bb.977:
	s_mov_b32 s1, exec_lo
	v_cmpx_eq_u32_e32 46, v108
	s_cbranch_execz .LBB92_981
; %bb.978:
	v_cmp_ne_u32_e32 vcc_lo, 46, v102
	s_xor_b32 s12, s16, -1
	s_delay_alu instid0(SALU_CYCLE_1) | instskip(NEXT) | instid1(SALU_CYCLE_1)
	s_and_b32 s13, s12, vcc_lo
	s_and_saveexec_b32 s12, s13
	s_cbranch_execz .LBB92_980
; %bb.979:
	v_ashrrev_i32_e32 v103, 31, v102
	s_delay_alu instid0(VALU_DEP_1)
	v_lshl_add_u64 v[104:105], v[102:103], 2, v[4:5]
	s_clause 0x1
	global_load_b32 v103, v[104:105], off
	global_load_b32 v107, v[4:5], off offset:184
	s_wait_loadcnt 0x1
	global_store_b32 v[4:5], v103, off offset:184
	s_wait_loadcnt 0x0
	global_store_b32 v[104:105], v107, off
.LBB92_980:
	s_wait_xcnt 0x0
	s_or_b32 exec_lo, exec_lo, s12
	v_dual_mov_b32 v108, v102 :: v_dual_mov_b32 v107, v102
.LBB92_981:
	s_or_b32 exec_lo, exec_lo, s1
	s_delay_alu instid0(VALU_DEP_1)
	v_mov_b32_e32 v104, v108
.LBB92_982:
	s_or_b32 exec_lo, exec_lo, s0
	s_delay_alu instid0(VALU_DEP_1)
	v_ashrrev_i32_e32 v105, 31, v104
	s_mov_b32 s0, exec_lo
	s_wait_storecnt 0x0
	s_barrier_signal -1
	s_barrier_wait -1
	s_barrier_signal -1
	s_barrier_wait -1
	v_cmpx_gt_i32_e32 47, v104
	s_cbranch_execz .LBB92_984
; %bb.983:
	v_mul_u64_e32 v[4:5], s[10:11], v[2:3]
	v_add3_u32 v102, v107, s17, 1
	s_delay_alu instid0(VALU_DEP_2) | instskip(NEXT) | instid1(VALU_DEP_1)
	v_lshl_add_u64 v[4:5], v[4:5], 2, s[6:7]
	v_lshl_add_u64 v[4:5], s[8:9], 2, v[4:5]
	s_delay_alu instid0(VALU_DEP_1)
	v_lshl_add_u64 v[4:5], v[104:105], 2, v[4:5]
	global_store_b32 v[4:5], v102, off
.LBB92_984:
	s_wait_xcnt 0x0
	s_or_b32 exec_lo, exec_lo, s0
	s_delay_alu instid0(SALU_CYCLE_1)
	s_mov_b32 s1, exec_lo
	v_cmpx_eq_u32_e32 0, v104
	s_cbranch_execz .LBB92_987
; %bb.985:
	s_wait_kmcnt 0x0
	v_lshl_add_u64 v[2:3], v[2:3], 2, s[4:5]
	v_cmp_ne_u32_e64 s0, 0, v106
	global_load_b32 v4, v[2:3], off
	s_wait_loadcnt 0x0
	v_cmp_eq_u32_e32 vcc_lo, 0, v4
	s_and_b32 s0, vcc_lo, s0
	s_wait_xcnt 0x0
	s_and_b32 exec_lo, exec_lo, s0
	s_cbranch_execz .LBB92_987
; %bb.986:
	v_add_nc_u32_e32 v4, s17, v106
	global_store_b32 v[2:3], v4, off
.LBB92_987:
	s_wait_xcnt 0x0
	s_or_b32 exec_lo, exec_lo, s1
	v_add3_u32 v4, s2, s2, v104
	v_pk_mul_f32 v[2:3], v[100:101], v[98:99] op_sel:[1,1] op_sel_hi:[0,1]
	v_cmp_lt_i32_e32 vcc_lo, 46, v104
	v_lshl_add_u64 v[104:105], v[104:105], 3, v[0:1]
	s_delay_alu instid0(VALU_DEP_4) | instskip(NEXT) | instid1(VALU_DEP_4)
	v_add_nc_u32_e32 v102, s2, v4
	v_pk_fma_f32 v[122:123], v[100:101], v[98:99], v[2:3] op_sel_hi:[1,0,1]
	v_pk_fma_f32 v[2:3], v[100:101], v[98:99], v[2:3] neg_lo:[0,0,1] neg_hi:[0,0,1]
	global_store_b64 v[104:105], v[96:97], off
	s_wait_xcnt 0x0
	v_lshl_add_u64 v[96:97], s[2:3], 3, v[104:105]
	v_dual_cndmask_b32 v3, v99, v123 :: v_dual_add_nc_u32 v106, s2, v102
	v_dual_cndmask_b32 v2, v98, v2 :: v_dual_ashrrev_i32 v5, 31, v4
	global_store_b64 v[96:97], v[94:95], off
	v_add_nc_u32_e32 v108, s2, v106
	v_ashrrev_i32_e32 v103, 31, v102
	v_lshl_add_u64 v[4:5], v[4:5], 3, v[0:1]
	s_delay_alu instid0(VALU_DEP_3)
	v_dual_add_nc_u32 v110, s2, v108 :: v_dual_ashrrev_i32 v107, 31, v106
	v_ashrrev_i32_e32 v109, 31, v108
	global_store_b64 v[4:5], v[92:93], off
	s_wait_xcnt 0x0
	v_lshl_add_u64 v[4:5], v[102:103], 3, v[0:1]
	v_add_nc_u32_e32 v112, s2, v110
	v_lshl_add_u64 v[92:93], v[106:107], 3, v[0:1]
	v_lshl_add_u64 v[102:103], v[108:109], 3, v[0:1]
	s_clause 0x2
	global_store_b64 v[4:5], v[90:91], off
	global_store_b64 v[92:93], v[72:73], off
	;; [unrolled: 1-line block ×3, first 2 shown]
	v_dual_add_nc_u32 v114, s2, v112 :: v_dual_ashrrev_i32 v111, 31, v110
	s_delay_alu instid0(VALU_DEP_1) | instskip(SKIP_1) | instid1(VALU_DEP_2)
	v_add_nc_u32_e32 v116, s2, v114
	s_wait_xcnt 0x1
	v_lshl_add_u64 v[72:73], v[110:111], 3, v[0:1]
	s_delay_alu instid0(VALU_DEP_2) | instskip(NEXT) | instid1(VALU_DEP_1)
	v_add_nc_u32_e32 v118, s2, v116
	v_dual_ashrrev_i32 v113, 31, v112 :: v_dual_add_nc_u32 v120, s2, v118
	s_delay_alu instid0(VALU_DEP_1) | instskip(NEXT) | instid1(VALU_DEP_2)
	v_lshl_add_u64 v[90:91], v[112:113], 3, v[0:1]
	v_dual_ashrrev_i32 v119, 31, v118 :: v_dual_add_nc_u32 v100, s2, v120
	v_ashrrev_i32_e32 v117, 31, v116
	s_delay_alu instid0(VALU_DEP_2) | instskip(SKIP_1) | instid1(VALU_DEP_2)
	v_add_nc_u32_e32 v98, s2, v100
	s_wait_xcnt 0x0
	v_lshl_add_u64 v[102:103], v[116:117], 3, v[0:1]
	s_delay_alu instid0(VALU_DEP_2) | instskip(NEXT) | instid1(VALU_DEP_1)
	v_dual_add_nc_u32 v122, s2, v98 :: v_dual_ashrrev_i32 v121, 31, v120
	v_dual_ashrrev_i32 v123, 31, v122 :: v_dual_add_nc_u32 v104, s2, v122
	s_delay_alu instid0(VALU_DEP_1) | instskip(SKIP_1) | instid1(VALU_DEP_2)
	v_dual_ashrrev_i32 v99, 31, v98 :: v_dual_add_nc_u32 v94, s2, v104
	v_ashrrev_i32_e32 v101, 31, v100
	v_dual_ashrrev_i32 v105, 31, v104 :: v_dual_add_nc_u32 v96, s2, v94
	s_delay_alu instid0(VALU_DEP_1) | instskip(NEXT) | instid1(VALU_DEP_1)
	v_dual_ashrrev_i32 v95, 31, v94 :: v_dual_add_nc_u32 v106, s2, v96
	v_add_nc_u32_e32 v4, s2, v106
	v_ashrrev_i32_e32 v115, 31, v114
	s_delay_alu instid0(VALU_DEP_2) | instskip(NEXT) | instid1(VALU_DEP_2)
	v_dual_ashrrev_i32 v107, 31, v106 :: v_dual_add_nc_u32 v68, s2, v4
	v_lshl_add_u64 v[92:93], v[114:115], 3, v[0:1]
	s_clause 0x3
	global_store_b64 v[72:73], v[28:29], off
	global_store_b64 v[90:91], v[24:25], off
	;; [unrolled: 1-line block ×4, first 2 shown]
	v_add_nc_u32_e32 v108, s2, v68
	s_wait_xcnt 0x3
	v_lshl_add_u64 v[72:73], v[118:119], 3, v[0:1]
	s_wait_xcnt 0x0
	v_lshl_add_u64 v[74:75], v[120:121], 3, v[0:1]
	v_lshl_add_u64 v[76:77], v[100:101], 3, v[0:1]
	;; [unrolled: 1-line block ×3, first 2 shown]
	v_add_nc_u32_e32 v24, s2, v108
	s_clause 0x3
	global_store_b64 v[72:73], v[34:35], off
	global_store_b64 v[74:75], v[32:33], off
	;; [unrolled: 1-line block ×4, first 2 shown]
	s_wait_xcnt 0x3
	v_lshl_add_u64 v[72:73], v[122:123], 3, v[0:1]
	s_wait_xcnt 0x2
	v_lshl_add_u64 v[74:75], v[104:105], 3, v[0:1]
	;; [unrolled: 2-line block ×3, first 2 shown]
	v_add_nc_u32_e32 v28, s2, v24
	v_ashrrev_i32_e32 v5, 31, v4
	v_ashrrev_i32_e32 v69, 31, v68
	;; [unrolled: 1-line block ×3, first 2 shown]
	s_delay_alu instid0(VALU_DEP_4) | instskip(NEXT) | instid1(VALU_DEP_4)
	v_add_nc_u32_e32 v92, s2, v28
	v_lshl_add_u64 v[4:5], v[4:5], 3, v[0:1]
	s_delay_alu instid0(VALU_DEP_4) | instskip(NEXT) | instid1(VALU_DEP_4)
	v_lshl_add_u64 v[68:69], v[68:69], 3, v[0:1]
	v_lshl_add_u64 v[24:25], v[24:25], 3, v[0:1]
	s_delay_alu instid0(VALU_DEP_4) | instskip(NEXT) | instid1(VALU_DEP_1)
	v_add_nc_u32_e32 v32, s2, v92
	v_add_nc_u32_e32 v34, s2, v32
	s_delay_alu instid0(VALU_DEP_1) | instskip(SKIP_2) | instid1(VALU_DEP_2)
	v_dual_ashrrev_i32 v97, 31, v96 :: v_dual_ashrrev_i32 v35, 31, v34
	v_add_nc_u32_e32 v88, s2, v34
	s_wait_xcnt 0x0
	v_lshl_add_u64 v[86:87], v[96:97], 3, v[0:1]
	s_clause 0x3
	global_store_b64 v[72:73], v[48:49], off
	global_store_b64 v[74:75], v[46:47], off
	;; [unrolled: 1-line block ×4, first 2 shown]
	s_wait_xcnt 0x3
	v_lshl_add_u64 v[72:73], v[106:107], 3, v[0:1]
	s_wait_xcnt 0x2
	v_dual_add_nc_u32 v46, s2, v88 :: v_dual_ashrrev_i32 v89, 31, v88
	v_ashrrev_i32_e32 v109, 31, v108
	s_delay_alu instid0(VALU_DEP_2) | instskip(SKIP_1) | instid1(VALU_DEP_3)
	v_dual_ashrrev_i32 v29, 31, v28 :: v_dual_add_nc_u32 v48, s2, v46
	v_ashrrev_i32_e32 v47, 31, v46
	v_lshl_add_u64 v[74:75], v[108:109], 3, v[0:1]
	s_clause 0x3
	global_store_b64 v[72:73], v[44:45], off
	global_store_b64 v[4:5], v[42:43], off
	;; [unrolled: 1-line block ×4, first 2 shown]
	s_wait_xcnt 0x5
	v_dual_add_nc_u32 v76, s2, v48 :: v_dual_ashrrev_i32 v49, 31, v48
	v_ashrrev_i32_e32 v33, 31, v32
	v_lshl_add_u64 v[28:29], v[28:29], 3, v[0:1]
	s_wait_xcnt 0x2
	s_delay_alu instid0(VALU_DEP_3) | instskip(NEXT) | instid1(VALU_DEP_3)
	v_dual_add_nc_u32 v4, s2, v76 :: v_dual_ashrrev_i32 v77, 31, v76
	v_lshl_add_u64 v[32:33], v[32:33], 3, v[0:1]
	s_delay_alu instid0(VALU_DEP_2) | instskip(NEXT) | instid1(VALU_DEP_1)
	v_add_nc_u32_e32 v42, s2, v4
	v_dual_ashrrev_i32 v93, 31, v92 :: v_dual_ashrrev_i32 v43, 31, v42
	s_wait_xcnt 0x1
	v_add_nc_u32_e32 v68, s2, v42
	s_delay_alu instid0(VALU_DEP_2)
	v_lshl_add_u64 v[44:45], v[92:93], 3, v[0:1]
	s_clause 0x3
	global_store_b64 v[24:25], v[38:39], off
	global_store_b64 v[28:29], v[36:37], off
	;; [unrolled: 1-line block ×4, first 2 shown]
	s_wait_xcnt 0x3
	v_add_nc_u32_e32 v24, s2, v68
	s_wait_xcnt 0x0
	v_lshl_add_u64 v[32:33], v[34:35], 3, v[0:1]
	v_lshl_add_u64 v[34:35], v[88:89], 3, v[0:1]
	;; [unrolled: 1-line block ×4, first 2 shown]
	v_add_nc_u32_e32 v28, s2, v24
	s_clause 0x3
	global_store_b64 v[32:33], v[26:27], off
	global_store_b64 v[34:35], v[22:23], off
	;; [unrolled: 1-line block ×4, first 2 shown]
	s_wait_xcnt 0x3
	v_lshl_add_u64 v[32:33], v[76:77], 3, v[0:1]
	s_wait_xcnt 0x2
	v_lshl_add_u64 v[34:35], v[42:43], 3, v[0:1]
	v_add_nc_u32_e32 v44, s2, v28
	s_delay_alu instid0(VALU_DEP_1) | instskip(NEXT) | instid1(VALU_DEP_1)
	v_add_nc_u32_e32 v22, s2, v44
	v_dual_ashrrev_i32 v5, 31, v4 :: v_dual_add_nc_u32 v26, s2, v22
	s_delay_alu instid0(VALU_DEP_1) | instskip(NEXT) | instid1(VALU_DEP_2)
	v_lshl_add_u64 v[4:5], v[4:5], 3, v[0:1]
	v_dual_ashrrev_i32 v45, 31, v44 :: v_dual_ashrrev_i32 v27, 31, v26
	s_wait_xcnt 0x0
	v_dual_add_nc_u32 v38, s2, v26 :: v_dual_ashrrev_i32 v69, 31, v68
	v_dual_ashrrev_i32 v25, 31, v24 :: v_dual_ashrrev_i32 v23, 31, v22
	s_delay_alu instid0(VALU_DEP_2) | instskip(NEXT) | instid1(VALU_DEP_3)
	v_ashrrev_i32_e32 v39, 31, v38
	v_lshl_add_u64 v[36:37], v[68:69], 3, v[0:1]
	s_clause 0x3
	global_store_b64 v[32:33], v[20:21], off
	global_store_b64 v[4:5], v[18:19], off
	;; [unrolled: 1-line block ×4, first 2 shown]
	s_wait_xcnt 0x2
	v_add_nc_u32_e32 v4, s2, v38
	v_lshl_add_u64 v[20:21], v[24:25], 3, v[0:1]
	v_lshl_add_u64 v[22:23], v[22:23], 3, v[0:1]
	s_delay_alu instid0(VALU_DEP_3) | instskip(NEXT) | instid1(VALU_DEP_1)
	v_add_nc_u32_e32 v18, s2, v4
	v_dual_ashrrev_i32 v29, 31, v28 :: v_dual_add_nc_u32 v32, s2, v18
	s_delay_alu instid0(VALU_DEP_1)
	v_lshl_add_u64 v[24:25], v[28:29], 3, v[0:1]
	v_lshl_add_u64 v[28:29], v[44:45], 3, v[0:1]
	s_clause 0x3
	global_store_b64 v[20:21], v[16:17], off
	global_store_b64 v[24:25], v[14:15], off
	;; [unrolled: 1-line block ×4, first 2 shown]
	s_wait_xcnt 0x2
	v_dual_add_nc_u32 v14, s2, v32 :: v_dual_ashrrev_i32 v19, 31, v18
	v_ashrrev_i32_e32 v5, 31, v4
	v_lshl_add_u64 v[20:21], v[26:27], 3, v[0:1]
	s_wait_xcnt 0x0
	v_lshl_add_u64 v[22:23], v[38:39], 3, v[0:1]
	v_add_nc_u32_e32 v16, s2, v14
	v_lshl_add_u64 v[18:19], v[18:19], 3, v[0:1]
	v_lshl_add_u64 v[4:5], v[4:5], 3, v[0:1]
	s_clause 0x3
	global_store_b64 v[20:21], v[10:11], off
	global_store_b64 v[22:23], v[6:7], off
	;; [unrolled: 1-line block ×4, first 2 shown]
	v_dual_add_nc_u32 v24, s2, v16 :: v_dual_ashrrev_i32 v15, 31, v14
	v_ashrrev_i32_e32 v33, 31, v32
	v_ashrrev_i32_e32 v17, 31, v16
	s_wait_xcnt 0x1
	s_delay_alu instid0(VALU_DEP_3) | instskip(NEXT) | instid1(VALU_DEP_3)
	v_dual_add_nc_u32 v4, s2, v24 :: v_dual_ashrrev_i32 v25, 31, v24
	v_lshl_add_u64 v[6:7], v[32:33], 3, v[0:1]
	v_lshl_add_u64 v[10:11], v[14:15], 3, v[0:1]
	;; [unrolled: 1-line block ×3, first 2 shown]
	s_delay_alu instid0(VALU_DEP_4) | instskip(SKIP_1) | instid1(VALU_DEP_2)
	v_ashrrev_i32_e32 v5, 31, v4
	v_lshl_add_u64 v[16:17], v[24:25], 3, v[0:1]
	v_lshl_add_u64 v[0:1], v[4:5], 3, v[0:1]
	s_clause 0x4
	global_store_b64 v[6:7], v[8:9], off
	global_store_b64 v[10:11], v[40:41], off
	;; [unrolled: 1-line block ×5, first 2 shown]
.LBB92_988:
	s_sendmsg sendmsg(MSG_DEALLOC_VGPRS)
	s_endpgm
	.section	.rodata,"a",@progbits
	.p2align	6, 0x0
	.amdhsa_kernel _ZN9rocsolver6v33100L18getf2_small_kernelILi47E19rocblas_complex_numIfEiiPS3_EEvT1_T3_lS5_lPS5_llPT2_S5_S5_S7_l
		.amdhsa_group_segment_fixed_size 0
		.amdhsa_private_segment_fixed_size 0
		.amdhsa_kernarg_size 352
		.amdhsa_user_sgpr_count 2
		.amdhsa_user_sgpr_dispatch_ptr 0
		.amdhsa_user_sgpr_queue_ptr 0
		.amdhsa_user_sgpr_kernarg_segment_ptr 1
		.amdhsa_user_sgpr_dispatch_id 0
		.amdhsa_user_sgpr_kernarg_preload_length 0
		.amdhsa_user_sgpr_kernarg_preload_offset 0
		.amdhsa_user_sgpr_private_segment_size 0
		.amdhsa_wavefront_size32 1
		.amdhsa_uses_dynamic_stack 0
		.amdhsa_enable_private_segment 0
		.amdhsa_system_sgpr_workgroup_id_x 1
		.amdhsa_system_sgpr_workgroup_id_y 1
		.amdhsa_system_sgpr_workgroup_id_z 0
		.amdhsa_system_sgpr_workgroup_info 0
		.amdhsa_system_vgpr_workitem_id 1
		.amdhsa_next_free_vgpr 128
		.amdhsa_next_free_sgpr 19
		.amdhsa_named_barrier_count 0
		.amdhsa_reserve_vcc 1
		.amdhsa_float_round_mode_32 0
		.amdhsa_float_round_mode_16_64 0
		.amdhsa_float_denorm_mode_32 3
		.amdhsa_float_denorm_mode_16_64 3
		.amdhsa_fp16_overflow 0
		.amdhsa_memory_ordered 1
		.amdhsa_forward_progress 1
		.amdhsa_inst_pref_size 255
		.amdhsa_round_robin_scheduling 0
		.amdhsa_exception_fp_ieee_invalid_op 0
		.amdhsa_exception_fp_denorm_src 0
		.amdhsa_exception_fp_ieee_div_zero 0
		.amdhsa_exception_fp_ieee_overflow 0
		.amdhsa_exception_fp_ieee_underflow 0
		.amdhsa_exception_fp_ieee_inexact 0
		.amdhsa_exception_int_div_zero 0
	.end_amdhsa_kernel
	.section	.text._ZN9rocsolver6v33100L18getf2_small_kernelILi47E19rocblas_complex_numIfEiiPS3_EEvT1_T3_lS5_lPS5_llPT2_S5_S5_S7_l,"axG",@progbits,_ZN9rocsolver6v33100L18getf2_small_kernelILi47E19rocblas_complex_numIfEiiPS3_EEvT1_T3_lS5_lPS5_llPT2_S5_S5_S7_l,comdat
.Lfunc_end92:
	.size	_ZN9rocsolver6v33100L18getf2_small_kernelILi47E19rocblas_complex_numIfEiiPS3_EEvT1_T3_lS5_lPS5_llPT2_S5_S5_S7_l, .Lfunc_end92-_ZN9rocsolver6v33100L18getf2_small_kernelILi47E19rocblas_complex_numIfEiiPS3_EEvT1_T3_lS5_lPS5_llPT2_S5_S5_S7_l
                                        ; -- End function
	.set _ZN9rocsolver6v33100L18getf2_small_kernelILi47E19rocblas_complex_numIfEiiPS3_EEvT1_T3_lS5_lPS5_llPT2_S5_S5_S7_l.num_vgpr, 128
	.set _ZN9rocsolver6v33100L18getf2_small_kernelILi47E19rocblas_complex_numIfEiiPS3_EEvT1_T3_lS5_lPS5_llPT2_S5_S5_S7_l.num_agpr, 0
	.set _ZN9rocsolver6v33100L18getf2_small_kernelILi47E19rocblas_complex_numIfEiiPS3_EEvT1_T3_lS5_lPS5_llPT2_S5_S5_S7_l.numbered_sgpr, 19
	.set _ZN9rocsolver6v33100L18getf2_small_kernelILi47E19rocblas_complex_numIfEiiPS3_EEvT1_T3_lS5_lPS5_llPT2_S5_S5_S7_l.num_named_barrier, 0
	.set _ZN9rocsolver6v33100L18getf2_small_kernelILi47E19rocblas_complex_numIfEiiPS3_EEvT1_T3_lS5_lPS5_llPT2_S5_S5_S7_l.private_seg_size, 0
	.set _ZN9rocsolver6v33100L18getf2_small_kernelILi47E19rocblas_complex_numIfEiiPS3_EEvT1_T3_lS5_lPS5_llPT2_S5_S5_S7_l.uses_vcc, 1
	.set _ZN9rocsolver6v33100L18getf2_small_kernelILi47E19rocblas_complex_numIfEiiPS3_EEvT1_T3_lS5_lPS5_llPT2_S5_S5_S7_l.uses_flat_scratch, 0
	.set _ZN9rocsolver6v33100L18getf2_small_kernelILi47E19rocblas_complex_numIfEiiPS3_EEvT1_T3_lS5_lPS5_llPT2_S5_S5_S7_l.has_dyn_sized_stack, 0
	.set _ZN9rocsolver6v33100L18getf2_small_kernelILi47E19rocblas_complex_numIfEiiPS3_EEvT1_T3_lS5_lPS5_llPT2_S5_S5_S7_l.has_recursion, 0
	.set _ZN9rocsolver6v33100L18getf2_small_kernelILi47E19rocblas_complex_numIfEiiPS3_EEvT1_T3_lS5_lPS5_llPT2_S5_S5_S7_l.has_indirect_call, 0
	.section	.AMDGPU.csdata,"",@progbits
; Kernel info:
; codeLenInByte = 109836
; TotalNumSgprs: 21
; NumVgprs: 128
; ScratchSize: 0
; MemoryBound: 0
; FloatMode: 240
; IeeeMode: 1
; LDSByteSize: 0 bytes/workgroup (compile time only)
; SGPRBlocks: 0
; VGPRBlocks: 7
; NumSGPRsForWavesPerEU: 21
; NumVGPRsForWavesPerEU: 128
; NamedBarCnt: 0
; Occupancy: 8
; WaveLimiterHint : 0
; COMPUTE_PGM_RSRC2:SCRATCH_EN: 0
; COMPUTE_PGM_RSRC2:USER_SGPR: 2
; COMPUTE_PGM_RSRC2:TRAP_HANDLER: 0
; COMPUTE_PGM_RSRC2:TGID_X_EN: 1
; COMPUTE_PGM_RSRC2:TGID_Y_EN: 1
; COMPUTE_PGM_RSRC2:TGID_Z_EN: 0
; COMPUTE_PGM_RSRC2:TIDIG_COMP_CNT: 1
	.section	.text._ZN9rocsolver6v33100L23getf2_npvt_small_kernelILi47E19rocblas_complex_numIfEiiPS3_EEvT1_T3_lS5_lPT2_S5_S5_,"axG",@progbits,_ZN9rocsolver6v33100L23getf2_npvt_small_kernelILi47E19rocblas_complex_numIfEiiPS3_EEvT1_T3_lS5_lPT2_S5_S5_,comdat
	.globl	_ZN9rocsolver6v33100L23getf2_npvt_small_kernelILi47E19rocblas_complex_numIfEiiPS3_EEvT1_T3_lS5_lPT2_S5_S5_ ; -- Begin function _ZN9rocsolver6v33100L23getf2_npvt_small_kernelILi47E19rocblas_complex_numIfEiiPS3_EEvT1_T3_lS5_lPT2_S5_S5_
	.p2align	8
	.type	_ZN9rocsolver6v33100L23getf2_npvt_small_kernelILi47E19rocblas_complex_numIfEiiPS3_EEvT1_T3_lS5_lPT2_S5_S5_,@function
_ZN9rocsolver6v33100L23getf2_npvt_small_kernelILi47E19rocblas_complex_numIfEiiPS3_EEvT1_T3_lS5_lPT2_S5_S5_: ; @_ZN9rocsolver6v33100L23getf2_npvt_small_kernelILi47E19rocblas_complex_numIfEiiPS3_EEvT1_T3_lS5_lPT2_S5_S5_
; %bb.0:
	s_clause 0x1
	s_load_u16 s14, s[0:1], 0x46
	s_load_b64 s[2:3], s[0:1], 0x30
	s_bfe_u32 s4, ttmp6, 0x40010
	s_bfe_u32 s5, ttmp6, 0x40004
	s_add_co_i32 s4, s4, 1
	s_getreg_b32 s6, hwreg(HW_REG_IB_STS2, 6, 4)
	s_mul_i32 s4, ttmp7, s4
	v_bfe_u32 v34, v0, 10, 10
	s_add_co_i32 s5, s5, s4
	s_cmp_eq_u32 s6, 0
	s_cselect_b32 s4, ttmp7, s5
	s_wait_kmcnt 0x0
	v_mad_u32 v184, s4, s14, v34
	s_delay_alu instid0(VALU_DEP_1)
	v_cmp_gt_i32_e32 vcc_lo, s2, v184
	s_and_saveexec_b32 s2, vcc_lo
	s_cbranch_execz .LBB93_426
; %bb.1:
	s_clause 0x1
	s_load_b32 s12, s[0:1], 0x18
	s_load_b128 s[8:11], s[0:1], 0x8
	v_and_b32_e32 v36, 0x3ff, v0
	s_load_b128 s[4:7], s[0:1], 0x20
	s_mulk_i32 s14, 0x178
	v_dual_ashrrev_i32 v185, 31, v184 :: v_dual_mov_b32 v31, 0
	s_wait_xcnt 0x0
	v_cmp_ne_u32_e64 s1, 0, v36
	v_cmp_eq_u32_e64 s0, 0, v36
	s_wait_kmcnt 0x0
	v_add3_u32 v28, s12, s12, v36
	s_ashr_i32 s13, s12, 31
	v_mul_u64_e32 v[16:17], s[4:5], v[184:185]
	s_delay_alu instid0(VALU_DEP_2) | instskip(NEXT) | instid1(VALU_DEP_1)
	v_add_nc_u32_e32 v14, s12, v28
	v_add_nc_u32_e32 v18, s12, v14
	s_delay_alu instid0(VALU_DEP_1) | instskip(NEXT) | instid1(VALU_DEP_1)
	v_dual_add_nc_u32 v20, s12, v18 :: v_dual_lshlrev_b32 v30, 3, v36
	v_dual_ashrrev_i32 v15, 31, v14 :: v_dual_add_nc_u32 v22, s12, v20
	v_dual_ashrrev_i32 v29, 31, v28 :: v_dual_ashrrev_i32 v19, 31, v18
	s_delay_alu instid0(VALU_DEP_2) | instskip(NEXT) | instid1(VALU_DEP_1)
	v_dual_add_nc_u32 v24, s12, v22 :: v_dual_ashrrev_i32 v23, 31, v22
	v_add_nc_u32_e32 v26, s12, v24
	s_delay_alu instid0(VALU_DEP_1) | instskip(SKIP_1) | instid1(VALU_DEP_2)
	v_add_nc_u32_e32 v12, s12, v26
	v_lshl_add_u64 v[16:17], v[16:17], 3, s[8:9]
	v_add_nc_u32_e32 v8, s12, v12
	s_delay_alu instid0(VALU_DEP_2) | instskip(NEXT) | instid1(VALU_DEP_2)
	v_lshl_add_u64 v[52:53], s[10:11], 3, v[16:17]
	v_add_nc_u32_e32 v0, s12, v8
	s_delay_alu instid0(VALU_DEP_2)
	v_add_nc_u64_e32 v[16:17], v[52:53], v[30:31]
	v_lshl_add_u64 v[96:97], v[14:15], 3, v[52:53]
	v_lshl_add_u64 v[100:101], v[18:19], 3, v[52:53]
	;; [unrolled: 1-line block ×3, first 2 shown]
	v_add_nc_u32_e32 v4, s12, v0
	v_lshl_add_u64 v[72:73], v[22:23], 3, v[52:53]
	v_ashrrev_i32_e32 v1, 31, v0
	v_lshl_add_u64 v[118:119], s[12:13], 3, v[16:17]
	s_delay_alu instid0(VALU_DEP_4) | instskip(NEXT) | instid1(VALU_DEP_3)
	v_add_nc_u32_e32 v2, s12, v4
	v_lshl_add_u64 v[114:115], v[0:1], 3, v[52:53]
	s_delay_alu instid0(VALU_DEP_2) | instskip(SKIP_1) | instid1(VALU_DEP_2)
	v_dual_add_nc_u32 v6, s12, v2 :: v_dual_ashrrev_i32 v25, 31, v24
	v_ashrrev_i32_e32 v27, 31, v26
	v_dual_add_nc_u32 v10, s12, v6 :: v_dual_ashrrev_i32 v9, 31, v8
	s_delay_alu instid0(VALU_DEP_2) | instskip(NEXT) | instid1(VALU_DEP_4)
	v_lshl_add_u64 v[78:79], v[26:27], 3, v[52:53]
	v_lshl_add_u64 v[76:77], v[24:25], 3, v[52:53]
	v_ashrrev_i32_e32 v7, 31, v6
	s_delay_alu instid0(VALU_DEP_4)
	v_add_nc_u32_e32 v40, s12, v10
	v_lshl_add_u64 v[104:105], v[8:9], 3, v[52:53]
	v_ashrrev_i32_e32 v3, 31, v2
	v_ashrrev_i32_e32 v11, 31, v10
	v_lshl_add_u64 v[130:131], v[6:7], 3, v[52:53]
	v_add_nc_u32_e32 v50, s12, v40
	v_ashrrev_i32_e32 v21, 31, v20
	v_lshl_add_u64 v[120:121], v[2:3], 3, v[52:53]
	v_ashrrev_i32_e32 v41, 31, v40
	v_lshl_add_u64 v[132:133], v[10:11], 3, v[52:53]
	v_dual_add_nc_u32 v54, s12, v50 :: v_dual_ashrrev_i32 v13, 31, v12
	v_lshl_add_u64 v[56:57], v[20:21], 3, v[52:53]
	v_ashrrev_i32_e32 v51, 31, v50
	v_lshl_add_u64 v[134:135], v[40:41], 3, v[52:53]
	s_delay_alu instid0(VALU_DEP_4)
	v_add_nc_u32_e32 v30, s12, v54
	v_lshl_add_u64 v[102:103], v[12:13], 3, v[52:53]
	s_clause 0x3
	global_load_b64 v[38:39], v[100:101], off
	global_load_b64 v[32:33], v[56:57], off
	;; [unrolled: 1-line block ×4, first 2 shown]
	v_lshl_add_u64 v[136:137], v[50:51], 3, v[52:53]
	s_clause 0x3
	global_load_b64 v[62:63], v[16:17], off
	global_load_b64 v[98:99], v[118:119], off
	;; [unrolled: 1-line block ×4, first 2 shown]
	v_add_nc_u32_e32 v14, s12, v30
	s_clause 0x3
	global_load_b64 v[82:83], v[78:79], off
	global_load_b64 v[80:81], v[102:103], off
	;; [unrolled: 1-line block ×4, first 2 shown]
	v_mad_u32_u24 v40, 0x178, v34, 0
	v_dual_add_nc_u32 v12, s12, v14 :: v_dual_ashrrev_i32 v15, 31, v14
	s_delay_alu instid0(VALU_DEP_1) | instskip(SKIP_1) | instid1(VALU_DEP_3)
	v_add_nc_u32_e32 v18, s12, v12
	v_ashrrev_i32_e32 v5, 31, v4
	v_lshl_add_u64 v[150:151], v[14:15], 3, v[52:53]
	s_delay_alu instid0(VALU_DEP_3) | instskip(NEXT) | instid1(VALU_DEP_3)
	v_dual_ashrrev_i32 v13, 31, v12 :: v_dual_add_nc_u32 v8, s12, v18
	v_lshl_add_u64 v[116:117], v[4:5], 3, v[52:53]
	v_ashrrev_i32_e32 v31, 31, v30
	s_clause 0x3
	global_load_b64 v[48:49], v[116:117], off
	global_load_b64 v[44:45], v[120:121], off
	;; [unrolled: 1-line block ×4, first 2 shown]
	v_dual_add_nc_u32 v0, s12, v8 :: v_dual_ashrrev_i32 v9, 31, v8
	v_lshl_add_u64 v[148:149], v[30:31], 3, v[52:53]
	v_lshl_add_u64 v[152:153], v[12:13], 3, v[52:53]
	s_delay_alu instid0(VALU_DEP_3) | instskip(NEXT) | instid1(VALU_DEP_4)
	v_dual_add_nc_u32 v4, s12, v0 :: v_dual_ashrrev_i32 v19, 31, v18
	v_lshl_add_u64 v[164:165], v[8:9], 3, v[52:53]
	v_ashrrev_i32_e32 v1, 31, v0
	s_delay_alu instid0(VALU_DEP_3) | instskip(NEXT) | instid1(VALU_DEP_4)
	v_dual_add_nc_u32 v2, s12, v4 :: v_dual_ashrrev_i32 v5, 31, v4
	v_lshl_add_u64 v[154:155], v[18:19], 3, v[52:53]
	s_delay_alu instid0(VALU_DEP_3) | instskip(NEXT) | instid1(VALU_DEP_3)
	v_lshl_add_u64 v[166:167], v[0:1], 3, v[52:53]
	v_add_nc_u32_e32 v6, s12, v2
	s_delay_alu instid0(VALU_DEP_4) | instskip(NEXT) | instid1(VALU_DEP_2)
	v_lshl_add_u64 v[168:169], v[4:5], 3, v[52:53]
	v_add_nc_u32_e32 v10, s12, v6
	v_ashrrev_i32_e32 v3, 31, v2
	s_delay_alu instid0(VALU_DEP_2) | instskip(SKIP_2) | instid1(VALU_DEP_4)
	v_add_nc_u32_e32 v20, s12, v10
	v_ashrrev_i32_e32 v55, 31, v54
	v_ashrrev_i32_e32 v11, 31, v10
	v_lshl_add_u64 v[170:171], v[2:3], 3, v[52:53]
	s_delay_alu instid0(VALU_DEP_4) | instskip(NEXT) | instid1(VALU_DEP_3)
	v_dual_add_nc_u32 v14, s12, v20 :: v_dual_ashrrev_i32 v21, 31, v20
	v_lshl_add_u64 v[190:191], v[10:11], 3, v[52:53]
	v_lshl_add_u64 v[146:147], v[54:55], 3, v[52:53]
	s_clause 0x3
	global_load_b64 v[70:71], v[134:135], off
	global_load_b64 v[66:67], v[136:137], off
	;; [unrolled: 1-line block ×4, first 2 shown]
	v_add_nc_u32_e32 v22, s12, v14
	v_lshl_add_u64 v[18:19], v[20:21], 3, v[52:53]
	s_clause 0x3
	global_load_b64 v[94:95], v[150:151], off
	global_load_b64 v[90:91], v[152:153], off
	;; [unrolled: 1-line block ×4, first 2 shown]
	v_ashrrev_i32_e32 v15, 31, v14
	v_add_nc_u32_e32 v12, s12, v22
	s_delay_alu instid0(VALU_DEP_2) | instskip(NEXT) | instid1(VALU_DEP_2)
	v_lshl_add_u64 v[14:15], v[14:15], 3, v[52:53]
	v_dual_add_nc_u32 v0, s12, v12 :: v_dual_ashrrev_i32 v23, 31, v22
	s_delay_alu instid0(VALU_DEP_1) | instskip(SKIP_1) | instid1(VALU_DEP_3)
	v_dual_ashrrev_i32 v1, 31, v0 :: v_dual_add_nc_u32 v8, s12, v0
	v_dual_ashrrev_i32 v7, 31, v6 :: v_dual_ashrrev_i32 v13, 31, v12
	v_lshl_add_u64 v[20:21], v[22:23], 3, v[52:53]
	s_delay_alu instid0(VALU_DEP_3) | instskip(NEXT) | instid1(VALU_DEP_3)
	v_add_nc_u32_e32 v4, s12, v8
	v_lshl_add_u64 v[172:173], v[6:7], 3, v[52:53]
	s_clause 0x3
	global_load_b64 v[112:113], v[166:167], off
	global_load_b64 v[108:109], v[168:169], off
	;; [unrolled: 1-line block ×4, first 2 shown]
	s_clause 0x1
	scratch_store_b64 off, v[18:19], off
	scratch_store_b64 off, v[14:15], off offset:8
	v_add_nc_u32_e32 v2, s12, v4
	v_lshl_add_u64 v[22:23], v[12:13], 3, v[52:53]
	s_clause 0x1
	global_load_b64 v[124:125], v[18:19], off
	global_load_b64 v[122:123], v[20:21], off
	v_dual_ashrrev_i32 v5, 31, v4 :: v_dual_ashrrev_i32 v3, 31, v2
	v_add_nc_u32_e32 v6, s12, v2
	s_clause 0x1
	scratch_store_b64 off, v[20:21], off offset:16
	scratch_store_b64 off, v[22:23], off offset:24
	v_ashrrev_i32_e32 v9, 31, v8
	s_clause 0x1
	global_load_b64 v[144:145], v[22:23], off
	global_load_b64 v[126:127], v[14:15], off
	v_add_nc_u32_e32 v10, s12, v6
	s_wait_xcnt 0x5
	v_lshl_add_u64 v[18:19], v[0:1], 3, v[52:53]
	v_lshl_add_u64 v[8:9], v[8:9], 3, v[52:53]
	;; [unrolled: 1-line block ×3, first 2 shown]
	s_wait_xcnt 0x3
	v_lshl_add_u64 v[20:21], v[2:3], 3, v[52:53]
	v_add_nc_u32_e32 v12, s12, v10
	s_clause 0x3
	scratch_store_b64 off, v[18:19], off offset:32
	scratch_store_b64 off, v[8:9], off offset:40
	;; [unrolled: 1-line block ×4, first 2 shown]
	s_wait_xcnt 0x4
	v_dual_add_nc_u32 v14, s12, v12 :: v_dual_ashrrev_i32 v11, 31, v10
	v_ashrrev_i32_e32 v13, 31, v12
	s_clause 0x1
	global_load_b64 v[142:143], v[8:9], off
	global_load_b64 v[140:141], v[18:19], off
	v_add_nc_u32_e32 v0, s12, v14
	v_ashrrev_i32_e32 v7, 31, v6
	v_ashrrev_i32_e32 v15, 31, v14
	v_lshl_add_u64 v[10:11], v[10:11], 3, v[52:53]
	v_lshl_add_u64 v[12:13], v[12:13], 3, v[52:53]
	v_dual_add_nc_u32 v2, s12, v0 :: v_dual_ashrrev_i32 v1, 31, v0
	s_delay_alu instid0(VALU_DEP_4)
	v_lshl_add_u64 v[14:15], v[14:15], 3, v[52:53]
	s_clause 0x2
	global_load_b64 v[160:161], v[10:11], off
	global_load_b64 v[156:157], v[12:13], off
	;; [unrolled: 1-line block ×3, first 2 shown]
	s_wait_xcnt 0x0
	v_add_nc_u32_e32 v4, s12, v2
	global_load_b64 v[182:183], v[14:15], off
	v_lshl_add_u64 v[18:19], v[6:7], 3, v[52:53]
	s_clause 0x2
	scratch_store_b64 off, v[10:11], off offset:72
	scratch_store_b64 off, v[12:13], off offset:80
	;; [unrolled: 1-line block ×3, first 2 shown]
	v_add_nc_u32_e32 v6, s12, v4
	scratch_store_b64 off, v[18:19], off offset:64 ; 8-byte Folded Spill
	s_wait_xcnt 0x3
	v_lshl_add_u64 v[10:11], v[0:1], 3, v[52:53]
	v_ashrrev_i32_e32 v5, 31, v4
	s_clause 0x2
	global_load_b64 v[128:129], v[190:191], off
	global_load_b64 v[162:163], v[20:21], off
	;; [unrolled: 1-line block ×3, first 2 shown]
	v_add_nc_u32_e32 v8, s12, v6
	v_ashrrev_i32_e32 v3, 31, v2
	v_lshl_add_u64 v[4:5], v[4:5], 3, v[52:53]
	global_load_b64 v[176:177], v[10:11], off
	v_dual_add_nc_u32 v0, s12, v8 :: v_dual_ashrrev_i32 v7, 31, v6
	v_ashrrev_i32_e32 v9, 31, v8
	v_lshl_add_u64 v[2:3], v[2:3], 3, v[52:53]
	global_load_b64 v[174:175], v[4:5], off
	v_ashrrev_i32_e32 v1, 31, v0
	v_lshl_add_u64 v[6:7], v[6:7], 3, v[52:53]
	v_lshl_add_u64 v[8:9], v[8:9], 3, v[52:53]
	global_load_b64 v[180:181], v[2:3], off
	scratch_store_b64 off, v[4:5], off offset:120 ; 8-byte Folded Spill
	v_lshl_add_u64 v[0:1], v[0:1], 3, v[52:53]
	s_clause 0x1
	global_load_b64 v[178:179], v[6:7], off
	global_load_b64 v[186:187], v[8:9], off
	s_clause 0x2
	scratch_store_b64 off, v[10:11], off offset:96
	scratch_store_b64 off, v[2:3], off offset:112
	scratch_store_b64 off, v[0:1], off offset:104
	global_load_b64 v[188:189], v[0:1], off
	s_wait_xcnt 0x0
	v_lshlrev_b32_e32 v0, 3, v34
	s_clause 0x1
	scratch_store_b64 off, v[6:7], off offset:128
	scratch_store_b64 off, v[8:9], off offset:136
	v_add3_u32 v37, 0, s14, v0
	s_wait_xcnt 0x0
	s_and_saveexec_b32 s4, s0
	s_cbranch_execz .LBB93_8
; %bb.2:
	s_wait_loadcnt 0x2a
	ds_store_b64 v37, v[62:63]
	s_wait_loadcnt 0x28
	ds_store_2addr_b64 v40, v[98:99], v[86:87] offset0:1 offset1:2
	s_wait_loadcnt 0x27
	ds_store_2addr_b64 v40, v[84:85], v[38:39] offset0:3 offset1:4
	ds_store_2addr_b64 v40, v[32:33], v[60:61] offset0:5 offset1:6
	s_wait_loadcnt 0x26
	ds_store_2addr_b64 v40, v[58:59], v[82:83] offset0:7 offset1:8
	s_wait_loadcnt 0x24
	;; [unrolled: 2-line block ×11, first 2 shown]
	ds_store_2addr_b64 v40, v[106:107], v[128:129] offset0:27 offset1:28
	ds_store_2addr_b64 v40, v[124:125], v[126:127] offset0:29 offset1:30
	;; [unrolled: 1-line block ×4, first 2 shown]
	s_wait_loadcnt 0x7
	ds_store_2addr_b64 v40, v[138:139], v[162:163] offset0:35 offset1:36
	s_wait_loadcnt 0x6
	ds_store_2addr_b64 v40, v[158:159], v[160:161] offset0:37 offset1:38
	ds_store_2addr_b64 v40, v[156:157], v[182:183] offset0:39 offset1:40
	s_wait_loadcnt 0x3
	ds_store_2addr_b64 v40, v[176:177], v[180:181] offset0:41 offset1:42
	s_wait_loadcnt 0x2
	;; [unrolled: 2-line block ×3, first 2 shown]
	ds_store_2addr_b64 v40, v[186:187], v[188:189] offset0:45 offset1:46
	ds_load_b64 v[0:1], v37
	s_wait_dscnt 0x0
	v_cmp_neq_f32_e32 vcc_lo, 0, v0
	v_cmp_neq_f32_e64 s2, 0, v1
	s_or_b32 s2, vcc_lo, s2
	s_delay_alu instid0(SALU_CYCLE_1)
	s_and_b32 exec_lo, exec_lo, s2
	s_cbranch_execz .LBB93_8
; %bb.3:
	v_cmp_ngt_f32_e64 s2, |v0|, |v1|
                                        ; implicit-def: $vgpr2_vgpr3
	s_and_saveexec_b32 s5, s2
	s_delay_alu instid0(SALU_CYCLE_1)
	s_xor_b32 s2, exec_lo, s5
	s_cbranch_execz .LBB93_5
; %bb.4:
	v_div_scale_f32 v2, null, v1, v1, v0
	v_div_scale_f32 v5, vcc_lo, v0, v1, v0
	s_delay_alu instid0(VALU_DEP_2) | instskip(SKIP_1) | instid1(TRANS32_DEP_1)
	v_rcp_f32_e32 v3, v2
	v_nop
	v_fma_f32 v4, -v2, v3, 1.0
	s_delay_alu instid0(VALU_DEP_1) | instskip(NEXT) | instid1(VALU_DEP_1)
	v_fmac_f32_e32 v3, v4, v3
	v_mul_f32_e32 v4, v5, v3
	s_delay_alu instid0(VALU_DEP_1) | instskip(NEXT) | instid1(VALU_DEP_1)
	v_fma_f32 v6, -v2, v4, v5
	v_fmac_f32_e32 v4, v6, v3
	s_delay_alu instid0(VALU_DEP_1) | instskip(NEXT) | instid1(VALU_DEP_1)
	v_fma_f32 v2, -v2, v4, v5
	v_div_fmas_f32 v2, v2, v3, v4
	s_delay_alu instid0(VALU_DEP_1) | instskip(NEXT) | instid1(VALU_DEP_1)
	v_div_fixup_f32 v2, v2, v1, v0
	v_fmac_f32_e32 v1, v0, v2
	s_delay_alu instid0(VALU_DEP_1) | instskip(SKIP_1) | instid1(VALU_DEP_2)
	v_div_scale_f32 v0, null, v1, v1, 1.0
	v_div_scale_f32 v5, vcc_lo, 1.0, v1, 1.0
	v_rcp_f32_e32 v3, v0
	v_nop
	s_delay_alu instid0(TRANS32_DEP_1) | instskip(NEXT) | instid1(VALU_DEP_1)
	v_fma_f32 v4, -v0, v3, 1.0
	v_fmac_f32_e32 v3, v4, v3
	s_delay_alu instid0(VALU_DEP_1) | instskip(NEXT) | instid1(VALU_DEP_1)
	v_mul_f32_e32 v4, v5, v3
	v_fma_f32 v6, -v0, v4, v5
	s_delay_alu instid0(VALU_DEP_1) | instskip(NEXT) | instid1(VALU_DEP_1)
	v_fmac_f32_e32 v4, v6, v3
	v_fma_f32 v0, -v0, v4, v5
	s_delay_alu instid0(VALU_DEP_1) | instskip(NEXT) | instid1(VALU_DEP_1)
	v_div_fmas_f32 v0, v0, v3, v4
	v_div_fixup_f32 v0, v0, v1, 1.0
	s_delay_alu instid0(VALU_DEP_1)
	v_mul_f32_e32 v2, v2, v0
	v_xor_b32_e32 v3, 0x80000000, v0
                                        ; implicit-def: $vgpr0_vgpr1
.LBB93_5:
	s_and_not1_saveexec_b32 s2, s2
	s_cbranch_execz .LBB93_7
; %bb.6:
	v_div_scale_f32 v2, null, v0, v0, v1
	v_div_scale_f32 v5, vcc_lo, v1, v0, v1
	s_delay_alu instid0(VALU_DEP_2) | instskip(SKIP_1) | instid1(TRANS32_DEP_1)
	v_rcp_f32_e32 v3, v2
	v_nop
	v_fma_f32 v4, -v2, v3, 1.0
	s_delay_alu instid0(VALU_DEP_1) | instskip(NEXT) | instid1(VALU_DEP_1)
	v_fmac_f32_e32 v3, v4, v3
	v_mul_f32_e32 v4, v5, v3
	s_delay_alu instid0(VALU_DEP_1) | instskip(NEXT) | instid1(VALU_DEP_1)
	v_fma_f32 v6, -v2, v4, v5
	v_fmac_f32_e32 v4, v6, v3
	s_delay_alu instid0(VALU_DEP_1) | instskip(NEXT) | instid1(VALU_DEP_1)
	v_fma_f32 v2, -v2, v4, v5
	v_div_fmas_f32 v2, v2, v3, v4
	s_delay_alu instid0(VALU_DEP_1) | instskip(NEXT) | instid1(VALU_DEP_1)
	v_div_fixup_f32 v3, v2, v0, v1
	v_fmac_f32_e32 v0, v1, v3
	s_delay_alu instid0(VALU_DEP_1) | instskip(NEXT) | instid1(VALU_DEP_1)
	v_div_scale_f32 v1, null, v0, v0, 1.0
	v_rcp_f32_e32 v2, v1
	v_nop
	s_delay_alu instid0(TRANS32_DEP_1) | instskip(NEXT) | instid1(VALU_DEP_1)
	v_fma_f32 v4, -v1, v2, 1.0
	v_fmac_f32_e32 v2, v4, v2
	v_div_scale_f32 v4, vcc_lo, 1.0, v0, 1.0
	s_delay_alu instid0(VALU_DEP_1) | instskip(NEXT) | instid1(VALU_DEP_1)
	v_mul_f32_e32 v5, v4, v2
	v_fma_f32 v6, -v1, v5, v4
	s_delay_alu instid0(VALU_DEP_1) | instskip(NEXT) | instid1(VALU_DEP_1)
	v_fmac_f32_e32 v5, v6, v2
	v_fma_f32 v1, -v1, v5, v4
	s_delay_alu instid0(VALU_DEP_1) | instskip(NEXT) | instid1(VALU_DEP_1)
	v_div_fmas_f32 v1, v1, v2, v5
	v_div_fixup_f32 v2, v1, v0, 1.0
	s_delay_alu instid0(VALU_DEP_1)
	v_mul_f32_e64 v3, v3, -v2
.LBB93_7:
	s_or_b32 exec_lo, exec_lo, s2
	ds_store_b64 v37, v[2:3]
.LBB93_8:
	s_or_b32 exec_lo, exec_lo, s4
	s_wait_storecnt 0x0
	s_wait_loadcnt_dscnt 0x0
	s_barrier_signal -1
	s_barrier_wait -1
	ds_load_b64 v[0:1], v37
	s_wait_dscnt 0x0
	scratch_store_b64 off, v[0:1], off offset:144 ; 8-byte Folded Spill
	s_wait_xcnt 0x0
	s_and_saveexec_b32 s2, s1
	s_cbranch_execz .LBB93_10
; %bb.9:
	ds_load_2addr_b64 v[4:7], v40 offset0:1 offset1:2
	ds_load_2addr_b64 v[8:11], v40 offset0:3 offset1:4
	;; [unrolled: 1-line block ×3, first 2 shown]
	scratch_load_b64 v[22:23], off, off offset:144 ; 8-byte Folded Reload
	ds_load_2addr_b64 v[18:21], v40 offset0:7 offset1:8
	s_wait_dscnt 0x2
	v_dual_mov_b32 v52, v11 :: v_dual_mov_b32 v53, v10
	s_wait_loadcnt 0x0
	v_pk_mul_f32 v[2:3], v[22:23], v[62:63] op_sel:[1,1] op_sel_hi:[0,1]
	s_delay_alu instid0(VALU_DEP_1)
	v_pk_fma_f32 v[0:1], v[22:23], v[62:63], v[2:3] op_sel_hi:[1,0,1] neg_lo:[0,0,1] neg_hi:[0,0,1]
	v_pk_fma_f32 v[2:3], v[22:23], v[62:63], v[2:3] op_sel_hi:[1,0,1]
	ds_load_2addr_b64 v[22:25], v40 offset0:9 offset1:10
	v_dual_mov_b32 v62, v0 :: v_dual_mov_b32 v63, v3
	v_pk_mul_f32 v[30:31], v[4:5], v[2:3] op_sel:[0,1]
	v_pk_mul_f32 v[34:35], v[6:7], v[2:3] op_sel:[0,1]
	;; [unrolled: 1-line block ×3, first 2 shown]
	v_dual_mul_f32 v192, v11, v3 :: v_dual_mul_f32 v194, v11, v0
	s_wait_dscnt 0x2
	v_pk_mul_f32 v[196:197], v[12:13], v[2:3] op_sel:[0,1]
	v_pk_mul_f32 v[198:199], v[14:15], v[2:3] op_sel:[0,1]
	v_pk_fma_f32 v[202:203], v[4:5], v[0:1], v[30:31] op_sel:[0,0,1] op_sel_hi:[1,1,0] neg_lo:[0,0,1] neg_hi:[0,0,1]
	v_pk_fma_f32 v[4:5], v[4:5], v[0:1], v[30:31] op_sel:[0,0,1] op_sel_hi:[1,0,0]
	v_pk_fma_f32 v[30:31], v[6:7], v[0:1], v[34:35] op_sel:[0,0,1] op_sel_hi:[1,1,0] neg_lo:[0,0,1] neg_hi:[0,0,1]
	v_pk_fma_f32 v[6:7], v[6:7], v[0:1], v[34:35] op_sel:[0,0,1] op_sel_hi:[1,0,0]
	;; [unrolled: 2-line block ×3, first 2 shown]
	s_wait_dscnt 0x1
	v_pk_mul_f32 v[200:201], v[18:19], v[2:3] op_sel:[0,1]
	v_pk_fma_f32 v[50:51], v[52:53], v[62:63], v[194:195] op_sel_hi:[1,1,0]
	v_dual_mov_b32 v203, v5 :: v_dual_mov_b32 v31, v7
	v_mov_b32_e32 v35, v9
	v_pk_fma_f32 v[4:5], v[12:13], v[0:1], v[196:197] op_sel:[0,0,1] op_sel_hi:[1,0,0]
	v_pk_fma_f32 v[8:9], v[12:13], v[0:1], v[196:197] op_sel:[0,0,1] op_sel_hi:[1,1,0] neg_lo:[0,0,1] neg_hi:[0,0,1]
	v_pk_fma_f32 v[12:13], v[14:15], v[0:1], v[198:199] op_sel:[0,0,1] op_sel_hi:[1,0,0]
	v_pk_fma_f32 v[14:15], v[14:15], v[0:1], v[198:199] op_sel:[0,0,1] op_sel_hi:[1,1,0] neg_lo:[0,0,1] neg_hi:[0,0,1]
	v_pk_add_f32 v[86:87], v[86:87], v[30:31] neg_lo:[0,1] neg_hi:[0,1]
	v_mov_b32_e32 v9, v5
	v_pk_fma_f32 v[30:31], v[18:19], v[0:1], v[200:201] op_sel:[0,0,1] op_sel_hi:[1,0,0]
	v_mov_b32_e32 v15, v13
	v_pk_fma_f32 v[12:13], v[18:19], v[0:1], v[200:201] op_sel:[0,0,1] op_sel_hi:[1,1,0] neg_lo:[0,0,1] neg_hi:[0,0,1]
	v_pk_mul_f32 v[18:19], v[20:21], v[2:3] op_sel:[0,1]
	ds_load_2addr_b64 v[4:7], v40 offset0:11 offset1:12
	v_pk_fma_f32 v[10:11], v[10:11], v[62:63], v[192:193] op_sel_hi:[1,1,0] neg_lo:[0,0,1] neg_hi:[0,0,1]
	v_pk_add_f32 v[60:61], v[60:61], v[14:15] neg_lo:[0,1] neg_hi:[0,1]
	v_mov_b32_e32 v11, v51
	v_pk_fma_f32 v[14:15], v[20:21], v[0:1], v[18:19] op_sel:[0,0,1] op_sel_hi:[1,0,0]
	v_mov_b32_e32 v13, v31
	v_pk_fma_f32 v[18:19], v[20:21], v[0:1], v[18:19] op_sel:[0,0,1] op_sel_hi:[1,1,0] neg_lo:[0,0,1] neg_hi:[0,0,1]
	s_wait_dscnt 0x1
	v_pk_mul_f32 v[30:31], v[24:25], v[2:3] op_sel:[0,1]
	v_pk_add_f32 v[38:39], v[38:39], v[10:11] neg_lo:[0,1] neg_hi:[0,1]
	v_mov_b32_e32 v19, v15
	v_pk_add_f32 v[58:59], v[58:59], v[12:13] neg_lo:[0,1] neg_hi:[0,1]
	v_dual_mul_f32 v12, v23, v0 :: v_dual_mul_f32 v14, v23, v3
	v_pk_add_f32 v[32:33], v[32:33], v[8:9] neg_lo:[0,1] neg_hi:[0,1]
	ds_load_2addr_b64 v[8:11], v40 offset0:13 offset1:14
	v_pk_fma_f32 v[20:21], v[24:25], v[0:1], v[30:31] op_sel:[0,0,1] op_sel_hi:[1,0,0]
	v_pk_fma_f32 v[12:13], v[22:23], v[62:63], v[12:13] op_sel:[1,0,0] op_sel_hi:[0,1,0]
	v_pk_fma_f32 v[14:15], v[22:23], v[62:63], v[14:15] op_sel_hi:[1,1,0] neg_lo:[0,0,1] neg_hi:[0,0,1]
	v_pk_add_f32 v[82:83], v[82:83], v[18:19] neg_lo:[0,1] neg_hi:[0,1]
	v_pk_add_f32 v[84:85], v[84:85], v[34:35] neg_lo:[0,1] neg_hi:[0,1]
	s_wait_dscnt 0x1
	v_pk_mul_f32 v[22:23], v[4:5], v[2:3] op_sel:[0,1]
	v_mov_b32_e32 v15, v13
	v_pk_fma_f32 v[12:13], v[24:25], v[0:1], v[30:31] op_sel:[0,0,1] op_sel_hi:[1,1,0] neg_lo:[0,0,1] neg_hi:[0,0,1]
	v_mov_b32_e32 v13, v21
	v_pk_mul_f32 v[20:21], v[6:7], v[2:3] op_sel:[0,1]
	v_pk_fma_f32 v[18:19], v[4:5], v[0:1], v[22:23] op_sel:[0,0,1] op_sel_hi:[1,0,0]
	v_pk_add_f32 v[80:81], v[80:81], v[14:15] neg_lo:[0,1] neg_hi:[0,1]
	v_pk_fma_f32 v[22:23], v[4:5], v[0:1], v[22:23] op_sel:[0,0,1] op_sel_hi:[1,1,0] neg_lo:[0,0,1] neg_hi:[0,0,1]
	v_pk_add_f32 v[28:29], v[28:29], v[12:13] neg_lo:[0,1] neg_hi:[0,1]
	ds_load_2addr_b64 v[12:15], v40 offset0:15 offset1:16
	v_mov_b32_e32 v23, v19
	v_pk_fma_f32 v[18:19], v[6:7], v[0:1], v[20:21] op_sel:[0,0,1] op_sel_hi:[1,1,0] neg_lo:[0,0,1] neg_hi:[0,0,1]
	v_pk_fma_f32 v[20:21], v[6:7], v[0:1], v[20:21] op_sel:[0,0,1] op_sel_hi:[1,0,0]
	ds_load_2addr_b64 v[4:7], v40 offset0:17 offset1:18
	s_wait_dscnt 0x2
	v_pk_mul_f32 v[24:25], v[8:9], v[2:3] op_sel:[0,1]
	v_dual_mov_b32 v30, v11 :: v_dual_mov_b32 v31, v10
	v_dual_mul_f32 v20, v11, v0 :: v_dual_mov_b32 v19, v21
	v_pk_add_f32 v[26:27], v[26:27], v[22:23] neg_lo:[0,1] neg_hi:[0,1]
	s_delay_alu instid0(VALU_DEP_4) | instskip(SKIP_1) | instid1(VALU_DEP_4)
	v_pk_fma_f32 v[22:23], v[8:9], v[0:1], v[24:25] op_sel:[0,0,1] op_sel_hi:[1,0,0]
	v_mul_f32_e32 v22, v11, v3
	v_pk_fma_f32 v[20:21], v[30:31], v[62:63], v[20:21] op_sel_hi:[1,1,0]
	v_pk_add_f32 v[48:49], v[48:49], v[18:19] neg_lo:[0,1] neg_hi:[0,1]
	v_pk_fma_f32 v[18:19], v[8:9], v[0:1], v[24:25] op_sel:[0,0,1] op_sel_hi:[1,1,0] neg_lo:[0,0,1] neg_hi:[0,0,1]
	v_mov_b32_e32 v19, v23
	v_pk_fma_f32 v[22:23], v[10:11], v[62:63], v[22:23] op_sel_hi:[1,1,0] neg_lo:[0,0,1] neg_hi:[0,0,1]
	v_mov_b32_e32 v23, v21
	ds_load_2addr_b64 v[8:11], v40 offset0:19 offset1:20
	s_wait_dscnt 0x2
	v_pk_mul_f32 v[24:25], v[12:13], v[2:3] op_sel:[0,1]
	v_pk_mul_f32 v[30:31], v[14:15], v[2:3] op_sel:[0,1]
	v_pk_add_f32 v[44:45], v[44:45], v[18:19] neg_lo:[0,1] neg_hi:[0,1]
	v_pk_add_f32 v[46:47], v[46:47], v[22:23] neg_lo:[0,1] neg_hi:[0,1]
	s_wait_dscnt 0x1
	v_pk_mul_f32 v[34:35], v[4:5], v[2:3] op_sel:[0,1]
	v_pk_fma_f32 v[22:23], v[12:13], v[0:1], v[24:25] op_sel:[0,0,1] op_sel_hi:[1,0,0]
	v_pk_fma_f32 v[50:51], v[14:15], v[0:1], v[30:31] op_sel:[0,0,1] op_sel_hi:[1,0,0]
	ds_load_2addr_b64 v[18:21], v40 offset0:21 offset1:22
	v_pk_fma_f32 v[12:13], v[12:13], v[0:1], v[24:25] op_sel:[0,0,1] op_sel_hi:[1,1,0] neg_lo:[0,0,1] neg_hi:[0,0,1]
	v_pk_fma_f32 v[14:15], v[14:15], v[0:1], v[30:31] op_sel:[0,0,1] op_sel_hi:[1,1,0] neg_lo:[0,0,1] neg_hi:[0,0,1]
	v_dual_mov_b32 v13, v23 :: v_dual_mov_b32 v15, v51
	v_pk_fma_f32 v[22:23], v[4:5], v[0:1], v[34:35] op_sel:[0,0,1] op_sel_hi:[1,0,0]
	v_pk_mul_f32 v[24:25], v[6:7], v[2:3] op_sel:[0,1]
	v_pk_fma_f32 v[4:5], v[4:5], v[0:1], v[34:35] op_sel:[0,0,1] op_sel_hi:[1,1,0] neg_lo:[0,0,1] neg_hi:[0,0,1]
	s_delay_alu instid0(VALU_DEP_4)
	v_pk_add_f32 v[42:43], v[42:43], v[12:13] neg_lo:[0,1] neg_hi:[0,1]
	v_pk_add_f32 v[70:71], v[70:71], v[14:15] neg_lo:[0,1] neg_hi:[0,1]
	v_mov_b32_e32 v5, v23
	v_pk_fma_f32 v[22:23], v[6:7], v[0:1], v[24:25] op_sel:[0,0,1] op_sel_hi:[1,0,0]
	ds_load_2addr_b64 v[12:15], v40 offset0:23 offset1:24
	v_pk_fma_f32 v[6:7], v[6:7], v[0:1], v[24:25] op_sel:[0,0,1] op_sel_hi:[1,1,0] neg_lo:[0,0,1] neg_hi:[0,0,1]
	s_wait_dscnt 0x2
	v_mul_f32_e32 v22, v9, v3
	v_pk_add_f32 v[66:67], v[66:67], v[4:5] neg_lo:[0,1] neg_hi:[0,1]
	v_dual_mul_f32 v4, v9, v0 :: v_dual_mov_b32 v7, v23
	v_pk_mul_f32 v[24:25], v[10:11], v[2:3] op_sel:[0,1]
	v_pk_add_f32 v[98:99], v[98:99], v[202:203] neg_lo:[0,1] neg_hi:[0,1]
	s_wait_dscnt 0x1
	v_pk_mul_f32 v[30:31], v[18:19], v[2:3] op_sel:[0,1]
	v_pk_fma_f32 v[4:5], v[8:9], v[62:63], v[4:5] op_sel:[1,0,0] op_sel_hi:[0,1,0]
	v_pk_fma_f32 v[8:9], v[8:9], v[62:63], v[22:23] op_sel_hi:[1,1,0] neg_lo:[0,0,1] neg_hi:[0,0,1]
	v_pk_fma_f32 v[22:23], v[10:11], v[0:1], v[24:25] op_sel:[0,0,1] op_sel_hi:[1,0,0]
	v_pk_fma_f32 v[10:11], v[10:11], v[0:1], v[24:25] op_sel:[0,0,1] op_sel_hi:[1,1,0] neg_lo:[0,0,1] neg_hi:[0,0,1]
	v_pk_fma_f32 v[34:35], v[18:19], v[0:1], v[30:31] op_sel:[0,0,1] op_sel_hi:[1,0,0]
	v_mov_b32_e32 v9, v5
	v_pk_add_f32 v[68:69], v[68:69], v[6:7] neg_lo:[0,1] neg_hi:[0,1]
	v_mov_b32_e32 v11, v23
	v_pk_mul_f32 v[22:23], v[20:21], v[2:3] op_sel:[0,1]
	ds_load_2addr_b64 v[4:7], v40 offset0:25 offset1:26
	v_pk_fma_f32 v[18:19], v[18:19], v[0:1], v[30:31] op_sel:[0,0,1] op_sel_hi:[1,1,0] neg_lo:[0,0,1] neg_hi:[0,0,1]
	s_wait_dscnt 0x1
	v_pk_mul_f32 v[24:25], v[12:13], v[2:3] op_sel:[0,1]
	v_pk_add_f32 v[64:65], v[64:65], v[8:9] neg_lo:[0,1] neg_hi:[0,1]
	v_pk_fma_f32 v[30:31], v[20:21], v[0:1], v[22:23] op_sel:[0,0,1] op_sel_hi:[1,0,0]
	v_mov_b32_e32 v19, v35
	v_pk_add_f32 v[94:95], v[94:95], v[10:11] neg_lo:[0,1] neg_hi:[0,1]
	ds_load_2addr_b64 v[8:11], v40 offset0:27 offset1:28
	v_pk_fma_f32 v[20:21], v[20:21], v[0:1], v[22:23] op_sel:[0,0,1] op_sel_hi:[1,1,0] neg_lo:[0,0,1] neg_hi:[0,0,1]
	v_mov_b32_e32 v21, v31
	v_pk_add_f32 v[90:91], v[90:91], v[18:19] neg_lo:[0,1] neg_hi:[0,1]
	v_pk_fma_f32 v[18:19], v[12:13], v[0:1], v[24:25] op_sel:[0,0,1] op_sel_hi:[1,0,0]
	v_pk_fma_f32 v[12:13], v[12:13], v[0:1], v[24:25] op_sel:[0,0,1] op_sel_hi:[1,1,0] neg_lo:[0,0,1] neg_hi:[0,0,1]
	v_dual_mov_b32 v18, v15 :: v_dual_mul_f32 v22, v15, v0
	v_pk_add_f32 v[92:93], v[92:93], v[20:21] neg_lo:[0,1] neg_hi:[0,1]
	s_delay_alu instid0(VALU_DEP_4) | instskip(SKIP_2) | instid1(VALU_DEP_2)
	v_dual_mov_b32 v13, v19 :: v_dual_mov_b32 v19, v14
	s_wait_dscnt 0x1
	v_pk_mul_f32 v[24:25], v[4:5], v[2:3] op_sel:[0,1]
	v_pk_add_f32 v[88:89], v[88:89], v[12:13] neg_lo:[0,1] neg_hi:[0,1]
	v_mul_f32_e32 v12, v15, v3
	v_pk_fma_f32 v[22:23], v[18:19], v[62:63], v[22:23] op_sel_hi:[1,1,0]
	v_pk_mul_f32 v[34:35], v[6:7], v[2:3] op_sel:[0,1]
	ds_load_2addr_b64 v[18:21], v40 offset0:29 offset1:30
	v_pk_fma_f32 v[30:31], v[4:5], v[0:1], v[24:25] op_sel:[0,0,1] op_sel_hi:[1,0,0]
	v_pk_fma_f32 v[50:51], v[14:15], v[62:63], v[12:13] op_sel_hi:[1,1,0] neg_lo:[0,0,1] neg_hi:[0,0,1]
	v_mov_b32_e32 v51, v23
	v_pk_fma_f32 v[4:5], v[4:5], v[0:1], v[24:25] op_sel:[0,0,1] op_sel_hi:[1,1,0] neg_lo:[0,0,1] neg_hi:[0,0,1]
	v_pk_fma_f32 v[22:23], v[6:7], v[0:1], v[34:35] op_sel:[0,0,1] op_sel_hi:[1,0,0]
	s_wait_dscnt 0x1
	v_pk_mul_f32 v[24:25], v[8:9], v[2:3] op_sel:[0,1]
	ds_load_2addr_b64 v[12:15], v40 offset0:31 offset1:32
	v_pk_fma_f32 v[6:7], v[6:7], v[0:1], v[34:35] op_sel:[0,0,1] op_sel_hi:[1,1,0] neg_lo:[0,0,1] neg_hi:[0,0,1]
	v_mov_b32_e32 v5, v31
	v_pk_add_f32 v[112:113], v[112:113], v[50:51] neg_lo:[0,1] neg_hi:[0,1]
	v_pk_fma_f32 v[30:31], v[8:9], v[0:1], v[24:25] op_sel:[0,0,1] op_sel_hi:[1,0,0]
	v_mov_b32_e32 v7, v23
	v_pk_mul_f32 v[22:23], v[10:11], v[2:3] op_sel:[0,1]
	v_pk_fma_f32 v[8:9], v[8:9], v[0:1], v[24:25] op_sel:[0,0,1] op_sel_hi:[1,1,0] neg_lo:[0,0,1] neg_hi:[0,0,1]
	v_pk_add_f32 v[108:109], v[108:109], v[4:5] neg_lo:[0,1] neg_hi:[0,1]
	v_mov_b32_e32 v9, v31
	v_pk_add_f32 v[110:111], v[110:111], v[6:7] neg_lo:[0,1] neg_hi:[0,1]
	v_pk_fma_f32 v[24:25], v[10:11], v[0:1], v[22:23] op_sel:[0,0,1] op_sel_hi:[1,0,0]
	ds_load_2addr_b64 v[4:7], v40 offset0:33 offset1:34
	v_pk_fma_f32 v[10:11], v[10:11], v[0:1], v[22:23] op_sel:[0,0,1] op_sel_hi:[1,1,0] neg_lo:[0,0,1] neg_hi:[0,0,1]
	s_wait_dscnt 0x2
	v_mul_f32_e32 v22, v19, v0
	v_pk_add_f32 v[106:107], v[106:107], v[8:9] neg_lo:[0,1] neg_hi:[0,1]
	v_dual_mov_b32 v11, v25 :: v_dual_mul_f32 v8, v19, v3
	v_pk_mul_f32 v[24:25], v[20:21], v[2:3] op_sel:[0,1]
	s_delay_alu instid0(VALU_DEP_4)
	v_pk_fma_f32 v[22:23], v[18:19], v[62:63], v[22:23] op_sel:[1,0,0] op_sel_hi:[0,1,0]
	s_wait_dscnt 0x1
	v_pk_mul_f32 v[30:31], v[12:13], v[2:3] op_sel:[0,1]
	v_pk_add_f32 v[128:129], v[128:129], v[10:11] neg_lo:[0,1] neg_hi:[0,1]
	v_pk_fma_f32 v[18:19], v[18:19], v[62:63], v[8:9] op_sel_hi:[1,1,0] neg_lo:[0,0,1] neg_hi:[0,0,1]
	ds_load_2addr_b64 v[8:11], v40 offset0:35 offset1:36
	v_pk_fma_f32 v[34:35], v[20:21], v[0:1], v[24:25] op_sel:[0,0,1] op_sel_hi:[1,0,0]
	v_mov_b32_e32 v19, v23
	v_pk_fma_f32 v[20:21], v[20:21], v[0:1], v[24:25] op_sel:[0,0,1] op_sel_hi:[1,1,0] neg_lo:[0,0,1] neg_hi:[0,0,1]
	v_pk_fma_f32 v[22:23], v[12:13], v[0:1], v[30:31] op_sel:[0,0,1] op_sel_hi:[1,0,0]
	v_pk_mul_f32 v[24:25], v[14:15], v[2:3] op_sel:[0,1]
	v_pk_fma_f32 v[12:13], v[12:13], v[0:1], v[30:31] op_sel:[0,0,1] op_sel_hi:[1,1,0] neg_lo:[0,0,1] neg_hi:[0,0,1]
	v_mov_b32_e32 v21, v35
	v_pk_add_f32 v[124:125], v[124:125], v[18:19] neg_lo:[0,1] neg_hi:[0,1]
	s_delay_alu instid0(VALU_DEP_4)
	v_pk_fma_f32 v[18:19], v[14:15], v[0:1], v[24:25] op_sel:[0,0,1] op_sel_hi:[1,0,0]
	v_mov_b32_e32 v13, v23
	s_wait_dscnt 0x1
	v_pk_mul_f32 v[22:23], v[4:5], v[2:3] op_sel:[0,1]
	v_pk_fma_f32 v[24:25], v[14:15], v[0:1], v[24:25] op_sel:[0,0,1] op_sel_hi:[1,1,0] neg_lo:[0,0,1] neg_hi:[0,0,1]
	v_pk_add_f32 v[126:127], v[126:127], v[20:21] neg_lo:[0,1] neg_hi:[0,1]
	v_mov_b32_e32 v25, v19
	v_pk_add_f32 v[122:123], v[122:123], v[12:13] neg_lo:[0,1] neg_hi:[0,1]
	v_pk_fma_f32 v[20:21], v[4:5], v[0:1], v[22:23] op_sel:[0,0,1] op_sel_hi:[1,0,0]
	ds_load_2addr_b64 v[12:15], v40 offset0:37 offset1:38
	v_pk_fma_f32 v[4:5], v[4:5], v[0:1], v[22:23] op_sel:[0,0,1] op_sel_hi:[1,1,0] neg_lo:[0,0,1] neg_hi:[0,0,1]
	v_dual_mov_b32 v18, v7 :: v_dual_mov_b32 v19, v6
	v_dual_mul_f32 v20, v7, v0 :: v_dual_mov_b32 v5, v21
	s_wait_dscnt 0x1
	v_pk_mul_f32 v[30:31], v[8:9], v[2:3] op_sel:[0,1]
	v_pk_add_f32 v[144:145], v[144:145], v[24:25] neg_lo:[0,1] neg_hi:[0,1]
	v_pk_mul_f32 v[24:25], v[10:11], v[2:3] op_sel:[0,1]
	v_pk_fma_f32 v[18:19], v[18:19], v[62:63], v[20:21] op_sel_hi:[1,1,0]
	v_pk_add_f32 v[140:141], v[140:141], v[4:5] neg_lo:[0,1] neg_hi:[0,1]
	v_pk_fma_f32 v[20:21], v[8:9], v[0:1], v[30:31] op_sel:[0,0,1] op_sel_hi:[1,0,0]
	v_mul_f32_e32 v22, v7, v3
	v_pk_fma_f32 v[8:9], v[8:9], v[0:1], v[30:31] op_sel:[0,0,1] op_sel_hi:[1,1,0] neg_lo:[0,0,1] neg_hi:[0,0,1]
	v_pk_fma_f32 v[30:31], v[10:11], v[0:1], v[24:25] op_sel:[0,0,1] op_sel_hi:[1,0,0]
	v_pk_fma_f32 v[10:11], v[10:11], v[0:1], v[24:25] op_sel:[0,0,1] op_sel_hi:[1,1,0] neg_lo:[0,0,1] neg_hi:[0,0,1]
	v_mov_b32_e32 v9, v21
	v_pk_fma_f32 v[22:23], v[6:7], v[62:63], v[22:23] op_sel_hi:[1,1,0] neg_lo:[0,0,1] neg_hi:[0,0,1]
	ds_load_2addr_b64 v[4:7], v40 offset0:39 offset1:40
	v_dual_mov_b32 v23, v19 :: v_dual_mov_b32 v11, v31
	s_wait_dscnt 0x1
	v_pk_mul_f32 v[34:35], v[12:13], v[2:3] op_sel:[0,1]
	ds_load_2addr_b64 v[18:21], v40 offset0:41 offset1:42
	v_pk_mul_f32 v[24:25], v[14:15], v[2:3] op_sel:[0,1]
	v_pk_add_f32 v[142:143], v[142:143], v[22:23] neg_lo:[0,1] neg_hi:[0,1]
	v_pk_add_f32 v[138:139], v[138:139], v[8:9] neg_lo:[0,1] neg_hi:[0,1]
	v_pk_fma_f32 v[22:23], v[12:13], v[0:1], v[34:35] op_sel:[0,0,1] op_sel_hi:[1,0,0]
	v_pk_fma_f32 v[12:13], v[12:13], v[0:1], v[34:35] op_sel:[0,0,1] op_sel_hi:[1,1,0] neg_lo:[0,0,1] neg_hi:[0,0,1]
	v_pk_fma_f32 v[8:9], v[14:15], v[0:1], v[24:25] op_sel:[0,0,1] op_sel_hi:[1,0,0]
	v_pk_fma_f32 v[14:15], v[14:15], v[0:1], v[24:25] op_sel:[0,0,1] op_sel_hi:[1,1,0] neg_lo:[0,0,1] neg_hi:[0,0,1]
	v_pk_add_f32 v[162:163], v[162:163], v[10:11] neg_lo:[0,1] neg_hi:[0,1]
	s_delay_alu instid0(VALU_DEP_3)
	v_dual_mov_b32 v13, v23 :: v_dual_mov_b32 v15, v9
	ds_load_2addr_b64 v[8:11], v40 offset0:43 offset1:44
	v_pk_add_f32 v[158:159], v[158:159], v[12:13] neg_lo:[0,1] neg_hi:[0,1]
	s_wait_dscnt 0x2
	v_dual_mul_f32 v22, v5, v0 :: v_dual_mul_f32 v12, v5, v3
	v_pk_add_f32 v[160:161], v[160:161], v[14:15] neg_lo:[0,1] neg_hi:[0,1]
	v_pk_mul_f32 v[24:25], v[6:7], v[2:3] op_sel:[0,1]
	s_wait_dscnt 0x1
	v_pk_mul_f32 v[30:31], v[18:19], v[2:3] op_sel:[0,1]
	v_pk_fma_f32 v[22:23], v[4:5], v[62:63], v[22:23] op_sel:[1,0,0] op_sel_hi:[0,1,0]
	v_pk_fma_f32 v[4:5], v[4:5], v[62:63], v[12:13] op_sel_hi:[1,1,0] neg_lo:[0,0,1] neg_hi:[0,0,1]
	ds_load_2addr_b64 v[12:15], v40 offset0:45 offset1:46
	v_pk_fma_f32 v[34:35], v[6:7], v[0:1], v[24:25] op_sel:[0,0,1] op_sel_hi:[1,0,0]
	v_pk_fma_f32 v[6:7], v[6:7], v[0:1], v[24:25] op_sel:[0,0,1] op_sel_hi:[1,1,0] neg_lo:[0,0,1] neg_hi:[0,0,1]
	v_mov_b32_e32 v5, v23
	v_pk_fma_f32 v[22:23], v[18:19], v[0:1], v[30:31] op_sel:[0,0,1] op_sel_hi:[1,0,0]
	v_pk_mul_f32 v[24:25], v[20:21], v[2:3] op_sel:[0,1]
	v_mov_b32_e32 v7, v35
	v_pk_fma_f32 v[18:19], v[18:19], v[0:1], v[30:31] op_sel:[0,0,1] op_sel_hi:[1,1,0] neg_lo:[0,0,1] neg_hi:[0,0,1]
	v_pk_add_f32 v[156:157], v[156:157], v[4:5] neg_lo:[0,1] neg_hi:[0,1]
	s_delay_alu instid0(VALU_DEP_4)
	v_pk_fma_f32 v[4:5], v[20:21], v[0:1], v[24:25] op_sel:[0,0,1] op_sel_hi:[1,0,0]
	v_mov_b32_e32 v19, v23
	s_wait_dscnt 0x1
	v_pk_mul_f32 v[22:23], v[8:9], v[2:3] op_sel:[0,1]
	v_pk_add_f32 v[182:183], v[182:183], v[6:7] neg_lo:[0,1] neg_hi:[0,1]
	v_pk_fma_f32 v[6:7], v[20:21], v[0:1], v[24:25] op_sel:[0,0,1] op_sel_hi:[1,1,0] neg_lo:[0,0,1] neg_hi:[0,0,1]
	v_mov_b32_e32 v7, v5
	v_pk_add_f32 v[176:177], v[176:177], v[18:19] neg_lo:[0,1] neg_hi:[0,1]
	v_pk_fma_f32 v[4:5], v[8:9], v[0:1], v[22:23] op_sel:[0,0,1] op_sel_hi:[1,1,0] neg_lo:[0,0,1] neg_hi:[0,0,1]
	v_pk_fma_f32 v[8:9], v[8:9], v[0:1], v[22:23] op_sel:[0,0,1] op_sel_hi:[1,0,0]
	v_dual_mov_b32 v18, v11 :: v_dual_mov_b32 v19, v10
	v_dual_mul_f32 v20, v11, v0 :: v_dual_mul_f32 v8, v11, v3
	s_wait_dscnt 0x0
	v_pk_mul_f32 v[22:23], v[12:13], v[2:3] op_sel:[0,1]
	v_pk_mul_f32 v[2:3], v[14:15], v[2:3] op_sel:[0,1]
	v_pk_add_f32 v[180:181], v[180:181], v[6:7] neg_lo:[0,1] neg_hi:[0,1]
	v_pk_fma_f32 v[18:19], v[18:19], v[62:63], v[20:21] op_sel_hi:[1,1,0]
	v_mov_b32_e32 v5, v9
	v_pk_fma_f32 v[20:21], v[12:13], v[0:1], v[22:23] op_sel:[0,0,1] op_sel_hi:[1,0,0]
	v_pk_fma_f32 v[8:9], v[10:11], v[62:63], v[8:9] op_sel_hi:[1,1,0] neg_lo:[0,0,1] neg_hi:[0,0,1]
	v_pk_fma_f32 v[10:11], v[14:15], v[0:1], v[2:3] op_sel:[0,0,1] op_sel_hi:[1,0,0]
	v_pk_fma_f32 v[12:13], v[12:13], v[0:1], v[22:23] op_sel:[0,0,1] op_sel_hi:[1,1,0] neg_lo:[0,0,1] neg_hi:[0,0,1]
	v_pk_fma_f32 v[0:1], v[14:15], v[0:1], v[2:3] op_sel:[0,0,1] op_sel_hi:[1,1,0] neg_lo:[0,0,1] neg_hi:[0,0,1]
	v_dual_mov_b32 v9, v19 :: v_dual_mov_b32 v13, v21
	s_delay_alu instid0(VALU_DEP_4) | instskip(SKIP_1) | instid1(VALU_DEP_3)
	v_mov_b32_e32 v1, v11
	v_pk_add_f32 v[174:175], v[174:175], v[4:5] neg_lo:[0,1] neg_hi:[0,1]
	v_pk_add_f32 v[178:179], v[178:179], v[8:9] neg_lo:[0,1] neg_hi:[0,1]
	s_delay_alu instid0(VALU_DEP_4) | instskip(NEXT) | instid1(VALU_DEP_4)
	v_pk_add_f32 v[186:187], v[186:187], v[12:13] neg_lo:[0,1] neg_hi:[0,1]
	v_pk_add_f32 v[188:189], v[188:189], v[0:1] neg_lo:[0,1] neg_hi:[0,1]
.LBB93_10:
	s_wait_xcnt 0x0
	s_or_b32 exec_lo, exec_lo, s2
	s_delay_alu instid0(SALU_CYCLE_1)
	s_mov_b32 s2, exec_lo
	s_wait_storecnt 0x0
	s_barrier_signal -1
	s_barrier_wait -1
	v_cmpx_eq_u32_e32 1, v36
	s_cbranch_execz .LBB93_17
; %bb.11:
	v_dual_mov_b32 v0, v86 :: v_dual_mov_b32 v1, v87
	v_dual_mov_b32 v2, v84 :: v_dual_mov_b32 v3, v85
	;; [unrolled: 1-line block ×8, first 2 shown]
	ds_store_b64 v37, v[98:99]
	ds_store_2addr_b64 v40, v[0:1], v[2:3] offset0:2 offset1:3
	ds_store_2addr_b64 v40, v[4:5], v[6:7] offset0:4 offset1:5
	ds_store_2addr_b64 v40, v[8:9], v[10:11] offset0:6 offset1:7
	ds_store_2addr_b64 v40, v[12:13], v[14:15] offset0:8 offset1:9
	v_dual_mov_b32 v0, v28 :: v_dual_mov_b32 v1, v29
	v_dual_mov_b32 v2, v26 :: v_dual_mov_b32 v3, v27
	v_dual_mov_b32 v4, v48 :: v_dual_mov_b32 v5, v49
	v_dual_mov_b32 v6, v44 :: v_dual_mov_b32 v7, v45
	v_dual_mov_b32 v8, v46 :: v_dual_mov_b32 v9, v47
	v_dual_mov_b32 v10, v42 :: v_dual_mov_b32 v11, v43
	v_dual_mov_b32 v12, v70 :: v_dual_mov_b32 v13, v71
	v_dual_mov_b32 v14, v66 :: v_dual_mov_b32 v15, v67
	v_dual_mov_b32 v18, v68 :: v_dual_mov_b32 v19, v69
	v_dual_mov_b32 v20, v64 :: v_dual_mov_b32 v21, v65
	v_dual_mov_b32 v22, v94 :: v_dual_mov_b32 v23, v95
	v_dual_mov_b32 v24, v90 :: v_dual_mov_b32 v25, v91
	ds_store_2addr_b64 v40, v[0:1], v[2:3] offset0:10 offset1:11
	ds_store_2addr_b64 v40, v[4:5], v[6:7] offset0:12 offset1:13
	ds_store_2addr_b64 v40, v[8:9], v[10:11] offset0:14 offset1:15
	ds_store_2addr_b64 v40, v[12:13], v[14:15] offset0:16 offset1:17
	ds_store_2addr_b64 v40, v[18:19], v[20:21] offset0:18 offset1:19
	ds_store_2addr_b64 v40, v[22:23], v[24:25] offset0:20 offset1:21
	v_dual_mov_b32 v0, v92 :: v_dual_mov_b32 v1, v93
	v_dual_mov_b32 v2, v88 :: v_dual_mov_b32 v3, v89
	v_dual_mov_b32 v4, v112 :: v_dual_mov_b32 v5, v113
	v_dual_mov_b32 v6, v108 :: v_dual_mov_b32 v7, v109
	v_dual_mov_b32 v8, v110 :: v_dual_mov_b32 v9, v111
	v_dual_mov_b32 v10, v106 :: v_dual_mov_b32 v11, v107
	v_dual_mov_b32 v12, v128 :: v_dual_mov_b32 v13, v129
	v_dual_mov_b32 v14, v124 :: v_dual_mov_b32 v15, v125
	v_dual_mov_b32 v18, v126 :: v_dual_mov_b32 v19, v127
	v_dual_mov_b32 v20, v122 :: v_dual_mov_b32 v21, v123
	v_dual_mov_b32 v22, v144 :: v_dual_mov_b32 v23, v145
	v_dual_mov_b32 v24, v140 :: v_dual_mov_b32 v25, v141
	ds_store_2addr_b64 v40, v[0:1], v[2:3] offset0:22 offset1:23
	ds_store_2addr_b64 v40, v[4:5], v[6:7] offset0:24 offset1:25
	;; [unrolled: 18-line block ×3, first 2 shown]
	ds_store_2addr_b64 v40, v[8:9], v[10:11] offset0:38 offset1:39
	ds_store_2addr_b64 v40, v[12:13], v[14:15] offset0:40 offset1:41
	;; [unrolled: 1-line block ×4, first 2 shown]
	ds_store_b64 v40, v[188:189] offset:368
	ds_load_b64 v[0:1], v37
	s_wait_dscnt 0x0
	v_cmp_neq_f32_e32 vcc_lo, 0, v0
	v_cmp_neq_f32_e64 s1, 0, v1
	s_or_b32 s1, vcc_lo, s1
	s_delay_alu instid0(SALU_CYCLE_1)
	s_and_b32 exec_lo, exec_lo, s1
	s_cbranch_execz .LBB93_17
; %bb.12:
	v_cmp_ngt_f32_e64 s1, |v0|, |v1|
                                        ; implicit-def: $vgpr2_vgpr3
	s_and_saveexec_b32 s4, s1
	s_delay_alu instid0(SALU_CYCLE_1)
	s_xor_b32 s1, exec_lo, s4
	s_cbranch_execz .LBB93_14
; %bb.13:
	v_div_scale_f32 v2, null, v1, v1, v0
	v_div_scale_f32 v5, vcc_lo, v0, v1, v0
	s_delay_alu instid0(VALU_DEP_2) | instskip(SKIP_1) | instid1(TRANS32_DEP_1)
	v_rcp_f32_e32 v3, v2
	v_nop
	v_fma_f32 v4, -v2, v3, 1.0
	s_delay_alu instid0(VALU_DEP_1) | instskip(NEXT) | instid1(VALU_DEP_1)
	v_fmac_f32_e32 v3, v4, v3
	v_mul_f32_e32 v4, v5, v3
	s_delay_alu instid0(VALU_DEP_1) | instskip(NEXT) | instid1(VALU_DEP_1)
	v_fma_f32 v6, -v2, v4, v5
	v_fmac_f32_e32 v4, v6, v3
	s_delay_alu instid0(VALU_DEP_1) | instskip(NEXT) | instid1(VALU_DEP_1)
	v_fma_f32 v2, -v2, v4, v5
	v_div_fmas_f32 v2, v2, v3, v4
	s_delay_alu instid0(VALU_DEP_1) | instskip(NEXT) | instid1(VALU_DEP_1)
	v_div_fixup_f32 v2, v2, v1, v0
	v_fmac_f32_e32 v1, v0, v2
	s_delay_alu instid0(VALU_DEP_1) | instskip(SKIP_1) | instid1(VALU_DEP_2)
	v_div_scale_f32 v0, null, v1, v1, 1.0
	v_div_scale_f32 v5, vcc_lo, 1.0, v1, 1.0
	v_rcp_f32_e32 v3, v0
	v_nop
	s_delay_alu instid0(TRANS32_DEP_1) | instskip(NEXT) | instid1(VALU_DEP_1)
	v_fma_f32 v4, -v0, v3, 1.0
	v_fmac_f32_e32 v3, v4, v3
	s_delay_alu instid0(VALU_DEP_1) | instskip(NEXT) | instid1(VALU_DEP_1)
	v_mul_f32_e32 v4, v5, v3
	v_fma_f32 v6, -v0, v4, v5
	s_delay_alu instid0(VALU_DEP_1) | instskip(NEXT) | instid1(VALU_DEP_1)
	v_fmac_f32_e32 v4, v6, v3
	v_fma_f32 v0, -v0, v4, v5
	s_delay_alu instid0(VALU_DEP_1) | instskip(NEXT) | instid1(VALU_DEP_1)
	v_div_fmas_f32 v0, v0, v3, v4
	v_div_fixup_f32 v0, v0, v1, 1.0
	s_delay_alu instid0(VALU_DEP_1)
	v_mul_f32_e32 v2, v2, v0
	v_xor_b32_e32 v3, 0x80000000, v0
                                        ; implicit-def: $vgpr0_vgpr1
.LBB93_14:
	s_and_not1_saveexec_b32 s1, s1
	s_cbranch_execz .LBB93_16
; %bb.15:
	v_div_scale_f32 v2, null, v0, v0, v1
	v_div_scale_f32 v5, vcc_lo, v1, v0, v1
	s_delay_alu instid0(VALU_DEP_2) | instskip(SKIP_1) | instid1(TRANS32_DEP_1)
	v_rcp_f32_e32 v3, v2
	v_nop
	v_fma_f32 v4, -v2, v3, 1.0
	s_delay_alu instid0(VALU_DEP_1) | instskip(NEXT) | instid1(VALU_DEP_1)
	v_fmac_f32_e32 v3, v4, v3
	v_mul_f32_e32 v4, v5, v3
	s_delay_alu instid0(VALU_DEP_1) | instskip(NEXT) | instid1(VALU_DEP_1)
	v_fma_f32 v6, -v2, v4, v5
	v_fmac_f32_e32 v4, v6, v3
	s_delay_alu instid0(VALU_DEP_1) | instskip(NEXT) | instid1(VALU_DEP_1)
	v_fma_f32 v2, -v2, v4, v5
	v_div_fmas_f32 v2, v2, v3, v4
	s_delay_alu instid0(VALU_DEP_1) | instskip(NEXT) | instid1(VALU_DEP_1)
	v_div_fixup_f32 v3, v2, v0, v1
	v_fmac_f32_e32 v0, v1, v3
	s_delay_alu instid0(VALU_DEP_1) | instskip(NEXT) | instid1(VALU_DEP_1)
	v_div_scale_f32 v1, null, v0, v0, 1.0
	v_rcp_f32_e32 v2, v1
	v_nop
	s_delay_alu instid0(TRANS32_DEP_1) | instskip(NEXT) | instid1(VALU_DEP_1)
	v_fma_f32 v4, -v1, v2, 1.0
	v_fmac_f32_e32 v2, v4, v2
	v_div_scale_f32 v4, vcc_lo, 1.0, v0, 1.0
	s_delay_alu instid0(VALU_DEP_1) | instskip(NEXT) | instid1(VALU_DEP_1)
	v_mul_f32_e32 v5, v4, v2
	v_fma_f32 v6, -v1, v5, v4
	s_delay_alu instid0(VALU_DEP_1) | instskip(NEXT) | instid1(VALU_DEP_1)
	v_fmac_f32_e32 v5, v6, v2
	v_fma_f32 v1, -v1, v5, v4
	s_delay_alu instid0(VALU_DEP_1) | instskip(NEXT) | instid1(VALU_DEP_1)
	v_div_fmas_f32 v1, v1, v2, v5
	v_div_fixup_f32 v2, v1, v0, 1.0
	s_delay_alu instid0(VALU_DEP_1)
	v_mul_f32_e64 v3, v3, -v2
.LBB93_16:
	s_or_b32 exec_lo, exec_lo, s1
	ds_store_b64 v37, v[2:3]
.LBB93_17:
	s_or_b32 exec_lo, exec_lo, s2
	s_wait_dscnt 0x0
	s_barrier_signal -1
	s_barrier_wait -1
	ds_load_b64 v[192:193], v37
	s_mov_b32 s1, exec_lo
	v_cmpx_lt_u32_e32 1, v36
	s_cbranch_execz .LBB93_19
; %bb.18:
	ds_load_2addr_b64 v[4:7], v40 offset0:2 offset1:3
	ds_load_2addr_b64 v[8:11], v40 offset0:4 offset1:5
	;; [unrolled: 1-line block ×3, first 2 shown]
	s_wait_dscnt 0x3
	v_pk_mul_f32 v[2:3], v[192:193], v[98:99] op_sel:[1,1] op_sel_hi:[0,1]
	ds_load_2addr_b64 v[18:21], v40 offset0:8 offset1:9
	ds_load_2addr_b64 v[22:25], v40 offset0:10 offset1:11
	v_pk_fma_f32 v[0:1], v[192:193], v[98:99], v[2:3] op_sel_hi:[1,0,1] neg_lo:[0,0,1] neg_hi:[0,0,1]
	v_pk_fma_f32 v[2:3], v[192:193], v[98:99], v[2:3] op_sel_hi:[1,0,1]
	s_delay_alu instid0(VALU_DEP_1) | instskip(SKIP_1) | instid1(VALU_DEP_2)
	v_dual_mov_b32 v98, v0 :: v_dual_mov_b32 v99, v3
	s_wait_dscnt 0x4
	v_pk_mul_f32 v[30:31], v[4:5], v[2:3] op_sel:[0,1]
	v_pk_mul_f32 v[34:35], v[6:7], v[2:3] op_sel:[0,1]
	s_wait_dscnt 0x3
	v_pk_mul_f32 v[50:51], v[8:9], v[2:3] op_sel:[0,1]
	s_wait_dscnt 0x2
	v_pk_mul_f32 v[198:199], v[12:13], v[2:3] op_sel:[0,1]
	v_dual_mov_b32 v52, v11 :: v_dual_mov_b32 v53, v10
	v_pk_fma_f32 v[202:203], v[4:5], v[0:1], v[30:31] op_sel:[0,0,1] op_sel_hi:[1,1,0] neg_lo:[0,0,1] neg_hi:[0,0,1]
	v_pk_fma_f32 v[4:5], v[4:5], v[0:1], v[30:31] op_sel:[0,0,1] op_sel_hi:[1,0,0]
	v_dual_mul_f32 v194, v11, v3 :: v_dual_mul_f32 v196, v11, v0
	v_pk_mul_f32 v[200:201], v[14:15], v[2:3] op_sel:[0,1]
	v_pk_fma_f32 v[30:31], v[6:7], v[0:1], v[34:35] op_sel:[0,0,1] op_sel_hi:[1,1,0] neg_lo:[0,0,1] neg_hi:[0,0,1]
	v_pk_fma_f32 v[6:7], v[6:7], v[0:1], v[34:35] op_sel:[0,0,1] op_sel_hi:[1,0,0]
	v_pk_fma_f32 v[34:35], v[8:9], v[0:1], v[50:51] op_sel:[0,0,1] op_sel_hi:[1,1,0] neg_lo:[0,0,1] neg_hi:[0,0,1]
	v_pk_fma_f32 v[8:9], v[8:9], v[0:1], v[50:51] op_sel:[0,0,1] op_sel_hi:[1,0,0]
	v_mov_b32_e32 v203, v5
	v_pk_fma_f32 v[4:5], v[12:13], v[0:1], v[198:199] op_sel:[0,0,1] op_sel_hi:[1,0,0]
	v_pk_fma_f32 v[50:51], v[52:53], v[98:99], v[196:197] op_sel_hi:[1,1,0]
	v_pk_fma_f32 v[52:53], v[12:13], v[0:1], v[198:199] op_sel:[0,0,1] op_sel_hi:[1,1,0] neg_lo:[0,0,1] neg_hi:[0,0,1]
	v_dual_mov_b32 v31, v7 :: v_dual_mov_b32 v35, v9
	v_pk_fma_f32 v[8:9], v[14:15], v[0:1], v[200:201] op_sel:[0,0,1] op_sel_hi:[1,0,0]
	v_mov_b32_e32 v53, v5
	s_wait_dscnt 0x1
	v_pk_mul_f32 v[12:13], v[18:19], v[2:3] op_sel:[0,1]
	ds_load_2addr_b64 v[4:7], v40 offset0:12 offset1:13
	v_pk_fma_f32 v[14:15], v[14:15], v[0:1], v[200:201] op_sel:[0,0,1] op_sel_hi:[1,1,0] neg_lo:[0,0,1] neg_hi:[0,0,1]
	v_pk_fma_f32 v[10:11], v[10:11], v[98:99], v[194:195] op_sel_hi:[1,1,0] neg_lo:[0,0,1] neg_hi:[0,0,1]
	v_pk_add_f32 v[84:85], v[84:85], v[30:31] neg_lo:[0,1] neg_hi:[0,1]
	v_mov_b32_e32 v15, v9
	v_pk_mul_f32 v[30:31], v[20:21], v[2:3] op_sel:[0,1]
	v_mov_b32_e32 v11, v51
	v_pk_fma_f32 v[8:9], v[18:19], v[0:1], v[12:13] op_sel:[0,0,1] op_sel_hi:[1,0,0]
	v_pk_fma_f32 v[12:13], v[18:19], v[0:1], v[12:13] op_sel:[0,0,1] op_sel_hi:[1,1,0] neg_lo:[0,0,1] neg_hi:[0,0,1]
	v_pk_add_f32 v[58:59], v[58:59], v[14:15] neg_lo:[0,1] neg_hi:[0,1]
	v_pk_fma_f32 v[14:15], v[20:21], v[0:1], v[30:31] op_sel:[0,0,1] op_sel_hi:[1,0,0]
	v_pk_add_f32 v[32:33], v[32:33], v[10:11] neg_lo:[0,1] neg_hi:[0,1]
	s_wait_dscnt 0x1
	v_dual_mov_b32 v13, v9 :: v_dual_mul_f32 v14, v23, v0
	ds_load_2addr_b64 v[8:11], v40 offset0:14 offset1:15
	v_pk_fma_f32 v[18:19], v[20:21], v[0:1], v[30:31] op_sel:[0,0,1] op_sel_hi:[1,1,0] neg_lo:[0,0,1] neg_hi:[0,0,1]
	v_mul_f32_e32 v20, v23, v3
	v_mov_b32_e32 v19, v15
	v_pk_fma_f32 v[14:15], v[22:23], v[98:99], v[14:15] op_sel:[1,0,0] op_sel_hi:[0,1,0]
	v_pk_add_f32 v[82:83], v[82:83], v[12:13] neg_lo:[0,1] neg_hi:[0,1]
	v_pk_mul_f32 v[12:13], v[24:25], v[2:3] op_sel:[0,1]
	v_pk_fma_f32 v[20:21], v[22:23], v[98:99], v[20:21] op_sel_hi:[1,1,0] neg_lo:[0,0,1] neg_hi:[0,0,1]
	v_pk_add_f32 v[38:39], v[38:39], v[34:35] neg_lo:[0,1] neg_hi:[0,1]
	v_mov_b32_e32 v21, v15
	v_pk_add_f32 v[80:81], v[80:81], v[18:19] neg_lo:[0,1] neg_hi:[0,1]
	s_wait_dscnt 0x1
	v_pk_mul_f32 v[18:19], v[4:5], v[2:3] op_sel:[0,1]
	v_pk_fma_f32 v[30:31], v[24:25], v[0:1], v[12:13] op_sel:[0,0,1] op_sel_hi:[1,0,0]
	v_pk_fma_f32 v[22:23], v[24:25], v[0:1], v[12:13] op_sel:[0,0,1] op_sel_hi:[1,1,0] neg_lo:[0,0,1] neg_hi:[0,0,1]
	ds_load_2addr_b64 v[12:15], v40 offset0:16 offset1:17
	v_pk_add_f32 v[28:29], v[28:29], v[20:21] neg_lo:[0,1] neg_hi:[0,1]
	v_pk_fma_f32 v[24:25], v[4:5], v[0:1], v[18:19] op_sel:[0,0,1] op_sel_hi:[1,0,0]
	v_pk_fma_f32 v[4:5], v[4:5], v[0:1], v[18:19] op_sel:[0,0,1] op_sel_hi:[1,1,0] neg_lo:[0,0,1] neg_hi:[0,0,1]
	v_pk_mul_f32 v[18:19], v[6:7], v[2:3] op_sel:[0,1]
	v_pk_add_f32 v[86:87], v[86:87], v[202:203] neg_lo:[0,1] neg_hi:[0,1]
	v_pk_add_f32 v[60:61], v[60:61], v[52:53] neg_lo:[0,1] neg_hi:[0,1]
	v_mov_b32_e32 v5, v25
	s_wait_dscnt 0x1
	v_pk_mul_f32 v[24:25], v[8:9], v[2:3] op_sel:[0,1]
	v_pk_fma_f32 v[20:21], v[6:7], v[0:1], v[18:19] op_sel:[0,0,1] op_sel_hi:[1,0,0]
	v_mov_b32_e32 v23, v31
	v_pk_fma_f32 v[18:19], v[6:7], v[0:1], v[18:19] op_sel:[0,0,1] op_sel_hi:[1,1,0] neg_lo:[0,0,1] neg_hi:[0,0,1]
	v_pk_add_f32 v[48:49], v[48:49], v[4:5] neg_lo:[0,1] neg_hi:[0,1]
	ds_load_2addr_b64 v[4:7], v40 offset0:18 offset1:19
	v_mov_b32_e32 v19, v21
	v_pk_add_f32 v[26:27], v[26:27], v[22:23] neg_lo:[0,1] neg_hi:[0,1]
	v_pk_fma_f32 v[22:23], v[8:9], v[0:1], v[24:25] op_sel:[0,0,1] op_sel_hi:[1,0,0]
	v_pk_fma_f32 v[8:9], v[8:9], v[0:1], v[24:25] op_sel:[0,0,1] op_sel_hi:[1,1,0] neg_lo:[0,0,1] neg_hi:[0,0,1]
	v_dual_mov_b32 v20, v11 :: v_dual_mov_b32 v21, v10
	v_mul_f32_e32 v22, v11, v0
	s_delay_alu instid0(VALU_DEP_4)
	v_mov_b32_e32 v9, v23
	v_mul_f32_e32 v24, v11, v3
	s_wait_dscnt 0x1
	v_pk_mul_f32 v[30:31], v[14:15], v[2:3] op_sel:[0,1]
	v_pk_add_f32 v[44:45], v[44:45], v[18:19] neg_lo:[0,1] neg_hi:[0,1]
	v_pk_fma_f32 v[22:23], v[20:21], v[98:99], v[22:23] op_sel_hi:[1,1,0]
	v_pk_add_f32 v[46:47], v[46:47], v[8:9] neg_lo:[0,1] neg_hi:[0,1]
	v_pk_mul_f32 v[8:9], v[12:13], v[2:3] op_sel:[0,1]
	ds_load_2addr_b64 v[18:21], v40 offset0:20 offset1:21
	v_pk_fma_f32 v[24:25], v[10:11], v[98:99], v[24:25] op_sel_hi:[1,1,0] neg_lo:[0,0,1] neg_hi:[0,0,1]
	v_pk_fma_f32 v[34:35], v[12:13], v[0:1], v[8:9] op_sel:[0,0,1] op_sel_hi:[1,0,0]
	v_mov_b32_e32 v25, v23
	v_pk_fma_f32 v[22:23], v[14:15], v[0:1], v[30:31] op_sel:[0,0,1] op_sel_hi:[1,0,0]
	v_pk_fma_f32 v[12:13], v[12:13], v[0:1], v[8:9] op_sel:[0,0,1] op_sel_hi:[1,1,0] neg_lo:[0,0,1] neg_hi:[0,0,1]
	v_pk_fma_f32 v[14:15], v[14:15], v[0:1], v[30:31] op_sel:[0,0,1] op_sel_hi:[1,1,0] neg_lo:[0,0,1] neg_hi:[0,0,1]
	v_mov_b32_e32 v13, v35
	s_wait_dscnt 0x1
	v_pk_mul_f32 v[34:35], v[4:5], v[2:3] op_sel:[0,1]
	v_mov_b32_e32 v15, v23
	v_pk_mul_f32 v[22:23], v[6:7], v[2:3] op_sel:[0,1]
	ds_load_2addr_b64 v[8:11], v40 offset0:22 offset1:23
	v_pk_add_f32 v[42:43], v[42:43], v[24:25] neg_lo:[0,1] neg_hi:[0,1]
	v_pk_fma_f32 v[24:25], v[4:5], v[0:1], v[34:35] op_sel:[0,0,1] op_sel_hi:[1,0,0]
	v_pk_fma_f32 v[4:5], v[4:5], v[0:1], v[34:35] op_sel:[0,0,1] op_sel_hi:[1,1,0] neg_lo:[0,0,1] neg_hi:[0,0,1]
	v_pk_fma_f32 v[30:31], v[6:7], v[0:1], v[22:23] op_sel:[0,0,1] op_sel_hi:[1,0,0]
	v_pk_fma_f32 v[6:7], v[6:7], v[0:1], v[22:23] op_sel:[0,0,1] op_sel_hi:[1,1,0] neg_lo:[0,0,1] neg_hi:[0,0,1]
	v_pk_add_f32 v[70:71], v[70:71], v[12:13] neg_lo:[0,1] neg_hi:[0,1]
	s_wait_dscnt 0x1
	v_dual_mov_b32 v5, v25 :: v_dual_mul_f32 v24, v19, v0
	v_mov_b32_e32 v7, v31
	v_pk_add_f32 v[66:67], v[66:67], v[14:15] neg_lo:[0,1] neg_hi:[0,1]
	ds_load_2addr_b64 v[12:15], v40 offset0:24 offset1:25
	v_pk_add_f32 v[68:69], v[68:69], v[4:5] neg_lo:[0,1] neg_hi:[0,1]
	v_mul_f32_e32 v4, v19, v3
	v_pk_fma_f32 v[22:23], v[18:19], v[98:99], v[24:25] op_sel:[1,0,0] op_sel_hi:[0,1,0]
	v_pk_mul_f32 v[24:25], v[20:21], v[2:3] op_sel:[0,1]
	v_pk_add_f32 v[64:65], v[64:65], v[6:7] neg_lo:[0,1] neg_hi:[0,1]
	s_delay_alu instid0(VALU_DEP_4)
	v_pk_fma_f32 v[18:19], v[18:19], v[98:99], v[4:5] op_sel_hi:[1,1,0] neg_lo:[0,0,1] neg_hi:[0,0,1]
	ds_load_2addr_b64 v[4:7], v40 offset0:26 offset1:27
	s_wait_dscnt 0x2
	v_pk_mul_f32 v[30:31], v[8:9], v[2:3] op_sel:[0,1]
	v_mov_b32_e32 v19, v23
	v_pk_fma_f32 v[22:23], v[20:21], v[0:1], v[24:25] op_sel:[0,0,1] op_sel_hi:[1,0,0]
	v_pk_mul_f32 v[34:35], v[10:11], v[2:3] op_sel:[0,1]
	v_pk_fma_f32 v[20:21], v[20:21], v[0:1], v[24:25] op_sel:[0,0,1] op_sel_hi:[1,1,0] neg_lo:[0,0,1] neg_hi:[0,0,1]
	v_pk_fma_f32 v[50:51], v[8:9], v[0:1], v[30:31] op_sel:[0,0,1] op_sel_hi:[1,0,0]
	v_pk_fma_f32 v[8:9], v[8:9], v[0:1], v[30:31] op_sel:[0,0,1] op_sel_hi:[1,1,0] neg_lo:[0,0,1] neg_hi:[0,0,1]
	v_mov_b32_e32 v21, v23
	v_pk_fma_f32 v[22:23], v[10:11], v[0:1], v[34:35] op_sel:[0,0,1] op_sel_hi:[1,0,0]
	v_pk_fma_f32 v[10:11], v[10:11], v[0:1], v[34:35] op_sel:[0,0,1] op_sel_hi:[1,1,0] neg_lo:[0,0,1] neg_hi:[0,0,1]
	v_mov_b32_e32 v9, v51
	s_wait_dscnt 0x1
	v_pk_mul_f32 v[24:25], v[12:13], v[2:3] op_sel:[0,1]
	v_pk_add_f32 v[94:95], v[94:95], v[18:19] neg_lo:[0,1] neg_hi:[0,1]
	v_dual_mov_b32 v11, v23 :: v_dual_mov_b32 v22, v15
	v_pk_add_f32 v[92:93], v[92:93], v[8:9] neg_lo:[0,1] neg_hi:[0,1]
	s_delay_alu instid0(VALU_DEP_4) | instskip(SKIP_1) | instid1(VALU_DEP_4)
	v_pk_fma_f32 v[18:19], v[12:13], v[0:1], v[24:25] op_sel:[0,0,1] op_sel_hi:[1,0,0]
	v_pk_fma_f32 v[12:13], v[12:13], v[0:1], v[24:25] op_sel:[0,0,1] op_sel_hi:[1,1,0] neg_lo:[0,0,1] neg_hi:[0,0,1]
	v_pk_add_f32 v[88:89], v[88:89], v[10:11] neg_lo:[0,1] neg_hi:[0,1]
	ds_load_2addr_b64 v[8:11], v40 offset0:28 offset1:29
	s_wait_dscnt 0x1
	v_pk_mul_f32 v[30:31], v[4:5], v[2:3] op_sel:[0,1]
	v_dual_mov_b32 v13, v19 :: v_dual_mov_b32 v23, v14
	v_mul_f32_e32 v24, v15, v0
	v_pk_add_f32 v[90:91], v[90:91], v[20:21] neg_lo:[0,1] neg_hi:[0,1]
	ds_load_2addr_b64 v[18:21], v40 offset0:30 offset1:31
	v_pk_mul_f32 v[50:51], v[6:7], v[2:3] op_sel:[0,1]
	v_pk_add_f32 v[112:113], v[112:113], v[12:13] neg_lo:[0,1] neg_hi:[0,1]
	v_pk_fma_f32 v[12:13], v[4:5], v[0:1], v[30:31] op_sel:[0,0,1] op_sel_hi:[1,0,0]
	v_mul_f32_e32 v34, v15, v3
	v_pk_fma_f32 v[22:23], v[22:23], v[98:99], v[24:25] op_sel_hi:[1,1,0]
	v_pk_fma_f32 v[24:25], v[6:7], v[0:1], v[50:51] op_sel:[0,0,1] op_sel_hi:[1,0,0]
	s_delay_alu instid0(VALU_DEP_3) | instskip(NEXT) | instid1(VALU_DEP_3)
	v_pk_fma_f32 v[14:15], v[14:15], v[98:99], v[34:35] op_sel_hi:[1,1,0] neg_lo:[0,0,1] neg_hi:[0,0,1]
	v_mov_b32_e32 v15, v23
	v_pk_fma_f32 v[22:23], v[4:5], v[0:1], v[30:31] op_sel:[0,0,1] op_sel_hi:[1,1,0] neg_lo:[0,0,1] neg_hi:[0,0,1]
	v_mov_b32_e32 v23, v13
	v_pk_fma_f32 v[12:13], v[6:7], v[0:1], v[50:51] op_sel:[0,0,1] op_sel_hi:[1,1,0] neg_lo:[0,0,1] neg_hi:[0,0,1]
	v_mov_b32_e32 v13, v25
	ds_load_2addr_b64 v[4:7], v40 offset0:32 offset1:33
	s_wait_dscnt 0x2
	v_pk_mul_f32 v[24:25], v[8:9], v[2:3] op_sel:[0,1]
	v_pk_add_f32 v[108:109], v[108:109], v[14:15] neg_lo:[0,1] neg_hi:[0,1]
	v_pk_add_f32 v[110:111], v[110:111], v[22:23] neg_lo:[0,1] neg_hi:[0,1]
	;; [unrolled: 1-line block ×3, first 2 shown]
	ds_load_2addr_b64 v[12:15], v40 offset0:34 offset1:35
	v_pk_fma_f32 v[30:31], v[8:9], v[0:1], v[24:25] op_sel:[0,0,1] op_sel_hi:[1,1,0] neg_lo:[0,0,1] neg_hi:[0,0,1]
	v_pk_fma_f32 v[8:9], v[8:9], v[0:1], v[24:25] op_sel:[0,0,1] op_sel_hi:[1,0,0]
	v_pk_mul_f32 v[22:23], v[10:11], v[2:3] op_sel:[0,1]
	s_wait_dscnt 0x2
	v_dual_mul_f32 v34, v19, v0 :: v_dual_mul_f32 v8, v19, v3
	s_delay_alu instid0(VALU_DEP_2) | instskip(NEXT) | instid1(VALU_DEP_2)
	v_pk_fma_f32 v[24:25], v[10:11], v[0:1], v[22:23] op_sel:[0,0,1] op_sel_hi:[1,0,0]
	v_pk_fma_f32 v[34:35], v[18:19], v[98:99], v[34:35] op_sel:[1,0,0] op_sel_hi:[0,1,0]
	v_mov_b32_e32 v31, v9
	s_delay_alu instid0(VALU_DEP_4)
	v_pk_fma_f32 v[8:9], v[18:19], v[98:99], v[8:9] op_sel_hi:[1,1,0] neg_lo:[0,0,1] neg_hi:[0,0,1]
	v_pk_mul_f32 v[18:19], v[20:21], v[2:3] op_sel:[0,1]
	v_pk_fma_f32 v[10:11], v[10:11], v[0:1], v[22:23] op_sel:[0,0,1] op_sel_hi:[1,1,0] neg_lo:[0,0,1] neg_hi:[0,0,1]
	v_mov_b32_e32 v11, v25
	s_wait_dscnt 0x1
	v_pk_mul_f32 v[22:23], v[4:5], v[2:3] op_sel:[0,1]
	v_pk_add_f32 v[128:129], v[128:129], v[30:31] neg_lo:[0,1] neg_hi:[0,1]
	v_pk_fma_f32 v[24:25], v[20:21], v[0:1], v[18:19] op_sel:[0,0,1] op_sel_hi:[1,0,0]
	v_mov_b32_e32 v9, v35
	v_pk_fma_f32 v[30:31], v[20:21], v[0:1], v[18:19] op_sel:[0,0,1] op_sel_hi:[1,1,0] neg_lo:[0,0,1] neg_hi:[0,0,1]
	v_pk_add_f32 v[124:125], v[124:125], v[10:11] neg_lo:[0,1] neg_hi:[0,1]
	v_pk_fma_f32 v[18:19], v[4:5], v[0:1], v[22:23] op_sel:[0,0,1] op_sel_hi:[1,0,0]
	v_mov_b32_e32 v31, v25
	v_pk_add_f32 v[126:127], v[126:127], v[8:9] neg_lo:[0,1] neg_hi:[0,1]
	ds_load_2addr_b64 v[8:11], v40 offset0:36 offset1:37
	v_pk_fma_f32 v[4:5], v[4:5], v[0:1], v[22:23] op_sel:[0,0,1] op_sel_hi:[1,1,0] neg_lo:[0,0,1] neg_hi:[0,0,1]
	s_wait_dscnt 0x1
	v_pk_mul_f32 v[22:23], v[12:13], v[2:3] op_sel:[0,1]
	v_pk_add_f32 v[122:123], v[122:123], v[30:31] neg_lo:[0,1] neg_hi:[0,1]
	v_pk_mul_f32 v[34:35], v[6:7], v[2:3] op_sel:[0,1]
	s_delay_alu instid0(VALU_DEP_3)
	v_pk_fma_f32 v[30:31], v[12:13], v[0:1], v[22:23] op_sel:[0,0,1] op_sel_hi:[1,0,0]
	v_mov_b32_e32 v5, v19
	ds_load_2addr_b64 v[18:21], v40 offset0:38 offset1:39
	v_pk_fma_f32 v[24:25], v[6:7], v[0:1], v[34:35] op_sel:[0,0,1] op_sel_hi:[1,0,0]
	v_mul_f32_e32 v24, v15, v0
	v_pk_add_f32 v[144:145], v[144:145], v[4:5] neg_lo:[0,1] neg_hi:[0,1]
	v_pk_fma_f32 v[4:5], v[6:7], v[0:1], v[34:35] op_sel:[0,0,1] op_sel_hi:[1,1,0] neg_lo:[0,0,1] neg_hi:[0,0,1]
	v_pk_fma_f32 v[6:7], v[12:13], v[0:1], v[22:23] op_sel:[0,0,1] op_sel_hi:[1,1,0] neg_lo:[0,0,1] neg_hi:[0,0,1]
	v_dual_mov_b32 v5, v25 :: v_dual_mov_b32 v12, v15
	v_dual_mov_b32 v7, v31 :: v_dual_mov_b32 v13, v14
	v_mul_f32_e32 v22, v15, v3
	s_wait_dscnt 0x1
	v_pk_mul_f32 v[30:31], v[8:9], v[2:3] op_sel:[0,1]
	v_pk_add_f32 v[140:141], v[140:141], v[4:5] neg_lo:[0,1] neg_hi:[0,1]
	v_pk_add_f32 v[142:143], v[142:143], v[6:7] neg_lo:[0,1] neg_hi:[0,1]
	ds_load_2addr_b64 v[4:7], v40 offset0:40 offset1:41
	v_pk_fma_f32 v[14:15], v[14:15], v[98:99], v[22:23] op_sel_hi:[1,1,0] neg_lo:[0,0,1] neg_hi:[0,0,1]
	v_pk_fma_f32 v[12:13], v[12:13], v[98:99], v[24:25] op_sel_hi:[1,1,0]
	v_pk_mul_f32 v[22:23], v[10:11], v[2:3] op_sel:[0,1]
	v_pk_fma_f32 v[24:25], v[8:9], v[0:1], v[30:31] op_sel:[0,0,1] op_sel_hi:[1,0,0]
	s_wait_dscnt 0x1
	v_pk_mul_f32 v[34:35], v[18:19], v[2:3] op_sel:[0,1]
	v_mov_b32_e32 v15, v13
	v_pk_fma_f32 v[12:13], v[8:9], v[0:1], v[30:31] op_sel:[0,0,1] op_sel_hi:[1,1,0] neg_lo:[0,0,1] neg_hi:[0,0,1]
	v_pk_fma_f32 v[30:31], v[10:11], v[0:1], v[22:23] op_sel:[0,0,1] op_sel_hi:[1,0,0]
	v_pk_fma_f32 v[22:23], v[10:11], v[0:1], v[22:23] op_sel:[0,0,1] op_sel_hi:[1,1,0] neg_lo:[0,0,1] neg_hi:[0,0,1]
	ds_load_2addr_b64 v[8:11], v40 offset0:42 offset1:43
	v_mov_b32_e32 v13, v25
	v_pk_fma_f32 v[24:25], v[18:19], v[0:1], v[34:35] op_sel:[0,0,1] op_sel_hi:[1,0,0]
	v_pk_fma_f32 v[18:19], v[18:19], v[0:1], v[34:35] op_sel:[0,0,1] op_sel_hi:[1,1,0] neg_lo:[0,0,1] neg_hi:[0,0,1]
	v_mov_b32_e32 v23, v31
	v_pk_add_f32 v[138:139], v[138:139], v[14:15] neg_lo:[0,1] neg_hi:[0,1]
	v_pk_add_f32 v[162:163], v[162:163], v[12:13] neg_lo:[0,1] neg_hi:[0,1]
	v_mov_b32_e32 v19, v25
	v_pk_mul_f32 v[24:25], v[20:21], v[2:3] op_sel:[0,1]
	ds_load_2addr_b64 v[12:15], v40 offset0:44 offset1:45
	ds_load_b64 v[34:35], v40 offset:368
	v_pk_add_f32 v[158:159], v[158:159], v[22:23] neg_lo:[0,1] neg_hi:[0,1]
	v_pk_add_f32 v[160:161], v[160:161], v[18:19] neg_lo:[0,1] neg_hi:[0,1]
	v_pk_fma_f32 v[18:19], v[20:21], v[0:1], v[24:25] op_sel:[0,0,1] op_sel_hi:[1,1,0] neg_lo:[0,0,1] neg_hi:[0,0,1]
	v_pk_fma_f32 v[20:21], v[20:21], v[0:1], v[24:25] op_sel:[0,0,1] op_sel_hi:[1,0,0]
	s_wait_dscnt 0x3
	v_dual_mul_f32 v20, v5, v0 :: v_dual_mul_f32 v24, v5, v3
	v_pk_mul_f32 v[22:23], v[6:7], v[2:3] op_sel:[0,1]
	s_delay_alu instid0(VALU_DEP_1) | instskip(SKIP_1) | instid1(VALU_DEP_4)
	v_pk_fma_f32 v[30:31], v[6:7], v[0:1], v[22:23] op_sel:[0,0,1] op_sel_hi:[1,0,0]
	v_mov_b32_e32 v19, v21
	v_pk_fma_f32 v[20:21], v[4:5], v[98:99], v[20:21] op_sel:[1,0,0] op_sel_hi:[0,1,0]
	v_pk_fma_f32 v[4:5], v[4:5], v[98:99], v[24:25] op_sel_hi:[1,1,0] neg_lo:[0,0,1] neg_hi:[0,0,1]
	s_wait_dscnt 0x2
	v_pk_mul_f32 v[24:25], v[8:9], v[2:3] op_sel:[0,1]
	v_pk_fma_f32 v[6:7], v[6:7], v[0:1], v[22:23] op_sel:[0,0,1] op_sel_hi:[1,1,0] neg_lo:[0,0,1] neg_hi:[0,0,1]
	v_dual_mov_b32 v7, v31 :: v_dual_mov_b32 v5, v21
	v_pk_mul_f32 v[20:21], v[10:11], v[2:3] op_sel:[0,1]
	v_pk_add_f32 v[156:157], v[156:157], v[18:19] neg_lo:[0,1] neg_hi:[0,1]
	v_pk_fma_f32 v[18:19], v[8:9], v[0:1], v[24:25] op_sel:[0,0,1] op_sel_hi:[1,0,0]
	s_delay_alu instid0(VALU_DEP_4)
	v_pk_add_f32 v[176:177], v[176:177], v[6:7] neg_lo:[0,1] neg_hi:[0,1]
	v_pk_add_f32 v[182:183], v[182:183], v[4:5] neg_lo:[0,1] neg_hi:[0,1]
	v_pk_fma_f32 v[4:5], v[8:9], v[0:1], v[24:25] op_sel:[0,0,1] op_sel_hi:[1,1,0] neg_lo:[0,0,1] neg_hi:[0,0,1]
	v_pk_fma_f32 v[8:9], v[10:11], v[0:1], v[20:21] op_sel:[0,0,1] op_sel_hi:[1,0,0]
	s_wait_dscnt 0x1
	v_dual_mov_b32 v5, v19 :: v_dual_mov_b32 v18, v15
	v_pk_fma_f32 v[6:7], v[10:11], v[0:1], v[20:21] op_sel:[0,0,1] op_sel_hi:[1,1,0] neg_lo:[0,0,1] neg_hi:[0,0,1]
	v_pk_mul_f32 v[10:11], v[12:13], v[2:3] op_sel:[0,1]
	v_dual_mov_b32 v19, v14 :: v_dual_mul_f32 v8, v15, v0
	s_wait_dscnt 0x0
	v_pk_mul_f32 v[20:21], v[34:35], v[2:3] op_sel:[0,1]
	v_dual_mov_b32 v7, v9 :: v_dual_mul_f32 v2, v15, v3
	v_pk_fma_f32 v[22:23], v[12:13], v[0:1], v[10:11] op_sel:[0,0,1] op_sel_hi:[1,0,0]
	v_pk_fma_f32 v[8:9], v[18:19], v[98:99], v[8:9] op_sel_hi:[1,1,0]
	v_pk_fma_f32 v[10:11], v[12:13], v[0:1], v[10:11] op_sel:[0,0,1] op_sel_hi:[1,1,0] neg_lo:[0,0,1] neg_hi:[0,0,1]
	v_pk_fma_f32 v[12:13], v[34:35], v[0:1], v[20:21] op_sel:[0,0,1] op_sel_hi:[1,0,0]
	v_pk_fma_f32 v[2:3], v[14:15], v[98:99], v[2:3] op_sel_hi:[1,1,0] neg_lo:[0,0,1] neg_hi:[0,0,1]
	v_pk_fma_f32 v[0:1], v[34:35], v[0:1], v[20:21] op_sel:[0,0,1] op_sel_hi:[1,1,0] neg_lo:[0,0,1] neg_hi:[0,0,1]
	v_dual_mov_b32 v11, v23 :: v_dual_mov_b32 v3, v9
	s_delay_alu instid0(VALU_DEP_4) | instskip(SKIP_2) | instid1(VALU_DEP_4)
	v_mov_b32_e32 v1, v13
	v_pk_add_f32 v[180:181], v[180:181], v[4:5] neg_lo:[0,1] neg_hi:[0,1]
	v_pk_add_f32 v[174:175], v[174:175], v[6:7] neg_lo:[0,1] neg_hi:[0,1]
	;; [unrolled: 1-line block ×5, first 2 shown]
.LBB93_19:
	s_or_b32 exec_lo, exec_lo, s1
	s_delay_alu instid0(SALU_CYCLE_1)
	s_mov_b32 s2, exec_lo
	s_wait_dscnt 0x0
	s_barrier_signal -1
	s_barrier_wait -1
	v_cmpx_eq_u32_e32 2, v36
	s_cbranch_execz .LBB93_26
; %bb.20:
	ds_store_b64 v37, v[86:87]
	ds_store_2addr_b64 v40, v[84:85], v[38:39] offset0:3 offset1:4
	ds_store_2addr_b64 v40, v[32:33], v[60:61] offset0:5 offset1:6
	;; [unrolled: 1-line block ×22, first 2 shown]
	ds_load_b64 v[0:1], v37
	s_wait_dscnt 0x0
	v_cmp_neq_f32_e32 vcc_lo, 0, v0
	v_cmp_neq_f32_e64 s1, 0, v1
	s_or_b32 s1, vcc_lo, s1
	s_delay_alu instid0(SALU_CYCLE_1)
	s_and_b32 exec_lo, exec_lo, s1
	s_cbranch_execz .LBB93_26
; %bb.21:
	v_cmp_ngt_f32_e64 s1, |v0|, |v1|
                                        ; implicit-def: $vgpr2_vgpr3
	s_and_saveexec_b32 s4, s1
	s_delay_alu instid0(SALU_CYCLE_1)
	s_xor_b32 s1, exec_lo, s4
	s_cbranch_execz .LBB93_23
; %bb.22:
	v_div_scale_f32 v2, null, v1, v1, v0
	v_div_scale_f32 v5, vcc_lo, v0, v1, v0
	s_delay_alu instid0(VALU_DEP_2) | instskip(SKIP_1) | instid1(TRANS32_DEP_1)
	v_rcp_f32_e32 v3, v2
	v_nop
	v_fma_f32 v4, -v2, v3, 1.0
	s_delay_alu instid0(VALU_DEP_1) | instskip(NEXT) | instid1(VALU_DEP_1)
	v_fmac_f32_e32 v3, v4, v3
	v_mul_f32_e32 v4, v5, v3
	s_delay_alu instid0(VALU_DEP_1) | instskip(NEXT) | instid1(VALU_DEP_1)
	v_fma_f32 v6, -v2, v4, v5
	v_fmac_f32_e32 v4, v6, v3
	s_delay_alu instid0(VALU_DEP_1) | instskip(NEXT) | instid1(VALU_DEP_1)
	v_fma_f32 v2, -v2, v4, v5
	v_div_fmas_f32 v2, v2, v3, v4
	s_delay_alu instid0(VALU_DEP_1) | instskip(NEXT) | instid1(VALU_DEP_1)
	v_div_fixup_f32 v2, v2, v1, v0
	v_fmac_f32_e32 v1, v0, v2
	s_delay_alu instid0(VALU_DEP_1) | instskip(SKIP_1) | instid1(VALU_DEP_2)
	v_div_scale_f32 v0, null, v1, v1, 1.0
	v_div_scale_f32 v5, vcc_lo, 1.0, v1, 1.0
	v_rcp_f32_e32 v3, v0
	v_nop
	s_delay_alu instid0(TRANS32_DEP_1) | instskip(NEXT) | instid1(VALU_DEP_1)
	v_fma_f32 v4, -v0, v3, 1.0
	v_fmac_f32_e32 v3, v4, v3
	s_delay_alu instid0(VALU_DEP_1) | instskip(NEXT) | instid1(VALU_DEP_1)
	v_mul_f32_e32 v4, v5, v3
	v_fma_f32 v6, -v0, v4, v5
	s_delay_alu instid0(VALU_DEP_1) | instskip(NEXT) | instid1(VALU_DEP_1)
	v_fmac_f32_e32 v4, v6, v3
	v_fma_f32 v0, -v0, v4, v5
	s_delay_alu instid0(VALU_DEP_1) | instskip(NEXT) | instid1(VALU_DEP_1)
	v_div_fmas_f32 v0, v0, v3, v4
	v_div_fixup_f32 v0, v0, v1, 1.0
	s_delay_alu instid0(VALU_DEP_1)
	v_mul_f32_e32 v2, v2, v0
	v_xor_b32_e32 v3, 0x80000000, v0
                                        ; implicit-def: $vgpr0_vgpr1
.LBB93_23:
	s_and_not1_saveexec_b32 s1, s1
	s_cbranch_execz .LBB93_25
; %bb.24:
	v_div_scale_f32 v2, null, v0, v0, v1
	v_div_scale_f32 v5, vcc_lo, v1, v0, v1
	s_delay_alu instid0(VALU_DEP_2) | instskip(SKIP_1) | instid1(TRANS32_DEP_1)
	v_rcp_f32_e32 v3, v2
	v_nop
	v_fma_f32 v4, -v2, v3, 1.0
	s_delay_alu instid0(VALU_DEP_1) | instskip(NEXT) | instid1(VALU_DEP_1)
	v_fmac_f32_e32 v3, v4, v3
	v_mul_f32_e32 v4, v5, v3
	s_delay_alu instid0(VALU_DEP_1) | instskip(NEXT) | instid1(VALU_DEP_1)
	v_fma_f32 v6, -v2, v4, v5
	v_fmac_f32_e32 v4, v6, v3
	s_delay_alu instid0(VALU_DEP_1) | instskip(NEXT) | instid1(VALU_DEP_1)
	v_fma_f32 v2, -v2, v4, v5
	v_div_fmas_f32 v2, v2, v3, v4
	s_delay_alu instid0(VALU_DEP_1) | instskip(NEXT) | instid1(VALU_DEP_1)
	v_div_fixup_f32 v3, v2, v0, v1
	v_fmac_f32_e32 v0, v1, v3
	s_delay_alu instid0(VALU_DEP_1) | instskip(NEXT) | instid1(VALU_DEP_1)
	v_div_scale_f32 v1, null, v0, v0, 1.0
	v_rcp_f32_e32 v2, v1
	v_nop
	s_delay_alu instid0(TRANS32_DEP_1) | instskip(NEXT) | instid1(VALU_DEP_1)
	v_fma_f32 v4, -v1, v2, 1.0
	v_fmac_f32_e32 v2, v4, v2
	v_div_scale_f32 v4, vcc_lo, 1.0, v0, 1.0
	s_delay_alu instid0(VALU_DEP_1) | instskip(NEXT) | instid1(VALU_DEP_1)
	v_mul_f32_e32 v5, v4, v2
	v_fma_f32 v6, -v1, v5, v4
	s_delay_alu instid0(VALU_DEP_1) | instskip(NEXT) | instid1(VALU_DEP_1)
	v_fmac_f32_e32 v5, v6, v2
	v_fma_f32 v1, -v1, v5, v4
	s_delay_alu instid0(VALU_DEP_1) | instskip(NEXT) | instid1(VALU_DEP_1)
	v_div_fmas_f32 v1, v1, v2, v5
	v_div_fixup_f32 v2, v1, v0, 1.0
	s_delay_alu instid0(VALU_DEP_1)
	v_mul_f32_e64 v3, v3, -v2
.LBB93_25:
	s_or_b32 exec_lo, exec_lo, s1
	ds_store_b64 v37, v[2:3]
.LBB93_26:
	s_or_b32 exec_lo, exec_lo, s2
	s_wait_dscnt 0x0
	s_barrier_signal -1
	s_barrier_wait -1
	ds_load_b64 v[194:195], v37
	s_mov_b32 s1, exec_lo
	v_cmpx_lt_u32_e32 2, v36
	s_cbranch_execz .LBB93_28
; %bb.27:
	ds_load_2addr_b64 v[4:7], v40 offset0:3 offset1:4
	ds_load_2addr_b64 v[8:11], v40 offset0:5 offset1:6
	;; [unrolled: 1-line block ×3, first 2 shown]
	s_wait_dscnt 0x3
	v_pk_mul_f32 v[2:3], v[194:195], v[86:87] op_sel:[1,1] op_sel_hi:[0,1]
	ds_load_2addr_b64 v[18:21], v40 offset0:9 offset1:10
	ds_load_2addr_b64 v[22:25], v40 offset0:11 offset1:12
	v_pk_fma_f32 v[0:1], v[194:195], v[86:87], v[2:3] op_sel_hi:[1,0,1] neg_lo:[0,0,1] neg_hi:[0,0,1]
	v_pk_fma_f32 v[2:3], v[194:195], v[86:87], v[2:3] op_sel_hi:[1,0,1]
	s_delay_alu instid0(VALU_DEP_1) | instskip(SKIP_1) | instid1(VALU_DEP_2)
	v_dual_mov_b32 v86, v0 :: v_dual_mov_b32 v87, v3
	s_wait_dscnt 0x4
	v_pk_mul_f32 v[30:31], v[4:5], v[2:3] op_sel:[0,1]
	v_pk_mul_f32 v[34:35], v[6:7], v[2:3] op_sel:[0,1]
	s_wait_dscnt 0x3
	v_pk_mul_f32 v[50:51], v[8:9], v[2:3] op_sel:[0,1]
	v_dual_mov_b32 v52, v11 :: v_dual_mov_b32 v53, v10
	v_dual_mul_f32 v196, v11, v3 :: v_dual_mul_f32 v198, v11, v0
	v_pk_fma_f32 v[204:205], v[4:5], v[0:1], v[30:31] op_sel:[0,0,1] op_sel_hi:[1,1,0] neg_lo:[0,0,1] neg_hi:[0,0,1]
	v_pk_fma_f32 v[4:5], v[4:5], v[0:1], v[30:31] op_sel:[0,0,1] op_sel_hi:[1,0,0]
	v_pk_fma_f32 v[30:31], v[6:7], v[0:1], v[34:35] op_sel:[0,0,1] op_sel_hi:[1,1,0] neg_lo:[0,0,1] neg_hi:[0,0,1]
	v_pk_fma_f32 v[6:7], v[6:7], v[0:1], v[34:35] op_sel:[0,0,1] op_sel_hi:[1,0,0]
	;; [unrolled: 2-line block ×3, first 2 shown]
	v_pk_fma_f32 v[50:51], v[52:53], v[86:87], v[198:199] op_sel_hi:[1,1,0]
	v_pk_fma_f32 v[10:11], v[10:11], v[86:87], v[196:197] op_sel_hi:[1,1,0] neg_lo:[0,0,1] neg_hi:[0,0,1]
	s_wait_dscnt 0x2
	v_pk_mul_f32 v[200:201], v[12:13], v[2:3] op_sel:[0,1]
	v_pk_mul_f32 v[202:203], v[14:15], v[2:3] op_sel:[0,1]
	v_dual_mov_b32 v205, v5 :: v_dual_mov_b32 v31, v7
	v_dual_mov_b32 v35, v9 :: v_dual_mov_b32 v11, v51
	s_delay_alu instid0(VALU_DEP_4)
	v_pk_fma_f32 v[8:9], v[12:13], v[0:1], v[200:201] op_sel:[0,0,1] op_sel_hi:[1,0,0]
	ds_load_2addr_b64 v[4:7], v40 offset0:13 offset1:14
	v_pk_add_f32 v[38:39], v[38:39], v[30:31] neg_lo:[0,1] neg_hi:[0,1]
	v_pk_fma_f32 v[30:31], v[14:15], v[0:1], v[202:203] op_sel:[0,0,1] op_sel_hi:[1,0,0]
	v_pk_add_f32 v[60:61], v[60:61], v[10:11] neg_lo:[0,1] neg_hi:[0,1]
	s_wait_dscnt 0x2
	v_pk_mul_f32 v[10:11], v[18:19], v[2:3] op_sel:[0,1]
	v_pk_fma_f32 v[12:13], v[12:13], v[0:1], v[200:201] op_sel:[0,0,1] op_sel_hi:[1,1,0] neg_lo:[0,0,1] neg_hi:[0,0,1]
	v_pk_fma_f32 v[14:15], v[14:15], v[0:1], v[202:203] op_sel:[0,0,1] op_sel_hi:[1,1,0] neg_lo:[0,0,1] neg_hi:[0,0,1]
	v_dual_mov_b32 v13, v9 :: v_dual_mov_b32 v15, v31
	s_delay_alu instid0(VALU_DEP_4) | instskip(SKIP_2) | instid1(VALU_DEP_4)
	v_pk_fma_f32 v[8:9], v[18:19], v[0:1], v[10:11] op_sel:[0,0,1] op_sel_hi:[1,0,0]
	v_pk_mul_f32 v[30:31], v[20:21], v[2:3] op_sel:[0,1]
	v_pk_fma_f32 v[18:19], v[18:19], v[0:1], v[10:11] op_sel:[0,0,1] op_sel_hi:[1,1,0] neg_lo:[0,0,1] neg_hi:[0,0,1]
	v_pk_add_f32 v[58:59], v[58:59], v[12:13] neg_lo:[0,1] neg_hi:[0,1]
	v_pk_add_f32 v[82:83], v[82:83], v[14:15] neg_lo:[0,1] neg_hi:[0,1]
	v_mov_b32_e32 v19, v9
	v_pk_fma_f32 v[12:13], v[20:21], v[0:1], v[30:31] op_sel:[0,0,1] op_sel_hi:[1,0,0]
	ds_load_2addr_b64 v[8:11], v40 offset0:15 offset1:16
	v_pk_fma_f32 v[14:15], v[20:21], v[0:1], v[30:31] op_sel:[0,0,1] op_sel_hi:[1,1,0] neg_lo:[0,0,1] neg_hi:[0,0,1]
	s_wait_dscnt 0x2
	v_mul_f32_e32 v12, v23, v0
	v_pk_add_f32 v[80:81], v[80:81], v[18:19] neg_lo:[0,1] neg_hi:[0,1]
	v_dual_mov_b32 v15, v13 :: v_dual_mul_f32 v18, v23, v3
	v_pk_mul_f32 v[20:21], v[24:25], v[2:3] op_sel:[0,1]
	s_delay_alu instid0(VALU_DEP_4)
	v_pk_fma_f32 v[12:13], v[22:23], v[86:87], v[12:13] op_sel:[1,0,0] op_sel_hi:[0,1,0]
	s_wait_dscnt 0x1
	v_pk_mul_f32 v[30:31], v[4:5], v[2:3] op_sel:[0,1]
	v_pk_add_f32 v[32:33], v[32:33], v[34:35] neg_lo:[0,1] neg_hi:[0,1]
	v_pk_fma_f32 v[18:19], v[22:23], v[86:87], v[18:19] op_sel_hi:[1,1,0] neg_lo:[0,0,1] neg_hi:[0,0,1]
	v_pk_fma_f32 v[22:23], v[24:25], v[0:1], v[20:21] op_sel:[0,0,1] op_sel_hi:[1,0,0]
	v_pk_fma_f32 v[20:21], v[24:25], v[0:1], v[20:21] op_sel:[0,0,1] op_sel_hi:[1,1,0] neg_lo:[0,0,1] neg_hi:[0,0,1]
	v_mov_b32_e32 v19, v13
	v_pk_fma_f32 v[34:35], v[4:5], v[0:1], v[30:31] op_sel:[0,0,1] op_sel_hi:[1,0,0]
	v_pk_fma_f32 v[4:5], v[4:5], v[0:1], v[30:31] op_sel:[0,0,1] op_sel_hi:[1,1,0] neg_lo:[0,0,1] neg_hi:[0,0,1]
	v_mov_b32_e32 v21, v23
	v_pk_mul_f32 v[22:23], v[6:7], v[2:3] op_sel:[0,1]
	v_pk_add_f32 v[28:29], v[28:29], v[14:15] neg_lo:[0,1] neg_hi:[0,1]
	ds_load_2addr_b64 v[12:15], v40 offset0:17 offset1:18
	v_pk_add_f32 v[26:27], v[26:27], v[18:19] neg_lo:[0,1] neg_hi:[0,1]
	s_wait_dscnt 0x1
	v_pk_mul_f32 v[24:25], v[8:9], v[2:3] op_sel:[0,1]
	v_pk_fma_f32 v[18:19], v[6:7], v[0:1], v[22:23] op_sel:[0,0,1] op_sel_hi:[1,0,0]
	v_mov_b32_e32 v5, v35
	v_pk_fma_f32 v[22:23], v[6:7], v[0:1], v[22:23] op_sel:[0,0,1] op_sel_hi:[1,1,0] neg_lo:[0,0,1] neg_hi:[0,0,1]
	v_pk_add_f32 v[48:49], v[48:49], v[20:21] neg_lo:[0,1] neg_hi:[0,1]
	v_pk_fma_f32 v[20:21], v[8:9], v[0:1], v[24:25] op_sel:[0,0,1] op_sel_hi:[1,0,0]
	v_mov_b32_e32 v23, v19
	v_pk_add_f32 v[44:45], v[44:45], v[4:5] neg_lo:[0,1] neg_hi:[0,1]
	ds_load_2addr_b64 v[4:7], v40 offset0:19 offset1:20
	v_pk_fma_f32 v[8:9], v[8:9], v[0:1], v[24:25] op_sel:[0,0,1] op_sel_hi:[1,1,0] neg_lo:[0,0,1] neg_hi:[0,0,1]
	v_dual_mov_b32 v9, v21 :: v_dual_mov_b32 v18, v11
	v_dual_mov_b32 v19, v10 :: v_dual_mul_f32 v20, v11, v0
	v_pk_add_f32 v[46:47], v[46:47], v[22:23] neg_lo:[0,1] neg_hi:[0,1]
	s_delay_alu instid0(VALU_DEP_3)
	v_pk_add_f32 v[42:43], v[42:43], v[8:9] neg_lo:[0,1] neg_hi:[0,1]
	v_mul_f32_e32 v8, v11, v3
	v_pk_add_f32 v[84:85], v[84:85], v[204:205] neg_lo:[0,1] neg_hi:[0,1]
	s_wait_dscnt 0x1
	v_pk_mul_f32 v[24:25], v[12:13], v[2:3] op_sel:[0,1]
	v_pk_fma_f32 v[22:23], v[18:19], v[86:87], v[20:21] op_sel_hi:[1,1,0]
	v_pk_mul_f32 v[34:35], v[14:15], v[2:3] op_sel:[0,1]
	ds_load_2addr_b64 v[18:21], v40 offset0:21 offset1:22
	v_pk_fma_f32 v[50:51], v[10:11], v[86:87], v[8:9] op_sel_hi:[1,1,0] neg_lo:[0,0,1] neg_hi:[0,0,1]
	v_pk_fma_f32 v[30:31], v[12:13], v[0:1], v[24:25] op_sel:[0,0,1] op_sel_hi:[1,0,0]
	v_mov_b32_e32 v51, v23
	v_pk_fma_f32 v[12:13], v[12:13], v[0:1], v[24:25] op_sel:[0,0,1] op_sel_hi:[1,1,0] neg_lo:[0,0,1] neg_hi:[0,0,1]
	v_pk_fma_f32 v[22:23], v[14:15], v[0:1], v[34:35] op_sel:[0,0,1] op_sel_hi:[1,0,0]
	ds_load_2addr_b64 v[8:11], v40 offset0:23 offset1:24
	s_wait_dscnt 0x2
	v_pk_mul_f32 v[24:25], v[4:5], v[2:3] op_sel:[0,1]
	v_pk_fma_f32 v[14:15], v[14:15], v[0:1], v[34:35] op_sel:[0,0,1] op_sel_hi:[1,1,0] neg_lo:[0,0,1] neg_hi:[0,0,1]
	v_mov_b32_e32 v13, v31
	v_pk_add_f32 v[70:71], v[70:71], v[50:51] neg_lo:[0,1] neg_hi:[0,1]
	s_delay_alu instid0(VALU_DEP_4)
	v_pk_fma_f32 v[30:31], v[4:5], v[0:1], v[24:25] op_sel:[0,0,1] op_sel_hi:[1,0,0]
	v_mov_b32_e32 v15, v23
	v_pk_mul_f32 v[22:23], v[6:7], v[2:3] op_sel:[0,1]
	v_pk_fma_f32 v[4:5], v[4:5], v[0:1], v[24:25] op_sel:[0,0,1] op_sel_hi:[1,1,0] neg_lo:[0,0,1] neg_hi:[0,0,1]
	v_pk_add_f32 v[66:67], v[66:67], v[12:13] neg_lo:[0,1] neg_hi:[0,1]
	v_mov_b32_e32 v5, v31
	v_pk_add_f32 v[68:69], v[68:69], v[14:15] neg_lo:[0,1] neg_hi:[0,1]
	v_pk_fma_f32 v[24:25], v[6:7], v[0:1], v[22:23] op_sel:[0,0,1] op_sel_hi:[1,0,0]
	ds_load_2addr_b64 v[12:15], v40 offset0:25 offset1:26
	v_pk_fma_f32 v[6:7], v[6:7], v[0:1], v[22:23] op_sel:[0,0,1] op_sel_hi:[1,1,0] neg_lo:[0,0,1] neg_hi:[0,0,1]
	s_wait_dscnt 0x2
	v_dual_mul_f32 v22, v19, v0 :: v_dual_mul_f32 v24, v19, v3
	v_mov_b32_e32 v7, v25
	v_pk_add_f32 v[64:65], v[64:65], v[4:5] neg_lo:[0,1] neg_hi:[0,1]
	v_pk_mul_f32 v[4:5], v[20:21], v[2:3] op_sel:[0,1]
	s_delay_alu instid0(VALU_DEP_4)
	v_pk_fma_f32 v[22:23], v[18:19], v[86:87], v[22:23] op_sel:[1,0,0] op_sel_hi:[0,1,0]
	s_wait_dscnt 0x1
	v_pk_mul_f32 v[30:31], v[8:9], v[2:3] op_sel:[0,1]
	v_pk_add_f32 v[94:95], v[94:95], v[6:7] neg_lo:[0,1] neg_hi:[0,1]
	v_pk_fma_f32 v[18:19], v[18:19], v[86:87], v[24:25] op_sel_hi:[1,1,0] neg_lo:[0,0,1] neg_hi:[0,0,1]
	v_pk_fma_f32 v[6:7], v[20:21], v[0:1], v[4:5] op_sel:[0,0,1] op_sel_hi:[1,0,0]
	v_pk_fma_f32 v[20:21], v[20:21], v[0:1], v[4:5] op_sel:[0,0,1] op_sel_hi:[1,1,0] neg_lo:[0,0,1] neg_hi:[0,0,1]
	v_mov_b32_e32 v19, v23
	v_pk_fma_f32 v[22:23], v[8:9], v[0:1], v[30:31] op_sel:[0,0,1] op_sel_hi:[1,0,0]
	v_pk_mul_f32 v[24:25], v[10:11], v[2:3] op_sel:[0,1]
	v_mov_b32_e32 v21, v7
	ds_load_2addr_b64 v[4:7], v40 offset0:27 offset1:28
	v_pk_fma_f32 v[8:9], v[8:9], v[0:1], v[30:31] op_sel:[0,0,1] op_sel_hi:[1,1,0] neg_lo:[0,0,1] neg_hi:[0,0,1]
	v_pk_add_f32 v[90:91], v[90:91], v[18:19] neg_lo:[0,1] neg_hi:[0,1]
	v_pk_fma_f32 v[18:19], v[10:11], v[0:1], v[24:25] op_sel:[0,0,1] op_sel_hi:[1,0,0]
	v_mov_b32_e32 v9, v23
	s_wait_dscnt 0x1
	v_pk_mul_f32 v[22:23], v[12:13], v[2:3] op_sel:[0,1]
	v_pk_fma_f32 v[24:25], v[10:11], v[0:1], v[24:25] op_sel:[0,0,1] op_sel_hi:[1,1,0] neg_lo:[0,0,1] neg_hi:[0,0,1]
	v_pk_add_f32 v[92:93], v[92:93], v[20:21] neg_lo:[0,1] neg_hi:[0,1]
	v_mov_b32_e32 v25, v19
	v_pk_add_f32 v[88:89], v[88:89], v[8:9] neg_lo:[0,1] neg_hi:[0,1]
	v_pk_fma_f32 v[20:21], v[12:13], v[0:1], v[22:23] op_sel:[0,0,1] op_sel_hi:[1,0,0]
	ds_load_2addr_b64 v[8:11], v40 offset0:29 offset1:30
	v_pk_fma_f32 v[12:13], v[12:13], v[0:1], v[22:23] op_sel:[0,0,1] op_sel_hi:[1,1,0] neg_lo:[0,0,1] neg_hi:[0,0,1]
	v_dual_mov_b32 v18, v15 :: v_dual_mov_b32 v19, v14
	v_dual_mul_f32 v20, v15, v0 :: v_dual_mov_b32 v13, v21
	v_pk_add_f32 v[112:113], v[112:113], v[24:25] neg_lo:[0,1] neg_hi:[0,1]
	s_delay_alu instid0(VALU_DEP_2) | instskip(NEXT) | instid1(VALU_DEP_3)
	v_pk_fma_f32 v[24:25], v[18:19], v[86:87], v[20:21] op_sel_hi:[1,1,0]
	v_pk_add_f32 v[108:109], v[108:109], v[12:13] neg_lo:[0,1] neg_hi:[0,1]
	s_wait_dscnt 0x1
	v_pk_mul_f32 v[12:13], v[4:5], v[2:3] op_sel:[0,1]
	ds_load_2addr_b64 v[18:21], v40 offset0:31 offset1:32
	v_mul_f32_e32 v22, v15, v3
	v_pk_mul_f32 v[30:31], v[6:7], v[2:3] op_sel:[0,1]
	v_pk_fma_f32 v[34:35], v[4:5], v[0:1], v[12:13] op_sel:[0,0,1] op_sel_hi:[1,0,0]
	v_pk_fma_f32 v[4:5], v[4:5], v[0:1], v[12:13] op_sel:[0,0,1] op_sel_hi:[1,1,0] neg_lo:[0,0,1] neg_hi:[0,0,1]
	s_delay_alu instid0(VALU_DEP_4)
	v_pk_fma_f32 v[22:23], v[14:15], v[86:87], v[22:23] op_sel_hi:[1,1,0] neg_lo:[0,0,1] neg_hi:[0,0,1]
	v_mov_b32_e32 v23, v25
	v_pk_fma_f32 v[24:25], v[6:7], v[0:1], v[30:31] op_sel:[0,0,1] op_sel_hi:[1,0,0]
	v_mov_b32_e32 v5, v35
	s_wait_dscnt 0x1
	v_pk_mul_f32 v[34:35], v[8:9], v[2:3] op_sel:[0,1]
	ds_load_2addr_b64 v[12:15], v40 offset0:33 offset1:34
	v_pk_fma_f32 v[6:7], v[6:7], v[0:1], v[30:31] op_sel:[0,0,1] op_sel_hi:[1,1,0] neg_lo:[0,0,1] neg_hi:[0,0,1]
	v_mov_b32_e32 v7, v25
	v_pk_add_f32 v[110:111], v[110:111], v[22:23] neg_lo:[0,1] neg_hi:[0,1]
	v_pk_fma_f32 v[24:25], v[8:9], v[0:1], v[34:35] op_sel:[0,0,1] op_sel_hi:[1,0,0]
	v_pk_mul_f32 v[22:23], v[10:11], v[2:3] op_sel:[0,1]
	v_pk_fma_f32 v[8:9], v[8:9], v[0:1], v[34:35] op_sel:[0,0,1] op_sel_hi:[1,1,0] neg_lo:[0,0,1] neg_hi:[0,0,1]
	v_pk_add_f32 v[106:107], v[106:107], v[4:5] neg_lo:[0,1] neg_hi:[0,1]
	v_pk_add_f32 v[128:129], v[128:129], v[6:7] neg_lo:[0,1] neg_hi:[0,1]
	s_wait_dscnt 0x1
	v_dual_mov_b32 v9, v25 :: v_dual_mul_f32 v24, v19, v0
	ds_load_2addr_b64 v[4:7], v40 offset0:35 offset1:36
	v_pk_fma_f32 v[30:31], v[10:11], v[0:1], v[22:23] op_sel:[0,0,1] op_sel_hi:[1,0,0]
	v_pk_fma_f32 v[10:11], v[10:11], v[0:1], v[22:23] op_sel:[0,0,1] op_sel_hi:[1,1,0] neg_lo:[0,0,1] neg_hi:[0,0,1]
	v_pk_add_f32 v[124:125], v[124:125], v[8:9] neg_lo:[0,1] neg_hi:[0,1]
	v_mul_f32_e32 v8, v19, v3
	v_pk_fma_f32 v[22:23], v[18:19], v[86:87], v[24:25] op_sel:[1,0,0] op_sel_hi:[0,1,0]
	v_pk_mul_f32 v[24:25], v[20:21], v[2:3] op_sel:[0,1]
	v_mov_b32_e32 v11, v31
	s_delay_alu instid0(VALU_DEP_4)
	v_pk_fma_f32 v[18:19], v[18:19], v[86:87], v[8:9] op_sel_hi:[1,1,0] neg_lo:[0,0,1] neg_hi:[0,0,1]
	s_wait_dscnt 0x1
	v_pk_mul_f32 v[30:31], v[12:13], v[2:3] op_sel:[0,1]
	v_mov_b32_e32 v19, v23
	v_pk_fma_f32 v[22:23], v[20:21], v[0:1], v[24:25] op_sel:[0,0,1] op_sel_hi:[1,0,0]
	v_pk_mul_f32 v[34:35], v[14:15], v[2:3] op_sel:[0,1]
	v_pk_add_f32 v[126:127], v[126:127], v[10:11] neg_lo:[0,1] neg_hi:[0,1]
	ds_load_2addr_b64 v[8:11], v40 offset0:37 offset1:38
	v_pk_fma_f32 v[20:21], v[20:21], v[0:1], v[24:25] op_sel:[0,0,1] op_sel_hi:[1,1,0] neg_lo:[0,0,1] neg_hi:[0,0,1]
	v_pk_fma_f32 v[50:51], v[12:13], v[0:1], v[30:31] op_sel:[0,0,1] op_sel_hi:[1,0,0]
	v_mov_b32_e32 v21, v23
	v_pk_fma_f32 v[22:23], v[14:15], v[0:1], v[34:35] op_sel:[0,0,1] op_sel_hi:[1,0,0]
	v_pk_fma_f32 v[12:13], v[12:13], v[0:1], v[30:31] op_sel:[0,0,1] op_sel_hi:[1,1,0] neg_lo:[0,0,1] neg_hi:[0,0,1]
	v_pk_fma_f32 v[14:15], v[14:15], v[0:1], v[34:35] op_sel:[0,0,1] op_sel_hi:[1,1,0] neg_lo:[0,0,1] neg_hi:[0,0,1]
	v_mov_b32_e32 v13, v51
	s_wait_dscnt 0x1
	v_pk_mul_f32 v[24:25], v[4:5], v[2:3] op_sel:[0,1]
	v_dual_mov_b32 v15, v23 :: v_dual_mov_b32 v22, v7
	v_pk_add_f32 v[122:123], v[122:123], v[18:19] neg_lo:[0,1] neg_hi:[0,1]
	v_pk_add_f32 v[140:141], v[140:141], v[12:13] neg_lo:[0,1] neg_hi:[0,1]
	s_delay_alu instid0(VALU_DEP_4) | instskip(NEXT) | instid1(VALU_DEP_4)
	v_pk_fma_f32 v[18:19], v[4:5], v[0:1], v[24:25] op_sel:[0,0,1] op_sel_hi:[1,0,0]
	v_pk_add_f32 v[142:143], v[142:143], v[14:15] neg_lo:[0,1] neg_hi:[0,1]
	ds_load_2addr_b64 v[12:15], v40 offset0:39 offset1:40
	v_pk_fma_f32 v[4:5], v[4:5], v[0:1], v[24:25] op_sel:[0,0,1] op_sel_hi:[1,1,0] neg_lo:[0,0,1] neg_hi:[0,0,1]
	v_pk_add_f32 v[144:145], v[144:145], v[20:21] neg_lo:[0,1] neg_hi:[0,1]
	v_mov_b32_e32 v5, v19
	ds_load_2addr_b64 v[18:21], v40 offset0:41 offset1:42
	s_wait_dscnt 0x2
	v_pk_mul_f32 v[30:31], v[8:9], v[2:3] op_sel:[0,1]
	v_dual_mov_b32 v23, v6 :: v_dual_mul_f32 v24, v7, v0
	v_pk_add_f32 v[138:139], v[138:139], v[4:5] neg_lo:[0,1] neg_hi:[0,1]
	v_pk_mul_f32 v[50:51], v[10:11], v[2:3] op_sel:[0,1]
	s_delay_alu instid0(VALU_DEP_4)
	v_pk_fma_f32 v[4:5], v[8:9], v[0:1], v[30:31] op_sel:[0,0,1] op_sel_hi:[1,0,0]
	v_mul_f32_e32 v34, v7, v3
	v_pk_fma_f32 v[22:23], v[22:23], v[86:87], v[24:25] op_sel_hi:[1,1,0]
	v_pk_fma_f32 v[8:9], v[8:9], v[0:1], v[30:31] op_sel:[0,0,1] op_sel_hi:[1,1,0] neg_lo:[0,0,1] neg_hi:[0,0,1]
	v_pk_fma_f32 v[24:25], v[10:11], v[0:1], v[50:51] op_sel:[0,0,1] op_sel_hi:[1,0,0]
	v_mov_b32_e32 v9, v5
	v_pk_fma_f32 v[6:7], v[6:7], v[86:87], v[34:35] op_sel_hi:[1,1,0] neg_lo:[0,0,1] neg_hi:[0,0,1]
	v_mov_b32_e32 v7, v23
	v_pk_fma_f32 v[10:11], v[10:11], v[0:1], v[50:51] op_sel:[0,0,1] op_sel_hi:[1,1,0] neg_lo:[0,0,1] neg_hi:[0,0,1]
	v_mov_b32_e32 v11, v25
	s_wait_dscnt 0x1
	v_pk_mul_f32 v[22:23], v[12:13], v[2:3] op_sel:[0,1]
	v_pk_mul_f32 v[30:31], v[14:15], v[2:3] op_sel:[0,1]
	v_pk_add_f32 v[162:163], v[162:163], v[6:7] neg_lo:[0,1] neg_hi:[0,1]
	ds_load_2addr_b64 v[4:7], v40 offset0:43 offset1:44
	v_pk_add_f32 v[158:159], v[158:159], v[8:9] neg_lo:[0,1] neg_hi:[0,1]
	v_pk_fma_f32 v[24:25], v[12:13], v[0:1], v[22:23] op_sel:[0,0,1] op_sel_hi:[1,0,0]
	s_wait_dscnt 0x1
	v_mul_f32_e32 v24, v19, v0
	v_pk_add_f32 v[160:161], v[160:161], v[10:11] neg_lo:[0,1] neg_hi:[0,1]
	ds_load_2addr_b64 v[8:11], v40 offset0:45 offset1:46
	v_pk_fma_f32 v[12:13], v[12:13], v[0:1], v[22:23] op_sel:[0,0,1] op_sel_hi:[1,1,0] neg_lo:[0,0,1] neg_hi:[0,0,1]
	v_pk_fma_f32 v[22:23], v[14:15], v[0:1], v[30:31] op_sel:[0,0,1] op_sel_hi:[1,0,0]
	v_mov_b32_e32 v13, v25
	v_pk_fma_f32 v[24:25], v[18:19], v[86:87], v[24:25] op_sel:[1,0,0] op_sel_hi:[0,1,0]
	v_mul_f32_e32 v22, v19, v3
	v_pk_fma_f32 v[14:15], v[14:15], v[0:1], v[30:31] op_sel:[0,0,1] op_sel_hi:[1,1,0] neg_lo:[0,0,1] neg_hi:[0,0,1]
	v_pk_mul_f32 v[30:31], v[20:21], v[2:3] op_sel:[0,1]
	v_pk_add_f32 v[156:157], v[156:157], v[12:13] neg_lo:[0,1] neg_hi:[0,1]
	s_delay_alu instid0(VALU_DEP_4) | instskip(SKIP_1) | instid1(VALU_DEP_4)
	v_pk_fma_f32 v[18:19], v[18:19], v[86:87], v[22:23] op_sel_hi:[1,1,0] neg_lo:[0,0,1] neg_hi:[0,0,1]
	v_mov_b32_e32 v19, v25
	v_pk_fma_f32 v[12:13], v[20:21], v[0:1], v[30:31] op_sel:[0,0,1] op_sel_hi:[1,0,0]
	v_mov_b32_e32 v15, v23
	s_delay_alu instid0(VALU_DEP_3) | instskip(SKIP_1) | instid1(VALU_DEP_4)
	v_pk_add_f32 v[176:177], v[176:177], v[18:19] neg_lo:[0,1] neg_hi:[0,1]
	v_pk_fma_f32 v[18:19], v[20:21], v[0:1], v[30:31] op_sel:[0,0,1] op_sel_hi:[1,1,0] neg_lo:[0,0,1] neg_hi:[0,0,1]
	v_mov_b32_e32 v19, v13
	s_delay_alu instid0(VALU_DEP_4)
	v_pk_add_f32 v[182:183], v[182:183], v[14:15] neg_lo:[0,1] neg_hi:[0,1]
	s_wait_dscnt 0x1
	v_pk_mul_f32 v[14:15], v[4:5], v[2:3] op_sel:[0,1]
	v_pk_mul_f32 v[12:13], v[6:7], v[2:3] op_sel:[0,1]
	s_wait_dscnt 0x0
	v_pk_mul_f32 v[22:23], v[8:9], v[2:3] op_sel:[0,1]
	v_pk_mul_f32 v[2:3], v[10:11], v[2:3] op_sel:[0,1]
	v_pk_add_f32 v[180:181], v[180:181], v[18:19] neg_lo:[0,1] neg_hi:[0,1]
	v_pk_fma_f32 v[20:21], v[4:5], v[0:1], v[14:15] op_sel:[0,0,1] op_sel_hi:[1,0,0]
	v_pk_fma_f32 v[4:5], v[4:5], v[0:1], v[14:15] op_sel:[0,0,1] op_sel_hi:[1,1,0] neg_lo:[0,0,1] neg_hi:[0,0,1]
	v_pk_fma_f32 v[14:15], v[6:7], v[0:1], v[12:13] op_sel:[0,0,1] op_sel_hi:[1,0,0]
	v_pk_fma_f32 v[6:7], v[6:7], v[0:1], v[12:13] op_sel:[0,0,1] op_sel_hi:[1,1,0] neg_lo:[0,0,1] neg_hi:[0,0,1]
	v_pk_fma_f32 v[12:13], v[10:11], v[0:1], v[2:3] op_sel:[0,0,1] op_sel_hi:[1,0,0]
	v_mov_b32_e32 v5, v21
	v_pk_fma_f32 v[20:21], v[8:9], v[0:1], v[22:23] op_sel:[0,0,1] op_sel_hi:[1,0,0]
	v_pk_fma_f32 v[8:9], v[8:9], v[0:1], v[22:23] op_sel:[0,0,1] op_sel_hi:[1,1,0] neg_lo:[0,0,1] neg_hi:[0,0,1]
	v_pk_fma_f32 v[0:1], v[10:11], v[0:1], v[2:3] op_sel:[0,0,1] op_sel_hi:[1,1,0] neg_lo:[0,0,1] neg_hi:[0,0,1]
	v_dual_mov_b32 v7, v15 :: v_dual_mov_b32 v1, v13
	s_delay_alu instid0(VALU_DEP_4) | instskip(SKIP_1) | instid1(VALU_DEP_3)
	v_mov_b32_e32 v9, v21
	v_pk_add_f32 v[174:175], v[174:175], v[4:5] neg_lo:[0,1] neg_hi:[0,1]
	v_pk_add_f32 v[178:179], v[178:179], v[6:7] neg_lo:[0,1] neg_hi:[0,1]
	s_delay_alu instid0(VALU_DEP_4) | instskip(NEXT) | instid1(VALU_DEP_4)
	v_pk_add_f32 v[188:189], v[188:189], v[0:1] neg_lo:[0,1] neg_hi:[0,1]
	v_pk_add_f32 v[186:187], v[186:187], v[8:9] neg_lo:[0,1] neg_hi:[0,1]
.LBB93_28:
	s_or_b32 exec_lo, exec_lo, s1
	s_delay_alu instid0(SALU_CYCLE_1)
	s_mov_b32 s2, exec_lo
	s_wait_dscnt 0x0
	s_barrier_signal -1
	s_barrier_wait -1
	v_cmpx_eq_u32_e32 3, v36
	s_cbranch_execz .LBB93_35
; %bb.29:
	v_dual_mov_b32 v0, v38 :: v_dual_mov_b32 v1, v39
	v_dual_mov_b32 v2, v32 :: v_dual_mov_b32 v3, v33
	;; [unrolled: 1-line block ×8, first 2 shown]
	ds_store_b64 v37, v[84:85]
	ds_store_2addr_b64 v40, v[0:1], v[2:3] offset0:4 offset1:5
	ds_store_2addr_b64 v40, v[4:5], v[6:7] offset0:6 offset1:7
	;; [unrolled: 1-line block ×4, first 2 shown]
	v_dual_mov_b32 v0, v48 :: v_dual_mov_b32 v1, v49
	v_dual_mov_b32 v2, v44 :: v_dual_mov_b32 v3, v45
	;; [unrolled: 1-line block ×12, first 2 shown]
	ds_store_2addr_b64 v40, v[0:1], v[2:3] offset0:12 offset1:13
	ds_store_2addr_b64 v40, v[4:5], v[6:7] offset0:14 offset1:15
	;; [unrolled: 1-line block ×6, first 2 shown]
	v_dual_mov_b32 v0, v112 :: v_dual_mov_b32 v1, v113
	v_dual_mov_b32 v2, v108 :: v_dual_mov_b32 v3, v109
	;; [unrolled: 1-line block ×12, first 2 shown]
	ds_store_2addr_b64 v40, v[0:1], v[2:3] offset0:24 offset1:25
	ds_store_2addr_b64 v40, v[4:5], v[6:7] offset0:26 offset1:27
	;; [unrolled: 1-line block ×6, first 2 shown]
	v_dual_mov_b32 v0, v162 :: v_dual_mov_b32 v1, v163
	v_dual_mov_b32 v2, v158 :: v_dual_mov_b32 v3, v159
	v_dual_mov_b32 v4, v160 :: v_dual_mov_b32 v5, v161
	v_dual_mov_b32 v6, v156 :: v_dual_mov_b32 v7, v157
	v_dual_mov_b32 v8, v182 :: v_dual_mov_b32 v9, v183
	v_dual_mov_b32 v10, v176 :: v_dual_mov_b32 v11, v177
	v_dual_mov_b32 v12, v180 :: v_dual_mov_b32 v13, v181
	v_dual_mov_b32 v14, v174 :: v_dual_mov_b32 v15, v175
	v_dual_mov_b32 v18, v178 :: v_dual_mov_b32 v19, v179
	v_dual_mov_b32 v20, v186 :: v_dual_mov_b32 v21, v187
	ds_store_2addr_b64 v40, v[0:1], v[2:3] offset0:36 offset1:37
	ds_store_2addr_b64 v40, v[4:5], v[6:7] offset0:38 offset1:39
	;; [unrolled: 1-line block ×5, first 2 shown]
	ds_store_b64 v40, v[188:189] offset:368
	ds_load_b64 v[0:1], v37
	s_wait_dscnt 0x0
	v_cmp_neq_f32_e32 vcc_lo, 0, v0
	v_cmp_neq_f32_e64 s1, 0, v1
	s_or_b32 s1, vcc_lo, s1
	s_delay_alu instid0(SALU_CYCLE_1)
	s_and_b32 exec_lo, exec_lo, s1
	s_cbranch_execz .LBB93_35
; %bb.30:
	v_cmp_ngt_f32_e64 s1, |v0|, |v1|
                                        ; implicit-def: $vgpr2_vgpr3
	s_and_saveexec_b32 s4, s1
	s_delay_alu instid0(SALU_CYCLE_1)
	s_xor_b32 s1, exec_lo, s4
	s_cbranch_execz .LBB93_32
; %bb.31:
	v_div_scale_f32 v2, null, v1, v1, v0
	v_div_scale_f32 v5, vcc_lo, v0, v1, v0
	s_delay_alu instid0(VALU_DEP_2) | instskip(SKIP_1) | instid1(TRANS32_DEP_1)
	v_rcp_f32_e32 v3, v2
	v_nop
	v_fma_f32 v4, -v2, v3, 1.0
	s_delay_alu instid0(VALU_DEP_1) | instskip(NEXT) | instid1(VALU_DEP_1)
	v_fmac_f32_e32 v3, v4, v3
	v_mul_f32_e32 v4, v5, v3
	s_delay_alu instid0(VALU_DEP_1) | instskip(NEXT) | instid1(VALU_DEP_1)
	v_fma_f32 v6, -v2, v4, v5
	v_fmac_f32_e32 v4, v6, v3
	s_delay_alu instid0(VALU_DEP_1) | instskip(NEXT) | instid1(VALU_DEP_1)
	v_fma_f32 v2, -v2, v4, v5
	v_div_fmas_f32 v2, v2, v3, v4
	s_delay_alu instid0(VALU_DEP_1) | instskip(NEXT) | instid1(VALU_DEP_1)
	v_div_fixup_f32 v2, v2, v1, v0
	v_fmac_f32_e32 v1, v0, v2
	s_delay_alu instid0(VALU_DEP_1) | instskip(SKIP_1) | instid1(VALU_DEP_2)
	v_div_scale_f32 v0, null, v1, v1, 1.0
	v_div_scale_f32 v5, vcc_lo, 1.0, v1, 1.0
	v_rcp_f32_e32 v3, v0
	v_nop
	s_delay_alu instid0(TRANS32_DEP_1) | instskip(NEXT) | instid1(VALU_DEP_1)
	v_fma_f32 v4, -v0, v3, 1.0
	v_fmac_f32_e32 v3, v4, v3
	s_delay_alu instid0(VALU_DEP_1) | instskip(NEXT) | instid1(VALU_DEP_1)
	v_mul_f32_e32 v4, v5, v3
	v_fma_f32 v6, -v0, v4, v5
	s_delay_alu instid0(VALU_DEP_1) | instskip(NEXT) | instid1(VALU_DEP_1)
	v_fmac_f32_e32 v4, v6, v3
	v_fma_f32 v0, -v0, v4, v5
	s_delay_alu instid0(VALU_DEP_1) | instskip(NEXT) | instid1(VALU_DEP_1)
	v_div_fmas_f32 v0, v0, v3, v4
	v_div_fixup_f32 v0, v0, v1, 1.0
	s_delay_alu instid0(VALU_DEP_1)
	v_mul_f32_e32 v2, v2, v0
	v_xor_b32_e32 v3, 0x80000000, v0
                                        ; implicit-def: $vgpr0_vgpr1
.LBB93_32:
	s_and_not1_saveexec_b32 s1, s1
	s_cbranch_execz .LBB93_34
; %bb.33:
	v_div_scale_f32 v2, null, v0, v0, v1
	v_div_scale_f32 v5, vcc_lo, v1, v0, v1
	s_delay_alu instid0(VALU_DEP_2) | instskip(SKIP_1) | instid1(TRANS32_DEP_1)
	v_rcp_f32_e32 v3, v2
	v_nop
	v_fma_f32 v4, -v2, v3, 1.0
	s_delay_alu instid0(VALU_DEP_1) | instskip(NEXT) | instid1(VALU_DEP_1)
	v_fmac_f32_e32 v3, v4, v3
	v_mul_f32_e32 v4, v5, v3
	s_delay_alu instid0(VALU_DEP_1) | instskip(NEXT) | instid1(VALU_DEP_1)
	v_fma_f32 v6, -v2, v4, v5
	v_fmac_f32_e32 v4, v6, v3
	s_delay_alu instid0(VALU_DEP_1) | instskip(NEXT) | instid1(VALU_DEP_1)
	v_fma_f32 v2, -v2, v4, v5
	v_div_fmas_f32 v2, v2, v3, v4
	s_delay_alu instid0(VALU_DEP_1) | instskip(NEXT) | instid1(VALU_DEP_1)
	v_div_fixup_f32 v3, v2, v0, v1
	v_fmac_f32_e32 v0, v1, v3
	s_delay_alu instid0(VALU_DEP_1) | instskip(NEXT) | instid1(VALU_DEP_1)
	v_div_scale_f32 v1, null, v0, v0, 1.0
	v_rcp_f32_e32 v2, v1
	v_nop
	s_delay_alu instid0(TRANS32_DEP_1) | instskip(NEXT) | instid1(VALU_DEP_1)
	v_fma_f32 v4, -v1, v2, 1.0
	v_fmac_f32_e32 v2, v4, v2
	v_div_scale_f32 v4, vcc_lo, 1.0, v0, 1.0
	s_delay_alu instid0(VALU_DEP_1) | instskip(NEXT) | instid1(VALU_DEP_1)
	v_mul_f32_e32 v5, v4, v2
	v_fma_f32 v6, -v1, v5, v4
	s_delay_alu instid0(VALU_DEP_1) | instskip(NEXT) | instid1(VALU_DEP_1)
	v_fmac_f32_e32 v5, v6, v2
	v_fma_f32 v1, -v1, v5, v4
	s_delay_alu instid0(VALU_DEP_1) | instskip(NEXT) | instid1(VALU_DEP_1)
	v_div_fmas_f32 v1, v1, v2, v5
	v_div_fixup_f32 v2, v1, v0, 1.0
	s_delay_alu instid0(VALU_DEP_1)
	v_mul_f32_e64 v3, v3, -v2
.LBB93_34:
	s_or_b32 exec_lo, exec_lo, s1
	ds_store_b64 v37, v[2:3]
.LBB93_35:
	s_or_b32 exec_lo, exec_lo, s2
	s_wait_dscnt 0x0
	s_barrier_signal -1
	s_barrier_wait -1
	ds_load_b64 v[196:197], v37
	s_mov_b32 s1, exec_lo
	v_cmpx_lt_u32_e32 3, v36
	s_cbranch_execz .LBB93_37
; %bb.36:
	ds_load_2addr_b64 v[4:7], v40 offset0:4 offset1:5
	ds_load_2addr_b64 v[8:11], v40 offset0:6 offset1:7
	;; [unrolled: 1-line block ×3, first 2 shown]
	s_wait_dscnt 0x3
	v_pk_mul_f32 v[2:3], v[196:197], v[84:85] op_sel:[1,1] op_sel_hi:[0,1]
	ds_load_2addr_b64 v[18:21], v40 offset0:10 offset1:11
	ds_load_2addr_b64 v[22:25], v40 offset0:12 offset1:13
	v_pk_fma_f32 v[0:1], v[196:197], v[84:85], v[2:3] op_sel_hi:[1,0,1] neg_lo:[0,0,1] neg_hi:[0,0,1]
	v_pk_fma_f32 v[2:3], v[196:197], v[84:85], v[2:3] op_sel_hi:[1,0,1]
	s_delay_alu instid0(VALU_DEP_1) | instskip(SKIP_1) | instid1(VALU_DEP_2)
	v_dual_mov_b32 v84, v0 :: v_dual_mov_b32 v85, v3
	s_wait_dscnt 0x4
	v_pk_mul_f32 v[30:31], v[4:5], v[2:3] op_sel:[0,1]
	v_pk_mul_f32 v[34:35], v[6:7], v[2:3] op_sel:[0,1]
	s_wait_dscnt 0x3
	v_pk_mul_f32 v[50:51], v[8:9], v[2:3] op_sel:[0,1]
	v_dual_mov_b32 v52, v11 :: v_dual_mov_b32 v53, v10
	v_dual_mul_f32 v198, v11, v3 :: v_dual_mul_f32 v200, v11, v0
	v_pk_fma_f32 v[206:207], v[4:5], v[0:1], v[30:31] op_sel:[0,0,1] op_sel_hi:[1,1,0] neg_lo:[0,0,1] neg_hi:[0,0,1]
	v_pk_fma_f32 v[4:5], v[4:5], v[0:1], v[30:31] op_sel:[0,0,1] op_sel_hi:[1,0,0]
	v_pk_fma_f32 v[30:31], v[6:7], v[0:1], v[34:35] op_sel:[0,0,1] op_sel_hi:[1,1,0] neg_lo:[0,0,1] neg_hi:[0,0,1]
	v_pk_fma_f32 v[6:7], v[6:7], v[0:1], v[34:35] op_sel:[0,0,1] op_sel_hi:[1,0,0]
	;; [unrolled: 2-line block ×3, first 2 shown]
	v_pk_fma_f32 v[50:51], v[52:53], v[84:85], v[200:201] op_sel_hi:[1,1,0]
	v_pk_fma_f32 v[10:11], v[10:11], v[84:85], v[198:199] op_sel_hi:[1,1,0] neg_lo:[0,0,1] neg_hi:[0,0,1]
	s_wait_dscnt 0x2
	v_pk_mul_f32 v[202:203], v[12:13], v[2:3] op_sel:[0,1]
	v_pk_mul_f32 v[204:205], v[14:15], v[2:3] op_sel:[0,1]
	v_dual_mov_b32 v207, v5 :: v_dual_mov_b32 v31, v7
	v_dual_mov_b32 v35, v9 :: v_dual_mov_b32 v11, v51
	s_delay_alu instid0(VALU_DEP_4)
	v_pk_fma_f32 v[8:9], v[12:13], v[0:1], v[202:203] op_sel:[0,0,1] op_sel_hi:[1,0,0]
	ds_load_2addr_b64 v[4:7], v40 offset0:14 offset1:15
	v_pk_add_f32 v[32:33], v[32:33], v[30:31] neg_lo:[0,1] neg_hi:[0,1]
	v_pk_fma_f32 v[30:31], v[14:15], v[0:1], v[204:205] op_sel:[0,0,1] op_sel_hi:[1,0,0]
	v_pk_add_f32 v[58:59], v[58:59], v[10:11] neg_lo:[0,1] neg_hi:[0,1]
	s_wait_dscnt 0x2
	v_pk_mul_f32 v[10:11], v[18:19], v[2:3] op_sel:[0,1]
	v_pk_fma_f32 v[12:13], v[12:13], v[0:1], v[202:203] op_sel:[0,0,1] op_sel_hi:[1,1,0] neg_lo:[0,0,1] neg_hi:[0,0,1]
	v_pk_fma_f32 v[14:15], v[14:15], v[0:1], v[204:205] op_sel:[0,0,1] op_sel_hi:[1,1,0] neg_lo:[0,0,1] neg_hi:[0,0,1]
	v_dual_mov_b32 v13, v9 :: v_dual_mov_b32 v15, v31
	s_delay_alu instid0(VALU_DEP_4) | instskip(SKIP_2) | instid1(VALU_DEP_4)
	v_pk_fma_f32 v[8:9], v[18:19], v[0:1], v[10:11] op_sel:[0,0,1] op_sel_hi:[1,0,0]
	v_pk_mul_f32 v[30:31], v[20:21], v[2:3] op_sel:[0,1]
	v_pk_fma_f32 v[10:11], v[18:19], v[0:1], v[10:11] op_sel:[0,0,1] op_sel_hi:[1,1,0] neg_lo:[0,0,1] neg_hi:[0,0,1]
	v_pk_add_f32 v[82:83], v[82:83], v[12:13] neg_lo:[0,1] neg_hi:[0,1]
	v_pk_add_f32 v[80:81], v[80:81], v[14:15] neg_lo:[0,1] neg_hi:[0,1]
	v_mov_b32_e32 v11, v9
	v_pk_fma_f32 v[8:9], v[20:21], v[0:1], v[30:31] op_sel:[0,0,1] op_sel_hi:[1,0,0]
	s_wait_dscnt 0x1
	v_mul_f32_e32 v8, v23, v0
	v_pk_fma_f32 v[18:19], v[20:21], v[0:1], v[30:31] op_sel:[0,0,1] op_sel_hi:[1,1,0] neg_lo:[0,0,1] neg_hi:[0,0,1]
	v_mul_f32_e32 v12, v23, v3
	v_pk_add_f32 v[28:29], v[28:29], v[10:11] neg_lo:[0,1] neg_hi:[0,1]
	v_mov_b32_e32 v19, v9
	v_pk_fma_f32 v[14:15], v[22:23], v[84:85], v[8:9] op_sel:[1,0,0] op_sel_hi:[0,1,0]
	ds_load_2addr_b64 v[8:11], v40 offset0:16 offset1:17
	v_pk_mul_f32 v[20:21], v[24:25], v[2:3] op_sel:[0,1]
	v_pk_add_f32 v[60:61], v[60:61], v[34:35] neg_lo:[0,1] neg_hi:[0,1]
	s_wait_dscnt 0x1
	v_pk_mul_f32 v[30:31], v[4:5], v[2:3] op_sel:[0,1]
	v_pk_mul_f32 v[34:35], v[6:7], v[2:3] op_sel:[0,1]
	v_pk_fma_f32 v[22:23], v[22:23], v[84:85], v[12:13] op_sel_hi:[1,1,0] neg_lo:[0,0,1] neg_hi:[0,0,1]
	v_pk_fma_f32 v[50:51], v[24:25], v[0:1], v[20:21] op_sel:[0,0,1] op_sel_hi:[1,0,0]
	v_mov_b32_e32 v23, v15
	ds_load_2addr_b64 v[12:15], v40 offset0:18 offset1:19
	v_pk_fma_f32 v[20:21], v[24:25], v[0:1], v[20:21] op_sel:[0,0,1] op_sel_hi:[1,1,0] neg_lo:[0,0,1] neg_hi:[0,0,1]
	v_pk_fma_f32 v[24:25], v[4:5], v[0:1], v[30:31] op_sel:[0,0,1] op_sel_hi:[1,0,0]
	v_pk_fma_f32 v[52:53], v[6:7], v[0:1], v[34:35] op_sel:[0,0,1] op_sel_hi:[1,0,0]
	v_pk_fma_f32 v[4:5], v[4:5], v[0:1], v[30:31] op_sel:[0,0,1] op_sel_hi:[1,1,0] neg_lo:[0,0,1] neg_hi:[0,0,1]
	v_pk_fma_f32 v[6:7], v[6:7], v[0:1], v[34:35] op_sel:[0,0,1] op_sel_hi:[1,1,0] neg_lo:[0,0,1] neg_hi:[0,0,1]
	s_delay_alu instid0(VALU_DEP_4) | instskip(NEXT) | instid1(VALU_DEP_4)
	v_dual_mov_b32 v21, v51 :: v_dual_mov_b32 v5, v25
	v_mov_b32_e32 v7, v53
	v_pk_add_f32 v[26:27], v[26:27], v[18:19] neg_lo:[0,1] neg_hi:[0,1]
	v_pk_add_f32 v[48:49], v[48:49], v[22:23] neg_lo:[0,1] neg_hi:[0,1]
	s_delay_alu instid0(VALU_DEP_4)
	v_pk_add_f32 v[44:45], v[44:45], v[20:21] neg_lo:[0,1] neg_hi:[0,1]
	v_pk_add_f32 v[46:47], v[46:47], v[4:5] neg_lo:[0,1] neg_hi:[0,1]
	;; [unrolled: 1-line block ×3, first 2 shown]
	s_wait_dscnt 0x1
	v_pk_mul_f32 v[18:19], v[8:9], v[2:3] op_sel:[0,1]
	ds_load_2addr_b64 v[4:7], v40 offset0:20 offset1:21
	v_dual_mov_b32 v20, v11 :: v_dual_mov_b32 v21, v10
	v_mul_f32_e32 v22, v11, v0
	v_pk_fma_f32 v[24:25], v[8:9], v[0:1], v[18:19] op_sel:[0,0,1] op_sel_hi:[1,1,0] neg_lo:[0,0,1] neg_hi:[0,0,1]
	v_pk_fma_f32 v[8:9], v[8:9], v[0:1], v[18:19] op_sel:[0,0,1] op_sel_hi:[1,0,0]
	v_mul_f32_e32 v8, v11, v3
	s_wait_dscnt 0x1
	v_pk_mul_f32 v[30:31], v[12:13], v[2:3] op_sel:[0,1]
	v_pk_fma_f32 v[22:23], v[20:21], v[84:85], v[22:23] op_sel_hi:[1,1,0]
	ds_load_2addr_b64 v[18:21], v40 offset0:22 offset1:23
	v_pk_mul_f32 v[34:35], v[14:15], v[2:3] op_sel:[0,1]
	v_mov_b32_e32 v25, v9
	v_pk_fma_f32 v[50:51], v[12:13], v[0:1], v[30:31] op_sel:[0,0,1] op_sel_hi:[1,0,0]
	v_pk_fma_f32 v[8:9], v[10:11], v[84:85], v[8:9] op_sel_hi:[1,1,0] neg_lo:[0,0,1] neg_hi:[0,0,1]
	v_pk_fma_f32 v[12:13], v[12:13], v[0:1], v[30:31] op_sel:[0,0,1] op_sel_hi:[1,1,0] neg_lo:[0,0,1] neg_hi:[0,0,1]
	v_pk_fma_f32 v[10:11], v[14:15], v[0:1], v[34:35] op_sel:[0,0,1] op_sel_hi:[1,0,0]
	v_pk_fma_f32 v[14:15], v[14:15], v[0:1], v[34:35] op_sel:[0,0,1] op_sel_hi:[1,1,0] neg_lo:[0,0,1] neg_hi:[0,0,1]
	v_dual_mov_b32 v9, v23 :: v_dual_mov_b32 v13, v51
	v_pk_add_f32 v[70:71], v[70:71], v[24:25] neg_lo:[0,1] neg_hi:[0,1]
	s_delay_alu instid0(VALU_DEP_4)
	v_mov_b32_e32 v15, v11
	s_wait_dscnt 0x1
	v_pk_mul_f32 v[22:23], v[4:5], v[2:3] op_sel:[0,1]
	v_pk_add_f32 v[66:67], v[66:67], v[8:9] neg_lo:[0,1] neg_hi:[0,1]
	v_pk_add_f32 v[68:69], v[68:69], v[12:13] neg_lo:[0,1] neg_hi:[0,1]
	ds_load_2addr_b64 v[8:11], v40 offset0:24 offset1:25
	v_pk_add_f32 v[64:65], v[64:65], v[14:15] neg_lo:[0,1] neg_hi:[0,1]
	ds_load_2addr_b64 v[12:15], v40 offset0:26 offset1:27
	v_pk_fma_f32 v[24:25], v[4:5], v[0:1], v[22:23] op_sel:[0,0,1] op_sel_hi:[1,0,0]
	v_pk_fma_f32 v[4:5], v[4:5], v[0:1], v[22:23] op_sel:[0,0,1] op_sel_hi:[1,1,0] neg_lo:[0,0,1] neg_hi:[0,0,1]
	v_pk_mul_f32 v[22:23], v[6:7], v[2:3] op_sel:[0,1]
	s_wait_dscnt 0x2
	v_mul_f32_e32 v24, v19, v0
	v_pk_mul_f32 v[30:31], v[20:21], v[2:3] op_sel:[0,1]
	v_mov_b32_e32 v5, v25
	v_pk_add_f32 v[38:39], v[38:39], v[206:207] neg_lo:[0,1] neg_hi:[0,1]
	v_pk_fma_f32 v[34:35], v[6:7], v[0:1], v[22:23] op_sel:[0,0,1] op_sel_hi:[1,0,0]
	v_pk_fma_f32 v[24:25], v[18:19], v[84:85], v[24:25] op_sel:[1,0,0] op_sel_hi:[0,1,0]
	v_mul_f32_e32 v34, v19, v3
	v_pk_fma_f32 v[6:7], v[6:7], v[0:1], v[22:23] op_sel:[0,0,1] op_sel_hi:[1,1,0] neg_lo:[0,0,1] neg_hi:[0,0,1]
	v_pk_fma_f32 v[22:23], v[20:21], v[0:1], v[30:31] op_sel:[0,0,1] op_sel_hi:[1,0,0]
	v_mov_b32_e32 v7, v35
	v_pk_fma_f32 v[20:21], v[20:21], v[0:1], v[30:31] op_sel:[0,0,1] op_sel_hi:[1,1,0] neg_lo:[0,0,1] neg_hi:[0,0,1]
	v_pk_fma_f32 v[18:19], v[18:19], v[84:85], v[34:35] op_sel_hi:[1,1,0] neg_lo:[0,0,1] neg_hi:[0,0,1]
	s_delay_alu instid0(VALU_DEP_4)
	v_dual_mov_b32 v19, v25 :: v_dual_mov_b32 v21, v23
	v_pk_add_f32 v[94:95], v[94:95], v[4:5] neg_lo:[0,1] neg_hi:[0,1]
	v_pk_add_f32 v[90:91], v[90:91], v[6:7] neg_lo:[0,1] neg_hi:[0,1]
	ds_load_2addr_b64 v[4:7], v40 offset0:28 offset1:29
	v_pk_add_f32 v[92:93], v[92:93], v[18:19] neg_lo:[0,1] neg_hi:[0,1]
	s_wait_dscnt 0x2
	v_pk_mul_f32 v[18:19], v[8:9], v[2:3] op_sel:[0,1]
	s_wait_dscnt 0x1
	v_pk_mul_f32 v[24:25], v[12:13], v[2:3] op_sel:[0,1]
	v_pk_add_f32 v[88:89], v[88:89], v[20:21] neg_lo:[0,1] neg_hi:[0,1]
	v_pk_mul_f32 v[22:23], v[10:11], v[2:3] op_sel:[0,1]
	v_pk_fma_f32 v[30:31], v[8:9], v[0:1], v[18:19] op_sel:[0,0,1] op_sel_hi:[1,0,0]
	v_pk_fma_f32 v[8:9], v[8:9], v[0:1], v[18:19] op_sel:[0,0,1] op_sel_hi:[1,1,0] neg_lo:[0,0,1] neg_hi:[0,0,1]
	ds_load_2addr_b64 v[18:21], v40 offset0:30 offset1:31
	v_pk_fma_f32 v[50:51], v[12:13], v[0:1], v[24:25] op_sel:[0,0,1] op_sel_hi:[1,0,0]
	v_pk_fma_f32 v[12:13], v[12:13], v[0:1], v[24:25] op_sel:[0,0,1] op_sel_hi:[1,1,0] neg_lo:[0,0,1] neg_hi:[0,0,1]
	v_pk_fma_f32 v[34:35], v[10:11], v[0:1], v[22:23] op_sel:[0,0,1] op_sel_hi:[1,0,0]
	v_pk_fma_f32 v[10:11], v[10:11], v[0:1], v[22:23] op_sel:[0,0,1] op_sel_hi:[1,1,0] neg_lo:[0,0,1] neg_hi:[0,0,1]
	s_delay_alu instid0(VALU_DEP_4) | instskip(SKIP_1) | instid1(VALU_DEP_4)
	v_dual_mov_b32 v22, v15 :: v_dual_mov_b32 v13, v51
	v_dual_mov_b32 v23, v14 :: v_dual_mul_f32 v24, v15, v0
	v_dual_mov_b32 v9, v31 :: v_dual_mov_b32 v11, v35
	s_delay_alu instid0(VALU_DEP_3) | instskip(NEXT) | instid1(VALU_DEP_3)
	v_pk_add_f32 v[110:111], v[110:111], v[12:13] neg_lo:[0,1] neg_hi:[0,1]
	v_pk_fma_f32 v[12:13], v[22:23], v[84:85], v[24:25] op_sel_hi:[1,1,0]
	v_mul_f32_e32 v30, v15, v3
	s_delay_alu instid0(VALU_DEP_4)
	v_pk_add_f32 v[112:113], v[112:113], v[8:9] neg_lo:[0,1] neg_hi:[0,1]
	v_pk_add_f32 v[108:109], v[108:109], v[10:11] neg_lo:[0,1] neg_hi:[0,1]
	ds_load_2addr_b64 v[8:11], v40 offset0:32 offset1:33
	s_wait_dscnt 0x2
	v_pk_mul_f32 v[24:25], v[4:5], v[2:3] op_sel:[0,1]
	v_pk_fma_f32 v[22:23], v[14:15], v[84:85], v[30:31] op_sel_hi:[1,1,0] neg_lo:[0,0,1] neg_hi:[0,0,1]
	v_mov_b32_e32 v23, v13
	ds_load_2addr_b64 v[12:15], v40 offset0:34 offset1:35
	v_pk_mul_f32 v[30:31], v[6:7], v[2:3] op_sel:[0,1]
	s_wait_dscnt 0x2
	v_pk_mul_f32 v[34:35], v[18:19], v[2:3] op_sel:[0,1]
	v_pk_fma_f32 v[50:51], v[4:5], v[0:1], v[24:25] op_sel:[0,0,1] op_sel_hi:[1,0,0]
	v_pk_fma_f32 v[4:5], v[4:5], v[0:1], v[24:25] op_sel:[0,0,1] op_sel_hi:[1,1,0] neg_lo:[0,0,1] neg_hi:[0,0,1]
	v_pk_add_f32 v[106:107], v[106:107], v[22:23] neg_lo:[0,1] neg_hi:[0,1]
	v_pk_fma_f32 v[52:53], v[6:7], v[0:1], v[30:31] op_sel:[0,0,1] op_sel_hi:[1,0,0]
	v_pk_fma_f32 v[24:25], v[18:19], v[0:1], v[34:35] op_sel:[0,0,1] op_sel_hi:[1,0,0]
	v_pk_fma_f32 v[6:7], v[6:7], v[0:1], v[30:31] op_sel:[0,0,1] op_sel_hi:[1,1,0] neg_lo:[0,0,1] neg_hi:[0,0,1]
	v_pk_fma_f32 v[18:19], v[18:19], v[0:1], v[34:35] op_sel:[0,0,1] op_sel_hi:[1,1,0] neg_lo:[0,0,1] neg_hi:[0,0,1]
	s_delay_alu instid0(VALU_DEP_4) | instskip(NEXT) | instid1(VALU_DEP_4)
	v_dual_mov_b32 v5, v51 :: v_dual_mov_b32 v7, v53
	v_mov_b32_e32 v19, v25
	v_pk_mul_f32 v[24:25], v[20:21], v[2:3] op_sel:[0,1]
	s_delay_alu instid0(VALU_DEP_3) | instskip(NEXT) | instid1(VALU_DEP_4)
	v_pk_add_f32 v[128:129], v[128:129], v[4:5] neg_lo:[0,1] neg_hi:[0,1]
	v_pk_add_f32 v[124:125], v[124:125], v[6:7] neg_lo:[0,1] neg_hi:[0,1]
	s_delay_alu instid0(VALU_DEP_4) | instskip(NEXT) | instid1(VALU_DEP_4)
	v_pk_add_f32 v[126:127], v[126:127], v[18:19] neg_lo:[0,1] neg_hi:[0,1]
	v_pk_fma_f32 v[18:19], v[20:21], v[0:1], v[24:25] op_sel:[0,0,1] op_sel_hi:[1,1,0] neg_lo:[0,0,1] neg_hi:[0,0,1]
	v_pk_fma_f32 v[20:21], v[20:21], v[0:1], v[24:25] op_sel:[0,0,1] op_sel_hi:[1,0,0]
	ds_load_2addr_b64 v[4:7], v40 offset0:36 offset1:37
	s_wait_dscnt 0x2
	v_dual_mul_f32 v20, v9, v0 :: v_dual_mul_f32 v22, v9, v3
	s_wait_dscnt 0x1
	v_pk_mul_f32 v[30:31], v[12:13], v[2:3] op_sel:[0,1]
	v_pk_mul_f32 v[24:25], v[10:11], v[2:3] op_sel:[0,1]
	v_mov_b32_e32 v19, v21
	v_pk_fma_f32 v[34:35], v[8:9], v[84:85], v[20:21] op_sel:[1,0,0] op_sel_hi:[0,1,0]
	v_pk_fma_f32 v[22:23], v[8:9], v[84:85], v[22:23] op_sel_hi:[1,1,0] neg_lo:[0,0,1] neg_hi:[0,0,1]
	v_pk_fma_f32 v[8:9], v[12:13], v[0:1], v[30:31] op_sel:[0,0,1] op_sel_hi:[1,0,0]
	v_pk_fma_f32 v[12:13], v[12:13], v[0:1], v[30:31] op_sel:[0,0,1] op_sel_hi:[1,1,0] neg_lo:[0,0,1] neg_hi:[0,0,1]
	v_pk_fma_f32 v[20:21], v[10:11], v[0:1], v[24:25] op_sel:[0,0,1] op_sel_hi:[1,0,0]
	v_pk_fma_f32 v[24:25], v[10:11], v[0:1], v[24:25] op_sel:[0,0,1] op_sel_hi:[1,1,0] neg_lo:[0,0,1] neg_hi:[0,0,1]
	s_delay_alu instid0(VALU_DEP_4)
	v_dual_mov_b32 v23, v35 :: v_dual_mov_b32 v13, v9
	ds_load_2addr_b64 v[8:11], v40 offset0:38 offset1:39
	v_mov_b32_e32 v25, v21
	v_pk_mul_f32 v[20:21], v[14:15], v[2:3] op_sel:[0,1]
	v_pk_add_f32 v[144:145], v[144:145], v[22:23] neg_lo:[0,1] neg_hi:[0,1]
	v_pk_add_f32 v[122:123], v[122:123], v[18:19] neg_lo:[0,1] neg_hi:[0,1]
	s_wait_dscnt 0x1
	v_pk_mul_f32 v[22:23], v[4:5], v[2:3] op_sel:[0,1]
	v_pk_fma_f32 v[18:19], v[14:15], v[0:1], v[20:21] op_sel:[0,0,1] op_sel_hi:[1,1,0] neg_lo:[0,0,1] neg_hi:[0,0,1]
	v_pk_fma_f32 v[20:21], v[14:15], v[0:1], v[20:21] op_sel:[0,0,1] op_sel_hi:[1,0,0]
	v_pk_add_f32 v[140:141], v[140:141], v[24:25] neg_lo:[0,1] neg_hi:[0,1]
	v_mov_b32_e32 v24, v7
	v_pk_fma_f32 v[30:31], v[4:5], v[0:1], v[22:23] op_sel:[0,0,1] op_sel_hi:[1,0,0]
	v_pk_add_f32 v[142:143], v[142:143], v[12:13] neg_lo:[0,1] neg_hi:[0,1]
	v_dual_mov_b32 v25, v6 :: v_dual_mul_f32 v20, v7, v0
	ds_load_2addr_b64 v[12:15], v40 offset0:40 offset1:41
	v_dual_mul_f32 v30, v7, v3 :: v_dual_mov_b32 v19, v21
	v_pk_fma_f32 v[22:23], v[4:5], v[0:1], v[22:23] op_sel:[0,0,1] op_sel_hi:[1,1,0] neg_lo:[0,0,1] neg_hi:[0,0,1]
	v_pk_fma_f32 v[20:21], v[24:25], v[84:85], v[20:21] op_sel_hi:[1,1,0]
	v_mov_b32_e32 v23, v31
	s_delay_alu instid0(VALU_DEP_4)
	v_pk_fma_f32 v[24:25], v[6:7], v[84:85], v[30:31] op_sel_hi:[1,1,0] neg_lo:[0,0,1] neg_hi:[0,0,1]
	s_wait_dscnt 0x1
	v_pk_mul_f32 v[30:31], v[8:9], v[2:3] op_sel:[0,1]
	ds_load_2addr_b64 v[4:7], v40 offset0:42 offset1:43
	v_mov_b32_e32 v25, v21
	v_pk_add_f32 v[138:139], v[138:139], v[18:19] neg_lo:[0,1] neg_hi:[0,1]
	v_pk_mul_f32 v[18:19], v[10:11], v[2:3] op_sel:[0,1]
	v_pk_fma_f32 v[20:21], v[8:9], v[0:1], v[30:31] op_sel:[0,0,1] op_sel_hi:[1,0,0]
	v_pk_add_f32 v[162:163], v[162:163], v[22:23] neg_lo:[0,1] neg_hi:[0,1]
	v_pk_fma_f32 v[22:23], v[8:9], v[0:1], v[30:31] op_sel:[0,0,1] op_sel_hi:[1,1,0] neg_lo:[0,0,1] neg_hi:[0,0,1]
	v_pk_add_f32 v[158:159], v[158:159], v[24:25] neg_lo:[0,1] neg_hi:[0,1]
	v_pk_fma_f32 v[24:25], v[10:11], v[0:1], v[18:19] op_sel:[0,0,1] op_sel_hi:[1,0,0]
	v_mov_b32_e32 v23, v21
	v_pk_fma_f32 v[18:19], v[10:11], v[0:1], v[18:19] op_sel:[0,0,1] op_sel_hi:[1,1,0] neg_lo:[0,0,1] neg_hi:[0,0,1]
	ds_load_2addr_b64 v[8:11], v40 offset0:44 offset1:45
	s_wait_dscnt 0x2
	v_pk_mul_f32 v[20:21], v[12:13], v[2:3] op_sel:[0,1]
	v_mov_b32_e32 v19, v25
	v_pk_add_f32 v[160:161], v[160:161], v[22:23] neg_lo:[0,1] neg_hi:[0,1]
	ds_load_b64 v[22:23], v40 offset:368
	v_pk_mul_f32 v[24:25], v[14:15], v[2:3] op_sel:[0,1]
	v_pk_fma_f32 v[30:31], v[12:13], v[0:1], v[20:21] op_sel:[0,0,1] op_sel_hi:[1,0,0]
	v_pk_add_f32 v[156:157], v[156:157], v[18:19] neg_lo:[0,1] neg_hi:[0,1]
	v_pk_fma_f32 v[12:13], v[12:13], v[0:1], v[20:21] op_sel:[0,0,1] op_sel_hi:[1,1,0] neg_lo:[0,0,1] neg_hi:[0,0,1]
	s_wait_dscnt 0x2
	v_mul_f32_e32 v20, v5, v3
	v_pk_fma_f32 v[18:19], v[14:15], v[0:1], v[24:25] op_sel:[0,0,1] op_sel_hi:[1,0,0]
	v_dual_mul_f32 v18, v5, v0 :: v_dual_mov_b32 v13, v31
	v_pk_fma_f32 v[14:15], v[14:15], v[0:1], v[24:25] op_sel:[0,0,1] op_sel_hi:[1,1,0] neg_lo:[0,0,1] neg_hi:[0,0,1]
	s_delay_alu instid0(VALU_DEP_3) | instskip(NEXT) | instid1(VALU_DEP_3)
	v_mov_b32_e32 v15, v19
	v_pk_fma_f32 v[18:19], v[4:5], v[84:85], v[18:19] op_sel:[1,0,0] op_sel_hi:[0,1,0]
	s_delay_alu instid0(VALU_DEP_4)
	v_pk_add_f32 v[182:183], v[182:183], v[12:13] neg_lo:[0,1] neg_hi:[0,1]
	v_pk_mul_f32 v[12:13], v[6:7], v[2:3] op_sel:[0,1]
	v_pk_fma_f32 v[4:5], v[4:5], v[84:85], v[20:21] op_sel_hi:[1,1,0] neg_lo:[0,0,1] neg_hi:[0,0,1]
	v_pk_add_f32 v[176:177], v[176:177], v[14:15] neg_lo:[0,1] neg_hi:[0,1]
	v_mov_b32_e32 v5, v19
	s_wait_dscnt 0x1
	v_pk_mul_f32 v[14:15], v[8:9], v[2:3] op_sel:[0,1]
	v_pk_fma_f32 v[18:19], v[6:7], v[0:1], v[12:13] op_sel:[0,0,1] op_sel_hi:[1,0,0]
	v_pk_mul_f32 v[20:21], v[10:11], v[2:3] op_sel:[0,1]
	s_wait_dscnt 0x0
	v_pk_mul_f32 v[2:3], v[22:23], v[2:3] op_sel:[0,1]
	v_pk_fma_f32 v[6:7], v[6:7], v[0:1], v[12:13] op_sel:[0,0,1] op_sel_hi:[1,1,0] neg_lo:[0,0,1] neg_hi:[0,0,1]
	v_pk_fma_f32 v[12:13], v[8:9], v[0:1], v[14:15] op_sel:[0,0,1] op_sel_hi:[1,0,0]
	v_mov_b32_e32 v7, v19
	v_pk_fma_f32 v[18:19], v[10:11], v[0:1], v[20:21] op_sel:[0,0,1] op_sel_hi:[1,0,0]
	v_pk_fma_f32 v[8:9], v[8:9], v[0:1], v[14:15] op_sel:[0,0,1] op_sel_hi:[1,1,0] neg_lo:[0,0,1] neg_hi:[0,0,1]
	v_pk_fma_f32 v[14:15], v[22:23], v[0:1], v[2:3] op_sel:[0,0,1] op_sel_hi:[1,0,0]
	v_pk_fma_f32 v[10:11], v[10:11], v[0:1], v[20:21] op_sel:[0,0,1] op_sel_hi:[1,1,0] neg_lo:[0,0,1] neg_hi:[0,0,1]
	v_pk_fma_f32 v[0:1], v[22:23], v[0:1], v[2:3] op_sel:[0,0,1] op_sel_hi:[1,1,0] neg_lo:[0,0,1] neg_hi:[0,0,1]
	v_dual_mov_b32 v9, v13 :: v_dual_mov_b32 v11, v19
	s_delay_alu instid0(VALU_DEP_4) | instskip(SKIP_2) | instid1(VALU_DEP_4)
	v_mov_b32_e32 v1, v15
	v_pk_add_f32 v[180:181], v[180:181], v[4:5] neg_lo:[0,1] neg_hi:[0,1]
	v_pk_add_f32 v[174:175], v[174:175], v[6:7] neg_lo:[0,1] neg_hi:[0,1]
	;; [unrolled: 1-line block ×5, first 2 shown]
.LBB93_37:
	s_or_b32 exec_lo, exec_lo, s1
	s_delay_alu instid0(SALU_CYCLE_1)
	s_mov_b32 s2, exec_lo
	s_wait_dscnt 0x0
	s_barrier_signal -1
	s_barrier_wait -1
	v_cmpx_eq_u32_e32 4, v36
	s_cbranch_execz .LBB93_44
; %bb.38:
	ds_store_b64 v37, v[38:39]
	ds_store_2addr_b64 v40, v[32:33], v[60:61] offset0:5 offset1:6
	ds_store_2addr_b64 v40, v[58:59], v[82:83] offset0:7 offset1:8
	;; [unrolled: 1-line block ×21, first 2 shown]
	ds_load_b64 v[0:1], v37
	s_wait_dscnt 0x0
	v_cmp_neq_f32_e32 vcc_lo, 0, v0
	v_cmp_neq_f32_e64 s1, 0, v1
	s_or_b32 s1, vcc_lo, s1
	s_delay_alu instid0(SALU_CYCLE_1)
	s_and_b32 exec_lo, exec_lo, s1
	s_cbranch_execz .LBB93_44
; %bb.39:
	v_cmp_ngt_f32_e64 s1, |v0|, |v1|
                                        ; implicit-def: $vgpr2_vgpr3
	s_and_saveexec_b32 s4, s1
	s_delay_alu instid0(SALU_CYCLE_1)
	s_xor_b32 s1, exec_lo, s4
	s_cbranch_execz .LBB93_41
; %bb.40:
	v_div_scale_f32 v2, null, v1, v1, v0
	v_div_scale_f32 v5, vcc_lo, v0, v1, v0
	s_delay_alu instid0(VALU_DEP_2) | instskip(SKIP_1) | instid1(TRANS32_DEP_1)
	v_rcp_f32_e32 v3, v2
	v_nop
	v_fma_f32 v4, -v2, v3, 1.0
	s_delay_alu instid0(VALU_DEP_1) | instskip(NEXT) | instid1(VALU_DEP_1)
	v_fmac_f32_e32 v3, v4, v3
	v_mul_f32_e32 v4, v5, v3
	s_delay_alu instid0(VALU_DEP_1) | instskip(NEXT) | instid1(VALU_DEP_1)
	v_fma_f32 v6, -v2, v4, v5
	v_fmac_f32_e32 v4, v6, v3
	s_delay_alu instid0(VALU_DEP_1) | instskip(NEXT) | instid1(VALU_DEP_1)
	v_fma_f32 v2, -v2, v4, v5
	v_div_fmas_f32 v2, v2, v3, v4
	s_delay_alu instid0(VALU_DEP_1) | instskip(NEXT) | instid1(VALU_DEP_1)
	v_div_fixup_f32 v2, v2, v1, v0
	v_fmac_f32_e32 v1, v0, v2
	s_delay_alu instid0(VALU_DEP_1) | instskip(SKIP_1) | instid1(VALU_DEP_2)
	v_div_scale_f32 v0, null, v1, v1, 1.0
	v_div_scale_f32 v5, vcc_lo, 1.0, v1, 1.0
	v_rcp_f32_e32 v3, v0
	v_nop
	s_delay_alu instid0(TRANS32_DEP_1) | instskip(NEXT) | instid1(VALU_DEP_1)
	v_fma_f32 v4, -v0, v3, 1.0
	v_fmac_f32_e32 v3, v4, v3
	s_delay_alu instid0(VALU_DEP_1) | instskip(NEXT) | instid1(VALU_DEP_1)
	v_mul_f32_e32 v4, v5, v3
	v_fma_f32 v6, -v0, v4, v5
	s_delay_alu instid0(VALU_DEP_1) | instskip(NEXT) | instid1(VALU_DEP_1)
	v_fmac_f32_e32 v4, v6, v3
	v_fma_f32 v0, -v0, v4, v5
	s_delay_alu instid0(VALU_DEP_1) | instskip(NEXT) | instid1(VALU_DEP_1)
	v_div_fmas_f32 v0, v0, v3, v4
	v_div_fixup_f32 v0, v0, v1, 1.0
	s_delay_alu instid0(VALU_DEP_1)
	v_mul_f32_e32 v2, v2, v0
	v_xor_b32_e32 v3, 0x80000000, v0
                                        ; implicit-def: $vgpr0_vgpr1
.LBB93_41:
	s_and_not1_saveexec_b32 s1, s1
	s_cbranch_execz .LBB93_43
; %bb.42:
	v_div_scale_f32 v2, null, v0, v0, v1
	v_div_scale_f32 v5, vcc_lo, v1, v0, v1
	s_delay_alu instid0(VALU_DEP_2) | instskip(SKIP_1) | instid1(TRANS32_DEP_1)
	v_rcp_f32_e32 v3, v2
	v_nop
	v_fma_f32 v4, -v2, v3, 1.0
	s_delay_alu instid0(VALU_DEP_1) | instskip(NEXT) | instid1(VALU_DEP_1)
	v_fmac_f32_e32 v3, v4, v3
	v_mul_f32_e32 v4, v5, v3
	s_delay_alu instid0(VALU_DEP_1) | instskip(NEXT) | instid1(VALU_DEP_1)
	v_fma_f32 v6, -v2, v4, v5
	v_fmac_f32_e32 v4, v6, v3
	s_delay_alu instid0(VALU_DEP_1) | instskip(NEXT) | instid1(VALU_DEP_1)
	v_fma_f32 v2, -v2, v4, v5
	v_div_fmas_f32 v2, v2, v3, v4
	s_delay_alu instid0(VALU_DEP_1) | instskip(NEXT) | instid1(VALU_DEP_1)
	v_div_fixup_f32 v3, v2, v0, v1
	v_fmac_f32_e32 v0, v1, v3
	s_delay_alu instid0(VALU_DEP_1) | instskip(NEXT) | instid1(VALU_DEP_1)
	v_div_scale_f32 v1, null, v0, v0, 1.0
	v_rcp_f32_e32 v2, v1
	v_nop
	s_delay_alu instid0(TRANS32_DEP_1) | instskip(NEXT) | instid1(VALU_DEP_1)
	v_fma_f32 v4, -v1, v2, 1.0
	v_fmac_f32_e32 v2, v4, v2
	v_div_scale_f32 v4, vcc_lo, 1.0, v0, 1.0
	s_delay_alu instid0(VALU_DEP_1) | instskip(NEXT) | instid1(VALU_DEP_1)
	v_mul_f32_e32 v5, v4, v2
	v_fma_f32 v6, -v1, v5, v4
	s_delay_alu instid0(VALU_DEP_1) | instskip(NEXT) | instid1(VALU_DEP_1)
	v_fmac_f32_e32 v5, v6, v2
	v_fma_f32 v1, -v1, v5, v4
	s_delay_alu instid0(VALU_DEP_1) | instskip(NEXT) | instid1(VALU_DEP_1)
	v_div_fmas_f32 v1, v1, v2, v5
	v_div_fixup_f32 v2, v1, v0, 1.0
	s_delay_alu instid0(VALU_DEP_1)
	v_mul_f32_e64 v3, v3, -v2
.LBB93_43:
	s_or_b32 exec_lo, exec_lo, s1
	ds_store_b64 v37, v[2:3]
.LBB93_44:
	s_or_b32 exec_lo, exec_lo, s2
	s_wait_dscnt 0x0
	s_barrier_signal -1
	s_barrier_wait -1
	ds_load_b64 v[198:199], v37
	s_mov_b32 s1, exec_lo
	v_cmpx_lt_u32_e32 4, v36
	s_cbranch_execz .LBB93_46
; %bb.45:
	ds_load_2addr_b64 v[4:7], v40 offset0:5 offset1:6
	ds_load_2addr_b64 v[8:11], v40 offset0:7 offset1:8
	;; [unrolled: 1-line block ×3, first 2 shown]
	s_wait_dscnt 0x3
	v_pk_mul_f32 v[2:3], v[198:199], v[38:39] op_sel:[1,1] op_sel_hi:[0,1]
	ds_load_2addr_b64 v[18:21], v40 offset0:11 offset1:12
	ds_load_2addr_b64 v[22:25], v40 offset0:13 offset1:14
	v_pk_fma_f32 v[0:1], v[198:199], v[38:39], v[2:3] op_sel_hi:[1,0,1] neg_lo:[0,0,1] neg_hi:[0,0,1]
	v_pk_fma_f32 v[2:3], v[198:199], v[38:39], v[2:3] op_sel_hi:[1,0,1]
	s_delay_alu instid0(VALU_DEP_1) | instskip(SKIP_1) | instid1(VALU_DEP_2)
	v_dual_mov_b32 v38, v0 :: v_dual_mov_b32 v39, v3
	s_wait_dscnt 0x4
	v_pk_mul_f32 v[30:31], v[4:5], v[2:3] op_sel:[0,1]
	v_pk_mul_f32 v[34:35], v[6:7], v[2:3] op_sel:[0,1]
	s_wait_dscnt 0x3
	v_pk_mul_f32 v[50:51], v[8:9], v[2:3] op_sel:[0,1]
	v_dual_mov_b32 v52, v11 :: v_dual_mov_b32 v53, v10
	v_dual_mul_f32 v200, v11, v3 :: v_dual_mul_f32 v202, v11, v0
	s_wait_dscnt 0x2
	v_pk_mul_f32 v[204:205], v[12:13], v[2:3] op_sel:[0,1]
	v_pk_mul_f32 v[206:207], v[14:15], v[2:3] op_sel:[0,1]
	v_pk_fma_f32 v[210:211], v[4:5], v[0:1], v[30:31] op_sel:[0,0,1] op_sel_hi:[1,1,0] neg_lo:[0,0,1] neg_hi:[0,0,1]
	v_pk_fma_f32 v[4:5], v[4:5], v[0:1], v[30:31] op_sel:[0,0,1] op_sel_hi:[1,0,0]
	v_pk_fma_f32 v[30:31], v[6:7], v[0:1], v[34:35] op_sel:[0,0,1] op_sel_hi:[1,1,0] neg_lo:[0,0,1] neg_hi:[0,0,1]
	v_pk_fma_f32 v[6:7], v[6:7], v[0:1], v[34:35] op_sel:[0,0,1] op_sel_hi:[1,0,0]
	;; [unrolled: 2-line block ×3, first 2 shown]
	s_wait_dscnt 0x1
	v_pk_mul_f32 v[208:209], v[18:19], v[2:3] op_sel:[0,1]
	v_pk_fma_f32 v[50:51], v[52:53], v[38:39], v[202:203] op_sel_hi:[1,1,0]
	v_dual_mov_b32 v211, v5 :: v_dual_mov_b32 v31, v7
	v_mov_b32_e32 v35, v9
	v_pk_fma_f32 v[4:5], v[12:13], v[0:1], v[204:205] op_sel:[0,0,1] op_sel_hi:[1,0,0]
	v_pk_fma_f32 v[8:9], v[12:13], v[0:1], v[204:205] op_sel:[0,0,1] op_sel_hi:[1,1,0] neg_lo:[0,0,1] neg_hi:[0,0,1]
	v_pk_fma_f32 v[12:13], v[14:15], v[0:1], v[206:207] op_sel:[0,0,1] op_sel_hi:[1,0,0]
	v_pk_fma_f32 v[14:15], v[14:15], v[0:1], v[206:207] op_sel:[0,0,1] op_sel_hi:[1,1,0] neg_lo:[0,0,1] neg_hi:[0,0,1]
	v_pk_add_f32 v[60:61], v[60:61], v[30:31] neg_lo:[0,1] neg_hi:[0,1]
	v_mov_b32_e32 v9, v5
	v_pk_fma_f32 v[30:31], v[18:19], v[0:1], v[208:209] op_sel:[0,0,1] op_sel_hi:[1,0,0]
	v_mov_b32_e32 v15, v13
	v_pk_fma_f32 v[12:13], v[18:19], v[0:1], v[208:209] op_sel:[0,0,1] op_sel_hi:[1,1,0] neg_lo:[0,0,1] neg_hi:[0,0,1]
	v_pk_mul_f32 v[18:19], v[20:21], v[2:3] op_sel:[0,1]
	ds_load_2addr_b64 v[4:7], v40 offset0:15 offset1:16
	v_pk_fma_f32 v[10:11], v[10:11], v[38:39], v[200:201] op_sel_hi:[1,1,0] neg_lo:[0,0,1] neg_hi:[0,0,1]
	v_pk_add_f32 v[28:29], v[28:29], v[14:15] neg_lo:[0,1] neg_hi:[0,1]
	v_mov_b32_e32 v11, v51
	v_pk_fma_f32 v[14:15], v[20:21], v[0:1], v[18:19] op_sel:[0,0,1] op_sel_hi:[1,0,0]
	v_mov_b32_e32 v13, v31
	v_pk_fma_f32 v[18:19], v[20:21], v[0:1], v[18:19] op_sel:[0,0,1] op_sel_hi:[1,1,0] neg_lo:[0,0,1] neg_hi:[0,0,1]
	s_wait_dscnt 0x1
	v_pk_mul_f32 v[30:31], v[24:25], v[2:3] op_sel:[0,1]
	v_pk_add_f32 v[82:83], v[82:83], v[10:11] neg_lo:[0,1] neg_hi:[0,1]
	v_mov_b32_e32 v19, v15
	v_pk_add_f32 v[26:27], v[26:27], v[12:13] neg_lo:[0,1] neg_hi:[0,1]
	v_dual_mul_f32 v12, v23, v0 :: v_dual_mul_f32 v14, v23, v3
	v_pk_add_f32 v[80:81], v[80:81], v[8:9] neg_lo:[0,1] neg_hi:[0,1]
	ds_load_2addr_b64 v[8:11], v40 offset0:17 offset1:18
	v_pk_fma_f32 v[20:21], v[24:25], v[0:1], v[30:31] op_sel:[0,0,1] op_sel_hi:[1,0,0]
	v_pk_fma_f32 v[12:13], v[22:23], v[38:39], v[12:13] op_sel:[1,0,0] op_sel_hi:[0,1,0]
	v_pk_fma_f32 v[14:15], v[22:23], v[38:39], v[14:15] op_sel_hi:[1,1,0] neg_lo:[0,0,1] neg_hi:[0,0,1]
	v_pk_add_f32 v[48:49], v[48:49], v[18:19] neg_lo:[0,1] neg_hi:[0,1]
	v_pk_add_f32 v[58:59], v[58:59], v[34:35] neg_lo:[0,1] neg_hi:[0,1]
	s_wait_dscnt 0x1
	v_pk_mul_f32 v[22:23], v[4:5], v[2:3] op_sel:[0,1]
	v_mov_b32_e32 v15, v13
	v_pk_fma_f32 v[12:13], v[24:25], v[0:1], v[30:31] op_sel:[0,0,1] op_sel_hi:[1,1,0] neg_lo:[0,0,1] neg_hi:[0,0,1]
	v_mov_b32_e32 v13, v21
	v_pk_mul_f32 v[20:21], v[6:7], v[2:3] op_sel:[0,1]
	v_pk_fma_f32 v[18:19], v[4:5], v[0:1], v[22:23] op_sel:[0,0,1] op_sel_hi:[1,0,0]
	v_pk_add_f32 v[44:45], v[44:45], v[14:15] neg_lo:[0,1] neg_hi:[0,1]
	v_pk_fma_f32 v[22:23], v[4:5], v[0:1], v[22:23] op_sel:[0,0,1] op_sel_hi:[1,1,0] neg_lo:[0,0,1] neg_hi:[0,0,1]
	v_pk_add_f32 v[46:47], v[46:47], v[12:13] neg_lo:[0,1] neg_hi:[0,1]
	ds_load_2addr_b64 v[12:15], v40 offset0:19 offset1:20
	v_mov_b32_e32 v23, v19
	v_pk_fma_f32 v[18:19], v[6:7], v[0:1], v[20:21] op_sel:[0,0,1] op_sel_hi:[1,1,0] neg_lo:[0,0,1] neg_hi:[0,0,1]
	v_pk_fma_f32 v[20:21], v[6:7], v[0:1], v[20:21] op_sel:[0,0,1] op_sel_hi:[1,0,0]
	ds_load_2addr_b64 v[4:7], v40 offset0:21 offset1:22
	s_wait_dscnt 0x2
	v_pk_mul_f32 v[24:25], v[8:9], v[2:3] op_sel:[0,1]
	v_dual_mov_b32 v30, v11 :: v_dual_mov_b32 v31, v10
	v_dual_mul_f32 v20, v11, v0 :: v_dual_mov_b32 v19, v21
	v_pk_add_f32 v[42:43], v[42:43], v[22:23] neg_lo:[0,1] neg_hi:[0,1]
	s_delay_alu instid0(VALU_DEP_4) | instskip(SKIP_1) | instid1(VALU_DEP_4)
	v_pk_fma_f32 v[22:23], v[8:9], v[0:1], v[24:25] op_sel:[0,0,1] op_sel_hi:[1,0,0]
	v_mul_f32_e32 v22, v11, v3
	v_pk_fma_f32 v[20:21], v[30:31], v[38:39], v[20:21] op_sel_hi:[1,1,0]
	v_pk_add_f32 v[70:71], v[70:71], v[18:19] neg_lo:[0,1] neg_hi:[0,1]
	v_pk_fma_f32 v[18:19], v[8:9], v[0:1], v[24:25] op_sel:[0,0,1] op_sel_hi:[1,1,0] neg_lo:[0,0,1] neg_hi:[0,0,1]
	v_mov_b32_e32 v19, v23
	v_pk_fma_f32 v[22:23], v[10:11], v[38:39], v[22:23] op_sel_hi:[1,1,0] neg_lo:[0,0,1] neg_hi:[0,0,1]
	v_mov_b32_e32 v23, v21
	ds_load_2addr_b64 v[8:11], v40 offset0:23 offset1:24
	s_wait_dscnt 0x2
	v_pk_mul_f32 v[20:21], v[12:13], v[2:3] op_sel:[0,1]
	v_pk_mul_f32 v[24:25], v[14:15], v[2:3] op_sel:[0,1]
	v_pk_add_f32 v[66:67], v[66:67], v[18:19] neg_lo:[0,1] neg_hi:[0,1]
	v_pk_add_f32 v[68:69], v[68:69], v[22:23] neg_lo:[0,1] neg_hi:[0,1]
	s_wait_dscnt 0x1
	v_pk_mul_f32 v[34:35], v[4:5], v[2:3] op_sel:[0,1]
	v_pk_fma_f32 v[22:23], v[12:13], v[0:1], v[20:21] op_sel:[0,0,1] op_sel_hi:[1,0,0]
	v_pk_fma_f32 v[12:13], v[12:13], v[0:1], v[20:21] op_sel:[0,0,1] op_sel_hi:[1,1,0] neg_lo:[0,0,1] neg_hi:[0,0,1]
	v_pk_fma_f32 v[30:31], v[14:15], v[0:1], v[24:25] op_sel:[0,0,1] op_sel_hi:[1,0,0]
	ds_load_2addr_b64 v[18:21], v40 offset0:25 offset1:26
	v_pk_fma_f32 v[14:15], v[14:15], v[0:1], v[24:25] op_sel:[0,0,1] op_sel_hi:[1,1,0] neg_lo:[0,0,1] neg_hi:[0,0,1]
	v_mov_b32_e32 v13, v23
	v_pk_mul_f32 v[22:23], v[6:7], v[2:3] op_sel:[0,1]
	v_pk_fma_f32 v[24:25], v[4:5], v[0:1], v[34:35] op_sel:[0,0,1] op_sel_hi:[1,0,0]
	v_mov_b32_e32 v15, v31
	v_pk_fma_f32 v[4:5], v[4:5], v[0:1], v[34:35] op_sel:[0,0,1] op_sel_hi:[1,1,0] neg_lo:[0,0,1] neg_hi:[0,0,1]
	v_pk_add_f32 v[64:65], v[64:65], v[12:13] neg_lo:[0,1] neg_hi:[0,1]
	v_pk_fma_f32 v[12:13], v[6:7], v[0:1], v[22:23] op_sel:[0,0,1] op_sel_hi:[1,0,0]
	v_mov_b32_e32 v5, v25
	v_pk_add_f32 v[94:95], v[94:95], v[14:15] neg_lo:[0,1] neg_hi:[0,1]
	v_pk_fma_f32 v[14:15], v[6:7], v[0:1], v[22:23] op_sel:[0,0,1] op_sel_hi:[1,1,0] neg_lo:[0,0,1] neg_hi:[0,0,1]
	s_wait_dscnt 0x1
	v_dual_mul_f32 v12, v9, v0 :: v_dual_mul_f32 v22, v9, v3
	v_mov_b32_e32 v15, v13
	v_pk_add_f32 v[90:91], v[90:91], v[4:5] neg_lo:[0,1] neg_hi:[0,1]
	ds_load_2addr_b64 v[4:7], v40 offset0:27 offset1:28
	v_pk_fma_f32 v[12:13], v[8:9], v[38:39], v[12:13] op_sel:[1,0,0] op_sel_hi:[0,1,0]
	v_pk_mul_f32 v[24:25], v[10:11], v[2:3] op_sel:[0,1]
	v_pk_fma_f32 v[8:9], v[8:9], v[38:39], v[22:23] op_sel_hi:[1,1,0] neg_lo:[0,0,1] neg_hi:[0,0,1]
	s_wait_dscnt 0x1
	v_pk_mul_f32 v[30:31], v[18:19], v[2:3] op_sel:[0,1]
	v_pk_add_f32 v[92:93], v[92:93], v[14:15] neg_lo:[0,1] neg_hi:[0,1]
	v_pk_mul_f32 v[22:23], v[20:21], v[2:3] op_sel:[0,1]
	v_pk_fma_f32 v[34:35], v[10:11], v[0:1], v[24:25] op_sel:[0,0,1] op_sel_hi:[1,0,0]
	v_mov_b32_e32 v9, v13
	ds_load_2addr_b64 v[12:15], v40 offset0:29 offset1:30
	v_pk_fma_f32 v[50:51], v[18:19], v[0:1], v[30:31] op_sel:[0,0,1] op_sel_hi:[1,0,0]
	v_pk_fma_f32 v[10:11], v[10:11], v[0:1], v[24:25] op_sel:[0,0,1] op_sel_hi:[1,1,0] neg_lo:[0,0,1] neg_hi:[0,0,1]
	v_mov_b32_e32 v11, v35
	v_pk_fma_f32 v[18:19], v[18:19], v[0:1], v[30:31] op_sel:[0,0,1] op_sel_hi:[1,1,0] neg_lo:[0,0,1] neg_hi:[0,0,1]
	v_pk_fma_f32 v[24:25], v[20:21], v[0:1], v[22:23] op_sel:[0,0,1] op_sel_hi:[1,0,0]
	v_mov_b32_e32 v19, v51
	v_pk_fma_f32 v[20:21], v[20:21], v[0:1], v[22:23] op_sel:[0,0,1] op_sel_hi:[1,1,0] neg_lo:[0,0,1] neg_hi:[0,0,1]
	v_pk_add_f32 v[88:89], v[88:89], v[8:9] neg_lo:[0,1] neg_hi:[0,1]
	v_pk_add_f32 v[112:113], v[112:113], v[10:11] neg_lo:[0,1] neg_hi:[0,1]
	ds_load_2addr_b64 v[8:11], v40 offset0:31 offset1:32
	s_wait_dscnt 0x2
	v_pk_mul_f32 v[22:23], v[4:5], v[2:3] op_sel:[0,1]
	v_mov_b32_e32 v21, v25
	v_pk_add_f32 v[108:109], v[108:109], v[18:19] neg_lo:[0,1] neg_hi:[0,1]
	v_dual_mul_f32 v24, v7, v0 :: v_dual_mul_f32 v34, v7, v3
	s_delay_alu instid0(VALU_DEP_4)
	v_pk_fma_f32 v[18:19], v[4:5], v[0:1], v[22:23] op_sel:[0,0,1] op_sel_hi:[1,0,0]
	v_pk_fma_f32 v[4:5], v[4:5], v[0:1], v[22:23] op_sel:[0,0,1] op_sel_hi:[1,1,0] neg_lo:[0,0,1] neg_hi:[0,0,1]
	v_dual_mov_b32 v22, v7 :: v_dual_mov_b32 v23, v6
	v_pk_add_f32 v[110:111], v[110:111], v[20:21] neg_lo:[0,1] neg_hi:[0,1]
	s_wait_dscnt 0x1
	v_pk_mul_f32 v[30:31], v[12:13], v[2:3] op_sel:[0,1]
	v_pk_fma_f32 v[34:35], v[6:7], v[38:39], v[34:35] op_sel_hi:[1,1,0] neg_lo:[0,0,1] neg_hi:[0,0,1]
	v_pk_add_f32 v[32:33], v[32:33], v[210:211] neg_lo:[0,1] neg_hi:[0,1]
	v_pk_fma_f32 v[22:23], v[22:23], v[38:39], v[24:25] op_sel_hi:[1,1,0]
	v_mov_b32_e32 v5, v19
	ds_load_2addr_b64 v[18:21], v40 offset0:33 offset1:34
	v_pk_mul_f32 v[24:25], v[14:15], v[2:3] op_sel:[0,1]
	v_mov_b32_e32 v35, v23
	v_pk_add_f32 v[106:107], v[106:107], v[4:5] neg_lo:[0,1] neg_hi:[0,1]
	v_pk_fma_f32 v[4:5], v[12:13], v[0:1], v[30:31] op_sel:[0,0,1] op_sel_hi:[1,0,0]
	v_pk_fma_f32 v[12:13], v[12:13], v[0:1], v[30:31] op_sel:[0,0,1] op_sel_hi:[1,1,0] neg_lo:[0,0,1] neg_hi:[0,0,1]
	v_pk_fma_f32 v[6:7], v[14:15], v[0:1], v[24:25] op_sel:[0,0,1] op_sel_hi:[1,0,0]
	s_wait_dscnt 0x1
	v_pk_mul_f32 v[22:23], v[8:9], v[2:3] op_sel:[0,1]
	v_pk_fma_f32 v[14:15], v[14:15], v[0:1], v[24:25] op_sel:[0,0,1] op_sel_hi:[1,1,0] neg_lo:[0,0,1] neg_hi:[0,0,1]
	v_mov_b32_e32 v13, v5
	v_pk_mul_f32 v[24:25], v[10:11], v[2:3] op_sel:[0,1]
	v_mov_b32_e32 v15, v7
	ds_load_2addr_b64 v[4:7], v40 offset0:35 offset1:36
	v_pk_add_f32 v[128:129], v[128:129], v[34:35] neg_lo:[0,1] neg_hi:[0,1]
	v_pk_add_f32 v[124:125], v[124:125], v[12:13] neg_lo:[0,1] neg_hi:[0,1]
	v_pk_fma_f32 v[12:13], v[8:9], v[0:1], v[22:23] op_sel:[0,0,1] op_sel_hi:[1,0,0]
	v_pk_add_f32 v[126:127], v[126:127], v[14:15] neg_lo:[0,1] neg_hi:[0,1]
	v_pk_fma_f32 v[14:15], v[8:9], v[0:1], v[22:23] op_sel:[0,0,1] op_sel_hi:[1,1,0] neg_lo:[0,0,1] neg_hi:[0,0,1]
	v_pk_fma_f32 v[22:23], v[10:11], v[0:1], v[24:25] op_sel:[0,0,1] op_sel_hi:[1,0,0]
	s_wait_dscnt 0x1
	v_dual_mul_f32 v12, v19, v0 :: v_dual_mov_b32 v15, v13
	v_pk_fma_f32 v[24:25], v[10:11], v[0:1], v[24:25] op_sel:[0,0,1] op_sel_hi:[1,1,0] neg_lo:[0,0,1] neg_hi:[0,0,1]
	ds_load_2addr_b64 v[8:11], v40 offset0:37 offset1:38
	v_mov_b32_e32 v25, v23
	v_pk_fma_f32 v[12:13], v[18:19], v[38:39], v[12:13] op_sel:[1,0,0] op_sel_hi:[0,1,0]
	v_mul_f32_e32 v22, v19, v3
	v_pk_add_f32 v[122:123], v[122:123], v[14:15] neg_lo:[0,1] neg_hi:[0,1]
	s_delay_alu instid0(VALU_DEP_2)
	v_pk_fma_f32 v[18:19], v[18:19], v[38:39], v[22:23] op_sel_hi:[1,1,0] neg_lo:[0,0,1] neg_hi:[0,0,1]
	v_pk_mul_f32 v[22:23], v[20:21], v[2:3] op_sel:[0,1]
	v_mov_b32_e32 v19, v13
	ds_load_2addr_b64 v[12:15], v40 offset0:39 offset1:40
	v_pk_fma_f32 v[30:31], v[20:21], v[0:1], v[22:23] op_sel:[0,0,1] op_sel_hi:[1,0,0]
	v_pk_fma_f32 v[20:21], v[20:21], v[0:1], v[22:23] op_sel:[0,0,1] op_sel_hi:[1,1,0] neg_lo:[0,0,1] neg_hi:[0,0,1]
	v_pk_add_f32 v[140:141], v[140:141], v[18:19] neg_lo:[0,1] neg_hi:[0,1]
	s_wait_dscnt 0x2
	v_pk_mul_f32 v[18:19], v[6:7], v[2:3] op_sel:[0,1]
	v_mov_b32_e32 v21, v31
	v_pk_add_f32 v[144:145], v[144:145], v[24:25] neg_lo:[0,1] neg_hi:[0,1]
	v_pk_mul_f32 v[24:25], v[4:5], v[2:3] op_sel:[0,1]
	s_delay_alu instid0(VALU_DEP_4) | instskip(SKIP_2) | instid1(VALU_DEP_4)
	v_pk_fma_f32 v[22:23], v[6:7], v[0:1], v[18:19] op_sel:[0,0,1] op_sel_hi:[1,0,0]
	v_pk_fma_f32 v[18:19], v[6:7], v[0:1], v[18:19] op_sel:[0,0,1] op_sel_hi:[1,1,0] neg_lo:[0,0,1] neg_hi:[0,0,1]
	v_pk_add_f32 v[142:143], v[142:143], v[20:21] neg_lo:[0,1] neg_hi:[0,1]
	v_pk_fma_f32 v[34:35], v[4:5], v[0:1], v[24:25] op_sel:[0,0,1] op_sel_hi:[1,0,0]
	v_pk_fma_f32 v[4:5], v[4:5], v[0:1], v[24:25] op_sel:[0,0,1] op_sel_hi:[1,1,0] neg_lo:[0,0,1] neg_hi:[0,0,1]
	v_mov_b32_e32 v19, v23
	s_wait_dscnt 0x1
	v_pk_mul_f32 v[22:23], v[8:9], v[2:3] op_sel:[0,1]
	v_dual_mul_f32 v24, v11, v0 :: v_dual_mul_f32 v34, v11, v3
	v_mov_b32_e32 v5, v35
	v_pk_add_f32 v[162:163], v[162:163], v[18:19] neg_lo:[0,1] neg_hi:[0,1]
	s_delay_alu instid0(VALU_DEP_4)
	v_pk_fma_f32 v[18:19], v[8:9], v[0:1], v[22:23] op_sel:[0,0,1] op_sel_hi:[1,0,0]
	v_pk_fma_f32 v[8:9], v[8:9], v[0:1], v[22:23] op_sel:[0,0,1] op_sel_hi:[1,1,0] neg_lo:[0,0,1] neg_hi:[0,0,1]
	v_dual_mov_b32 v22, v11 :: v_dual_mov_b32 v23, v10
	v_pk_add_f32 v[138:139], v[138:139], v[4:5] neg_lo:[0,1] neg_hi:[0,1]
	ds_load_2addr_b64 v[4:7], v40 offset0:41 offset1:42
	s_wait_dscnt 0x1
	v_pk_mul_f32 v[30:31], v[12:13], v[2:3] op_sel:[0,1]
	v_pk_fma_f32 v[34:35], v[10:11], v[38:39], v[34:35] op_sel_hi:[1,1,0] neg_lo:[0,0,1] neg_hi:[0,0,1]
	v_pk_fma_f32 v[22:23], v[22:23], v[38:39], v[24:25] op_sel_hi:[1,1,0]
	v_mov_b32_e32 v9, v19
	ds_load_2addr_b64 v[18:21], v40 offset0:43 offset1:44
	v_pk_mul_f32 v[24:25], v[14:15], v[2:3] op_sel:[0,1]
	v_mov_b32_e32 v35, v23
	v_pk_add_f32 v[158:159], v[158:159], v[8:9] neg_lo:[0,1] neg_hi:[0,1]
	v_pk_fma_f32 v[8:9], v[12:13], v[0:1], v[30:31] op_sel:[0,0,1] op_sel_hi:[1,0,0]
	v_pk_fma_f32 v[12:13], v[12:13], v[0:1], v[30:31] op_sel:[0,0,1] op_sel_hi:[1,1,0] neg_lo:[0,0,1] neg_hi:[0,0,1]
	v_pk_fma_f32 v[22:23], v[14:15], v[0:1], v[24:25] op_sel:[0,0,1] op_sel_hi:[1,0,0]
	v_pk_add_f32 v[160:161], v[160:161], v[34:35] neg_lo:[0,1] neg_hi:[0,1]
	s_delay_alu instid0(VALU_DEP_4)
	v_mov_b32_e32 v13, v9
	ds_load_2addr_b64 v[8:11], v40 offset0:45 offset1:46
	s_wait_dscnt 0x2
	v_pk_mul_f32 v[30:31], v[4:5], v[2:3] op_sel:[0,1]
	v_pk_add_f32 v[156:157], v[156:157], v[12:13] neg_lo:[0,1] neg_hi:[0,1]
	v_pk_fma_f32 v[12:13], v[14:15], v[0:1], v[24:25] op_sel:[0,0,1] op_sel_hi:[1,1,0] neg_lo:[0,0,1] neg_hi:[0,0,1]
	s_delay_alu instid0(VALU_DEP_3)
	v_pk_fma_f32 v[14:15], v[4:5], v[0:1], v[30:31] op_sel:[0,0,1] op_sel_hi:[1,0,0]
	v_mov_b32_e32 v13, v23
	v_pk_mul_f32 v[22:23], v[6:7], v[2:3] op_sel:[0,1]
	s_wait_dscnt 0x1
	v_mul_f32_e32 v14, v19, v0
	v_pk_fma_f32 v[4:5], v[4:5], v[0:1], v[30:31] op_sel:[0,0,1] op_sel_hi:[1,1,0] neg_lo:[0,0,1] neg_hi:[0,0,1]
	v_mov_b32_e32 v5, v15
	v_pk_add_f32 v[182:183], v[182:183], v[12:13] neg_lo:[0,1] neg_hi:[0,1]
	v_pk_fma_f32 v[12:13], v[6:7], v[0:1], v[22:23] op_sel:[0,0,1] op_sel_hi:[1,0,0]
	v_mul_f32_e32 v12, v19, v3
	v_pk_fma_f32 v[14:15], v[18:19], v[38:39], v[14:15] op_sel:[1,0,0] op_sel_hi:[0,1,0]
	v_pk_add_f32 v[176:177], v[176:177], v[4:5] neg_lo:[0,1] neg_hi:[0,1]
	v_pk_fma_f32 v[4:5], v[6:7], v[0:1], v[22:23] op_sel:[0,0,1] op_sel_hi:[1,1,0] neg_lo:[0,0,1] neg_hi:[0,0,1]
	v_mov_b32_e32 v5, v13
	v_pk_fma_f32 v[6:7], v[18:19], v[38:39], v[12:13] op_sel_hi:[1,1,0] neg_lo:[0,0,1] neg_hi:[0,0,1]
	s_wait_dscnt 0x0
	v_dual_mov_b32 v7, v15 :: v_dual_mov_b32 v18, v11
	v_pk_mul_f32 v[12:13], v[20:21], v[2:3] op_sel:[0,1]
	v_pk_mul_f32 v[14:15], v[8:9], v[2:3] op_sel:[0,1]
	v_dual_mov_b32 v19, v10 :: v_dual_mul_f32 v2, v11, v0
	v_pk_add_f32 v[180:181], v[180:181], v[4:5] neg_lo:[0,1] neg_hi:[0,1]
	s_delay_alu instid0(VALU_DEP_4)
	v_pk_fma_f32 v[22:23], v[20:21], v[0:1], v[12:13] op_sel:[0,0,1] op_sel_hi:[1,0,0]
	v_pk_fma_f32 v[12:13], v[20:21], v[0:1], v[12:13] op_sel:[0,0,1] op_sel_hi:[1,1,0] neg_lo:[0,0,1] neg_hi:[0,0,1]
	v_pk_fma_f32 v[20:21], v[8:9], v[0:1], v[14:15] op_sel:[0,0,1] op_sel_hi:[1,0,0]
	v_mul_f32_e32 v20, v11, v3
	v_pk_fma_f32 v[2:3], v[18:19], v[38:39], v[2:3] op_sel_hi:[1,1,0]
	v_pk_fma_f32 v[0:1], v[8:9], v[0:1], v[14:15] op_sel:[0,0,1] op_sel_hi:[1,1,0] neg_lo:[0,0,1] neg_hi:[0,0,1]
	s_delay_alu instid0(VALU_DEP_4) | instskip(NEXT) | instid1(VALU_DEP_4)
	v_dual_mov_b32 v13, v23 :: v_dual_mov_b32 v1, v21
	v_pk_fma_f32 v[8:9], v[10:11], v[38:39], v[20:21] op_sel_hi:[1,1,0] neg_lo:[0,0,1] neg_hi:[0,0,1]
	s_delay_alu instid0(VALU_DEP_4) | instskip(SKIP_1) | instid1(VALU_DEP_4)
	v_mov_b32_e32 v9, v3
	v_pk_add_f32 v[174:175], v[174:175], v[6:7] neg_lo:[0,1] neg_hi:[0,1]
	v_pk_add_f32 v[178:179], v[178:179], v[12:13] neg_lo:[0,1] neg_hi:[0,1]
	;; [unrolled: 1-line block ×3, first 2 shown]
	s_delay_alu instid0(VALU_DEP_4)
	v_pk_add_f32 v[188:189], v[188:189], v[8:9] neg_lo:[0,1] neg_hi:[0,1]
.LBB93_46:
	s_or_b32 exec_lo, exec_lo, s1
	s_delay_alu instid0(SALU_CYCLE_1)
	s_mov_b32 s2, exec_lo
	s_wait_dscnt 0x0
	s_barrier_signal -1
	s_barrier_wait -1
	v_cmpx_eq_u32_e32 5, v36
	s_cbranch_execz .LBB93_53
; %bb.47:
	v_dual_mov_b32 v0, v60 :: v_dual_mov_b32 v1, v61
	v_dual_mov_b32 v2, v58 :: v_dual_mov_b32 v3, v59
	;; [unrolled: 1-line block ×4, first 2 shown]
	ds_store_b64 v37, v[32:33]
	ds_store_2addr_b64 v40, v[0:1], v[2:3] offset0:6 offset1:7
	ds_store_2addr_b64 v40, v[4:5], v[6:7] offset0:8 offset1:9
	v_dual_mov_b32 v0, v28 :: v_dual_mov_b32 v1, v29
	v_dual_mov_b32 v2, v26 :: v_dual_mov_b32 v3, v27
	v_dual_mov_b32 v4, v48 :: v_dual_mov_b32 v5, v49
	v_dual_mov_b32 v6, v44 :: v_dual_mov_b32 v7, v45
	v_dual_mov_b32 v8, v46 :: v_dual_mov_b32 v9, v47
	v_dual_mov_b32 v10, v42 :: v_dual_mov_b32 v11, v43
	v_dual_mov_b32 v12, v70 :: v_dual_mov_b32 v13, v71
	v_dual_mov_b32 v14, v66 :: v_dual_mov_b32 v15, v67
	v_dual_mov_b32 v18, v68 :: v_dual_mov_b32 v19, v69
	v_dual_mov_b32 v20, v64 :: v_dual_mov_b32 v21, v65
	v_dual_mov_b32 v22, v94 :: v_dual_mov_b32 v23, v95
	v_dual_mov_b32 v24, v90 :: v_dual_mov_b32 v25, v91
	ds_store_2addr_b64 v40, v[0:1], v[2:3] offset0:10 offset1:11
	ds_store_2addr_b64 v40, v[4:5], v[6:7] offset0:12 offset1:13
	ds_store_2addr_b64 v40, v[8:9], v[10:11] offset0:14 offset1:15
	ds_store_2addr_b64 v40, v[12:13], v[14:15] offset0:16 offset1:17
	ds_store_2addr_b64 v40, v[18:19], v[20:21] offset0:18 offset1:19
	ds_store_2addr_b64 v40, v[22:23], v[24:25] offset0:20 offset1:21
	v_dual_mov_b32 v0, v92 :: v_dual_mov_b32 v1, v93
	v_dual_mov_b32 v2, v88 :: v_dual_mov_b32 v3, v89
	v_dual_mov_b32 v4, v112 :: v_dual_mov_b32 v5, v113
	v_dual_mov_b32 v6, v108 :: v_dual_mov_b32 v7, v109
	v_dual_mov_b32 v8, v110 :: v_dual_mov_b32 v9, v111
	v_dual_mov_b32 v10, v106 :: v_dual_mov_b32 v11, v107
	v_dual_mov_b32 v12, v128 :: v_dual_mov_b32 v13, v129
	v_dual_mov_b32 v14, v124 :: v_dual_mov_b32 v15, v125
	v_dual_mov_b32 v18, v126 :: v_dual_mov_b32 v19, v127
	v_dual_mov_b32 v20, v122 :: v_dual_mov_b32 v21, v123
	v_dual_mov_b32 v22, v144 :: v_dual_mov_b32 v23, v145
	v_dual_mov_b32 v24, v140 :: v_dual_mov_b32 v25, v141
	ds_store_2addr_b64 v40, v[0:1], v[2:3] offset0:22 offset1:23
	ds_store_2addr_b64 v40, v[4:5], v[6:7] offset0:24 offset1:25
	ds_store_2addr_b64 v40, v[8:9], v[10:11] offset0:26 offset1:27
	ds_store_2addr_b64 v40, v[12:13], v[14:15] offset0:28 offset1:29
	;; [unrolled: 18-line block ×3, first 2 shown]
	ds_store_2addr_b64 v40, v[18:19], v[20:21] offset0:42 offset1:43
	ds_store_2addr_b64 v40, v[22:23], v[24:25] offset0:44 offset1:45
	ds_store_b64 v40, v[188:189] offset:368
	ds_load_b64 v[0:1], v37
	s_wait_dscnt 0x0
	v_cmp_neq_f32_e32 vcc_lo, 0, v0
	v_cmp_neq_f32_e64 s1, 0, v1
	s_or_b32 s1, vcc_lo, s1
	s_delay_alu instid0(SALU_CYCLE_1)
	s_and_b32 exec_lo, exec_lo, s1
	s_cbranch_execz .LBB93_53
; %bb.48:
	v_cmp_ngt_f32_e64 s1, |v0|, |v1|
                                        ; implicit-def: $vgpr2_vgpr3
	s_and_saveexec_b32 s4, s1
	s_delay_alu instid0(SALU_CYCLE_1)
	s_xor_b32 s1, exec_lo, s4
	s_cbranch_execz .LBB93_50
; %bb.49:
	v_div_scale_f32 v2, null, v1, v1, v0
	v_div_scale_f32 v5, vcc_lo, v0, v1, v0
	s_delay_alu instid0(VALU_DEP_2) | instskip(SKIP_1) | instid1(TRANS32_DEP_1)
	v_rcp_f32_e32 v3, v2
	v_nop
	v_fma_f32 v4, -v2, v3, 1.0
	s_delay_alu instid0(VALU_DEP_1) | instskip(NEXT) | instid1(VALU_DEP_1)
	v_fmac_f32_e32 v3, v4, v3
	v_mul_f32_e32 v4, v5, v3
	s_delay_alu instid0(VALU_DEP_1) | instskip(NEXT) | instid1(VALU_DEP_1)
	v_fma_f32 v6, -v2, v4, v5
	v_fmac_f32_e32 v4, v6, v3
	s_delay_alu instid0(VALU_DEP_1) | instskip(NEXT) | instid1(VALU_DEP_1)
	v_fma_f32 v2, -v2, v4, v5
	v_div_fmas_f32 v2, v2, v3, v4
	s_delay_alu instid0(VALU_DEP_1) | instskip(NEXT) | instid1(VALU_DEP_1)
	v_div_fixup_f32 v2, v2, v1, v0
	v_fmac_f32_e32 v1, v0, v2
	s_delay_alu instid0(VALU_DEP_1) | instskip(SKIP_1) | instid1(VALU_DEP_2)
	v_div_scale_f32 v0, null, v1, v1, 1.0
	v_div_scale_f32 v5, vcc_lo, 1.0, v1, 1.0
	v_rcp_f32_e32 v3, v0
	v_nop
	s_delay_alu instid0(TRANS32_DEP_1) | instskip(NEXT) | instid1(VALU_DEP_1)
	v_fma_f32 v4, -v0, v3, 1.0
	v_fmac_f32_e32 v3, v4, v3
	s_delay_alu instid0(VALU_DEP_1) | instskip(NEXT) | instid1(VALU_DEP_1)
	v_mul_f32_e32 v4, v5, v3
	v_fma_f32 v6, -v0, v4, v5
	s_delay_alu instid0(VALU_DEP_1) | instskip(NEXT) | instid1(VALU_DEP_1)
	v_fmac_f32_e32 v4, v6, v3
	v_fma_f32 v0, -v0, v4, v5
	s_delay_alu instid0(VALU_DEP_1) | instskip(NEXT) | instid1(VALU_DEP_1)
	v_div_fmas_f32 v0, v0, v3, v4
	v_div_fixup_f32 v0, v0, v1, 1.0
	s_delay_alu instid0(VALU_DEP_1)
	v_mul_f32_e32 v2, v2, v0
	v_xor_b32_e32 v3, 0x80000000, v0
                                        ; implicit-def: $vgpr0_vgpr1
.LBB93_50:
	s_and_not1_saveexec_b32 s1, s1
	s_cbranch_execz .LBB93_52
; %bb.51:
	v_div_scale_f32 v2, null, v0, v0, v1
	v_div_scale_f32 v5, vcc_lo, v1, v0, v1
	s_delay_alu instid0(VALU_DEP_2) | instskip(SKIP_1) | instid1(TRANS32_DEP_1)
	v_rcp_f32_e32 v3, v2
	v_nop
	v_fma_f32 v4, -v2, v3, 1.0
	s_delay_alu instid0(VALU_DEP_1) | instskip(NEXT) | instid1(VALU_DEP_1)
	v_fmac_f32_e32 v3, v4, v3
	v_mul_f32_e32 v4, v5, v3
	s_delay_alu instid0(VALU_DEP_1) | instskip(NEXT) | instid1(VALU_DEP_1)
	v_fma_f32 v6, -v2, v4, v5
	v_fmac_f32_e32 v4, v6, v3
	s_delay_alu instid0(VALU_DEP_1) | instskip(NEXT) | instid1(VALU_DEP_1)
	v_fma_f32 v2, -v2, v4, v5
	v_div_fmas_f32 v2, v2, v3, v4
	s_delay_alu instid0(VALU_DEP_1) | instskip(NEXT) | instid1(VALU_DEP_1)
	v_div_fixup_f32 v3, v2, v0, v1
	v_fmac_f32_e32 v0, v1, v3
	s_delay_alu instid0(VALU_DEP_1) | instskip(NEXT) | instid1(VALU_DEP_1)
	v_div_scale_f32 v1, null, v0, v0, 1.0
	v_rcp_f32_e32 v2, v1
	v_nop
	s_delay_alu instid0(TRANS32_DEP_1) | instskip(NEXT) | instid1(VALU_DEP_1)
	v_fma_f32 v4, -v1, v2, 1.0
	v_fmac_f32_e32 v2, v4, v2
	v_div_scale_f32 v4, vcc_lo, 1.0, v0, 1.0
	s_delay_alu instid0(VALU_DEP_1) | instskip(NEXT) | instid1(VALU_DEP_1)
	v_mul_f32_e32 v5, v4, v2
	v_fma_f32 v6, -v1, v5, v4
	s_delay_alu instid0(VALU_DEP_1) | instskip(NEXT) | instid1(VALU_DEP_1)
	v_fmac_f32_e32 v5, v6, v2
	v_fma_f32 v1, -v1, v5, v4
	s_delay_alu instid0(VALU_DEP_1) | instskip(NEXT) | instid1(VALU_DEP_1)
	v_div_fmas_f32 v1, v1, v2, v5
	v_div_fixup_f32 v2, v1, v0, 1.0
	s_delay_alu instid0(VALU_DEP_1)
	v_mul_f32_e64 v3, v3, -v2
.LBB93_52:
	s_or_b32 exec_lo, exec_lo, s1
	ds_store_b64 v37, v[2:3]
.LBB93_53:
	s_or_b32 exec_lo, exec_lo, s2
	s_wait_dscnt 0x0
	s_barrier_signal -1
	s_barrier_wait -1
	ds_load_b64 v[200:201], v37
	s_mov_b32 s1, exec_lo
	v_cmpx_lt_u32_e32 5, v36
	s_cbranch_execz .LBB93_55
; %bb.54:
	ds_load_2addr_b64 v[4:7], v40 offset0:6 offset1:7
	ds_load_2addr_b64 v[8:11], v40 offset0:8 offset1:9
	;; [unrolled: 1-line block ×3, first 2 shown]
	s_wait_dscnt 0x3
	v_pk_mul_f32 v[2:3], v[200:201], v[32:33] op_sel:[1,1] op_sel_hi:[0,1]
	ds_load_2addr_b64 v[18:21], v40 offset0:12 offset1:13
	ds_load_2addr_b64 v[22:25], v40 offset0:14 offset1:15
	v_pk_fma_f32 v[0:1], v[200:201], v[32:33], v[2:3] op_sel_hi:[1,0,1] neg_lo:[0,0,1] neg_hi:[0,0,1]
	v_pk_fma_f32 v[2:3], v[200:201], v[32:33], v[2:3] op_sel_hi:[1,0,1]
	s_delay_alu instid0(VALU_DEP_1) | instskip(SKIP_1) | instid1(VALU_DEP_2)
	v_dual_mov_b32 v32, v0 :: v_dual_mov_b32 v33, v3
	s_wait_dscnt 0x4
	v_pk_mul_f32 v[30:31], v[4:5], v[2:3] op_sel:[0,1]
	v_pk_mul_f32 v[34:35], v[6:7], v[2:3] op_sel:[0,1]
	s_wait_dscnt 0x3
	v_pk_mul_f32 v[50:51], v[8:9], v[2:3] op_sel:[0,1]
	v_dual_mov_b32 v52, v11 :: v_dual_mov_b32 v53, v10
	v_dual_mul_f32 v202, v11, v3 :: v_dual_mul_f32 v204, v11, v0
	s_wait_dscnt 0x2
	v_pk_mul_f32 v[206:207], v[12:13], v[2:3] op_sel:[0,1]
	v_pk_mul_f32 v[208:209], v[14:15], v[2:3] op_sel:[0,1]
	v_pk_fma_f32 v[212:213], v[4:5], v[0:1], v[30:31] op_sel:[0,0,1] op_sel_hi:[1,1,0] neg_lo:[0,0,1] neg_hi:[0,0,1]
	v_pk_fma_f32 v[4:5], v[4:5], v[0:1], v[30:31] op_sel:[0,0,1] op_sel_hi:[1,0,0]
	v_pk_fma_f32 v[30:31], v[6:7], v[0:1], v[34:35] op_sel:[0,0,1] op_sel_hi:[1,1,0] neg_lo:[0,0,1] neg_hi:[0,0,1]
	v_pk_fma_f32 v[6:7], v[6:7], v[0:1], v[34:35] op_sel:[0,0,1] op_sel_hi:[1,0,0]
	;; [unrolled: 2-line block ×3, first 2 shown]
	s_wait_dscnt 0x1
	v_pk_mul_f32 v[210:211], v[18:19], v[2:3] op_sel:[0,1]
	v_pk_fma_f32 v[50:51], v[52:53], v[32:33], v[204:205] op_sel_hi:[1,1,0]
	v_dual_mov_b32 v213, v5 :: v_dual_mov_b32 v31, v7
	v_mov_b32_e32 v35, v9
	v_pk_fma_f32 v[4:5], v[12:13], v[0:1], v[206:207] op_sel:[0,0,1] op_sel_hi:[1,0,0]
	v_pk_fma_f32 v[8:9], v[12:13], v[0:1], v[206:207] op_sel:[0,0,1] op_sel_hi:[1,1,0] neg_lo:[0,0,1] neg_hi:[0,0,1]
	v_pk_fma_f32 v[12:13], v[14:15], v[0:1], v[208:209] op_sel:[0,0,1] op_sel_hi:[1,0,0]
	v_pk_fma_f32 v[14:15], v[14:15], v[0:1], v[208:209] op_sel:[0,0,1] op_sel_hi:[1,1,0] neg_lo:[0,0,1] neg_hi:[0,0,1]
	v_pk_add_f32 v[58:59], v[58:59], v[30:31] neg_lo:[0,1] neg_hi:[0,1]
	v_mov_b32_e32 v9, v5
	v_pk_fma_f32 v[30:31], v[18:19], v[0:1], v[210:211] op_sel:[0,0,1] op_sel_hi:[1,0,0]
	v_mov_b32_e32 v15, v13
	v_pk_fma_f32 v[12:13], v[18:19], v[0:1], v[210:211] op_sel:[0,0,1] op_sel_hi:[1,1,0] neg_lo:[0,0,1] neg_hi:[0,0,1]
	v_pk_mul_f32 v[18:19], v[20:21], v[2:3] op_sel:[0,1]
	ds_load_2addr_b64 v[4:7], v40 offset0:16 offset1:17
	v_pk_fma_f32 v[10:11], v[10:11], v[32:33], v[202:203] op_sel_hi:[1,1,0] neg_lo:[0,0,1] neg_hi:[0,0,1]
	v_pk_add_f32 v[26:27], v[26:27], v[14:15] neg_lo:[0,1] neg_hi:[0,1]
	v_mov_b32_e32 v11, v51
	v_pk_fma_f32 v[14:15], v[20:21], v[0:1], v[18:19] op_sel:[0,0,1] op_sel_hi:[1,0,0]
	v_mov_b32_e32 v13, v31
	v_pk_fma_f32 v[18:19], v[20:21], v[0:1], v[18:19] op_sel:[0,0,1] op_sel_hi:[1,1,0] neg_lo:[0,0,1] neg_hi:[0,0,1]
	s_wait_dscnt 0x1
	v_pk_mul_f32 v[30:31], v[24:25], v[2:3] op_sel:[0,1]
	v_pk_add_f32 v[80:81], v[80:81], v[10:11] neg_lo:[0,1] neg_hi:[0,1]
	v_mov_b32_e32 v19, v15
	v_pk_add_f32 v[48:49], v[48:49], v[12:13] neg_lo:[0,1] neg_hi:[0,1]
	v_dual_mul_f32 v12, v23, v0 :: v_dual_mul_f32 v14, v23, v3
	v_pk_add_f32 v[28:29], v[28:29], v[8:9] neg_lo:[0,1] neg_hi:[0,1]
	ds_load_2addr_b64 v[8:11], v40 offset0:18 offset1:19
	v_pk_fma_f32 v[20:21], v[24:25], v[0:1], v[30:31] op_sel:[0,0,1] op_sel_hi:[1,0,0]
	v_pk_fma_f32 v[12:13], v[22:23], v[32:33], v[12:13] op_sel:[1,0,0] op_sel_hi:[0,1,0]
	v_pk_fma_f32 v[14:15], v[22:23], v[32:33], v[14:15] op_sel_hi:[1,1,0] neg_lo:[0,0,1] neg_hi:[0,0,1]
	v_pk_add_f32 v[44:45], v[44:45], v[18:19] neg_lo:[0,1] neg_hi:[0,1]
	v_pk_add_f32 v[82:83], v[82:83], v[34:35] neg_lo:[0,1] neg_hi:[0,1]
	s_wait_dscnt 0x1
	v_pk_mul_f32 v[22:23], v[4:5], v[2:3] op_sel:[0,1]
	v_mov_b32_e32 v15, v13
	v_pk_fma_f32 v[12:13], v[24:25], v[0:1], v[30:31] op_sel:[0,0,1] op_sel_hi:[1,1,0] neg_lo:[0,0,1] neg_hi:[0,0,1]
	v_mov_b32_e32 v13, v21
	v_pk_mul_f32 v[20:21], v[6:7], v[2:3] op_sel:[0,1]
	v_pk_fma_f32 v[18:19], v[4:5], v[0:1], v[22:23] op_sel:[0,0,1] op_sel_hi:[1,0,0]
	v_pk_add_f32 v[46:47], v[46:47], v[14:15] neg_lo:[0,1] neg_hi:[0,1]
	v_pk_fma_f32 v[22:23], v[4:5], v[0:1], v[22:23] op_sel:[0,0,1] op_sel_hi:[1,1,0] neg_lo:[0,0,1] neg_hi:[0,0,1]
	v_pk_add_f32 v[42:43], v[42:43], v[12:13] neg_lo:[0,1] neg_hi:[0,1]
	ds_load_2addr_b64 v[12:15], v40 offset0:20 offset1:21
	v_mov_b32_e32 v23, v19
	v_pk_fma_f32 v[18:19], v[6:7], v[0:1], v[20:21] op_sel:[0,0,1] op_sel_hi:[1,1,0] neg_lo:[0,0,1] neg_hi:[0,0,1]
	v_pk_fma_f32 v[20:21], v[6:7], v[0:1], v[20:21] op_sel:[0,0,1] op_sel_hi:[1,0,0]
	ds_load_2addr_b64 v[4:7], v40 offset0:22 offset1:23
	s_wait_dscnt 0x2
	v_pk_mul_f32 v[24:25], v[8:9], v[2:3] op_sel:[0,1]
	v_dual_mov_b32 v30, v11 :: v_dual_mov_b32 v31, v10
	v_dual_mul_f32 v20, v11, v0 :: v_dual_mov_b32 v19, v21
	v_pk_add_f32 v[70:71], v[70:71], v[22:23] neg_lo:[0,1] neg_hi:[0,1]
	s_delay_alu instid0(VALU_DEP_4) | instskip(SKIP_1) | instid1(VALU_DEP_4)
	v_pk_fma_f32 v[22:23], v[8:9], v[0:1], v[24:25] op_sel:[0,0,1] op_sel_hi:[1,0,0]
	v_mul_f32_e32 v22, v11, v3
	v_pk_fma_f32 v[20:21], v[30:31], v[32:33], v[20:21] op_sel_hi:[1,1,0]
	v_pk_add_f32 v[66:67], v[66:67], v[18:19] neg_lo:[0,1] neg_hi:[0,1]
	v_pk_fma_f32 v[18:19], v[8:9], v[0:1], v[24:25] op_sel:[0,0,1] op_sel_hi:[1,1,0] neg_lo:[0,0,1] neg_hi:[0,0,1]
	v_mov_b32_e32 v19, v23
	v_pk_fma_f32 v[22:23], v[10:11], v[32:33], v[22:23] op_sel_hi:[1,1,0] neg_lo:[0,0,1] neg_hi:[0,0,1]
	v_mov_b32_e32 v23, v21
	ds_load_2addr_b64 v[8:11], v40 offset0:24 offset1:25
	s_wait_dscnt 0x2
	v_pk_mul_f32 v[24:25], v[12:13], v[2:3] op_sel:[0,1]
	v_pk_mul_f32 v[30:31], v[14:15], v[2:3] op_sel:[0,1]
	v_pk_add_f32 v[68:69], v[68:69], v[18:19] neg_lo:[0,1] neg_hi:[0,1]
	v_pk_add_f32 v[64:65], v[64:65], v[22:23] neg_lo:[0,1] neg_hi:[0,1]
	s_wait_dscnt 0x1
	v_pk_mul_f32 v[34:35], v[4:5], v[2:3] op_sel:[0,1]
	v_pk_fma_f32 v[22:23], v[12:13], v[0:1], v[24:25] op_sel:[0,0,1] op_sel_hi:[1,0,0]
	v_pk_fma_f32 v[50:51], v[14:15], v[0:1], v[30:31] op_sel:[0,0,1] op_sel_hi:[1,0,0]
	ds_load_2addr_b64 v[18:21], v40 offset0:26 offset1:27
	v_pk_fma_f32 v[12:13], v[12:13], v[0:1], v[24:25] op_sel:[0,0,1] op_sel_hi:[1,1,0] neg_lo:[0,0,1] neg_hi:[0,0,1]
	v_pk_fma_f32 v[14:15], v[14:15], v[0:1], v[30:31] op_sel:[0,0,1] op_sel_hi:[1,1,0] neg_lo:[0,0,1] neg_hi:[0,0,1]
	v_dual_mov_b32 v13, v23 :: v_dual_mov_b32 v15, v51
	v_pk_fma_f32 v[22:23], v[4:5], v[0:1], v[34:35] op_sel:[0,0,1] op_sel_hi:[1,0,0]
	v_pk_mul_f32 v[24:25], v[6:7], v[2:3] op_sel:[0,1]
	v_pk_fma_f32 v[4:5], v[4:5], v[0:1], v[34:35] op_sel:[0,0,1] op_sel_hi:[1,1,0] neg_lo:[0,0,1] neg_hi:[0,0,1]
	s_delay_alu instid0(VALU_DEP_4)
	v_pk_add_f32 v[94:95], v[94:95], v[12:13] neg_lo:[0,1] neg_hi:[0,1]
	v_pk_add_f32 v[90:91], v[90:91], v[14:15] neg_lo:[0,1] neg_hi:[0,1]
	v_mov_b32_e32 v5, v23
	v_pk_fma_f32 v[22:23], v[6:7], v[0:1], v[24:25] op_sel:[0,0,1] op_sel_hi:[1,0,0]
	ds_load_2addr_b64 v[12:15], v40 offset0:28 offset1:29
	v_pk_fma_f32 v[6:7], v[6:7], v[0:1], v[24:25] op_sel:[0,0,1] op_sel_hi:[1,1,0] neg_lo:[0,0,1] neg_hi:[0,0,1]
	s_wait_dscnt 0x2
	v_mul_f32_e32 v22, v9, v3
	v_pk_add_f32 v[92:93], v[92:93], v[4:5] neg_lo:[0,1] neg_hi:[0,1]
	v_dual_mul_f32 v4, v9, v0 :: v_dual_mov_b32 v7, v23
	v_pk_mul_f32 v[24:25], v[10:11], v[2:3] op_sel:[0,1]
	v_pk_add_f32 v[60:61], v[60:61], v[212:213] neg_lo:[0,1] neg_hi:[0,1]
	s_wait_dscnt 0x1
	v_pk_mul_f32 v[30:31], v[18:19], v[2:3] op_sel:[0,1]
	v_pk_fma_f32 v[4:5], v[8:9], v[32:33], v[4:5] op_sel:[1,0,0] op_sel_hi:[0,1,0]
	v_pk_fma_f32 v[8:9], v[8:9], v[32:33], v[22:23] op_sel_hi:[1,1,0] neg_lo:[0,0,1] neg_hi:[0,0,1]
	v_pk_fma_f32 v[22:23], v[10:11], v[0:1], v[24:25] op_sel:[0,0,1] op_sel_hi:[1,0,0]
	v_pk_fma_f32 v[10:11], v[10:11], v[0:1], v[24:25] op_sel:[0,0,1] op_sel_hi:[1,1,0] neg_lo:[0,0,1] neg_hi:[0,0,1]
	v_pk_fma_f32 v[34:35], v[18:19], v[0:1], v[30:31] op_sel:[0,0,1] op_sel_hi:[1,0,0]
	v_mov_b32_e32 v9, v5
	v_pk_add_f32 v[88:89], v[88:89], v[6:7] neg_lo:[0,1] neg_hi:[0,1]
	v_mov_b32_e32 v11, v23
	v_pk_mul_f32 v[22:23], v[20:21], v[2:3] op_sel:[0,1]
	ds_load_2addr_b64 v[4:7], v40 offset0:30 offset1:31
	v_pk_fma_f32 v[18:19], v[18:19], v[0:1], v[30:31] op_sel:[0,0,1] op_sel_hi:[1,1,0] neg_lo:[0,0,1] neg_hi:[0,0,1]
	s_wait_dscnt 0x1
	v_pk_mul_f32 v[24:25], v[12:13], v[2:3] op_sel:[0,1]
	v_pk_add_f32 v[112:113], v[112:113], v[8:9] neg_lo:[0,1] neg_hi:[0,1]
	v_pk_fma_f32 v[30:31], v[20:21], v[0:1], v[22:23] op_sel:[0,0,1] op_sel_hi:[1,0,0]
	v_mov_b32_e32 v19, v35
	v_pk_add_f32 v[108:109], v[108:109], v[10:11] neg_lo:[0,1] neg_hi:[0,1]
	ds_load_2addr_b64 v[8:11], v40 offset0:32 offset1:33
	v_pk_fma_f32 v[20:21], v[20:21], v[0:1], v[22:23] op_sel:[0,0,1] op_sel_hi:[1,1,0] neg_lo:[0,0,1] neg_hi:[0,0,1]
	v_mov_b32_e32 v21, v31
	v_pk_add_f32 v[110:111], v[110:111], v[18:19] neg_lo:[0,1] neg_hi:[0,1]
	v_pk_fma_f32 v[18:19], v[12:13], v[0:1], v[24:25] op_sel:[0,0,1] op_sel_hi:[1,0,0]
	v_pk_fma_f32 v[12:13], v[12:13], v[0:1], v[24:25] op_sel:[0,0,1] op_sel_hi:[1,1,0] neg_lo:[0,0,1] neg_hi:[0,0,1]
	v_dual_mov_b32 v18, v15 :: v_dual_mul_f32 v22, v15, v0
	v_pk_add_f32 v[106:107], v[106:107], v[20:21] neg_lo:[0,1] neg_hi:[0,1]
	s_delay_alu instid0(VALU_DEP_4) | instskip(SKIP_2) | instid1(VALU_DEP_2)
	v_dual_mov_b32 v13, v19 :: v_dual_mov_b32 v19, v14
	s_wait_dscnt 0x1
	v_pk_mul_f32 v[24:25], v[4:5], v[2:3] op_sel:[0,1]
	v_pk_add_f32 v[128:129], v[128:129], v[12:13] neg_lo:[0,1] neg_hi:[0,1]
	v_mul_f32_e32 v12, v15, v3
	v_pk_fma_f32 v[22:23], v[18:19], v[32:33], v[22:23] op_sel_hi:[1,1,0]
	v_pk_mul_f32 v[34:35], v[6:7], v[2:3] op_sel:[0,1]
	ds_load_2addr_b64 v[18:21], v40 offset0:34 offset1:35
	v_pk_fma_f32 v[30:31], v[4:5], v[0:1], v[24:25] op_sel:[0,0,1] op_sel_hi:[1,0,0]
	v_pk_fma_f32 v[50:51], v[14:15], v[32:33], v[12:13] op_sel_hi:[1,1,0] neg_lo:[0,0,1] neg_hi:[0,0,1]
	v_mov_b32_e32 v51, v23
	v_pk_fma_f32 v[4:5], v[4:5], v[0:1], v[24:25] op_sel:[0,0,1] op_sel_hi:[1,1,0] neg_lo:[0,0,1] neg_hi:[0,0,1]
	v_pk_fma_f32 v[22:23], v[6:7], v[0:1], v[34:35] op_sel:[0,0,1] op_sel_hi:[1,0,0]
	s_wait_dscnt 0x1
	v_pk_mul_f32 v[24:25], v[8:9], v[2:3] op_sel:[0,1]
	ds_load_2addr_b64 v[12:15], v40 offset0:36 offset1:37
	v_pk_fma_f32 v[6:7], v[6:7], v[0:1], v[34:35] op_sel:[0,0,1] op_sel_hi:[1,1,0] neg_lo:[0,0,1] neg_hi:[0,0,1]
	v_mov_b32_e32 v5, v31
	v_pk_add_f32 v[124:125], v[124:125], v[50:51] neg_lo:[0,1] neg_hi:[0,1]
	v_pk_fma_f32 v[30:31], v[8:9], v[0:1], v[24:25] op_sel:[0,0,1] op_sel_hi:[1,0,0]
	v_mov_b32_e32 v7, v23
	v_pk_mul_f32 v[22:23], v[10:11], v[2:3] op_sel:[0,1]
	v_pk_fma_f32 v[8:9], v[8:9], v[0:1], v[24:25] op_sel:[0,0,1] op_sel_hi:[1,1,0] neg_lo:[0,0,1] neg_hi:[0,0,1]
	v_pk_add_f32 v[126:127], v[126:127], v[4:5] neg_lo:[0,1] neg_hi:[0,1]
	v_mov_b32_e32 v9, v31
	v_pk_add_f32 v[122:123], v[122:123], v[6:7] neg_lo:[0,1] neg_hi:[0,1]
	v_pk_fma_f32 v[24:25], v[10:11], v[0:1], v[22:23] op_sel:[0,0,1] op_sel_hi:[1,0,0]
	ds_load_2addr_b64 v[4:7], v40 offset0:38 offset1:39
	v_pk_fma_f32 v[10:11], v[10:11], v[0:1], v[22:23] op_sel:[0,0,1] op_sel_hi:[1,1,0] neg_lo:[0,0,1] neg_hi:[0,0,1]
	s_wait_dscnt 0x2
	v_dual_mul_f32 v22, v19, v0 :: v_dual_mul_f32 v24, v19, v3
	v_mov_b32_e32 v11, v25
	v_pk_add_f32 v[144:145], v[144:145], v[8:9] neg_lo:[0,1] neg_hi:[0,1]
	v_pk_mul_f32 v[8:9], v[20:21], v[2:3] op_sel:[0,1]
	s_delay_alu instid0(VALU_DEP_4)
	v_pk_fma_f32 v[22:23], v[18:19], v[32:33], v[22:23] op_sel:[1,0,0] op_sel_hi:[0,1,0]
	v_pk_fma_f32 v[18:19], v[18:19], v[32:33], v[24:25] op_sel_hi:[1,1,0] neg_lo:[0,0,1] neg_hi:[0,0,1]
	v_pk_add_f32 v[140:141], v[140:141], v[10:11] neg_lo:[0,1] neg_hi:[0,1]
	s_wait_dscnt 0x1
	v_pk_mul_f32 v[10:11], v[12:13], v[2:3] op_sel:[0,1]
	v_pk_fma_f32 v[30:31], v[20:21], v[0:1], v[8:9] op_sel:[0,0,1] op_sel_hi:[1,0,0]
	v_mov_b32_e32 v19, v23
	v_pk_mul_f32 v[24:25], v[14:15], v[2:3] op_sel:[0,1]
	v_pk_fma_f32 v[20:21], v[20:21], v[0:1], v[8:9] op_sel:[0,0,1] op_sel_hi:[1,1,0] neg_lo:[0,0,1] neg_hi:[0,0,1]
	v_pk_fma_f32 v[22:23], v[12:13], v[0:1], v[10:11] op_sel:[0,0,1] op_sel_hi:[1,0,0]
	v_pk_fma_f32 v[12:13], v[12:13], v[0:1], v[10:11] op_sel:[0,0,1] op_sel_hi:[1,1,0] neg_lo:[0,0,1] neg_hi:[0,0,1]
	ds_load_2addr_b64 v[8:11], v40 offset0:40 offset1:41
	v_mov_b32_e32 v21, v31
	v_pk_add_f32 v[142:143], v[142:143], v[18:19] neg_lo:[0,1] neg_hi:[0,1]
	v_pk_fma_f32 v[18:19], v[14:15], v[0:1], v[24:25] op_sel:[0,0,1] op_sel_hi:[1,0,0]
	v_mov_b32_e32 v13, v23
	s_wait_dscnt 0x1
	v_pk_mul_f32 v[22:23], v[4:5], v[2:3] op_sel:[0,1]
	v_pk_fma_f32 v[24:25], v[14:15], v[0:1], v[24:25] op_sel:[0,0,1] op_sel_hi:[1,1,0] neg_lo:[0,0,1] neg_hi:[0,0,1]
	v_pk_add_f32 v[138:139], v[138:139], v[20:21] neg_lo:[0,1] neg_hi:[0,1]
	v_mov_b32_e32 v25, v19
	v_pk_add_f32 v[162:163], v[162:163], v[12:13] neg_lo:[0,1] neg_hi:[0,1]
	v_pk_fma_f32 v[20:21], v[4:5], v[0:1], v[22:23] op_sel:[0,0,1] op_sel_hi:[1,0,0]
	ds_load_2addr_b64 v[12:15], v40 offset0:42 offset1:43
	v_pk_fma_f32 v[4:5], v[4:5], v[0:1], v[22:23] op_sel:[0,0,1] op_sel_hi:[1,1,0] neg_lo:[0,0,1] neg_hi:[0,0,1]
	v_dual_mov_b32 v18, v7 :: v_dual_mov_b32 v19, v6
	v_dual_mul_f32 v20, v7, v0 :: v_dual_mov_b32 v5, v21
	v_pk_add_f32 v[158:159], v[158:159], v[24:25] neg_lo:[0,1] neg_hi:[0,1]
	ds_load_b64 v[34:35], v40 offset:368
	v_pk_fma_f32 v[24:25], v[18:19], v[32:33], v[20:21] op_sel_hi:[1,1,0]
	ds_load_2addr_b64 v[18:21], v40 offset0:44 offset1:45
	v_pk_add_f32 v[160:161], v[160:161], v[4:5] neg_lo:[0,1] neg_hi:[0,1]
	v_mul_f32_e32 v4, v7, v3
	s_wait_dscnt 0x3
	v_pk_mul_f32 v[22:23], v[8:9], v[2:3] op_sel:[0,1]
	v_pk_mul_f32 v[30:31], v[10:11], v[2:3] op_sel:[0,1]
	s_delay_alu instid0(VALU_DEP_3) | instskip(NEXT) | instid1(VALU_DEP_3)
	v_pk_fma_f32 v[4:5], v[6:7], v[32:33], v[4:5] op_sel_hi:[1,1,0] neg_lo:[0,0,1] neg_hi:[0,0,1]
	v_pk_fma_f32 v[6:7], v[8:9], v[0:1], v[22:23] op_sel:[0,0,1] op_sel_hi:[1,0,0]
	v_mov_b32_e32 v5, v25
	s_delay_alu instid0(VALU_DEP_4)
	v_pk_fma_f32 v[24:25], v[10:11], v[0:1], v[30:31] op_sel:[0,0,1] op_sel_hi:[1,0,0]
	v_pk_fma_f32 v[8:9], v[8:9], v[0:1], v[22:23] op_sel:[0,0,1] op_sel_hi:[1,1,0] neg_lo:[0,0,1] neg_hi:[0,0,1]
	s_wait_dscnt 0x2
	v_pk_mul_f32 v[22:23], v[12:13], v[2:3] op_sel:[0,1]
	v_mov_b32_e32 v9, v7
	v_pk_fma_f32 v[6:7], v[10:11], v[0:1], v[30:31] op_sel:[0,0,1] op_sel_hi:[1,1,0] neg_lo:[0,0,1] neg_hi:[0,0,1]
	v_mov_b32_e32 v7, v25
	v_pk_add_f32 v[156:157], v[156:157], v[4:5] neg_lo:[0,1] neg_hi:[0,1]
	v_pk_fma_f32 v[4:5], v[12:13], v[0:1], v[22:23] op_sel:[0,0,1] op_sel_hi:[1,0,0]
	v_pk_mul_f32 v[10:11], v[14:15], v[2:3] op_sel:[0,1]
	v_pk_add_f32 v[182:183], v[182:183], v[8:9] neg_lo:[0,1] neg_hi:[0,1]
	v_pk_add_f32 v[176:177], v[176:177], v[6:7] neg_lo:[0,1] neg_hi:[0,1]
	v_pk_fma_f32 v[6:7], v[12:13], v[0:1], v[22:23] op_sel:[0,0,1] op_sel_hi:[1,1,0] neg_lo:[0,0,1] neg_hi:[0,0,1]
	s_wait_dscnt 0x0
	v_dual_mov_b32 v7, v5 :: v_dual_mul_f32 v8, v19, v0
	v_pk_fma_f32 v[4:5], v[14:15], v[0:1], v[10:11] op_sel:[0,0,1] op_sel_hi:[1,1,0] neg_lo:[0,0,1] neg_hi:[0,0,1]
	v_pk_fma_f32 v[10:11], v[14:15], v[0:1], v[10:11] op_sel:[0,0,1] op_sel_hi:[1,0,0]
	v_pk_mul_f32 v[12:13], v[20:21], v[2:3] op_sel:[0,1]
	s_delay_alu instid0(VALU_DEP_4)
	v_pk_add_f32 v[180:181], v[180:181], v[6:7] neg_lo:[0,1] neg_hi:[0,1]
	v_pk_fma_f32 v[8:9], v[18:19], v[32:33], v[8:9] op_sel:[1,0,0] op_sel_hi:[0,1,0]
	v_mul_f32_e32 v10, v19, v3
	v_pk_mul_f32 v[2:3], v[34:35], v[2:3] op_sel:[0,1]
	v_pk_fma_f32 v[14:15], v[20:21], v[0:1], v[12:13] op_sel:[0,0,1] op_sel_hi:[1,0,0]
	v_mov_b32_e32 v5, v11
	s_delay_alu instid0(VALU_DEP_4) | instskip(NEXT) | instid1(VALU_DEP_4)
	v_pk_fma_f32 v[10:11], v[18:19], v[32:33], v[10:11] op_sel_hi:[1,1,0] neg_lo:[0,0,1] neg_hi:[0,0,1]
	v_pk_fma_f32 v[18:19], v[34:35], v[0:1], v[2:3] op_sel:[0,0,1] op_sel_hi:[1,0,0]
	v_mov_b32_e32 v11, v9
	v_pk_fma_f32 v[8:9], v[20:21], v[0:1], v[12:13] op_sel:[0,0,1] op_sel_hi:[1,1,0] neg_lo:[0,0,1] neg_hi:[0,0,1]
	v_pk_fma_f32 v[0:1], v[34:35], v[0:1], v[2:3] op_sel:[0,0,1] op_sel_hi:[1,1,0] neg_lo:[0,0,1] neg_hi:[0,0,1]
	s_delay_alu instid0(VALU_DEP_4) | instskip(SKIP_2) | instid1(VALU_DEP_3)
	v_dual_mov_b32 v9, v15 :: v_dual_mov_b32 v1, v19
	v_pk_add_f32 v[174:175], v[174:175], v[4:5] neg_lo:[0,1] neg_hi:[0,1]
	v_pk_add_f32 v[178:179], v[178:179], v[10:11] neg_lo:[0,1] neg_hi:[0,1]
	;; [unrolled: 1-line block ×3, first 2 shown]
	s_delay_alu instid0(VALU_DEP_4)
	v_pk_add_f32 v[188:189], v[188:189], v[0:1] neg_lo:[0,1] neg_hi:[0,1]
.LBB93_55:
	s_or_b32 exec_lo, exec_lo, s1
	s_delay_alu instid0(SALU_CYCLE_1)
	s_mov_b32 s2, exec_lo
	s_wait_dscnt 0x0
	s_barrier_signal -1
	s_barrier_wait -1
	v_cmpx_eq_u32_e32 6, v36
	s_cbranch_execz .LBB93_62
; %bb.56:
	ds_store_b64 v37, v[60:61]
	ds_store_2addr_b64 v40, v[58:59], v[82:83] offset0:7 offset1:8
	ds_store_2addr_b64 v40, v[80:81], v[28:29] offset0:9 offset1:10
	;; [unrolled: 1-line block ×20, first 2 shown]
	ds_load_b64 v[0:1], v37
	s_wait_dscnt 0x0
	v_cmp_neq_f32_e32 vcc_lo, 0, v0
	v_cmp_neq_f32_e64 s1, 0, v1
	s_or_b32 s1, vcc_lo, s1
	s_delay_alu instid0(SALU_CYCLE_1)
	s_and_b32 exec_lo, exec_lo, s1
	s_cbranch_execz .LBB93_62
; %bb.57:
	v_cmp_ngt_f32_e64 s1, |v0|, |v1|
                                        ; implicit-def: $vgpr2_vgpr3
	s_and_saveexec_b32 s4, s1
	s_delay_alu instid0(SALU_CYCLE_1)
	s_xor_b32 s1, exec_lo, s4
	s_cbranch_execz .LBB93_59
; %bb.58:
	v_div_scale_f32 v2, null, v1, v1, v0
	v_div_scale_f32 v5, vcc_lo, v0, v1, v0
	s_delay_alu instid0(VALU_DEP_2) | instskip(SKIP_1) | instid1(TRANS32_DEP_1)
	v_rcp_f32_e32 v3, v2
	v_nop
	v_fma_f32 v4, -v2, v3, 1.0
	s_delay_alu instid0(VALU_DEP_1) | instskip(NEXT) | instid1(VALU_DEP_1)
	v_fmac_f32_e32 v3, v4, v3
	v_mul_f32_e32 v4, v5, v3
	s_delay_alu instid0(VALU_DEP_1) | instskip(NEXT) | instid1(VALU_DEP_1)
	v_fma_f32 v6, -v2, v4, v5
	v_fmac_f32_e32 v4, v6, v3
	s_delay_alu instid0(VALU_DEP_1) | instskip(NEXT) | instid1(VALU_DEP_1)
	v_fma_f32 v2, -v2, v4, v5
	v_div_fmas_f32 v2, v2, v3, v4
	s_delay_alu instid0(VALU_DEP_1) | instskip(NEXT) | instid1(VALU_DEP_1)
	v_div_fixup_f32 v2, v2, v1, v0
	v_fmac_f32_e32 v1, v0, v2
	s_delay_alu instid0(VALU_DEP_1) | instskip(SKIP_1) | instid1(VALU_DEP_2)
	v_div_scale_f32 v0, null, v1, v1, 1.0
	v_div_scale_f32 v5, vcc_lo, 1.0, v1, 1.0
	v_rcp_f32_e32 v3, v0
	v_nop
	s_delay_alu instid0(TRANS32_DEP_1) | instskip(NEXT) | instid1(VALU_DEP_1)
	v_fma_f32 v4, -v0, v3, 1.0
	v_fmac_f32_e32 v3, v4, v3
	s_delay_alu instid0(VALU_DEP_1) | instskip(NEXT) | instid1(VALU_DEP_1)
	v_mul_f32_e32 v4, v5, v3
	v_fma_f32 v6, -v0, v4, v5
	s_delay_alu instid0(VALU_DEP_1) | instskip(NEXT) | instid1(VALU_DEP_1)
	v_fmac_f32_e32 v4, v6, v3
	v_fma_f32 v0, -v0, v4, v5
	s_delay_alu instid0(VALU_DEP_1) | instskip(NEXT) | instid1(VALU_DEP_1)
	v_div_fmas_f32 v0, v0, v3, v4
	v_div_fixup_f32 v0, v0, v1, 1.0
	s_delay_alu instid0(VALU_DEP_1)
	v_mul_f32_e32 v2, v2, v0
	v_xor_b32_e32 v3, 0x80000000, v0
                                        ; implicit-def: $vgpr0_vgpr1
.LBB93_59:
	s_and_not1_saveexec_b32 s1, s1
	s_cbranch_execz .LBB93_61
; %bb.60:
	v_div_scale_f32 v2, null, v0, v0, v1
	v_div_scale_f32 v5, vcc_lo, v1, v0, v1
	s_delay_alu instid0(VALU_DEP_2) | instskip(SKIP_1) | instid1(TRANS32_DEP_1)
	v_rcp_f32_e32 v3, v2
	v_nop
	v_fma_f32 v4, -v2, v3, 1.0
	s_delay_alu instid0(VALU_DEP_1) | instskip(NEXT) | instid1(VALU_DEP_1)
	v_fmac_f32_e32 v3, v4, v3
	v_mul_f32_e32 v4, v5, v3
	s_delay_alu instid0(VALU_DEP_1) | instskip(NEXT) | instid1(VALU_DEP_1)
	v_fma_f32 v6, -v2, v4, v5
	v_fmac_f32_e32 v4, v6, v3
	s_delay_alu instid0(VALU_DEP_1) | instskip(NEXT) | instid1(VALU_DEP_1)
	v_fma_f32 v2, -v2, v4, v5
	v_div_fmas_f32 v2, v2, v3, v4
	s_delay_alu instid0(VALU_DEP_1) | instskip(NEXT) | instid1(VALU_DEP_1)
	v_div_fixup_f32 v3, v2, v0, v1
	v_fmac_f32_e32 v0, v1, v3
	s_delay_alu instid0(VALU_DEP_1) | instskip(NEXT) | instid1(VALU_DEP_1)
	v_div_scale_f32 v1, null, v0, v0, 1.0
	v_rcp_f32_e32 v2, v1
	v_nop
	s_delay_alu instid0(TRANS32_DEP_1) | instskip(NEXT) | instid1(VALU_DEP_1)
	v_fma_f32 v4, -v1, v2, 1.0
	v_fmac_f32_e32 v2, v4, v2
	v_div_scale_f32 v4, vcc_lo, 1.0, v0, 1.0
	s_delay_alu instid0(VALU_DEP_1) | instskip(NEXT) | instid1(VALU_DEP_1)
	v_mul_f32_e32 v5, v4, v2
	v_fma_f32 v6, -v1, v5, v4
	s_delay_alu instid0(VALU_DEP_1) | instskip(NEXT) | instid1(VALU_DEP_1)
	v_fmac_f32_e32 v5, v6, v2
	v_fma_f32 v1, -v1, v5, v4
	s_delay_alu instid0(VALU_DEP_1) | instskip(NEXT) | instid1(VALU_DEP_1)
	v_div_fmas_f32 v1, v1, v2, v5
	v_div_fixup_f32 v2, v1, v0, 1.0
	s_delay_alu instid0(VALU_DEP_1)
	v_mul_f32_e64 v3, v3, -v2
.LBB93_61:
	s_or_b32 exec_lo, exec_lo, s1
	ds_store_b64 v37, v[2:3]
.LBB93_62:
	s_or_b32 exec_lo, exec_lo, s2
	s_wait_dscnt 0x0
	s_barrier_signal -1
	s_barrier_wait -1
	ds_load_b64 v[202:203], v37
	s_mov_b32 s1, exec_lo
	v_cmpx_lt_u32_e32 6, v36
	s_cbranch_execz .LBB93_64
; %bb.63:
	ds_load_2addr_b64 v[4:7], v40 offset0:7 offset1:8
	ds_load_2addr_b64 v[8:11], v40 offset0:9 offset1:10
	;; [unrolled: 1-line block ×3, first 2 shown]
	s_wait_dscnt 0x3
	v_pk_mul_f32 v[2:3], v[202:203], v[60:61] op_sel:[1,1] op_sel_hi:[0,1]
	ds_load_2addr_b64 v[18:21], v40 offset0:13 offset1:14
	ds_load_2addr_b64 v[22:25], v40 offset0:15 offset1:16
	v_pk_fma_f32 v[0:1], v[202:203], v[60:61], v[2:3] op_sel_hi:[1,0,1] neg_lo:[0,0,1] neg_hi:[0,0,1]
	v_pk_fma_f32 v[2:3], v[202:203], v[60:61], v[2:3] op_sel_hi:[1,0,1]
	s_delay_alu instid0(VALU_DEP_1) | instskip(SKIP_1) | instid1(VALU_DEP_2)
	v_dual_mov_b32 v60, v0 :: v_dual_mov_b32 v61, v3
	s_wait_dscnt 0x4
	v_pk_mul_f32 v[30:31], v[4:5], v[2:3] op_sel:[0,1]
	v_pk_mul_f32 v[34:35], v[6:7], v[2:3] op_sel:[0,1]
	s_wait_dscnt 0x3
	v_pk_mul_f32 v[50:51], v[8:9], v[2:3] op_sel:[0,1]
	v_dual_mov_b32 v52, v11 :: v_dual_mov_b32 v53, v10
	v_dual_mul_f32 v204, v11, v3 :: v_dual_mul_f32 v206, v11, v0
	s_wait_dscnt 0x2
	v_pk_mul_f32 v[208:209], v[12:13], v[2:3] op_sel:[0,1]
	v_pk_mul_f32 v[210:211], v[14:15], v[2:3] op_sel:[0,1]
	v_pk_fma_f32 v[212:213], v[4:5], v[0:1], v[30:31] op_sel:[0,0,1] op_sel_hi:[1,1,0] neg_lo:[0,0,1] neg_hi:[0,0,1]
	v_pk_fma_f32 v[4:5], v[4:5], v[0:1], v[30:31] op_sel:[0,0,1] op_sel_hi:[1,0,0]
	v_pk_fma_f32 v[30:31], v[6:7], v[0:1], v[34:35] op_sel:[0,0,1] op_sel_hi:[1,1,0] neg_lo:[0,0,1] neg_hi:[0,0,1]
	v_pk_fma_f32 v[6:7], v[6:7], v[0:1], v[34:35] op_sel:[0,0,1] op_sel_hi:[1,0,0]
	;; [unrolled: 2-line block ×3, first 2 shown]
	v_pk_fma_f32 v[50:51], v[52:53], v[60:61], v[206:207] op_sel_hi:[1,1,0]
	v_pk_fma_f32 v[52:53], v[12:13], v[0:1], v[208:209] op_sel:[0,0,1] op_sel_hi:[1,1,0] neg_lo:[0,0,1] neg_hi:[0,0,1]
	v_pk_fma_f32 v[12:13], v[12:13], v[0:1], v[208:209] op_sel:[0,0,1] op_sel_hi:[1,0,0]
	v_dual_mov_b32 v213, v5 :: v_dual_mov_b32 v31, v7
	v_pk_fma_f32 v[4:5], v[14:15], v[0:1], v[210:211] op_sel:[0,0,1] op_sel_hi:[1,0,0]
	v_pk_fma_f32 v[6:7], v[14:15], v[0:1], v[210:211] op_sel:[0,0,1] op_sel_hi:[1,1,0] neg_lo:[0,0,1] neg_hi:[0,0,1]
	v_pk_fma_f32 v[10:11], v[10:11], v[60:61], v[204:205] op_sel_hi:[1,1,0] neg_lo:[0,0,1] neg_hi:[0,0,1]
	v_dual_mov_b32 v53, v13 :: v_dual_mov_b32 v35, v9
	s_delay_alu instid0(VALU_DEP_4)
	v_dual_mov_b32 v11, v51 :: v_dual_mov_b32 v7, v5
	s_wait_dscnt 0x1
	v_pk_mul_f32 v[8:9], v[18:19], v[2:3] op_sel:[0,1]
	v_pk_add_f32 v[82:83], v[82:83], v[30:31] neg_lo:[0,1] neg_hi:[0,1]
	s_wait_dscnt 0x0
	v_pk_mul_f32 v[30:31], v[24:25], v[2:3] op_sel:[0,1]
	v_pk_add_f32 v[28:29], v[28:29], v[10:11] neg_lo:[0,1] neg_hi:[0,1]
	v_pk_add_f32 v[48:49], v[48:49], v[6:7] neg_lo:[0,1] neg_hi:[0,1]
	ds_load_2addr_b64 v[4:7], v40 offset0:17 offset1:18
	v_pk_fma_f32 v[12:13], v[18:19], v[0:1], v[8:9] op_sel:[0,0,1] op_sel_hi:[1,0,0]
	v_pk_fma_f32 v[14:15], v[18:19], v[0:1], v[8:9] op_sel:[0,0,1] op_sel_hi:[1,1,0] neg_lo:[0,0,1] neg_hi:[0,0,1]
	ds_load_2addr_b64 v[8:11], v40 offset0:19 offset1:20
	v_pk_mul_f32 v[18:19], v[20:21], v[2:3] op_sel:[0,1]
	v_dual_mul_f32 v12, v23, v0 :: v_dual_mov_b32 v15, v13
	v_pk_add_f32 v[80:81], v[80:81], v[34:35] neg_lo:[0,1] neg_hi:[0,1]
	v_pk_add_f32 v[26:27], v[26:27], v[52:53] neg_lo:[0,1] neg_hi:[0,1]
	s_delay_alu instid0(VALU_DEP_4) | instskip(NEXT) | instid1(VALU_DEP_4)
	v_pk_fma_f32 v[34:35], v[20:21], v[0:1], v[18:19] op_sel:[0,0,1] op_sel_hi:[1,0,0]
	v_pk_fma_f32 v[12:13], v[22:23], v[60:61], v[12:13] op_sel:[1,0,0] op_sel_hi:[0,1,0]
	v_mul_f32_e32 v34, v23, v3
	v_pk_fma_f32 v[18:19], v[20:21], v[0:1], v[18:19] op_sel:[0,0,1] op_sel_hi:[1,1,0] neg_lo:[0,0,1] neg_hi:[0,0,1]
	v_pk_fma_f32 v[20:21], v[24:25], v[0:1], v[30:31] op_sel:[0,0,1] op_sel_hi:[1,0,0]
	v_mov_b32_e32 v19, v35
	v_pk_add_f32 v[44:45], v[44:45], v[14:15] neg_lo:[0,1] neg_hi:[0,1]
	v_pk_fma_f32 v[22:23], v[22:23], v[60:61], v[34:35] op_sel_hi:[1,1,0] neg_lo:[0,0,1] neg_hi:[0,0,1]
	v_mov_b32_e32 v23, v13
	v_pk_fma_f32 v[12:13], v[24:25], v[0:1], v[30:31] op_sel:[0,0,1] op_sel_hi:[1,1,0] neg_lo:[0,0,1] neg_hi:[0,0,1]
	v_mov_b32_e32 v13, v21
	v_pk_add_f32 v[46:47], v[46:47], v[18:19] neg_lo:[0,1] neg_hi:[0,1]
	s_wait_dscnt 0x1
	v_pk_mul_f32 v[18:19], v[4:5], v[2:3] op_sel:[0,1]
	v_pk_add_f32 v[42:43], v[42:43], v[22:23] neg_lo:[0,1] neg_hi:[0,1]
	s_wait_dscnt 0x0
	v_pk_mul_f32 v[24:25], v[8:9], v[2:3] op_sel:[0,1]
	v_pk_add_f32 v[70:71], v[70:71], v[12:13] neg_lo:[0,1] neg_hi:[0,1]
	ds_load_2addr_b64 v[12:15], v40 offset0:21 offset1:22
	v_pk_fma_f32 v[30:31], v[4:5], v[0:1], v[18:19] op_sel:[0,0,1] op_sel_hi:[1,0,0]
	v_pk_fma_f32 v[4:5], v[4:5], v[0:1], v[18:19] op_sel:[0,0,1] op_sel_hi:[1,1,0] neg_lo:[0,0,1] neg_hi:[0,0,1]
	ds_load_2addr_b64 v[18:21], v40 offset0:23 offset1:24
	v_pk_mul_f32 v[22:23], v[6:7], v[2:3] op_sel:[0,1]
	v_pk_fma_f32 v[50:51], v[8:9], v[0:1], v[24:25] op_sel:[0,0,1] op_sel_hi:[1,0,0]
	v_pk_fma_f32 v[8:9], v[8:9], v[0:1], v[24:25] op_sel:[0,0,1] op_sel_hi:[1,1,0] neg_lo:[0,0,1] neg_hi:[0,0,1]
	v_mul_f32_e32 v24, v11, v0
	v_pk_add_f32 v[58:59], v[58:59], v[212:213] neg_lo:[0,1] neg_hi:[0,1]
	v_pk_fma_f32 v[34:35], v[6:7], v[0:1], v[22:23] op_sel:[0,0,1] op_sel_hi:[1,0,0]
	v_pk_fma_f32 v[6:7], v[6:7], v[0:1], v[22:23] op_sel:[0,0,1] op_sel_hi:[1,1,0] neg_lo:[0,0,1] neg_hi:[0,0,1]
	v_dual_mov_b32 v9, v51 :: v_dual_mov_b32 v22, v11
	v_dual_mov_b32 v23, v10 :: v_dual_mov_b32 v5, v31
	s_delay_alu instid0(VALU_DEP_4) | instskip(NEXT) | instid1(VALU_DEP_3)
	v_mov_b32_e32 v7, v35
	v_pk_add_f32 v[64:65], v[64:65], v[8:9] neg_lo:[0,1] neg_hi:[0,1]
	s_delay_alu instid0(VALU_DEP_3)
	v_pk_fma_f32 v[8:9], v[22:23], v[60:61], v[24:25] op_sel_hi:[1,1,0]
	v_mul_f32_e32 v30, v11, v3
	v_pk_add_f32 v[66:67], v[66:67], v[4:5] neg_lo:[0,1] neg_hi:[0,1]
	v_pk_add_f32 v[68:69], v[68:69], v[6:7] neg_lo:[0,1] neg_hi:[0,1]
	s_wait_dscnt 0x1
	v_pk_mul_f32 v[24:25], v[12:13], v[2:3] op_sel:[0,1]
	ds_load_2addr_b64 v[4:7], v40 offset0:25 offset1:26
	v_pk_fma_f32 v[22:23], v[10:11], v[60:61], v[30:31] op_sel_hi:[1,1,0] neg_lo:[0,0,1] neg_hi:[0,0,1]
	v_pk_mul_f32 v[30:31], v[14:15], v[2:3] op_sel:[0,1]
	v_mov_b32_e32 v23, v9
	ds_load_2addr_b64 v[8:11], v40 offset0:27 offset1:28
	s_wait_dscnt 0x2
	v_pk_mul_f32 v[34:35], v[18:19], v[2:3] op_sel:[0,1]
	v_pk_fma_f32 v[50:51], v[12:13], v[0:1], v[24:25] op_sel:[0,0,1] op_sel_hi:[1,0,0]
	v_pk_fma_f32 v[52:53], v[14:15], v[0:1], v[30:31] op_sel:[0,0,1] op_sel_hi:[1,0,0]
	v_pk_fma_f32 v[12:13], v[12:13], v[0:1], v[24:25] op_sel:[0,0,1] op_sel_hi:[1,1,0] neg_lo:[0,0,1] neg_hi:[0,0,1]
	v_pk_fma_f32 v[14:15], v[14:15], v[0:1], v[30:31] op_sel:[0,0,1] op_sel_hi:[1,1,0] neg_lo:[0,0,1] neg_hi:[0,0,1]
	v_pk_fma_f32 v[24:25], v[18:19], v[0:1], v[34:35] op_sel:[0,0,1] op_sel_hi:[1,0,0]
	s_delay_alu instid0(VALU_DEP_4) | instskip(SKIP_2) | instid1(VALU_DEP_4)
	v_dual_mov_b32 v13, v51 :: v_dual_mov_b32 v15, v53
	v_pk_fma_f32 v[18:19], v[18:19], v[0:1], v[34:35] op_sel:[0,0,1] op_sel_hi:[1,1,0] neg_lo:[0,0,1] neg_hi:[0,0,1]
	v_pk_add_f32 v[94:95], v[94:95], v[22:23] neg_lo:[0,1] neg_hi:[0,1]
	v_mov_b32_e32 v19, v25
	v_pk_mul_f32 v[24:25], v[20:21], v[2:3] op_sel:[0,1]
	v_pk_add_f32 v[90:91], v[90:91], v[12:13] neg_lo:[0,1] neg_hi:[0,1]
	v_pk_add_f32 v[92:93], v[92:93], v[14:15] neg_lo:[0,1] neg_hi:[0,1]
	ds_load_2addr_b64 v[12:15], v40 offset0:29 offset1:30
	v_pk_add_f32 v[88:89], v[88:89], v[18:19] neg_lo:[0,1] neg_hi:[0,1]
	v_pk_fma_f32 v[18:19], v[20:21], v[0:1], v[24:25] op_sel:[0,0,1] op_sel_hi:[1,1,0] neg_lo:[0,0,1] neg_hi:[0,0,1]
	v_pk_fma_f32 v[20:21], v[20:21], v[0:1], v[24:25] op_sel:[0,0,1] op_sel_hi:[1,0,0]
	s_wait_dscnt 0x2
	v_dual_mul_f32 v20, v5, v0 :: v_dual_mul_f32 v24, v5, v3
	v_pk_mul_f32 v[22:23], v[6:7], v[2:3] op_sel:[0,1]
	s_wait_dscnt 0x1
	v_pk_mul_f32 v[30:31], v[8:9], v[2:3] op_sel:[0,1]
	v_mov_b32_e32 v19, v21
	v_pk_fma_f32 v[34:35], v[4:5], v[60:61], v[20:21] op_sel:[1,0,0] op_sel_hi:[0,1,0]
	v_pk_fma_f32 v[24:25], v[4:5], v[60:61], v[24:25] op_sel_hi:[1,1,0] neg_lo:[0,0,1] neg_hi:[0,0,1]
	v_pk_fma_f32 v[20:21], v[6:7], v[0:1], v[22:23] op_sel:[0,0,1] op_sel_hi:[1,0,0]
	v_pk_fma_f32 v[4:5], v[8:9], v[0:1], v[30:31] op_sel:[0,0,1] op_sel_hi:[1,0,0]
	v_pk_fma_f32 v[22:23], v[6:7], v[0:1], v[22:23] op_sel:[0,0,1] op_sel_hi:[1,1,0] neg_lo:[0,0,1] neg_hi:[0,0,1]
	v_pk_fma_f32 v[8:9], v[8:9], v[0:1], v[30:31] op_sel:[0,0,1] op_sel_hi:[1,1,0] neg_lo:[0,0,1] neg_hi:[0,0,1]
	s_delay_alu instid0(VALU_DEP_4) | instskip(NEXT) | instid1(VALU_DEP_4)
	v_dual_mov_b32 v25, v35 :: v_dual_mov_b32 v23, v21
	v_mov_b32_e32 v9, v5
	ds_load_2addr_b64 v[4:7], v40 offset0:31 offset1:32
	v_pk_mul_f32 v[30:31], v[10:11], v[2:3] op_sel:[0,1]
	v_pk_add_f32 v[112:113], v[112:113], v[18:19] neg_lo:[0,1] neg_hi:[0,1]
	v_pk_add_f32 v[110:111], v[110:111], v[22:23] neg_lo:[0,1] neg_hi:[0,1]
	s_wait_dscnt 0x1
	v_pk_mul_f32 v[22:23], v[12:13], v[2:3] op_sel:[0,1]
	v_pk_add_f32 v[108:109], v[108:109], v[24:25] neg_lo:[0,1] neg_hi:[0,1]
	ds_load_2addr_b64 v[18:21], v40 offset0:33 offset1:34
	v_mov_b32_e32 v24, v15
	v_pk_add_f32 v[106:107], v[106:107], v[8:9] neg_lo:[0,1] neg_hi:[0,1]
	v_pk_fma_f32 v[8:9], v[10:11], v[0:1], v[30:31] op_sel:[0,0,1] op_sel_hi:[1,0,0]
	v_dual_mov_b32 v25, v14 :: v_dual_mul_f32 v8, v15, v0
	v_pk_fma_f32 v[30:31], v[10:11], v[0:1], v[30:31] op_sel:[0,0,1] op_sel_hi:[1,1,0] neg_lo:[0,0,1] neg_hi:[0,0,1]
	v_pk_fma_f32 v[10:11], v[12:13], v[0:1], v[22:23] op_sel:[0,0,1] op_sel_hi:[1,0,0]
	s_delay_alu instid0(VALU_DEP_4) | instskip(NEXT) | instid1(VALU_DEP_4)
	v_dual_mul_f32 v10, v15, v3 :: v_dual_mov_b32 v31, v9
	v_pk_fma_f32 v[8:9], v[24:25], v[60:61], v[8:9] op_sel_hi:[1,1,0]
	v_pk_fma_f32 v[12:13], v[12:13], v[0:1], v[22:23] op_sel:[0,0,1] op_sel_hi:[1,1,0] neg_lo:[0,0,1] neg_hi:[0,0,1]
	s_delay_alu instid0(VALU_DEP_4) | instskip(NEXT) | instid1(VALU_DEP_4)
	v_mov_b32_e32 v13, v11
	v_pk_fma_f32 v[14:15], v[14:15], v[60:61], v[10:11] op_sel_hi:[1,1,0] neg_lo:[0,0,1] neg_hi:[0,0,1]
	s_wait_dscnt 0x1
	v_pk_mul_f32 v[22:23], v[4:5], v[2:3] op_sel:[0,1]
	v_mov_b32_e32 v15, v9
	ds_load_2addr_b64 v[8:11], v40 offset0:35 offset1:36
	v_pk_add_f32 v[128:129], v[128:129], v[30:31] neg_lo:[0,1] neg_hi:[0,1]
	v_pk_add_f32 v[124:125], v[124:125], v[12:13] neg_lo:[0,1] neg_hi:[0,1]
	v_pk_fma_f32 v[12:13], v[4:5], v[0:1], v[22:23] op_sel:[0,0,1] op_sel_hi:[1,0,0]
	v_pk_mul_f32 v[24:25], v[6:7], v[2:3] op_sel:[0,1]
	s_wait_dscnt 0x1
	v_pk_mul_f32 v[30:31], v[18:19], v[2:3] op_sel:[0,1]
	v_pk_fma_f32 v[4:5], v[4:5], v[0:1], v[22:23] op_sel:[0,0,1] op_sel_hi:[1,1,0] neg_lo:[0,0,1] neg_hi:[0,0,1]
	v_pk_add_f32 v[126:127], v[126:127], v[14:15] neg_lo:[0,1] neg_hi:[0,1]
	v_pk_fma_f32 v[22:23], v[6:7], v[0:1], v[24:25] op_sel:[0,0,1] op_sel_hi:[1,0,0]
	v_mov_b32_e32 v5, v13
	v_pk_fma_f32 v[34:35], v[18:19], v[0:1], v[30:31] op_sel:[0,0,1] op_sel_hi:[1,0,0]
	v_pk_fma_f32 v[6:7], v[6:7], v[0:1], v[24:25] op_sel:[0,0,1] op_sel_hi:[1,1,0] neg_lo:[0,0,1] neg_hi:[0,0,1]
	v_pk_mul_f32 v[24:25], v[20:21], v[2:3] op_sel:[0,1]
	ds_load_2addr_b64 v[12:15], v40 offset0:37 offset1:38
	v_pk_fma_f32 v[18:19], v[18:19], v[0:1], v[30:31] op_sel:[0,0,1] op_sel_hi:[1,1,0] neg_lo:[0,0,1] neg_hi:[0,0,1]
	v_dual_mov_b32 v7, v23 :: v_dual_mov_b32 v19, v35
	v_pk_add_f32 v[122:123], v[122:123], v[4:5] neg_lo:[0,1] neg_hi:[0,1]
	v_pk_fma_f32 v[4:5], v[20:21], v[0:1], v[24:25] op_sel:[0,0,1] op_sel_hi:[1,0,0]
	s_wait_dscnt 0x1
	v_mul_f32_e32 v4, v9, v0
	v_pk_add_f32 v[144:145], v[144:145], v[6:7] neg_lo:[0,1] neg_hi:[0,1]
	v_pk_add_f32 v[140:141], v[140:141], v[18:19] neg_lo:[0,1] neg_hi:[0,1]
	v_pk_fma_f32 v[18:19], v[20:21], v[0:1], v[24:25] op_sel:[0,0,1] op_sel_hi:[1,1,0] neg_lo:[0,0,1] neg_hi:[0,0,1]
	v_mul_f32_e32 v20, v9, v3
	v_pk_fma_f32 v[22:23], v[8:9], v[60:61], v[4:5] op_sel:[1,0,0] op_sel_hi:[0,1,0]
	v_mov_b32_e32 v19, v5
	ds_load_2addr_b64 v[4:7], v40 offset0:39 offset1:40
	v_pk_mul_f32 v[24:25], v[10:11], v[2:3] op_sel:[0,1]
	v_pk_fma_f32 v[8:9], v[8:9], v[60:61], v[20:21] op_sel_hi:[1,1,0] neg_lo:[0,0,1] neg_hi:[0,0,1]
	v_mov_b32_e32 v9, v23
	v_pk_add_f32 v[142:143], v[142:143], v[18:19] neg_lo:[0,1] neg_hi:[0,1]
	ds_load_2addr_b64 v[18:21], v40 offset0:41 offset1:42
	v_pk_fma_f32 v[22:23], v[10:11], v[0:1], v[24:25] op_sel:[0,0,1] op_sel_hi:[1,0,0]
	s_wait_dscnt 0x2
	v_pk_mul_f32 v[30:31], v[12:13], v[2:3] op_sel:[0,1]
	v_pk_mul_f32 v[34:35], v[14:15], v[2:3] op_sel:[0,1]
	v_pk_fma_f32 v[10:11], v[10:11], v[0:1], v[24:25] op_sel:[0,0,1] op_sel_hi:[1,1,0] neg_lo:[0,0,1] neg_hi:[0,0,1]
	v_pk_add_f32 v[138:139], v[138:139], v[8:9] neg_lo:[0,1] neg_hi:[0,1]
	v_mov_b32_e32 v11, v23
	v_pk_fma_f32 v[50:51], v[12:13], v[0:1], v[30:31] op_sel:[0,0,1] op_sel_hi:[1,0,0]
	v_pk_fma_f32 v[22:23], v[14:15], v[0:1], v[34:35] op_sel:[0,0,1] op_sel_hi:[1,0,0]
	v_pk_fma_f32 v[12:13], v[12:13], v[0:1], v[30:31] op_sel:[0,0,1] op_sel_hi:[1,1,0] neg_lo:[0,0,1] neg_hi:[0,0,1]
	v_pk_fma_f32 v[14:15], v[14:15], v[0:1], v[34:35] op_sel:[0,0,1] op_sel_hi:[1,1,0] neg_lo:[0,0,1] neg_hi:[0,0,1]
	v_pk_add_f32 v[162:163], v[162:163], v[10:11] neg_lo:[0,1] neg_hi:[0,1]
	ds_load_2addr_b64 v[8:11], v40 offset0:43 offset1:44
	v_dual_mov_b32 v13, v51 :: v_dual_mov_b32 v15, v23
	s_wait_dscnt 0x2
	v_pk_mul_f32 v[22:23], v[4:5], v[2:3] op_sel:[0,1]
	v_dual_mov_b32 v24, v7 :: v_dual_mov_b32 v25, v6
	v_mul_f32_e32 v30, v7, v0
	v_pk_add_f32 v[158:159], v[158:159], v[12:13] neg_lo:[0,1] neg_hi:[0,1]
	s_delay_alu instid0(VALU_DEP_4)
	v_pk_fma_f32 v[34:35], v[4:5], v[0:1], v[22:23] op_sel:[0,0,1] op_sel_hi:[1,0,0]
	v_mul_f32_e32 v34, v7, v3
	v_pk_add_f32 v[160:161], v[160:161], v[14:15] neg_lo:[0,1] neg_hi:[0,1]
	s_wait_dscnt 0x1
	v_pk_mul_f32 v[50:51], v[18:19], v[2:3] op_sel:[0,1]
	ds_load_2addr_b64 v[12:15], v40 offset0:45 offset1:46
	v_pk_fma_f32 v[24:25], v[24:25], v[60:61], v[30:31] op_sel_hi:[1,1,0]
	v_pk_fma_f32 v[4:5], v[4:5], v[0:1], v[22:23] op_sel:[0,0,1] op_sel_hi:[1,1,0] neg_lo:[0,0,1] neg_hi:[0,0,1]
	v_pk_fma_f32 v[6:7], v[6:7], v[60:61], v[34:35] op_sel_hi:[1,1,0] neg_lo:[0,0,1] neg_hi:[0,0,1]
	v_mov_b32_e32 v5, v35
	v_pk_fma_f32 v[22:23], v[18:19], v[0:1], v[50:51] op_sel:[0,0,1] op_sel_hi:[1,0,0]
	v_mov_b32_e32 v7, v25
	v_pk_mul_f32 v[24:25], v[20:21], v[2:3] op_sel:[0,1]
	v_pk_fma_f32 v[18:19], v[18:19], v[0:1], v[50:51] op_sel:[0,0,1] op_sel_hi:[1,1,0] neg_lo:[0,0,1] neg_hi:[0,0,1]
	v_pk_add_f32 v[156:157], v[156:157], v[4:5] neg_lo:[0,1] neg_hi:[0,1]
	v_mov_b32_e32 v19, v23
	s_wait_dscnt 0x1
	v_pk_mul_f32 v[4:5], v[8:9], v[2:3] op_sel:[0,1]
	v_pk_fma_f32 v[22:23], v[20:21], v[0:1], v[24:25] op_sel:[0,0,1] op_sel_hi:[1,0,0]
	v_pk_add_f32 v[182:183], v[182:183], v[6:7] neg_lo:[0,1] neg_hi:[0,1]
	v_pk_fma_f32 v[6:7], v[20:21], v[0:1], v[24:25] op_sel:[0,0,1] op_sel_hi:[1,1,0] neg_lo:[0,0,1] neg_hi:[0,0,1]
	v_pk_mul_f32 v[20:21], v[10:11], v[2:3] op_sel:[0,1]
	s_delay_alu instid0(VALU_DEP_4)
	v_mov_b32_e32 v7, v23
	v_pk_add_f32 v[176:177], v[176:177], v[18:19] neg_lo:[0,1] neg_hi:[0,1]
	v_pk_fma_f32 v[18:19], v[8:9], v[0:1], v[4:5] op_sel:[0,0,1] op_sel_hi:[1,0,0]
	v_pk_fma_f32 v[4:5], v[8:9], v[0:1], v[4:5] op_sel:[0,0,1] op_sel_hi:[1,1,0] neg_lo:[0,0,1] neg_hi:[0,0,1]
	s_wait_dscnt 0x0
	v_mul_f32_e32 v8, v13, v0
	v_pk_fma_f32 v[22:23], v[10:11], v[0:1], v[20:21] op_sel:[0,0,1] op_sel_hi:[1,0,0]
	v_pk_fma_f32 v[10:11], v[10:11], v[0:1], v[20:21] op_sel:[0,0,1] op_sel_hi:[1,1,0] neg_lo:[0,0,1] neg_hi:[0,0,1]
	v_mov_b32_e32 v5, v19
	v_pk_mul_f32 v[18:19], v[14:15], v[2:3] op_sel:[0,1]
	s_delay_alu instid0(VALU_DEP_4) | instskip(SKIP_2) | instid1(VALU_DEP_4)
	v_dual_mul_f32 v2, v13, v3 :: v_dual_mov_b32 v11, v23
	v_pk_fma_f32 v[8:9], v[12:13], v[60:61], v[8:9] op_sel:[1,0,0] op_sel_hi:[0,1,0]
	v_pk_add_f32 v[180:181], v[180:181], v[6:7] neg_lo:[0,1] neg_hi:[0,1]
	v_pk_fma_f32 v[20:21], v[14:15], v[0:1], v[18:19] op_sel:[0,0,1] op_sel_hi:[1,0,0]
	s_delay_alu instid0(VALU_DEP_4)
	v_pk_fma_f32 v[2:3], v[12:13], v[60:61], v[2:3] op_sel_hi:[1,1,0] neg_lo:[0,0,1] neg_hi:[0,0,1]
	v_pk_fma_f32 v[0:1], v[14:15], v[0:1], v[18:19] op_sel:[0,0,1] op_sel_hi:[1,1,0] neg_lo:[0,0,1] neg_hi:[0,0,1]
	v_mov_b32_e32 v3, v9
	v_pk_add_f32 v[174:175], v[174:175], v[4:5] neg_lo:[0,1] neg_hi:[0,1]
	v_mov_b32_e32 v1, v21
	v_pk_add_f32 v[178:179], v[178:179], v[10:11] neg_lo:[0,1] neg_hi:[0,1]
	s_delay_alu instid0(VALU_DEP_4) | instskip(NEXT) | instid1(VALU_DEP_3)
	v_pk_add_f32 v[186:187], v[186:187], v[2:3] neg_lo:[0,1] neg_hi:[0,1]
	v_pk_add_f32 v[188:189], v[188:189], v[0:1] neg_lo:[0,1] neg_hi:[0,1]
.LBB93_64:
	s_or_b32 exec_lo, exec_lo, s1
	s_delay_alu instid0(SALU_CYCLE_1)
	s_mov_b32 s2, exec_lo
	s_wait_dscnt 0x0
	s_barrier_signal -1
	s_barrier_wait -1
	v_cmpx_eq_u32_e32 7, v36
	s_cbranch_execz .LBB93_71
; %bb.65:
	v_dual_mov_b32 v0, v82 :: v_dual_mov_b32 v1, v83
	v_dual_mov_b32 v2, v80 :: v_dual_mov_b32 v3, v81
	;; [unrolled: 1-line block ×4, first 2 shown]
	ds_store_b64 v37, v[58:59]
	ds_store_2addr_b64 v40, v[0:1], v[2:3] offset0:8 offset1:9
	ds_store_2addr_b64 v40, v[4:5], v[6:7] offset0:10 offset1:11
	v_dual_mov_b32 v0, v48 :: v_dual_mov_b32 v1, v49
	v_dual_mov_b32 v2, v44 :: v_dual_mov_b32 v3, v45
	;; [unrolled: 1-line block ×12, first 2 shown]
	ds_store_2addr_b64 v40, v[0:1], v[2:3] offset0:12 offset1:13
	ds_store_2addr_b64 v40, v[4:5], v[6:7] offset0:14 offset1:15
	;; [unrolled: 1-line block ×6, first 2 shown]
	v_dual_mov_b32 v0, v112 :: v_dual_mov_b32 v1, v113
	v_dual_mov_b32 v2, v108 :: v_dual_mov_b32 v3, v109
	v_dual_mov_b32 v4, v110 :: v_dual_mov_b32 v5, v111
	v_dual_mov_b32 v6, v106 :: v_dual_mov_b32 v7, v107
	v_dual_mov_b32 v8, v128 :: v_dual_mov_b32 v9, v129
	v_dual_mov_b32 v10, v124 :: v_dual_mov_b32 v11, v125
	v_dual_mov_b32 v12, v126 :: v_dual_mov_b32 v13, v127
	v_dual_mov_b32 v14, v122 :: v_dual_mov_b32 v15, v123
	v_dual_mov_b32 v18, v144 :: v_dual_mov_b32 v19, v145
	v_dual_mov_b32 v20, v140 :: v_dual_mov_b32 v21, v141
	v_dual_mov_b32 v22, v142 :: v_dual_mov_b32 v23, v143
	v_dual_mov_b32 v24, v138 :: v_dual_mov_b32 v25, v139
	ds_store_2addr_b64 v40, v[0:1], v[2:3] offset0:24 offset1:25
	ds_store_2addr_b64 v40, v[4:5], v[6:7] offset0:26 offset1:27
	;; [unrolled: 1-line block ×6, first 2 shown]
	v_dual_mov_b32 v0, v162 :: v_dual_mov_b32 v1, v163
	v_dual_mov_b32 v2, v158 :: v_dual_mov_b32 v3, v159
	;; [unrolled: 1-line block ×10, first 2 shown]
	ds_store_2addr_b64 v40, v[0:1], v[2:3] offset0:36 offset1:37
	ds_store_2addr_b64 v40, v[4:5], v[6:7] offset0:38 offset1:39
	;; [unrolled: 1-line block ×5, first 2 shown]
	ds_store_b64 v40, v[188:189] offset:368
	ds_load_b64 v[0:1], v37
	s_wait_dscnt 0x0
	v_cmp_neq_f32_e32 vcc_lo, 0, v0
	v_cmp_neq_f32_e64 s1, 0, v1
	s_or_b32 s1, vcc_lo, s1
	s_delay_alu instid0(SALU_CYCLE_1)
	s_and_b32 exec_lo, exec_lo, s1
	s_cbranch_execz .LBB93_71
; %bb.66:
	v_cmp_ngt_f32_e64 s1, |v0|, |v1|
                                        ; implicit-def: $vgpr2_vgpr3
	s_and_saveexec_b32 s4, s1
	s_delay_alu instid0(SALU_CYCLE_1)
	s_xor_b32 s1, exec_lo, s4
	s_cbranch_execz .LBB93_68
; %bb.67:
	v_div_scale_f32 v2, null, v1, v1, v0
	v_div_scale_f32 v5, vcc_lo, v0, v1, v0
	s_delay_alu instid0(VALU_DEP_2) | instskip(SKIP_1) | instid1(TRANS32_DEP_1)
	v_rcp_f32_e32 v3, v2
	v_nop
	v_fma_f32 v4, -v2, v3, 1.0
	s_delay_alu instid0(VALU_DEP_1) | instskip(NEXT) | instid1(VALU_DEP_1)
	v_fmac_f32_e32 v3, v4, v3
	v_mul_f32_e32 v4, v5, v3
	s_delay_alu instid0(VALU_DEP_1) | instskip(NEXT) | instid1(VALU_DEP_1)
	v_fma_f32 v6, -v2, v4, v5
	v_fmac_f32_e32 v4, v6, v3
	s_delay_alu instid0(VALU_DEP_1) | instskip(NEXT) | instid1(VALU_DEP_1)
	v_fma_f32 v2, -v2, v4, v5
	v_div_fmas_f32 v2, v2, v3, v4
	s_delay_alu instid0(VALU_DEP_1) | instskip(NEXT) | instid1(VALU_DEP_1)
	v_div_fixup_f32 v2, v2, v1, v0
	v_fmac_f32_e32 v1, v0, v2
	s_delay_alu instid0(VALU_DEP_1) | instskip(SKIP_1) | instid1(VALU_DEP_2)
	v_div_scale_f32 v0, null, v1, v1, 1.0
	v_div_scale_f32 v5, vcc_lo, 1.0, v1, 1.0
	v_rcp_f32_e32 v3, v0
	v_nop
	s_delay_alu instid0(TRANS32_DEP_1) | instskip(NEXT) | instid1(VALU_DEP_1)
	v_fma_f32 v4, -v0, v3, 1.0
	v_fmac_f32_e32 v3, v4, v3
	s_delay_alu instid0(VALU_DEP_1) | instskip(NEXT) | instid1(VALU_DEP_1)
	v_mul_f32_e32 v4, v5, v3
	v_fma_f32 v6, -v0, v4, v5
	s_delay_alu instid0(VALU_DEP_1) | instskip(NEXT) | instid1(VALU_DEP_1)
	v_fmac_f32_e32 v4, v6, v3
	v_fma_f32 v0, -v0, v4, v5
	s_delay_alu instid0(VALU_DEP_1) | instskip(NEXT) | instid1(VALU_DEP_1)
	v_div_fmas_f32 v0, v0, v3, v4
	v_div_fixup_f32 v0, v0, v1, 1.0
	s_delay_alu instid0(VALU_DEP_1)
	v_mul_f32_e32 v2, v2, v0
	v_xor_b32_e32 v3, 0x80000000, v0
                                        ; implicit-def: $vgpr0_vgpr1
.LBB93_68:
	s_and_not1_saveexec_b32 s1, s1
	s_cbranch_execz .LBB93_70
; %bb.69:
	v_div_scale_f32 v2, null, v0, v0, v1
	v_div_scale_f32 v5, vcc_lo, v1, v0, v1
	s_delay_alu instid0(VALU_DEP_2) | instskip(SKIP_1) | instid1(TRANS32_DEP_1)
	v_rcp_f32_e32 v3, v2
	v_nop
	v_fma_f32 v4, -v2, v3, 1.0
	s_delay_alu instid0(VALU_DEP_1) | instskip(NEXT) | instid1(VALU_DEP_1)
	v_fmac_f32_e32 v3, v4, v3
	v_mul_f32_e32 v4, v5, v3
	s_delay_alu instid0(VALU_DEP_1) | instskip(NEXT) | instid1(VALU_DEP_1)
	v_fma_f32 v6, -v2, v4, v5
	v_fmac_f32_e32 v4, v6, v3
	s_delay_alu instid0(VALU_DEP_1) | instskip(NEXT) | instid1(VALU_DEP_1)
	v_fma_f32 v2, -v2, v4, v5
	v_div_fmas_f32 v2, v2, v3, v4
	s_delay_alu instid0(VALU_DEP_1) | instskip(NEXT) | instid1(VALU_DEP_1)
	v_div_fixup_f32 v3, v2, v0, v1
	v_fmac_f32_e32 v0, v1, v3
	s_delay_alu instid0(VALU_DEP_1) | instskip(NEXT) | instid1(VALU_DEP_1)
	v_div_scale_f32 v1, null, v0, v0, 1.0
	v_rcp_f32_e32 v2, v1
	v_nop
	s_delay_alu instid0(TRANS32_DEP_1) | instskip(NEXT) | instid1(VALU_DEP_1)
	v_fma_f32 v4, -v1, v2, 1.0
	v_fmac_f32_e32 v2, v4, v2
	v_div_scale_f32 v4, vcc_lo, 1.0, v0, 1.0
	s_delay_alu instid0(VALU_DEP_1) | instskip(NEXT) | instid1(VALU_DEP_1)
	v_mul_f32_e32 v5, v4, v2
	v_fma_f32 v6, -v1, v5, v4
	s_delay_alu instid0(VALU_DEP_1) | instskip(NEXT) | instid1(VALU_DEP_1)
	v_fmac_f32_e32 v5, v6, v2
	v_fma_f32 v1, -v1, v5, v4
	s_delay_alu instid0(VALU_DEP_1) | instskip(NEXT) | instid1(VALU_DEP_1)
	v_div_fmas_f32 v1, v1, v2, v5
	v_div_fixup_f32 v2, v1, v0, 1.0
	s_delay_alu instid0(VALU_DEP_1)
	v_mul_f32_e64 v3, v3, -v2
.LBB93_70:
	s_or_b32 exec_lo, exec_lo, s1
	ds_store_b64 v37, v[2:3]
.LBB93_71:
	s_or_b32 exec_lo, exec_lo, s2
	s_wait_dscnt 0x0
	s_barrier_signal -1
	s_barrier_wait -1
	ds_load_b64 v[204:205], v37
	s_mov_b32 s1, exec_lo
	v_cmpx_lt_u32_e32 7, v36
	s_cbranch_execz .LBB93_73
; %bb.72:
	ds_load_2addr_b64 v[4:7], v40 offset0:8 offset1:9
	ds_load_2addr_b64 v[8:11], v40 offset0:10 offset1:11
	;; [unrolled: 1-line block ×3, first 2 shown]
	s_wait_dscnt 0x3
	v_pk_mul_f32 v[2:3], v[204:205], v[58:59] op_sel:[1,1] op_sel_hi:[0,1]
	ds_load_2addr_b64 v[18:21], v40 offset0:14 offset1:15
	ds_load_2addr_b64 v[22:25], v40 offset0:16 offset1:17
	v_pk_fma_f32 v[0:1], v[204:205], v[58:59], v[2:3] op_sel_hi:[1,0,1] neg_lo:[0,0,1] neg_hi:[0,0,1]
	v_pk_fma_f32 v[2:3], v[204:205], v[58:59], v[2:3] op_sel_hi:[1,0,1]
	s_delay_alu instid0(VALU_DEP_1) | instskip(SKIP_1) | instid1(VALU_DEP_2)
	v_dual_mov_b32 v58, v0 :: v_dual_mov_b32 v59, v3
	s_wait_dscnt 0x4
	v_pk_mul_f32 v[30:31], v[4:5], v[2:3] op_sel:[0,1]
	v_pk_mul_f32 v[34:35], v[6:7], v[2:3] op_sel:[0,1]
	s_wait_dscnt 0x3
	v_pk_mul_f32 v[50:51], v[8:9], v[2:3] op_sel:[0,1]
	v_dual_mov_b32 v52, v11 :: v_dual_mov_b32 v53, v10
	v_dual_mul_f32 v206, v11, v3 :: v_dual_mul_f32 v208, v11, v0
	v_pk_fma_f32 v[214:215], v[4:5], v[0:1], v[30:31] op_sel:[0,0,1] op_sel_hi:[1,1,0] neg_lo:[0,0,1] neg_hi:[0,0,1]
	v_pk_fma_f32 v[4:5], v[4:5], v[0:1], v[30:31] op_sel:[0,0,1] op_sel_hi:[1,0,0]
	v_pk_fma_f32 v[30:31], v[6:7], v[0:1], v[34:35] op_sel:[0,0,1] op_sel_hi:[1,1,0] neg_lo:[0,0,1] neg_hi:[0,0,1]
	v_pk_fma_f32 v[6:7], v[6:7], v[0:1], v[34:35] op_sel:[0,0,1] op_sel_hi:[1,0,0]
	;; [unrolled: 2-line block ×3, first 2 shown]
	v_pk_fma_f32 v[50:51], v[52:53], v[58:59], v[208:209] op_sel_hi:[1,1,0]
	s_wait_dscnt 0x2
	v_pk_mul_f32 v[210:211], v[12:13], v[2:3] op_sel:[0,1]
	v_dual_mov_b32 v215, v5 :: v_dual_mov_b32 v31, v7
	v_pk_fma_f32 v[10:11], v[10:11], v[58:59], v[206:207] op_sel_hi:[1,1,0] neg_lo:[0,0,1] neg_hi:[0,0,1]
	v_dual_mov_b32 v35, v9 :: v_dual_mov_b32 v11, v51
	v_pk_mul_f32 v[212:213], v[14:15], v[2:3] op_sel:[0,1]
	v_pk_fma_f32 v[8:9], v[12:13], v[0:1], v[210:211] op_sel:[0,0,1] op_sel_hi:[1,0,0]
	ds_load_2addr_b64 v[4:7], v40 offset0:18 offset1:19
	v_pk_add_f32 v[80:81], v[80:81], v[30:31] neg_lo:[0,1] neg_hi:[0,1]
	s_wait_dscnt 0x2
	v_pk_mul_f32 v[30:31], v[18:19], v[2:3] op_sel:[0,1]
	v_pk_add_f32 v[26:27], v[26:27], v[10:11] neg_lo:[0,1] neg_hi:[0,1]
	v_pk_fma_f32 v[10:11], v[12:13], v[0:1], v[210:211] op_sel:[0,0,1] op_sel_hi:[1,1,0] neg_lo:[0,0,1] neg_hi:[0,0,1]
	v_pk_fma_f32 v[12:13], v[14:15], v[0:1], v[212:213] op_sel:[0,0,1] op_sel_hi:[1,0,0]
	v_mov_b32_e32 v11, v9
	v_pk_add_f32 v[28:29], v[28:29], v[34:35] neg_lo:[0,1] neg_hi:[0,1]
	v_pk_fma_f32 v[8:9], v[14:15], v[0:1], v[212:213] op_sel:[0,0,1] op_sel_hi:[1,1,0] neg_lo:[0,0,1] neg_hi:[0,0,1]
	v_pk_mul_f32 v[14:15], v[20:21], v[2:3] op_sel:[0,1]
	v_pk_fma_f32 v[34:35], v[18:19], v[0:1], v[30:31] op_sel:[0,0,1] op_sel_hi:[1,0,0]
	v_mov_b32_e32 v9, v13
	v_pk_add_f32 v[48:49], v[48:49], v[10:11] neg_lo:[0,1] neg_hi:[0,1]
	v_pk_fma_f32 v[10:11], v[18:19], v[0:1], v[30:31] op_sel:[0,0,1] op_sel_hi:[1,1,0] neg_lo:[0,0,1] neg_hi:[0,0,1]
	v_pk_fma_f32 v[12:13], v[20:21], v[0:1], v[14:15] op_sel:[0,0,1] op_sel_hi:[1,0,0]
	v_mov_b32_e32 v11, v35
	s_wait_dscnt 0x1
	v_dual_mul_f32 v12, v23, v0 :: v_dual_mul_f32 v18, v23, v3
	v_pk_fma_f32 v[14:15], v[20:21], v[0:1], v[14:15] op_sel:[0,0,1] op_sel_hi:[1,1,0] neg_lo:[0,0,1] neg_hi:[0,0,1]
	v_pk_add_f32 v[44:45], v[44:45], v[8:9] neg_lo:[0,1] neg_hi:[0,1]
	v_mov_b32_e32 v15, v13
	v_pk_add_f32 v[46:47], v[46:47], v[10:11] neg_lo:[0,1] neg_hi:[0,1]
	ds_load_2addr_b64 v[8:11], v40 offset0:20 offset1:21
	v_pk_fma_f32 v[12:13], v[22:23], v[58:59], v[12:13] op_sel:[1,0,0] op_sel_hi:[0,1,0]
	v_pk_mul_f32 v[20:21], v[24:25], v[2:3] op_sel:[0,1]
	s_wait_dscnt 0x1
	v_pk_mul_f32 v[30:31], v[4:5], v[2:3] op_sel:[0,1]
	v_pk_fma_f32 v[18:19], v[22:23], v[58:59], v[18:19] op_sel_hi:[1,1,0] neg_lo:[0,0,1] neg_hi:[0,0,1]
	v_pk_mul_f32 v[22:23], v[6:7], v[2:3] op_sel:[0,1]
	v_pk_add_f32 v[42:43], v[42:43], v[14:15] neg_lo:[0,1] neg_hi:[0,1]
	v_pk_fma_f32 v[34:35], v[24:25], v[0:1], v[20:21] op_sel:[0,0,1] op_sel_hi:[1,0,0]
	v_mov_b32_e32 v19, v13
	ds_load_2addr_b64 v[12:15], v40 offset0:22 offset1:23
	v_pk_fma_f32 v[50:51], v[4:5], v[0:1], v[30:31] op_sel:[0,0,1] op_sel_hi:[1,0,0]
	v_pk_fma_f32 v[20:21], v[24:25], v[0:1], v[20:21] op_sel:[0,0,1] op_sel_hi:[1,1,0] neg_lo:[0,0,1] neg_hi:[0,0,1]
	v_pk_fma_f32 v[24:25], v[6:7], v[0:1], v[22:23] op_sel:[0,0,1] op_sel_hi:[1,0,0]
	v_pk_fma_f32 v[4:5], v[4:5], v[0:1], v[30:31] op_sel:[0,0,1] op_sel_hi:[1,1,0] neg_lo:[0,0,1] neg_hi:[0,0,1]
	v_pk_fma_f32 v[6:7], v[6:7], v[0:1], v[22:23] op_sel:[0,0,1] op_sel_hi:[1,1,0] neg_lo:[0,0,1] neg_hi:[0,0,1]
	v_dual_mov_b32 v5, v51 :: v_dual_mov_b32 v21, v35
	s_delay_alu instid0(VALU_DEP_4) | instskip(SKIP_2) | instid1(VALU_DEP_4)
	v_mov_b32_e32 v7, v25
	v_pk_add_f32 v[70:71], v[70:71], v[18:19] neg_lo:[0,1] neg_hi:[0,1]
	v_pk_add_f32 v[82:83], v[82:83], v[214:215] neg_lo:[0,1] neg_hi:[0,1]
	;; [unrolled: 1-line block ×3, first 2 shown]
	s_wait_dscnt 0x1
	v_pk_mul_f32 v[18:19], v[8:9], v[2:3] op_sel:[0,1]
	v_pk_add_f32 v[64:65], v[64:65], v[6:7] neg_lo:[0,1] neg_hi:[0,1]
	ds_load_2addr_b64 v[4:7], v40 offset0:24 offset1:25
	v_dual_mov_b32 v24, v11 :: v_dual_mov_b32 v25, v10
	v_pk_fma_f32 v[22:23], v[8:9], v[0:1], v[18:19] op_sel:[0,0,1] op_sel_hi:[1,1,0] neg_lo:[0,0,1] neg_hi:[0,0,1]
	v_pk_fma_f32 v[8:9], v[8:9], v[0:1], v[18:19] op_sel:[0,0,1] op_sel_hi:[1,0,0]
	v_dual_mul_f32 v8, v11, v0 :: v_dual_mul_f32 v30, v11, v3
	s_wait_dscnt 0x1
	v_pk_mul_f32 v[34:35], v[12:13], v[2:3] op_sel:[0,1]
	v_pk_add_f32 v[66:67], v[66:67], v[20:21] neg_lo:[0,1] neg_hi:[0,1]
	v_pk_mul_f32 v[50:51], v[14:15], v[2:3] op_sel:[0,1]
	ds_load_2addr_b64 v[18:21], v40 offset0:26 offset1:27
	v_pk_fma_f32 v[24:25], v[24:25], v[58:59], v[8:9] op_sel_hi:[1,1,0]
	v_mov_b32_e32 v23, v9
	v_pk_fma_f32 v[8:9], v[12:13], v[0:1], v[34:35] op_sel:[0,0,1] op_sel_hi:[1,0,0]
	v_pk_fma_f32 v[10:11], v[10:11], v[58:59], v[30:31] op_sel_hi:[1,1,0] neg_lo:[0,0,1] neg_hi:[0,0,1]
	v_pk_fma_f32 v[30:31], v[14:15], v[0:1], v[50:51] op_sel:[0,0,1] op_sel_hi:[1,0,0]
	v_pk_fma_f32 v[12:13], v[12:13], v[0:1], v[34:35] op_sel:[0,0,1] op_sel_hi:[1,1,0] neg_lo:[0,0,1] neg_hi:[0,0,1]
	s_delay_alu instid0(VALU_DEP_4) | instskip(SKIP_1) | instid1(VALU_DEP_4)
	v_dual_mov_b32 v11, v25 :: v_dual_mov_b32 v13, v9
	v_pk_fma_f32 v[8:9], v[14:15], v[0:1], v[50:51] op_sel:[0,0,1] op_sel_hi:[1,1,0] neg_lo:[0,0,1] neg_hi:[0,0,1]
	v_mov_b32_e32 v9, v31
	s_wait_dscnt 0x1
	v_pk_mul_f32 v[14:15], v[4:5], v[2:3] op_sel:[0,1]
	v_pk_mul_f32 v[24:25], v[6:7], v[2:3] op_sel:[0,1]
	v_pk_add_f32 v[90:91], v[90:91], v[10:11] neg_lo:[0,1] neg_hi:[0,1]
	v_pk_add_f32 v[94:95], v[94:95], v[22:23] neg_lo:[0,1] neg_hi:[0,1]
	v_pk_add_f32 v[88:89], v[88:89], v[8:9] neg_lo:[0,1] neg_hi:[0,1]
	ds_load_2addr_b64 v[8:11], v40 offset0:28 offset1:29
	v_pk_add_f32 v[92:93], v[92:93], v[12:13] neg_lo:[0,1] neg_hi:[0,1]
	v_pk_fma_f32 v[22:23], v[4:5], v[0:1], v[14:15] op_sel:[0,0,1] op_sel_hi:[1,0,0]
	v_pk_fma_f32 v[4:5], v[4:5], v[0:1], v[14:15] op_sel:[0,0,1] op_sel_hi:[1,1,0] neg_lo:[0,0,1] neg_hi:[0,0,1]
	ds_load_2addr_b64 v[12:15], v40 offset0:30 offset1:31
	v_pk_fma_f32 v[34:35], v[6:7], v[0:1], v[24:25] op_sel:[0,0,1] op_sel_hi:[1,0,0]
	s_wait_dscnt 0x2
	v_dual_mul_f32 v22, v19, v0 :: v_dual_mul_f32 v34, v19, v3
	v_pk_fma_f32 v[6:7], v[6:7], v[0:1], v[24:25] op_sel:[0,0,1] op_sel_hi:[1,1,0] neg_lo:[0,0,1] neg_hi:[0,0,1]
	s_delay_alu instid0(VALU_DEP_3) | instskip(SKIP_1) | instid1(VALU_DEP_4)
	v_dual_mov_b32 v5, v23 :: v_dual_mov_b32 v7, v35
	v_pk_mul_f32 v[30:31], v[20:21], v[2:3] op_sel:[0,1]
	v_pk_fma_f32 v[22:23], v[18:19], v[58:59], v[22:23] op_sel:[1,0,0] op_sel_hi:[0,1,0]
	v_pk_fma_f32 v[18:19], v[18:19], v[58:59], v[34:35] op_sel_hi:[1,1,0] neg_lo:[0,0,1] neg_hi:[0,0,1]
	s_delay_alu instid0(VALU_DEP_4)
	v_pk_add_f32 v[112:113], v[112:113], v[4:5] neg_lo:[0,1] neg_hi:[0,1]
	v_pk_add_f32 v[108:109], v[108:109], v[6:7] neg_lo:[0,1] neg_hi:[0,1]
	ds_load_2addr_b64 v[4:7], v40 offset0:32 offset1:33
	v_pk_fma_f32 v[24:25], v[20:21], v[0:1], v[30:31] op_sel:[0,0,1] op_sel_hi:[1,0,0]
	v_mov_b32_e32 v19, v23
	v_pk_fma_f32 v[20:21], v[20:21], v[0:1], v[30:31] op_sel:[0,0,1] op_sel_hi:[1,1,0] neg_lo:[0,0,1] neg_hi:[0,0,1]
	s_wait_dscnt 0x2
	v_pk_mul_f32 v[22:23], v[10:11], v[2:3] op_sel:[0,1]
	v_mov_b32_e32 v21, v25
	v_pk_add_f32 v[110:111], v[110:111], v[18:19] neg_lo:[0,1] neg_hi:[0,1]
	v_pk_mul_f32 v[18:19], v[8:9], v[2:3] op_sel:[0,1]
	s_wait_dscnt 0x1
	v_pk_mul_f32 v[24:25], v[12:13], v[2:3] op_sel:[0,1]
	v_pk_fma_f32 v[34:35], v[10:11], v[0:1], v[22:23] op_sel:[0,0,1] op_sel_hi:[1,0,0]
	v_pk_add_f32 v[106:107], v[106:107], v[20:21] neg_lo:[0,1] neg_hi:[0,1]
	v_pk_fma_f32 v[10:11], v[10:11], v[0:1], v[22:23] op_sel:[0,0,1] op_sel_hi:[1,1,0] neg_lo:[0,0,1] neg_hi:[0,0,1]
	v_pk_fma_f32 v[30:31], v[8:9], v[0:1], v[18:19] op_sel:[0,0,1] op_sel_hi:[1,0,0]
	v_pk_fma_f32 v[8:9], v[8:9], v[0:1], v[18:19] op_sel:[0,0,1] op_sel_hi:[1,1,0] neg_lo:[0,0,1] neg_hi:[0,0,1]
	ds_load_2addr_b64 v[18:21], v40 offset0:34 offset1:35
	v_pk_fma_f32 v[50:51], v[12:13], v[0:1], v[24:25] op_sel:[0,0,1] op_sel_hi:[1,0,0]
	v_pk_fma_f32 v[12:13], v[12:13], v[0:1], v[24:25] op_sel:[0,0,1] op_sel_hi:[1,1,0] neg_lo:[0,0,1] neg_hi:[0,0,1]
	v_dual_mov_b32 v9, v31 :: v_dual_mov_b32 v11, v35
	s_wait_dscnt 0x1
	v_pk_mul_f32 v[30:31], v[6:7], v[2:3] op_sel:[0,1]
	v_dual_mov_b32 v13, v51 :: v_dual_mov_b32 v22, v15
	v_dual_mov_b32 v23, v14 :: v_dual_mul_f32 v24, v15, v0
	v_pk_add_f32 v[128:129], v[128:129], v[8:9] neg_lo:[0,1] neg_hi:[0,1]
	v_pk_add_f32 v[124:125], v[124:125], v[10:11] neg_lo:[0,1] neg_hi:[0,1]
	s_delay_alu instid0(VALU_DEP_4)
	v_pk_add_f32 v[126:127], v[126:127], v[12:13] neg_lo:[0,1] neg_hi:[0,1]
	ds_load_2addr_b64 v[8:11], v40 offset0:36 offset1:37
	v_pk_fma_f32 v[52:53], v[6:7], v[0:1], v[30:31] op_sel:[0,0,1] op_sel_hi:[1,0,0]
	v_mul_f32_e32 v12, v15, v3
	v_pk_fma_f32 v[22:23], v[22:23], v[58:59], v[24:25] op_sel_hi:[1,1,0]
	v_pk_mul_f32 v[24:25], v[4:5], v[2:3] op_sel:[0,1]
	v_pk_fma_f32 v[6:7], v[6:7], v[0:1], v[30:31] op_sel:[0,0,1] op_sel_hi:[1,1,0] neg_lo:[0,0,1] neg_hi:[0,0,1]
	v_mov_b32_e32 v7, v53
	v_pk_fma_f32 v[34:35], v[14:15], v[58:59], v[12:13] op_sel_hi:[1,1,0] neg_lo:[0,0,1] neg_hi:[0,0,1]
	ds_load_2addr_b64 v[12:15], v40 offset0:38 offset1:39
	v_pk_fma_f32 v[50:51], v[4:5], v[0:1], v[24:25] op_sel:[0,0,1] op_sel_hi:[1,0,0]
	v_mov_b32_e32 v35, v23
	s_wait_dscnt 0x2
	v_pk_mul_f32 v[22:23], v[18:19], v[2:3] op_sel:[0,1]
	v_pk_fma_f32 v[4:5], v[4:5], v[0:1], v[24:25] op_sel:[0,0,1] op_sel_hi:[1,1,0] neg_lo:[0,0,1] neg_hi:[0,0,1]
	v_pk_add_f32 v[140:141], v[140:141], v[6:7] neg_lo:[0,1] neg_hi:[0,1]
	v_mov_b32_e32 v5, v51
	v_pk_add_f32 v[122:123], v[122:123], v[34:35] neg_lo:[0,1] neg_hi:[0,1]
	v_pk_fma_f32 v[24:25], v[18:19], v[0:1], v[22:23] op_sel:[0,0,1] op_sel_hi:[1,0,0]
	v_pk_fma_f32 v[18:19], v[18:19], v[0:1], v[22:23] op_sel:[0,0,1] op_sel_hi:[1,1,0] neg_lo:[0,0,1] neg_hi:[0,0,1]
	v_pk_mul_f32 v[22:23], v[20:21], v[2:3] op_sel:[0,1]
	v_pk_add_f32 v[144:145], v[144:145], v[4:5] neg_lo:[0,1] neg_hi:[0,1]
	s_wait_dscnt 0x1
	v_mul_f32_e32 v24, v9, v0
	v_mov_b32_e32 v19, v25
	ds_load_2addr_b64 v[4:7], v40 offset0:40 offset1:41
	v_pk_add_f32 v[142:143], v[142:143], v[18:19] neg_lo:[0,1] neg_hi:[0,1]
	v_pk_fma_f32 v[18:19], v[20:21], v[0:1], v[22:23] op_sel:[0,0,1] op_sel_hi:[1,1,0] neg_lo:[0,0,1] neg_hi:[0,0,1]
	v_pk_fma_f32 v[20:21], v[20:21], v[0:1], v[22:23] op_sel:[0,0,1] op_sel_hi:[1,0,0]
	v_mul_f32_e32 v20, v9, v3
	v_pk_mul_f32 v[22:23], v[10:11], v[2:3] op_sel:[0,1]
	v_pk_fma_f32 v[24:25], v[8:9], v[58:59], v[24:25] op_sel:[1,0,0] op_sel_hi:[0,1,0]
	s_wait_dscnt 0x1
	v_pk_mul_f32 v[30:31], v[12:13], v[2:3] op_sel:[0,1]
	s_delay_alu instid0(VALU_DEP_3)
	v_pk_fma_f32 v[34:35], v[10:11], v[0:1], v[22:23] op_sel:[0,0,1] op_sel_hi:[1,0,0]
	v_mov_b32_e32 v19, v21
	v_pk_fma_f32 v[20:21], v[8:9], v[58:59], v[20:21] op_sel_hi:[1,1,0] neg_lo:[0,0,1] neg_hi:[0,0,1]
	v_mov_b32_e32 v21, v25
	v_pk_fma_f32 v[24:25], v[12:13], v[0:1], v[30:31] op_sel:[0,0,1] op_sel_hi:[1,0,0]
	v_pk_fma_f32 v[22:23], v[10:11], v[0:1], v[22:23] op_sel:[0,0,1] op_sel_hi:[1,1,0] neg_lo:[0,0,1] neg_hi:[0,0,1]
	ds_load_2addr_b64 v[8:11], v40 offset0:42 offset1:43
	v_pk_fma_f32 v[12:13], v[12:13], v[0:1], v[30:31] op_sel:[0,0,1] op_sel_hi:[1,1,0] neg_lo:[0,0,1] neg_hi:[0,0,1]
	v_dual_mov_b32 v23, v35 :: v_dual_mov_b32 v13, v25
	v_pk_mul_f32 v[24:25], v[14:15], v[2:3] op_sel:[0,1]
	v_pk_add_f32 v[138:139], v[138:139], v[18:19] neg_lo:[0,1] neg_hi:[0,1]
	v_pk_add_f32 v[162:163], v[162:163], v[20:21] neg_lo:[0,1] neg_hi:[0,1]
	s_delay_alu instid0(VALU_DEP_4)
	v_pk_add_f32 v[158:159], v[158:159], v[22:23] neg_lo:[0,1] neg_hi:[0,1]
	s_wait_dscnt 0x1
	v_pk_mul_f32 v[22:23], v[4:5], v[2:3] op_sel:[0,1]
	v_pk_fma_f32 v[18:19], v[14:15], v[0:1], v[24:25] op_sel:[0,0,1] op_sel_hi:[1,1,0] neg_lo:[0,0,1] neg_hi:[0,0,1]
	v_pk_fma_f32 v[20:21], v[14:15], v[0:1], v[24:25] op_sel:[0,0,1] op_sel_hi:[1,0,0]
	v_mov_b32_e32 v24, v7
	v_pk_add_f32 v[160:161], v[160:161], v[12:13] neg_lo:[0,1] neg_hi:[0,1]
	ds_load_2addr_b64 v[12:15], v40 offset0:44 offset1:45
	ds_load_b64 v[30:31], v40 offset:368
	v_dual_mov_b32 v25, v6 :: v_dual_mul_f32 v20, v7, v0
	v_pk_fma_f32 v[34:35], v[4:5], v[0:1], v[22:23] op_sel:[0,0,1] op_sel_hi:[1,0,0]
	v_dual_mov_b32 v19, v21 :: v_dual_mul_f32 v34, v7, v3
	v_pk_fma_f32 v[4:5], v[4:5], v[0:1], v[22:23] op_sel:[0,0,1] op_sel_hi:[1,1,0] neg_lo:[0,0,1] neg_hi:[0,0,1]
	s_delay_alu instid0(VALU_DEP_4)
	v_pk_fma_f32 v[20:21], v[24:25], v[58:59], v[20:21] op_sel_hi:[1,1,0]
	s_wait_dscnt 0x2
	v_pk_mul_f32 v[22:23], v[8:9], v[2:3] op_sel:[0,1]
	v_mov_b32_e32 v5, v35
	v_pk_fma_f32 v[6:7], v[6:7], v[58:59], v[34:35] op_sel_hi:[1,1,0] neg_lo:[0,0,1] neg_hi:[0,0,1]
	v_pk_add_f32 v[156:157], v[156:157], v[18:19] neg_lo:[0,1] neg_hi:[0,1]
	v_mov_b32_e32 v7, v21
	v_pk_fma_f32 v[18:19], v[8:9], v[0:1], v[22:23] op_sel:[0,0,1] op_sel_hi:[1,0,0]
	v_pk_add_f32 v[182:183], v[182:183], v[4:5] neg_lo:[0,1] neg_hi:[0,1]
	v_pk_mul_f32 v[4:5], v[10:11], v[2:3] op_sel:[0,1]
	s_delay_alu instid0(VALU_DEP_4)
	v_pk_add_f32 v[176:177], v[176:177], v[6:7] neg_lo:[0,1] neg_hi:[0,1]
	v_pk_fma_f32 v[6:7], v[8:9], v[0:1], v[22:23] op_sel:[0,0,1] op_sel_hi:[1,1,0] neg_lo:[0,0,1] neg_hi:[0,0,1]
	s_wait_dscnt 0x1
	v_pk_mul_f32 v[8:9], v[12:13], v[2:3] op_sel:[0,1]
	v_mov_b32_e32 v7, v19
	v_pk_fma_f32 v[18:19], v[10:11], v[0:1], v[4:5] op_sel:[0,0,1] op_sel_hi:[1,0,0]
	v_pk_mul_f32 v[20:21], v[14:15], v[2:3] op_sel:[0,1]
	s_wait_dscnt 0x0
	v_pk_mul_f32 v[2:3], v[30:31], v[2:3] op_sel:[0,1]
	v_pk_fma_f32 v[4:5], v[10:11], v[0:1], v[4:5] op_sel:[0,0,1] op_sel_hi:[1,1,0] neg_lo:[0,0,1] neg_hi:[0,0,1]
	v_pk_fma_f32 v[10:11], v[12:13], v[0:1], v[8:9] op_sel:[0,0,1] op_sel_hi:[1,0,0]
	v_mov_b32_e32 v5, v19
	v_pk_fma_f32 v[18:19], v[14:15], v[0:1], v[20:21] op_sel:[0,0,1] op_sel_hi:[1,0,0]
	v_pk_fma_f32 v[8:9], v[12:13], v[0:1], v[8:9] op_sel:[0,0,1] op_sel_hi:[1,1,0] neg_lo:[0,0,1] neg_hi:[0,0,1]
	v_pk_fma_f32 v[12:13], v[30:31], v[0:1], v[2:3] op_sel:[0,0,1] op_sel_hi:[1,0,0]
	v_mov_b32_e32 v9, v11
	v_pk_fma_f32 v[10:11], v[14:15], v[0:1], v[20:21] op_sel:[0,0,1] op_sel_hi:[1,1,0] neg_lo:[0,0,1] neg_hi:[0,0,1]
	v_pk_fma_f32 v[0:1], v[30:31], v[0:1], v[2:3] op_sel:[0,0,1] op_sel_hi:[1,1,0] neg_lo:[0,0,1] neg_hi:[0,0,1]
	s_delay_alu instid0(VALU_DEP_4) | instskip(SKIP_3) | instid1(VALU_DEP_4)
	v_dual_mov_b32 v11, v19 :: v_dual_mov_b32 v1, v13
	v_pk_add_f32 v[180:181], v[180:181], v[6:7] neg_lo:[0,1] neg_hi:[0,1]
	v_pk_add_f32 v[174:175], v[174:175], v[4:5] neg_lo:[0,1] neg_hi:[0,1]
	;; [unrolled: 1-line block ×5, first 2 shown]
.LBB93_73:
	s_or_b32 exec_lo, exec_lo, s1
	s_delay_alu instid0(SALU_CYCLE_1)
	s_mov_b32 s2, exec_lo
	s_wait_dscnt 0x0
	s_barrier_signal -1
	s_barrier_wait -1
	v_cmpx_eq_u32_e32 8, v36
	s_cbranch_execz .LBB93_80
; %bb.74:
	ds_store_b64 v37, v[82:83]
	ds_store_2addr_b64 v40, v[80:81], v[28:29] offset0:9 offset1:10
	ds_store_2addr_b64 v40, v[26:27], v[48:49] offset0:11 offset1:12
	;; [unrolled: 1-line block ×19, first 2 shown]
	ds_load_b64 v[0:1], v37
	s_wait_dscnt 0x0
	v_cmp_neq_f32_e32 vcc_lo, 0, v0
	v_cmp_neq_f32_e64 s1, 0, v1
	s_or_b32 s1, vcc_lo, s1
	s_delay_alu instid0(SALU_CYCLE_1)
	s_and_b32 exec_lo, exec_lo, s1
	s_cbranch_execz .LBB93_80
; %bb.75:
	v_cmp_ngt_f32_e64 s1, |v0|, |v1|
                                        ; implicit-def: $vgpr2_vgpr3
	s_and_saveexec_b32 s4, s1
	s_delay_alu instid0(SALU_CYCLE_1)
	s_xor_b32 s1, exec_lo, s4
	s_cbranch_execz .LBB93_77
; %bb.76:
	v_div_scale_f32 v2, null, v1, v1, v0
	v_div_scale_f32 v5, vcc_lo, v0, v1, v0
	s_delay_alu instid0(VALU_DEP_2) | instskip(SKIP_1) | instid1(TRANS32_DEP_1)
	v_rcp_f32_e32 v3, v2
	v_nop
	v_fma_f32 v4, -v2, v3, 1.0
	s_delay_alu instid0(VALU_DEP_1) | instskip(NEXT) | instid1(VALU_DEP_1)
	v_fmac_f32_e32 v3, v4, v3
	v_mul_f32_e32 v4, v5, v3
	s_delay_alu instid0(VALU_DEP_1) | instskip(NEXT) | instid1(VALU_DEP_1)
	v_fma_f32 v6, -v2, v4, v5
	v_fmac_f32_e32 v4, v6, v3
	s_delay_alu instid0(VALU_DEP_1) | instskip(NEXT) | instid1(VALU_DEP_1)
	v_fma_f32 v2, -v2, v4, v5
	v_div_fmas_f32 v2, v2, v3, v4
	s_delay_alu instid0(VALU_DEP_1) | instskip(NEXT) | instid1(VALU_DEP_1)
	v_div_fixup_f32 v2, v2, v1, v0
	v_fmac_f32_e32 v1, v0, v2
	s_delay_alu instid0(VALU_DEP_1) | instskip(SKIP_1) | instid1(VALU_DEP_2)
	v_div_scale_f32 v0, null, v1, v1, 1.0
	v_div_scale_f32 v5, vcc_lo, 1.0, v1, 1.0
	v_rcp_f32_e32 v3, v0
	v_nop
	s_delay_alu instid0(TRANS32_DEP_1) | instskip(NEXT) | instid1(VALU_DEP_1)
	v_fma_f32 v4, -v0, v3, 1.0
	v_fmac_f32_e32 v3, v4, v3
	s_delay_alu instid0(VALU_DEP_1) | instskip(NEXT) | instid1(VALU_DEP_1)
	v_mul_f32_e32 v4, v5, v3
	v_fma_f32 v6, -v0, v4, v5
	s_delay_alu instid0(VALU_DEP_1) | instskip(NEXT) | instid1(VALU_DEP_1)
	v_fmac_f32_e32 v4, v6, v3
	v_fma_f32 v0, -v0, v4, v5
	s_delay_alu instid0(VALU_DEP_1) | instskip(NEXT) | instid1(VALU_DEP_1)
	v_div_fmas_f32 v0, v0, v3, v4
	v_div_fixup_f32 v0, v0, v1, 1.0
	s_delay_alu instid0(VALU_DEP_1)
	v_mul_f32_e32 v2, v2, v0
	v_xor_b32_e32 v3, 0x80000000, v0
                                        ; implicit-def: $vgpr0_vgpr1
.LBB93_77:
	s_and_not1_saveexec_b32 s1, s1
	s_cbranch_execz .LBB93_79
; %bb.78:
	v_div_scale_f32 v2, null, v0, v0, v1
	v_div_scale_f32 v5, vcc_lo, v1, v0, v1
	s_delay_alu instid0(VALU_DEP_2) | instskip(SKIP_1) | instid1(TRANS32_DEP_1)
	v_rcp_f32_e32 v3, v2
	v_nop
	v_fma_f32 v4, -v2, v3, 1.0
	s_delay_alu instid0(VALU_DEP_1) | instskip(NEXT) | instid1(VALU_DEP_1)
	v_fmac_f32_e32 v3, v4, v3
	v_mul_f32_e32 v4, v5, v3
	s_delay_alu instid0(VALU_DEP_1) | instskip(NEXT) | instid1(VALU_DEP_1)
	v_fma_f32 v6, -v2, v4, v5
	v_fmac_f32_e32 v4, v6, v3
	s_delay_alu instid0(VALU_DEP_1) | instskip(NEXT) | instid1(VALU_DEP_1)
	v_fma_f32 v2, -v2, v4, v5
	v_div_fmas_f32 v2, v2, v3, v4
	s_delay_alu instid0(VALU_DEP_1) | instskip(NEXT) | instid1(VALU_DEP_1)
	v_div_fixup_f32 v3, v2, v0, v1
	v_fmac_f32_e32 v0, v1, v3
	s_delay_alu instid0(VALU_DEP_1) | instskip(NEXT) | instid1(VALU_DEP_1)
	v_div_scale_f32 v1, null, v0, v0, 1.0
	v_rcp_f32_e32 v2, v1
	v_nop
	s_delay_alu instid0(TRANS32_DEP_1) | instskip(NEXT) | instid1(VALU_DEP_1)
	v_fma_f32 v4, -v1, v2, 1.0
	v_fmac_f32_e32 v2, v4, v2
	v_div_scale_f32 v4, vcc_lo, 1.0, v0, 1.0
	s_delay_alu instid0(VALU_DEP_1) | instskip(NEXT) | instid1(VALU_DEP_1)
	v_mul_f32_e32 v5, v4, v2
	v_fma_f32 v6, -v1, v5, v4
	s_delay_alu instid0(VALU_DEP_1) | instskip(NEXT) | instid1(VALU_DEP_1)
	v_fmac_f32_e32 v5, v6, v2
	v_fma_f32 v1, -v1, v5, v4
	s_delay_alu instid0(VALU_DEP_1) | instskip(NEXT) | instid1(VALU_DEP_1)
	v_div_fmas_f32 v1, v1, v2, v5
	v_div_fixup_f32 v2, v1, v0, 1.0
	s_delay_alu instid0(VALU_DEP_1)
	v_mul_f32_e64 v3, v3, -v2
.LBB93_79:
	s_or_b32 exec_lo, exec_lo, s1
	ds_store_b64 v37, v[2:3]
.LBB93_80:
	s_or_b32 exec_lo, exec_lo, s2
	s_wait_dscnt 0x0
	s_barrier_signal -1
	s_barrier_wait -1
	ds_load_b64 v[206:207], v37
	s_mov_b32 s1, exec_lo
	v_cmpx_lt_u32_e32 8, v36
	s_cbranch_execz .LBB93_82
; %bb.81:
	ds_load_2addr_b64 v[4:7], v40 offset0:9 offset1:10
	ds_load_2addr_b64 v[8:11], v40 offset0:11 offset1:12
	;; [unrolled: 1-line block ×3, first 2 shown]
	s_wait_dscnt 0x3
	v_pk_mul_f32 v[2:3], v[206:207], v[82:83] op_sel:[1,1] op_sel_hi:[0,1]
	ds_load_2addr_b64 v[18:21], v40 offset0:15 offset1:16
	ds_load_2addr_b64 v[22:25], v40 offset0:17 offset1:18
	v_pk_fma_f32 v[0:1], v[206:207], v[82:83], v[2:3] op_sel_hi:[1,0,1] neg_lo:[0,0,1] neg_hi:[0,0,1]
	v_pk_fma_f32 v[2:3], v[206:207], v[82:83], v[2:3] op_sel_hi:[1,0,1]
	s_delay_alu instid0(VALU_DEP_1) | instskip(SKIP_1) | instid1(VALU_DEP_2)
	v_dual_mov_b32 v82, v0 :: v_dual_mov_b32 v83, v3
	s_wait_dscnt 0x4
	v_pk_mul_f32 v[30:31], v[4:5], v[2:3] op_sel:[0,1]
	v_pk_mul_f32 v[34:35], v[6:7], v[2:3] op_sel:[0,1]
	s_wait_dscnt 0x3
	v_pk_mul_f32 v[50:51], v[8:9], v[2:3] op_sel:[0,1]
	v_dual_mov_b32 v52, v11 :: v_dual_mov_b32 v53, v10
	v_dual_mul_f32 v208, v11, v3 :: v_dual_mul_f32 v210, v11, v0
	v_pk_fma_f32 v[216:217], v[4:5], v[0:1], v[30:31] op_sel:[0,0,1] op_sel_hi:[1,1,0] neg_lo:[0,0,1] neg_hi:[0,0,1]
	v_pk_fma_f32 v[4:5], v[4:5], v[0:1], v[30:31] op_sel:[0,0,1] op_sel_hi:[1,0,0]
	v_pk_fma_f32 v[30:31], v[6:7], v[0:1], v[34:35] op_sel:[0,0,1] op_sel_hi:[1,1,0] neg_lo:[0,0,1] neg_hi:[0,0,1]
	v_pk_fma_f32 v[6:7], v[6:7], v[0:1], v[34:35] op_sel:[0,0,1] op_sel_hi:[1,0,0]
	v_pk_fma_f32 v[34:35], v[8:9], v[0:1], v[50:51] op_sel:[0,0,1] op_sel_hi:[1,1,0] neg_lo:[0,0,1] neg_hi:[0,0,1]
	v_pk_fma_f32 v[8:9], v[8:9], v[0:1], v[50:51] op_sel:[0,0,1] op_sel_hi:[1,0,0]
	v_pk_fma_f32 v[50:51], v[52:53], v[82:83], v[210:211] op_sel_hi:[1,1,0]
	s_wait_dscnt 0x2
	v_pk_mul_f32 v[212:213], v[12:13], v[2:3] op_sel:[0,1]
	v_dual_mov_b32 v217, v5 :: v_dual_mov_b32 v31, v7
	v_pk_fma_f32 v[10:11], v[10:11], v[82:83], v[208:209] op_sel_hi:[1,1,0] neg_lo:[0,0,1] neg_hi:[0,0,1]
	v_dual_mov_b32 v35, v9 :: v_dual_mov_b32 v11, v51
	v_pk_mul_f32 v[214:215], v[14:15], v[2:3] op_sel:[0,1]
	v_pk_fma_f32 v[8:9], v[12:13], v[0:1], v[212:213] op_sel:[0,0,1] op_sel_hi:[1,0,0]
	v_pk_add_f32 v[28:29], v[28:29], v[30:31] neg_lo:[0,1] neg_hi:[0,1]
	s_wait_dscnt 0x1
	v_pk_mul_f32 v[30:31], v[18:19], v[2:3] op_sel:[0,1]
	v_pk_add_f32 v[48:49], v[48:49], v[10:11] neg_lo:[0,1] neg_hi:[0,1]
	v_pk_fma_f32 v[10:11], v[12:13], v[0:1], v[212:213] op_sel:[0,0,1] op_sel_hi:[1,1,0] neg_lo:[0,0,1] neg_hi:[0,0,1]
	v_pk_fma_f32 v[12:13], v[14:15], v[0:1], v[214:215] op_sel:[0,0,1] op_sel_hi:[1,0,0]
	v_mov_b32_e32 v11, v9
	v_pk_add_f32 v[26:27], v[26:27], v[34:35] neg_lo:[0,1] neg_hi:[0,1]
	ds_load_2addr_b64 v[4:7], v40 offset0:19 offset1:20
	v_pk_fma_f32 v[8:9], v[14:15], v[0:1], v[214:215] op_sel:[0,0,1] op_sel_hi:[1,1,0] neg_lo:[0,0,1] neg_hi:[0,0,1]
	v_pk_mul_f32 v[14:15], v[20:21], v[2:3] op_sel:[0,1]
	v_pk_fma_f32 v[34:35], v[18:19], v[0:1], v[30:31] op_sel:[0,0,1] op_sel_hi:[1,0,0]
	v_mov_b32_e32 v9, v13
	v_pk_add_f32 v[44:45], v[44:45], v[10:11] neg_lo:[0,1] neg_hi:[0,1]
	v_pk_fma_f32 v[10:11], v[18:19], v[0:1], v[30:31] op_sel:[0,0,1] op_sel_hi:[1,1,0] neg_lo:[0,0,1] neg_hi:[0,0,1]
	v_pk_fma_f32 v[12:13], v[20:21], v[0:1], v[14:15] op_sel:[0,0,1] op_sel_hi:[1,0,0]
	v_mov_b32_e32 v11, v35
	v_pk_fma_f32 v[14:15], v[20:21], v[0:1], v[14:15] op_sel:[0,0,1] op_sel_hi:[1,1,0] neg_lo:[0,0,1] neg_hi:[0,0,1]
	s_wait_dscnt 0x1
	v_dual_mul_f32 v12, v23, v0 :: v_dual_mul_f32 v18, v23, v3
	v_pk_add_f32 v[46:47], v[46:47], v[8:9] neg_lo:[0,1] neg_hi:[0,1]
	v_mov_b32_e32 v15, v13
	v_pk_add_f32 v[42:43], v[42:43], v[10:11] neg_lo:[0,1] neg_hi:[0,1]
	ds_load_2addr_b64 v[8:11], v40 offset0:21 offset1:22
	v_pk_fma_f32 v[12:13], v[22:23], v[82:83], v[12:13] op_sel:[1,0,0] op_sel_hi:[0,1,0]
	v_pk_mul_f32 v[20:21], v[24:25], v[2:3] op_sel:[0,1]
	v_pk_fma_f32 v[18:19], v[22:23], v[82:83], v[18:19] op_sel_hi:[1,1,0] neg_lo:[0,0,1] neg_hi:[0,0,1]
	v_pk_add_f32 v[70:71], v[70:71], v[14:15] neg_lo:[0,1] neg_hi:[0,1]
	s_wait_dscnt 0x1
	v_pk_mul_f32 v[30:31], v[4:5], v[2:3] op_sel:[0,1]
	v_pk_mul_f32 v[22:23], v[6:7], v[2:3] op_sel:[0,1]
	v_pk_fma_f32 v[34:35], v[24:25], v[0:1], v[20:21] op_sel:[0,0,1] op_sel_hi:[1,0,0]
	v_mov_b32_e32 v19, v13
	ds_load_2addr_b64 v[12:15], v40 offset0:23 offset1:24
	v_pk_fma_f32 v[50:51], v[4:5], v[0:1], v[30:31] op_sel:[0,0,1] op_sel_hi:[1,0,0]
	v_pk_fma_f32 v[20:21], v[24:25], v[0:1], v[20:21] op_sel:[0,0,1] op_sel_hi:[1,1,0] neg_lo:[0,0,1] neg_hi:[0,0,1]
	v_pk_fma_f32 v[24:25], v[6:7], v[0:1], v[22:23] op_sel:[0,0,1] op_sel_hi:[1,0,0]
	v_pk_fma_f32 v[4:5], v[4:5], v[0:1], v[30:31] op_sel:[0,0,1] op_sel_hi:[1,1,0] neg_lo:[0,0,1] neg_hi:[0,0,1]
	v_pk_fma_f32 v[6:7], v[6:7], v[0:1], v[22:23] op_sel:[0,0,1] op_sel_hi:[1,1,0] neg_lo:[0,0,1] neg_hi:[0,0,1]
	v_dual_mov_b32 v21, v35 :: v_dual_mov_b32 v5, v51
	s_delay_alu instid0(VALU_DEP_4)
	v_mov_b32_e32 v7, v25
	v_pk_add_f32 v[66:67], v[66:67], v[18:19] neg_lo:[0,1] neg_hi:[0,1]
	v_pk_add_f32 v[80:81], v[80:81], v[216:217] neg_lo:[0,1] neg_hi:[0,1]
	s_wait_dscnt 0x1
	v_pk_mul_f32 v[18:19], v[8:9], v[2:3] op_sel:[0,1]
	v_pk_add_f32 v[68:69], v[68:69], v[20:21] neg_lo:[0,1] neg_hi:[0,1]
	v_pk_add_f32 v[64:65], v[64:65], v[4:5] neg_lo:[0,1] neg_hi:[0,1]
	;; [unrolled: 1-line block ×3, first 2 shown]
	ds_load_2addr_b64 v[4:7], v40 offset0:25 offset1:26
	v_pk_fma_f32 v[20:21], v[8:9], v[0:1], v[18:19] op_sel:[0,0,1] op_sel_hi:[1,0,0]
	v_pk_fma_f32 v[8:9], v[8:9], v[0:1], v[18:19] op_sel:[0,0,1] op_sel_hi:[1,1,0] neg_lo:[0,0,1] neg_hi:[0,0,1]
	v_dual_mov_b32 v22, v11 :: v_dual_mov_b32 v23, v10
	s_delay_alu instid0(VALU_DEP_3)
	v_dual_mul_f32 v24, v11, v0 :: v_dual_mov_b32 v9, v21
	s_wait_dscnt 0x1
	v_pk_mul_f32 v[30:31], v[12:13], v[2:3] op_sel:[0,1]
	ds_load_2addr_b64 v[18:21], v40 offset0:27 offset1:28
	v_pk_fma_f32 v[22:23], v[22:23], v[82:83], v[24:25] op_sel_hi:[1,1,0]
	v_pk_add_f32 v[90:91], v[90:91], v[8:9] neg_lo:[0,1] neg_hi:[0,1]
	v_pk_fma_f32 v[24:25], v[12:13], v[0:1], v[30:31] op_sel:[0,0,1] op_sel_hi:[1,0,0]
	v_mul_f32_e32 v34, v11, v3
	v_pk_mul_f32 v[8:9], v[14:15], v[2:3] op_sel:[0,1]
	v_pk_fma_f32 v[12:13], v[12:13], v[0:1], v[30:31] op_sel:[0,0,1] op_sel_hi:[1,1,0] neg_lo:[0,0,1] neg_hi:[0,0,1]
	s_delay_alu instid0(VALU_DEP_4) | instskip(NEXT) | instid1(VALU_DEP_4)
	v_mov_b32_e32 v13, v25
	v_pk_fma_f32 v[34:35], v[10:11], v[82:83], v[34:35] op_sel_hi:[1,1,0] neg_lo:[0,0,1] neg_hi:[0,0,1]
	v_mov_b32_e32 v35, v23
	v_pk_fma_f32 v[22:23], v[14:15], v[0:1], v[8:9] op_sel:[0,0,1] op_sel_hi:[1,0,0]
	v_pk_fma_f32 v[14:15], v[14:15], v[0:1], v[8:9] op_sel:[0,0,1] op_sel_hi:[1,1,0] neg_lo:[0,0,1] neg_hi:[0,0,1]
	s_wait_dscnt 0x1
	v_pk_mul_f32 v[24:25], v[4:5], v[2:3] op_sel:[0,1]
	ds_load_2addr_b64 v[8:11], v40 offset0:29 offset1:30
	v_pk_add_f32 v[88:89], v[88:89], v[12:13] neg_lo:[0,1] neg_hi:[0,1]
	v_mov_b32_e32 v15, v23
	v_pk_mul_f32 v[22:23], v[6:7], v[2:3] op_sel:[0,1]
	v_pk_fma_f32 v[12:13], v[4:5], v[0:1], v[24:25] op_sel:[0,0,1] op_sel_hi:[1,0,0]
	s_wait_dscnt 0x1
	v_mul_f32_e32 v12, v19, v0
	v_pk_add_f32 v[92:93], v[92:93], v[34:35] neg_lo:[0,1] neg_hi:[0,1]
	v_pk_add_f32 v[112:113], v[112:113], v[14:15] neg_lo:[0,1] neg_hi:[0,1]
	v_pk_fma_f32 v[14:15], v[4:5], v[0:1], v[24:25] op_sel:[0,0,1] op_sel_hi:[1,1,0] neg_lo:[0,0,1] neg_hi:[0,0,1]
	v_pk_fma_f32 v[24:25], v[6:7], v[0:1], v[22:23] op_sel:[0,0,1] op_sel_hi:[1,0,0]
	v_mul_f32_e32 v24, v19, v3
	v_pk_fma_f32 v[22:23], v[6:7], v[0:1], v[22:23] op_sel:[0,0,1] op_sel_hi:[1,1,0] neg_lo:[0,0,1] neg_hi:[0,0,1]
	v_mov_b32_e32 v15, v13
	v_pk_fma_f32 v[12:13], v[18:19], v[82:83], v[12:13] op_sel:[1,0,0] op_sel_hi:[0,1,0]
	ds_load_2addr_b64 v[4:7], v40 offset0:31 offset1:32
	v_mov_b32_e32 v23, v25
	v_pk_fma_f32 v[18:19], v[18:19], v[82:83], v[24:25] op_sel_hi:[1,1,0] neg_lo:[0,0,1] neg_hi:[0,0,1]
	v_pk_mul_f32 v[24:25], v[20:21], v[2:3] op_sel:[0,1]
	v_pk_add_f32 v[108:109], v[108:109], v[14:15] neg_lo:[0,1] neg_hi:[0,1]
	s_delay_alu instid0(VALU_DEP_4)
	v_pk_add_f32 v[110:111], v[110:111], v[22:23] neg_lo:[0,1] neg_hi:[0,1]
	s_wait_dscnt 0x1
	v_pk_mul_f32 v[30:31], v[8:9], v[2:3] op_sel:[0,1]
	v_pk_fma_f32 v[22:23], v[20:21], v[0:1], v[24:25] op_sel:[0,0,1] op_sel_hi:[1,0,0]
	v_mov_b32_e32 v19, v13
	v_pk_fma_f32 v[20:21], v[20:21], v[0:1], v[24:25] op_sel:[0,0,1] op_sel_hi:[1,1,0] neg_lo:[0,0,1] neg_hi:[0,0,1]
	ds_load_2addr_b64 v[12:15], v40 offset0:33 offset1:34
	v_pk_fma_f32 v[34:35], v[8:9], v[0:1], v[30:31] op_sel:[0,0,1] op_sel_hi:[1,0,0]
	v_mov_b32_e32 v21, v23
	v_pk_add_f32 v[106:107], v[106:107], v[18:19] neg_lo:[0,1] neg_hi:[0,1]
	v_pk_mul_f32 v[18:19], v[10:11], v[2:3] op_sel:[0,1]
	v_pk_fma_f32 v[8:9], v[8:9], v[0:1], v[30:31] op_sel:[0,0,1] op_sel_hi:[1,1,0] neg_lo:[0,0,1] neg_hi:[0,0,1]
	s_delay_alu instid0(VALU_DEP_4) | instskip(NEXT) | instid1(VALU_DEP_3)
	v_pk_add_f32 v[128:129], v[128:129], v[20:21] neg_lo:[0,1] neg_hi:[0,1]
	v_pk_fma_f32 v[24:25], v[10:11], v[0:1], v[18:19] op_sel:[0,0,1] op_sel_hi:[1,0,0]
	v_mov_b32_e32 v9, v35
	v_pk_fma_f32 v[18:19], v[10:11], v[0:1], v[18:19] op_sel:[0,0,1] op_sel_hi:[1,1,0] neg_lo:[0,0,1] neg_hi:[0,0,1]
	s_wait_dscnt 0x1
	v_pk_mul_f32 v[22:23], v[4:5], v[2:3] op_sel:[0,1]
	v_dual_mul_f32 v24, v7, v0 :: v_dual_mul_f32 v30, v7, v3
	v_mov_b32_e32 v19, v25
	v_pk_add_f32 v[124:125], v[124:125], v[8:9] neg_lo:[0,1] neg_hi:[0,1]
	ds_load_2addr_b64 v[8:11], v40 offset0:35 offset1:36
	v_pk_fma_f32 v[30:31], v[6:7], v[82:83], v[30:31] op_sel_hi:[1,1,0] neg_lo:[0,0,1] neg_hi:[0,0,1]
	v_pk_add_f32 v[126:127], v[126:127], v[18:19] neg_lo:[0,1] neg_hi:[0,1]
	v_pk_fma_f32 v[18:19], v[4:5], v[0:1], v[22:23] op_sel:[0,0,1] op_sel_hi:[1,0,0]
	v_pk_fma_f32 v[4:5], v[4:5], v[0:1], v[22:23] op_sel:[0,0,1] op_sel_hi:[1,1,0] neg_lo:[0,0,1] neg_hi:[0,0,1]
	v_dual_mov_b32 v22, v7 :: v_dual_mov_b32 v23, v6
	s_wait_dscnt 0x1
	v_pk_mul_f32 v[34:35], v[12:13], v[2:3] op_sel:[0,1]
	s_delay_alu instid0(VALU_DEP_2)
	v_pk_fma_f32 v[22:23], v[22:23], v[82:83], v[24:25] op_sel_hi:[1,1,0]
	v_mov_b32_e32 v5, v19
	ds_load_2addr_b64 v[18:21], v40 offset0:37 offset1:38
	v_pk_mul_f32 v[24:25], v[14:15], v[2:3] op_sel:[0,1]
	v_mov_b32_e32 v31, v23
	v_pk_add_f32 v[122:123], v[122:123], v[4:5] neg_lo:[0,1] neg_hi:[0,1]
	v_pk_fma_f32 v[4:5], v[12:13], v[0:1], v[34:35] op_sel:[0,0,1] op_sel_hi:[1,0,0]
	v_pk_fma_f32 v[12:13], v[12:13], v[0:1], v[34:35] op_sel:[0,0,1] op_sel_hi:[1,1,0] neg_lo:[0,0,1] neg_hi:[0,0,1]
	v_pk_fma_f32 v[22:23], v[14:15], v[0:1], v[24:25] op_sel:[0,0,1] op_sel_hi:[1,0,0]
	s_wait_dscnt 0x1
	v_pk_mul_f32 v[34:35], v[8:9], v[2:3] op_sel:[0,1]
	v_pk_fma_f32 v[14:15], v[14:15], v[0:1], v[24:25] op_sel:[0,0,1] op_sel_hi:[1,1,0] neg_lo:[0,0,1] neg_hi:[0,0,1]
	v_mov_b32_e32 v13, v5
	ds_load_2addr_b64 v[4:7], v40 offset0:39 offset1:40
	v_mov_b32_e32 v15, v23
	v_pk_mul_f32 v[22:23], v[10:11], v[2:3] op_sel:[0,1]
	v_pk_add_f32 v[144:145], v[144:145], v[30:31] neg_lo:[0,1] neg_hi:[0,1]
	v_pk_add_f32 v[140:141], v[140:141], v[12:13] neg_lo:[0,1] neg_hi:[0,1]
	v_pk_fma_f32 v[12:13], v[8:9], v[0:1], v[34:35] op_sel:[0,0,1] op_sel_hi:[1,0,0]
	v_pk_fma_f32 v[8:9], v[8:9], v[0:1], v[34:35] op_sel:[0,0,1] op_sel_hi:[1,1,0] neg_lo:[0,0,1] neg_hi:[0,0,1]
	v_pk_add_f32 v[142:143], v[142:143], v[14:15] neg_lo:[0,1] neg_hi:[0,1]
	v_pk_fma_f32 v[30:31], v[10:11], v[0:1], v[22:23] op_sel:[0,0,1] op_sel_hi:[1,0,0]
	s_wait_dscnt 0x1
	v_dual_mul_f32 v24, v19, v0 :: v_dual_mov_b32 v9, v13
	ds_load_2addr_b64 v[12:15], v40 offset0:41 offset1:42
	v_pk_fma_f32 v[10:11], v[10:11], v[0:1], v[22:23] op_sel:[0,0,1] op_sel_hi:[1,1,0] neg_lo:[0,0,1] neg_hi:[0,0,1]
	v_pk_mul_f32 v[22:23], v[20:21], v[2:3] op_sel:[0,1]
	v_pk_fma_f32 v[24:25], v[18:19], v[82:83], v[24:25] op_sel:[1,0,0] op_sel_hi:[0,1,0]
	v_mul_f32_e32 v30, v19, v3
	v_pk_add_f32 v[138:139], v[138:139], v[8:9] neg_lo:[0,1] neg_hi:[0,1]
	s_delay_alu instid0(VALU_DEP_4) | instskip(SKIP_1) | instid1(VALU_DEP_4)
	v_pk_fma_f32 v[8:9], v[20:21], v[0:1], v[22:23] op_sel:[0,0,1] op_sel_hi:[1,0,0]
	v_mov_b32_e32 v11, v31
	v_pk_fma_f32 v[18:19], v[18:19], v[82:83], v[30:31] op_sel_hi:[1,1,0] neg_lo:[0,0,1] neg_hi:[0,0,1]
	v_mov_b32_e32 v19, v25
	s_wait_dscnt 0x1
	v_pk_mul_f32 v[24:25], v[4:5], v[2:3] op_sel:[0,1]
	v_pk_fma_f32 v[20:21], v[20:21], v[0:1], v[22:23] op_sel:[0,0,1] op_sel_hi:[1,1,0] neg_lo:[0,0,1] neg_hi:[0,0,1]
	v_mov_b32_e32 v21, v9
	v_pk_add_f32 v[162:163], v[162:163], v[10:11] neg_lo:[0,1] neg_hi:[0,1]
	v_pk_add_f32 v[158:159], v[158:159], v[18:19] neg_lo:[0,1] neg_hi:[0,1]
	v_pk_fma_f32 v[18:19], v[4:5], v[0:1], v[24:25] op_sel:[0,0,1] op_sel_hi:[1,0,0]
	ds_load_2addr_b64 v[8:11], v40 offset0:43 offset1:44
	v_pk_fma_f32 v[4:5], v[4:5], v[0:1], v[24:25] op_sel:[0,0,1] op_sel_hi:[1,1,0] neg_lo:[0,0,1] neg_hi:[0,0,1]
	v_pk_mul_f32 v[22:23], v[6:7], v[2:3] op_sel:[0,1]
	v_pk_add_f32 v[160:161], v[160:161], v[20:21] neg_lo:[0,1] neg_hi:[0,1]
	s_wait_dscnt 0x1
	v_dual_mov_b32 v5, v19 :: v_dual_mov_b32 v30, v15
	ds_load_2addr_b64 v[18:21], v40 offset0:45 offset1:46
	v_pk_mul_f32 v[24:25], v[12:13], v[2:3] op_sel:[0,1]
	v_mov_b32_e32 v31, v14
	v_pk_add_f32 v[156:157], v[156:157], v[4:5] neg_lo:[0,1] neg_hi:[0,1]
	v_pk_fma_f32 v[4:5], v[6:7], v[0:1], v[22:23] op_sel:[0,0,1] op_sel_hi:[1,1,0] neg_lo:[0,0,1] neg_hi:[0,0,1]
	v_pk_fma_f32 v[6:7], v[6:7], v[0:1], v[22:23] op_sel:[0,0,1] op_sel_hi:[1,0,0]
	v_pk_fma_f32 v[22:23], v[12:13], v[0:1], v[24:25] op_sel:[0,0,1] op_sel_hi:[1,0,0]
	v_mul_f32_e32 v6, v15, v0
	v_pk_fma_f32 v[12:13], v[12:13], v[0:1], v[24:25] op_sel:[0,0,1] op_sel_hi:[1,1,0] neg_lo:[0,0,1] neg_hi:[0,0,1]
	v_mul_f32_e32 v22, v15, v3
	s_delay_alu instid0(VALU_DEP_4) | instskip(NEXT) | instid1(VALU_DEP_4)
	v_dual_mov_b32 v5, v7 :: v_dual_mov_b32 v13, v23
	v_pk_fma_f32 v[6:7], v[30:31], v[82:83], v[6:7] op_sel_hi:[1,1,0]
	s_delay_alu instid0(VALU_DEP_2)
	v_pk_add_f32 v[182:183], v[182:183], v[4:5] neg_lo:[0,1] neg_hi:[0,1]
	s_wait_dscnt 0x1
	v_pk_mul_f32 v[4:5], v[8:9], v[2:3] op_sel:[0,1]
	v_pk_add_f32 v[176:177], v[176:177], v[12:13] neg_lo:[0,1] neg_hi:[0,1]
	v_pk_fma_f32 v[12:13], v[14:15], v[82:83], v[22:23] op_sel_hi:[1,1,0] neg_lo:[0,0,1] neg_hi:[0,0,1]
	v_mov_b32_e32 v13, v7
	v_pk_mul_f32 v[6:7], v[10:11], v[2:3] op_sel:[0,1]
	v_pk_fma_f32 v[14:15], v[8:9], v[0:1], v[4:5] op_sel:[0,0,1] op_sel_hi:[1,0,0]
	s_wait_dscnt 0x0
	v_pk_mul_f32 v[22:23], v[18:19], v[2:3] op_sel:[0,1]
	v_pk_mul_f32 v[2:3], v[20:21], v[2:3] op_sel:[0,1]
	v_pk_fma_f32 v[4:5], v[8:9], v[0:1], v[4:5] op_sel:[0,0,1] op_sel_hi:[1,1,0] neg_lo:[0,0,1] neg_hi:[0,0,1]
	v_pk_fma_f32 v[8:9], v[10:11], v[0:1], v[6:7] op_sel:[0,0,1] op_sel_hi:[1,0,0]
	v_mov_b32_e32 v5, v15
	v_pk_fma_f32 v[14:15], v[18:19], v[0:1], v[22:23] op_sel:[0,0,1] op_sel_hi:[1,0,0]
	v_pk_fma_f32 v[6:7], v[10:11], v[0:1], v[6:7] op_sel:[0,0,1] op_sel_hi:[1,1,0] neg_lo:[0,0,1] neg_hi:[0,0,1]
	v_pk_fma_f32 v[10:11], v[20:21], v[0:1], v[2:3] op_sel:[0,0,1] op_sel_hi:[1,0,0]
	v_mov_b32_e32 v7, v9
	v_pk_fma_f32 v[8:9], v[18:19], v[0:1], v[22:23] op_sel:[0,0,1] op_sel_hi:[1,1,0] neg_lo:[0,0,1] neg_hi:[0,0,1]
	v_pk_fma_f32 v[0:1], v[20:21], v[0:1], v[2:3] op_sel:[0,0,1] op_sel_hi:[1,1,0] neg_lo:[0,0,1] neg_hi:[0,0,1]
	s_delay_alu instid0(VALU_DEP_4) | instskip(SKIP_3) | instid1(VALU_DEP_4)
	v_dual_mov_b32 v9, v15 :: v_dual_mov_b32 v1, v11
	v_pk_add_f32 v[180:181], v[180:181], v[12:13] neg_lo:[0,1] neg_hi:[0,1]
	v_pk_add_f32 v[174:175], v[174:175], v[4:5] neg_lo:[0,1] neg_hi:[0,1]
	;; [unrolled: 1-line block ×5, first 2 shown]
.LBB93_82:
	s_or_b32 exec_lo, exec_lo, s1
	s_delay_alu instid0(SALU_CYCLE_1)
	s_mov_b32 s2, exec_lo
	s_wait_dscnt 0x0
	s_barrier_signal -1
	s_barrier_wait -1
	v_cmpx_eq_u32_e32 9, v36
	s_cbranch_execz .LBB93_89
; %bb.83:
	v_dual_mov_b32 v0, v28 :: v_dual_mov_b32 v1, v29
	v_dual_mov_b32 v2, v26 :: v_dual_mov_b32 v3, v27
	;; [unrolled: 1-line block ×10, first 2 shown]
	ds_store_b64 v37, v[80:81]
	v_dual_mov_b32 v22, v94 :: v_dual_mov_b32 v23, v95
	v_dual_mov_b32 v24, v90 :: v_dual_mov_b32 v25, v91
	ds_store_2addr_b64 v40, v[0:1], v[2:3] offset0:10 offset1:11
	ds_store_2addr_b64 v40, v[4:5], v[6:7] offset0:12 offset1:13
	;; [unrolled: 1-line block ×6, first 2 shown]
	v_dual_mov_b32 v0, v92 :: v_dual_mov_b32 v1, v93
	v_dual_mov_b32 v2, v88 :: v_dual_mov_b32 v3, v89
	;; [unrolled: 1-line block ×12, first 2 shown]
	ds_store_2addr_b64 v40, v[0:1], v[2:3] offset0:22 offset1:23
	ds_store_2addr_b64 v40, v[4:5], v[6:7] offset0:24 offset1:25
	;; [unrolled: 1-line block ×6, first 2 shown]
	v_dual_mov_b32 v0, v142 :: v_dual_mov_b32 v1, v143
	v_dual_mov_b32 v2, v138 :: v_dual_mov_b32 v3, v139
	;; [unrolled: 1-line block ×12, first 2 shown]
	ds_store_2addr_b64 v40, v[0:1], v[2:3] offset0:34 offset1:35
	ds_store_2addr_b64 v40, v[4:5], v[6:7] offset0:36 offset1:37
	;; [unrolled: 1-line block ×6, first 2 shown]
	ds_store_b64 v40, v[188:189] offset:368
	ds_load_b64 v[0:1], v37
	s_wait_dscnt 0x0
	v_cmp_neq_f32_e32 vcc_lo, 0, v0
	v_cmp_neq_f32_e64 s1, 0, v1
	s_or_b32 s1, vcc_lo, s1
	s_delay_alu instid0(SALU_CYCLE_1)
	s_and_b32 exec_lo, exec_lo, s1
	s_cbranch_execz .LBB93_89
; %bb.84:
	v_cmp_ngt_f32_e64 s1, |v0|, |v1|
                                        ; implicit-def: $vgpr2_vgpr3
	s_and_saveexec_b32 s4, s1
	s_delay_alu instid0(SALU_CYCLE_1)
	s_xor_b32 s1, exec_lo, s4
	s_cbranch_execz .LBB93_86
; %bb.85:
	v_div_scale_f32 v2, null, v1, v1, v0
	v_div_scale_f32 v5, vcc_lo, v0, v1, v0
	s_delay_alu instid0(VALU_DEP_2) | instskip(SKIP_1) | instid1(TRANS32_DEP_1)
	v_rcp_f32_e32 v3, v2
	v_nop
	v_fma_f32 v4, -v2, v3, 1.0
	s_delay_alu instid0(VALU_DEP_1) | instskip(NEXT) | instid1(VALU_DEP_1)
	v_fmac_f32_e32 v3, v4, v3
	v_mul_f32_e32 v4, v5, v3
	s_delay_alu instid0(VALU_DEP_1) | instskip(NEXT) | instid1(VALU_DEP_1)
	v_fma_f32 v6, -v2, v4, v5
	v_fmac_f32_e32 v4, v6, v3
	s_delay_alu instid0(VALU_DEP_1) | instskip(NEXT) | instid1(VALU_DEP_1)
	v_fma_f32 v2, -v2, v4, v5
	v_div_fmas_f32 v2, v2, v3, v4
	s_delay_alu instid0(VALU_DEP_1) | instskip(NEXT) | instid1(VALU_DEP_1)
	v_div_fixup_f32 v2, v2, v1, v0
	v_fmac_f32_e32 v1, v0, v2
	s_delay_alu instid0(VALU_DEP_1) | instskip(SKIP_1) | instid1(VALU_DEP_2)
	v_div_scale_f32 v0, null, v1, v1, 1.0
	v_div_scale_f32 v5, vcc_lo, 1.0, v1, 1.0
	v_rcp_f32_e32 v3, v0
	v_nop
	s_delay_alu instid0(TRANS32_DEP_1) | instskip(NEXT) | instid1(VALU_DEP_1)
	v_fma_f32 v4, -v0, v3, 1.0
	v_fmac_f32_e32 v3, v4, v3
	s_delay_alu instid0(VALU_DEP_1) | instskip(NEXT) | instid1(VALU_DEP_1)
	v_mul_f32_e32 v4, v5, v3
	v_fma_f32 v6, -v0, v4, v5
	s_delay_alu instid0(VALU_DEP_1) | instskip(NEXT) | instid1(VALU_DEP_1)
	v_fmac_f32_e32 v4, v6, v3
	v_fma_f32 v0, -v0, v4, v5
	s_delay_alu instid0(VALU_DEP_1) | instskip(NEXT) | instid1(VALU_DEP_1)
	v_div_fmas_f32 v0, v0, v3, v4
	v_div_fixup_f32 v0, v0, v1, 1.0
	s_delay_alu instid0(VALU_DEP_1)
	v_mul_f32_e32 v2, v2, v0
	v_xor_b32_e32 v3, 0x80000000, v0
                                        ; implicit-def: $vgpr0_vgpr1
.LBB93_86:
	s_and_not1_saveexec_b32 s1, s1
	s_cbranch_execz .LBB93_88
; %bb.87:
	v_div_scale_f32 v2, null, v0, v0, v1
	v_div_scale_f32 v5, vcc_lo, v1, v0, v1
	s_delay_alu instid0(VALU_DEP_2) | instskip(SKIP_1) | instid1(TRANS32_DEP_1)
	v_rcp_f32_e32 v3, v2
	v_nop
	v_fma_f32 v4, -v2, v3, 1.0
	s_delay_alu instid0(VALU_DEP_1) | instskip(NEXT) | instid1(VALU_DEP_1)
	v_fmac_f32_e32 v3, v4, v3
	v_mul_f32_e32 v4, v5, v3
	s_delay_alu instid0(VALU_DEP_1) | instskip(NEXT) | instid1(VALU_DEP_1)
	v_fma_f32 v6, -v2, v4, v5
	v_fmac_f32_e32 v4, v6, v3
	s_delay_alu instid0(VALU_DEP_1) | instskip(NEXT) | instid1(VALU_DEP_1)
	v_fma_f32 v2, -v2, v4, v5
	v_div_fmas_f32 v2, v2, v3, v4
	s_delay_alu instid0(VALU_DEP_1) | instskip(NEXT) | instid1(VALU_DEP_1)
	v_div_fixup_f32 v3, v2, v0, v1
	v_fmac_f32_e32 v0, v1, v3
	s_delay_alu instid0(VALU_DEP_1) | instskip(NEXT) | instid1(VALU_DEP_1)
	v_div_scale_f32 v1, null, v0, v0, 1.0
	v_rcp_f32_e32 v2, v1
	v_nop
	s_delay_alu instid0(TRANS32_DEP_1) | instskip(NEXT) | instid1(VALU_DEP_1)
	v_fma_f32 v4, -v1, v2, 1.0
	v_fmac_f32_e32 v2, v4, v2
	v_div_scale_f32 v4, vcc_lo, 1.0, v0, 1.0
	s_delay_alu instid0(VALU_DEP_1) | instskip(NEXT) | instid1(VALU_DEP_1)
	v_mul_f32_e32 v5, v4, v2
	v_fma_f32 v6, -v1, v5, v4
	s_delay_alu instid0(VALU_DEP_1) | instskip(NEXT) | instid1(VALU_DEP_1)
	v_fmac_f32_e32 v5, v6, v2
	v_fma_f32 v1, -v1, v5, v4
	s_delay_alu instid0(VALU_DEP_1) | instskip(NEXT) | instid1(VALU_DEP_1)
	v_div_fmas_f32 v1, v1, v2, v5
	v_div_fixup_f32 v2, v1, v0, 1.0
	s_delay_alu instid0(VALU_DEP_1)
	v_mul_f32_e64 v3, v3, -v2
.LBB93_88:
	s_or_b32 exec_lo, exec_lo, s1
	ds_store_b64 v37, v[2:3]
.LBB93_89:
	s_or_b32 exec_lo, exec_lo, s2
	s_wait_dscnt 0x0
	s_barrier_signal -1
	s_barrier_wait -1
	ds_load_b64 v[208:209], v37
	s_mov_b32 s1, exec_lo
	v_cmpx_lt_u32_e32 9, v36
	s_cbranch_execz .LBB93_91
; %bb.90:
	ds_load_2addr_b64 v[4:7], v40 offset0:10 offset1:11
	ds_load_2addr_b64 v[8:11], v40 offset0:12 offset1:13
	;; [unrolled: 1-line block ×3, first 2 shown]
	s_wait_dscnt 0x3
	v_pk_mul_f32 v[2:3], v[208:209], v[80:81] op_sel:[1,1] op_sel_hi:[0,1]
	ds_load_2addr_b64 v[18:21], v40 offset0:16 offset1:17
	ds_load_2addr_b64 v[22:25], v40 offset0:18 offset1:19
	v_pk_fma_f32 v[0:1], v[208:209], v[80:81], v[2:3] op_sel_hi:[1,0,1] neg_lo:[0,0,1] neg_hi:[0,0,1]
	v_pk_fma_f32 v[2:3], v[208:209], v[80:81], v[2:3] op_sel_hi:[1,0,1]
	s_delay_alu instid0(VALU_DEP_1) | instskip(SKIP_1) | instid1(VALU_DEP_2)
	v_dual_mov_b32 v80, v0 :: v_dual_mov_b32 v81, v3
	s_wait_dscnt 0x4
	v_pk_mul_f32 v[30:31], v[4:5], v[2:3] op_sel:[0,1]
	v_pk_mul_f32 v[34:35], v[6:7], v[2:3] op_sel:[0,1]
	s_wait_dscnt 0x3
	v_pk_mul_f32 v[50:51], v[8:9], v[2:3] op_sel:[0,1]
	v_dual_mov_b32 v52, v11 :: v_dual_mov_b32 v53, v10
	v_dual_mul_f32 v210, v11, v3 :: v_dual_mul_f32 v212, v11, v0
	v_pk_fma_f32 v[218:219], v[4:5], v[0:1], v[30:31] op_sel:[0,0,1] op_sel_hi:[1,1,0] neg_lo:[0,0,1] neg_hi:[0,0,1]
	v_pk_fma_f32 v[4:5], v[4:5], v[0:1], v[30:31] op_sel:[0,0,1] op_sel_hi:[1,0,0]
	v_pk_fma_f32 v[30:31], v[6:7], v[0:1], v[34:35] op_sel:[0,0,1] op_sel_hi:[1,1,0] neg_lo:[0,0,1] neg_hi:[0,0,1]
	v_pk_fma_f32 v[6:7], v[6:7], v[0:1], v[34:35] op_sel:[0,0,1] op_sel_hi:[1,0,0]
	;; [unrolled: 2-line block ×3, first 2 shown]
	v_pk_fma_f32 v[50:51], v[52:53], v[80:81], v[212:213] op_sel_hi:[1,1,0]
	v_pk_fma_f32 v[10:11], v[10:11], v[80:81], v[210:211] op_sel_hi:[1,1,0] neg_lo:[0,0,1] neg_hi:[0,0,1]
	s_wait_dscnt 0x2
	v_pk_mul_f32 v[214:215], v[12:13], v[2:3] op_sel:[0,1]
	v_pk_mul_f32 v[216:217], v[14:15], v[2:3] op_sel:[0,1]
	v_dual_mov_b32 v219, v5 :: v_dual_mov_b32 v31, v7
	v_dual_mov_b32 v35, v9 :: v_dual_mov_b32 v11, v51
	s_delay_alu instid0(VALU_DEP_4)
	v_pk_fma_f32 v[8:9], v[12:13], v[0:1], v[214:215] op_sel:[0,0,1] op_sel_hi:[1,0,0]
	ds_load_2addr_b64 v[4:7], v40 offset0:20 offset1:21
	v_pk_add_f32 v[26:27], v[26:27], v[30:31] neg_lo:[0,1] neg_hi:[0,1]
	v_pk_fma_f32 v[30:31], v[14:15], v[0:1], v[216:217] op_sel:[0,0,1] op_sel_hi:[1,0,0]
	v_pk_add_f32 v[44:45], v[44:45], v[10:11] neg_lo:[0,1] neg_hi:[0,1]
	s_wait_dscnt 0x2
	v_pk_mul_f32 v[10:11], v[18:19], v[2:3] op_sel:[0,1]
	v_pk_fma_f32 v[12:13], v[12:13], v[0:1], v[214:215] op_sel:[0,0,1] op_sel_hi:[1,1,0] neg_lo:[0,0,1] neg_hi:[0,0,1]
	v_pk_fma_f32 v[14:15], v[14:15], v[0:1], v[216:217] op_sel:[0,0,1] op_sel_hi:[1,1,0] neg_lo:[0,0,1] neg_hi:[0,0,1]
	v_dual_mov_b32 v13, v9 :: v_dual_mov_b32 v15, v31
	s_delay_alu instid0(VALU_DEP_4) | instskip(SKIP_2) | instid1(VALU_DEP_4)
	v_pk_fma_f32 v[8:9], v[18:19], v[0:1], v[10:11] op_sel:[0,0,1] op_sel_hi:[1,0,0]
	v_pk_mul_f32 v[30:31], v[20:21], v[2:3] op_sel:[0,1]
	v_pk_fma_f32 v[18:19], v[18:19], v[0:1], v[10:11] op_sel:[0,0,1] op_sel_hi:[1,1,0] neg_lo:[0,0,1] neg_hi:[0,0,1]
	v_pk_add_f32 v[46:47], v[46:47], v[12:13] neg_lo:[0,1] neg_hi:[0,1]
	v_pk_add_f32 v[42:43], v[42:43], v[14:15] neg_lo:[0,1] neg_hi:[0,1]
	v_mov_b32_e32 v19, v9
	v_pk_fma_f32 v[12:13], v[20:21], v[0:1], v[30:31] op_sel:[0,0,1] op_sel_hi:[1,0,0]
	ds_load_2addr_b64 v[8:11], v40 offset0:22 offset1:23
	v_pk_fma_f32 v[14:15], v[20:21], v[0:1], v[30:31] op_sel:[0,0,1] op_sel_hi:[1,1,0] neg_lo:[0,0,1] neg_hi:[0,0,1]
	s_wait_dscnt 0x2
	v_mul_f32_e32 v12, v23, v0
	v_pk_add_f32 v[70:71], v[70:71], v[18:19] neg_lo:[0,1] neg_hi:[0,1]
	v_dual_mov_b32 v15, v13 :: v_dual_mul_f32 v18, v23, v3
	v_pk_mul_f32 v[20:21], v[24:25], v[2:3] op_sel:[0,1]
	s_delay_alu instid0(VALU_DEP_4)
	v_pk_fma_f32 v[12:13], v[22:23], v[80:81], v[12:13] op_sel:[1,0,0] op_sel_hi:[0,1,0]
	s_wait_dscnt 0x1
	v_pk_mul_f32 v[30:31], v[4:5], v[2:3] op_sel:[0,1]
	v_pk_add_f32 v[48:49], v[48:49], v[34:35] neg_lo:[0,1] neg_hi:[0,1]
	v_pk_fma_f32 v[18:19], v[22:23], v[80:81], v[18:19] op_sel_hi:[1,1,0] neg_lo:[0,0,1] neg_hi:[0,0,1]
	v_pk_fma_f32 v[22:23], v[24:25], v[0:1], v[20:21] op_sel:[0,0,1] op_sel_hi:[1,0,0]
	v_pk_fma_f32 v[20:21], v[24:25], v[0:1], v[20:21] op_sel:[0,0,1] op_sel_hi:[1,1,0] neg_lo:[0,0,1] neg_hi:[0,0,1]
	v_mov_b32_e32 v19, v13
	v_pk_fma_f32 v[34:35], v[4:5], v[0:1], v[30:31] op_sel:[0,0,1] op_sel_hi:[1,0,0]
	v_pk_fma_f32 v[4:5], v[4:5], v[0:1], v[30:31] op_sel:[0,0,1] op_sel_hi:[1,1,0] neg_lo:[0,0,1] neg_hi:[0,0,1]
	v_mov_b32_e32 v21, v23
	v_pk_mul_f32 v[22:23], v[6:7], v[2:3] op_sel:[0,1]
	v_pk_add_f32 v[66:67], v[66:67], v[14:15] neg_lo:[0,1] neg_hi:[0,1]
	ds_load_2addr_b64 v[12:15], v40 offset0:24 offset1:25
	v_pk_add_f32 v[68:69], v[68:69], v[18:19] neg_lo:[0,1] neg_hi:[0,1]
	s_wait_dscnt 0x1
	v_pk_mul_f32 v[24:25], v[8:9], v[2:3] op_sel:[0,1]
	v_pk_fma_f32 v[18:19], v[6:7], v[0:1], v[22:23] op_sel:[0,0,1] op_sel_hi:[1,0,0]
	v_mov_b32_e32 v5, v35
	v_pk_fma_f32 v[22:23], v[6:7], v[0:1], v[22:23] op_sel:[0,0,1] op_sel_hi:[1,1,0] neg_lo:[0,0,1] neg_hi:[0,0,1]
	v_pk_add_f32 v[64:65], v[64:65], v[20:21] neg_lo:[0,1] neg_hi:[0,1]
	v_pk_fma_f32 v[20:21], v[8:9], v[0:1], v[24:25] op_sel:[0,0,1] op_sel_hi:[1,0,0]
	v_mov_b32_e32 v23, v19
	v_pk_add_f32 v[94:95], v[94:95], v[4:5] neg_lo:[0,1] neg_hi:[0,1]
	ds_load_2addr_b64 v[4:7], v40 offset0:26 offset1:27
	v_pk_fma_f32 v[8:9], v[8:9], v[0:1], v[24:25] op_sel:[0,0,1] op_sel_hi:[1,1,0] neg_lo:[0,0,1] neg_hi:[0,0,1]
	v_dual_mov_b32 v9, v21 :: v_dual_mov_b32 v18, v11
	v_dual_mov_b32 v19, v10 :: v_dual_mul_f32 v20, v11, v0
	v_pk_add_f32 v[90:91], v[90:91], v[22:23] neg_lo:[0,1] neg_hi:[0,1]
	s_delay_alu instid0(VALU_DEP_3)
	v_pk_add_f32 v[92:93], v[92:93], v[8:9] neg_lo:[0,1] neg_hi:[0,1]
	v_mul_f32_e32 v8, v11, v3
	v_pk_add_f32 v[28:29], v[28:29], v[218:219] neg_lo:[0,1] neg_hi:[0,1]
	s_wait_dscnt 0x1
	v_pk_mul_f32 v[24:25], v[12:13], v[2:3] op_sel:[0,1]
	v_pk_fma_f32 v[22:23], v[18:19], v[80:81], v[20:21] op_sel_hi:[1,1,0]
	v_pk_mul_f32 v[34:35], v[14:15], v[2:3] op_sel:[0,1]
	ds_load_2addr_b64 v[18:21], v40 offset0:28 offset1:29
	v_pk_fma_f32 v[50:51], v[10:11], v[80:81], v[8:9] op_sel_hi:[1,1,0] neg_lo:[0,0,1] neg_hi:[0,0,1]
	v_pk_fma_f32 v[30:31], v[12:13], v[0:1], v[24:25] op_sel:[0,0,1] op_sel_hi:[1,0,0]
	v_mov_b32_e32 v51, v23
	v_pk_fma_f32 v[12:13], v[12:13], v[0:1], v[24:25] op_sel:[0,0,1] op_sel_hi:[1,1,0] neg_lo:[0,0,1] neg_hi:[0,0,1]
	v_pk_fma_f32 v[22:23], v[14:15], v[0:1], v[34:35] op_sel:[0,0,1] op_sel_hi:[1,0,0]
	ds_load_2addr_b64 v[8:11], v40 offset0:30 offset1:31
	s_wait_dscnt 0x2
	v_pk_mul_f32 v[24:25], v[4:5], v[2:3] op_sel:[0,1]
	v_pk_fma_f32 v[14:15], v[14:15], v[0:1], v[34:35] op_sel:[0,0,1] op_sel_hi:[1,1,0] neg_lo:[0,0,1] neg_hi:[0,0,1]
	v_mov_b32_e32 v13, v31
	v_pk_add_f32 v[88:89], v[88:89], v[50:51] neg_lo:[0,1] neg_hi:[0,1]
	s_delay_alu instid0(VALU_DEP_4)
	v_pk_fma_f32 v[30:31], v[4:5], v[0:1], v[24:25] op_sel:[0,0,1] op_sel_hi:[1,0,0]
	v_mov_b32_e32 v15, v23
	v_pk_mul_f32 v[22:23], v[6:7], v[2:3] op_sel:[0,1]
	v_pk_fma_f32 v[4:5], v[4:5], v[0:1], v[24:25] op_sel:[0,0,1] op_sel_hi:[1,1,0] neg_lo:[0,0,1] neg_hi:[0,0,1]
	v_pk_add_f32 v[112:113], v[112:113], v[12:13] neg_lo:[0,1] neg_hi:[0,1]
	v_mov_b32_e32 v5, v31
	v_pk_add_f32 v[108:109], v[108:109], v[14:15] neg_lo:[0,1] neg_hi:[0,1]
	ds_load_2addr_b64 v[12:15], v40 offset0:32 offset1:33
	v_pk_fma_f32 v[24:25], v[6:7], v[0:1], v[22:23] op_sel:[0,0,1] op_sel_hi:[1,0,0]
	v_pk_fma_f32 v[6:7], v[6:7], v[0:1], v[22:23] op_sel:[0,0,1] op_sel_hi:[1,1,0] neg_lo:[0,0,1] neg_hi:[0,0,1]
	s_wait_dscnt 0x2
	v_dual_mul_f32 v22, v19, v0 :: v_dual_mul_f32 v24, v19, v3
	v_pk_add_f32 v[110:111], v[110:111], v[4:5] neg_lo:[0,1] neg_hi:[0,1]
	v_mov_b32_e32 v7, v25
	v_pk_mul_f32 v[4:5], v[20:21], v[2:3] op_sel:[0,1]
	s_delay_alu instid0(VALU_DEP_4)
	v_pk_fma_f32 v[22:23], v[18:19], v[80:81], v[22:23] op_sel:[1,0,0] op_sel_hi:[0,1,0]
	s_wait_dscnt 0x1
	v_pk_mul_f32 v[30:31], v[8:9], v[2:3] op_sel:[0,1]
	v_pk_fma_f32 v[18:19], v[18:19], v[80:81], v[24:25] op_sel_hi:[1,1,0] neg_lo:[0,0,1] neg_hi:[0,0,1]
	v_pk_add_f32 v[106:107], v[106:107], v[6:7] neg_lo:[0,1] neg_hi:[0,1]
	v_pk_fma_f32 v[6:7], v[20:21], v[0:1], v[4:5] op_sel:[0,0,1] op_sel_hi:[1,0,0]
	v_mov_b32_e32 v19, v23
	v_pk_fma_f32 v[20:21], v[20:21], v[0:1], v[4:5] op_sel:[0,0,1] op_sel_hi:[1,1,0] neg_lo:[0,0,1] neg_hi:[0,0,1]
	v_pk_fma_f32 v[22:23], v[8:9], v[0:1], v[30:31] op_sel:[0,0,1] op_sel_hi:[1,0,0]
	v_pk_mul_f32 v[24:25], v[10:11], v[2:3] op_sel:[0,1]
	v_mov_b32_e32 v21, v7
	ds_load_2addr_b64 v[4:7], v40 offset0:34 offset1:35
	v_pk_fma_f32 v[8:9], v[8:9], v[0:1], v[30:31] op_sel:[0,0,1] op_sel_hi:[1,1,0] neg_lo:[0,0,1] neg_hi:[0,0,1]
	v_pk_add_f32 v[128:129], v[128:129], v[18:19] neg_lo:[0,1] neg_hi:[0,1]
	v_pk_fma_f32 v[18:19], v[10:11], v[0:1], v[24:25] op_sel:[0,0,1] op_sel_hi:[1,0,0]
	v_mov_b32_e32 v9, v23
	s_wait_dscnt 0x1
	v_pk_mul_f32 v[22:23], v[12:13], v[2:3] op_sel:[0,1]
	v_pk_fma_f32 v[24:25], v[10:11], v[0:1], v[24:25] op_sel:[0,0,1] op_sel_hi:[1,1,0] neg_lo:[0,0,1] neg_hi:[0,0,1]
	v_pk_add_f32 v[124:125], v[124:125], v[20:21] neg_lo:[0,1] neg_hi:[0,1]
	v_mov_b32_e32 v25, v19
	v_pk_add_f32 v[126:127], v[126:127], v[8:9] neg_lo:[0,1] neg_hi:[0,1]
	v_pk_fma_f32 v[20:21], v[12:13], v[0:1], v[22:23] op_sel:[0,0,1] op_sel_hi:[1,0,0]
	ds_load_2addr_b64 v[8:11], v40 offset0:36 offset1:37
	v_pk_fma_f32 v[12:13], v[12:13], v[0:1], v[22:23] op_sel:[0,0,1] op_sel_hi:[1,1,0] neg_lo:[0,0,1] neg_hi:[0,0,1]
	v_dual_mov_b32 v18, v15 :: v_dual_mov_b32 v19, v14
	v_dual_mul_f32 v20, v15, v0 :: v_dual_mov_b32 v13, v21
	v_pk_add_f32 v[122:123], v[122:123], v[24:25] neg_lo:[0,1] neg_hi:[0,1]
	s_delay_alu instid0(VALU_DEP_2) | instskip(SKIP_1) | instid1(VALU_DEP_4)
	v_pk_fma_f32 v[24:25], v[18:19], v[80:81], v[20:21] op_sel_hi:[1,1,0]
	v_mul_f32_e32 v22, v15, v3
	v_pk_add_f32 v[144:145], v[144:145], v[12:13] neg_lo:[0,1] neg_hi:[0,1]
	s_wait_dscnt 0x1
	v_pk_mul_f32 v[12:13], v[4:5], v[2:3] op_sel:[0,1]
	v_pk_mul_f32 v[30:31], v[6:7], v[2:3] op_sel:[0,1]
	ds_load_2addr_b64 v[18:21], v40 offset0:38 offset1:39
	v_pk_fma_f32 v[14:15], v[14:15], v[80:81], v[22:23] op_sel_hi:[1,1,0] neg_lo:[0,0,1] neg_hi:[0,0,1]
	v_mov_b32_e32 v15, v25
	v_pk_fma_f32 v[34:35], v[4:5], v[0:1], v[12:13] op_sel:[0,0,1] op_sel_hi:[1,0,0]
	v_pk_fma_f32 v[12:13], v[4:5], v[0:1], v[12:13] op_sel:[0,0,1] op_sel_hi:[1,1,0] neg_lo:[0,0,1] neg_hi:[0,0,1]
	v_pk_fma_f32 v[22:23], v[6:7], v[0:1], v[30:31] op_sel:[0,0,1] op_sel_hi:[1,0,0]
	v_pk_fma_f32 v[24:25], v[6:7], v[0:1], v[30:31] op_sel:[0,0,1] op_sel_hi:[1,1,0] neg_lo:[0,0,1] neg_hi:[0,0,1]
	ds_load_2addr_b64 v[4:7], v40 offset0:40 offset1:41
	s_wait_dscnt 0x2
	v_pk_mul_f32 v[30:31], v[8:9], v[2:3] op_sel:[0,1]
	v_dual_mov_b32 v13, v35 :: v_dual_mov_b32 v25, v23
	v_pk_mul_f32 v[22:23], v[10:11], v[2:3] op_sel:[0,1]
	v_pk_add_f32 v[140:141], v[140:141], v[14:15] neg_lo:[0,1] neg_hi:[0,1]
	s_delay_alu instid0(VALU_DEP_4) | instskip(NEXT) | instid1(VALU_DEP_4)
	v_pk_fma_f32 v[14:15], v[8:9], v[0:1], v[30:31] op_sel:[0,0,1] op_sel_hi:[1,0,0]
	v_pk_add_f32 v[142:143], v[142:143], v[12:13] neg_lo:[0,1] neg_hi:[0,1]
	v_pk_add_f32 v[138:139], v[138:139], v[24:25] neg_lo:[0,1] neg_hi:[0,1]
	v_pk_fma_f32 v[24:25], v[8:9], v[0:1], v[30:31] op_sel:[0,0,1] op_sel_hi:[1,1,0] neg_lo:[0,0,1] neg_hi:[0,0,1]
	v_pk_fma_f32 v[12:13], v[10:11], v[0:1], v[22:23] op_sel:[0,0,1] op_sel_hi:[1,0,0]
	v_mov_b32_e32 v25, v15
	v_pk_fma_f32 v[14:15], v[10:11], v[0:1], v[22:23] op_sel:[0,0,1] op_sel_hi:[1,1,0] neg_lo:[0,0,1] neg_hi:[0,0,1]
	ds_load_2addr_b64 v[8:11], v40 offset0:42 offset1:43
	s_wait_dscnt 0x2
	v_dual_mul_f32 v12, v19, v0 :: v_dual_mul_f32 v22, v19, v3
	v_mov_b32_e32 v15, v13
	v_pk_add_f32 v[162:163], v[162:163], v[24:25] neg_lo:[0,1] neg_hi:[0,1]
	v_pk_mul_f32 v[24:25], v[20:21], v[2:3] op_sel:[0,1]
	s_delay_alu instid0(VALU_DEP_4)
	v_pk_fma_f32 v[12:13], v[18:19], v[80:81], v[12:13] op_sel:[1,0,0] op_sel_hi:[0,1,0]
	v_pk_fma_f32 v[18:19], v[18:19], v[80:81], v[22:23] op_sel_hi:[1,1,0] neg_lo:[0,0,1] neg_hi:[0,0,1]
	s_wait_dscnt 0x1
	v_pk_mul_f32 v[22:23], v[4:5], v[2:3] op_sel:[0,1]
	v_pk_add_f32 v[158:159], v[158:159], v[14:15] neg_lo:[0,1] neg_hi:[0,1]
	v_pk_fma_f32 v[30:31], v[20:21], v[0:1], v[24:25] op_sel:[0,0,1] op_sel_hi:[1,0,0]
	v_mov_b32_e32 v19, v13
	v_pk_mul_f32 v[34:35], v[6:7], v[2:3] op_sel:[0,1]
	v_pk_fma_f32 v[20:21], v[20:21], v[0:1], v[24:25] op_sel:[0,0,1] op_sel_hi:[1,1,0] neg_lo:[0,0,1] neg_hi:[0,0,1]
	v_pk_fma_f32 v[24:25], v[4:5], v[0:1], v[22:23] op_sel:[0,0,1] op_sel_hi:[1,0,0]
	ds_load_2addr_b64 v[12:15], v40 offset0:44 offset1:45
	v_pk_fma_f32 v[4:5], v[4:5], v[0:1], v[22:23] op_sel:[0,0,1] op_sel_hi:[1,1,0] neg_lo:[0,0,1] neg_hi:[0,0,1]
	ds_load_b64 v[22:23], v40 offset:368
	v_mov_b32_e32 v21, v31
	v_pk_fma_f32 v[30:31], v[6:7], v[0:1], v[34:35] op_sel:[0,0,1] op_sel_hi:[1,0,0]
	v_mov_b32_e32 v5, v25
	v_pk_fma_f32 v[6:7], v[6:7], v[0:1], v[34:35] op_sel:[0,0,1] op_sel_hi:[1,1,0] neg_lo:[0,0,1] neg_hi:[0,0,1]
	s_wait_dscnt 0x2
	v_pk_mul_f32 v[24:25], v[8:9], v[2:3] op_sel:[0,1]
	v_pk_add_f32 v[160:161], v[160:161], v[18:19] neg_lo:[0,1] neg_hi:[0,1]
	v_mov_b32_e32 v7, v31
	v_pk_add_f32 v[182:183], v[182:183], v[4:5] neg_lo:[0,1] neg_hi:[0,1]
	v_mul_f32_e32 v18, v11, v3
	v_pk_fma_f32 v[4:5], v[8:9], v[0:1], v[24:25] op_sel:[0,0,1] op_sel_hi:[1,0,0]
	v_mul_f32_e32 v4, v11, v0
	v_pk_add_f32 v[176:177], v[176:177], v[6:7] neg_lo:[0,1] neg_hi:[0,1]
	v_dual_mov_b32 v6, v11 :: v_dual_mov_b32 v7, v10
	v_pk_fma_f32 v[8:9], v[8:9], v[0:1], v[24:25] op_sel:[0,0,1] op_sel_hi:[1,1,0] neg_lo:[0,0,1] neg_hi:[0,0,1]
	v_pk_add_f32 v[156:157], v[156:157], v[20:21] neg_lo:[0,1] neg_hi:[0,1]
	v_mov_b32_e32 v9, v5
	s_wait_dscnt 0x1
	v_pk_mul_f32 v[20:21], v[12:13], v[2:3] op_sel:[0,1]
	v_pk_fma_f32 v[4:5], v[6:7], v[80:81], v[4:5] op_sel_hi:[1,1,0]
	v_pk_mul_f32 v[6:7], v[14:15], v[2:3] op_sel:[0,1]
	s_wait_dscnt 0x0
	v_pk_mul_f32 v[2:3], v[22:23], v[2:3] op_sel:[0,1]
	v_pk_fma_f32 v[10:11], v[10:11], v[80:81], v[18:19] op_sel_hi:[1,1,0] neg_lo:[0,0,1] neg_hi:[0,0,1]
	v_pk_fma_f32 v[18:19], v[12:13], v[0:1], v[20:21] op_sel:[0,0,1] op_sel_hi:[1,0,0]
	v_mov_b32_e32 v11, v5
	v_pk_fma_f32 v[4:5], v[14:15], v[0:1], v[6:7] op_sel:[0,0,1] op_sel_hi:[1,0,0]
	v_pk_fma_f32 v[12:13], v[12:13], v[0:1], v[20:21] op_sel:[0,0,1] op_sel_hi:[1,1,0] neg_lo:[0,0,1] neg_hi:[0,0,1]
	v_pk_fma_f32 v[20:21], v[22:23], v[0:1], v[2:3] op_sel:[0,0,1] op_sel_hi:[1,0,0]
	v_pk_fma_f32 v[6:7], v[14:15], v[0:1], v[6:7] op_sel:[0,0,1] op_sel_hi:[1,1,0] neg_lo:[0,0,1] neg_hi:[0,0,1]
	v_pk_fma_f32 v[0:1], v[22:23], v[0:1], v[2:3] op_sel:[0,0,1] op_sel_hi:[1,1,0] neg_lo:[0,0,1] neg_hi:[0,0,1]
	v_dual_mov_b32 v13, v19 :: v_dual_mov_b32 v7, v5
	s_delay_alu instid0(VALU_DEP_4) | instskip(SKIP_2) | instid1(VALU_DEP_4)
	v_mov_b32_e32 v1, v21
	v_pk_add_f32 v[180:181], v[180:181], v[8:9] neg_lo:[0,1] neg_hi:[0,1]
	v_pk_add_f32 v[174:175], v[174:175], v[10:11] neg_lo:[0,1] neg_hi:[0,1]
	;; [unrolled: 1-line block ×5, first 2 shown]
.LBB93_91:
	s_or_b32 exec_lo, exec_lo, s1
	s_delay_alu instid0(SALU_CYCLE_1)
	s_mov_b32 s2, exec_lo
	s_wait_dscnt 0x0
	s_barrier_signal -1
	s_barrier_wait -1
	v_cmpx_eq_u32_e32 10, v36
	s_cbranch_execz .LBB93_98
; %bb.92:
	ds_store_b64 v37, v[28:29]
	ds_store_2addr_b64 v40, v[26:27], v[48:49] offset0:11 offset1:12
	ds_store_2addr_b64 v40, v[44:45], v[46:47] offset0:13 offset1:14
	;; [unrolled: 1-line block ×18, first 2 shown]
	ds_load_b64 v[0:1], v37
	s_wait_dscnt 0x0
	v_cmp_neq_f32_e32 vcc_lo, 0, v0
	v_cmp_neq_f32_e64 s1, 0, v1
	s_or_b32 s1, vcc_lo, s1
	s_delay_alu instid0(SALU_CYCLE_1)
	s_and_b32 exec_lo, exec_lo, s1
	s_cbranch_execz .LBB93_98
; %bb.93:
	v_cmp_ngt_f32_e64 s1, |v0|, |v1|
                                        ; implicit-def: $vgpr2_vgpr3
	s_and_saveexec_b32 s4, s1
	s_delay_alu instid0(SALU_CYCLE_1)
	s_xor_b32 s1, exec_lo, s4
	s_cbranch_execz .LBB93_95
; %bb.94:
	v_div_scale_f32 v2, null, v1, v1, v0
	v_div_scale_f32 v5, vcc_lo, v0, v1, v0
	s_delay_alu instid0(VALU_DEP_2) | instskip(SKIP_1) | instid1(TRANS32_DEP_1)
	v_rcp_f32_e32 v3, v2
	v_nop
	v_fma_f32 v4, -v2, v3, 1.0
	s_delay_alu instid0(VALU_DEP_1) | instskip(NEXT) | instid1(VALU_DEP_1)
	v_fmac_f32_e32 v3, v4, v3
	v_mul_f32_e32 v4, v5, v3
	s_delay_alu instid0(VALU_DEP_1) | instskip(NEXT) | instid1(VALU_DEP_1)
	v_fma_f32 v6, -v2, v4, v5
	v_fmac_f32_e32 v4, v6, v3
	s_delay_alu instid0(VALU_DEP_1) | instskip(NEXT) | instid1(VALU_DEP_1)
	v_fma_f32 v2, -v2, v4, v5
	v_div_fmas_f32 v2, v2, v3, v4
	s_delay_alu instid0(VALU_DEP_1) | instskip(NEXT) | instid1(VALU_DEP_1)
	v_div_fixup_f32 v2, v2, v1, v0
	v_fmac_f32_e32 v1, v0, v2
	s_delay_alu instid0(VALU_DEP_1) | instskip(SKIP_1) | instid1(VALU_DEP_2)
	v_div_scale_f32 v0, null, v1, v1, 1.0
	v_div_scale_f32 v5, vcc_lo, 1.0, v1, 1.0
	v_rcp_f32_e32 v3, v0
	v_nop
	s_delay_alu instid0(TRANS32_DEP_1) | instskip(NEXT) | instid1(VALU_DEP_1)
	v_fma_f32 v4, -v0, v3, 1.0
	v_fmac_f32_e32 v3, v4, v3
	s_delay_alu instid0(VALU_DEP_1) | instskip(NEXT) | instid1(VALU_DEP_1)
	v_mul_f32_e32 v4, v5, v3
	v_fma_f32 v6, -v0, v4, v5
	s_delay_alu instid0(VALU_DEP_1) | instskip(NEXT) | instid1(VALU_DEP_1)
	v_fmac_f32_e32 v4, v6, v3
	v_fma_f32 v0, -v0, v4, v5
	s_delay_alu instid0(VALU_DEP_1) | instskip(NEXT) | instid1(VALU_DEP_1)
	v_div_fmas_f32 v0, v0, v3, v4
	v_div_fixup_f32 v0, v0, v1, 1.0
	s_delay_alu instid0(VALU_DEP_1)
	v_mul_f32_e32 v2, v2, v0
	v_xor_b32_e32 v3, 0x80000000, v0
                                        ; implicit-def: $vgpr0_vgpr1
.LBB93_95:
	s_and_not1_saveexec_b32 s1, s1
	s_cbranch_execz .LBB93_97
; %bb.96:
	v_div_scale_f32 v2, null, v0, v0, v1
	v_div_scale_f32 v5, vcc_lo, v1, v0, v1
	s_delay_alu instid0(VALU_DEP_2) | instskip(SKIP_1) | instid1(TRANS32_DEP_1)
	v_rcp_f32_e32 v3, v2
	v_nop
	v_fma_f32 v4, -v2, v3, 1.0
	s_delay_alu instid0(VALU_DEP_1) | instskip(NEXT) | instid1(VALU_DEP_1)
	v_fmac_f32_e32 v3, v4, v3
	v_mul_f32_e32 v4, v5, v3
	s_delay_alu instid0(VALU_DEP_1) | instskip(NEXT) | instid1(VALU_DEP_1)
	v_fma_f32 v6, -v2, v4, v5
	v_fmac_f32_e32 v4, v6, v3
	s_delay_alu instid0(VALU_DEP_1) | instskip(NEXT) | instid1(VALU_DEP_1)
	v_fma_f32 v2, -v2, v4, v5
	v_div_fmas_f32 v2, v2, v3, v4
	s_delay_alu instid0(VALU_DEP_1) | instskip(NEXT) | instid1(VALU_DEP_1)
	v_div_fixup_f32 v3, v2, v0, v1
	v_fmac_f32_e32 v0, v1, v3
	s_delay_alu instid0(VALU_DEP_1) | instskip(NEXT) | instid1(VALU_DEP_1)
	v_div_scale_f32 v1, null, v0, v0, 1.0
	v_rcp_f32_e32 v2, v1
	v_nop
	s_delay_alu instid0(TRANS32_DEP_1) | instskip(NEXT) | instid1(VALU_DEP_1)
	v_fma_f32 v4, -v1, v2, 1.0
	v_fmac_f32_e32 v2, v4, v2
	v_div_scale_f32 v4, vcc_lo, 1.0, v0, 1.0
	s_delay_alu instid0(VALU_DEP_1) | instskip(NEXT) | instid1(VALU_DEP_1)
	v_mul_f32_e32 v5, v4, v2
	v_fma_f32 v6, -v1, v5, v4
	s_delay_alu instid0(VALU_DEP_1) | instskip(NEXT) | instid1(VALU_DEP_1)
	v_fmac_f32_e32 v5, v6, v2
	v_fma_f32 v1, -v1, v5, v4
	s_delay_alu instid0(VALU_DEP_1) | instskip(NEXT) | instid1(VALU_DEP_1)
	v_div_fmas_f32 v1, v1, v2, v5
	v_div_fixup_f32 v2, v1, v0, 1.0
	s_delay_alu instid0(VALU_DEP_1)
	v_mul_f32_e64 v3, v3, -v2
.LBB93_97:
	s_or_b32 exec_lo, exec_lo, s1
	ds_store_b64 v37, v[2:3]
.LBB93_98:
	s_or_b32 exec_lo, exec_lo, s2
	s_wait_dscnt 0x0
	s_barrier_signal -1
	s_barrier_wait -1
	ds_load_b64 v[210:211], v37
	s_mov_b32 s1, exec_lo
	v_cmpx_lt_u32_e32 10, v36
	s_cbranch_execz .LBB93_100
; %bb.99:
	ds_load_2addr_b64 v[4:7], v40 offset0:11 offset1:12
	s_wait_dscnt 0x1
	v_pk_mul_f32 v[2:3], v[210:211], v[28:29] op_sel:[1,1] op_sel_hi:[0,1]
	s_delay_alu instid0(VALU_DEP_1) | instskip(SKIP_1) | instid1(VALU_DEP_1)
	v_pk_fma_f32 v[0:1], v[210:211], v[28:29], v[2:3] op_sel_hi:[1,0,1] neg_lo:[0,0,1] neg_hi:[0,0,1]
	v_pk_fma_f32 v[2:3], v[210:211], v[28:29], v[2:3] op_sel_hi:[1,0,1]
	v_dual_mov_b32 v28, v0 :: v_dual_mov_b32 v29, v3
	s_wait_dscnt 0x0
	s_delay_alu instid0(VALU_DEP_2) | instskip(NEXT) | instid1(VALU_DEP_1)
	v_pk_mul_f32 v[8:9], v[4:5], v[2:3] op_sel:[0,1]
	v_pk_fma_f32 v[10:11], v[4:5], v[0:1], v[8:9] op_sel:[0,0,1] op_sel_hi:[1,1,0] neg_lo:[0,0,1] neg_hi:[0,0,1]
	v_pk_fma_f32 v[4:5], v[4:5], v[0:1], v[8:9] op_sel:[0,0,1] op_sel_hi:[1,0,0]
	s_delay_alu instid0(VALU_DEP_1) | instskip(SKIP_1) | instid1(VALU_DEP_1)
	v_mov_b32_e32 v11, v5
	v_pk_mul_f32 v[4:5], v[6:7], v[2:3] op_sel:[0,1]
	v_pk_fma_f32 v[8:9], v[6:7], v[0:1], v[4:5] op_sel:[0,0,1] op_sel_hi:[1,1,0] neg_lo:[0,0,1] neg_hi:[0,0,1]
	v_pk_fma_f32 v[4:5], v[6:7], v[0:1], v[4:5] op_sel:[0,0,1] op_sel_hi:[1,0,0]
	s_delay_alu instid0(VALU_DEP_1)
	v_mov_b32_e32 v9, v5
	ds_load_2addr_b64 v[4:7], v40 offset0:13 offset1:14
	v_pk_add_f32 v[26:27], v[26:27], v[10:11] neg_lo:[0,1] neg_hi:[0,1]
	v_pk_add_f32 v[48:49], v[48:49], v[8:9] neg_lo:[0,1] neg_hi:[0,1]
	s_wait_dscnt 0x0
	v_pk_mul_f32 v[8:9], v[4:5], v[2:3] op_sel:[0,1]
	s_delay_alu instid0(VALU_DEP_1) | instskip(SKIP_2) | instid1(VALU_DEP_2)
	v_pk_fma_f32 v[10:11], v[4:5], v[0:1], v[8:9] op_sel:[0,0,1] op_sel_hi:[1,1,0] neg_lo:[0,0,1] neg_hi:[0,0,1]
	v_pk_fma_f32 v[4:5], v[4:5], v[0:1], v[8:9] op_sel:[0,0,1] op_sel_hi:[1,0,0]
	v_dual_mul_f32 v8, v7, v3 :: v_dual_mov_b32 v4, v7
	v_dual_mov_b32 v11, v5 :: v_dual_mov_b32 v5, v6
	s_delay_alu instid0(VALU_DEP_2) | instskip(SKIP_1) | instid1(VALU_DEP_3)
	v_pk_fma_f32 v[8:9], v[6:7], v[28:29], v[8:9] op_sel_hi:[1,1,0] neg_lo:[0,0,1] neg_hi:[0,0,1]
	v_mul_f32_e32 v6, v7, v0
	v_pk_add_f32 v[44:45], v[44:45], v[10:11] neg_lo:[0,1] neg_hi:[0,1]
	s_delay_alu instid0(VALU_DEP_2) | instskip(NEXT) | instid1(VALU_DEP_1)
	v_pk_fma_f32 v[4:5], v[4:5], v[28:29], v[6:7] op_sel_hi:[1,1,0]
	v_mov_b32_e32 v9, v5
	ds_load_2addr_b64 v[4:7], v40 offset0:15 offset1:16
	v_pk_add_f32 v[46:47], v[46:47], v[8:9] neg_lo:[0,1] neg_hi:[0,1]
	s_wait_dscnt 0x0
	v_pk_mul_f32 v[8:9], v[4:5], v[2:3] op_sel:[0,1]
	s_delay_alu instid0(VALU_DEP_1) | instskip(SKIP_1) | instid1(VALU_DEP_1)
	v_pk_fma_f32 v[10:11], v[4:5], v[0:1], v[8:9] op_sel:[0,0,1] op_sel_hi:[1,1,0] neg_lo:[0,0,1] neg_hi:[0,0,1]
	v_pk_fma_f32 v[4:5], v[4:5], v[0:1], v[8:9] op_sel:[0,0,1] op_sel_hi:[1,0,0]
	v_mov_b32_e32 v11, v5
	v_pk_mul_f32 v[4:5], v[6:7], v[2:3] op_sel:[0,1]
	s_delay_alu instid0(VALU_DEP_1) | instskip(SKIP_1) | instid1(VALU_DEP_1)
	v_pk_fma_f32 v[8:9], v[6:7], v[0:1], v[4:5] op_sel:[0,0,1] op_sel_hi:[1,1,0] neg_lo:[0,0,1] neg_hi:[0,0,1]
	v_pk_fma_f32 v[4:5], v[6:7], v[0:1], v[4:5] op_sel:[0,0,1] op_sel_hi:[1,0,0]
	v_mov_b32_e32 v9, v5
	ds_load_2addr_b64 v[4:7], v40 offset0:17 offset1:18
	v_pk_add_f32 v[42:43], v[42:43], v[10:11] neg_lo:[0,1] neg_hi:[0,1]
	v_pk_add_f32 v[70:71], v[70:71], v[8:9] neg_lo:[0,1] neg_hi:[0,1]
	s_wait_dscnt 0x0
	v_pk_mul_f32 v[8:9], v[4:5], v[2:3] op_sel:[0,1]
	s_delay_alu instid0(VALU_DEP_1) | instskip(SKIP_1) | instid1(VALU_DEP_1)
	v_pk_fma_f32 v[10:11], v[4:5], v[0:1], v[8:9] op_sel:[0,0,1] op_sel_hi:[1,1,0] neg_lo:[0,0,1] neg_hi:[0,0,1]
	v_pk_fma_f32 v[4:5], v[4:5], v[0:1], v[8:9] op_sel:[0,0,1] op_sel_hi:[1,0,0]
	v_mov_b32_e32 v11, v5
	v_pk_mul_f32 v[4:5], v[6:7], v[2:3] op_sel:[0,1]
	s_delay_alu instid0(VALU_DEP_1) | instskip(SKIP_1) | instid1(VALU_DEP_1)
	v_pk_fma_f32 v[8:9], v[6:7], v[0:1], v[4:5] op_sel:[0,0,1] op_sel_hi:[1,1,0] neg_lo:[0,0,1] neg_hi:[0,0,1]
	v_pk_fma_f32 v[4:5], v[6:7], v[0:1], v[4:5] op_sel:[0,0,1] op_sel_hi:[1,0,0]
	v_mov_b32_e32 v9, v5
	ds_load_2addr_b64 v[4:7], v40 offset0:19 offset1:20
	v_pk_add_f32 v[66:67], v[66:67], v[10:11] neg_lo:[0,1] neg_hi:[0,1]
	v_pk_add_f32 v[68:69], v[68:69], v[8:9] neg_lo:[0,1] neg_hi:[0,1]
	s_wait_dscnt 0x0
	v_dual_mul_f32 v8, v5, v3 :: v_dual_mul_f32 v10, v5, v0
	s_delay_alu instid0(VALU_DEP_1) | instskip(NEXT) | instid1(VALU_DEP_2)
	v_pk_fma_f32 v[8:9], v[4:5], v[28:29], v[8:9] op_sel_hi:[1,1,0] neg_lo:[0,0,1] neg_hi:[0,0,1]
	v_pk_fma_f32 v[4:5], v[4:5], v[28:29], v[10:11] op_sel:[1,0,0] op_sel_hi:[0,1,0]
	s_delay_alu instid0(VALU_DEP_1) | instskip(SKIP_1) | instid1(VALU_DEP_2)
	v_mov_b32_e32 v9, v5
	v_pk_mul_f32 v[4:5], v[6:7], v[2:3] op_sel:[0,1]
	v_pk_add_f32 v[64:65], v[64:65], v[8:9] neg_lo:[0,1] neg_hi:[0,1]
	s_delay_alu instid0(VALU_DEP_2) | instskip(SKIP_1) | instid1(VALU_DEP_1)
	v_pk_fma_f32 v[8:9], v[6:7], v[0:1], v[4:5] op_sel:[0,0,1] op_sel_hi:[1,1,0] neg_lo:[0,0,1] neg_hi:[0,0,1]
	v_pk_fma_f32 v[4:5], v[6:7], v[0:1], v[4:5] op_sel:[0,0,1] op_sel_hi:[1,0,0]
	v_mov_b32_e32 v9, v5
	ds_load_2addr_b64 v[4:7], v40 offset0:21 offset1:22
	v_pk_add_f32 v[94:95], v[94:95], v[8:9] neg_lo:[0,1] neg_hi:[0,1]
	s_wait_dscnt 0x0
	v_pk_mul_f32 v[8:9], v[4:5], v[2:3] op_sel:[0,1]
	s_delay_alu instid0(VALU_DEP_1) | instskip(SKIP_1) | instid1(VALU_DEP_1)
	v_pk_fma_f32 v[10:11], v[4:5], v[0:1], v[8:9] op_sel:[0,0,1] op_sel_hi:[1,1,0] neg_lo:[0,0,1] neg_hi:[0,0,1]
	v_pk_fma_f32 v[4:5], v[4:5], v[0:1], v[8:9] op_sel:[0,0,1] op_sel_hi:[1,0,0]
	v_mov_b32_e32 v11, v5
	v_pk_mul_f32 v[4:5], v[6:7], v[2:3] op_sel:[0,1]
	s_delay_alu instid0(VALU_DEP_2) | instskip(NEXT) | instid1(VALU_DEP_2)
	v_pk_add_f32 v[90:91], v[90:91], v[10:11] neg_lo:[0,1] neg_hi:[0,1]
	v_pk_fma_f32 v[8:9], v[6:7], v[0:1], v[4:5] op_sel:[0,0,1] op_sel_hi:[1,1,0] neg_lo:[0,0,1] neg_hi:[0,0,1]
	v_pk_fma_f32 v[4:5], v[6:7], v[0:1], v[4:5] op_sel:[0,0,1] op_sel_hi:[1,0,0]
	s_delay_alu instid0(VALU_DEP_1) | instskip(SKIP_4) | instid1(VALU_DEP_1)
	v_mov_b32_e32 v9, v5
	ds_load_2addr_b64 v[4:7], v40 offset0:23 offset1:24
	v_pk_add_f32 v[92:93], v[92:93], v[8:9] neg_lo:[0,1] neg_hi:[0,1]
	s_wait_dscnt 0x0
	v_pk_mul_f32 v[8:9], v[4:5], v[2:3] op_sel:[0,1]
	v_pk_fma_f32 v[10:11], v[4:5], v[0:1], v[8:9] op_sel:[0,0,1] op_sel_hi:[1,1,0] neg_lo:[0,0,1] neg_hi:[0,0,1]
	v_pk_fma_f32 v[4:5], v[4:5], v[0:1], v[8:9] op_sel:[0,0,1] op_sel_hi:[1,0,0]
	v_dual_mul_f32 v8, v7, v3 :: v_dual_mov_b32 v4, v7
	s_delay_alu instid0(VALU_DEP_2) | instskip(NEXT) | instid1(VALU_DEP_2)
	v_dual_mov_b32 v11, v5 :: v_dual_mov_b32 v5, v6
	v_pk_fma_f32 v[8:9], v[6:7], v[28:29], v[8:9] op_sel_hi:[1,1,0] neg_lo:[0,0,1] neg_hi:[0,0,1]
	v_mul_f32_e32 v6, v7, v0
	s_delay_alu instid0(VALU_DEP_3) | instskip(NEXT) | instid1(VALU_DEP_2)
	v_pk_add_f32 v[88:89], v[88:89], v[10:11] neg_lo:[0,1] neg_hi:[0,1]
	v_pk_fma_f32 v[4:5], v[4:5], v[28:29], v[6:7] op_sel_hi:[1,1,0]
	s_delay_alu instid0(VALU_DEP_1) | instskip(SKIP_4) | instid1(VALU_DEP_1)
	v_mov_b32_e32 v9, v5
	ds_load_2addr_b64 v[4:7], v40 offset0:25 offset1:26
	v_pk_add_f32 v[112:113], v[112:113], v[8:9] neg_lo:[0,1] neg_hi:[0,1]
	s_wait_dscnt 0x0
	v_pk_mul_f32 v[8:9], v[4:5], v[2:3] op_sel:[0,1]
	v_pk_fma_f32 v[10:11], v[4:5], v[0:1], v[8:9] op_sel:[0,0,1] op_sel_hi:[1,1,0] neg_lo:[0,0,1] neg_hi:[0,0,1]
	v_pk_fma_f32 v[4:5], v[4:5], v[0:1], v[8:9] op_sel:[0,0,1] op_sel_hi:[1,0,0]
	s_delay_alu instid0(VALU_DEP_1) | instskip(SKIP_1) | instid1(VALU_DEP_1)
	v_mov_b32_e32 v11, v5
	v_pk_mul_f32 v[4:5], v[6:7], v[2:3] op_sel:[0,1]
	v_pk_fma_f32 v[8:9], v[6:7], v[0:1], v[4:5] op_sel:[0,0,1] op_sel_hi:[1,1,0] neg_lo:[0,0,1] neg_hi:[0,0,1]
	v_pk_fma_f32 v[4:5], v[6:7], v[0:1], v[4:5] op_sel:[0,0,1] op_sel_hi:[1,0,0]
	s_delay_alu instid0(VALU_DEP_1)
	v_mov_b32_e32 v9, v5
	ds_load_2addr_b64 v[4:7], v40 offset0:27 offset1:28
	v_pk_add_f32 v[108:109], v[108:109], v[10:11] neg_lo:[0,1] neg_hi:[0,1]
	v_pk_add_f32 v[110:111], v[110:111], v[8:9] neg_lo:[0,1] neg_hi:[0,1]
	s_wait_dscnt 0x0
	v_pk_mul_f32 v[8:9], v[4:5], v[2:3] op_sel:[0,1]
	s_delay_alu instid0(VALU_DEP_1) | instskip(SKIP_1) | instid1(VALU_DEP_1)
	v_pk_fma_f32 v[10:11], v[4:5], v[0:1], v[8:9] op_sel:[0,0,1] op_sel_hi:[1,1,0] neg_lo:[0,0,1] neg_hi:[0,0,1]
	v_pk_fma_f32 v[4:5], v[4:5], v[0:1], v[8:9] op_sel:[0,0,1] op_sel_hi:[1,0,0]
	v_mov_b32_e32 v11, v5
	v_pk_mul_f32 v[4:5], v[6:7], v[2:3] op_sel:[0,1]
	s_delay_alu instid0(VALU_DEP_1) | instskip(SKIP_1) | instid1(VALU_DEP_1)
	v_pk_fma_f32 v[8:9], v[6:7], v[0:1], v[4:5] op_sel:[0,0,1] op_sel_hi:[1,1,0] neg_lo:[0,0,1] neg_hi:[0,0,1]
	v_pk_fma_f32 v[4:5], v[6:7], v[0:1], v[4:5] op_sel:[0,0,1] op_sel_hi:[1,0,0]
	v_mov_b32_e32 v9, v5
	ds_load_2addr_b64 v[4:7], v40 offset0:29 offset1:30
	v_pk_add_f32 v[106:107], v[106:107], v[10:11] neg_lo:[0,1] neg_hi:[0,1]
	v_pk_add_f32 v[128:129], v[128:129], v[8:9] neg_lo:[0,1] neg_hi:[0,1]
	s_wait_dscnt 0x0
	v_dual_mul_f32 v8, v5, v3 :: v_dual_mul_f32 v10, v5, v0
	s_delay_alu instid0(VALU_DEP_1) | instskip(NEXT) | instid1(VALU_DEP_2)
	v_pk_fma_f32 v[8:9], v[4:5], v[28:29], v[8:9] op_sel_hi:[1,1,0] neg_lo:[0,0,1] neg_hi:[0,0,1]
	v_pk_fma_f32 v[4:5], v[4:5], v[28:29], v[10:11] op_sel:[1,0,0] op_sel_hi:[0,1,0]
	s_delay_alu instid0(VALU_DEP_1) | instskip(SKIP_1) | instid1(VALU_DEP_2)
	v_mov_b32_e32 v9, v5
	v_pk_mul_f32 v[4:5], v[6:7], v[2:3] op_sel:[0,1]
	v_pk_add_f32 v[124:125], v[124:125], v[8:9] neg_lo:[0,1] neg_hi:[0,1]
	s_delay_alu instid0(VALU_DEP_2) | instskip(SKIP_1) | instid1(VALU_DEP_1)
	v_pk_fma_f32 v[8:9], v[6:7], v[0:1], v[4:5] op_sel:[0,0,1] op_sel_hi:[1,1,0] neg_lo:[0,0,1] neg_hi:[0,0,1]
	v_pk_fma_f32 v[4:5], v[6:7], v[0:1], v[4:5] op_sel:[0,0,1] op_sel_hi:[1,0,0]
	v_mov_b32_e32 v9, v5
	ds_load_2addr_b64 v[4:7], v40 offset0:31 offset1:32
	v_pk_add_f32 v[126:127], v[126:127], v[8:9] neg_lo:[0,1] neg_hi:[0,1]
	s_wait_dscnt 0x0
	v_pk_mul_f32 v[8:9], v[4:5], v[2:3] op_sel:[0,1]
	s_delay_alu instid0(VALU_DEP_1) | instskip(SKIP_1) | instid1(VALU_DEP_1)
	v_pk_fma_f32 v[10:11], v[4:5], v[0:1], v[8:9] op_sel:[0,0,1] op_sel_hi:[1,1,0] neg_lo:[0,0,1] neg_hi:[0,0,1]
	v_pk_fma_f32 v[4:5], v[4:5], v[0:1], v[8:9] op_sel:[0,0,1] op_sel_hi:[1,0,0]
	v_mov_b32_e32 v11, v5
	v_pk_mul_f32 v[4:5], v[6:7], v[2:3] op_sel:[0,1]
	s_delay_alu instid0(VALU_DEP_2) | instskip(NEXT) | instid1(VALU_DEP_2)
	v_pk_add_f32 v[122:123], v[122:123], v[10:11] neg_lo:[0,1] neg_hi:[0,1]
	v_pk_fma_f32 v[8:9], v[6:7], v[0:1], v[4:5] op_sel:[0,0,1] op_sel_hi:[1,1,0] neg_lo:[0,0,1] neg_hi:[0,0,1]
	v_pk_fma_f32 v[4:5], v[6:7], v[0:1], v[4:5] op_sel:[0,0,1] op_sel_hi:[1,0,0]
	s_delay_alu instid0(VALU_DEP_1) | instskip(SKIP_4) | instid1(VALU_DEP_1)
	v_mov_b32_e32 v9, v5
	ds_load_2addr_b64 v[4:7], v40 offset0:33 offset1:34
	v_pk_add_f32 v[144:145], v[144:145], v[8:9] neg_lo:[0,1] neg_hi:[0,1]
	s_wait_dscnt 0x0
	v_pk_mul_f32 v[8:9], v[4:5], v[2:3] op_sel:[0,1]
	v_pk_fma_f32 v[10:11], v[4:5], v[0:1], v[8:9] op_sel:[0,0,1] op_sel_hi:[1,1,0] neg_lo:[0,0,1] neg_hi:[0,0,1]
	v_pk_fma_f32 v[4:5], v[4:5], v[0:1], v[8:9] op_sel:[0,0,1] op_sel_hi:[1,0,0]
	v_dual_mul_f32 v8, v7, v3 :: v_dual_mov_b32 v4, v7
	s_delay_alu instid0(VALU_DEP_2) | instskip(NEXT) | instid1(VALU_DEP_2)
	v_dual_mov_b32 v11, v5 :: v_dual_mov_b32 v5, v6
	v_pk_fma_f32 v[8:9], v[6:7], v[28:29], v[8:9] op_sel_hi:[1,1,0] neg_lo:[0,0,1] neg_hi:[0,0,1]
	v_mul_f32_e32 v6, v7, v0
	s_delay_alu instid0(VALU_DEP_3) | instskip(NEXT) | instid1(VALU_DEP_2)
	v_pk_add_f32 v[140:141], v[140:141], v[10:11] neg_lo:[0,1] neg_hi:[0,1]
	v_pk_fma_f32 v[4:5], v[4:5], v[28:29], v[6:7] op_sel_hi:[1,1,0]
	s_delay_alu instid0(VALU_DEP_1) | instskip(SKIP_4) | instid1(VALU_DEP_1)
	v_mov_b32_e32 v9, v5
	ds_load_2addr_b64 v[4:7], v40 offset0:35 offset1:36
	v_pk_add_f32 v[142:143], v[142:143], v[8:9] neg_lo:[0,1] neg_hi:[0,1]
	s_wait_dscnt 0x0
	v_pk_mul_f32 v[8:9], v[4:5], v[2:3] op_sel:[0,1]
	v_pk_fma_f32 v[10:11], v[4:5], v[0:1], v[8:9] op_sel:[0,0,1] op_sel_hi:[1,1,0] neg_lo:[0,0,1] neg_hi:[0,0,1]
	v_pk_fma_f32 v[4:5], v[4:5], v[0:1], v[8:9] op_sel:[0,0,1] op_sel_hi:[1,0,0]
	s_delay_alu instid0(VALU_DEP_1) | instskip(SKIP_1) | instid1(VALU_DEP_1)
	v_mov_b32_e32 v11, v5
	v_pk_mul_f32 v[4:5], v[6:7], v[2:3] op_sel:[0,1]
	v_pk_fma_f32 v[8:9], v[6:7], v[0:1], v[4:5] op_sel:[0,0,1] op_sel_hi:[1,1,0] neg_lo:[0,0,1] neg_hi:[0,0,1]
	v_pk_fma_f32 v[4:5], v[6:7], v[0:1], v[4:5] op_sel:[0,0,1] op_sel_hi:[1,0,0]
	s_delay_alu instid0(VALU_DEP_1)
	v_mov_b32_e32 v9, v5
	ds_load_2addr_b64 v[4:7], v40 offset0:37 offset1:38
	v_pk_add_f32 v[138:139], v[138:139], v[10:11] neg_lo:[0,1] neg_hi:[0,1]
	v_pk_add_f32 v[162:163], v[162:163], v[8:9] neg_lo:[0,1] neg_hi:[0,1]
	s_wait_dscnt 0x0
	v_pk_mul_f32 v[8:9], v[4:5], v[2:3] op_sel:[0,1]
	s_delay_alu instid0(VALU_DEP_1) | instskip(SKIP_1) | instid1(VALU_DEP_1)
	v_pk_fma_f32 v[10:11], v[4:5], v[0:1], v[8:9] op_sel:[0,0,1] op_sel_hi:[1,1,0] neg_lo:[0,0,1] neg_hi:[0,0,1]
	v_pk_fma_f32 v[4:5], v[4:5], v[0:1], v[8:9] op_sel:[0,0,1] op_sel_hi:[1,0,0]
	v_mov_b32_e32 v11, v5
	v_pk_mul_f32 v[4:5], v[6:7], v[2:3] op_sel:[0,1]
	s_delay_alu instid0(VALU_DEP_1) | instskip(SKIP_1) | instid1(VALU_DEP_1)
	v_pk_fma_f32 v[8:9], v[6:7], v[0:1], v[4:5] op_sel:[0,0,1] op_sel_hi:[1,1,0] neg_lo:[0,0,1] neg_hi:[0,0,1]
	v_pk_fma_f32 v[4:5], v[6:7], v[0:1], v[4:5] op_sel:[0,0,1] op_sel_hi:[1,0,0]
	v_mov_b32_e32 v9, v5
	ds_load_2addr_b64 v[4:7], v40 offset0:39 offset1:40
	v_pk_add_f32 v[158:159], v[158:159], v[10:11] neg_lo:[0,1] neg_hi:[0,1]
	v_pk_add_f32 v[160:161], v[160:161], v[8:9] neg_lo:[0,1] neg_hi:[0,1]
	s_wait_dscnt 0x0
	v_dual_mul_f32 v8, v5, v3 :: v_dual_mul_f32 v10, v5, v0
	s_delay_alu instid0(VALU_DEP_1) | instskip(NEXT) | instid1(VALU_DEP_2)
	v_pk_fma_f32 v[8:9], v[4:5], v[28:29], v[8:9] op_sel_hi:[1,1,0] neg_lo:[0,0,1] neg_hi:[0,0,1]
	v_pk_fma_f32 v[4:5], v[4:5], v[28:29], v[10:11] op_sel:[1,0,0] op_sel_hi:[0,1,0]
	s_delay_alu instid0(VALU_DEP_1) | instskip(SKIP_1) | instid1(VALU_DEP_2)
	v_mov_b32_e32 v9, v5
	v_pk_mul_f32 v[4:5], v[6:7], v[2:3] op_sel:[0,1]
	v_pk_add_f32 v[156:157], v[156:157], v[8:9] neg_lo:[0,1] neg_hi:[0,1]
	s_delay_alu instid0(VALU_DEP_2) | instskip(SKIP_1) | instid1(VALU_DEP_1)
	v_pk_fma_f32 v[8:9], v[6:7], v[0:1], v[4:5] op_sel:[0,0,1] op_sel_hi:[1,1,0] neg_lo:[0,0,1] neg_hi:[0,0,1]
	v_pk_fma_f32 v[4:5], v[6:7], v[0:1], v[4:5] op_sel:[0,0,1] op_sel_hi:[1,0,0]
	v_mov_b32_e32 v9, v5
	ds_load_2addr_b64 v[4:7], v40 offset0:41 offset1:42
	v_pk_add_f32 v[182:183], v[182:183], v[8:9] neg_lo:[0,1] neg_hi:[0,1]
	s_wait_dscnt 0x0
	v_pk_mul_f32 v[8:9], v[4:5], v[2:3] op_sel:[0,1]
	s_delay_alu instid0(VALU_DEP_1) | instskip(SKIP_1) | instid1(VALU_DEP_1)
	v_pk_fma_f32 v[10:11], v[4:5], v[0:1], v[8:9] op_sel:[0,0,1] op_sel_hi:[1,1,0] neg_lo:[0,0,1] neg_hi:[0,0,1]
	v_pk_fma_f32 v[4:5], v[4:5], v[0:1], v[8:9] op_sel:[0,0,1] op_sel_hi:[1,0,0]
	v_mov_b32_e32 v11, v5
	v_pk_mul_f32 v[4:5], v[6:7], v[2:3] op_sel:[0,1]
	s_delay_alu instid0(VALU_DEP_2) | instskip(NEXT) | instid1(VALU_DEP_2)
	v_pk_add_f32 v[176:177], v[176:177], v[10:11] neg_lo:[0,1] neg_hi:[0,1]
	v_pk_fma_f32 v[8:9], v[6:7], v[0:1], v[4:5] op_sel:[0,0,1] op_sel_hi:[1,1,0] neg_lo:[0,0,1] neg_hi:[0,0,1]
	v_pk_fma_f32 v[4:5], v[6:7], v[0:1], v[4:5] op_sel:[0,0,1] op_sel_hi:[1,0,0]
	s_delay_alu instid0(VALU_DEP_1) | instskip(SKIP_4) | instid1(VALU_DEP_1)
	v_mov_b32_e32 v9, v5
	ds_load_2addr_b64 v[4:7], v40 offset0:43 offset1:44
	v_pk_add_f32 v[180:181], v[180:181], v[8:9] neg_lo:[0,1] neg_hi:[0,1]
	s_wait_dscnt 0x0
	v_pk_mul_f32 v[8:9], v[4:5], v[2:3] op_sel:[0,1]
	v_pk_fma_f32 v[10:11], v[4:5], v[0:1], v[8:9] op_sel:[0,0,1] op_sel_hi:[1,1,0] neg_lo:[0,0,1] neg_hi:[0,0,1]
	v_pk_fma_f32 v[4:5], v[4:5], v[0:1], v[8:9] op_sel:[0,0,1] op_sel_hi:[1,0,0]
	v_dual_mul_f32 v8, v7, v3 :: v_dual_mov_b32 v4, v7
	s_delay_alu instid0(VALU_DEP_2) | instskip(NEXT) | instid1(VALU_DEP_2)
	v_dual_mov_b32 v11, v5 :: v_dual_mov_b32 v5, v6
	v_pk_fma_f32 v[8:9], v[6:7], v[28:29], v[8:9] op_sel_hi:[1,1,0] neg_lo:[0,0,1] neg_hi:[0,0,1]
	v_mul_f32_e32 v6, v7, v0
	s_delay_alu instid0(VALU_DEP_3) | instskip(NEXT) | instid1(VALU_DEP_2)
	v_pk_add_f32 v[174:175], v[174:175], v[10:11] neg_lo:[0,1] neg_hi:[0,1]
	v_pk_fma_f32 v[4:5], v[4:5], v[28:29], v[6:7] op_sel_hi:[1,1,0]
	s_delay_alu instid0(VALU_DEP_1)
	v_mov_b32_e32 v9, v5
	ds_load_2addr_b64 v[4:7], v40 offset0:45 offset1:46
	v_pk_add_f32 v[178:179], v[178:179], v[8:9] neg_lo:[0,1] neg_hi:[0,1]
	s_wait_dscnt 0x0
	v_pk_mul_f32 v[8:9], v[4:5], v[2:3] op_sel:[0,1]
	v_mul_f32_e32 v2, v7, v3
	s_delay_alu instid0(VALU_DEP_2) | instskip(SKIP_2) | instid1(VALU_DEP_4)
	v_pk_fma_f32 v[10:11], v[4:5], v[0:1], v[8:9] op_sel:[0,0,1] op_sel_hi:[1,1,0] neg_lo:[0,0,1] neg_hi:[0,0,1]
	v_pk_fma_f32 v[4:5], v[4:5], v[0:1], v[8:9] op_sel:[0,0,1] op_sel_hi:[1,0,0]
	v_dual_mov_b32 v4, v7 :: v_dual_mul_f32 v0, v7, v0
	v_pk_fma_f32 v[2:3], v[6:7], v[28:29], v[2:3] op_sel_hi:[1,1,0] neg_lo:[0,0,1] neg_hi:[0,0,1]
	s_delay_alu instid0(VALU_DEP_3) | instskip(NEXT) | instid1(VALU_DEP_1)
	v_dual_mov_b32 v11, v5 :: v_dual_mov_b32 v5, v6
	v_pk_add_f32 v[186:187], v[186:187], v[10:11] neg_lo:[0,1] neg_hi:[0,1]
	s_delay_alu instid0(VALU_DEP_2) | instskip(NEXT) | instid1(VALU_DEP_1)
	v_pk_fma_f32 v[0:1], v[4:5], v[28:29], v[0:1] op_sel_hi:[1,1,0]
	v_mov_b32_e32 v3, v1
	s_delay_alu instid0(VALU_DEP_1)
	v_pk_add_f32 v[188:189], v[188:189], v[2:3] neg_lo:[0,1] neg_hi:[0,1]
.LBB93_100:
	s_or_b32 exec_lo, exec_lo, s1
	s_delay_alu instid0(SALU_CYCLE_1)
	s_mov_b32 s2, exec_lo
	s_wait_dscnt 0x0
	s_barrier_signal -1
	s_barrier_wait -1
	v_cmpx_eq_u32_e32 11, v36
	s_cbranch_execz .LBB93_107
; %bb.101:
	v_dual_mov_b32 v0, v48 :: v_dual_mov_b32 v1, v49
	v_dual_mov_b32 v2, v44 :: v_dual_mov_b32 v3, v45
	;; [unrolled: 1-line block ×10, first 2 shown]
	ds_store_b64 v37, v[26:27]
	v_dual_mov_b32 v22, v92 :: v_dual_mov_b32 v23, v93
	v_dual_mov_b32 v24, v88 :: v_dual_mov_b32 v25, v89
	ds_store_2addr_b64 v40, v[0:1], v[2:3] offset0:12 offset1:13
	ds_store_2addr_b64 v40, v[4:5], v[6:7] offset0:14 offset1:15
	;; [unrolled: 1-line block ×6, first 2 shown]
	v_dual_mov_b32 v0, v112 :: v_dual_mov_b32 v1, v113
	v_dual_mov_b32 v2, v108 :: v_dual_mov_b32 v3, v109
	v_dual_mov_b32 v4, v110 :: v_dual_mov_b32 v5, v111
	v_dual_mov_b32 v6, v106 :: v_dual_mov_b32 v7, v107
	v_dual_mov_b32 v8, v128 :: v_dual_mov_b32 v9, v129
	v_dual_mov_b32 v10, v124 :: v_dual_mov_b32 v11, v125
	v_dual_mov_b32 v12, v126 :: v_dual_mov_b32 v13, v127
	v_dual_mov_b32 v14, v122 :: v_dual_mov_b32 v15, v123
	v_dual_mov_b32 v18, v144 :: v_dual_mov_b32 v19, v145
	v_dual_mov_b32 v20, v140 :: v_dual_mov_b32 v21, v141
	v_dual_mov_b32 v22, v142 :: v_dual_mov_b32 v23, v143
	v_dual_mov_b32 v24, v138 :: v_dual_mov_b32 v25, v139
	ds_store_2addr_b64 v40, v[0:1], v[2:3] offset0:24 offset1:25
	ds_store_2addr_b64 v40, v[4:5], v[6:7] offset0:26 offset1:27
	ds_store_2addr_b64 v40, v[8:9], v[10:11] offset0:28 offset1:29
	ds_store_2addr_b64 v40, v[12:13], v[14:15] offset0:30 offset1:31
	ds_store_2addr_b64 v40, v[18:19], v[20:21] offset0:32 offset1:33
	ds_store_2addr_b64 v40, v[22:23], v[24:25] offset0:34 offset1:35
	v_dual_mov_b32 v0, v162 :: v_dual_mov_b32 v1, v163
	v_dual_mov_b32 v2, v158 :: v_dual_mov_b32 v3, v159
	;; [unrolled: 1-line block ×10, first 2 shown]
	ds_store_2addr_b64 v40, v[0:1], v[2:3] offset0:36 offset1:37
	ds_store_2addr_b64 v40, v[4:5], v[6:7] offset0:38 offset1:39
	;; [unrolled: 1-line block ×5, first 2 shown]
	ds_store_b64 v40, v[188:189] offset:368
	ds_load_b64 v[0:1], v37
	s_wait_dscnt 0x0
	v_cmp_neq_f32_e32 vcc_lo, 0, v0
	v_cmp_neq_f32_e64 s1, 0, v1
	s_or_b32 s1, vcc_lo, s1
	s_delay_alu instid0(SALU_CYCLE_1)
	s_and_b32 exec_lo, exec_lo, s1
	s_cbranch_execz .LBB93_107
; %bb.102:
	v_cmp_ngt_f32_e64 s1, |v0|, |v1|
                                        ; implicit-def: $vgpr2_vgpr3
	s_and_saveexec_b32 s4, s1
	s_delay_alu instid0(SALU_CYCLE_1)
	s_xor_b32 s1, exec_lo, s4
	s_cbranch_execz .LBB93_104
; %bb.103:
	v_div_scale_f32 v2, null, v1, v1, v0
	v_div_scale_f32 v5, vcc_lo, v0, v1, v0
	s_delay_alu instid0(VALU_DEP_2) | instskip(SKIP_1) | instid1(TRANS32_DEP_1)
	v_rcp_f32_e32 v3, v2
	v_nop
	v_fma_f32 v4, -v2, v3, 1.0
	s_delay_alu instid0(VALU_DEP_1) | instskip(NEXT) | instid1(VALU_DEP_1)
	v_fmac_f32_e32 v3, v4, v3
	v_mul_f32_e32 v4, v5, v3
	s_delay_alu instid0(VALU_DEP_1) | instskip(NEXT) | instid1(VALU_DEP_1)
	v_fma_f32 v6, -v2, v4, v5
	v_fmac_f32_e32 v4, v6, v3
	s_delay_alu instid0(VALU_DEP_1) | instskip(NEXT) | instid1(VALU_DEP_1)
	v_fma_f32 v2, -v2, v4, v5
	v_div_fmas_f32 v2, v2, v3, v4
	s_delay_alu instid0(VALU_DEP_1) | instskip(NEXT) | instid1(VALU_DEP_1)
	v_div_fixup_f32 v2, v2, v1, v0
	v_fmac_f32_e32 v1, v0, v2
	s_delay_alu instid0(VALU_DEP_1) | instskip(SKIP_1) | instid1(VALU_DEP_2)
	v_div_scale_f32 v0, null, v1, v1, 1.0
	v_div_scale_f32 v5, vcc_lo, 1.0, v1, 1.0
	v_rcp_f32_e32 v3, v0
	v_nop
	s_delay_alu instid0(TRANS32_DEP_1) | instskip(NEXT) | instid1(VALU_DEP_1)
	v_fma_f32 v4, -v0, v3, 1.0
	v_fmac_f32_e32 v3, v4, v3
	s_delay_alu instid0(VALU_DEP_1) | instskip(NEXT) | instid1(VALU_DEP_1)
	v_mul_f32_e32 v4, v5, v3
	v_fma_f32 v6, -v0, v4, v5
	s_delay_alu instid0(VALU_DEP_1) | instskip(NEXT) | instid1(VALU_DEP_1)
	v_fmac_f32_e32 v4, v6, v3
	v_fma_f32 v0, -v0, v4, v5
	s_delay_alu instid0(VALU_DEP_1) | instskip(NEXT) | instid1(VALU_DEP_1)
	v_div_fmas_f32 v0, v0, v3, v4
	v_div_fixup_f32 v0, v0, v1, 1.0
	s_delay_alu instid0(VALU_DEP_1)
	v_mul_f32_e32 v2, v2, v0
	v_xor_b32_e32 v3, 0x80000000, v0
                                        ; implicit-def: $vgpr0_vgpr1
.LBB93_104:
	s_and_not1_saveexec_b32 s1, s1
	s_cbranch_execz .LBB93_106
; %bb.105:
	v_div_scale_f32 v2, null, v0, v0, v1
	v_div_scale_f32 v5, vcc_lo, v1, v0, v1
	s_delay_alu instid0(VALU_DEP_2) | instskip(SKIP_1) | instid1(TRANS32_DEP_1)
	v_rcp_f32_e32 v3, v2
	v_nop
	v_fma_f32 v4, -v2, v3, 1.0
	s_delay_alu instid0(VALU_DEP_1) | instskip(NEXT) | instid1(VALU_DEP_1)
	v_fmac_f32_e32 v3, v4, v3
	v_mul_f32_e32 v4, v5, v3
	s_delay_alu instid0(VALU_DEP_1) | instskip(NEXT) | instid1(VALU_DEP_1)
	v_fma_f32 v6, -v2, v4, v5
	v_fmac_f32_e32 v4, v6, v3
	s_delay_alu instid0(VALU_DEP_1) | instskip(NEXT) | instid1(VALU_DEP_1)
	v_fma_f32 v2, -v2, v4, v5
	v_div_fmas_f32 v2, v2, v3, v4
	s_delay_alu instid0(VALU_DEP_1) | instskip(NEXT) | instid1(VALU_DEP_1)
	v_div_fixup_f32 v3, v2, v0, v1
	v_fmac_f32_e32 v0, v1, v3
	s_delay_alu instid0(VALU_DEP_1) | instskip(NEXT) | instid1(VALU_DEP_1)
	v_div_scale_f32 v1, null, v0, v0, 1.0
	v_rcp_f32_e32 v2, v1
	v_nop
	s_delay_alu instid0(TRANS32_DEP_1) | instskip(NEXT) | instid1(VALU_DEP_1)
	v_fma_f32 v4, -v1, v2, 1.0
	v_fmac_f32_e32 v2, v4, v2
	v_div_scale_f32 v4, vcc_lo, 1.0, v0, 1.0
	s_delay_alu instid0(VALU_DEP_1) | instskip(NEXT) | instid1(VALU_DEP_1)
	v_mul_f32_e32 v5, v4, v2
	v_fma_f32 v6, -v1, v5, v4
	s_delay_alu instid0(VALU_DEP_1) | instskip(NEXT) | instid1(VALU_DEP_1)
	v_fmac_f32_e32 v5, v6, v2
	v_fma_f32 v1, -v1, v5, v4
	s_delay_alu instid0(VALU_DEP_1) | instskip(NEXT) | instid1(VALU_DEP_1)
	v_div_fmas_f32 v1, v1, v2, v5
	v_div_fixup_f32 v2, v1, v0, 1.0
	s_delay_alu instid0(VALU_DEP_1)
	v_mul_f32_e64 v3, v3, -v2
.LBB93_106:
	s_or_b32 exec_lo, exec_lo, s1
	ds_store_b64 v37, v[2:3]
.LBB93_107:
	s_or_b32 exec_lo, exec_lo, s2
	s_wait_dscnt 0x0
	s_barrier_signal -1
	s_barrier_wait -1
	ds_load_b64 v[212:213], v37
	s_mov_b32 s1, exec_lo
	v_cmpx_lt_u32_e32 11, v36
	s_cbranch_execz .LBB93_109
; %bb.108:
	ds_load_2addr_b64 v[4:7], v40 offset0:12 offset1:13
	s_wait_dscnt 0x1
	v_pk_mul_f32 v[2:3], v[212:213], v[26:27] op_sel:[1,1] op_sel_hi:[0,1]
	s_delay_alu instid0(VALU_DEP_1) | instskip(SKIP_1) | instid1(VALU_DEP_1)
	v_pk_fma_f32 v[0:1], v[212:213], v[26:27], v[2:3] op_sel_hi:[1,0,1] neg_lo:[0,0,1] neg_hi:[0,0,1]
	v_pk_fma_f32 v[2:3], v[212:213], v[26:27], v[2:3] op_sel_hi:[1,0,1]
	v_dual_mov_b32 v26, v0 :: v_dual_mov_b32 v27, v3
	s_wait_dscnt 0x0
	s_delay_alu instid0(VALU_DEP_2) | instskip(NEXT) | instid1(VALU_DEP_1)
	v_pk_mul_f32 v[8:9], v[4:5], v[2:3] op_sel:[0,1]
	v_pk_fma_f32 v[10:11], v[4:5], v[0:1], v[8:9] op_sel:[0,0,1] op_sel_hi:[1,1,0] neg_lo:[0,0,1] neg_hi:[0,0,1]
	v_pk_fma_f32 v[4:5], v[4:5], v[0:1], v[8:9] op_sel:[0,0,1] op_sel_hi:[1,0,0]
	s_delay_alu instid0(VALU_DEP_1) | instskip(SKIP_1) | instid1(VALU_DEP_1)
	v_mov_b32_e32 v11, v5
	v_pk_mul_f32 v[4:5], v[6:7], v[2:3] op_sel:[0,1]
	v_pk_fma_f32 v[8:9], v[6:7], v[0:1], v[4:5] op_sel:[0,0,1] op_sel_hi:[1,1,0] neg_lo:[0,0,1] neg_hi:[0,0,1]
	v_pk_fma_f32 v[4:5], v[6:7], v[0:1], v[4:5] op_sel:[0,0,1] op_sel_hi:[1,0,0]
	s_delay_alu instid0(VALU_DEP_1)
	v_mov_b32_e32 v9, v5
	ds_load_2addr_b64 v[4:7], v40 offset0:14 offset1:15
	v_pk_add_f32 v[48:49], v[48:49], v[10:11] neg_lo:[0,1] neg_hi:[0,1]
	v_pk_add_f32 v[44:45], v[44:45], v[8:9] neg_lo:[0,1] neg_hi:[0,1]
	s_wait_dscnt 0x0
	v_pk_mul_f32 v[8:9], v[4:5], v[2:3] op_sel:[0,1]
	s_delay_alu instid0(VALU_DEP_1) | instskip(SKIP_2) | instid1(VALU_DEP_2)
	v_pk_fma_f32 v[10:11], v[4:5], v[0:1], v[8:9] op_sel:[0,0,1] op_sel_hi:[1,1,0] neg_lo:[0,0,1] neg_hi:[0,0,1]
	v_pk_fma_f32 v[4:5], v[4:5], v[0:1], v[8:9] op_sel:[0,0,1] op_sel_hi:[1,0,0]
	v_dual_mul_f32 v8, v7, v3 :: v_dual_mov_b32 v4, v7
	v_dual_mov_b32 v11, v5 :: v_dual_mov_b32 v5, v6
	s_delay_alu instid0(VALU_DEP_2) | instskip(SKIP_1) | instid1(VALU_DEP_3)
	v_pk_fma_f32 v[8:9], v[6:7], v[26:27], v[8:9] op_sel_hi:[1,1,0] neg_lo:[0,0,1] neg_hi:[0,0,1]
	v_mul_f32_e32 v6, v7, v0
	v_pk_add_f32 v[46:47], v[46:47], v[10:11] neg_lo:[0,1] neg_hi:[0,1]
	s_delay_alu instid0(VALU_DEP_2) | instskip(NEXT) | instid1(VALU_DEP_1)
	v_pk_fma_f32 v[4:5], v[4:5], v[26:27], v[6:7] op_sel_hi:[1,1,0]
	v_mov_b32_e32 v9, v5
	ds_load_2addr_b64 v[4:7], v40 offset0:16 offset1:17
	v_pk_add_f32 v[42:43], v[42:43], v[8:9] neg_lo:[0,1] neg_hi:[0,1]
	s_wait_dscnt 0x0
	v_pk_mul_f32 v[8:9], v[4:5], v[2:3] op_sel:[0,1]
	s_delay_alu instid0(VALU_DEP_1) | instskip(SKIP_1) | instid1(VALU_DEP_1)
	v_pk_fma_f32 v[10:11], v[4:5], v[0:1], v[8:9] op_sel:[0,0,1] op_sel_hi:[1,1,0] neg_lo:[0,0,1] neg_hi:[0,0,1]
	v_pk_fma_f32 v[4:5], v[4:5], v[0:1], v[8:9] op_sel:[0,0,1] op_sel_hi:[1,0,0]
	v_mov_b32_e32 v11, v5
	v_pk_mul_f32 v[4:5], v[6:7], v[2:3] op_sel:[0,1]
	s_delay_alu instid0(VALU_DEP_1) | instskip(SKIP_1) | instid1(VALU_DEP_1)
	v_pk_fma_f32 v[8:9], v[6:7], v[0:1], v[4:5] op_sel:[0,0,1] op_sel_hi:[1,1,0] neg_lo:[0,0,1] neg_hi:[0,0,1]
	v_pk_fma_f32 v[4:5], v[6:7], v[0:1], v[4:5] op_sel:[0,0,1] op_sel_hi:[1,0,0]
	v_mov_b32_e32 v9, v5
	ds_load_2addr_b64 v[4:7], v40 offset0:18 offset1:19
	v_pk_add_f32 v[70:71], v[70:71], v[10:11] neg_lo:[0,1] neg_hi:[0,1]
	v_pk_add_f32 v[66:67], v[66:67], v[8:9] neg_lo:[0,1] neg_hi:[0,1]
	s_wait_dscnt 0x0
	v_pk_mul_f32 v[8:9], v[4:5], v[2:3] op_sel:[0,1]
	s_delay_alu instid0(VALU_DEP_1) | instskip(SKIP_1) | instid1(VALU_DEP_1)
	v_pk_fma_f32 v[10:11], v[4:5], v[0:1], v[8:9] op_sel:[0,0,1] op_sel_hi:[1,1,0] neg_lo:[0,0,1] neg_hi:[0,0,1]
	v_pk_fma_f32 v[4:5], v[4:5], v[0:1], v[8:9] op_sel:[0,0,1] op_sel_hi:[1,0,0]
	v_mov_b32_e32 v11, v5
	v_pk_mul_f32 v[4:5], v[6:7], v[2:3] op_sel:[0,1]
	s_delay_alu instid0(VALU_DEP_1) | instskip(SKIP_1) | instid1(VALU_DEP_1)
	v_pk_fma_f32 v[8:9], v[6:7], v[0:1], v[4:5] op_sel:[0,0,1] op_sel_hi:[1,1,0] neg_lo:[0,0,1] neg_hi:[0,0,1]
	v_pk_fma_f32 v[4:5], v[6:7], v[0:1], v[4:5] op_sel:[0,0,1] op_sel_hi:[1,0,0]
	v_mov_b32_e32 v9, v5
	ds_load_2addr_b64 v[4:7], v40 offset0:20 offset1:21
	v_pk_add_f32 v[68:69], v[68:69], v[10:11] neg_lo:[0,1] neg_hi:[0,1]
	v_pk_add_f32 v[64:65], v[64:65], v[8:9] neg_lo:[0,1] neg_hi:[0,1]
	s_wait_dscnt 0x0
	v_dual_mul_f32 v8, v5, v3 :: v_dual_mul_f32 v10, v5, v0
	s_delay_alu instid0(VALU_DEP_1) | instskip(NEXT) | instid1(VALU_DEP_2)
	v_pk_fma_f32 v[8:9], v[4:5], v[26:27], v[8:9] op_sel_hi:[1,1,0] neg_lo:[0,0,1] neg_hi:[0,0,1]
	v_pk_fma_f32 v[4:5], v[4:5], v[26:27], v[10:11] op_sel:[1,0,0] op_sel_hi:[0,1,0]
	s_delay_alu instid0(VALU_DEP_1) | instskip(SKIP_1) | instid1(VALU_DEP_2)
	v_mov_b32_e32 v9, v5
	v_pk_mul_f32 v[4:5], v[6:7], v[2:3] op_sel:[0,1]
	v_pk_add_f32 v[94:95], v[94:95], v[8:9] neg_lo:[0,1] neg_hi:[0,1]
	s_delay_alu instid0(VALU_DEP_2) | instskip(SKIP_1) | instid1(VALU_DEP_1)
	v_pk_fma_f32 v[8:9], v[6:7], v[0:1], v[4:5] op_sel:[0,0,1] op_sel_hi:[1,1,0] neg_lo:[0,0,1] neg_hi:[0,0,1]
	v_pk_fma_f32 v[4:5], v[6:7], v[0:1], v[4:5] op_sel:[0,0,1] op_sel_hi:[1,0,0]
	v_mov_b32_e32 v9, v5
	ds_load_2addr_b64 v[4:7], v40 offset0:22 offset1:23
	v_pk_add_f32 v[90:91], v[90:91], v[8:9] neg_lo:[0,1] neg_hi:[0,1]
	s_wait_dscnt 0x0
	v_pk_mul_f32 v[8:9], v[4:5], v[2:3] op_sel:[0,1]
	s_delay_alu instid0(VALU_DEP_1) | instskip(SKIP_1) | instid1(VALU_DEP_1)
	v_pk_fma_f32 v[10:11], v[4:5], v[0:1], v[8:9] op_sel:[0,0,1] op_sel_hi:[1,1,0] neg_lo:[0,0,1] neg_hi:[0,0,1]
	v_pk_fma_f32 v[4:5], v[4:5], v[0:1], v[8:9] op_sel:[0,0,1] op_sel_hi:[1,0,0]
	v_mov_b32_e32 v11, v5
	v_pk_mul_f32 v[4:5], v[6:7], v[2:3] op_sel:[0,1]
	s_delay_alu instid0(VALU_DEP_2) | instskip(NEXT) | instid1(VALU_DEP_2)
	v_pk_add_f32 v[92:93], v[92:93], v[10:11] neg_lo:[0,1] neg_hi:[0,1]
	v_pk_fma_f32 v[8:9], v[6:7], v[0:1], v[4:5] op_sel:[0,0,1] op_sel_hi:[1,1,0] neg_lo:[0,0,1] neg_hi:[0,0,1]
	v_pk_fma_f32 v[4:5], v[6:7], v[0:1], v[4:5] op_sel:[0,0,1] op_sel_hi:[1,0,0]
	s_delay_alu instid0(VALU_DEP_1) | instskip(SKIP_4) | instid1(VALU_DEP_1)
	v_mov_b32_e32 v9, v5
	ds_load_2addr_b64 v[4:7], v40 offset0:24 offset1:25
	v_pk_add_f32 v[88:89], v[88:89], v[8:9] neg_lo:[0,1] neg_hi:[0,1]
	s_wait_dscnt 0x0
	v_pk_mul_f32 v[8:9], v[4:5], v[2:3] op_sel:[0,1]
	v_pk_fma_f32 v[10:11], v[4:5], v[0:1], v[8:9] op_sel:[0,0,1] op_sel_hi:[1,1,0] neg_lo:[0,0,1] neg_hi:[0,0,1]
	v_pk_fma_f32 v[4:5], v[4:5], v[0:1], v[8:9] op_sel:[0,0,1] op_sel_hi:[1,0,0]
	v_dual_mul_f32 v8, v7, v3 :: v_dual_mov_b32 v4, v7
	s_delay_alu instid0(VALU_DEP_2) | instskip(NEXT) | instid1(VALU_DEP_2)
	v_dual_mov_b32 v11, v5 :: v_dual_mov_b32 v5, v6
	v_pk_fma_f32 v[8:9], v[6:7], v[26:27], v[8:9] op_sel_hi:[1,1,0] neg_lo:[0,0,1] neg_hi:[0,0,1]
	v_mul_f32_e32 v6, v7, v0
	s_delay_alu instid0(VALU_DEP_3) | instskip(NEXT) | instid1(VALU_DEP_2)
	v_pk_add_f32 v[112:113], v[112:113], v[10:11] neg_lo:[0,1] neg_hi:[0,1]
	v_pk_fma_f32 v[4:5], v[4:5], v[26:27], v[6:7] op_sel_hi:[1,1,0]
	s_delay_alu instid0(VALU_DEP_1) | instskip(SKIP_4) | instid1(VALU_DEP_1)
	v_mov_b32_e32 v9, v5
	ds_load_2addr_b64 v[4:7], v40 offset0:26 offset1:27
	v_pk_add_f32 v[108:109], v[108:109], v[8:9] neg_lo:[0,1] neg_hi:[0,1]
	s_wait_dscnt 0x0
	v_pk_mul_f32 v[8:9], v[4:5], v[2:3] op_sel:[0,1]
	v_pk_fma_f32 v[10:11], v[4:5], v[0:1], v[8:9] op_sel:[0,0,1] op_sel_hi:[1,1,0] neg_lo:[0,0,1] neg_hi:[0,0,1]
	v_pk_fma_f32 v[4:5], v[4:5], v[0:1], v[8:9] op_sel:[0,0,1] op_sel_hi:[1,0,0]
	s_delay_alu instid0(VALU_DEP_1) | instskip(SKIP_1) | instid1(VALU_DEP_1)
	v_mov_b32_e32 v11, v5
	v_pk_mul_f32 v[4:5], v[6:7], v[2:3] op_sel:[0,1]
	v_pk_fma_f32 v[8:9], v[6:7], v[0:1], v[4:5] op_sel:[0,0,1] op_sel_hi:[1,1,0] neg_lo:[0,0,1] neg_hi:[0,0,1]
	v_pk_fma_f32 v[4:5], v[6:7], v[0:1], v[4:5] op_sel:[0,0,1] op_sel_hi:[1,0,0]
	s_delay_alu instid0(VALU_DEP_1)
	v_mov_b32_e32 v9, v5
	ds_load_2addr_b64 v[4:7], v40 offset0:28 offset1:29
	v_pk_add_f32 v[110:111], v[110:111], v[10:11] neg_lo:[0,1] neg_hi:[0,1]
	v_pk_add_f32 v[106:107], v[106:107], v[8:9] neg_lo:[0,1] neg_hi:[0,1]
	s_wait_dscnt 0x0
	v_pk_mul_f32 v[8:9], v[4:5], v[2:3] op_sel:[0,1]
	s_delay_alu instid0(VALU_DEP_1) | instskip(SKIP_1) | instid1(VALU_DEP_1)
	v_pk_fma_f32 v[10:11], v[4:5], v[0:1], v[8:9] op_sel:[0,0,1] op_sel_hi:[1,1,0] neg_lo:[0,0,1] neg_hi:[0,0,1]
	v_pk_fma_f32 v[4:5], v[4:5], v[0:1], v[8:9] op_sel:[0,0,1] op_sel_hi:[1,0,0]
	v_mov_b32_e32 v11, v5
	v_pk_mul_f32 v[4:5], v[6:7], v[2:3] op_sel:[0,1]
	s_delay_alu instid0(VALU_DEP_1) | instskip(SKIP_1) | instid1(VALU_DEP_1)
	v_pk_fma_f32 v[8:9], v[6:7], v[0:1], v[4:5] op_sel:[0,0,1] op_sel_hi:[1,1,0] neg_lo:[0,0,1] neg_hi:[0,0,1]
	v_pk_fma_f32 v[4:5], v[6:7], v[0:1], v[4:5] op_sel:[0,0,1] op_sel_hi:[1,0,0]
	v_mov_b32_e32 v9, v5
	ds_load_2addr_b64 v[4:7], v40 offset0:30 offset1:31
	v_pk_add_f32 v[128:129], v[128:129], v[10:11] neg_lo:[0,1] neg_hi:[0,1]
	v_pk_add_f32 v[124:125], v[124:125], v[8:9] neg_lo:[0,1] neg_hi:[0,1]
	s_wait_dscnt 0x0
	v_dual_mul_f32 v8, v5, v3 :: v_dual_mul_f32 v10, v5, v0
	s_delay_alu instid0(VALU_DEP_1) | instskip(NEXT) | instid1(VALU_DEP_2)
	v_pk_fma_f32 v[8:9], v[4:5], v[26:27], v[8:9] op_sel_hi:[1,1,0] neg_lo:[0,0,1] neg_hi:[0,0,1]
	v_pk_fma_f32 v[4:5], v[4:5], v[26:27], v[10:11] op_sel:[1,0,0] op_sel_hi:[0,1,0]
	s_delay_alu instid0(VALU_DEP_1) | instskip(SKIP_1) | instid1(VALU_DEP_2)
	v_mov_b32_e32 v9, v5
	v_pk_mul_f32 v[4:5], v[6:7], v[2:3] op_sel:[0,1]
	v_pk_add_f32 v[126:127], v[126:127], v[8:9] neg_lo:[0,1] neg_hi:[0,1]
	s_delay_alu instid0(VALU_DEP_2) | instskip(SKIP_1) | instid1(VALU_DEP_1)
	v_pk_fma_f32 v[8:9], v[6:7], v[0:1], v[4:5] op_sel:[0,0,1] op_sel_hi:[1,1,0] neg_lo:[0,0,1] neg_hi:[0,0,1]
	v_pk_fma_f32 v[4:5], v[6:7], v[0:1], v[4:5] op_sel:[0,0,1] op_sel_hi:[1,0,0]
	v_mov_b32_e32 v9, v5
	ds_load_2addr_b64 v[4:7], v40 offset0:32 offset1:33
	v_pk_add_f32 v[122:123], v[122:123], v[8:9] neg_lo:[0,1] neg_hi:[0,1]
	s_wait_dscnt 0x0
	v_pk_mul_f32 v[8:9], v[4:5], v[2:3] op_sel:[0,1]
	s_delay_alu instid0(VALU_DEP_1) | instskip(SKIP_1) | instid1(VALU_DEP_1)
	v_pk_fma_f32 v[10:11], v[4:5], v[0:1], v[8:9] op_sel:[0,0,1] op_sel_hi:[1,1,0] neg_lo:[0,0,1] neg_hi:[0,0,1]
	v_pk_fma_f32 v[4:5], v[4:5], v[0:1], v[8:9] op_sel:[0,0,1] op_sel_hi:[1,0,0]
	v_mov_b32_e32 v11, v5
	v_pk_mul_f32 v[4:5], v[6:7], v[2:3] op_sel:[0,1]
	s_delay_alu instid0(VALU_DEP_2) | instskip(NEXT) | instid1(VALU_DEP_2)
	v_pk_add_f32 v[144:145], v[144:145], v[10:11] neg_lo:[0,1] neg_hi:[0,1]
	v_pk_fma_f32 v[8:9], v[6:7], v[0:1], v[4:5] op_sel:[0,0,1] op_sel_hi:[1,1,0] neg_lo:[0,0,1] neg_hi:[0,0,1]
	v_pk_fma_f32 v[4:5], v[6:7], v[0:1], v[4:5] op_sel:[0,0,1] op_sel_hi:[1,0,0]
	s_delay_alu instid0(VALU_DEP_1) | instskip(SKIP_4) | instid1(VALU_DEP_1)
	v_mov_b32_e32 v9, v5
	ds_load_2addr_b64 v[4:7], v40 offset0:34 offset1:35
	v_pk_add_f32 v[140:141], v[140:141], v[8:9] neg_lo:[0,1] neg_hi:[0,1]
	s_wait_dscnt 0x0
	v_pk_mul_f32 v[8:9], v[4:5], v[2:3] op_sel:[0,1]
	v_pk_fma_f32 v[10:11], v[4:5], v[0:1], v[8:9] op_sel:[0,0,1] op_sel_hi:[1,1,0] neg_lo:[0,0,1] neg_hi:[0,0,1]
	v_pk_fma_f32 v[4:5], v[4:5], v[0:1], v[8:9] op_sel:[0,0,1] op_sel_hi:[1,0,0]
	v_dual_mul_f32 v8, v7, v3 :: v_dual_mov_b32 v4, v7
	s_delay_alu instid0(VALU_DEP_2) | instskip(NEXT) | instid1(VALU_DEP_2)
	v_dual_mov_b32 v11, v5 :: v_dual_mov_b32 v5, v6
	v_pk_fma_f32 v[8:9], v[6:7], v[26:27], v[8:9] op_sel_hi:[1,1,0] neg_lo:[0,0,1] neg_hi:[0,0,1]
	v_mul_f32_e32 v6, v7, v0
	s_delay_alu instid0(VALU_DEP_3) | instskip(NEXT) | instid1(VALU_DEP_2)
	v_pk_add_f32 v[142:143], v[142:143], v[10:11] neg_lo:[0,1] neg_hi:[0,1]
	v_pk_fma_f32 v[4:5], v[4:5], v[26:27], v[6:7] op_sel_hi:[1,1,0]
	s_delay_alu instid0(VALU_DEP_1) | instskip(SKIP_4) | instid1(VALU_DEP_1)
	v_mov_b32_e32 v9, v5
	ds_load_2addr_b64 v[4:7], v40 offset0:36 offset1:37
	v_pk_add_f32 v[138:139], v[138:139], v[8:9] neg_lo:[0,1] neg_hi:[0,1]
	s_wait_dscnt 0x0
	v_pk_mul_f32 v[8:9], v[4:5], v[2:3] op_sel:[0,1]
	v_pk_fma_f32 v[10:11], v[4:5], v[0:1], v[8:9] op_sel:[0,0,1] op_sel_hi:[1,1,0] neg_lo:[0,0,1] neg_hi:[0,0,1]
	v_pk_fma_f32 v[4:5], v[4:5], v[0:1], v[8:9] op_sel:[0,0,1] op_sel_hi:[1,0,0]
	s_delay_alu instid0(VALU_DEP_1) | instskip(SKIP_1) | instid1(VALU_DEP_1)
	v_mov_b32_e32 v11, v5
	v_pk_mul_f32 v[4:5], v[6:7], v[2:3] op_sel:[0,1]
	v_pk_fma_f32 v[8:9], v[6:7], v[0:1], v[4:5] op_sel:[0,0,1] op_sel_hi:[1,1,0] neg_lo:[0,0,1] neg_hi:[0,0,1]
	v_pk_fma_f32 v[4:5], v[6:7], v[0:1], v[4:5] op_sel:[0,0,1] op_sel_hi:[1,0,0]
	s_delay_alu instid0(VALU_DEP_1)
	v_mov_b32_e32 v9, v5
	ds_load_2addr_b64 v[4:7], v40 offset0:38 offset1:39
	v_pk_add_f32 v[162:163], v[162:163], v[10:11] neg_lo:[0,1] neg_hi:[0,1]
	v_pk_add_f32 v[158:159], v[158:159], v[8:9] neg_lo:[0,1] neg_hi:[0,1]
	s_wait_dscnt 0x0
	v_pk_mul_f32 v[8:9], v[4:5], v[2:3] op_sel:[0,1]
	s_delay_alu instid0(VALU_DEP_1) | instskip(SKIP_1) | instid1(VALU_DEP_1)
	v_pk_fma_f32 v[10:11], v[4:5], v[0:1], v[8:9] op_sel:[0,0,1] op_sel_hi:[1,1,0] neg_lo:[0,0,1] neg_hi:[0,0,1]
	v_pk_fma_f32 v[4:5], v[4:5], v[0:1], v[8:9] op_sel:[0,0,1] op_sel_hi:[1,0,0]
	v_mov_b32_e32 v11, v5
	v_pk_mul_f32 v[4:5], v[6:7], v[2:3] op_sel:[0,1]
	s_delay_alu instid0(VALU_DEP_1) | instskip(SKIP_1) | instid1(VALU_DEP_1)
	v_pk_fma_f32 v[8:9], v[6:7], v[0:1], v[4:5] op_sel:[0,0,1] op_sel_hi:[1,1,0] neg_lo:[0,0,1] neg_hi:[0,0,1]
	v_pk_fma_f32 v[4:5], v[6:7], v[0:1], v[4:5] op_sel:[0,0,1] op_sel_hi:[1,0,0]
	v_mov_b32_e32 v9, v5
	ds_load_2addr_b64 v[4:7], v40 offset0:40 offset1:41
	v_pk_add_f32 v[160:161], v[160:161], v[10:11] neg_lo:[0,1] neg_hi:[0,1]
	v_pk_add_f32 v[156:157], v[156:157], v[8:9] neg_lo:[0,1] neg_hi:[0,1]
	s_wait_dscnt 0x0
	v_dual_mul_f32 v8, v5, v3 :: v_dual_mul_f32 v10, v5, v0
	s_delay_alu instid0(VALU_DEP_1) | instskip(NEXT) | instid1(VALU_DEP_2)
	v_pk_fma_f32 v[8:9], v[4:5], v[26:27], v[8:9] op_sel_hi:[1,1,0] neg_lo:[0,0,1] neg_hi:[0,0,1]
	v_pk_fma_f32 v[4:5], v[4:5], v[26:27], v[10:11] op_sel:[1,0,0] op_sel_hi:[0,1,0]
	s_delay_alu instid0(VALU_DEP_1) | instskip(SKIP_1) | instid1(VALU_DEP_2)
	v_mov_b32_e32 v9, v5
	v_pk_mul_f32 v[4:5], v[6:7], v[2:3] op_sel:[0,1]
	v_pk_add_f32 v[182:183], v[182:183], v[8:9] neg_lo:[0,1] neg_hi:[0,1]
	s_delay_alu instid0(VALU_DEP_2) | instskip(SKIP_1) | instid1(VALU_DEP_1)
	v_pk_fma_f32 v[8:9], v[6:7], v[0:1], v[4:5] op_sel:[0,0,1] op_sel_hi:[1,1,0] neg_lo:[0,0,1] neg_hi:[0,0,1]
	v_pk_fma_f32 v[4:5], v[6:7], v[0:1], v[4:5] op_sel:[0,0,1] op_sel_hi:[1,0,0]
	v_mov_b32_e32 v9, v5
	ds_load_2addr_b64 v[4:7], v40 offset0:42 offset1:43
	v_pk_add_f32 v[176:177], v[176:177], v[8:9] neg_lo:[0,1] neg_hi:[0,1]
	s_wait_dscnt 0x0
	v_pk_mul_f32 v[8:9], v[4:5], v[2:3] op_sel:[0,1]
	s_delay_alu instid0(VALU_DEP_1) | instskip(SKIP_1) | instid1(VALU_DEP_1)
	v_pk_fma_f32 v[10:11], v[4:5], v[0:1], v[8:9] op_sel:[0,0,1] op_sel_hi:[1,1,0] neg_lo:[0,0,1] neg_hi:[0,0,1]
	v_pk_fma_f32 v[4:5], v[4:5], v[0:1], v[8:9] op_sel:[0,0,1] op_sel_hi:[1,0,0]
	v_mov_b32_e32 v11, v5
	v_pk_mul_f32 v[4:5], v[6:7], v[2:3] op_sel:[0,1]
	s_delay_alu instid0(VALU_DEP_2) | instskip(NEXT) | instid1(VALU_DEP_2)
	v_pk_add_f32 v[180:181], v[180:181], v[10:11] neg_lo:[0,1] neg_hi:[0,1]
	v_pk_fma_f32 v[8:9], v[6:7], v[0:1], v[4:5] op_sel:[0,0,1] op_sel_hi:[1,1,0] neg_lo:[0,0,1] neg_hi:[0,0,1]
	v_pk_fma_f32 v[4:5], v[6:7], v[0:1], v[4:5] op_sel:[0,0,1] op_sel_hi:[1,0,0]
	s_delay_alu instid0(VALU_DEP_1) | instskip(SKIP_4) | instid1(VALU_DEP_1)
	v_mov_b32_e32 v9, v5
	ds_load_2addr_b64 v[4:7], v40 offset0:44 offset1:45
	v_pk_add_f32 v[174:175], v[174:175], v[8:9] neg_lo:[0,1] neg_hi:[0,1]
	s_wait_dscnt 0x0
	v_pk_mul_f32 v[8:9], v[4:5], v[2:3] op_sel:[0,1]
	v_pk_fma_f32 v[10:11], v[4:5], v[0:1], v[8:9] op_sel:[0,0,1] op_sel_hi:[1,1,0] neg_lo:[0,0,1] neg_hi:[0,0,1]
	v_pk_fma_f32 v[4:5], v[4:5], v[0:1], v[8:9] op_sel:[0,0,1] op_sel_hi:[1,0,0]
	v_dual_mul_f32 v8, v7, v3 :: v_dual_mov_b32 v4, v7
	s_delay_alu instid0(VALU_DEP_2) | instskip(NEXT) | instid1(VALU_DEP_2)
	v_dual_mov_b32 v11, v5 :: v_dual_mov_b32 v5, v6
	v_pk_fma_f32 v[8:9], v[6:7], v[26:27], v[8:9] op_sel_hi:[1,1,0] neg_lo:[0,0,1] neg_hi:[0,0,1]
	v_mul_f32_e32 v6, v7, v0
	s_delay_alu instid0(VALU_DEP_3) | instskip(NEXT) | instid1(VALU_DEP_2)
	v_pk_add_f32 v[178:179], v[178:179], v[10:11] neg_lo:[0,1] neg_hi:[0,1]
	v_pk_fma_f32 v[4:5], v[4:5], v[26:27], v[6:7] op_sel_hi:[1,1,0]
	s_delay_alu instid0(VALU_DEP_1) | instskip(SKIP_4) | instid1(VALU_DEP_1)
	v_mov_b32_e32 v9, v5
	ds_load_b64 v[4:5], v40 offset:368
	v_pk_add_f32 v[186:187], v[186:187], v[8:9] neg_lo:[0,1] neg_hi:[0,1]
	s_wait_dscnt 0x0
	v_pk_mul_f32 v[2:3], v[4:5], v[2:3] op_sel:[0,1]
	v_pk_fma_f32 v[6:7], v[4:5], v[0:1], v[2:3] op_sel:[0,0,1] op_sel_hi:[1,1,0] neg_lo:[0,0,1] neg_hi:[0,0,1]
	v_pk_fma_f32 v[0:1], v[4:5], v[0:1], v[2:3] op_sel:[0,0,1] op_sel_hi:[1,0,0]
	s_delay_alu instid0(VALU_DEP_1) | instskip(NEXT) | instid1(VALU_DEP_1)
	v_mov_b32_e32 v7, v1
	v_pk_add_f32 v[188:189], v[188:189], v[6:7] neg_lo:[0,1] neg_hi:[0,1]
.LBB93_109:
	s_or_b32 exec_lo, exec_lo, s1
	s_delay_alu instid0(SALU_CYCLE_1)
	s_mov_b32 s2, exec_lo
	s_wait_dscnt 0x0
	s_barrier_signal -1
	s_barrier_wait -1
	v_cmpx_eq_u32_e32 12, v36
	s_cbranch_execz .LBB93_116
; %bb.110:
	ds_store_b64 v37, v[48:49]
	ds_store_2addr_b64 v40, v[44:45], v[46:47] offset0:13 offset1:14
	ds_store_2addr_b64 v40, v[42:43], v[70:71] offset0:15 offset1:16
	;; [unrolled: 1-line block ×17, first 2 shown]
	ds_load_b64 v[0:1], v37
	s_wait_dscnt 0x0
	v_cmp_neq_f32_e32 vcc_lo, 0, v0
	v_cmp_neq_f32_e64 s1, 0, v1
	s_or_b32 s1, vcc_lo, s1
	s_delay_alu instid0(SALU_CYCLE_1)
	s_and_b32 exec_lo, exec_lo, s1
	s_cbranch_execz .LBB93_116
; %bb.111:
	v_cmp_ngt_f32_e64 s1, |v0|, |v1|
                                        ; implicit-def: $vgpr2_vgpr3
	s_and_saveexec_b32 s4, s1
	s_delay_alu instid0(SALU_CYCLE_1)
	s_xor_b32 s1, exec_lo, s4
	s_cbranch_execz .LBB93_113
; %bb.112:
	v_div_scale_f32 v2, null, v1, v1, v0
	v_div_scale_f32 v5, vcc_lo, v0, v1, v0
	s_delay_alu instid0(VALU_DEP_2) | instskip(SKIP_1) | instid1(TRANS32_DEP_1)
	v_rcp_f32_e32 v3, v2
	v_nop
	v_fma_f32 v4, -v2, v3, 1.0
	s_delay_alu instid0(VALU_DEP_1) | instskip(NEXT) | instid1(VALU_DEP_1)
	v_fmac_f32_e32 v3, v4, v3
	v_mul_f32_e32 v4, v5, v3
	s_delay_alu instid0(VALU_DEP_1) | instskip(NEXT) | instid1(VALU_DEP_1)
	v_fma_f32 v6, -v2, v4, v5
	v_fmac_f32_e32 v4, v6, v3
	s_delay_alu instid0(VALU_DEP_1) | instskip(NEXT) | instid1(VALU_DEP_1)
	v_fma_f32 v2, -v2, v4, v5
	v_div_fmas_f32 v2, v2, v3, v4
	s_delay_alu instid0(VALU_DEP_1) | instskip(NEXT) | instid1(VALU_DEP_1)
	v_div_fixup_f32 v2, v2, v1, v0
	v_fmac_f32_e32 v1, v0, v2
	s_delay_alu instid0(VALU_DEP_1) | instskip(SKIP_1) | instid1(VALU_DEP_2)
	v_div_scale_f32 v0, null, v1, v1, 1.0
	v_div_scale_f32 v5, vcc_lo, 1.0, v1, 1.0
	v_rcp_f32_e32 v3, v0
	v_nop
	s_delay_alu instid0(TRANS32_DEP_1) | instskip(NEXT) | instid1(VALU_DEP_1)
	v_fma_f32 v4, -v0, v3, 1.0
	v_fmac_f32_e32 v3, v4, v3
	s_delay_alu instid0(VALU_DEP_1) | instskip(NEXT) | instid1(VALU_DEP_1)
	v_mul_f32_e32 v4, v5, v3
	v_fma_f32 v6, -v0, v4, v5
	s_delay_alu instid0(VALU_DEP_1) | instskip(NEXT) | instid1(VALU_DEP_1)
	v_fmac_f32_e32 v4, v6, v3
	v_fma_f32 v0, -v0, v4, v5
	s_delay_alu instid0(VALU_DEP_1) | instskip(NEXT) | instid1(VALU_DEP_1)
	v_div_fmas_f32 v0, v0, v3, v4
	v_div_fixup_f32 v0, v0, v1, 1.0
	s_delay_alu instid0(VALU_DEP_1)
	v_mul_f32_e32 v2, v2, v0
	v_xor_b32_e32 v3, 0x80000000, v0
                                        ; implicit-def: $vgpr0_vgpr1
.LBB93_113:
	s_and_not1_saveexec_b32 s1, s1
	s_cbranch_execz .LBB93_115
; %bb.114:
	v_div_scale_f32 v2, null, v0, v0, v1
	v_div_scale_f32 v5, vcc_lo, v1, v0, v1
	s_delay_alu instid0(VALU_DEP_2) | instskip(SKIP_1) | instid1(TRANS32_DEP_1)
	v_rcp_f32_e32 v3, v2
	v_nop
	v_fma_f32 v4, -v2, v3, 1.0
	s_delay_alu instid0(VALU_DEP_1) | instskip(NEXT) | instid1(VALU_DEP_1)
	v_fmac_f32_e32 v3, v4, v3
	v_mul_f32_e32 v4, v5, v3
	s_delay_alu instid0(VALU_DEP_1) | instskip(NEXT) | instid1(VALU_DEP_1)
	v_fma_f32 v6, -v2, v4, v5
	v_fmac_f32_e32 v4, v6, v3
	s_delay_alu instid0(VALU_DEP_1) | instskip(NEXT) | instid1(VALU_DEP_1)
	v_fma_f32 v2, -v2, v4, v5
	v_div_fmas_f32 v2, v2, v3, v4
	s_delay_alu instid0(VALU_DEP_1) | instskip(NEXT) | instid1(VALU_DEP_1)
	v_div_fixup_f32 v3, v2, v0, v1
	v_fmac_f32_e32 v0, v1, v3
	s_delay_alu instid0(VALU_DEP_1) | instskip(NEXT) | instid1(VALU_DEP_1)
	v_div_scale_f32 v1, null, v0, v0, 1.0
	v_rcp_f32_e32 v2, v1
	v_nop
	s_delay_alu instid0(TRANS32_DEP_1) | instskip(NEXT) | instid1(VALU_DEP_1)
	v_fma_f32 v4, -v1, v2, 1.0
	v_fmac_f32_e32 v2, v4, v2
	v_div_scale_f32 v4, vcc_lo, 1.0, v0, 1.0
	s_delay_alu instid0(VALU_DEP_1) | instskip(NEXT) | instid1(VALU_DEP_1)
	v_mul_f32_e32 v5, v4, v2
	v_fma_f32 v6, -v1, v5, v4
	s_delay_alu instid0(VALU_DEP_1) | instskip(NEXT) | instid1(VALU_DEP_1)
	v_fmac_f32_e32 v5, v6, v2
	v_fma_f32 v1, -v1, v5, v4
	s_delay_alu instid0(VALU_DEP_1) | instskip(NEXT) | instid1(VALU_DEP_1)
	v_div_fmas_f32 v1, v1, v2, v5
	v_div_fixup_f32 v2, v1, v0, 1.0
	s_delay_alu instid0(VALU_DEP_1)
	v_mul_f32_e64 v3, v3, -v2
.LBB93_115:
	s_or_b32 exec_lo, exec_lo, s1
	ds_store_b64 v37, v[2:3]
.LBB93_116:
	s_or_b32 exec_lo, exec_lo, s2
	s_wait_dscnt 0x0
	s_barrier_signal -1
	s_barrier_wait -1
	ds_load_b64 v[214:215], v37
	s_mov_b32 s1, exec_lo
	v_cmpx_lt_u32_e32 12, v36
	s_cbranch_execz .LBB93_118
; %bb.117:
	ds_load_2addr_b64 v[4:7], v40 offset0:13 offset1:14
	s_wait_dscnt 0x1
	v_pk_mul_f32 v[2:3], v[214:215], v[48:49] op_sel:[1,1] op_sel_hi:[0,1]
	s_delay_alu instid0(VALU_DEP_1) | instskip(SKIP_1) | instid1(VALU_DEP_1)
	v_pk_fma_f32 v[0:1], v[214:215], v[48:49], v[2:3] op_sel_hi:[1,0,1] neg_lo:[0,0,1] neg_hi:[0,0,1]
	v_pk_fma_f32 v[2:3], v[214:215], v[48:49], v[2:3] op_sel_hi:[1,0,1]
	v_dual_mov_b32 v48, v0 :: v_dual_mov_b32 v49, v3
	s_wait_dscnt 0x0
	s_delay_alu instid0(VALU_DEP_2) | instskip(NEXT) | instid1(VALU_DEP_1)
	v_pk_mul_f32 v[8:9], v[4:5], v[2:3] op_sel:[0,1]
	v_pk_fma_f32 v[10:11], v[4:5], v[0:1], v[8:9] op_sel:[0,0,1] op_sel_hi:[1,1,0] neg_lo:[0,0,1] neg_hi:[0,0,1]
	v_pk_fma_f32 v[4:5], v[4:5], v[0:1], v[8:9] op_sel:[0,0,1] op_sel_hi:[1,0,0]
	s_delay_alu instid0(VALU_DEP_1) | instskip(SKIP_1) | instid1(VALU_DEP_1)
	v_mov_b32_e32 v11, v5
	v_pk_mul_f32 v[4:5], v[6:7], v[2:3] op_sel:[0,1]
	v_pk_fma_f32 v[8:9], v[6:7], v[0:1], v[4:5] op_sel:[0,0,1] op_sel_hi:[1,1,0] neg_lo:[0,0,1] neg_hi:[0,0,1]
	v_pk_fma_f32 v[4:5], v[6:7], v[0:1], v[4:5] op_sel:[0,0,1] op_sel_hi:[1,0,0]
	s_delay_alu instid0(VALU_DEP_1)
	v_mov_b32_e32 v9, v5
	ds_load_2addr_b64 v[4:7], v40 offset0:15 offset1:16
	v_pk_add_f32 v[44:45], v[44:45], v[10:11] neg_lo:[0,1] neg_hi:[0,1]
	v_pk_add_f32 v[46:47], v[46:47], v[8:9] neg_lo:[0,1] neg_hi:[0,1]
	s_wait_dscnt 0x0
	v_pk_mul_f32 v[8:9], v[4:5], v[2:3] op_sel:[0,1]
	s_delay_alu instid0(VALU_DEP_1) | instskip(SKIP_2) | instid1(VALU_DEP_2)
	v_pk_fma_f32 v[10:11], v[4:5], v[0:1], v[8:9] op_sel:[0,0,1] op_sel_hi:[1,1,0] neg_lo:[0,0,1] neg_hi:[0,0,1]
	v_pk_fma_f32 v[4:5], v[4:5], v[0:1], v[8:9] op_sel:[0,0,1] op_sel_hi:[1,0,0]
	v_dual_mul_f32 v8, v7, v3 :: v_dual_mov_b32 v4, v7
	v_dual_mov_b32 v11, v5 :: v_dual_mov_b32 v5, v6
	s_delay_alu instid0(VALU_DEP_2) | instskip(SKIP_1) | instid1(VALU_DEP_3)
	v_pk_fma_f32 v[8:9], v[6:7], v[48:49], v[8:9] op_sel_hi:[1,1,0] neg_lo:[0,0,1] neg_hi:[0,0,1]
	v_mul_f32_e32 v6, v7, v0
	v_pk_add_f32 v[42:43], v[42:43], v[10:11] neg_lo:[0,1] neg_hi:[0,1]
	s_delay_alu instid0(VALU_DEP_2) | instskip(NEXT) | instid1(VALU_DEP_1)
	v_pk_fma_f32 v[4:5], v[4:5], v[48:49], v[6:7] op_sel_hi:[1,1,0]
	v_mov_b32_e32 v9, v5
	ds_load_2addr_b64 v[4:7], v40 offset0:17 offset1:18
	v_pk_add_f32 v[70:71], v[70:71], v[8:9] neg_lo:[0,1] neg_hi:[0,1]
	s_wait_dscnt 0x0
	v_pk_mul_f32 v[8:9], v[4:5], v[2:3] op_sel:[0,1]
	s_delay_alu instid0(VALU_DEP_1) | instskip(SKIP_1) | instid1(VALU_DEP_1)
	v_pk_fma_f32 v[10:11], v[4:5], v[0:1], v[8:9] op_sel:[0,0,1] op_sel_hi:[1,1,0] neg_lo:[0,0,1] neg_hi:[0,0,1]
	v_pk_fma_f32 v[4:5], v[4:5], v[0:1], v[8:9] op_sel:[0,0,1] op_sel_hi:[1,0,0]
	v_mov_b32_e32 v11, v5
	v_pk_mul_f32 v[4:5], v[6:7], v[2:3] op_sel:[0,1]
	s_delay_alu instid0(VALU_DEP_1) | instskip(SKIP_1) | instid1(VALU_DEP_1)
	v_pk_fma_f32 v[8:9], v[6:7], v[0:1], v[4:5] op_sel:[0,0,1] op_sel_hi:[1,1,0] neg_lo:[0,0,1] neg_hi:[0,0,1]
	v_pk_fma_f32 v[4:5], v[6:7], v[0:1], v[4:5] op_sel:[0,0,1] op_sel_hi:[1,0,0]
	v_mov_b32_e32 v9, v5
	ds_load_2addr_b64 v[4:7], v40 offset0:19 offset1:20
	v_pk_add_f32 v[66:67], v[66:67], v[10:11] neg_lo:[0,1] neg_hi:[0,1]
	v_pk_add_f32 v[68:69], v[68:69], v[8:9] neg_lo:[0,1] neg_hi:[0,1]
	s_wait_dscnt 0x0
	v_pk_mul_f32 v[8:9], v[4:5], v[2:3] op_sel:[0,1]
	s_delay_alu instid0(VALU_DEP_1) | instskip(SKIP_1) | instid1(VALU_DEP_1)
	v_pk_fma_f32 v[10:11], v[4:5], v[0:1], v[8:9] op_sel:[0,0,1] op_sel_hi:[1,1,0] neg_lo:[0,0,1] neg_hi:[0,0,1]
	v_pk_fma_f32 v[4:5], v[4:5], v[0:1], v[8:9] op_sel:[0,0,1] op_sel_hi:[1,0,0]
	v_mov_b32_e32 v11, v5
	v_pk_mul_f32 v[4:5], v[6:7], v[2:3] op_sel:[0,1]
	s_delay_alu instid0(VALU_DEP_1) | instskip(SKIP_1) | instid1(VALU_DEP_1)
	v_pk_fma_f32 v[8:9], v[6:7], v[0:1], v[4:5] op_sel:[0,0,1] op_sel_hi:[1,1,0] neg_lo:[0,0,1] neg_hi:[0,0,1]
	v_pk_fma_f32 v[4:5], v[6:7], v[0:1], v[4:5] op_sel:[0,0,1] op_sel_hi:[1,0,0]
	v_mov_b32_e32 v9, v5
	ds_load_2addr_b64 v[4:7], v40 offset0:21 offset1:22
	v_pk_add_f32 v[64:65], v[64:65], v[10:11] neg_lo:[0,1] neg_hi:[0,1]
	v_pk_add_f32 v[94:95], v[94:95], v[8:9] neg_lo:[0,1] neg_hi:[0,1]
	s_wait_dscnt 0x0
	v_dual_mul_f32 v8, v5, v3 :: v_dual_mul_f32 v10, v5, v0
	s_delay_alu instid0(VALU_DEP_1) | instskip(NEXT) | instid1(VALU_DEP_2)
	v_pk_fma_f32 v[8:9], v[4:5], v[48:49], v[8:9] op_sel_hi:[1,1,0] neg_lo:[0,0,1] neg_hi:[0,0,1]
	v_pk_fma_f32 v[4:5], v[4:5], v[48:49], v[10:11] op_sel:[1,0,0] op_sel_hi:[0,1,0]
	s_delay_alu instid0(VALU_DEP_1) | instskip(SKIP_1) | instid1(VALU_DEP_2)
	v_mov_b32_e32 v9, v5
	v_pk_mul_f32 v[4:5], v[6:7], v[2:3] op_sel:[0,1]
	v_pk_add_f32 v[90:91], v[90:91], v[8:9] neg_lo:[0,1] neg_hi:[0,1]
	s_delay_alu instid0(VALU_DEP_2) | instskip(SKIP_1) | instid1(VALU_DEP_1)
	v_pk_fma_f32 v[8:9], v[6:7], v[0:1], v[4:5] op_sel:[0,0,1] op_sel_hi:[1,1,0] neg_lo:[0,0,1] neg_hi:[0,0,1]
	v_pk_fma_f32 v[4:5], v[6:7], v[0:1], v[4:5] op_sel:[0,0,1] op_sel_hi:[1,0,0]
	v_mov_b32_e32 v9, v5
	ds_load_2addr_b64 v[4:7], v40 offset0:23 offset1:24
	v_pk_add_f32 v[92:93], v[92:93], v[8:9] neg_lo:[0,1] neg_hi:[0,1]
	s_wait_dscnt 0x0
	v_pk_mul_f32 v[8:9], v[4:5], v[2:3] op_sel:[0,1]
	s_delay_alu instid0(VALU_DEP_1) | instskip(SKIP_1) | instid1(VALU_DEP_1)
	v_pk_fma_f32 v[10:11], v[4:5], v[0:1], v[8:9] op_sel:[0,0,1] op_sel_hi:[1,1,0] neg_lo:[0,0,1] neg_hi:[0,0,1]
	v_pk_fma_f32 v[4:5], v[4:5], v[0:1], v[8:9] op_sel:[0,0,1] op_sel_hi:[1,0,0]
	v_mov_b32_e32 v11, v5
	v_pk_mul_f32 v[4:5], v[6:7], v[2:3] op_sel:[0,1]
	s_delay_alu instid0(VALU_DEP_2) | instskip(NEXT) | instid1(VALU_DEP_2)
	v_pk_add_f32 v[88:89], v[88:89], v[10:11] neg_lo:[0,1] neg_hi:[0,1]
	v_pk_fma_f32 v[8:9], v[6:7], v[0:1], v[4:5] op_sel:[0,0,1] op_sel_hi:[1,1,0] neg_lo:[0,0,1] neg_hi:[0,0,1]
	v_pk_fma_f32 v[4:5], v[6:7], v[0:1], v[4:5] op_sel:[0,0,1] op_sel_hi:[1,0,0]
	s_delay_alu instid0(VALU_DEP_1) | instskip(SKIP_4) | instid1(VALU_DEP_1)
	v_mov_b32_e32 v9, v5
	ds_load_2addr_b64 v[4:7], v40 offset0:25 offset1:26
	v_pk_add_f32 v[112:113], v[112:113], v[8:9] neg_lo:[0,1] neg_hi:[0,1]
	s_wait_dscnt 0x0
	v_pk_mul_f32 v[8:9], v[4:5], v[2:3] op_sel:[0,1]
	v_pk_fma_f32 v[10:11], v[4:5], v[0:1], v[8:9] op_sel:[0,0,1] op_sel_hi:[1,1,0] neg_lo:[0,0,1] neg_hi:[0,0,1]
	v_pk_fma_f32 v[4:5], v[4:5], v[0:1], v[8:9] op_sel:[0,0,1] op_sel_hi:[1,0,0]
	v_dual_mul_f32 v8, v7, v3 :: v_dual_mov_b32 v4, v7
	s_delay_alu instid0(VALU_DEP_2) | instskip(NEXT) | instid1(VALU_DEP_2)
	v_dual_mov_b32 v11, v5 :: v_dual_mov_b32 v5, v6
	v_pk_fma_f32 v[8:9], v[6:7], v[48:49], v[8:9] op_sel_hi:[1,1,0] neg_lo:[0,0,1] neg_hi:[0,0,1]
	v_mul_f32_e32 v6, v7, v0
	s_delay_alu instid0(VALU_DEP_3) | instskip(NEXT) | instid1(VALU_DEP_2)
	v_pk_add_f32 v[108:109], v[108:109], v[10:11] neg_lo:[0,1] neg_hi:[0,1]
	v_pk_fma_f32 v[4:5], v[4:5], v[48:49], v[6:7] op_sel_hi:[1,1,0]
	s_delay_alu instid0(VALU_DEP_1) | instskip(SKIP_4) | instid1(VALU_DEP_1)
	v_mov_b32_e32 v9, v5
	ds_load_2addr_b64 v[4:7], v40 offset0:27 offset1:28
	v_pk_add_f32 v[110:111], v[110:111], v[8:9] neg_lo:[0,1] neg_hi:[0,1]
	s_wait_dscnt 0x0
	v_pk_mul_f32 v[8:9], v[4:5], v[2:3] op_sel:[0,1]
	v_pk_fma_f32 v[10:11], v[4:5], v[0:1], v[8:9] op_sel:[0,0,1] op_sel_hi:[1,1,0] neg_lo:[0,0,1] neg_hi:[0,0,1]
	v_pk_fma_f32 v[4:5], v[4:5], v[0:1], v[8:9] op_sel:[0,0,1] op_sel_hi:[1,0,0]
	s_delay_alu instid0(VALU_DEP_1) | instskip(SKIP_1) | instid1(VALU_DEP_1)
	v_mov_b32_e32 v11, v5
	v_pk_mul_f32 v[4:5], v[6:7], v[2:3] op_sel:[0,1]
	v_pk_fma_f32 v[8:9], v[6:7], v[0:1], v[4:5] op_sel:[0,0,1] op_sel_hi:[1,1,0] neg_lo:[0,0,1] neg_hi:[0,0,1]
	v_pk_fma_f32 v[4:5], v[6:7], v[0:1], v[4:5] op_sel:[0,0,1] op_sel_hi:[1,0,0]
	s_delay_alu instid0(VALU_DEP_1)
	v_mov_b32_e32 v9, v5
	ds_load_2addr_b64 v[4:7], v40 offset0:29 offset1:30
	v_pk_add_f32 v[106:107], v[106:107], v[10:11] neg_lo:[0,1] neg_hi:[0,1]
	v_pk_add_f32 v[128:129], v[128:129], v[8:9] neg_lo:[0,1] neg_hi:[0,1]
	s_wait_dscnt 0x0
	v_pk_mul_f32 v[8:9], v[4:5], v[2:3] op_sel:[0,1]
	s_delay_alu instid0(VALU_DEP_1) | instskip(SKIP_1) | instid1(VALU_DEP_1)
	v_pk_fma_f32 v[10:11], v[4:5], v[0:1], v[8:9] op_sel:[0,0,1] op_sel_hi:[1,1,0] neg_lo:[0,0,1] neg_hi:[0,0,1]
	v_pk_fma_f32 v[4:5], v[4:5], v[0:1], v[8:9] op_sel:[0,0,1] op_sel_hi:[1,0,0]
	v_mov_b32_e32 v11, v5
	v_pk_mul_f32 v[4:5], v[6:7], v[2:3] op_sel:[0,1]
	s_delay_alu instid0(VALU_DEP_1) | instskip(SKIP_1) | instid1(VALU_DEP_1)
	v_pk_fma_f32 v[8:9], v[6:7], v[0:1], v[4:5] op_sel:[0,0,1] op_sel_hi:[1,1,0] neg_lo:[0,0,1] neg_hi:[0,0,1]
	v_pk_fma_f32 v[4:5], v[6:7], v[0:1], v[4:5] op_sel:[0,0,1] op_sel_hi:[1,0,0]
	v_mov_b32_e32 v9, v5
	ds_load_2addr_b64 v[4:7], v40 offset0:31 offset1:32
	v_pk_add_f32 v[124:125], v[124:125], v[10:11] neg_lo:[0,1] neg_hi:[0,1]
	v_pk_add_f32 v[126:127], v[126:127], v[8:9] neg_lo:[0,1] neg_hi:[0,1]
	s_wait_dscnt 0x0
	v_dual_mul_f32 v8, v5, v3 :: v_dual_mul_f32 v10, v5, v0
	s_delay_alu instid0(VALU_DEP_1) | instskip(NEXT) | instid1(VALU_DEP_2)
	v_pk_fma_f32 v[8:9], v[4:5], v[48:49], v[8:9] op_sel_hi:[1,1,0] neg_lo:[0,0,1] neg_hi:[0,0,1]
	v_pk_fma_f32 v[4:5], v[4:5], v[48:49], v[10:11] op_sel:[1,0,0] op_sel_hi:[0,1,0]
	s_delay_alu instid0(VALU_DEP_1) | instskip(SKIP_1) | instid1(VALU_DEP_2)
	v_mov_b32_e32 v9, v5
	v_pk_mul_f32 v[4:5], v[6:7], v[2:3] op_sel:[0,1]
	v_pk_add_f32 v[122:123], v[122:123], v[8:9] neg_lo:[0,1] neg_hi:[0,1]
	s_delay_alu instid0(VALU_DEP_2) | instskip(SKIP_1) | instid1(VALU_DEP_1)
	v_pk_fma_f32 v[8:9], v[6:7], v[0:1], v[4:5] op_sel:[0,0,1] op_sel_hi:[1,1,0] neg_lo:[0,0,1] neg_hi:[0,0,1]
	v_pk_fma_f32 v[4:5], v[6:7], v[0:1], v[4:5] op_sel:[0,0,1] op_sel_hi:[1,0,0]
	v_mov_b32_e32 v9, v5
	ds_load_2addr_b64 v[4:7], v40 offset0:33 offset1:34
	v_pk_add_f32 v[144:145], v[144:145], v[8:9] neg_lo:[0,1] neg_hi:[0,1]
	s_wait_dscnt 0x0
	v_pk_mul_f32 v[8:9], v[4:5], v[2:3] op_sel:[0,1]
	s_delay_alu instid0(VALU_DEP_1) | instskip(SKIP_1) | instid1(VALU_DEP_1)
	v_pk_fma_f32 v[10:11], v[4:5], v[0:1], v[8:9] op_sel:[0,0,1] op_sel_hi:[1,1,0] neg_lo:[0,0,1] neg_hi:[0,0,1]
	v_pk_fma_f32 v[4:5], v[4:5], v[0:1], v[8:9] op_sel:[0,0,1] op_sel_hi:[1,0,0]
	v_mov_b32_e32 v11, v5
	v_pk_mul_f32 v[4:5], v[6:7], v[2:3] op_sel:[0,1]
	s_delay_alu instid0(VALU_DEP_2) | instskip(NEXT) | instid1(VALU_DEP_2)
	v_pk_add_f32 v[140:141], v[140:141], v[10:11] neg_lo:[0,1] neg_hi:[0,1]
	v_pk_fma_f32 v[8:9], v[6:7], v[0:1], v[4:5] op_sel:[0,0,1] op_sel_hi:[1,1,0] neg_lo:[0,0,1] neg_hi:[0,0,1]
	v_pk_fma_f32 v[4:5], v[6:7], v[0:1], v[4:5] op_sel:[0,0,1] op_sel_hi:[1,0,0]
	s_delay_alu instid0(VALU_DEP_1) | instskip(SKIP_4) | instid1(VALU_DEP_1)
	v_mov_b32_e32 v9, v5
	ds_load_2addr_b64 v[4:7], v40 offset0:35 offset1:36
	v_pk_add_f32 v[142:143], v[142:143], v[8:9] neg_lo:[0,1] neg_hi:[0,1]
	s_wait_dscnt 0x0
	v_pk_mul_f32 v[8:9], v[4:5], v[2:3] op_sel:[0,1]
	v_pk_fma_f32 v[10:11], v[4:5], v[0:1], v[8:9] op_sel:[0,0,1] op_sel_hi:[1,1,0] neg_lo:[0,0,1] neg_hi:[0,0,1]
	v_pk_fma_f32 v[4:5], v[4:5], v[0:1], v[8:9] op_sel:[0,0,1] op_sel_hi:[1,0,0]
	v_dual_mul_f32 v8, v7, v3 :: v_dual_mov_b32 v4, v7
	s_delay_alu instid0(VALU_DEP_2) | instskip(NEXT) | instid1(VALU_DEP_2)
	v_dual_mov_b32 v11, v5 :: v_dual_mov_b32 v5, v6
	v_pk_fma_f32 v[8:9], v[6:7], v[48:49], v[8:9] op_sel_hi:[1,1,0] neg_lo:[0,0,1] neg_hi:[0,0,1]
	v_mul_f32_e32 v6, v7, v0
	s_delay_alu instid0(VALU_DEP_3) | instskip(NEXT) | instid1(VALU_DEP_2)
	v_pk_add_f32 v[138:139], v[138:139], v[10:11] neg_lo:[0,1] neg_hi:[0,1]
	v_pk_fma_f32 v[4:5], v[4:5], v[48:49], v[6:7] op_sel_hi:[1,1,0]
	s_delay_alu instid0(VALU_DEP_1) | instskip(SKIP_4) | instid1(VALU_DEP_1)
	v_mov_b32_e32 v9, v5
	ds_load_2addr_b64 v[4:7], v40 offset0:37 offset1:38
	v_pk_add_f32 v[162:163], v[162:163], v[8:9] neg_lo:[0,1] neg_hi:[0,1]
	s_wait_dscnt 0x0
	v_pk_mul_f32 v[8:9], v[4:5], v[2:3] op_sel:[0,1]
	v_pk_fma_f32 v[10:11], v[4:5], v[0:1], v[8:9] op_sel:[0,0,1] op_sel_hi:[1,1,0] neg_lo:[0,0,1] neg_hi:[0,0,1]
	v_pk_fma_f32 v[4:5], v[4:5], v[0:1], v[8:9] op_sel:[0,0,1] op_sel_hi:[1,0,0]
	s_delay_alu instid0(VALU_DEP_1) | instskip(SKIP_1) | instid1(VALU_DEP_1)
	v_mov_b32_e32 v11, v5
	v_pk_mul_f32 v[4:5], v[6:7], v[2:3] op_sel:[0,1]
	v_pk_fma_f32 v[8:9], v[6:7], v[0:1], v[4:5] op_sel:[0,0,1] op_sel_hi:[1,1,0] neg_lo:[0,0,1] neg_hi:[0,0,1]
	v_pk_fma_f32 v[4:5], v[6:7], v[0:1], v[4:5] op_sel:[0,0,1] op_sel_hi:[1,0,0]
	s_delay_alu instid0(VALU_DEP_1)
	v_mov_b32_e32 v9, v5
	ds_load_2addr_b64 v[4:7], v40 offset0:39 offset1:40
	v_pk_add_f32 v[158:159], v[158:159], v[10:11] neg_lo:[0,1] neg_hi:[0,1]
	v_pk_add_f32 v[160:161], v[160:161], v[8:9] neg_lo:[0,1] neg_hi:[0,1]
	s_wait_dscnt 0x0
	v_pk_mul_f32 v[8:9], v[4:5], v[2:3] op_sel:[0,1]
	s_delay_alu instid0(VALU_DEP_1) | instskip(SKIP_1) | instid1(VALU_DEP_1)
	v_pk_fma_f32 v[10:11], v[4:5], v[0:1], v[8:9] op_sel:[0,0,1] op_sel_hi:[1,1,0] neg_lo:[0,0,1] neg_hi:[0,0,1]
	v_pk_fma_f32 v[4:5], v[4:5], v[0:1], v[8:9] op_sel:[0,0,1] op_sel_hi:[1,0,0]
	v_mov_b32_e32 v11, v5
	v_pk_mul_f32 v[4:5], v[6:7], v[2:3] op_sel:[0,1]
	s_delay_alu instid0(VALU_DEP_1) | instskip(SKIP_1) | instid1(VALU_DEP_1)
	v_pk_fma_f32 v[8:9], v[6:7], v[0:1], v[4:5] op_sel:[0,0,1] op_sel_hi:[1,1,0] neg_lo:[0,0,1] neg_hi:[0,0,1]
	v_pk_fma_f32 v[4:5], v[6:7], v[0:1], v[4:5] op_sel:[0,0,1] op_sel_hi:[1,0,0]
	v_mov_b32_e32 v9, v5
	ds_load_2addr_b64 v[4:7], v40 offset0:41 offset1:42
	v_pk_add_f32 v[156:157], v[156:157], v[10:11] neg_lo:[0,1] neg_hi:[0,1]
	v_pk_add_f32 v[182:183], v[182:183], v[8:9] neg_lo:[0,1] neg_hi:[0,1]
	s_wait_dscnt 0x0
	v_dual_mul_f32 v8, v5, v3 :: v_dual_mul_f32 v10, v5, v0
	s_delay_alu instid0(VALU_DEP_1) | instskip(NEXT) | instid1(VALU_DEP_2)
	v_pk_fma_f32 v[8:9], v[4:5], v[48:49], v[8:9] op_sel_hi:[1,1,0] neg_lo:[0,0,1] neg_hi:[0,0,1]
	v_pk_fma_f32 v[4:5], v[4:5], v[48:49], v[10:11] op_sel:[1,0,0] op_sel_hi:[0,1,0]
	s_delay_alu instid0(VALU_DEP_1) | instskip(SKIP_1) | instid1(VALU_DEP_2)
	v_mov_b32_e32 v9, v5
	v_pk_mul_f32 v[4:5], v[6:7], v[2:3] op_sel:[0,1]
	v_pk_add_f32 v[176:177], v[176:177], v[8:9] neg_lo:[0,1] neg_hi:[0,1]
	s_delay_alu instid0(VALU_DEP_2) | instskip(SKIP_1) | instid1(VALU_DEP_1)
	v_pk_fma_f32 v[8:9], v[6:7], v[0:1], v[4:5] op_sel:[0,0,1] op_sel_hi:[1,1,0] neg_lo:[0,0,1] neg_hi:[0,0,1]
	v_pk_fma_f32 v[4:5], v[6:7], v[0:1], v[4:5] op_sel:[0,0,1] op_sel_hi:[1,0,0]
	v_mov_b32_e32 v9, v5
	ds_load_2addr_b64 v[4:7], v40 offset0:43 offset1:44
	v_pk_add_f32 v[180:181], v[180:181], v[8:9] neg_lo:[0,1] neg_hi:[0,1]
	s_wait_dscnt 0x0
	v_pk_mul_f32 v[8:9], v[4:5], v[2:3] op_sel:[0,1]
	s_delay_alu instid0(VALU_DEP_1) | instskip(SKIP_1) | instid1(VALU_DEP_1)
	v_pk_fma_f32 v[10:11], v[4:5], v[0:1], v[8:9] op_sel:[0,0,1] op_sel_hi:[1,1,0] neg_lo:[0,0,1] neg_hi:[0,0,1]
	v_pk_fma_f32 v[4:5], v[4:5], v[0:1], v[8:9] op_sel:[0,0,1] op_sel_hi:[1,0,0]
	v_mov_b32_e32 v11, v5
	v_pk_mul_f32 v[4:5], v[6:7], v[2:3] op_sel:[0,1]
	s_delay_alu instid0(VALU_DEP_2) | instskip(NEXT) | instid1(VALU_DEP_2)
	v_pk_add_f32 v[174:175], v[174:175], v[10:11] neg_lo:[0,1] neg_hi:[0,1]
	v_pk_fma_f32 v[8:9], v[6:7], v[0:1], v[4:5] op_sel:[0,0,1] op_sel_hi:[1,1,0] neg_lo:[0,0,1] neg_hi:[0,0,1]
	v_pk_fma_f32 v[4:5], v[6:7], v[0:1], v[4:5] op_sel:[0,0,1] op_sel_hi:[1,0,0]
	s_delay_alu instid0(VALU_DEP_1)
	v_mov_b32_e32 v9, v5
	ds_load_2addr_b64 v[4:7], v40 offset0:45 offset1:46
	v_pk_add_f32 v[178:179], v[178:179], v[8:9] neg_lo:[0,1] neg_hi:[0,1]
	s_wait_dscnt 0x0
	v_pk_mul_f32 v[8:9], v[4:5], v[2:3] op_sel:[0,1]
	v_pk_mul_f32 v[2:3], v[6:7], v[2:3] op_sel:[0,1]
	s_delay_alu instid0(VALU_DEP_2) | instskip(SKIP_1) | instid1(VALU_DEP_1)
	v_pk_fma_f32 v[10:11], v[4:5], v[0:1], v[8:9] op_sel:[0,0,1] op_sel_hi:[1,1,0] neg_lo:[0,0,1] neg_hi:[0,0,1]
	v_pk_fma_f32 v[4:5], v[4:5], v[0:1], v[8:9] op_sel:[0,0,1] op_sel_hi:[1,0,0]
	v_mov_b32_e32 v11, v5
	s_delay_alu instid0(VALU_DEP_4) | instskip(SKIP_1) | instid1(VALU_DEP_3)
	v_pk_fma_f32 v[4:5], v[6:7], v[0:1], v[2:3] op_sel:[0,0,1] op_sel_hi:[1,1,0] neg_lo:[0,0,1] neg_hi:[0,0,1]
	v_pk_fma_f32 v[0:1], v[6:7], v[0:1], v[2:3] op_sel:[0,0,1] op_sel_hi:[1,0,0]
	v_pk_add_f32 v[186:187], v[186:187], v[10:11] neg_lo:[0,1] neg_hi:[0,1]
	s_delay_alu instid0(VALU_DEP_2) | instskip(NEXT) | instid1(VALU_DEP_1)
	v_mov_b32_e32 v5, v1
	v_pk_add_f32 v[188:189], v[188:189], v[4:5] neg_lo:[0,1] neg_hi:[0,1]
.LBB93_118:
	s_or_b32 exec_lo, exec_lo, s1
	s_delay_alu instid0(SALU_CYCLE_1)
	s_mov_b32 s2, exec_lo
	s_wait_dscnt 0x0
	s_barrier_signal -1
	s_barrier_wait -1
	v_cmpx_eq_u32_e32 13, v36
	s_cbranch_execz .LBB93_125
; %bb.119:
	v_dual_mov_b32 v0, v46 :: v_dual_mov_b32 v1, v47
	v_dual_mov_b32 v2, v42 :: v_dual_mov_b32 v3, v43
	;; [unrolled: 1-line block ×8, first 2 shown]
	ds_store_b64 v37, v[44:45]
	ds_store_2addr_b64 v40, v[0:1], v[2:3] offset0:14 offset1:15
	ds_store_2addr_b64 v40, v[4:5], v[6:7] offset0:16 offset1:17
	;; [unrolled: 1-line block ×4, first 2 shown]
	v_dual_mov_b32 v0, v92 :: v_dual_mov_b32 v1, v93
	v_dual_mov_b32 v2, v88 :: v_dual_mov_b32 v3, v89
	v_dual_mov_b32 v4, v112 :: v_dual_mov_b32 v5, v113
	v_dual_mov_b32 v6, v108 :: v_dual_mov_b32 v7, v109
	v_dual_mov_b32 v8, v110 :: v_dual_mov_b32 v9, v111
	v_dual_mov_b32 v10, v106 :: v_dual_mov_b32 v11, v107
	v_dual_mov_b32 v12, v128 :: v_dual_mov_b32 v13, v129
	v_dual_mov_b32 v14, v124 :: v_dual_mov_b32 v15, v125
	v_dual_mov_b32 v18, v126 :: v_dual_mov_b32 v19, v127
	v_dual_mov_b32 v20, v122 :: v_dual_mov_b32 v21, v123
	v_dual_mov_b32 v22, v144 :: v_dual_mov_b32 v23, v145
	v_dual_mov_b32 v24, v140 :: v_dual_mov_b32 v25, v141
	ds_store_2addr_b64 v40, v[0:1], v[2:3] offset0:22 offset1:23
	ds_store_2addr_b64 v40, v[4:5], v[6:7] offset0:24 offset1:25
	;; [unrolled: 1-line block ×6, first 2 shown]
	v_dual_mov_b32 v0, v142 :: v_dual_mov_b32 v1, v143
	v_dual_mov_b32 v2, v138 :: v_dual_mov_b32 v3, v139
	;; [unrolled: 1-line block ×12, first 2 shown]
	ds_store_2addr_b64 v40, v[0:1], v[2:3] offset0:34 offset1:35
	ds_store_2addr_b64 v40, v[4:5], v[6:7] offset0:36 offset1:37
	;; [unrolled: 1-line block ×6, first 2 shown]
	ds_store_b64 v40, v[188:189] offset:368
	ds_load_b64 v[0:1], v37
	s_wait_dscnt 0x0
	v_cmp_neq_f32_e32 vcc_lo, 0, v0
	v_cmp_neq_f32_e64 s1, 0, v1
	s_or_b32 s1, vcc_lo, s1
	s_delay_alu instid0(SALU_CYCLE_1)
	s_and_b32 exec_lo, exec_lo, s1
	s_cbranch_execz .LBB93_125
; %bb.120:
	v_cmp_ngt_f32_e64 s1, |v0|, |v1|
                                        ; implicit-def: $vgpr2_vgpr3
	s_and_saveexec_b32 s4, s1
	s_delay_alu instid0(SALU_CYCLE_1)
	s_xor_b32 s1, exec_lo, s4
	s_cbranch_execz .LBB93_122
; %bb.121:
	v_div_scale_f32 v2, null, v1, v1, v0
	v_div_scale_f32 v5, vcc_lo, v0, v1, v0
	s_delay_alu instid0(VALU_DEP_2) | instskip(SKIP_1) | instid1(TRANS32_DEP_1)
	v_rcp_f32_e32 v3, v2
	v_nop
	v_fma_f32 v4, -v2, v3, 1.0
	s_delay_alu instid0(VALU_DEP_1) | instskip(NEXT) | instid1(VALU_DEP_1)
	v_fmac_f32_e32 v3, v4, v3
	v_mul_f32_e32 v4, v5, v3
	s_delay_alu instid0(VALU_DEP_1) | instskip(NEXT) | instid1(VALU_DEP_1)
	v_fma_f32 v6, -v2, v4, v5
	v_fmac_f32_e32 v4, v6, v3
	s_delay_alu instid0(VALU_DEP_1) | instskip(NEXT) | instid1(VALU_DEP_1)
	v_fma_f32 v2, -v2, v4, v5
	v_div_fmas_f32 v2, v2, v3, v4
	s_delay_alu instid0(VALU_DEP_1) | instskip(NEXT) | instid1(VALU_DEP_1)
	v_div_fixup_f32 v2, v2, v1, v0
	v_fmac_f32_e32 v1, v0, v2
	s_delay_alu instid0(VALU_DEP_1) | instskip(SKIP_1) | instid1(VALU_DEP_2)
	v_div_scale_f32 v0, null, v1, v1, 1.0
	v_div_scale_f32 v5, vcc_lo, 1.0, v1, 1.0
	v_rcp_f32_e32 v3, v0
	v_nop
	s_delay_alu instid0(TRANS32_DEP_1) | instskip(NEXT) | instid1(VALU_DEP_1)
	v_fma_f32 v4, -v0, v3, 1.0
	v_fmac_f32_e32 v3, v4, v3
	s_delay_alu instid0(VALU_DEP_1) | instskip(NEXT) | instid1(VALU_DEP_1)
	v_mul_f32_e32 v4, v5, v3
	v_fma_f32 v6, -v0, v4, v5
	s_delay_alu instid0(VALU_DEP_1) | instskip(NEXT) | instid1(VALU_DEP_1)
	v_fmac_f32_e32 v4, v6, v3
	v_fma_f32 v0, -v0, v4, v5
	s_delay_alu instid0(VALU_DEP_1) | instskip(NEXT) | instid1(VALU_DEP_1)
	v_div_fmas_f32 v0, v0, v3, v4
	v_div_fixup_f32 v0, v0, v1, 1.0
	s_delay_alu instid0(VALU_DEP_1)
	v_mul_f32_e32 v2, v2, v0
	v_xor_b32_e32 v3, 0x80000000, v0
                                        ; implicit-def: $vgpr0_vgpr1
.LBB93_122:
	s_and_not1_saveexec_b32 s1, s1
	s_cbranch_execz .LBB93_124
; %bb.123:
	v_div_scale_f32 v2, null, v0, v0, v1
	v_div_scale_f32 v5, vcc_lo, v1, v0, v1
	s_delay_alu instid0(VALU_DEP_2) | instskip(SKIP_1) | instid1(TRANS32_DEP_1)
	v_rcp_f32_e32 v3, v2
	v_nop
	v_fma_f32 v4, -v2, v3, 1.0
	s_delay_alu instid0(VALU_DEP_1) | instskip(NEXT) | instid1(VALU_DEP_1)
	v_fmac_f32_e32 v3, v4, v3
	v_mul_f32_e32 v4, v5, v3
	s_delay_alu instid0(VALU_DEP_1) | instskip(NEXT) | instid1(VALU_DEP_1)
	v_fma_f32 v6, -v2, v4, v5
	v_fmac_f32_e32 v4, v6, v3
	s_delay_alu instid0(VALU_DEP_1) | instskip(NEXT) | instid1(VALU_DEP_1)
	v_fma_f32 v2, -v2, v4, v5
	v_div_fmas_f32 v2, v2, v3, v4
	s_delay_alu instid0(VALU_DEP_1) | instskip(NEXT) | instid1(VALU_DEP_1)
	v_div_fixup_f32 v3, v2, v0, v1
	v_fmac_f32_e32 v0, v1, v3
	s_delay_alu instid0(VALU_DEP_1) | instskip(NEXT) | instid1(VALU_DEP_1)
	v_div_scale_f32 v1, null, v0, v0, 1.0
	v_rcp_f32_e32 v2, v1
	v_nop
	s_delay_alu instid0(TRANS32_DEP_1) | instskip(NEXT) | instid1(VALU_DEP_1)
	v_fma_f32 v4, -v1, v2, 1.0
	v_fmac_f32_e32 v2, v4, v2
	v_div_scale_f32 v4, vcc_lo, 1.0, v0, 1.0
	s_delay_alu instid0(VALU_DEP_1) | instskip(NEXT) | instid1(VALU_DEP_1)
	v_mul_f32_e32 v5, v4, v2
	v_fma_f32 v6, -v1, v5, v4
	s_delay_alu instid0(VALU_DEP_1) | instskip(NEXT) | instid1(VALU_DEP_1)
	v_fmac_f32_e32 v5, v6, v2
	v_fma_f32 v1, -v1, v5, v4
	s_delay_alu instid0(VALU_DEP_1) | instskip(NEXT) | instid1(VALU_DEP_1)
	v_div_fmas_f32 v1, v1, v2, v5
	v_div_fixup_f32 v2, v1, v0, 1.0
	s_delay_alu instid0(VALU_DEP_1)
	v_mul_f32_e64 v3, v3, -v2
.LBB93_124:
	s_or_b32 exec_lo, exec_lo, s1
	ds_store_b64 v37, v[2:3]
.LBB93_125:
	s_or_b32 exec_lo, exec_lo, s2
	s_wait_dscnt 0x0
	s_barrier_signal -1
	s_barrier_wait -1
	ds_load_b64 v[216:217], v37
	s_mov_b32 s1, exec_lo
	v_cmpx_lt_u32_e32 13, v36
	s_cbranch_execz .LBB93_127
; %bb.126:
	ds_load_2addr_b64 v[4:7], v40 offset0:14 offset1:15
	s_wait_dscnt 0x1
	v_pk_mul_f32 v[2:3], v[216:217], v[44:45] op_sel:[1,1] op_sel_hi:[0,1]
	s_delay_alu instid0(VALU_DEP_1) | instskip(SKIP_1) | instid1(VALU_DEP_1)
	v_pk_fma_f32 v[0:1], v[216:217], v[44:45], v[2:3] op_sel_hi:[1,0,1] neg_lo:[0,0,1] neg_hi:[0,0,1]
	v_pk_fma_f32 v[2:3], v[216:217], v[44:45], v[2:3] op_sel_hi:[1,0,1]
	v_dual_mov_b32 v44, v0 :: v_dual_mov_b32 v45, v3
	s_wait_dscnt 0x0
	s_delay_alu instid0(VALU_DEP_2) | instskip(NEXT) | instid1(VALU_DEP_1)
	v_pk_mul_f32 v[8:9], v[4:5], v[2:3] op_sel:[0,1]
	v_pk_fma_f32 v[10:11], v[4:5], v[0:1], v[8:9] op_sel:[0,0,1] op_sel_hi:[1,1,0] neg_lo:[0,0,1] neg_hi:[0,0,1]
	v_pk_fma_f32 v[4:5], v[4:5], v[0:1], v[8:9] op_sel:[0,0,1] op_sel_hi:[1,0,0]
	s_delay_alu instid0(VALU_DEP_1) | instskip(SKIP_1) | instid1(VALU_DEP_1)
	v_mov_b32_e32 v11, v5
	v_pk_mul_f32 v[4:5], v[6:7], v[2:3] op_sel:[0,1]
	v_pk_fma_f32 v[8:9], v[6:7], v[0:1], v[4:5] op_sel:[0,0,1] op_sel_hi:[1,1,0] neg_lo:[0,0,1] neg_hi:[0,0,1]
	v_pk_fma_f32 v[4:5], v[6:7], v[0:1], v[4:5] op_sel:[0,0,1] op_sel_hi:[1,0,0]
	s_delay_alu instid0(VALU_DEP_1)
	v_mov_b32_e32 v9, v5
	ds_load_2addr_b64 v[4:7], v40 offset0:16 offset1:17
	v_pk_add_f32 v[46:47], v[46:47], v[10:11] neg_lo:[0,1] neg_hi:[0,1]
	v_pk_add_f32 v[42:43], v[42:43], v[8:9] neg_lo:[0,1] neg_hi:[0,1]
	s_wait_dscnt 0x0
	v_pk_mul_f32 v[8:9], v[4:5], v[2:3] op_sel:[0,1]
	s_delay_alu instid0(VALU_DEP_1) | instskip(SKIP_2) | instid1(VALU_DEP_2)
	v_pk_fma_f32 v[10:11], v[4:5], v[0:1], v[8:9] op_sel:[0,0,1] op_sel_hi:[1,1,0] neg_lo:[0,0,1] neg_hi:[0,0,1]
	v_pk_fma_f32 v[4:5], v[4:5], v[0:1], v[8:9] op_sel:[0,0,1] op_sel_hi:[1,0,0]
	v_dual_mul_f32 v8, v7, v3 :: v_dual_mov_b32 v4, v7
	v_dual_mov_b32 v11, v5 :: v_dual_mov_b32 v5, v6
	s_delay_alu instid0(VALU_DEP_2) | instskip(SKIP_1) | instid1(VALU_DEP_3)
	v_pk_fma_f32 v[8:9], v[6:7], v[44:45], v[8:9] op_sel_hi:[1,1,0] neg_lo:[0,0,1] neg_hi:[0,0,1]
	v_mul_f32_e32 v6, v7, v0
	v_pk_add_f32 v[70:71], v[70:71], v[10:11] neg_lo:[0,1] neg_hi:[0,1]
	s_delay_alu instid0(VALU_DEP_2) | instskip(NEXT) | instid1(VALU_DEP_1)
	v_pk_fma_f32 v[4:5], v[4:5], v[44:45], v[6:7] op_sel_hi:[1,1,0]
	v_mov_b32_e32 v9, v5
	ds_load_2addr_b64 v[4:7], v40 offset0:18 offset1:19
	v_pk_add_f32 v[66:67], v[66:67], v[8:9] neg_lo:[0,1] neg_hi:[0,1]
	s_wait_dscnt 0x0
	v_pk_mul_f32 v[8:9], v[4:5], v[2:3] op_sel:[0,1]
	s_delay_alu instid0(VALU_DEP_1) | instskip(SKIP_1) | instid1(VALU_DEP_1)
	v_pk_fma_f32 v[10:11], v[4:5], v[0:1], v[8:9] op_sel:[0,0,1] op_sel_hi:[1,1,0] neg_lo:[0,0,1] neg_hi:[0,0,1]
	v_pk_fma_f32 v[4:5], v[4:5], v[0:1], v[8:9] op_sel:[0,0,1] op_sel_hi:[1,0,0]
	v_mov_b32_e32 v11, v5
	v_pk_mul_f32 v[4:5], v[6:7], v[2:3] op_sel:[0,1]
	s_delay_alu instid0(VALU_DEP_1) | instskip(SKIP_1) | instid1(VALU_DEP_1)
	v_pk_fma_f32 v[8:9], v[6:7], v[0:1], v[4:5] op_sel:[0,0,1] op_sel_hi:[1,1,0] neg_lo:[0,0,1] neg_hi:[0,0,1]
	v_pk_fma_f32 v[4:5], v[6:7], v[0:1], v[4:5] op_sel:[0,0,1] op_sel_hi:[1,0,0]
	v_mov_b32_e32 v9, v5
	ds_load_2addr_b64 v[4:7], v40 offset0:20 offset1:21
	v_pk_add_f32 v[68:69], v[68:69], v[10:11] neg_lo:[0,1] neg_hi:[0,1]
	v_pk_add_f32 v[64:65], v[64:65], v[8:9] neg_lo:[0,1] neg_hi:[0,1]
	s_wait_dscnt 0x0
	v_pk_mul_f32 v[8:9], v[4:5], v[2:3] op_sel:[0,1]
	s_delay_alu instid0(VALU_DEP_1) | instskip(SKIP_1) | instid1(VALU_DEP_1)
	v_pk_fma_f32 v[10:11], v[4:5], v[0:1], v[8:9] op_sel:[0,0,1] op_sel_hi:[1,1,0] neg_lo:[0,0,1] neg_hi:[0,0,1]
	v_pk_fma_f32 v[4:5], v[4:5], v[0:1], v[8:9] op_sel:[0,0,1] op_sel_hi:[1,0,0]
	v_mov_b32_e32 v11, v5
	v_pk_mul_f32 v[4:5], v[6:7], v[2:3] op_sel:[0,1]
	s_delay_alu instid0(VALU_DEP_1) | instskip(SKIP_1) | instid1(VALU_DEP_1)
	v_pk_fma_f32 v[8:9], v[6:7], v[0:1], v[4:5] op_sel:[0,0,1] op_sel_hi:[1,1,0] neg_lo:[0,0,1] neg_hi:[0,0,1]
	v_pk_fma_f32 v[4:5], v[6:7], v[0:1], v[4:5] op_sel:[0,0,1] op_sel_hi:[1,0,0]
	v_mov_b32_e32 v9, v5
	ds_load_2addr_b64 v[4:7], v40 offset0:22 offset1:23
	v_pk_add_f32 v[94:95], v[94:95], v[10:11] neg_lo:[0,1] neg_hi:[0,1]
	v_pk_add_f32 v[90:91], v[90:91], v[8:9] neg_lo:[0,1] neg_hi:[0,1]
	s_wait_dscnt 0x0
	v_dual_mul_f32 v8, v5, v3 :: v_dual_mul_f32 v10, v5, v0
	s_delay_alu instid0(VALU_DEP_1) | instskip(NEXT) | instid1(VALU_DEP_2)
	v_pk_fma_f32 v[8:9], v[4:5], v[44:45], v[8:9] op_sel_hi:[1,1,0] neg_lo:[0,0,1] neg_hi:[0,0,1]
	v_pk_fma_f32 v[4:5], v[4:5], v[44:45], v[10:11] op_sel:[1,0,0] op_sel_hi:[0,1,0]
	s_delay_alu instid0(VALU_DEP_1) | instskip(SKIP_1) | instid1(VALU_DEP_2)
	v_mov_b32_e32 v9, v5
	v_pk_mul_f32 v[4:5], v[6:7], v[2:3] op_sel:[0,1]
	v_pk_add_f32 v[92:93], v[92:93], v[8:9] neg_lo:[0,1] neg_hi:[0,1]
	s_delay_alu instid0(VALU_DEP_2) | instskip(SKIP_1) | instid1(VALU_DEP_1)
	v_pk_fma_f32 v[8:9], v[6:7], v[0:1], v[4:5] op_sel:[0,0,1] op_sel_hi:[1,1,0] neg_lo:[0,0,1] neg_hi:[0,0,1]
	v_pk_fma_f32 v[4:5], v[6:7], v[0:1], v[4:5] op_sel:[0,0,1] op_sel_hi:[1,0,0]
	v_mov_b32_e32 v9, v5
	ds_load_2addr_b64 v[4:7], v40 offset0:24 offset1:25
	v_pk_add_f32 v[88:89], v[88:89], v[8:9] neg_lo:[0,1] neg_hi:[0,1]
	s_wait_dscnt 0x0
	v_pk_mul_f32 v[8:9], v[4:5], v[2:3] op_sel:[0,1]
	s_delay_alu instid0(VALU_DEP_1) | instskip(SKIP_1) | instid1(VALU_DEP_1)
	v_pk_fma_f32 v[10:11], v[4:5], v[0:1], v[8:9] op_sel:[0,0,1] op_sel_hi:[1,1,0] neg_lo:[0,0,1] neg_hi:[0,0,1]
	v_pk_fma_f32 v[4:5], v[4:5], v[0:1], v[8:9] op_sel:[0,0,1] op_sel_hi:[1,0,0]
	v_mov_b32_e32 v11, v5
	v_pk_mul_f32 v[4:5], v[6:7], v[2:3] op_sel:[0,1]
	s_delay_alu instid0(VALU_DEP_2) | instskip(NEXT) | instid1(VALU_DEP_2)
	v_pk_add_f32 v[112:113], v[112:113], v[10:11] neg_lo:[0,1] neg_hi:[0,1]
	v_pk_fma_f32 v[8:9], v[6:7], v[0:1], v[4:5] op_sel:[0,0,1] op_sel_hi:[1,1,0] neg_lo:[0,0,1] neg_hi:[0,0,1]
	v_pk_fma_f32 v[4:5], v[6:7], v[0:1], v[4:5] op_sel:[0,0,1] op_sel_hi:[1,0,0]
	s_delay_alu instid0(VALU_DEP_1) | instskip(SKIP_4) | instid1(VALU_DEP_1)
	v_mov_b32_e32 v9, v5
	ds_load_2addr_b64 v[4:7], v40 offset0:26 offset1:27
	v_pk_add_f32 v[108:109], v[108:109], v[8:9] neg_lo:[0,1] neg_hi:[0,1]
	s_wait_dscnt 0x0
	v_pk_mul_f32 v[8:9], v[4:5], v[2:3] op_sel:[0,1]
	v_pk_fma_f32 v[10:11], v[4:5], v[0:1], v[8:9] op_sel:[0,0,1] op_sel_hi:[1,1,0] neg_lo:[0,0,1] neg_hi:[0,0,1]
	v_pk_fma_f32 v[4:5], v[4:5], v[0:1], v[8:9] op_sel:[0,0,1] op_sel_hi:[1,0,0]
	v_dual_mul_f32 v8, v7, v3 :: v_dual_mov_b32 v4, v7
	s_delay_alu instid0(VALU_DEP_2) | instskip(NEXT) | instid1(VALU_DEP_2)
	v_dual_mov_b32 v11, v5 :: v_dual_mov_b32 v5, v6
	v_pk_fma_f32 v[8:9], v[6:7], v[44:45], v[8:9] op_sel_hi:[1,1,0] neg_lo:[0,0,1] neg_hi:[0,0,1]
	v_mul_f32_e32 v6, v7, v0
	s_delay_alu instid0(VALU_DEP_3) | instskip(NEXT) | instid1(VALU_DEP_2)
	v_pk_add_f32 v[110:111], v[110:111], v[10:11] neg_lo:[0,1] neg_hi:[0,1]
	v_pk_fma_f32 v[4:5], v[4:5], v[44:45], v[6:7] op_sel_hi:[1,1,0]
	s_delay_alu instid0(VALU_DEP_1) | instskip(SKIP_4) | instid1(VALU_DEP_1)
	v_mov_b32_e32 v9, v5
	ds_load_2addr_b64 v[4:7], v40 offset0:28 offset1:29
	v_pk_add_f32 v[106:107], v[106:107], v[8:9] neg_lo:[0,1] neg_hi:[0,1]
	s_wait_dscnt 0x0
	v_pk_mul_f32 v[8:9], v[4:5], v[2:3] op_sel:[0,1]
	v_pk_fma_f32 v[10:11], v[4:5], v[0:1], v[8:9] op_sel:[0,0,1] op_sel_hi:[1,1,0] neg_lo:[0,0,1] neg_hi:[0,0,1]
	v_pk_fma_f32 v[4:5], v[4:5], v[0:1], v[8:9] op_sel:[0,0,1] op_sel_hi:[1,0,0]
	s_delay_alu instid0(VALU_DEP_1) | instskip(SKIP_1) | instid1(VALU_DEP_1)
	v_mov_b32_e32 v11, v5
	v_pk_mul_f32 v[4:5], v[6:7], v[2:3] op_sel:[0,1]
	v_pk_fma_f32 v[8:9], v[6:7], v[0:1], v[4:5] op_sel:[0,0,1] op_sel_hi:[1,1,0] neg_lo:[0,0,1] neg_hi:[0,0,1]
	v_pk_fma_f32 v[4:5], v[6:7], v[0:1], v[4:5] op_sel:[0,0,1] op_sel_hi:[1,0,0]
	s_delay_alu instid0(VALU_DEP_1)
	v_mov_b32_e32 v9, v5
	ds_load_2addr_b64 v[4:7], v40 offset0:30 offset1:31
	v_pk_add_f32 v[128:129], v[128:129], v[10:11] neg_lo:[0,1] neg_hi:[0,1]
	v_pk_add_f32 v[124:125], v[124:125], v[8:9] neg_lo:[0,1] neg_hi:[0,1]
	s_wait_dscnt 0x0
	v_pk_mul_f32 v[8:9], v[4:5], v[2:3] op_sel:[0,1]
	s_delay_alu instid0(VALU_DEP_1) | instskip(SKIP_1) | instid1(VALU_DEP_1)
	v_pk_fma_f32 v[10:11], v[4:5], v[0:1], v[8:9] op_sel:[0,0,1] op_sel_hi:[1,1,0] neg_lo:[0,0,1] neg_hi:[0,0,1]
	v_pk_fma_f32 v[4:5], v[4:5], v[0:1], v[8:9] op_sel:[0,0,1] op_sel_hi:[1,0,0]
	v_mov_b32_e32 v11, v5
	v_pk_mul_f32 v[4:5], v[6:7], v[2:3] op_sel:[0,1]
	s_delay_alu instid0(VALU_DEP_1) | instskip(SKIP_1) | instid1(VALU_DEP_1)
	v_pk_fma_f32 v[8:9], v[6:7], v[0:1], v[4:5] op_sel:[0,0,1] op_sel_hi:[1,1,0] neg_lo:[0,0,1] neg_hi:[0,0,1]
	v_pk_fma_f32 v[4:5], v[6:7], v[0:1], v[4:5] op_sel:[0,0,1] op_sel_hi:[1,0,0]
	v_mov_b32_e32 v9, v5
	ds_load_2addr_b64 v[4:7], v40 offset0:32 offset1:33
	v_pk_add_f32 v[126:127], v[126:127], v[10:11] neg_lo:[0,1] neg_hi:[0,1]
	v_pk_add_f32 v[122:123], v[122:123], v[8:9] neg_lo:[0,1] neg_hi:[0,1]
	s_wait_dscnt 0x0
	v_dual_mul_f32 v8, v5, v3 :: v_dual_mul_f32 v10, v5, v0
	s_delay_alu instid0(VALU_DEP_1) | instskip(NEXT) | instid1(VALU_DEP_2)
	v_pk_fma_f32 v[8:9], v[4:5], v[44:45], v[8:9] op_sel_hi:[1,1,0] neg_lo:[0,0,1] neg_hi:[0,0,1]
	v_pk_fma_f32 v[4:5], v[4:5], v[44:45], v[10:11] op_sel:[1,0,0] op_sel_hi:[0,1,0]
	s_delay_alu instid0(VALU_DEP_1) | instskip(SKIP_1) | instid1(VALU_DEP_2)
	v_mov_b32_e32 v9, v5
	v_pk_mul_f32 v[4:5], v[6:7], v[2:3] op_sel:[0,1]
	v_pk_add_f32 v[144:145], v[144:145], v[8:9] neg_lo:[0,1] neg_hi:[0,1]
	s_delay_alu instid0(VALU_DEP_2) | instskip(SKIP_1) | instid1(VALU_DEP_1)
	v_pk_fma_f32 v[8:9], v[6:7], v[0:1], v[4:5] op_sel:[0,0,1] op_sel_hi:[1,1,0] neg_lo:[0,0,1] neg_hi:[0,0,1]
	v_pk_fma_f32 v[4:5], v[6:7], v[0:1], v[4:5] op_sel:[0,0,1] op_sel_hi:[1,0,0]
	v_mov_b32_e32 v9, v5
	ds_load_2addr_b64 v[4:7], v40 offset0:34 offset1:35
	v_pk_add_f32 v[140:141], v[140:141], v[8:9] neg_lo:[0,1] neg_hi:[0,1]
	s_wait_dscnt 0x0
	v_pk_mul_f32 v[8:9], v[4:5], v[2:3] op_sel:[0,1]
	s_delay_alu instid0(VALU_DEP_1) | instskip(SKIP_1) | instid1(VALU_DEP_1)
	v_pk_fma_f32 v[10:11], v[4:5], v[0:1], v[8:9] op_sel:[0,0,1] op_sel_hi:[1,1,0] neg_lo:[0,0,1] neg_hi:[0,0,1]
	v_pk_fma_f32 v[4:5], v[4:5], v[0:1], v[8:9] op_sel:[0,0,1] op_sel_hi:[1,0,0]
	v_mov_b32_e32 v11, v5
	v_pk_mul_f32 v[4:5], v[6:7], v[2:3] op_sel:[0,1]
	s_delay_alu instid0(VALU_DEP_2) | instskip(NEXT) | instid1(VALU_DEP_2)
	v_pk_add_f32 v[142:143], v[142:143], v[10:11] neg_lo:[0,1] neg_hi:[0,1]
	v_pk_fma_f32 v[8:9], v[6:7], v[0:1], v[4:5] op_sel:[0,0,1] op_sel_hi:[1,1,0] neg_lo:[0,0,1] neg_hi:[0,0,1]
	v_pk_fma_f32 v[4:5], v[6:7], v[0:1], v[4:5] op_sel:[0,0,1] op_sel_hi:[1,0,0]
	s_delay_alu instid0(VALU_DEP_1) | instskip(SKIP_4) | instid1(VALU_DEP_1)
	v_mov_b32_e32 v9, v5
	ds_load_2addr_b64 v[4:7], v40 offset0:36 offset1:37
	v_pk_add_f32 v[138:139], v[138:139], v[8:9] neg_lo:[0,1] neg_hi:[0,1]
	s_wait_dscnt 0x0
	v_pk_mul_f32 v[8:9], v[4:5], v[2:3] op_sel:[0,1]
	v_pk_fma_f32 v[10:11], v[4:5], v[0:1], v[8:9] op_sel:[0,0,1] op_sel_hi:[1,1,0] neg_lo:[0,0,1] neg_hi:[0,0,1]
	v_pk_fma_f32 v[4:5], v[4:5], v[0:1], v[8:9] op_sel:[0,0,1] op_sel_hi:[1,0,0]
	v_dual_mul_f32 v8, v7, v3 :: v_dual_mov_b32 v4, v7
	s_delay_alu instid0(VALU_DEP_2) | instskip(NEXT) | instid1(VALU_DEP_2)
	v_dual_mov_b32 v11, v5 :: v_dual_mov_b32 v5, v6
	v_pk_fma_f32 v[8:9], v[6:7], v[44:45], v[8:9] op_sel_hi:[1,1,0] neg_lo:[0,0,1] neg_hi:[0,0,1]
	v_mul_f32_e32 v6, v7, v0
	s_delay_alu instid0(VALU_DEP_3) | instskip(NEXT) | instid1(VALU_DEP_2)
	v_pk_add_f32 v[162:163], v[162:163], v[10:11] neg_lo:[0,1] neg_hi:[0,1]
	v_pk_fma_f32 v[4:5], v[4:5], v[44:45], v[6:7] op_sel_hi:[1,1,0]
	s_delay_alu instid0(VALU_DEP_1) | instskip(SKIP_4) | instid1(VALU_DEP_1)
	v_mov_b32_e32 v9, v5
	ds_load_2addr_b64 v[4:7], v40 offset0:38 offset1:39
	v_pk_add_f32 v[158:159], v[158:159], v[8:9] neg_lo:[0,1] neg_hi:[0,1]
	s_wait_dscnt 0x0
	v_pk_mul_f32 v[8:9], v[4:5], v[2:3] op_sel:[0,1]
	v_pk_fma_f32 v[10:11], v[4:5], v[0:1], v[8:9] op_sel:[0,0,1] op_sel_hi:[1,1,0] neg_lo:[0,0,1] neg_hi:[0,0,1]
	v_pk_fma_f32 v[4:5], v[4:5], v[0:1], v[8:9] op_sel:[0,0,1] op_sel_hi:[1,0,0]
	s_delay_alu instid0(VALU_DEP_1) | instskip(SKIP_1) | instid1(VALU_DEP_1)
	v_mov_b32_e32 v11, v5
	v_pk_mul_f32 v[4:5], v[6:7], v[2:3] op_sel:[0,1]
	v_pk_fma_f32 v[8:9], v[6:7], v[0:1], v[4:5] op_sel:[0,0,1] op_sel_hi:[1,1,0] neg_lo:[0,0,1] neg_hi:[0,0,1]
	v_pk_fma_f32 v[4:5], v[6:7], v[0:1], v[4:5] op_sel:[0,0,1] op_sel_hi:[1,0,0]
	s_delay_alu instid0(VALU_DEP_1)
	v_mov_b32_e32 v9, v5
	ds_load_2addr_b64 v[4:7], v40 offset0:40 offset1:41
	v_pk_add_f32 v[160:161], v[160:161], v[10:11] neg_lo:[0,1] neg_hi:[0,1]
	v_pk_add_f32 v[156:157], v[156:157], v[8:9] neg_lo:[0,1] neg_hi:[0,1]
	s_wait_dscnt 0x0
	v_pk_mul_f32 v[8:9], v[4:5], v[2:3] op_sel:[0,1]
	s_delay_alu instid0(VALU_DEP_1) | instskip(SKIP_1) | instid1(VALU_DEP_1)
	v_pk_fma_f32 v[10:11], v[4:5], v[0:1], v[8:9] op_sel:[0,0,1] op_sel_hi:[1,1,0] neg_lo:[0,0,1] neg_hi:[0,0,1]
	v_pk_fma_f32 v[4:5], v[4:5], v[0:1], v[8:9] op_sel:[0,0,1] op_sel_hi:[1,0,0]
	v_mov_b32_e32 v11, v5
	v_pk_mul_f32 v[4:5], v[6:7], v[2:3] op_sel:[0,1]
	s_delay_alu instid0(VALU_DEP_1) | instskip(SKIP_1) | instid1(VALU_DEP_1)
	v_pk_fma_f32 v[8:9], v[6:7], v[0:1], v[4:5] op_sel:[0,0,1] op_sel_hi:[1,1,0] neg_lo:[0,0,1] neg_hi:[0,0,1]
	v_pk_fma_f32 v[4:5], v[6:7], v[0:1], v[4:5] op_sel:[0,0,1] op_sel_hi:[1,0,0]
	v_mov_b32_e32 v9, v5
	ds_load_2addr_b64 v[4:7], v40 offset0:42 offset1:43
	v_pk_add_f32 v[182:183], v[182:183], v[10:11] neg_lo:[0,1] neg_hi:[0,1]
	v_pk_add_f32 v[176:177], v[176:177], v[8:9] neg_lo:[0,1] neg_hi:[0,1]
	s_wait_dscnt 0x0
	v_dual_mul_f32 v8, v5, v3 :: v_dual_mul_f32 v10, v5, v0
	s_delay_alu instid0(VALU_DEP_1) | instskip(NEXT) | instid1(VALU_DEP_2)
	v_pk_fma_f32 v[8:9], v[4:5], v[44:45], v[8:9] op_sel_hi:[1,1,0] neg_lo:[0,0,1] neg_hi:[0,0,1]
	v_pk_fma_f32 v[4:5], v[4:5], v[44:45], v[10:11] op_sel:[1,0,0] op_sel_hi:[0,1,0]
	s_delay_alu instid0(VALU_DEP_1) | instskip(SKIP_1) | instid1(VALU_DEP_2)
	v_mov_b32_e32 v9, v5
	v_pk_mul_f32 v[4:5], v[6:7], v[2:3] op_sel:[0,1]
	v_pk_add_f32 v[180:181], v[180:181], v[8:9] neg_lo:[0,1] neg_hi:[0,1]
	s_delay_alu instid0(VALU_DEP_2) | instskip(SKIP_1) | instid1(VALU_DEP_1)
	v_pk_fma_f32 v[8:9], v[6:7], v[0:1], v[4:5] op_sel:[0,0,1] op_sel_hi:[1,1,0] neg_lo:[0,0,1] neg_hi:[0,0,1]
	v_pk_fma_f32 v[4:5], v[6:7], v[0:1], v[4:5] op_sel:[0,0,1] op_sel_hi:[1,0,0]
	v_mov_b32_e32 v9, v5
	ds_load_2addr_b64 v[4:7], v40 offset0:44 offset1:45
	v_pk_add_f32 v[174:175], v[174:175], v[8:9] neg_lo:[0,1] neg_hi:[0,1]
	s_wait_dscnt 0x0
	v_pk_mul_f32 v[8:9], v[4:5], v[2:3] op_sel:[0,1]
	s_delay_alu instid0(VALU_DEP_1) | instskip(SKIP_1) | instid1(VALU_DEP_1)
	v_pk_fma_f32 v[10:11], v[4:5], v[0:1], v[8:9] op_sel:[0,0,1] op_sel_hi:[1,1,0] neg_lo:[0,0,1] neg_hi:[0,0,1]
	v_pk_fma_f32 v[4:5], v[4:5], v[0:1], v[8:9] op_sel:[0,0,1] op_sel_hi:[1,0,0]
	v_mov_b32_e32 v11, v5
	v_pk_mul_f32 v[4:5], v[6:7], v[2:3] op_sel:[0,1]
	s_delay_alu instid0(VALU_DEP_2) | instskip(NEXT) | instid1(VALU_DEP_2)
	v_pk_add_f32 v[178:179], v[178:179], v[10:11] neg_lo:[0,1] neg_hi:[0,1]
	v_pk_fma_f32 v[8:9], v[6:7], v[0:1], v[4:5] op_sel:[0,0,1] op_sel_hi:[1,1,0] neg_lo:[0,0,1] neg_hi:[0,0,1]
	v_pk_fma_f32 v[4:5], v[6:7], v[0:1], v[4:5] op_sel:[0,0,1] op_sel_hi:[1,0,0]
	s_delay_alu instid0(VALU_DEP_1) | instskip(SKIP_4) | instid1(VALU_DEP_1)
	v_mov_b32_e32 v9, v5
	ds_load_b64 v[4:5], v40 offset:368
	v_pk_add_f32 v[186:187], v[186:187], v[8:9] neg_lo:[0,1] neg_hi:[0,1]
	s_wait_dscnt 0x0
	v_pk_mul_f32 v[2:3], v[4:5], v[2:3] op_sel:[0,1]
	v_pk_fma_f32 v[6:7], v[4:5], v[0:1], v[2:3] op_sel:[0,0,1] op_sel_hi:[1,1,0] neg_lo:[0,0,1] neg_hi:[0,0,1]
	v_pk_fma_f32 v[0:1], v[4:5], v[0:1], v[2:3] op_sel:[0,0,1] op_sel_hi:[1,0,0]
	s_delay_alu instid0(VALU_DEP_1) | instskip(NEXT) | instid1(VALU_DEP_1)
	v_mov_b32_e32 v7, v1
	v_pk_add_f32 v[188:189], v[188:189], v[6:7] neg_lo:[0,1] neg_hi:[0,1]
.LBB93_127:
	s_or_b32 exec_lo, exec_lo, s1
	s_delay_alu instid0(SALU_CYCLE_1)
	s_mov_b32 s2, exec_lo
	s_wait_dscnt 0x0
	s_barrier_signal -1
	s_barrier_wait -1
	v_cmpx_eq_u32_e32 14, v36
	s_cbranch_execz .LBB93_134
; %bb.128:
	ds_store_b64 v37, v[46:47]
	ds_store_2addr_b64 v40, v[42:43], v[70:71] offset0:15 offset1:16
	ds_store_2addr_b64 v40, v[66:67], v[68:69] offset0:17 offset1:18
	;; [unrolled: 1-line block ×16, first 2 shown]
	ds_load_b64 v[0:1], v37
	s_wait_dscnt 0x0
	v_cmp_neq_f32_e32 vcc_lo, 0, v0
	v_cmp_neq_f32_e64 s1, 0, v1
	s_or_b32 s1, vcc_lo, s1
	s_delay_alu instid0(SALU_CYCLE_1)
	s_and_b32 exec_lo, exec_lo, s1
	s_cbranch_execz .LBB93_134
; %bb.129:
	v_cmp_ngt_f32_e64 s1, |v0|, |v1|
                                        ; implicit-def: $vgpr2_vgpr3
	s_and_saveexec_b32 s4, s1
	s_delay_alu instid0(SALU_CYCLE_1)
	s_xor_b32 s1, exec_lo, s4
	s_cbranch_execz .LBB93_131
; %bb.130:
	v_div_scale_f32 v2, null, v1, v1, v0
	v_div_scale_f32 v5, vcc_lo, v0, v1, v0
	s_delay_alu instid0(VALU_DEP_2) | instskip(SKIP_1) | instid1(TRANS32_DEP_1)
	v_rcp_f32_e32 v3, v2
	v_nop
	v_fma_f32 v4, -v2, v3, 1.0
	s_delay_alu instid0(VALU_DEP_1) | instskip(NEXT) | instid1(VALU_DEP_1)
	v_fmac_f32_e32 v3, v4, v3
	v_mul_f32_e32 v4, v5, v3
	s_delay_alu instid0(VALU_DEP_1) | instskip(NEXT) | instid1(VALU_DEP_1)
	v_fma_f32 v6, -v2, v4, v5
	v_fmac_f32_e32 v4, v6, v3
	s_delay_alu instid0(VALU_DEP_1) | instskip(NEXT) | instid1(VALU_DEP_1)
	v_fma_f32 v2, -v2, v4, v5
	v_div_fmas_f32 v2, v2, v3, v4
	s_delay_alu instid0(VALU_DEP_1) | instskip(NEXT) | instid1(VALU_DEP_1)
	v_div_fixup_f32 v2, v2, v1, v0
	v_fmac_f32_e32 v1, v0, v2
	s_delay_alu instid0(VALU_DEP_1) | instskip(SKIP_1) | instid1(VALU_DEP_2)
	v_div_scale_f32 v0, null, v1, v1, 1.0
	v_div_scale_f32 v5, vcc_lo, 1.0, v1, 1.0
	v_rcp_f32_e32 v3, v0
	v_nop
	s_delay_alu instid0(TRANS32_DEP_1) | instskip(NEXT) | instid1(VALU_DEP_1)
	v_fma_f32 v4, -v0, v3, 1.0
	v_fmac_f32_e32 v3, v4, v3
	s_delay_alu instid0(VALU_DEP_1) | instskip(NEXT) | instid1(VALU_DEP_1)
	v_mul_f32_e32 v4, v5, v3
	v_fma_f32 v6, -v0, v4, v5
	s_delay_alu instid0(VALU_DEP_1) | instskip(NEXT) | instid1(VALU_DEP_1)
	v_fmac_f32_e32 v4, v6, v3
	v_fma_f32 v0, -v0, v4, v5
	s_delay_alu instid0(VALU_DEP_1) | instskip(NEXT) | instid1(VALU_DEP_1)
	v_div_fmas_f32 v0, v0, v3, v4
	v_div_fixup_f32 v0, v0, v1, 1.0
	s_delay_alu instid0(VALU_DEP_1)
	v_mul_f32_e32 v2, v2, v0
	v_xor_b32_e32 v3, 0x80000000, v0
                                        ; implicit-def: $vgpr0_vgpr1
.LBB93_131:
	s_and_not1_saveexec_b32 s1, s1
	s_cbranch_execz .LBB93_133
; %bb.132:
	v_div_scale_f32 v2, null, v0, v0, v1
	v_div_scale_f32 v5, vcc_lo, v1, v0, v1
	s_delay_alu instid0(VALU_DEP_2) | instskip(SKIP_1) | instid1(TRANS32_DEP_1)
	v_rcp_f32_e32 v3, v2
	v_nop
	v_fma_f32 v4, -v2, v3, 1.0
	s_delay_alu instid0(VALU_DEP_1) | instskip(NEXT) | instid1(VALU_DEP_1)
	v_fmac_f32_e32 v3, v4, v3
	v_mul_f32_e32 v4, v5, v3
	s_delay_alu instid0(VALU_DEP_1) | instskip(NEXT) | instid1(VALU_DEP_1)
	v_fma_f32 v6, -v2, v4, v5
	v_fmac_f32_e32 v4, v6, v3
	s_delay_alu instid0(VALU_DEP_1) | instskip(NEXT) | instid1(VALU_DEP_1)
	v_fma_f32 v2, -v2, v4, v5
	v_div_fmas_f32 v2, v2, v3, v4
	s_delay_alu instid0(VALU_DEP_1) | instskip(NEXT) | instid1(VALU_DEP_1)
	v_div_fixup_f32 v3, v2, v0, v1
	v_fmac_f32_e32 v0, v1, v3
	s_delay_alu instid0(VALU_DEP_1) | instskip(NEXT) | instid1(VALU_DEP_1)
	v_div_scale_f32 v1, null, v0, v0, 1.0
	v_rcp_f32_e32 v2, v1
	v_nop
	s_delay_alu instid0(TRANS32_DEP_1) | instskip(NEXT) | instid1(VALU_DEP_1)
	v_fma_f32 v4, -v1, v2, 1.0
	v_fmac_f32_e32 v2, v4, v2
	v_div_scale_f32 v4, vcc_lo, 1.0, v0, 1.0
	s_delay_alu instid0(VALU_DEP_1) | instskip(NEXT) | instid1(VALU_DEP_1)
	v_mul_f32_e32 v5, v4, v2
	v_fma_f32 v6, -v1, v5, v4
	s_delay_alu instid0(VALU_DEP_1) | instskip(NEXT) | instid1(VALU_DEP_1)
	v_fmac_f32_e32 v5, v6, v2
	v_fma_f32 v1, -v1, v5, v4
	s_delay_alu instid0(VALU_DEP_1) | instskip(NEXT) | instid1(VALU_DEP_1)
	v_div_fmas_f32 v1, v1, v2, v5
	v_div_fixup_f32 v2, v1, v0, 1.0
	s_delay_alu instid0(VALU_DEP_1)
	v_mul_f32_e64 v3, v3, -v2
.LBB93_133:
	s_or_b32 exec_lo, exec_lo, s1
	ds_store_b64 v37, v[2:3]
.LBB93_134:
	s_or_b32 exec_lo, exec_lo, s2
	s_wait_dscnt 0x0
	s_barrier_signal -1
	s_barrier_wait -1
	ds_load_b64 v[218:219], v37
	s_mov_b32 s1, exec_lo
	v_cmpx_lt_u32_e32 14, v36
	s_cbranch_execz .LBB93_136
; %bb.135:
	ds_load_2addr_b64 v[4:7], v40 offset0:15 offset1:16
	s_wait_dscnt 0x1
	v_pk_mul_f32 v[2:3], v[218:219], v[46:47] op_sel:[1,1] op_sel_hi:[0,1]
	s_delay_alu instid0(VALU_DEP_1) | instskip(SKIP_1) | instid1(VALU_DEP_1)
	v_pk_fma_f32 v[0:1], v[218:219], v[46:47], v[2:3] op_sel_hi:[1,0,1] neg_lo:[0,0,1] neg_hi:[0,0,1]
	v_pk_fma_f32 v[2:3], v[218:219], v[46:47], v[2:3] op_sel_hi:[1,0,1]
	v_dual_mov_b32 v46, v0 :: v_dual_mov_b32 v47, v3
	s_wait_dscnt 0x0
	s_delay_alu instid0(VALU_DEP_2) | instskip(NEXT) | instid1(VALU_DEP_1)
	v_pk_mul_f32 v[8:9], v[4:5], v[2:3] op_sel:[0,1]
	v_pk_fma_f32 v[10:11], v[4:5], v[0:1], v[8:9] op_sel:[0,0,1] op_sel_hi:[1,1,0] neg_lo:[0,0,1] neg_hi:[0,0,1]
	v_pk_fma_f32 v[4:5], v[4:5], v[0:1], v[8:9] op_sel:[0,0,1] op_sel_hi:[1,0,0]
	s_delay_alu instid0(VALU_DEP_1) | instskip(SKIP_1) | instid1(VALU_DEP_1)
	v_mov_b32_e32 v11, v5
	v_pk_mul_f32 v[4:5], v[6:7], v[2:3] op_sel:[0,1]
	v_pk_fma_f32 v[8:9], v[6:7], v[0:1], v[4:5] op_sel:[0,0,1] op_sel_hi:[1,1,0] neg_lo:[0,0,1] neg_hi:[0,0,1]
	v_pk_fma_f32 v[4:5], v[6:7], v[0:1], v[4:5] op_sel:[0,0,1] op_sel_hi:[1,0,0]
	s_delay_alu instid0(VALU_DEP_1)
	v_mov_b32_e32 v9, v5
	ds_load_2addr_b64 v[4:7], v40 offset0:17 offset1:18
	v_pk_add_f32 v[42:43], v[42:43], v[10:11] neg_lo:[0,1] neg_hi:[0,1]
	v_pk_add_f32 v[70:71], v[70:71], v[8:9] neg_lo:[0,1] neg_hi:[0,1]
	s_wait_dscnt 0x0
	v_pk_mul_f32 v[8:9], v[4:5], v[2:3] op_sel:[0,1]
	s_delay_alu instid0(VALU_DEP_1) | instskip(SKIP_2) | instid1(VALU_DEP_2)
	v_pk_fma_f32 v[10:11], v[4:5], v[0:1], v[8:9] op_sel:[0,0,1] op_sel_hi:[1,1,0] neg_lo:[0,0,1] neg_hi:[0,0,1]
	v_pk_fma_f32 v[4:5], v[4:5], v[0:1], v[8:9] op_sel:[0,0,1] op_sel_hi:[1,0,0]
	v_dual_mul_f32 v8, v7, v3 :: v_dual_mov_b32 v4, v7
	v_dual_mov_b32 v11, v5 :: v_dual_mov_b32 v5, v6
	s_delay_alu instid0(VALU_DEP_2) | instskip(SKIP_1) | instid1(VALU_DEP_3)
	v_pk_fma_f32 v[8:9], v[6:7], v[46:47], v[8:9] op_sel_hi:[1,1,0] neg_lo:[0,0,1] neg_hi:[0,0,1]
	v_mul_f32_e32 v6, v7, v0
	v_pk_add_f32 v[66:67], v[66:67], v[10:11] neg_lo:[0,1] neg_hi:[0,1]
	s_delay_alu instid0(VALU_DEP_2) | instskip(NEXT) | instid1(VALU_DEP_1)
	v_pk_fma_f32 v[4:5], v[4:5], v[46:47], v[6:7] op_sel_hi:[1,1,0]
	v_mov_b32_e32 v9, v5
	ds_load_2addr_b64 v[4:7], v40 offset0:19 offset1:20
	v_pk_add_f32 v[68:69], v[68:69], v[8:9] neg_lo:[0,1] neg_hi:[0,1]
	s_wait_dscnt 0x0
	v_pk_mul_f32 v[8:9], v[4:5], v[2:3] op_sel:[0,1]
	s_delay_alu instid0(VALU_DEP_1) | instskip(SKIP_1) | instid1(VALU_DEP_1)
	v_pk_fma_f32 v[10:11], v[4:5], v[0:1], v[8:9] op_sel:[0,0,1] op_sel_hi:[1,1,0] neg_lo:[0,0,1] neg_hi:[0,0,1]
	v_pk_fma_f32 v[4:5], v[4:5], v[0:1], v[8:9] op_sel:[0,0,1] op_sel_hi:[1,0,0]
	v_mov_b32_e32 v11, v5
	v_pk_mul_f32 v[4:5], v[6:7], v[2:3] op_sel:[0,1]
	s_delay_alu instid0(VALU_DEP_1) | instskip(SKIP_1) | instid1(VALU_DEP_1)
	v_pk_fma_f32 v[8:9], v[6:7], v[0:1], v[4:5] op_sel:[0,0,1] op_sel_hi:[1,1,0] neg_lo:[0,0,1] neg_hi:[0,0,1]
	v_pk_fma_f32 v[4:5], v[6:7], v[0:1], v[4:5] op_sel:[0,0,1] op_sel_hi:[1,0,0]
	v_mov_b32_e32 v9, v5
	ds_load_2addr_b64 v[4:7], v40 offset0:21 offset1:22
	v_pk_add_f32 v[64:65], v[64:65], v[10:11] neg_lo:[0,1] neg_hi:[0,1]
	v_pk_add_f32 v[94:95], v[94:95], v[8:9] neg_lo:[0,1] neg_hi:[0,1]
	s_wait_dscnt 0x0
	v_pk_mul_f32 v[8:9], v[4:5], v[2:3] op_sel:[0,1]
	s_delay_alu instid0(VALU_DEP_1) | instskip(SKIP_1) | instid1(VALU_DEP_1)
	v_pk_fma_f32 v[10:11], v[4:5], v[0:1], v[8:9] op_sel:[0,0,1] op_sel_hi:[1,1,0] neg_lo:[0,0,1] neg_hi:[0,0,1]
	v_pk_fma_f32 v[4:5], v[4:5], v[0:1], v[8:9] op_sel:[0,0,1] op_sel_hi:[1,0,0]
	v_mov_b32_e32 v11, v5
	v_pk_mul_f32 v[4:5], v[6:7], v[2:3] op_sel:[0,1]
	s_delay_alu instid0(VALU_DEP_1) | instskip(SKIP_1) | instid1(VALU_DEP_1)
	v_pk_fma_f32 v[8:9], v[6:7], v[0:1], v[4:5] op_sel:[0,0,1] op_sel_hi:[1,1,0] neg_lo:[0,0,1] neg_hi:[0,0,1]
	v_pk_fma_f32 v[4:5], v[6:7], v[0:1], v[4:5] op_sel:[0,0,1] op_sel_hi:[1,0,0]
	v_mov_b32_e32 v9, v5
	ds_load_2addr_b64 v[4:7], v40 offset0:23 offset1:24
	v_pk_add_f32 v[90:91], v[90:91], v[10:11] neg_lo:[0,1] neg_hi:[0,1]
	v_pk_add_f32 v[92:93], v[92:93], v[8:9] neg_lo:[0,1] neg_hi:[0,1]
	s_wait_dscnt 0x0
	v_dual_mul_f32 v8, v5, v3 :: v_dual_mul_f32 v10, v5, v0
	s_delay_alu instid0(VALU_DEP_1) | instskip(NEXT) | instid1(VALU_DEP_2)
	v_pk_fma_f32 v[8:9], v[4:5], v[46:47], v[8:9] op_sel_hi:[1,1,0] neg_lo:[0,0,1] neg_hi:[0,0,1]
	v_pk_fma_f32 v[4:5], v[4:5], v[46:47], v[10:11] op_sel:[1,0,0] op_sel_hi:[0,1,0]
	s_delay_alu instid0(VALU_DEP_1) | instskip(SKIP_1) | instid1(VALU_DEP_2)
	v_mov_b32_e32 v9, v5
	v_pk_mul_f32 v[4:5], v[6:7], v[2:3] op_sel:[0,1]
	v_pk_add_f32 v[88:89], v[88:89], v[8:9] neg_lo:[0,1] neg_hi:[0,1]
	s_delay_alu instid0(VALU_DEP_2) | instskip(SKIP_1) | instid1(VALU_DEP_1)
	v_pk_fma_f32 v[8:9], v[6:7], v[0:1], v[4:5] op_sel:[0,0,1] op_sel_hi:[1,1,0] neg_lo:[0,0,1] neg_hi:[0,0,1]
	v_pk_fma_f32 v[4:5], v[6:7], v[0:1], v[4:5] op_sel:[0,0,1] op_sel_hi:[1,0,0]
	v_mov_b32_e32 v9, v5
	ds_load_2addr_b64 v[4:7], v40 offset0:25 offset1:26
	v_pk_add_f32 v[112:113], v[112:113], v[8:9] neg_lo:[0,1] neg_hi:[0,1]
	s_wait_dscnt 0x0
	v_pk_mul_f32 v[8:9], v[4:5], v[2:3] op_sel:[0,1]
	s_delay_alu instid0(VALU_DEP_1) | instskip(SKIP_1) | instid1(VALU_DEP_1)
	v_pk_fma_f32 v[10:11], v[4:5], v[0:1], v[8:9] op_sel:[0,0,1] op_sel_hi:[1,1,0] neg_lo:[0,0,1] neg_hi:[0,0,1]
	v_pk_fma_f32 v[4:5], v[4:5], v[0:1], v[8:9] op_sel:[0,0,1] op_sel_hi:[1,0,0]
	v_mov_b32_e32 v11, v5
	v_pk_mul_f32 v[4:5], v[6:7], v[2:3] op_sel:[0,1]
	s_delay_alu instid0(VALU_DEP_2) | instskip(NEXT) | instid1(VALU_DEP_2)
	v_pk_add_f32 v[108:109], v[108:109], v[10:11] neg_lo:[0,1] neg_hi:[0,1]
	v_pk_fma_f32 v[8:9], v[6:7], v[0:1], v[4:5] op_sel:[0,0,1] op_sel_hi:[1,1,0] neg_lo:[0,0,1] neg_hi:[0,0,1]
	v_pk_fma_f32 v[4:5], v[6:7], v[0:1], v[4:5] op_sel:[0,0,1] op_sel_hi:[1,0,0]
	s_delay_alu instid0(VALU_DEP_1) | instskip(SKIP_4) | instid1(VALU_DEP_1)
	v_mov_b32_e32 v9, v5
	ds_load_2addr_b64 v[4:7], v40 offset0:27 offset1:28
	v_pk_add_f32 v[110:111], v[110:111], v[8:9] neg_lo:[0,1] neg_hi:[0,1]
	s_wait_dscnt 0x0
	v_pk_mul_f32 v[8:9], v[4:5], v[2:3] op_sel:[0,1]
	v_pk_fma_f32 v[10:11], v[4:5], v[0:1], v[8:9] op_sel:[0,0,1] op_sel_hi:[1,1,0] neg_lo:[0,0,1] neg_hi:[0,0,1]
	v_pk_fma_f32 v[4:5], v[4:5], v[0:1], v[8:9] op_sel:[0,0,1] op_sel_hi:[1,0,0]
	v_dual_mul_f32 v8, v7, v3 :: v_dual_mov_b32 v4, v7
	s_delay_alu instid0(VALU_DEP_2) | instskip(NEXT) | instid1(VALU_DEP_2)
	v_dual_mov_b32 v11, v5 :: v_dual_mov_b32 v5, v6
	v_pk_fma_f32 v[8:9], v[6:7], v[46:47], v[8:9] op_sel_hi:[1,1,0] neg_lo:[0,0,1] neg_hi:[0,0,1]
	v_mul_f32_e32 v6, v7, v0
	s_delay_alu instid0(VALU_DEP_3) | instskip(NEXT) | instid1(VALU_DEP_2)
	v_pk_add_f32 v[106:107], v[106:107], v[10:11] neg_lo:[0,1] neg_hi:[0,1]
	v_pk_fma_f32 v[4:5], v[4:5], v[46:47], v[6:7] op_sel_hi:[1,1,0]
	s_delay_alu instid0(VALU_DEP_1) | instskip(SKIP_4) | instid1(VALU_DEP_1)
	v_mov_b32_e32 v9, v5
	ds_load_2addr_b64 v[4:7], v40 offset0:29 offset1:30
	v_pk_add_f32 v[128:129], v[128:129], v[8:9] neg_lo:[0,1] neg_hi:[0,1]
	s_wait_dscnt 0x0
	v_pk_mul_f32 v[8:9], v[4:5], v[2:3] op_sel:[0,1]
	v_pk_fma_f32 v[10:11], v[4:5], v[0:1], v[8:9] op_sel:[0,0,1] op_sel_hi:[1,1,0] neg_lo:[0,0,1] neg_hi:[0,0,1]
	v_pk_fma_f32 v[4:5], v[4:5], v[0:1], v[8:9] op_sel:[0,0,1] op_sel_hi:[1,0,0]
	s_delay_alu instid0(VALU_DEP_1) | instskip(SKIP_1) | instid1(VALU_DEP_1)
	v_mov_b32_e32 v11, v5
	v_pk_mul_f32 v[4:5], v[6:7], v[2:3] op_sel:[0,1]
	v_pk_fma_f32 v[8:9], v[6:7], v[0:1], v[4:5] op_sel:[0,0,1] op_sel_hi:[1,1,0] neg_lo:[0,0,1] neg_hi:[0,0,1]
	v_pk_fma_f32 v[4:5], v[6:7], v[0:1], v[4:5] op_sel:[0,0,1] op_sel_hi:[1,0,0]
	s_delay_alu instid0(VALU_DEP_1)
	v_mov_b32_e32 v9, v5
	ds_load_2addr_b64 v[4:7], v40 offset0:31 offset1:32
	v_pk_add_f32 v[124:125], v[124:125], v[10:11] neg_lo:[0,1] neg_hi:[0,1]
	v_pk_add_f32 v[126:127], v[126:127], v[8:9] neg_lo:[0,1] neg_hi:[0,1]
	s_wait_dscnt 0x0
	v_pk_mul_f32 v[8:9], v[4:5], v[2:3] op_sel:[0,1]
	s_delay_alu instid0(VALU_DEP_1) | instskip(SKIP_1) | instid1(VALU_DEP_1)
	v_pk_fma_f32 v[10:11], v[4:5], v[0:1], v[8:9] op_sel:[0,0,1] op_sel_hi:[1,1,0] neg_lo:[0,0,1] neg_hi:[0,0,1]
	v_pk_fma_f32 v[4:5], v[4:5], v[0:1], v[8:9] op_sel:[0,0,1] op_sel_hi:[1,0,0]
	v_mov_b32_e32 v11, v5
	v_pk_mul_f32 v[4:5], v[6:7], v[2:3] op_sel:[0,1]
	s_delay_alu instid0(VALU_DEP_1) | instskip(SKIP_1) | instid1(VALU_DEP_1)
	v_pk_fma_f32 v[8:9], v[6:7], v[0:1], v[4:5] op_sel:[0,0,1] op_sel_hi:[1,1,0] neg_lo:[0,0,1] neg_hi:[0,0,1]
	v_pk_fma_f32 v[4:5], v[6:7], v[0:1], v[4:5] op_sel:[0,0,1] op_sel_hi:[1,0,0]
	v_mov_b32_e32 v9, v5
	ds_load_2addr_b64 v[4:7], v40 offset0:33 offset1:34
	v_pk_add_f32 v[122:123], v[122:123], v[10:11] neg_lo:[0,1] neg_hi:[0,1]
	v_pk_add_f32 v[144:145], v[144:145], v[8:9] neg_lo:[0,1] neg_hi:[0,1]
	s_wait_dscnt 0x0
	v_dual_mul_f32 v8, v5, v3 :: v_dual_mul_f32 v10, v5, v0
	s_delay_alu instid0(VALU_DEP_1) | instskip(NEXT) | instid1(VALU_DEP_2)
	v_pk_fma_f32 v[8:9], v[4:5], v[46:47], v[8:9] op_sel_hi:[1,1,0] neg_lo:[0,0,1] neg_hi:[0,0,1]
	v_pk_fma_f32 v[4:5], v[4:5], v[46:47], v[10:11] op_sel:[1,0,0] op_sel_hi:[0,1,0]
	s_delay_alu instid0(VALU_DEP_1) | instskip(SKIP_1) | instid1(VALU_DEP_2)
	v_mov_b32_e32 v9, v5
	v_pk_mul_f32 v[4:5], v[6:7], v[2:3] op_sel:[0,1]
	v_pk_add_f32 v[140:141], v[140:141], v[8:9] neg_lo:[0,1] neg_hi:[0,1]
	s_delay_alu instid0(VALU_DEP_2) | instskip(SKIP_1) | instid1(VALU_DEP_1)
	v_pk_fma_f32 v[8:9], v[6:7], v[0:1], v[4:5] op_sel:[0,0,1] op_sel_hi:[1,1,0] neg_lo:[0,0,1] neg_hi:[0,0,1]
	v_pk_fma_f32 v[4:5], v[6:7], v[0:1], v[4:5] op_sel:[0,0,1] op_sel_hi:[1,0,0]
	v_mov_b32_e32 v9, v5
	ds_load_2addr_b64 v[4:7], v40 offset0:35 offset1:36
	v_pk_add_f32 v[142:143], v[142:143], v[8:9] neg_lo:[0,1] neg_hi:[0,1]
	s_wait_dscnt 0x0
	v_pk_mul_f32 v[8:9], v[4:5], v[2:3] op_sel:[0,1]
	s_delay_alu instid0(VALU_DEP_1) | instskip(SKIP_1) | instid1(VALU_DEP_1)
	v_pk_fma_f32 v[10:11], v[4:5], v[0:1], v[8:9] op_sel:[0,0,1] op_sel_hi:[1,1,0] neg_lo:[0,0,1] neg_hi:[0,0,1]
	v_pk_fma_f32 v[4:5], v[4:5], v[0:1], v[8:9] op_sel:[0,0,1] op_sel_hi:[1,0,0]
	v_mov_b32_e32 v11, v5
	v_pk_mul_f32 v[4:5], v[6:7], v[2:3] op_sel:[0,1]
	s_delay_alu instid0(VALU_DEP_2) | instskip(NEXT) | instid1(VALU_DEP_2)
	v_pk_add_f32 v[138:139], v[138:139], v[10:11] neg_lo:[0,1] neg_hi:[0,1]
	v_pk_fma_f32 v[8:9], v[6:7], v[0:1], v[4:5] op_sel:[0,0,1] op_sel_hi:[1,1,0] neg_lo:[0,0,1] neg_hi:[0,0,1]
	v_pk_fma_f32 v[4:5], v[6:7], v[0:1], v[4:5] op_sel:[0,0,1] op_sel_hi:[1,0,0]
	s_delay_alu instid0(VALU_DEP_1) | instskip(SKIP_4) | instid1(VALU_DEP_1)
	v_mov_b32_e32 v9, v5
	ds_load_2addr_b64 v[4:7], v40 offset0:37 offset1:38
	v_pk_add_f32 v[162:163], v[162:163], v[8:9] neg_lo:[0,1] neg_hi:[0,1]
	s_wait_dscnt 0x0
	v_pk_mul_f32 v[8:9], v[4:5], v[2:3] op_sel:[0,1]
	v_pk_fma_f32 v[10:11], v[4:5], v[0:1], v[8:9] op_sel:[0,0,1] op_sel_hi:[1,1,0] neg_lo:[0,0,1] neg_hi:[0,0,1]
	v_pk_fma_f32 v[4:5], v[4:5], v[0:1], v[8:9] op_sel:[0,0,1] op_sel_hi:[1,0,0]
	v_dual_mul_f32 v8, v7, v3 :: v_dual_mov_b32 v4, v7
	s_delay_alu instid0(VALU_DEP_2) | instskip(NEXT) | instid1(VALU_DEP_2)
	v_dual_mov_b32 v11, v5 :: v_dual_mov_b32 v5, v6
	v_pk_fma_f32 v[8:9], v[6:7], v[46:47], v[8:9] op_sel_hi:[1,1,0] neg_lo:[0,0,1] neg_hi:[0,0,1]
	v_mul_f32_e32 v6, v7, v0
	s_delay_alu instid0(VALU_DEP_3) | instskip(NEXT) | instid1(VALU_DEP_2)
	v_pk_add_f32 v[158:159], v[158:159], v[10:11] neg_lo:[0,1] neg_hi:[0,1]
	v_pk_fma_f32 v[4:5], v[4:5], v[46:47], v[6:7] op_sel_hi:[1,1,0]
	s_delay_alu instid0(VALU_DEP_1) | instskip(SKIP_4) | instid1(VALU_DEP_1)
	v_mov_b32_e32 v9, v5
	ds_load_2addr_b64 v[4:7], v40 offset0:39 offset1:40
	v_pk_add_f32 v[160:161], v[160:161], v[8:9] neg_lo:[0,1] neg_hi:[0,1]
	s_wait_dscnt 0x0
	v_pk_mul_f32 v[8:9], v[4:5], v[2:3] op_sel:[0,1]
	v_pk_fma_f32 v[10:11], v[4:5], v[0:1], v[8:9] op_sel:[0,0,1] op_sel_hi:[1,1,0] neg_lo:[0,0,1] neg_hi:[0,0,1]
	v_pk_fma_f32 v[4:5], v[4:5], v[0:1], v[8:9] op_sel:[0,0,1] op_sel_hi:[1,0,0]
	s_delay_alu instid0(VALU_DEP_1) | instskip(SKIP_1) | instid1(VALU_DEP_1)
	v_mov_b32_e32 v11, v5
	v_pk_mul_f32 v[4:5], v[6:7], v[2:3] op_sel:[0,1]
	v_pk_fma_f32 v[8:9], v[6:7], v[0:1], v[4:5] op_sel:[0,0,1] op_sel_hi:[1,1,0] neg_lo:[0,0,1] neg_hi:[0,0,1]
	v_pk_fma_f32 v[4:5], v[6:7], v[0:1], v[4:5] op_sel:[0,0,1] op_sel_hi:[1,0,0]
	s_delay_alu instid0(VALU_DEP_1)
	v_mov_b32_e32 v9, v5
	ds_load_2addr_b64 v[4:7], v40 offset0:41 offset1:42
	v_pk_add_f32 v[156:157], v[156:157], v[10:11] neg_lo:[0,1] neg_hi:[0,1]
	v_pk_add_f32 v[182:183], v[182:183], v[8:9] neg_lo:[0,1] neg_hi:[0,1]
	s_wait_dscnt 0x0
	v_pk_mul_f32 v[8:9], v[4:5], v[2:3] op_sel:[0,1]
	s_delay_alu instid0(VALU_DEP_1) | instskip(SKIP_1) | instid1(VALU_DEP_1)
	v_pk_fma_f32 v[10:11], v[4:5], v[0:1], v[8:9] op_sel:[0,0,1] op_sel_hi:[1,1,0] neg_lo:[0,0,1] neg_hi:[0,0,1]
	v_pk_fma_f32 v[4:5], v[4:5], v[0:1], v[8:9] op_sel:[0,0,1] op_sel_hi:[1,0,0]
	v_mov_b32_e32 v11, v5
	v_pk_mul_f32 v[4:5], v[6:7], v[2:3] op_sel:[0,1]
	s_delay_alu instid0(VALU_DEP_1) | instskip(SKIP_1) | instid1(VALU_DEP_1)
	v_pk_fma_f32 v[8:9], v[6:7], v[0:1], v[4:5] op_sel:[0,0,1] op_sel_hi:[1,1,0] neg_lo:[0,0,1] neg_hi:[0,0,1]
	v_pk_fma_f32 v[4:5], v[6:7], v[0:1], v[4:5] op_sel:[0,0,1] op_sel_hi:[1,0,0]
	v_mov_b32_e32 v9, v5
	ds_load_2addr_b64 v[4:7], v40 offset0:43 offset1:44
	v_pk_add_f32 v[176:177], v[176:177], v[10:11] neg_lo:[0,1] neg_hi:[0,1]
	v_pk_add_f32 v[180:181], v[180:181], v[8:9] neg_lo:[0,1] neg_hi:[0,1]
	s_wait_dscnt 0x0
	v_dual_mul_f32 v8, v5, v3 :: v_dual_mul_f32 v10, v5, v0
	s_delay_alu instid0(VALU_DEP_1) | instskip(NEXT) | instid1(VALU_DEP_2)
	v_pk_fma_f32 v[8:9], v[4:5], v[46:47], v[8:9] op_sel_hi:[1,1,0] neg_lo:[0,0,1] neg_hi:[0,0,1]
	v_pk_fma_f32 v[4:5], v[4:5], v[46:47], v[10:11] op_sel:[1,0,0] op_sel_hi:[0,1,0]
	s_delay_alu instid0(VALU_DEP_1) | instskip(SKIP_1) | instid1(VALU_DEP_2)
	v_mov_b32_e32 v9, v5
	v_pk_mul_f32 v[4:5], v[6:7], v[2:3] op_sel:[0,1]
	v_pk_add_f32 v[174:175], v[174:175], v[8:9] neg_lo:[0,1] neg_hi:[0,1]
	s_delay_alu instid0(VALU_DEP_2) | instskip(SKIP_1) | instid1(VALU_DEP_1)
	v_pk_fma_f32 v[8:9], v[6:7], v[0:1], v[4:5] op_sel:[0,0,1] op_sel_hi:[1,1,0] neg_lo:[0,0,1] neg_hi:[0,0,1]
	v_pk_fma_f32 v[4:5], v[6:7], v[0:1], v[4:5] op_sel:[0,0,1] op_sel_hi:[1,0,0]
	v_mov_b32_e32 v9, v5
	ds_load_2addr_b64 v[4:7], v40 offset0:45 offset1:46
	v_pk_add_f32 v[178:179], v[178:179], v[8:9] neg_lo:[0,1] neg_hi:[0,1]
	s_wait_dscnt 0x0
	v_pk_mul_f32 v[8:9], v[4:5], v[2:3] op_sel:[0,1]
	v_pk_mul_f32 v[2:3], v[6:7], v[2:3] op_sel:[0,1]
	s_delay_alu instid0(VALU_DEP_2) | instskip(SKIP_1) | instid1(VALU_DEP_1)
	v_pk_fma_f32 v[10:11], v[4:5], v[0:1], v[8:9] op_sel:[0,0,1] op_sel_hi:[1,1,0] neg_lo:[0,0,1] neg_hi:[0,0,1]
	v_pk_fma_f32 v[4:5], v[4:5], v[0:1], v[8:9] op_sel:[0,0,1] op_sel_hi:[1,0,0]
	v_mov_b32_e32 v11, v5
	s_delay_alu instid0(VALU_DEP_4) | instskip(SKIP_1) | instid1(VALU_DEP_3)
	v_pk_fma_f32 v[4:5], v[6:7], v[0:1], v[2:3] op_sel:[0,0,1] op_sel_hi:[1,1,0] neg_lo:[0,0,1] neg_hi:[0,0,1]
	v_pk_fma_f32 v[0:1], v[6:7], v[0:1], v[2:3] op_sel:[0,0,1] op_sel_hi:[1,0,0]
	v_pk_add_f32 v[186:187], v[186:187], v[10:11] neg_lo:[0,1] neg_hi:[0,1]
	s_delay_alu instid0(VALU_DEP_2) | instskip(NEXT) | instid1(VALU_DEP_1)
	v_mov_b32_e32 v5, v1
	v_pk_add_f32 v[188:189], v[188:189], v[4:5] neg_lo:[0,1] neg_hi:[0,1]
.LBB93_136:
	s_or_b32 exec_lo, exec_lo, s1
	s_delay_alu instid0(SALU_CYCLE_1)
	s_mov_b32 s2, exec_lo
	s_wait_dscnt 0x0
	s_barrier_signal -1
	s_barrier_wait -1
	v_cmpx_eq_u32_e32 15, v36
	s_cbranch_execz .LBB93_143
; %bb.137:
	v_dual_mov_b32 v0, v70 :: v_dual_mov_b32 v1, v71
	v_dual_mov_b32 v2, v66 :: v_dual_mov_b32 v3, v67
	;; [unrolled: 1-line block ×8, first 2 shown]
	ds_store_b64 v37, v[42:43]
	ds_store_2addr_b64 v40, v[0:1], v[2:3] offset0:16 offset1:17
	ds_store_2addr_b64 v40, v[4:5], v[6:7] offset0:18 offset1:19
	;; [unrolled: 1-line block ×4, first 2 shown]
	v_dual_mov_b32 v0, v112 :: v_dual_mov_b32 v1, v113
	v_dual_mov_b32 v2, v108 :: v_dual_mov_b32 v3, v109
	;; [unrolled: 1-line block ×12, first 2 shown]
	ds_store_2addr_b64 v40, v[0:1], v[2:3] offset0:24 offset1:25
	ds_store_2addr_b64 v40, v[4:5], v[6:7] offset0:26 offset1:27
	;; [unrolled: 1-line block ×6, first 2 shown]
	v_dual_mov_b32 v0, v162 :: v_dual_mov_b32 v1, v163
	v_dual_mov_b32 v2, v158 :: v_dual_mov_b32 v3, v159
	;; [unrolled: 1-line block ×10, first 2 shown]
	ds_store_2addr_b64 v40, v[0:1], v[2:3] offset0:36 offset1:37
	ds_store_2addr_b64 v40, v[4:5], v[6:7] offset0:38 offset1:39
	;; [unrolled: 1-line block ×5, first 2 shown]
	ds_store_b64 v40, v[188:189] offset:368
	ds_load_b64 v[0:1], v37
	s_wait_dscnt 0x0
	v_cmp_neq_f32_e32 vcc_lo, 0, v0
	v_cmp_neq_f32_e64 s1, 0, v1
	s_or_b32 s1, vcc_lo, s1
	s_delay_alu instid0(SALU_CYCLE_1)
	s_and_b32 exec_lo, exec_lo, s1
	s_cbranch_execz .LBB93_143
; %bb.138:
	v_cmp_ngt_f32_e64 s1, |v0|, |v1|
                                        ; implicit-def: $vgpr2_vgpr3
	s_and_saveexec_b32 s4, s1
	s_delay_alu instid0(SALU_CYCLE_1)
	s_xor_b32 s1, exec_lo, s4
	s_cbranch_execz .LBB93_140
; %bb.139:
	v_div_scale_f32 v2, null, v1, v1, v0
	v_div_scale_f32 v5, vcc_lo, v0, v1, v0
	s_delay_alu instid0(VALU_DEP_2) | instskip(SKIP_1) | instid1(TRANS32_DEP_1)
	v_rcp_f32_e32 v3, v2
	v_nop
	v_fma_f32 v4, -v2, v3, 1.0
	s_delay_alu instid0(VALU_DEP_1) | instskip(NEXT) | instid1(VALU_DEP_1)
	v_fmac_f32_e32 v3, v4, v3
	v_mul_f32_e32 v4, v5, v3
	s_delay_alu instid0(VALU_DEP_1) | instskip(NEXT) | instid1(VALU_DEP_1)
	v_fma_f32 v6, -v2, v4, v5
	v_fmac_f32_e32 v4, v6, v3
	s_delay_alu instid0(VALU_DEP_1) | instskip(NEXT) | instid1(VALU_DEP_1)
	v_fma_f32 v2, -v2, v4, v5
	v_div_fmas_f32 v2, v2, v3, v4
	s_delay_alu instid0(VALU_DEP_1) | instskip(NEXT) | instid1(VALU_DEP_1)
	v_div_fixup_f32 v2, v2, v1, v0
	v_fmac_f32_e32 v1, v0, v2
	s_delay_alu instid0(VALU_DEP_1) | instskip(SKIP_1) | instid1(VALU_DEP_2)
	v_div_scale_f32 v0, null, v1, v1, 1.0
	v_div_scale_f32 v5, vcc_lo, 1.0, v1, 1.0
	v_rcp_f32_e32 v3, v0
	v_nop
	s_delay_alu instid0(TRANS32_DEP_1) | instskip(NEXT) | instid1(VALU_DEP_1)
	v_fma_f32 v4, -v0, v3, 1.0
	v_fmac_f32_e32 v3, v4, v3
	s_delay_alu instid0(VALU_DEP_1) | instskip(NEXT) | instid1(VALU_DEP_1)
	v_mul_f32_e32 v4, v5, v3
	v_fma_f32 v6, -v0, v4, v5
	s_delay_alu instid0(VALU_DEP_1) | instskip(NEXT) | instid1(VALU_DEP_1)
	v_fmac_f32_e32 v4, v6, v3
	v_fma_f32 v0, -v0, v4, v5
	s_delay_alu instid0(VALU_DEP_1) | instskip(NEXT) | instid1(VALU_DEP_1)
	v_div_fmas_f32 v0, v0, v3, v4
	v_div_fixup_f32 v0, v0, v1, 1.0
	s_delay_alu instid0(VALU_DEP_1)
	v_mul_f32_e32 v2, v2, v0
	v_xor_b32_e32 v3, 0x80000000, v0
                                        ; implicit-def: $vgpr0_vgpr1
.LBB93_140:
	s_and_not1_saveexec_b32 s1, s1
	s_cbranch_execz .LBB93_142
; %bb.141:
	v_div_scale_f32 v2, null, v0, v0, v1
	v_div_scale_f32 v5, vcc_lo, v1, v0, v1
	s_delay_alu instid0(VALU_DEP_2) | instskip(SKIP_1) | instid1(TRANS32_DEP_1)
	v_rcp_f32_e32 v3, v2
	v_nop
	v_fma_f32 v4, -v2, v3, 1.0
	s_delay_alu instid0(VALU_DEP_1) | instskip(NEXT) | instid1(VALU_DEP_1)
	v_fmac_f32_e32 v3, v4, v3
	v_mul_f32_e32 v4, v5, v3
	s_delay_alu instid0(VALU_DEP_1) | instskip(NEXT) | instid1(VALU_DEP_1)
	v_fma_f32 v6, -v2, v4, v5
	v_fmac_f32_e32 v4, v6, v3
	s_delay_alu instid0(VALU_DEP_1) | instskip(NEXT) | instid1(VALU_DEP_1)
	v_fma_f32 v2, -v2, v4, v5
	v_div_fmas_f32 v2, v2, v3, v4
	s_delay_alu instid0(VALU_DEP_1) | instskip(NEXT) | instid1(VALU_DEP_1)
	v_div_fixup_f32 v3, v2, v0, v1
	v_fmac_f32_e32 v0, v1, v3
	s_delay_alu instid0(VALU_DEP_1) | instskip(NEXT) | instid1(VALU_DEP_1)
	v_div_scale_f32 v1, null, v0, v0, 1.0
	v_rcp_f32_e32 v2, v1
	v_nop
	s_delay_alu instid0(TRANS32_DEP_1) | instskip(NEXT) | instid1(VALU_DEP_1)
	v_fma_f32 v4, -v1, v2, 1.0
	v_fmac_f32_e32 v2, v4, v2
	v_div_scale_f32 v4, vcc_lo, 1.0, v0, 1.0
	s_delay_alu instid0(VALU_DEP_1) | instskip(NEXT) | instid1(VALU_DEP_1)
	v_mul_f32_e32 v5, v4, v2
	v_fma_f32 v6, -v1, v5, v4
	s_delay_alu instid0(VALU_DEP_1) | instskip(NEXT) | instid1(VALU_DEP_1)
	v_fmac_f32_e32 v5, v6, v2
	v_fma_f32 v1, -v1, v5, v4
	s_delay_alu instid0(VALU_DEP_1) | instskip(NEXT) | instid1(VALU_DEP_1)
	v_div_fmas_f32 v1, v1, v2, v5
	v_div_fixup_f32 v2, v1, v0, 1.0
	s_delay_alu instid0(VALU_DEP_1)
	v_mul_f32_e64 v3, v3, -v2
.LBB93_142:
	s_or_b32 exec_lo, exec_lo, s1
	ds_store_b64 v37, v[2:3]
.LBB93_143:
	s_or_b32 exec_lo, exec_lo, s2
	s_wait_dscnt 0x0
	s_barrier_signal -1
	s_barrier_wait -1
	ds_load_b64 v[220:221], v37
	s_mov_b32 s1, exec_lo
	v_cmpx_lt_u32_e32 15, v36
	s_cbranch_execz .LBB93_145
; %bb.144:
	ds_load_2addr_b64 v[4:7], v40 offset0:16 offset1:17
	s_wait_dscnt 0x1
	v_pk_mul_f32 v[2:3], v[220:221], v[42:43] op_sel:[1,1] op_sel_hi:[0,1]
	s_delay_alu instid0(VALU_DEP_1) | instskip(SKIP_1) | instid1(VALU_DEP_1)
	v_pk_fma_f32 v[0:1], v[220:221], v[42:43], v[2:3] op_sel_hi:[1,0,1] neg_lo:[0,0,1] neg_hi:[0,0,1]
	v_pk_fma_f32 v[2:3], v[220:221], v[42:43], v[2:3] op_sel_hi:[1,0,1]
	v_dual_mov_b32 v42, v0 :: v_dual_mov_b32 v43, v3
	s_wait_dscnt 0x0
	s_delay_alu instid0(VALU_DEP_2) | instskip(NEXT) | instid1(VALU_DEP_1)
	v_pk_mul_f32 v[8:9], v[4:5], v[2:3] op_sel:[0,1]
	v_pk_fma_f32 v[10:11], v[4:5], v[0:1], v[8:9] op_sel:[0,0,1] op_sel_hi:[1,1,0] neg_lo:[0,0,1] neg_hi:[0,0,1]
	v_pk_fma_f32 v[4:5], v[4:5], v[0:1], v[8:9] op_sel:[0,0,1] op_sel_hi:[1,0,0]
	s_delay_alu instid0(VALU_DEP_1) | instskip(SKIP_1) | instid1(VALU_DEP_1)
	v_mov_b32_e32 v11, v5
	v_pk_mul_f32 v[4:5], v[6:7], v[2:3] op_sel:[0,1]
	v_pk_fma_f32 v[8:9], v[6:7], v[0:1], v[4:5] op_sel:[0,0,1] op_sel_hi:[1,1,0] neg_lo:[0,0,1] neg_hi:[0,0,1]
	v_pk_fma_f32 v[4:5], v[6:7], v[0:1], v[4:5] op_sel:[0,0,1] op_sel_hi:[1,0,0]
	s_delay_alu instid0(VALU_DEP_1)
	v_mov_b32_e32 v9, v5
	ds_load_2addr_b64 v[4:7], v40 offset0:18 offset1:19
	v_pk_add_f32 v[70:71], v[70:71], v[10:11] neg_lo:[0,1] neg_hi:[0,1]
	v_pk_add_f32 v[66:67], v[66:67], v[8:9] neg_lo:[0,1] neg_hi:[0,1]
	s_wait_dscnt 0x0
	v_pk_mul_f32 v[8:9], v[4:5], v[2:3] op_sel:[0,1]
	s_delay_alu instid0(VALU_DEP_1) | instskip(SKIP_2) | instid1(VALU_DEP_2)
	v_pk_fma_f32 v[10:11], v[4:5], v[0:1], v[8:9] op_sel:[0,0,1] op_sel_hi:[1,1,0] neg_lo:[0,0,1] neg_hi:[0,0,1]
	v_pk_fma_f32 v[4:5], v[4:5], v[0:1], v[8:9] op_sel:[0,0,1] op_sel_hi:[1,0,0]
	v_dual_mul_f32 v8, v7, v3 :: v_dual_mov_b32 v4, v7
	v_dual_mov_b32 v11, v5 :: v_dual_mov_b32 v5, v6
	s_delay_alu instid0(VALU_DEP_2) | instskip(SKIP_1) | instid1(VALU_DEP_3)
	v_pk_fma_f32 v[8:9], v[6:7], v[42:43], v[8:9] op_sel_hi:[1,1,0] neg_lo:[0,0,1] neg_hi:[0,0,1]
	v_mul_f32_e32 v6, v7, v0
	v_pk_add_f32 v[68:69], v[68:69], v[10:11] neg_lo:[0,1] neg_hi:[0,1]
	s_delay_alu instid0(VALU_DEP_2) | instskip(NEXT) | instid1(VALU_DEP_1)
	v_pk_fma_f32 v[4:5], v[4:5], v[42:43], v[6:7] op_sel_hi:[1,1,0]
	v_mov_b32_e32 v9, v5
	ds_load_2addr_b64 v[4:7], v40 offset0:20 offset1:21
	v_pk_add_f32 v[64:65], v[64:65], v[8:9] neg_lo:[0,1] neg_hi:[0,1]
	s_wait_dscnt 0x0
	v_pk_mul_f32 v[8:9], v[4:5], v[2:3] op_sel:[0,1]
	s_delay_alu instid0(VALU_DEP_1) | instskip(SKIP_1) | instid1(VALU_DEP_1)
	v_pk_fma_f32 v[10:11], v[4:5], v[0:1], v[8:9] op_sel:[0,0,1] op_sel_hi:[1,1,0] neg_lo:[0,0,1] neg_hi:[0,0,1]
	v_pk_fma_f32 v[4:5], v[4:5], v[0:1], v[8:9] op_sel:[0,0,1] op_sel_hi:[1,0,0]
	v_mov_b32_e32 v11, v5
	v_pk_mul_f32 v[4:5], v[6:7], v[2:3] op_sel:[0,1]
	s_delay_alu instid0(VALU_DEP_1) | instskip(SKIP_1) | instid1(VALU_DEP_1)
	v_pk_fma_f32 v[8:9], v[6:7], v[0:1], v[4:5] op_sel:[0,0,1] op_sel_hi:[1,1,0] neg_lo:[0,0,1] neg_hi:[0,0,1]
	v_pk_fma_f32 v[4:5], v[6:7], v[0:1], v[4:5] op_sel:[0,0,1] op_sel_hi:[1,0,0]
	v_mov_b32_e32 v9, v5
	ds_load_2addr_b64 v[4:7], v40 offset0:22 offset1:23
	v_pk_add_f32 v[94:95], v[94:95], v[10:11] neg_lo:[0,1] neg_hi:[0,1]
	v_pk_add_f32 v[90:91], v[90:91], v[8:9] neg_lo:[0,1] neg_hi:[0,1]
	s_wait_dscnt 0x0
	v_pk_mul_f32 v[8:9], v[4:5], v[2:3] op_sel:[0,1]
	s_delay_alu instid0(VALU_DEP_1) | instskip(SKIP_1) | instid1(VALU_DEP_1)
	v_pk_fma_f32 v[10:11], v[4:5], v[0:1], v[8:9] op_sel:[0,0,1] op_sel_hi:[1,1,0] neg_lo:[0,0,1] neg_hi:[0,0,1]
	v_pk_fma_f32 v[4:5], v[4:5], v[0:1], v[8:9] op_sel:[0,0,1] op_sel_hi:[1,0,0]
	v_mov_b32_e32 v11, v5
	v_pk_mul_f32 v[4:5], v[6:7], v[2:3] op_sel:[0,1]
	s_delay_alu instid0(VALU_DEP_1) | instskip(SKIP_1) | instid1(VALU_DEP_1)
	v_pk_fma_f32 v[8:9], v[6:7], v[0:1], v[4:5] op_sel:[0,0,1] op_sel_hi:[1,1,0] neg_lo:[0,0,1] neg_hi:[0,0,1]
	v_pk_fma_f32 v[4:5], v[6:7], v[0:1], v[4:5] op_sel:[0,0,1] op_sel_hi:[1,0,0]
	v_mov_b32_e32 v9, v5
	ds_load_2addr_b64 v[4:7], v40 offset0:24 offset1:25
	v_pk_add_f32 v[92:93], v[92:93], v[10:11] neg_lo:[0,1] neg_hi:[0,1]
	v_pk_add_f32 v[88:89], v[88:89], v[8:9] neg_lo:[0,1] neg_hi:[0,1]
	s_wait_dscnt 0x0
	v_dual_mul_f32 v8, v5, v3 :: v_dual_mul_f32 v10, v5, v0
	s_delay_alu instid0(VALU_DEP_1) | instskip(NEXT) | instid1(VALU_DEP_2)
	v_pk_fma_f32 v[8:9], v[4:5], v[42:43], v[8:9] op_sel_hi:[1,1,0] neg_lo:[0,0,1] neg_hi:[0,0,1]
	v_pk_fma_f32 v[4:5], v[4:5], v[42:43], v[10:11] op_sel:[1,0,0] op_sel_hi:[0,1,0]
	s_delay_alu instid0(VALU_DEP_1) | instskip(SKIP_1) | instid1(VALU_DEP_2)
	v_mov_b32_e32 v9, v5
	v_pk_mul_f32 v[4:5], v[6:7], v[2:3] op_sel:[0,1]
	v_pk_add_f32 v[112:113], v[112:113], v[8:9] neg_lo:[0,1] neg_hi:[0,1]
	s_delay_alu instid0(VALU_DEP_2) | instskip(SKIP_1) | instid1(VALU_DEP_1)
	v_pk_fma_f32 v[8:9], v[6:7], v[0:1], v[4:5] op_sel:[0,0,1] op_sel_hi:[1,1,0] neg_lo:[0,0,1] neg_hi:[0,0,1]
	v_pk_fma_f32 v[4:5], v[6:7], v[0:1], v[4:5] op_sel:[0,0,1] op_sel_hi:[1,0,0]
	v_mov_b32_e32 v9, v5
	ds_load_2addr_b64 v[4:7], v40 offset0:26 offset1:27
	v_pk_add_f32 v[108:109], v[108:109], v[8:9] neg_lo:[0,1] neg_hi:[0,1]
	s_wait_dscnt 0x0
	v_pk_mul_f32 v[8:9], v[4:5], v[2:3] op_sel:[0,1]
	s_delay_alu instid0(VALU_DEP_1) | instskip(SKIP_1) | instid1(VALU_DEP_1)
	v_pk_fma_f32 v[10:11], v[4:5], v[0:1], v[8:9] op_sel:[0,0,1] op_sel_hi:[1,1,0] neg_lo:[0,0,1] neg_hi:[0,0,1]
	v_pk_fma_f32 v[4:5], v[4:5], v[0:1], v[8:9] op_sel:[0,0,1] op_sel_hi:[1,0,0]
	v_mov_b32_e32 v11, v5
	v_pk_mul_f32 v[4:5], v[6:7], v[2:3] op_sel:[0,1]
	s_delay_alu instid0(VALU_DEP_2) | instskip(NEXT) | instid1(VALU_DEP_2)
	v_pk_add_f32 v[110:111], v[110:111], v[10:11] neg_lo:[0,1] neg_hi:[0,1]
	v_pk_fma_f32 v[8:9], v[6:7], v[0:1], v[4:5] op_sel:[0,0,1] op_sel_hi:[1,1,0] neg_lo:[0,0,1] neg_hi:[0,0,1]
	v_pk_fma_f32 v[4:5], v[6:7], v[0:1], v[4:5] op_sel:[0,0,1] op_sel_hi:[1,0,0]
	s_delay_alu instid0(VALU_DEP_1) | instskip(SKIP_4) | instid1(VALU_DEP_1)
	v_mov_b32_e32 v9, v5
	ds_load_2addr_b64 v[4:7], v40 offset0:28 offset1:29
	v_pk_add_f32 v[106:107], v[106:107], v[8:9] neg_lo:[0,1] neg_hi:[0,1]
	s_wait_dscnt 0x0
	v_pk_mul_f32 v[8:9], v[4:5], v[2:3] op_sel:[0,1]
	v_pk_fma_f32 v[10:11], v[4:5], v[0:1], v[8:9] op_sel:[0,0,1] op_sel_hi:[1,1,0] neg_lo:[0,0,1] neg_hi:[0,0,1]
	v_pk_fma_f32 v[4:5], v[4:5], v[0:1], v[8:9] op_sel:[0,0,1] op_sel_hi:[1,0,0]
	v_dual_mul_f32 v8, v7, v3 :: v_dual_mov_b32 v4, v7
	s_delay_alu instid0(VALU_DEP_2) | instskip(NEXT) | instid1(VALU_DEP_2)
	v_dual_mov_b32 v11, v5 :: v_dual_mov_b32 v5, v6
	v_pk_fma_f32 v[8:9], v[6:7], v[42:43], v[8:9] op_sel_hi:[1,1,0] neg_lo:[0,0,1] neg_hi:[0,0,1]
	v_mul_f32_e32 v6, v7, v0
	s_delay_alu instid0(VALU_DEP_3) | instskip(NEXT) | instid1(VALU_DEP_2)
	v_pk_add_f32 v[128:129], v[128:129], v[10:11] neg_lo:[0,1] neg_hi:[0,1]
	v_pk_fma_f32 v[4:5], v[4:5], v[42:43], v[6:7] op_sel_hi:[1,1,0]
	s_delay_alu instid0(VALU_DEP_1) | instskip(SKIP_4) | instid1(VALU_DEP_1)
	v_mov_b32_e32 v9, v5
	ds_load_2addr_b64 v[4:7], v40 offset0:30 offset1:31
	v_pk_add_f32 v[124:125], v[124:125], v[8:9] neg_lo:[0,1] neg_hi:[0,1]
	s_wait_dscnt 0x0
	v_pk_mul_f32 v[8:9], v[4:5], v[2:3] op_sel:[0,1]
	v_pk_fma_f32 v[10:11], v[4:5], v[0:1], v[8:9] op_sel:[0,0,1] op_sel_hi:[1,1,0] neg_lo:[0,0,1] neg_hi:[0,0,1]
	v_pk_fma_f32 v[4:5], v[4:5], v[0:1], v[8:9] op_sel:[0,0,1] op_sel_hi:[1,0,0]
	s_delay_alu instid0(VALU_DEP_1) | instskip(SKIP_1) | instid1(VALU_DEP_1)
	v_mov_b32_e32 v11, v5
	v_pk_mul_f32 v[4:5], v[6:7], v[2:3] op_sel:[0,1]
	v_pk_fma_f32 v[8:9], v[6:7], v[0:1], v[4:5] op_sel:[0,0,1] op_sel_hi:[1,1,0] neg_lo:[0,0,1] neg_hi:[0,0,1]
	v_pk_fma_f32 v[4:5], v[6:7], v[0:1], v[4:5] op_sel:[0,0,1] op_sel_hi:[1,0,0]
	s_delay_alu instid0(VALU_DEP_1)
	v_mov_b32_e32 v9, v5
	ds_load_2addr_b64 v[4:7], v40 offset0:32 offset1:33
	v_pk_add_f32 v[126:127], v[126:127], v[10:11] neg_lo:[0,1] neg_hi:[0,1]
	v_pk_add_f32 v[122:123], v[122:123], v[8:9] neg_lo:[0,1] neg_hi:[0,1]
	s_wait_dscnt 0x0
	v_pk_mul_f32 v[8:9], v[4:5], v[2:3] op_sel:[0,1]
	s_delay_alu instid0(VALU_DEP_1) | instskip(SKIP_1) | instid1(VALU_DEP_1)
	v_pk_fma_f32 v[10:11], v[4:5], v[0:1], v[8:9] op_sel:[0,0,1] op_sel_hi:[1,1,0] neg_lo:[0,0,1] neg_hi:[0,0,1]
	v_pk_fma_f32 v[4:5], v[4:5], v[0:1], v[8:9] op_sel:[0,0,1] op_sel_hi:[1,0,0]
	v_mov_b32_e32 v11, v5
	v_pk_mul_f32 v[4:5], v[6:7], v[2:3] op_sel:[0,1]
	s_delay_alu instid0(VALU_DEP_1) | instskip(SKIP_1) | instid1(VALU_DEP_1)
	v_pk_fma_f32 v[8:9], v[6:7], v[0:1], v[4:5] op_sel:[0,0,1] op_sel_hi:[1,1,0] neg_lo:[0,0,1] neg_hi:[0,0,1]
	v_pk_fma_f32 v[4:5], v[6:7], v[0:1], v[4:5] op_sel:[0,0,1] op_sel_hi:[1,0,0]
	v_mov_b32_e32 v9, v5
	ds_load_2addr_b64 v[4:7], v40 offset0:34 offset1:35
	v_pk_add_f32 v[144:145], v[144:145], v[10:11] neg_lo:[0,1] neg_hi:[0,1]
	v_pk_add_f32 v[140:141], v[140:141], v[8:9] neg_lo:[0,1] neg_hi:[0,1]
	s_wait_dscnt 0x0
	v_dual_mul_f32 v8, v5, v3 :: v_dual_mul_f32 v10, v5, v0
	s_delay_alu instid0(VALU_DEP_1) | instskip(NEXT) | instid1(VALU_DEP_2)
	v_pk_fma_f32 v[8:9], v[4:5], v[42:43], v[8:9] op_sel_hi:[1,1,0] neg_lo:[0,0,1] neg_hi:[0,0,1]
	v_pk_fma_f32 v[4:5], v[4:5], v[42:43], v[10:11] op_sel:[1,0,0] op_sel_hi:[0,1,0]
	s_delay_alu instid0(VALU_DEP_1) | instskip(SKIP_1) | instid1(VALU_DEP_2)
	v_mov_b32_e32 v9, v5
	v_pk_mul_f32 v[4:5], v[6:7], v[2:3] op_sel:[0,1]
	v_pk_add_f32 v[142:143], v[142:143], v[8:9] neg_lo:[0,1] neg_hi:[0,1]
	s_delay_alu instid0(VALU_DEP_2) | instskip(SKIP_1) | instid1(VALU_DEP_1)
	v_pk_fma_f32 v[8:9], v[6:7], v[0:1], v[4:5] op_sel:[0,0,1] op_sel_hi:[1,1,0] neg_lo:[0,0,1] neg_hi:[0,0,1]
	v_pk_fma_f32 v[4:5], v[6:7], v[0:1], v[4:5] op_sel:[0,0,1] op_sel_hi:[1,0,0]
	v_mov_b32_e32 v9, v5
	ds_load_2addr_b64 v[4:7], v40 offset0:36 offset1:37
	v_pk_add_f32 v[138:139], v[138:139], v[8:9] neg_lo:[0,1] neg_hi:[0,1]
	s_wait_dscnt 0x0
	v_pk_mul_f32 v[8:9], v[4:5], v[2:3] op_sel:[0,1]
	s_delay_alu instid0(VALU_DEP_1) | instskip(SKIP_1) | instid1(VALU_DEP_1)
	v_pk_fma_f32 v[10:11], v[4:5], v[0:1], v[8:9] op_sel:[0,0,1] op_sel_hi:[1,1,0] neg_lo:[0,0,1] neg_hi:[0,0,1]
	v_pk_fma_f32 v[4:5], v[4:5], v[0:1], v[8:9] op_sel:[0,0,1] op_sel_hi:[1,0,0]
	v_mov_b32_e32 v11, v5
	v_pk_mul_f32 v[4:5], v[6:7], v[2:3] op_sel:[0,1]
	s_delay_alu instid0(VALU_DEP_2) | instskip(NEXT) | instid1(VALU_DEP_2)
	v_pk_add_f32 v[162:163], v[162:163], v[10:11] neg_lo:[0,1] neg_hi:[0,1]
	v_pk_fma_f32 v[8:9], v[6:7], v[0:1], v[4:5] op_sel:[0,0,1] op_sel_hi:[1,1,0] neg_lo:[0,0,1] neg_hi:[0,0,1]
	v_pk_fma_f32 v[4:5], v[6:7], v[0:1], v[4:5] op_sel:[0,0,1] op_sel_hi:[1,0,0]
	s_delay_alu instid0(VALU_DEP_1) | instskip(SKIP_4) | instid1(VALU_DEP_1)
	v_mov_b32_e32 v9, v5
	ds_load_2addr_b64 v[4:7], v40 offset0:38 offset1:39
	v_pk_add_f32 v[158:159], v[158:159], v[8:9] neg_lo:[0,1] neg_hi:[0,1]
	s_wait_dscnt 0x0
	v_pk_mul_f32 v[8:9], v[4:5], v[2:3] op_sel:[0,1]
	v_pk_fma_f32 v[10:11], v[4:5], v[0:1], v[8:9] op_sel:[0,0,1] op_sel_hi:[1,1,0] neg_lo:[0,0,1] neg_hi:[0,0,1]
	v_pk_fma_f32 v[4:5], v[4:5], v[0:1], v[8:9] op_sel:[0,0,1] op_sel_hi:[1,0,0]
	v_dual_mul_f32 v8, v7, v3 :: v_dual_mov_b32 v4, v7
	s_delay_alu instid0(VALU_DEP_2) | instskip(NEXT) | instid1(VALU_DEP_2)
	v_dual_mov_b32 v11, v5 :: v_dual_mov_b32 v5, v6
	v_pk_fma_f32 v[8:9], v[6:7], v[42:43], v[8:9] op_sel_hi:[1,1,0] neg_lo:[0,0,1] neg_hi:[0,0,1]
	v_mul_f32_e32 v6, v7, v0
	s_delay_alu instid0(VALU_DEP_3) | instskip(NEXT) | instid1(VALU_DEP_2)
	v_pk_add_f32 v[160:161], v[160:161], v[10:11] neg_lo:[0,1] neg_hi:[0,1]
	v_pk_fma_f32 v[4:5], v[4:5], v[42:43], v[6:7] op_sel_hi:[1,1,0]
	s_delay_alu instid0(VALU_DEP_1) | instskip(SKIP_4) | instid1(VALU_DEP_1)
	v_mov_b32_e32 v9, v5
	ds_load_2addr_b64 v[4:7], v40 offset0:40 offset1:41
	v_pk_add_f32 v[156:157], v[156:157], v[8:9] neg_lo:[0,1] neg_hi:[0,1]
	s_wait_dscnt 0x0
	v_pk_mul_f32 v[8:9], v[4:5], v[2:3] op_sel:[0,1]
	v_pk_fma_f32 v[10:11], v[4:5], v[0:1], v[8:9] op_sel:[0,0,1] op_sel_hi:[1,1,0] neg_lo:[0,0,1] neg_hi:[0,0,1]
	v_pk_fma_f32 v[4:5], v[4:5], v[0:1], v[8:9] op_sel:[0,0,1] op_sel_hi:[1,0,0]
	s_delay_alu instid0(VALU_DEP_1) | instskip(SKIP_1) | instid1(VALU_DEP_1)
	v_mov_b32_e32 v11, v5
	v_pk_mul_f32 v[4:5], v[6:7], v[2:3] op_sel:[0,1]
	v_pk_fma_f32 v[8:9], v[6:7], v[0:1], v[4:5] op_sel:[0,0,1] op_sel_hi:[1,1,0] neg_lo:[0,0,1] neg_hi:[0,0,1]
	v_pk_fma_f32 v[4:5], v[6:7], v[0:1], v[4:5] op_sel:[0,0,1] op_sel_hi:[1,0,0]
	s_delay_alu instid0(VALU_DEP_1)
	v_mov_b32_e32 v9, v5
	ds_load_2addr_b64 v[4:7], v40 offset0:42 offset1:43
	v_pk_add_f32 v[182:183], v[182:183], v[10:11] neg_lo:[0,1] neg_hi:[0,1]
	v_pk_add_f32 v[176:177], v[176:177], v[8:9] neg_lo:[0,1] neg_hi:[0,1]
	s_wait_dscnt 0x0
	v_pk_mul_f32 v[8:9], v[4:5], v[2:3] op_sel:[0,1]
	s_delay_alu instid0(VALU_DEP_1) | instskip(SKIP_1) | instid1(VALU_DEP_1)
	v_pk_fma_f32 v[10:11], v[4:5], v[0:1], v[8:9] op_sel:[0,0,1] op_sel_hi:[1,1,0] neg_lo:[0,0,1] neg_hi:[0,0,1]
	v_pk_fma_f32 v[4:5], v[4:5], v[0:1], v[8:9] op_sel:[0,0,1] op_sel_hi:[1,0,0]
	v_mov_b32_e32 v11, v5
	v_pk_mul_f32 v[4:5], v[6:7], v[2:3] op_sel:[0,1]
	s_delay_alu instid0(VALU_DEP_1) | instskip(SKIP_1) | instid1(VALU_DEP_1)
	v_pk_fma_f32 v[8:9], v[6:7], v[0:1], v[4:5] op_sel:[0,0,1] op_sel_hi:[1,1,0] neg_lo:[0,0,1] neg_hi:[0,0,1]
	v_pk_fma_f32 v[4:5], v[6:7], v[0:1], v[4:5] op_sel:[0,0,1] op_sel_hi:[1,0,0]
	v_mov_b32_e32 v9, v5
	ds_load_2addr_b64 v[4:7], v40 offset0:44 offset1:45
	v_pk_add_f32 v[180:181], v[180:181], v[10:11] neg_lo:[0,1] neg_hi:[0,1]
	v_pk_add_f32 v[174:175], v[174:175], v[8:9] neg_lo:[0,1] neg_hi:[0,1]
	s_wait_dscnt 0x0
	v_dual_mul_f32 v8, v5, v3 :: v_dual_mul_f32 v10, v5, v0
	s_delay_alu instid0(VALU_DEP_1) | instskip(NEXT) | instid1(VALU_DEP_2)
	v_pk_fma_f32 v[8:9], v[4:5], v[42:43], v[8:9] op_sel_hi:[1,1,0] neg_lo:[0,0,1] neg_hi:[0,0,1]
	v_pk_fma_f32 v[4:5], v[4:5], v[42:43], v[10:11] op_sel:[1,0,0] op_sel_hi:[0,1,0]
	s_delay_alu instid0(VALU_DEP_1) | instskip(SKIP_1) | instid1(VALU_DEP_2)
	v_mov_b32_e32 v9, v5
	v_pk_mul_f32 v[4:5], v[6:7], v[2:3] op_sel:[0,1]
	v_pk_add_f32 v[178:179], v[178:179], v[8:9] neg_lo:[0,1] neg_hi:[0,1]
	s_delay_alu instid0(VALU_DEP_2) | instskip(SKIP_1) | instid1(VALU_DEP_1)
	v_pk_fma_f32 v[8:9], v[6:7], v[0:1], v[4:5] op_sel:[0,0,1] op_sel_hi:[1,1,0] neg_lo:[0,0,1] neg_hi:[0,0,1]
	v_pk_fma_f32 v[4:5], v[6:7], v[0:1], v[4:5] op_sel:[0,0,1] op_sel_hi:[1,0,0]
	v_mov_b32_e32 v9, v5
	ds_load_b64 v[4:5], v40 offset:368
	v_pk_add_f32 v[186:187], v[186:187], v[8:9] neg_lo:[0,1] neg_hi:[0,1]
	s_wait_dscnt 0x0
	v_pk_mul_f32 v[2:3], v[4:5], v[2:3] op_sel:[0,1]
	s_delay_alu instid0(VALU_DEP_1) | instskip(SKIP_1) | instid1(VALU_DEP_1)
	v_pk_fma_f32 v[6:7], v[4:5], v[0:1], v[2:3] op_sel:[0,0,1] op_sel_hi:[1,1,0] neg_lo:[0,0,1] neg_hi:[0,0,1]
	v_pk_fma_f32 v[0:1], v[4:5], v[0:1], v[2:3] op_sel:[0,0,1] op_sel_hi:[1,0,0]
	v_mov_b32_e32 v7, v1
	s_delay_alu instid0(VALU_DEP_1)
	v_pk_add_f32 v[188:189], v[188:189], v[6:7] neg_lo:[0,1] neg_hi:[0,1]
.LBB93_145:
	s_or_b32 exec_lo, exec_lo, s1
	s_delay_alu instid0(SALU_CYCLE_1)
	s_mov_b32 s2, exec_lo
	s_wait_dscnt 0x0
	s_barrier_signal -1
	s_barrier_wait -1
	v_cmpx_eq_u32_e32 16, v36
	s_cbranch_execz .LBB93_152
; %bb.146:
	ds_store_b64 v37, v[70:71]
	ds_store_2addr_b64 v40, v[66:67], v[68:69] offset0:17 offset1:18
	ds_store_2addr_b64 v40, v[64:65], v[94:95] offset0:19 offset1:20
	;; [unrolled: 1-line block ×15, first 2 shown]
	ds_load_b64 v[0:1], v37
	s_wait_dscnt 0x0
	v_cmp_neq_f32_e32 vcc_lo, 0, v0
	v_cmp_neq_f32_e64 s1, 0, v1
	s_or_b32 s1, vcc_lo, s1
	s_delay_alu instid0(SALU_CYCLE_1)
	s_and_b32 exec_lo, exec_lo, s1
	s_cbranch_execz .LBB93_152
; %bb.147:
	v_cmp_ngt_f32_e64 s1, |v0|, |v1|
                                        ; implicit-def: $vgpr2_vgpr3
	s_and_saveexec_b32 s4, s1
	s_delay_alu instid0(SALU_CYCLE_1)
	s_xor_b32 s1, exec_lo, s4
	s_cbranch_execz .LBB93_149
; %bb.148:
	v_div_scale_f32 v2, null, v1, v1, v0
	v_div_scale_f32 v5, vcc_lo, v0, v1, v0
	s_delay_alu instid0(VALU_DEP_2) | instskip(SKIP_1) | instid1(TRANS32_DEP_1)
	v_rcp_f32_e32 v3, v2
	v_nop
	v_fma_f32 v4, -v2, v3, 1.0
	s_delay_alu instid0(VALU_DEP_1) | instskip(NEXT) | instid1(VALU_DEP_1)
	v_fmac_f32_e32 v3, v4, v3
	v_mul_f32_e32 v4, v5, v3
	s_delay_alu instid0(VALU_DEP_1) | instskip(NEXT) | instid1(VALU_DEP_1)
	v_fma_f32 v6, -v2, v4, v5
	v_fmac_f32_e32 v4, v6, v3
	s_delay_alu instid0(VALU_DEP_1) | instskip(NEXT) | instid1(VALU_DEP_1)
	v_fma_f32 v2, -v2, v4, v5
	v_div_fmas_f32 v2, v2, v3, v4
	s_delay_alu instid0(VALU_DEP_1) | instskip(NEXT) | instid1(VALU_DEP_1)
	v_div_fixup_f32 v2, v2, v1, v0
	v_fmac_f32_e32 v1, v0, v2
	s_delay_alu instid0(VALU_DEP_1) | instskip(SKIP_1) | instid1(VALU_DEP_2)
	v_div_scale_f32 v0, null, v1, v1, 1.0
	v_div_scale_f32 v5, vcc_lo, 1.0, v1, 1.0
	v_rcp_f32_e32 v3, v0
	v_nop
	s_delay_alu instid0(TRANS32_DEP_1) | instskip(NEXT) | instid1(VALU_DEP_1)
	v_fma_f32 v4, -v0, v3, 1.0
	v_fmac_f32_e32 v3, v4, v3
	s_delay_alu instid0(VALU_DEP_1) | instskip(NEXT) | instid1(VALU_DEP_1)
	v_mul_f32_e32 v4, v5, v3
	v_fma_f32 v6, -v0, v4, v5
	s_delay_alu instid0(VALU_DEP_1) | instskip(NEXT) | instid1(VALU_DEP_1)
	v_fmac_f32_e32 v4, v6, v3
	v_fma_f32 v0, -v0, v4, v5
	s_delay_alu instid0(VALU_DEP_1) | instskip(NEXT) | instid1(VALU_DEP_1)
	v_div_fmas_f32 v0, v0, v3, v4
	v_div_fixup_f32 v0, v0, v1, 1.0
	s_delay_alu instid0(VALU_DEP_1)
	v_mul_f32_e32 v2, v2, v0
	v_xor_b32_e32 v3, 0x80000000, v0
                                        ; implicit-def: $vgpr0_vgpr1
.LBB93_149:
	s_and_not1_saveexec_b32 s1, s1
	s_cbranch_execz .LBB93_151
; %bb.150:
	v_div_scale_f32 v2, null, v0, v0, v1
	v_div_scale_f32 v5, vcc_lo, v1, v0, v1
	s_delay_alu instid0(VALU_DEP_2) | instskip(SKIP_1) | instid1(TRANS32_DEP_1)
	v_rcp_f32_e32 v3, v2
	v_nop
	v_fma_f32 v4, -v2, v3, 1.0
	s_delay_alu instid0(VALU_DEP_1) | instskip(NEXT) | instid1(VALU_DEP_1)
	v_fmac_f32_e32 v3, v4, v3
	v_mul_f32_e32 v4, v5, v3
	s_delay_alu instid0(VALU_DEP_1) | instskip(NEXT) | instid1(VALU_DEP_1)
	v_fma_f32 v6, -v2, v4, v5
	v_fmac_f32_e32 v4, v6, v3
	s_delay_alu instid0(VALU_DEP_1) | instskip(NEXT) | instid1(VALU_DEP_1)
	v_fma_f32 v2, -v2, v4, v5
	v_div_fmas_f32 v2, v2, v3, v4
	s_delay_alu instid0(VALU_DEP_1) | instskip(NEXT) | instid1(VALU_DEP_1)
	v_div_fixup_f32 v3, v2, v0, v1
	v_fmac_f32_e32 v0, v1, v3
	s_delay_alu instid0(VALU_DEP_1) | instskip(NEXT) | instid1(VALU_DEP_1)
	v_div_scale_f32 v1, null, v0, v0, 1.0
	v_rcp_f32_e32 v2, v1
	v_nop
	s_delay_alu instid0(TRANS32_DEP_1) | instskip(NEXT) | instid1(VALU_DEP_1)
	v_fma_f32 v4, -v1, v2, 1.0
	v_fmac_f32_e32 v2, v4, v2
	v_div_scale_f32 v4, vcc_lo, 1.0, v0, 1.0
	s_delay_alu instid0(VALU_DEP_1) | instskip(NEXT) | instid1(VALU_DEP_1)
	v_mul_f32_e32 v5, v4, v2
	v_fma_f32 v6, -v1, v5, v4
	s_delay_alu instid0(VALU_DEP_1) | instskip(NEXT) | instid1(VALU_DEP_1)
	v_fmac_f32_e32 v5, v6, v2
	v_fma_f32 v1, -v1, v5, v4
	s_delay_alu instid0(VALU_DEP_1) | instskip(NEXT) | instid1(VALU_DEP_1)
	v_div_fmas_f32 v1, v1, v2, v5
	v_div_fixup_f32 v2, v1, v0, 1.0
	s_delay_alu instid0(VALU_DEP_1)
	v_mul_f32_e64 v3, v3, -v2
.LBB93_151:
	s_or_b32 exec_lo, exec_lo, s1
	ds_store_b64 v37, v[2:3]
.LBB93_152:
	s_or_b32 exec_lo, exec_lo, s2
	s_wait_dscnt 0x0
	s_barrier_signal -1
	s_barrier_wait -1
	ds_load_b64 v[222:223], v37
	s_mov_b32 s1, exec_lo
	v_cmpx_lt_u32_e32 16, v36
	s_cbranch_execz .LBB93_154
; %bb.153:
	ds_load_2addr_b64 v[4:7], v40 offset0:17 offset1:18
	s_wait_dscnt 0x1
	v_pk_mul_f32 v[2:3], v[222:223], v[70:71] op_sel:[1,1] op_sel_hi:[0,1]
	s_delay_alu instid0(VALU_DEP_1) | instskip(SKIP_1) | instid1(VALU_DEP_1)
	v_pk_fma_f32 v[0:1], v[222:223], v[70:71], v[2:3] op_sel_hi:[1,0,1] neg_lo:[0,0,1] neg_hi:[0,0,1]
	v_pk_fma_f32 v[2:3], v[222:223], v[70:71], v[2:3] op_sel_hi:[1,0,1]
	v_dual_mov_b32 v70, v0 :: v_dual_mov_b32 v71, v3
	s_wait_dscnt 0x0
	s_delay_alu instid0(VALU_DEP_2) | instskip(NEXT) | instid1(VALU_DEP_1)
	v_pk_mul_f32 v[8:9], v[4:5], v[2:3] op_sel:[0,1]
	v_pk_fma_f32 v[10:11], v[4:5], v[0:1], v[8:9] op_sel:[0,0,1] op_sel_hi:[1,1,0] neg_lo:[0,0,1] neg_hi:[0,0,1]
	v_pk_fma_f32 v[4:5], v[4:5], v[0:1], v[8:9] op_sel:[0,0,1] op_sel_hi:[1,0,0]
	s_delay_alu instid0(VALU_DEP_1) | instskip(SKIP_1) | instid1(VALU_DEP_1)
	v_mov_b32_e32 v11, v5
	v_pk_mul_f32 v[4:5], v[6:7], v[2:3] op_sel:[0,1]
	v_pk_fma_f32 v[8:9], v[6:7], v[0:1], v[4:5] op_sel:[0,0,1] op_sel_hi:[1,1,0] neg_lo:[0,0,1] neg_hi:[0,0,1]
	v_pk_fma_f32 v[4:5], v[6:7], v[0:1], v[4:5] op_sel:[0,0,1] op_sel_hi:[1,0,0]
	s_delay_alu instid0(VALU_DEP_1)
	v_mov_b32_e32 v9, v5
	ds_load_2addr_b64 v[4:7], v40 offset0:19 offset1:20
	v_pk_add_f32 v[66:67], v[66:67], v[10:11] neg_lo:[0,1] neg_hi:[0,1]
	v_pk_add_f32 v[68:69], v[68:69], v[8:9] neg_lo:[0,1] neg_hi:[0,1]
	s_wait_dscnt 0x0
	v_pk_mul_f32 v[8:9], v[4:5], v[2:3] op_sel:[0,1]
	s_delay_alu instid0(VALU_DEP_1) | instskip(SKIP_2) | instid1(VALU_DEP_2)
	v_pk_fma_f32 v[10:11], v[4:5], v[0:1], v[8:9] op_sel:[0,0,1] op_sel_hi:[1,1,0] neg_lo:[0,0,1] neg_hi:[0,0,1]
	v_pk_fma_f32 v[4:5], v[4:5], v[0:1], v[8:9] op_sel:[0,0,1] op_sel_hi:[1,0,0]
	v_dual_mul_f32 v8, v7, v3 :: v_dual_mov_b32 v4, v7
	v_dual_mov_b32 v11, v5 :: v_dual_mov_b32 v5, v6
	s_delay_alu instid0(VALU_DEP_2) | instskip(SKIP_1) | instid1(VALU_DEP_3)
	v_pk_fma_f32 v[8:9], v[6:7], v[70:71], v[8:9] op_sel_hi:[1,1,0] neg_lo:[0,0,1] neg_hi:[0,0,1]
	v_mul_f32_e32 v6, v7, v0
	v_pk_add_f32 v[64:65], v[64:65], v[10:11] neg_lo:[0,1] neg_hi:[0,1]
	s_delay_alu instid0(VALU_DEP_2) | instskip(NEXT) | instid1(VALU_DEP_1)
	v_pk_fma_f32 v[4:5], v[4:5], v[70:71], v[6:7] op_sel_hi:[1,1,0]
	v_mov_b32_e32 v9, v5
	ds_load_2addr_b64 v[4:7], v40 offset0:21 offset1:22
	v_pk_add_f32 v[94:95], v[94:95], v[8:9] neg_lo:[0,1] neg_hi:[0,1]
	s_wait_dscnt 0x0
	v_pk_mul_f32 v[8:9], v[4:5], v[2:3] op_sel:[0,1]
	s_delay_alu instid0(VALU_DEP_1) | instskip(SKIP_1) | instid1(VALU_DEP_1)
	v_pk_fma_f32 v[10:11], v[4:5], v[0:1], v[8:9] op_sel:[0,0,1] op_sel_hi:[1,1,0] neg_lo:[0,0,1] neg_hi:[0,0,1]
	v_pk_fma_f32 v[4:5], v[4:5], v[0:1], v[8:9] op_sel:[0,0,1] op_sel_hi:[1,0,0]
	v_mov_b32_e32 v11, v5
	v_pk_mul_f32 v[4:5], v[6:7], v[2:3] op_sel:[0,1]
	s_delay_alu instid0(VALU_DEP_1) | instskip(SKIP_1) | instid1(VALU_DEP_1)
	v_pk_fma_f32 v[8:9], v[6:7], v[0:1], v[4:5] op_sel:[0,0,1] op_sel_hi:[1,1,0] neg_lo:[0,0,1] neg_hi:[0,0,1]
	v_pk_fma_f32 v[4:5], v[6:7], v[0:1], v[4:5] op_sel:[0,0,1] op_sel_hi:[1,0,0]
	v_mov_b32_e32 v9, v5
	ds_load_2addr_b64 v[4:7], v40 offset0:23 offset1:24
	v_pk_add_f32 v[90:91], v[90:91], v[10:11] neg_lo:[0,1] neg_hi:[0,1]
	v_pk_add_f32 v[92:93], v[92:93], v[8:9] neg_lo:[0,1] neg_hi:[0,1]
	s_wait_dscnt 0x0
	v_pk_mul_f32 v[8:9], v[4:5], v[2:3] op_sel:[0,1]
	s_delay_alu instid0(VALU_DEP_1) | instskip(SKIP_1) | instid1(VALU_DEP_1)
	v_pk_fma_f32 v[10:11], v[4:5], v[0:1], v[8:9] op_sel:[0,0,1] op_sel_hi:[1,1,0] neg_lo:[0,0,1] neg_hi:[0,0,1]
	v_pk_fma_f32 v[4:5], v[4:5], v[0:1], v[8:9] op_sel:[0,0,1] op_sel_hi:[1,0,0]
	v_mov_b32_e32 v11, v5
	v_pk_mul_f32 v[4:5], v[6:7], v[2:3] op_sel:[0,1]
	s_delay_alu instid0(VALU_DEP_1) | instskip(SKIP_1) | instid1(VALU_DEP_1)
	v_pk_fma_f32 v[8:9], v[6:7], v[0:1], v[4:5] op_sel:[0,0,1] op_sel_hi:[1,1,0] neg_lo:[0,0,1] neg_hi:[0,0,1]
	v_pk_fma_f32 v[4:5], v[6:7], v[0:1], v[4:5] op_sel:[0,0,1] op_sel_hi:[1,0,0]
	v_mov_b32_e32 v9, v5
	ds_load_2addr_b64 v[4:7], v40 offset0:25 offset1:26
	v_pk_add_f32 v[88:89], v[88:89], v[10:11] neg_lo:[0,1] neg_hi:[0,1]
	v_pk_add_f32 v[112:113], v[112:113], v[8:9] neg_lo:[0,1] neg_hi:[0,1]
	s_wait_dscnt 0x0
	v_dual_mul_f32 v8, v5, v3 :: v_dual_mul_f32 v10, v5, v0
	s_delay_alu instid0(VALU_DEP_1) | instskip(NEXT) | instid1(VALU_DEP_2)
	v_pk_fma_f32 v[8:9], v[4:5], v[70:71], v[8:9] op_sel_hi:[1,1,0] neg_lo:[0,0,1] neg_hi:[0,0,1]
	v_pk_fma_f32 v[4:5], v[4:5], v[70:71], v[10:11] op_sel:[1,0,0] op_sel_hi:[0,1,0]
	s_delay_alu instid0(VALU_DEP_1) | instskip(SKIP_1) | instid1(VALU_DEP_2)
	v_mov_b32_e32 v9, v5
	v_pk_mul_f32 v[4:5], v[6:7], v[2:3] op_sel:[0,1]
	v_pk_add_f32 v[108:109], v[108:109], v[8:9] neg_lo:[0,1] neg_hi:[0,1]
	s_delay_alu instid0(VALU_DEP_2) | instskip(SKIP_1) | instid1(VALU_DEP_1)
	v_pk_fma_f32 v[8:9], v[6:7], v[0:1], v[4:5] op_sel:[0,0,1] op_sel_hi:[1,1,0] neg_lo:[0,0,1] neg_hi:[0,0,1]
	v_pk_fma_f32 v[4:5], v[6:7], v[0:1], v[4:5] op_sel:[0,0,1] op_sel_hi:[1,0,0]
	v_mov_b32_e32 v9, v5
	ds_load_2addr_b64 v[4:7], v40 offset0:27 offset1:28
	v_pk_add_f32 v[110:111], v[110:111], v[8:9] neg_lo:[0,1] neg_hi:[0,1]
	s_wait_dscnt 0x0
	v_pk_mul_f32 v[8:9], v[4:5], v[2:3] op_sel:[0,1]
	s_delay_alu instid0(VALU_DEP_1) | instskip(SKIP_1) | instid1(VALU_DEP_1)
	v_pk_fma_f32 v[10:11], v[4:5], v[0:1], v[8:9] op_sel:[0,0,1] op_sel_hi:[1,1,0] neg_lo:[0,0,1] neg_hi:[0,0,1]
	v_pk_fma_f32 v[4:5], v[4:5], v[0:1], v[8:9] op_sel:[0,0,1] op_sel_hi:[1,0,0]
	v_mov_b32_e32 v11, v5
	v_pk_mul_f32 v[4:5], v[6:7], v[2:3] op_sel:[0,1]
	s_delay_alu instid0(VALU_DEP_2) | instskip(NEXT) | instid1(VALU_DEP_2)
	v_pk_add_f32 v[106:107], v[106:107], v[10:11] neg_lo:[0,1] neg_hi:[0,1]
	v_pk_fma_f32 v[8:9], v[6:7], v[0:1], v[4:5] op_sel:[0,0,1] op_sel_hi:[1,1,0] neg_lo:[0,0,1] neg_hi:[0,0,1]
	v_pk_fma_f32 v[4:5], v[6:7], v[0:1], v[4:5] op_sel:[0,0,1] op_sel_hi:[1,0,0]
	s_delay_alu instid0(VALU_DEP_1) | instskip(SKIP_4) | instid1(VALU_DEP_1)
	v_mov_b32_e32 v9, v5
	ds_load_2addr_b64 v[4:7], v40 offset0:29 offset1:30
	v_pk_add_f32 v[128:129], v[128:129], v[8:9] neg_lo:[0,1] neg_hi:[0,1]
	s_wait_dscnt 0x0
	v_pk_mul_f32 v[8:9], v[4:5], v[2:3] op_sel:[0,1]
	v_pk_fma_f32 v[10:11], v[4:5], v[0:1], v[8:9] op_sel:[0,0,1] op_sel_hi:[1,1,0] neg_lo:[0,0,1] neg_hi:[0,0,1]
	v_pk_fma_f32 v[4:5], v[4:5], v[0:1], v[8:9] op_sel:[0,0,1] op_sel_hi:[1,0,0]
	v_dual_mul_f32 v8, v7, v3 :: v_dual_mov_b32 v4, v7
	s_delay_alu instid0(VALU_DEP_2) | instskip(NEXT) | instid1(VALU_DEP_2)
	v_dual_mov_b32 v11, v5 :: v_dual_mov_b32 v5, v6
	v_pk_fma_f32 v[8:9], v[6:7], v[70:71], v[8:9] op_sel_hi:[1,1,0] neg_lo:[0,0,1] neg_hi:[0,0,1]
	v_mul_f32_e32 v6, v7, v0
	s_delay_alu instid0(VALU_DEP_3) | instskip(NEXT) | instid1(VALU_DEP_2)
	v_pk_add_f32 v[124:125], v[124:125], v[10:11] neg_lo:[0,1] neg_hi:[0,1]
	v_pk_fma_f32 v[4:5], v[4:5], v[70:71], v[6:7] op_sel_hi:[1,1,0]
	s_delay_alu instid0(VALU_DEP_1) | instskip(SKIP_4) | instid1(VALU_DEP_1)
	v_mov_b32_e32 v9, v5
	ds_load_2addr_b64 v[4:7], v40 offset0:31 offset1:32
	v_pk_add_f32 v[126:127], v[126:127], v[8:9] neg_lo:[0,1] neg_hi:[0,1]
	s_wait_dscnt 0x0
	v_pk_mul_f32 v[8:9], v[4:5], v[2:3] op_sel:[0,1]
	v_pk_fma_f32 v[10:11], v[4:5], v[0:1], v[8:9] op_sel:[0,0,1] op_sel_hi:[1,1,0] neg_lo:[0,0,1] neg_hi:[0,0,1]
	v_pk_fma_f32 v[4:5], v[4:5], v[0:1], v[8:9] op_sel:[0,0,1] op_sel_hi:[1,0,0]
	s_delay_alu instid0(VALU_DEP_1) | instskip(SKIP_1) | instid1(VALU_DEP_1)
	v_mov_b32_e32 v11, v5
	v_pk_mul_f32 v[4:5], v[6:7], v[2:3] op_sel:[0,1]
	v_pk_fma_f32 v[8:9], v[6:7], v[0:1], v[4:5] op_sel:[0,0,1] op_sel_hi:[1,1,0] neg_lo:[0,0,1] neg_hi:[0,0,1]
	v_pk_fma_f32 v[4:5], v[6:7], v[0:1], v[4:5] op_sel:[0,0,1] op_sel_hi:[1,0,0]
	s_delay_alu instid0(VALU_DEP_1)
	v_mov_b32_e32 v9, v5
	ds_load_2addr_b64 v[4:7], v40 offset0:33 offset1:34
	v_pk_add_f32 v[122:123], v[122:123], v[10:11] neg_lo:[0,1] neg_hi:[0,1]
	v_pk_add_f32 v[144:145], v[144:145], v[8:9] neg_lo:[0,1] neg_hi:[0,1]
	s_wait_dscnt 0x0
	v_pk_mul_f32 v[8:9], v[4:5], v[2:3] op_sel:[0,1]
	s_delay_alu instid0(VALU_DEP_1) | instskip(SKIP_1) | instid1(VALU_DEP_1)
	v_pk_fma_f32 v[10:11], v[4:5], v[0:1], v[8:9] op_sel:[0,0,1] op_sel_hi:[1,1,0] neg_lo:[0,0,1] neg_hi:[0,0,1]
	v_pk_fma_f32 v[4:5], v[4:5], v[0:1], v[8:9] op_sel:[0,0,1] op_sel_hi:[1,0,0]
	v_mov_b32_e32 v11, v5
	v_pk_mul_f32 v[4:5], v[6:7], v[2:3] op_sel:[0,1]
	s_delay_alu instid0(VALU_DEP_1) | instskip(SKIP_1) | instid1(VALU_DEP_1)
	v_pk_fma_f32 v[8:9], v[6:7], v[0:1], v[4:5] op_sel:[0,0,1] op_sel_hi:[1,1,0] neg_lo:[0,0,1] neg_hi:[0,0,1]
	v_pk_fma_f32 v[4:5], v[6:7], v[0:1], v[4:5] op_sel:[0,0,1] op_sel_hi:[1,0,0]
	v_mov_b32_e32 v9, v5
	ds_load_2addr_b64 v[4:7], v40 offset0:35 offset1:36
	v_pk_add_f32 v[140:141], v[140:141], v[10:11] neg_lo:[0,1] neg_hi:[0,1]
	v_pk_add_f32 v[142:143], v[142:143], v[8:9] neg_lo:[0,1] neg_hi:[0,1]
	s_wait_dscnt 0x0
	v_dual_mul_f32 v8, v5, v3 :: v_dual_mul_f32 v10, v5, v0
	s_delay_alu instid0(VALU_DEP_1) | instskip(NEXT) | instid1(VALU_DEP_2)
	v_pk_fma_f32 v[8:9], v[4:5], v[70:71], v[8:9] op_sel_hi:[1,1,0] neg_lo:[0,0,1] neg_hi:[0,0,1]
	v_pk_fma_f32 v[4:5], v[4:5], v[70:71], v[10:11] op_sel:[1,0,0] op_sel_hi:[0,1,0]
	s_delay_alu instid0(VALU_DEP_1) | instskip(SKIP_1) | instid1(VALU_DEP_2)
	v_mov_b32_e32 v9, v5
	v_pk_mul_f32 v[4:5], v[6:7], v[2:3] op_sel:[0,1]
	v_pk_add_f32 v[138:139], v[138:139], v[8:9] neg_lo:[0,1] neg_hi:[0,1]
	s_delay_alu instid0(VALU_DEP_2) | instskip(SKIP_1) | instid1(VALU_DEP_1)
	v_pk_fma_f32 v[8:9], v[6:7], v[0:1], v[4:5] op_sel:[0,0,1] op_sel_hi:[1,1,0] neg_lo:[0,0,1] neg_hi:[0,0,1]
	v_pk_fma_f32 v[4:5], v[6:7], v[0:1], v[4:5] op_sel:[0,0,1] op_sel_hi:[1,0,0]
	v_mov_b32_e32 v9, v5
	ds_load_2addr_b64 v[4:7], v40 offset0:37 offset1:38
	v_pk_add_f32 v[162:163], v[162:163], v[8:9] neg_lo:[0,1] neg_hi:[0,1]
	s_wait_dscnt 0x0
	v_pk_mul_f32 v[8:9], v[4:5], v[2:3] op_sel:[0,1]
	s_delay_alu instid0(VALU_DEP_1) | instskip(SKIP_1) | instid1(VALU_DEP_1)
	v_pk_fma_f32 v[10:11], v[4:5], v[0:1], v[8:9] op_sel:[0,0,1] op_sel_hi:[1,1,0] neg_lo:[0,0,1] neg_hi:[0,0,1]
	v_pk_fma_f32 v[4:5], v[4:5], v[0:1], v[8:9] op_sel:[0,0,1] op_sel_hi:[1,0,0]
	v_mov_b32_e32 v11, v5
	v_pk_mul_f32 v[4:5], v[6:7], v[2:3] op_sel:[0,1]
	s_delay_alu instid0(VALU_DEP_2) | instskip(NEXT) | instid1(VALU_DEP_2)
	v_pk_add_f32 v[158:159], v[158:159], v[10:11] neg_lo:[0,1] neg_hi:[0,1]
	v_pk_fma_f32 v[8:9], v[6:7], v[0:1], v[4:5] op_sel:[0,0,1] op_sel_hi:[1,1,0] neg_lo:[0,0,1] neg_hi:[0,0,1]
	v_pk_fma_f32 v[4:5], v[6:7], v[0:1], v[4:5] op_sel:[0,0,1] op_sel_hi:[1,0,0]
	s_delay_alu instid0(VALU_DEP_1) | instskip(SKIP_4) | instid1(VALU_DEP_1)
	v_mov_b32_e32 v9, v5
	ds_load_2addr_b64 v[4:7], v40 offset0:39 offset1:40
	v_pk_add_f32 v[160:161], v[160:161], v[8:9] neg_lo:[0,1] neg_hi:[0,1]
	s_wait_dscnt 0x0
	v_pk_mul_f32 v[8:9], v[4:5], v[2:3] op_sel:[0,1]
	v_pk_fma_f32 v[10:11], v[4:5], v[0:1], v[8:9] op_sel:[0,0,1] op_sel_hi:[1,1,0] neg_lo:[0,0,1] neg_hi:[0,0,1]
	v_pk_fma_f32 v[4:5], v[4:5], v[0:1], v[8:9] op_sel:[0,0,1] op_sel_hi:[1,0,0]
	v_dual_mul_f32 v8, v7, v3 :: v_dual_mov_b32 v4, v7
	s_delay_alu instid0(VALU_DEP_2) | instskip(NEXT) | instid1(VALU_DEP_2)
	v_dual_mov_b32 v11, v5 :: v_dual_mov_b32 v5, v6
	v_pk_fma_f32 v[8:9], v[6:7], v[70:71], v[8:9] op_sel_hi:[1,1,0] neg_lo:[0,0,1] neg_hi:[0,0,1]
	v_mul_f32_e32 v6, v7, v0
	s_delay_alu instid0(VALU_DEP_3) | instskip(NEXT) | instid1(VALU_DEP_2)
	v_pk_add_f32 v[156:157], v[156:157], v[10:11] neg_lo:[0,1] neg_hi:[0,1]
	v_pk_fma_f32 v[4:5], v[4:5], v[70:71], v[6:7] op_sel_hi:[1,1,0]
	s_delay_alu instid0(VALU_DEP_1) | instskip(SKIP_4) | instid1(VALU_DEP_1)
	v_mov_b32_e32 v9, v5
	ds_load_2addr_b64 v[4:7], v40 offset0:41 offset1:42
	v_pk_add_f32 v[182:183], v[182:183], v[8:9] neg_lo:[0,1] neg_hi:[0,1]
	s_wait_dscnt 0x0
	v_pk_mul_f32 v[8:9], v[4:5], v[2:3] op_sel:[0,1]
	v_pk_fma_f32 v[10:11], v[4:5], v[0:1], v[8:9] op_sel:[0,0,1] op_sel_hi:[1,1,0] neg_lo:[0,0,1] neg_hi:[0,0,1]
	v_pk_fma_f32 v[4:5], v[4:5], v[0:1], v[8:9] op_sel:[0,0,1] op_sel_hi:[1,0,0]
	s_delay_alu instid0(VALU_DEP_1) | instskip(SKIP_1) | instid1(VALU_DEP_1)
	v_mov_b32_e32 v11, v5
	v_pk_mul_f32 v[4:5], v[6:7], v[2:3] op_sel:[0,1]
	v_pk_fma_f32 v[8:9], v[6:7], v[0:1], v[4:5] op_sel:[0,0,1] op_sel_hi:[1,1,0] neg_lo:[0,0,1] neg_hi:[0,0,1]
	v_pk_fma_f32 v[4:5], v[6:7], v[0:1], v[4:5] op_sel:[0,0,1] op_sel_hi:[1,0,0]
	s_delay_alu instid0(VALU_DEP_1)
	v_mov_b32_e32 v9, v5
	ds_load_2addr_b64 v[4:7], v40 offset0:43 offset1:44
	v_pk_add_f32 v[176:177], v[176:177], v[10:11] neg_lo:[0,1] neg_hi:[0,1]
	v_pk_add_f32 v[180:181], v[180:181], v[8:9] neg_lo:[0,1] neg_hi:[0,1]
	s_wait_dscnt 0x0
	v_pk_mul_f32 v[8:9], v[4:5], v[2:3] op_sel:[0,1]
	s_delay_alu instid0(VALU_DEP_1) | instskip(SKIP_1) | instid1(VALU_DEP_1)
	v_pk_fma_f32 v[10:11], v[4:5], v[0:1], v[8:9] op_sel:[0,0,1] op_sel_hi:[1,1,0] neg_lo:[0,0,1] neg_hi:[0,0,1]
	v_pk_fma_f32 v[4:5], v[4:5], v[0:1], v[8:9] op_sel:[0,0,1] op_sel_hi:[1,0,0]
	v_mov_b32_e32 v11, v5
	v_pk_mul_f32 v[4:5], v[6:7], v[2:3] op_sel:[0,1]
	s_delay_alu instid0(VALU_DEP_1) | instskip(SKIP_1) | instid1(VALU_DEP_1)
	v_pk_fma_f32 v[8:9], v[6:7], v[0:1], v[4:5] op_sel:[0,0,1] op_sel_hi:[1,1,0] neg_lo:[0,0,1] neg_hi:[0,0,1]
	v_pk_fma_f32 v[4:5], v[6:7], v[0:1], v[4:5] op_sel:[0,0,1] op_sel_hi:[1,0,0]
	v_mov_b32_e32 v9, v5
	ds_load_2addr_b64 v[4:7], v40 offset0:45 offset1:46
	v_pk_add_f32 v[174:175], v[174:175], v[10:11] neg_lo:[0,1] neg_hi:[0,1]
	v_pk_add_f32 v[178:179], v[178:179], v[8:9] neg_lo:[0,1] neg_hi:[0,1]
	s_wait_dscnt 0x0
	v_mul_f32_e32 v2, v5, v3
	s_delay_alu instid0(VALU_DEP_1) | instskip(SKIP_1) | instid1(VALU_DEP_1)
	v_pk_fma_f32 v[8:9], v[4:5], v[70:71], v[2:3] op_sel_hi:[1,1,0] neg_lo:[0,0,1] neg_hi:[0,0,1]
	v_dual_mul_f32 v2, v5, v0 :: v_dual_mul_f32 v0, v7, v0
	v_pk_fma_f32 v[4:5], v[4:5], v[70:71], v[2:3] op_sel:[1,0,0] op_sel_hi:[0,1,0]
	v_dual_mov_b32 v4, v7 :: v_dual_mul_f32 v2, v7, v3
	s_delay_alu instid0(VALU_DEP_2) | instskip(NEXT) | instid1(VALU_DEP_2)
	v_dual_mov_b32 v9, v5 :: v_dual_mov_b32 v5, v6
	v_pk_fma_f32 v[2:3], v[6:7], v[70:71], v[2:3] op_sel_hi:[1,1,0] neg_lo:[0,0,1] neg_hi:[0,0,1]
	s_delay_alu instid0(VALU_DEP_2) | instskip(NEXT) | instid1(VALU_DEP_3)
	v_pk_add_f32 v[186:187], v[186:187], v[8:9] neg_lo:[0,1] neg_hi:[0,1]
	v_pk_fma_f32 v[0:1], v[4:5], v[70:71], v[0:1] op_sel_hi:[1,1,0]
	s_delay_alu instid0(VALU_DEP_1) | instskip(NEXT) | instid1(VALU_DEP_1)
	v_mov_b32_e32 v3, v1
	v_pk_add_f32 v[188:189], v[188:189], v[2:3] neg_lo:[0,1] neg_hi:[0,1]
.LBB93_154:
	s_or_b32 exec_lo, exec_lo, s1
	s_delay_alu instid0(SALU_CYCLE_1)
	s_mov_b32 s2, exec_lo
	s_wait_dscnt 0x0
	s_barrier_signal -1
	s_barrier_wait -1
	v_cmpx_eq_u32_e32 17, v36
	s_cbranch_execz .LBB93_161
; %bb.155:
	v_dual_mov_b32 v0, v68 :: v_dual_mov_b32 v1, v69
	v_dual_mov_b32 v2, v64 :: v_dual_mov_b32 v3, v65
	;; [unrolled: 1-line block ×4, first 2 shown]
	ds_store_b64 v37, v[66:67]
	ds_store_2addr_b64 v40, v[0:1], v[2:3] offset0:18 offset1:19
	ds_store_2addr_b64 v40, v[4:5], v[6:7] offset0:20 offset1:21
	v_dual_mov_b32 v0, v92 :: v_dual_mov_b32 v1, v93
	v_dual_mov_b32 v2, v88 :: v_dual_mov_b32 v3, v89
	;; [unrolled: 1-line block ×12, first 2 shown]
	ds_store_2addr_b64 v40, v[0:1], v[2:3] offset0:22 offset1:23
	ds_store_2addr_b64 v40, v[4:5], v[6:7] offset0:24 offset1:25
	;; [unrolled: 1-line block ×6, first 2 shown]
	v_dual_mov_b32 v0, v142 :: v_dual_mov_b32 v1, v143
	v_dual_mov_b32 v2, v138 :: v_dual_mov_b32 v3, v139
	;; [unrolled: 1-line block ×12, first 2 shown]
	ds_store_2addr_b64 v40, v[0:1], v[2:3] offset0:34 offset1:35
	ds_store_2addr_b64 v40, v[4:5], v[6:7] offset0:36 offset1:37
	;; [unrolled: 1-line block ×6, first 2 shown]
	ds_store_b64 v40, v[188:189] offset:368
	ds_load_b64 v[0:1], v37
	s_wait_dscnt 0x0
	v_cmp_neq_f32_e32 vcc_lo, 0, v0
	v_cmp_neq_f32_e64 s1, 0, v1
	s_or_b32 s1, vcc_lo, s1
	s_delay_alu instid0(SALU_CYCLE_1)
	s_and_b32 exec_lo, exec_lo, s1
	s_cbranch_execz .LBB93_161
; %bb.156:
	v_cmp_ngt_f32_e64 s1, |v0|, |v1|
                                        ; implicit-def: $vgpr2_vgpr3
	s_and_saveexec_b32 s4, s1
	s_delay_alu instid0(SALU_CYCLE_1)
	s_xor_b32 s1, exec_lo, s4
	s_cbranch_execz .LBB93_158
; %bb.157:
	v_div_scale_f32 v2, null, v1, v1, v0
	v_div_scale_f32 v5, vcc_lo, v0, v1, v0
	s_delay_alu instid0(VALU_DEP_2) | instskip(SKIP_1) | instid1(TRANS32_DEP_1)
	v_rcp_f32_e32 v3, v2
	v_nop
	v_fma_f32 v4, -v2, v3, 1.0
	s_delay_alu instid0(VALU_DEP_1) | instskip(NEXT) | instid1(VALU_DEP_1)
	v_fmac_f32_e32 v3, v4, v3
	v_mul_f32_e32 v4, v5, v3
	s_delay_alu instid0(VALU_DEP_1) | instskip(NEXT) | instid1(VALU_DEP_1)
	v_fma_f32 v6, -v2, v4, v5
	v_fmac_f32_e32 v4, v6, v3
	s_delay_alu instid0(VALU_DEP_1) | instskip(NEXT) | instid1(VALU_DEP_1)
	v_fma_f32 v2, -v2, v4, v5
	v_div_fmas_f32 v2, v2, v3, v4
	s_delay_alu instid0(VALU_DEP_1) | instskip(NEXT) | instid1(VALU_DEP_1)
	v_div_fixup_f32 v2, v2, v1, v0
	v_fmac_f32_e32 v1, v0, v2
	s_delay_alu instid0(VALU_DEP_1) | instskip(SKIP_1) | instid1(VALU_DEP_2)
	v_div_scale_f32 v0, null, v1, v1, 1.0
	v_div_scale_f32 v5, vcc_lo, 1.0, v1, 1.0
	v_rcp_f32_e32 v3, v0
	v_nop
	s_delay_alu instid0(TRANS32_DEP_1) | instskip(NEXT) | instid1(VALU_DEP_1)
	v_fma_f32 v4, -v0, v3, 1.0
	v_fmac_f32_e32 v3, v4, v3
	s_delay_alu instid0(VALU_DEP_1) | instskip(NEXT) | instid1(VALU_DEP_1)
	v_mul_f32_e32 v4, v5, v3
	v_fma_f32 v6, -v0, v4, v5
	s_delay_alu instid0(VALU_DEP_1) | instskip(NEXT) | instid1(VALU_DEP_1)
	v_fmac_f32_e32 v4, v6, v3
	v_fma_f32 v0, -v0, v4, v5
	s_delay_alu instid0(VALU_DEP_1) | instskip(NEXT) | instid1(VALU_DEP_1)
	v_div_fmas_f32 v0, v0, v3, v4
	v_div_fixup_f32 v0, v0, v1, 1.0
	s_delay_alu instid0(VALU_DEP_1)
	v_mul_f32_e32 v2, v2, v0
	v_xor_b32_e32 v3, 0x80000000, v0
                                        ; implicit-def: $vgpr0_vgpr1
.LBB93_158:
	s_and_not1_saveexec_b32 s1, s1
	s_cbranch_execz .LBB93_160
; %bb.159:
	v_div_scale_f32 v2, null, v0, v0, v1
	v_div_scale_f32 v5, vcc_lo, v1, v0, v1
	s_delay_alu instid0(VALU_DEP_2) | instskip(SKIP_1) | instid1(TRANS32_DEP_1)
	v_rcp_f32_e32 v3, v2
	v_nop
	v_fma_f32 v4, -v2, v3, 1.0
	s_delay_alu instid0(VALU_DEP_1) | instskip(NEXT) | instid1(VALU_DEP_1)
	v_fmac_f32_e32 v3, v4, v3
	v_mul_f32_e32 v4, v5, v3
	s_delay_alu instid0(VALU_DEP_1) | instskip(NEXT) | instid1(VALU_DEP_1)
	v_fma_f32 v6, -v2, v4, v5
	v_fmac_f32_e32 v4, v6, v3
	s_delay_alu instid0(VALU_DEP_1) | instskip(NEXT) | instid1(VALU_DEP_1)
	v_fma_f32 v2, -v2, v4, v5
	v_div_fmas_f32 v2, v2, v3, v4
	s_delay_alu instid0(VALU_DEP_1) | instskip(NEXT) | instid1(VALU_DEP_1)
	v_div_fixup_f32 v3, v2, v0, v1
	v_fmac_f32_e32 v0, v1, v3
	s_delay_alu instid0(VALU_DEP_1) | instskip(NEXT) | instid1(VALU_DEP_1)
	v_div_scale_f32 v1, null, v0, v0, 1.0
	v_rcp_f32_e32 v2, v1
	v_nop
	s_delay_alu instid0(TRANS32_DEP_1) | instskip(NEXT) | instid1(VALU_DEP_1)
	v_fma_f32 v4, -v1, v2, 1.0
	v_fmac_f32_e32 v2, v4, v2
	v_div_scale_f32 v4, vcc_lo, 1.0, v0, 1.0
	s_delay_alu instid0(VALU_DEP_1) | instskip(NEXT) | instid1(VALU_DEP_1)
	v_mul_f32_e32 v5, v4, v2
	v_fma_f32 v6, -v1, v5, v4
	s_delay_alu instid0(VALU_DEP_1) | instskip(NEXT) | instid1(VALU_DEP_1)
	v_fmac_f32_e32 v5, v6, v2
	v_fma_f32 v1, -v1, v5, v4
	s_delay_alu instid0(VALU_DEP_1) | instskip(NEXT) | instid1(VALU_DEP_1)
	v_div_fmas_f32 v1, v1, v2, v5
	v_div_fixup_f32 v2, v1, v0, 1.0
	s_delay_alu instid0(VALU_DEP_1)
	v_mul_f32_e64 v3, v3, -v2
.LBB93_160:
	s_or_b32 exec_lo, exec_lo, s1
	ds_store_b64 v37, v[2:3]
.LBB93_161:
	s_or_b32 exec_lo, exec_lo, s2
	s_wait_dscnt 0x0
	s_barrier_signal -1
	s_barrier_wait -1
	ds_load_b64 v[224:225], v37
	s_mov_b32 s1, exec_lo
	v_cmpx_lt_u32_e32 17, v36
	s_cbranch_execz .LBB93_163
; %bb.162:
	ds_load_2addr_b64 v[4:7], v40 offset0:18 offset1:19
	s_wait_dscnt 0x1
	v_pk_mul_f32 v[2:3], v[224:225], v[66:67] op_sel:[1,1] op_sel_hi:[0,1]
	s_delay_alu instid0(VALU_DEP_1) | instskip(SKIP_1) | instid1(VALU_DEP_1)
	v_pk_fma_f32 v[0:1], v[224:225], v[66:67], v[2:3] op_sel_hi:[1,0,1] neg_lo:[0,0,1] neg_hi:[0,0,1]
	v_pk_fma_f32 v[2:3], v[224:225], v[66:67], v[2:3] op_sel_hi:[1,0,1]
	v_dual_mov_b32 v66, v0 :: v_dual_mov_b32 v67, v3
	s_wait_dscnt 0x0
	s_delay_alu instid0(VALU_DEP_2) | instskip(NEXT) | instid1(VALU_DEP_1)
	v_pk_mul_f32 v[8:9], v[4:5], v[2:3] op_sel:[0,1]
	v_pk_fma_f32 v[10:11], v[4:5], v[0:1], v[8:9] op_sel:[0,0,1] op_sel_hi:[1,1,0] neg_lo:[0,0,1] neg_hi:[0,0,1]
	v_pk_fma_f32 v[4:5], v[4:5], v[0:1], v[8:9] op_sel:[0,0,1] op_sel_hi:[1,0,0]
	s_delay_alu instid0(VALU_DEP_1) | instskip(SKIP_1) | instid1(VALU_DEP_1)
	v_mov_b32_e32 v11, v5
	v_pk_mul_f32 v[4:5], v[6:7], v[2:3] op_sel:[0,1]
	v_pk_fma_f32 v[8:9], v[6:7], v[0:1], v[4:5] op_sel:[0,0,1] op_sel_hi:[1,1,0] neg_lo:[0,0,1] neg_hi:[0,0,1]
	v_pk_fma_f32 v[4:5], v[6:7], v[0:1], v[4:5] op_sel:[0,0,1] op_sel_hi:[1,0,0]
	s_delay_alu instid0(VALU_DEP_1)
	v_mov_b32_e32 v9, v5
	ds_load_2addr_b64 v[4:7], v40 offset0:20 offset1:21
	v_pk_add_f32 v[68:69], v[68:69], v[10:11] neg_lo:[0,1] neg_hi:[0,1]
	v_pk_add_f32 v[64:65], v[64:65], v[8:9] neg_lo:[0,1] neg_hi:[0,1]
	s_wait_dscnt 0x0
	v_pk_mul_f32 v[8:9], v[4:5], v[2:3] op_sel:[0,1]
	s_delay_alu instid0(VALU_DEP_1) | instskip(SKIP_2) | instid1(VALU_DEP_2)
	v_pk_fma_f32 v[10:11], v[4:5], v[0:1], v[8:9] op_sel:[0,0,1] op_sel_hi:[1,1,0] neg_lo:[0,0,1] neg_hi:[0,0,1]
	v_pk_fma_f32 v[4:5], v[4:5], v[0:1], v[8:9] op_sel:[0,0,1] op_sel_hi:[1,0,0]
	v_dual_mul_f32 v8, v7, v3 :: v_dual_mov_b32 v4, v7
	v_dual_mov_b32 v11, v5 :: v_dual_mov_b32 v5, v6
	s_delay_alu instid0(VALU_DEP_2) | instskip(SKIP_1) | instid1(VALU_DEP_3)
	v_pk_fma_f32 v[8:9], v[6:7], v[66:67], v[8:9] op_sel_hi:[1,1,0] neg_lo:[0,0,1] neg_hi:[0,0,1]
	v_mul_f32_e32 v6, v7, v0
	v_pk_add_f32 v[94:95], v[94:95], v[10:11] neg_lo:[0,1] neg_hi:[0,1]
	s_delay_alu instid0(VALU_DEP_2) | instskip(NEXT) | instid1(VALU_DEP_1)
	v_pk_fma_f32 v[4:5], v[4:5], v[66:67], v[6:7] op_sel_hi:[1,1,0]
	v_mov_b32_e32 v9, v5
	ds_load_2addr_b64 v[4:7], v40 offset0:22 offset1:23
	v_pk_add_f32 v[90:91], v[90:91], v[8:9] neg_lo:[0,1] neg_hi:[0,1]
	s_wait_dscnt 0x0
	v_pk_mul_f32 v[8:9], v[4:5], v[2:3] op_sel:[0,1]
	s_delay_alu instid0(VALU_DEP_1) | instskip(SKIP_1) | instid1(VALU_DEP_1)
	v_pk_fma_f32 v[10:11], v[4:5], v[0:1], v[8:9] op_sel:[0,0,1] op_sel_hi:[1,1,0] neg_lo:[0,0,1] neg_hi:[0,0,1]
	v_pk_fma_f32 v[4:5], v[4:5], v[0:1], v[8:9] op_sel:[0,0,1] op_sel_hi:[1,0,0]
	v_mov_b32_e32 v11, v5
	v_pk_mul_f32 v[4:5], v[6:7], v[2:3] op_sel:[0,1]
	s_delay_alu instid0(VALU_DEP_1) | instskip(SKIP_1) | instid1(VALU_DEP_1)
	v_pk_fma_f32 v[8:9], v[6:7], v[0:1], v[4:5] op_sel:[0,0,1] op_sel_hi:[1,1,0] neg_lo:[0,0,1] neg_hi:[0,0,1]
	v_pk_fma_f32 v[4:5], v[6:7], v[0:1], v[4:5] op_sel:[0,0,1] op_sel_hi:[1,0,0]
	v_mov_b32_e32 v9, v5
	ds_load_2addr_b64 v[4:7], v40 offset0:24 offset1:25
	v_pk_add_f32 v[92:93], v[92:93], v[10:11] neg_lo:[0,1] neg_hi:[0,1]
	v_pk_add_f32 v[88:89], v[88:89], v[8:9] neg_lo:[0,1] neg_hi:[0,1]
	s_wait_dscnt 0x0
	v_pk_mul_f32 v[8:9], v[4:5], v[2:3] op_sel:[0,1]
	s_delay_alu instid0(VALU_DEP_1) | instskip(SKIP_1) | instid1(VALU_DEP_1)
	v_pk_fma_f32 v[10:11], v[4:5], v[0:1], v[8:9] op_sel:[0,0,1] op_sel_hi:[1,1,0] neg_lo:[0,0,1] neg_hi:[0,0,1]
	v_pk_fma_f32 v[4:5], v[4:5], v[0:1], v[8:9] op_sel:[0,0,1] op_sel_hi:[1,0,0]
	v_mov_b32_e32 v11, v5
	v_pk_mul_f32 v[4:5], v[6:7], v[2:3] op_sel:[0,1]
	s_delay_alu instid0(VALU_DEP_1) | instskip(SKIP_1) | instid1(VALU_DEP_1)
	v_pk_fma_f32 v[8:9], v[6:7], v[0:1], v[4:5] op_sel:[0,0,1] op_sel_hi:[1,1,0] neg_lo:[0,0,1] neg_hi:[0,0,1]
	v_pk_fma_f32 v[4:5], v[6:7], v[0:1], v[4:5] op_sel:[0,0,1] op_sel_hi:[1,0,0]
	v_mov_b32_e32 v9, v5
	ds_load_2addr_b64 v[4:7], v40 offset0:26 offset1:27
	v_pk_add_f32 v[112:113], v[112:113], v[10:11] neg_lo:[0,1] neg_hi:[0,1]
	v_pk_add_f32 v[108:109], v[108:109], v[8:9] neg_lo:[0,1] neg_hi:[0,1]
	s_wait_dscnt 0x0
	v_dual_mul_f32 v8, v5, v3 :: v_dual_mul_f32 v10, v5, v0
	s_delay_alu instid0(VALU_DEP_1) | instskip(NEXT) | instid1(VALU_DEP_2)
	v_pk_fma_f32 v[8:9], v[4:5], v[66:67], v[8:9] op_sel_hi:[1,1,0] neg_lo:[0,0,1] neg_hi:[0,0,1]
	v_pk_fma_f32 v[4:5], v[4:5], v[66:67], v[10:11] op_sel:[1,0,0] op_sel_hi:[0,1,0]
	s_delay_alu instid0(VALU_DEP_1) | instskip(SKIP_1) | instid1(VALU_DEP_2)
	v_mov_b32_e32 v9, v5
	v_pk_mul_f32 v[4:5], v[6:7], v[2:3] op_sel:[0,1]
	v_pk_add_f32 v[110:111], v[110:111], v[8:9] neg_lo:[0,1] neg_hi:[0,1]
	s_delay_alu instid0(VALU_DEP_2) | instskip(SKIP_1) | instid1(VALU_DEP_1)
	v_pk_fma_f32 v[8:9], v[6:7], v[0:1], v[4:5] op_sel:[0,0,1] op_sel_hi:[1,1,0] neg_lo:[0,0,1] neg_hi:[0,0,1]
	v_pk_fma_f32 v[4:5], v[6:7], v[0:1], v[4:5] op_sel:[0,0,1] op_sel_hi:[1,0,0]
	v_mov_b32_e32 v9, v5
	ds_load_2addr_b64 v[4:7], v40 offset0:28 offset1:29
	v_pk_add_f32 v[106:107], v[106:107], v[8:9] neg_lo:[0,1] neg_hi:[0,1]
	s_wait_dscnt 0x0
	v_pk_mul_f32 v[8:9], v[4:5], v[2:3] op_sel:[0,1]
	s_delay_alu instid0(VALU_DEP_1) | instskip(SKIP_1) | instid1(VALU_DEP_1)
	v_pk_fma_f32 v[10:11], v[4:5], v[0:1], v[8:9] op_sel:[0,0,1] op_sel_hi:[1,1,0] neg_lo:[0,0,1] neg_hi:[0,0,1]
	v_pk_fma_f32 v[4:5], v[4:5], v[0:1], v[8:9] op_sel:[0,0,1] op_sel_hi:[1,0,0]
	v_mov_b32_e32 v11, v5
	v_pk_mul_f32 v[4:5], v[6:7], v[2:3] op_sel:[0,1]
	s_delay_alu instid0(VALU_DEP_2) | instskip(NEXT) | instid1(VALU_DEP_2)
	v_pk_add_f32 v[128:129], v[128:129], v[10:11] neg_lo:[0,1] neg_hi:[0,1]
	v_pk_fma_f32 v[8:9], v[6:7], v[0:1], v[4:5] op_sel:[0,0,1] op_sel_hi:[1,1,0] neg_lo:[0,0,1] neg_hi:[0,0,1]
	v_pk_fma_f32 v[4:5], v[6:7], v[0:1], v[4:5] op_sel:[0,0,1] op_sel_hi:[1,0,0]
	s_delay_alu instid0(VALU_DEP_1) | instskip(SKIP_4) | instid1(VALU_DEP_1)
	v_mov_b32_e32 v9, v5
	ds_load_2addr_b64 v[4:7], v40 offset0:30 offset1:31
	v_pk_add_f32 v[124:125], v[124:125], v[8:9] neg_lo:[0,1] neg_hi:[0,1]
	s_wait_dscnt 0x0
	v_pk_mul_f32 v[8:9], v[4:5], v[2:3] op_sel:[0,1]
	v_pk_fma_f32 v[10:11], v[4:5], v[0:1], v[8:9] op_sel:[0,0,1] op_sel_hi:[1,1,0] neg_lo:[0,0,1] neg_hi:[0,0,1]
	v_pk_fma_f32 v[4:5], v[4:5], v[0:1], v[8:9] op_sel:[0,0,1] op_sel_hi:[1,0,0]
	v_dual_mul_f32 v8, v7, v3 :: v_dual_mov_b32 v4, v7
	s_delay_alu instid0(VALU_DEP_2) | instskip(NEXT) | instid1(VALU_DEP_2)
	v_dual_mov_b32 v11, v5 :: v_dual_mov_b32 v5, v6
	v_pk_fma_f32 v[8:9], v[6:7], v[66:67], v[8:9] op_sel_hi:[1,1,0] neg_lo:[0,0,1] neg_hi:[0,0,1]
	v_mul_f32_e32 v6, v7, v0
	s_delay_alu instid0(VALU_DEP_3) | instskip(NEXT) | instid1(VALU_DEP_2)
	v_pk_add_f32 v[126:127], v[126:127], v[10:11] neg_lo:[0,1] neg_hi:[0,1]
	v_pk_fma_f32 v[4:5], v[4:5], v[66:67], v[6:7] op_sel_hi:[1,1,0]
	s_delay_alu instid0(VALU_DEP_1) | instskip(SKIP_4) | instid1(VALU_DEP_1)
	v_mov_b32_e32 v9, v5
	ds_load_2addr_b64 v[4:7], v40 offset0:32 offset1:33
	v_pk_add_f32 v[122:123], v[122:123], v[8:9] neg_lo:[0,1] neg_hi:[0,1]
	s_wait_dscnt 0x0
	v_pk_mul_f32 v[8:9], v[4:5], v[2:3] op_sel:[0,1]
	v_pk_fma_f32 v[10:11], v[4:5], v[0:1], v[8:9] op_sel:[0,0,1] op_sel_hi:[1,1,0] neg_lo:[0,0,1] neg_hi:[0,0,1]
	v_pk_fma_f32 v[4:5], v[4:5], v[0:1], v[8:9] op_sel:[0,0,1] op_sel_hi:[1,0,0]
	s_delay_alu instid0(VALU_DEP_1) | instskip(SKIP_1) | instid1(VALU_DEP_1)
	v_mov_b32_e32 v11, v5
	v_pk_mul_f32 v[4:5], v[6:7], v[2:3] op_sel:[0,1]
	v_pk_fma_f32 v[8:9], v[6:7], v[0:1], v[4:5] op_sel:[0,0,1] op_sel_hi:[1,1,0] neg_lo:[0,0,1] neg_hi:[0,0,1]
	v_pk_fma_f32 v[4:5], v[6:7], v[0:1], v[4:5] op_sel:[0,0,1] op_sel_hi:[1,0,0]
	s_delay_alu instid0(VALU_DEP_1)
	v_mov_b32_e32 v9, v5
	ds_load_2addr_b64 v[4:7], v40 offset0:34 offset1:35
	v_pk_add_f32 v[144:145], v[144:145], v[10:11] neg_lo:[0,1] neg_hi:[0,1]
	v_pk_add_f32 v[140:141], v[140:141], v[8:9] neg_lo:[0,1] neg_hi:[0,1]
	s_wait_dscnt 0x0
	v_pk_mul_f32 v[8:9], v[4:5], v[2:3] op_sel:[0,1]
	s_delay_alu instid0(VALU_DEP_1) | instskip(SKIP_1) | instid1(VALU_DEP_1)
	v_pk_fma_f32 v[10:11], v[4:5], v[0:1], v[8:9] op_sel:[0,0,1] op_sel_hi:[1,1,0] neg_lo:[0,0,1] neg_hi:[0,0,1]
	v_pk_fma_f32 v[4:5], v[4:5], v[0:1], v[8:9] op_sel:[0,0,1] op_sel_hi:[1,0,0]
	v_mov_b32_e32 v11, v5
	v_pk_mul_f32 v[4:5], v[6:7], v[2:3] op_sel:[0,1]
	s_delay_alu instid0(VALU_DEP_1) | instskip(SKIP_1) | instid1(VALU_DEP_1)
	v_pk_fma_f32 v[8:9], v[6:7], v[0:1], v[4:5] op_sel:[0,0,1] op_sel_hi:[1,1,0] neg_lo:[0,0,1] neg_hi:[0,0,1]
	v_pk_fma_f32 v[4:5], v[6:7], v[0:1], v[4:5] op_sel:[0,0,1] op_sel_hi:[1,0,0]
	v_mov_b32_e32 v9, v5
	ds_load_2addr_b64 v[4:7], v40 offset0:36 offset1:37
	v_pk_add_f32 v[142:143], v[142:143], v[10:11] neg_lo:[0,1] neg_hi:[0,1]
	v_pk_add_f32 v[138:139], v[138:139], v[8:9] neg_lo:[0,1] neg_hi:[0,1]
	s_wait_dscnt 0x0
	v_dual_mul_f32 v8, v5, v3 :: v_dual_mul_f32 v10, v5, v0
	s_delay_alu instid0(VALU_DEP_1) | instskip(NEXT) | instid1(VALU_DEP_2)
	v_pk_fma_f32 v[8:9], v[4:5], v[66:67], v[8:9] op_sel_hi:[1,1,0] neg_lo:[0,0,1] neg_hi:[0,0,1]
	v_pk_fma_f32 v[4:5], v[4:5], v[66:67], v[10:11] op_sel:[1,0,0] op_sel_hi:[0,1,0]
	s_delay_alu instid0(VALU_DEP_1) | instskip(SKIP_1) | instid1(VALU_DEP_2)
	v_mov_b32_e32 v9, v5
	v_pk_mul_f32 v[4:5], v[6:7], v[2:3] op_sel:[0,1]
	v_pk_add_f32 v[162:163], v[162:163], v[8:9] neg_lo:[0,1] neg_hi:[0,1]
	s_delay_alu instid0(VALU_DEP_2) | instskip(SKIP_1) | instid1(VALU_DEP_1)
	v_pk_fma_f32 v[8:9], v[6:7], v[0:1], v[4:5] op_sel:[0,0,1] op_sel_hi:[1,1,0] neg_lo:[0,0,1] neg_hi:[0,0,1]
	v_pk_fma_f32 v[4:5], v[6:7], v[0:1], v[4:5] op_sel:[0,0,1] op_sel_hi:[1,0,0]
	v_mov_b32_e32 v9, v5
	ds_load_2addr_b64 v[4:7], v40 offset0:38 offset1:39
	v_pk_add_f32 v[158:159], v[158:159], v[8:9] neg_lo:[0,1] neg_hi:[0,1]
	s_wait_dscnt 0x0
	v_pk_mul_f32 v[8:9], v[4:5], v[2:3] op_sel:[0,1]
	s_delay_alu instid0(VALU_DEP_1) | instskip(SKIP_1) | instid1(VALU_DEP_1)
	v_pk_fma_f32 v[10:11], v[4:5], v[0:1], v[8:9] op_sel:[0,0,1] op_sel_hi:[1,1,0] neg_lo:[0,0,1] neg_hi:[0,0,1]
	v_pk_fma_f32 v[4:5], v[4:5], v[0:1], v[8:9] op_sel:[0,0,1] op_sel_hi:[1,0,0]
	v_mov_b32_e32 v11, v5
	v_pk_mul_f32 v[4:5], v[6:7], v[2:3] op_sel:[0,1]
	s_delay_alu instid0(VALU_DEP_2) | instskip(NEXT) | instid1(VALU_DEP_2)
	v_pk_add_f32 v[160:161], v[160:161], v[10:11] neg_lo:[0,1] neg_hi:[0,1]
	v_pk_fma_f32 v[8:9], v[6:7], v[0:1], v[4:5] op_sel:[0,0,1] op_sel_hi:[1,1,0] neg_lo:[0,0,1] neg_hi:[0,0,1]
	v_pk_fma_f32 v[4:5], v[6:7], v[0:1], v[4:5] op_sel:[0,0,1] op_sel_hi:[1,0,0]
	s_delay_alu instid0(VALU_DEP_1) | instskip(SKIP_4) | instid1(VALU_DEP_1)
	v_mov_b32_e32 v9, v5
	ds_load_2addr_b64 v[4:7], v40 offset0:40 offset1:41
	v_pk_add_f32 v[156:157], v[156:157], v[8:9] neg_lo:[0,1] neg_hi:[0,1]
	s_wait_dscnt 0x0
	v_pk_mul_f32 v[8:9], v[4:5], v[2:3] op_sel:[0,1]
	v_pk_fma_f32 v[10:11], v[4:5], v[0:1], v[8:9] op_sel:[0,0,1] op_sel_hi:[1,1,0] neg_lo:[0,0,1] neg_hi:[0,0,1]
	v_pk_fma_f32 v[4:5], v[4:5], v[0:1], v[8:9] op_sel:[0,0,1] op_sel_hi:[1,0,0]
	v_dual_mul_f32 v8, v7, v3 :: v_dual_mov_b32 v4, v7
	s_delay_alu instid0(VALU_DEP_2) | instskip(NEXT) | instid1(VALU_DEP_2)
	v_dual_mov_b32 v11, v5 :: v_dual_mov_b32 v5, v6
	v_pk_fma_f32 v[8:9], v[6:7], v[66:67], v[8:9] op_sel_hi:[1,1,0] neg_lo:[0,0,1] neg_hi:[0,0,1]
	v_mul_f32_e32 v6, v7, v0
	s_delay_alu instid0(VALU_DEP_3) | instskip(NEXT) | instid1(VALU_DEP_2)
	v_pk_add_f32 v[182:183], v[182:183], v[10:11] neg_lo:[0,1] neg_hi:[0,1]
	v_pk_fma_f32 v[4:5], v[4:5], v[66:67], v[6:7] op_sel_hi:[1,1,0]
	s_delay_alu instid0(VALU_DEP_1) | instskip(SKIP_4) | instid1(VALU_DEP_1)
	v_mov_b32_e32 v9, v5
	ds_load_2addr_b64 v[4:7], v40 offset0:42 offset1:43
	v_pk_add_f32 v[176:177], v[176:177], v[8:9] neg_lo:[0,1] neg_hi:[0,1]
	s_wait_dscnt 0x0
	v_pk_mul_f32 v[8:9], v[4:5], v[2:3] op_sel:[0,1]
	v_pk_fma_f32 v[10:11], v[4:5], v[0:1], v[8:9] op_sel:[0,0,1] op_sel_hi:[1,1,0] neg_lo:[0,0,1] neg_hi:[0,0,1]
	v_pk_fma_f32 v[4:5], v[4:5], v[0:1], v[8:9] op_sel:[0,0,1] op_sel_hi:[1,0,0]
	s_delay_alu instid0(VALU_DEP_1) | instskip(SKIP_1) | instid1(VALU_DEP_1)
	v_mov_b32_e32 v11, v5
	v_pk_mul_f32 v[4:5], v[6:7], v[2:3] op_sel:[0,1]
	v_pk_fma_f32 v[8:9], v[6:7], v[0:1], v[4:5] op_sel:[0,0,1] op_sel_hi:[1,1,0] neg_lo:[0,0,1] neg_hi:[0,0,1]
	v_pk_fma_f32 v[4:5], v[6:7], v[0:1], v[4:5] op_sel:[0,0,1] op_sel_hi:[1,0,0]
	s_delay_alu instid0(VALU_DEP_1)
	v_mov_b32_e32 v9, v5
	ds_load_2addr_b64 v[4:7], v40 offset0:44 offset1:45
	v_pk_add_f32 v[180:181], v[180:181], v[10:11] neg_lo:[0,1] neg_hi:[0,1]
	v_pk_add_f32 v[174:175], v[174:175], v[8:9] neg_lo:[0,1] neg_hi:[0,1]
	s_wait_dscnt 0x0
	v_pk_mul_f32 v[8:9], v[4:5], v[2:3] op_sel:[0,1]
	s_delay_alu instid0(VALU_DEP_1) | instskip(SKIP_1) | instid1(VALU_DEP_1)
	v_pk_fma_f32 v[10:11], v[4:5], v[0:1], v[8:9] op_sel:[0,0,1] op_sel_hi:[1,1,0] neg_lo:[0,0,1] neg_hi:[0,0,1]
	v_pk_fma_f32 v[4:5], v[4:5], v[0:1], v[8:9] op_sel:[0,0,1] op_sel_hi:[1,0,0]
	v_mov_b32_e32 v11, v5
	v_pk_mul_f32 v[4:5], v[6:7], v[2:3] op_sel:[0,1]
	s_delay_alu instid0(VALU_DEP_1) | instskip(SKIP_1) | instid1(VALU_DEP_1)
	v_pk_fma_f32 v[8:9], v[6:7], v[0:1], v[4:5] op_sel:[0,0,1] op_sel_hi:[1,1,0] neg_lo:[0,0,1] neg_hi:[0,0,1]
	v_pk_fma_f32 v[4:5], v[6:7], v[0:1], v[4:5] op_sel:[0,0,1] op_sel_hi:[1,0,0]
	v_mov_b32_e32 v9, v5
	ds_load_b64 v[4:5], v40 offset:368
	v_pk_add_f32 v[178:179], v[178:179], v[10:11] neg_lo:[0,1] neg_hi:[0,1]
	v_pk_add_f32 v[186:187], v[186:187], v[8:9] neg_lo:[0,1] neg_hi:[0,1]
	s_wait_dscnt 0x0
	v_pk_mul_f32 v[2:3], v[4:5], v[2:3] op_sel:[0,1]
	s_delay_alu instid0(VALU_DEP_1) | instskip(SKIP_1) | instid1(VALU_DEP_1)
	v_pk_fma_f32 v[6:7], v[4:5], v[0:1], v[2:3] op_sel:[0,0,1] op_sel_hi:[1,1,0] neg_lo:[0,0,1] neg_hi:[0,0,1]
	v_pk_fma_f32 v[0:1], v[4:5], v[0:1], v[2:3] op_sel:[0,0,1] op_sel_hi:[1,0,0]
	v_mov_b32_e32 v7, v1
	s_delay_alu instid0(VALU_DEP_1)
	v_pk_add_f32 v[188:189], v[188:189], v[6:7] neg_lo:[0,1] neg_hi:[0,1]
.LBB93_163:
	s_or_b32 exec_lo, exec_lo, s1
	s_delay_alu instid0(SALU_CYCLE_1)
	s_mov_b32 s2, exec_lo
	s_wait_dscnt 0x0
	s_barrier_signal -1
	s_barrier_wait -1
	v_cmpx_eq_u32_e32 18, v36
	s_cbranch_execz .LBB93_170
; %bb.164:
	ds_store_b64 v37, v[68:69]
	ds_store_2addr_b64 v40, v[64:65], v[94:95] offset0:19 offset1:20
	ds_store_2addr_b64 v40, v[90:91], v[92:93] offset0:21 offset1:22
	;; [unrolled: 1-line block ×14, first 2 shown]
	ds_load_b64 v[0:1], v37
	s_wait_dscnt 0x0
	v_cmp_neq_f32_e32 vcc_lo, 0, v0
	v_cmp_neq_f32_e64 s1, 0, v1
	s_or_b32 s1, vcc_lo, s1
	s_delay_alu instid0(SALU_CYCLE_1)
	s_and_b32 exec_lo, exec_lo, s1
	s_cbranch_execz .LBB93_170
; %bb.165:
	v_cmp_ngt_f32_e64 s1, |v0|, |v1|
                                        ; implicit-def: $vgpr2_vgpr3
	s_and_saveexec_b32 s4, s1
	s_delay_alu instid0(SALU_CYCLE_1)
	s_xor_b32 s1, exec_lo, s4
	s_cbranch_execz .LBB93_167
; %bb.166:
	v_div_scale_f32 v2, null, v1, v1, v0
	v_div_scale_f32 v5, vcc_lo, v0, v1, v0
	s_delay_alu instid0(VALU_DEP_2) | instskip(SKIP_1) | instid1(TRANS32_DEP_1)
	v_rcp_f32_e32 v3, v2
	v_nop
	v_fma_f32 v4, -v2, v3, 1.0
	s_delay_alu instid0(VALU_DEP_1) | instskip(NEXT) | instid1(VALU_DEP_1)
	v_fmac_f32_e32 v3, v4, v3
	v_mul_f32_e32 v4, v5, v3
	s_delay_alu instid0(VALU_DEP_1) | instskip(NEXT) | instid1(VALU_DEP_1)
	v_fma_f32 v6, -v2, v4, v5
	v_fmac_f32_e32 v4, v6, v3
	s_delay_alu instid0(VALU_DEP_1) | instskip(NEXT) | instid1(VALU_DEP_1)
	v_fma_f32 v2, -v2, v4, v5
	v_div_fmas_f32 v2, v2, v3, v4
	s_delay_alu instid0(VALU_DEP_1) | instskip(NEXT) | instid1(VALU_DEP_1)
	v_div_fixup_f32 v2, v2, v1, v0
	v_fmac_f32_e32 v1, v0, v2
	s_delay_alu instid0(VALU_DEP_1) | instskip(SKIP_1) | instid1(VALU_DEP_2)
	v_div_scale_f32 v0, null, v1, v1, 1.0
	v_div_scale_f32 v5, vcc_lo, 1.0, v1, 1.0
	v_rcp_f32_e32 v3, v0
	v_nop
	s_delay_alu instid0(TRANS32_DEP_1) | instskip(NEXT) | instid1(VALU_DEP_1)
	v_fma_f32 v4, -v0, v3, 1.0
	v_fmac_f32_e32 v3, v4, v3
	s_delay_alu instid0(VALU_DEP_1) | instskip(NEXT) | instid1(VALU_DEP_1)
	v_mul_f32_e32 v4, v5, v3
	v_fma_f32 v6, -v0, v4, v5
	s_delay_alu instid0(VALU_DEP_1) | instskip(NEXT) | instid1(VALU_DEP_1)
	v_fmac_f32_e32 v4, v6, v3
	v_fma_f32 v0, -v0, v4, v5
	s_delay_alu instid0(VALU_DEP_1) | instskip(NEXT) | instid1(VALU_DEP_1)
	v_div_fmas_f32 v0, v0, v3, v4
	v_div_fixup_f32 v0, v0, v1, 1.0
	s_delay_alu instid0(VALU_DEP_1)
	v_mul_f32_e32 v2, v2, v0
	v_xor_b32_e32 v3, 0x80000000, v0
                                        ; implicit-def: $vgpr0_vgpr1
.LBB93_167:
	s_and_not1_saveexec_b32 s1, s1
	s_cbranch_execz .LBB93_169
; %bb.168:
	v_div_scale_f32 v2, null, v0, v0, v1
	v_div_scale_f32 v5, vcc_lo, v1, v0, v1
	s_delay_alu instid0(VALU_DEP_2) | instskip(SKIP_1) | instid1(TRANS32_DEP_1)
	v_rcp_f32_e32 v3, v2
	v_nop
	v_fma_f32 v4, -v2, v3, 1.0
	s_delay_alu instid0(VALU_DEP_1) | instskip(NEXT) | instid1(VALU_DEP_1)
	v_fmac_f32_e32 v3, v4, v3
	v_mul_f32_e32 v4, v5, v3
	s_delay_alu instid0(VALU_DEP_1) | instskip(NEXT) | instid1(VALU_DEP_1)
	v_fma_f32 v6, -v2, v4, v5
	v_fmac_f32_e32 v4, v6, v3
	s_delay_alu instid0(VALU_DEP_1) | instskip(NEXT) | instid1(VALU_DEP_1)
	v_fma_f32 v2, -v2, v4, v5
	v_div_fmas_f32 v2, v2, v3, v4
	s_delay_alu instid0(VALU_DEP_1) | instskip(NEXT) | instid1(VALU_DEP_1)
	v_div_fixup_f32 v3, v2, v0, v1
	v_fmac_f32_e32 v0, v1, v3
	s_delay_alu instid0(VALU_DEP_1) | instskip(NEXT) | instid1(VALU_DEP_1)
	v_div_scale_f32 v1, null, v0, v0, 1.0
	v_rcp_f32_e32 v2, v1
	v_nop
	s_delay_alu instid0(TRANS32_DEP_1) | instskip(NEXT) | instid1(VALU_DEP_1)
	v_fma_f32 v4, -v1, v2, 1.0
	v_fmac_f32_e32 v2, v4, v2
	v_div_scale_f32 v4, vcc_lo, 1.0, v0, 1.0
	s_delay_alu instid0(VALU_DEP_1) | instskip(NEXT) | instid1(VALU_DEP_1)
	v_mul_f32_e32 v5, v4, v2
	v_fma_f32 v6, -v1, v5, v4
	s_delay_alu instid0(VALU_DEP_1) | instskip(NEXT) | instid1(VALU_DEP_1)
	v_fmac_f32_e32 v5, v6, v2
	v_fma_f32 v1, -v1, v5, v4
	s_delay_alu instid0(VALU_DEP_1) | instskip(NEXT) | instid1(VALU_DEP_1)
	v_div_fmas_f32 v1, v1, v2, v5
	v_div_fixup_f32 v2, v1, v0, 1.0
	s_delay_alu instid0(VALU_DEP_1)
	v_mul_f32_e64 v3, v3, -v2
.LBB93_169:
	s_or_b32 exec_lo, exec_lo, s1
	ds_store_b64 v37, v[2:3]
.LBB93_170:
	s_or_b32 exec_lo, exec_lo, s2
	s_wait_dscnt 0x0
	s_barrier_signal -1
	s_barrier_wait -1
	ds_load_b64 v[226:227], v37
	s_mov_b32 s1, exec_lo
	v_cmpx_lt_u32_e32 18, v36
	s_cbranch_execz .LBB93_172
; %bb.171:
	ds_load_2addr_b64 v[4:7], v40 offset0:19 offset1:20
	s_wait_dscnt 0x1
	v_pk_mul_f32 v[2:3], v[226:227], v[68:69] op_sel:[1,1] op_sel_hi:[0,1]
	s_delay_alu instid0(VALU_DEP_1) | instskip(SKIP_1) | instid1(VALU_DEP_1)
	v_pk_fma_f32 v[0:1], v[226:227], v[68:69], v[2:3] op_sel_hi:[1,0,1] neg_lo:[0,0,1] neg_hi:[0,0,1]
	v_pk_fma_f32 v[2:3], v[226:227], v[68:69], v[2:3] op_sel_hi:[1,0,1]
	v_dual_mov_b32 v68, v0 :: v_dual_mov_b32 v69, v3
	s_wait_dscnt 0x0
	s_delay_alu instid0(VALU_DEP_2) | instskip(NEXT) | instid1(VALU_DEP_1)
	v_pk_mul_f32 v[8:9], v[4:5], v[2:3] op_sel:[0,1]
	v_pk_fma_f32 v[10:11], v[4:5], v[0:1], v[8:9] op_sel:[0,0,1] op_sel_hi:[1,1,0] neg_lo:[0,0,1] neg_hi:[0,0,1]
	v_pk_fma_f32 v[4:5], v[4:5], v[0:1], v[8:9] op_sel:[0,0,1] op_sel_hi:[1,0,0]
	s_delay_alu instid0(VALU_DEP_1) | instskip(SKIP_1) | instid1(VALU_DEP_1)
	v_mov_b32_e32 v11, v5
	v_pk_mul_f32 v[4:5], v[6:7], v[2:3] op_sel:[0,1]
	v_pk_fma_f32 v[8:9], v[6:7], v[0:1], v[4:5] op_sel:[0,0,1] op_sel_hi:[1,1,0] neg_lo:[0,0,1] neg_hi:[0,0,1]
	v_pk_fma_f32 v[4:5], v[6:7], v[0:1], v[4:5] op_sel:[0,0,1] op_sel_hi:[1,0,0]
	s_delay_alu instid0(VALU_DEP_1)
	v_mov_b32_e32 v9, v5
	ds_load_2addr_b64 v[4:7], v40 offset0:21 offset1:22
	v_pk_add_f32 v[64:65], v[64:65], v[10:11] neg_lo:[0,1] neg_hi:[0,1]
	v_pk_add_f32 v[94:95], v[94:95], v[8:9] neg_lo:[0,1] neg_hi:[0,1]
	s_wait_dscnt 0x0
	v_pk_mul_f32 v[8:9], v[4:5], v[2:3] op_sel:[0,1]
	s_delay_alu instid0(VALU_DEP_1) | instskip(SKIP_2) | instid1(VALU_DEP_2)
	v_pk_fma_f32 v[10:11], v[4:5], v[0:1], v[8:9] op_sel:[0,0,1] op_sel_hi:[1,1,0] neg_lo:[0,0,1] neg_hi:[0,0,1]
	v_pk_fma_f32 v[4:5], v[4:5], v[0:1], v[8:9] op_sel:[0,0,1] op_sel_hi:[1,0,0]
	v_dual_mul_f32 v8, v7, v3 :: v_dual_mov_b32 v4, v7
	v_dual_mov_b32 v11, v5 :: v_dual_mov_b32 v5, v6
	s_delay_alu instid0(VALU_DEP_2) | instskip(SKIP_1) | instid1(VALU_DEP_3)
	v_pk_fma_f32 v[8:9], v[6:7], v[68:69], v[8:9] op_sel_hi:[1,1,0] neg_lo:[0,0,1] neg_hi:[0,0,1]
	v_mul_f32_e32 v6, v7, v0
	v_pk_add_f32 v[90:91], v[90:91], v[10:11] neg_lo:[0,1] neg_hi:[0,1]
	s_delay_alu instid0(VALU_DEP_2) | instskip(NEXT) | instid1(VALU_DEP_1)
	v_pk_fma_f32 v[4:5], v[4:5], v[68:69], v[6:7] op_sel_hi:[1,1,0]
	v_mov_b32_e32 v9, v5
	ds_load_2addr_b64 v[4:7], v40 offset0:23 offset1:24
	v_pk_add_f32 v[92:93], v[92:93], v[8:9] neg_lo:[0,1] neg_hi:[0,1]
	s_wait_dscnt 0x0
	v_pk_mul_f32 v[8:9], v[4:5], v[2:3] op_sel:[0,1]
	s_delay_alu instid0(VALU_DEP_1) | instskip(SKIP_1) | instid1(VALU_DEP_1)
	v_pk_fma_f32 v[10:11], v[4:5], v[0:1], v[8:9] op_sel:[0,0,1] op_sel_hi:[1,1,0] neg_lo:[0,0,1] neg_hi:[0,0,1]
	v_pk_fma_f32 v[4:5], v[4:5], v[0:1], v[8:9] op_sel:[0,0,1] op_sel_hi:[1,0,0]
	v_mov_b32_e32 v11, v5
	v_pk_mul_f32 v[4:5], v[6:7], v[2:3] op_sel:[0,1]
	s_delay_alu instid0(VALU_DEP_1) | instskip(SKIP_1) | instid1(VALU_DEP_1)
	v_pk_fma_f32 v[8:9], v[6:7], v[0:1], v[4:5] op_sel:[0,0,1] op_sel_hi:[1,1,0] neg_lo:[0,0,1] neg_hi:[0,0,1]
	v_pk_fma_f32 v[4:5], v[6:7], v[0:1], v[4:5] op_sel:[0,0,1] op_sel_hi:[1,0,0]
	v_mov_b32_e32 v9, v5
	ds_load_2addr_b64 v[4:7], v40 offset0:25 offset1:26
	v_pk_add_f32 v[88:89], v[88:89], v[10:11] neg_lo:[0,1] neg_hi:[0,1]
	v_pk_add_f32 v[112:113], v[112:113], v[8:9] neg_lo:[0,1] neg_hi:[0,1]
	s_wait_dscnt 0x0
	v_pk_mul_f32 v[8:9], v[4:5], v[2:3] op_sel:[0,1]
	s_delay_alu instid0(VALU_DEP_1) | instskip(SKIP_1) | instid1(VALU_DEP_1)
	v_pk_fma_f32 v[10:11], v[4:5], v[0:1], v[8:9] op_sel:[0,0,1] op_sel_hi:[1,1,0] neg_lo:[0,0,1] neg_hi:[0,0,1]
	v_pk_fma_f32 v[4:5], v[4:5], v[0:1], v[8:9] op_sel:[0,0,1] op_sel_hi:[1,0,0]
	v_mov_b32_e32 v11, v5
	v_pk_mul_f32 v[4:5], v[6:7], v[2:3] op_sel:[0,1]
	s_delay_alu instid0(VALU_DEP_1) | instskip(SKIP_1) | instid1(VALU_DEP_1)
	v_pk_fma_f32 v[8:9], v[6:7], v[0:1], v[4:5] op_sel:[0,0,1] op_sel_hi:[1,1,0] neg_lo:[0,0,1] neg_hi:[0,0,1]
	v_pk_fma_f32 v[4:5], v[6:7], v[0:1], v[4:5] op_sel:[0,0,1] op_sel_hi:[1,0,0]
	v_mov_b32_e32 v9, v5
	ds_load_2addr_b64 v[4:7], v40 offset0:27 offset1:28
	v_pk_add_f32 v[108:109], v[108:109], v[10:11] neg_lo:[0,1] neg_hi:[0,1]
	v_pk_add_f32 v[110:111], v[110:111], v[8:9] neg_lo:[0,1] neg_hi:[0,1]
	s_wait_dscnt 0x0
	v_dual_mul_f32 v8, v5, v3 :: v_dual_mul_f32 v10, v5, v0
	s_delay_alu instid0(VALU_DEP_1) | instskip(NEXT) | instid1(VALU_DEP_2)
	v_pk_fma_f32 v[8:9], v[4:5], v[68:69], v[8:9] op_sel_hi:[1,1,0] neg_lo:[0,0,1] neg_hi:[0,0,1]
	v_pk_fma_f32 v[4:5], v[4:5], v[68:69], v[10:11] op_sel:[1,0,0] op_sel_hi:[0,1,0]
	s_delay_alu instid0(VALU_DEP_1) | instskip(SKIP_1) | instid1(VALU_DEP_2)
	v_mov_b32_e32 v9, v5
	v_pk_mul_f32 v[4:5], v[6:7], v[2:3] op_sel:[0,1]
	v_pk_add_f32 v[106:107], v[106:107], v[8:9] neg_lo:[0,1] neg_hi:[0,1]
	s_delay_alu instid0(VALU_DEP_2) | instskip(SKIP_1) | instid1(VALU_DEP_1)
	v_pk_fma_f32 v[8:9], v[6:7], v[0:1], v[4:5] op_sel:[0,0,1] op_sel_hi:[1,1,0] neg_lo:[0,0,1] neg_hi:[0,0,1]
	v_pk_fma_f32 v[4:5], v[6:7], v[0:1], v[4:5] op_sel:[0,0,1] op_sel_hi:[1,0,0]
	v_mov_b32_e32 v9, v5
	ds_load_2addr_b64 v[4:7], v40 offset0:29 offset1:30
	v_pk_add_f32 v[128:129], v[128:129], v[8:9] neg_lo:[0,1] neg_hi:[0,1]
	s_wait_dscnt 0x0
	v_pk_mul_f32 v[8:9], v[4:5], v[2:3] op_sel:[0,1]
	s_delay_alu instid0(VALU_DEP_1) | instskip(SKIP_1) | instid1(VALU_DEP_1)
	v_pk_fma_f32 v[10:11], v[4:5], v[0:1], v[8:9] op_sel:[0,0,1] op_sel_hi:[1,1,0] neg_lo:[0,0,1] neg_hi:[0,0,1]
	v_pk_fma_f32 v[4:5], v[4:5], v[0:1], v[8:9] op_sel:[0,0,1] op_sel_hi:[1,0,0]
	v_mov_b32_e32 v11, v5
	v_pk_mul_f32 v[4:5], v[6:7], v[2:3] op_sel:[0,1]
	s_delay_alu instid0(VALU_DEP_2) | instskip(NEXT) | instid1(VALU_DEP_2)
	v_pk_add_f32 v[124:125], v[124:125], v[10:11] neg_lo:[0,1] neg_hi:[0,1]
	v_pk_fma_f32 v[8:9], v[6:7], v[0:1], v[4:5] op_sel:[0,0,1] op_sel_hi:[1,1,0] neg_lo:[0,0,1] neg_hi:[0,0,1]
	v_pk_fma_f32 v[4:5], v[6:7], v[0:1], v[4:5] op_sel:[0,0,1] op_sel_hi:[1,0,0]
	s_delay_alu instid0(VALU_DEP_1) | instskip(SKIP_4) | instid1(VALU_DEP_1)
	v_mov_b32_e32 v9, v5
	ds_load_2addr_b64 v[4:7], v40 offset0:31 offset1:32
	v_pk_add_f32 v[126:127], v[126:127], v[8:9] neg_lo:[0,1] neg_hi:[0,1]
	s_wait_dscnt 0x0
	v_pk_mul_f32 v[8:9], v[4:5], v[2:3] op_sel:[0,1]
	v_pk_fma_f32 v[10:11], v[4:5], v[0:1], v[8:9] op_sel:[0,0,1] op_sel_hi:[1,1,0] neg_lo:[0,0,1] neg_hi:[0,0,1]
	v_pk_fma_f32 v[4:5], v[4:5], v[0:1], v[8:9] op_sel:[0,0,1] op_sel_hi:[1,0,0]
	v_dual_mul_f32 v8, v7, v3 :: v_dual_mov_b32 v4, v7
	s_delay_alu instid0(VALU_DEP_2) | instskip(NEXT) | instid1(VALU_DEP_2)
	v_dual_mov_b32 v11, v5 :: v_dual_mov_b32 v5, v6
	v_pk_fma_f32 v[8:9], v[6:7], v[68:69], v[8:9] op_sel_hi:[1,1,0] neg_lo:[0,0,1] neg_hi:[0,0,1]
	v_mul_f32_e32 v6, v7, v0
	s_delay_alu instid0(VALU_DEP_3) | instskip(NEXT) | instid1(VALU_DEP_2)
	v_pk_add_f32 v[122:123], v[122:123], v[10:11] neg_lo:[0,1] neg_hi:[0,1]
	v_pk_fma_f32 v[4:5], v[4:5], v[68:69], v[6:7] op_sel_hi:[1,1,0]
	s_delay_alu instid0(VALU_DEP_1) | instskip(SKIP_4) | instid1(VALU_DEP_1)
	v_mov_b32_e32 v9, v5
	ds_load_2addr_b64 v[4:7], v40 offset0:33 offset1:34
	v_pk_add_f32 v[144:145], v[144:145], v[8:9] neg_lo:[0,1] neg_hi:[0,1]
	s_wait_dscnt 0x0
	v_pk_mul_f32 v[8:9], v[4:5], v[2:3] op_sel:[0,1]
	v_pk_fma_f32 v[10:11], v[4:5], v[0:1], v[8:9] op_sel:[0,0,1] op_sel_hi:[1,1,0] neg_lo:[0,0,1] neg_hi:[0,0,1]
	v_pk_fma_f32 v[4:5], v[4:5], v[0:1], v[8:9] op_sel:[0,0,1] op_sel_hi:[1,0,0]
	s_delay_alu instid0(VALU_DEP_1) | instskip(SKIP_1) | instid1(VALU_DEP_1)
	v_mov_b32_e32 v11, v5
	v_pk_mul_f32 v[4:5], v[6:7], v[2:3] op_sel:[0,1]
	v_pk_fma_f32 v[8:9], v[6:7], v[0:1], v[4:5] op_sel:[0,0,1] op_sel_hi:[1,1,0] neg_lo:[0,0,1] neg_hi:[0,0,1]
	v_pk_fma_f32 v[4:5], v[6:7], v[0:1], v[4:5] op_sel:[0,0,1] op_sel_hi:[1,0,0]
	s_delay_alu instid0(VALU_DEP_1)
	v_mov_b32_e32 v9, v5
	ds_load_2addr_b64 v[4:7], v40 offset0:35 offset1:36
	v_pk_add_f32 v[140:141], v[140:141], v[10:11] neg_lo:[0,1] neg_hi:[0,1]
	v_pk_add_f32 v[142:143], v[142:143], v[8:9] neg_lo:[0,1] neg_hi:[0,1]
	s_wait_dscnt 0x0
	v_pk_mul_f32 v[8:9], v[4:5], v[2:3] op_sel:[0,1]
	s_delay_alu instid0(VALU_DEP_1) | instskip(SKIP_1) | instid1(VALU_DEP_1)
	v_pk_fma_f32 v[10:11], v[4:5], v[0:1], v[8:9] op_sel:[0,0,1] op_sel_hi:[1,1,0] neg_lo:[0,0,1] neg_hi:[0,0,1]
	v_pk_fma_f32 v[4:5], v[4:5], v[0:1], v[8:9] op_sel:[0,0,1] op_sel_hi:[1,0,0]
	v_mov_b32_e32 v11, v5
	v_pk_mul_f32 v[4:5], v[6:7], v[2:3] op_sel:[0,1]
	s_delay_alu instid0(VALU_DEP_1) | instskip(SKIP_1) | instid1(VALU_DEP_1)
	v_pk_fma_f32 v[8:9], v[6:7], v[0:1], v[4:5] op_sel:[0,0,1] op_sel_hi:[1,1,0] neg_lo:[0,0,1] neg_hi:[0,0,1]
	v_pk_fma_f32 v[4:5], v[6:7], v[0:1], v[4:5] op_sel:[0,0,1] op_sel_hi:[1,0,0]
	v_mov_b32_e32 v9, v5
	ds_load_2addr_b64 v[4:7], v40 offset0:37 offset1:38
	v_pk_add_f32 v[138:139], v[138:139], v[10:11] neg_lo:[0,1] neg_hi:[0,1]
	v_pk_add_f32 v[162:163], v[162:163], v[8:9] neg_lo:[0,1] neg_hi:[0,1]
	s_wait_dscnt 0x0
	v_dual_mul_f32 v8, v5, v3 :: v_dual_mul_f32 v10, v5, v0
	s_delay_alu instid0(VALU_DEP_1) | instskip(NEXT) | instid1(VALU_DEP_2)
	v_pk_fma_f32 v[8:9], v[4:5], v[68:69], v[8:9] op_sel_hi:[1,1,0] neg_lo:[0,0,1] neg_hi:[0,0,1]
	v_pk_fma_f32 v[4:5], v[4:5], v[68:69], v[10:11] op_sel:[1,0,0] op_sel_hi:[0,1,0]
	s_delay_alu instid0(VALU_DEP_1) | instskip(SKIP_1) | instid1(VALU_DEP_2)
	v_mov_b32_e32 v9, v5
	v_pk_mul_f32 v[4:5], v[6:7], v[2:3] op_sel:[0,1]
	v_pk_add_f32 v[158:159], v[158:159], v[8:9] neg_lo:[0,1] neg_hi:[0,1]
	s_delay_alu instid0(VALU_DEP_2) | instskip(SKIP_1) | instid1(VALU_DEP_1)
	v_pk_fma_f32 v[8:9], v[6:7], v[0:1], v[4:5] op_sel:[0,0,1] op_sel_hi:[1,1,0] neg_lo:[0,0,1] neg_hi:[0,0,1]
	v_pk_fma_f32 v[4:5], v[6:7], v[0:1], v[4:5] op_sel:[0,0,1] op_sel_hi:[1,0,0]
	v_mov_b32_e32 v9, v5
	ds_load_2addr_b64 v[4:7], v40 offset0:39 offset1:40
	v_pk_add_f32 v[160:161], v[160:161], v[8:9] neg_lo:[0,1] neg_hi:[0,1]
	s_wait_dscnt 0x0
	v_pk_mul_f32 v[8:9], v[4:5], v[2:3] op_sel:[0,1]
	s_delay_alu instid0(VALU_DEP_1) | instskip(SKIP_1) | instid1(VALU_DEP_1)
	v_pk_fma_f32 v[10:11], v[4:5], v[0:1], v[8:9] op_sel:[0,0,1] op_sel_hi:[1,1,0] neg_lo:[0,0,1] neg_hi:[0,0,1]
	v_pk_fma_f32 v[4:5], v[4:5], v[0:1], v[8:9] op_sel:[0,0,1] op_sel_hi:[1,0,0]
	v_mov_b32_e32 v11, v5
	v_pk_mul_f32 v[4:5], v[6:7], v[2:3] op_sel:[0,1]
	s_delay_alu instid0(VALU_DEP_2) | instskip(NEXT) | instid1(VALU_DEP_2)
	v_pk_add_f32 v[156:157], v[156:157], v[10:11] neg_lo:[0,1] neg_hi:[0,1]
	v_pk_fma_f32 v[8:9], v[6:7], v[0:1], v[4:5] op_sel:[0,0,1] op_sel_hi:[1,1,0] neg_lo:[0,0,1] neg_hi:[0,0,1]
	v_pk_fma_f32 v[4:5], v[6:7], v[0:1], v[4:5] op_sel:[0,0,1] op_sel_hi:[1,0,0]
	s_delay_alu instid0(VALU_DEP_1) | instskip(SKIP_4) | instid1(VALU_DEP_1)
	v_mov_b32_e32 v9, v5
	ds_load_2addr_b64 v[4:7], v40 offset0:41 offset1:42
	v_pk_add_f32 v[182:183], v[182:183], v[8:9] neg_lo:[0,1] neg_hi:[0,1]
	s_wait_dscnt 0x0
	v_pk_mul_f32 v[8:9], v[4:5], v[2:3] op_sel:[0,1]
	v_pk_fma_f32 v[10:11], v[4:5], v[0:1], v[8:9] op_sel:[0,0,1] op_sel_hi:[1,1,0] neg_lo:[0,0,1] neg_hi:[0,0,1]
	v_pk_fma_f32 v[4:5], v[4:5], v[0:1], v[8:9] op_sel:[0,0,1] op_sel_hi:[1,0,0]
	v_dual_mul_f32 v8, v7, v3 :: v_dual_mov_b32 v4, v7
	s_delay_alu instid0(VALU_DEP_2) | instskip(NEXT) | instid1(VALU_DEP_2)
	v_dual_mov_b32 v11, v5 :: v_dual_mov_b32 v5, v6
	v_pk_fma_f32 v[8:9], v[6:7], v[68:69], v[8:9] op_sel_hi:[1,1,0] neg_lo:[0,0,1] neg_hi:[0,0,1]
	v_mul_f32_e32 v6, v7, v0
	s_delay_alu instid0(VALU_DEP_3) | instskip(NEXT) | instid1(VALU_DEP_2)
	v_pk_add_f32 v[176:177], v[176:177], v[10:11] neg_lo:[0,1] neg_hi:[0,1]
	v_pk_fma_f32 v[4:5], v[4:5], v[68:69], v[6:7] op_sel_hi:[1,1,0]
	s_delay_alu instid0(VALU_DEP_1) | instskip(SKIP_4) | instid1(VALU_DEP_1)
	v_mov_b32_e32 v9, v5
	ds_load_2addr_b64 v[4:7], v40 offset0:43 offset1:44
	v_pk_add_f32 v[180:181], v[180:181], v[8:9] neg_lo:[0,1] neg_hi:[0,1]
	s_wait_dscnt 0x0
	v_pk_mul_f32 v[8:9], v[4:5], v[2:3] op_sel:[0,1]
	v_pk_fma_f32 v[10:11], v[4:5], v[0:1], v[8:9] op_sel:[0,0,1] op_sel_hi:[1,1,0] neg_lo:[0,0,1] neg_hi:[0,0,1]
	v_pk_fma_f32 v[4:5], v[4:5], v[0:1], v[8:9] op_sel:[0,0,1] op_sel_hi:[1,0,0]
	s_delay_alu instid0(VALU_DEP_1) | instskip(SKIP_1) | instid1(VALU_DEP_1)
	v_mov_b32_e32 v11, v5
	v_pk_mul_f32 v[4:5], v[6:7], v[2:3] op_sel:[0,1]
	v_pk_fma_f32 v[8:9], v[6:7], v[0:1], v[4:5] op_sel:[0,0,1] op_sel_hi:[1,1,0] neg_lo:[0,0,1] neg_hi:[0,0,1]
	v_pk_fma_f32 v[4:5], v[6:7], v[0:1], v[4:5] op_sel:[0,0,1] op_sel_hi:[1,0,0]
	s_delay_alu instid0(VALU_DEP_1)
	v_mov_b32_e32 v9, v5
	ds_load_2addr_b64 v[4:7], v40 offset0:45 offset1:46
	v_pk_add_f32 v[174:175], v[174:175], v[10:11] neg_lo:[0,1] neg_hi:[0,1]
	v_pk_add_f32 v[178:179], v[178:179], v[8:9] neg_lo:[0,1] neg_hi:[0,1]
	s_wait_dscnt 0x0
	v_pk_mul_f32 v[8:9], v[4:5], v[2:3] op_sel:[0,1]
	v_pk_mul_f32 v[2:3], v[6:7], v[2:3] op_sel:[0,1]
	s_delay_alu instid0(VALU_DEP_2) | instskip(SKIP_1) | instid1(VALU_DEP_1)
	v_pk_fma_f32 v[10:11], v[4:5], v[0:1], v[8:9] op_sel:[0,0,1] op_sel_hi:[1,1,0] neg_lo:[0,0,1] neg_hi:[0,0,1]
	v_pk_fma_f32 v[4:5], v[4:5], v[0:1], v[8:9] op_sel:[0,0,1] op_sel_hi:[1,0,0]
	v_mov_b32_e32 v11, v5
	s_delay_alu instid0(VALU_DEP_4) | instskip(SKIP_1) | instid1(VALU_DEP_1)
	v_pk_fma_f32 v[4:5], v[6:7], v[0:1], v[2:3] op_sel:[0,0,1] op_sel_hi:[1,1,0] neg_lo:[0,0,1] neg_hi:[0,0,1]
	v_pk_fma_f32 v[0:1], v[6:7], v[0:1], v[2:3] op_sel:[0,0,1] op_sel_hi:[1,0,0]
	v_mov_b32_e32 v5, v1
	s_delay_alu instid0(VALU_DEP_4) | instskip(NEXT) | instid1(VALU_DEP_2)
	v_pk_add_f32 v[186:187], v[186:187], v[10:11] neg_lo:[0,1] neg_hi:[0,1]
	v_pk_add_f32 v[188:189], v[188:189], v[4:5] neg_lo:[0,1] neg_hi:[0,1]
.LBB93_172:
	s_or_b32 exec_lo, exec_lo, s1
	s_delay_alu instid0(SALU_CYCLE_1)
	s_mov_b32 s2, exec_lo
	s_wait_dscnt 0x0
	s_barrier_signal -1
	s_barrier_wait -1
	v_cmpx_eq_u32_e32 19, v36
	s_cbranch_execz .LBB93_179
; %bb.173:
	v_dual_mov_b32 v0, v94 :: v_dual_mov_b32 v1, v95
	v_dual_mov_b32 v2, v90 :: v_dual_mov_b32 v3, v91
	v_dual_mov_b32 v4, v92 :: v_dual_mov_b32 v5, v93
	v_dual_mov_b32 v6, v88 :: v_dual_mov_b32 v7, v89
	ds_store_b64 v37, v[64:65]
	ds_store_2addr_b64 v40, v[0:1], v[2:3] offset0:20 offset1:21
	ds_store_2addr_b64 v40, v[4:5], v[6:7] offset0:22 offset1:23
	v_dual_mov_b32 v0, v112 :: v_dual_mov_b32 v1, v113
	v_dual_mov_b32 v2, v108 :: v_dual_mov_b32 v3, v109
	;; [unrolled: 1-line block ×12, first 2 shown]
	ds_store_2addr_b64 v40, v[0:1], v[2:3] offset0:24 offset1:25
	ds_store_2addr_b64 v40, v[4:5], v[6:7] offset0:26 offset1:27
	;; [unrolled: 1-line block ×6, first 2 shown]
	v_dual_mov_b32 v0, v162 :: v_dual_mov_b32 v1, v163
	v_dual_mov_b32 v2, v158 :: v_dual_mov_b32 v3, v159
	;; [unrolled: 1-line block ×10, first 2 shown]
	ds_store_2addr_b64 v40, v[0:1], v[2:3] offset0:36 offset1:37
	ds_store_2addr_b64 v40, v[4:5], v[6:7] offset0:38 offset1:39
	;; [unrolled: 1-line block ×5, first 2 shown]
	ds_store_b64 v40, v[188:189] offset:368
	ds_load_b64 v[0:1], v37
	s_wait_dscnt 0x0
	v_cmp_neq_f32_e32 vcc_lo, 0, v0
	v_cmp_neq_f32_e64 s1, 0, v1
	s_or_b32 s1, vcc_lo, s1
	s_delay_alu instid0(SALU_CYCLE_1)
	s_and_b32 exec_lo, exec_lo, s1
	s_cbranch_execz .LBB93_179
; %bb.174:
	v_cmp_ngt_f32_e64 s1, |v0|, |v1|
                                        ; implicit-def: $vgpr2_vgpr3
	s_and_saveexec_b32 s4, s1
	s_delay_alu instid0(SALU_CYCLE_1)
	s_xor_b32 s1, exec_lo, s4
	s_cbranch_execz .LBB93_176
; %bb.175:
	v_div_scale_f32 v2, null, v1, v1, v0
	v_div_scale_f32 v5, vcc_lo, v0, v1, v0
	s_delay_alu instid0(VALU_DEP_2) | instskip(SKIP_1) | instid1(TRANS32_DEP_1)
	v_rcp_f32_e32 v3, v2
	v_nop
	v_fma_f32 v4, -v2, v3, 1.0
	s_delay_alu instid0(VALU_DEP_1) | instskip(NEXT) | instid1(VALU_DEP_1)
	v_fmac_f32_e32 v3, v4, v3
	v_mul_f32_e32 v4, v5, v3
	s_delay_alu instid0(VALU_DEP_1) | instskip(NEXT) | instid1(VALU_DEP_1)
	v_fma_f32 v6, -v2, v4, v5
	v_fmac_f32_e32 v4, v6, v3
	s_delay_alu instid0(VALU_DEP_1) | instskip(NEXT) | instid1(VALU_DEP_1)
	v_fma_f32 v2, -v2, v4, v5
	v_div_fmas_f32 v2, v2, v3, v4
	s_delay_alu instid0(VALU_DEP_1) | instskip(NEXT) | instid1(VALU_DEP_1)
	v_div_fixup_f32 v2, v2, v1, v0
	v_fmac_f32_e32 v1, v0, v2
	s_delay_alu instid0(VALU_DEP_1) | instskip(SKIP_1) | instid1(VALU_DEP_2)
	v_div_scale_f32 v0, null, v1, v1, 1.0
	v_div_scale_f32 v5, vcc_lo, 1.0, v1, 1.0
	v_rcp_f32_e32 v3, v0
	v_nop
	s_delay_alu instid0(TRANS32_DEP_1) | instskip(NEXT) | instid1(VALU_DEP_1)
	v_fma_f32 v4, -v0, v3, 1.0
	v_fmac_f32_e32 v3, v4, v3
	s_delay_alu instid0(VALU_DEP_1) | instskip(NEXT) | instid1(VALU_DEP_1)
	v_mul_f32_e32 v4, v5, v3
	v_fma_f32 v6, -v0, v4, v5
	s_delay_alu instid0(VALU_DEP_1) | instskip(NEXT) | instid1(VALU_DEP_1)
	v_fmac_f32_e32 v4, v6, v3
	v_fma_f32 v0, -v0, v4, v5
	s_delay_alu instid0(VALU_DEP_1) | instskip(NEXT) | instid1(VALU_DEP_1)
	v_div_fmas_f32 v0, v0, v3, v4
	v_div_fixup_f32 v0, v0, v1, 1.0
	s_delay_alu instid0(VALU_DEP_1)
	v_mul_f32_e32 v2, v2, v0
	v_xor_b32_e32 v3, 0x80000000, v0
                                        ; implicit-def: $vgpr0_vgpr1
.LBB93_176:
	s_and_not1_saveexec_b32 s1, s1
	s_cbranch_execz .LBB93_178
; %bb.177:
	v_div_scale_f32 v2, null, v0, v0, v1
	v_div_scale_f32 v5, vcc_lo, v1, v0, v1
	s_delay_alu instid0(VALU_DEP_2) | instskip(SKIP_1) | instid1(TRANS32_DEP_1)
	v_rcp_f32_e32 v3, v2
	v_nop
	v_fma_f32 v4, -v2, v3, 1.0
	s_delay_alu instid0(VALU_DEP_1) | instskip(NEXT) | instid1(VALU_DEP_1)
	v_fmac_f32_e32 v3, v4, v3
	v_mul_f32_e32 v4, v5, v3
	s_delay_alu instid0(VALU_DEP_1) | instskip(NEXT) | instid1(VALU_DEP_1)
	v_fma_f32 v6, -v2, v4, v5
	v_fmac_f32_e32 v4, v6, v3
	s_delay_alu instid0(VALU_DEP_1) | instskip(NEXT) | instid1(VALU_DEP_1)
	v_fma_f32 v2, -v2, v4, v5
	v_div_fmas_f32 v2, v2, v3, v4
	s_delay_alu instid0(VALU_DEP_1) | instskip(NEXT) | instid1(VALU_DEP_1)
	v_div_fixup_f32 v3, v2, v0, v1
	v_fmac_f32_e32 v0, v1, v3
	s_delay_alu instid0(VALU_DEP_1) | instskip(NEXT) | instid1(VALU_DEP_1)
	v_div_scale_f32 v1, null, v0, v0, 1.0
	v_rcp_f32_e32 v2, v1
	v_nop
	s_delay_alu instid0(TRANS32_DEP_1) | instskip(NEXT) | instid1(VALU_DEP_1)
	v_fma_f32 v4, -v1, v2, 1.0
	v_fmac_f32_e32 v2, v4, v2
	v_div_scale_f32 v4, vcc_lo, 1.0, v0, 1.0
	s_delay_alu instid0(VALU_DEP_1) | instskip(NEXT) | instid1(VALU_DEP_1)
	v_mul_f32_e32 v5, v4, v2
	v_fma_f32 v6, -v1, v5, v4
	s_delay_alu instid0(VALU_DEP_1) | instskip(NEXT) | instid1(VALU_DEP_1)
	v_fmac_f32_e32 v5, v6, v2
	v_fma_f32 v1, -v1, v5, v4
	s_delay_alu instid0(VALU_DEP_1) | instskip(NEXT) | instid1(VALU_DEP_1)
	v_div_fmas_f32 v1, v1, v2, v5
	v_div_fixup_f32 v2, v1, v0, 1.0
	s_delay_alu instid0(VALU_DEP_1)
	v_mul_f32_e64 v3, v3, -v2
.LBB93_178:
	s_or_b32 exec_lo, exec_lo, s1
	ds_store_b64 v37, v[2:3]
.LBB93_179:
	s_or_b32 exec_lo, exec_lo, s2
	s_wait_dscnt 0x0
	s_barrier_signal -1
	s_barrier_wait -1
	ds_load_b64 v[228:229], v37
	s_mov_b32 s1, exec_lo
	v_cmpx_lt_u32_e32 19, v36
	s_cbranch_execz .LBB93_181
; %bb.180:
	ds_load_2addr_b64 v[4:7], v40 offset0:20 offset1:21
	s_wait_dscnt 0x1
	v_pk_mul_f32 v[2:3], v[228:229], v[64:65] op_sel:[1,1] op_sel_hi:[0,1]
	s_delay_alu instid0(VALU_DEP_1) | instskip(SKIP_1) | instid1(VALU_DEP_1)
	v_pk_fma_f32 v[0:1], v[228:229], v[64:65], v[2:3] op_sel_hi:[1,0,1] neg_lo:[0,0,1] neg_hi:[0,0,1]
	v_pk_fma_f32 v[2:3], v[228:229], v[64:65], v[2:3] op_sel_hi:[1,0,1]
	v_dual_mov_b32 v64, v0 :: v_dual_mov_b32 v65, v3
	s_wait_dscnt 0x0
	s_delay_alu instid0(VALU_DEP_2) | instskip(NEXT) | instid1(VALU_DEP_1)
	v_pk_mul_f32 v[8:9], v[4:5], v[2:3] op_sel:[0,1]
	v_pk_fma_f32 v[10:11], v[4:5], v[0:1], v[8:9] op_sel:[0,0,1] op_sel_hi:[1,1,0] neg_lo:[0,0,1] neg_hi:[0,0,1]
	v_pk_fma_f32 v[4:5], v[4:5], v[0:1], v[8:9] op_sel:[0,0,1] op_sel_hi:[1,0,0]
	s_delay_alu instid0(VALU_DEP_1) | instskip(SKIP_1) | instid1(VALU_DEP_1)
	v_mov_b32_e32 v11, v5
	v_pk_mul_f32 v[4:5], v[6:7], v[2:3] op_sel:[0,1]
	v_pk_fma_f32 v[8:9], v[6:7], v[0:1], v[4:5] op_sel:[0,0,1] op_sel_hi:[1,1,0] neg_lo:[0,0,1] neg_hi:[0,0,1]
	v_pk_fma_f32 v[4:5], v[6:7], v[0:1], v[4:5] op_sel:[0,0,1] op_sel_hi:[1,0,0]
	s_delay_alu instid0(VALU_DEP_1)
	v_mov_b32_e32 v9, v5
	ds_load_2addr_b64 v[4:7], v40 offset0:22 offset1:23
	v_pk_add_f32 v[94:95], v[94:95], v[10:11] neg_lo:[0,1] neg_hi:[0,1]
	v_pk_add_f32 v[90:91], v[90:91], v[8:9] neg_lo:[0,1] neg_hi:[0,1]
	s_wait_dscnt 0x0
	v_pk_mul_f32 v[8:9], v[4:5], v[2:3] op_sel:[0,1]
	s_delay_alu instid0(VALU_DEP_1) | instskip(SKIP_2) | instid1(VALU_DEP_2)
	v_pk_fma_f32 v[10:11], v[4:5], v[0:1], v[8:9] op_sel:[0,0,1] op_sel_hi:[1,1,0] neg_lo:[0,0,1] neg_hi:[0,0,1]
	v_pk_fma_f32 v[4:5], v[4:5], v[0:1], v[8:9] op_sel:[0,0,1] op_sel_hi:[1,0,0]
	v_dual_mul_f32 v8, v7, v3 :: v_dual_mov_b32 v4, v7
	v_dual_mov_b32 v11, v5 :: v_dual_mov_b32 v5, v6
	s_delay_alu instid0(VALU_DEP_2) | instskip(SKIP_1) | instid1(VALU_DEP_3)
	v_pk_fma_f32 v[8:9], v[6:7], v[64:65], v[8:9] op_sel_hi:[1,1,0] neg_lo:[0,0,1] neg_hi:[0,0,1]
	v_mul_f32_e32 v6, v7, v0
	v_pk_add_f32 v[92:93], v[92:93], v[10:11] neg_lo:[0,1] neg_hi:[0,1]
	s_delay_alu instid0(VALU_DEP_2) | instskip(NEXT) | instid1(VALU_DEP_1)
	v_pk_fma_f32 v[4:5], v[4:5], v[64:65], v[6:7] op_sel_hi:[1,1,0]
	v_mov_b32_e32 v9, v5
	ds_load_2addr_b64 v[4:7], v40 offset0:24 offset1:25
	v_pk_add_f32 v[88:89], v[88:89], v[8:9] neg_lo:[0,1] neg_hi:[0,1]
	s_wait_dscnt 0x0
	v_pk_mul_f32 v[8:9], v[4:5], v[2:3] op_sel:[0,1]
	s_delay_alu instid0(VALU_DEP_1) | instskip(SKIP_1) | instid1(VALU_DEP_1)
	v_pk_fma_f32 v[10:11], v[4:5], v[0:1], v[8:9] op_sel:[0,0,1] op_sel_hi:[1,1,0] neg_lo:[0,0,1] neg_hi:[0,0,1]
	v_pk_fma_f32 v[4:5], v[4:5], v[0:1], v[8:9] op_sel:[0,0,1] op_sel_hi:[1,0,0]
	v_mov_b32_e32 v11, v5
	v_pk_mul_f32 v[4:5], v[6:7], v[2:3] op_sel:[0,1]
	s_delay_alu instid0(VALU_DEP_1) | instskip(SKIP_1) | instid1(VALU_DEP_1)
	v_pk_fma_f32 v[8:9], v[6:7], v[0:1], v[4:5] op_sel:[0,0,1] op_sel_hi:[1,1,0] neg_lo:[0,0,1] neg_hi:[0,0,1]
	v_pk_fma_f32 v[4:5], v[6:7], v[0:1], v[4:5] op_sel:[0,0,1] op_sel_hi:[1,0,0]
	v_mov_b32_e32 v9, v5
	ds_load_2addr_b64 v[4:7], v40 offset0:26 offset1:27
	v_pk_add_f32 v[112:113], v[112:113], v[10:11] neg_lo:[0,1] neg_hi:[0,1]
	v_pk_add_f32 v[108:109], v[108:109], v[8:9] neg_lo:[0,1] neg_hi:[0,1]
	s_wait_dscnt 0x0
	v_pk_mul_f32 v[8:9], v[4:5], v[2:3] op_sel:[0,1]
	s_delay_alu instid0(VALU_DEP_1) | instskip(SKIP_1) | instid1(VALU_DEP_1)
	v_pk_fma_f32 v[10:11], v[4:5], v[0:1], v[8:9] op_sel:[0,0,1] op_sel_hi:[1,1,0] neg_lo:[0,0,1] neg_hi:[0,0,1]
	v_pk_fma_f32 v[4:5], v[4:5], v[0:1], v[8:9] op_sel:[0,0,1] op_sel_hi:[1,0,0]
	v_mov_b32_e32 v11, v5
	v_pk_mul_f32 v[4:5], v[6:7], v[2:3] op_sel:[0,1]
	s_delay_alu instid0(VALU_DEP_1) | instskip(SKIP_1) | instid1(VALU_DEP_1)
	v_pk_fma_f32 v[8:9], v[6:7], v[0:1], v[4:5] op_sel:[0,0,1] op_sel_hi:[1,1,0] neg_lo:[0,0,1] neg_hi:[0,0,1]
	v_pk_fma_f32 v[4:5], v[6:7], v[0:1], v[4:5] op_sel:[0,0,1] op_sel_hi:[1,0,0]
	v_mov_b32_e32 v9, v5
	ds_load_2addr_b64 v[4:7], v40 offset0:28 offset1:29
	v_pk_add_f32 v[110:111], v[110:111], v[10:11] neg_lo:[0,1] neg_hi:[0,1]
	v_pk_add_f32 v[106:107], v[106:107], v[8:9] neg_lo:[0,1] neg_hi:[0,1]
	s_wait_dscnt 0x0
	v_dual_mul_f32 v8, v5, v3 :: v_dual_mul_f32 v10, v5, v0
	s_delay_alu instid0(VALU_DEP_1) | instskip(NEXT) | instid1(VALU_DEP_2)
	v_pk_fma_f32 v[8:9], v[4:5], v[64:65], v[8:9] op_sel_hi:[1,1,0] neg_lo:[0,0,1] neg_hi:[0,0,1]
	v_pk_fma_f32 v[4:5], v[4:5], v[64:65], v[10:11] op_sel:[1,0,0] op_sel_hi:[0,1,0]
	s_delay_alu instid0(VALU_DEP_1) | instskip(SKIP_1) | instid1(VALU_DEP_2)
	v_mov_b32_e32 v9, v5
	v_pk_mul_f32 v[4:5], v[6:7], v[2:3] op_sel:[0,1]
	v_pk_add_f32 v[128:129], v[128:129], v[8:9] neg_lo:[0,1] neg_hi:[0,1]
	s_delay_alu instid0(VALU_DEP_2) | instskip(SKIP_1) | instid1(VALU_DEP_1)
	v_pk_fma_f32 v[8:9], v[6:7], v[0:1], v[4:5] op_sel:[0,0,1] op_sel_hi:[1,1,0] neg_lo:[0,0,1] neg_hi:[0,0,1]
	v_pk_fma_f32 v[4:5], v[6:7], v[0:1], v[4:5] op_sel:[0,0,1] op_sel_hi:[1,0,0]
	v_mov_b32_e32 v9, v5
	ds_load_2addr_b64 v[4:7], v40 offset0:30 offset1:31
	v_pk_add_f32 v[124:125], v[124:125], v[8:9] neg_lo:[0,1] neg_hi:[0,1]
	s_wait_dscnt 0x0
	v_pk_mul_f32 v[8:9], v[4:5], v[2:3] op_sel:[0,1]
	s_delay_alu instid0(VALU_DEP_1) | instskip(SKIP_1) | instid1(VALU_DEP_1)
	v_pk_fma_f32 v[10:11], v[4:5], v[0:1], v[8:9] op_sel:[0,0,1] op_sel_hi:[1,1,0] neg_lo:[0,0,1] neg_hi:[0,0,1]
	v_pk_fma_f32 v[4:5], v[4:5], v[0:1], v[8:9] op_sel:[0,0,1] op_sel_hi:[1,0,0]
	v_mov_b32_e32 v11, v5
	v_pk_mul_f32 v[4:5], v[6:7], v[2:3] op_sel:[0,1]
	s_delay_alu instid0(VALU_DEP_2) | instskip(NEXT) | instid1(VALU_DEP_2)
	v_pk_add_f32 v[126:127], v[126:127], v[10:11] neg_lo:[0,1] neg_hi:[0,1]
	v_pk_fma_f32 v[8:9], v[6:7], v[0:1], v[4:5] op_sel:[0,0,1] op_sel_hi:[1,1,0] neg_lo:[0,0,1] neg_hi:[0,0,1]
	v_pk_fma_f32 v[4:5], v[6:7], v[0:1], v[4:5] op_sel:[0,0,1] op_sel_hi:[1,0,0]
	s_delay_alu instid0(VALU_DEP_1) | instskip(SKIP_4) | instid1(VALU_DEP_1)
	v_mov_b32_e32 v9, v5
	ds_load_2addr_b64 v[4:7], v40 offset0:32 offset1:33
	v_pk_add_f32 v[122:123], v[122:123], v[8:9] neg_lo:[0,1] neg_hi:[0,1]
	s_wait_dscnt 0x0
	v_pk_mul_f32 v[8:9], v[4:5], v[2:3] op_sel:[0,1]
	v_pk_fma_f32 v[10:11], v[4:5], v[0:1], v[8:9] op_sel:[0,0,1] op_sel_hi:[1,1,0] neg_lo:[0,0,1] neg_hi:[0,0,1]
	v_pk_fma_f32 v[4:5], v[4:5], v[0:1], v[8:9] op_sel:[0,0,1] op_sel_hi:[1,0,0]
	v_dual_mul_f32 v8, v7, v3 :: v_dual_mov_b32 v4, v7
	s_delay_alu instid0(VALU_DEP_2) | instskip(NEXT) | instid1(VALU_DEP_2)
	v_dual_mov_b32 v11, v5 :: v_dual_mov_b32 v5, v6
	v_pk_fma_f32 v[8:9], v[6:7], v[64:65], v[8:9] op_sel_hi:[1,1,0] neg_lo:[0,0,1] neg_hi:[0,0,1]
	v_mul_f32_e32 v6, v7, v0
	s_delay_alu instid0(VALU_DEP_3) | instskip(NEXT) | instid1(VALU_DEP_2)
	v_pk_add_f32 v[144:145], v[144:145], v[10:11] neg_lo:[0,1] neg_hi:[0,1]
	v_pk_fma_f32 v[4:5], v[4:5], v[64:65], v[6:7] op_sel_hi:[1,1,0]
	s_delay_alu instid0(VALU_DEP_1) | instskip(SKIP_4) | instid1(VALU_DEP_1)
	v_mov_b32_e32 v9, v5
	ds_load_2addr_b64 v[4:7], v40 offset0:34 offset1:35
	v_pk_add_f32 v[140:141], v[140:141], v[8:9] neg_lo:[0,1] neg_hi:[0,1]
	s_wait_dscnt 0x0
	v_pk_mul_f32 v[8:9], v[4:5], v[2:3] op_sel:[0,1]
	v_pk_fma_f32 v[10:11], v[4:5], v[0:1], v[8:9] op_sel:[0,0,1] op_sel_hi:[1,1,0] neg_lo:[0,0,1] neg_hi:[0,0,1]
	v_pk_fma_f32 v[4:5], v[4:5], v[0:1], v[8:9] op_sel:[0,0,1] op_sel_hi:[1,0,0]
	s_delay_alu instid0(VALU_DEP_1) | instskip(SKIP_1) | instid1(VALU_DEP_1)
	v_mov_b32_e32 v11, v5
	v_pk_mul_f32 v[4:5], v[6:7], v[2:3] op_sel:[0,1]
	v_pk_fma_f32 v[8:9], v[6:7], v[0:1], v[4:5] op_sel:[0,0,1] op_sel_hi:[1,1,0] neg_lo:[0,0,1] neg_hi:[0,0,1]
	v_pk_fma_f32 v[4:5], v[6:7], v[0:1], v[4:5] op_sel:[0,0,1] op_sel_hi:[1,0,0]
	s_delay_alu instid0(VALU_DEP_1)
	v_mov_b32_e32 v9, v5
	ds_load_2addr_b64 v[4:7], v40 offset0:36 offset1:37
	v_pk_add_f32 v[142:143], v[142:143], v[10:11] neg_lo:[0,1] neg_hi:[0,1]
	v_pk_add_f32 v[138:139], v[138:139], v[8:9] neg_lo:[0,1] neg_hi:[0,1]
	s_wait_dscnt 0x0
	v_pk_mul_f32 v[8:9], v[4:5], v[2:3] op_sel:[0,1]
	s_delay_alu instid0(VALU_DEP_1) | instskip(SKIP_1) | instid1(VALU_DEP_1)
	v_pk_fma_f32 v[10:11], v[4:5], v[0:1], v[8:9] op_sel:[0,0,1] op_sel_hi:[1,1,0] neg_lo:[0,0,1] neg_hi:[0,0,1]
	v_pk_fma_f32 v[4:5], v[4:5], v[0:1], v[8:9] op_sel:[0,0,1] op_sel_hi:[1,0,0]
	v_mov_b32_e32 v11, v5
	v_pk_mul_f32 v[4:5], v[6:7], v[2:3] op_sel:[0,1]
	s_delay_alu instid0(VALU_DEP_1) | instskip(SKIP_1) | instid1(VALU_DEP_1)
	v_pk_fma_f32 v[8:9], v[6:7], v[0:1], v[4:5] op_sel:[0,0,1] op_sel_hi:[1,1,0] neg_lo:[0,0,1] neg_hi:[0,0,1]
	v_pk_fma_f32 v[4:5], v[6:7], v[0:1], v[4:5] op_sel:[0,0,1] op_sel_hi:[1,0,0]
	v_mov_b32_e32 v9, v5
	ds_load_2addr_b64 v[4:7], v40 offset0:38 offset1:39
	v_pk_add_f32 v[162:163], v[162:163], v[10:11] neg_lo:[0,1] neg_hi:[0,1]
	v_pk_add_f32 v[158:159], v[158:159], v[8:9] neg_lo:[0,1] neg_hi:[0,1]
	s_wait_dscnt 0x0
	v_dual_mul_f32 v8, v5, v3 :: v_dual_mul_f32 v10, v5, v0
	s_delay_alu instid0(VALU_DEP_1) | instskip(NEXT) | instid1(VALU_DEP_2)
	v_pk_fma_f32 v[8:9], v[4:5], v[64:65], v[8:9] op_sel_hi:[1,1,0] neg_lo:[0,0,1] neg_hi:[0,0,1]
	v_pk_fma_f32 v[4:5], v[4:5], v[64:65], v[10:11] op_sel:[1,0,0] op_sel_hi:[0,1,0]
	s_delay_alu instid0(VALU_DEP_1) | instskip(SKIP_1) | instid1(VALU_DEP_2)
	v_mov_b32_e32 v9, v5
	v_pk_mul_f32 v[4:5], v[6:7], v[2:3] op_sel:[0,1]
	v_pk_add_f32 v[160:161], v[160:161], v[8:9] neg_lo:[0,1] neg_hi:[0,1]
	s_delay_alu instid0(VALU_DEP_2) | instskip(SKIP_1) | instid1(VALU_DEP_1)
	v_pk_fma_f32 v[8:9], v[6:7], v[0:1], v[4:5] op_sel:[0,0,1] op_sel_hi:[1,1,0] neg_lo:[0,0,1] neg_hi:[0,0,1]
	v_pk_fma_f32 v[4:5], v[6:7], v[0:1], v[4:5] op_sel:[0,0,1] op_sel_hi:[1,0,0]
	v_mov_b32_e32 v9, v5
	ds_load_2addr_b64 v[4:7], v40 offset0:40 offset1:41
	v_pk_add_f32 v[156:157], v[156:157], v[8:9] neg_lo:[0,1] neg_hi:[0,1]
	s_wait_dscnt 0x0
	v_pk_mul_f32 v[8:9], v[4:5], v[2:3] op_sel:[0,1]
	s_delay_alu instid0(VALU_DEP_1) | instskip(SKIP_1) | instid1(VALU_DEP_1)
	v_pk_fma_f32 v[10:11], v[4:5], v[0:1], v[8:9] op_sel:[0,0,1] op_sel_hi:[1,1,0] neg_lo:[0,0,1] neg_hi:[0,0,1]
	v_pk_fma_f32 v[4:5], v[4:5], v[0:1], v[8:9] op_sel:[0,0,1] op_sel_hi:[1,0,0]
	v_mov_b32_e32 v11, v5
	v_pk_mul_f32 v[4:5], v[6:7], v[2:3] op_sel:[0,1]
	s_delay_alu instid0(VALU_DEP_2) | instskip(NEXT) | instid1(VALU_DEP_2)
	v_pk_add_f32 v[182:183], v[182:183], v[10:11] neg_lo:[0,1] neg_hi:[0,1]
	v_pk_fma_f32 v[8:9], v[6:7], v[0:1], v[4:5] op_sel:[0,0,1] op_sel_hi:[1,1,0] neg_lo:[0,0,1] neg_hi:[0,0,1]
	v_pk_fma_f32 v[4:5], v[6:7], v[0:1], v[4:5] op_sel:[0,0,1] op_sel_hi:[1,0,0]
	s_delay_alu instid0(VALU_DEP_1) | instskip(SKIP_4) | instid1(VALU_DEP_1)
	v_mov_b32_e32 v9, v5
	ds_load_2addr_b64 v[4:7], v40 offset0:42 offset1:43
	v_pk_add_f32 v[176:177], v[176:177], v[8:9] neg_lo:[0,1] neg_hi:[0,1]
	s_wait_dscnt 0x0
	v_pk_mul_f32 v[8:9], v[4:5], v[2:3] op_sel:[0,1]
	v_pk_fma_f32 v[10:11], v[4:5], v[0:1], v[8:9] op_sel:[0,0,1] op_sel_hi:[1,1,0] neg_lo:[0,0,1] neg_hi:[0,0,1]
	v_pk_fma_f32 v[4:5], v[4:5], v[0:1], v[8:9] op_sel:[0,0,1] op_sel_hi:[1,0,0]
	v_dual_mul_f32 v8, v7, v3 :: v_dual_mov_b32 v4, v7
	s_delay_alu instid0(VALU_DEP_2) | instskip(NEXT) | instid1(VALU_DEP_2)
	v_dual_mov_b32 v11, v5 :: v_dual_mov_b32 v5, v6
	v_pk_fma_f32 v[8:9], v[6:7], v[64:65], v[8:9] op_sel_hi:[1,1,0] neg_lo:[0,0,1] neg_hi:[0,0,1]
	v_mul_f32_e32 v6, v7, v0
	s_delay_alu instid0(VALU_DEP_3) | instskip(NEXT) | instid1(VALU_DEP_2)
	v_pk_add_f32 v[180:181], v[180:181], v[10:11] neg_lo:[0,1] neg_hi:[0,1]
	v_pk_fma_f32 v[4:5], v[4:5], v[64:65], v[6:7] op_sel_hi:[1,1,0]
	s_delay_alu instid0(VALU_DEP_1) | instskip(SKIP_4) | instid1(VALU_DEP_1)
	v_mov_b32_e32 v9, v5
	ds_load_2addr_b64 v[4:7], v40 offset0:44 offset1:45
	v_pk_add_f32 v[174:175], v[174:175], v[8:9] neg_lo:[0,1] neg_hi:[0,1]
	s_wait_dscnt 0x0
	v_pk_mul_f32 v[8:9], v[4:5], v[2:3] op_sel:[0,1]
	v_pk_fma_f32 v[10:11], v[4:5], v[0:1], v[8:9] op_sel:[0,0,1] op_sel_hi:[1,1,0] neg_lo:[0,0,1] neg_hi:[0,0,1]
	v_pk_fma_f32 v[4:5], v[4:5], v[0:1], v[8:9] op_sel:[0,0,1] op_sel_hi:[1,0,0]
	s_delay_alu instid0(VALU_DEP_1) | instskip(SKIP_1) | instid1(VALU_DEP_1)
	v_mov_b32_e32 v11, v5
	v_pk_mul_f32 v[4:5], v[6:7], v[2:3] op_sel:[0,1]
	v_pk_fma_f32 v[8:9], v[6:7], v[0:1], v[4:5] op_sel:[0,0,1] op_sel_hi:[1,1,0] neg_lo:[0,0,1] neg_hi:[0,0,1]
	v_pk_fma_f32 v[4:5], v[6:7], v[0:1], v[4:5] op_sel:[0,0,1] op_sel_hi:[1,0,0]
	s_delay_alu instid0(VALU_DEP_1)
	v_mov_b32_e32 v9, v5
	ds_load_b64 v[4:5], v40 offset:368
	v_pk_add_f32 v[178:179], v[178:179], v[10:11] neg_lo:[0,1] neg_hi:[0,1]
	v_pk_add_f32 v[186:187], v[186:187], v[8:9] neg_lo:[0,1] neg_hi:[0,1]
	s_wait_dscnt 0x0
	v_pk_mul_f32 v[2:3], v[4:5], v[2:3] op_sel:[0,1]
	s_delay_alu instid0(VALU_DEP_1) | instskip(SKIP_1) | instid1(VALU_DEP_1)
	v_pk_fma_f32 v[6:7], v[4:5], v[0:1], v[2:3] op_sel:[0,0,1] op_sel_hi:[1,1,0] neg_lo:[0,0,1] neg_hi:[0,0,1]
	v_pk_fma_f32 v[0:1], v[4:5], v[0:1], v[2:3] op_sel:[0,0,1] op_sel_hi:[1,0,0]
	v_mov_b32_e32 v7, v1
	s_delay_alu instid0(VALU_DEP_1)
	v_pk_add_f32 v[188:189], v[188:189], v[6:7] neg_lo:[0,1] neg_hi:[0,1]
.LBB93_181:
	s_or_b32 exec_lo, exec_lo, s1
	s_delay_alu instid0(SALU_CYCLE_1)
	s_mov_b32 s2, exec_lo
	s_wait_dscnt 0x0
	s_barrier_signal -1
	s_barrier_wait -1
	v_cmpx_eq_u32_e32 20, v36
	s_cbranch_execz .LBB93_188
; %bb.182:
	ds_store_b64 v37, v[94:95]
	ds_store_2addr_b64 v40, v[90:91], v[92:93] offset0:21 offset1:22
	ds_store_2addr_b64 v40, v[88:89], v[112:113] offset0:23 offset1:24
	;; [unrolled: 1-line block ×13, first 2 shown]
	ds_load_b64 v[0:1], v37
	s_wait_dscnt 0x0
	v_cmp_neq_f32_e32 vcc_lo, 0, v0
	v_cmp_neq_f32_e64 s1, 0, v1
	s_or_b32 s1, vcc_lo, s1
	s_delay_alu instid0(SALU_CYCLE_1)
	s_and_b32 exec_lo, exec_lo, s1
	s_cbranch_execz .LBB93_188
; %bb.183:
	v_cmp_ngt_f32_e64 s1, |v0|, |v1|
                                        ; implicit-def: $vgpr2_vgpr3
	s_and_saveexec_b32 s4, s1
	s_delay_alu instid0(SALU_CYCLE_1)
	s_xor_b32 s1, exec_lo, s4
	s_cbranch_execz .LBB93_185
; %bb.184:
	v_div_scale_f32 v2, null, v1, v1, v0
	v_div_scale_f32 v5, vcc_lo, v0, v1, v0
	s_delay_alu instid0(VALU_DEP_2) | instskip(SKIP_1) | instid1(TRANS32_DEP_1)
	v_rcp_f32_e32 v3, v2
	v_nop
	v_fma_f32 v4, -v2, v3, 1.0
	s_delay_alu instid0(VALU_DEP_1) | instskip(NEXT) | instid1(VALU_DEP_1)
	v_fmac_f32_e32 v3, v4, v3
	v_mul_f32_e32 v4, v5, v3
	s_delay_alu instid0(VALU_DEP_1) | instskip(NEXT) | instid1(VALU_DEP_1)
	v_fma_f32 v6, -v2, v4, v5
	v_fmac_f32_e32 v4, v6, v3
	s_delay_alu instid0(VALU_DEP_1) | instskip(NEXT) | instid1(VALU_DEP_1)
	v_fma_f32 v2, -v2, v4, v5
	v_div_fmas_f32 v2, v2, v3, v4
	s_delay_alu instid0(VALU_DEP_1) | instskip(NEXT) | instid1(VALU_DEP_1)
	v_div_fixup_f32 v2, v2, v1, v0
	v_fmac_f32_e32 v1, v0, v2
	s_delay_alu instid0(VALU_DEP_1) | instskip(SKIP_1) | instid1(VALU_DEP_2)
	v_div_scale_f32 v0, null, v1, v1, 1.0
	v_div_scale_f32 v5, vcc_lo, 1.0, v1, 1.0
	v_rcp_f32_e32 v3, v0
	v_nop
	s_delay_alu instid0(TRANS32_DEP_1) | instskip(NEXT) | instid1(VALU_DEP_1)
	v_fma_f32 v4, -v0, v3, 1.0
	v_fmac_f32_e32 v3, v4, v3
	s_delay_alu instid0(VALU_DEP_1) | instskip(NEXT) | instid1(VALU_DEP_1)
	v_mul_f32_e32 v4, v5, v3
	v_fma_f32 v6, -v0, v4, v5
	s_delay_alu instid0(VALU_DEP_1) | instskip(NEXT) | instid1(VALU_DEP_1)
	v_fmac_f32_e32 v4, v6, v3
	v_fma_f32 v0, -v0, v4, v5
	s_delay_alu instid0(VALU_DEP_1) | instskip(NEXT) | instid1(VALU_DEP_1)
	v_div_fmas_f32 v0, v0, v3, v4
	v_div_fixup_f32 v0, v0, v1, 1.0
	s_delay_alu instid0(VALU_DEP_1)
	v_mul_f32_e32 v2, v2, v0
	v_xor_b32_e32 v3, 0x80000000, v0
                                        ; implicit-def: $vgpr0_vgpr1
.LBB93_185:
	s_and_not1_saveexec_b32 s1, s1
	s_cbranch_execz .LBB93_187
; %bb.186:
	v_div_scale_f32 v2, null, v0, v0, v1
	v_div_scale_f32 v5, vcc_lo, v1, v0, v1
	s_delay_alu instid0(VALU_DEP_2) | instskip(SKIP_1) | instid1(TRANS32_DEP_1)
	v_rcp_f32_e32 v3, v2
	v_nop
	v_fma_f32 v4, -v2, v3, 1.0
	s_delay_alu instid0(VALU_DEP_1) | instskip(NEXT) | instid1(VALU_DEP_1)
	v_fmac_f32_e32 v3, v4, v3
	v_mul_f32_e32 v4, v5, v3
	s_delay_alu instid0(VALU_DEP_1) | instskip(NEXT) | instid1(VALU_DEP_1)
	v_fma_f32 v6, -v2, v4, v5
	v_fmac_f32_e32 v4, v6, v3
	s_delay_alu instid0(VALU_DEP_1) | instskip(NEXT) | instid1(VALU_DEP_1)
	v_fma_f32 v2, -v2, v4, v5
	v_div_fmas_f32 v2, v2, v3, v4
	s_delay_alu instid0(VALU_DEP_1) | instskip(NEXT) | instid1(VALU_DEP_1)
	v_div_fixup_f32 v3, v2, v0, v1
	v_fmac_f32_e32 v0, v1, v3
	s_delay_alu instid0(VALU_DEP_1) | instskip(NEXT) | instid1(VALU_DEP_1)
	v_div_scale_f32 v1, null, v0, v0, 1.0
	v_rcp_f32_e32 v2, v1
	v_nop
	s_delay_alu instid0(TRANS32_DEP_1) | instskip(NEXT) | instid1(VALU_DEP_1)
	v_fma_f32 v4, -v1, v2, 1.0
	v_fmac_f32_e32 v2, v4, v2
	v_div_scale_f32 v4, vcc_lo, 1.0, v0, 1.0
	s_delay_alu instid0(VALU_DEP_1) | instskip(NEXT) | instid1(VALU_DEP_1)
	v_mul_f32_e32 v5, v4, v2
	v_fma_f32 v6, -v1, v5, v4
	s_delay_alu instid0(VALU_DEP_1) | instskip(NEXT) | instid1(VALU_DEP_1)
	v_fmac_f32_e32 v5, v6, v2
	v_fma_f32 v1, -v1, v5, v4
	s_delay_alu instid0(VALU_DEP_1) | instskip(NEXT) | instid1(VALU_DEP_1)
	v_div_fmas_f32 v1, v1, v2, v5
	v_div_fixup_f32 v2, v1, v0, 1.0
	s_delay_alu instid0(VALU_DEP_1)
	v_mul_f32_e64 v3, v3, -v2
.LBB93_187:
	s_or_b32 exec_lo, exec_lo, s1
	ds_store_b64 v37, v[2:3]
.LBB93_188:
	s_or_b32 exec_lo, exec_lo, s2
	s_wait_dscnt 0x0
	s_barrier_signal -1
	s_barrier_wait -1
	ds_load_b64 v[230:231], v37
	s_mov_b32 s1, exec_lo
	v_cmpx_lt_u32_e32 20, v36
	s_cbranch_execz .LBB93_190
; %bb.189:
	ds_load_2addr_b64 v[4:7], v40 offset0:21 offset1:22
	s_wait_dscnt 0x1
	v_pk_mul_f32 v[2:3], v[230:231], v[94:95] op_sel:[1,1] op_sel_hi:[0,1]
	s_delay_alu instid0(VALU_DEP_1) | instskip(SKIP_1) | instid1(VALU_DEP_1)
	v_pk_fma_f32 v[0:1], v[230:231], v[94:95], v[2:3] op_sel_hi:[1,0,1] neg_lo:[0,0,1] neg_hi:[0,0,1]
	v_pk_fma_f32 v[2:3], v[230:231], v[94:95], v[2:3] op_sel_hi:[1,0,1]
	v_dual_mov_b32 v94, v0 :: v_dual_mov_b32 v95, v3
	s_wait_dscnt 0x0
	s_delay_alu instid0(VALU_DEP_2) | instskip(NEXT) | instid1(VALU_DEP_1)
	v_pk_mul_f32 v[8:9], v[4:5], v[2:3] op_sel:[0,1]
	v_pk_fma_f32 v[10:11], v[4:5], v[0:1], v[8:9] op_sel:[0,0,1] op_sel_hi:[1,1,0] neg_lo:[0,0,1] neg_hi:[0,0,1]
	v_pk_fma_f32 v[4:5], v[4:5], v[0:1], v[8:9] op_sel:[0,0,1] op_sel_hi:[1,0,0]
	s_delay_alu instid0(VALU_DEP_1) | instskip(SKIP_1) | instid1(VALU_DEP_1)
	v_mov_b32_e32 v11, v5
	v_pk_mul_f32 v[4:5], v[6:7], v[2:3] op_sel:[0,1]
	v_pk_fma_f32 v[8:9], v[6:7], v[0:1], v[4:5] op_sel:[0,0,1] op_sel_hi:[1,1,0] neg_lo:[0,0,1] neg_hi:[0,0,1]
	v_pk_fma_f32 v[4:5], v[6:7], v[0:1], v[4:5] op_sel:[0,0,1] op_sel_hi:[1,0,0]
	s_delay_alu instid0(VALU_DEP_1)
	v_mov_b32_e32 v9, v5
	ds_load_2addr_b64 v[4:7], v40 offset0:23 offset1:24
	v_pk_add_f32 v[90:91], v[90:91], v[10:11] neg_lo:[0,1] neg_hi:[0,1]
	v_pk_add_f32 v[92:93], v[92:93], v[8:9] neg_lo:[0,1] neg_hi:[0,1]
	s_wait_dscnt 0x0
	v_pk_mul_f32 v[8:9], v[4:5], v[2:3] op_sel:[0,1]
	s_delay_alu instid0(VALU_DEP_1) | instskip(SKIP_2) | instid1(VALU_DEP_2)
	v_pk_fma_f32 v[10:11], v[4:5], v[0:1], v[8:9] op_sel:[0,0,1] op_sel_hi:[1,1,0] neg_lo:[0,0,1] neg_hi:[0,0,1]
	v_pk_fma_f32 v[4:5], v[4:5], v[0:1], v[8:9] op_sel:[0,0,1] op_sel_hi:[1,0,0]
	v_dual_mul_f32 v8, v7, v3 :: v_dual_mov_b32 v4, v7
	v_dual_mov_b32 v11, v5 :: v_dual_mov_b32 v5, v6
	s_delay_alu instid0(VALU_DEP_2) | instskip(SKIP_1) | instid1(VALU_DEP_3)
	v_pk_fma_f32 v[8:9], v[6:7], v[94:95], v[8:9] op_sel_hi:[1,1,0] neg_lo:[0,0,1] neg_hi:[0,0,1]
	v_mul_f32_e32 v6, v7, v0
	v_pk_add_f32 v[88:89], v[88:89], v[10:11] neg_lo:[0,1] neg_hi:[0,1]
	s_delay_alu instid0(VALU_DEP_2) | instskip(NEXT) | instid1(VALU_DEP_1)
	v_pk_fma_f32 v[4:5], v[4:5], v[94:95], v[6:7] op_sel_hi:[1,1,0]
	v_mov_b32_e32 v9, v5
	ds_load_2addr_b64 v[4:7], v40 offset0:25 offset1:26
	v_pk_add_f32 v[112:113], v[112:113], v[8:9] neg_lo:[0,1] neg_hi:[0,1]
	s_wait_dscnt 0x0
	v_pk_mul_f32 v[8:9], v[4:5], v[2:3] op_sel:[0,1]
	s_delay_alu instid0(VALU_DEP_1) | instskip(SKIP_1) | instid1(VALU_DEP_1)
	v_pk_fma_f32 v[10:11], v[4:5], v[0:1], v[8:9] op_sel:[0,0,1] op_sel_hi:[1,1,0] neg_lo:[0,0,1] neg_hi:[0,0,1]
	v_pk_fma_f32 v[4:5], v[4:5], v[0:1], v[8:9] op_sel:[0,0,1] op_sel_hi:[1,0,0]
	v_mov_b32_e32 v11, v5
	v_pk_mul_f32 v[4:5], v[6:7], v[2:3] op_sel:[0,1]
	s_delay_alu instid0(VALU_DEP_1) | instskip(SKIP_1) | instid1(VALU_DEP_1)
	v_pk_fma_f32 v[8:9], v[6:7], v[0:1], v[4:5] op_sel:[0,0,1] op_sel_hi:[1,1,0] neg_lo:[0,0,1] neg_hi:[0,0,1]
	v_pk_fma_f32 v[4:5], v[6:7], v[0:1], v[4:5] op_sel:[0,0,1] op_sel_hi:[1,0,0]
	v_mov_b32_e32 v9, v5
	ds_load_2addr_b64 v[4:7], v40 offset0:27 offset1:28
	v_pk_add_f32 v[108:109], v[108:109], v[10:11] neg_lo:[0,1] neg_hi:[0,1]
	v_pk_add_f32 v[110:111], v[110:111], v[8:9] neg_lo:[0,1] neg_hi:[0,1]
	s_wait_dscnt 0x0
	v_pk_mul_f32 v[8:9], v[4:5], v[2:3] op_sel:[0,1]
	s_delay_alu instid0(VALU_DEP_1) | instskip(SKIP_1) | instid1(VALU_DEP_1)
	v_pk_fma_f32 v[10:11], v[4:5], v[0:1], v[8:9] op_sel:[0,0,1] op_sel_hi:[1,1,0] neg_lo:[0,0,1] neg_hi:[0,0,1]
	v_pk_fma_f32 v[4:5], v[4:5], v[0:1], v[8:9] op_sel:[0,0,1] op_sel_hi:[1,0,0]
	v_mov_b32_e32 v11, v5
	v_pk_mul_f32 v[4:5], v[6:7], v[2:3] op_sel:[0,1]
	s_delay_alu instid0(VALU_DEP_1) | instskip(SKIP_1) | instid1(VALU_DEP_1)
	v_pk_fma_f32 v[8:9], v[6:7], v[0:1], v[4:5] op_sel:[0,0,1] op_sel_hi:[1,1,0] neg_lo:[0,0,1] neg_hi:[0,0,1]
	v_pk_fma_f32 v[4:5], v[6:7], v[0:1], v[4:5] op_sel:[0,0,1] op_sel_hi:[1,0,0]
	v_mov_b32_e32 v9, v5
	ds_load_2addr_b64 v[4:7], v40 offset0:29 offset1:30
	v_pk_add_f32 v[106:107], v[106:107], v[10:11] neg_lo:[0,1] neg_hi:[0,1]
	v_pk_add_f32 v[128:129], v[128:129], v[8:9] neg_lo:[0,1] neg_hi:[0,1]
	s_wait_dscnt 0x0
	v_dual_mul_f32 v8, v5, v3 :: v_dual_mul_f32 v10, v5, v0
	s_delay_alu instid0(VALU_DEP_1) | instskip(NEXT) | instid1(VALU_DEP_2)
	v_pk_fma_f32 v[8:9], v[4:5], v[94:95], v[8:9] op_sel_hi:[1,1,0] neg_lo:[0,0,1] neg_hi:[0,0,1]
	v_pk_fma_f32 v[4:5], v[4:5], v[94:95], v[10:11] op_sel:[1,0,0] op_sel_hi:[0,1,0]
	s_delay_alu instid0(VALU_DEP_1) | instskip(SKIP_1) | instid1(VALU_DEP_2)
	v_mov_b32_e32 v9, v5
	v_pk_mul_f32 v[4:5], v[6:7], v[2:3] op_sel:[0,1]
	v_pk_add_f32 v[124:125], v[124:125], v[8:9] neg_lo:[0,1] neg_hi:[0,1]
	s_delay_alu instid0(VALU_DEP_2) | instskip(SKIP_1) | instid1(VALU_DEP_1)
	v_pk_fma_f32 v[8:9], v[6:7], v[0:1], v[4:5] op_sel:[0,0,1] op_sel_hi:[1,1,0] neg_lo:[0,0,1] neg_hi:[0,0,1]
	v_pk_fma_f32 v[4:5], v[6:7], v[0:1], v[4:5] op_sel:[0,0,1] op_sel_hi:[1,0,0]
	v_mov_b32_e32 v9, v5
	ds_load_2addr_b64 v[4:7], v40 offset0:31 offset1:32
	v_pk_add_f32 v[126:127], v[126:127], v[8:9] neg_lo:[0,1] neg_hi:[0,1]
	s_wait_dscnt 0x0
	v_pk_mul_f32 v[8:9], v[4:5], v[2:3] op_sel:[0,1]
	s_delay_alu instid0(VALU_DEP_1) | instskip(SKIP_1) | instid1(VALU_DEP_1)
	v_pk_fma_f32 v[10:11], v[4:5], v[0:1], v[8:9] op_sel:[0,0,1] op_sel_hi:[1,1,0] neg_lo:[0,0,1] neg_hi:[0,0,1]
	v_pk_fma_f32 v[4:5], v[4:5], v[0:1], v[8:9] op_sel:[0,0,1] op_sel_hi:[1,0,0]
	v_mov_b32_e32 v11, v5
	v_pk_mul_f32 v[4:5], v[6:7], v[2:3] op_sel:[0,1]
	s_delay_alu instid0(VALU_DEP_2) | instskip(NEXT) | instid1(VALU_DEP_2)
	v_pk_add_f32 v[122:123], v[122:123], v[10:11] neg_lo:[0,1] neg_hi:[0,1]
	v_pk_fma_f32 v[8:9], v[6:7], v[0:1], v[4:5] op_sel:[0,0,1] op_sel_hi:[1,1,0] neg_lo:[0,0,1] neg_hi:[0,0,1]
	v_pk_fma_f32 v[4:5], v[6:7], v[0:1], v[4:5] op_sel:[0,0,1] op_sel_hi:[1,0,0]
	s_delay_alu instid0(VALU_DEP_1) | instskip(SKIP_4) | instid1(VALU_DEP_1)
	v_mov_b32_e32 v9, v5
	ds_load_2addr_b64 v[4:7], v40 offset0:33 offset1:34
	v_pk_add_f32 v[144:145], v[144:145], v[8:9] neg_lo:[0,1] neg_hi:[0,1]
	s_wait_dscnt 0x0
	v_pk_mul_f32 v[8:9], v[4:5], v[2:3] op_sel:[0,1]
	v_pk_fma_f32 v[10:11], v[4:5], v[0:1], v[8:9] op_sel:[0,0,1] op_sel_hi:[1,1,0] neg_lo:[0,0,1] neg_hi:[0,0,1]
	v_pk_fma_f32 v[4:5], v[4:5], v[0:1], v[8:9] op_sel:[0,0,1] op_sel_hi:[1,0,0]
	v_dual_mul_f32 v8, v7, v3 :: v_dual_mov_b32 v4, v7
	s_delay_alu instid0(VALU_DEP_2) | instskip(NEXT) | instid1(VALU_DEP_2)
	v_dual_mov_b32 v11, v5 :: v_dual_mov_b32 v5, v6
	v_pk_fma_f32 v[8:9], v[6:7], v[94:95], v[8:9] op_sel_hi:[1,1,0] neg_lo:[0,0,1] neg_hi:[0,0,1]
	v_mul_f32_e32 v6, v7, v0
	s_delay_alu instid0(VALU_DEP_3) | instskip(NEXT) | instid1(VALU_DEP_2)
	v_pk_add_f32 v[140:141], v[140:141], v[10:11] neg_lo:[0,1] neg_hi:[0,1]
	v_pk_fma_f32 v[4:5], v[4:5], v[94:95], v[6:7] op_sel_hi:[1,1,0]
	s_delay_alu instid0(VALU_DEP_1) | instskip(SKIP_4) | instid1(VALU_DEP_1)
	v_mov_b32_e32 v9, v5
	ds_load_2addr_b64 v[4:7], v40 offset0:35 offset1:36
	v_pk_add_f32 v[142:143], v[142:143], v[8:9] neg_lo:[0,1] neg_hi:[0,1]
	s_wait_dscnt 0x0
	v_pk_mul_f32 v[8:9], v[4:5], v[2:3] op_sel:[0,1]
	v_pk_fma_f32 v[10:11], v[4:5], v[0:1], v[8:9] op_sel:[0,0,1] op_sel_hi:[1,1,0] neg_lo:[0,0,1] neg_hi:[0,0,1]
	v_pk_fma_f32 v[4:5], v[4:5], v[0:1], v[8:9] op_sel:[0,0,1] op_sel_hi:[1,0,0]
	s_delay_alu instid0(VALU_DEP_1) | instskip(SKIP_1) | instid1(VALU_DEP_1)
	v_mov_b32_e32 v11, v5
	v_pk_mul_f32 v[4:5], v[6:7], v[2:3] op_sel:[0,1]
	v_pk_fma_f32 v[8:9], v[6:7], v[0:1], v[4:5] op_sel:[0,0,1] op_sel_hi:[1,1,0] neg_lo:[0,0,1] neg_hi:[0,0,1]
	v_pk_fma_f32 v[4:5], v[6:7], v[0:1], v[4:5] op_sel:[0,0,1] op_sel_hi:[1,0,0]
	s_delay_alu instid0(VALU_DEP_1)
	v_mov_b32_e32 v9, v5
	ds_load_2addr_b64 v[4:7], v40 offset0:37 offset1:38
	v_pk_add_f32 v[138:139], v[138:139], v[10:11] neg_lo:[0,1] neg_hi:[0,1]
	v_pk_add_f32 v[162:163], v[162:163], v[8:9] neg_lo:[0,1] neg_hi:[0,1]
	s_wait_dscnt 0x0
	v_pk_mul_f32 v[8:9], v[4:5], v[2:3] op_sel:[0,1]
	s_delay_alu instid0(VALU_DEP_1) | instskip(SKIP_1) | instid1(VALU_DEP_1)
	v_pk_fma_f32 v[10:11], v[4:5], v[0:1], v[8:9] op_sel:[0,0,1] op_sel_hi:[1,1,0] neg_lo:[0,0,1] neg_hi:[0,0,1]
	v_pk_fma_f32 v[4:5], v[4:5], v[0:1], v[8:9] op_sel:[0,0,1] op_sel_hi:[1,0,0]
	v_mov_b32_e32 v11, v5
	v_pk_mul_f32 v[4:5], v[6:7], v[2:3] op_sel:[0,1]
	s_delay_alu instid0(VALU_DEP_1) | instskip(SKIP_1) | instid1(VALU_DEP_1)
	v_pk_fma_f32 v[8:9], v[6:7], v[0:1], v[4:5] op_sel:[0,0,1] op_sel_hi:[1,1,0] neg_lo:[0,0,1] neg_hi:[0,0,1]
	v_pk_fma_f32 v[4:5], v[6:7], v[0:1], v[4:5] op_sel:[0,0,1] op_sel_hi:[1,0,0]
	v_mov_b32_e32 v9, v5
	ds_load_2addr_b64 v[4:7], v40 offset0:39 offset1:40
	v_pk_add_f32 v[158:159], v[158:159], v[10:11] neg_lo:[0,1] neg_hi:[0,1]
	v_pk_add_f32 v[160:161], v[160:161], v[8:9] neg_lo:[0,1] neg_hi:[0,1]
	s_wait_dscnt 0x0
	v_dual_mul_f32 v8, v5, v3 :: v_dual_mul_f32 v10, v5, v0
	s_delay_alu instid0(VALU_DEP_1) | instskip(NEXT) | instid1(VALU_DEP_2)
	v_pk_fma_f32 v[8:9], v[4:5], v[94:95], v[8:9] op_sel_hi:[1,1,0] neg_lo:[0,0,1] neg_hi:[0,0,1]
	v_pk_fma_f32 v[4:5], v[4:5], v[94:95], v[10:11] op_sel:[1,0,0] op_sel_hi:[0,1,0]
	s_delay_alu instid0(VALU_DEP_1) | instskip(SKIP_1) | instid1(VALU_DEP_2)
	v_mov_b32_e32 v9, v5
	v_pk_mul_f32 v[4:5], v[6:7], v[2:3] op_sel:[0,1]
	v_pk_add_f32 v[156:157], v[156:157], v[8:9] neg_lo:[0,1] neg_hi:[0,1]
	s_delay_alu instid0(VALU_DEP_2) | instskip(SKIP_1) | instid1(VALU_DEP_1)
	v_pk_fma_f32 v[8:9], v[6:7], v[0:1], v[4:5] op_sel:[0,0,1] op_sel_hi:[1,1,0] neg_lo:[0,0,1] neg_hi:[0,0,1]
	v_pk_fma_f32 v[4:5], v[6:7], v[0:1], v[4:5] op_sel:[0,0,1] op_sel_hi:[1,0,0]
	v_mov_b32_e32 v9, v5
	ds_load_2addr_b64 v[4:7], v40 offset0:41 offset1:42
	v_pk_add_f32 v[182:183], v[182:183], v[8:9] neg_lo:[0,1] neg_hi:[0,1]
	s_wait_dscnt 0x0
	v_pk_mul_f32 v[8:9], v[4:5], v[2:3] op_sel:[0,1]
	s_delay_alu instid0(VALU_DEP_1) | instskip(SKIP_1) | instid1(VALU_DEP_1)
	v_pk_fma_f32 v[10:11], v[4:5], v[0:1], v[8:9] op_sel:[0,0,1] op_sel_hi:[1,1,0] neg_lo:[0,0,1] neg_hi:[0,0,1]
	v_pk_fma_f32 v[4:5], v[4:5], v[0:1], v[8:9] op_sel:[0,0,1] op_sel_hi:[1,0,0]
	v_mov_b32_e32 v11, v5
	v_pk_mul_f32 v[4:5], v[6:7], v[2:3] op_sel:[0,1]
	s_delay_alu instid0(VALU_DEP_2) | instskip(NEXT) | instid1(VALU_DEP_2)
	v_pk_add_f32 v[176:177], v[176:177], v[10:11] neg_lo:[0,1] neg_hi:[0,1]
	v_pk_fma_f32 v[8:9], v[6:7], v[0:1], v[4:5] op_sel:[0,0,1] op_sel_hi:[1,1,0] neg_lo:[0,0,1] neg_hi:[0,0,1]
	v_pk_fma_f32 v[4:5], v[6:7], v[0:1], v[4:5] op_sel:[0,0,1] op_sel_hi:[1,0,0]
	s_delay_alu instid0(VALU_DEP_1) | instskip(SKIP_4) | instid1(VALU_DEP_1)
	v_mov_b32_e32 v9, v5
	ds_load_2addr_b64 v[4:7], v40 offset0:43 offset1:44
	v_pk_add_f32 v[180:181], v[180:181], v[8:9] neg_lo:[0,1] neg_hi:[0,1]
	s_wait_dscnt 0x0
	v_pk_mul_f32 v[8:9], v[4:5], v[2:3] op_sel:[0,1]
	v_pk_fma_f32 v[10:11], v[4:5], v[0:1], v[8:9] op_sel:[0,0,1] op_sel_hi:[1,1,0] neg_lo:[0,0,1] neg_hi:[0,0,1]
	v_pk_fma_f32 v[4:5], v[4:5], v[0:1], v[8:9] op_sel:[0,0,1] op_sel_hi:[1,0,0]
	v_dual_mul_f32 v8, v7, v3 :: v_dual_mov_b32 v4, v7
	s_delay_alu instid0(VALU_DEP_2) | instskip(NEXT) | instid1(VALU_DEP_2)
	v_dual_mov_b32 v11, v5 :: v_dual_mov_b32 v5, v6
	v_pk_fma_f32 v[8:9], v[6:7], v[94:95], v[8:9] op_sel_hi:[1,1,0] neg_lo:[0,0,1] neg_hi:[0,0,1]
	v_mul_f32_e32 v6, v7, v0
	s_delay_alu instid0(VALU_DEP_3) | instskip(NEXT) | instid1(VALU_DEP_2)
	v_pk_add_f32 v[174:175], v[174:175], v[10:11] neg_lo:[0,1] neg_hi:[0,1]
	v_pk_fma_f32 v[4:5], v[4:5], v[94:95], v[6:7] op_sel_hi:[1,1,0]
	s_delay_alu instid0(VALU_DEP_1)
	v_mov_b32_e32 v9, v5
	ds_load_2addr_b64 v[4:7], v40 offset0:45 offset1:46
	v_pk_add_f32 v[178:179], v[178:179], v[8:9] neg_lo:[0,1] neg_hi:[0,1]
	s_wait_dscnt 0x0
	v_pk_mul_f32 v[8:9], v[4:5], v[2:3] op_sel:[0,1]
	v_pk_mul_f32 v[2:3], v[6:7], v[2:3] op_sel:[0,1]
	s_delay_alu instid0(VALU_DEP_2) | instskip(SKIP_1) | instid1(VALU_DEP_1)
	v_pk_fma_f32 v[10:11], v[4:5], v[0:1], v[8:9] op_sel:[0,0,1] op_sel_hi:[1,1,0] neg_lo:[0,0,1] neg_hi:[0,0,1]
	v_pk_fma_f32 v[4:5], v[4:5], v[0:1], v[8:9] op_sel:[0,0,1] op_sel_hi:[1,0,0]
	v_mov_b32_e32 v11, v5
	s_delay_alu instid0(VALU_DEP_4) | instskip(SKIP_1) | instid1(VALU_DEP_1)
	v_pk_fma_f32 v[4:5], v[6:7], v[0:1], v[2:3] op_sel:[0,0,1] op_sel_hi:[1,1,0] neg_lo:[0,0,1] neg_hi:[0,0,1]
	v_pk_fma_f32 v[0:1], v[6:7], v[0:1], v[2:3] op_sel:[0,0,1] op_sel_hi:[1,0,0]
	v_mov_b32_e32 v5, v1
	s_delay_alu instid0(VALU_DEP_4) | instskip(NEXT) | instid1(VALU_DEP_2)
	v_pk_add_f32 v[186:187], v[186:187], v[10:11] neg_lo:[0,1] neg_hi:[0,1]
	v_pk_add_f32 v[188:189], v[188:189], v[4:5] neg_lo:[0,1] neg_hi:[0,1]
.LBB93_190:
	s_or_b32 exec_lo, exec_lo, s1
	s_delay_alu instid0(SALU_CYCLE_1)
	s_mov_b32 s2, exec_lo
	s_wait_dscnt 0x0
	s_barrier_signal -1
	s_barrier_wait -1
	v_cmpx_eq_u32_e32 21, v36
	s_cbranch_execz .LBB93_197
; %bb.191:
	v_dual_mov_b32 v0, v92 :: v_dual_mov_b32 v1, v93
	v_dual_mov_b32 v2, v88 :: v_dual_mov_b32 v3, v89
	ds_store_b64 v37, v[90:91]
	ds_store_2addr_b64 v40, v[0:1], v[2:3] offset0:22 offset1:23
	v_dual_mov_b32 v0, v112 :: v_dual_mov_b32 v1, v113
	v_dual_mov_b32 v2, v108 :: v_dual_mov_b32 v3, v109
	ds_store_2addr_b64 v40, v[0:1], v[2:3] offset0:24 offset1:25
	v_dual_mov_b32 v0, v110 :: v_dual_mov_b32 v1, v111
	v_dual_mov_b32 v2, v106 :: v_dual_mov_b32 v3, v107
	;; [unrolled: 3-line block ×11, first 2 shown]
	ds_store_2addr_b64 v40, v[0:1], v[2:3] offset0:44 offset1:45
	ds_store_b64 v40, v[188:189] offset:368
	ds_load_b64 v[0:1], v37
	s_wait_dscnt 0x0
	v_cmp_neq_f32_e32 vcc_lo, 0, v0
	v_cmp_neq_f32_e64 s1, 0, v1
	s_or_b32 s1, vcc_lo, s1
	s_delay_alu instid0(SALU_CYCLE_1)
	s_and_b32 exec_lo, exec_lo, s1
	s_cbranch_execz .LBB93_197
; %bb.192:
	v_cmp_ngt_f32_e64 s1, |v0|, |v1|
                                        ; implicit-def: $vgpr2_vgpr3
	s_and_saveexec_b32 s4, s1
	s_delay_alu instid0(SALU_CYCLE_1)
	s_xor_b32 s1, exec_lo, s4
	s_cbranch_execz .LBB93_194
; %bb.193:
	v_div_scale_f32 v2, null, v1, v1, v0
	v_div_scale_f32 v5, vcc_lo, v0, v1, v0
	s_delay_alu instid0(VALU_DEP_2) | instskip(SKIP_1) | instid1(TRANS32_DEP_1)
	v_rcp_f32_e32 v3, v2
	v_nop
	v_fma_f32 v4, -v2, v3, 1.0
	s_delay_alu instid0(VALU_DEP_1) | instskip(NEXT) | instid1(VALU_DEP_1)
	v_fmac_f32_e32 v3, v4, v3
	v_mul_f32_e32 v4, v5, v3
	s_delay_alu instid0(VALU_DEP_1) | instskip(NEXT) | instid1(VALU_DEP_1)
	v_fma_f32 v6, -v2, v4, v5
	v_fmac_f32_e32 v4, v6, v3
	s_delay_alu instid0(VALU_DEP_1) | instskip(NEXT) | instid1(VALU_DEP_1)
	v_fma_f32 v2, -v2, v4, v5
	v_div_fmas_f32 v2, v2, v3, v4
	s_delay_alu instid0(VALU_DEP_1) | instskip(NEXT) | instid1(VALU_DEP_1)
	v_div_fixup_f32 v2, v2, v1, v0
	v_fmac_f32_e32 v1, v0, v2
	s_delay_alu instid0(VALU_DEP_1) | instskip(SKIP_1) | instid1(VALU_DEP_2)
	v_div_scale_f32 v0, null, v1, v1, 1.0
	v_div_scale_f32 v5, vcc_lo, 1.0, v1, 1.0
	v_rcp_f32_e32 v3, v0
	v_nop
	s_delay_alu instid0(TRANS32_DEP_1) | instskip(NEXT) | instid1(VALU_DEP_1)
	v_fma_f32 v4, -v0, v3, 1.0
	v_fmac_f32_e32 v3, v4, v3
	s_delay_alu instid0(VALU_DEP_1) | instskip(NEXT) | instid1(VALU_DEP_1)
	v_mul_f32_e32 v4, v5, v3
	v_fma_f32 v6, -v0, v4, v5
	s_delay_alu instid0(VALU_DEP_1) | instskip(NEXT) | instid1(VALU_DEP_1)
	v_fmac_f32_e32 v4, v6, v3
	v_fma_f32 v0, -v0, v4, v5
	s_delay_alu instid0(VALU_DEP_1) | instskip(NEXT) | instid1(VALU_DEP_1)
	v_div_fmas_f32 v0, v0, v3, v4
	v_div_fixup_f32 v0, v0, v1, 1.0
	s_delay_alu instid0(VALU_DEP_1)
	v_mul_f32_e32 v2, v2, v0
	v_xor_b32_e32 v3, 0x80000000, v0
                                        ; implicit-def: $vgpr0_vgpr1
.LBB93_194:
	s_and_not1_saveexec_b32 s1, s1
	s_cbranch_execz .LBB93_196
; %bb.195:
	v_div_scale_f32 v2, null, v0, v0, v1
	v_div_scale_f32 v5, vcc_lo, v1, v0, v1
	s_delay_alu instid0(VALU_DEP_2) | instskip(SKIP_1) | instid1(TRANS32_DEP_1)
	v_rcp_f32_e32 v3, v2
	v_nop
	v_fma_f32 v4, -v2, v3, 1.0
	s_delay_alu instid0(VALU_DEP_1) | instskip(NEXT) | instid1(VALU_DEP_1)
	v_fmac_f32_e32 v3, v4, v3
	v_mul_f32_e32 v4, v5, v3
	s_delay_alu instid0(VALU_DEP_1) | instskip(NEXT) | instid1(VALU_DEP_1)
	v_fma_f32 v6, -v2, v4, v5
	v_fmac_f32_e32 v4, v6, v3
	s_delay_alu instid0(VALU_DEP_1) | instskip(NEXT) | instid1(VALU_DEP_1)
	v_fma_f32 v2, -v2, v4, v5
	v_div_fmas_f32 v2, v2, v3, v4
	s_delay_alu instid0(VALU_DEP_1) | instskip(NEXT) | instid1(VALU_DEP_1)
	v_div_fixup_f32 v3, v2, v0, v1
	v_fmac_f32_e32 v0, v1, v3
	s_delay_alu instid0(VALU_DEP_1) | instskip(NEXT) | instid1(VALU_DEP_1)
	v_div_scale_f32 v1, null, v0, v0, 1.0
	v_rcp_f32_e32 v2, v1
	v_nop
	s_delay_alu instid0(TRANS32_DEP_1) | instskip(NEXT) | instid1(VALU_DEP_1)
	v_fma_f32 v4, -v1, v2, 1.0
	v_fmac_f32_e32 v2, v4, v2
	v_div_scale_f32 v4, vcc_lo, 1.0, v0, 1.0
	s_delay_alu instid0(VALU_DEP_1) | instskip(NEXT) | instid1(VALU_DEP_1)
	v_mul_f32_e32 v5, v4, v2
	v_fma_f32 v6, -v1, v5, v4
	s_delay_alu instid0(VALU_DEP_1) | instskip(NEXT) | instid1(VALU_DEP_1)
	v_fmac_f32_e32 v5, v6, v2
	v_fma_f32 v1, -v1, v5, v4
	s_delay_alu instid0(VALU_DEP_1) | instskip(NEXT) | instid1(VALU_DEP_1)
	v_div_fmas_f32 v1, v1, v2, v5
	v_div_fixup_f32 v2, v1, v0, 1.0
	s_delay_alu instid0(VALU_DEP_1)
	v_mul_f32_e64 v3, v3, -v2
.LBB93_196:
	s_or_b32 exec_lo, exec_lo, s1
	ds_store_b64 v37, v[2:3]
.LBB93_197:
	s_or_b32 exec_lo, exec_lo, s2
	s_wait_dscnt 0x0
	s_barrier_signal -1
	s_barrier_wait -1
	ds_load_b64 v[232:233], v37
	s_mov_b32 s1, exec_lo
	v_cmpx_lt_u32_e32 21, v36
	s_cbranch_execz .LBB93_199
; %bb.198:
	ds_load_2addr_b64 v[4:7], v40 offset0:22 offset1:23
	s_wait_dscnt 0x1
	v_pk_mul_f32 v[2:3], v[232:233], v[90:91] op_sel:[1,1] op_sel_hi:[0,1]
	s_delay_alu instid0(VALU_DEP_1) | instskip(SKIP_1) | instid1(VALU_DEP_1)
	v_pk_fma_f32 v[0:1], v[232:233], v[90:91], v[2:3] op_sel_hi:[1,0,1] neg_lo:[0,0,1] neg_hi:[0,0,1]
	v_pk_fma_f32 v[2:3], v[232:233], v[90:91], v[2:3] op_sel_hi:[1,0,1]
	v_dual_mov_b32 v90, v0 :: v_dual_mov_b32 v91, v3
	s_wait_dscnt 0x0
	s_delay_alu instid0(VALU_DEP_2) | instskip(NEXT) | instid1(VALU_DEP_1)
	v_pk_mul_f32 v[8:9], v[4:5], v[2:3] op_sel:[0,1]
	v_pk_fma_f32 v[10:11], v[4:5], v[0:1], v[8:9] op_sel:[0,0,1] op_sel_hi:[1,1,0] neg_lo:[0,0,1] neg_hi:[0,0,1]
	v_pk_fma_f32 v[4:5], v[4:5], v[0:1], v[8:9] op_sel:[0,0,1] op_sel_hi:[1,0,0]
	s_delay_alu instid0(VALU_DEP_1) | instskip(SKIP_1) | instid1(VALU_DEP_1)
	v_mov_b32_e32 v11, v5
	v_pk_mul_f32 v[4:5], v[6:7], v[2:3] op_sel:[0,1]
	v_pk_fma_f32 v[8:9], v[6:7], v[0:1], v[4:5] op_sel:[0,0,1] op_sel_hi:[1,1,0] neg_lo:[0,0,1] neg_hi:[0,0,1]
	v_pk_fma_f32 v[4:5], v[6:7], v[0:1], v[4:5] op_sel:[0,0,1] op_sel_hi:[1,0,0]
	s_delay_alu instid0(VALU_DEP_1)
	v_mov_b32_e32 v9, v5
	ds_load_2addr_b64 v[4:7], v40 offset0:24 offset1:25
	v_pk_add_f32 v[92:93], v[92:93], v[10:11] neg_lo:[0,1] neg_hi:[0,1]
	v_pk_add_f32 v[88:89], v[88:89], v[8:9] neg_lo:[0,1] neg_hi:[0,1]
	s_wait_dscnt 0x0
	v_pk_mul_f32 v[8:9], v[4:5], v[2:3] op_sel:[0,1]
	s_delay_alu instid0(VALU_DEP_1) | instskip(SKIP_2) | instid1(VALU_DEP_2)
	v_pk_fma_f32 v[10:11], v[4:5], v[0:1], v[8:9] op_sel:[0,0,1] op_sel_hi:[1,1,0] neg_lo:[0,0,1] neg_hi:[0,0,1]
	v_pk_fma_f32 v[4:5], v[4:5], v[0:1], v[8:9] op_sel:[0,0,1] op_sel_hi:[1,0,0]
	v_dual_mul_f32 v8, v7, v3 :: v_dual_mov_b32 v4, v7
	v_dual_mov_b32 v11, v5 :: v_dual_mov_b32 v5, v6
	s_delay_alu instid0(VALU_DEP_2) | instskip(SKIP_1) | instid1(VALU_DEP_3)
	v_pk_fma_f32 v[8:9], v[6:7], v[90:91], v[8:9] op_sel_hi:[1,1,0] neg_lo:[0,0,1] neg_hi:[0,0,1]
	v_mul_f32_e32 v6, v7, v0
	v_pk_add_f32 v[112:113], v[112:113], v[10:11] neg_lo:[0,1] neg_hi:[0,1]
	s_delay_alu instid0(VALU_DEP_2) | instskip(NEXT) | instid1(VALU_DEP_1)
	v_pk_fma_f32 v[4:5], v[4:5], v[90:91], v[6:7] op_sel_hi:[1,1,0]
	v_mov_b32_e32 v9, v5
	ds_load_2addr_b64 v[4:7], v40 offset0:26 offset1:27
	v_pk_add_f32 v[108:109], v[108:109], v[8:9] neg_lo:[0,1] neg_hi:[0,1]
	s_wait_dscnt 0x0
	v_pk_mul_f32 v[8:9], v[4:5], v[2:3] op_sel:[0,1]
	s_delay_alu instid0(VALU_DEP_1) | instskip(SKIP_1) | instid1(VALU_DEP_1)
	v_pk_fma_f32 v[10:11], v[4:5], v[0:1], v[8:9] op_sel:[0,0,1] op_sel_hi:[1,1,0] neg_lo:[0,0,1] neg_hi:[0,0,1]
	v_pk_fma_f32 v[4:5], v[4:5], v[0:1], v[8:9] op_sel:[0,0,1] op_sel_hi:[1,0,0]
	v_mov_b32_e32 v11, v5
	v_pk_mul_f32 v[4:5], v[6:7], v[2:3] op_sel:[0,1]
	s_delay_alu instid0(VALU_DEP_1) | instskip(SKIP_1) | instid1(VALU_DEP_1)
	v_pk_fma_f32 v[8:9], v[6:7], v[0:1], v[4:5] op_sel:[0,0,1] op_sel_hi:[1,1,0] neg_lo:[0,0,1] neg_hi:[0,0,1]
	v_pk_fma_f32 v[4:5], v[6:7], v[0:1], v[4:5] op_sel:[0,0,1] op_sel_hi:[1,0,0]
	v_mov_b32_e32 v9, v5
	ds_load_2addr_b64 v[4:7], v40 offset0:28 offset1:29
	v_pk_add_f32 v[110:111], v[110:111], v[10:11] neg_lo:[0,1] neg_hi:[0,1]
	v_pk_add_f32 v[106:107], v[106:107], v[8:9] neg_lo:[0,1] neg_hi:[0,1]
	s_wait_dscnt 0x0
	v_pk_mul_f32 v[8:9], v[4:5], v[2:3] op_sel:[0,1]
	s_delay_alu instid0(VALU_DEP_1) | instskip(SKIP_1) | instid1(VALU_DEP_1)
	v_pk_fma_f32 v[10:11], v[4:5], v[0:1], v[8:9] op_sel:[0,0,1] op_sel_hi:[1,1,0] neg_lo:[0,0,1] neg_hi:[0,0,1]
	v_pk_fma_f32 v[4:5], v[4:5], v[0:1], v[8:9] op_sel:[0,0,1] op_sel_hi:[1,0,0]
	v_mov_b32_e32 v11, v5
	v_pk_mul_f32 v[4:5], v[6:7], v[2:3] op_sel:[0,1]
	s_delay_alu instid0(VALU_DEP_1) | instskip(SKIP_1) | instid1(VALU_DEP_1)
	v_pk_fma_f32 v[8:9], v[6:7], v[0:1], v[4:5] op_sel:[0,0,1] op_sel_hi:[1,1,0] neg_lo:[0,0,1] neg_hi:[0,0,1]
	v_pk_fma_f32 v[4:5], v[6:7], v[0:1], v[4:5] op_sel:[0,0,1] op_sel_hi:[1,0,0]
	v_mov_b32_e32 v9, v5
	ds_load_2addr_b64 v[4:7], v40 offset0:30 offset1:31
	v_pk_add_f32 v[128:129], v[128:129], v[10:11] neg_lo:[0,1] neg_hi:[0,1]
	v_pk_add_f32 v[124:125], v[124:125], v[8:9] neg_lo:[0,1] neg_hi:[0,1]
	s_wait_dscnt 0x0
	v_dual_mul_f32 v8, v5, v3 :: v_dual_mul_f32 v10, v5, v0
	s_delay_alu instid0(VALU_DEP_1) | instskip(NEXT) | instid1(VALU_DEP_2)
	v_pk_fma_f32 v[8:9], v[4:5], v[90:91], v[8:9] op_sel_hi:[1,1,0] neg_lo:[0,0,1] neg_hi:[0,0,1]
	v_pk_fma_f32 v[4:5], v[4:5], v[90:91], v[10:11] op_sel:[1,0,0] op_sel_hi:[0,1,0]
	s_delay_alu instid0(VALU_DEP_1) | instskip(SKIP_1) | instid1(VALU_DEP_2)
	v_mov_b32_e32 v9, v5
	v_pk_mul_f32 v[4:5], v[6:7], v[2:3] op_sel:[0,1]
	v_pk_add_f32 v[126:127], v[126:127], v[8:9] neg_lo:[0,1] neg_hi:[0,1]
	s_delay_alu instid0(VALU_DEP_2) | instskip(SKIP_1) | instid1(VALU_DEP_1)
	v_pk_fma_f32 v[8:9], v[6:7], v[0:1], v[4:5] op_sel:[0,0,1] op_sel_hi:[1,1,0] neg_lo:[0,0,1] neg_hi:[0,0,1]
	v_pk_fma_f32 v[4:5], v[6:7], v[0:1], v[4:5] op_sel:[0,0,1] op_sel_hi:[1,0,0]
	v_mov_b32_e32 v9, v5
	ds_load_2addr_b64 v[4:7], v40 offset0:32 offset1:33
	v_pk_add_f32 v[122:123], v[122:123], v[8:9] neg_lo:[0,1] neg_hi:[0,1]
	s_wait_dscnt 0x0
	v_pk_mul_f32 v[8:9], v[4:5], v[2:3] op_sel:[0,1]
	s_delay_alu instid0(VALU_DEP_1) | instskip(SKIP_1) | instid1(VALU_DEP_1)
	v_pk_fma_f32 v[10:11], v[4:5], v[0:1], v[8:9] op_sel:[0,0,1] op_sel_hi:[1,1,0] neg_lo:[0,0,1] neg_hi:[0,0,1]
	v_pk_fma_f32 v[4:5], v[4:5], v[0:1], v[8:9] op_sel:[0,0,1] op_sel_hi:[1,0,0]
	v_mov_b32_e32 v11, v5
	v_pk_mul_f32 v[4:5], v[6:7], v[2:3] op_sel:[0,1]
	s_delay_alu instid0(VALU_DEP_2) | instskip(NEXT) | instid1(VALU_DEP_2)
	v_pk_add_f32 v[144:145], v[144:145], v[10:11] neg_lo:[0,1] neg_hi:[0,1]
	v_pk_fma_f32 v[8:9], v[6:7], v[0:1], v[4:5] op_sel:[0,0,1] op_sel_hi:[1,1,0] neg_lo:[0,0,1] neg_hi:[0,0,1]
	v_pk_fma_f32 v[4:5], v[6:7], v[0:1], v[4:5] op_sel:[0,0,1] op_sel_hi:[1,0,0]
	s_delay_alu instid0(VALU_DEP_1) | instskip(SKIP_4) | instid1(VALU_DEP_1)
	v_mov_b32_e32 v9, v5
	ds_load_2addr_b64 v[4:7], v40 offset0:34 offset1:35
	v_pk_add_f32 v[140:141], v[140:141], v[8:9] neg_lo:[0,1] neg_hi:[0,1]
	s_wait_dscnt 0x0
	v_pk_mul_f32 v[8:9], v[4:5], v[2:3] op_sel:[0,1]
	v_pk_fma_f32 v[10:11], v[4:5], v[0:1], v[8:9] op_sel:[0,0,1] op_sel_hi:[1,1,0] neg_lo:[0,0,1] neg_hi:[0,0,1]
	v_pk_fma_f32 v[4:5], v[4:5], v[0:1], v[8:9] op_sel:[0,0,1] op_sel_hi:[1,0,0]
	v_dual_mul_f32 v8, v7, v3 :: v_dual_mov_b32 v4, v7
	s_delay_alu instid0(VALU_DEP_2) | instskip(NEXT) | instid1(VALU_DEP_2)
	v_dual_mov_b32 v11, v5 :: v_dual_mov_b32 v5, v6
	v_pk_fma_f32 v[8:9], v[6:7], v[90:91], v[8:9] op_sel_hi:[1,1,0] neg_lo:[0,0,1] neg_hi:[0,0,1]
	v_mul_f32_e32 v6, v7, v0
	s_delay_alu instid0(VALU_DEP_3) | instskip(NEXT) | instid1(VALU_DEP_2)
	v_pk_add_f32 v[142:143], v[142:143], v[10:11] neg_lo:[0,1] neg_hi:[0,1]
	v_pk_fma_f32 v[4:5], v[4:5], v[90:91], v[6:7] op_sel_hi:[1,1,0]
	s_delay_alu instid0(VALU_DEP_1) | instskip(SKIP_4) | instid1(VALU_DEP_1)
	v_mov_b32_e32 v9, v5
	ds_load_2addr_b64 v[4:7], v40 offset0:36 offset1:37
	v_pk_add_f32 v[138:139], v[138:139], v[8:9] neg_lo:[0,1] neg_hi:[0,1]
	s_wait_dscnt 0x0
	v_pk_mul_f32 v[8:9], v[4:5], v[2:3] op_sel:[0,1]
	v_pk_fma_f32 v[10:11], v[4:5], v[0:1], v[8:9] op_sel:[0,0,1] op_sel_hi:[1,1,0] neg_lo:[0,0,1] neg_hi:[0,0,1]
	v_pk_fma_f32 v[4:5], v[4:5], v[0:1], v[8:9] op_sel:[0,0,1] op_sel_hi:[1,0,0]
	s_delay_alu instid0(VALU_DEP_1) | instskip(SKIP_1) | instid1(VALU_DEP_1)
	v_mov_b32_e32 v11, v5
	v_pk_mul_f32 v[4:5], v[6:7], v[2:3] op_sel:[0,1]
	v_pk_fma_f32 v[8:9], v[6:7], v[0:1], v[4:5] op_sel:[0,0,1] op_sel_hi:[1,1,0] neg_lo:[0,0,1] neg_hi:[0,0,1]
	v_pk_fma_f32 v[4:5], v[6:7], v[0:1], v[4:5] op_sel:[0,0,1] op_sel_hi:[1,0,0]
	s_delay_alu instid0(VALU_DEP_1)
	v_mov_b32_e32 v9, v5
	ds_load_2addr_b64 v[4:7], v40 offset0:38 offset1:39
	v_pk_add_f32 v[162:163], v[162:163], v[10:11] neg_lo:[0,1] neg_hi:[0,1]
	v_pk_add_f32 v[158:159], v[158:159], v[8:9] neg_lo:[0,1] neg_hi:[0,1]
	s_wait_dscnt 0x0
	v_pk_mul_f32 v[8:9], v[4:5], v[2:3] op_sel:[0,1]
	s_delay_alu instid0(VALU_DEP_1) | instskip(SKIP_1) | instid1(VALU_DEP_1)
	v_pk_fma_f32 v[10:11], v[4:5], v[0:1], v[8:9] op_sel:[0,0,1] op_sel_hi:[1,1,0] neg_lo:[0,0,1] neg_hi:[0,0,1]
	v_pk_fma_f32 v[4:5], v[4:5], v[0:1], v[8:9] op_sel:[0,0,1] op_sel_hi:[1,0,0]
	v_mov_b32_e32 v11, v5
	v_pk_mul_f32 v[4:5], v[6:7], v[2:3] op_sel:[0,1]
	s_delay_alu instid0(VALU_DEP_1) | instskip(SKIP_1) | instid1(VALU_DEP_1)
	v_pk_fma_f32 v[8:9], v[6:7], v[0:1], v[4:5] op_sel:[0,0,1] op_sel_hi:[1,1,0] neg_lo:[0,0,1] neg_hi:[0,0,1]
	v_pk_fma_f32 v[4:5], v[6:7], v[0:1], v[4:5] op_sel:[0,0,1] op_sel_hi:[1,0,0]
	v_mov_b32_e32 v9, v5
	ds_load_2addr_b64 v[4:7], v40 offset0:40 offset1:41
	v_pk_add_f32 v[160:161], v[160:161], v[10:11] neg_lo:[0,1] neg_hi:[0,1]
	v_pk_add_f32 v[156:157], v[156:157], v[8:9] neg_lo:[0,1] neg_hi:[0,1]
	s_wait_dscnt 0x0
	v_dual_mul_f32 v8, v5, v3 :: v_dual_mul_f32 v10, v5, v0
	s_delay_alu instid0(VALU_DEP_1) | instskip(NEXT) | instid1(VALU_DEP_2)
	v_pk_fma_f32 v[8:9], v[4:5], v[90:91], v[8:9] op_sel_hi:[1,1,0] neg_lo:[0,0,1] neg_hi:[0,0,1]
	v_pk_fma_f32 v[4:5], v[4:5], v[90:91], v[10:11] op_sel:[1,0,0] op_sel_hi:[0,1,0]
	s_delay_alu instid0(VALU_DEP_1) | instskip(SKIP_1) | instid1(VALU_DEP_2)
	v_mov_b32_e32 v9, v5
	v_pk_mul_f32 v[4:5], v[6:7], v[2:3] op_sel:[0,1]
	v_pk_add_f32 v[182:183], v[182:183], v[8:9] neg_lo:[0,1] neg_hi:[0,1]
	s_delay_alu instid0(VALU_DEP_2) | instskip(SKIP_1) | instid1(VALU_DEP_1)
	v_pk_fma_f32 v[8:9], v[6:7], v[0:1], v[4:5] op_sel:[0,0,1] op_sel_hi:[1,1,0] neg_lo:[0,0,1] neg_hi:[0,0,1]
	v_pk_fma_f32 v[4:5], v[6:7], v[0:1], v[4:5] op_sel:[0,0,1] op_sel_hi:[1,0,0]
	v_mov_b32_e32 v9, v5
	ds_load_2addr_b64 v[4:7], v40 offset0:42 offset1:43
	v_pk_add_f32 v[176:177], v[176:177], v[8:9] neg_lo:[0,1] neg_hi:[0,1]
	s_wait_dscnt 0x0
	v_pk_mul_f32 v[8:9], v[4:5], v[2:3] op_sel:[0,1]
	s_delay_alu instid0(VALU_DEP_1) | instskip(SKIP_1) | instid1(VALU_DEP_1)
	v_pk_fma_f32 v[10:11], v[4:5], v[0:1], v[8:9] op_sel:[0,0,1] op_sel_hi:[1,1,0] neg_lo:[0,0,1] neg_hi:[0,0,1]
	v_pk_fma_f32 v[4:5], v[4:5], v[0:1], v[8:9] op_sel:[0,0,1] op_sel_hi:[1,0,0]
	v_mov_b32_e32 v11, v5
	v_pk_mul_f32 v[4:5], v[6:7], v[2:3] op_sel:[0,1]
	s_delay_alu instid0(VALU_DEP_2) | instskip(NEXT) | instid1(VALU_DEP_2)
	v_pk_add_f32 v[180:181], v[180:181], v[10:11] neg_lo:[0,1] neg_hi:[0,1]
	v_pk_fma_f32 v[8:9], v[6:7], v[0:1], v[4:5] op_sel:[0,0,1] op_sel_hi:[1,1,0] neg_lo:[0,0,1] neg_hi:[0,0,1]
	v_pk_fma_f32 v[4:5], v[6:7], v[0:1], v[4:5] op_sel:[0,0,1] op_sel_hi:[1,0,0]
	s_delay_alu instid0(VALU_DEP_1) | instskip(SKIP_4) | instid1(VALU_DEP_1)
	v_mov_b32_e32 v9, v5
	ds_load_2addr_b64 v[4:7], v40 offset0:44 offset1:45
	v_pk_add_f32 v[174:175], v[174:175], v[8:9] neg_lo:[0,1] neg_hi:[0,1]
	s_wait_dscnt 0x0
	v_pk_mul_f32 v[8:9], v[4:5], v[2:3] op_sel:[0,1]
	v_pk_fma_f32 v[10:11], v[4:5], v[0:1], v[8:9] op_sel:[0,0,1] op_sel_hi:[1,1,0] neg_lo:[0,0,1] neg_hi:[0,0,1]
	v_pk_fma_f32 v[4:5], v[4:5], v[0:1], v[8:9] op_sel:[0,0,1] op_sel_hi:[1,0,0]
	v_dual_mul_f32 v8, v7, v3 :: v_dual_mov_b32 v4, v7
	s_delay_alu instid0(VALU_DEP_2) | instskip(NEXT) | instid1(VALU_DEP_2)
	v_dual_mov_b32 v11, v5 :: v_dual_mov_b32 v5, v6
	v_pk_fma_f32 v[8:9], v[6:7], v[90:91], v[8:9] op_sel_hi:[1,1,0] neg_lo:[0,0,1] neg_hi:[0,0,1]
	v_mul_f32_e32 v6, v7, v0
	s_delay_alu instid0(VALU_DEP_3) | instskip(NEXT) | instid1(VALU_DEP_2)
	v_pk_add_f32 v[178:179], v[178:179], v[10:11] neg_lo:[0,1] neg_hi:[0,1]
	v_pk_fma_f32 v[4:5], v[4:5], v[90:91], v[6:7] op_sel_hi:[1,1,0]
	s_delay_alu instid0(VALU_DEP_1) | instskip(SKIP_4) | instid1(VALU_DEP_1)
	v_mov_b32_e32 v9, v5
	ds_load_b64 v[4:5], v40 offset:368
	v_pk_add_f32 v[186:187], v[186:187], v[8:9] neg_lo:[0,1] neg_hi:[0,1]
	s_wait_dscnt 0x0
	v_pk_mul_f32 v[2:3], v[4:5], v[2:3] op_sel:[0,1]
	v_pk_fma_f32 v[6:7], v[4:5], v[0:1], v[2:3] op_sel:[0,0,1] op_sel_hi:[1,1,0] neg_lo:[0,0,1] neg_hi:[0,0,1]
	v_pk_fma_f32 v[0:1], v[4:5], v[0:1], v[2:3] op_sel:[0,0,1] op_sel_hi:[1,0,0]
	s_delay_alu instid0(VALU_DEP_1) | instskip(NEXT) | instid1(VALU_DEP_1)
	v_mov_b32_e32 v7, v1
	v_pk_add_f32 v[188:189], v[188:189], v[6:7] neg_lo:[0,1] neg_hi:[0,1]
.LBB93_199:
	s_or_b32 exec_lo, exec_lo, s1
	s_delay_alu instid0(SALU_CYCLE_1)
	s_mov_b32 s2, exec_lo
	s_wait_dscnt 0x0
	s_barrier_signal -1
	s_barrier_wait -1
	v_cmpx_eq_u32_e32 22, v36
	s_cbranch_execz .LBB93_206
; %bb.200:
	ds_store_b64 v37, v[92:93]
	ds_store_2addr_b64 v40, v[88:89], v[112:113] offset0:23 offset1:24
	ds_store_2addr_b64 v40, v[108:109], v[110:111] offset0:25 offset1:26
	;; [unrolled: 1-line block ×12, first 2 shown]
	ds_load_b64 v[0:1], v37
	s_wait_dscnt 0x0
	v_cmp_neq_f32_e32 vcc_lo, 0, v0
	v_cmp_neq_f32_e64 s1, 0, v1
	s_or_b32 s1, vcc_lo, s1
	s_delay_alu instid0(SALU_CYCLE_1)
	s_and_b32 exec_lo, exec_lo, s1
	s_cbranch_execz .LBB93_206
; %bb.201:
	v_cmp_ngt_f32_e64 s1, |v0|, |v1|
                                        ; implicit-def: $vgpr2_vgpr3
	s_and_saveexec_b32 s4, s1
	s_delay_alu instid0(SALU_CYCLE_1)
	s_xor_b32 s1, exec_lo, s4
	s_cbranch_execz .LBB93_203
; %bb.202:
	v_div_scale_f32 v2, null, v1, v1, v0
	v_div_scale_f32 v5, vcc_lo, v0, v1, v0
	s_delay_alu instid0(VALU_DEP_2) | instskip(SKIP_1) | instid1(TRANS32_DEP_1)
	v_rcp_f32_e32 v3, v2
	v_nop
	v_fma_f32 v4, -v2, v3, 1.0
	s_delay_alu instid0(VALU_DEP_1) | instskip(NEXT) | instid1(VALU_DEP_1)
	v_fmac_f32_e32 v3, v4, v3
	v_mul_f32_e32 v4, v5, v3
	s_delay_alu instid0(VALU_DEP_1) | instskip(NEXT) | instid1(VALU_DEP_1)
	v_fma_f32 v6, -v2, v4, v5
	v_fmac_f32_e32 v4, v6, v3
	s_delay_alu instid0(VALU_DEP_1) | instskip(NEXT) | instid1(VALU_DEP_1)
	v_fma_f32 v2, -v2, v4, v5
	v_div_fmas_f32 v2, v2, v3, v4
	s_delay_alu instid0(VALU_DEP_1) | instskip(NEXT) | instid1(VALU_DEP_1)
	v_div_fixup_f32 v2, v2, v1, v0
	v_fmac_f32_e32 v1, v0, v2
	s_delay_alu instid0(VALU_DEP_1) | instskip(SKIP_1) | instid1(VALU_DEP_2)
	v_div_scale_f32 v0, null, v1, v1, 1.0
	v_div_scale_f32 v5, vcc_lo, 1.0, v1, 1.0
	v_rcp_f32_e32 v3, v0
	v_nop
	s_delay_alu instid0(TRANS32_DEP_1) | instskip(NEXT) | instid1(VALU_DEP_1)
	v_fma_f32 v4, -v0, v3, 1.0
	v_fmac_f32_e32 v3, v4, v3
	s_delay_alu instid0(VALU_DEP_1) | instskip(NEXT) | instid1(VALU_DEP_1)
	v_mul_f32_e32 v4, v5, v3
	v_fma_f32 v6, -v0, v4, v5
	s_delay_alu instid0(VALU_DEP_1) | instskip(NEXT) | instid1(VALU_DEP_1)
	v_fmac_f32_e32 v4, v6, v3
	v_fma_f32 v0, -v0, v4, v5
	s_delay_alu instid0(VALU_DEP_1) | instskip(NEXT) | instid1(VALU_DEP_1)
	v_div_fmas_f32 v0, v0, v3, v4
	v_div_fixup_f32 v0, v0, v1, 1.0
	s_delay_alu instid0(VALU_DEP_1)
	v_mul_f32_e32 v2, v2, v0
	v_xor_b32_e32 v3, 0x80000000, v0
                                        ; implicit-def: $vgpr0_vgpr1
.LBB93_203:
	s_and_not1_saveexec_b32 s1, s1
	s_cbranch_execz .LBB93_205
; %bb.204:
	v_div_scale_f32 v2, null, v0, v0, v1
	v_div_scale_f32 v5, vcc_lo, v1, v0, v1
	s_delay_alu instid0(VALU_DEP_2) | instskip(SKIP_1) | instid1(TRANS32_DEP_1)
	v_rcp_f32_e32 v3, v2
	v_nop
	v_fma_f32 v4, -v2, v3, 1.0
	s_delay_alu instid0(VALU_DEP_1) | instskip(NEXT) | instid1(VALU_DEP_1)
	v_fmac_f32_e32 v3, v4, v3
	v_mul_f32_e32 v4, v5, v3
	s_delay_alu instid0(VALU_DEP_1) | instskip(NEXT) | instid1(VALU_DEP_1)
	v_fma_f32 v6, -v2, v4, v5
	v_fmac_f32_e32 v4, v6, v3
	s_delay_alu instid0(VALU_DEP_1) | instskip(NEXT) | instid1(VALU_DEP_1)
	v_fma_f32 v2, -v2, v4, v5
	v_div_fmas_f32 v2, v2, v3, v4
	s_delay_alu instid0(VALU_DEP_1) | instskip(NEXT) | instid1(VALU_DEP_1)
	v_div_fixup_f32 v3, v2, v0, v1
	v_fmac_f32_e32 v0, v1, v3
	s_delay_alu instid0(VALU_DEP_1) | instskip(NEXT) | instid1(VALU_DEP_1)
	v_div_scale_f32 v1, null, v0, v0, 1.0
	v_rcp_f32_e32 v2, v1
	v_nop
	s_delay_alu instid0(TRANS32_DEP_1) | instskip(NEXT) | instid1(VALU_DEP_1)
	v_fma_f32 v4, -v1, v2, 1.0
	v_fmac_f32_e32 v2, v4, v2
	v_div_scale_f32 v4, vcc_lo, 1.0, v0, 1.0
	s_delay_alu instid0(VALU_DEP_1) | instskip(NEXT) | instid1(VALU_DEP_1)
	v_mul_f32_e32 v5, v4, v2
	v_fma_f32 v6, -v1, v5, v4
	s_delay_alu instid0(VALU_DEP_1) | instskip(NEXT) | instid1(VALU_DEP_1)
	v_fmac_f32_e32 v5, v6, v2
	v_fma_f32 v1, -v1, v5, v4
	s_delay_alu instid0(VALU_DEP_1) | instskip(NEXT) | instid1(VALU_DEP_1)
	v_div_fmas_f32 v1, v1, v2, v5
	v_div_fixup_f32 v2, v1, v0, 1.0
	s_delay_alu instid0(VALU_DEP_1)
	v_mul_f32_e64 v3, v3, -v2
.LBB93_205:
	s_or_b32 exec_lo, exec_lo, s1
	ds_store_b64 v37, v[2:3]
.LBB93_206:
	s_or_b32 exec_lo, exec_lo, s2
	s_wait_dscnt 0x0
	s_barrier_signal -1
	s_barrier_wait -1
	ds_load_b64 v[234:235], v37
	s_mov_b32 s1, exec_lo
	v_cmpx_lt_u32_e32 22, v36
	s_cbranch_execz .LBB93_208
; %bb.207:
	ds_load_2addr_b64 v[4:7], v40 offset0:23 offset1:24
	s_wait_dscnt 0x1
	v_pk_mul_f32 v[2:3], v[234:235], v[92:93] op_sel:[1,1] op_sel_hi:[0,1]
	s_delay_alu instid0(VALU_DEP_1) | instskip(SKIP_1) | instid1(VALU_DEP_1)
	v_pk_fma_f32 v[0:1], v[234:235], v[92:93], v[2:3] op_sel_hi:[1,0,1] neg_lo:[0,0,1] neg_hi:[0,0,1]
	v_pk_fma_f32 v[2:3], v[234:235], v[92:93], v[2:3] op_sel_hi:[1,0,1]
	v_dual_mov_b32 v92, v0 :: v_dual_mov_b32 v93, v3
	s_wait_dscnt 0x0
	s_delay_alu instid0(VALU_DEP_2) | instskip(NEXT) | instid1(VALU_DEP_1)
	v_pk_mul_f32 v[8:9], v[4:5], v[2:3] op_sel:[0,1]
	v_pk_fma_f32 v[10:11], v[4:5], v[0:1], v[8:9] op_sel:[0,0,1] op_sel_hi:[1,1,0] neg_lo:[0,0,1] neg_hi:[0,0,1]
	v_pk_fma_f32 v[4:5], v[4:5], v[0:1], v[8:9] op_sel:[0,0,1] op_sel_hi:[1,0,0]
	s_delay_alu instid0(VALU_DEP_1) | instskip(SKIP_1) | instid1(VALU_DEP_1)
	v_mov_b32_e32 v11, v5
	v_pk_mul_f32 v[4:5], v[6:7], v[2:3] op_sel:[0,1]
	v_pk_fma_f32 v[8:9], v[6:7], v[0:1], v[4:5] op_sel:[0,0,1] op_sel_hi:[1,1,0] neg_lo:[0,0,1] neg_hi:[0,0,1]
	v_pk_fma_f32 v[4:5], v[6:7], v[0:1], v[4:5] op_sel:[0,0,1] op_sel_hi:[1,0,0]
	s_delay_alu instid0(VALU_DEP_1)
	v_mov_b32_e32 v9, v5
	ds_load_2addr_b64 v[4:7], v40 offset0:25 offset1:26
	v_pk_add_f32 v[88:89], v[88:89], v[10:11] neg_lo:[0,1] neg_hi:[0,1]
	v_pk_add_f32 v[112:113], v[112:113], v[8:9] neg_lo:[0,1] neg_hi:[0,1]
	s_wait_dscnt 0x0
	v_pk_mul_f32 v[8:9], v[4:5], v[2:3] op_sel:[0,1]
	s_delay_alu instid0(VALU_DEP_1) | instskip(SKIP_2) | instid1(VALU_DEP_2)
	v_pk_fma_f32 v[10:11], v[4:5], v[0:1], v[8:9] op_sel:[0,0,1] op_sel_hi:[1,1,0] neg_lo:[0,0,1] neg_hi:[0,0,1]
	v_pk_fma_f32 v[4:5], v[4:5], v[0:1], v[8:9] op_sel:[0,0,1] op_sel_hi:[1,0,0]
	v_dual_mul_f32 v8, v7, v3 :: v_dual_mov_b32 v4, v7
	v_dual_mov_b32 v11, v5 :: v_dual_mov_b32 v5, v6
	s_delay_alu instid0(VALU_DEP_2) | instskip(SKIP_1) | instid1(VALU_DEP_3)
	v_pk_fma_f32 v[8:9], v[6:7], v[92:93], v[8:9] op_sel_hi:[1,1,0] neg_lo:[0,0,1] neg_hi:[0,0,1]
	v_mul_f32_e32 v6, v7, v0
	v_pk_add_f32 v[108:109], v[108:109], v[10:11] neg_lo:[0,1] neg_hi:[0,1]
	s_delay_alu instid0(VALU_DEP_2) | instskip(NEXT) | instid1(VALU_DEP_1)
	v_pk_fma_f32 v[4:5], v[4:5], v[92:93], v[6:7] op_sel_hi:[1,1,0]
	v_mov_b32_e32 v9, v5
	ds_load_2addr_b64 v[4:7], v40 offset0:27 offset1:28
	v_pk_add_f32 v[110:111], v[110:111], v[8:9] neg_lo:[0,1] neg_hi:[0,1]
	s_wait_dscnt 0x0
	v_pk_mul_f32 v[8:9], v[4:5], v[2:3] op_sel:[0,1]
	s_delay_alu instid0(VALU_DEP_1) | instskip(SKIP_1) | instid1(VALU_DEP_1)
	v_pk_fma_f32 v[10:11], v[4:5], v[0:1], v[8:9] op_sel:[0,0,1] op_sel_hi:[1,1,0] neg_lo:[0,0,1] neg_hi:[0,0,1]
	v_pk_fma_f32 v[4:5], v[4:5], v[0:1], v[8:9] op_sel:[0,0,1] op_sel_hi:[1,0,0]
	v_mov_b32_e32 v11, v5
	v_pk_mul_f32 v[4:5], v[6:7], v[2:3] op_sel:[0,1]
	s_delay_alu instid0(VALU_DEP_1) | instskip(SKIP_1) | instid1(VALU_DEP_1)
	v_pk_fma_f32 v[8:9], v[6:7], v[0:1], v[4:5] op_sel:[0,0,1] op_sel_hi:[1,1,0] neg_lo:[0,0,1] neg_hi:[0,0,1]
	v_pk_fma_f32 v[4:5], v[6:7], v[0:1], v[4:5] op_sel:[0,0,1] op_sel_hi:[1,0,0]
	v_mov_b32_e32 v9, v5
	ds_load_2addr_b64 v[4:7], v40 offset0:29 offset1:30
	v_pk_add_f32 v[106:107], v[106:107], v[10:11] neg_lo:[0,1] neg_hi:[0,1]
	v_pk_add_f32 v[128:129], v[128:129], v[8:9] neg_lo:[0,1] neg_hi:[0,1]
	s_wait_dscnt 0x0
	v_pk_mul_f32 v[8:9], v[4:5], v[2:3] op_sel:[0,1]
	s_delay_alu instid0(VALU_DEP_1) | instskip(SKIP_1) | instid1(VALU_DEP_1)
	v_pk_fma_f32 v[10:11], v[4:5], v[0:1], v[8:9] op_sel:[0,0,1] op_sel_hi:[1,1,0] neg_lo:[0,0,1] neg_hi:[0,0,1]
	v_pk_fma_f32 v[4:5], v[4:5], v[0:1], v[8:9] op_sel:[0,0,1] op_sel_hi:[1,0,0]
	v_mov_b32_e32 v11, v5
	v_pk_mul_f32 v[4:5], v[6:7], v[2:3] op_sel:[0,1]
	s_delay_alu instid0(VALU_DEP_1) | instskip(SKIP_1) | instid1(VALU_DEP_1)
	v_pk_fma_f32 v[8:9], v[6:7], v[0:1], v[4:5] op_sel:[0,0,1] op_sel_hi:[1,1,0] neg_lo:[0,0,1] neg_hi:[0,0,1]
	v_pk_fma_f32 v[4:5], v[6:7], v[0:1], v[4:5] op_sel:[0,0,1] op_sel_hi:[1,0,0]
	v_mov_b32_e32 v9, v5
	ds_load_2addr_b64 v[4:7], v40 offset0:31 offset1:32
	v_pk_add_f32 v[124:125], v[124:125], v[10:11] neg_lo:[0,1] neg_hi:[0,1]
	v_pk_add_f32 v[126:127], v[126:127], v[8:9] neg_lo:[0,1] neg_hi:[0,1]
	s_wait_dscnt 0x0
	v_dual_mul_f32 v8, v5, v3 :: v_dual_mul_f32 v10, v5, v0
	s_delay_alu instid0(VALU_DEP_1) | instskip(NEXT) | instid1(VALU_DEP_2)
	v_pk_fma_f32 v[8:9], v[4:5], v[92:93], v[8:9] op_sel_hi:[1,1,0] neg_lo:[0,0,1] neg_hi:[0,0,1]
	v_pk_fma_f32 v[4:5], v[4:5], v[92:93], v[10:11] op_sel:[1,0,0] op_sel_hi:[0,1,0]
	s_delay_alu instid0(VALU_DEP_1) | instskip(SKIP_1) | instid1(VALU_DEP_2)
	v_mov_b32_e32 v9, v5
	v_pk_mul_f32 v[4:5], v[6:7], v[2:3] op_sel:[0,1]
	v_pk_add_f32 v[122:123], v[122:123], v[8:9] neg_lo:[0,1] neg_hi:[0,1]
	s_delay_alu instid0(VALU_DEP_2) | instskip(SKIP_1) | instid1(VALU_DEP_1)
	v_pk_fma_f32 v[8:9], v[6:7], v[0:1], v[4:5] op_sel:[0,0,1] op_sel_hi:[1,1,0] neg_lo:[0,0,1] neg_hi:[0,0,1]
	v_pk_fma_f32 v[4:5], v[6:7], v[0:1], v[4:5] op_sel:[0,0,1] op_sel_hi:[1,0,0]
	v_mov_b32_e32 v9, v5
	ds_load_2addr_b64 v[4:7], v40 offset0:33 offset1:34
	v_pk_add_f32 v[144:145], v[144:145], v[8:9] neg_lo:[0,1] neg_hi:[0,1]
	s_wait_dscnt 0x0
	v_pk_mul_f32 v[8:9], v[4:5], v[2:3] op_sel:[0,1]
	s_delay_alu instid0(VALU_DEP_1) | instskip(SKIP_1) | instid1(VALU_DEP_1)
	v_pk_fma_f32 v[10:11], v[4:5], v[0:1], v[8:9] op_sel:[0,0,1] op_sel_hi:[1,1,0] neg_lo:[0,0,1] neg_hi:[0,0,1]
	v_pk_fma_f32 v[4:5], v[4:5], v[0:1], v[8:9] op_sel:[0,0,1] op_sel_hi:[1,0,0]
	v_mov_b32_e32 v11, v5
	v_pk_mul_f32 v[4:5], v[6:7], v[2:3] op_sel:[0,1]
	s_delay_alu instid0(VALU_DEP_2) | instskip(NEXT) | instid1(VALU_DEP_2)
	v_pk_add_f32 v[140:141], v[140:141], v[10:11] neg_lo:[0,1] neg_hi:[0,1]
	v_pk_fma_f32 v[8:9], v[6:7], v[0:1], v[4:5] op_sel:[0,0,1] op_sel_hi:[1,1,0] neg_lo:[0,0,1] neg_hi:[0,0,1]
	v_pk_fma_f32 v[4:5], v[6:7], v[0:1], v[4:5] op_sel:[0,0,1] op_sel_hi:[1,0,0]
	s_delay_alu instid0(VALU_DEP_1) | instskip(SKIP_4) | instid1(VALU_DEP_1)
	v_mov_b32_e32 v9, v5
	ds_load_2addr_b64 v[4:7], v40 offset0:35 offset1:36
	v_pk_add_f32 v[142:143], v[142:143], v[8:9] neg_lo:[0,1] neg_hi:[0,1]
	s_wait_dscnt 0x0
	v_pk_mul_f32 v[8:9], v[4:5], v[2:3] op_sel:[0,1]
	v_pk_fma_f32 v[10:11], v[4:5], v[0:1], v[8:9] op_sel:[0,0,1] op_sel_hi:[1,1,0] neg_lo:[0,0,1] neg_hi:[0,0,1]
	v_pk_fma_f32 v[4:5], v[4:5], v[0:1], v[8:9] op_sel:[0,0,1] op_sel_hi:[1,0,0]
	v_dual_mul_f32 v8, v7, v3 :: v_dual_mov_b32 v4, v7
	s_delay_alu instid0(VALU_DEP_2) | instskip(NEXT) | instid1(VALU_DEP_2)
	v_dual_mov_b32 v11, v5 :: v_dual_mov_b32 v5, v6
	v_pk_fma_f32 v[8:9], v[6:7], v[92:93], v[8:9] op_sel_hi:[1,1,0] neg_lo:[0,0,1] neg_hi:[0,0,1]
	v_mul_f32_e32 v6, v7, v0
	s_delay_alu instid0(VALU_DEP_3) | instskip(NEXT) | instid1(VALU_DEP_2)
	v_pk_add_f32 v[138:139], v[138:139], v[10:11] neg_lo:[0,1] neg_hi:[0,1]
	v_pk_fma_f32 v[4:5], v[4:5], v[92:93], v[6:7] op_sel_hi:[1,1,0]
	s_delay_alu instid0(VALU_DEP_1) | instskip(SKIP_4) | instid1(VALU_DEP_1)
	v_mov_b32_e32 v9, v5
	ds_load_2addr_b64 v[4:7], v40 offset0:37 offset1:38
	v_pk_add_f32 v[162:163], v[162:163], v[8:9] neg_lo:[0,1] neg_hi:[0,1]
	s_wait_dscnt 0x0
	v_pk_mul_f32 v[8:9], v[4:5], v[2:3] op_sel:[0,1]
	v_pk_fma_f32 v[10:11], v[4:5], v[0:1], v[8:9] op_sel:[0,0,1] op_sel_hi:[1,1,0] neg_lo:[0,0,1] neg_hi:[0,0,1]
	v_pk_fma_f32 v[4:5], v[4:5], v[0:1], v[8:9] op_sel:[0,0,1] op_sel_hi:[1,0,0]
	s_delay_alu instid0(VALU_DEP_1) | instskip(SKIP_1) | instid1(VALU_DEP_1)
	v_mov_b32_e32 v11, v5
	v_pk_mul_f32 v[4:5], v[6:7], v[2:3] op_sel:[0,1]
	v_pk_fma_f32 v[8:9], v[6:7], v[0:1], v[4:5] op_sel:[0,0,1] op_sel_hi:[1,1,0] neg_lo:[0,0,1] neg_hi:[0,0,1]
	v_pk_fma_f32 v[4:5], v[6:7], v[0:1], v[4:5] op_sel:[0,0,1] op_sel_hi:[1,0,0]
	s_delay_alu instid0(VALU_DEP_1)
	v_mov_b32_e32 v9, v5
	ds_load_2addr_b64 v[4:7], v40 offset0:39 offset1:40
	v_pk_add_f32 v[158:159], v[158:159], v[10:11] neg_lo:[0,1] neg_hi:[0,1]
	v_pk_add_f32 v[160:161], v[160:161], v[8:9] neg_lo:[0,1] neg_hi:[0,1]
	s_wait_dscnt 0x0
	v_pk_mul_f32 v[8:9], v[4:5], v[2:3] op_sel:[0,1]
	s_delay_alu instid0(VALU_DEP_1) | instskip(SKIP_1) | instid1(VALU_DEP_1)
	v_pk_fma_f32 v[10:11], v[4:5], v[0:1], v[8:9] op_sel:[0,0,1] op_sel_hi:[1,1,0] neg_lo:[0,0,1] neg_hi:[0,0,1]
	v_pk_fma_f32 v[4:5], v[4:5], v[0:1], v[8:9] op_sel:[0,0,1] op_sel_hi:[1,0,0]
	v_mov_b32_e32 v11, v5
	v_pk_mul_f32 v[4:5], v[6:7], v[2:3] op_sel:[0,1]
	s_delay_alu instid0(VALU_DEP_1) | instskip(SKIP_1) | instid1(VALU_DEP_1)
	v_pk_fma_f32 v[8:9], v[6:7], v[0:1], v[4:5] op_sel:[0,0,1] op_sel_hi:[1,1,0] neg_lo:[0,0,1] neg_hi:[0,0,1]
	v_pk_fma_f32 v[4:5], v[6:7], v[0:1], v[4:5] op_sel:[0,0,1] op_sel_hi:[1,0,0]
	v_mov_b32_e32 v9, v5
	ds_load_2addr_b64 v[4:7], v40 offset0:41 offset1:42
	v_pk_add_f32 v[156:157], v[156:157], v[10:11] neg_lo:[0,1] neg_hi:[0,1]
	v_pk_add_f32 v[182:183], v[182:183], v[8:9] neg_lo:[0,1] neg_hi:[0,1]
	s_wait_dscnt 0x0
	v_dual_mul_f32 v8, v5, v3 :: v_dual_mul_f32 v10, v5, v0
	s_delay_alu instid0(VALU_DEP_1) | instskip(NEXT) | instid1(VALU_DEP_2)
	v_pk_fma_f32 v[8:9], v[4:5], v[92:93], v[8:9] op_sel_hi:[1,1,0] neg_lo:[0,0,1] neg_hi:[0,0,1]
	v_pk_fma_f32 v[4:5], v[4:5], v[92:93], v[10:11] op_sel:[1,0,0] op_sel_hi:[0,1,0]
	s_delay_alu instid0(VALU_DEP_1) | instskip(SKIP_1) | instid1(VALU_DEP_2)
	v_mov_b32_e32 v9, v5
	v_pk_mul_f32 v[4:5], v[6:7], v[2:3] op_sel:[0,1]
	v_pk_add_f32 v[176:177], v[176:177], v[8:9] neg_lo:[0,1] neg_hi:[0,1]
	s_delay_alu instid0(VALU_DEP_2) | instskip(SKIP_1) | instid1(VALU_DEP_1)
	v_pk_fma_f32 v[8:9], v[6:7], v[0:1], v[4:5] op_sel:[0,0,1] op_sel_hi:[1,1,0] neg_lo:[0,0,1] neg_hi:[0,0,1]
	v_pk_fma_f32 v[4:5], v[6:7], v[0:1], v[4:5] op_sel:[0,0,1] op_sel_hi:[1,0,0]
	v_mov_b32_e32 v9, v5
	ds_load_2addr_b64 v[4:7], v40 offset0:43 offset1:44
	v_pk_add_f32 v[180:181], v[180:181], v[8:9] neg_lo:[0,1] neg_hi:[0,1]
	s_wait_dscnt 0x0
	v_pk_mul_f32 v[8:9], v[4:5], v[2:3] op_sel:[0,1]
	s_delay_alu instid0(VALU_DEP_1) | instskip(SKIP_1) | instid1(VALU_DEP_1)
	v_pk_fma_f32 v[10:11], v[4:5], v[0:1], v[8:9] op_sel:[0,0,1] op_sel_hi:[1,1,0] neg_lo:[0,0,1] neg_hi:[0,0,1]
	v_pk_fma_f32 v[4:5], v[4:5], v[0:1], v[8:9] op_sel:[0,0,1] op_sel_hi:[1,0,0]
	v_mov_b32_e32 v11, v5
	v_pk_mul_f32 v[4:5], v[6:7], v[2:3] op_sel:[0,1]
	s_delay_alu instid0(VALU_DEP_2) | instskip(NEXT) | instid1(VALU_DEP_2)
	v_pk_add_f32 v[174:175], v[174:175], v[10:11] neg_lo:[0,1] neg_hi:[0,1]
	v_pk_fma_f32 v[8:9], v[6:7], v[0:1], v[4:5] op_sel:[0,0,1] op_sel_hi:[1,1,0] neg_lo:[0,0,1] neg_hi:[0,0,1]
	v_pk_fma_f32 v[4:5], v[6:7], v[0:1], v[4:5] op_sel:[0,0,1] op_sel_hi:[1,0,0]
	s_delay_alu instid0(VALU_DEP_1)
	v_mov_b32_e32 v9, v5
	ds_load_2addr_b64 v[4:7], v40 offset0:45 offset1:46
	v_pk_add_f32 v[178:179], v[178:179], v[8:9] neg_lo:[0,1] neg_hi:[0,1]
	s_wait_dscnt 0x0
	v_pk_mul_f32 v[8:9], v[4:5], v[2:3] op_sel:[0,1]
	v_mul_f32_e32 v2, v7, v3
	s_delay_alu instid0(VALU_DEP_2) | instskip(SKIP_2) | instid1(VALU_DEP_4)
	v_pk_fma_f32 v[10:11], v[4:5], v[0:1], v[8:9] op_sel:[0,0,1] op_sel_hi:[1,1,0] neg_lo:[0,0,1] neg_hi:[0,0,1]
	v_pk_fma_f32 v[4:5], v[4:5], v[0:1], v[8:9] op_sel:[0,0,1] op_sel_hi:[1,0,0]
	v_dual_mov_b32 v4, v7 :: v_dual_mul_f32 v0, v7, v0
	v_pk_fma_f32 v[2:3], v[6:7], v[92:93], v[2:3] op_sel_hi:[1,1,0] neg_lo:[0,0,1] neg_hi:[0,0,1]
	s_delay_alu instid0(VALU_DEP_3) | instskip(NEXT) | instid1(VALU_DEP_1)
	v_dual_mov_b32 v11, v5 :: v_dual_mov_b32 v5, v6
	v_pk_add_f32 v[186:187], v[186:187], v[10:11] neg_lo:[0,1] neg_hi:[0,1]
	s_delay_alu instid0(VALU_DEP_2) | instskip(NEXT) | instid1(VALU_DEP_1)
	v_pk_fma_f32 v[0:1], v[4:5], v[92:93], v[0:1] op_sel_hi:[1,1,0]
	v_mov_b32_e32 v3, v1
	s_delay_alu instid0(VALU_DEP_1)
	v_pk_add_f32 v[188:189], v[188:189], v[2:3] neg_lo:[0,1] neg_hi:[0,1]
.LBB93_208:
	s_or_b32 exec_lo, exec_lo, s1
	s_delay_alu instid0(SALU_CYCLE_1)
	s_mov_b32 s2, exec_lo
	s_wait_dscnt 0x0
	s_barrier_signal -1
	s_barrier_wait -1
	v_cmpx_eq_u32_e32 23, v36
	s_cbranch_execz .LBB93_215
; %bb.209:
	v_dual_mov_b32 v0, v112 :: v_dual_mov_b32 v1, v113
	v_dual_mov_b32 v2, v108 :: v_dual_mov_b32 v3, v109
	ds_store_b64 v37, v[88:89]
	ds_store_2addr_b64 v40, v[0:1], v[2:3] offset0:24 offset1:25
	v_dual_mov_b32 v0, v110 :: v_dual_mov_b32 v1, v111
	v_dual_mov_b32 v2, v106 :: v_dual_mov_b32 v3, v107
	ds_store_2addr_b64 v40, v[0:1], v[2:3] offset0:26 offset1:27
	v_dual_mov_b32 v0, v128 :: v_dual_mov_b32 v1, v129
	v_dual_mov_b32 v2, v124 :: v_dual_mov_b32 v3, v125
	;; [unrolled: 3-line block ×10, first 2 shown]
	ds_store_2addr_b64 v40, v[0:1], v[2:3] offset0:44 offset1:45
	ds_store_b64 v40, v[188:189] offset:368
	ds_load_b64 v[0:1], v37
	s_wait_dscnt 0x0
	v_cmp_neq_f32_e32 vcc_lo, 0, v0
	v_cmp_neq_f32_e64 s1, 0, v1
	s_or_b32 s1, vcc_lo, s1
	s_delay_alu instid0(SALU_CYCLE_1)
	s_and_b32 exec_lo, exec_lo, s1
	s_cbranch_execz .LBB93_215
; %bb.210:
	v_cmp_ngt_f32_e64 s1, |v0|, |v1|
                                        ; implicit-def: $vgpr2_vgpr3
	s_and_saveexec_b32 s4, s1
	s_delay_alu instid0(SALU_CYCLE_1)
	s_xor_b32 s1, exec_lo, s4
	s_cbranch_execz .LBB93_212
; %bb.211:
	v_div_scale_f32 v2, null, v1, v1, v0
	v_div_scale_f32 v5, vcc_lo, v0, v1, v0
	s_delay_alu instid0(VALU_DEP_2) | instskip(SKIP_1) | instid1(TRANS32_DEP_1)
	v_rcp_f32_e32 v3, v2
	v_nop
	v_fma_f32 v4, -v2, v3, 1.0
	s_delay_alu instid0(VALU_DEP_1) | instskip(NEXT) | instid1(VALU_DEP_1)
	v_fmac_f32_e32 v3, v4, v3
	v_mul_f32_e32 v4, v5, v3
	s_delay_alu instid0(VALU_DEP_1) | instskip(NEXT) | instid1(VALU_DEP_1)
	v_fma_f32 v6, -v2, v4, v5
	v_fmac_f32_e32 v4, v6, v3
	s_delay_alu instid0(VALU_DEP_1) | instskip(NEXT) | instid1(VALU_DEP_1)
	v_fma_f32 v2, -v2, v4, v5
	v_div_fmas_f32 v2, v2, v3, v4
	s_delay_alu instid0(VALU_DEP_1) | instskip(NEXT) | instid1(VALU_DEP_1)
	v_div_fixup_f32 v2, v2, v1, v0
	v_fmac_f32_e32 v1, v0, v2
	s_delay_alu instid0(VALU_DEP_1) | instskip(SKIP_1) | instid1(VALU_DEP_2)
	v_div_scale_f32 v0, null, v1, v1, 1.0
	v_div_scale_f32 v5, vcc_lo, 1.0, v1, 1.0
	v_rcp_f32_e32 v3, v0
	v_nop
	s_delay_alu instid0(TRANS32_DEP_1) | instskip(NEXT) | instid1(VALU_DEP_1)
	v_fma_f32 v4, -v0, v3, 1.0
	v_fmac_f32_e32 v3, v4, v3
	s_delay_alu instid0(VALU_DEP_1) | instskip(NEXT) | instid1(VALU_DEP_1)
	v_mul_f32_e32 v4, v5, v3
	v_fma_f32 v6, -v0, v4, v5
	s_delay_alu instid0(VALU_DEP_1) | instskip(NEXT) | instid1(VALU_DEP_1)
	v_fmac_f32_e32 v4, v6, v3
	v_fma_f32 v0, -v0, v4, v5
	s_delay_alu instid0(VALU_DEP_1) | instskip(NEXT) | instid1(VALU_DEP_1)
	v_div_fmas_f32 v0, v0, v3, v4
	v_div_fixup_f32 v0, v0, v1, 1.0
	s_delay_alu instid0(VALU_DEP_1)
	v_mul_f32_e32 v2, v2, v0
	v_xor_b32_e32 v3, 0x80000000, v0
                                        ; implicit-def: $vgpr0_vgpr1
.LBB93_212:
	s_and_not1_saveexec_b32 s1, s1
	s_cbranch_execz .LBB93_214
; %bb.213:
	v_div_scale_f32 v2, null, v0, v0, v1
	v_div_scale_f32 v5, vcc_lo, v1, v0, v1
	s_delay_alu instid0(VALU_DEP_2) | instskip(SKIP_1) | instid1(TRANS32_DEP_1)
	v_rcp_f32_e32 v3, v2
	v_nop
	v_fma_f32 v4, -v2, v3, 1.0
	s_delay_alu instid0(VALU_DEP_1) | instskip(NEXT) | instid1(VALU_DEP_1)
	v_fmac_f32_e32 v3, v4, v3
	v_mul_f32_e32 v4, v5, v3
	s_delay_alu instid0(VALU_DEP_1) | instskip(NEXT) | instid1(VALU_DEP_1)
	v_fma_f32 v6, -v2, v4, v5
	v_fmac_f32_e32 v4, v6, v3
	s_delay_alu instid0(VALU_DEP_1) | instskip(NEXT) | instid1(VALU_DEP_1)
	v_fma_f32 v2, -v2, v4, v5
	v_div_fmas_f32 v2, v2, v3, v4
	s_delay_alu instid0(VALU_DEP_1) | instskip(NEXT) | instid1(VALU_DEP_1)
	v_div_fixup_f32 v3, v2, v0, v1
	v_fmac_f32_e32 v0, v1, v3
	s_delay_alu instid0(VALU_DEP_1) | instskip(NEXT) | instid1(VALU_DEP_1)
	v_div_scale_f32 v1, null, v0, v0, 1.0
	v_rcp_f32_e32 v2, v1
	v_nop
	s_delay_alu instid0(TRANS32_DEP_1) | instskip(NEXT) | instid1(VALU_DEP_1)
	v_fma_f32 v4, -v1, v2, 1.0
	v_fmac_f32_e32 v2, v4, v2
	v_div_scale_f32 v4, vcc_lo, 1.0, v0, 1.0
	s_delay_alu instid0(VALU_DEP_1) | instskip(NEXT) | instid1(VALU_DEP_1)
	v_mul_f32_e32 v5, v4, v2
	v_fma_f32 v6, -v1, v5, v4
	s_delay_alu instid0(VALU_DEP_1) | instskip(NEXT) | instid1(VALU_DEP_1)
	v_fmac_f32_e32 v5, v6, v2
	v_fma_f32 v1, -v1, v5, v4
	s_delay_alu instid0(VALU_DEP_1) | instskip(NEXT) | instid1(VALU_DEP_1)
	v_div_fmas_f32 v1, v1, v2, v5
	v_div_fixup_f32 v2, v1, v0, 1.0
	s_delay_alu instid0(VALU_DEP_1)
	v_mul_f32_e64 v3, v3, -v2
.LBB93_214:
	s_or_b32 exec_lo, exec_lo, s1
	ds_store_b64 v37, v[2:3]
.LBB93_215:
	s_or_b32 exec_lo, exec_lo, s2
	s_wait_dscnt 0x0
	s_barrier_signal -1
	s_barrier_wait -1
	ds_load_b64 v[236:237], v37
	s_mov_b32 s1, exec_lo
	v_cmpx_lt_u32_e32 23, v36
	s_cbranch_execz .LBB93_217
; %bb.216:
	ds_load_2addr_b64 v[4:7], v40 offset0:24 offset1:25
	s_wait_dscnt 0x1
	v_pk_mul_f32 v[2:3], v[236:237], v[88:89] op_sel:[1,1] op_sel_hi:[0,1]
	s_delay_alu instid0(VALU_DEP_1) | instskip(SKIP_1) | instid1(VALU_DEP_1)
	v_pk_fma_f32 v[0:1], v[236:237], v[88:89], v[2:3] op_sel_hi:[1,0,1] neg_lo:[0,0,1] neg_hi:[0,0,1]
	v_pk_fma_f32 v[2:3], v[236:237], v[88:89], v[2:3] op_sel_hi:[1,0,1]
	v_dual_mov_b32 v88, v0 :: v_dual_mov_b32 v89, v3
	s_wait_dscnt 0x0
	s_delay_alu instid0(VALU_DEP_2) | instskip(NEXT) | instid1(VALU_DEP_1)
	v_pk_mul_f32 v[8:9], v[4:5], v[2:3] op_sel:[0,1]
	v_pk_fma_f32 v[10:11], v[4:5], v[0:1], v[8:9] op_sel:[0,0,1] op_sel_hi:[1,1,0] neg_lo:[0,0,1] neg_hi:[0,0,1]
	v_pk_fma_f32 v[4:5], v[4:5], v[0:1], v[8:9] op_sel:[0,0,1] op_sel_hi:[1,0,0]
	s_delay_alu instid0(VALU_DEP_1) | instskip(SKIP_1) | instid1(VALU_DEP_1)
	v_mov_b32_e32 v11, v5
	v_pk_mul_f32 v[4:5], v[6:7], v[2:3] op_sel:[0,1]
	v_pk_fma_f32 v[8:9], v[6:7], v[0:1], v[4:5] op_sel:[0,0,1] op_sel_hi:[1,1,0] neg_lo:[0,0,1] neg_hi:[0,0,1]
	v_pk_fma_f32 v[4:5], v[6:7], v[0:1], v[4:5] op_sel:[0,0,1] op_sel_hi:[1,0,0]
	s_delay_alu instid0(VALU_DEP_1)
	v_mov_b32_e32 v9, v5
	ds_load_2addr_b64 v[4:7], v40 offset0:26 offset1:27
	v_pk_add_f32 v[112:113], v[112:113], v[10:11] neg_lo:[0,1] neg_hi:[0,1]
	v_pk_add_f32 v[108:109], v[108:109], v[8:9] neg_lo:[0,1] neg_hi:[0,1]
	s_wait_dscnt 0x0
	v_pk_mul_f32 v[8:9], v[4:5], v[2:3] op_sel:[0,1]
	s_delay_alu instid0(VALU_DEP_1) | instskip(SKIP_2) | instid1(VALU_DEP_2)
	v_pk_fma_f32 v[10:11], v[4:5], v[0:1], v[8:9] op_sel:[0,0,1] op_sel_hi:[1,1,0] neg_lo:[0,0,1] neg_hi:[0,0,1]
	v_pk_fma_f32 v[4:5], v[4:5], v[0:1], v[8:9] op_sel:[0,0,1] op_sel_hi:[1,0,0]
	v_dual_mul_f32 v8, v7, v3 :: v_dual_mov_b32 v4, v7
	v_dual_mov_b32 v11, v5 :: v_dual_mov_b32 v5, v6
	s_delay_alu instid0(VALU_DEP_2) | instskip(SKIP_1) | instid1(VALU_DEP_3)
	v_pk_fma_f32 v[8:9], v[6:7], v[88:89], v[8:9] op_sel_hi:[1,1,0] neg_lo:[0,0,1] neg_hi:[0,0,1]
	v_mul_f32_e32 v6, v7, v0
	v_pk_add_f32 v[110:111], v[110:111], v[10:11] neg_lo:[0,1] neg_hi:[0,1]
	s_delay_alu instid0(VALU_DEP_2) | instskip(NEXT) | instid1(VALU_DEP_1)
	v_pk_fma_f32 v[4:5], v[4:5], v[88:89], v[6:7] op_sel_hi:[1,1,0]
	v_mov_b32_e32 v9, v5
	ds_load_2addr_b64 v[4:7], v40 offset0:28 offset1:29
	v_pk_add_f32 v[106:107], v[106:107], v[8:9] neg_lo:[0,1] neg_hi:[0,1]
	s_wait_dscnt 0x0
	v_pk_mul_f32 v[8:9], v[4:5], v[2:3] op_sel:[0,1]
	s_delay_alu instid0(VALU_DEP_1) | instskip(SKIP_1) | instid1(VALU_DEP_1)
	v_pk_fma_f32 v[10:11], v[4:5], v[0:1], v[8:9] op_sel:[0,0,1] op_sel_hi:[1,1,0] neg_lo:[0,0,1] neg_hi:[0,0,1]
	v_pk_fma_f32 v[4:5], v[4:5], v[0:1], v[8:9] op_sel:[0,0,1] op_sel_hi:[1,0,0]
	v_mov_b32_e32 v11, v5
	v_pk_mul_f32 v[4:5], v[6:7], v[2:3] op_sel:[0,1]
	s_delay_alu instid0(VALU_DEP_1) | instskip(SKIP_1) | instid1(VALU_DEP_1)
	v_pk_fma_f32 v[8:9], v[6:7], v[0:1], v[4:5] op_sel:[0,0,1] op_sel_hi:[1,1,0] neg_lo:[0,0,1] neg_hi:[0,0,1]
	v_pk_fma_f32 v[4:5], v[6:7], v[0:1], v[4:5] op_sel:[0,0,1] op_sel_hi:[1,0,0]
	v_mov_b32_e32 v9, v5
	ds_load_2addr_b64 v[4:7], v40 offset0:30 offset1:31
	v_pk_add_f32 v[128:129], v[128:129], v[10:11] neg_lo:[0,1] neg_hi:[0,1]
	v_pk_add_f32 v[124:125], v[124:125], v[8:9] neg_lo:[0,1] neg_hi:[0,1]
	s_wait_dscnt 0x0
	v_pk_mul_f32 v[8:9], v[4:5], v[2:3] op_sel:[0,1]
	s_delay_alu instid0(VALU_DEP_1) | instskip(SKIP_1) | instid1(VALU_DEP_1)
	v_pk_fma_f32 v[10:11], v[4:5], v[0:1], v[8:9] op_sel:[0,0,1] op_sel_hi:[1,1,0] neg_lo:[0,0,1] neg_hi:[0,0,1]
	v_pk_fma_f32 v[4:5], v[4:5], v[0:1], v[8:9] op_sel:[0,0,1] op_sel_hi:[1,0,0]
	v_mov_b32_e32 v11, v5
	v_pk_mul_f32 v[4:5], v[6:7], v[2:3] op_sel:[0,1]
	s_delay_alu instid0(VALU_DEP_1) | instskip(SKIP_1) | instid1(VALU_DEP_1)
	v_pk_fma_f32 v[8:9], v[6:7], v[0:1], v[4:5] op_sel:[0,0,1] op_sel_hi:[1,1,0] neg_lo:[0,0,1] neg_hi:[0,0,1]
	v_pk_fma_f32 v[4:5], v[6:7], v[0:1], v[4:5] op_sel:[0,0,1] op_sel_hi:[1,0,0]
	v_mov_b32_e32 v9, v5
	ds_load_2addr_b64 v[4:7], v40 offset0:32 offset1:33
	v_pk_add_f32 v[126:127], v[126:127], v[10:11] neg_lo:[0,1] neg_hi:[0,1]
	v_pk_add_f32 v[122:123], v[122:123], v[8:9] neg_lo:[0,1] neg_hi:[0,1]
	s_wait_dscnt 0x0
	v_dual_mul_f32 v8, v5, v3 :: v_dual_mul_f32 v10, v5, v0
	s_delay_alu instid0(VALU_DEP_1) | instskip(NEXT) | instid1(VALU_DEP_2)
	v_pk_fma_f32 v[8:9], v[4:5], v[88:89], v[8:9] op_sel_hi:[1,1,0] neg_lo:[0,0,1] neg_hi:[0,0,1]
	v_pk_fma_f32 v[4:5], v[4:5], v[88:89], v[10:11] op_sel:[1,0,0] op_sel_hi:[0,1,0]
	s_delay_alu instid0(VALU_DEP_1) | instskip(SKIP_1) | instid1(VALU_DEP_2)
	v_mov_b32_e32 v9, v5
	v_pk_mul_f32 v[4:5], v[6:7], v[2:3] op_sel:[0,1]
	v_pk_add_f32 v[144:145], v[144:145], v[8:9] neg_lo:[0,1] neg_hi:[0,1]
	s_delay_alu instid0(VALU_DEP_2) | instskip(SKIP_1) | instid1(VALU_DEP_1)
	v_pk_fma_f32 v[8:9], v[6:7], v[0:1], v[4:5] op_sel:[0,0,1] op_sel_hi:[1,1,0] neg_lo:[0,0,1] neg_hi:[0,0,1]
	v_pk_fma_f32 v[4:5], v[6:7], v[0:1], v[4:5] op_sel:[0,0,1] op_sel_hi:[1,0,0]
	v_mov_b32_e32 v9, v5
	ds_load_2addr_b64 v[4:7], v40 offset0:34 offset1:35
	v_pk_add_f32 v[140:141], v[140:141], v[8:9] neg_lo:[0,1] neg_hi:[0,1]
	s_wait_dscnt 0x0
	v_pk_mul_f32 v[8:9], v[4:5], v[2:3] op_sel:[0,1]
	s_delay_alu instid0(VALU_DEP_1) | instskip(SKIP_1) | instid1(VALU_DEP_1)
	v_pk_fma_f32 v[10:11], v[4:5], v[0:1], v[8:9] op_sel:[0,0,1] op_sel_hi:[1,1,0] neg_lo:[0,0,1] neg_hi:[0,0,1]
	v_pk_fma_f32 v[4:5], v[4:5], v[0:1], v[8:9] op_sel:[0,0,1] op_sel_hi:[1,0,0]
	v_mov_b32_e32 v11, v5
	v_pk_mul_f32 v[4:5], v[6:7], v[2:3] op_sel:[0,1]
	s_delay_alu instid0(VALU_DEP_2) | instskip(NEXT) | instid1(VALU_DEP_2)
	v_pk_add_f32 v[142:143], v[142:143], v[10:11] neg_lo:[0,1] neg_hi:[0,1]
	v_pk_fma_f32 v[8:9], v[6:7], v[0:1], v[4:5] op_sel:[0,0,1] op_sel_hi:[1,1,0] neg_lo:[0,0,1] neg_hi:[0,0,1]
	v_pk_fma_f32 v[4:5], v[6:7], v[0:1], v[4:5] op_sel:[0,0,1] op_sel_hi:[1,0,0]
	s_delay_alu instid0(VALU_DEP_1) | instskip(SKIP_4) | instid1(VALU_DEP_1)
	v_mov_b32_e32 v9, v5
	ds_load_2addr_b64 v[4:7], v40 offset0:36 offset1:37
	v_pk_add_f32 v[138:139], v[138:139], v[8:9] neg_lo:[0,1] neg_hi:[0,1]
	s_wait_dscnt 0x0
	v_pk_mul_f32 v[8:9], v[4:5], v[2:3] op_sel:[0,1]
	v_pk_fma_f32 v[10:11], v[4:5], v[0:1], v[8:9] op_sel:[0,0,1] op_sel_hi:[1,1,0] neg_lo:[0,0,1] neg_hi:[0,0,1]
	v_pk_fma_f32 v[4:5], v[4:5], v[0:1], v[8:9] op_sel:[0,0,1] op_sel_hi:[1,0,0]
	v_dual_mul_f32 v8, v7, v3 :: v_dual_mov_b32 v4, v7
	s_delay_alu instid0(VALU_DEP_2) | instskip(NEXT) | instid1(VALU_DEP_2)
	v_dual_mov_b32 v11, v5 :: v_dual_mov_b32 v5, v6
	v_pk_fma_f32 v[8:9], v[6:7], v[88:89], v[8:9] op_sel_hi:[1,1,0] neg_lo:[0,0,1] neg_hi:[0,0,1]
	v_mul_f32_e32 v6, v7, v0
	s_delay_alu instid0(VALU_DEP_3) | instskip(NEXT) | instid1(VALU_DEP_2)
	v_pk_add_f32 v[162:163], v[162:163], v[10:11] neg_lo:[0,1] neg_hi:[0,1]
	v_pk_fma_f32 v[4:5], v[4:5], v[88:89], v[6:7] op_sel_hi:[1,1,0]
	s_delay_alu instid0(VALU_DEP_1) | instskip(SKIP_4) | instid1(VALU_DEP_1)
	v_mov_b32_e32 v9, v5
	ds_load_2addr_b64 v[4:7], v40 offset0:38 offset1:39
	v_pk_add_f32 v[158:159], v[158:159], v[8:9] neg_lo:[0,1] neg_hi:[0,1]
	s_wait_dscnt 0x0
	v_pk_mul_f32 v[8:9], v[4:5], v[2:3] op_sel:[0,1]
	v_pk_fma_f32 v[10:11], v[4:5], v[0:1], v[8:9] op_sel:[0,0,1] op_sel_hi:[1,1,0] neg_lo:[0,0,1] neg_hi:[0,0,1]
	v_pk_fma_f32 v[4:5], v[4:5], v[0:1], v[8:9] op_sel:[0,0,1] op_sel_hi:[1,0,0]
	s_delay_alu instid0(VALU_DEP_1) | instskip(SKIP_1) | instid1(VALU_DEP_1)
	v_mov_b32_e32 v11, v5
	v_pk_mul_f32 v[4:5], v[6:7], v[2:3] op_sel:[0,1]
	v_pk_fma_f32 v[8:9], v[6:7], v[0:1], v[4:5] op_sel:[0,0,1] op_sel_hi:[1,1,0] neg_lo:[0,0,1] neg_hi:[0,0,1]
	v_pk_fma_f32 v[4:5], v[6:7], v[0:1], v[4:5] op_sel:[0,0,1] op_sel_hi:[1,0,0]
	s_delay_alu instid0(VALU_DEP_1)
	v_mov_b32_e32 v9, v5
	ds_load_2addr_b64 v[4:7], v40 offset0:40 offset1:41
	v_pk_add_f32 v[160:161], v[160:161], v[10:11] neg_lo:[0,1] neg_hi:[0,1]
	v_pk_add_f32 v[156:157], v[156:157], v[8:9] neg_lo:[0,1] neg_hi:[0,1]
	s_wait_dscnt 0x0
	v_pk_mul_f32 v[8:9], v[4:5], v[2:3] op_sel:[0,1]
	s_delay_alu instid0(VALU_DEP_1) | instskip(SKIP_1) | instid1(VALU_DEP_1)
	v_pk_fma_f32 v[10:11], v[4:5], v[0:1], v[8:9] op_sel:[0,0,1] op_sel_hi:[1,1,0] neg_lo:[0,0,1] neg_hi:[0,0,1]
	v_pk_fma_f32 v[4:5], v[4:5], v[0:1], v[8:9] op_sel:[0,0,1] op_sel_hi:[1,0,0]
	v_mov_b32_e32 v11, v5
	v_pk_mul_f32 v[4:5], v[6:7], v[2:3] op_sel:[0,1]
	s_delay_alu instid0(VALU_DEP_1) | instskip(SKIP_1) | instid1(VALU_DEP_1)
	v_pk_fma_f32 v[8:9], v[6:7], v[0:1], v[4:5] op_sel:[0,0,1] op_sel_hi:[1,1,0] neg_lo:[0,0,1] neg_hi:[0,0,1]
	v_pk_fma_f32 v[4:5], v[6:7], v[0:1], v[4:5] op_sel:[0,0,1] op_sel_hi:[1,0,0]
	v_mov_b32_e32 v9, v5
	ds_load_2addr_b64 v[4:7], v40 offset0:42 offset1:43
	v_pk_add_f32 v[182:183], v[182:183], v[10:11] neg_lo:[0,1] neg_hi:[0,1]
	v_pk_add_f32 v[176:177], v[176:177], v[8:9] neg_lo:[0,1] neg_hi:[0,1]
	s_wait_dscnt 0x0
	v_dual_mul_f32 v8, v5, v3 :: v_dual_mul_f32 v10, v5, v0
	s_delay_alu instid0(VALU_DEP_1) | instskip(NEXT) | instid1(VALU_DEP_2)
	v_pk_fma_f32 v[8:9], v[4:5], v[88:89], v[8:9] op_sel_hi:[1,1,0] neg_lo:[0,0,1] neg_hi:[0,0,1]
	v_pk_fma_f32 v[4:5], v[4:5], v[88:89], v[10:11] op_sel:[1,0,0] op_sel_hi:[0,1,0]
	s_delay_alu instid0(VALU_DEP_1) | instskip(SKIP_1) | instid1(VALU_DEP_2)
	v_mov_b32_e32 v9, v5
	v_pk_mul_f32 v[4:5], v[6:7], v[2:3] op_sel:[0,1]
	v_pk_add_f32 v[180:181], v[180:181], v[8:9] neg_lo:[0,1] neg_hi:[0,1]
	s_delay_alu instid0(VALU_DEP_2) | instskip(SKIP_1) | instid1(VALU_DEP_1)
	v_pk_fma_f32 v[8:9], v[6:7], v[0:1], v[4:5] op_sel:[0,0,1] op_sel_hi:[1,1,0] neg_lo:[0,0,1] neg_hi:[0,0,1]
	v_pk_fma_f32 v[4:5], v[6:7], v[0:1], v[4:5] op_sel:[0,0,1] op_sel_hi:[1,0,0]
	v_mov_b32_e32 v9, v5
	ds_load_2addr_b64 v[4:7], v40 offset0:44 offset1:45
	v_pk_add_f32 v[174:175], v[174:175], v[8:9] neg_lo:[0,1] neg_hi:[0,1]
	s_wait_dscnt 0x0
	v_pk_mul_f32 v[8:9], v[4:5], v[2:3] op_sel:[0,1]
	s_delay_alu instid0(VALU_DEP_1) | instskip(SKIP_1) | instid1(VALU_DEP_1)
	v_pk_fma_f32 v[10:11], v[4:5], v[0:1], v[8:9] op_sel:[0,0,1] op_sel_hi:[1,1,0] neg_lo:[0,0,1] neg_hi:[0,0,1]
	v_pk_fma_f32 v[4:5], v[4:5], v[0:1], v[8:9] op_sel:[0,0,1] op_sel_hi:[1,0,0]
	v_mov_b32_e32 v11, v5
	v_pk_mul_f32 v[4:5], v[6:7], v[2:3] op_sel:[0,1]
	s_delay_alu instid0(VALU_DEP_2) | instskip(NEXT) | instid1(VALU_DEP_2)
	v_pk_add_f32 v[178:179], v[178:179], v[10:11] neg_lo:[0,1] neg_hi:[0,1]
	v_pk_fma_f32 v[8:9], v[6:7], v[0:1], v[4:5] op_sel:[0,0,1] op_sel_hi:[1,1,0] neg_lo:[0,0,1] neg_hi:[0,0,1]
	v_pk_fma_f32 v[4:5], v[6:7], v[0:1], v[4:5] op_sel:[0,0,1] op_sel_hi:[1,0,0]
	s_delay_alu instid0(VALU_DEP_1) | instskip(SKIP_4) | instid1(VALU_DEP_1)
	v_mov_b32_e32 v9, v5
	ds_load_b64 v[4:5], v40 offset:368
	v_pk_add_f32 v[186:187], v[186:187], v[8:9] neg_lo:[0,1] neg_hi:[0,1]
	s_wait_dscnt 0x0
	v_pk_mul_f32 v[2:3], v[4:5], v[2:3] op_sel:[0,1]
	v_pk_fma_f32 v[6:7], v[4:5], v[0:1], v[2:3] op_sel:[0,0,1] op_sel_hi:[1,1,0] neg_lo:[0,0,1] neg_hi:[0,0,1]
	v_pk_fma_f32 v[0:1], v[4:5], v[0:1], v[2:3] op_sel:[0,0,1] op_sel_hi:[1,0,0]
	s_delay_alu instid0(VALU_DEP_1) | instskip(NEXT) | instid1(VALU_DEP_1)
	v_mov_b32_e32 v7, v1
	v_pk_add_f32 v[188:189], v[188:189], v[6:7] neg_lo:[0,1] neg_hi:[0,1]
.LBB93_217:
	s_or_b32 exec_lo, exec_lo, s1
	s_delay_alu instid0(SALU_CYCLE_1)
	s_mov_b32 s2, exec_lo
	s_wait_dscnt 0x0
	s_barrier_signal -1
	s_barrier_wait -1
	v_cmpx_eq_u32_e32 24, v36
	s_cbranch_execz .LBB93_224
; %bb.218:
	ds_store_b64 v37, v[112:113]
	ds_store_2addr_b64 v40, v[108:109], v[110:111] offset0:25 offset1:26
	ds_store_2addr_b64 v40, v[106:107], v[128:129] offset0:27 offset1:28
	;; [unrolled: 1-line block ×11, first 2 shown]
	ds_load_b64 v[0:1], v37
	s_wait_dscnt 0x0
	v_cmp_neq_f32_e32 vcc_lo, 0, v0
	v_cmp_neq_f32_e64 s1, 0, v1
	s_or_b32 s1, vcc_lo, s1
	s_delay_alu instid0(SALU_CYCLE_1)
	s_and_b32 exec_lo, exec_lo, s1
	s_cbranch_execz .LBB93_224
; %bb.219:
	v_cmp_ngt_f32_e64 s1, |v0|, |v1|
                                        ; implicit-def: $vgpr2_vgpr3
	s_and_saveexec_b32 s4, s1
	s_delay_alu instid0(SALU_CYCLE_1)
	s_xor_b32 s1, exec_lo, s4
	s_cbranch_execz .LBB93_221
; %bb.220:
	v_div_scale_f32 v2, null, v1, v1, v0
	v_div_scale_f32 v5, vcc_lo, v0, v1, v0
	s_delay_alu instid0(VALU_DEP_2) | instskip(SKIP_1) | instid1(TRANS32_DEP_1)
	v_rcp_f32_e32 v3, v2
	v_nop
	v_fma_f32 v4, -v2, v3, 1.0
	s_delay_alu instid0(VALU_DEP_1) | instskip(NEXT) | instid1(VALU_DEP_1)
	v_fmac_f32_e32 v3, v4, v3
	v_mul_f32_e32 v4, v5, v3
	s_delay_alu instid0(VALU_DEP_1) | instskip(NEXT) | instid1(VALU_DEP_1)
	v_fma_f32 v6, -v2, v4, v5
	v_fmac_f32_e32 v4, v6, v3
	s_delay_alu instid0(VALU_DEP_1) | instskip(NEXT) | instid1(VALU_DEP_1)
	v_fma_f32 v2, -v2, v4, v5
	v_div_fmas_f32 v2, v2, v3, v4
	s_delay_alu instid0(VALU_DEP_1) | instskip(NEXT) | instid1(VALU_DEP_1)
	v_div_fixup_f32 v2, v2, v1, v0
	v_fmac_f32_e32 v1, v0, v2
	s_delay_alu instid0(VALU_DEP_1) | instskip(SKIP_1) | instid1(VALU_DEP_2)
	v_div_scale_f32 v0, null, v1, v1, 1.0
	v_div_scale_f32 v5, vcc_lo, 1.0, v1, 1.0
	v_rcp_f32_e32 v3, v0
	v_nop
	s_delay_alu instid0(TRANS32_DEP_1) | instskip(NEXT) | instid1(VALU_DEP_1)
	v_fma_f32 v4, -v0, v3, 1.0
	v_fmac_f32_e32 v3, v4, v3
	s_delay_alu instid0(VALU_DEP_1) | instskip(NEXT) | instid1(VALU_DEP_1)
	v_mul_f32_e32 v4, v5, v3
	v_fma_f32 v6, -v0, v4, v5
	s_delay_alu instid0(VALU_DEP_1) | instskip(NEXT) | instid1(VALU_DEP_1)
	v_fmac_f32_e32 v4, v6, v3
	v_fma_f32 v0, -v0, v4, v5
	s_delay_alu instid0(VALU_DEP_1) | instskip(NEXT) | instid1(VALU_DEP_1)
	v_div_fmas_f32 v0, v0, v3, v4
	v_div_fixup_f32 v0, v0, v1, 1.0
	s_delay_alu instid0(VALU_DEP_1)
	v_mul_f32_e32 v2, v2, v0
	v_xor_b32_e32 v3, 0x80000000, v0
                                        ; implicit-def: $vgpr0_vgpr1
.LBB93_221:
	s_and_not1_saveexec_b32 s1, s1
	s_cbranch_execz .LBB93_223
; %bb.222:
	v_div_scale_f32 v2, null, v0, v0, v1
	v_div_scale_f32 v5, vcc_lo, v1, v0, v1
	s_delay_alu instid0(VALU_DEP_2) | instskip(SKIP_1) | instid1(TRANS32_DEP_1)
	v_rcp_f32_e32 v3, v2
	v_nop
	v_fma_f32 v4, -v2, v3, 1.0
	s_delay_alu instid0(VALU_DEP_1) | instskip(NEXT) | instid1(VALU_DEP_1)
	v_fmac_f32_e32 v3, v4, v3
	v_mul_f32_e32 v4, v5, v3
	s_delay_alu instid0(VALU_DEP_1) | instskip(NEXT) | instid1(VALU_DEP_1)
	v_fma_f32 v6, -v2, v4, v5
	v_fmac_f32_e32 v4, v6, v3
	s_delay_alu instid0(VALU_DEP_1) | instskip(NEXT) | instid1(VALU_DEP_1)
	v_fma_f32 v2, -v2, v4, v5
	v_div_fmas_f32 v2, v2, v3, v4
	s_delay_alu instid0(VALU_DEP_1) | instskip(NEXT) | instid1(VALU_DEP_1)
	v_div_fixup_f32 v3, v2, v0, v1
	v_fmac_f32_e32 v0, v1, v3
	s_delay_alu instid0(VALU_DEP_1) | instskip(NEXT) | instid1(VALU_DEP_1)
	v_div_scale_f32 v1, null, v0, v0, 1.0
	v_rcp_f32_e32 v2, v1
	v_nop
	s_delay_alu instid0(TRANS32_DEP_1) | instskip(NEXT) | instid1(VALU_DEP_1)
	v_fma_f32 v4, -v1, v2, 1.0
	v_fmac_f32_e32 v2, v4, v2
	v_div_scale_f32 v4, vcc_lo, 1.0, v0, 1.0
	s_delay_alu instid0(VALU_DEP_1) | instskip(NEXT) | instid1(VALU_DEP_1)
	v_mul_f32_e32 v5, v4, v2
	v_fma_f32 v6, -v1, v5, v4
	s_delay_alu instid0(VALU_DEP_1) | instskip(NEXT) | instid1(VALU_DEP_1)
	v_fmac_f32_e32 v5, v6, v2
	v_fma_f32 v1, -v1, v5, v4
	s_delay_alu instid0(VALU_DEP_1) | instskip(NEXT) | instid1(VALU_DEP_1)
	v_div_fmas_f32 v1, v1, v2, v5
	v_div_fixup_f32 v2, v1, v0, 1.0
	s_delay_alu instid0(VALU_DEP_1)
	v_mul_f32_e64 v3, v3, -v2
.LBB93_223:
	s_or_b32 exec_lo, exec_lo, s1
	ds_store_b64 v37, v[2:3]
.LBB93_224:
	s_or_b32 exec_lo, exec_lo, s2
	s_wait_dscnt 0x0
	s_barrier_signal -1
	s_barrier_wait -1
	ds_load_b64 v[238:239], v37
	s_mov_b32 s1, exec_lo
	v_cmpx_lt_u32_e32 24, v36
	s_cbranch_execz .LBB93_226
; %bb.225:
	ds_load_2addr_b64 v[4:7], v40 offset0:25 offset1:26
	s_wait_dscnt 0x1
	v_pk_mul_f32 v[2:3], v[238:239], v[112:113] op_sel:[1,1] op_sel_hi:[0,1]
	s_delay_alu instid0(VALU_DEP_1) | instskip(SKIP_1) | instid1(VALU_DEP_1)
	v_pk_fma_f32 v[0:1], v[238:239], v[112:113], v[2:3] op_sel_hi:[1,0,1] neg_lo:[0,0,1] neg_hi:[0,0,1]
	v_pk_fma_f32 v[2:3], v[238:239], v[112:113], v[2:3] op_sel_hi:[1,0,1]
	v_dual_mov_b32 v112, v0 :: v_dual_mov_b32 v113, v3
	s_wait_dscnt 0x0
	s_delay_alu instid0(VALU_DEP_2) | instskip(NEXT) | instid1(VALU_DEP_1)
	v_pk_mul_f32 v[8:9], v[4:5], v[2:3] op_sel:[0,1]
	v_pk_fma_f32 v[10:11], v[4:5], v[0:1], v[8:9] op_sel:[0,0,1] op_sel_hi:[1,1,0] neg_lo:[0,0,1] neg_hi:[0,0,1]
	v_pk_fma_f32 v[4:5], v[4:5], v[0:1], v[8:9] op_sel:[0,0,1] op_sel_hi:[1,0,0]
	s_delay_alu instid0(VALU_DEP_1) | instskip(SKIP_1) | instid1(VALU_DEP_1)
	v_mov_b32_e32 v11, v5
	v_pk_mul_f32 v[4:5], v[6:7], v[2:3] op_sel:[0,1]
	v_pk_fma_f32 v[8:9], v[6:7], v[0:1], v[4:5] op_sel:[0,0,1] op_sel_hi:[1,1,0] neg_lo:[0,0,1] neg_hi:[0,0,1]
	v_pk_fma_f32 v[4:5], v[6:7], v[0:1], v[4:5] op_sel:[0,0,1] op_sel_hi:[1,0,0]
	s_delay_alu instid0(VALU_DEP_1)
	v_mov_b32_e32 v9, v5
	ds_load_2addr_b64 v[4:7], v40 offset0:27 offset1:28
	v_pk_add_f32 v[108:109], v[108:109], v[10:11] neg_lo:[0,1] neg_hi:[0,1]
	v_pk_add_f32 v[110:111], v[110:111], v[8:9] neg_lo:[0,1] neg_hi:[0,1]
	s_wait_dscnt 0x0
	v_pk_mul_f32 v[8:9], v[4:5], v[2:3] op_sel:[0,1]
	s_delay_alu instid0(VALU_DEP_1) | instskip(SKIP_2) | instid1(VALU_DEP_2)
	v_pk_fma_f32 v[10:11], v[4:5], v[0:1], v[8:9] op_sel:[0,0,1] op_sel_hi:[1,1,0] neg_lo:[0,0,1] neg_hi:[0,0,1]
	v_pk_fma_f32 v[4:5], v[4:5], v[0:1], v[8:9] op_sel:[0,0,1] op_sel_hi:[1,0,0]
	v_dual_mul_f32 v8, v7, v3 :: v_dual_mov_b32 v4, v7
	v_dual_mov_b32 v11, v5 :: v_dual_mov_b32 v5, v6
	s_delay_alu instid0(VALU_DEP_2) | instskip(SKIP_1) | instid1(VALU_DEP_3)
	v_pk_fma_f32 v[8:9], v[6:7], v[112:113], v[8:9] op_sel_hi:[1,1,0] neg_lo:[0,0,1] neg_hi:[0,0,1]
	v_mul_f32_e32 v6, v7, v0
	v_pk_add_f32 v[106:107], v[106:107], v[10:11] neg_lo:[0,1] neg_hi:[0,1]
	s_delay_alu instid0(VALU_DEP_2) | instskip(NEXT) | instid1(VALU_DEP_1)
	v_pk_fma_f32 v[4:5], v[4:5], v[112:113], v[6:7] op_sel_hi:[1,1,0]
	v_mov_b32_e32 v9, v5
	ds_load_2addr_b64 v[4:7], v40 offset0:29 offset1:30
	v_pk_add_f32 v[128:129], v[128:129], v[8:9] neg_lo:[0,1] neg_hi:[0,1]
	s_wait_dscnt 0x0
	v_pk_mul_f32 v[8:9], v[4:5], v[2:3] op_sel:[0,1]
	s_delay_alu instid0(VALU_DEP_1) | instskip(SKIP_1) | instid1(VALU_DEP_1)
	v_pk_fma_f32 v[10:11], v[4:5], v[0:1], v[8:9] op_sel:[0,0,1] op_sel_hi:[1,1,0] neg_lo:[0,0,1] neg_hi:[0,0,1]
	v_pk_fma_f32 v[4:5], v[4:5], v[0:1], v[8:9] op_sel:[0,0,1] op_sel_hi:[1,0,0]
	v_mov_b32_e32 v11, v5
	v_pk_mul_f32 v[4:5], v[6:7], v[2:3] op_sel:[0,1]
	s_delay_alu instid0(VALU_DEP_1) | instskip(SKIP_1) | instid1(VALU_DEP_1)
	v_pk_fma_f32 v[8:9], v[6:7], v[0:1], v[4:5] op_sel:[0,0,1] op_sel_hi:[1,1,0] neg_lo:[0,0,1] neg_hi:[0,0,1]
	v_pk_fma_f32 v[4:5], v[6:7], v[0:1], v[4:5] op_sel:[0,0,1] op_sel_hi:[1,0,0]
	v_mov_b32_e32 v9, v5
	ds_load_2addr_b64 v[4:7], v40 offset0:31 offset1:32
	v_pk_add_f32 v[124:125], v[124:125], v[10:11] neg_lo:[0,1] neg_hi:[0,1]
	v_pk_add_f32 v[126:127], v[126:127], v[8:9] neg_lo:[0,1] neg_hi:[0,1]
	s_wait_dscnt 0x0
	v_pk_mul_f32 v[8:9], v[4:5], v[2:3] op_sel:[0,1]
	s_delay_alu instid0(VALU_DEP_1) | instskip(SKIP_1) | instid1(VALU_DEP_1)
	v_pk_fma_f32 v[10:11], v[4:5], v[0:1], v[8:9] op_sel:[0,0,1] op_sel_hi:[1,1,0] neg_lo:[0,0,1] neg_hi:[0,0,1]
	v_pk_fma_f32 v[4:5], v[4:5], v[0:1], v[8:9] op_sel:[0,0,1] op_sel_hi:[1,0,0]
	v_mov_b32_e32 v11, v5
	v_pk_mul_f32 v[4:5], v[6:7], v[2:3] op_sel:[0,1]
	s_delay_alu instid0(VALU_DEP_1) | instskip(SKIP_1) | instid1(VALU_DEP_1)
	v_pk_fma_f32 v[8:9], v[6:7], v[0:1], v[4:5] op_sel:[0,0,1] op_sel_hi:[1,1,0] neg_lo:[0,0,1] neg_hi:[0,0,1]
	v_pk_fma_f32 v[4:5], v[6:7], v[0:1], v[4:5] op_sel:[0,0,1] op_sel_hi:[1,0,0]
	v_mov_b32_e32 v9, v5
	ds_load_2addr_b64 v[4:7], v40 offset0:33 offset1:34
	v_pk_add_f32 v[122:123], v[122:123], v[10:11] neg_lo:[0,1] neg_hi:[0,1]
	v_pk_add_f32 v[144:145], v[144:145], v[8:9] neg_lo:[0,1] neg_hi:[0,1]
	s_wait_dscnt 0x0
	v_dual_mul_f32 v8, v5, v3 :: v_dual_mul_f32 v10, v5, v0
	s_delay_alu instid0(VALU_DEP_1) | instskip(NEXT) | instid1(VALU_DEP_2)
	v_pk_fma_f32 v[8:9], v[4:5], v[112:113], v[8:9] op_sel_hi:[1,1,0] neg_lo:[0,0,1] neg_hi:[0,0,1]
	v_pk_fma_f32 v[4:5], v[4:5], v[112:113], v[10:11] op_sel:[1,0,0] op_sel_hi:[0,1,0]
	s_delay_alu instid0(VALU_DEP_1) | instskip(SKIP_1) | instid1(VALU_DEP_2)
	v_mov_b32_e32 v9, v5
	v_pk_mul_f32 v[4:5], v[6:7], v[2:3] op_sel:[0,1]
	v_pk_add_f32 v[140:141], v[140:141], v[8:9] neg_lo:[0,1] neg_hi:[0,1]
	s_delay_alu instid0(VALU_DEP_2) | instskip(SKIP_1) | instid1(VALU_DEP_1)
	v_pk_fma_f32 v[8:9], v[6:7], v[0:1], v[4:5] op_sel:[0,0,1] op_sel_hi:[1,1,0] neg_lo:[0,0,1] neg_hi:[0,0,1]
	v_pk_fma_f32 v[4:5], v[6:7], v[0:1], v[4:5] op_sel:[0,0,1] op_sel_hi:[1,0,0]
	v_mov_b32_e32 v9, v5
	ds_load_2addr_b64 v[4:7], v40 offset0:35 offset1:36
	v_pk_add_f32 v[142:143], v[142:143], v[8:9] neg_lo:[0,1] neg_hi:[0,1]
	s_wait_dscnt 0x0
	v_pk_mul_f32 v[8:9], v[4:5], v[2:3] op_sel:[0,1]
	s_delay_alu instid0(VALU_DEP_1) | instskip(SKIP_1) | instid1(VALU_DEP_1)
	v_pk_fma_f32 v[10:11], v[4:5], v[0:1], v[8:9] op_sel:[0,0,1] op_sel_hi:[1,1,0] neg_lo:[0,0,1] neg_hi:[0,0,1]
	v_pk_fma_f32 v[4:5], v[4:5], v[0:1], v[8:9] op_sel:[0,0,1] op_sel_hi:[1,0,0]
	v_mov_b32_e32 v11, v5
	v_pk_mul_f32 v[4:5], v[6:7], v[2:3] op_sel:[0,1]
	s_delay_alu instid0(VALU_DEP_2) | instskip(NEXT) | instid1(VALU_DEP_2)
	v_pk_add_f32 v[138:139], v[138:139], v[10:11] neg_lo:[0,1] neg_hi:[0,1]
	v_pk_fma_f32 v[8:9], v[6:7], v[0:1], v[4:5] op_sel:[0,0,1] op_sel_hi:[1,1,0] neg_lo:[0,0,1] neg_hi:[0,0,1]
	v_pk_fma_f32 v[4:5], v[6:7], v[0:1], v[4:5] op_sel:[0,0,1] op_sel_hi:[1,0,0]
	s_delay_alu instid0(VALU_DEP_1) | instskip(SKIP_4) | instid1(VALU_DEP_1)
	v_mov_b32_e32 v9, v5
	ds_load_2addr_b64 v[4:7], v40 offset0:37 offset1:38
	v_pk_add_f32 v[162:163], v[162:163], v[8:9] neg_lo:[0,1] neg_hi:[0,1]
	s_wait_dscnt 0x0
	v_pk_mul_f32 v[8:9], v[4:5], v[2:3] op_sel:[0,1]
	v_pk_fma_f32 v[10:11], v[4:5], v[0:1], v[8:9] op_sel:[0,0,1] op_sel_hi:[1,1,0] neg_lo:[0,0,1] neg_hi:[0,0,1]
	v_pk_fma_f32 v[4:5], v[4:5], v[0:1], v[8:9] op_sel:[0,0,1] op_sel_hi:[1,0,0]
	v_dual_mul_f32 v8, v7, v3 :: v_dual_mov_b32 v4, v7
	s_delay_alu instid0(VALU_DEP_2) | instskip(NEXT) | instid1(VALU_DEP_2)
	v_dual_mov_b32 v11, v5 :: v_dual_mov_b32 v5, v6
	v_pk_fma_f32 v[8:9], v[6:7], v[112:113], v[8:9] op_sel_hi:[1,1,0] neg_lo:[0,0,1] neg_hi:[0,0,1]
	v_mul_f32_e32 v6, v7, v0
	s_delay_alu instid0(VALU_DEP_3) | instskip(NEXT) | instid1(VALU_DEP_2)
	v_pk_add_f32 v[158:159], v[158:159], v[10:11] neg_lo:[0,1] neg_hi:[0,1]
	v_pk_fma_f32 v[4:5], v[4:5], v[112:113], v[6:7] op_sel_hi:[1,1,0]
	s_delay_alu instid0(VALU_DEP_1) | instskip(SKIP_4) | instid1(VALU_DEP_1)
	v_mov_b32_e32 v9, v5
	ds_load_2addr_b64 v[4:7], v40 offset0:39 offset1:40
	v_pk_add_f32 v[160:161], v[160:161], v[8:9] neg_lo:[0,1] neg_hi:[0,1]
	s_wait_dscnt 0x0
	v_pk_mul_f32 v[8:9], v[4:5], v[2:3] op_sel:[0,1]
	v_pk_fma_f32 v[10:11], v[4:5], v[0:1], v[8:9] op_sel:[0,0,1] op_sel_hi:[1,1,0] neg_lo:[0,0,1] neg_hi:[0,0,1]
	v_pk_fma_f32 v[4:5], v[4:5], v[0:1], v[8:9] op_sel:[0,0,1] op_sel_hi:[1,0,0]
	s_delay_alu instid0(VALU_DEP_1) | instskip(SKIP_1) | instid1(VALU_DEP_1)
	v_mov_b32_e32 v11, v5
	v_pk_mul_f32 v[4:5], v[6:7], v[2:3] op_sel:[0,1]
	v_pk_fma_f32 v[8:9], v[6:7], v[0:1], v[4:5] op_sel:[0,0,1] op_sel_hi:[1,1,0] neg_lo:[0,0,1] neg_hi:[0,0,1]
	v_pk_fma_f32 v[4:5], v[6:7], v[0:1], v[4:5] op_sel:[0,0,1] op_sel_hi:[1,0,0]
	s_delay_alu instid0(VALU_DEP_1)
	v_mov_b32_e32 v9, v5
	ds_load_2addr_b64 v[4:7], v40 offset0:41 offset1:42
	v_pk_add_f32 v[156:157], v[156:157], v[10:11] neg_lo:[0,1] neg_hi:[0,1]
	v_pk_add_f32 v[182:183], v[182:183], v[8:9] neg_lo:[0,1] neg_hi:[0,1]
	s_wait_dscnt 0x0
	v_pk_mul_f32 v[8:9], v[4:5], v[2:3] op_sel:[0,1]
	s_delay_alu instid0(VALU_DEP_1) | instskip(SKIP_1) | instid1(VALU_DEP_1)
	v_pk_fma_f32 v[10:11], v[4:5], v[0:1], v[8:9] op_sel:[0,0,1] op_sel_hi:[1,1,0] neg_lo:[0,0,1] neg_hi:[0,0,1]
	v_pk_fma_f32 v[4:5], v[4:5], v[0:1], v[8:9] op_sel:[0,0,1] op_sel_hi:[1,0,0]
	v_mov_b32_e32 v11, v5
	v_pk_mul_f32 v[4:5], v[6:7], v[2:3] op_sel:[0,1]
	s_delay_alu instid0(VALU_DEP_1) | instskip(SKIP_1) | instid1(VALU_DEP_1)
	v_pk_fma_f32 v[8:9], v[6:7], v[0:1], v[4:5] op_sel:[0,0,1] op_sel_hi:[1,1,0] neg_lo:[0,0,1] neg_hi:[0,0,1]
	v_pk_fma_f32 v[4:5], v[6:7], v[0:1], v[4:5] op_sel:[0,0,1] op_sel_hi:[1,0,0]
	v_mov_b32_e32 v9, v5
	ds_load_2addr_b64 v[4:7], v40 offset0:43 offset1:44
	v_pk_add_f32 v[176:177], v[176:177], v[10:11] neg_lo:[0,1] neg_hi:[0,1]
	v_pk_add_f32 v[180:181], v[180:181], v[8:9] neg_lo:[0,1] neg_hi:[0,1]
	s_wait_dscnt 0x0
	v_dual_mul_f32 v8, v5, v3 :: v_dual_mul_f32 v10, v5, v0
	s_delay_alu instid0(VALU_DEP_1) | instskip(NEXT) | instid1(VALU_DEP_2)
	v_pk_fma_f32 v[8:9], v[4:5], v[112:113], v[8:9] op_sel_hi:[1,1,0] neg_lo:[0,0,1] neg_hi:[0,0,1]
	v_pk_fma_f32 v[4:5], v[4:5], v[112:113], v[10:11] op_sel:[1,0,0] op_sel_hi:[0,1,0]
	s_delay_alu instid0(VALU_DEP_1) | instskip(SKIP_1) | instid1(VALU_DEP_2)
	v_mov_b32_e32 v9, v5
	v_pk_mul_f32 v[4:5], v[6:7], v[2:3] op_sel:[0,1]
	v_pk_add_f32 v[174:175], v[174:175], v[8:9] neg_lo:[0,1] neg_hi:[0,1]
	s_delay_alu instid0(VALU_DEP_2) | instskip(SKIP_1) | instid1(VALU_DEP_1)
	v_pk_fma_f32 v[8:9], v[6:7], v[0:1], v[4:5] op_sel:[0,0,1] op_sel_hi:[1,1,0] neg_lo:[0,0,1] neg_hi:[0,0,1]
	v_pk_fma_f32 v[4:5], v[6:7], v[0:1], v[4:5] op_sel:[0,0,1] op_sel_hi:[1,0,0]
	v_mov_b32_e32 v9, v5
	ds_load_2addr_b64 v[4:7], v40 offset0:45 offset1:46
	v_pk_add_f32 v[178:179], v[178:179], v[8:9] neg_lo:[0,1] neg_hi:[0,1]
	s_wait_dscnt 0x0
	v_pk_mul_f32 v[8:9], v[4:5], v[2:3] op_sel:[0,1]
	v_pk_mul_f32 v[2:3], v[6:7], v[2:3] op_sel:[0,1]
	s_delay_alu instid0(VALU_DEP_2) | instskip(SKIP_1) | instid1(VALU_DEP_1)
	v_pk_fma_f32 v[10:11], v[4:5], v[0:1], v[8:9] op_sel:[0,0,1] op_sel_hi:[1,1,0] neg_lo:[0,0,1] neg_hi:[0,0,1]
	v_pk_fma_f32 v[4:5], v[4:5], v[0:1], v[8:9] op_sel:[0,0,1] op_sel_hi:[1,0,0]
	v_mov_b32_e32 v11, v5
	s_delay_alu instid0(VALU_DEP_4) | instskip(SKIP_1) | instid1(VALU_DEP_3)
	v_pk_fma_f32 v[4:5], v[6:7], v[0:1], v[2:3] op_sel:[0,0,1] op_sel_hi:[1,1,0] neg_lo:[0,0,1] neg_hi:[0,0,1]
	v_pk_fma_f32 v[0:1], v[6:7], v[0:1], v[2:3] op_sel:[0,0,1] op_sel_hi:[1,0,0]
	v_pk_add_f32 v[186:187], v[186:187], v[10:11] neg_lo:[0,1] neg_hi:[0,1]
	s_delay_alu instid0(VALU_DEP_2) | instskip(NEXT) | instid1(VALU_DEP_1)
	v_mov_b32_e32 v5, v1
	v_pk_add_f32 v[188:189], v[188:189], v[4:5] neg_lo:[0,1] neg_hi:[0,1]
.LBB93_226:
	s_or_b32 exec_lo, exec_lo, s1
	s_delay_alu instid0(SALU_CYCLE_1)
	s_mov_b32 s2, exec_lo
	s_wait_dscnt 0x0
	s_barrier_signal -1
	s_barrier_wait -1
	v_cmpx_eq_u32_e32 25, v36
	s_cbranch_execz .LBB93_233
; %bb.227:
	v_dual_mov_b32 v0, v110 :: v_dual_mov_b32 v1, v111
	v_dual_mov_b32 v2, v106 :: v_dual_mov_b32 v3, v107
	ds_store_b64 v37, v[108:109]
	ds_store_2addr_b64 v40, v[0:1], v[2:3] offset0:26 offset1:27
	v_dual_mov_b32 v0, v128 :: v_dual_mov_b32 v1, v129
	v_dual_mov_b32 v2, v124 :: v_dual_mov_b32 v3, v125
	ds_store_2addr_b64 v40, v[0:1], v[2:3] offset0:28 offset1:29
	v_dual_mov_b32 v0, v126 :: v_dual_mov_b32 v1, v127
	v_dual_mov_b32 v2, v122 :: v_dual_mov_b32 v3, v123
	;; [unrolled: 3-line block ×9, first 2 shown]
	ds_store_2addr_b64 v40, v[0:1], v[2:3] offset0:44 offset1:45
	ds_store_b64 v40, v[188:189] offset:368
	ds_load_b64 v[0:1], v37
	s_wait_dscnt 0x0
	v_cmp_neq_f32_e32 vcc_lo, 0, v0
	v_cmp_neq_f32_e64 s1, 0, v1
	s_or_b32 s1, vcc_lo, s1
	s_delay_alu instid0(SALU_CYCLE_1)
	s_and_b32 exec_lo, exec_lo, s1
	s_cbranch_execz .LBB93_233
; %bb.228:
	v_cmp_ngt_f32_e64 s1, |v0|, |v1|
                                        ; implicit-def: $vgpr2_vgpr3
	s_and_saveexec_b32 s4, s1
	s_delay_alu instid0(SALU_CYCLE_1)
	s_xor_b32 s1, exec_lo, s4
	s_cbranch_execz .LBB93_230
; %bb.229:
	v_div_scale_f32 v2, null, v1, v1, v0
	v_div_scale_f32 v5, vcc_lo, v0, v1, v0
	s_delay_alu instid0(VALU_DEP_2) | instskip(SKIP_1) | instid1(TRANS32_DEP_1)
	v_rcp_f32_e32 v3, v2
	v_nop
	v_fma_f32 v4, -v2, v3, 1.0
	s_delay_alu instid0(VALU_DEP_1) | instskip(NEXT) | instid1(VALU_DEP_1)
	v_fmac_f32_e32 v3, v4, v3
	v_mul_f32_e32 v4, v5, v3
	s_delay_alu instid0(VALU_DEP_1) | instskip(NEXT) | instid1(VALU_DEP_1)
	v_fma_f32 v6, -v2, v4, v5
	v_fmac_f32_e32 v4, v6, v3
	s_delay_alu instid0(VALU_DEP_1) | instskip(NEXT) | instid1(VALU_DEP_1)
	v_fma_f32 v2, -v2, v4, v5
	v_div_fmas_f32 v2, v2, v3, v4
	s_delay_alu instid0(VALU_DEP_1) | instskip(NEXT) | instid1(VALU_DEP_1)
	v_div_fixup_f32 v2, v2, v1, v0
	v_fmac_f32_e32 v1, v0, v2
	s_delay_alu instid0(VALU_DEP_1) | instskip(SKIP_1) | instid1(VALU_DEP_2)
	v_div_scale_f32 v0, null, v1, v1, 1.0
	v_div_scale_f32 v5, vcc_lo, 1.0, v1, 1.0
	v_rcp_f32_e32 v3, v0
	v_nop
	s_delay_alu instid0(TRANS32_DEP_1) | instskip(NEXT) | instid1(VALU_DEP_1)
	v_fma_f32 v4, -v0, v3, 1.0
	v_fmac_f32_e32 v3, v4, v3
	s_delay_alu instid0(VALU_DEP_1) | instskip(NEXT) | instid1(VALU_DEP_1)
	v_mul_f32_e32 v4, v5, v3
	v_fma_f32 v6, -v0, v4, v5
	s_delay_alu instid0(VALU_DEP_1) | instskip(NEXT) | instid1(VALU_DEP_1)
	v_fmac_f32_e32 v4, v6, v3
	v_fma_f32 v0, -v0, v4, v5
	s_delay_alu instid0(VALU_DEP_1) | instskip(NEXT) | instid1(VALU_DEP_1)
	v_div_fmas_f32 v0, v0, v3, v4
	v_div_fixup_f32 v0, v0, v1, 1.0
	s_delay_alu instid0(VALU_DEP_1)
	v_mul_f32_e32 v2, v2, v0
	v_xor_b32_e32 v3, 0x80000000, v0
                                        ; implicit-def: $vgpr0_vgpr1
.LBB93_230:
	s_and_not1_saveexec_b32 s1, s1
	s_cbranch_execz .LBB93_232
; %bb.231:
	v_div_scale_f32 v2, null, v0, v0, v1
	v_div_scale_f32 v5, vcc_lo, v1, v0, v1
	s_delay_alu instid0(VALU_DEP_2) | instskip(SKIP_1) | instid1(TRANS32_DEP_1)
	v_rcp_f32_e32 v3, v2
	v_nop
	v_fma_f32 v4, -v2, v3, 1.0
	s_delay_alu instid0(VALU_DEP_1) | instskip(NEXT) | instid1(VALU_DEP_1)
	v_fmac_f32_e32 v3, v4, v3
	v_mul_f32_e32 v4, v5, v3
	s_delay_alu instid0(VALU_DEP_1) | instskip(NEXT) | instid1(VALU_DEP_1)
	v_fma_f32 v6, -v2, v4, v5
	v_fmac_f32_e32 v4, v6, v3
	s_delay_alu instid0(VALU_DEP_1) | instskip(NEXT) | instid1(VALU_DEP_1)
	v_fma_f32 v2, -v2, v4, v5
	v_div_fmas_f32 v2, v2, v3, v4
	s_delay_alu instid0(VALU_DEP_1) | instskip(NEXT) | instid1(VALU_DEP_1)
	v_div_fixup_f32 v3, v2, v0, v1
	v_fmac_f32_e32 v0, v1, v3
	s_delay_alu instid0(VALU_DEP_1) | instskip(NEXT) | instid1(VALU_DEP_1)
	v_div_scale_f32 v1, null, v0, v0, 1.0
	v_rcp_f32_e32 v2, v1
	v_nop
	s_delay_alu instid0(TRANS32_DEP_1) | instskip(NEXT) | instid1(VALU_DEP_1)
	v_fma_f32 v4, -v1, v2, 1.0
	v_fmac_f32_e32 v2, v4, v2
	v_div_scale_f32 v4, vcc_lo, 1.0, v0, 1.0
	s_delay_alu instid0(VALU_DEP_1) | instskip(NEXT) | instid1(VALU_DEP_1)
	v_mul_f32_e32 v5, v4, v2
	v_fma_f32 v6, -v1, v5, v4
	s_delay_alu instid0(VALU_DEP_1) | instskip(NEXT) | instid1(VALU_DEP_1)
	v_fmac_f32_e32 v5, v6, v2
	v_fma_f32 v1, -v1, v5, v4
	s_delay_alu instid0(VALU_DEP_1) | instskip(NEXT) | instid1(VALU_DEP_1)
	v_div_fmas_f32 v1, v1, v2, v5
	v_div_fixup_f32 v2, v1, v0, 1.0
	s_delay_alu instid0(VALU_DEP_1)
	v_mul_f32_e64 v3, v3, -v2
.LBB93_232:
	s_or_b32 exec_lo, exec_lo, s1
	ds_store_b64 v37, v[2:3]
.LBB93_233:
	s_or_b32 exec_lo, exec_lo, s2
	s_wait_dscnt 0x0
	s_barrier_signal -1
	s_barrier_wait -1
	ds_load_b64 v[240:241], v37
	s_mov_b32 s1, exec_lo
	v_cmpx_lt_u32_e32 25, v36
	s_cbranch_execz .LBB93_235
; %bb.234:
	ds_load_2addr_b64 v[4:7], v40 offset0:26 offset1:27
	s_wait_dscnt 0x1
	v_pk_mul_f32 v[2:3], v[240:241], v[108:109] op_sel:[1,1] op_sel_hi:[0,1]
	s_delay_alu instid0(VALU_DEP_1) | instskip(SKIP_1) | instid1(VALU_DEP_1)
	v_pk_fma_f32 v[0:1], v[240:241], v[108:109], v[2:3] op_sel_hi:[1,0,1] neg_lo:[0,0,1] neg_hi:[0,0,1]
	v_pk_fma_f32 v[2:3], v[240:241], v[108:109], v[2:3] op_sel_hi:[1,0,1]
	v_dual_mov_b32 v108, v0 :: v_dual_mov_b32 v109, v3
	s_wait_dscnt 0x0
	s_delay_alu instid0(VALU_DEP_2) | instskip(NEXT) | instid1(VALU_DEP_1)
	v_pk_mul_f32 v[8:9], v[4:5], v[2:3] op_sel:[0,1]
	v_pk_fma_f32 v[10:11], v[4:5], v[0:1], v[8:9] op_sel:[0,0,1] op_sel_hi:[1,1,0] neg_lo:[0,0,1] neg_hi:[0,0,1]
	v_pk_fma_f32 v[4:5], v[4:5], v[0:1], v[8:9] op_sel:[0,0,1] op_sel_hi:[1,0,0]
	s_delay_alu instid0(VALU_DEP_1) | instskip(SKIP_1) | instid1(VALU_DEP_1)
	v_mov_b32_e32 v11, v5
	v_pk_mul_f32 v[4:5], v[6:7], v[2:3] op_sel:[0,1]
	v_pk_fma_f32 v[8:9], v[6:7], v[0:1], v[4:5] op_sel:[0,0,1] op_sel_hi:[1,1,0] neg_lo:[0,0,1] neg_hi:[0,0,1]
	v_pk_fma_f32 v[4:5], v[6:7], v[0:1], v[4:5] op_sel:[0,0,1] op_sel_hi:[1,0,0]
	s_delay_alu instid0(VALU_DEP_1)
	v_mov_b32_e32 v9, v5
	ds_load_2addr_b64 v[4:7], v40 offset0:28 offset1:29
	v_pk_add_f32 v[110:111], v[110:111], v[10:11] neg_lo:[0,1] neg_hi:[0,1]
	v_pk_add_f32 v[106:107], v[106:107], v[8:9] neg_lo:[0,1] neg_hi:[0,1]
	s_wait_dscnt 0x0
	v_pk_mul_f32 v[8:9], v[4:5], v[2:3] op_sel:[0,1]
	s_delay_alu instid0(VALU_DEP_1) | instskip(SKIP_2) | instid1(VALU_DEP_2)
	v_pk_fma_f32 v[10:11], v[4:5], v[0:1], v[8:9] op_sel:[0,0,1] op_sel_hi:[1,1,0] neg_lo:[0,0,1] neg_hi:[0,0,1]
	v_pk_fma_f32 v[4:5], v[4:5], v[0:1], v[8:9] op_sel:[0,0,1] op_sel_hi:[1,0,0]
	v_dual_mul_f32 v8, v7, v3 :: v_dual_mov_b32 v4, v7
	v_dual_mov_b32 v11, v5 :: v_dual_mov_b32 v5, v6
	s_delay_alu instid0(VALU_DEP_2) | instskip(SKIP_1) | instid1(VALU_DEP_3)
	v_pk_fma_f32 v[8:9], v[6:7], v[108:109], v[8:9] op_sel_hi:[1,1,0] neg_lo:[0,0,1] neg_hi:[0,0,1]
	v_mul_f32_e32 v6, v7, v0
	v_pk_add_f32 v[128:129], v[128:129], v[10:11] neg_lo:[0,1] neg_hi:[0,1]
	s_delay_alu instid0(VALU_DEP_2) | instskip(NEXT) | instid1(VALU_DEP_1)
	v_pk_fma_f32 v[4:5], v[4:5], v[108:109], v[6:7] op_sel_hi:[1,1,0]
	v_mov_b32_e32 v9, v5
	ds_load_2addr_b64 v[4:7], v40 offset0:30 offset1:31
	v_pk_add_f32 v[124:125], v[124:125], v[8:9] neg_lo:[0,1] neg_hi:[0,1]
	s_wait_dscnt 0x0
	v_pk_mul_f32 v[8:9], v[4:5], v[2:3] op_sel:[0,1]
	s_delay_alu instid0(VALU_DEP_1) | instskip(SKIP_1) | instid1(VALU_DEP_1)
	v_pk_fma_f32 v[10:11], v[4:5], v[0:1], v[8:9] op_sel:[0,0,1] op_sel_hi:[1,1,0] neg_lo:[0,0,1] neg_hi:[0,0,1]
	v_pk_fma_f32 v[4:5], v[4:5], v[0:1], v[8:9] op_sel:[0,0,1] op_sel_hi:[1,0,0]
	v_mov_b32_e32 v11, v5
	v_pk_mul_f32 v[4:5], v[6:7], v[2:3] op_sel:[0,1]
	s_delay_alu instid0(VALU_DEP_1) | instskip(SKIP_1) | instid1(VALU_DEP_1)
	v_pk_fma_f32 v[8:9], v[6:7], v[0:1], v[4:5] op_sel:[0,0,1] op_sel_hi:[1,1,0] neg_lo:[0,0,1] neg_hi:[0,0,1]
	v_pk_fma_f32 v[4:5], v[6:7], v[0:1], v[4:5] op_sel:[0,0,1] op_sel_hi:[1,0,0]
	v_mov_b32_e32 v9, v5
	ds_load_2addr_b64 v[4:7], v40 offset0:32 offset1:33
	v_pk_add_f32 v[126:127], v[126:127], v[10:11] neg_lo:[0,1] neg_hi:[0,1]
	v_pk_add_f32 v[122:123], v[122:123], v[8:9] neg_lo:[0,1] neg_hi:[0,1]
	s_wait_dscnt 0x0
	v_pk_mul_f32 v[8:9], v[4:5], v[2:3] op_sel:[0,1]
	s_delay_alu instid0(VALU_DEP_1) | instskip(SKIP_1) | instid1(VALU_DEP_1)
	v_pk_fma_f32 v[10:11], v[4:5], v[0:1], v[8:9] op_sel:[0,0,1] op_sel_hi:[1,1,0] neg_lo:[0,0,1] neg_hi:[0,0,1]
	v_pk_fma_f32 v[4:5], v[4:5], v[0:1], v[8:9] op_sel:[0,0,1] op_sel_hi:[1,0,0]
	v_mov_b32_e32 v11, v5
	v_pk_mul_f32 v[4:5], v[6:7], v[2:3] op_sel:[0,1]
	s_delay_alu instid0(VALU_DEP_1) | instskip(SKIP_1) | instid1(VALU_DEP_1)
	v_pk_fma_f32 v[8:9], v[6:7], v[0:1], v[4:5] op_sel:[0,0,1] op_sel_hi:[1,1,0] neg_lo:[0,0,1] neg_hi:[0,0,1]
	v_pk_fma_f32 v[4:5], v[6:7], v[0:1], v[4:5] op_sel:[0,0,1] op_sel_hi:[1,0,0]
	v_mov_b32_e32 v9, v5
	ds_load_2addr_b64 v[4:7], v40 offset0:34 offset1:35
	v_pk_add_f32 v[144:145], v[144:145], v[10:11] neg_lo:[0,1] neg_hi:[0,1]
	v_pk_add_f32 v[140:141], v[140:141], v[8:9] neg_lo:[0,1] neg_hi:[0,1]
	s_wait_dscnt 0x0
	v_dual_mul_f32 v8, v5, v3 :: v_dual_mul_f32 v10, v5, v0
	s_delay_alu instid0(VALU_DEP_1) | instskip(NEXT) | instid1(VALU_DEP_2)
	v_pk_fma_f32 v[8:9], v[4:5], v[108:109], v[8:9] op_sel_hi:[1,1,0] neg_lo:[0,0,1] neg_hi:[0,0,1]
	v_pk_fma_f32 v[4:5], v[4:5], v[108:109], v[10:11] op_sel:[1,0,0] op_sel_hi:[0,1,0]
	s_delay_alu instid0(VALU_DEP_1) | instskip(SKIP_1) | instid1(VALU_DEP_2)
	v_mov_b32_e32 v9, v5
	v_pk_mul_f32 v[4:5], v[6:7], v[2:3] op_sel:[0,1]
	v_pk_add_f32 v[142:143], v[142:143], v[8:9] neg_lo:[0,1] neg_hi:[0,1]
	s_delay_alu instid0(VALU_DEP_2) | instskip(SKIP_1) | instid1(VALU_DEP_1)
	v_pk_fma_f32 v[8:9], v[6:7], v[0:1], v[4:5] op_sel:[0,0,1] op_sel_hi:[1,1,0] neg_lo:[0,0,1] neg_hi:[0,0,1]
	v_pk_fma_f32 v[4:5], v[6:7], v[0:1], v[4:5] op_sel:[0,0,1] op_sel_hi:[1,0,0]
	v_mov_b32_e32 v9, v5
	ds_load_2addr_b64 v[4:7], v40 offset0:36 offset1:37
	v_pk_add_f32 v[138:139], v[138:139], v[8:9] neg_lo:[0,1] neg_hi:[0,1]
	s_wait_dscnt 0x0
	v_pk_mul_f32 v[8:9], v[4:5], v[2:3] op_sel:[0,1]
	s_delay_alu instid0(VALU_DEP_1) | instskip(SKIP_1) | instid1(VALU_DEP_1)
	v_pk_fma_f32 v[10:11], v[4:5], v[0:1], v[8:9] op_sel:[0,0,1] op_sel_hi:[1,1,0] neg_lo:[0,0,1] neg_hi:[0,0,1]
	v_pk_fma_f32 v[4:5], v[4:5], v[0:1], v[8:9] op_sel:[0,0,1] op_sel_hi:[1,0,0]
	v_mov_b32_e32 v11, v5
	v_pk_mul_f32 v[4:5], v[6:7], v[2:3] op_sel:[0,1]
	s_delay_alu instid0(VALU_DEP_2) | instskip(NEXT) | instid1(VALU_DEP_2)
	v_pk_add_f32 v[162:163], v[162:163], v[10:11] neg_lo:[0,1] neg_hi:[0,1]
	v_pk_fma_f32 v[8:9], v[6:7], v[0:1], v[4:5] op_sel:[0,0,1] op_sel_hi:[1,1,0] neg_lo:[0,0,1] neg_hi:[0,0,1]
	v_pk_fma_f32 v[4:5], v[6:7], v[0:1], v[4:5] op_sel:[0,0,1] op_sel_hi:[1,0,0]
	s_delay_alu instid0(VALU_DEP_1) | instskip(SKIP_4) | instid1(VALU_DEP_1)
	v_mov_b32_e32 v9, v5
	ds_load_2addr_b64 v[4:7], v40 offset0:38 offset1:39
	v_pk_add_f32 v[158:159], v[158:159], v[8:9] neg_lo:[0,1] neg_hi:[0,1]
	s_wait_dscnt 0x0
	v_pk_mul_f32 v[8:9], v[4:5], v[2:3] op_sel:[0,1]
	v_pk_fma_f32 v[10:11], v[4:5], v[0:1], v[8:9] op_sel:[0,0,1] op_sel_hi:[1,1,0] neg_lo:[0,0,1] neg_hi:[0,0,1]
	v_pk_fma_f32 v[4:5], v[4:5], v[0:1], v[8:9] op_sel:[0,0,1] op_sel_hi:[1,0,0]
	v_dual_mul_f32 v8, v7, v3 :: v_dual_mov_b32 v4, v7
	s_delay_alu instid0(VALU_DEP_2) | instskip(NEXT) | instid1(VALU_DEP_2)
	v_dual_mov_b32 v11, v5 :: v_dual_mov_b32 v5, v6
	v_pk_fma_f32 v[8:9], v[6:7], v[108:109], v[8:9] op_sel_hi:[1,1,0] neg_lo:[0,0,1] neg_hi:[0,0,1]
	v_mul_f32_e32 v6, v7, v0
	s_delay_alu instid0(VALU_DEP_3) | instskip(NEXT) | instid1(VALU_DEP_2)
	v_pk_add_f32 v[160:161], v[160:161], v[10:11] neg_lo:[0,1] neg_hi:[0,1]
	v_pk_fma_f32 v[4:5], v[4:5], v[108:109], v[6:7] op_sel_hi:[1,1,0]
	s_delay_alu instid0(VALU_DEP_1) | instskip(SKIP_4) | instid1(VALU_DEP_1)
	v_mov_b32_e32 v9, v5
	ds_load_2addr_b64 v[4:7], v40 offset0:40 offset1:41
	v_pk_add_f32 v[156:157], v[156:157], v[8:9] neg_lo:[0,1] neg_hi:[0,1]
	s_wait_dscnt 0x0
	v_pk_mul_f32 v[8:9], v[4:5], v[2:3] op_sel:[0,1]
	v_pk_fma_f32 v[10:11], v[4:5], v[0:1], v[8:9] op_sel:[0,0,1] op_sel_hi:[1,1,0] neg_lo:[0,0,1] neg_hi:[0,0,1]
	v_pk_fma_f32 v[4:5], v[4:5], v[0:1], v[8:9] op_sel:[0,0,1] op_sel_hi:[1,0,0]
	s_delay_alu instid0(VALU_DEP_1) | instskip(SKIP_1) | instid1(VALU_DEP_1)
	v_mov_b32_e32 v11, v5
	v_pk_mul_f32 v[4:5], v[6:7], v[2:3] op_sel:[0,1]
	v_pk_fma_f32 v[8:9], v[6:7], v[0:1], v[4:5] op_sel:[0,0,1] op_sel_hi:[1,1,0] neg_lo:[0,0,1] neg_hi:[0,0,1]
	v_pk_fma_f32 v[4:5], v[6:7], v[0:1], v[4:5] op_sel:[0,0,1] op_sel_hi:[1,0,0]
	s_delay_alu instid0(VALU_DEP_1)
	v_mov_b32_e32 v9, v5
	ds_load_2addr_b64 v[4:7], v40 offset0:42 offset1:43
	v_pk_add_f32 v[182:183], v[182:183], v[10:11] neg_lo:[0,1] neg_hi:[0,1]
	v_pk_add_f32 v[176:177], v[176:177], v[8:9] neg_lo:[0,1] neg_hi:[0,1]
	s_wait_dscnt 0x0
	v_pk_mul_f32 v[8:9], v[4:5], v[2:3] op_sel:[0,1]
	s_delay_alu instid0(VALU_DEP_1) | instskip(SKIP_1) | instid1(VALU_DEP_1)
	v_pk_fma_f32 v[10:11], v[4:5], v[0:1], v[8:9] op_sel:[0,0,1] op_sel_hi:[1,1,0] neg_lo:[0,0,1] neg_hi:[0,0,1]
	v_pk_fma_f32 v[4:5], v[4:5], v[0:1], v[8:9] op_sel:[0,0,1] op_sel_hi:[1,0,0]
	v_mov_b32_e32 v11, v5
	v_pk_mul_f32 v[4:5], v[6:7], v[2:3] op_sel:[0,1]
	s_delay_alu instid0(VALU_DEP_1) | instskip(SKIP_1) | instid1(VALU_DEP_1)
	v_pk_fma_f32 v[8:9], v[6:7], v[0:1], v[4:5] op_sel:[0,0,1] op_sel_hi:[1,1,0] neg_lo:[0,0,1] neg_hi:[0,0,1]
	v_pk_fma_f32 v[4:5], v[6:7], v[0:1], v[4:5] op_sel:[0,0,1] op_sel_hi:[1,0,0]
	v_mov_b32_e32 v9, v5
	ds_load_2addr_b64 v[4:7], v40 offset0:44 offset1:45
	v_pk_add_f32 v[180:181], v[180:181], v[10:11] neg_lo:[0,1] neg_hi:[0,1]
	v_pk_add_f32 v[174:175], v[174:175], v[8:9] neg_lo:[0,1] neg_hi:[0,1]
	s_wait_dscnt 0x0
	v_dual_mul_f32 v8, v5, v3 :: v_dual_mul_f32 v10, v5, v0
	s_delay_alu instid0(VALU_DEP_1) | instskip(NEXT) | instid1(VALU_DEP_2)
	v_pk_fma_f32 v[8:9], v[4:5], v[108:109], v[8:9] op_sel_hi:[1,1,0] neg_lo:[0,0,1] neg_hi:[0,0,1]
	v_pk_fma_f32 v[4:5], v[4:5], v[108:109], v[10:11] op_sel:[1,0,0] op_sel_hi:[0,1,0]
	s_delay_alu instid0(VALU_DEP_1) | instskip(SKIP_1) | instid1(VALU_DEP_2)
	v_mov_b32_e32 v9, v5
	v_pk_mul_f32 v[4:5], v[6:7], v[2:3] op_sel:[0,1]
	v_pk_add_f32 v[178:179], v[178:179], v[8:9] neg_lo:[0,1] neg_hi:[0,1]
	s_delay_alu instid0(VALU_DEP_2) | instskip(SKIP_1) | instid1(VALU_DEP_1)
	v_pk_fma_f32 v[8:9], v[6:7], v[0:1], v[4:5] op_sel:[0,0,1] op_sel_hi:[1,1,0] neg_lo:[0,0,1] neg_hi:[0,0,1]
	v_pk_fma_f32 v[4:5], v[6:7], v[0:1], v[4:5] op_sel:[0,0,1] op_sel_hi:[1,0,0]
	v_mov_b32_e32 v9, v5
	ds_load_b64 v[4:5], v40 offset:368
	v_pk_add_f32 v[186:187], v[186:187], v[8:9] neg_lo:[0,1] neg_hi:[0,1]
	s_wait_dscnt 0x0
	v_pk_mul_f32 v[2:3], v[4:5], v[2:3] op_sel:[0,1]
	s_delay_alu instid0(VALU_DEP_1) | instskip(SKIP_1) | instid1(VALU_DEP_1)
	v_pk_fma_f32 v[6:7], v[4:5], v[0:1], v[2:3] op_sel:[0,0,1] op_sel_hi:[1,1,0] neg_lo:[0,0,1] neg_hi:[0,0,1]
	v_pk_fma_f32 v[0:1], v[4:5], v[0:1], v[2:3] op_sel:[0,0,1] op_sel_hi:[1,0,0]
	v_mov_b32_e32 v7, v1
	s_delay_alu instid0(VALU_DEP_1)
	v_pk_add_f32 v[188:189], v[188:189], v[6:7] neg_lo:[0,1] neg_hi:[0,1]
.LBB93_235:
	s_or_b32 exec_lo, exec_lo, s1
	s_delay_alu instid0(SALU_CYCLE_1)
	s_mov_b32 s2, exec_lo
	s_wait_dscnt 0x0
	s_barrier_signal -1
	s_barrier_wait -1
	v_cmpx_eq_u32_e32 26, v36
	s_cbranch_execz .LBB93_242
; %bb.236:
	ds_store_b64 v37, v[110:111]
	ds_store_2addr_b64 v40, v[106:107], v[128:129] offset0:27 offset1:28
	ds_store_2addr_b64 v40, v[124:125], v[126:127] offset0:29 offset1:30
	ds_store_2addr_b64 v40, v[122:123], v[144:145] offset0:31 offset1:32
	ds_store_2addr_b64 v40, v[140:141], v[142:143] offset0:33 offset1:34
	ds_store_2addr_b64 v40, v[138:139], v[162:163] offset0:35 offset1:36
	ds_store_2addr_b64 v40, v[158:159], v[160:161] offset0:37 offset1:38
	ds_store_2addr_b64 v40, v[156:157], v[182:183] offset0:39 offset1:40
	ds_store_2addr_b64 v40, v[176:177], v[180:181] offset0:41 offset1:42
	ds_store_2addr_b64 v40, v[174:175], v[178:179] offset0:43 offset1:44
	ds_store_2addr_b64 v40, v[186:187], v[188:189] offset0:45 offset1:46
	ds_load_b64 v[0:1], v37
	s_wait_dscnt 0x0
	v_cmp_neq_f32_e32 vcc_lo, 0, v0
	v_cmp_neq_f32_e64 s1, 0, v1
	s_or_b32 s1, vcc_lo, s1
	s_delay_alu instid0(SALU_CYCLE_1)
	s_and_b32 exec_lo, exec_lo, s1
	s_cbranch_execz .LBB93_242
; %bb.237:
	v_cmp_ngt_f32_e64 s1, |v0|, |v1|
                                        ; implicit-def: $vgpr2_vgpr3
	s_and_saveexec_b32 s4, s1
	s_delay_alu instid0(SALU_CYCLE_1)
	s_xor_b32 s1, exec_lo, s4
	s_cbranch_execz .LBB93_239
; %bb.238:
	v_div_scale_f32 v2, null, v1, v1, v0
	v_div_scale_f32 v5, vcc_lo, v0, v1, v0
	s_delay_alu instid0(VALU_DEP_2) | instskip(SKIP_1) | instid1(TRANS32_DEP_1)
	v_rcp_f32_e32 v3, v2
	v_nop
	v_fma_f32 v4, -v2, v3, 1.0
	s_delay_alu instid0(VALU_DEP_1) | instskip(NEXT) | instid1(VALU_DEP_1)
	v_fmac_f32_e32 v3, v4, v3
	v_mul_f32_e32 v4, v5, v3
	s_delay_alu instid0(VALU_DEP_1) | instskip(NEXT) | instid1(VALU_DEP_1)
	v_fma_f32 v6, -v2, v4, v5
	v_fmac_f32_e32 v4, v6, v3
	s_delay_alu instid0(VALU_DEP_1) | instskip(NEXT) | instid1(VALU_DEP_1)
	v_fma_f32 v2, -v2, v4, v5
	v_div_fmas_f32 v2, v2, v3, v4
	s_delay_alu instid0(VALU_DEP_1) | instskip(NEXT) | instid1(VALU_DEP_1)
	v_div_fixup_f32 v2, v2, v1, v0
	v_fmac_f32_e32 v1, v0, v2
	s_delay_alu instid0(VALU_DEP_1) | instskip(SKIP_1) | instid1(VALU_DEP_2)
	v_div_scale_f32 v0, null, v1, v1, 1.0
	v_div_scale_f32 v5, vcc_lo, 1.0, v1, 1.0
	v_rcp_f32_e32 v3, v0
	v_nop
	s_delay_alu instid0(TRANS32_DEP_1) | instskip(NEXT) | instid1(VALU_DEP_1)
	v_fma_f32 v4, -v0, v3, 1.0
	v_fmac_f32_e32 v3, v4, v3
	s_delay_alu instid0(VALU_DEP_1) | instskip(NEXT) | instid1(VALU_DEP_1)
	v_mul_f32_e32 v4, v5, v3
	v_fma_f32 v6, -v0, v4, v5
	s_delay_alu instid0(VALU_DEP_1) | instskip(NEXT) | instid1(VALU_DEP_1)
	v_fmac_f32_e32 v4, v6, v3
	v_fma_f32 v0, -v0, v4, v5
	s_delay_alu instid0(VALU_DEP_1) | instskip(NEXT) | instid1(VALU_DEP_1)
	v_div_fmas_f32 v0, v0, v3, v4
	v_div_fixup_f32 v0, v0, v1, 1.0
	s_delay_alu instid0(VALU_DEP_1)
	v_mul_f32_e32 v2, v2, v0
	v_xor_b32_e32 v3, 0x80000000, v0
                                        ; implicit-def: $vgpr0_vgpr1
.LBB93_239:
	s_and_not1_saveexec_b32 s1, s1
	s_cbranch_execz .LBB93_241
; %bb.240:
	v_div_scale_f32 v2, null, v0, v0, v1
	v_div_scale_f32 v5, vcc_lo, v1, v0, v1
	s_delay_alu instid0(VALU_DEP_2) | instskip(SKIP_1) | instid1(TRANS32_DEP_1)
	v_rcp_f32_e32 v3, v2
	v_nop
	v_fma_f32 v4, -v2, v3, 1.0
	s_delay_alu instid0(VALU_DEP_1) | instskip(NEXT) | instid1(VALU_DEP_1)
	v_fmac_f32_e32 v3, v4, v3
	v_mul_f32_e32 v4, v5, v3
	s_delay_alu instid0(VALU_DEP_1) | instskip(NEXT) | instid1(VALU_DEP_1)
	v_fma_f32 v6, -v2, v4, v5
	v_fmac_f32_e32 v4, v6, v3
	s_delay_alu instid0(VALU_DEP_1) | instskip(NEXT) | instid1(VALU_DEP_1)
	v_fma_f32 v2, -v2, v4, v5
	v_div_fmas_f32 v2, v2, v3, v4
	s_delay_alu instid0(VALU_DEP_1) | instskip(NEXT) | instid1(VALU_DEP_1)
	v_div_fixup_f32 v3, v2, v0, v1
	v_fmac_f32_e32 v0, v1, v3
	s_delay_alu instid0(VALU_DEP_1) | instskip(NEXT) | instid1(VALU_DEP_1)
	v_div_scale_f32 v1, null, v0, v0, 1.0
	v_rcp_f32_e32 v2, v1
	v_nop
	s_delay_alu instid0(TRANS32_DEP_1) | instskip(NEXT) | instid1(VALU_DEP_1)
	v_fma_f32 v4, -v1, v2, 1.0
	v_fmac_f32_e32 v2, v4, v2
	v_div_scale_f32 v4, vcc_lo, 1.0, v0, 1.0
	s_delay_alu instid0(VALU_DEP_1) | instskip(NEXT) | instid1(VALU_DEP_1)
	v_mul_f32_e32 v5, v4, v2
	v_fma_f32 v6, -v1, v5, v4
	s_delay_alu instid0(VALU_DEP_1) | instskip(NEXT) | instid1(VALU_DEP_1)
	v_fmac_f32_e32 v5, v6, v2
	v_fma_f32 v1, -v1, v5, v4
	s_delay_alu instid0(VALU_DEP_1) | instskip(NEXT) | instid1(VALU_DEP_1)
	v_div_fmas_f32 v1, v1, v2, v5
	v_div_fixup_f32 v2, v1, v0, 1.0
	s_delay_alu instid0(VALU_DEP_1)
	v_mul_f32_e64 v3, v3, -v2
.LBB93_241:
	s_or_b32 exec_lo, exec_lo, s1
	ds_store_b64 v37, v[2:3]
.LBB93_242:
	s_or_b32 exec_lo, exec_lo, s2
	s_wait_dscnt 0x0
	s_barrier_signal -1
	s_barrier_wait -1
	ds_load_b64 v[242:243], v37
	s_mov_b32 s1, exec_lo
	v_cmpx_lt_u32_e32 26, v36
	s_cbranch_execz .LBB93_244
; %bb.243:
	ds_load_2addr_b64 v[4:7], v40 offset0:27 offset1:28
	s_wait_dscnt 0x1
	v_pk_mul_f32 v[2:3], v[242:243], v[110:111] op_sel:[1,1] op_sel_hi:[0,1]
	s_delay_alu instid0(VALU_DEP_1) | instskip(SKIP_1) | instid1(VALU_DEP_1)
	v_pk_fma_f32 v[0:1], v[242:243], v[110:111], v[2:3] op_sel_hi:[1,0,1] neg_lo:[0,0,1] neg_hi:[0,0,1]
	v_pk_fma_f32 v[2:3], v[242:243], v[110:111], v[2:3] op_sel_hi:[1,0,1]
	v_dual_mov_b32 v110, v0 :: v_dual_mov_b32 v111, v3
	s_wait_dscnt 0x0
	s_delay_alu instid0(VALU_DEP_2) | instskip(NEXT) | instid1(VALU_DEP_1)
	v_pk_mul_f32 v[8:9], v[4:5], v[2:3] op_sel:[0,1]
	v_pk_fma_f32 v[10:11], v[4:5], v[0:1], v[8:9] op_sel:[0,0,1] op_sel_hi:[1,1,0] neg_lo:[0,0,1] neg_hi:[0,0,1]
	v_pk_fma_f32 v[4:5], v[4:5], v[0:1], v[8:9] op_sel:[0,0,1] op_sel_hi:[1,0,0]
	s_delay_alu instid0(VALU_DEP_1) | instskip(SKIP_1) | instid1(VALU_DEP_1)
	v_mov_b32_e32 v11, v5
	v_pk_mul_f32 v[4:5], v[6:7], v[2:3] op_sel:[0,1]
	v_pk_fma_f32 v[8:9], v[6:7], v[0:1], v[4:5] op_sel:[0,0,1] op_sel_hi:[1,1,0] neg_lo:[0,0,1] neg_hi:[0,0,1]
	v_pk_fma_f32 v[4:5], v[6:7], v[0:1], v[4:5] op_sel:[0,0,1] op_sel_hi:[1,0,0]
	s_delay_alu instid0(VALU_DEP_1)
	v_mov_b32_e32 v9, v5
	ds_load_2addr_b64 v[4:7], v40 offset0:29 offset1:30
	v_pk_add_f32 v[106:107], v[106:107], v[10:11] neg_lo:[0,1] neg_hi:[0,1]
	v_pk_add_f32 v[128:129], v[128:129], v[8:9] neg_lo:[0,1] neg_hi:[0,1]
	s_wait_dscnt 0x0
	v_pk_mul_f32 v[8:9], v[4:5], v[2:3] op_sel:[0,1]
	s_delay_alu instid0(VALU_DEP_1) | instskip(SKIP_2) | instid1(VALU_DEP_2)
	v_pk_fma_f32 v[10:11], v[4:5], v[0:1], v[8:9] op_sel:[0,0,1] op_sel_hi:[1,1,0] neg_lo:[0,0,1] neg_hi:[0,0,1]
	v_pk_fma_f32 v[4:5], v[4:5], v[0:1], v[8:9] op_sel:[0,0,1] op_sel_hi:[1,0,0]
	v_dual_mul_f32 v8, v7, v3 :: v_dual_mov_b32 v4, v7
	v_dual_mov_b32 v11, v5 :: v_dual_mov_b32 v5, v6
	s_delay_alu instid0(VALU_DEP_2) | instskip(SKIP_1) | instid1(VALU_DEP_3)
	v_pk_fma_f32 v[8:9], v[6:7], v[110:111], v[8:9] op_sel_hi:[1,1,0] neg_lo:[0,0,1] neg_hi:[0,0,1]
	v_mul_f32_e32 v6, v7, v0
	v_pk_add_f32 v[124:125], v[124:125], v[10:11] neg_lo:[0,1] neg_hi:[0,1]
	s_delay_alu instid0(VALU_DEP_2) | instskip(NEXT) | instid1(VALU_DEP_1)
	v_pk_fma_f32 v[4:5], v[4:5], v[110:111], v[6:7] op_sel_hi:[1,1,0]
	v_mov_b32_e32 v9, v5
	ds_load_2addr_b64 v[4:7], v40 offset0:31 offset1:32
	v_pk_add_f32 v[126:127], v[126:127], v[8:9] neg_lo:[0,1] neg_hi:[0,1]
	s_wait_dscnt 0x0
	v_pk_mul_f32 v[8:9], v[4:5], v[2:3] op_sel:[0,1]
	s_delay_alu instid0(VALU_DEP_1) | instskip(SKIP_1) | instid1(VALU_DEP_1)
	v_pk_fma_f32 v[10:11], v[4:5], v[0:1], v[8:9] op_sel:[0,0,1] op_sel_hi:[1,1,0] neg_lo:[0,0,1] neg_hi:[0,0,1]
	v_pk_fma_f32 v[4:5], v[4:5], v[0:1], v[8:9] op_sel:[0,0,1] op_sel_hi:[1,0,0]
	v_mov_b32_e32 v11, v5
	v_pk_mul_f32 v[4:5], v[6:7], v[2:3] op_sel:[0,1]
	s_delay_alu instid0(VALU_DEP_1) | instskip(SKIP_1) | instid1(VALU_DEP_1)
	v_pk_fma_f32 v[8:9], v[6:7], v[0:1], v[4:5] op_sel:[0,0,1] op_sel_hi:[1,1,0] neg_lo:[0,0,1] neg_hi:[0,0,1]
	v_pk_fma_f32 v[4:5], v[6:7], v[0:1], v[4:5] op_sel:[0,0,1] op_sel_hi:[1,0,0]
	v_mov_b32_e32 v9, v5
	ds_load_2addr_b64 v[4:7], v40 offset0:33 offset1:34
	v_pk_add_f32 v[122:123], v[122:123], v[10:11] neg_lo:[0,1] neg_hi:[0,1]
	v_pk_add_f32 v[144:145], v[144:145], v[8:9] neg_lo:[0,1] neg_hi:[0,1]
	s_wait_dscnt 0x0
	v_pk_mul_f32 v[8:9], v[4:5], v[2:3] op_sel:[0,1]
	s_delay_alu instid0(VALU_DEP_1) | instskip(SKIP_1) | instid1(VALU_DEP_1)
	v_pk_fma_f32 v[10:11], v[4:5], v[0:1], v[8:9] op_sel:[0,0,1] op_sel_hi:[1,1,0] neg_lo:[0,0,1] neg_hi:[0,0,1]
	v_pk_fma_f32 v[4:5], v[4:5], v[0:1], v[8:9] op_sel:[0,0,1] op_sel_hi:[1,0,0]
	v_mov_b32_e32 v11, v5
	v_pk_mul_f32 v[4:5], v[6:7], v[2:3] op_sel:[0,1]
	s_delay_alu instid0(VALU_DEP_1) | instskip(SKIP_1) | instid1(VALU_DEP_1)
	v_pk_fma_f32 v[8:9], v[6:7], v[0:1], v[4:5] op_sel:[0,0,1] op_sel_hi:[1,1,0] neg_lo:[0,0,1] neg_hi:[0,0,1]
	v_pk_fma_f32 v[4:5], v[6:7], v[0:1], v[4:5] op_sel:[0,0,1] op_sel_hi:[1,0,0]
	v_mov_b32_e32 v9, v5
	ds_load_2addr_b64 v[4:7], v40 offset0:35 offset1:36
	v_pk_add_f32 v[140:141], v[140:141], v[10:11] neg_lo:[0,1] neg_hi:[0,1]
	v_pk_add_f32 v[142:143], v[142:143], v[8:9] neg_lo:[0,1] neg_hi:[0,1]
	s_wait_dscnt 0x0
	v_dual_mul_f32 v8, v5, v3 :: v_dual_mul_f32 v10, v5, v0
	s_delay_alu instid0(VALU_DEP_1) | instskip(NEXT) | instid1(VALU_DEP_2)
	v_pk_fma_f32 v[8:9], v[4:5], v[110:111], v[8:9] op_sel_hi:[1,1,0] neg_lo:[0,0,1] neg_hi:[0,0,1]
	v_pk_fma_f32 v[4:5], v[4:5], v[110:111], v[10:11] op_sel:[1,0,0] op_sel_hi:[0,1,0]
	s_delay_alu instid0(VALU_DEP_1) | instskip(SKIP_1) | instid1(VALU_DEP_2)
	v_mov_b32_e32 v9, v5
	v_pk_mul_f32 v[4:5], v[6:7], v[2:3] op_sel:[0,1]
	v_pk_add_f32 v[138:139], v[138:139], v[8:9] neg_lo:[0,1] neg_hi:[0,1]
	s_delay_alu instid0(VALU_DEP_2) | instskip(SKIP_1) | instid1(VALU_DEP_1)
	v_pk_fma_f32 v[8:9], v[6:7], v[0:1], v[4:5] op_sel:[0,0,1] op_sel_hi:[1,1,0] neg_lo:[0,0,1] neg_hi:[0,0,1]
	v_pk_fma_f32 v[4:5], v[6:7], v[0:1], v[4:5] op_sel:[0,0,1] op_sel_hi:[1,0,0]
	v_mov_b32_e32 v9, v5
	ds_load_2addr_b64 v[4:7], v40 offset0:37 offset1:38
	v_pk_add_f32 v[162:163], v[162:163], v[8:9] neg_lo:[0,1] neg_hi:[0,1]
	s_wait_dscnt 0x0
	v_pk_mul_f32 v[8:9], v[4:5], v[2:3] op_sel:[0,1]
	s_delay_alu instid0(VALU_DEP_1) | instskip(SKIP_1) | instid1(VALU_DEP_1)
	v_pk_fma_f32 v[10:11], v[4:5], v[0:1], v[8:9] op_sel:[0,0,1] op_sel_hi:[1,1,0] neg_lo:[0,0,1] neg_hi:[0,0,1]
	v_pk_fma_f32 v[4:5], v[4:5], v[0:1], v[8:9] op_sel:[0,0,1] op_sel_hi:[1,0,0]
	v_mov_b32_e32 v11, v5
	v_pk_mul_f32 v[4:5], v[6:7], v[2:3] op_sel:[0,1]
	s_delay_alu instid0(VALU_DEP_2) | instskip(NEXT) | instid1(VALU_DEP_2)
	v_pk_add_f32 v[158:159], v[158:159], v[10:11] neg_lo:[0,1] neg_hi:[0,1]
	v_pk_fma_f32 v[8:9], v[6:7], v[0:1], v[4:5] op_sel:[0,0,1] op_sel_hi:[1,1,0] neg_lo:[0,0,1] neg_hi:[0,0,1]
	v_pk_fma_f32 v[4:5], v[6:7], v[0:1], v[4:5] op_sel:[0,0,1] op_sel_hi:[1,0,0]
	s_delay_alu instid0(VALU_DEP_1) | instskip(SKIP_4) | instid1(VALU_DEP_1)
	v_mov_b32_e32 v9, v5
	ds_load_2addr_b64 v[4:7], v40 offset0:39 offset1:40
	v_pk_add_f32 v[160:161], v[160:161], v[8:9] neg_lo:[0,1] neg_hi:[0,1]
	s_wait_dscnt 0x0
	v_pk_mul_f32 v[8:9], v[4:5], v[2:3] op_sel:[0,1]
	v_pk_fma_f32 v[10:11], v[4:5], v[0:1], v[8:9] op_sel:[0,0,1] op_sel_hi:[1,1,0] neg_lo:[0,0,1] neg_hi:[0,0,1]
	v_pk_fma_f32 v[4:5], v[4:5], v[0:1], v[8:9] op_sel:[0,0,1] op_sel_hi:[1,0,0]
	v_dual_mul_f32 v8, v7, v3 :: v_dual_mov_b32 v4, v7
	s_delay_alu instid0(VALU_DEP_2) | instskip(NEXT) | instid1(VALU_DEP_2)
	v_dual_mov_b32 v11, v5 :: v_dual_mov_b32 v5, v6
	v_pk_fma_f32 v[8:9], v[6:7], v[110:111], v[8:9] op_sel_hi:[1,1,0] neg_lo:[0,0,1] neg_hi:[0,0,1]
	v_mul_f32_e32 v6, v7, v0
	s_delay_alu instid0(VALU_DEP_3) | instskip(NEXT) | instid1(VALU_DEP_2)
	v_pk_add_f32 v[156:157], v[156:157], v[10:11] neg_lo:[0,1] neg_hi:[0,1]
	v_pk_fma_f32 v[4:5], v[4:5], v[110:111], v[6:7] op_sel_hi:[1,1,0]
	s_delay_alu instid0(VALU_DEP_1) | instskip(SKIP_4) | instid1(VALU_DEP_1)
	v_mov_b32_e32 v9, v5
	ds_load_2addr_b64 v[4:7], v40 offset0:41 offset1:42
	v_pk_add_f32 v[182:183], v[182:183], v[8:9] neg_lo:[0,1] neg_hi:[0,1]
	s_wait_dscnt 0x0
	v_pk_mul_f32 v[8:9], v[4:5], v[2:3] op_sel:[0,1]
	v_pk_fma_f32 v[10:11], v[4:5], v[0:1], v[8:9] op_sel:[0,0,1] op_sel_hi:[1,1,0] neg_lo:[0,0,1] neg_hi:[0,0,1]
	v_pk_fma_f32 v[4:5], v[4:5], v[0:1], v[8:9] op_sel:[0,0,1] op_sel_hi:[1,0,0]
	s_delay_alu instid0(VALU_DEP_1) | instskip(SKIP_1) | instid1(VALU_DEP_1)
	v_mov_b32_e32 v11, v5
	v_pk_mul_f32 v[4:5], v[6:7], v[2:3] op_sel:[0,1]
	v_pk_fma_f32 v[8:9], v[6:7], v[0:1], v[4:5] op_sel:[0,0,1] op_sel_hi:[1,1,0] neg_lo:[0,0,1] neg_hi:[0,0,1]
	v_pk_fma_f32 v[4:5], v[6:7], v[0:1], v[4:5] op_sel:[0,0,1] op_sel_hi:[1,0,0]
	s_delay_alu instid0(VALU_DEP_1)
	v_mov_b32_e32 v9, v5
	ds_load_2addr_b64 v[4:7], v40 offset0:43 offset1:44
	v_pk_add_f32 v[176:177], v[176:177], v[10:11] neg_lo:[0,1] neg_hi:[0,1]
	v_pk_add_f32 v[180:181], v[180:181], v[8:9] neg_lo:[0,1] neg_hi:[0,1]
	s_wait_dscnt 0x0
	v_pk_mul_f32 v[8:9], v[4:5], v[2:3] op_sel:[0,1]
	s_delay_alu instid0(VALU_DEP_1) | instskip(SKIP_1) | instid1(VALU_DEP_1)
	v_pk_fma_f32 v[10:11], v[4:5], v[0:1], v[8:9] op_sel:[0,0,1] op_sel_hi:[1,1,0] neg_lo:[0,0,1] neg_hi:[0,0,1]
	v_pk_fma_f32 v[4:5], v[4:5], v[0:1], v[8:9] op_sel:[0,0,1] op_sel_hi:[1,0,0]
	v_mov_b32_e32 v11, v5
	v_pk_mul_f32 v[4:5], v[6:7], v[2:3] op_sel:[0,1]
	s_delay_alu instid0(VALU_DEP_1) | instskip(SKIP_1) | instid1(VALU_DEP_1)
	v_pk_fma_f32 v[8:9], v[6:7], v[0:1], v[4:5] op_sel:[0,0,1] op_sel_hi:[1,1,0] neg_lo:[0,0,1] neg_hi:[0,0,1]
	v_pk_fma_f32 v[4:5], v[6:7], v[0:1], v[4:5] op_sel:[0,0,1] op_sel_hi:[1,0,0]
	v_mov_b32_e32 v9, v5
	ds_load_2addr_b64 v[4:7], v40 offset0:45 offset1:46
	v_pk_add_f32 v[174:175], v[174:175], v[10:11] neg_lo:[0,1] neg_hi:[0,1]
	v_pk_add_f32 v[178:179], v[178:179], v[8:9] neg_lo:[0,1] neg_hi:[0,1]
	s_wait_dscnt 0x0
	v_dual_mul_f32 v8, v5, v3 :: v_dual_mul_f32 v10, v5, v0
	v_pk_mul_f32 v[2:3], v[6:7], v[2:3] op_sel:[0,1]
	s_delay_alu instid0(VALU_DEP_2) | instskip(NEXT) | instid1(VALU_DEP_3)
	v_pk_fma_f32 v[8:9], v[4:5], v[110:111], v[8:9] op_sel_hi:[1,1,0] neg_lo:[0,0,1] neg_hi:[0,0,1]
	v_pk_fma_f32 v[4:5], v[4:5], v[110:111], v[10:11] op_sel:[1,0,0] op_sel_hi:[0,1,0]
	s_delay_alu instid0(VALU_DEP_1) | instskip(NEXT) | instid1(VALU_DEP_4)
	v_mov_b32_e32 v9, v5
	v_pk_fma_f32 v[4:5], v[6:7], v[0:1], v[2:3] op_sel:[0,0,1] op_sel_hi:[1,1,0] neg_lo:[0,0,1] neg_hi:[0,0,1]
	v_pk_fma_f32 v[0:1], v[6:7], v[0:1], v[2:3] op_sel:[0,0,1] op_sel_hi:[1,0,0]
	s_delay_alu instid0(VALU_DEP_1) | instskip(NEXT) | instid1(VALU_DEP_4)
	v_mov_b32_e32 v5, v1
	v_pk_add_f32 v[186:187], v[186:187], v[8:9] neg_lo:[0,1] neg_hi:[0,1]
	s_delay_alu instid0(VALU_DEP_2)
	v_pk_add_f32 v[188:189], v[188:189], v[4:5] neg_lo:[0,1] neg_hi:[0,1]
.LBB93_244:
	s_or_b32 exec_lo, exec_lo, s1
	s_delay_alu instid0(SALU_CYCLE_1)
	s_mov_b32 s2, exec_lo
	s_wait_dscnt 0x0
	s_barrier_signal -1
	s_barrier_wait -1
	v_cmpx_eq_u32_e32 27, v36
	s_cbranch_execz .LBB93_251
; %bb.245:
	v_dual_mov_b32 v0, v128 :: v_dual_mov_b32 v1, v129
	v_dual_mov_b32 v2, v124 :: v_dual_mov_b32 v3, v125
	ds_store_b64 v37, v[106:107]
	ds_store_2addr_b64 v40, v[0:1], v[2:3] offset0:28 offset1:29
	v_dual_mov_b32 v0, v126 :: v_dual_mov_b32 v1, v127
	v_dual_mov_b32 v2, v122 :: v_dual_mov_b32 v3, v123
	ds_store_2addr_b64 v40, v[0:1], v[2:3] offset0:30 offset1:31
	v_dual_mov_b32 v0, v144 :: v_dual_mov_b32 v1, v145
	v_dual_mov_b32 v2, v140 :: v_dual_mov_b32 v3, v141
	;; [unrolled: 3-line block ×8, first 2 shown]
	ds_store_2addr_b64 v40, v[0:1], v[2:3] offset0:44 offset1:45
	ds_store_b64 v40, v[188:189] offset:368
	ds_load_b64 v[0:1], v37
	s_wait_dscnt 0x0
	v_cmp_neq_f32_e32 vcc_lo, 0, v0
	v_cmp_neq_f32_e64 s1, 0, v1
	s_or_b32 s1, vcc_lo, s1
	s_delay_alu instid0(SALU_CYCLE_1)
	s_and_b32 exec_lo, exec_lo, s1
	s_cbranch_execz .LBB93_251
; %bb.246:
	v_cmp_ngt_f32_e64 s1, |v0|, |v1|
                                        ; implicit-def: $vgpr2_vgpr3
	s_and_saveexec_b32 s4, s1
	s_delay_alu instid0(SALU_CYCLE_1)
	s_xor_b32 s1, exec_lo, s4
	s_cbranch_execz .LBB93_248
; %bb.247:
	v_div_scale_f32 v2, null, v1, v1, v0
	v_div_scale_f32 v5, vcc_lo, v0, v1, v0
	s_delay_alu instid0(VALU_DEP_2) | instskip(SKIP_1) | instid1(TRANS32_DEP_1)
	v_rcp_f32_e32 v3, v2
	v_nop
	v_fma_f32 v4, -v2, v3, 1.0
	s_delay_alu instid0(VALU_DEP_1) | instskip(NEXT) | instid1(VALU_DEP_1)
	v_fmac_f32_e32 v3, v4, v3
	v_mul_f32_e32 v4, v5, v3
	s_delay_alu instid0(VALU_DEP_1) | instskip(NEXT) | instid1(VALU_DEP_1)
	v_fma_f32 v6, -v2, v4, v5
	v_fmac_f32_e32 v4, v6, v3
	s_delay_alu instid0(VALU_DEP_1) | instskip(NEXT) | instid1(VALU_DEP_1)
	v_fma_f32 v2, -v2, v4, v5
	v_div_fmas_f32 v2, v2, v3, v4
	s_delay_alu instid0(VALU_DEP_1) | instskip(NEXT) | instid1(VALU_DEP_1)
	v_div_fixup_f32 v2, v2, v1, v0
	v_fmac_f32_e32 v1, v0, v2
	s_delay_alu instid0(VALU_DEP_1) | instskip(SKIP_1) | instid1(VALU_DEP_2)
	v_div_scale_f32 v0, null, v1, v1, 1.0
	v_div_scale_f32 v5, vcc_lo, 1.0, v1, 1.0
	v_rcp_f32_e32 v3, v0
	v_nop
	s_delay_alu instid0(TRANS32_DEP_1) | instskip(NEXT) | instid1(VALU_DEP_1)
	v_fma_f32 v4, -v0, v3, 1.0
	v_fmac_f32_e32 v3, v4, v3
	s_delay_alu instid0(VALU_DEP_1) | instskip(NEXT) | instid1(VALU_DEP_1)
	v_mul_f32_e32 v4, v5, v3
	v_fma_f32 v6, -v0, v4, v5
	s_delay_alu instid0(VALU_DEP_1) | instskip(NEXT) | instid1(VALU_DEP_1)
	v_fmac_f32_e32 v4, v6, v3
	v_fma_f32 v0, -v0, v4, v5
	s_delay_alu instid0(VALU_DEP_1) | instskip(NEXT) | instid1(VALU_DEP_1)
	v_div_fmas_f32 v0, v0, v3, v4
	v_div_fixup_f32 v0, v0, v1, 1.0
	s_delay_alu instid0(VALU_DEP_1)
	v_mul_f32_e32 v2, v2, v0
	v_xor_b32_e32 v3, 0x80000000, v0
                                        ; implicit-def: $vgpr0_vgpr1
.LBB93_248:
	s_and_not1_saveexec_b32 s1, s1
	s_cbranch_execz .LBB93_250
; %bb.249:
	v_div_scale_f32 v2, null, v0, v0, v1
	v_div_scale_f32 v5, vcc_lo, v1, v0, v1
	s_delay_alu instid0(VALU_DEP_2) | instskip(SKIP_1) | instid1(TRANS32_DEP_1)
	v_rcp_f32_e32 v3, v2
	v_nop
	v_fma_f32 v4, -v2, v3, 1.0
	s_delay_alu instid0(VALU_DEP_1) | instskip(NEXT) | instid1(VALU_DEP_1)
	v_fmac_f32_e32 v3, v4, v3
	v_mul_f32_e32 v4, v5, v3
	s_delay_alu instid0(VALU_DEP_1) | instskip(NEXT) | instid1(VALU_DEP_1)
	v_fma_f32 v6, -v2, v4, v5
	v_fmac_f32_e32 v4, v6, v3
	s_delay_alu instid0(VALU_DEP_1) | instskip(NEXT) | instid1(VALU_DEP_1)
	v_fma_f32 v2, -v2, v4, v5
	v_div_fmas_f32 v2, v2, v3, v4
	s_delay_alu instid0(VALU_DEP_1) | instskip(NEXT) | instid1(VALU_DEP_1)
	v_div_fixup_f32 v3, v2, v0, v1
	v_fmac_f32_e32 v0, v1, v3
	s_delay_alu instid0(VALU_DEP_1) | instskip(NEXT) | instid1(VALU_DEP_1)
	v_div_scale_f32 v1, null, v0, v0, 1.0
	v_rcp_f32_e32 v2, v1
	v_nop
	s_delay_alu instid0(TRANS32_DEP_1) | instskip(NEXT) | instid1(VALU_DEP_1)
	v_fma_f32 v4, -v1, v2, 1.0
	v_fmac_f32_e32 v2, v4, v2
	v_div_scale_f32 v4, vcc_lo, 1.0, v0, 1.0
	s_delay_alu instid0(VALU_DEP_1) | instskip(NEXT) | instid1(VALU_DEP_1)
	v_mul_f32_e32 v5, v4, v2
	v_fma_f32 v6, -v1, v5, v4
	s_delay_alu instid0(VALU_DEP_1) | instskip(NEXT) | instid1(VALU_DEP_1)
	v_fmac_f32_e32 v5, v6, v2
	v_fma_f32 v1, -v1, v5, v4
	s_delay_alu instid0(VALU_DEP_1) | instskip(NEXT) | instid1(VALU_DEP_1)
	v_div_fmas_f32 v1, v1, v2, v5
	v_div_fixup_f32 v2, v1, v0, 1.0
	s_delay_alu instid0(VALU_DEP_1)
	v_mul_f32_e64 v3, v3, -v2
.LBB93_250:
	s_or_b32 exec_lo, exec_lo, s1
	ds_store_b64 v37, v[2:3]
.LBB93_251:
	s_or_b32 exec_lo, exec_lo, s2
	s_wait_dscnt 0x0
	s_barrier_signal -1
	s_barrier_wait -1
	ds_load_b64 v[244:245], v37
	s_mov_b32 s1, exec_lo
	v_cmpx_lt_u32_e32 27, v36
	s_cbranch_execz .LBB93_253
; %bb.252:
	ds_load_2addr_b64 v[4:7], v40 offset0:28 offset1:29
	s_wait_dscnt 0x1
	v_pk_mul_f32 v[2:3], v[244:245], v[106:107] op_sel:[1,1] op_sel_hi:[0,1]
	s_delay_alu instid0(VALU_DEP_1) | instskip(SKIP_1) | instid1(VALU_DEP_1)
	v_pk_fma_f32 v[0:1], v[244:245], v[106:107], v[2:3] op_sel_hi:[1,0,1] neg_lo:[0,0,1] neg_hi:[0,0,1]
	v_pk_fma_f32 v[2:3], v[244:245], v[106:107], v[2:3] op_sel_hi:[1,0,1]
	v_dual_mov_b32 v106, v0 :: v_dual_mov_b32 v107, v3
	s_wait_dscnt 0x0
	s_delay_alu instid0(VALU_DEP_2) | instskip(NEXT) | instid1(VALU_DEP_1)
	v_pk_mul_f32 v[8:9], v[4:5], v[2:3] op_sel:[0,1]
	v_pk_fma_f32 v[10:11], v[4:5], v[0:1], v[8:9] op_sel:[0,0,1] op_sel_hi:[1,1,0] neg_lo:[0,0,1] neg_hi:[0,0,1]
	v_pk_fma_f32 v[4:5], v[4:5], v[0:1], v[8:9] op_sel:[0,0,1] op_sel_hi:[1,0,0]
	s_delay_alu instid0(VALU_DEP_1) | instskip(SKIP_1) | instid1(VALU_DEP_1)
	v_mov_b32_e32 v11, v5
	v_pk_mul_f32 v[4:5], v[6:7], v[2:3] op_sel:[0,1]
	v_pk_fma_f32 v[8:9], v[6:7], v[0:1], v[4:5] op_sel:[0,0,1] op_sel_hi:[1,1,0] neg_lo:[0,0,1] neg_hi:[0,0,1]
	v_pk_fma_f32 v[4:5], v[6:7], v[0:1], v[4:5] op_sel:[0,0,1] op_sel_hi:[1,0,0]
	s_delay_alu instid0(VALU_DEP_1)
	v_mov_b32_e32 v9, v5
	ds_load_2addr_b64 v[4:7], v40 offset0:30 offset1:31
	v_pk_add_f32 v[128:129], v[128:129], v[10:11] neg_lo:[0,1] neg_hi:[0,1]
	v_pk_add_f32 v[124:125], v[124:125], v[8:9] neg_lo:[0,1] neg_hi:[0,1]
	s_wait_dscnt 0x0
	v_pk_mul_f32 v[8:9], v[4:5], v[2:3] op_sel:[0,1]
	s_delay_alu instid0(VALU_DEP_1) | instskip(SKIP_2) | instid1(VALU_DEP_2)
	v_pk_fma_f32 v[10:11], v[4:5], v[0:1], v[8:9] op_sel:[0,0,1] op_sel_hi:[1,1,0] neg_lo:[0,0,1] neg_hi:[0,0,1]
	v_pk_fma_f32 v[4:5], v[4:5], v[0:1], v[8:9] op_sel:[0,0,1] op_sel_hi:[1,0,0]
	v_dual_mul_f32 v8, v7, v3 :: v_dual_mov_b32 v4, v7
	v_dual_mov_b32 v11, v5 :: v_dual_mov_b32 v5, v6
	s_delay_alu instid0(VALU_DEP_2) | instskip(SKIP_1) | instid1(VALU_DEP_3)
	v_pk_fma_f32 v[8:9], v[6:7], v[106:107], v[8:9] op_sel_hi:[1,1,0] neg_lo:[0,0,1] neg_hi:[0,0,1]
	v_mul_f32_e32 v6, v7, v0
	v_pk_add_f32 v[126:127], v[126:127], v[10:11] neg_lo:[0,1] neg_hi:[0,1]
	s_delay_alu instid0(VALU_DEP_2) | instskip(NEXT) | instid1(VALU_DEP_1)
	v_pk_fma_f32 v[4:5], v[4:5], v[106:107], v[6:7] op_sel_hi:[1,1,0]
	v_mov_b32_e32 v9, v5
	ds_load_2addr_b64 v[4:7], v40 offset0:32 offset1:33
	v_pk_add_f32 v[122:123], v[122:123], v[8:9] neg_lo:[0,1] neg_hi:[0,1]
	s_wait_dscnt 0x0
	v_pk_mul_f32 v[8:9], v[4:5], v[2:3] op_sel:[0,1]
	s_delay_alu instid0(VALU_DEP_1) | instskip(SKIP_1) | instid1(VALU_DEP_1)
	v_pk_fma_f32 v[10:11], v[4:5], v[0:1], v[8:9] op_sel:[0,0,1] op_sel_hi:[1,1,0] neg_lo:[0,0,1] neg_hi:[0,0,1]
	v_pk_fma_f32 v[4:5], v[4:5], v[0:1], v[8:9] op_sel:[0,0,1] op_sel_hi:[1,0,0]
	v_mov_b32_e32 v11, v5
	v_pk_mul_f32 v[4:5], v[6:7], v[2:3] op_sel:[0,1]
	s_delay_alu instid0(VALU_DEP_1) | instskip(SKIP_1) | instid1(VALU_DEP_1)
	v_pk_fma_f32 v[8:9], v[6:7], v[0:1], v[4:5] op_sel:[0,0,1] op_sel_hi:[1,1,0] neg_lo:[0,0,1] neg_hi:[0,0,1]
	v_pk_fma_f32 v[4:5], v[6:7], v[0:1], v[4:5] op_sel:[0,0,1] op_sel_hi:[1,0,0]
	v_mov_b32_e32 v9, v5
	ds_load_2addr_b64 v[4:7], v40 offset0:34 offset1:35
	v_pk_add_f32 v[144:145], v[144:145], v[10:11] neg_lo:[0,1] neg_hi:[0,1]
	v_pk_add_f32 v[140:141], v[140:141], v[8:9] neg_lo:[0,1] neg_hi:[0,1]
	s_wait_dscnt 0x0
	v_pk_mul_f32 v[8:9], v[4:5], v[2:3] op_sel:[0,1]
	s_delay_alu instid0(VALU_DEP_1) | instskip(SKIP_1) | instid1(VALU_DEP_1)
	v_pk_fma_f32 v[10:11], v[4:5], v[0:1], v[8:9] op_sel:[0,0,1] op_sel_hi:[1,1,0] neg_lo:[0,0,1] neg_hi:[0,0,1]
	v_pk_fma_f32 v[4:5], v[4:5], v[0:1], v[8:9] op_sel:[0,0,1] op_sel_hi:[1,0,0]
	v_mov_b32_e32 v11, v5
	v_pk_mul_f32 v[4:5], v[6:7], v[2:3] op_sel:[0,1]
	s_delay_alu instid0(VALU_DEP_1) | instskip(SKIP_1) | instid1(VALU_DEP_1)
	v_pk_fma_f32 v[8:9], v[6:7], v[0:1], v[4:5] op_sel:[0,0,1] op_sel_hi:[1,1,0] neg_lo:[0,0,1] neg_hi:[0,0,1]
	v_pk_fma_f32 v[4:5], v[6:7], v[0:1], v[4:5] op_sel:[0,0,1] op_sel_hi:[1,0,0]
	v_mov_b32_e32 v9, v5
	ds_load_2addr_b64 v[4:7], v40 offset0:36 offset1:37
	v_pk_add_f32 v[142:143], v[142:143], v[10:11] neg_lo:[0,1] neg_hi:[0,1]
	v_pk_add_f32 v[138:139], v[138:139], v[8:9] neg_lo:[0,1] neg_hi:[0,1]
	s_wait_dscnt 0x0
	v_dual_mul_f32 v8, v5, v3 :: v_dual_mul_f32 v10, v5, v0
	s_delay_alu instid0(VALU_DEP_1) | instskip(NEXT) | instid1(VALU_DEP_2)
	v_pk_fma_f32 v[8:9], v[4:5], v[106:107], v[8:9] op_sel_hi:[1,1,0] neg_lo:[0,0,1] neg_hi:[0,0,1]
	v_pk_fma_f32 v[4:5], v[4:5], v[106:107], v[10:11] op_sel:[1,0,0] op_sel_hi:[0,1,0]
	s_delay_alu instid0(VALU_DEP_1) | instskip(SKIP_1) | instid1(VALU_DEP_2)
	v_mov_b32_e32 v9, v5
	v_pk_mul_f32 v[4:5], v[6:7], v[2:3] op_sel:[0,1]
	v_pk_add_f32 v[162:163], v[162:163], v[8:9] neg_lo:[0,1] neg_hi:[0,1]
	s_delay_alu instid0(VALU_DEP_2) | instskip(SKIP_1) | instid1(VALU_DEP_1)
	v_pk_fma_f32 v[8:9], v[6:7], v[0:1], v[4:5] op_sel:[0,0,1] op_sel_hi:[1,1,0] neg_lo:[0,0,1] neg_hi:[0,0,1]
	v_pk_fma_f32 v[4:5], v[6:7], v[0:1], v[4:5] op_sel:[0,0,1] op_sel_hi:[1,0,0]
	v_mov_b32_e32 v9, v5
	ds_load_2addr_b64 v[4:7], v40 offset0:38 offset1:39
	v_pk_add_f32 v[158:159], v[158:159], v[8:9] neg_lo:[0,1] neg_hi:[0,1]
	s_wait_dscnt 0x0
	v_pk_mul_f32 v[8:9], v[4:5], v[2:3] op_sel:[0,1]
	s_delay_alu instid0(VALU_DEP_1) | instskip(SKIP_1) | instid1(VALU_DEP_1)
	v_pk_fma_f32 v[10:11], v[4:5], v[0:1], v[8:9] op_sel:[0,0,1] op_sel_hi:[1,1,0] neg_lo:[0,0,1] neg_hi:[0,0,1]
	v_pk_fma_f32 v[4:5], v[4:5], v[0:1], v[8:9] op_sel:[0,0,1] op_sel_hi:[1,0,0]
	v_mov_b32_e32 v11, v5
	v_pk_mul_f32 v[4:5], v[6:7], v[2:3] op_sel:[0,1]
	s_delay_alu instid0(VALU_DEP_2) | instskip(NEXT) | instid1(VALU_DEP_2)
	v_pk_add_f32 v[160:161], v[160:161], v[10:11] neg_lo:[0,1] neg_hi:[0,1]
	v_pk_fma_f32 v[8:9], v[6:7], v[0:1], v[4:5] op_sel:[0,0,1] op_sel_hi:[1,1,0] neg_lo:[0,0,1] neg_hi:[0,0,1]
	v_pk_fma_f32 v[4:5], v[6:7], v[0:1], v[4:5] op_sel:[0,0,1] op_sel_hi:[1,0,0]
	s_delay_alu instid0(VALU_DEP_1) | instskip(SKIP_4) | instid1(VALU_DEP_1)
	v_mov_b32_e32 v9, v5
	ds_load_2addr_b64 v[4:7], v40 offset0:40 offset1:41
	v_pk_add_f32 v[156:157], v[156:157], v[8:9] neg_lo:[0,1] neg_hi:[0,1]
	s_wait_dscnt 0x0
	v_pk_mul_f32 v[8:9], v[4:5], v[2:3] op_sel:[0,1]
	v_pk_fma_f32 v[10:11], v[4:5], v[0:1], v[8:9] op_sel:[0,0,1] op_sel_hi:[1,1,0] neg_lo:[0,0,1] neg_hi:[0,0,1]
	v_pk_fma_f32 v[4:5], v[4:5], v[0:1], v[8:9] op_sel:[0,0,1] op_sel_hi:[1,0,0]
	v_dual_mul_f32 v8, v7, v3 :: v_dual_mov_b32 v4, v7
	s_delay_alu instid0(VALU_DEP_2) | instskip(NEXT) | instid1(VALU_DEP_2)
	v_dual_mov_b32 v11, v5 :: v_dual_mov_b32 v5, v6
	v_pk_fma_f32 v[8:9], v[6:7], v[106:107], v[8:9] op_sel_hi:[1,1,0] neg_lo:[0,0,1] neg_hi:[0,0,1]
	v_mul_f32_e32 v6, v7, v0
	s_delay_alu instid0(VALU_DEP_3) | instskip(NEXT) | instid1(VALU_DEP_2)
	v_pk_add_f32 v[182:183], v[182:183], v[10:11] neg_lo:[0,1] neg_hi:[0,1]
	v_pk_fma_f32 v[4:5], v[4:5], v[106:107], v[6:7] op_sel_hi:[1,1,0]
	s_delay_alu instid0(VALU_DEP_1) | instskip(SKIP_4) | instid1(VALU_DEP_1)
	v_mov_b32_e32 v9, v5
	ds_load_2addr_b64 v[4:7], v40 offset0:42 offset1:43
	v_pk_add_f32 v[176:177], v[176:177], v[8:9] neg_lo:[0,1] neg_hi:[0,1]
	s_wait_dscnt 0x0
	v_pk_mul_f32 v[8:9], v[4:5], v[2:3] op_sel:[0,1]
	v_pk_fma_f32 v[10:11], v[4:5], v[0:1], v[8:9] op_sel:[0,0,1] op_sel_hi:[1,1,0] neg_lo:[0,0,1] neg_hi:[0,0,1]
	v_pk_fma_f32 v[4:5], v[4:5], v[0:1], v[8:9] op_sel:[0,0,1] op_sel_hi:[1,0,0]
	s_delay_alu instid0(VALU_DEP_1) | instskip(SKIP_1) | instid1(VALU_DEP_1)
	v_mov_b32_e32 v11, v5
	v_pk_mul_f32 v[4:5], v[6:7], v[2:3] op_sel:[0,1]
	v_pk_fma_f32 v[8:9], v[6:7], v[0:1], v[4:5] op_sel:[0,0,1] op_sel_hi:[1,1,0] neg_lo:[0,0,1] neg_hi:[0,0,1]
	v_pk_fma_f32 v[4:5], v[6:7], v[0:1], v[4:5] op_sel:[0,0,1] op_sel_hi:[1,0,0]
	s_delay_alu instid0(VALU_DEP_1)
	v_mov_b32_e32 v9, v5
	ds_load_2addr_b64 v[4:7], v40 offset0:44 offset1:45
	v_pk_add_f32 v[180:181], v[180:181], v[10:11] neg_lo:[0,1] neg_hi:[0,1]
	v_pk_add_f32 v[174:175], v[174:175], v[8:9] neg_lo:[0,1] neg_hi:[0,1]
	s_wait_dscnt 0x0
	v_pk_mul_f32 v[8:9], v[4:5], v[2:3] op_sel:[0,1]
	s_delay_alu instid0(VALU_DEP_1) | instskip(SKIP_1) | instid1(VALU_DEP_1)
	v_pk_fma_f32 v[10:11], v[4:5], v[0:1], v[8:9] op_sel:[0,0,1] op_sel_hi:[1,1,0] neg_lo:[0,0,1] neg_hi:[0,0,1]
	v_pk_fma_f32 v[4:5], v[4:5], v[0:1], v[8:9] op_sel:[0,0,1] op_sel_hi:[1,0,0]
	v_mov_b32_e32 v11, v5
	v_pk_mul_f32 v[4:5], v[6:7], v[2:3] op_sel:[0,1]
	s_delay_alu instid0(VALU_DEP_1) | instskip(SKIP_1) | instid1(VALU_DEP_1)
	v_pk_fma_f32 v[8:9], v[6:7], v[0:1], v[4:5] op_sel:[0,0,1] op_sel_hi:[1,1,0] neg_lo:[0,0,1] neg_hi:[0,0,1]
	v_pk_fma_f32 v[4:5], v[6:7], v[0:1], v[4:5] op_sel:[0,0,1] op_sel_hi:[1,0,0]
	v_mov_b32_e32 v9, v5
	ds_load_b64 v[4:5], v40 offset:368
	v_pk_add_f32 v[178:179], v[178:179], v[10:11] neg_lo:[0,1] neg_hi:[0,1]
	v_pk_add_f32 v[186:187], v[186:187], v[8:9] neg_lo:[0,1] neg_hi:[0,1]
	s_wait_dscnt 0x0
	v_pk_mul_f32 v[2:3], v[4:5], v[2:3] op_sel:[0,1]
	s_delay_alu instid0(VALU_DEP_1) | instskip(SKIP_1) | instid1(VALU_DEP_1)
	v_pk_fma_f32 v[6:7], v[4:5], v[0:1], v[2:3] op_sel:[0,0,1] op_sel_hi:[1,1,0] neg_lo:[0,0,1] neg_hi:[0,0,1]
	v_pk_fma_f32 v[0:1], v[4:5], v[0:1], v[2:3] op_sel:[0,0,1] op_sel_hi:[1,0,0]
	v_mov_b32_e32 v7, v1
	s_delay_alu instid0(VALU_DEP_1)
	v_pk_add_f32 v[188:189], v[188:189], v[6:7] neg_lo:[0,1] neg_hi:[0,1]
.LBB93_253:
	s_or_b32 exec_lo, exec_lo, s1
	s_delay_alu instid0(SALU_CYCLE_1)
	s_mov_b32 s2, exec_lo
	s_wait_dscnt 0x0
	s_barrier_signal -1
	s_barrier_wait -1
	v_cmpx_eq_u32_e32 28, v36
	s_cbranch_execz .LBB93_260
; %bb.254:
	ds_store_b64 v37, v[128:129]
	ds_store_2addr_b64 v40, v[124:125], v[126:127] offset0:29 offset1:30
	ds_store_2addr_b64 v40, v[122:123], v[144:145] offset0:31 offset1:32
	;; [unrolled: 1-line block ×9, first 2 shown]
	ds_load_b64 v[0:1], v37
	s_wait_dscnt 0x0
	v_cmp_neq_f32_e32 vcc_lo, 0, v0
	v_cmp_neq_f32_e64 s1, 0, v1
	s_or_b32 s1, vcc_lo, s1
	s_delay_alu instid0(SALU_CYCLE_1)
	s_and_b32 exec_lo, exec_lo, s1
	s_cbranch_execz .LBB93_260
; %bb.255:
	v_cmp_ngt_f32_e64 s1, |v0|, |v1|
                                        ; implicit-def: $vgpr2_vgpr3
	s_and_saveexec_b32 s4, s1
	s_delay_alu instid0(SALU_CYCLE_1)
	s_xor_b32 s1, exec_lo, s4
	s_cbranch_execz .LBB93_257
; %bb.256:
	v_div_scale_f32 v2, null, v1, v1, v0
	v_div_scale_f32 v5, vcc_lo, v0, v1, v0
	s_delay_alu instid0(VALU_DEP_2) | instskip(SKIP_1) | instid1(TRANS32_DEP_1)
	v_rcp_f32_e32 v3, v2
	v_nop
	v_fma_f32 v4, -v2, v3, 1.0
	s_delay_alu instid0(VALU_DEP_1) | instskip(NEXT) | instid1(VALU_DEP_1)
	v_fmac_f32_e32 v3, v4, v3
	v_mul_f32_e32 v4, v5, v3
	s_delay_alu instid0(VALU_DEP_1) | instskip(NEXT) | instid1(VALU_DEP_1)
	v_fma_f32 v6, -v2, v4, v5
	v_fmac_f32_e32 v4, v6, v3
	s_delay_alu instid0(VALU_DEP_1) | instskip(NEXT) | instid1(VALU_DEP_1)
	v_fma_f32 v2, -v2, v4, v5
	v_div_fmas_f32 v2, v2, v3, v4
	s_delay_alu instid0(VALU_DEP_1) | instskip(NEXT) | instid1(VALU_DEP_1)
	v_div_fixup_f32 v2, v2, v1, v0
	v_fmac_f32_e32 v1, v0, v2
	s_delay_alu instid0(VALU_DEP_1) | instskip(SKIP_1) | instid1(VALU_DEP_2)
	v_div_scale_f32 v0, null, v1, v1, 1.0
	v_div_scale_f32 v5, vcc_lo, 1.0, v1, 1.0
	v_rcp_f32_e32 v3, v0
	v_nop
	s_delay_alu instid0(TRANS32_DEP_1) | instskip(NEXT) | instid1(VALU_DEP_1)
	v_fma_f32 v4, -v0, v3, 1.0
	v_fmac_f32_e32 v3, v4, v3
	s_delay_alu instid0(VALU_DEP_1) | instskip(NEXT) | instid1(VALU_DEP_1)
	v_mul_f32_e32 v4, v5, v3
	v_fma_f32 v6, -v0, v4, v5
	s_delay_alu instid0(VALU_DEP_1) | instskip(NEXT) | instid1(VALU_DEP_1)
	v_fmac_f32_e32 v4, v6, v3
	v_fma_f32 v0, -v0, v4, v5
	s_delay_alu instid0(VALU_DEP_1) | instskip(NEXT) | instid1(VALU_DEP_1)
	v_div_fmas_f32 v0, v0, v3, v4
	v_div_fixup_f32 v0, v0, v1, 1.0
	s_delay_alu instid0(VALU_DEP_1)
	v_mul_f32_e32 v2, v2, v0
	v_xor_b32_e32 v3, 0x80000000, v0
                                        ; implicit-def: $vgpr0_vgpr1
.LBB93_257:
	s_and_not1_saveexec_b32 s1, s1
	s_cbranch_execz .LBB93_259
; %bb.258:
	v_div_scale_f32 v2, null, v0, v0, v1
	v_div_scale_f32 v5, vcc_lo, v1, v0, v1
	s_delay_alu instid0(VALU_DEP_2) | instskip(SKIP_1) | instid1(TRANS32_DEP_1)
	v_rcp_f32_e32 v3, v2
	v_nop
	v_fma_f32 v4, -v2, v3, 1.0
	s_delay_alu instid0(VALU_DEP_1) | instskip(NEXT) | instid1(VALU_DEP_1)
	v_fmac_f32_e32 v3, v4, v3
	v_mul_f32_e32 v4, v5, v3
	s_delay_alu instid0(VALU_DEP_1) | instskip(NEXT) | instid1(VALU_DEP_1)
	v_fma_f32 v6, -v2, v4, v5
	v_fmac_f32_e32 v4, v6, v3
	s_delay_alu instid0(VALU_DEP_1) | instskip(NEXT) | instid1(VALU_DEP_1)
	v_fma_f32 v2, -v2, v4, v5
	v_div_fmas_f32 v2, v2, v3, v4
	s_delay_alu instid0(VALU_DEP_1) | instskip(NEXT) | instid1(VALU_DEP_1)
	v_div_fixup_f32 v3, v2, v0, v1
	v_fmac_f32_e32 v0, v1, v3
	s_delay_alu instid0(VALU_DEP_1) | instskip(NEXT) | instid1(VALU_DEP_1)
	v_div_scale_f32 v1, null, v0, v0, 1.0
	v_rcp_f32_e32 v2, v1
	v_nop
	s_delay_alu instid0(TRANS32_DEP_1) | instskip(NEXT) | instid1(VALU_DEP_1)
	v_fma_f32 v4, -v1, v2, 1.0
	v_fmac_f32_e32 v2, v4, v2
	v_div_scale_f32 v4, vcc_lo, 1.0, v0, 1.0
	s_delay_alu instid0(VALU_DEP_1) | instskip(NEXT) | instid1(VALU_DEP_1)
	v_mul_f32_e32 v5, v4, v2
	v_fma_f32 v6, -v1, v5, v4
	s_delay_alu instid0(VALU_DEP_1) | instskip(NEXT) | instid1(VALU_DEP_1)
	v_fmac_f32_e32 v5, v6, v2
	v_fma_f32 v1, -v1, v5, v4
	s_delay_alu instid0(VALU_DEP_1) | instskip(NEXT) | instid1(VALU_DEP_1)
	v_div_fmas_f32 v1, v1, v2, v5
	v_div_fixup_f32 v2, v1, v0, 1.0
	s_delay_alu instid0(VALU_DEP_1)
	v_mul_f32_e64 v3, v3, -v2
.LBB93_259:
	s_or_b32 exec_lo, exec_lo, s1
	ds_store_b64 v37, v[2:3]
.LBB93_260:
	s_or_b32 exec_lo, exec_lo, s2
	s_wait_dscnt 0x0
	s_barrier_signal -1
	s_barrier_wait -1
	ds_load_b64 v[246:247], v37
	s_mov_b32 s1, exec_lo
	v_cmpx_lt_u32_e32 28, v36
	s_cbranch_execz .LBB93_262
; %bb.261:
	ds_load_2addr_b64 v[4:7], v40 offset0:29 offset1:30
	s_wait_dscnt 0x1
	v_pk_mul_f32 v[2:3], v[246:247], v[128:129] op_sel:[1,1] op_sel_hi:[0,1]
	s_delay_alu instid0(VALU_DEP_1) | instskip(SKIP_1) | instid1(VALU_DEP_1)
	v_pk_fma_f32 v[0:1], v[246:247], v[128:129], v[2:3] op_sel_hi:[1,0,1] neg_lo:[0,0,1] neg_hi:[0,0,1]
	v_pk_fma_f32 v[2:3], v[246:247], v[128:129], v[2:3] op_sel_hi:[1,0,1]
	v_dual_mov_b32 v128, v0 :: v_dual_mov_b32 v129, v3
	s_wait_dscnt 0x0
	s_delay_alu instid0(VALU_DEP_2) | instskip(NEXT) | instid1(VALU_DEP_1)
	v_pk_mul_f32 v[8:9], v[4:5], v[2:3] op_sel:[0,1]
	v_pk_fma_f32 v[10:11], v[4:5], v[0:1], v[8:9] op_sel:[0,0,1] op_sel_hi:[1,1,0] neg_lo:[0,0,1] neg_hi:[0,0,1]
	v_pk_fma_f32 v[4:5], v[4:5], v[0:1], v[8:9] op_sel:[0,0,1] op_sel_hi:[1,0,0]
	s_delay_alu instid0(VALU_DEP_1) | instskip(SKIP_1) | instid1(VALU_DEP_1)
	v_mov_b32_e32 v11, v5
	v_pk_mul_f32 v[4:5], v[6:7], v[2:3] op_sel:[0,1]
	v_pk_fma_f32 v[8:9], v[6:7], v[0:1], v[4:5] op_sel:[0,0,1] op_sel_hi:[1,1,0] neg_lo:[0,0,1] neg_hi:[0,0,1]
	v_pk_fma_f32 v[4:5], v[6:7], v[0:1], v[4:5] op_sel:[0,0,1] op_sel_hi:[1,0,0]
	s_delay_alu instid0(VALU_DEP_1)
	v_mov_b32_e32 v9, v5
	ds_load_2addr_b64 v[4:7], v40 offset0:31 offset1:32
	v_pk_add_f32 v[124:125], v[124:125], v[10:11] neg_lo:[0,1] neg_hi:[0,1]
	v_pk_add_f32 v[126:127], v[126:127], v[8:9] neg_lo:[0,1] neg_hi:[0,1]
	s_wait_dscnt 0x0
	v_pk_mul_f32 v[8:9], v[4:5], v[2:3] op_sel:[0,1]
	s_delay_alu instid0(VALU_DEP_1) | instskip(SKIP_2) | instid1(VALU_DEP_2)
	v_pk_fma_f32 v[10:11], v[4:5], v[0:1], v[8:9] op_sel:[0,0,1] op_sel_hi:[1,1,0] neg_lo:[0,0,1] neg_hi:[0,0,1]
	v_pk_fma_f32 v[4:5], v[4:5], v[0:1], v[8:9] op_sel:[0,0,1] op_sel_hi:[1,0,0]
	v_dual_mul_f32 v8, v7, v3 :: v_dual_mov_b32 v4, v7
	v_dual_mov_b32 v11, v5 :: v_dual_mov_b32 v5, v6
	s_delay_alu instid0(VALU_DEP_2) | instskip(SKIP_1) | instid1(VALU_DEP_3)
	v_pk_fma_f32 v[8:9], v[6:7], v[128:129], v[8:9] op_sel_hi:[1,1,0] neg_lo:[0,0,1] neg_hi:[0,0,1]
	v_mul_f32_e32 v6, v7, v0
	v_pk_add_f32 v[122:123], v[122:123], v[10:11] neg_lo:[0,1] neg_hi:[0,1]
	s_delay_alu instid0(VALU_DEP_2) | instskip(NEXT) | instid1(VALU_DEP_1)
	v_pk_fma_f32 v[4:5], v[4:5], v[128:129], v[6:7] op_sel_hi:[1,1,0]
	v_mov_b32_e32 v9, v5
	ds_load_2addr_b64 v[4:7], v40 offset0:33 offset1:34
	v_pk_add_f32 v[144:145], v[144:145], v[8:9] neg_lo:[0,1] neg_hi:[0,1]
	s_wait_dscnt 0x0
	v_pk_mul_f32 v[8:9], v[4:5], v[2:3] op_sel:[0,1]
	s_delay_alu instid0(VALU_DEP_1) | instskip(SKIP_1) | instid1(VALU_DEP_1)
	v_pk_fma_f32 v[10:11], v[4:5], v[0:1], v[8:9] op_sel:[0,0,1] op_sel_hi:[1,1,0] neg_lo:[0,0,1] neg_hi:[0,0,1]
	v_pk_fma_f32 v[4:5], v[4:5], v[0:1], v[8:9] op_sel:[0,0,1] op_sel_hi:[1,0,0]
	v_mov_b32_e32 v11, v5
	v_pk_mul_f32 v[4:5], v[6:7], v[2:3] op_sel:[0,1]
	s_delay_alu instid0(VALU_DEP_1) | instskip(SKIP_1) | instid1(VALU_DEP_1)
	v_pk_fma_f32 v[8:9], v[6:7], v[0:1], v[4:5] op_sel:[0,0,1] op_sel_hi:[1,1,0] neg_lo:[0,0,1] neg_hi:[0,0,1]
	v_pk_fma_f32 v[4:5], v[6:7], v[0:1], v[4:5] op_sel:[0,0,1] op_sel_hi:[1,0,0]
	v_mov_b32_e32 v9, v5
	ds_load_2addr_b64 v[4:7], v40 offset0:35 offset1:36
	v_pk_add_f32 v[140:141], v[140:141], v[10:11] neg_lo:[0,1] neg_hi:[0,1]
	v_pk_add_f32 v[142:143], v[142:143], v[8:9] neg_lo:[0,1] neg_hi:[0,1]
	s_wait_dscnt 0x0
	v_pk_mul_f32 v[8:9], v[4:5], v[2:3] op_sel:[0,1]
	s_delay_alu instid0(VALU_DEP_1) | instskip(SKIP_1) | instid1(VALU_DEP_1)
	v_pk_fma_f32 v[10:11], v[4:5], v[0:1], v[8:9] op_sel:[0,0,1] op_sel_hi:[1,1,0] neg_lo:[0,0,1] neg_hi:[0,0,1]
	v_pk_fma_f32 v[4:5], v[4:5], v[0:1], v[8:9] op_sel:[0,0,1] op_sel_hi:[1,0,0]
	v_mov_b32_e32 v11, v5
	v_pk_mul_f32 v[4:5], v[6:7], v[2:3] op_sel:[0,1]
	s_delay_alu instid0(VALU_DEP_1) | instskip(SKIP_1) | instid1(VALU_DEP_1)
	v_pk_fma_f32 v[8:9], v[6:7], v[0:1], v[4:5] op_sel:[0,0,1] op_sel_hi:[1,1,0] neg_lo:[0,0,1] neg_hi:[0,0,1]
	v_pk_fma_f32 v[4:5], v[6:7], v[0:1], v[4:5] op_sel:[0,0,1] op_sel_hi:[1,0,0]
	v_mov_b32_e32 v9, v5
	ds_load_2addr_b64 v[4:7], v40 offset0:37 offset1:38
	v_pk_add_f32 v[138:139], v[138:139], v[10:11] neg_lo:[0,1] neg_hi:[0,1]
	v_pk_add_f32 v[162:163], v[162:163], v[8:9] neg_lo:[0,1] neg_hi:[0,1]
	s_wait_dscnt 0x0
	v_dual_mul_f32 v8, v5, v3 :: v_dual_mul_f32 v10, v5, v0
	s_delay_alu instid0(VALU_DEP_1) | instskip(NEXT) | instid1(VALU_DEP_2)
	v_pk_fma_f32 v[8:9], v[4:5], v[128:129], v[8:9] op_sel_hi:[1,1,0] neg_lo:[0,0,1] neg_hi:[0,0,1]
	v_pk_fma_f32 v[4:5], v[4:5], v[128:129], v[10:11] op_sel:[1,0,0] op_sel_hi:[0,1,0]
	s_delay_alu instid0(VALU_DEP_1) | instskip(SKIP_1) | instid1(VALU_DEP_2)
	v_mov_b32_e32 v9, v5
	v_pk_mul_f32 v[4:5], v[6:7], v[2:3] op_sel:[0,1]
	v_pk_add_f32 v[158:159], v[158:159], v[8:9] neg_lo:[0,1] neg_hi:[0,1]
	s_delay_alu instid0(VALU_DEP_2) | instskip(SKIP_1) | instid1(VALU_DEP_1)
	v_pk_fma_f32 v[8:9], v[6:7], v[0:1], v[4:5] op_sel:[0,0,1] op_sel_hi:[1,1,0] neg_lo:[0,0,1] neg_hi:[0,0,1]
	v_pk_fma_f32 v[4:5], v[6:7], v[0:1], v[4:5] op_sel:[0,0,1] op_sel_hi:[1,0,0]
	v_mov_b32_e32 v9, v5
	ds_load_2addr_b64 v[4:7], v40 offset0:39 offset1:40
	v_pk_add_f32 v[160:161], v[160:161], v[8:9] neg_lo:[0,1] neg_hi:[0,1]
	s_wait_dscnt 0x0
	v_pk_mul_f32 v[8:9], v[4:5], v[2:3] op_sel:[0,1]
	s_delay_alu instid0(VALU_DEP_1) | instskip(SKIP_1) | instid1(VALU_DEP_1)
	v_pk_fma_f32 v[10:11], v[4:5], v[0:1], v[8:9] op_sel:[0,0,1] op_sel_hi:[1,1,0] neg_lo:[0,0,1] neg_hi:[0,0,1]
	v_pk_fma_f32 v[4:5], v[4:5], v[0:1], v[8:9] op_sel:[0,0,1] op_sel_hi:[1,0,0]
	v_mov_b32_e32 v11, v5
	v_pk_mul_f32 v[4:5], v[6:7], v[2:3] op_sel:[0,1]
	s_delay_alu instid0(VALU_DEP_2) | instskip(NEXT) | instid1(VALU_DEP_2)
	v_pk_add_f32 v[156:157], v[156:157], v[10:11] neg_lo:[0,1] neg_hi:[0,1]
	v_pk_fma_f32 v[8:9], v[6:7], v[0:1], v[4:5] op_sel:[0,0,1] op_sel_hi:[1,1,0] neg_lo:[0,0,1] neg_hi:[0,0,1]
	v_pk_fma_f32 v[4:5], v[6:7], v[0:1], v[4:5] op_sel:[0,0,1] op_sel_hi:[1,0,0]
	s_delay_alu instid0(VALU_DEP_1) | instskip(SKIP_4) | instid1(VALU_DEP_1)
	v_mov_b32_e32 v9, v5
	ds_load_2addr_b64 v[4:7], v40 offset0:41 offset1:42
	v_pk_add_f32 v[182:183], v[182:183], v[8:9] neg_lo:[0,1] neg_hi:[0,1]
	s_wait_dscnt 0x0
	v_pk_mul_f32 v[8:9], v[4:5], v[2:3] op_sel:[0,1]
	v_pk_fma_f32 v[10:11], v[4:5], v[0:1], v[8:9] op_sel:[0,0,1] op_sel_hi:[1,1,0] neg_lo:[0,0,1] neg_hi:[0,0,1]
	v_pk_fma_f32 v[4:5], v[4:5], v[0:1], v[8:9] op_sel:[0,0,1] op_sel_hi:[1,0,0]
	v_dual_mul_f32 v8, v7, v3 :: v_dual_mov_b32 v4, v7
	s_delay_alu instid0(VALU_DEP_2) | instskip(NEXT) | instid1(VALU_DEP_2)
	v_dual_mov_b32 v11, v5 :: v_dual_mov_b32 v5, v6
	v_pk_fma_f32 v[8:9], v[6:7], v[128:129], v[8:9] op_sel_hi:[1,1,0] neg_lo:[0,0,1] neg_hi:[0,0,1]
	v_mul_f32_e32 v6, v7, v0
	s_delay_alu instid0(VALU_DEP_3) | instskip(NEXT) | instid1(VALU_DEP_2)
	v_pk_add_f32 v[176:177], v[176:177], v[10:11] neg_lo:[0,1] neg_hi:[0,1]
	v_pk_fma_f32 v[4:5], v[4:5], v[128:129], v[6:7] op_sel_hi:[1,1,0]
	s_delay_alu instid0(VALU_DEP_1) | instskip(SKIP_4) | instid1(VALU_DEP_1)
	v_mov_b32_e32 v9, v5
	ds_load_2addr_b64 v[4:7], v40 offset0:43 offset1:44
	v_pk_add_f32 v[180:181], v[180:181], v[8:9] neg_lo:[0,1] neg_hi:[0,1]
	s_wait_dscnt 0x0
	v_pk_mul_f32 v[8:9], v[4:5], v[2:3] op_sel:[0,1]
	v_pk_fma_f32 v[10:11], v[4:5], v[0:1], v[8:9] op_sel:[0,0,1] op_sel_hi:[1,1,0] neg_lo:[0,0,1] neg_hi:[0,0,1]
	v_pk_fma_f32 v[4:5], v[4:5], v[0:1], v[8:9] op_sel:[0,0,1] op_sel_hi:[1,0,0]
	s_delay_alu instid0(VALU_DEP_1) | instskip(SKIP_1) | instid1(VALU_DEP_1)
	v_mov_b32_e32 v11, v5
	v_pk_mul_f32 v[4:5], v[6:7], v[2:3] op_sel:[0,1]
	v_pk_fma_f32 v[8:9], v[6:7], v[0:1], v[4:5] op_sel:[0,0,1] op_sel_hi:[1,1,0] neg_lo:[0,0,1] neg_hi:[0,0,1]
	v_pk_fma_f32 v[4:5], v[6:7], v[0:1], v[4:5] op_sel:[0,0,1] op_sel_hi:[1,0,0]
	s_delay_alu instid0(VALU_DEP_1)
	v_mov_b32_e32 v9, v5
	ds_load_2addr_b64 v[4:7], v40 offset0:45 offset1:46
	v_pk_add_f32 v[174:175], v[174:175], v[10:11] neg_lo:[0,1] neg_hi:[0,1]
	v_pk_add_f32 v[178:179], v[178:179], v[8:9] neg_lo:[0,1] neg_hi:[0,1]
	s_wait_dscnt 0x0
	v_pk_mul_f32 v[8:9], v[4:5], v[2:3] op_sel:[0,1]
	v_mul_f32_e32 v2, v7, v3
	s_delay_alu instid0(VALU_DEP_2) | instskip(SKIP_2) | instid1(VALU_DEP_4)
	v_pk_fma_f32 v[10:11], v[4:5], v[0:1], v[8:9] op_sel:[0,0,1] op_sel_hi:[1,1,0] neg_lo:[0,0,1] neg_hi:[0,0,1]
	v_pk_fma_f32 v[4:5], v[4:5], v[0:1], v[8:9] op_sel:[0,0,1] op_sel_hi:[1,0,0]
	v_dual_mov_b32 v4, v7 :: v_dual_mul_f32 v0, v7, v0
	v_pk_fma_f32 v[2:3], v[6:7], v[128:129], v[2:3] op_sel_hi:[1,1,0] neg_lo:[0,0,1] neg_hi:[0,0,1]
	s_delay_alu instid0(VALU_DEP_3) | instskip(NEXT) | instid1(VALU_DEP_1)
	v_dual_mov_b32 v11, v5 :: v_dual_mov_b32 v5, v6
	v_pk_add_f32 v[186:187], v[186:187], v[10:11] neg_lo:[0,1] neg_hi:[0,1]
	s_delay_alu instid0(VALU_DEP_2) | instskip(NEXT) | instid1(VALU_DEP_1)
	v_pk_fma_f32 v[0:1], v[4:5], v[128:129], v[0:1] op_sel_hi:[1,1,0]
	v_mov_b32_e32 v3, v1
	s_delay_alu instid0(VALU_DEP_1)
	v_pk_add_f32 v[188:189], v[188:189], v[2:3] neg_lo:[0,1] neg_hi:[0,1]
.LBB93_262:
	s_or_b32 exec_lo, exec_lo, s1
	s_delay_alu instid0(SALU_CYCLE_1)
	s_mov_b32 s2, exec_lo
	s_wait_dscnt 0x0
	s_barrier_signal -1
	s_barrier_wait -1
	v_cmpx_eq_u32_e32 29, v36
	s_cbranch_execz .LBB93_269
; %bb.263:
	v_dual_mov_b32 v0, v126 :: v_dual_mov_b32 v1, v127
	v_dual_mov_b32 v2, v122 :: v_dual_mov_b32 v3, v123
	ds_store_b64 v37, v[124:125]
	ds_store_2addr_b64 v40, v[0:1], v[2:3] offset0:30 offset1:31
	v_dual_mov_b32 v0, v144 :: v_dual_mov_b32 v1, v145
	v_dual_mov_b32 v2, v140 :: v_dual_mov_b32 v3, v141
	ds_store_2addr_b64 v40, v[0:1], v[2:3] offset0:32 offset1:33
	v_dual_mov_b32 v0, v142 :: v_dual_mov_b32 v1, v143
	v_dual_mov_b32 v2, v138 :: v_dual_mov_b32 v3, v139
	;; [unrolled: 3-line block ×7, first 2 shown]
	ds_store_2addr_b64 v40, v[0:1], v[2:3] offset0:44 offset1:45
	ds_store_b64 v40, v[188:189] offset:368
	ds_load_b64 v[0:1], v37
	s_wait_dscnt 0x0
	v_cmp_neq_f32_e32 vcc_lo, 0, v0
	v_cmp_neq_f32_e64 s1, 0, v1
	s_or_b32 s1, vcc_lo, s1
	s_delay_alu instid0(SALU_CYCLE_1)
	s_and_b32 exec_lo, exec_lo, s1
	s_cbranch_execz .LBB93_269
; %bb.264:
	v_cmp_ngt_f32_e64 s1, |v0|, |v1|
                                        ; implicit-def: $vgpr2_vgpr3
	s_and_saveexec_b32 s4, s1
	s_delay_alu instid0(SALU_CYCLE_1)
	s_xor_b32 s1, exec_lo, s4
	s_cbranch_execz .LBB93_266
; %bb.265:
	v_div_scale_f32 v2, null, v1, v1, v0
	v_div_scale_f32 v5, vcc_lo, v0, v1, v0
	s_delay_alu instid0(VALU_DEP_2) | instskip(SKIP_1) | instid1(TRANS32_DEP_1)
	v_rcp_f32_e32 v3, v2
	v_nop
	v_fma_f32 v4, -v2, v3, 1.0
	s_delay_alu instid0(VALU_DEP_1) | instskip(NEXT) | instid1(VALU_DEP_1)
	v_fmac_f32_e32 v3, v4, v3
	v_mul_f32_e32 v4, v5, v3
	s_delay_alu instid0(VALU_DEP_1) | instskip(NEXT) | instid1(VALU_DEP_1)
	v_fma_f32 v6, -v2, v4, v5
	v_fmac_f32_e32 v4, v6, v3
	s_delay_alu instid0(VALU_DEP_1) | instskip(NEXT) | instid1(VALU_DEP_1)
	v_fma_f32 v2, -v2, v4, v5
	v_div_fmas_f32 v2, v2, v3, v4
	s_delay_alu instid0(VALU_DEP_1) | instskip(NEXT) | instid1(VALU_DEP_1)
	v_div_fixup_f32 v2, v2, v1, v0
	v_fmac_f32_e32 v1, v0, v2
	s_delay_alu instid0(VALU_DEP_1) | instskip(SKIP_1) | instid1(VALU_DEP_2)
	v_div_scale_f32 v0, null, v1, v1, 1.0
	v_div_scale_f32 v5, vcc_lo, 1.0, v1, 1.0
	v_rcp_f32_e32 v3, v0
	v_nop
	s_delay_alu instid0(TRANS32_DEP_1) | instskip(NEXT) | instid1(VALU_DEP_1)
	v_fma_f32 v4, -v0, v3, 1.0
	v_fmac_f32_e32 v3, v4, v3
	s_delay_alu instid0(VALU_DEP_1) | instskip(NEXT) | instid1(VALU_DEP_1)
	v_mul_f32_e32 v4, v5, v3
	v_fma_f32 v6, -v0, v4, v5
	s_delay_alu instid0(VALU_DEP_1) | instskip(NEXT) | instid1(VALU_DEP_1)
	v_fmac_f32_e32 v4, v6, v3
	v_fma_f32 v0, -v0, v4, v5
	s_delay_alu instid0(VALU_DEP_1) | instskip(NEXT) | instid1(VALU_DEP_1)
	v_div_fmas_f32 v0, v0, v3, v4
	v_div_fixup_f32 v0, v0, v1, 1.0
	s_delay_alu instid0(VALU_DEP_1)
	v_mul_f32_e32 v2, v2, v0
	v_xor_b32_e32 v3, 0x80000000, v0
                                        ; implicit-def: $vgpr0_vgpr1
.LBB93_266:
	s_and_not1_saveexec_b32 s1, s1
	s_cbranch_execz .LBB93_268
; %bb.267:
	v_div_scale_f32 v2, null, v0, v0, v1
	v_div_scale_f32 v5, vcc_lo, v1, v0, v1
	s_delay_alu instid0(VALU_DEP_2) | instskip(SKIP_1) | instid1(TRANS32_DEP_1)
	v_rcp_f32_e32 v3, v2
	v_nop
	v_fma_f32 v4, -v2, v3, 1.0
	s_delay_alu instid0(VALU_DEP_1) | instskip(NEXT) | instid1(VALU_DEP_1)
	v_fmac_f32_e32 v3, v4, v3
	v_mul_f32_e32 v4, v5, v3
	s_delay_alu instid0(VALU_DEP_1) | instskip(NEXT) | instid1(VALU_DEP_1)
	v_fma_f32 v6, -v2, v4, v5
	v_fmac_f32_e32 v4, v6, v3
	s_delay_alu instid0(VALU_DEP_1) | instskip(NEXT) | instid1(VALU_DEP_1)
	v_fma_f32 v2, -v2, v4, v5
	v_div_fmas_f32 v2, v2, v3, v4
	s_delay_alu instid0(VALU_DEP_1) | instskip(NEXT) | instid1(VALU_DEP_1)
	v_div_fixup_f32 v3, v2, v0, v1
	v_fmac_f32_e32 v0, v1, v3
	s_delay_alu instid0(VALU_DEP_1) | instskip(NEXT) | instid1(VALU_DEP_1)
	v_div_scale_f32 v1, null, v0, v0, 1.0
	v_rcp_f32_e32 v2, v1
	v_nop
	s_delay_alu instid0(TRANS32_DEP_1) | instskip(NEXT) | instid1(VALU_DEP_1)
	v_fma_f32 v4, -v1, v2, 1.0
	v_fmac_f32_e32 v2, v4, v2
	v_div_scale_f32 v4, vcc_lo, 1.0, v0, 1.0
	s_delay_alu instid0(VALU_DEP_1) | instskip(NEXT) | instid1(VALU_DEP_1)
	v_mul_f32_e32 v5, v4, v2
	v_fma_f32 v6, -v1, v5, v4
	s_delay_alu instid0(VALU_DEP_1) | instskip(NEXT) | instid1(VALU_DEP_1)
	v_fmac_f32_e32 v5, v6, v2
	v_fma_f32 v1, -v1, v5, v4
	s_delay_alu instid0(VALU_DEP_1) | instskip(NEXT) | instid1(VALU_DEP_1)
	v_div_fmas_f32 v1, v1, v2, v5
	v_div_fixup_f32 v2, v1, v0, 1.0
	s_delay_alu instid0(VALU_DEP_1)
	v_mul_f32_e64 v3, v3, -v2
.LBB93_268:
	s_or_b32 exec_lo, exec_lo, s1
	ds_store_b64 v37, v[2:3]
.LBB93_269:
	s_or_b32 exec_lo, exec_lo, s2
	s_wait_dscnt 0x0
	s_barrier_signal -1
	s_barrier_wait -1
	ds_load_b64 v[248:249], v37
	s_mov_b32 s1, exec_lo
	v_cmpx_lt_u32_e32 29, v36
	s_cbranch_execz .LBB93_271
; %bb.270:
	ds_load_2addr_b64 v[4:7], v40 offset0:30 offset1:31
	s_wait_dscnt 0x1
	v_pk_mul_f32 v[2:3], v[248:249], v[124:125] op_sel:[1,1] op_sel_hi:[0,1]
	s_delay_alu instid0(VALU_DEP_1) | instskip(SKIP_1) | instid1(VALU_DEP_1)
	v_pk_fma_f32 v[0:1], v[248:249], v[124:125], v[2:3] op_sel_hi:[1,0,1] neg_lo:[0,0,1] neg_hi:[0,0,1]
	v_pk_fma_f32 v[2:3], v[248:249], v[124:125], v[2:3] op_sel_hi:[1,0,1]
	v_dual_mov_b32 v124, v0 :: v_dual_mov_b32 v125, v3
	s_wait_dscnt 0x0
	s_delay_alu instid0(VALU_DEP_2) | instskip(NEXT) | instid1(VALU_DEP_1)
	v_pk_mul_f32 v[8:9], v[4:5], v[2:3] op_sel:[0,1]
	v_pk_fma_f32 v[10:11], v[4:5], v[0:1], v[8:9] op_sel:[0,0,1] op_sel_hi:[1,1,0] neg_lo:[0,0,1] neg_hi:[0,0,1]
	v_pk_fma_f32 v[4:5], v[4:5], v[0:1], v[8:9] op_sel:[0,0,1] op_sel_hi:[1,0,0]
	s_delay_alu instid0(VALU_DEP_1) | instskip(SKIP_1) | instid1(VALU_DEP_1)
	v_mov_b32_e32 v11, v5
	v_pk_mul_f32 v[4:5], v[6:7], v[2:3] op_sel:[0,1]
	v_pk_fma_f32 v[8:9], v[6:7], v[0:1], v[4:5] op_sel:[0,0,1] op_sel_hi:[1,1,0] neg_lo:[0,0,1] neg_hi:[0,0,1]
	v_pk_fma_f32 v[4:5], v[6:7], v[0:1], v[4:5] op_sel:[0,0,1] op_sel_hi:[1,0,0]
	s_delay_alu instid0(VALU_DEP_1)
	v_mov_b32_e32 v9, v5
	ds_load_2addr_b64 v[4:7], v40 offset0:32 offset1:33
	v_pk_add_f32 v[126:127], v[126:127], v[10:11] neg_lo:[0,1] neg_hi:[0,1]
	v_pk_add_f32 v[122:123], v[122:123], v[8:9] neg_lo:[0,1] neg_hi:[0,1]
	s_wait_dscnt 0x0
	v_pk_mul_f32 v[8:9], v[4:5], v[2:3] op_sel:[0,1]
	s_delay_alu instid0(VALU_DEP_1) | instskip(SKIP_2) | instid1(VALU_DEP_2)
	v_pk_fma_f32 v[10:11], v[4:5], v[0:1], v[8:9] op_sel:[0,0,1] op_sel_hi:[1,1,0] neg_lo:[0,0,1] neg_hi:[0,0,1]
	v_pk_fma_f32 v[4:5], v[4:5], v[0:1], v[8:9] op_sel:[0,0,1] op_sel_hi:[1,0,0]
	v_dual_mul_f32 v8, v7, v3 :: v_dual_mov_b32 v4, v7
	v_dual_mov_b32 v11, v5 :: v_dual_mov_b32 v5, v6
	s_delay_alu instid0(VALU_DEP_2) | instskip(SKIP_1) | instid1(VALU_DEP_3)
	v_pk_fma_f32 v[8:9], v[6:7], v[124:125], v[8:9] op_sel_hi:[1,1,0] neg_lo:[0,0,1] neg_hi:[0,0,1]
	v_mul_f32_e32 v6, v7, v0
	v_pk_add_f32 v[144:145], v[144:145], v[10:11] neg_lo:[0,1] neg_hi:[0,1]
	s_delay_alu instid0(VALU_DEP_2) | instskip(NEXT) | instid1(VALU_DEP_1)
	v_pk_fma_f32 v[4:5], v[4:5], v[124:125], v[6:7] op_sel_hi:[1,1,0]
	v_mov_b32_e32 v9, v5
	ds_load_2addr_b64 v[4:7], v40 offset0:34 offset1:35
	v_pk_add_f32 v[140:141], v[140:141], v[8:9] neg_lo:[0,1] neg_hi:[0,1]
	s_wait_dscnt 0x0
	v_pk_mul_f32 v[8:9], v[4:5], v[2:3] op_sel:[0,1]
	s_delay_alu instid0(VALU_DEP_1) | instskip(SKIP_1) | instid1(VALU_DEP_1)
	v_pk_fma_f32 v[10:11], v[4:5], v[0:1], v[8:9] op_sel:[0,0,1] op_sel_hi:[1,1,0] neg_lo:[0,0,1] neg_hi:[0,0,1]
	v_pk_fma_f32 v[4:5], v[4:5], v[0:1], v[8:9] op_sel:[0,0,1] op_sel_hi:[1,0,0]
	v_mov_b32_e32 v11, v5
	v_pk_mul_f32 v[4:5], v[6:7], v[2:3] op_sel:[0,1]
	s_delay_alu instid0(VALU_DEP_1) | instskip(SKIP_1) | instid1(VALU_DEP_1)
	v_pk_fma_f32 v[8:9], v[6:7], v[0:1], v[4:5] op_sel:[0,0,1] op_sel_hi:[1,1,0] neg_lo:[0,0,1] neg_hi:[0,0,1]
	v_pk_fma_f32 v[4:5], v[6:7], v[0:1], v[4:5] op_sel:[0,0,1] op_sel_hi:[1,0,0]
	v_mov_b32_e32 v9, v5
	ds_load_2addr_b64 v[4:7], v40 offset0:36 offset1:37
	v_pk_add_f32 v[142:143], v[142:143], v[10:11] neg_lo:[0,1] neg_hi:[0,1]
	v_pk_add_f32 v[138:139], v[138:139], v[8:9] neg_lo:[0,1] neg_hi:[0,1]
	s_wait_dscnt 0x0
	v_pk_mul_f32 v[8:9], v[4:5], v[2:3] op_sel:[0,1]
	s_delay_alu instid0(VALU_DEP_1) | instskip(SKIP_1) | instid1(VALU_DEP_1)
	v_pk_fma_f32 v[10:11], v[4:5], v[0:1], v[8:9] op_sel:[0,0,1] op_sel_hi:[1,1,0] neg_lo:[0,0,1] neg_hi:[0,0,1]
	v_pk_fma_f32 v[4:5], v[4:5], v[0:1], v[8:9] op_sel:[0,0,1] op_sel_hi:[1,0,0]
	v_mov_b32_e32 v11, v5
	v_pk_mul_f32 v[4:5], v[6:7], v[2:3] op_sel:[0,1]
	s_delay_alu instid0(VALU_DEP_1) | instskip(SKIP_1) | instid1(VALU_DEP_1)
	v_pk_fma_f32 v[8:9], v[6:7], v[0:1], v[4:5] op_sel:[0,0,1] op_sel_hi:[1,1,0] neg_lo:[0,0,1] neg_hi:[0,0,1]
	v_pk_fma_f32 v[4:5], v[6:7], v[0:1], v[4:5] op_sel:[0,0,1] op_sel_hi:[1,0,0]
	v_mov_b32_e32 v9, v5
	ds_load_2addr_b64 v[4:7], v40 offset0:38 offset1:39
	v_pk_add_f32 v[162:163], v[162:163], v[10:11] neg_lo:[0,1] neg_hi:[0,1]
	v_pk_add_f32 v[158:159], v[158:159], v[8:9] neg_lo:[0,1] neg_hi:[0,1]
	s_wait_dscnt 0x0
	v_dual_mul_f32 v8, v5, v3 :: v_dual_mul_f32 v10, v5, v0
	s_delay_alu instid0(VALU_DEP_1) | instskip(NEXT) | instid1(VALU_DEP_2)
	v_pk_fma_f32 v[8:9], v[4:5], v[124:125], v[8:9] op_sel_hi:[1,1,0] neg_lo:[0,0,1] neg_hi:[0,0,1]
	v_pk_fma_f32 v[4:5], v[4:5], v[124:125], v[10:11] op_sel:[1,0,0] op_sel_hi:[0,1,0]
	s_delay_alu instid0(VALU_DEP_1) | instskip(SKIP_1) | instid1(VALU_DEP_2)
	v_mov_b32_e32 v9, v5
	v_pk_mul_f32 v[4:5], v[6:7], v[2:3] op_sel:[0,1]
	v_pk_add_f32 v[160:161], v[160:161], v[8:9] neg_lo:[0,1] neg_hi:[0,1]
	s_delay_alu instid0(VALU_DEP_2) | instskip(SKIP_1) | instid1(VALU_DEP_1)
	v_pk_fma_f32 v[8:9], v[6:7], v[0:1], v[4:5] op_sel:[0,0,1] op_sel_hi:[1,1,0] neg_lo:[0,0,1] neg_hi:[0,0,1]
	v_pk_fma_f32 v[4:5], v[6:7], v[0:1], v[4:5] op_sel:[0,0,1] op_sel_hi:[1,0,0]
	v_mov_b32_e32 v9, v5
	ds_load_2addr_b64 v[4:7], v40 offset0:40 offset1:41
	v_pk_add_f32 v[156:157], v[156:157], v[8:9] neg_lo:[0,1] neg_hi:[0,1]
	s_wait_dscnt 0x0
	v_pk_mul_f32 v[8:9], v[4:5], v[2:3] op_sel:[0,1]
	s_delay_alu instid0(VALU_DEP_1) | instskip(SKIP_1) | instid1(VALU_DEP_1)
	v_pk_fma_f32 v[10:11], v[4:5], v[0:1], v[8:9] op_sel:[0,0,1] op_sel_hi:[1,1,0] neg_lo:[0,0,1] neg_hi:[0,0,1]
	v_pk_fma_f32 v[4:5], v[4:5], v[0:1], v[8:9] op_sel:[0,0,1] op_sel_hi:[1,0,0]
	v_mov_b32_e32 v11, v5
	v_pk_mul_f32 v[4:5], v[6:7], v[2:3] op_sel:[0,1]
	s_delay_alu instid0(VALU_DEP_2) | instskip(NEXT) | instid1(VALU_DEP_2)
	v_pk_add_f32 v[182:183], v[182:183], v[10:11] neg_lo:[0,1] neg_hi:[0,1]
	v_pk_fma_f32 v[8:9], v[6:7], v[0:1], v[4:5] op_sel:[0,0,1] op_sel_hi:[1,1,0] neg_lo:[0,0,1] neg_hi:[0,0,1]
	v_pk_fma_f32 v[4:5], v[6:7], v[0:1], v[4:5] op_sel:[0,0,1] op_sel_hi:[1,0,0]
	s_delay_alu instid0(VALU_DEP_1) | instskip(SKIP_4) | instid1(VALU_DEP_1)
	v_mov_b32_e32 v9, v5
	ds_load_2addr_b64 v[4:7], v40 offset0:42 offset1:43
	v_pk_add_f32 v[176:177], v[176:177], v[8:9] neg_lo:[0,1] neg_hi:[0,1]
	s_wait_dscnt 0x0
	v_pk_mul_f32 v[8:9], v[4:5], v[2:3] op_sel:[0,1]
	v_pk_fma_f32 v[10:11], v[4:5], v[0:1], v[8:9] op_sel:[0,0,1] op_sel_hi:[1,1,0] neg_lo:[0,0,1] neg_hi:[0,0,1]
	v_pk_fma_f32 v[4:5], v[4:5], v[0:1], v[8:9] op_sel:[0,0,1] op_sel_hi:[1,0,0]
	v_dual_mul_f32 v8, v7, v3 :: v_dual_mov_b32 v4, v7
	s_delay_alu instid0(VALU_DEP_2) | instskip(NEXT) | instid1(VALU_DEP_2)
	v_dual_mov_b32 v11, v5 :: v_dual_mov_b32 v5, v6
	v_pk_fma_f32 v[8:9], v[6:7], v[124:125], v[8:9] op_sel_hi:[1,1,0] neg_lo:[0,0,1] neg_hi:[0,0,1]
	v_mul_f32_e32 v6, v7, v0
	s_delay_alu instid0(VALU_DEP_3) | instskip(NEXT) | instid1(VALU_DEP_2)
	v_pk_add_f32 v[180:181], v[180:181], v[10:11] neg_lo:[0,1] neg_hi:[0,1]
	v_pk_fma_f32 v[4:5], v[4:5], v[124:125], v[6:7] op_sel_hi:[1,1,0]
	s_delay_alu instid0(VALU_DEP_1) | instskip(SKIP_4) | instid1(VALU_DEP_1)
	v_mov_b32_e32 v9, v5
	ds_load_2addr_b64 v[4:7], v40 offset0:44 offset1:45
	v_pk_add_f32 v[174:175], v[174:175], v[8:9] neg_lo:[0,1] neg_hi:[0,1]
	s_wait_dscnt 0x0
	v_pk_mul_f32 v[8:9], v[4:5], v[2:3] op_sel:[0,1]
	v_pk_fma_f32 v[10:11], v[4:5], v[0:1], v[8:9] op_sel:[0,0,1] op_sel_hi:[1,1,0] neg_lo:[0,0,1] neg_hi:[0,0,1]
	v_pk_fma_f32 v[4:5], v[4:5], v[0:1], v[8:9] op_sel:[0,0,1] op_sel_hi:[1,0,0]
	s_delay_alu instid0(VALU_DEP_1) | instskip(SKIP_1) | instid1(VALU_DEP_1)
	v_mov_b32_e32 v11, v5
	v_pk_mul_f32 v[4:5], v[6:7], v[2:3] op_sel:[0,1]
	v_pk_fma_f32 v[8:9], v[6:7], v[0:1], v[4:5] op_sel:[0,0,1] op_sel_hi:[1,1,0] neg_lo:[0,0,1] neg_hi:[0,0,1]
	v_pk_fma_f32 v[4:5], v[6:7], v[0:1], v[4:5] op_sel:[0,0,1] op_sel_hi:[1,0,0]
	s_delay_alu instid0(VALU_DEP_1)
	v_mov_b32_e32 v9, v5
	ds_load_b64 v[4:5], v40 offset:368
	v_pk_add_f32 v[178:179], v[178:179], v[10:11] neg_lo:[0,1] neg_hi:[0,1]
	v_pk_add_f32 v[186:187], v[186:187], v[8:9] neg_lo:[0,1] neg_hi:[0,1]
	s_wait_dscnt 0x0
	v_pk_mul_f32 v[2:3], v[4:5], v[2:3] op_sel:[0,1]
	s_delay_alu instid0(VALU_DEP_1) | instskip(SKIP_1) | instid1(VALU_DEP_1)
	v_pk_fma_f32 v[6:7], v[4:5], v[0:1], v[2:3] op_sel:[0,0,1] op_sel_hi:[1,1,0] neg_lo:[0,0,1] neg_hi:[0,0,1]
	v_pk_fma_f32 v[0:1], v[4:5], v[0:1], v[2:3] op_sel:[0,0,1] op_sel_hi:[1,0,0]
	v_mov_b32_e32 v7, v1
	s_delay_alu instid0(VALU_DEP_1)
	v_pk_add_f32 v[188:189], v[188:189], v[6:7] neg_lo:[0,1] neg_hi:[0,1]
.LBB93_271:
	s_or_b32 exec_lo, exec_lo, s1
	s_delay_alu instid0(SALU_CYCLE_1)
	s_mov_b32 s2, exec_lo
	s_wait_dscnt 0x0
	s_barrier_signal -1
	s_barrier_wait -1
	v_cmpx_eq_u32_e32 30, v36
	s_cbranch_execz .LBB93_278
; %bb.272:
	ds_store_b64 v37, v[126:127]
	ds_store_2addr_b64 v40, v[122:123], v[144:145] offset0:31 offset1:32
	ds_store_2addr_b64 v40, v[140:141], v[142:143] offset0:33 offset1:34
	;; [unrolled: 1-line block ×8, first 2 shown]
	ds_load_b64 v[0:1], v37
	s_wait_dscnt 0x0
	v_cmp_neq_f32_e32 vcc_lo, 0, v0
	v_cmp_neq_f32_e64 s1, 0, v1
	s_or_b32 s1, vcc_lo, s1
	s_delay_alu instid0(SALU_CYCLE_1)
	s_and_b32 exec_lo, exec_lo, s1
	s_cbranch_execz .LBB93_278
; %bb.273:
	v_cmp_ngt_f32_e64 s1, |v0|, |v1|
                                        ; implicit-def: $vgpr2_vgpr3
	s_and_saveexec_b32 s4, s1
	s_delay_alu instid0(SALU_CYCLE_1)
	s_xor_b32 s1, exec_lo, s4
	s_cbranch_execz .LBB93_275
; %bb.274:
	v_div_scale_f32 v2, null, v1, v1, v0
	v_div_scale_f32 v5, vcc_lo, v0, v1, v0
	s_delay_alu instid0(VALU_DEP_2) | instskip(SKIP_1) | instid1(TRANS32_DEP_1)
	v_rcp_f32_e32 v3, v2
	v_nop
	v_fma_f32 v4, -v2, v3, 1.0
	s_delay_alu instid0(VALU_DEP_1) | instskip(NEXT) | instid1(VALU_DEP_1)
	v_fmac_f32_e32 v3, v4, v3
	v_mul_f32_e32 v4, v5, v3
	s_delay_alu instid0(VALU_DEP_1) | instskip(NEXT) | instid1(VALU_DEP_1)
	v_fma_f32 v6, -v2, v4, v5
	v_fmac_f32_e32 v4, v6, v3
	s_delay_alu instid0(VALU_DEP_1) | instskip(NEXT) | instid1(VALU_DEP_1)
	v_fma_f32 v2, -v2, v4, v5
	v_div_fmas_f32 v2, v2, v3, v4
	s_delay_alu instid0(VALU_DEP_1) | instskip(NEXT) | instid1(VALU_DEP_1)
	v_div_fixup_f32 v2, v2, v1, v0
	v_fmac_f32_e32 v1, v0, v2
	s_delay_alu instid0(VALU_DEP_1) | instskip(SKIP_1) | instid1(VALU_DEP_2)
	v_div_scale_f32 v0, null, v1, v1, 1.0
	v_div_scale_f32 v5, vcc_lo, 1.0, v1, 1.0
	v_rcp_f32_e32 v3, v0
	v_nop
	s_delay_alu instid0(TRANS32_DEP_1) | instskip(NEXT) | instid1(VALU_DEP_1)
	v_fma_f32 v4, -v0, v3, 1.0
	v_fmac_f32_e32 v3, v4, v3
	s_delay_alu instid0(VALU_DEP_1) | instskip(NEXT) | instid1(VALU_DEP_1)
	v_mul_f32_e32 v4, v5, v3
	v_fma_f32 v6, -v0, v4, v5
	s_delay_alu instid0(VALU_DEP_1) | instskip(NEXT) | instid1(VALU_DEP_1)
	v_fmac_f32_e32 v4, v6, v3
	v_fma_f32 v0, -v0, v4, v5
	s_delay_alu instid0(VALU_DEP_1) | instskip(NEXT) | instid1(VALU_DEP_1)
	v_div_fmas_f32 v0, v0, v3, v4
	v_div_fixup_f32 v0, v0, v1, 1.0
	s_delay_alu instid0(VALU_DEP_1)
	v_mul_f32_e32 v2, v2, v0
	v_xor_b32_e32 v3, 0x80000000, v0
                                        ; implicit-def: $vgpr0_vgpr1
.LBB93_275:
	s_and_not1_saveexec_b32 s1, s1
	s_cbranch_execz .LBB93_277
; %bb.276:
	v_div_scale_f32 v2, null, v0, v0, v1
	v_div_scale_f32 v5, vcc_lo, v1, v0, v1
	s_delay_alu instid0(VALU_DEP_2) | instskip(SKIP_1) | instid1(TRANS32_DEP_1)
	v_rcp_f32_e32 v3, v2
	v_nop
	v_fma_f32 v4, -v2, v3, 1.0
	s_delay_alu instid0(VALU_DEP_1) | instskip(NEXT) | instid1(VALU_DEP_1)
	v_fmac_f32_e32 v3, v4, v3
	v_mul_f32_e32 v4, v5, v3
	s_delay_alu instid0(VALU_DEP_1) | instskip(NEXT) | instid1(VALU_DEP_1)
	v_fma_f32 v6, -v2, v4, v5
	v_fmac_f32_e32 v4, v6, v3
	s_delay_alu instid0(VALU_DEP_1) | instskip(NEXT) | instid1(VALU_DEP_1)
	v_fma_f32 v2, -v2, v4, v5
	v_div_fmas_f32 v2, v2, v3, v4
	s_delay_alu instid0(VALU_DEP_1) | instskip(NEXT) | instid1(VALU_DEP_1)
	v_div_fixup_f32 v3, v2, v0, v1
	v_fmac_f32_e32 v0, v1, v3
	s_delay_alu instid0(VALU_DEP_1) | instskip(NEXT) | instid1(VALU_DEP_1)
	v_div_scale_f32 v1, null, v0, v0, 1.0
	v_rcp_f32_e32 v2, v1
	v_nop
	s_delay_alu instid0(TRANS32_DEP_1) | instskip(NEXT) | instid1(VALU_DEP_1)
	v_fma_f32 v4, -v1, v2, 1.0
	v_fmac_f32_e32 v2, v4, v2
	v_div_scale_f32 v4, vcc_lo, 1.0, v0, 1.0
	s_delay_alu instid0(VALU_DEP_1) | instskip(NEXT) | instid1(VALU_DEP_1)
	v_mul_f32_e32 v5, v4, v2
	v_fma_f32 v6, -v1, v5, v4
	s_delay_alu instid0(VALU_DEP_1) | instskip(NEXT) | instid1(VALU_DEP_1)
	v_fmac_f32_e32 v5, v6, v2
	v_fma_f32 v1, -v1, v5, v4
	s_delay_alu instid0(VALU_DEP_1) | instskip(NEXT) | instid1(VALU_DEP_1)
	v_div_fmas_f32 v1, v1, v2, v5
	v_div_fixup_f32 v2, v1, v0, 1.0
	s_delay_alu instid0(VALU_DEP_1)
	v_mul_f32_e64 v3, v3, -v2
.LBB93_277:
	s_or_b32 exec_lo, exec_lo, s1
	ds_store_b64 v37, v[2:3]
.LBB93_278:
	s_or_b32 exec_lo, exec_lo, s2
	s_wait_dscnt 0x0
	s_barrier_signal -1
	s_barrier_wait -1
	ds_load_b64 v[250:251], v37
	s_mov_b32 s1, exec_lo
	v_cmpx_lt_u32_e32 30, v36
	s_cbranch_execz .LBB93_280
; %bb.279:
	ds_load_2addr_b64 v[4:7], v40 offset0:31 offset1:32
	s_wait_dscnt 0x1
	v_pk_mul_f32 v[2:3], v[250:251], v[126:127] op_sel:[1,1] op_sel_hi:[0,1]
	s_delay_alu instid0(VALU_DEP_1) | instskip(SKIP_1) | instid1(VALU_DEP_1)
	v_pk_fma_f32 v[0:1], v[250:251], v[126:127], v[2:3] op_sel_hi:[1,0,1] neg_lo:[0,0,1] neg_hi:[0,0,1]
	v_pk_fma_f32 v[2:3], v[250:251], v[126:127], v[2:3] op_sel_hi:[1,0,1]
	v_dual_mov_b32 v126, v0 :: v_dual_mov_b32 v127, v3
	s_wait_dscnt 0x0
	s_delay_alu instid0(VALU_DEP_2) | instskip(NEXT) | instid1(VALU_DEP_1)
	v_pk_mul_f32 v[8:9], v[4:5], v[2:3] op_sel:[0,1]
	v_pk_fma_f32 v[10:11], v[4:5], v[0:1], v[8:9] op_sel:[0,0,1] op_sel_hi:[1,1,0] neg_lo:[0,0,1] neg_hi:[0,0,1]
	v_pk_fma_f32 v[4:5], v[4:5], v[0:1], v[8:9] op_sel:[0,0,1] op_sel_hi:[1,0,0]
	s_delay_alu instid0(VALU_DEP_1) | instskip(SKIP_1) | instid1(VALU_DEP_1)
	v_mov_b32_e32 v11, v5
	v_pk_mul_f32 v[4:5], v[6:7], v[2:3] op_sel:[0,1]
	v_pk_fma_f32 v[8:9], v[6:7], v[0:1], v[4:5] op_sel:[0,0,1] op_sel_hi:[1,1,0] neg_lo:[0,0,1] neg_hi:[0,0,1]
	v_pk_fma_f32 v[4:5], v[6:7], v[0:1], v[4:5] op_sel:[0,0,1] op_sel_hi:[1,0,0]
	s_delay_alu instid0(VALU_DEP_1)
	v_mov_b32_e32 v9, v5
	ds_load_2addr_b64 v[4:7], v40 offset0:33 offset1:34
	v_pk_add_f32 v[122:123], v[122:123], v[10:11] neg_lo:[0,1] neg_hi:[0,1]
	v_pk_add_f32 v[144:145], v[144:145], v[8:9] neg_lo:[0,1] neg_hi:[0,1]
	s_wait_dscnt 0x0
	v_pk_mul_f32 v[8:9], v[4:5], v[2:3] op_sel:[0,1]
	s_delay_alu instid0(VALU_DEP_1) | instskip(SKIP_2) | instid1(VALU_DEP_2)
	v_pk_fma_f32 v[10:11], v[4:5], v[0:1], v[8:9] op_sel:[0,0,1] op_sel_hi:[1,1,0] neg_lo:[0,0,1] neg_hi:[0,0,1]
	v_pk_fma_f32 v[4:5], v[4:5], v[0:1], v[8:9] op_sel:[0,0,1] op_sel_hi:[1,0,0]
	v_dual_mul_f32 v8, v7, v3 :: v_dual_mov_b32 v4, v7
	v_dual_mov_b32 v11, v5 :: v_dual_mov_b32 v5, v6
	s_delay_alu instid0(VALU_DEP_2) | instskip(SKIP_1) | instid1(VALU_DEP_3)
	v_pk_fma_f32 v[8:9], v[6:7], v[126:127], v[8:9] op_sel_hi:[1,1,0] neg_lo:[0,0,1] neg_hi:[0,0,1]
	v_mul_f32_e32 v6, v7, v0
	v_pk_add_f32 v[140:141], v[140:141], v[10:11] neg_lo:[0,1] neg_hi:[0,1]
	s_delay_alu instid0(VALU_DEP_2) | instskip(NEXT) | instid1(VALU_DEP_1)
	v_pk_fma_f32 v[4:5], v[4:5], v[126:127], v[6:7] op_sel_hi:[1,1,0]
	v_mov_b32_e32 v9, v5
	ds_load_2addr_b64 v[4:7], v40 offset0:35 offset1:36
	v_pk_add_f32 v[142:143], v[142:143], v[8:9] neg_lo:[0,1] neg_hi:[0,1]
	s_wait_dscnt 0x0
	v_pk_mul_f32 v[8:9], v[4:5], v[2:3] op_sel:[0,1]
	s_delay_alu instid0(VALU_DEP_1) | instskip(SKIP_1) | instid1(VALU_DEP_1)
	v_pk_fma_f32 v[10:11], v[4:5], v[0:1], v[8:9] op_sel:[0,0,1] op_sel_hi:[1,1,0] neg_lo:[0,0,1] neg_hi:[0,0,1]
	v_pk_fma_f32 v[4:5], v[4:5], v[0:1], v[8:9] op_sel:[0,0,1] op_sel_hi:[1,0,0]
	v_mov_b32_e32 v11, v5
	v_pk_mul_f32 v[4:5], v[6:7], v[2:3] op_sel:[0,1]
	s_delay_alu instid0(VALU_DEP_1) | instskip(SKIP_1) | instid1(VALU_DEP_1)
	v_pk_fma_f32 v[8:9], v[6:7], v[0:1], v[4:5] op_sel:[0,0,1] op_sel_hi:[1,1,0] neg_lo:[0,0,1] neg_hi:[0,0,1]
	v_pk_fma_f32 v[4:5], v[6:7], v[0:1], v[4:5] op_sel:[0,0,1] op_sel_hi:[1,0,0]
	v_mov_b32_e32 v9, v5
	ds_load_2addr_b64 v[4:7], v40 offset0:37 offset1:38
	v_pk_add_f32 v[138:139], v[138:139], v[10:11] neg_lo:[0,1] neg_hi:[0,1]
	v_pk_add_f32 v[162:163], v[162:163], v[8:9] neg_lo:[0,1] neg_hi:[0,1]
	s_wait_dscnt 0x0
	v_pk_mul_f32 v[8:9], v[4:5], v[2:3] op_sel:[0,1]
	s_delay_alu instid0(VALU_DEP_1) | instskip(SKIP_1) | instid1(VALU_DEP_1)
	v_pk_fma_f32 v[10:11], v[4:5], v[0:1], v[8:9] op_sel:[0,0,1] op_sel_hi:[1,1,0] neg_lo:[0,0,1] neg_hi:[0,0,1]
	v_pk_fma_f32 v[4:5], v[4:5], v[0:1], v[8:9] op_sel:[0,0,1] op_sel_hi:[1,0,0]
	v_mov_b32_e32 v11, v5
	v_pk_mul_f32 v[4:5], v[6:7], v[2:3] op_sel:[0,1]
	s_delay_alu instid0(VALU_DEP_1) | instskip(SKIP_1) | instid1(VALU_DEP_1)
	v_pk_fma_f32 v[8:9], v[6:7], v[0:1], v[4:5] op_sel:[0,0,1] op_sel_hi:[1,1,0] neg_lo:[0,0,1] neg_hi:[0,0,1]
	v_pk_fma_f32 v[4:5], v[6:7], v[0:1], v[4:5] op_sel:[0,0,1] op_sel_hi:[1,0,0]
	v_mov_b32_e32 v9, v5
	ds_load_2addr_b64 v[4:7], v40 offset0:39 offset1:40
	v_pk_add_f32 v[158:159], v[158:159], v[10:11] neg_lo:[0,1] neg_hi:[0,1]
	v_pk_add_f32 v[160:161], v[160:161], v[8:9] neg_lo:[0,1] neg_hi:[0,1]
	s_wait_dscnt 0x0
	v_dual_mul_f32 v8, v5, v3 :: v_dual_mul_f32 v10, v5, v0
	s_delay_alu instid0(VALU_DEP_1) | instskip(NEXT) | instid1(VALU_DEP_2)
	v_pk_fma_f32 v[8:9], v[4:5], v[126:127], v[8:9] op_sel_hi:[1,1,0] neg_lo:[0,0,1] neg_hi:[0,0,1]
	v_pk_fma_f32 v[4:5], v[4:5], v[126:127], v[10:11] op_sel:[1,0,0] op_sel_hi:[0,1,0]
	s_delay_alu instid0(VALU_DEP_1) | instskip(SKIP_1) | instid1(VALU_DEP_2)
	v_mov_b32_e32 v9, v5
	v_pk_mul_f32 v[4:5], v[6:7], v[2:3] op_sel:[0,1]
	v_pk_add_f32 v[156:157], v[156:157], v[8:9] neg_lo:[0,1] neg_hi:[0,1]
	s_delay_alu instid0(VALU_DEP_2) | instskip(SKIP_1) | instid1(VALU_DEP_1)
	v_pk_fma_f32 v[8:9], v[6:7], v[0:1], v[4:5] op_sel:[0,0,1] op_sel_hi:[1,1,0] neg_lo:[0,0,1] neg_hi:[0,0,1]
	v_pk_fma_f32 v[4:5], v[6:7], v[0:1], v[4:5] op_sel:[0,0,1] op_sel_hi:[1,0,0]
	v_mov_b32_e32 v9, v5
	ds_load_2addr_b64 v[4:7], v40 offset0:41 offset1:42
	v_pk_add_f32 v[182:183], v[182:183], v[8:9] neg_lo:[0,1] neg_hi:[0,1]
	s_wait_dscnt 0x0
	v_pk_mul_f32 v[8:9], v[4:5], v[2:3] op_sel:[0,1]
	s_delay_alu instid0(VALU_DEP_1) | instskip(SKIP_1) | instid1(VALU_DEP_1)
	v_pk_fma_f32 v[10:11], v[4:5], v[0:1], v[8:9] op_sel:[0,0,1] op_sel_hi:[1,1,0] neg_lo:[0,0,1] neg_hi:[0,0,1]
	v_pk_fma_f32 v[4:5], v[4:5], v[0:1], v[8:9] op_sel:[0,0,1] op_sel_hi:[1,0,0]
	v_mov_b32_e32 v11, v5
	v_pk_mul_f32 v[4:5], v[6:7], v[2:3] op_sel:[0,1]
	s_delay_alu instid0(VALU_DEP_2) | instskip(NEXT) | instid1(VALU_DEP_2)
	v_pk_add_f32 v[176:177], v[176:177], v[10:11] neg_lo:[0,1] neg_hi:[0,1]
	v_pk_fma_f32 v[8:9], v[6:7], v[0:1], v[4:5] op_sel:[0,0,1] op_sel_hi:[1,1,0] neg_lo:[0,0,1] neg_hi:[0,0,1]
	v_pk_fma_f32 v[4:5], v[6:7], v[0:1], v[4:5] op_sel:[0,0,1] op_sel_hi:[1,0,0]
	s_delay_alu instid0(VALU_DEP_1) | instskip(SKIP_4) | instid1(VALU_DEP_1)
	v_mov_b32_e32 v9, v5
	ds_load_2addr_b64 v[4:7], v40 offset0:43 offset1:44
	v_pk_add_f32 v[180:181], v[180:181], v[8:9] neg_lo:[0,1] neg_hi:[0,1]
	s_wait_dscnt 0x0
	v_pk_mul_f32 v[8:9], v[4:5], v[2:3] op_sel:[0,1]
	v_pk_fma_f32 v[10:11], v[4:5], v[0:1], v[8:9] op_sel:[0,0,1] op_sel_hi:[1,1,0] neg_lo:[0,0,1] neg_hi:[0,0,1]
	v_pk_fma_f32 v[4:5], v[4:5], v[0:1], v[8:9] op_sel:[0,0,1] op_sel_hi:[1,0,0]
	v_dual_mul_f32 v8, v7, v3 :: v_dual_mov_b32 v4, v7
	s_delay_alu instid0(VALU_DEP_2) | instskip(NEXT) | instid1(VALU_DEP_2)
	v_dual_mov_b32 v11, v5 :: v_dual_mov_b32 v5, v6
	v_pk_fma_f32 v[8:9], v[6:7], v[126:127], v[8:9] op_sel_hi:[1,1,0] neg_lo:[0,0,1] neg_hi:[0,0,1]
	v_mul_f32_e32 v6, v7, v0
	s_delay_alu instid0(VALU_DEP_3) | instskip(NEXT) | instid1(VALU_DEP_2)
	v_pk_add_f32 v[174:175], v[174:175], v[10:11] neg_lo:[0,1] neg_hi:[0,1]
	v_pk_fma_f32 v[4:5], v[4:5], v[126:127], v[6:7] op_sel_hi:[1,1,0]
	s_delay_alu instid0(VALU_DEP_1)
	v_mov_b32_e32 v9, v5
	ds_load_2addr_b64 v[4:7], v40 offset0:45 offset1:46
	v_pk_add_f32 v[178:179], v[178:179], v[8:9] neg_lo:[0,1] neg_hi:[0,1]
	s_wait_dscnt 0x0
	v_pk_mul_f32 v[8:9], v[4:5], v[2:3] op_sel:[0,1]
	v_pk_mul_f32 v[2:3], v[6:7], v[2:3] op_sel:[0,1]
	s_delay_alu instid0(VALU_DEP_2) | instskip(SKIP_1) | instid1(VALU_DEP_1)
	v_pk_fma_f32 v[10:11], v[4:5], v[0:1], v[8:9] op_sel:[0,0,1] op_sel_hi:[1,1,0] neg_lo:[0,0,1] neg_hi:[0,0,1]
	v_pk_fma_f32 v[4:5], v[4:5], v[0:1], v[8:9] op_sel:[0,0,1] op_sel_hi:[1,0,0]
	v_mov_b32_e32 v11, v5
	s_delay_alu instid0(VALU_DEP_4) | instskip(SKIP_1) | instid1(VALU_DEP_1)
	v_pk_fma_f32 v[4:5], v[6:7], v[0:1], v[2:3] op_sel:[0,0,1] op_sel_hi:[1,1,0] neg_lo:[0,0,1] neg_hi:[0,0,1]
	v_pk_fma_f32 v[0:1], v[6:7], v[0:1], v[2:3] op_sel:[0,0,1] op_sel_hi:[1,0,0]
	v_mov_b32_e32 v5, v1
	s_delay_alu instid0(VALU_DEP_4) | instskip(NEXT) | instid1(VALU_DEP_2)
	v_pk_add_f32 v[186:187], v[186:187], v[10:11] neg_lo:[0,1] neg_hi:[0,1]
	v_pk_add_f32 v[188:189], v[188:189], v[4:5] neg_lo:[0,1] neg_hi:[0,1]
.LBB93_280:
	s_or_b32 exec_lo, exec_lo, s1
	s_delay_alu instid0(SALU_CYCLE_1)
	s_mov_b32 s2, exec_lo
	s_wait_dscnt 0x0
	s_barrier_signal -1
	s_barrier_wait -1
	v_cmpx_eq_u32_e32 31, v36
	s_cbranch_execz .LBB93_287
; %bb.281:
	v_dual_mov_b32 v0, v144 :: v_dual_mov_b32 v1, v145
	v_dual_mov_b32 v2, v140 :: v_dual_mov_b32 v3, v141
	ds_store_b64 v37, v[122:123]
	ds_store_2addr_b64 v40, v[0:1], v[2:3] offset0:32 offset1:33
	v_dual_mov_b32 v0, v142 :: v_dual_mov_b32 v1, v143
	v_dual_mov_b32 v2, v138 :: v_dual_mov_b32 v3, v139
	ds_store_2addr_b64 v40, v[0:1], v[2:3] offset0:34 offset1:35
	v_dual_mov_b32 v0, v162 :: v_dual_mov_b32 v1, v163
	v_dual_mov_b32 v2, v158 :: v_dual_mov_b32 v3, v159
	;; [unrolled: 3-line block ×6, first 2 shown]
	ds_store_2addr_b64 v40, v[0:1], v[2:3] offset0:44 offset1:45
	ds_store_b64 v40, v[188:189] offset:368
	ds_load_b64 v[0:1], v37
	s_wait_dscnt 0x0
	v_cmp_neq_f32_e32 vcc_lo, 0, v0
	v_cmp_neq_f32_e64 s1, 0, v1
	s_or_b32 s1, vcc_lo, s1
	s_delay_alu instid0(SALU_CYCLE_1)
	s_and_b32 exec_lo, exec_lo, s1
	s_cbranch_execz .LBB93_287
; %bb.282:
	v_cmp_ngt_f32_e64 s1, |v0|, |v1|
                                        ; implicit-def: $vgpr2_vgpr3
	s_and_saveexec_b32 s4, s1
	s_delay_alu instid0(SALU_CYCLE_1)
	s_xor_b32 s1, exec_lo, s4
	s_cbranch_execz .LBB93_284
; %bb.283:
	v_div_scale_f32 v2, null, v1, v1, v0
	v_div_scale_f32 v5, vcc_lo, v0, v1, v0
	s_delay_alu instid0(VALU_DEP_2) | instskip(SKIP_1) | instid1(TRANS32_DEP_1)
	v_rcp_f32_e32 v3, v2
	v_nop
	v_fma_f32 v4, -v2, v3, 1.0
	s_delay_alu instid0(VALU_DEP_1) | instskip(NEXT) | instid1(VALU_DEP_1)
	v_fmac_f32_e32 v3, v4, v3
	v_mul_f32_e32 v4, v5, v3
	s_delay_alu instid0(VALU_DEP_1) | instskip(NEXT) | instid1(VALU_DEP_1)
	v_fma_f32 v6, -v2, v4, v5
	v_fmac_f32_e32 v4, v6, v3
	s_delay_alu instid0(VALU_DEP_1) | instskip(NEXT) | instid1(VALU_DEP_1)
	v_fma_f32 v2, -v2, v4, v5
	v_div_fmas_f32 v2, v2, v3, v4
	s_delay_alu instid0(VALU_DEP_1) | instskip(NEXT) | instid1(VALU_DEP_1)
	v_div_fixup_f32 v2, v2, v1, v0
	v_fmac_f32_e32 v1, v0, v2
	s_delay_alu instid0(VALU_DEP_1) | instskip(SKIP_1) | instid1(VALU_DEP_2)
	v_div_scale_f32 v0, null, v1, v1, 1.0
	v_div_scale_f32 v5, vcc_lo, 1.0, v1, 1.0
	v_rcp_f32_e32 v3, v0
	v_nop
	s_delay_alu instid0(TRANS32_DEP_1) | instskip(NEXT) | instid1(VALU_DEP_1)
	v_fma_f32 v4, -v0, v3, 1.0
	v_fmac_f32_e32 v3, v4, v3
	s_delay_alu instid0(VALU_DEP_1) | instskip(NEXT) | instid1(VALU_DEP_1)
	v_mul_f32_e32 v4, v5, v3
	v_fma_f32 v6, -v0, v4, v5
	s_delay_alu instid0(VALU_DEP_1) | instskip(NEXT) | instid1(VALU_DEP_1)
	v_fmac_f32_e32 v4, v6, v3
	v_fma_f32 v0, -v0, v4, v5
	s_delay_alu instid0(VALU_DEP_1) | instskip(NEXT) | instid1(VALU_DEP_1)
	v_div_fmas_f32 v0, v0, v3, v4
	v_div_fixup_f32 v0, v0, v1, 1.0
	s_delay_alu instid0(VALU_DEP_1)
	v_mul_f32_e32 v2, v2, v0
	v_xor_b32_e32 v3, 0x80000000, v0
                                        ; implicit-def: $vgpr0_vgpr1
.LBB93_284:
	s_and_not1_saveexec_b32 s1, s1
	s_cbranch_execz .LBB93_286
; %bb.285:
	v_div_scale_f32 v2, null, v0, v0, v1
	v_div_scale_f32 v5, vcc_lo, v1, v0, v1
	s_delay_alu instid0(VALU_DEP_2) | instskip(SKIP_1) | instid1(TRANS32_DEP_1)
	v_rcp_f32_e32 v3, v2
	v_nop
	v_fma_f32 v4, -v2, v3, 1.0
	s_delay_alu instid0(VALU_DEP_1) | instskip(NEXT) | instid1(VALU_DEP_1)
	v_fmac_f32_e32 v3, v4, v3
	v_mul_f32_e32 v4, v5, v3
	s_delay_alu instid0(VALU_DEP_1) | instskip(NEXT) | instid1(VALU_DEP_1)
	v_fma_f32 v6, -v2, v4, v5
	v_fmac_f32_e32 v4, v6, v3
	s_delay_alu instid0(VALU_DEP_1) | instskip(NEXT) | instid1(VALU_DEP_1)
	v_fma_f32 v2, -v2, v4, v5
	v_div_fmas_f32 v2, v2, v3, v4
	s_delay_alu instid0(VALU_DEP_1) | instskip(NEXT) | instid1(VALU_DEP_1)
	v_div_fixup_f32 v3, v2, v0, v1
	v_fmac_f32_e32 v0, v1, v3
	s_delay_alu instid0(VALU_DEP_1) | instskip(NEXT) | instid1(VALU_DEP_1)
	v_div_scale_f32 v1, null, v0, v0, 1.0
	v_rcp_f32_e32 v2, v1
	v_nop
	s_delay_alu instid0(TRANS32_DEP_1) | instskip(NEXT) | instid1(VALU_DEP_1)
	v_fma_f32 v4, -v1, v2, 1.0
	v_fmac_f32_e32 v2, v4, v2
	v_div_scale_f32 v4, vcc_lo, 1.0, v0, 1.0
	s_delay_alu instid0(VALU_DEP_1) | instskip(NEXT) | instid1(VALU_DEP_1)
	v_mul_f32_e32 v5, v4, v2
	v_fma_f32 v6, -v1, v5, v4
	s_delay_alu instid0(VALU_DEP_1) | instskip(NEXT) | instid1(VALU_DEP_1)
	v_fmac_f32_e32 v5, v6, v2
	v_fma_f32 v1, -v1, v5, v4
	s_delay_alu instid0(VALU_DEP_1) | instskip(NEXT) | instid1(VALU_DEP_1)
	v_div_fmas_f32 v1, v1, v2, v5
	v_div_fixup_f32 v2, v1, v0, 1.0
	s_delay_alu instid0(VALU_DEP_1)
	v_mul_f32_e64 v3, v3, -v2
.LBB93_286:
	s_or_b32 exec_lo, exec_lo, s1
	ds_store_b64 v37, v[2:3]
.LBB93_287:
	s_or_b32 exec_lo, exec_lo, s2
	s_wait_dscnt 0x0
	s_barrier_signal -1
	s_barrier_wait -1
	ds_load_b64 v[252:253], v37
	s_mov_b32 s1, exec_lo
	v_cmpx_lt_u32_e32 31, v36
	s_cbranch_execz .LBB93_289
; %bb.288:
	ds_load_2addr_b64 v[4:7], v40 offset0:32 offset1:33
	s_wait_dscnt 0x1
	v_pk_mul_f32 v[2:3], v[252:253], v[122:123] op_sel:[1,1] op_sel_hi:[0,1]
	s_delay_alu instid0(VALU_DEP_1) | instskip(SKIP_1) | instid1(VALU_DEP_1)
	v_pk_fma_f32 v[0:1], v[252:253], v[122:123], v[2:3] op_sel_hi:[1,0,1] neg_lo:[0,0,1] neg_hi:[0,0,1]
	v_pk_fma_f32 v[2:3], v[252:253], v[122:123], v[2:3] op_sel_hi:[1,0,1]
	v_dual_mov_b32 v122, v0 :: v_dual_mov_b32 v123, v3
	s_wait_dscnt 0x0
	s_delay_alu instid0(VALU_DEP_2) | instskip(NEXT) | instid1(VALU_DEP_1)
	v_pk_mul_f32 v[8:9], v[4:5], v[2:3] op_sel:[0,1]
	v_pk_fma_f32 v[10:11], v[4:5], v[0:1], v[8:9] op_sel:[0,0,1] op_sel_hi:[1,1,0] neg_lo:[0,0,1] neg_hi:[0,0,1]
	v_pk_fma_f32 v[4:5], v[4:5], v[0:1], v[8:9] op_sel:[0,0,1] op_sel_hi:[1,0,0]
	s_delay_alu instid0(VALU_DEP_1) | instskip(SKIP_1) | instid1(VALU_DEP_1)
	v_mov_b32_e32 v11, v5
	v_pk_mul_f32 v[4:5], v[6:7], v[2:3] op_sel:[0,1]
	v_pk_fma_f32 v[8:9], v[6:7], v[0:1], v[4:5] op_sel:[0,0,1] op_sel_hi:[1,1,0] neg_lo:[0,0,1] neg_hi:[0,0,1]
	v_pk_fma_f32 v[4:5], v[6:7], v[0:1], v[4:5] op_sel:[0,0,1] op_sel_hi:[1,0,0]
	s_delay_alu instid0(VALU_DEP_1)
	v_mov_b32_e32 v9, v5
	ds_load_2addr_b64 v[4:7], v40 offset0:34 offset1:35
	v_pk_add_f32 v[144:145], v[144:145], v[10:11] neg_lo:[0,1] neg_hi:[0,1]
	v_pk_add_f32 v[140:141], v[140:141], v[8:9] neg_lo:[0,1] neg_hi:[0,1]
	s_wait_dscnt 0x0
	v_pk_mul_f32 v[8:9], v[4:5], v[2:3] op_sel:[0,1]
	s_delay_alu instid0(VALU_DEP_1) | instskip(SKIP_2) | instid1(VALU_DEP_2)
	v_pk_fma_f32 v[10:11], v[4:5], v[0:1], v[8:9] op_sel:[0,0,1] op_sel_hi:[1,1,0] neg_lo:[0,0,1] neg_hi:[0,0,1]
	v_pk_fma_f32 v[4:5], v[4:5], v[0:1], v[8:9] op_sel:[0,0,1] op_sel_hi:[1,0,0]
	v_dual_mul_f32 v8, v7, v3 :: v_dual_mov_b32 v4, v7
	v_dual_mov_b32 v11, v5 :: v_dual_mov_b32 v5, v6
	s_delay_alu instid0(VALU_DEP_2) | instskip(SKIP_1) | instid1(VALU_DEP_3)
	v_pk_fma_f32 v[8:9], v[6:7], v[122:123], v[8:9] op_sel_hi:[1,1,0] neg_lo:[0,0,1] neg_hi:[0,0,1]
	v_mul_f32_e32 v6, v7, v0
	v_pk_add_f32 v[142:143], v[142:143], v[10:11] neg_lo:[0,1] neg_hi:[0,1]
	s_delay_alu instid0(VALU_DEP_2) | instskip(NEXT) | instid1(VALU_DEP_1)
	v_pk_fma_f32 v[4:5], v[4:5], v[122:123], v[6:7] op_sel_hi:[1,1,0]
	v_mov_b32_e32 v9, v5
	ds_load_2addr_b64 v[4:7], v40 offset0:36 offset1:37
	v_pk_add_f32 v[138:139], v[138:139], v[8:9] neg_lo:[0,1] neg_hi:[0,1]
	s_wait_dscnt 0x0
	v_pk_mul_f32 v[8:9], v[4:5], v[2:3] op_sel:[0,1]
	s_delay_alu instid0(VALU_DEP_1) | instskip(SKIP_1) | instid1(VALU_DEP_1)
	v_pk_fma_f32 v[10:11], v[4:5], v[0:1], v[8:9] op_sel:[0,0,1] op_sel_hi:[1,1,0] neg_lo:[0,0,1] neg_hi:[0,0,1]
	v_pk_fma_f32 v[4:5], v[4:5], v[0:1], v[8:9] op_sel:[0,0,1] op_sel_hi:[1,0,0]
	v_mov_b32_e32 v11, v5
	v_pk_mul_f32 v[4:5], v[6:7], v[2:3] op_sel:[0,1]
	s_delay_alu instid0(VALU_DEP_1) | instskip(SKIP_1) | instid1(VALU_DEP_1)
	v_pk_fma_f32 v[8:9], v[6:7], v[0:1], v[4:5] op_sel:[0,0,1] op_sel_hi:[1,1,0] neg_lo:[0,0,1] neg_hi:[0,0,1]
	v_pk_fma_f32 v[4:5], v[6:7], v[0:1], v[4:5] op_sel:[0,0,1] op_sel_hi:[1,0,0]
	v_mov_b32_e32 v9, v5
	ds_load_2addr_b64 v[4:7], v40 offset0:38 offset1:39
	v_pk_add_f32 v[162:163], v[162:163], v[10:11] neg_lo:[0,1] neg_hi:[0,1]
	v_pk_add_f32 v[158:159], v[158:159], v[8:9] neg_lo:[0,1] neg_hi:[0,1]
	s_wait_dscnt 0x0
	v_pk_mul_f32 v[8:9], v[4:5], v[2:3] op_sel:[0,1]
	s_delay_alu instid0(VALU_DEP_1) | instskip(SKIP_1) | instid1(VALU_DEP_1)
	v_pk_fma_f32 v[10:11], v[4:5], v[0:1], v[8:9] op_sel:[0,0,1] op_sel_hi:[1,1,0] neg_lo:[0,0,1] neg_hi:[0,0,1]
	v_pk_fma_f32 v[4:5], v[4:5], v[0:1], v[8:9] op_sel:[0,0,1] op_sel_hi:[1,0,0]
	v_mov_b32_e32 v11, v5
	v_pk_mul_f32 v[4:5], v[6:7], v[2:3] op_sel:[0,1]
	s_delay_alu instid0(VALU_DEP_1) | instskip(SKIP_1) | instid1(VALU_DEP_1)
	v_pk_fma_f32 v[8:9], v[6:7], v[0:1], v[4:5] op_sel:[0,0,1] op_sel_hi:[1,1,0] neg_lo:[0,0,1] neg_hi:[0,0,1]
	v_pk_fma_f32 v[4:5], v[6:7], v[0:1], v[4:5] op_sel:[0,0,1] op_sel_hi:[1,0,0]
	v_mov_b32_e32 v9, v5
	ds_load_2addr_b64 v[4:7], v40 offset0:40 offset1:41
	v_pk_add_f32 v[160:161], v[160:161], v[10:11] neg_lo:[0,1] neg_hi:[0,1]
	v_pk_add_f32 v[156:157], v[156:157], v[8:9] neg_lo:[0,1] neg_hi:[0,1]
	s_wait_dscnt 0x0
	v_dual_mul_f32 v8, v5, v3 :: v_dual_mul_f32 v10, v5, v0
	s_delay_alu instid0(VALU_DEP_1) | instskip(NEXT) | instid1(VALU_DEP_2)
	v_pk_fma_f32 v[8:9], v[4:5], v[122:123], v[8:9] op_sel_hi:[1,1,0] neg_lo:[0,0,1] neg_hi:[0,0,1]
	v_pk_fma_f32 v[4:5], v[4:5], v[122:123], v[10:11] op_sel:[1,0,0] op_sel_hi:[0,1,0]
	s_delay_alu instid0(VALU_DEP_1) | instskip(SKIP_1) | instid1(VALU_DEP_2)
	v_mov_b32_e32 v9, v5
	v_pk_mul_f32 v[4:5], v[6:7], v[2:3] op_sel:[0,1]
	v_pk_add_f32 v[182:183], v[182:183], v[8:9] neg_lo:[0,1] neg_hi:[0,1]
	s_delay_alu instid0(VALU_DEP_2) | instskip(SKIP_1) | instid1(VALU_DEP_1)
	v_pk_fma_f32 v[8:9], v[6:7], v[0:1], v[4:5] op_sel:[0,0,1] op_sel_hi:[1,1,0] neg_lo:[0,0,1] neg_hi:[0,0,1]
	v_pk_fma_f32 v[4:5], v[6:7], v[0:1], v[4:5] op_sel:[0,0,1] op_sel_hi:[1,0,0]
	v_mov_b32_e32 v9, v5
	ds_load_2addr_b64 v[4:7], v40 offset0:42 offset1:43
	v_pk_add_f32 v[176:177], v[176:177], v[8:9] neg_lo:[0,1] neg_hi:[0,1]
	s_wait_dscnt 0x0
	v_pk_mul_f32 v[8:9], v[4:5], v[2:3] op_sel:[0,1]
	s_delay_alu instid0(VALU_DEP_1) | instskip(SKIP_1) | instid1(VALU_DEP_1)
	v_pk_fma_f32 v[10:11], v[4:5], v[0:1], v[8:9] op_sel:[0,0,1] op_sel_hi:[1,1,0] neg_lo:[0,0,1] neg_hi:[0,0,1]
	v_pk_fma_f32 v[4:5], v[4:5], v[0:1], v[8:9] op_sel:[0,0,1] op_sel_hi:[1,0,0]
	v_mov_b32_e32 v11, v5
	v_pk_mul_f32 v[4:5], v[6:7], v[2:3] op_sel:[0,1]
	s_delay_alu instid0(VALU_DEP_2) | instskip(NEXT) | instid1(VALU_DEP_2)
	v_pk_add_f32 v[180:181], v[180:181], v[10:11] neg_lo:[0,1] neg_hi:[0,1]
	v_pk_fma_f32 v[8:9], v[6:7], v[0:1], v[4:5] op_sel:[0,0,1] op_sel_hi:[1,1,0] neg_lo:[0,0,1] neg_hi:[0,0,1]
	v_pk_fma_f32 v[4:5], v[6:7], v[0:1], v[4:5] op_sel:[0,0,1] op_sel_hi:[1,0,0]
	s_delay_alu instid0(VALU_DEP_1) | instskip(SKIP_4) | instid1(VALU_DEP_1)
	v_mov_b32_e32 v9, v5
	ds_load_2addr_b64 v[4:7], v40 offset0:44 offset1:45
	v_pk_add_f32 v[174:175], v[174:175], v[8:9] neg_lo:[0,1] neg_hi:[0,1]
	s_wait_dscnt 0x0
	v_pk_mul_f32 v[8:9], v[4:5], v[2:3] op_sel:[0,1]
	v_pk_fma_f32 v[10:11], v[4:5], v[0:1], v[8:9] op_sel:[0,0,1] op_sel_hi:[1,1,0] neg_lo:[0,0,1] neg_hi:[0,0,1]
	v_pk_fma_f32 v[4:5], v[4:5], v[0:1], v[8:9] op_sel:[0,0,1] op_sel_hi:[1,0,0]
	v_dual_mul_f32 v8, v7, v3 :: v_dual_mov_b32 v4, v7
	s_delay_alu instid0(VALU_DEP_2) | instskip(NEXT) | instid1(VALU_DEP_2)
	v_dual_mov_b32 v11, v5 :: v_dual_mov_b32 v5, v6
	v_pk_fma_f32 v[8:9], v[6:7], v[122:123], v[8:9] op_sel_hi:[1,1,0] neg_lo:[0,0,1] neg_hi:[0,0,1]
	v_mul_f32_e32 v6, v7, v0
	s_delay_alu instid0(VALU_DEP_3) | instskip(NEXT) | instid1(VALU_DEP_2)
	v_pk_add_f32 v[178:179], v[178:179], v[10:11] neg_lo:[0,1] neg_hi:[0,1]
	v_pk_fma_f32 v[4:5], v[4:5], v[122:123], v[6:7] op_sel_hi:[1,1,0]
	s_delay_alu instid0(VALU_DEP_1) | instskip(SKIP_4) | instid1(VALU_DEP_1)
	v_mov_b32_e32 v9, v5
	ds_load_b64 v[4:5], v40 offset:368
	v_pk_add_f32 v[186:187], v[186:187], v[8:9] neg_lo:[0,1] neg_hi:[0,1]
	s_wait_dscnt 0x0
	v_pk_mul_f32 v[2:3], v[4:5], v[2:3] op_sel:[0,1]
	v_pk_fma_f32 v[6:7], v[4:5], v[0:1], v[2:3] op_sel:[0,0,1] op_sel_hi:[1,1,0] neg_lo:[0,0,1] neg_hi:[0,0,1]
	v_pk_fma_f32 v[0:1], v[4:5], v[0:1], v[2:3] op_sel:[0,0,1] op_sel_hi:[1,0,0]
	s_delay_alu instid0(VALU_DEP_1) | instskip(NEXT) | instid1(VALU_DEP_1)
	v_mov_b32_e32 v7, v1
	v_pk_add_f32 v[188:189], v[188:189], v[6:7] neg_lo:[0,1] neg_hi:[0,1]
.LBB93_289:
	s_or_b32 exec_lo, exec_lo, s1
	s_delay_alu instid0(SALU_CYCLE_1)
	s_mov_b32 s2, exec_lo
	s_wait_dscnt 0x0
	s_barrier_signal -1
	s_barrier_wait -1
	v_cmpx_eq_u32_e32 32, v36
	s_cbranch_execz .LBB93_296
; %bb.290:
	ds_store_b64 v37, v[144:145]
	ds_store_2addr_b64 v40, v[140:141], v[142:143] offset0:33 offset1:34
	ds_store_2addr_b64 v40, v[138:139], v[162:163] offset0:35 offset1:36
	;; [unrolled: 1-line block ×7, first 2 shown]
	ds_load_b64 v[0:1], v37
	s_wait_dscnt 0x0
	v_cmp_neq_f32_e32 vcc_lo, 0, v0
	v_cmp_neq_f32_e64 s1, 0, v1
	s_or_b32 s1, vcc_lo, s1
	s_delay_alu instid0(SALU_CYCLE_1)
	s_and_b32 exec_lo, exec_lo, s1
	s_cbranch_execz .LBB93_296
; %bb.291:
	v_cmp_ngt_f32_e64 s1, |v0|, |v1|
                                        ; implicit-def: $vgpr2_vgpr3
	s_and_saveexec_b32 s4, s1
	s_delay_alu instid0(SALU_CYCLE_1)
	s_xor_b32 s1, exec_lo, s4
	s_cbranch_execz .LBB93_293
; %bb.292:
	v_div_scale_f32 v2, null, v1, v1, v0
	v_div_scale_f32 v5, vcc_lo, v0, v1, v0
	s_delay_alu instid0(VALU_DEP_2) | instskip(SKIP_1) | instid1(TRANS32_DEP_1)
	v_rcp_f32_e32 v3, v2
	v_nop
	v_fma_f32 v4, -v2, v3, 1.0
	s_delay_alu instid0(VALU_DEP_1) | instskip(NEXT) | instid1(VALU_DEP_1)
	v_fmac_f32_e32 v3, v4, v3
	v_mul_f32_e32 v4, v5, v3
	s_delay_alu instid0(VALU_DEP_1) | instskip(NEXT) | instid1(VALU_DEP_1)
	v_fma_f32 v6, -v2, v4, v5
	v_fmac_f32_e32 v4, v6, v3
	s_delay_alu instid0(VALU_DEP_1) | instskip(NEXT) | instid1(VALU_DEP_1)
	v_fma_f32 v2, -v2, v4, v5
	v_div_fmas_f32 v2, v2, v3, v4
	s_delay_alu instid0(VALU_DEP_1) | instskip(NEXT) | instid1(VALU_DEP_1)
	v_div_fixup_f32 v2, v2, v1, v0
	v_fmac_f32_e32 v1, v0, v2
	s_delay_alu instid0(VALU_DEP_1) | instskip(SKIP_1) | instid1(VALU_DEP_2)
	v_div_scale_f32 v0, null, v1, v1, 1.0
	v_div_scale_f32 v5, vcc_lo, 1.0, v1, 1.0
	v_rcp_f32_e32 v3, v0
	v_nop
	s_delay_alu instid0(TRANS32_DEP_1) | instskip(NEXT) | instid1(VALU_DEP_1)
	v_fma_f32 v4, -v0, v3, 1.0
	v_fmac_f32_e32 v3, v4, v3
	s_delay_alu instid0(VALU_DEP_1) | instskip(NEXT) | instid1(VALU_DEP_1)
	v_mul_f32_e32 v4, v5, v3
	v_fma_f32 v6, -v0, v4, v5
	s_delay_alu instid0(VALU_DEP_1) | instskip(NEXT) | instid1(VALU_DEP_1)
	v_fmac_f32_e32 v4, v6, v3
	v_fma_f32 v0, -v0, v4, v5
	s_delay_alu instid0(VALU_DEP_1) | instskip(NEXT) | instid1(VALU_DEP_1)
	v_div_fmas_f32 v0, v0, v3, v4
	v_div_fixup_f32 v0, v0, v1, 1.0
	s_delay_alu instid0(VALU_DEP_1)
	v_mul_f32_e32 v2, v2, v0
	v_xor_b32_e32 v3, 0x80000000, v0
                                        ; implicit-def: $vgpr0_vgpr1
.LBB93_293:
	s_and_not1_saveexec_b32 s1, s1
	s_cbranch_execz .LBB93_295
; %bb.294:
	v_div_scale_f32 v2, null, v0, v0, v1
	v_div_scale_f32 v5, vcc_lo, v1, v0, v1
	s_delay_alu instid0(VALU_DEP_2) | instskip(SKIP_1) | instid1(TRANS32_DEP_1)
	v_rcp_f32_e32 v3, v2
	v_nop
	v_fma_f32 v4, -v2, v3, 1.0
	s_delay_alu instid0(VALU_DEP_1) | instskip(NEXT) | instid1(VALU_DEP_1)
	v_fmac_f32_e32 v3, v4, v3
	v_mul_f32_e32 v4, v5, v3
	s_delay_alu instid0(VALU_DEP_1) | instskip(NEXT) | instid1(VALU_DEP_1)
	v_fma_f32 v6, -v2, v4, v5
	v_fmac_f32_e32 v4, v6, v3
	s_delay_alu instid0(VALU_DEP_1) | instskip(NEXT) | instid1(VALU_DEP_1)
	v_fma_f32 v2, -v2, v4, v5
	v_div_fmas_f32 v2, v2, v3, v4
	s_delay_alu instid0(VALU_DEP_1) | instskip(NEXT) | instid1(VALU_DEP_1)
	v_div_fixup_f32 v3, v2, v0, v1
	v_fmac_f32_e32 v0, v1, v3
	s_delay_alu instid0(VALU_DEP_1) | instskip(NEXT) | instid1(VALU_DEP_1)
	v_div_scale_f32 v1, null, v0, v0, 1.0
	v_rcp_f32_e32 v2, v1
	v_nop
	s_delay_alu instid0(TRANS32_DEP_1) | instskip(NEXT) | instid1(VALU_DEP_1)
	v_fma_f32 v4, -v1, v2, 1.0
	v_fmac_f32_e32 v2, v4, v2
	v_div_scale_f32 v4, vcc_lo, 1.0, v0, 1.0
	s_delay_alu instid0(VALU_DEP_1) | instskip(NEXT) | instid1(VALU_DEP_1)
	v_mul_f32_e32 v5, v4, v2
	v_fma_f32 v6, -v1, v5, v4
	s_delay_alu instid0(VALU_DEP_1) | instskip(NEXT) | instid1(VALU_DEP_1)
	v_fmac_f32_e32 v5, v6, v2
	v_fma_f32 v1, -v1, v5, v4
	s_delay_alu instid0(VALU_DEP_1) | instskip(NEXT) | instid1(VALU_DEP_1)
	v_div_fmas_f32 v1, v1, v2, v5
	v_div_fixup_f32 v2, v1, v0, 1.0
	s_delay_alu instid0(VALU_DEP_1)
	v_mul_f32_e64 v3, v3, -v2
.LBB93_295:
	s_or_b32 exec_lo, exec_lo, s1
	ds_store_b64 v37, v[2:3]
.LBB93_296:
	s_or_b32 exec_lo, exec_lo, s2
	s_wait_dscnt 0x0
	s_barrier_signal -1
	s_barrier_wait -1
	ds_load_b64 v[254:255], v37
	s_mov_b32 s1, exec_lo
	v_cmpx_lt_u32_e32 32, v36
	s_cbranch_execz .LBB93_298
; %bb.297:
	ds_load_2addr_b64 v[4:7], v40 offset0:33 offset1:34
	s_wait_dscnt 0x1
	v_pk_mul_f32 v[2:3], v[254:255], v[144:145] op_sel:[1,1] op_sel_hi:[0,1]
	s_delay_alu instid0(VALU_DEP_1) | instskip(SKIP_1) | instid1(VALU_DEP_1)
	v_pk_fma_f32 v[0:1], v[254:255], v[144:145], v[2:3] op_sel_hi:[1,0,1] neg_lo:[0,0,1] neg_hi:[0,0,1]
	v_pk_fma_f32 v[2:3], v[254:255], v[144:145], v[2:3] op_sel_hi:[1,0,1]
	v_dual_mov_b32 v144, v0 :: v_dual_mov_b32 v145, v3
	s_wait_dscnt 0x0
	s_delay_alu instid0(VALU_DEP_2) | instskip(NEXT) | instid1(VALU_DEP_1)
	v_pk_mul_f32 v[8:9], v[4:5], v[2:3] op_sel:[0,1]
	v_pk_fma_f32 v[10:11], v[4:5], v[0:1], v[8:9] op_sel:[0,0,1] op_sel_hi:[1,1,0] neg_lo:[0,0,1] neg_hi:[0,0,1]
	v_pk_fma_f32 v[4:5], v[4:5], v[0:1], v[8:9] op_sel:[0,0,1] op_sel_hi:[1,0,0]
	s_delay_alu instid0(VALU_DEP_1) | instskip(SKIP_1) | instid1(VALU_DEP_1)
	v_mov_b32_e32 v11, v5
	v_pk_mul_f32 v[4:5], v[6:7], v[2:3] op_sel:[0,1]
	v_pk_fma_f32 v[8:9], v[6:7], v[0:1], v[4:5] op_sel:[0,0,1] op_sel_hi:[1,1,0] neg_lo:[0,0,1] neg_hi:[0,0,1]
	v_pk_fma_f32 v[4:5], v[6:7], v[0:1], v[4:5] op_sel:[0,0,1] op_sel_hi:[1,0,0]
	s_delay_alu instid0(VALU_DEP_1)
	v_mov_b32_e32 v9, v5
	ds_load_2addr_b64 v[4:7], v40 offset0:35 offset1:36
	v_pk_add_f32 v[140:141], v[140:141], v[10:11] neg_lo:[0,1] neg_hi:[0,1]
	v_pk_add_f32 v[142:143], v[142:143], v[8:9] neg_lo:[0,1] neg_hi:[0,1]
	s_wait_dscnt 0x0
	v_pk_mul_f32 v[8:9], v[4:5], v[2:3] op_sel:[0,1]
	s_delay_alu instid0(VALU_DEP_1) | instskip(SKIP_2) | instid1(VALU_DEP_2)
	v_pk_fma_f32 v[10:11], v[4:5], v[0:1], v[8:9] op_sel:[0,0,1] op_sel_hi:[1,1,0] neg_lo:[0,0,1] neg_hi:[0,0,1]
	v_pk_fma_f32 v[4:5], v[4:5], v[0:1], v[8:9] op_sel:[0,0,1] op_sel_hi:[1,0,0]
	v_dual_mul_f32 v8, v7, v3 :: v_dual_mov_b32 v4, v7
	v_dual_mov_b32 v11, v5 :: v_dual_mov_b32 v5, v6
	s_delay_alu instid0(VALU_DEP_2) | instskip(SKIP_1) | instid1(VALU_DEP_3)
	v_pk_fma_f32 v[8:9], v[6:7], v[144:145], v[8:9] op_sel_hi:[1,1,0] neg_lo:[0,0,1] neg_hi:[0,0,1]
	v_mul_f32_e32 v6, v7, v0
	v_pk_add_f32 v[138:139], v[138:139], v[10:11] neg_lo:[0,1] neg_hi:[0,1]
	s_delay_alu instid0(VALU_DEP_2) | instskip(NEXT) | instid1(VALU_DEP_1)
	v_pk_fma_f32 v[4:5], v[4:5], v[144:145], v[6:7] op_sel_hi:[1,1,0]
	v_mov_b32_e32 v9, v5
	ds_load_2addr_b64 v[4:7], v40 offset0:37 offset1:38
	v_pk_add_f32 v[162:163], v[162:163], v[8:9] neg_lo:[0,1] neg_hi:[0,1]
	s_wait_dscnt 0x0
	v_pk_mul_f32 v[8:9], v[4:5], v[2:3] op_sel:[0,1]
	s_delay_alu instid0(VALU_DEP_1) | instskip(SKIP_1) | instid1(VALU_DEP_1)
	v_pk_fma_f32 v[10:11], v[4:5], v[0:1], v[8:9] op_sel:[0,0,1] op_sel_hi:[1,1,0] neg_lo:[0,0,1] neg_hi:[0,0,1]
	v_pk_fma_f32 v[4:5], v[4:5], v[0:1], v[8:9] op_sel:[0,0,1] op_sel_hi:[1,0,0]
	v_mov_b32_e32 v11, v5
	v_pk_mul_f32 v[4:5], v[6:7], v[2:3] op_sel:[0,1]
	s_delay_alu instid0(VALU_DEP_1) | instskip(SKIP_1) | instid1(VALU_DEP_1)
	v_pk_fma_f32 v[8:9], v[6:7], v[0:1], v[4:5] op_sel:[0,0,1] op_sel_hi:[1,1,0] neg_lo:[0,0,1] neg_hi:[0,0,1]
	v_pk_fma_f32 v[4:5], v[6:7], v[0:1], v[4:5] op_sel:[0,0,1] op_sel_hi:[1,0,0]
	v_mov_b32_e32 v9, v5
	ds_load_2addr_b64 v[4:7], v40 offset0:39 offset1:40
	v_pk_add_f32 v[158:159], v[158:159], v[10:11] neg_lo:[0,1] neg_hi:[0,1]
	v_pk_add_f32 v[160:161], v[160:161], v[8:9] neg_lo:[0,1] neg_hi:[0,1]
	s_wait_dscnt 0x0
	v_pk_mul_f32 v[8:9], v[4:5], v[2:3] op_sel:[0,1]
	s_delay_alu instid0(VALU_DEP_1) | instskip(SKIP_1) | instid1(VALU_DEP_1)
	v_pk_fma_f32 v[10:11], v[4:5], v[0:1], v[8:9] op_sel:[0,0,1] op_sel_hi:[1,1,0] neg_lo:[0,0,1] neg_hi:[0,0,1]
	v_pk_fma_f32 v[4:5], v[4:5], v[0:1], v[8:9] op_sel:[0,0,1] op_sel_hi:[1,0,0]
	v_mov_b32_e32 v11, v5
	v_pk_mul_f32 v[4:5], v[6:7], v[2:3] op_sel:[0,1]
	s_delay_alu instid0(VALU_DEP_1) | instskip(SKIP_1) | instid1(VALU_DEP_1)
	v_pk_fma_f32 v[8:9], v[6:7], v[0:1], v[4:5] op_sel:[0,0,1] op_sel_hi:[1,1,0] neg_lo:[0,0,1] neg_hi:[0,0,1]
	v_pk_fma_f32 v[4:5], v[6:7], v[0:1], v[4:5] op_sel:[0,0,1] op_sel_hi:[1,0,0]
	v_mov_b32_e32 v9, v5
	ds_load_2addr_b64 v[4:7], v40 offset0:41 offset1:42
	v_pk_add_f32 v[156:157], v[156:157], v[10:11] neg_lo:[0,1] neg_hi:[0,1]
	v_pk_add_f32 v[182:183], v[182:183], v[8:9] neg_lo:[0,1] neg_hi:[0,1]
	s_wait_dscnt 0x0
	v_dual_mul_f32 v8, v5, v3 :: v_dual_mul_f32 v10, v5, v0
	s_delay_alu instid0(VALU_DEP_1) | instskip(NEXT) | instid1(VALU_DEP_2)
	v_pk_fma_f32 v[8:9], v[4:5], v[144:145], v[8:9] op_sel_hi:[1,1,0] neg_lo:[0,0,1] neg_hi:[0,0,1]
	v_pk_fma_f32 v[4:5], v[4:5], v[144:145], v[10:11] op_sel:[1,0,0] op_sel_hi:[0,1,0]
	s_delay_alu instid0(VALU_DEP_1) | instskip(SKIP_1) | instid1(VALU_DEP_2)
	v_mov_b32_e32 v9, v5
	v_pk_mul_f32 v[4:5], v[6:7], v[2:3] op_sel:[0,1]
	v_pk_add_f32 v[176:177], v[176:177], v[8:9] neg_lo:[0,1] neg_hi:[0,1]
	s_delay_alu instid0(VALU_DEP_2) | instskip(SKIP_1) | instid1(VALU_DEP_1)
	v_pk_fma_f32 v[8:9], v[6:7], v[0:1], v[4:5] op_sel:[0,0,1] op_sel_hi:[1,1,0] neg_lo:[0,0,1] neg_hi:[0,0,1]
	v_pk_fma_f32 v[4:5], v[6:7], v[0:1], v[4:5] op_sel:[0,0,1] op_sel_hi:[1,0,0]
	v_mov_b32_e32 v9, v5
	ds_load_2addr_b64 v[4:7], v40 offset0:43 offset1:44
	v_pk_add_f32 v[180:181], v[180:181], v[8:9] neg_lo:[0,1] neg_hi:[0,1]
	s_wait_dscnt 0x0
	v_pk_mul_f32 v[8:9], v[4:5], v[2:3] op_sel:[0,1]
	s_delay_alu instid0(VALU_DEP_1) | instskip(SKIP_1) | instid1(VALU_DEP_1)
	v_pk_fma_f32 v[10:11], v[4:5], v[0:1], v[8:9] op_sel:[0,0,1] op_sel_hi:[1,1,0] neg_lo:[0,0,1] neg_hi:[0,0,1]
	v_pk_fma_f32 v[4:5], v[4:5], v[0:1], v[8:9] op_sel:[0,0,1] op_sel_hi:[1,0,0]
	v_mov_b32_e32 v11, v5
	v_pk_mul_f32 v[4:5], v[6:7], v[2:3] op_sel:[0,1]
	s_delay_alu instid0(VALU_DEP_2) | instskip(NEXT) | instid1(VALU_DEP_2)
	v_pk_add_f32 v[174:175], v[174:175], v[10:11] neg_lo:[0,1] neg_hi:[0,1]
	v_pk_fma_f32 v[8:9], v[6:7], v[0:1], v[4:5] op_sel:[0,0,1] op_sel_hi:[1,1,0] neg_lo:[0,0,1] neg_hi:[0,0,1]
	v_pk_fma_f32 v[4:5], v[6:7], v[0:1], v[4:5] op_sel:[0,0,1] op_sel_hi:[1,0,0]
	s_delay_alu instid0(VALU_DEP_1)
	v_mov_b32_e32 v9, v5
	ds_load_2addr_b64 v[4:7], v40 offset0:45 offset1:46
	v_pk_add_f32 v[178:179], v[178:179], v[8:9] neg_lo:[0,1] neg_hi:[0,1]
	s_wait_dscnt 0x0
	v_pk_mul_f32 v[8:9], v[4:5], v[2:3] op_sel:[0,1]
	v_pk_mul_f32 v[2:3], v[6:7], v[2:3] op_sel:[0,1]
	s_delay_alu instid0(VALU_DEP_2) | instskip(SKIP_1) | instid1(VALU_DEP_1)
	v_pk_fma_f32 v[10:11], v[4:5], v[0:1], v[8:9] op_sel:[0,0,1] op_sel_hi:[1,1,0] neg_lo:[0,0,1] neg_hi:[0,0,1]
	v_pk_fma_f32 v[4:5], v[4:5], v[0:1], v[8:9] op_sel:[0,0,1] op_sel_hi:[1,0,0]
	v_mov_b32_e32 v11, v5
	s_delay_alu instid0(VALU_DEP_4) | instskip(SKIP_1) | instid1(VALU_DEP_3)
	v_pk_fma_f32 v[4:5], v[6:7], v[0:1], v[2:3] op_sel:[0,0,1] op_sel_hi:[1,1,0] neg_lo:[0,0,1] neg_hi:[0,0,1]
	v_pk_fma_f32 v[0:1], v[6:7], v[0:1], v[2:3] op_sel:[0,0,1] op_sel_hi:[1,0,0]
	v_pk_add_f32 v[186:187], v[186:187], v[10:11] neg_lo:[0,1] neg_hi:[0,1]
	s_delay_alu instid0(VALU_DEP_2) | instskip(NEXT) | instid1(VALU_DEP_1)
	v_mov_b32_e32 v5, v1
	v_pk_add_f32 v[188:189], v[188:189], v[4:5] neg_lo:[0,1] neg_hi:[0,1]
.LBB93_298:
	s_or_b32 exec_lo, exec_lo, s1
	s_delay_alu instid0(SALU_CYCLE_1)
	s_mov_b32 s2, exec_lo
	s_wait_dscnt 0x0
	s_barrier_signal -1
	s_barrier_wait -1
	v_cmpx_eq_u32_e32 33, v36
	s_cbranch_execz .LBB93_305
; %bb.299:
	v_dual_mov_b32 v0, v142 :: v_dual_mov_b32 v1, v143
	v_dual_mov_b32 v2, v138 :: v_dual_mov_b32 v3, v139
	ds_store_b64 v37, v[140:141]
	ds_store_2addr_b64 v40, v[0:1], v[2:3] offset0:34 offset1:35
	v_dual_mov_b32 v0, v162 :: v_dual_mov_b32 v1, v163
	v_dual_mov_b32 v2, v158 :: v_dual_mov_b32 v3, v159
	ds_store_2addr_b64 v40, v[0:1], v[2:3] offset0:36 offset1:37
	v_dual_mov_b32 v0, v160 :: v_dual_mov_b32 v1, v161
	v_dual_mov_b32 v2, v156 :: v_dual_mov_b32 v3, v157
	;; [unrolled: 3-line block ×5, first 2 shown]
	ds_store_2addr_b64 v40, v[0:1], v[2:3] offset0:44 offset1:45
	ds_store_b64 v40, v[188:189] offset:368
	ds_load_b64 v[0:1], v37
	s_wait_dscnt 0x0
	v_cmp_neq_f32_e32 vcc_lo, 0, v0
	v_cmp_neq_f32_e64 s1, 0, v1
	s_or_b32 s1, vcc_lo, s1
	s_delay_alu instid0(SALU_CYCLE_1)
	s_and_b32 exec_lo, exec_lo, s1
	s_cbranch_execz .LBB93_305
; %bb.300:
	v_cmp_ngt_f32_e64 s1, |v0|, |v1|
                                        ; implicit-def: $vgpr2_vgpr3
	s_and_saveexec_b32 s4, s1
	s_delay_alu instid0(SALU_CYCLE_1)
	s_xor_b32 s1, exec_lo, s4
	s_cbranch_execz .LBB93_302
; %bb.301:
	v_div_scale_f32 v2, null, v1, v1, v0
	v_div_scale_f32 v5, vcc_lo, v0, v1, v0
	s_delay_alu instid0(VALU_DEP_2) | instskip(SKIP_1) | instid1(TRANS32_DEP_1)
	v_rcp_f32_e32 v3, v2
	v_nop
	v_fma_f32 v4, -v2, v3, 1.0
	s_delay_alu instid0(VALU_DEP_1) | instskip(NEXT) | instid1(VALU_DEP_1)
	v_fmac_f32_e32 v3, v4, v3
	v_mul_f32_e32 v4, v5, v3
	s_delay_alu instid0(VALU_DEP_1) | instskip(NEXT) | instid1(VALU_DEP_1)
	v_fma_f32 v6, -v2, v4, v5
	v_fmac_f32_e32 v4, v6, v3
	s_delay_alu instid0(VALU_DEP_1) | instskip(NEXT) | instid1(VALU_DEP_1)
	v_fma_f32 v2, -v2, v4, v5
	v_div_fmas_f32 v2, v2, v3, v4
	s_delay_alu instid0(VALU_DEP_1) | instskip(NEXT) | instid1(VALU_DEP_1)
	v_div_fixup_f32 v2, v2, v1, v0
	v_fmac_f32_e32 v1, v0, v2
	s_delay_alu instid0(VALU_DEP_1) | instskip(SKIP_1) | instid1(VALU_DEP_2)
	v_div_scale_f32 v0, null, v1, v1, 1.0
	v_div_scale_f32 v5, vcc_lo, 1.0, v1, 1.0
	v_rcp_f32_e32 v3, v0
	v_nop
	s_delay_alu instid0(TRANS32_DEP_1) | instskip(NEXT) | instid1(VALU_DEP_1)
	v_fma_f32 v4, -v0, v3, 1.0
	v_fmac_f32_e32 v3, v4, v3
	s_delay_alu instid0(VALU_DEP_1) | instskip(NEXT) | instid1(VALU_DEP_1)
	v_mul_f32_e32 v4, v5, v3
	v_fma_f32 v6, -v0, v4, v5
	s_delay_alu instid0(VALU_DEP_1) | instskip(NEXT) | instid1(VALU_DEP_1)
	v_fmac_f32_e32 v4, v6, v3
	v_fma_f32 v0, -v0, v4, v5
	s_delay_alu instid0(VALU_DEP_1) | instskip(NEXT) | instid1(VALU_DEP_1)
	v_div_fmas_f32 v0, v0, v3, v4
	v_div_fixup_f32 v0, v0, v1, 1.0
	s_delay_alu instid0(VALU_DEP_1)
	v_mul_f32_e32 v2, v2, v0
	v_xor_b32_e32 v3, 0x80000000, v0
                                        ; implicit-def: $vgpr0_vgpr1
.LBB93_302:
	s_and_not1_saveexec_b32 s1, s1
	s_cbranch_execz .LBB93_304
; %bb.303:
	v_div_scale_f32 v2, null, v0, v0, v1
	v_div_scale_f32 v5, vcc_lo, v1, v0, v1
	s_delay_alu instid0(VALU_DEP_2) | instskip(SKIP_1) | instid1(TRANS32_DEP_1)
	v_rcp_f32_e32 v3, v2
	v_nop
	v_fma_f32 v4, -v2, v3, 1.0
	s_delay_alu instid0(VALU_DEP_1) | instskip(NEXT) | instid1(VALU_DEP_1)
	v_fmac_f32_e32 v3, v4, v3
	v_mul_f32_e32 v4, v5, v3
	s_delay_alu instid0(VALU_DEP_1) | instskip(NEXT) | instid1(VALU_DEP_1)
	v_fma_f32 v6, -v2, v4, v5
	v_fmac_f32_e32 v4, v6, v3
	s_delay_alu instid0(VALU_DEP_1) | instskip(NEXT) | instid1(VALU_DEP_1)
	v_fma_f32 v2, -v2, v4, v5
	v_div_fmas_f32 v2, v2, v3, v4
	s_delay_alu instid0(VALU_DEP_1) | instskip(NEXT) | instid1(VALU_DEP_1)
	v_div_fixup_f32 v3, v2, v0, v1
	v_fmac_f32_e32 v0, v1, v3
	s_delay_alu instid0(VALU_DEP_1) | instskip(NEXT) | instid1(VALU_DEP_1)
	v_div_scale_f32 v1, null, v0, v0, 1.0
	v_rcp_f32_e32 v2, v1
	v_nop
	s_delay_alu instid0(TRANS32_DEP_1) | instskip(NEXT) | instid1(VALU_DEP_1)
	v_fma_f32 v4, -v1, v2, 1.0
	v_fmac_f32_e32 v2, v4, v2
	v_div_scale_f32 v4, vcc_lo, 1.0, v0, 1.0
	s_delay_alu instid0(VALU_DEP_1) | instskip(NEXT) | instid1(VALU_DEP_1)
	v_mul_f32_e32 v5, v4, v2
	v_fma_f32 v6, -v1, v5, v4
	s_delay_alu instid0(VALU_DEP_1) | instskip(NEXT) | instid1(VALU_DEP_1)
	v_fmac_f32_e32 v5, v6, v2
	v_fma_f32 v1, -v1, v5, v4
	s_delay_alu instid0(VALU_DEP_1) | instskip(NEXT) | instid1(VALU_DEP_1)
	v_div_fmas_f32 v1, v1, v2, v5
	v_div_fixup_f32 v2, v1, v0, 1.0
	s_delay_alu instid0(VALU_DEP_1)
	v_mul_f32_e64 v3, v3, -v2
.LBB93_304:
	s_or_b32 exec_lo, exec_lo, s1
	ds_store_b64 v37, v[2:3]
.LBB93_305:
	s_or_b32 exec_lo, exec_lo, s2
	s_wait_dscnt 0x0
	s_barrier_signal -1
	s_barrier_wait -1
	ds_load_b64 v[0:1], v37
	s_mov_b32 s1, exec_lo
	v_cmpx_lt_u32_e32 33, v36
	s_cbranch_execz .LBB93_307
; %bb.306:
	ds_load_2addr_b64 v[6:9], v40 offset0:34 offset1:35
	s_wait_dscnt 0x1
	v_pk_mul_f32 v[4:5], v[0:1], v[140:141] op_sel:[1,1] op_sel_hi:[0,1]
	s_delay_alu instid0(VALU_DEP_1) | instskip(SKIP_1) | instid1(VALU_DEP_1)
	v_pk_fma_f32 v[2:3], v[0:1], v[140:141], v[4:5] op_sel_hi:[1,0,1] neg_lo:[0,0,1] neg_hi:[0,0,1]
	v_pk_fma_f32 v[4:5], v[0:1], v[140:141], v[4:5] op_sel_hi:[1,0,1]
	v_dual_mov_b32 v140, v2 :: v_dual_mov_b32 v141, v5
	s_wait_dscnt 0x0
	s_delay_alu instid0(VALU_DEP_2) | instskip(NEXT) | instid1(VALU_DEP_1)
	v_pk_mul_f32 v[10:11], v[6:7], v[4:5] op_sel:[0,1]
	v_pk_fma_f32 v[12:13], v[6:7], v[2:3], v[10:11] op_sel:[0,0,1] op_sel_hi:[1,1,0] neg_lo:[0,0,1] neg_hi:[0,0,1]
	v_pk_fma_f32 v[6:7], v[6:7], v[2:3], v[10:11] op_sel:[0,0,1] op_sel_hi:[1,0,0]
	s_delay_alu instid0(VALU_DEP_1) | instskip(SKIP_1) | instid1(VALU_DEP_1)
	v_mov_b32_e32 v13, v7
	v_pk_mul_f32 v[6:7], v[8:9], v[4:5] op_sel:[0,1]
	v_pk_fma_f32 v[10:11], v[8:9], v[2:3], v[6:7] op_sel:[0,0,1] op_sel_hi:[1,1,0] neg_lo:[0,0,1] neg_hi:[0,0,1]
	v_pk_fma_f32 v[6:7], v[8:9], v[2:3], v[6:7] op_sel:[0,0,1] op_sel_hi:[1,0,0]
	s_delay_alu instid0(VALU_DEP_1)
	v_mov_b32_e32 v11, v7
	ds_load_2addr_b64 v[6:9], v40 offset0:36 offset1:37
	v_pk_add_f32 v[142:143], v[142:143], v[12:13] neg_lo:[0,1] neg_hi:[0,1]
	v_pk_add_f32 v[138:139], v[138:139], v[10:11] neg_lo:[0,1] neg_hi:[0,1]
	s_wait_dscnt 0x0
	v_pk_mul_f32 v[10:11], v[6:7], v[4:5] op_sel:[0,1]
	s_delay_alu instid0(VALU_DEP_1) | instskip(SKIP_2) | instid1(VALU_DEP_2)
	v_pk_fma_f32 v[12:13], v[6:7], v[2:3], v[10:11] op_sel:[0,0,1] op_sel_hi:[1,1,0] neg_lo:[0,0,1] neg_hi:[0,0,1]
	v_pk_fma_f32 v[6:7], v[6:7], v[2:3], v[10:11] op_sel:[0,0,1] op_sel_hi:[1,0,0]
	v_dual_mul_f32 v10, v9, v5 :: v_dual_mov_b32 v6, v9
	v_dual_mov_b32 v13, v7 :: v_dual_mov_b32 v7, v8
	s_delay_alu instid0(VALU_DEP_2) | instskip(SKIP_1) | instid1(VALU_DEP_3)
	v_pk_fma_f32 v[10:11], v[8:9], v[140:141], v[10:11] op_sel_hi:[1,1,0] neg_lo:[0,0,1] neg_hi:[0,0,1]
	v_mul_f32_e32 v8, v9, v2
	v_pk_add_f32 v[162:163], v[162:163], v[12:13] neg_lo:[0,1] neg_hi:[0,1]
	s_delay_alu instid0(VALU_DEP_2) | instskip(NEXT) | instid1(VALU_DEP_1)
	v_pk_fma_f32 v[6:7], v[6:7], v[140:141], v[8:9] op_sel_hi:[1,1,0]
	v_mov_b32_e32 v11, v7
	ds_load_2addr_b64 v[6:9], v40 offset0:38 offset1:39
	v_pk_add_f32 v[158:159], v[158:159], v[10:11] neg_lo:[0,1] neg_hi:[0,1]
	s_wait_dscnt 0x0
	v_pk_mul_f32 v[10:11], v[6:7], v[4:5] op_sel:[0,1]
	s_delay_alu instid0(VALU_DEP_1) | instskip(SKIP_1) | instid1(VALU_DEP_1)
	v_pk_fma_f32 v[12:13], v[6:7], v[2:3], v[10:11] op_sel:[0,0,1] op_sel_hi:[1,1,0] neg_lo:[0,0,1] neg_hi:[0,0,1]
	v_pk_fma_f32 v[6:7], v[6:7], v[2:3], v[10:11] op_sel:[0,0,1] op_sel_hi:[1,0,0]
	v_mov_b32_e32 v13, v7
	v_pk_mul_f32 v[6:7], v[8:9], v[4:5] op_sel:[0,1]
	s_delay_alu instid0(VALU_DEP_1) | instskip(SKIP_1) | instid1(VALU_DEP_1)
	v_pk_fma_f32 v[10:11], v[8:9], v[2:3], v[6:7] op_sel:[0,0,1] op_sel_hi:[1,1,0] neg_lo:[0,0,1] neg_hi:[0,0,1]
	v_pk_fma_f32 v[6:7], v[8:9], v[2:3], v[6:7] op_sel:[0,0,1] op_sel_hi:[1,0,0]
	v_mov_b32_e32 v11, v7
	ds_load_2addr_b64 v[6:9], v40 offset0:40 offset1:41
	v_pk_add_f32 v[160:161], v[160:161], v[12:13] neg_lo:[0,1] neg_hi:[0,1]
	v_pk_add_f32 v[156:157], v[156:157], v[10:11] neg_lo:[0,1] neg_hi:[0,1]
	s_wait_dscnt 0x0
	v_pk_mul_f32 v[10:11], v[6:7], v[4:5] op_sel:[0,1]
	s_delay_alu instid0(VALU_DEP_1) | instskip(SKIP_1) | instid1(VALU_DEP_1)
	v_pk_fma_f32 v[12:13], v[6:7], v[2:3], v[10:11] op_sel:[0,0,1] op_sel_hi:[1,1,0] neg_lo:[0,0,1] neg_hi:[0,0,1]
	v_pk_fma_f32 v[6:7], v[6:7], v[2:3], v[10:11] op_sel:[0,0,1] op_sel_hi:[1,0,0]
	v_mov_b32_e32 v13, v7
	v_pk_mul_f32 v[6:7], v[8:9], v[4:5] op_sel:[0,1]
	s_delay_alu instid0(VALU_DEP_1) | instskip(SKIP_1) | instid1(VALU_DEP_1)
	v_pk_fma_f32 v[10:11], v[8:9], v[2:3], v[6:7] op_sel:[0,0,1] op_sel_hi:[1,1,0] neg_lo:[0,0,1] neg_hi:[0,0,1]
	v_pk_fma_f32 v[6:7], v[8:9], v[2:3], v[6:7] op_sel:[0,0,1] op_sel_hi:[1,0,0]
	v_mov_b32_e32 v11, v7
	ds_load_2addr_b64 v[6:9], v40 offset0:42 offset1:43
	v_pk_add_f32 v[182:183], v[182:183], v[12:13] neg_lo:[0,1] neg_hi:[0,1]
	v_pk_add_f32 v[176:177], v[176:177], v[10:11] neg_lo:[0,1] neg_hi:[0,1]
	s_wait_dscnt 0x0
	v_dual_mul_f32 v10, v7, v5 :: v_dual_mul_f32 v12, v7, v2
	s_delay_alu instid0(VALU_DEP_1) | instskip(NEXT) | instid1(VALU_DEP_2)
	v_pk_fma_f32 v[10:11], v[6:7], v[140:141], v[10:11] op_sel_hi:[1,1,0] neg_lo:[0,0,1] neg_hi:[0,0,1]
	v_pk_fma_f32 v[6:7], v[6:7], v[140:141], v[12:13] op_sel:[1,0,0] op_sel_hi:[0,1,0]
	s_delay_alu instid0(VALU_DEP_1) | instskip(SKIP_1) | instid1(VALU_DEP_2)
	v_mov_b32_e32 v11, v7
	v_pk_mul_f32 v[6:7], v[8:9], v[4:5] op_sel:[0,1]
	v_pk_add_f32 v[180:181], v[180:181], v[10:11] neg_lo:[0,1] neg_hi:[0,1]
	s_delay_alu instid0(VALU_DEP_2) | instskip(SKIP_1) | instid1(VALU_DEP_1)
	v_pk_fma_f32 v[10:11], v[8:9], v[2:3], v[6:7] op_sel:[0,0,1] op_sel_hi:[1,1,0] neg_lo:[0,0,1] neg_hi:[0,0,1]
	v_pk_fma_f32 v[6:7], v[8:9], v[2:3], v[6:7] op_sel:[0,0,1] op_sel_hi:[1,0,0]
	v_mov_b32_e32 v11, v7
	ds_load_2addr_b64 v[6:9], v40 offset0:44 offset1:45
	v_pk_add_f32 v[174:175], v[174:175], v[10:11] neg_lo:[0,1] neg_hi:[0,1]
	s_wait_dscnt 0x0
	v_pk_mul_f32 v[10:11], v[6:7], v[4:5] op_sel:[0,1]
	s_delay_alu instid0(VALU_DEP_1) | instskip(SKIP_1) | instid1(VALU_DEP_1)
	v_pk_fma_f32 v[12:13], v[6:7], v[2:3], v[10:11] op_sel:[0,0,1] op_sel_hi:[1,1,0] neg_lo:[0,0,1] neg_hi:[0,0,1]
	v_pk_fma_f32 v[6:7], v[6:7], v[2:3], v[10:11] op_sel:[0,0,1] op_sel_hi:[1,0,0]
	v_mov_b32_e32 v13, v7
	v_pk_mul_f32 v[6:7], v[8:9], v[4:5] op_sel:[0,1]
	s_delay_alu instid0(VALU_DEP_2) | instskip(NEXT) | instid1(VALU_DEP_2)
	v_pk_add_f32 v[178:179], v[178:179], v[12:13] neg_lo:[0,1] neg_hi:[0,1]
	v_pk_fma_f32 v[10:11], v[8:9], v[2:3], v[6:7] op_sel:[0,0,1] op_sel_hi:[1,1,0] neg_lo:[0,0,1] neg_hi:[0,0,1]
	v_pk_fma_f32 v[6:7], v[8:9], v[2:3], v[6:7] op_sel:[0,0,1] op_sel_hi:[1,0,0]
	s_delay_alu instid0(VALU_DEP_1) | instskip(SKIP_4) | instid1(VALU_DEP_1)
	v_mov_b32_e32 v11, v7
	ds_load_b64 v[6:7], v40 offset:368
	v_pk_add_f32 v[186:187], v[186:187], v[10:11] neg_lo:[0,1] neg_hi:[0,1]
	s_wait_dscnt 0x0
	v_pk_mul_f32 v[4:5], v[6:7], v[4:5] op_sel:[0,1]
	v_pk_fma_f32 v[8:9], v[6:7], v[2:3], v[4:5] op_sel:[0,0,1] op_sel_hi:[1,1,0] neg_lo:[0,0,1] neg_hi:[0,0,1]
	v_pk_fma_f32 v[2:3], v[6:7], v[2:3], v[4:5] op_sel:[0,0,1] op_sel_hi:[1,0,0]
	s_delay_alu instid0(VALU_DEP_1) | instskip(NEXT) | instid1(VALU_DEP_1)
	v_mov_b32_e32 v9, v3
	v_pk_add_f32 v[188:189], v[188:189], v[8:9] neg_lo:[0,1] neg_hi:[0,1]
.LBB93_307:
	s_or_b32 exec_lo, exec_lo, s1
	s_delay_alu instid0(SALU_CYCLE_1)
	s_mov_b32 s2, exec_lo
	s_wait_dscnt 0x0
	s_barrier_signal -1
	s_barrier_wait -1
	v_cmpx_eq_u32_e32 34, v36
	s_cbranch_execz .LBB93_314
; %bb.308:
	ds_store_b64 v37, v[142:143]
	ds_store_2addr_b64 v40, v[138:139], v[162:163] offset0:35 offset1:36
	ds_store_2addr_b64 v40, v[158:159], v[160:161] offset0:37 offset1:38
	;; [unrolled: 1-line block ×6, first 2 shown]
	ds_load_b64 v[2:3], v37
	s_wait_dscnt 0x0
	v_cmp_neq_f32_e32 vcc_lo, 0, v2
	v_cmp_neq_f32_e64 s1, 0, v3
	s_or_b32 s1, vcc_lo, s1
	s_delay_alu instid0(SALU_CYCLE_1)
	s_and_b32 exec_lo, exec_lo, s1
	s_cbranch_execz .LBB93_314
; %bb.309:
	v_cmp_ngt_f32_e64 s1, |v2|, |v3|
                                        ; implicit-def: $vgpr4_vgpr5
	s_and_saveexec_b32 s4, s1
	s_delay_alu instid0(SALU_CYCLE_1)
	s_xor_b32 s1, exec_lo, s4
	s_cbranch_execz .LBB93_311
; %bb.310:
	v_div_scale_f32 v4, null, v3, v3, v2
	v_div_scale_f32 v7, vcc_lo, v2, v3, v2
	s_delay_alu instid0(VALU_DEP_2) | instskip(SKIP_1) | instid1(TRANS32_DEP_1)
	v_rcp_f32_e32 v5, v4
	v_nop
	v_fma_f32 v6, -v4, v5, 1.0
	s_delay_alu instid0(VALU_DEP_1) | instskip(NEXT) | instid1(VALU_DEP_1)
	v_fmac_f32_e32 v5, v6, v5
	v_mul_f32_e32 v6, v7, v5
	s_delay_alu instid0(VALU_DEP_1) | instskip(NEXT) | instid1(VALU_DEP_1)
	v_fma_f32 v8, -v4, v6, v7
	v_fmac_f32_e32 v6, v8, v5
	s_delay_alu instid0(VALU_DEP_1) | instskip(NEXT) | instid1(VALU_DEP_1)
	v_fma_f32 v4, -v4, v6, v7
	v_div_fmas_f32 v4, v4, v5, v6
	s_delay_alu instid0(VALU_DEP_1) | instskip(NEXT) | instid1(VALU_DEP_1)
	v_div_fixup_f32 v4, v4, v3, v2
	v_fmac_f32_e32 v3, v2, v4
	s_delay_alu instid0(VALU_DEP_1) | instskip(SKIP_1) | instid1(VALU_DEP_2)
	v_div_scale_f32 v2, null, v3, v3, 1.0
	v_div_scale_f32 v7, vcc_lo, 1.0, v3, 1.0
	v_rcp_f32_e32 v5, v2
	v_nop
	s_delay_alu instid0(TRANS32_DEP_1) | instskip(NEXT) | instid1(VALU_DEP_1)
	v_fma_f32 v6, -v2, v5, 1.0
	v_fmac_f32_e32 v5, v6, v5
	s_delay_alu instid0(VALU_DEP_1) | instskip(NEXT) | instid1(VALU_DEP_1)
	v_mul_f32_e32 v6, v7, v5
	v_fma_f32 v8, -v2, v6, v7
	s_delay_alu instid0(VALU_DEP_1) | instskip(NEXT) | instid1(VALU_DEP_1)
	v_fmac_f32_e32 v6, v8, v5
	v_fma_f32 v2, -v2, v6, v7
	s_delay_alu instid0(VALU_DEP_1) | instskip(NEXT) | instid1(VALU_DEP_1)
	v_div_fmas_f32 v2, v2, v5, v6
	v_div_fixup_f32 v2, v2, v3, 1.0
	s_delay_alu instid0(VALU_DEP_1)
	v_mul_f32_e32 v4, v4, v2
	v_xor_b32_e32 v5, 0x80000000, v2
                                        ; implicit-def: $vgpr2_vgpr3
.LBB93_311:
	s_and_not1_saveexec_b32 s1, s1
	s_cbranch_execz .LBB93_313
; %bb.312:
	v_div_scale_f32 v4, null, v2, v2, v3
	v_div_scale_f32 v7, vcc_lo, v3, v2, v3
	s_delay_alu instid0(VALU_DEP_2) | instskip(SKIP_1) | instid1(TRANS32_DEP_1)
	v_rcp_f32_e32 v5, v4
	v_nop
	v_fma_f32 v6, -v4, v5, 1.0
	s_delay_alu instid0(VALU_DEP_1) | instskip(NEXT) | instid1(VALU_DEP_1)
	v_fmac_f32_e32 v5, v6, v5
	v_mul_f32_e32 v6, v7, v5
	s_delay_alu instid0(VALU_DEP_1) | instskip(NEXT) | instid1(VALU_DEP_1)
	v_fma_f32 v8, -v4, v6, v7
	v_fmac_f32_e32 v6, v8, v5
	s_delay_alu instid0(VALU_DEP_1) | instskip(NEXT) | instid1(VALU_DEP_1)
	v_fma_f32 v4, -v4, v6, v7
	v_div_fmas_f32 v4, v4, v5, v6
	s_delay_alu instid0(VALU_DEP_1) | instskip(NEXT) | instid1(VALU_DEP_1)
	v_div_fixup_f32 v5, v4, v2, v3
	v_fmac_f32_e32 v2, v3, v5
	s_delay_alu instid0(VALU_DEP_1) | instskip(NEXT) | instid1(VALU_DEP_1)
	v_div_scale_f32 v3, null, v2, v2, 1.0
	v_rcp_f32_e32 v4, v3
	v_nop
	s_delay_alu instid0(TRANS32_DEP_1) | instskip(NEXT) | instid1(VALU_DEP_1)
	v_fma_f32 v6, -v3, v4, 1.0
	v_fmac_f32_e32 v4, v6, v4
	v_div_scale_f32 v6, vcc_lo, 1.0, v2, 1.0
	s_delay_alu instid0(VALU_DEP_1) | instskip(NEXT) | instid1(VALU_DEP_1)
	v_mul_f32_e32 v7, v6, v4
	v_fma_f32 v8, -v3, v7, v6
	s_delay_alu instid0(VALU_DEP_1) | instskip(NEXT) | instid1(VALU_DEP_1)
	v_fmac_f32_e32 v7, v8, v4
	v_fma_f32 v3, -v3, v7, v6
	s_delay_alu instid0(VALU_DEP_1) | instskip(NEXT) | instid1(VALU_DEP_1)
	v_div_fmas_f32 v3, v3, v4, v7
	v_div_fixup_f32 v4, v3, v2, 1.0
	s_delay_alu instid0(VALU_DEP_1)
	v_mul_f32_e64 v5, v5, -v4
.LBB93_313:
	s_or_b32 exec_lo, exec_lo, s1
	ds_store_b64 v37, v[4:5]
.LBB93_314:
	s_or_b32 exec_lo, exec_lo, s2
	s_wait_dscnt 0x0
	s_barrier_signal -1
	s_barrier_wait -1
	ds_load_b64 v[2:3], v37
	s_mov_b32 s1, exec_lo
	v_cmpx_lt_u32_e32 34, v36
	s_cbranch_execz .LBB93_316
; %bb.315:
	ds_load_2addr_b64 v[8:11], v40 offset0:35 offset1:36
	s_wait_dscnt 0x1
	v_pk_mul_f32 v[6:7], v[2:3], v[142:143] op_sel:[1,1] op_sel_hi:[0,1]
	s_delay_alu instid0(VALU_DEP_1) | instskip(SKIP_1) | instid1(VALU_DEP_1)
	v_pk_fma_f32 v[4:5], v[2:3], v[142:143], v[6:7] op_sel_hi:[1,0,1] neg_lo:[0,0,1] neg_hi:[0,0,1]
	v_pk_fma_f32 v[6:7], v[2:3], v[142:143], v[6:7] op_sel_hi:[1,0,1]
	v_dual_mov_b32 v142, v4 :: v_dual_mov_b32 v143, v7
	s_wait_dscnt 0x0
	s_delay_alu instid0(VALU_DEP_2) | instskip(NEXT) | instid1(VALU_DEP_1)
	v_pk_mul_f32 v[12:13], v[8:9], v[6:7] op_sel:[0,1]
	v_pk_fma_f32 v[14:15], v[8:9], v[4:5], v[12:13] op_sel:[0,0,1] op_sel_hi:[1,1,0] neg_lo:[0,0,1] neg_hi:[0,0,1]
	v_pk_fma_f32 v[8:9], v[8:9], v[4:5], v[12:13] op_sel:[0,0,1] op_sel_hi:[1,0,0]
	s_delay_alu instid0(VALU_DEP_1) | instskip(SKIP_1) | instid1(VALU_DEP_1)
	v_mov_b32_e32 v15, v9
	v_pk_mul_f32 v[8:9], v[10:11], v[6:7] op_sel:[0,1]
	v_pk_fma_f32 v[12:13], v[10:11], v[4:5], v[8:9] op_sel:[0,0,1] op_sel_hi:[1,1,0] neg_lo:[0,0,1] neg_hi:[0,0,1]
	v_pk_fma_f32 v[8:9], v[10:11], v[4:5], v[8:9] op_sel:[0,0,1] op_sel_hi:[1,0,0]
	s_delay_alu instid0(VALU_DEP_1)
	v_mov_b32_e32 v13, v9
	ds_load_2addr_b64 v[8:11], v40 offset0:37 offset1:38
	v_pk_add_f32 v[138:139], v[138:139], v[14:15] neg_lo:[0,1] neg_hi:[0,1]
	v_pk_add_f32 v[162:163], v[162:163], v[12:13] neg_lo:[0,1] neg_hi:[0,1]
	s_wait_dscnt 0x0
	v_pk_mul_f32 v[12:13], v[8:9], v[6:7] op_sel:[0,1]
	s_delay_alu instid0(VALU_DEP_1) | instskip(SKIP_2) | instid1(VALU_DEP_2)
	v_pk_fma_f32 v[14:15], v[8:9], v[4:5], v[12:13] op_sel:[0,0,1] op_sel_hi:[1,1,0] neg_lo:[0,0,1] neg_hi:[0,0,1]
	v_pk_fma_f32 v[8:9], v[8:9], v[4:5], v[12:13] op_sel:[0,0,1] op_sel_hi:[1,0,0]
	v_dual_mul_f32 v12, v11, v7 :: v_dual_mov_b32 v8, v11
	v_dual_mov_b32 v15, v9 :: v_dual_mov_b32 v9, v10
	s_delay_alu instid0(VALU_DEP_2) | instskip(SKIP_1) | instid1(VALU_DEP_3)
	v_pk_fma_f32 v[12:13], v[10:11], v[142:143], v[12:13] op_sel_hi:[1,1,0] neg_lo:[0,0,1] neg_hi:[0,0,1]
	v_mul_f32_e32 v10, v11, v4
	v_pk_add_f32 v[158:159], v[158:159], v[14:15] neg_lo:[0,1] neg_hi:[0,1]
	s_delay_alu instid0(VALU_DEP_2) | instskip(NEXT) | instid1(VALU_DEP_1)
	v_pk_fma_f32 v[8:9], v[8:9], v[142:143], v[10:11] op_sel_hi:[1,1,0]
	v_mov_b32_e32 v13, v9
	ds_load_2addr_b64 v[8:11], v40 offset0:39 offset1:40
	v_pk_add_f32 v[160:161], v[160:161], v[12:13] neg_lo:[0,1] neg_hi:[0,1]
	s_wait_dscnt 0x0
	v_pk_mul_f32 v[12:13], v[8:9], v[6:7] op_sel:[0,1]
	s_delay_alu instid0(VALU_DEP_1) | instskip(SKIP_1) | instid1(VALU_DEP_1)
	v_pk_fma_f32 v[14:15], v[8:9], v[4:5], v[12:13] op_sel:[0,0,1] op_sel_hi:[1,1,0] neg_lo:[0,0,1] neg_hi:[0,0,1]
	v_pk_fma_f32 v[8:9], v[8:9], v[4:5], v[12:13] op_sel:[0,0,1] op_sel_hi:[1,0,0]
	v_mov_b32_e32 v15, v9
	v_pk_mul_f32 v[8:9], v[10:11], v[6:7] op_sel:[0,1]
	s_delay_alu instid0(VALU_DEP_1) | instskip(SKIP_1) | instid1(VALU_DEP_1)
	v_pk_fma_f32 v[12:13], v[10:11], v[4:5], v[8:9] op_sel:[0,0,1] op_sel_hi:[1,1,0] neg_lo:[0,0,1] neg_hi:[0,0,1]
	v_pk_fma_f32 v[8:9], v[10:11], v[4:5], v[8:9] op_sel:[0,0,1] op_sel_hi:[1,0,0]
	v_mov_b32_e32 v13, v9
	ds_load_2addr_b64 v[8:11], v40 offset0:41 offset1:42
	v_pk_add_f32 v[156:157], v[156:157], v[14:15] neg_lo:[0,1] neg_hi:[0,1]
	v_pk_add_f32 v[182:183], v[182:183], v[12:13] neg_lo:[0,1] neg_hi:[0,1]
	s_wait_dscnt 0x0
	v_pk_mul_f32 v[12:13], v[8:9], v[6:7] op_sel:[0,1]
	s_delay_alu instid0(VALU_DEP_1) | instskip(SKIP_1) | instid1(VALU_DEP_1)
	v_pk_fma_f32 v[14:15], v[8:9], v[4:5], v[12:13] op_sel:[0,0,1] op_sel_hi:[1,1,0] neg_lo:[0,0,1] neg_hi:[0,0,1]
	v_pk_fma_f32 v[8:9], v[8:9], v[4:5], v[12:13] op_sel:[0,0,1] op_sel_hi:[1,0,0]
	v_mov_b32_e32 v15, v9
	v_pk_mul_f32 v[8:9], v[10:11], v[6:7] op_sel:[0,1]
	s_delay_alu instid0(VALU_DEP_1) | instskip(SKIP_1) | instid1(VALU_DEP_1)
	v_pk_fma_f32 v[12:13], v[10:11], v[4:5], v[8:9] op_sel:[0,0,1] op_sel_hi:[1,1,0] neg_lo:[0,0,1] neg_hi:[0,0,1]
	v_pk_fma_f32 v[8:9], v[10:11], v[4:5], v[8:9] op_sel:[0,0,1] op_sel_hi:[1,0,0]
	v_mov_b32_e32 v13, v9
	ds_load_2addr_b64 v[8:11], v40 offset0:43 offset1:44
	v_pk_add_f32 v[176:177], v[176:177], v[14:15] neg_lo:[0,1] neg_hi:[0,1]
	v_pk_add_f32 v[180:181], v[180:181], v[12:13] neg_lo:[0,1] neg_hi:[0,1]
	s_wait_dscnt 0x0
	v_dual_mul_f32 v12, v9, v7 :: v_dual_mul_f32 v14, v9, v4
	s_delay_alu instid0(VALU_DEP_1) | instskip(NEXT) | instid1(VALU_DEP_2)
	v_pk_fma_f32 v[12:13], v[8:9], v[142:143], v[12:13] op_sel_hi:[1,1,0] neg_lo:[0,0,1] neg_hi:[0,0,1]
	v_pk_fma_f32 v[8:9], v[8:9], v[142:143], v[14:15] op_sel:[1,0,0] op_sel_hi:[0,1,0]
	s_delay_alu instid0(VALU_DEP_1) | instskip(SKIP_1) | instid1(VALU_DEP_2)
	v_mov_b32_e32 v13, v9
	v_pk_mul_f32 v[8:9], v[10:11], v[6:7] op_sel:[0,1]
	v_pk_add_f32 v[174:175], v[174:175], v[12:13] neg_lo:[0,1] neg_hi:[0,1]
	s_delay_alu instid0(VALU_DEP_2) | instskip(SKIP_1) | instid1(VALU_DEP_1)
	v_pk_fma_f32 v[12:13], v[10:11], v[4:5], v[8:9] op_sel:[0,0,1] op_sel_hi:[1,1,0] neg_lo:[0,0,1] neg_hi:[0,0,1]
	v_pk_fma_f32 v[8:9], v[10:11], v[4:5], v[8:9] op_sel:[0,0,1] op_sel_hi:[1,0,0]
	v_mov_b32_e32 v13, v9
	ds_load_2addr_b64 v[8:11], v40 offset0:45 offset1:46
	v_pk_add_f32 v[178:179], v[178:179], v[12:13] neg_lo:[0,1] neg_hi:[0,1]
	s_wait_dscnt 0x0
	v_pk_mul_f32 v[12:13], v[8:9], v[6:7] op_sel:[0,1]
	v_mul_f32_e32 v6, v11, v7
	s_delay_alu instid0(VALU_DEP_2) | instskip(SKIP_2) | instid1(VALU_DEP_4)
	v_pk_fma_f32 v[14:15], v[8:9], v[4:5], v[12:13] op_sel:[0,0,1] op_sel_hi:[1,1,0] neg_lo:[0,0,1] neg_hi:[0,0,1]
	v_pk_fma_f32 v[8:9], v[8:9], v[4:5], v[12:13] op_sel:[0,0,1] op_sel_hi:[1,0,0]
	v_dual_mov_b32 v8, v11 :: v_dual_mul_f32 v4, v11, v4
	v_pk_fma_f32 v[6:7], v[10:11], v[142:143], v[6:7] op_sel_hi:[1,1,0] neg_lo:[0,0,1] neg_hi:[0,0,1]
	s_delay_alu instid0(VALU_DEP_3) | instskip(NEXT) | instid1(VALU_DEP_1)
	v_dual_mov_b32 v15, v9 :: v_dual_mov_b32 v9, v10
	v_pk_add_f32 v[186:187], v[186:187], v[14:15] neg_lo:[0,1] neg_hi:[0,1]
	s_delay_alu instid0(VALU_DEP_2) | instskip(NEXT) | instid1(VALU_DEP_1)
	v_pk_fma_f32 v[4:5], v[8:9], v[142:143], v[4:5] op_sel_hi:[1,1,0]
	v_mov_b32_e32 v7, v5
	s_delay_alu instid0(VALU_DEP_1)
	v_pk_add_f32 v[188:189], v[188:189], v[6:7] neg_lo:[0,1] neg_hi:[0,1]
.LBB93_316:
	s_or_b32 exec_lo, exec_lo, s1
	s_delay_alu instid0(SALU_CYCLE_1)
	s_mov_b32 s2, exec_lo
	s_wait_dscnt 0x0
	s_barrier_signal -1
	s_barrier_wait -1
	v_cmpx_eq_u32_e32 35, v36
	s_cbranch_execz .LBB93_323
; %bb.317:
	v_dual_mov_b32 v4, v162 :: v_dual_mov_b32 v5, v163
	v_dual_mov_b32 v6, v158 :: v_dual_mov_b32 v7, v159
	ds_store_b64 v37, v[138:139]
	ds_store_2addr_b64 v40, v[4:5], v[6:7] offset0:36 offset1:37
	v_dual_mov_b32 v4, v160 :: v_dual_mov_b32 v5, v161
	v_dual_mov_b32 v6, v156 :: v_dual_mov_b32 v7, v157
	ds_store_2addr_b64 v40, v[4:5], v[6:7] offset0:38 offset1:39
	v_dual_mov_b32 v4, v182 :: v_dual_mov_b32 v5, v183
	v_dual_mov_b32 v6, v176 :: v_dual_mov_b32 v7, v177
	;; [unrolled: 3-line block ×4, first 2 shown]
	ds_store_2addr_b64 v40, v[4:5], v[6:7] offset0:44 offset1:45
	ds_store_b64 v40, v[188:189] offset:368
	ds_load_b64 v[4:5], v37
	s_wait_dscnt 0x0
	v_cmp_neq_f32_e32 vcc_lo, 0, v4
	v_cmp_neq_f32_e64 s1, 0, v5
	s_or_b32 s1, vcc_lo, s1
	s_delay_alu instid0(SALU_CYCLE_1)
	s_and_b32 exec_lo, exec_lo, s1
	s_cbranch_execz .LBB93_323
; %bb.318:
	v_cmp_ngt_f32_e64 s1, |v4|, |v5|
                                        ; implicit-def: $vgpr6_vgpr7
	s_and_saveexec_b32 s4, s1
	s_delay_alu instid0(SALU_CYCLE_1)
	s_xor_b32 s1, exec_lo, s4
	s_cbranch_execz .LBB93_320
; %bb.319:
	v_div_scale_f32 v6, null, v5, v5, v4
	v_div_scale_f32 v9, vcc_lo, v4, v5, v4
	s_delay_alu instid0(VALU_DEP_2) | instskip(SKIP_1) | instid1(TRANS32_DEP_1)
	v_rcp_f32_e32 v7, v6
	v_nop
	v_fma_f32 v8, -v6, v7, 1.0
	s_delay_alu instid0(VALU_DEP_1) | instskip(NEXT) | instid1(VALU_DEP_1)
	v_fmac_f32_e32 v7, v8, v7
	v_mul_f32_e32 v8, v9, v7
	s_delay_alu instid0(VALU_DEP_1) | instskip(NEXT) | instid1(VALU_DEP_1)
	v_fma_f32 v10, -v6, v8, v9
	v_fmac_f32_e32 v8, v10, v7
	s_delay_alu instid0(VALU_DEP_1) | instskip(NEXT) | instid1(VALU_DEP_1)
	v_fma_f32 v6, -v6, v8, v9
	v_div_fmas_f32 v6, v6, v7, v8
	s_delay_alu instid0(VALU_DEP_1) | instskip(NEXT) | instid1(VALU_DEP_1)
	v_div_fixup_f32 v6, v6, v5, v4
	v_fmac_f32_e32 v5, v4, v6
	s_delay_alu instid0(VALU_DEP_1) | instskip(SKIP_1) | instid1(VALU_DEP_2)
	v_div_scale_f32 v4, null, v5, v5, 1.0
	v_div_scale_f32 v9, vcc_lo, 1.0, v5, 1.0
	v_rcp_f32_e32 v7, v4
	v_nop
	s_delay_alu instid0(TRANS32_DEP_1) | instskip(NEXT) | instid1(VALU_DEP_1)
	v_fma_f32 v8, -v4, v7, 1.0
	v_fmac_f32_e32 v7, v8, v7
	s_delay_alu instid0(VALU_DEP_1) | instskip(NEXT) | instid1(VALU_DEP_1)
	v_mul_f32_e32 v8, v9, v7
	v_fma_f32 v10, -v4, v8, v9
	s_delay_alu instid0(VALU_DEP_1) | instskip(NEXT) | instid1(VALU_DEP_1)
	v_fmac_f32_e32 v8, v10, v7
	v_fma_f32 v4, -v4, v8, v9
	s_delay_alu instid0(VALU_DEP_1) | instskip(NEXT) | instid1(VALU_DEP_1)
	v_div_fmas_f32 v4, v4, v7, v8
	v_div_fixup_f32 v4, v4, v5, 1.0
	s_delay_alu instid0(VALU_DEP_1)
	v_mul_f32_e32 v6, v6, v4
	v_xor_b32_e32 v7, 0x80000000, v4
                                        ; implicit-def: $vgpr4_vgpr5
.LBB93_320:
	s_and_not1_saveexec_b32 s1, s1
	s_cbranch_execz .LBB93_322
; %bb.321:
	v_div_scale_f32 v6, null, v4, v4, v5
	v_div_scale_f32 v9, vcc_lo, v5, v4, v5
	s_delay_alu instid0(VALU_DEP_2) | instskip(SKIP_1) | instid1(TRANS32_DEP_1)
	v_rcp_f32_e32 v7, v6
	v_nop
	v_fma_f32 v8, -v6, v7, 1.0
	s_delay_alu instid0(VALU_DEP_1) | instskip(NEXT) | instid1(VALU_DEP_1)
	v_fmac_f32_e32 v7, v8, v7
	v_mul_f32_e32 v8, v9, v7
	s_delay_alu instid0(VALU_DEP_1) | instskip(NEXT) | instid1(VALU_DEP_1)
	v_fma_f32 v10, -v6, v8, v9
	v_fmac_f32_e32 v8, v10, v7
	s_delay_alu instid0(VALU_DEP_1) | instskip(NEXT) | instid1(VALU_DEP_1)
	v_fma_f32 v6, -v6, v8, v9
	v_div_fmas_f32 v6, v6, v7, v8
	s_delay_alu instid0(VALU_DEP_1) | instskip(NEXT) | instid1(VALU_DEP_1)
	v_div_fixup_f32 v7, v6, v4, v5
	v_fmac_f32_e32 v4, v5, v7
	s_delay_alu instid0(VALU_DEP_1) | instskip(NEXT) | instid1(VALU_DEP_1)
	v_div_scale_f32 v5, null, v4, v4, 1.0
	v_rcp_f32_e32 v6, v5
	v_nop
	s_delay_alu instid0(TRANS32_DEP_1) | instskip(NEXT) | instid1(VALU_DEP_1)
	v_fma_f32 v8, -v5, v6, 1.0
	v_fmac_f32_e32 v6, v8, v6
	v_div_scale_f32 v8, vcc_lo, 1.0, v4, 1.0
	s_delay_alu instid0(VALU_DEP_1) | instskip(NEXT) | instid1(VALU_DEP_1)
	v_mul_f32_e32 v9, v8, v6
	v_fma_f32 v10, -v5, v9, v8
	s_delay_alu instid0(VALU_DEP_1) | instskip(NEXT) | instid1(VALU_DEP_1)
	v_fmac_f32_e32 v9, v10, v6
	v_fma_f32 v5, -v5, v9, v8
	s_delay_alu instid0(VALU_DEP_1) | instskip(NEXT) | instid1(VALU_DEP_1)
	v_div_fmas_f32 v5, v5, v6, v9
	v_div_fixup_f32 v6, v5, v4, 1.0
	s_delay_alu instid0(VALU_DEP_1)
	v_mul_f32_e64 v7, v7, -v6
.LBB93_322:
	s_or_b32 exec_lo, exec_lo, s1
	ds_store_b64 v37, v[6:7]
.LBB93_323:
	s_or_b32 exec_lo, exec_lo, s2
	s_wait_dscnt 0x0
	s_barrier_signal -1
	s_barrier_wait -1
	ds_load_b64 v[4:5], v37
	s_mov_b32 s1, exec_lo
	v_cmpx_lt_u32_e32 35, v36
	s_cbranch_execz .LBB93_325
; %bb.324:
	ds_load_2addr_b64 v[10:13], v40 offset0:36 offset1:37
	s_wait_dscnt 0x1
	v_pk_mul_f32 v[8:9], v[4:5], v[138:139] op_sel:[1,1] op_sel_hi:[0,1]
	s_delay_alu instid0(VALU_DEP_1) | instskip(SKIP_1) | instid1(VALU_DEP_1)
	v_pk_fma_f32 v[6:7], v[4:5], v[138:139], v[8:9] op_sel_hi:[1,0,1] neg_lo:[0,0,1] neg_hi:[0,0,1]
	v_pk_fma_f32 v[8:9], v[4:5], v[138:139], v[8:9] op_sel_hi:[1,0,1]
	v_dual_mov_b32 v138, v6 :: v_dual_mov_b32 v139, v9
	s_wait_dscnt 0x0
	s_delay_alu instid0(VALU_DEP_2) | instskip(NEXT) | instid1(VALU_DEP_1)
	v_pk_mul_f32 v[14:15], v[10:11], v[8:9] op_sel:[0,1]
	v_pk_fma_f32 v[18:19], v[10:11], v[6:7], v[14:15] op_sel:[0,0,1] op_sel_hi:[1,1,0] neg_lo:[0,0,1] neg_hi:[0,0,1]
	v_pk_fma_f32 v[10:11], v[10:11], v[6:7], v[14:15] op_sel:[0,0,1] op_sel_hi:[1,0,0]
	s_delay_alu instid0(VALU_DEP_1) | instskip(SKIP_1) | instid1(VALU_DEP_1)
	v_mov_b32_e32 v19, v11
	v_pk_mul_f32 v[10:11], v[12:13], v[8:9] op_sel:[0,1]
	v_pk_fma_f32 v[14:15], v[12:13], v[6:7], v[10:11] op_sel:[0,0,1] op_sel_hi:[1,1,0] neg_lo:[0,0,1] neg_hi:[0,0,1]
	v_pk_fma_f32 v[10:11], v[12:13], v[6:7], v[10:11] op_sel:[0,0,1] op_sel_hi:[1,0,0]
	s_delay_alu instid0(VALU_DEP_1)
	v_mov_b32_e32 v15, v11
	ds_load_2addr_b64 v[10:13], v40 offset0:38 offset1:39
	v_pk_add_f32 v[162:163], v[162:163], v[18:19] neg_lo:[0,1] neg_hi:[0,1]
	v_pk_add_f32 v[158:159], v[158:159], v[14:15] neg_lo:[0,1] neg_hi:[0,1]
	s_wait_dscnt 0x0
	v_pk_mul_f32 v[14:15], v[10:11], v[8:9] op_sel:[0,1]
	s_delay_alu instid0(VALU_DEP_1) | instskip(SKIP_2) | instid1(VALU_DEP_2)
	v_pk_fma_f32 v[18:19], v[10:11], v[6:7], v[14:15] op_sel:[0,0,1] op_sel_hi:[1,1,0] neg_lo:[0,0,1] neg_hi:[0,0,1]
	v_pk_fma_f32 v[10:11], v[10:11], v[6:7], v[14:15] op_sel:[0,0,1] op_sel_hi:[1,0,0]
	v_dual_mul_f32 v14, v13, v9 :: v_dual_mov_b32 v10, v13
	v_dual_mov_b32 v19, v11 :: v_dual_mov_b32 v11, v12
	s_delay_alu instid0(VALU_DEP_2) | instskip(SKIP_1) | instid1(VALU_DEP_3)
	v_pk_fma_f32 v[14:15], v[12:13], v[138:139], v[14:15] op_sel_hi:[1,1,0] neg_lo:[0,0,1] neg_hi:[0,0,1]
	v_mul_f32_e32 v12, v13, v6
	v_pk_add_f32 v[160:161], v[160:161], v[18:19] neg_lo:[0,1] neg_hi:[0,1]
	s_delay_alu instid0(VALU_DEP_2) | instskip(NEXT) | instid1(VALU_DEP_1)
	v_pk_fma_f32 v[10:11], v[10:11], v[138:139], v[12:13] op_sel_hi:[1,1,0]
	v_mov_b32_e32 v15, v11
	ds_load_2addr_b64 v[10:13], v40 offset0:40 offset1:41
	v_pk_add_f32 v[156:157], v[156:157], v[14:15] neg_lo:[0,1] neg_hi:[0,1]
	s_wait_dscnt 0x0
	v_pk_mul_f32 v[14:15], v[10:11], v[8:9] op_sel:[0,1]
	s_delay_alu instid0(VALU_DEP_1) | instskip(SKIP_1) | instid1(VALU_DEP_1)
	v_pk_fma_f32 v[18:19], v[10:11], v[6:7], v[14:15] op_sel:[0,0,1] op_sel_hi:[1,1,0] neg_lo:[0,0,1] neg_hi:[0,0,1]
	v_pk_fma_f32 v[10:11], v[10:11], v[6:7], v[14:15] op_sel:[0,0,1] op_sel_hi:[1,0,0]
	v_mov_b32_e32 v19, v11
	v_pk_mul_f32 v[10:11], v[12:13], v[8:9] op_sel:[0,1]
	s_delay_alu instid0(VALU_DEP_1) | instskip(SKIP_1) | instid1(VALU_DEP_1)
	v_pk_fma_f32 v[14:15], v[12:13], v[6:7], v[10:11] op_sel:[0,0,1] op_sel_hi:[1,1,0] neg_lo:[0,0,1] neg_hi:[0,0,1]
	v_pk_fma_f32 v[10:11], v[12:13], v[6:7], v[10:11] op_sel:[0,0,1] op_sel_hi:[1,0,0]
	v_mov_b32_e32 v15, v11
	ds_load_2addr_b64 v[10:13], v40 offset0:42 offset1:43
	v_pk_add_f32 v[182:183], v[182:183], v[18:19] neg_lo:[0,1] neg_hi:[0,1]
	v_pk_add_f32 v[176:177], v[176:177], v[14:15] neg_lo:[0,1] neg_hi:[0,1]
	s_wait_dscnt 0x0
	v_pk_mul_f32 v[14:15], v[10:11], v[8:9] op_sel:[0,1]
	s_delay_alu instid0(VALU_DEP_1) | instskip(SKIP_1) | instid1(VALU_DEP_1)
	v_pk_fma_f32 v[18:19], v[10:11], v[6:7], v[14:15] op_sel:[0,0,1] op_sel_hi:[1,1,0] neg_lo:[0,0,1] neg_hi:[0,0,1]
	v_pk_fma_f32 v[10:11], v[10:11], v[6:7], v[14:15] op_sel:[0,0,1] op_sel_hi:[1,0,0]
	v_mov_b32_e32 v19, v11
	v_pk_mul_f32 v[10:11], v[12:13], v[8:9] op_sel:[0,1]
	s_delay_alu instid0(VALU_DEP_1) | instskip(SKIP_1) | instid1(VALU_DEP_1)
	v_pk_fma_f32 v[14:15], v[12:13], v[6:7], v[10:11] op_sel:[0,0,1] op_sel_hi:[1,1,0] neg_lo:[0,0,1] neg_hi:[0,0,1]
	v_pk_fma_f32 v[10:11], v[12:13], v[6:7], v[10:11] op_sel:[0,0,1] op_sel_hi:[1,0,0]
	v_mov_b32_e32 v15, v11
	ds_load_2addr_b64 v[10:13], v40 offset0:44 offset1:45
	v_pk_add_f32 v[180:181], v[180:181], v[18:19] neg_lo:[0,1] neg_hi:[0,1]
	v_pk_add_f32 v[174:175], v[174:175], v[14:15] neg_lo:[0,1] neg_hi:[0,1]
	s_wait_dscnt 0x0
	v_dual_mul_f32 v14, v11, v9 :: v_dual_mul_f32 v18, v11, v6
	s_delay_alu instid0(VALU_DEP_1) | instskip(NEXT) | instid1(VALU_DEP_2)
	v_pk_fma_f32 v[14:15], v[10:11], v[138:139], v[14:15] op_sel_hi:[1,1,0] neg_lo:[0,0,1] neg_hi:[0,0,1]
	v_pk_fma_f32 v[10:11], v[10:11], v[138:139], v[18:19] op_sel:[1,0,0] op_sel_hi:[0,1,0]
	s_delay_alu instid0(VALU_DEP_1) | instskip(SKIP_1) | instid1(VALU_DEP_2)
	v_mov_b32_e32 v15, v11
	v_pk_mul_f32 v[10:11], v[12:13], v[8:9] op_sel:[0,1]
	v_pk_add_f32 v[178:179], v[178:179], v[14:15] neg_lo:[0,1] neg_hi:[0,1]
	s_delay_alu instid0(VALU_DEP_2) | instskip(SKIP_1) | instid1(VALU_DEP_1)
	v_pk_fma_f32 v[14:15], v[12:13], v[6:7], v[10:11] op_sel:[0,0,1] op_sel_hi:[1,1,0] neg_lo:[0,0,1] neg_hi:[0,0,1]
	v_pk_fma_f32 v[10:11], v[12:13], v[6:7], v[10:11] op_sel:[0,0,1] op_sel_hi:[1,0,0]
	v_mov_b32_e32 v15, v11
	ds_load_b64 v[10:11], v40 offset:368
	v_pk_add_f32 v[186:187], v[186:187], v[14:15] neg_lo:[0,1] neg_hi:[0,1]
	s_wait_dscnt 0x0
	v_pk_mul_f32 v[8:9], v[10:11], v[8:9] op_sel:[0,1]
	s_delay_alu instid0(VALU_DEP_1) | instskip(SKIP_1) | instid1(VALU_DEP_1)
	v_pk_fma_f32 v[12:13], v[10:11], v[6:7], v[8:9] op_sel:[0,0,1] op_sel_hi:[1,1,0] neg_lo:[0,0,1] neg_hi:[0,0,1]
	v_pk_fma_f32 v[6:7], v[10:11], v[6:7], v[8:9] op_sel:[0,0,1] op_sel_hi:[1,0,0]
	v_mov_b32_e32 v13, v7
	s_delay_alu instid0(VALU_DEP_1)
	v_pk_add_f32 v[188:189], v[188:189], v[12:13] neg_lo:[0,1] neg_hi:[0,1]
.LBB93_325:
	s_or_b32 exec_lo, exec_lo, s1
	s_delay_alu instid0(SALU_CYCLE_1)
	s_mov_b32 s2, exec_lo
	s_wait_dscnt 0x0
	s_barrier_signal -1
	s_barrier_wait -1
	v_cmpx_eq_u32_e32 36, v36
	s_cbranch_execz .LBB93_332
; %bb.326:
	ds_store_b64 v37, v[162:163]
	ds_store_2addr_b64 v40, v[158:159], v[160:161] offset0:37 offset1:38
	ds_store_2addr_b64 v40, v[156:157], v[182:183] offset0:39 offset1:40
	;; [unrolled: 1-line block ×5, first 2 shown]
	ds_load_b64 v[6:7], v37
	s_wait_dscnt 0x0
	v_cmp_neq_f32_e32 vcc_lo, 0, v6
	v_cmp_neq_f32_e64 s1, 0, v7
	s_or_b32 s1, vcc_lo, s1
	s_delay_alu instid0(SALU_CYCLE_1)
	s_and_b32 exec_lo, exec_lo, s1
	s_cbranch_execz .LBB93_332
; %bb.327:
	v_cmp_ngt_f32_e64 s1, |v6|, |v7|
                                        ; implicit-def: $vgpr8_vgpr9
	s_and_saveexec_b32 s4, s1
	s_delay_alu instid0(SALU_CYCLE_1)
	s_xor_b32 s1, exec_lo, s4
	s_cbranch_execz .LBB93_329
; %bb.328:
	v_div_scale_f32 v8, null, v7, v7, v6
	v_div_scale_f32 v11, vcc_lo, v6, v7, v6
	s_delay_alu instid0(VALU_DEP_2) | instskip(SKIP_1) | instid1(TRANS32_DEP_1)
	v_rcp_f32_e32 v9, v8
	v_nop
	v_fma_f32 v10, -v8, v9, 1.0
	s_delay_alu instid0(VALU_DEP_1) | instskip(NEXT) | instid1(VALU_DEP_1)
	v_fmac_f32_e32 v9, v10, v9
	v_mul_f32_e32 v10, v11, v9
	s_delay_alu instid0(VALU_DEP_1) | instskip(NEXT) | instid1(VALU_DEP_1)
	v_fma_f32 v12, -v8, v10, v11
	v_fmac_f32_e32 v10, v12, v9
	s_delay_alu instid0(VALU_DEP_1) | instskip(NEXT) | instid1(VALU_DEP_1)
	v_fma_f32 v8, -v8, v10, v11
	v_div_fmas_f32 v8, v8, v9, v10
	s_delay_alu instid0(VALU_DEP_1) | instskip(NEXT) | instid1(VALU_DEP_1)
	v_div_fixup_f32 v8, v8, v7, v6
	v_fmac_f32_e32 v7, v6, v8
	s_delay_alu instid0(VALU_DEP_1) | instskip(SKIP_1) | instid1(VALU_DEP_2)
	v_div_scale_f32 v6, null, v7, v7, 1.0
	v_div_scale_f32 v11, vcc_lo, 1.0, v7, 1.0
	v_rcp_f32_e32 v9, v6
	v_nop
	s_delay_alu instid0(TRANS32_DEP_1) | instskip(NEXT) | instid1(VALU_DEP_1)
	v_fma_f32 v10, -v6, v9, 1.0
	v_fmac_f32_e32 v9, v10, v9
	s_delay_alu instid0(VALU_DEP_1) | instskip(NEXT) | instid1(VALU_DEP_1)
	v_mul_f32_e32 v10, v11, v9
	v_fma_f32 v12, -v6, v10, v11
	s_delay_alu instid0(VALU_DEP_1) | instskip(NEXT) | instid1(VALU_DEP_1)
	v_fmac_f32_e32 v10, v12, v9
	v_fma_f32 v6, -v6, v10, v11
	s_delay_alu instid0(VALU_DEP_1) | instskip(NEXT) | instid1(VALU_DEP_1)
	v_div_fmas_f32 v6, v6, v9, v10
	v_div_fixup_f32 v6, v6, v7, 1.0
	s_delay_alu instid0(VALU_DEP_1)
	v_mul_f32_e32 v8, v8, v6
	v_xor_b32_e32 v9, 0x80000000, v6
                                        ; implicit-def: $vgpr6_vgpr7
.LBB93_329:
	s_and_not1_saveexec_b32 s1, s1
	s_cbranch_execz .LBB93_331
; %bb.330:
	v_div_scale_f32 v8, null, v6, v6, v7
	v_div_scale_f32 v11, vcc_lo, v7, v6, v7
	s_delay_alu instid0(VALU_DEP_2) | instskip(SKIP_1) | instid1(TRANS32_DEP_1)
	v_rcp_f32_e32 v9, v8
	v_nop
	v_fma_f32 v10, -v8, v9, 1.0
	s_delay_alu instid0(VALU_DEP_1) | instskip(NEXT) | instid1(VALU_DEP_1)
	v_fmac_f32_e32 v9, v10, v9
	v_mul_f32_e32 v10, v11, v9
	s_delay_alu instid0(VALU_DEP_1) | instskip(NEXT) | instid1(VALU_DEP_1)
	v_fma_f32 v12, -v8, v10, v11
	v_fmac_f32_e32 v10, v12, v9
	s_delay_alu instid0(VALU_DEP_1) | instskip(NEXT) | instid1(VALU_DEP_1)
	v_fma_f32 v8, -v8, v10, v11
	v_div_fmas_f32 v8, v8, v9, v10
	s_delay_alu instid0(VALU_DEP_1) | instskip(NEXT) | instid1(VALU_DEP_1)
	v_div_fixup_f32 v9, v8, v6, v7
	v_fmac_f32_e32 v6, v7, v9
	s_delay_alu instid0(VALU_DEP_1) | instskip(NEXT) | instid1(VALU_DEP_1)
	v_div_scale_f32 v7, null, v6, v6, 1.0
	v_rcp_f32_e32 v8, v7
	v_nop
	s_delay_alu instid0(TRANS32_DEP_1) | instskip(NEXT) | instid1(VALU_DEP_1)
	v_fma_f32 v10, -v7, v8, 1.0
	v_fmac_f32_e32 v8, v10, v8
	v_div_scale_f32 v10, vcc_lo, 1.0, v6, 1.0
	s_delay_alu instid0(VALU_DEP_1) | instskip(NEXT) | instid1(VALU_DEP_1)
	v_mul_f32_e32 v11, v10, v8
	v_fma_f32 v12, -v7, v11, v10
	s_delay_alu instid0(VALU_DEP_1) | instskip(NEXT) | instid1(VALU_DEP_1)
	v_fmac_f32_e32 v11, v12, v8
	v_fma_f32 v7, -v7, v11, v10
	s_delay_alu instid0(VALU_DEP_1) | instskip(NEXT) | instid1(VALU_DEP_1)
	v_div_fmas_f32 v7, v7, v8, v11
	v_div_fixup_f32 v8, v7, v6, 1.0
	s_delay_alu instid0(VALU_DEP_1)
	v_mul_f32_e64 v9, v9, -v8
.LBB93_331:
	s_or_b32 exec_lo, exec_lo, s1
	ds_store_b64 v37, v[8:9]
.LBB93_332:
	s_or_b32 exec_lo, exec_lo, s2
	s_wait_dscnt 0x0
	s_barrier_signal -1
	s_barrier_wait -1
	ds_load_b64 v[6:7], v37
	s_mov_b32 s1, exec_lo
	v_cmpx_lt_u32_e32 36, v36
	s_cbranch_execz .LBB93_334
; %bb.333:
	ds_load_2addr_b64 v[12:15], v40 offset0:37 offset1:38
	s_wait_dscnt 0x1
	v_pk_mul_f32 v[10:11], v[6:7], v[162:163] op_sel:[1,1] op_sel_hi:[0,1]
	s_delay_alu instid0(VALU_DEP_1) | instskip(SKIP_1) | instid1(VALU_DEP_1)
	v_pk_fma_f32 v[8:9], v[6:7], v[162:163], v[10:11] op_sel_hi:[1,0,1] neg_lo:[0,0,1] neg_hi:[0,0,1]
	v_pk_fma_f32 v[10:11], v[6:7], v[162:163], v[10:11] op_sel_hi:[1,0,1]
	v_dual_mov_b32 v162, v8 :: v_dual_mov_b32 v163, v11
	s_wait_dscnt 0x0
	s_delay_alu instid0(VALU_DEP_2) | instskip(NEXT) | instid1(VALU_DEP_1)
	v_pk_mul_f32 v[18:19], v[12:13], v[10:11] op_sel:[0,1]
	v_pk_fma_f32 v[20:21], v[12:13], v[8:9], v[18:19] op_sel:[0,0,1] op_sel_hi:[1,1,0] neg_lo:[0,0,1] neg_hi:[0,0,1]
	v_pk_fma_f32 v[12:13], v[12:13], v[8:9], v[18:19] op_sel:[0,0,1] op_sel_hi:[1,0,0]
	s_delay_alu instid0(VALU_DEP_1) | instskip(SKIP_1) | instid1(VALU_DEP_1)
	v_mov_b32_e32 v21, v13
	v_pk_mul_f32 v[12:13], v[14:15], v[10:11] op_sel:[0,1]
	v_pk_fma_f32 v[18:19], v[14:15], v[8:9], v[12:13] op_sel:[0,0,1] op_sel_hi:[1,1,0] neg_lo:[0,0,1] neg_hi:[0,0,1]
	v_pk_fma_f32 v[12:13], v[14:15], v[8:9], v[12:13] op_sel:[0,0,1] op_sel_hi:[1,0,0]
	s_delay_alu instid0(VALU_DEP_1)
	v_mov_b32_e32 v19, v13
	ds_load_2addr_b64 v[12:15], v40 offset0:39 offset1:40
	v_pk_add_f32 v[158:159], v[158:159], v[20:21] neg_lo:[0,1] neg_hi:[0,1]
	v_pk_add_f32 v[160:161], v[160:161], v[18:19] neg_lo:[0,1] neg_hi:[0,1]
	s_wait_dscnt 0x0
	v_pk_mul_f32 v[18:19], v[12:13], v[10:11] op_sel:[0,1]
	s_delay_alu instid0(VALU_DEP_1) | instskip(SKIP_2) | instid1(VALU_DEP_2)
	v_pk_fma_f32 v[20:21], v[12:13], v[8:9], v[18:19] op_sel:[0,0,1] op_sel_hi:[1,1,0] neg_lo:[0,0,1] neg_hi:[0,0,1]
	v_pk_fma_f32 v[12:13], v[12:13], v[8:9], v[18:19] op_sel:[0,0,1] op_sel_hi:[1,0,0]
	v_dual_mul_f32 v18, v15, v11 :: v_dual_mov_b32 v12, v15
	v_dual_mov_b32 v21, v13 :: v_dual_mov_b32 v13, v14
	s_delay_alu instid0(VALU_DEP_2) | instskip(SKIP_1) | instid1(VALU_DEP_3)
	v_pk_fma_f32 v[18:19], v[14:15], v[162:163], v[18:19] op_sel_hi:[1,1,0] neg_lo:[0,0,1] neg_hi:[0,0,1]
	v_mul_f32_e32 v14, v15, v8
	v_pk_add_f32 v[156:157], v[156:157], v[20:21] neg_lo:[0,1] neg_hi:[0,1]
	s_delay_alu instid0(VALU_DEP_2) | instskip(NEXT) | instid1(VALU_DEP_1)
	v_pk_fma_f32 v[12:13], v[12:13], v[162:163], v[14:15] op_sel_hi:[1,1,0]
	v_mov_b32_e32 v19, v13
	ds_load_2addr_b64 v[12:15], v40 offset0:41 offset1:42
	v_pk_add_f32 v[182:183], v[182:183], v[18:19] neg_lo:[0,1] neg_hi:[0,1]
	s_wait_dscnt 0x0
	v_pk_mul_f32 v[18:19], v[12:13], v[10:11] op_sel:[0,1]
	s_delay_alu instid0(VALU_DEP_1) | instskip(SKIP_1) | instid1(VALU_DEP_1)
	v_pk_fma_f32 v[20:21], v[12:13], v[8:9], v[18:19] op_sel:[0,0,1] op_sel_hi:[1,1,0] neg_lo:[0,0,1] neg_hi:[0,0,1]
	v_pk_fma_f32 v[12:13], v[12:13], v[8:9], v[18:19] op_sel:[0,0,1] op_sel_hi:[1,0,0]
	v_mov_b32_e32 v21, v13
	v_pk_mul_f32 v[12:13], v[14:15], v[10:11] op_sel:[0,1]
	s_delay_alu instid0(VALU_DEP_1) | instskip(SKIP_1) | instid1(VALU_DEP_1)
	v_pk_fma_f32 v[18:19], v[14:15], v[8:9], v[12:13] op_sel:[0,0,1] op_sel_hi:[1,1,0] neg_lo:[0,0,1] neg_hi:[0,0,1]
	v_pk_fma_f32 v[12:13], v[14:15], v[8:9], v[12:13] op_sel:[0,0,1] op_sel_hi:[1,0,0]
	v_mov_b32_e32 v19, v13
	ds_load_2addr_b64 v[12:15], v40 offset0:43 offset1:44
	v_pk_add_f32 v[176:177], v[176:177], v[20:21] neg_lo:[0,1] neg_hi:[0,1]
	v_pk_add_f32 v[180:181], v[180:181], v[18:19] neg_lo:[0,1] neg_hi:[0,1]
	s_wait_dscnt 0x0
	v_pk_mul_f32 v[18:19], v[12:13], v[10:11] op_sel:[0,1]
	s_delay_alu instid0(VALU_DEP_1) | instskip(SKIP_1) | instid1(VALU_DEP_1)
	v_pk_fma_f32 v[20:21], v[12:13], v[8:9], v[18:19] op_sel:[0,0,1] op_sel_hi:[1,1,0] neg_lo:[0,0,1] neg_hi:[0,0,1]
	v_pk_fma_f32 v[12:13], v[12:13], v[8:9], v[18:19] op_sel:[0,0,1] op_sel_hi:[1,0,0]
	v_mov_b32_e32 v21, v13
	v_pk_mul_f32 v[12:13], v[14:15], v[10:11] op_sel:[0,1]
	s_delay_alu instid0(VALU_DEP_1) | instskip(SKIP_1) | instid1(VALU_DEP_1)
	v_pk_fma_f32 v[18:19], v[14:15], v[8:9], v[12:13] op_sel:[0,0,1] op_sel_hi:[1,1,0] neg_lo:[0,0,1] neg_hi:[0,0,1]
	v_pk_fma_f32 v[12:13], v[14:15], v[8:9], v[12:13] op_sel:[0,0,1] op_sel_hi:[1,0,0]
	v_mov_b32_e32 v19, v13
	ds_load_2addr_b64 v[12:15], v40 offset0:45 offset1:46
	v_pk_add_f32 v[174:175], v[174:175], v[20:21] neg_lo:[0,1] neg_hi:[0,1]
	v_pk_add_f32 v[178:179], v[178:179], v[18:19] neg_lo:[0,1] neg_hi:[0,1]
	s_wait_dscnt 0x0
	v_dual_mul_f32 v18, v13, v11 :: v_dual_mul_f32 v20, v13, v8
	v_pk_mul_f32 v[10:11], v[14:15], v[10:11] op_sel:[0,1]
	s_delay_alu instid0(VALU_DEP_2) | instskip(NEXT) | instid1(VALU_DEP_3)
	v_pk_fma_f32 v[18:19], v[12:13], v[162:163], v[18:19] op_sel_hi:[1,1,0] neg_lo:[0,0,1] neg_hi:[0,0,1]
	v_pk_fma_f32 v[12:13], v[12:13], v[162:163], v[20:21] op_sel:[1,0,0] op_sel_hi:[0,1,0]
	s_delay_alu instid0(VALU_DEP_1) | instskip(NEXT) | instid1(VALU_DEP_4)
	v_mov_b32_e32 v19, v13
	v_pk_fma_f32 v[12:13], v[14:15], v[8:9], v[10:11] op_sel:[0,0,1] op_sel_hi:[1,1,0] neg_lo:[0,0,1] neg_hi:[0,0,1]
	v_pk_fma_f32 v[8:9], v[14:15], v[8:9], v[10:11] op_sel:[0,0,1] op_sel_hi:[1,0,0]
	s_delay_alu instid0(VALU_DEP_1) | instskip(NEXT) | instid1(VALU_DEP_4)
	v_mov_b32_e32 v13, v9
	v_pk_add_f32 v[186:187], v[186:187], v[18:19] neg_lo:[0,1] neg_hi:[0,1]
	s_delay_alu instid0(VALU_DEP_2)
	v_pk_add_f32 v[188:189], v[188:189], v[12:13] neg_lo:[0,1] neg_hi:[0,1]
.LBB93_334:
	s_or_b32 exec_lo, exec_lo, s1
	s_delay_alu instid0(SALU_CYCLE_1)
	s_mov_b32 s2, exec_lo
	s_wait_dscnt 0x0
	s_barrier_signal -1
	s_barrier_wait -1
	v_cmpx_eq_u32_e32 37, v36
	s_cbranch_execz .LBB93_341
; %bb.335:
	v_dual_mov_b32 v8, v160 :: v_dual_mov_b32 v9, v161
	v_dual_mov_b32 v10, v156 :: v_dual_mov_b32 v11, v157
	ds_store_b64 v37, v[158:159]
	ds_store_2addr_b64 v40, v[8:9], v[10:11] offset0:38 offset1:39
	v_dual_mov_b32 v8, v182 :: v_dual_mov_b32 v9, v183
	v_dual_mov_b32 v10, v176 :: v_dual_mov_b32 v11, v177
	ds_store_2addr_b64 v40, v[8:9], v[10:11] offset0:40 offset1:41
	v_dual_mov_b32 v8, v180 :: v_dual_mov_b32 v9, v181
	v_dual_mov_b32 v10, v174 :: v_dual_mov_b32 v11, v175
	;; [unrolled: 3-line block ×3, first 2 shown]
	ds_store_2addr_b64 v40, v[8:9], v[10:11] offset0:44 offset1:45
	ds_store_b64 v40, v[188:189] offset:368
	ds_load_b64 v[8:9], v37
	s_wait_dscnt 0x0
	v_cmp_neq_f32_e32 vcc_lo, 0, v8
	v_cmp_neq_f32_e64 s1, 0, v9
	s_or_b32 s1, vcc_lo, s1
	s_delay_alu instid0(SALU_CYCLE_1)
	s_and_b32 exec_lo, exec_lo, s1
	s_cbranch_execz .LBB93_341
; %bb.336:
	v_cmp_ngt_f32_e64 s1, |v8|, |v9|
                                        ; implicit-def: $vgpr10_vgpr11
	s_and_saveexec_b32 s4, s1
	s_delay_alu instid0(SALU_CYCLE_1)
	s_xor_b32 s1, exec_lo, s4
	s_cbranch_execz .LBB93_338
; %bb.337:
	v_div_scale_f32 v10, null, v9, v9, v8
	v_div_scale_f32 v13, vcc_lo, v8, v9, v8
	s_delay_alu instid0(VALU_DEP_2) | instskip(SKIP_1) | instid1(TRANS32_DEP_1)
	v_rcp_f32_e32 v11, v10
	v_nop
	v_fma_f32 v12, -v10, v11, 1.0
	s_delay_alu instid0(VALU_DEP_1) | instskip(NEXT) | instid1(VALU_DEP_1)
	v_fmac_f32_e32 v11, v12, v11
	v_mul_f32_e32 v12, v13, v11
	s_delay_alu instid0(VALU_DEP_1) | instskip(NEXT) | instid1(VALU_DEP_1)
	v_fma_f32 v14, -v10, v12, v13
	v_fmac_f32_e32 v12, v14, v11
	s_delay_alu instid0(VALU_DEP_1) | instskip(NEXT) | instid1(VALU_DEP_1)
	v_fma_f32 v10, -v10, v12, v13
	v_div_fmas_f32 v10, v10, v11, v12
	s_delay_alu instid0(VALU_DEP_1) | instskip(NEXT) | instid1(VALU_DEP_1)
	v_div_fixup_f32 v10, v10, v9, v8
	v_fmac_f32_e32 v9, v8, v10
	s_delay_alu instid0(VALU_DEP_1) | instskip(SKIP_1) | instid1(VALU_DEP_2)
	v_div_scale_f32 v8, null, v9, v9, 1.0
	v_div_scale_f32 v13, vcc_lo, 1.0, v9, 1.0
	v_rcp_f32_e32 v11, v8
	v_nop
	s_delay_alu instid0(TRANS32_DEP_1) | instskip(NEXT) | instid1(VALU_DEP_1)
	v_fma_f32 v12, -v8, v11, 1.0
	v_fmac_f32_e32 v11, v12, v11
	s_delay_alu instid0(VALU_DEP_1) | instskip(NEXT) | instid1(VALU_DEP_1)
	v_mul_f32_e32 v12, v13, v11
	v_fma_f32 v14, -v8, v12, v13
	s_delay_alu instid0(VALU_DEP_1) | instskip(NEXT) | instid1(VALU_DEP_1)
	v_fmac_f32_e32 v12, v14, v11
	v_fma_f32 v8, -v8, v12, v13
	s_delay_alu instid0(VALU_DEP_1) | instskip(NEXT) | instid1(VALU_DEP_1)
	v_div_fmas_f32 v8, v8, v11, v12
	v_div_fixup_f32 v8, v8, v9, 1.0
	s_delay_alu instid0(VALU_DEP_1)
	v_mul_f32_e32 v10, v10, v8
	v_xor_b32_e32 v11, 0x80000000, v8
                                        ; implicit-def: $vgpr8_vgpr9
.LBB93_338:
	s_and_not1_saveexec_b32 s1, s1
	s_cbranch_execz .LBB93_340
; %bb.339:
	v_div_scale_f32 v10, null, v8, v8, v9
	v_div_scale_f32 v13, vcc_lo, v9, v8, v9
	s_delay_alu instid0(VALU_DEP_2) | instskip(SKIP_1) | instid1(TRANS32_DEP_1)
	v_rcp_f32_e32 v11, v10
	v_nop
	v_fma_f32 v12, -v10, v11, 1.0
	s_delay_alu instid0(VALU_DEP_1) | instskip(NEXT) | instid1(VALU_DEP_1)
	v_fmac_f32_e32 v11, v12, v11
	v_mul_f32_e32 v12, v13, v11
	s_delay_alu instid0(VALU_DEP_1) | instskip(NEXT) | instid1(VALU_DEP_1)
	v_fma_f32 v14, -v10, v12, v13
	v_fmac_f32_e32 v12, v14, v11
	s_delay_alu instid0(VALU_DEP_1) | instskip(NEXT) | instid1(VALU_DEP_1)
	v_fma_f32 v10, -v10, v12, v13
	v_div_fmas_f32 v10, v10, v11, v12
	s_delay_alu instid0(VALU_DEP_1) | instskip(NEXT) | instid1(VALU_DEP_1)
	v_div_fixup_f32 v11, v10, v8, v9
	v_fmac_f32_e32 v8, v9, v11
	s_delay_alu instid0(VALU_DEP_1) | instskip(NEXT) | instid1(VALU_DEP_1)
	v_div_scale_f32 v9, null, v8, v8, 1.0
	v_rcp_f32_e32 v10, v9
	v_nop
	s_delay_alu instid0(TRANS32_DEP_1) | instskip(NEXT) | instid1(VALU_DEP_1)
	v_fma_f32 v12, -v9, v10, 1.0
	v_fmac_f32_e32 v10, v12, v10
	v_div_scale_f32 v12, vcc_lo, 1.0, v8, 1.0
	s_delay_alu instid0(VALU_DEP_1) | instskip(NEXT) | instid1(VALU_DEP_1)
	v_mul_f32_e32 v13, v12, v10
	v_fma_f32 v14, -v9, v13, v12
	s_delay_alu instid0(VALU_DEP_1) | instskip(NEXT) | instid1(VALU_DEP_1)
	v_fmac_f32_e32 v13, v14, v10
	v_fma_f32 v9, -v9, v13, v12
	s_delay_alu instid0(VALU_DEP_1) | instskip(NEXT) | instid1(VALU_DEP_1)
	v_div_fmas_f32 v9, v9, v10, v13
	v_div_fixup_f32 v10, v9, v8, 1.0
	s_delay_alu instid0(VALU_DEP_1)
	v_mul_f32_e64 v11, v11, -v10
.LBB93_340:
	s_or_b32 exec_lo, exec_lo, s1
	ds_store_b64 v37, v[10:11]
.LBB93_341:
	s_or_b32 exec_lo, exec_lo, s2
	s_wait_dscnt 0x0
	s_barrier_signal -1
	s_barrier_wait -1
	ds_load_b64 v[8:9], v37
	s_mov_b32 s1, exec_lo
	v_cmpx_lt_u32_e32 37, v36
	s_cbranch_execz .LBB93_343
; %bb.342:
	ds_load_2addr_b64 v[18:21], v40 offset0:38 offset1:39
	s_wait_dscnt 0x1
	v_pk_mul_f32 v[12:13], v[8:9], v[158:159] op_sel:[1,1] op_sel_hi:[0,1]
	s_delay_alu instid0(VALU_DEP_1) | instskip(SKIP_1) | instid1(VALU_DEP_1)
	v_pk_fma_f32 v[10:11], v[8:9], v[158:159], v[12:13] op_sel_hi:[1,0,1] neg_lo:[0,0,1] neg_hi:[0,0,1]
	v_pk_fma_f32 v[12:13], v[8:9], v[158:159], v[12:13] op_sel_hi:[1,0,1]
	v_dual_mov_b32 v158, v10 :: v_dual_mov_b32 v159, v13
	s_wait_dscnt 0x0
	s_delay_alu instid0(VALU_DEP_2) | instskip(NEXT) | instid1(VALU_DEP_1)
	v_pk_mul_f32 v[14:15], v[18:19], v[12:13] op_sel:[0,1]
	v_pk_fma_f32 v[22:23], v[18:19], v[10:11], v[14:15] op_sel:[0,0,1] op_sel_hi:[1,1,0] neg_lo:[0,0,1] neg_hi:[0,0,1]
	v_pk_fma_f32 v[14:15], v[18:19], v[10:11], v[14:15] op_sel:[0,0,1] op_sel_hi:[1,0,0]
	s_delay_alu instid0(VALU_DEP_1) | instskip(SKIP_1) | instid1(VALU_DEP_1)
	v_mov_b32_e32 v23, v15
	v_pk_mul_f32 v[14:15], v[20:21], v[12:13] op_sel:[0,1]
	v_pk_fma_f32 v[18:19], v[20:21], v[10:11], v[14:15] op_sel:[0,0,1] op_sel_hi:[1,1,0] neg_lo:[0,0,1] neg_hi:[0,0,1]
	v_pk_fma_f32 v[14:15], v[20:21], v[10:11], v[14:15] op_sel:[0,0,1] op_sel_hi:[1,0,0]
	s_delay_alu instid0(VALU_DEP_1) | instskip(SKIP_1) | instid1(VALU_DEP_2)
	v_mov_b32_e32 v19, v15
	v_pk_add_f32 v[160:161], v[160:161], v[22:23] neg_lo:[0,1] neg_hi:[0,1]
	v_pk_add_f32 v[156:157], v[156:157], v[18:19] neg_lo:[0,1] neg_hi:[0,1]
	ds_load_2addr_b64 v[18:21], v40 offset0:40 offset1:41
	s_wait_dscnt 0x0
	v_pk_mul_f32 v[14:15], v[18:19], v[12:13] op_sel:[0,1]
	s_delay_alu instid0(VALU_DEP_1) | instskip(SKIP_2) | instid1(VALU_DEP_2)
	v_pk_fma_f32 v[22:23], v[18:19], v[10:11], v[14:15] op_sel:[0,0,1] op_sel_hi:[1,1,0] neg_lo:[0,0,1] neg_hi:[0,0,1]
	v_pk_fma_f32 v[14:15], v[18:19], v[10:11], v[14:15] op_sel:[0,0,1] op_sel_hi:[1,0,0]
	v_dual_mul_f32 v18, v21, v13 :: v_dual_mov_b32 v14, v21
	v_dual_mov_b32 v23, v15 :: v_dual_mov_b32 v15, v20
	s_delay_alu instid0(VALU_DEP_2) | instskip(SKIP_1) | instid1(VALU_DEP_3)
	v_pk_fma_f32 v[18:19], v[20:21], v[158:159], v[18:19] op_sel_hi:[1,1,0] neg_lo:[0,0,1] neg_hi:[0,0,1]
	v_mul_f32_e32 v20, v21, v10
	v_pk_add_f32 v[182:183], v[182:183], v[22:23] neg_lo:[0,1] neg_hi:[0,1]
	s_delay_alu instid0(VALU_DEP_2) | instskip(NEXT) | instid1(VALU_DEP_1)
	v_pk_fma_f32 v[14:15], v[14:15], v[158:159], v[20:21] op_sel_hi:[1,1,0]
	v_mov_b32_e32 v19, v15
	s_delay_alu instid0(VALU_DEP_1) | instskip(SKIP_3) | instid1(VALU_DEP_1)
	v_pk_add_f32 v[176:177], v[176:177], v[18:19] neg_lo:[0,1] neg_hi:[0,1]
	ds_load_2addr_b64 v[18:21], v40 offset0:42 offset1:43
	s_wait_dscnt 0x0
	v_pk_mul_f32 v[14:15], v[18:19], v[12:13] op_sel:[0,1]
	v_pk_fma_f32 v[22:23], v[18:19], v[10:11], v[14:15] op_sel:[0,0,1] op_sel_hi:[1,1,0] neg_lo:[0,0,1] neg_hi:[0,0,1]
	v_pk_fma_f32 v[14:15], v[18:19], v[10:11], v[14:15] op_sel:[0,0,1] op_sel_hi:[1,0,0]
	s_delay_alu instid0(VALU_DEP_1) | instskip(SKIP_1) | instid1(VALU_DEP_1)
	v_mov_b32_e32 v23, v15
	v_pk_mul_f32 v[14:15], v[20:21], v[12:13] op_sel:[0,1]
	v_pk_fma_f32 v[18:19], v[20:21], v[10:11], v[14:15] op_sel:[0,0,1] op_sel_hi:[1,1,0] neg_lo:[0,0,1] neg_hi:[0,0,1]
	v_pk_fma_f32 v[14:15], v[20:21], v[10:11], v[14:15] op_sel:[0,0,1] op_sel_hi:[1,0,0]
	s_delay_alu instid0(VALU_DEP_1) | instskip(SKIP_1) | instid1(VALU_DEP_2)
	v_mov_b32_e32 v19, v15
	v_pk_add_f32 v[180:181], v[180:181], v[22:23] neg_lo:[0,1] neg_hi:[0,1]
	v_pk_add_f32 v[174:175], v[174:175], v[18:19] neg_lo:[0,1] neg_hi:[0,1]
	ds_load_2addr_b64 v[18:21], v40 offset0:44 offset1:45
	s_wait_dscnt 0x0
	v_pk_mul_f32 v[14:15], v[18:19], v[12:13] op_sel:[0,1]
	s_delay_alu instid0(VALU_DEP_1) | instskip(SKIP_1) | instid1(VALU_DEP_1)
	v_pk_fma_f32 v[22:23], v[18:19], v[10:11], v[14:15] op_sel:[0,0,1] op_sel_hi:[1,1,0] neg_lo:[0,0,1] neg_hi:[0,0,1]
	v_pk_fma_f32 v[14:15], v[18:19], v[10:11], v[14:15] op_sel:[0,0,1] op_sel_hi:[1,0,0]
	v_mov_b32_e32 v23, v15
	v_pk_mul_f32 v[14:15], v[20:21], v[12:13] op_sel:[0,1]
	s_delay_alu instid0(VALU_DEP_1) | instskip(SKIP_1) | instid1(VALU_DEP_1)
	v_pk_fma_f32 v[18:19], v[20:21], v[10:11], v[14:15] op_sel:[0,0,1] op_sel_hi:[1,1,0] neg_lo:[0,0,1] neg_hi:[0,0,1]
	v_pk_fma_f32 v[14:15], v[20:21], v[10:11], v[14:15] op_sel:[0,0,1] op_sel_hi:[1,0,0]
	v_mov_b32_e32 v19, v15
	ds_load_b64 v[14:15], v40 offset:368
	v_pk_add_f32 v[178:179], v[178:179], v[22:23] neg_lo:[0,1] neg_hi:[0,1]
	v_pk_add_f32 v[186:187], v[186:187], v[18:19] neg_lo:[0,1] neg_hi:[0,1]
	s_wait_dscnt 0x0
	v_pk_mul_f32 v[12:13], v[14:15], v[12:13] op_sel:[0,1]
	s_delay_alu instid0(VALU_DEP_1) | instskip(SKIP_1) | instid1(VALU_DEP_1)
	v_pk_fma_f32 v[18:19], v[14:15], v[10:11], v[12:13] op_sel:[0,0,1] op_sel_hi:[1,1,0] neg_lo:[0,0,1] neg_hi:[0,0,1]
	v_pk_fma_f32 v[10:11], v[14:15], v[10:11], v[12:13] op_sel:[0,0,1] op_sel_hi:[1,0,0]
	v_mov_b32_e32 v19, v11
	s_delay_alu instid0(VALU_DEP_1)
	v_pk_add_f32 v[188:189], v[188:189], v[18:19] neg_lo:[0,1] neg_hi:[0,1]
.LBB93_343:
	s_or_b32 exec_lo, exec_lo, s1
	s_delay_alu instid0(SALU_CYCLE_1)
	s_mov_b32 s2, exec_lo
	s_wait_dscnt 0x0
	s_barrier_signal -1
	s_barrier_wait -1
	v_cmpx_eq_u32_e32 38, v36
	s_cbranch_execz .LBB93_350
; %bb.344:
	ds_store_b64 v37, v[160:161]
	ds_store_2addr_b64 v40, v[156:157], v[182:183] offset0:39 offset1:40
	ds_store_2addr_b64 v40, v[176:177], v[180:181] offset0:41 offset1:42
	;; [unrolled: 1-line block ×4, first 2 shown]
	ds_load_b64 v[10:11], v37
	s_wait_dscnt 0x0
	v_cmp_neq_f32_e32 vcc_lo, 0, v10
	v_cmp_neq_f32_e64 s1, 0, v11
	s_or_b32 s1, vcc_lo, s1
	s_delay_alu instid0(SALU_CYCLE_1)
	s_and_b32 exec_lo, exec_lo, s1
	s_cbranch_execz .LBB93_350
; %bb.345:
	v_cmp_ngt_f32_e64 s1, |v10|, |v11|
                                        ; implicit-def: $vgpr12_vgpr13
	s_and_saveexec_b32 s4, s1
	s_delay_alu instid0(SALU_CYCLE_1)
	s_xor_b32 s1, exec_lo, s4
	s_cbranch_execz .LBB93_347
; %bb.346:
	v_div_scale_f32 v12, null, v11, v11, v10
	v_div_scale_f32 v15, vcc_lo, v10, v11, v10
	s_delay_alu instid0(VALU_DEP_2) | instskip(SKIP_1) | instid1(TRANS32_DEP_1)
	v_rcp_f32_e32 v13, v12
	v_nop
	v_fma_f32 v14, -v12, v13, 1.0
	s_delay_alu instid0(VALU_DEP_1) | instskip(NEXT) | instid1(VALU_DEP_1)
	v_fmac_f32_e32 v13, v14, v13
	v_mul_f32_e32 v14, v15, v13
	s_delay_alu instid0(VALU_DEP_1) | instskip(NEXT) | instid1(VALU_DEP_1)
	v_fma_f32 v18, -v12, v14, v15
	v_fmac_f32_e32 v14, v18, v13
	s_delay_alu instid0(VALU_DEP_1) | instskip(NEXT) | instid1(VALU_DEP_1)
	v_fma_f32 v12, -v12, v14, v15
	v_div_fmas_f32 v12, v12, v13, v14
	s_delay_alu instid0(VALU_DEP_1) | instskip(NEXT) | instid1(VALU_DEP_1)
	v_div_fixup_f32 v12, v12, v11, v10
	v_fmac_f32_e32 v11, v10, v12
	s_delay_alu instid0(VALU_DEP_1) | instskip(SKIP_1) | instid1(VALU_DEP_2)
	v_div_scale_f32 v10, null, v11, v11, 1.0
	v_div_scale_f32 v15, vcc_lo, 1.0, v11, 1.0
	v_rcp_f32_e32 v13, v10
	v_nop
	s_delay_alu instid0(TRANS32_DEP_1) | instskip(NEXT) | instid1(VALU_DEP_1)
	v_fma_f32 v14, -v10, v13, 1.0
	v_fmac_f32_e32 v13, v14, v13
	s_delay_alu instid0(VALU_DEP_1) | instskip(NEXT) | instid1(VALU_DEP_1)
	v_mul_f32_e32 v14, v15, v13
	v_fma_f32 v18, -v10, v14, v15
	s_delay_alu instid0(VALU_DEP_1) | instskip(NEXT) | instid1(VALU_DEP_1)
	v_fmac_f32_e32 v14, v18, v13
	v_fma_f32 v10, -v10, v14, v15
	s_delay_alu instid0(VALU_DEP_1) | instskip(NEXT) | instid1(VALU_DEP_1)
	v_div_fmas_f32 v10, v10, v13, v14
	v_div_fixup_f32 v10, v10, v11, 1.0
	s_delay_alu instid0(VALU_DEP_1)
	v_mul_f32_e32 v12, v12, v10
	v_xor_b32_e32 v13, 0x80000000, v10
                                        ; implicit-def: $vgpr10_vgpr11
.LBB93_347:
	s_and_not1_saveexec_b32 s1, s1
	s_cbranch_execz .LBB93_349
; %bb.348:
	v_div_scale_f32 v12, null, v10, v10, v11
	v_div_scale_f32 v15, vcc_lo, v11, v10, v11
	s_delay_alu instid0(VALU_DEP_2) | instskip(SKIP_1) | instid1(TRANS32_DEP_1)
	v_rcp_f32_e32 v13, v12
	v_nop
	v_fma_f32 v14, -v12, v13, 1.0
	s_delay_alu instid0(VALU_DEP_1) | instskip(NEXT) | instid1(VALU_DEP_1)
	v_fmac_f32_e32 v13, v14, v13
	v_mul_f32_e32 v14, v15, v13
	s_delay_alu instid0(VALU_DEP_1) | instskip(NEXT) | instid1(VALU_DEP_1)
	v_fma_f32 v18, -v12, v14, v15
	v_fmac_f32_e32 v14, v18, v13
	s_delay_alu instid0(VALU_DEP_1) | instskip(NEXT) | instid1(VALU_DEP_1)
	v_fma_f32 v12, -v12, v14, v15
	v_div_fmas_f32 v12, v12, v13, v14
	s_delay_alu instid0(VALU_DEP_1) | instskip(NEXT) | instid1(VALU_DEP_1)
	v_div_fixup_f32 v13, v12, v10, v11
	v_fmac_f32_e32 v10, v11, v13
	s_delay_alu instid0(VALU_DEP_1) | instskip(NEXT) | instid1(VALU_DEP_1)
	v_div_scale_f32 v11, null, v10, v10, 1.0
	v_rcp_f32_e32 v12, v11
	v_nop
	s_delay_alu instid0(TRANS32_DEP_1) | instskip(NEXT) | instid1(VALU_DEP_1)
	v_fma_f32 v14, -v11, v12, 1.0
	v_fmac_f32_e32 v12, v14, v12
	v_div_scale_f32 v14, vcc_lo, 1.0, v10, 1.0
	s_delay_alu instid0(VALU_DEP_1) | instskip(NEXT) | instid1(VALU_DEP_1)
	v_mul_f32_e32 v15, v14, v12
	v_fma_f32 v18, -v11, v15, v14
	s_delay_alu instid0(VALU_DEP_1) | instskip(NEXT) | instid1(VALU_DEP_1)
	v_fmac_f32_e32 v15, v18, v12
	v_fma_f32 v11, -v11, v15, v14
	s_delay_alu instid0(VALU_DEP_1) | instskip(NEXT) | instid1(VALU_DEP_1)
	v_div_fmas_f32 v11, v11, v12, v15
	v_div_fixup_f32 v12, v11, v10, 1.0
	s_delay_alu instid0(VALU_DEP_1)
	v_mul_f32_e64 v13, v13, -v12
.LBB93_349:
	s_or_b32 exec_lo, exec_lo, s1
	ds_store_b64 v37, v[12:13]
.LBB93_350:
	s_or_b32 exec_lo, exec_lo, s2
	s_wait_dscnt 0x0
	s_barrier_signal -1
	s_barrier_wait -1
	ds_load_b64 v[10:11], v37
	s_mov_b32 s1, exec_lo
	v_cmpx_lt_u32_e32 38, v36
	s_cbranch_execz .LBB93_352
; %bb.351:
	ds_load_2addr_b64 v[18:21], v40 offset0:39 offset1:40
	s_wait_dscnt 0x1
	v_pk_mul_f32 v[14:15], v[10:11], v[160:161] op_sel:[1,1] op_sel_hi:[0,1]
	s_delay_alu instid0(VALU_DEP_1) | instskip(SKIP_1) | instid1(VALU_DEP_1)
	v_pk_fma_f32 v[12:13], v[10:11], v[160:161], v[14:15] op_sel_hi:[1,0,1] neg_lo:[0,0,1] neg_hi:[0,0,1]
	v_pk_fma_f32 v[14:15], v[10:11], v[160:161], v[14:15] op_sel_hi:[1,0,1]
	v_dual_mov_b32 v160, v12 :: v_dual_mov_b32 v161, v15
	s_wait_dscnt 0x0
	s_delay_alu instid0(VALU_DEP_2) | instskip(NEXT) | instid1(VALU_DEP_1)
	v_pk_mul_f32 v[22:23], v[18:19], v[14:15] op_sel:[0,1]
	v_pk_fma_f32 v[24:25], v[18:19], v[12:13], v[22:23] op_sel:[0,0,1] op_sel_hi:[1,1,0] neg_lo:[0,0,1] neg_hi:[0,0,1]
	v_pk_fma_f32 v[18:19], v[18:19], v[12:13], v[22:23] op_sel:[0,0,1] op_sel_hi:[1,0,0]
	s_delay_alu instid0(VALU_DEP_1) | instskip(SKIP_1) | instid1(VALU_DEP_1)
	v_mov_b32_e32 v25, v19
	v_pk_mul_f32 v[18:19], v[20:21], v[14:15] op_sel:[0,1]
	v_pk_fma_f32 v[22:23], v[20:21], v[12:13], v[18:19] op_sel:[0,0,1] op_sel_hi:[1,1,0] neg_lo:[0,0,1] neg_hi:[0,0,1]
	v_pk_fma_f32 v[18:19], v[20:21], v[12:13], v[18:19] op_sel:[0,0,1] op_sel_hi:[1,0,0]
	s_delay_alu instid0(VALU_DEP_1)
	v_mov_b32_e32 v23, v19
	ds_load_2addr_b64 v[18:21], v40 offset0:41 offset1:42
	v_pk_add_f32 v[156:157], v[156:157], v[24:25] neg_lo:[0,1] neg_hi:[0,1]
	v_pk_add_f32 v[182:183], v[182:183], v[22:23] neg_lo:[0,1] neg_hi:[0,1]
	s_wait_dscnt 0x0
	v_pk_mul_f32 v[22:23], v[18:19], v[14:15] op_sel:[0,1]
	s_delay_alu instid0(VALU_DEP_1) | instskip(SKIP_2) | instid1(VALU_DEP_2)
	v_pk_fma_f32 v[24:25], v[18:19], v[12:13], v[22:23] op_sel:[0,0,1] op_sel_hi:[1,1,0] neg_lo:[0,0,1] neg_hi:[0,0,1]
	v_pk_fma_f32 v[18:19], v[18:19], v[12:13], v[22:23] op_sel:[0,0,1] op_sel_hi:[1,0,0]
	v_dual_mul_f32 v22, v21, v15 :: v_dual_mov_b32 v18, v21
	v_dual_mov_b32 v25, v19 :: v_dual_mov_b32 v19, v20
	s_delay_alu instid0(VALU_DEP_2) | instskip(SKIP_1) | instid1(VALU_DEP_3)
	v_pk_fma_f32 v[22:23], v[20:21], v[160:161], v[22:23] op_sel_hi:[1,1,0] neg_lo:[0,0,1] neg_hi:[0,0,1]
	v_mul_f32_e32 v20, v21, v12
	v_pk_add_f32 v[176:177], v[176:177], v[24:25] neg_lo:[0,1] neg_hi:[0,1]
	s_delay_alu instid0(VALU_DEP_2) | instskip(NEXT) | instid1(VALU_DEP_1)
	v_pk_fma_f32 v[18:19], v[18:19], v[160:161], v[20:21] op_sel_hi:[1,1,0]
	v_mov_b32_e32 v23, v19
	ds_load_2addr_b64 v[18:21], v40 offset0:43 offset1:44
	v_pk_add_f32 v[180:181], v[180:181], v[22:23] neg_lo:[0,1] neg_hi:[0,1]
	s_wait_dscnt 0x0
	v_pk_mul_f32 v[22:23], v[18:19], v[14:15] op_sel:[0,1]
	s_delay_alu instid0(VALU_DEP_1) | instskip(SKIP_1) | instid1(VALU_DEP_1)
	v_pk_fma_f32 v[24:25], v[18:19], v[12:13], v[22:23] op_sel:[0,0,1] op_sel_hi:[1,1,0] neg_lo:[0,0,1] neg_hi:[0,0,1]
	v_pk_fma_f32 v[18:19], v[18:19], v[12:13], v[22:23] op_sel:[0,0,1] op_sel_hi:[1,0,0]
	v_mov_b32_e32 v25, v19
	v_pk_mul_f32 v[18:19], v[20:21], v[14:15] op_sel:[0,1]
	s_delay_alu instid0(VALU_DEP_1) | instskip(SKIP_1) | instid1(VALU_DEP_1)
	v_pk_fma_f32 v[22:23], v[20:21], v[12:13], v[18:19] op_sel:[0,0,1] op_sel_hi:[1,1,0] neg_lo:[0,0,1] neg_hi:[0,0,1]
	v_pk_fma_f32 v[18:19], v[20:21], v[12:13], v[18:19] op_sel:[0,0,1] op_sel_hi:[1,0,0]
	v_mov_b32_e32 v23, v19
	ds_load_2addr_b64 v[18:21], v40 offset0:45 offset1:46
	v_pk_add_f32 v[174:175], v[174:175], v[24:25] neg_lo:[0,1] neg_hi:[0,1]
	v_pk_add_f32 v[178:179], v[178:179], v[22:23] neg_lo:[0,1] neg_hi:[0,1]
	s_wait_dscnt 0x0
	v_pk_mul_f32 v[22:23], v[18:19], v[14:15] op_sel:[0,1]
	v_pk_mul_f32 v[14:15], v[20:21], v[14:15] op_sel:[0,1]
	s_delay_alu instid0(VALU_DEP_2) | instskip(SKIP_1) | instid1(VALU_DEP_1)
	v_pk_fma_f32 v[24:25], v[18:19], v[12:13], v[22:23] op_sel:[0,0,1] op_sel_hi:[1,1,0] neg_lo:[0,0,1] neg_hi:[0,0,1]
	v_pk_fma_f32 v[18:19], v[18:19], v[12:13], v[22:23] op_sel:[0,0,1] op_sel_hi:[1,0,0]
	v_mov_b32_e32 v25, v19
	s_delay_alu instid0(VALU_DEP_4) | instskip(SKIP_1) | instid1(VALU_DEP_1)
	v_pk_fma_f32 v[18:19], v[20:21], v[12:13], v[14:15] op_sel:[0,0,1] op_sel_hi:[1,1,0] neg_lo:[0,0,1] neg_hi:[0,0,1]
	v_pk_fma_f32 v[12:13], v[20:21], v[12:13], v[14:15] op_sel:[0,0,1] op_sel_hi:[1,0,0]
	v_mov_b32_e32 v19, v13
	s_delay_alu instid0(VALU_DEP_4) | instskip(NEXT) | instid1(VALU_DEP_2)
	v_pk_add_f32 v[186:187], v[186:187], v[24:25] neg_lo:[0,1] neg_hi:[0,1]
	v_pk_add_f32 v[188:189], v[188:189], v[18:19] neg_lo:[0,1] neg_hi:[0,1]
.LBB93_352:
	s_or_b32 exec_lo, exec_lo, s1
	s_delay_alu instid0(SALU_CYCLE_1)
	s_mov_b32 s2, exec_lo
	s_wait_dscnt 0x0
	s_barrier_signal -1
	s_barrier_wait -1
	v_cmpx_eq_u32_e32 39, v36
	s_cbranch_execz .LBB93_359
; %bb.353:
	v_dual_mov_b32 v12, v182 :: v_dual_mov_b32 v13, v183
	v_dual_mov_b32 v14, v176 :: v_dual_mov_b32 v15, v177
	ds_store_b64 v37, v[156:157]
	ds_store_2addr_b64 v40, v[12:13], v[14:15] offset0:40 offset1:41
	v_dual_mov_b32 v12, v180 :: v_dual_mov_b32 v13, v181
	v_dual_mov_b32 v14, v174 :: v_dual_mov_b32 v15, v175
	ds_store_2addr_b64 v40, v[12:13], v[14:15] offset0:42 offset1:43
	v_dual_mov_b32 v12, v178 :: v_dual_mov_b32 v13, v179
	v_dual_mov_b32 v14, v186 :: v_dual_mov_b32 v15, v187
	ds_store_2addr_b64 v40, v[12:13], v[14:15] offset0:44 offset1:45
	ds_store_b64 v40, v[188:189] offset:368
	ds_load_b64 v[12:13], v37
	s_wait_dscnt 0x0
	v_cmp_neq_f32_e32 vcc_lo, 0, v12
	v_cmp_neq_f32_e64 s1, 0, v13
	s_or_b32 s1, vcc_lo, s1
	s_delay_alu instid0(SALU_CYCLE_1)
	s_and_b32 exec_lo, exec_lo, s1
	s_cbranch_execz .LBB93_359
; %bb.354:
	v_cmp_ngt_f32_e64 s1, |v12|, |v13|
                                        ; implicit-def: $vgpr14_vgpr15
	s_and_saveexec_b32 s4, s1
	s_delay_alu instid0(SALU_CYCLE_1)
	s_xor_b32 s1, exec_lo, s4
	s_cbranch_execz .LBB93_356
; %bb.355:
	v_div_scale_f32 v14, null, v13, v13, v12
	v_div_scale_f32 v19, vcc_lo, v12, v13, v12
	s_delay_alu instid0(VALU_DEP_2) | instskip(SKIP_1) | instid1(TRANS32_DEP_1)
	v_rcp_f32_e32 v15, v14
	v_nop
	v_fma_f32 v18, -v14, v15, 1.0
	s_delay_alu instid0(VALU_DEP_1) | instskip(NEXT) | instid1(VALU_DEP_1)
	v_fmac_f32_e32 v15, v18, v15
	v_mul_f32_e32 v18, v19, v15
	s_delay_alu instid0(VALU_DEP_1) | instskip(NEXT) | instid1(VALU_DEP_1)
	v_fma_f32 v20, -v14, v18, v19
	v_fmac_f32_e32 v18, v20, v15
	s_delay_alu instid0(VALU_DEP_1) | instskip(NEXT) | instid1(VALU_DEP_1)
	v_fma_f32 v14, -v14, v18, v19
	v_div_fmas_f32 v14, v14, v15, v18
	s_delay_alu instid0(VALU_DEP_1) | instskip(NEXT) | instid1(VALU_DEP_1)
	v_div_fixup_f32 v14, v14, v13, v12
	v_fmac_f32_e32 v13, v12, v14
	s_delay_alu instid0(VALU_DEP_1) | instskip(SKIP_1) | instid1(VALU_DEP_2)
	v_div_scale_f32 v12, null, v13, v13, 1.0
	v_div_scale_f32 v19, vcc_lo, 1.0, v13, 1.0
	v_rcp_f32_e32 v15, v12
	v_nop
	s_delay_alu instid0(TRANS32_DEP_1) | instskip(NEXT) | instid1(VALU_DEP_1)
	v_fma_f32 v18, -v12, v15, 1.0
	v_fmac_f32_e32 v15, v18, v15
	s_delay_alu instid0(VALU_DEP_1) | instskip(NEXT) | instid1(VALU_DEP_1)
	v_mul_f32_e32 v18, v19, v15
	v_fma_f32 v20, -v12, v18, v19
	s_delay_alu instid0(VALU_DEP_1) | instskip(NEXT) | instid1(VALU_DEP_1)
	v_fmac_f32_e32 v18, v20, v15
	v_fma_f32 v12, -v12, v18, v19
	s_delay_alu instid0(VALU_DEP_1) | instskip(NEXT) | instid1(VALU_DEP_1)
	v_div_fmas_f32 v12, v12, v15, v18
	v_div_fixup_f32 v12, v12, v13, 1.0
	s_delay_alu instid0(VALU_DEP_1)
	v_mul_f32_e32 v14, v14, v12
	v_xor_b32_e32 v15, 0x80000000, v12
                                        ; implicit-def: $vgpr12_vgpr13
.LBB93_356:
	s_and_not1_saveexec_b32 s1, s1
	s_cbranch_execz .LBB93_358
; %bb.357:
	v_div_scale_f32 v14, null, v12, v12, v13
	v_div_scale_f32 v19, vcc_lo, v13, v12, v13
	s_delay_alu instid0(VALU_DEP_2) | instskip(SKIP_1) | instid1(TRANS32_DEP_1)
	v_rcp_f32_e32 v15, v14
	v_nop
	v_fma_f32 v18, -v14, v15, 1.0
	s_delay_alu instid0(VALU_DEP_1) | instskip(NEXT) | instid1(VALU_DEP_1)
	v_fmac_f32_e32 v15, v18, v15
	v_mul_f32_e32 v18, v19, v15
	s_delay_alu instid0(VALU_DEP_1) | instskip(NEXT) | instid1(VALU_DEP_1)
	v_fma_f32 v20, -v14, v18, v19
	v_fmac_f32_e32 v18, v20, v15
	s_delay_alu instid0(VALU_DEP_1) | instskip(NEXT) | instid1(VALU_DEP_1)
	v_fma_f32 v14, -v14, v18, v19
	v_div_fmas_f32 v14, v14, v15, v18
	s_delay_alu instid0(VALU_DEP_1) | instskip(NEXT) | instid1(VALU_DEP_1)
	v_div_fixup_f32 v15, v14, v12, v13
	v_fmac_f32_e32 v12, v13, v15
	s_delay_alu instid0(VALU_DEP_1) | instskip(NEXT) | instid1(VALU_DEP_1)
	v_div_scale_f32 v13, null, v12, v12, 1.0
	v_rcp_f32_e32 v14, v13
	v_nop
	s_delay_alu instid0(TRANS32_DEP_1) | instskip(NEXT) | instid1(VALU_DEP_1)
	v_fma_f32 v18, -v13, v14, 1.0
	v_fmac_f32_e32 v14, v18, v14
	v_div_scale_f32 v18, vcc_lo, 1.0, v12, 1.0
	s_delay_alu instid0(VALU_DEP_1) | instskip(NEXT) | instid1(VALU_DEP_1)
	v_mul_f32_e32 v19, v18, v14
	v_fma_f32 v20, -v13, v19, v18
	s_delay_alu instid0(VALU_DEP_1) | instskip(NEXT) | instid1(VALU_DEP_1)
	v_fmac_f32_e32 v19, v20, v14
	v_fma_f32 v13, -v13, v19, v18
	s_delay_alu instid0(VALU_DEP_1) | instskip(NEXT) | instid1(VALU_DEP_1)
	v_div_fmas_f32 v13, v13, v14, v19
	v_div_fixup_f32 v14, v13, v12, 1.0
	s_delay_alu instid0(VALU_DEP_1)
	v_mul_f32_e64 v15, v15, -v14
.LBB93_358:
	s_or_b32 exec_lo, exec_lo, s1
	ds_store_b64 v37, v[14:15]
.LBB93_359:
	s_or_b32 exec_lo, exec_lo, s2
	s_wait_dscnt 0x0
	s_barrier_signal -1
	s_barrier_wait -1
	ds_load_b64 v[12:13], v37
	s_mov_b32 s1, exec_lo
	v_cmpx_lt_u32_e32 39, v36
	s_cbranch_execz .LBB93_361
; %bb.360:
	s_wait_dscnt 0x0
	v_pk_mul_f32 v[18:19], v[12:13], v[156:157] op_sel:[1,1] op_sel_hi:[0,1]
	s_delay_alu instid0(VALU_DEP_1)
	v_pk_fma_f32 v[14:15], v[12:13], v[156:157], v[18:19] op_sel_hi:[1,0,1] neg_lo:[0,0,1] neg_hi:[0,0,1]
	v_pk_fma_f32 v[22:23], v[12:13], v[156:157], v[18:19] op_sel_hi:[1,0,1]
	ds_load_2addr_b64 v[18:21], v40 offset0:40 offset1:41
	v_dual_mov_b32 v156, v14 :: v_dual_mov_b32 v157, v23
	s_wait_dscnt 0x0
	v_pk_mul_f32 v[24:25], v[18:19], v[22:23] op_sel:[0,1]
	s_delay_alu instid0(VALU_DEP_1) | instskip(SKIP_1) | instid1(VALU_DEP_1)
	v_pk_fma_f32 v[30:31], v[18:19], v[14:15], v[24:25] op_sel:[0,0,1] op_sel_hi:[1,1,0] neg_lo:[0,0,1] neg_hi:[0,0,1]
	v_pk_fma_f32 v[18:19], v[18:19], v[14:15], v[24:25] op_sel:[0,0,1] op_sel_hi:[1,0,0]
	v_mov_b32_e32 v31, v19
	v_pk_mul_f32 v[18:19], v[20:21], v[22:23] op_sel:[0,1]
	s_delay_alu instid0(VALU_DEP_1) | instskip(SKIP_1) | instid1(VALU_DEP_1)
	v_pk_fma_f32 v[24:25], v[20:21], v[14:15], v[18:19] op_sel:[0,0,1] op_sel_hi:[1,1,0] neg_lo:[0,0,1] neg_hi:[0,0,1]
	v_pk_fma_f32 v[18:19], v[20:21], v[14:15], v[18:19] op_sel:[0,0,1] op_sel_hi:[1,0,0]
	v_mov_b32_e32 v25, v19
	ds_load_2addr_b64 v[18:21], v40 offset0:42 offset1:43
	v_pk_add_f32 v[182:183], v[182:183], v[30:31] neg_lo:[0,1] neg_hi:[0,1]
	v_pk_add_f32 v[176:177], v[176:177], v[24:25] neg_lo:[0,1] neg_hi:[0,1]
	s_wait_dscnt 0x0
	v_pk_mul_f32 v[24:25], v[18:19], v[22:23] op_sel:[0,1]
	s_delay_alu instid0(VALU_DEP_1) | instskip(SKIP_2) | instid1(VALU_DEP_2)
	v_pk_fma_f32 v[30:31], v[18:19], v[14:15], v[24:25] op_sel:[0,0,1] op_sel_hi:[1,1,0] neg_lo:[0,0,1] neg_hi:[0,0,1]
	v_pk_fma_f32 v[18:19], v[18:19], v[14:15], v[24:25] op_sel:[0,0,1] op_sel_hi:[1,0,0]
	v_dual_mul_f32 v24, v21, v23 :: v_dual_mov_b32 v18, v21
	v_dual_mov_b32 v31, v19 :: v_dual_mov_b32 v19, v20
	s_delay_alu instid0(VALU_DEP_2) | instskip(SKIP_1) | instid1(VALU_DEP_3)
	v_pk_fma_f32 v[24:25], v[20:21], v[156:157], v[24:25] op_sel_hi:[1,1,0] neg_lo:[0,0,1] neg_hi:[0,0,1]
	v_mul_f32_e32 v20, v21, v14
	v_pk_add_f32 v[180:181], v[180:181], v[30:31] neg_lo:[0,1] neg_hi:[0,1]
	s_delay_alu instid0(VALU_DEP_2) | instskip(NEXT) | instid1(VALU_DEP_1)
	v_pk_fma_f32 v[18:19], v[18:19], v[156:157], v[20:21] op_sel_hi:[1,1,0]
	v_mov_b32_e32 v25, v19
	ds_load_2addr_b64 v[18:21], v40 offset0:44 offset1:45
	v_pk_add_f32 v[174:175], v[174:175], v[24:25] neg_lo:[0,1] neg_hi:[0,1]
	s_wait_dscnt 0x0
	v_pk_mul_f32 v[24:25], v[18:19], v[22:23] op_sel:[0,1]
	s_delay_alu instid0(VALU_DEP_1) | instskip(SKIP_1) | instid1(VALU_DEP_1)
	v_pk_fma_f32 v[30:31], v[18:19], v[14:15], v[24:25] op_sel:[0,0,1] op_sel_hi:[1,1,0] neg_lo:[0,0,1] neg_hi:[0,0,1]
	v_pk_fma_f32 v[18:19], v[18:19], v[14:15], v[24:25] op_sel:[0,0,1] op_sel_hi:[1,0,0]
	v_mov_b32_e32 v31, v19
	v_pk_mul_f32 v[18:19], v[20:21], v[22:23] op_sel:[0,1]
	s_delay_alu instid0(VALU_DEP_1) | instskip(SKIP_1) | instid1(VALU_DEP_1)
	v_pk_fma_f32 v[24:25], v[20:21], v[14:15], v[18:19] op_sel:[0,0,1] op_sel_hi:[1,1,0] neg_lo:[0,0,1] neg_hi:[0,0,1]
	v_pk_fma_f32 v[18:19], v[20:21], v[14:15], v[18:19] op_sel:[0,0,1] op_sel_hi:[1,0,0]
	v_mov_b32_e32 v25, v19
	ds_load_b64 v[18:19], v40 offset:368
	v_pk_add_f32 v[178:179], v[178:179], v[30:31] neg_lo:[0,1] neg_hi:[0,1]
	v_pk_add_f32 v[186:187], v[186:187], v[24:25] neg_lo:[0,1] neg_hi:[0,1]
	s_wait_dscnt 0x0
	v_pk_mul_f32 v[20:21], v[18:19], v[22:23] op_sel:[0,1]
	s_delay_alu instid0(VALU_DEP_1) | instskip(SKIP_1) | instid1(VALU_DEP_1)
	v_pk_fma_f32 v[22:23], v[18:19], v[14:15], v[20:21] op_sel:[0,0,1] op_sel_hi:[1,1,0] neg_lo:[0,0,1] neg_hi:[0,0,1]
	v_pk_fma_f32 v[14:15], v[18:19], v[14:15], v[20:21] op_sel:[0,0,1] op_sel_hi:[1,0,0]
	v_mov_b32_e32 v23, v15
	s_delay_alu instid0(VALU_DEP_1)
	v_pk_add_f32 v[188:189], v[188:189], v[22:23] neg_lo:[0,1] neg_hi:[0,1]
.LBB93_361:
	s_or_b32 exec_lo, exec_lo, s1
	s_delay_alu instid0(SALU_CYCLE_1)
	s_mov_b32 s2, exec_lo
	s_wait_dscnt 0x0
	s_barrier_signal -1
	s_barrier_wait -1
	v_cmpx_eq_u32_e32 40, v36
	s_cbranch_execz .LBB93_368
; %bb.362:
	ds_store_b64 v37, v[182:183]
	ds_store_2addr_b64 v40, v[176:177], v[180:181] offset0:41 offset1:42
	ds_store_2addr_b64 v40, v[174:175], v[178:179] offset0:43 offset1:44
	;; [unrolled: 1-line block ×3, first 2 shown]
	ds_load_b64 v[14:15], v37
	s_wait_dscnt 0x0
	v_cmp_neq_f32_e32 vcc_lo, 0, v14
	v_cmp_neq_f32_e64 s1, 0, v15
	s_or_b32 s1, vcc_lo, s1
	s_delay_alu instid0(SALU_CYCLE_1)
	s_and_b32 exec_lo, exec_lo, s1
	s_cbranch_execz .LBB93_368
; %bb.363:
	v_cmp_ngt_f32_e64 s1, |v14|, |v15|
                                        ; implicit-def: $vgpr18_vgpr19
	s_and_saveexec_b32 s4, s1
	s_delay_alu instid0(SALU_CYCLE_1)
	s_xor_b32 s1, exec_lo, s4
	s_cbranch_execz .LBB93_365
; %bb.364:
	v_div_scale_f32 v18, null, v15, v15, v14
	v_div_scale_f32 v21, vcc_lo, v14, v15, v14
	s_delay_alu instid0(VALU_DEP_2) | instskip(SKIP_1) | instid1(TRANS32_DEP_1)
	v_rcp_f32_e32 v19, v18
	v_nop
	v_fma_f32 v20, -v18, v19, 1.0
	s_delay_alu instid0(VALU_DEP_1) | instskip(NEXT) | instid1(VALU_DEP_1)
	v_fmac_f32_e32 v19, v20, v19
	v_mul_f32_e32 v20, v21, v19
	s_delay_alu instid0(VALU_DEP_1) | instskip(NEXT) | instid1(VALU_DEP_1)
	v_fma_f32 v22, -v18, v20, v21
	v_fmac_f32_e32 v20, v22, v19
	s_delay_alu instid0(VALU_DEP_1) | instskip(NEXT) | instid1(VALU_DEP_1)
	v_fma_f32 v18, -v18, v20, v21
	v_div_fmas_f32 v18, v18, v19, v20
	s_delay_alu instid0(VALU_DEP_1) | instskip(NEXT) | instid1(VALU_DEP_1)
	v_div_fixup_f32 v18, v18, v15, v14
	v_fmac_f32_e32 v15, v14, v18
	s_delay_alu instid0(VALU_DEP_1) | instskip(SKIP_1) | instid1(VALU_DEP_2)
	v_div_scale_f32 v14, null, v15, v15, 1.0
	v_div_scale_f32 v21, vcc_lo, 1.0, v15, 1.0
	v_rcp_f32_e32 v19, v14
	v_nop
	s_delay_alu instid0(TRANS32_DEP_1) | instskip(NEXT) | instid1(VALU_DEP_1)
	v_fma_f32 v20, -v14, v19, 1.0
	v_fmac_f32_e32 v19, v20, v19
	s_delay_alu instid0(VALU_DEP_1) | instskip(NEXT) | instid1(VALU_DEP_1)
	v_mul_f32_e32 v20, v21, v19
	v_fma_f32 v22, -v14, v20, v21
	s_delay_alu instid0(VALU_DEP_1) | instskip(NEXT) | instid1(VALU_DEP_1)
	v_fmac_f32_e32 v20, v22, v19
	v_fma_f32 v14, -v14, v20, v21
	s_delay_alu instid0(VALU_DEP_1) | instskip(NEXT) | instid1(VALU_DEP_1)
	v_div_fmas_f32 v14, v14, v19, v20
	v_div_fixup_f32 v14, v14, v15, 1.0
	s_delay_alu instid0(VALU_DEP_1)
	v_mul_f32_e32 v18, v18, v14
	v_xor_b32_e32 v19, 0x80000000, v14
                                        ; implicit-def: $vgpr14_vgpr15
.LBB93_365:
	s_and_not1_saveexec_b32 s1, s1
	s_cbranch_execz .LBB93_367
; %bb.366:
	v_div_scale_f32 v18, null, v14, v14, v15
	v_div_scale_f32 v21, vcc_lo, v15, v14, v15
	s_delay_alu instid0(VALU_DEP_2) | instskip(SKIP_1) | instid1(TRANS32_DEP_1)
	v_rcp_f32_e32 v19, v18
	v_nop
	v_fma_f32 v20, -v18, v19, 1.0
	s_delay_alu instid0(VALU_DEP_1) | instskip(NEXT) | instid1(VALU_DEP_1)
	v_fmac_f32_e32 v19, v20, v19
	v_mul_f32_e32 v20, v21, v19
	s_delay_alu instid0(VALU_DEP_1) | instskip(NEXT) | instid1(VALU_DEP_1)
	v_fma_f32 v22, -v18, v20, v21
	v_fmac_f32_e32 v20, v22, v19
	s_delay_alu instid0(VALU_DEP_1) | instskip(NEXT) | instid1(VALU_DEP_1)
	v_fma_f32 v18, -v18, v20, v21
	v_div_fmas_f32 v18, v18, v19, v20
	s_delay_alu instid0(VALU_DEP_1) | instskip(NEXT) | instid1(VALU_DEP_1)
	v_div_fixup_f32 v19, v18, v14, v15
	v_fmac_f32_e32 v14, v15, v19
	s_delay_alu instid0(VALU_DEP_1) | instskip(NEXT) | instid1(VALU_DEP_1)
	v_div_scale_f32 v15, null, v14, v14, 1.0
	v_rcp_f32_e32 v18, v15
	v_nop
	s_delay_alu instid0(TRANS32_DEP_1) | instskip(NEXT) | instid1(VALU_DEP_1)
	v_fma_f32 v20, -v15, v18, 1.0
	v_fmac_f32_e32 v18, v20, v18
	v_div_scale_f32 v20, vcc_lo, 1.0, v14, 1.0
	s_delay_alu instid0(VALU_DEP_1) | instskip(NEXT) | instid1(VALU_DEP_1)
	v_mul_f32_e32 v21, v20, v18
	v_fma_f32 v22, -v15, v21, v20
	s_delay_alu instid0(VALU_DEP_1) | instskip(NEXT) | instid1(VALU_DEP_1)
	v_fmac_f32_e32 v21, v22, v18
	v_fma_f32 v15, -v15, v21, v20
	s_delay_alu instid0(VALU_DEP_1) | instskip(NEXT) | instid1(VALU_DEP_1)
	v_div_fmas_f32 v15, v15, v18, v21
	v_div_fixup_f32 v18, v15, v14, 1.0
	s_delay_alu instid0(VALU_DEP_1)
	v_mul_f32_e64 v19, v19, -v18
.LBB93_367:
	s_or_b32 exec_lo, exec_lo, s1
	ds_store_b64 v37, v[18:19]
.LBB93_368:
	s_or_b32 exec_lo, exec_lo, s2
	s_wait_dscnt 0x0
	s_barrier_signal -1
	s_barrier_wait -1
	ds_load_b64 v[14:15], v37
	s_mov_b32 s1, exec_lo
	v_cmpx_lt_u32_e32 40, v36
	s_cbranch_execz .LBB93_370
; %bb.369:
	s_wait_dscnt 0x0
	v_pk_mul_f32 v[18:19], v[14:15], v[182:183] op_sel:[1,1] op_sel_hi:[0,1]
	s_delay_alu instid0(VALU_DEP_1)
	v_pk_fma_f32 v[22:23], v[14:15], v[182:183], v[18:19] op_sel_hi:[1,0,1] neg_lo:[0,0,1] neg_hi:[0,0,1]
	v_pk_fma_f32 v[24:25], v[14:15], v[182:183], v[18:19] op_sel_hi:[1,0,1]
	ds_load_2addr_b64 v[18:21], v40 offset0:41 offset1:42
	v_dual_mov_b32 v182, v22 :: v_dual_mov_b32 v183, v25
	s_wait_dscnt 0x0
	v_pk_mul_f32 v[30:31], v[18:19], v[24:25] op_sel:[0,1]
	s_delay_alu instid0(VALU_DEP_1) | instskip(SKIP_1) | instid1(VALU_DEP_1)
	v_pk_fma_f32 v[34:35], v[18:19], v[22:23], v[30:31] op_sel:[0,0,1] op_sel_hi:[1,1,0] neg_lo:[0,0,1] neg_hi:[0,0,1]
	v_pk_fma_f32 v[18:19], v[18:19], v[22:23], v[30:31] op_sel:[0,0,1] op_sel_hi:[1,0,0]
	v_mov_b32_e32 v35, v19
	v_pk_mul_f32 v[18:19], v[20:21], v[24:25] op_sel:[0,1]
	s_delay_alu instid0(VALU_DEP_1) | instskip(SKIP_1) | instid1(VALU_DEP_1)
	v_pk_fma_f32 v[30:31], v[20:21], v[22:23], v[18:19] op_sel:[0,0,1] op_sel_hi:[1,1,0] neg_lo:[0,0,1] neg_hi:[0,0,1]
	v_pk_fma_f32 v[18:19], v[20:21], v[22:23], v[18:19] op_sel:[0,0,1] op_sel_hi:[1,0,0]
	v_mov_b32_e32 v31, v19
	ds_load_2addr_b64 v[18:21], v40 offset0:43 offset1:44
	v_pk_add_f32 v[176:177], v[176:177], v[34:35] neg_lo:[0,1] neg_hi:[0,1]
	v_pk_add_f32 v[180:181], v[180:181], v[30:31] neg_lo:[0,1] neg_hi:[0,1]
	s_wait_dscnt 0x0
	v_pk_mul_f32 v[30:31], v[18:19], v[24:25] op_sel:[0,1]
	s_delay_alu instid0(VALU_DEP_1) | instskip(SKIP_2) | instid1(VALU_DEP_2)
	v_pk_fma_f32 v[34:35], v[18:19], v[22:23], v[30:31] op_sel:[0,0,1] op_sel_hi:[1,1,0] neg_lo:[0,0,1] neg_hi:[0,0,1]
	v_pk_fma_f32 v[18:19], v[18:19], v[22:23], v[30:31] op_sel:[0,0,1] op_sel_hi:[1,0,0]
	v_dual_mul_f32 v30, v21, v25 :: v_dual_mov_b32 v18, v21
	v_dual_mov_b32 v35, v19 :: v_dual_mov_b32 v19, v20
	s_delay_alu instid0(VALU_DEP_2) | instskip(SKIP_1) | instid1(VALU_DEP_3)
	v_pk_fma_f32 v[30:31], v[20:21], v[182:183], v[30:31] op_sel_hi:[1,1,0] neg_lo:[0,0,1] neg_hi:[0,0,1]
	v_mul_f32_e32 v20, v21, v22
	v_pk_add_f32 v[174:175], v[174:175], v[34:35] neg_lo:[0,1] neg_hi:[0,1]
	s_delay_alu instid0(VALU_DEP_2) | instskip(NEXT) | instid1(VALU_DEP_1)
	v_pk_fma_f32 v[18:19], v[18:19], v[182:183], v[20:21] op_sel_hi:[1,1,0]
	v_mov_b32_e32 v31, v19
	ds_load_2addr_b64 v[18:21], v40 offset0:45 offset1:46
	v_pk_add_f32 v[178:179], v[178:179], v[30:31] neg_lo:[0,1] neg_hi:[0,1]
	s_wait_dscnt 0x0
	v_pk_mul_f32 v[30:31], v[18:19], v[24:25] op_sel:[0,1]
	v_mul_f32_e32 v24, v21, v25
	s_delay_alu instid0(VALU_DEP_2) | instskip(SKIP_2) | instid1(VALU_DEP_4)
	v_pk_fma_f32 v[34:35], v[18:19], v[22:23], v[30:31] op_sel:[0,0,1] op_sel_hi:[1,1,0] neg_lo:[0,0,1] neg_hi:[0,0,1]
	v_pk_fma_f32 v[18:19], v[18:19], v[22:23], v[30:31] op_sel:[0,0,1] op_sel_hi:[1,0,0]
	v_mov_b32_e32 v18, v21
	v_pk_fma_f32 v[24:25], v[20:21], v[182:183], v[24:25] op_sel_hi:[1,1,0] neg_lo:[0,0,1] neg_hi:[0,0,1]
	s_delay_alu instid0(VALU_DEP_3) | instskip(SKIP_1) | instid1(VALU_DEP_2)
	v_dual_mov_b32 v35, v19 :: v_dual_mov_b32 v19, v20
	v_mul_f32_e32 v20, v21, v22
	v_pk_add_f32 v[186:187], v[186:187], v[34:35] neg_lo:[0,1] neg_hi:[0,1]
	s_delay_alu instid0(VALU_DEP_2) | instskip(NEXT) | instid1(VALU_DEP_1)
	v_pk_fma_f32 v[18:19], v[18:19], v[182:183], v[20:21] op_sel_hi:[1,1,0]
	v_mov_b32_e32 v25, v19
	s_delay_alu instid0(VALU_DEP_1)
	v_pk_add_f32 v[188:189], v[188:189], v[24:25] neg_lo:[0,1] neg_hi:[0,1]
.LBB93_370:
	s_or_b32 exec_lo, exec_lo, s1
	s_delay_alu instid0(SALU_CYCLE_1)
	s_mov_b32 s2, exec_lo
	s_wait_dscnt 0x0
	s_barrier_signal -1
	s_barrier_wait -1
	v_cmpx_eq_u32_e32 41, v36
	s_cbranch_execz .LBB93_377
; %bb.371:
	v_dual_mov_b32 v18, v180 :: v_dual_mov_b32 v19, v181
	v_dual_mov_b32 v20, v174 :: v_dual_mov_b32 v21, v175
	ds_store_b64 v37, v[176:177]
	ds_store_2addr_b64 v40, v[18:19], v[20:21] offset0:42 offset1:43
	v_dual_mov_b32 v18, v178 :: v_dual_mov_b32 v19, v179
	v_dual_mov_b32 v20, v186 :: v_dual_mov_b32 v21, v187
	ds_store_2addr_b64 v40, v[18:19], v[20:21] offset0:44 offset1:45
	ds_store_b64 v40, v[188:189] offset:368
	ds_load_b64 v[18:19], v37
	s_wait_dscnt 0x0
	v_cmp_neq_f32_e32 vcc_lo, 0, v18
	v_cmp_neq_f32_e64 s1, 0, v19
	s_or_b32 s1, vcc_lo, s1
	s_delay_alu instid0(SALU_CYCLE_1)
	s_and_b32 exec_lo, exec_lo, s1
	s_cbranch_execz .LBB93_377
; %bb.372:
	v_cmp_ngt_f32_e64 s1, |v18|, |v19|
                                        ; implicit-def: $vgpr20_vgpr21
	s_and_saveexec_b32 s4, s1
	s_delay_alu instid0(SALU_CYCLE_1)
	s_xor_b32 s1, exec_lo, s4
	s_cbranch_execz .LBB93_374
; %bb.373:
	v_div_scale_f32 v20, null, v19, v19, v18
	v_div_scale_f32 v23, vcc_lo, v18, v19, v18
	s_delay_alu instid0(VALU_DEP_2) | instskip(SKIP_1) | instid1(TRANS32_DEP_1)
	v_rcp_f32_e32 v21, v20
	v_nop
	v_fma_f32 v22, -v20, v21, 1.0
	s_delay_alu instid0(VALU_DEP_1) | instskip(NEXT) | instid1(VALU_DEP_1)
	v_fmac_f32_e32 v21, v22, v21
	v_mul_f32_e32 v22, v23, v21
	s_delay_alu instid0(VALU_DEP_1) | instskip(NEXT) | instid1(VALU_DEP_1)
	v_fma_f32 v24, -v20, v22, v23
	v_fmac_f32_e32 v22, v24, v21
	s_delay_alu instid0(VALU_DEP_1) | instskip(NEXT) | instid1(VALU_DEP_1)
	v_fma_f32 v20, -v20, v22, v23
	v_div_fmas_f32 v20, v20, v21, v22
	s_delay_alu instid0(VALU_DEP_1) | instskip(NEXT) | instid1(VALU_DEP_1)
	v_div_fixup_f32 v20, v20, v19, v18
	v_fmac_f32_e32 v19, v18, v20
	s_delay_alu instid0(VALU_DEP_1) | instskip(SKIP_1) | instid1(VALU_DEP_2)
	v_div_scale_f32 v18, null, v19, v19, 1.0
	v_div_scale_f32 v23, vcc_lo, 1.0, v19, 1.0
	v_rcp_f32_e32 v21, v18
	v_nop
	s_delay_alu instid0(TRANS32_DEP_1) | instskip(NEXT) | instid1(VALU_DEP_1)
	v_fma_f32 v22, -v18, v21, 1.0
	v_fmac_f32_e32 v21, v22, v21
	s_delay_alu instid0(VALU_DEP_1) | instskip(NEXT) | instid1(VALU_DEP_1)
	v_mul_f32_e32 v22, v23, v21
	v_fma_f32 v24, -v18, v22, v23
	s_delay_alu instid0(VALU_DEP_1) | instskip(NEXT) | instid1(VALU_DEP_1)
	v_fmac_f32_e32 v22, v24, v21
	v_fma_f32 v18, -v18, v22, v23
	s_delay_alu instid0(VALU_DEP_1) | instskip(NEXT) | instid1(VALU_DEP_1)
	v_div_fmas_f32 v18, v18, v21, v22
	v_div_fixup_f32 v18, v18, v19, 1.0
	s_delay_alu instid0(VALU_DEP_1)
	v_mul_f32_e32 v20, v20, v18
	v_xor_b32_e32 v21, 0x80000000, v18
                                        ; implicit-def: $vgpr18_vgpr19
.LBB93_374:
	s_and_not1_saveexec_b32 s1, s1
	s_cbranch_execz .LBB93_376
; %bb.375:
	v_div_scale_f32 v20, null, v18, v18, v19
	v_div_scale_f32 v23, vcc_lo, v19, v18, v19
	s_delay_alu instid0(VALU_DEP_2) | instskip(SKIP_1) | instid1(TRANS32_DEP_1)
	v_rcp_f32_e32 v21, v20
	v_nop
	v_fma_f32 v22, -v20, v21, 1.0
	s_delay_alu instid0(VALU_DEP_1) | instskip(NEXT) | instid1(VALU_DEP_1)
	v_fmac_f32_e32 v21, v22, v21
	v_mul_f32_e32 v22, v23, v21
	s_delay_alu instid0(VALU_DEP_1) | instskip(NEXT) | instid1(VALU_DEP_1)
	v_fma_f32 v24, -v20, v22, v23
	v_fmac_f32_e32 v22, v24, v21
	s_delay_alu instid0(VALU_DEP_1) | instskip(NEXT) | instid1(VALU_DEP_1)
	v_fma_f32 v20, -v20, v22, v23
	v_div_fmas_f32 v20, v20, v21, v22
	s_delay_alu instid0(VALU_DEP_1) | instskip(NEXT) | instid1(VALU_DEP_1)
	v_div_fixup_f32 v21, v20, v18, v19
	v_fmac_f32_e32 v18, v19, v21
	s_delay_alu instid0(VALU_DEP_1) | instskip(NEXT) | instid1(VALU_DEP_1)
	v_div_scale_f32 v19, null, v18, v18, 1.0
	v_rcp_f32_e32 v20, v19
	v_nop
	s_delay_alu instid0(TRANS32_DEP_1) | instskip(NEXT) | instid1(VALU_DEP_1)
	v_fma_f32 v22, -v19, v20, 1.0
	v_fmac_f32_e32 v20, v22, v20
	v_div_scale_f32 v22, vcc_lo, 1.0, v18, 1.0
	s_delay_alu instid0(VALU_DEP_1) | instskip(NEXT) | instid1(VALU_DEP_1)
	v_mul_f32_e32 v23, v22, v20
	v_fma_f32 v24, -v19, v23, v22
	s_delay_alu instid0(VALU_DEP_1) | instskip(NEXT) | instid1(VALU_DEP_1)
	v_fmac_f32_e32 v23, v24, v20
	v_fma_f32 v19, -v19, v23, v22
	s_delay_alu instid0(VALU_DEP_1) | instskip(NEXT) | instid1(VALU_DEP_1)
	v_div_fmas_f32 v19, v19, v20, v23
	v_div_fixup_f32 v20, v19, v18, 1.0
	s_delay_alu instid0(VALU_DEP_1)
	v_mul_f32_e64 v21, v21, -v20
.LBB93_376:
	s_or_b32 exec_lo, exec_lo, s1
	ds_store_b64 v37, v[20:21]
.LBB93_377:
	s_or_b32 exec_lo, exec_lo, s2
	s_wait_dscnt 0x0
	s_barrier_signal -1
	s_barrier_wait -1
	ds_load_b64 v[18:19], v37
	s_mov_b32 s1, exec_lo
	v_cmpx_lt_u32_e32 41, v36
	s_cbranch_execz .LBB93_379
; %bb.378:
	s_wait_dscnt 0x0
	v_pk_mul_f32 v[20:21], v[18:19], v[176:177] op_sel:[1,1] op_sel_hi:[0,1]
	s_delay_alu instid0(VALU_DEP_1)
	v_pk_fma_f32 v[24:25], v[18:19], v[176:177], v[20:21] op_sel_hi:[1,0,1] neg_lo:[0,0,1] neg_hi:[0,0,1]
	v_pk_fma_f32 v[30:31], v[18:19], v[176:177], v[20:21] op_sel_hi:[1,0,1]
	ds_load_2addr_b64 v[20:23], v40 offset0:42 offset1:43
	v_dual_mov_b32 v176, v24 :: v_dual_mov_b32 v177, v31
	s_wait_dscnt 0x0
	v_pk_mul_f32 v[34:35], v[20:21], v[30:31] op_sel:[0,1]
	s_delay_alu instid0(VALU_DEP_1) | instskip(SKIP_1) | instid1(VALU_DEP_1)
	v_pk_fma_f32 v[50:51], v[20:21], v[24:25], v[34:35] op_sel:[0,0,1] op_sel_hi:[1,1,0] neg_lo:[0,0,1] neg_hi:[0,0,1]
	v_pk_fma_f32 v[20:21], v[20:21], v[24:25], v[34:35] op_sel:[0,0,1] op_sel_hi:[1,0,0]
	v_mov_b32_e32 v51, v21
	v_pk_mul_f32 v[20:21], v[22:23], v[30:31] op_sel:[0,1]
	s_delay_alu instid0(VALU_DEP_1) | instskip(SKIP_1) | instid1(VALU_DEP_1)
	v_pk_fma_f32 v[34:35], v[22:23], v[24:25], v[20:21] op_sel:[0,0,1] op_sel_hi:[1,1,0] neg_lo:[0,0,1] neg_hi:[0,0,1]
	v_pk_fma_f32 v[20:21], v[22:23], v[24:25], v[20:21] op_sel:[0,0,1] op_sel_hi:[1,0,0]
	v_mov_b32_e32 v35, v21
	ds_load_2addr_b64 v[20:23], v40 offset0:44 offset1:45
	v_pk_add_f32 v[180:181], v[180:181], v[50:51] neg_lo:[0,1] neg_hi:[0,1]
	v_pk_add_f32 v[174:175], v[174:175], v[34:35] neg_lo:[0,1] neg_hi:[0,1]
	s_wait_dscnt 0x0
	v_pk_mul_f32 v[34:35], v[20:21], v[30:31] op_sel:[0,1]
	s_delay_alu instid0(VALU_DEP_1) | instskip(SKIP_2) | instid1(VALU_DEP_2)
	v_pk_fma_f32 v[50:51], v[20:21], v[24:25], v[34:35] op_sel:[0,0,1] op_sel_hi:[1,1,0] neg_lo:[0,0,1] neg_hi:[0,0,1]
	v_pk_fma_f32 v[20:21], v[20:21], v[24:25], v[34:35] op_sel:[0,0,1] op_sel_hi:[1,0,0]
	v_dual_mul_f32 v34, v23, v31 :: v_dual_mov_b32 v20, v23
	v_dual_mov_b32 v51, v21 :: v_dual_mov_b32 v21, v22
	s_delay_alu instid0(VALU_DEP_2) | instskip(SKIP_1) | instid1(VALU_DEP_3)
	v_pk_fma_f32 v[34:35], v[22:23], v[176:177], v[34:35] op_sel_hi:[1,1,0] neg_lo:[0,0,1] neg_hi:[0,0,1]
	v_mul_f32_e32 v22, v23, v24
	v_pk_add_f32 v[178:179], v[178:179], v[50:51] neg_lo:[0,1] neg_hi:[0,1]
	s_delay_alu instid0(VALU_DEP_2) | instskip(NEXT) | instid1(VALU_DEP_1)
	v_pk_fma_f32 v[20:21], v[20:21], v[176:177], v[22:23] op_sel_hi:[1,1,0]
	v_mov_b32_e32 v35, v21
	ds_load_b64 v[20:21], v40 offset:368
	v_pk_add_f32 v[186:187], v[186:187], v[34:35] neg_lo:[0,1] neg_hi:[0,1]
	s_wait_dscnt 0x0
	v_pk_mul_f32 v[22:23], v[20:21], v[30:31] op_sel:[0,1]
	s_delay_alu instid0(VALU_DEP_1) | instskip(SKIP_1) | instid1(VALU_DEP_1)
	v_pk_fma_f32 v[30:31], v[20:21], v[24:25], v[22:23] op_sel:[0,0,1] op_sel_hi:[1,1,0] neg_lo:[0,0,1] neg_hi:[0,0,1]
	v_pk_fma_f32 v[20:21], v[20:21], v[24:25], v[22:23] op_sel:[0,0,1] op_sel_hi:[1,0,0]
	v_mov_b32_e32 v31, v21
	s_delay_alu instid0(VALU_DEP_1)
	v_pk_add_f32 v[188:189], v[188:189], v[30:31] neg_lo:[0,1] neg_hi:[0,1]
.LBB93_379:
	s_or_b32 exec_lo, exec_lo, s1
	s_delay_alu instid0(SALU_CYCLE_1)
	s_mov_b32 s2, exec_lo
	s_wait_dscnt 0x0
	s_barrier_signal -1
	s_barrier_wait -1
	v_cmpx_eq_u32_e32 42, v36
	s_cbranch_execz .LBB93_386
; %bb.380:
	ds_store_b64 v37, v[180:181]
	ds_store_2addr_b64 v40, v[174:175], v[178:179] offset0:43 offset1:44
	ds_store_2addr_b64 v40, v[186:187], v[188:189] offset0:45 offset1:46
	ds_load_b64 v[20:21], v37
	s_wait_dscnt 0x0
	v_cmp_neq_f32_e32 vcc_lo, 0, v20
	v_cmp_neq_f32_e64 s1, 0, v21
	s_or_b32 s1, vcc_lo, s1
	s_delay_alu instid0(SALU_CYCLE_1)
	s_and_b32 exec_lo, exec_lo, s1
	s_cbranch_execz .LBB93_386
; %bb.381:
	v_cmp_ngt_f32_e64 s1, |v20|, |v21|
                                        ; implicit-def: $vgpr22_vgpr23
	s_and_saveexec_b32 s4, s1
	s_delay_alu instid0(SALU_CYCLE_1)
	s_xor_b32 s1, exec_lo, s4
	s_cbranch_execz .LBB93_383
; %bb.382:
	v_div_scale_f32 v22, null, v21, v21, v20
	v_div_scale_f32 v25, vcc_lo, v20, v21, v20
	s_delay_alu instid0(VALU_DEP_2) | instskip(SKIP_1) | instid1(TRANS32_DEP_1)
	v_rcp_f32_e32 v23, v22
	v_nop
	v_fma_f32 v24, -v22, v23, 1.0
	s_delay_alu instid0(VALU_DEP_1) | instskip(NEXT) | instid1(VALU_DEP_1)
	v_fmac_f32_e32 v23, v24, v23
	v_mul_f32_e32 v24, v25, v23
	s_delay_alu instid0(VALU_DEP_1) | instskip(NEXT) | instid1(VALU_DEP_1)
	v_fma_f32 v30, -v22, v24, v25
	v_fmac_f32_e32 v24, v30, v23
	s_delay_alu instid0(VALU_DEP_1) | instskip(NEXT) | instid1(VALU_DEP_1)
	v_fma_f32 v22, -v22, v24, v25
	v_div_fmas_f32 v22, v22, v23, v24
	s_delay_alu instid0(VALU_DEP_1) | instskip(NEXT) | instid1(VALU_DEP_1)
	v_div_fixup_f32 v22, v22, v21, v20
	v_fmac_f32_e32 v21, v20, v22
	s_delay_alu instid0(VALU_DEP_1) | instskip(SKIP_1) | instid1(VALU_DEP_2)
	v_div_scale_f32 v20, null, v21, v21, 1.0
	v_div_scale_f32 v25, vcc_lo, 1.0, v21, 1.0
	v_rcp_f32_e32 v23, v20
	v_nop
	s_delay_alu instid0(TRANS32_DEP_1) | instskip(NEXT) | instid1(VALU_DEP_1)
	v_fma_f32 v24, -v20, v23, 1.0
	v_fmac_f32_e32 v23, v24, v23
	s_delay_alu instid0(VALU_DEP_1) | instskip(NEXT) | instid1(VALU_DEP_1)
	v_mul_f32_e32 v24, v25, v23
	v_fma_f32 v30, -v20, v24, v25
	s_delay_alu instid0(VALU_DEP_1) | instskip(NEXT) | instid1(VALU_DEP_1)
	v_fmac_f32_e32 v24, v30, v23
	v_fma_f32 v20, -v20, v24, v25
	s_delay_alu instid0(VALU_DEP_1) | instskip(NEXT) | instid1(VALU_DEP_1)
	v_div_fmas_f32 v20, v20, v23, v24
	v_div_fixup_f32 v20, v20, v21, 1.0
	s_delay_alu instid0(VALU_DEP_1)
	v_mul_f32_e32 v22, v22, v20
	v_xor_b32_e32 v23, 0x80000000, v20
                                        ; implicit-def: $vgpr20_vgpr21
.LBB93_383:
	s_and_not1_saveexec_b32 s1, s1
	s_cbranch_execz .LBB93_385
; %bb.384:
	v_div_scale_f32 v22, null, v20, v20, v21
	v_div_scale_f32 v25, vcc_lo, v21, v20, v21
	s_delay_alu instid0(VALU_DEP_2) | instskip(SKIP_1) | instid1(TRANS32_DEP_1)
	v_rcp_f32_e32 v23, v22
	v_nop
	v_fma_f32 v24, -v22, v23, 1.0
	s_delay_alu instid0(VALU_DEP_1) | instskip(NEXT) | instid1(VALU_DEP_1)
	v_fmac_f32_e32 v23, v24, v23
	v_mul_f32_e32 v24, v25, v23
	s_delay_alu instid0(VALU_DEP_1) | instskip(NEXT) | instid1(VALU_DEP_1)
	v_fma_f32 v30, -v22, v24, v25
	v_fmac_f32_e32 v24, v30, v23
	s_delay_alu instid0(VALU_DEP_1) | instskip(NEXT) | instid1(VALU_DEP_1)
	v_fma_f32 v22, -v22, v24, v25
	v_div_fmas_f32 v22, v22, v23, v24
	s_delay_alu instid0(VALU_DEP_1) | instskip(NEXT) | instid1(VALU_DEP_1)
	v_div_fixup_f32 v23, v22, v20, v21
	v_fmac_f32_e32 v20, v21, v23
	s_delay_alu instid0(VALU_DEP_1) | instskip(NEXT) | instid1(VALU_DEP_1)
	v_div_scale_f32 v21, null, v20, v20, 1.0
	v_rcp_f32_e32 v22, v21
	v_nop
	s_delay_alu instid0(TRANS32_DEP_1) | instskip(NEXT) | instid1(VALU_DEP_1)
	v_fma_f32 v24, -v21, v22, 1.0
	v_fmac_f32_e32 v22, v24, v22
	v_div_scale_f32 v24, vcc_lo, 1.0, v20, 1.0
	s_delay_alu instid0(VALU_DEP_1) | instskip(NEXT) | instid1(VALU_DEP_1)
	v_mul_f32_e32 v25, v24, v22
	v_fma_f32 v30, -v21, v25, v24
	s_delay_alu instid0(VALU_DEP_1) | instskip(NEXT) | instid1(VALU_DEP_1)
	v_fmac_f32_e32 v25, v30, v22
	v_fma_f32 v21, -v21, v25, v24
	s_delay_alu instid0(VALU_DEP_1) | instskip(NEXT) | instid1(VALU_DEP_1)
	v_div_fmas_f32 v21, v21, v22, v25
	v_div_fixup_f32 v22, v21, v20, 1.0
	s_delay_alu instid0(VALU_DEP_1)
	v_mul_f32_e64 v23, v23, -v22
.LBB93_385:
	s_or_b32 exec_lo, exec_lo, s1
	ds_store_b64 v37, v[22:23]
.LBB93_386:
	s_or_b32 exec_lo, exec_lo, s2
	s_wait_dscnt 0x0
	s_barrier_signal -1
	s_barrier_wait -1
	ds_load_b64 v[22:23], v37
	s_mov_b32 s1, exec_lo
	v_cmpx_lt_u32_e32 42, v36
	s_cbranch_execz .LBB93_388
; %bb.387:
	ds_load_2addr_b64 v[50:53], v40 offset0:43 offset1:44
	s_wait_dscnt 0x1
	v_pk_mul_f32 v[20:21], v[22:23], v[180:181] op_sel:[1,1] op_sel_hi:[0,1]
	s_delay_alu instid0(VALU_DEP_1) | instskip(SKIP_1) | instid1(VALU_DEP_1)
	v_pk_fma_f32 v[24:25], v[22:23], v[180:181], v[20:21] op_sel_hi:[1,0,1] neg_lo:[0,0,1] neg_hi:[0,0,1]
	v_pk_fma_f32 v[20:21], v[22:23], v[180:181], v[20:21] op_sel_hi:[1,0,1]
	v_dual_mov_b32 v180, v24 :: v_dual_mov_b32 v181, v21
	s_wait_dscnt 0x0
	s_delay_alu instid0(VALU_DEP_2) | instskip(NEXT) | instid1(VALU_DEP_1)
	v_pk_mul_f32 v[30:31], v[50:51], v[20:21] op_sel:[0,1]
	v_pk_fma_f32 v[34:35], v[50:51], v[24:25], v[30:31] op_sel:[0,0,1] op_sel_hi:[1,1,0] neg_lo:[0,0,1] neg_hi:[0,0,1]
	v_pk_fma_f32 v[30:31], v[50:51], v[24:25], v[30:31] op_sel:[0,0,1] op_sel_hi:[1,0,0]
	s_delay_alu instid0(VALU_DEP_1) | instskip(SKIP_1) | instid1(VALU_DEP_2)
	v_mov_b32_e32 v35, v31
	v_pk_mul_f32 v[30:31], v[52:53], v[20:21] op_sel:[0,1]
	v_pk_add_f32 v[174:175], v[174:175], v[34:35] neg_lo:[0,1] neg_hi:[0,1]
	s_delay_alu instid0(VALU_DEP_2) | instskip(SKIP_3) | instid1(VALU_DEP_1)
	v_pk_fma_f32 v[34:35], v[52:53], v[24:25], v[30:31] op_sel:[0,0,1] op_sel_hi:[1,1,0] neg_lo:[0,0,1] neg_hi:[0,0,1]
	v_pk_fma_f32 v[30:31], v[52:53], v[24:25], v[30:31] op_sel:[0,0,1] op_sel_hi:[1,0,0]
	ds_load_2addr_b64 v[50:53], v40 offset0:45 offset1:46
	v_mov_b32_e32 v35, v31
	v_pk_add_f32 v[178:179], v[178:179], v[34:35] neg_lo:[0,1] neg_hi:[0,1]
	s_wait_dscnt 0x0
	v_pk_mul_f32 v[30:31], v[50:51], v[20:21] op_sel:[0,1]
	s_delay_alu instid0(VALU_DEP_1) | instskip(SKIP_1) | instid1(VALU_DEP_1)
	v_pk_fma_f32 v[34:35], v[50:51], v[24:25], v[30:31] op_sel:[0,0,1] op_sel_hi:[1,1,0] neg_lo:[0,0,1] neg_hi:[0,0,1]
	v_pk_fma_f32 v[30:31], v[50:51], v[24:25], v[30:31] op_sel:[0,0,1] op_sel_hi:[1,0,0]
	v_dual_mov_b32 v30, v53 :: v_dual_mov_b32 v35, v31
	v_mov_b32_e32 v31, v52
	s_delay_alu instid0(VALU_DEP_1) | instskip(NEXT) | instid1(VALU_DEP_1)
	v_pk_mul_f32 v[20:21], v[30:31], v[20:21] op_sel:[0,1]
	v_pk_fma_f32 v[30:31], v[52:53], v[24:25], v[20:21] neg_lo:[0,0,1] neg_hi:[0,0,1]
	v_pk_fma_f32 v[20:21], v[52:53], v[24:25], v[20:21] op_sel_hi:[1,0,1]
	s_delay_alu instid0(VALU_DEP_1) | instskip(SKIP_1) | instid1(VALU_DEP_2)
	v_mov_b32_e32 v31, v21
	v_pk_add_f32 v[186:187], v[186:187], v[34:35] neg_lo:[0,1] neg_hi:[0,1]
	v_pk_add_f32 v[188:189], v[188:189], v[30:31] neg_lo:[0,1] neg_hi:[0,1]
.LBB93_388:
	s_or_b32 exec_lo, exec_lo, s1
	s_delay_alu instid0(SALU_CYCLE_1)
	s_mov_b32 s2, exec_lo
	s_wait_dscnt 0x0
	s_barrier_signal -1
	s_barrier_wait -1
	v_cmpx_eq_u32_e32 43, v36
	s_cbranch_execz .LBB93_395
; %bb.389:
	v_dual_mov_b32 v20, v178 :: v_dual_mov_b32 v21, v179
	v_dual_mov_b32 v24, v186 :: v_dual_mov_b32 v25, v187
	ds_store_b64 v37, v[174:175]
	ds_store_2addr_b64 v40, v[20:21], v[24:25] offset0:44 offset1:45
	ds_store_b64 v40, v[188:189] offset:368
	ds_load_b64 v[20:21], v37
	s_wait_dscnt 0x0
	v_cmp_neq_f32_e32 vcc_lo, 0, v20
	v_cmp_neq_f32_e64 s1, 0, v21
	s_or_b32 s1, vcc_lo, s1
	s_delay_alu instid0(SALU_CYCLE_1)
	s_and_b32 exec_lo, exec_lo, s1
	s_cbranch_execz .LBB93_395
; %bb.390:
	v_cmp_ngt_f32_e64 s1, |v20|, |v21|
                                        ; implicit-def: $vgpr24_vgpr25
	s_and_saveexec_b32 s4, s1
	s_delay_alu instid0(SALU_CYCLE_1)
	s_xor_b32 s1, exec_lo, s4
	s_cbranch_execz .LBB93_392
; %bb.391:
	v_div_scale_f32 v24, null, v21, v21, v20
	v_div_scale_f32 v31, vcc_lo, v20, v21, v20
	s_delay_alu instid0(VALU_DEP_2) | instskip(SKIP_1) | instid1(TRANS32_DEP_1)
	v_rcp_f32_e32 v25, v24
	v_nop
	v_fma_f32 v30, -v24, v25, 1.0
	s_delay_alu instid0(VALU_DEP_1) | instskip(NEXT) | instid1(VALU_DEP_1)
	v_fmac_f32_e32 v25, v30, v25
	v_mul_f32_e32 v30, v31, v25
	s_delay_alu instid0(VALU_DEP_1) | instskip(NEXT) | instid1(VALU_DEP_1)
	v_fma_f32 v34, -v24, v30, v31
	v_fmac_f32_e32 v30, v34, v25
	s_delay_alu instid0(VALU_DEP_1) | instskip(NEXT) | instid1(VALU_DEP_1)
	v_fma_f32 v24, -v24, v30, v31
	v_div_fmas_f32 v24, v24, v25, v30
	s_delay_alu instid0(VALU_DEP_1) | instskip(NEXT) | instid1(VALU_DEP_1)
	v_div_fixup_f32 v24, v24, v21, v20
	v_fmac_f32_e32 v21, v20, v24
	s_delay_alu instid0(VALU_DEP_1) | instskip(SKIP_1) | instid1(VALU_DEP_2)
	v_div_scale_f32 v20, null, v21, v21, 1.0
	v_div_scale_f32 v31, vcc_lo, 1.0, v21, 1.0
	v_rcp_f32_e32 v25, v20
	v_nop
	s_delay_alu instid0(TRANS32_DEP_1) | instskip(NEXT) | instid1(VALU_DEP_1)
	v_fma_f32 v30, -v20, v25, 1.0
	v_fmac_f32_e32 v25, v30, v25
	s_delay_alu instid0(VALU_DEP_1) | instskip(NEXT) | instid1(VALU_DEP_1)
	v_mul_f32_e32 v30, v31, v25
	v_fma_f32 v34, -v20, v30, v31
	s_delay_alu instid0(VALU_DEP_1) | instskip(NEXT) | instid1(VALU_DEP_1)
	v_fmac_f32_e32 v30, v34, v25
	v_fma_f32 v20, -v20, v30, v31
	s_delay_alu instid0(VALU_DEP_1) | instskip(NEXT) | instid1(VALU_DEP_1)
	v_div_fmas_f32 v20, v20, v25, v30
	v_div_fixup_f32 v20, v20, v21, 1.0
	s_delay_alu instid0(VALU_DEP_1)
	v_mul_f32_e32 v24, v24, v20
	v_xor_b32_e32 v25, 0x80000000, v20
                                        ; implicit-def: $vgpr20_vgpr21
.LBB93_392:
	s_and_not1_saveexec_b32 s1, s1
	s_cbranch_execz .LBB93_394
; %bb.393:
	v_div_scale_f32 v24, null, v20, v20, v21
	v_div_scale_f32 v31, vcc_lo, v21, v20, v21
	s_delay_alu instid0(VALU_DEP_2) | instskip(SKIP_1) | instid1(TRANS32_DEP_1)
	v_rcp_f32_e32 v25, v24
	v_nop
	v_fma_f32 v30, -v24, v25, 1.0
	s_delay_alu instid0(VALU_DEP_1) | instskip(NEXT) | instid1(VALU_DEP_1)
	v_fmac_f32_e32 v25, v30, v25
	v_mul_f32_e32 v30, v31, v25
	s_delay_alu instid0(VALU_DEP_1) | instskip(NEXT) | instid1(VALU_DEP_1)
	v_fma_f32 v34, -v24, v30, v31
	v_fmac_f32_e32 v30, v34, v25
	s_delay_alu instid0(VALU_DEP_1) | instskip(NEXT) | instid1(VALU_DEP_1)
	v_fma_f32 v24, -v24, v30, v31
	v_div_fmas_f32 v24, v24, v25, v30
	s_delay_alu instid0(VALU_DEP_1) | instskip(NEXT) | instid1(VALU_DEP_1)
	v_div_fixup_f32 v25, v24, v20, v21
	v_fmac_f32_e32 v20, v21, v25
	s_delay_alu instid0(VALU_DEP_1) | instskip(NEXT) | instid1(VALU_DEP_1)
	v_div_scale_f32 v21, null, v20, v20, 1.0
	v_rcp_f32_e32 v24, v21
	v_nop
	s_delay_alu instid0(TRANS32_DEP_1) | instskip(NEXT) | instid1(VALU_DEP_1)
	v_fma_f32 v30, -v21, v24, 1.0
	v_fmac_f32_e32 v24, v30, v24
	v_div_scale_f32 v30, vcc_lo, 1.0, v20, 1.0
	s_delay_alu instid0(VALU_DEP_1) | instskip(NEXT) | instid1(VALU_DEP_1)
	v_mul_f32_e32 v31, v30, v24
	v_fma_f32 v34, -v21, v31, v30
	s_delay_alu instid0(VALU_DEP_1) | instskip(NEXT) | instid1(VALU_DEP_1)
	v_fmac_f32_e32 v31, v34, v24
	v_fma_f32 v21, -v21, v31, v30
	s_delay_alu instid0(VALU_DEP_1) | instskip(NEXT) | instid1(VALU_DEP_1)
	v_div_fmas_f32 v21, v21, v24, v31
	v_div_fixup_f32 v24, v21, v20, 1.0
	s_delay_alu instid0(VALU_DEP_1)
	v_mul_f32_e64 v25, v25, -v24
.LBB93_394:
	s_or_b32 exec_lo, exec_lo, s1
	ds_store_b64 v37, v[24:25]
.LBB93_395:
	s_or_b32 exec_lo, exec_lo, s2
	s_wait_dscnt 0x0
	s_barrier_signal -1
	s_barrier_wait -1
	ds_load_b64 v[24:25], v37
	s_mov_b32 s1, exec_lo
	v_cmpx_lt_u32_e32 43, v36
	s_cbranch_execz .LBB93_397
; %bb.396:
	ds_load_2addr_b64 v[50:53], v40 offset0:44 offset1:45
	s_wait_dscnt 0x1
	v_pk_mul_f32 v[20:21], v[24:25], v[174:175] op_sel:[1,1] op_sel_hi:[0,1]
	s_delay_alu instid0(VALU_DEP_1) | instskip(SKIP_1) | instid1(VALU_DEP_1)
	v_pk_fma_f32 v[30:31], v[24:25], v[174:175], v[20:21] op_sel_hi:[1,0,1] neg_lo:[0,0,1] neg_hi:[0,0,1]
	v_pk_fma_f32 v[20:21], v[24:25], v[174:175], v[20:21] op_sel_hi:[1,0,1]
	v_dual_mov_b32 v174, v30 :: v_dual_mov_b32 v175, v21
	s_wait_dscnt 0x0
	s_delay_alu instid0(VALU_DEP_2) | instskip(NEXT) | instid1(VALU_DEP_1)
	v_pk_mul_f32 v[34:35], v[50:51], v[20:21] op_sel:[0,1]
	v_pk_fma_f32 v[54:55], v[50:51], v[30:31], v[34:35] op_sel:[0,0,1] op_sel_hi:[1,1,0] neg_lo:[0,0,1] neg_hi:[0,0,1]
	v_pk_fma_f32 v[34:35], v[50:51], v[30:31], v[34:35] op_sel:[0,0,1] op_sel_hi:[1,0,0]
	s_delay_alu instid0(VALU_DEP_1) | instskip(SKIP_1) | instid1(VALU_DEP_1)
	v_mov_b32_e32 v55, v35
	v_pk_mul_f32 v[34:35], v[52:53], v[20:21] op_sel:[0,1]
	v_pk_fma_f32 v[50:51], v[52:53], v[30:31], v[34:35] op_sel:[0,0,1] op_sel_hi:[1,1,0] neg_lo:[0,0,1] neg_hi:[0,0,1]
	v_pk_fma_f32 v[34:35], v[52:53], v[30:31], v[34:35] op_sel:[0,0,1] op_sel_hi:[1,0,0]
	s_delay_alu instid0(VALU_DEP_1)
	v_mov_b32_e32 v51, v35
	ds_load_b64 v[34:35], v40 offset:368
	v_pk_add_f32 v[178:179], v[178:179], v[54:55] neg_lo:[0,1] neg_hi:[0,1]
	v_pk_add_f32 v[186:187], v[186:187], v[50:51] neg_lo:[0,1] neg_hi:[0,1]
	s_wait_dscnt 0x0
	v_pk_mul_f32 v[20:21], v[34:35], v[20:21] op_sel:[1,1] op_sel_hi:[0,1]
	s_delay_alu instid0(VALU_DEP_1) | instskip(SKIP_1) | instid1(VALU_DEP_1)
	v_pk_fma_f32 v[50:51], v[34:35], v[30:31], v[20:21] neg_lo:[0,0,1] neg_hi:[0,0,1]
	v_pk_fma_f32 v[20:21], v[34:35], v[30:31], v[20:21] op_sel_hi:[1,0,1]
	v_mov_b32_e32 v51, v21
	s_delay_alu instid0(VALU_DEP_1)
	v_pk_add_f32 v[188:189], v[188:189], v[50:51] neg_lo:[0,1] neg_hi:[0,1]
.LBB93_397:
	s_or_b32 exec_lo, exec_lo, s1
	s_delay_alu instid0(SALU_CYCLE_1)
	s_mov_b32 s2, exec_lo
	s_wait_dscnt 0x0
	s_barrier_signal -1
	s_barrier_wait -1
	v_cmpx_eq_u32_e32 44, v36
	s_cbranch_execz .LBB93_404
; %bb.398:
	ds_store_b64 v37, v[178:179]
	ds_store_2addr_b64 v40, v[186:187], v[188:189] offset0:45 offset1:46
	ds_load_b64 v[20:21], v37
	s_wait_dscnt 0x0
	v_cmp_neq_f32_e32 vcc_lo, 0, v20
	v_cmp_neq_f32_e64 s1, 0, v21
	s_or_b32 s1, vcc_lo, s1
	s_delay_alu instid0(SALU_CYCLE_1)
	s_and_b32 exec_lo, exec_lo, s1
	s_cbranch_execz .LBB93_404
; %bb.399:
	v_cmp_ngt_f32_e64 s1, |v20|, |v21|
                                        ; implicit-def: $vgpr30_vgpr31
	s_and_saveexec_b32 s4, s1
	s_delay_alu instid0(SALU_CYCLE_1)
	s_xor_b32 s1, exec_lo, s4
	s_cbranch_execz .LBB93_401
; %bb.400:
	v_div_scale_f32 v30, null, v21, v21, v20
	v_div_scale_f32 v35, vcc_lo, v20, v21, v20
	s_delay_alu instid0(VALU_DEP_2) | instskip(SKIP_1) | instid1(TRANS32_DEP_1)
	v_rcp_f32_e32 v31, v30
	v_nop
	v_fma_f32 v34, -v30, v31, 1.0
	s_delay_alu instid0(VALU_DEP_1) | instskip(NEXT) | instid1(VALU_DEP_1)
	v_fmac_f32_e32 v31, v34, v31
	v_mul_f32_e32 v34, v35, v31
	s_delay_alu instid0(VALU_DEP_1) | instskip(NEXT) | instid1(VALU_DEP_1)
	v_fma_f32 v41, -v30, v34, v35
	v_fmac_f32_e32 v34, v41, v31
	s_delay_alu instid0(VALU_DEP_1) | instskip(NEXT) | instid1(VALU_DEP_1)
	v_fma_f32 v30, -v30, v34, v35
	v_div_fmas_f32 v30, v30, v31, v34
	s_delay_alu instid0(VALU_DEP_1) | instskip(NEXT) | instid1(VALU_DEP_1)
	v_div_fixup_f32 v30, v30, v21, v20
	v_fmac_f32_e32 v21, v20, v30
	s_delay_alu instid0(VALU_DEP_1) | instskip(SKIP_1) | instid1(VALU_DEP_2)
	v_div_scale_f32 v20, null, v21, v21, 1.0
	v_div_scale_f32 v35, vcc_lo, 1.0, v21, 1.0
	v_rcp_f32_e32 v31, v20
	v_nop
	s_delay_alu instid0(TRANS32_DEP_1) | instskip(NEXT) | instid1(VALU_DEP_1)
	v_fma_f32 v34, -v20, v31, 1.0
	v_fmac_f32_e32 v31, v34, v31
	s_delay_alu instid0(VALU_DEP_1) | instskip(NEXT) | instid1(VALU_DEP_1)
	v_mul_f32_e32 v34, v35, v31
	v_fma_f32 v41, -v20, v34, v35
	s_delay_alu instid0(VALU_DEP_1) | instskip(NEXT) | instid1(VALU_DEP_1)
	v_fmac_f32_e32 v34, v41, v31
	v_fma_f32 v20, -v20, v34, v35
	s_delay_alu instid0(VALU_DEP_1) | instskip(NEXT) | instid1(VALU_DEP_1)
	v_div_fmas_f32 v20, v20, v31, v34
	v_div_fixup_f32 v20, v20, v21, 1.0
	s_delay_alu instid0(VALU_DEP_1)
	v_mul_f32_e32 v30, v30, v20
	v_xor_b32_e32 v31, 0x80000000, v20
                                        ; implicit-def: $vgpr20_vgpr21
.LBB93_401:
	s_and_not1_saveexec_b32 s1, s1
	s_cbranch_execz .LBB93_403
; %bb.402:
	v_div_scale_f32 v30, null, v20, v20, v21
	v_div_scale_f32 v35, vcc_lo, v21, v20, v21
	s_delay_alu instid0(VALU_DEP_2) | instskip(SKIP_1) | instid1(TRANS32_DEP_1)
	v_rcp_f32_e32 v31, v30
	v_nop
	v_fma_f32 v34, -v30, v31, 1.0
	s_delay_alu instid0(VALU_DEP_1) | instskip(NEXT) | instid1(VALU_DEP_1)
	v_fmac_f32_e32 v31, v34, v31
	v_mul_f32_e32 v34, v35, v31
	s_delay_alu instid0(VALU_DEP_1) | instskip(NEXT) | instid1(VALU_DEP_1)
	v_fma_f32 v41, -v30, v34, v35
	v_fmac_f32_e32 v34, v41, v31
	s_delay_alu instid0(VALU_DEP_1) | instskip(NEXT) | instid1(VALU_DEP_1)
	v_fma_f32 v30, -v30, v34, v35
	v_div_fmas_f32 v30, v30, v31, v34
	s_delay_alu instid0(VALU_DEP_1) | instskip(NEXT) | instid1(VALU_DEP_1)
	v_div_fixup_f32 v31, v30, v20, v21
	v_fmac_f32_e32 v20, v21, v31
	s_delay_alu instid0(VALU_DEP_1) | instskip(NEXT) | instid1(VALU_DEP_1)
	v_div_scale_f32 v21, null, v20, v20, 1.0
	v_rcp_f32_e32 v30, v21
	v_nop
	s_delay_alu instid0(TRANS32_DEP_1) | instskip(NEXT) | instid1(VALU_DEP_1)
	v_fma_f32 v34, -v21, v30, 1.0
	v_fmac_f32_e32 v30, v34, v30
	v_div_scale_f32 v34, vcc_lo, 1.0, v20, 1.0
	s_delay_alu instid0(VALU_DEP_1) | instskip(NEXT) | instid1(VALU_DEP_1)
	v_mul_f32_e32 v35, v34, v30
	v_fma_f32 v41, -v21, v35, v34
	s_delay_alu instid0(VALU_DEP_1) | instskip(NEXT) | instid1(VALU_DEP_1)
	v_fmac_f32_e32 v35, v41, v30
	v_fma_f32 v21, -v21, v35, v34
	s_delay_alu instid0(VALU_DEP_1) | instskip(NEXT) | instid1(VALU_DEP_1)
	v_div_fmas_f32 v21, v21, v30, v35
	v_div_fixup_f32 v30, v21, v20, 1.0
	s_delay_alu instid0(VALU_DEP_1)
	v_mul_f32_e64 v31, v31, -v30
.LBB93_403:
	s_or_b32 exec_lo, exec_lo, s1
	ds_store_b64 v37, v[30:31]
.LBB93_404:
	s_or_b32 exec_lo, exec_lo, s2
	s_wait_dscnt 0x0
	s_barrier_signal -1
	s_barrier_wait -1
	ds_load_b64 v[30:31], v37
	s_mov_b32 s1, exec_lo
	v_cmpx_lt_u32_e32 44, v36
	s_cbranch_execz .LBB93_406
; %bb.405:
	ds_load_2addr_b64 v[50:53], v40 offset0:45 offset1:46
	s_wait_dscnt 0x1
	v_pk_mul_f32 v[20:21], v[30:31], v[178:179] op_sel:[1,1] op_sel_hi:[0,1]
	v_mov_b32_e32 v41, v36
	scratch_store_b64 off, v[30:31], off offset:152 ; 8-byte Folded Spill
	v_pk_fma_f32 v[34:35], v[30:31], v[178:179], v[20:21] op_sel_hi:[1,0,1] neg_lo:[0,0,1] neg_hi:[0,0,1]
	v_pk_fma_f32 v[20:21], v[30:31], v[178:179], v[20:21] op_sel_hi:[1,0,1]
	s_wait_xcnt 0x0
	v_mov_b64_e32 v[30:31], v[24:25]
	v_mov_b64_e32 v[24:25], v[22:23]
	v_mov_b32_e32 v22, v37
	v_mov_b64_e32 v[36:37], v[18:19]
	v_mov_b64_e32 v[18:19], v[174:175]
	;; [unrolled: 1-line block ×9, first 2 shown]
	s_wait_dscnt 0x0
	v_pk_mul_f32 v[54:55], v[50:51], v[20:21] op_sel:[0,1]
	v_mov_b64_e32 v[160:161], v[158:159]
	v_mov_b64_e32 v[158:159], v[162:163]
	;; [unrolled: 1-line block ×107, first 2 shown]
	v_pk_fma_f32 v[56:57], v[50:51], v[34:35], v[54:55] op_sel:[0,0,1] op_sel_hi:[1,1,0] neg_lo:[0,0,1] neg_hi:[0,0,1]
	v_pk_fma_f32 v[50:51], v[50:51], v[34:35], v[54:55] op_sel:[0,0,1] op_sel_hi:[1,0,0]
	v_dual_mov_b32 v50, v53 :: v_dual_mov_b32 v178, v34
	s_delay_alu instid0(VALU_DEP_2) | instskip(SKIP_1) | instid1(VALU_DEP_2)
	v_dual_mov_b32 v179, v21 :: v_dual_mov_b32 v57, v51
	v_mov_b32_e32 v51, v52
	v_pk_add_f32 v[186:187], v[186:187], v[56:57] neg_lo:[0,1] neg_hi:[0,1]
	v_mov_b64_e32 v[56:57], v[72:73]
	v_mov_b64_e32 v[72:73], v[74:75]
	;; [unrolled: 1-line block ×116, first 2 shown]
	v_mov_b32_e32 v37, v22
	v_mov_b64_e32 v[22:23], v[24:25]
	v_mov_b64_e32 v[24:25], v[30:31]
	scratch_load_b64 v[30:31], off, off offset:152 ; 8-byte Folded Reload
	v_mov_b32_e32 v36, v41
	v_pk_mul_f32 v[20:21], v[50:51], v[20:21] op_sel:[0,1]
	s_delay_alu instid0(VALU_DEP_1) | instskip(SKIP_1) | instid1(VALU_DEP_1)
	v_pk_fma_f32 v[50:51], v[52:53], v[34:35], v[20:21] neg_lo:[0,0,1] neg_hi:[0,0,1]
	v_pk_fma_f32 v[20:21], v[52:53], v[34:35], v[20:21] op_sel_hi:[1,0,1]
	v_mov_b32_e32 v51, v21
	s_delay_alu instid0(VALU_DEP_1)
	v_pk_add_f32 v[188:189], v[188:189], v[50:51] neg_lo:[0,1] neg_hi:[0,1]
.LBB93_406:
	s_wait_xcnt 0x0
	s_or_b32 exec_lo, exec_lo, s1
	s_delay_alu instid0(SALU_CYCLE_1)
	s_mov_b32 s2, exec_lo
	s_wait_storecnt 0x0
	s_wait_loadcnt_dscnt 0x0
	s_barrier_signal -1
	s_barrier_wait -1
	v_cmpx_eq_u32_e32 45, v36
	s_cbranch_execz .LBB93_413
; %bb.407:
	ds_store_b64 v37, v[186:187]
	ds_store_b64 v40, v[188:189] offset:368
	ds_load_b64 v[20:21], v37
	s_wait_dscnt 0x0
	v_cmp_neq_f32_e32 vcc_lo, 0, v20
	v_cmp_neq_f32_e64 s1, 0, v21
	s_or_b32 s1, vcc_lo, s1
	s_delay_alu instid0(SALU_CYCLE_1)
	s_and_b32 exec_lo, exec_lo, s1
	s_cbranch_execz .LBB93_413
; %bb.408:
	v_cmp_ngt_f32_e64 s1, |v20|, |v21|
                                        ; implicit-def: $vgpr34_vgpr35
	s_and_saveexec_b32 s4, s1
	s_delay_alu instid0(SALU_CYCLE_1)
	s_xor_b32 s1, exec_lo, s4
	s_cbranch_execz .LBB93_410
; %bb.409:
	v_div_scale_f32 v34, null, v21, v21, v20
	v_div_scale_f32 v50, vcc_lo, v20, v21, v20
	s_delay_alu instid0(VALU_DEP_2) | instskip(SKIP_1) | instid1(TRANS32_DEP_1)
	v_rcp_f32_e32 v35, v34
	v_nop
	v_fma_f32 v41, -v34, v35, 1.0
	s_delay_alu instid0(VALU_DEP_1) | instskip(NEXT) | instid1(VALU_DEP_1)
	v_fmac_f32_e32 v35, v41, v35
	v_mul_f32_e32 v41, v50, v35
	s_delay_alu instid0(VALU_DEP_1) | instskip(NEXT) | instid1(VALU_DEP_1)
	v_fma_f32 v51, -v34, v41, v50
	v_fmac_f32_e32 v41, v51, v35
	s_delay_alu instid0(VALU_DEP_1) | instskip(NEXT) | instid1(VALU_DEP_1)
	v_fma_f32 v34, -v34, v41, v50
	v_div_fmas_f32 v34, v34, v35, v41
	s_delay_alu instid0(VALU_DEP_1) | instskip(NEXT) | instid1(VALU_DEP_1)
	v_div_fixup_f32 v34, v34, v21, v20
	v_fmac_f32_e32 v21, v20, v34
	s_delay_alu instid0(VALU_DEP_1) | instskip(SKIP_1) | instid1(VALU_DEP_2)
	v_div_scale_f32 v20, null, v21, v21, 1.0
	v_div_scale_f32 v50, vcc_lo, 1.0, v21, 1.0
	v_rcp_f32_e32 v35, v20
	v_nop
	s_delay_alu instid0(TRANS32_DEP_1) | instskip(NEXT) | instid1(VALU_DEP_1)
	v_fma_f32 v41, -v20, v35, 1.0
	v_fmac_f32_e32 v35, v41, v35
	s_delay_alu instid0(VALU_DEP_1) | instskip(NEXT) | instid1(VALU_DEP_1)
	v_mul_f32_e32 v41, v50, v35
	v_fma_f32 v51, -v20, v41, v50
	s_delay_alu instid0(VALU_DEP_1) | instskip(NEXT) | instid1(VALU_DEP_1)
	v_fmac_f32_e32 v41, v51, v35
	v_fma_f32 v20, -v20, v41, v50
	s_delay_alu instid0(VALU_DEP_1) | instskip(NEXT) | instid1(VALU_DEP_1)
	v_div_fmas_f32 v20, v20, v35, v41
	v_div_fixup_f32 v20, v20, v21, 1.0
	s_delay_alu instid0(VALU_DEP_1)
	v_mul_f32_e32 v34, v34, v20
	v_xor_b32_e32 v35, 0x80000000, v20
                                        ; implicit-def: $vgpr20_vgpr21
.LBB93_410:
	s_and_not1_saveexec_b32 s1, s1
	s_cbranch_execz .LBB93_412
; %bb.411:
	v_div_scale_f32 v34, null, v20, v20, v21
	v_div_scale_f32 v50, vcc_lo, v21, v20, v21
	s_delay_alu instid0(VALU_DEP_2) | instskip(SKIP_1) | instid1(TRANS32_DEP_1)
	v_rcp_f32_e32 v35, v34
	v_nop
	v_fma_f32 v41, -v34, v35, 1.0
	s_delay_alu instid0(VALU_DEP_1) | instskip(NEXT) | instid1(VALU_DEP_1)
	v_fmac_f32_e32 v35, v41, v35
	v_mul_f32_e32 v41, v50, v35
	s_delay_alu instid0(VALU_DEP_1) | instskip(NEXT) | instid1(VALU_DEP_1)
	v_fma_f32 v51, -v34, v41, v50
	v_fmac_f32_e32 v41, v51, v35
	s_delay_alu instid0(VALU_DEP_1) | instskip(NEXT) | instid1(VALU_DEP_1)
	v_fma_f32 v34, -v34, v41, v50
	v_div_fmas_f32 v34, v34, v35, v41
	s_delay_alu instid0(VALU_DEP_1) | instskip(NEXT) | instid1(VALU_DEP_1)
	v_div_fixup_f32 v35, v34, v20, v21
	v_fmac_f32_e32 v20, v21, v35
	s_delay_alu instid0(VALU_DEP_1) | instskip(NEXT) | instid1(VALU_DEP_1)
	v_div_scale_f32 v21, null, v20, v20, 1.0
	v_rcp_f32_e32 v34, v21
	v_nop
	s_delay_alu instid0(TRANS32_DEP_1) | instskip(NEXT) | instid1(VALU_DEP_1)
	v_fma_f32 v41, -v21, v34, 1.0
	v_fmac_f32_e32 v34, v41, v34
	v_div_scale_f32 v41, vcc_lo, 1.0, v20, 1.0
	s_delay_alu instid0(VALU_DEP_1) | instskip(NEXT) | instid1(VALU_DEP_1)
	v_mul_f32_e32 v50, v41, v34
	v_fma_f32 v51, -v21, v50, v41
	s_delay_alu instid0(VALU_DEP_1) | instskip(NEXT) | instid1(VALU_DEP_1)
	v_fmac_f32_e32 v50, v51, v34
	v_fma_f32 v21, -v21, v50, v41
	s_delay_alu instid0(VALU_DEP_1) | instskip(NEXT) | instid1(VALU_DEP_1)
	v_div_fmas_f32 v21, v21, v34, v50
	v_div_fixup_f32 v34, v21, v20, 1.0
	s_delay_alu instid0(VALU_DEP_1)
	v_mul_f32_e64 v35, v35, -v34
.LBB93_412:
	s_or_b32 exec_lo, exec_lo, s1
	ds_store_b64 v37, v[34:35]
.LBB93_413:
	s_or_b32 exec_lo, exec_lo, s2
	s_wait_dscnt 0x0
	s_barrier_signal -1
	s_barrier_wait -1
	ds_load_b64 v[34:35], v37
	s_mov_b32 s1, exec_lo
	v_cmpx_lt_u32_e32 45, v36
	s_cbranch_execz .LBB93_415
; %bb.414:
	ds_load_b64 v[20:21], v40 offset:368
	s_wait_dscnt 0x1
	v_pk_mul_f32 v[40:41], v[34:35], v[186:187] op_sel:[1,1] op_sel_hi:[0,1]
	s_delay_alu instid0(VALU_DEP_1) | instskip(SKIP_2) | instid1(VALU_DEP_2)
	v_pk_fma_f32 v[50:51], v[34:35], v[186:187], v[40:41] op_sel_hi:[1,0,1]
	v_pk_fma_f32 v[186:187], v[34:35], v[186:187], v[40:41] op_sel_hi:[1,0,1] neg_lo:[0,0,1] neg_hi:[0,0,1]
	s_wait_dscnt 0x0
	v_pk_mul_f32 v[40:41], v[20:21], v[50:51] op_sel:[1,1] op_sel_hi:[0,1]
	s_delay_alu instid0(VALU_DEP_1) | instskip(SKIP_1) | instid1(VALU_DEP_2)
	v_pk_fma_f32 v[52:53], v[20:21], v[186:187], v[40:41] op_sel_hi:[1,0,1]
	v_pk_fma_f32 v[20:21], v[20:21], v[186:187], v[40:41] neg_lo:[0,0,1] neg_hi:[0,0,1]
	v_dual_mov_b32 v187, v51 :: v_dual_mov_b32 v21, v53
	s_delay_alu instid0(VALU_DEP_1)
	v_pk_add_f32 v[188:189], v[188:189], v[20:21] neg_lo:[0,1] neg_hi:[0,1]
.LBB93_415:
	s_or_b32 exec_lo, exec_lo, s1
	s_delay_alu instid0(SALU_CYCLE_1)
	s_mov_b32 s2, exec_lo
	s_wait_dscnt 0x0
	s_barrier_signal -1
	s_barrier_wait -1
	v_cmpx_eq_u32_e32 46, v36
	s_cbranch_execz .LBB93_422
; %bb.416:
	v_cmp_neq_f32_e32 vcc_lo, 0, v188
	v_cmp_neq_f32_e64 s1, 0, v189
	ds_store_b64 v37, v[188:189]
	s_or_b32 s1, vcc_lo, s1
	s_delay_alu instid0(SALU_CYCLE_1)
	s_and_b32 exec_lo, exec_lo, s1
	s_cbranch_execz .LBB93_422
; %bb.417:
	v_cmp_ngt_f32_e64 s1, |v188|, |v189|
                                        ; implicit-def: $vgpr20_vgpr21
	s_and_saveexec_b32 s4, s1
	s_delay_alu instid0(SALU_CYCLE_1)
	s_xor_b32 s1, exec_lo, s4
	s_cbranch_execz .LBB93_419
; %bb.418:
	v_div_scale_f32 v20, null, v189, v189, v188
	v_div_scale_f32 v41, vcc_lo, v188, v189, v188
	s_delay_alu instid0(VALU_DEP_2) | instskip(SKIP_1) | instid1(TRANS32_DEP_1)
	v_rcp_f32_e32 v21, v20
	v_nop
	v_fma_f32 v40, -v20, v21, 1.0
	s_delay_alu instid0(VALU_DEP_1) | instskip(NEXT) | instid1(VALU_DEP_1)
	v_fmac_f32_e32 v21, v40, v21
	v_mul_f32_e32 v40, v41, v21
	s_delay_alu instid0(VALU_DEP_1) | instskip(NEXT) | instid1(VALU_DEP_1)
	v_fma_f32 v50, -v20, v40, v41
	v_fmac_f32_e32 v40, v50, v21
	s_delay_alu instid0(VALU_DEP_1) | instskip(NEXT) | instid1(VALU_DEP_1)
	v_fma_f32 v20, -v20, v40, v41
	v_div_fmas_f32 v20, v20, v21, v40
	s_delay_alu instid0(VALU_DEP_1) | instskip(NEXT) | instid1(VALU_DEP_1)
	v_div_fixup_f32 v20, v20, v189, v188
	v_fma_f32 v21, v188, v20, v189
	s_delay_alu instid0(VALU_DEP_1) | instskip(SKIP_1) | instid1(VALU_DEP_2)
	v_div_scale_f32 v40, null, v21, v21, 1.0
	v_div_scale_f32 v51, vcc_lo, 1.0, v21, 1.0
	v_rcp_f32_e32 v41, v40
	v_nop
	s_delay_alu instid0(TRANS32_DEP_1) | instskip(NEXT) | instid1(VALU_DEP_1)
	v_fma_f32 v50, -v40, v41, 1.0
	v_fmac_f32_e32 v41, v50, v41
	s_delay_alu instid0(VALU_DEP_1) | instskip(NEXT) | instid1(VALU_DEP_1)
	v_mul_f32_e32 v50, v51, v41
	v_fma_f32 v52, -v40, v50, v51
	s_delay_alu instid0(VALU_DEP_1) | instskip(NEXT) | instid1(VALU_DEP_1)
	v_fmac_f32_e32 v50, v52, v41
	v_fma_f32 v40, -v40, v50, v51
	s_delay_alu instid0(VALU_DEP_1) | instskip(NEXT) | instid1(VALU_DEP_1)
	v_div_fmas_f32 v40, v40, v41, v50
	v_div_fixup_f32 v21, v40, v21, 1.0
	s_delay_alu instid0(VALU_DEP_1)
	v_mul_f32_e32 v20, v20, v21
	v_xor_b32_e32 v21, 0x80000000, v21
.LBB93_419:
	s_and_not1_saveexec_b32 s1, s1
	s_cbranch_execz .LBB93_421
; %bb.420:
	v_div_scale_f32 v20, null, v188, v188, v189
	v_div_scale_f32 v41, vcc_lo, v189, v188, v189
	s_delay_alu instid0(VALU_DEP_2) | instskip(SKIP_1) | instid1(TRANS32_DEP_1)
	v_rcp_f32_e32 v21, v20
	v_nop
	v_fma_f32 v40, -v20, v21, 1.0
	s_delay_alu instid0(VALU_DEP_1) | instskip(NEXT) | instid1(VALU_DEP_1)
	v_fmac_f32_e32 v21, v40, v21
	v_mul_f32_e32 v40, v41, v21
	s_delay_alu instid0(VALU_DEP_1) | instskip(NEXT) | instid1(VALU_DEP_1)
	v_fma_f32 v50, -v20, v40, v41
	v_fmac_f32_e32 v40, v50, v21
	s_delay_alu instid0(VALU_DEP_1) | instskip(NEXT) | instid1(VALU_DEP_1)
	v_fma_f32 v20, -v20, v40, v41
	v_div_fmas_f32 v20, v20, v21, v40
	s_delay_alu instid0(VALU_DEP_1) | instskip(NEXT) | instid1(VALU_DEP_1)
	v_div_fixup_f32 v21, v20, v188, v189
	v_fma_f32 v20, v189, v21, v188
	s_delay_alu instid0(VALU_DEP_1) | instskip(NEXT) | instid1(VALU_DEP_1)
	v_div_scale_f32 v40, null, v20, v20, 1.0
	v_rcp_f32_e32 v41, v40
	v_nop
	s_delay_alu instid0(TRANS32_DEP_1) | instskip(NEXT) | instid1(VALU_DEP_1)
	v_fma_f32 v50, -v40, v41, 1.0
	v_fmac_f32_e32 v41, v50, v41
	v_div_scale_f32 v50, vcc_lo, 1.0, v20, 1.0
	s_delay_alu instid0(VALU_DEP_1) | instskip(NEXT) | instid1(VALU_DEP_1)
	v_mul_f32_e32 v51, v50, v41
	v_fma_f32 v52, -v40, v51, v50
	s_delay_alu instid0(VALU_DEP_1) | instskip(NEXT) | instid1(VALU_DEP_1)
	v_fmac_f32_e32 v51, v52, v41
	v_fma_f32 v40, -v40, v51, v50
	s_delay_alu instid0(VALU_DEP_1) | instskip(NEXT) | instid1(VALU_DEP_1)
	v_div_fmas_f32 v40, v40, v41, v51
	v_div_fixup_f32 v20, v40, v20, 1.0
	s_delay_alu instid0(VALU_DEP_1)
	v_mul_f32_e64 v21, v21, -v20
.LBB93_421:
	s_or_b32 exec_lo, exec_lo, s1
	ds_store_b64 v37, v[20:21]
.LBB93_422:
	s_or_b32 exec_lo, exec_lo, s2
	s_wait_dscnt 0x0
	s_barrier_signal -1
	s_barrier_wait -1
	ds_load_b64 v[20:21], v37
	s_wait_dscnt 0x0
	s_barrier_signal -1
	s_barrier_wait -1
	s_and_saveexec_b32 s2, s0
	s_cbranch_execz .LBB93_425
; %bb.423:
	scratch_load_b64 v[40:41], off, off offset:144 th:TH_LOAD_LU ; 8-byte Folded Reload
	s_wait_loadcnt 0x0
	v_cmp_eq_f32_e32 vcc_lo, 0, v40
	v_cmp_eq_f32_e64 s0, 0, v41
	s_and_b32 s1, vcc_lo, s0
	v_cmp_neq_f32_e32 vcc_lo, 0, v192
	v_cmp_neq_f32_e64 s0, 0, v193
	v_cndmask_b32_e64 v37, 0, 1, s1
	s_or_b32 s0, vcc_lo, s0
	s_delay_alu instid0(SALU_CYCLE_1) | instskip(SKIP_1) | instid1(VALU_DEP_2)
	s_or_b32 vcc_lo, s0, s1
	v_cmp_eq_f32_e64 s0, 0, v195
	v_cndmask_b32_e32 v37, 2, v37, vcc_lo
	v_cmp_eq_f32_e32 vcc_lo, 0, v194
	v_cmp_eq_f32_e64 s1, 0, v21
	s_and_b32 s0, vcc_lo, s0
	v_cmp_eq_u32_e32 vcc_lo, 0, v37
	s_and_b32 s0, s0, vcc_lo
	v_cmp_eq_f32_e32 vcc_lo, 0, v196
	v_cndmask_b32_e64 v37, v37, 3, s0
	v_cmp_eq_f32_e64 s0, 0, v197
	s_and_b32 s0, vcc_lo, s0
	v_cmp_eq_u32_e32 vcc_lo, 0, v37
	s_and_b32 s0, s0, vcc_lo
	v_cmp_eq_f32_e32 vcc_lo, 0, v198
	v_cndmask_b32_e64 v37, v37, 4, s0
	;; [unrolled: 6-line block ×43, first 2 shown]
	v_cmp_eq_f32_e64 s0, 0, v35
	s_and_b32 s0, vcc_lo, s0
	v_cmp_eq_u32_e32 vcc_lo, 0, v0
	s_and_b32 s0, s0, vcc_lo
	s_delay_alu instid0(SALU_CYCLE_1) | instskip(SKIP_1) | instid1(VALU_DEP_2)
	v_cndmask_b32_e64 v0, v0, 46, s0
	v_cmp_eq_f32_e64 s0, 0, v20
	v_cmp_eq_u32_e32 vcc_lo, 0, v0
	s_and_b32 s0, s0, s1
	s_delay_alu instid0(SALU_CYCLE_1) | instskip(NEXT) | instid1(SALU_CYCLE_1)
	s_and_b32 s0, s0, vcc_lo
	v_cndmask_b32_e64 v2, v0, 47, s0
	v_lshl_add_u64 v[0:1], v[184:185], 2, s[6:7]
	s_delay_alu instid0(VALU_DEP_2) | instskip(SKIP_4) | instid1(SALU_CYCLE_1)
	v_cmp_ne_u32_e64 s0, 0, v2
	global_load_b32 v3, v[0:1], off
	s_wait_loadcnt 0x0
	v_cmp_eq_u32_e32 vcc_lo, 0, v3
	s_and_b32 s0, vcc_lo, s0
	s_and_b32 exec_lo, exec_lo, s0
	s_cbranch_execz .LBB93_425
; %bb.424:
	v_add_nc_u32_e32 v2, s3, v2
	global_store_b32 v[0:1], v2, off
.LBB93_425:
	s_wait_xcnt 0x0
	s_or_b32 exec_lo, exec_lo, s2
	v_pk_mul_f32 v[0:1], v[20:21], v[188:189] op_sel:[1,1] op_sel_hi:[0,1]
	v_cmp_lt_u32_e32 vcc_lo, 46, v36
	s_clause 0x1c
	global_store_b64 v[16:17], v[62:63], off
	global_store_b64 v[118:119], v[98:99], off
	;; [unrolled: 1-line block ×29, first 2 shown]
	v_pk_fma_f32 v[2:3], v[20:21], v[188:189], v[0:1] op_sel_hi:[1,0,1]
	v_pk_fma_f32 v[0:1], v[20:21], v[188:189], v[0:1] neg_lo:[0,0,1] neg_hi:[0,0,1]
	s_delay_alu instid0(VALU_DEP_1)
	v_dual_cndmask_b32 v1, v189, v3 :: v_dual_cndmask_b32 v0, v188, v0
	scratch_load_b64 v[2:3], off, off th:TH_LOAD_LU ; 8-byte Folded Reload
	s_wait_loadcnt 0x0
	global_store_b64 v[2:3], v[124:125], off
	scratch_load_b64 v[2:3], off, off offset:8 th:TH_LOAD_LU ; 8-byte Folded Reload
	s_wait_loadcnt 0x0
	global_store_b64 v[2:3], v[126:127], off
	scratch_load_b64 v[2:3], off, off offset:16 th:TH_LOAD_LU ; 8-byte Folded Reload
	s_wait_loadcnt 0x0
	global_store_b64 v[2:3], v[122:123], off
	scratch_load_b64 v[2:3], off, off offset:24 th:TH_LOAD_LU ; 8-byte Folded Reload
	s_wait_loadcnt 0x0
	global_store_b64 v[2:3], v[144:145], off
	scratch_load_b64 v[2:3], off, off offset:32 th:TH_LOAD_LU ; 8-byte Folded Reload
	s_wait_loadcnt 0x0
	global_store_b64 v[2:3], v[140:141], off
	scratch_load_b64 v[2:3], off, off offset:40 th:TH_LOAD_LU ; 8-byte Folded Reload
	s_wait_loadcnt 0x0
	global_store_b64 v[2:3], v[142:143], off
	scratch_load_b64 v[2:3], off, off offset:48 th:TH_LOAD_LU ; 8-byte Folded Reload
	s_wait_loadcnt 0x0
	global_store_b64 v[2:3], v[138:139], off
	scratch_load_b64 v[2:3], off, off offset:56 th:TH_LOAD_LU ; 8-byte Folded Reload
	s_wait_loadcnt 0x0
	global_store_b64 v[2:3], v[162:163], off
	scratch_load_b64 v[2:3], off, off offset:64 th:TH_LOAD_LU ; 8-byte Folded Reload
	s_wait_loadcnt 0x0
	global_store_b64 v[2:3], v[158:159], off
	scratch_load_b64 v[2:3], off, off offset:72 th:TH_LOAD_LU ; 8-byte Folded Reload
	s_wait_loadcnt 0x0
	global_store_b64 v[2:3], v[160:161], off
	scratch_load_b64 v[2:3], off, off offset:80 th:TH_LOAD_LU ; 8-byte Folded Reload
	s_wait_loadcnt 0x0
	global_store_b64 v[2:3], v[156:157], off
	scratch_load_b64 v[2:3], off, off offset:88 th:TH_LOAD_LU ; 8-byte Folded Reload
	s_wait_loadcnt 0x0
	global_store_b64 v[2:3], v[182:183], off
	scratch_load_b64 v[2:3], off, off offset:96 th:TH_LOAD_LU ; 8-byte Folded Reload
	s_wait_loadcnt 0x0
	global_store_b64 v[2:3], v[176:177], off
	scratch_load_b64 v[2:3], off, off offset:112 th:TH_LOAD_LU ; 8-byte Folded Reload
	s_wait_loadcnt 0x0
	global_store_b64 v[2:3], v[180:181], off
	scratch_load_b64 v[2:3], off, off offset:120 th:TH_LOAD_LU ; 8-byte Folded Reload
	s_wait_loadcnt 0x0
	global_store_b64 v[2:3], v[174:175], off
	scratch_load_b64 v[2:3], off, off offset:128 th:TH_LOAD_LU ; 8-byte Folded Reload
	s_wait_loadcnt 0x0
	global_store_b64 v[2:3], v[178:179], off
	scratch_load_b64 v[2:3], off, off offset:136 th:TH_LOAD_LU ; 8-byte Folded Reload
	s_wait_loadcnt 0x0
	global_store_b64 v[2:3], v[186:187], off
	scratch_load_b64 v[2:3], off, off offset:104 th:TH_LOAD_LU ; 8-byte Folded Reload
	s_wait_loadcnt 0x0
	global_store_b64 v[2:3], v[0:1], off
.LBB93_426:
	s_sendmsg sendmsg(MSG_DEALLOC_VGPRS)
	s_endpgm
	.section	.rodata,"a",@progbits
	.p2align	6, 0x0
	.amdhsa_kernel _ZN9rocsolver6v33100L23getf2_npvt_small_kernelILi47E19rocblas_complex_numIfEiiPS3_EEvT1_T3_lS5_lPT2_S5_S5_
		.amdhsa_group_segment_fixed_size 0
		.amdhsa_private_segment_fixed_size 164
		.amdhsa_kernarg_size 312
		.amdhsa_user_sgpr_count 2
		.amdhsa_user_sgpr_dispatch_ptr 0
		.amdhsa_user_sgpr_queue_ptr 0
		.amdhsa_user_sgpr_kernarg_segment_ptr 1
		.amdhsa_user_sgpr_dispatch_id 0
		.amdhsa_user_sgpr_kernarg_preload_length 0
		.amdhsa_user_sgpr_kernarg_preload_offset 0
		.amdhsa_user_sgpr_private_segment_size 0
		.amdhsa_wavefront_size32 1
		.amdhsa_uses_dynamic_stack 0
		.amdhsa_enable_private_segment 1
		.amdhsa_system_sgpr_workgroup_id_x 1
		.amdhsa_system_sgpr_workgroup_id_y 1
		.amdhsa_system_sgpr_workgroup_id_z 0
		.amdhsa_system_sgpr_workgroup_info 0
		.amdhsa_system_vgpr_workitem_id 1
		.amdhsa_next_free_vgpr 256
		.amdhsa_next_free_sgpr 15
		.amdhsa_named_barrier_count 0
		.amdhsa_reserve_vcc 1
		.amdhsa_float_round_mode_32 0
		.amdhsa_float_round_mode_16_64 0
		.amdhsa_float_denorm_mode_32 3
		.amdhsa_float_denorm_mode_16_64 3
		.amdhsa_fp16_overflow 0
		.amdhsa_memory_ordered 1
		.amdhsa_forward_progress 1
		.amdhsa_inst_pref_size 255
		.amdhsa_round_robin_scheduling 0
		.amdhsa_exception_fp_ieee_invalid_op 0
		.amdhsa_exception_fp_denorm_src 0
		.amdhsa_exception_fp_ieee_div_zero 0
		.amdhsa_exception_fp_ieee_overflow 0
		.amdhsa_exception_fp_ieee_underflow 0
		.amdhsa_exception_fp_ieee_inexact 0
		.amdhsa_exception_int_div_zero 0
	.end_amdhsa_kernel
	.section	.text._ZN9rocsolver6v33100L23getf2_npvt_small_kernelILi47E19rocblas_complex_numIfEiiPS3_EEvT1_T3_lS5_lPT2_S5_S5_,"axG",@progbits,_ZN9rocsolver6v33100L23getf2_npvt_small_kernelILi47E19rocblas_complex_numIfEiiPS3_EEvT1_T3_lS5_lPT2_S5_S5_,comdat
.Lfunc_end93:
	.size	_ZN9rocsolver6v33100L23getf2_npvt_small_kernelILi47E19rocblas_complex_numIfEiiPS3_EEvT1_T3_lS5_lPT2_S5_S5_, .Lfunc_end93-_ZN9rocsolver6v33100L23getf2_npvt_small_kernelILi47E19rocblas_complex_numIfEiiPS3_EEvT1_T3_lS5_lPT2_S5_S5_
                                        ; -- End function
	.set _ZN9rocsolver6v33100L23getf2_npvt_small_kernelILi47E19rocblas_complex_numIfEiiPS3_EEvT1_T3_lS5_lPT2_S5_S5_.num_vgpr, 256
	.set _ZN9rocsolver6v33100L23getf2_npvt_small_kernelILi47E19rocblas_complex_numIfEiiPS3_EEvT1_T3_lS5_lPT2_S5_S5_.num_agpr, 0
	.set _ZN9rocsolver6v33100L23getf2_npvt_small_kernelILi47E19rocblas_complex_numIfEiiPS3_EEvT1_T3_lS5_lPT2_S5_S5_.numbered_sgpr, 15
	.set _ZN9rocsolver6v33100L23getf2_npvt_small_kernelILi47E19rocblas_complex_numIfEiiPS3_EEvT1_T3_lS5_lPT2_S5_S5_.num_named_barrier, 0
	.set _ZN9rocsolver6v33100L23getf2_npvt_small_kernelILi47E19rocblas_complex_numIfEiiPS3_EEvT1_T3_lS5_lPT2_S5_S5_.private_seg_size, 164
	.set _ZN9rocsolver6v33100L23getf2_npvt_small_kernelILi47E19rocblas_complex_numIfEiiPS3_EEvT1_T3_lS5_lPT2_S5_S5_.uses_vcc, 1
	.set _ZN9rocsolver6v33100L23getf2_npvt_small_kernelILi47E19rocblas_complex_numIfEiiPS3_EEvT1_T3_lS5_lPT2_S5_S5_.uses_flat_scratch, 1
	.set _ZN9rocsolver6v33100L23getf2_npvt_small_kernelILi47E19rocblas_complex_numIfEiiPS3_EEvT1_T3_lS5_lPT2_S5_S5_.has_dyn_sized_stack, 0
	.set _ZN9rocsolver6v33100L23getf2_npvt_small_kernelILi47E19rocblas_complex_numIfEiiPS3_EEvT1_T3_lS5_lPT2_S5_S5_.has_recursion, 0
	.set _ZN9rocsolver6v33100L23getf2_npvt_small_kernelILi47E19rocblas_complex_numIfEiiPS3_EEvT1_T3_lS5_lPT2_S5_S5_.has_indirect_call, 0
	.section	.AMDGPU.csdata,"",@progbits
; Kernel info:
; codeLenInByte = 94848
; TotalNumSgprs: 17
; NumVgprs: 256
; ScratchSize: 164
; MemoryBound: 0
; FloatMode: 240
; IeeeMode: 1
; LDSByteSize: 0 bytes/workgroup (compile time only)
; SGPRBlocks: 0
; VGPRBlocks: 15
; NumSGPRsForWavesPerEU: 17
; NumVGPRsForWavesPerEU: 256
; NamedBarCnt: 0
; Occupancy: 4
; WaveLimiterHint : 0
; COMPUTE_PGM_RSRC2:SCRATCH_EN: 1
; COMPUTE_PGM_RSRC2:USER_SGPR: 2
; COMPUTE_PGM_RSRC2:TRAP_HANDLER: 0
; COMPUTE_PGM_RSRC2:TGID_X_EN: 1
; COMPUTE_PGM_RSRC2:TGID_Y_EN: 1
; COMPUTE_PGM_RSRC2:TGID_Z_EN: 0
; COMPUTE_PGM_RSRC2:TIDIG_COMP_CNT: 1
	.section	.text._ZN9rocsolver6v33100L18getf2_small_kernelILi48E19rocblas_complex_numIfEiiPS3_EEvT1_T3_lS5_lPS5_llPT2_S5_S5_S7_l,"axG",@progbits,_ZN9rocsolver6v33100L18getf2_small_kernelILi48E19rocblas_complex_numIfEiiPS3_EEvT1_T3_lS5_lPS5_llPT2_S5_S5_S7_l,comdat
	.globl	_ZN9rocsolver6v33100L18getf2_small_kernelILi48E19rocblas_complex_numIfEiiPS3_EEvT1_T3_lS5_lPS5_llPT2_S5_S5_S7_l ; -- Begin function _ZN9rocsolver6v33100L18getf2_small_kernelILi48E19rocblas_complex_numIfEiiPS3_EEvT1_T3_lS5_lPS5_llPT2_S5_S5_S7_l
	.p2align	8
	.type	_ZN9rocsolver6v33100L18getf2_small_kernelILi48E19rocblas_complex_numIfEiiPS3_EEvT1_T3_lS5_lPS5_llPT2_S5_S5_S7_l,@function
_ZN9rocsolver6v33100L18getf2_small_kernelILi48E19rocblas_complex_numIfEiiPS3_EEvT1_T3_lS5_lPS5_llPT2_S5_S5_S7_l: ; @_ZN9rocsolver6v33100L18getf2_small_kernelILi48E19rocblas_complex_numIfEiiPS3_EEvT1_T3_lS5_lPS5_llPT2_S5_S5_S7_l
; %bb.0:
	s_clause 0x1
	s_load_u16 s2, s[0:1], 0x6e
	s_load_b64 s[16:17], s[0:1], 0x48
	s_bfe_u32 s3, ttmp6, 0x40010
	s_bfe_u32 s4, ttmp6, 0x40004
	s_add_co_i32 s3, s3, 1
	s_getreg_b32 s5, hwreg(HW_REG_IB_STS2, 6, 4)
	s_mul_i32 s3, ttmp7, s3
	v_bfe_u32 v104, v0, 10, 10
	s_add_co_i32 s4, s4, s3
	s_cmp_eq_u32 s5, 0
	s_cselect_b32 s3, ttmp7, s4
	s_wait_kmcnt 0x0
	v_mad_u32 v2, s3, s2, v104
	s_mov_b32 s2, exec_lo
	s_delay_alu instid0(VALU_DEP_1)
	v_cmpx_gt_i32_e64 s16, v2
	s_cbranch_execz .LBB94_1009
; %bb.1:
	s_load_b128 s[4:7], s[0:1], 0x50
	v_mov_b64_e32 v[4:5], 0
	v_ashrrev_i32_e32 v3, 31, v2
	s_wait_kmcnt 0x0
	s_cmp_eq_u64 s[4:5], 0
	s_cselect_b32 s16, -1, 0
	s_delay_alu instid0(SALU_CYCLE_1)
	s_and_b32 vcc_lo, exec_lo, s16
	s_cbranch_vccnz .LBB94_3
; %bb.2:
	v_mul_u64_e32 v[4:5], s[6:7], v[2:3]
	s_delay_alu instid0(VALU_DEP_1)
	v_lshl_add_u64 v[4:5], v[4:5], 2, s[4:5]
.LBB94_3:
	s_clause 0x2
	s_load_b32 s2, s[0:1], 0x18
	s_load_b128 s[12:15], s[0:1], 0x8
	s_load_b32 s18, s[0:1], 0x0
	v_and_b32_e32 v109, 0x3ff, v0
	s_load_b256 s[4:11], s[0:1], 0x20
	v_mov_b32_e32 v103, 0
	s_wait_kmcnt 0x0
	s_delay_alu instid0(VALU_DEP_2) | instskip(SKIP_2) | instid1(VALU_DEP_2)
	v_add3_u32 v6, s2, s2, v109
	s_ashr_i32 s3, s2, 31
	v_mul_u64_e32 v[0:1], s[4:5], v[2:3]
	v_add_nc_u32_e32 v8, s2, v6
	s_max_i32 s4, s18, 48
	s_cmp_lt_i32 s18, 2
	s_delay_alu instid0(VALU_DEP_1) | instskip(NEXT) | instid1(VALU_DEP_1)
	v_add_nc_u32_e32 v10, s2, v8
	v_add_nc_u32_e32 v12, s2, v10
	s_delay_alu instid0(VALU_DEP_1) | instskip(NEXT) | instid1(VALU_DEP_1)
	v_dual_add_nc_u32 v14, s2, v12 :: v_dual_ashrrev_i32 v7, 31, v6
	v_dual_ashrrev_i32 v9, 31, v8 :: v_dual_add_nc_u32 v16, s2, v14
	s_delay_alu instid0(VALU_DEP_1) | instskip(NEXT) | instid1(VALU_DEP_1)
	v_dual_ashrrev_i32 v15, 31, v14 :: v_dual_add_nc_u32 v18, s2, v16
	v_dual_ashrrev_i32 v13, 31, v12 :: v_dual_add_nc_u32 v20, s2, v18
	v_lshl_add_u64 v[0:1], v[0:1], 3, s[12:13]
	s_delay_alu instid0(VALU_DEP_2) | instskip(NEXT) | instid1(VALU_DEP_2)
	v_add_nc_u32_e32 v22, s2, v20
	v_lshl_add_u64 v[0:1], s[14:15], 3, v[0:1]
	s_delay_alu instid0(VALU_DEP_2) | instskip(NEXT) | instid1(VALU_DEP_2)
	v_add_nc_u32_e32 v24, s2, v22
	v_lshl_add_u64 v[12:13], v[12:13], 3, v[0:1]
	v_lshl_add_u64 v[14:15], v[14:15], 3, v[0:1]
	;; [unrolled: 1-line block ×4, first 2 shown]
	v_dual_add_nc_u32 v26, s2, v24 :: v_dual_ashrrev_i32 v19, 31, v18
	s_delay_alu instid0(VALU_DEP_1) | instskip(NEXT) | instid1(VALU_DEP_2)
	v_dual_ashrrev_i32 v21, 31, v20 :: v_dual_add_nc_u32 v28, s2, v26
	v_lshl_add_u64 v[18:19], v[18:19], 3, v[0:1]
	s_delay_alu instid0(VALU_DEP_2) | instskip(SKIP_1) | instid1(VALU_DEP_4)
	v_lshl_add_u64 v[20:21], v[20:21], 3, v[0:1]
	v_ashrrev_i32_e32 v23, 31, v22
	v_dual_ashrrev_i32 v27, 31, v26 :: v_dual_add_nc_u32 v30, s2, v28
	v_ashrrev_i32_e32 v25, 31, v24
	s_delay_alu instid0(VALU_DEP_2) | instskip(SKIP_1) | instid1(VALU_DEP_2)
	v_dual_ashrrev_i32 v29, 31, v28 :: v_dual_add_nc_u32 v34, s2, v30
	v_ashrrev_i32_e32 v31, 31, v30
	v_add_nc_u32_e32 v36, s2, v34
	s_delay_alu instid0(VALU_DEP_1) | instskip(SKIP_1) | instid1(VALU_DEP_2)
	v_dual_add_nc_u32 v38, s2, v36 :: v_dual_lshlrev_b32 v102, 3, v109
	v_dual_ashrrev_i32 v35, 31, v34 :: v_dual_ashrrev_i32 v37, 31, v36
	v_add_nc_u32_e32 v40, s2, v38
	v_ashrrev_i32_e32 v11, 31, v10
	s_delay_alu instid0(VALU_DEP_4) | instskip(NEXT) | instid1(VALU_DEP_3)
	v_add_nc_u64_e32 v[32:33], v[0:1], v[102:103]
	v_dual_ashrrev_i32 v39, 31, v38 :: v_dual_add_nc_u32 v42, s2, v40
	v_ashrrev_i32_e32 v17, 31, v16
	s_delay_alu instid0(VALU_DEP_4) | instskip(NEXT) | instid1(VALU_DEP_3)
	v_lshl_add_u64 v[10:11], v[10:11], 3, v[0:1]
	v_add_nc_u32_e32 v44, s2, v42
	s_delay_alu instid0(VALU_DEP_3)
	v_lshl_add_u64 v[50:51], v[16:17], 3, v[0:1]
	s_clause 0x3
	global_load_b64 v[60:61], v[10:11], off
	global_load_b64 v[56:57], v[12:13], off
	;; [unrolled: 1-line block ×4, first 2 shown]
	s_wait_xcnt 0x3
	v_lshl_add_u64 v[10:11], s[2:3], 3, v[32:33]
	v_add_nc_u32_e32 v46, s2, v44
	s_clause 0x3
	global_load_b64 v[94:95], v[6:7], off
	global_load_b64 v[92:93], v[8:9], off
	global_load_b64 v[98:99], v[32:33], off
	global_load_b64 v[96:97], v[10:11], off
	s_wait_xcnt 0x6
	v_lshl_add_u64 v[12:13], v[22:23], 3, v[0:1]
	s_wait_xcnt 0x3
	v_lshl_add_u64 v[6:7], v[24:25], 3, v[0:1]
	s_clause 0x3
	global_load_b64 v[90:91], v[18:19], off
	global_load_b64 v[86:87], v[20:21], off
	;; [unrolled: 1-line block ×4, first 2 shown]
	v_add_nc_u32_e32 v48, s2, v46
	s_wait_xcnt 0x4
	v_lshl_add_u64 v[10:11], v[26:27], 3, v[0:1]
	s_wait_xcnt 0x3
	v_lshl_add_u64 v[18:19], v[28:29], 3, v[0:1]
	;; [unrolled: 2-line block ×3, first 2 shown]
	v_lshl_add_u64 v[22:23], v[34:35], 3, v[0:1]
	v_add_nc_u32_e32 v52, s2, v48
	s_clause 0x3
	global_load_b64 v[84:85], v[10:11], off
	global_load_b64 v[80:81], v[18:19], off
	;; [unrolled: 1-line block ×4, first 2 shown]
	s_wait_xcnt 0x2
	v_lshl_add_u64 v[18:19], v[36:37], 3, v[0:1]
	v_ashrrev_i32_e32 v43, 31, v42
	s_wait_xcnt 0x1
	v_lshl_add_u64 v[20:21], v[38:39], 3, v[0:1]
	v_dual_add_nc_u32 v14, s2, v52 :: v_dual_ashrrev_i32 v53, 31, v52
	v_ashrrev_i32_e32 v47, 31, v46
	v_lshl_add_u64 v[34:35], v[42:43], 3, v[0:1]
	s_delay_alu instid0(VALU_DEP_3) | instskip(NEXT) | instid1(VALU_DEP_4)
	v_dual_add_nc_u32 v8, s2, v14 :: v_dual_ashrrev_i32 v15, 31, v14
	v_lshl_add_u64 v[42:43], v[52:53], 3, v[0:1]
	s_delay_alu instid0(VALU_DEP_4) | instskip(NEXT) | instid1(VALU_DEP_3)
	v_lshl_add_u64 v[38:39], v[46:47], 3, v[0:1]
	v_add_nc_u32_e32 v6, s2, v8
	s_delay_alu instid0(VALU_DEP_4) | instskip(NEXT) | instid1(VALU_DEP_2)
	v_lshl_add_u64 v[14:15], v[14:15], 3, v[0:1]
	v_dual_ashrrev_i32 v9, 31, v8 :: v_dual_add_nc_u32 v12, s2, v6
	v_ashrrev_i32_e32 v7, 31, v6
	s_delay_alu instid0(VALU_DEP_2) | instskip(NEXT) | instid1(VALU_DEP_3)
	v_lshl_add_u64 v[8:9], v[8:9], 3, v[0:1]
	v_add_nc_u32_e32 v28, s2, v12
	s_delay_alu instid0(VALU_DEP_3) | instskip(NEXT) | instid1(VALU_DEP_2)
	v_lshl_add_u64 v[6:7], v[6:7], 3, v[0:1]
	v_add_nc_u32_e32 v10, s2, v28
	s_delay_alu instid0(VALU_DEP_1) | instskip(SKIP_2) | instid1(VALU_DEP_2)
	v_dual_ashrrev_i32 v41, 31, v40 :: v_dual_add_nc_u32 v30, s2, v10
	v_ashrrev_i32_e32 v45, 31, v44
	s_wait_xcnt 0x0
	v_lshl_add_u64 v[22:23], v[40:41], 3, v[0:1]
	s_clause 0x3
	global_load_b64 v[78:79], v[18:19], off
	global_load_b64 v[74:75], v[20:21], off
	;; [unrolled: 1-line block ×4, first 2 shown]
	v_add_nc_u32_e32 v36, s2, v30
	s_wait_xcnt 0x2
	v_lshl_add_u64 v[20:21], v[44:45], 3, v[0:1]
	v_ashrrev_i32_e32 v31, 31, v30
	s_delay_alu instid0(VALU_DEP_3) | instskip(SKIP_2) | instid1(VALU_DEP_3)
	v_dual_ashrrev_i32 v11, 31, v10 :: v_dual_add_nc_u32 v18, s2, v36
	v_ashrrev_i32_e32 v49, 31, v48
	v_ashrrev_i32_e32 v37, 31, v36
	v_lshl_add_u64 v[10:11], v[10:11], 3, v[0:1]
	s_wait_xcnt 0x0
	v_add_nc_u32_e32 v34, s2, v18
	v_lshl_add_u64 v[40:41], v[48:49], 3, v[0:1]
	s_clause 0x3
	global_load_b64 v[72:73], v[20:21], off
	global_load_b64 v[68:69], v[38:39], off
	;; [unrolled: 1-line block ×4, first 2 shown]
	v_add_nc_u32_e32 v44, s2, v34
	s_delay_alu instid0(VALU_DEP_1) | instskip(SKIP_3) | instid1(VALU_DEP_3)
	v_dual_ashrrev_i32 v19, 31, v18 :: v_dual_ashrrev_i32 v45, 31, v44
	s_wait_xcnt 0x2
	v_add_nc_u32_e32 v38, s2, v44
	v_ashrrev_i32_e32 v13, 31, v12
	v_lshl_add_u64 v[18:19], v[18:19], 3, v[0:1]
	s_wait_xcnt 0x1
	s_delay_alu instid0(VALU_DEP_3) | instskip(NEXT) | instid1(VALU_DEP_3)
	v_add_nc_u32_e32 v40, s2, v38
	v_lshl_add_u64 v[12:13], v[12:13], 3, v[0:1]
	s_clause 0x3
	global_load_b64 v[66:67], v[14:15], off
	global_load_b64 v[62:63], v[8:9], off
	;; [unrolled: 1-line block ×4, first 2 shown]
	v_dual_ashrrev_i32 v35, 31, v34 :: v_dual_ashrrev_i32 v41, 31, v40
	s_wait_xcnt 0x4
	v_add_nc_u32_e32 v42, s2, v40
	s_wait_xcnt 0x1
	s_delay_alu instid0(VALU_DEP_1) | instskip(NEXT) | instid1(VALU_DEP_1)
	v_dual_ashrrev_i32 v29, 31, v28 :: v_dual_add_nc_u32 v6, s2, v42
	v_lshl_add_u64 v[8:9], v[28:29], 3, v[0:1]
	v_lshl_add_u64 v[28:29], v[30:31], 3, v[0:1]
	;; [unrolled: 1-line block ×3, first 2 shown]
	s_clause 0x3
	global_load_b64 v[54:55], v[8:9], off
	global_load_b64 v[50:51], v[10:11], off
	;; [unrolled: 1-line block ×4, first 2 shown]
	v_add_nc_u32_e32 v14, s2, v6
	s_wait_xcnt 0x0
	v_lshl_add_u64 v[30:31], v[34:35], 3, v[0:1]
	v_lshl_add_u64 v[34:35], v[44:45], 3, v[0:1]
	s_delay_alu instid0(VALU_DEP_3) | instskip(NEXT) | instid1(VALU_DEP_1)
	v_add_nc_u32_e32 v36, s2, v14
	v_dual_add_nc_u32 v8, s2, v36 :: v_dual_ashrrev_i32 v15, 31, v14
	s_delay_alu instid0(VALU_DEP_1) | instskip(SKIP_2) | instid1(VALU_DEP_3)
	v_dual_ashrrev_i32 v9, 31, v8 :: v_dual_add_nc_u32 v28, s2, v8
	v_ashrrev_i32_e32 v39, 31, v38
	v_dual_ashrrev_i32 v7, 31, v6 :: v_dual_ashrrev_i32 v37, 31, v36
	v_lshl_add_u64 v[114:115], v[8:9], 3, v[0:1]
	s_delay_alu instid0(VALU_DEP_4) | instskip(NEXT) | instid1(VALU_DEP_4)
	v_add_nc_u32_e32 v100, s2, v28
	v_lshl_add_u64 v[38:39], v[38:39], 3, v[0:1]
	s_clause 0x3
	global_load_b64 v[48:49], v[18:19], off
	global_load_b64 v[44:45], v[30:31], off
	;; [unrolled: 1-line block ×4, first 2 shown]
	s_wait_xcnt 0x3
	v_dual_ashrrev_i32 v43, 31, v42 :: v_dual_add_nc_u32 v18, s2, v100
	v_ashrrev_i32_e32 v29, 31, v28
	s_wait_xcnt 0x2
	v_lshl_add_u64 v[30:31], v[40:41], 3, v[0:1]
	v_ashrrev_i32_e32 v101, 31, v100
	s_wait_xcnt 0x1
	v_lshl_add_u64 v[34:35], v[42:43], 3, v[0:1]
	v_add_nc_u32_e32 v110, s2, v18
	v_lshl_add_u64 v[106:107], v[6:7], 3, v[0:1]
	v_lshl_add_u64 v[14:15], v[14:15], 3, v[0:1]
	v_ashrrev_i32_e32 v19, 31, v18
	s_clause 0x3
	global_load_b64 v[42:43], v[30:31], off
	global_load_b64 v[38:39], v[34:35], off
	;; [unrolled: 1-line block ×4, first 2 shown]
	v_add_nc_u32_e32 v112, s2, v110
	s_wait_xcnt 0x1
	v_lshl_add_u64 v[106:107], v[36:37], 3, v[0:1]
	v_ashrrev_i32_e32 v111, 31, v110
	v_lshl_add_u64 v[116:117], v[28:29], 3, v[0:1]
	v_lshl_add_u64 v[118:119], v[100:101], 3, v[0:1]
	v_dual_add_nc_u32 v8, s2, v112 :: v_dual_ashrrev_i32 v113, 31, v112
	v_lshl_add_u64 v[120:121], v[18:19], 3, v[0:1]
	v_lshl_add_u64 v[110:111], v[110:111], 3, v[0:1]
	s_delay_alu instid0(VALU_DEP_3) | instskip(NEXT) | instid1(VALU_DEP_4)
	v_ashrrev_i32_e32 v9, 31, v8
	v_lshl_add_u64 v[112:113], v[112:113], 3, v[0:1]
	s_delay_alu instid0(VALU_DEP_2)
	v_lshl_add_u64 v[122:123], v[8:9], 3, v[0:1]
	s_clause 0x7
	global_load_b64 v[36:37], v[106:107], off
	global_load_b64 v[30:31], v[114:115], off
	;; [unrolled: 1-line block ×8, first 2 shown]
	s_wait_xcnt 0x7
	v_mul_lo_u32 v107, s4, v104
	s_load_b64 s[4:5], s[0:1], 0x40
	s_delay_alu instid0(VALU_DEP_1) | instskip(NEXT) | instid1(VALU_DEP_1)
	v_lshl_add_u32 v106, v107, 3, 0
	v_dual_lshlrev_b32 v107, 3, v107 :: v_dual_add_nc_u32 v102, v106, v102
	s_wait_loadcnt 0x29
	ds_store_b64 v102, v[98:99]
	s_wait_loadcnt_dscnt 0x0
	s_barrier_signal -1
	s_barrier_wait -1
	ds_load_b64 v[104:105], v106
	s_cbranch_scc1 .LBB94_6
; %bb.4:
	v_add3_u32 v102, v107, 0, 8
	v_mov_b32_e32 v103, 0
	s_wait_xcnt 0x0
	s_mov_b32 s1, 1
.LBB94_5:                               ; =>This Inner Loop Header: Depth=1
	ds_load_b64 v[110:111], v102
	s_wait_dscnt 0x1
	v_cmp_gt_f32_e32 vcc_lo, 0, v104
	v_cmp_gt_f32_e64 s0, 0, v105
	s_delay_alu instid0(VALU_DEP_1) | instskip(SKIP_3) | instid1(VALU_DEP_1)
	v_dual_cndmask_b32 v112, v104, -v104, vcc_lo :: v_dual_cndmask_b32 v114, v105, -v105, s0
	s_wait_dscnt 0x0
	v_cmp_gt_f32_e32 vcc_lo, 0, v110
	v_cmp_gt_f32_e64 s0, 0, v111
	v_dual_cndmask_b32 v113, v110, -v110, vcc_lo :: v_dual_cndmask_b32 v115, v111, -v111, s0
	s_delay_alu instid0(VALU_DEP_1) | instskip(NEXT) | instid1(VALU_DEP_1)
	v_pk_add_f32 v[112:113], v[112:113], v[114:115]
	v_cmp_lt_f32_e32 vcc_lo, v112, v113
	v_dual_cndmask_b32 v105, v105, v111 :: v_dual_add_nc_u32 v102, 8, v102
	v_cndmask_b32_e32 v104, v104, v110, vcc_lo
	v_cndmask_b32_e64 v103, v103, s1, vcc_lo
	s_add_co_i32 s1, s1, 1
	s_delay_alu instid0(SALU_CYCLE_1)
	s_cmp_eq_u32 s18, s1
	s_cbranch_scc0 .LBB94_5
.LBB94_6:
	s_wait_dscnt 0x0
	v_cmp_neq_f32_e32 vcc_lo, 0, v104
	s_wait_xcnt 0x0
	v_cmp_neq_f32_e64 s0, 0, v105
	v_dual_mov_b32 v108, 1 :: v_dual_mov_b32 v111, 1
	s_or_b32 s1, vcc_lo, s0
	s_delay_alu instid0(SALU_CYCLE_1)
	s_and_saveexec_b32 s0, s1
	s_cbranch_execz .LBB94_12
; %bb.7:
	v_cmp_ngt_f32_e64 s1, |v104|, |v105|
	s_and_saveexec_b32 s12, s1
	s_delay_alu instid0(SALU_CYCLE_1)
	s_xor_b32 s1, exec_lo, s12
	s_cbranch_execz .LBB94_9
; %bb.8:
	v_div_scale_f32 v102, null, v105, v105, v104
	v_div_scale_f32 v111, vcc_lo, v104, v105, v104
	s_delay_alu instid0(VALU_DEP_2) | instskip(SKIP_1) | instid1(TRANS32_DEP_1)
	v_rcp_f32_e32 v108, v102
	v_nop
	v_fma_f32 v110, -v102, v108, 1.0
	s_delay_alu instid0(VALU_DEP_1) | instskip(NEXT) | instid1(VALU_DEP_1)
	v_fmac_f32_e32 v108, v110, v108
	v_mul_f32_e32 v110, v111, v108
	s_delay_alu instid0(VALU_DEP_1) | instskip(NEXT) | instid1(VALU_DEP_1)
	v_fma_f32 v112, -v102, v110, v111
	v_fmac_f32_e32 v110, v112, v108
	s_delay_alu instid0(VALU_DEP_1) | instskip(NEXT) | instid1(VALU_DEP_1)
	v_fma_f32 v102, -v102, v110, v111
	v_div_fmas_f32 v102, v102, v108, v110
	s_delay_alu instid0(VALU_DEP_1) | instskip(NEXT) | instid1(VALU_DEP_1)
	v_div_fixup_f32 v102, v102, v105, v104
	v_fmac_f32_e32 v105, v104, v102
	s_delay_alu instid0(VALU_DEP_1) | instskip(SKIP_1) | instid1(VALU_DEP_2)
	v_div_scale_f32 v104, null, v105, v105, 1.0
	v_div_scale_f32 v111, vcc_lo, 1.0, v105, 1.0
	v_rcp_f32_e32 v108, v104
	v_nop
	s_delay_alu instid0(TRANS32_DEP_1) | instskip(NEXT) | instid1(VALU_DEP_1)
	v_fma_f32 v110, -v104, v108, 1.0
	v_fmac_f32_e32 v108, v110, v108
	s_delay_alu instid0(VALU_DEP_1) | instskip(NEXT) | instid1(VALU_DEP_1)
	v_mul_f32_e32 v110, v111, v108
	v_fma_f32 v112, -v104, v110, v111
	s_delay_alu instid0(VALU_DEP_1) | instskip(NEXT) | instid1(VALU_DEP_1)
	v_fmac_f32_e32 v110, v112, v108
	v_fma_f32 v104, -v104, v110, v111
	s_delay_alu instid0(VALU_DEP_1) | instskip(NEXT) | instid1(VALU_DEP_1)
	v_div_fmas_f32 v104, v104, v108, v110
	v_div_fixup_f32 v105, v104, v105, 1.0
	s_delay_alu instid0(VALU_DEP_1)
	v_mul_f32_e32 v104, v102, v105
	v_xor_b32_e32 v105, 0x80000000, v105
.LBB94_9:
	s_and_not1_saveexec_b32 s1, s1
	s_cbranch_execz .LBB94_11
; %bb.10:
	s_delay_alu instid0(VALU_DEP_1) | instskip(SKIP_1) | instid1(VALU_DEP_2)
	v_div_scale_f32 v102, null, v104, v104, v105
	v_div_scale_f32 v111, vcc_lo, v105, v104, v105
	v_rcp_f32_e32 v108, v102
	v_nop
	s_delay_alu instid0(TRANS32_DEP_1) | instskip(NEXT) | instid1(VALU_DEP_1)
	v_fma_f32 v110, -v102, v108, 1.0
	v_fmac_f32_e32 v108, v110, v108
	s_delay_alu instid0(VALU_DEP_1) | instskip(NEXT) | instid1(VALU_DEP_1)
	v_mul_f32_e32 v110, v111, v108
	v_fma_f32 v112, -v102, v110, v111
	s_delay_alu instid0(VALU_DEP_1) | instskip(NEXT) | instid1(VALU_DEP_1)
	v_fmac_f32_e32 v110, v112, v108
	v_fma_f32 v102, -v102, v110, v111
	s_delay_alu instid0(VALU_DEP_1) | instskip(NEXT) | instid1(VALU_DEP_1)
	v_div_fmas_f32 v102, v102, v108, v110
	v_div_fixup_f32 v102, v102, v104, v105
	s_delay_alu instid0(VALU_DEP_1) | instskip(NEXT) | instid1(VALU_DEP_1)
	v_fmac_f32_e32 v104, v105, v102
	v_div_scale_f32 v105, null, v104, v104, 1.0
	s_delay_alu instid0(VALU_DEP_1) | instskip(SKIP_1) | instid1(TRANS32_DEP_1)
	v_rcp_f32_e32 v108, v105
	v_nop
	v_fma_f32 v110, -v105, v108, 1.0
	s_delay_alu instid0(VALU_DEP_1) | instskip(SKIP_1) | instid1(VALU_DEP_1)
	v_fmac_f32_e32 v108, v110, v108
	v_div_scale_f32 v110, vcc_lo, 1.0, v104, 1.0
	v_mul_f32_e32 v111, v110, v108
	s_delay_alu instid0(VALU_DEP_1) | instskip(NEXT) | instid1(VALU_DEP_1)
	v_fma_f32 v112, -v105, v111, v110
	v_fmac_f32_e32 v111, v112, v108
	s_delay_alu instid0(VALU_DEP_1) | instskip(NEXT) | instid1(VALU_DEP_1)
	v_fma_f32 v105, -v105, v111, v110
	v_div_fmas_f32 v105, v105, v108, v111
	s_delay_alu instid0(VALU_DEP_1) | instskip(NEXT) | instid1(VALU_DEP_1)
	v_div_fixup_f32 v104, v105, v104, 1.0
	v_mul_f32_e64 v105, v102, -v104
.LBB94_11:
	s_or_b32 exec_lo, exec_lo, s1
	v_dual_mov_b32 v111, 0 :: v_dual_mov_b32 v108, 2
.LBB94_12:
	s_or_b32 exec_lo, exec_lo, s0
	s_delay_alu instid0(SALU_CYCLE_1)
	s_mov_b32 s0, exec_lo
	v_cmpx_ne_u32_e64 v109, v103
	s_xor_b32 s0, exec_lo, s0
	s_cbranch_execz .LBB94_18
; %bb.13:
	s_mov_b32 s1, exec_lo
	v_cmpx_eq_u32_e32 0, v109
	s_cbranch_execz .LBB94_17
; %bb.14:
	v_cmp_ne_u32_e32 vcc_lo, 0, v103
	s_xor_b32 s12, s16, -1
	s_delay_alu instid0(SALU_CYCLE_1) | instskip(NEXT) | instid1(SALU_CYCLE_1)
	s_and_b32 s13, s12, vcc_lo
	s_and_saveexec_b32 s12, s13
	s_cbranch_execz .LBB94_16
; %bb.15:
	v_dual_mov_b32 v112, v103 :: v_dual_ashrrev_i32 v113, 31, v103
	s_delay_alu instid0(VALU_DEP_1)
	v_lshl_add_u64 v[112:113], v[112:113], 2, v[4:5]
	s_clause 0x1
	global_load_b32 v102, v[112:113], off
	global_load_b32 v109, v[4:5], off
	s_wait_loadcnt 0x1
	global_store_b32 v[4:5], v102, off
	s_wait_loadcnt 0x0
	global_store_b32 v[112:113], v109, off
.LBB94_16:
	s_wait_xcnt 0x0
	s_or_b32 exec_lo, exec_lo, s12
	v_mov_b32_e32 v109, v103
.LBB94_17:
	s_or_b32 exec_lo, exec_lo, s1
.LBB94_18:
	s_or_saveexec_b32 s0, s0
	s_delay_alu instid0(VALU_DEP_1)
	v_mov_b32_e32 v110, v109
	s_xor_b32 exec_lo, exec_lo, s0
	s_cbranch_execz .LBB94_20
; %bb.19:
	v_mov_b32_e32 v110, 0
	ds_store_2addr_b64 v106, v[96:97], v[94:95] offset0:1 offset1:2
	ds_store_2addr_b64 v106, v[92:93], v[60:61] offset0:3 offset1:4
	;; [unrolled: 1-line block ×23, first 2 shown]
	ds_store_b64 v106, v[100:101] offset:376
.LBB94_20:
	s_or_b32 exec_lo, exec_lo, s0
	s_delay_alu instid0(SALU_CYCLE_1)
	s_mov_b32 s0, exec_lo
	s_wait_storecnt_dscnt 0x0
	s_barrier_signal -1
	s_barrier_wait -1
	v_cmpx_lt_i32_e32 0, v110
	s_cbranch_execz .LBB94_22
; %bb.21:
	v_pk_mul_f32 v[112:113], v[104:105], v[98:99] op_sel:[1,1] op_sel_hi:[0,1]
	s_delay_alu instid0(VALU_DEP_1)
	v_pk_fma_f32 v[102:103], v[104:105], v[98:99], v[112:113] op_sel_hi:[1,0,1] neg_lo:[0,0,1] neg_hi:[0,0,1]
	v_pk_fma_f32 v[104:105], v[104:105], v[98:99], v[112:113] op_sel_hi:[1,0,1]
	ds_load_2addr_b64 v[112:115], v106 offset0:1 offset1:2
	v_dual_mov_b32 v98, v102 :: v_dual_mov_b32 v99, v105
	s_wait_dscnt 0x0
	v_pk_mul_f32 v[116:117], v[112:113], v[104:105] op_sel:[0,1]
	s_delay_alu instid0(VALU_DEP_1) | instskip(SKIP_1) | instid1(VALU_DEP_1)
	v_pk_fma_f32 v[118:119], v[112:113], v[102:103], v[116:117] op_sel:[0,0,1] op_sel_hi:[1,1,0] neg_lo:[0,0,1] neg_hi:[0,0,1]
	v_pk_fma_f32 v[112:113], v[112:113], v[102:103], v[116:117] op_sel:[0,0,1] op_sel_hi:[1,0,0]
	v_mov_b32_e32 v119, v113
	v_pk_mul_f32 v[112:113], v[114:115], v[104:105] op_sel:[0,1]
	s_delay_alu instid0(VALU_DEP_1) | instskip(SKIP_1) | instid1(VALU_DEP_1)
	v_pk_fma_f32 v[116:117], v[114:115], v[102:103], v[112:113] op_sel:[0,0,1] op_sel_hi:[1,1,0] neg_lo:[0,0,1] neg_hi:[0,0,1]
	v_pk_fma_f32 v[112:113], v[114:115], v[102:103], v[112:113] op_sel:[0,0,1] op_sel_hi:[1,0,0]
	v_mov_b32_e32 v117, v113
	ds_load_2addr_b64 v[112:115], v106 offset0:3 offset1:4
	v_pk_add_f32 v[96:97], v[96:97], v[118:119] neg_lo:[0,1] neg_hi:[0,1]
	v_pk_add_f32 v[94:95], v[94:95], v[116:117] neg_lo:[0,1] neg_hi:[0,1]
	s_wait_dscnt 0x0
	v_pk_mul_f32 v[116:117], v[112:113], v[104:105] op_sel:[0,1]
	s_delay_alu instid0(VALU_DEP_1) | instskip(SKIP_2) | instid1(VALU_DEP_2)
	v_pk_fma_f32 v[118:119], v[112:113], v[102:103], v[116:117] op_sel:[0,0,1] op_sel_hi:[1,1,0] neg_lo:[0,0,1] neg_hi:[0,0,1]
	v_pk_fma_f32 v[112:113], v[112:113], v[102:103], v[116:117] op_sel:[0,0,1] op_sel_hi:[1,0,0]
	v_dual_mul_f32 v116, v115, v105 :: v_dual_mov_b32 v112, v115
	v_dual_mov_b32 v119, v113 :: v_dual_mov_b32 v113, v114
	s_delay_alu instid0(VALU_DEP_2) | instskip(SKIP_1) | instid1(VALU_DEP_3)
	v_pk_fma_f32 v[116:117], v[114:115], v[98:99], v[116:117] op_sel_hi:[1,1,0] neg_lo:[0,0,1] neg_hi:[0,0,1]
	v_mul_f32_e32 v114, v115, v102
	v_pk_add_f32 v[92:93], v[92:93], v[118:119] neg_lo:[0,1] neg_hi:[0,1]
	s_delay_alu instid0(VALU_DEP_2) | instskip(NEXT) | instid1(VALU_DEP_1)
	v_pk_fma_f32 v[112:113], v[112:113], v[98:99], v[114:115] op_sel_hi:[1,1,0]
	v_mov_b32_e32 v117, v113
	ds_load_2addr_b64 v[112:115], v106 offset0:5 offset1:6
	v_pk_add_f32 v[60:61], v[60:61], v[116:117] neg_lo:[0,1] neg_hi:[0,1]
	s_wait_dscnt 0x0
	v_pk_mul_f32 v[116:117], v[112:113], v[104:105] op_sel:[0,1]
	s_delay_alu instid0(VALU_DEP_1) | instskip(SKIP_1) | instid1(VALU_DEP_1)
	v_pk_fma_f32 v[118:119], v[112:113], v[102:103], v[116:117] op_sel:[0,0,1] op_sel_hi:[1,1,0] neg_lo:[0,0,1] neg_hi:[0,0,1]
	v_pk_fma_f32 v[112:113], v[112:113], v[102:103], v[116:117] op_sel:[0,0,1] op_sel_hi:[1,0,0]
	v_mov_b32_e32 v119, v113
	v_pk_mul_f32 v[112:113], v[114:115], v[104:105] op_sel:[0,1]
	s_delay_alu instid0(VALU_DEP_1) | instskip(SKIP_1) | instid1(VALU_DEP_1)
	v_pk_fma_f32 v[116:117], v[114:115], v[102:103], v[112:113] op_sel:[0,0,1] op_sel_hi:[1,1,0] neg_lo:[0,0,1] neg_hi:[0,0,1]
	v_pk_fma_f32 v[112:113], v[114:115], v[102:103], v[112:113] op_sel:[0,0,1] op_sel_hi:[1,0,0]
	v_mov_b32_e32 v117, v113
	ds_load_2addr_b64 v[112:115], v106 offset0:7 offset1:8
	v_pk_add_f32 v[56:57], v[56:57], v[118:119] neg_lo:[0,1] neg_hi:[0,1]
	v_pk_add_f32 v[58:59], v[58:59], v[116:117] neg_lo:[0,1] neg_hi:[0,1]
	s_wait_dscnt 0x0
	v_pk_mul_f32 v[116:117], v[112:113], v[104:105] op_sel:[0,1]
	s_delay_alu instid0(VALU_DEP_1) | instskip(SKIP_1) | instid1(VALU_DEP_1)
	v_pk_fma_f32 v[118:119], v[112:113], v[102:103], v[116:117] op_sel:[0,0,1] op_sel_hi:[1,1,0] neg_lo:[0,0,1] neg_hi:[0,0,1]
	v_pk_fma_f32 v[112:113], v[112:113], v[102:103], v[116:117] op_sel:[0,0,1] op_sel_hi:[1,0,0]
	v_mov_b32_e32 v119, v113
	v_pk_mul_f32 v[112:113], v[114:115], v[104:105] op_sel:[0,1]
	s_delay_alu instid0(VALU_DEP_1) | instskip(SKIP_1) | instid1(VALU_DEP_1)
	v_pk_fma_f32 v[116:117], v[114:115], v[102:103], v[112:113] op_sel:[0,0,1] op_sel_hi:[1,1,0] neg_lo:[0,0,1] neg_hi:[0,0,1]
	v_pk_fma_f32 v[112:113], v[114:115], v[102:103], v[112:113] op_sel:[0,0,1] op_sel_hi:[1,0,0]
	v_mov_b32_e32 v117, v113
	ds_load_2addr_b64 v[112:115], v106 offset0:9 offset1:10
	v_pk_add_f32 v[16:17], v[16:17], v[118:119] neg_lo:[0,1] neg_hi:[0,1]
	v_pk_add_f32 v[90:91], v[90:91], v[116:117] neg_lo:[0,1] neg_hi:[0,1]
	s_wait_dscnt 0x0
	v_dual_mul_f32 v116, v113, v105 :: v_dual_mul_f32 v118, v113, v102
	s_delay_alu instid0(VALU_DEP_1) | instskip(NEXT) | instid1(VALU_DEP_2)
	v_pk_fma_f32 v[116:117], v[112:113], v[98:99], v[116:117] op_sel_hi:[1,1,0] neg_lo:[0,0,1] neg_hi:[0,0,1]
	v_pk_fma_f32 v[112:113], v[112:113], v[98:99], v[118:119] op_sel:[1,0,0] op_sel_hi:[0,1,0]
	s_delay_alu instid0(VALU_DEP_1) | instskip(SKIP_1) | instid1(VALU_DEP_2)
	v_mov_b32_e32 v117, v113
	v_pk_mul_f32 v[112:113], v[114:115], v[104:105] op_sel:[0,1]
	v_pk_add_f32 v[86:87], v[86:87], v[116:117] neg_lo:[0,1] neg_hi:[0,1]
	s_delay_alu instid0(VALU_DEP_2) | instskip(SKIP_1) | instid1(VALU_DEP_1)
	v_pk_fma_f32 v[116:117], v[114:115], v[102:103], v[112:113] op_sel:[0,0,1] op_sel_hi:[1,1,0] neg_lo:[0,0,1] neg_hi:[0,0,1]
	v_pk_fma_f32 v[112:113], v[114:115], v[102:103], v[112:113] op_sel:[0,0,1] op_sel_hi:[1,0,0]
	v_mov_b32_e32 v117, v113
	ds_load_2addr_b64 v[112:115], v106 offset0:11 offset1:12
	v_pk_add_f32 v[88:89], v[88:89], v[116:117] neg_lo:[0,1] neg_hi:[0,1]
	s_wait_dscnt 0x0
	v_pk_mul_f32 v[116:117], v[112:113], v[104:105] op_sel:[0,1]
	s_delay_alu instid0(VALU_DEP_1) | instskip(SKIP_1) | instid1(VALU_DEP_1)
	v_pk_fma_f32 v[118:119], v[112:113], v[102:103], v[116:117] op_sel:[0,0,1] op_sel_hi:[1,1,0] neg_lo:[0,0,1] neg_hi:[0,0,1]
	v_pk_fma_f32 v[112:113], v[112:113], v[102:103], v[116:117] op_sel:[0,0,1] op_sel_hi:[1,0,0]
	v_mov_b32_e32 v119, v113
	v_pk_mul_f32 v[112:113], v[114:115], v[104:105] op_sel:[0,1]
	s_delay_alu instid0(VALU_DEP_2) | instskip(NEXT) | instid1(VALU_DEP_2)
	v_pk_add_f32 v[32:33], v[32:33], v[118:119] neg_lo:[0,1] neg_hi:[0,1]
	v_pk_fma_f32 v[116:117], v[114:115], v[102:103], v[112:113] op_sel:[0,0,1] op_sel_hi:[1,1,0] neg_lo:[0,0,1] neg_hi:[0,0,1]
	v_pk_fma_f32 v[112:113], v[114:115], v[102:103], v[112:113] op_sel:[0,0,1] op_sel_hi:[1,0,0]
	s_delay_alu instid0(VALU_DEP_1) | instskip(SKIP_4) | instid1(VALU_DEP_1)
	v_mov_b32_e32 v117, v113
	ds_load_2addr_b64 v[112:115], v106 offset0:13 offset1:14
	v_pk_add_f32 v[84:85], v[84:85], v[116:117] neg_lo:[0,1] neg_hi:[0,1]
	s_wait_dscnt 0x0
	v_pk_mul_f32 v[116:117], v[112:113], v[104:105] op_sel:[0,1]
	v_pk_fma_f32 v[118:119], v[112:113], v[102:103], v[116:117] op_sel:[0,0,1] op_sel_hi:[1,1,0] neg_lo:[0,0,1] neg_hi:[0,0,1]
	v_pk_fma_f32 v[112:113], v[112:113], v[102:103], v[116:117] op_sel:[0,0,1] op_sel_hi:[1,0,0]
	v_dual_mul_f32 v116, v115, v105 :: v_dual_mov_b32 v112, v115
	s_delay_alu instid0(VALU_DEP_2) | instskip(NEXT) | instid1(VALU_DEP_2)
	v_dual_mov_b32 v119, v113 :: v_dual_mov_b32 v113, v114
	v_pk_fma_f32 v[116:117], v[114:115], v[98:99], v[116:117] op_sel_hi:[1,1,0] neg_lo:[0,0,1] neg_hi:[0,0,1]
	v_mul_f32_e32 v114, v115, v102
	s_delay_alu instid0(VALU_DEP_3) | instskip(NEXT) | instid1(VALU_DEP_2)
	v_pk_add_f32 v[80:81], v[80:81], v[118:119] neg_lo:[0,1] neg_hi:[0,1]
	v_pk_fma_f32 v[112:113], v[112:113], v[98:99], v[114:115] op_sel_hi:[1,1,0]
	s_delay_alu instid0(VALU_DEP_1) | instskip(SKIP_4) | instid1(VALU_DEP_1)
	v_mov_b32_e32 v117, v113
	ds_load_2addr_b64 v[112:115], v106 offset0:15 offset1:16
	v_pk_add_f32 v[82:83], v[82:83], v[116:117] neg_lo:[0,1] neg_hi:[0,1]
	s_wait_dscnt 0x0
	v_pk_mul_f32 v[116:117], v[112:113], v[104:105] op_sel:[0,1]
	v_pk_fma_f32 v[118:119], v[112:113], v[102:103], v[116:117] op_sel:[0,0,1] op_sel_hi:[1,1,0] neg_lo:[0,0,1] neg_hi:[0,0,1]
	v_pk_fma_f32 v[112:113], v[112:113], v[102:103], v[116:117] op_sel:[0,0,1] op_sel_hi:[1,0,0]
	s_delay_alu instid0(VALU_DEP_1) | instskip(SKIP_1) | instid1(VALU_DEP_1)
	v_mov_b32_e32 v119, v113
	v_pk_mul_f32 v[112:113], v[114:115], v[104:105] op_sel:[0,1]
	v_pk_fma_f32 v[116:117], v[114:115], v[102:103], v[112:113] op_sel:[0,0,1] op_sel_hi:[1,1,0] neg_lo:[0,0,1] neg_hi:[0,0,1]
	v_pk_fma_f32 v[112:113], v[114:115], v[102:103], v[112:113] op_sel:[0,0,1] op_sel_hi:[1,0,0]
	s_delay_alu instid0(VALU_DEP_1)
	v_mov_b32_e32 v117, v113
	ds_load_2addr_b64 v[112:115], v106 offset0:17 offset1:18
	v_pk_add_f32 v[26:27], v[26:27], v[118:119] neg_lo:[0,1] neg_hi:[0,1]
	v_pk_add_f32 v[78:79], v[78:79], v[116:117] neg_lo:[0,1] neg_hi:[0,1]
	s_wait_dscnt 0x0
	v_pk_mul_f32 v[116:117], v[112:113], v[104:105] op_sel:[0,1]
	s_delay_alu instid0(VALU_DEP_1) | instskip(SKIP_1) | instid1(VALU_DEP_1)
	v_pk_fma_f32 v[118:119], v[112:113], v[102:103], v[116:117] op_sel:[0,0,1] op_sel_hi:[1,1,0] neg_lo:[0,0,1] neg_hi:[0,0,1]
	v_pk_fma_f32 v[112:113], v[112:113], v[102:103], v[116:117] op_sel:[0,0,1] op_sel_hi:[1,0,0]
	v_mov_b32_e32 v119, v113
	v_pk_mul_f32 v[112:113], v[114:115], v[104:105] op_sel:[0,1]
	s_delay_alu instid0(VALU_DEP_1) | instskip(SKIP_1) | instid1(VALU_DEP_1)
	v_pk_fma_f32 v[116:117], v[114:115], v[102:103], v[112:113] op_sel:[0,0,1] op_sel_hi:[1,1,0] neg_lo:[0,0,1] neg_hi:[0,0,1]
	v_pk_fma_f32 v[112:113], v[114:115], v[102:103], v[112:113] op_sel:[0,0,1] op_sel_hi:[1,0,0]
	v_mov_b32_e32 v117, v113
	ds_load_2addr_b64 v[112:115], v106 offset0:19 offset1:20
	v_pk_add_f32 v[74:75], v[74:75], v[118:119] neg_lo:[0,1] neg_hi:[0,1]
	v_pk_add_f32 v[76:77], v[76:77], v[116:117] neg_lo:[0,1] neg_hi:[0,1]
	s_wait_dscnt 0x0
	v_dual_mul_f32 v116, v113, v105 :: v_dual_mul_f32 v118, v113, v102
	s_delay_alu instid0(VALU_DEP_1) | instskip(NEXT) | instid1(VALU_DEP_2)
	v_pk_fma_f32 v[116:117], v[112:113], v[98:99], v[116:117] op_sel_hi:[1,1,0] neg_lo:[0,0,1] neg_hi:[0,0,1]
	v_pk_fma_f32 v[112:113], v[112:113], v[98:99], v[118:119] op_sel:[1,0,0] op_sel_hi:[0,1,0]
	s_delay_alu instid0(VALU_DEP_1) | instskip(SKIP_1) | instid1(VALU_DEP_2)
	v_mov_b32_e32 v117, v113
	v_pk_mul_f32 v[112:113], v[114:115], v[104:105] op_sel:[0,1]
	v_pk_add_f32 v[24:25], v[24:25], v[116:117] neg_lo:[0,1] neg_hi:[0,1]
	s_delay_alu instid0(VALU_DEP_2) | instskip(SKIP_1) | instid1(VALU_DEP_1)
	v_pk_fma_f32 v[116:117], v[114:115], v[102:103], v[112:113] op_sel:[0,0,1] op_sel_hi:[1,1,0] neg_lo:[0,0,1] neg_hi:[0,0,1]
	v_pk_fma_f32 v[112:113], v[114:115], v[102:103], v[112:113] op_sel:[0,0,1] op_sel_hi:[1,0,0]
	v_mov_b32_e32 v117, v113
	ds_load_2addr_b64 v[112:115], v106 offset0:21 offset1:22
	v_pk_add_f32 v[72:73], v[72:73], v[116:117] neg_lo:[0,1] neg_hi:[0,1]
	s_wait_dscnt 0x0
	v_pk_mul_f32 v[116:117], v[112:113], v[104:105] op_sel:[0,1]
	s_delay_alu instid0(VALU_DEP_1) | instskip(SKIP_1) | instid1(VALU_DEP_1)
	v_pk_fma_f32 v[118:119], v[112:113], v[102:103], v[116:117] op_sel:[0,0,1] op_sel_hi:[1,1,0] neg_lo:[0,0,1] neg_hi:[0,0,1]
	v_pk_fma_f32 v[112:113], v[112:113], v[102:103], v[116:117] op_sel:[0,0,1] op_sel_hi:[1,0,0]
	v_mov_b32_e32 v119, v113
	v_pk_mul_f32 v[112:113], v[114:115], v[104:105] op_sel:[0,1]
	s_delay_alu instid0(VALU_DEP_2) | instskip(NEXT) | instid1(VALU_DEP_2)
	v_pk_add_f32 v[68:69], v[68:69], v[118:119] neg_lo:[0,1] neg_hi:[0,1]
	v_pk_fma_f32 v[116:117], v[114:115], v[102:103], v[112:113] op_sel:[0,0,1] op_sel_hi:[1,1,0] neg_lo:[0,0,1] neg_hi:[0,0,1]
	v_pk_fma_f32 v[112:113], v[114:115], v[102:103], v[112:113] op_sel:[0,0,1] op_sel_hi:[1,0,0]
	s_delay_alu instid0(VALU_DEP_1) | instskip(SKIP_4) | instid1(VALU_DEP_1)
	v_mov_b32_e32 v117, v113
	ds_load_2addr_b64 v[112:115], v106 offset0:23 offset1:24
	v_pk_add_f32 v[70:71], v[70:71], v[116:117] neg_lo:[0,1] neg_hi:[0,1]
	s_wait_dscnt 0x0
	v_pk_mul_f32 v[116:117], v[112:113], v[104:105] op_sel:[0,1]
	v_pk_fma_f32 v[118:119], v[112:113], v[102:103], v[116:117] op_sel:[0,0,1] op_sel_hi:[1,1,0] neg_lo:[0,0,1] neg_hi:[0,0,1]
	v_pk_fma_f32 v[112:113], v[112:113], v[102:103], v[116:117] op_sel:[0,0,1] op_sel_hi:[1,0,0]
	v_dual_mul_f32 v116, v115, v105 :: v_dual_mov_b32 v112, v115
	s_delay_alu instid0(VALU_DEP_2) | instskip(NEXT) | instid1(VALU_DEP_2)
	v_dual_mov_b32 v119, v113 :: v_dual_mov_b32 v113, v114
	v_pk_fma_f32 v[116:117], v[114:115], v[98:99], v[116:117] op_sel_hi:[1,1,0] neg_lo:[0,0,1] neg_hi:[0,0,1]
	v_mul_f32_e32 v114, v115, v102
	s_delay_alu instid0(VALU_DEP_3) | instskip(NEXT) | instid1(VALU_DEP_2)
	v_pk_add_f32 v[22:23], v[22:23], v[118:119] neg_lo:[0,1] neg_hi:[0,1]
	v_pk_fma_f32 v[112:113], v[112:113], v[98:99], v[114:115] op_sel_hi:[1,1,0]
	s_delay_alu instid0(VALU_DEP_1) | instskip(SKIP_4) | instid1(VALU_DEP_1)
	v_mov_b32_e32 v117, v113
	ds_load_2addr_b64 v[112:115], v106 offset0:25 offset1:26
	v_pk_add_f32 v[66:67], v[66:67], v[116:117] neg_lo:[0,1] neg_hi:[0,1]
	s_wait_dscnt 0x0
	v_pk_mul_f32 v[116:117], v[112:113], v[104:105] op_sel:[0,1]
	v_pk_fma_f32 v[118:119], v[112:113], v[102:103], v[116:117] op_sel:[0,0,1] op_sel_hi:[1,1,0] neg_lo:[0,0,1] neg_hi:[0,0,1]
	v_pk_fma_f32 v[112:113], v[112:113], v[102:103], v[116:117] op_sel:[0,0,1] op_sel_hi:[1,0,0]
	s_delay_alu instid0(VALU_DEP_1) | instskip(SKIP_1) | instid1(VALU_DEP_1)
	v_mov_b32_e32 v119, v113
	v_pk_mul_f32 v[112:113], v[114:115], v[104:105] op_sel:[0,1]
	v_pk_fma_f32 v[116:117], v[114:115], v[102:103], v[112:113] op_sel:[0,0,1] op_sel_hi:[1,1,0] neg_lo:[0,0,1] neg_hi:[0,0,1]
	v_pk_fma_f32 v[112:113], v[114:115], v[102:103], v[112:113] op_sel:[0,0,1] op_sel_hi:[1,0,0]
	s_delay_alu instid0(VALU_DEP_1)
	v_mov_b32_e32 v117, v113
	ds_load_2addr_b64 v[112:115], v106 offset0:27 offset1:28
	v_pk_add_f32 v[62:63], v[62:63], v[118:119] neg_lo:[0,1] neg_hi:[0,1]
	v_pk_add_f32 v[64:65], v[64:65], v[116:117] neg_lo:[0,1] neg_hi:[0,1]
	s_wait_dscnt 0x0
	v_pk_mul_f32 v[116:117], v[112:113], v[104:105] op_sel:[0,1]
	s_delay_alu instid0(VALU_DEP_1) | instskip(SKIP_1) | instid1(VALU_DEP_1)
	v_pk_fma_f32 v[118:119], v[112:113], v[102:103], v[116:117] op_sel:[0,0,1] op_sel_hi:[1,1,0] neg_lo:[0,0,1] neg_hi:[0,0,1]
	v_pk_fma_f32 v[112:113], v[112:113], v[102:103], v[116:117] op_sel:[0,0,1] op_sel_hi:[1,0,0]
	v_mov_b32_e32 v119, v113
	v_pk_mul_f32 v[112:113], v[114:115], v[104:105] op_sel:[0,1]
	s_delay_alu instid0(VALU_DEP_1) | instskip(SKIP_1) | instid1(VALU_DEP_1)
	v_pk_fma_f32 v[116:117], v[114:115], v[102:103], v[112:113] op_sel:[0,0,1] op_sel_hi:[1,1,0] neg_lo:[0,0,1] neg_hi:[0,0,1]
	v_pk_fma_f32 v[112:113], v[114:115], v[102:103], v[112:113] op_sel:[0,0,1] op_sel_hi:[1,0,0]
	v_mov_b32_e32 v117, v113
	ds_load_2addr_b64 v[112:115], v106 offset0:29 offset1:30
	v_pk_add_f32 v[20:21], v[20:21], v[118:119] neg_lo:[0,1] neg_hi:[0,1]
	v_pk_add_f32 v[54:55], v[54:55], v[116:117] neg_lo:[0,1] neg_hi:[0,1]
	s_wait_dscnt 0x0
	v_dual_mul_f32 v116, v113, v105 :: v_dual_mul_f32 v118, v113, v102
	s_delay_alu instid0(VALU_DEP_1) | instskip(NEXT) | instid1(VALU_DEP_2)
	v_pk_fma_f32 v[116:117], v[112:113], v[98:99], v[116:117] op_sel_hi:[1,1,0] neg_lo:[0,0,1] neg_hi:[0,0,1]
	v_pk_fma_f32 v[112:113], v[112:113], v[98:99], v[118:119] op_sel:[1,0,0] op_sel_hi:[0,1,0]
	s_delay_alu instid0(VALU_DEP_1) | instskip(SKIP_1) | instid1(VALU_DEP_2)
	v_mov_b32_e32 v117, v113
	v_pk_mul_f32 v[112:113], v[114:115], v[104:105] op_sel:[0,1]
	v_pk_add_f32 v[50:51], v[50:51], v[116:117] neg_lo:[0,1] neg_hi:[0,1]
	s_delay_alu instid0(VALU_DEP_2) | instskip(SKIP_1) | instid1(VALU_DEP_1)
	v_pk_fma_f32 v[116:117], v[114:115], v[102:103], v[112:113] op_sel:[0,0,1] op_sel_hi:[1,1,0] neg_lo:[0,0,1] neg_hi:[0,0,1]
	v_pk_fma_f32 v[112:113], v[114:115], v[102:103], v[112:113] op_sel:[0,0,1] op_sel_hi:[1,0,0]
	v_mov_b32_e32 v117, v113
	ds_load_2addr_b64 v[112:115], v106 offset0:31 offset1:32
	v_pk_add_f32 v[52:53], v[52:53], v[116:117] neg_lo:[0,1] neg_hi:[0,1]
	s_wait_dscnt 0x0
	v_pk_mul_f32 v[116:117], v[112:113], v[104:105] op_sel:[0,1]
	s_delay_alu instid0(VALU_DEP_1) | instskip(SKIP_1) | instid1(VALU_DEP_1)
	v_pk_fma_f32 v[118:119], v[112:113], v[102:103], v[116:117] op_sel:[0,0,1] op_sel_hi:[1,1,0] neg_lo:[0,0,1] neg_hi:[0,0,1]
	v_pk_fma_f32 v[112:113], v[112:113], v[102:103], v[116:117] op_sel:[0,0,1] op_sel_hi:[1,0,0]
	v_mov_b32_e32 v119, v113
	v_pk_mul_f32 v[112:113], v[114:115], v[104:105] op_sel:[0,1]
	s_delay_alu instid0(VALU_DEP_2) | instskip(NEXT) | instid1(VALU_DEP_2)
	v_pk_add_f32 v[12:13], v[12:13], v[118:119] neg_lo:[0,1] neg_hi:[0,1]
	v_pk_fma_f32 v[116:117], v[114:115], v[102:103], v[112:113] op_sel:[0,0,1] op_sel_hi:[1,1,0] neg_lo:[0,0,1] neg_hi:[0,0,1]
	v_pk_fma_f32 v[112:113], v[114:115], v[102:103], v[112:113] op_sel:[0,0,1] op_sel_hi:[1,0,0]
	s_delay_alu instid0(VALU_DEP_1) | instskip(SKIP_4) | instid1(VALU_DEP_1)
	v_mov_b32_e32 v117, v113
	ds_load_2addr_b64 v[112:115], v106 offset0:33 offset1:34
	v_pk_add_f32 v[48:49], v[48:49], v[116:117] neg_lo:[0,1] neg_hi:[0,1]
	s_wait_dscnt 0x0
	v_pk_mul_f32 v[116:117], v[112:113], v[104:105] op_sel:[0,1]
	v_pk_fma_f32 v[118:119], v[112:113], v[102:103], v[116:117] op_sel:[0,0,1] op_sel_hi:[1,1,0] neg_lo:[0,0,1] neg_hi:[0,0,1]
	v_pk_fma_f32 v[112:113], v[112:113], v[102:103], v[116:117] op_sel:[0,0,1] op_sel_hi:[1,0,0]
	v_dual_mul_f32 v116, v115, v105 :: v_dual_mov_b32 v112, v115
	s_delay_alu instid0(VALU_DEP_2) | instskip(NEXT) | instid1(VALU_DEP_2)
	v_dual_mov_b32 v119, v113 :: v_dual_mov_b32 v113, v114
	v_pk_fma_f32 v[116:117], v[114:115], v[98:99], v[116:117] op_sel_hi:[1,1,0] neg_lo:[0,0,1] neg_hi:[0,0,1]
	v_mul_f32_e32 v114, v115, v102
	s_delay_alu instid0(VALU_DEP_3) | instskip(NEXT) | instid1(VALU_DEP_2)
	v_pk_add_f32 v[44:45], v[44:45], v[118:119] neg_lo:[0,1] neg_hi:[0,1]
	v_pk_fma_f32 v[112:113], v[112:113], v[98:99], v[114:115] op_sel_hi:[1,1,0]
	s_delay_alu instid0(VALU_DEP_1) | instskip(SKIP_4) | instid1(VALU_DEP_1)
	v_mov_b32_e32 v117, v113
	ds_load_2addr_b64 v[112:115], v106 offset0:35 offset1:36
	v_pk_add_f32 v[46:47], v[46:47], v[116:117] neg_lo:[0,1] neg_hi:[0,1]
	s_wait_dscnt 0x0
	v_pk_mul_f32 v[116:117], v[112:113], v[104:105] op_sel:[0,1]
	v_pk_fma_f32 v[118:119], v[112:113], v[102:103], v[116:117] op_sel:[0,0,1] op_sel_hi:[1,1,0] neg_lo:[0,0,1] neg_hi:[0,0,1]
	v_pk_fma_f32 v[112:113], v[112:113], v[102:103], v[116:117] op_sel:[0,0,1] op_sel_hi:[1,0,0]
	s_delay_alu instid0(VALU_DEP_1) | instskip(SKIP_1) | instid1(VALU_DEP_1)
	v_mov_b32_e32 v119, v113
	v_pk_mul_f32 v[112:113], v[114:115], v[104:105] op_sel:[0,1]
	v_pk_fma_f32 v[116:117], v[114:115], v[102:103], v[112:113] op_sel:[0,0,1] op_sel_hi:[1,1,0] neg_lo:[0,0,1] neg_hi:[0,0,1]
	v_pk_fma_f32 v[112:113], v[114:115], v[102:103], v[112:113] op_sel:[0,0,1] op_sel_hi:[1,0,0]
	s_delay_alu instid0(VALU_DEP_1)
	v_mov_b32_e32 v117, v113
	ds_load_2addr_b64 v[112:115], v106 offset0:37 offset1:38
	v_pk_add_f32 v[10:11], v[10:11], v[118:119] neg_lo:[0,1] neg_hi:[0,1]
	v_pk_add_f32 v[42:43], v[42:43], v[116:117] neg_lo:[0,1] neg_hi:[0,1]
	s_wait_dscnt 0x0
	v_pk_mul_f32 v[116:117], v[112:113], v[104:105] op_sel:[0,1]
	s_delay_alu instid0(VALU_DEP_1) | instskip(SKIP_1) | instid1(VALU_DEP_1)
	v_pk_fma_f32 v[118:119], v[112:113], v[102:103], v[116:117] op_sel:[0,0,1] op_sel_hi:[1,1,0] neg_lo:[0,0,1] neg_hi:[0,0,1]
	v_pk_fma_f32 v[112:113], v[112:113], v[102:103], v[116:117] op_sel:[0,0,1] op_sel_hi:[1,0,0]
	v_mov_b32_e32 v119, v113
	v_pk_mul_f32 v[112:113], v[114:115], v[104:105] op_sel:[0,1]
	s_delay_alu instid0(VALU_DEP_1) | instskip(SKIP_1) | instid1(VALU_DEP_1)
	v_pk_fma_f32 v[116:117], v[114:115], v[102:103], v[112:113] op_sel:[0,0,1] op_sel_hi:[1,1,0] neg_lo:[0,0,1] neg_hi:[0,0,1]
	v_pk_fma_f32 v[112:113], v[114:115], v[102:103], v[112:113] op_sel:[0,0,1] op_sel_hi:[1,0,0]
	v_mov_b32_e32 v117, v113
	ds_load_2addr_b64 v[112:115], v106 offset0:39 offset1:40
	v_pk_add_f32 v[38:39], v[38:39], v[118:119] neg_lo:[0,1] neg_hi:[0,1]
	v_pk_add_f32 v[40:41], v[40:41], v[116:117] neg_lo:[0,1] neg_hi:[0,1]
	s_wait_dscnt 0x0
	v_dual_mul_f32 v116, v113, v105 :: v_dual_mul_f32 v118, v113, v102
	s_delay_alu instid0(VALU_DEP_1) | instskip(NEXT) | instid1(VALU_DEP_2)
	v_pk_fma_f32 v[116:117], v[112:113], v[98:99], v[116:117] op_sel_hi:[1,1,0] neg_lo:[0,0,1] neg_hi:[0,0,1]
	v_pk_fma_f32 v[112:113], v[112:113], v[98:99], v[118:119] op_sel:[1,0,0] op_sel_hi:[0,1,0]
	s_delay_alu instid0(VALU_DEP_1) | instskip(SKIP_1) | instid1(VALU_DEP_2)
	v_mov_b32_e32 v117, v113
	v_pk_mul_f32 v[112:113], v[114:115], v[104:105] op_sel:[0,1]
	v_pk_add_f32 v[6:7], v[6:7], v[116:117] neg_lo:[0,1] neg_hi:[0,1]
	s_delay_alu instid0(VALU_DEP_2) | instskip(SKIP_1) | instid1(VALU_DEP_1)
	v_pk_fma_f32 v[116:117], v[114:115], v[102:103], v[112:113] op_sel:[0,0,1] op_sel_hi:[1,1,0] neg_lo:[0,0,1] neg_hi:[0,0,1]
	v_pk_fma_f32 v[112:113], v[114:115], v[102:103], v[112:113] op_sel:[0,0,1] op_sel_hi:[1,0,0]
	v_mov_b32_e32 v117, v113
	ds_load_2addr_b64 v[112:115], v106 offset0:41 offset1:42
	v_pk_add_f32 v[36:37], v[36:37], v[116:117] neg_lo:[0,1] neg_hi:[0,1]
	s_wait_dscnt 0x0
	v_pk_mul_f32 v[116:117], v[112:113], v[104:105] op_sel:[0,1]
	s_delay_alu instid0(VALU_DEP_1) | instskip(SKIP_1) | instid1(VALU_DEP_1)
	v_pk_fma_f32 v[118:119], v[112:113], v[102:103], v[116:117] op_sel:[0,0,1] op_sel_hi:[1,1,0] neg_lo:[0,0,1] neg_hi:[0,0,1]
	v_pk_fma_f32 v[112:113], v[112:113], v[102:103], v[116:117] op_sel:[0,0,1] op_sel_hi:[1,0,0]
	v_mov_b32_e32 v119, v113
	v_pk_mul_f32 v[112:113], v[114:115], v[104:105] op_sel:[0,1]
	s_delay_alu instid0(VALU_DEP_2) | instskip(NEXT) | instid1(VALU_DEP_2)
	v_pk_add_f32 v[30:31], v[30:31], v[118:119] neg_lo:[0,1] neg_hi:[0,1]
	v_pk_fma_f32 v[116:117], v[114:115], v[102:103], v[112:113] op_sel:[0,0,1] op_sel_hi:[1,1,0] neg_lo:[0,0,1] neg_hi:[0,0,1]
	v_pk_fma_f32 v[112:113], v[114:115], v[102:103], v[112:113] op_sel:[0,0,1] op_sel_hi:[1,0,0]
	s_delay_alu instid0(VALU_DEP_1) | instskip(SKIP_4) | instid1(VALU_DEP_1)
	v_mov_b32_e32 v117, v113
	ds_load_2addr_b64 v[112:115], v106 offset0:43 offset1:44
	v_pk_add_f32 v[34:35], v[34:35], v[116:117] neg_lo:[0,1] neg_hi:[0,1]
	s_wait_dscnt 0x0
	v_pk_mul_f32 v[116:117], v[112:113], v[104:105] op_sel:[0,1]
	v_pk_fma_f32 v[118:119], v[112:113], v[102:103], v[116:117] op_sel:[0,0,1] op_sel_hi:[1,1,0] neg_lo:[0,0,1] neg_hi:[0,0,1]
	v_pk_fma_f32 v[112:113], v[112:113], v[102:103], v[116:117] op_sel:[0,0,1] op_sel_hi:[1,0,0]
	v_dual_mul_f32 v116, v115, v105 :: v_dual_mov_b32 v112, v115
	s_delay_alu instid0(VALU_DEP_2) | instskip(NEXT) | instid1(VALU_DEP_2)
	v_dual_mov_b32 v119, v113 :: v_dual_mov_b32 v113, v114
	v_pk_fma_f32 v[116:117], v[114:115], v[98:99], v[116:117] op_sel_hi:[1,1,0] neg_lo:[0,0,1] neg_hi:[0,0,1]
	v_mul_f32_e32 v114, v115, v102
	s_delay_alu instid0(VALU_DEP_3) | instskip(NEXT) | instid1(VALU_DEP_2)
	v_pk_add_f32 v[8:9], v[8:9], v[118:119] neg_lo:[0,1] neg_hi:[0,1]
	v_pk_fma_f32 v[112:113], v[112:113], v[98:99], v[114:115] op_sel_hi:[1,1,0]
	s_delay_alu instid0(VALU_DEP_1) | instskip(SKIP_4) | instid1(VALU_DEP_1)
	v_mov_b32_e32 v117, v113
	ds_load_2addr_b64 v[112:115], v106 offset0:45 offset1:46
	v_pk_add_f32 v[28:29], v[28:29], v[116:117] neg_lo:[0,1] neg_hi:[0,1]
	s_wait_dscnt 0x0
	v_pk_mul_f32 v[116:117], v[112:113], v[104:105] op_sel:[0,1]
	v_pk_fma_f32 v[118:119], v[112:113], v[102:103], v[116:117] op_sel:[0,0,1] op_sel_hi:[1,1,0] neg_lo:[0,0,1] neg_hi:[0,0,1]
	v_pk_fma_f32 v[112:113], v[112:113], v[102:103], v[116:117] op_sel:[0,0,1] op_sel_hi:[1,0,0]
	s_delay_alu instid0(VALU_DEP_1) | instskip(SKIP_1) | instid1(VALU_DEP_1)
	v_mov_b32_e32 v119, v113
	v_pk_mul_f32 v[112:113], v[114:115], v[104:105] op_sel:[0,1]
	v_pk_fma_f32 v[116:117], v[114:115], v[102:103], v[112:113] op_sel:[0,0,1] op_sel_hi:[1,1,0] neg_lo:[0,0,1] neg_hi:[0,0,1]
	v_pk_fma_f32 v[112:113], v[114:115], v[102:103], v[112:113] op_sel:[0,0,1] op_sel_hi:[1,0,0]
	s_delay_alu instid0(VALU_DEP_1)
	v_mov_b32_e32 v117, v113
	ds_load_b64 v[112:113], v106 offset:376
	v_pk_add_f32 v[18:19], v[18:19], v[118:119] neg_lo:[0,1] neg_hi:[0,1]
	v_pk_add_f32 v[14:15], v[14:15], v[116:117] neg_lo:[0,1] neg_hi:[0,1]
	s_wait_dscnt 0x0
	v_pk_mul_f32 v[104:105], v[112:113], v[104:105] op_sel:[0,1]
	s_delay_alu instid0(VALU_DEP_1) | instskip(SKIP_1) | instid1(VALU_DEP_1)
	v_pk_fma_f32 v[114:115], v[112:113], v[102:103], v[104:105] op_sel:[0,0,1] op_sel_hi:[1,1,0] neg_lo:[0,0,1] neg_hi:[0,0,1]
	v_pk_fma_f32 v[102:103], v[112:113], v[102:103], v[104:105] op_sel:[0,0,1] op_sel_hi:[1,0,0]
	v_mov_b32_e32 v115, v103
	s_delay_alu instid0(VALU_DEP_1)
	v_pk_add_f32 v[100:101], v[100:101], v[114:115] neg_lo:[0,1] neg_hi:[0,1]
.LBB94_22:
	s_or_b32 exec_lo, exec_lo, s0
	v_lshl_add_u32 v102, v110, 3, v106
	s_barrier_signal -1
	s_barrier_wait -1
	ds_store_b64 v102, v[96:97]
	s_wait_dscnt 0x0
	s_barrier_signal -1
	s_barrier_wait -1
	ds_load_b64 v[104:105], v106 offset:8
	v_mov_b32_e32 v102, 1
	s_cmp_lt_i32 s18, 3
	s_cbranch_scc1 .LBB94_25
; %bb.23:
	v_add3_u32 v103, v107, 0, 16
	v_mov_b32_e32 v102, 1
	s_mov_b32 s0, 2
.LBB94_24:                              ; =>This Inner Loop Header: Depth=1
	ds_load_b64 v[112:113], v103
	s_wait_dscnt 0x1
	v_cmp_gt_f32_e32 vcc_lo, 0, v104
	v_cndmask_b32_e64 v114, v104, -v104, vcc_lo
	v_cmp_gt_f32_e32 vcc_lo, 0, v105
	v_cndmask_b32_e64 v116, v105, -v105, vcc_lo
	s_wait_dscnt 0x0
	v_cmp_gt_f32_e32 vcc_lo, 0, v112
	v_cndmask_b32_e64 v115, v112, -v112, vcc_lo
	v_cmp_gt_f32_e32 vcc_lo, 0, v113
	v_cndmask_b32_e64 v117, v113, -v113, vcc_lo
	s_delay_alu instid0(VALU_DEP_1) | instskip(NEXT) | instid1(VALU_DEP_1)
	v_pk_add_f32 v[114:115], v[114:115], v[116:117]
	v_cmp_lt_f32_e32 vcc_lo, v114, v115
	v_dual_add_nc_u32 v103, 8, v103 :: v_dual_cndmask_b32 v105, v105, v113, vcc_lo
	v_cndmask_b32_e32 v104, v104, v112, vcc_lo
	v_cndmask_b32_e64 v102, v102, s0, vcc_lo
	s_add_co_i32 s0, s0, 1
	s_delay_alu instid0(SALU_CYCLE_1)
	s_cmp_lg_u32 s18, s0
	s_cbranch_scc1 .LBB94_24
.LBB94_25:
	s_wait_dscnt 0x0
	v_cmp_neq_f32_e32 vcc_lo, 0, v104
	v_cmp_neq_f32_e64 s0, 0, v105
	s_or_b32 s1, vcc_lo, s0
	s_delay_alu instid0(SALU_CYCLE_1)
	s_and_saveexec_b32 s0, s1
	s_cbranch_execz .LBB94_31
; %bb.26:
	v_cmp_ngt_f32_e64 s1, |v104|, |v105|
	s_and_saveexec_b32 s12, s1
	s_delay_alu instid0(SALU_CYCLE_1)
	s_xor_b32 s1, exec_lo, s12
	s_cbranch_execz .LBB94_28
; %bb.27:
	v_div_scale_f32 v103, null, v105, v105, v104
	v_div_scale_f32 v113, vcc_lo, v104, v105, v104
	s_delay_alu instid0(VALU_DEP_2) | instskip(SKIP_1) | instid1(TRANS32_DEP_1)
	v_rcp_f32_e32 v108, v103
	v_nop
	v_fma_f32 v112, -v103, v108, 1.0
	s_delay_alu instid0(VALU_DEP_1) | instskip(NEXT) | instid1(VALU_DEP_1)
	v_fmac_f32_e32 v108, v112, v108
	v_mul_f32_e32 v112, v113, v108
	s_delay_alu instid0(VALU_DEP_1) | instskip(NEXT) | instid1(VALU_DEP_1)
	v_fma_f32 v114, -v103, v112, v113
	v_fmac_f32_e32 v112, v114, v108
	s_delay_alu instid0(VALU_DEP_1) | instskip(NEXT) | instid1(VALU_DEP_1)
	v_fma_f32 v103, -v103, v112, v113
	v_div_fmas_f32 v103, v103, v108, v112
	s_delay_alu instid0(VALU_DEP_1) | instskip(NEXT) | instid1(VALU_DEP_1)
	v_div_fixup_f32 v103, v103, v105, v104
	v_fmac_f32_e32 v105, v104, v103
	s_delay_alu instid0(VALU_DEP_1) | instskip(SKIP_1) | instid1(VALU_DEP_2)
	v_div_scale_f32 v104, null, v105, v105, 1.0
	v_div_scale_f32 v113, vcc_lo, 1.0, v105, 1.0
	v_rcp_f32_e32 v108, v104
	v_nop
	s_delay_alu instid0(TRANS32_DEP_1) | instskip(NEXT) | instid1(VALU_DEP_1)
	v_fma_f32 v112, -v104, v108, 1.0
	v_fmac_f32_e32 v108, v112, v108
	s_delay_alu instid0(VALU_DEP_1) | instskip(NEXT) | instid1(VALU_DEP_1)
	v_mul_f32_e32 v112, v113, v108
	v_fma_f32 v114, -v104, v112, v113
	s_delay_alu instid0(VALU_DEP_1) | instskip(NEXT) | instid1(VALU_DEP_1)
	v_fmac_f32_e32 v112, v114, v108
	v_fma_f32 v104, -v104, v112, v113
	s_delay_alu instid0(VALU_DEP_1) | instskip(NEXT) | instid1(VALU_DEP_1)
	v_div_fmas_f32 v104, v104, v108, v112
	v_div_fixup_f32 v105, v104, v105, 1.0
	s_delay_alu instid0(VALU_DEP_1)
	v_mul_f32_e32 v104, v103, v105
	v_xor_b32_e32 v105, 0x80000000, v105
.LBB94_28:
	s_and_not1_saveexec_b32 s1, s1
	s_cbranch_execz .LBB94_30
; %bb.29:
	s_delay_alu instid0(VALU_DEP_1) | instskip(SKIP_1) | instid1(VALU_DEP_2)
	v_div_scale_f32 v103, null, v104, v104, v105
	v_div_scale_f32 v113, vcc_lo, v105, v104, v105
	v_rcp_f32_e32 v108, v103
	v_nop
	s_delay_alu instid0(TRANS32_DEP_1) | instskip(NEXT) | instid1(VALU_DEP_1)
	v_fma_f32 v112, -v103, v108, 1.0
	v_fmac_f32_e32 v108, v112, v108
	s_delay_alu instid0(VALU_DEP_1) | instskip(NEXT) | instid1(VALU_DEP_1)
	v_mul_f32_e32 v112, v113, v108
	v_fma_f32 v114, -v103, v112, v113
	s_delay_alu instid0(VALU_DEP_1) | instskip(NEXT) | instid1(VALU_DEP_1)
	v_fmac_f32_e32 v112, v114, v108
	v_fma_f32 v103, -v103, v112, v113
	s_delay_alu instid0(VALU_DEP_1) | instskip(NEXT) | instid1(VALU_DEP_1)
	v_div_fmas_f32 v103, v103, v108, v112
	v_div_fixup_f32 v103, v103, v104, v105
	s_delay_alu instid0(VALU_DEP_1) | instskip(NEXT) | instid1(VALU_DEP_1)
	v_fmac_f32_e32 v104, v105, v103
	v_div_scale_f32 v105, null, v104, v104, 1.0
	s_delay_alu instid0(VALU_DEP_1) | instskip(SKIP_1) | instid1(TRANS32_DEP_1)
	v_rcp_f32_e32 v108, v105
	v_nop
	v_fma_f32 v112, -v105, v108, 1.0
	s_delay_alu instid0(VALU_DEP_1) | instskip(SKIP_1) | instid1(VALU_DEP_1)
	v_fmac_f32_e32 v108, v112, v108
	v_div_scale_f32 v112, vcc_lo, 1.0, v104, 1.0
	v_mul_f32_e32 v113, v112, v108
	s_delay_alu instid0(VALU_DEP_1) | instskip(NEXT) | instid1(VALU_DEP_1)
	v_fma_f32 v114, -v105, v113, v112
	v_fmac_f32_e32 v113, v114, v108
	s_delay_alu instid0(VALU_DEP_1) | instskip(NEXT) | instid1(VALU_DEP_1)
	v_fma_f32 v105, -v105, v113, v112
	v_div_fmas_f32 v105, v105, v108, v113
	s_delay_alu instid0(VALU_DEP_1) | instskip(NEXT) | instid1(VALU_DEP_1)
	v_div_fixup_f32 v104, v105, v104, 1.0
	v_mul_f32_e64 v105, v103, -v104
.LBB94_30:
	s_or_b32 exec_lo, exec_lo, s1
	v_mov_b32_e32 v108, v111
.LBB94_31:
	s_or_b32 exec_lo, exec_lo, s0
	s_delay_alu instid0(SALU_CYCLE_1)
	s_mov_b32 s0, exec_lo
	v_cmpx_ne_u32_e64 v110, v102
	s_xor_b32 s0, exec_lo, s0
	s_cbranch_execz .LBB94_37
; %bb.32:
	s_mov_b32 s1, exec_lo
	v_cmpx_eq_u32_e32 1, v110
	s_cbranch_execz .LBB94_36
; %bb.33:
	v_cmp_ne_u32_e32 vcc_lo, 1, v102
	s_xor_b32 s12, s16, -1
	s_delay_alu instid0(SALU_CYCLE_1) | instskip(NEXT) | instid1(SALU_CYCLE_1)
	s_and_b32 s13, s12, vcc_lo
	s_and_saveexec_b32 s12, s13
	s_cbranch_execz .LBB94_35
; %bb.34:
	v_ashrrev_i32_e32 v103, 31, v102
	s_delay_alu instid0(VALU_DEP_1)
	v_lshl_add_u64 v[110:111], v[102:103], 2, v[4:5]
	s_clause 0x1
	global_load_b32 v103, v[110:111], off
	global_load_b32 v109, v[4:5], off offset:4
	s_wait_loadcnt 0x1
	global_store_b32 v[4:5], v103, off offset:4
	s_wait_loadcnt 0x0
	global_store_b32 v[110:111], v109, off
.LBB94_35:
	s_wait_xcnt 0x0
	s_or_b32 exec_lo, exec_lo, s12
	v_dual_mov_b32 v110, v102 :: v_dual_mov_b32 v109, v102
.LBB94_36:
	s_or_b32 exec_lo, exec_lo, s1
.LBB94_37:
	s_and_not1_saveexec_b32 s0, s0
	s_cbranch_execz .LBB94_39
; %bb.38:
	v_dual_mov_b32 v102, v94 :: v_dual_mov_b32 v103, v95
	v_dual_mov_b32 v110, v92 :: v_dual_mov_b32 v111, v93
	ds_store_2addr_b64 v106, v[102:103], v[110:111] offset0:2 offset1:3
	v_dual_mov_b32 v102, v60 :: v_dual_mov_b32 v103, v61
	v_dual_mov_b32 v110, v56 :: v_dual_mov_b32 v111, v57
	ds_store_2addr_b64 v106, v[102:103], v[110:111] offset0:4 offset1:5
	;; [unrolled: 3-line block ×22, first 2 shown]
	v_dual_mov_b32 v102, v14 :: v_dual_mov_b32 v103, v15
	v_mov_b32_e32 v110, 1
	ds_store_2addr_b64 v106, v[102:103], v[100:101] offset0:46 offset1:47
.LBB94_39:
	s_or_b32 exec_lo, exec_lo, s0
	s_delay_alu instid0(SALU_CYCLE_1)
	s_mov_b32 s0, exec_lo
	s_wait_storecnt_dscnt 0x0
	s_barrier_signal -1
	s_barrier_wait -1
	v_cmpx_lt_i32_e32 1, v110
	s_cbranch_execz .LBB94_41
; %bb.40:
	v_pk_mul_f32 v[112:113], v[104:105], v[96:97] op_sel:[1,1] op_sel_hi:[0,1]
	s_delay_alu instid0(VALU_DEP_1)
	v_pk_fma_f32 v[102:103], v[104:105], v[96:97], v[112:113] op_sel_hi:[1,0,1] neg_lo:[0,0,1] neg_hi:[0,0,1]
	v_pk_fma_f32 v[104:105], v[104:105], v[96:97], v[112:113] op_sel_hi:[1,0,1]
	ds_load_2addr_b64 v[112:115], v106 offset0:2 offset1:3
	v_dual_mov_b32 v96, v102 :: v_dual_mov_b32 v97, v105
	s_wait_dscnt 0x0
	v_pk_mul_f32 v[116:117], v[112:113], v[104:105] op_sel:[0,1]
	s_delay_alu instid0(VALU_DEP_1) | instskip(SKIP_1) | instid1(VALU_DEP_1)
	v_pk_fma_f32 v[118:119], v[112:113], v[102:103], v[116:117] op_sel:[0,0,1] op_sel_hi:[1,1,0] neg_lo:[0,0,1] neg_hi:[0,0,1]
	v_pk_fma_f32 v[112:113], v[112:113], v[102:103], v[116:117] op_sel:[0,0,1] op_sel_hi:[1,0,0]
	v_mov_b32_e32 v119, v113
	v_pk_mul_f32 v[112:113], v[114:115], v[104:105] op_sel:[0,1]
	s_delay_alu instid0(VALU_DEP_1) | instskip(SKIP_1) | instid1(VALU_DEP_1)
	v_pk_fma_f32 v[116:117], v[114:115], v[102:103], v[112:113] op_sel:[0,0,1] op_sel_hi:[1,1,0] neg_lo:[0,0,1] neg_hi:[0,0,1]
	v_pk_fma_f32 v[112:113], v[114:115], v[102:103], v[112:113] op_sel:[0,0,1] op_sel_hi:[1,0,0]
	v_mov_b32_e32 v117, v113
	ds_load_2addr_b64 v[112:115], v106 offset0:4 offset1:5
	v_pk_add_f32 v[94:95], v[94:95], v[118:119] neg_lo:[0,1] neg_hi:[0,1]
	v_pk_add_f32 v[92:93], v[92:93], v[116:117] neg_lo:[0,1] neg_hi:[0,1]
	s_wait_dscnt 0x0
	v_pk_mul_f32 v[116:117], v[112:113], v[104:105] op_sel:[0,1]
	s_delay_alu instid0(VALU_DEP_1) | instskip(SKIP_2) | instid1(VALU_DEP_2)
	v_pk_fma_f32 v[118:119], v[112:113], v[102:103], v[116:117] op_sel:[0,0,1] op_sel_hi:[1,1,0] neg_lo:[0,0,1] neg_hi:[0,0,1]
	v_pk_fma_f32 v[112:113], v[112:113], v[102:103], v[116:117] op_sel:[0,0,1] op_sel_hi:[1,0,0]
	v_dual_mul_f32 v116, v115, v105 :: v_dual_mov_b32 v112, v115
	v_dual_mov_b32 v119, v113 :: v_dual_mov_b32 v113, v114
	s_delay_alu instid0(VALU_DEP_2) | instskip(SKIP_1) | instid1(VALU_DEP_3)
	v_pk_fma_f32 v[116:117], v[114:115], v[96:97], v[116:117] op_sel_hi:[1,1,0] neg_lo:[0,0,1] neg_hi:[0,0,1]
	v_mul_f32_e32 v114, v115, v102
	v_pk_add_f32 v[60:61], v[60:61], v[118:119] neg_lo:[0,1] neg_hi:[0,1]
	s_delay_alu instid0(VALU_DEP_2) | instskip(NEXT) | instid1(VALU_DEP_1)
	v_pk_fma_f32 v[112:113], v[112:113], v[96:97], v[114:115] op_sel_hi:[1,1,0]
	v_mov_b32_e32 v117, v113
	ds_load_2addr_b64 v[112:115], v106 offset0:6 offset1:7
	v_pk_add_f32 v[56:57], v[56:57], v[116:117] neg_lo:[0,1] neg_hi:[0,1]
	s_wait_dscnt 0x0
	v_pk_mul_f32 v[116:117], v[112:113], v[104:105] op_sel:[0,1]
	s_delay_alu instid0(VALU_DEP_1) | instskip(SKIP_1) | instid1(VALU_DEP_1)
	v_pk_fma_f32 v[118:119], v[112:113], v[102:103], v[116:117] op_sel:[0,0,1] op_sel_hi:[1,1,0] neg_lo:[0,0,1] neg_hi:[0,0,1]
	v_pk_fma_f32 v[112:113], v[112:113], v[102:103], v[116:117] op_sel:[0,0,1] op_sel_hi:[1,0,0]
	v_mov_b32_e32 v119, v113
	v_pk_mul_f32 v[112:113], v[114:115], v[104:105] op_sel:[0,1]
	s_delay_alu instid0(VALU_DEP_1) | instskip(SKIP_1) | instid1(VALU_DEP_1)
	v_pk_fma_f32 v[116:117], v[114:115], v[102:103], v[112:113] op_sel:[0,0,1] op_sel_hi:[1,1,0] neg_lo:[0,0,1] neg_hi:[0,0,1]
	v_pk_fma_f32 v[112:113], v[114:115], v[102:103], v[112:113] op_sel:[0,0,1] op_sel_hi:[1,0,0]
	v_mov_b32_e32 v117, v113
	ds_load_2addr_b64 v[112:115], v106 offset0:8 offset1:9
	v_pk_add_f32 v[58:59], v[58:59], v[118:119] neg_lo:[0,1] neg_hi:[0,1]
	v_pk_add_f32 v[16:17], v[16:17], v[116:117] neg_lo:[0,1] neg_hi:[0,1]
	s_wait_dscnt 0x0
	v_pk_mul_f32 v[116:117], v[112:113], v[104:105] op_sel:[0,1]
	s_delay_alu instid0(VALU_DEP_1) | instskip(SKIP_1) | instid1(VALU_DEP_1)
	v_pk_fma_f32 v[118:119], v[112:113], v[102:103], v[116:117] op_sel:[0,0,1] op_sel_hi:[1,1,0] neg_lo:[0,0,1] neg_hi:[0,0,1]
	v_pk_fma_f32 v[112:113], v[112:113], v[102:103], v[116:117] op_sel:[0,0,1] op_sel_hi:[1,0,0]
	v_mov_b32_e32 v119, v113
	v_pk_mul_f32 v[112:113], v[114:115], v[104:105] op_sel:[0,1]
	s_delay_alu instid0(VALU_DEP_1) | instskip(SKIP_1) | instid1(VALU_DEP_1)
	v_pk_fma_f32 v[116:117], v[114:115], v[102:103], v[112:113] op_sel:[0,0,1] op_sel_hi:[1,1,0] neg_lo:[0,0,1] neg_hi:[0,0,1]
	v_pk_fma_f32 v[112:113], v[114:115], v[102:103], v[112:113] op_sel:[0,0,1] op_sel_hi:[1,0,0]
	v_mov_b32_e32 v117, v113
	ds_load_2addr_b64 v[112:115], v106 offset0:10 offset1:11
	v_pk_add_f32 v[90:91], v[90:91], v[118:119] neg_lo:[0,1] neg_hi:[0,1]
	v_pk_add_f32 v[86:87], v[86:87], v[116:117] neg_lo:[0,1] neg_hi:[0,1]
	s_wait_dscnt 0x0
	v_dual_mul_f32 v116, v113, v105 :: v_dual_mul_f32 v118, v113, v102
	s_delay_alu instid0(VALU_DEP_1) | instskip(NEXT) | instid1(VALU_DEP_2)
	v_pk_fma_f32 v[116:117], v[112:113], v[96:97], v[116:117] op_sel_hi:[1,1,0] neg_lo:[0,0,1] neg_hi:[0,0,1]
	v_pk_fma_f32 v[112:113], v[112:113], v[96:97], v[118:119] op_sel:[1,0,0] op_sel_hi:[0,1,0]
	s_delay_alu instid0(VALU_DEP_1) | instskip(SKIP_1) | instid1(VALU_DEP_2)
	v_mov_b32_e32 v117, v113
	v_pk_mul_f32 v[112:113], v[114:115], v[104:105] op_sel:[0,1]
	v_pk_add_f32 v[88:89], v[88:89], v[116:117] neg_lo:[0,1] neg_hi:[0,1]
	s_delay_alu instid0(VALU_DEP_2) | instskip(SKIP_1) | instid1(VALU_DEP_1)
	v_pk_fma_f32 v[116:117], v[114:115], v[102:103], v[112:113] op_sel:[0,0,1] op_sel_hi:[1,1,0] neg_lo:[0,0,1] neg_hi:[0,0,1]
	v_pk_fma_f32 v[112:113], v[114:115], v[102:103], v[112:113] op_sel:[0,0,1] op_sel_hi:[1,0,0]
	v_mov_b32_e32 v117, v113
	ds_load_2addr_b64 v[112:115], v106 offset0:12 offset1:13
	v_pk_add_f32 v[32:33], v[32:33], v[116:117] neg_lo:[0,1] neg_hi:[0,1]
	s_wait_dscnt 0x0
	v_pk_mul_f32 v[116:117], v[112:113], v[104:105] op_sel:[0,1]
	s_delay_alu instid0(VALU_DEP_1) | instskip(SKIP_1) | instid1(VALU_DEP_1)
	v_pk_fma_f32 v[118:119], v[112:113], v[102:103], v[116:117] op_sel:[0,0,1] op_sel_hi:[1,1,0] neg_lo:[0,0,1] neg_hi:[0,0,1]
	v_pk_fma_f32 v[112:113], v[112:113], v[102:103], v[116:117] op_sel:[0,0,1] op_sel_hi:[1,0,0]
	v_mov_b32_e32 v119, v113
	v_pk_mul_f32 v[112:113], v[114:115], v[104:105] op_sel:[0,1]
	s_delay_alu instid0(VALU_DEP_2) | instskip(NEXT) | instid1(VALU_DEP_2)
	v_pk_add_f32 v[84:85], v[84:85], v[118:119] neg_lo:[0,1] neg_hi:[0,1]
	v_pk_fma_f32 v[116:117], v[114:115], v[102:103], v[112:113] op_sel:[0,0,1] op_sel_hi:[1,1,0] neg_lo:[0,0,1] neg_hi:[0,0,1]
	v_pk_fma_f32 v[112:113], v[114:115], v[102:103], v[112:113] op_sel:[0,0,1] op_sel_hi:[1,0,0]
	s_delay_alu instid0(VALU_DEP_1) | instskip(SKIP_4) | instid1(VALU_DEP_1)
	v_mov_b32_e32 v117, v113
	ds_load_2addr_b64 v[112:115], v106 offset0:14 offset1:15
	v_pk_add_f32 v[80:81], v[80:81], v[116:117] neg_lo:[0,1] neg_hi:[0,1]
	s_wait_dscnt 0x0
	v_pk_mul_f32 v[116:117], v[112:113], v[104:105] op_sel:[0,1]
	v_pk_fma_f32 v[118:119], v[112:113], v[102:103], v[116:117] op_sel:[0,0,1] op_sel_hi:[1,1,0] neg_lo:[0,0,1] neg_hi:[0,0,1]
	v_pk_fma_f32 v[112:113], v[112:113], v[102:103], v[116:117] op_sel:[0,0,1] op_sel_hi:[1,0,0]
	v_dual_mul_f32 v116, v115, v105 :: v_dual_mov_b32 v112, v115
	s_delay_alu instid0(VALU_DEP_2) | instskip(NEXT) | instid1(VALU_DEP_2)
	v_dual_mov_b32 v119, v113 :: v_dual_mov_b32 v113, v114
	v_pk_fma_f32 v[116:117], v[114:115], v[96:97], v[116:117] op_sel_hi:[1,1,0] neg_lo:[0,0,1] neg_hi:[0,0,1]
	v_mul_f32_e32 v114, v115, v102
	s_delay_alu instid0(VALU_DEP_3) | instskip(NEXT) | instid1(VALU_DEP_2)
	v_pk_add_f32 v[82:83], v[82:83], v[118:119] neg_lo:[0,1] neg_hi:[0,1]
	v_pk_fma_f32 v[112:113], v[112:113], v[96:97], v[114:115] op_sel_hi:[1,1,0]
	s_delay_alu instid0(VALU_DEP_1) | instskip(SKIP_4) | instid1(VALU_DEP_1)
	v_mov_b32_e32 v117, v113
	ds_load_2addr_b64 v[112:115], v106 offset0:16 offset1:17
	v_pk_add_f32 v[26:27], v[26:27], v[116:117] neg_lo:[0,1] neg_hi:[0,1]
	s_wait_dscnt 0x0
	v_pk_mul_f32 v[116:117], v[112:113], v[104:105] op_sel:[0,1]
	v_pk_fma_f32 v[118:119], v[112:113], v[102:103], v[116:117] op_sel:[0,0,1] op_sel_hi:[1,1,0] neg_lo:[0,0,1] neg_hi:[0,0,1]
	v_pk_fma_f32 v[112:113], v[112:113], v[102:103], v[116:117] op_sel:[0,0,1] op_sel_hi:[1,0,0]
	s_delay_alu instid0(VALU_DEP_1) | instskip(SKIP_1) | instid1(VALU_DEP_1)
	v_mov_b32_e32 v119, v113
	v_pk_mul_f32 v[112:113], v[114:115], v[104:105] op_sel:[0,1]
	v_pk_fma_f32 v[116:117], v[114:115], v[102:103], v[112:113] op_sel:[0,0,1] op_sel_hi:[1,1,0] neg_lo:[0,0,1] neg_hi:[0,0,1]
	v_pk_fma_f32 v[112:113], v[114:115], v[102:103], v[112:113] op_sel:[0,0,1] op_sel_hi:[1,0,0]
	s_delay_alu instid0(VALU_DEP_1)
	v_mov_b32_e32 v117, v113
	ds_load_2addr_b64 v[112:115], v106 offset0:18 offset1:19
	v_pk_add_f32 v[78:79], v[78:79], v[118:119] neg_lo:[0,1] neg_hi:[0,1]
	v_pk_add_f32 v[74:75], v[74:75], v[116:117] neg_lo:[0,1] neg_hi:[0,1]
	s_wait_dscnt 0x0
	v_pk_mul_f32 v[116:117], v[112:113], v[104:105] op_sel:[0,1]
	s_delay_alu instid0(VALU_DEP_1) | instskip(SKIP_1) | instid1(VALU_DEP_1)
	v_pk_fma_f32 v[118:119], v[112:113], v[102:103], v[116:117] op_sel:[0,0,1] op_sel_hi:[1,1,0] neg_lo:[0,0,1] neg_hi:[0,0,1]
	v_pk_fma_f32 v[112:113], v[112:113], v[102:103], v[116:117] op_sel:[0,0,1] op_sel_hi:[1,0,0]
	v_mov_b32_e32 v119, v113
	v_pk_mul_f32 v[112:113], v[114:115], v[104:105] op_sel:[0,1]
	s_delay_alu instid0(VALU_DEP_1) | instskip(SKIP_1) | instid1(VALU_DEP_1)
	v_pk_fma_f32 v[116:117], v[114:115], v[102:103], v[112:113] op_sel:[0,0,1] op_sel_hi:[1,1,0] neg_lo:[0,0,1] neg_hi:[0,0,1]
	v_pk_fma_f32 v[112:113], v[114:115], v[102:103], v[112:113] op_sel:[0,0,1] op_sel_hi:[1,0,0]
	v_mov_b32_e32 v117, v113
	ds_load_2addr_b64 v[112:115], v106 offset0:20 offset1:21
	v_pk_add_f32 v[76:77], v[76:77], v[118:119] neg_lo:[0,1] neg_hi:[0,1]
	v_pk_add_f32 v[24:25], v[24:25], v[116:117] neg_lo:[0,1] neg_hi:[0,1]
	s_wait_dscnt 0x0
	v_dual_mul_f32 v116, v113, v105 :: v_dual_mul_f32 v118, v113, v102
	s_delay_alu instid0(VALU_DEP_1) | instskip(NEXT) | instid1(VALU_DEP_2)
	v_pk_fma_f32 v[116:117], v[112:113], v[96:97], v[116:117] op_sel_hi:[1,1,0] neg_lo:[0,0,1] neg_hi:[0,0,1]
	v_pk_fma_f32 v[112:113], v[112:113], v[96:97], v[118:119] op_sel:[1,0,0] op_sel_hi:[0,1,0]
	s_delay_alu instid0(VALU_DEP_1) | instskip(SKIP_1) | instid1(VALU_DEP_2)
	v_mov_b32_e32 v117, v113
	v_pk_mul_f32 v[112:113], v[114:115], v[104:105] op_sel:[0,1]
	v_pk_add_f32 v[72:73], v[72:73], v[116:117] neg_lo:[0,1] neg_hi:[0,1]
	s_delay_alu instid0(VALU_DEP_2) | instskip(SKIP_1) | instid1(VALU_DEP_1)
	v_pk_fma_f32 v[116:117], v[114:115], v[102:103], v[112:113] op_sel:[0,0,1] op_sel_hi:[1,1,0] neg_lo:[0,0,1] neg_hi:[0,0,1]
	v_pk_fma_f32 v[112:113], v[114:115], v[102:103], v[112:113] op_sel:[0,0,1] op_sel_hi:[1,0,0]
	v_mov_b32_e32 v117, v113
	ds_load_2addr_b64 v[112:115], v106 offset0:22 offset1:23
	v_pk_add_f32 v[68:69], v[68:69], v[116:117] neg_lo:[0,1] neg_hi:[0,1]
	s_wait_dscnt 0x0
	v_pk_mul_f32 v[116:117], v[112:113], v[104:105] op_sel:[0,1]
	s_delay_alu instid0(VALU_DEP_1) | instskip(SKIP_1) | instid1(VALU_DEP_1)
	v_pk_fma_f32 v[118:119], v[112:113], v[102:103], v[116:117] op_sel:[0,0,1] op_sel_hi:[1,1,0] neg_lo:[0,0,1] neg_hi:[0,0,1]
	v_pk_fma_f32 v[112:113], v[112:113], v[102:103], v[116:117] op_sel:[0,0,1] op_sel_hi:[1,0,0]
	v_mov_b32_e32 v119, v113
	v_pk_mul_f32 v[112:113], v[114:115], v[104:105] op_sel:[0,1]
	s_delay_alu instid0(VALU_DEP_2) | instskip(NEXT) | instid1(VALU_DEP_2)
	v_pk_add_f32 v[70:71], v[70:71], v[118:119] neg_lo:[0,1] neg_hi:[0,1]
	v_pk_fma_f32 v[116:117], v[114:115], v[102:103], v[112:113] op_sel:[0,0,1] op_sel_hi:[1,1,0] neg_lo:[0,0,1] neg_hi:[0,0,1]
	v_pk_fma_f32 v[112:113], v[114:115], v[102:103], v[112:113] op_sel:[0,0,1] op_sel_hi:[1,0,0]
	s_delay_alu instid0(VALU_DEP_1) | instskip(SKIP_4) | instid1(VALU_DEP_1)
	v_mov_b32_e32 v117, v113
	ds_load_2addr_b64 v[112:115], v106 offset0:24 offset1:25
	v_pk_add_f32 v[22:23], v[22:23], v[116:117] neg_lo:[0,1] neg_hi:[0,1]
	s_wait_dscnt 0x0
	v_pk_mul_f32 v[116:117], v[112:113], v[104:105] op_sel:[0,1]
	v_pk_fma_f32 v[118:119], v[112:113], v[102:103], v[116:117] op_sel:[0,0,1] op_sel_hi:[1,1,0] neg_lo:[0,0,1] neg_hi:[0,0,1]
	v_pk_fma_f32 v[112:113], v[112:113], v[102:103], v[116:117] op_sel:[0,0,1] op_sel_hi:[1,0,0]
	v_dual_mul_f32 v116, v115, v105 :: v_dual_mov_b32 v112, v115
	s_delay_alu instid0(VALU_DEP_2) | instskip(NEXT) | instid1(VALU_DEP_2)
	v_dual_mov_b32 v119, v113 :: v_dual_mov_b32 v113, v114
	v_pk_fma_f32 v[116:117], v[114:115], v[96:97], v[116:117] op_sel_hi:[1,1,0] neg_lo:[0,0,1] neg_hi:[0,0,1]
	v_mul_f32_e32 v114, v115, v102
	s_delay_alu instid0(VALU_DEP_3) | instskip(NEXT) | instid1(VALU_DEP_2)
	v_pk_add_f32 v[66:67], v[66:67], v[118:119] neg_lo:[0,1] neg_hi:[0,1]
	v_pk_fma_f32 v[112:113], v[112:113], v[96:97], v[114:115] op_sel_hi:[1,1,0]
	s_delay_alu instid0(VALU_DEP_1) | instskip(SKIP_4) | instid1(VALU_DEP_1)
	v_mov_b32_e32 v117, v113
	ds_load_2addr_b64 v[112:115], v106 offset0:26 offset1:27
	v_pk_add_f32 v[62:63], v[62:63], v[116:117] neg_lo:[0,1] neg_hi:[0,1]
	s_wait_dscnt 0x0
	v_pk_mul_f32 v[116:117], v[112:113], v[104:105] op_sel:[0,1]
	v_pk_fma_f32 v[118:119], v[112:113], v[102:103], v[116:117] op_sel:[0,0,1] op_sel_hi:[1,1,0] neg_lo:[0,0,1] neg_hi:[0,0,1]
	v_pk_fma_f32 v[112:113], v[112:113], v[102:103], v[116:117] op_sel:[0,0,1] op_sel_hi:[1,0,0]
	s_delay_alu instid0(VALU_DEP_1) | instskip(SKIP_1) | instid1(VALU_DEP_1)
	v_mov_b32_e32 v119, v113
	v_pk_mul_f32 v[112:113], v[114:115], v[104:105] op_sel:[0,1]
	v_pk_fma_f32 v[116:117], v[114:115], v[102:103], v[112:113] op_sel:[0,0,1] op_sel_hi:[1,1,0] neg_lo:[0,0,1] neg_hi:[0,0,1]
	v_pk_fma_f32 v[112:113], v[114:115], v[102:103], v[112:113] op_sel:[0,0,1] op_sel_hi:[1,0,0]
	s_delay_alu instid0(VALU_DEP_1)
	v_mov_b32_e32 v117, v113
	ds_load_2addr_b64 v[112:115], v106 offset0:28 offset1:29
	v_pk_add_f32 v[64:65], v[64:65], v[118:119] neg_lo:[0,1] neg_hi:[0,1]
	v_pk_add_f32 v[20:21], v[20:21], v[116:117] neg_lo:[0,1] neg_hi:[0,1]
	s_wait_dscnt 0x0
	v_pk_mul_f32 v[116:117], v[112:113], v[104:105] op_sel:[0,1]
	s_delay_alu instid0(VALU_DEP_1) | instskip(SKIP_1) | instid1(VALU_DEP_1)
	v_pk_fma_f32 v[118:119], v[112:113], v[102:103], v[116:117] op_sel:[0,0,1] op_sel_hi:[1,1,0] neg_lo:[0,0,1] neg_hi:[0,0,1]
	v_pk_fma_f32 v[112:113], v[112:113], v[102:103], v[116:117] op_sel:[0,0,1] op_sel_hi:[1,0,0]
	v_mov_b32_e32 v119, v113
	v_pk_mul_f32 v[112:113], v[114:115], v[104:105] op_sel:[0,1]
	s_delay_alu instid0(VALU_DEP_1) | instskip(SKIP_1) | instid1(VALU_DEP_1)
	v_pk_fma_f32 v[116:117], v[114:115], v[102:103], v[112:113] op_sel:[0,0,1] op_sel_hi:[1,1,0] neg_lo:[0,0,1] neg_hi:[0,0,1]
	v_pk_fma_f32 v[112:113], v[114:115], v[102:103], v[112:113] op_sel:[0,0,1] op_sel_hi:[1,0,0]
	v_mov_b32_e32 v117, v113
	ds_load_2addr_b64 v[112:115], v106 offset0:30 offset1:31
	v_pk_add_f32 v[54:55], v[54:55], v[118:119] neg_lo:[0,1] neg_hi:[0,1]
	v_pk_add_f32 v[50:51], v[50:51], v[116:117] neg_lo:[0,1] neg_hi:[0,1]
	s_wait_dscnt 0x0
	v_dual_mul_f32 v116, v113, v105 :: v_dual_mul_f32 v118, v113, v102
	s_delay_alu instid0(VALU_DEP_1) | instskip(NEXT) | instid1(VALU_DEP_2)
	v_pk_fma_f32 v[116:117], v[112:113], v[96:97], v[116:117] op_sel_hi:[1,1,0] neg_lo:[0,0,1] neg_hi:[0,0,1]
	v_pk_fma_f32 v[112:113], v[112:113], v[96:97], v[118:119] op_sel:[1,0,0] op_sel_hi:[0,1,0]
	s_delay_alu instid0(VALU_DEP_1) | instskip(SKIP_1) | instid1(VALU_DEP_2)
	v_mov_b32_e32 v117, v113
	v_pk_mul_f32 v[112:113], v[114:115], v[104:105] op_sel:[0,1]
	v_pk_add_f32 v[52:53], v[52:53], v[116:117] neg_lo:[0,1] neg_hi:[0,1]
	s_delay_alu instid0(VALU_DEP_2) | instskip(SKIP_1) | instid1(VALU_DEP_1)
	v_pk_fma_f32 v[116:117], v[114:115], v[102:103], v[112:113] op_sel:[0,0,1] op_sel_hi:[1,1,0] neg_lo:[0,0,1] neg_hi:[0,0,1]
	v_pk_fma_f32 v[112:113], v[114:115], v[102:103], v[112:113] op_sel:[0,0,1] op_sel_hi:[1,0,0]
	v_mov_b32_e32 v117, v113
	ds_load_2addr_b64 v[112:115], v106 offset0:32 offset1:33
	v_pk_add_f32 v[12:13], v[12:13], v[116:117] neg_lo:[0,1] neg_hi:[0,1]
	s_wait_dscnt 0x0
	v_pk_mul_f32 v[116:117], v[112:113], v[104:105] op_sel:[0,1]
	s_delay_alu instid0(VALU_DEP_1) | instskip(SKIP_1) | instid1(VALU_DEP_1)
	v_pk_fma_f32 v[118:119], v[112:113], v[102:103], v[116:117] op_sel:[0,0,1] op_sel_hi:[1,1,0] neg_lo:[0,0,1] neg_hi:[0,0,1]
	v_pk_fma_f32 v[112:113], v[112:113], v[102:103], v[116:117] op_sel:[0,0,1] op_sel_hi:[1,0,0]
	v_mov_b32_e32 v119, v113
	v_pk_mul_f32 v[112:113], v[114:115], v[104:105] op_sel:[0,1]
	s_delay_alu instid0(VALU_DEP_2) | instskip(NEXT) | instid1(VALU_DEP_2)
	v_pk_add_f32 v[48:49], v[48:49], v[118:119] neg_lo:[0,1] neg_hi:[0,1]
	v_pk_fma_f32 v[116:117], v[114:115], v[102:103], v[112:113] op_sel:[0,0,1] op_sel_hi:[1,1,0] neg_lo:[0,0,1] neg_hi:[0,0,1]
	v_pk_fma_f32 v[112:113], v[114:115], v[102:103], v[112:113] op_sel:[0,0,1] op_sel_hi:[1,0,0]
	s_delay_alu instid0(VALU_DEP_1) | instskip(SKIP_4) | instid1(VALU_DEP_1)
	v_mov_b32_e32 v117, v113
	ds_load_2addr_b64 v[112:115], v106 offset0:34 offset1:35
	v_pk_add_f32 v[44:45], v[44:45], v[116:117] neg_lo:[0,1] neg_hi:[0,1]
	s_wait_dscnt 0x0
	v_pk_mul_f32 v[116:117], v[112:113], v[104:105] op_sel:[0,1]
	v_pk_fma_f32 v[118:119], v[112:113], v[102:103], v[116:117] op_sel:[0,0,1] op_sel_hi:[1,1,0] neg_lo:[0,0,1] neg_hi:[0,0,1]
	v_pk_fma_f32 v[112:113], v[112:113], v[102:103], v[116:117] op_sel:[0,0,1] op_sel_hi:[1,0,0]
	v_dual_mul_f32 v116, v115, v105 :: v_dual_mov_b32 v112, v115
	s_delay_alu instid0(VALU_DEP_2) | instskip(NEXT) | instid1(VALU_DEP_2)
	v_dual_mov_b32 v119, v113 :: v_dual_mov_b32 v113, v114
	v_pk_fma_f32 v[116:117], v[114:115], v[96:97], v[116:117] op_sel_hi:[1,1,0] neg_lo:[0,0,1] neg_hi:[0,0,1]
	v_mul_f32_e32 v114, v115, v102
	s_delay_alu instid0(VALU_DEP_3) | instskip(NEXT) | instid1(VALU_DEP_2)
	v_pk_add_f32 v[46:47], v[46:47], v[118:119] neg_lo:[0,1] neg_hi:[0,1]
	v_pk_fma_f32 v[112:113], v[112:113], v[96:97], v[114:115] op_sel_hi:[1,1,0]
	s_delay_alu instid0(VALU_DEP_1) | instskip(SKIP_4) | instid1(VALU_DEP_1)
	v_mov_b32_e32 v117, v113
	ds_load_2addr_b64 v[112:115], v106 offset0:36 offset1:37
	v_pk_add_f32 v[10:11], v[10:11], v[116:117] neg_lo:[0,1] neg_hi:[0,1]
	s_wait_dscnt 0x0
	v_pk_mul_f32 v[116:117], v[112:113], v[104:105] op_sel:[0,1]
	v_pk_fma_f32 v[118:119], v[112:113], v[102:103], v[116:117] op_sel:[0,0,1] op_sel_hi:[1,1,0] neg_lo:[0,0,1] neg_hi:[0,0,1]
	v_pk_fma_f32 v[112:113], v[112:113], v[102:103], v[116:117] op_sel:[0,0,1] op_sel_hi:[1,0,0]
	s_delay_alu instid0(VALU_DEP_1) | instskip(SKIP_1) | instid1(VALU_DEP_1)
	v_mov_b32_e32 v119, v113
	v_pk_mul_f32 v[112:113], v[114:115], v[104:105] op_sel:[0,1]
	v_pk_fma_f32 v[116:117], v[114:115], v[102:103], v[112:113] op_sel:[0,0,1] op_sel_hi:[1,1,0] neg_lo:[0,0,1] neg_hi:[0,0,1]
	v_pk_fma_f32 v[112:113], v[114:115], v[102:103], v[112:113] op_sel:[0,0,1] op_sel_hi:[1,0,0]
	s_delay_alu instid0(VALU_DEP_1)
	v_mov_b32_e32 v117, v113
	ds_load_2addr_b64 v[112:115], v106 offset0:38 offset1:39
	v_pk_add_f32 v[42:43], v[42:43], v[118:119] neg_lo:[0,1] neg_hi:[0,1]
	v_pk_add_f32 v[38:39], v[38:39], v[116:117] neg_lo:[0,1] neg_hi:[0,1]
	s_wait_dscnt 0x0
	v_pk_mul_f32 v[116:117], v[112:113], v[104:105] op_sel:[0,1]
	s_delay_alu instid0(VALU_DEP_1) | instskip(SKIP_1) | instid1(VALU_DEP_1)
	v_pk_fma_f32 v[118:119], v[112:113], v[102:103], v[116:117] op_sel:[0,0,1] op_sel_hi:[1,1,0] neg_lo:[0,0,1] neg_hi:[0,0,1]
	v_pk_fma_f32 v[112:113], v[112:113], v[102:103], v[116:117] op_sel:[0,0,1] op_sel_hi:[1,0,0]
	v_mov_b32_e32 v119, v113
	v_pk_mul_f32 v[112:113], v[114:115], v[104:105] op_sel:[0,1]
	s_delay_alu instid0(VALU_DEP_1) | instskip(SKIP_1) | instid1(VALU_DEP_1)
	v_pk_fma_f32 v[116:117], v[114:115], v[102:103], v[112:113] op_sel:[0,0,1] op_sel_hi:[1,1,0] neg_lo:[0,0,1] neg_hi:[0,0,1]
	v_pk_fma_f32 v[112:113], v[114:115], v[102:103], v[112:113] op_sel:[0,0,1] op_sel_hi:[1,0,0]
	v_mov_b32_e32 v117, v113
	ds_load_2addr_b64 v[112:115], v106 offset0:40 offset1:41
	v_pk_add_f32 v[40:41], v[40:41], v[118:119] neg_lo:[0,1] neg_hi:[0,1]
	v_pk_add_f32 v[6:7], v[6:7], v[116:117] neg_lo:[0,1] neg_hi:[0,1]
	s_wait_dscnt 0x0
	v_dual_mul_f32 v116, v113, v105 :: v_dual_mul_f32 v118, v113, v102
	s_delay_alu instid0(VALU_DEP_1) | instskip(NEXT) | instid1(VALU_DEP_2)
	v_pk_fma_f32 v[116:117], v[112:113], v[96:97], v[116:117] op_sel_hi:[1,1,0] neg_lo:[0,0,1] neg_hi:[0,0,1]
	v_pk_fma_f32 v[112:113], v[112:113], v[96:97], v[118:119] op_sel:[1,0,0] op_sel_hi:[0,1,0]
	s_delay_alu instid0(VALU_DEP_1) | instskip(SKIP_1) | instid1(VALU_DEP_2)
	v_mov_b32_e32 v117, v113
	v_pk_mul_f32 v[112:113], v[114:115], v[104:105] op_sel:[0,1]
	v_pk_add_f32 v[36:37], v[36:37], v[116:117] neg_lo:[0,1] neg_hi:[0,1]
	s_delay_alu instid0(VALU_DEP_2) | instskip(SKIP_1) | instid1(VALU_DEP_1)
	v_pk_fma_f32 v[116:117], v[114:115], v[102:103], v[112:113] op_sel:[0,0,1] op_sel_hi:[1,1,0] neg_lo:[0,0,1] neg_hi:[0,0,1]
	v_pk_fma_f32 v[112:113], v[114:115], v[102:103], v[112:113] op_sel:[0,0,1] op_sel_hi:[1,0,0]
	v_mov_b32_e32 v117, v113
	ds_load_2addr_b64 v[112:115], v106 offset0:42 offset1:43
	v_pk_add_f32 v[30:31], v[30:31], v[116:117] neg_lo:[0,1] neg_hi:[0,1]
	s_wait_dscnt 0x0
	v_pk_mul_f32 v[116:117], v[112:113], v[104:105] op_sel:[0,1]
	s_delay_alu instid0(VALU_DEP_1) | instskip(SKIP_1) | instid1(VALU_DEP_1)
	v_pk_fma_f32 v[118:119], v[112:113], v[102:103], v[116:117] op_sel:[0,0,1] op_sel_hi:[1,1,0] neg_lo:[0,0,1] neg_hi:[0,0,1]
	v_pk_fma_f32 v[112:113], v[112:113], v[102:103], v[116:117] op_sel:[0,0,1] op_sel_hi:[1,0,0]
	v_mov_b32_e32 v119, v113
	v_pk_mul_f32 v[112:113], v[114:115], v[104:105] op_sel:[0,1]
	s_delay_alu instid0(VALU_DEP_2) | instskip(NEXT) | instid1(VALU_DEP_2)
	v_pk_add_f32 v[34:35], v[34:35], v[118:119] neg_lo:[0,1] neg_hi:[0,1]
	v_pk_fma_f32 v[116:117], v[114:115], v[102:103], v[112:113] op_sel:[0,0,1] op_sel_hi:[1,1,0] neg_lo:[0,0,1] neg_hi:[0,0,1]
	v_pk_fma_f32 v[112:113], v[114:115], v[102:103], v[112:113] op_sel:[0,0,1] op_sel_hi:[1,0,0]
	s_delay_alu instid0(VALU_DEP_1) | instskip(SKIP_4) | instid1(VALU_DEP_1)
	v_mov_b32_e32 v117, v113
	ds_load_2addr_b64 v[112:115], v106 offset0:44 offset1:45
	v_pk_add_f32 v[8:9], v[8:9], v[116:117] neg_lo:[0,1] neg_hi:[0,1]
	s_wait_dscnt 0x0
	v_pk_mul_f32 v[116:117], v[112:113], v[104:105] op_sel:[0,1]
	v_pk_fma_f32 v[118:119], v[112:113], v[102:103], v[116:117] op_sel:[0,0,1] op_sel_hi:[1,1,0] neg_lo:[0,0,1] neg_hi:[0,0,1]
	v_pk_fma_f32 v[112:113], v[112:113], v[102:103], v[116:117] op_sel:[0,0,1] op_sel_hi:[1,0,0]
	v_dual_mul_f32 v116, v115, v105 :: v_dual_mov_b32 v112, v115
	s_delay_alu instid0(VALU_DEP_2) | instskip(NEXT) | instid1(VALU_DEP_2)
	v_dual_mov_b32 v119, v113 :: v_dual_mov_b32 v113, v114
	v_pk_fma_f32 v[116:117], v[114:115], v[96:97], v[116:117] op_sel_hi:[1,1,0] neg_lo:[0,0,1] neg_hi:[0,0,1]
	v_mul_f32_e32 v114, v115, v102
	s_delay_alu instid0(VALU_DEP_3) | instskip(NEXT) | instid1(VALU_DEP_2)
	v_pk_add_f32 v[28:29], v[28:29], v[118:119] neg_lo:[0,1] neg_hi:[0,1]
	v_pk_fma_f32 v[112:113], v[112:113], v[96:97], v[114:115] op_sel_hi:[1,1,0]
	s_delay_alu instid0(VALU_DEP_1)
	v_mov_b32_e32 v117, v113
	ds_load_2addr_b64 v[112:115], v106 offset0:46 offset1:47
	v_pk_add_f32 v[18:19], v[18:19], v[116:117] neg_lo:[0,1] neg_hi:[0,1]
	s_wait_dscnt 0x0
	v_pk_mul_f32 v[116:117], v[112:113], v[104:105] op_sel:[0,1]
	v_pk_mul_f32 v[104:105], v[114:115], v[104:105] op_sel:[0,1]
	s_delay_alu instid0(VALU_DEP_2) | instskip(SKIP_1) | instid1(VALU_DEP_1)
	v_pk_fma_f32 v[118:119], v[112:113], v[102:103], v[116:117] op_sel:[0,0,1] op_sel_hi:[1,1,0] neg_lo:[0,0,1] neg_hi:[0,0,1]
	v_pk_fma_f32 v[112:113], v[112:113], v[102:103], v[116:117] op_sel:[0,0,1] op_sel_hi:[1,0,0]
	v_mov_b32_e32 v119, v113
	s_delay_alu instid0(VALU_DEP_4) | instskip(SKIP_1) | instid1(VALU_DEP_1)
	v_pk_fma_f32 v[112:113], v[114:115], v[102:103], v[104:105] op_sel:[0,0,1] op_sel_hi:[1,1,0] neg_lo:[0,0,1] neg_hi:[0,0,1]
	v_pk_fma_f32 v[102:103], v[114:115], v[102:103], v[104:105] op_sel:[0,0,1] op_sel_hi:[1,0,0]
	v_mov_b32_e32 v113, v103
	s_delay_alu instid0(VALU_DEP_4) | instskip(NEXT) | instid1(VALU_DEP_2)
	v_pk_add_f32 v[14:15], v[14:15], v[118:119] neg_lo:[0,1] neg_hi:[0,1]
	v_pk_add_f32 v[100:101], v[100:101], v[112:113] neg_lo:[0,1] neg_hi:[0,1]
.LBB94_41:
	s_or_b32 exec_lo, exec_lo, s0
	v_lshl_add_u32 v102, v110, 3, v106
	s_barrier_signal -1
	s_barrier_wait -1
	ds_store_b64 v102, v[94:95]
	s_wait_dscnt 0x0
	s_barrier_signal -1
	s_barrier_wait -1
	ds_load_b64 v[104:105], v106 offset:16
	v_mov_b32_e32 v102, 2
	s_cmp_lt_i32 s18, 4
	s_mov_b32 s0, 3
	s_cbranch_scc1 .LBB94_44
; %bb.42:
	v_add3_u32 v103, v107, 0, 24
	v_mov_b32_e32 v102, 2
.LBB94_43:                              ; =>This Inner Loop Header: Depth=1
	ds_load_b64 v[112:113], v103
	s_wait_dscnt 0x1
	v_cmp_gt_f32_e32 vcc_lo, 0, v104
	v_cndmask_b32_e64 v114, v104, -v104, vcc_lo
	v_cmp_gt_f32_e32 vcc_lo, 0, v105
	v_cndmask_b32_e64 v116, v105, -v105, vcc_lo
	s_wait_dscnt 0x0
	v_cmp_gt_f32_e32 vcc_lo, 0, v112
	v_cndmask_b32_e64 v115, v112, -v112, vcc_lo
	v_cmp_gt_f32_e32 vcc_lo, 0, v113
	v_cndmask_b32_e64 v117, v113, -v113, vcc_lo
	s_delay_alu instid0(VALU_DEP_1) | instskip(NEXT) | instid1(VALU_DEP_1)
	v_pk_add_f32 v[114:115], v[114:115], v[116:117]
	v_cmp_lt_f32_e32 vcc_lo, v114, v115
	v_dual_add_nc_u32 v103, 8, v103 :: v_dual_cndmask_b32 v105, v105, v113, vcc_lo
	v_cndmask_b32_e32 v104, v104, v112, vcc_lo
	v_cndmask_b32_e64 v102, v102, s0, vcc_lo
	s_add_co_i32 s0, s0, 1
	s_delay_alu instid0(SALU_CYCLE_1)
	s_cmp_lg_u32 s18, s0
	s_cbranch_scc1 .LBB94_43
.LBB94_44:
	s_wait_dscnt 0x0
	v_cmp_eq_f32_e32 vcc_lo, 0, v104
	v_cmp_eq_f32_e64 s0, 0, v105
	s_and_b32 s0, vcc_lo, s0
	s_delay_alu instid0(SALU_CYCLE_1) | instskip(NEXT) | instid1(SALU_CYCLE_1)
	s_and_saveexec_b32 s1, s0
	s_xor_b32 s0, exec_lo, s1
; %bb.45:
	v_cmp_ne_u32_e32 vcc_lo, 0, v108
	v_cndmask_b32_e32 v108, 3, v108, vcc_lo
; %bb.46:
	s_and_not1_saveexec_b32 s0, s0
	s_cbranch_execz .LBB94_52
; %bb.47:
	v_cmp_ngt_f32_e64 s1, |v104|, |v105|
	s_and_saveexec_b32 s12, s1
	s_delay_alu instid0(SALU_CYCLE_1)
	s_xor_b32 s1, exec_lo, s12
	s_cbranch_execz .LBB94_49
; %bb.48:
	v_div_scale_f32 v103, null, v105, v105, v104
	v_div_scale_f32 v113, vcc_lo, v104, v105, v104
	s_delay_alu instid0(VALU_DEP_2) | instskip(SKIP_1) | instid1(TRANS32_DEP_1)
	v_rcp_f32_e32 v111, v103
	v_nop
	v_fma_f32 v112, -v103, v111, 1.0
	s_delay_alu instid0(VALU_DEP_1) | instskip(NEXT) | instid1(VALU_DEP_1)
	v_fmac_f32_e32 v111, v112, v111
	v_mul_f32_e32 v112, v113, v111
	s_delay_alu instid0(VALU_DEP_1) | instskip(NEXT) | instid1(VALU_DEP_1)
	v_fma_f32 v114, -v103, v112, v113
	v_fmac_f32_e32 v112, v114, v111
	s_delay_alu instid0(VALU_DEP_1) | instskip(NEXT) | instid1(VALU_DEP_1)
	v_fma_f32 v103, -v103, v112, v113
	v_div_fmas_f32 v103, v103, v111, v112
	s_delay_alu instid0(VALU_DEP_1) | instskip(NEXT) | instid1(VALU_DEP_1)
	v_div_fixup_f32 v103, v103, v105, v104
	v_fmac_f32_e32 v105, v104, v103
	s_delay_alu instid0(VALU_DEP_1) | instskip(SKIP_1) | instid1(VALU_DEP_2)
	v_div_scale_f32 v104, null, v105, v105, 1.0
	v_div_scale_f32 v113, vcc_lo, 1.0, v105, 1.0
	v_rcp_f32_e32 v111, v104
	v_nop
	s_delay_alu instid0(TRANS32_DEP_1) | instskip(NEXT) | instid1(VALU_DEP_1)
	v_fma_f32 v112, -v104, v111, 1.0
	v_fmac_f32_e32 v111, v112, v111
	s_delay_alu instid0(VALU_DEP_1) | instskip(NEXT) | instid1(VALU_DEP_1)
	v_mul_f32_e32 v112, v113, v111
	v_fma_f32 v114, -v104, v112, v113
	s_delay_alu instid0(VALU_DEP_1) | instskip(NEXT) | instid1(VALU_DEP_1)
	v_fmac_f32_e32 v112, v114, v111
	v_fma_f32 v104, -v104, v112, v113
	s_delay_alu instid0(VALU_DEP_1) | instskip(NEXT) | instid1(VALU_DEP_1)
	v_div_fmas_f32 v104, v104, v111, v112
	v_div_fixup_f32 v105, v104, v105, 1.0
	s_delay_alu instid0(VALU_DEP_1)
	v_mul_f32_e32 v104, v103, v105
	v_xor_b32_e32 v105, 0x80000000, v105
.LBB94_49:
	s_and_not1_saveexec_b32 s1, s1
	s_cbranch_execz .LBB94_51
; %bb.50:
	s_delay_alu instid0(VALU_DEP_1) | instskip(SKIP_1) | instid1(VALU_DEP_2)
	v_div_scale_f32 v103, null, v104, v104, v105
	v_div_scale_f32 v113, vcc_lo, v105, v104, v105
	v_rcp_f32_e32 v111, v103
	v_nop
	s_delay_alu instid0(TRANS32_DEP_1) | instskip(NEXT) | instid1(VALU_DEP_1)
	v_fma_f32 v112, -v103, v111, 1.0
	v_fmac_f32_e32 v111, v112, v111
	s_delay_alu instid0(VALU_DEP_1) | instskip(NEXT) | instid1(VALU_DEP_1)
	v_mul_f32_e32 v112, v113, v111
	v_fma_f32 v114, -v103, v112, v113
	s_delay_alu instid0(VALU_DEP_1) | instskip(NEXT) | instid1(VALU_DEP_1)
	v_fmac_f32_e32 v112, v114, v111
	v_fma_f32 v103, -v103, v112, v113
	s_delay_alu instid0(VALU_DEP_1) | instskip(NEXT) | instid1(VALU_DEP_1)
	v_div_fmas_f32 v103, v103, v111, v112
	v_div_fixup_f32 v103, v103, v104, v105
	s_delay_alu instid0(VALU_DEP_1) | instskip(NEXT) | instid1(VALU_DEP_1)
	v_fmac_f32_e32 v104, v105, v103
	v_div_scale_f32 v105, null, v104, v104, 1.0
	s_delay_alu instid0(VALU_DEP_1) | instskip(SKIP_1) | instid1(TRANS32_DEP_1)
	v_rcp_f32_e32 v111, v105
	v_nop
	v_fma_f32 v112, -v105, v111, 1.0
	s_delay_alu instid0(VALU_DEP_1) | instskip(SKIP_1) | instid1(VALU_DEP_1)
	v_fmac_f32_e32 v111, v112, v111
	v_div_scale_f32 v112, vcc_lo, 1.0, v104, 1.0
	v_mul_f32_e32 v113, v112, v111
	s_delay_alu instid0(VALU_DEP_1) | instskip(NEXT) | instid1(VALU_DEP_1)
	v_fma_f32 v114, -v105, v113, v112
	v_fmac_f32_e32 v113, v114, v111
	s_delay_alu instid0(VALU_DEP_1) | instskip(NEXT) | instid1(VALU_DEP_1)
	v_fma_f32 v105, -v105, v113, v112
	v_div_fmas_f32 v105, v105, v111, v113
	s_delay_alu instid0(VALU_DEP_1) | instskip(NEXT) | instid1(VALU_DEP_1)
	v_div_fixup_f32 v104, v105, v104, 1.0
	v_mul_f32_e64 v105, v103, -v104
.LBB94_51:
	s_or_b32 exec_lo, exec_lo, s1
.LBB94_52:
	s_delay_alu instid0(SALU_CYCLE_1) | instskip(NEXT) | instid1(SALU_CYCLE_1)
	s_or_b32 exec_lo, exec_lo, s0
	s_mov_b32 s0, exec_lo
	v_cmpx_ne_u32_e64 v110, v102
	s_xor_b32 s0, exec_lo, s0
	s_cbranch_execz .LBB94_58
; %bb.53:
	s_mov_b32 s1, exec_lo
	v_cmpx_eq_u32_e32 2, v110
	s_cbranch_execz .LBB94_57
; %bb.54:
	v_cmp_ne_u32_e32 vcc_lo, 2, v102
	s_xor_b32 s12, s16, -1
	s_delay_alu instid0(SALU_CYCLE_1) | instskip(NEXT) | instid1(SALU_CYCLE_1)
	s_and_b32 s13, s12, vcc_lo
	s_and_saveexec_b32 s12, s13
	s_cbranch_execz .LBB94_56
; %bb.55:
	v_ashrrev_i32_e32 v103, 31, v102
	s_delay_alu instid0(VALU_DEP_1)
	v_lshl_add_u64 v[110:111], v[102:103], 2, v[4:5]
	s_clause 0x1
	global_load_b32 v103, v[110:111], off
	global_load_b32 v109, v[4:5], off offset:8
	s_wait_loadcnt 0x1
	global_store_b32 v[4:5], v103, off offset:8
	s_wait_loadcnt 0x0
	global_store_b32 v[110:111], v109, off
.LBB94_56:
	s_wait_xcnt 0x0
	s_or_b32 exec_lo, exec_lo, s12
	v_dual_mov_b32 v110, v102 :: v_dual_mov_b32 v109, v102
.LBB94_57:
	s_or_b32 exec_lo, exec_lo, s1
.LBB94_58:
	s_and_not1_saveexec_b32 s0, s0
	s_cbranch_execz .LBB94_60
; %bb.59:
	v_mov_b32_e32 v110, 2
	ds_store_2addr_b64 v106, v[92:93], v[60:61] offset0:3 offset1:4
	ds_store_2addr_b64 v106, v[56:57], v[58:59] offset0:5 offset1:6
	;; [unrolled: 1-line block ×22, first 2 shown]
	ds_store_b64 v106, v[100:101] offset:376
.LBB94_60:
	s_or_b32 exec_lo, exec_lo, s0
	s_delay_alu instid0(SALU_CYCLE_1)
	s_mov_b32 s0, exec_lo
	s_wait_storecnt_dscnt 0x0
	s_barrier_signal -1
	s_barrier_wait -1
	v_cmpx_lt_i32_e32 2, v110
	s_cbranch_execz .LBB94_62
; %bb.61:
	v_pk_mul_f32 v[112:113], v[104:105], v[94:95] op_sel:[1,1] op_sel_hi:[0,1]
	s_delay_alu instid0(VALU_DEP_1)
	v_pk_fma_f32 v[102:103], v[104:105], v[94:95], v[112:113] op_sel_hi:[1,0,1] neg_lo:[0,0,1] neg_hi:[0,0,1]
	v_pk_fma_f32 v[104:105], v[104:105], v[94:95], v[112:113] op_sel_hi:[1,0,1]
	ds_load_2addr_b64 v[112:115], v106 offset0:3 offset1:4
	v_dual_mov_b32 v94, v102 :: v_dual_mov_b32 v95, v105
	s_wait_dscnt 0x0
	v_pk_mul_f32 v[116:117], v[112:113], v[104:105] op_sel:[0,1]
	s_delay_alu instid0(VALU_DEP_1) | instskip(SKIP_1) | instid1(VALU_DEP_1)
	v_pk_fma_f32 v[118:119], v[112:113], v[102:103], v[116:117] op_sel:[0,0,1] op_sel_hi:[1,1,0] neg_lo:[0,0,1] neg_hi:[0,0,1]
	v_pk_fma_f32 v[112:113], v[112:113], v[102:103], v[116:117] op_sel:[0,0,1] op_sel_hi:[1,0,0]
	v_mov_b32_e32 v119, v113
	v_pk_mul_f32 v[112:113], v[114:115], v[104:105] op_sel:[0,1]
	s_delay_alu instid0(VALU_DEP_1) | instskip(SKIP_1) | instid1(VALU_DEP_1)
	v_pk_fma_f32 v[116:117], v[114:115], v[102:103], v[112:113] op_sel:[0,0,1] op_sel_hi:[1,1,0] neg_lo:[0,0,1] neg_hi:[0,0,1]
	v_pk_fma_f32 v[112:113], v[114:115], v[102:103], v[112:113] op_sel:[0,0,1] op_sel_hi:[1,0,0]
	v_mov_b32_e32 v117, v113
	ds_load_2addr_b64 v[112:115], v106 offset0:5 offset1:6
	v_pk_add_f32 v[92:93], v[92:93], v[118:119] neg_lo:[0,1] neg_hi:[0,1]
	v_pk_add_f32 v[60:61], v[60:61], v[116:117] neg_lo:[0,1] neg_hi:[0,1]
	s_wait_dscnt 0x0
	v_pk_mul_f32 v[116:117], v[112:113], v[104:105] op_sel:[0,1]
	s_delay_alu instid0(VALU_DEP_1) | instskip(SKIP_2) | instid1(VALU_DEP_2)
	v_pk_fma_f32 v[118:119], v[112:113], v[102:103], v[116:117] op_sel:[0,0,1] op_sel_hi:[1,1,0] neg_lo:[0,0,1] neg_hi:[0,0,1]
	v_pk_fma_f32 v[112:113], v[112:113], v[102:103], v[116:117] op_sel:[0,0,1] op_sel_hi:[1,0,0]
	v_dual_mul_f32 v116, v115, v105 :: v_dual_mov_b32 v112, v115
	v_dual_mov_b32 v119, v113 :: v_dual_mov_b32 v113, v114
	s_delay_alu instid0(VALU_DEP_2) | instskip(SKIP_1) | instid1(VALU_DEP_3)
	v_pk_fma_f32 v[116:117], v[114:115], v[94:95], v[116:117] op_sel_hi:[1,1,0] neg_lo:[0,0,1] neg_hi:[0,0,1]
	v_mul_f32_e32 v114, v115, v102
	v_pk_add_f32 v[56:57], v[56:57], v[118:119] neg_lo:[0,1] neg_hi:[0,1]
	s_delay_alu instid0(VALU_DEP_2) | instskip(NEXT) | instid1(VALU_DEP_1)
	v_pk_fma_f32 v[112:113], v[112:113], v[94:95], v[114:115] op_sel_hi:[1,1,0]
	v_mov_b32_e32 v117, v113
	ds_load_2addr_b64 v[112:115], v106 offset0:7 offset1:8
	v_pk_add_f32 v[58:59], v[58:59], v[116:117] neg_lo:[0,1] neg_hi:[0,1]
	s_wait_dscnt 0x0
	v_pk_mul_f32 v[116:117], v[112:113], v[104:105] op_sel:[0,1]
	s_delay_alu instid0(VALU_DEP_1) | instskip(SKIP_1) | instid1(VALU_DEP_1)
	v_pk_fma_f32 v[118:119], v[112:113], v[102:103], v[116:117] op_sel:[0,0,1] op_sel_hi:[1,1,0] neg_lo:[0,0,1] neg_hi:[0,0,1]
	v_pk_fma_f32 v[112:113], v[112:113], v[102:103], v[116:117] op_sel:[0,0,1] op_sel_hi:[1,0,0]
	v_mov_b32_e32 v119, v113
	v_pk_mul_f32 v[112:113], v[114:115], v[104:105] op_sel:[0,1]
	s_delay_alu instid0(VALU_DEP_1) | instskip(SKIP_1) | instid1(VALU_DEP_1)
	v_pk_fma_f32 v[116:117], v[114:115], v[102:103], v[112:113] op_sel:[0,0,1] op_sel_hi:[1,1,0] neg_lo:[0,0,1] neg_hi:[0,0,1]
	v_pk_fma_f32 v[112:113], v[114:115], v[102:103], v[112:113] op_sel:[0,0,1] op_sel_hi:[1,0,0]
	v_mov_b32_e32 v117, v113
	ds_load_2addr_b64 v[112:115], v106 offset0:9 offset1:10
	v_pk_add_f32 v[16:17], v[16:17], v[118:119] neg_lo:[0,1] neg_hi:[0,1]
	v_pk_add_f32 v[90:91], v[90:91], v[116:117] neg_lo:[0,1] neg_hi:[0,1]
	s_wait_dscnt 0x0
	v_pk_mul_f32 v[116:117], v[112:113], v[104:105] op_sel:[0,1]
	s_delay_alu instid0(VALU_DEP_1) | instskip(SKIP_1) | instid1(VALU_DEP_1)
	v_pk_fma_f32 v[118:119], v[112:113], v[102:103], v[116:117] op_sel:[0,0,1] op_sel_hi:[1,1,0] neg_lo:[0,0,1] neg_hi:[0,0,1]
	v_pk_fma_f32 v[112:113], v[112:113], v[102:103], v[116:117] op_sel:[0,0,1] op_sel_hi:[1,0,0]
	v_mov_b32_e32 v119, v113
	v_pk_mul_f32 v[112:113], v[114:115], v[104:105] op_sel:[0,1]
	s_delay_alu instid0(VALU_DEP_1) | instskip(SKIP_1) | instid1(VALU_DEP_1)
	v_pk_fma_f32 v[116:117], v[114:115], v[102:103], v[112:113] op_sel:[0,0,1] op_sel_hi:[1,1,0] neg_lo:[0,0,1] neg_hi:[0,0,1]
	v_pk_fma_f32 v[112:113], v[114:115], v[102:103], v[112:113] op_sel:[0,0,1] op_sel_hi:[1,0,0]
	v_mov_b32_e32 v117, v113
	ds_load_2addr_b64 v[112:115], v106 offset0:11 offset1:12
	v_pk_add_f32 v[86:87], v[86:87], v[118:119] neg_lo:[0,1] neg_hi:[0,1]
	v_pk_add_f32 v[88:89], v[88:89], v[116:117] neg_lo:[0,1] neg_hi:[0,1]
	s_wait_dscnt 0x0
	v_dual_mul_f32 v116, v113, v105 :: v_dual_mul_f32 v118, v113, v102
	s_delay_alu instid0(VALU_DEP_1) | instskip(NEXT) | instid1(VALU_DEP_2)
	v_pk_fma_f32 v[116:117], v[112:113], v[94:95], v[116:117] op_sel_hi:[1,1,0] neg_lo:[0,0,1] neg_hi:[0,0,1]
	v_pk_fma_f32 v[112:113], v[112:113], v[94:95], v[118:119] op_sel:[1,0,0] op_sel_hi:[0,1,0]
	s_delay_alu instid0(VALU_DEP_1) | instskip(SKIP_1) | instid1(VALU_DEP_2)
	v_mov_b32_e32 v117, v113
	v_pk_mul_f32 v[112:113], v[114:115], v[104:105] op_sel:[0,1]
	v_pk_add_f32 v[32:33], v[32:33], v[116:117] neg_lo:[0,1] neg_hi:[0,1]
	s_delay_alu instid0(VALU_DEP_2) | instskip(SKIP_1) | instid1(VALU_DEP_1)
	v_pk_fma_f32 v[116:117], v[114:115], v[102:103], v[112:113] op_sel:[0,0,1] op_sel_hi:[1,1,0] neg_lo:[0,0,1] neg_hi:[0,0,1]
	v_pk_fma_f32 v[112:113], v[114:115], v[102:103], v[112:113] op_sel:[0,0,1] op_sel_hi:[1,0,0]
	v_mov_b32_e32 v117, v113
	ds_load_2addr_b64 v[112:115], v106 offset0:13 offset1:14
	v_pk_add_f32 v[84:85], v[84:85], v[116:117] neg_lo:[0,1] neg_hi:[0,1]
	s_wait_dscnt 0x0
	v_pk_mul_f32 v[116:117], v[112:113], v[104:105] op_sel:[0,1]
	s_delay_alu instid0(VALU_DEP_1) | instskip(SKIP_1) | instid1(VALU_DEP_1)
	v_pk_fma_f32 v[118:119], v[112:113], v[102:103], v[116:117] op_sel:[0,0,1] op_sel_hi:[1,1,0] neg_lo:[0,0,1] neg_hi:[0,0,1]
	v_pk_fma_f32 v[112:113], v[112:113], v[102:103], v[116:117] op_sel:[0,0,1] op_sel_hi:[1,0,0]
	v_mov_b32_e32 v119, v113
	v_pk_mul_f32 v[112:113], v[114:115], v[104:105] op_sel:[0,1]
	s_delay_alu instid0(VALU_DEP_2) | instskip(NEXT) | instid1(VALU_DEP_2)
	v_pk_add_f32 v[80:81], v[80:81], v[118:119] neg_lo:[0,1] neg_hi:[0,1]
	v_pk_fma_f32 v[116:117], v[114:115], v[102:103], v[112:113] op_sel:[0,0,1] op_sel_hi:[1,1,0] neg_lo:[0,0,1] neg_hi:[0,0,1]
	v_pk_fma_f32 v[112:113], v[114:115], v[102:103], v[112:113] op_sel:[0,0,1] op_sel_hi:[1,0,0]
	s_delay_alu instid0(VALU_DEP_1) | instskip(SKIP_4) | instid1(VALU_DEP_1)
	v_mov_b32_e32 v117, v113
	ds_load_2addr_b64 v[112:115], v106 offset0:15 offset1:16
	v_pk_add_f32 v[82:83], v[82:83], v[116:117] neg_lo:[0,1] neg_hi:[0,1]
	s_wait_dscnt 0x0
	v_pk_mul_f32 v[116:117], v[112:113], v[104:105] op_sel:[0,1]
	v_pk_fma_f32 v[118:119], v[112:113], v[102:103], v[116:117] op_sel:[0,0,1] op_sel_hi:[1,1,0] neg_lo:[0,0,1] neg_hi:[0,0,1]
	v_pk_fma_f32 v[112:113], v[112:113], v[102:103], v[116:117] op_sel:[0,0,1] op_sel_hi:[1,0,0]
	v_dual_mul_f32 v116, v115, v105 :: v_dual_mov_b32 v112, v115
	s_delay_alu instid0(VALU_DEP_2) | instskip(NEXT) | instid1(VALU_DEP_2)
	v_dual_mov_b32 v119, v113 :: v_dual_mov_b32 v113, v114
	v_pk_fma_f32 v[116:117], v[114:115], v[94:95], v[116:117] op_sel_hi:[1,1,0] neg_lo:[0,0,1] neg_hi:[0,0,1]
	v_mul_f32_e32 v114, v115, v102
	s_delay_alu instid0(VALU_DEP_3) | instskip(NEXT) | instid1(VALU_DEP_2)
	v_pk_add_f32 v[26:27], v[26:27], v[118:119] neg_lo:[0,1] neg_hi:[0,1]
	v_pk_fma_f32 v[112:113], v[112:113], v[94:95], v[114:115] op_sel_hi:[1,1,0]
	s_delay_alu instid0(VALU_DEP_1) | instskip(SKIP_4) | instid1(VALU_DEP_1)
	v_mov_b32_e32 v117, v113
	ds_load_2addr_b64 v[112:115], v106 offset0:17 offset1:18
	v_pk_add_f32 v[78:79], v[78:79], v[116:117] neg_lo:[0,1] neg_hi:[0,1]
	s_wait_dscnt 0x0
	v_pk_mul_f32 v[116:117], v[112:113], v[104:105] op_sel:[0,1]
	v_pk_fma_f32 v[118:119], v[112:113], v[102:103], v[116:117] op_sel:[0,0,1] op_sel_hi:[1,1,0] neg_lo:[0,0,1] neg_hi:[0,0,1]
	v_pk_fma_f32 v[112:113], v[112:113], v[102:103], v[116:117] op_sel:[0,0,1] op_sel_hi:[1,0,0]
	s_delay_alu instid0(VALU_DEP_1) | instskip(SKIP_1) | instid1(VALU_DEP_1)
	v_mov_b32_e32 v119, v113
	v_pk_mul_f32 v[112:113], v[114:115], v[104:105] op_sel:[0,1]
	v_pk_fma_f32 v[116:117], v[114:115], v[102:103], v[112:113] op_sel:[0,0,1] op_sel_hi:[1,1,0] neg_lo:[0,0,1] neg_hi:[0,0,1]
	v_pk_fma_f32 v[112:113], v[114:115], v[102:103], v[112:113] op_sel:[0,0,1] op_sel_hi:[1,0,0]
	s_delay_alu instid0(VALU_DEP_1)
	v_mov_b32_e32 v117, v113
	ds_load_2addr_b64 v[112:115], v106 offset0:19 offset1:20
	v_pk_add_f32 v[74:75], v[74:75], v[118:119] neg_lo:[0,1] neg_hi:[0,1]
	v_pk_add_f32 v[76:77], v[76:77], v[116:117] neg_lo:[0,1] neg_hi:[0,1]
	s_wait_dscnt 0x0
	v_pk_mul_f32 v[116:117], v[112:113], v[104:105] op_sel:[0,1]
	s_delay_alu instid0(VALU_DEP_1) | instskip(SKIP_1) | instid1(VALU_DEP_1)
	v_pk_fma_f32 v[118:119], v[112:113], v[102:103], v[116:117] op_sel:[0,0,1] op_sel_hi:[1,1,0] neg_lo:[0,0,1] neg_hi:[0,0,1]
	v_pk_fma_f32 v[112:113], v[112:113], v[102:103], v[116:117] op_sel:[0,0,1] op_sel_hi:[1,0,0]
	v_mov_b32_e32 v119, v113
	v_pk_mul_f32 v[112:113], v[114:115], v[104:105] op_sel:[0,1]
	s_delay_alu instid0(VALU_DEP_1) | instskip(SKIP_1) | instid1(VALU_DEP_1)
	v_pk_fma_f32 v[116:117], v[114:115], v[102:103], v[112:113] op_sel:[0,0,1] op_sel_hi:[1,1,0] neg_lo:[0,0,1] neg_hi:[0,0,1]
	v_pk_fma_f32 v[112:113], v[114:115], v[102:103], v[112:113] op_sel:[0,0,1] op_sel_hi:[1,0,0]
	v_mov_b32_e32 v117, v113
	ds_load_2addr_b64 v[112:115], v106 offset0:21 offset1:22
	v_pk_add_f32 v[24:25], v[24:25], v[118:119] neg_lo:[0,1] neg_hi:[0,1]
	v_pk_add_f32 v[72:73], v[72:73], v[116:117] neg_lo:[0,1] neg_hi:[0,1]
	s_wait_dscnt 0x0
	v_dual_mul_f32 v116, v113, v105 :: v_dual_mul_f32 v118, v113, v102
	s_delay_alu instid0(VALU_DEP_1) | instskip(NEXT) | instid1(VALU_DEP_2)
	v_pk_fma_f32 v[116:117], v[112:113], v[94:95], v[116:117] op_sel_hi:[1,1,0] neg_lo:[0,0,1] neg_hi:[0,0,1]
	v_pk_fma_f32 v[112:113], v[112:113], v[94:95], v[118:119] op_sel:[1,0,0] op_sel_hi:[0,1,0]
	s_delay_alu instid0(VALU_DEP_1) | instskip(SKIP_1) | instid1(VALU_DEP_2)
	v_mov_b32_e32 v117, v113
	v_pk_mul_f32 v[112:113], v[114:115], v[104:105] op_sel:[0,1]
	v_pk_add_f32 v[68:69], v[68:69], v[116:117] neg_lo:[0,1] neg_hi:[0,1]
	s_delay_alu instid0(VALU_DEP_2) | instskip(SKIP_1) | instid1(VALU_DEP_1)
	v_pk_fma_f32 v[116:117], v[114:115], v[102:103], v[112:113] op_sel:[0,0,1] op_sel_hi:[1,1,0] neg_lo:[0,0,1] neg_hi:[0,0,1]
	v_pk_fma_f32 v[112:113], v[114:115], v[102:103], v[112:113] op_sel:[0,0,1] op_sel_hi:[1,0,0]
	v_mov_b32_e32 v117, v113
	ds_load_2addr_b64 v[112:115], v106 offset0:23 offset1:24
	v_pk_add_f32 v[70:71], v[70:71], v[116:117] neg_lo:[0,1] neg_hi:[0,1]
	s_wait_dscnt 0x0
	v_pk_mul_f32 v[116:117], v[112:113], v[104:105] op_sel:[0,1]
	s_delay_alu instid0(VALU_DEP_1) | instskip(SKIP_1) | instid1(VALU_DEP_1)
	v_pk_fma_f32 v[118:119], v[112:113], v[102:103], v[116:117] op_sel:[0,0,1] op_sel_hi:[1,1,0] neg_lo:[0,0,1] neg_hi:[0,0,1]
	v_pk_fma_f32 v[112:113], v[112:113], v[102:103], v[116:117] op_sel:[0,0,1] op_sel_hi:[1,0,0]
	v_mov_b32_e32 v119, v113
	v_pk_mul_f32 v[112:113], v[114:115], v[104:105] op_sel:[0,1]
	s_delay_alu instid0(VALU_DEP_2) | instskip(NEXT) | instid1(VALU_DEP_2)
	v_pk_add_f32 v[22:23], v[22:23], v[118:119] neg_lo:[0,1] neg_hi:[0,1]
	v_pk_fma_f32 v[116:117], v[114:115], v[102:103], v[112:113] op_sel:[0,0,1] op_sel_hi:[1,1,0] neg_lo:[0,0,1] neg_hi:[0,0,1]
	v_pk_fma_f32 v[112:113], v[114:115], v[102:103], v[112:113] op_sel:[0,0,1] op_sel_hi:[1,0,0]
	s_delay_alu instid0(VALU_DEP_1) | instskip(SKIP_4) | instid1(VALU_DEP_1)
	v_mov_b32_e32 v117, v113
	ds_load_2addr_b64 v[112:115], v106 offset0:25 offset1:26
	v_pk_add_f32 v[66:67], v[66:67], v[116:117] neg_lo:[0,1] neg_hi:[0,1]
	s_wait_dscnt 0x0
	v_pk_mul_f32 v[116:117], v[112:113], v[104:105] op_sel:[0,1]
	v_pk_fma_f32 v[118:119], v[112:113], v[102:103], v[116:117] op_sel:[0,0,1] op_sel_hi:[1,1,0] neg_lo:[0,0,1] neg_hi:[0,0,1]
	v_pk_fma_f32 v[112:113], v[112:113], v[102:103], v[116:117] op_sel:[0,0,1] op_sel_hi:[1,0,0]
	v_dual_mul_f32 v116, v115, v105 :: v_dual_mov_b32 v112, v115
	s_delay_alu instid0(VALU_DEP_2) | instskip(NEXT) | instid1(VALU_DEP_2)
	v_dual_mov_b32 v119, v113 :: v_dual_mov_b32 v113, v114
	v_pk_fma_f32 v[116:117], v[114:115], v[94:95], v[116:117] op_sel_hi:[1,1,0] neg_lo:[0,0,1] neg_hi:[0,0,1]
	v_mul_f32_e32 v114, v115, v102
	s_delay_alu instid0(VALU_DEP_3) | instskip(NEXT) | instid1(VALU_DEP_2)
	v_pk_add_f32 v[62:63], v[62:63], v[118:119] neg_lo:[0,1] neg_hi:[0,1]
	v_pk_fma_f32 v[112:113], v[112:113], v[94:95], v[114:115] op_sel_hi:[1,1,0]
	s_delay_alu instid0(VALU_DEP_1) | instskip(SKIP_4) | instid1(VALU_DEP_1)
	v_mov_b32_e32 v117, v113
	ds_load_2addr_b64 v[112:115], v106 offset0:27 offset1:28
	v_pk_add_f32 v[64:65], v[64:65], v[116:117] neg_lo:[0,1] neg_hi:[0,1]
	s_wait_dscnt 0x0
	v_pk_mul_f32 v[116:117], v[112:113], v[104:105] op_sel:[0,1]
	v_pk_fma_f32 v[118:119], v[112:113], v[102:103], v[116:117] op_sel:[0,0,1] op_sel_hi:[1,1,0] neg_lo:[0,0,1] neg_hi:[0,0,1]
	v_pk_fma_f32 v[112:113], v[112:113], v[102:103], v[116:117] op_sel:[0,0,1] op_sel_hi:[1,0,0]
	s_delay_alu instid0(VALU_DEP_1) | instskip(SKIP_1) | instid1(VALU_DEP_1)
	v_mov_b32_e32 v119, v113
	v_pk_mul_f32 v[112:113], v[114:115], v[104:105] op_sel:[0,1]
	v_pk_fma_f32 v[116:117], v[114:115], v[102:103], v[112:113] op_sel:[0,0,1] op_sel_hi:[1,1,0] neg_lo:[0,0,1] neg_hi:[0,0,1]
	v_pk_fma_f32 v[112:113], v[114:115], v[102:103], v[112:113] op_sel:[0,0,1] op_sel_hi:[1,0,0]
	s_delay_alu instid0(VALU_DEP_1)
	v_mov_b32_e32 v117, v113
	ds_load_2addr_b64 v[112:115], v106 offset0:29 offset1:30
	v_pk_add_f32 v[20:21], v[20:21], v[118:119] neg_lo:[0,1] neg_hi:[0,1]
	v_pk_add_f32 v[54:55], v[54:55], v[116:117] neg_lo:[0,1] neg_hi:[0,1]
	s_wait_dscnt 0x0
	v_pk_mul_f32 v[116:117], v[112:113], v[104:105] op_sel:[0,1]
	s_delay_alu instid0(VALU_DEP_1) | instskip(SKIP_1) | instid1(VALU_DEP_1)
	v_pk_fma_f32 v[118:119], v[112:113], v[102:103], v[116:117] op_sel:[0,0,1] op_sel_hi:[1,1,0] neg_lo:[0,0,1] neg_hi:[0,0,1]
	v_pk_fma_f32 v[112:113], v[112:113], v[102:103], v[116:117] op_sel:[0,0,1] op_sel_hi:[1,0,0]
	v_mov_b32_e32 v119, v113
	v_pk_mul_f32 v[112:113], v[114:115], v[104:105] op_sel:[0,1]
	s_delay_alu instid0(VALU_DEP_1) | instskip(SKIP_1) | instid1(VALU_DEP_1)
	v_pk_fma_f32 v[116:117], v[114:115], v[102:103], v[112:113] op_sel:[0,0,1] op_sel_hi:[1,1,0] neg_lo:[0,0,1] neg_hi:[0,0,1]
	v_pk_fma_f32 v[112:113], v[114:115], v[102:103], v[112:113] op_sel:[0,0,1] op_sel_hi:[1,0,0]
	v_mov_b32_e32 v117, v113
	ds_load_2addr_b64 v[112:115], v106 offset0:31 offset1:32
	v_pk_add_f32 v[50:51], v[50:51], v[118:119] neg_lo:[0,1] neg_hi:[0,1]
	v_pk_add_f32 v[52:53], v[52:53], v[116:117] neg_lo:[0,1] neg_hi:[0,1]
	s_wait_dscnt 0x0
	v_dual_mul_f32 v116, v113, v105 :: v_dual_mul_f32 v118, v113, v102
	s_delay_alu instid0(VALU_DEP_1) | instskip(NEXT) | instid1(VALU_DEP_2)
	v_pk_fma_f32 v[116:117], v[112:113], v[94:95], v[116:117] op_sel_hi:[1,1,0] neg_lo:[0,0,1] neg_hi:[0,0,1]
	v_pk_fma_f32 v[112:113], v[112:113], v[94:95], v[118:119] op_sel:[1,0,0] op_sel_hi:[0,1,0]
	s_delay_alu instid0(VALU_DEP_1) | instskip(SKIP_1) | instid1(VALU_DEP_2)
	v_mov_b32_e32 v117, v113
	v_pk_mul_f32 v[112:113], v[114:115], v[104:105] op_sel:[0,1]
	v_pk_add_f32 v[12:13], v[12:13], v[116:117] neg_lo:[0,1] neg_hi:[0,1]
	s_delay_alu instid0(VALU_DEP_2) | instskip(SKIP_1) | instid1(VALU_DEP_1)
	v_pk_fma_f32 v[116:117], v[114:115], v[102:103], v[112:113] op_sel:[0,0,1] op_sel_hi:[1,1,0] neg_lo:[0,0,1] neg_hi:[0,0,1]
	v_pk_fma_f32 v[112:113], v[114:115], v[102:103], v[112:113] op_sel:[0,0,1] op_sel_hi:[1,0,0]
	v_mov_b32_e32 v117, v113
	ds_load_2addr_b64 v[112:115], v106 offset0:33 offset1:34
	v_pk_add_f32 v[48:49], v[48:49], v[116:117] neg_lo:[0,1] neg_hi:[0,1]
	s_wait_dscnt 0x0
	v_pk_mul_f32 v[116:117], v[112:113], v[104:105] op_sel:[0,1]
	s_delay_alu instid0(VALU_DEP_1) | instskip(SKIP_1) | instid1(VALU_DEP_1)
	v_pk_fma_f32 v[118:119], v[112:113], v[102:103], v[116:117] op_sel:[0,0,1] op_sel_hi:[1,1,0] neg_lo:[0,0,1] neg_hi:[0,0,1]
	v_pk_fma_f32 v[112:113], v[112:113], v[102:103], v[116:117] op_sel:[0,0,1] op_sel_hi:[1,0,0]
	v_mov_b32_e32 v119, v113
	v_pk_mul_f32 v[112:113], v[114:115], v[104:105] op_sel:[0,1]
	s_delay_alu instid0(VALU_DEP_2) | instskip(NEXT) | instid1(VALU_DEP_2)
	v_pk_add_f32 v[44:45], v[44:45], v[118:119] neg_lo:[0,1] neg_hi:[0,1]
	v_pk_fma_f32 v[116:117], v[114:115], v[102:103], v[112:113] op_sel:[0,0,1] op_sel_hi:[1,1,0] neg_lo:[0,0,1] neg_hi:[0,0,1]
	v_pk_fma_f32 v[112:113], v[114:115], v[102:103], v[112:113] op_sel:[0,0,1] op_sel_hi:[1,0,0]
	s_delay_alu instid0(VALU_DEP_1) | instskip(SKIP_4) | instid1(VALU_DEP_1)
	v_mov_b32_e32 v117, v113
	ds_load_2addr_b64 v[112:115], v106 offset0:35 offset1:36
	v_pk_add_f32 v[46:47], v[46:47], v[116:117] neg_lo:[0,1] neg_hi:[0,1]
	s_wait_dscnt 0x0
	v_pk_mul_f32 v[116:117], v[112:113], v[104:105] op_sel:[0,1]
	v_pk_fma_f32 v[118:119], v[112:113], v[102:103], v[116:117] op_sel:[0,0,1] op_sel_hi:[1,1,0] neg_lo:[0,0,1] neg_hi:[0,0,1]
	v_pk_fma_f32 v[112:113], v[112:113], v[102:103], v[116:117] op_sel:[0,0,1] op_sel_hi:[1,0,0]
	v_dual_mul_f32 v116, v115, v105 :: v_dual_mov_b32 v112, v115
	s_delay_alu instid0(VALU_DEP_2) | instskip(NEXT) | instid1(VALU_DEP_2)
	v_dual_mov_b32 v119, v113 :: v_dual_mov_b32 v113, v114
	v_pk_fma_f32 v[116:117], v[114:115], v[94:95], v[116:117] op_sel_hi:[1,1,0] neg_lo:[0,0,1] neg_hi:[0,0,1]
	v_mul_f32_e32 v114, v115, v102
	s_delay_alu instid0(VALU_DEP_3) | instskip(NEXT) | instid1(VALU_DEP_2)
	v_pk_add_f32 v[10:11], v[10:11], v[118:119] neg_lo:[0,1] neg_hi:[0,1]
	v_pk_fma_f32 v[112:113], v[112:113], v[94:95], v[114:115] op_sel_hi:[1,1,0]
	s_delay_alu instid0(VALU_DEP_1) | instskip(SKIP_4) | instid1(VALU_DEP_1)
	v_mov_b32_e32 v117, v113
	ds_load_2addr_b64 v[112:115], v106 offset0:37 offset1:38
	v_pk_add_f32 v[42:43], v[42:43], v[116:117] neg_lo:[0,1] neg_hi:[0,1]
	s_wait_dscnt 0x0
	v_pk_mul_f32 v[116:117], v[112:113], v[104:105] op_sel:[0,1]
	v_pk_fma_f32 v[118:119], v[112:113], v[102:103], v[116:117] op_sel:[0,0,1] op_sel_hi:[1,1,0] neg_lo:[0,0,1] neg_hi:[0,0,1]
	v_pk_fma_f32 v[112:113], v[112:113], v[102:103], v[116:117] op_sel:[0,0,1] op_sel_hi:[1,0,0]
	s_delay_alu instid0(VALU_DEP_1) | instskip(SKIP_1) | instid1(VALU_DEP_1)
	v_mov_b32_e32 v119, v113
	v_pk_mul_f32 v[112:113], v[114:115], v[104:105] op_sel:[0,1]
	v_pk_fma_f32 v[116:117], v[114:115], v[102:103], v[112:113] op_sel:[0,0,1] op_sel_hi:[1,1,0] neg_lo:[0,0,1] neg_hi:[0,0,1]
	v_pk_fma_f32 v[112:113], v[114:115], v[102:103], v[112:113] op_sel:[0,0,1] op_sel_hi:[1,0,0]
	s_delay_alu instid0(VALU_DEP_1)
	v_mov_b32_e32 v117, v113
	ds_load_2addr_b64 v[112:115], v106 offset0:39 offset1:40
	v_pk_add_f32 v[38:39], v[38:39], v[118:119] neg_lo:[0,1] neg_hi:[0,1]
	v_pk_add_f32 v[40:41], v[40:41], v[116:117] neg_lo:[0,1] neg_hi:[0,1]
	s_wait_dscnt 0x0
	v_pk_mul_f32 v[116:117], v[112:113], v[104:105] op_sel:[0,1]
	s_delay_alu instid0(VALU_DEP_1) | instskip(SKIP_1) | instid1(VALU_DEP_1)
	v_pk_fma_f32 v[118:119], v[112:113], v[102:103], v[116:117] op_sel:[0,0,1] op_sel_hi:[1,1,0] neg_lo:[0,0,1] neg_hi:[0,0,1]
	v_pk_fma_f32 v[112:113], v[112:113], v[102:103], v[116:117] op_sel:[0,0,1] op_sel_hi:[1,0,0]
	v_mov_b32_e32 v119, v113
	v_pk_mul_f32 v[112:113], v[114:115], v[104:105] op_sel:[0,1]
	s_delay_alu instid0(VALU_DEP_1) | instskip(SKIP_1) | instid1(VALU_DEP_1)
	v_pk_fma_f32 v[116:117], v[114:115], v[102:103], v[112:113] op_sel:[0,0,1] op_sel_hi:[1,1,0] neg_lo:[0,0,1] neg_hi:[0,0,1]
	v_pk_fma_f32 v[112:113], v[114:115], v[102:103], v[112:113] op_sel:[0,0,1] op_sel_hi:[1,0,0]
	v_mov_b32_e32 v117, v113
	ds_load_2addr_b64 v[112:115], v106 offset0:41 offset1:42
	v_pk_add_f32 v[6:7], v[6:7], v[118:119] neg_lo:[0,1] neg_hi:[0,1]
	v_pk_add_f32 v[36:37], v[36:37], v[116:117] neg_lo:[0,1] neg_hi:[0,1]
	s_wait_dscnt 0x0
	v_dual_mul_f32 v116, v113, v105 :: v_dual_mul_f32 v118, v113, v102
	s_delay_alu instid0(VALU_DEP_1) | instskip(NEXT) | instid1(VALU_DEP_2)
	v_pk_fma_f32 v[116:117], v[112:113], v[94:95], v[116:117] op_sel_hi:[1,1,0] neg_lo:[0,0,1] neg_hi:[0,0,1]
	v_pk_fma_f32 v[112:113], v[112:113], v[94:95], v[118:119] op_sel:[1,0,0] op_sel_hi:[0,1,0]
	s_delay_alu instid0(VALU_DEP_1) | instskip(SKIP_1) | instid1(VALU_DEP_2)
	v_mov_b32_e32 v117, v113
	v_pk_mul_f32 v[112:113], v[114:115], v[104:105] op_sel:[0,1]
	v_pk_add_f32 v[30:31], v[30:31], v[116:117] neg_lo:[0,1] neg_hi:[0,1]
	s_delay_alu instid0(VALU_DEP_2) | instskip(SKIP_1) | instid1(VALU_DEP_1)
	v_pk_fma_f32 v[116:117], v[114:115], v[102:103], v[112:113] op_sel:[0,0,1] op_sel_hi:[1,1,0] neg_lo:[0,0,1] neg_hi:[0,0,1]
	v_pk_fma_f32 v[112:113], v[114:115], v[102:103], v[112:113] op_sel:[0,0,1] op_sel_hi:[1,0,0]
	v_mov_b32_e32 v117, v113
	ds_load_2addr_b64 v[112:115], v106 offset0:43 offset1:44
	v_pk_add_f32 v[34:35], v[34:35], v[116:117] neg_lo:[0,1] neg_hi:[0,1]
	s_wait_dscnt 0x0
	v_pk_mul_f32 v[116:117], v[112:113], v[104:105] op_sel:[0,1]
	s_delay_alu instid0(VALU_DEP_1) | instskip(SKIP_1) | instid1(VALU_DEP_1)
	v_pk_fma_f32 v[118:119], v[112:113], v[102:103], v[116:117] op_sel:[0,0,1] op_sel_hi:[1,1,0] neg_lo:[0,0,1] neg_hi:[0,0,1]
	v_pk_fma_f32 v[112:113], v[112:113], v[102:103], v[116:117] op_sel:[0,0,1] op_sel_hi:[1,0,0]
	v_mov_b32_e32 v119, v113
	v_pk_mul_f32 v[112:113], v[114:115], v[104:105] op_sel:[0,1]
	s_delay_alu instid0(VALU_DEP_2) | instskip(NEXT) | instid1(VALU_DEP_2)
	v_pk_add_f32 v[8:9], v[8:9], v[118:119] neg_lo:[0,1] neg_hi:[0,1]
	v_pk_fma_f32 v[116:117], v[114:115], v[102:103], v[112:113] op_sel:[0,0,1] op_sel_hi:[1,1,0] neg_lo:[0,0,1] neg_hi:[0,0,1]
	v_pk_fma_f32 v[112:113], v[114:115], v[102:103], v[112:113] op_sel:[0,0,1] op_sel_hi:[1,0,0]
	s_delay_alu instid0(VALU_DEP_1) | instskip(SKIP_4) | instid1(VALU_DEP_1)
	v_mov_b32_e32 v117, v113
	ds_load_2addr_b64 v[112:115], v106 offset0:45 offset1:46
	v_pk_add_f32 v[28:29], v[28:29], v[116:117] neg_lo:[0,1] neg_hi:[0,1]
	s_wait_dscnt 0x0
	v_pk_mul_f32 v[116:117], v[112:113], v[104:105] op_sel:[0,1]
	v_pk_fma_f32 v[118:119], v[112:113], v[102:103], v[116:117] op_sel:[0,0,1] op_sel_hi:[1,1,0] neg_lo:[0,0,1] neg_hi:[0,0,1]
	v_pk_fma_f32 v[112:113], v[112:113], v[102:103], v[116:117] op_sel:[0,0,1] op_sel_hi:[1,0,0]
	v_dual_mul_f32 v116, v115, v105 :: v_dual_mov_b32 v112, v115
	s_delay_alu instid0(VALU_DEP_2) | instskip(NEXT) | instid1(VALU_DEP_2)
	v_dual_mov_b32 v119, v113 :: v_dual_mov_b32 v113, v114
	v_pk_fma_f32 v[116:117], v[114:115], v[94:95], v[116:117] op_sel_hi:[1,1,0] neg_lo:[0,0,1] neg_hi:[0,0,1]
	v_mul_f32_e32 v114, v115, v102
	s_delay_alu instid0(VALU_DEP_3) | instskip(NEXT) | instid1(VALU_DEP_2)
	v_pk_add_f32 v[18:19], v[18:19], v[118:119] neg_lo:[0,1] neg_hi:[0,1]
	v_pk_fma_f32 v[112:113], v[112:113], v[94:95], v[114:115] op_sel_hi:[1,1,0]
	s_delay_alu instid0(VALU_DEP_1) | instskip(SKIP_4) | instid1(VALU_DEP_1)
	v_mov_b32_e32 v117, v113
	ds_load_b64 v[112:113], v106 offset:376
	v_pk_add_f32 v[14:15], v[14:15], v[116:117] neg_lo:[0,1] neg_hi:[0,1]
	s_wait_dscnt 0x0
	v_pk_mul_f32 v[104:105], v[112:113], v[104:105] op_sel:[0,1]
	v_pk_fma_f32 v[114:115], v[112:113], v[102:103], v[104:105] op_sel:[0,0,1] op_sel_hi:[1,1,0] neg_lo:[0,0,1] neg_hi:[0,0,1]
	v_pk_fma_f32 v[102:103], v[112:113], v[102:103], v[104:105] op_sel:[0,0,1] op_sel_hi:[1,0,0]
	s_delay_alu instid0(VALU_DEP_1) | instskip(NEXT) | instid1(VALU_DEP_1)
	v_mov_b32_e32 v115, v103
	v_pk_add_f32 v[100:101], v[100:101], v[114:115] neg_lo:[0,1] neg_hi:[0,1]
.LBB94_62:
	s_or_b32 exec_lo, exec_lo, s0
	v_lshl_add_u32 v102, v110, 3, v106
	s_barrier_signal -1
	s_barrier_wait -1
	ds_store_b64 v102, v[92:93]
	s_wait_dscnt 0x0
	s_barrier_signal -1
	s_barrier_wait -1
	ds_load_b64 v[104:105], v106 offset:24
	v_mov_b32_e32 v102, 3
	s_cmp_lt_i32 s18, 5
	s_cbranch_scc1 .LBB94_65
; %bb.63:
	v_mov_b32_e32 v102, 3
	v_add3_u32 v103, v107, 0, 32
	s_mov_b32 s0, 4
.LBB94_64:                              ; =>This Inner Loop Header: Depth=1
	ds_load_b64 v[112:113], v103
	s_wait_dscnt 0x1
	v_cmp_gt_f32_e32 vcc_lo, 0, v104
	v_cndmask_b32_e64 v114, v104, -v104, vcc_lo
	v_cmp_gt_f32_e32 vcc_lo, 0, v105
	v_cndmask_b32_e64 v116, v105, -v105, vcc_lo
	s_wait_dscnt 0x0
	v_cmp_gt_f32_e32 vcc_lo, 0, v112
	v_cndmask_b32_e64 v115, v112, -v112, vcc_lo
	v_cmp_gt_f32_e32 vcc_lo, 0, v113
	v_cndmask_b32_e64 v117, v113, -v113, vcc_lo
	s_delay_alu instid0(VALU_DEP_1) | instskip(NEXT) | instid1(VALU_DEP_1)
	v_pk_add_f32 v[114:115], v[114:115], v[116:117]
	v_cmp_lt_f32_e32 vcc_lo, v114, v115
	v_dual_add_nc_u32 v103, 8, v103 :: v_dual_cndmask_b32 v105, v105, v113, vcc_lo
	v_cndmask_b32_e32 v104, v104, v112, vcc_lo
	v_cndmask_b32_e64 v102, v102, s0, vcc_lo
	s_add_co_i32 s0, s0, 1
	s_delay_alu instid0(SALU_CYCLE_1)
	s_cmp_lg_u32 s18, s0
	s_cbranch_scc1 .LBB94_64
.LBB94_65:
	s_wait_dscnt 0x0
	v_cmp_eq_f32_e32 vcc_lo, 0, v104
	v_cmp_eq_f32_e64 s0, 0, v105
	s_and_b32 s0, vcc_lo, s0
	s_delay_alu instid0(SALU_CYCLE_1) | instskip(NEXT) | instid1(SALU_CYCLE_1)
	s_and_saveexec_b32 s1, s0
	s_xor_b32 s0, exec_lo, s1
; %bb.66:
	v_cmp_ne_u32_e32 vcc_lo, 0, v108
	v_cndmask_b32_e32 v108, 4, v108, vcc_lo
; %bb.67:
	s_and_not1_saveexec_b32 s0, s0
	s_cbranch_execz .LBB94_73
; %bb.68:
	v_cmp_ngt_f32_e64 s1, |v104|, |v105|
	s_and_saveexec_b32 s12, s1
	s_delay_alu instid0(SALU_CYCLE_1)
	s_xor_b32 s1, exec_lo, s12
	s_cbranch_execz .LBB94_70
; %bb.69:
	v_div_scale_f32 v103, null, v105, v105, v104
	v_div_scale_f32 v113, vcc_lo, v104, v105, v104
	s_delay_alu instid0(VALU_DEP_2) | instskip(SKIP_1) | instid1(TRANS32_DEP_1)
	v_rcp_f32_e32 v111, v103
	v_nop
	v_fma_f32 v112, -v103, v111, 1.0
	s_delay_alu instid0(VALU_DEP_1) | instskip(NEXT) | instid1(VALU_DEP_1)
	v_fmac_f32_e32 v111, v112, v111
	v_mul_f32_e32 v112, v113, v111
	s_delay_alu instid0(VALU_DEP_1) | instskip(NEXT) | instid1(VALU_DEP_1)
	v_fma_f32 v114, -v103, v112, v113
	v_fmac_f32_e32 v112, v114, v111
	s_delay_alu instid0(VALU_DEP_1) | instskip(NEXT) | instid1(VALU_DEP_1)
	v_fma_f32 v103, -v103, v112, v113
	v_div_fmas_f32 v103, v103, v111, v112
	s_delay_alu instid0(VALU_DEP_1) | instskip(NEXT) | instid1(VALU_DEP_1)
	v_div_fixup_f32 v103, v103, v105, v104
	v_fmac_f32_e32 v105, v104, v103
	s_delay_alu instid0(VALU_DEP_1) | instskip(SKIP_1) | instid1(VALU_DEP_2)
	v_div_scale_f32 v104, null, v105, v105, 1.0
	v_div_scale_f32 v113, vcc_lo, 1.0, v105, 1.0
	v_rcp_f32_e32 v111, v104
	v_nop
	s_delay_alu instid0(TRANS32_DEP_1) | instskip(NEXT) | instid1(VALU_DEP_1)
	v_fma_f32 v112, -v104, v111, 1.0
	v_fmac_f32_e32 v111, v112, v111
	s_delay_alu instid0(VALU_DEP_1) | instskip(NEXT) | instid1(VALU_DEP_1)
	v_mul_f32_e32 v112, v113, v111
	v_fma_f32 v114, -v104, v112, v113
	s_delay_alu instid0(VALU_DEP_1) | instskip(NEXT) | instid1(VALU_DEP_1)
	v_fmac_f32_e32 v112, v114, v111
	v_fma_f32 v104, -v104, v112, v113
	s_delay_alu instid0(VALU_DEP_1) | instskip(NEXT) | instid1(VALU_DEP_1)
	v_div_fmas_f32 v104, v104, v111, v112
	v_div_fixup_f32 v105, v104, v105, 1.0
	s_delay_alu instid0(VALU_DEP_1)
	v_mul_f32_e32 v104, v103, v105
	v_xor_b32_e32 v105, 0x80000000, v105
.LBB94_70:
	s_and_not1_saveexec_b32 s1, s1
	s_cbranch_execz .LBB94_72
; %bb.71:
	s_delay_alu instid0(VALU_DEP_1) | instskip(SKIP_1) | instid1(VALU_DEP_2)
	v_div_scale_f32 v103, null, v104, v104, v105
	v_div_scale_f32 v113, vcc_lo, v105, v104, v105
	v_rcp_f32_e32 v111, v103
	v_nop
	s_delay_alu instid0(TRANS32_DEP_1) | instskip(NEXT) | instid1(VALU_DEP_1)
	v_fma_f32 v112, -v103, v111, 1.0
	v_fmac_f32_e32 v111, v112, v111
	s_delay_alu instid0(VALU_DEP_1) | instskip(NEXT) | instid1(VALU_DEP_1)
	v_mul_f32_e32 v112, v113, v111
	v_fma_f32 v114, -v103, v112, v113
	s_delay_alu instid0(VALU_DEP_1) | instskip(NEXT) | instid1(VALU_DEP_1)
	v_fmac_f32_e32 v112, v114, v111
	v_fma_f32 v103, -v103, v112, v113
	s_delay_alu instid0(VALU_DEP_1) | instskip(NEXT) | instid1(VALU_DEP_1)
	v_div_fmas_f32 v103, v103, v111, v112
	v_div_fixup_f32 v103, v103, v104, v105
	s_delay_alu instid0(VALU_DEP_1) | instskip(NEXT) | instid1(VALU_DEP_1)
	v_fmac_f32_e32 v104, v105, v103
	v_div_scale_f32 v105, null, v104, v104, 1.0
	s_delay_alu instid0(VALU_DEP_1) | instskip(SKIP_1) | instid1(TRANS32_DEP_1)
	v_rcp_f32_e32 v111, v105
	v_nop
	v_fma_f32 v112, -v105, v111, 1.0
	s_delay_alu instid0(VALU_DEP_1) | instskip(SKIP_1) | instid1(VALU_DEP_1)
	v_fmac_f32_e32 v111, v112, v111
	v_div_scale_f32 v112, vcc_lo, 1.0, v104, 1.0
	v_mul_f32_e32 v113, v112, v111
	s_delay_alu instid0(VALU_DEP_1) | instskip(NEXT) | instid1(VALU_DEP_1)
	v_fma_f32 v114, -v105, v113, v112
	v_fmac_f32_e32 v113, v114, v111
	s_delay_alu instid0(VALU_DEP_1) | instskip(NEXT) | instid1(VALU_DEP_1)
	v_fma_f32 v105, -v105, v113, v112
	v_div_fmas_f32 v105, v105, v111, v113
	s_delay_alu instid0(VALU_DEP_1) | instskip(NEXT) | instid1(VALU_DEP_1)
	v_div_fixup_f32 v104, v105, v104, 1.0
	v_mul_f32_e64 v105, v103, -v104
.LBB94_72:
	s_or_b32 exec_lo, exec_lo, s1
.LBB94_73:
	s_delay_alu instid0(SALU_CYCLE_1) | instskip(NEXT) | instid1(SALU_CYCLE_1)
	s_or_b32 exec_lo, exec_lo, s0
	s_mov_b32 s0, exec_lo
	v_cmpx_ne_u32_e64 v110, v102
	s_xor_b32 s0, exec_lo, s0
	s_cbranch_execz .LBB94_79
; %bb.74:
	s_mov_b32 s1, exec_lo
	v_cmpx_eq_u32_e32 3, v110
	s_cbranch_execz .LBB94_78
; %bb.75:
	v_cmp_ne_u32_e32 vcc_lo, 3, v102
	s_xor_b32 s12, s16, -1
	s_delay_alu instid0(SALU_CYCLE_1) | instskip(NEXT) | instid1(SALU_CYCLE_1)
	s_and_b32 s13, s12, vcc_lo
	s_and_saveexec_b32 s12, s13
	s_cbranch_execz .LBB94_77
; %bb.76:
	v_ashrrev_i32_e32 v103, 31, v102
	s_delay_alu instid0(VALU_DEP_1)
	v_lshl_add_u64 v[110:111], v[102:103], 2, v[4:5]
	s_clause 0x1
	global_load_b32 v103, v[110:111], off
	global_load_b32 v109, v[4:5], off offset:12
	s_wait_loadcnt 0x1
	global_store_b32 v[4:5], v103, off offset:12
	s_wait_loadcnt 0x0
	global_store_b32 v[110:111], v109, off
.LBB94_77:
	s_wait_xcnt 0x0
	s_or_b32 exec_lo, exec_lo, s12
	v_dual_mov_b32 v110, v102 :: v_dual_mov_b32 v109, v102
.LBB94_78:
	s_or_b32 exec_lo, exec_lo, s1
.LBB94_79:
	s_and_not1_saveexec_b32 s0, s0
	s_cbranch_execz .LBB94_81
; %bb.80:
	v_dual_mov_b32 v102, v60 :: v_dual_mov_b32 v103, v61
	v_dual_mov_b32 v110, v56 :: v_dual_mov_b32 v111, v57
	ds_store_2addr_b64 v106, v[102:103], v[110:111] offset0:4 offset1:5
	v_dual_mov_b32 v102, v58 :: v_dual_mov_b32 v103, v59
	v_dual_mov_b32 v110, v16 :: v_dual_mov_b32 v111, v17
	ds_store_2addr_b64 v106, v[102:103], v[110:111] offset0:6 offset1:7
	;; [unrolled: 3-line block ×21, first 2 shown]
	v_dual_mov_b32 v102, v14 :: v_dual_mov_b32 v103, v15
	v_mov_b32_e32 v110, 3
	ds_store_2addr_b64 v106, v[102:103], v[100:101] offset0:46 offset1:47
.LBB94_81:
	s_or_b32 exec_lo, exec_lo, s0
	s_delay_alu instid0(SALU_CYCLE_1)
	s_mov_b32 s0, exec_lo
	s_wait_storecnt_dscnt 0x0
	s_barrier_signal -1
	s_barrier_wait -1
	v_cmpx_lt_i32_e32 3, v110
	s_cbranch_execz .LBB94_83
; %bb.82:
	v_pk_mul_f32 v[112:113], v[104:105], v[92:93] op_sel:[1,1] op_sel_hi:[0,1]
	s_delay_alu instid0(VALU_DEP_1)
	v_pk_fma_f32 v[102:103], v[104:105], v[92:93], v[112:113] op_sel_hi:[1,0,1] neg_lo:[0,0,1] neg_hi:[0,0,1]
	v_pk_fma_f32 v[104:105], v[104:105], v[92:93], v[112:113] op_sel_hi:[1,0,1]
	ds_load_2addr_b64 v[112:115], v106 offset0:4 offset1:5
	v_dual_mov_b32 v92, v102 :: v_dual_mov_b32 v93, v105
	s_wait_dscnt 0x0
	v_pk_mul_f32 v[116:117], v[112:113], v[104:105] op_sel:[0,1]
	s_delay_alu instid0(VALU_DEP_1) | instskip(SKIP_1) | instid1(VALU_DEP_1)
	v_pk_fma_f32 v[118:119], v[112:113], v[102:103], v[116:117] op_sel:[0,0,1] op_sel_hi:[1,1,0] neg_lo:[0,0,1] neg_hi:[0,0,1]
	v_pk_fma_f32 v[112:113], v[112:113], v[102:103], v[116:117] op_sel:[0,0,1] op_sel_hi:[1,0,0]
	v_mov_b32_e32 v119, v113
	v_pk_mul_f32 v[112:113], v[114:115], v[104:105] op_sel:[0,1]
	s_delay_alu instid0(VALU_DEP_1) | instskip(SKIP_1) | instid1(VALU_DEP_1)
	v_pk_fma_f32 v[116:117], v[114:115], v[102:103], v[112:113] op_sel:[0,0,1] op_sel_hi:[1,1,0] neg_lo:[0,0,1] neg_hi:[0,0,1]
	v_pk_fma_f32 v[112:113], v[114:115], v[102:103], v[112:113] op_sel:[0,0,1] op_sel_hi:[1,0,0]
	v_mov_b32_e32 v117, v113
	ds_load_2addr_b64 v[112:115], v106 offset0:6 offset1:7
	v_pk_add_f32 v[60:61], v[60:61], v[118:119] neg_lo:[0,1] neg_hi:[0,1]
	v_pk_add_f32 v[56:57], v[56:57], v[116:117] neg_lo:[0,1] neg_hi:[0,1]
	s_wait_dscnt 0x0
	v_pk_mul_f32 v[116:117], v[112:113], v[104:105] op_sel:[0,1]
	s_delay_alu instid0(VALU_DEP_1) | instskip(SKIP_2) | instid1(VALU_DEP_2)
	v_pk_fma_f32 v[118:119], v[112:113], v[102:103], v[116:117] op_sel:[0,0,1] op_sel_hi:[1,1,0] neg_lo:[0,0,1] neg_hi:[0,0,1]
	v_pk_fma_f32 v[112:113], v[112:113], v[102:103], v[116:117] op_sel:[0,0,1] op_sel_hi:[1,0,0]
	v_dual_mul_f32 v116, v115, v105 :: v_dual_mov_b32 v112, v115
	v_dual_mov_b32 v119, v113 :: v_dual_mov_b32 v113, v114
	s_delay_alu instid0(VALU_DEP_2) | instskip(SKIP_1) | instid1(VALU_DEP_3)
	v_pk_fma_f32 v[116:117], v[114:115], v[92:93], v[116:117] op_sel_hi:[1,1,0] neg_lo:[0,0,1] neg_hi:[0,0,1]
	v_mul_f32_e32 v114, v115, v102
	v_pk_add_f32 v[58:59], v[58:59], v[118:119] neg_lo:[0,1] neg_hi:[0,1]
	s_delay_alu instid0(VALU_DEP_2) | instskip(NEXT) | instid1(VALU_DEP_1)
	v_pk_fma_f32 v[112:113], v[112:113], v[92:93], v[114:115] op_sel_hi:[1,1,0]
	v_mov_b32_e32 v117, v113
	ds_load_2addr_b64 v[112:115], v106 offset0:8 offset1:9
	v_pk_add_f32 v[16:17], v[16:17], v[116:117] neg_lo:[0,1] neg_hi:[0,1]
	s_wait_dscnt 0x0
	v_pk_mul_f32 v[116:117], v[112:113], v[104:105] op_sel:[0,1]
	s_delay_alu instid0(VALU_DEP_1) | instskip(SKIP_1) | instid1(VALU_DEP_1)
	v_pk_fma_f32 v[118:119], v[112:113], v[102:103], v[116:117] op_sel:[0,0,1] op_sel_hi:[1,1,0] neg_lo:[0,0,1] neg_hi:[0,0,1]
	v_pk_fma_f32 v[112:113], v[112:113], v[102:103], v[116:117] op_sel:[0,0,1] op_sel_hi:[1,0,0]
	v_mov_b32_e32 v119, v113
	v_pk_mul_f32 v[112:113], v[114:115], v[104:105] op_sel:[0,1]
	s_delay_alu instid0(VALU_DEP_1) | instskip(SKIP_1) | instid1(VALU_DEP_1)
	v_pk_fma_f32 v[116:117], v[114:115], v[102:103], v[112:113] op_sel:[0,0,1] op_sel_hi:[1,1,0] neg_lo:[0,0,1] neg_hi:[0,0,1]
	v_pk_fma_f32 v[112:113], v[114:115], v[102:103], v[112:113] op_sel:[0,0,1] op_sel_hi:[1,0,0]
	v_mov_b32_e32 v117, v113
	ds_load_2addr_b64 v[112:115], v106 offset0:10 offset1:11
	v_pk_add_f32 v[90:91], v[90:91], v[118:119] neg_lo:[0,1] neg_hi:[0,1]
	v_pk_add_f32 v[86:87], v[86:87], v[116:117] neg_lo:[0,1] neg_hi:[0,1]
	s_wait_dscnt 0x0
	v_pk_mul_f32 v[116:117], v[112:113], v[104:105] op_sel:[0,1]
	s_delay_alu instid0(VALU_DEP_1) | instskip(SKIP_1) | instid1(VALU_DEP_1)
	v_pk_fma_f32 v[118:119], v[112:113], v[102:103], v[116:117] op_sel:[0,0,1] op_sel_hi:[1,1,0] neg_lo:[0,0,1] neg_hi:[0,0,1]
	v_pk_fma_f32 v[112:113], v[112:113], v[102:103], v[116:117] op_sel:[0,0,1] op_sel_hi:[1,0,0]
	v_mov_b32_e32 v119, v113
	v_pk_mul_f32 v[112:113], v[114:115], v[104:105] op_sel:[0,1]
	s_delay_alu instid0(VALU_DEP_1) | instskip(SKIP_1) | instid1(VALU_DEP_1)
	v_pk_fma_f32 v[116:117], v[114:115], v[102:103], v[112:113] op_sel:[0,0,1] op_sel_hi:[1,1,0] neg_lo:[0,0,1] neg_hi:[0,0,1]
	v_pk_fma_f32 v[112:113], v[114:115], v[102:103], v[112:113] op_sel:[0,0,1] op_sel_hi:[1,0,0]
	v_mov_b32_e32 v117, v113
	ds_load_2addr_b64 v[112:115], v106 offset0:12 offset1:13
	v_pk_add_f32 v[88:89], v[88:89], v[118:119] neg_lo:[0,1] neg_hi:[0,1]
	v_pk_add_f32 v[32:33], v[32:33], v[116:117] neg_lo:[0,1] neg_hi:[0,1]
	s_wait_dscnt 0x0
	v_dual_mul_f32 v116, v113, v105 :: v_dual_mul_f32 v118, v113, v102
	s_delay_alu instid0(VALU_DEP_1) | instskip(NEXT) | instid1(VALU_DEP_2)
	v_pk_fma_f32 v[116:117], v[112:113], v[92:93], v[116:117] op_sel_hi:[1,1,0] neg_lo:[0,0,1] neg_hi:[0,0,1]
	v_pk_fma_f32 v[112:113], v[112:113], v[92:93], v[118:119] op_sel:[1,0,0] op_sel_hi:[0,1,0]
	s_delay_alu instid0(VALU_DEP_1) | instskip(SKIP_1) | instid1(VALU_DEP_2)
	v_mov_b32_e32 v117, v113
	v_pk_mul_f32 v[112:113], v[114:115], v[104:105] op_sel:[0,1]
	v_pk_add_f32 v[84:85], v[84:85], v[116:117] neg_lo:[0,1] neg_hi:[0,1]
	s_delay_alu instid0(VALU_DEP_2) | instskip(SKIP_1) | instid1(VALU_DEP_1)
	v_pk_fma_f32 v[116:117], v[114:115], v[102:103], v[112:113] op_sel:[0,0,1] op_sel_hi:[1,1,0] neg_lo:[0,0,1] neg_hi:[0,0,1]
	v_pk_fma_f32 v[112:113], v[114:115], v[102:103], v[112:113] op_sel:[0,0,1] op_sel_hi:[1,0,0]
	v_mov_b32_e32 v117, v113
	ds_load_2addr_b64 v[112:115], v106 offset0:14 offset1:15
	v_pk_add_f32 v[80:81], v[80:81], v[116:117] neg_lo:[0,1] neg_hi:[0,1]
	s_wait_dscnt 0x0
	v_pk_mul_f32 v[116:117], v[112:113], v[104:105] op_sel:[0,1]
	s_delay_alu instid0(VALU_DEP_1) | instskip(SKIP_1) | instid1(VALU_DEP_1)
	v_pk_fma_f32 v[118:119], v[112:113], v[102:103], v[116:117] op_sel:[0,0,1] op_sel_hi:[1,1,0] neg_lo:[0,0,1] neg_hi:[0,0,1]
	v_pk_fma_f32 v[112:113], v[112:113], v[102:103], v[116:117] op_sel:[0,0,1] op_sel_hi:[1,0,0]
	v_mov_b32_e32 v119, v113
	v_pk_mul_f32 v[112:113], v[114:115], v[104:105] op_sel:[0,1]
	s_delay_alu instid0(VALU_DEP_2) | instskip(NEXT) | instid1(VALU_DEP_2)
	v_pk_add_f32 v[82:83], v[82:83], v[118:119] neg_lo:[0,1] neg_hi:[0,1]
	v_pk_fma_f32 v[116:117], v[114:115], v[102:103], v[112:113] op_sel:[0,0,1] op_sel_hi:[1,1,0] neg_lo:[0,0,1] neg_hi:[0,0,1]
	v_pk_fma_f32 v[112:113], v[114:115], v[102:103], v[112:113] op_sel:[0,0,1] op_sel_hi:[1,0,0]
	s_delay_alu instid0(VALU_DEP_1) | instskip(SKIP_4) | instid1(VALU_DEP_1)
	v_mov_b32_e32 v117, v113
	ds_load_2addr_b64 v[112:115], v106 offset0:16 offset1:17
	v_pk_add_f32 v[26:27], v[26:27], v[116:117] neg_lo:[0,1] neg_hi:[0,1]
	s_wait_dscnt 0x0
	v_pk_mul_f32 v[116:117], v[112:113], v[104:105] op_sel:[0,1]
	v_pk_fma_f32 v[118:119], v[112:113], v[102:103], v[116:117] op_sel:[0,0,1] op_sel_hi:[1,1,0] neg_lo:[0,0,1] neg_hi:[0,0,1]
	v_pk_fma_f32 v[112:113], v[112:113], v[102:103], v[116:117] op_sel:[0,0,1] op_sel_hi:[1,0,0]
	v_dual_mul_f32 v116, v115, v105 :: v_dual_mov_b32 v112, v115
	s_delay_alu instid0(VALU_DEP_2) | instskip(NEXT) | instid1(VALU_DEP_2)
	v_dual_mov_b32 v119, v113 :: v_dual_mov_b32 v113, v114
	v_pk_fma_f32 v[116:117], v[114:115], v[92:93], v[116:117] op_sel_hi:[1,1,0] neg_lo:[0,0,1] neg_hi:[0,0,1]
	v_mul_f32_e32 v114, v115, v102
	s_delay_alu instid0(VALU_DEP_3) | instskip(NEXT) | instid1(VALU_DEP_2)
	v_pk_add_f32 v[78:79], v[78:79], v[118:119] neg_lo:[0,1] neg_hi:[0,1]
	v_pk_fma_f32 v[112:113], v[112:113], v[92:93], v[114:115] op_sel_hi:[1,1,0]
	s_delay_alu instid0(VALU_DEP_1) | instskip(SKIP_4) | instid1(VALU_DEP_1)
	v_mov_b32_e32 v117, v113
	ds_load_2addr_b64 v[112:115], v106 offset0:18 offset1:19
	v_pk_add_f32 v[74:75], v[74:75], v[116:117] neg_lo:[0,1] neg_hi:[0,1]
	s_wait_dscnt 0x0
	v_pk_mul_f32 v[116:117], v[112:113], v[104:105] op_sel:[0,1]
	v_pk_fma_f32 v[118:119], v[112:113], v[102:103], v[116:117] op_sel:[0,0,1] op_sel_hi:[1,1,0] neg_lo:[0,0,1] neg_hi:[0,0,1]
	v_pk_fma_f32 v[112:113], v[112:113], v[102:103], v[116:117] op_sel:[0,0,1] op_sel_hi:[1,0,0]
	s_delay_alu instid0(VALU_DEP_1) | instskip(SKIP_1) | instid1(VALU_DEP_1)
	v_mov_b32_e32 v119, v113
	v_pk_mul_f32 v[112:113], v[114:115], v[104:105] op_sel:[0,1]
	v_pk_fma_f32 v[116:117], v[114:115], v[102:103], v[112:113] op_sel:[0,0,1] op_sel_hi:[1,1,0] neg_lo:[0,0,1] neg_hi:[0,0,1]
	v_pk_fma_f32 v[112:113], v[114:115], v[102:103], v[112:113] op_sel:[0,0,1] op_sel_hi:[1,0,0]
	s_delay_alu instid0(VALU_DEP_1)
	v_mov_b32_e32 v117, v113
	ds_load_2addr_b64 v[112:115], v106 offset0:20 offset1:21
	v_pk_add_f32 v[76:77], v[76:77], v[118:119] neg_lo:[0,1] neg_hi:[0,1]
	v_pk_add_f32 v[24:25], v[24:25], v[116:117] neg_lo:[0,1] neg_hi:[0,1]
	s_wait_dscnt 0x0
	v_pk_mul_f32 v[116:117], v[112:113], v[104:105] op_sel:[0,1]
	s_delay_alu instid0(VALU_DEP_1) | instskip(SKIP_1) | instid1(VALU_DEP_1)
	v_pk_fma_f32 v[118:119], v[112:113], v[102:103], v[116:117] op_sel:[0,0,1] op_sel_hi:[1,1,0] neg_lo:[0,0,1] neg_hi:[0,0,1]
	v_pk_fma_f32 v[112:113], v[112:113], v[102:103], v[116:117] op_sel:[0,0,1] op_sel_hi:[1,0,0]
	v_mov_b32_e32 v119, v113
	v_pk_mul_f32 v[112:113], v[114:115], v[104:105] op_sel:[0,1]
	s_delay_alu instid0(VALU_DEP_1) | instskip(SKIP_1) | instid1(VALU_DEP_1)
	v_pk_fma_f32 v[116:117], v[114:115], v[102:103], v[112:113] op_sel:[0,0,1] op_sel_hi:[1,1,0] neg_lo:[0,0,1] neg_hi:[0,0,1]
	v_pk_fma_f32 v[112:113], v[114:115], v[102:103], v[112:113] op_sel:[0,0,1] op_sel_hi:[1,0,0]
	v_mov_b32_e32 v117, v113
	ds_load_2addr_b64 v[112:115], v106 offset0:22 offset1:23
	v_pk_add_f32 v[72:73], v[72:73], v[118:119] neg_lo:[0,1] neg_hi:[0,1]
	v_pk_add_f32 v[68:69], v[68:69], v[116:117] neg_lo:[0,1] neg_hi:[0,1]
	s_wait_dscnt 0x0
	v_dual_mul_f32 v116, v113, v105 :: v_dual_mul_f32 v118, v113, v102
	s_delay_alu instid0(VALU_DEP_1) | instskip(NEXT) | instid1(VALU_DEP_2)
	v_pk_fma_f32 v[116:117], v[112:113], v[92:93], v[116:117] op_sel_hi:[1,1,0] neg_lo:[0,0,1] neg_hi:[0,0,1]
	v_pk_fma_f32 v[112:113], v[112:113], v[92:93], v[118:119] op_sel:[1,0,0] op_sel_hi:[0,1,0]
	s_delay_alu instid0(VALU_DEP_1) | instskip(SKIP_1) | instid1(VALU_DEP_2)
	v_mov_b32_e32 v117, v113
	v_pk_mul_f32 v[112:113], v[114:115], v[104:105] op_sel:[0,1]
	v_pk_add_f32 v[70:71], v[70:71], v[116:117] neg_lo:[0,1] neg_hi:[0,1]
	s_delay_alu instid0(VALU_DEP_2) | instskip(SKIP_1) | instid1(VALU_DEP_1)
	v_pk_fma_f32 v[116:117], v[114:115], v[102:103], v[112:113] op_sel:[0,0,1] op_sel_hi:[1,1,0] neg_lo:[0,0,1] neg_hi:[0,0,1]
	v_pk_fma_f32 v[112:113], v[114:115], v[102:103], v[112:113] op_sel:[0,0,1] op_sel_hi:[1,0,0]
	v_mov_b32_e32 v117, v113
	ds_load_2addr_b64 v[112:115], v106 offset0:24 offset1:25
	v_pk_add_f32 v[22:23], v[22:23], v[116:117] neg_lo:[0,1] neg_hi:[0,1]
	s_wait_dscnt 0x0
	v_pk_mul_f32 v[116:117], v[112:113], v[104:105] op_sel:[0,1]
	s_delay_alu instid0(VALU_DEP_1) | instskip(SKIP_1) | instid1(VALU_DEP_1)
	v_pk_fma_f32 v[118:119], v[112:113], v[102:103], v[116:117] op_sel:[0,0,1] op_sel_hi:[1,1,0] neg_lo:[0,0,1] neg_hi:[0,0,1]
	v_pk_fma_f32 v[112:113], v[112:113], v[102:103], v[116:117] op_sel:[0,0,1] op_sel_hi:[1,0,0]
	v_mov_b32_e32 v119, v113
	v_pk_mul_f32 v[112:113], v[114:115], v[104:105] op_sel:[0,1]
	s_delay_alu instid0(VALU_DEP_2) | instskip(NEXT) | instid1(VALU_DEP_2)
	v_pk_add_f32 v[66:67], v[66:67], v[118:119] neg_lo:[0,1] neg_hi:[0,1]
	v_pk_fma_f32 v[116:117], v[114:115], v[102:103], v[112:113] op_sel:[0,0,1] op_sel_hi:[1,1,0] neg_lo:[0,0,1] neg_hi:[0,0,1]
	v_pk_fma_f32 v[112:113], v[114:115], v[102:103], v[112:113] op_sel:[0,0,1] op_sel_hi:[1,0,0]
	s_delay_alu instid0(VALU_DEP_1) | instskip(SKIP_4) | instid1(VALU_DEP_1)
	v_mov_b32_e32 v117, v113
	ds_load_2addr_b64 v[112:115], v106 offset0:26 offset1:27
	v_pk_add_f32 v[62:63], v[62:63], v[116:117] neg_lo:[0,1] neg_hi:[0,1]
	s_wait_dscnt 0x0
	v_pk_mul_f32 v[116:117], v[112:113], v[104:105] op_sel:[0,1]
	v_pk_fma_f32 v[118:119], v[112:113], v[102:103], v[116:117] op_sel:[0,0,1] op_sel_hi:[1,1,0] neg_lo:[0,0,1] neg_hi:[0,0,1]
	v_pk_fma_f32 v[112:113], v[112:113], v[102:103], v[116:117] op_sel:[0,0,1] op_sel_hi:[1,0,0]
	v_dual_mul_f32 v116, v115, v105 :: v_dual_mov_b32 v112, v115
	s_delay_alu instid0(VALU_DEP_2) | instskip(NEXT) | instid1(VALU_DEP_2)
	v_dual_mov_b32 v119, v113 :: v_dual_mov_b32 v113, v114
	v_pk_fma_f32 v[116:117], v[114:115], v[92:93], v[116:117] op_sel_hi:[1,1,0] neg_lo:[0,0,1] neg_hi:[0,0,1]
	v_mul_f32_e32 v114, v115, v102
	s_delay_alu instid0(VALU_DEP_3) | instskip(NEXT) | instid1(VALU_DEP_2)
	v_pk_add_f32 v[64:65], v[64:65], v[118:119] neg_lo:[0,1] neg_hi:[0,1]
	v_pk_fma_f32 v[112:113], v[112:113], v[92:93], v[114:115] op_sel_hi:[1,1,0]
	s_delay_alu instid0(VALU_DEP_1) | instskip(SKIP_4) | instid1(VALU_DEP_1)
	v_mov_b32_e32 v117, v113
	ds_load_2addr_b64 v[112:115], v106 offset0:28 offset1:29
	v_pk_add_f32 v[20:21], v[20:21], v[116:117] neg_lo:[0,1] neg_hi:[0,1]
	s_wait_dscnt 0x0
	v_pk_mul_f32 v[116:117], v[112:113], v[104:105] op_sel:[0,1]
	v_pk_fma_f32 v[118:119], v[112:113], v[102:103], v[116:117] op_sel:[0,0,1] op_sel_hi:[1,1,0] neg_lo:[0,0,1] neg_hi:[0,0,1]
	v_pk_fma_f32 v[112:113], v[112:113], v[102:103], v[116:117] op_sel:[0,0,1] op_sel_hi:[1,0,0]
	s_delay_alu instid0(VALU_DEP_1) | instskip(SKIP_1) | instid1(VALU_DEP_1)
	v_mov_b32_e32 v119, v113
	v_pk_mul_f32 v[112:113], v[114:115], v[104:105] op_sel:[0,1]
	v_pk_fma_f32 v[116:117], v[114:115], v[102:103], v[112:113] op_sel:[0,0,1] op_sel_hi:[1,1,0] neg_lo:[0,0,1] neg_hi:[0,0,1]
	v_pk_fma_f32 v[112:113], v[114:115], v[102:103], v[112:113] op_sel:[0,0,1] op_sel_hi:[1,0,0]
	s_delay_alu instid0(VALU_DEP_1)
	v_mov_b32_e32 v117, v113
	ds_load_2addr_b64 v[112:115], v106 offset0:30 offset1:31
	v_pk_add_f32 v[54:55], v[54:55], v[118:119] neg_lo:[0,1] neg_hi:[0,1]
	v_pk_add_f32 v[50:51], v[50:51], v[116:117] neg_lo:[0,1] neg_hi:[0,1]
	s_wait_dscnt 0x0
	v_pk_mul_f32 v[116:117], v[112:113], v[104:105] op_sel:[0,1]
	s_delay_alu instid0(VALU_DEP_1) | instskip(SKIP_1) | instid1(VALU_DEP_1)
	v_pk_fma_f32 v[118:119], v[112:113], v[102:103], v[116:117] op_sel:[0,0,1] op_sel_hi:[1,1,0] neg_lo:[0,0,1] neg_hi:[0,0,1]
	v_pk_fma_f32 v[112:113], v[112:113], v[102:103], v[116:117] op_sel:[0,0,1] op_sel_hi:[1,0,0]
	v_mov_b32_e32 v119, v113
	v_pk_mul_f32 v[112:113], v[114:115], v[104:105] op_sel:[0,1]
	s_delay_alu instid0(VALU_DEP_1) | instskip(SKIP_1) | instid1(VALU_DEP_1)
	v_pk_fma_f32 v[116:117], v[114:115], v[102:103], v[112:113] op_sel:[0,0,1] op_sel_hi:[1,1,0] neg_lo:[0,0,1] neg_hi:[0,0,1]
	v_pk_fma_f32 v[112:113], v[114:115], v[102:103], v[112:113] op_sel:[0,0,1] op_sel_hi:[1,0,0]
	v_mov_b32_e32 v117, v113
	ds_load_2addr_b64 v[112:115], v106 offset0:32 offset1:33
	v_pk_add_f32 v[52:53], v[52:53], v[118:119] neg_lo:[0,1] neg_hi:[0,1]
	v_pk_add_f32 v[12:13], v[12:13], v[116:117] neg_lo:[0,1] neg_hi:[0,1]
	s_wait_dscnt 0x0
	v_dual_mul_f32 v116, v113, v105 :: v_dual_mul_f32 v118, v113, v102
	s_delay_alu instid0(VALU_DEP_1) | instskip(NEXT) | instid1(VALU_DEP_2)
	v_pk_fma_f32 v[116:117], v[112:113], v[92:93], v[116:117] op_sel_hi:[1,1,0] neg_lo:[0,0,1] neg_hi:[0,0,1]
	v_pk_fma_f32 v[112:113], v[112:113], v[92:93], v[118:119] op_sel:[1,0,0] op_sel_hi:[0,1,0]
	s_delay_alu instid0(VALU_DEP_1) | instskip(SKIP_1) | instid1(VALU_DEP_2)
	v_mov_b32_e32 v117, v113
	v_pk_mul_f32 v[112:113], v[114:115], v[104:105] op_sel:[0,1]
	v_pk_add_f32 v[48:49], v[48:49], v[116:117] neg_lo:[0,1] neg_hi:[0,1]
	s_delay_alu instid0(VALU_DEP_2) | instskip(SKIP_1) | instid1(VALU_DEP_1)
	v_pk_fma_f32 v[116:117], v[114:115], v[102:103], v[112:113] op_sel:[0,0,1] op_sel_hi:[1,1,0] neg_lo:[0,0,1] neg_hi:[0,0,1]
	v_pk_fma_f32 v[112:113], v[114:115], v[102:103], v[112:113] op_sel:[0,0,1] op_sel_hi:[1,0,0]
	v_mov_b32_e32 v117, v113
	ds_load_2addr_b64 v[112:115], v106 offset0:34 offset1:35
	v_pk_add_f32 v[44:45], v[44:45], v[116:117] neg_lo:[0,1] neg_hi:[0,1]
	s_wait_dscnt 0x0
	v_pk_mul_f32 v[116:117], v[112:113], v[104:105] op_sel:[0,1]
	s_delay_alu instid0(VALU_DEP_1) | instskip(SKIP_1) | instid1(VALU_DEP_1)
	v_pk_fma_f32 v[118:119], v[112:113], v[102:103], v[116:117] op_sel:[0,0,1] op_sel_hi:[1,1,0] neg_lo:[0,0,1] neg_hi:[0,0,1]
	v_pk_fma_f32 v[112:113], v[112:113], v[102:103], v[116:117] op_sel:[0,0,1] op_sel_hi:[1,0,0]
	v_mov_b32_e32 v119, v113
	v_pk_mul_f32 v[112:113], v[114:115], v[104:105] op_sel:[0,1]
	s_delay_alu instid0(VALU_DEP_2) | instskip(NEXT) | instid1(VALU_DEP_2)
	v_pk_add_f32 v[46:47], v[46:47], v[118:119] neg_lo:[0,1] neg_hi:[0,1]
	v_pk_fma_f32 v[116:117], v[114:115], v[102:103], v[112:113] op_sel:[0,0,1] op_sel_hi:[1,1,0] neg_lo:[0,0,1] neg_hi:[0,0,1]
	v_pk_fma_f32 v[112:113], v[114:115], v[102:103], v[112:113] op_sel:[0,0,1] op_sel_hi:[1,0,0]
	s_delay_alu instid0(VALU_DEP_1) | instskip(SKIP_4) | instid1(VALU_DEP_1)
	v_mov_b32_e32 v117, v113
	ds_load_2addr_b64 v[112:115], v106 offset0:36 offset1:37
	v_pk_add_f32 v[10:11], v[10:11], v[116:117] neg_lo:[0,1] neg_hi:[0,1]
	s_wait_dscnt 0x0
	v_pk_mul_f32 v[116:117], v[112:113], v[104:105] op_sel:[0,1]
	v_pk_fma_f32 v[118:119], v[112:113], v[102:103], v[116:117] op_sel:[0,0,1] op_sel_hi:[1,1,0] neg_lo:[0,0,1] neg_hi:[0,0,1]
	v_pk_fma_f32 v[112:113], v[112:113], v[102:103], v[116:117] op_sel:[0,0,1] op_sel_hi:[1,0,0]
	v_dual_mul_f32 v116, v115, v105 :: v_dual_mov_b32 v112, v115
	s_delay_alu instid0(VALU_DEP_2) | instskip(NEXT) | instid1(VALU_DEP_2)
	v_dual_mov_b32 v119, v113 :: v_dual_mov_b32 v113, v114
	v_pk_fma_f32 v[116:117], v[114:115], v[92:93], v[116:117] op_sel_hi:[1,1,0] neg_lo:[0,0,1] neg_hi:[0,0,1]
	v_mul_f32_e32 v114, v115, v102
	s_delay_alu instid0(VALU_DEP_3) | instskip(NEXT) | instid1(VALU_DEP_2)
	v_pk_add_f32 v[42:43], v[42:43], v[118:119] neg_lo:[0,1] neg_hi:[0,1]
	v_pk_fma_f32 v[112:113], v[112:113], v[92:93], v[114:115] op_sel_hi:[1,1,0]
	s_delay_alu instid0(VALU_DEP_1) | instskip(SKIP_4) | instid1(VALU_DEP_1)
	v_mov_b32_e32 v117, v113
	ds_load_2addr_b64 v[112:115], v106 offset0:38 offset1:39
	v_pk_add_f32 v[38:39], v[38:39], v[116:117] neg_lo:[0,1] neg_hi:[0,1]
	s_wait_dscnt 0x0
	v_pk_mul_f32 v[116:117], v[112:113], v[104:105] op_sel:[0,1]
	v_pk_fma_f32 v[118:119], v[112:113], v[102:103], v[116:117] op_sel:[0,0,1] op_sel_hi:[1,1,0] neg_lo:[0,0,1] neg_hi:[0,0,1]
	v_pk_fma_f32 v[112:113], v[112:113], v[102:103], v[116:117] op_sel:[0,0,1] op_sel_hi:[1,0,0]
	s_delay_alu instid0(VALU_DEP_1) | instskip(SKIP_1) | instid1(VALU_DEP_1)
	v_mov_b32_e32 v119, v113
	v_pk_mul_f32 v[112:113], v[114:115], v[104:105] op_sel:[0,1]
	v_pk_fma_f32 v[116:117], v[114:115], v[102:103], v[112:113] op_sel:[0,0,1] op_sel_hi:[1,1,0] neg_lo:[0,0,1] neg_hi:[0,0,1]
	v_pk_fma_f32 v[112:113], v[114:115], v[102:103], v[112:113] op_sel:[0,0,1] op_sel_hi:[1,0,0]
	s_delay_alu instid0(VALU_DEP_1)
	v_mov_b32_e32 v117, v113
	ds_load_2addr_b64 v[112:115], v106 offset0:40 offset1:41
	v_pk_add_f32 v[40:41], v[40:41], v[118:119] neg_lo:[0,1] neg_hi:[0,1]
	v_pk_add_f32 v[6:7], v[6:7], v[116:117] neg_lo:[0,1] neg_hi:[0,1]
	s_wait_dscnt 0x0
	v_pk_mul_f32 v[116:117], v[112:113], v[104:105] op_sel:[0,1]
	s_delay_alu instid0(VALU_DEP_1) | instskip(SKIP_1) | instid1(VALU_DEP_1)
	v_pk_fma_f32 v[118:119], v[112:113], v[102:103], v[116:117] op_sel:[0,0,1] op_sel_hi:[1,1,0] neg_lo:[0,0,1] neg_hi:[0,0,1]
	v_pk_fma_f32 v[112:113], v[112:113], v[102:103], v[116:117] op_sel:[0,0,1] op_sel_hi:[1,0,0]
	v_mov_b32_e32 v119, v113
	v_pk_mul_f32 v[112:113], v[114:115], v[104:105] op_sel:[0,1]
	s_delay_alu instid0(VALU_DEP_1) | instskip(SKIP_1) | instid1(VALU_DEP_1)
	v_pk_fma_f32 v[116:117], v[114:115], v[102:103], v[112:113] op_sel:[0,0,1] op_sel_hi:[1,1,0] neg_lo:[0,0,1] neg_hi:[0,0,1]
	v_pk_fma_f32 v[112:113], v[114:115], v[102:103], v[112:113] op_sel:[0,0,1] op_sel_hi:[1,0,0]
	v_mov_b32_e32 v117, v113
	ds_load_2addr_b64 v[112:115], v106 offset0:42 offset1:43
	v_pk_add_f32 v[36:37], v[36:37], v[118:119] neg_lo:[0,1] neg_hi:[0,1]
	v_pk_add_f32 v[30:31], v[30:31], v[116:117] neg_lo:[0,1] neg_hi:[0,1]
	s_wait_dscnt 0x0
	v_dual_mul_f32 v116, v113, v105 :: v_dual_mul_f32 v118, v113, v102
	s_delay_alu instid0(VALU_DEP_1) | instskip(NEXT) | instid1(VALU_DEP_2)
	v_pk_fma_f32 v[116:117], v[112:113], v[92:93], v[116:117] op_sel_hi:[1,1,0] neg_lo:[0,0,1] neg_hi:[0,0,1]
	v_pk_fma_f32 v[112:113], v[112:113], v[92:93], v[118:119] op_sel:[1,0,0] op_sel_hi:[0,1,0]
	s_delay_alu instid0(VALU_DEP_1) | instskip(SKIP_1) | instid1(VALU_DEP_2)
	v_mov_b32_e32 v117, v113
	v_pk_mul_f32 v[112:113], v[114:115], v[104:105] op_sel:[0,1]
	v_pk_add_f32 v[34:35], v[34:35], v[116:117] neg_lo:[0,1] neg_hi:[0,1]
	s_delay_alu instid0(VALU_DEP_2) | instskip(SKIP_1) | instid1(VALU_DEP_1)
	v_pk_fma_f32 v[116:117], v[114:115], v[102:103], v[112:113] op_sel:[0,0,1] op_sel_hi:[1,1,0] neg_lo:[0,0,1] neg_hi:[0,0,1]
	v_pk_fma_f32 v[112:113], v[114:115], v[102:103], v[112:113] op_sel:[0,0,1] op_sel_hi:[1,0,0]
	v_mov_b32_e32 v117, v113
	ds_load_2addr_b64 v[112:115], v106 offset0:44 offset1:45
	v_pk_add_f32 v[8:9], v[8:9], v[116:117] neg_lo:[0,1] neg_hi:[0,1]
	s_wait_dscnt 0x0
	v_pk_mul_f32 v[116:117], v[112:113], v[104:105] op_sel:[0,1]
	s_delay_alu instid0(VALU_DEP_1) | instskip(SKIP_1) | instid1(VALU_DEP_1)
	v_pk_fma_f32 v[118:119], v[112:113], v[102:103], v[116:117] op_sel:[0,0,1] op_sel_hi:[1,1,0] neg_lo:[0,0,1] neg_hi:[0,0,1]
	v_pk_fma_f32 v[112:113], v[112:113], v[102:103], v[116:117] op_sel:[0,0,1] op_sel_hi:[1,0,0]
	v_mov_b32_e32 v119, v113
	v_pk_mul_f32 v[112:113], v[114:115], v[104:105] op_sel:[0,1]
	s_delay_alu instid0(VALU_DEP_2) | instskip(NEXT) | instid1(VALU_DEP_2)
	v_pk_add_f32 v[28:29], v[28:29], v[118:119] neg_lo:[0,1] neg_hi:[0,1]
	v_pk_fma_f32 v[116:117], v[114:115], v[102:103], v[112:113] op_sel:[0,0,1] op_sel_hi:[1,1,0] neg_lo:[0,0,1] neg_hi:[0,0,1]
	v_pk_fma_f32 v[112:113], v[114:115], v[102:103], v[112:113] op_sel:[0,0,1] op_sel_hi:[1,0,0]
	s_delay_alu instid0(VALU_DEP_1)
	v_mov_b32_e32 v117, v113
	ds_load_2addr_b64 v[112:115], v106 offset0:46 offset1:47
	v_pk_add_f32 v[18:19], v[18:19], v[116:117] neg_lo:[0,1] neg_hi:[0,1]
	s_wait_dscnt 0x0
	v_pk_mul_f32 v[116:117], v[112:113], v[104:105] op_sel:[0,1]
	v_pk_mul_f32 v[104:105], v[114:115], v[104:105] op_sel:[0,1]
	s_delay_alu instid0(VALU_DEP_2) | instskip(SKIP_1) | instid1(VALU_DEP_1)
	v_pk_fma_f32 v[118:119], v[112:113], v[102:103], v[116:117] op_sel:[0,0,1] op_sel_hi:[1,1,0] neg_lo:[0,0,1] neg_hi:[0,0,1]
	v_pk_fma_f32 v[112:113], v[112:113], v[102:103], v[116:117] op_sel:[0,0,1] op_sel_hi:[1,0,0]
	v_mov_b32_e32 v119, v113
	s_delay_alu instid0(VALU_DEP_4) | instskip(SKIP_1) | instid1(VALU_DEP_3)
	v_pk_fma_f32 v[112:113], v[114:115], v[102:103], v[104:105] op_sel:[0,0,1] op_sel_hi:[1,1,0] neg_lo:[0,0,1] neg_hi:[0,0,1]
	v_pk_fma_f32 v[102:103], v[114:115], v[102:103], v[104:105] op_sel:[0,0,1] op_sel_hi:[1,0,0]
	v_pk_add_f32 v[14:15], v[14:15], v[118:119] neg_lo:[0,1] neg_hi:[0,1]
	s_delay_alu instid0(VALU_DEP_2) | instskip(NEXT) | instid1(VALU_DEP_1)
	v_mov_b32_e32 v113, v103
	v_pk_add_f32 v[100:101], v[100:101], v[112:113] neg_lo:[0,1] neg_hi:[0,1]
.LBB94_83:
	s_or_b32 exec_lo, exec_lo, s0
	v_lshl_add_u32 v102, v110, 3, v106
	s_barrier_signal -1
	s_barrier_wait -1
	ds_store_b64 v102, v[60:61]
	s_wait_dscnt 0x0
	s_barrier_signal -1
	s_barrier_wait -1
	ds_load_b64 v[104:105], v106 offset:32
	v_mov_b32_e32 v102, 4
	s_cmp_lt_i32 s18, 6
	s_cbranch_scc1 .LBB94_86
; %bb.84:
	v_add3_u32 v103, v107, 0, 40
	v_mov_b32_e32 v102, 4
	s_mov_b32 s0, 5
.LBB94_85:                              ; =>This Inner Loop Header: Depth=1
	ds_load_b64 v[112:113], v103
	s_wait_dscnt 0x1
	v_cmp_gt_f32_e32 vcc_lo, 0, v104
	v_cndmask_b32_e64 v114, v104, -v104, vcc_lo
	v_cmp_gt_f32_e32 vcc_lo, 0, v105
	v_cndmask_b32_e64 v116, v105, -v105, vcc_lo
	s_wait_dscnt 0x0
	v_cmp_gt_f32_e32 vcc_lo, 0, v112
	v_cndmask_b32_e64 v115, v112, -v112, vcc_lo
	v_cmp_gt_f32_e32 vcc_lo, 0, v113
	v_cndmask_b32_e64 v117, v113, -v113, vcc_lo
	s_delay_alu instid0(VALU_DEP_1) | instskip(NEXT) | instid1(VALU_DEP_1)
	v_pk_add_f32 v[114:115], v[114:115], v[116:117]
	v_cmp_lt_f32_e32 vcc_lo, v114, v115
	v_dual_add_nc_u32 v103, 8, v103 :: v_dual_cndmask_b32 v105, v105, v113, vcc_lo
	v_cndmask_b32_e32 v104, v104, v112, vcc_lo
	v_cndmask_b32_e64 v102, v102, s0, vcc_lo
	s_add_co_i32 s0, s0, 1
	s_delay_alu instid0(SALU_CYCLE_1)
	s_cmp_lg_u32 s18, s0
	s_cbranch_scc1 .LBB94_85
.LBB94_86:
	s_wait_dscnt 0x0
	v_cmp_eq_f32_e32 vcc_lo, 0, v104
	v_cmp_eq_f32_e64 s0, 0, v105
	s_and_b32 s0, vcc_lo, s0
	s_delay_alu instid0(SALU_CYCLE_1) | instskip(NEXT) | instid1(SALU_CYCLE_1)
	s_and_saveexec_b32 s1, s0
	s_xor_b32 s0, exec_lo, s1
; %bb.87:
	v_cmp_ne_u32_e32 vcc_lo, 0, v108
	v_cndmask_b32_e32 v108, 5, v108, vcc_lo
; %bb.88:
	s_and_not1_saveexec_b32 s0, s0
	s_cbranch_execz .LBB94_94
; %bb.89:
	v_cmp_ngt_f32_e64 s1, |v104|, |v105|
	s_and_saveexec_b32 s12, s1
	s_delay_alu instid0(SALU_CYCLE_1)
	s_xor_b32 s1, exec_lo, s12
	s_cbranch_execz .LBB94_91
; %bb.90:
	v_div_scale_f32 v103, null, v105, v105, v104
	v_div_scale_f32 v113, vcc_lo, v104, v105, v104
	s_delay_alu instid0(VALU_DEP_2) | instskip(SKIP_1) | instid1(TRANS32_DEP_1)
	v_rcp_f32_e32 v111, v103
	v_nop
	v_fma_f32 v112, -v103, v111, 1.0
	s_delay_alu instid0(VALU_DEP_1) | instskip(NEXT) | instid1(VALU_DEP_1)
	v_fmac_f32_e32 v111, v112, v111
	v_mul_f32_e32 v112, v113, v111
	s_delay_alu instid0(VALU_DEP_1) | instskip(NEXT) | instid1(VALU_DEP_1)
	v_fma_f32 v114, -v103, v112, v113
	v_fmac_f32_e32 v112, v114, v111
	s_delay_alu instid0(VALU_DEP_1) | instskip(NEXT) | instid1(VALU_DEP_1)
	v_fma_f32 v103, -v103, v112, v113
	v_div_fmas_f32 v103, v103, v111, v112
	s_delay_alu instid0(VALU_DEP_1) | instskip(NEXT) | instid1(VALU_DEP_1)
	v_div_fixup_f32 v103, v103, v105, v104
	v_fmac_f32_e32 v105, v104, v103
	s_delay_alu instid0(VALU_DEP_1) | instskip(SKIP_1) | instid1(VALU_DEP_2)
	v_div_scale_f32 v104, null, v105, v105, 1.0
	v_div_scale_f32 v113, vcc_lo, 1.0, v105, 1.0
	v_rcp_f32_e32 v111, v104
	v_nop
	s_delay_alu instid0(TRANS32_DEP_1) | instskip(NEXT) | instid1(VALU_DEP_1)
	v_fma_f32 v112, -v104, v111, 1.0
	v_fmac_f32_e32 v111, v112, v111
	s_delay_alu instid0(VALU_DEP_1) | instskip(NEXT) | instid1(VALU_DEP_1)
	v_mul_f32_e32 v112, v113, v111
	v_fma_f32 v114, -v104, v112, v113
	s_delay_alu instid0(VALU_DEP_1) | instskip(NEXT) | instid1(VALU_DEP_1)
	v_fmac_f32_e32 v112, v114, v111
	v_fma_f32 v104, -v104, v112, v113
	s_delay_alu instid0(VALU_DEP_1) | instskip(NEXT) | instid1(VALU_DEP_1)
	v_div_fmas_f32 v104, v104, v111, v112
	v_div_fixup_f32 v105, v104, v105, 1.0
	s_delay_alu instid0(VALU_DEP_1)
	v_mul_f32_e32 v104, v103, v105
	v_xor_b32_e32 v105, 0x80000000, v105
.LBB94_91:
	s_and_not1_saveexec_b32 s1, s1
	s_cbranch_execz .LBB94_93
; %bb.92:
	s_delay_alu instid0(VALU_DEP_1) | instskip(SKIP_1) | instid1(VALU_DEP_2)
	v_div_scale_f32 v103, null, v104, v104, v105
	v_div_scale_f32 v113, vcc_lo, v105, v104, v105
	v_rcp_f32_e32 v111, v103
	v_nop
	s_delay_alu instid0(TRANS32_DEP_1) | instskip(NEXT) | instid1(VALU_DEP_1)
	v_fma_f32 v112, -v103, v111, 1.0
	v_fmac_f32_e32 v111, v112, v111
	s_delay_alu instid0(VALU_DEP_1) | instskip(NEXT) | instid1(VALU_DEP_1)
	v_mul_f32_e32 v112, v113, v111
	v_fma_f32 v114, -v103, v112, v113
	s_delay_alu instid0(VALU_DEP_1) | instskip(NEXT) | instid1(VALU_DEP_1)
	v_fmac_f32_e32 v112, v114, v111
	v_fma_f32 v103, -v103, v112, v113
	s_delay_alu instid0(VALU_DEP_1) | instskip(NEXT) | instid1(VALU_DEP_1)
	v_div_fmas_f32 v103, v103, v111, v112
	v_div_fixup_f32 v103, v103, v104, v105
	s_delay_alu instid0(VALU_DEP_1) | instskip(NEXT) | instid1(VALU_DEP_1)
	v_fmac_f32_e32 v104, v105, v103
	v_div_scale_f32 v105, null, v104, v104, 1.0
	s_delay_alu instid0(VALU_DEP_1) | instskip(SKIP_1) | instid1(TRANS32_DEP_1)
	v_rcp_f32_e32 v111, v105
	v_nop
	v_fma_f32 v112, -v105, v111, 1.0
	s_delay_alu instid0(VALU_DEP_1) | instskip(SKIP_1) | instid1(VALU_DEP_1)
	v_fmac_f32_e32 v111, v112, v111
	v_div_scale_f32 v112, vcc_lo, 1.0, v104, 1.0
	v_mul_f32_e32 v113, v112, v111
	s_delay_alu instid0(VALU_DEP_1) | instskip(NEXT) | instid1(VALU_DEP_1)
	v_fma_f32 v114, -v105, v113, v112
	v_fmac_f32_e32 v113, v114, v111
	s_delay_alu instid0(VALU_DEP_1) | instskip(NEXT) | instid1(VALU_DEP_1)
	v_fma_f32 v105, -v105, v113, v112
	v_div_fmas_f32 v105, v105, v111, v113
	s_delay_alu instid0(VALU_DEP_1) | instskip(NEXT) | instid1(VALU_DEP_1)
	v_div_fixup_f32 v104, v105, v104, 1.0
	v_mul_f32_e64 v105, v103, -v104
.LBB94_93:
	s_or_b32 exec_lo, exec_lo, s1
.LBB94_94:
	s_delay_alu instid0(SALU_CYCLE_1) | instskip(NEXT) | instid1(SALU_CYCLE_1)
	s_or_b32 exec_lo, exec_lo, s0
	s_mov_b32 s0, exec_lo
	v_cmpx_ne_u32_e64 v110, v102
	s_xor_b32 s0, exec_lo, s0
	s_cbranch_execz .LBB94_100
; %bb.95:
	s_mov_b32 s1, exec_lo
	v_cmpx_eq_u32_e32 4, v110
	s_cbranch_execz .LBB94_99
; %bb.96:
	v_cmp_ne_u32_e32 vcc_lo, 4, v102
	s_xor_b32 s12, s16, -1
	s_delay_alu instid0(SALU_CYCLE_1) | instskip(NEXT) | instid1(SALU_CYCLE_1)
	s_and_b32 s13, s12, vcc_lo
	s_and_saveexec_b32 s12, s13
	s_cbranch_execz .LBB94_98
; %bb.97:
	v_ashrrev_i32_e32 v103, 31, v102
	s_delay_alu instid0(VALU_DEP_1)
	v_lshl_add_u64 v[110:111], v[102:103], 2, v[4:5]
	s_clause 0x1
	global_load_b32 v103, v[110:111], off
	global_load_b32 v109, v[4:5], off offset:16
	s_wait_loadcnt 0x1
	global_store_b32 v[4:5], v103, off offset:16
	s_wait_loadcnt 0x0
	global_store_b32 v[110:111], v109, off
.LBB94_98:
	s_wait_xcnt 0x0
	s_or_b32 exec_lo, exec_lo, s12
	v_dual_mov_b32 v110, v102 :: v_dual_mov_b32 v109, v102
.LBB94_99:
	s_or_b32 exec_lo, exec_lo, s1
.LBB94_100:
	s_and_not1_saveexec_b32 s0, s0
	s_cbranch_execz .LBB94_102
; %bb.101:
	v_mov_b32_e32 v110, 4
	ds_store_2addr_b64 v106, v[56:57], v[58:59] offset0:5 offset1:6
	ds_store_2addr_b64 v106, v[16:17], v[90:91] offset0:7 offset1:8
	;; [unrolled: 1-line block ×21, first 2 shown]
	ds_store_b64 v106, v[100:101] offset:376
.LBB94_102:
	s_or_b32 exec_lo, exec_lo, s0
	s_delay_alu instid0(SALU_CYCLE_1)
	s_mov_b32 s0, exec_lo
	s_wait_storecnt_dscnt 0x0
	s_barrier_signal -1
	s_barrier_wait -1
	v_cmpx_lt_i32_e32 4, v110
	s_cbranch_execz .LBB94_104
; %bb.103:
	v_pk_mul_f32 v[112:113], v[104:105], v[60:61] op_sel:[1,1] op_sel_hi:[0,1]
	s_delay_alu instid0(VALU_DEP_1)
	v_pk_fma_f32 v[102:103], v[104:105], v[60:61], v[112:113] op_sel_hi:[1,0,1] neg_lo:[0,0,1] neg_hi:[0,0,1]
	v_pk_fma_f32 v[104:105], v[104:105], v[60:61], v[112:113] op_sel_hi:[1,0,1]
	ds_load_2addr_b64 v[112:115], v106 offset0:5 offset1:6
	v_dual_mov_b32 v60, v102 :: v_dual_mov_b32 v61, v105
	s_wait_dscnt 0x0
	v_pk_mul_f32 v[116:117], v[112:113], v[104:105] op_sel:[0,1]
	s_delay_alu instid0(VALU_DEP_1) | instskip(SKIP_1) | instid1(VALU_DEP_1)
	v_pk_fma_f32 v[118:119], v[112:113], v[102:103], v[116:117] op_sel:[0,0,1] op_sel_hi:[1,1,0] neg_lo:[0,0,1] neg_hi:[0,0,1]
	v_pk_fma_f32 v[112:113], v[112:113], v[102:103], v[116:117] op_sel:[0,0,1] op_sel_hi:[1,0,0]
	v_mov_b32_e32 v119, v113
	v_pk_mul_f32 v[112:113], v[114:115], v[104:105] op_sel:[0,1]
	s_delay_alu instid0(VALU_DEP_1) | instskip(SKIP_1) | instid1(VALU_DEP_1)
	v_pk_fma_f32 v[116:117], v[114:115], v[102:103], v[112:113] op_sel:[0,0,1] op_sel_hi:[1,1,0] neg_lo:[0,0,1] neg_hi:[0,0,1]
	v_pk_fma_f32 v[112:113], v[114:115], v[102:103], v[112:113] op_sel:[0,0,1] op_sel_hi:[1,0,0]
	v_mov_b32_e32 v117, v113
	ds_load_2addr_b64 v[112:115], v106 offset0:7 offset1:8
	v_pk_add_f32 v[56:57], v[56:57], v[118:119] neg_lo:[0,1] neg_hi:[0,1]
	v_pk_add_f32 v[58:59], v[58:59], v[116:117] neg_lo:[0,1] neg_hi:[0,1]
	s_wait_dscnt 0x0
	v_pk_mul_f32 v[116:117], v[112:113], v[104:105] op_sel:[0,1]
	s_delay_alu instid0(VALU_DEP_1) | instskip(SKIP_2) | instid1(VALU_DEP_2)
	v_pk_fma_f32 v[118:119], v[112:113], v[102:103], v[116:117] op_sel:[0,0,1] op_sel_hi:[1,1,0] neg_lo:[0,0,1] neg_hi:[0,0,1]
	v_pk_fma_f32 v[112:113], v[112:113], v[102:103], v[116:117] op_sel:[0,0,1] op_sel_hi:[1,0,0]
	v_dual_mul_f32 v116, v115, v105 :: v_dual_mov_b32 v112, v115
	v_dual_mov_b32 v119, v113 :: v_dual_mov_b32 v113, v114
	s_delay_alu instid0(VALU_DEP_2) | instskip(SKIP_1) | instid1(VALU_DEP_3)
	v_pk_fma_f32 v[116:117], v[114:115], v[60:61], v[116:117] op_sel_hi:[1,1,0] neg_lo:[0,0,1] neg_hi:[0,0,1]
	v_mul_f32_e32 v114, v115, v102
	v_pk_add_f32 v[16:17], v[16:17], v[118:119] neg_lo:[0,1] neg_hi:[0,1]
	s_delay_alu instid0(VALU_DEP_2) | instskip(NEXT) | instid1(VALU_DEP_1)
	v_pk_fma_f32 v[112:113], v[112:113], v[60:61], v[114:115] op_sel_hi:[1,1,0]
	v_mov_b32_e32 v117, v113
	ds_load_2addr_b64 v[112:115], v106 offset0:9 offset1:10
	v_pk_add_f32 v[90:91], v[90:91], v[116:117] neg_lo:[0,1] neg_hi:[0,1]
	s_wait_dscnt 0x0
	v_pk_mul_f32 v[116:117], v[112:113], v[104:105] op_sel:[0,1]
	s_delay_alu instid0(VALU_DEP_1) | instskip(SKIP_1) | instid1(VALU_DEP_1)
	v_pk_fma_f32 v[118:119], v[112:113], v[102:103], v[116:117] op_sel:[0,0,1] op_sel_hi:[1,1,0] neg_lo:[0,0,1] neg_hi:[0,0,1]
	v_pk_fma_f32 v[112:113], v[112:113], v[102:103], v[116:117] op_sel:[0,0,1] op_sel_hi:[1,0,0]
	v_mov_b32_e32 v119, v113
	v_pk_mul_f32 v[112:113], v[114:115], v[104:105] op_sel:[0,1]
	s_delay_alu instid0(VALU_DEP_1) | instskip(SKIP_1) | instid1(VALU_DEP_1)
	v_pk_fma_f32 v[116:117], v[114:115], v[102:103], v[112:113] op_sel:[0,0,1] op_sel_hi:[1,1,0] neg_lo:[0,0,1] neg_hi:[0,0,1]
	v_pk_fma_f32 v[112:113], v[114:115], v[102:103], v[112:113] op_sel:[0,0,1] op_sel_hi:[1,0,0]
	v_mov_b32_e32 v117, v113
	ds_load_2addr_b64 v[112:115], v106 offset0:11 offset1:12
	v_pk_add_f32 v[86:87], v[86:87], v[118:119] neg_lo:[0,1] neg_hi:[0,1]
	v_pk_add_f32 v[88:89], v[88:89], v[116:117] neg_lo:[0,1] neg_hi:[0,1]
	s_wait_dscnt 0x0
	v_pk_mul_f32 v[116:117], v[112:113], v[104:105] op_sel:[0,1]
	s_delay_alu instid0(VALU_DEP_1) | instskip(SKIP_1) | instid1(VALU_DEP_1)
	v_pk_fma_f32 v[118:119], v[112:113], v[102:103], v[116:117] op_sel:[0,0,1] op_sel_hi:[1,1,0] neg_lo:[0,0,1] neg_hi:[0,0,1]
	v_pk_fma_f32 v[112:113], v[112:113], v[102:103], v[116:117] op_sel:[0,0,1] op_sel_hi:[1,0,0]
	v_mov_b32_e32 v119, v113
	v_pk_mul_f32 v[112:113], v[114:115], v[104:105] op_sel:[0,1]
	s_delay_alu instid0(VALU_DEP_1) | instskip(SKIP_1) | instid1(VALU_DEP_1)
	v_pk_fma_f32 v[116:117], v[114:115], v[102:103], v[112:113] op_sel:[0,0,1] op_sel_hi:[1,1,0] neg_lo:[0,0,1] neg_hi:[0,0,1]
	v_pk_fma_f32 v[112:113], v[114:115], v[102:103], v[112:113] op_sel:[0,0,1] op_sel_hi:[1,0,0]
	v_mov_b32_e32 v117, v113
	ds_load_2addr_b64 v[112:115], v106 offset0:13 offset1:14
	v_pk_add_f32 v[32:33], v[32:33], v[118:119] neg_lo:[0,1] neg_hi:[0,1]
	v_pk_add_f32 v[84:85], v[84:85], v[116:117] neg_lo:[0,1] neg_hi:[0,1]
	s_wait_dscnt 0x0
	v_dual_mul_f32 v116, v113, v105 :: v_dual_mul_f32 v118, v113, v102
	s_delay_alu instid0(VALU_DEP_1) | instskip(NEXT) | instid1(VALU_DEP_2)
	v_pk_fma_f32 v[116:117], v[112:113], v[60:61], v[116:117] op_sel_hi:[1,1,0] neg_lo:[0,0,1] neg_hi:[0,0,1]
	v_pk_fma_f32 v[112:113], v[112:113], v[60:61], v[118:119] op_sel:[1,0,0] op_sel_hi:[0,1,0]
	s_delay_alu instid0(VALU_DEP_1) | instskip(SKIP_1) | instid1(VALU_DEP_2)
	v_mov_b32_e32 v117, v113
	v_pk_mul_f32 v[112:113], v[114:115], v[104:105] op_sel:[0,1]
	v_pk_add_f32 v[80:81], v[80:81], v[116:117] neg_lo:[0,1] neg_hi:[0,1]
	s_delay_alu instid0(VALU_DEP_2) | instskip(SKIP_1) | instid1(VALU_DEP_1)
	v_pk_fma_f32 v[116:117], v[114:115], v[102:103], v[112:113] op_sel:[0,0,1] op_sel_hi:[1,1,0] neg_lo:[0,0,1] neg_hi:[0,0,1]
	v_pk_fma_f32 v[112:113], v[114:115], v[102:103], v[112:113] op_sel:[0,0,1] op_sel_hi:[1,0,0]
	v_mov_b32_e32 v117, v113
	ds_load_2addr_b64 v[112:115], v106 offset0:15 offset1:16
	v_pk_add_f32 v[82:83], v[82:83], v[116:117] neg_lo:[0,1] neg_hi:[0,1]
	s_wait_dscnt 0x0
	v_pk_mul_f32 v[116:117], v[112:113], v[104:105] op_sel:[0,1]
	s_delay_alu instid0(VALU_DEP_1) | instskip(SKIP_1) | instid1(VALU_DEP_1)
	v_pk_fma_f32 v[118:119], v[112:113], v[102:103], v[116:117] op_sel:[0,0,1] op_sel_hi:[1,1,0] neg_lo:[0,0,1] neg_hi:[0,0,1]
	v_pk_fma_f32 v[112:113], v[112:113], v[102:103], v[116:117] op_sel:[0,0,1] op_sel_hi:[1,0,0]
	v_mov_b32_e32 v119, v113
	v_pk_mul_f32 v[112:113], v[114:115], v[104:105] op_sel:[0,1]
	s_delay_alu instid0(VALU_DEP_2) | instskip(NEXT) | instid1(VALU_DEP_2)
	v_pk_add_f32 v[26:27], v[26:27], v[118:119] neg_lo:[0,1] neg_hi:[0,1]
	v_pk_fma_f32 v[116:117], v[114:115], v[102:103], v[112:113] op_sel:[0,0,1] op_sel_hi:[1,1,0] neg_lo:[0,0,1] neg_hi:[0,0,1]
	v_pk_fma_f32 v[112:113], v[114:115], v[102:103], v[112:113] op_sel:[0,0,1] op_sel_hi:[1,0,0]
	s_delay_alu instid0(VALU_DEP_1) | instskip(SKIP_4) | instid1(VALU_DEP_1)
	v_mov_b32_e32 v117, v113
	ds_load_2addr_b64 v[112:115], v106 offset0:17 offset1:18
	v_pk_add_f32 v[78:79], v[78:79], v[116:117] neg_lo:[0,1] neg_hi:[0,1]
	s_wait_dscnt 0x0
	v_pk_mul_f32 v[116:117], v[112:113], v[104:105] op_sel:[0,1]
	v_pk_fma_f32 v[118:119], v[112:113], v[102:103], v[116:117] op_sel:[0,0,1] op_sel_hi:[1,1,0] neg_lo:[0,0,1] neg_hi:[0,0,1]
	v_pk_fma_f32 v[112:113], v[112:113], v[102:103], v[116:117] op_sel:[0,0,1] op_sel_hi:[1,0,0]
	v_dual_mul_f32 v116, v115, v105 :: v_dual_mov_b32 v112, v115
	s_delay_alu instid0(VALU_DEP_2) | instskip(NEXT) | instid1(VALU_DEP_2)
	v_dual_mov_b32 v119, v113 :: v_dual_mov_b32 v113, v114
	v_pk_fma_f32 v[116:117], v[114:115], v[60:61], v[116:117] op_sel_hi:[1,1,0] neg_lo:[0,0,1] neg_hi:[0,0,1]
	v_mul_f32_e32 v114, v115, v102
	s_delay_alu instid0(VALU_DEP_3) | instskip(NEXT) | instid1(VALU_DEP_2)
	v_pk_add_f32 v[74:75], v[74:75], v[118:119] neg_lo:[0,1] neg_hi:[0,1]
	v_pk_fma_f32 v[112:113], v[112:113], v[60:61], v[114:115] op_sel_hi:[1,1,0]
	s_delay_alu instid0(VALU_DEP_1) | instskip(SKIP_4) | instid1(VALU_DEP_1)
	v_mov_b32_e32 v117, v113
	ds_load_2addr_b64 v[112:115], v106 offset0:19 offset1:20
	v_pk_add_f32 v[76:77], v[76:77], v[116:117] neg_lo:[0,1] neg_hi:[0,1]
	s_wait_dscnt 0x0
	v_pk_mul_f32 v[116:117], v[112:113], v[104:105] op_sel:[0,1]
	v_pk_fma_f32 v[118:119], v[112:113], v[102:103], v[116:117] op_sel:[0,0,1] op_sel_hi:[1,1,0] neg_lo:[0,0,1] neg_hi:[0,0,1]
	v_pk_fma_f32 v[112:113], v[112:113], v[102:103], v[116:117] op_sel:[0,0,1] op_sel_hi:[1,0,0]
	s_delay_alu instid0(VALU_DEP_1) | instskip(SKIP_1) | instid1(VALU_DEP_1)
	v_mov_b32_e32 v119, v113
	v_pk_mul_f32 v[112:113], v[114:115], v[104:105] op_sel:[0,1]
	v_pk_fma_f32 v[116:117], v[114:115], v[102:103], v[112:113] op_sel:[0,0,1] op_sel_hi:[1,1,0] neg_lo:[0,0,1] neg_hi:[0,0,1]
	v_pk_fma_f32 v[112:113], v[114:115], v[102:103], v[112:113] op_sel:[0,0,1] op_sel_hi:[1,0,0]
	s_delay_alu instid0(VALU_DEP_1)
	v_mov_b32_e32 v117, v113
	ds_load_2addr_b64 v[112:115], v106 offset0:21 offset1:22
	v_pk_add_f32 v[24:25], v[24:25], v[118:119] neg_lo:[0,1] neg_hi:[0,1]
	v_pk_add_f32 v[72:73], v[72:73], v[116:117] neg_lo:[0,1] neg_hi:[0,1]
	s_wait_dscnt 0x0
	v_pk_mul_f32 v[116:117], v[112:113], v[104:105] op_sel:[0,1]
	s_delay_alu instid0(VALU_DEP_1) | instskip(SKIP_1) | instid1(VALU_DEP_1)
	v_pk_fma_f32 v[118:119], v[112:113], v[102:103], v[116:117] op_sel:[0,0,1] op_sel_hi:[1,1,0] neg_lo:[0,0,1] neg_hi:[0,0,1]
	v_pk_fma_f32 v[112:113], v[112:113], v[102:103], v[116:117] op_sel:[0,0,1] op_sel_hi:[1,0,0]
	v_mov_b32_e32 v119, v113
	v_pk_mul_f32 v[112:113], v[114:115], v[104:105] op_sel:[0,1]
	s_delay_alu instid0(VALU_DEP_1) | instskip(SKIP_1) | instid1(VALU_DEP_1)
	v_pk_fma_f32 v[116:117], v[114:115], v[102:103], v[112:113] op_sel:[0,0,1] op_sel_hi:[1,1,0] neg_lo:[0,0,1] neg_hi:[0,0,1]
	v_pk_fma_f32 v[112:113], v[114:115], v[102:103], v[112:113] op_sel:[0,0,1] op_sel_hi:[1,0,0]
	v_mov_b32_e32 v117, v113
	ds_load_2addr_b64 v[112:115], v106 offset0:23 offset1:24
	v_pk_add_f32 v[68:69], v[68:69], v[118:119] neg_lo:[0,1] neg_hi:[0,1]
	v_pk_add_f32 v[70:71], v[70:71], v[116:117] neg_lo:[0,1] neg_hi:[0,1]
	s_wait_dscnt 0x0
	v_dual_mul_f32 v116, v113, v105 :: v_dual_mul_f32 v118, v113, v102
	s_delay_alu instid0(VALU_DEP_1) | instskip(NEXT) | instid1(VALU_DEP_2)
	v_pk_fma_f32 v[116:117], v[112:113], v[60:61], v[116:117] op_sel_hi:[1,1,0] neg_lo:[0,0,1] neg_hi:[0,0,1]
	v_pk_fma_f32 v[112:113], v[112:113], v[60:61], v[118:119] op_sel:[1,0,0] op_sel_hi:[0,1,0]
	s_delay_alu instid0(VALU_DEP_1) | instskip(SKIP_1) | instid1(VALU_DEP_2)
	v_mov_b32_e32 v117, v113
	v_pk_mul_f32 v[112:113], v[114:115], v[104:105] op_sel:[0,1]
	v_pk_add_f32 v[22:23], v[22:23], v[116:117] neg_lo:[0,1] neg_hi:[0,1]
	s_delay_alu instid0(VALU_DEP_2) | instskip(SKIP_1) | instid1(VALU_DEP_1)
	v_pk_fma_f32 v[116:117], v[114:115], v[102:103], v[112:113] op_sel:[0,0,1] op_sel_hi:[1,1,0] neg_lo:[0,0,1] neg_hi:[0,0,1]
	v_pk_fma_f32 v[112:113], v[114:115], v[102:103], v[112:113] op_sel:[0,0,1] op_sel_hi:[1,0,0]
	v_mov_b32_e32 v117, v113
	ds_load_2addr_b64 v[112:115], v106 offset0:25 offset1:26
	v_pk_add_f32 v[66:67], v[66:67], v[116:117] neg_lo:[0,1] neg_hi:[0,1]
	s_wait_dscnt 0x0
	v_pk_mul_f32 v[116:117], v[112:113], v[104:105] op_sel:[0,1]
	s_delay_alu instid0(VALU_DEP_1) | instskip(SKIP_1) | instid1(VALU_DEP_1)
	v_pk_fma_f32 v[118:119], v[112:113], v[102:103], v[116:117] op_sel:[0,0,1] op_sel_hi:[1,1,0] neg_lo:[0,0,1] neg_hi:[0,0,1]
	v_pk_fma_f32 v[112:113], v[112:113], v[102:103], v[116:117] op_sel:[0,0,1] op_sel_hi:[1,0,0]
	v_mov_b32_e32 v119, v113
	v_pk_mul_f32 v[112:113], v[114:115], v[104:105] op_sel:[0,1]
	s_delay_alu instid0(VALU_DEP_2) | instskip(NEXT) | instid1(VALU_DEP_2)
	v_pk_add_f32 v[62:63], v[62:63], v[118:119] neg_lo:[0,1] neg_hi:[0,1]
	v_pk_fma_f32 v[116:117], v[114:115], v[102:103], v[112:113] op_sel:[0,0,1] op_sel_hi:[1,1,0] neg_lo:[0,0,1] neg_hi:[0,0,1]
	v_pk_fma_f32 v[112:113], v[114:115], v[102:103], v[112:113] op_sel:[0,0,1] op_sel_hi:[1,0,0]
	s_delay_alu instid0(VALU_DEP_1) | instskip(SKIP_4) | instid1(VALU_DEP_1)
	v_mov_b32_e32 v117, v113
	ds_load_2addr_b64 v[112:115], v106 offset0:27 offset1:28
	v_pk_add_f32 v[64:65], v[64:65], v[116:117] neg_lo:[0,1] neg_hi:[0,1]
	s_wait_dscnt 0x0
	v_pk_mul_f32 v[116:117], v[112:113], v[104:105] op_sel:[0,1]
	v_pk_fma_f32 v[118:119], v[112:113], v[102:103], v[116:117] op_sel:[0,0,1] op_sel_hi:[1,1,0] neg_lo:[0,0,1] neg_hi:[0,0,1]
	v_pk_fma_f32 v[112:113], v[112:113], v[102:103], v[116:117] op_sel:[0,0,1] op_sel_hi:[1,0,0]
	v_dual_mul_f32 v116, v115, v105 :: v_dual_mov_b32 v112, v115
	s_delay_alu instid0(VALU_DEP_2) | instskip(NEXT) | instid1(VALU_DEP_2)
	v_dual_mov_b32 v119, v113 :: v_dual_mov_b32 v113, v114
	v_pk_fma_f32 v[116:117], v[114:115], v[60:61], v[116:117] op_sel_hi:[1,1,0] neg_lo:[0,0,1] neg_hi:[0,0,1]
	v_mul_f32_e32 v114, v115, v102
	s_delay_alu instid0(VALU_DEP_3) | instskip(NEXT) | instid1(VALU_DEP_2)
	v_pk_add_f32 v[20:21], v[20:21], v[118:119] neg_lo:[0,1] neg_hi:[0,1]
	v_pk_fma_f32 v[112:113], v[112:113], v[60:61], v[114:115] op_sel_hi:[1,1,0]
	s_delay_alu instid0(VALU_DEP_1) | instskip(SKIP_4) | instid1(VALU_DEP_1)
	v_mov_b32_e32 v117, v113
	ds_load_2addr_b64 v[112:115], v106 offset0:29 offset1:30
	v_pk_add_f32 v[54:55], v[54:55], v[116:117] neg_lo:[0,1] neg_hi:[0,1]
	s_wait_dscnt 0x0
	v_pk_mul_f32 v[116:117], v[112:113], v[104:105] op_sel:[0,1]
	v_pk_fma_f32 v[118:119], v[112:113], v[102:103], v[116:117] op_sel:[0,0,1] op_sel_hi:[1,1,0] neg_lo:[0,0,1] neg_hi:[0,0,1]
	v_pk_fma_f32 v[112:113], v[112:113], v[102:103], v[116:117] op_sel:[0,0,1] op_sel_hi:[1,0,0]
	s_delay_alu instid0(VALU_DEP_1) | instskip(SKIP_1) | instid1(VALU_DEP_1)
	v_mov_b32_e32 v119, v113
	v_pk_mul_f32 v[112:113], v[114:115], v[104:105] op_sel:[0,1]
	v_pk_fma_f32 v[116:117], v[114:115], v[102:103], v[112:113] op_sel:[0,0,1] op_sel_hi:[1,1,0] neg_lo:[0,0,1] neg_hi:[0,0,1]
	v_pk_fma_f32 v[112:113], v[114:115], v[102:103], v[112:113] op_sel:[0,0,1] op_sel_hi:[1,0,0]
	s_delay_alu instid0(VALU_DEP_1)
	v_mov_b32_e32 v117, v113
	ds_load_2addr_b64 v[112:115], v106 offset0:31 offset1:32
	v_pk_add_f32 v[50:51], v[50:51], v[118:119] neg_lo:[0,1] neg_hi:[0,1]
	v_pk_add_f32 v[52:53], v[52:53], v[116:117] neg_lo:[0,1] neg_hi:[0,1]
	s_wait_dscnt 0x0
	v_pk_mul_f32 v[116:117], v[112:113], v[104:105] op_sel:[0,1]
	s_delay_alu instid0(VALU_DEP_1) | instskip(SKIP_1) | instid1(VALU_DEP_1)
	v_pk_fma_f32 v[118:119], v[112:113], v[102:103], v[116:117] op_sel:[0,0,1] op_sel_hi:[1,1,0] neg_lo:[0,0,1] neg_hi:[0,0,1]
	v_pk_fma_f32 v[112:113], v[112:113], v[102:103], v[116:117] op_sel:[0,0,1] op_sel_hi:[1,0,0]
	v_mov_b32_e32 v119, v113
	v_pk_mul_f32 v[112:113], v[114:115], v[104:105] op_sel:[0,1]
	s_delay_alu instid0(VALU_DEP_1) | instskip(SKIP_1) | instid1(VALU_DEP_1)
	v_pk_fma_f32 v[116:117], v[114:115], v[102:103], v[112:113] op_sel:[0,0,1] op_sel_hi:[1,1,0] neg_lo:[0,0,1] neg_hi:[0,0,1]
	v_pk_fma_f32 v[112:113], v[114:115], v[102:103], v[112:113] op_sel:[0,0,1] op_sel_hi:[1,0,0]
	v_mov_b32_e32 v117, v113
	ds_load_2addr_b64 v[112:115], v106 offset0:33 offset1:34
	v_pk_add_f32 v[12:13], v[12:13], v[118:119] neg_lo:[0,1] neg_hi:[0,1]
	v_pk_add_f32 v[48:49], v[48:49], v[116:117] neg_lo:[0,1] neg_hi:[0,1]
	s_wait_dscnt 0x0
	v_dual_mul_f32 v116, v113, v105 :: v_dual_mul_f32 v118, v113, v102
	s_delay_alu instid0(VALU_DEP_1) | instskip(NEXT) | instid1(VALU_DEP_2)
	v_pk_fma_f32 v[116:117], v[112:113], v[60:61], v[116:117] op_sel_hi:[1,1,0] neg_lo:[0,0,1] neg_hi:[0,0,1]
	v_pk_fma_f32 v[112:113], v[112:113], v[60:61], v[118:119] op_sel:[1,0,0] op_sel_hi:[0,1,0]
	s_delay_alu instid0(VALU_DEP_1) | instskip(SKIP_1) | instid1(VALU_DEP_2)
	v_mov_b32_e32 v117, v113
	v_pk_mul_f32 v[112:113], v[114:115], v[104:105] op_sel:[0,1]
	v_pk_add_f32 v[44:45], v[44:45], v[116:117] neg_lo:[0,1] neg_hi:[0,1]
	s_delay_alu instid0(VALU_DEP_2) | instskip(SKIP_1) | instid1(VALU_DEP_1)
	v_pk_fma_f32 v[116:117], v[114:115], v[102:103], v[112:113] op_sel:[0,0,1] op_sel_hi:[1,1,0] neg_lo:[0,0,1] neg_hi:[0,0,1]
	v_pk_fma_f32 v[112:113], v[114:115], v[102:103], v[112:113] op_sel:[0,0,1] op_sel_hi:[1,0,0]
	v_mov_b32_e32 v117, v113
	ds_load_2addr_b64 v[112:115], v106 offset0:35 offset1:36
	v_pk_add_f32 v[46:47], v[46:47], v[116:117] neg_lo:[0,1] neg_hi:[0,1]
	s_wait_dscnt 0x0
	v_pk_mul_f32 v[116:117], v[112:113], v[104:105] op_sel:[0,1]
	s_delay_alu instid0(VALU_DEP_1) | instskip(SKIP_1) | instid1(VALU_DEP_1)
	v_pk_fma_f32 v[118:119], v[112:113], v[102:103], v[116:117] op_sel:[0,0,1] op_sel_hi:[1,1,0] neg_lo:[0,0,1] neg_hi:[0,0,1]
	v_pk_fma_f32 v[112:113], v[112:113], v[102:103], v[116:117] op_sel:[0,0,1] op_sel_hi:[1,0,0]
	v_mov_b32_e32 v119, v113
	v_pk_mul_f32 v[112:113], v[114:115], v[104:105] op_sel:[0,1]
	s_delay_alu instid0(VALU_DEP_2) | instskip(NEXT) | instid1(VALU_DEP_2)
	v_pk_add_f32 v[10:11], v[10:11], v[118:119] neg_lo:[0,1] neg_hi:[0,1]
	v_pk_fma_f32 v[116:117], v[114:115], v[102:103], v[112:113] op_sel:[0,0,1] op_sel_hi:[1,1,0] neg_lo:[0,0,1] neg_hi:[0,0,1]
	v_pk_fma_f32 v[112:113], v[114:115], v[102:103], v[112:113] op_sel:[0,0,1] op_sel_hi:[1,0,0]
	s_delay_alu instid0(VALU_DEP_1) | instskip(SKIP_4) | instid1(VALU_DEP_1)
	v_mov_b32_e32 v117, v113
	ds_load_2addr_b64 v[112:115], v106 offset0:37 offset1:38
	v_pk_add_f32 v[42:43], v[42:43], v[116:117] neg_lo:[0,1] neg_hi:[0,1]
	s_wait_dscnt 0x0
	v_pk_mul_f32 v[116:117], v[112:113], v[104:105] op_sel:[0,1]
	v_pk_fma_f32 v[118:119], v[112:113], v[102:103], v[116:117] op_sel:[0,0,1] op_sel_hi:[1,1,0] neg_lo:[0,0,1] neg_hi:[0,0,1]
	v_pk_fma_f32 v[112:113], v[112:113], v[102:103], v[116:117] op_sel:[0,0,1] op_sel_hi:[1,0,0]
	v_dual_mul_f32 v116, v115, v105 :: v_dual_mov_b32 v112, v115
	s_delay_alu instid0(VALU_DEP_2) | instskip(NEXT) | instid1(VALU_DEP_2)
	v_dual_mov_b32 v119, v113 :: v_dual_mov_b32 v113, v114
	v_pk_fma_f32 v[116:117], v[114:115], v[60:61], v[116:117] op_sel_hi:[1,1,0] neg_lo:[0,0,1] neg_hi:[0,0,1]
	v_mul_f32_e32 v114, v115, v102
	s_delay_alu instid0(VALU_DEP_3) | instskip(NEXT) | instid1(VALU_DEP_2)
	v_pk_add_f32 v[38:39], v[38:39], v[118:119] neg_lo:[0,1] neg_hi:[0,1]
	v_pk_fma_f32 v[112:113], v[112:113], v[60:61], v[114:115] op_sel_hi:[1,1,0]
	s_delay_alu instid0(VALU_DEP_1) | instskip(SKIP_4) | instid1(VALU_DEP_1)
	v_mov_b32_e32 v117, v113
	ds_load_2addr_b64 v[112:115], v106 offset0:39 offset1:40
	v_pk_add_f32 v[40:41], v[40:41], v[116:117] neg_lo:[0,1] neg_hi:[0,1]
	s_wait_dscnt 0x0
	v_pk_mul_f32 v[116:117], v[112:113], v[104:105] op_sel:[0,1]
	v_pk_fma_f32 v[118:119], v[112:113], v[102:103], v[116:117] op_sel:[0,0,1] op_sel_hi:[1,1,0] neg_lo:[0,0,1] neg_hi:[0,0,1]
	v_pk_fma_f32 v[112:113], v[112:113], v[102:103], v[116:117] op_sel:[0,0,1] op_sel_hi:[1,0,0]
	s_delay_alu instid0(VALU_DEP_1) | instskip(SKIP_1) | instid1(VALU_DEP_1)
	v_mov_b32_e32 v119, v113
	v_pk_mul_f32 v[112:113], v[114:115], v[104:105] op_sel:[0,1]
	v_pk_fma_f32 v[116:117], v[114:115], v[102:103], v[112:113] op_sel:[0,0,1] op_sel_hi:[1,1,0] neg_lo:[0,0,1] neg_hi:[0,0,1]
	v_pk_fma_f32 v[112:113], v[114:115], v[102:103], v[112:113] op_sel:[0,0,1] op_sel_hi:[1,0,0]
	s_delay_alu instid0(VALU_DEP_1)
	v_mov_b32_e32 v117, v113
	ds_load_2addr_b64 v[112:115], v106 offset0:41 offset1:42
	v_pk_add_f32 v[6:7], v[6:7], v[118:119] neg_lo:[0,1] neg_hi:[0,1]
	v_pk_add_f32 v[36:37], v[36:37], v[116:117] neg_lo:[0,1] neg_hi:[0,1]
	s_wait_dscnt 0x0
	v_pk_mul_f32 v[116:117], v[112:113], v[104:105] op_sel:[0,1]
	s_delay_alu instid0(VALU_DEP_1) | instskip(SKIP_1) | instid1(VALU_DEP_1)
	v_pk_fma_f32 v[118:119], v[112:113], v[102:103], v[116:117] op_sel:[0,0,1] op_sel_hi:[1,1,0] neg_lo:[0,0,1] neg_hi:[0,0,1]
	v_pk_fma_f32 v[112:113], v[112:113], v[102:103], v[116:117] op_sel:[0,0,1] op_sel_hi:[1,0,0]
	v_mov_b32_e32 v119, v113
	v_pk_mul_f32 v[112:113], v[114:115], v[104:105] op_sel:[0,1]
	s_delay_alu instid0(VALU_DEP_1) | instskip(SKIP_1) | instid1(VALU_DEP_1)
	v_pk_fma_f32 v[116:117], v[114:115], v[102:103], v[112:113] op_sel:[0,0,1] op_sel_hi:[1,1,0] neg_lo:[0,0,1] neg_hi:[0,0,1]
	v_pk_fma_f32 v[112:113], v[114:115], v[102:103], v[112:113] op_sel:[0,0,1] op_sel_hi:[1,0,0]
	v_mov_b32_e32 v117, v113
	ds_load_2addr_b64 v[112:115], v106 offset0:43 offset1:44
	v_pk_add_f32 v[30:31], v[30:31], v[118:119] neg_lo:[0,1] neg_hi:[0,1]
	v_pk_add_f32 v[34:35], v[34:35], v[116:117] neg_lo:[0,1] neg_hi:[0,1]
	s_wait_dscnt 0x0
	v_dual_mul_f32 v116, v113, v105 :: v_dual_mul_f32 v118, v113, v102
	s_delay_alu instid0(VALU_DEP_1) | instskip(NEXT) | instid1(VALU_DEP_2)
	v_pk_fma_f32 v[116:117], v[112:113], v[60:61], v[116:117] op_sel_hi:[1,1,0] neg_lo:[0,0,1] neg_hi:[0,0,1]
	v_pk_fma_f32 v[112:113], v[112:113], v[60:61], v[118:119] op_sel:[1,0,0] op_sel_hi:[0,1,0]
	s_delay_alu instid0(VALU_DEP_1) | instskip(SKIP_1) | instid1(VALU_DEP_2)
	v_mov_b32_e32 v117, v113
	v_pk_mul_f32 v[112:113], v[114:115], v[104:105] op_sel:[0,1]
	v_pk_add_f32 v[8:9], v[8:9], v[116:117] neg_lo:[0,1] neg_hi:[0,1]
	s_delay_alu instid0(VALU_DEP_2) | instskip(SKIP_1) | instid1(VALU_DEP_1)
	v_pk_fma_f32 v[116:117], v[114:115], v[102:103], v[112:113] op_sel:[0,0,1] op_sel_hi:[1,1,0] neg_lo:[0,0,1] neg_hi:[0,0,1]
	v_pk_fma_f32 v[112:113], v[114:115], v[102:103], v[112:113] op_sel:[0,0,1] op_sel_hi:[1,0,0]
	v_mov_b32_e32 v117, v113
	ds_load_2addr_b64 v[112:115], v106 offset0:45 offset1:46
	v_pk_add_f32 v[28:29], v[28:29], v[116:117] neg_lo:[0,1] neg_hi:[0,1]
	s_wait_dscnt 0x0
	v_pk_mul_f32 v[116:117], v[112:113], v[104:105] op_sel:[0,1]
	s_delay_alu instid0(VALU_DEP_1) | instskip(SKIP_1) | instid1(VALU_DEP_1)
	v_pk_fma_f32 v[118:119], v[112:113], v[102:103], v[116:117] op_sel:[0,0,1] op_sel_hi:[1,1,0] neg_lo:[0,0,1] neg_hi:[0,0,1]
	v_pk_fma_f32 v[112:113], v[112:113], v[102:103], v[116:117] op_sel:[0,0,1] op_sel_hi:[1,0,0]
	v_mov_b32_e32 v119, v113
	v_pk_mul_f32 v[112:113], v[114:115], v[104:105] op_sel:[0,1]
	s_delay_alu instid0(VALU_DEP_2) | instskip(NEXT) | instid1(VALU_DEP_2)
	v_pk_add_f32 v[18:19], v[18:19], v[118:119] neg_lo:[0,1] neg_hi:[0,1]
	v_pk_fma_f32 v[116:117], v[114:115], v[102:103], v[112:113] op_sel:[0,0,1] op_sel_hi:[1,1,0] neg_lo:[0,0,1] neg_hi:[0,0,1]
	v_pk_fma_f32 v[112:113], v[114:115], v[102:103], v[112:113] op_sel:[0,0,1] op_sel_hi:[1,0,0]
	s_delay_alu instid0(VALU_DEP_1) | instskip(SKIP_4) | instid1(VALU_DEP_1)
	v_mov_b32_e32 v117, v113
	ds_load_b64 v[112:113], v106 offset:376
	v_pk_add_f32 v[14:15], v[14:15], v[116:117] neg_lo:[0,1] neg_hi:[0,1]
	s_wait_dscnt 0x0
	v_pk_mul_f32 v[104:105], v[112:113], v[104:105] op_sel:[0,1]
	v_pk_fma_f32 v[114:115], v[112:113], v[102:103], v[104:105] op_sel:[0,0,1] op_sel_hi:[1,1,0] neg_lo:[0,0,1] neg_hi:[0,0,1]
	v_pk_fma_f32 v[102:103], v[112:113], v[102:103], v[104:105] op_sel:[0,0,1] op_sel_hi:[1,0,0]
	s_delay_alu instid0(VALU_DEP_1) | instskip(NEXT) | instid1(VALU_DEP_1)
	v_mov_b32_e32 v115, v103
	v_pk_add_f32 v[100:101], v[100:101], v[114:115] neg_lo:[0,1] neg_hi:[0,1]
.LBB94_104:
	s_or_b32 exec_lo, exec_lo, s0
	v_lshl_add_u32 v102, v110, 3, v106
	s_barrier_signal -1
	s_barrier_wait -1
	ds_store_b64 v102, v[56:57]
	s_wait_dscnt 0x0
	s_barrier_signal -1
	s_barrier_wait -1
	ds_load_b64 v[104:105], v106 offset:40
	v_mov_b32_e32 v102, 5
	s_cmp_lt_i32 s18, 7
	s_cbranch_scc1 .LBB94_107
; %bb.105:
	v_add3_u32 v103, v107, 0, 48
	v_mov_b32_e32 v102, 5
	s_mov_b32 s0, 6
.LBB94_106:                             ; =>This Inner Loop Header: Depth=1
	ds_load_b64 v[112:113], v103
	s_wait_dscnt 0x1
	v_cmp_gt_f32_e32 vcc_lo, 0, v104
	v_cndmask_b32_e64 v114, v104, -v104, vcc_lo
	v_cmp_gt_f32_e32 vcc_lo, 0, v105
	v_cndmask_b32_e64 v116, v105, -v105, vcc_lo
	s_wait_dscnt 0x0
	v_cmp_gt_f32_e32 vcc_lo, 0, v112
	v_cndmask_b32_e64 v115, v112, -v112, vcc_lo
	v_cmp_gt_f32_e32 vcc_lo, 0, v113
	v_cndmask_b32_e64 v117, v113, -v113, vcc_lo
	s_delay_alu instid0(VALU_DEP_1) | instskip(NEXT) | instid1(VALU_DEP_1)
	v_pk_add_f32 v[114:115], v[114:115], v[116:117]
	v_cmp_lt_f32_e32 vcc_lo, v114, v115
	v_dual_add_nc_u32 v103, 8, v103 :: v_dual_cndmask_b32 v105, v105, v113, vcc_lo
	v_cndmask_b32_e32 v104, v104, v112, vcc_lo
	v_cndmask_b32_e64 v102, v102, s0, vcc_lo
	s_add_co_i32 s0, s0, 1
	s_delay_alu instid0(SALU_CYCLE_1)
	s_cmp_lg_u32 s18, s0
	s_cbranch_scc1 .LBB94_106
.LBB94_107:
	s_wait_dscnt 0x0
	v_cmp_eq_f32_e32 vcc_lo, 0, v104
	v_cmp_eq_f32_e64 s0, 0, v105
	s_and_b32 s0, vcc_lo, s0
	s_delay_alu instid0(SALU_CYCLE_1) | instskip(NEXT) | instid1(SALU_CYCLE_1)
	s_and_saveexec_b32 s1, s0
	s_xor_b32 s0, exec_lo, s1
; %bb.108:
	v_cmp_ne_u32_e32 vcc_lo, 0, v108
	v_cndmask_b32_e32 v108, 6, v108, vcc_lo
; %bb.109:
	s_and_not1_saveexec_b32 s0, s0
	s_cbranch_execz .LBB94_115
; %bb.110:
	v_cmp_ngt_f32_e64 s1, |v104|, |v105|
	s_and_saveexec_b32 s12, s1
	s_delay_alu instid0(SALU_CYCLE_1)
	s_xor_b32 s1, exec_lo, s12
	s_cbranch_execz .LBB94_112
; %bb.111:
	v_div_scale_f32 v103, null, v105, v105, v104
	v_div_scale_f32 v113, vcc_lo, v104, v105, v104
	s_delay_alu instid0(VALU_DEP_2) | instskip(SKIP_1) | instid1(TRANS32_DEP_1)
	v_rcp_f32_e32 v111, v103
	v_nop
	v_fma_f32 v112, -v103, v111, 1.0
	s_delay_alu instid0(VALU_DEP_1) | instskip(NEXT) | instid1(VALU_DEP_1)
	v_fmac_f32_e32 v111, v112, v111
	v_mul_f32_e32 v112, v113, v111
	s_delay_alu instid0(VALU_DEP_1) | instskip(NEXT) | instid1(VALU_DEP_1)
	v_fma_f32 v114, -v103, v112, v113
	v_fmac_f32_e32 v112, v114, v111
	s_delay_alu instid0(VALU_DEP_1) | instskip(NEXT) | instid1(VALU_DEP_1)
	v_fma_f32 v103, -v103, v112, v113
	v_div_fmas_f32 v103, v103, v111, v112
	s_delay_alu instid0(VALU_DEP_1) | instskip(NEXT) | instid1(VALU_DEP_1)
	v_div_fixup_f32 v103, v103, v105, v104
	v_fmac_f32_e32 v105, v104, v103
	s_delay_alu instid0(VALU_DEP_1) | instskip(SKIP_1) | instid1(VALU_DEP_2)
	v_div_scale_f32 v104, null, v105, v105, 1.0
	v_div_scale_f32 v113, vcc_lo, 1.0, v105, 1.0
	v_rcp_f32_e32 v111, v104
	v_nop
	s_delay_alu instid0(TRANS32_DEP_1) | instskip(NEXT) | instid1(VALU_DEP_1)
	v_fma_f32 v112, -v104, v111, 1.0
	v_fmac_f32_e32 v111, v112, v111
	s_delay_alu instid0(VALU_DEP_1) | instskip(NEXT) | instid1(VALU_DEP_1)
	v_mul_f32_e32 v112, v113, v111
	v_fma_f32 v114, -v104, v112, v113
	s_delay_alu instid0(VALU_DEP_1) | instskip(NEXT) | instid1(VALU_DEP_1)
	v_fmac_f32_e32 v112, v114, v111
	v_fma_f32 v104, -v104, v112, v113
	s_delay_alu instid0(VALU_DEP_1) | instskip(NEXT) | instid1(VALU_DEP_1)
	v_div_fmas_f32 v104, v104, v111, v112
	v_div_fixup_f32 v105, v104, v105, 1.0
	s_delay_alu instid0(VALU_DEP_1)
	v_mul_f32_e32 v104, v103, v105
	v_xor_b32_e32 v105, 0x80000000, v105
.LBB94_112:
	s_and_not1_saveexec_b32 s1, s1
	s_cbranch_execz .LBB94_114
; %bb.113:
	s_delay_alu instid0(VALU_DEP_1) | instskip(SKIP_1) | instid1(VALU_DEP_2)
	v_div_scale_f32 v103, null, v104, v104, v105
	v_div_scale_f32 v113, vcc_lo, v105, v104, v105
	v_rcp_f32_e32 v111, v103
	v_nop
	s_delay_alu instid0(TRANS32_DEP_1) | instskip(NEXT) | instid1(VALU_DEP_1)
	v_fma_f32 v112, -v103, v111, 1.0
	v_fmac_f32_e32 v111, v112, v111
	s_delay_alu instid0(VALU_DEP_1) | instskip(NEXT) | instid1(VALU_DEP_1)
	v_mul_f32_e32 v112, v113, v111
	v_fma_f32 v114, -v103, v112, v113
	s_delay_alu instid0(VALU_DEP_1) | instskip(NEXT) | instid1(VALU_DEP_1)
	v_fmac_f32_e32 v112, v114, v111
	v_fma_f32 v103, -v103, v112, v113
	s_delay_alu instid0(VALU_DEP_1) | instskip(NEXT) | instid1(VALU_DEP_1)
	v_div_fmas_f32 v103, v103, v111, v112
	v_div_fixup_f32 v103, v103, v104, v105
	s_delay_alu instid0(VALU_DEP_1) | instskip(NEXT) | instid1(VALU_DEP_1)
	v_fmac_f32_e32 v104, v105, v103
	v_div_scale_f32 v105, null, v104, v104, 1.0
	s_delay_alu instid0(VALU_DEP_1) | instskip(SKIP_1) | instid1(TRANS32_DEP_1)
	v_rcp_f32_e32 v111, v105
	v_nop
	v_fma_f32 v112, -v105, v111, 1.0
	s_delay_alu instid0(VALU_DEP_1) | instskip(SKIP_1) | instid1(VALU_DEP_1)
	v_fmac_f32_e32 v111, v112, v111
	v_div_scale_f32 v112, vcc_lo, 1.0, v104, 1.0
	v_mul_f32_e32 v113, v112, v111
	s_delay_alu instid0(VALU_DEP_1) | instskip(NEXT) | instid1(VALU_DEP_1)
	v_fma_f32 v114, -v105, v113, v112
	v_fmac_f32_e32 v113, v114, v111
	s_delay_alu instid0(VALU_DEP_1) | instskip(NEXT) | instid1(VALU_DEP_1)
	v_fma_f32 v105, -v105, v113, v112
	v_div_fmas_f32 v105, v105, v111, v113
	s_delay_alu instid0(VALU_DEP_1) | instskip(NEXT) | instid1(VALU_DEP_1)
	v_div_fixup_f32 v104, v105, v104, 1.0
	v_mul_f32_e64 v105, v103, -v104
.LBB94_114:
	s_or_b32 exec_lo, exec_lo, s1
.LBB94_115:
	s_delay_alu instid0(SALU_CYCLE_1) | instskip(NEXT) | instid1(SALU_CYCLE_1)
	s_or_b32 exec_lo, exec_lo, s0
	s_mov_b32 s0, exec_lo
	v_cmpx_ne_u32_e64 v110, v102
	s_xor_b32 s0, exec_lo, s0
	s_cbranch_execz .LBB94_121
; %bb.116:
	s_mov_b32 s1, exec_lo
	v_cmpx_eq_u32_e32 5, v110
	s_cbranch_execz .LBB94_120
; %bb.117:
	v_cmp_ne_u32_e32 vcc_lo, 5, v102
	s_xor_b32 s12, s16, -1
	s_delay_alu instid0(SALU_CYCLE_1) | instskip(NEXT) | instid1(SALU_CYCLE_1)
	s_and_b32 s13, s12, vcc_lo
	s_and_saveexec_b32 s12, s13
	s_cbranch_execz .LBB94_119
; %bb.118:
	v_ashrrev_i32_e32 v103, 31, v102
	s_delay_alu instid0(VALU_DEP_1)
	v_lshl_add_u64 v[110:111], v[102:103], 2, v[4:5]
	s_clause 0x1
	global_load_b32 v103, v[110:111], off
	global_load_b32 v109, v[4:5], off offset:20
	s_wait_loadcnt 0x1
	global_store_b32 v[4:5], v103, off offset:20
	s_wait_loadcnt 0x0
	global_store_b32 v[110:111], v109, off
.LBB94_119:
	s_wait_xcnt 0x0
	s_or_b32 exec_lo, exec_lo, s12
	v_dual_mov_b32 v110, v102 :: v_dual_mov_b32 v109, v102
.LBB94_120:
	s_or_b32 exec_lo, exec_lo, s1
.LBB94_121:
	s_and_not1_saveexec_b32 s0, s0
	s_cbranch_execz .LBB94_123
; %bb.122:
	v_dual_mov_b32 v102, v58 :: v_dual_mov_b32 v103, v59
	v_dual_mov_b32 v110, v16 :: v_dual_mov_b32 v111, v17
	ds_store_2addr_b64 v106, v[102:103], v[110:111] offset0:6 offset1:7
	v_dual_mov_b32 v102, v90 :: v_dual_mov_b32 v103, v91
	v_dual_mov_b32 v110, v86 :: v_dual_mov_b32 v111, v87
	ds_store_2addr_b64 v106, v[102:103], v[110:111] offset0:8 offset1:9
	;; [unrolled: 3-line block ×20, first 2 shown]
	v_dual_mov_b32 v102, v14 :: v_dual_mov_b32 v103, v15
	v_mov_b32_e32 v110, 5
	ds_store_2addr_b64 v106, v[102:103], v[100:101] offset0:46 offset1:47
.LBB94_123:
	s_or_b32 exec_lo, exec_lo, s0
	s_delay_alu instid0(SALU_CYCLE_1)
	s_mov_b32 s0, exec_lo
	s_wait_storecnt_dscnt 0x0
	s_barrier_signal -1
	s_barrier_wait -1
	v_cmpx_lt_i32_e32 5, v110
	s_cbranch_execz .LBB94_125
; %bb.124:
	v_pk_mul_f32 v[112:113], v[104:105], v[56:57] op_sel:[1,1] op_sel_hi:[0,1]
	s_delay_alu instid0(VALU_DEP_1)
	v_pk_fma_f32 v[102:103], v[104:105], v[56:57], v[112:113] op_sel_hi:[1,0,1] neg_lo:[0,0,1] neg_hi:[0,0,1]
	v_pk_fma_f32 v[104:105], v[104:105], v[56:57], v[112:113] op_sel_hi:[1,0,1]
	ds_load_2addr_b64 v[112:115], v106 offset0:6 offset1:7
	v_dual_mov_b32 v56, v102 :: v_dual_mov_b32 v57, v105
	s_wait_dscnt 0x0
	v_pk_mul_f32 v[116:117], v[112:113], v[104:105] op_sel:[0,1]
	s_delay_alu instid0(VALU_DEP_1) | instskip(SKIP_1) | instid1(VALU_DEP_1)
	v_pk_fma_f32 v[118:119], v[112:113], v[102:103], v[116:117] op_sel:[0,0,1] op_sel_hi:[1,1,0] neg_lo:[0,0,1] neg_hi:[0,0,1]
	v_pk_fma_f32 v[112:113], v[112:113], v[102:103], v[116:117] op_sel:[0,0,1] op_sel_hi:[1,0,0]
	v_mov_b32_e32 v119, v113
	v_pk_mul_f32 v[112:113], v[114:115], v[104:105] op_sel:[0,1]
	s_delay_alu instid0(VALU_DEP_1) | instskip(SKIP_1) | instid1(VALU_DEP_1)
	v_pk_fma_f32 v[116:117], v[114:115], v[102:103], v[112:113] op_sel:[0,0,1] op_sel_hi:[1,1,0] neg_lo:[0,0,1] neg_hi:[0,0,1]
	v_pk_fma_f32 v[112:113], v[114:115], v[102:103], v[112:113] op_sel:[0,0,1] op_sel_hi:[1,0,0]
	v_mov_b32_e32 v117, v113
	ds_load_2addr_b64 v[112:115], v106 offset0:8 offset1:9
	v_pk_add_f32 v[58:59], v[58:59], v[118:119] neg_lo:[0,1] neg_hi:[0,1]
	v_pk_add_f32 v[16:17], v[16:17], v[116:117] neg_lo:[0,1] neg_hi:[0,1]
	s_wait_dscnt 0x0
	v_pk_mul_f32 v[116:117], v[112:113], v[104:105] op_sel:[0,1]
	s_delay_alu instid0(VALU_DEP_1) | instskip(SKIP_2) | instid1(VALU_DEP_2)
	v_pk_fma_f32 v[118:119], v[112:113], v[102:103], v[116:117] op_sel:[0,0,1] op_sel_hi:[1,1,0] neg_lo:[0,0,1] neg_hi:[0,0,1]
	v_pk_fma_f32 v[112:113], v[112:113], v[102:103], v[116:117] op_sel:[0,0,1] op_sel_hi:[1,0,0]
	v_dual_mul_f32 v116, v115, v105 :: v_dual_mov_b32 v112, v115
	v_dual_mov_b32 v119, v113 :: v_dual_mov_b32 v113, v114
	s_delay_alu instid0(VALU_DEP_2) | instskip(SKIP_1) | instid1(VALU_DEP_3)
	v_pk_fma_f32 v[116:117], v[114:115], v[56:57], v[116:117] op_sel_hi:[1,1,0] neg_lo:[0,0,1] neg_hi:[0,0,1]
	v_mul_f32_e32 v114, v115, v102
	v_pk_add_f32 v[90:91], v[90:91], v[118:119] neg_lo:[0,1] neg_hi:[0,1]
	s_delay_alu instid0(VALU_DEP_2) | instskip(NEXT) | instid1(VALU_DEP_1)
	v_pk_fma_f32 v[112:113], v[112:113], v[56:57], v[114:115] op_sel_hi:[1,1,0]
	v_mov_b32_e32 v117, v113
	ds_load_2addr_b64 v[112:115], v106 offset0:10 offset1:11
	v_pk_add_f32 v[86:87], v[86:87], v[116:117] neg_lo:[0,1] neg_hi:[0,1]
	s_wait_dscnt 0x0
	v_pk_mul_f32 v[116:117], v[112:113], v[104:105] op_sel:[0,1]
	s_delay_alu instid0(VALU_DEP_1) | instskip(SKIP_1) | instid1(VALU_DEP_1)
	v_pk_fma_f32 v[118:119], v[112:113], v[102:103], v[116:117] op_sel:[0,0,1] op_sel_hi:[1,1,0] neg_lo:[0,0,1] neg_hi:[0,0,1]
	v_pk_fma_f32 v[112:113], v[112:113], v[102:103], v[116:117] op_sel:[0,0,1] op_sel_hi:[1,0,0]
	v_mov_b32_e32 v119, v113
	v_pk_mul_f32 v[112:113], v[114:115], v[104:105] op_sel:[0,1]
	s_delay_alu instid0(VALU_DEP_1) | instskip(SKIP_1) | instid1(VALU_DEP_1)
	v_pk_fma_f32 v[116:117], v[114:115], v[102:103], v[112:113] op_sel:[0,0,1] op_sel_hi:[1,1,0] neg_lo:[0,0,1] neg_hi:[0,0,1]
	v_pk_fma_f32 v[112:113], v[114:115], v[102:103], v[112:113] op_sel:[0,0,1] op_sel_hi:[1,0,0]
	v_mov_b32_e32 v117, v113
	ds_load_2addr_b64 v[112:115], v106 offset0:12 offset1:13
	v_pk_add_f32 v[88:89], v[88:89], v[118:119] neg_lo:[0,1] neg_hi:[0,1]
	v_pk_add_f32 v[32:33], v[32:33], v[116:117] neg_lo:[0,1] neg_hi:[0,1]
	s_wait_dscnt 0x0
	v_pk_mul_f32 v[116:117], v[112:113], v[104:105] op_sel:[0,1]
	s_delay_alu instid0(VALU_DEP_1) | instskip(SKIP_1) | instid1(VALU_DEP_1)
	v_pk_fma_f32 v[118:119], v[112:113], v[102:103], v[116:117] op_sel:[0,0,1] op_sel_hi:[1,1,0] neg_lo:[0,0,1] neg_hi:[0,0,1]
	v_pk_fma_f32 v[112:113], v[112:113], v[102:103], v[116:117] op_sel:[0,0,1] op_sel_hi:[1,0,0]
	v_mov_b32_e32 v119, v113
	v_pk_mul_f32 v[112:113], v[114:115], v[104:105] op_sel:[0,1]
	s_delay_alu instid0(VALU_DEP_1) | instskip(SKIP_1) | instid1(VALU_DEP_1)
	v_pk_fma_f32 v[116:117], v[114:115], v[102:103], v[112:113] op_sel:[0,0,1] op_sel_hi:[1,1,0] neg_lo:[0,0,1] neg_hi:[0,0,1]
	v_pk_fma_f32 v[112:113], v[114:115], v[102:103], v[112:113] op_sel:[0,0,1] op_sel_hi:[1,0,0]
	v_mov_b32_e32 v117, v113
	ds_load_2addr_b64 v[112:115], v106 offset0:14 offset1:15
	v_pk_add_f32 v[84:85], v[84:85], v[118:119] neg_lo:[0,1] neg_hi:[0,1]
	v_pk_add_f32 v[80:81], v[80:81], v[116:117] neg_lo:[0,1] neg_hi:[0,1]
	s_wait_dscnt 0x0
	v_dual_mul_f32 v116, v113, v105 :: v_dual_mul_f32 v118, v113, v102
	s_delay_alu instid0(VALU_DEP_1) | instskip(NEXT) | instid1(VALU_DEP_2)
	v_pk_fma_f32 v[116:117], v[112:113], v[56:57], v[116:117] op_sel_hi:[1,1,0] neg_lo:[0,0,1] neg_hi:[0,0,1]
	v_pk_fma_f32 v[112:113], v[112:113], v[56:57], v[118:119] op_sel:[1,0,0] op_sel_hi:[0,1,0]
	s_delay_alu instid0(VALU_DEP_1) | instskip(SKIP_1) | instid1(VALU_DEP_2)
	v_mov_b32_e32 v117, v113
	v_pk_mul_f32 v[112:113], v[114:115], v[104:105] op_sel:[0,1]
	v_pk_add_f32 v[82:83], v[82:83], v[116:117] neg_lo:[0,1] neg_hi:[0,1]
	s_delay_alu instid0(VALU_DEP_2) | instskip(SKIP_1) | instid1(VALU_DEP_1)
	v_pk_fma_f32 v[116:117], v[114:115], v[102:103], v[112:113] op_sel:[0,0,1] op_sel_hi:[1,1,0] neg_lo:[0,0,1] neg_hi:[0,0,1]
	v_pk_fma_f32 v[112:113], v[114:115], v[102:103], v[112:113] op_sel:[0,0,1] op_sel_hi:[1,0,0]
	v_mov_b32_e32 v117, v113
	ds_load_2addr_b64 v[112:115], v106 offset0:16 offset1:17
	v_pk_add_f32 v[26:27], v[26:27], v[116:117] neg_lo:[0,1] neg_hi:[0,1]
	s_wait_dscnt 0x0
	v_pk_mul_f32 v[116:117], v[112:113], v[104:105] op_sel:[0,1]
	s_delay_alu instid0(VALU_DEP_1) | instskip(SKIP_1) | instid1(VALU_DEP_1)
	v_pk_fma_f32 v[118:119], v[112:113], v[102:103], v[116:117] op_sel:[0,0,1] op_sel_hi:[1,1,0] neg_lo:[0,0,1] neg_hi:[0,0,1]
	v_pk_fma_f32 v[112:113], v[112:113], v[102:103], v[116:117] op_sel:[0,0,1] op_sel_hi:[1,0,0]
	v_mov_b32_e32 v119, v113
	v_pk_mul_f32 v[112:113], v[114:115], v[104:105] op_sel:[0,1]
	s_delay_alu instid0(VALU_DEP_2) | instskip(NEXT) | instid1(VALU_DEP_2)
	v_pk_add_f32 v[78:79], v[78:79], v[118:119] neg_lo:[0,1] neg_hi:[0,1]
	v_pk_fma_f32 v[116:117], v[114:115], v[102:103], v[112:113] op_sel:[0,0,1] op_sel_hi:[1,1,0] neg_lo:[0,0,1] neg_hi:[0,0,1]
	v_pk_fma_f32 v[112:113], v[114:115], v[102:103], v[112:113] op_sel:[0,0,1] op_sel_hi:[1,0,0]
	s_delay_alu instid0(VALU_DEP_1) | instskip(SKIP_4) | instid1(VALU_DEP_1)
	v_mov_b32_e32 v117, v113
	ds_load_2addr_b64 v[112:115], v106 offset0:18 offset1:19
	v_pk_add_f32 v[74:75], v[74:75], v[116:117] neg_lo:[0,1] neg_hi:[0,1]
	s_wait_dscnt 0x0
	v_pk_mul_f32 v[116:117], v[112:113], v[104:105] op_sel:[0,1]
	v_pk_fma_f32 v[118:119], v[112:113], v[102:103], v[116:117] op_sel:[0,0,1] op_sel_hi:[1,1,0] neg_lo:[0,0,1] neg_hi:[0,0,1]
	v_pk_fma_f32 v[112:113], v[112:113], v[102:103], v[116:117] op_sel:[0,0,1] op_sel_hi:[1,0,0]
	v_dual_mul_f32 v116, v115, v105 :: v_dual_mov_b32 v112, v115
	s_delay_alu instid0(VALU_DEP_2) | instskip(NEXT) | instid1(VALU_DEP_2)
	v_dual_mov_b32 v119, v113 :: v_dual_mov_b32 v113, v114
	v_pk_fma_f32 v[116:117], v[114:115], v[56:57], v[116:117] op_sel_hi:[1,1,0] neg_lo:[0,0,1] neg_hi:[0,0,1]
	v_mul_f32_e32 v114, v115, v102
	s_delay_alu instid0(VALU_DEP_3) | instskip(NEXT) | instid1(VALU_DEP_2)
	v_pk_add_f32 v[76:77], v[76:77], v[118:119] neg_lo:[0,1] neg_hi:[0,1]
	v_pk_fma_f32 v[112:113], v[112:113], v[56:57], v[114:115] op_sel_hi:[1,1,0]
	s_delay_alu instid0(VALU_DEP_1) | instskip(SKIP_4) | instid1(VALU_DEP_1)
	v_mov_b32_e32 v117, v113
	ds_load_2addr_b64 v[112:115], v106 offset0:20 offset1:21
	v_pk_add_f32 v[24:25], v[24:25], v[116:117] neg_lo:[0,1] neg_hi:[0,1]
	s_wait_dscnt 0x0
	v_pk_mul_f32 v[116:117], v[112:113], v[104:105] op_sel:[0,1]
	v_pk_fma_f32 v[118:119], v[112:113], v[102:103], v[116:117] op_sel:[0,0,1] op_sel_hi:[1,1,0] neg_lo:[0,0,1] neg_hi:[0,0,1]
	v_pk_fma_f32 v[112:113], v[112:113], v[102:103], v[116:117] op_sel:[0,0,1] op_sel_hi:[1,0,0]
	s_delay_alu instid0(VALU_DEP_1) | instskip(SKIP_1) | instid1(VALU_DEP_1)
	v_mov_b32_e32 v119, v113
	v_pk_mul_f32 v[112:113], v[114:115], v[104:105] op_sel:[0,1]
	v_pk_fma_f32 v[116:117], v[114:115], v[102:103], v[112:113] op_sel:[0,0,1] op_sel_hi:[1,1,0] neg_lo:[0,0,1] neg_hi:[0,0,1]
	v_pk_fma_f32 v[112:113], v[114:115], v[102:103], v[112:113] op_sel:[0,0,1] op_sel_hi:[1,0,0]
	s_delay_alu instid0(VALU_DEP_1)
	v_mov_b32_e32 v117, v113
	ds_load_2addr_b64 v[112:115], v106 offset0:22 offset1:23
	v_pk_add_f32 v[72:73], v[72:73], v[118:119] neg_lo:[0,1] neg_hi:[0,1]
	v_pk_add_f32 v[68:69], v[68:69], v[116:117] neg_lo:[0,1] neg_hi:[0,1]
	s_wait_dscnt 0x0
	v_pk_mul_f32 v[116:117], v[112:113], v[104:105] op_sel:[0,1]
	s_delay_alu instid0(VALU_DEP_1) | instskip(SKIP_1) | instid1(VALU_DEP_1)
	v_pk_fma_f32 v[118:119], v[112:113], v[102:103], v[116:117] op_sel:[0,0,1] op_sel_hi:[1,1,0] neg_lo:[0,0,1] neg_hi:[0,0,1]
	v_pk_fma_f32 v[112:113], v[112:113], v[102:103], v[116:117] op_sel:[0,0,1] op_sel_hi:[1,0,0]
	v_mov_b32_e32 v119, v113
	v_pk_mul_f32 v[112:113], v[114:115], v[104:105] op_sel:[0,1]
	s_delay_alu instid0(VALU_DEP_1) | instskip(SKIP_1) | instid1(VALU_DEP_1)
	v_pk_fma_f32 v[116:117], v[114:115], v[102:103], v[112:113] op_sel:[0,0,1] op_sel_hi:[1,1,0] neg_lo:[0,0,1] neg_hi:[0,0,1]
	v_pk_fma_f32 v[112:113], v[114:115], v[102:103], v[112:113] op_sel:[0,0,1] op_sel_hi:[1,0,0]
	v_mov_b32_e32 v117, v113
	ds_load_2addr_b64 v[112:115], v106 offset0:24 offset1:25
	v_pk_add_f32 v[70:71], v[70:71], v[118:119] neg_lo:[0,1] neg_hi:[0,1]
	v_pk_add_f32 v[22:23], v[22:23], v[116:117] neg_lo:[0,1] neg_hi:[0,1]
	s_wait_dscnt 0x0
	v_dual_mul_f32 v116, v113, v105 :: v_dual_mul_f32 v118, v113, v102
	s_delay_alu instid0(VALU_DEP_1) | instskip(NEXT) | instid1(VALU_DEP_2)
	v_pk_fma_f32 v[116:117], v[112:113], v[56:57], v[116:117] op_sel_hi:[1,1,0] neg_lo:[0,0,1] neg_hi:[0,0,1]
	v_pk_fma_f32 v[112:113], v[112:113], v[56:57], v[118:119] op_sel:[1,0,0] op_sel_hi:[0,1,0]
	s_delay_alu instid0(VALU_DEP_1) | instskip(SKIP_1) | instid1(VALU_DEP_2)
	v_mov_b32_e32 v117, v113
	v_pk_mul_f32 v[112:113], v[114:115], v[104:105] op_sel:[0,1]
	v_pk_add_f32 v[66:67], v[66:67], v[116:117] neg_lo:[0,1] neg_hi:[0,1]
	s_delay_alu instid0(VALU_DEP_2) | instskip(SKIP_1) | instid1(VALU_DEP_1)
	v_pk_fma_f32 v[116:117], v[114:115], v[102:103], v[112:113] op_sel:[0,0,1] op_sel_hi:[1,1,0] neg_lo:[0,0,1] neg_hi:[0,0,1]
	v_pk_fma_f32 v[112:113], v[114:115], v[102:103], v[112:113] op_sel:[0,0,1] op_sel_hi:[1,0,0]
	v_mov_b32_e32 v117, v113
	ds_load_2addr_b64 v[112:115], v106 offset0:26 offset1:27
	v_pk_add_f32 v[62:63], v[62:63], v[116:117] neg_lo:[0,1] neg_hi:[0,1]
	s_wait_dscnt 0x0
	v_pk_mul_f32 v[116:117], v[112:113], v[104:105] op_sel:[0,1]
	s_delay_alu instid0(VALU_DEP_1) | instskip(SKIP_1) | instid1(VALU_DEP_1)
	v_pk_fma_f32 v[118:119], v[112:113], v[102:103], v[116:117] op_sel:[0,0,1] op_sel_hi:[1,1,0] neg_lo:[0,0,1] neg_hi:[0,0,1]
	v_pk_fma_f32 v[112:113], v[112:113], v[102:103], v[116:117] op_sel:[0,0,1] op_sel_hi:[1,0,0]
	v_mov_b32_e32 v119, v113
	v_pk_mul_f32 v[112:113], v[114:115], v[104:105] op_sel:[0,1]
	s_delay_alu instid0(VALU_DEP_2) | instskip(NEXT) | instid1(VALU_DEP_2)
	v_pk_add_f32 v[64:65], v[64:65], v[118:119] neg_lo:[0,1] neg_hi:[0,1]
	v_pk_fma_f32 v[116:117], v[114:115], v[102:103], v[112:113] op_sel:[0,0,1] op_sel_hi:[1,1,0] neg_lo:[0,0,1] neg_hi:[0,0,1]
	v_pk_fma_f32 v[112:113], v[114:115], v[102:103], v[112:113] op_sel:[0,0,1] op_sel_hi:[1,0,0]
	s_delay_alu instid0(VALU_DEP_1) | instskip(SKIP_4) | instid1(VALU_DEP_1)
	v_mov_b32_e32 v117, v113
	ds_load_2addr_b64 v[112:115], v106 offset0:28 offset1:29
	v_pk_add_f32 v[20:21], v[20:21], v[116:117] neg_lo:[0,1] neg_hi:[0,1]
	s_wait_dscnt 0x0
	v_pk_mul_f32 v[116:117], v[112:113], v[104:105] op_sel:[0,1]
	v_pk_fma_f32 v[118:119], v[112:113], v[102:103], v[116:117] op_sel:[0,0,1] op_sel_hi:[1,1,0] neg_lo:[0,0,1] neg_hi:[0,0,1]
	v_pk_fma_f32 v[112:113], v[112:113], v[102:103], v[116:117] op_sel:[0,0,1] op_sel_hi:[1,0,0]
	v_dual_mul_f32 v116, v115, v105 :: v_dual_mov_b32 v112, v115
	s_delay_alu instid0(VALU_DEP_2) | instskip(NEXT) | instid1(VALU_DEP_2)
	v_dual_mov_b32 v119, v113 :: v_dual_mov_b32 v113, v114
	v_pk_fma_f32 v[116:117], v[114:115], v[56:57], v[116:117] op_sel_hi:[1,1,0] neg_lo:[0,0,1] neg_hi:[0,0,1]
	v_mul_f32_e32 v114, v115, v102
	s_delay_alu instid0(VALU_DEP_3) | instskip(NEXT) | instid1(VALU_DEP_2)
	v_pk_add_f32 v[54:55], v[54:55], v[118:119] neg_lo:[0,1] neg_hi:[0,1]
	v_pk_fma_f32 v[112:113], v[112:113], v[56:57], v[114:115] op_sel_hi:[1,1,0]
	s_delay_alu instid0(VALU_DEP_1) | instskip(SKIP_4) | instid1(VALU_DEP_1)
	v_mov_b32_e32 v117, v113
	ds_load_2addr_b64 v[112:115], v106 offset0:30 offset1:31
	v_pk_add_f32 v[50:51], v[50:51], v[116:117] neg_lo:[0,1] neg_hi:[0,1]
	s_wait_dscnt 0x0
	v_pk_mul_f32 v[116:117], v[112:113], v[104:105] op_sel:[0,1]
	v_pk_fma_f32 v[118:119], v[112:113], v[102:103], v[116:117] op_sel:[0,0,1] op_sel_hi:[1,1,0] neg_lo:[0,0,1] neg_hi:[0,0,1]
	v_pk_fma_f32 v[112:113], v[112:113], v[102:103], v[116:117] op_sel:[0,0,1] op_sel_hi:[1,0,0]
	s_delay_alu instid0(VALU_DEP_1) | instskip(SKIP_1) | instid1(VALU_DEP_1)
	v_mov_b32_e32 v119, v113
	v_pk_mul_f32 v[112:113], v[114:115], v[104:105] op_sel:[0,1]
	v_pk_fma_f32 v[116:117], v[114:115], v[102:103], v[112:113] op_sel:[0,0,1] op_sel_hi:[1,1,0] neg_lo:[0,0,1] neg_hi:[0,0,1]
	v_pk_fma_f32 v[112:113], v[114:115], v[102:103], v[112:113] op_sel:[0,0,1] op_sel_hi:[1,0,0]
	s_delay_alu instid0(VALU_DEP_1)
	v_mov_b32_e32 v117, v113
	ds_load_2addr_b64 v[112:115], v106 offset0:32 offset1:33
	v_pk_add_f32 v[52:53], v[52:53], v[118:119] neg_lo:[0,1] neg_hi:[0,1]
	v_pk_add_f32 v[12:13], v[12:13], v[116:117] neg_lo:[0,1] neg_hi:[0,1]
	s_wait_dscnt 0x0
	v_pk_mul_f32 v[116:117], v[112:113], v[104:105] op_sel:[0,1]
	s_delay_alu instid0(VALU_DEP_1) | instskip(SKIP_1) | instid1(VALU_DEP_1)
	v_pk_fma_f32 v[118:119], v[112:113], v[102:103], v[116:117] op_sel:[0,0,1] op_sel_hi:[1,1,0] neg_lo:[0,0,1] neg_hi:[0,0,1]
	v_pk_fma_f32 v[112:113], v[112:113], v[102:103], v[116:117] op_sel:[0,0,1] op_sel_hi:[1,0,0]
	v_mov_b32_e32 v119, v113
	v_pk_mul_f32 v[112:113], v[114:115], v[104:105] op_sel:[0,1]
	s_delay_alu instid0(VALU_DEP_1) | instskip(SKIP_1) | instid1(VALU_DEP_1)
	v_pk_fma_f32 v[116:117], v[114:115], v[102:103], v[112:113] op_sel:[0,0,1] op_sel_hi:[1,1,0] neg_lo:[0,0,1] neg_hi:[0,0,1]
	v_pk_fma_f32 v[112:113], v[114:115], v[102:103], v[112:113] op_sel:[0,0,1] op_sel_hi:[1,0,0]
	v_mov_b32_e32 v117, v113
	ds_load_2addr_b64 v[112:115], v106 offset0:34 offset1:35
	v_pk_add_f32 v[48:49], v[48:49], v[118:119] neg_lo:[0,1] neg_hi:[0,1]
	v_pk_add_f32 v[44:45], v[44:45], v[116:117] neg_lo:[0,1] neg_hi:[0,1]
	s_wait_dscnt 0x0
	v_dual_mul_f32 v116, v113, v105 :: v_dual_mul_f32 v118, v113, v102
	s_delay_alu instid0(VALU_DEP_1) | instskip(NEXT) | instid1(VALU_DEP_2)
	v_pk_fma_f32 v[116:117], v[112:113], v[56:57], v[116:117] op_sel_hi:[1,1,0] neg_lo:[0,0,1] neg_hi:[0,0,1]
	v_pk_fma_f32 v[112:113], v[112:113], v[56:57], v[118:119] op_sel:[1,0,0] op_sel_hi:[0,1,0]
	s_delay_alu instid0(VALU_DEP_1) | instskip(SKIP_1) | instid1(VALU_DEP_2)
	v_mov_b32_e32 v117, v113
	v_pk_mul_f32 v[112:113], v[114:115], v[104:105] op_sel:[0,1]
	v_pk_add_f32 v[46:47], v[46:47], v[116:117] neg_lo:[0,1] neg_hi:[0,1]
	s_delay_alu instid0(VALU_DEP_2) | instskip(SKIP_1) | instid1(VALU_DEP_1)
	v_pk_fma_f32 v[116:117], v[114:115], v[102:103], v[112:113] op_sel:[0,0,1] op_sel_hi:[1,1,0] neg_lo:[0,0,1] neg_hi:[0,0,1]
	v_pk_fma_f32 v[112:113], v[114:115], v[102:103], v[112:113] op_sel:[0,0,1] op_sel_hi:[1,0,0]
	v_mov_b32_e32 v117, v113
	ds_load_2addr_b64 v[112:115], v106 offset0:36 offset1:37
	v_pk_add_f32 v[10:11], v[10:11], v[116:117] neg_lo:[0,1] neg_hi:[0,1]
	s_wait_dscnt 0x0
	v_pk_mul_f32 v[116:117], v[112:113], v[104:105] op_sel:[0,1]
	s_delay_alu instid0(VALU_DEP_1) | instskip(SKIP_1) | instid1(VALU_DEP_1)
	v_pk_fma_f32 v[118:119], v[112:113], v[102:103], v[116:117] op_sel:[0,0,1] op_sel_hi:[1,1,0] neg_lo:[0,0,1] neg_hi:[0,0,1]
	v_pk_fma_f32 v[112:113], v[112:113], v[102:103], v[116:117] op_sel:[0,0,1] op_sel_hi:[1,0,0]
	v_mov_b32_e32 v119, v113
	v_pk_mul_f32 v[112:113], v[114:115], v[104:105] op_sel:[0,1]
	s_delay_alu instid0(VALU_DEP_2) | instskip(NEXT) | instid1(VALU_DEP_2)
	v_pk_add_f32 v[42:43], v[42:43], v[118:119] neg_lo:[0,1] neg_hi:[0,1]
	v_pk_fma_f32 v[116:117], v[114:115], v[102:103], v[112:113] op_sel:[0,0,1] op_sel_hi:[1,1,0] neg_lo:[0,0,1] neg_hi:[0,0,1]
	v_pk_fma_f32 v[112:113], v[114:115], v[102:103], v[112:113] op_sel:[0,0,1] op_sel_hi:[1,0,0]
	s_delay_alu instid0(VALU_DEP_1) | instskip(SKIP_4) | instid1(VALU_DEP_1)
	v_mov_b32_e32 v117, v113
	ds_load_2addr_b64 v[112:115], v106 offset0:38 offset1:39
	v_pk_add_f32 v[38:39], v[38:39], v[116:117] neg_lo:[0,1] neg_hi:[0,1]
	s_wait_dscnt 0x0
	v_pk_mul_f32 v[116:117], v[112:113], v[104:105] op_sel:[0,1]
	v_pk_fma_f32 v[118:119], v[112:113], v[102:103], v[116:117] op_sel:[0,0,1] op_sel_hi:[1,1,0] neg_lo:[0,0,1] neg_hi:[0,0,1]
	v_pk_fma_f32 v[112:113], v[112:113], v[102:103], v[116:117] op_sel:[0,0,1] op_sel_hi:[1,0,0]
	v_dual_mul_f32 v116, v115, v105 :: v_dual_mov_b32 v112, v115
	s_delay_alu instid0(VALU_DEP_2) | instskip(NEXT) | instid1(VALU_DEP_2)
	v_dual_mov_b32 v119, v113 :: v_dual_mov_b32 v113, v114
	v_pk_fma_f32 v[116:117], v[114:115], v[56:57], v[116:117] op_sel_hi:[1,1,0] neg_lo:[0,0,1] neg_hi:[0,0,1]
	v_mul_f32_e32 v114, v115, v102
	s_delay_alu instid0(VALU_DEP_3) | instskip(NEXT) | instid1(VALU_DEP_2)
	v_pk_add_f32 v[40:41], v[40:41], v[118:119] neg_lo:[0,1] neg_hi:[0,1]
	v_pk_fma_f32 v[112:113], v[112:113], v[56:57], v[114:115] op_sel_hi:[1,1,0]
	s_delay_alu instid0(VALU_DEP_1) | instskip(SKIP_4) | instid1(VALU_DEP_1)
	v_mov_b32_e32 v117, v113
	ds_load_2addr_b64 v[112:115], v106 offset0:40 offset1:41
	v_pk_add_f32 v[6:7], v[6:7], v[116:117] neg_lo:[0,1] neg_hi:[0,1]
	s_wait_dscnt 0x0
	v_pk_mul_f32 v[116:117], v[112:113], v[104:105] op_sel:[0,1]
	v_pk_fma_f32 v[118:119], v[112:113], v[102:103], v[116:117] op_sel:[0,0,1] op_sel_hi:[1,1,0] neg_lo:[0,0,1] neg_hi:[0,0,1]
	v_pk_fma_f32 v[112:113], v[112:113], v[102:103], v[116:117] op_sel:[0,0,1] op_sel_hi:[1,0,0]
	s_delay_alu instid0(VALU_DEP_1) | instskip(SKIP_1) | instid1(VALU_DEP_1)
	v_mov_b32_e32 v119, v113
	v_pk_mul_f32 v[112:113], v[114:115], v[104:105] op_sel:[0,1]
	v_pk_fma_f32 v[116:117], v[114:115], v[102:103], v[112:113] op_sel:[0,0,1] op_sel_hi:[1,1,0] neg_lo:[0,0,1] neg_hi:[0,0,1]
	v_pk_fma_f32 v[112:113], v[114:115], v[102:103], v[112:113] op_sel:[0,0,1] op_sel_hi:[1,0,0]
	s_delay_alu instid0(VALU_DEP_1)
	v_mov_b32_e32 v117, v113
	ds_load_2addr_b64 v[112:115], v106 offset0:42 offset1:43
	v_pk_add_f32 v[36:37], v[36:37], v[118:119] neg_lo:[0,1] neg_hi:[0,1]
	v_pk_add_f32 v[30:31], v[30:31], v[116:117] neg_lo:[0,1] neg_hi:[0,1]
	s_wait_dscnt 0x0
	v_pk_mul_f32 v[116:117], v[112:113], v[104:105] op_sel:[0,1]
	s_delay_alu instid0(VALU_DEP_1) | instskip(SKIP_1) | instid1(VALU_DEP_1)
	v_pk_fma_f32 v[118:119], v[112:113], v[102:103], v[116:117] op_sel:[0,0,1] op_sel_hi:[1,1,0] neg_lo:[0,0,1] neg_hi:[0,0,1]
	v_pk_fma_f32 v[112:113], v[112:113], v[102:103], v[116:117] op_sel:[0,0,1] op_sel_hi:[1,0,0]
	v_mov_b32_e32 v119, v113
	v_pk_mul_f32 v[112:113], v[114:115], v[104:105] op_sel:[0,1]
	s_delay_alu instid0(VALU_DEP_1) | instskip(SKIP_1) | instid1(VALU_DEP_1)
	v_pk_fma_f32 v[116:117], v[114:115], v[102:103], v[112:113] op_sel:[0,0,1] op_sel_hi:[1,1,0] neg_lo:[0,0,1] neg_hi:[0,0,1]
	v_pk_fma_f32 v[112:113], v[114:115], v[102:103], v[112:113] op_sel:[0,0,1] op_sel_hi:[1,0,0]
	v_mov_b32_e32 v117, v113
	ds_load_2addr_b64 v[112:115], v106 offset0:44 offset1:45
	v_pk_add_f32 v[34:35], v[34:35], v[118:119] neg_lo:[0,1] neg_hi:[0,1]
	v_pk_add_f32 v[8:9], v[8:9], v[116:117] neg_lo:[0,1] neg_hi:[0,1]
	s_wait_dscnt 0x0
	v_dual_mul_f32 v116, v113, v105 :: v_dual_mul_f32 v118, v113, v102
	s_delay_alu instid0(VALU_DEP_1) | instskip(NEXT) | instid1(VALU_DEP_2)
	v_pk_fma_f32 v[116:117], v[112:113], v[56:57], v[116:117] op_sel_hi:[1,1,0] neg_lo:[0,0,1] neg_hi:[0,0,1]
	v_pk_fma_f32 v[112:113], v[112:113], v[56:57], v[118:119] op_sel:[1,0,0] op_sel_hi:[0,1,0]
	s_delay_alu instid0(VALU_DEP_1) | instskip(SKIP_1) | instid1(VALU_DEP_2)
	v_mov_b32_e32 v117, v113
	v_pk_mul_f32 v[112:113], v[114:115], v[104:105] op_sel:[0,1]
	v_pk_add_f32 v[28:29], v[28:29], v[116:117] neg_lo:[0,1] neg_hi:[0,1]
	s_delay_alu instid0(VALU_DEP_2) | instskip(SKIP_1) | instid1(VALU_DEP_1)
	v_pk_fma_f32 v[116:117], v[114:115], v[102:103], v[112:113] op_sel:[0,0,1] op_sel_hi:[1,1,0] neg_lo:[0,0,1] neg_hi:[0,0,1]
	v_pk_fma_f32 v[112:113], v[114:115], v[102:103], v[112:113] op_sel:[0,0,1] op_sel_hi:[1,0,0]
	v_mov_b32_e32 v117, v113
	ds_load_2addr_b64 v[112:115], v106 offset0:46 offset1:47
	v_pk_add_f32 v[18:19], v[18:19], v[116:117] neg_lo:[0,1] neg_hi:[0,1]
	s_wait_dscnt 0x0
	v_pk_mul_f32 v[116:117], v[112:113], v[104:105] op_sel:[0,1]
	v_mul_f32_e32 v104, v115, v105
	s_delay_alu instid0(VALU_DEP_2) | instskip(SKIP_2) | instid1(VALU_DEP_4)
	v_pk_fma_f32 v[118:119], v[112:113], v[102:103], v[116:117] op_sel:[0,0,1] op_sel_hi:[1,1,0] neg_lo:[0,0,1] neg_hi:[0,0,1]
	v_pk_fma_f32 v[112:113], v[112:113], v[102:103], v[116:117] op_sel:[0,0,1] op_sel_hi:[1,0,0]
	v_dual_mov_b32 v112, v115 :: v_dual_mul_f32 v102, v115, v102
	v_pk_fma_f32 v[104:105], v[114:115], v[56:57], v[104:105] op_sel_hi:[1,1,0] neg_lo:[0,0,1] neg_hi:[0,0,1]
	s_delay_alu instid0(VALU_DEP_3) | instskip(NEXT) | instid1(VALU_DEP_1)
	v_dual_mov_b32 v119, v113 :: v_dual_mov_b32 v113, v114
	v_pk_add_f32 v[14:15], v[14:15], v[118:119] neg_lo:[0,1] neg_hi:[0,1]
	s_delay_alu instid0(VALU_DEP_2) | instskip(NEXT) | instid1(VALU_DEP_1)
	v_pk_fma_f32 v[102:103], v[112:113], v[56:57], v[102:103] op_sel_hi:[1,1,0]
	v_mov_b32_e32 v105, v103
	s_delay_alu instid0(VALU_DEP_1)
	v_pk_add_f32 v[100:101], v[100:101], v[104:105] neg_lo:[0,1] neg_hi:[0,1]
.LBB94_125:
	s_or_b32 exec_lo, exec_lo, s0
	v_lshl_add_u32 v102, v110, 3, v106
	s_barrier_signal -1
	s_barrier_wait -1
	ds_store_b64 v102, v[58:59]
	s_wait_dscnt 0x0
	s_barrier_signal -1
	s_barrier_wait -1
	ds_load_b64 v[104:105], v106 offset:48
	v_mov_b32_e32 v102, 6
	s_cmp_lt_i32 s18, 8
	s_cbranch_scc1 .LBB94_128
; %bb.126:
	v_add3_u32 v103, v107, 0, 56
	v_mov_b32_e32 v102, 6
	s_mov_b32 s0, 7
.LBB94_127:                             ; =>This Inner Loop Header: Depth=1
	ds_load_b64 v[112:113], v103
	s_wait_dscnt 0x1
	v_cmp_gt_f32_e32 vcc_lo, 0, v104
	v_cndmask_b32_e64 v114, v104, -v104, vcc_lo
	v_cmp_gt_f32_e32 vcc_lo, 0, v105
	v_cndmask_b32_e64 v116, v105, -v105, vcc_lo
	s_wait_dscnt 0x0
	v_cmp_gt_f32_e32 vcc_lo, 0, v112
	v_cndmask_b32_e64 v115, v112, -v112, vcc_lo
	v_cmp_gt_f32_e32 vcc_lo, 0, v113
	v_cndmask_b32_e64 v117, v113, -v113, vcc_lo
	s_delay_alu instid0(VALU_DEP_1) | instskip(NEXT) | instid1(VALU_DEP_1)
	v_pk_add_f32 v[114:115], v[114:115], v[116:117]
	v_cmp_lt_f32_e32 vcc_lo, v114, v115
	v_dual_add_nc_u32 v103, 8, v103 :: v_dual_cndmask_b32 v105, v105, v113, vcc_lo
	v_cndmask_b32_e32 v104, v104, v112, vcc_lo
	v_cndmask_b32_e64 v102, v102, s0, vcc_lo
	s_add_co_i32 s0, s0, 1
	s_delay_alu instid0(SALU_CYCLE_1)
	s_cmp_lg_u32 s18, s0
	s_cbranch_scc1 .LBB94_127
.LBB94_128:
	s_wait_dscnt 0x0
	v_cmp_eq_f32_e32 vcc_lo, 0, v104
	v_cmp_eq_f32_e64 s0, 0, v105
	s_and_b32 s0, vcc_lo, s0
	s_delay_alu instid0(SALU_CYCLE_1) | instskip(NEXT) | instid1(SALU_CYCLE_1)
	s_and_saveexec_b32 s1, s0
	s_xor_b32 s0, exec_lo, s1
; %bb.129:
	v_cmp_ne_u32_e32 vcc_lo, 0, v108
	v_cndmask_b32_e32 v108, 7, v108, vcc_lo
; %bb.130:
	s_and_not1_saveexec_b32 s0, s0
	s_cbranch_execz .LBB94_136
; %bb.131:
	v_cmp_ngt_f32_e64 s1, |v104|, |v105|
	s_and_saveexec_b32 s12, s1
	s_delay_alu instid0(SALU_CYCLE_1)
	s_xor_b32 s1, exec_lo, s12
	s_cbranch_execz .LBB94_133
; %bb.132:
	v_div_scale_f32 v103, null, v105, v105, v104
	v_div_scale_f32 v113, vcc_lo, v104, v105, v104
	s_delay_alu instid0(VALU_DEP_2) | instskip(SKIP_1) | instid1(TRANS32_DEP_1)
	v_rcp_f32_e32 v111, v103
	v_nop
	v_fma_f32 v112, -v103, v111, 1.0
	s_delay_alu instid0(VALU_DEP_1) | instskip(NEXT) | instid1(VALU_DEP_1)
	v_fmac_f32_e32 v111, v112, v111
	v_mul_f32_e32 v112, v113, v111
	s_delay_alu instid0(VALU_DEP_1) | instskip(NEXT) | instid1(VALU_DEP_1)
	v_fma_f32 v114, -v103, v112, v113
	v_fmac_f32_e32 v112, v114, v111
	s_delay_alu instid0(VALU_DEP_1) | instskip(NEXT) | instid1(VALU_DEP_1)
	v_fma_f32 v103, -v103, v112, v113
	v_div_fmas_f32 v103, v103, v111, v112
	s_delay_alu instid0(VALU_DEP_1) | instskip(NEXT) | instid1(VALU_DEP_1)
	v_div_fixup_f32 v103, v103, v105, v104
	v_fmac_f32_e32 v105, v104, v103
	s_delay_alu instid0(VALU_DEP_1) | instskip(SKIP_1) | instid1(VALU_DEP_2)
	v_div_scale_f32 v104, null, v105, v105, 1.0
	v_div_scale_f32 v113, vcc_lo, 1.0, v105, 1.0
	v_rcp_f32_e32 v111, v104
	v_nop
	s_delay_alu instid0(TRANS32_DEP_1) | instskip(NEXT) | instid1(VALU_DEP_1)
	v_fma_f32 v112, -v104, v111, 1.0
	v_fmac_f32_e32 v111, v112, v111
	s_delay_alu instid0(VALU_DEP_1) | instskip(NEXT) | instid1(VALU_DEP_1)
	v_mul_f32_e32 v112, v113, v111
	v_fma_f32 v114, -v104, v112, v113
	s_delay_alu instid0(VALU_DEP_1) | instskip(NEXT) | instid1(VALU_DEP_1)
	v_fmac_f32_e32 v112, v114, v111
	v_fma_f32 v104, -v104, v112, v113
	s_delay_alu instid0(VALU_DEP_1) | instskip(NEXT) | instid1(VALU_DEP_1)
	v_div_fmas_f32 v104, v104, v111, v112
	v_div_fixup_f32 v105, v104, v105, 1.0
	s_delay_alu instid0(VALU_DEP_1)
	v_mul_f32_e32 v104, v103, v105
	v_xor_b32_e32 v105, 0x80000000, v105
.LBB94_133:
	s_and_not1_saveexec_b32 s1, s1
	s_cbranch_execz .LBB94_135
; %bb.134:
	s_delay_alu instid0(VALU_DEP_1) | instskip(SKIP_1) | instid1(VALU_DEP_2)
	v_div_scale_f32 v103, null, v104, v104, v105
	v_div_scale_f32 v113, vcc_lo, v105, v104, v105
	v_rcp_f32_e32 v111, v103
	v_nop
	s_delay_alu instid0(TRANS32_DEP_1) | instskip(NEXT) | instid1(VALU_DEP_1)
	v_fma_f32 v112, -v103, v111, 1.0
	v_fmac_f32_e32 v111, v112, v111
	s_delay_alu instid0(VALU_DEP_1) | instskip(NEXT) | instid1(VALU_DEP_1)
	v_mul_f32_e32 v112, v113, v111
	v_fma_f32 v114, -v103, v112, v113
	s_delay_alu instid0(VALU_DEP_1) | instskip(NEXT) | instid1(VALU_DEP_1)
	v_fmac_f32_e32 v112, v114, v111
	v_fma_f32 v103, -v103, v112, v113
	s_delay_alu instid0(VALU_DEP_1) | instskip(NEXT) | instid1(VALU_DEP_1)
	v_div_fmas_f32 v103, v103, v111, v112
	v_div_fixup_f32 v103, v103, v104, v105
	s_delay_alu instid0(VALU_DEP_1) | instskip(NEXT) | instid1(VALU_DEP_1)
	v_fmac_f32_e32 v104, v105, v103
	v_div_scale_f32 v105, null, v104, v104, 1.0
	s_delay_alu instid0(VALU_DEP_1) | instskip(SKIP_1) | instid1(TRANS32_DEP_1)
	v_rcp_f32_e32 v111, v105
	v_nop
	v_fma_f32 v112, -v105, v111, 1.0
	s_delay_alu instid0(VALU_DEP_1) | instskip(SKIP_1) | instid1(VALU_DEP_1)
	v_fmac_f32_e32 v111, v112, v111
	v_div_scale_f32 v112, vcc_lo, 1.0, v104, 1.0
	v_mul_f32_e32 v113, v112, v111
	s_delay_alu instid0(VALU_DEP_1) | instskip(NEXT) | instid1(VALU_DEP_1)
	v_fma_f32 v114, -v105, v113, v112
	v_fmac_f32_e32 v113, v114, v111
	s_delay_alu instid0(VALU_DEP_1) | instskip(NEXT) | instid1(VALU_DEP_1)
	v_fma_f32 v105, -v105, v113, v112
	v_div_fmas_f32 v105, v105, v111, v113
	s_delay_alu instid0(VALU_DEP_1) | instskip(NEXT) | instid1(VALU_DEP_1)
	v_div_fixup_f32 v104, v105, v104, 1.0
	v_mul_f32_e64 v105, v103, -v104
.LBB94_135:
	s_or_b32 exec_lo, exec_lo, s1
.LBB94_136:
	s_delay_alu instid0(SALU_CYCLE_1) | instskip(NEXT) | instid1(SALU_CYCLE_1)
	s_or_b32 exec_lo, exec_lo, s0
	s_mov_b32 s0, exec_lo
	v_cmpx_ne_u32_e64 v110, v102
	s_xor_b32 s0, exec_lo, s0
	s_cbranch_execz .LBB94_142
; %bb.137:
	s_mov_b32 s1, exec_lo
	v_cmpx_eq_u32_e32 6, v110
	s_cbranch_execz .LBB94_141
; %bb.138:
	v_cmp_ne_u32_e32 vcc_lo, 6, v102
	s_xor_b32 s12, s16, -1
	s_delay_alu instid0(SALU_CYCLE_1) | instskip(NEXT) | instid1(SALU_CYCLE_1)
	s_and_b32 s13, s12, vcc_lo
	s_and_saveexec_b32 s12, s13
	s_cbranch_execz .LBB94_140
; %bb.139:
	v_ashrrev_i32_e32 v103, 31, v102
	s_delay_alu instid0(VALU_DEP_1)
	v_lshl_add_u64 v[110:111], v[102:103], 2, v[4:5]
	s_clause 0x1
	global_load_b32 v103, v[110:111], off
	global_load_b32 v109, v[4:5], off offset:24
	s_wait_loadcnt 0x1
	global_store_b32 v[4:5], v103, off offset:24
	s_wait_loadcnt 0x0
	global_store_b32 v[110:111], v109, off
.LBB94_140:
	s_wait_xcnt 0x0
	s_or_b32 exec_lo, exec_lo, s12
	v_dual_mov_b32 v110, v102 :: v_dual_mov_b32 v109, v102
.LBB94_141:
	s_or_b32 exec_lo, exec_lo, s1
.LBB94_142:
	s_and_not1_saveexec_b32 s0, s0
	s_cbranch_execz .LBB94_144
; %bb.143:
	v_mov_b32_e32 v110, 6
	ds_store_2addr_b64 v106, v[16:17], v[90:91] offset0:7 offset1:8
	ds_store_2addr_b64 v106, v[86:87], v[88:89] offset0:9 offset1:10
	;; [unrolled: 1-line block ×20, first 2 shown]
	ds_store_b64 v106, v[100:101] offset:376
.LBB94_144:
	s_or_b32 exec_lo, exec_lo, s0
	s_delay_alu instid0(SALU_CYCLE_1)
	s_mov_b32 s0, exec_lo
	s_wait_storecnt_dscnt 0x0
	s_barrier_signal -1
	s_barrier_wait -1
	v_cmpx_lt_i32_e32 6, v110
	s_cbranch_execz .LBB94_146
; %bb.145:
	v_pk_mul_f32 v[112:113], v[104:105], v[58:59] op_sel:[1,1] op_sel_hi:[0,1]
	s_delay_alu instid0(VALU_DEP_1)
	v_pk_fma_f32 v[102:103], v[104:105], v[58:59], v[112:113] op_sel_hi:[1,0,1] neg_lo:[0,0,1] neg_hi:[0,0,1]
	v_pk_fma_f32 v[104:105], v[104:105], v[58:59], v[112:113] op_sel_hi:[1,0,1]
	ds_load_2addr_b64 v[112:115], v106 offset0:7 offset1:8
	v_dual_mov_b32 v58, v102 :: v_dual_mov_b32 v59, v105
	s_wait_dscnt 0x0
	v_pk_mul_f32 v[116:117], v[112:113], v[104:105] op_sel:[0,1]
	s_delay_alu instid0(VALU_DEP_1) | instskip(SKIP_1) | instid1(VALU_DEP_1)
	v_pk_fma_f32 v[118:119], v[112:113], v[102:103], v[116:117] op_sel:[0,0,1] op_sel_hi:[1,1,0] neg_lo:[0,0,1] neg_hi:[0,0,1]
	v_pk_fma_f32 v[112:113], v[112:113], v[102:103], v[116:117] op_sel:[0,0,1] op_sel_hi:[1,0,0]
	v_mov_b32_e32 v119, v113
	v_pk_mul_f32 v[112:113], v[114:115], v[104:105] op_sel:[0,1]
	s_delay_alu instid0(VALU_DEP_1) | instskip(SKIP_1) | instid1(VALU_DEP_1)
	v_pk_fma_f32 v[116:117], v[114:115], v[102:103], v[112:113] op_sel:[0,0,1] op_sel_hi:[1,1,0] neg_lo:[0,0,1] neg_hi:[0,0,1]
	v_pk_fma_f32 v[112:113], v[114:115], v[102:103], v[112:113] op_sel:[0,0,1] op_sel_hi:[1,0,0]
	v_mov_b32_e32 v117, v113
	ds_load_2addr_b64 v[112:115], v106 offset0:9 offset1:10
	v_pk_add_f32 v[16:17], v[16:17], v[118:119] neg_lo:[0,1] neg_hi:[0,1]
	v_pk_add_f32 v[90:91], v[90:91], v[116:117] neg_lo:[0,1] neg_hi:[0,1]
	s_wait_dscnt 0x0
	v_pk_mul_f32 v[116:117], v[112:113], v[104:105] op_sel:[0,1]
	s_delay_alu instid0(VALU_DEP_1) | instskip(SKIP_2) | instid1(VALU_DEP_2)
	v_pk_fma_f32 v[118:119], v[112:113], v[102:103], v[116:117] op_sel:[0,0,1] op_sel_hi:[1,1,0] neg_lo:[0,0,1] neg_hi:[0,0,1]
	v_pk_fma_f32 v[112:113], v[112:113], v[102:103], v[116:117] op_sel:[0,0,1] op_sel_hi:[1,0,0]
	v_dual_mul_f32 v116, v115, v105 :: v_dual_mov_b32 v112, v115
	v_dual_mov_b32 v119, v113 :: v_dual_mov_b32 v113, v114
	s_delay_alu instid0(VALU_DEP_2) | instskip(SKIP_1) | instid1(VALU_DEP_3)
	v_pk_fma_f32 v[116:117], v[114:115], v[58:59], v[116:117] op_sel_hi:[1,1,0] neg_lo:[0,0,1] neg_hi:[0,0,1]
	v_mul_f32_e32 v114, v115, v102
	v_pk_add_f32 v[86:87], v[86:87], v[118:119] neg_lo:[0,1] neg_hi:[0,1]
	s_delay_alu instid0(VALU_DEP_2) | instskip(NEXT) | instid1(VALU_DEP_1)
	v_pk_fma_f32 v[112:113], v[112:113], v[58:59], v[114:115] op_sel_hi:[1,1,0]
	v_mov_b32_e32 v117, v113
	ds_load_2addr_b64 v[112:115], v106 offset0:11 offset1:12
	v_pk_add_f32 v[88:89], v[88:89], v[116:117] neg_lo:[0,1] neg_hi:[0,1]
	s_wait_dscnt 0x0
	v_pk_mul_f32 v[116:117], v[112:113], v[104:105] op_sel:[0,1]
	s_delay_alu instid0(VALU_DEP_1) | instskip(SKIP_1) | instid1(VALU_DEP_1)
	v_pk_fma_f32 v[118:119], v[112:113], v[102:103], v[116:117] op_sel:[0,0,1] op_sel_hi:[1,1,0] neg_lo:[0,0,1] neg_hi:[0,0,1]
	v_pk_fma_f32 v[112:113], v[112:113], v[102:103], v[116:117] op_sel:[0,0,1] op_sel_hi:[1,0,0]
	v_mov_b32_e32 v119, v113
	v_pk_mul_f32 v[112:113], v[114:115], v[104:105] op_sel:[0,1]
	s_delay_alu instid0(VALU_DEP_1) | instskip(SKIP_1) | instid1(VALU_DEP_1)
	v_pk_fma_f32 v[116:117], v[114:115], v[102:103], v[112:113] op_sel:[0,0,1] op_sel_hi:[1,1,0] neg_lo:[0,0,1] neg_hi:[0,0,1]
	v_pk_fma_f32 v[112:113], v[114:115], v[102:103], v[112:113] op_sel:[0,0,1] op_sel_hi:[1,0,0]
	v_mov_b32_e32 v117, v113
	ds_load_2addr_b64 v[112:115], v106 offset0:13 offset1:14
	v_pk_add_f32 v[32:33], v[32:33], v[118:119] neg_lo:[0,1] neg_hi:[0,1]
	v_pk_add_f32 v[84:85], v[84:85], v[116:117] neg_lo:[0,1] neg_hi:[0,1]
	s_wait_dscnt 0x0
	v_pk_mul_f32 v[116:117], v[112:113], v[104:105] op_sel:[0,1]
	s_delay_alu instid0(VALU_DEP_1) | instskip(SKIP_1) | instid1(VALU_DEP_1)
	v_pk_fma_f32 v[118:119], v[112:113], v[102:103], v[116:117] op_sel:[0,0,1] op_sel_hi:[1,1,0] neg_lo:[0,0,1] neg_hi:[0,0,1]
	v_pk_fma_f32 v[112:113], v[112:113], v[102:103], v[116:117] op_sel:[0,0,1] op_sel_hi:[1,0,0]
	v_mov_b32_e32 v119, v113
	v_pk_mul_f32 v[112:113], v[114:115], v[104:105] op_sel:[0,1]
	s_delay_alu instid0(VALU_DEP_1) | instskip(SKIP_1) | instid1(VALU_DEP_1)
	v_pk_fma_f32 v[116:117], v[114:115], v[102:103], v[112:113] op_sel:[0,0,1] op_sel_hi:[1,1,0] neg_lo:[0,0,1] neg_hi:[0,0,1]
	v_pk_fma_f32 v[112:113], v[114:115], v[102:103], v[112:113] op_sel:[0,0,1] op_sel_hi:[1,0,0]
	v_mov_b32_e32 v117, v113
	ds_load_2addr_b64 v[112:115], v106 offset0:15 offset1:16
	v_pk_add_f32 v[80:81], v[80:81], v[118:119] neg_lo:[0,1] neg_hi:[0,1]
	v_pk_add_f32 v[82:83], v[82:83], v[116:117] neg_lo:[0,1] neg_hi:[0,1]
	s_wait_dscnt 0x0
	v_dual_mul_f32 v116, v113, v105 :: v_dual_mul_f32 v118, v113, v102
	s_delay_alu instid0(VALU_DEP_1) | instskip(NEXT) | instid1(VALU_DEP_2)
	v_pk_fma_f32 v[116:117], v[112:113], v[58:59], v[116:117] op_sel_hi:[1,1,0] neg_lo:[0,0,1] neg_hi:[0,0,1]
	v_pk_fma_f32 v[112:113], v[112:113], v[58:59], v[118:119] op_sel:[1,0,0] op_sel_hi:[0,1,0]
	s_delay_alu instid0(VALU_DEP_1) | instskip(SKIP_1) | instid1(VALU_DEP_2)
	v_mov_b32_e32 v117, v113
	v_pk_mul_f32 v[112:113], v[114:115], v[104:105] op_sel:[0,1]
	v_pk_add_f32 v[26:27], v[26:27], v[116:117] neg_lo:[0,1] neg_hi:[0,1]
	s_delay_alu instid0(VALU_DEP_2) | instskip(SKIP_1) | instid1(VALU_DEP_1)
	v_pk_fma_f32 v[116:117], v[114:115], v[102:103], v[112:113] op_sel:[0,0,1] op_sel_hi:[1,1,0] neg_lo:[0,0,1] neg_hi:[0,0,1]
	v_pk_fma_f32 v[112:113], v[114:115], v[102:103], v[112:113] op_sel:[0,0,1] op_sel_hi:[1,0,0]
	v_mov_b32_e32 v117, v113
	ds_load_2addr_b64 v[112:115], v106 offset0:17 offset1:18
	v_pk_add_f32 v[78:79], v[78:79], v[116:117] neg_lo:[0,1] neg_hi:[0,1]
	s_wait_dscnt 0x0
	v_pk_mul_f32 v[116:117], v[112:113], v[104:105] op_sel:[0,1]
	s_delay_alu instid0(VALU_DEP_1) | instskip(SKIP_1) | instid1(VALU_DEP_1)
	v_pk_fma_f32 v[118:119], v[112:113], v[102:103], v[116:117] op_sel:[0,0,1] op_sel_hi:[1,1,0] neg_lo:[0,0,1] neg_hi:[0,0,1]
	v_pk_fma_f32 v[112:113], v[112:113], v[102:103], v[116:117] op_sel:[0,0,1] op_sel_hi:[1,0,0]
	v_mov_b32_e32 v119, v113
	v_pk_mul_f32 v[112:113], v[114:115], v[104:105] op_sel:[0,1]
	s_delay_alu instid0(VALU_DEP_2) | instskip(NEXT) | instid1(VALU_DEP_2)
	v_pk_add_f32 v[74:75], v[74:75], v[118:119] neg_lo:[0,1] neg_hi:[0,1]
	v_pk_fma_f32 v[116:117], v[114:115], v[102:103], v[112:113] op_sel:[0,0,1] op_sel_hi:[1,1,0] neg_lo:[0,0,1] neg_hi:[0,0,1]
	v_pk_fma_f32 v[112:113], v[114:115], v[102:103], v[112:113] op_sel:[0,0,1] op_sel_hi:[1,0,0]
	s_delay_alu instid0(VALU_DEP_1) | instskip(SKIP_4) | instid1(VALU_DEP_1)
	v_mov_b32_e32 v117, v113
	ds_load_2addr_b64 v[112:115], v106 offset0:19 offset1:20
	v_pk_add_f32 v[76:77], v[76:77], v[116:117] neg_lo:[0,1] neg_hi:[0,1]
	s_wait_dscnt 0x0
	v_pk_mul_f32 v[116:117], v[112:113], v[104:105] op_sel:[0,1]
	v_pk_fma_f32 v[118:119], v[112:113], v[102:103], v[116:117] op_sel:[0,0,1] op_sel_hi:[1,1,0] neg_lo:[0,0,1] neg_hi:[0,0,1]
	v_pk_fma_f32 v[112:113], v[112:113], v[102:103], v[116:117] op_sel:[0,0,1] op_sel_hi:[1,0,0]
	v_dual_mul_f32 v116, v115, v105 :: v_dual_mov_b32 v112, v115
	s_delay_alu instid0(VALU_DEP_2) | instskip(NEXT) | instid1(VALU_DEP_2)
	v_dual_mov_b32 v119, v113 :: v_dual_mov_b32 v113, v114
	v_pk_fma_f32 v[116:117], v[114:115], v[58:59], v[116:117] op_sel_hi:[1,1,0] neg_lo:[0,0,1] neg_hi:[0,0,1]
	v_mul_f32_e32 v114, v115, v102
	s_delay_alu instid0(VALU_DEP_3) | instskip(NEXT) | instid1(VALU_DEP_2)
	v_pk_add_f32 v[24:25], v[24:25], v[118:119] neg_lo:[0,1] neg_hi:[0,1]
	v_pk_fma_f32 v[112:113], v[112:113], v[58:59], v[114:115] op_sel_hi:[1,1,0]
	s_delay_alu instid0(VALU_DEP_1) | instskip(SKIP_4) | instid1(VALU_DEP_1)
	v_mov_b32_e32 v117, v113
	ds_load_2addr_b64 v[112:115], v106 offset0:21 offset1:22
	v_pk_add_f32 v[72:73], v[72:73], v[116:117] neg_lo:[0,1] neg_hi:[0,1]
	s_wait_dscnt 0x0
	v_pk_mul_f32 v[116:117], v[112:113], v[104:105] op_sel:[0,1]
	v_pk_fma_f32 v[118:119], v[112:113], v[102:103], v[116:117] op_sel:[0,0,1] op_sel_hi:[1,1,0] neg_lo:[0,0,1] neg_hi:[0,0,1]
	v_pk_fma_f32 v[112:113], v[112:113], v[102:103], v[116:117] op_sel:[0,0,1] op_sel_hi:[1,0,0]
	s_delay_alu instid0(VALU_DEP_1) | instskip(SKIP_1) | instid1(VALU_DEP_1)
	v_mov_b32_e32 v119, v113
	v_pk_mul_f32 v[112:113], v[114:115], v[104:105] op_sel:[0,1]
	v_pk_fma_f32 v[116:117], v[114:115], v[102:103], v[112:113] op_sel:[0,0,1] op_sel_hi:[1,1,0] neg_lo:[0,0,1] neg_hi:[0,0,1]
	v_pk_fma_f32 v[112:113], v[114:115], v[102:103], v[112:113] op_sel:[0,0,1] op_sel_hi:[1,0,0]
	s_delay_alu instid0(VALU_DEP_1)
	v_mov_b32_e32 v117, v113
	ds_load_2addr_b64 v[112:115], v106 offset0:23 offset1:24
	v_pk_add_f32 v[68:69], v[68:69], v[118:119] neg_lo:[0,1] neg_hi:[0,1]
	v_pk_add_f32 v[70:71], v[70:71], v[116:117] neg_lo:[0,1] neg_hi:[0,1]
	s_wait_dscnt 0x0
	v_pk_mul_f32 v[116:117], v[112:113], v[104:105] op_sel:[0,1]
	s_delay_alu instid0(VALU_DEP_1) | instskip(SKIP_1) | instid1(VALU_DEP_1)
	v_pk_fma_f32 v[118:119], v[112:113], v[102:103], v[116:117] op_sel:[0,0,1] op_sel_hi:[1,1,0] neg_lo:[0,0,1] neg_hi:[0,0,1]
	v_pk_fma_f32 v[112:113], v[112:113], v[102:103], v[116:117] op_sel:[0,0,1] op_sel_hi:[1,0,0]
	v_mov_b32_e32 v119, v113
	v_pk_mul_f32 v[112:113], v[114:115], v[104:105] op_sel:[0,1]
	s_delay_alu instid0(VALU_DEP_1) | instskip(SKIP_1) | instid1(VALU_DEP_1)
	v_pk_fma_f32 v[116:117], v[114:115], v[102:103], v[112:113] op_sel:[0,0,1] op_sel_hi:[1,1,0] neg_lo:[0,0,1] neg_hi:[0,0,1]
	v_pk_fma_f32 v[112:113], v[114:115], v[102:103], v[112:113] op_sel:[0,0,1] op_sel_hi:[1,0,0]
	v_mov_b32_e32 v117, v113
	ds_load_2addr_b64 v[112:115], v106 offset0:25 offset1:26
	v_pk_add_f32 v[22:23], v[22:23], v[118:119] neg_lo:[0,1] neg_hi:[0,1]
	v_pk_add_f32 v[66:67], v[66:67], v[116:117] neg_lo:[0,1] neg_hi:[0,1]
	s_wait_dscnt 0x0
	v_dual_mul_f32 v116, v113, v105 :: v_dual_mul_f32 v118, v113, v102
	s_delay_alu instid0(VALU_DEP_1) | instskip(NEXT) | instid1(VALU_DEP_2)
	v_pk_fma_f32 v[116:117], v[112:113], v[58:59], v[116:117] op_sel_hi:[1,1,0] neg_lo:[0,0,1] neg_hi:[0,0,1]
	v_pk_fma_f32 v[112:113], v[112:113], v[58:59], v[118:119] op_sel:[1,0,0] op_sel_hi:[0,1,0]
	s_delay_alu instid0(VALU_DEP_1) | instskip(SKIP_1) | instid1(VALU_DEP_2)
	v_mov_b32_e32 v117, v113
	v_pk_mul_f32 v[112:113], v[114:115], v[104:105] op_sel:[0,1]
	v_pk_add_f32 v[62:63], v[62:63], v[116:117] neg_lo:[0,1] neg_hi:[0,1]
	s_delay_alu instid0(VALU_DEP_2) | instskip(SKIP_1) | instid1(VALU_DEP_1)
	v_pk_fma_f32 v[116:117], v[114:115], v[102:103], v[112:113] op_sel:[0,0,1] op_sel_hi:[1,1,0] neg_lo:[0,0,1] neg_hi:[0,0,1]
	v_pk_fma_f32 v[112:113], v[114:115], v[102:103], v[112:113] op_sel:[0,0,1] op_sel_hi:[1,0,0]
	v_mov_b32_e32 v117, v113
	ds_load_2addr_b64 v[112:115], v106 offset0:27 offset1:28
	v_pk_add_f32 v[64:65], v[64:65], v[116:117] neg_lo:[0,1] neg_hi:[0,1]
	s_wait_dscnt 0x0
	v_pk_mul_f32 v[116:117], v[112:113], v[104:105] op_sel:[0,1]
	s_delay_alu instid0(VALU_DEP_1) | instskip(SKIP_1) | instid1(VALU_DEP_1)
	v_pk_fma_f32 v[118:119], v[112:113], v[102:103], v[116:117] op_sel:[0,0,1] op_sel_hi:[1,1,0] neg_lo:[0,0,1] neg_hi:[0,0,1]
	v_pk_fma_f32 v[112:113], v[112:113], v[102:103], v[116:117] op_sel:[0,0,1] op_sel_hi:[1,0,0]
	v_mov_b32_e32 v119, v113
	v_pk_mul_f32 v[112:113], v[114:115], v[104:105] op_sel:[0,1]
	s_delay_alu instid0(VALU_DEP_2) | instskip(NEXT) | instid1(VALU_DEP_2)
	v_pk_add_f32 v[20:21], v[20:21], v[118:119] neg_lo:[0,1] neg_hi:[0,1]
	v_pk_fma_f32 v[116:117], v[114:115], v[102:103], v[112:113] op_sel:[0,0,1] op_sel_hi:[1,1,0] neg_lo:[0,0,1] neg_hi:[0,0,1]
	v_pk_fma_f32 v[112:113], v[114:115], v[102:103], v[112:113] op_sel:[0,0,1] op_sel_hi:[1,0,0]
	s_delay_alu instid0(VALU_DEP_1) | instskip(SKIP_4) | instid1(VALU_DEP_1)
	v_mov_b32_e32 v117, v113
	ds_load_2addr_b64 v[112:115], v106 offset0:29 offset1:30
	v_pk_add_f32 v[54:55], v[54:55], v[116:117] neg_lo:[0,1] neg_hi:[0,1]
	s_wait_dscnt 0x0
	v_pk_mul_f32 v[116:117], v[112:113], v[104:105] op_sel:[0,1]
	v_pk_fma_f32 v[118:119], v[112:113], v[102:103], v[116:117] op_sel:[0,0,1] op_sel_hi:[1,1,0] neg_lo:[0,0,1] neg_hi:[0,0,1]
	v_pk_fma_f32 v[112:113], v[112:113], v[102:103], v[116:117] op_sel:[0,0,1] op_sel_hi:[1,0,0]
	v_dual_mul_f32 v116, v115, v105 :: v_dual_mov_b32 v112, v115
	s_delay_alu instid0(VALU_DEP_2) | instskip(NEXT) | instid1(VALU_DEP_2)
	v_dual_mov_b32 v119, v113 :: v_dual_mov_b32 v113, v114
	v_pk_fma_f32 v[116:117], v[114:115], v[58:59], v[116:117] op_sel_hi:[1,1,0] neg_lo:[0,0,1] neg_hi:[0,0,1]
	v_mul_f32_e32 v114, v115, v102
	s_delay_alu instid0(VALU_DEP_3) | instskip(NEXT) | instid1(VALU_DEP_2)
	v_pk_add_f32 v[50:51], v[50:51], v[118:119] neg_lo:[0,1] neg_hi:[0,1]
	v_pk_fma_f32 v[112:113], v[112:113], v[58:59], v[114:115] op_sel_hi:[1,1,0]
	s_delay_alu instid0(VALU_DEP_1) | instskip(SKIP_4) | instid1(VALU_DEP_1)
	v_mov_b32_e32 v117, v113
	ds_load_2addr_b64 v[112:115], v106 offset0:31 offset1:32
	v_pk_add_f32 v[52:53], v[52:53], v[116:117] neg_lo:[0,1] neg_hi:[0,1]
	s_wait_dscnt 0x0
	v_pk_mul_f32 v[116:117], v[112:113], v[104:105] op_sel:[0,1]
	v_pk_fma_f32 v[118:119], v[112:113], v[102:103], v[116:117] op_sel:[0,0,1] op_sel_hi:[1,1,0] neg_lo:[0,0,1] neg_hi:[0,0,1]
	v_pk_fma_f32 v[112:113], v[112:113], v[102:103], v[116:117] op_sel:[0,0,1] op_sel_hi:[1,0,0]
	s_delay_alu instid0(VALU_DEP_1) | instskip(SKIP_1) | instid1(VALU_DEP_1)
	v_mov_b32_e32 v119, v113
	v_pk_mul_f32 v[112:113], v[114:115], v[104:105] op_sel:[0,1]
	v_pk_fma_f32 v[116:117], v[114:115], v[102:103], v[112:113] op_sel:[0,0,1] op_sel_hi:[1,1,0] neg_lo:[0,0,1] neg_hi:[0,0,1]
	v_pk_fma_f32 v[112:113], v[114:115], v[102:103], v[112:113] op_sel:[0,0,1] op_sel_hi:[1,0,0]
	s_delay_alu instid0(VALU_DEP_1)
	v_mov_b32_e32 v117, v113
	ds_load_2addr_b64 v[112:115], v106 offset0:33 offset1:34
	v_pk_add_f32 v[12:13], v[12:13], v[118:119] neg_lo:[0,1] neg_hi:[0,1]
	v_pk_add_f32 v[48:49], v[48:49], v[116:117] neg_lo:[0,1] neg_hi:[0,1]
	s_wait_dscnt 0x0
	v_pk_mul_f32 v[116:117], v[112:113], v[104:105] op_sel:[0,1]
	s_delay_alu instid0(VALU_DEP_1) | instskip(SKIP_1) | instid1(VALU_DEP_1)
	v_pk_fma_f32 v[118:119], v[112:113], v[102:103], v[116:117] op_sel:[0,0,1] op_sel_hi:[1,1,0] neg_lo:[0,0,1] neg_hi:[0,0,1]
	v_pk_fma_f32 v[112:113], v[112:113], v[102:103], v[116:117] op_sel:[0,0,1] op_sel_hi:[1,0,0]
	v_mov_b32_e32 v119, v113
	v_pk_mul_f32 v[112:113], v[114:115], v[104:105] op_sel:[0,1]
	s_delay_alu instid0(VALU_DEP_1) | instskip(SKIP_1) | instid1(VALU_DEP_1)
	v_pk_fma_f32 v[116:117], v[114:115], v[102:103], v[112:113] op_sel:[0,0,1] op_sel_hi:[1,1,0] neg_lo:[0,0,1] neg_hi:[0,0,1]
	v_pk_fma_f32 v[112:113], v[114:115], v[102:103], v[112:113] op_sel:[0,0,1] op_sel_hi:[1,0,0]
	v_mov_b32_e32 v117, v113
	ds_load_2addr_b64 v[112:115], v106 offset0:35 offset1:36
	v_pk_add_f32 v[44:45], v[44:45], v[118:119] neg_lo:[0,1] neg_hi:[0,1]
	v_pk_add_f32 v[46:47], v[46:47], v[116:117] neg_lo:[0,1] neg_hi:[0,1]
	s_wait_dscnt 0x0
	v_dual_mul_f32 v116, v113, v105 :: v_dual_mul_f32 v118, v113, v102
	s_delay_alu instid0(VALU_DEP_1) | instskip(NEXT) | instid1(VALU_DEP_2)
	v_pk_fma_f32 v[116:117], v[112:113], v[58:59], v[116:117] op_sel_hi:[1,1,0] neg_lo:[0,0,1] neg_hi:[0,0,1]
	v_pk_fma_f32 v[112:113], v[112:113], v[58:59], v[118:119] op_sel:[1,0,0] op_sel_hi:[0,1,0]
	s_delay_alu instid0(VALU_DEP_1) | instskip(SKIP_1) | instid1(VALU_DEP_2)
	v_mov_b32_e32 v117, v113
	v_pk_mul_f32 v[112:113], v[114:115], v[104:105] op_sel:[0,1]
	v_pk_add_f32 v[10:11], v[10:11], v[116:117] neg_lo:[0,1] neg_hi:[0,1]
	s_delay_alu instid0(VALU_DEP_2) | instskip(SKIP_1) | instid1(VALU_DEP_1)
	v_pk_fma_f32 v[116:117], v[114:115], v[102:103], v[112:113] op_sel:[0,0,1] op_sel_hi:[1,1,0] neg_lo:[0,0,1] neg_hi:[0,0,1]
	v_pk_fma_f32 v[112:113], v[114:115], v[102:103], v[112:113] op_sel:[0,0,1] op_sel_hi:[1,0,0]
	v_mov_b32_e32 v117, v113
	ds_load_2addr_b64 v[112:115], v106 offset0:37 offset1:38
	v_pk_add_f32 v[42:43], v[42:43], v[116:117] neg_lo:[0,1] neg_hi:[0,1]
	s_wait_dscnt 0x0
	v_pk_mul_f32 v[116:117], v[112:113], v[104:105] op_sel:[0,1]
	s_delay_alu instid0(VALU_DEP_1) | instskip(SKIP_1) | instid1(VALU_DEP_1)
	v_pk_fma_f32 v[118:119], v[112:113], v[102:103], v[116:117] op_sel:[0,0,1] op_sel_hi:[1,1,0] neg_lo:[0,0,1] neg_hi:[0,0,1]
	v_pk_fma_f32 v[112:113], v[112:113], v[102:103], v[116:117] op_sel:[0,0,1] op_sel_hi:[1,0,0]
	v_mov_b32_e32 v119, v113
	v_pk_mul_f32 v[112:113], v[114:115], v[104:105] op_sel:[0,1]
	s_delay_alu instid0(VALU_DEP_2) | instskip(NEXT) | instid1(VALU_DEP_2)
	v_pk_add_f32 v[38:39], v[38:39], v[118:119] neg_lo:[0,1] neg_hi:[0,1]
	v_pk_fma_f32 v[116:117], v[114:115], v[102:103], v[112:113] op_sel:[0,0,1] op_sel_hi:[1,1,0] neg_lo:[0,0,1] neg_hi:[0,0,1]
	v_pk_fma_f32 v[112:113], v[114:115], v[102:103], v[112:113] op_sel:[0,0,1] op_sel_hi:[1,0,0]
	s_delay_alu instid0(VALU_DEP_1) | instskip(SKIP_4) | instid1(VALU_DEP_1)
	v_mov_b32_e32 v117, v113
	ds_load_2addr_b64 v[112:115], v106 offset0:39 offset1:40
	v_pk_add_f32 v[40:41], v[40:41], v[116:117] neg_lo:[0,1] neg_hi:[0,1]
	s_wait_dscnt 0x0
	v_pk_mul_f32 v[116:117], v[112:113], v[104:105] op_sel:[0,1]
	v_pk_fma_f32 v[118:119], v[112:113], v[102:103], v[116:117] op_sel:[0,0,1] op_sel_hi:[1,1,0] neg_lo:[0,0,1] neg_hi:[0,0,1]
	v_pk_fma_f32 v[112:113], v[112:113], v[102:103], v[116:117] op_sel:[0,0,1] op_sel_hi:[1,0,0]
	v_dual_mul_f32 v116, v115, v105 :: v_dual_mov_b32 v112, v115
	s_delay_alu instid0(VALU_DEP_2) | instskip(NEXT) | instid1(VALU_DEP_2)
	v_dual_mov_b32 v119, v113 :: v_dual_mov_b32 v113, v114
	v_pk_fma_f32 v[116:117], v[114:115], v[58:59], v[116:117] op_sel_hi:[1,1,0] neg_lo:[0,0,1] neg_hi:[0,0,1]
	v_mul_f32_e32 v114, v115, v102
	s_delay_alu instid0(VALU_DEP_3) | instskip(NEXT) | instid1(VALU_DEP_2)
	v_pk_add_f32 v[6:7], v[6:7], v[118:119] neg_lo:[0,1] neg_hi:[0,1]
	v_pk_fma_f32 v[112:113], v[112:113], v[58:59], v[114:115] op_sel_hi:[1,1,0]
	s_delay_alu instid0(VALU_DEP_1) | instskip(SKIP_4) | instid1(VALU_DEP_1)
	v_mov_b32_e32 v117, v113
	ds_load_2addr_b64 v[112:115], v106 offset0:41 offset1:42
	v_pk_add_f32 v[36:37], v[36:37], v[116:117] neg_lo:[0,1] neg_hi:[0,1]
	s_wait_dscnt 0x0
	v_pk_mul_f32 v[116:117], v[112:113], v[104:105] op_sel:[0,1]
	v_pk_fma_f32 v[118:119], v[112:113], v[102:103], v[116:117] op_sel:[0,0,1] op_sel_hi:[1,1,0] neg_lo:[0,0,1] neg_hi:[0,0,1]
	v_pk_fma_f32 v[112:113], v[112:113], v[102:103], v[116:117] op_sel:[0,0,1] op_sel_hi:[1,0,0]
	s_delay_alu instid0(VALU_DEP_1) | instskip(SKIP_1) | instid1(VALU_DEP_1)
	v_mov_b32_e32 v119, v113
	v_pk_mul_f32 v[112:113], v[114:115], v[104:105] op_sel:[0,1]
	v_pk_fma_f32 v[116:117], v[114:115], v[102:103], v[112:113] op_sel:[0,0,1] op_sel_hi:[1,1,0] neg_lo:[0,0,1] neg_hi:[0,0,1]
	v_pk_fma_f32 v[112:113], v[114:115], v[102:103], v[112:113] op_sel:[0,0,1] op_sel_hi:[1,0,0]
	s_delay_alu instid0(VALU_DEP_1)
	v_mov_b32_e32 v117, v113
	ds_load_2addr_b64 v[112:115], v106 offset0:43 offset1:44
	v_pk_add_f32 v[30:31], v[30:31], v[118:119] neg_lo:[0,1] neg_hi:[0,1]
	v_pk_add_f32 v[34:35], v[34:35], v[116:117] neg_lo:[0,1] neg_hi:[0,1]
	s_wait_dscnt 0x0
	v_pk_mul_f32 v[116:117], v[112:113], v[104:105] op_sel:[0,1]
	s_delay_alu instid0(VALU_DEP_1) | instskip(SKIP_1) | instid1(VALU_DEP_1)
	v_pk_fma_f32 v[118:119], v[112:113], v[102:103], v[116:117] op_sel:[0,0,1] op_sel_hi:[1,1,0] neg_lo:[0,0,1] neg_hi:[0,0,1]
	v_pk_fma_f32 v[112:113], v[112:113], v[102:103], v[116:117] op_sel:[0,0,1] op_sel_hi:[1,0,0]
	v_mov_b32_e32 v119, v113
	v_pk_mul_f32 v[112:113], v[114:115], v[104:105] op_sel:[0,1]
	s_delay_alu instid0(VALU_DEP_1) | instskip(SKIP_1) | instid1(VALU_DEP_1)
	v_pk_fma_f32 v[116:117], v[114:115], v[102:103], v[112:113] op_sel:[0,0,1] op_sel_hi:[1,1,0] neg_lo:[0,0,1] neg_hi:[0,0,1]
	v_pk_fma_f32 v[112:113], v[114:115], v[102:103], v[112:113] op_sel:[0,0,1] op_sel_hi:[1,0,0]
	v_mov_b32_e32 v117, v113
	ds_load_2addr_b64 v[112:115], v106 offset0:45 offset1:46
	v_pk_add_f32 v[8:9], v[8:9], v[118:119] neg_lo:[0,1] neg_hi:[0,1]
	v_pk_add_f32 v[28:29], v[28:29], v[116:117] neg_lo:[0,1] neg_hi:[0,1]
	s_wait_dscnt 0x0
	v_dual_mul_f32 v116, v113, v105 :: v_dual_mul_f32 v118, v113, v102
	s_delay_alu instid0(VALU_DEP_1) | instskip(NEXT) | instid1(VALU_DEP_2)
	v_pk_fma_f32 v[116:117], v[112:113], v[58:59], v[116:117] op_sel_hi:[1,1,0] neg_lo:[0,0,1] neg_hi:[0,0,1]
	v_pk_fma_f32 v[112:113], v[112:113], v[58:59], v[118:119] op_sel:[1,0,0] op_sel_hi:[0,1,0]
	s_delay_alu instid0(VALU_DEP_1) | instskip(SKIP_1) | instid1(VALU_DEP_2)
	v_mov_b32_e32 v117, v113
	v_pk_mul_f32 v[112:113], v[114:115], v[104:105] op_sel:[0,1]
	v_pk_add_f32 v[18:19], v[18:19], v[116:117] neg_lo:[0,1] neg_hi:[0,1]
	s_delay_alu instid0(VALU_DEP_2) | instskip(SKIP_1) | instid1(VALU_DEP_1)
	v_pk_fma_f32 v[116:117], v[114:115], v[102:103], v[112:113] op_sel:[0,0,1] op_sel_hi:[1,1,0] neg_lo:[0,0,1] neg_hi:[0,0,1]
	v_pk_fma_f32 v[112:113], v[114:115], v[102:103], v[112:113] op_sel:[0,0,1] op_sel_hi:[1,0,0]
	v_mov_b32_e32 v117, v113
	ds_load_b64 v[112:113], v106 offset:376
	v_pk_add_f32 v[14:15], v[14:15], v[116:117] neg_lo:[0,1] neg_hi:[0,1]
	s_wait_dscnt 0x0
	v_pk_mul_f32 v[104:105], v[112:113], v[104:105] op_sel:[0,1]
	s_delay_alu instid0(VALU_DEP_1) | instskip(SKIP_1) | instid1(VALU_DEP_1)
	v_pk_fma_f32 v[114:115], v[112:113], v[102:103], v[104:105] op_sel:[0,0,1] op_sel_hi:[1,1,0] neg_lo:[0,0,1] neg_hi:[0,0,1]
	v_pk_fma_f32 v[102:103], v[112:113], v[102:103], v[104:105] op_sel:[0,0,1] op_sel_hi:[1,0,0]
	v_mov_b32_e32 v115, v103
	s_delay_alu instid0(VALU_DEP_1)
	v_pk_add_f32 v[100:101], v[100:101], v[114:115] neg_lo:[0,1] neg_hi:[0,1]
.LBB94_146:
	s_or_b32 exec_lo, exec_lo, s0
	v_lshl_add_u32 v102, v110, 3, v106
	s_barrier_signal -1
	s_barrier_wait -1
	ds_store_b64 v102, v[16:17]
	s_wait_dscnt 0x0
	s_barrier_signal -1
	s_barrier_wait -1
	ds_load_b64 v[104:105], v106 offset:56
	v_mov_b32_e32 v102, 7
	s_cmp_lt_i32 s18, 9
	s_cbranch_scc1 .LBB94_149
; %bb.147:
	v_add3_u32 v103, v107, 0, 64
	v_mov_b32_e32 v102, 7
	s_mov_b32 s0, 8
.LBB94_148:                             ; =>This Inner Loop Header: Depth=1
	ds_load_b64 v[112:113], v103
	s_wait_dscnt 0x1
	v_cmp_gt_f32_e32 vcc_lo, 0, v104
	v_cndmask_b32_e64 v114, v104, -v104, vcc_lo
	v_cmp_gt_f32_e32 vcc_lo, 0, v105
	v_cndmask_b32_e64 v116, v105, -v105, vcc_lo
	s_wait_dscnt 0x0
	v_cmp_gt_f32_e32 vcc_lo, 0, v112
	v_cndmask_b32_e64 v115, v112, -v112, vcc_lo
	v_cmp_gt_f32_e32 vcc_lo, 0, v113
	v_cndmask_b32_e64 v117, v113, -v113, vcc_lo
	s_delay_alu instid0(VALU_DEP_1) | instskip(NEXT) | instid1(VALU_DEP_1)
	v_pk_add_f32 v[114:115], v[114:115], v[116:117]
	v_cmp_lt_f32_e32 vcc_lo, v114, v115
	v_dual_add_nc_u32 v103, 8, v103 :: v_dual_cndmask_b32 v105, v105, v113, vcc_lo
	v_cndmask_b32_e32 v104, v104, v112, vcc_lo
	v_cndmask_b32_e64 v102, v102, s0, vcc_lo
	s_add_co_i32 s0, s0, 1
	s_delay_alu instid0(SALU_CYCLE_1)
	s_cmp_lg_u32 s18, s0
	s_cbranch_scc1 .LBB94_148
.LBB94_149:
	s_wait_dscnt 0x0
	v_cmp_eq_f32_e32 vcc_lo, 0, v104
	v_cmp_eq_f32_e64 s0, 0, v105
	s_and_b32 s0, vcc_lo, s0
	s_delay_alu instid0(SALU_CYCLE_1) | instskip(NEXT) | instid1(SALU_CYCLE_1)
	s_and_saveexec_b32 s1, s0
	s_xor_b32 s0, exec_lo, s1
; %bb.150:
	v_cmp_ne_u32_e32 vcc_lo, 0, v108
	v_cndmask_b32_e32 v108, 8, v108, vcc_lo
; %bb.151:
	s_and_not1_saveexec_b32 s0, s0
	s_cbranch_execz .LBB94_157
; %bb.152:
	v_cmp_ngt_f32_e64 s1, |v104|, |v105|
	s_and_saveexec_b32 s12, s1
	s_delay_alu instid0(SALU_CYCLE_1)
	s_xor_b32 s1, exec_lo, s12
	s_cbranch_execz .LBB94_154
; %bb.153:
	v_div_scale_f32 v103, null, v105, v105, v104
	v_div_scale_f32 v113, vcc_lo, v104, v105, v104
	s_delay_alu instid0(VALU_DEP_2) | instskip(SKIP_1) | instid1(TRANS32_DEP_1)
	v_rcp_f32_e32 v111, v103
	v_nop
	v_fma_f32 v112, -v103, v111, 1.0
	s_delay_alu instid0(VALU_DEP_1) | instskip(NEXT) | instid1(VALU_DEP_1)
	v_fmac_f32_e32 v111, v112, v111
	v_mul_f32_e32 v112, v113, v111
	s_delay_alu instid0(VALU_DEP_1) | instskip(NEXT) | instid1(VALU_DEP_1)
	v_fma_f32 v114, -v103, v112, v113
	v_fmac_f32_e32 v112, v114, v111
	s_delay_alu instid0(VALU_DEP_1) | instskip(NEXT) | instid1(VALU_DEP_1)
	v_fma_f32 v103, -v103, v112, v113
	v_div_fmas_f32 v103, v103, v111, v112
	s_delay_alu instid0(VALU_DEP_1) | instskip(NEXT) | instid1(VALU_DEP_1)
	v_div_fixup_f32 v103, v103, v105, v104
	v_fmac_f32_e32 v105, v104, v103
	s_delay_alu instid0(VALU_DEP_1) | instskip(SKIP_1) | instid1(VALU_DEP_2)
	v_div_scale_f32 v104, null, v105, v105, 1.0
	v_div_scale_f32 v113, vcc_lo, 1.0, v105, 1.0
	v_rcp_f32_e32 v111, v104
	v_nop
	s_delay_alu instid0(TRANS32_DEP_1) | instskip(NEXT) | instid1(VALU_DEP_1)
	v_fma_f32 v112, -v104, v111, 1.0
	v_fmac_f32_e32 v111, v112, v111
	s_delay_alu instid0(VALU_DEP_1) | instskip(NEXT) | instid1(VALU_DEP_1)
	v_mul_f32_e32 v112, v113, v111
	v_fma_f32 v114, -v104, v112, v113
	s_delay_alu instid0(VALU_DEP_1) | instskip(NEXT) | instid1(VALU_DEP_1)
	v_fmac_f32_e32 v112, v114, v111
	v_fma_f32 v104, -v104, v112, v113
	s_delay_alu instid0(VALU_DEP_1) | instskip(NEXT) | instid1(VALU_DEP_1)
	v_div_fmas_f32 v104, v104, v111, v112
	v_div_fixup_f32 v105, v104, v105, 1.0
	s_delay_alu instid0(VALU_DEP_1)
	v_mul_f32_e32 v104, v103, v105
	v_xor_b32_e32 v105, 0x80000000, v105
.LBB94_154:
	s_and_not1_saveexec_b32 s1, s1
	s_cbranch_execz .LBB94_156
; %bb.155:
	s_delay_alu instid0(VALU_DEP_1) | instskip(SKIP_1) | instid1(VALU_DEP_2)
	v_div_scale_f32 v103, null, v104, v104, v105
	v_div_scale_f32 v113, vcc_lo, v105, v104, v105
	v_rcp_f32_e32 v111, v103
	v_nop
	s_delay_alu instid0(TRANS32_DEP_1) | instskip(NEXT) | instid1(VALU_DEP_1)
	v_fma_f32 v112, -v103, v111, 1.0
	v_fmac_f32_e32 v111, v112, v111
	s_delay_alu instid0(VALU_DEP_1) | instskip(NEXT) | instid1(VALU_DEP_1)
	v_mul_f32_e32 v112, v113, v111
	v_fma_f32 v114, -v103, v112, v113
	s_delay_alu instid0(VALU_DEP_1) | instskip(NEXT) | instid1(VALU_DEP_1)
	v_fmac_f32_e32 v112, v114, v111
	v_fma_f32 v103, -v103, v112, v113
	s_delay_alu instid0(VALU_DEP_1) | instskip(NEXT) | instid1(VALU_DEP_1)
	v_div_fmas_f32 v103, v103, v111, v112
	v_div_fixup_f32 v103, v103, v104, v105
	s_delay_alu instid0(VALU_DEP_1) | instskip(NEXT) | instid1(VALU_DEP_1)
	v_fmac_f32_e32 v104, v105, v103
	v_div_scale_f32 v105, null, v104, v104, 1.0
	s_delay_alu instid0(VALU_DEP_1) | instskip(SKIP_1) | instid1(TRANS32_DEP_1)
	v_rcp_f32_e32 v111, v105
	v_nop
	v_fma_f32 v112, -v105, v111, 1.0
	s_delay_alu instid0(VALU_DEP_1) | instskip(SKIP_1) | instid1(VALU_DEP_1)
	v_fmac_f32_e32 v111, v112, v111
	v_div_scale_f32 v112, vcc_lo, 1.0, v104, 1.0
	v_mul_f32_e32 v113, v112, v111
	s_delay_alu instid0(VALU_DEP_1) | instskip(NEXT) | instid1(VALU_DEP_1)
	v_fma_f32 v114, -v105, v113, v112
	v_fmac_f32_e32 v113, v114, v111
	s_delay_alu instid0(VALU_DEP_1) | instskip(NEXT) | instid1(VALU_DEP_1)
	v_fma_f32 v105, -v105, v113, v112
	v_div_fmas_f32 v105, v105, v111, v113
	s_delay_alu instid0(VALU_DEP_1) | instskip(NEXT) | instid1(VALU_DEP_1)
	v_div_fixup_f32 v104, v105, v104, 1.0
	v_mul_f32_e64 v105, v103, -v104
.LBB94_156:
	s_or_b32 exec_lo, exec_lo, s1
.LBB94_157:
	s_delay_alu instid0(SALU_CYCLE_1) | instskip(NEXT) | instid1(SALU_CYCLE_1)
	s_or_b32 exec_lo, exec_lo, s0
	s_mov_b32 s0, exec_lo
	v_cmpx_ne_u32_e64 v110, v102
	s_xor_b32 s0, exec_lo, s0
	s_cbranch_execz .LBB94_163
; %bb.158:
	s_mov_b32 s1, exec_lo
	v_cmpx_eq_u32_e32 7, v110
	s_cbranch_execz .LBB94_162
; %bb.159:
	v_cmp_ne_u32_e32 vcc_lo, 7, v102
	s_xor_b32 s12, s16, -1
	s_delay_alu instid0(SALU_CYCLE_1) | instskip(NEXT) | instid1(SALU_CYCLE_1)
	s_and_b32 s13, s12, vcc_lo
	s_and_saveexec_b32 s12, s13
	s_cbranch_execz .LBB94_161
; %bb.160:
	v_ashrrev_i32_e32 v103, 31, v102
	s_delay_alu instid0(VALU_DEP_1)
	v_lshl_add_u64 v[110:111], v[102:103], 2, v[4:5]
	s_clause 0x1
	global_load_b32 v103, v[110:111], off
	global_load_b32 v109, v[4:5], off offset:28
	s_wait_loadcnt 0x1
	global_store_b32 v[4:5], v103, off offset:28
	s_wait_loadcnt 0x0
	global_store_b32 v[110:111], v109, off
.LBB94_161:
	s_wait_xcnt 0x0
	s_or_b32 exec_lo, exec_lo, s12
	v_dual_mov_b32 v110, v102 :: v_dual_mov_b32 v109, v102
.LBB94_162:
	s_or_b32 exec_lo, exec_lo, s1
.LBB94_163:
	s_and_not1_saveexec_b32 s0, s0
	s_cbranch_execz .LBB94_165
; %bb.164:
	v_dual_mov_b32 v102, v90 :: v_dual_mov_b32 v103, v91
	v_dual_mov_b32 v110, v86 :: v_dual_mov_b32 v111, v87
	ds_store_2addr_b64 v106, v[102:103], v[110:111] offset0:8 offset1:9
	v_dual_mov_b32 v102, v88 :: v_dual_mov_b32 v103, v89
	v_dual_mov_b32 v110, v32 :: v_dual_mov_b32 v111, v33
	ds_store_2addr_b64 v106, v[102:103], v[110:111] offset0:10 offset1:11
	;; [unrolled: 3-line block ×19, first 2 shown]
	v_dual_mov_b32 v102, v14 :: v_dual_mov_b32 v103, v15
	v_mov_b32_e32 v110, 7
	ds_store_2addr_b64 v106, v[102:103], v[100:101] offset0:46 offset1:47
.LBB94_165:
	s_or_b32 exec_lo, exec_lo, s0
	s_delay_alu instid0(SALU_CYCLE_1)
	s_mov_b32 s0, exec_lo
	s_wait_storecnt_dscnt 0x0
	s_barrier_signal -1
	s_barrier_wait -1
	v_cmpx_lt_i32_e32 7, v110
	s_cbranch_execz .LBB94_167
; %bb.166:
	v_pk_mul_f32 v[112:113], v[104:105], v[16:17] op_sel:[1,1] op_sel_hi:[0,1]
	s_delay_alu instid0(VALU_DEP_1)
	v_pk_fma_f32 v[102:103], v[104:105], v[16:17], v[112:113] op_sel_hi:[1,0,1] neg_lo:[0,0,1] neg_hi:[0,0,1]
	v_pk_fma_f32 v[104:105], v[104:105], v[16:17], v[112:113] op_sel_hi:[1,0,1]
	ds_load_2addr_b64 v[112:115], v106 offset0:8 offset1:9
	v_dual_mov_b32 v16, v102 :: v_dual_mov_b32 v17, v105
	s_wait_dscnt 0x0
	v_pk_mul_f32 v[116:117], v[112:113], v[104:105] op_sel:[0,1]
	s_delay_alu instid0(VALU_DEP_1) | instskip(SKIP_1) | instid1(VALU_DEP_1)
	v_pk_fma_f32 v[118:119], v[112:113], v[102:103], v[116:117] op_sel:[0,0,1] op_sel_hi:[1,1,0] neg_lo:[0,0,1] neg_hi:[0,0,1]
	v_pk_fma_f32 v[112:113], v[112:113], v[102:103], v[116:117] op_sel:[0,0,1] op_sel_hi:[1,0,0]
	v_mov_b32_e32 v119, v113
	v_pk_mul_f32 v[112:113], v[114:115], v[104:105] op_sel:[0,1]
	s_delay_alu instid0(VALU_DEP_1) | instskip(SKIP_1) | instid1(VALU_DEP_1)
	v_pk_fma_f32 v[116:117], v[114:115], v[102:103], v[112:113] op_sel:[0,0,1] op_sel_hi:[1,1,0] neg_lo:[0,0,1] neg_hi:[0,0,1]
	v_pk_fma_f32 v[112:113], v[114:115], v[102:103], v[112:113] op_sel:[0,0,1] op_sel_hi:[1,0,0]
	v_mov_b32_e32 v117, v113
	ds_load_2addr_b64 v[112:115], v106 offset0:10 offset1:11
	v_pk_add_f32 v[90:91], v[90:91], v[118:119] neg_lo:[0,1] neg_hi:[0,1]
	v_pk_add_f32 v[86:87], v[86:87], v[116:117] neg_lo:[0,1] neg_hi:[0,1]
	s_wait_dscnt 0x0
	v_pk_mul_f32 v[116:117], v[112:113], v[104:105] op_sel:[0,1]
	s_delay_alu instid0(VALU_DEP_1) | instskip(SKIP_2) | instid1(VALU_DEP_2)
	v_pk_fma_f32 v[118:119], v[112:113], v[102:103], v[116:117] op_sel:[0,0,1] op_sel_hi:[1,1,0] neg_lo:[0,0,1] neg_hi:[0,0,1]
	v_pk_fma_f32 v[112:113], v[112:113], v[102:103], v[116:117] op_sel:[0,0,1] op_sel_hi:[1,0,0]
	v_dual_mul_f32 v116, v115, v105 :: v_dual_mov_b32 v112, v115
	v_dual_mov_b32 v119, v113 :: v_dual_mov_b32 v113, v114
	s_delay_alu instid0(VALU_DEP_2) | instskip(SKIP_1) | instid1(VALU_DEP_3)
	v_pk_fma_f32 v[116:117], v[114:115], v[16:17], v[116:117] op_sel_hi:[1,1,0] neg_lo:[0,0,1] neg_hi:[0,0,1]
	v_mul_f32_e32 v114, v115, v102
	v_pk_add_f32 v[88:89], v[88:89], v[118:119] neg_lo:[0,1] neg_hi:[0,1]
	s_delay_alu instid0(VALU_DEP_2) | instskip(NEXT) | instid1(VALU_DEP_1)
	v_pk_fma_f32 v[112:113], v[112:113], v[16:17], v[114:115] op_sel_hi:[1,1,0]
	v_mov_b32_e32 v117, v113
	ds_load_2addr_b64 v[112:115], v106 offset0:12 offset1:13
	v_pk_add_f32 v[32:33], v[32:33], v[116:117] neg_lo:[0,1] neg_hi:[0,1]
	s_wait_dscnt 0x0
	v_pk_mul_f32 v[116:117], v[112:113], v[104:105] op_sel:[0,1]
	s_delay_alu instid0(VALU_DEP_1) | instskip(SKIP_1) | instid1(VALU_DEP_1)
	v_pk_fma_f32 v[118:119], v[112:113], v[102:103], v[116:117] op_sel:[0,0,1] op_sel_hi:[1,1,0] neg_lo:[0,0,1] neg_hi:[0,0,1]
	v_pk_fma_f32 v[112:113], v[112:113], v[102:103], v[116:117] op_sel:[0,0,1] op_sel_hi:[1,0,0]
	v_mov_b32_e32 v119, v113
	v_pk_mul_f32 v[112:113], v[114:115], v[104:105] op_sel:[0,1]
	s_delay_alu instid0(VALU_DEP_1) | instskip(SKIP_1) | instid1(VALU_DEP_1)
	v_pk_fma_f32 v[116:117], v[114:115], v[102:103], v[112:113] op_sel:[0,0,1] op_sel_hi:[1,1,0] neg_lo:[0,0,1] neg_hi:[0,0,1]
	v_pk_fma_f32 v[112:113], v[114:115], v[102:103], v[112:113] op_sel:[0,0,1] op_sel_hi:[1,0,0]
	v_mov_b32_e32 v117, v113
	ds_load_2addr_b64 v[112:115], v106 offset0:14 offset1:15
	v_pk_add_f32 v[84:85], v[84:85], v[118:119] neg_lo:[0,1] neg_hi:[0,1]
	v_pk_add_f32 v[80:81], v[80:81], v[116:117] neg_lo:[0,1] neg_hi:[0,1]
	s_wait_dscnt 0x0
	v_pk_mul_f32 v[116:117], v[112:113], v[104:105] op_sel:[0,1]
	s_delay_alu instid0(VALU_DEP_1) | instskip(SKIP_1) | instid1(VALU_DEP_1)
	v_pk_fma_f32 v[118:119], v[112:113], v[102:103], v[116:117] op_sel:[0,0,1] op_sel_hi:[1,1,0] neg_lo:[0,0,1] neg_hi:[0,0,1]
	v_pk_fma_f32 v[112:113], v[112:113], v[102:103], v[116:117] op_sel:[0,0,1] op_sel_hi:[1,0,0]
	v_mov_b32_e32 v119, v113
	v_pk_mul_f32 v[112:113], v[114:115], v[104:105] op_sel:[0,1]
	s_delay_alu instid0(VALU_DEP_1) | instskip(SKIP_1) | instid1(VALU_DEP_1)
	v_pk_fma_f32 v[116:117], v[114:115], v[102:103], v[112:113] op_sel:[0,0,1] op_sel_hi:[1,1,0] neg_lo:[0,0,1] neg_hi:[0,0,1]
	v_pk_fma_f32 v[112:113], v[114:115], v[102:103], v[112:113] op_sel:[0,0,1] op_sel_hi:[1,0,0]
	v_mov_b32_e32 v117, v113
	ds_load_2addr_b64 v[112:115], v106 offset0:16 offset1:17
	v_pk_add_f32 v[82:83], v[82:83], v[118:119] neg_lo:[0,1] neg_hi:[0,1]
	v_pk_add_f32 v[26:27], v[26:27], v[116:117] neg_lo:[0,1] neg_hi:[0,1]
	s_wait_dscnt 0x0
	v_dual_mul_f32 v116, v113, v105 :: v_dual_mul_f32 v118, v113, v102
	s_delay_alu instid0(VALU_DEP_1) | instskip(NEXT) | instid1(VALU_DEP_2)
	v_pk_fma_f32 v[116:117], v[112:113], v[16:17], v[116:117] op_sel_hi:[1,1,0] neg_lo:[0,0,1] neg_hi:[0,0,1]
	v_pk_fma_f32 v[112:113], v[112:113], v[16:17], v[118:119] op_sel:[1,0,0] op_sel_hi:[0,1,0]
	s_delay_alu instid0(VALU_DEP_1) | instskip(SKIP_1) | instid1(VALU_DEP_2)
	v_mov_b32_e32 v117, v113
	v_pk_mul_f32 v[112:113], v[114:115], v[104:105] op_sel:[0,1]
	v_pk_add_f32 v[78:79], v[78:79], v[116:117] neg_lo:[0,1] neg_hi:[0,1]
	s_delay_alu instid0(VALU_DEP_2) | instskip(SKIP_1) | instid1(VALU_DEP_1)
	v_pk_fma_f32 v[116:117], v[114:115], v[102:103], v[112:113] op_sel:[0,0,1] op_sel_hi:[1,1,0] neg_lo:[0,0,1] neg_hi:[0,0,1]
	v_pk_fma_f32 v[112:113], v[114:115], v[102:103], v[112:113] op_sel:[0,0,1] op_sel_hi:[1,0,0]
	v_mov_b32_e32 v117, v113
	ds_load_2addr_b64 v[112:115], v106 offset0:18 offset1:19
	v_pk_add_f32 v[74:75], v[74:75], v[116:117] neg_lo:[0,1] neg_hi:[0,1]
	s_wait_dscnt 0x0
	v_pk_mul_f32 v[116:117], v[112:113], v[104:105] op_sel:[0,1]
	s_delay_alu instid0(VALU_DEP_1) | instskip(SKIP_1) | instid1(VALU_DEP_1)
	v_pk_fma_f32 v[118:119], v[112:113], v[102:103], v[116:117] op_sel:[0,0,1] op_sel_hi:[1,1,0] neg_lo:[0,0,1] neg_hi:[0,0,1]
	v_pk_fma_f32 v[112:113], v[112:113], v[102:103], v[116:117] op_sel:[0,0,1] op_sel_hi:[1,0,0]
	v_mov_b32_e32 v119, v113
	v_pk_mul_f32 v[112:113], v[114:115], v[104:105] op_sel:[0,1]
	s_delay_alu instid0(VALU_DEP_2) | instskip(NEXT) | instid1(VALU_DEP_2)
	v_pk_add_f32 v[76:77], v[76:77], v[118:119] neg_lo:[0,1] neg_hi:[0,1]
	v_pk_fma_f32 v[116:117], v[114:115], v[102:103], v[112:113] op_sel:[0,0,1] op_sel_hi:[1,1,0] neg_lo:[0,0,1] neg_hi:[0,0,1]
	v_pk_fma_f32 v[112:113], v[114:115], v[102:103], v[112:113] op_sel:[0,0,1] op_sel_hi:[1,0,0]
	s_delay_alu instid0(VALU_DEP_1) | instskip(SKIP_4) | instid1(VALU_DEP_1)
	v_mov_b32_e32 v117, v113
	ds_load_2addr_b64 v[112:115], v106 offset0:20 offset1:21
	v_pk_add_f32 v[24:25], v[24:25], v[116:117] neg_lo:[0,1] neg_hi:[0,1]
	s_wait_dscnt 0x0
	v_pk_mul_f32 v[116:117], v[112:113], v[104:105] op_sel:[0,1]
	v_pk_fma_f32 v[118:119], v[112:113], v[102:103], v[116:117] op_sel:[0,0,1] op_sel_hi:[1,1,0] neg_lo:[0,0,1] neg_hi:[0,0,1]
	v_pk_fma_f32 v[112:113], v[112:113], v[102:103], v[116:117] op_sel:[0,0,1] op_sel_hi:[1,0,0]
	v_dual_mul_f32 v116, v115, v105 :: v_dual_mov_b32 v112, v115
	s_delay_alu instid0(VALU_DEP_2) | instskip(NEXT) | instid1(VALU_DEP_2)
	v_dual_mov_b32 v119, v113 :: v_dual_mov_b32 v113, v114
	v_pk_fma_f32 v[116:117], v[114:115], v[16:17], v[116:117] op_sel_hi:[1,1,0] neg_lo:[0,0,1] neg_hi:[0,0,1]
	v_mul_f32_e32 v114, v115, v102
	s_delay_alu instid0(VALU_DEP_3) | instskip(NEXT) | instid1(VALU_DEP_2)
	v_pk_add_f32 v[72:73], v[72:73], v[118:119] neg_lo:[0,1] neg_hi:[0,1]
	v_pk_fma_f32 v[112:113], v[112:113], v[16:17], v[114:115] op_sel_hi:[1,1,0]
	s_delay_alu instid0(VALU_DEP_1) | instskip(SKIP_4) | instid1(VALU_DEP_1)
	v_mov_b32_e32 v117, v113
	ds_load_2addr_b64 v[112:115], v106 offset0:22 offset1:23
	v_pk_add_f32 v[68:69], v[68:69], v[116:117] neg_lo:[0,1] neg_hi:[0,1]
	s_wait_dscnt 0x0
	v_pk_mul_f32 v[116:117], v[112:113], v[104:105] op_sel:[0,1]
	v_pk_fma_f32 v[118:119], v[112:113], v[102:103], v[116:117] op_sel:[0,0,1] op_sel_hi:[1,1,0] neg_lo:[0,0,1] neg_hi:[0,0,1]
	v_pk_fma_f32 v[112:113], v[112:113], v[102:103], v[116:117] op_sel:[0,0,1] op_sel_hi:[1,0,0]
	s_delay_alu instid0(VALU_DEP_1) | instskip(SKIP_1) | instid1(VALU_DEP_1)
	v_mov_b32_e32 v119, v113
	v_pk_mul_f32 v[112:113], v[114:115], v[104:105] op_sel:[0,1]
	v_pk_fma_f32 v[116:117], v[114:115], v[102:103], v[112:113] op_sel:[0,0,1] op_sel_hi:[1,1,0] neg_lo:[0,0,1] neg_hi:[0,0,1]
	v_pk_fma_f32 v[112:113], v[114:115], v[102:103], v[112:113] op_sel:[0,0,1] op_sel_hi:[1,0,0]
	s_delay_alu instid0(VALU_DEP_1)
	v_mov_b32_e32 v117, v113
	ds_load_2addr_b64 v[112:115], v106 offset0:24 offset1:25
	v_pk_add_f32 v[70:71], v[70:71], v[118:119] neg_lo:[0,1] neg_hi:[0,1]
	v_pk_add_f32 v[22:23], v[22:23], v[116:117] neg_lo:[0,1] neg_hi:[0,1]
	s_wait_dscnt 0x0
	v_pk_mul_f32 v[116:117], v[112:113], v[104:105] op_sel:[0,1]
	s_delay_alu instid0(VALU_DEP_1) | instskip(SKIP_1) | instid1(VALU_DEP_1)
	v_pk_fma_f32 v[118:119], v[112:113], v[102:103], v[116:117] op_sel:[0,0,1] op_sel_hi:[1,1,0] neg_lo:[0,0,1] neg_hi:[0,0,1]
	v_pk_fma_f32 v[112:113], v[112:113], v[102:103], v[116:117] op_sel:[0,0,1] op_sel_hi:[1,0,0]
	v_mov_b32_e32 v119, v113
	v_pk_mul_f32 v[112:113], v[114:115], v[104:105] op_sel:[0,1]
	s_delay_alu instid0(VALU_DEP_1) | instskip(SKIP_1) | instid1(VALU_DEP_1)
	v_pk_fma_f32 v[116:117], v[114:115], v[102:103], v[112:113] op_sel:[0,0,1] op_sel_hi:[1,1,0] neg_lo:[0,0,1] neg_hi:[0,0,1]
	v_pk_fma_f32 v[112:113], v[114:115], v[102:103], v[112:113] op_sel:[0,0,1] op_sel_hi:[1,0,0]
	v_mov_b32_e32 v117, v113
	ds_load_2addr_b64 v[112:115], v106 offset0:26 offset1:27
	v_pk_add_f32 v[66:67], v[66:67], v[118:119] neg_lo:[0,1] neg_hi:[0,1]
	v_pk_add_f32 v[62:63], v[62:63], v[116:117] neg_lo:[0,1] neg_hi:[0,1]
	s_wait_dscnt 0x0
	v_dual_mul_f32 v116, v113, v105 :: v_dual_mul_f32 v118, v113, v102
	s_delay_alu instid0(VALU_DEP_1) | instskip(NEXT) | instid1(VALU_DEP_2)
	v_pk_fma_f32 v[116:117], v[112:113], v[16:17], v[116:117] op_sel_hi:[1,1,0] neg_lo:[0,0,1] neg_hi:[0,0,1]
	v_pk_fma_f32 v[112:113], v[112:113], v[16:17], v[118:119] op_sel:[1,0,0] op_sel_hi:[0,1,0]
	s_delay_alu instid0(VALU_DEP_1) | instskip(SKIP_1) | instid1(VALU_DEP_2)
	v_mov_b32_e32 v117, v113
	v_pk_mul_f32 v[112:113], v[114:115], v[104:105] op_sel:[0,1]
	v_pk_add_f32 v[64:65], v[64:65], v[116:117] neg_lo:[0,1] neg_hi:[0,1]
	s_delay_alu instid0(VALU_DEP_2) | instskip(SKIP_1) | instid1(VALU_DEP_1)
	v_pk_fma_f32 v[116:117], v[114:115], v[102:103], v[112:113] op_sel:[0,0,1] op_sel_hi:[1,1,0] neg_lo:[0,0,1] neg_hi:[0,0,1]
	v_pk_fma_f32 v[112:113], v[114:115], v[102:103], v[112:113] op_sel:[0,0,1] op_sel_hi:[1,0,0]
	v_mov_b32_e32 v117, v113
	ds_load_2addr_b64 v[112:115], v106 offset0:28 offset1:29
	v_pk_add_f32 v[20:21], v[20:21], v[116:117] neg_lo:[0,1] neg_hi:[0,1]
	s_wait_dscnt 0x0
	v_pk_mul_f32 v[116:117], v[112:113], v[104:105] op_sel:[0,1]
	s_delay_alu instid0(VALU_DEP_1) | instskip(SKIP_1) | instid1(VALU_DEP_1)
	v_pk_fma_f32 v[118:119], v[112:113], v[102:103], v[116:117] op_sel:[0,0,1] op_sel_hi:[1,1,0] neg_lo:[0,0,1] neg_hi:[0,0,1]
	v_pk_fma_f32 v[112:113], v[112:113], v[102:103], v[116:117] op_sel:[0,0,1] op_sel_hi:[1,0,0]
	v_mov_b32_e32 v119, v113
	v_pk_mul_f32 v[112:113], v[114:115], v[104:105] op_sel:[0,1]
	s_delay_alu instid0(VALU_DEP_2) | instskip(NEXT) | instid1(VALU_DEP_2)
	v_pk_add_f32 v[54:55], v[54:55], v[118:119] neg_lo:[0,1] neg_hi:[0,1]
	v_pk_fma_f32 v[116:117], v[114:115], v[102:103], v[112:113] op_sel:[0,0,1] op_sel_hi:[1,1,0] neg_lo:[0,0,1] neg_hi:[0,0,1]
	v_pk_fma_f32 v[112:113], v[114:115], v[102:103], v[112:113] op_sel:[0,0,1] op_sel_hi:[1,0,0]
	s_delay_alu instid0(VALU_DEP_1) | instskip(SKIP_4) | instid1(VALU_DEP_1)
	v_mov_b32_e32 v117, v113
	ds_load_2addr_b64 v[112:115], v106 offset0:30 offset1:31
	v_pk_add_f32 v[50:51], v[50:51], v[116:117] neg_lo:[0,1] neg_hi:[0,1]
	s_wait_dscnt 0x0
	v_pk_mul_f32 v[116:117], v[112:113], v[104:105] op_sel:[0,1]
	v_pk_fma_f32 v[118:119], v[112:113], v[102:103], v[116:117] op_sel:[0,0,1] op_sel_hi:[1,1,0] neg_lo:[0,0,1] neg_hi:[0,0,1]
	v_pk_fma_f32 v[112:113], v[112:113], v[102:103], v[116:117] op_sel:[0,0,1] op_sel_hi:[1,0,0]
	v_dual_mul_f32 v116, v115, v105 :: v_dual_mov_b32 v112, v115
	s_delay_alu instid0(VALU_DEP_2) | instskip(NEXT) | instid1(VALU_DEP_2)
	v_dual_mov_b32 v119, v113 :: v_dual_mov_b32 v113, v114
	v_pk_fma_f32 v[116:117], v[114:115], v[16:17], v[116:117] op_sel_hi:[1,1,0] neg_lo:[0,0,1] neg_hi:[0,0,1]
	v_mul_f32_e32 v114, v115, v102
	s_delay_alu instid0(VALU_DEP_3) | instskip(NEXT) | instid1(VALU_DEP_2)
	v_pk_add_f32 v[52:53], v[52:53], v[118:119] neg_lo:[0,1] neg_hi:[0,1]
	v_pk_fma_f32 v[112:113], v[112:113], v[16:17], v[114:115] op_sel_hi:[1,1,0]
	s_delay_alu instid0(VALU_DEP_1) | instskip(SKIP_4) | instid1(VALU_DEP_1)
	v_mov_b32_e32 v117, v113
	ds_load_2addr_b64 v[112:115], v106 offset0:32 offset1:33
	v_pk_add_f32 v[12:13], v[12:13], v[116:117] neg_lo:[0,1] neg_hi:[0,1]
	s_wait_dscnt 0x0
	v_pk_mul_f32 v[116:117], v[112:113], v[104:105] op_sel:[0,1]
	v_pk_fma_f32 v[118:119], v[112:113], v[102:103], v[116:117] op_sel:[0,0,1] op_sel_hi:[1,1,0] neg_lo:[0,0,1] neg_hi:[0,0,1]
	v_pk_fma_f32 v[112:113], v[112:113], v[102:103], v[116:117] op_sel:[0,0,1] op_sel_hi:[1,0,0]
	s_delay_alu instid0(VALU_DEP_1) | instskip(SKIP_1) | instid1(VALU_DEP_1)
	v_mov_b32_e32 v119, v113
	v_pk_mul_f32 v[112:113], v[114:115], v[104:105] op_sel:[0,1]
	v_pk_fma_f32 v[116:117], v[114:115], v[102:103], v[112:113] op_sel:[0,0,1] op_sel_hi:[1,1,0] neg_lo:[0,0,1] neg_hi:[0,0,1]
	v_pk_fma_f32 v[112:113], v[114:115], v[102:103], v[112:113] op_sel:[0,0,1] op_sel_hi:[1,0,0]
	s_delay_alu instid0(VALU_DEP_1)
	v_mov_b32_e32 v117, v113
	ds_load_2addr_b64 v[112:115], v106 offset0:34 offset1:35
	v_pk_add_f32 v[48:49], v[48:49], v[118:119] neg_lo:[0,1] neg_hi:[0,1]
	v_pk_add_f32 v[44:45], v[44:45], v[116:117] neg_lo:[0,1] neg_hi:[0,1]
	s_wait_dscnt 0x0
	v_pk_mul_f32 v[116:117], v[112:113], v[104:105] op_sel:[0,1]
	s_delay_alu instid0(VALU_DEP_1) | instskip(SKIP_1) | instid1(VALU_DEP_1)
	v_pk_fma_f32 v[118:119], v[112:113], v[102:103], v[116:117] op_sel:[0,0,1] op_sel_hi:[1,1,0] neg_lo:[0,0,1] neg_hi:[0,0,1]
	v_pk_fma_f32 v[112:113], v[112:113], v[102:103], v[116:117] op_sel:[0,0,1] op_sel_hi:[1,0,0]
	v_mov_b32_e32 v119, v113
	v_pk_mul_f32 v[112:113], v[114:115], v[104:105] op_sel:[0,1]
	s_delay_alu instid0(VALU_DEP_1) | instskip(SKIP_1) | instid1(VALU_DEP_1)
	v_pk_fma_f32 v[116:117], v[114:115], v[102:103], v[112:113] op_sel:[0,0,1] op_sel_hi:[1,1,0] neg_lo:[0,0,1] neg_hi:[0,0,1]
	v_pk_fma_f32 v[112:113], v[114:115], v[102:103], v[112:113] op_sel:[0,0,1] op_sel_hi:[1,0,0]
	v_mov_b32_e32 v117, v113
	ds_load_2addr_b64 v[112:115], v106 offset0:36 offset1:37
	v_pk_add_f32 v[46:47], v[46:47], v[118:119] neg_lo:[0,1] neg_hi:[0,1]
	v_pk_add_f32 v[10:11], v[10:11], v[116:117] neg_lo:[0,1] neg_hi:[0,1]
	s_wait_dscnt 0x0
	v_dual_mul_f32 v116, v113, v105 :: v_dual_mul_f32 v118, v113, v102
	s_delay_alu instid0(VALU_DEP_1) | instskip(NEXT) | instid1(VALU_DEP_2)
	v_pk_fma_f32 v[116:117], v[112:113], v[16:17], v[116:117] op_sel_hi:[1,1,0] neg_lo:[0,0,1] neg_hi:[0,0,1]
	v_pk_fma_f32 v[112:113], v[112:113], v[16:17], v[118:119] op_sel:[1,0,0] op_sel_hi:[0,1,0]
	s_delay_alu instid0(VALU_DEP_1) | instskip(SKIP_1) | instid1(VALU_DEP_2)
	v_mov_b32_e32 v117, v113
	v_pk_mul_f32 v[112:113], v[114:115], v[104:105] op_sel:[0,1]
	v_pk_add_f32 v[42:43], v[42:43], v[116:117] neg_lo:[0,1] neg_hi:[0,1]
	s_delay_alu instid0(VALU_DEP_2) | instskip(SKIP_1) | instid1(VALU_DEP_1)
	v_pk_fma_f32 v[116:117], v[114:115], v[102:103], v[112:113] op_sel:[0,0,1] op_sel_hi:[1,1,0] neg_lo:[0,0,1] neg_hi:[0,0,1]
	v_pk_fma_f32 v[112:113], v[114:115], v[102:103], v[112:113] op_sel:[0,0,1] op_sel_hi:[1,0,0]
	v_mov_b32_e32 v117, v113
	ds_load_2addr_b64 v[112:115], v106 offset0:38 offset1:39
	v_pk_add_f32 v[38:39], v[38:39], v[116:117] neg_lo:[0,1] neg_hi:[0,1]
	s_wait_dscnt 0x0
	v_pk_mul_f32 v[116:117], v[112:113], v[104:105] op_sel:[0,1]
	s_delay_alu instid0(VALU_DEP_1) | instskip(SKIP_1) | instid1(VALU_DEP_1)
	v_pk_fma_f32 v[118:119], v[112:113], v[102:103], v[116:117] op_sel:[0,0,1] op_sel_hi:[1,1,0] neg_lo:[0,0,1] neg_hi:[0,0,1]
	v_pk_fma_f32 v[112:113], v[112:113], v[102:103], v[116:117] op_sel:[0,0,1] op_sel_hi:[1,0,0]
	v_mov_b32_e32 v119, v113
	v_pk_mul_f32 v[112:113], v[114:115], v[104:105] op_sel:[0,1]
	s_delay_alu instid0(VALU_DEP_2) | instskip(NEXT) | instid1(VALU_DEP_2)
	v_pk_add_f32 v[40:41], v[40:41], v[118:119] neg_lo:[0,1] neg_hi:[0,1]
	v_pk_fma_f32 v[116:117], v[114:115], v[102:103], v[112:113] op_sel:[0,0,1] op_sel_hi:[1,1,0] neg_lo:[0,0,1] neg_hi:[0,0,1]
	v_pk_fma_f32 v[112:113], v[114:115], v[102:103], v[112:113] op_sel:[0,0,1] op_sel_hi:[1,0,0]
	s_delay_alu instid0(VALU_DEP_1) | instskip(SKIP_4) | instid1(VALU_DEP_1)
	v_mov_b32_e32 v117, v113
	ds_load_2addr_b64 v[112:115], v106 offset0:40 offset1:41
	v_pk_add_f32 v[6:7], v[6:7], v[116:117] neg_lo:[0,1] neg_hi:[0,1]
	s_wait_dscnt 0x0
	v_pk_mul_f32 v[116:117], v[112:113], v[104:105] op_sel:[0,1]
	v_pk_fma_f32 v[118:119], v[112:113], v[102:103], v[116:117] op_sel:[0,0,1] op_sel_hi:[1,1,0] neg_lo:[0,0,1] neg_hi:[0,0,1]
	v_pk_fma_f32 v[112:113], v[112:113], v[102:103], v[116:117] op_sel:[0,0,1] op_sel_hi:[1,0,0]
	v_dual_mul_f32 v116, v115, v105 :: v_dual_mov_b32 v112, v115
	s_delay_alu instid0(VALU_DEP_2) | instskip(NEXT) | instid1(VALU_DEP_2)
	v_dual_mov_b32 v119, v113 :: v_dual_mov_b32 v113, v114
	v_pk_fma_f32 v[116:117], v[114:115], v[16:17], v[116:117] op_sel_hi:[1,1,0] neg_lo:[0,0,1] neg_hi:[0,0,1]
	v_mul_f32_e32 v114, v115, v102
	s_delay_alu instid0(VALU_DEP_3) | instskip(NEXT) | instid1(VALU_DEP_2)
	v_pk_add_f32 v[36:37], v[36:37], v[118:119] neg_lo:[0,1] neg_hi:[0,1]
	v_pk_fma_f32 v[112:113], v[112:113], v[16:17], v[114:115] op_sel_hi:[1,1,0]
	s_delay_alu instid0(VALU_DEP_1) | instskip(SKIP_4) | instid1(VALU_DEP_1)
	v_mov_b32_e32 v117, v113
	ds_load_2addr_b64 v[112:115], v106 offset0:42 offset1:43
	v_pk_add_f32 v[30:31], v[30:31], v[116:117] neg_lo:[0,1] neg_hi:[0,1]
	s_wait_dscnt 0x0
	v_pk_mul_f32 v[116:117], v[112:113], v[104:105] op_sel:[0,1]
	v_pk_fma_f32 v[118:119], v[112:113], v[102:103], v[116:117] op_sel:[0,0,1] op_sel_hi:[1,1,0] neg_lo:[0,0,1] neg_hi:[0,0,1]
	v_pk_fma_f32 v[112:113], v[112:113], v[102:103], v[116:117] op_sel:[0,0,1] op_sel_hi:[1,0,0]
	s_delay_alu instid0(VALU_DEP_1) | instskip(SKIP_1) | instid1(VALU_DEP_1)
	v_mov_b32_e32 v119, v113
	v_pk_mul_f32 v[112:113], v[114:115], v[104:105] op_sel:[0,1]
	v_pk_fma_f32 v[116:117], v[114:115], v[102:103], v[112:113] op_sel:[0,0,1] op_sel_hi:[1,1,0] neg_lo:[0,0,1] neg_hi:[0,0,1]
	v_pk_fma_f32 v[112:113], v[114:115], v[102:103], v[112:113] op_sel:[0,0,1] op_sel_hi:[1,0,0]
	s_delay_alu instid0(VALU_DEP_1)
	v_mov_b32_e32 v117, v113
	ds_load_2addr_b64 v[112:115], v106 offset0:44 offset1:45
	v_pk_add_f32 v[34:35], v[34:35], v[118:119] neg_lo:[0,1] neg_hi:[0,1]
	v_pk_add_f32 v[8:9], v[8:9], v[116:117] neg_lo:[0,1] neg_hi:[0,1]
	s_wait_dscnt 0x0
	v_pk_mul_f32 v[116:117], v[112:113], v[104:105] op_sel:[0,1]
	s_delay_alu instid0(VALU_DEP_1) | instskip(SKIP_1) | instid1(VALU_DEP_1)
	v_pk_fma_f32 v[118:119], v[112:113], v[102:103], v[116:117] op_sel:[0,0,1] op_sel_hi:[1,1,0] neg_lo:[0,0,1] neg_hi:[0,0,1]
	v_pk_fma_f32 v[112:113], v[112:113], v[102:103], v[116:117] op_sel:[0,0,1] op_sel_hi:[1,0,0]
	v_mov_b32_e32 v119, v113
	v_pk_mul_f32 v[112:113], v[114:115], v[104:105] op_sel:[0,1]
	s_delay_alu instid0(VALU_DEP_1) | instskip(SKIP_1) | instid1(VALU_DEP_1)
	v_pk_fma_f32 v[116:117], v[114:115], v[102:103], v[112:113] op_sel:[0,0,1] op_sel_hi:[1,1,0] neg_lo:[0,0,1] neg_hi:[0,0,1]
	v_pk_fma_f32 v[112:113], v[114:115], v[102:103], v[112:113] op_sel:[0,0,1] op_sel_hi:[1,0,0]
	v_mov_b32_e32 v117, v113
	ds_load_2addr_b64 v[112:115], v106 offset0:46 offset1:47
	v_pk_add_f32 v[28:29], v[28:29], v[118:119] neg_lo:[0,1] neg_hi:[0,1]
	v_pk_add_f32 v[18:19], v[18:19], v[116:117] neg_lo:[0,1] neg_hi:[0,1]
	s_wait_dscnt 0x0
	v_dual_mul_f32 v116, v113, v105 :: v_dual_mul_f32 v118, v113, v102
	v_pk_mul_f32 v[104:105], v[114:115], v[104:105] op_sel:[0,1]
	s_delay_alu instid0(VALU_DEP_2) | instskip(NEXT) | instid1(VALU_DEP_3)
	v_pk_fma_f32 v[116:117], v[112:113], v[16:17], v[116:117] op_sel_hi:[1,1,0] neg_lo:[0,0,1] neg_hi:[0,0,1]
	v_pk_fma_f32 v[112:113], v[112:113], v[16:17], v[118:119] op_sel:[1,0,0] op_sel_hi:[0,1,0]
	s_delay_alu instid0(VALU_DEP_1) | instskip(NEXT) | instid1(VALU_DEP_4)
	v_mov_b32_e32 v117, v113
	v_pk_fma_f32 v[112:113], v[114:115], v[102:103], v[104:105] op_sel:[0,0,1] op_sel_hi:[1,1,0] neg_lo:[0,0,1] neg_hi:[0,0,1]
	v_pk_fma_f32 v[102:103], v[114:115], v[102:103], v[104:105] op_sel:[0,0,1] op_sel_hi:[1,0,0]
	s_delay_alu instid0(VALU_DEP_1) | instskip(NEXT) | instid1(VALU_DEP_4)
	v_mov_b32_e32 v113, v103
	v_pk_add_f32 v[14:15], v[14:15], v[116:117] neg_lo:[0,1] neg_hi:[0,1]
	s_delay_alu instid0(VALU_DEP_2)
	v_pk_add_f32 v[100:101], v[100:101], v[112:113] neg_lo:[0,1] neg_hi:[0,1]
.LBB94_167:
	s_or_b32 exec_lo, exec_lo, s0
	v_lshl_add_u32 v102, v110, 3, v106
	s_barrier_signal -1
	s_barrier_wait -1
	ds_store_b64 v102, v[90:91]
	s_wait_dscnt 0x0
	s_barrier_signal -1
	s_barrier_wait -1
	ds_load_b64 v[104:105], v106 offset:64
	v_mov_b32_e32 v102, 8
	s_cmp_lt_i32 s18, 10
	s_cbranch_scc1 .LBB94_170
; %bb.168:
	v_add3_u32 v103, v107, 0, 0x48
	v_mov_b32_e32 v102, 8
	s_mov_b32 s0, 9
.LBB94_169:                             ; =>This Inner Loop Header: Depth=1
	ds_load_b64 v[112:113], v103
	s_wait_dscnt 0x1
	v_cmp_gt_f32_e32 vcc_lo, 0, v104
	v_cndmask_b32_e64 v114, v104, -v104, vcc_lo
	v_cmp_gt_f32_e32 vcc_lo, 0, v105
	v_cndmask_b32_e64 v116, v105, -v105, vcc_lo
	s_wait_dscnt 0x0
	v_cmp_gt_f32_e32 vcc_lo, 0, v112
	v_cndmask_b32_e64 v115, v112, -v112, vcc_lo
	v_cmp_gt_f32_e32 vcc_lo, 0, v113
	v_cndmask_b32_e64 v117, v113, -v113, vcc_lo
	s_delay_alu instid0(VALU_DEP_1) | instskip(NEXT) | instid1(VALU_DEP_1)
	v_pk_add_f32 v[114:115], v[114:115], v[116:117]
	v_cmp_lt_f32_e32 vcc_lo, v114, v115
	v_dual_add_nc_u32 v103, 8, v103 :: v_dual_cndmask_b32 v105, v105, v113, vcc_lo
	v_cndmask_b32_e32 v104, v104, v112, vcc_lo
	v_cndmask_b32_e64 v102, v102, s0, vcc_lo
	s_add_co_i32 s0, s0, 1
	s_delay_alu instid0(SALU_CYCLE_1)
	s_cmp_lg_u32 s18, s0
	s_cbranch_scc1 .LBB94_169
.LBB94_170:
	s_wait_dscnt 0x0
	v_cmp_eq_f32_e32 vcc_lo, 0, v104
	v_cmp_eq_f32_e64 s0, 0, v105
	s_and_b32 s0, vcc_lo, s0
	s_delay_alu instid0(SALU_CYCLE_1) | instskip(NEXT) | instid1(SALU_CYCLE_1)
	s_and_saveexec_b32 s1, s0
	s_xor_b32 s0, exec_lo, s1
; %bb.171:
	v_cmp_ne_u32_e32 vcc_lo, 0, v108
	v_cndmask_b32_e32 v108, 9, v108, vcc_lo
; %bb.172:
	s_and_not1_saveexec_b32 s0, s0
	s_cbranch_execz .LBB94_178
; %bb.173:
	v_cmp_ngt_f32_e64 s1, |v104|, |v105|
	s_and_saveexec_b32 s12, s1
	s_delay_alu instid0(SALU_CYCLE_1)
	s_xor_b32 s1, exec_lo, s12
	s_cbranch_execz .LBB94_175
; %bb.174:
	v_div_scale_f32 v103, null, v105, v105, v104
	v_div_scale_f32 v113, vcc_lo, v104, v105, v104
	s_delay_alu instid0(VALU_DEP_2) | instskip(SKIP_1) | instid1(TRANS32_DEP_1)
	v_rcp_f32_e32 v111, v103
	v_nop
	v_fma_f32 v112, -v103, v111, 1.0
	s_delay_alu instid0(VALU_DEP_1) | instskip(NEXT) | instid1(VALU_DEP_1)
	v_fmac_f32_e32 v111, v112, v111
	v_mul_f32_e32 v112, v113, v111
	s_delay_alu instid0(VALU_DEP_1) | instskip(NEXT) | instid1(VALU_DEP_1)
	v_fma_f32 v114, -v103, v112, v113
	v_fmac_f32_e32 v112, v114, v111
	s_delay_alu instid0(VALU_DEP_1) | instskip(NEXT) | instid1(VALU_DEP_1)
	v_fma_f32 v103, -v103, v112, v113
	v_div_fmas_f32 v103, v103, v111, v112
	s_delay_alu instid0(VALU_DEP_1) | instskip(NEXT) | instid1(VALU_DEP_1)
	v_div_fixup_f32 v103, v103, v105, v104
	v_fmac_f32_e32 v105, v104, v103
	s_delay_alu instid0(VALU_DEP_1) | instskip(SKIP_1) | instid1(VALU_DEP_2)
	v_div_scale_f32 v104, null, v105, v105, 1.0
	v_div_scale_f32 v113, vcc_lo, 1.0, v105, 1.0
	v_rcp_f32_e32 v111, v104
	v_nop
	s_delay_alu instid0(TRANS32_DEP_1) | instskip(NEXT) | instid1(VALU_DEP_1)
	v_fma_f32 v112, -v104, v111, 1.0
	v_fmac_f32_e32 v111, v112, v111
	s_delay_alu instid0(VALU_DEP_1) | instskip(NEXT) | instid1(VALU_DEP_1)
	v_mul_f32_e32 v112, v113, v111
	v_fma_f32 v114, -v104, v112, v113
	s_delay_alu instid0(VALU_DEP_1) | instskip(NEXT) | instid1(VALU_DEP_1)
	v_fmac_f32_e32 v112, v114, v111
	v_fma_f32 v104, -v104, v112, v113
	s_delay_alu instid0(VALU_DEP_1) | instskip(NEXT) | instid1(VALU_DEP_1)
	v_div_fmas_f32 v104, v104, v111, v112
	v_div_fixup_f32 v105, v104, v105, 1.0
	s_delay_alu instid0(VALU_DEP_1)
	v_mul_f32_e32 v104, v103, v105
	v_xor_b32_e32 v105, 0x80000000, v105
.LBB94_175:
	s_and_not1_saveexec_b32 s1, s1
	s_cbranch_execz .LBB94_177
; %bb.176:
	s_delay_alu instid0(VALU_DEP_1) | instskip(SKIP_1) | instid1(VALU_DEP_2)
	v_div_scale_f32 v103, null, v104, v104, v105
	v_div_scale_f32 v113, vcc_lo, v105, v104, v105
	v_rcp_f32_e32 v111, v103
	v_nop
	s_delay_alu instid0(TRANS32_DEP_1) | instskip(NEXT) | instid1(VALU_DEP_1)
	v_fma_f32 v112, -v103, v111, 1.0
	v_fmac_f32_e32 v111, v112, v111
	s_delay_alu instid0(VALU_DEP_1) | instskip(NEXT) | instid1(VALU_DEP_1)
	v_mul_f32_e32 v112, v113, v111
	v_fma_f32 v114, -v103, v112, v113
	s_delay_alu instid0(VALU_DEP_1) | instskip(NEXT) | instid1(VALU_DEP_1)
	v_fmac_f32_e32 v112, v114, v111
	v_fma_f32 v103, -v103, v112, v113
	s_delay_alu instid0(VALU_DEP_1) | instskip(NEXT) | instid1(VALU_DEP_1)
	v_div_fmas_f32 v103, v103, v111, v112
	v_div_fixup_f32 v103, v103, v104, v105
	s_delay_alu instid0(VALU_DEP_1) | instskip(NEXT) | instid1(VALU_DEP_1)
	v_fmac_f32_e32 v104, v105, v103
	v_div_scale_f32 v105, null, v104, v104, 1.0
	s_delay_alu instid0(VALU_DEP_1) | instskip(SKIP_1) | instid1(TRANS32_DEP_1)
	v_rcp_f32_e32 v111, v105
	v_nop
	v_fma_f32 v112, -v105, v111, 1.0
	s_delay_alu instid0(VALU_DEP_1) | instskip(SKIP_1) | instid1(VALU_DEP_1)
	v_fmac_f32_e32 v111, v112, v111
	v_div_scale_f32 v112, vcc_lo, 1.0, v104, 1.0
	v_mul_f32_e32 v113, v112, v111
	s_delay_alu instid0(VALU_DEP_1) | instskip(NEXT) | instid1(VALU_DEP_1)
	v_fma_f32 v114, -v105, v113, v112
	v_fmac_f32_e32 v113, v114, v111
	s_delay_alu instid0(VALU_DEP_1) | instskip(NEXT) | instid1(VALU_DEP_1)
	v_fma_f32 v105, -v105, v113, v112
	v_div_fmas_f32 v105, v105, v111, v113
	s_delay_alu instid0(VALU_DEP_1) | instskip(NEXT) | instid1(VALU_DEP_1)
	v_div_fixup_f32 v104, v105, v104, 1.0
	v_mul_f32_e64 v105, v103, -v104
.LBB94_177:
	s_or_b32 exec_lo, exec_lo, s1
.LBB94_178:
	s_delay_alu instid0(SALU_CYCLE_1) | instskip(NEXT) | instid1(SALU_CYCLE_1)
	s_or_b32 exec_lo, exec_lo, s0
	s_mov_b32 s0, exec_lo
	v_cmpx_ne_u32_e64 v110, v102
	s_xor_b32 s0, exec_lo, s0
	s_cbranch_execz .LBB94_184
; %bb.179:
	s_mov_b32 s1, exec_lo
	v_cmpx_eq_u32_e32 8, v110
	s_cbranch_execz .LBB94_183
; %bb.180:
	v_cmp_ne_u32_e32 vcc_lo, 8, v102
	s_xor_b32 s12, s16, -1
	s_delay_alu instid0(SALU_CYCLE_1) | instskip(NEXT) | instid1(SALU_CYCLE_1)
	s_and_b32 s13, s12, vcc_lo
	s_and_saveexec_b32 s12, s13
	s_cbranch_execz .LBB94_182
; %bb.181:
	v_ashrrev_i32_e32 v103, 31, v102
	s_delay_alu instid0(VALU_DEP_1)
	v_lshl_add_u64 v[110:111], v[102:103], 2, v[4:5]
	s_clause 0x1
	global_load_b32 v103, v[110:111], off
	global_load_b32 v109, v[4:5], off offset:32
	s_wait_loadcnt 0x1
	global_store_b32 v[4:5], v103, off offset:32
	s_wait_loadcnt 0x0
	global_store_b32 v[110:111], v109, off
.LBB94_182:
	s_wait_xcnt 0x0
	s_or_b32 exec_lo, exec_lo, s12
	v_dual_mov_b32 v110, v102 :: v_dual_mov_b32 v109, v102
.LBB94_183:
	s_or_b32 exec_lo, exec_lo, s1
.LBB94_184:
	s_and_not1_saveexec_b32 s0, s0
	s_cbranch_execz .LBB94_186
; %bb.185:
	v_mov_b32_e32 v110, 8
	ds_store_2addr_b64 v106, v[86:87], v[88:89] offset0:9 offset1:10
	ds_store_2addr_b64 v106, v[32:33], v[84:85] offset0:11 offset1:12
	;; [unrolled: 1-line block ×19, first 2 shown]
	ds_store_b64 v106, v[100:101] offset:376
.LBB94_186:
	s_or_b32 exec_lo, exec_lo, s0
	s_delay_alu instid0(SALU_CYCLE_1)
	s_mov_b32 s0, exec_lo
	s_wait_storecnt_dscnt 0x0
	s_barrier_signal -1
	s_barrier_wait -1
	v_cmpx_lt_i32_e32 8, v110
	s_cbranch_execz .LBB94_188
; %bb.187:
	v_pk_mul_f32 v[112:113], v[104:105], v[90:91] op_sel:[1,1] op_sel_hi:[0,1]
	s_delay_alu instid0(VALU_DEP_1)
	v_pk_fma_f32 v[102:103], v[104:105], v[90:91], v[112:113] op_sel_hi:[1,0,1] neg_lo:[0,0,1] neg_hi:[0,0,1]
	v_pk_fma_f32 v[104:105], v[104:105], v[90:91], v[112:113] op_sel_hi:[1,0,1]
	ds_load_2addr_b64 v[112:115], v106 offset0:9 offset1:10
	v_dual_mov_b32 v90, v102 :: v_dual_mov_b32 v91, v105
	s_wait_dscnt 0x0
	v_pk_mul_f32 v[116:117], v[112:113], v[104:105] op_sel:[0,1]
	s_delay_alu instid0(VALU_DEP_1) | instskip(SKIP_1) | instid1(VALU_DEP_1)
	v_pk_fma_f32 v[118:119], v[112:113], v[102:103], v[116:117] op_sel:[0,0,1] op_sel_hi:[1,1,0] neg_lo:[0,0,1] neg_hi:[0,0,1]
	v_pk_fma_f32 v[112:113], v[112:113], v[102:103], v[116:117] op_sel:[0,0,1] op_sel_hi:[1,0,0]
	v_mov_b32_e32 v119, v113
	v_pk_mul_f32 v[112:113], v[114:115], v[104:105] op_sel:[0,1]
	s_delay_alu instid0(VALU_DEP_1) | instskip(SKIP_1) | instid1(VALU_DEP_1)
	v_pk_fma_f32 v[116:117], v[114:115], v[102:103], v[112:113] op_sel:[0,0,1] op_sel_hi:[1,1,0] neg_lo:[0,0,1] neg_hi:[0,0,1]
	v_pk_fma_f32 v[112:113], v[114:115], v[102:103], v[112:113] op_sel:[0,0,1] op_sel_hi:[1,0,0]
	v_mov_b32_e32 v117, v113
	ds_load_2addr_b64 v[112:115], v106 offset0:11 offset1:12
	v_pk_add_f32 v[86:87], v[86:87], v[118:119] neg_lo:[0,1] neg_hi:[0,1]
	v_pk_add_f32 v[88:89], v[88:89], v[116:117] neg_lo:[0,1] neg_hi:[0,1]
	s_wait_dscnt 0x0
	v_pk_mul_f32 v[116:117], v[112:113], v[104:105] op_sel:[0,1]
	s_delay_alu instid0(VALU_DEP_1) | instskip(SKIP_2) | instid1(VALU_DEP_2)
	v_pk_fma_f32 v[118:119], v[112:113], v[102:103], v[116:117] op_sel:[0,0,1] op_sel_hi:[1,1,0] neg_lo:[0,0,1] neg_hi:[0,0,1]
	v_pk_fma_f32 v[112:113], v[112:113], v[102:103], v[116:117] op_sel:[0,0,1] op_sel_hi:[1,0,0]
	v_dual_mul_f32 v116, v115, v105 :: v_dual_mov_b32 v112, v115
	v_dual_mov_b32 v119, v113 :: v_dual_mov_b32 v113, v114
	s_delay_alu instid0(VALU_DEP_2) | instskip(SKIP_1) | instid1(VALU_DEP_3)
	v_pk_fma_f32 v[116:117], v[114:115], v[90:91], v[116:117] op_sel_hi:[1,1,0] neg_lo:[0,0,1] neg_hi:[0,0,1]
	v_mul_f32_e32 v114, v115, v102
	v_pk_add_f32 v[32:33], v[32:33], v[118:119] neg_lo:[0,1] neg_hi:[0,1]
	s_delay_alu instid0(VALU_DEP_2) | instskip(NEXT) | instid1(VALU_DEP_1)
	v_pk_fma_f32 v[112:113], v[112:113], v[90:91], v[114:115] op_sel_hi:[1,1,0]
	v_mov_b32_e32 v117, v113
	ds_load_2addr_b64 v[112:115], v106 offset0:13 offset1:14
	v_pk_add_f32 v[84:85], v[84:85], v[116:117] neg_lo:[0,1] neg_hi:[0,1]
	s_wait_dscnt 0x0
	v_pk_mul_f32 v[116:117], v[112:113], v[104:105] op_sel:[0,1]
	s_delay_alu instid0(VALU_DEP_1) | instskip(SKIP_1) | instid1(VALU_DEP_1)
	v_pk_fma_f32 v[118:119], v[112:113], v[102:103], v[116:117] op_sel:[0,0,1] op_sel_hi:[1,1,0] neg_lo:[0,0,1] neg_hi:[0,0,1]
	v_pk_fma_f32 v[112:113], v[112:113], v[102:103], v[116:117] op_sel:[0,0,1] op_sel_hi:[1,0,0]
	v_mov_b32_e32 v119, v113
	v_pk_mul_f32 v[112:113], v[114:115], v[104:105] op_sel:[0,1]
	s_delay_alu instid0(VALU_DEP_1) | instskip(SKIP_1) | instid1(VALU_DEP_1)
	v_pk_fma_f32 v[116:117], v[114:115], v[102:103], v[112:113] op_sel:[0,0,1] op_sel_hi:[1,1,0] neg_lo:[0,0,1] neg_hi:[0,0,1]
	v_pk_fma_f32 v[112:113], v[114:115], v[102:103], v[112:113] op_sel:[0,0,1] op_sel_hi:[1,0,0]
	v_mov_b32_e32 v117, v113
	ds_load_2addr_b64 v[112:115], v106 offset0:15 offset1:16
	v_pk_add_f32 v[80:81], v[80:81], v[118:119] neg_lo:[0,1] neg_hi:[0,1]
	v_pk_add_f32 v[82:83], v[82:83], v[116:117] neg_lo:[0,1] neg_hi:[0,1]
	s_wait_dscnt 0x0
	v_pk_mul_f32 v[116:117], v[112:113], v[104:105] op_sel:[0,1]
	s_delay_alu instid0(VALU_DEP_1) | instskip(SKIP_1) | instid1(VALU_DEP_1)
	v_pk_fma_f32 v[118:119], v[112:113], v[102:103], v[116:117] op_sel:[0,0,1] op_sel_hi:[1,1,0] neg_lo:[0,0,1] neg_hi:[0,0,1]
	v_pk_fma_f32 v[112:113], v[112:113], v[102:103], v[116:117] op_sel:[0,0,1] op_sel_hi:[1,0,0]
	v_mov_b32_e32 v119, v113
	v_pk_mul_f32 v[112:113], v[114:115], v[104:105] op_sel:[0,1]
	s_delay_alu instid0(VALU_DEP_1) | instskip(SKIP_1) | instid1(VALU_DEP_1)
	v_pk_fma_f32 v[116:117], v[114:115], v[102:103], v[112:113] op_sel:[0,0,1] op_sel_hi:[1,1,0] neg_lo:[0,0,1] neg_hi:[0,0,1]
	v_pk_fma_f32 v[112:113], v[114:115], v[102:103], v[112:113] op_sel:[0,0,1] op_sel_hi:[1,0,0]
	v_mov_b32_e32 v117, v113
	ds_load_2addr_b64 v[112:115], v106 offset0:17 offset1:18
	v_pk_add_f32 v[26:27], v[26:27], v[118:119] neg_lo:[0,1] neg_hi:[0,1]
	v_pk_add_f32 v[78:79], v[78:79], v[116:117] neg_lo:[0,1] neg_hi:[0,1]
	s_wait_dscnt 0x0
	v_dual_mul_f32 v116, v113, v105 :: v_dual_mul_f32 v118, v113, v102
	s_delay_alu instid0(VALU_DEP_1) | instskip(NEXT) | instid1(VALU_DEP_2)
	v_pk_fma_f32 v[116:117], v[112:113], v[90:91], v[116:117] op_sel_hi:[1,1,0] neg_lo:[0,0,1] neg_hi:[0,0,1]
	v_pk_fma_f32 v[112:113], v[112:113], v[90:91], v[118:119] op_sel:[1,0,0] op_sel_hi:[0,1,0]
	s_delay_alu instid0(VALU_DEP_1) | instskip(SKIP_1) | instid1(VALU_DEP_2)
	v_mov_b32_e32 v117, v113
	v_pk_mul_f32 v[112:113], v[114:115], v[104:105] op_sel:[0,1]
	v_pk_add_f32 v[74:75], v[74:75], v[116:117] neg_lo:[0,1] neg_hi:[0,1]
	s_delay_alu instid0(VALU_DEP_2) | instskip(SKIP_1) | instid1(VALU_DEP_1)
	v_pk_fma_f32 v[116:117], v[114:115], v[102:103], v[112:113] op_sel:[0,0,1] op_sel_hi:[1,1,0] neg_lo:[0,0,1] neg_hi:[0,0,1]
	v_pk_fma_f32 v[112:113], v[114:115], v[102:103], v[112:113] op_sel:[0,0,1] op_sel_hi:[1,0,0]
	v_mov_b32_e32 v117, v113
	ds_load_2addr_b64 v[112:115], v106 offset0:19 offset1:20
	v_pk_add_f32 v[76:77], v[76:77], v[116:117] neg_lo:[0,1] neg_hi:[0,1]
	s_wait_dscnt 0x0
	v_pk_mul_f32 v[116:117], v[112:113], v[104:105] op_sel:[0,1]
	s_delay_alu instid0(VALU_DEP_1) | instskip(SKIP_1) | instid1(VALU_DEP_1)
	v_pk_fma_f32 v[118:119], v[112:113], v[102:103], v[116:117] op_sel:[0,0,1] op_sel_hi:[1,1,0] neg_lo:[0,0,1] neg_hi:[0,0,1]
	v_pk_fma_f32 v[112:113], v[112:113], v[102:103], v[116:117] op_sel:[0,0,1] op_sel_hi:[1,0,0]
	v_mov_b32_e32 v119, v113
	v_pk_mul_f32 v[112:113], v[114:115], v[104:105] op_sel:[0,1]
	s_delay_alu instid0(VALU_DEP_2) | instskip(NEXT) | instid1(VALU_DEP_2)
	v_pk_add_f32 v[24:25], v[24:25], v[118:119] neg_lo:[0,1] neg_hi:[0,1]
	v_pk_fma_f32 v[116:117], v[114:115], v[102:103], v[112:113] op_sel:[0,0,1] op_sel_hi:[1,1,0] neg_lo:[0,0,1] neg_hi:[0,0,1]
	v_pk_fma_f32 v[112:113], v[114:115], v[102:103], v[112:113] op_sel:[0,0,1] op_sel_hi:[1,0,0]
	s_delay_alu instid0(VALU_DEP_1) | instskip(SKIP_4) | instid1(VALU_DEP_1)
	v_mov_b32_e32 v117, v113
	ds_load_2addr_b64 v[112:115], v106 offset0:21 offset1:22
	v_pk_add_f32 v[72:73], v[72:73], v[116:117] neg_lo:[0,1] neg_hi:[0,1]
	s_wait_dscnt 0x0
	v_pk_mul_f32 v[116:117], v[112:113], v[104:105] op_sel:[0,1]
	v_pk_fma_f32 v[118:119], v[112:113], v[102:103], v[116:117] op_sel:[0,0,1] op_sel_hi:[1,1,0] neg_lo:[0,0,1] neg_hi:[0,0,1]
	v_pk_fma_f32 v[112:113], v[112:113], v[102:103], v[116:117] op_sel:[0,0,1] op_sel_hi:[1,0,0]
	v_dual_mul_f32 v116, v115, v105 :: v_dual_mov_b32 v112, v115
	s_delay_alu instid0(VALU_DEP_2) | instskip(NEXT) | instid1(VALU_DEP_2)
	v_dual_mov_b32 v119, v113 :: v_dual_mov_b32 v113, v114
	v_pk_fma_f32 v[116:117], v[114:115], v[90:91], v[116:117] op_sel_hi:[1,1,0] neg_lo:[0,0,1] neg_hi:[0,0,1]
	v_mul_f32_e32 v114, v115, v102
	s_delay_alu instid0(VALU_DEP_3) | instskip(NEXT) | instid1(VALU_DEP_2)
	v_pk_add_f32 v[68:69], v[68:69], v[118:119] neg_lo:[0,1] neg_hi:[0,1]
	v_pk_fma_f32 v[112:113], v[112:113], v[90:91], v[114:115] op_sel_hi:[1,1,0]
	s_delay_alu instid0(VALU_DEP_1) | instskip(SKIP_4) | instid1(VALU_DEP_1)
	v_mov_b32_e32 v117, v113
	ds_load_2addr_b64 v[112:115], v106 offset0:23 offset1:24
	v_pk_add_f32 v[70:71], v[70:71], v[116:117] neg_lo:[0,1] neg_hi:[0,1]
	s_wait_dscnt 0x0
	v_pk_mul_f32 v[116:117], v[112:113], v[104:105] op_sel:[0,1]
	v_pk_fma_f32 v[118:119], v[112:113], v[102:103], v[116:117] op_sel:[0,0,1] op_sel_hi:[1,1,0] neg_lo:[0,0,1] neg_hi:[0,0,1]
	v_pk_fma_f32 v[112:113], v[112:113], v[102:103], v[116:117] op_sel:[0,0,1] op_sel_hi:[1,0,0]
	s_delay_alu instid0(VALU_DEP_1) | instskip(SKIP_1) | instid1(VALU_DEP_1)
	v_mov_b32_e32 v119, v113
	v_pk_mul_f32 v[112:113], v[114:115], v[104:105] op_sel:[0,1]
	v_pk_fma_f32 v[116:117], v[114:115], v[102:103], v[112:113] op_sel:[0,0,1] op_sel_hi:[1,1,0] neg_lo:[0,0,1] neg_hi:[0,0,1]
	v_pk_fma_f32 v[112:113], v[114:115], v[102:103], v[112:113] op_sel:[0,0,1] op_sel_hi:[1,0,0]
	s_delay_alu instid0(VALU_DEP_1)
	v_mov_b32_e32 v117, v113
	ds_load_2addr_b64 v[112:115], v106 offset0:25 offset1:26
	v_pk_add_f32 v[22:23], v[22:23], v[118:119] neg_lo:[0,1] neg_hi:[0,1]
	v_pk_add_f32 v[66:67], v[66:67], v[116:117] neg_lo:[0,1] neg_hi:[0,1]
	s_wait_dscnt 0x0
	v_pk_mul_f32 v[116:117], v[112:113], v[104:105] op_sel:[0,1]
	s_delay_alu instid0(VALU_DEP_1) | instskip(SKIP_1) | instid1(VALU_DEP_1)
	v_pk_fma_f32 v[118:119], v[112:113], v[102:103], v[116:117] op_sel:[0,0,1] op_sel_hi:[1,1,0] neg_lo:[0,0,1] neg_hi:[0,0,1]
	v_pk_fma_f32 v[112:113], v[112:113], v[102:103], v[116:117] op_sel:[0,0,1] op_sel_hi:[1,0,0]
	v_mov_b32_e32 v119, v113
	v_pk_mul_f32 v[112:113], v[114:115], v[104:105] op_sel:[0,1]
	s_delay_alu instid0(VALU_DEP_1) | instskip(SKIP_1) | instid1(VALU_DEP_1)
	v_pk_fma_f32 v[116:117], v[114:115], v[102:103], v[112:113] op_sel:[0,0,1] op_sel_hi:[1,1,0] neg_lo:[0,0,1] neg_hi:[0,0,1]
	v_pk_fma_f32 v[112:113], v[114:115], v[102:103], v[112:113] op_sel:[0,0,1] op_sel_hi:[1,0,0]
	v_mov_b32_e32 v117, v113
	ds_load_2addr_b64 v[112:115], v106 offset0:27 offset1:28
	v_pk_add_f32 v[62:63], v[62:63], v[118:119] neg_lo:[0,1] neg_hi:[0,1]
	v_pk_add_f32 v[64:65], v[64:65], v[116:117] neg_lo:[0,1] neg_hi:[0,1]
	s_wait_dscnt 0x0
	v_dual_mul_f32 v116, v113, v105 :: v_dual_mul_f32 v118, v113, v102
	s_delay_alu instid0(VALU_DEP_1) | instskip(NEXT) | instid1(VALU_DEP_2)
	v_pk_fma_f32 v[116:117], v[112:113], v[90:91], v[116:117] op_sel_hi:[1,1,0] neg_lo:[0,0,1] neg_hi:[0,0,1]
	v_pk_fma_f32 v[112:113], v[112:113], v[90:91], v[118:119] op_sel:[1,0,0] op_sel_hi:[0,1,0]
	s_delay_alu instid0(VALU_DEP_1) | instskip(SKIP_1) | instid1(VALU_DEP_2)
	v_mov_b32_e32 v117, v113
	v_pk_mul_f32 v[112:113], v[114:115], v[104:105] op_sel:[0,1]
	v_pk_add_f32 v[20:21], v[20:21], v[116:117] neg_lo:[0,1] neg_hi:[0,1]
	s_delay_alu instid0(VALU_DEP_2) | instskip(SKIP_1) | instid1(VALU_DEP_1)
	v_pk_fma_f32 v[116:117], v[114:115], v[102:103], v[112:113] op_sel:[0,0,1] op_sel_hi:[1,1,0] neg_lo:[0,0,1] neg_hi:[0,0,1]
	v_pk_fma_f32 v[112:113], v[114:115], v[102:103], v[112:113] op_sel:[0,0,1] op_sel_hi:[1,0,0]
	v_mov_b32_e32 v117, v113
	ds_load_2addr_b64 v[112:115], v106 offset0:29 offset1:30
	v_pk_add_f32 v[54:55], v[54:55], v[116:117] neg_lo:[0,1] neg_hi:[0,1]
	s_wait_dscnt 0x0
	v_pk_mul_f32 v[116:117], v[112:113], v[104:105] op_sel:[0,1]
	s_delay_alu instid0(VALU_DEP_1) | instskip(SKIP_1) | instid1(VALU_DEP_1)
	v_pk_fma_f32 v[118:119], v[112:113], v[102:103], v[116:117] op_sel:[0,0,1] op_sel_hi:[1,1,0] neg_lo:[0,0,1] neg_hi:[0,0,1]
	v_pk_fma_f32 v[112:113], v[112:113], v[102:103], v[116:117] op_sel:[0,0,1] op_sel_hi:[1,0,0]
	v_mov_b32_e32 v119, v113
	v_pk_mul_f32 v[112:113], v[114:115], v[104:105] op_sel:[0,1]
	s_delay_alu instid0(VALU_DEP_2) | instskip(NEXT) | instid1(VALU_DEP_2)
	v_pk_add_f32 v[50:51], v[50:51], v[118:119] neg_lo:[0,1] neg_hi:[0,1]
	v_pk_fma_f32 v[116:117], v[114:115], v[102:103], v[112:113] op_sel:[0,0,1] op_sel_hi:[1,1,0] neg_lo:[0,0,1] neg_hi:[0,0,1]
	v_pk_fma_f32 v[112:113], v[114:115], v[102:103], v[112:113] op_sel:[0,0,1] op_sel_hi:[1,0,0]
	s_delay_alu instid0(VALU_DEP_1) | instskip(SKIP_4) | instid1(VALU_DEP_1)
	v_mov_b32_e32 v117, v113
	ds_load_2addr_b64 v[112:115], v106 offset0:31 offset1:32
	v_pk_add_f32 v[52:53], v[52:53], v[116:117] neg_lo:[0,1] neg_hi:[0,1]
	s_wait_dscnt 0x0
	v_pk_mul_f32 v[116:117], v[112:113], v[104:105] op_sel:[0,1]
	v_pk_fma_f32 v[118:119], v[112:113], v[102:103], v[116:117] op_sel:[0,0,1] op_sel_hi:[1,1,0] neg_lo:[0,0,1] neg_hi:[0,0,1]
	v_pk_fma_f32 v[112:113], v[112:113], v[102:103], v[116:117] op_sel:[0,0,1] op_sel_hi:[1,0,0]
	v_dual_mul_f32 v116, v115, v105 :: v_dual_mov_b32 v112, v115
	s_delay_alu instid0(VALU_DEP_2) | instskip(NEXT) | instid1(VALU_DEP_2)
	v_dual_mov_b32 v119, v113 :: v_dual_mov_b32 v113, v114
	v_pk_fma_f32 v[116:117], v[114:115], v[90:91], v[116:117] op_sel_hi:[1,1,0] neg_lo:[0,0,1] neg_hi:[0,0,1]
	v_mul_f32_e32 v114, v115, v102
	s_delay_alu instid0(VALU_DEP_3) | instskip(NEXT) | instid1(VALU_DEP_2)
	v_pk_add_f32 v[12:13], v[12:13], v[118:119] neg_lo:[0,1] neg_hi:[0,1]
	v_pk_fma_f32 v[112:113], v[112:113], v[90:91], v[114:115] op_sel_hi:[1,1,0]
	s_delay_alu instid0(VALU_DEP_1) | instskip(SKIP_4) | instid1(VALU_DEP_1)
	v_mov_b32_e32 v117, v113
	ds_load_2addr_b64 v[112:115], v106 offset0:33 offset1:34
	v_pk_add_f32 v[48:49], v[48:49], v[116:117] neg_lo:[0,1] neg_hi:[0,1]
	s_wait_dscnt 0x0
	v_pk_mul_f32 v[116:117], v[112:113], v[104:105] op_sel:[0,1]
	v_pk_fma_f32 v[118:119], v[112:113], v[102:103], v[116:117] op_sel:[0,0,1] op_sel_hi:[1,1,0] neg_lo:[0,0,1] neg_hi:[0,0,1]
	v_pk_fma_f32 v[112:113], v[112:113], v[102:103], v[116:117] op_sel:[0,0,1] op_sel_hi:[1,0,0]
	s_delay_alu instid0(VALU_DEP_1) | instskip(SKIP_1) | instid1(VALU_DEP_1)
	v_mov_b32_e32 v119, v113
	v_pk_mul_f32 v[112:113], v[114:115], v[104:105] op_sel:[0,1]
	v_pk_fma_f32 v[116:117], v[114:115], v[102:103], v[112:113] op_sel:[0,0,1] op_sel_hi:[1,1,0] neg_lo:[0,0,1] neg_hi:[0,0,1]
	v_pk_fma_f32 v[112:113], v[114:115], v[102:103], v[112:113] op_sel:[0,0,1] op_sel_hi:[1,0,0]
	s_delay_alu instid0(VALU_DEP_1)
	v_mov_b32_e32 v117, v113
	ds_load_2addr_b64 v[112:115], v106 offset0:35 offset1:36
	v_pk_add_f32 v[44:45], v[44:45], v[118:119] neg_lo:[0,1] neg_hi:[0,1]
	v_pk_add_f32 v[46:47], v[46:47], v[116:117] neg_lo:[0,1] neg_hi:[0,1]
	s_wait_dscnt 0x0
	v_pk_mul_f32 v[116:117], v[112:113], v[104:105] op_sel:[0,1]
	s_delay_alu instid0(VALU_DEP_1) | instskip(SKIP_1) | instid1(VALU_DEP_1)
	v_pk_fma_f32 v[118:119], v[112:113], v[102:103], v[116:117] op_sel:[0,0,1] op_sel_hi:[1,1,0] neg_lo:[0,0,1] neg_hi:[0,0,1]
	v_pk_fma_f32 v[112:113], v[112:113], v[102:103], v[116:117] op_sel:[0,0,1] op_sel_hi:[1,0,0]
	v_mov_b32_e32 v119, v113
	v_pk_mul_f32 v[112:113], v[114:115], v[104:105] op_sel:[0,1]
	s_delay_alu instid0(VALU_DEP_1) | instskip(SKIP_1) | instid1(VALU_DEP_1)
	v_pk_fma_f32 v[116:117], v[114:115], v[102:103], v[112:113] op_sel:[0,0,1] op_sel_hi:[1,1,0] neg_lo:[0,0,1] neg_hi:[0,0,1]
	v_pk_fma_f32 v[112:113], v[114:115], v[102:103], v[112:113] op_sel:[0,0,1] op_sel_hi:[1,0,0]
	v_mov_b32_e32 v117, v113
	ds_load_2addr_b64 v[112:115], v106 offset0:37 offset1:38
	v_pk_add_f32 v[10:11], v[10:11], v[118:119] neg_lo:[0,1] neg_hi:[0,1]
	v_pk_add_f32 v[42:43], v[42:43], v[116:117] neg_lo:[0,1] neg_hi:[0,1]
	s_wait_dscnt 0x0
	v_dual_mul_f32 v116, v113, v105 :: v_dual_mul_f32 v118, v113, v102
	s_delay_alu instid0(VALU_DEP_1) | instskip(NEXT) | instid1(VALU_DEP_2)
	v_pk_fma_f32 v[116:117], v[112:113], v[90:91], v[116:117] op_sel_hi:[1,1,0] neg_lo:[0,0,1] neg_hi:[0,0,1]
	v_pk_fma_f32 v[112:113], v[112:113], v[90:91], v[118:119] op_sel:[1,0,0] op_sel_hi:[0,1,0]
	s_delay_alu instid0(VALU_DEP_1) | instskip(SKIP_1) | instid1(VALU_DEP_2)
	v_mov_b32_e32 v117, v113
	v_pk_mul_f32 v[112:113], v[114:115], v[104:105] op_sel:[0,1]
	v_pk_add_f32 v[38:39], v[38:39], v[116:117] neg_lo:[0,1] neg_hi:[0,1]
	s_delay_alu instid0(VALU_DEP_2) | instskip(SKIP_1) | instid1(VALU_DEP_1)
	v_pk_fma_f32 v[116:117], v[114:115], v[102:103], v[112:113] op_sel:[0,0,1] op_sel_hi:[1,1,0] neg_lo:[0,0,1] neg_hi:[0,0,1]
	v_pk_fma_f32 v[112:113], v[114:115], v[102:103], v[112:113] op_sel:[0,0,1] op_sel_hi:[1,0,0]
	v_mov_b32_e32 v117, v113
	ds_load_2addr_b64 v[112:115], v106 offset0:39 offset1:40
	v_pk_add_f32 v[40:41], v[40:41], v[116:117] neg_lo:[0,1] neg_hi:[0,1]
	s_wait_dscnt 0x0
	v_pk_mul_f32 v[116:117], v[112:113], v[104:105] op_sel:[0,1]
	s_delay_alu instid0(VALU_DEP_1) | instskip(SKIP_1) | instid1(VALU_DEP_1)
	v_pk_fma_f32 v[118:119], v[112:113], v[102:103], v[116:117] op_sel:[0,0,1] op_sel_hi:[1,1,0] neg_lo:[0,0,1] neg_hi:[0,0,1]
	v_pk_fma_f32 v[112:113], v[112:113], v[102:103], v[116:117] op_sel:[0,0,1] op_sel_hi:[1,0,0]
	v_mov_b32_e32 v119, v113
	v_pk_mul_f32 v[112:113], v[114:115], v[104:105] op_sel:[0,1]
	s_delay_alu instid0(VALU_DEP_2) | instskip(NEXT) | instid1(VALU_DEP_2)
	v_pk_add_f32 v[6:7], v[6:7], v[118:119] neg_lo:[0,1] neg_hi:[0,1]
	v_pk_fma_f32 v[116:117], v[114:115], v[102:103], v[112:113] op_sel:[0,0,1] op_sel_hi:[1,1,0] neg_lo:[0,0,1] neg_hi:[0,0,1]
	v_pk_fma_f32 v[112:113], v[114:115], v[102:103], v[112:113] op_sel:[0,0,1] op_sel_hi:[1,0,0]
	s_delay_alu instid0(VALU_DEP_1) | instskip(SKIP_4) | instid1(VALU_DEP_1)
	v_mov_b32_e32 v117, v113
	ds_load_2addr_b64 v[112:115], v106 offset0:41 offset1:42
	v_pk_add_f32 v[36:37], v[36:37], v[116:117] neg_lo:[0,1] neg_hi:[0,1]
	s_wait_dscnt 0x0
	v_pk_mul_f32 v[116:117], v[112:113], v[104:105] op_sel:[0,1]
	v_pk_fma_f32 v[118:119], v[112:113], v[102:103], v[116:117] op_sel:[0,0,1] op_sel_hi:[1,1,0] neg_lo:[0,0,1] neg_hi:[0,0,1]
	v_pk_fma_f32 v[112:113], v[112:113], v[102:103], v[116:117] op_sel:[0,0,1] op_sel_hi:[1,0,0]
	v_dual_mul_f32 v116, v115, v105 :: v_dual_mov_b32 v112, v115
	s_delay_alu instid0(VALU_DEP_2) | instskip(NEXT) | instid1(VALU_DEP_2)
	v_dual_mov_b32 v119, v113 :: v_dual_mov_b32 v113, v114
	v_pk_fma_f32 v[116:117], v[114:115], v[90:91], v[116:117] op_sel_hi:[1,1,0] neg_lo:[0,0,1] neg_hi:[0,0,1]
	v_mul_f32_e32 v114, v115, v102
	s_delay_alu instid0(VALU_DEP_3) | instskip(NEXT) | instid1(VALU_DEP_2)
	v_pk_add_f32 v[30:31], v[30:31], v[118:119] neg_lo:[0,1] neg_hi:[0,1]
	v_pk_fma_f32 v[112:113], v[112:113], v[90:91], v[114:115] op_sel_hi:[1,1,0]
	s_delay_alu instid0(VALU_DEP_1) | instskip(SKIP_4) | instid1(VALU_DEP_1)
	v_mov_b32_e32 v117, v113
	ds_load_2addr_b64 v[112:115], v106 offset0:43 offset1:44
	v_pk_add_f32 v[34:35], v[34:35], v[116:117] neg_lo:[0,1] neg_hi:[0,1]
	s_wait_dscnt 0x0
	v_pk_mul_f32 v[116:117], v[112:113], v[104:105] op_sel:[0,1]
	v_pk_fma_f32 v[118:119], v[112:113], v[102:103], v[116:117] op_sel:[0,0,1] op_sel_hi:[1,1,0] neg_lo:[0,0,1] neg_hi:[0,0,1]
	v_pk_fma_f32 v[112:113], v[112:113], v[102:103], v[116:117] op_sel:[0,0,1] op_sel_hi:[1,0,0]
	s_delay_alu instid0(VALU_DEP_1) | instskip(SKIP_1) | instid1(VALU_DEP_1)
	v_mov_b32_e32 v119, v113
	v_pk_mul_f32 v[112:113], v[114:115], v[104:105] op_sel:[0,1]
	v_pk_fma_f32 v[116:117], v[114:115], v[102:103], v[112:113] op_sel:[0,0,1] op_sel_hi:[1,1,0] neg_lo:[0,0,1] neg_hi:[0,0,1]
	v_pk_fma_f32 v[112:113], v[114:115], v[102:103], v[112:113] op_sel:[0,0,1] op_sel_hi:[1,0,0]
	s_delay_alu instid0(VALU_DEP_1)
	v_mov_b32_e32 v117, v113
	ds_load_2addr_b64 v[112:115], v106 offset0:45 offset1:46
	v_pk_add_f32 v[8:9], v[8:9], v[118:119] neg_lo:[0,1] neg_hi:[0,1]
	v_pk_add_f32 v[28:29], v[28:29], v[116:117] neg_lo:[0,1] neg_hi:[0,1]
	s_wait_dscnt 0x0
	v_pk_mul_f32 v[116:117], v[112:113], v[104:105] op_sel:[0,1]
	s_delay_alu instid0(VALU_DEP_1) | instskip(SKIP_1) | instid1(VALU_DEP_1)
	v_pk_fma_f32 v[118:119], v[112:113], v[102:103], v[116:117] op_sel:[0,0,1] op_sel_hi:[1,1,0] neg_lo:[0,0,1] neg_hi:[0,0,1]
	v_pk_fma_f32 v[112:113], v[112:113], v[102:103], v[116:117] op_sel:[0,0,1] op_sel_hi:[1,0,0]
	v_mov_b32_e32 v119, v113
	v_pk_mul_f32 v[112:113], v[114:115], v[104:105] op_sel:[0,1]
	s_delay_alu instid0(VALU_DEP_1) | instskip(SKIP_1) | instid1(VALU_DEP_1)
	v_pk_fma_f32 v[116:117], v[114:115], v[102:103], v[112:113] op_sel:[0,0,1] op_sel_hi:[1,1,0] neg_lo:[0,0,1] neg_hi:[0,0,1]
	v_pk_fma_f32 v[112:113], v[114:115], v[102:103], v[112:113] op_sel:[0,0,1] op_sel_hi:[1,0,0]
	v_mov_b32_e32 v117, v113
	ds_load_b64 v[112:113], v106 offset:376
	v_pk_add_f32 v[18:19], v[18:19], v[118:119] neg_lo:[0,1] neg_hi:[0,1]
	v_pk_add_f32 v[14:15], v[14:15], v[116:117] neg_lo:[0,1] neg_hi:[0,1]
	s_wait_dscnt 0x0
	v_pk_mul_f32 v[104:105], v[112:113], v[104:105] op_sel:[0,1]
	s_delay_alu instid0(VALU_DEP_1) | instskip(SKIP_1) | instid1(VALU_DEP_1)
	v_pk_fma_f32 v[114:115], v[112:113], v[102:103], v[104:105] op_sel:[0,0,1] op_sel_hi:[1,1,0] neg_lo:[0,0,1] neg_hi:[0,0,1]
	v_pk_fma_f32 v[102:103], v[112:113], v[102:103], v[104:105] op_sel:[0,0,1] op_sel_hi:[1,0,0]
	v_mov_b32_e32 v115, v103
	s_delay_alu instid0(VALU_DEP_1)
	v_pk_add_f32 v[100:101], v[100:101], v[114:115] neg_lo:[0,1] neg_hi:[0,1]
.LBB94_188:
	s_or_b32 exec_lo, exec_lo, s0
	v_lshl_add_u32 v102, v110, 3, v106
	s_barrier_signal -1
	s_barrier_wait -1
	ds_store_b64 v102, v[86:87]
	s_wait_dscnt 0x0
	s_barrier_signal -1
	s_barrier_wait -1
	ds_load_b64 v[104:105], v106 offset:72
	v_mov_b32_e32 v102, 9
	s_cmp_lt_i32 s18, 11
	s_cbranch_scc1 .LBB94_191
; %bb.189:
	v_add3_u32 v103, v107, 0, 0x50
	v_mov_b32_e32 v102, 9
	s_mov_b32 s0, 10
.LBB94_190:                             ; =>This Inner Loop Header: Depth=1
	ds_load_b64 v[112:113], v103
	s_wait_dscnt 0x1
	v_cmp_gt_f32_e32 vcc_lo, 0, v104
	v_cndmask_b32_e64 v114, v104, -v104, vcc_lo
	v_cmp_gt_f32_e32 vcc_lo, 0, v105
	v_cndmask_b32_e64 v116, v105, -v105, vcc_lo
	s_wait_dscnt 0x0
	v_cmp_gt_f32_e32 vcc_lo, 0, v112
	v_cndmask_b32_e64 v115, v112, -v112, vcc_lo
	v_cmp_gt_f32_e32 vcc_lo, 0, v113
	v_cndmask_b32_e64 v117, v113, -v113, vcc_lo
	s_delay_alu instid0(VALU_DEP_1) | instskip(NEXT) | instid1(VALU_DEP_1)
	v_pk_add_f32 v[114:115], v[114:115], v[116:117]
	v_cmp_lt_f32_e32 vcc_lo, v114, v115
	v_dual_add_nc_u32 v103, 8, v103 :: v_dual_cndmask_b32 v105, v105, v113, vcc_lo
	v_cndmask_b32_e32 v104, v104, v112, vcc_lo
	v_cndmask_b32_e64 v102, v102, s0, vcc_lo
	s_add_co_i32 s0, s0, 1
	s_delay_alu instid0(SALU_CYCLE_1)
	s_cmp_lg_u32 s18, s0
	s_cbranch_scc1 .LBB94_190
.LBB94_191:
	s_wait_dscnt 0x0
	v_cmp_eq_f32_e32 vcc_lo, 0, v104
	v_cmp_eq_f32_e64 s0, 0, v105
	s_and_b32 s0, vcc_lo, s0
	s_delay_alu instid0(SALU_CYCLE_1) | instskip(NEXT) | instid1(SALU_CYCLE_1)
	s_and_saveexec_b32 s1, s0
	s_xor_b32 s0, exec_lo, s1
; %bb.192:
	v_cmp_ne_u32_e32 vcc_lo, 0, v108
	v_cndmask_b32_e32 v108, 10, v108, vcc_lo
; %bb.193:
	s_and_not1_saveexec_b32 s0, s0
	s_cbranch_execz .LBB94_199
; %bb.194:
	v_cmp_ngt_f32_e64 s1, |v104|, |v105|
	s_and_saveexec_b32 s12, s1
	s_delay_alu instid0(SALU_CYCLE_1)
	s_xor_b32 s1, exec_lo, s12
	s_cbranch_execz .LBB94_196
; %bb.195:
	v_div_scale_f32 v103, null, v105, v105, v104
	v_div_scale_f32 v113, vcc_lo, v104, v105, v104
	s_delay_alu instid0(VALU_DEP_2) | instskip(SKIP_1) | instid1(TRANS32_DEP_1)
	v_rcp_f32_e32 v111, v103
	v_nop
	v_fma_f32 v112, -v103, v111, 1.0
	s_delay_alu instid0(VALU_DEP_1) | instskip(NEXT) | instid1(VALU_DEP_1)
	v_fmac_f32_e32 v111, v112, v111
	v_mul_f32_e32 v112, v113, v111
	s_delay_alu instid0(VALU_DEP_1) | instskip(NEXT) | instid1(VALU_DEP_1)
	v_fma_f32 v114, -v103, v112, v113
	v_fmac_f32_e32 v112, v114, v111
	s_delay_alu instid0(VALU_DEP_1) | instskip(NEXT) | instid1(VALU_DEP_1)
	v_fma_f32 v103, -v103, v112, v113
	v_div_fmas_f32 v103, v103, v111, v112
	s_delay_alu instid0(VALU_DEP_1) | instskip(NEXT) | instid1(VALU_DEP_1)
	v_div_fixup_f32 v103, v103, v105, v104
	v_fmac_f32_e32 v105, v104, v103
	s_delay_alu instid0(VALU_DEP_1) | instskip(SKIP_1) | instid1(VALU_DEP_2)
	v_div_scale_f32 v104, null, v105, v105, 1.0
	v_div_scale_f32 v113, vcc_lo, 1.0, v105, 1.0
	v_rcp_f32_e32 v111, v104
	v_nop
	s_delay_alu instid0(TRANS32_DEP_1) | instskip(NEXT) | instid1(VALU_DEP_1)
	v_fma_f32 v112, -v104, v111, 1.0
	v_fmac_f32_e32 v111, v112, v111
	s_delay_alu instid0(VALU_DEP_1) | instskip(NEXT) | instid1(VALU_DEP_1)
	v_mul_f32_e32 v112, v113, v111
	v_fma_f32 v114, -v104, v112, v113
	s_delay_alu instid0(VALU_DEP_1) | instskip(NEXT) | instid1(VALU_DEP_1)
	v_fmac_f32_e32 v112, v114, v111
	v_fma_f32 v104, -v104, v112, v113
	s_delay_alu instid0(VALU_DEP_1) | instskip(NEXT) | instid1(VALU_DEP_1)
	v_div_fmas_f32 v104, v104, v111, v112
	v_div_fixup_f32 v105, v104, v105, 1.0
	s_delay_alu instid0(VALU_DEP_1)
	v_mul_f32_e32 v104, v103, v105
	v_xor_b32_e32 v105, 0x80000000, v105
.LBB94_196:
	s_and_not1_saveexec_b32 s1, s1
	s_cbranch_execz .LBB94_198
; %bb.197:
	s_delay_alu instid0(VALU_DEP_1) | instskip(SKIP_1) | instid1(VALU_DEP_2)
	v_div_scale_f32 v103, null, v104, v104, v105
	v_div_scale_f32 v113, vcc_lo, v105, v104, v105
	v_rcp_f32_e32 v111, v103
	v_nop
	s_delay_alu instid0(TRANS32_DEP_1) | instskip(NEXT) | instid1(VALU_DEP_1)
	v_fma_f32 v112, -v103, v111, 1.0
	v_fmac_f32_e32 v111, v112, v111
	s_delay_alu instid0(VALU_DEP_1) | instskip(NEXT) | instid1(VALU_DEP_1)
	v_mul_f32_e32 v112, v113, v111
	v_fma_f32 v114, -v103, v112, v113
	s_delay_alu instid0(VALU_DEP_1) | instskip(NEXT) | instid1(VALU_DEP_1)
	v_fmac_f32_e32 v112, v114, v111
	v_fma_f32 v103, -v103, v112, v113
	s_delay_alu instid0(VALU_DEP_1) | instskip(NEXT) | instid1(VALU_DEP_1)
	v_div_fmas_f32 v103, v103, v111, v112
	v_div_fixup_f32 v103, v103, v104, v105
	s_delay_alu instid0(VALU_DEP_1) | instskip(NEXT) | instid1(VALU_DEP_1)
	v_fmac_f32_e32 v104, v105, v103
	v_div_scale_f32 v105, null, v104, v104, 1.0
	s_delay_alu instid0(VALU_DEP_1) | instskip(SKIP_1) | instid1(TRANS32_DEP_1)
	v_rcp_f32_e32 v111, v105
	v_nop
	v_fma_f32 v112, -v105, v111, 1.0
	s_delay_alu instid0(VALU_DEP_1) | instskip(SKIP_1) | instid1(VALU_DEP_1)
	v_fmac_f32_e32 v111, v112, v111
	v_div_scale_f32 v112, vcc_lo, 1.0, v104, 1.0
	v_mul_f32_e32 v113, v112, v111
	s_delay_alu instid0(VALU_DEP_1) | instskip(NEXT) | instid1(VALU_DEP_1)
	v_fma_f32 v114, -v105, v113, v112
	v_fmac_f32_e32 v113, v114, v111
	s_delay_alu instid0(VALU_DEP_1) | instskip(NEXT) | instid1(VALU_DEP_1)
	v_fma_f32 v105, -v105, v113, v112
	v_div_fmas_f32 v105, v105, v111, v113
	s_delay_alu instid0(VALU_DEP_1) | instskip(NEXT) | instid1(VALU_DEP_1)
	v_div_fixup_f32 v104, v105, v104, 1.0
	v_mul_f32_e64 v105, v103, -v104
.LBB94_198:
	s_or_b32 exec_lo, exec_lo, s1
.LBB94_199:
	s_delay_alu instid0(SALU_CYCLE_1) | instskip(NEXT) | instid1(SALU_CYCLE_1)
	s_or_b32 exec_lo, exec_lo, s0
	s_mov_b32 s0, exec_lo
	v_cmpx_ne_u32_e64 v110, v102
	s_xor_b32 s0, exec_lo, s0
	s_cbranch_execz .LBB94_205
; %bb.200:
	s_mov_b32 s1, exec_lo
	v_cmpx_eq_u32_e32 9, v110
	s_cbranch_execz .LBB94_204
; %bb.201:
	v_cmp_ne_u32_e32 vcc_lo, 9, v102
	s_xor_b32 s12, s16, -1
	s_delay_alu instid0(SALU_CYCLE_1) | instskip(NEXT) | instid1(SALU_CYCLE_1)
	s_and_b32 s13, s12, vcc_lo
	s_and_saveexec_b32 s12, s13
	s_cbranch_execz .LBB94_203
; %bb.202:
	v_ashrrev_i32_e32 v103, 31, v102
	s_delay_alu instid0(VALU_DEP_1)
	v_lshl_add_u64 v[110:111], v[102:103], 2, v[4:5]
	s_clause 0x1
	global_load_b32 v103, v[110:111], off
	global_load_b32 v109, v[4:5], off offset:36
	s_wait_loadcnt 0x1
	global_store_b32 v[4:5], v103, off offset:36
	s_wait_loadcnt 0x0
	global_store_b32 v[110:111], v109, off
.LBB94_203:
	s_wait_xcnt 0x0
	s_or_b32 exec_lo, exec_lo, s12
	v_dual_mov_b32 v110, v102 :: v_dual_mov_b32 v109, v102
.LBB94_204:
	s_or_b32 exec_lo, exec_lo, s1
.LBB94_205:
	s_and_not1_saveexec_b32 s0, s0
	s_cbranch_execz .LBB94_207
; %bb.206:
	v_dual_mov_b32 v102, v88 :: v_dual_mov_b32 v103, v89
	v_dual_mov_b32 v110, v32 :: v_dual_mov_b32 v111, v33
	ds_store_2addr_b64 v106, v[102:103], v[110:111] offset0:10 offset1:11
	v_dual_mov_b32 v102, v84 :: v_dual_mov_b32 v103, v85
	v_dual_mov_b32 v110, v80 :: v_dual_mov_b32 v111, v81
	ds_store_2addr_b64 v106, v[102:103], v[110:111] offset0:12 offset1:13
	;; [unrolled: 3-line block ×18, first 2 shown]
	v_dual_mov_b32 v102, v14 :: v_dual_mov_b32 v103, v15
	v_mov_b32_e32 v110, 9
	ds_store_2addr_b64 v106, v[102:103], v[100:101] offset0:46 offset1:47
.LBB94_207:
	s_or_b32 exec_lo, exec_lo, s0
	s_delay_alu instid0(SALU_CYCLE_1)
	s_mov_b32 s0, exec_lo
	s_wait_storecnt_dscnt 0x0
	s_barrier_signal -1
	s_barrier_wait -1
	v_cmpx_lt_i32_e32 9, v110
	s_cbranch_execz .LBB94_209
; %bb.208:
	v_pk_mul_f32 v[112:113], v[104:105], v[86:87] op_sel:[1,1] op_sel_hi:[0,1]
	s_delay_alu instid0(VALU_DEP_1)
	v_pk_fma_f32 v[102:103], v[104:105], v[86:87], v[112:113] op_sel_hi:[1,0,1] neg_lo:[0,0,1] neg_hi:[0,0,1]
	v_pk_fma_f32 v[104:105], v[104:105], v[86:87], v[112:113] op_sel_hi:[1,0,1]
	ds_load_2addr_b64 v[112:115], v106 offset0:10 offset1:11
	v_dual_mov_b32 v86, v102 :: v_dual_mov_b32 v87, v105
	s_wait_dscnt 0x0
	v_pk_mul_f32 v[116:117], v[112:113], v[104:105] op_sel:[0,1]
	s_delay_alu instid0(VALU_DEP_1) | instskip(SKIP_1) | instid1(VALU_DEP_1)
	v_pk_fma_f32 v[118:119], v[112:113], v[102:103], v[116:117] op_sel:[0,0,1] op_sel_hi:[1,1,0] neg_lo:[0,0,1] neg_hi:[0,0,1]
	v_pk_fma_f32 v[112:113], v[112:113], v[102:103], v[116:117] op_sel:[0,0,1] op_sel_hi:[1,0,0]
	v_mov_b32_e32 v119, v113
	v_pk_mul_f32 v[112:113], v[114:115], v[104:105] op_sel:[0,1]
	s_delay_alu instid0(VALU_DEP_1) | instskip(SKIP_1) | instid1(VALU_DEP_1)
	v_pk_fma_f32 v[116:117], v[114:115], v[102:103], v[112:113] op_sel:[0,0,1] op_sel_hi:[1,1,0] neg_lo:[0,0,1] neg_hi:[0,0,1]
	v_pk_fma_f32 v[112:113], v[114:115], v[102:103], v[112:113] op_sel:[0,0,1] op_sel_hi:[1,0,0]
	v_mov_b32_e32 v117, v113
	ds_load_2addr_b64 v[112:115], v106 offset0:12 offset1:13
	v_pk_add_f32 v[88:89], v[88:89], v[118:119] neg_lo:[0,1] neg_hi:[0,1]
	v_pk_add_f32 v[32:33], v[32:33], v[116:117] neg_lo:[0,1] neg_hi:[0,1]
	s_wait_dscnt 0x0
	v_pk_mul_f32 v[116:117], v[112:113], v[104:105] op_sel:[0,1]
	s_delay_alu instid0(VALU_DEP_1) | instskip(SKIP_2) | instid1(VALU_DEP_2)
	v_pk_fma_f32 v[118:119], v[112:113], v[102:103], v[116:117] op_sel:[0,0,1] op_sel_hi:[1,1,0] neg_lo:[0,0,1] neg_hi:[0,0,1]
	v_pk_fma_f32 v[112:113], v[112:113], v[102:103], v[116:117] op_sel:[0,0,1] op_sel_hi:[1,0,0]
	v_dual_mul_f32 v116, v115, v105 :: v_dual_mov_b32 v112, v115
	v_dual_mov_b32 v119, v113 :: v_dual_mov_b32 v113, v114
	s_delay_alu instid0(VALU_DEP_2) | instskip(SKIP_1) | instid1(VALU_DEP_3)
	v_pk_fma_f32 v[116:117], v[114:115], v[86:87], v[116:117] op_sel_hi:[1,1,0] neg_lo:[0,0,1] neg_hi:[0,0,1]
	v_mul_f32_e32 v114, v115, v102
	v_pk_add_f32 v[84:85], v[84:85], v[118:119] neg_lo:[0,1] neg_hi:[0,1]
	s_delay_alu instid0(VALU_DEP_2) | instskip(NEXT) | instid1(VALU_DEP_1)
	v_pk_fma_f32 v[112:113], v[112:113], v[86:87], v[114:115] op_sel_hi:[1,1,0]
	v_mov_b32_e32 v117, v113
	ds_load_2addr_b64 v[112:115], v106 offset0:14 offset1:15
	v_pk_add_f32 v[80:81], v[80:81], v[116:117] neg_lo:[0,1] neg_hi:[0,1]
	s_wait_dscnt 0x0
	v_pk_mul_f32 v[116:117], v[112:113], v[104:105] op_sel:[0,1]
	s_delay_alu instid0(VALU_DEP_1) | instskip(SKIP_1) | instid1(VALU_DEP_1)
	v_pk_fma_f32 v[118:119], v[112:113], v[102:103], v[116:117] op_sel:[0,0,1] op_sel_hi:[1,1,0] neg_lo:[0,0,1] neg_hi:[0,0,1]
	v_pk_fma_f32 v[112:113], v[112:113], v[102:103], v[116:117] op_sel:[0,0,1] op_sel_hi:[1,0,0]
	v_mov_b32_e32 v119, v113
	v_pk_mul_f32 v[112:113], v[114:115], v[104:105] op_sel:[0,1]
	s_delay_alu instid0(VALU_DEP_1) | instskip(SKIP_1) | instid1(VALU_DEP_1)
	v_pk_fma_f32 v[116:117], v[114:115], v[102:103], v[112:113] op_sel:[0,0,1] op_sel_hi:[1,1,0] neg_lo:[0,0,1] neg_hi:[0,0,1]
	v_pk_fma_f32 v[112:113], v[114:115], v[102:103], v[112:113] op_sel:[0,0,1] op_sel_hi:[1,0,0]
	v_mov_b32_e32 v117, v113
	ds_load_2addr_b64 v[112:115], v106 offset0:16 offset1:17
	v_pk_add_f32 v[82:83], v[82:83], v[118:119] neg_lo:[0,1] neg_hi:[0,1]
	v_pk_add_f32 v[26:27], v[26:27], v[116:117] neg_lo:[0,1] neg_hi:[0,1]
	s_wait_dscnt 0x0
	v_pk_mul_f32 v[116:117], v[112:113], v[104:105] op_sel:[0,1]
	s_delay_alu instid0(VALU_DEP_1) | instskip(SKIP_1) | instid1(VALU_DEP_1)
	v_pk_fma_f32 v[118:119], v[112:113], v[102:103], v[116:117] op_sel:[0,0,1] op_sel_hi:[1,1,0] neg_lo:[0,0,1] neg_hi:[0,0,1]
	v_pk_fma_f32 v[112:113], v[112:113], v[102:103], v[116:117] op_sel:[0,0,1] op_sel_hi:[1,0,0]
	v_mov_b32_e32 v119, v113
	v_pk_mul_f32 v[112:113], v[114:115], v[104:105] op_sel:[0,1]
	s_delay_alu instid0(VALU_DEP_1) | instskip(SKIP_1) | instid1(VALU_DEP_1)
	v_pk_fma_f32 v[116:117], v[114:115], v[102:103], v[112:113] op_sel:[0,0,1] op_sel_hi:[1,1,0] neg_lo:[0,0,1] neg_hi:[0,0,1]
	v_pk_fma_f32 v[112:113], v[114:115], v[102:103], v[112:113] op_sel:[0,0,1] op_sel_hi:[1,0,0]
	v_mov_b32_e32 v117, v113
	ds_load_2addr_b64 v[112:115], v106 offset0:18 offset1:19
	v_pk_add_f32 v[78:79], v[78:79], v[118:119] neg_lo:[0,1] neg_hi:[0,1]
	v_pk_add_f32 v[74:75], v[74:75], v[116:117] neg_lo:[0,1] neg_hi:[0,1]
	s_wait_dscnt 0x0
	v_dual_mul_f32 v116, v113, v105 :: v_dual_mul_f32 v118, v113, v102
	s_delay_alu instid0(VALU_DEP_1) | instskip(NEXT) | instid1(VALU_DEP_2)
	v_pk_fma_f32 v[116:117], v[112:113], v[86:87], v[116:117] op_sel_hi:[1,1,0] neg_lo:[0,0,1] neg_hi:[0,0,1]
	v_pk_fma_f32 v[112:113], v[112:113], v[86:87], v[118:119] op_sel:[1,0,0] op_sel_hi:[0,1,0]
	s_delay_alu instid0(VALU_DEP_1) | instskip(SKIP_1) | instid1(VALU_DEP_2)
	v_mov_b32_e32 v117, v113
	v_pk_mul_f32 v[112:113], v[114:115], v[104:105] op_sel:[0,1]
	v_pk_add_f32 v[76:77], v[76:77], v[116:117] neg_lo:[0,1] neg_hi:[0,1]
	s_delay_alu instid0(VALU_DEP_2) | instskip(SKIP_1) | instid1(VALU_DEP_1)
	v_pk_fma_f32 v[116:117], v[114:115], v[102:103], v[112:113] op_sel:[0,0,1] op_sel_hi:[1,1,0] neg_lo:[0,0,1] neg_hi:[0,0,1]
	v_pk_fma_f32 v[112:113], v[114:115], v[102:103], v[112:113] op_sel:[0,0,1] op_sel_hi:[1,0,0]
	v_mov_b32_e32 v117, v113
	ds_load_2addr_b64 v[112:115], v106 offset0:20 offset1:21
	v_pk_add_f32 v[24:25], v[24:25], v[116:117] neg_lo:[0,1] neg_hi:[0,1]
	s_wait_dscnt 0x0
	v_pk_mul_f32 v[116:117], v[112:113], v[104:105] op_sel:[0,1]
	s_delay_alu instid0(VALU_DEP_1) | instskip(SKIP_1) | instid1(VALU_DEP_1)
	v_pk_fma_f32 v[118:119], v[112:113], v[102:103], v[116:117] op_sel:[0,0,1] op_sel_hi:[1,1,0] neg_lo:[0,0,1] neg_hi:[0,0,1]
	v_pk_fma_f32 v[112:113], v[112:113], v[102:103], v[116:117] op_sel:[0,0,1] op_sel_hi:[1,0,0]
	v_mov_b32_e32 v119, v113
	v_pk_mul_f32 v[112:113], v[114:115], v[104:105] op_sel:[0,1]
	s_delay_alu instid0(VALU_DEP_2) | instskip(NEXT) | instid1(VALU_DEP_2)
	v_pk_add_f32 v[72:73], v[72:73], v[118:119] neg_lo:[0,1] neg_hi:[0,1]
	v_pk_fma_f32 v[116:117], v[114:115], v[102:103], v[112:113] op_sel:[0,0,1] op_sel_hi:[1,1,0] neg_lo:[0,0,1] neg_hi:[0,0,1]
	v_pk_fma_f32 v[112:113], v[114:115], v[102:103], v[112:113] op_sel:[0,0,1] op_sel_hi:[1,0,0]
	s_delay_alu instid0(VALU_DEP_1) | instskip(SKIP_4) | instid1(VALU_DEP_1)
	v_mov_b32_e32 v117, v113
	ds_load_2addr_b64 v[112:115], v106 offset0:22 offset1:23
	v_pk_add_f32 v[68:69], v[68:69], v[116:117] neg_lo:[0,1] neg_hi:[0,1]
	s_wait_dscnt 0x0
	v_pk_mul_f32 v[116:117], v[112:113], v[104:105] op_sel:[0,1]
	v_pk_fma_f32 v[118:119], v[112:113], v[102:103], v[116:117] op_sel:[0,0,1] op_sel_hi:[1,1,0] neg_lo:[0,0,1] neg_hi:[0,0,1]
	v_pk_fma_f32 v[112:113], v[112:113], v[102:103], v[116:117] op_sel:[0,0,1] op_sel_hi:[1,0,0]
	v_dual_mul_f32 v116, v115, v105 :: v_dual_mov_b32 v112, v115
	s_delay_alu instid0(VALU_DEP_2) | instskip(NEXT) | instid1(VALU_DEP_2)
	v_dual_mov_b32 v119, v113 :: v_dual_mov_b32 v113, v114
	v_pk_fma_f32 v[116:117], v[114:115], v[86:87], v[116:117] op_sel_hi:[1,1,0] neg_lo:[0,0,1] neg_hi:[0,0,1]
	v_mul_f32_e32 v114, v115, v102
	s_delay_alu instid0(VALU_DEP_3) | instskip(NEXT) | instid1(VALU_DEP_2)
	v_pk_add_f32 v[70:71], v[70:71], v[118:119] neg_lo:[0,1] neg_hi:[0,1]
	v_pk_fma_f32 v[112:113], v[112:113], v[86:87], v[114:115] op_sel_hi:[1,1,0]
	s_delay_alu instid0(VALU_DEP_1) | instskip(SKIP_4) | instid1(VALU_DEP_1)
	v_mov_b32_e32 v117, v113
	ds_load_2addr_b64 v[112:115], v106 offset0:24 offset1:25
	v_pk_add_f32 v[22:23], v[22:23], v[116:117] neg_lo:[0,1] neg_hi:[0,1]
	s_wait_dscnt 0x0
	v_pk_mul_f32 v[116:117], v[112:113], v[104:105] op_sel:[0,1]
	v_pk_fma_f32 v[118:119], v[112:113], v[102:103], v[116:117] op_sel:[0,0,1] op_sel_hi:[1,1,0] neg_lo:[0,0,1] neg_hi:[0,0,1]
	v_pk_fma_f32 v[112:113], v[112:113], v[102:103], v[116:117] op_sel:[0,0,1] op_sel_hi:[1,0,0]
	s_delay_alu instid0(VALU_DEP_1) | instskip(SKIP_1) | instid1(VALU_DEP_1)
	v_mov_b32_e32 v119, v113
	v_pk_mul_f32 v[112:113], v[114:115], v[104:105] op_sel:[0,1]
	v_pk_fma_f32 v[116:117], v[114:115], v[102:103], v[112:113] op_sel:[0,0,1] op_sel_hi:[1,1,0] neg_lo:[0,0,1] neg_hi:[0,0,1]
	v_pk_fma_f32 v[112:113], v[114:115], v[102:103], v[112:113] op_sel:[0,0,1] op_sel_hi:[1,0,0]
	s_delay_alu instid0(VALU_DEP_1)
	v_mov_b32_e32 v117, v113
	ds_load_2addr_b64 v[112:115], v106 offset0:26 offset1:27
	v_pk_add_f32 v[66:67], v[66:67], v[118:119] neg_lo:[0,1] neg_hi:[0,1]
	v_pk_add_f32 v[62:63], v[62:63], v[116:117] neg_lo:[0,1] neg_hi:[0,1]
	s_wait_dscnt 0x0
	v_pk_mul_f32 v[116:117], v[112:113], v[104:105] op_sel:[0,1]
	s_delay_alu instid0(VALU_DEP_1) | instskip(SKIP_1) | instid1(VALU_DEP_1)
	v_pk_fma_f32 v[118:119], v[112:113], v[102:103], v[116:117] op_sel:[0,0,1] op_sel_hi:[1,1,0] neg_lo:[0,0,1] neg_hi:[0,0,1]
	v_pk_fma_f32 v[112:113], v[112:113], v[102:103], v[116:117] op_sel:[0,0,1] op_sel_hi:[1,0,0]
	v_mov_b32_e32 v119, v113
	v_pk_mul_f32 v[112:113], v[114:115], v[104:105] op_sel:[0,1]
	s_delay_alu instid0(VALU_DEP_1) | instskip(SKIP_1) | instid1(VALU_DEP_1)
	v_pk_fma_f32 v[116:117], v[114:115], v[102:103], v[112:113] op_sel:[0,0,1] op_sel_hi:[1,1,0] neg_lo:[0,0,1] neg_hi:[0,0,1]
	v_pk_fma_f32 v[112:113], v[114:115], v[102:103], v[112:113] op_sel:[0,0,1] op_sel_hi:[1,0,0]
	v_mov_b32_e32 v117, v113
	ds_load_2addr_b64 v[112:115], v106 offset0:28 offset1:29
	v_pk_add_f32 v[64:65], v[64:65], v[118:119] neg_lo:[0,1] neg_hi:[0,1]
	v_pk_add_f32 v[20:21], v[20:21], v[116:117] neg_lo:[0,1] neg_hi:[0,1]
	s_wait_dscnt 0x0
	v_dual_mul_f32 v116, v113, v105 :: v_dual_mul_f32 v118, v113, v102
	s_delay_alu instid0(VALU_DEP_1) | instskip(NEXT) | instid1(VALU_DEP_2)
	v_pk_fma_f32 v[116:117], v[112:113], v[86:87], v[116:117] op_sel_hi:[1,1,0] neg_lo:[0,0,1] neg_hi:[0,0,1]
	v_pk_fma_f32 v[112:113], v[112:113], v[86:87], v[118:119] op_sel:[1,0,0] op_sel_hi:[0,1,0]
	s_delay_alu instid0(VALU_DEP_1) | instskip(SKIP_1) | instid1(VALU_DEP_2)
	v_mov_b32_e32 v117, v113
	v_pk_mul_f32 v[112:113], v[114:115], v[104:105] op_sel:[0,1]
	v_pk_add_f32 v[54:55], v[54:55], v[116:117] neg_lo:[0,1] neg_hi:[0,1]
	s_delay_alu instid0(VALU_DEP_2) | instskip(SKIP_1) | instid1(VALU_DEP_1)
	v_pk_fma_f32 v[116:117], v[114:115], v[102:103], v[112:113] op_sel:[0,0,1] op_sel_hi:[1,1,0] neg_lo:[0,0,1] neg_hi:[0,0,1]
	v_pk_fma_f32 v[112:113], v[114:115], v[102:103], v[112:113] op_sel:[0,0,1] op_sel_hi:[1,0,0]
	v_mov_b32_e32 v117, v113
	ds_load_2addr_b64 v[112:115], v106 offset0:30 offset1:31
	v_pk_add_f32 v[50:51], v[50:51], v[116:117] neg_lo:[0,1] neg_hi:[0,1]
	s_wait_dscnt 0x0
	v_pk_mul_f32 v[116:117], v[112:113], v[104:105] op_sel:[0,1]
	s_delay_alu instid0(VALU_DEP_1) | instskip(SKIP_1) | instid1(VALU_DEP_1)
	v_pk_fma_f32 v[118:119], v[112:113], v[102:103], v[116:117] op_sel:[0,0,1] op_sel_hi:[1,1,0] neg_lo:[0,0,1] neg_hi:[0,0,1]
	v_pk_fma_f32 v[112:113], v[112:113], v[102:103], v[116:117] op_sel:[0,0,1] op_sel_hi:[1,0,0]
	v_mov_b32_e32 v119, v113
	v_pk_mul_f32 v[112:113], v[114:115], v[104:105] op_sel:[0,1]
	s_delay_alu instid0(VALU_DEP_2) | instskip(NEXT) | instid1(VALU_DEP_2)
	v_pk_add_f32 v[52:53], v[52:53], v[118:119] neg_lo:[0,1] neg_hi:[0,1]
	v_pk_fma_f32 v[116:117], v[114:115], v[102:103], v[112:113] op_sel:[0,0,1] op_sel_hi:[1,1,0] neg_lo:[0,0,1] neg_hi:[0,0,1]
	v_pk_fma_f32 v[112:113], v[114:115], v[102:103], v[112:113] op_sel:[0,0,1] op_sel_hi:[1,0,0]
	s_delay_alu instid0(VALU_DEP_1) | instskip(SKIP_4) | instid1(VALU_DEP_1)
	v_mov_b32_e32 v117, v113
	ds_load_2addr_b64 v[112:115], v106 offset0:32 offset1:33
	v_pk_add_f32 v[12:13], v[12:13], v[116:117] neg_lo:[0,1] neg_hi:[0,1]
	s_wait_dscnt 0x0
	v_pk_mul_f32 v[116:117], v[112:113], v[104:105] op_sel:[0,1]
	v_pk_fma_f32 v[118:119], v[112:113], v[102:103], v[116:117] op_sel:[0,0,1] op_sel_hi:[1,1,0] neg_lo:[0,0,1] neg_hi:[0,0,1]
	v_pk_fma_f32 v[112:113], v[112:113], v[102:103], v[116:117] op_sel:[0,0,1] op_sel_hi:[1,0,0]
	v_dual_mul_f32 v116, v115, v105 :: v_dual_mov_b32 v112, v115
	s_delay_alu instid0(VALU_DEP_2) | instskip(NEXT) | instid1(VALU_DEP_2)
	v_dual_mov_b32 v119, v113 :: v_dual_mov_b32 v113, v114
	v_pk_fma_f32 v[116:117], v[114:115], v[86:87], v[116:117] op_sel_hi:[1,1,0] neg_lo:[0,0,1] neg_hi:[0,0,1]
	v_mul_f32_e32 v114, v115, v102
	s_delay_alu instid0(VALU_DEP_3) | instskip(NEXT) | instid1(VALU_DEP_2)
	v_pk_add_f32 v[48:49], v[48:49], v[118:119] neg_lo:[0,1] neg_hi:[0,1]
	v_pk_fma_f32 v[112:113], v[112:113], v[86:87], v[114:115] op_sel_hi:[1,1,0]
	s_delay_alu instid0(VALU_DEP_1) | instskip(SKIP_4) | instid1(VALU_DEP_1)
	v_mov_b32_e32 v117, v113
	ds_load_2addr_b64 v[112:115], v106 offset0:34 offset1:35
	v_pk_add_f32 v[44:45], v[44:45], v[116:117] neg_lo:[0,1] neg_hi:[0,1]
	s_wait_dscnt 0x0
	v_pk_mul_f32 v[116:117], v[112:113], v[104:105] op_sel:[0,1]
	v_pk_fma_f32 v[118:119], v[112:113], v[102:103], v[116:117] op_sel:[0,0,1] op_sel_hi:[1,1,0] neg_lo:[0,0,1] neg_hi:[0,0,1]
	v_pk_fma_f32 v[112:113], v[112:113], v[102:103], v[116:117] op_sel:[0,0,1] op_sel_hi:[1,0,0]
	s_delay_alu instid0(VALU_DEP_1) | instskip(SKIP_1) | instid1(VALU_DEP_1)
	v_mov_b32_e32 v119, v113
	v_pk_mul_f32 v[112:113], v[114:115], v[104:105] op_sel:[0,1]
	v_pk_fma_f32 v[116:117], v[114:115], v[102:103], v[112:113] op_sel:[0,0,1] op_sel_hi:[1,1,0] neg_lo:[0,0,1] neg_hi:[0,0,1]
	v_pk_fma_f32 v[112:113], v[114:115], v[102:103], v[112:113] op_sel:[0,0,1] op_sel_hi:[1,0,0]
	s_delay_alu instid0(VALU_DEP_1)
	v_mov_b32_e32 v117, v113
	ds_load_2addr_b64 v[112:115], v106 offset0:36 offset1:37
	v_pk_add_f32 v[46:47], v[46:47], v[118:119] neg_lo:[0,1] neg_hi:[0,1]
	v_pk_add_f32 v[10:11], v[10:11], v[116:117] neg_lo:[0,1] neg_hi:[0,1]
	s_wait_dscnt 0x0
	v_pk_mul_f32 v[116:117], v[112:113], v[104:105] op_sel:[0,1]
	s_delay_alu instid0(VALU_DEP_1) | instskip(SKIP_1) | instid1(VALU_DEP_1)
	v_pk_fma_f32 v[118:119], v[112:113], v[102:103], v[116:117] op_sel:[0,0,1] op_sel_hi:[1,1,0] neg_lo:[0,0,1] neg_hi:[0,0,1]
	v_pk_fma_f32 v[112:113], v[112:113], v[102:103], v[116:117] op_sel:[0,0,1] op_sel_hi:[1,0,0]
	v_mov_b32_e32 v119, v113
	v_pk_mul_f32 v[112:113], v[114:115], v[104:105] op_sel:[0,1]
	s_delay_alu instid0(VALU_DEP_1) | instskip(SKIP_1) | instid1(VALU_DEP_1)
	v_pk_fma_f32 v[116:117], v[114:115], v[102:103], v[112:113] op_sel:[0,0,1] op_sel_hi:[1,1,0] neg_lo:[0,0,1] neg_hi:[0,0,1]
	v_pk_fma_f32 v[112:113], v[114:115], v[102:103], v[112:113] op_sel:[0,0,1] op_sel_hi:[1,0,0]
	v_mov_b32_e32 v117, v113
	ds_load_2addr_b64 v[112:115], v106 offset0:38 offset1:39
	v_pk_add_f32 v[42:43], v[42:43], v[118:119] neg_lo:[0,1] neg_hi:[0,1]
	v_pk_add_f32 v[38:39], v[38:39], v[116:117] neg_lo:[0,1] neg_hi:[0,1]
	s_wait_dscnt 0x0
	v_dual_mul_f32 v116, v113, v105 :: v_dual_mul_f32 v118, v113, v102
	s_delay_alu instid0(VALU_DEP_1) | instskip(NEXT) | instid1(VALU_DEP_2)
	v_pk_fma_f32 v[116:117], v[112:113], v[86:87], v[116:117] op_sel_hi:[1,1,0] neg_lo:[0,0,1] neg_hi:[0,0,1]
	v_pk_fma_f32 v[112:113], v[112:113], v[86:87], v[118:119] op_sel:[1,0,0] op_sel_hi:[0,1,0]
	s_delay_alu instid0(VALU_DEP_1) | instskip(SKIP_1) | instid1(VALU_DEP_2)
	v_mov_b32_e32 v117, v113
	v_pk_mul_f32 v[112:113], v[114:115], v[104:105] op_sel:[0,1]
	v_pk_add_f32 v[40:41], v[40:41], v[116:117] neg_lo:[0,1] neg_hi:[0,1]
	s_delay_alu instid0(VALU_DEP_2) | instskip(SKIP_1) | instid1(VALU_DEP_1)
	v_pk_fma_f32 v[116:117], v[114:115], v[102:103], v[112:113] op_sel:[0,0,1] op_sel_hi:[1,1,0] neg_lo:[0,0,1] neg_hi:[0,0,1]
	v_pk_fma_f32 v[112:113], v[114:115], v[102:103], v[112:113] op_sel:[0,0,1] op_sel_hi:[1,0,0]
	v_mov_b32_e32 v117, v113
	ds_load_2addr_b64 v[112:115], v106 offset0:40 offset1:41
	v_pk_add_f32 v[6:7], v[6:7], v[116:117] neg_lo:[0,1] neg_hi:[0,1]
	s_wait_dscnt 0x0
	v_pk_mul_f32 v[116:117], v[112:113], v[104:105] op_sel:[0,1]
	s_delay_alu instid0(VALU_DEP_1) | instskip(SKIP_1) | instid1(VALU_DEP_1)
	v_pk_fma_f32 v[118:119], v[112:113], v[102:103], v[116:117] op_sel:[0,0,1] op_sel_hi:[1,1,0] neg_lo:[0,0,1] neg_hi:[0,0,1]
	v_pk_fma_f32 v[112:113], v[112:113], v[102:103], v[116:117] op_sel:[0,0,1] op_sel_hi:[1,0,0]
	v_mov_b32_e32 v119, v113
	v_pk_mul_f32 v[112:113], v[114:115], v[104:105] op_sel:[0,1]
	s_delay_alu instid0(VALU_DEP_2) | instskip(NEXT) | instid1(VALU_DEP_2)
	v_pk_add_f32 v[36:37], v[36:37], v[118:119] neg_lo:[0,1] neg_hi:[0,1]
	v_pk_fma_f32 v[116:117], v[114:115], v[102:103], v[112:113] op_sel:[0,0,1] op_sel_hi:[1,1,0] neg_lo:[0,0,1] neg_hi:[0,0,1]
	v_pk_fma_f32 v[112:113], v[114:115], v[102:103], v[112:113] op_sel:[0,0,1] op_sel_hi:[1,0,0]
	s_delay_alu instid0(VALU_DEP_1) | instskip(SKIP_4) | instid1(VALU_DEP_1)
	v_mov_b32_e32 v117, v113
	ds_load_2addr_b64 v[112:115], v106 offset0:42 offset1:43
	v_pk_add_f32 v[30:31], v[30:31], v[116:117] neg_lo:[0,1] neg_hi:[0,1]
	s_wait_dscnt 0x0
	v_pk_mul_f32 v[116:117], v[112:113], v[104:105] op_sel:[0,1]
	v_pk_fma_f32 v[118:119], v[112:113], v[102:103], v[116:117] op_sel:[0,0,1] op_sel_hi:[1,1,0] neg_lo:[0,0,1] neg_hi:[0,0,1]
	v_pk_fma_f32 v[112:113], v[112:113], v[102:103], v[116:117] op_sel:[0,0,1] op_sel_hi:[1,0,0]
	v_dual_mul_f32 v116, v115, v105 :: v_dual_mov_b32 v112, v115
	s_delay_alu instid0(VALU_DEP_2) | instskip(NEXT) | instid1(VALU_DEP_2)
	v_dual_mov_b32 v119, v113 :: v_dual_mov_b32 v113, v114
	v_pk_fma_f32 v[116:117], v[114:115], v[86:87], v[116:117] op_sel_hi:[1,1,0] neg_lo:[0,0,1] neg_hi:[0,0,1]
	v_mul_f32_e32 v114, v115, v102
	s_delay_alu instid0(VALU_DEP_3) | instskip(NEXT) | instid1(VALU_DEP_2)
	v_pk_add_f32 v[34:35], v[34:35], v[118:119] neg_lo:[0,1] neg_hi:[0,1]
	v_pk_fma_f32 v[112:113], v[112:113], v[86:87], v[114:115] op_sel_hi:[1,1,0]
	s_delay_alu instid0(VALU_DEP_1) | instskip(SKIP_4) | instid1(VALU_DEP_1)
	v_mov_b32_e32 v117, v113
	ds_load_2addr_b64 v[112:115], v106 offset0:44 offset1:45
	v_pk_add_f32 v[8:9], v[8:9], v[116:117] neg_lo:[0,1] neg_hi:[0,1]
	s_wait_dscnt 0x0
	v_pk_mul_f32 v[116:117], v[112:113], v[104:105] op_sel:[0,1]
	v_pk_fma_f32 v[118:119], v[112:113], v[102:103], v[116:117] op_sel:[0,0,1] op_sel_hi:[1,1,0] neg_lo:[0,0,1] neg_hi:[0,0,1]
	v_pk_fma_f32 v[112:113], v[112:113], v[102:103], v[116:117] op_sel:[0,0,1] op_sel_hi:[1,0,0]
	s_delay_alu instid0(VALU_DEP_1) | instskip(SKIP_1) | instid1(VALU_DEP_1)
	v_mov_b32_e32 v119, v113
	v_pk_mul_f32 v[112:113], v[114:115], v[104:105] op_sel:[0,1]
	v_pk_fma_f32 v[116:117], v[114:115], v[102:103], v[112:113] op_sel:[0,0,1] op_sel_hi:[1,1,0] neg_lo:[0,0,1] neg_hi:[0,0,1]
	v_pk_fma_f32 v[112:113], v[114:115], v[102:103], v[112:113] op_sel:[0,0,1] op_sel_hi:[1,0,0]
	s_delay_alu instid0(VALU_DEP_1)
	v_mov_b32_e32 v117, v113
	ds_load_2addr_b64 v[112:115], v106 offset0:46 offset1:47
	v_pk_add_f32 v[28:29], v[28:29], v[118:119] neg_lo:[0,1] neg_hi:[0,1]
	v_pk_add_f32 v[18:19], v[18:19], v[116:117] neg_lo:[0,1] neg_hi:[0,1]
	s_wait_dscnt 0x0
	v_pk_mul_f32 v[116:117], v[112:113], v[104:105] op_sel:[0,1]
	v_pk_mul_f32 v[104:105], v[114:115], v[104:105] op_sel:[0,1]
	s_delay_alu instid0(VALU_DEP_2) | instskip(SKIP_1) | instid1(VALU_DEP_1)
	v_pk_fma_f32 v[118:119], v[112:113], v[102:103], v[116:117] op_sel:[0,0,1] op_sel_hi:[1,1,0] neg_lo:[0,0,1] neg_hi:[0,0,1]
	v_pk_fma_f32 v[112:113], v[112:113], v[102:103], v[116:117] op_sel:[0,0,1] op_sel_hi:[1,0,0]
	v_mov_b32_e32 v119, v113
	s_delay_alu instid0(VALU_DEP_4) | instskip(SKIP_1) | instid1(VALU_DEP_1)
	v_pk_fma_f32 v[112:113], v[114:115], v[102:103], v[104:105] op_sel:[0,0,1] op_sel_hi:[1,1,0] neg_lo:[0,0,1] neg_hi:[0,0,1]
	v_pk_fma_f32 v[102:103], v[114:115], v[102:103], v[104:105] op_sel:[0,0,1] op_sel_hi:[1,0,0]
	v_mov_b32_e32 v113, v103
	s_delay_alu instid0(VALU_DEP_4) | instskip(NEXT) | instid1(VALU_DEP_2)
	v_pk_add_f32 v[14:15], v[14:15], v[118:119] neg_lo:[0,1] neg_hi:[0,1]
	v_pk_add_f32 v[100:101], v[100:101], v[112:113] neg_lo:[0,1] neg_hi:[0,1]
.LBB94_209:
	s_or_b32 exec_lo, exec_lo, s0
	v_lshl_add_u32 v102, v110, 3, v106
	s_barrier_signal -1
	s_barrier_wait -1
	ds_store_b64 v102, v[88:89]
	s_wait_dscnt 0x0
	s_barrier_signal -1
	s_barrier_wait -1
	ds_load_b64 v[104:105], v106 offset:80
	v_mov_b32_e32 v102, 10
	s_cmp_lt_i32 s18, 12
	s_cbranch_scc1 .LBB94_212
; %bb.210:
	v_add3_u32 v103, v107, 0, 0x58
	v_mov_b32_e32 v102, 10
	s_mov_b32 s0, 11
.LBB94_211:                             ; =>This Inner Loop Header: Depth=1
	ds_load_b64 v[112:113], v103
	s_wait_dscnt 0x1
	v_cmp_gt_f32_e32 vcc_lo, 0, v104
	v_cndmask_b32_e64 v114, v104, -v104, vcc_lo
	v_cmp_gt_f32_e32 vcc_lo, 0, v105
	v_cndmask_b32_e64 v116, v105, -v105, vcc_lo
	s_wait_dscnt 0x0
	v_cmp_gt_f32_e32 vcc_lo, 0, v112
	v_cndmask_b32_e64 v115, v112, -v112, vcc_lo
	v_cmp_gt_f32_e32 vcc_lo, 0, v113
	v_cndmask_b32_e64 v117, v113, -v113, vcc_lo
	s_delay_alu instid0(VALU_DEP_1) | instskip(NEXT) | instid1(VALU_DEP_1)
	v_pk_add_f32 v[114:115], v[114:115], v[116:117]
	v_cmp_lt_f32_e32 vcc_lo, v114, v115
	v_dual_add_nc_u32 v103, 8, v103 :: v_dual_cndmask_b32 v105, v105, v113, vcc_lo
	v_cndmask_b32_e32 v104, v104, v112, vcc_lo
	v_cndmask_b32_e64 v102, v102, s0, vcc_lo
	s_add_co_i32 s0, s0, 1
	s_delay_alu instid0(SALU_CYCLE_1)
	s_cmp_lg_u32 s18, s0
	s_cbranch_scc1 .LBB94_211
.LBB94_212:
	s_wait_dscnt 0x0
	v_cmp_eq_f32_e32 vcc_lo, 0, v104
	v_cmp_eq_f32_e64 s0, 0, v105
	s_and_b32 s0, vcc_lo, s0
	s_delay_alu instid0(SALU_CYCLE_1) | instskip(NEXT) | instid1(SALU_CYCLE_1)
	s_and_saveexec_b32 s1, s0
	s_xor_b32 s0, exec_lo, s1
; %bb.213:
	v_cmp_ne_u32_e32 vcc_lo, 0, v108
	v_cndmask_b32_e32 v108, 11, v108, vcc_lo
; %bb.214:
	s_and_not1_saveexec_b32 s0, s0
	s_cbranch_execz .LBB94_220
; %bb.215:
	v_cmp_ngt_f32_e64 s1, |v104|, |v105|
	s_and_saveexec_b32 s12, s1
	s_delay_alu instid0(SALU_CYCLE_1)
	s_xor_b32 s1, exec_lo, s12
	s_cbranch_execz .LBB94_217
; %bb.216:
	v_div_scale_f32 v103, null, v105, v105, v104
	v_div_scale_f32 v113, vcc_lo, v104, v105, v104
	s_delay_alu instid0(VALU_DEP_2) | instskip(SKIP_1) | instid1(TRANS32_DEP_1)
	v_rcp_f32_e32 v111, v103
	v_nop
	v_fma_f32 v112, -v103, v111, 1.0
	s_delay_alu instid0(VALU_DEP_1) | instskip(NEXT) | instid1(VALU_DEP_1)
	v_fmac_f32_e32 v111, v112, v111
	v_mul_f32_e32 v112, v113, v111
	s_delay_alu instid0(VALU_DEP_1) | instskip(NEXT) | instid1(VALU_DEP_1)
	v_fma_f32 v114, -v103, v112, v113
	v_fmac_f32_e32 v112, v114, v111
	s_delay_alu instid0(VALU_DEP_1) | instskip(NEXT) | instid1(VALU_DEP_1)
	v_fma_f32 v103, -v103, v112, v113
	v_div_fmas_f32 v103, v103, v111, v112
	s_delay_alu instid0(VALU_DEP_1) | instskip(NEXT) | instid1(VALU_DEP_1)
	v_div_fixup_f32 v103, v103, v105, v104
	v_fmac_f32_e32 v105, v104, v103
	s_delay_alu instid0(VALU_DEP_1) | instskip(SKIP_1) | instid1(VALU_DEP_2)
	v_div_scale_f32 v104, null, v105, v105, 1.0
	v_div_scale_f32 v113, vcc_lo, 1.0, v105, 1.0
	v_rcp_f32_e32 v111, v104
	v_nop
	s_delay_alu instid0(TRANS32_DEP_1) | instskip(NEXT) | instid1(VALU_DEP_1)
	v_fma_f32 v112, -v104, v111, 1.0
	v_fmac_f32_e32 v111, v112, v111
	s_delay_alu instid0(VALU_DEP_1) | instskip(NEXT) | instid1(VALU_DEP_1)
	v_mul_f32_e32 v112, v113, v111
	v_fma_f32 v114, -v104, v112, v113
	s_delay_alu instid0(VALU_DEP_1) | instskip(NEXT) | instid1(VALU_DEP_1)
	v_fmac_f32_e32 v112, v114, v111
	v_fma_f32 v104, -v104, v112, v113
	s_delay_alu instid0(VALU_DEP_1) | instskip(NEXT) | instid1(VALU_DEP_1)
	v_div_fmas_f32 v104, v104, v111, v112
	v_div_fixup_f32 v105, v104, v105, 1.0
	s_delay_alu instid0(VALU_DEP_1)
	v_mul_f32_e32 v104, v103, v105
	v_xor_b32_e32 v105, 0x80000000, v105
.LBB94_217:
	s_and_not1_saveexec_b32 s1, s1
	s_cbranch_execz .LBB94_219
; %bb.218:
	s_delay_alu instid0(VALU_DEP_1) | instskip(SKIP_1) | instid1(VALU_DEP_2)
	v_div_scale_f32 v103, null, v104, v104, v105
	v_div_scale_f32 v113, vcc_lo, v105, v104, v105
	v_rcp_f32_e32 v111, v103
	v_nop
	s_delay_alu instid0(TRANS32_DEP_1) | instskip(NEXT) | instid1(VALU_DEP_1)
	v_fma_f32 v112, -v103, v111, 1.0
	v_fmac_f32_e32 v111, v112, v111
	s_delay_alu instid0(VALU_DEP_1) | instskip(NEXT) | instid1(VALU_DEP_1)
	v_mul_f32_e32 v112, v113, v111
	v_fma_f32 v114, -v103, v112, v113
	s_delay_alu instid0(VALU_DEP_1) | instskip(NEXT) | instid1(VALU_DEP_1)
	v_fmac_f32_e32 v112, v114, v111
	v_fma_f32 v103, -v103, v112, v113
	s_delay_alu instid0(VALU_DEP_1) | instskip(NEXT) | instid1(VALU_DEP_1)
	v_div_fmas_f32 v103, v103, v111, v112
	v_div_fixup_f32 v103, v103, v104, v105
	s_delay_alu instid0(VALU_DEP_1) | instskip(NEXT) | instid1(VALU_DEP_1)
	v_fmac_f32_e32 v104, v105, v103
	v_div_scale_f32 v105, null, v104, v104, 1.0
	s_delay_alu instid0(VALU_DEP_1) | instskip(SKIP_1) | instid1(TRANS32_DEP_1)
	v_rcp_f32_e32 v111, v105
	v_nop
	v_fma_f32 v112, -v105, v111, 1.0
	s_delay_alu instid0(VALU_DEP_1) | instskip(SKIP_1) | instid1(VALU_DEP_1)
	v_fmac_f32_e32 v111, v112, v111
	v_div_scale_f32 v112, vcc_lo, 1.0, v104, 1.0
	v_mul_f32_e32 v113, v112, v111
	s_delay_alu instid0(VALU_DEP_1) | instskip(NEXT) | instid1(VALU_DEP_1)
	v_fma_f32 v114, -v105, v113, v112
	v_fmac_f32_e32 v113, v114, v111
	s_delay_alu instid0(VALU_DEP_1) | instskip(NEXT) | instid1(VALU_DEP_1)
	v_fma_f32 v105, -v105, v113, v112
	v_div_fmas_f32 v105, v105, v111, v113
	s_delay_alu instid0(VALU_DEP_1) | instskip(NEXT) | instid1(VALU_DEP_1)
	v_div_fixup_f32 v104, v105, v104, 1.0
	v_mul_f32_e64 v105, v103, -v104
.LBB94_219:
	s_or_b32 exec_lo, exec_lo, s1
.LBB94_220:
	s_delay_alu instid0(SALU_CYCLE_1) | instskip(NEXT) | instid1(SALU_CYCLE_1)
	s_or_b32 exec_lo, exec_lo, s0
	s_mov_b32 s0, exec_lo
	v_cmpx_ne_u32_e64 v110, v102
	s_xor_b32 s0, exec_lo, s0
	s_cbranch_execz .LBB94_226
; %bb.221:
	s_mov_b32 s1, exec_lo
	v_cmpx_eq_u32_e32 10, v110
	s_cbranch_execz .LBB94_225
; %bb.222:
	v_cmp_ne_u32_e32 vcc_lo, 10, v102
	s_xor_b32 s12, s16, -1
	s_delay_alu instid0(SALU_CYCLE_1) | instskip(NEXT) | instid1(SALU_CYCLE_1)
	s_and_b32 s13, s12, vcc_lo
	s_and_saveexec_b32 s12, s13
	s_cbranch_execz .LBB94_224
; %bb.223:
	v_ashrrev_i32_e32 v103, 31, v102
	s_delay_alu instid0(VALU_DEP_1)
	v_lshl_add_u64 v[110:111], v[102:103], 2, v[4:5]
	s_clause 0x1
	global_load_b32 v103, v[110:111], off
	global_load_b32 v109, v[4:5], off offset:40
	s_wait_loadcnt 0x1
	global_store_b32 v[4:5], v103, off offset:40
	s_wait_loadcnt 0x0
	global_store_b32 v[110:111], v109, off
.LBB94_224:
	s_wait_xcnt 0x0
	s_or_b32 exec_lo, exec_lo, s12
	v_dual_mov_b32 v110, v102 :: v_dual_mov_b32 v109, v102
.LBB94_225:
	s_or_b32 exec_lo, exec_lo, s1
.LBB94_226:
	s_and_not1_saveexec_b32 s0, s0
	s_cbranch_execz .LBB94_228
; %bb.227:
	v_mov_b32_e32 v110, 10
	ds_store_2addr_b64 v106, v[32:33], v[84:85] offset0:11 offset1:12
	ds_store_2addr_b64 v106, v[80:81], v[82:83] offset0:13 offset1:14
	;; [unrolled: 1-line block ×18, first 2 shown]
	ds_store_b64 v106, v[100:101] offset:376
.LBB94_228:
	s_or_b32 exec_lo, exec_lo, s0
	s_delay_alu instid0(SALU_CYCLE_1)
	s_mov_b32 s0, exec_lo
	s_wait_storecnt_dscnt 0x0
	s_barrier_signal -1
	s_barrier_wait -1
	v_cmpx_lt_i32_e32 10, v110
	s_cbranch_execz .LBB94_230
; %bb.229:
	v_pk_mul_f32 v[112:113], v[104:105], v[88:89] op_sel:[1,1] op_sel_hi:[0,1]
	s_delay_alu instid0(VALU_DEP_1)
	v_pk_fma_f32 v[102:103], v[104:105], v[88:89], v[112:113] op_sel_hi:[1,0,1] neg_lo:[0,0,1] neg_hi:[0,0,1]
	v_pk_fma_f32 v[104:105], v[104:105], v[88:89], v[112:113] op_sel_hi:[1,0,1]
	ds_load_2addr_b64 v[112:115], v106 offset0:11 offset1:12
	v_dual_mov_b32 v88, v102 :: v_dual_mov_b32 v89, v105
	s_wait_dscnt 0x0
	v_pk_mul_f32 v[116:117], v[112:113], v[104:105] op_sel:[0,1]
	s_delay_alu instid0(VALU_DEP_1) | instskip(SKIP_1) | instid1(VALU_DEP_1)
	v_pk_fma_f32 v[118:119], v[112:113], v[102:103], v[116:117] op_sel:[0,0,1] op_sel_hi:[1,1,0] neg_lo:[0,0,1] neg_hi:[0,0,1]
	v_pk_fma_f32 v[112:113], v[112:113], v[102:103], v[116:117] op_sel:[0,0,1] op_sel_hi:[1,0,0]
	v_mov_b32_e32 v119, v113
	v_pk_mul_f32 v[112:113], v[114:115], v[104:105] op_sel:[0,1]
	s_delay_alu instid0(VALU_DEP_1) | instskip(SKIP_1) | instid1(VALU_DEP_1)
	v_pk_fma_f32 v[116:117], v[114:115], v[102:103], v[112:113] op_sel:[0,0,1] op_sel_hi:[1,1,0] neg_lo:[0,0,1] neg_hi:[0,0,1]
	v_pk_fma_f32 v[112:113], v[114:115], v[102:103], v[112:113] op_sel:[0,0,1] op_sel_hi:[1,0,0]
	v_mov_b32_e32 v117, v113
	ds_load_2addr_b64 v[112:115], v106 offset0:13 offset1:14
	v_pk_add_f32 v[32:33], v[32:33], v[118:119] neg_lo:[0,1] neg_hi:[0,1]
	v_pk_add_f32 v[84:85], v[84:85], v[116:117] neg_lo:[0,1] neg_hi:[0,1]
	s_wait_dscnt 0x0
	v_pk_mul_f32 v[116:117], v[112:113], v[104:105] op_sel:[0,1]
	s_delay_alu instid0(VALU_DEP_1) | instskip(SKIP_2) | instid1(VALU_DEP_2)
	v_pk_fma_f32 v[118:119], v[112:113], v[102:103], v[116:117] op_sel:[0,0,1] op_sel_hi:[1,1,0] neg_lo:[0,0,1] neg_hi:[0,0,1]
	v_pk_fma_f32 v[112:113], v[112:113], v[102:103], v[116:117] op_sel:[0,0,1] op_sel_hi:[1,0,0]
	v_dual_mul_f32 v116, v115, v105 :: v_dual_mov_b32 v112, v115
	v_dual_mov_b32 v119, v113 :: v_dual_mov_b32 v113, v114
	s_delay_alu instid0(VALU_DEP_2) | instskip(SKIP_1) | instid1(VALU_DEP_3)
	v_pk_fma_f32 v[116:117], v[114:115], v[88:89], v[116:117] op_sel_hi:[1,1,0] neg_lo:[0,0,1] neg_hi:[0,0,1]
	v_mul_f32_e32 v114, v115, v102
	v_pk_add_f32 v[80:81], v[80:81], v[118:119] neg_lo:[0,1] neg_hi:[0,1]
	s_delay_alu instid0(VALU_DEP_2) | instskip(NEXT) | instid1(VALU_DEP_1)
	v_pk_fma_f32 v[112:113], v[112:113], v[88:89], v[114:115] op_sel_hi:[1,1,0]
	v_mov_b32_e32 v117, v113
	ds_load_2addr_b64 v[112:115], v106 offset0:15 offset1:16
	v_pk_add_f32 v[82:83], v[82:83], v[116:117] neg_lo:[0,1] neg_hi:[0,1]
	s_wait_dscnt 0x0
	v_pk_mul_f32 v[116:117], v[112:113], v[104:105] op_sel:[0,1]
	s_delay_alu instid0(VALU_DEP_1) | instskip(SKIP_1) | instid1(VALU_DEP_1)
	v_pk_fma_f32 v[118:119], v[112:113], v[102:103], v[116:117] op_sel:[0,0,1] op_sel_hi:[1,1,0] neg_lo:[0,0,1] neg_hi:[0,0,1]
	v_pk_fma_f32 v[112:113], v[112:113], v[102:103], v[116:117] op_sel:[0,0,1] op_sel_hi:[1,0,0]
	v_mov_b32_e32 v119, v113
	v_pk_mul_f32 v[112:113], v[114:115], v[104:105] op_sel:[0,1]
	s_delay_alu instid0(VALU_DEP_1) | instskip(SKIP_1) | instid1(VALU_DEP_1)
	v_pk_fma_f32 v[116:117], v[114:115], v[102:103], v[112:113] op_sel:[0,0,1] op_sel_hi:[1,1,0] neg_lo:[0,0,1] neg_hi:[0,0,1]
	v_pk_fma_f32 v[112:113], v[114:115], v[102:103], v[112:113] op_sel:[0,0,1] op_sel_hi:[1,0,0]
	v_mov_b32_e32 v117, v113
	ds_load_2addr_b64 v[112:115], v106 offset0:17 offset1:18
	v_pk_add_f32 v[26:27], v[26:27], v[118:119] neg_lo:[0,1] neg_hi:[0,1]
	v_pk_add_f32 v[78:79], v[78:79], v[116:117] neg_lo:[0,1] neg_hi:[0,1]
	s_wait_dscnt 0x0
	v_pk_mul_f32 v[116:117], v[112:113], v[104:105] op_sel:[0,1]
	s_delay_alu instid0(VALU_DEP_1) | instskip(SKIP_1) | instid1(VALU_DEP_1)
	v_pk_fma_f32 v[118:119], v[112:113], v[102:103], v[116:117] op_sel:[0,0,1] op_sel_hi:[1,1,0] neg_lo:[0,0,1] neg_hi:[0,0,1]
	v_pk_fma_f32 v[112:113], v[112:113], v[102:103], v[116:117] op_sel:[0,0,1] op_sel_hi:[1,0,0]
	v_mov_b32_e32 v119, v113
	v_pk_mul_f32 v[112:113], v[114:115], v[104:105] op_sel:[0,1]
	s_delay_alu instid0(VALU_DEP_1) | instskip(SKIP_1) | instid1(VALU_DEP_1)
	v_pk_fma_f32 v[116:117], v[114:115], v[102:103], v[112:113] op_sel:[0,0,1] op_sel_hi:[1,1,0] neg_lo:[0,0,1] neg_hi:[0,0,1]
	v_pk_fma_f32 v[112:113], v[114:115], v[102:103], v[112:113] op_sel:[0,0,1] op_sel_hi:[1,0,0]
	v_mov_b32_e32 v117, v113
	ds_load_2addr_b64 v[112:115], v106 offset0:19 offset1:20
	v_pk_add_f32 v[74:75], v[74:75], v[118:119] neg_lo:[0,1] neg_hi:[0,1]
	v_pk_add_f32 v[76:77], v[76:77], v[116:117] neg_lo:[0,1] neg_hi:[0,1]
	s_wait_dscnt 0x0
	v_dual_mul_f32 v116, v113, v105 :: v_dual_mul_f32 v118, v113, v102
	s_delay_alu instid0(VALU_DEP_1) | instskip(NEXT) | instid1(VALU_DEP_2)
	v_pk_fma_f32 v[116:117], v[112:113], v[88:89], v[116:117] op_sel_hi:[1,1,0] neg_lo:[0,0,1] neg_hi:[0,0,1]
	v_pk_fma_f32 v[112:113], v[112:113], v[88:89], v[118:119] op_sel:[1,0,0] op_sel_hi:[0,1,0]
	s_delay_alu instid0(VALU_DEP_1) | instskip(SKIP_1) | instid1(VALU_DEP_2)
	v_mov_b32_e32 v117, v113
	v_pk_mul_f32 v[112:113], v[114:115], v[104:105] op_sel:[0,1]
	v_pk_add_f32 v[24:25], v[24:25], v[116:117] neg_lo:[0,1] neg_hi:[0,1]
	s_delay_alu instid0(VALU_DEP_2) | instskip(SKIP_1) | instid1(VALU_DEP_1)
	v_pk_fma_f32 v[116:117], v[114:115], v[102:103], v[112:113] op_sel:[0,0,1] op_sel_hi:[1,1,0] neg_lo:[0,0,1] neg_hi:[0,0,1]
	v_pk_fma_f32 v[112:113], v[114:115], v[102:103], v[112:113] op_sel:[0,0,1] op_sel_hi:[1,0,0]
	v_mov_b32_e32 v117, v113
	ds_load_2addr_b64 v[112:115], v106 offset0:21 offset1:22
	v_pk_add_f32 v[72:73], v[72:73], v[116:117] neg_lo:[0,1] neg_hi:[0,1]
	s_wait_dscnt 0x0
	v_pk_mul_f32 v[116:117], v[112:113], v[104:105] op_sel:[0,1]
	s_delay_alu instid0(VALU_DEP_1) | instskip(SKIP_1) | instid1(VALU_DEP_1)
	v_pk_fma_f32 v[118:119], v[112:113], v[102:103], v[116:117] op_sel:[0,0,1] op_sel_hi:[1,1,0] neg_lo:[0,0,1] neg_hi:[0,0,1]
	v_pk_fma_f32 v[112:113], v[112:113], v[102:103], v[116:117] op_sel:[0,0,1] op_sel_hi:[1,0,0]
	v_mov_b32_e32 v119, v113
	v_pk_mul_f32 v[112:113], v[114:115], v[104:105] op_sel:[0,1]
	s_delay_alu instid0(VALU_DEP_2) | instskip(NEXT) | instid1(VALU_DEP_2)
	v_pk_add_f32 v[68:69], v[68:69], v[118:119] neg_lo:[0,1] neg_hi:[0,1]
	v_pk_fma_f32 v[116:117], v[114:115], v[102:103], v[112:113] op_sel:[0,0,1] op_sel_hi:[1,1,0] neg_lo:[0,0,1] neg_hi:[0,0,1]
	v_pk_fma_f32 v[112:113], v[114:115], v[102:103], v[112:113] op_sel:[0,0,1] op_sel_hi:[1,0,0]
	s_delay_alu instid0(VALU_DEP_1) | instskip(SKIP_4) | instid1(VALU_DEP_1)
	v_mov_b32_e32 v117, v113
	ds_load_2addr_b64 v[112:115], v106 offset0:23 offset1:24
	v_pk_add_f32 v[70:71], v[70:71], v[116:117] neg_lo:[0,1] neg_hi:[0,1]
	s_wait_dscnt 0x0
	v_pk_mul_f32 v[116:117], v[112:113], v[104:105] op_sel:[0,1]
	v_pk_fma_f32 v[118:119], v[112:113], v[102:103], v[116:117] op_sel:[0,0,1] op_sel_hi:[1,1,0] neg_lo:[0,0,1] neg_hi:[0,0,1]
	v_pk_fma_f32 v[112:113], v[112:113], v[102:103], v[116:117] op_sel:[0,0,1] op_sel_hi:[1,0,0]
	v_dual_mul_f32 v116, v115, v105 :: v_dual_mov_b32 v112, v115
	s_delay_alu instid0(VALU_DEP_2) | instskip(NEXT) | instid1(VALU_DEP_2)
	v_dual_mov_b32 v119, v113 :: v_dual_mov_b32 v113, v114
	v_pk_fma_f32 v[116:117], v[114:115], v[88:89], v[116:117] op_sel_hi:[1,1,0] neg_lo:[0,0,1] neg_hi:[0,0,1]
	v_mul_f32_e32 v114, v115, v102
	s_delay_alu instid0(VALU_DEP_3) | instskip(NEXT) | instid1(VALU_DEP_2)
	v_pk_add_f32 v[22:23], v[22:23], v[118:119] neg_lo:[0,1] neg_hi:[0,1]
	v_pk_fma_f32 v[112:113], v[112:113], v[88:89], v[114:115] op_sel_hi:[1,1,0]
	s_delay_alu instid0(VALU_DEP_1) | instskip(SKIP_4) | instid1(VALU_DEP_1)
	v_mov_b32_e32 v117, v113
	ds_load_2addr_b64 v[112:115], v106 offset0:25 offset1:26
	v_pk_add_f32 v[66:67], v[66:67], v[116:117] neg_lo:[0,1] neg_hi:[0,1]
	s_wait_dscnt 0x0
	v_pk_mul_f32 v[116:117], v[112:113], v[104:105] op_sel:[0,1]
	v_pk_fma_f32 v[118:119], v[112:113], v[102:103], v[116:117] op_sel:[0,0,1] op_sel_hi:[1,1,0] neg_lo:[0,0,1] neg_hi:[0,0,1]
	v_pk_fma_f32 v[112:113], v[112:113], v[102:103], v[116:117] op_sel:[0,0,1] op_sel_hi:[1,0,0]
	s_delay_alu instid0(VALU_DEP_1) | instskip(SKIP_1) | instid1(VALU_DEP_1)
	v_mov_b32_e32 v119, v113
	v_pk_mul_f32 v[112:113], v[114:115], v[104:105] op_sel:[0,1]
	v_pk_fma_f32 v[116:117], v[114:115], v[102:103], v[112:113] op_sel:[0,0,1] op_sel_hi:[1,1,0] neg_lo:[0,0,1] neg_hi:[0,0,1]
	v_pk_fma_f32 v[112:113], v[114:115], v[102:103], v[112:113] op_sel:[0,0,1] op_sel_hi:[1,0,0]
	s_delay_alu instid0(VALU_DEP_1)
	v_mov_b32_e32 v117, v113
	ds_load_2addr_b64 v[112:115], v106 offset0:27 offset1:28
	v_pk_add_f32 v[62:63], v[62:63], v[118:119] neg_lo:[0,1] neg_hi:[0,1]
	v_pk_add_f32 v[64:65], v[64:65], v[116:117] neg_lo:[0,1] neg_hi:[0,1]
	s_wait_dscnt 0x0
	v_pk_mul_f32 v[116:117], v[112:113], v[104:105] op_sel:[0,1]
	s_delay_alu instid0(VALU_DEP_1) | instskip(SKIP_1) | instid1(VALU_DEP_1)
	v_pk_fma_f32 v[118:119], v[112:113], v[102:103], v[116:117] op_sel:[0,0,1] op_sel_hi:[1,1,0] neg_lo:[0,0,1] neg_hi:[0,0,1]
	v_pk_fma_f32 v[112:113], v[112:113], v[102:103], v[116:117] op_sel:[0,0,1] op_sel_hi:[1,0,0]
	v_mov_b32_e32 v119, v113
	v_pk_mul_f32 v[112:113], v[114:115], v[104:105] op_sel:[0,1]
	s_delay_alu instid0(VALU_DEP_1) | instskip(SKIP_1) | instid1(VALU_DEP_1)
	v_pk_fma_f32 v[116:117], v[114:115], v[102:103], v[112:113] op_sel:[0,0,1] op_sel_hi:[1,1,0] neg_lo:[0,0,1] neg_hi:[0,0,1]
	v_pk_fma_f32 v[112:113], v[114:115], v[102:103], v[112:113] op_sel:[0,0,1] op_sel_hi:[1,0,0]
	v_mov_b32_e32 v117, v113
	ds_load_2addr_b64 v[112:115], v106 offset0:29 offset1:30
	v_pk_add_f32 v[20:21], v[20:21], v[118:119] neg_lo:[0,1] neg_hi:[0,1]
	v_pk_add_f32 v[54:55], v[54:55], v[116:117] neg_lo:[0,1] neg_hi:[0,1]
	s_wait_dscnt 0x0
	v_dual_mul_f32 v116, v113, v105 :: v_dual_mul_f32 v118, v113, v102
	s_delay_alu instid0(VALU_DEP_1) | instskip(NEXT) | instid1(VALU_DEP_2)
	v_pk_fma_f32 v[116:117], v[112:113], v[88:89], v[116:117] op_sel_hi:[1,1,0] neg_lo:[0,0,1] neg_hi:[0,0,1]
	v_pk_fma_f32 v[112:113], v[112:113], v[88:89], v[118:119] op_sel:[1,0,0] op_sel_hi:[0,1,0]
	s_delay_alu instid0(VALU_DEP_1) | instskip(SKIP_1) | instid1(VALU_DEP_2)
	v_mov_b32_e32 v117, v113
	v_pk_mul_f32 v[112:113], v[114:115], v[104:105] op_sel:[0,1]
	v_pk_add_f32 v[50:51], v[50:51], v[116:117] neg_lo:[0,1] neg_hi:[0,1]
	s_delay_alu instid0(VALU_DEP_2) | instskip(SKIP_1) | instid1(VALU_DEP_1)
	v_pk_fma_f32 v[116:117], v[114:115], v[102:103], v[112:113] op_sel:[0,0,1] op_sel_hi:[1,1,0] neg_lo:[0,0,1] neg_hi:[0,0,1]
	v_pk_fma_f32 v[112:113], v[114:115], v[102:103], v[112:113] op_sel:[0,0,1] op_sel_hi:[1,0,0]
	v_mov_b32_e32 v117, v113
	ds_load_2addr_b64 v[112:115], v106 offset0:31 offset1:32
	v_pk_add_f32 v[52:53], v[52:53], v[116:117] neg_lo:[0,1] neg_hi:[0,1]
	s_wait_dscnt 0x0
	v_pk_mul_f32 v[116:117], v[112:113], v[104:105] op_sel:[0,1]
	s_delay_alu instid0(VALU_DEP_1) | instskip(SKIP_1) | instid1(VALU_DEP_1)
	v_pk_fma_f32 v[118:119], v[112:113], v[102:103], v[116:117] op_sel:[0,0,1] op_sel_hi:[1,1,0] neg_lo:[0,0,1] neg_hi:[0,0,1]
	v_pk_fma_f32 v[112:113], v[112:113], v[102:103], v[116:117] op_sel:[0,0,1] op_sel_hi:[1,0,0]
	v_mov_b32_e32 v119, v113
	v_pk_mul_f32 v[112:113], v[114:115], v[104:105] op_sel:[0,1]
	s_delay_alu instid0(VALU_DEP_2) | instskip(NEXT) | instid1(VALU_DEP_2)
	v_pk_add_f32 v[12:13], v[12:13], v[118:119] neg_lo:[0,1] neg_hi:[0,1]
	v_pk_fma_f32 v[116:117], v[114:115], v[102:103], v[112:113] op_sel:[0,0,1] op_sel_hi:[1,1,0] neg_lo:[0,0,1] neg_hi:[0,0,1]
	v_pk_fma_f32 v[112:113], v[114:115], v[102:103], v[112:113] op_sel:[0,0,1] op_sel_hi:[1,0,0]
	s_delay_alu instid0(VALU_DEP_1) | instskip(SKIP_4) | instid1(VALU_DEP_1)
	v_mov_b32_e32 v117, v113
	ds_load_2addr_b64 v[112:115], v106 offset0:33 offset1:34
	v_pk_add_f32 v[48:49], v[48:49], v[116:117] neg_lo:[0,1] neg_hi:[0,1]
	s_wait_dscnt 0x0
	v_pk_mul_f32 v[116:117], v[112:113], v[104:105] op_sel:[0,1]
	v_pk_fma_f32 v[118:119], v[112:113], v[102:103], v[116:117] op_sel:[0,0,1] op_sel_hi:[1,1,0] neg_lo:[0,0,1] neg_hi:[0,0,1]
	v_pk_fma_f32 v[112:113], v[112:113], v[102:103], v[116:117] op_sel:[0,0,1] op_sel_hi:[1,0,0]
	v_dual_mul_f32 v116, v115, v105 :: v_dual_mov_b32 v112, v115
	s_delay_alu instid0(VALU_DEP_2) | instskip(NEXT) | instid1(VALU_DEP_2)
	v_dual_mov_b32 v119, v113 :: v_dual_mov_b32 v113, v114
	v_pk_fma_f32 v[116:117], v[114:115], v[88:89], v[116:117] op_sel_hi:[1,1,0] neg_lo:[0,0,1] neg_hi:[0,0,1]
	v_mul_f32_e32 v114, v115, v102
	s_delay_alu instid0(VALU_DEP_3) | instskip(NEXT) | instid1(VALU_DEP_2)
	v_pk_add_f32 v[44:45], v[44:45], v[118:119] neg_lo:[0,1] neg_hi:[0,1]
	v_pk_fma_f32 v[112:113], v[112:113], v[88:89], v[114:115] op_sel_hi:[1,1,0]
	s_delay_alu instid0(VALU_DEP_1) | instskip(SKIP_4) | instid1(VALU_DEP_1)
	v_mov_b32_e32 v117, v113
	ds_load_2addr_b64 v[112:115], v106 offset0:35 offset1:36
	v_pk_add_f32 v[46:47], v[46:47], v[116:117] neg_lo:[0,1] neg_hi:[0,1]
	s_wait_dscnt 0x0
	v_pk_mul_f32 v[116:117], v[112:113], v[104:105] op_sel:[0,1]
	v_pk_fma_f32 v[118:119], v[112:113], v[102:103], v[116:117] op_sel:[0,0,1] op_sel_hi:[1,1,0] neg_lo:[0,0,1] neg_hi:[0,0,1]
	v_pk_fma_f32 v[112:113], v[112:113], v[102:103], v[116:117] op_sel:[0,0,1] op_sel_hi:[1,0,0]
	s_delay_alu instid0(VALU_DEP_1) | instskip(SKIP_1) | instid1(VALU_DEP_1)
	v_mov_b32_e32 v119, v113
	v_pk_mul_f32 v[112:113], v[114:115], v[104:105] op_sel:[0,1]
	v_pk_fma_f32 v[116:117], v[114:115], v[102:103], v[112:113] op_sel:[0,0,1] op_sel_hi:[1,1,0] neg_lo:[0,0,1] neg_hi:[0,0,1]
	v_pk_fma_f32 v[112:113], v[114:115], v[102:103], v[112:113] op_sel:[0,0,1] op_sel_hi:[1,0,0]
	s_delay_alu instid0(VALU_DEP_1)
	v_mov_b32_e32 v117, v113
	ds_load_2addr_b64 v[112:115], v106 offset0:37 offset1:38
	v_pk_add_f32 v[10:11], v[10:11], v[118:119] neg_lo:[0,1] neg_hi:[0,1]
	v_pk_add_f32 v[42:43], v[42:43], v[116:117] neg_lo:[0,1] neg_hi:[0,1]
	s_wait_dscnt 0x0
	v_pk_mul_f32 v[116:117], v[112:113], v[104:105] op_sel:[0,1]
	s_delay_alu instid0(VALU_DEP_1) | instskip(SKIP_1) | instid1(VALU_DEP_1)
	v_pk_fma_f32 v[118:119], v[112:113], v[102:103], v[116:117] op_sel:[0,0,1] op_sel_hi:[1,1,0] neg_lo:[0,0,1] neg_hi:[0,0,1]
	v_pk_fma_f32 v[112:113], v[112:113], v[102:103], v[116:117] op_sel:[0,0,1] op_sel_hi:[1,0,0]
	v_mov_b32_e32 v119, v113
	v_pk_mul_f32 v[112:113], v[114:115], v[104:105] op_sel:[0,1]
	s_delay_alu instid0(VALU_DEP_1) | instskip(SKIP_1) | instid1(VALU_DEP_1)
	v_pk_fma_f32 v[116:117], v[114:115], v[102:103], v[112:113] op_sel:[0,0,1] op_sel_hi:[1,1,0] neg_lo:[0,0,1] neg_hi:[0,0,1]
	v_pk_fma_f32 v[112:113], v[114:115], v[102:103], v[112:113] op_sel:[0,0,1] op_sel_hi:[1,0,0]
	v_mov_b32_e32 v117, v113
	ds_load_2addr_b64 v[112:115], v106 offset0:39 offset1:40
	v_pk_add_f32 v[38:39], v[38:39], v[118:119] neg_lo:[0,1] neg_hi:[0,1]
	v_pk_add_f32 v[40:41], v[40:41], v[116:117] neg_lo:[0,1] neg_hi:[0,1]
	s_wait_dscnt 0x0
	v_dual_mul_f32 v116, v113, v105 :: v_dual_mul_f32 v118, v113, v102
	s_delay_alu instid0(VALU_DEP_1) | instskip(NEXT) | instid1(VALU_DEP_2)
	v_pk_fma_f32 v[116:117], v[112:113], v[88:89], v[116:117] op_sel_hi:[1,1,0] neg_lo:[0,0,1] neg_hi:[0,0,1]
	v_pk_fma_f32 v[112:113], v[112:113], v[88:89], v[118:119] op_sel:[1,0,0] op_sel_hi:[0,1,0]
	s_delay_alu instid0(VALU_DEP_1) | instskip(SKIP_1) | instid1(VALU_DEP_2)
	v_mov_b32_e32 v117, v113
	v_pk_mul_f32 v[112:113], v[114:115], v[104:105] op_sel:[0,1]
	v_pk_add_f32 v[6:7], v[6:7], v[116:117] neg_lo:[0,1] neg_hi:[0,1]
	s_delay_alu instid0(VALU_DEP_2) | instskip(SKIP_1) | instid1(VALU_DEP_1)
	v_pk_fma_f32 v[116:117], v[114:115], v[102:103], v[112:113] op_sel:[0,0,1] op_sel_hi:[1,1,0] neg_lo:[0,0,1] neg_hi:[0,0,1]
	v_pk_fma_f32 v[112:113], v[114:115], v[102:103], v[112:113] op_sel:[0,0,1] op_sel_hi:[1,0,0]
	v_mov_b32_e32 v117, v113
	ds_load_2addr_b64 v[112:115], v106 offset0:41 offset1:42
	v_pk_add_f32 v[36:37], v[36:37], v[116:117] neg_lo:[0,1] neg_hi:[0,1]
	s_wait_dscnt 0x0
	v_pk_mul_f32 v[116:117], v[112:113], v[104:105] op_sel:[0,1]
	s_delay_alu instid0(VALU_DEP_1) | instskip(SKIP_1) | instid1(VALU_DEP_1)
	v_pk_fma_f32 v[118:119], v[112:113], v[102:103], v[116:117] op_sel:[0,0,1] op_sel_hi:[1,1,0] neg_lo:[0,0,1] neg_hi:[0,0,1]
	v_pk_fma_f32 v[112:113], v[112:113], v[102:103], v[116:117] op_sel:[0,0,1] op_sel_hi:[1,0,0]
	v_mov_b32_e32 v119, v113
	v_pk_mul_f32 v[112:113], v[114:115], v[104:105] op_sel:[0,1]
	s_delay_alu instid0(VALU_DEP_2) | instskip(NEXT) | instid1(VALU_DEP_2)
	v_pk_add_f32 v[30:31], v[30:31], v[118:119] neg_lo:[0,1] neg_hi:[0,1]
	v_pk_fma_f32 v[116:117], v[114:115], v[102:103], v[112:113] op_sel:[0,0,1] op_sel_hi:[1,1,0] neg_lo:[0,0,1] neg_hi:[0,0,1]
	v_pk_fma_f32 v[112:113], v[114:115], v[102:103], v[112:113] op_sel:[0,0,1] op_sel_hi:[1,0,0]
	s_delay_alu instid0(VALU_DEP_1) | instskip(SKIP_4) | instid1(VALU_DEP_1)
	v_mov_b32_e32 v117, v113
	ds_load_2addr_b64 v[112:115], v106 offset0:43 offset1:44
	v_pk_add_f32 v[34:35], v[34:35], v[116:117] neg_lo:[0,1] neg_hi:[0,1]
	s_wait_dscnt 0x0
	v_pk_mul_f32 v[116:117], v[112:113], v[104:105] op_sel:[0,1]
	v_pk_fma_f32 v[118:119], v[112:113], v[102:103], v[116:117] op_sel:[0,0,1] op_sel_hi:[1,1,0] neg_lo:[0,0,1] neg_hi:[0,0,1]
	v_pk_fma_f32 v[112:113], v[112:113], v[102:103], v[116:117] op_sel:[0,0,1] op_sel_hi:[1,0,0]
	v_dual_mul_f32 v116, v115, v105 :: v_dual_mov_b32 v112, v115
	s_delay_alu instid0(VALU_DEP_2) | instskip(NEXT) | instid1(VALU_DEP_2)
	v_dual_mov_b32 v119, v113 :: v_dual_mov_b32 v113, v114
	v_pk_fma_f32 v[116:117], v[114:115], v[88:89], v[116:117] op_sel_hi:[1,1,0] neg_lo:[0,0,1] neg_hi:[0,0,1]
	v_mul_f32_e32 v114, v115, v102
	s_delay_alu instid0(VALU_DEP_3) | instskip(NEXT) | instid1(VALU_DEP_2)
	v_pk_add_f32 v[8:9], v[8:9], v[118:119] neg_lo:[0,1] neg_hi:[0,1]
	v_pk_fma_f32 v[112:113], v[112:113], v[88:89], v[114:115] op_sel_hi:[1,1,0]
	s_delay_alu instid0(VALU_DEP_1) | instskip(SKIP_4) | instid1(VALU_DEP_1)
	v_mov_b32_e32 v117, v113
	ds_load_2addr_b64 v[112:115], v106 offset0:45 offset1:46
	v_pk_add_f32 v[28:29], v[28:29], v[116:117] neg_lo:[0,1] neg_hi:[0,1]
	s_wait_dscnt 0x0
	v_pk_mul_f32 v[116:117], v[112:113], v[104:105] op_sel:[0,1]
	v_pk_fma_f32 v[118:119], v[112:113], v[102:103], v[116:117] op_sel:[0,0,1] op_sel_hi:[1,1,0] neg_lo:[0,0,1] neg_hi:[0,0,1]
	v_pk_fma_f32 v[112:113], v[112:113], v[102:103], v[116:117] op_sel:[0,0,1] op_sel_hi:[1,0,0]
	s_delay_alu instid0(VALU_DEP_1) | instskip(SKIP_1) | instid1(VALU_DEP_1)
	v_mov_b32_e32 v119, v113
	v_pk_mul_f32 v[112:113], v[114:115], v[104:105] op_sel:[0,1]
	v_pk_fma_f32 v[116:117], v[114:115], v[102:103], v[112:113] op_sel:[0,0,1] op_sel_hi:[1,1,0] neg_lo:[0,0,1] neg_hi:[0,0,1]
	v_pk_fma_f32 v[112:113], v[114:115], v[102:103], v[112:113] op_sel:[0,0,1] op_sel_hi:[1,0,0]
	s_delay_alu instid0(VALU_DEP_1)
	v_mov_b32_e32 v117, v113
	ds_load_b64 v[112:113], v106 offset:376
	v_pk_add_f32 v[18:19], v[18:19], v[118:119] neg_lo:[0,1] neg_hi:[0,1]
	v_pk_add_f32 v[14:15], v[14:15], v[116:117] neg_lo:[0,1] neg_hi:[0,1]
	s_wait_dscnt 0x0
	v_pk_mul_f32 v[104:105], v[112:113], v[104:105] op_sel:[0,1]
	s_delay_alu instid0(VALU_DEP_1) | instskip(SKIP_1) | instid1(VALU_DEP_1)
	v_pk_fma_f32 v[114:115], v[112:113], v[102:103], v[104:105] op_sel:[0,0,1] op_sel_hi:[1,1,0] neg_lo:[0,0,1] neg_hi:[0,0,1]
	v_pk_fma_f32 v[102:103], v[112:113], v[102:103], v[104:105] op_sel:[0,0,1] op_sel_hi:[1,0,0]
	v_mov_b32_e32 v115, v103
	s_delay_alu instid0(VALU_DEP_1)
	v_pk_add_f32 v[100:101], v[100:101], v[114:115] neg_lo:[0,1] neg_hi:[0,1]
.LBB94_230:
	s_or_b32 exec_lo, exec_lo, s0
	v_lshl_add_u32 v102, v110, 3, v106
	s_barrier_signal -1
	s_barrier_wait -1
	ds_store_b64 v102, v[32:33]
	s_wait_dscnt 0x0
	s_barrier_signal -1
	s_barrier_wait -1
	ds_load_b64 v[104:105], v106 offset:88
	v_mov_b32_e32 v102, 11
	s_cmp_lt_i32 s18, 13
	s_cbranch_scc1 .LBB94_233
; %bb.231:
	v_add3_u32 v103, v107, 0, 0x60
	v_mov_b32_e32 v102, 11
	s_mov_b32 s0, 12
.LBB94_232:                             ; =>This Inner Loop Header: Depth=1
	ds_load_b64 v[112:113], v103
	s_wait_dscnt 0x1
	v_cmp_gt_f32_e32 vcc_lo, 0, v104
	v_cndmask_b32_e64 v114, v104, -v104, vcc_lo
	v_cmp_gt_f32_e32 vcc_lo, 0, v105
	v_cndmask_b32_e64 v116, v105, -v105, vcc_lo
	s_wait_dscnt 0x0
	v_cmp_gt_f32_e32 vcc_lo, 0, v112
	v_cndmask_b32_e64 v115, v112, -v112, vcc_lo
	v_cmp_gt_f32_e32 vcc_lo, 0, v113
	v_cndmask_b32_e64 v117, v113, -v113, vcc_lo
	s_delay_alu instid0(VALU_DEP_1) | instskip(NEXT) | instid1(VALU_DEP_1)
	v_pk_add_f32 v[114:115], v[114:115], v[116:117]
	v_cmp_lt_f32_e32 vcc_lo, v114, v115
	v_dual_add_nc_u32 v103, 8, v103 :: v_dual_cndmask_b32 v105, v105, v113, vcc_lo
	v_cndmask_b32_e32 v104, v104, v112, vcc_lo
	v_cndmask_b32_e64 v102, v102, s0, vcc_lo
	s_add_co_i32 s0, s0, 1
	s_delay_alu instid0(SALU_CYCLE_1)
	s_cmp_lg_u32 s18, s0
	s_cbranch_scc1 .LBB94_232
.LBB94_233:
	s_wait_dscnt 0x0
	v_cmp_eq_f32_e32 vcc_lo, 0, v104
	v_cmp_eq_f32_e64 s0, 0, v105
	s_and_b32 s0, vcc_lo, s0
	s_delay_alu instid0(SALU_CYCLE_1) | instskip(NEXT) | instid1(SALU_CYCLE_1)
	s_and_saveexec_b32 s1, s0
	s_xor_b32 s0, exec_lo, s1
; %bb.234:
	v_cmp_ne_u32_e32 vcc_lo, 0, v108
	v_cndmask_b32_e32 v108, 12, v108, vcc_lo
; %bb.235:
	s_and_not1_saveexec_b32 s0, s0
	s_cbranch_execz .LBB94_241
; %bb.236:
	v_cmp_ngt_f32_e64 s1, |v104|, |v105|
	s_and_saveexec_b32 s12, s1
	s_delay_alu instid0(SALU_CYCLE_1)
	s_xor_b32 s1, exec_lo, s12
	s_cbranch_execz .LBB94_238
; %bb.237:
	v_div_scale_f32 v103, null, v105, v105, v104
	v_div_scale_f32 v113, vcc_lo, v104, v105, v104
	s_delay_alu instid0(VALU_DEP_2) | instskip(SKIP_1) | instid1(TRANS32_DEP_1)
	v_rcp_f32_e32 v111, v103
	v_nop
	v_fma_f32 v112, -v103, v111, 1.0
	s_delay_alu instid0(VALU_DEP_1) | instskip(NEXT) | instid1(VALU_DEP_1)
	v_fmac_f32_e32 v111, v112, v111
	v_mul_f32_e32 v112, v113, v111
	s_delay_alu instid0(VALU_DEP_1) | instskip(NEXT) | instid1(VALU_DEP_1)
	v_fma_f32 v114, -v103, v112, v113
	v_fmac_f32_e32 v112, v114, v111
	s_delay_alu instid0(VALU_DEP_1) | instskip(NEXT) | instid1(VALU_DEP_1)
	v_fma_f32 v103, -v103, v112, v113
	v_div_fmas_f32 v103, v103, v111, v112
	s_delay_alu instid0(VALU_DEP_1) | instskip(NEXT) | instid1(VALU_DEP_1)
	v_div_fixup_f32 v103, v103, v105, v104
	v_fmac_f32_e32 v105, v104, v103
	s_delay_alu instid0(VALU_DEP_1) | instskip(SKIP_1) | instid1(VALU_DEP_2)
	v_div_scale_f32 v104, null, v105, v105, 1.0
	v_div_scale_f32 v113, vcc_lo, 1.0, v105, 1.0
	v_rcp_f32_e32 v111, v104
	v_nop
	s_delay_alu instid0(TRANS32_DEP_1) | instskip(NEXT) | instid1(VALU_DEP_1)
	v_fma_f32 v112, -v104, v111, 1.0
	v_fmac_f32_e32 v111, v112, v111
	s_delay_alu instid0(VALU_DEP_1) | instskip(NEXT) | instid1(VALU_DEP_1)
	v_mul_f32_e32 v112, v113, v111
	v_fma_f32 v114, -v104, v112, v113
	s_delay_alu instid0(VALU_DEP_1) | instskip(NEXT) | instid1(VALU_DEP_1)
	v_fmac_f32_e32 v112, v114, v111
	v_fma_f32 v104, -v104, v112, v113
	s_delay_alu instid0(VALU_DEP_1) | instskip(NEXT) | instid1(VALU_DEP_1)
	v_div_fmas_f32 v104, v104, v111, v112
	v_div_fixup_f32 v105, v104, v105, 1.0
	s_delay_alu instid0(VALU_DEP_1)
	v_mul_f32_e32 v104, v103, v105
	v_xor_b32_e32 v105, 0x80000000, v105
.LBB94_238:
	s_and_not1_saveexec_b32 s1, s1
	s_cbranch_execz .LBB94_240
; %bb.239:
	s_delay_alu instid0(VALU_DEP_1) | instskip(SKIP_1) | instid1(VALU_DEP_2)
	v_div_scale_f32 v103, null, v104, v104, v105
	v_div_scale_f32 v113, vcc_lo, v105, v104, v105
	v_rcp_f32_e32 v111, v103
	v_nop
	s_delay_alu instid0(TRANS32_DEP_1) | instskip(NEXT) | instid1(VALU_DEP_1)
	v_fma_f32 v112, -v103, v111, 1.0
	v_fmac_f32_e32 v111, v112, v111
	s_delay_alu instid0(VALU_DEP_1) | instskip(NEXT) | instid1(VALU_DEP_1)
	v_mul_f32_e32 v112, v113, v111
	v_fma_f32 v114, -v103, v112, v113
	s_delay_alu instid0(VALU_DEP_1) | instskip(NEXT) | instid1(VALU_DEP_1)
	v_fmac_f32_e32 v112, v114, v111
	v_fma_f32 v103, -v103, v112, v113
	s_delay_alu instid0(VALU_DEP_1) | instskip(NEXT) | instid1(VALU_DEP_1)
	v_div_fmas_f32 v103, v103, v111, v112
	v_div_fixup_f32 v103, v103, v104, v105
	s_delay_alu instid0(VALU_DEP_1) | instskip(NEXT) | instid1(VALU_DEP_1)
	v_fmac_f32_e32 v104, v105, v103
	v_div_scale_f32 v105, null, v104, v104, 1.0
	s_delay_alu instid0(VALU_DEP_1) | instskip(SKIP_1) | instid1(TRANS32_DEP_1)
	v_rcp_f32_e32 v111, v105
	v_nop
	v_fma_f32 v112, -v105, v111, 1.0
	s_delay_alu instid0(VALU_DEP_1) | instskip(SKIP_1) | instid1(VALU_DEP_1)
	v_fmac_f32_e32 v111, v112, v111
	v_div_scale_f32 v112, vcc_lo, 1.0, v104, 1.0
	v_mul_f32_e32 v113, v112, v111
	s_delay_alu instid0(VALU_DEP_1) | instskip(NEXT) | instid1(VALU_DEP_1)
	v_fma_f32 v114, -v105, v113, v112
	v_fmac_f32_e32 v113, v114, v111
	s_delay_alu instid0(VALU_DEP_1) | instskip(NEXT) | instid1(VALU_DEP_1)
	v_fma_f32 v105, -v105, v113, v112
	v_div_fmas_f32 v105, v105, v111, v113
	s_delay_alu instid0(VALU_DEP_1) | instskip(NEXT) | instid1(VALU_DEP_1)
	v_div_fixup_f32 v104, v105, v104, 1.0
	v_mul_f32_e64 v105, v103, -v104
.LBB94_240:
	s_or_b32 exec_lo, exec_lo, s1
.LBB94_241:
	s_delay_alu instid0(SALU_CYCLE_1) | instskip(NEXT) | instid1(SALU_CYCLE_1)
	s_or_b32 exec_lo, exec_lo, s0
	s_mov_b32 s0, exec_lo
	v_cmpx_ne_u32_e64 v110, v102
	s_xor_b32 s0, exec_lo, s0
	s_cbranch_execz .LBB94_247
; %bb.242:
	s_mov_b32 s1, exec_lo
	v_cmpx_eq_u32_e32 11, v110
	s_cbranch_execz .LBB94_246
; %bb.243:
	v_cmp_ne_u32_e32 vcc_lo, 11, v102
	s_xor_b32 s12, s16, -1
	s_delay_alu instid0(SALU_CYCLE_1) | instskip(NEXT) | instid1(SALU_CYCLE_1)
	s_and_b32 s13, s12, vcc_lo
	s_and_saveexec_b32 s12, s13
	s_cbranch_execz .LBB94_245
; %bb.244:
	v_ashrrev_i32_e32 v103, 31, v102
	s_delay_alu instid0(VALU_DEP_1)
	v_lshl_add_u64 v[110:111], v[102:103], 2, v[4:5]
	s_clause 0x1
	global_load_b32 v103, v[110:111], off
	global_load_b32 v109, v[4:5], off offset:44
	s_wait_loadcnt 0x1
	global_store_b32 v[4:5], v103, off offset:44
	s_wait_loadcnt 0x0
	global_store_b32 v[110:111], v109, off
.LBB94_245:
	s_wait_xcnt 0x0
	s_or_b32 exec_lo, exec_lo, s12
	v_dual_mov_b32 v110, v102 :: v_dual_mov_b32 v109, v102
.LBB94_246:
	s_or_b32 exec_lo, exec_lo, s1
.LBB94_247:
	s_and_not1_saveexec_b32 s0, s0
	s_cbranch_execz .LBB94_249
; %bb.248:
	v_dual_mov_b32 v102, v84 :: v_dual_mov_b32 v103, v85
	v_dual_mov_b32 v110, v80 :: v_dual_mov_b32 v111, v81
	ds_store_2addr_b64 v106, v[102:103], v[110:111] offset0:12 offset1:13
	v_dual_mov_b32 v102, v82 :: v_dual_mov_b32 v103, v83
	v_dual_mov_b32 v110, v26 :: v_dual_mov_b32 v111, v27
	ds_store_2addr_b64 v106, v[102:103], v[110:111] offset0:14 offset1:15
	;; [unrolled: 3-line block ×17, first 2 shown]
	v_dual_mov_b32 v102, v14 :: v_dual_mov_b32 v103, v15
	v_mov_b32_e32 v110, 11
	ds_store_2addr_b64 v106, v[102:103], v[100:101] offset0:46 offset1:47
.LBB94_249:
	s_or_b32 exec_lo, exec_lo, s0
	s_delay_alu instid0(SALU_CYCLE_1)
	s_mov_b32 s0, exec_lo
	s_wait_storecnt_dscnt 0x0
	s_barrier_signal -1
	s_barrier_wait -1
	v_cmpx_lt_i32_e32 11, v110
	s_cbranch_execz .LBB94_251
; %bb.250:
	v_pk_mul_f32 v[112:113], v[104:105], v[32:33] op_sel:[1,1] op_sel_hi:[0,1]
	s_delay_alu instid0(VALU_DEP_1)
	v_pk_fma_f32 v[102:103], v[104:105], v[32:33], v[112:113] op_sel_hi:[1,0,1] neg_lo:[0,0,1] neg_hi:[0,0,1]
	v_pk_fma_f32 v[104:105], v[104:105], v[32:33], v[112:113] op_sel_hi:[1,0,1]
	ds_load_2addr_b64 v[112:115], v106 offset0:12 offset1:13
	v_dual_mov_b32 v32, v102 :: v_dual_mov_b32 v33, v105
	s_wait_dscnt 0x0
	v_pk_mul_f32 v[116:117], v[112:113], v[104:105] op_sel:[0,1]
	s_delay_alu instid0(VALU_DEP_1) | instskip(SKIP_1) | instid1(VALU_DEP_1)
	v_pk_fma_f32 v[118:119], v[112:113], v[102:103], v[116:117] op_sel:[0,0,1] op_sel_hi:[1,1,0] neg_lo:[0,0,1] neg_hi:[0,0,1]
	v_pk_fma_f32 v[112:113], v[112:113], v[102:103], v[116:117] op_sel:[0,0,1] op_sel_hi:[1,0,0]
	v_mov_b32_e32 v119, v113
	v_pk_mul_f32 v[112:113], v[114:115], v[104:105] op_sel:[0,1]
	s_delay_alu instid0(VALU_DEP_1) | instskip(SKIP_1) | instid1(VALU_DEP_1)
	v_pk_fma_f32 v[116:117], v[114:115], v[102:103], v[112:113] op_sel:[0,0,1] op_sel_hi:[1,1,0] neg_lo:[0,0,1] neg_hi:[0,0,1]
	v_pk_fma_f32 v[112:113], v[114:115], v[102:103], v[112:113] op_sel:[0,0,1] op_sel_hi:[1,0,0]
	v_mov_b32_e32 v117, v113
	ds_load_2addr_b64 v[112:115], v106 offset0:14 offset1:15
	v_pk_add_f32 v[84:85], v[84:85], v[118:119] neg_lo:[0,1] neg_hi:[0,1]
	v_pk_add_f32 v[80:81], v[80:81], v[116:117] neg_lo:[0,1] neg_hi:[0,1]
	s_wait_dscnt 0x0
	v_pk_mul_f32 v[116:117], v[112:113], v[104:105] op_sel:[0,1]
	s_delay_alu instid0(VALU_DEP_1) | instskip(SKIP_2) | instid1(VALU_DEP_2)
	v_pk_fma_f32 v[118:119], v[112:113], v[102:103], v[116:117] op_sel:[0,0,1] op_sel_hi:[1,1,0] neg_lo:[0,0,1] neg_hi:[0,0,1]
	v_pk_fma_f32 v[112:113], v[112:113], v[102:103], v[116:117] op_sel:[0,0,1] op_sel_hi:[1,0,0]
	v_dual_mul_f32 v116, v115, v105 :: v_dual_mov_b32 v112, v115
	v_dual_mov_b32 v119, v113 :: v_dual_mov_b32 v113, v114
	s_delay_alu instid0(VALU_DEP_2) | instskip(SKIP_1) | instid1(VALU_DEP_3)
	v_pk_fma_f32 v[116:117], v[114:115], v[32:33], v[116:117] op_sel_hi:[1,1,0] neg_lo:[0,0,1] neg_hi:[0,0,1]
	v_mul_f32_e32 v114, v115, v102
	v_pk_add_f32 v[82:83], v[82:83], v[118:119] neg_lo:[0,1] neg_hi:[0,1]
	s_delay_alu instid0(VALU_DEP_2) | instskip(NEXT) | instid1(VALU_DEP_1)
	v_pk_fma_f32 v[112:113], v[112:113], v[32:33], v[114:115] op_sel_hi:[1,1,0]
	v_mov_b32_e32 v117, v113
	ds_load_2addr_b64 v[112:115], v106 offset0:16 offset1:17
	v_pk_add_f32 v[26:27], v[26:27], v[116:117] neg_lo:[0,1] neg_hi:[0,1]
	s_wait_dscnt 0x0
	v_pk_mul_f32 v[116:117], v[112:113], v[104:105] op_sel:[0,1]
	s_delay_alu instid0(VALU_DEP_1) | instskip(SKIP_1) | instid1(VALU_DEP_1)
	v_pk_fma_f32 v[118:119], v[112:113], v[102:103], v[116:117] op_sel:[0,0,1] op_sel_hi:[1,1,0] neg_lo:[0,0,1] neg_hi:[0,0,1]
	v_pk_fma_f32 v[112:113], v[112:113], v[102:103], v[116:117] op_sel:[0,0,1] op_sel_hi:[1,0,0]
	v_mov_b32_e32 v119, v113
	v_pk_mul_f32 v[112:113], v[114:115], v[104:105] op_sel:[0,1]
	s_delay_alu instid0(VALU_DEP_1) | instskip(SKIP_1) | instid1(VALU_DEP_1)
	v_pk_fma_f32 v[116:117], v[114:115], v[102:103], v[112:113] op_sel:[0,0,1] op_sel_hi:[1,1,0] neg_lo:[0,0,1] neg_hi:[0,0,1]
	v_pk_fma_f32 v[112:113], v[114:115], v[102:103], v[112:113] op_sel:[0,0,1] op_sel_hi:[1,0,0]
	v_mov_b32_e32 v117, v113
	ds_load_2addr_b64 v[112:115], v106 offset0:18 offset1:19
	v_pk_add_f32 v[78:79], v[78:79], v[118:119] neg_lo:[0,1] neg_hi:[0,1]
	v_pk_add_f32 v[74:75], v[74:75], v[116:117] neg_lo:[0,1] neg_hi:[0,1]
	s_wait_dscnt 0x0
	v_pk_mul_f32 v[116:117], v[112:113], v[104:105] op_sel:[0,1]
	s_delay_alu instid0(VALU_DEP_1) | instskip(SKIP_1) | instid1(VALU_DEP_1)
	v_pk_fma_f32 v[118:119], v[112:113], v[102:103], v[116:117] op_sel:[0,0,1] op_sel_hi:[1,1,0] neg_lo:[0,0,1] neg_hi:[0,0,1]
	v_pk_fma_f32 v[112:113], v[112:113], v[102:103], v[116:117] op_sel:[0,0,1] op_sel_hi:[1,0,0]
	v_mov_b32_e32 v119, v113
	v_pk_mul_f32 v[112:113], v[114:115], v[104:105] op_sel:[0,1]
	s_delay_alu instid0(VALU_DEP_1) | instskip(SKIP_1) | instid1(VALU_DEP_1)
	v_pk_fma_f32 v[116:117], v[114:115], v[102:103], v[112:113] op_sel:[0,0,1] op_sel_hi:[1,1,0] neg_lo:[0,0,1] neg_hi:[0,0,1]
	v_pk_fma_f32 v[112:113], v[114:115], v[102:103], v[112:113] op_sel:[0,0,1] op_sel_hi:[1,0,0]
	v_mov_b32_e32 v117, v113
	ds_load_2addr_b64 v[112:115], v106 offset0:20 offset1:21
	v_pk_add_f32 v[76:77], v[76:77], v[118:119] neg_lo:[0,1] neg_hi:[0,1]
	v_pk_add_f32 v[24:25], v[24:25], v[116:117] neg_lo:[0,1] neg_hi:[0,1]
	s_wait_dscnt 0x0
	v_dual_mul_f32 v116, v113, v105 :: v_dual_mul_f32 v118, v113, v102
	s_delay_alu instid0(VALU_DEP_1) | instskip(NEXT) | instid1(VALU_DEP_2)
	v_pk_fma_f32 v[116:117], v[112:113], v[32:33], v[116:117] op_sel_hi:[1,1,0] neg_lo:[0,0,1] neg_hi:[0,0,1]
	v_pk_fma_f32 v[112:113], v[112:113], v[32:33], v[118:119] op_sel:[1,0,0] op_sel_hi:[0,1,0]
	s_delay_alu instid0(VALU_DEP_1) | instskip(SKIP_1) | instid1(VALU_DEP_2)
	v_mov_b32_e32 v117, v113
	v_pk_mul_f32 v[112:113], v[114:115], v[104:105] op_sel:[0,1]
	v_pk_add_f32 v[72:73], v[72:73], v[116:117] neg_lo:[0,1] neg_hi:[0,1]
	s_delay_alu instid0(VALU_DEP_2) | instskip(SKIP_1) | instid1(VALU_DEP_1)
	v_pk_fma_f32 v[116:117], v[114:115], v[102:103], v[112:113] op_sel:[0,0,1] op_sel_hi:[1,1,0] neg_lo:[0,0,1] neg_hi:[0,0,1]
	v_pk_fma_f32 v[112:113], v[114:115], v[102:103], v[112:113] op_sel:[0,0,1] op_sel_hi:[1,0,0]
	v_mov_b32_e32 v117, v113
	ds_load_2addr_b64 v[112:115], v106 offset0:22 offset1:23
	v_pk_add_f32 v[68:69], v[68:69], v[116:117] neg_lo:[0,1] neg_hi:[0,1]
	s_wait_dscnt 0x0
	v_pk_mul_f32 v[116:117], v[112:113], v[104:105] op_sel:[0,1]
	s_delay_alu instid0(VALU_DEP_1) | instskip(SKIP_1) | instid1(VALU_DEP_1)
	v_pk_fma_f32 v[118:119], v[112:113], v[102:103], v[116:117] op_sel:[0,0,1] op_sel_hi:[1,1,0] neg_lo:[0,0,1] neg_hi:[0,0,1]
	v_pk_fma_f32 v[112:113], v[112:113], v[102:103], v[116:117] op_sel:[0,0,1] op_sel_hi:[1,0,0]
	v_mov_b32_e32 v119, v113
	v_pk_mul_f32 v[112:113], v[114:115], v[104:105] op_sel:[0,1]
	s_delay_alu instid0(VALU_DEP_2) | instskip(NEXT) | instid1(VALU_DEP_2)
	v_pk_add_f32 v[70:71], v[70:71], v[118:119] neg_lo:[0,1] neg_hi:[0,1]
	v_pk_fma_f32 v[116:117], v[114:115], v[102:103], v[112:113] op_sel:[0,0,1] op_sel_hi:[1,1,0] neg_lo:[0,0,1] neg_hi:[0,0,1]
	v_pk_fma_f32 v[112:113], v[114:115], v[102:103], v[112:113] op_sel:[0,0,1] op_sel_hi:[1,0,0]
	s_delay_alu instid0(VALU_DEP_1) | instskip(SKIP_4) | instid1(VALU_DEP_1)
	v_mov_b32_e32 v117, v113
	ds_load_2addr_b64 v[112:115], v106 offset0:24 offset1:25
	v_pk_add_f32 v[22:23], v[22:23], v[116:117] neg_lo:[0,1] neg_hi:[0,1]
	s_wait_dscnt 0x0
	v_pk_mul_f32 v[116:117], v[112:113], v[104:105] op_sel:[0,1]
	v_pk_fma_f32 v[118:119], v[112:113], v[102:103], v[116:117] op_sel:[0,0,1] op_sel_hi:[1,1,0] neg_lo:[0,0,1] neg_hi:[0,0,1]
	v_pk_fma_f32 v[112:113], v[112:113], v[102:103], v[116:117] op_sel:[0,0,1] op_sel_hi:[1,0,0]
	v_dual_mul_f32 v116, v115, v105 :: v_dual_mov_b32 v112, v115
	s_delay_alu instid0(VALU_DEP_2) | instskip(NEXT) | instid1(VALU_DEP_2)
	v_dual_mov_b32 v119, v113 :: v_dual_mov_b32 v113, v114
	v_pk_fma_f32 v[116:117], v[114:115], v[32:33], v[116:117] op_sel_hi:[1,1,0] neg_lo:[0,0,1] neg_hi:[0,0,1]
	v_mul_f32_e32 v114, v115, v102
	s_delay_alu instid0(VALU_DEP_3) | instskip(NEXT) | instid1(VALU_DEP_2)
	v_pk_add_f32 v[66:67], v[66:67], v[118:119] neg_lo:[0,1] neg_hi:[0,1]
	v_pk_fma_f32 v[112:113], v[112:113], v[32:33], v[114:115] op_sel_hi:[1,1,0]
	s_delay_alu instid0(VALU_DEP_1) | instskip(SKIP_4) | instid1(VALU_DEP_1)
	v_mov_b32_e32 v117, v113
	ds_load_2addr_b64 v[112:115], v106 offset0:26 offset1:27
	v_pk_add_f32 v[62:63], v[62:63], v[116:117] neg_lo:[0,1] neg_hi:[0,1]
	s_wait_dscnt 0x0
	v_pk_mul_f32 v[116:117], v[112:113], v[104:105] op_sel:[0,1]
	v_pk_fma_f32 v[118:119], v[112:113], v[102:103], v[116:117] op_sel:[0,0,1] op_sel_hi:[1,1,0] neg_lo:[0,0,1] neg_hi:[0,0,1]
	v_pk_fma_f32 v[112:113], v[112:113], v[102:103], v[116:117] op_sel:[0,0,1] op_sel_hi:[1,0,0]
	s_delay_alu instid0(VALU_DEP_1) | instskip(SKIP_1) | instid1(VALU_DEP_1)
	v_mov_b32_e32 v119, v113
	v_pk_mul_f32 v[112:113], v[114:115], v[104:105] op_sel:[0,1]
	v_pk_fma_f32 v[116:117], v[114:115], v[102:103], v[112:113] op_sel:[0,0,1] op_sel_hi:[1,1,0] neg_lo:[0,0,1] neg_hi:[0,0,1]
	v_pk_fma_f32 v[112:113], v[114:115], v[102:103], v[112:113] op_sel:[0,0,1] op_sel_hi:[1,0,0]
	s_delay_alu instid0(VALU_DEP_1)
	v_mov_b32_e32 v117, v113
	ds_load_2addr_b64 v[112:115], v106 offset0:28 offset1:29
	v_pk_add_f32 v[64:65], v[64:65], v[118:119] neg_lo:[0,1] neg_hi:[0,1]
	v_pk_add_f32 v[20:21], v[20:21], v[116:117] neg_lo:[0,1] neg_hi:[0,1]
	s_wait_dscnt 0x0
	v_pk_mul_f32 v[116:117], v[112:113], v[104:105] op_sel:[0,1]
	s_delay_alu instid0(VALU_DEP_1) | instskip(SKIP_1) | instid1(VALU_DEP_1)
	v_pk_fma_f32 v[118:119], v[112:113], v[102:103], v[116:117] op_sel:[0,0,1] op_sel_hi:[1,1,0] neg_lo:[0,0,1] neg_hi:[0,0,1]
	v_pk_fma_f32 v[112:113], v[112:113], v[102:103], v[116:117] op_sel:[0,0,1] op_sel_hi:[1,0,0]
	v_mov_b32_e32 v119, v113
	v_pk_mul_f32 v[112:113], v[114:115], v[104:105] op_sel:[0,1]
	s_delay_alu instid0(VALU_DEP_1) | instskip(SKIP_1) | instid1(VALU_DEP_1)
	v_pk_fma_f32 v[116:117], v[114:115], v[102:103], v[112:113] op_sel:[0,0,1] op_sel_hi:[1,1,0] neg_lo:[0,0,1] neg_hi:[0,0,1]
	v_pk_fma_f32 v[112:113], v[114:115], v[102:103], v[112:113] op_sel:[0,0,1] op_sel_hi:[1,0,0]
	v_mov_b32_e32 v117, v113
	ds_load_2addr_b64 v[112:115], v106 offset0:30 offset1:31
	v_pk_add_f32 v[54:55], v[54:55], v[118:119] neg_lo:[0,1] neg_hi:[0,1]
	v_pk_add_f32 v[50:51], v[50:51], v[116:117] neg_lo:[0,1] neg_hi:[0,1]
	s_wait_dscnt 0x0
	v_dual_mul_f32 v116, v113, v105 :: v_dual_mul_f32 v118, v113, v102
	s_delay_alu instid0(VALU_DEP_1) | instskip(NEXT) | instid1(VALU_DEP_2)
	v_pk_fma_f32 v[116:117], v[112:113], v[32:33], v[116:117] op_sel_hi:[1,1,0] neg_lo:[0,0,1] neg_hi:[0,0,1]
	v_pk_fma_f32 v[112:113], v[112:113], v[32:33], v[118:119] op_sel:[1,0,0] op_sel_hi:[0,1,0]
	s_delay_alu instid0(VALU_DEP_1) | instskip(SKIP_1) | instid1(VALU_DEP_2)
	v_mov_b32_e32 v117, v113
	v_pk_mul_f32 v[112:113], v[114:115], v[104:105] op_sel:[0,1]
	v_pk_add_f32 v[52:53], v[52:53], v[116:117] neg_lo:[0,1] neg_hi:[0,1]
	s_delay_alu instid0(VALU_DEP_2) | instskip(SKIP_1) | instid1(VALU_DEP_1)
	v_pk_fma_f32 v[116:117], v[114:115], v[102:103], v[112:113] op_sel:[0,0,1] op_sel_hi:[1,1,0] neg_lo:[0,0,1] neg_hi:[0,0,1]
	v_pk_fma_f32 v[112:113], v[114:115], v[102:103], v[112:113] op_sel:[0,0,1] op_sel_hi:[1,0,0]
	v_mov_b32_e32 v117, v113
	ds_load_2addr_b64 v[112:115], v106 offset0:32 offset1:33
	v_pk_add_f32 v[12:13], v[12:13], v[116:117] neg_lo:[0,1] neg_hi:[0,1]
	s_wait_dscnt 0x0
	v_pk_mul_f32 v[116:117], v[112:113], v[104:105] op_sel:[0,1]
	s_delay_alu instid0(VALU_DEP_1) | instskip(SKIP_1) | instid1(VALU_DEP_1)
	v_pk_fma_f32 v[118:119], v[112:113], v[102:103], v[116:117] op_sel:[0,0,1] op_sel_hi:[1,1,0] neg_lo:[0,0,1] neg_hi:[0,0,1]
	v_pk_fma_f32 v[112:113], v[112:113], v[102:103], v[116:117] op_sel:[0,0,1] op_sel_hi:[1,0,0]
	v_mov_b32_e32 v119, v113
	v_pk_mul_f32 v[112:113], v[114:115], v[104:105] op_sel:[0,1]
	s_delay_alu instid0(VALU_DEP_2) | instskip(NEXT) | instid1(VALU_DEP_2)
	v_pk_add_f32 v[48:49], v[48:49], v[118:119] neg_lo:[0,1] neg_hi:[0,1]
	v_pk_fma_f32 v[116:117], v[114:115], v[102:103], v[112:113] op_sel:[0,0,1] op_sel_hi:[1,1,0] neg_lo:[0,0,1] neg_hi:[0,0,1]
	v_pk_fma_f32 v[112:113], v[114:115], v[102:103], v[112:113] op_sel:[0,0,1] op_sel_hi:[1,0,0]
	s_delay_alu instid0(VALU_DEP_1) | instskip(SKIP_4) | instid1(VALU_DEP_1)
	v_mov_b32_e32 v117, v113
	ds_load_2addr_b64 v[112:115], v106 offset0:34 offset1:35
	v_pk_add_f32 v[44:45], v[44:45], v[116:117] neg_lo:[0,1] neg_hi:[0,1]
	s_wait_dscnt 0x0
	v_pk_mul_f32 v[116:117], v[112:113], v[104:105] op_sel:[0,1]
	v_pk_fma_f32 v[118:119], v[112:113], v[102:103], v[116:117] op_sel:[0,0,1] op_sel_hi:[1,1,0] neg_lo:[0,0,1] neg_hi:[0,0,1]
	v_pk_fma_f32 v[112:113], v[112:113], v[102:103], v[116:117] op_sel:[0,0,1] op_sel_hi:[1,0,0]
	v_dual_mul_f32 v116, v115, v105 :: v_dual_mov_b32 v112, v115
	s_delay_alu instid0(VALU_DEP_2) | instskip(NEXT) | instid1(VALU_DEP_2)
	v_dual_mov_b32 v119, v113 :: v_dual_mov_b32 v113, v114
	v_pk_fma_f32 v[116:117], v[114:115], v[32:33], v[116:117] op_sel_hi:[1,1,0] neg_lo:[0,0,1] neg_hi:[0,0,1]
	v_mul_f32_e32 v114, v115, v102
	s_delay_alu instid0(VALU_DEP_3) | instskip(NEXT) | instid1(VALU_DEP_2)
	v_pk_add_f32 v[46:47], v[46:47], v[118:119] neg_lo:[0,1] neg_hi:[0,1]
	v_pk_fma_f32 v[112:113], v[112:113], v[32:33], v[114:115] op_sel_hi:[1,1,0]
	s_delay_alu instid0(VALU_DEP_1) | instskip(SKIP_4) | instid1(VALU_DEP_1)
	v_mov_b32_e32 v117, v113
	ds_load_2addr_b64 v[112:115], v106 offset0:36 offset1:37
	v_pk_add_f32 v[10:11], v[10:11], v[116:117] neg_lo:[0,1] neg_hi:[0,1]
	s_wait_dscnt 0x0
	v_pk_mul_f32 v[116:117], v[112:113], v[104:105] op_sel:[0,1]
	v_pk_fma_f32 v[118:119], v[112:113], v[102:103], v[116:117] op_sel:[0,0,1] op_sel_hi:[1,1,0] neg_lo:[0,0,1] neg_hi:[0,0,1]
	v_pk_fma_f32 v[112:113], v[112:113], v[102:103], v[116:117] op_sel:[0,0,1] op_sel_hi:[1,0,0]
	s_delay_alu instid0(VALU_DEP_1) | instskip(SKIP_1) | instid1(VALU_DEP_1)
	v_mov_b32_e32 v119, v113
	v_pk_mul_f32 v[112:113], v[114:115], v[104:105] op_sel:[0,1]
	v_pk_fma_f32 v[116:117], v[114:115], v[102:103], v[112:113] op_sel:[0,0,1] op_sel_hi:[1,1,0] neg_lo:[0,0,1] neg_hi:[0,0,1]
	v_pk_fma_f32 v[112:113], v[114:115], v[102:103], v[112:113] op_sel:[0,0,1] op_sel_hi:[1,0,0]
	s_delay_alu instid0(VALU_DEP_1)
	v_mov_b32_e32 v117, v113
	ds_load_2addr_b64 v[112:115], v106 offset0:38 offset1:39
	v_pk_add_f32 v[42:43], v[42:43], v[118:119] neg_lo:[0,1] neg_hi:[0,1]
	v_pk_add_f32 v[38:39], v[38:39], v[116:117] neg_lo:[0,1] neg_hi:[0,1]
	s_wait_dscnt 0x0
	v_pk_mul_f32 v[116:117], v[112:113], v[104:105] op_sel:[0,1]
	s_delay_alu instid0(VALU_DEP_1) | instskip(SKIP_1) | instid1(VALU_DEP_1)
	v_pk_fma_f32 v[118:119], v[112:113], v[102:103], v[116:117] op_sel:[0,0,1] op_sel_hi:[1,1,0] neg_lo:[0,0,1] neg_hi:[0,0,1]
	v_pk_fma_f32 v[112:113], v[112:113], v[102:103], v[116:117] op_sel:[0,0,1] op_sel_hi:[1,0,0]
	v_mov_b32_e32 v119, v113
	v_pk_mul_f32 v[112:113], v[114:115], v[104:105] op_sel:[0,1]
	s_delay_alu instid0(VALU_DEP_1) | instskip(SKIP_1) | instid1(VALU_DEP_1)
	v_pk_fma_f32 v[116:117], v[114:115], v[102:103], v[112:113] op_sel:[0,0,1] op_sel_hi:[1,1,0] neg_lo:[0,0,1] neg_hi:[0,0,1]
	v_pk_fma_f32 v[112:113], v[114:115], v[102:103], v[112:113] op_sel:[0,0,1] op_sel_hi:[1,0,0]
	v_mov_b32_e32 v117, v113
	ds_load_2addr_b64 v[112:115], v106 offset0:40 offset1:41
	v_pk_add_f32 v[40:41], v[40:41], v[118:119] neg_lo:[0,1] neg_hi:[0,1]
	v_pk_add_f32 v[6:7], v[6:7], v[116:117] neg_lo:[0,1] neg_hi:[0,1]
	s_wait_dscnt 0x0
	v_dual_mul_f32 v116, v113, v105 :: v_dual_mul_f32 v118, v113, v102
	s_delay_alu instid0(VALU_DEP_1) | instskip(NEXT) | instid1(VALU_DEP_2)
	v_pk_fma_f32 v[116:117], v[112:113], v[32:33], v[116:117] op_sel_hi:[1,1,0] neg_lo:[0,0,1] neg_hi:[0,0,1]
	v_pk_fma_f32 v[112:113], v[112:113], v[32:33], v[118:119] op_sel:[1,0,0] op_sel_hi:[0,1,0]
	s_delay_alu instid0(VALU_DEP_1) | instskip(SKIP_1) | instid1(VALU_DEP_2)
	v_mov_b32_e32 v117, v113
	v_pk_mul_f32 v[112:113], v[114:115], v[104:105] op_sel:[0,1]
	v_pk_add_f32 v[36:37], v[36:37], v[116:117] neg_lo:[0,1] neg_hi:[0,1]
	s_delay_alu instid0(VALU_DEP_2) | instskip(SKIP_1) | instid1(VALU_DEP_1)
	v_pk_fma_f32 v[116:117], v[114:115], v[102:103], v[112:113] op_sel:[0,0,1] op_sel_hi:[1,1,0] neg_lo:[0,0,1] neg_hi:[0,0,1]
	v_pk_fma_f32 v[112:113], v[114:115], v[102:103], v[112:113] op_sel:[0,0,1] op_sel_hi:[1,0,0]
	v_mov_b32_e32 v117, v113
	ds_load_2addr_b64 v[112:115], v106 offset0:42 offset1:43
	v_pk_add_f32 v[30:31], v[30:31], v[116:117] neg_lo:[0,1] neg_hi:[0,1]
	s_wait_dscnt 0x0
	v_pk_mul_f32 v[116:117], v[112:113], v[104:105] op_sel:[0,1]
	s_delay_alu instid0(VALU_DEP_1) | instskip(SKIP_1) | instid1(VALU_DEP_1)
	v_pk_fma_f32 v[118:119], v[112:113], v[102:103], v[116:117] op_sel:[0,0,1] op_sel_hi:[1,1,0] neg_lo:[0,0,1] neg_hi:[0,0,1]
	v_pk_fma_f32 v[112:113], v[112:113], v[102:103], v[116:117] op_sel:[0,0,1] op_sel_hi:[1,0,0]
	v_mov_b32_e32 v119, v113
	v_pk_mul_f32 v[112:113], v[114:115], v[104:105] op_sel:[0,1]
	s_delay_alu instid0(VALU_DEP_2) | instskip(NEXT) | instid1(VALU_DEP_2)
	v_pk_add_f32 v[34:35], v[34:35], v[118:119] neg_lo:[0,1] neg_hi:[0,1]
	v_pk_fma_f32 v[116:117], v[114:115], v[102:103], v[112:113] op_sel:[0,0,1] op_sel_hi:[1,1,0] neg_lo:[0,0,1] neg_hi:[0,0,1]
	v_pk_fma_f32 v[112:113], v[114:115], v[102:103], v[112:113] op_sel:[0,0,1] op_sel_hi:[1,0,0]
	s_delay_alu instid0(VALU_DEP_1) | instskip(SKIP_4) | instid1(VALU_DEP_1)
	v_mov_b32_e32 v117, v113
	ds_load_2addr_b64 v[112:115], v106 offset0:44 offset1:45
	v_pk_add_f32 v[8:9], v[8:9], v[116:117] neg_lo:[0,1] neg_hi:[0,1]
	s_wait_dscnt 0x0
	v_pk_mul_f32 v[116:117], v[112:113], v[104:105] op_sel:[0,1]
	v_pk_fma_f32 v[118:119], v[112:113], v[102:103], v[116:117] op_sel:[0,0,1] op_sel_hi:[1,1,0] neg_lo:[0,0,1] neg_hi:[0,0,1]
	v_pk_fma_f32 v[112:113], v[112:113], v[102:103], v[116:117] op_sel:[0,0,1] op_sel_hi:[1,0,0]
	v_dual_mul_f32 v116, v115, v105 :: v_dual_mov_b32 v112, v115
	s_delay_alu instid0(VALU_DEP_2) | instskip(NEXT) | instid1(VALU_DEP_2)
	v_dual_mov_b32 v119, v113 :: v_dual_mov_b32 v113, v114
	v_pk_fma_f32 v[116:117], v[114:115], v[32:33], v[116:117] op_sel_hi:[1,1,0] neg_lo:[0,0,1] neg_hi:[0,0,1]
	v_mul_f32_e32 v114, v115, v102
	s_delay_alu instid0(VALU_DEP_3) | instskip(NEXT) | instid1(VALU_DEP_2)
	v_pk_add_f32 v[28:29], v[28:29], v[118:119] neg_lo:[0,1] neg_hi:[0,1]
	v_pk_fma_f32 v[112:113], v[112:113], v[32:33], v[114:115] op_sel_hi:[1,1,0]
	s_delay_alu instid0(VALU_DEP_1)
	v_mov_b32_e32 v117, v113
	ds_load_2addr_b64 v[112:115], v106 offset0:46 offset1:47
	v_pk_add_f32 v[18:19], v[18:19], v[116:117] neg_lo:[0,1] neg_hi:[0,1]
	s_wait_dscnt 0x0
	v_pk_mul_f32 v[116:117], v[112:113], v[104:105] op_sel:[0,1]
	v_mul_f32_e32 v104, v115, v105
	s_delay_alu instid0(VALU_DEP_2) | instskip(SKIP_2) | instid1(VALU_DEP_4)
	v_pk_fma_f32 v[118:119], v[112:113], v[102:103], v[116:117] op_sel:[0,0,1] op_sel_hi:[1,1,0] neg_lo:[0,0,1] neg_hi:[0,0,1]
	v_pk_fma_f32 v[112:113], v[112:113], v[102:103], v[116:117] op_sel:[0,0,1] op_sel_hi:[1,0,0]
	v_dual_mov_b32 v112, v115 :: v_dual_mul_f32 v102, v115, v102
	v_pk_fma_f32 v[104:105], v[114:115], v[32:33], v[104:105] op_sel_hi:[1,1,0] neg_lo:[0,0,1] neg_hi:[0,0,1]
	s_delay_alu instid0(VALU_DEP_3) | instskip(NEXT) | instid1(VALU_DEP_1)
	v_dual_mov_b32 v119, v113 :: v_dual_mov_b32 v113, v114
	v_pk_add_f32 v[14:15], v[14:15], v[118:119] neg_lo:[0,1] neg_hi:[0,1]
	s_delay_alu instid0(VALU_DEP_2) | instskip(NEXT) | instid1(VALU_DEP_1)
	v_pk_fma_f32 v[102:103], v[112:113], v[32:33], v[102:103] op_sel_hi:[1,1,0]
	v_mov_b32_e32 v105, v103
	s_delay_alu instid0(VALU_DEP_1)
	v_pk_add_f32 v[100:101], v[100:101], v[104:105] neg_lo:[0,1] neg_hi:[0,1]
.LBB94_251:
	s_or_b32 exec_lo, exec_lo, s0
	v_lshl_add_u32 v102, v110, 3, v106
	s_barrier_signal -1
	s_barrier_wait -1
	ds_store_b64 v102, v[84:85]
	s_wait_dscnt 0x0
	s_barrier_signal -1
	s_barrier_wait -1
	ds_load_b64 v[104:105], v106 offset:96
	v_mov_b32_e32 v102, 12
	s_cmp_lt_i32 s18, 14
	s_cbranch_scc1 .LBB94_254
; %bb.252:
	v_add3_u32 v103, v107, 0, 0x68
	v_mov_b32_e32 v102, 12
	s_mov_b32 s0, 13
.LBB94_253:                             ; =>This Inner Loop Header: Depth=1
	ds_load_b64 v[112:113], v103
	s_wait_dscnt 0x1
	v_cmp_gt_f32_e32 vcc_lo, 0, v104
	v_cndmask_b32_e64 v114, v104, -v104, vcc_lo
	v_cmp_gt_f32_e32 vcc_lo, 0, v105
	v_cndmask_b32_e64 v116, v105, -v105, vcc_lo
	s_wait_dscnt 0x0
	v_cmp_gt_f32_e32 vcc_lo, 0, v112
	v_cndmask_b32_e64 v115, v112, -v112, vcc_lo
	v_cmp_gt_f32_e32 vcc_lo, 0, v113
	v_cndmask_b32_e64 v117, v113, -v113, vcc_lo
	s_delay_alu instid0(VALU_DEP_1) | instskip(NEXT) | instid1(VALU_DEP_1)
	v_pk_add_f32 v[114:115], v[114:115], v[116:117]
	v_cmp_lt_f32_e32 vcc_lo, v114, v115
	v_dual_add_nc_u32 v103, 8, v103 :: v_dual_cndmask_b32 v105, v105, v113, vcc_lo
	v_cndmask_b32_e32 v104, v104, v112, vcc_lo
	v_cndmask_b32_e64 v102, v102, s0, vcc_lo
	s_add_co_i32 s0, s0, 1
	s_delay_alu instid0(SALU_CYCLE_1)
	s_cmp_lg_u32 s18, s0
	s_cbranch_scc1 .LBB94_253
.LBB94_254:
	s_wait_dscnt 0x0
	v_cmp_eq_f32_e32 vcc_lo, 0, v104
	v_cmp_eq_f32_e64 s0, 0, v105
	s_and_b32 s0, vcc_lo, s0
	s_delay_alu instid0(SALU_CYCLE_1) | instskip(NEXT) | instid1(SALU_CYCLE_1)
	s_and_saveexec_b32 s1, s0
	s_xor_b32 s0, exec_lo, s1
; %bb.255:
	v_cmp_ne_u32_e32 vcc_lo, 0, v108
	v_cndmask_b32_e32 v108, 13, v108, vcc_lo
; %bb.256:
	s_and_not1_saveexec_b32 s0, s0
	s_cbranch_execz .LBB94_262
; %bb.257:
	v_cmp_ngt_f32_e64 s1, |v104|, |v105|
	s_and_saveexec_b32 s12, s1
	s_delay_alu instid0(SALU_CYCLE_1)
	s_xor_b32 s1, exec_lo, s12
	s_cbranch_execz .LBB94_259
; %bb.258:
	v_div_scale_f32 v103, null, v105, v105, v104
	v_div_scale_f32 v113, vcc_lo, v104, v105, v104
	s_delay_alu instid0(VALU_DEP_2) | instskip(SKIP_1) | instid1(TRANS32_DEP_1)
	v_rcp_f32_e32 v111, v103
	v_nop
	v_fma_f32 v112, -v103, v111, 1.0
	s_delay_alu instid0(VALU_DEP_1) | instskip(NEXT) | instid1(VALU_DEP_1)
	v_fmac_f32_e32 v111, v112, v111
	v_mul_f32_e32 v112, v113, v111
	s_delay_alu instid0(VALU_DEP_1) | instskip(NEXT) | instid1(VALU_DEP_1)
	v_fma_f32 v114, -v103, v112, v113
	v_fmac_f32_e32 v112, v114, v111
	s_delay_alu instid0(VALU_DEP_1) | instskip(NEXT) | instid1(VALU_DEP_1)
	v_fma_f32 v103, -v103, v112, v113
	v_div_fmas_f32 v103, v103, v111, v112
	s_delay_alu instid0(VALU_DEP_1) | instskip(NEXT) | instid1(VALU_DEP_1)
	v_div_fixup_f32 v103, v103, v105, v104
	v_fmac_f32_e32 v105, v104, v103
	s_delay_alu instid0(VALU_DEP_1) | instskip(SKIP_1) | instid1(VALU_DEP_2)
	v_div_scale_f32 v104, null, v105, v105, 1.0
	v_div_scale_f32 v113, vcc_lo, 1.0, v105, 1.0
	v_rcp_f32_e32 v111, v104
	v_nop
	s_delay_alu instid0(TRANS32_DEP_1) | instskip(NEXT) | instid1(VALU_DEP_1)
	v_fma_f32 v112, -v104, v111, 1.0
	v_fmac_f32_e32 v111, v112, v111
	s_delay_alu instid0(VALU_DEP_1) | instskip(NEXT) | instid1(VALU_DEP_1)
	v_mul_f32_e32 v112, v113, v111
	v_fma_f32 v114, -v104, v112, v113
	s_delay_alu instid0(VALU_DEP_1) | instskip(NEXT) | instid1(VALU_DEP_1)
	v_fmac_f32_e32 v112, v114, v111
	v_fma_f32 v104, -v104, v112, v113
	s_delay_alu instid0(VALU_DEP_1) | instskip(NEXT) | instid1(VALU_DEP_1)
	v_div_fmas_f32 v104, v104, v111, v112
	v_div_fixup_f32 v105, v104, v105, 1.0
	s_delay_alu instid0(VALU_DEP_1)
	v_mul_f32_e32 v104, v103, v105
	v_xor_b32_e32 v105, 0x80000000, v105
.LBB94_259:
	s_and_not1_saveexec_b32 s1, s1
	s_cbranch_execz .LBB94_261
; %bb.260:
	s_delay_alu instid0(VALU_DEP_1) | instskip(SKIP_1) | instid1(VALU_DEP_2)
	v_div_scale_f32 v103, null, v104, v104, v105
	v_div_scale_f32 v113, vcc_lo, v105, v104, v105
	v_rcp_f32_e32 v111, v103
	v_nop
	s_delay_alu instid0(TRANS32_DEP_1) | instskip(NEXT) | instid1(VALU_DEP_1)
	v_fma_f32 v112, -v103, v111, 1.0
	v_fmac_f32_e32 v111, v112, v111
	s_delay_alu instid0(VALU_DEP_1) | instskip(NEXT) | instid1(VALU_DEP_1)
	v_mul_f32_e32 v112, v113, v111
	v_fma_f32 v114, -v103, v112, v113
	s_delay_alu instid0(VALU_DEP_1) | instskip(NEXT) | instid1(VALU_DEP_1)
	v_fmac_f32_e32 v112, v114, v111
	v_fma_f32 v103, -v103, v112, v113
	s_delay_alu instid0(VALU_DEP_1) | instskip(NEXT) | instid1(VALU_DEP_1)
	v_div_fmas_f32 v103, v103, v111, v112
	v_div_fixup_f32 v103, v103, v104, v105
	s_delay_alu instid0(VALU_DEP_1) | instskip(NEXT) | instid1(VALU_DEP_1)
	v_fmac_f32_e32 v104, v105, v103
	v_div_scale_f32 v105, null, v104, v104, 1.0
	s_delay_alu instid0(VALU_DEP_1) | instskip(SKIP_1) | instid1(TRANS32_DEP_1)
	v_rcp_f32_e32 v111, v105
	v_nop
	v_fma_f32 v112, -v105, v111, 1.0
	s_delay_alu instid0(VALU_DEP_1) | instskip(SKIP_1) | instid1(VALU_DEP_1)
	v_fmac_f32_e32 v111, v112, v111
	v_div_scale_f32 v112, vcc_lo, 1.0, v104, 1.0
	v_mul_f32_e32 v113, v112, v111
	s_delay_alu instid0(VALU_DEP_1) | instskip(NEXT) | instid1(VALU_DEP_1)
	v_fma_f32 v114, -v105, v113, v112
	v_fmac_f32_e32 v113, v114, v111
	s_delay_alu instid0(VALU_DEP_1) | instskip(NEXT) | instid1(VALU_DEP_1)
	v_fma_f32 v105, -v105, v113, v112
	v_div_fmas_f32 v105, v105, v111, v113
	s_delay_alu instid0(VALU_DEP_1) | instskip(NEXT) | instid1(VALU_DEP_1)
	v_div_fixup_f32 v104, v105, v104, 1.0
	v_mul_f32_e64 v105, v103, -v104
.LBB94_261:
	s_or_b32 exec_lo, exec_lo, s1
.LBB94_262:
	s_delay_alu instid0(SALU_CYCLE_1) | instskip(NEXT) | instid1(SALU_CYCLE_1)
	s_or_b32 exec_lo, exec_lo, s0
	s_mov_b32 s0, exec_lo
	v_cmpx_ne_u32_e64 v110, v102
	s_xor_b32 s0, exec_lo, s0
	s_cbranch_execz .LBB94_268
; %bb.263:
	s_mov_b32 s1, exec_lo
	v_cmpx_eq_u32_e32 12, v110
	s_cbranch_execz .LBB94_267
; %bb.264:
	v_cmp_ne_u32_e32 vcc_lo, 12, v102
	s_xor_b32 s12, s16, -1
	s_delay_alu instid0(SALU_CYCLE_1) | instskip(NEXT) | instid1(SALU_CYCLE_1)
	s_and_b32 s13, s12, vcc_lo
	s_and_saveexec_b32 s12, s13
	s_cbranch_execz .LBB94_266
; %bb.265:
	v_ashrrev_i32_e32 v103, 31, v102
	s_delay_alu instid0(VALU_DEP_1)
	v_lshl_add_u64 v[110:111], v[102:103], 2, v[4:5]
	s_clause 0x1
	global_load_b32 v103, v[110:111], off
	global_load_b32 v109, v[4:5], off offset:48
	s_wait_loadcnt 0x1
	global_store_b32 v[4:5], v103, off offset:48
	s_wait_loadcnt 0x0
	global_store_b32 v[110:111], v109, off
.LBB94_266:
	s_wait_xcnt 0x0
	s_or_b32 exec_lo, exec_lo, s12
	v_dual_mov_b32 v110, v102 :: v_dual_mov_b32 v109, v102
.LBB94_267:
	s_or_b32 exec_lo, exec_lo, s1
.LBB94_268:
	s_and_not1_saveexec_b32 s0, s0
	s_cbranch_execz .LBB94_270
; %bb.269:
	v_mov_b32_e32 v110, 12
	ds_store_2addr_b64 v106, v[80:81], v[82:83] offset0:13 offset1:14
	ds_store_2addr_b64 v106, v[26:27], v[78:79] offset0:15 offset1:16
	;; [unrolled: 1-line block ×17, first 2 shown]
	ds_store_b64 v106, v[100:101] offset:376
.LBB94_270:
	s_or_b32 exec_lo, exec_lo, s0
	s_delay_alu instid0(SALU_CYCLE_1)
	s_mov_b32 s0, exec_lo
	s_wait_storecnt_dscnt 0x0
	s_barrier_signal -1
	s_barrier_wait -1
	v_cmpx_lt_i32_e32 12, v110
	s_cbranch_execz .LBB94_272
; %bb.271:
	v_pk_mul_f32 v[112:113], v[104:105], v[84:85] op_sel:[1,1] op_sel_hi:[0,1]
	s_delay_alu instid0(VALU_DEP_1)
	v_pk_fma_f32 v[102:103], v[104:105], v[84:85], v[112:113] op_sel_hi:[1,0,1] neg_lo:[0,0,1] neg_hi:[0,0,1]
	v_pk_fma_f32 v[104:105], v[104:105], v[84:85], v[112:113] op_sel_hi:[1,0,1]
	ds_load_2addr_b64 v[112:115], v106 offset0:13 offset1:14
	v_dual_mov_b32 v84, v102 :: v_dual_mov_b32 v85, v105
	s_wait_dscnt 0x0
	v_pk_mul_f32 v[116:117], v[112:113], v[104:105] op_sel:[0,1]
	s_delay_alu instid0(VALU_DEP_1) | instskip(SKIP_1) | instid1(VALU_DEP_1)
	v_pk_fma_f32 v[118:119], v[112:113], v[102:103], v[116:117] op_sel:[0,0,1] op_sel_hi:[1,1,0] neg_lo:[0,0,1] neg_hi:[0,0,1]
	v_pk_fma_f32 v[112:113], v[112:113], v[102:103], v[116:117] op_sel:[0,0,1] op_sel_hi:[1,0,0]
	v_mov_b32_e32 v119, v113
	v_pk_mul_f32 v[112:113], v[114:115], v[104:105] op_sel:[0,1]
	s_delay_alu instid0(VALU_DEP_1) | instskip(SKIP_1) | instid1(VALU_DEP_1)
	v_pk_fma_f32 v[116:117], v[114:115], v[102:103], v[112:113] op_sel:[0,0,1] op_sel_hi:[1,1,0] neg_lo:[0,0,1] neg_hi:[0,0,1]
	v_pk_fma_f32 v[112:113], v[114:115], v[102:103], v[112:113] op_sel:[0,0,1] op_sel_hi:[1,0,0]
	v_mov_b32_e32 v117, v113
	ds_load_2addr_b64 v[112:115], v106 offset0:15 offset1:16
	v_pk_add_f32 v[80:81], v[80:81], v[118:119] neg_lo:[0,1] neg_hi:[0,1]
	v_pk_add_f32 v[82:83], v[82:83], v[116:117] neg_lo:[0,1] neg_hi:[0,1]
	s_wait_dscnt 0x0
	v_pk_mul_f32 v[116:117], v[112:113], v[104:105] op_sel:[0,1]
	s_delay_alu instid0(VALU_DEP_1) | instskip(SKIP_2) | instid1(VALU_DEP_2)
	v_pk_fma_f32 v[118:119], v[112:113], v[102:103], v[116:117] op_sel:[0,0,1] op_sel_hi:[1,1,0] neg_lo:[0,0,1] neg_hi:[0,0,1]
	v_pk_fma_f32 v[112:113], v[112:113], v[102:103], v[116:117] op_sel:[0,0,1] op_sel_hi:[1,0,0]
	v_dual_mul_f32 v116, v115, v105 :: v_dual_mov_b32 v112, v115
	v_dual_mov_b32 v119, v113 :: v_dual_mov_b32 v113, v114
	s_delay_alu instid0(VALU_DEP_2) | instskip(SKIP_1) | instid1(VALU_DEP_3)
	v_pk_fma_f32 v[116:117], v[114:115], v[84:85], v[116:117] op_sel_hi:[1,1,0] neg_lo:[0,0,1] neg_hi:[0,0,1]
	v_mul_f32_e32 v114, v115, v102
	v_pk_add_f32 v[26:27], v[26:27], v[118:119] neg_lo:[0,1] neg_hi:[0,1]
	s_delay_alu instid0(VALU_DEP_2) | instskip(NEXT) | instid1(VALU_DEP_1)
	v_pk_fma_f32 v[112:113], v[112:113], v[84:85], v[114:115] op_sel_hi:[1,1,0]
	v_mov_b32_e32 v117, v113
	ds_load_2addr_b64 v[112:115], v106 offset0:17 offset1:18
	v_pk_add_f32 v[78:79], v[78:79], v[116:117] neg_lo:[0,1] neg_hi:[0,1]
	s_wait_dscnt 0x0
	v_pk_mul_f32 v[116:117], v[112:113], v[104:105] op_sel:[0,1]
	s_delay_alu instid0(VALU_DEP_1) | instskip(SKIP_1) | instid1(VALU_DEP_1)
	v_pk_fma_f32 v[118:119], v[112:113], v[102:103], v[116:117] op_sel:[0,0,1] op_sel_hi:[1,1,0] neg_lo:[0,0,1] neg_hi:[0,0,1]
	v_pk_fma_f32 v[112:113], v[112:113], v[102:103], v[116:117] op_sel:[0,0,1] op_sel_hi:[1,0,0]
	v_mov_b32_e32 v119, v113
	v_pk_mul_f32 v[112:113], v[114:115], v[104:105] op_sel:[0,1]
	s_delay_alu instid0(VALU_DEP_1) | instskip(SKIP_1) | instid1(VALU_DEP_1)
	v_pk_fma_f32 v[116:117], v[114:115], v[102:103], v[112:113] op_sel:[0,0,1] op_sel_hi:[1,1,0] neg_lo:[0,0,1] neg_hi:[0,0,1]
	v_pk_fma_f32 v[112:113], v[114:115], v[102:103], v[112:113] op_sel:[0,0,1] op_sel_hi:[1,0,0]
	v_mov_b32_e32 v117, v113
	ds_load_2addr_b64 v[112:115], v106 offset0:19 offset1:20
	v_pk_add_f32 v[74:75], v[74:75], v[118:119] neg_lo:[0,1] neg_hi:[0,1]
	v_pk_add_f32 v[76:77], v[76:77], v[116:117] neg_lo:[0,1] neg_hi:[0,1]
	s_wait_dscnt 0x0
	v_pk_mul_f32 v[116:117], v[112:113], v[104:105] op_sel:[0,1]
	s_delay_alu instid0(VALU_DEP_1) | instskip(SKIP_1) | instid1(VALU_DEP_1)
	v_pk_fma_f32 v[118:119], v[112:113], v[102:103], v[116:117] op_sel:[0,0,1] op_sel_hi:[1,1,0] neg_lo:[0,0,1] neg_hi:[0,0,1]
	v_pk_fma_f32 v[112:113], v[112:113], v[102:103], v[116:117] op_sel:[0,0,1] op_sel_hi:[1,0,0]
	v_mov_b32_e32 v119, v113
	v_pk_mul_f32 v[112:113], v[114:115], v[104:105] op_sel:[0,1]
	s_delay_alu instid0(VALU_DEP_1) | instskip(SKIP_1) | instid1(VALU_DEP_1)
	v_pk_fma_f32 v[116:117], v[114:115], v[102:103], v[112:113] op_sel:[0,0,1] op_sel_hi:[1,1,0] neg_lo:[0,0,1] neg_hi:[0,0,1]
	v_pk_fma_f32 v[112:113], v[114:115], v[102:103], v[112:113] op_sel:[0,0,1] op_sel_hi:[1,0,0]
	v_mov_b32_e32 v117, v113
	ds_load_2addr_b64 v[112:115], v106 offset0:21 offset1:22
	v_pk_add_f32 v[24:25], v[24:25], v[118:119] neg_lo:[0,1] neg_hi:[0,1]
	v_pk_add_f32 v[72:73], v[72:73], v[116:117] neg_lo:[0,1] neg_hi:[0,1]
	s_wait_dscnt 0x0
	v_dual_mul_f32 v116, v113, v105 :: v_dual_mul_f32 v118, v113, v102
	s_delay_alu instid0(VALU_DEP_1) | instskip(NEXT) | instid1(VALU_DEP_2)
	v_pk_fma_f32 v[116:117], v[112:113], v[84:85], v[116:117] op_sel_hi:[1,1,0] neg_lo:[0,0,1] neg_hi:[0,0,1]
	v_pk_fma_f32 v[112:113], v[112:113], v[84:85], v[118:119] op_sel:[1,0,0] op_sel_hi:[0,1,0]
	s_delay_alu instid0(VALU_DEP_1) | instskip(SKIP_1) | instid1(VALU_DEP_2)
	v_mov_b32_e32 v117, v113
	v_pk_mul_f32 v[112:113], v[114:115], v[104:105] op_sel:[0,1]
	v_pk_add_f32 v[68:69], v[68:69], v[116:117] neg_lo:[0,1] neg_hi:[0,1]
	s_delay_alu instid0(VALU_DEP_2) | instskip(SKIP_1) | instid1(VALU_DEP_1)
	v_pk_fma_f32 v[116:117], v[114:115], v[102:103], v[112:113] op_sel:[0,0,1] op_sel_hi:[1,1,0] neg_lo:[0,0,1] neg_hi:[0,0,1]
	v_pk_fma_f32 v[112:113], v[114:115], v[102:103], v[112:113] op_sel:[0,0,1] op_sel_hi:[1,0,0]
	v_mov_b32_e32 v117, v113
	ds_load_2addr_b64 v[112:115], v106 offset0:23 offset1:24
	v_pk_add_f32 v[70:71], v[70:71], v[116:117] neg_lo:[0,1] neg_hi:[0,1]
	s_wait_dscnt 0x0
	v_pk_mul_f32 v[116:117], v[112:113], v[104:105] op_sel:[0,1]
	s_delay_alu instid0(VALU_DEP_1) | instskip(SKIP_1) | instid1(VALU_DEP_1)
	v_pk_fma_f32 v[118:119], v[112:113], v[102:103], v[116:117] op_sel:[0,0,1] op_sel_hi:[1,1,0] neg_lo:[0,0,1] neg_hi:[0,0,1]
	v_pk_fma_f32 v[112:113], v[112:113], v[102:103], v[116:117] op_sel:[0,0,1] op_sel_hi:[1,0,0]
	v_mov_b32_e32 v119, v113
	v_pk_mul_f32 v[112:113], v[114:115], v[104:105] op_sel:[0,1]
	s_delay_alu instid0(VALU_DEP_2) | instskip(NEXT) | instid1(VALU_DEP_2)
	v_pk_add_f32 v[22:23], v[22:23], v[118:119] neg_lo:[0,1] neg_hi:[0,1]
	v_pk_fma_f32 v[116:117], v[114:115], v[102:103], v[112:113] op_sel:[0,0,1] op_sel_hi:[1,1,0] neg_lo:[0,0,1] neg_hi:[0,0,1]
	v_pk_fma_f32 v[112:113], v[114:115], v[102:103], v[112:113] op_sel:[0,0,1] op_sel_hi:[1,0,0]
	s_delay_alu instid0(VALU_DEP_1) | instskip(SKIP_4) | instid1(VALU_DEP_1)
	v_mov_b32_e32 v117, v113
	ds_load_2addr_b64 v[112:115], v106 offset0:25 offset1:26
	v_pk_add_f32 v[66:67], v[66:67], v[116:117] neg_lo:[0,1] neg_hi:[0,1]
	s_wait_dscnt 0x0
	v_pk_mul_f32 v[116:117], v[112:113], v[104:105] op_sel:[0,1]
	v_pk_fma_f32 v[118:119], v[112:113], v[102:103], v[116:117] op_sel:[0,0,1] op_sel_hi:[1,1,0] neg_lo:[0,0,1] neg_hi:[0,0,1]
	v_pk_fma_f32 v[112:113], v[112:113], v[102:103], v[116:117] op_sel:[0,0,1] op_sel_hi:[1,0,0]
	v_dual_mul_f32 v116, v115, v105 :: v_dual_mov_b32 v112, v115
	s_delay_alu instid0(VALU_DEP_2) | instskip(NEXT) | instid1(VALU_DEP_2)
	v_dual_mov_b32 v119, v113 :: v_dual_mov_b32 v113, v114
	v_pk_fma_f32 v[116:117], v[114:115], v[84:85], v[116:117] op_sel_hi:[1,1,0] neg_lo:[0,0,1] neg_hi:[0,0,1]
	v_mul_f32_e32 v114, v115, v102
	s_delay_alu instid0(VALU_DEP_3) | instskip(NEXT) | instid1(VALU_DEP_2)
	v_pk_add_f32 v[62:63], v[62:63], v[118:119] neg_lo:[0,1] neg_hi:[0,1]
	v_pk_fma_f32 v[112:113], v[112:113], v[84:85], v[114:115] op_sel_hi:[1,1,0]
	s_delay_alu instid0(VALU_DEP_1) | instskip(SKIP_4) | instid1(VALU_DEP_1)
	v_mov_b32_e32 v117, v113
	ds_load_2addr_b64 v[112:115], v106 offset0:27 offset1:28
	v_pk_add_f32 v[64:65], v[64:65], v[116:117] neg_lo:[0,1] neg_hi:[0,1]
	s_wait_dscnt 0x0
	v_pk_mul_f32 v[116:117], v[112:113], v[104:105] op_sel:[0,1]
	v_pk_fma_f32 v[118:119], v[112:113], v[102:103], v[116:117] op_sel:[0,0,1] op_sel_hi:[1,1,0] neg_lo:[0,0,1] neg_hi:[0,0,1]
	v_pk_fma_f32 v[112:113], v[112:113], v[102:103], v[116:117] op_sel:[0,0,1] op_sel_hi:[1,0,0]
	s_delay_alu instid0(VALU_DEP_1) | instskip(SKIP_1) | instid1(VALU_DEP_1)
	v_mov_b32_e32 v119, v113
	v_pk_mul_f32 v[112:113], v[114:115], v[104:105] op_sel:[0,1]
	v_pk_fma_f32 v[116:117], v[114:115], v[102:103], v[112:113] op_sel:[0,0,1] op_sel_hi:[1,1,0] neg_lo:[0,0,1] neg_hi:[0,0,1]
	v_pk_fma_f32 v[112:113], v[114:115], v[102:103], v[112:113] op_sel:[0,0,1] op_sel_hi:[1,0,0]
	s_delay_alu instid0(VALU_DEP_1)
	v_mov_b32_e32 v117, v113
	ds_load_2addr_b64 v[112:115], v106 offset0:29 offset1:30
	v_pk_add_f32 v[20:21], v[20:21], v[118:119] neg_lo:[0,1] neg_hi:[0,1]
	v_pk_add_f32 v[54:55], v[54:55], v[116:117] neg_lo:[0,1] neg_hi:[0,1]
	s_wait_dscnt 0x0
	v_pk_mul_f32 v[116:117], v[112:113], v[104:105] op_sel:[0,1]
	s_delay_alu instid0(VALU_DEP_1) | instskip(SKIP_1) | instid1(VALU_DEP_1)
	v_pk_fma_f32 v[118:119], v[112:113], v[102:103], v[116:117] op_sel:[0,0,1] op_sel_hi:[1,1,0] neg_lo:[0,0,1] neg_hi:[0,0,1]
	v_pk_fma_f32 v[112:113], v[112:113], v[102:103], v[116:117] op_sel:[0,0,1] op_sel_hi:[1,0,0]
	v_mov_b32_e32 v119, v113
	v_pk_mul_f32 v[112:113], v[114:115], v[104:105] op_sel:[0,1]
	s_delay_alu instid0(VALU_DEP_1) | instskip(SKIP_1) | instid1(VALU_DEP_1)
	v_pk_fma_f32 v[116:117], v[114:115], v[102:103], v[112:113] op_sel:[0,0,1] op_sel_hi:[1,1,0] neg_lo:[0,0,1] neg_hi:[0,0,1]
	v_pk_fma_f32 v[112:113], v[114:115], v[102:103], v[112:113] op_sel:[0,0,1] op_sel_hi:[1,0,0]
	v_mov_b32_e32 v117, v113
	ds_load_2addr_b64 v[112:115], v106 offset0:31 offset1:32
	v_pk_add_f32 v[50:51], v[50:51], v[118:119] neg_lo:[0,1] neg_hi:[0,1]
	v_pk_add_f32 v[52:53], v[52:53], v[116:117] neg_lo:[0,1] neg_hi:[0,1]
	s_wait_dscnt 0x0
	v_dual_mul_f32 v116, v113, v105 :: v_dual_mul_f32 v118, v113, v102
	s_delay_alu instid0(VALU_DEP_1) | instskip(NEXT) | instid1(VALU_DEP_2)
	v_pk_fma_f32 v[116:117], v[112:113], v[84:85], v[116:117] op_sel_hi:[1,1,0] neg_lo:[0,0,1] neg_hi:[0,0,1]
	v_pk_fma_f32 v[112:113], v[112:113], v[84:85], v[118:119] op_sel:[1,0,0] op_sel_hi:[0,1,0]
	s_delay_alu instid0(VALU_DEP_1) | instskip(SKIP_1) | instid1(VALU_DEP_2)
	v_mov_b32_e32 v117, v113
	v_pk_mul_f32 v[112:113], v[114:115], v[104:105] op_sel:[0,1]
	v_pk_add_f32 v[12:13], v[12:13], v[116:117] neg_lo:[0,1] neg_hi:[0,1]
	s_delay_alu instid0(VALU_DEP_2) | instskip(SKIP_1) | instid1(VALU_DEP_1)
	v_pk_fma_f32 v[116:117], v[114:115], v[102:103], v[112:113] op_sel:[0,0,1] op_sel_hi:[1,1,0] neg_lo:[0,0,1] neg_hi:[0,0,1]
	v_pk_fma_f32 v[112:113], v[114:115], v[102:103], v[112:113] op_sel:[0,0,1] op_sel_hi:[1,0,0]
	v_mov_b32_e32 v117, v113
	ds_load_2addr_b64 v[112:115], v106 offset0:33 offset1:34
	v_pk_add_f32 v[48:49], v[48:49], v[116:117] neg_lo:[0,1] neg_hi:[0,1]
	s_wait_dscnt 0x0
	v_pk_mul_f32 v[116:117], v[112:113], v[104:105] op_sel:[0,1]
	s_delay_alu instid0(VALU_DEP_1) | instskip(SKIP_1) | instid1(VALU_DEP_1)
	v_pk_fma_f32 v[118:119], v[112:113], v[102:103], v[116:117] op_sel:[0,0,1] op_sel_hi:[1,1,0] neg_lo:[0,0,1] neg_hi:[0,0,1]
	v_pk_fma_f32 v[112:113], v[112:113], v[102:103], v[116:117] op_sel:[0,0,1] op_sel_hi:[1,0,0]
	v_mov_b32_e32 v119, v113
	v_pk_mul_f32 v[112:113], v[114:115], v[104:105] op_sel:[0,1]
	s_delay_alu instid0(VALU_DEP_2) | instskip(NEXT) | instid1(VALU_DEP_2)
	v_pk_add_f32 v[44:45], v[44:45], v[118:119] neg_lo:[0,1] neg_hi:[0,1]
	v_pk_fma_f32 v[116:117], v[114:115], v[102:103], v[112:113] op_sel:[0,0,1] op_sel_hi:[1,1,0] neg_lo:[0,0,1] neg_hi:[0,0,1]
	v_pk_fma_f32 v[112:113], v[114:115], v[102:103], v[112:113] op_sel:[0,0,1] op_sel_hi:[1,0,0]
	s_delay_alu instid0(VALU_DEP_1) | instskip(SKIP_4) | instid1(VALU_DEP_1)
	v_mov_b32_e32 v117, v113
	ds_load_2addr_b64 v[112:115], v106 offset0:35 offset1:36
	v_pk_add_f32 v[46:47], v[46:47], v[116:117] neg_lo:[0,1] neg_hi:[0,1]
	s_wait_dscnt 0x0
	v_pk_mul_f32 v[116:117], v[112:113], v[104:105] op_sel:[0,1]
	v_pk_fma_f32 v[118:119], v[112:113], v[102:103], v[116:117] op_sel:[0,0,1] op_sel_hi:[1,1,0] neg_lo:[0,0,1] neg_hi:[0,0,1]
	v_pk_fma_f32 v[112:113], v[112:113], v[102:103], v[116:117] op_sel:[0,0,1] op_sel_hi:[1,0,0]
	v_dual_mul_f32 v116, v115, v105 :: v_dual_mov_b32 v112, v115
	s_delay_alu instid0(VALU_DEP_2) | instskip(NEXT) | instid1(VALU_DEP_2)
	v_dual_mov_b32 v119, v113 :: v_dual_mov_b32 v113, v114
	v_pk_fma_f32 v[116:117], v[114:115], v[84:85], v[116:117] op_sel_hi:[1,1,0] neg_lo:[0,0,1] neg_hi:[0,0,1]
	v_mul_f32_e32 v114, v115, v102
	s_delay_alu instid0(VALU_DEP_3) | instskip(NEXT) | instid1(VALU_DEP_2)
	v_pk_add_f32 v[10:11], v[10:11], v[118:119] neg_lo:[0,1] neg_hi:[0,1]
	v_pk_fma_f32 v[112:113], v[112:113], v[84:85], v[114:115] op_sel_hi:[1,1,0]
	s_delay_alu instid0(VALU_DEP_1) | instskip(SKIP_4) | instid1(VALU_DEP_1)
	v_mov_b32_e32 v117, v113
	ds_load_2addr_b64 v[112:115], v106 offset0:37 offset1:38
	v_pk_add_f32 v[42:43], v[42:43], v[116:117] neg_lo:[0,1] neg_hi:[0,1]
	s_wait_dscnt 0x0
	v_pk_mul_f32 v[116:117], v[112:113], v[104:105] op_sel:[0,1]
	v_pk_fma_f32 v[118:119], v[112:113], v[102:103], v[116:117] op_sel:[0,0,1] op_sel_hi:[1,1,0] neg_lo:[0,0,1] neg_hi:[0,0,1]
	v_pk_fma_f32 v[112:113], v[112:113], v[102:103], v[116:117] op_sel:[0,0,1] op_sel_hi:[1,0,0]
	s_delay_alu instid0(VALU_DEP_1) | instskip(SKIP_1) | instid1(VALU_DEP_1)
	v_mov_b32_e32 v119, v113
	v_pk_mul_f32 v[112:113], v[114:115], v[104:105] op_sel:[0,1]
	v_pk_fma_f32 v[116:117], v[114:115], v[102:103], v[112:113] op_sel:[0,0,1] op_sel_hi:[1,1,0] neg_lo:[0,0,1] neg_hi:[0,0,1]
	v_pk_fma_f32 v[112:113], v[114:115], v[102:103], v[112:113] op_sel:[0,0,1] op_sel_hi:[1,0,0]
	s_delay_alu instid0(VALU_DEP_1)
	v_mov_b32_e32 v117, v113
	ds_load_2addr_b64 v[112:115], v106 offset0:39 offset1:40
	v_pk_add_f32 v[38:39], v[38:39], v[118:119] neg_lo:[0,1] neg_hi:[0,1]
	v_pk_add_f32 v[40:41], v[40:41], v[116:117] neg_lo:[0,1] neg_hi:[0,1]
	s_wait_dscnt 0x0
	v_pk_mul_f32 v[116:117], v[112:113], v[104:105] op_sel:[0,1]
	s_delay_alu instid0(VALU_DEP_1) | instskip(SKIP_1) | instid1(VALU_DEP_1)
	v_pk_fma_f32 v[118:119], v[112:113], v[102:103], v[116:117] op_sel:[0,0,1] op_sel_hi:[1,1,0] neg_lo:[0,0,1] neg_hi:[0,0,1]
	v_pk_fma_f32 v[112:113], v[112:113], v[102:103], v[116:117] op_sel:[0,0,1] op_sel_hi:[1,0,0]
	v_mov_b32_e32 v119, v113
	v_pk_mul_f32 v[112:113], v[114:115], v[104:105] op_sel:[0,1]
	s_delay_alu instid0(VALU_DEP_1) | instskip(SKIP_1) | instid1(VALU_DEP_1)
	v_pk_fma_f32 v[116:117], v[114:115], v[102:103], v[112:113] op_sel:[0,0,1] op_sel_hi:[1,1,0] neg_lo:[0,0,1] neg_hi:[0,0,1]
	v_pk_fma_f32 v[112:113], v[114:115], v[102:103], v[112:113] op_sel:[0,0,1] op_sel_hi:[1,0,0]
	v_mov_b32_e32 v117, v113
	ds_load_2addr_b64 v[112:115], v106 offset0:41 offset1:42
	v_pk_add_f32 v[6:7], v[6:7], v[118:119] neg_lo:[0,1] neg_hi:[0,1]
	v_pk_add_f32 v[36:37], v[36:37], v[116:117] neg_lo:[0,1] neg_hi:[0,1]
	s_wait_dscnt 0x0
	v_dual_mul_f32 v116, v113, v105 :: v_dual_mul_f32 v118, v113, v102
	s_delay_alu instid0(VALU_DEP_1) | instskip(NEXT) | instid1(VALU_DEP_2)
	v_pk_fma_f32 v[116:117], v[112:113], v[84:85], v[116:117] op_sel_hi:[1,1,0] neg_lo:[0,0,1] neg_hi:[0,0,1]
	v_pk_fma_f32 v[112:113], v[112:113], v[84:85], v[118:119] op_sel:[1,0,0] op_sel_hi:[0,1,0]
	s_delay_alu instid0(VALU_DEP_1) | instskip(SKIP_1) | instid1(VALU_DEP_2)
	v_mov_b32_e32 v117, v113
	v_pk_mul_f32 v[112:113], v[114:115], v[104:105] op_sel:[0,1]
	v_pk_add_f32 v[30:31], v[30:31], v[116:117] neg_lo:[0,1] neg_hi:[0,1]
	s_delay_alu instid0(VALU_DEP_2) | instskip(SKIP_1) | instid1(VALU_DEP_1)
	v_pk_fma_f32 v[116:117], v[114:115], v[102:103], v[112:113] op_sel:[0,0,1] op_sel_hi:[1,1,0] neg_lo:[0,0,1] neg_hi:[0,0,1]
	v_pk_fma_f32 v[112:113], v[114:115], v[102:103], v[112:113] op_sel:[0,0,1] op_sel_hi:[1,0,0]
	v_mov_b32_e32 v117, v113
	ds_load_2addr_b64 v[112:115], v106 offset0:43 offset1:44
	v_pk_add_f32 v[34:35], v[34:35], v[116:117] neg_lo:[0,1] neg_hi:[0,1]
	s_wait_dscnt 0x0
	v_pk_mul_f32 v[116:117], v[112:113], v[104:105] op_sel:[0,1]
	s_delay_alu instid0(VALU_DEP_1) | instskip(SKIP_1) | instid1(VALU_DEP_1)
	v_pk_fma_f32 v[118:119], v[112:113], v[102:103], v[116:117] op_sel:[0,0,1] op_sel_hi:[1,1,0] neg_lo:[0,0,1] neg_hi:[0,0,1]
	v_pk_fma_f32 v[112:113], v[112:113], v[102:103], v[116:117] op_sel:[0,0,1] op_sel_hi:[1,0,0]
	v_mov_b32_e32 v119, v113
	v_pk_mul_f32 v[112:113], v[114:115], v[104:105] op_sel:[0,1]
	s_delay_alu instid0(VALU_DEP_2) | instskip(NEXT) | instid1(VALU_DEP_2)
	v_pk_add_f32 v[8:9], v[8:9], v[118:119] neg_lo:[0,1] neg_hi:[0,1]
	v_pk_fma_f32 v[116:117], v[114:115], v[102:103], v[112:113] op_sel:[0,0,1] op_sel_hi:[1,1,0] neg_lo:[0,0,1] neg_hi:[0,0,1]
	v_pk_fma_f32 v[112:113], v[114:115], v[102:103], v[112:113] op_sel:[0,0,1] op_sel_hi:[1,0,0]
	s_delay_alu instid0(VALU_DEP_1) | instskip(SKIP_4) | instid1(VALU_DEP_1)
	v_mov_b32_e32 v117, v113
	ds_load_2addr_b64 v[112:115], v106 offset0:45 offset1:46
	v_pk_add_f32 v[28:29], v[28:29], v[116:117] neg_lo:[0,1] neg_hi:[0,1]
	s_wait_dscnt 0x0
	v_pk_mul_f32 v[116:117], v[112:113], v[104:105] op_sel:[0,1]
	v_pk_fma_f32 v[118:119], v[112:113], v[102:103], v[116:117] op_sel:[0,0,1] op_sel_hi:[1,1,0] neg_lo:[0,0,1] neg_hi:[0,0,1]
	v_pk_fma_f32 v[112:113], v[112:113], v[102:103], v[116:117] op_sel:[0,0,1] op_sel_hi:[1,0,0]
	v_dual_mul_f32 v116, v115, v105 :: v_dual_mov_b32 v112, v115
	s_delay_alu instid0(VALU_DEP_2) | instskip(NEXT) | instid1(VALU_DEP_2)
	v_dual_mov_b32 v119, v113 :: v_dual_mov_b32 v113, v114
	v_pk_fma_f32 v[116:117], v[114:115], v[84:85], v[116:117] op_sel_hi:[1,1,0] neg_lo:[0,0,1] neg_hi:[0,0,1]
	v_mul_f32_e32 v114, v115, v102
	s_delay_alu instid0(VALU_DEP_3) | instskip(NEXT) | instid1(VALU_DEP_2)
	v_pk_add_f32 v[18:19], v[18:19], v[118:119] neg_lo:[0,1] neg_hi:[0,1]
	v_pk_fma_f32 v[112:113], v[112:113], v[84:85], v[114:115] op_sel_hi:[1,1,0]
	s_delay_alu instid0(VALU_DEP_1) | instskip(SKIP_4) | instid1(VALU_DEP_1)
	v_mov_b32_e32 v117, v113
	ds_load_b64 v[112:113], v106 offset:376
	v_pk_add_f32 v[14:15], v[14:15], v[116:117] neg_lo:[0,1] neg_hi:[0,1]
	s_wait_dscnt 0x0
	v_pk_mul_f32 v[104:105], v[112:113], v[104:105] op_sel:[0,1]
	v_pk_fma_f32 v[114:115], v[112:113], v[102:103], v[104:105] op_sel:[0,0,1] op_sel_hi:[1,1,0] neg_lo:[0,0,1] neg_hi:[0,0,1]
	v_pk_fma_f32 v[102:103], v[112:113], v[102:103], v[104:105] op_sel:[0,0,1] op_sel_hi:[1,0,0]
	s_delay_alu instid0(VALU_DEP_1) | instskip(NEXT) | instid1(VALU_DEP_1)
	v_mov_b32_e32 v115, v103
	v_pk_add_f32 v[100:101], v[100:101], v[114:115] neg_lo:[0,1] neg_hi:[0,1]
.LBB94_272:
	s_or_b32 exec_lo, exec_lo, s0
	v_lshl_add_u32 v102, v110, 3, v106
	s_barrier_signal -1
	s_barrier_wait -1
	ds_store_b64 v102, v[80:81]
	s_wait_dscnt 0x0
	s_barrier_signal -1
	s_barrier_wait -1
	ds_load_b64 v[104:105], v106 offset:104
	v_mov_b32_e32 v102, 13
	s_cmp_lt_i32 s18, 15
	s_cbranch_scc1 .LBB94_275
; %bb.273:
	v_add3_u32 v103, v107, 0, 0x70
	v_mov_b32_e32 v102, 13
	s_mov_b32 s0, 14
.LBB94_274:                             ; =>This Inner Loop Header: Depth=1
	ds_load_b64 v[112:113], v103
	s_wait_dscnt 0x1
	v_cmp_gt_f32_e32 vcc_lo, 0, v104
	v_cndmask_b32_e64 v114, v104, -v104, vcc_lo
	v_cmp_gt_f32_e32 vcc_lo, 0, v105
	v_cndmask_b32_e64 v116, v105, -v105, vcc_lo
	s_wait_dscnt 0x0
	v_cmp_gt_f32_e32 vcc_lo, 0, v112
	v_cndmask_b32_e64 v115, v112, -v112, vcc_lo
	v_cmp_gt_f32_e32 vcc_lo, 0, v113
	v_cndmask_b32_e64 v117, v113, -v113, vcc_lo
	s_delay_alu instid0(VALU_DEP_1) | instskip(NEXT) | instid1(VALU_DEP_1)
	v_pk_add_f32 v[114:115], v[114:115], v[116:117]
	v_cmp_lt_f32_e32 vcc_lo, v114, v115
	v_dual_add_nc_u32 v103, 8, v103 :: v_dual_cndmask_b32 v105, v105, v113, vcc_lo
	v_cndmask_b32_e32 v104, v104, v112, vcc_lo
	v_cndmask_b32_e64 v102, v102, s0, vcc_lo
	s_add_co_i32 s0, s0, 1
	s_delay_alu instid0(SALU_CYCLE_1)
	s_cmp_lg_u32 s18, s0
	s_cbranch_scc1 .LBB94_274
.LBB94_275:
	s_wait_dscnt 0x0
	v_cmp_eq_f32_e32 vcc_lo, 0, v104
	v_cmp_eq_f32_e64 s0, 0, v105
	s_and_b32 s0, vcc_lo, s0
	s_delay_alu instid0(SALU_CYCLE_1) | instskip(NEXT) | instid1(SALU_CYCLE_1)
	s_and_saveexec_b32 s1, s0
	s_xor_b32 s0, exec_lo, s1
; %bb.276:
	v_cmp_ne_u32_e32 vcc_lo, 0, v108
	v_cndmask_b32_e32 v108, 14, v108, vcc_lo
; %bb.277:
	s_and_not1_saveexec_b32 s0, s0
	s_cbranch_execz .LBB94_283
; %bb.278:
	v_cmp_ngt_f32_e64 s1, |v104|, |v105|
	s_and_saveexec_b32 s12, s1
	s_delay_alu instid0(SALU_CYCLE_1)
	s_xor_b32 s1, exec_lo, s12
	s_cbranch_execz .LBB94_280
; %bb.279:
	v_div_scale_f32 v103, null, v105, v105, v104
	v_div_scale_f32 v113, vcc_lo, v104, v105, v104
	s_delay_alu instid0(VALU_DEP_2) | instskip(SKIP_1) | instid1(TRANS32_DEP_1)
	v_rcp_f32_e32 v111, v103
	v_nop
	v_fma_f32 v112, -v103, v111, 1.0
	s_delay_alu instid0(VALU_DEP_1) | instskip(NEXT) | instid1(VALU_DEP_1)
	v_fmac_f32_e32 v111, v112, v111
	v_mul_f32_e32 v112, v113, v111
	s_delay_alu instid0(VALU_DEP_1) | instskip(NEXT) | instid1(VALU_DEP_1)
	v_fma_f32 v114, -v103, v112, v113
	v_fmac_f32_e32 v112, v114, v111
	s_delay_alu instid0(VALU_DEP_1) | instskip(NEXT) | instid1(VALU_DEP_1)
	v_fma_f32 v103, -v103, v112, v113
	v_div_fmas_f32 v103, v103, v111, v112
	s_delay_alu instid0(VALU_DEP_1) | instskip(NEXT) | instid1(VALU_DEP_1)
	v_div_fixup_f32 v103, v103, v105, v104
	v_fmac_f32_e32 v105, v104, v103
	s_delay_alu instid0(VALU_DEP_1) | instskip(SKIP_1) | instid1(VALU_DEP_2)
	v_div_scale_f32 v104, null, v105, v105, 1.0
	v_div_scale_f32 v113, vcc_lo, 1.0, v105, 1.0
	v_rcp_f32_e32 v111, v104
	v_nop
	s_delay_alu instid0(TRANS32_DEP_1) | instskip(NEXT) | instid1(VALU_DEP_1)
	v_fma_f32 v112, -v104, v111, 1.0
	v_fmac_f32_e32 v111, v112, v111
	s_delay_alu instid0(VALU_DEP_1) | instskip(NEXT) | instid1(VALU_DEP_1)
	v_mul_f32_e32 v112, v113, v111
	v_fma_f32 v114, -v104, v112, v113
	s_delay_alu instid0(VALU_DEP_1) | instskip(NEXT) | instid1(VALU_DEP_1)
	v_fmac_f32_e32 v112, v114, v111
	v_fma_f32 v104, -v104, v112, v113
	s_delay_alu instid0(VALU_DEP_1) | instskip(NEXT) | instid1(VALU_DEP_1)
	v_div_fmas_f32 v104, v104, v111, v112
	v_div_fixup_f32 v105, v104, v105, 1.0
	s_delay_alu instid0(VALU_DEP_1)
	v_mul_f32_e32 v104, v103, v105
	v_xor_b32_e32 v105, 0x80000000, v105
.LBB94_280:
	s_and_not1_saveexec_b32 s1, s1
	s_cbranch_execz .LBB94_282
; %bb.281:
	s_delay_alu instid0(VALU_DEP_1) | instskip(SKIP_1) | instid1(VALU_DEP_2)
	v_div_scale_f32 v103, null, v104, v104, v105
	v_div_scale_f32 v113, vcc_lo, v105, v104, v105
	v_rcp_f32_e32 v111, v103
	v_nop
	s_delay_alu instid0(TRANS32_DEP_1) | instskip(NEXT) | instid1(VALU_DEP_1)
	v_fma_f32 v112, -v103, v111, 1.0
	v_fmac_f32_e32 v111, v112, v111
	s_delay_alu instid0(VALU_DEP_1) | instskip(NEXT) | instid1(VALU_DEP_1)
	v_mul_f32_e32 v112, v113, v111
	v_fma_f32 v114, -v103, v112, v113
	s_delay_alu instid0(VALU_DEP_1) | instskip(NEXT) | instid1(VALU_DEP_1)
	v_fmac_f32_e32 v112, v114, v111
	v_fma_f32 v103, -v103, v112, v113
	s_delay_alu instid0(VALU_DEP_1) | instskip(NEXT) | instid1(VALU_DEP_1)
	v_div_fmas_f32 v103, v103, v111, v112
	v_div_fixup_f32 v103, v103, v104, v105
	s_delay_alu instid0(VALU_DEP_1) | instskip(NEXT) | instid1(VALU_DEP_1)
	v_fmac_f32_e32 v104, v105, v103
	v_div_scale_f32 v105, null, v104, v104, 1.0
	s_delay_alu instid0(VALU_DEP_1) | instskip(SKIP_1) | instid1(TRANS32_DEP_1)
	v_rcp_f32_e32 v111, v105
	v_nop
	v_fma_f32 v112, -v105, v111, 1.0
	s_delay_alu instid0(VALU_DEP_1) | instskip(SKIP_1) | instid1(VALU_DEP_1)
	v_fmac_f32_e32 v111, v112, v111
	v_div_scale_f32 v112, vcc_lo, 1.0, v104, 1.0
	v_mul_f32_e32 v113, v112, v111
	s_delay_alu instid0(VALU_DEP_1) | instskip(NEXT) | instid1(VALU_DEP_1)
	v_fma_f32 v114, -v105, v113, v112
	v_fmac_f32_e32 v113, v114, v111
	s_delay_alu instid0(VALU_DEP_1) | instskip(NEXT) | instid1(VALU_DEP_1)
	v_fma_f32 v105, -v105, v113, v112
	v_div_fmas_f32 v105, v105, v111, v113
	s_delay_alu instid0(VALU_DEP_1) | instskip(NEXT) | instid1(VALU_DEP_1)
	v_div_fixup_f32 v104, v105, v104, 1.0
	v_mul_f32_e64 v105, v103, -v104
.LBB94_282:
	s_or_b32 exec_lo, exec_lo, s1
.LBB94_283:
	s_delay_alu instid0(SALU_CYCLE_1) | instskip(NEXT) | instid1(SALU_CYCLE_1)
	s_or_b32 exec_lo, exec_lo, s0
	s_mov_b32 s0, exec_lo
	v_cmpx_ne_u32_e64 v110, v102
	s_xor_b32 s0, exec_lo, s0
	s_cbranch_execz .LBB94_289
; %bb.284:
	s_mov_b32 s1, exec_lo
	v_cmpx_eq_u32_e32 13, v110
	s_cbranch_execz .LBB94_288
; %bb.285:
	v_cmp_ne_u32_e32 vcc_lo, 13, v102
	s_xor_b32 s12, s16, -1
	s_delay_alu instid0(SALU_CYCLE_1) | instskip(NEXT) | instid1(SALU_CYCLE_1)
	s_and_b32 s13, s12, vcc_lo
	s_and_saveexec_b32 s12, s13
	s_cbranch_execz .LBB94_287
; %bb.286:
	v_ashrrev_i32_e32 v103, 31, v102
	s_delay_alu instid0(VALU_DEP_1)
	v_lshl_add_u64 v[110:111], v[102:103], 2, v[4:5]
	s_clause 0x1
	global_load_b32 v103, v[110:111], off
	global_load_b32 v109, v[4:5], off offset:52
	s_wait_loadcnt 0x1
	global_store_b32 v[4:5], v103, off offset:52
	s_wait_loadcnt 0x0
	global_store_b32 v[110:111], v109, off
.LBB94_287:
	s_wait_xcnt 0x0
	s_or_b32 exec_lo, exec_lo, s12
	v_dual_mov_b32 v110, v102 :: v_dual_mov_b32 v109, v102
.LBB94_288:
	s_or_b32 exec_lo, exec_lo, s1
.LBB94_289:
	s_and_not1_saveexec_b32 s0, s0
	s_cbranch_execz .LBB94_291
; %bb.290:
	v_dual_mov_b32 v102, v82 :: v_dual_mov_b32 v103, v83
	v_dual_mov_b32 v110, v26 :: v_dual_mov_b32 v111, v27
	ds_store_2addr_b64 v106, v[102:103], v[110:111] offset0:14 offset1:15
	v_dual_mov_b32 v102, v78 :: v_dual_mov_b32 v103, v79
	v_dual_mov_b32 v110, v74 :: v_dual_mov_b32 v111, v75
	ds_store_2addr_b64 v106, v[102:103], v[110:111] offset0:16 offset1:17
	;; [unrolled: 3-line block ×16, first 2 shown]
	v_dual_mov_b32 v102, v14 :: v_dual_mov_b32 v103, v15
	v_mov_b32_e32 v110, 13
	ds_store_2addr_b64 v106, v[102:103], v[100:101] offset0:46 offset1:47
.LBB94_291:
	s_or_b32 exec_lo, exec_lo, s0
	s_delay_alu instid0(SALU_CYCLE_1)
	s_mov_b32 s0, exec_lo
	s_wait_storecnt_dscnt 0x0
	s_barrier_signal -1
	s_barrier_wait -1
	v_cmpx_lt_i32_e32 13, v110
	s_cbranch_execz .LBB94_293
; %bb.292:
	v_pk_mul_f32 v[112:113], v[104:105], v[80:81] op_sel:[1,1] op_sel_hi:[0,1]
	s_delay_alu instid0(VALU_DEP_1)
	v_pk_fma_f32 v[102:103], v[104:105], v[80:81], v[112:113] op_sel_hi:[1,0,1] neg_lo:[0,0,1] neg_hi:[0,0,1]
	v_pk_fma_f32 v[104:105], v[104:105], v[80:81], v[112:113] op_sel_hi:[1,0,1]
	ds_load_2addr_b64 v[112:115], v106 offset0:14 offset1:15
	v_dual_mov_b32 v80, v102 :: v_dual_mov_b32 v81, v105
	s_wait_dscnt 0x0
	v_pk_mul_f32 v[116:117], v[112:113], v[104:105] op_sel:[0,1]
	s_delay_alu instid0(VALU_DEP_1) | instskip(SKIP_1) | instid1(VALU_DEP_1)
	v_pk_fma_f32 v[118:119], v[112:113], v[102:103], v[116:117] op_sel:[0,0,1] op_sel_hi:[1,1,0] neg_lo:[0,0,1] neg_hi:[0,0,1]
	v_pk_fma_f32 v[112:113], v[112:113], v[102:103], v[116:117] op_sel:[0,0,1] op_sel_hi:[1,0,0]
	v_mov_b32_e32 v119, v113
	v_pk_mul_f32 v[112:113], v[114:115], v[104:105] op_sel:[0,1]
	s_delay_alu instid0(VALU_DEP_1) | instskip(SKIP_1) | instid1(VALU_DEP_1)
	v_pk_fma_f32 v[116:117], v[114:115], v[102:103], v[112:113] op_sel:[0,0,1] op_sel_hi:[1,1,0] neg_lo:[0,0,1] neg_hi:[0,0,1]
	v_pk_fma_f32 v[112:113], v[114:115], v[102:103], v[112:113] op_sel:[0,0,1] op_sel_hi:[1,0,0]
	v_mov_b32_e32 v117, v113
	ds_load_2addr_b64 v[112:115], v106 offset0:16 offset1:17
	v_pk_add_f32 v[82:83], v[82:83], v[118:119] neg_lo:[0,1] neg_hi:[0,1]
	v_pk_add_f32 v[26:27], v[26:27], v[116:117] neg_lo:[0,1] neg_hi:[0,1]
	s_wait_dscnt 0x0
	v_pk_mul_f32 v[116:117], v[112:113], v[104:105] op_sel:[0,1]
	s_delay_alu instid0(VALU_DEP_1) | instskip(SKIP_2) | instid1(VALU_DEP_2)
	v_pk_fma_f32 v[118:119], v[112:113], v[102:103], v[116:117] op_sel:[0,0,1] op_sel_hi:[1,1,0] neg_lo:[0,0,1] neg_hi:[0,0,1]
	v_pk_fma_f32 v[112:113], v[112:113], v[102:103], v[116:117] op_sel:[0,0,1] op_sel_hi:[1,0,0]
	v_dual_mul_f32 v116, v115, v105 :: v_dual_mov_b32 v112, v115
	v_dual_mov_b32 v119, v113 :: v_dual_mov_b32 v113, v114
	s_delay_alu instid0(VALU_DEP_2) | instskip(SKIP_1) | instid1(VALU_DEP_3)
	v_pk_fma_f32 v[116:117], v[114:115], v[80:81], v[116:117] op_sel_hi:[1,1,0] neg_lo:[0,0,1] neg_hi:[0,0,1]
	v_mul_f32_e32 v114, v115, v102
	v_pk_add_f32 v[78:79], v[78:79], v[118:119] neg_lo:[0,1] neg_hi:[0,1]
	s_delay_alu instid0(VALU_DEP_2) | instskip(NEXT) | instid1(VALU_DEP_1)
	v_pk_fma_f32 v[112:113], v[112:113], v[80:81], v[114:115] op_sel_hi:[1,1,0]
	v_mov_b32_e32 v117, v113
	ds_load_2addr_b64 v[112:115], v106 offset0:18 offset1:19
	v_pk_add_f32 v[74:75], v[74:75], v[116:117] neg_lo:[0,1] neg_hi:[0,1]
	s_wait_dscnt 0x0
	v_pk_mul_f32 v[116:117], v[112:113], v[104:105] op_sel:[0,1]
	s_delay_alu instid0(VALU_DEP_1) | instskip(SKIP_1) | instid1(VALU_DEP_1)
	v_pk_fma_f32 v[118:119], v[112:113], v[102:103], v[116:117] op_sel:[0,0,1] op_sel_hi:[1,1,0] neg_lo:[0,0,1] neg_hi:[0,0,1]
	v_pk_fma_f32 v[112:113], v[112:113], v[102:103], v[116:117] op_sel:[0,0,1] op_sel_hi:[1,0,0]
	v_mov_b32_e32 v119, v113
	v_pk_mul_f32 v[112:113], v[114:115], v[104:105] op_sel:[0,1]
	s_delay_alu instid0(VALU_DEP_1) | instskip(SKIP_1) | instid1(VALU_DEP_1)
	v_pk_fma_f32 v[116:117], v[114:115], v[102:103], v[112:113] op_sel:[0,0,1] op_sel_hi:[1,1,0] neg_lo:[0,0,1] neg_hi:[0,0,1]
	v_pk_fma_f32 v[112:113], v[114:115], v[102:103], v[112:113] op_sel:[0,0,1] op_sel_hi:[1,0,0]
	v_mov_b32_e32 v117, v113
	ds_load_2addr_b64 v[112:115], v106 offset0:20 offset1:21
	v_pk_add_f32 v[76:77], v[76:77], v[118:119] neg_lo:[0,1] neg_hi:[0,1]
	v_pk_add_f32 v[24:25], v[24:25], v[116:117] neg_lo:[0,1] neg_hi:[0,1]
	s_wait_dscnt 0x0
	v_pk_mul_f32 v[116:117], v[112:113], v[104:105] op_sel:[0,1]
	s_delay_alu instid0(VALU_DEP_1) | instskip(SKIP_1) | instid1(VALU_DEP_1)
	v_pk_fma_f32 v[118:119], v[112:113], v[102:103], v[116:117] op_sel:[0,0,1] op_sel_hi:[1,1,0] neg_lo:[0,0,1] neg_hi:[0,0,1]
	v_pk_fma_f32 v[112:113], v[112:113], v[102:103], v[116:117] op_sel:[0,0,1] op_sel_hi:[1,0,0]
	v_mov_b32_e32 v119, v113
	v_pk_mul_f32 v[112:113], v[114:115], v[104:105] op_sel:[0,1]
	s_delay_alu instid0(VALU_DEP_1) | instskip(SKIP_1) | instid1(VALU_DEP_1)
	v_pk_fma_f32 v[116:117], v[114:115], v[102:103], v[112:113] op_sel:[0,0,1] op_sel_hi:[1,1,0] neg_lo:[0,0,1] neg_hi:[0,0,1]
	v_pk_fma_f32 v[112:113], v[114:115], v[102:103], v[112:113] op_sel:[0,0,1] op_sel_hi:[1,0,0]
	v_mov_b32_e32 v117, v113
	ds_load_2addr_b64 v[112:115], v106 offset0:22 offset1:23
	v_pk_add_f32 v[72:73], v[72:73], v[118:119] neg_lo:[0,1] neg_hi:[0,1]
	v_pk_add_f32 v[68:69], v[68:69], v[116:117] neg_lo:[0,1] neg_hi:[0,1]
	s_wait_dscnt 0x0
	v_dual_mul_f32 v116, v113, v105 :: v_dual_mul_f32 v118, v113, v102
	s_delay_alu instid0(VALU_DEP_1) | instskip(NEXT) | instid1(VALU_DEP_2)
	v_pk_fma_f32 v[116:117], v[112:113], v[80:81], v[116:117] op_sel_hi:[1,1,0] neg_lo:[0,0,1] neg_hi:[0,0,1]
	v_pk_fma_f32 v[112:113], v[112:113], v[80:81], v[118:119] op_sel:[1,0,0] op_sel_hi:[0,1,0]
	s_delay_alu instid0(VALU_DEP_1) | instskip(SKIP_1) | instid1(VALU_DEP_2)
	v_mov_b32_e32 v117, v113
	v_pk_mul_f32 v[112:113], v[114:115], v[104:105] op_sel:[0,1]
	v_pk_add_f32 v[70:71], v[70:71], v[116:117] neg_lo:[0,1] neg_hi:[0,1]
	s_delay_alu instid0(VALU_DEP_2) | instskip(SKIP_1) | instid1(VALU_DEP_1)
	v_pk_fma_f32 v[116:117], v[114:115], v[102:103], v[112:113] op_sel:[0,0,1] op_sel_hi:[1,1,0] neg_lo:[0,0,1] neg_hi:[0,0,1]
	v_pk_fma_f32 v[112:113], v[114:115], v[102:103], v[112:113] op_sel:[0,0,1] op_sel_hi:[1,0,0]
	v_mov_b32_e32 v117, v113
	ds_load_2addr_b64 v[112:115], v106 offset0:24 offset1:25
	v_pk_add_f32 v[22:23], v[22:23], v[116:117] neg_lo:[0,1] neg_hi:[0,1]
	s_wait_dscnt 0x0
	v_pk_mul_f32 v[116:117], v[112:113], v[104:105] op_sel:[0,1]
	s_delay_alu instid0(VALU_DEP_1) | instskip(SKIP_1) | instid1(VALU_DEP_1)
	v_pk_fma_f32 v[118:119], v[112:113], v[102:103], v[116:117] op_sel:[0,0,1] op_sel_hi:[1,1,0] neg_lo:[0,0,1] neg_hi:[0,0,1]
	v_pk_fma_f32 v[112:113], v[112:113], v[102:103], v[116:117] op_sel:[0,0,1] op_sel_hi:[1,0,0]
	v_mov_b32_e32 v119, v113
	v_pk_mul_f32 v[112:113], v[114:115], v[104:105] op_sel:[0,1]
	s_delay_alu instid0(VALU_DEP_2) | instskip(NEXT) | instid1(VALU_DEP_2)
	v_pk_add_f32 v[66:67], v[66:67], v[118:119] neg_lo:[0,1] neg_hi:[0,1]
	v_pk_fma_f32 v[116:117], v[114:115], v[102:103], v[112:113] op_sel:[0,0,1] op_sel_hi:[1,1,0] neg_lo:[0,0,1] neg_hi:[0,0,1]
	v_pk_fma_f32 v[112:113], v[114:115], v[102:103], v[112:113] op_sel:[0,0,1] op_sel_hi:[1,0,0]
	s_delay_alu instid0(VALU_DEP_1) | instskip(SKIP_4) | instid1(VALU_DEP_1)
	v_mov_b32_e32 v117, v113
	ds_load_2addr_b64 v[112:115], v106 offset0:26 offset1:27
	v_pk_add_f32 v[62:63], v[62:63], v[116:117] neg_lo:[0,1] neg_hi:[0,1]
	s_wait_dscnt 0x0
	v_pk_mul_f32 v[116:117], v[112:113], v[104:105] op_sel:[0,1]
	v_pk_fma_f32 v[118:119], v[112:113], v[102:103], v[116:117] op_sel:[0,0,1] op_sel_hi:[1,1,0] neg_lo:[0,0,1] neg_hi:[0,0,1]
	v_pk_fma_f32 v[112:113], v[112:113], v[102:103], v[116:117] op_sel:[0,0,1] op_sel_hi:[1,0,0]
	v_dual_mul_f32 v116, v115, v105 :: v_dual_mov_b32 v112, v115
	s_delay_alu instid0(VALU_DEP_2) | instskip(NEXT) | instid1(VALU_DEP_2)
	v_dual_mov_b32 v119, v113 :: v_dual_mov_b32 v113, v114
	v_pk_fma_f32 v[116:117], v[114:115], v[80:81], v[116:117] op_sel_hi:[1,1,0] neg_lo:[0,0,1] neg_hi:[0,0,1]
	v_mul_f32_e32 v114, v115, v102
	s_delay_alu instid0(VALU_DEP_3) | instskip(NEXT) | instid1(VALU_DEP_2)
	v_pk_add_f32 v[64:65], v[64:65], v[118:119] neg_lo:[0,1] neg_hi:[0,1]
	v_pk_fma_f32 v[112:113], v[112:113], v[80:81], v[114:115] op_sel_hi:[1,1,0]
	s_delay_alu instid0(VALU_DEP_1) | instskip(SKIP_4) | instid1(VALU_DEP_1)
	v_mov_b32_e32 v117, v113
	ds_load_2addr_b64 v[112:115], v106 offset0:28 offset1:29
	v_pk_add_f32 v[20:21], v[20:21], v[116:117] neg_lo:[0,1] neg_hi:[0,1]
	s_wait_dscnt 0x0
	v_pk_mul_f32 v[116:117], v[112:113], v[104:105] op_sel:[0,1]
	v_pk_fma_f32 v[118:119], v[112:113], v[102:103], v[116:117] op_sel:[0,0,1] op_sel_hi:[1,1,0] neg_lo:[0,0,1] neg_hi:[0,0,1]
	v_pk_fma_f32 v[112:113], v[112:113], v[102:103], v[116:117] op_sel:[0,0,1] op_sel_hi:[1,0,0]
	s_delay_alu instid0(VALU_DEP_1) | instskip(SKIP_1) | instid1(VALU_DEP_1)
	v_mov_b32_e32 v119, v113
	v_pk_mul_f32 v[112:113], v[114:115], v[104:105] op_sel:[0,1]
	v_pk_fma_f32 v[116:117], v[114:115], v[102:103], v[112:113] op_sel:[0,0,1] op_sel_hi:[1,1,0] neg_lo:[0,0,1] neg_hi:[0,0,1]
	v_pk_fma_f32 v[112:113], v[114:115], v[102:103], v[112:113] op_sel:[0,0,1] op_sel_hi:[1,0,0]
	s_delay_alu instid0(VALU_DEP_1)
	v_mov_b32_e32 v117, v113
	ds_load_2addr_b64 v[112:115], v106 offset0:30 offset1:31
	v_pk_add_f32 v[54:55], v[54:55], v[118:119] neg_lo:[0,1] neg_hi:[0,1]
	v_pk_add_f32 v[50:51], v[50:51], v[116:117] neg_lo:[0,1] neg_hi:[0,1]
	s_wait_dscnt 0x0
	v_pk_mul_f32 v[116:117], v[112:113], v[104:105] op_sel:[0,1]
	s_delay_alu instid0(VALU_DEP_1) | instskip(SKIP_1) | instid1(VALU_DEP_1)
	v_pk_fma_f32 v[118:119], v[112:113], v[102:103], v[116:117] op_sel:[0,0,1] op_sel_hi:[1,1,0] neg_lo:[0,0,1] neg_hi:[0,0,1]
	v_pk_fma_f32 v[112:113], v[112:113], v[102:103], v[116:117] op_sel:[0,0,1] op_sel_hi:[1,0,0]
	v_mov_b32_e32 v119, v113
	v_pk_mul_f32 v[112:113], v[114:115], v[104:105] op_sel:[0,1]
	s_delay_alu instid0(VALU_DEP_1) | instskip(SKIP_1) | instid1(VALU_DEP_1)
	v_pk_fma_f32 v[116:117], v[114:115], v[102:103], v[112:113] op_sel:[0,0,1] op_sel_hi:[1,1,0] neg_lo:[0,0,1] neg_hi:[0,0,1]
	v_pk_fma_f32 v[112:113], v[114:115], v[102:103], v[112:113] op_sel:[0,0,1] op_sel_hi:[1,0,0]
	v_mov_b32_e32 v117, v113
	ds_load_2addr_b64 v[112:115], v106 offset0:32 offset1:33
	v_pk_add_f32 v[52:53], v[52:53], v[118:119] neg_lo:[0,1] neg_hi:[0,1]
	v_pk_add_f32 v[12:13], v[12:13], v[116:117] neg_lo:[0,1] neg_hi:[0,1]
	s_wait_dscnt 0x0
	v_dual_mul_f32 v116, v113, v105 :: v_dual_mul_f32 v118, v113, v102
	s_delay_alu instid0(VALU_DEP_1) | instskip(NEXT) | instid1(VALU_DEP_2)
	v_pk_fma_f32 v[116:117], v[112:113], v[80:81], v[116:117] op_sel_hi:[1,1,0] neg_lo:[0,0,1] neg_hi:[0,0,1]
	v_pk_fma_f32 v[112:113], v[112:113], v[80:81], v[118:119] op_sel:[1,0,0] op_sel_hi:[0,1,0]
	s_delay_alu instid0(VALU_DEP_1) | instskip(SKIP_1) | instid1(VALU_DEP_2)
	v_mov_b32_e32 v117, v113
	v_pk_mul_f32 v[112:113], v[114:115], v[104:105] op_sel:[0,1]
	v_pk_add_f32 v[48:49], v[48:49], v[116:117] neg_lo:[0,1] neg_hi:[0,1]
	s_delay_alu instid0(VALU_DEP_2) | instskip(SKIP_1) | instid1(VALU_DEP_1)
	v_pk_fma_f32 v[116:117], v[114:115], v[102:103], v[112:113] op_sel:[0,0,1] op_sel_hi:[1,1,0] neg_lo:[0,0,1] neg_hi:[0,0,1]
	v_pk_fma_f32 v[112:113], v[114:115], v[102:103], v[112:113] op_sel:[0,0,1] op_sel_hi:[1,0,0]
	v_mov_b32_e32 v117, v113
	ds_load_2addr_b64 v[112:115], v106 offset0:34 offset1:35
	v_pk_add_f32 v[44:45], v[44:45], v[116:117] neg_lo:[0,1] neg_hi:[0,1]
	s_wait_dscnt 0x0
	v_pk_mul_f32 v[116:117], v[112:113], v[104:105] op_sel:[0,1]
	s_delay_alu instid0(VALU_DEP_1) | instskip(SKIP_1) | instid1(VALU_DEP_1)
	v_pk_fma_f32 v[118:119], v[112:113], v[102:103], v[116:117] op_sel:[0,0,1] op_sel_hi:[1,1,0] neg_lo:[0,0,1] neg_hi:[0,0,1]
	v_pk_fma_f32 v[112:113], v[112:113], v[102:103], v[116:117] op_sel:[0,0,1] op_sel_hi:[1,0,0]
	v_mov_b32_e32 v119, v113
	v_pk_mul_f32 v[112:113], v[114:115], v[104:105] op_sel:[0,1]
	s_delay_alu instid0(VALU_DEP_2) | instskip(NEXT) | instid1(VALU_DEP_2)
	v_pk_add_f32 v[46:47], v[46:47], v[118:119] neg_lo:[0,1] neg_hi:[0,1]
	v_pk_fma_f32 v[116:117], v[114:115], v[102:103], v[112:113] op_sel:[0,0,1] op_sel_hi:[1,1,0] neg_lo:[0,0,1] neg_hi:[0,0,1]
	v_pk_fma_f32 v[112:113], v[114:115], v[102:103], v[112:113] op_sel:[0,0,1] op_sel_hi:[1,0,0]
	s_delay_alu instid0(VALU_DEP_1) | instskip(SKIP_4) | instid1(VALU_DEP_1)
	v_mov_b32_e32 v117, v113
	ds_load_2addr_b64 v[112:115], v106 offset0:36 offset1:37
	v_pk_add_f32 v[10:11], v[10:11], v[116:117] neg_lo:[0,1] neg_hi:[0,1]
	s_wait_dscnt 0x0
	v_pk_mul_f32 v[116:117], v[112:113], v[104:105] op_sel:[0,1]
	v_pk_fma_f32 v[118:119], v[112:113], v[102:103], v[116:117] op_sel:[0,0,1] op_sel_hi:[1,1,0] neg_lo:[0,0,1] neg_hi:[0,0,1]
	v_pk_fma_f32 v[112:113], v[112:113], v[102:103], v[116:117] op_sel:[0,0,1] op_sel_hi:[1,0,0]
	v_dual_mul_f32 v116, v115, v105 :: v_dual_mov_b32 v112, v115
	s_delay_alu instid0(VALU_DEP_2) | instskip(NEXT) | instid1(VALU_DEP_2)
	v_dual_mov_b32 v119, v113 :: v_dual_mov_b32 v113, v114
	v_pk_fma_f32 v[116:117], v[114:115], v[80:81], v[116:117] op_sel_hi:[1,1,0] neg_lo:[0,0,1] neg_hi:[0,0,1]
	v_mul_f32_e32 v114, v115, v102
	s_delay_alu instid0(VALU_DEP_3) | instskip(NEXT) | instid1(VALU_DEP_2)
	v_pk_add_f32 v[42:43], v[42:43], v[118:119] neg_lo:[0,1] neg_hi:[0,1]
	v_pk_fma_f32 v[112:113], v[112:113], v[80:81], v[114:115] op_sel_hi:[1,1,0]
	s_delay_alu instid0(VALU_DEP_1) | instskip(SKIP_4) | instid1(VALU_DEP_1)
	v_mov_b32_e32 v117, v113
	ds_load_2addr_b64 v[112:115], v106 offset0:38 offset1:39
	v_pk_add_f32 v[38:39], v[38:39], v[116:117] neg_lo:[0,1] neg_hi:[0,1]
	s_wait_dscnt 0x0
	v_pk_mul_f32 v[116:117], v[112:113], v[104:105] op_sel:[0,1]
	v_pk_fma_f32 v[118:119], v[112:113], v[102:103], v[116:117] op_sel:[0,0,1] op_sel_hi:[1,1,0] neg_lo:[0,0,1] neg_hi:[0,0,1]
	v_pk_fma_f32 v[112:113], v[112:113], v[102:103], v[116:117] op_sel:[0,0,1] op_sel_hi:[1,0,0]
	s_delay_alu instid0(VALU_DEP_1) | instskip(SKIP_1) | instid1(VALU_DEP_1)
	v_mov_b32_e32 v119, v113
	v_pk_mul_f32 v[112:113], v[114:115], v[104:105] op_sel:[0,1]
	v_pk_fma_f32 v[116:117], v[114:115], v[102:103], v[112:113] op_sel:[0,0,1] op_sel_hi:[1,1,0] neg_lo:[0,0,1] neg_hi:[0,0,1]
	v_pk_fma_f32 v[112:113], v[114:115], v[102:103], v[112:113] op_sel:[0,0,1] op_sel_hi:[1,0,0]
	s_delay_alu instid0(VALU_DEP_1)
	v_mov_b32_e32 v117, v113
	ds_load_2addr_b64 v[112:115], v106 offset0:40 offset1:41
	v_pk_add_f32 v[40:41], v[40:41], v[118:119] neg_lo:[0,1] neg_hi:[0,1]
	v_pk_add_f32 v[6:7], v[6:7], v[116:117] neg_lo:[0,1] neg_hi:[0,1]
	s_wait_dscnt 0x0
	v_pk_mul_f32 v[116:117], v[112:113], v[104:105] op_sel:[0,1]
	s_delay_alu instid0(VALU_DEP_1) | instskip(SKIP_1) | instid1(VALU_DEP_1)
	v_pk_fma_f32 v[118:119], v[112:113], v[102:103], v[116:117] op_sel:[0,0,1] op_sel_hi:[1,1,0] neg_lo:[0,0,1] neg_hi:[0,0,1]
	v_pk_fma_f32 v[112:113], v[112:113], v[102:103], v[116:117] op_sel:[0,0,1] op_sel_hi:[1,0,0]
	v_mov_b32_e32 v119, v113
	v_pk_mul_f32 v[112:113], v[114:115], v[104:105] op_sel:[0,1]
	s_delay_alu instid0(VALU_DEP_1) | instskip(SKIP_1) | instid1(VALU_DEP_1)
	v_pk_fma_f32 v[116:117], v[114:115], v[102:103], v[112:113] op_sel:[0,0,1] op_sel_hi:[1,1,0] neg_lo:[0,0,1] neg_hi:[0,0,1]
	v_pk_fma_f32 v[112:113], v[114:115], v[102:103], v[112:113] op_sel:[0,0,1] op_sel_hi:[1,0,0]
	v_mov_b32_e32 v117, v113
	ds_load_2addr_b64 v[112:115], v106 offset0:42 offset1:43
	v_pk_add_f32 v[36:37], v[36:37], v[118:119] neg_lo:[0,1] neg_hi:[0,1]
	v_pk_add_f32 v[30:31], v[30:31], v[116:117] neg_lo:[0,1] neg_hi:[0,1]
	s_wait_dscnt 0x0
	v_dual_mul_f32 v116, v113, v105 :: v_dual_mul_f32 v118, v113, v102
	s_delay_alu instid0(VALU_DEP_1) | instskip(NEXT) | instid1(VALU_DEP_2)
	v_pk_fma_f32 v[116:117], v[112:113], v[80:81], v[116:117] op_sel_hi:[1,1,0] neg_lo:[0,0,1] neg_hi:[0,0,1]
	v_pk_fma_f32 v[112:113], v[112:113], v[80:81], v[118:119] op_sel:[1,0,0] op_sel_hi:[0,1,0]
	s_delay_alu instid0(VALU_DEP_1) | instskip(SKIP_1) | instid1(VALU_DEP_2)
	v_mov_b32_e32 v117, v113
	v_pk_mul_f32 v[112:113], v[114:115], v[104:105] op_sel:[0,1]
	v_pk_add_f32 v[34:35], v[34:35], v[116:117] neg_lo:[0,1] neg_hi:[0,1]
	s_delay_alu instid0(VALU_DEP_2) | instskip(SKIP_1) | instid1(VALU_DEP_1)
	v_pk_fma_f32 v[116:117], v[114:115], v[102:103], v[112:113] op_sel:[0,0,1] op_sel_hi:[1,1,0] neg_lo:[0,0,1] neg_hi:[0,0,1]
	v_pk_fma_f32 v[112:113], v[114:115], v[102:103], v[112:113] op_sel:[0,0,1] op_sel_hi:[1,0,0]
	v_mov_b32_e32 v117, v113
	ds_load_2addr_b64 v[112:115], v106 offset0:44 offset1:45
	v_pk_add_f32 v[8:9], v[8:9], v[116:117] neg_lo:[0,1] neg_hi:[0,1]
	s_wait_dscnt 0x0
	v_pk_mul_f32 v[116:117], v[112:113], v[104:105] op_sel:[0,1]
	s_delay_alu instid0(VALU_DEP_1) | instskip(SKIP_1) | instid1(VALU_DEP_1)
	v_pk_fma_f32 v[118:119], v[112:113], v[102:103], v[116:117] op_sel:[0,0,1] op_sel_hi:[1,1,0] neg_lo:[0,0,1] neg_hi:[0,0,1]
	v_pk_fma_f32 v[112:113], v[112:113], v[102:103], v[116:117] op_sel:[0,0,1] op_sel_hi:[1,0,0]
	v_mov_b32_e32 v119, v113
	v_pk_mul_f32 v[112:113], v[114:115], v[104:105] op_sel:[0,1]
	s_delay_alu instid0(VALU_DEP_2) | instskip(NEXT) | instid1(VALU_DEP_2)
	v_pk_add_f32 v[28:29], v[28:29], v[118:119] neg_lo:[0,1] neg_hi:[0,1]
	v_pk_fma_f32 v[116:117], v[114:115], v[102:103], v[112:113] op_sel:[0,0,1] op_sel_hi:[1,1,0] neg_lo:[0,0,1] neg_hi:[0,0,1]
	v_pk_fma_f32 v[112:113], v[114:115], v[102:103], v[112:113] op_sel:[0,0,1] op_sel_hi:[1,0,0]
	s_delay_alu instid0(VALU_DEP_1)
	v_mov_b32_e32 v117, v113
	ds_load_2addr_b64 v[112:115], v106 offset0:46 offset1:47
	v_pk_add_f32 v[18:19], v[18:19], v[116:117] neg_lo:[0,1] neg_hi:[0,1]
	s_wait_dscnt 0x0
	v_pk_mul_f32 v[116:117], v[112:113], v[104:105] op_sel:[0,1]
	v_pk_mul_f32 v[104:105], v[114:115], v[104:105] op_sel:[0,1]
	s_delay_alu instid0(VALU_DEP_2) | instskip(SKIP_1) | instid1(VALU_DEP_1)
	v_pk_fma_f32 v[118:119], v[112:113], v[102:103], v[116:117] op_sel:[0,0,1] op_sel_hi:[1,1,0] neg_lo:[0,0,1] neg_hi:[0,0,1]
	v_pk_fma_f32 v[112:113], v[112:113], v[102:103], v[116:117] op_sel:[0,0,1] op_sel_hi:[1,0,0]
	v_mov_b32_e32 v119, v113
	s_delay_alu instid0(VALU_DEP_4) | instskip(SKIP_1) | instid1(VALU_DEP_3)
	v_pk_fma_f32 v[112:113], v[114:115], v[102:103], v[104:105] op_sel:[0,0,1] op_sel_hi:[1,1,0] neg_lo:[0,0,1] neg_hi:[0,0,1]
	v_pk_fma_f32 v[102:103], v[114:115], v[102:103], v[104:105] op_sel:[0,0,1] op_sel_hi:[1,0,0]
	v_pk_add_f32 v[14:15], v[14:15], v[118:119] neg_lo:[0,1] neg_hi:[0,1]
	s_delay_alu instid0(VALU_DEP_2) | instskip(NEXT) | instid1(VALU_DEP_1)
	v_mov_b32_e32 v113, v103
	v_pk_add_f32 v[100:101], v[100:101], v[112:113] neg_lo:[0,1] neg_hi:[0,1]
.LBB94_293:
	s_or_b32 exec_lo, exec_lo, s0
	v_lshl_add_u32 v102, v110, 3, v106
	s_barrier_signal -1
	s_barrier_wait -1
	ds_store_b64 v102, v[82:83]
	s_wait_dscnt 0x0
	s_barrier_signal -1
	s_barrier_wait -1
	ds_load_b64 v[104:105], v106 offset:112
	v_mov_b32_e32 v102, 14
	s_cmp_lt_i32 s18, 16
	s_cbranch_scc1 .LBB94_296
; %bb.294:
	v_add3_u32 v103, v107, 0, 0x78
	v_mov_b32_e32 v102, 14
	s_mov_b32 s0, 15
.LBB94_295:                             ; =>This Inner Loop Header: Depth=1
	ds_load_b64 v[112:113], v103
	s_wait_dscnt 0x1
	v_cmp_gt_f32_e32 vcc_lo, 0, v104
	v_cndmask_b32_e64 v114, v104, -v104, vcc_lo
	v_cmp_gt_f32_e32 vcc_lo, 0, v105
	v_cndmask_b32_e64 v116, v105, -v105, vcc_lo
	s_wait_dscnt 0x0
	v_cmp_gt_f32_e32 vcc_lo, 0, v112
	v_cndmask_b32_e64 v115, v112, -v112, vcc_lo
	v_cmp_gt_f32_e32 vcc_lo, 0, v113
	v_cndmask_b32_e64 v117, v113, -v113, vcc_lo
	s_delay_alu instid0(VALU_DEP_1) | instskip(NEXT) | instid1(VALU_DEP_1)
	v_pk_add_f32 v[114:115], v[114:115], v[116:117]
	v_cmp_lt_f32_e32 vcc_lo, v114, v115
	v_dual_add_nc_u32 v103, 8, v103 :: v_dual_cndmask_b32 v105, v105, v113, vcc_lo
	v_cndmask_b32_e32 v104, v104, v112, vcc_lo
	v_cndmask_b32_e64 v102, v102, s0, vcc_lo
	s_add_co_i32 s0, s0, 1
	s_delay_alu instid0(SALU_CYCLE_1)
	s_cmp_lg_u32 s18, s0
	s_cbranch_scc1 .LBB94_295
.LBB94_296:
	s_wait_dscnt 0x0
	v_cmp_eq_f32_e32 vcc_lo, 0, v104
	v_cmp_eq_f32_e64 s0, 0, v105
	s_and_b32 s0, vcc_lo, s0
	s_delay_alu instid0(SALU_CYCLE_1) | instskip(NEXT) | instid1(SALU_CYCLE_1)
	s_and_saveexec_b32 s1, s0
	s_xor_b32 s0, exec_lo, s1
; %bb.297:
	v_cmp_ne_u32_e32 vcc_lo, 0, v108
	v_cndmask_b32_e32 v108, 15, v108, vcc_lo
; %bb.298:
	s_and_not1_saveexec_b32 s0, s0
	s_cbranch_execz .LBB94_304
; %bb.299:
	v_cmp_ngt_f32_e64 s1, |v104|, |v105|
	s_and_saveexec_b32 s12, s1
	s_delay_alu instid0(SALU_CYCLE_1)
	s_xor_b32 s1, exec_lo, s12
	s_cbranch_execz .LBB94_301
; %bb.300:
	v_div_scale_f32 v103, null, v105, v105, v104
	v_div_scale_f32 v113, vcc_lo, v104, v105, v104
	s_delay_alu instid0(VALU_DEP_2) | instskip(SKIP_1) | instid1(TRANS32_DEP_1)
	v_rcp_f32_e32 v111, v103
	v_nop
	v_fma_f32 v112, -v103, v111, 1.0
	s_delay_alu instid0(VALU_DEP_1) | instskip(NEXT) | instid1(VALU_DEP_1)
	v_fmac_f32_e32 v111, v112, v111
	v_mul_f32_e32 v112, v113, v111
	s_delay_alu instid0(VALU_DEP_1) | instskip(NEXT) | instid1(VALU_DEP_1)
	v_fma_f32 v114, -v103, v112, v113
	v_fmac_f32_e32 v112, v114, v111
	s_delay_alu instid0(VALU_DEP_1) | instskip(NEXT) | instid1(VALU_DEP_1)
	v_fma_f32 v103, -v103, v112, v113
	v_div_fmas_f32 v103, v103, v111, v112
	s_delay_alu instid0(VALU_DEP_1) | instskip(NEXT) | instid1(VALU_DEP_1)
	v_div_fixup_f32 v103, v103, v105, v104
	v_fmac_f32_e32 v105, v104, v103
	s_delay_alu instid0(VALU_DEP_1) | instskip(SKIP_1) | instid1(VALU_DEP_2)
	v_div_scale_f32 v104, null, v105, v105, 1.0
	v_div_scale_f32 v113, vcc_lo, 1.0, v105, 1.0
	v_rcp_f32_e32 v111, v104
	v_nop
	s_delay_alu instid0(TRANS32_DEP_1) | instskip(NEXT) | instid1(VALU_DEP_1)
	v_fma_f32 v112, -v104, v111, 1.0
	v_fmac_f32_e32 v111, v112, v111
	s_delay_alu instid0(VALU_DEP_1) | instskip(NEXT) | instid1(VALU_DEP_1)
	v_mul_f32_e32 v112, v113, v111
	v_fma_f32 v114, -v104, v112, v113
	s_delay_alu instid0(VALU_DEP_1) | instskip(NEXT) | instid1(VALU_DEP_1)
	v_fmac_f32_e32 v112, v114, v111
	v_fma_f32 v104, -v104, v112, v113
	s_delay_alu instid0(VALU_DEP_1) | instskip(NEXT) | instid1(VALU_DEP_1)
	v_div_fmas_f32 v104, v104, v111, v112
	v_div_fixup_f32 v105, v104, v105, 1.0
	s_delay_alu instid0(VALU_DEP_1)
	v_mul_f32_e32 v104, v103, v105
	v_xor_b32_e32 v105, 0x80000000, v105
.LBB94_301:
	s_and_not1_saveexec_b32 s1, s1
	s_cbranch_execz .LBB94_303
; %bb.302:
	s_delay_alu instid0(VALU_DEP_1) | instskip(SKIP_1) | instid1(VALU_DEP_2)
	v_div_scale_f32 v103, null, v104, v104, v105
	v_div_scale_f32 v113, vcc_lo, v105, v104, v105
	v_rcp_f32_e32 v111, v103
	v_nop
	s_delay_alu instid0(TRANS32_DEP_1) | instskip(NEXT) | instid1(VALU_DEP_1)
	v_fma_f32 v112, -v103, v111, 1.0
	v_fmac_f32_e32 v111, v112, v111
	s_delay_alu instid0(VALU_DEP_1) | instskip(NEXT) | instid1(VALU_DEP_1)
	v_mul_f32_e32 v112, v113, v111
	v_fma_f32 v114, -v103, v112, v113
	s_delay_alu instid0(VALU_DEP_1) | instskip(NEXT) | instid1(VALU_DEP_1)
	v_fmac_f32_e32 v112, v114, v111
	v_fma_f32 v103, -v103, v112, v113
	s_delay_alu instid0(VALU_DEP_1) | instskip(NEXT) | instid1(VALU_DEP_1)
	v_div_fmas_f32 v103, v103, v111, v112
	v_div_fixup_f32 v103, v103, v104, v105
	s_delay_alu instid0(VALU_DEP_1) | instskip(NEXT) | instid1(VALU_DEP_1)
	v_fmac_f32_e32 v104, v105, v103
	v_div_scale_f32 v105, null, v104, v104, 1.0
	s_delay_alu instid0(VALU_DEP_1) | instskip(SKIP_1) | instid1(TRANS32_DEP_1)
	v_rcp_f32_e32 v111, v105
	v_nop
	v_fma_f32 v112, -v105, v111, 1.0
	s_delay_alu instid0(VALU_DEP_1) | instskip(SKIP_1) | instid1(VALU_DEP_1)
	v_fmac_f32_e32 v111, v112, v111
	v_div_scale_f32 v112, vcc_lo, 1.0, v104, 1.0
	v_mul_f32_e32 v113, v112, v111
	s_delay_alu instid0(VALU_DEP_1) | instskip(NEXT) | instid1(VALU_DEP_1)
	v_fma_f32 v114, -v105, v113, v112
	v_fmac_f32_e32 v113, v114, v111
	s_delay_alu instid0(VALU_DEP_1) | instskip(NEXT) | instid1(VALU_DEP_1)
	v_fma_f32 v105, -v105, v113, v112
	v_div_fmas_f32 v105, v105, v111, v113
	s_delay_alu instid0(VALU_DEP_1) | instskip(NEXT) | instid1(VALU_DEP_1)
	v_div_fixup_f32 v104, v105, v104, 1.0
	v_mul_f32_e64 v105, v103, -v104
.LBB94_303:
	s_or_b32 exec_lo, exec_lo, s1
.LBB94_304:
	s_delay_alu instid0(SALU_CYCLE_1) | instskip(NEXT) | instid1(SALU_CYCLE_1)
	s_or_b32 exec_lo, exec_lo, s0
	s_mov_b32 s0, exec_lo
	v_cmpx_ne_u32_e64 v110, v102
	s_xor_b32 s0, exec_lo, s0
	s_cbranch_execz .LBB94_310
; %bb.305:
	s_mov_b32 s1, exec_lo
	v_cmpx_eq_u32_e32 14, v110
	s_cbranch_execz .LBB94_309
; %bb.306:
	v_cmp_ne_u32_e32 vcc_lo, 14, v102
	s_xor_b32 s12, s16, -1
	s_delay_alu instid0(SALU_CYCLE_1) | instskip(NEXT) | instid1(SALU_CYCLE_1)
	s_and_b32 s13, s12, vcc_lo
	s_and_saveexec_b32 s12, s13
	s_cbranch_execz .LBB94_308
; %bb.307:
	v_ashrrev_i32_e32 v103, 31, v102
	s_delay_alu instid0(VALU_DEP_1)
	v_lshl_add_u64 v[110:111], v[102:103], 2, v[4:5]
	s_clause 0x1
	global_load_b32 v103, v[110:111], off
	global_load_b32 v109, v[4:5], off offset:56
	s_wait_loadcnt 0x1
	global_store_b32 v[4:5], v103, off offset:56
	s_wait_loadcnt 0x0
	global_store_b32 v[110:111], v109, off
.LBB94_308:
	s_wait_xcnt 0x0
	s_or_b32 exec_lo, exec_lo, s12
	v_dual_mov_b32 v110, v102 :: v_dual_mov_b32 v109, v102
.LBB94_309:
	s_or_b32 exec_lo, exec_lo, s1
.LBB94_310:
	s_and_not1_saveexec_b32 s0, s0
	s_cbranch_execz .LBB94_312
; %bb.311:
	v_mov_b32_e32 v110, 14
	ds_store_2addr_b64 v106, v[26:27], v[78:79] offset0:15 offset1:16
	ds_store_2addr_b64 v106, v[74:75], v[76:77] offset0:17 offset1:18
	;; [unrolled: 1-line block ×16, first 2 shown]
	ds_store_b64 v106, v[100:101] offset:376
.LBB94_312:
	s_or_b32 exec_lo, exec_lo, s0
	s_delay_alu instid0(SALU_CYCLE_1)
	s_mov_b32 s0, exec_lo
	s_wait_storecnt_dscnt 0x0
	s_barrier_signal -1
	s_barrier_wait -1
	v_cmpx_lt_i32_e32 14, v110
	s_cbranch_execz .LBB94_314
; %bb.313:
	v_pk_mul_f32 v[112:113], v[104:105], v[82:83] op_sel:[1,1] op_sel_hi:[0,1]
	s_delay_alu instid0(VALU_DEP_1)
	v_pk_fma_f32 v[102:103], v[104:105], v[82:83], v[112:113] op_sel_hi:[1,0,1] neg_lo:[0,0,1] neg_hi:[0,0,1]
	v_pk_fma_f32 v[104:105], v[104:105], v[82:83], v[112:113] op_sel_hi:[1,0,1]
	ds_load_2addr_b64 v[112:115], v106 offset0:15 offset1:16
	v_dual_mov_b32 v82, v102 :: v_dual_mov_b32 v83, v105
	s_wait_dscnt 0x0
	v_pk_mul_f32 v[116:117], v[112:113], v[104:105] op_sel:[0,1]
	s_delay_alu instid0(VALU_DEP_1) | instskip(SKIP_1) | instid1(VALU_DEP_1)
	v_pk_fma_f32 v[118:119], v[112:113], v[102:103], v[116:117] op_sel:[0,0,1] op_sel_hi:[1,1,0] neg_lo:[0,0,1] neg_hi:[0,0,1]
	v_pk_fma_f32 v[112:113], v[112:113], v[102:103], v[116:117] op_sel:[0,0,1] op_sel_hi:[1,0,0]
	v_mov_b32_e32 v119, v113
	v_pk_mul_f32 v[112:113], v[114:115], v[104:105] op_sel:[0,1]
	s_delay_alu instid0(VALU_DEP_1) | instskip(SKIP_1) | instid1(VALU_DEP_1)
	v_pk_fma_f32 v[116:117], v[114:115], v[102:103], v[112:113] op_sel:[0,0,1] op_sel_hi:[1,1,0] neg_lo:[0,0,1] neg_hi:[0,0,1]
	v_pk_fma_f32 v[112:113], v[114:115], v[102:103], v[112:113] op_sel:[0,0,1] op_sel_hi:[1,0,0]
	v_mov_b32_e32 v117, v113
	ds_load_2addr_b64 v[112:115], v106 offset0:17 offset1:18
	v_pk_add_f32 v[26:27], v[26:27], v[118:119] neg_lo:[0,1] neg_hi:[0,1]
	v_pk_add_f32 v[78:79], v[78:79], v[116:117] neg_lo:[0,1] neg_hi:[0,1]
	s_wait_dscnt 0x0
	v_pk_mul_f32 v[116:117], v[112:113], v[104:105] op_sel:[0,1]
	s_delay_alu instid0(VALU_DEP_1) | instskip(SKIP_2) | instid1(VALU_DEP_2)
	v_pk_fma_f32 v[118:119], v[112:113], v[102:103], v[116:117] op_sel:[0,0,1] op_sel_hi:[1,1,0] neg_lo:[0,0,1] neg_hi:[0,0,1]
	v_pk_fma_f32 v[112:113], v[112:113], v[102:103], v[116:117] op_sel:[0,0,1] op_sel_hi:[1,0,0]
	v_dual_mul_f32 v116, v115, v105 :: v_dual_mov_b32 v112, v115
	v_dual_mov_b32 v119, v113 :: v_dual_mov_b32 v113, v114
	s_delay_alu instid0(VALU_DEP_2) | instskip(SKIP_1) | instid1(VALU_DEP_3)
	v_pk_fma_f32 v[116:117], v[114:115], v[82:83], v[116:117] op_sel_hi:[1,1,0] neg_lo:[0,0,1] neg_hi:[0,0,1]
	v_mul_f32_e32 v114, v115, v102
	v_pk_add_f32 v[74:75], v[74:75], v[118:119] neg_lo:[0,1] neg_hi:[0,1]
	s_delay_alu instid0(VALU_DEP_2) | instskip(NEXT) | instid1(VALU_DEP_1)
	v_pk_fma_f32 v[112:113], v[112:113], v[82:83], v[114:115] op_sel_hi:[1,1,0]
	v_mov_b32_e32 v117, v113
	ds_load_2addr_b64 v[112:115], v106 offset0:19 offset1:20
	v_pk_add_f32 v[76:77], v[76:77], v[116:117] neg_lo:[0,1] neg_hi:[0,1]
	s_wait_dscnt 0x0
	v_pk_mul_f32 v[116:117], v[112:113], v[104:105] op_sel:[0,1]
	s_delay_alu instid0(VALU_DEP_1) | instskip(SKIP_1) | instid1(VALU_DEP_1)
	v_pk_fma_f32 v[118:119], v[112:113], v[102:103], v[116:117] op_sel:[0,0,1] op_sel_hi:[1,1,0] neg_lo:[0,0,1] neg_hi:[0,0,1]
	v_pk_fma_f32 v[112:113], v[112:113], v[102:103], v[116:117] op_sel:[0,0,1] op_sel_hi:[1,0,0]
	v_mov_b32_e32 v119, v113
	v_pk_mul_f32 v[112:113], v[114:115], v[104:105] op_sel:[0,1]
	s_delay_alu instid0(VALU_DEP_1) | instskip(SKIP_1) | instid1(VALU_DEP_1)
	v_pk_fma_f32 v[116:117], v[114:115], v[102:103], v[112:113] op_sel:[0,0,1] op_sel_hi:[1,1,0] neg_lo:[0,0,1] neg_hi:[0,0,1]
	v_pk_fma_f32 v[112:113], v[114:115], v[102:103], v[112:113] op_sel:[0,0,1] op_sel_hi:[1,0,0]
	v_mov_b32_e32 v117, v113
	ds_load_2addr_b64 v[112:115], v106 offset0:21 offset1:22
	v_pk_add_f32 v[24:25], v[24:25], v[118:119] neg_lo:[0,1] neg_hi:[0,1]
	v_pk_add_f32 v[72:73], v[72:73], v[116:117] neg_lo:[0,1] neg_hi:[0,1]
	s_wait_dscnt 0x0
	v_pk_mul_f32 v[116:117], v[112:113], v[104:105] op_sel:[0,1]
	s_delay_alu instid0(VALU_DEP_1) | instskip(SKIP_1) | instid1(VALU_DEP_1)
	v_pk_fma_f32 v[118:119], v[112:113], v[102:103], v[116:117] op_sel:[0,0,1] op_sel_hi:[1,1,0] neg_lo:[0,0,1] neg_hi:[0,0,1]
	v_pk_fma_f32 v[112:113], v[112:113], v[102:103], v[116:117] op_sel:[0,0,1] op_sel_hi:[1,0,0]
	v_mov_b32_e32 v119, v113
	v_pk_mul_f32 v[112:113], v[114:115], v[104:105] op_sel:[0,1]
	s_delay_alu instid0(VALU_DEP_1) | instskip(SKIP_1) | instid1(VALU_DEP_1)
	v_pk_fma_f32 v[116:117], v[114:115], v[102:103], v[112:113] op_sel:[0,0,1] op_sel_hi:[1,1,0] neg_lo:[0,0,1] neg_hi:[0,0,1]
	v_pk_fma_f32 v[112:113], v[114:115], v[102:103], v[112:113] op_sel:[0,0,1] op_sel_hi:[1,0,0]
	v_mov_b32_e32 v117, v113
	ds_load_2addr_b64 v[112:115], v106 offset0:23 offset1:24
	v_pk_add_f32 v[68:69], v[68:69], v[118:119] neg_lo:[0,1] neg_hi:[0,1]
	v_pk_add_f32 v[70:71], v[70:71], v[116:117] neg_lo:[0,1] neg_hi:[0,1]
	s_wait_dscnt 0x0
	v_dual_mul_f32 v116, v113, v105 :: v_dual_mul_f32 v118, v113, v102
	s_delay_alu instid0(VALU_DEP_1) | instskip(NEXT) | instid1(VALU_DEP_2)
	v_pk_fma_f32 v[116:117], v[112:113], v[82:83], v[116:117] op_sel_hi:[1,1,0] neg_lo:[0,0,1] neg_hi:[0,0,1]
	v_pk_fma_f32 v[112:113], v[112:113], v[82:83], v[118:119] op_sel:[1,0,0] op_sel_hi:[0,1,0]
	s_delay_alu instid0(VALU_DEP_1) | instskip(SKIP_1) | instid1(VALU_DEP_2)
	v_mov_b32_e32 v117, v113
	v_pk_mul_f32 v[112:113], v[114:115], v[104:105] op_sel:[0,1]
	v_pk_add_f32 v[22:23], v[22:23], v[116:117] neg_lo:[0,1] neg_hi:[0,1]
	s_delay_alu instid0(VALU_DEP_2) | instskip(SKIP_1) | instid1(VALU_DEP_1)
	v_pk_fma_f32 v[116:117], v[114:115], v[102:103], v[112:113] op_sel:[0,0,1] op_sel_hi:[1,1,0] neg_lo:[0,0,1] neg_hi:[0,0,1]
	v_pk_fma_f32 v[112:113], v[114:115], v[102:103], v[112:113] op_sel:[0,0,1] op_sel_hi:[1,0,0]
	v_mov_b32_e32 v117, v113
	ds_load_2addr_b64 v[112:115], v106 offset0:25 offset1:26
	v_pk_add_f32 v[66:67], v[66:67], v[116:117] neg_lo:[0,1] neg_hi:[0,1]
	s_wait_dscnt 0x0
	v_pk_mul_f32 v[116:117], v[112:113], v[104:105] op_sel:[0,1]
	s_delay_alu instid0(VALU_DEP_1) | instskip(SKIP_1) | instid1(VALU_DEP_1)
	v_pk_fma_f32 v[118:119], v[112:113], v[102:103], v[116:117] op_sel:[0,0,1] op_sel_hi:[1,1,0] neg_lo:[0,0,1] neg_hi:[0,0,1]
	v_pk_fma_f32 v[112:113], v[112:113], v[102:103], v[116:117] op_sel:[0,0,1] op_sel_hi:[1,0,0]
	v_mov_b32_e32 v119, v113
	v_pk_mul_f32 v[112:113], v[114:115], v[104:105] op_sel:[0,1]
	s_delay_alu instid0(VALU_DEP_2) | instskip(NEXT) | instid1(VALU_DEP_2)
	v_pk_add_f32 v[62:63], v[62:63], v[118:119] neg_lo:[0,1] neg_hi:[0,1]
	v_pk_fma_f32 v[116:117], v[114:115], v[102:103], v[112:113] op_sel:[0,0,1] op_sel_hi:[1,1,0] neg_lo:[0,0,1] neg_hi:[0,0,1]
	v_pk_fma_f32 v[112:113], v[114:115], v[102:103], v[112:113] op_sel:[0,0,1] op_sel_hi:[1,0,0]
	s_delay_alu instid0(VALU_DEP_1) | instskip(SKIP_4) | instid1(VALU_DEP_1)
	v_mov_b32_e32 v117, v113
	ds_load_2addr_b64 v[112:115], v106 offset0:27 offset1:28
	v_pk_add_f32 v[64:65], v[64:65], v[116:117] neg_lo:[0,1] neg_hi:[0,1]
	s_wait_dscnt 0x0
	v_pk_mul_f32 v[116:117], v[112:113], v[104:105] op_sel:[0,1]
	v_pk_fma_f32 v[118:119], v[112:113], v[102:103], v[116:117] op_sel:[0,0,1] op_sel_hi:[1,1,0] neg_lo:[0,0,1] neg_hi:[0,0,1]
	v_pk_fma_f32 v[112:113], v[112:113], v[102:103], v[116:117] op_sel:[0,0,1] op_sel_hi:[1,0,0]
	v_dual_mul_f32 v116, v115, v105 :: v_dual_mov_b32 v112, v115
	s_delay_alu instid0(VALU_DEP_2) | instskip(NEXT) | instid1(VALU_DEP_2)
	v_dual_mov_b32 v119, v113 :: v_dual_mov_b32 v113, v114
	v_pk_fma_f32 v[116:117], v[114:115], v[82:83], v[116:117] op_sel_hi:[1,1,0] neg_lo:[0,0,1] neg_hi:[0,0,1]
	v_mul_f32_e32 v114, v115, v102
	s_delay_alu instid0(VALU_DEP_3) | instskip(NEXT) | instid1(VALU_DEP_2)
	v_pk_add_f32 v[20:21], v[20:21], v[118:119] neg_lo:[0,1] neg_hi:[0,1]
	v_pk_fma_f32 v[112:113], v[112:113], v[82:83], v[114:115] op_sel_hi:[1,1,0]
	s_delay_alu instid0(VALU_DEP_1) | instskip(SKIP_4) | instid1(VALU_DEP_1)
	v_mov_b32_e32 v117, v113
	ds_load_2addr_b64 v[112:115], v106 offset0:29 offset1:30
	v_pk_add_f32 v[54:55], v[54:55], v[116:117] neg_lo:[0,1] neg_hi:[0,1]
	s_wait_dscnt 0x0
	v_pk_mul_f32 v[116:117], v[112:113], v[104:105] op_sel:[0,1]
	v_pk_fma_f32 v[118:119], v[112:113], v[102:103], v[116:117] op_sel:[0,0,1] op_sel_hi:[1,1,0] neg_lo:[0,0,1] neg_hi:[0,0,1]
	v_pk_fma_f32 v[112:113], v[112:113], v[102:103], v[116:117] op_sel:[0,0,1] op_sel_hi:[1,0,0]
	s_delay_alu instid0(VALU_DEP_1) | instskip(SKIP_1) | instid1(VALU_DEP_1)
	v_mov_b32_e32 v119, v113
	v_pk_mul_f32 v[112:113], v[114:115], v[104:105] op_sel:[0,1]
	v_pk_fma_f32 v[116:117], v[114:115], v[102:103], v[112:113] op_sel:[0,0,1] op_sel_hi:[1,1,0] neg_lo:[0,0,1] neg_hi:[0,0,1]
	v_pk_fma_f32 v[112:113], v[114:115], v[102:103], v[112:113] op_sel:[0,0,1] op_sel_hi:[1,0,0]
	s_delay_alu instid0(VALU_DEP_1)
	v_mov_b32_e32 v117, v113
	ds_load_2addr_b64 v[112:115], v106 offset0:31 offset1:32
	v_pk_add_f32 v[50:51], v[50:51], v[118:119] neg_lo:[0,1] neg_hi:[0,1]
	v_pk_add_f32 v[52:53], v[52:53], v[116:117] neg_lo:[0,1] neg_hi:[0,1]
	s_wait_dscnt 0x0
	v_pk_mul_f32 v[116:117], v[112:113], v[104:105] op_sel:[0,1]
	s_delay_alu instid0(VALU_DEP_1) | instskip(SKIP_1) | instid1(VALU_DEP_1)
	v_pk_fma_f32 v[118:119], v[112:113], v[102:103], v[116:117] op_sel:[0,0,1] op_sel_hi:[1,1,0] neg_lo:[0,0,1] neg_hi:[0,0,1]
	v_pk_fma_f32 v[112:113], v[112:113], v[102:103], v[116:117] op_sel:[0,0,1] op_sel_hi:[1,0,0]
	v_mov_b32_e32 v119, v113
	v_pk_mul_f32 v[112:113], v[114:115], v[104:105] op_sel:[0,1]
	s_delay_alu instid0(VALU_DEP_1) | instskip(SKIP_1) | instid1(VALU_DEP_1)
	v_pk_fma_f32 v[116:117], v[114:115], v[102:103], v[112:113] op_sel:[0,0,1] op_sel_hi:[1,1,0] neg_lo:[0,0,1] neg_hi:[0,0,1]
	v_pk_fma_f32 v[112:113], v[114:115], v[102:103], v[112:113] op_sel:[0,0,1] op_sel_hi:[1,0,0]
	v_mov_b32_e32 v117, v113
	ds_load_2addr_b64 v[112:115], v106 offset0:33 offset1:34
	v_pk_add_f32 v[12:13], v[12:13], v[118:119] neg_lo:[0,1] neg_hi:[0,1]
	v_pk_add_f32 v[48:49], v[48:49], v[116:117] neg_lo:[0,1] neg_hi:[0,1]
	s_wait_dscnt 0x0
	v_dual_mul_f32 v116, v113, v105 :: v_dual_mul_f32 v118, v113, v102
	s_delay_alu instid0(VALU_DEP_1) | instskip(NEXT) | instid1(VALU_DEP_2)
	v_pk_fma_f32 v[116:117], v[112:113], v[82:83], v[116:117] op_sel_hi:[1,1,0] neg_lo:[0,0,1] neg_hi:[0,0,1]
	v_pk_fma_f32 v[112:113], v[112:113], v[82:83], v[118:119] op_sel:[1,0,0] op_sel_hi:[0,1,0]
	s_delay_alu instid0(VALU_DEP_1) | instskip(SKIP_1) | instid1(VALU_DEP_2)
	v_mov_b32_e32 v117, v113
	v_pk_mul_f32 v[112:113], v[114:115], v[104:105] op_sel:[0,1]
	v_pk_add_f32 v[44:45], v[44:45], v[116:117] neg_lo:[0,1] neg_hi:[0,1]
	s_delay_alu instid0(VALU_DEP_2) | instskip(SKIP_1) | instid1(VALU_DEP_1)
	v_pk_fma_f32 v[116:117], v[114:115], v[102:103], v[112:113] op_sel:[0,0,1] op_sel_hi:[1,1,0] neg_lo:[0,0,1] neg_hi:[0,0,1]
	v_pk_fma_f32 v[112:113], v[114:115], v[102:103], v[112:113] op_sel:[0,0,1] op_sel_hi:[1,0,0]
	v_mov_b32_e32 v117, v113
	ds_load_2addr_b64 v[112:115], v106 offset0:35 offset1:36
	v_pk_add_f32 v[46:47], v[46:47], v[116:117] neg_lo:[0,1] neg_hi:[0,1]
	s_wait_dscnt 0x0
	v_pk_mul_f32 v[116:117], v[112:113], v[104:105] op_sel:[0,1]
	s_delay_alu instid0(VALU_DEP_1) | instskip(SKIP_1) | instid1(VALU_DEP_1)
	v_pk_fma_f32 v[118:119], v[112:113], v[102:103], v[116:117] op_sel:[0,0,1] op_sel_hi:[1,1,0] neg_lo:[0,0,1] neg_hi:[0,0,1]
	v_pk_fma_f32 v[112:113], v[112:113], v[102:103], v[116:117] op_sel:[0,0,1] op_sel_hi:[1,0,0]
	v_mov_b32_e32 v119, v113
	v_pk_mul_f32 v[112:113], v[114:115], v[104:105] op_sel:[0,1]
	s_delay_alu instid0(VALU_DEP_2) | instskip(NEXT) | instid1(VALU_DEP_2)
	v_pk_add_f32 v[10:11], v[10:11], v[118:119] neg_lo:[0,1] neg_hi:[0,1]
	v_pk_fma_f32 v[116:117], v[114:115], v[102:103], v[112:113] op_sel:[0,0,1] op_sel_hi:[1,1,0] neg_lo:[0,0,1] neg_hi:[0,0,1]
	v_pk_fma_f32 v[112:113], v[114:115], v[102:103], v[112:113] op_sel:[0,0,1] op_sel_hi:[1,0,0]
	s_delay_alu instid0(VALU_DEP_1) | instskip(SKIP_4) | instid1(VALU_DEP_1)
	v_mov_b32_e32 v117, v113
	ds_load_2addr_b64 v[112:115], v106 offset0:37 offset1:38
	v_pk_add_f32 v[42:43], v[42:43], v[116:117] neg_lo:[0,1] neg_hi:[0,1]
	s_wait_dscnt 0x0
	v_pk_mul_f32 v[116:117], v[112:113], v[104:105] op_sel:[0,1]
	v_pk_fma_f32 v[118:119], v[112:113], v[102:103], v[116:117] op_sel:[0,0,1] op_sel_hi:[1,1,0] neg_lo:[0,0,1] neg_hi:[0,0,1]
	v_pk_fma_f32 v[112:113], v[112:113], v[102:103], v[116:117] op_sel:[0,0,1] op_sel_hi:[1,0,0]
	v_dual_mul_f32 v116, v115, v105 :: v_dual_mov_b32 v112, v115
	s_delay_alu instid0(VALU_DEP_2) | instskip(NEXT) | instid1(VALU_DEP_2)
	v_dual_mov_b32 v119, v113 :: v_dual_mov_b32 v113, v114
	v_pk_fma_f32 v[116:117], v[114:115], v[82:83], v[116:117] op_sel_hi:[1,1,0] neg_lo:[0,0,1] neg_hi:[0,0,1]
	v_mul_f32_e32 v114, v115, v102
	s_delay_alu instid0(VALU_DEP_3) | instskip(NEXT) | instid1(VALU_DEP_2)
	v_pk_add_f32 v[38:39], v[38:39], v[118:119] neg_lo:[0,1] neg_hi:[0,1]
	v_pk_fma_f32 v[112:113], v[112:113], v[82:83], v[114:115] op_sel_hi:[1,1,0]
	s_delay_alu instid0(VALU_DEP_1) | instskip(SKIP_4) | instid1(VALU_DEP_1)
	v_mov_b32_e32 v117, v113
	ds_load_2addr_b64 v[112:115], v106 offset0:39 offset1:40
	v_pk_add_f32 v[40:41], v[40:41], v[116:117] neg_lo:[0,1] neg_hi:[0,1]
	s_wait_dscnt 0x0
	v_pk_mul_f32 v[116:117], v[112:113], v[104:105] op_sel:[0,1]
	v_pk_fma_f32 v[118:119], v[112:113], v[102:103], v[116:117] op_sel:[0,0,1] op_sel_hi:[1,1,0] neg_lo:[0,0,1] neg_hi:[0,0,1]
	v_pk_fma_f32 v[112:113], v[112:113], v[102:103], v[116:117] op_sel:[0,0,1] op_sel_hi:[1,0,0]
	s_delay_alu instid0(VALU_DEP_1) | instskip(SKIP_1) | instid1(VALU_DEP_1)
	v_mov_b32_e32 v119, v113
	v_pk_mul_f32 v[112:113], v[114:115], v[104:105] op_sel:[0,1]
	v_pk_fma_f32 v[116:117], v[114:115], v[102:103], v[112:113] op_sel:[0,0,1] op_sel_hi:[1,1,0] neg_lo:[0,0,1] neg_hi:[0,0,1]
	v_pk_fma_f32 v[112:113], v[114:115], v[102:103], v[112:113] op_sel:[0,0,1] op_sel_hi:[1,0,0]
	s_delay_alu instid0(VALU_DEP_1)
	v_mov_b32_e32 v117, v113
	ds_load_2addr_b64 v[112:115], v106 offset0:41 offset1:42
	v_pk_add_f32 v[6:7], v[6:7], v[118:119] neg_lo:[0,1] neg_hi:[0,1]
	v_pk_add_f32 v[36:37], v[36:37], v[116:117] neg_lo:[0,1] neg_hi:[0,1]
	s_wait_dscnt 0x0
	v_pk_mul_f32 v[116:117], v[112:113], v[104:105] op_sel:[0,1]
	s_delay_alu instid0(VALU_DEP_1) | instskip(SKIP_1) | instid1(VALU_DEP_1)
	v_pk_fma_f32 v[118:119], v[112:113], v[102:103], v[116:117] op_sel:[0,0,1] op_sel_hi:[1,1,0] neg_lo:[0,0,1] neg_hi:[0,0,1]
	v_pk_fma_f32 v[112:113], v[112:113], v[102:103], v[116:117] op_sel:[0,0,1] op_sel_hi:[1,0,0]
	v_mov_b32_e32 v119, v113
	v_pk_mul_f32 v[112:113], v[114:115], v[104:105] op_sel:[0,1]
	s_delay_alu instid0(VALU_DEP_1) | instskip(SKIP_1) | instid1(VALU_DEP_1)
	v_pk_fma_f32 v[116:117], v[114:115], v[102:103], v[112:113] op_sel:[0,0,1] op_sel_hi:[1,1,0] neg_lo:[0,0,1] neg_hi:[0,0,1]
	v_pk_fma_f32 v[112:113], v[114:115], v[102:103], v[112:113] op_sel:[0,0,1] op_sel_hi:[1,0,0]
	v_mov_b32_e32 v117, v113
	ds_load_2addr_b64 v[112:115], v106 offset0:43 offset1:44
	v_pk_add_f32 v[30:31], v[30:31], v[118:119] neg_lo:[0,1] neg_hi:[0,1]
	v_pk_add_f32 v[34:35], v[34:35], v[116:117] neg_lo:[0,1] neg_hi:[0,1]
	s_wait_dscnt 0x0
	v_dual_mul_f32 v116, v113, v105 :: v_dual_mul_f32 v118, v113, v102
	s_delay_alu instid0(VALU_DEP_1) | instskip(NEXT) | instid1(VALU_DEP_2)
	v_pk_fma_f32 v[116:117], v[112:113], v[82:83], v[116:117] op_sel_hi:[1,1,0] neg_lo:[0,0,1] neg_hi:[0,0,1]
	v_pk_fma_f32 v[112:113], v[112:113], v[82:83], v[118:119] op_sel:[1,0,0] op_sel_hi:[0,1,0]
	s_delay_alu instid0(VALU_DEP_1) | instskip(SKIP_1) | instid1(VALU_DEP_2)
	v_mov_b32_e32 v117, v113
	v_pk_mul_f32 v[112:113], v[114:115], v[104:105] op_sel:[0,1]
	v_pk_add_f32 v[8:9], v[8:9], v[116:117] neg_lo:[0,1] neg_hi:[0,1]
	s_delay_alu instid0(VALU_DEP_2) | instskip(SKIP_1) | instid1(VALU_DEP_1)
	v_pk_fma_f32 v[116:117], v[114:115], v[102:103], v[112:113] op_sel:[0,0,1] op_sel_hi:[1,1,0] neg_lo:[0,0,1] neg_hi:[0,0,1]
	v_pk_fma_f32 v[112:113], v[114:115], v[102:103], v[112:113] op_sel:[0,0,1] op_sel_hi:[1,0,0]
	v_mov_b32_e32 v117, v113
	ds_load_2addr_b64 v[112:115], v106 offset0:45 offset1:46
	v_pk_add_f32 v[28:29], v[28:29], v[116:117] neg_lo:[0,1] neg_hi:[0,1]
	s_wait_dscnt 0x0
	v_pk_mul_f32 v[116:117], v[112:113], v[104:105] op_sel:[0,1]
	s_delay_alu instid0(VALU_DEP_1) | instskip(SKIP_1) | instid1(VALU_DEP_1)
	v_pk_fma_f32 v[118:119], v[112:113], v[102:103], v[116:117] op_sel:[0,0,1] op_sel_hi:[1,1,0] neg_lo:[0,0,1] neg_hi:[0,0,1]
	v_pk_fma_f32 v[112:113], v[112:113], v[102:103], v[116:117] op_sel:[0,0,1] op_sel_hi:[1,0,0]
	v_mov_b32_e32 v119, v113
	v_pk_mul_f32 v[112:113], v[114:115], v[104:105] op_sel:[0,1]
	s_delay_alu instid0(VALU_DEP_2) | instskip(NEXT) | instid1(VALU_DEP_2)
	v_pk_add_f32 v[18:19], v[18:19], v[118:119] neg_lo:[0,1] neg_hi:[0,1]
	v_pk_fma_f32 v[116:117], v[114:115], v[102:103], v[112:113] op_sel:[0,0,1] op_sel_hi:[1,1,0] neg_lo:[0,0,1] neg_hi:[0,0,1]
	v_pk_fma_f32 v[112:113], v[114:115], v[102:103], v[112:113] op_sel:[0,0,1] op_sel_hi:[1,0,0]
	s_delay_alu instid0(VALU_DEP_1) | instskip(SKIP_4) | instid1(VALU_DEP_1)
	v_mov_b32_e32 v117, v113
	ds_load_b64 v[112:113], v106 offset:376
	v_pk_add_f32 v[14:15], v[14:15], v[116:117] neg_lo:[0,1] neg_hi:[0,1]
	s_wait_dscnt 0x0
	v_pk_mul_f32 v[104:105], v[112:113], v[104:105] op_sel:[0,1]
	v_pk_fma_f32 v[114:115], v[112:113], v[102:103], v[104:105] op_sel:[0,0,1] op_sel_hi:[1,1,0] neg_lo:[0,0,1] neg_hi:[0,0,1]
	v_pk_fma_f32 v[102:103], v[112:113], v[102:103], v[104:105] op_sel:[0,0,1] op_sel_hi:[1,0,0]
	s_delay_alu instid0(VALU_DEP_1) | instskip(NEXT) | instid1(VALU_DEP_1)
	v_mov_b32_e32 v115, v103
	v_pk_add_f32 v[100:101], v[100:101], v[114:115] neg_lo:[0,1] neg_hi:[0,1]
.LBB94_314:
	s_or_b32 exec_lo, exec_lo, s0
	v_lshl_add_u32 v102, v110, 3, v106
	s_barrier_signal -1
	s_barrier_wait -1
	ds_store_b64 v102, v[26:27]
	s_wait_dscnt 0x0
	s_barrier_signal -1
	s_barrier_wait -1
	ds_load_b64 v[104:105], v106 offset:120
	v_mov_b32_e32 v102, 15
	s_cmp_lt_i32 s18, 17
	s_cbranch_scc1 .LBB94_317
; %bb.315:
	v_add3_u32 v103, v107, 0, 0x80
	v_mov_b32_e32 v102, 15
	s_mov_b32 s0, 16
.LBB94_316:                             ; =>This Inner Loop Header: Depth=1
	ds_load_b64 v[112:113], v103
	s_wait_dscnt 0x1
	v_cmp_gt_f32_e32 vcc_lo, 0, v104
	v_cndmask_b32_e64 v114, v104, -v104, vcc_lo
	v_cmp_gt_f32_e32 vcc_lo, 0, v105
	v_cndmask_b32_e64 v116, v105, -v105, vcc_lo
	s_wait_dscnt 0x0
	v_cmp_gt_f32_e32 vcc_lo, 0, v112
	v_cndmask_b32_e64 v115, v112, -v112, vcc_lo
	v_cmp_gt_f32_e32 vcc_lo, 0, v113
	v_cndmask_b32_e64 v117, v113, -v113, vcc_lo
	s_delay_alu instid0(VALU_DEP_1) | instskip(NEXT) | instid1(VALU_DEP_1)
	v_pk_add_f32 v[114:115], v[114:115], v[116:117]
	v_cmp_lt_f32_e32 vcc_lo, v114, v115
	v_dual_add_nc_u32 v103, 8, v103 :: v_dual_cndmask_b32 v105, v105, v113, vcc_lo
	v_cndmask_b32_e32 v104, v104, v112, vcc_lo
	v_cndmask_b32_e64 v102, v102, s0, vcc_lo
	s_add_co_i32 s0, s0, 1
	s_delay_alu instid0(SALU_CYCLE_1)
	s_cmp_lg_u32 s18, s0
	s_cbranch_scc1 .LBB94_316
.LBB94_317:
	s_wait_dscnt 0x0
	v_cmp_eq_f32_e32 vcc_lo, 0, v104
	v_cmp_eq_f32_e64 s0, 0, v105
	s_and_b32 s0, vcc_lo, s0
	s_delay_alu instid0(SALU_CYCLE_1) | instskip(NEXT) | instid1(SALU_CYCLE_1)
	s_and_saveexec_b32 s1, s0
	s_xor_b32 s0, exec_lo, s1
; %bb.318:
	v_cmp_ne_u32_e32 vcc_lo, 0, v108
	v_cndmask_b32_e32 v108, 16, v108, vcc_lo
; %bb.319:
	s_and_not1_saveexec_b32 s0, s0
	s_cbranch_execz .LBB94_325
; %bb.320:
	v_cmp_ngt_f32_e64 s1, |v104|, |v105|
	s_and_saveexec_b32 s12, s1
	s_delay_alu instid0(SALU_CYCLE_1)
	s_xor_b32 s1, exec_lo, s12
	s_cbranch_execz .LBB94_322
; %bb.321:
	v_div_scale_f32 v103, null, v105, v105, v104
	v_div_scale_f32 v113, vcc_lo, v104, v105, v104
	s_delay_alu instid0(VALU_DEP_2) | instskip(SKIP_1) | instid1(TRANS32_DEP_1)
	v_rcp_f32_e32 v111, v103
	v_nop
	v_fma_f32 v112, -v103, v111, 1.0
	s_delay_alu instid0(VALU_DEP_1) | instskip(NEXT) | instid1(VALU_DEP_1)
	v_fmac_f32_e32 v111, v112, v111
	v_mul_f32_e32 v112, v113, v111
	s_delay_alu instid0(VALU_DEP_1) | instskip(NEXT) | instid1(VALU_DEP_1)
	v_fma_f32 v114, -v103, v112, v113
	v_fmac_f32_e32 v112, v114, v111
	s_delay_alu instid0(VALU_DEP_1) | instskip(NEXT) | instid1(VALU_DEP_1)
	v_fma_f32 v103, -v103, v112, v113
	v_div_fmas_f32 v103, v103, v111, v112
	s_delay_alu instid0(VALU_DEP_1) | instskip(NEXT) | instid1(VALU_DEP_1)
	v_div_fixup_f32 v103, v103, v105, v104
	v_fmac_f32_e32 v105, v104, v103
	s_delay_alu instid0(VALU_DEP_1) | instskip(SKIP_1) | instid1(VALU_DEP_2)
	v_div_scale_f32 v104, null, v105, v105, 1.0
	v_div_scale_f32 v113, vcc_lo, 1.0, v105, 1.0
	v_rcp_f32_e32 v111, v104
	v_nop
	s_delay_alu instid0(TRANS32_DEP_1) | instskip(NEXT) | instid1(VALU_DEP_1)
	v_fma_f32 v112, -v104, v111, 1.0
	v_fmac_f32_e32 v111, v112, v111
	s_delay_alu instid0(VALU_DEP_1) | instskip(NEXT) | instid1(VALU_DEP_1)
	v_mul_f32_e32 v112, v113, v111
	v_fma_f32 v114, -v104, v112, v113
	s_delay_alu instid0(VALU_DEP_1) | instskip(NEXT) | instid1(VALU_DEP_1)
	v_fmac_f32_e32 v112, v114, v111
	v_fma_f32 v104, -v104, v112, v113
	s_delay_alu instid0(VALU_DEP_1) | instskip(NEXT) | instid1(VALU_DEP_1)
	v_div_fmas_f32 v104, v104, v111, v112
	v_div_fixup_f32 v105, v104, v105, 1.0
	s_delay_alu instid0(VALU_DEP_1)
	v_mul_f32_e32 v104, v103, v105
	v_xor_b32_e32 v105, 0x80000000, v105
.LBB94_322:
	s_and_not1_saveexec_b32 s1, s1
	s_cbranch_execz .LBB94_324
; %bb.323:
	s_delay_alu instid0(VALU_DEP_1) | instskip(SKIP_1) | instid1(VALU_DEP_2)
	v_div_scale_f32 v103, null, v104, v104, v105
	v_div_scale_f32 v113, vcc_lo, v105, v104, v105
	v_rcp_f32_e32 v111, v103
	v_nop
	s_delay_alu instid0(TRANS32_DEP_1) | instskip(NEXT) | instid1(VALU_DEP_1)
	v_fma_f32 v112, -v103, v111, 1.0
	v_fmac_f32_e32 v111, v112, v111
	s_delay_alu instid0(VALU_DEP_1) | instskip(NEXT) | instid1(VALU_DEP_1)
	v_mul_f32_e32 v112, v113, v111
	v_fma_f32 v114, -v103, v112, v113
	s_delay_alu instid0(VALU_DEP_1) | instskip(NEXT) | instid1(VALU_DEP_1)
	v_fmac_f32_e32 v112, v114, v111
	v_fma_f32 v103, -v103, v112, v113
	s_delay_alu instid0(VALU_DEP_1) | instskip(NEXT) | instid1(VALU_DEP_1)
	v_div_fmas_f32 v103, v103, v111, v112
	v_div_fixup_f32 v103, v103, v104, v105
	s_delay_alu instid0(VALU_DEP_1) | instskip(NEXT) | instid1(VALU_DEP_1)
	v_fmac_f32_e32 v104, v105, v103
	v_div_scale_f32 v105, null, v104, v104, 1.0
	s_delay_alu instid0(VALU_DEP_1) | instskip(SKIP_1) | instid1(TRANS32_DEP_1)
	v_rcp_f32_e32 v111, v105
	v_nop
	v_fma_f32 v112, -v105, v111, 1.0
	s_delay_alu instid0(VALU_DEP_1) | instskip(SKIP_1) | instid1(VALU_DEP_1)
	v_fmac_f32_e32 v111, v112, v111
	v_div_scale_f32 v112, vcc_lo, 1.0, v104, 1.0
	v_mul_f32_e32 v113, v112, v111
	s_delay_alu instid0(VALU_DEP_1) | instskip(NEXT) | instid1(VALU_DEP_1)
	v_fma_f32 v114, -v105, v113, v112
	v_fmac_f32_e32 v113, v114, v111
	s_delay_alu instid0(VALU_DEP_1) | instskip(NEXT) | instid1(VALU_DEP_1)
	v_fma_f32 v105, -v105, v113, v112
	v_div_fmas_f32 v105, v105, v111, v113
	s_delay_alu instid0(VALU_DEP_1) | instskip(NEXT) | instid1(VALU_DEP_1)
	v_div_fixup_f32 v104, v105, v104, 1.0
	v_mul_f32_e64 v105, v103, -v104
.LBB94_324:
	s_or_b32 exec_lo, exec_lo, s1
.LBB94_325:
	s_delay_alu instid0(SALU_CYCLE_1) | instskip(NEXT) | instid1(SALU_CYCLE_1)
	s_or_b32 exec_lo, exec_lo, s0
	s_mov_b32 s0, exec_lo
	v_cmpx_ne_u32_e64 v110, v102
	s_xor_b32 s0, exec_lo, s0
	s_cbranch_execz .LBB94_331
; %bb.326:
	s_mov_b32 s1, exec_lo
	v_cmpx_eq_u32_e32 15, v110
	s_cbranch_execz .LBB94_330
; %bb.327:
	v_cmp_ne_u32_e32 vcc_lo, 15, v102
	s_xor_b32 s12, s16, -1
	s_delay_alu instid0(SALU_CYCLE_1) | instskip(NEXT) | instid1(SALU_CYCLE_1)
	s_and_b32 s13, s12, vcc_lo
	s_and_saveexec_b32 s12, s13
	s_cbranch_execz .LBB94_329
; %bb.328:
	v_ashrrev_i32_e32 v103, 31, v102
	s_delay_alu instid0(VALU_DEP_1)
	v_lshl_add_u64 v[110:111], v[102:103], 2, v[4:5]
	s_clause 0x1
	global_load_b32 v103, v[110:111], off
	global_load_b32 v109, v[4:5], off offset:60
	s_wait_loadcnt 0x1
	global_store_b32 v[4:5], v103, off offset:60
	s_wait_loadcnt 0x0
	global_store_b32 v[110:111], v109, off
.LBB94_329:
	s_wait_xcnt 0x0
	s_or_b32 exec_lo, exec_lo, s12
	v_dual_mov_b32 v110, v102 :: v_dual_mov_b32 v109, v102
.LBB94_330:
	s_or_b32 exec_lo, exec_lo, s1
.LBB94_331:
	s_and_not1_saveexec_b32 s0, s0
	s_cbranch_execz .LBB94_333
; %bb.332:
	v_dual_mov_b32 v102, v78 :: v_dual_mov_b32 v103, v79
	v_dual_mov_b32 v110, v74 :: v_dual_mov_b32 v111, v75
	ds_store_2addr_b64 v106, v[102:103], v[110:111] offset0:16 offset1:17
	v_dual_mov_b32 v102, v76 :: v_dual_mov_b32 v103, v77
	v_dual_mov_b32 v110, v24 :: v_dual_mov_b32 v111, v25
	ds_store_2addr_b64 v106, v[102:103], v[110:111] offset0:18 offset1:19
	;; [unrolled: 3-line block ×15, first 2 shown]
	v_dual_mov_b32 v102, v14 :: v_dual_mov_b32 v103, v15
	v_mov_b32_e32 v110, 15
	ds_store_2addr_b64 v106, v[102:103], v[100:101] offset0:46 offset1:47
.LBB94_333:
	s_or_b32 exec_lo, exec_lo, s0
	s_delay_alu instid0(SALU_CYCLE_1)
	s_mov_b32 s0, exec_lo
	s_wait_storecnt_dscnt 0x0
	s_barrier_signal -1
	s_barrier_wait -1
	v_cmpx_lt_i32_e32 15, v110
	s_cbranch_execz .LBB94_335
; %bb.334:
	v_pk_mul_f32 v[112:113], v[104:105], v[26:27] op_sel:[1,1] op_sel_hi:[0,1]
	s_delay_alu instid0(VALU_DEP_1)
	v_pk_fma_f32 v[102:103], v[104:105], v[26:27], v[112:113] op_sel_hi:[1,0,1] neg_lo:[0,0,1] neg_hi:[0,0,1]
	v_pk_fma_f32 v[104:105], v[104:105], v[26:27], v[112:113] op_sel_hi:[1,0,1]
	ds_load_2addr_b64 v[112:115], v106 offset0:16 offset1:17
	v_dual_mov_b32 v26, v102 :: v_dual_mov_b32 v27, v105
	s_wait_dscnt 0x0
	v_pk_mul_f32 v[116:117], v[112:113], v[104:105] op_sel:[0,1]
	s_delay_alu instid0(VALU_DEP_1) | instskip(SKIP_1) | instid1(VALU_DEP_1)
	v_pk_fma_f32 v[118:119], v[112:113], v[102:103], v[116:117] op_sel:[0,0,1] op_sel_hi:[1,1,0] neg_lo:[0,0,1] neg_hi:[0,0,1]
	v_pk_fma_f32 v[112:113], v[112:113], v[102:103], v[116:117] op_sel:[0,0,1] op_sel_hi:[1,0,0]
	v_mov_b32_e32 v119, v113
	v_pk_mul_f32 v[112:113], v[114:115], v[104:105] op_sel:[0,1]
	s_delay_alu instid0(VALU_DEP_1) | instskip(SKIP_1) | instid1(VALU_DEP_1)
	v_pk_fma_f32 v[116:117], v[114:115], v[102:103], v[112:113] op_sel:[0,0,1] op_sel_hi:[1,1,0] neg_lo:[0,0,1] neg_hi:[0,0,1]
	v_pk_fma_f32 v[112:113], v[114:115], v[102:103], v[112:113] op_sel:[0,0,1] op_sel_hi:[1,0,0]
	v_mov_b32_e32 v117, v113
	ds_load_2addr_b64 v[112:115], v106 offset0:18 offset1:19
	v_pk_add_f32 v[78:79], v[78:79], v[118:119] neg_lo:[0,1] neg_hi:[0,1]
	v_pk_add_f32 v[74:75], v[74:75], v[116:117] neg_lo:[0,1] neg_hi:[0,1]
	s_wait_dscnt 0x0
	v_pk_mul_f32 v[116:117], v[112:113], v[104:105] op_sel:[0,1]
	s_delay_alu instid0(VALU_DEP_1) | instskip(SKIP_2) | instid1(VALU_DEP_2)
	v_pk_fma_f32 v[118:119], v[112:113], v[102:103], v[116:117] op_sel:[0,0,1] op_sel_hi:[1,1,0] neg_lo:[0,0,1] neg_hi:[0,0,1]
	v_pk_fma_f32 v[112:113], v[112:113], v[102:103], v[116:117] op_sel:[0,0,1] op_sel_hi:[1,0,0]
	v_dual_mul_f32 v116, v115, v105 :: v_dual_mov_b32 v112, v115
	v_dual_mov_b32 v119, v113 :: v_dual_mov_b32 v113, v114
	s_delay_alu instid0(VALU_DEP_2) | instskip(SKIP_1) | instid1(VALU_DEP_3)
	v_pk_fma_f32 v[116:117], v[114:115], v[26:27], v[116:117] op_sel_hi:[1,1,0] neg_lo:[0,0,1] neg_hi:[0,0,1]
	v_mul_f32_e32 v114, v115, v102
	v_pk_add_f32 v[76:77], v[76:77], v[118:119] neg_lo:[0,1] neg_hi:[0,1]
	s_delay_alu instid0(VALU_DEP_2) | instskip(NEXT) | instid1(VALU_DEP_1)
	v_pk_fma_f32 v[112:113], v[112:113], v[26:27], v[114:115] op_sel_hi:[1,1,0]
	v_mov_b32_e32 v117, v113
	ds_load_2addr_b64 v[112:115], v106 offset0:20 offset1:21
	v_pk_add_f32 v[24:25], v[24:25], v[116:117] neg_lo:[0,1] neg_hi:[0,1]
	s_wait_dscnt 0x0
	v_pk_mul_f32 v[116:117], v[112:113], v[104:105] op_sel:[0,1]
	s_delay_alu instid0(VALU_DEP_1) | instskip(SKIP_1) | instid1(VALU_DEP_1)
	v_pk_fma_f32 v[118:119], v[112:113], v[102:103], v[116:117] op_sel:[0,0,1] op_sel_hi:[1,1,0] neg_lo:[0,0,1] neg_hi:[0,0,1]
	v_pk_fma_f32 v[112:113], v[112:113], v[102:103], v[116:117] op_sel:[0,0,1] op_sel_hi:[1,0,0]
	v_mov_b32_e32 v119, v113
	v_pk_mul_f32 v[112:113], v[114:115], v[104:105] op_sel:[0,1]
	s_delay_alu instid0(VALU_DEP_1) | instskip(SKIP_1) | instid1(VALU_DEP_1)
	v_pk_fma_f32 v[116:117], v[114:115], v[102:103], v[112:113] op_sel:[0,0,1] op_sel_hi:[1,1,0] neg_lo:[0,0,1] neg_hi:[0,0,1]
	v_pk_fma_f32 v[112:113], v[114:115], v[102:103], v[112:113] op_sel:[0,0,1] op_sel_hi:[1,0,0]
	v_mov_b32_e32 v117, v113
	ds_load_2addr_b64 v[112:115], v106 offset0:22 offset1:23
	v_pk_add_f32 v[72:73], v[72:73], v[118:119] neg_lo:[0,1] neg_hi:[0,1]
	v_pk_add_f32 v[68:69], v[68:69], v[116:117] neg_lo:[0,1] neg_hi:[0,1]
	s_wait_dscnt 0x0
	v_pk_mul_f32 v[116:117], v[112:113], v[104:105] op_sel:[0,1]
	s_delay_alu instid0(VALU_DEP_1) | instskip(SKIP_1) | instid1(VALU_DEP_1)
	v_pk_fma_f32 v[118:119], v[112:113], v[102:103], v[116:117] op_sel:[0,0,1] op_sel_hi:[1,1,0] neg_lo:[0,0,1] neg_hi:[0,0,1]
	v_pk_fma_f32 v[112:113], v[112:113], v[102:103], v[116:117] op_sel:[0,0,1] op_sel_hi:[1,0,0]
	v_mov_b32_e32 v119, v113
	v_pk_mul_f32 v[112:113], v[114:115], v[104:105] op_sel:[0,1]
	s_delay_alu instid0(VALU_DEP_1) | instskip(SKIP_1) | instid1(VALU_DEP_1)
	v_pk_fma_f32 v[116:117], v[114:115], v[102:103], v[112:113] op_sel:[0,0,1] op_sel_hi:[1,1,0] neg_lo:[0,0,1] neg_hi:[0,0,1]
	v_pk_fma_f32 v[112:113], v[114:115], v[102:103], v[112:113] op_sel:[0,0,1] op_sel_hi:[1,0,0]
	v_mov_b32_e32 v117, v113
	ds_load_2addr_b64 v[112:115], v106 offset0:24 offset1:25
	v_pk_add_f32 v[70:71], v[70:71], v[118:119] neg_lo:[0,1] neg_hi:[0,1]
	v_pk_add_f32 v[22:23], v[22:23], v[116:117] neg_lo:[0,1] neg_hi:[0,1]
	s_wait_dscnt 0x0
	v_dual_mul_f32 v116, v113, v105 :: v_dual_mul_f32 v118, v113, v102
	s_delay_alu instid0(VALU_DEP_1) | instskip(NEXT) | instid1(VALU_DEP_2)
	v_pk_fma_f32 v[116:117], v[112:113], v[26:27], v[116:117] op_sel_hi:[1,1,0] neg_lo:[0,0,1] neg_hi:[0,0,1]
	v_pk_fma_f32 v[112:113], v[112:113], v[26:27], v[118:119] op_sel:[1,0,0] op_sel_hi:[0,1,0]
	s_delay_alu instid0(VALU_DEP_1) | instskip(SKIP_1) | instid1(VALU_DEP_2)
	v_mov_b32_e32 v117, v113
	v_pk_mul_f32 v[112:113], v[114:115], v[104:105] op_sel:[0,1]
	v_pk_add_f32 v[66:67], v[66:67], v[116:117] neg_lo:[0,1] neg_hi:[0,1]
	s_delay_alu instid0(VALU_DEP_2) | instskip(SKIP_1) | instid1(VALU_DEP_1)
	v_pk_fma_f32 v[116:117], v[114:115], v[102:103], v[112:113] op_sel:[0,0,1] op_sel_hi:[1,1,0] neg_lo:[0,0,1] neg_hi:[0,0,1]
	v_pk_fma_f32 v[112:113], v[114:115], v[102:103], v[112:113] op_sel:[0,0,1] op_sel_hi:[1,0,0]
	v_mov_b32_e32 v117, v113
	ds_load_2addr_b64 v[112:115], v106 offset0:26 offset1:27
	v_pk_add_f32 v[62:63], v[62:63], v[116:117] neg_lo:[0,1] neg_hi:[0,1]
	s_wait_dscnt 0x0
	v_pk_mul_f32 v[116:117], v[112:113], v[104:105] op_sel:[0,1]
	s_delay_alu instid0(VALU_DEP_1) | instskip(SKIP_1) | instid1(VALU_DEP_1)
	v_pk_fma_f32 v[118:119], v[112:113], v[102:103], v[116:117] op_sel:[0,0,1] op_sel_hi:[1,1,0] neg_lo:[0,0,1] neg_hi:[0,0,1]
	v_pk_fma_f32 v[112:113], v[112:113], v[102:103], v[116:117] op_sel:[0,0,1] op_sel_hi:[1,0,0]
	v_mov_b32_e32 v119, v113
	v_pk_mul_f32 v[112:113], v[114:115], v[104:105] op_sel:[0,1]
	s_delay_alu instid0(VALU_DEP_2) | instskip(NEXT) | instid1(VALU_DEP_2)
	v_pk_add_f32 v[64:65], v[64:65], v[118:119] neg_lo:[0,1] neg_hi:[0,1]
	v_pk_fma_f32 v[116:117], v[114:115], v[102:103], v[112:113] op_sel:[0,0,1] op_sel_hi:[1,1,0] neg_lo:[0,0,1] neg_hi:[0,0,1]
	v_pk_fma_f32 v[112:113], v[114:115], v[102:103], v[112:113] op_sel:[0,0,1] op_sel_hi:[1,0,0]
	s_delay_alu instid0(VALU_DEP_1) | instskip(SKIP_4) | instid1(VALU_DEP_1)
	v_mov_b32_e32 v117, v113
	ds_load_2addr_b64 v[112:115], v106 offset0:28 offset1:29
	v_pk_add_f32 v[20:21], v[20:21], v[116:117] neg_lo:[0,1] neg_hi:[0,1]
	s_wait_dscnt 0x0
	v_pk_mul_f32 v[116:117], v[112:113], v[104:105] op_sel:[0,1]
	v_pk_fma_f32 v[118:119], v[112:113], v[102:103], v[116:117] op_sel:[0,0,1] op_sel_hi:[1,1,0] neg_lo:[0,0,1] neg_hi:[0,0,1]
	v_pk_fma_f32 v[112:113], v[112:113], v[102:103], v[116:117] op_sel:[0,0,1] op_sel_hi:[1,0,0]
	v_dual_mul_f32 v116, v115, v105 :: v_dual_mov_b32 v112, v115
	s_delay_alu instid0(VALU_DEP_2) | instskip(NEXT) | instid1(VALU_DEP_2)
	v_dual_mov_b32 v119, v113 :: v_dual_mov_b32 v113, v114
	v_pk_fma_f32 v[116:117], v[114:115], v[26:27], v[116:117] op_sel_hi:[1,1,0] neg_lo:[0,0,1] neg_hi:[0,0,1]
	v_mul_f32_e32 v114, v115, v102
	s_delay_alu instid0(VALU_DEP_3) | instskip(NEXT) | instid1(VALU_DEP_2)
	v_pk_add_f32 v[54:55], v[54:55], v[118:119] neg_lo:[0,1] neg_hi:[0,1]
	v_pk_fma_f32 v[112:113], v[112:113], v[26:27], v[114:115] op_sel_hi:[1,1,0]
	s_delay_alu instid0(VALU_DEP_1) | instskip(SKIP_4) | instid1(VALU_DEP_1)
	v_mov_b32_e32 v117, v113
	ds_load_2addr_b64 v[112:115], v106 offset0:30 offset1:31
	v_pk_add_f32 v[50:51], v[50:51], v[116:117] neg_lo:[0,1] neg_hi:[0,1]
	s_wait_dscnt 0x0
	v_pk_mul_f32 v[116:117], v[112:113], v[104:105] op_sel:[0,1]
	v_pk_fma_f32 v[118:119], v[112:113], v[102:103], v[116:117] op_sel:[0,0,1] op_sel_hi:[1,1,0] neg_lo:[0,0,1] neg_hi:[0,0,1]
	v_pk_fma_f32 v[112:113], v[112:113], v[102:103], v[116:117] op_sel:[0,0,1] op_sel_hi:[1,0,0]
	s_delay_alu instid0(VALU_DEP_1) | instskip(SKIP_1) | instid1(VALU_DEP_1)
	v_mov_b32_e32 v119, v113
	v_pk_mul_f32 v[112:113], v[114:115], v[104:105] op_sel:[0,1]
	v_pk_fma_f32 v[116:117], v[114:115], v[102:103], v[112:113] op_sel:[0,0,1] op_sel_hi:[1,1,0] neg_lo:[0,0,1] neg_hi:[0,0,1]
	v_pk_fma_f32 v[112:113], v[114:115], v[102:103], v[112:113] op_sel:[0,0,1] op_sel_hi:[1,0,0]
	s_delay_alu instid0(VALU_DEP_1)
	v_mov_b32_e32 v117, v113
	ds_load_2addr_b64 v[112:115], v106 offset0:32 offset1:33
	v_pk_add_f32 v[52:53], v[52:53], v[118:119] neg_lo:[0,1] neg_hi:[0,1]
	v_pk_add_f32 v[12:13], v[12:13], v[116:117] neg_lo:[0,1] neg_hi:[0,1]
	s_wait_dscnt 0x0
	v_pk_mul_f32 v[116:117], v[112:113], v[104:105] op_sel:[0,1]
	s_delay_alu instid0(VALU_DEP_1) | instskip(SKIP_1) | instid1(VALU_DEP_1)
	v_pk_fma_f32 v[118:119], v[112:113], v[102:103], v[116:117] op_sel:[0,0,1] op_sel_hi:[1,1,0] neg_lo:[0,0,1] neg_hi:[0,0,1]
	v_pk_fma_f32 v[112:113], v[112:113], v[102:103], v[116:117] op_sel:[0,0,1] op_sel_hi:[1,0,0]
	v_mov_b32_e32 v119, v113
	v_pk_mul_f32 v[112:113], v[114:115], v[104:105] op_sel:[0,1]
	s_delay_alu instid0(VALU_DEP_1) | instskip(SKIP_1) | instid1(VALU_DEP_1)
	v_pk_fma_f32 v[116:117], v[114:115], v[102:103], v[112:113] op_sel:[0,0,1] op_sel_hi:[1,1,0] neg_lo:[0,0,1] neg_hi:[0,0,1]
	v_pk_fma_f32 v[112:113], v[114:115], v[102:103], v[112:113] op_sel:[0,0,1] op_sel_hi:[1,0,0]
	v_mov_b32_e32 v117, v113
	ds_load_2addr_b64 v[112:115], v106 offset0:34 offset1:35
	v_pk_add_f32 v[48:49], v[48:49], v[118:119] neg_lo:[0,1] neg_hi:[0,1]
	v_pk_add_f32 v[44:45], v[44:45], v[116:117] neg_lo:[0,1] neg_hi:[0,1]
	s_wait_dscnt 0x0
	v_dual_mul_f32 v116, v113, v105 :: v_dual_mul_f32 v118, v113, v102
	s_delay_alu instid0(VALU_DEP_1) | instskip(NEXT) | instid1(VALU_DEP_2)
	v_pk_fma_f32 v[116:117], v[112:113], v[26:27], v[116:117] op_sel_hi:[1,1,0] neg_lo:[0,0,1] neg_hi:[0,0,1]
	v_pk_fma_f32 v[112:113], v[112:113], v[26:27], v[118:119] op_sel:[1,0,0] op_sel_hi:[0,1,0]
	s_delay_alu instid0(VALU_DEP_1) | instskip(SKIP_1) | instid1(VALU_DEP_2)
	v_mov_b32_e32 v117, v113
	v_pk_mul_f32 v[112:113], v[114:115], v[104:105] op_sel:[0,1]
	v_pk_add_f32 v[46:47], v[46:47], v[116:117] neg_lo:[0,1] neg_hi:[0,1]
	s_delay_alu instid0(VALU_DEP_2) | instskip(SKIP_1) | instid1(VALU_DEP_1)
	v_pk_fma_f32 v[116:117], v[114:115], v[102:103], v[112:113] op_sel:[0,0,1] op_sel_hi:[1,1,0] neg_lo:[0,0,1] neg_hi:[0,0,1]
	v_pk_fma_f32 v[112:113], v[114:115], v[102:103], v[112:113] op_sel:[0,0,1] op_sel_hi:[1,0,0]
	v_mov_b32_e32 v117, v113
	ds_load_2addr_b64 v[112:115], v106 offset0:36 offset1:37
	v_pk_add_f32 v[10:11], v[10:11], v[116:117] neg_lo:[0,1] neg_hi:[0,1]
	s_wait_dscnt 0x0
	v_pk_mul_f32 v[116:117], v[112:113], v[104:105] op_sel:[0,1]
	s_delay_alu instid0(VALU_DEP_1) | instskip(SKIP_1) | instid1(VALU_DEP_1)
	v_pk_fma_f32 v[118:119], v[112:113], v[102:103], v[116:117] op_sel:[0,0,1] op_sel_hi:[1,1,0] neg_lo:[0,0,1] neg_hi:[0,0,1]
	v_pk_fma_f32 v[112:113], v[112:113], v[102:103], v[116:117] op_sel:[0,0,1] op_sel_hi:[1,0,0]
	v_mov_b32_e32 v119, v113
	v_pk_mul_f32 v[112:113], v[114:115], v[104:105] op_sel:[0,1]
	s_delay_alu instid0(VALU_DEP_2) | instskip(NEXT) | instid1(VALU_DEP_2)
	v_pk_add_f32 v[42:43], v[42:43], v[118:119] neg_lo:[0,1] neg_hi:[0,1]
	v_pk_fma_f32 v[116:117], v[114:115], v[102:103], v[112:113] op_sel:[0,0,1] op_sel_hi:[1,1,0] neg_lo:[0,0,1] neg_hi:[0,0,1]
	v_pk_fma_f32 v[112:113], v[114:115], v[102:103], v[112:113] op_sel:[0,0,1] op_sel_hi:[1,0,0]
	s_delay_alu instid0(VALU_DEP_1) | instskip(SKIP_4) | instid1(VALU_DEP_1)
	v_mov_b32_e32 v117, v113
	ds_load_2addr_b64 v[112:115], v106 offset0:38 offset1:39
	v_pk_add_f32 v[38:39], v[38:39], v[116:117] neg_lo:[0,1] neg_hi:[0,1]
	s_wait_dscnt 0x0
	v_pk_mul_f32 v[116:117], v[112:113], v[104:105] op_sel:[0,1]
	v_pk_fma_f32 v[118:119], v[112:113], v[102:103], v[116:117] op_sel:[0,0,1] op_sel_hi:[1,1,0] neg_lo:[0,0,1] neg_hi:[0,0,1]
	v_pk_fma_f32 v[112:113], v[112:113], v[102:103], v[116:117] op_sel:[0,0,1] op_sel_hi:[1,0,0]
	v_dual_mul_f32 v116, v115, v105 :: v_dual_mov_b32 v112, v115
	s_delay_alu instid0(VALU_DEP_2) | instskip(NEXT) | instid1(VALU_DEP_2)
	v_dual_mov_b32 v119, v113 :: v_dual_mov_b32 v113, v114
	v_pk_fma_f32 v[116:117], v[114:115], v[26:27], v[116:117] op_sel_hi:[1,1,0] neg_lo:[0,0,1] neg_hi:[0,0,1]
	v_mul_f32_e32 v114, v115, v102
	s_delay_alu instid0(VALU_DEP_3) | instskip(NEXT) | instid1(VALU_DEP_2)
	v_pk_add_f32 v[40:41], v[40:41], v[118:119] neg_lo:[0,1] neg_hi:[0,1]
	v_pk_fma_f32 v[112:113], v[112:113], v[26:27], v[114:115] op_sel_hi:[1,1,0]
	s_delay_alu instid0(VALU_DEP_1) | instskip(SKIP_4) | instid1(VALU_DEP_1)
	v_mov_b32_e32 v117, v113
	ds_load_2addr_b64 v[112:115], v106 offset0:40 offset1:41
	v_pk_add_f32 v[6:7], v[6:7], v[116:117] neg_lo:[0,1] neg_hi:[0,1]
	s_wait_dscnt 0x0
	v_pk_mul_f32 v[116:117], v[112:113], v[104:105] op_sel:[0,1]
	v_pk_fma_f32 v[118:119], v[112:113], v[102:103], v[116:117] op_sel:[0,0,1] op_sel_hi:[1,1,0] neg_lo:[0,0,1] neg_hi:[0,0,1]
	v_pk_fma_f32 v[112:113], v[112:113], v[102:103], v[116:117] op_sel:[0,0,1] op_sel_hi:[1,0,0]
	s_delay_alu instid0(VALU_DEP_1) | instskip(SKIP_1) | instid1(VALU_DEP_1)
	v_mov_b32_e32 v119, v113
	v_pk_mul_f32 v[112:113], v[114:115], v[104:105] op_sel:[0,1]
	v_pk_fma_f32 v[116:117], v[114:115], v[102:103], v[112:113] op_sel:[0,0,1] op_sel_hi:[1,1,0] neg_lo:[0,0,1] neg_hi:[0,0,1]
	v_pk_fma_f32 v[112:113], v[114:115], v[102:103], v[112:113] op_sel:[0,0,1] op_sel_hi:[1,0,0]
	s_delay_alu instid0(VALU_DEP_1)
	v_mov_b32_e32 v117, v113
	ds_load_2addr_b64 v[112:115], v106 offset0:42 offset1:43
	v_pk_add_f32 v[36:37], v[36:37], v[118:119] neg_lo:[0,1] neg_hi:[0,1]
	v_pk_add_f32 v[30:31], v[30:31], v[116:117] neg_lo:[0,1] neg_hi:[0,1]
	s_wait_dscnt 0x0
	v_pk_mul_f32 v[116:117], v[112:113], v[104:105] op_sel:[0,1]
	s_delay_alu instid0(VALU_DEP_1) | instskip(SKIP_1) | instid1(VALU_DEP_1)
	v_pk_fma_f32 v[118:119], v[112:113], v[102:103], v[116:117] op_sel:[0,0,1] op_sel_hi:[1,1,0] neg_lo:[0,0,1] neg_hi:[0,0,1]
	v_pk_fma_f32 v[112:113], v[112:113], v[102:103], v[116:117] op_sel:[0,0,1] op_sel_hi:[1,0,0]
	v_mov_b32_e32 v119, v113
	v_pk_mul_f32 v[112:113], v[114:115], v[104:105] op_sel:[0,1]
	s_delay_alu instid0(VALU_DEP_1) | instskip(SKIP_1) | instid1(VALU_DEP_1)
	v_pk_fma_f32 v[116:117], v[114:115], v[102:103], v[112:113] op_sel:[0,0,1] op_sel_hi:[1,1,0] neg_lo:[0,0,1] neg_hi:[0,0,1]
	v_pk_fma_f32 v[112:113], v[114:115], v[102:103], v[112:113] op_sel:[0,0,1] op_sel_hi:[1,0,0]
	v_mov_b32_e32 v117, v113
	ds_load_2addr_b64 v[112:115], v106 offset0:44 offset1:45
	v_pk_add_f32 v[34:35], v[34:35], v[118:119] neg_lo:[0,1] neg_hi:[0,1]
	v_pk_add_f32 v[8:9], v[8:9], v[116:117] neg_lo:[0,1] neg_hi:[0,1]
	s_wait_dscnt 0x0
	v_dual_mul_f32 v116, v113, v105 :: v_dual_mul_f32 v118, v113, v102
	s_delay_alu instid0(VALU_DEP_1) | instskip(NEXT) | instid1(VALU_DEP_2)
	v_pk_fma_f32 v[116:117], v[112:113], v[26:27], v[116:117] op_sel_hi:[1,1,0] neg_lo:[0,0,1] neg_hi:[0,0,1]
	v_pk_fma_f32 v[112:113], v[112:113], v[26:27], v[118:119] op_sel:[1,0,0] op_sel_hi:[0,1,0]
	s_delay_alu instid0(VALU_DEP_1) | instskip(SKIP_1) | instid1(VALU_DEP_2)
	v_mov_b32_e32 v117, v113
	v_pk_mul_f32 v[112:113], v[114:115], v[104:105] op_sel:[0,1]
	v_pk_add_f32 v[28:29], v[28:29], v[116:117] neg_lo:[0,1] neg_hi:[0,1]
	s_delay_alu instid0(VALU_DEP_2) | instskip(SKIP_1) | instid1(VALU_DEP_1)
	v_pk_fma_f32 v[116:117], v[114:115], v[102:103], v[112:113] op_sel:[0,0,1] op_sel_hi:[1,1,0] neg_lo:[0,0,1] neg_hi:[0,0,1]
	v_pk_fma_f32 v[112:113], v[114:115], v[102:103], v[112:113] op_sel:[0,0,1] op_sel_hi:[1,0,0]
	v_mov_b32_e32 v117, v113
	ds_load_2addr_b64 v[112:115], v106 offset0:46 offset1:47
	v_pk_add_f32 v[18:19], v[18:19], v[116:117] neg_lo:[0,1] neg_hi:[0,1]
	s_wait_dscnt 0x0
	v_pk_mul_f32 v[116:117], v[112:113], v[104:105] op_sel:[0,1]
	v_pk_mul_f32 v[104:105], v[114:115], v[104:105] op_sel:[0,1]
	s_delay_alu instid0(VALU_DEP_2) | instskip(SKIP_1) | instid1(VALU_DEP_1)
	v_pk_fma_f32 v[118:119], v[112:113], v[102:103], v[116:117] op_sel:[0,0,1] op_sel_hi:[1,1,0] neg_lo:[0,0,1] neg_hi:[0,0,1]
	v_pk_fma_f32 v[112:113], v[112:113], v[102:103], v[116:117] op_sel:[0,0,1] op_sel_hi:[1,0,0]
	v_mov_b32_e32 v119, v113
	s_delay_alu instid0(VALU_DEP_4) | instskip(SKIP_1) | instid1(VALU_DEP_3)
	v_pk_fma_f32 v[112:113], v[114:115], v[102:103], v[104:105] op_sel:[0,0,1] op_sel_hi:[1,1,0] neg_lo:[0,0,1] neg_hi:[0,0,1]
	v_pk_fma_f32 v[102:103], v[114:115], v[102:103], v[104:105] op_sel:[0,0,1] op_sel_hi:[1,0,0]
	v_pk_add_f32 v[14:15], v[14:15], v[118:119] neg_lo:[0,1] neg_hi:[0,1]
	s_delay_alu instid0(VALU_DEP_2) | instskip(NEXT) | instid1(VALU_DEP_1)
	v_mov_b32_e32 v113, v103
	v_pk_add_f32 v[100:101], v[100:101], v[112:113] neg_lo:[0,1] neg_hi:[0,1]
.LBB94_335:
	s_or_b32 exec_lo, exec_lo, s0
	v_lshl_add_u32 v102, v110, 3, v106
	s_barrier_signal -1
	s_barrier_wait -1
	ds_store_b64 v102, v[78:79]
	s_wait_dscnt 0x0
	s_barrier_signal -1
	s_barrier_wait -1
	ds_load_b64 v[104:105], v106 offset:128
	v_mov_b32_e32 v102, 16
	s_cmp_lt_i32 s18, 18
	s_cbranch_scc1 .LBB94_338
; %bb.336:
	v_add3_u32 v103, v107, 0, 0x88
	v_mov_b32_e32 v102, 16
	s_mov_b32 s0, 17
.LBB94_337:                             ; =>This Inner Loop Header: Depth=1
	ds_load_b64 v[112:113], v103
	s_wait_dscnt 0x1
	v_cmp_gt_f32_e32 vcc_lo, 0, v104
	v_cndmask_b32_e64 v114, v104, -v104, vcc_lo
	v_cmp_gt_f32_e32 vcc_lo, 0, v105
	v_cndmask_b32_e64 v116, v105, -v105, vcc_lo
	s_wait_dscnt 0x0
	v_cmp_gt_f32_e32 vcc_lo, 0, v112
	v_cndmask_b32_e64 v115, v112, -v112, vcc_lo
	v_cmp_gt_f32_e32 vcc_lo, 0, v113
	v_cndmask_b32_e64 v117, v113, -v113, vcc_lo
	s_delay_alu instid0(VALU_DEP_1) | instskip(NEXT) | instid1(VALU_DEP_1)
	v_pk_add_f32 v[114:115], v[114:115], v[116:117]
	v_cmp_lt_f32_e32 vcc_lo, v114, v115
	v_dual_add_nc_u32 v103, 8, v103 :: v_dual_cndmask_b32 v105, v105, v113, vcc_lo
	v_cndmask_b32_e32 v104, v104, v112, vcc_lo
	v_cndmask_b32_e64 v102, v102, s0, vcc_lo
	s_add_co_i32 s0, s0, 1
	s_delay_alu instid0(SALU_CYCLE_1)
	s_cmp_lg_u32 s18, s0
	s_cbranch_scc1 .LBB94_337
.LBB94_338:
	s_wait_dscnt 0x0
	v_cmp_eq_f32_e32 vcc_lo, 0, v104
	v_cmp_eq_f32_e64 s0, 0, v105
	s_and_b32 s0, vcc_lo, s0
	s_delay_alu instid0(SALU_CYCLE_1) | instskip(NEXT) | instid1(SALU_CYCLE_1)
	s_and_saveexec_b32 s1, s0
	s_xor_b32 s0, exec_lo, s1
; %bb.339:
	v_cmp_ne_u32_e32 vcc_lo, 0, v108
	v_cndmask_b32_e32 v108, 17, v108, vcc_lo
; %bb.340:
	s_and_not1_saveexec_b32 s0, s0
	s_cbranch_execz .LBB94_346
; %bb.341:
	v_cmp_ngt_f32_e64 s1, |v104|, |v105|
	s_and_saveexec_b32 s12, s1
	s_delay_alu instid0(SALU_CYCLE_1)
	s_xor_b32 s1, exec_lo, s12
	s_cbranch_execz .LBB94_343
; %bb.342:
	v_div_scale_f32 v103, null, v105, v105, v104
	v_div_scale_f32 v113, vcc_lo, v104, v105, v104
	s_delay_alu instid0(VALU_DEP_2) | instskip(SKIP_1) | instid1(TRANS32_DEP_1)
	v_rcp_f32_e32 v111, v103
	v_nop
	v_fma_f32 v112, -v103, v111, 1.0
	s_delay_alu instid0(VALU_DEP_1) | instskip(NEXT) | instid1(VALU_DEP_1)
	v_fmac_f32_e32 v111, v112, v111
	v_mul_f32_e32 v112, v113, v111
	s_delay_alu instid0(VALU_DEP_1) | instskip(NEXT) | instid1(VALU_DEP_1)
	v_fma_f32 v114, -v103, v112, v113
	v_fmac_f32_e32 v112, v114, v111
	s_delay_alu instid0(VALU_DEP_1) | instskip(NEXT) | instid1(VALU_DEP_1)
	v_fma_f32 v103, -v103, v112, v113
	v_div_fmas_f32 v103, v103, v111, v112
	s_delay_alu instid0(VALU_DEP_1) | instskip(NEXT) | instid1(VALU_DEP_1)
	v_div_fixup_f32 v103, v103, v105, v104
	v_fmac_f32_e32 v105, v104, v103
	s_delay_alu instid0(VALU_DEP_1) | instskip(SKIP_1) | instid1(VALU_DEP_2)
	v_div_scale_f32 v104, null, v105, v105, 1.0
	v_div_scale_f32 v113, vcc_lo, 1.0, v105, 1.0
	v_rcp_f32_e32 v111, v104
	v_nop
	s_delay_alu instid0(TRANS32_DEP_1) | instskip(NEXT) | instid1(VALU_DEP_1)
	v_fma_f32 v112, -v104, v111, 1.0
	v_fmac_f32_e32 v111, v112, v111
	s_delay_alu instid0(VALU_DEP_1) | instskip(NEXT) | instid1(VALU_DEP_1)
	v_mul_f32_e32 v112, v113, v111
	v_fma_f32 v114, -v104, v112, v113
	s_delay_alu instid0(VALU_DEP_1) | instskip(NEXT) | instid1(VALU_DEP_1)
	v_fmac_f32_e32 v112, v114, v111
	v_fma_f32 v104, -v104, v112, v113
	s_delay_alu instid0(VALU_DEP_1) | instskip(NEXT) | instid1(VALU_DEP_1)
	v_div_fmas_f32 v104, v104, v111, v112
	v_div_fixup_f32 v105, v104, v105, 1.0
	s_delay_alu instid0(VALU_DEP_1)
	v_mul_f32_e32 v104, v103, v105
	v_xor_b32_e32 v105, 0x80000000, v105
.LBB94_343:
	s_and_not1_saveexec_b32 s1, s1
	s_cbranch_execz .LBB94_345
; %bb.344:
	s_delay_alu instid0(VALU_DEP_1) | instskip(SKIP_1) | instid1(VALU_DEP_2)
	v_div_scale_f32 v103, null, v104, v104, v105
	v_div_scale_f32 v113, vcc_lo, v105, v104, v105
	v_rcp_f32_e32 v111, v103
	v_nop
	s_delay_alu instid0(TRANS32_DEP_1) | instskip(NEXT) | instid1(VALU_DEP_1)
	v_fma_f32 v112, -v103, v111, 1.0
	v_fmac_f32_e32 v111, v112, v111
	s_delay_alu instid0(VALU_DEP_1) | instskip(NEXT) | instid1(VALU_DEP_1)
	v_mul_f32_e32 v112, v113, v111
	v_fma_f32 v114, -v103, v112, v113
	s_delay_alu instid0(VALU_DEP_1) | instskip(NEXT) | instid1(VALU_DEP_1)
	v_fmac_f32_e32 v112, v114, v111
	v_fma_f32 v103, -v103, v112, v113
	s_delay_alu instid0(VALU_DEP_1) | instskip(NEXT) | instid1(VALU_DEP_1)
	v_div_fmas_f32 v103, v103, v111, v112
	v_div_fixup_f32 v103, v103, v104, v105
	s_delay_alu instid0(VALU_DEP_1) | instskip(NEXT) | instid1(VALU_DEP_1)
	v_fmac_f32_e32 v104, v105, v103
	v_div_scale_f32 v105, null, v104, v104, 1.0
	s_delay_alu instid0(VALU_DEP_1) | instskip(SKIP_1) | instid1(TRANS32_DEP_1)
	v_rcp_f32_e32 v111, v105
	v_nop
	v_fma_f32 v112, -v105, v111, 1.0
	s_delay_alu instid0(VALU_DEP_1) | instskip(SKIP_1) | instid1(VALU_DEP_1)
	v_fmac_f32_e32 v111, v112, v111
	v_div_scale_f32 v112, vcc_lo, 1.0, v104, 1.0
	v_mul_f32_e32 v113, v112, v111
	s_delay_alu instid0(VALU_DEP_1) | instskip(NEXT) | instid1(VALU_DEP_1)
	v_fma_f32 v114, -v105, v113, v112
	v_fmac_f32_e32 v113, v114, v111
	s_delay_alu instid0(VALU_DEP_1) | instskip(NEXT) | instid1(VALU_DEP_1)
	v_fma_f32 v105, -v105, v113, v112
	v_div_fmas_f32 v105, v105, v111, v113
	s_delay_alu instid0(VALU_DEP_1) | instskip(NEXT) | instid1(VALU_DEP_1)
	v_div_fixup_f32 v104, v105, v104, 1.0
	v_mul_f32_e64 v105, v103, -v104
.LBB94_345:
	s_or_b32 exec_lo, exec_lo, s1
.LBB94_346:
	s_delay_alu instid0(SALU_CYCLE_1) | instskip(NEXT) | instid1(SALU_CYCLE_1)
	s_or_b32 exec_lo, exec_lo, s0
	s_mov_b32 s0, exec_lo
	v_cmpx_ne_u32_e64 v110, v102
	s_xor_b32 s0, exec_lo, s0
	s_cbranch_execz .LBB94_352
; %bb.347:
	s_mov_b32 s1, exec_lo
	v_cmpx_eq_u32_e32 16, v110
	s_cbranch_execz .LBB94_351
; %bb.348:
	v_cmp_ne_u32_e32 vcc_lo, 16, v102
	s_xor_b32 s12, s16, -1
	s_delay_alu instid0(SALU_CYCLE_1) | instskip(NEXT) | instid1(SALU_CYCLE_1)
	s_and_b32 s13, s12, vcc_lo
	s_and_saveexec_b32 s12, s13
	s_cbranch_execz .LBB94_350
; %bb.349:
	v_ashrrev_i32_e32 v103, 31, v102
	s_delay_alu instid0(VALU_DEP_1)
	v_lshl_add_u64 v[110:111], v[102:103], 2, v[4:5]
	s_clause 0x1
	global_load_b32 v103, v[110:111], off
	global_load_b32 v109, v[4:5], off offset:64
	s_wait_loadcnt 0x1
	global_store_b32 v[4:5], v103, off offset:64
	s_wait_loadcnt 0x0
	global_store_b32 v[110:111], v109, off
.LBB94_350:
	s_wait_xcnt 0x0
	s_or_b32 exec_lo, exec_lo, s12
	v_dual_mov_b32 v110, v102 :: v_dual_mov_b32 v109, v102
.LBB94_351:
	s_or_b32 exec_lo, exec_lo, s1
.LBB94_352:
	s_and_not1_saveexec_b32 s0, s0
	s_cbranch_execz .LBB94_354
; %bb.353:
	v_mov_b32_e32 v110, 16
	ds_store_2addr_b64 v106, v[74:75], v[76:77] offset0:17 offset1:18
	ds_store_2addr_b64 v106, v[24:25], v[72:73] offset0:19 offset1:20
	;; [unrolled: 1-line block ×15, first 2 shown]
	ds_store_b64 v106, v[100:101] offset:376
.LBB94_354:
	s_or_b32 exec_lo, exec_lo, s0
	s_delay_alu instid0(SALU_CYCLE_1)
	s_mov_b32 s0, exec_lo
	s_wait_storecnt_dscnt 0x0
	s_barrier_signal -1
	s_barrier_wait -1
	v_cmpx_lt_i32_e32 16, v110
	s_cbranch_execz .LBB94_356
; %bb.355:
	v_pk_mul_f32 v[112:113], v[104:105], v[78:79] op_sel:[1,1] op_sel_hi:[0,1]
	s_delay_alu instid0(VALU_DEP_1)
	v_pk_fma_f32 v[102:103], v[104:105], v[78:79], v[112:113] op_sel_hi:[1,0,1] neg_lo:[0,0,1] neg_hi:[0,0,1]
	v_pk_fma_f32 v[104:105], v[104:105], v[78:79], v[112:113] op_sel_hi:[1,0,1]
	ds_load_2addr_b64 v[112:115], v106 offset0:17 offset1:18
	v_dual_mov_b32 v78, v102 :: v_dual_mov_b32 v79, v105
	s_wait_dscnt 0x0
	v_pk_mul_f32 v[116:117], v[112:113], v[104:105] op_sel:[0,1]
	s_delay_alu instid0(VALU_DEP_1) | instskip(SKIP_1) | instid1(VALU_DEP_1)
	v_pk_fma_f32 v[118:119], v[112:113], v[102:103], v[116:117] op_sel:[0,0,1] op_sel_hi:[1,1,0] neg_lo:[0,0,1] neg_hi:[0,0,1]
	v_pk_fma_f32 v[112:113], v[112:113], v[102:103], v[116:117] op_sel:[0,0,1] op_sel_hi:[1,0,0]
	v_mov_b32_e32 v119, v113
	v_pk_mul_f32 v[112:113], v[114:115], v[104:105] op_sel:[0,1]
	s_delay_alu instid0(VALU_DEP_1) | instskip(SKIP_1) | instid1(VALU_DEP_1)
	v_pk_fma_f32 v[116:117], v[114:115], v[102:103], v[112:113] op_sel:[0,0,1] op_sel_hi:[1,1,0] neg_lo:[0,0,1] neg_hi:[0,0,1]
	v_pk_fma_f32 v[112:113], v[114:115], v[102:103], v[112:113] op_sel:[0,0,1] op_sel_hi:[1,0,0]
	v_mov_b32_e32 v117, v113
	ds_load_2addr_b64 v[112:115], v106 offset0:19 offset1:20
	v_pk_add_f32 v[74:75], v[74:75], v[118:119] neg_lo:[0,1] neg_hi:[0,1]
	v_pk_add_f32 v[76:77], v[76:77], v[116:117] neg_lo:[0,1] neg_hi:[0,1]
	s_wait_dscnt 0x0
	v_pk_mul_f32 v[116:117], v[112:113], v[104:105] op_sel:[0,1]
	s_delay_alu instid0(VALU_DEP_1) | instskip(SKIP_2) | instid1(VALU_DEP_2)
	v_pk_fma_f32 v[118:119], v[112:113], v[102:103], v[116:117] op_sel:[0,0,1] op_sel_hi:[1,1,0] neg_lo:[0,0,1] neg_hi:[0,0,1]
	v_pk_fma_f32 v[112:113], v[112:113], v[102:103], v[116:117] op_sel:[0,0,1] op_sel_hi:[1,0,0]
	v_dual_mul_f32 v116, v115, v105 :: v_dual_mov_b32 v112, v115
	v_dual_mov_b32 v119, v113 :: v_dual_mov_b32 v113, v114
	s_delay_alu instid0(VALU_DEP_2) | instskip(SKIP_1) | instid1(VALU_DEP_3)
	v_pk_fma_f32 v[116:117], v[114:115], v[78:79], v[116:117] op_sel_hi:[1,1,0] neg_lo:[0,0,1] neg_hi:[0,0,1]
	v_mul_f32_e32 v114, v115, v102
	v_pk_add_f32 v[24:25], v[24:25], v[118:119] neg_lo:[0,1] neg_hi:[0,1]
	s_delay_alu instid0(VALU_DEP_2) | instskip(NEXT) | instid1(VALU_DEP_1)
	v_pk_fma_f32 v[112:113], v[112:113], v[78:79], v[114:115] op_sel_hi:[1,1,0]
	v_mov_b32_e32 v117, v113
	ds_load_2addr_b64 v[112:115], v106 offset0:21 offset1:22
	v_pk_add_f32 v[72:73], v[72:73], v[116:117] neg_lo:[0,1] neg_hi:[0,1]
	s_wait_dscnt 0x0
	v_pk_mul_f32 v[116:117], v[112:113], v[104:105] op_sel:[0,1]
	s_delay_alu instid0(VALU_DEP_1) | instskip(SKIP_1) | instid1(VALU_DEP_1)
	v_pk_fma_f32 v[118:119], v[112:113], v[102:103], v[116:117] op_sel:[0,0,1] op_sel_hi:[1,1,0] neg_lo:[0,0,1] neg_hi:[0,0,1]
	v_pk_fma_f32 v[112:113], v[112:113], v[102:103], v[116:117] op_sel:[0,0,1] op_sel_hi:[1,0,0]
	v_mov_b32_e32 v119, v113
	v_pk_mul_f32 v[112:113], v[114:115], v[104:105] op_sel:[0,1]
	s_delay_alu instid0(VALU_DEP_1) | instskip(SKIP_1) | instid1(VALU_DEP_1)
	v_pk_fma_f32 v[116:117], v[114:115], v[102:103], v[112:113] op_sel:[0,0,1] op_sel_hi:[1,1,0] neg_lo:[0,0,1] neg_hi:[0,0,1]
	v_pk_fma_f32 v[112:113], v[114:115], v[102:103], v[112:113] op_sel:[0,0,1] op_sel_hi:[1,0,0]
	v_mov_b32_e32 v117, v113
	ds_load_2addr_b64 v[112:115], v106 offset0:23 offset1:24
	v_pk_add_f32 v[68:69], v[68:69], v[118:119] neg_lo:[0,1] neg_hi:[0,1]
	v_pk_add_f32 v[70:71], v[70:71], v[116:117] neg_lo:[0,1] neg_hi:[0,1]
	s_wait_dscnt 0x0
	v_pk_mul_f32 v[116:117], v[112:113], v[104:105] op_sel:[0,1]
	s_delay_alu instid0(VALU_DEP_1) | instskip(SKIP_1) | instid1(VALU_DEP_1)
	v_pk_fma_f32 v[118:119], v[112:113], v[102:103], v[116:117] op_sel:[0,0,1] op_sel_hi:[1,1,0] neg_lo:[0,0,1] neg_hi:[0,0,1]
	v_pk_fma_f32 v[112:113], v[112:113], v[102:103], v[116:117] op_sel:[0,0,1] op_sel_hi:[1,0,0]
	v_mov_b32_e32 v119, v113
	v_pk_mul_f32 v[112:113], v[114:115], v[104:105] op_sel:[0,1]
	s_delay_alu instid0(VALU_DEP_1) | instskip(SKIP_1) | instid1(VALU_DEP_1)
	v_pk_fma_f32 v[116:117], v[114:115], v[102:103], v[112:113] op_sel:[0,0,1] op_sel_hi:[1,1,0] neg_lo:[0,0,1] neg_hi:[0,0,1]
	v_pk_fma_f32 v[112:113], v[114:115], v[102:103], v[112:113] op_sel:[0,0,1] op_sel_hi:[1,0,0]
	v_mov_b32_e32 v117, v113
	ds_load_2addr_b64 v[112:115], v106 offset0:25 offset1:26
	v_pk_add_f32 v[22:23], v[22:23], v[118:119] neg_lo:[0,1] neg_hi:[0,1]
	v_pk_add_f32 v[66:67], v[66:67], v[116:117] neg_lo:[0,1] neg_hi:[0,1]
	s_wait_dscnt 0x0
	v_dual_mul_f32 v116, v113, v105 :: v_dual_mul_f32 v118, v113, v102
	s_delay_alu instid0(VALU_DEP_1) | instskip(NEXT) | instid1(VALU_DEP_2)
	v_pk_fma_f32 v[116:117], v[112:113], v[78:79], v[116:117] op_sel_hi:[1,1,0] neg_lo:[0,0,1] neg_hi:[0,0,1]
	v_pk_fma_f32 v[112:113], v[112:113], v[78:79], v[118:119] op_sel:[1,0,0] op_sel_hi:[0,1,0]
	s_delay_alu instid0(VALU_DEP_1) | instskip(SKIP_1) | instid1(VALU_DEP_2)
	v_mov_b32_e32 v117, v113
	v_pk_mul_f32 v[112:113], v[114:115], v[104:105] op_sel:[0,1]
	v_pk_add_f32 v[62:63], v[62:63], v[116:117] neg_lo:[0,1] neg_hi:[0,1]
	s_delay_alu instid0(VALU_DEP_2) | instskip(SKIP_1) | instid1(VALU_DEP_1)
	v_pk_fma_f32 v[116:117], v[114:115], v[102:103], v[112:113] op_sel:[0,0,1] op_sel_hi:[1,1,0] neg_lo:[0,0,1] neg_hi:[0,0,1]
	v_pk_fma_f32 v[112:113], v[114:115], v[102:103], v[112:113] op_sel:[0,0,1] op_sel_hi:[1,0,0]
	v_mov_b32_e32 v117, v113
	ds_load_2addr_b64 v[112:115], v106 offset0:27 offset1:28
	v_pk_add_f32 v[64:65], v[64:65], v[116:117] neg_lo:[0,1] neg_hi:[0,1]
	s_wait_dscnt 0x0
	v_pk_mul_f32 v[116:117], v[112:113], v[104:105] op_sel:[0,1]
	s_delay_alu instid0(VALU_DEP_1) | instskip(SKIP_1) | instid1(VALU_DEP_1)
	v_pk_fma_f32 v[118:119], v[112:113], v[102:103], v[116:117] op_sel:[0,0,1] op_sel_hi:[1,1,0] neg_lo:[0,0,1] neg_hi:[0,0,1]
	v_pk_fma_f32 v[112:113], v[112:113], v[102:103], v[116:117] op_sel:[0,0,1] op_sel_hi:[1,0,0]
	v_mov_b32_e32 v119, v113
	v_pk_mul_f32 v[112:113], v[114:115], v[104:105] op_sel:[0,1]
	s_delay_alu instid0(VALU_DEP_2) | instskip(NEXT) | instid1(VALU_DEP_2)
	v_pk_add_f32 v[20:21], v[20:21], v[118:119] neg_lo:[0,1] neg_hi:[0,1]
	v_pk_fma_f32 v[116:117], v[114:115], v[102:103], v[112:113] op_sel:[0,0,1] op_sel_hi:[1,1,0] neg_lo:[0,0,1] neg_hi:[0,0,1]
	v_pk_fma_f32 v[112:113], v[114:115], v[102:103], v[112:113] op_sel:[0,0,1] op_sel_hi:[1,0,0]
	s_delay_alu instid0(VALU_DEP_1) | instskip(SKIP_4) | instid1(VALU_DEP_1)
	v_mov_b32_e32 v117, v113
	ds_load_2addr_b64 v[112:115], v106 offset0:29 offset1:30
	v_pk_add_f32 v[54:55], v[54:55], v[116:117] neg_lo:[0,1] neg_hi:[0,1]
	s_wait_dscnt 0x0
	v_pk_mul_f32 v[116:117], v[112:113], v[104:105] op_sel:[0,1]
	v_pk_fma_f32 v[118:119], v[112:113], v[102:103], v[116:117] op_sel:[0,0,1] op_sel_hi:[1,1,0] neg_lo:[0,0,1] neg_hi:[0,0,1]
	v_pk_fma_f32 v[112:113], v[112:113], v[102:103], v[116:117] op_sel:[0,0,1] op_sel_hi:[1,0,0]
	v_dual_mul_f32 v116, v115, v105 :: v_dual_mov_b32 v112, v115
	s_delay_alu instid0(VALU_DEP_2) | instskip(NEXT) | instid1(VALU_DEP_2)
	v_dual_mov_b32 v119, v113 :: v_dual_mov_b32 v113, v114
	v_pk_fma_f32 v[116:117], v[114:115], v[78:79], v[116:117] op_sel_hi:[1,1,0] neg_lo:[0,0,1] neg_hi:[0,0,1]
	v_mul_f32_e32 v114, v115, v102
	s_delay_alu instid0(VALU_DEP_3) | instskip(NEXT) | instid1(VALU_DEP_2)
	v_pk_add_f32 v[50:51], v[50:51], v[118:119] neg_lo:[0,1] neg_hi:[0,1]
	v_pk_fma_f32 v[112:113], v[112:113], v[78:79], v[114:115] op_sel_hi:[1,1,0]
	s_delay_alu instid0(VALU_DEP_1) | instskip(SKIP_4) | instid1(VALU_DEP_1)
	v_mov_b32_e32 v117, v113
	ds_load_2addr_b64 v[112:115], v106 offset0:31 offset1:32
	v_pk_add_f32 v[52:53], v[52:53], v[116:117] neg_lo:[0,1] neg_hi:[0,1]
	s_wait_dscnt 0x0
	v_pk_mul_f32 v[116:117], v[112:113], v[104:105] op_sel:[0,1]
	v_pk_fma_f32 v[118:119], v[112:113], v[102:103], v[116:117] op_sel:[0,0,1] op_sel_hi:[1,1,0] neg_lo:[0,0,1] neg_hi:[0,0,1]
	v_pk_fma_f32 v[112:113], v[112:113], v[102:103], v[116:117] op_sel:[0,0,1] op_sel_hi:[1,0,0]
	s_delay_alu instid0(VALU_DEP_1) | instskip(SKIP_1) | instid1(VALU_DEP_1)
	v_mov_b32_e32 v119, v113
	v_pk_mul_f32 v[112:113], v[114:115], v[104:105] op_sel:[0,1]
	v_pk_fma_f32 v[116:117], v[114:115], v[102:103], v[112:113] op_sel:[0,0,1] op_sel_hi:[1,1,0] neg_lo:[0,0,1] neg_hi:[0,0,1]
	v_pk_fma_f32 v[112:113], v[114:115], v[102:103], v[112:113] op_sel:[0,0,1] op_sel_hi:[1,0,0]
	s_delay_alu instid0(VALU_DEP_1)
	v_mov_b32_e32 v117, v113
	ds_load_2addr_b64 v[112:115], v106 offset0:33 offset1:34
	v_pk_add_f32 v[12:13], v[12:13], v[118:119] neg_lo:[0,1] neg_hi:[0,1]
	v_pk_add_f32 v[48:49], v[48:49], v[116:117] neg_lo:[0,1] neg_hi:[0,1]
	s_wait_dscnt 0x0
	v_pk_mul_f32 v[116:117], v[112:113], v[104:105] op_sel:[0,1]
	s_delay_alu instid0(VALU_DEP_1) | instskip(SKIP_1) | instid1(VALU_DEP_1)
	v_pk_fma_f32 v[118:119], v[112:113], v[102:103], v[116:117] op_sel:[0,0,1] op_sel_hi:[1,1,0] neg_lo:[0,0,1] neg_hi:[0,0,1]
	v_pk_fma_f32 v[112:113], v[112:113], v[102:103], v[116:117] op_sel:[0,0,1] op_sel_hi:[1,0,0]
	v_mov_b32_e32 v119, v113
	v_pk_mul_f32 v[112:113], v[114:115], v[104:105] op_sel:[0,1]
	s_delay_alu instid0(VALU_DEP_1) | instskip(SKIP_1) | instid1(VALU_DEP_1)
	v_pk_fma_f32 v[116:117], v[114:115], v[102:103], v[112:113] op_sel:[0,0,1] op_sel_hi:[1,1,0] neg_lo:[0,0,1] neg_hi:[0,0,1]
	v_pk_fma_f32 v[112:113], v[114:115], v[102:103], v[112:113] op_sel:[0,0,1] op_sel_hi:[1,0,0]
	v_mov_b32_e32 v117, v113
	ds_load_2addr_b64 v[112:115], v106 offset0:35 offset1:36
	v_pk_add_f32 v[44:45], v[44:45], v[118:119] neg_lo:[0,1] neg_hi:[0,1]
	v_pk_add_f32 v[46:47], v[46:47], v[116:117] neg_lo:[0,1] neg_hi:[0,1]
	s_wait_dscnt 0x0
	v_dual_mul_f32 v116, v113, v105 :: v_dual_mul_f32 v118, v113, v102
	s_delay_alu instid0(VALU_DEP_1) | instskip(NEXT) | instid1(VALU_DEP_2)
	v_pk_fma_f32 v[116:117], v[112:113], v[78:79], v[116:117] op_sel_hi:[1,1,0] neg_lo:[0,0,1] neg_hi:[0,0,1]
	v_pk_fma_f32 v[112:113], v[112:113], v[78:79], v[118:119] op_sel:[1,0,0] op_sel_hi:[0,1,0]
	s_delay_alu instid0(VALU_DEP_1) | instskip(SKIP_1) | instid1(VALU_DEP_2)
	v_mov_b32_e32 v117, v113
	v_pk_mul_f32 v[112:113], v[114:115], v[104:105] op_sel:[0,1]
	v_pk_add_f32 v[10:11], v[10:11], v[116:117] neg_lo:[0,1] neg_hi:[0,1]
	s_delay_alu instid0(VALU_DEP_2) | instskip(SKIP_1) | instid1(VALU_DEP_1)
	v_pk_fma_f32 v[116:117], v[114:115], v[102:103], v[112:113] op_sel:[0,0,1] op_sel_hi:[1,1,0] neg_lo:[0,0,1] neg_hi:[0,0,1]
	v_pk_fma_f32 v[112:113], v[114:115], v[102:103], v[112:113] op_sel:[0,0,1] op_sel_hi:[1,0,0]
	v_mov_b32_e32 v117, v113
	ds_load_2addr_b64 v[112:115], v106 offset0:37 offset1:38
	v_pk_add_f32 v[42:43], v[42:43], v[116:117] neg_lo:[0,1] neg_hi:[0,1]
	s_wait_dscnt 0x0
	v_pk_mul_f32 v[116:117], v[112:113], v[104:105] op_sel:[0,1]
	s_delay_alu instid0(VALU_DEP_1) | instskip(SKIP_1) | instid1(VALU_DEP_1)
	v_pk_fma_f32 v[118:119], v[112:113], v[102:103], v[116:117] op_sel:[0,0,1] op_sel_hi:[1,1,0] neg_lo:[0,0,1] neg_hi:[0,0,1]
	v_pk_fma_f32 v[112:113], v[112:113], v[102:103], v[116:117] op_sel:[0,0,1] op_sel_hi:[1,0,0]
	v_mov_b32_e32 v119, v113
	v_pk_mul_f32 v[112:113], v[114:115], v[104:105] op_sel:[0,1]
	s_delay_alu instid0(VALU_DEP_2) | instskip(NEXT) | instid1(VALU_DEP_2)
	v_pk_add_f32 v[38:39], v[38:39], v[118:119] neg_lo:[0,1] neg_hi:[0,1]
	v_pk_fma_f32 v[116:117], v[114:115], v[102:103], v[112:113] op_sel:[0,0,1] op_sel_hi:[1,1,0] neg_lo:[0,0,1] neg_hi:[0,0,1]
	v_pk_fma_f32 v[112:113], v[114:115], v[102:103], v[112:113] op_sel:[0,0,1] op_sel_hi:[1,0,0]
	s_delay_alu instid0(VALU_DEP_1) | instskip(SKIP_4) | instid1(VALU_DEP_1)
	v_mov_b32_e32 v117, v113
	ds_load_2addr_b64 v[112:115], v106 offset0:39 offset1:40
	v_pk_add_f32 v[40:41], v[40:41], v[116:117] neg_lo:[0,1] neg_hi:[0,1]
	s_wait_dscnt 0x0
	v_pk_mul_f32 v[116:117], v[112:113], v[104:105] op_sel:[0,1]
	v_pk_fma_f32 v[118:119], v[112:113], v[102:103], v[116:117] op_sel:[0,0,1] op_sel_hi:[1,1,0] neg_lo:[0,0,1] neg_hi:[0,0,1]
	v_pk_fma_f32 v[112:113], v[112:113], v[102:103], v[116:117] op_sel:[0,0,1] op_sel_hi:[1,0,0]
	v_dual_mul_f32 v116, v115, v105 :: v_dual_mov_b32 v112, v115
	s_delay_alu instid0(VALU_DEP_2) | instskip(NEXT) | instid1(VALU_DEP_2)
	v_dual_mov_b32 v119, v113 :: v_dual_mov_b32 v113, v114
	v_pk_fma_f32 v[116:117], v[114:115], v[78:79], v[116:117] op_sel_hi:[1,1,0] neg_lo:[0,0,1] neg_hi:[0,0,1]
	v_mul_f32_e32 v114, v115, v102
	s_delay_alu instid0(VALU_DEP_3) | instskip(NEXT) | instid1(VALU_DEP_2)
	v_pk_add_f32 v[6:7], v[6:7], v[118:119] neg_lo:[0,1] neg_hi:[0,1]
	v_pk_fma_f32 v[112:113], v[112:113], v[78:79], v[114:115] op_sel_hi:[1,1,0]
	s_delay_alu instid0(VALU_DEP_1) | instskip(SKIP_4) | instid1(VALU_DEP_1)
	v_mov_b32_e32 v117, v113
	ds_load_2addr_b64 v[112:115], v106 offset0:41 offset1:42
	v_pk_add_f32 v[36:37], v[36:37], v[116:117] neg_lo:[0,1] neg_hi:[0,1]
	s_wait_dscnt 0x0
	v_pk_mul_f32 v[116:117], v[112:113], v[104:105] op_sel:[0,1]
	v_pk_fma_f32 v[118:119], v[112:113], v[102:103], v[116:117] op_sel:[0,0,1] op_sel_hi:[1,1,0] neg_lo:[0,0,1] neg_hi:[0,0,1]
	v_pk_fma_f32 v[112:113], v[112:113], v[102:103], v[116:117] op_sel:[0,0,1] op_sel_hi:[1,0,0]
	s_delay_alu instid0(VALU_DEP_1) | instskip(SKIP_1) | instid1(VALU_DEP_1)
	v_mov_b32_e32 v119, v113
	v_pk_mul_f32 v[112:113], v[114:115], v[104:105] op_sel:[0,1]
	v_pk_fma_f32 v[116:117], v[114:115], v[102:103], v[112:113] op_sel:[0,0,1] op_sel_hi:[1,1,0] neg_lo:[0,0,1] neg_hi:[0,0,1]
	v_pk_fma_f32 v[112:113], v[114:115], v[102:103], v[112:113] op_sel:[0,0,1] op_sel_hi:[1,0,0]
	s_delay_alu instid0(VALU_DEP_1)
	v_mov_b32_e32 v117, v113
	ds_load_2addr_b64 v[112:115], v106 offset0:43 offset1:44
	v_pk_add_f32 v[30:31], v[30:31], v[118:119] neg_lo:[0,1] neg_hi:[0,1]
	v_pk_add_f32 v[34:35], v[34:35], v[116:117] neg_lo:[0,1] neg_hi:[0,1]
	s_wait_dscnt 0x0
	v_pk_mul_f32 v[116:117], v[112:113], v[104:105] op_sel:[0,1]
	s_delay_alu instid0(VALU_DEP_1) | instskip(SKIP_1) | instid1(VALU_DEP_1)
	v_pk_fma_f32 v[118:119], v[112:113], v[102:103], v[116:117] op_sel:[0,0,1] op_sel_hi:[1,1,0] neg_lo:[0,0,1] neg_hi:[0,0,1]
	v_pk_fma_f32 v[112:113], v[112:113], v[102:103], v[116:117] op_sel:[0,0,1] op_sel_hi:[1,0,0]
	v_mov_b32_e32 v119, v113
	v_pk_mul_f32 v[112:113], v[114:115], v[104:105] op_sel:[0,1]
	s_delay_alu instid0(VALU_DEP_1) | instskip(SKIP_1) | instid1(VALU_DEP_1)
	v_pk_fma_f32 v[116:117], v[114:115], v[102:103], v[112:113] op_sel:[0,0,1] op_sel_hi:[1,1,0] neg_lo:[0,0,1] neg_hi:[0,0,1]
	v_pk_fma_f32 v[112:113], v[114:115], v[102:103], v[112:113] op_sel:[0,0,1] op_sel_hi:[1,0,0]
	v_mov_b32_e32 v117, v113
	ds_load_2addr_b64 v[112:115], v106 offset0:45 offset1:46
	v_pk_add_f32 v[8:9], v[8:9], v[118:119] neg_lo:[0,1] neg_hi:[0,1]
	v_pk_add_f32 v[28:29], v[28:29], v[116:117] neg_lo:[0,1] neg_hi:[0,1]
	s_wait_dscnt 0x0
	v_dual_mul_f32 v116, v113, v105 :: v_dual_mul_f32 v118, v113, v102
	s_delay_alu instid0(VALU_DEP_1) | instskip(NEXT) | instid1(VALU_DEP_2)
	v_pk_fma_f32 v[116:117], v[112:113], v[78:79], v[116:117] op_sel_hi:[1,1,0] neg_lo:[0,0,1] neg_hi:[0,0,1]
	v_pk_fma_f32 v[112:113], v[112:113], v[78:79], v[118:119] op_sel:[1,0,0] op_sel_hi:[0,1,0]
	s_delay_alu instid0(VALU_DEP_1) | instskip(SKIP_1) | instid1(VALU_DEP_2)
	v_mov_b32_e32 v117, v113
	v_pk_mul_f32 v[112:113], v[114:115], v[104:105] op_sel:[0,1]
	v_pk_add_f32 v[18:19], v[18:19], v[116:117] neg_lo:[0,1] neg_hi:[0,1]
	s_delay_alu instid0(VALU_DEP_2) | instskip(SKIP_1) | instid1(VALU_DEP_1)
	v_pk_fma_f32 v[116:117], v[114:115], v[102:103], v[112:113] op_sel:[0,0,1] op_sel_hi:[1,1,0] neg_lo:[0,0,1] neg_hi:[0,0,1]
	v_pk_fma_f32 v[112:113], v[114:115], v[102:103], v[112:113] op_sel:[0,0,1] op_sel_hi:[1,0,0]
	v_mov_b32_e32 v117, v113
	ds_load_b64 v[112:113], v106 offset:376
	v_pk_add_f32 v[14:15], v[14:15], v[116:117] neg_lo:[0,1] neg_hi:[0,1]
	s_wait_dscnt 0x0
	v_pk_mul_f32 v[104:105], v[112:113], v[104:105] op_sel:[0,1]
	s_delay_alu instid0(VALU_DEP_1) | instskip(SKIP_1) | instid1(VALU_DEP_1)
	v_pk_fma_f32 v[114:115], v[112:113], v[102:103], v[104:105] op_sel:[0,0,1] op_sel_hi:[1,1,0] neg_lo:[0,0,1] neg_hi:[0,0,1]
	v_pk_fma_f32 v[102:103], v[112:113], v[102:103], v[104:105] op_sel:[0,0,1] op_sel_hi:[1,0,0]
	v_mov_b32_e32 v115, v103
	s_delay_alu instid0(VALU_DEP_1)
	v_pk_add_f32 v[100:101], v[100:101], v[114:115] neg_lo:[0,1] neg_hi:[0,1]
.LBB94_356:
	s_or_b32 exec_lo, exec_lo, s0
	v_lshl_add_u32 v102, v110, 3, v106
	s_barrier_signal -1
	s_barrier_wait -1
	ds_store_b64 v102, v[74:75]
	s_wait_dscnt 0x0
	s_barrier_signal -1
	s_barrier_wait -1
	ds_load_b64 v[104:105], v106 offset:136
	v_mov_b32_e32 v102, 17
	s_cmp_lt_i32 s18, 19
	s_cbranch_scc1 .LBB94_359
; %bb.357:
	v_add3_u32 v103, v107, 0, 0x90
	v_mov_b32_e32 v102, 17
	s_mov_b32 s0, 18
.LBB94_358:                             ; =>This Inner Loop Header: Depth=1
	ds_load_b64 v[112:113], v103
	s_wait_dscnt 0x1
	v_cmp_gt_f32_e32 vcc_lo, 0, v104
	v_cndmask_b32_e64 v114, v104, -v104, vcc_lo
	v_cmp_gt_f32_e32 vcc_lo, 0, v105
	v_cndmask_b32_e64 v116, v105, -v105, vcc_lo
	s_wait_dscnt 0x0
	v_cmp_gt_f32_e32 vcc_lo, 0, v112
	v_cndmask_b32_e64 v115, v112, -v112, vcc_lo
	v_cmp_gt_f32_e32 vcc_lo, 0, v113
	v_cndmask_b32_e64 v117, v113, -v113, vcc_lo
	s_delay_alu instid0(VALU_DEP_1) | instskip(NEXT) | instid1(VALU_DEP_1)
	v_pk_add_f32 v[114:115], v[114:115], v[116:117]
	v_cmp_lt_f32_e32 vcc_lo, v114, v115
	v_dual_add_nc_u32 v103, 8, v103 :: v_dual_cndmask_b32 v105, v105, v113, vcc_lo
	v_cndmask_b32_e32 v104, v104, v112, vcc_lo
	v_cndmask_b32_e64 v102, v102, s0, vcc_lo
	s_add_co_i32 s0, s0, 1
	s_delay_alu instid0(SALU_CYCLE_1)
	s_cmp_lg_u32 s18, s0
	s_cbranch_scc1 .LBB94_358
.LBB94_359:
	s_wait_dscnt 0x0
	v_cmp_eq_f32_e32 vcc_lo, 0, v104
	v_cmp_eq_f32_e64 s0, 0, v105
	s_and_b32 s0, vcc_lo, s0
	s_delay_alu instid0(SALU_CYCLE_1) | instskip(NEXT) | instid1(SALU_CYCLE_1)
	s_and_saveexec_b32 s1, s0
	s_xor_b32 s0, exec_lo, s1
; %bb.360:
	v_cmp_ne_u32_e32 vcc_lo, 0, v108
	v_cndmask_b32_e32 v108, 18, v108, vcc_lo
; %bb.361:
	s_and_not1_saveexec_b32 s0, s0
	s_cbranch_execz .LBB94_367
; %bb.362:
	v_cmp_ngt_f32_e64 s1, |v104|, |v105|
	s_and_saveexec_b32 s12, s1
	s_delay_alu instid0(SALU_CYCLE_1)
	s_xor_b32 s1, exec_lo, s12
	s_cbranch_execz .LBB94_364
; %bb.363:
	v_div_scale_f32 v103, null, v105, v105, v104
	v_div_scale_f32 v113, vcc_lo, v104, v105, v104
	s_delay_alu instid0(VALU_DEP_2) | instskip(SKIP_1) | instid1(TRANS32_DEP_1)
	v_rcp_f32_e32 v111, v103
	v_nop
	v_fma_f32 v112, -v103, v111, 1.0
	s_delay_alu instid0(VALU_DEP_1) | instskip(NEXT) | instid1(VALU_DEP_1)
	v_fmac_f32_e32 v111, v112, v111
	v_mul_f32_e32 v112, v113, v111
	s_delay_alu instid0(VALU_DEP_1) | instskip(NEXT) | instid1(VALU_DEP_1)
	v_fma_f32 v114, -v103, v112, v113
	v_fmac_f32_e32 v112, v114, v111
	s_delay_alu instid0(VALU_DEP_1) | instskip(NEXT) | instid1(VALU_DEP_1)
	v_fma_f32 v103, -v103, v112, v113
	v_div_fmas_f32 v103, v103, v111, v112
	s_delay_alu instid0(VALU_DEP_1) | instskip(NEXT) | instid1(VALU_DEP_1)
	v_div_fixup_f32 v103, v103, v105, v104
	v_fmac_f32_e32 v105, v104, v103
	s_delay_alu instid0(VALU_DEP_1) | instskip(SKIP_1) | instid1(VALU_DEP_2)
	v_div_scale_f32 v104, null, v105, v105, 1.0
	v_div_scale_f32 v113, vcc_lo, 1.0, v105, 1.0
	v_rcp_f32_e32 v111, v104
	v_nop
	s_delay_alu instid0(TRANS32_DEP_1) | instskip(NEXT) | instid1(VALU_DEP_1)
	v_fma_f32 v112, -v104, v111, 1.0
	v_fmac_f32_e32 v111, v112, v111
	s_delay_alu instid0(VALU_DEP_1) | instskip(NEXT) | instid1(VALU_DEP_1)
	v_mul_f32_e32 v112, v113, v111
	v_fma_f32 v114, -v104, v112, v113
	s_delay_alu instid0(VALU_DEP_1) | instskip(NEXT) | instid1(VALU_DEP_1)
	v_fmac_f32_e32 v112, v114, v111
	v_fma_f32 v104, -v104, v112, v113
	s_delay_alu instid0(VALU_DEP_1) | instskip(NEXT) | instid1(VALU_DEP_1)
	v_div_fmas_f32 v104, v104, v111, v112
	v_div_fixup_f32 v105, v104, v105, 1.0
	s_delay_alu instid0(VALU_DEP_1)
	v_mul_f32_e32 v104, v103, v105
	v_xor_b32_e32 v105, 0x80000000, v105
.LBB94_364:
	s_and_not1_saveexec_b32 s1, s1
	s_cbranch_execz .LBB94_366
; %bb.365:
	s_delay_alu instid0(VALU_DEP_1) | instskip(SKIP_1) | instid1(VALU_DEP_2)
	v_div_scale_f32 v103, null, v104, v104, v105
	v_div_scale_f32 v113, vcc_lo, v105, v104, v105
	v_rcp_f32_e32 v111, v103
	v_nop
	s_delay_alu instid0(TRANS32_DEP_1) | instskip(NEXT) | instid1(VALU_DEP_1)
	v_fma_f32 v112, -v103, v111, 1.0
	v_fmac_f32_e32 v111, v112, v111
	s_delay_alu instid0(VALU_DEP_1) | instskip(NEXT) | instid1(VALU_DEP_1)
	v_mul_f32_e32 v112, v113, v111
	v_fma_f32 v114, -v103, v112, v113
	s_delay_alu instid0(VALU_DEP_1) | instskip(NEXT) | instid1(VALU_DEP_1)
	v_fmac_f32_e32 v112, v114, v111
	v_fma_f32 v103, -v103, v112, v113
	s_delay_alu instid0(VALU_DEP_1) | instskip(NEXT) | instid1(VALU_DEP_1)
	v_div_fmas_f32 v103, v103, v111, v112
	v_div_fixup_f32 v103, v103, v104, v105
	s_delay_alu instid0(VALU_DEP_1) | instskip(NEXT) | instid1(VALU_DEP_1)
	v_fmac_f32_e32 v104, v105, v103
	v_div_scale_f32 v105, null, v104, v104, 1.0
	s_delay_alu instid0(VALU_DEP_1) | instskip(SKIP_1) | instid1(TRANS32_DEP_1)
	v_rcp_f32_e32 v111, v105
	v_nop
	v_fma_f32 v112, -v105, v111, 1.0
	s_delay_alu instid0(VALU_DEP_1) | instskip(SKIP_1) | instid1(VALU_DEP_1)
	v_fmac_f32_e32 v111, v112, v111
	v_div_scale_f32 v112, vcc_lo, 1.0, v104, 1.0
	v_mul_f32_e32 v113, v112, v111
	s_delay_alu instid0(VALU_DEP_1) | instskip(NEXT) | instid1(VALU_DEP_1)
	v_fma_f32 v114, -v105, v113, v112
	v_fmac_f32_e32 v113, v114, v111
	s_delay_alu instid0(VALU_DEP_1) | instskip(NEXT) | instid1(VALU_DEP_1)
	v_fma_f32 v105, -v105, v113, v112
	v_div_fmas_f32 v105, v105, v111, v113
	s_delay_alu instid0(VALU_DEP_1) | instskip(NEXT) | instid1(VALU_DEP_1)
	v_div_fixup_f32 v104, v105, v104, 1.0
	v_mul_f32_e64 v105, v103, -v104
.LBB94_366:
	s_or_b32 exec_lo, exec_lo, s1
.LBB94_367:
	s_delay_alu instid0(SALU_CYCLE_1) | instskip(NEXT) | instid1(SALU_CYCLE_1)
	s_or_b32 exec_lo, exec_lo, s0
	s_mov_b32 s0, exec_lo
	v_cmpx_ne_u32_e64 v110, v102
	s_xor_b32 s0, exec_lo, s0
	s_cbranch_execz .LBB94_373
; %bb.368:
	s_mov_b32 s1, exec_lo
	v_cmpx_eq_u32_e32 17, v110
	s_cbranch_execz .LBB94_372
; %bb.369:
	v_cmp_ne_u32_e32 vcc_lo, 17, v102
	s_xor_b32 s12, s16, -1
	s_delay_alu instid0(SALU_CYCLE_1) | instskip(NEXT) | instid1(SALU_CYCLE_1)
	s_and_b32 s13, s12, vcc_lo
	s_and_saveexec_b32 s12, s13
	s_cbranch_execz .LBB94_371
; %bb.370:
	v_ashrrev_i32_e32 v103, 31, v102
	s_delay_alu instid0(VALU_DEP_1)
	v_lshl_add_u64 v[110:111], v[102:103], 2, v[4:5]
	s_clause 0x1
	global_load_b32 v103, v[110:111], off
	global_load_b32 v109, v[4:5], off offset:68
	s_wait_loadcnt 0x1
	global_store_b32 v[4:5], v103, off offset:68
	s_wait_loadcnt 0x0
	global_store_b32 v[110:111], v109, off
.LBB94_371:
	s_wait_xcnt 0x0
	s_or_b32 exec_lo, exec_lo, s12
	v_dual_mov_b32 v110, v102 :: v_dual_mov_b32 v109, v102
.LBB94_372:
	s_or_b32 exec_lo, exec_lo, s1
.LBB94_373:
	s_and_not1_saveexec_b32 s0, s0
	s_cbranch_execz .LBB94_375
; %bb.374:
	v_dual_mov_b32 v102, v76 :: v_dual_mov_b32 v103, v77
	v_dual_mov_b32 v110, v24 :: v_dual_mov_b32 v111, v25
	ds_store_2addr_b64 v106, v[102:103], v[110:111] offset0:18 offset1:19
	v_dual_mov_b32 v102, v72 :: v_dual_mov_b32 v103, v73
	v_dual_mov_b32 v110, v68 :: v_dual_mov_b32 v111, v69
	ds_store_2addr_b64 v106, v[102:103], v[110:111] offset0:20 offset1:21
	;; [unrolled: 3-line block ×14, first 2 shown]
	v_dual_mov_b32 v102, v14 :: v_dual_mov_b32 v103, v15
	v_mov_b32_e32 v110, 17
	ds_store_2addr_b64 v106, v[102:103], v[100:101] offset0:46 offset1:47
.LBB94_375:
	s_or_b32 exec_lo, exec_lo, s0
	s_delay_alu instid0(SALU_CYCLE_1)
	s_mov_b32 s0, exec_lo
	s_wait_storecnt_dscnt 0x0
	s_barrier_signal -1
	s_barrier_wait -1
	v_cmpx_lt_i32_e32 17, v110
	s_cbranch_execz .LBB94_377
; %bb.376:
	v_pk_mul_f32 v[112:113], v[104:105], v[74:75] op_sel:[1,1] op_sel_hi:[0,1]
	s_delay_alu instid0(VALU_DEP_1)
	v_pk_fma_f32 v[102:103], v[104:105], v[74:75], v[112:113] op_sel_hi:[1,0,1] neg_lo:[0,0,1] neg_hi:[0,0,1]
	v_pk_fma_f32 v[104:105], v[104:105], v[74:75], v[112:113] op_sel_hi:[1,0,1]
	ds_load_2addr_b64 v[112:115], v106 offset0:18 offset1:19
	v_dual_mov_b32 v74, v102 :: v_dual_mov_b32 v75, v105
	s_wait_dscnt 0x0
	v_pk_mul_f32 v[116:117], v[112:113], v[104:105] op_sel:[0,1]
	s_delay_alu instid0(VALU_DEP_1) | instskip(SKIP_1) | instid1(VALU_DEP_1)
	v_pk_fma_f32 v[118:119], v[112:113], v[102:103], v[116:117] op_sel:[0,0,1] op_sel_hi:[1,1,0] neg_lo:[0,0,1] neg_hi:[0,0,1]
	v_pk_fma_f32 v[112:113], v[112:113], v[102:103], v[116:117] op_sel:[0,0,1] op_sel_hi:[1,0,0]
	v_mov_b32_e32 v119, v113
	v_pk_mul_f32 v[112:113], v[114:115], v[104:105] op_sel:[0,1]
	s_delay_alu instid0(VALU_DEP_1) | instskip(SKIP_1) | instid1(VALU_DEP_1)
	v_pk_fma_f32 v[116:117], v[114:115], v[102:103], v[112:113] op_sel:[0,0,1] op_sel_hi:[1,1,0] neg_lo:[0,0,1] neg_hi:[0,0,1]
	v_pk_fma_f32 v[112:113], v[114:115], v[102:103], v[112:113] op_sel:[0,0,1] op_sel_hi:[1,0,0]
	v_mov_b32_e32 v117, v113
	ds_load_2addr_b64 v[112:115], v106 offset0:20 offset1:21
	v_pk_add_f32 v[76:77], v[76:77], v[118:119] neg_lo:[0,1] neg_hi:[0,1]
	v_pk_add_f32 v[24:25], v[24:25], v[116:117] neg_lo:[0,1] neg_hi:[0,1]
	s_wait_dscnt 0x0
	v_pk_mul_f32 v[116:117], v[112:113], v[104:105] op_sel:[0,1]
	s_delay_alu instid0(VALU_DEP_1) | instskip(SKIP_2) | instid1(VALU_DEP_2)
	v_pk_fma_f32 v[118:119], v[112:113], v[102:103], v[116:117] op_sel:[0,0,1] op_sel_hi:[1,1,0] neg_lo:[0,0,1] neg_hi:[0,0,1]
	v_pk_fma_f32 v[112:113], v[112:113], v[102:103], v[116:117] op_sel:[0,0,1] op_sel_hi:[1,0,0]
	v_dual_mul_f32 v116, v115, v105 :: v_dual_mov_b32 v112, v115
	v_dual_mov_b32 v119, v113 :: v_dual_mov_b32 v113, v114
	s_delay_alu instid0(VALU_DEP_2) | instskip(SKIP_1) | instid1(VALU_DEP_3)
	v_pk_fma_f32 v[116:117], v[114:115], v[74:75], v[116:117] op_sel_hi:[1,1,0] neg_lo:[0,0,1] neg_hi:[0,0,1]
	v_mul_f32_e32 v114, v115, v102
	v_pk_add_f32 v[72:73], v[72:73], v[118:119] neg_lo:[0,1] neg_hi:[0,1]
	s_delay_alu instid0(VALU_DEP_2) | instskip(NEXT) | instid1(VALU_DEP_1)
	v_pk_fma_f32 v[112:113], v[112:113], v[74:75], v[114:115] op_sel_hi:[1,1,0]
	v_mov_b32_e32 v117, v113
	ds_load_2addr_b64 v[112:115], v106 offset0:22 offset1:23
	v_pk_add_f32 v[68:69], v[68:69], v[116:117] neg_lo:[0,1] neg_hi:[0,1]
	s_wait_dscnt 0x0
	v_pk_mul_f32 v[116:117], v[112:113], v[104:105] op_sel:[0,1]
	s_delay_alu instid0(VALU_DEP_1) | instskip(SKIP_1) | instid1(VALU_DEP_1)
	v_pk_fma_f32 v[118:119], v[112:113], v[102:103], v[116:117] op_sel:[0,0,1] op_sel_hi:[1,1,0] neg_lo:[0,0,1] neg_hi:[0,0,1]
	v_pk_fma_f32 v[112:113], v[112:113], v[102:103], v[116:117] op_sel:[0,0,1] op_sel_hi:[1,0,0]
	v_mov_b32_e32 v119, v113
	v_pk_mul_f32 v[112:113], v[114:115], v[104:105] op_sel:[0,1]
	s_delay_alu instid0(VALU_DEP_1) | instskip(SKIP_1) | instid1(VALU_DEP_1)
	v_pk_fma_f32 v[116:117], v[114:115], v[102:103], v[112:113] op_sel:[0,0,1] op_sel_hi:[1,1,0] neg_lo:[0,0,1] neg_hi:[0,0,1]
	v_pk_fma_f32 v[112:113], v[114:115], v[102:103], v[112:113] op_sel:[0,0,1] op_sel_hi:[1,0,0]
	v_mov_b32_e32 v117, v113
	ds_load_2addr_b64 v[112:115], v106 offset0:24 offset1:25
	v_pk_add_f32 v[70:71], v[70:71], v[118:119] neg_lo:[0,1] neg_hi:[0,1]
	v_pk_add_f32 v[22:23], v[22:23], v[116:117] neg_lo:[0,1] neg_hi:[0,1]
	s_wait_dscnt 0x0
	v_pk_mul_f32 v[116:117], v[112:113], v[104:105] op_sel:[0,1]
	s_delay_alu instid0(VALU_DEP_1) | instskip(SKIP_1) | instid1(VALU_DEP_1)
	v_pk_fma_f32 v[118:119], v[112:113], v[102:103], v[116:117] op_sel:[0,0,1] op_sel_hi:[1,1,0] neg_lo:[0,0,1] neg_hi:[0,0,1]
	v_pk_fma_f32 v[112:113], v[112:113], v[102:103], v[116:117] op_sel:[0,0,1] op_sel_hi:[1,0,0]
	v_mov_b32_e32 v119, v113
	v_pk_mul_f32 v[112:113], v[114:115], v[104:105] op_sel:[0,1]
	s_delay_alu instid0(VALU_DEP_1) | instskip(SKIP_1) | instid1(VALU_DEP_1)
	v_pk_fma_f32 v[116:117], v[114:115], v[102:103], v[112:113] op_sel:[0,0,1] op_sel_hi:[1,1,0] neg_lo:[0,0,1] neg_hi:[0,0,1]
	v_pk_fma_f32 v[112:113], v[114:115], v[102:103], v[112:113] op_sel:[0,0,1] op_sel_hi:[1,0,0]
	v_mov_b32_e32 v117, v113
	ds_load_2addr_b64 v[112:115], v106 offset0:26 offset1:27
	v_pk_add_f32 v[66:67], v[66:67], v[118:119] neg_lo:[0,1] neg_hi:[0,1]
	v_pk_add_f32 v[62:63], v[62:63], v[116:117] neg_lo:[0,1] neg_hi:[0,1]
	s_wait_dscnt 0x0
	v_dual_mul_f32 v116, v113, v105 :: v_dual_mul_f32 v118, v113, v102
	s_delay_alu instid0(VALU_DEP_1) | instskip(NEXT) | instid1(VALU_DEP_2)
	v_pk_fma_f32 v[116:117], v[112:113], v[74:75], v[116:117] op_sel_hi:[1,1,0] neg_lo:[0,0,1] neg_hi:[0,0,1]
	v_pk_fma_f32 v[112:113], v[112:113], v[74:75], v[118:119] op_sel:[1,0,0] op_sel_hi:[0,1,0]
	s_delay_alu instid0(VALU_DEP_1) | instskip(SKIP_1) | instid1(VALU_DEP_2)
	v_mov_b32_e32 v117, v113
	v_pk_mul_f32 v[112:113], v[114:115], v[104:105] op_sel:[0,1]
	v_pk_add_f32 v[64:65], v[64:65], v[116:117] neg_lo:[0,1] neg_hi:[0,1]
	s_delay_alu instid0(VALU_DEP_2) | instskip(SKIP_1) | instid1(VALU_DEP_1)
	v_pk_fma_f32 v[116:117], v[114:115], v[102:103], v[112:113] op_sel:[0,0,1] op_sel_hi:[1,1,0] neg_lo:[0,0,1] neg_hi:[0,0,1]
	v_pk_fma_f32 v[112:113], v[114:115], v[102:103], v[112:113] op_sel:[0,0,1] op_sel_hi:[1,0,0]
	v_mov_b32_e32 v117, v113
	ds_load_2addr_b64 v[112:115], v106 offset0:28 offset1:29
	v_pk_add_f32 v[20:21], v[20:21], v[116:117] neg_lo:[0,1] neg_hi:[0,1]
	s_wait_dscnt 0x0
	v_pk_mul_f32 v[116:117], v[112:113], v[104:105] op_sel:[0,1]
	s_delay_alu instid0(VALU_DEP_1) | instskip(SKIP_1) | instid1(VALU_DEP_1)
	v_pk_fma_f32 v[118:119], v[112:113], v[102:103], v[116:117] op_sel:[0,0,1] op_sel_hi:[1,1,0] neg_lo:[0,0,1] neg_hi:[0,0,1]
	v_pk_fma_f32 v[112:113], v[112:113], v[102:103], v[116:117] op_sel:[0,0,1] op_sel_hi:[1,0,0]
	v_mov_b32_e32 v119, v113
	v_pk_mul_f32 v[112:113], v[114:115], v[104:105] op_sel:[0,1]
	s_delay_alu instid0(VALU_DEP_2) | instskip(NEXT) | instid1(VALU_DEP_2)
	v_pk_add_f32 v[54:55], v[54:55], v[118:119] neg_lo:[0,1] neg_hi:[0,1]
	v_pk_fma_f32 v[116:117], v[114:115], v[102:103], v[112:113] op_sel:[0,0,1] op_sel_hi:[1,1,0] neg_lo:[0,0,1] neg_hi:[0,0,1]
	v_pk_fma_f32 v[112:113], v[114:115], v[102:103], v[112:113] op_sel:[0,0,1] op_sel_hi:[1,0,0]
	s_delay_alu instid0(VALU_DEP_1) | instskip(SKIP_4) | instid1(VALU_DEP_1)
	v_mov_b32_e32 v117, v113
	ds_load_2addr_b64 v[112:115], v106 offset0:30 offset1:31
	v_pk_add_f32 v[50:51], v[50:51], v[116:117] neg_lo:[0,1] neg_hi:[0,1]
	s_wait_dscnt 0x0
	v_pk_mul_f32 v[116:117], v[112:113], v[104:105] op_sel:[0,1]
	v_pk_fma_f32 v[118:119], v[112:113], v[102:103], v[116:117] op_sel:[0,0,1] op_sel_hi:[1,1,0] neg_lo:[0,0,1] neg_hi:[0,0,1]
	v_pk_fma_f32 v[112:113], v[112:113], v[102:103], v[116:117] op_sel:[0,0,1] op_sel_hi:[1,0,0]
	v_dual_mul_f32 v116, v115, v105 :: v_dual_mov_b32 v112, v115
	s_delay_alu instid0(VALU_DEP_2) | instskip(NEXT) | instid1(VALU_DEP_2)
	v_dual_mov_b32 v119, v113 :: v_dual_mov_b32 v113, v114
	v_pk_fma_f32 v[116:117], v[114:115], v[74:75], v[116:117] op_sel_hi:[1,1,0] neg_lo:[0,0,1] neg_hi:[0,0,1]
	v_mul_f32_e32 v114, v115, v102
	s_delay_alu instid0(VALU_DEP_3) | instskip(NEXT) | instid1(VALU_DEP_2)
	v_pk_add_f32 v[52:53], v[52:53], v[118:119] neg_lo:[0,1] neg_hi:[0,1]
	v_pk_fma_f32 v[112:113], v[112:113], v[74:75], v[114:115] op_sel_hi:[1,1,0]
	s_delay_alu instid0(VALU_DEP_1) | instskip(SKIP_4) | instid1(VALU_DEP_1)
	v_mov_b32_e32 v117, v113
	ds_load_2addr_b64 v[112:115], v106 offset0:32 offset1:33
	v_pk_add_f32 v[12:13], v[12:13], v[116:117] neg_lo:[0,1] neg_hi:[0,1]
	s_wait_dscnt 0x0
	v_pk_mul_f32 v[116:117], v[112:113], v[104:105] op_sel:[0,1]
	v_pk_fma_f32 v[118:119], v[112:113], v[102:103], v[116:117] op_sel:[0,0,1] op_sel_hi:[1,1,0] neg_lo:[0,0,1] neg_hi:[0,0,1]
	v_pk_fma_f32 v[112:113], v[112:113], v[102:103], v[116:117] op_sel:[0,0,1] op_sel_hi:[1,0,0]
	s_delay_alu instid0(VALU_DEP_1) | instskip(SKIP_1) | instid1(VALU_DEP_1)
	v_mov_b32_e32 v119, v113
	v_pk_mul_f32 v[112:113], v[114:115], v[104:105] op_sel:[0,1]
	v_pk_fma_f32 v[116:117], v[114:115], v[102:103], v[112:113] op_sel:[0,0,1] op_sel_hi:[1,1,0] neg_lo:[0,0,1] neg_hi:[0,0,1]
	v_pk_fma_f32 v[112:113], v[114:115], v[102:103], v[112:113] op_sel:[0,0,1] op_sel_hi:[1,0,0]
	s_delay_alu instid0(VALU_DEP_1)
	v_mov_b32_e32 v117, v113
	ds_load_2addr_b64 v[112:115], v106 offset0:34 offset1:35
	v_pk_add_f32 v[48:49], v[48:49], v[118:119] neg_lo:[0,1] neg_hi:[0,1]
	v_pk_add_f32 v[44:45], v[44:45], v[116:117] neg_lo:[0,1] neg_hi:[0,1]
	s_wait_dscnt 0x0
	v_pk_mul_f32 v[116:117], v[112:113], v[104:105] op_sel:[0,1]
	s_delay_alu instid0(VALU_DEP_1) | instskip(SKIP_1) | instid1(VALU_DEP_1)
	v_pk_fma_f32 v[118:119], v[112:113], v[102:103], v[116:117] op_sel:[0,0,1] op_sel_hi:[1,1,0] neg_lo:[0,0,1] neg_hi:[0,0,1]
	v_pk_fma_f32 v[112:113], v[112:113], v[102:103], v[116:117] op_sel:[0,0,1] op_sel_hi:[1,0,0]
	v_mov_b32_e32 v119, v113
	v_pk_mul_f32 v[112:113], v[114:115], v[104:105] op_sel:[0,1]
	s_delay_alu instid0(VALU_DEP_1) | instskip(SKIP_1) | instid1(VALU_DEP_1)
	v_pk_fma_f32 v[116:117], v[114:115], v[102:103], v[112:113] op_sel:[0,0,1] op_sel_hi:[1,1,0] neg_lo:[0,0,1] neg_hi:[0,0,1]
	v_pk_fma_f32 v[112:113], v[114:115], v[102:103], v[112:113] op_sel:[0,0,1] op_sel_hi:[1,0,0]
	v_mov_b32_e32 v117, v113
	ds_load_2addr_b64 v[112:115], v106 offset0:36 offset1:37
	v_pk_add_f32 v[46:47], v[46:47], v[118:119] neg_lo:[0,1] neg_hi:[0,1]
	v_pk_add_f32 v[10:11], v[10:11], v[116:117] neg_lo:[0,1] neg_hi:[0,1]
	s_wait_dscnt 0x0
	v_dual_mul_f32 v116, v113, v105 :: v_dual_mul_f32 v118, v113, v102
	s_delay_alu instid0(VALU_DEP_1) | instskip(NEXT) | instid1(VALU_DEP_2)
	v_pk_fma_f32 v[116:117], v[112:113], v[74:75], v[116:117] op_sel_hi:[1,1,0] neg_lo:[0,0,1] neg_hi:[0,0,1]
	v_pk_fma_f32 v[112:113], v[112:113], v[74:75], v[118:119] op_sel:[1,0,0] op_sel_hi:[0,1,0]
	s_delay_alu instid0(VALU_DEP_1) | instskip(SKIP_1) | instid1(VALU_DEP_2)
	v_mov_b32_e32 v117, v113
	v_pk_mul_f32 v[112:113], v[114:115], v[104:105] op_sel:[0,1]
	v_pk_add_f32 v[42:43], v[42:43], v[116:117] neg_lo:[0,1] neg_hi:[0,1]
	s_delay_alu instid0(VALU_DEP_2) | instskip(SKIP_1) | instid1(VALU_DEP_1)
	v_pk_fma_f32 v[116:117], v[114:115], v[102:103], v[112:113] op_sel:[0,0,1] op_sel_hi:[1,1,0] neg_lo:[0,0,1] neg_hi:[0,0,1]
	v_pk_fma_f32 v[112:113], v[114:115], v[102:103], v[112:113] op_sel:[0,0,1] op_sel_hi:[1,0,0]
	v_mov_b32_e32 v117, v113
	ds_load_2addr_b64 v[112:115], v106 offset0:38 offset1:39
	v_pk_add_f32 v[38:39], v[38:39], v[116:117] neg_lo:[0,1] neg_hi:[0,1]
	s_wait_dscnt 0x0
	v_pk_mul_f32 v[116:117], v[112:113], v[104:105] op_sel:[0,1]
	s_delay_alu instid0(VALU_DEP_1) | instskip(SKIP_1) | instid1(VALU_DEP_1)
	v_pk_fma_f32 v[118:119], v[112:113], v[102:103], v[116:117] op_sel:[0,0,1] op_sel_hi:[1,1,0] neg_lo:[0,0,1] neg_hi:[0,0,1]
	v_pk_fma_f32 v[112:113], v[112:113], v[102:103], v[116:117] op_sel:[0,0,1] op_sel_hi:[1,0,0]
	v_mov_b32_e32 v119, v113
	v_pk_mul_f32 v[112:113], v[114:115], v[104:105] op_sel:[0,1]
	s_delay_alu instid0(VALU_DEP_2) | instskip(NEXT) | instid1(VALU_DEP_2)
	v_pk_add_f32 v[40:41], v[40:41], v[118:119] neg_lo:[0,1] neg_hi:[0,1]
	v_pk_fma_f32 v[116:117], v[114:115], v[102:103], v[112:113] op_sel:[0,0,1] op_sel_hi:[1,1,0] neg_lo:[0,0,1] neg_hi:[0,0,1]
	v_pk_fma_f32 v[112:113], v[114:115], v[102:103], v[112:113] op_sel:[0,0,1] op_sel_hi:[1,0,0]
	s_delay_alu instid0(VALU_DEP_1) | instskip(SKIP_4) | instid1(VALU_DEP_1)
	v_mov_b32_e32 v117, v113
	ds_load_2addr_b64 v[112:115], v106 offset0:40 offset1:41
	v_pk_add_f32 v[6:7], v[6:7], v[116:117] neg_lo:[0,1] neg_hi:[0,1]
	s_wait_dscnt 0x0
	v_pk_mul_f32 v[116:117], v[112:113], v[104:105] op_sel:[0,1]
	v_pk_fma_f32 v[118:119], v[112:113], v[102:103], v[116:117] op_sel:[0,0,1] op_sel_hi:[1,1,0] neg_lo:[0,0,1] neg_hi:[0,0,1]
	v_pk_fma_f32 v[112:113], v[112:113], v[102:103], v[116:117] op_sel:[0,0,1] op_sel_hi:[1,0,0]
	v_dual_mul_f32 v116, v115, v105 :: v_dual_mov_b32 v112, v115
	s_delay_alu instid0(VALU_DEP_2) | instskip(NEXT) | instid1(VALU_DEP_2)
	v_dual_mov_b32 v119, v113 :: v_dual_mov_b32 v113, v114
	v_pk_fma_f32 v[116:117], v[114:115], v[74:75], v[116:117] op_sel_hi:[1,1,0] neg_lo:[0,0,1] neg_hi:[0,0,1]
	v_mul_f32_e32 v114, v115, v102
	s_delay_alu instid0(VALU_DEP_3) | instskip(NEXT) | instid1(VALU_DEP_2)
	v_pk_add_f32 v[36:37], v[36:37], v[118:119] neg_lo:[0,1] neg_hi:[0,1]
	v_pk_fma_f32 v[112:113], v[112:113], v[74:75], v[114:115] op_sel_hi:[1,1,0]
	s_delay_alu instid0(VALU_DEP_1) | instskip(SKIP_4) | instid1(VALU_DEP_1)
	v_mov_b32_e32 v117, v113
	ds_load_2addr_b64 v[112:115], v106 offset0:42 offset1:43
	v_pk_add_f32 v[30:31], v[30:31], v[116:117] neg_lo:[0,1] neg_hi:[0,1]
	s_wait_dscnt 0x0
	v_pk_mul_f32 v[116:117], v[112:113], v[104:105] op_sel:[0,1]
	v_pk_fma_f32 v[118:119], v[112:113], v[102:103], v[116:117] op_sel:[0,0,1] op_sel_hi:[1,1,0] neg_lo:[0,0,1] neg_hi:[0,0,1]
	v_pk_fma_f32 v[112:113], v[112:113], v[102:103], v[116:117] op_sel:[0,0,1] op_sel_hi:[1,0,0]
	s_delay_alu instid0(VALU_DEP_1) | instskip(SKIP_1) | instid1(VALU_DEP_1)
	v_mov_b32_e32 v119, v113
	v_pk_mul_f32 v[112:113], v[114:115], v[104:105] op_sel:[0,1]
	v_pk_fma_f32 v[116:117], v[114:115], v[102:103], v[112:113] op_sel:[0,0,1] op_sel_hi:[1,1,0] neg_lo:[0,0,1] neg_hi:[0,0,1]
	v_pk_fma_f32 v[112:113], v[114:115], v[102:103], v[112:113] op_sel:[0,0,1] op_sel_hi:[1,0,0]
	s_delay_alu instid0(VALU_DEP_1)
	v_mov_b32_e32 v117, v113
	ds_load_2addr_b64 v[112:115], v106 offset0:44 offset1:45
	v_pk_add_f32 v[34:35], v[34:35], v[118:119] neg_lo:[0,1] neg_hi:[0,1]
	v_pk_add_f32 v[8:9], v[8:9], v[116:117] neg_lo:[0,1] neg_hi:[0,1]
	s_wait_dscnt 0x0
	v_pk_mul_f32 v[116:117], v[112:113], v[104:105] op_sel:[0,1]
	s_delay_alu instid0(VALU_DEP_1) | instskip(SKIP_1) | instid1(VALU_DEP_1)
	v_pk_fma_f32 v[118:119], v[112:113], v[102:103], v[116:117] op_sel:[0,0,1] op_sel_hi:[1,1,0] neg_lo:[0,0,1] neg_hi:[0,0,1]
	v_pk_fma_f32 v[112:113], v[112:113], v[102:103], v[116:117] op_sel:[0,0,1] op_sel_hi:[1,0,0]
	v_mov_b32_e32 v119, v113
	v_pk_mul_f32 v[112:113], v[114:115], v[104:105] op_sel:[0,1]
	s_delay_alu instid0(VALU_DEP_1) | instskip(SKIP_1) | instid1(VALU_DEP_1)
	v_pk_fma_f32 v[116:117], v[114:115], v[102:103], v[112:113] op_sel:[0,0,1] op_sel_hi:[1,1,0] neg_lo:[0,0,1] neg_hi:[0,0,1]
	v_pk_fma_f32 v[112:113], v[114:115], v[102:103], v[112:113] op_sel:[0,0,1] op_sel_hi:[1,0,0]
	v_mov_b32_e32 v117, v113
	ds_load_2addr_b64 v[112:115], v106 offset0:46 offset1:47
	v_pk_add_f32 v[28:29], v[28:29], v[118:119] neg_lo:[0,1] neg_hi:[0,1]
	v_pk_add_f32 v[18:19], v[18:19], v[116:117] neg_lo:[0,1] neg_hi:[0,1]
	s_wait_dscnt 0x0
	v_mul_f32_e32 v104, v113, v105
	s_delay_alu instid0(VALU_DEP_1) | instskip(SKIP_1) | instid1(VALU_DEP_1)
	v_pk_fma_f32 v[116:117], v[112:113], v[74:75], v[104:105] op_sel_hi:[1,1,0] neg_lo:[0,0,1] neg_hi:[0,0,1]
	v_dual_mul_f32 v104, v113, v102 :: v_dual_mul_f32 v102, v115, v102
	v_pk_fma_f32 v[112:113], v[112:113], v[74:75], v[104:105] op_sel:[1,0,0] op_sel_hi:[0,1,0]
	v_dual_mov_b32 v112, v115 :: v_dual_mul_f32 v104, v115, v105
	s_delay_alu instid0(VALU_DEP_2) | instskip(NEXT) | instid1(VALU_DEP_2)
	v_dual_mov_b32 v117, v113 :: v_dual_mov_b32 v113, v114
	v_pk_fma_f32 v[104:105], v[114:115], v[74:75], v[104:105] op_sel_hi:[1,1,0] neg_lo:[0,0,1] neg_hi:[0,0,1]
	s_delay_alu instid0(VALU_DEP_2) | instskip(NEXT) | instid1(VALU_DEP_3)
	v_pk_add_f32 v[14:15], v[14:15], v[116:117] neg_lo:[0,1] neg_hi:[0,1]
	v_pk_fma_f32 v[102:103], v[112:113], v[74:75], v[102:103] op_sel_hi:[1,1,0]
	s_delay_alu instid0(VALU_DEP_1) | instskip(NEXT) | instid1(VALU_DEP_1)
	v_mov_b32_e32 v105, v103
	v_pk_add_f32 v[100:101], v[100:101], v[104:105] neg_lo:[0,1] neg_hi:[0,1]
.LBB94_377:
	s_or_b32 exec_lo, exec_lo, s0
	v_lshl_add_u32 v102, v110, 3, v106
	s_barrier_signal -1
	s_barrier_wait -1
	ds_store_b64 v102, v[76:77]
	s_wait_dscnt 0x0
	s_barrier_signal -1
	s_barrier_wait -1
	ds_load_b64 v[104:105], v106 offset:144
	v_mov_b32_e32 v102, 18
	s_cmp_lt_i32 s18, 20
	s_cbranch_scc1 .LBB94_380
; %bb.378:
	v_add3_u32 v103, v107, 0, 0x98
	v_mov_b32_e32 v102, 18
	s_mov_b32 s0, 19
.LBB94_379:                             ; =>This Inner Loop Header: Depth=1
	ds_load_b64 v[112:113], v103
	s_wait_dscnt 0x1
	v_cmp_gt_f32_e32 vcc_lo, 0, v104
	v_cndmask_b32_e64 v114, v104, -v104, vcc_lo
	v_cmp_gt_f32_e32 vcc_lo, 0, v105
	v_cndmask_b32_e64 v116, v105, -v105, vcc_lo
	s_wait_dscnt 0x0
	v_cmp_gt_f32_e32 vcc_lo, 0, v112
	v_cndmask_b32_e64 v115, v112, -v112, vcc_lo
	v_cmp_gt_f32_e32 vcc_lo, 0, v113
	v_cndmask_b32_e64 v117, v113, -v113, vcc_lo
	s_delay_alu instid0(VALU_DEP_1) | instskip(NEXT) | instid1(VALU_DEP_1)
	v_pk_add_f32 v[114:115], v[114:115], v[116:117]
	v_cmp_lt_f32_e32 vcc_lo, v114, v115
	v_dual_add_nc_u32 v103, 8, v103 :: v_dual_cndmask_b32 v105, v105, v113, vcc_lo
	v_cndmask_b32_e32 v104, v104, v112, vcc_lo
	v_cndmask_b32_e64 v102, v102, s0, vcc_lo
	s_add_co_i32 s0, s0, 1
	s_delay_alu instid0(SALU_CYCLE_1)
	s_cmp_lg_u32 s18, s0
	s_cbranch_scc1 .LBB94_379
.LBB94_380:
	s_wait_dscnt 0x0
	v_cmp_eq_f32_e32 vcc_lo, 0, v104
	v_cmp_eq_f32_e64 s0, 0, v105
	s_and_b32 s0, vcc_lo, s0
	s_delay_alu instid0(SALU_CYCLE_1) | instskip(NEXT) | instid1(SALU_CYCLE_1)
	s_and_saveexec_b32 s1, s0
	s_xor_b32 s0, exec_lo, s1
; %bb.381:
	v_cmp_ne_u32_e32 vcc_lo, 0, v108
	v_cndmask_b32_e32 v108, 19, v108, vcc_lo
; %bb.382:
	s_and_not1_saveexec_b32 s0, s0
	s_cbranch_execz .LBB94_388
; %bb.383:
	v_cmp_ngt_f32_e64 s1, |v104|, |v105|
	s_and_saveexec_b32 s12, s1
	s_delay_alu instid0(SALU_CYCLE_1)
	s_xor_b32 s1, exec_lo, s12
	s_cbranch_execz .LBB94_385
; %bb.384:
	v_div_scale_f32 v103, null, v105, v105, v104
	v_div_scale_f32 v113, vcc_lo, v104, v105, v104
	s_delay_alu instid0(VALU_DEP_2) | instskip(SKIP_1) | instid1(TRANS32_DEP_1)
	v_rcp_f32_e32 v111, v103
	v_nop
	v_fma_f32 v112, -v103, v111, 1.0
	s_delay_alu instid0(VALU_DEP_1) | instskip(NEXT) | instid1(VALU_DEP_1)
	v_fmac_f32_e32 v111, v112, v111
	v_mul_f32_e32 v112, v113, v111
	s_delay_alu instid0(VALU_DEP_1) | instskip(NEXT) | instid1(VALU_DEP_1)
	v_fma_f32 v114, -v103, v112, v113
	v_fmac_f32_e32 v112, v114, v111
	s_delay_alu instid0(VALU_DEP_1) | instskip(NEXT) | instid1(VALU_DEP_1)
	v_fma_f32 v103, -v103, v112, v113
	v_div_fmas_f32 v103, v103, v111, v112
	s_delay_alu instid0(VALU_DEP_1) | instskip(NEXT) | instid1(VALU_DEP_1)
	v_div_fixup_f32 v103, v103, v105, v104
	v_fmac_f32_e32 v105, v104, v103
	s_delay_alu instid0(VALU_DEP_1) | instskip(SKIP_1) | instid1(VALU_DEP_2)
	v_div_scale_f32 v104, null, v105, v105, 1.0
	v_div_scale_f32 v113, vcc_lo, 1.0, v105, 1.0
	v_rcp_f32_e32 v111, v104
	v_nop
	s_delay_alu instid0(TRANS32_DEP_1) | instskip(NEXT) | instid1(VALU_DEP_1)
	v_fma_f32 v112, -v104, v111, 1.0
	v_fmac_f32_e32 v111, v112, v111
	s_delay_alu instid0(VALU_DEP_1) | instskip(NEXT) | instid1(VALU_DEP_1)
	v_mul_f32_e32 v112, v113, v111
	v_fma_f32 v114, -v104, v112, v113
	s_delay_alu instid0(VALU_DEP_1) | instskip(NEXT) | instid1(VALU_DEP_1)
	v_fmac_f32_e32 v112, v114, v111
	v_fma_f32 v104, -v104, v112, v113
	s_delay_alu instid0(VALU_DEP_1) | instskip(NEXT) | instid1(VALU_DEP_1)
	v_div_fmas_f32 v104, v104, v111, v112
	v_div_fixup_f32 v105, v104, v105, 1.0
	s_delay_alu instid0(VALU_DEP_1)
	v_mul_f32_e32 v104, v103, v105
	v_xor_b32_e32 v105, 0x80000000, v105
.LBB94_385:
	s_and_not1_saveexec_b32 s1, s1
	s_cbranch_execz .LBB94_387
; %bb.386:
	s_delay_alu instid0(VALU_DEP_1) | instskip(SKIP_1) | instid1(VALU_DEP_2)
	v_div_scale_f32 v103, null, v104, v104, v105
	v_div_scale_f32 v113, vcc_lo, v105, v104, v105
	v_rcp_f32_e32 v111, v103
	v_nop
	s_delay_alu instid0(TRANS32_DEP_1) | instskip(NEXT) | instid1(VALU_DEP_1)
	v_fma_f32 v112, -v103, v111, 1.0
	v_fmac_f32_e32 v111, v112, v111
	s_delay_alu instid0(VALU_DEP_1) | instskip(NEXT) | instid1(VALU_DEP_1)
	v_mul_f32_e32 v112, v113, v111
	v_fma_f32 v114, -v103, v112, v113
	s_delay_alu instid0(VALU_DEP_1) | instskip(NEXT) | instid1(VALU_DEP_1)
	v_fmac_f32_e32 v112, v114, v111
	v_fma_f32 v103, -v103, v112, v113
	s_delay_alu instid0(VALU_DEP_1) | instskip(NEXT) | instid1(VALU_DEP_1)
	v_div_fmas_f32 v103, v103, v111, v112
	v_div_fixup_f32 v103, v103, v104, v105
	s_delay_alu instid0(VALU_DEP_1) | instskip(NEXT) | instid1(VALU_DEP_1)
	v_fmac_f32_e32 v104, v105, v103
	v_div_scale_f32 v105, null, v104, v104, 1.0
	s_delay_alu instid0(VALU_DEP_1) | instskip(SKIP_1) | instid1(TRANS32_DEP_1)
	v_rcp_f32_e32 v111, v105
	v_nop
	v_fma_f32 v112, -v105, v111, 1.0
	s_delay_alu instid0(VALU_DEP_1) | instskip(SKIP_1) | instid1(VALU_DEP_1)
	v_fmac_f32_e32 v111, v112, v111
	v_div_scale_f32 v112, vcc_lo, 1.0, v104, 1.0
	v_mul_f32_e32 v113, v112, v111
	s_delay_alu instid0(VALU_DEP_1) | instskip(NEXT) | instid1(VALU_DEP_1)
	v_fma_f32 v114, -v105, v113, v112
	v_fmac_f32_e32 v113, v114, v111
	s_delay_alu instid0(VALU_DEP_1) | instskip(NEXT) | instid1(VALU_DEP_1)
	v_fma_f32 v105, -v105, v113, v112
	v_div_fmas_f32 v105, v105, v111, v113
	s_delay_alu instid0(VALU_DEP_1) | instskip(NEXT) | instid1(VALU_DEP_1)
	v_div_fixup_f32 v104, v105, v104, 1.0
	v_mul_f32_e64 v105, v103, -v104
.LBB94_387:
	s_or_b32 exec_lo, exec_lo, s1
.LBB94_388:
	s_delay_alu instid0(SALU_CYCLE_1) | instskip(NEXT) | instid1(SALU_CYCLE_1)
	s_or_b32 exec_lo, exec_lo, s0
	s_mov_b32 s0, exec_lo
	v_cmpx_ne_u32_e64 v110, v102
	s_xor_b32 s0, exec_lo, s0
	s_cbranch_execz .LBB94_394
; %bb.389:
	s_mov_b32 s1, exec_lo
	v_cmpx_eq_u32_e32 18, v110
	s_cbranch_execz .LBB94_393
; %bb.390:
	v_cmp_ne_u32_e32 vcc_lo, 18, v102
	s_xor_b32 s12, s16, -1
	s_delay_alu instid0(SALU_CYCLE_1) | instskip(NEXT) | instid1(SALU_CYCLE_1)
	s_and_b32 s13, s12, vcc_lo
	s_and_saveexec_b32 s12, s13
	s_cbranch_execz .LBB94_392
; %bb.391:
	v_ashrrev_i32_e32 v103, 31, v102
	s_delay_alu instid0(VALU_DEP_1)
	v_lshl_add_u64 v[110:111], v[102:103], 2, v[4:5]
	s_clause 0x1
	global_load_b32 v103, v[110:111], off
	global_load_b32 v109, v[4:5], off offset:72
	s_wait_loadcnt 0x1
	global_store_b32 v[4:5], v103, off offset:72
	s_wait_loadcnt 0x0
	global_store_b32 v[110:111], v109, off
.LBB94_392:
	s_wait_xcnt 0x0
	s_or_b32 exec_lo, exec_lo, s12
	v_dual_mov_b32 v110, v102 :: v_dual_mov_b32 v109, v102
.LBB94_393:
	s_or_b32 exec_lo, exec_lo, s1
.LBB94_394:
	s_and_not1_saveexec_b32 s0, s0
	s_cbranch_execz .LBB94_396
; %bb.395:
	v_mov_b32_e32 v110, 18
	ds_store_2addr_b64 v106, v[24:25], v[72:73] offset0:19 offset1:20
	ds_store_2addr_b64 v106, v[68:69], v[70:71] offset0:21 offset1:22
	;; [unrolled: 1-line block ×14, first 2 shown]
	ds_store_b64 v106, v[100:101] offset:376
.LBB94_396:
	s_or_b32 exec_lo, exec_lo, s0
	s_delay_alu instid0(SALU_CYCLE_1)
	s_mov_b32 s0, exec_lo
	s_wait_storecnt_dscnt 0x0
	s_barrier_signal -1
	s_barrier_wait -1
	v_cmpx_lt_i32_e32 18, v110
	s_cbranch_execz .LBB94_398
; %bb.397:
	v_pk_mul_f32 v[112:113], v[104:105], v[76:77] op_sel:[1,1] op_sel_hi:[0,1]
	s_delay_alu instid0(VALU_DEP_1)
	v_pk_fma_f32 v[102:103], v[104:105], v[76:77], v[112:113] op_sel_hi:[1,0,1] neg_lo:[0,0,1] neg_hi:[0,0,1]
	v_pk_fma_f32 v[104:105], v[104:105], v[76:77], v[112:113] op_sel_hi:[1,0,1]
	ds_load_2addr_b64 v[112:115], v106 offset0:19 offset1:20
	v_dual_mov_b32 v76, v102 :: v_dual_mov_b32 v77, v105
	s_wait_dscnt 0x0
	v_pk_mul_f32 v[116:117], v[112:113], v[104:105] op_sel:[0,1]
	s_delay_alu instid0(VALU_DEP_1) | instskip(SKIP_1) | instid1(VALU_DEP_1)
	v_pk_fma_f32 v[118:119], v[112:113], v[102:103], v[116:117] op_sel:[0,0,1] op_sel_hi:[1,1,0] neg_lo:[0,0,1] neg_hi:[0,0,1]
	v_pk_fma_f32 v[112:113], v[112:113], v[102:103], v[116:117] op_sel:[0,0,1] op_sel_hi:[1,0,0]
	v_mov_b32_e32 v119, v113
	v_pk_mul_f32 v[112:113], v[114:115], v[104:105] op_sel:[0,1]
	s_delay_alu instid0(VALU_DEP_1) | instskip(SKIP_1) | instid1(VALU_DEP_1)
	v_pk_fma_f32 v[116:117], v[114:115], v[102:103], v[112:113] op_sel:[0,0,1] op_sel_hi:[1,1,0] neg_lo:[0,0,1] neg_hi:[0,0,1]
	v_pk_fma_f32 v[112:113], v[114:115], v[102:103], v[112:113] op_sel:[0,0,1] op_sel_hi:[1,0,0]
	v_mov_b32_e32 v117, v113
	ds_load_2addr_b64 v[112:115], v106 offset0:21 offset1:22
	v_pk_add_f32 v[24:25], v[24:25], v[118:119] neg_lo:[0,1] neg_hi:[0,1]
	v_pk_add_f32 v[72:73], v[72:73], v[116:117] neg_lo:[0,1] neg_hi:[0,1]
	s_wait_dscnt 0x0
	v_pk_mul_f32 v[116:117], v[112:113], v[104:105] op_sel:[0,1]
	s_delay_alu instid0(VALU_DEP_1) | instskip(SKIP_2) | instid1(VALU_DEP_2)
	v_pk_fma_f32 v[118:119], v[112:113], v[102:103], v[116:117] op_sel:[0,0,1] op_sel_hi:[1,1,0] neg_lo:[0,0,1] neg_hi:[0,0,1]
	v_pk_fma_f32 v[112:113], v[112:113], v[102:103], v[116:117] op_sel:[0,0,1] op_sel_hi:[1,0,0]
	v_dual_mul_f32 v116, v115, v105 :: v_dual_mov_b32 v112, v115
	v_dual_mov_b32 v119, v113 :: v_dual_mov_b32 v113, v114
	s_delay_alu instid0(VALU_DEP_2) | instskip(SKIP_1) | instid1(VALU_DEP_3)
	v_pk_fma_f32 v[116:117], v[114:115], v[76:77], v[116:117] op_sel_hi:[1,1,0] neg_lo:[0,0,1] neg_hi:[0,0,1]
	v_mul_f32_e32 v114, v115, v102
	v_pk_add_f32 v[68:69], v[68:69], v[118:119] neg_lo:[0,1] neg_hi:[0,1]
	s_delay_alu instid0(VALU_DEP_2) | instskip(NEXT) | instid1(VALU_DEP_1)
	v_pk_fma_f32 v[112:113], v[112:113], v[76:77], v[114:115] op_sel_hi:[1,1,0]
	v_mov_b32_e32 v117, v113
	ds_load_2addr_b64 v[112:115], v106 offset0:23 offset1:24
	v_pk_add_f32 v[70:71], v[70:71], v[116:117] neg_lo:[0,1] neg_hi:[0,1]
	s_wait_dscnt 0x0
	v_pk_mul_f32 v[116:117], v[112:113], v[104:105] op_sel:[0,1]
	s_delay_alu instid0(VALU_DEP_1) | instskip(SKIP_1) | instid1(VALU_DEP_1)
	v_pk_fma_f32 v[118:119], v[112:113], v[102:103], v[116:117] op_sel:[0,0,1] op_sel_hi:[1,1,0] neg_lo:[0,0,1] neg_hi:[0,0,1]
	v_pk_fma_f32 v[112:113], v[112:113], v[102:103], v[116:117] op_sel:[0,0,1] op_sel_hi:[1,0,0]
	v_mov_b32_e32 v119, v113
	v_pk_mul_f32 v[112:113], v[114:115], v[104:105] op_sel:[0,1]
	s_delay_alu instid0(VALU_DEP_1) | instskip(SKIP_1) | instid1(VALU_DEP_1)
	v_pk_fma_f32 v[116:117], v[114:115], v[102:103], v[112:113] op_sel:[0,0,1] op_sel_hi:[1,1,0] neg_lo:[0,0,1] neg_hi:[0,0,1]
	v_pk_fma_f32 v[112:113], v[114:115], v[102:103], v[112:113] op_sel:[0,0,1] op_sel_hi:[1,0,0]
	v_mov_b32_e32 v117, v113
	ds_load_2addr_b64 v[112:115], v106 offset0:25 offset1:26
	v_pk_add_f32 v[22:23], v[22:23], v[118:119] neg_lo:[0,1] neg_hi:[0,1]
	v_pk_add_f32 v[66:67], v[66:67], v[116:117] neg_lo:[0,1] neg_hi:[0,1]
	s_wait_dscnt 0x0
	v_pk_mul_f32 v[116:117], v[112:113], v[104:105] op_sel:[0,1]
	s_delay_alu instid0(VALU_DEP_1) | instskip(SKIP_1) | instid1(VALU_DEP_1)
	v_pk_fma_f32 v[118:119], v[112:113], v[102:103], v[116:117] op_sel:[0,0,1] op_sel_hi:[1,1,0] neg_lo:[0,0,1] neg_hi:[0,0,1]
	v_pk_fma_f32 v[112:113], v[112:113], v[102:103], v[116:117] op_sel:[0,0,1] op_sel_hi:[1,0,0]
	v_mov_b32_e32 v119, v113
	v_pk_mul_f32 v[112:113], v[114:115], v[104:105] op_sel:[0,1]
	s_delay_alu instid0(VALU_DEP_1) | instskip(SKIP_1) | instid1(VALU_DEP_1)
	v_pk_fma_f32 v[116:117], v[114:115], v[102:103], v[112:113] op_sel:[0,0,1] op_sel_hi:[1,1,0] neg_lo:[0,0,1] neg_hi:[0,0,1]
	v_pk_fma_f32 v[112:113], v[114:115], v[102:103], v[112:113] op_sel:[0,0,1] op_sel_hi:[1,0,0]
	v_mov_b32_e32 v117, v113
	ds_load_2addr_b64 v[112:115], v106 offset0:27 offset1:28
	v_pk_add_f32 v[62:63], v[62:63], v[118:119] neg_lo:[0,1] neg_hi:[0,1]
	v_pk_add_f32 v[64:65], v[64:65], v[116:117] neg_lo:[0,1] neg_hi:[0,1]
	s_wait_dscnt 0x0
	v_dual_mul_f32 v116, v113, v105 :: v_dual_mul_f32 v118, v113, v102
	s_delay_alu instid0(VALU_DEP_1) | instskip(NEXT) | instid1(VALU_DEP_2)
	v_pk_fma_f32 v[116:117], v[112:113], v[76:77], v[116:117] op_sel_hi:[1,1,0] neg_lo:[0,0,1] neg_hi:[0,0,1]
	v_pk_fma_f32 v[112:113], v[112:113], v[76:77], v[118:119] op_sel:[1,0,0] op_sel_hi:[0,1,0]
	s_delay_alu instid0(VALU_DEP_1) | instskip(SKIP_1) | instid1(VALU_DEP_2)
	v_mov_b32_e32 v117, v113
	v_pk_mul_f32 v[112:113], v[114:115], v[104:105] op_sel:[0,1]
	v_pk_add_f32 v[20:21], v[20:21], v[116:117] neg_lo:[0,1] neg_hi:[0,1]
	s_delay_alu instid0(VALU_DEP_2) | instskip(SKIP_1) | instid1(VALU_DEP_1)
	v_pk_fma_f32 v[116:117], v[114:115], v[102:103], v[112:113] op_sel:[0,0,1] op_sel_hi:[1,1,0] neg_lo:[0,0,1] neg_hi:[0,0,1]
	v_pk_fma_f32 v[112:113], v[114:115], v[102:103], v[112:113] op_sel:[0,0,1] op_sel_hi:[1,0,0]
	v_mov_b32_e32 v117, v113
	ds_load_2addr_b64 v[112:115], v106 offset0:29 offset1:30
	v_pk_add_f32 v[54:55], v[54:55], v[116:117] neg_lo:[0,1] neg_hi:[0,1]
	s_wait_dscnt 0x0
	v_pk_mul_f32 v[116:117], v[112:113], v[104:105] op_sel:[0,1]
	s_delay_alu instid0(VALU_DEP_1) | instskip(SKIP_1) | instid1(VALU_DEP_1)
	v_pk_fma_f32 v[118:119], v[112:113], v[102:103], v[116:117] op_sel:[0,0,1] op_sel_hi:[1,1,0] neg_lo:[0,0,1] neg_hi:[0,0,1]
	v_pk_fma_f32 v[112:113], v[112:113], v[102:103], v[116:117] op_sel:[0,0,1] op_sel_hi:[1,0,0]
	v_mov_b32_e32 v119, v113
	v_pk_mul_f32 v[112:113], v[114:115], v[104:105] op_sel:[0,1]
	s_delay_alu instid0(VALU_DEP_2) | instskip(NEXT) | instid1(VALU_DEP_2)
	v_pk_add_f32 v[50:51], v[50:51], v[118:119] neg_lo:[0,1] neg_hi:[0,1]
	v_pk_fma_f32 v[116:117], v[114:115], v[102:103], v[112:113] op_sel:[0,0,1] op_sel_hi:[1,1,0] neg_lo:[0,0,1] neg_hi:[0,0,1]
	v_pk_fma_f32 v[112:113], v[114:115], v[102:103], v[112:113] op_sel:[0,0,1] op_sel_hi:[1,0,0]
	s_delay_alu instid0(VALU_DEP_1) | instskip(SKIP_4) | instid1(VALU_DEP_1)
	v_mov_b32_e32 v117, v113
	ds_load_2addr_b64 v[112:115], v106 offset0:31 offset1:32
	v_pk_add_f32 v[52:53], v[52:53], v[116:117] neg_lo:[0,1] neg_hi:[0,1]
	s_wait_dscnt 0x0
	v_pk_mul_f32 v[116:117], v[112:113], v[104:105] op_sel:[0,1]
	v_pk_fma_f32 v[118:119], v[112:113], v[102:103], v[116:117] op_sel:[0,0,1] op_sel_hi:[1,1,0] neg_lo:[0,0,1] neg_hi:[0,0,1]
	v_pk_fma_f32 v[112:113], v[112:113], v[102:103], v[116:117] op_sel:[0,0,1] op_sel_hi:[1,0,0]
	v_dual_mul_f32 v116, v115, v105 :: v_dual_mov_b32 v112, v115
	s_delay_alu instid0(VALU_DEP_2) | instskip(NEXT) | instid1(VALU_DEP_2)
	v_dual_mov_b32 v119, v113 :: v_dual_mov_b32 v113, v114
	v_pk_fma_f32 v[116:117], v[114:115], v[76:77], v[116:117] op_sel_hi:[1,1,0] neg_lo:[0,0,1] neg_hi:[0,0,1]
	v_mul_f32_e32 v114, v115, v102
	s_delay_alu instid0(VALU_DEP_3) | instskip(NEXT) | instid1(VALU_DEP_2)
	v_pk_add_f32 v[12:13], v[12:13], v[118:119] neg_lo:[0,1] neg_hi:[0,1]
	v_pk_fma_f32 v[112:113], v[112:113], v[76:77], v[114:115] op_sel_hi:[1,1,0]
	s_delay_alu instid0(VALU_DEP_1) | instskip(SKIP_4) | instid1(VALU_DEP_1)
	v_mov_b32_e32 v117, v113
	ds_load_2addr_b64 v[112:115], v106 offset0:33 offset1:34
	v_pk_add_f32 v[48:49], v[48:49], v[116:117] neg_lo:[0,1] neg_hi:[0,1]
	s_wait_dscnt 0x0
	v_pk_mul_f32 v[116:117], v[112:113], v[104:105] op_sel:[0,1]
	v_pk_fma_f32 v[118:119], v[112:113], v[102:103], v[116:117] op_sel:[0,0,1] op_sel_hi:[1,1,0] neg_lo:[0,0,1] neg_hi:[0,0,1]
	v_pk_fma_f32 v[112:113], v[112:113], v[102:103], v[116:117] op_sel:[0,0,1] op_sel_hi:[1,0,0]
	s_delay_alu instid0(VALU_DEP_1) | instskip(SKIP_1) | instid1(VALU_DEP_1)
	v_mov_b32_e32 v119, v113
	v_pk_mul_f32 v[112:113], v[114:115], v[104:105] op_sel:[0,1]
	v_pk_fma_f32 v[116:117], v[114:115], v[102:103], v[112:113] op_sel:[0,0,1] op_sel_hi:[1,1,0] neg_lo:[0,0,1] neg_hi:[0,0,1]
	v_pk_fma_f32 v[112:113], v[114:115], v[102:103], v[112:113] op_sel:[0,0,1] op_sel_hi:[1,0,0]
	s_delay_alu instid0(VALU_DEP_1)
	v_mov_b32_e32 v117, v113
	ds_load_2addr_b64 v[112:115], v106 offset0:35 offset1:36
	v_pk_add_f32 v[44:45], v[44:45], v[118:119] neg_lo:[0,1] neg_hi:[0,1]
	v_pk_add_f32 v[46:47], v[46:47], v[116:117] neg_lo:[0,1] neg_hi:[0,1]
	s_wait_dscnt 0x0
	v_pk_mul_f32 v[116:117], v[112:113], v[104:105] op_sel:[0,1]
	s_delay_alu instid0(VALU_DEP_1) | instskip(SKIP_1) | instid1(VALU_DEP_1)
	v_pk_fma_f32 v[118:119], v[112:113], v[102:103], v[116:117] op_sel:[0,0,1] op_sel_hi:[1,1,0] neg_lo:[0,0,1] neg_hi:[0,0,1]
	v_pk_fma_f32 v[112:113], v[112:113], v[102:103], v[116:117] op_sel:[0,0,1] op_sel_hi:[1,0,0]
	v_mov_b32_e32 v119, v113
	v_pk_mul_f32 v[112:113], v[114:115], v[104:105] op_sel:[0,1]
	s_delay_alu instid0(VALU_DEP_1) | instskip(SKIP_1) | instid1(VALU_DEP_1)
	v_pk_fma_f32 v[116:117], v[114:115], v[102:103], v[112:113] op_sel:[0,0,1] op_sel_hi:[1,1,0] neg_lo:[0,0,1] neg_hi:[0,0,1]
	v_pk_fma_f32 v[112:113], v[114:115], v[102:103], v[112:113] op_sel:[0,0,1] op_sel_hi:[1,0,0]
	v_mov_b32_e32 v117, v113
	ds_load_2addr_b64 v[112:115], v106 offset0:37 offset1:38
	v_pk_add_f32 v[10:11], v[10:11], v[118:119] neg_lo:[0,1] neg_hi:[0,1]
	v_pk_add_f32 v[42:43], v[42:43], v[116:117] neg_lo:[0,1] neg_hi:[0,1]
	s_wait_dscnt 0x0
	v_dual_mul_f32 v116, v113, v105 :: v_dual_mul_f32 v118, v113, v102
	s_delay_alu instid0(VALU_DEP_1) | instskip(NEXT) | instid1(VALU_DEP_2)
	v_pk_fma_f32 v[116:117], v[112:113], v[76:77], v[116:117] op_sel_hi:[1,1,0] neg_lo:[0,0,1] neg_hi:[0,0,1]
	v_pk_fma_f32 v[112:113], v[112:113], v[76:77], v[118:119] op_sel:[1,0,0] op_sel_hi:[0,1,0]
	s_delay_alu instid0(VALU_DEP_1) | instskip(SKIP_1) | instid1(VALU_DEP_2)
	v_mov_b32_e32 v117, v113
	v_pk_mul_f32 v[112:113], v[114:115], v[104:105] op_sel:[0,1]
	v_pk_add_f32 v[38:39], v[38:39], v[116:117] neg_lo:[0,1] neg_hi:[0,1]
	s_delay_alu instid0(VALU_DEP_2) | instskip(SKIP_1) | instid1(VALU_DEP_1)
	v_pk_fma_f32 v[116:117], v[114:115], v[102:103], v[112:113] op_sel:[0,0,1] op_sel_hi:[1,1,0] neg_lo:[0,0,1] neg_hi:[0,0,1]
	v_pk_fma_f32 v[112:113], v[114:115], v[102:103], v[112:113] op_sel:[0,0,1] op_sel_hi:[1,0,0]
	v_mov_b32_e32 v117, v113
	ds_load_2addr_b64 v[112:115], v106 offset0:39 offset1:40
	v_pk_add_f32 v[40:41], v[40:41], v[116:117] neg_lo:[0,1] neg_hi:[0,1]
	s_wait_dscnt 0x0
	v_pk_mul_f32 v[116:117], v[112:113], v[104:105] op_sel:[0,1]
	s_delay_alu instid0(VALU_DEP_1) | instskip(SKIP_1) | instid1(VALU_DEP_1)
	v_pk_fma_f32 v[118:119], v[112:113], v[102:103], v[116:117] op_sel:[0,0,1] op_sel_hi:[1,1,0] neg_lo:[0,0,1] neg_hi:[0,0,1]
	v_pk_fma_f32 v[112:113], v[112:113], v[102:103], v[116:117] op_sel:[0,0,1] op_sel_hi:[1,0,0]
	v_mov_b32_e32 v119, v113
	v_pk_mul_f32 v[112:113], v[114:115], v[104:105] op_sel:[0,1]
	s_delay_alu instid0(VALU_DEP_2) | instskip(NEXT) | instid1(VALU_DEP_2)
	v_pk_add_f32 v[6:7], v[6:7], v[118:119] neg_lo:[0,1] neg_hi:[0,1]
	v_pk_fma_f32 v[116:117], v[114:115], v[102:103], v[112:113] op_sel:[0,0,1] op_sel_hi:[1,1,0] neg_lo:[0,0,1] neg_hi:[0,0,1]
	v_pk_fma_f32 v[112:113], v[114:115], v[102:103], v[112:113] op_sel:[0,0,1] op_sel_hi:[1,0,0]
	s_delay_alu instid0(VALU_DEP_1) | instskip(SKIP_4) | instid1(VALU_DEP_1)
	v_mov_b32_e32 v117, v113
	ds_load_2addr_b64 v[112:115], v106 offset0:41 offset1:42
	v_pk_add_f32 v[36:37], v[36:37], v[116:117] neg_lo:[0,1] neg_hi:[0,1]
	s_wait_dscnt 0x0
	v_pk_mul_f32 v[116:117], v[112:113], v[104:105] op_sel:[0,1]
	v_pk_fma_f32 v[118:119], v[112:113], v[102:103], v[116:117] op_sel:[0,0,1] op_sel_hi:[1,1,0] neg_lo:[0,0,1] neg_hi:[0,0,1]
	v_pk_fma_f32 v[112:113], v[112:113], v[102:103], v[116:117] op_sel:[0,0,1] op_sel_hi:[1,0,0]
	v_dual_mul_f32 v116, v115, v105 :: v_dual_mov_b32 v112, v115
	s_delay_alu instid0(VALU_DEP_2) | instskip(NEXT) | instid1(VALU_DEP_2)
	v_dual_mov_b32 v119, v113 :: v_dual_mov_b32 v113, v114
	v_pk_fma_f32 v[116:117], v[114:115], v[76:77], v[116:117] op_sel_hi:[1,1,0] neg_lo:[0,0,1] neg_hi:[0,0,1]
	v_mul_f32_e32 v114, v115, v102
	s_delay_alu instid0(VALU_DEP_3) | instskip(NEXT) | instid1(VALU_DEP_2)
	v_pk_add_f32 v[30:31], v[30:31], v[118:119] neg_lo:[0,1] neg_hi:[0,1]
	v_pk_fma_f32 v[112:113], v[112:113], v[76:77], v[114:115] op_sel_hi:[1,1,0]
	s_delay_alu instid0(VALU_DEP_1) | instskip(SKIP_4) | instid1(VALU_DEP_1)
	v_mov_b32_e32 v117, v113
	ds_load_2addr_b64 v[112:115], v106 offset0:43 offset1:44
	v_pk_add_f32 v[34:35], v[34:35], v[116:117] neg_lo:[0,1] neg_hi:[0,1]
	s_wait_dscnt 0x0
	v_pk_mul_f32 v[116:117], v[112:113], v[104:105] op_sel:[0,1]
	v_pk_fma_f32 v[118:119], v[112:113], v[102:103], v[116:117] op_sel:[0,0,1] op_sel_hi:[1,1,0] neg_lo:[0,0,1] neg_hi:[0,0,1]
	v_pk_fma_f32 v[112:113], v[112:113], v[102:103], v[116:117] op_sel:[0,0,1] op_sel_hi:[1,0,0]
	s_delay_alu instid0(VALU_DEP_1) | instskip(SKIP_1) | instid1(VALU_DEP_1)
	v_mov_b32_e32 v119, v113
	v_pk_mul_f32 v[112:113], v[114:115], v[104:105] op_sel:[0,1]
	v_pk_fma_f32 v[116:117], v[114:115], v[102:103], v[112:113] op_sel:[0,0,1] op_sel_hi:[1,1,0] neg_lo:[0,0,1] neg_hi:[0,0,1]
	v_pk_fma_f32 v[112:113], v[114:115], v[102:103], v[112:113] op_sel:[0,0,1] op_sel_hi:[1,0,0]
	s_delay_alu instid0(VALU_DEP_1)
	v_mov_b32_e32 v117, v113
	ds_load_2addr_b64 v[112:115], v106 offset0:45 offset1:46
	v_pk_add_f32 v[8:9], v[8:9], v[118:119] neg_lo:[0,1] neg_hi:[0,1]
	v_pk_add_f32 v[28:29], v[28:29], v[116:117] neg_lo:[0,1] neg_hi:[0,1]
	s_wait_dscnt 0x0
	v_pk_mul_f32 v[116:117], v[112:113], v[104:105] op_sel:[0,1]
	s_delay_alu instid0(VALU_DEP_1) | instskip(SKIP_1) | instid1(VALU_DEP_1)
	v_pk_fma_f32 v[118:119], v[112:113], v[102:103], v[116:117] op_sel:[0,0,1] op_sel_hi:[1,1,0] neg_lo:[0,0,1] neg_hi:[0,0,1]
	v_pk_fma_f32 v[112:113], v[112:113], v[102:103], v[116:117] op_sel:[0,0,1] op_sel_hi:[1,0,0]
	v_mov_b32_e32 v119, v113
	v_pk_mul_f32 v[112:113], v[114:115], v[104:105] op_sel:[0,1]
	s_delay_alu instid0(VALU_DEP_1) | instskip(SKIP_1) | instid1(VALU_DEP_1)
	v_pk_fma_f32 v[116:117], v[114:115], v[102:103], v[112:113] op_sel:[0,0,1] op_sel_hi:[1,1,0] neg_lo:[0,0,1] neg_hi:[0,0,1]
	v_pk_fma_f32 v[112:113], v[114:115], v[102:103], v[112:113] op_sel:[0,0,1] op_sel_hi:[1,0,0]
	v_mov_b32_e32 v117, v113
	ds_load_b64 v[112:113], v106 offset:376
	v_pk_add_f32 v[18:19], v[18:19], v[118:119] neg_lo:[0,1] neg_hi:[0,1]
	v_pk_add_f32 v[14:15], v[14:15], v[116:117] neg_lo:[0,1] neg_hi:[0,1]
	s_wait_dscnt 0x0
	v_pk_mul_f32 v[104:105], v[112:113], v[104:105] op_sel:[0,1]
	s_delay_alu instid0(VALU_DEP_1) | instskip(SKIP_1) | instid1(VALU_DEP_1)
	v_pk_fma_f32 v[114:115], v[112:113], v[102:103], v[104:105] op_sel:[0,0,1] op_sel_hi:[1,1,0] neg_lo:[0,0,1] neg_hi:[0,0,1]
	v_pk_fma_f32 v[102:103], v[112:113], v[102:103], v[104:105] op_sel:[0,0,1] op_sel_hi:[1,0,0]
	v_mov_b32_e32 v115, v103
	s_delay_alu instid0(VALU_DEP_1)
	v_pk_add_f32 v[100:101], v[100:101], v[114:115] neg_lo:[0,1] neg_hi:[0,1]
.LBB94_398:
	s_or_b32 exec_lo, exec_lo, s0
	v_lshl_add_u32 v102, v110, 3, v106
	s_barrier_signal -1
	s_barrier_wait -1
	ds_store_b64 v102, v[24:25]
	s_wait_dscnt 0x0
	s_barrier_signal -1
	s_barrier_wait -1
	ds_load_b64 v[104:105], v106 offset:152
	v_mov_b32_e32 v102, 19
	s_cmp_lt_i32 s18, 21
	s_cbranch_scc1 .LBB94_401
; %bb.399:
	v_add3_u32 v103, v107, 0, 0xa0
	v_mov_b32_e32 v102, 19
	s_mov_b32 s0, 20
.LBB94_400:                             ; =>This Inner Loop Header: Depth=1
	ds_load_b64 v[112:113], v103
	s_wait_dscnt 0x1
	v_cmp_gt_f32_e32 vcc_lo, 0, v104
	v_cndmask_b32_e64 v114, v104, -v104, vcc_lo
	v_cmp_gt_f32_e32 vcc_lo, 0, v105
	v_cndmask_b32_e64 v116, v105, -v105, vcc_lo
	s_wait_dscnt 0x0
	v_cmp_gt_f32_e32 vcc_lo, 0, v112
	v_cndmask_b32_e64 v115, v112, -v112, vcc_lo
	v_cmp_gt_f32_e32 vcc_lo, 0, v113
	v_cndmask_b32_e64 v117, v113, -v113, vcc_lo
	s_delay_alu instid0(VALU_DEP_1) | instskip(NEXT) | instid1(VALU_DEP_1)
	v_pk_add_f32 v[114:115], v[114:115], v[116:117]
	v_cmp_lt_f32_e32 vcc_lo, v114, v115
	v_dual_add_nc_u32 v103, 8, v103 :: v_dual_cndmask_b32 v105, v105, v113, vcc_lo
	v_cndmask_b32_e32 v104, v104, v112, vcc_lo
	v_cndmask_b32_e64 v102, v102, s0, vcc_lo
	s_add_co_i32 s0, s0, 1
	s_delay_alu instid0(SALU_CYCLE_1)
	s_cmp_lg_u32 s18, s0
	s_cbranch_scc1 .LBB94_400
.LBB94_401:
	s_wait_dscnt 0x0
	v_cmp_eq_f32_e32 vcc_lo, 0, v104
	v_cmp_eq_f32_e64 s0, 0, v105
	s_and_b32 s0, vcc_lo, s0
	s_delay_alu instid0(SALU_CYCLE_1) | instskip(NEXT) | instid1(SALU_CYCLE_1)
	s_and_saveexec_b32 s1, s0
	s_xor_b32 s0, exec_lo, s1
; %bb.402:
	v_cmp_ne_u32_e32 vcc_lo, 0, v108
	v_cndmask_b32_e32 v108, 20, v108, vcc_lo
; %bb.403:
	s_and_not1_saveexec_b32 s0, s0
	s_cbranch_execz .LBB94_409
; %bb.404:
	v_cmp_ngt_f32_e64 s1, |v104|, |v105|
	s_and_saveexec_b32 s12, s1
	s_delay_alu instid0(SALU_CYCLE_1)
	s_xor_b32 s1, exec_lo, s12
	s_cbranch_execz .LBB94_406
; %bb.405:
	v_div_scale_f32 v103, null, v105, v105, v104
	v_div_scale_f32 v113, vcc_lo, v104, v105, v104
	s_delay_alu instid0(VALU_DEP_2) | instskip(SKIP_1) | instid1(TRANS32_DEP_1)
	v_rcp_f32_e32 v111, v103
	v_nop
	v_fma_f32 v112, -v103, v111, 1.0
	s_delay_alu instid0(VALU_DEP_1) | instskip(NEXT) | instid1(VALU_DEP_1)
	v_fmac_f32_e32 v111, v112, v111
	v_mul_f32_e32 v112, v113, v111
	s_delay_alu instid0(VALU_DEP_1) | instskip(NEXT) | instid1(VALU_DEP_1)
	v_fma_f32 v114, -v103, v112, v113
	v_fmac_f32_e32 v112, v114, v111
	s_delay_alu instid0(VALU_DEP_1) | instskip(NEXT) | instid1(VALU_DEP_1)
	v_fma_f32 v103, -v103, v112, v113
	v_div_fmas_f32 v103, v103, v111, v112
	s_delay_alu instid0(VALU_DEP_1) | instskip(NEXT) | instid1(VALU_DEP_1)
	v_div_fixup_f32 v103, v103, v105, v104
	v_fmac_f32_e32 v105, v104, v103
	s_delay_alu instid0(VALU_DEP_1) | instskip(SKIP_1) | instid1(VALU_DEP_2)
	v_div_scale_f32 v104, null, v105, v105, 1.0
	v_div_scale_f32 v113, vcc_lo, 1.0, v105, 1.0
	v_rcp_f32_e32 v111, v104
	v_nop
	s_delay_alu instid0(TRANS32_DEP_1) | instskip(NEXT) | instid1(VALU_DEP_1)
	v_fma_f32 v112, -v104, v111, 1.0
	v_fmac_f32_e32 v111, v112, v111
	s_delay_alu instid0(VALU_DEP_1) | instskip(NEXT) | instid1(VALU_DEP_1)
	v_mul_f32_e32 v112, v113, v111
	v_fma_f32 v114, -v104, v112, v113
	s_delay_alu instid0(VALU_DEP_1) | instskip(NEXT) | instid1(VALU_DEP_1)
	v_fmac_f32_e32 v112, v114, v111
	v_fma_f32 v104, -v104, v112, v113
	s_delay_alu instid0(VALU_DEP_1) | instskip(NEXT) | instid1(VALU_DEP_1)
	v_div_fmas_f32 v104, v104, v111, v112
	v_div_fixup_f32 v105, v104, v105, 1.0
	s_delay_alu instid0(VALU_DEP_1)
	v_mul_f32_e32 v104, v103, v105
	v_xor_b32_e32 v105, 0x80000000, v105
.LBB94_406:
	s_and_not1_saveexec_b32 s1, s1
	s_cbranch_execz .LBB94_408
; %bb.407:
	s_delay_alu instid0(VALU_DEP_1) | instskip(SKIP_1) | instid1(VALU_DEP_2)
	v_div_scale_f32 v103, null, v104, v104, v105
	v_div_scale_f32 v113, vcc_lo, v105, v104, v105
	v_rcp_f32_e32 v111, v103
	v_nop
	s_delay_alu instid0(TRANS32_DEP_1) | instskip(NEXT) | instid1(VALU_DEP_1)
	v_fma_f32 v112, -v103, v111, 1.0
	v_fmac_f32_e32 v111, v112, v111
	s_delay_alu instid0(VALU_DEP_1) | instskip(NEXT) | instid1(VALU_DEP_1)
	v_mul_f32_e32 v112, v113, v111
	v_fma_f32 v114, -v103, v112, v113
	s_delay_alu instid0(VALU_DEP_1) | instskip(NEXT) | instid1(VALU_DEP_1)
	v_fmac_f32_e32 v112, v114, v111
	v_fma_f32 v103, -v103, v112, v113
	s_delay_alu instid0(VALU_DEP_1) | instskip(NEXT) | instid1(VALU_DEP_1)
	v_div_fmas_f32 v103, v103, v111, v112
	v_div_fixup_f32 v103, v103, v104, v105
	s_delay_alu instid0(VALU_DEP_1) | instskip(NEXT) | instid1(VALU_DEP_1)
	v_fmac_f32_e32 v104, v105, v103
	v_div_scale_f32 v105, null, v104, v104, 1.0
	s_delay_alu instid0(VALU_DEP_1) | instskip(SKIP_1) | instid1(TRANS32_DEP_1)
	v_rcp_f32_e32 v111, v105
	v_nop
	v_fma_f32 v112, -v105, v111, 1.0
	s_delay_alu instid0(VALU_DEP_1) | instskip(SKIP_1) | instid1(VALU_DEP_1)
	v_fmac_f32_e32 v111, v112, v111
	v_div_scale_f32 v112, vcc_lo, 1.0, v104, 1.0
	v_mul_f32_e32 v113, v112, v111
	s_delay_alu instid0(VALU_DEP_1) | instskip(NEXT) | instid1(VALU_DEP_1)
	v_fma_f32 v114, -v105, v113, v112
	v_fmac_f32_e32 v113, v114, v111
	s_delay_alu instid0(VALU_DEP_1) | instskip(NEXT) | instid1(VALU_DEP_1)
	v_fma_f32 v105, -v105, v113, v112
	v_div_fmas_f32 v105, v105, v111, v113
	s_delay_alu instid0(VALU_DEP_1) | instskip(NEXT) | instid1(VALU_DEP_1)
	v_div_fixup_f32 v104, v105, v104, 1.0
	v_mul_f32_e64 v105, v103, -v104
.LBB94_408:
	s_or_b32 exec_lo, exec_lo, s1
.LBB94_409:
	s_delay_alu instid0(SALU_CYCLE_1) | instskip(NEXT) | instid1(SALU_CYCLE_1)
	s_or_b32 exec_lo, exec_lo, s0
	s_mov_b32 s0, exec_lo
	v_cmpx_ne_u32_e64 v110, v102
	s_xor_b32 s0, exec_lo, s0
	s_cbranch_execz .LBB94_415
; %bb.410:
	s_mov_b32 s1, exec_lo
	v_cmpx_eq_u32_e32 19, v110
	s_cbranch_execz .LBB94_414
; %bb.411:
	v_cmp_ne_u32_e32 vcc_lo, 19, v102
	s_xor_b32 s12, s16, -1
	s_delay_alu instid0(SALU_CYCLE_1) | instskip(NEXT) | instid1(SALU_CYCLE_1)
	s_and_b32 s13, s12, vcc_lo
	s_and_saveexec_b32 s12, s13
	s_cbranch_execz .LBB94_413
; %bb.412:
	v_ashrrev_i32_e32 v103, 31, v102
	s_delay_alu instid0(VALU_DEP_1)
	v_lshl_add_u64 v[110:111], v[102:103], 2, v[4:5]
	s_clause 0x1
	global_load_b32 v103, v[110:111], off
	global_load_b32 v109, v[4:5], off offset:76
	s_wait_loadcnt 0x1
	global_store_b32 v[4:5], v103, off offset:76
	s_wait_loadcnt 0x0
	global_store_b32 v[110:111], v109, off
.LBB94_413:
	s_wait_xcnt 0x0
	s_or_b32 exec_lo, exec_lo, s12
	v_dual_mov_b32 v110, v102 :: v_dual_mov_b32 v109, v102
.LBB94_414:
	s_or_b32 exec_lo, exec_lo, s1
.LBB94_415:
	s_and_not1_saveexec_b32 s0, s0
	s_cbranch_execz .LBB94_417
; %bb.416:
	v_dual_mov_b32 v102, v72 :: v_dual_mov_b32 v103, v73
	v_dual_mov_b32 v110, v68 :: v_dual_mov_b32 v111, v69
	ds_store_2addr_b64 v106, v[102:103], v[110:111] offset0:20 offset1:21
	v_dual_mov_b32 v102, v70 :: v_dual_mov_b32 v103, v71
	v_dual_mov_b32 v110, v22 :: v_dual_mov_b32 v111, v23
	ds_store_2addr_b64 v106, v[102:103], v[110:111] offset0:22 offset1:23
	;; [unrolled: 3-line block ×13, first 2 shown]
	v_dual_mov_b32 v102, v14 :: v_dual_mov_b32 v103, v15
	v_mov_b32_e32 v110, 19
	ds_store_2addr_b64 v106, v[102:103], v[100:101] offset0:46 offset1:47
.LBB94_417:
	s_or_b32 exec_lo, exec_lo, s0
	s_delay_alu instid0(SALU_CYCLE_1)
	s_mov_b32 s0, exec_lo
	s_wait_storecnt_dscnt 0x0
	s_barrier_signal -1
	s_barrier_wait -1
	v_cmpx_lt_i32_e32 19, v110
	s_cbranch_execz .LBB94_419
; %bb.418:
	v_pk_mul_f32 v[112:113], v[104:105], v[24:25] op_sel:[1,1] op_sel_hi:[0,1]
	s_delay_alu instid0(VALU_DEP_1)
	v_pk_fma_f32 v[102:103], v[104:105], v[24:25], v[112:113] op_sel_hi:[1,0,1] neg_lo:[0,0,1] neg_hi:[0,0,1]
	v_pk_fma_f32 v[104:105], v[104:105], v[24:25], v[112:113] op_sel_hi:[1,0,1]
	ds_load_2addr_b64 v[112:115], v106 offset0:20 offset1:21
	v_dual_mov_b32 v24, v102 :: v_dual_mov_b32 v25, v105
	s_wait_dscnt 0x0
	v_pk_mul_f32 v[116:117], v[112:113], v[104:105] op_sel:[0,1]
	s_delay_alu instid0(VALU_DEP_1) | instskip(SKIP_1) | instid1(VALU_DEP_1)
	v_pk_fma_f32 v[118:119], v[112:113], v[102:103], v[116:117] op_sel:[0,0,1] op_sel_hi:[1,1,0] neg_lo:[0,0,1] neg_hi:[0,0,1]
	v_pk_fma_f32 v[112:113], v[112:113], v[102:103], v[116:117] op_sel:[0,0,1] op_sel_hi:[1,0,0]
	v_mov_b32_e32 v119, v113
	v_pk_mul_f32 v[112:113], v[114:115], v[104:105] op_sel:[0,1]
	s_delay_alu instid0(VALU_DEP_1) | instskip(SKIP_1) | instid1(VALU_DEP_1)
	v_pk_fma_f32 v[116:117], v[114:115], v[102:103], v[112:113] op_sel:[0,0,1] op_sel_hi:[1,1,0] neg_lo:[0,0,1] neg_hi:[0,0,1]
	v_pk_fma_f32 v[112:113], v[114:115], v[102:103], v[112:113] op_sel:[0,0,1] op_sel_hi:[1,0,0]
	v_mov_b32_e32 v117, v113
	ds_load_2addr_b64 v[112:115], v106 offset0:22 offset1:23
	v_pk_add_f32 v[72:73], v[72:73], v[118:119] neg_lo:[0,1] neg_hi:[0,1]
	v_pk_add_f32 v[68:69], v[68:69], v[116:117] neg_lo:[0,1] neg_hi:[0,1]
	s_wait_dscnt 0x0
	v_pk_mul_f32 v[116:117], v[112:113], v[104:105] op_sel:[0,1]
	s_delay_alu instid0(VALU_DEP_1) | instskip(SKIP_2) | instid1(VALU_DEP_2)
	v_pk_fma_f32 v[118:119], v[112:113], v[102:103], v[116:117] op_sel:[0,0,1] op_sel_hi:[1,1,0] neg_lo:[0,0,1] neg_hi:[0,0,1]
	v_pk_fma_f32 v[112:113], v[112:113], v[102:103], v[116:117] op_sel:[0,0,1] op_sel_hi:[1,0,0]
	v_dual_mul_f32 v116, v115, v105 :: v_dual_mov_b32 v112, v115
	v_dual_mov_b32 v119, v113 :: v_dual_mov_b32 v113, v114
	s_delay_alu instid0(VALU_DEP_2) | instskip(SKIP_1) | instid1(VALU_DEP_3)
	v_pk_fma_f32 v[116:117], v[114:115], v[24:25], v[116:117] op_sel_hi:[1,1,0] neg_lo:[0,0,1] neg_hi:[0,0,1]
	v_mul_f32_e32 v114, v115, v102
	v_pk_add_f32 v[70:71], v[70:71], v[118:119] neg_lo:[0,1] neg_hi:[0,1]
	s_delay_alu instid0(VALU_DEP_2) | instskip(NEXT) | instid1(VALU_DEP_1)
	v_pk_fma_f32 v[112:113], v[112:113], v[24:25], v[114:115] op_sel_hi:[1,1,0]
	v_mov_b32_e32 v117, v113
	ds_load_2addr_b64 v[112:115], v106 offset0:24 offset1:25
	v_pk_add_f32 v[22:23], v[22:23], v[116:117] neg_lo:[0,1] neg_hi:[0,1]
	s_wait_dscnt 0x0
	v_pk_mul_f32 v[116:117], v[112:113], v[104:105] op_sel:[0,1]
	s_delay_alu instid0(VALU_DEP_1) | instskip(SKIP_1) | instid1(VALU_DEP_1)
	v_pk_fma_f32 v[118:119], v[112:113], v[102:103], v[116:117] op_sel:[0,0,1] op_sel_hi:[1,1,0] neg_lo:[0,0,1] neg_hi:[0,0,1]
	v_pk_fma_f32 v[112:113], v[112:113], v[102:103], v[116:117] op_sel:[0,0,1] op_sel_hi:[1,0,0]
	v_mov_b32_e32 v119, v113
	v_pk_mul_f32 v[112:113], v[114:115], v[104:105] op_sel:[0,1]
	s_delay_alu instid0(VALU_DEP_1) | instskip(SKIP_1) | instid1(VALU_DEP_1)
	v_pk_fma_f32 v[116:117], v[114:115], v[102:103], v[112:113] op_sel:[0,0,1] op_sel_hi:[1,1,0] neg_lo:[0,0,1] neg_hi:[0,0,1]
	v_pk_fma_f32 v[112:113], v[114:115], v[102:103], v[112:113] op_sel:[0,0,1] op_sel_hi:[1,0,0]
	v_mov_b32_e32 v117, v113
	ds_load_2addr_b64 v[112:115], v106 offset0:26 offset1:27
	v_pk_add_f32 v[66:67], v[66:67], v[118:119] neg_lo:[0,1] neg_hi:[0,1]
	v_pk_add_f32 v[62:63], v[62:63], v[116:117] neg_lo:[0,1] neg_hi:[0,1]
	s_wait_dscnt 0x0
	v_pk_mul_f32 v[116:117], v[112:113], v[104:105] op_sel:[0,1]
	s_delay_alu instid0(VALU_DEP_1) | instskip(SKIP_1) | instid1(VALU_DEP_1)
	v_pk_fma_f32 v[118:119], v[112:113], v[102:103], v[116:117] op_sel:[0,0,1] op_sel_hi:[1,1,0] neg_lo:[0,0,1] neg_hi:[0,0,1]
	v_pk_fma_f32 v[112:113], v[112:113], v[102:103], v[116:117] op_sel:[0,0,1] op_sel_hi:[1,0,0]
	v_mov_b32_e32 v119, v113
	v_pk_mul_f32 v[112:113], v[114:115], v[104:105] op_sel:[0,1]
	s_delay_alu instid0(VALU_DEP_1) | instskip(SKIP_1) | instid1(VALU_DEP_1)
	v_pk_fma_f32 v[116:117], v[114:115], v[102:103], v[112:113] op_sel:[0,0,1] op_sel_hi:[1,1,0] neg_lo:[0,0,1] neg_hi:[0,0,1]
	v_pk_fma_f32 v[112:113], v[114:115], v[102:103], v[112:113] op_sel:[0,0,1] op_sel_hi:[1,0,0]
	v_mov_b32_e32 v117, v113
	ds_load_2addr_b64 v[112:115], v106 offset0:28 offset1:29
	v_pk_add_f32 v[64:65], v[64:65], v[118:119] neg_lo:[0,1] neg_hi:[0,1]
	v_pk_add_f32 v[20:21], v[20:21], v[116:117] neg_lo:[0,1] neg_hi:[0,1]
	s_wait_dscnt 0x0
	v_dual_mul_f32 v116, v113, v105 :: v_dual_mul_f32 v118, v113, v102
	s_delay_alu instid0(VALU_DEP_1) | instskip(NEXT) | instid1(VALU_DEP_2)
	v_pk_fma_f32 v[116:117], v[112:113], v[24:25], v[116:117] op_sel_hi:[1,1,0] neg_lo:[0,0,1] neg_hi:[0,0,1]
	v_pk_fma_f32 v[112:113], v[112:113], v[24:25], v[118:119] op_sel:[1,0,0] op_sel_hi:[0,1,0]
	s_delay_alu instid0(VALU_DEP_1) | instskip(SKIP_1) | instid1(VALU_DEP_2)
	v_mov_b32_e32 v117, v113
	v_pk_mul_f32 v[112:113], v[114:115], v[104:105] op_sel:[0,1]
	v_pk_add_f32 v[54:55], v[54:55], v[116:117] neg_lo:[0,1] neg_hi:[0,1]
	s_delay_alu instid0(VALU_DEP_2) | instskip(SKIP_1) | instid1(VALU_DEP_1)
	v_pk_fma_f32 v[116:117], v[114:115], v[102:103], v[112:113] op_sel:[0,0,1] op_sel_hi:[1,1,0] neg_lo:[0,0,1] neg_hi:[0,0,1]
	v_pk_fma_f32 v[112:113], v[114:115], v[102:103], v[112:113] op_sel:[0,0,1] op_sel_hi:[1,0,0]
	v_mov_b32_e32 v117, v113
	ds_load_2addr_b64 v[112:115], v106 offset0:30 offset1:31
	v_pk_add_f32 v[50:51], v[50:51], v[116:117] neg_lo:[0,1] neg_hi:[0,1]
	s_wait_dscnt 0x0
	v_pk_mul_f32 v[116:117], v[112:113], v[104:105] op_sel:[0,1]
	s_delay_alu instid0(VALU_DEP_1) | instskip(SKIP_1) | instid1(VALU_DEP_1)
	v_pk_fma_f32 v[118:119], v[112:113], v[102:103], v[116:117] op_sel:[0,0,1] op_sel_hi:[1,1,0] neg_lo:[0,0,1] neg_hi:[0,0,1]
	v_pk_fma_f32 v[112:113], v[112:113], v[102:103], v[116:117] op_sel:[0,0,1] op_sel_hi:[1,0,0]
	v_mov_b32_e32 v119, v113
	v_pk_mul_f32 v[112:113], v[114:115], v[104:105] op_sel:[0,1]
	s_delay_alu instid0(VALU_DEP_2) | instskip(NEXT) | instid1(VALU_DEP_2)
	v_pk_add_f32 v[52:53], v[52:53], v[118:119] neg_lo:[0,1] neg_hi:[0,1]
	v_pk_fma_f32 v[116:117], v[114:115], v[102:103], v[112:113] op_sel:[0,0,1] op_sel_hi:[1,1,0] neg_lo:[0,0,1] neg_hi:[0,0,1]
	v_pk_fma_f32 v[112:113], v[114:115], v[102:103], v[112:113] op_sel:[0,0,1] op_sel_hi:[1,0,0]
	s_delay_alu instid0(VALU_DEP_1) | instskip(SKIP_4) | instid1(VALU_DEP_1)
	v_mov_b32_e32 v117, v113
	ds_load_2addr_b64 v[112:115], v106 offset0:32 offset1:33
	v_pk_add_f32 v[12:13], v[12:13], v[116:117] neg_lo:[0,1] neg_hi:[0,1]
	s_wait_dscnt 0x0
	v_pk_mul_f32 v[116:117], v[112:113], v[104:105] op_sel:[0,1]
	v_pk_fma_f32 v[118:119], v[112:113], v[102:103], v[116:117] op_sel:[0,0,1] op_sel_hi:[1,1,0] neg_lo:[0,0,1] neg_hi:[0,0,1]
	v_pk_fma_f32 v[112:113], v[112:113], v[102:103], v[116:117] op_sel:[0,0,1] op_sel_hi:[1,0,0]
	v_dual_mul_f32 v116, v115, v105 :: v_dual_mov_b32 v112, v115
	s_delay_alu instid0(VALU_DEP_2) | instskip(NEXT) | instid1(VALU_DEP_2)
	v_dual_mov_b32 v119, v113 :: v_dual_mov_b32 v113, v114
	v_pk_fma_f32 v[116:117], v[114:115], v[24:25], v[116:117] op_sel_hi:[1,1,0] neg_lo:[0,0,1] neg_hi:[0,0,1]
	v_mul_f32_e32 v114, v115, v102
	s_delay_alu instid0(VALU_DEP_3) | instskip(NEXT) | instid1(VALU_DEP_2)
	v_pk_add_f32 v[48:49], v[48:49], v[118:119] neg_lo:[0,1] neg_hi:[0,1]
	v_pk_fma_f32 v[112:113], v[112:113], v[24:25], v[114:115] op_sel_hi:[1,1,0]
	s_delay_alu instid0(VALU_DEP_1) | instskip(SKIP_4) | instid1(VALU_DEP_1)
	v_mov_b32_e32 v117, v113
	ds_load_2addr_b64 v[112:115], v106 offset0:34 offset1:35
	v_pk_add_f32 v[44:45], v[44:45], v[116:117] neg_lo:[0,1] neg_hi:[0,1]
	s_wait_dscnt 0x0
	v_pk_mul_f32 v[116:117], v[112:113], v[104:105] op_sel:[0,1]
	v_pk_fma_f32 v[118:119], v[112:113], v[102:103], v[116:117] op_sel:[0,0,1] op_sel_hi:[1,1,0] neg_lo:[0,0,1] neg_hi:[0,0,1]
	v_pk_fma_f32 v[112:113], v[112:113], v[102:103], v[116:117] op_sel:[0,0,1] op_sel_hi:[1,0,0]
	s_delay_alu instid0(VALU_DEP_1) | instskip(SKIP_1) | instid1(VALU_DEP_1)
	v_mov_b32_e32 v119, v113
	v_pk_mul_f32 v[112:113], v[114:115], v[104:105] op_sel:[0,1]
	v_pk_fma_f32 v[116:117], v[114:115], v[102:103], v[112:113] op_sel:[0,0,1] op_sel_hi:[1,1,0] neg_lo:[0,0,1] neg_hi:[0,0,1]
	v_pk_fma_f32 v[112:113], v[114:115], v[102:103], v[112:113] op_sel:[0,0,1] op_sel_hi:[1,0,0]
	s_delay_alu instid0(VALU_DEP_1)
	v_mov_b32_e32 v117, v113
	ds_load_2addr_b64 v[112:115], v106 offset0:36 offset1:37
	v_pk_add_f32 v[46:47], v[46:47], v[118:119] neg_lo:[0,1] neg_hi:[0,1]
	v_pk_add_f32 v[10:11], v[10:11], v[116:117] neg_lo:[0,1] neg_hi:[0,1]
	s_wait_dscnt 0x0
	v_pk_mul_f32 v[116:117], v[112:113], v[104:105] op_sel:[0,1]
	s_delay_alu instid0(VALU_DEP_1) | instskip(SKIP_1) | instid1(VALU_DEP_1)
	v_pk_fma_f32 v[118:119], v[112:113], v[102:103], v[116:117] op_sel:[0,0,1] op_sel_hi:[1,1,0] neg_lo:[0,0,1] neg_hi:[0,0,1]
	v_pk_fma_f32 v[112:113], v[112:113], v[102:103], v[116:117] op_sel:[0,0,1] op_sel_hi:[1,0,0]
	v_mov_b32_e32 v119, v113
	v_pk_mul_f32 v[112:113], v[114:115], v[104:105] op_sel:[0,1]
	s_delay_alu instid0(VALU_DEP_1) | instskip(SKIP_1) | instid1(VALU_DEP_1)
	v_pk_fma_f32 v[116:117], v[114:115], v[102:103], v[112:113] op_sel:[0,0,1] op_sel_hi:[1,1,0] neg_lo:[0,0,1] neg_hi:[0,0,1]
	v_pk_fma_f32 v[112:113], v[114:115], v[102:103], v[112:113] op_sel:[0,0,1] op_sel_hi:[1,0,0]
	v_mov_b32_e32 v117, v113
	ds_load_2addr_b64 v[112:115], v106 offset0:38 offset1:39
	v_pk_add_f32 v[42:43], v[42:43], v[118:119] neg_lo:[0,1] neg_hi:[0,1]
	v_pk_add_f32 v[38:39], v[38:39], v[116:117] neg_lo:[0,1] neg_hi:[0,1]
	s_wait_dscnt 0x0
	v_dual_mul_f32 v116, v113, v105 :: v_dual_mul_f32 v118, v113, v102
	s_delay_alu instid0(VALU_DEP_1) | instskip(NEXT) | instid1(VALU_DEP_2)
	v_pk_fma_f32 v[116:117], v[112:113], v[24:25], v[116:117] op_sel_hi:[1,1,0] neg_lo:[0,0,1] neg_hi:[0,0,1]
	v_pk_fma_f32 v[112:113], v[112:113], v[24:25], v[118:119] op_sel:[1,0,0] op_sel_hi:[0,1,0]
	s_delay_alu instid0(VALU_DEP_1) | instskip(SKIP_1) | instid1(VALU_DEP_2)
	v_mov_b32_e32 v117, v113
	v_pk_mul_f32 v[112:113], v[114:115], v[104:105] op_sel:[0,1]
	v_pk_add_f32 v[40:41], v[40:41], v[116:117] neg_lo:[0,1] neg_hi:[0,1]
	s_delay_alu instid0(VALU_DEP_2) | instskip(SKIP_1) | instid1(VALU_DEP_1)
	v_pk_fma_f32 v[116:117], v[114:115], v[102:103], v[112:113] op_sel:[0,0,1] op_sel_hi:[1,1,0] neg_lo:[0,0,1] neg_hi:[0,0,1]
	v_pk_fma_f32 v[112:113], v[114:115], v[102:103], v[112:113] op_sel:[0,0,1] op_sel_hi:[1,0,0]
	v_mov_b32_e32 v117, v113
	ds_load_2addr_b64 v[112:115], v106 offset0:40 offset1:41
	v_pk_add_f32 v[6:7], v[6:7], v[116:117] neg_lo:[0,1] neg_hi:[0,1]
	s_wait_dscnt 0x0
	v_pk_mul_f32 v[116:117], v[112:113], v[104:105] op_sel:[0,1]
	s_delay_alu instid0(VALU_DEP_1) | instskip(SKIP_1) | instid1(VALU_DEP_1)
	v_pk_fma_f32 v[118:119], v[112:113], v[102:103], v[116:117] op_sel:[0,0,1] op_sel_hi:[1,1,0] neg_lo:[0,0,1] neg_hi:[0,0,1]
	v_pk_fma_f32 v[112:113], v[112:113], v[102:103], v[116:117] op_sel:[0,0,1] op_sel_hi:[1,0,0]
	v_mov_b32_e32 v119, v113
	v_pk_mul_f32 v[112:113], v[114:115], v[104:105] op_sel:[0,1]
	s_delay_alu instid0(VALU_DEP_2) | instskip(NEXT) | instid1(VALU_DEP_2)
	v_pk_add_f32 v[36:37], v[36:37], v[118:119] neg_lo:[0,1] neg_hi:[0,1]
	v_pk_fma_f32 v[116:117], v[114:115], v[102:103], v[112:113] op_sel:[0,0,1] op_sel_hi:[1,1,0] neg_lo:[0,0,1] neg_hi:[0,0,1]
	v_pk_fma_f32 v[112:113], v[114:115], v[102:103], v[112:113] op_sel:[0,0,1] op_sel_hi:[1,0,0]
	s_delay_alu instid0(VALU_DEP_1) | instskip(SKIP_4) | instid1(VALU_DEP_1)
	v_mov_b32_e32 v117, v113
	ds_load_2addr_b64 v[112:115], v106 offset0:42 offset1:43
	v_pk_add_f32 v[30:31], v[30:31], v[116:117] neg_lo:[0,1] neg_hi:[0,1]
	s_wait_dscnt 0x0
	v_pk_mul_f32 v[116:117], v[112:113], v[104:105] op_sel:[0,1]
	v_pk_fma_f32 v[118:119], v[112:113], v[102:103], v[116:117] op_sel:[0,0,1] op_sel_hi:[1,1,0] neg_lo:[0,0,1] neg_hi:[0,0,1]
	v_pk_fma_f32 v[112:113], v[112:113], v[102:103], v[116:117] op_sel:[0,0,1] op_sel_hi:[1,0,0]
	v_dual_mul_f32 v116, v115, v105 :: v_dual_mov_b32 v112, v115
	s_delay_alu instid0(VALU_DEP_2) | instskip(NEXT) | instid1(VALU_DEP_2)
	v_dual_mov_b32 v119, v113 :: v_dual_mov_b32 v113, v114
	v_pk_fma_f32 v[116:117], v[114:115], v[24:25], v[116:117] op_sel_hi:[1,1,0] neg_lo:[0,0,1] neg_hi:[0,0,1]
	v_mul_f32_e32 v114, v115, v102
	s_delay_alu instid0(VALU_DEP_3) | instskip(NEXT) | instid1(VALU_DEP_2)
	v_pk_add_f32 v[34:35], v[34:35], v[118:119] neg_lo:[0,1] neg_hi:[0,1]
	v_pk_fma_f32 v[112:113], v[112:113], v[24:25], v[114:115] op_sel_hi:[1,1,0]
	s_delay_alu instid0(VALU_DEP_1) | instskip(SKIP_4) | instid1(VALU_DEP_1)
	v_mov_b32_e32 v117, v113
	ds_load_2addr_b64 v[112:115], v106 offset0:44 offset1:45
	v_pk_add_f32 v[8:9], v[8:9], v[116:117] neg_lo:[0,1] neg_hi:[0,1]
	s_wait_dscnt 0x0
	v_pk_mul_f32 v[116:117], v[112:113], v[104:105] op_sel:[0,1]
	v_pk_fma_f32 v[118:119], v[112:113], v[102:103], v[116:117] op_sel:[0,0,1] op_sel_hi:[1,1,0] neg_lo:[0,0,1] neg_hi:[0,0,1]
	v_pk_fma_f32 v[112:113], v[112:113], v[102:103], v[116:117] op_sel:[0,0,1] op_sel_hi:[1,0,0]
	s_delay_alu instid0(VALU_DEP_1) | instskip(SKIP_1) | instid1(VALU_DEP_1)
	v_mov_b32_e32 v119, v113
	v_pk_mul_f32 v[112:113], v[114:115], v[104:105] op_sel:[0,1]
	v_pk_fma_f32 v[116:117], v[114:115], v[102:103], v[112:113] op_sel:[0,0,1] op_sel_hi:[1,1,0] neg_lo:[0,0,1] neg_hi:[0,0,1]
	v_pk_fma_f32 v[112:113], v[114:115], v[102:103], v[112:113] op_sel:[0,0,1] op_sel_hi:[1,0,0]
	s_delay_alu instid0(VALU_DEP_1)
	v_mov_b32_e32 v117, v113
	ds_load_2addr_b64 v[112:115], v106 offset0:46 offset1:47
	v_pk_add_f32 v[28:29], v[28:29], v[118:119] neg_lo:[0,1] neg_hi:[0,1]
	v_pk_add_f32 v[18:19], v[18:19], v[116:117] neg_lo:[0,1] neg_hi:[0,1]
	s_wait_dscnt 0x0
	v_pk_mul_f32 v[116:117], v[112:113], v[104:105] op_sel:[0,1]
	v_pk_mul_f32 v[104:105], v[114:115], v[104:105] op_sel:[0,1]
	s_delay_alu instid0(VALU_DEP_2) | instskip(SKIP_1) | instid1(VALU_DEP_1)
	v_pk_fma_f32 v[118:119], v[112:113], v[102:103], v[116:117] op_sel:[0,0,1] op_sel_hi:[1,1,0] neg_lo:[0,0,1] neg_hi:[0,0,1]
	v_pk_fma_f32 v[112:113], v[112:113], v[102:103], v[116:117] op_sel:[0,0,1] op_sel_hi:[1,0,0]
	v_mov_b32_e32 v119, v113
	s_delay_alu instid0(VALU_DEP_4) | instskip(SKIP_1) | instid1(VALU_DEP_1)
	v_pk_fma_f32 v[112:113], v[114:115], v[102:103], v[104:105] op_sel:[0,0,1] op_sel_hi:[1,1,0] neg_lo:[0,0,1] neg_hi:[0,0,1]
	v_pk_fma_f32 v[102:103], v[114:115], v[102:103], v[104:105] op_sel:[0,0,1] op_sel_hi:[1,0,0]
	v_mov_b32_e32 v113, v103
	s_delay_alu instid0(VALU_DEP_4) | instskip(NEXT) | instid1(VALU_DEP_2)
	v_pk_add_f32 v[14:15], v[14:15], v[118:119] neg_lo:[0,1] neg_hi:[0,1]
	v_pk_add_f32 v[100:101], v[100:101], v[112:113] neg_lo:[0,1] neg_hi:[0,1]
.LBB94_419:
	s_or_b32 exec_lo, exec_lo, s0
	v_lshl_add_u32 v102, v110, 3, v106
	s_barrier_signal -1
	s_barrier_wait -1
	ds_store_b64 v102, v[72:73]
	s_wait_dscnt 0x0
	s_barrier_signal -1
	s_barrier_wait -1
	ds_load_b64 v[104:105], v106 offset:160
	v_mov_b32_e32 v102, 20
	s_cmp_lt_i32 s18, 22
	s_cbranch_scc1 .LBB94_422
; %bb.420:
	v_add3_u32 v103, v107, 0, 0xa8
	v_mov_b32_e32 v102, 20
	s_mov_b32 s0, 21
.LBB94_421:                             ; =>This Inner Loop Header: Depth=1
	ds_load_b64 v[112:113], v103
	s_wait_dscnt 0x1
	v_cmp_gt_f32_e32 vcc_lo, 0, v104
	v_cndmask_b32_e64 v114, v104, -v104, vcc_lo
	v_cmp_gt_f32_e32 vcc_lo, 0, v105
	v_cndmask_b32_e64 v116, v105, -v105, vcc_lo
	s_wait_dscnt 0x0
	v_cmp_gt_f32_e32 vcc_lo, 0, v112
	v_cndmask_b32_e64 v115, v112, -v112, vcc_lo
	v_cmp_gt_f32_e32 vcc_lo, 0, v113
	v_cndmask_b32_e64 v117, v113, -v113, vcc_lo
	s_delay_alu instid0(VALU_DEP_1) | instskip(NEXT) | instid1(VALU_DEP_1)
	v_pk_add_f32 v[114:115], v[114:115], v[116:117]
	v_cmp_lt_f32_e32 vcc_lo, v114, v115
	v_dual_add_nc_u32 v103, 8, v103 :: v_dual_cndmask_b32 v105, v105, v113, vcc_lo
	v_cndmask_b32_e32 v104, v104, v112, vcc_lo
	v_cndmask_b32_e64 v102, v102, s0, vcc_lo
	s_add_co_i32 s0, s0, 1
	s_delay_alu instid0(SALU_CYCLE_1)
	s_cmp_lg_u32 s18, s0
	s_cbranch_scc1 .LBB94_421
.LBB94_422:
	s_wait_dscnt 0x0
	v_cmp_eq_f32_e32 vcc_lo, 0, v104
	v_cmp_eq_f32_e64 s0, 0, v105
	s_and_b32 s0, vcc_lo, s0
	s_delay_alu instid0(SALU_CYCLE_1) | instskip(NEXT) | instid1(SALU_CYCLE_1)
	s_and_saveexec_b32 s1, s0
	s_xor_b32 s0, exec_lo, s1
; %bb.423:
	v_cmp_ne_u32_e32 vcc_lo, 0, v108
	v_cndmask_b32_e32 v108, 21, v108, vcc_lo
; %bb.424:
	s_and_not1_saveexec_b32 s0, s0
	s_cbranch_execz .LBB94_430
; %bb.425:
	v_cmp_ngt_f32_e64 s1, |v104|, |v105|
	s_and_saveexec_b32 s12, s1
	s_delay_alu instid0(SALU_CYCLE_1)
	s_xor_b32 s1, exec_lo, s12
	s_cbranch_execz .LBB94_427
; %bb.426:
	v_div_scale_f32 v103, null, v105, v105, v104
	v_div_scale_f32 v113, vcc_lo, v104, v105, v104
	s_delay_alu instid0(VALU_DEP_2) | instskip(SKIP_1) | instid1(TRANS32_DEP_1)
	v_rcp_f32_e32 v111, v103
	v_nop
	v_fma_f32 v112, -v103, v111, 1.0
	s_delay_alu instid0(VALU_DEP_1) | instskip(NEXT) | instid1(VALU_DEP_1)
	v_fmac_f32_e32 v111, v112, v111
	v_mul_f32_e32 v112, v113, v111
	s_delay_alu instid0(VALU_DEP_1) | instskip(NEXT) | instid1(VALU_DEP_1)
	v_fma_f32 v114, -v103, v112, v113
	v_fmac_f32_e32 v112, v114, v111
	s_delay_alu instid0(VALU_DEP_1) | instskip(NEXT) | instid1(VALU_DEP_1)
	v_fma_f32 v103, -v103, v112, v113
	v_div_fmas_f32 v103, v103, v111, v112
	s_delay_alu instid0(VALU_DEP_1) | instskip(NEXT) | instid1(VALU_DEP_1)
	v_div_fixup_f32 v103, v103, v105, v104
	v_fmac_f32_e32 v105, v104, v103
	s_delay_alu instid0(VALU_DEP_1) | instskip(SKIP_1) | instid1(VALU_DEP_2)
	v_div_scale_f32 v104, null, v105, v105, 1.0
	v_div_scale_f32 v113, vcc_lo, 1.0, v105, 1.0
	v_rcp_f32_e32 v111, v104
	v_nop
	s_delay_alu instid0(TRANS32_DEP_1) | instskip(NEXT) | instid1(VALU_DEP_1)
	v_fma_f32 v112, -v104, v111, 1.0
	v_fmac_f32_e32 v111, v112, v111
	s_delay_alu instid0(VALU_DEP_1) | instskip(NEXT) | instid1(VALU_DEP_1)
	v_mul_f32_e32 v112, v113, v111
	v_fma_f32 v114, -v104, v112, v113
	s_delay_alu instid0(VALU_DEP_1) | instskip(NEXT) | instid1(VALU_DEP_1)
	v_fmac_f32_e32 v112, v114, v111
	v_fma_f32 v104, -v104, v112, v113
	s_delay_alu instid0(VALU_DEP_1) | instskip(NEXT) | instid1(VALU_DEP_1)
	v_div_fmas_f32 v104, v104, v111, v112
	v_div_fixup_f32 v105, v104, v105, 1.0
	s_delay_alu instid0(VALU_DEP_1)
	v_mul_f32_e32 v104, v103, v105
	v_xor_b32_e32 v105, 0x80000000, v105
.LBB94_427:
	s_and_not1_saveexec_b32 s1, s1
	s_cbranch_execz .LBB94_429
; %bb.428:
	s_delay_alu instid0(VALU_DEP_1) | instskip(SKIP_1) | instid1(VALU_DEP_2)
	v_div_scale_f32 v103, null, v104, v104, v105
	v_div_scale_f32 v113, vcc_lo, v105, v104, v105
	v_rcp_f32_e32 v111, v103
	v_nop
	s_delay_alu instid0(TRANS32_DEP_1) | instskip(NEXT) | instid1(VALU_DEP_1)
	v_fma_f32 v112, -v103, v111, 1.0
	v_fmac_f32_e32 v111, v112, v111
	s_delay_alu instid0(VALU_DEP_1) | instskip(NEXT) | instid1(VALU_DEP_1)
	v_mul_f32_e32 v112, v113, v111
	v_fma_f32 v114, -v103, v112, v113
	s_delay_alu instid0(VALU_DEP_1) | instskip(NEXT) | instid1(VALU_DEP_1)
	v_fmac_f32_e32 v112, v114, v111
	v_fma_f32 v103, -v103, v112, v113
	s_delay_alu instid0(VALU_DEP_1) | instskip(NEXT) | instid1(VALU_DEP_1)
	v_div_fmas_f32 v103, v103, v111, v112
	v_div_fixup_f32 v103, v103, v104, v105
	s_delay_alu instid0(VALU_DEP_1) | instskip(NEXT) | instid1(VALU_DEP_1)
	v_fmac_f32_e32 v104, v105, v103
	v_div_scale_f32 v105, null, v104, v104, 1.0
	s_delay_alu instid0(VALU_DEP_1) | instskip(SKIP_1) | instid1(TRANS32_DEP_1)
	v_rcp_f32_e32 v111, v105
	v_nop
	v_fma_f32 v112, -v105, v111, 1.0
	s_delay_alu instid0(VALU_DEP_1) | instskip(SKIP_1) | instid1(VALU_DEP_1)
	v_fmac_f32_e32 v111, v112, v111
	v_div_scale_f32 v112, vcc_lo, 1.0, v104, 1.0
	v_mul_f32_e32 v113, v112, v111
	s_delay_alu instid0(VALU_DEP_1) | instskip(NEXT) | instid1(VALU_DEP_1)
	v_fma_f32 v114, -v105, v113, v112
	v_fmac_f32_e32 v113, v114, v111
	s_delay_alu instid0(VALU_DEP_1) | instskip(NEXT) | instid1(VALU_DEP_1)
	v_fma_f32 v105, -v105, v113, v112
	v_div_fmas_f32 v105, v105, v111, v113
	s_delay_alu instid0(VALU_DEP_1) | instskip(NEXT) | instid1(VALU_DEP_1)
	v_div_fixup_f32 v104, v105, v104, 1.0
	v_mul_f32_e64 v105, v103, -v104
.LBB94_429:
	s_or_b32 exec_lo, exec_lo, s1
.LBB94_430:
	s_delay_alu instid0(SALU_CYCLE_1) | instskip(NEXT) | instid1(SALU_CYCLE_1)
	s_or_b32 exec_lo, exec_lo, s0
	s_mov_b32 s0, exec_lo
	v_cmpx_ne_u32_e64 v110, v102
	s_xor_b32 s0, exec_lo, s0
	s_cbranch_execz .LBB94_436
; %bb.431:
	s_mov_b32 s1, exec_lo
	v_cmpx_eq_u32_e32 20, v110
	s_cbranch_execz .LBB94_435
; %bb.432:
	v_cmp_ne_u32_e32 vcc_lo, 20, v102
	s_xor_b32 s12, s16, -1
	s_delay_alu instid0(SALU_CYCLE_1) | instskip(NEXT) | instid1(SALU_CYCLE_1)
	s_and_b32 s13, s12, vcc_lo
	s_and_saveexec_b32 s12, s13
	s_cbranch_execz .LBB94_434
; %bb.433:
	v_ashrrev_i32_e32 v103, 31, v102
	s_delay_alu instid0(VALU_DEP_1)
	v_lshl_add_u64 v[110:111], v[102:103], 2, v[4:5]
	s_clause 0x1
	global_load_b32 v103, v[110:111], off
	global_load_b32 v109, v[4:5], off offset:80
	s_wait_loadcnt 0x1
	global_store_b32 v[4:5], v103, off offset:80
	s_wait_loadcnt 0x0
	global_store_b32 v[110:111], v109, off
.LBB94_434:
	s_wait_xcnt 0x0
	s_or_b32 exec_lo, exec_lo, s12
	v_dual_mov_b32 v110, v102 :: v_dual_mov_b32 v109, v102
.LBB94_435:
	s_or_b32 exec_lo, exec_lo, s1
.LBB94_436:
	s_and_not1_saveexec_b32 s0, s0
	s_cbranch_execz .LBB94_438
; %bb.437:
	v_mov_b32_e32 v110, 20
	ds_store_2addr_b64 v106, v[68:69], v[70:71] offset0:21 offset1:22
	ds_store_2addr_b64 v106, v[22:23], v[66:67] offset0:23 offset1:24
	ds_store_2addr_b64 v106, v[62:63], v[64:65] offset0:25 offset1:26
	ds_store_2addr_b64 v106, v[20:21], v[54:55] offset0:27 offset1:28
	ds_store_2addr_b64 v106, v[50:51], v[52:53] offset0:29 offset1:30
	ds_store_2addr_b64 v106, v[12:13], v[48:49] offset0:31 offset1:32
	ds_store_2addr_b64 v106, v[44:45], v[46:47] offset0:33 offset1:34
	ds_store_2addr_b64 v106, v[10:11], v[42:43] offset0:35 offset1:36
	ds_store_2addr_b64 v106, v[38:39], v[40:41] offset0:37 offset1:38
	ds_store_2addr_b64 v106, v[6:7], v[36:37] offset0:39 offset1:40
	ds_store_2addr_b64 v106, v[30:31], v[34:35] offset0:41 offset1:42
	ds_store_2addr_b64 v106, v[8:9], v[28:29] offset0:43 offset1:44
	ds_store_2addr_b64 v106, v[18:19], v[14:15] offset0:45 offset1:46
	ds_store_b64 v106, v[100:101] offset:376
.LBB94_438:
	s_or_b32 exec_lo, exec_lo, s0
	s_delay_alu instid0(SALU_CYCLE_1)
	s_mov_b32 s0, exec_lo
	s_wait_storecnt_dscnt 0x0
	s_barrier_signal -1
	s_barrier_wait -1
	v_cmpx_lt_i32_e32 20, v110
	s_cbranch_execz .LBB94_440
; %bb.439:
	v_pk_mul_f32 v[112:113], v[104:105], v[72:73] op_sel:[1,1] op_sel_hi:[0,1]
	s_delay_alu instid0(VALU_DEP_1)
	v_pk_fma_f32 v[102:103], v[104:105], v[72:73], v[112:113] op_sel_hi:[1,0,1] neg_lo:[0,0,1] neg_hi:[0,0,1]
	v_pk_fma_f32 v[104:105], v[104:105], v[72:73], v[112:113] op_sel_hi:[1,0,1]
	ds_load_2addr_b64 v[112:115], v106 offset0:21 offset1:22
	v_dual_mov_b32 v72, v102 :: v_dual_mov_b32 v73, v105
	s_wait_dscnt 0x0
	v_pk_mul_f32 v[116:117], v[112:113], v[104:105] op_sel:[0,1]
	s_delay_alu instid0(VALU_DEP_1) | instskip(SKIP_1) | instid1(VALU_DEP_1)
	v_pk_fma_f32 v[118:119], v[112:113], v[102:103], v[116:117] op_sel:[0,0,1] op_sel_hi:[1,1,0] neg_lo:[0,0,1] neg_hi:[0,0,1]
	v_pk_fma_f32 v[112:113], v[112:113], v[102:103], v[116:117] op_sel:[0,0,1] op_sel_hi:[1,0,0]
	v_mov_b32_e32 v119, v113
	v_pk_mul_f32 v[112:113], v[114:115], v[104:105] op_sel:[0,1]
	s_delay_alu instid0(VALU_DEP_1) | instskip(SKIP_1) | instid1(VALU_DEP_1)
	v_pk_fma_f32 v[116:117], v[114:115], v[102:103], v[112:113] op_sel:[0,0,1] op_sel_hi:[1,1,0] neg_lo:[0,0,1] neg_hi:[0,0,1]
	v_pk_fma_f32 v[112:113], v[114:115], v[102:103], v[112:113] op_sel:[0,0,1] op_sel_hi:[1,0,0]
	v_mov_b32_e32 v117, v113
	ds_load_2addr_b64 v[112:115], v106 offset0:23 offset1:24
	v_pk_add_f32 v[68:69], v[68:69], v[118:119] neg_lo:[0,1] neg_hi:[0,1]
	v_pk_add_f32 v[70:71], v[70:71], v[116:117] neg_lo:[0,1] neg_hi:[0,1]
	s_wait_dscnt 0x0
	v_pk_mul_f32 v[116:117], v[112:113], v[104:105] op_sel:[0,1]
	s_delay_alu instid0(VALU_DEP_1) | instskip(SKIP_2) | instid1(VALU_DEP_2)
	v_pk_fma_f32 v[118:119], v[112:113], v[102:103], v[116:117] op_sel:[0,0,1] op_sel_hi:[1,1,0] neg_lo:[0,0,1] neg_hi:[0,0,1]
	v_pk_fma_f32 v[112:113], v[112:113], v[102:103], v[116:117] op_sel:[0,0,1] op_sel_hi:[1,0,0]
	v_dual_mul_f32 v116, v115, v105 :: v_dual_mov_b32 v112, v115
	v_dual_mov_b32 v119, v113 :: v_dual_mov_b32 v113, v114
	s_delay_alu instid0(VALU_DEP_2) | instskip(SKIP_1) | instid1(VALU_DEP_3)
	v_pk_fma_f32 v[116:117], v[114:115], v[72:73], v[116:117] op_sel_hi:[1,1,0] neg_lo:[0,0,1] neg_hi:[0,0,1]
	v_mul_f32_e32 v114, v115, v102
	v_pk_add_f32 v[22:23], v[22:23], v[118:119] neg_lo:[0,1] neg_hi:[0,1]
	s_delay_alu instid0(VALU_DEP_2) | instskip(NEXT) | instid1(VALU_DEP_1)
	v_pk_fma_f32 v[112:113], v[112:113], v[72:73], v[114:115] op_sel_hi:[1,1,0]
	v_mov_b32_e32 v117, v113
	ds_load_2addr_b64 v[112:115], v106 offset0:25 offset1:26
	v_pk_add_f32 v[66:67], v[66:67], v[116:117] neg_lo:[0,1] neg_hi:[0,1]
	s_wait_dscnt 0x0
	v_pk_mul_f32 v[116:117], v[112:113], v[104:105] op_sel:[0,1]
	s_delay_alu instid0(VALU_DEP_1) | instskip(SKIP_1) | instid1(VALU_DEP_1)
	v_pk_fma_f32 v[118:119], v[112:113], v[102:103], v[116:117] op_sel:[0,0,1] op_sel_hi:[1,1,0] neg_lo:[0,0,1] neg_hi:[0,0,1]
	v_pk_fma_f32 v[112:113], v[112:113], v[102:103], v[116:117] op_sel:[0,0,1] op_sel_hi:[1,0,0]
	v_mov_b32_e32 v119, v113
	v_pk_mul_f32 v[112:113], v[114:115], v[104:105] op_sel:[0,1]
	s_delay_alu instid0(VALU_DEP_1) | instskip(SKIP_1) | instid1(VALU_DEP_1)
	v_pk_fma_f32 v[116:117], v[114:115], v[102:103], v[112:113] op_sel:[0,0,1] op_sel_hi:[1,1,0] neg_lo:[0,0,1] neg_hi:[0,0,1]
	v_pk_fma_f32 v[112:113], v[114:115], v[102:103], v[112:113] op_sel:[0,0,1] op_sel_hi:[1,0,0]
	v_mov_b32_e32 v117, v113
	ds_load_2addr_b64 v[112:115], v106 offset0:27 offset1:28
	v_pk_add_f32 v[62:63], v[62:63], v[118:119] neg_lo:[0,1] neg_hi:[0,1]
	v_pk_add_f32 v[64:65], v[64:65], v[116:117] neg_lo:[0,1] neg_hi:[0,1]
	s_wait_dscnt 0x0
	v_pk_mul_f32 v[116:117], v[112:113], v[104:105] op_sel:[0,1]
	s_delay_alu instid0(VALU_DEP_1) | instskip(SKIP_1) | instid1(VALU_DEP_1)
	v_pk_fma_f32 v[118:119], v[112:113], v[102:103], v[116:117] op_sel:[0,0,1] op_sel_hi:[1,1,0] neg_lo:[0,0,1] neg_hi:[0,0,1]
	v_pk_fma_f32 v[112:113], v[112:113], v[102:103], v[116:117] op_sel:[0,0,1] op_sel_hi:[1,0,0]
	v_mov_b32_e32 v119, v113
	v_pk_mul_f32 v[112:113], v[114:115], v[104:105] op_sel:[0,1]
	s_delay_alu instid0(VALU_DEP_1) | instskip(SKIP_1) | instid1(VALU_DEP_1)
	v_pk_fma_f32 v[116:117], v[114:115], v[102:103], v[112:113] op_sel:[0,0,1] op_sel_hi:[1,1,0] neg_lo:[0,0,1] neg_hi:[0,0,1]
	v_pk_fma_f32 v[112:113], v[114:115], v[102:103], v[112:113] op_sel:[0,0,1] op_sel_hi:[1,0,0]
	v_mov_b32_e32 v117, v113
	ds_load_2addr_b64 v[112:115], v106 offset0:29 offset1:30
	v_pk_add_f32 v[20:21], v[20:21], v[118:119] neg_lo:[0,1] neg_hi:[0,1]
	v_pk_add_f32 v[54:55], v[54:55], v[116:117] neg_lo:[0,1] neg_hi:[0,1]
	s_wait_dscnt 0x0
	v_dual_mul_f32 v116, v113, v105 :: v_dual_mul_f32 v118, v113, v102
	s_delay_alu instid0(VALU_DEP_1) | instskip(NEXT) | instid1(VALU_DEP_2)
	v_pk_fma_f32 v[116:117], v[112:113], v[72:73], v[116:117] op_sel_hi:[1,1,0] neg_lo:[0,0,1] neg_hi:[0,0,1]
	v_pk_fma_f32 v[112:113], v[112:113], v[72:73], v[118:119] op_sel:[1,0,0] op_sel_hi:[0,1,0]
	s_delay_alu instid0(VALU_DEP_1) | instskip(SKIP_1) | instid1(VALU_DEP_2)
	v_mov_b32_e32 v117, v113
	v_pk_mul_f32 v[112:113], v[114:115], v[104:105] op_sel:[0,1]
	v_pk_add_f32 v[50:51], v[50:51], v[116:117] neg_lo:[0,1] neg_hi:[0,1]
	s_delay_alu instid0(VALU_DEP_2) | instskip(SKIP_1) | instid1(VALU_DEP_1)
	v_pk_fma_f32 v[116:117], v[114:115], v[102:103], v[112:113] op_sel:[0,0,1] op_sel_hi:[1,1,0] neg_lo:[0,0,1] neg_hi:[0,0,1]
	v_pk_fma_f32 v[112:113], v[114:115], v[102:103], v[112:113] op_sel:[0,0,1] op_sel_hi:[1,0,0]
	v_mov_b32_e32 v117, v113
	ds_load_2addr_b64 v[112:115], v106 offset0:31 offset1:32
	v_pk_add_f32 v[52:53], v[52:53], v[116:117] neg_lo:[0,1] neg_hi:[0,1]
	s_wait_dscnt 0x0
	v_pk_mul_f32 v[116:117], v[112:113], v[104:105] op_sel:[0,1]
	s_delay_alu instid0(VALU_DEP_1) | instskip(SKIP_1) | instid1(VALU_DEP_1)
	v_pk_fma_f32 v[118:119], v[112:113], v[102:103], v[116:117] op_sel:[0,0,1] op_sel_hi:[1,1,0] neg_lo:[0,0,1] neg_hi:[0,0,1]
	v_pk_fma_f32 v[112:113], v[112:113], v[102:103], v[116:117] op_sel:[0,0,1] op_sel_hi:[1,0,0]
	v_mov_b32_e32 v119, v113
	v_pk_mul_f32 v[112:113], v[114:115], v[104:105] op_sel:[0,1]
	s_delay_alu instid0(VALU_DEP_2) | instskip(NEXT) | instid1(VALU_DEP_2)
	v_pk_add_f32 v[12:13], v[12:13], v[118:119] neg_lo:[0,1] neg_hi:[0,1]
	v_pk_fma_f32 v[116:117], v[114:115], v[102:103], v[112:113] op_sel:[0,0,1] op_sel_hi:[1,1,0] neg_lo:[0,0,1] neg_hi:[0,0,1]
	v_pk_fma_f32 v[112:113], v[114:115], v[102:103], v[112:113] op_sel:[0,0,1] op_sel_hi:[1,0,0]
	s_delay_alu instid0(VALU_DEP_1) | instskip(SKIP_4) | instid1(VALU_DEP_1)
	v_mov_b32_e32 v117, v113
	ds_load_2addr_b64 v[112:115], v106 offset0:33 offset1:34
	v_pk_add_f32 v[48:49], v[48:49], v[116:117] neg_lo:[0,1] neg_hi:[0,1]
	s_wait_dscnt 0x0
	v_pk_mul_f32 v[116:117], v[112:113], v[104:105] op_sel:[0,1]
	v_pk_fma_f32 v[118:119], v[112:113], v[102:103], v[116:117] op_sel:[0,0,1] op_sel_hi:[1,1,0] neg_lo:[0,0,1] neg_hi:[0,0,1]
	v_pk_fma_f32 v[112:113], v[112:113], v[102:103], v[116:117] op_sel:[0,0,1] op_sel_hi:[1,0,0]
	v_dual_mul_f32 v116, v115, v105 :: v_dual_mov_b32 v112, v115
	s_delay_alu instid0(VALU_DEP_2) | instskip(NEXT) | instid1(VALU_DEP_2)
	v_dual_mov_b32 v119, v113 :: v_dual_mov_b32 v113, v114
	v_pk_fma_f32 v[116:117], v[114:115], v[72:73], v[116:117] op_sel_hi:[1,1,0] neg_lo:[0,0,1] neg_hi:[0,0,1]
	v_mul_f32_e32 v114, v115, v102
	s_delay_alu instid0(VALU_DEP_3) | instskip(NEXT) | instid1(VALU_DEP_2)
	v_pk_add_f32 v[44:45], v[44:45], v[118:119] neg_lo:[0,1] neg_hi:[0,1]
	v_pk_fma_f32 v[112:113], v[112:113], v[72:73], v[114:115] op_sel_hi:[1,1,0]
	s_delay_alu instid0(VALU_DEP_1) | instskip(SKIP_4) | instid1(VALU_DEP_1)
	v_mov_b32_e32 v117, v113
	ds_load_2addr_b64 v[112:115], v106 offset0:35 offset1:36
	v_pk_add_f32 v[46:47], v[46:47], v[116:117] neg_lo:[0,1] neg_hi:[0,1]
	s_wait_dscnt 0x0
	v_pk_mul_f32 v[116:117], v[112:113], v[104:105] op_sel:[0,1]
	v_pk_fma_f32 v[118:119], v[112:113], v[102:103], v[116:117] op_sel:[0,0,1] op_sel_hi:[1,1,0] neg_lo:[0,0,1] neg_hi:[0,0,1]
	v_pk_fma_f32 v[112:113], v[112:113], v[102:103], v[116:117] op_sel:[0,0,1] op_sel_hi:[1,0,0]
	s_delay_alu instid0(VALU_DEP_1) | instskip(SKIP_1) | instid1(VALU_DEP_1)
	v_mov_b32_e32 v119, v113
	v_pk_mul_f32 v[112:113], v[114:115], v[104:105] op_sel:[0,1]
	v_pk_fma_f32 v[116:117], v[114:115], v[102:103], v[112:113] op_sel:[0,0,1] op_sel_hi:[1,1,0] neg_lo:[0,0,1] neg_hi:[0,0,1]
	v_pk_fma_f32 v[112:113], v[114:115], v[102:103], v[112:113] op_sel:[0,0,1] op_sel_hi:[1,0,0]
	s_delay_alu instid0(VALU_DEP_1)
	v_mov_b32_e32 v117, v113
	ds_load_2addr_b64 v[112:115], v106 offset0:37 offset1:38
	v_pk_add_f32 v[10:11], v[10:11], v[118:119] neg_lo:[0,1] neg_hi:[0,1]
	v_pk_add_f32 v[42:43], v[42:43], v[116:117] neg_lo:[0,1] neg_hi:[0,1]
	s_wait_dscnt 0x0
	v_pk_mul_f32 v[116:117], v[112:113], v[104:105] op_sel:[0,1]
	s_delay_alu instid0(VALU_DEP_1) | instskip(SKIP_1) | instid1(VALU_DEP_1)
	v_pk_fma_f32 v[118:119], v[112:113], v[102:103], v[116:117] op_sel:[0,0,1] op_sel_hi:[1,1,0] neg_lo:[0,0,1] neg_hi:[0,0,1]
	v_pk_fma_f32 v[112:113], v[112:113], v[102:103], v[116:117] op_sel:[0,0,1] op_sel_hi:[1,0,0]
	v_mov_b32_e32 v119, v113
	v_pk_mul_f32 v[112:113], v[114:115], v[104:105] op_sel:[0,1]
	s_delay_alu instid0(VALU_DEP_1) | instskip(SKIP_1) | instid1(VALU_DEP_1)
	v_pk_fma_f32 v[116:117], v[114:115], v[102:103], v[112:113] op_sel:[0,0,1] op_sel_hi:[1,1,0] neg_lo:[0,0,1] neg_hi:[0,0,1]
	v_pk_fma_f32 v[112:113], v[114:115], v[102:103], v[112:113] op_sel:[0,0,1] op_sel_hi:[1,0,0]
	v_mov_b32_e32 v117, v113
	ds_load_2addr_b64 v[112:115], v106 offset0:39 offset1:40
	v_pk_add_f32 v[38:39], v[38:39], v[118:119] neg_lo:[0,1] neg_hi:[0,1]
	v_pk_add_f32 v[40:41], v[40:41], v[116:117] neg_lo:[0,1] neg_hi:[0,1]
	s_wait_dscnt 0x0
	v_dual_mul_f32 v116, v113, v105 :: v_dual_mul_f32 v118, v113, v102
	s_delay_alu instid0(VALU_DEP_1) | instskip(NEXT) | instid1(VALU_DEP_2)
	v_pk_fma_f32 v[116:117], v[112:113], v[72:73], v[116:117] op_sel_hi:[1,1,0] neg_lo:[0,0,1] neg_hi:[0,0,1]
	v_pk_fma_f32 v[112:113], v[112:113], v[72:73], v[118:119] op_sel:[1,0,0] op_sel_hi:[0,1,0]
	s_delay_alu instid0(VALU_DEP_1) | instskip(SKIP_1) | instid1(VALU_DEP_2)
	v_mov_b32_e32 v117, v113
	v_pk_mul_f32 v[112:113], v[114:115], v[104:105] op_sel:[0,1]
	v_pk_add_f32 v[6:7], v[6:7], v[116:117] neg_lo:[0,1] neg_hi:[0,1]
	s_delay_alu instid0(VALU_DEP_2) | instskip(SKIP_1) | instid1(VALU_DEP_1)
	v_pk_fma_f32 v[116:117], v[114:115], v[102:103], v[112:113] op_sel:[0,0,1] op_sel_hi:[1,1,0] neg_lo:[0,0,1] neg_hi:[0,0,1]
	v_pk_fma_f32 v[112:113], v[114:115], v[102:103], v[112:113] op_sel:[0,0,1] op_sel_hi:[1,0,0]
	v_mov_b32_e32 v117, v113
	ds_load_2addr_b64 v[112:115], v106 offset0:41 offset1:42
	v_pk_add_f32 v[36:37], v[36:37], v[116:117] neg_lo:[0,1] neg_hi:[0,1]
	s_wait_dscnt 0x0
	v_pk_mul_f32 v[116:117], v[112:113], v[104:105] op_sel:[0,1]
	s_delay_alu instid0(VALU_DEP_1) | instskip(SKIP_1) | instid1(VALU_DEP_1)
	v_pk_fma_f32 v[118:119], v[112:113], v[102:103], v[116:117] op_sel:[0,0,1] op_sel_hi:[1,1,0] neg_lo:[0,0,1] neg_hi:[0,0,1]
	v_pk_fma_f32 v[112:113], v[112:113], v[102:103], v[116:117] op_sel:[0,0,1] op_sel_hi:[1,0,0]
	v_mov_b32_e32 v119, v113
	v_pk_mul_f32 v[112:113], v[114:115], v[104:105] op_sel:[0,1]
	s_delay_alu instid0(VALU_DEP_2) | instskip(NEXT) | instid1(VALU_DEP_2)
	v_pk_add_f32 v[30:31], v[30:31], v[118:119] neg_lo:[0,1] neg_hi:[0,1]
	v_pk_fma_f32 v[116:117], v[114:115], v[102:103], v[112:113] op_sel:[0,0,1] op_sel_hi:[1,1,0] neg_lo:[0,0,1] neg_hi:[0,0,1]
	v_pk_fma_f32 v[112:113], v[114:115], v[102:103], v[112:113] op_sel:[0,0,1] op_sel_hi:[1,0,0]
	s_delay_alu instid0(VALU_DEP_1) | instskip(SKIP_4) | instid1(VALU_DEP_1)
	v_mov_b32_e32 v117, v113
	ds_load_2addr_b64 v[112:115], v106 offset0:43 offset1:44
	v_pk_add_f32 v[34:35], v[34:35], v[116:117] neg_lo:[0,1] neg_hi:[0,1]
	s_wait_dscnt 0x0
	v_pk_mul_f32 v[116:117], v[112:113], v[104:105] op_sel:[0,1]
	v_pk_fma_f32 v[118:119], v[112:113], v[102:103], v[116:117] op_sel:[0,0,1] op_sel_hi:[1,1,0] neg_lo:[0,0,1] neg_hi:[0,0,1]
	v_pk_fma_f32 v[112:113], v[112:113], v[102:103], v[116:117] op_sel:[0,0,1] op_sel_hi:[1,0,0]
	v_dual_mul_f32 v116, v115, v105 :: v_dual_mov_b32 v112, v115
	s_delay_alu instid0(VALU_DEP_2) | instskip(NEXT) | instid1(VALU_DEP_2)
	v_dual_mov_b32 v119, v113 :: v_dual_mov_b32 v113, v114
	v_pk_fma_f32 v[116:117], v[114:115], v[72:73], v[116:117] op_sel_hi:[1,1,0] neg_lo:[0,0,1] neg_hi:[0,0,1]
	v_mul_f32_e32 v114, v115, v102
	s_delay_alu instid0(VALU_DEP_3) | instskip(NEXT) | instid1(VALU_DEP_2)
	v_pk_add_f32 v[8:9], v[8:9], v[118:119] neg_lo:[0,1] neg_hi:[0,1]
	v_pk_fma_f32 v[112:113], v[112:113], v[72:73], v[114:115] op_sel_hi:[1,1,0]
	s_delay_alu instid0(VALU_DEP_1) | instskip(SKIP_4) | instid1(VALU_DEP_1)
	v_mov_b32_e32 v117, v113
	ds_load_2addr_b64 v[112:115], v106 offset0:45 offset1:46
	v_pk_add_f32 v[28:29], v[28:29], v[116:117] neg_lo:[0,1] neg_hi:[0,1]
	s_wait_dscnt 0x0
	v_pk_mul_f32 v[116:117], v[112:113], v[104:105] op_sel:[0,1]
	v_pk_fma_f32 v[118:119], v[112:113], v[102:103], v[116:117] op_sel:[0,0,1] op_sel_hi:[1,1,0] neg_lo:[0,0,1] neg_hi:[0,0,1]
	v_pk_fma_f32 v[112:113], v[112:113], v[102:103], v[116:117] op_sel:[0,0,1] op_sel_hi:[1,0,0]
	s_delay_alu instid0(VALU_DEP_1) | instskip(SKIP_1) | instid1(VALU_DEP_1)
	v_mov_b32_e32 v119, v113
	v_pk_mul_f32 v[112:113], v[114:115], v[104:105] op_sel:[0,1]
	v_pk_fma_f32 v[116:117], v[114:115], v[102:103], v[112:113] op_sel:[0,0,1] op_sel_hi:[1,1,0] neg_lo:[0,0,1] neg_hi:[0,0,1]
	v_pk_fma_f32 v[112:113], v[114:115], v[102:103], v[112:113] op_sel:[0,0,1] op_sel_hi:[1,0,0]
	s_delay_alu instid0(VALU_DEP_1)
	v_mov_b32_e32 v117, v113
	ds_load_b64 v[112:113], v106 offset:376
	v_pk_add_f32 v[18:19], v[18:19], v[118:119] neg_lo:[0,1] neg_hi:[0,1]
	v_pk_add_f32 v[14:15], v[14:15], v[116:117] neg_lo:[0,1] neg_hi:[0,1]
	s_wait_dscnt 0x0
	v_pk_mul_f32 v[104:105], v[112:113], v[104:105] op_sel:[0,1]
	s_delay_alu instid0(VALU_DEP_1) | instskip(SKIP_1) | instid1(VALU_DEP_1)
	v_pk_fma_f32 v[114:115], v[112:113], v[102:103], v[104:105] op_sel:[0,0,1] op_sel_hi:[1,1,0] neg_lo:[0,0,1] neg_hi:[0,0,1]
	v_pk_fma_f32 v[102:103], v[112:113], v[102:103], v[104:105] op_sel:[0,0,1] op_sel_hi:[1,0,0]
	v_mov_b32_e32 v115, v103
	s_delay_alu instid0(VALU_DEP_1)
	v_pk_add_f32 v[100:101], v[100:101], v[114:115] neg_lo:[0,1] neg_hi:[0,1]
.LBB94_440:
	s_or_b32 exec_lo, exec_lo, s0
	v_lshl_add_u32 v102, v110, 3, v106
	s_barrier_signal -1
	s_barrier_wait -1
	ds_store_b64 v102, v[68:69]
	s_wait_dscnt 0x0
	s_barrier_signal -1
	s_barrier_wait -1
	ds_load_b64 v[104:105], v106 offset:168
	v_mov_b32_e32 v102, 21
	s_cmp_lt_i32 s18, 23
	s_cbranch_scc1 .LBB94_443
; %bb.441:
	v_add3_u32 v103, v107, 0, 0xb0
	v_mov_b32_e32 v102, 21
	s_mov_b32 s0, 22
.LBB94_442:                             ; =>This Inner Loop Header: Depth=1
	ds_load_b64 v[112:113], v103
	s_wait_dscnt 0x1
	v_cmp_gt_f32_e32 vcc_lo, 0, v104
	v_cndmask_b32_e64 v114, v104, -v104, vcc_lo
	v_cmp_gt_f32_e32 vcc_lo, 0, v105
	v_cndmask_b32_e64 v116, v105, -v105, vcc_lo
	s_wait_dscnt 0x0
	v_cmp_gt_f32_e32 vcc_lo, 0, v112
	v_cndmask_b32_e64 v115, v112, -v112, vcc_lo
	v_cmp_gt_f32_e32 vcc_lo, 0, v113
	v_cndmask_b32_e64 v117, v113, -v113, vcc_lo
	s_delay_alu instid0(VALU_DEP_1) | instskip(NEXT) | instid1(VALU_DEP_1)
	v_pk_add_f32 v[114:115], v[114:115], v[116:117]
	v_cmp_lt_f32_e32 vcc_lo, v114, v115
	v_dual_add_nc_u32 v103, 8, v103 :: v_dual_cndmask_b32 v105, v105, v113, vcc_lo
	v_cndmask_b32_e32 v104, v104, v112, vcc_lo
	v_cndmask_b32_e64 v102, v102, s0, vcc_lo
	s_add_co_i32 s0, s0, 1
	s_delay_alu instid0(SALU_CYCLE_1)
	s_cmp_lg_u32 s18, s0
	s_cbranch_scc1 .LBB94_442
.LBB94_443:
	s_wait_dscnt 0x0
	v_cmp_eq_f32_e32 vcc_lo, 0, v104
	v_cmp_eq_f32_e64 s0, 0, v105
	s_and_b32 s0, vcc_lo, s0
	s_delay_alu instid0(SALU_CYCLE_1) | instskip(NEXT) | instid1(SALU_CYCLE_1)
	s_and_saveexec_b32 s1, s0
	s_xor_b32 s0, exec_lo, s1
; %bb.444:
	v_cmp_ne_u32_e32 vcc_lo, 0, v108
	v_cndmask_b32_e32 v108, 22, v108, vcc_lo
; %bb.445:
	s_and_not1_saveexec_b32 s0, s0
	s_cbranch_execz .LBB94_451
; %bb.446:
	v_cmp_ngt_f32_e64 s1, |v104|, |v105|
	s_and_saveexec_b32 s12, s1
	s_delay_alu instid0(SALU_CYCLE_1)
	s_xor_b32 s1, exec_lo, s12
	s_cbranch_execz .LBB94_448
; %bb.447:
	v_div_scale_f32 v103, null, v105, v105, v104
	v_div_scale_f32 v113, vcc_lo, v104, v105, v104
	s_delay_alu instid0(VALU_DEP_2) | instskip(SKIP_1) | instid1(TRANS32_DEP_1)
	v_rcp_f32_e32 v111, v103
	v_nop
	v_fma_f32 v112, -v103, v111, 1.0
	s_delay_alu instid0(VALU_DEP_1) | instskip(NEXT) | instid1(VALU_DEP_1)
	v_fmac_f32_e32 v111, v112, v111
	v_mul_f32_e32 v112, v113, v111
	s_delay_alu instid0(VALU_DEP_1) | instskip(NEXT) | instid1(VALU_DEP_1)
	v_fma_f32 v114, -v103, v112, v113
	v_fmac_f32_e32 v112, v114, v111
	s_delay_alu instid0(VALU_DEP_1) | instskip(NEXT) | instid1(VALU_DEP_1)
	v_fma_f32 v103, -v103, v112, v113
	v_div_fmas_f32 v103, v103, v111, v112
	s_delay_alu instid0(VALU_DEP_1) | instskip(NEXT) | instid1(VALU_DEP_1)
	v_div_fixup_f32 v103, v103, v105, v104
	v_fmac_f32_e32 v105, v104, v103
	s_delay_alu instid0(VALU_DEP_1) | instskip(SKIP_1) | instid1(VALU_DEP_2)
	v_div_scale_f32 v104, null, v105, v105, 1.0
	v_div_scale_f32 v113, vcc_lo, 1.0, v105, 1.0
	v_rcp_f32_e32 v111, v104
	v_nop
	s_delay_alu instid0(TRANS32_DEP_1) | instskip(NEXT) | instid1(VALU_DEP_1)
	v_fma_f32 v112, -v104, v111, 1.0
	v_fmac_f32_e32 v111, v112, v111
	s_delay_alu instid0(VALU_DEP_1) | instskip(NEXT) | instid1(VALU_DEP_1)
	v_mul_f32_e32 v112, v113, v111
	v_fma_f32 v114, -v104, v112, v113
	s_delay_alu instid0(VALU_DEP_1) | instskip(NEXT) | instid1(VALU_DEP_1)
	v_fmac_f32_e32 v112, v114, v111
	v_fma_f32 v104, -v104, v112, v113
	s_delay_alu instid0(VALU_DEP_1) | instskip(NEXT) | instid1(VALU_DEP_1)
	v_div_fmas_f32 v104, v104, v111, v112
	v_div_fixup_f32 v105, v104, v105, 1.0
	s_delay_alu instid0(VALU_DEP_1)
	v_mul_f32_e32 v104, v103, v105
	v_xor_b32_e32 v105, 0x80000000, v105
.LBB94_448:
	s_and_not1_saveexec_b32 s1, s1
	s_cbranch_execz .LBB94_450
; %bb.449:
	s_delay_alu instid0(VALU_DEP_1) | instskip(SKIP_1) | instid1(VALU_DEP_2)
	v_div_scale_f32 v103, null, v104, v104, v105
	v_div_scale_f32 v113, vcc_lo, v105, v104, v105
	v_rcp_f32_e32 v111, v103
	v_nop
	s_delay_alu instid0(TRANS32_DEP_1) | instskip(NEXT) | instid1(VALU_DEP_1)
	v_fma_f32 v112, -v103, v111, 1.0
	v_fmac_f32_e32 v111, v112, v111
	s_delay_alu instid0(VALU_DEP_1) | instskip(NEXT) | instid1(VALU_DEP_1)
	v_mul_f32_e32 v112, v113, v111
	v_fma_f32 v114, -v103, v112, v113
	s_delay_alu instid0(VALU_DEP_1) | instskip(NEXT) | instid1(VALU_DEP_1)
	v_fmac_f32_e32 v112, v114, v111
	v_fma_f32 v103, -v103, v112, v113
	s_delay_alu instid0(VALU_DEP_1) | instskip(NEXT) | instid1(VALU_DEP_1)
	v_div_fmas_f32 v103, v103, v111, v112
	v_div_fixup_f32 v103, v103, v104, v105
	s_delay_alu instid0(VALU_DEP_1) | instskip(NEXT) | instid1(VALU_DEP_1)
	v_fmac_f32_e32 v104, v105, v103
	v_div_scale_f32 v105, null, v104, v104, 1.0
	s_delay_alu instid0(VALU_DEP_1) | instskip(SKIP_1) | instid1(TRANS32_DEP_1)
	v_rcp_f32_e32 v111, v105
	v_nop
	v_fma_f32 v112, -v105, v111, 1.0
	s_delay_alu instid0(VALU_DEP_1) | instskip(SKIP_1) | instid1(VALU_DEP_1)
	v_fmac_f32_e32 v111, v112, v111
	v_div_scale_f32 v112, vcc_lo, 1.0, v104, 1.0
	v_mul_f32_e32 v113, v112, v111
	s_delay_alu instid0(VALU_DEP_1) | instskip(NEXT) | instid1(VALU_DEP_1)
	v_fma_f32 v114, -v105, v113, v112
	v_fmac_f32_e32 v113, v114, v111
	s_delay_alu instid0(VALU_DEP_1) | instskip(NEXT) | instid1(VALU_DEP_1)
	v_fma_f32 v105, -v105, v113, v112
	v_div_fmas_f32 v105, v105, v111, v113
	s_delay_alu instid0(VALU_DEP_1) | instskip(NEXT) | instid1(VALU_DEP_1)
	v_div_fixup_f32 v104, v105, v104, 1.0
	v_mul_f32_e64 v105, v103, -v104
.LBB94_450:
	s_or_b32 exec_lo, exec_lo, s1
.LBB94_451:
	s_delay_alu instid0(SALU_CYCLE_1) | instskip(NEXT) | instid1(SALU_CYCLE_1)
	s_or_b32 exec_lo, exec_lo, s0
	s_mov_b32 s0, exec_lo
	v_cmpx_ne_u32_e64 v110, v102
	s_xor_b32 s0, exec_lo, s0
	s_cbranch_execz .LBB94_457
; %bb.452:
	s_mov_b32 s1, exec_lo
	v_cmpx_eq_u32_e32 21, v110
	s_cbranch_execz .LBB94_456
; %bb.453:
	v_cmp_ne_u32_e32 vcc_lo, 21, v102
	s_xor_b32 s12, s16, -1
	s_delay_alu instid0(SALU_CYCLE_1) | instskip(NEXT) | instid1(SALU_CYCLE_1)
	s_and_b32 s13, s12, vcc_lo
	s_and_saveexec_b32 s12, s13
	s_cbranch_execz .LBB94_455
; %bb.454:
	v_ashrrev_i32_e32 v103, 31, v102
	s_delay_alu instid0(VALU_DEP_1)
	v_lshl_add_u64 v[110:111], v[102:103], 2, v[4:5]
	s_clause 0x1
	global_load_b32 v103, v[110:111], off
	global_load_b32 v109, v[4:5], off offset:84
	s_wait_loadcnt 0x1
	global_store_b32 v[4:5], v103, off offset:84
	s_wait_loadcnt 0x0
	global_store_b32 v[110:111], v109, off
.LBB94_455:
	s_wait_xcnt 0x0
	s_or_b32 exec_lo, exec_lo, s12
	v_dual_mov_b32 v110, v102 :: v_dual_mov_b32 v109, v102
.LBB94_456:
	s_or_b32 exec_lo, exec_lo, s1
.LBB94_457:
	s_and_not1_saveexec_b32 s0, s0
	s_cbranch_execz .LBB94_459
; %bb.458:
	v_dual_mov_b32 v102, v70 :: v_dual_mov_b32 v103, v71
	v_dual_mov_b32 v110, v22 :: v_dual_mov_b32 v111, v23
	ds_store_2addr_b64 v106, v[102:103], v[110:111] offset0:22 offset1:23
	v_dual_mov_b32 v102, v66 :: v_dual_mov_b32 v103, v67
	v_dual_mov_b32 v110, v62 :: v_dual_mov_b32 v111, v63
	ds_store_2addr_b64 v106, v[102:103], v[110:111] offset0:24 offset1:25
	;; [unrolled: 3-line block ×12, first 2 shown]
	v_dual_mov_b32 v102, v14 :: v_dual_mov_b32 v103, v15
	v_mov_b32_e32 v110, 21
	ds_store_2addr_b64 v106, v[102:103], v[100:101] offset0:46 offset1:47
.LBB94_459:
	s_or_b32 exec_lo, exec_lo, s0
	s_delay_alu instid0(SALU_CYCLE_1)
	s_mov_b32 s0, exec_lo
	s_wait_storecnt_dscnt 0x0
	s_barrier_signal -1
	s_barrier_wait -1
	v_cmpx_lt_i32_e32 21, v110
	s_cbranch_execz .LBB94_461
; %bb.460:
	v_pk_mul_f32 v[112:113], v[104:105], v[68:69] op_sel:[1,1] op_sel_hi:[0,1]
	s_delay_alu instid0(VALU_DEP_1)
	v_pk_fma_f32 v[102:103], v[104:105], v[68:69], v[112:113] op_sel_hi:[1,0,1] neg_lo:[0,0,1] neg_hi:[0,0,1]
	v_pk_fma_f32 v[104:105], v[104:105], v[68:69], v[112:113] op_sel_hi:[1,0,1]
	ds_load_2addr_b64 v[112:115], v106 offset0:22 offset1:23
	v_dual_mov_b32 v68, v102 :: v_dual_mov_b32 v69, v105
	s_wait_dscnt 0x0
	v_pk_mul_f32 v[116:117], v[112:113], v[104:105] op_sel:[0,1]
	s_delay_alu instid0(VALU_DEP_1) | instskip(SKIP_1) | instid1(VALU_DEP_1)
	v_pk_fma_f32 v[118:119], v[112:113], v[102:103], v[116:117] op_sel:[0,0,1] op_sel_hi:[1,1,0] neg_lo:[0,0,1] neg_hi:[0,0,1]
	v_pk_fma_f32 v[112:113], v[112:113], v[102:103], v[116:117] op_sel:[0,0,1] op_sel_hi:[1,0,0]
	v_mov_b32_e32 v119, v113
	v_pk_mul_f32 v[112:113], v[114:115], v[104:105] op_sel:[0,1]
	s_delay_alu instid0(VALU_DEP_1) | instskip(SKIP_1) | instid1(VALU_DEP_1)
	v_pk_fma_f32 v[116:117], v[114:115], v[102:103], v[112:113] op_sel:[0,0,1] op_sel_hi:[1,1,0] neg_lo:[0,0,1] neg_hi:[0,0,1]
	v_pk_fma_f32 v[112:113], v[114:115], v[102:103], v[112:113] op_sel:[0,0,1] op_sel_hi:[1,0,0]
	v_mov_b32_e32 v117, v113
	ds_load_2addr_b64 v[112:115], v106 offset0:24 offset1:25
	v_pk_add_f32 v[70:71], v[70:71], v[118:119] neg_lo:[0,1] neg_hi:[0,1]
	v_pk_add_f32 v[22:23], v[22:23], v[116:117] neg_lo:[0,1] neg_hi:[0,1]
	s_wait_dscnt 0x0
	v_pk_mul_f32 v[116:117], v[112:113], v[104:105] op_sel:[0,1]
	s_delay_alu instid0(VALU_DEP_1) | instskip(SKIP_2) | instid1(VALU_DEP_2)
	v_pk_fma_f32 v[118:119], v[112:113], v[102:103], v[116:117] op_sel:[0,0,1] op_sel_hi:[1,1,0] neg_lo:[0,0,1] neg_hi:[0,0,1]
	v_pk_fma_f32 v[112:113], v[112:113], v[102:103], v[116:117] op_sel:[0,0,1] op_sel_hi:[1,0,0]
	v_dual_mul_f32 v116, v115, v105 :: v_dual_mov_b32 v112, v115
	v_dual_mov_b32 v119, v113 :: v_dual_mov_b32 v113, v114
	s_delay_alu instid0(VALU_DEP_2) | instskip(SKIP_1) | instid1(VALU_DEP_3)
	v_pk_fma_f32 v[116:117], v[114:115], v[68:69], v[116:117] op_sel_hi:[1,1,0] neg_lo:[0,0,1] neg_hi:[0,0,1]
	v_mul_f32_e32 v114, v115, v102
	v_pk_add_f32 v[66:67], v[66:67], v[118:119] neg_lo:[0,1] neg_hi:[0,1]
	s_delay_alu instid0(VALU_DEP_2) | instskip(NEXT) | instid1(VALU_DEP_1)
	v_pk_fma_f32 v[112:113], v[112:113], v[68:69], v[114:115] op_sel_hi:[1,1,0]
	v_mov_b32_e32 v117, v113
	ds_load_2addr_b64 v[112:115], v106 offset0:26 offset1:27
	v_pk_add_f32 v[62:63], v[62:63], v[116:117] neg_lo:[0,1] neg_hi:[0,1]
	s_wait_dscnt 0x0
	v_pk_mul_f32 v[116:117], v[112:113], v[104:105] op_sel:[0,1]
	s_delay_alu instid0(VALU_DEP_1) | instskip(SKIP_1) | instid1(VALU_DEP_1)
	v_pk_fma_f32 v[118:119], v[112:113], v[102:103], v[116:117] op_sel:[0,0,1] op_sel_hi:[1,1,0] neg_lo:[0,0,1] neg_hi:[0,0,1]
	v_pk_fma_f32 v[112:113], v[112:113], v[102:103], v[116:117] op_sel:[0,0,1] op_sel_hi:[1,0,0]
	v_mov_b32_e32 v119, v113
	v_pk_mul_f32 v[112:113], v[114:115], v[104:105] op_sel:[0,1]
	s_delay_alu instid0(VALU_DEP_1) | instskip(SKIP_1) | instid1(VALU_DEP_1)
	v_pk_fma_f32 v[116:117], v[114:115], v[102:103], v[112:113] op_sel:[0,0,1] op_sel_hi:[1,1,0] neg_lo:[0,0,1] neg_hi:[0,0,1]
	v_pk_fma_f32 v[112:113], v[114:115], v[102:103], v[112:113] op_sel:[0,0,1] op_sel_hi:[1,0,0]
	v_mov_b32_e32 v117, v113
	ds_load_2addr_b64 v[112:115], v106 offset0:28 offset1:29
	v_pk_add_f32 v[64:65], v[64:65], v[118:119] neg_lo:[0,1] neg_hi:[0,1]
	v_pk_add_f32 v[20:21], v[20:21], v[116:117] neg_lo:[0,1] neg_hi:[0,1]
	s_wait_dscnt 0x0
	v_pk_mul_f32 v[116:117], v[112:113], v[104:105] op_sel:[0,1]
	s_delay_alu instid0(VALU_DEP_1) | instskip(SKIP_1) | instid1(VALU_DEP_1)
	v_pk_fma_f32 v[118:119], v[112:113], v[102:103], v[116:117] op_sel:[0,0,1] op_sel_hi:[1,1,0] neg_lo:[0,0,1] neg_hi:[0,0,1]
	v_pk_fma_f32 v[112:113], v[112:113], v[102:103], v[116:117] op_sel:[0,0,1] op_sel_hi:[1,0,0]
	v_mov_b32_e32 v119, v113
	v_pk_mul_f32 v[112:113], v[114:115], v[104:105] op_sel:[0,1]
	s_delay_alu instid0(VALU_DEP_1) | instskip(SKIP_1) | instid1(VALU_DEP_1)
	v_pk_fma_f32 v[116:117], v[114:115], v[102:103], v[112:113] op_sel:[0,0,1] op_sel_hi:[1,1,0] neg_lo:[0,0,1] neg_hi:[0,0,1]
	v_pk_fma_f32 v[112:113], v[114:115], v[102:103], v[112:113] op_sel:[0,0,1] op_sel_hi:[1,0,0]
	v_mov_b32_e32 v117, v113
	ds_load_2addr_b64 v[112:115], v106 offset0:30 offset1:31
	v_pk_add_f32 v[54:55], v[54:55], v[118:119] neg_lo:[0,1] neg_hi:[0,1]
	v_pk_add_f32 v[50:51], v[50:51], v[116:117] neg_lo:[0,1] neg_hi:[0,1]
	s_wait_dscnt 0x0
	v_dual_mul_f32 v116, v113, v105 :: v_dual_mul_f32 v118, v113, v102
	s_delay_alu instid0(VALU_DEP_1) | instskip(NEXT) | instid1(VALU_DEP_2)
	v_pk_fma_f32 v[116:117], v[112:113], v[68:69], v[116:117] op_sel_hi:[1,1,0] neg_lo:[0,0,1] neg_hi:[0,0,1]
	v_pk_fma_f32 v[112:113], v[112:113], v[68:69], v[118:119] op_sel:[1,0,0] op_sel_hi:[0,1,0]
	s_delay_alu instid0(VALU_DEP_1) | instskip(SKIP_1) | instid1(VALU_DEP_2)
	v_mov_b32_e32 v117, v113
	v_pk_mul_f32 v[112:113], v[114:115], v[104:105] op_sel:[0,1]
	v_pk_add_f32 v[52:53], v[52:53], v[116:117] neg_lo:[0,1] neg_hi:[0,1]
	s_delay_alu instid0(VALU_DEP_2) | instskip(SKIP_1) | instid1(VALU_DEP_1)
	v_pk_fma_f32 v[116:117], v[114:115], v[102:103], v[112:113] op_sel:[0,0,1] op_sel_hi:[1,1,0] neg_lo:[0,0,1] neg_hi:[0,0,1]
	v_pk_fma_f32 v[112:113], v[114:115], v[102:103], v[112:113] op_sel:[0,0,1] op_sel_hi:[1,0,0]
	v_mov_b32_e32 v117, v113
	ds_load_2addr_b64 v[112:115], v106 offset0:32 offset1:33
	v_pk_add_f32 v[12:13], v[12:13], v[116:117] neg_lo:[0,1] neg_hi:[0,1]
	s_wait_dscnt 0x0
	v_pk_mul_f32 v[116:117], v[112:113], v[104:105] op_sel:[0,1]
	s_delay_alu instid0(VALU_DEP_1) | instskip(SKIP_1) | instid1(VALU_DEP_1)
	v_pk_fma_f32 v[118:119], v[112:113], v[102:103], v[116:117] op_sel:[0,0,1] op_sel_hi:[1,1,0] neg_lo:[0,0,1] neg_hi:[0,0,1]
	v_pk_fma_f32 v[112:113], v[112:113], v[102:103], v[116:117] op_sel:[0,0,1] op_sel_hi:[1,0,0]
	v_mov_b32_e32 v119, v113
	v_pk_mul_f32 v[112:113], v[114:115], v[104:105] op_sel:[0,1]
	s_delay_alu instid0(VALU_DEP_2) | instskip(NEXT) | instid1(VALU_DEP_2)
	v_pk_add_f32 v[48:49], v[48:49], v[118:119] neg_lo:[0,1] neg_hi:[0,1]
	v_pk_fma_f32 v[116:117], v[114:115], v[102:103], v[112:113] op_sel:[0,0,1] op_sel_hi:[1,1,0] neg_lo:[0,0,1] neg_hi:[0,0,1]
	v_pk_fma_f32 v[112:113], v[114:115], v[102:103], v[112:113] op_sel:[0,0,1] op_sel_hi:[1,0,0]
	s_delay_alu instid0(VALU_DEP_1) | instskip(SKIP_4) | instid1(VALU_DEP_1)
	v_mov_b32_e32 v117, v113
	ds_load_2addr_b64 v[112:115], v106 offset0:34 offset1:35
	v_pk_add_f32 v[44:45], v[44:45], v[116:117] neg_lo:[0,1] neg_hi:[0,1]
	s_wait_dscnt 0x0
	v_pk_mul_f32 v[116:117], v[112:113], v[104:105] op_sel:[0,1]
	v_pk_fma_f32 v[118:119], v[112:113], v[102:103], v[116:117] op_sel:[0,0,1] op_sel_hi:[1,1,0] neg_lo:[0,0,1] neg_hi:[0,0,1]
	v_pk_fma_f32 v[112:113], v[112:113], v[102:103], v[116:117] op_sel:[0,0,1] op_sel_hi:[1,0,0]
	v_dual_mul_f32 v116, v115, v105 :: v_dual_mov_b32 v112, v115
	s_delay_alu instid0(VALU_DEP_2) | instskip(NEXT) | instid1(VALU_DEP_2)
	v_dual_mov_b32 v119, v113 :: v_dual_mov_b32 v113, v114
	v_pk_fma_f32 v[116:117], v[114:115], v[68:69], v[116:117] op_sel_hi:[1,1,0] neg_lo:[0,0,1] neg_hi:[0,0,1]
	v_mul_f32_e32 v114, v115, v102
	s_delay_alu instid0(VALU_DEP_3) | instskip(NEXT) | instid1(VALU_DEP_2)
	v_pk_add_f32 v[46:47], v[46:47], v[118:119] neg_lo:[0,1] neg_hi:[0,1]
	v_pk_fma_f32 v[112:113], v[112:113], v[68:69], v[114:115] op_sel_hi:[1,1,0]
	s_delay_alu instid0(VALU_DEP_1) | instskip(SKIP_4) | instid1(VALU_DEP_1)
	v_mov_b32_e32 v117, v113
	ds_load_2addr_b64 v[112:115], v106 offset0:36 offset1:37
	v_pk_add_f32 v[10:11], v[10:11], v[116:117] neg_lo:[0,1] neg_hi:[0,1]
	s_wait_dscnt 0x0
	v_pk_mul_f32 v[116:117], v[112:113], v[104:105] op_sel:[0,1]
	v_pk_fma_f32 v[118:119], v[112:113], v[102:103], v[116:117] op_sel:[0,0,1] op_sel_hi:[1,1,0] neg_lo:[0,0,1] neg_hi:[0,0,1]
	v_pk_fma_f32 v[112:113], v[112:113], v[102:103], v[116:117] op_sel:[0,0,1] op_sel_hi:[1,0,0]
	s_delay_alu instid0(VALU_DEP_1) | instskip(SKIP_1) | instid1(VALU_DEP_1)
	v_mov_b32_e32 v119, v113
	v_pk_mul_f32 v[112:113], v[114:115], v[104:105] op_sel:[0,1]
	v_pk_fma_f32 v[116:117], v[114:115], v[102:103], v[112:113] op_sel:[0,0,1] op_sel_hi:[1,1,0] neg_lo:[0,0,1] neg_hi:[0,0,1]
	v_pk_fma_f32 v[112:113], v[114:115], v[102:103], v[112:113] op_sel:[0,0,1] op_sel_hi:[1,0,0]
	s_delay_alu instid0(VALU_DEP_1)
	v_mov_b32_e32 v117, v113
	ds_load_2addr_b64 v[112:115], v106 offset0:38 offset1:39
	v_pk_add_f32 v[42:43], v[42:43], v[118:119] neg_lo:[0,1] neg_hi:[0,1]
	v_pk_add_f32 v[38:39], v[38:39], v[116:117] neg_lo:[0,1] neg_hi:[0,1]
	s_wait_dscnt 0x0
	v_pk_mul_f32 v[116:117], v[112:113], v[104:105] op_sel:[0,1]
	s_delay_alu instid0(VALU_DEP_1) | instskip(SKIP_1) | instid1(VALU_DEP_1)
	v_pk_fma_f32 v[118:119], v[112:113], v[102:103], v[116:117] op_sel:[0,0,1] op_sel_hi:[1,1,0] neg_lo:[0,0,1] neg_hi:[0,0,1]
	v_pk_fma_f32 v[112:113], v[112:113], v[102:103], v[116:117] op_sel:[0,0,1] op_sel_hi:[1,0,0]
	v_mov_b32_e32 v119, v113
	v_pk_mul_f32 v[112:113], v[114:115], v[104:105] op_sel:[0,1]
	s_delay_alu instid0(VALU_DEP_1) | instskip(SKIP_1) | instid1(VALU_DEP_1)
	v_pk_fma_f32 v[116:117], v[114:115], v[102:103], v[112:113] op_sel:[0,0,1] op_sel_hi:[1,1,0] neg_lo:[0,0,1] neg_hi:[0,0,1]
	v_pk_fma_f32 v[112:113], v[114:115], v[102:103], v[112:113] op_sel:[0,0,1] op_sel_hi:[1,0,0]
	v_mov_b32_e32 v117, v113
	ds_load_2addr_b64 v[112:115], v106 offset0:40 offset1:41
	v_pk_add_f32 v[40:41], v[40:41], v[118:119] neg_lo:[0,1] neg_hi:[0,1]
	v_pk_add_f32 v[6:7], v[6:7], v[116:117] neg_lo:[0,1] neg_hi:[0,1]
	s_wait_dscnt 0x0
	v_dual_mul_f32 v116, v113, v105 :: v_dual_mul_f32 v118, v113, v102
	s_delay_alu instid0(VALU_DEP_1) | instskip(NEXT) | instid1(VALU_DEP_2)
	v_pk_fma_f32 v[116:117], v[112:113], v[68:69], v[116:117] op_sel_hi:[1,1,0] neg_lo:[0,0,1] neg_hi:[0,0,1]
	v_pk_fma_f32 v[112:113], v[112:113], v[68:69], v[118:119] op_sel:[1,0,0] op_sel_hi:[0,1,0]
	s_delay_alu instid0(VALU_DEP_1) | instskip(SKIP_1) | instid1(VALU_DEP_2)
	v_mov_b32_e32 v117, v113
	v_pk_mul_f32 v[112:113], v[114:115], v[104:105] op_sel:[0,1]
	v_pk_add_f32 v[36:37], v[36:37], v[116:117] neg_lo:[0,1] neg_hi:[0,1]
	s_delay_alu instid0(VALU_DEP_2) | instskip(SKIP_1) | instid1(VALU_DEP_1)
	v_pk_fma_f32 v[116:117], v[114:115], v[102:103], v[112:113] op_sel:[0,0,1] op_sel_hi:[1,1,0] neg_lo:[0,0,1] neg_hi:[0,0,1]
	v_pk_fma_f32 v[112:113], v[114:115], v[102:103], v[112:113] op_sel:[0,0,1] op_sel_hi:[1,0,0]
	v_mov_b32_e32 v117, v113
	ds_load_2addr_b64 v[112:115], v106 offset0:42 offset1:43
	v_pk_add_f32 v[30:31], v[30:31], v[116:117] neg_lo:[0,1] neg_hi:[0,1]
	s_wait_dscnt 0x0
	v_pk_mul_f32 v[116:117], v[112:113], v[104:105] op_sel:[0,1]
	s_delay_alu instid0(VALU_DEP_1) | instskip(SKIP_1) | instid1(VALU_DEP_1)
	v_pk_fma_f32 v[118:119], v[112:113], v[102:103], v[116:117] op_sel:[0,0,1] op_sel_hi:[1,1,0] neg_lo:[0,0,1] neg_hi:[0,0,1]
	v_pk_fma_f32 v[112:113], v[112:113], v[102:103], v[116:117] op_sel:[0,0,1] op_sel_hi:[1,0,0]
	v_mov_b32_e32 v119, v113
	v_pk_mul_f32 v[112:113], v[114:115], v[104:105] op_sel:[0,1]
	s_delay_alu instid0(VALU_DEP_2) | instskip(NEXT) | instid1(VALU_DEP_2)
	v_pk_add_f32 v[34:35], v[34:35], v[118:119] neg_lo:[0,1] neg_hi:[0,1]
	v_pk_fma_f32 v[116:117], v[114:115], v[102:103], v[112:113] op_sel:[0,0,1] op_sel_hi:[1,1,0] neg_lo:[0,0,1] neg_hi:[0,0,1]
	v_pk_fma_f32 v[112:113], v[114:115], v[102:103], v[112:113] op_sel:[0,0,1] op_sel_hi:[1,0,0]
	s_delay_alu instid0(VALU_DEP_1) | instskip(SKIP_4) | instid1(VALU_DEP_1)
	v_mov_b32_e32 v117, v113
	ds_load_2addr_b64 v[112:115], v106 offset0:44 offset1:45
	v_pk_add_f32 v[8:9], v[8:9], v[116:117] neg_lo:[0,1] neg_hi:[0,1]
	s_wait_dscnt 0x0
	v_pk_mul_f32 v[116:117], v[112:113], v[104:105] op_sel:[0,1]
	v_pk_fma_f32 v[118:119], v[112:113], v[102:103], v[116:117] op_sel:[0,0,1] op_sel_hi:[1,1,0] neg_lo:[0,0,1] neg_hi:[0,0,1]
	v_pk_fma_f32 v[112:113], v[112:113], v[102:103], v[116:117] op_sel:[0,0,1] op_sel_hi:[1,0,0]
	v_dual_mul_f32 v116, v115, v105 :: v_dual_mov_b32 v112, v115
	s_delay_alu instid0(VALU_DEP_2) | instskip(NEXT) | instid1(VALU_DEP_2)
	v_dual_mov_b32 v119, v113 :: v_dual_mov_b32 v113, v114
	v_pk_fma_f32 v[116:117], v[114:115], v[68:69], v[116:117] op_sel_hi:[1,1,0] neg_lo:[0,0,1] neg_hi:[0,0,1]
	v_mul_f32_e32 v114, v115, v102
	s_delay_alu instid0(VALU_DEP_3) | instskip(NEXT) | instid1(VALU_DEP_2)
	v_pk_add_f32 v[28:29], v[28:29], v[118:119] neg_lo:[0,1] neg_hi:[0,1]
	v_pk_fma_f32 v[112:113], v[112:113], v[68:69], v[114:115] op_sel_hi:[1,1,0]
	s_delay_alu instid0(VALU_DEP_1)
	v_mov_b32_e32 v117, v113
	ds_load_2addr_b64 v[112:115], v106 offset0:46 offset1:47
	v_pk_add_f32 v[18:19], v[18:19], v[116:117] neg_lo:[0,1] neg_hi:[0,1]
	s_wait_dscnt 0x0
	v_pk_mul_f32 v[116:117], v[112:113], v[104:105] op_sel:[0,1]
	v_pk_mul_f32 v[104:105], v[114:115], v[104:105] op_sel:[0,1]
	s_delay_alu instid0(VALU_DEP_2) | instskip(SKIP_1) | instid1(VALU_DEP_1)
	v_pk_fma_f32 v[118:119], v[112:113], v[102:103], v[116:117] op_sel:[0,0,1] op_sel_hi:[1,1,0] neg_lo:[0,0,1] neg_hi:[0,0,1]
	v_pk_fma_f32 v[112:113], v[112:113], v[102:103], v[116:117] op_sel:[0,0,1] op_sel_hi:[1,0,0]
	v_mov_b32_e32 v119, v113
	s_delay_alu instid0(VALU_DEP_4) | instskip(SKIP_1) | instid1(VALU_DEP_1)
	v_pk_fma_f32 v[112:113], v[114:115], v[102:103], v[104:105] op_sel:[0,0,1] op_sel_hi:[1,1,0] neg_lo:[0,0,1] neg_hi:[0,0,1]
	v_pk_fma_f32 v[102:103], v[114:115], v[102:103], v[104:105] op_sel:[0,0,1] op_sel_hi:[1,0,0]
	v_mov_b32_e32 v113, v103
	s_delay_alu instid0(VALU_DEP_4) | instskip(NEXT) | instid1(VALU_DEP_2)
	v_pk_add_f32 v[14:15], v[14:15], v[118:119] neg_lo:[0,1] neg_hi:[0,1]
	v_pk_add_f32 v[100:101], v[100:101], v[112:113] neg_lo:[0,1] neg_hi:[0,1]
.LBB94_461:
	s_or_b32 exec_lo, exec_lo, s0
	v_lshl_add_u32 v102, v110, 3, v106
	s_barrier_signal -1
	s_barrier_wait -1
	ds_store_b64 v102, v[70:71]
	s_wait_dscnt 0x0
	s_barrier_signal -1
	s_barrier_wait -1
	ds_load_b64 v[104:105], v106 offset:176
	v_mov_b32_e32 v102, 22
	s_cmp_lt_i32 s18, 24
	s_cbranch_scc1 .LBB94_464
; %bb.462:
	v_add3_u32 v103, v107, 0, 0xb8
	v_mov_b32_e32 v102, 22
	s_mov_b32 s0, 23
.LBB94_463:                             ; =>This Inner Loop Header: Depth=1
	ds_load_b64 v[112:113], v103
	s_wait_dscnt 0x1
	v_cmp_gt_f32_e32 vcc_lo, 0, v104
	v_cndmask_b32_e64 v114, v104, -v104, vcc_lo
	v_cmp_gt_f32_e32 vcc_lo, 0, v105
	v_cndmask_b32_e64 v116, v105, -v105, vcc_lo
	s_wait_dscnt 0x0
	v_cmp_gt_f32_e32 vcc_lo, 0, v112
	v_cndmask_b32_e64 v115, v112, -v112, vcc_lo
	v_cmp_gt_f32_e32 vcc_lo, 0, v113
	v_cndmask_b32_e64 v117, v113, -v113, vcc_lo
	s_delay_alu instid0(VALU_DEP_1) | instskip(NEXT) | instid1(VALU_DEP_1)
	v_pk_add_f32 v[114:115], v[114:115], v[116:117]
	v_cmp_lt_f32_e32 vcc_lo, v114, v115
	v_dual_add_nc_u32 v103, 8, v103 :: v_dual_cndmask_b32 v105, v105, v113, vcc_lo
	v_cndmask_b32_e32 v104, v104, v112, vcc_lo
	v_cndmask_b32_e64 v102, v102, s0, vcc_lo
	s_add_co_i32 s0, s0, 1
	s_delay_alu instid0(SALU_CYCLE_1)
	s_cmp_lg_u32 s18, s0
	s_cbranch_scc1 .LBB94_463
.LBB94_464:
	s_wait_dscnt 0x0
	v_cmp_eq_f32_e32 vcc_lo, 0, v104
	v_cmp_eq_f32_e64 s0, 0, v105
	s_and_b32 s0, vcc_lo, s0
	s_delay_alu instid0(SALU_CYCLE_1) | instskip(NEXT) | instid1(SALU_CYCLE_1)
	s_and_saveexec_b32 s1, s0
	s_xor_b32 s0, exec_lo, s1
; %bb.465:
	v_cmp_ne_u32_e32 vcc_lo, 0, v108
	v_cndmask_b32_e32 v108, 23, v108, vcc_lo
; %bb.466:
	s_and_not1_saveexec_b32 s0, s0
	s_cbranch_execz .LBB94_472
; %bb.467:
	v_cmp_ngt_f32_e64 s1, |v104|, |v105|
	s_and_saveexec_b32 s12, s1
	s_delay_alu instid0(SALU_CYCLE_1)
	s_xor_b32 s1, exec_lo, s12
	s_cbranch_execz .LBB94_469
; %bb.468:
	v_div_scale_f32 v103, null, v105, v105, v104
	v_div_scale_f32 v113, vcc_lo, v104, v105, v104
	s_delay_alu instid0(VALU_DEP_2) | instskip(SKIP_1) | instid1(TRANS32_DEP_1)
	v_rcp_f32_e32 v111, v103
	v_nop
	v_fma_f32 v112, -v103, v111, 1.0
	s_delay_alu instid0(VALU_DEP_1) | instskip(NEXT) | instid1(VALU_DEP_1)
	v_fmac_f32_e32 v111, v112, v111
	v_mul_f32_e32 v112, v113, v111
	s_delay_alu instid0(VALU_DEP_1) | instskip(NEXT) | instid1(VALU_DEP_1)
	v_fma_f32 v114, -v103, v112, v113
	v_fmac_f32_e32 v112, v114, v111
	s_delay_alu instid0(VALU_DEP_1) | instskip(NEXT) | instid1(VALU_DEP_1)
	v_fma_f32 v103, -v103, v112, v113
	v_div_fmas_f32 v103, v103, v111, v112
	s_delay_alu instid0(VALU_DEP_1) | instskip(NEXT) | instid1(VALU_DEP_1)
	v_div_fixup_f32 v103, v103, v105, v104
	v_fmac_f32_e32 v105, v104, v103
	s_delay_alu instid0(VALU_DEP_1) | instskip(SKIP_1) | instid1(VALU_DEP_2)
	v_div_scale_f32 v104, null, v105, v105, 1.0
	v_div_scale_f32 v113, vcc_lo, 1.0, v105, 1.0
	v_rcp_f32_e32 v111, v104
	v_nop
	s_delay_alu instid0(TRANS32_DEP_1) | instskip(NEXT) | instid1(VALU_DEP_1)
	v_fma_f32 v112, -v104, v111, 1.0
	v_fmac_f32_e32 v111, v112, v111
	s_delay_alu instid0(VALU_DEP_1) | instskip(NEXT) | instid1(VALU_DEP_1)
	v_mul_f32_e32 v112, v113, v111
	v_fma_f32 v114, -v104, v112, v113
	s_delay_alu instid0(VALU_DEP_1) | instskip(NEXT) | instid1(VALU_DEP_1)
	v_fmac_f32_e32 v112, v114, v111
	v_fma_f32 v104, -v104, v112, v113
	s_delay_alu instid0(VALU_DEP_1) | instskip(NEXT) | instid1(VALU_DEP_1)
	v_div_fmas_f32 v104, v104, v111, v112
	v_div_fixup_f32 v105, v104, v105, 1.0
	s_delay_alu instid0(VALU_DEP_1)
	v_mul_f32_e32 v104, v103, v105
	v_xor_b32_e32 v105, 0x80000000, v105
.LBB94_469:
	s_and_not1_saveexec_b32 s1, s1
	s_cbranch_execz .LBB94_471
; %bb.470:
	s_delay_alu instid0(VALU_DEP_1) | instskip(SKIP_1) | instid1(VALU_DEP_2)
	v_div_scale_f32 v103, null, v104, v104, v105
	v_div_scale_f32 v113, vcc_lo, v105, v104, v105
	v_rcp_f32_e32 v111, v103
	v_nop
	s_delay_alu instid0(TRANS32_DEP_1) | instskip(NEXT) | instid1(VALU_DEP_1)
	v_fma_f32 v112, -v103, v111, 1.0
	v_fmac_f32_e32 v111, v112, v111
	s_delay_alu instid0(VALU_DEP_1) | instskip(NEXT) | instid1(VALU_DEP_1)
	v_mul_f32_e32 v112, v113, v111
	v_fma_f32 v114, -v103, v112, v113
	s_delay_alu instid0(VALU_DEP_1) | instskip(NEXT) | instid1(VALU_DEP_1)
	v_fmac_f32_e32 v112, v114, v111
	v_fma_f32 v103, -v103, v112, v113
	s_delay_alu instid0(VALU_DEP_1) | instskip(NEXT) | instid1(VALU_DEP_1)
	v_div_fmas_f32 v103, v103, v111, v112
	v_div_fixup_f32 v103, v103, v104, v105
	s_delay_alu instid0(VALU_DEP_1) | instskip(NEXT) | instid1(VALU_DEP_1)
	v_fmac_f32_e32 v104, v105, v103
	v_div_scale_f32 v105, null, v104, v104, 1.0
	s_delay_alu instid0(VALU_DEP_1) | instskip(SKIP_1) | instid1(TRANS32_DEP_1)
	v_rcp_f32_e32 v111, v105
	v_nop
	v_fma_f32 v112, -v105, v111, 1.0
	s_delay_alu instid0(VALU_DEP_1) | instskip(SKIP_1) | instid1(VALU_DEP_1)
	v_fmac_f32_e32 v111, v112, v111
	v_div_scale_f32 v112, vcc_lo, 1.0, v104, 1.0
	v_mul_f32_e32 v113, v112, v111
	s_delay_alu instid0(VALU_DEP_1) | instskip(NEXT) | instid1(VALU_DEP_1)
	v_fma_f32 v114, -v105, v113, v112
	v_fmac_f32_e32 v113, v114, v111
	s_delay_alu instid0(VALU_DEP_1) | instskip(NEXT) | instid1(VALU_DEP_1)
	v_fma_f32 v105, -v105, v113, v112
	v_div_fmas_f32 v105, v105, v111, v113
	s_delay_alu instid0(VALU_DEP_1) | instskip(NEXT) | instid1(VALU_DEP_1)
	v_div_fixup_f32 v104, v105, v104, 1.0
	v_mul_f32_e64 v105, v103, -v104
.LBB94_471:
	s_or_b32 exec_lo, exec_lo, s1
.LBB94_472:
	s_delay_alu instid0(SALU_CYCLE_1) | instskip(NEXT) | instid1(SALU_CYCLE_1)
	s_or_b32 exec_lo, exec_lo, s0
	s_mov_b32 s0, exec_lo
	v_cmpx_ne_u32_e64 v110, v102
	s_xor_b32 s0, exec_lo, s0
	s_cbranch_execz .LBB94_478
; %bb.473:
	s_mov_b32 s1, exec_lo
	v_cmpx_eq_u32_e32 22, v110
	s_cbranch_execz .LBB94_477
; %bb.474:
	v_cmp_ne_u32_e32 vcc_lo, 22, v102
	s_xor_b32 s12, s16, -1
	s_delay_alu instid0(SALU_CYCLE_1) | instskip(NEXT) | instid1(SALU_CYCLE_1)
	s_and_b32 s13, s12, vcc_lo
	s_and_saveexec_b32 s12, s13
	s_cbranch_execz .LBB94_476
; %bb.475:
	v_ashrrev_i32_e32 v103, 31, v102
	s_delay_alu instid0(VALU_DEP_1)
	v_lshl_add_u64 v[110:111], v[102:103], 2, v[4:5]
	s_clause 0x1
	global_load_b32 v103, v[110:111], off
	global_load_b32 v109, v[4:5], off offset:88
	s_wait_loadcnt 0x1
	global_store_b32 v[4:5], v103, off offset:88
	s_wait_loadcnt 0x0
	global_store_b32 v[110:111], v109, off
.LBB94_476:
	s_wait_xcnt 0x0
	s_or_b32 exec_lo, exec_lo, s12
	v_dual_mov_b32 v110, v102 :: v_dual_mov_b32 v109, v102
.LBB94_477:
	s_or_b32 exec_lo, exec_lo, s1
.LBB94_478:
	s_and_not1_saveexec_b32 s0, s0
	s_cbranch_execz .LBB94_480
; %bb.479:
	v_mov_b32_e32 v110, 22
	ds_store_2addr_b64 v106, v[22:23], v[66:67] offset0:23 offset1:24
	ds_store_2addr_b64 v106, v[62:63], v[64:65] offset0:25 offset1:26
	;; [unrolled: 1-line block ×12, first 2 shown]
	ds_store_b64 v106, v[100:101] offset:376
.LBB94_480:
	s_or_b32 exec_lo, exec_lo, s0
	s_delay_alu instid0(SALU_CYCLE_1)
	s_mov_b32 s0, exec_lo
	s_wait_storecnt_dscnt 0x0
	s_barrier_signal -1
	s_barrier_wait -1
	v_cmpx_lt_i32_e32 22, v110
	s_cbranch_execz .LBB94_482
; %bb.481:
	v_pk_mul_f32 v[112:113], v[104:105], v[70:71] op_sel:[1,1] op_sel_hi:[0,1]
	s_delay_alu instid0(VALU_DEP_1)
	v_pk_fma_f32 v[102:103], v[104:105], v[70:71], v[112:113] op_sel_hi:[1,0,1] neg_lo:[0,0,1] neg_hi:[0,0,1]
	v_pk_fma_f32 v[104:105], v[104:105], v[70:71], v[112:113] op_sel_hi:[1,0,1]
	ds_load_2addr_b64 v[112:115], v106 offset0:23 offset1:24
	v_dual_mov_b32 v70, v102 :: v_dual_mov_b32 v71, v105
	s_wait_dscnt 0x0
	v_pk_mul_f32 v[116:117], v[112:113], v[104:105] op_sel:[0,1]
	s_delay_alu instid0(VALU_DEP_1) | instskip(SKIP_1) | instid1(VALU_DEP_1)
	v_pk_fma_f32 v[118:119], v[112:113], v[102:103], v[116:117] op_sel:[0,0,1] op_sel_hi:[1,1,0] neg_lo:[0,0,1] neg_hi:[0,0,1]
	v_pk_fma_f32 v[112:113], v[112:113], v[102:103], v[116:117] op_sel:[0,0,1] op_sel_hi:[1,0,0]
	v_mov_b32_e32 v119, v113
	v_pk_mul_f32 v[112:113], v[114:115], v[104:105] op_sel:[0,1]
	s_delay_alu instid0(VALU_DEP_1) | instskip(SKIP_1) | instid1(VALU_DEP_1)
	v_pk_fma_f32 v[116:117], v[114:115], v[102:103], v[112:113] op_sel:[0,0,1] op_sel_hi:[1,1,0] neg_lo:[0,0,1] neg_hi:[0,0,1]
	v_pk_fma_f32 v[112:113], v[114:115], v[102:103], v[112:113] op_sel:[0,0,1] op_sel_hi:[1,0,0]
	v_mov_b32_e32 v117, v113
	ds_load_2addr_b64 v[112:115], v106 offset0:25 offset1:26
	v_pk_add_f32 v[22:23], v[22:23], v[118:119] neg_lo:[0,1] neg_hi:[0,1]
	v_pk_add_f32 v[66:67], v[66:67], v[116:117] neg_lo:[0,1] neg_hi:[0,1]
	s_wait_dscnt 0x0
	v_pk_mul_f32 v[116:117], v[112:113], v[104:105] op_sel:[0,1]
	s_delay_alu instid0(VALU_DEP_1) | instskip(SKIP_2) | instid1(VALU_DEP_2)
	v_pk_fma_f32 v[118:119], v[112:113], v[102:103], v[116:117] op_sel:[0,0,1] op_sel_hi:[1,1,0] neg_lo:[0,0,1] neg_hi:[0,0,1]
	v_pk_fma_f32 v[112:113], v[112:113], v[102:103], v[116:117] op_sel:[0,0,1] op_sel_hi:[1,0,0]
	v_dual_mul_f32 v116, v115, v105 :: v_dual_mov_b32 v112, v115
	v_dual_mov_b32 v119, v113 :: v_dual_mov_b32 v113, v114
	s_delay_alu instid0(VALU_DEP_2) | instskip(SKIP_1) | instid1(VALU_DEP_3)
	v_pk_fma_f32 v[116:117], v[114:115], v[70:71], v[116:117] op_sel_hi:[1,1,0] neg_lo:[0,0,1] neg_hi:[0,0,1]
	v_mul_f32_e32 v114, v115, v102
	v_pk_add_f32 v[62:63], v[62:63], v[118:119] neg_lo:[0,1] neg_hi:[0,1]
	s_delay_alu instid0(VALU_DEP_2) | instskip(NEXT) | instid1(VALU_DEP_1)
	v_pk_fma_f32 v[112:113], v[112:113], v[70:71], v[114:115] op_sel_hi:[1,1,0]
	v_mov_b32_e32 v117, v113
	ds_load_2addr_b64 v[112:115], v106 offset0:27 offset1:28
	v_pk_add_f32 v[64:65], v[64:65], v[116:117] neg_lo:[0,1] neg_hi:[0,1]
	s_wait_dscnt 0x0
	v_pk_mul_f32 v[116:117], v[112:113], v[104:105] op_sel:[0,1]
	s_delay_alu instid0(VALU_DEP_1) | instskip(SKIP_1) | instid1(VALU_DEP_1)
	v_pk_fma_f32 v[118:119], v[112:113], v[102:103], v[116:117] op_sel:[0,0,1] op_sel_hi:[1,1,0] neg_lo:[0,0,1] neg_hi:[0,0,1]
	v_pk_fma_f32 v[112:113], v[112:113], v[102:103], v[116:117] op_sel:[0,0,1] op_sel_hi:[1,0,0]
	v_mov_b32_e32 v119, v113
	v_pk_mul_f32 v[112:113], v[114:115], v[104:105] op_sel:[0,1]
	s_delay_alu instid0(VALU_DEP_1) | instskip(SKIP_1) | instid1(VALU_DEP_1)
	v_pk_fma_f32 v[116:117], v[114:115], v[102:103], v[112:113] op_sel:[0,0,1] op_sel_hi:[1,1,0] neg_lo:[0,0,1] neg_hi:[0,0,1]
	v_pk_fma_f32 v[112:113], v[114:115], v[102:103], v[112:113] op_sel:[0,0,1] op_sel_hi:[1,0,0]
	v_mov_b32_e32 v117, v113
	ds_load_2addr_b64 v[112:115], v106 offset0:29 offset1:30
	v_pk_add_f32 v[20:21], v[20:21], v[118:119] neg_lo:[0,1] neg_hi:[0,1]
	v_pk_add_f32 v[54:55], v[54:55], v[116:117] neg_lo:[0,1] neg_hi:[0,1]
	s_wait_dscnt 0x0
	v_pk_mul_f32 v[116:117], v[112:113], v[104:105] op_sel:[0,1]
	s_delay_alu instid0(VALU_DEP_1) | instskip(SKIP_1) | instid1(VALU_DEP_1)
	v_pk_fma_f32 v[118:119], v[112:113], v[102:103], v[116:117] op_sel:[0,0,1] op_sel_hi:[1,1,0] neg_lo:[0,0,1] neg_hi:[0,0,1]
	v_pk_fma_f32 v[112:113], v[112:113], v[102:103], v[116:117] op_sel:[0,0,1] op_sel_hi:[1,0,0]
	v_mov_b32_e32 v119, v113
	v_pk_mul_f32 v[112:113], v[114:115], v[104:105] op_sel:[0,1]
	s_delay_alu instid0(VALU_DEP_1) | instskip(SKIP_1) | instid1(VALU_DEP_1)
	v_pk_fma_f32 v[116:117], v[114:115], v[102:103], v[112:113] op_sel:[0,0,1] op_sel_hi:[1,1,0] neg_lo:[0,0,1] neg_hi:[0,0,1]
	v_pk_fma_f32 v[112:113], v[114:115], v[102:103], v[112:113] op_sel:[0,0,1] op_sel_hi:[1,0,0]
	v_mov_b32_e32 v117, v113
	ds_load_2addr_b64 v[112:115], v106 offset0:31 offset1:32
	v_pk_add_f32 v[50:51], v[50:51], v[118:119] neg_lo:[0,1] neg_hi:[0,1]
	v_pk_add_f32 v[52:53], v[52:53], v[116:117] neg_lo:[0,1] neg_hi:[0,1]
	s_wait_dscnt 0x0
	v_dual_mul_f32 v116, v113, v105 :: v_dual_mul_f32 v118, v113, v102
	s_delay_alu instid0(VALU_DEP_1) | instskip(NEXT) | instid1(VALU_DEP_2)
	v_pk_fma_f32 v[116:117], v[112:113], v[70:71], v[116:117] op_sel_hi:[1,1,0] neg_lo:[0,0,1] neg_hi:[0,0,1]
	v_pk_fma_f32 v[112:113], v[112:113], v[70:71], v[118:119] op_sel:[1,0,0] op_sel_hi:[0,1,0]
	s_delay_alu instid0(VALU_DEP_1) | instskip(SKIP_1) | instid1(VALU_DEP_2)
	v_mov_b32_e32 v117, v113
	v_pk_mul_f32 v[112:113], v[114:115], v[104:105] op_sel:[0,1]
	v_pk_add_f32 v[12:13], v[12:13], v[116:117] neg_lo:[0,1] neg_hi:[0,1]
	s_delay_alu instid0(VALU_DEP_2) | instskip(SKIP_1) | instid1(VALU_DEP_1)
	v_pk_fma_f32 v[116:117], v[114:115], v[102:103], v[112:113] op_sel:[0,0,1] op_sel_hi:[1,1,0] neg_lo:[0,0,1] neg_hi:[0,0,1]
	v_pk_fma_f32 v[112:113], v[114:115], v[102:103], v[112:113] op_sel:[0,0,1] op_sel_hi:[1,0,0]
	v_mov_b32_e32 v117, v113
	ds_load_2addr_b64 v[112:115], v106 offset0:33 offset1:34
	v_pk_add_f32 v[48:49], v[48:49], v[116:117] neg_lo:[0,1] neg_hi:[0,1]
	s_wait_dscnt 0x0
	v_pk_mul_f32 v[116:117], v[112:113], v[104:105] op_sel:[0,1]
	s_delay_alu instid0(VALU_DEP_1) | instskip(SKIP_1) | instid1(VALU_DEP_1)
	v_pk_fma_f32 v[118:119], v[112:113], v[102:103], v[116:117] op_sel:[0,0,1] op_sel_hi:[1,1,0] neg_lo:[0,0,1] neg_hi:[0,0,1]
	v_pk_fma_f32 v[112:113], v[112:113], v[102:103], v[116:117] op_sel:[0,0,1] op_sel_hi:[1,0,0]
	v_mov_b32_e32 v119, v113
	v_pk_mul_f32 v[112:113], v[114:115], v[104:105] op_sel:[0,1]
	s_delay_alu instid0(VALU_DEP_2) | instskip(NEXT) | instid1(VALU_DEP_2)
	v_pk_add_f32 v[44:45], v[44:45], v[118:119] neg_lo:[0,1] neg_hi:[0,1]
	v_pk_fma_f32 v[116:117], v[114:115], v[102:103], v[112:113] op_sel:[0,0,1] op_sel_hi:[1,1,0] neg_lo:[0,0,1] neg_hi:[0,0,1]
	v_pk_fma_f32 v[112:113], v[114:115], v[102:103], v[112:113] op_sel:[0,0,1] op_sel_hi:[1,0,0]
	s_delay_alu instid0(VALU_DEP_1) | instskip(SKIP_4) | instid1(VALU_DEP_1)
	v_mov_b32_e32 v117, v113
	ds_load_2addr_b64 v[112:115], v106 offset0:35 offset1:36
	v_pk_add_f32 v[46:47], v[46:47], v[116:117] neg_lo:[0,1] neg_hi:[0,1]
	s_wait_dscnt 0x0
	v_pk_mul_f32 v[116:117], v[112:113], v[104:105] op_sel:[0,1]
	v_pk_fma_f32 v[118:119], v[112:113], v[102:103], v[116:117] op_sel:[0,0,1] op_sel_hi:[1,1,0] neg_lo:[0,0,1] neg_hi:[0,0,1]
	v_pk_fma_f32 v[112:113], v[112:113], v[102:103], v[116:117] op_sel:[0,0,1] op_sel_hi:[1,0,0]
	v_dual_mul_f32 v116, v115, v105 :: v_dual_mov_b32 v112, v115
	s_delay_alu instid0(VALU_DEP_2) | instskip(NEXT) | instid1(VALU_DEP_2)
	v_dual_mov_b32 v119, v113 :: v_dual_mov_b32 v113, v114
	v_pk_fma_f32 v[116:117], v[114:115], v[70:71], v[116:117] op_sel_hi:[1,1,0] neg_lo:[0,0,1] neg_hi:[0,0,1]
	v_mul_f32_e32 v114, v115, v102
	s_delay_alu instid0(VALU_DEP_3) | instskip(NEXT) | instid1(VALU_DEP_2)
	v_pk_add_f32 v[10:11], v[10:11], v[118:119] neg_lo:[0,1] neg_hi:[0,1]
	v_pk_fma_f32 v[112:113], v[112:113], v[70:71], v[114:115] op_sel_hi:[1,1,0]
	s_delay_alu instid0(VALU_DEP_1) | instskip(SKIP_4) | instid1(VALU_DEP_1)
	v_mov_b32_e32 v117, v113
	ds_load_2addr_b64 v[112:115], v106 offset0:37 offset1:38
	v_pk_add_f32 v[42:43], v[42:43], v[116:117] neg_lo:[0,1] neg_hi:[0,1]
	s_wait_dscnt 0x0
	v_pk_mul_f32 v[116:117], v[112:113], v[104:105] op_sel:[0,1]
	v_pk_fma_f32 v[118:119], v[112:113], v[102:103], v[116:117] op_sel:[0,0,1] op_sel_hi:[1,1,0] neg_lo:[0,0,1] neg_hi:[0,0,1]
	v_pk_fma_f32 v[112:113], v[112:113], v[102:103], v[116:117] op_sel:[0,0,1] op_sel_hi:[1,0,0]
	s_delay_alu instid0(VALU_DEP_1) | instskip(SKIP_1) | instid1(VALU_DEP_1)
	v_mov_b32_e32 v119, v113
	v_pk_mul_f32 v[112:113], v[114:115], v[104:105] op_sel:[0,1]
	v_pk_fma_f32 v[116:117], v[114:115], v[102:103], v[112:113] op_sel:[0,0,1] op_sel_hi:[1,1,0] neg_lo:[0,0,1] neg_hi:[0,0,1]
	v_pk_fma_f32 v[112:113], v[114:115], v[102:103], v[112:113] op_sel:[0,0,1] op_sel_hi:[1,0,0]
	s_delay_alu instid0(VALU_DEP_1)
	v_mov_b32_e32 v117, v113
	ds_load_2addr_b64 v[112:115], v106 offset0:39 offset1:40
	v_pk_add_f32 v[38:39], v[38:39], v[118:119] neg_lo:[0,1] neg_hi:[0,1]
	v_pk_add_f32 v[40:41], v[40:41], v[116:117] neg_lo:[0,1] neg_hi:[0,1]
	s_wait_dscnt 0x0
	v_pk_mul_f32 v[116:117], v[112:113], v[104:105] op_sel:[0,1]
	s_delay_alu instid0(VALU_DEP_1) | instskip(SKIP_1) | instid1(VALU_DEP_1)
	v_pk_fma_f32 v[118:119], v[112:113], v[102:103], v[116:117] op_sel:[0,0,1] op_sel_hi:[1,1,0] neg_lo:[0,0,1] neg_hi:[0,0,1]
	v_pk_fma_f32 v[112:113], v[112:113], v[102:103], v[116:117] op_sel:[0,0,1] op_sel_hi:[1,0,0]
	v_mov_b32_e32 v119, v113
	v_pk_mul_f32 v[112:113], v[114:115], v[104:105] op_sel:[0,1]
	s_delay_alu instid0(VALU_DEP_1) | instskip(SKIP_1) | instid1(VALU_DEP_1)
	v_pk_fma_f32 v[116:117], v[114:115], v[102:103], v[112:113] op_sel:[0,0,1] op_sel_hi:[1,1,0] neg_lo:[0,0,1] neg_hi:[0,0,1]
	v_pk_fma_f32 v[112:113], v[114:115], v[102:103], v[112:113] op_sel:[0,0,1] op_sel_hi:[1,0,0]
	v_mov_b32_e32 v117, v113
	ds_load_2addr_b64 v[112:115], v106 offset0:41 offset1:42
	v_pk_add_f32 v[6:7], v[6:7], v[118:119] neg_lo:[0,1] neg_hi:[0,1]
	v_pk_add_f32 v[36:37], v[36:37], v[116:117] neg_lo:[0,1] neg_hi:[0,1]
	s_wait_dscnt 0x0
	v_dual_mul_f32 v116, v113, v105 :: v_dual_mul_f32 v118, v113, v102
	s_delay_alu instid0(VALU_DEP_1) | instskip(NEXT) | instid1(VALU_DEP_2)
	v_pk_fma_f32 v[116:117], v[112:113], v[70:71], v[116:117] op_sel_hi:[1,1,0] neg_lo:[0,0,1] neg_hi:[0,0,1]
	v_pk_fma_f32 v[112:113], v[112:113], v[70:71], v[118:119] op_sel:[1,0,0] op_sel_hi:[0,1,0]
	s_delay_alu instid0(VALU_DEP_1) | instskip(SKIP_1) | instid1(VALU_DEP_2)
	v_mov_b32_e32 v117, v113
	v_pk_mul_f32 v[112:113], v[114:115], v[104:105] op_sel:[0,1]
	v_pk_add_f32 v[30:31], v[30:31], v[116:117] neg_lo:[0,1] neg_hi:[0,1]
	s_delay_alu instid0(VALU_DEP_2) | instskip(SKIP_1) | instid1(VALU_DEP_1)
	v_pk_fma_f32 v[116:117], v[114:115], v[102:103], v[112:113] op_sel:[0,0,1] op_sel_hi:[1,1,0] neg_lo:[0,0,1] neg_hi:[0,0,1]
	v_pk_fma_f32 v[112:113], v[114:115], v[102:103], v[112:113] op_sel:[0,0,1] op_sel_hi:[1,0,0]
	v_mov_b32_e32 v117, v113
	ds_load_2addr_b64 v[112:115], v106 offset0:43 offset1:44
	v_pk_add_f32 v[34:35], v[34:35], v[116:117] neg_lo:[0,1] neg_hi:[0,1]
	s_wait_dscnt 0x0
	v_pk_mul_f32 v[116:117], v[112:113], v[104:105] op_sel:[0,1]
	s_delay_alu instid0(VALU_DEP_1) | instskip(SKIP_1) | instid1(VALU_DEP_1)
	v_pk_fma_f32 v[118:119], v[112:113], v[102:103], v[116:117] op_sel:[0,0,1] op_sel_hi:[1,1,0] neg_lo:[0,0,1] neg_hi:[0,0,1]
	v_pk_fma_f32 v[112:113], v[112:113], v[102:103], v[116:117] op_sel:[0,0,1] op_sel_hi:[1,0,0]
	v_mov_b32_e32 v119, v113
	v_pk_mul_f32 v[112:113], v[114:115], v[104:105] op_sel:[0,1]
	s_delay_alu instid0(VALU_DEP_2) | instskip(NEXT) | instid1(VALU_DEP_2)
	v_pk_add_f32 v[8:9], v[8:9], v[118:119] neg_lo:[0,1] neg_hi:[0,1]
	v_pk_fma_f32 v[116:117], v[114:115], v[102:103], v[112:113] op_sel:[0,0,1] op_sel_hi:[1,1,0] neg_lo:[0,0,1] neg_hi:[0,0,1]
	v_pk_fma_f32 v[112:113], v[114:115], v[102:103], v[112:113] op_sel:[0,0,1] op_sel_hi:[1,0,0]
	s_delay_alu instid0(VALU_DEP_1) | instskip(SKIP_4) | instid1(VALU_DEP_1)
	v_mov_b32_e32 v117, v113
	ds_load_2addr_b64 v[112:115], v106 offset0:45 offset1:46
	v_pk_add_f32 v[28:29], v[28:29], v[116:117] neg_lo:[0,1] neg_hi:[0,1]
	s_wait_dscnt 0x0
	v_pk_mul_f32 v[116:117], v[112:113], v[104:105] op_sel:[0,1]
	v_pk_fma_f32 v[118:119], v[112:113], v[102:103], v[116:117] op_sel:[0,0,1] op_sel_hi:[1,1,0] neg_lo:[0,0,1] neg_hi:[0,0,1]
	v_pk_fma_f32 v[112:113], v[112:113], v[102:103], v[116:117] op_sel:[0,0,1] op_sel_hi:[1,0,0]
	v_dual_mul_f32 v116, v115, v105 :: v_dual_mov_b32 v112, v115
	s_delay_alu instid0(VALU_DEP_2) | instskip(NEXT) | instid1(VALU_DEP_2)
	v_dual_mov_b32 v119, v113 :: v_dual_mov_b32 v113, v114
	v_pk_fma_f32 v[116:117], v[114:115], v[70:71], v[116:117] op_sel_hi:[1,1,0] neg_lo:[0,0,1] neg_hi:[0,0,1]
	v_mul_f32_e32 v114, v115, v102
	s_delay_alu instid0(VALU_DEP_3) | instskip(NEXT) | instid1(VALU_DEP_2)
	v_pk_add_f32 v[18:19], v[18:19], v[118:119] neg_lo:[0,1] neg_hi:[0,1]
	v_pk_fma_f32 v[112:113], v[112:113], v[70:71], v[114:115] op_sel_hi:[1,1,0]
	s_delay_alu instid0(VALU_DEP_1) | instskip(SKIP_4) | instid1(VALU_DEP_1)
	v_mov_b32_e32 v117, v113
	ds_load_b64 v[112:113], v106 offset:376
	v_pk_add_f32 v[14:15], v[14:15], v[116:117] neg_lo:[0,1] neg_hi:[0,1]
	s_wait_dscnt 0x0
	v_pk_mul_f32 v[104:105], v[112:113], v[104:105] op_sel:[0,1]
	v_pk_fma_f32 v[114:115], v[112:113], v[102:103], v[104:105] op_sel:[0,0,1] op_sel_hi:[1,1,0] neg_lo:[0,0,1] neg_hi:[0,0,1]
	v_pk_fma_f32 v[102:103], v[112:113], v[102:103], v[104:105] op_sel:[0,0,1] op_sel_hi:[1,0,0]
	s_delay_alu instid0(VALU_DEP_1) | instskip(NEXT) | instid1(VALU_DEP_1)
	v_mov_b32_e32 v115, v103
	v_pk_add_f32 v[100:101], v[100:101], v[114:115] neg_lo:[0,1] neg_hi:[0,1]
.LBB94_482:
	s_or_b32 exec_lo, exec_lo, s0
	v_lshl_add_u32 v102, v110, 3, v106
	s_barrier_signal -1
	s_barrier_wait -1
	ds_store_b64 v102, v[22:23]
	s_wait_dscnt 0x0
	s_barrier_signal -1
	s_barrier_wait -1
	ds_load_b64 v[104:105], v106 offset:184
	v_mov_b32_e32 v102, 23
	s_cmp_lt_i32 s18, 25
	s_cbranch_scc1 .LBB94_485
; %bb.483:
	v_add3_u32 v103, v107, 0, 0xc0
	v_mov_b32_e32 v102, 23
	s_mov_b32 s0, 24
.LBB94_484:                             ; =>This Inner Loop Header: Depth=1
	ds_load_b64 v[112:113], v103
	s_wait_dscnt 0x1
	v_cmp_gt_f32_e32 vcc_lo, 0, v104
	v_cndmask_b32_e64 v114, v104, -v104, vcc_lo
	v_cmp_gt_f32_e32 vcc_lo, 0, v105
	v_cndmask_b32_e64 v116, v105, -v105, vcc_lo
	s_wait_dscnt 0x0
	v_cmp_gt_f32_e32 vcc_lo, 0, v112
	v_cndmask_b32_e64 v115, v112, -v112, vcc_lo
	v_cmp_gt_f32_e32 vcc_lo, 0, v113
	v_cndmask_b32_e64 v117, v113, -v113, vcc_lo
	s_delay_alu instid0(VALU_DEP_1) | instskip(NEXT) | instid1(VALU_DEP_1)
	v_pk_add_f32 v[114:115], v[114:115], v[116:117]
	v_cmp_lt_f32_e32 vcc_lo, v114, v115
	v_dual_add_nc_u32 v103, 8, v103 :: v_dual_cndmask_b32 v105, v105, v113, vcc_lo
	v_cndmask_b32_e32 v104, v104, v112, vcc_lo
	v_cndmask_b32_e64 v102, v102, s0, vcc_lo
	s_add_co_i32 s0, s0, 1
	s_delay_alu instid0(SALU_CYCLE_1)
	s_cmp_lg_u32 s18, s0
	s_cbranch_scc1 .LBB94_484
.LBB94_485:
	s_wait_dscnt 0x0
	v_cmp_eq_f32_e32 vcc_lo, 0, v104
	v_cmp_eq_f32_e64 s0, 0, v105
	s_and_b32 s0, vcc_lo, s0
	s_delay_alu instid0(SALU_CYCLE_1) | instskip(NEXT) | instid1(SALU_CYCLE_1)
	s_and_saveexec_b32 s1, s0
	s_xor_b32 s0, exec_lo, s1
; %bb.486:
	v_cmp_ne_u32_e32 vcc_lo, 0, v108
	v_cndmask_b32_e32 v108, 24, v108, vcc_lo
; %bb.487:
	s_and_not1_saveexec_b32 s0, s0
	s_cbranch_execz .LBB94_493
; %bb.488:
	v_cmp_ngt_f32_e64 s1, |v104|, |v105|
	s_and_saveexec_b32 s12, s1
	s_delay_alu instid0(SALU_CYCLE_1)
	s_xor_b32 s1, exec_lo, s12
	s_cbranch_execz .LBB94_490
; %bb.489:
	v_div_scale_f32 v103, null, v105, v105, v104
	v_div_scale_f32 v113, vcc_lo, v104, v105, v104
	s_delay_alu instid0(VALU_DEP_2) | instskip(SKIP_1) | instid1(TRANS32_DEP_1)
	v_rcp_f32_e32 v111, v103
	v_nop
	v_fma_f32 v112, -v103, v111, 1.0
	s_delay_alu instid0(VALU_DEP_1) | instskip(NEXT) | instid1(VALU_DEP_1)
	v_fmac_f32_e32 v111, v112, v111
	v_mul_f32_e32 v112, v113, v111
	s_delay_alu instid0(VALU_DEP_1) | instskip(NEXT) | instid1(VALU_DEP_1)
	v_fma_f32 v114, -v103, v112, v113
	v_fmac_f32_e32 v112, v114, v111
	s_delay_alu instid0(VALU_DEP_1) | instskip(NEXT) | instid1(VALU_DEP_1)
	v_fma_f32 v103, -v103, v112, v113
	v_div_fmas_f32 v103, v103, v111, v112
	s_delay_alu instid0(VALU_DEP_1) | instskip(NEXT) | instid1(VALU_DEP_1)
	v_div_fixup_f32 v103, v103, v105, v104
	v_fmac_f32_e32 v105, v104, v103
	s_delay_alu instid0(VALU_DEP_1) | instskip(SKIP_1) | instid1(VALU_DEP_2)
	v_div_scale_f32 v104, null, v105, v105, 1.0
	v_div_scale_f32 v113, vcc_lo, 1.0, v105, 1.0
	v_rcp_f32_e32 v111, v104
	v_nop
	s_delay_alu instid0(TRANS32_DEP_1) | instskip(NEXT) | instid1(VALU_DEP_1)
	v_fma_f32 v112, -v104, v111, 1.0
	v_fmac_f32_e32 v111, v112, v111
	s_delay_alu instid0(VALU_DEP_1) | instskip(NEXT) | instid1(VALU_DEP_1)
	v_mul_f32_e32 v112, v113, v111
	v_fma_f32 v114, -v104, v112, v113
	s_delay_alu instid0(VALU_DEP_1) | instskip(NEXT) | instid1(VALU_DEP_1)
	v_fmac_f32_e32 v112, v114, v111
	v_fma_f32 v104, -v104, v112, v113
	s_delay_alu instid0(VALU_DEP_1) | instskip(NEXT) | instid1(VALU_DEP_1)
	v_div_fmas_f32 v104, v104, v111, v112
	v_div_fixup_f32 v105, v104, v105, 1.0
	s_delay_alu instid0(VALU_DEP_1)
	v_mul_f32_e32 v104, v103, v105
	v_xor_b32_e32 v105, 0x80000000, v105
.LBB94_490:
	s_and_not1_saveexec_b32 s1, s1
	s_cbranch_execz .LBB94_492
; %bb.491:
	s_delay_alu instid0(VALU_DEP_1) | instskip(SKIP_1) | instid1(VALU_DEP_2)
	v_div_scale_f32 v103, null, v104, v104, v105
	v_div_scale_f32 v113, vcc_lo, v105, v104, v105
	v_rcp_f32_e32 v111, v103
	v_nop
	s_delay_alu instid0(TRANS32_DEP_1) | instskip(NEXT) | instid1(VALU_DEP_1)
	v_fma_f32 v112, -v103, v111, 1.0
	v_fmac_f32_e32 v111, v112, v111
	s_delay_alu instid0(VALU_DEP_1) | instskip(NEXT) | instid1(VALU_DEP_1)
	v_mul_f32_e32 v112, v113, v111
	v_fma_f32 v114, -v103, v112, v113
	s_delay_alu instid0(VALU_DEP_1) | instskip(NEXT) | instid1(VALU_DEP_1)
	v_fmac_f32_e32 v112, v114, v111
	v_fma_f32 v103, -v103, v112, v113
	s_delay_alu instid0(VALU_DEP_1) | instskip(NEXT) | instid1(VALU_DEP_1)
	v_div_fmas_f32 v103, v103, v111, v112
	v_div_fixup_f32 v103, v103, v104, v105
	s_delay_alu instid0(VALU_DEP_1) | instskip(NEXT) | instid1(VALU_DEP_1)
	v_fmac_f32_e32 v104, v105, v103
	v_div_scale_f32 v105, null, v104, v104, 1.0
	s_delay_alu instid0(VALU_DEP_1) | instskip(SKIP_1) | instid1(TRANS32_DEP_1)
	v_rcp_f32_e32 v111, v105
	v_nop
	v_fma_f32 v112, -v105, v111, 1.0
	s_delay_alu instid0(VALU_DEP_1) | instskip(SKIP_1) | instid1(VALU_DEP_1)
	v_fmac_f32_e32 v111, v112, v111
	v_div_scale_f32 v112, vcc_lo, 1.0, v104, 1.0
	v_mul_f32_e32 v113, v112, v111
	s_delay_alu instid0(VALU_DEP_1) | instskip(NEXT) | instid1(VALU_DEP_1)
	v_fma_f32 v114, -v105, v113, v112
	v_fmac_f32_e32 v113, v114, v111
	s_delay_alu instid0(VALU_DEP_1) | instskip(NEXT) | instid1(VALU_DEP_1)
	v_fma_f32 v105, -v105, v113, v112
	v_div_fmas_f32 v105, v105, v111, v113
	s_delay_alu instid0(VALU_DEP_1) | instskip(NEXT) | instid1(VALU_DEP_1)
	v_div_fixup_f32 v104, v105, v104, 1.0
	v_mul_f32_e64 v105, v103, -v104
.LBB94_492:
	s_or_b32 exec_lo, exec_lo, s1
.LBB94_493:
	s_delay_alu instid0(SALU_CYCLE_1) | instskip(NEXT) | instid1(SALU_CYCLE_1)
	s_or_b32 exec_lo, exec_lo, s0
	s_mov_b32 s0, exec_lo
	v_cmpx_ne_u32_e64 v110, v102
	s_xor_b32 s0, exec_lo, s0
	s_cbranch_execz .LBB94_499
; %bb.494:
	s_mov_b32 s1, exec_lo
	v_cmpx_eq_u32_e32 23, v110
	s_cbranch_execz .LBB94_498
; %bb.495:
	v_cmp_ne_u32_e32 vcc_lo, 23, v102
	s_xor_b32 s12, s16, -1
	s_delay_alu instid0(SALU_CYCLE_1) | instskip(NEXT) | instid1(SALU_CYCLE_1)
	s_and_b32 s13, s12, vcc_lo
	s_and_saveexec_b32 s12, s13
	s_cbranch_execz .LBB94_497
; %bb.496:
	v_ashrrev_i32_e32 v103, 31, v102
	s_delay_alu instid0(VALU_DEP_1)
	v_lshl_add_u64 v[110:111], v[102:103], 2, v[4:5]
	s_clause 0x1
	global_load_b32 v103, v[110:111], off
	global_load_b32 v109, v[4:5], off offset:92
	s_wait_loadcnt 0x1
	global_store_b32 v[4:5], v103, off offset:92
	s_wait_loadcnt 0x0
	global_store_b32 v[110:111], v109, off
.LBB94_497:
	s_wait_xcnt 0x0
	s_or_b32 exec_lo, exec_lo, s12
	v_dual_mov_b32 v110, v102 :: v_dual_mov_b32 v109, v102
.LBB94_498:
	s_or_b32 exec_lo, exec_lo, s1
.LBB94_499:
	s_and_not1_saveexec_b32 s0, s0
	s_cbranch_execz .LBB94_501
; %bb.500:
	v_dual_mov_b32 v102, v66 :: v_dual_mov_b32 v103, v67
	v_dual_mov_b32 v110, v62 :: v_dual_mov_b32 v111, v63
	ds_store_2addr_b64 v106, v[102:103], v[110:111] offset0:24 offset1:25
	v_dual_mov_b32 v102, v64 :: v_dual_mov_b32 v103, v65
	v_dual_mov_b32 v110, v20 :: v_dual_mov_b32 v111, v21
	ds_store_2addr_b64 v106, v[102:103], v[110:111] offset0:26 offset1:27
	;; [unrolled: 3-line block ×11, first 2 shown]
	v_dual_mov_b32 v102, v14 :: v_dual_mov_b32 v103, v15
	v_mov_b32_e32 v110, 23
	ds_store_2addr_b64 v106, v[102:103], v[100:101] offset0:46 offset1:47
.LBB94_501:
	s_or_b32 exec_lo, exec_lo, s0
	s_delay_alu instid0(SALU_CYCLE_1)
	s_mov_b32 s0, exec_lo
	s_wait_storecnt_dscnt 0x0
	s_barrier_signal -1
	s_barrier_wait -1
	v_cmpx_lt_i32_e32 23, v110
	s_cbranch_execz .LBB94_503
; %bb.502:
	v_pk_mul_f32 v[112:113], v[104:105], v[22:23] op_sel:[1,1] op_sel_hi:[0,1]
	s_delay_alu instid0(VALU_DEP_1)
	v_pk_fma_f32 v[102:103], v[104:105], v[22:23], v[112:113] op_sel_hi:[1,0,1] neg_lo:[0,0,1] neg_hi:[0,0,1]
	v_pk_fma_f32 v[104:105], v[104:105], v[22:23], v[112:113] op_sel_hi:[1,0,1]
	ds_load_2addr_b64 v[112:115], v106 offset0:24 offset1:25
	v_dual_mov_b32 v22, v102 :: v_dual_mov_b32 v23, v105
	s_wait_dscnt 0x0
	v_pk_mul_f32 v[116:117], v[112:113], v[104:105] op_sel:[0,1]
	s_delay_alu instid0(VALU_DEP_1) | instskip(SKIP_1) | instid1(VALU_DEP_1)
	v_pk_fma_f32 v[118:119], v[112:113], v[102:103], v[116:117] op_sel:[0,0,1] op_sel_hi:[1,1,0] neg_lo:[0,0,1] neg_hi:[0,0,1]
	v_pk_fma_f32 v[112:113], v[112:113], v[102:103], v[116:117] op_sel:[0,0,1] op_sel_hi:[1,0,0]
	v_mov_b32_e32 v119, v113
	v_pk_mul_f32 v[112:113], v[114:115], v[104:105] op_sel:[0,1]
	s_delay_alu instid0(VALU_DEP_1) | instskip(SKIP_1) | instid1(VALU_DEP_1)
	v_pk_fma_f32 v[116:117], v[114:115], v[102:103], v[112:113] op_sel:[0,0,1] op_sel_hi:[1,1,0] neg_lo:[0,0,1] neg_hi:[0,0,1]
	v_pk_fma_f32 v[112:113], v[114:115], v[102:103], v[112:113] op_sel:[0,0,1] op_sel_hi:[1,0,0]
	v_mov_b32_e32 v117, v113
	ds_load_2addr_b64 v[112:115], v106 offset0:26 offset1:27
	v_pk_add_f32 v[66:67], v[66:67], v[118:119] neg_lo:[0,1] neg_hi:[0,1]
	v_pk_add_f32 v[62:63], v[62:63], v[116:117] neg_lo:[0,1] neg_hi:[0,1]
	s_wait_dscnt 0x0
	v_pk_mul_f32 v[116:117], v[112:113], v[104:105] op_sel:[0,1]
	s_delay_alu instid0(VALU_DEP_1) | instskip(SKIP_2) | instid1(VALU_DEP_2)
	v_pk_fma_f32 v[118:119], v[112:113], v[102:103], v[116:117] op_sel:[0,0,1] op_sel_hi:[1,1,0] neg_lo:[0,0,1] neg_hi:[0,0,1]
	v_pk_fma_f32 v[112:113], v[112:113], v[102:103], v[116:117] op_sel:[0,0,1] op_sel_hi:[1,0,0]
	v_dual_mul_f32 v116, v115, v105 :: v_dual_mov_b32 v112, v115
	v_dual_mov_b32 v119, v113 :: v_dual_mov_b32 v113, v114
	s_delay_alu instid0(VALU_DEP_2) | instskip(SKIP_1) | instid1(VALU_DEP_3)
	v_pk_fma_f32 v[116:117], v[114:115], v[22:23], v[116:117] op_sel_hi:[1,1,0] neg_lo:[0,0,1] neg_hi:[0,0,1]
	v_mul_f32_e32 v114, v115, v102
	v_pk_add_f32 v[64:65], v[64:65], v[118:119] neg_lo:[0,1] neg_hi:[0,1]
	s_delay_alu instid0(VALU_DEP_2) | instskip(NEXT) | instid1(VALU_DEP_1)
	v_pk_fma_f32 v[112:113], v[112:113], v[22:23], v[114:115] op_sel_hi:[1,1,0]
	v_mov_b32_e32 v117, v113
	ds_load_2addr_b64 v[112:115], v106 offset0:28 offset1:29
	v_pk_add_f32 v[20:21], v[20:21], v[116:117] neg_lo:[0,1] neg_hi:[0,1]
	s_wait_dscnt 0x0
	v_pk_mul_f32 v[116:117], v[112:113], v[104:105] op_sel:[0,1]
	s_delay_alu instid0(VALU_DEP_1) | instskip(SKIP_1) | instid1(VALU_DEP_1)
	v_pk_fma_f32 v[118:119], v[112:113], v[102:103], v[116:117] op_sel:[0,0,1] op_sel_hi:[1,1,0] neg_lo:[0,0,1] neg_hi:[0,0,1]
	v_pk_fma_f32 v[112:113], v[112:113], v[102:103], v[116:117] op_sel:[0,0,1] op_sel_hi:[1,0,0]
	v_mov_b32_e32 v119, v113
	v_pk_mul_f32 v[112:113], v[114:115], v[104:105] op_sel:[0,1]
	s_delay_alu instid0(VALU_DEP_1) | instskip(SKIP_1) | instid1(VALU_DEP_1)
	v_pk_fma_f32 v[116:117], v[114:115], v[102:103], v[112:113] op_sel:[0,0,1] op_sel_hi:[1,1,0] neg_lo:[0,0,1] neg_hi:[0,0,1]
	v_pk_fma_f32 v[112:113], v[114:115], v[102:103], v[112:113] op_sel:[0,0,1] op_sel_hi:[1,0,0]
	v_mov_b32_e32 v117, v113
	ds_load_2addr_b64 v[112:115], v106 offset0:30 offset1:31
	v_pk_add_f32 v[54:55], v[54:55], v[118:119] neg_lo:[0,1] neg_hi:[0,1]
	v_pk_add_f32 v[50:51], v[50:51], v[116:117] neg_lo:[0,1] neg_hi:[0,1]
	s_wait_dscnt 0x0
	v_pk_mul_f32 v[116:117], v[112:113], v[104:105] op_sel:[0,1]
	s_delay_alu instid0(VALU_DEP_1) | instskip(SKIP_1) | instid1(VALU_DEP_1)
	v_pk_fma_f32 v[118:119], v[112:113], v[102:103], v[116:117] op_sel:[0,0,1] op_sel_hi:[1,1,0] neg_lo:[0,0,1] neg_hi:[0,0,1]
	v_pk_fma_f32 v[112:113], v[112:113], v[102:103], v[116:117] op_sel:[0,0,1] op_sel_hi:[1,0,0]
	v_mov_b32_e32 v119, v113
	v_pk_mul_f32 v[112:113], v[114:115], v[104:105] op_sel:[0,1]
	s_delay_alu instid0(VALU_DEP_1) | instskip(SKIP_1) | instid1(VALU_DEP_1)
	v_pk_fma_f32 v[116:117], v[114:115], v[102:103], v[112:113] op_sel:[0,0,1] op_sel_hi:[1,1,0] neg_lo:[0,0,1] neg_hi:[0,0,1]
	v_pk_fma_f32 v[112:113], v[114:115], v[102:103], v[112:113] op_sel:[0,0,1] op_sel_hi:[1,0,0]
	v_mov_b32_e32 v117, v113
	ds_load_2addr_b64 v[112:115], v106 offset0:32 offset1:33
	v_pk_add_f32 v[52:53], v[52:53], v[118:119] neg_lo:[0,1] neg_hi:[0,1]
	v_pk_add_f32 v[12:13], v[12:13], v[116:117] neg_lo:[0,1] neg_hi:[0,1]
	s_wait_dscnt 0x0
	v_dual_mul_f32 v116, v113, v105 :: v_dual_mul_f32 v118, v113, v102
	s_delay_alu instid0(VALU_DEP_1) | instskip(NEXT) | instid1(VALU_DEP_2)
	v_pk_fma_f32 v[116:117], v[112:113], v[22:23], v[116:117] op_sel_hi:[1,1,0] neg_lo:[0,0,1] neg_hi:[0,0,1]
	v_pk_fma_f32 v[112:113], v[112:113], v[22:23], v[118:119] op_sel:[1,0,0] op_sel_hi:[0,1,0]
	s_delay_alu instid0(VALU_DEP_1) | instskip(SKIP_1) | instid1(VALU_DEP_2)
	v_mov_b32_e32 v117, v113
	v_pk_mul_f32 v[112:113], v[114:115], v[104:105] op_sel:[0,1]
	v_pk_add_f32 v[48:49], v[48:49], v[116:117] neg_lo:[0,1] neg_hi:[0,1]
	s_delay_alu instid0(VALU_DEP_2) | instskip(SKIP_1) | instid1(VALU_DEP_1)
	v_pk_fma_f32 v[116:117], v[114:115], v[102:103], v[112:113] op_sel:[0,0,1] op_sel_hi:[1,1,0] neg_lo:[0,0,1] neg_hi:[0,0,1]
	v_pk_fma_f32 v[112:113], v[114:115], v[102:103], v[112:113] op_sel:[0,0,1] op_sel_hi:[1,0,0]
	v_mov_b32_e32 v117, v113
	ds_load_2addr_b64 v[112:115], v106 offset0:34 offset1:35
	v_pk_add_f32 v[44:45], v[44:45], v[116:117] neg_lo:[0,1] neg_hi:[0,1]
	s_wait_dscnt 0x0
	v_pk_mul_f32 v[116:117], v[112:113], v[104:105] op_sel:[0,1]
	s_delay_alu instid0(VALU_DEP_1) | instskip(SKIP_1) | instid1(VALU_DEP_1)
	v_pk_fma_f32 v[118:119], v[112:113], v[102:103], v[116:117] op_sel:[0,0,1] op_sel_hi:[1,1,0] neg_lo:[0,0,1] neg_hi:[0,0,1]
	v_pk_fma_f32 v[112:113], v[112:113], v[102:103], v[116:117] op_sel:[0,0,1] op_sel_hi:[1,0,0]
	v_mov_b32_e32 v119, v113
	v_pk_mul_f32 v[112:113], v[114:115], v[104:105] op_sel:[0,1]
	s_delay_alu instid0(VALU_DEP_2) | instskip(NEXT) | instid1(VALU_DEP_2)
	v_pk_add_f32 v[46:47], v[46:47], v[118:119] neg_lo:[0,1] neg_hi:[0,1]
	v_pk_fma_f32 v[116:117], v[114:115], v[102:103], v[112:113] op_sel:[0,0,1] op_sel_hi:[1,1,0] neg_lo:[0,0,1] neg_hi:[0,0,1]
	v_pk_fma_f32 v[112:113], v[114:115], v[102:103], v[112:113] op_sel:[0,0,1] op_sel_hi:[1,0,0]
	s_delay_alu instid0(VALU_DEP_1) | instskip(SKIP_4) | instid1(VALU_DEP_1)
	v_mov_b32_e32 v117, v113
	ds_load_2addr_b64 v[112:115], v106 offset0:36 offset1:37
	v_pk_add_f32 v[10:11], v[10:11], v[116:117] neg_lo:[0,1] neg_hi:[0,1]
	s_wait_dscnt 0x0
	v_pk_mul_f32 v[116:117], v[112:113], v[104:105] op_sel:[0,1]
	v_pk_fma_f32 v[118:119], v[112:113], v[102:103], v[116:117] op_sel:[0,0,1] op_sel_hi:[1,1,0] neg_lo:[0,0,1] neg_hi:[0,0,1]
	v_pk_fma_f32 v[112:113], v[112:113], v[102:103], v[116:117] op_sel:[0,0,1] op_sel_hi:[1,0,0]
	v_dual_mul_f32 v116, v115, v105 :: v_dual_mov_b32 v112, v115
	s_delay_alu instid0(VALU_DEP_2) | instskip(NEXT) | instid1(VALU_DEP_2)
	v_dual_mov_b32 v119, v113 :: v_dual_mov_b32 v113, v114
	v_pk_fma_f32 v[116:117], v[114:115], v[22:23], v[116:117] op_sel_hi:[1,1,0] neg_lo:[0,0,1] neg_hi:[0,0,1]
	v_mul_f32_e32 v114, v115, v102
	s_delay_alu instid0(VALU_DEP_3) | instskip(NEXT) | instid1(VALU_DEP_2)
	v_pk_add_f32 v[42:43], v[42:43], v[118:119] neg_lo:[0,1] neg_hi:[0,1]
	v_pk_fma_f32 v[112:113], v[112:113], v[22:23], v[114:115] op_sel_hi:[1,1,0]
	s_delay_alu instid0(VALU_DEP_1) | instskip(SKIP_4) | instid1(VALU_DEP_1)
	v_mov_b32_e32 v117, v113
	ds_load_2addr_b64 v[112:115], v106 offset0:38 offset1:39
	v_pk_add_f32 v[38:39], v[38:39], v[116:117] neg_lo:[0,1] neg_hi:[0,1]
	s_wait_dscnt 0x0
	v_pk_mul_f32 v[116:117], v[112:113], v[104:105] op_sel:[0,1]
	v_pk_fma_f32 v[118:119], v[112:113], v[102:103], v[116:117] op_sel:[0,0,1] op_sel_hi:[1,1,0] neg_lo:[0,0,1] neg_hi:[0,0,1]
	v_pk_fma_f32 v[112:113], v[112:113], v[102:103], v[116:117] op_sel:[0,0,1] op_sel_hi:[1,0,0]
	s_delay_alu instid0(VALU_DEP_1) | instskip(SKIP_1) | instid1(VALU_DEP_1)
	v_mov_b32_e32 v119, v113
	v_pk_mul_f32 v[112:113], v[114:115], v[104:105] op_sel:[0,1]
	v_pk_fma_f32 v[116:117], v[114:115], v[102:103], v[112:113] op_sel:[0,0,1] op_sel_hi:[1,1,0] neg_lo:[0,0,1] neg_hi:[0,0,1]
	v_pk_fma_f32 v[112:113], v[114:115], v[102:103], v[112:113] op_sel:[0,0,1] op_sel_hi:[1,0,0]
	s_delay_alu instid0(VALU_DEP_1)
	v_mov_b32_e32 v117, v113
	ds_load_2addr_b64 v[112:115], v106 offset0:40 offset1:41
	v_pk_add_f32 v[40:41], v[40:41], v[118:119] neg_lo:[0,1] neg_hi:[0,1]
	v_pk_add_f32 v[6:7], v[6:7], v[116:117] neg_lo:[0,1] neg_hi:[0,1]
	s_wait_dscnt 0x0
	v_pk_mul_f32 v[116:117], v[112:113], v[104:105] op_sel:[0,1]
	s_delay_alu instid0(VALU_DEP_1) | instskip(SKIP_1) | instid1(VALU_DEP_1)
	v_pk_fma_f32 v[118:119], v[112:113], v[102:103], v[116:117] op_sel:[0,0,1] op_sel_hi:[1,1,0] neg_lo:[0,0,1] neg_hi:[0,0,1]
	v_pk_fma_f32 v[112:113], v[112:113], v[102:103], v[116:117] op_sel:[0,0,1] op_sel_hi:[1,0,0]
	v_mov_b32_e32 v119, v113
	v_pk_mul_f32 v[112:113], v[114:115], v[104:105] op_sel:[0,1]
	s_delay_alu instid0(VALU_DEP_1) | instskip(SKIP_1) | instid1(VALU_DEP_1)
	v_pk_fma_f32 v[116:117], v[114:115], v[102:103], v[112:113] op_sel:[0,0,1] op_sel_hi:[1,1,0] neg_lo:[0,0,1] neg_hi:[0,0,1]
	v_pk_fma_f32 v[112:113], v[114:115], v[102:103], v[112:113] op_sel:[0,0,1] op_sel_hi:[1,0,0]
	v_mov_b32_e32 v117, v113
	ds_load_2addr_b64 v[112:115], v106 offset0:42 offset1:43
	v_pk_add_f32 v[36:37], v[36:37], v[118:119] neg_lo:[0,1] neg_hi:[0,1]
	v_pk_add_f32 v[30:31], v[30:31], v[116:117] neg_lo:[0,1] neg_hi:[0,1]
	s_wait_dscnt 0x0
	v_dual_mul_f32 v116, v113, v105 :: v_dual_mul_f32 v118, v113, v102
	s_delay_alu instid0(VALU_DEP_1) | instskip(NEXT) | instid1(VALU_DEP_2)
	v_pk_fma_f32 v[116:117], v[112:113], v[22:23], v[116:117] op_sel_hi:[1,1,0] neg_lo:[0,0,1] neg_hi:[0,0,1]
	v_pk_fma_f32 v[112:113], v[112:113], v[22:23], v[118:119] op_sel:[1,0,0] op_sel_hi:[0,1,0]
	s_delay_alu instid0(VALU_DEP_1) | instskip(SKIP_1) | instid1(VALU_DEP_2)
	v_mov_b32_e32 v117, v113
	v_pk_mul_f32 v[112:113], v[114:115], v[104:105] op_sel:[0,1]
	v_pk_add_f32 v[34:35], v[34:35], v[116:117] neg_lo:[0,1] neg_hi:[0,1]
	s_delay_alu instid0(VALU_DEP_2) | instskip(SKIP_1) | instid1(VALU_DEP_1)
	v_pk_fma_f32 v[116:117], v[114:115], v[102:103], v[112:113] op_sel:[0,0,1] op_sel_hi:[1,1,0] neg_lo:[0,0,1] neg_hi:[0,0,1]
	v_pk_fma_f32 v[112:113], v[114:115], v[102:103], v[112:113] op_sel:[0,0,1] op_sel_hi:[1,0,0]
	v_mov_b32_e32 v117, v113
	ds_load_2addr_b64 v[112:115], v106 offset0:44 offset1:45
	v_pk_add_f32 v[8:9], v[8:9], v[116:117] neg_lo:[0,1] neg_hi:[0,1]
	s_wait_dscnt 0x0
	v_pk_mul_f32 v[116:117], v[112:113], v[104:105] op_sel:[0,1]
	s_delay_alu instid0(VALU_DEP_1) | instskip(SKIP_1) | instid1(VALU_DEP_1)
	v_pk_fma_f32 v[118:119], v[112:113], v[102:103], v[116:117] op_sel:[0,0,1] op_sel_hi:[1,1,0] neg_lo:[0,0,1] neg_hi:[0,0,1]
	v_pk_fma_f32 v[112:113], v[112:113], v[102:103], v[116:117] op_sel:[0,0,1] op_sel_hi:[1,0,0]
	v_mov_b32_e32 v119, v113
	v_pk_mul_f32 v[112:113], v[114:115], v[104:105] op_sel:[0,1]
	s_delay_alu instid0(VALU_DEP_2) | instskip(NEXT) | instid1(VALU_DEP_2)
	v_pk_add_f32 v[28:29], v[28:29], v[118:119] neg_lo:[0,1] neg_hi:[0,1]
	v_pk_fma_f32 v[116:117], v[114:115], v[102:103], v[112:113] op_sel:[0,0,1] op_sel_hi:[1,1,0] neg_lo:[0,0,1] neg_hi:[0,0,1]
	v_pk_fma_f32 v[112:113], v[114:115], v[102:103], v[112:113] op_sel:[0,0,1] op_sel_hi:[1,0,0]
	s_delay_alu instid0(VALU_DEP_1)
	v_mov_b32_e32 v117, v113
	ds_load_2addr_b64 v[112:115], v106 offset0:46 offset1:47
	v_pk_add_f32 v[18:19], v[18:19], v[116:117] neg_lo:[0,1] neg_hi:[0,1]
	s_wait_dscnt 0x0
	v_pk_mul_f32 v[116:117], v[112:113], v[104:105] op_sel:[0,1]
	v_mul_f32_e32 v104, v115, v105
	s_delay_alu instid0(VALU_DEP_2) | instskip(SKIP_2) | instid1(VALU_DEP_4)
	v_pk_fma_f32 v[118:119], v[112:113], v[102:103], v[116:117] op_sel:[0,0,1] op_sel_hi:[1,1,0] neg_lo:[0,0,1] neg_hi:[0,0,1]
	v_pk_fma_f32 v[112:113], v[112:113], v[102:103], v[116:117] op_sel:[0,0,1] op_sel_hi:[1,0,0]
	v_dual_mov_b32 v112, v115 :: v_dual_mul_f32 v102, v115, v102
	v_pk_fma_f32 v[104:105], v[114:115], v[22:23], v[104:105] op_sel_hi:[1,1,0] neg_lo:[0,0,1] neg_hi:[0,0,1]
	s_delay_alu instid0(VALU_DEP_3) | instskip(NEXT) | instid1(VALU_DEP_1)
	v_dual_mov_b32 v119, v113 :: v_dual_mov_b32 v113, v114
	v_pk_add_f32 v[14:15], v[14:15], v[118:119] neg_lo:[0,1] neg_hi:[0,1]
	s_delay_alu instid0(VALU_DEP_2) | instskip(NEXT) | instid1(VALU_DEP_1)
	v_pk_fma_f32 v[102:103], v[112:113], v[22:23], v[102:103] op_sel_hi:[1,1,0]
	v_mov_b32_e32 v105, v103
	s_delay_alu instid0(VALU_DEP_1)
	v_pk_add_f32 v[100:101], v[100:101], v[104:105] neg_lo:[0,1] neg_hi:[0,1]
.LBB94_503:
	s_or_b32 exec_lo, exec_lo, s0
	v_lshl_add_u32 v102, v110, 3, v106
	s_barrier_signal -1
	s_barrier_wait -1
	ds_store_b64 v102, v[66:67]
	s_wait_dscnt 0x0
	s_barrier_signal -1
	s_barrier_wait -1
	ds_load_b64 v[104:105], v106 offset:192
	v_mov_b32_e32 v102, 24
	s_cmp_lt_i32 s18, 26
	s_cbranch_scc1 .LBB94_506
; %bb.504:
	v_add3_u32 v103, v107, 0, 0xc8
	v_mov_b32_e32 v102, 24
	s_mov_b32 s0, 25
.LBB94_505:                             ; =>This Inner Loop Header: Depth=1
	ds_load_b64 v[112:113], v103
	s_wait_dscnt 0x1
	v_cmp_gt_f32_e32 vcc_lo, 0, v104
	v_cndmask_b32_e64 v114, v104, -v104, vcc_lo
	v_cmp_gt_f32_e32 vcc_lo, 0, v105
	v_cndmask_b32_e64 v116, v105, -v105, vcc_lo
	s_wait_dscnt 0x0
	v_cmp_gt_f32_e32 vcc_lo, 0, v112
	v_cndmask_b32_e64 v115, v112, -v112, vcc_lo
	v_cmp_gt_f32_e32 vcc_lo, 0, v113
	v_cndmask_b32_e64 v117, v113, -v113, vcc_lo
	s_delay_alu instid0(VALU_DEP_1) | instskip(NEXT) | instid1(VALU_DEP_1)
	v_pk_add_f32 v[114:115], v[114:115], v[116:117]
	v_cmp_lt_f32_e32 vcc_lo, v114, v115
	v_dual_add_nc_u32 v103, 8, v103 :: v_dual_cndmask_b32 v105, v105, v113, vcc_lo
	v_cndmask_b32_e32 v104, v104, v112, vcc_lo
	v_cndmask_b32_e64 v102, v102, s0, vcc_lo
	s_add_co_i32 s0, s0, 1
	s_delay_alu instid0(SALU_CYCLE_1)
	s_cmp_lg_u32 s18, s0
	s_cbranch_scc1 .LBB94_505
.LBB94_506:
	s_wait_dscnt 0x0
	v_cmp_eq_f32_e32 vcc_lo, 0, v104
	v_cmp_eq_f32_e64 s0, 0, v105
	s_and_b32 s0, vcc_lo, s0
	s_delay_alu instid0(SALU_CYCLE_1) | instskip(NEXT) | instid1(SALU_CYCLE_1)
	s_and_saveexec_b32 s1, s0
	s_xor_b32 s0, exec_lo, s1
; %bb.507:
	v_cmp_ne_u32_e32 vcc_lo, 0, v108
	v_cndmask_b32_e32 v108, 25, v108, vcc_lo
; %bb.508:
	s_and_not1_saveexec_b32 s0, s0
	s_cbranch_execz .LBB94_514
; %bb.509:
	v_cmp_ngt_f32_e64 s1, |v104|, |v105|
	s_and_saveexec_b32 s12, s1
	s_delay_alu instid0(SALU_CYCLE_1)
	s_xor_b32 s1, exec_lo, s12
	s_cbranch_execz .LBB94_511
; %bb.510:
	v_div_scale_f32 v103, null, v105, v105, v104
	v_div_scale_f32 v113, vcc_lo, v104, v105, v104
	s_delay_alu instid0(VALU_DEP_2) | instskip(SKIP_1) | instid1(TRANS32_DEP_1)
	v_rcp_f32_e32 v111, v103
	v_nop
	v_fma_f32 v112, -v103, v111, 1.0
	s_delay_alu instid0(VALU_DEP_1) | instskip(NEXT) | instid1(VALU_DEP_1)
	v_fmac_f32_e32 v111, v112, v111
	v_mul_f32_e32 v112, v113, v111
	s_delay_alu instid0(VALU_DEP_1) | instskip(NEXT) | instid1(VALU_DEP_1)
	v_fma_f32 v114, -v103, v112, v113
	v_fmac_f32_e32 v112, v114, v111
	s_delay_alu instid0(VALU_DEP_1) | instskip(NEXT) | instid1(VALU_DEP_1)
	v_fma_f32 v103, -v103, v112, v113
	v_div_fmas_f32 v103, v103, v111, v112
	s_delay_alu instid0(VALU_DEP_1) | instskip(NEXT) | instid1(VALU_DEP_1)
	v_div_fixup_f32 v103, v103, v105, v104
	v_fmac_f32_e32 v105, v104, v103
	s_delay_alu instid0(VALU_DEP_1) | instskip(SKIP_1) | instid1(VALU_DEP_2)
	v_div_scale_f32 v104, null, v105, v105, 1.0
	v_div_scale_f32 v113, vcc_lo, 1.0, v105, 1.0
	v_rcp_f32_e32 v111, v104
	v_nop
	s_delay_alu instid0(TRANS32_DEP_1) | instskip(NEXT) | instid1(VALU_DEP_1)
	v_fma_f32 v112, -v104, v111, 1.0
	v_fmac_f32_e32 v111, v112, v111
	s_delay_alu instid0(VALU_DEP_1) | instskip(NEXT) | instid1(VALU_DEP_1)
	v_mul_f32_e32 v112, v113, v111
	v_fma_f32 v114, -v104, v112, v113
	s_delay_alu instid0(VALU_DEP_1) | instskip(NEXT) | instid1(VALU_DEP_1)
	v_fmac_f32_e32 v112, v114, v111
	v_fma_f32 v104, -v104, v112, v113
	s_delay_alu instid0(VALU_DEP_1) | instskip(NEXT) | instid1(VALU_DEP_1)
	v_div_fmas_f32 v104, v104, v111, v112
	v_div_fixup_f32 v105, v104, v105, 1.0
	s_delay_alu instid0(VALU_DEP_1)
	v_mul_f32_e32 v104, v103, v105
	v_xor_b32_e32 v105, 0x80000000, v105
.LBB94_511:
	s_and_not1_saveexec_b32 s1, s1
	s_cbranch_execz .LBB94_513
; %bb.512:
	s_delay_alu instid0(VALU_DEP_1) | instskip(SKIP_1) | instid1(VALU_DEP_2)
	v_div_scale_f32 v103, null, v104, v104, v105
	v_div_scale_f32 v113, vcc_lo, v105, v104, v105
	v_rcp_f32_e32 v111, v103
	v_nop
	s_delay_alu instid0(TRANS32_DEP_1) | instskip(NEXT) | instid1(VALU_DEP_1)
	v_fma_f32 v112, -v103, v111, 1.0
	v_fmac_f32_e32 v111, v112, v111
	s_delay_alu instid0(VALU_DEP_1) | instskip(NEXT) | instid1(VALU_DEP_1)
	v_mul_f32_e32 v112, v113, v111
	v_fma_f32 v114, -v103, v112, v113
	s_delay_alu instid0(VALU_DEP_1) | instskip(NEXT) | instid1(VALU_DEP_1)
	v_fmac_f32_e32 v112, v114, v111
	v_fma_f32 v103, -v103, v112, v113
	s_delay_alu instid0(VALU_DEP_1) | instskip(NEXT) | instid1(VALU_DEP_1)
	v_div_fmas_f32 v103, v103, v111, v112
	v_div_fixup_f32 v103, v103, v104, v105
	s_delay_alu instid0(VALU_DEP_1) | instskip(NEXT) | instid1(VALU_DEP_1)
	v_fmac_f32_e32 v104, v105, v103
	v_div_scale_f32 v105, null, v104, v104, 1.0
	s_delay_alu instid0(VALU_DEP_1) | instskip(SKIP_1) | instid1(TRANS32_DEP_1)
	v_rcp_f32_e32 v111, v105
	v_nop
	v_fma_f32 v112, -v105, v111, 1.0
	s_delay_alu instid0(VALU_DEP_1) | instskip(SKIP_1) | instid1(VALU_DEP_1)
	v_fmac_f32_e32 v111, v112, v111
	v_div_scale_f32 v112, vcc_lo, 1.0, v104, 1.0
	v_mul_f32_e32 v113, v112, v111
	s_delay_alu instid0(VALU_DEP_1) | instskip(NEXT) | instid1(VALU_DEP_1)
	v_fma_f32 v114, -v105, v113, v112
	v_fmac_f32_e32 v113, v114, v111
	s_delay_alu instid0(VALU_DEP_1) | instskip(NEXT) | instid1(VALU_DEP_1)
	v_fma_f32 v105, -v105, v113, v112
	v_div_fmas_f32 v105, v105, v111, v113
	s_delay_alu instid0(VALU_DEP_1) | instskip(NEXT) | instid1(VALU_DEP_1)
	v_div_fixup_f32 v104, v105, v104, 1.0
	v_mul_f32_e64 v105, v103, -v104
.LBB94_513:
	s_or_b32 exec_lo, exec_lo, s1
.LBB94_514:
	s_delay_alu instid0(SALU_CYCLE_1) | instskip(NEXT) | instid1(SALU_CYCLE_1)
	s_or_b32 exec_lo, exec_lo, s0
	s_mov_b32 s0, exec_lo
	v_cmpx_ne_u32_e64 v110, v102
	s_xor_b32 s0, exec_lo, s0
	s_cbranch_execz .LBB94_520
; %bb.515:
	s_mov_b32 s1, exec_lo
	v_cmpx_eq_u32_e32 24, v110
	s_cbranch_execz .LBB94_519
; %bb.516:
	v_cmp_ne_u32_e32 vcc_lo, 24, v102
	s_xor_b32 s12, s16, -1
	s_delay_alu instid0(SALU_CYCLE_1) | instskip(NEXT) | instid1(SALU_CYCLE_1)
	s_and_b32 s13, s12, vcc_lo
	s_and_saveexec_b32 s12, s13
	s_cbranch_execz .LBB94_518
; %bb.517:
	v_ashrrev_i32_e32 v103, 31, v102
	s_delay_alu instid0(VALU_DEP_1)
	v_lshl_add_u64 v[110:111], v[102:103], 2, v[4:5]
	s_clause 0x1
	global_load_b32 v103, v[110:111], off
	global_load_b32 v109, v[4:5], off offset:96
	s_wait_loadcnt 0x1
	global_store_b32 v[4:5], v103, off offset:96
	s_wait_loadcnt 0x0
	global_store_b32 v[110:111], v109, off
.LBB94_518:
	s_wait_xcnt 0x0
	s_or_b32 exec_lo, exec_lo, s12
	v_dual_mov_b32 v110, v102 :: v_dual_mov_b32 v109, v102
.LBB94_519:
	s_or_b32 exec_lo, exec_lo, s1
.LBB94_520:
	s_and_not1_saveexec_b32 s0, s0
	s_cbranch_execz .LBB94_522
; %bb.521:
	v_mov_b32_e32 v110, 24
	ds_store_2addr_b64 v106, v[62:63], v[64:65] offset0:25 offset1:26
	ds_store_2addr_b64 v106, v[20:21], v[54:55] offset0:27 offset1:28
	;; [unrolled: 1-line block ×11, first 2 shown]
	ds_store_b64 v106, v[100:101] offset:376
.LBB94_522:
	s_or_b32 exec_lo, exec_lo, s0
	s_delay_alu instid0(SALU_CYCLE_1)
	s_mov_b32 s0, exec_lo
	s_wait_storecnt_dscnt 0x0
	s_barrier_signal -1
	s_barrier_wait -1
	v_cmpx_lt_i32_e32 24, v110
	s_cbranch_execz .LBB94_524
; %bb.523:
	v_pk_mul_f32 v[112:113], v[104:105], v[66:67] op_sel:[1,1] op_sel_hi:[0,1]
	s_delay_alu instid0(VALU_DEP_1)
	v_pk_fma_f32 v[102:103], v[104:105], v[66:67], v[112:113] op_sel_hi:[1,0,1] neg_lo:[0,0,1] neg_hi:[0,0,1]
	v_pk_fma_f32 v[104:105], v[104:105], v[66:67], v[112:113] op_sel_hi:[1,0,1]
	ds_load_2addr_b64 v[112:115], v106 offset0:25 offset1:26
	v_dual_mov_b32 v66, v102 :: v_dual_mov_b32 v67, v105
	s_wait_dscnt 0x0
	v_pk_mul_f32 v[116:117], v[112:113], v[104:105] op_sel:[0,1]
	s_delay_alu instid0(VALU_DEP_1) | instskip(SKIP_1) | instid1(VALU_DEP_1)
	v_pk_fma_f32 v[118:119], v[112:113], v[102:103], v[116:117] op_sel:[0,0,1] op_sel_hi:[1,1,0] neg_lo:[0,0,1] neg_hi:[0,0,1]
	v_pk_fma_f32 v[112:113], v[112:113], v[102:103], v[116:117] op_sel:[0,0,1] op_sel_hi:[1,0,0]
	v_mov_b32_e32 v119, v113
	v_pk_mul_f32 v[112:113], v[114:115], v[104:105] op_sel:[0,1]
	s_delay_alu instid0(VALU_DEP_1) | instskip(SKIP_1) | instid1(VALU_DEP_1)
	v_pk_fma_f32 v[116:117], v[114:115], v[102:103], v[112:113] op_sel:[0,0,1] op_sel_hi:[1,1,0] neg_lo:[0,0,1] neg_hi:[0,0,1]
	v_pk_fma_f32 v[112:113], v[114:115], v[102:103], v[112:113] op_sel:[0,0,1] op_sel_hi:[1,0,0]
	v_mov_b32_e32 v117, v113
	ds_load_2addr_b64 v[112:115], v106 offset0:27 offset1:28
	v_pk_add_f32 v[62:63], v[62:63], v[118:119] neg_lo:[0,1] neg_hi:[0,1]
	v_pk_add_f32 v[64:65], v[64:65], v[116:117] neg_lo:[0,1] neg_hi:[0,1]
	s_wait_dscnt 0x0
	v_pk_mul_f32 v[116:117], v[112:113], v[104:105] op_sel:[0,1]
	s_delay_alu instid0(VALU_DEP_1) | instskip(SKIP_2) | instid1(VALU_DEP_2)
	v_pk_fma_f32 v[118:119], v[112:113], v[102:103], v[116:117] op_sel:[0,0,1] op_sel_hi:[1,1,0] neg_lo:[0,0,1] neg_hi:[0,0,1]
	v_pk_fma_f32 v[112:113], v[112:113], v[102:103], v[116:117] op_sel:[0,0,1] op_sel_hi:[1,0,0]
	v_dual_mul_f32 v116, v115, v105 :: v_dual_mov_b32 v112, v115
	v_dual_mov_b32 v119, v113 :: v_dual_mov_b32 v113, v114
	s_delay_alu instid0(VALU_DEP_2) | instskip(SKIP_1) | instid1(VALU_DEP_3)
	v_pk_fma_f32 v[116:117], v[114:115], v[66:67], v[116:117] op_sel_hi:[1,1,0] neg_lo:[0,0,1] neg_hi:[0,0,1]
	v_mul_f32_e32 v114, v115, v102
	v_pk_add_f32 v[20:21], v[20:21], v[118:119] neg_lo:[0,1] neg_hi:[0,1]
	s_delay_alu instid0(VALU_DEP_2) | instskip(NEXT) | instid1(VALU_DEP_1)
	v_pk_fma_f32 v[112:113], v[112:113], v[66:67], v[114:115] op_sel_hi:[1,1,0]
	v_mov_b32_e32 v117, v113
	ds_load_2addr_b64 v[112:115], v106 offset0:29 offset1:30
	v_pk_add_f32 v[54:55], v[54:55], v[116:117] neg_lo:[0,1] neg_hi:[0,1]
	s_wait_dscnt 0x0
	v_pk_mul_f32 v[116:117], v[112:113], v[104:105] op_sel:[0,1]
	s_delay_alu instid0(VALU_DEP_1) | instskip(SKIP_1) | instid1(VALU_DEP_1)
	v_pk_fma_f32 v[118:119], v[112:113], v[102:103], v[116:117] op_sel:[0,0,1] op_sel_hi:[1,1,0] neg_lo:[0,0,1] neg_hi:[0,0,1]
	v_pk_fma_f32 v[112:113], v[112:113], v[102:103], v[116:117] op_sel:[0,0,1] op_sel_hi:[1,0,0]
	v_mov_b32_e32 v119, v113
	v_pk_mul_f32 v[112:113], v[114:115], v[104:105] op_sel:[0,1]
	s_delay_alu instid0(VALU_DEP_1) | instskip(SKIP_1) | instid1(VALU_DEP_1)
	v_pk_fma_f32 v[116:117], v[114:115], v[102:103], v[112:113] op_sel:[0,0,1] op_sel_hi:[1,1,0] neg_lo:[0,0,1] neg_hi:[0,0,1]
	v_pk_fma_f32 v[112:113], v[114:115], v[102:103], v[112:113] op_sel:[0,0,1] op_sel_hi:[1,0,0]
	v_mov_b32_e32 v117, v113
	ds_load_2addr_b64 v[112:115], v106 offset0:31 offset1:32
	v_pk_add_f32 v[50:51], v[50:51], v[118:119] neg_lo:[0,1] neg_hi:[0,1]
	v_pk_add_f32 v[52:53], v[52:53], v[116:117] neg_lo:[0,1] neg_hi:[0,1]
	s_wait_dscnt 0x0
	v_pk_mul_f32 v[116:117], v[112:113], v[104:105] op_sel:[0,1]
	s_delay_alu instid0(VALU_DEP_1) | instskip(SKIP_1) | instid1(VALU_DEP_1)
	v_pk_fma_f32 v[118:119], v[112:113], v[102:103], v[116:117] op_sel:[0,0,1] op_sel_hi:[1,1,0] neg_lo:[0,0,1] neg_hi:[0,0,1]
	v_pk_fma_f32 v[112:113], v[112:113], v[102:103], v[116:117] op_sel:[0,0,1] op_sel_hi:[1,0,0]
	v_mov_b32_e32 v119, v113
	v_pk_mul_f32 v[112:113], v[114:115], v[104:105] op_sel:[0,1]
	s_delay_alu instid0(VALU_DEP_1) | instskip(SKIP_1) | instid1(VALU_DEP_1)
	v_pk_fma_f32 v[116:117], v[114:115], v[102:103], v[112:113] op_sel:[0,0,1] op_sel_hi:[1,1,0] neg_lo:[0,0,1] neg_hi:[0,0,1]
	v_pk_fma_f32 v[112:113], v[114:115], v[102:103], v[112:113] op_sel:[0,0,1] op_sel_hi:[1,0,0]
	v_mov_b32_e32 v117, v113
	ds_load_2addr_b64 v[112:115], v106 offset0:33 offset1:34
	v_pk_add_f32 v[12:13], v[12:13], v[118:119] neg_lo:[0,1] neg_hi:[0,1]
	v_pk_add_f32 v[48:49], v[48:49], v[116:117] neg_lo:[0,1] neg_hi:[0,1]
	s_wait_dscnt 0x0
	v_dual_mul_f32 v116, v113, v105 :: v_dual_mul_f32 v118, v113, v102
	s_delay_alu instid0(VALU_DEP_1) | instskip(NEXT) | instid1(VALU_DEP_2)
	v_pk_fma_f32 v[116:117], v[112:113], v[66:67], v[116:117] op_sel_hi:[1,1,0] neg_lo:[0,0,1] neg_hi:[0,0,1]
	v_pk_fma_f32 v[112:113], v[112:113], v[66:67], v[118:119] op_sel:[1,0,0] op_sel_hi:[0,1,0]
	s_delay_alu instid0(VALU_DEP_1) | instskip(SKIP_1) | instid1(VALU_DEP_2)
	v_mov_b32_e32 v117, v113
	v_pk_mul_f32 v[112:113], v[114:115], v[104:105] op_sel:[0,1]
	v_pk_add_f32 v[44:45], v[44:45], v[116:117] neg_lo:[0,1] neg_hi:[0,1]
	s_delay_alu instid0(VALU_DEP_2) | instskip(SKIP_1) | instid1(VALU_DEP_1)
	v_pk_fma_f32 v[116:117], v[114:115], v[102:103], v[112:113] op_sel:[0,0,1] op_sel_hi:[1,1,0] neg_lo:[0,0,1] neg_hi:[0,0,1]
	v_pk_fma_f32 v[112:113], v[114:115], v[102:103], v[112:113] op_sel:[0,0,1] op_sel_hi:[1,0,0]
	v_mov_b32_e32 v117, v113
	ds_load_2addr_b64 v[112:115], v106 offset0:35 offset1:36
	v_pk_add_f32 v[46:47], v[46:47], v[116:117] neg_lo:[0,1] neg_hi:[0,1]
	s_wait_dscnt 0x0
	v_pk_mul_f32 v[116:117], v[112:113], v[104:105] op_sel:[0,1]
	s_delay_alu instid0(VALU_DEP_1) | instskip(SKIP_1) | instid1(VALU_DEP_1)
	v_pk_fma_f32 v[118:119], v[112:113], v[102:103], v[116:117] op_sel:[0,0,1] op_sel_hi:[1,1,0] neg_lo:[0,0,1] neg_hi:[0,0,1]
	v_pk_fma_f32 v[112:113], v[112:113], v[102:103], v[116:117] op_sel:[0,0,1] op_sel_hi:[1,0,0]
	v_mov_b32_e32 v119, v113
	v_pk_mul_f32 v[112:113], v[114:115], v[104:105] op_sel:[0,1]
	s_delay_alu instid0(VALU_DEP_2) | instskip(NEXT) | instid1(VALU_DEP_2)
	v_pk_add_f32 v[10:11], v[10:11], v[118:119] neg_lo:[0,1] neg_hi:[0,1]
	v_pk_fma_f32 v[116:117], v[114:115], v[102:103], v[112:113] op_sel:[0,0,1] op_sel_hi:[1,1,0] neg_lo:[0,0,1] neg_hi:[0,0,1]
	v_pk_fma_f32 v[112:113], v[114:115], v[102:103], v[112:113] op_sel:[0,0,1] op_sel_hi:[1,0,0]
	s_delay_alu instid0(VALU_DEP_1) | instskip(SKIP_4) | instid1(VALU_DEP_1)
	v_mov_b32_e32 v117, v113
	ds_load_2addr_b64 v[112:115], v106 offset0:37 offset1:38
	v_pk_add_f32 v[42:43], v[42:43], v[116:117] neg_lo:[0,1] neg_hi:[0,1]
	s_wait_dscnt 0x0
	v_pk_mul_f32 v[116:117], v[112:113], v[104:105] op_sel:[0,1]
	v_pk_fma_f32 v[118:119], v[112:113], v[102:103], v[116:117] op_sel:[0,0,1] op_sel_hi:[1,1,0] neg_lo:[0,0,1] neg_hi:[0,0,1]
	v_pk_fma_f32 v[112:113], v[112:113], v[102:103], v[116:117] op_sel:[0,0,1] op_sel_hi:[1,0,0]
	v_dual_mul_f32 v116, v115, v105 :: v_dual_mov_b32 v112, v115
	s_delay_alu instid0(VALU_DEP_2) | instskip(NEXT) | instid1(VALU_DEP_2)
	v_dual_mov_b32 v119, v113 :: v_dual_mov_b32 v113, v114
	v_pk_fma_f32 v[116:117], v[114:115], v[66:67], v[116:117] op_sel_hi:[1,1,0] neg_lo:[0,0,1] neg_hi:[0,0,1]
	v_mul_f32_e32 v114, v115, v102
	s_delay_alu instid0(VALU_DEP_3) | instskip(NEXT) | instid1(VALU_DEP_2)
	v_pk_add_f32 v[38:39], v[38:39], v[118:119] neg_lo:[0,1] neg_hi:[0,1]
	v_pk_fma_f32 v[112:113], v[112:113], v[66:67], v[114:115] op_sel_hi:[1,1,0]
	s_delay_alu instid0(VALU_DEP_1) | instskip(SKIP_4) | instid1(VALU_DEP_1)
	v_mov_b32_e32 v117, v113
	ds_load_2addr_b64 v[112:115], v106 offset0:39 offset1:40
	v_pk_add_f32 v[40:41], v[40:41], v[116:117] neg_lo:[0,1] neg_hi:[0,1]
	s_wait_dscnt 0x0
	v_pk_mul_f32 v[116:117], v[112:113], v[104:105] op_sel:[0,1]
	v_pk_fma_f32 v[118:119], v[112:113], v[102:103], v[116:117] op_sel:[0,0,1] op_sel_hi:[1,1,0] neg_lo:[0,0,1] neg_hi:[0,0,1]
	v_pk_fma_f32 v[112:113], v[112:113], v[102:103], v[116:117] op_sel:[0,0,1] op_sel_hi:[1,0,0]
	s_delay_alu instid0(VALU_DEP_1) | instskip(SKIP_1) | instid1(VALU_DEP_1)
	v_mov_b32_e32 v119, v113
	v_pk_mul_f32 v[112:113], v[114:115], v[104:105] op_sel:[0,1]
	v_pk_fma_f32 v[116:117], v[114:115], v[102:103], v[112:113] op_sel:[0,0,1] op_sel_hi:[1,1,0] neg_lo:[0,0,1] neg_hi:[0,0,1]
	v_pk_fma_f32 v[112:113], v[114:115], v[102:103], v[112:113] op_sel:[0,0,1] op_sel_hi:[1,0,0]
	s_delay_alu instid0(VALU_DEP_1)
	v_mov_b32_e32 v117, v113
	ds_load_2addr_b64 v[112:115], v106 offset0:41 offset1:42
	v_pk_add_f32 v[6:7], v[6:7], v[118:119] neg_lo:[0,1] neg_hi:[0,1]
	v_pk_add_f32 v[36:37], v[36:37], v[116:117] neg_lo:[0,1] neg_hi:[0,1]
	s_wait_dscnt 0x0
	v_pk_mul_f32 v[116:117], v[112:113], v[104:105] op_sel:[0,1]
	s_delay_alu instid0(VALU_DEP_1) | instskip(SKIP_1) | instid1(VALU_DEP_1)
	v_pk_fma_f32 v[118:119], v[112:113], v[102:103], v[116:117] op_sel:[0,0,1] op_sel_hi:[1,1,0] neg_lo:[0,0,1] neg_hi:[0,0,1]
	v_pk_fma_f32 v[112:113], v[112:113], v[102:103], v[116:117] op_sel:[0,0,1] op_sel_hi:[1,0,0]
	v_mov_b32_e32 v119, v113
	v_pk_mul_f32 v[112:113], v[114:115], v[104:105] op_sel:[0,1]
	s_delay_alu instid0(VALU_DEP_1) | instskip(SKIP_1) | instid1(VALU_DEP_1)
	v_pk_fma_f32 v[116:117], v[114:115], v[102:103], v[112:113] op_sel:[0,0,1] op_sel_hi:[1,1,0] neg_lo:[0,0,1] neg_hi:[0,0,1]
	v_pk_fma_f32 v[112:113], v[114:115], v[102:103], v[112:113] op_sel:[0,0,1] op_sel_hi:[1,0,0]
	v_mov_b32_e32 v117, v113
	ds_load_2addr_b64 v[112:115], v106 offset0:43 offset1:44
	v_pk_add_f32 v[30:31], v[30:31], v[118:119] neg_lo:[0,1] neg_hi:[0,1]
	v_pk_add_f32 v[34:35], v[34:35], v[116:117] neg_lo:[0,1] neg_hi:[0,1]
	s_wait_dscnt 0x0
	v_dual_mul_f32 v116, v113, v105 :: v_dual_mul_f32 v118, v113, v102
	s_delay_alu instid0(VALU_DEP_1) | instskip(NEXT) | instid1(VALU_DEP_2)
	v_pk_fma_f32 v[116:117], v[112:113], v[66:67], v[116:117] op_sel_hi:[1,1,0] neg_lo:[0,0,1] neg_hi:[0,0,1]
	v_pk_fma_f32 v[112:113], v[112:113], v[66:67], v[118:119] op_sel:[1,0,0] op_sel_hi:[0,1,0]
	s_delay_alu instid0(VALU_DEP_1) | instskip(SKIP_1) | instid1(VALU_DEP_2)
	v_mov_b32_e32 v117, v113
	v_pk_mul_f32 v[112:113], v[114:115], v[104:105] op_sel:[0,1]
	v_pk_add_f32 v[8:9], v[8:9], v[116:117] neg_lo:[0,1] neg_hi:[0,1]
	s_delay_alu instid0(VALU_DEP_2) | instskip(SKIP_1) | instid1(VALU_DEP_1)
	v_pk_fma_f32 v[116:117], v[114:115], v[102:103], v[112:113] op_sel:[0,0,1] op_sel_hi:[1,1,0] neg_lo:[0,0,1] neg_hi:[0,0,1]
	v_pk_fma_f32 v[112:113], v[114:115], v[102:103], v[112:113] op_sel:[0,0,1] op_sel_hi:[1,0,0]
	v_mov_b32_e32 v117, v113
	ds_load_2addr_b64 v[112:115], v106 offset0:45 offset1:46
	v_pk_add_f32 v[28:29], v[28:29], v[116:117] neg_lo:[0,1] neg_hi:[0,1]
	s_wait_dscnt 0x0
	v_pk_mul_f32 v[116:117], v[112:113], v[104:105] op_sel:[0,1]
	s_delay_alu instid0(VALU_DEP_1) | instskip(SKIP_1) | instid1(VALU_DEP_1)
	v_pk_fma_f32 v[118:119], v[112:113], v[102:103], v[116:117] op_sel:[0,0,1] op_sel_hi:[1,1,0] neg_lo:[0,0,1] neg_hi:[0,0,1]
	v_pk_fma_f32 v[112:113], v[112:113], v[102:103], v[116:117] op_sel:[0,0,1] op_sel_hi:[1,0,0]
	v_mov_b32_e32 v119, v113
	v_pk_mul_f32 v[112:113], v[114:115], v[104:105] op_sel:[0,1]
	s_delay_alu instid0(VALU_DEP_2) | instskip(NEXT) | instid1(VALU_DEP_2)
	v_pk_add_f32 v[18:19], v[18:19], v[118:119] neg_lo:[0,1] neg_hi:[0,1]
	v_pk_fma_f32 v[116:117], v[114:115], v[102:103], v[112:113] op_sel:[0,0,1] op_sel_hi:[1,1,0] neg_lo:[0,0,1] neg_hi:[0,0,1]
	v_pk_fma_f32 v[112:113], v[114:115], v[102:103], v[112:113] op_sel:[0,0,1] op_sel_hi:[1,0,0]
	s_delay_alu instid0(VALU_DEP_1) | instskip(SKIP_4) | instid1(VALU_DEP_1)
	v_mov_b32_e32 v117, v113
	ds_load_b64 v[112:113], v106 offset:376
	v_pk_add_f32 v[14:15], v[14:15], v[116:117] neg_lo:[0,1] neg_hi:[0,1]
	s_wait_dscnt 0x0
	v_pk_mul_f32 v[104:105], v[112:113], v[104:105] op_sel:[0,1]
	v_pk_fma_f32 v[114:115], v[112:113], v[102:103], v[104:105] op_sel:[0,0,1] op_sel_hi:[1,1,0] neg_lo:[0,0,1] neg_hi:[0,0,1]
	v_pk_fma_f32 v[102:103], v[112:113], v[102:103], v[104:105] op_sel:[0,0,1] op_sel_hi:[1,0,0]
	s_delay_alu instid0(VALU_DEP_1) | instskip(NEXT) | instid1(VALU_DEP_1)
	v_mov_b32_e32 v115, v103
	v_pk_add_f32 v[100:101], v[100:101], v[114:115] neg_lo:[0,1] neg_hi:[0,1]
.LBB94_524:
	s_or_b32 exec_lo, exec_lo, s0
	v_lshl_add_u32 v102, v110, 3, v106
	s_barrier_signal -1
	s_barrier_wait -1
	ds_store_b64 v102, v[62:63]
	s_wait_dscnt 0x0
	s_barrier_signal -1
	s_barrier_wait -1
	ds_load_b64 v[104:105], v106 offset:200
	v_mov_b32_e32 v102, 25
	s_cmp_lt_i32 s18, 27
	s_cbranch_scc1 .LBB94_527
; %bb.525:
	v_add3_u32 v103, v107, 0, 0xd0
	v_mov_b32_e32 v102, 25
	s_mov_b32 s0, 26
.LBB94_526:                             ; =>This Inner Loop Header: Depth=1
	ds_load_b64 v[112:113], v103
	s_wait_dscnt 0x1
	v_cmp_gt_f32_e32 vcc_lo, 0, v104
	v_cndmask_b32_e64 v114, v104, -v104, vcc_lo
	v_cmp_gt_f32_e32 vcc_lo, 0, v105
	v_cndmask_b32_e64 v116, v105, -v105, vcc_lo
	s_wait_dscnt 0x0
	v_cmp_gt_f32_e32 vcc_lo, 0, v112
	v_cndmask_b32_e64 v115, v112, -v112, vcc_lo
	v_cmp_gt_f32_e32 vcc_lo, 0, v113
	v_cndmask_b32_e64 v117, v113, -v113, vcc_lo
	s_delay_alu instid0(VALU_DEP_1) | instskip(NEXT) | instid1(VALU_DEP_1)
	v_pk_add_f32 v[114:115], v[114:115], v[116:117]
	v_cmp_lt_f32_e32 vcc_lo, v114, v115
	v_dual_add_nc_u32 v103, 8, v103 :: v_dual_cndmask_b32 v105, v105, v113, vcc_lo
	v_cndmask_b32_e32 v104, v104, v112, vcc_lo
	v_cndmask_b32_e64 v102, v102, s0, vcc_lo
	s_add_co_i32 s0, s0, 1
	s_delay_alu instid0(SALU_CYCLE_1)
	s_cmp_lg_u32 s18, s0
	s_cbranch_scc1 .LBB94_526
.LBB94_527:
	s_wait_dscnt 0x0
	v_cmp_eq_f32_e32 vcc_lo, 0, v104
	v_cmp_eq_f32_e64 s0, 0, v105
	s_and_b32 s0, vcc_lo, s0
	s_delay_alu instid0(SALU_CYCLE_1) | instskip(NEXT) | instid1(SALU_CYCLE_1)
	s_and_saveexec_b32 s1, s0
	s_xor_b32 s0, exec_lo, s1
; %bb.528:
	v_cmp_ne_u32_e32 vcc_lo, 0, v108
	v_cndmask_b32_e32 v108, 26, v108, vcc_lo
; %bb.529:
	s_and_not1_saveexec_b32 s0, s0
	s_cbranch_execz .LBB94_535
; %bb.530:
	v_cmp_ngt_f32_e64 s1, |v104|, |v105|
	s_and_saveexec_b32 s12, s1
	s_delay_alu instid0(SALU_CYCLE_1)
	s_xor_b32 s1, exec_lo, s12
	s_cbranch_execz .LBB94_532
; %bb.531:
	v_div_scale_f32 v103, null, v105, v105, v104
	v_div_scale_f32 v113, vcc_lo, v104, v105, v104
	s_delay_alu instid0(VALU_DEP_2) | instskip(SKIP_1) | instid1(TRANS32_DEP_1)
	v_rcp_f32_e32 v111, v103
	v_nop
	v_fma_f32 v112, -v103, v111, 1.0
	s_delay_alu instid0(VALU_DEP_1) | instskip(NEXT) | instid1(VALU_DEP_1)
	v_fmac_f32_e32 v111, v112, v111
	v_mul_f32_e32 v112, v113, v111
	s_delay_alu instid0(VALU_DEP_1) | instskip(NEXT) | instid1(VALU_DEP_1)
	v_fma_f32 v114, -v103, v112, v113
	v_fmac_f32_e32 v112, v114, v111
	s_delay_alu instid0(VALU_DEP_1) | instskip(NEXT) | instid1(VALU_DEP_1)
	v_fma_f32 v103, -v103, v112, v113
	v_div_fmas_f32 v103, v103, v111, v112
	s_delay_alu instid0(VALU_DEP_1) | instskip(NEXT) | instid1(VALU_DEP_1)
	v_div_fixup_f32 v103, v103, v105, v104
	v_fmac_f32_e32 v105, v104, v103
	s_delay_alu instid0(VALU_DEP_1) | instskip(SKIP_1) | instid1(VALU_DEP_2)
	v_div_scale_f32 v104, null, v105, v105, 1.0
	v_div_scale_f32 v113, vcc_lo, 1.0, v105, 1.0
	v_rcp_f32_e32 v111, v104
	v_nop
	s_delay_alu instid0(TRANS32_DEP_1) | instskip(NEXT) | instid1(VALU_DEP_1)
	v_fma_f32 v112, -v104, v111, 1.0
	v_fmac_f32_e32 v111, v112, v111
	s_delay_alu instid0(VALU_DEP_1) | instskip(NEXT) | instid1(VALU_DEP_1)
	v_mul_f32_e32 v112, v113, v111
	v_fma_f32 v114, -v104, v112, v113
	s_delay_alu instid0(VALU_DEP_1) | instskip(NEXT) | instid1(VALU_DEP_1)
	v_fmac_f32_e32 v112, v114, v111
	v_fma_f32 v104, -v104, v112, v113
	s_delay_alu instid0(VALU_DEP_1) | instskip(NEXT) | instid1(VALU_DEP_1)
	v_div_fmas_f32 v104, v104, v111, v112
	v_div_fixup_f32 v105, v104, v105, 1.0
	s_delay_alu instid0(VALU_DEP_1)
	v_mul_f32_e32 v104, v103, v105
	v_xor_b32_e32 v105, 0x80000000, v105
.LBB94_532:
	s_and_not1_saveexec_b32 s1, s1
	s_cbranch_execz .LBB94_534
; %bb.533:
	s_delay_alu instid0(VALU_DEP_1) | instskip(SKIP_1) | instid1(VALU_DEP_2)
	v_div_scale_f32 v103, null, v104, v104, v105
	v_div_scale_f32 v113, vcc_lo, v105, v104, v105
	v_rcp_f32_e32 v111, v103
	v_nop
	s_delay_alu instid0(TRANS32_DEP_1) | instskip(NEXT) | instid1(VALU_DEP_1)
	v_fma_f32 v112, -v103, v111, 1.0
	v_fmac_f32_e32 v111, v112, v111
	s_delay_alu instid0(VALU_DEP_1) | instskip(NEXT) | instid1(VALU_DEP_1)
	v_mul_f32_e32 v112, v113, v111
	v_fma_f32 v114, -v103, v112, v113
	s_delay_alu instid0(VALU_DEP_1) | instskip(NEXT) | instid1(VALU_DEP_1)
	v_fmac_f32_e32 v112, v114, v111
	v_fma_f32 v103, -v103, v112, v113
	s_delay_alu instid0(VALU_DEP_1) | instskip(NEXT) | instid1(VALU_DEP_1)
	v_div_fmas_f32 v103, v103, v111, v112
	v_div_fixup_f32 v103, v103, v104, v105
	s_delay_alu instid0(VALU_DEP_1) | instskip(NEXT) | instid1(VALU_DEP_1)
	v_fmac_f32_e32 v104, v105, v103
	v_div_scale_f32 v105, null, v104, v104, 1.0
	s_delay_alu instid0(VALU_DEP_1) | instskip(SKIP_1) | instid1(TRANS32_DEP_1)
	v_rcp_f32_e32 v111, v105
	v_nop
	v_fma_f32 v112, -v105, v111, 1.0
	s_delay_alu instid0(VALU_DEP_1) | instskip(SKIP_1) | instid1(VALU_DEP_1)
	v_fmac_f32_e32 v111, v112, v111
	v_div_scale_f32 v112, vcc_lo, 1.0, v104, 1.0
	v_mul_f32_e32 v113, v112, v111
	s_delay_alu instid0(VALU_DEP_1) | instskip(NEXT) | instid1(VALU_DEP_1)
	v_fma_f32 v114, -v105, v113, v112
	v_fmac_f32_e32 v113, v114, v111
	s_delay_alu instid0(VALU_DEP_1) | instskip(NEXT) | instid1(VALU_DEP_1)
	v_fma_f32 v105, -v105, v113, v112
	v_div_fmas_f32 v105, v105, v111, v113
	s_delay_alu instid0(VALU_DEP_1) | instskip(NEXT) | instid1(VALU_DEP_1)
	v_div_fixup_f32 v104, v105, v104, 1.0
	v_mul_f32_e64 v105, v103, -v104
.LBB94_534:
	s_or_b32 exec_lo, exec_lo, s1
.LBB94_535:
	s_delay_alu instid0(SALU_CYCLE_1) | instskip(NEXT) | instid1(SALU_CYCLE_1)
	s_or_b32 exec_lo, exec_lo, s0
	s_mov_b32 s0, exec_lo
	v_cmpx_ne_u32_e64 v110, v102
	s_xor_b32 s0, exec_lo, s0
	s_cbranch_execz .LBB94_541
; %bb.536:
	s_mov_b32 s1, exec_lo
	v_cmpx_eq_u32_e32 25, v110
	s_cbranch_execz .LBB94_540
; %bb.537:
	v_cmp_ne_u32_e32 vcc_lo, 25, v102
	s_xor_b32 s12, s16, -1
	s_delay_alu instid0(SALU_CYCLE_1) | instskip(NEXT) | instid1(SALU_CYCLE_1)
	s_and_b32 s13, s12, vcc_lo
	s_and_saveexec_b32 s12, s13
	s_cbranch_execz .LBB94_539
; %bb.538:
	v_ashrrev_i32_e32 v103, 31, v102
	s_delay_alu instid0(VALU_DEP_1)
	v_lshl_add_u64 v[110:111], v[102:103], 2, v[4:5]
	s_clause 0x1
	global_load_b32 v103, v[110:111], off
	global_load_b32 v109, v[4:5], off offset:100
	s_wait_loadcnt 0x1
	global_store_b32 v[4:5], v103, off offset:100
	s_wait_loadcnt 0x0
	global_store_b32 v[110:111], v109, off
.LBB94_539:
	s_wait_xcnt 0x0
	s_or_b32 exec_lo, exec_lo, s12
	v_dual_mov_b32 v110, v102 :: v_dual_mov_b32 v109, v102
.LBB94_540:
	s_or_b32 exec_lo, exec_lo, s1
.LBB94_541:
	s_and_not1_saveexec_b32 s0, s0
	s_cbranch_execz .LBB94_543
; %bb.542:
	v_dual_mov_b32 v102, v64 :: v_dual_mov_b32 v103, v65
	v_dual_mov_b32 v110, v20 :: v_dual_mov_b32 v111, v21
	ds_store_2addr_b64 v106, v[102:103], v[110:111] offset0:26 offset1:27
	v_dual_mov_b32 v102, v54 :: v_dual_mov_b32 v103, v55
	v_dual_mov_b32 v110, v50 :: v_dual_mov_b32 v111, v51
	ds_store_2addr_b64 v106, v[102:103], v[110:111] offset0:28 offset1:29
	;; [unrolled: 3-line block ×10, first 2 shown]
	v_dual_mov_b32 v102, v14 :: v_dual_mov_b32 v103, v15
	v_mov_b32_e32 v110, 25
	ds_store_2addr_b64 v106, v[102:103], v[100:101] offset0:46 offset1:47
.LBB94_543:
	s_or_b32 exec_lo, exec_lo, s0
	s_delay_alu instid0(SALU_CYCLE_1)
	s_mov_b32 s0, exec_lo
	s_wait_storecnt_dscnt 0x0
	s_barrier_signal -1
	s_barrier_wait -1
	v_cmpx_lt_i32_e32 25, v110
	s_cbranch_execz .LBB94_545
; %bb.544:
	v_pk_mul_f32 v[112:113], v[104:105], v[62:63] op_sel:[1,1] op_sel_hi:[0,1]
	s_delay_alu instid0(VALU_DEP_1)
	v_pk_fma_f32 v[102:103], v[104:105], v[62:63], v[112:113] op_sel_hi:[1,0,1] neg_lo:[0,0,1] neg_hi:[0,0,1]
	v_pk_fma_f32 v[104:105], v[104:105], v[62:63], v[112:113] op_sel_hi:[1,0,1]
	ds_load_2addr_b64 v[112:115], v106 offset0:26 offset1:27
	v_dual_mov_b32 v62, v102 :: v_dual_mov_b32 v63, v105
	s_wait_dscnt 0x0
	v_pk_mul_f32 v[116:117], v[112:113], v[104:105] op_sel:[0,1]
	s_delay_alu instid0(VALU_DEP_1) | instskip(SKIP_1) | instid1(VALU_DEP_1)
	v_pk_fma_f32 v[118:119], v[112:113], v[102:103], v[116:117] op_sel:[0,0,1] op_sel_hi:[1,1,0] neg_lo:[0,0,1] neg_hi:[0,0,1]
	v_pk_fma_f32 v[112:113], v[112:113], v[102:103], v[116:117] op_sel:[0,0,1] op_sel_hi:[1,0,0]
	v_mov_b32_e32 v119, v113
	v_pk_mul_f32 v[112:113], v[114:115], v[104:105] op_sel:[0,1]
	s_delay_alu instid0(VALU_DEP_1) | instskip(SKIP_1) | instid1(VALU_DEP_1)
	v_pk_fma_f32 v[116:117], v[114:115], v[102:103], v[112:113] op_sel:[0,0,1] op_sel_hi:[1,1,0] neg_lo:[0,0,1] neg_hi:[0,0,1]
	v_pk_fma_f32 v[112:113], v[114:115], v[102:103], v[112:113] op_sel:[0,0,1] op_sel_hi:[1,0,0]
	v_mov_b32_e32 v117, v113
	ds_load_2addr_b64 v[112:115], v106 offset0:28 offset1:29
	v_pk_add_f32 v[64:65], v[64:65], v[118:119] neg_lo:[0,1] neg_hi:[0,1]
	v_pk_add_f32 v[20:21], v[20:21], v[116:117] neg_lo:[0,1] neg_hi:[0,1]
	s_wait_dscnt 0x0
	v_pk_mul_f32 v[116:117], v[112:113], v[104:105] op_sel:[0,1]
	s_delay_alu instid0(VALU_DEP_1) | instskip(SKIP_2) | instid1(VALU_DEP_2)
	v_pk_fma_f32 v[118:119], v[112:113], v[102:103], v[116:117] op_sel:[0,0,1] op_sel_hi:[1,1,0] neg_lo:[0,0,1] neg_hi:[0,0,1]
	v_pk_fma_f32 v[112:113], v[112:113], v[102:103], v[116:117] op_sel:[0,0,1] op_sel_hi:[1,0,0]
	v_dual_mul_f32 v116, v115, v105 :: v_dual_mov_b32 v112, v115
	v_dual_mov_b32 v119, v113 :: v_dual_mov_b32 v113, v114
	s_delay_alu instid0(VALU_DEP_2) | instskip(SKIP_1) | instid1(VALU_DEP_3)
	v_pk_fma_f32 v[116:117], v[114:115], v[62:63], v[116:117] op_sel_hi:[1,1,0] neg_lo:[0,0,1] neg_hi:[0,0,1]
	v_mul_f32_e32 v114, v115, v102
	v_pk_add_f32 v[54:55], v[54:55], v[118:119] neg_lo:[0,1] neg_hi:[0,1]
	s_delay_alu instid0(VALU_DEP_2) | instskip(NEXT) | instid1(VALU_DEP_1)
	v_pk_fma_f32 v[112:113], v[112:113], v[62:63], v[114:115] op_sel_hi:[1,1,0]
	v_mov_b32_e32 v117, v113
	ds_load_2addr_b64 v[112:115], v106 offset0:30 offset1:31
	v_pk_add_f32 v[50:51], v[50:51], v[116:117] neg_lo:[0,1] neg_hi:[0,1]
	s_wait_dscnt 0x0
	v_pk_mul_f32 v[116:117], v[112:113], v[104:105] op_sel:[0,1]
	s_delay_alu instid0(VALU_DEP_1) | instskip(SKIP_1) | instid1(VALU_DEP_1)
	v_pk_fma_f32 v[118:119], v[112:113], v[102:103], v[116:117] op_sel:[0,0,1] op_sel_hi:[1,1,0] neg_lo:[0,0,1] neg_hi:[0,0,1]
	v_pk_fma_f32 v[112:113], v[112:113], v[102:103], v[116:117] op_sel:[0,0,1] op_sel_hi:[1,0,0]
	v_mov_b32_e32 v119, v113
	v_pk_mul_f32 v[112:113], v[114:115], v[104:105] op_sel:[0,1]
	s_delay_alu instid0(VALU_DEP_1) | instskip(SKIP_1) | instid1(VALU_DEP_1)
	v_pk_fma_f32 v[116:117], v[114:115], v[102:103], v[112:113] op_sel:[0,0,1] op_sel_hi:[1,1,0] neg_lo:[0,0,1] neg_hi:[0,0,1]
	v_pk_fma_f32 v[112:113], v[114:115], v[102:103], v[112:113] op_sel:[0,0,1] op_sel_hi:[1,0,0]
	v_mov_b32_e32 v117, v113
	ds_load_2addr_b64 v[112:115], v106 offset0:32 offset1:33
	v_pk_add_f32 v[52:53], v[52:53], v[118:119] neg_lo:[0,1] neg_hi:[0,1]
	v_pk_add_f32 v[12:13], v[12:13], v[116:117] neg_lo:[0,1] neg_hi:[0,1]
	s_wait_dscnt 0x0
	v_pk_mul_f32 v[116:117], v[112:113], v[104:105] op_sel:[0,1]
	s_delay_alu instid0(VALU_DEP_1) | instskip(SKIP_1) | instid1(VALU_DEP_1)
	v_pk_fma_f32 v[118:119], v[112:113], v[102:103], v[116:117] op_sel:[0,0,1] op_sel_hi:[1,1,0] neg_lo:[0,0,1] neg_hi:[0,0,1]
	v_pk_fma_f32 v[112:113], v[112:113], v[102:103], v[116:117] op_sel:[0,0,1] op_sel_hi:[1,0,0]
	v_mov_b32_e32 v119, v113
	v_pk_mul_f32 v[112:113], v[114:115], v[104:105] op_sel:[0,1]
	s_delay_alu instid0(VALU_DEP_1) | instskip(SKIP_1) | instid1(VALU_DEP_1)
	v_pk_fma_f32 v[116:117], v[114:115], v[102:103], v[112:113] op_sel:[0,0,1] op_sel_hi:[1,1,0] neg_lo:[0,0,1] neg_hi:[0,0,1]
	v_pk_fma_f32 v[112:113], v[114:115], v[102:103], v[112:113] op_sel:[0,0,1] op_sel_hi:[1,0,0]
	v_mov_b32_e32 v117, v113
	ds_load_2addr_b64 v[112:115], v106 offset0:34 offset1:35
	v_pk_add_f32 v[48:49], v[48:49], v[118:119] neg_lo:[0,1] neg_hi:[0,1]
	v_pk_add_f32 v[44:45], v[44:45], v[116:117] neg_lo:[0,1] neg_hi:[0,1]
	s_wait_dscnt 0x0
	v_dual_mul_f32 v116, v113, v105 :: v_dual_mul_f32 v118, v113, v102
	s_delay_alu instid0(VALU_DEP_1) | instskip(NEXT) | instid1(VALU_DEP_2)
	v_pk_fma_f32 v[116:117], v[112:113], v[62:63], v[116:117] op_sel_hi:[1,1,0] neg_lo:[0,0,1] neg_hi:[0,0,1]
	v_pk_fma_f32 v[112:113], v[112:113], v[62:63], v[118:119] op_sel:[1,0,0] op_sel_hi:[0,1,0]
	s_delay_alu instid0(VALU_DEP_1) | instskip(SKIP_1) | instid1(VALU_DEP_2)
	v_mov_b32_e32 v117, v113
	v_pk_mul_f32 v[112:113], v[114:115], v[104:105] op_sel:[0,1]
	v_pk_add_f32 v[46:47], v[46:47], v[116:117] neg_lo:[0,1] neg_hi:[0,1]
	s_delay_alu instid0(VALU_DEP_2) | instskip(SKIP_1) | instid1(VALU_DEP_1)
	v_pk_fma_f32 v[116:117], v[114:115], v[102:103], v[112:113] op_sel:[0,0,1] op_sel_hi:[1,1,0] neg_lo:[0,0,1] neg_hi:[0,0,1]
	v_pk_fma_f32 v[112:113], v[114:115], v[102:103], v[112:113] op_sel:[0,0,1] op_sel_hi:[1,0,0]
	v_mov_b32_e32 v117, v113
	ds_load_2addr_b64 v[112:115], v106 offset0:36 offset1:37
	v_pk_add_f32 v[10:11], v[10:11], v[116:117] neg_lo:[0,1] neg_hi:[0,1]
	s_wait_dscnt 0x0
	v_pk_mul_f32 v[116:117], v[112:113], v[104:105] op_sel:[0,1]
	s_delay_alu instid0(VALU_DEP_1) | instskip(SKIP_1) | instid1(VALU_DEP_1)
	v_pk_fma_f32 v[118:119], v[112:113], v[102:103], v[116:117] op_sel:[0,0,1] op_sel_hi:[1,1,0] neg_lo:[0,0,1] neg_hi:[0,0,1]
	v_pk_fma_f32 v[112:113], v[112:113], v[102:103], v[116:117] op_sel:[0,0,1] op_sel_hi:[1,0,0]
	v_mov_b32_e32 v119, v113
	v_pk_mul_f32 v[112:113], v[114:115], v[104:105] op_sel:[0,1]
	s_delay_alu instid0(VALU_DEP_2) | instskip(NEXT) | instid1(VALU_DEP_2)
	v_pk_add_f32 v[42:43], v[42:43], v[118:119] neg_lo:[0,1] neg_hi:[0,1]
	v_pk_fma_f32 v[116:117], v[114:115], v[102:103], v[112:113] op_sel:[0,0,1] op_sel_hi:[1,1,0] neg_lo:[0,0,1] neg_hi:[0,0,1]
	v_pk_fma_f32 v[112:113], v[114:115], v[102:103], v[112:113] op_sel:[0,0,1] op_sel_hi:[1,0,0]
	s_delay_alu instid0(VALU_DEP_1) | instskip(SKIP_4) | instid1(VALU_DEP_1)
	v_mov_b32_e32 v117, v113
	ds_load_2addr_b64 v[112:115], v106 offset0:38 offset1:39
	v_pk_add_f32 v[38:39], v[38:39], v[116:117] neg_lo:[0,1] neg_hi:[0,1]
	s_wait_dscnt 0x0
	v_pk_mul_f32 v[116:117], v[112:113], v[104:105] op_sel:[0,1]
	v_pk_fma_f32 v[118:119], v[112:113], v[102:103], v[116:117] op_sel:[0,0,1] op_sel_hi:[1,1,0] neg_lo:[0,0,1] neg_hi:[0,0,1]
	v_pk_fma_f32 v[112:113], v[112:113], v[102:103], v[116:117] op_sel:[0,0,1] op_sel_hi:[1,0,0]
	v_dual_mul_f32 v116, v115, v105 :: v_dual_mov_b32 v112, v115
	s_delay_alu instid0(VALU_DEP_2) | instskip(NEXT) | instid1(VALU_DEP_2)
	v_dual_mov_b32 v119, v113 :: v_dual_mov_b32 v113, v114
	v_pk_fma_f32 v[116:117], v[114:115], v[62:63], v[116:117] op_sel_hi:[1,1,0] neg_lo:[0,0,1] neg_hi:[0,0,1]
	v_mul_f32_e32 v114, v115, v102
	s_delay_alu instid0(VALU_DEP_3) | instskip(NEXT) | instid1(VALU_DEP_2)
	v_pk_add_f32 v[40:41], v[40:41], v[118:119] neg_lo:[0,1] neg_hi:[0,1]
	v_pk_fma_f32 v[112:113], v[112:113], v[62:63], v[114:115] op_sel_hi:[1,1,0]
	s_delay_alu instid0(VALU_DEP_1) | instskip(SKIP_4) | instid1(VALU_DEP_1)
	v_mov_b32_e32 v117, v113
	ds_load_2addr_b64 v[112:115], v106 offset0:40 offset1:41
	v_pk_add_f32 v[6:7], v[6:7], v[116:117] neg_lo:[0,1] neg_hi:[0,1]
	s_wait_dscnt 0x0
	v_pk_mul_f32 v[116:117], v[112:113], v[104:105] op_sel:[0,1]
	v_pk_fma_f32 v[118:119], v[112:113], v[102:103], v[116:117] op_sel:[0,0,1] op_sel_hi:[1,1,0] neg_lo:[0,0,1] neg_hi:[0,0,1]
	v_pk_fma_f32 v[112:113], v[112:113], v[102:103], v[116:117] op_sel:[0,0,1] op_sel_hi:[1,0,0]
	s_delay_alu instid0(VALU_DEP_1) | instskip(SKIP_1) | instid1(VALU_DEP_1)
	v_mov_b32_e32 v119, v113
	v_pk_mul_f32 v[112:113], v[114:115], v[104:105] op_sel:[0,1]
	v_pk_fma_f32 v[116:117], v[114:115], v[102:103], v[112:113] op_sel:[0,0,1] op_sel_hi:[1,1,0] neg_lo:[0,0,1] neg_hi:[0,0,1]
	v_pk_fma_f32 v[112:113], v[114:115], v[102:103], v[112:113] op_sel:[0,0,1] op_sel_hi:[1,0,0]
	s_delay_alu instid0(VALU_DEP_1)
	v_mov_b32_e32 v117, v113
	ds_load_2addr_b64 v[112:115], v106 offset0:42 offset1:43
	v_pk_add_f32 v[36:37], v[36:37], v[118:119] neg_lo:[0,1] neg_hi:[0,1]
	v_pk_add_f32 v[30:31], v[30:31], v[116:117] neg_lo:[0,1] neg_hi:[0,1]
	s_wait_dscnt 0x0
	v_pk_mul_f32 v[116:117], v[112:113], v[104:105] op_sel:[0,1]
	s_delay_alu instid0(VALU_DEP_1) | instskip(SKIP_1) | instid1(VALU_DEP_1)
	v_pk_fma_f32 v[118:119], v[112:113], v[102:103], v[116:117] op_sel:[0,0,1] op_sel_hi:[1,1,0] neg_lo:[0,0,1] neg_hi:[0,0,1]
	v_pk_fma_f32 v[112:113], v[112:113], v[102:103], v[116:117] op_sel:[0,0,1] op_sel_hi:[1,0,0]
	v_mov_b32_e32 v119, v113
	v_pk_mul_f32 v[112:113], v[114:115], v[104:105] op_sel:[0,1]
	s_delay_alu instid0(VALU_DEP_1) | instskip(SKIP_1) | instid1(VALU_DEP_1)
	v_pk_fma_f32 v[116:117], v[114:115], v[102:103], v[112:113] op_sel:[0,0,1] op_sel_hi:[1,1,0] neg_lo:[0,0,1] neg_hi:[0,0,1]
	v_pk_fma_f32 v[112:113], v[114:115], v[102:103], v[112:113] op_sel:[0,0,1] op_sel_hi:[1,0,0]
	v_mov_b32_e32 v117, v113
	ds_load_2addr_b64 v[112:115], v106 offset0:44 offset1:45
	v_pk_add_f32 v[34:35], v[34:35], v[118:119] neg_lo:[0,1] neg_hi:[0,1]
	v_pk_add_f32 v[8:9], v[8:9], v[116:117] neg_lo:[0,1] neg_hi:[0,1]
	s_wait_dscnt 0x0
	v_dual_mul_f32 v116, v113, v105 :: v_dual_mul_f32 v118, v113, v102
	s_delay_alu instid0(VALU_DEP_1) | instskip(NEXT) | instid1(VALU_DEP_2)
	v_pk_fma_f32 v[116:117], v[112:113], v[62:63], v[116:117] op_sel_hi:[1,1,0] neg_lo:[0,0,1] neg_hi:[0,0,1]
	v_pk_fma_f32 v[112:113], v[112:113], v[62:63], v[118:119] op_sel:[1,0,0] op_sel_hi:[0,1,0]
	s_delay_alu instid0(VALU_DEP_1) | instskip(SKIP_1) | instid1(VALU_DEP_2)
	v_mov_b32_e32 v117, v113
	v_pk_mul_f32 v[112:113], v[114:115], v[104:105] op_sel:[0,1]
	v_pk_add_f32 v[28:29], v[28:29], v[116:117] neg_lo:[0,1] neg_hi:[0,1]
	s_delay_alu instid0(VALU_DEP_2) | instskip(SKIP_1) | instid1(VALU_DEP_1)
	v_pk_fma_f32 v[116:117], v[114:115], v[102:103], v[112:113] op_sel:[0,0,1] op_sel_hi:[1,1,0] neg_lo:[0,0,1] neg_hi:[0,0,1]
	v_pk_fma_f32 v[112:113], v[114:115], v[102:103], v[112:113] op_sel:[0,0,1] op_sel_hi:[1,0,0]
	v_mov_b32_e32 v117, v113
	ds_load_2addr_b64 v[112:115], v106 offset0:46 offset1:47
	v_pk_add_f32 v[18:19], v[18:19], v[116:117] neg_lo:[0,1] neg_hi:[0,1]
	s_wait_dscnt 0x0
	v_pk_mul_f32 v[116:117], v[112:113], v[104:105] op_sel:[0,1]
	v_pk_mul_f32 v[104:105], v[114:115], v[104:105] op_sel:[0,1]
	s_delay_alu instid0(VALU_DEP_2) | instskip(SKIP_1) | instid1(VALU_DEP_1)
	v_pk_fma_f32 v[118:119], v[112:113], v[102:103], v[116:117] op_sel:[0,0,1] op_sel_hi:[1,1,0] neg_lo:[0,0,1] neg_hi:[0,0,1]
	v_pk_fma_f32 v[112:113], v[112:113], v[102:103], v[116:117] op_sel:[0,0,1] op_sel_hi:[1,0,0]
	v_mov_b32_e32 v119, v113
	s_delay_alu instid0(VALU_DEP_4) | instskip(SKIP_1) | instid1(VALU_DEP_3)
	v_pk_fma_f32 v[112:113], v[114:115], v[102:103], v[104:105] op_sel:[0,0,1] op_sel_hi:[1,1,0] neg_lo:[0,0,1] neg_hi:[0,0,1]
	v_pk_fma_f32 v[102:103], v[114:115], v[102:103], v[104:105] op_sel:[0,0,1] op_sel_hi:[1,0,0]
	v_pk_add_f32 v[14:15], v[14:15], v[118:119] neg_lo:[0,1] neg_hi:[0,1]
	s_delay_alu instid0(VALU_DEP_2) | instskip(NEXT) | instid1(VALU_DEP_1)
	v_mov_b32_e32 v113, v103
	v_pk_add_f32 v[100:101], v[100:101], v[112:113] neg_lo:[0,1] neg_hi:[0,1]
.LBB94_545:
	s_or_b32 exec_lo, exec_lo, s0
	v_lshl_add_u32 v102, v110, 3, v106
	s_barrier_signal -1
	s_barrier_wait -1
	ds_store_b64 v102, v[64:65]
	s_wait_dscnt 0x0
	s_barrier_signal -1
	s_barrier_wait -1
	ds_load_b64 v[104:105], v106 offset:208
	v_mov_b32_e32 v102, 26
	s_cmp_lt_i32 s18, 28
	s_cbranch_scc1 .LBB94_548
; %bb.546:
	v_add3_u32 v103, v107, 0, 0xd8
	v_mov_b32_e32 v102, 26
	s_mov_b32 s0, 27
.LBB94_547:                             ; =>This Inner Loop Header: Depth=1
	ds_load_b64 v[112:113], v103
	s_wait_dscnt 0x1
	v_cmp_gt_f32_e32 vcc_lo, 0, v104
	v_cndmask_b32_e64 v114, v104, -v104, vcc_lo
	v_cmp_gt_f32_e32 vcc_lo, 0, v105
	v_cndmask_b32_e64 v116, v105, -v105, vcc_lo
	s_wait_dscnt 0x0
	v_cmp_gt_f32_e32 vcc_lo, 0, v112
	v_cndmask_b32_e64 v115, v112, -v112, vcc_lo
	v_cmp_gt_f32_e32 vcc_lo, 0, v113
	v_cndmask_b32_e64 v117, v113, -v113, vcc_lo
	s_delay_alu instid0(VALU_DEP_1) | instskip(NEXT) | instid1(VALU_DEP_1)
	v_pk_add_f32 v[114:115], v[114:115], v[116:117]
	v_cmp_lt_f32_e32 vcc_lo, v114, v115
	v_dual_add_nc_u32 v103, 8, v103 :: v_dual_cndmask_b32 v105, v105, v113, vcc_lo
	v_cndmask_b32_e32 v104, v104, v112, vcc_lo
	v_cndmask_b32_e64 v102, v102, s0, vcc_lo
	s_add_co_i32 s0, s0, 1
	s_delay_alu instid0(SALU_CYCLE_1)
	s_cmp_lg_u32 s18, s0
	s_cbranch_scc1 .LBB94_547
.LBB94_548:
	s_wait_dscnt 0x0
	v_cmp_eq_f32_e32 vcc_lo, 0, v104
	v_cmp_eq_f32_e64 s0, 0, v105
	s_and_b32 s0, vcc_lo, s0
	s_delay_alu instid0(SALU_CYCLE_1) | instskip(NEXT) | instid1(SALU_CYCLE_1)
	s_and_saveexec_b32 s1, s0
	s_xor_b32 s0, exec_lo, s1
; %bb.549:
	v_cmp_ne_u32_e32 vcc_lo, 0, v108
	v_cndmask_b32_e32 v108, 27, v108, vcc_lo
; %bb.550:
	s_and_not1_saveexec_b32 s0, s0
	s_cbranch_execz .LBB94_556
; %bb.551:
	v_cmp_ngt_f32_e64 s1, |v104|, |v105|
	s_and_saveexec_b32 s12, s1
	s_delay_alu instid0(SALU_CYCLE_1)
	s_xor_b32 s1, exec_lo, s12
	s_cbranch_execz .LBB94_553
; %bb.552:
	v_div_scale_f32 v103, null, v105, v105, v104
	v_div_scale_f32 v113, vcc_lo, v104, v105, v104
	s_delay_alu instid0(VALU_DEP_2) | instskip(SKIP_1) | instid1(TRANS32_DEP_1)
	v_rcp_f32_e32 v111, v103
	v_nop
	v_fma_f32 v112, -v103, v111, 1.0
	s_delay_alu instid0(VALU_DEP_1) | instskip(NEXT) | instid1(VALU_DEP_1)
	v_fmac_f32_e32 v111, v112, v111
	v_mul_f32_e32 v112, v113, v111
	s_delay_alu instid0(VALU_DEP_1) | instskip(NEXT) | instid1(VALU_DEP_1)
	v_fma_f32 v114, -v103, v112, v113
	v_fmac_f32_e32 v112, v114, v111
	s_delay_alu instid0(VALU_DEP_1) | instskip(NEXT) | instid1(VALU_DEP_1)
	v_fma_f32 v103, -v103, v112, v113
	v_div_fmas_f32 v103, v103, v111, v112
	s_delay_alu instid0(VALU_DEP_1) | instskip(NEXT) | instid1(VALU_DEP_1)
	v_div_fixup_f32 v103, v103, v105, v104
	v_fmac_f32_e32 v105, v104, v103
	s_delay_alu instid0(VALU_DEP_1) | instskip(SKIP_1) | instid1(VALU_DEP_2)
	v_div_scale_f32 v104, null, v105, v105, 1.0
	v_div_scale_f32 v113, vcc_lo, 1.0, v105, 1.0
	v_rcp_f32_e32 v111, v104
	v_nop
	s_delay_alu instid0(TRANS32_DEP_1) | instskip(NEXT) | instid1(VALU_DEP_1)
	v_fma_f32 v112, -v104, v111, 1.0
	v_fmac_f32_e32 v111, v112, v111
	s_delay_alu instid0(VALU_DEP_1) | instskip(NEXT) | instid1(VALU_DEP_1)
	v_mul_f32_e32 v112, v113, v111
	v_fma_f32 v114, -v104, v112, v113
	s_delay_alu instid0(VALU_DEP_1) | instskip(NEXT) | instid1(VALU_DEP_1)
	v_fmac_f32_e32 v112, v114, v111
	v_fma_f32 v104, -v104, v112, v113
	s_delay_alu instid0(VALU_DEP_1) | instskip(NEXT) | instid1(VALU_DEP_1)
	v_div_fmas_f32 v104, v104, v111, v112
	v_div_fixup_f32 v105, v104, v105, 1.0
	s_delay_alu instid0(VALU_DEP_1)
	v_mul_f32_e32 v104, v103, v105
	v_xor_b32_e32 v105, 0x80000000, v105
.LBB94_553:
	s_and_not1_saveexec_b32 s1, s1
	s_cbranch_execz .LBB94_555
; %bb.554:
	s_delay_alu instid0(VALU_DEP_1) | instskip(SKIP_1) | instid1(VALU_DEP_2)
	v_div_scale_f32 v103, null, v104, v104, v105
	v_div_scale_f32 v113, vcc_lo, v105, v104, v105
	v_rcp_f32_e32 v111, v103
	v_nop
	s_delay_alu instid0(TRANS32_DEP_1) | instskip(NEXT) | instid1(VALU_DEP_1)
	v_fma_f32 v112, -v103, v111, 1.0
	v_fmac_f32_e32 v111, v112, v111
	s_delay_alu instid0(VALU_DEP_1) | instskip(NEXT) | instid1(VALU_DEP_1)
	v_mul_f32_e32 v112, v113, v111
	v_fma_f32 v114, -v103, v112, v113
	s_delay_alu instid0(VALU_DEP_1) | instskip(NEXT) | instid1(VALU_DEP_1)
	v_fmac_f32_e32 v112, v114, v111
	v_fma_f32 v103, -v103, v112, v113
	s_delay_alu instid0(VALU_DEP_1) | instskip(NEXT) | instid1(VALU_DEP_1)
	v_div_fmas_f32 v103, v103, v111, v112
	v_div_fixup_f32 v103, v103, v104, v105
	s_delay_alu instid0(VALU_DEP_1) | instskip(NEXT) | instid1(VALU_DEP_1)
	v_fmac_f32_e32 v104, v105, v103
	v_div_scale_f32 v105, null, v104, v104, 1.0
	s_delay_alu instid0(VALU_DEP_1) | instskip(SKIP_1) | instid1(TRANS32_DEP_1)
	v_rcp_f32_e32 v111, v105
	v_nop
	v_fma_f32 v112, -v105, v111, 1.0
	s_delay_alu instid0(VALU_DEP_1) | instskip(SKIP_1) | instid1(VALU_DEP_1)
	v_fmac_f32_e32 v111, v112, v111
	v_div_scale_f32 v112, vcc_lo, 1.0, v104, 1.0
	v_mul_f32_e32 v113, v112, v111
	s_delay_alu instid0(VALU_DEP_1) | instskip(NEXT) | instid1(VALU_DEP_1)
	v_fma_f32 v114, -v105, v113, v112
	v_fmac_f32_e32 v113, v114, v111
	s_delay_alu instid0(VALU_DEP_1) | instskip(NEXT) | instid1(VALU_DEP_1)
	v_fma_f32 v105, -v105, v113, v112
	v_div_fmas_f32 v105, v105, v111, v113
	s_delay_alu instid0(VALU_DEP_1) | instskip(NEXT) | instid1(VALU_DEP_1)
	v_div_fixup_f32 v104, v105, v104, 1.0
	v_mul_f32_e64 v105, v103, -v104
.LBB94_555:
	s_or_b32 exec_lo, exec_lo, s1
.LBB94_556:
	s_delay_alu instid0(SALU_CYCLE_1) | instskip(NEXT) | instid1(SALU_CYCLE_1)
	s_or_b32 exec_lo, exec_lo, s0
	s_mov_b32 s0, exec_lo
	v_cmpx_ne_u32_e64 v110, v102
	s_xor_b32 s0, exec_lo, s0
	s_cbranch_execz .LBB94_562
; %bb.557:
	s_mov_b32 s1, exec_lo
	v_cmpx_eq_u32_e32 26, v110
	s_cbranch_execz .LBB94_561
; %bb.558:
	v_cmp_ne_u32_e32 vcc_lo, 26, v102
	s_xor_b32 s12, s16, -1
	s_delay_alu instid0(SALU_CYCLE_1) | instskip(NEXT) | instid1(SALU_CYCLE_1)
	s_and_b32 s13, s12, vcc_lo
	s_and_saveexec_b32 s12, s13
	s_cbranch_execz .LBB94_560
; %bb.559:
	v_ashrrev_i32_e32 v103, 31, v102
	s_delay_alu instid0(VALU_DEP_1)
	v_lshl_add_u64 v[110:111], v[102:103], 2, v[4:5]
	s_clause 0x1
	global_load_b32 v103, v[110:111], off
	global_load_b32 v109, v[4:5], off offset:104
	s_wait_loadcnt 0x1
	global_store_b32 v[4:5], v103, off offset:104
	s_wait_loadcnt 0x0
	global_store_b32 v[110:111], v109, off
.LBB94_560:
	s_wait_xcnt 0x0
	s_or_b32 exec_lo, exec_lo, s12
	v_dual_mov_b32 v110, v102 :: v_dual_mov_b32 v109, v102
.LBB94_561:
	s_or_b32 exec_lo, exec_lo, s1
.LBB94_562:
	s_and_not1_saveexec_b32 s0, s0
	s_cbranch_execz .LBB94_564
; %bb.563:
	v_mov_b32_e32 v110, 26
	ds_store_2addr_b64 v106, v[20:21], v[54:55] offset0:27 offset1:28
	ds_store_2addr_b64 v106, v[50:51], v[52:53] offset0:29 offset1:30
	;; [unrolled: 1-line block ×10, first 2 shown]
	ds_store_b64 v106, v[100:101] offset:376
.LBB94_564:
	s_or_b32 exec_lo, exec_lo, s0
	s_delay_alu instid0(SALU_CYCLE_1)
	s_mov_b32 s0, exec_lo
	s_wait_storecnt_dscnt 0x0
	s_barrier_signal -1
	s_barrier_wait -1
	v_cmpx_lt_i32_e32 26, v110
	s_cbranch_execz .LBB94_566
; %bb.565:
	v_pk_mul_f32 v[112:113], v[104:105], v[64:65] op_sel:[1,1] op_sel_hi:[0,1]
	s_delay_alu instid0(VALU_DEP_1)
	v_pk_fma_f32 v[102:103], v[104:105], v[64:65], v[112:113] op_sel_hi:[1,0,1] neg_lo:[0,0,1] neg_hi:[0,0,1]
	v_pk_fma_f32 v[104:105], v[104:105], v[64:65], v[112:113] op_sel_hi:[1,0,1]
	ds_load_2addr_b64 v[112:115], v106 offset0:27 offset1:28
	v_dual_mov_b32 v64, v102 :: v_dual_mov_b32 v65, v105
	s_wait_dscnt 0x0
	v_pk_mul_f32 v[116:117], v[112:113], v[104:105] op_sel:[0,1]
	s_delay_alu instid0(VALU_DEP_1) | instskip(SKIP_1) | instid1(VALU_DEP_1)
	v_pk_fma_f32 v[118:119], v[112:113], v[102:103], v[116:117] op_sel:[0,0,1] op_sel_hi:[1,1,0] neg_lo:[0,0,1] neg_hi:[0,0,1]
	v_pk_fma_f32 v[112:113], v[112:113], v[102:103], v[116:117] op_sel:[0,0,1] op_sel_hi:[1,0,0]
	v_mov_b32_e32 v119, v113
	v_pk_mul_f32 v[112:113], v[114:115], v[104:105] op_sel:[0,1]
	s_delay_alu instid0(VALU_DEP_1) | instskip(SKIP_1) | instid1(VALU_DEP_1)
	v_pk_fma_f32 v[116:117], v[114:115], v[102:103], v[112:113] op_sel:[0,0,1] op_sel_hi:[1,1,0] neg_lo:[0,0,1] neg_hi:[0,0,1]
	v_pk_fma_f32 v[112:113], v[114:115], v[102:103], v[112:113] op_sel:[0,0,1] op_sel_hi:[1,0,0]
	v_mov_b32_e32 v117, v113
	ds_load_2addr_b64 v[112:115], v106 offset0:29 offset1:30
	v_pk_add_f32 v[20:21], v[20:21], v[118:119] neg_lo:[0,1] neg_hi:[0,1]
	v_pk_add_f32 v[54:55], v[54:55], v[116:117] neg_lo:[0,1] neg_hi:[0,1]
	s_wait_dscnt 0x0
	v_pk_mul_f32 v[116:117], v[112:113], v[104:105] op_sel:[0,1]
	s_delay_alu instid0(VALU_DEP_1) | instskip(SKIP_2) | instid1(VALU_DEP_2)
	v_pk_fma_f32 v[118:119], v[112:113], v[102:103], v[116:117] op_sel:[0,0,1] op_sel_hi:[1,1,0] neg_lo:[0,0,1] neg_hi:[0,0,1]
	v_pk_fma_f32 v[112:113], v[112:113], v[102:103], v[116:117] op_sel:[0,0,1] op_sel_hi:[1,0,0]
	v_dual_mul_f32 v116, v115, v105 :: v_dual_mov_b32 v112, v115
	v_dual_mov_b32 v119, v113 :: v_dual_mov_b32 v113, v114
	s_delay_alu instid0(VALU_DEP_2) | instskip(SKIP_1) | instid1(VALU_DEP_3)
	v_pk_fma_f32 v[116:117], v[114:115], v[64:65], v[116:117] op_sel_hi:[1,1,0] neg_lo:[0,0,1] neg_hi:[0,0,1]
	v_mul_f32_e32 v114, v115, v102
	v_pk_add_f32 v[50:51], v[50:51], v[118:119] neg_lo:[0,1] neg_hi:[0,1]
	s_delay_alu instid0(VALU_DEP_2) | instskip(NEXT) | instid1(VALU_DEP_1)
	v_pk_fma_f32 v[112:113], v[112:113], v[64:65], v[114:115] op_sel_hi:[1,1,0]
	v_mov_b32_e32 v117, v113
	ds_load_2addr_b64 v[112:115], v106 offset0:31 offset1:32
	v_pk_add_f32 v[52:53], v[52:53], v[116:117] neg_lo:[0,1] neg_hi:[0,1]
	s_wait_dscnt 0x0
	v_pk_mul_f32 v[116:117], v[112:113], v[104:105] op_sel:[0,1]
	s_delay_alu instid0(VALU_DEP_1) | instskip(SKIP_1) | instid1(VALU_DEP_1)
	v_pk_fma_f32 v[118:119], v[112:113], v[102:103], v[116:117] op_sel:[0,0,1] op_sel_hi:[1,1,0] neg_lo:[0,0,1] neg_hi:[0,0,1]
	v_pk_fma_f32 v[112:113], v[112:113], v[102:103], v[116:117] op_sel:[0,0,1] op_sel_hi:[1,0,0]
	v_mov_b32_e32 v119, v113
	v_pk_mul_f32 v[112:113], v[114:115], v[104:105] op_sel:[0,1]
	s_delay_alu instid0(VALU_DEP_1) | instskip(SKIP_1) | instid1(VALU_DEP_1)
	v_pk_fma_f32 v[116:117], v[114:115], v[102:103], v[112:113] op_sel:[0,0,1] op_sel_hi:[1,1,0] neg_lo:[0,0,1] neg_hi:[0,0,1]
	v_pk_fma_f32 v[112:113], v[114:115], v[102:103], v[112:113] op_sel:[0,0,1] op_sel_hi:[1,0,0]
	v_mov_b32_e32 v117, v113
	ds_load_2addr_b64 v[112:115], v106 offset0:33 offset1:34
	v_pk_add_f32 v[12:13], v[12:13], v[118:119] neg_lo:[0,1] neg_hi:[0,1]
	v_pk_add_f32 v[48:49], v[48:49], v[116:117] neg_lo:[0,1] neg_hi:[0,1]
	s_wait_dscnt 0x0
	v_pk_mul_f32 v[116:117], v[112:113], v[104:105] op_sel:[0,1]
	s_delay_alu instid0(VALU_DEP_1) | instskip(SKIP_1) | instid1(VALU_DEP_1)
	v_pk_fma_f32 v[118:119], v[112:113], v[102:103], v[116:117] op_sel:[0,0,1] op_sel_hi:[1,1,0] neg_lo:[0,0,1] neg_hi:[0,0,1]
	v_pk_fma_f32 v[112:113], v[112:113], v[102:103], v[116:117] op_sel:[0,0,1] op_sel_hi:[1,0,0]
	v_mov_b32_e32 v119, v113
	v_pk_mul_f32 v[112:113], v[114:115], v[104:105] op_sel:[0,1]
	s_delay_alu instid0(VALU_DEP_1) | instskip(SKIP_1) | instid1(VALU_DEP_1)
	v_pk_fma_f32 v[116:117], v[114:115], v[102:103], v[112:113] op_sel:[0,0,1] op_sel_hi:[1,1,0] neg_lo:[0,0,1] neg_hi:[0,0,1]
	v_pk_fma_f32 v[112:113], v[114:115], v[102:103], v[112:113] op_sel:[0,0,1] op_sel_hi:[1,0,0]
	v_mov_b32_e32 v117, v113
	ds_load_2addr_b64 v[112:115], v106 offset0:35 offset1:36
	v_pk_add_f32 v[44:45], v[44:45], v[118:119] neg_lo:[0,1] neg_hi:[0,1]
	v_pk_add_f32 v[46:47], v[46:47], v[116:117] neg_lo:[0,1] neg_hi:[0,1]
	s_wait_dscnt 0x0
	v_dual_mul_f32 v116, v113, v105 :: v_dual_mul_f32 v118, v113, v102
	s_delay_alu instid0(VALU_DEP_1) | instskip(NEXT) | instid1(VALU_DEP_2)
	v_pk_fma_f32 v[116:117], v[112:113], v[64:65], v[116:117] op_sel_hi:[1,1,0] neg_lo:[0,0,1] neg_hi:[0,0,1]
	v_pk_fma_f32 v[112:113], v[112:113], v[64:65], v[118:119] op_sel:[1,0,0] op_sel_hi:[0,1,0]
	s_delay_alu instid0(VALU_DEP_1) | instskip(SKIP_1) | instid1(VALU_DEP_2)
	v_mov_b32_e32 v117, v113
	v_pk_mul_f32 v[112:113], v[114:115], v[104:105] op_sel:[0,1]
	v_pk_add_f32 v[10:11], v[10:11], v[116:117] neg_lo:[0,1] neg_hi:[0,1]
	s_delay_alu instid0(VALU_DEP_2) | instskip(SKIP_1) | instid1(VALU_DEP_1)
	v_pk_fma_f32 v[116:117], v[114:115], v[102:103], v[112:113] op_sel:[0,0,1] op_sel_hi:[1,1,0] neg_lo:[0,0,1] neg_hi:[0,0,1]
	v_pk_fma_f32 v[112:113], v[114:115], v[102:103], v[112:113] op_sel:[0,0,1] op_sel_hi:[1,0,0]
	v_mov_b32_e32 v117, v113
	ds_load_2addr_b64 v[112:115], v106 offset0:37 offset1:38
	v_pk_add_f32 v[42:43], v[42:43], v[116:117] neg_lo:[0,1] neg_hi:[0,1]
	s_wait_dscnt 0x0
	v_pk_mul_f32 v[116:117], v[112:113], v[104:105] op_sel:[0,1]
	s_delay_alu instid0(VALU_DEP_1) | instskip(SKIP_1) | instid1(VALU_DEP_1)
	v_pk_fma_f32 v[118:119], v[112:113], v[102:103], v[116:117] op_sel:[0,0,1] op_sel_hi:[1,1,0] neg_lo:[0,0,1] neg_hi:[0,0,1]
	v_pk_fma_f32 v[112:113], v[112:113], v[102:103], v[116:117] op_sel:[0,0,1] op_sel_hi:[1,0,0]
	v_mov_b32_e32 v119, v113
	v_pk_mul_f32 v[112:113], v[114:115], v[104:105] op_sel:[0,1]
	s_delay_alu instid0(VALU_DEP_2) | instskip(NEXT) | instid1(VALU_DEP_2)
	v_pk_add_f32 v[38:39], v[38:39], v[118:119] neg_lo:[0,1] neg_hi:[0,1]
	v_pk_fma_f32 v[116:117], v[114:115], v[102:103], v[112:113] op_sel:[0,0,1] op_sel_hi:[1,1,0] neg_lo:[0,0,1] neg_hi:[0,0,1]
	v_pk_fma_f32 v[112:113], v[114:115], v[102:103], v[112:113] op_sel:[0,0,1] op_sel_hi:[1,0,0]
	s_delay_alu instid0(VALU_DEP_1) | instskip(SKIP_4) | instid1(VALU_DEP_1)
	v_mov_b32_e32 v117, v113
	ds_load_2addr_b64 v[112:115], v106 offset0:39 offset1:40
	v_pk_add_f32 v[40:41], v[40:41], v[116:117] neg_lo:[0,1] neg_hi:[0,1]
	s_wait_dscnt 0x0
	v_pk_mul_f32 v[116:117], v[112:113], v[104:105] op_sel:[0,1]
	v_pk_fma_f32 v[118:119], v[112:113], v[102:103], v[116:117] op_sel:[0,0,1] op_sel_hi:[1,1,0] neg_lo:[0,0,1] neg_hi:[0,0,1]
	v_pk_fma_f32 v[112:113], v[112:113], v[102:103], v[116:117] op_sel:[0,0,1] op_sel_hi:[1,0,0]
	v_dual_mul_f32 v116, v115, v105 :: v_dual_mov_b32 v112, v115
	s_delay_alu instid0(VALU_DEP_2) | instskip(NEXT) | instid1(VALU_DEP_2)
	v_dual_mov_b32 v119, v113 :: v_dual_mov_b32 v113, v114
	v_pk_fma_f32 v[116:117], v[114:115], v[64:65], v[116:117] op_sel_hi:[1,1,0] neg_lo:[0,0,1] neg_hi:[0,0,1]
	v_mul_f32_e32 v114, v115, v102
	s_delay_alu instid0(VALU_DEP_3) | instskip(NEXT) | instid1(VALU_DEP_2)
	v_pk_add_f32 v[6:7], v[6:7], v[118:119] neg_lo:[0,1] neg_hi:[0,1]
	v_pk_fma_f32 v[112:113], v[112:113], v[64:65], v[114:115] op_sel_hi:[1,1,0]
	s_delay_alu instid0(VALU_DEP_1) | instskip(SKIP_4) | instid1(VALU_DEP_1)
	v_mov_b32_e32 v117, v113
	ds_load_2addr_b64 v[112:115], v106 offset0:41 offset1:42
	v_pk_add_f32 v[36:37], v[36:37], v[116:117] neg_lo:[0,1] neg_hi:[0,1]
	s_wait_dscnt 0x0
	v_pk_mul_f32 v[116:117], v[112:113], v[104:105] op_sel:[0,1]
	v_pk_fma_f32 v[118:119], v[112:113], v[102:103], v[116:117] op_sel:[0,0,1] op_sel_hi:[1,1,0] neg_lo:[0,0,1] neg_hi:[0,0,1]
	v_pk_fma_f32 v[112:113], v[112:113], v[102:103], v[116:117] op_sel:[0,0,1] op_sel_hi:[1,0,0]
	s_delay_alu instid0(VALU_DEP_1) | instskip(SKIP_1) | instid1(VALU_DEP_1)
	v_mov_b32_e32 v119, v113
	v_pk_mul_f32 v[112:113], v[114:115], v[104:105] op_sel:[0,1]
	v_pk_fma_f32 v[116:117], v[114:115], v[102:103], v[112:113] op_sel:[0,0,1] op_sel_hi:[1,1,0] neg_lo:[0,0,1] neg_hi:[0,0,1]
	v_pk_fma_f32 v[112:113], v[114:115], v[102:103], v[112:113] op_sel:[0,0,1] op_sel_hi:[1,0,0]
	s_delay_alu instid0(VALU_DEP_1)
	v_mov_b32_e32 v117, v113
	ds_load_2addr_b64 v[112:115], v106 offset0:43 offset1:44
	v_pk_add_f32 v[30:31], v[30:31], v[118:119] neg_lo:[0,1] neg_hi:[0,1]
	v_pk_add_f32 v[34:35], v[34:35], v[116:117] neg_lo:[0,1] neg_hi:[0,1]
	s_wait_dscnt 0x0
	v_pk_mul_f32 v[116:117], v[112:113], v[104:105] op_sel:[0,1]
	s_delay_alu instid0(VALU_DEP_1) | instskip(SKIP_1) | instid1(VALU_DEP_1)
	v_pk_fma_f32 v[118:119], v[112:113], v[102:103], v[116:117] op_sel:[0,0,1] op_sel_hi:[1,1,0] neg_lo:[0,0,1] neg_hi:[0,0,1]
	v_pk_fma_f32 v[112:113], v[112:113], v[102:103], v[116:117] op_sel:[0,0,1] op_sel_hi:[1,0,0]
	v_mov_b32_e32 v119, v113
	v_pk_mul_f32 v[112:113], v[114:115], v[104:105] op_sel:[0,1]
	s_delay_alu instid0(VALU_DEP_1) | instskip(SKIP_1) | instid1(VALU_DEP_1)
	v_pk_fma_f32 v[116:117], v[114:115], v[102:103], v[112:113] op_sel:[0,0,1] op_sel_hi:[1,1,0] neg_lo:[0,0,1] neg_hi:[0,0,1]
	v_pk_fma_f32 v[112:113], v[114:115], v[102:103], v[112:113] op_sel:[0,0,1] op_sel_hi:[1,0,0]
	v_mov_b32_e32 v117, v113
	ds_load_2addr_b64 v[112:115], v106 offset0:45 offset1:46
	v_pk_add_f32 v[8:9], v[8:9], v[118:119] neg_lo:[0,1] neg_hi:[0,1]
	v_pk_add_f32 v[28:29], v[28:29], v[116:117] neg_lo:[0,1] neg_hi:[0,1]
	s_wait_dscnt 0x0
	v_dual_mul_f32 v116, v113, v105 :: v_dual_mul_f32 v118, v113, v102
	s_delay_alu instid0(VALU_DEP_1) | instskip(NEXT) | instid1(VALU_DEP_2)
	v_pk_fma_f32 v[116:117], v[112:113], v[64:65], v[116:117] op_sel_hi:[1,1,0] neg_lo:[0,0,1] neg_hi:[0,0,1]
	v_pk_fma_f32 v[112:113], v[112:113], v[64:65], v[118:119] op_sel:[1,0,0] op_sel_hi:[0,1,0]
	s_delay_alu instid0(VALU_DEP_1) | instskip(SKIP_1) | instid1(VALU_DEP_2)
	v_mov_b32_e32 v117, v113
	v_pk_mul_f32 v[112:113], v[114:115], v[104:105] op_sel:[0,1]
	v_pk_add_f32 v[18:19], v[18:19], v[116:117] neg_lo:[0,1] neg_hi:[0,1]
	s_delay_alu instid0(VALU_DEP_2) | instskip(SKIP_1) | instid1(VALU_DEP_1)
	v_pk_fma_f32 v[116:117], v[114:115], v[102:103], v[112:113] op_sel:[0,0,1] op_sel_hi:[1,1,0] neg_lo:[0,0,1] neg_hi:[0,0,1]
	v_pk_fma_f32 v[112:113], v[114:115], v[102:103], v[112:113] op_sel:[0,0,1] op_sel_hi:[1,0,0]
	v_mov_b32_e32 v117, v113
	ds_load_b64 v[112:113], v106 offset:376
	v_pk_add_f32 v[14:15], v[14:15], v[116:117] neg_lo:[0,1] neg_hi:[0,1]
	s_wait_dscnt 0x0
	v_pk_mul_f32 v[104:105], v[112:113], v[104:105] op_sel:[0,1]
	s_delay_alu instid0(VALU_DEP_1) | instskip(SKIP_1) | instid1(VALU_DEP_1)
	v_pk_fma_f32 v[114:115], v[112:113], v[102:103], v[104:105] op_sel:[0,0,1] op_sel_hi:[1,1,0] neg_lo:[0,0,1] neg_hi:[0,0,1]
	v_pk_fma_f32 v[102:103], v[112:113], v[102:103], v[104:105] op_sel:[0,0,1] op_sel_hi:[1,0,0]
	v_mov_b32_e32 v115, v103
	s_delay_alu instid0(VALU_DEP_1)
	v_pk_add_f32 v[100:101], v[100:101], v[114:115] neg_lo:[0,1] neg_hi:[0,1]
.LBB94_566:
	s_or_b32 exec_lo, exec_lo, s0
	v_lshl_add_u32 v102, v110, 3, v106
	s_barrier_signal -1
	s_barrier_wait -1
	ds_store_b64 v102, v[20:21]
	s_wait_dscnt 0x0
	s_barrier_signal -1
	s_barrier_wait -1
	ds_load_b64 v[104:105], v106 offset:216
	v_mov_b32_e32 v102, 27
	s_cmp_lt_i32 s18, 29
	s_cbranch_scc1 .LBB94_569
; %bb.567:
	v_add3_u32 v103, v107, 0, 0xe0
	v_mov_b32_e32 v102, 27
	s_mov_b32 s0, 28
.LBB94_568:                             ; =>This Inner Loop Header: Depth=1
	ds_load_b64 v[112:113], v103
	s_wait_dscnt 0x1
	v_cmp_gt_f32_e32 vcc_lo, 0, v104
	v_cndmask_b32_e64 v114, v104, -v104, vcc_lo
	v_cmp_gt_f32_e32 vcc_lo, 0, v105
	v_cndmask_b32_e64 v116, v105, -v105, vcc_lo
	s_wait_dscnt 0x0
	v_cmp_gt_f32_e32 vcc_lo, 0, v112
	v_cndmask_b32_e64 v115, v112, -v112, vcc_lo
	v_cmp_gt_f32_e32 vcc_lo, 0, v113
	v_cndmask_b32_e64 v117, v113, -v113, vcc_lo
	s_delay_alu instid0(VALU_DEP_1) | instskip(NEXT) | instid1(VALU_DEP_1)
	v_pk_add_f32 v[114:115], v[114:115], v[116:117]
	v_cmp_lt_f32_e32 vcc_lo, v114, v115
	v_dual_add_nc_u32 v103, 8, v103 :: v_dual_cndmask_b32 v105, v105, v113, vcc_lo
	v_cndmask_b32_e32 v104, v104, v112, vcc_lo
	v_cndmask_b32_e64 v102, v102, s0, vcc_lo
	s_add_co_i32 s0, s0, 1
	s_delay_alu instid0(SALU_CYCLE_1)
	s_cmp_lg_u32 s18, s0
	s_cbranch_scc1 .LBB94_568
.LBB94_569:
	s_wait_dscnt 0x0
	v_cmp_eq_f32_e32 vcc_lo, 0, v104
	v_cmp_eq_f32_e64 s0, 0, v105
	s_and_b32 s0, vcc_lo, s0
	s_delay_alu instid0(SALU_CYCLE_1) | instskip(NEXT) | instid1(SALU_CYCLE_1)
	s_and_saveexec_b32 s1, s0
	s_xor_b32 s0, exec_lo, s1
; %bb.570:
	v_cmp_ne_u32_e32 vcc_lo, 0, v108
	v_cndmask_b32_e32 v108, 28, v108, vcc_lo
; %bb.571:
	s_and_not1_saveexec_b32 s0, s0
	s_cbranch_execz .LBB94_577
; %bb.572:
	v_cmp_ngt_f32_e64 s1, |v104|, |v105|
	s_and_saveexec_b32 s12, s1
	s_delay_alu instid0(SALU_CYCLE_1)
	s_xor_b32 s1, exec_lo, s12
	s_cbranch_execz .LBB94_574
; %bb.573:
	v_div_scale_f32 v103, null, v105, v105, v104
	v_div_scale_f32 v113, vcc_lo, v104, v105, v104
	s_delay_alu instid0(VALU_DEP_2) | instskip(SKIP_1) | instid1(TRANS32_DEP_1)
	v_rcp_f32_e32 v111, v103
	v_nop
	v_fma_f32 v112, -v103, v111, 1.0
	s_delay_alu instid0(VALU_DEP_1) | instskip(NEXT) | instid1(VALU_DEP_1)
	v_fmac_f32_e32 v111, v112, v111
	v_mul_f32_e32 v112, v113, v111
	s_delay_alu instid0(VALU_DEP_1) | instskip(NEXT) | instid1(VALU_DEP_1)
	v_fma_f32 v114, -v103, v112, v113
	v_fmac_f32_e32 v112, v114, v111
	s_delay_alu instid0(VALU_DEP_1) | instskip(NEXT) | instid1(VALU_DEP_1)
	v_fma_f32 v103, -v103, v112, v113
	v_div_fmas_f32 v103, v103, v111, v112
	s_delay_alu instid0(VALU_DEP_1) | instskip(NEXT) | instid1(VALU_DEP_1)
	v_div_fixup_f32 v103, v103, v105, v104
	v_fmac_f32_e32 v105, v104, v103
	s_delay_alu instid0(VALU_DEP_1) | instskip(SKIP_1) | instid1(VALU_DEP_2)
	v_div_scale_f32 v104, null, v105, v105, 1.0
	v_div_scale_f32 v113, vcc_lo, 1.0, v105, 1.0
	v_rcp_f32_e32 v111, v104
	v_nop
	s_delay_alu instid0(TRANS32_DEP_1) | instskip(NEXT) | instid1(VALU_DEP_1)
	v_fma_f32 v112, -v104, v111, 1.0
	v_fmac_f32_e32 v111, v112, v111
	s_delay_alu instid0(VALU_DEP_1) | instskip(NEXT) | instid1(VALU_DEP_1)
	v_mul_f32_e32 v112, v113, v111
	v_fma_f32 v114, -v104, v112, v113
	s_delay_alu instid0(VALU_DEP_1) | instskip(NEXT) | instid1(VALU_DEP_1)
	v_fmac_f32_e32 v112, v114, v111
	v_fma_f32 v104, -v104, v112, v113
	s_delay_alu instid0(VALU_DEP_1) | instskip(NEXT) | instid1(VALU_DEP_1)
	v_div_fmas_f32 v104, v104, v111, v112
	v_div_fixup_f32 v105, v104, v105, 1.0
	s_delay_alu instid0(VALU_DEP_1)
	v_mul_f32_e32 v104, v103, v105
	v_xor_b32_e32 v105, 0x80000000, v105
.LBB94_574:
	s_and_not1_saveexec_b32 s1, s1
	s_cbranch_execz .LBB94_576
; %bb.575:
	s_delay_alu instid0(VALU_DEP_1) | instskip(SKIP_1) | instid1(VALU_DEP_2)
	v_div_scale_f32 v103, null, v104, v104, v105
	v_div_scale_f32 v113, vcc_lo, v105, v104, v105
	v_rcp_f32_e32 v111, v103
	v_nop
	s_delay_alu instid0(TRANS32_DEP_1) | instskip(NEXT) | instid1(VALU_DEP_1)
	v_fma_f32 v112, -v103, v111, 1.0
	v_fmac_f32_e32 v111, v112, v111
	s_delay_alu instid0(VALU_DEP_1) | instskip(NEXT) | instid1(VALU_DEP_1)
	v_mul_f32_e32 v112, v113, v111
	v_fma_f32 v114, -v103, v112, v113
	s_delay_alu instid0(VALU_DEP_1) | instskip(NEXT) | instid1(VALU_DEP_1)
	v_fmac_f32_e32 v112, v114, v111
	v_fma_f32 v103, -v103, v112, v113
	s_delay_alu instid0(VALU_DEP_1) | instskip(NEXT) | instid1(VALU_DEP_1)
	v_div_fmas_f32 v103, v103, v111, v112
	v_div_fixup_f32 v103, v103, v104, v105
	s_delay_alu instid0(VALU_DEP_1) | instskip(NEXT) | instid1(VALU_DEP_1)
	v_fmac_f32_e32 v104, v105, v103
	v_div_scale_f32 v105, null, v104, v104, 1.0
	s_delay_alu instid0(VALU_DEP_1) | instskip(SKIP_1) | instid1(TRANS32_DEP_1)
	v_rcp_f32_e32 v111, v105
	v_nop
	v_fma_f32 v112, -v105, v111, 1.0
	s_delay_alu instid0(VALU_DEP_1) | instskip(SKIP_1) | instid1(VALU_DEP_1)
	v_fmac_f32_e32 v111, v112, v111
	v_div_scale_f32 v112, vcc_lo, 1.0, v104, 1.0
	v_mul_f32_e32 v113, v112, v111
	s_delay_alu instid0(VALU_DEP_1) | instskip(NEXT) | instid1(VALU_DEP_1)
	v_fma_f32 v114, -v105, v113, v112
	v_fmac_f32_e32 v113, v114, v111
	s_delay_alu instid0(VALU_DEP_1) | instskip(NEXT) | instid1(VALU_DEP_1)
	v_fma_f32 v105, -v105, v113, v112
	v_div_fmas_f32 v105, v105, v111, v113
	s_delay_alu instid0(VALU_DEP_1) | instskip(NEXT) | instid1(VALU_DEP_1)
	v_div_fixup_f32 v104, v105, v104, 1.0
	v_mul_f32_e64 v105, v103, -v104
.LBB94_576:
	s_or_b32 exec_lo, exec_lo, s1
.LBB94_577:
	s_delay_alu instid0(SALU_CYCLE_1) | instskip(NEXT) | instid1(SALU_CYCLE_1)
	s_or_b32 exec_lo, exec_lo, s0
	s_mov_b32 s0, exec_lo
	v_cmpx_ne_u32_e64 v110, v102
	s_xor_b32 s0, exec_lo, s0
	s_cbranch_execz .LBB94_583
; %bb.578:
	s_mov_b32 s1, exec_lo
	v_cmpx_eq_u32_e32 27, v110
	s_cbranch_execz .LBB94_582
; %bb.579:
	v_cmp_ne_u32_e32 vcc_lo, 27, v102
	s_xor_b32 s12, s16, -1
	s_delay_alu instid0(SALU_CYCLE_1) | instskip(NEXT) | instid1(SALU_CYCLE_1)
	s_and_b32 s13, s12, vcc_lo
	s_and_saveexec_b32 s12, s13
	s_cbranch_execz .LBB94_581
; %bb.580:
	v_ashrrev_i32_e32 v103, 31, v102
	s_delay_alu instid0(VALU_DEP_1)
	v_lshl_add_u64 v[110:111], v[102:103], 2, v[4:5]
	s_clause 0x1
	global_load_b32 v103, v[110:111], off
	global_load_b32 v109, v[4:5], off offset:108
	s_wait_loadcnt 0x1
	global_store_b32 v[4:5], v103, off offset:108
	s_wait_loadcnt 0x0
	global_store_b32 v[110:111], v109, off
.LBB94_581:
	s_wait_xcnt 0x0
	s_or_b32 exec_lo, exec_lo, s12
	v_dual_mov_b32 v110, v102 :: v_dual_mov_b32 v109, v102
.LBB94_582:
	s_or_b32 exec_lo, exec_lo, s1
.LBB94_583:
	s_and_not1_saveexec_b32 s0, s0
	s_cbranch_execz .LBB94_585
; %bb.584:
	v_dual_mov_b32 v102, v54 :: v_dual_mov_b32 v103, v55
	v_dual_mov_b32 v110, v50 :: v_dual_mov_b32 v111, v51
	ds_store_2addr_b64 v106, v[102:103], v[110:111] offset0:28 offset1:29
	v_dual_mov_b32 v102, v52 :: v_dual_mov_b32 v103, v53
	v_dual_mov_b32 v110, v12 :: v_dual_mov_b32 v111, v13
	ds_store_2addr_b64 v106, v[102:103], v[110:111] offset0:30 offset1:31
	;; [unrolled: 3-line block ×9, first 2 shown]
	v_dual_mov_b32 v102, v14 :: v_dual_mov_b32 v103, v15
	v_mov_b32_e32 v110, 27
	ds_store_2addr_b64 v106, v[102:103], v[100:101] offset0:46 offset1:47
.LBB94_585:
	s_or_b32 exec_lo, exec_lo, s0
	s_delay_alu instid0(SALU_CYCLE_1)
	s_mov_b32 s0, exec_lo
	s_wait_storecnt_dscnt 0x0
	s_barrier_signal -1
	s_barrier_wait -1
	v_cmpx_lt_i32_e32 27, v110
	s_cbranch_execz .LBB94_587
; %bb.586:
	v_pk_mul_f32 v[112:113], v[104:105], v[20:21] op_sel:[1,1] op_sel_hi:[0,1]
	s_delay_alu instid0(VALU_DEP_1)
	v_pk_fma_f32 v[102:103], v[104:105], v[20:21], v[112:113] op_sel_hi:[1,0,1] neg_lo:[0,0,1] neg_hi:[0,0,1]
	v_pk_fma_f32 v[104:105], v[104:105], v[20:21], v[112:113] op_sel_hi:[1,0,1]
	ds_load_2addr_b64 v[112:115], v106 offset0:28 offset1:29
	v_dual_mov_b32 v20, v102 :: v_dual_mov_b32 v21, v105
	s_wait_dscnt 0x0
	v_pk_mul_f32 v[116:117], v[112:113], v[104:105] op_sel:[0,1]
	s_delay_alu instid0(VALU_DEP_1) | instskip(SKIP_1) | instid1(VALU_DEP_1)
	v_pk_fma_f32 v[118:119], v[112:113], v[102:103], v[116:117] op_sel:[0,0,1] op_sel_hi:[1,1,0] neg_lo:[0,0,1] neg_hi:[0,0,1]
	v_pk_fma_f32 v[112:113], v[112:113], v[102:103], v[116:117] op_sel:[0,0,1] op_sel_hi:[1,0,0]
	v_mov_b32_e32 v119, v113
	v_pk_mul_f32 v[112:113], v[114:115], v[104:105] op_sel:[0,1]
	s_delay_alu instid0(VALU_DEP_1) | instskip(SKIP_1) | instid1(VALU_DEP_1)
	v_pk_fma_f32 v[116:117], v[114:115], v[102:103], v[112:113] op_sel:[0,0,1] op_sel_hi:[1,1,0] neg_lo:[0,0,1] neg_hi:[0,0,1]
	v_pk_fma_f32 v[112:113], v[114:115], v[102:103], v[112:113] op_sel:[0,0,1] op_sel_hi:[1,0,0]
	v_mov_b32_e32 v117, v113
	ds_load_2addr_b64 v[112:115], v106 offset0:30 offset1:31
	v_pk_add_f32 v[54:55], v[54:55], v[118:119] neg_lo:[0,1] neg_hi:[0,1]
	v_pk_add_f32 v[50:51], v[50:51], v[116:117] neg_lo:[0,1] neg_hi:[0,1]
	s_wait_dscnt 0x0
	v_pk_mul_f32 v[116:117], v[112:113], v[104:105] op_sel:[0,1]
	s_delay_alu instid0(VALU_DEP_1) | instskip(SKIP_2) | instid1(VALU_DEP_2)
	v_pk_fma_f32 v[118:119], v[112:113], v[102:103], v[116:117] op_sel:[0,0,1] op_sel_hi:[1,1,0] neg_lo:[0,0,1] neg_hi:[0,0,1]
	v_pk_fma_f32 v[112:113], v[112:113], v[102:103], v[116:117] op_sel:[0,0,1] op_sel_hi:[1,0,0]
	v_dual_mul_f32 v116, v115, v105 :: v_dual_mov_b32 v112, v115
	v_dual_mov_b32 v119, v113 :: v_dual_mov_b32 v113, v114
	s_delay_alu instid0(VALU_DEP_2) | instskip(SKIP_1) | instid1(VALU_DEP_3)
	v_pk_fma_f32 v[116:117], v[114:115], v[20:21], v[116:117] op_sel_hi:[1,1,0] neg_lo:[0,0,1] neg_hi:[0,0,1]
	v_mul_f32_e32 v114, v115, v102
	v_pk_add_f32 v[52:53], v[52:53], v[118:119] neg_lo:[0,1] neg_hi:[0,1]
	s_delay_alu instid0(VALU_DEP_2) | instskip(NEXT) | instid1(VALU_DEP_1)
	v_pk_fma_f32 v[112:113], v[112:113], v[20:21], v[114:115] op_sel_hi:[1,1,0]
	v_mov_b32_e32 v117, v113
	ds_load_2addr_b64 v[112:115], v106 offset0:32 offset1:33
	v_pk_add_f32 v[12:13], v[12:13], v[116:117] neg_lo:[0,1] neg_hi:[0,1]
	s_wait_dscnt 0x0
	v_pk_mul_f32 v[116:117], v[112:113], v[104:105] op_sel:[0,1]
	s_delay_alu instid0(VALU_DEP_1) | instskip(SKIP_1) | instid1(VALU_DEP_1)
	v_pk_fma_f32 v[118:119], v[112:113], v[102:103], v[116:117] op_sel:[0,0,1] op_sel_hi:[1,1,0] neg_lo:[0,0,1] neg_hi:[0,0,1]
	v_pk_fma_f32 v[112:113], v[112:113], v[102:103], v[116:117] op_sel:[0,0,1] op_sel_hi:[1,0,0]
	v_mov_b32_e32 v119, v113
	v_pk_mul_f32 v[112:113], v[114:115], v[104:105] op_sel:[0,1]
	s_delay_alu instid0(VALU_DEP_1) | instskip(SKIP_1) | instid1(VALU_DEP_1)
	v_pk_fma_f32 v[116:117], v[114:115], v[102:103], v[112:113] op_sel:[0,0,1] op_sel_hi:[1,1,0] neg_lo:[0,0,1] neg_hi:[0,0,1]
	v_pk_fma_f32 v[112:113], v[114:115], v[102:103], v[112:113] op_sel:[0,0,1] op_sel_hi:[1,0,0]
	v_mov_b32_e32 v117, v113
	ds_load_2addr_b64 v[112:115], v106 offset0:34 offset1:35
	v_pk_add_f32 v[48:49], v[48:49], v[118:119] neg_lo:[0,1] neg_hi:[0,1]
	v_pk_add_f32 v[44:45], v[44:45], v[116:117] neg_lo:[0,1] neg_hi:[0,1]
	s_wait_dscnt 0x0
	v_pk_mul_f32 v[116:117], v[112:113], v[104:105] op_sel:[0,1]
	s_delay_alu instid0(VALU_DEP_1) | instskip(SKIP_1) | instid1(VALU_DEP_1)
	v_pk_fma_f32 v[118:119], v[112:113], v[102:103], v[116:117] op_sel:[0,0,1] op_sel_hi:[1,1,0] neg_lo:[0,0,1] neg_hi:[0,0,1]
	v_pk_fma_f32 v[112:113], v[112:113], v[102:103], v[116:117] op_sel:[0,0,1] op_sel_hi:[1,0,0]
	v_mov_b32_e32 v119, v113
	v_pk_mul_f32 v[112:113], v[114:115], v[104:105] op_sel:[0,1]
	s_delay_alu instid0(VALU_DEP_1) | instskip(SKIP_1) | instid1(VALU_DEP_1)
	v_pk_fma_f32 v[116:117], v[114:115], v[102:103], v[112:113] op_sel:[0,0,1] op_sel_hi:[1,1,0] neg_lo:[0,0,1] neg_hi:[0,0,1]
	v_pk_fma_f32 v[112:113], v[114:115], v[102:103], v[112:113] op_sel:[0,0,1] op_sel_hi:[1,0,0]
	v_mov_b32_e32 v117, v113
	ds_load_2addr_b64 v[112:115], v106 offset0:36 offset1:37
	v_pk_add_f32 v[46:47], v[46:47], v[118:119] neg_lo:[0,1] neg_hi:[0,1]
	v_pk_add_f32 v[10:11], v[10:11], v[116:117] neg_lo:[0,1] neg_hi:[0,1]
	s_wait_dscnt 0x0
	v_dual_mul_f32 v116, v113, v105 :: v_dual_mul_f32 v118, v113, v102
	s_delay_alu instid0(VALU_DEP_1) | instskip(NEXT) | instid1(VALU_DEP_2)
	v_pk_fma_f32 v[116:117], v[112:113], v[20:21], v[116:117] op_sel_hi:[1,1,0] neg_lo:[0,0,1] neg_hi:[0,0,1]
	v_pk_fma_f32 v[112:113], v[112:113], v[20:21], v[118:119] op_sel:[1,0,0] op_sel_hi:[0,1,0]
	s_delay_alu instid0(VALU_DEP_1) | instskip(SKIP_1) | instid1(VALU_DEP_2)
	v_mov_b32_e32 v117, v113
	v_pk_mul_f32 v[112:113], v[114:115], v[104:105] op_sel:[0,1]
	v_pk_add_f32 v[42:43], v[42:43], v[116:117] neg_lo:[0,1] neg_hi:[0,1]
	s_delay_alu instid0(VALU_DEP_2) | instskip(SKIP_1) | instid1(VALU_DEP_1)
	v_pk_fma_f32 v[116:117], v[114:115], v[102:103], v[112:113] op_sel:[0,0,1] op_sel_hi:[1,1,0] neg_lo:[0,0,1] neg_hi:[0,0,1]
	v_pk_fma_f32 v[112:113], v[114:115], v[102:103], v[112:113] op_sel:[0,0,1] op_sel_hi:[1,0,0]
	v_mov_b32_e32 v117, v113
	ds_load_2addr_b64 v[112:115], v106 offset0:38 offset1:39
	v_pk_add_f32 v[38:39], v[38:39], v[116:117] neg_lo:[0,1] neg_hi:[0,1]
	s_wait_dscnt 0x0
	v_pk_mul_f32 v[116:117], v[112:113], v[104:105] op_sel:[0,1]
	s_delay_alu instid0(VALU_DEP_1) | instskip(SKIP_1) | instid1(VALU_DEP_1)
	v_pk_fma_f32 v[118:119], v[112:113], v[102:103], v[116:117] op_sel:[0,0,1] op_sel_hi:[1,1,0] neg_lo:[0,0,1] neg_hi:[0,0,1]
	v_pk_fma_f32 v[112:113], v[112:113], v[102:103], v[116:117] op_sel:[0,0,1] op_sel_hi:[1,0,0]
	v_mov_b32_e32 v119, v113
	v_pk_mul_f32 v[112:113], v[114:115], v[104:105] op_sel:[0,1]
	s_delay_alu instid0(VALU_DEP_2) | instskip(NEXT) | instid1(VALU_DEP_2)
	v_pk_add_f32 v[40:41], v[40:41], v[118:119] neg_lo:[0,1] neg_hi:[0,1]
	v_pk_fma_f32 v[116:117], v[114:115], v[102:103], v[112:113] op_sel:[0,0,1] op_sel_hi:[1,1,0] neg_lo:[0,0,1] neg_hi:[0,0,1]
	v_pk_fma_f32 v[112:113], v[114:115], v[102:103], v[112:113] op_sel:[0,0,1] op_sel_hi:[1,0,0]
	s_delay_alu instid0(VALU_DEP_1) | instskip(SKIP_4) | instid1(VALU_DEP_1)
	v_mov_b32_e32 v117, v113
	ds_load_2addr_b64 v[112:115], v106 offset0:40 offset1:41
	v_pk_add_f32 v[6:7], v[6:7], v[116:117] neg_lo:[0,1] neg_hi:[0,1]
	s_wait_dscnt 0x0
	v_pk_mul_f32 v[116:117], v[112:113], v[104:105] op_sel:[0,1]
	v_pk_fma_f32 v[118:119], v[112:113], v[102:103], v[116:117] op_sel:[0,0,1] op_sel_hi:[1,1,0] neg_lo:[0,0,1] neg_hi:[0,0,1]
	v_pk_fma_f32 v[112:113], v[112:113], v[102:103], v[116:117] op_sel:[0,0,1] op_sel_hi:[1,0,0]
	v_dual_mul_f32 v116, v115, v105 :: v_dual_mov_b32 v112, v115
	s_delay_alu instid0(VALU_DEP_2) | instskip(NEXT) | instid1(VALU_DEP_2)
	v_dual_mov_b32 v119, v113 :: v_dual_mov_b32 v113, v114
	v_pk_fma_f32 v[116:117], v[114:115], v[20:21], v[116:117] op_sel_hi:[1,1,0] neg_lo:[0,0,1] neg_hi:[0,0,1]
	v_mul_f32_e32 v114, v115, v102
	s_delay_alu instid0(VALU_DEP_3) | instskip(NEXT) | instid1(VALU_DEP_2)
	v_pk_add_f32 v[36:37], v[36:37], v[118:119] neg_lo:[0,1] neg_hi:[0,1]
	v_pk_fma_f32 v[112:113], v[112:113], v[20:21], v[114:115] op_sel_hi:[1,1,0]
	s_delay_alu instid0(VALU_DEP_1) | instskip(SKIP_4) | instid1(VALU_DEP_1)
	v_mov_b32_e32 v117, v113
	ds_load_2addr_b64 v[112:115], v106 offset0:42 offset1:43
	v_pk_add_f32 v[30:31], v[30:31], v[116:117] neg_lo:[0,1] neg_hi:[0,1]
	s_wait_dscnt 0x0
	v_pk_mul_f32 v[116:117], v[112:113], v[104:105] op_sel:[0,1]
	v_pk_fma_f32 v[118:119], v[112:113], v[102:103], v[116:117] op_sel:[0,0,1] op_sel_hi:[1,1,0] neg_lo:[0,0,1] neg_hi:[0,0,1]
	v_pk_fma_f32 v[112:113], v[112:113], v[102:103], v[116:117] op_sel:[0,0,1] op_sel_hi:[1,0,0]
	s_delay_alu instid0(VALU_DEP_1) | instskip(SKIP_1) | instid1(VALU_DEP_1)
	v_mov_b32_e32 v119, v113
	v_pk_mul_f32 v[112:113], v[114:115], v[104:105] op_sel:[0,1]
	v_pk_fma_f32 v[116:117], v[114:115], v[102:103], v[112:113] op_sel:[0,0,1] op_sel_hi:[1,1,0] neg_lo:[0,0,1] neg_hi:[0,0,1]
	v_pk_fma_f32 v[112:113], v[114:115], v[102:103], v[112:113] op_sel:[0,0,1] op_sel_hi:[1,0,0]
	s_delay_alu instid0(VALU_DEP_1)
	v_mov_b32_e32 v117, v113
	ds_load_2addr_b64 v[112:115], v106 offset0:44 offset1:45
	v_pk_add_f32 v[34:35], v[34:35], v[118:119] neg_lo:[0,1] neg_hi:[0,1]
	v_pk_add_f32 v[8:9], v[8:9], v[116:117] neg_lo:[0,1] neg_hi:[0,1]
	s_wait_dscnt 0x0
	v_pk_mul_f32 v[116:117], v[112:113], v[104:105] op_sel:[0,1]
	s_delay_alu instid0(VALU_DEP_1) | instskip(SKIP_1) | instid1(VALU_DEP_1)
	v_pk_fma_f32 v[118:119], v[112:113], v[102:103], v[116:117] op_sel:[0,0,1] op_sel_hi:[1,1,0] neg_lo:[0,0,1] neg_hi:[0,0,1]
	v_pk_fma_f32 v[112:113], v[112:113], v[102:103], v[116:117] op_sel:[0,0,1] op_sel_hi:[1,0,0]
	v_mov_b32_e32 v119, v113
	v_pk_mul_f32 v[112:113], v[114:115], v[104:105] op_sel:[0,1]
	s_delay_alu instid0(VALU_DEP_1) | instskip(SKIP_1) | instid1(VALU_DEP_1)
	v_pk_fma_f32 v[116:117], v[114:115], v[102:103], v[112:113] op_sel:[0,0,1] op_sel_hi:[1,1,0] neg_lo:[0,0,1] neg_hi:[0,0,1]
	v_pk_fma_f32 v[112:113], v[114:115], v[102:103], v[112:113] op_sel:[0,0,1] op_sel_hi:[1,0,0]
	v_mov_b32_e32 v117, v113
	ds_load_2addr_b64 v[112:115], v106 offset0:46 offset1:47
	v_pk_add_f32 v[28:29], v[28:29], v[118:119] neg_lo:[0,1] neg_hi:[0,1]
	v_pk_add_f32 v[18:19], v[18:19], v[116:117] neg_lo:[0,1] neg_hi:[0,1]
	s_wait_dscnt 0x0
	v_dual_mul_f32 v116, v113, v105 :: v_dual_mul_f32 v118, v113, v102
	v_pk_mul_f32 v[104:105], v[114:115], v[104:105] op_sel:[0,1]
	s_delay_alu instid0(VALU_DEP_2) | instskip(NEXT) | instid1(VALU_DEP_3)
	v_pk_fma_f32 v[116:117], v[112:113], v[20:21], v[116:117] op_sel_hi:[1,1,0] neg_lo:[0,0,1] neg_hi:[0,0,1]
	v_pk_fma_f32 v[112:113], v[112:113], v[20:21], v[118:119] op_sel:[1,0,0] op_sel_hi:[0,1,0]
	s_delay_alu instid0(VALU_DEP_1) | instskip(NEXT) | instid1(VALU_DEP_4)
	v_mov_b32_e32 v117, v113
	v_pk_fma_f32 v[112:113], v[114:115], v[102:103], v[104:105] op_sel:[0,0,1] op_sel_hi:[1,1,0] neg_lo:[0,0,1] neg_hi:[0,0,1]
	v_pk_fma_f32 v[102:103], v[114:115], v[102:103], v[104:105] op_sel:[0,0,1] op_sel_hi:[1,0,0]
	s_delay_alu instid0(VALU_DEP_1) | instskip(NEXT) | instid1(VALU_DEP_4)
	v_mov_b32_e32 v113, v103
	v_pk_add_f32 v[14:15], v[14:15], v[116:117] neg_lo:[0,1] neg_hi:[0,1]
	s_delay_alu instid0(VALU_DEP_2)
	v_pk_add_f32 v[100:101], v[100:101], v[112:113] neg_lo:[0,1] neg_hi:[0,1]
.LBB94_587:
	s_or_b32 exec_lo, exec_lo, s0
	v_lshl_add_u32 v102, v110, 3, v106
	s_barrier_signal -1
	s_barrier_wait -1
	ds_store_b64 v102, v[54:55]
	s_wait_dscnt 0x0
	s_barrier_signal -1
	s_barrier_wait -1
	ds_load_b64 v[104:105], v106 offset:224
	v_mov_b32_e32 v102, 28
	s_cmp_lt_i32 s18, 30
	s_cbranch_scc1 .LBB94_590
; %bb.588:
	v_add3_u32 v103, v107, 0, 0xe8
	v_mov_b32_e32 v102, 28
	s_mov_b32 s0, 29
.LBB94_589:                             ; =>This Inner Loop Header: Depth=1
	ds_load_b64 v[112:113], v103
	s_wait_dscnt 0x1
	v_cmp_gt_f32_e32 vcc_lo, 0, v104
	v_cndmask_b32_e64 v114, v104, -v104, vcc_lo
	v_cmp_gt_f32_e32 vcc_lo, 0, v105
	v_cndmask_b32_e64 v116, v105, -v105, vcc_lo
	s_wait_dscnt 0x0
	v_cmp_gt_f32_e32 vcc_lo, 0, v112
	v_cndmask_b32_e64 v115, v112, -v112, vcc_lo
	v_cmp_gt_f32_e32 vcc_lo, 0, v113
	v_cndmask_b32_e64 v117, v113, -v113, vcc_lo
	s_delay_alu instid0(VALU_DEP_1) | instskip(NEXT) | instid1(VALU_DEP_1)
	v_pk_add_f32 v[114:115], v[114:115], v[116:117]
	v_cmp_lt_f32_e32 vcc_lo, v114, v115
	v_dual_add_nc_u32 v103, 8, v103 :: v_dual_cndmask_b32 v105, v105, v113, vcc_lo
	v_cndmask_b32_e32 v104, v104, v112, vcc_lo
	v_cndmask_b32_e64 v102, v102, s0, vcc_lo
	s_add_co_i32 s0, s0, 1
	s_delay_alu instid0(SALU_CYCLE_1)
	s_cmp_lg_u32 s18, s0
	s_cbranch_scc1 .LBB94_589
.LBB94_590:
	s_wait_dscnt 0x0
	v_cmp_eq_f32_e32 vcc_lo, 0, v104
	v_cmp_eq_f32_e64 s0, 0, v105
	s_and_b32 s0, vcc_lo, s0
	s_delay_alu instid0(SALU_CYCLE_1) | instskip(NEXT) | instid1(SALU_CYCLE_1)
	s_and_saveexec_b32 s1, s0
	s_xor_b32 s0, exec_lo, s1
; %bb.591:
	v_cmp_ne_u32_e32 vcc_lo, 0, v108
	v_cndmask_b32_e32 v108, 29, v108, vcc_lo
; %bb.592:
	s_and_not1_saveexec_b32 s0, s0
	s_cbranch_execz .LBB94_598
; %bb.593:
	v_cmp_ngt_f32_e64 s1, |v104|, |v105|
	s_and_saveexec_b32 s12, s1
	s_delay_alu instid0(SALU_CYCLE_1)
	s_xor_b32 s1, exec_lo, s12
	s_cbranch_execz .LBB94_595
; %bb.594:
	v_div_scale_f32 v103, null, v105, v105, v104
	v_div_scale_f32 v113, vcc_lo, v104, v105, v104
	s_delay_alu instid0(VALU_DEP_2) | instskip(SKIP_1) | instid1(TRANS32_DEP_1)
	v_rcp_f32_e32 v111, v103
	v_nop
	v_fma_f32 v112, -v103, v111, 1.0
	s_delay_alu instid0(VALU_DEP_1) | instskip(NEXT) | instid1(VALU_DEP_1)
	v_fmac_f32_e32 v111, v112, v111
	v_mul_f32_e32 v112, v113, v111
	s_delay_alu instid0(VALU_DEP_1) | instskip(NEXT) | instid1(VALU_DEP_1)
	v_fma_f32 v114, -v103, v112, v113
	v_fmac_f32_e32 v112, v114, v111
	s_delay_alu instid0(VALU_DEP_1) | instskip(NEXT) | instid1(VALU_DEP_1)
	v_fma_f32 v103, -v103, v112, v113
	v_div_fmas_f32 v103, v103, v111, v112
	s_delay_alu instid0(VALU_DEP_1) | instskip(NEXT) | instid1(VALU_DEP_1)
	v_div_fixup_f32 v103, v103, v105, v104
	v_fmac_f32_e32 v105, v104, v103
	s_delay_alu instid0(VALU_DEP_1) | instskip(SKIP_1) | instid1(VALU_DEP_2)
	v_div_scale_f32 v104, null, v105, v105, 1.0
	v_div_scale_f32 v113, vcc_lo, 1.0, v105, 1.0
	v_rcp_f32_e32 v111, v104
	v_nop
	s_delay_alu instid0(TRANS32_DEP_1) | instskip(NEXT) | instid1(VALU_DEP_1)
	v_fma_f32 v112, -v104, v111, 1.0
	v_fmac_f32_e32 v111, v112, v111
	s_delay_alu instid0(VALU_DEP_1) | instskip(NEXT) | instid1(VALU_DEP_1)
	v_mul_f32_e32 v112, v113, v111
	v_fma_f32 v114, -v104, v112, v113
	s_delay_alu instid0(VALU_DEP_1) | instskip(NEXT) | instid1(VALU_DEP_1)
	v_fmac_f32_e32 v112, v114, v111
	v_fma_f32 v104, -v104, v112, v113
	s_delay_alu instid0(VALU_DEP_1) | instskip(NEXT) | instid1(VALU_DEP_1)
	v_div_fmas_f32 v104, v104, v111, v112
	v_div_fixup_f32 v105, v104, v105, 1.0
	s_delay_alu instid0(VALU_DEP_1)
	v_mul_f32_e32 v104, v103, v105
	v_xor_b32_e32 v105, 0x80000000, v105
.LBB94_595:
	s_and_not1_saveexec_b32 s1, s1
	s_cbranch_execz .LBB94_597
; %bb.596:
	s_delay_alu instid0(VALU_DEP_1) | instskip(SKIP_1) | instid1(VALU_DEP_2)
	v_div_scale_f32 v103, null, v104, v104, v105
	v_div_scale_f32 v113, vcc_lo, v105, v104, v105
	v_rcp_f32_e32 v111, v103
	v_nop
	s_delay_alu instid0(TRANS32_DEP_1) | instskip(NEXT) | instid1(VALU_DEP_1)
	v_fma_f32 v112, -v103, v111, 1.0
	v_fmac_f32_e32 v111, v112, v111
	s_delay_alu instid0(VALU_DEP_1) | instskip(NEXT) | instid1(VALU_DEP_1)
	v_mul_f32_e32 v112, v113, v111
	v_fma_f32 v114, -v103, v112, v113
	s_delay_alu instid0(VALU_DEP_1) | instskip(NEXT) | instid1(VALU_DEP_1)
	v_fmac_f32_e32 v112, v114, v111
	v_fma_f32 v103, -v103, v112, v113
	s_delay_alu instid0(VALU_DEP_1) | instskip(NEXT) | instid1(VALU_DEP_1)
	v_div_fmas_f32 v103, v103, v111, v112
	v_div_fixup_f32 v103, v103, v104, v105
	s_delay_alu instid0(VALU_DEP_1) | instskip(NEXT) | instid1(VALU_DEP_1)
	v_fmac_f32_e32 v104, v105, v103
	v_div_scale_f32 v105, null, v104, v104, 1.0
	s_delay_alu instid0(VALU_DEP_1) | instskip(SKIP_1) | instid1(TRANS32_DEP_1)
	v_rcp_f32_e32 v111, v105
	v_nop
	v_fma_f32 v112, -v105, v111, 1.0
	s_delay_alu instid0(VALU_DEP_1) | instskip(SKIP_1) | instid1(VALU_DEP_1)
	v_fmac_f32_e32 v111, v112, v111
	v_div_scale_f32 v112, vcc_lo, 1.0, v104, 1.0
	v_mul_f32_e32 v113, v112, v111
	s_delay_alu instid0(VALU_DEP_1) | instskip(NEXT) | instid1(VALU_DEP_1)
	v_fma_f32 v114, -v105, v113, v112
	v_fmac_f32_e32 v113, v114, v111
	s_delay_alu instid0(VALU_DEP_1) | instskip(NEXT) | instid1(VALU_DEP_1)
	v_fma_f32 v105, -v105, v113, v112
	v_div_fmas_f32 v105, v105, v111, v113
	s_delay_alu instid0(VALU_DEP_1) | instskip(NEXT) | instid1(VALU_DEP_1)
	v_div_fixup_f32 v104, v105, v104, 1.0
	v_mul_f32_e64 v105, v103, -v104
.LBB94_597:
	s_or_b32 exec_lo, exec_lo, s1
.LBB94_598:
	s_delay_alu instid0(SALU_CYCLE_1) | instskip(NEXT) | instid1(SALU_CYCLE_1)
	s_or_b32 exec_lo, exec_lo, s0
	s_mov_b32 s0, exec_lo
	v_cmpx_ne_u32_e64 v110, v102
	s_xor_b32 s0, exec_lo, s0
	s_cbranch_execz .LBB94_604
; %bb.599:
	s_mov_b32 s1, exec_lo
	v_cmpx_eq_u32_e32 28, v110
	s_cbranch_execz .LBB94_603
; %bb.600:
	v_cmp_ne_u32_e32 vcc_lo, 28, v102
	s_xor_b32 s12, s16, -1
	s_delay_alu instid0(SALU_CYCLE_1) | instskip(NEXT) | instid1(SALU_CYCLE_1)
	s_and_b32 s13, s12, vcc_lo
	s_and_saveexec_b32 s12, s13
	s_cbranch_execz .LBB94_602
; %bb.601:
	v_ashrrev_i32_e32 v103, 31, v102
	s_delay_alu instid0(VALU_DEP_1)
	v_lshl_add_u64 v[110:111], v[102:103], 2, v[4:5]
	s_clause 0x1
	global_load_b32 v103, v[110:111], off
	global_load_b32 v109, v[4:5], off offset:112
	s_wait_loadcnt 0x1
	global_store_b32 v[4:5], v103, off offset:112
	s_wait_loadcnt 0x0
	global_store_b32 v[110:111], v109, off
.LBB94_602:
	s_wait_xcnt 0x0
	s_or_b32 exec_lo, exec_lo, s12
	v_dual_mov_b32 v110, v102 :: v_dual_mov_b32 v109, v102
.LBB94_603:
	s_or_b32 exec_lo, exec_lo, s1
.LBB94_604:
	s_and_not1_saveexec_b32 s0, s0
	s_cbranch_execz .LBB94_606
; %bb.605:
	v_mov_b32_e32 v110, 28
	ds_store_2addr_b64 v106, v[50:51], v[52:53] offset0:29 offset1:30
	ds_store_2addr_b64 v106, v[12:13], v[48:49] offset0:31 offset1:32
	;; [unrolled: 1-line block ×9, first 2 shown]
	ds_store_b64 v106, v[100:101] offset:376
.LBB94_606:
	s_or_b32 exec_lo, exec_lo, s0
	s_delay_alu instid0(SALU_CYCLE_1)
	s_mov_b32 s0, exec_lo
	s_wait_storecnt_dscnt 0x0
	s_barrier_signal -1
	s_barrier_wait -1
	v_cmpx_lt_i32_e32 28, v110
	s_cbranch_execz .LBB94_608
; %bb.607:
	v_pk_mul_f32 v[112:113], v[104:105], v[54:55] op_sel:[1,1] op_sel_hi:[0,1]
	s_delay_alu instid0(VALU_DEP_1)
	v_pk_fma_f32 v[102:103], v[104:105], v[54:55], v[112:113] op_sel_hi:[1,0,1] neg_lo:[0,0,1] neg_hi:[0,0,1]
	v_pk_fma_f32 v[104:105], v[104:105], v[54:55], v[112:113] op_sel_hi:[1,0,1]
	ds_load_2addr_b64 v[112:115], v106 offset0:29 offset1:30
	v_dual_mov_b32 v54, v102 :: v_dual_mov_b32 v55, v105
	s_wait_dscnt 0x0
	v_pk_mul_f32 v[116:117], v[112:113], v[104:105] op_sel:[0,1]
	s_delay_alu instid0(VALU_DEP_1) | instskip(SKIP_1) | instid1(VALU_DEP_1)
	v_pk_fma_f32 v[118:119], v[112:113], v[102:103], v[116:117] op_sel:[0,0,1] op_sel_hi:[1,1,0] neg_lo:[0,0,1] neg_hi:[0,0,1]
	v_pk_fma_f32 v[112:113], v[112:113], v[102:103], v[116:117] op_sel:[0,0,1] op_sel_hi:[1,0,0]
	v_mov_b32_e32 v119, v113
	v_pk_mul_f32 v[112:113], v[114:115], v[104:105] op_sel:[0,1]
	s_delay_alu instid0(VALU_DEP_1) | instskip(SKIP_1) | instid1(VALU_DEP_1)
	v_pk_fma_f32 v[116:117], v[114:115], v[102:103], v[112:113] op_sel:[0,0,1] op_sel_hi:[1,1,0] neg_lo:[0,0,1] neg_hi:[0,0,1]
	v_pk_fma_f32 v[112:113], v[114:115], v[102:103], v[112:113] op_sel:[0,0,1] op_sel_hi:[1,0,0]
	v_mov_b32_e32 v117, v113
	ds_load_2addr_b64 v[112:115], v106 offset0:31 offset1:32
	v_pk_add_f32 v[50:51], v[50:51], v[118:119] neg_lo:[0,1] neg_hi:[0,1]
	v_pk_add_f32 v[52:53], v[52:53], v[116:117] neg_lo:[0,1] neg_hi:[0,1]
	s_wait_dscnt 0x0
	v_pk_mul_f32 v[116:117], v[112:113], v[104:105] op_sel:[0,1]
	s_delay_alu instid0(VALU_DEP_1) | instskip(SKIP_2) | instid1(VALU_DEP_2)
	v_pk_fma_f32 v[118:119], v[112:113], v[102:103], v[116:117] op_sel:[0,0,1] op_sel_hi:[1,1,0] neg_lo:[0,0,1] neg_hi:[0,0,1]
	v_pk_fma_f32 v[112:113], v[112:113], v[102:103], v[116:117] op_sel:[0,0,1] op_sel_hi:[1,0,0]
	v_dual_mul_f32 v116, v115, v105 :: v_dual_mov_b32 v112, v115
	v_dual_mov_b32 v119, v113 :: v_dual_mov_b32 v113, v114
	s_delay_alu instid0(VALU_DEP_2) | instskip(SKIP_1) | instid1(VALU_DEP_3)
	v_pk_fma_f32 v[116:117], v[114:115], v[54:55], v[116:117] op_sel_hi:[1,1,0] neg_lo:[0,0,1] neg_hi:[0,0,1]
	v_mul_f32_e32 v114, v115, v102
	v_pk_add_f32 v[12:13], v[12:13], v[118:119] neg_lo:[0,1] neg_hi:[0,1]
	s_delay_alu instid0(VALU_DEP_2) | instskip(NEXT) | instid1(VALU_DEP_1)
	v_pk_fma_f32 v[112:113], v[112:113], v[54:55], v[114:115] op_sel_hi:[1,1,0]
	v_mov_b32_e32 v117, v113
	ds_load_2addr_b64 v[112:115], v106 offset0:33 offset1:34
	v_pk_add_f32 v[48:49], v[48:49], v[116:117] neg_lo:[0,1] neg_hi:[0,1]
	s_wait_dscnt 0x0
	v_pk_mul_f32 v[116:117], v[112:113], v[104:105] op_sel:[0,1]
	s_delay_alu instid0(VALU_DEP_1) | instskip(SKIP_1) | instid1(VALU_DEP_1)
	v_pk_fma_f32 v[118:119], v[112:113], v[102:103], v[116:117] op_sel:[0,0,1] op_sel_hi:[1,1,0] neg_lo:[0,0,1] neg_hi:[0,0,1]
	v_pk_fma_f32 v[112:113], v[112:113], v[102:103], v[116:117] op_sel:[0,0,1] op_sel_hi:[1,0,0]
	v_mov_b32_e32 v119, v113
	v_pk_mul_f32 v[112:113], v[114:115], v[104:105] op_sel:[0,1]
	s_delay_alu instid0(VALU_DEP_1) | instskip(SKIP_1) | instid1(VALU_DEP_1)
	v_pk_fma_f32 v[116:117], v[114:115], v[102:103], v[112:113] op_sel:[0,0,1] op_sel_hi:[1,1,0] neg_lo:[0,0,1] neg_hi:[0,0,1]
	v_pk_fma_f32 v[112:113], v[114:115], v[102:103], v[112:113] op_sel:[0,0,1] op_sel_hi:[1,0,0]
	v_mov_b32_e32 v117, v113
	ds_load_2addr_b64 v[112:115], v106 offset0:35 offset1:36
	v_pk_add_f32 v[44:45], v[44:45], v[118:119] neg_lo:[0,1] neg_hi:[0,1]
	v_pk_add_f32 v[46:47], v[46:47], v[116:117] neg_lo:[0,1] neg_hi:[0,1]
	s_wait_dscnt 0x0
	v_pk_mul_f32 v[116:117], v[112:113], v[104:105] op_sel:[0,1]
	s_delay_alu instid0(VALU_DEP_1) | instskip(SKIP_1) | instid1(VALU_DEP_1)
	v_pk_fma_f32 v[118:119], v[112:113], v[102:103], v[116:117] op_sel:[0,0,1] op_sel_hi:[1,1,0] neg_lo:[0,0,1] neg_hi:[0,0,1]
	v_pk_fma_f32 v[112:113], v[112:113], v[102:103], v[116:117] op_sel:[0,0,1] op_sel_hi:[1,0,0]
	v_mov_b32_e32 v119, v113
	v_pk_mul_f32 v[112:113], v[114:115], v[104:105] op_sel:[0,1]
	s_delay_alu instid0(VALU_DEP_1) | instskip(SKIP_1) | instid1(VALU_DEP_1)
	v_pk_fma_f32 v[116:117], v[114:115], v[102:103], v[112:113] op_sel:[0,0,1] op_sel_hi:[1,1,0] neg_lo:[0,0,1] neg_hi:[0,0,1]
	v_pk_fma_f32 v[112:113], v[114:115], v[102:103], v[112:113] op_sel:[0,0,1] op_sel_hi:[1,0,0]
	v_mov_b32_e32 v117, v113
	ds_load_2addr_b64 v[112:115], v106 offset0:37 offset1:38
	v_pk_add_f32 v[10:11], v[10:11], v[118:119] neg_lo:[0,1] neg_hi:[0,1]
	v_pk_add_f32 v[42:43], v[42:43], v[116:117] neg_lo:[0,1] neg_hi:[0,1]
	s_wait_dscnt 0x0
	v_dual_mul_f32 v116, v113, v105 :: v_dual_mul_f32 v118, v113, v102
	s_delay_alu instid0(VALU_DEP_1) | instskip(NEXT) | instid1(VALU_DEP_2)
	v_pk_fma_f32 v[116:117], v[112:113], v[54:55], v[116:117] op_sel_hi:[1,1,0] neg_lo:[0,0,1] neg_hi:[0,0,1]
	v_pk_fma_f32 v[112:113], v[112:113], v[54:55], v[118:119] op_sel:[1,0,0] op_sel_hi:[0,1,0]
	s_delay_alu instid0(VALU_DEP_1) | instskip(SKIP_1) | instid1(VALU_DEP_2)
	v_mov_b32_e32 v117, v113
	v_pk_mul_f32 v[112:113], v[114:115], v[104:105] op_sel:[0,1]
	v_pk_add_f32 v[38:39], v[38:39], v[116:117] neg_lo:[0,1] neg_hi:[0,1]
	s_delay_alu instid0(VALU_DEP_2) | instskip(SKIP_1) | instid1(VALU_DEP_1)
	v_pk_fma_f32 v[116:117], v[114:115], v[102:103], v[112:113] op_sel:[0,0,1] op_sel_hi:[1,1,0] neg_lo:[0,0,1] neg_hi:[0,0,1]
	v_pk_fma_f32 v[112:113], v[114:115], v[102:103], v[112:113] op_sel:[0,0,1] op_sel_hi:[1,0,0]
	v_mov_b32_e32 v117, v113
	ds_load_2addr_b64 v[112:115], v106 offset0:39 offset1:40
	v_pk_add_f32 v[40:41], v[40:41], v[116:117] neg_lo:[0,1] neg_hi:[0,1]
	s_wait_dscnt 0x0
	v_pk_mul_f32 v[116:117], v[112:113], v[104:105] op_sel:[0,1]
	s_delay_alu instid0(VALU_DEP_1) | instskip(SKIP_1) | instid1(VALU_DEP_1)
	v_pk_fma_f32 v[118:119], v[112:113], v[102:103], v[116:117] op_sel:[0,0,1] op_sel_hi:[1,1,0] neg_lo:[0,0,1] neg_hi:[0,0,1]
	v_pk_fma_f32 v[112:113], v[112:113], v[102:103], v[116:117] op_sel:[0,0,1] op_sel_hi:[1,0,0]
	v_mov_b32_e32 v119, v113
	v_pk_mul_f32 v[112:113], v[114:115], v[104:105] op_sel:[0,1]
	s_delay_alu instid0(VALU_DEP_2) | instskip(NEXT) | instid1(VALU_DEP_2)
	v_pk_add_f32 v[6:7], v[6:7], v[118:119] neg_lo:[0,1] neg_hi:[0,1]
	v_pk_fma_f32 v[116:117], v[114:115], v[102:103], v[112:113] op_sel:[0,0,1] op_sel_hi:[1,1,0] neg_lo:[0,0,1] neg_hi:[0,0,1]
	v_pk_fma_f32 v[112:113], v[114:115], v[102:103], v[112:113] op_sel:[0,0,1] op_sel_hi:[1,0,0]
	s_delay_alu instid0(VALU_DEP_1) | instskip(SKIP_4) | instid1(VALU_DEP_1)
	v_mov_b32_e32 v117, v113
	ds_load_2addr_b64 v[112:115], v106 offset0:41 offset1:42
	v_pk_add_f32 v[36:37], v[36:37], v[116:117] neg_lo:[0,1] neg_hi:[0,1]
	s_wait_dscnt 0x0
	v_pk_mul_f32 v[116:117], v[112:113], v[104:105] op_sel:[0,1]
	v_pk_fma_f32 v[118:119], v[112:113], v[102:103], v[116:117] op_sel:[0,0,1] op_sel_hi:[1,1,0] neg_lo:[0,0,1] neg_hi:[0,0,1]
	v_pk_fma_f32 v[112:113], v[112:113], v[102:103], v[116:117] op_sel:[0,0,1] op_sel_hi:[1,0,0]
	v_dual_mul_f32 v116, v115, v105 :: v_dual_mov_b32 v112, v115
	s_delay_alu instid0(VALU_DEP_2) | instskip(NEXT) | instid1(VALU_DEP_2)
	v_dual_mov_b32 v119, v113 :: v_dual_mov_b32 v113, v114
	v_pk_fma_f32 v[116:117], v[114:115], v[54:55], v[116:117] op_sel_hi:[1,1,0] neg_lo:[0,0,1] neg_hi:[0,0,1]
	v_mul_f32_e32 v114, v115, v102
	s_delay_alu instid0(VALU_DEP_3) | instskip(NEXT) | instid1(VALU_DEP_2)
	v_pk_add_f32 v[30:31], v[30:31], v[118:119] neg_lo:[0,1] neg_hi:[0,1]
	v_pk_fma_f32 v[112:113], v[112:113], v[54:55], v[114:115] op_sel_hi:[1,1,0]
	s_delay_alu instid0(VALU_DEP_1) | instskip(SKIP_4) | instid1(VALU_DEP_1)
	v_mov_b32_e32 v117, v113
	ds_load_2addr_b64 v[112:115], v106 offset0:43 offset1:44
	v_pk_add_f32 v[34:35], v[34:35], v[116:117] neg_lo:[0,1] neg_hi:[0,1]
	s_wait_dscnt 0x0
	v_pk_mul_f32 v[116:117], v[112:113], v[104:105] op_sel:[0,1]
	v_pk_fma_f32 v[118:119], v[112:113], v[102:103], v[116:117] op_sel:[0,0,1] op_sel_hi:[1,1,0] neg_lo:[0,0,1] neg_hi:[0,0,1]
	v_pk_fma_f32 v[112:113], v[112:113], v[102:103], v[116:117] op_sel:[0,0,1] op_sel_hi:[1,0,0]
	s_delay_alu instid0(VALU_DEP_1) | instskip(SKIP_1) | instid1(VALU_DEP_1)
	v_mov_b32_e32 v119, v113
	v_pk_mul_f32 v[112:113], v[114:115], v[104:105] op_sel:[0,1]
	v_pk_fma_f32 v[116:117], v[114:115], v[102:103], v[112:113] op_sel:[0,0,1] op_sel_hi:[1,1,0] neg_lo:[0,0,1] neg_hi:[0,0,1]
	v_pk_fma_f32 v[112:113], v[114:115], v[102:103], v[112:113] op_sel:[0,0,1] op_sel_hi:[1,0,0]
	s_delay_alu instid0(VALU_DEP_1)
	v_mov_b32_e32 v117, v113
	ds_load_2addr_b64 v[112:115], v106 offset0:45 offset1:46
	v_pk_add_f32 v[8:9], v[8:9], v[118:119] neg_lo:[0,1] neg_hi:[0,1]
	v_pk_add_f32 v[28:29], v[28:29], v[116:117] neg_lo:[0,1] neg_hi:[0,1]
	s_wait_dscnt 0x0
	v_pk_mul_f32 v[116:117], v[112:113], v[104:105] op_sel:[0,1]
	s_delay_alu instid0(VALU_DEP_1) | instskip(SKIP_1) | instid1(VALU_DEP_1)
	v_pk_fma_f32 v[118:119], v[112:113], v[102:103], v[116:117] op_sel:[0,0,1] op_sel_hi:[1,1,0] neg_lo:[0,0,1] neg_hi:[0,0,1]
	v_pk_fma_f32 v[112:113], v[112:113], v[102:103], v[116:117] op_sel:[0,0,1] op_sel_hi:[1,0,0]
	v_mov_b32_e32 v119, v113
	v_pk_mul_f32 v[112:113], v[114:115], v[104:105] op_sel:[0,1]
	s_delay_alu instid0(VALU_DEP_1) | instskip(SKIP_1) | instid1(VALU_DEP_1)
	v_pk_fma_f32 v[116:117], v[114:115], v[102:103], v[112:113] op_sel:[0,0,1] op_sel_hi:[1,1,0] neg_lo:[0,0,1] neg_hi:[0,0,1]
	v_pk_fma_f32 v[112:113], v[114:115], v[102:103], v[112:113] op_sel:[0,0,1] op_sel_hi:[1,0,0]
	v_mov_b32_e32 v117, v113
	ds_load_b64 v[112:113], v106 offset:376
	v_pk_add_f32 v[18:19], v[18:19], v[118:119] neg_lo:[0,1] neg_hi:[0,1]
	v_pk_add_f32 v[14:15], v[14:15], v[116:117] neg_lo:[0,1] neg_hi:[0,1]
	s_wait_dscnt 0x0
	v_pk_mul_f32 v[104:105], v[112:113], v[104:105] op_sel:[0,1]
	s_delay_alu instid0(VALU_DEP_1) | instskip(SKIP_1) | instid1(VALU_DEP_1)
	v_pk_fma_f32 v[114:115], v[112:113], v[102:103], v[104:105] op_sel:[0,0,1] op_sel_hi:[1,1,0] neg_lo:[0,0,1] neg_hi:[0,0,1]
	v_pk_fma_f32 v[102:103], v[112:113], v[102:103], v[104:105] op_sel:[0,0,1] op_sel_hi:[1,0,0]
	v_mov_b32_e32 v115, v103
	s_delay_alu instid0(VALU_DEP_1)
	v_pk_add_f32 v[100:101], v[100:101], v[114:115] neg_lo:[0,1] neg_hi:[0,1]
.LBB94_608:
	s_or_b32 exec_lo, exec_lo, s0
	v_lshl_add_u32 v102, v110, 3, v106
	s_barrier_signal -1
	s_barrier_wait -1
	ds_store_b64 v102, v[50:51]
	s_wait_dscnt 0x0
	s_barrier_signal -1
	s_barrier_wait -1
	ds_load_b64 v[102:103], v106 offset:232
	v_mov_b32_e32 v104, 29
	s_cmp_lt_i32 s18, 31
	s_cbranch_scc1 .LBB94_611
; %bb.609:
	v_add3_u32 v105, v107, 0, 0xf0
	v_mov_b32_e32 v104, 29
	s_mov_b32 s0, 30
.LBB94_610:                             ; =>This Inner Loop Header: Depth=1
	ds_load_b64 v[112:113], v105
	s_wait_dscnt 0x1
	v_cmp_gt_f32_e32 vcc_lo, 0, v102
	v_cndmask_b32_e64 v114, v102, -v102, vcc_lo
	v_cmp_gt_f32_e32 vcc_lo, 0, v103
	v_cndmask_b32_e64 v116, v103, -v103, vcc_lo
	s_wait_dscnt 0x0
	v_cmp_gt_f32_e32 vcc_lo, 0, v112
	v_cndmask_b32_e64 v115, v112, -v112, vcc_lo
	v_cmp_gt_f32_e32 vcc_lo, 0, v113
	v_cndmask_b32_e64 v117, v113, -v113, vcc_lo
	s_delay_alu instid0(VALU_DEP_1) | instskip(NEXT) | instid1(VALU_DEP_1)
	v_pk_add_f32 v[114:115], v[114:115], v[116:117]
	v_cmp_lt_f32_e32 vcc_lo, v114, v115
	v_dual_cndmask_b32 v102, v102, v112 :: v_dual_add_nc_u32 v105, 8, v105
	v_cndmask_b32_e32 v103, v103, v113, vcc_lo
	v_cndmask_b32_e64 v104, v104, s0, vcc_lo
	s_add_co_i32 s0, s0, 1
	s_delay_alu instid0(SALU_CYCLE_1)
	s_cmp_lg_u32 s18, s0
	s_cbranch_scc1 .LBB94_610
.LBB94_611:
	s_wait_dscnt 0x0
	v_cmp_eq_f32_e32 vcc_lo, 0, v102
	v_cmp_eq_f32_e64 s0, 0, v103
	s_and_b32 s0, vcc_lo, s0
	s_delay_alu instid0(SALU_CYCLE_1) | instskip(NEXT) | instid1(SALU_CYCLE_1)
	s_and_saveexec_b32 s1, s0
	s_xor_b32 s0, exec_lo, s1
; %bb.612:
	v_cmp_ne_u32_e32 vcc_lo, 0, v108
	v_cndmask_b32_e32 v108, 30, v108, vcc_lo
; %bb.613:
	s_and_not1_saveexec_b32 s0, s0
	s_cbranch_execz .LBB94_619
; %bb.614:
	v_cmp_ngt_f32_e64 s1, |v102|, |v103|
	s_and_saveexec_b32 s12, s1
	s_delay_alu instid0(SALU_CYCLE_1)
	s_xor_b32 s1, exec_lo, s12
	s_cbranch_execz .LBB94_616
; %bb.615:
	v_div_scale_f32 v105, null, v103, v103, v102
	v_div_scale_f32 v113, vcc_lo, v102, v103, v102
	s_delay_alu instid0(VALU_DEP_2) | instskip(SKIP_1) | instid1(TRANS32_DEP_1)
	v_rcp_f32_e32 v111, v105
	v_nop
	v_fma_f32 v112, -v105, v111, 1.0
	s_delay_alu instid0(VALU_DEP_1) | instskip(NEXT) | instid1(VALU_DEP_1)
	v_fmac_f32_e32 v111, v112, v111
	v_mul_f32_e32 v112, v113, v111
	s_delay_alu instid0(VALU_DEP_1) | instskip(NEXT) | instid1(VALU_DEP_1)
	v_fma_f32 v114, -v105, v112, v113
	v_fmac_f32_e32 v112, v114, v111
	s_delay_alu instid0(VALU_DEP_1) | instskip(NEXT) | instid1(VALU_DEP_1)
	v_fma_f32 v105, -v105, v112, v113
	v_div_fmas_f32 v105, v105, v111, v112
	s_delay_alu instid0(VALU_DEP_1) | instskip(NEXT) | instid1(VALU_DEP_1)
	v_div_fixup_f32 v105, v105, v103, v102
	v_fmac_f32_e32 v103, v102, v105
	s_delay_alu instid0(VALU_DEP_1) | instskip(SKIP_1) | instid1(VALU_DEP_2)
	v_div_scale_f32 v102, null, v103, v103, 1.0
	v_div_scale_f32 v113, vcc_lo, 1.0, v103, 1.0
	v_rcp_f32_e32 v111, v102
	v_nop
	s_delay_alu instid0(TRANS32_DEP_1) | instskip(NEXT) | instid1(VALU_DEP_1)
	v_fma_f32 v112, -v102, v111, 1.0
	v_fmac_f32_e32 v111, v112, v111
	s_delay_alu instid0(VALU_DEP_1) | instskip(NEXT) | instid1(VALU_DEP_1)
	v_mul_f32_e32 v112, v113, v111
	v_fma_f32 v114, -v102, v112, v113
	s_delay_alu instid0(VALU_DEP_1) | instskip(NEXT) | instid1(VALU_DEP_1)
	v_fmac_f32_e32 v112, v114, v111
	v_fma_f32 v102, -v102, v112, v113
	s_delay_alu instid0(VALU_DEP_1) | instskip(NEXT) | instid1(VALU_DEP_1)
	v_div_fmas_f32 v102, v102, v111, v112
	v_div_fixup_f32 v103, v102, v103, 1.0
	s_delay_alu instid0(VALU_DEP_1)
	v_mul_f32_e32 v102, v105, v103
	v_xor_b32_e32 v103, 0x80000000, v103
.LBB94_616:
	s_and_not1_saveexec_b32 s1, s1
	s_cbranch_execz .LBB94_618
; %bb.617:
	s_delay_alu instid0(VALU_DEP_1) | instskip(SKIP_1) | instid1(VALU_DEP_2)
	v_div_scale_f32 v105, null, v102, v102, v103
	v_div_scale_f32 v113, vcc_lo, v103, v102, v103
	v_rcp_f32_e32 v111, v105
	v_nop
	s_delay_alu instid0(TRANS32_DEP_1) | instskip(NEXT) | instid1(VALU_DEP_1)
	v_fma_f32 v112, -v105, v111, 1.0
	v_fmac_f32_e32 v111, v112, v111
	s_delay_alu instid0(VALU_DEP_1) | instskip(NEXT) | instid1(VALU_DEP_1)
	v_mul_f32_e32 v112, v113, v111
	v_fma_f32 v114, -v105, v112, v113
	s_delay_alu instid0(VALU_DEP_1) | instskip(NEXT) | instid1(VALU_DEP_1)
	v_fmac_f32_e32 v112, v114, v111
	v_fma_f32 v105, -v105, v112, v113
	s_delay_alu instid0(VALU_DEP_1) | instskip(NEXT) | instid1(VALU_DEP_1)
	v_div_fmas_f32 v105, v105, v111, v112
	v_div_fixup_f32 v105, v105, v102, v103
	s_delay_alu instid0(VALU_DEP_1) | instskip(NEXT) | instid1(VALU_DEP_1)
	v_fmac_f32_e32 v102, v103, v105
	v_div_scale_f32 v103, null, v102, v102, 1.0
	s_delay_alu instid0(VALU_DEP_1) | instskip(SKIP_1) | instid1(TRANS32_DEP_1)
	v_rcp_f32_e32 v111, v103
	v_nop
	v_fma_f32 v112, -v103, v111, 1.0
	s_delay_alu instid0(VALU_DEP_1) | instskip(SKIP_1) | instid1(VALU_DEP_1)
	v_fmac_f32_e32 v111, v112, v111
	v_div_scale_f32 v112, vcc_lo, 1.0, v102, 1.0
	v_mul_f32_e32 v113, v112, v111
	s_delay_alu instid0(VALU_DEP_1) | instskip(NEXT) | instid1(VALU_DEP_1)
	v_fma_f32 v114, -v103, v113, v112
	v_fmac_f32_e32 v113, v114, v111
	s_delay_alu instid0(VALU_DEP_1) | instskip(NEXT) | instid1(VALU_DEP_1)
	v_fma_f32 v103, -v103, v113, v112
	v_div_fmas_f32 v103, v103, v111, v113
	s_delay_alu instid0(VALU_DEP_1) | instskip(NEXT) | instid1(VALU_DEP_1)
	v_div_fixup_f32 v102, v103, v102, 1.0
	v_mul_f32_e64 v103, v105, -v102
.LBB94_618:
	s_or_b32 exec_lo, exec_lo, s1
.LBB94_619:
	s_delay_alu instid0(SALU_CYCLE_1) | instskip(NEXT) | instid1(SALU_CYCLE_1)
	s_or_b32 exec_lo, exec_lo, s0
	s_mov_b32 s0, exec_lo
	v_cmpx_ne_u32_e64 v110, v104
	s_xor_b32 s0, exec_lo, s0
	s_cbranch_execz .LBB94_625
; %bb.620:
	s_mov_b32 s1, exec_lo
	v_cmpx_eq_u32_e32 29, v110
	s_cbranch_execz .LBB94_624
; %bb.621:
	v_cmp_ne_u32_e32 vcc_lo, 29, v104
	s_xor_b32 s12, s16, -1
	s_delay_alu instid0(SALU_CYCLE_1) | instskip(NEXT) | instid1(SALU_CYCLE_1)
	s_and_b32 s13, s12, vcc_lo
	s_and_saveexec_b32 s12, s13
	s_cbranch_execz .LBB94_623
; %bb.622:
	v_ashrrev_i32_e32 v105, 31, v104
	s_delay_alu instid0(VALU_DEP_1)
	v_lshl_add_u64 v[110:111], v[104:105], 2, v[4:5]
	s_clause 0x1
	global_load_b32 v105, v[110:111], off
	global_load_b32 v109, v[4:5], off offset:116
	s_wait_loadcnt 0x1
	global_store_b32 v[4:5], v105, off offset:116
	s_wait_loadcnt 0x0
	global_store_b32 v[110:111], v109, off
.LBB94_623:
	s_wait_xcnt 0x0
	s_or_b32 exec_lo, exec_lo, s12
	v_dual_mov_b32 v110, v104 :: v_dual_mov_b32 v109, v104
.LBB94_624:
	s_or_b32 exec_lo, exec_lo, s1
.LBB94_625:
	s_and_not1_saveexec_b32 s0, s0
	s_cbranch_execz .LBB94_627
; %bb.626:
	v_dual_mov_b32 v104, v52 :: v_dual_mov_b32 v105, v53
	v_dual_mov_b32 v110, v12 :: v_dual_mov_b32 v111, v13
	v_dual_mov_b32 v112, v48 :: v_dual_mov_b32 v113, v49
	v_dual_mov_b32 v114, v44 :: v_dual_mov_b32 v115, v45
	v_dual_mov_b32 v116, v46 :: v_dual_mov_b32 v117, v47
	v_dual_mov_b32 v118, v10 :: v_dual_mov_b32 v119, v11
	v_dual_mov_b32 v120, v42 :: v_dual_mov_b32 v121, v43
	v_dual_mov_b32 v122, v38 :: v_dual_mov_b32 v123, v39
	ds_store_2addr_b64 v106, v[104:105], v[110:111] offset0:30 offset1:31
	ds_store_2addr_b64 v106, v[112:113], v[114:115] offset0:32 offset1:33
	;; [unrolled: 1-line block ×4, first 2 shown]
	v_dual_mov_b32 v104, v40 :: v_dual_mov_b32 v105, v41
	v_dual_mov_b32 v112, v6 :: v_dual_mov_b32 v113, v7
	;; [unrolled: 1-line block ×9, first 2 shown]
	v_mov_b32_e32 v127, v15
	ds_store_2addr_b64 v106, v[104:105], v[112:113] offset0:38 offset1:39
	ds_store_2addr_b64 v106, v[114:115], v[116:117] offset0:40 offset1:41
	ds_store_2addr_b64 v106, v[118:119], v[120:121] offset0:42 offset1:43
	ds_store_2addr_b64 v106, v[122:123], v[124:125] offset0:44 offset1:45
	ds_store_2addr_b64 v106, v[126:127], v[100:101] offset0:46 offset1:47
.LBB94_627:
	s_or_b32 exec_lo, exec_lo, s0
	s_delay_alu instid0(SALU_CYCLE_1)
	s_mov_b32 s0, exec_lo
	s_wait_storecnt_dscnt 0x0
	s_barrier_signal -1
	s_barrier_wait -1
	v_cmpx_lt_i32_e32 29, v110
	s_cbranch_execz .LBB94_629
; %bb.628:
	v_pk_mul_f32 v[112:113], v[102:103], v[50:51] op_sel:[1,1] op_sel_hi:[0,1]
	s_delay_alu instid0(VALU_DEP_1)
	v_pk_fma_f32 v[104:105], v[102:103], v[50:51], v[112:113] op_sel_hi:[1,0,1] neg_lo:[0,0,1] neg_hi:[0,0,1]
	v_pk_fma_f32 v[102:103], v[102:103], v[50:51], v[112:113] op_sel_hi:[1,0,1]
	ds_load_2addr_b64 v[112:115], v106 offset0:30 offset1:31
	v_dual_mov_b32 v50, v104 :: v_dual_mov_b32 v51, v103
	s_wait_dscnt 0x0
	v_pk_mul_f32 v[116:117], v[112:113], v[102:103] op_sel:[0,1]
	s_delay_alu instid0(VALU_DEP_1) | instskip(SKIP_1) | instid1(VALU_DEP_1)
	v_pk_fma_f32 v[118:119], v[112:113], v[104:105], v[116:117] op_sel:[0,0,1] op_sel_hi:[1,1,0] neg_lo:[0,0,1] neg_hi:[0,0,1]
	v_pk_fma_f32 v[112:113], v[112:113], v[104:105], v[116:117] op_sel:[0,0,1] op_sel_hi:[1,0,0]
	v_mov_b32_e32 v119, v113
	v_pk_mul_f32 v[112:113], v[114:115], v[102:103] op_sel:[0,1]
	s_delay_alu instid0(VALU_DEP_1) | instskip(SKIP_1) | instid1(VALU_DEP_1)
	v_pk_fma_f32 v[116:117], v[114:115], v[104:105], v[112:113] op_sel:[0,0,1] op_sel_hi:[1,1,0] neg_lo:[0,0,1] neg_hi:[0,0,1]
	v_pk_fma_f32 v[112:113], v[114:115], v[104:105], v[112:113] op_sel:[0,0,1] op_sel_hi:[1,0,0]
	v_mov_b32_e32 v117, v113
	ds_load_2addr_b64 v[112:115], v106 offset0:32 offset1:33
	v_pk_add_f32 v[52:53], v[52:53], v[118:119] neg_lo:[0,1] neg_hi:[0,1]
	v_pk_add_f32 v[12:13], v[12:13], v[116:117] neg_lo:[0,1] neg_hi:[0,1]
	s_wait_dscnt 0x0
	v_pk_mul_f32 v[116:117], v[112:113], v[102:103] op_sel:[0,1]
	s_delay_alu instid0(VALU_DEP_1) | instskip(SKIP_2) | instid1(VALU_DEP_2)
	v_pk_fma_f32 v[118:119], v[112:113], v[104:105], v[116:117] op_sel:[0,0,1] op_sel_hi:[1,1,0] neg_lo:[0,0,1] neg_hi:[0,0,1]
	v_pk_fma_f32 v[112:113], v[112:113], v[104:105], v[116:117] op_sel:[0,0,1] op_sel_hi:[1,0,0]
	v_dual_mul_f32 v116, v115, v103 :: v_dual_mov_b32 v112, v115
	v_dual_mov_b32 v119, v113 :: v_dual_mov_b32 v113, v114
	s_delay_alu instid0(VALU_DEP_2) | instskip(SKIP_1) | instid1(VALU_DEP_3)
	v_pk_fma_f32 v[116:117], v[114:115], v[50:51], v[116:117] op_sel_hi:[1,1,0] neg_lo:[0,0,1] neg_hi:[0,0,1]
	v_mul_f32_e32 v114, v115, v104
	v_pk_add_f32 v[48:49], v[48:49], v[118:119] neg_lo:[0,1] neg_hi:[0,1]
	s_delay_alu instid0(VALU_DEP_2) | instskip(NEXT) | instid1(VALU_DEP_1)
	v_pk_fma_f32 v[112:113], v[112:113], v[50:51], v[114:115] op_sel_hi:[1,1,0]
	v_mov_b32_e32 v117, v113
	ds_load_2addr_b64 v[112:115], v106 offset0:34 offset1:35
	v_pk_add_f32 v[44:45], v[44:45], v[116:117] neg_lo:[0,1] neg_hi:[0,1]
	s_wait_dscnt 0x0
	v_pk_mul_f32 v[116:117], v[112:113], v[102:103] op_sel:[0,1]
	s_delay_alu instid0(VALU_DEP_1) | instskip(SKIP_1) | instid1(VALU_DEP_1)
	v_pk_fma_f32 v[118:119], v[112:113], v[104:105], v[116:117] op_sel:[0,0,1] op_sel_hi:[1,1,0] neg_lo:[0,0,1] neg_hi:[0,0,1]
	v_pk_fma_f32 v[112:113], v[112:113], v[104:105], v[116:117] op_sel:[0,0,1] op_sel_hi:[1,0,0]
	v_mov_b32_e32 v119, v113
	v_pk_mul_f32 v[112:113], v[114:115], v[102:103] op_sel:[0,1]
	s_delay_alu instid0(VALU_DEP_1) | instskip(SKIP_1) | instid1(VALU_DEP_1)
	v_pk_fma_f32 v[116:117], v[114:115], v[104:105], v[112:113] op_sel:[0,0,1] op_sel_hi:[1,1,0] neg_lo:[0,0,1] neg_hi:[0,0,1]
	v_pk_fma_f32 v[112:113], v[114:115], v[104:105], v[112:113] op_sel:[0,0,1] op_sel_hi:[1,0,0]
	v_mov_b32_e32 v117, v113
	ds_load_2addr_b64 v[112:115], v106 offset0:36 offset1:37
	v_pk_add_f32 v[46:47], v[46:47], v[118:119] neg_lo:[0,1] neg_hi:[0,1]
	v_pk_add_f32 v[10:11], v[10:11], v[116:117] neg_lo:[0,1] neg_hi:[0,1]
	s_wait_dscnt 0x0
	v_pk_mul_f32 v[116:117], v[112:113], v[102:103] op_sel:[0,1]
	s_delay_alu instid0(VALU_DEP_1) | instskip(SKIP_1) | instid1(VALU_DEP_1)
	v_pk_fma_f32 v[118:119], v[112:113], v[104:105], v[116:117] op_sel:[0,0,1] op_sel_hi:[1,1,0] neg_lo:[0,0,1] neg_hi:[0,0,1]
	v_pk_fma_f32 v[112:113], v[112:113], v[104:105], v[116:117] op_sel:[0,0,1] op_sel_hi:[1,0,0]
	v_mov_b32_e32 v119, v113
	v_pk_mul_f32 v[112:113], v[114:115], v[102:103] op_sel:[0,1]
	s_delay_alu instid0(VALU_DEP_1) | instskip(SKIP_1) | instid1(VALU_DEP_1)
	v_pk_fma_f32 v[116:117], v[114:115], v[104:105], v[112:113] op_sel:[0,0,1] op_sel_hi:[1,1,0] neg_lo:[0,0,1] neg_hi:[0,0,1]
	v_pk_fma_f32 v[112:113], v[114:115], v[104:105], v[112:113] op_sel:[0,0,1] op_sel_hi:[1,0,0]
	v_mov_b32_e32 v117, v113
	ds_load_2addr_b64 v[112:115], v106 offset0:38 offset1:39
	v_pk_add_f32 v[42:43], v[42:43], v[118:119] neg_lo:[0,1] neg_hi:[0,1]
	v_pk_add_f32 v[38:39], v[38:39], v[116:117] neg_lo:[0,1] neg_hi:[0,1]
	s_wait_dscnt 0x0
	v_dual_mul_f32 v116, v113, v103 :: v_dual_mul_f32 v118, v113, v104
	s_delay_alu instid0(VALU_DEP_1) | instskip(NEXT) | instid1(VALU_DEP_2)
	v_pk_fma_f32 v[116:117], v[112:113], v[50:51], v[116:117] op_sel_hi:[1,1,0] neg_lo:[0,0,1] neg_hi:[0,0,1]
	v_pk_fma_f32 v[112:113], v[112:113], v[50:51], v[118:119] op_sel:[1,0,0] op_sel_hi:[0,1,0]
	s_delay_alu instid0(VALU_DEP_1) | instskip(SKIP_1) | instid1(VALU_DEP_2)
	v_mov_b32_e32 v117, v113
	v_pk_mul_f32 v[112:113], v[114:115], v[102:103] op_sel:[0,1]
	v_pk_add_f32 v[40:41], v[40:41], v[116:117] neg_lo:[0,1] neg_hi:[0,1]
	s_delay_alu instid0(VALU_DEP_2) | instskip(SKIP_1) | instid1(VALU_DEP_1)
	v_pk_fma_f32 v[116:117], v[114:115], v[104:105], v[112:113] op_sel:[0,0,1] op_sel_hi:[1,1,0] neg_lo:[0,0,1] neg_hi:[0,0,1]
	v_pk_fma_f32 v[112:113], v[114:115], v[104:105], v[112:113] op_sel:[0,0,1] op_sel_hi:[1,0,0]
	v_mov_b32_e32 v117, v113
	ds_load_2addr_b64 v[112:115], v106 offset0:40 offset1:41
	v_pk_add_f32 v[6:7], v[6:7], v[116:117] neg_lo:[0,1] neg_hi:[0,1]
	s_wait_dscnt 0x0
	v_pk_mul_f32 v[116:117], v[112:113], v[102:103] op_sel:[0,1]
	s_delay_alu instid0(VALU_DEP_1) | instskip(SKIP_1) | instid1(VALU_DEP_1)
	v_pk_fma_f32 v[118:119], v[112:113], v[104:105], v[116:117] op_sel:[0,0,1] op_sel_hi:[1,1,0] neg_lo:[0,0,1] neg_hi:[0,0,1]
	v_pk_fma_f32 v[112:113], v[112:113], v[104:105], v[116:117] op_sel:[0,0,1] op_sel_hi:[1,0,0]
	v_mov_b32_e32 v119, v113
	v_pk_mul_f32 v[112:113], v[114:115], v[102:103] op_sel:[0,1]
	s_delay_alu instid0(VALU_DEP_2) | instskip(NEXT) | instid1(VALU_DEP_2)
	v_pk_add_f32 v[36:37], v[36:37], v[118:119] neg_lo:[0,1] neg_hi:[0,1]
	v_pk_fma_f32 v[116:117], v[114:115], v[104:105], v[112:113] op_sel:[0,0,1] op_sel_hi:[1,1,0] neg_lo:[0,0,1] neg_hi:[0,0,1]
	v_pk_fma_f32 v[112:113], v[114:115], v[104:105], v[112:113] op_sel:[0,0,1] op_sel_hi:[1,0,0]
	s_delay_alu instid0(VALU_DEP_1) | instskip(SKIP_4) | instid1(VALU_DEP_1)
	v_mov_b32_e32 v117, v113
	ds_load_2addr_b64 v[112:115], v106 offset0:42 offset1:43
	v_pk_add_f32 v[30:31], v[30:31], v[116:117] neg_lo:[0,1] neg_hi:[0,1]
	s_wait_dscnt 0x0
	v_pk_mul_f32 v[116:117], v[112:113], v[102:103] op_sel:[0,1]
	v_pk_fma_f32 v[118:119], v[112:113], v[104:105], v[116:117] op_sel:[0,0,1] op_sel_hi:[1,1,0] neg_lo:[0,0,1] neg_hi:[0,0,1]
	v_pk_fma_f32 v[112:113], v[112:113], v[104:105], v[116:117] op_sel:[0,0,1] op_sel_hi:[1,0,0]
	v_dual_mul_f32 v116, v115, v103 :: v_dual_mov_b32 v112, v115
	s_delay_alu instid0(VALU_DEP_2) | instskip(NEXT) | instid1(VALU_DEP_2)
	v_dual_mov_b32 v119, v113 :: v_dual_mov_b32 v113, v114
	v_pk_fma_f32 v[116:117], v[114:115], v[50:51], v[116:117] op_sel_hi:[1,1,0] neg_lo:[0,0,1] neg_hi:[0,0,1]
	v_mul_f32_e32 v114, v115, v104
	s_delay_alu instid0(VALU_DEP_3) | instskip(NEXT) | instid1(VALU_DEP_2)
	v_pk_add_f32 v[34:35], v[34:35], v[118:119] neg_lo:[0,1] neg_hi:[0,1]
	v_pk_fma_f32 v[112:113], v[112:113], v[50:51], v[114:115] op_sel_hi:[1,1,0]
	s_delay_alu instid0(VALU_DEP_1) | instskip(SKIP_4) | instid1(VALU_DEP_1)
	v_mov_b32_e32 v117, v113
	ds_load_2addr_b64 v[112:115], v106 offset0:44 offset1:45
	v_pk_add_f32 v[8:9], v[8:9], v[116:117] neg_lo:[0,1] neg_hi:[0,1]
	s_wait_dscnt 0x0
	v_pk_mul_f32 v[116:117], v[112:113], v[102:103] op_sel:[0,1]
	v_pk_fma_f32 v[118:119], v[112:113], v[104:105], v[116:117] op_sel:[0,0,1] op_sel_hi:[1,1,0] neg_lo:[0,0,1] neg_hi:[0,0,1]
	v_pk_fma_f32 v[112:113], v[112:113], v[104:105], v[116:117] op_sel:[0,0,1] op_sel_hi:[1,0,0]
	s_delay_alu instid0(VALU_DEP_1) | instskip(SKIP_1) | instid1(VALU_DEP_1)
	v_mov_b32_e32 v119, v113
	v_pk_mul_f32 v[112:113], v[114:115], v[102:103] op_sel:[0,1]
	v_pk_fma_f32 v[116:117], v[114:115], v[104:105], v[112:113] op_sel:[0,0,1] op_sel_hi:[1,1,0] neg_lo:[0,0,1] neg_hi:[0,0,1]
	v_pk_fma_f32 v[112:113], v[114:115], v[104:105], v[112:113] op_sel:[0,0,1] op_sel_hi:[1,0,0]
	s_delay_alu instid0(VALU_DEP_1)
	v_mov_b32_e32 v117, v113
	ds_load_2addr_b64 v[112:115], v106 offset0:46 offset1:47
	v_pk_add_f32 v[28:29], v[28:29], v[118:119] neg_lo:[0,1] neg_hi:[0,1]
	v_pk_add_f32 v[18:19], v[18:19], v[116:117] neg_lo:[0,1] neg_hi:[0,1]
	s_wait_dscnt 0x0
	v_pk_mul_f32 v[116:117], v[112:113], v[102:103] op_sel:[0,1]
	v_mul_f32_e32 v102, v115, v103
	s_delay_alu instid0(VALU_DEP_2) | instskip(SKIP_2) | instid1(VALU_DEP_4)
	v_pk_fma_f32 v[118:119], v[112:113], v[104:105], v[116:117] op_sel:[0,0,1] op_sel_hi:[1,1,0] neg_lo:[0,0,1] neg_hi:[0,0,1]
	v_pk_fma_f32 v[112:113], v[112:113], v[104:105], v[116:117] op_sel:[0,0,1] op_sel_hi:[1,0,0]
	v_dual_mov_b32 v112, v115 :: v_dual_mul_f32 v104, v115, v104
	v_pk_fma_f32 v[102:103], v[114:115], v[50:51], v[102:103] op_sel_hi:[1,1,0] neg_lo:[0,0,1] neg_hi:[0,0,1]
	s_delay_alu instid0(VALU_DEP_3) | instskip(NEXT) | instid1(VALU_DEP_1)
	v_dual_mov_b32 v119, v113 :: v_dual_mov_b32 v113, v114
	v_pk_add_f32 v[14:15], v[14:15], v[118:119] neg_lo:[0,1] neg_hi:[0,1]
	s_delay_alu instid0(VALU_DEP_2) | instskip(NEXT) | instid1(VALU_DEP_1)
	v_pk_fma_f32 v[104:105], v[112:113], v[50:51], v[104:105] op_sel_hi:[1,1,0]
	v_mov_b32_e32 v103, v105
	s_delay_alu instid0(VALU_DEP_1)
	v_pk_add_f32 v[100:101], v[100:101], v[102:103] neg_lo:[0,1] neg_hi:[0,1]
.LBB94_629:
	s_or_b32 exec_lo, exec_lo, s0
	v_lshl_add_u32 v102, v110, 3, v106
	s_barrier_signal -1
	s_barrier_wait -1
	ds_store_b64 v102, v[52:53]
	s_wait_dscnt 0x0
	s_barrier_signal -1
	s_barrier_wait -1
	ds_load_b64 v[102:103], v106 offset:240
	v_mov_b32_e32 v104, 30
	s_cmp_lt_i32 s18, 32
	s_cbranch_scc1 .LBB94_632
; %bb.630:
	v_add3_u32 v105, v107, 0, 0xf8
	v_mov_b32_e32 v104, 30
	s_mov_b32 s0, 31
.LBB94_631:                             ; =>This Inner Loop Header: Depth=1
	ds_load_b64 v[112:113], v105
	s_wait_dscnt 0x1
	v_cmp_gt_f32_e32 vcc_lo, 0, v102
	v_cndmask_b32_e64 v114, v102, -v102, vcc_lo
	v_cmp_gt_f32_e32 vcc_lo, 0, v103
	v_cndmask_b32_e64 v116, v103, -v103, vcc_lo
	s_wait_dscnt 0x0
	v_cmp_gt_f32_e32 vcc_lo, 0, v112
	v_cndmask_b32_e64 v115, v112, -v112, vcc_lo
	v_cmp_gt_f32_e32 vcc_lo, 0, v113
	v_cndmask_b32_e64 v117, v113, -v113, vcc_lo
	s_delay_alu instid0(VALU_DEP_1) | instskip(NEXT) | instid1(VALU_DEP_1)
	v_pk_add_f32 v[114:115], v[114:115], v[116:117]
	v_cmp_lt_f32_e32 vcc_lo, v114, v115
	v_dual_cndmask_b32 v102, v102, v112 :: v_dual_add_nc_u32 v105, 8, v105
	v_cndmask_b32_e32 v103, v103, v113, vcc_lo
	v_cndmask_b32_e64 v104, v104, s0, vcc_lo
	s_add_co_i32 s0, s0, 1
	s_delay_alu instid0(SALU_CYCLE_1)
	s_cmp_lg_u32 s18, s0
	s_cbranch_scc1 .LBB94_631
.LBB94_632:
	s_wait_dscnt 0x0
	v_cmp_eq_f32_e32 vcc_lo, 0, v102
	v_cmp_eq_f32_e64 s0, 0, v103
	s_and_b32 s0, vcc_lo, s0
	s_delay_alu instid0(SALU_CYCLE_1) | instskip(NEXT) | instid1(SALU_CYCLE_1)
	s_and_saveexec_b32 s1, s0
	s_xor_b32 s0, exec_lo, s1
; %bb.633:
	v_cmp_ne_u32_e32 vcc_lo, 0, v108
	v_cndmask_b32_e32 v108, 31, v108, vcc_lo
; %bb.634:
	s_and_not1_saveexec_b32 s0, s0
	s_cbranch_execz .LBB94_640
; %bb.635:
	v_cmp_ngt_f32_e64 s1, |v102|, |v103|
	s_and_saveexec_b32 s12, s1
	s_delay_alu instid0(SALU_CYCLE_1)
	s_xor_b32 s1, exec_lo, s12
	s_cbranch_execz .LBB94_637
; %bb.636:
	v_div_scale_f32 v105, null, v103, v103, v102
	v_div_scale_f32 v113, vcc_lo, v102, v103, v102
	s_delay_alu instid0(VALU_DEP_2) | instskip(SKIP_1) | instid1(TRANS32_DEP_1)
	v_rcp_f32_e32 v111, v105
	v_nop
	v_fma_f32 v112, -v105, v111, 1.0
	s_delay_alu instid0(VALU_DEP_1) | instskip(NEXT) | instid1(VALU_DEP_1)
	v_fmac_f32_e32 v111, v112, v111
	v_mul_f32_e32 v112, v113, v111
	s_delay_alu instid0(VALU_DEP_1) | instskip(NEXT) | instid1(VALU_DEP_1)
	v_fma_f32 v114, -v105, v112, v113
	v_fmac_f32_e32 v112, v114, v111
	s_delay_alu instid0(VALU_DEP_1) | instskip(NEXT) | instid1(VALU_DEP_1)
	v_fma_f32 v105, -v105, v112, v113
	v_div_fmas_f32 v105, v105, v111, v112
	s_delay_alu instid0(VALU_DEP_1) | instskip(NEXT) | instid1(VALU_DEP_1)
	v_div_fixup_f32 v105, v105, v103, v102
	v_fmac_f32_e32 v103, v102, v105
	s_delay_alu instid0(VALU_DEP_1) | instskip(SKIP_1) | instid1(VALU_DEP_2)
	v_div_scale_f32 v102, null, v103, v103, 1.0
	v_div_scale_f32 v113, vcc_lo, 1.0, v103, 1.0
	v_rcp_f32_e32 v111, v102
	v_nop
	s_delay_alu instid0(TRANS32_DEP_1) | instskip(NEXT) | instid1(VALU_DEP_1)
	v_fma_f32 v112, -v102, v111, 1.0
	v_fmac_f32_e32 v111, v112, v111
	s_delay_alu instid0(VALU_DEP_1) | instskip(NEXT) | instid1(VALU_DEP_1)
	v_mul_f32_e32 v112, v113, v111
	v_fma_f32 v114, -v102, v112, v113
	s_delay_alu instid0(VALU_DEP_1) | instskip(NEXT) | instid1(VALU_DEP_1)
	v_fmac_f32_e32 v112, v114, v111
	v_fma_f32 v102, -v102, v112, v113
	s_delay_alu instid0(VALU_DEP_1) | instskip(NEXT) | instid1(VALU_DEP_1)
	v_div_fmas_f32 v102, v102, v111, v112
	v_div_fixup_f32 v103, v102, v103, 1.0
	s_delay_alu instid0(VALU_DEP_1)
	v_mul_f32_e32 v102, v105, v103
	v_xor_b32_e32 v103, 0x80000000, v103
.LBB94_637:
	s_and_not1_saveexec_b32 s1, s1
	s_cbranch_execz .LBB94_639
; %bb.638:
	s_delay_alu instid0(VALU_DEP_1) | instskip(SKIP_1) | instid1(VALU_DEP_2)
	v_div_scale_f32 v105, null, v102, v102, v103
	v_div_scale_f32 v113, vcc_lo, v103, v102, v103
	v_rcp_f32_e32 v111, v105
	v_nop
	s_delay_alu instid0(TRANS32_DEP_1) | instskip(NEXT) | instid1(VALU_DEP_1)
	v_fma_f32 v112, -v105, v111, 1.0
	v_fmac_f32_e32 v111, v112, v111
	s_delay_alu instid0(VALU_DEP_1) | instskip(NEXT) | instid1(VALU_DEP_1)
	v_mul_f32_e32 v112, v113, v111
	v_fma_f32 v114, -v105, v112, v113
	s_delay_alu instid0(VALU_DEP_1) | instskip(NEXT) | instid1(VALU_DEP_1)
	v_fmac_f32_e32 v112, v114, v111
	v_fma_f32 v105, -v105, v112, v113
	s_delay_alu instid0(VALU_DEP_1) | instskip(NEXT) | instid1(VALU_DEP_1)
	v_div_fmas_f32 v105, v105, v111, v112
	v_div_fixup_f32 v105, v105, v102, v103
	s_delay_alu instid0(VALU_DEP_1) | instskip(NEXT) | instid1(VALU_DEP_1)
	v_fmac_f32_e32 v102, v103, v105
	v_div_scale_f32 v103, null, v102, v102, 1.0
	s_delay_alu instid0(VALU_DEP_1) | instskip(SKIP_1) | instid1(TRANS32_DEP_1)
	v_rcp_f32_e32 v111, v103
	v_nop
	v_fma_f32 v112, -v103, v111, 1.0
	s_delay_alu instid0(VALU_DEP_1) | instskip(SKIP_1) | instid1(VALU_DEP_1)
	v_fmac_f32_e32 v111, v112, v111
	v_div_scale_f32 v112, vcc_lo, 1.0, v102, 1.0
	v_mul_f32_e32 v113, v112, v111
	s_delay_alu instid0(VALU_DEP_1) | instskip(NEXT) | instid1(VALU_DEP_1)
	v_fma_f32 v114, -v103, v113, v112
	v_fmac_f32_e32 v113, v114, v111
	s_delay_alu instid0(VALU_DEP_1) | instskip(NEXT) | instid1(VALU_DEP_1)
	v_fma_f32 v103, -v103, v113, v112
	v_div_fmas_f32 v103, v103, v111, v113
	s_delay_alu instid0(VALU_DEP_1) | instskip(NEXT) | instid1(VALU_DEP_1)
	v_div_fixup_f32 v102, v103, v102, 1.0
	v_mul_f32_e64 v103, v105, -v102
.LBB94_639:
	s_or_b32 exec_lo, exec_lo, s1
.LBB94_640:
	s_delay_alu instid0(SALU_CYCLE_1) | instskip(NEXT) | instid1(SALU_CYCLE_1)
	s_or_b32 exec_lo, exec_lo, s0
	s_mov_b32 s0, exec_lo
	v_cmpx_ne_u32_e64 v110, v104
	s_xor_b32 s0, exec_lo, s0
	s_cbranch_execz .LBB94_646
; %bb.641:
	s_mov_b32 s1, exec_lo
	v_cmpx_eq_u32_e32 30, v110
	s_cbranch_execz .LBB94_645
; %bb.642:
	v_cmp_ne_u32_e32 vcc_lo, 30, v104
	s_xor_b32 s12, s16, -1
	s_delay_alu instid0(SALU_CYCLE_1) | instskip(NEXT) | instid1(SALU_CYCLE_1)
	s_and_b32 s13, s12, vcc_lo
	s_and_saveexec_b32 s12, s13
	s_cbranch_execz .LBB94_644
; %bb.643:
	v_ashrrev_i32_e32 v105, 31, v104
	s_delay_alu instid0(VALU_DEP_1)
	v_lshl_add_u64 v[110:111], v[104:105], 2, v[4:5]
	s_clause 0x1
	global_load_b32 v105, v[110:111], off
	global_load_b32 v109, v[4:5], off offset:120
	s_wait_loadcnt 0x1
	global_store_b32 v[4:5], v105, off offset:120
	s_wait_loadcnt 0x0
	global_store_b32 v[110:111], v109, off
.LBB94_644:
	s_wait_xcnt 0x0
	s_or_b32 exec_lo, exec_lo, s12
	v_dual_mov_b32 v110, v104 :: v_dual_mov_b32 v109, v104
.LBB94_645:
	s_or_b32 exec_lo, exec_lo, s1
.LBB94_646:
	s_and_not1_saveexec_b32 s0, s0
	s_cbranch_execz .LBB94_648
; %bb.647:
	v_mov_b32_e32 v110, 30
	ds_store_2addr_b64 v106, v[12:13], v[48:49] offset0:31 offset1:32
	ds_store_2addr_b64 v106, v[44:45], v[46:47] offset0:33 offset1:34
	;; [unrolled: 1-line block ×8, first 2 shown]
	ds_store_b64 v106, v[100:101] offset:376
.LBB94_648:
	s_or_b32 exec_lo, exec_lo, s0
	s_delay_alu instid0(SALU_CYCLE_1)
	s_mov_b32 s0, exec_lo
	s_wait_storecnt_dscnt 0x0
	s_barrier_signal -1
	s_barrier_wait -1
	v_cmpx_lt_i32_e32 30, v110
	s_cbranch_execz .LBB94_650
; %bb.649:
	v_pk_mul_f32 v[112:113], v[102:103], v[52:53] op_sel:[1,1] op_sel_hi:[0,1]
	s_delay_alu instid0(VALU_DEP_1)
	v_pk_fma_f32 v[104:105], v[102:103], v[52:53], v[112:113] op_sel_hi:[1,0,1] neg_lo:[0,0,1] neg_hi:[0,0,1]
	v_pk_fma_f32 v[102:103], v[102:103], v[52:53], v[112:113] op_sel_hi:[1,0,1]
	ds_load_2addr_b64 v[112:115], v106 offset0:31 offset1:32
	v_dual_mov_b32 v52, v104 :: v_dual_mov_b32 v53, v103
	s_wait_dscnt 0x0
	v_pk_mul_f32 v[116:117], v[112:113], v[102:103] op_sel:[0,1]
	s_delay_alu instid0(VALU_DEP_1) | instskip(SKIP_1) | instid1(VALU_DEP_1)
	v_pk_fma_f32 v[118:119], v[112:113], v[104:105], v[116:117] op_sel:[0,0,1] op_sel_hi:[1,1,0] neg_lo:[0,0,1] neg_hi:[0,0,1]
	v_pk_fma_f32 v[112:113], v[112:113], v[104:105], v[116:117] op_sel:[0,0,1] op_sel_hi:[1,0,0]
	v_mov_b32_e32 v119, v113
	v_pk_mul_f32 v[112:113], v[114:115], v[102:103] op_sel:[0,1]
	s_delay_alu instid0(VALU_DEP_1) | instskip(SKIP_1) | instid1(VALU_DEP_1)
	v_pk_fma_f32 v[116:117], v[114:115], v[104:105], v[112:113] op_sel:[0,0,1] op_sel_hi:[1,1,0] neg_lo:[0,0,1] neg_hi:[0,0,1]
	v_pk_fma_f32 v[112:113], v[114:115], v[104:105], v[112:113] op_sel:[0,0,1] op_sel_hi:[1,0,0]
	v_mov_b32_e32 v117, v113
	ds_load_2addr_b64 v[112:115], v106 offset0:33 offset1:34
	v_pk_add_f32 v[12:13], v[12:13], v[118:119] neg_lo:[0,1] neg_hi:[0,1]
	v_pk_add_f32 v[48:49], v[48:49], v[116:117] neg_lo:[0,1] neg_hi:[0,1]
	s_wait_dscnt 0x0
	v_pk_mul_f32 v[116:117], v[112:113], v[102:103] op_sel:[0,1]
	s_delay_alu instid0(VALU_DEP_1) | instskip(SKIP_2) | instid1(VALU_DEP_2)
	v_pk_fma_f32 v[118:119], v[112:113], v[104:105], v[116:117] op_sel:[0,0,1] op_sel_hi:[1,1,0] neg_lo:[0,0,1] neg_hi:[0,0,1]
	v_pk_fma_f32 v[112:113], v[112:113], v[104:105], v[116:117] op_sel:[0,0,1] op_sel_hi:[1,0,0]
	v_dual_mul_f32 v116, v115, v103 :: v_dual_mov_b32 v112, v115
	v_dual_mov_b32 v119, v113 :: v_dual_mov_b32 v113, v114
	s_delay_alu instid0(VALU_DEP_2) | instskip(SKIP_1) | instid1(VALU_DEP_3)
	v_pk_fma_f32 v[116:117], v[114:115], v[52:53], v[116:117] op_sel_hi:[1,1,0] neg_lo:[0,0,1] neg_hi:[0,0,1]
	v_mul_f32_e32 v114, v115, v104
	v_pk_add_f32 v[44:45], v[44:45], v[118:119] neg_lo:[0,1] neg_hi:[0,1]
	s_delay_alu instid0(VALU_DEP_2) | instskip(NEXT) | instid1(VALU_DEP_1)
	v_pk_fma_f32 v[112:113], v[112:113], v[52:53], v[114:115] op_sel_hi:[1,1,0]
	v_mov_b32_e32 v117, v113
	ds_load_2addr_b64 v[112:115], v106 offset0:35 offset1:36
	v_pk_add_f32 v[46:47], v[46:47], v[116:117] neg_lo:[0,1] neg_hi:[0,1]
	s_wait_dscnt 0x0
	v_pk_mul_f32 v[116:117], v[112:113], v[102:103] op_sel:[0,1]
	s_delay_alu instid0(VALU_DEP_1) | instskip(SKIP_1) | instid1(VALU_DEP_1)
	v_pk_fma_f32 v[118:119], v[112:113], v[104:105], v[116:117] op_sel:[0,0,1] op_sel_hi:[1,1,0] neg_lo:[0,0,1] neg_hi:[0,0,1]
	v_pk_fma_f32 v[112:113], v[112:113], v[104:105], v[116:117] op_sel:[0,0,1] op_sel_hi:[1,0,0]
	v_mov_b32_e32 v119, v113
	v_pk_mul_f32 v[112:113], v[114:115], v[102:103] op_sel:[0,1]
	s_delay_alu instid0(VALU_DEP_1) | instskip(SKIP_1) | instid1(VALU_DEP_1)
	v_pk_fma_f32 v[116:117], v[114:115], v[104:105], v[112:113] op_sel:[0,0,1] op_sel_hi:[1,1,0] neg_lo:[0,0,1] neg_hi:[0,0,1]
	v_pk_fma_f32 v[112:113], v[114:115], v[104:105], v[112:113] op_sel:[0,0,1] op_sel_hi:[1,0,0]
	v_mov_b32_e32 v117, v113
	ds_load_2addr_b64 v[112:115], v106 offset0:37 offset1:38
	v_pk_add_f32 v[10:11], v[10:11], v[118:119] neg_lo:[0,1] neg_hi:[0,1]
	v_pk_add_f32 v[42:43], v[42:43], v[116:117] neg_lo:[0,1] neg_hi:[0,1]
	s_wait_dscnt 0x0
	v_pk_mul_f32 v[116:117], v[112:113], v[102:103] op_sel:[0,1]
	s_delay_alu instid0(VALU_DEP_1) | instskip(SKIP_1) | instid1(VALU_DEP_1)
	v_pk_fma_f32 v[118:119], v[112:113], v[104:105], v[116:117] op_sel:[0,0,1] op_sel_hi:[1,1,0] neg_lo:[0,0,1] neg_hi:[0,0,1]
	v_pk_fma_f32 v[112:113], v[112:113], v[104:105], v[116:117] op_sel:[0,0,1] op_sel_hi:[1,0,0]
	v_mov_b32_e32 v119, v113
	v_pk_mul_f32 v[112:113], v[114:115], v[102:103] op_sel:[0,1]
	s_delay_alu instid0(VALU_DEP_1) | instskip(SKIP_1) | instid1(VALU_DEP_1)
	v_pk_fma_f32 v[116:117], v[114:115], v[104:105], v[112:113] op_sel:[0,0,1] op_sel_hi:[1,1,0] neg_lo:[0,0,1] neg_hi:[0,0,1]
	v_pk_fma_f32 v[112:113], v[114:115], v[104:105], v[112:113] op_sel:[0,0,1] op_sel_hi:[1,0,0]
	v_mov_b32_e32 v117, v113
	ds_load_2addr_b64 v[112:115], v106 offset0:39 offset1:40
	v_pk_add_f32 v[38:39], v[38:39], v[118:119] neg_lo:[0,1] neg_hi:[0,1]
	v_pk_add_f32 v[40:41], v[40:41], v[116:117] neg_lo:[0,1] neg_hi:[0,1]
	s_wait_dscnt 0x0
	v_dual_mul_f32 v116, v113, v103 :: v_dual_mul_f32 v118, v113, v104
	s_delay_alu instid0(VALU_DEP_1) | instskip(NEXT) | instid1(VALU_DEP_2)
	v_pk_fma_f32 v[116:117], v[112:113], v[52:53], v[116:117] op_sel_hi:[1,1,0] neg_lo:[0,0,1] neg_hi:[0,0,1]
	v_pk_fma_f32 v[112:113], v[112:113], v[52:53], v[118:119] op_sel:[1,0,0] op_sel_hi:[0,1,0]
	s_delay_alu instid0(VALU_DEP_1) | instskip(SKIP_1) | instid1(VALU_DEP_2)
	v_mov_b32_e32 v117, v113
	v_pk_mul_f32 v[112:113], v[114:115], v[102:103] op_sel:[0,1]
	v_pk_add_f32 v[6:7], v[6:7], v[116:117] neg_lo:[0,1] neg_hi:[0,1]
	s_delay_alu instid0(VALU_DEP_2) | instskip(SKIP_1) | instid1(VALU_DEP_1)
	v_pk_fma_f32 v[116:117], v[114:115], v[104:105], v[112:113] op_sel:[0,0,1] op_sel_hi:[1,1,0] neg_lo:[0,0,1] neg_hi:[0,0,1]
	v_pk_fma_f32 v[112:113], v[114:115], v[104:105], v[112:113] op_sel:[0,0,1] op_sel_hi:[1,0,0]
	v_mov_b32_e32 v117, v113
	ds_load_2addr_b64 v[112:115], v106 offset0:41 offset1:42
	v_pk_add_f32 v[36:37], v[36:37], v[116:117] neg_lo:[0,1] neg_hi:[0,1]
	s_wait_dscnt 0x0
	v_pk_mul_f32 v[116:117], v[112:113], v[102:103] op_sel:[0,1]
	s_delay_alu instid0(VALU_DEP_1) | instskip(SKIP_1) | instid1(VALU_DEP_1)
	v_pk_fma_f32 v[118:119], v[112:113], v[104:105], v[116:117] op_sel:[0,0,1] op_sel_hi:[1,1,0] neg_lo:[0,0,1] neg_hi:[0,0,1]
	v_pk_fma_f32 v[112:113], v[112:113], v[104:105], v[116:117] op_sel:[0,0,1] op_sel_hi:[1,0,0]
	v_mov_b32_e32 v119, v113
	v_pk_mul_f32 v[112:113], v[114:115], v[102:103] op_sel:[0,1]
	s_delay_alu instid0(VALU_DEP_2) | instskip(NEXT) | instid1(VALU_DEP_2)
	v_pk_add_f32 v[30:31], v[30:31], v[118:119] neg_lo:[0,1] neg_hi:[0,1]
	v_pk_fma_f32 v[116:117], v[114:115], v[104:105], v[112:113] op_sel:[0,0,1] op_sel_hi:[1,1,0] neg_lo:[0,0,1] neg_hi:[0,0,1]
	v_pk_fma_f32 v[112:113], v[114:115], v[104:105], v[112:113] op_sel:[0,0,1] op_sel_hi:[1,0,0]
	s_delay_alu instid0(VALU_DEP_1) | instskip(SKIP_4) | instid1(VALU_DEP_1)
	v_mov_b32_e32 v117, v113
	ds_load_2addr_b64 v[112:115], v106 offset0:43 offset1:44
	v_pk_add_f32 v[34:35], v[34:35], v[116:117] neg_lo:[0,1] neg_hi:[0,1]
	s_wait_dscnt 0x0
	v_pk_mul_f32 v[116:117], v[112:113], v[102:103] op_sel:[0,1]
	v_pk_fma_f32 v[118:119], v[112:113], v[104:105], v[116:117] op_sel:[0,0,1] op_sel_hi:[1,1,0] neg_lo:[0,0,1] neg_hi:[0,0,1]
	v_pk_fma_f32 v[112:113], v[112:113], v[104:105], v[116:117] op_sel:[0,0,1] op_sel_hi:[1,0,0]
	v_dual_mul_f32 v116, v115, v103 :: v_dual_mov_b32 v112, v115
	s_delay_alu instid0(VALU_DEP_2) | instskip(NEXT) | instid1(VALU_DEP_2)
	v_dual_mov_b32 v119, v113 :: v_dual_mov_b32 v113, v114
	v_pk_fma_f32 v[116:117], v[114:115], v[52:53], v[116:117] op_sel_hi:[1,1,0] neg_lo:[0,0,1] neg_hi:[0,0,1]
	v_mul_f32_e32 v114, v115, v104
	s_delay_alu instid0(VALU_DEP_3) | instskip(NEXT) | instid1(VALU_DEP_2)
	v_pk_add_f32 v[8:9], v[8:9], v[118:119] neg_lo:[0,1] neg_hi:[0,1]
	v_pk_fma_f32 v[112:113], v[112:113], v[52:53], v[114:115] op_sel_hi:[1,1,0]
	s_delay_alu instid0(VALU_DEP_1) | instskip(SKIP_4) | instid1(VALU_DEP_1)
	v_mov_b32_e32 v117, v113
	ds_load_2addr_b64 v[112:115], v106 offset0:45 offset1:46
	v_pk_add_f32 v[28:29], v[28:29], v[116:117] neg_lo:[0,1] neg_hi:[0,1]
	s_wait_dscnt 0x0
	v_pk_mul_f32 v[116:117], v[112:113], v[102:103] op_sel:[0,1]
	v_pk_fma_f32 v[118:119], v[112:113], v[104:105], v[116:117] op_sel:[0,0,1] op_sel_hi:[1,1,0] neg_lo:[0,0,1] neg_hi:[0,0,1]
	v_pk_fma_f32 v[112:113], v[112:113], v[104:105], v[116:117] op_sel:[0,0,1] op_sel_hi:[1,0,0]
	s_delay_alu instid0(VALU_DEP_1) | instskip(SKIP_1) | instid1(VALU_DEP_1)
	v_mov_b32_e32 v119, v113
	v_pk_mul_f32 v[112:113], v[114:115], v[102:103] op_sel:[0,1]
	v_pk_fma_f32 v[116:117], v[114:115], v[104:105], v[112:113] op_sel:[0,0,1] op_sel_hi:[1,1,0] neg_lo:[0,0,1] neg_hi:[0,0,1]
	v_pk_fma_f32 v[112:113], v[114:115], v[104:105], v[112:113] op_sel:[0,0,1] op_sel_hi:[1,0,0]
	s_delay_alu instid0(VALU_DEP_1)
	v_mov_b32_e32 v117, v113
	ds_load_b64 v[112:113], v106 offset:376
	v_pk_add_f32 v[18:19], v[18:19], v[118:119] neg_lo:[0,1] neg_hi:[0,1]
	v_pk_add_f32 v[14:15], v[14:15], v[116:117] neg_lo:[0,1] neg_hi:[0,1]
	s_wait_dscnt 0x0
	v_pk_mul_f32 v[102:103], v[112:113], v[102:103] op_sel:[0,1]
	s_delay_alu instid0(VALU_DEP_1) | instskip(SKIP_1) | instid1(VALU_DEP_1)
	v_pk_fma_f32 v[114:115], v[112:113], v[104:105], v[102:103] op_sel:[0,0,1] op_sel_hi:[1,1,0] neg_lo:[0,0,1] neg_hi:[0,0,1]
	v_pk_fma_f32 v[102:103], v[112:113], v[104:105], v[102:103] op_sel:[0,0,1] op_sel_hi:[1,0,0]
	v_mov_b32_e32 v115, v103
	s_delay_alu instid0(VALU_DEP_1)
	v_pk_add_f32 v[100:101], v[100:101], v[114:115] neg_lo:[0,1] neg_hi:[0,1]
.LBB94_650:
	s_or_b32 exec_lo, exec_lo, s0
	v_lshl_add_u32 v102, v110, 3, v106
	s_barrier_signal -1
	s_barrier_wait -1
	ds_store_b64 v102, v[12:13]
	s_wait_dscnt 0x0
	s_barrier_signal -1
	s_barrier_wait -1
	ds_load_b64 v[102:103], v106 offset:248
	v_mov_b32_e32 v104, 31
	s_cmp_lt_i32 s18, 33
	s_cbranch_scc1 .LBB94_653
; %bb.651:
	v_add3_u32 v105, v107, 0, 0x100
	v_mov_b32_e32 v104, 31
	s_mov_b32 s0, 32
.LBB94_652:                             ; =>This Inner Loop Header: Depth=1
	ds_load_b64 v[112:113], v105
	s_wait_dscnt 0x1
	v_cmp_gt_f32_e32 vcc_lo, 0, v102
	v_cndmask_b32_e64 v114, v102, -v102, vcc_lo
	v_cmp_gt_f32_e32 vcc_lo, 0, v103
	v_cndmask_b32_e64 v116, v103, -v103, vcc_lo
	s_wait_dscnt 0x0
	v_cmp_gt_f32_e32 vcc_lo, 0, v112
	v_cndmask_b32_e64 v115, v112, -v112, vcc_lo
	v_cmp_gt_f32_e32 vcc_lo, 0, v113
	v_cndmask_b32_e64 v117, v113, -v113, vcc_lo
	s_delay_alu instid0(VALU_DEP_1) | instskip(NEXT) | instid1(VALU_DEP_1)
	v_pk_add_f32 v[114:115], v[114:115], v[116:117]
	v_cmp_lt_f32_e32 vcc_lo, v114, v115
	v_dual_cndmask_b32 v102, v102, v112 :: v_dual_add_nc_u32 v105, 8, v105
	v_cndmask_b32_e32 v103, v103, v113, vcc_lo
	v_cndmask_b32_e64 v104, v104, s0, vcc_lo
	s_add_co_i32 s0, s0, 1
	s_delay_alu instid0(SALU_CYCLE_1)
	s_cmp_lg_u32 s18, s0
	s_cbranch_scc1 .LBB94_652
.LBB94_653:
	s_wait_dscnt 0x0
	v_cmp_eq_f32_e32 vcc_lo, 0, v102
	v_cmp_eq_f32_e64 s0, 0, v103
	s_and_b32 s0, vcc_lo, s0
	s_delay_alu instid0(SALU_CYCLE_1) | instskip(NEXT) | instid1(SALU_CYCLE_1)
	s_and_saveexec_b32 s1, s0
	s_xor_b32 s0, exec_lo, s1
; %bb.654:
	v_cmp_ne_u32_e32 vcc_lo, 0, v108
	v_cndmask_b32_e32 v108, 32, v108, vcc_lo
; %bb.655:
	s_and_not1_saveexec_b32 s0, s0
	s_cbranch_execz .LBB94_661
; %bb.656:
	v_cmp_ngt_f32_e64 s1, |v102|, |v103|
	s_and_saveexec_b32 s12, s1
	s_delay_alu instid0(SALU_CYCLE_1)
	s_xor_b32 s1, exec_lo, s12
	s_cbranch_execz .LBB94_658
; %bb.657:
	v_div_scale_f32 v105, null, v103, v103, v102
	v_div_scale_f32 v113, vcc_lo, v102, v103, v102
	s_delay_alu instid0(VALU_DEP_2) | instskip(SKIP_1) | instid1(TRANS32_DEP_1)
	v_rcp_f32_e32 v111, v105
	v_nop
	v_fma_f32 v112, -v105, v111, 1.0
	s_delay_alu instid0(VALU_DEP_1) | instskip(NEXT) | instid1(VALU_DEP_1)
	v_fmac_f32_e32 v111, v112, v111
	v_mul_f32_e32 v112, v113, v111
	s_delay_alu instid0(VALU_DEP_1) | instskip(NEXT) | instid1(VALU_DEP_1)
	v_fma_f32 v114, -v105, v112, v113
	v_fmac_f32_e32 v112, v114, v111
	s_delay_alu instid0(VALU_DEP_1) | instskip(NEXT) | instid1(VALU_DEP_1)
	v_fma_f32 v105, -v105, v112, v113
	v_div_fmas_f32 v105, v105, v111, v112
	s_delay_alu instid0(VALU_DEP_1) | instskip(NEXT) | instid1(VALU_DEP_1)
	v_div_fixup_f32 v105, v105, v103, v102
	v_fmac_f32_e32 v103, v102, v105
	s_delay_alu instid0(VALU_DEP_1) | instskip(SKIP_1) | instid1(VALU_DEP_2)
	v_div_scale_f32 v102, null, v103, v103, 1.0
	v_div_scale_f32 v113, vcc_lo, 1.0, v103, 1.0
	v_rcp_f32_e32 v111, v102
	v_nop
	s_delay_alu instid0(TRANS32_DEP_1) | instskip(NEXT) | instid1(VALU_DEP_1)
	v_fma_f32 v112, -v102, v111, 1.0
	v_fmac_f32_e32 v111, v112, v111
	s_delay_alu instid0(VALU_DEP_1) | instskip(NEXT) | instid1(VALU_DEP_1)
	v_mul_f32_e32 v112, v113, v111
	v_fma_f32 v114, -v102, v112, v113
	s_delay_alu instid0(VALU_DEP_1) | instskip(NEXT) | instid1(VALU_DEP_1)
	v_fmac_f32_e32 v112, v114, v111
	v_fma_f32 v102, -v102, v112, v113
	s_delay_alu instid0(VALU_DEP_1) | instskip(NEXT) | instid1(VALU_DEP_1)
	v_div_fmas_f32 v102, v102, v111, v112
	v_div_fixup_f32 v103, v102, v103, 1.0
	s_delay_alu instid0(VALU_DEP_1)
	v_mul_f32_e32 v102, v105, v103
	v_xor_b32_e32 v103, 0x80000000, v103
.LBB94_658:
	s_and_not1_saveexec_b32 s1, s1
	s_cbranch_execz .LBB94_660
; %bb.659:
	s_delay_alu instid0(VALU_DEP_1) | instskip(SKIP_1) | instid1(VALU_DEP_2)
	v_div_scale_f32 v105, null, v102, v102, v103
	v_div_scale_f32 v113, vcc_lo, v103, v102, v103
	v_rcp_f32_e32 v111, v105
	v_nop
	s_delay_alu instid0(TRANS32_DEP_1) | instskip(NEXT) | instid1(VALU_DEP_1)
	v_fma_f32 v112, -v105, v111, 1.0
	v_fmac_f32_e32 v111, v112, v111
	s_delay_alu instid0(VALU_DEP_1) | instskip(NEXT) | instid1(VALU_DEP_1)
	v_mul_f32_e32 v112, v113, v111
	v_fma_f32 v114, -v105, v112, v113
	s_delay_alu instid0(VALU_DEP_1) | instskip(NEXT) | instid1(VALU_DEP_1)
	v_fmac_f32_e32 v112, v114, v111
	v_fma_f32 v105, -v105, v112, v113
	s_delay_alu instid0(VALU_DEP_1) | instskip(NEXT) | instid1(VALU_DEP_1)
	v_div_fmas_f32 v105, v105, v111, v112
	v_div_fixup_f32 v105, v105, v102, v103
	s_delay_alu instid0(VALU_DEP_1) | instskip(NEXT) | instid1(VALU_DEP_1)
	v_fmac_f32_e32 v102, v103, v105
	v_div_scale_f32 v103, null, v102, v102, 1.0
	s_delay_alu instid0(VALU_DEP_1) | instskip(SKIP_1) | instid1(TRANS32_DEP_1)
	v_rcp_f32_e32 v111, v103
	v_nop
	v_fma_f32 v112, -v103, v111, 1.0
	s_delay_alu instid0(VALU_DEP_1) | instskip(SKIP_1) | instid1(VALU_DEP_1)
	v_fmac_f32_e32 v111, v112, v111
	v_div_scale_f32 v112, vcc_lo, 1.0, v102, 1.0
	v_mul_f32_e32 v113, v112, v111
	s_delay_alu instid0(VALU_DEP_1) | instskip(NEXT) | instid1(VALU_DEP_1)
	v_fma_f32 v114, -v103, v113, v112
	v_fmac_f32_e32 v113, v114, v111
	s_delay_alu instid0(VALU_DEP_1) | instskip(NEXT) | instid1(VALU_DEP_1)
	v_fma_f32 v103, -v103, v113, v112
	v_div_fmas_f32 v103, v103, v111, v113
	s_delay_alu instid0(VALU_DEP_1) | instskip(NEXT) | instid1(VALU_DEP_1)
	v_div_fixup_f32 v102, v103, v102, 1.0
	v_mul_f32_e64 v103, v105, -v102
.LBB94_660:
	s_or_b32 exec_lo, exec_lo, s1
.LBB94_661:
	s_delay_alu instid0(SALU_CYCLE_1) | instskip(NEXT) | instid1(SALU_CYCLE_1)
	s_or_b32 exec_lo, exec_lo, s0
	s_mov_b32 s0, exec_lo
	v_cmpx_ne_u32_e64 v110, v104
	s_xor_b32 s0, exec_lo, s0
	s_cbranch_execz .LBB94_667
; %bb.662:
	s_mov_b32 s1, exec_lo
	v_cmpx_eq_u32_e32 31, v110
	s_cbranch_execz .LBB94_666
; %bb.663:
	v_cmp_ne_u32_e32 vcc_lo, 31, v104
	s_xor_b32 s12, s16, -1
	s_delay_alu instid0(SALU_CYCLE_1) | instskip(NEXT) | instid1(SALU_CYCLE_1)
	s_and_b32 s13, s12, vcc_lo
	s_and_saveexec_b32 s12, s13
	s_cbranch_execz .LBB94_665
; %bb.664:
	v_ashrrev_i32_e32 v105, 31, v104
	s_delay_alu instid0(VALU_DEP_1)
	v_lshl_add_u64 v[110:111], v[104:105], 2, v[4:5]
	s_clause 0x1
	global_load_b32 v105, v[110:111], off
	global_load_b32 v109, v[4:5], off offset:124
	s_wait_loadcnt 0x1
	global_store_b32 v[4:5], v105, off offset:124
	s_wait_loadcnt 0x0
	global_store_b32 v[110:111], v109, off
.LBB94_665:
	s_wait_xcnt 0x0
	s_or_b32 exec_lo, exec_lo, s12
	v_dual_mov_b32 v110, v104 :: v_dual_mov_b32 v109, v104
.LBB94_666:
	s_or_b32 exec_lo, exec_lo, s1
.LBB94_667:
	s_and_not1_saveexec_b32 s0, s0
	s_cbranch_execz .LBB94_669
; %bb.668:
	v_dual_mov_b32 v104, v48 :: v_dual_mov_b32 v105, v49
	v_dual_mov_b32 v110, v44 :: v_dual_mov_b32 v111, v45
	;; [unrolled: 1-line block ×8, first 2 shown]
	ds_store_2addr_b64 v106, v[104:105], v[110:111] offset0:32 offset1:33
	ds_store_2addr_b64 v106, v[112:113], v[114:115] offset0:34 offset1:35
	ds_store_2addr_b64 v106, v[116:117], v[118:119] offset0:36 offset1:37
	ds_store_2addr_b64 v106, v[120:121], v[122:123] offset0:38 offset1:39
	v_dual_mov_b32 v104, v36 :: v_dual_mov_b32 v105, v37
	v_dual_mov_b32 v112, v30 :: v_dual_mov_b32 v113, v31
	;; [unrolled: 1-line block ×7, first 2 shown]
	v_mov_b32_e32 v123, v15
	ds_store_2addr_b64 v106, v[104:105], v[112:113] offset0:40 offset1:41
	ds_store_2addr_b64 v106, v[114:115], v[116:117] offset0:42 offset1:43
	;; [unrolled: 1-line block ×4, first 2 shown]
.LBB94_669:
	s_or_b32 exec_lo, exec_lo, s0
	s_delay_alu instid0(SALU_CYCLE_1)
	s_mov_b32 s0, exec_lo
	s_wait_storecnt_dscnt 0x0
	s_barrier_signal -1
	s_barrier_wait -1
	v_cmpx_lt_i32_e32 31, v110
	s_cbranch_execz .LBB94_671
; %bb.670:
	v_pk_mul_f32 v[112:113], v[102:103], v[12:13] op_sel:[1,1] op_sel_hi:[0,1]
	s_delay_alu instid0(VALU_DEP_1)
	v_pk_fma_f32 v[104:105], v[102:103], v[12:13], v[112:113] op_sel_hi:[1,0,1] neg_lo:[0,0,1] neg_hi:[0,0,1]
	v_pk_fma_f32 v[102:103], v[102:103], v[12:13], v[112:113] op_sel_hi:[1,0,1]
	ds_load_2addr_b64 v[112:115], v106 offset0:32 offset1:33
	v_dual_mov_b32 v12, v104 :: v_dual_mov_b32 v13, v103
	s_wait_dscnt 0x0
	v_pk_mul_f32 v[116:117], v[112:113], v[102:103] op_sel:[0,1]
	s_delay_alu instid0(VALU_DEP_1) | instskip(SKIP_1) | instid1(VALU_DEP_1)
	v_pk_fma_f32 v[118:119], v[112:113], v[104:105], v[116:117] op_sel:[0,0,1] op_sel_hi:[1,1,0] neg_lo:[0,0,1] neg_hi:[0,0,1]
	v_pk_fma_f32 v[112:113], v[112:113], v[104:105], v[116:117] op_sel:[0,0,1] op_sel_hi:[1,0,0]
	v_mov_b32_e32 v119, v113
	v_pk_mul_f32 v[112:113], v[114:115], v[102:103] op_sel:[0,1]
	s_delay_alu instid0(VALU_DEP_1) | instskip(SKIP_1) | instid1(VALU_DEP_1)
	v_pk_fma_f32 v[116:117], v[114:115], v[104:105], v[112:113] op_sel:[0,0,1] op_sel_hi:[1,1,0] neg_lo:[0,0,1] neg_hi:[0,0,1]
	v_pk_fma_f32 v[112:113], v[114:115], v[104:105], v[112:113] op_sel:[0,0,1] op_sel_hi:[1,0,0]
	v_mov_b32_e32 v117, v113
	ds_load_2addr_b64 v[112:115], v106 offset0:34 offset1:35
	v_pk_add_f32 v[48:49], v[48:49], v[118:119] neg_lo:[0,1] neg_hi:[0,1]
	v_pk_add_f32 v[44:45], v[44:45], v[116:117] neg_lo:[0,1] neg_hi:[0,1]
	s_wait_dscnt 0x0
	v_pk_mul_f32 v[116:117], v[112:113], v[102:103] op_sel:[0,1]
	s_delay_alu instid0(VALU_DEP_1) | instskip(SKIP_2) | instid1(VALU_DEP_2)
	v_pk_fma_f32 v[118:119], v[112:113], v[104:105], v[116:117] op_sel:[0,0,1] op_sel_hi:[1,1,0] neg_lo:[0,0,1] neg_hi:[0,0,1]
	v_pk_fma_f32 v[112:113], v[112:113], v[104:105], v[116:117] op_sel:[0,0,1] op_sel_hi:[1,0,0]
	v_dual_mul_f32 v116, v115, v103 :: v_dual_mov_b32 v112, v115
	v_dual_mov_b32 v119, v113 :: v_dual_mov_b32 v113, v114
	s_delay_alu instid0(VALU_DEP_2) | instskip(SKIP_1) | instid1(VALU_DEP_3)
	v_pk_fma_f32 v[116:117], v[114:115], v[12:13], v[116:117] op_sel_hi:[1,1,0] neg_lo:[0,0,1] neg_hi:[0,0,1]
	v_mul_f32_e32 v114, v115, v104
	v_pk_add_f32 v[46:47], v[46:47], v[118:119] neg_lo:[0,1] neg_hi:[0,1]
	s_delay_alu instid0(VALU_DEP_2) | instskip(NEXT) | instid1(VALU_DEP_1)
	v_pk_fma_f32 v[112:113], v[112:113], v[12:13], v[114:115] op_sel_hi:[1,1,0]
	v_mov_b32_e32 v117, v113
	ds_load_2addr_b64 v[112:115], v106 offset0:36 offset1:37
	v_pk_add_f32 v[10:11], v[10:11], v[116:117] neg_lo:[0,1] neg_hi:[0,1]
	s_wait_dscnt 0x0
	v_pk_mul_f32 v[116:117], v[112:113], v[102:103] op_sel:[0,1]
	s_delay_alu instid0(VALU_DEP_1) | instskip(SKIP_1) | instid1(VALU_DEP_1)
	v_pk_fma_f32 v[118:119], v[112:113], v[104:105], v[116:117] op_sel:[0,0,1] op_sel_hi:[1,1,0] neg_lo:[0,0,1] neg_hi:[0,0,1]
	v_pk_fma_f32 v[112:113], v[112:113], v[104:105], v[116:117] op_sel:[0,0,1] op_sel_hi:[1,0,0]
	v_mov_b32_e32 v119, v113
	v_pk_mul_f32 v[112:113], v[114:115], v[102:103] op_sel:[0,1]
	s_delay_alu instid0(VALU_DEP_1) | instskip(SKIP_1) | instid1(VALU_DEP_1)
	v_pk_fma_f32 v[116:117], v[114:115], v[104:105], v[112:113] op_sel:[0,0,1] op_sel_hi:[1,1,0] neg_lo:[0,0,1] neg_hi:[0,0,1]
	v_pk_fma_f32 v[112:113], v[114:115], v[104:105], v[112:113] op_sel:[0,0,1] op_sel_hi:[1,0,0]
	v_mov_b32_e32 v117, v113
	ds_load_2addr_b64 v[112:115], v106 offset0:38 offset1:39
	v_pk_add_f32 v[42:43], v[42:43], v[118:119] neg_lo:[0,1] neg_hi:[0,1]
	v_pk_add_f32 v[38:39], v[38:39], v[116:117] neg_lo:[0,1] neg_hi:[0,1]
	s_wait_dscnt 0x0
	v_pk_mul_f32 v[116:117], v[112:113], v[102:103] op_sel:[0,1]
	s_delay_alu instid0(VALU_DEP_1) | instskip(SKIP_1) | instid1(VALU_DEP_1)
	v_pk_fma_f32 v[118:119], v[112:113], v[104:105], v[116:117] op_sel:[0,0,1] op_sel_hi:[1,1,0] neg_lo:[0,0,1] neg_hi:[0,0,1]
	v_pk_fma_f32 v[112:113], v[112:113], v[104:105], v[116:117] op_sel:[0,0,1] op_sel_hi:[1,0,0]
	v_mov_b32_e32 v119, v113
	v_pk_mul_f32 v[112:113], v[114:115], v[102:103] op_sel:[0,1]
	s_delay_alu instid0(VALU_DEP_1) | instskip(SKIP_1) | instid1(VALU_DEP_1)
	v_pk_fma_f32 v[116:117], v[114:115], v[104:105], v[112:113] op_sel:[0,0,1] op_sel_hi:[1,1,0] neg_lo:[0,0,1] neg_hi:[0,0,1]
	v_pk_fma_f32 v[112:113], v[114:115], v[104:105], v[112:113] op_sel:[0,0,1] op_sel_hi:[1,0,0]
	v_mov_b32_e32 v117, v113
	ds_load_2addr_b64 v[112:115], v106 offset0:40 offset1:41
	v_pk_add_f32 v[40:41], v[40:41], v[118:119] neg_lo:[0,1] neg_hi:[0,1]
	v_pk_add_f32 v[6:7], v[6:7], v[116:117] neg_lo:[0,1] neg_hi:[0,1]
	s_wait_dscnt 0x0
	v_dual_mul_f32 v116, v113, v103 :: v_dual_mul_f32 v118, v113, v104
	s_delay_alu instid0(VALU_DEP_1) | instskip(NEXT) | instid1(VALU_DEP_2)
	v_pk_fma_f32 v[116:117], v[112:113], v[12:13], v[116:117] op_sel_hi:[1,1,0] neg_lo:[0,0,1] neg_hi:[0,0,1]
	v_pk_fma_f32 v[112:113], v[112:113], v[12:13], v[118:119] op_sel:[1,0,0] op_sel_hi:[0,1,0]
	s_delay_alu instid0(VALU_DEP_1) | instskip(SKIP_1) | instid1(VALU_DEP_2)
	v_mov_b32_e32 v117, v113
	v_pk_mul_f32 v[112:113], v[114:115], v[102:103] op_sel:[0,1]
	v_pk_add_f32 v[36:37], v[36:37], v[116:117] neg_lo:[0,1] neg_hi:[0,1]
	s_delay_alu instid0(VALU_DEP_2) | instskip(SKIP_1) | instid1(VALU_DEP_1)
	v_pk_fma_f32 v[116:117], v[114:115], v[104:105], v[112:113] op_sel:[0,0,1] op_sel_hi:[1,1,0] neg_lo:[0,0,1] neg_hi:[0,0,1]
	v_pk_fma_f32 v[112:113], v[114:115], v[104:105], v[112:113] op_sel:[0,0,1] op_sel_hi:[1,0,0]
	v_mov_b32_e32 v117, v113
	ds_load_2addr_b64 v[112:115], v106 offset0:42 offset1:43
	v_pk_add_f32 v[30:31], v[30:31], v[116:117] neg_lo:[0,1] neg_hi:[0,1]
	s_wait_dscnt 0x0
	v_pk_mul_f32 v[116:117], v[112:113], v[102:103] op_sel:[0,1]
	s_delay_alu instid0(VALU_DEP_1) | instskip(SKIP_1) | instid1(VALU_DEP_1)
	v_pk_fma_f32 v[118:119], v[112:113], v[104:105], v[116:117] op_sel:[0,0,1] op_sel_hi:[1,1,0] neg_lo:[0,0,1] neg_hi:[0,0,1]
	v_pk_fma_f32 v[112:113], v[112:113], v[104:105], v[116:117] op_sel:[0,0,1] op_sel_hi:[1,0,0]
	v_mov_b32_e32 v119, v113
	v_pk_mul_f32 v[112:113], v[114:115], v[102:103] op_sel:[0,1]
	s_delay_alu instid0(VALU_DEP_2) | instskip(NEXT) | instid1(VALU_DEP_2)
	v_pk_add_f32 v[34:35], v[34:35], v[118:119] neg_lo:[0,1] neg_hi:[0,1]
	v_pk_fma_f32 v[116:117], v[114:115], v[104:105], v[112:113] op_sel:[0,0,1] op_sel_hi:[1,1,0] neg_lo:[0,0,1] neg_hi:[0,0,1]
	v_pk_fma_f32 v[112:113], v[114:115], v[104:105], v[112:113] op_sel:[0,0,1] op_sel_hi:[1,0,0]
	s_delay_alu instid0(VALU_DEP_1) | instskip(SKIP_4) | instid1(VALU_DEP_1)
	v_mov_b32_e32 v117, v113
	ds_load_2addr_b64 v[112:115], v106 offset0:44 offset1:45
	v_pk_add_f32 v[8:9], v[8:9], v[116:117] neg_lo:[0,1] neg_hi:[0,1]
	s_wait_dscnt 0x0
	v_pk_mul_f32 v[116:117], v[112:113], v[102:103] op_sel:[0,1]
	v_pk_fma_f32 v[118:119], v[112:113], v[104:105], v[116:117] op_sel:[0,0,1] op_sel_hi:[1,1,0] neg_lo:[0,0,1] neg_hi:[0,0,1]
	v_pk_fma_f32 v[112:113], v[112:113], v[104:105], v[116:117] op_sel:[0,0,1] op_sel_hi:[1,0,0]
	v_dual_mul_f32 v116, v115, v103 :: v_dual_mov_b32 v112, v115
	s_delay_alu instid0(VALU_DEP_2) | instskip(NEXT) | instid1(VALU_DEP_2)
	v_dual_mov_b32 v119, v113 :: v_dual_mov_b32 v113, v114
	v_pk_fma_f32 v[116:117], v[114:115], v[12:13], v[116:117] op_sel_hi:[1,1,0] neg_lo:[0,0,1] neg_hi:[0,0,1]
	v_mul_f32_e32 v114, v115, v104
	s_delay_alu instid0(VALU_DEP_3) | instskip(NEXT) | instid1(VALU_DEP_2)
	v_pk_add_f32 v[28:29], v[28:29], v[118:119] neg_lo:[0,1] neg_hi:[0,1]
	v_pk_fma_f32 v[112:113], v[112:113], v[12:13], v[114:115] op_sel_hi:[1,1,0]
	s_delay_alu instid0(VALU_DEP_1)
	v_mov_b32_e32 v117, v113
	ds_load_2addr_b64 v[112:115], v106 offset0:46 offset1:47
	v_pk_add_f32 v[18:19], v[18:19], v[116:117] neg_lo:[0,1] neg_hi:[0,1]
	s_wait_dscnt 0x0
	v_pk_mul_f32 v[116:117], v[112:113], v[102:103] op_sel:[0,1]
	v_pk_mul_f32 v[102:103], v[114:115], v[102:103] op_sel:[0,1]
	s_delay_alu instid0(VALU_DEP_2) | instskip(SKIP_1) | instid1(VALU_DEP_1)
	v_pk_fma_f32 v[118:119], v[112:113], v[104:105], v[116:117] op_sel:[0,0,1] op_sel_hi:[1,1,0] neg_lo:[0,0,1] neg_hi:[0,0,1]
	v_pk_fma_f32 v[112:113], v[112:113], v[104:105], v[116:117] op_sel:[0,0,1] op_sel_hi:[1,0,0]
	v_mov_b32_e32 v119, v113
	s_delay_alu instid0(VALU_DEP_4) | instskip(SKIP_1) | instid1(VALU_DEP_1)
	v_pk_fma_f32 v[112:113], v[114:115], v[104:105], v[102:103] op_sel:[0,0,1] op_sel_hi:[1,1,0] neg_lo:[0,0,1] neg_hi:[0,0,1]
	v_pk_fma_f32 v[102:103], v[114:115], v[104:105], v[102:103] op_sel:[0,0,1] op_sel_hi:[1,0,0]
	v_mov_b32_e32 v113, v103
	s_delay_alu instid0(VALU_DEP_4) | instskip(NEXT) | instid1(VALU_DEP_2)
	v_pk_add_f32 v[14:15], v[14:15], v[118:119] neg_lo:[0,1] neg_hi:[0,1]
	v_pk_add_f32 v[100:101], v[100:101], v[112:113] neg_lo:[0,1] neg_hi:[0,1]
.LBB94_671:
	s_or_b32 exec_lo, exec_lo, s0
	v_lshl_add_u32 v102, v110, 3, v106
	s_barrier_signal -1
	s_barrier_wait -1
	ds_store_b64 v102, v[48:49]
	s_wait_dscnt 0x0
	s_barrier_signal -1
	s_barrier_wait -1
	ds_load_b64 v[102:103], v106 offset:256
	v_mov_b32_e32 v104, 32
	s_cmp_lt_i32 s18, 34
	s_cbranch_scc1 .LBB94_674
; %bb.672:
	v_add3_u32 v105, v107, 0, 0x108
	v_mov_b32_e32 v104, 32
	s_mov_b32 s0, 33
.LBB94_673:                             ; =>This Inner Loop Header: Depth=1
	ds_load_b64 v[112:113], v105
	s_wait_dscnt 0x1
	v_cmp_gt_f32_e32 vcc_lo, 0, v102
	v_cndmask_b32_e64 v114, v102, -v102, vcc_lo
	v_cmp_gt_f32_e32 vcc_lo, 0, v103
	v_cndmask_b32_e64 v116, v103, -v103, vcc_lo
	s_wait_dscnt 0x0
	v_cmp_gt_f32_e32 vcc_lo, 0, v112
	v_cndmask_b32_e64 v115, v112, -v112, vcc_lo
	v_cmp_gt_f32_e32 vcc_lo, 0, v113
	v_cndmask_b32_e64 v117, v113, -v113, vcc_lo
	s_delay_alu instid0(VALU_DEP_1) | instskip(NEXT) | instid1(VALU_DEP_1)
	v_pk_add_f32 v[114:115], v[114:115], v[116:117]
	v_cmp_lt_f32_e32 vcc_lo, v114, v115
	v_dual_cndmask_b32 v102, v102, v112 :: v_dual_add_nc_u32 v105, 8, v105
	v_cndmask_b32_e32 v103, v103, v113, vcc_lo
	v_cndmask_b32_e64 v104, v104, s0, vcc_lo
	s_add_co_i32 s0, s0, 1
	s_delay_alu instid0(SALU_CYCLE_1)
	s_cmp_lg_u32 s18, s0
	s_cbranch_scc1 .LBB94_673
.LBB94_674:
	s_wait_dscnt 0x0
	v_cmp_eq_f32_e32 vcc_lo, 0, v102
	v_cmp_eq_f32_e64 s0, 0, v103
	s_and_b32 s0, vcc_lo, s0
	s_delay_alu instid0(SALU_CYCLE_1) | instskip(NEXT) | instid1(SALU_CYCLE_1)
	s_and_saveexec_b32 s1, s0
	s_xor_b32 s0, exec_lo, s1
; %bb.675:
	v_cmp_ne_u32_e32 vcc_lo, 0, v108
	v_cndmask_b32_e32 v108, 33, v108, vcc_lo
; %bb.676:
	s_and_not1_saveexec_b32 s0, s0
	s_cbranch_execz .LBB94_682
; %bb.677:
	v_cmp_ngt_f32_e64 s1, |v102|, |v103|
	s_and_saveexec_b32 s12, s1
	s_delay_alu instid0(SALU_CYCLE_1)
	s_xor_b32 s1, exec_lo, s12
	s_cbranch_execz .LBB94_679
; %bb.678:
	v_div_scale_f32 v105, null, v103, v103, v102
	v_div_scale_f32 v113, vcc_lo, v102, v103, v102
	s_delay_alu instid0(VALU_DEP_2) | instskip(SKIP_1) | instid1(TRANS32_DEP_1)
	v_rcp_f32_e32 v111, v105
	v_nop
	v_fma_f32 v112, -v105, v111, 1.0
	s_delay_alu instid0(VALU_DEP_1) | instskip(NEXT) | instid1(VALU_DEP_1)
	v_fmac_f32_e32 v111, v112, v111
	v_mul_f32_e32 v112, v113, v111
	s_delay_alu instid0(VALU_DEP_1) | instskip(NEXT) | instid1(VALU_DEP_1)
	v_fma_f32 v114, -v105, v112, v113
	v_fmac_f32_e32 v112, v114, v111
	s_delay_alu instid0(VALU_DEP_1) | instskip(NEXT) | instid1(VALU_DEP_1)
	v_fma_f32 v105, -v105, v112, v113
	v_div_fmas_f32 v105, v105, v111, v112
	s_delay_alu instid0(VALU_DEP_1) | instskip(NEXT) | instid1(VALU_DEP_1)
	v_div_fixup_f32 v105, v105, v103, v102
	v_fmac_f32_e32 v103, v102, v105
	s_delay_alu instid0(VALU_DEP_1) | instskip(SKIP_1) | instid1(VALU_DEP_2)
	v_div_scale_f32 v102, null, v103, v103, 1.0
	v_div_scale_f32 v113, vcc_lo, 1.0, v103, 1.0
	v_rcp_f32_e32 v111, v102
	v_nop
	s_delay_alu instid0(TRANS32_DEP_1) | instskip(NEXT) | instid1(VALU_DEP_1)
	v_fma_f32 v112, -v102, v111, 1.0
	v_fmac_f32_e32 v111, v112, v111
	s_delay_alu instid0(VALU_DEP_1) | instskip(NEXT) | instid1(VALU_DEP_1)
	v_mul_f32_e32 v112, v113, v111
	v_fma_f32 v114, -v102, v112, v113
	s_delay_alu instid0(VALU_DEP_1) | instskip(NEXT) | instid1(VALU_DEP_1)
	v_fmac_f32_e32 v112, v114, v111
	v_fma_f32 v102, -v102, v112, v113
	s_delay_alu instid0(VALU_DEP_1) | instskip(NEXT) | instid1(VALU_DEP_1)
	v_div_fmas_f32 v102, v102, v111, v112
	v_div_fixup_f32 v103, v102, v103, 1.0
	s_delay_alu instid0(VALU_DEP_1)
	v_mul_f32_e32 v102, v105, v103
	v_xor_b32_e32 v103, 0x80000000, v103
.LBB94_679:
	s_and_not1_saveexec_b32 s1, s1
	s_cbranch_execz .LBB94_681
; %bb.680:
	s_delay_alu instid0(VALU_DEP_1) | instskip(SKIP_1) | instid1(VALU_DEP_2)
	v_div_scale_f32 v105, null, v102, v102, v103
	v_div_scale_f32 v113, vcc_lo, v103, v102, v103
	v_rcp_f32_e32 v111, v105
	v_nop
	s_delay_alu instid0(TRANS32_DEP_1) | instskip(NEXT) | instid1(VALU_DEP_1)
	v_fma_f32 v112, -v105, v111, 1.0
	v_fmac_f32_e32 v111, v112, v111
	s_delay_alu instid0(VALU_DEP_1) | instskip(NEXT) | instid1(VALU_DEP_1)
	v_mul_f32_e32 v112, v113, v111
	v_fma_f32 v114, -v105, v112, v113
	s_delay_alu instid0(VALU_DEP_1) | instskip(NEXT) | instid1(VALU_DEP_1)
	v_fmac_f32_e32 v112, v114, v111
	v_fma_f32 v105, -v105, v112, v113
	s_delay_alu instid0(VALU_DEP_1) | instskip(NEXT) | instid1(VALU_DEP_1)
	v_div_fmas_f32 v105, v105, v111, v112
	v_div_fixup_f32 v105, v105, v102, v103
	s_delay_alu instid0(VALU_DEP_1) | instskip(NEXT) | instid1(VALU_DEP_1)
	v_fmac_f32_e32 v102, v103, v105
	v_div_scale_f32 v103, null, v102, v102, 1.0
	s_delay_alu instid0(VALU_DEP_1) | instskip(SKIP_1) | instid1(TRANS32_DEP_1)
	v_rcp_f32_e32 v111, v103
	v_nop
	v_fma_f32 v112, -v103, v111, 1.0
	s_delay_alu instid0(VALU_DEP_1) | instskip(SKIP_1) | instid1(VALU_DEP_1)
	v_fmac_f32_e32 v111, v112, v111
	v_div_scale_f32 v112, vcc_lo, 1.0, v102, 1.0
	v_mul_f32_e32 v113, v112, v111
	s_delay_alu instid0(VALU_DEP_1) | instskip(NEXT) | instid1(VALU_DEP_1)
	v_fma_f32 v114, -v103, v113, v112
	v_fmac_f32_e32 v113, v114, v111
	s_delay_alu instid0(VALU_DEP_1) | instskip(NEXT) | instid1(VALU_DEP_1)
	v_fma_f32 v103, -v103, v113, v112
	v_div_fmas_f32 v103, v103, v111, v113
	s_delay_alu instid0(VALU_DEP_1) | instskip(NEXT) | instid1(VALU_DEP_1)
	v_div_fixup_f32 v102, v103, v102, 1.0
	v_mul_f32_e64 v103, v105, -v102
.LBB94_681:
	s_or_b32 exec_lo, exec_lo, s1
.LBB94_682:
	s_delay_alu instid0(SALU_CYCLE_1) | instskip(NEXT) | instid1(SALU_CYCLE_1)
	s_or_b32 exec_lo, exec_lo, s0
	s_mov_b32 s0, exec_lo
	v_cmpx_ne_u32_e64 v110, v104
	s_xor_b32 s0, exec_lo, s0
	s_cbranch_execz .LBB94_688
; %bb.683:
	s_mov_b32 s1, exec_lo
	v_cmpx_eq_u32_e32 32, v110
	s_cbranch_execz .LBB94_687
; %bb.684:
	v_cmp_ne_u32_e32 vcc_lo, 32, v104
	s_xor_b32 s12, s16, -1
	s_delay_alu instid0(SALU_CYCLE_1) | instskip(NEXT) | instid1(SALU_CYCLE_1)
	s_and_b32 s13, s12, vcc_lo
	s_and_saveexec_b32 s12, s13
	s_cbranch_execz .LBB94_686
; %bb.685:
	v_ashrrev_i32_e32 v105, 31, v104
	s_delay_alu instid0(VALU_DEP_1)
	v_lshl_add_u64 v[110:111], v[104:105], 2, v[4:5]
	s_clause 0x1
	global_load_b32 v105, v[110:111], off
	global_load_b32 v109, v[4:5], off offset:128
	s_wait_loadcnt 0x1
	global_store_b32 v[4:5], v105, off offset:128
	s_wait_loadcnt 0x0
	global_store_b32 v[110:111], v109, off
.LBB94_686:
	s_wait_xcnt 0x0
	s_or_b32 exec_lo, exec_lo, s12
	v_dual_mov_b32 v110, v104 :: v_dual_mov_b32 v109, v104
.LBB94_687:
	s_or_b32 exec_lo, exec_lo, s1
.LBB94_688:
	s_and_not1_saveexec_b32 s0, s0
	s_cbranch_execz .LBB94_690
; %bb.689:
	v_mov_b32_e32 v110, 32
	ds_store_2addr_b64 v106, v[44:45], v[46:47] offset0:33 offset1:34
	ds_store_2addr_b64 v106, v[10:11], v[42:43] offset0:35 offset1:36
	;; [unrolled: 1-line block ×7, first 2 shown]
	ds_store_b64 v106, v[100:101] offset:376
.LBB94_690:
	s_or_b32 exec_lo, exec_lo, s0
	s_delay_alu instid0(SALU_CYCLE_1)
	s_mov_b32 s0, exec_lo
	s_wait_storecnt_dscnt 0x0
	s_barrier_signal -1
	s_barrier_wait -1
	v_cmpx_lt_i32_e32 32, v110
	s_cbranch_execz .LBB94_692
; %bb.691:
	v_pk_mul_f32 v[112:113], v[102:103], v[48:49] op_sel:[1,1] op_sel_hi:[0,1]
	s_delay_alu instid0(VALU_DEP_1)
	v_pk_fma_f32 v[104:105], v[102:103], v[48:49], v[112:113] op_sel_hi:[1,0,1] neg_lo:[0,0,1] neg_hi:[0,0,1]
	v_pk_fma_f32 v[102:103], v[102:103], v[48:49], v[112:113] op_sel_hi:[1,0,1]
	ds_load_2addr_b64 v[112:115], v106 offset0:33 offset1:34
	v_dual_mov_b32 v48, v104 :: v_dual_mov_b32 v49, v103
	s_wait_dscnt 0x0
	v_pk_mul_f32 v[116:117], v[112:113], v[102:103] op_sel:[0,1]
	s_delay_alu instid0(VALU_DEP_1) | instskip(SKIP_1) | instid1(VALU_DEP_1)
	v_pk_fma_f32 v[118:119], v[112:113], v[104:105], v[116:117] op_sel:[0,0,1] op_sel_hi:[1,1,0] neg_lo:[0,0,1] neg_hi:[0,0,1]
	v_pk_fma_f32 v[112:113], v[112:113], v[104:105], v[116:117] op_sel:[0,0,1] op_sel_hi:[1,0,0]
	v_mov_b32_e32 v119, v113
	v_pk_mul_f32 v[112:113], v[114:115], v[102:103] op_sel:[0,1]
	s_delay_alu instid0(VALU_DEP_1) | instskip(SKIP_1) | instid1(VALU_DEP_1)
	v_pk_fma_f32 v[116:117], v[114:115], v[104:105], v[112:113] op_sel:[0,0,1] op_sel_hi:[1,1,0] neg_lo:[0,0,1] neg_hi:[0,0,1]
	v_pk_fma_f32 v[112:113], v[114:115], v[104:105], v[112:113] op_sel:[0,0,1] op_sel_hi:[1,0,0]
	v_mov_b32_e32 v117, v113
	ds_load_2addr_b64 v[112:115], v106 offset0:35 offset1:36
	v_pk_add_f32 v[44:45], v[44:45], v[118:119] neg_lo:[0,1] neg_hi:[0,1]
	v_pk_add_f32 v[46:47], v[46:47], v[116:117] neg_lo:[0,1] neg_hi:[0,1]
	s_wait_dscnt 0x0
	v_pk_mul_f32 v[116:117], v[112:113], v[102:103] op_sel:[0,1]
	s_delay_alu instid0(VALU_DEP_1) | instskip(SKIP_2) | instid1(VALU_DEP_2)
	v_pk_fma_f32 v[118:119], v[112:113], v[104:105], v[116:117] op_sel:[0,0,1] op_sel_hi:[1,1,0] neg_lo:[0,0,1] neg_hi:[0,0,1]
	v_pk_fma_f32 v[112:113], v[112:113], v[104:105], v[116:117] op_sel:[0,0,1] op_sel_hi:[1,0,0]
	v_dual_mul_f32 v116, v115, v103 :: v_dual_mov_b32 v112, v115
	v_dual_mov_b32 v119, v113 :: v_dual_mov_b32 v113, v114
	s_delay_alu instid0(VALU_DEP_2) | instskip(SKIP_1) | instid1(VALU_DEP_3)
	v_pk_fma_f32 v[116:117], v[114:115], v[48:49], v[116:117] op_sel_hi:[1,1,0] neg_lo:[0,0,1] neg_hi:[0,0,1]
	v_mul_f32_e32 v114, v115, v104
	v_pk_add_f32 v[10:11], v[10:11], v[118:119] neg_lo:[0,1] neg_hi:[0,1]
	s_delay_alu instid0(VALU_DEP_2) | instskip(NEXT) | instid1(VALU_DEP_1)
	v_pk_fma_f32 v[112:113], v[112:113], v[48:49], v[114:115] op_sel_hi:[1,1,0]
	v_mov_b32_e32 v117, v113
	ds_load_2addr_b64 v[112:115], v106 offset0:37 offset1:38
	v_pk_add_f32 v[42:43], v[42:43], v[116:117] neg_lo:[0,1] neg_hi:[0,1]
	s_wait_dscnt 0x0
	v_pk_mul_f32 v[116:117], v[112:113], v[102:103] op_sel:[0,1]
	s_delay_alu instid0(VALU_DEP_1) | instskip(SKIP_1) | instid1(VALU_DEP_1)
	v_pk_fma_f32 v[118:119], v[112:113], v[104:105], v[116:117] op_sel:[0,0,1] op_sel_hi:[1,1,0] neg_lo:[0,0,1] neg_hi:[0,0,1]
	v_pk_fma_f32 v[112:113], v[112:113], v[104:105], v[116:117] op_sel:[0,0,1] op_sel_hi:[1,0,0]
	v_mov_b32_e32 v119, v113
	v_pk_mul_f32 v[112:113], v[114:115], v[102:103] op_sel:[0,1]
	s_delay_alu instid0(VALU_DEP_1) | instskip(SKIP_1) | instid1(VALU_DEP_1)
	v_pk_fma_f32 v[116:117], v[114:115], v[104:105], v[112:113] op_sel:[0,0,1] op_sel_hi:[1,1,0] neg_lo:[0,0,1] neg_hi:[0,0,1]
	v_pk_fma_f32 v[112:113], v[114:115], v[104:105], v[112:113] op_sel:[0,0,1] op_sel_hi:[1,0,0]
	v_mov_b32_e32 v117, v113
	ds_load_2addr_b64 v[112:115], v106 offset0:39 offset1:40
	v_pk_add_f32 v[38:39], v[38:39], v[118:119] neg_lo:[0,1] neg_hi:[0,1]
	v_pk_add_f32 v[40:41], v[40:41], v[116:117] neg_lo:[0,1] neg_hi:[0,1]
	s_wait_dscnt 0x0
	v_pk_mul_f32 v[116:117], v[112:113], v[102:103] op_sel:[0,1]
	s_delay_alu instid0(VALU_DEP_1) | instskip(SKIP_1) | instid1(VALU_DEP_1)
	v_pk_fma_f32 v[118:119], v[112:113], v[104:105], v[116:117] op_sel:[0,0,1] op_sel_hi:[1,1,0] neg_lo:[0,0,1] neg_hi:[0,0,1]
	v_pk_fma_f32 v[112:113], v[112:113], v[104:105], v[116:117] op_sel:[0,0,1] op_sel_hi:[1,0,0]
	v_mov_b32_e32 v119, v113
	v_pk_mul_f32 v[112:113], v[114:115], v[102:103] op_sel:[0,1]
	s_delay_alu instid0(VALU_DEP_1) | instskip(SKIP_1) | instid1(VALU_DEP_1)
	v_pk_fma_f32 v[116:117], v[114:115], v[104:105], v[112:113] op_sel:[0,0,1] op_sel_hi:[1,1,0] neg_lo:[0,0,1] neg_hi:[0,0,1]
	v_pk_fma_f32 v[112:113], v[114:115], v[104:105], v[112:113] op_sel:[0,0,1] op_sel_hi:[1,0,0]
	v_mov_b32_e32 v117, v113
	ds_load_2addr_b64 v[112:115], v106 offset0:41 offset1:42
	v_pk_add_f32 v[6:7], v[6:7], v[118:119] neg_lo:[0,1] neg_hi:[0,1]
	v_pk_add_f32 v[36:37], v[36:37], v[116:117] neg_lo:[0,1] neg_hi:[0,1]
	s_wait_dscnt 0x0
	v_dual_mul_f32 v116, v113, v103 :: v_dual_mul_f32 v118, v113, v104
	s_delay_alu instid0(VALU_DEP_1) | instskip(NEXT) | instid1(VALU_DEP_2)
	v_pk_fma_f32 v[116:117], v[112:113], v[48:49], v[116:117] op_sel_hi:[1,1,0] neg_lo:[0,0,1] neg_hi:[0,0,1]
	v_pk_fma_f32 v[112:113], v[112:113], v[48:49], v[118:119] op_sel:[1,0,0] op_sel_hi:[0,1,0]
	s_delay_alu instid0(VALU_DEP_1) | instskip(SKIP_1) | instid1(VALU_DEP_2)
	v_mov_b32_e32 v117, v113
	v_pk_mul_f32 v[112:113], v[114:115], v[102:103] op_sel:[0,1]
	v_pk_add_f32 v[30:31], v[30:31], v[116:117] neg_lo:[0,1] neg_hi:[0,1]
	s_delay_alu instid0(VALU_DEP_2) | instskip(SKIP_1) | instid1(VALU_DEP_1)
	v_pk_fma_f32 v[116:117], v[114:115], v[104:105], v[112:113] op_sel:[0,0,1] op_sel_hi:[1,1,0] neg_lo:[0,0,1] neg_hi:[0,0,1]
	v_pk_fma_f32 v[112:113], v[114:115], v[104:105], v[112:113] op_sel:[0,0,1] op_sel_hi:[1,0,0]
	v_mov_b32_e32 v117, v113
	ds_load_2addr_b64 v[112:115], v106 offset0:43 offset1:44
	v_pk_add_f32 v[34:35], v[34:35], v[116:117] neg_lo:[0,1] neg_hi:[0,1]
	s_wait_dscnt 0x0
	v_pk_mul_f32 v[116:117], v[112:113], v[102:103] op_sel:[0,1]
	s_delay_alu instid0(VALU_DEP_1) | instskip(SKIP_1) | instid1(VALU_DEP_1)
	v_pk_fma_f32 v[118:119], v[112:113], v[104:105], v[116:117] op_sel:[0,0,1] op_sel_hi:[1,1,0] neg_lo:[0,0,1] neg_hi:[0,0,1]
	v_pk_fma_f32 v[112:113], v[112:113], v[104:105], v[116:117] op_sel:[0,0,1] op_sel_hi:[1,0,0]
	v_mov_b32_e32 v119, v113
	v_pk_mul_f32 v[112:113], v[114:115], v[102:103] op_sel:[0,1]
	s_delay_alu instid0(VALU_DEP_2) | instskip(NEXT) | instid1(VALU_DEP_2)
	v_pk_add_f32 v[8:9], v[8:9], v[118:119] neg_lo:[0,1] neg_hi:[0,1]
	v_pk_fma_f32 v[116:117], v[114:115], v[104:105], v[112:113] op_sel:[0,0,1] op_sel_hi:[1,1,0] neg_lo:[0,0,1] neg_hi:[0,0,1]
	v_pk_fma_f32 v[112:113], v[114:115], v[104:105], v[112:113] op_sel:[0,0,1] op_sel_hi:[1,0,0]
	s_delay_alu instid0(VALU_DEP_1) | instskip(SKIP_4) | instid1(VALU_DEP_1)
	v_mov_b32_e32 v117, v113
	ds_load_2addr_b64 v[112:115], v106 offset0:45 offset1:46
	v_pk_add_f32 v[28:29], v[28:29], v[116:117] neg_lo:[0,1] neg_hi:[0,1]
	s_wait_dscnt 0x0
	v_pk_mul_f32 v[116:117], v[112:113], v[102:103] op_sel:[0,1]
	v_pk_fma_f32 v[118:119], v[112:113], v[104:105], v[116:117] op_sel:[0,0,1] op_sel_hi:[1,1,0] neg_lo:[0,0,1] neg_hi:[0,0,1]
	v_pk_fma_f32 v[112:113], v[112:113], v[104:105], v[116:117] op_sel:[0,0,1] op_sel_hi:[1,0,0]
	v_dual_mul_f32 v116, v115, v103 :: v_dual_mov_b32 v112, v115
	s_delay_alu instid0(VALU_DEP_2) | instskip(NEXT) | instid1(VALU_DEP_2)
	v_dual_mov_b32 v119, v113 :: v_dual_mov_b32 v113, v114
	v_pk_fma_f32 v[116:117], v[114:115], v[48:49], v[116:117] op_sel_hi:[1,1,0] neg_lo:[0,0,1] neg_hi:[0,0,1]
	v_mul_f32_e32 v114, v115, v104
	s_delay_alu instid0(VALU_DEP_3) | instskip(NEXT) | instid1(VALU_DEP_2)
	v_pk_add_f32 v[18:19], v[18:19], v[118:119] neg_lo:[0,1] neg_hi:[0,1]
	v_pk_fma_f32 v[112:113], v[112:113], v[48:49], v[114:115] op_sel_hi:[1,1,0]
	s_delay_alu instid0(VALU_DEP_1) | instskip(SKIP_4) | instid1(VALU_DEP_1)
	v_mov_b32_e32 v117, v113
	ds_load_b64 v[112:113], v106 offset:376
	v_pk_add_f32 v[14:15], v[14:15], v[116:117] neg_lo:[0,1] neg_hi:[0,1]
	s_wait_dscnt 0x0
	v_pk_mul_f32 v[102:103], v[112:113], v[102:103] op_sel:[0,1]
	v_pk_fma_f32 v[114:115], v[112:113], v[104:105], v[102:103] op_sel:[0,0,1] op_sel_hi:[1,1,0] neg_lo:[0,0,1] neg_hi:[0,0,1]
	v_pk_fma_f32 v[102:103], v[112:113], v[104:105], v[102:103] op_sel:[0,0,1] op_sel_hi:[1,0,0]
	s_delay_alu instid0(VALU_DEP_1) | instskip(NEXT) | instid1(VALU_DEP_1)
	v_mov_b32_e32 v115, v103
	v_pk_add_f32 v[100:101], v[100:101], v[114:115] neg_lo:[0,1] neg_hi:[0,1]
.LBB94_692:
	s_or_b32 exec_lo, exec_lo, s0
	v_lshl_add_u32 v102, v110, 3, v106
	s_barrier_signal -1
	s_barrier_wait -1
	ds_store_b64 v102, v[44:45]
	s_wait_dscnt 0x0
	s_barrier_signal -1
	s_barrier_wait -1
	ds_load_b64 v[102:103], v106 offset:264
	v_mov_b32_e32 v104, 33
	s_cmp_lt_i32 s18, 35
	s_cbranch_scc1 .LBB94_695
; %bb.693:
	v_add3_u32 v105, v107, 0, 0x110
	v_mov_b32_e32 v104, 33
	s_mov_b32 s0, 34
.LBB94_694:                             ; =>This Inner Loop Header: Depth=1
	ds_load_b64 v[112:113], v105
	s_wait_dscnt 0x1
	v_cmp_gt_f32_e32 vcc_lo, 0, v102
	v_cndmask_b32_e64 v114, v102, -v102, vcc_lo
	v_cmp_gt_f32_e32 vcc_lo, 0, v103
	v_cndmask_b32_e64 v116, v103, -v103, vcc_lo
	s_wait_dscnt 0x0
	v_cmp_gt_f32_e32 vcc_lo, 0, v112
	v_cndmask_b32_e64 v115, v112, -v112, vcc_lo
	v_cmp_gt_f32_e32 vcc_lo, 0, v113
	v_cndmask_b32_e64 v117, v113, -v113, vcc_lo
	s_delay_alu instid0(VALU_DEP_1) | instskip(NEXT) | instid1(VALU_DEP_1)
	v_pk_add_f32 v[114:115], v[114:115], v[116:117]
	v_cmp_lt_f32_e32 vcc_lo, v114, v115
	v_dual_cndmask_b32 v102, v102, v112 :: v_dual_add_nc_u32 v105, 8, v105
	v_cndmask_b32_e32 v103, v103, v113, vcc_lo
	v_cndmask_b32_e64 v104, v104, s0, vcc_lo
	s_add_co_i32 s0, s0, 1
	s_delay_alu instid0(SALU_CYCLE_1)
	s_cmp_lg_u32 s18, s0
	s_cbranch_scc1 .LBB94_694
.LBB94_695:
	s_wait_dscnt 0x0
	v_cmp_eq_f32_e32 vcc_lo, 0, v102
	v_cmp_eq_f32_e64 s0, 0, v103
	s_and_b32 s0, vcc_lo, s0
	s_delay_alu instid0(SALU_CYCLE_1) | instskip(NEXT) | instid1(SALU_CYCLE_1)
	s_and_saveexec_b32 s1, s0
	s_xor_b32 s0, exec_lo, s1
; %bb.696:
	v_cmp_ne_u32_e32 vcc_lo, 0, v108
	v_cndmask_b32_e32 v108, 34, v108, vcc_lo
; %bb.697:
	s_and_not1_saveexec_b32 s0, s0
	s_cbranch_execz .LBB94_703
; %bb.698:
	v_cmp_ngt_f32_e64 s1, |v102|, |v103|
	s_and_saveexec_b32 s12, s1
	s_delay_alu instid0(SALU_CYCLE_1)
	s_xor_b32 s1, exec_lo, s12
	s_cbranch_execz .LBB94_700
; %bb.699:
	v_div_scale_f32 v105, null, v103, v103, v102
	v_div_scale_f32 v113, vcc_lo, v102, v103, v102
	s_delay_alu instid0(VALU_DEP_2) | instskip(SKIP_1) | instid1(TRANS32_DEP_1)
	v_rcp_f32_e32 v111, v105
	v_nop
	v_fma_f32 v112, -v105, v111, 1.0
	s_delay_alu instid0(VALU_DEP_1) | instskip(NEXT) | instid1(VALU_DEP_1)
	v_fmac_f32_e32 v111, v112, v111
	v_mul_f32_e32 v112, v113, v111
	s_delay_alu instid0(VALU_DEP_1) | instskip(NEXT) | instid1(VALU_DEP_1)
	v_fma_f32 v114, -v105, v112, v113
	v_fmac_f32_e32 v112, v114, v111
	s_delay_alu instid0(VALU_DEP_1) | instskip(NEXT) | instid1(VALU_DEP_1)
	v_fma_f32 v105, -v105, v112, v113
	v_div_fmas_f32 v105, v105, v111, v112
	s_delay_alu instid0(VALU_DEP_1) | instskip(NEXT) | instid1(VALU_DEP_1)
	v_div_fixup_f32 v105, v105, v103, v102
	v_fmac_f32_e32 v103, v102, v105
	s_delay_alu instid0(VALU_DEP_1) | instskip(SKIP_1) | instid1(VALU_DEP_2)
	v_div_scale_f32 v102, null, v103, v103, 1.0
	v_div_scale_f32 v113, vcc_lo, 1.0, v103, 1.0
	v_rcp_f32_e32 v111, v102
	v_nop
	s_delay_alu instid0(TRANS32_DEP_1) | instskip(NEXT) | instid1(VALU_DEP_1)
	v_fma_f32 v112, -v102, v111, 1.0
	v_fmac_f32_e32 v111, v112, v111
	s_delay_alu instid0(VALU_DEP_1) | instskip(NEXT) | instid1(VALU_DEP_1)
	v_mul_f32_e32 v112, v113, v111
	v_fma_f32 v114, -v102, v112, v113
	s_delay_alu instid0(VALU_DEP_1) | instskip(NEXT) | instid1(VALU_DEP_1)
	v_fmac_f32_e32 v112, v114, v111
	v_fma_f32 v102, -v102, v112, v113
	s_delay_alu instid0(VALU_DEP_1) | instskip(NEXT) | instid1(VALU_DEP_1)
	v_div_fmas_f32 v102, v102, v111, v112
	v_div_fixup_f32 v103, v102, v103, 1.0
	s_delay_alu instid0(VALU_DEP_1)
	v_mul_f32_e32 v102, v105, v103
	v_xor_b32_e32 v103, 0x80000000, v103
.LBB94_700:
	s_and_not1_saveexec_b32 s1, s1
	s_cbranch_execz .LBB94_702
; %bb.701:
	s_delay_alu instid0(VALU_DEP_1) | instskip(SKIP_1) | instid1(VALU_DEP_2)
	v_div_scale_f32 v105, null, v102, v102, v103
	v_div_scale_f32 v113, vcc_lo, v103, v102, v103
	v_rcp_f32_e32 v111, v105
	v_nop
	s_delay_alu instid0(TRANS32_DEP_1) | instskip(NEXT) | instid1(VALU_DEP_1)
	v_fma_f32 v112, -v105, v111, 1.0
	v_fmac_f32_e32 v111, v112, v111
	s_delay_alu instid0(VALU_DEP_1) | instskip(NEXT) | instid1(VALU_DEP_1)
	v_mul_f32_e32 v112, v113, v111
	v_fma_f32 v114, -v105, v112, v113
	s_delay_alu instid0(VALU_DEP_1) | instskip(NEXT) | instid1(VALU_DEP_1)
	v_fmac_f32_e32 v112, v114, v111
	v_fma_f32 v105, -v105, v112, v113
	s_delay_alu instid0(VALU_DEP_1) | instskip(NEXT) | instid1(VALU_DEP_1)
	v_div_fmas_f32 v105, v105, v111, v112
	v_div_fixup_f32 v105, v105, v102, v103
	s_delay_alu instid0(VALU_DEP_1) | instskip(NEXT) | instid1(VALU_DEP_1)
	v_fmac_f32_e32 v102, v103, v105
	v_div_scale_f32 v103, null, v102, v102, 1.0
	s_delay_alu instid0(VALU_DEP_1) | instskip(SKIP_1) | instid1(TRANS32_DEP_1)
	v_rcp_f32_e32 v111, v103
	v_nop
	v_fma_f32 v112, -v103, v111, 1.0
	s_delay_alu instid0(VALU_DEP_1) | instskip(SKIP_1) | instid1(VALU_DEP_1)
	v_fmac_f32_e32 v111, v112, v111
	v_div_scale_f32 v112, vcc_lo, 1.0, v102, 1.0
	v_mul_f32_e32 v113, v112, v111
	s_delay_alu instid0(VALU_DEP_1) | instskip(NEXT) | instid1(VALU_DEP_1)
	v_fma_f32 v114, -v103, v113, v112
	v_fmac_f32_e32 v113, v114, v111
	s_delay_alu instid0(VALU_DEP_1) | instskip(NEXT) | instid1(VALU_DEP_1)
	v_fma_f32 v103, -v103, v113, v112
	v_div_fmas_f32 v103, v103, v111, v113
	s_delay_alu instid0(VALU_DEP_1) | instskip(NEXT) | instid1(VALU_DEP_1)
	v_div_fixup_f32 v102, v103, v102, 1.0
	v_mul_f32_e64 v103, v105, -v102
.LBB94_702:
	s_or_b32 exec_lo, exec_lo, s1
.LBB94_703:
	s_delay_alu instid0(SALU_CYCLE_1) | instskip(NEXT) | instid1(SALU_CYCLE_1)
	s_or_b32 exec_lo, exec_lo, s0
	s_mov_b32 s0, exec_lo
	v_cmpx_ne_u32_e64 v110, v104
	s_xor_b32 s0, exec_lo, s0
	s_cbranch_execz .LBB94_709
; %bb.704:
	s_mov_b32 s1, exec_lo
	v_cmpx_eq_u32_e32 33, v110
	s_cbranch_execz .LBB94_708
; %bb.705:
	v_cmp_ne_u32_e32 vcc_lo, 33, v104
	s_xor_b32 s12, s16, -1
	s_delay_alu instid0(SALU_CYCLE_1) | instskip(NEXT) | instid1(SALU_CYCLE_1)
	s_and_b32 s13, s12, vcc_lo
	s_and_saveexec_b32 s12, s13
	s_cbranch_execz .LBB94_707
; %bb.706:
	v_ashrrev_i32_e32 v105, 31, v104
	s_delay_alu instid0(VALU_DEP_1)
	v_lshl_add_u64 v[110:111], v[104:105], 2, v[4:5]
	s_clause 0x1
	global_load_b32 v105, v[110:111], off
	global_load_b32 v109, v[4:5], off offset:132
	s_wait_loadcnt 0x1
	global_store_b32 v[4:5], v105, off offset:132
	s_wait_loadcnt 0x0
	global_store_b32 v[110:111], v109, off
.LBB94_707:
	s_wait_xcnt 0x0
	s_or_b32 exec_lo, exec_lo, s12
	v_dual_mov_b32 v110, v104 :: v_dual_mov_b32 v109, v104
.LBB94_708:
	s_or_b32 exec_lo, exec_lo, s1
.LBB94_709:
	s_and_not1_saveexec_b32 s0, s0
	s_cbranch_execz .LBB94_711
; %bb.710:
	v_dual_mov_b32 v104, v46 :: v_dual_mov_b32 v105, v47
	v_dual_mov_b32 v110, v10 :: v_dual_mov_b32 v111, v11
	;; [unrolled: 1-line block ×4, first 2 shown]
	ds_store_2addr_b64 v106, v[104:105], v[110:111] offset0:34 offset1:35
	ds_store_2addr_b64 v106, v[112:113], v[114:115] offset0:36 offset1:37
	v_dual_mov_b32 v104, v40 :: v_dual_mov_b32 v105, v41
	v_dual_mov_b32 v112, v6 :: v_dual_mov_b32 v113, v7
	;; [unrolled: 1-line block ×9, first 2 shown]
	v_mov_b32_e32 v127, v15
	ds_store_2addr_b64 v106, v[104:105], v[112:113] offset0:38 offset1:39
	ds_store_2addr_b64 v106, v[114:115], v[116:117] offset0:40 offset1:41
	;; [unrolled: 1-line block ×5, first 2 shown]
.LBB94_711:
	s_or_b32 exec_lo, exec_lo, s0
	s_delay_alu instid0(SALU_CYCLE_1)
	s_mov_b32 s0, exec_lo
	s_wait_storecnt_dscnt 0x0
	s_barrier_signal -1
	s_barrier_wait -1
	v_cmpx_lt_i32_e32 33, v110
	s_cbranch_execz .LBB94_713
; %bb.712:
	v_pk_mul_f32 v[104:105], v[102:103], v[44:45] op_sel:[1,1] op_sel_hi:[0,1]
	s_delay_alu instid0(VALU_DEP_1)
	v_pk_fma_f32 v[112:113], v[102:103], v[44:45], v[104:105] op_sel_hi:[1,0,1] neg_lo:[0,0,1] neg_hi:[0,0,1]
	v_pk_fma_f32 v[114:115], v[102:103], v[44:45], v[104:105] op_sel_hi:[1,0,1]
	ds_load_2addr_b64 v[102:105], v106 offset0:34 offset1:35
	v_dual_mov_b32 v44, v112 :: v_dual_mov_b32 v45, v115
	s_wait_dscnt 0x0
	v_pk_mul_f32 v[116:117], v[102:103], v[114:115] op_sel:[0,1]
	s_delay_alu instid0(VALU_DEP_1) | instskip(SKIP_1) | instid1(VALU_DEP_1)
	v_pk_fma_f32 v[118:119], v[102:103], v[112:113], v[116:117] op_sel:[0,0,1] op_sel_hi:[1,1,0] neg_lo:[0,0,1] neg_hi:[0,0,1]
	v_pk_fma_f32 v[102:103], v[102:103], v[112:113], v[116:117] op_sel:[0,0,1] op_sel_hi:[1,0,0]
	v_mov_b32_e32 v119, v103
	v_pk_mul_f32 v[102:103], v[104:105], v[114:115] op_sel:[0,1]
	s_delay_alu instid0(VALU_DEP_1) | instskip(SKIP_1) | instid1(VALU_DEP_1)
	v_pk_fma_f32 v[116:117], v[104:105], v[112:113], v[102:103] op_sel:[0,0,1] op_sel_hi:[1,1,0] neg_lo:[0,0,1] neg_hi:[0,0,1]
	v_pk_fma_f32 v[102:103], v[104:105], v[112:113], v[102:103] op_sel:[0,0,1] op_sel_hi:[1,0,0]
	v_mov_b32_e32 v117, v103
	ds_load_2addr_b64 v[102:105], v106 offset0:36 offset1:37
	v_pk_add_f32 v[46:47], v[46:47], v[118:119] neg_lo:[0,1] neg_hi:[0,1]
	v_pk_add_f32 v[10:11], v[10:11], v[116:117] neg_lo:[0,1] neg_hi:[0,1]
	s_wait_dscnt 0x0
	v_pk_mul_f32 v[116:117], v[102:103], v[114:115] op_sel:[0,1]
	s_delay_alu instid0(VALU_DEP_1) | instskip(SKIP_2) | instid1(VALU_DEP_2)
	v_pk_fma_f32 v[118:119], v[102:103], v[112:113], v[116:117] op_sel:[0,0,1] op_sel_hi:[1,1,0] neg_lo:[0,0,1] neg_hi:[0,0,1]
	v_pk_fma_f32 v[102:103], v[102:103], v[112:113], v[116:117] op_sel:[0,0,1] op_sel_hi:[1,0,0]
	v_dual_mul_f32 v116, v105, v115 :: v_dual_mov_b32 v102, v105
	v_dual_mov_b32 v119, v103 :: v_dual_mov_b32 v103, v104
	s_delay_alu instid0(VALU_DEP_2) | instskip(SKIP_1) | instid1(VALU_DEP_3)
	v_pk_fma_f32 v[116:117], v[104:105], v[44:45], v[116:117] op_sel_hi:[1,1,0] neg_lo:[0,0,1] neg_hi:[0,0,1]
	v_mul_f32_e32 v104, v105, v112
	v_pk_add_f32 v[42:43], v[42:43], v[118:119] neg_lo:[0,1] neg_hi:[0,1]
	s_delay_alu instid0(VALU_DEP_2) | instskip(NEXT) | instid1(VALU_DEP_1)
	v_pk_fma_f32 v[102:103], v[102:103], v[44:45], v[104:105] op_sel_hi:[1,1,0]
	v_mov_b32_e32 v117, v103
	ds_load_2addr_b64 v[102:105], v106 offset0:38 offset1:39
	v_pk_add_f32 v[38:39], v[38:39], v[116:117] neg_lo:[0,1] neg_hi:[0,1]
	s_wait_dscnt 0x0
	v_pk_mul_f32 v[116:117], v[102:103], v[114:115] op_sel:[0,1]
	s_delay_alu instid0(VALU_DEP_1) | instskip(SKIP_1) | instid1(VALU_DEP_1)
	v_pk_fma_f32 v[118:119], v[102:103], v[112:113], v[116:117] op_sel:[0,0,1] op_sel_hi:[1,1,0] neg_lo:[0,0,1] neg_hi:[0,0,1]
	v_pk_fma_f32 v[102:103], v[102:103], v[112:113], v[116:117] op_sel:[0,0,1] op_sel_hi:[1,0,0]
	v_mov_b32_e32 v119, v103
	v_pk_mul_f32 v[102:103], v[104:105], v[114:115] op_sel:[0,1]
	s_delay_alu instid0(VALU_DEP_1) | instskip(SKIP_1) | instid1(VALU_DEP_1)
	v_pk_fma_f32 v[116:117], v[104:105], v[112:113], v[102:103] op_sel:[0,0,1] op_sel_hi:[1,1,0] neg_lo:[0,0,1] neg_hi:[0,0,1]
	v_pk_fma_f32 v[102:103], v[104:105], v[112:113], v[102:103] op_sel:[0,0,1] op_sel_hi:[1,0,0]
	v_mov_b32_e32 v117, v103
	ds_load_2addr_b64 v[102:105], v106 offset0:40 offset1:41
	v_pk_add_f32 v[40:41], v[40:41], v[118:119] neg_lo:[0,1] neg_hi:[0,1]
	v_pk_add_f32 v[6:7], v[6:7], v[116:117] neg_lo:[0,1] neg_hi:[0,1]
	s_wait_dscnt 0x0
	v_pk_mul_f32 v[116:117], v[102:103], v[114:115] op_sel:[0,1]
	s_delay_alu instid0(VALU_DEP_1) | instskip(SKIP_1) | instid1(VALU_DEP_1)
	v_pk_fma_f32 v[118:119], v[102:103], v[112:113], v[116:117] op_sel:[0,0,1] op_sel_hi:[1,1,0] neg_lo:[0,0,1] neg_hi:[0,0,1]
	v_pk_fma_f32 v[102:103], v[102:103], v[112:113], v[116:117] op_sel:[0,0,1] op_sel_hi:[1,0,0]
	v_mov_b32_e32 v119, v103
	v_pk_mul_f32 v[102:103], v[104:105], v[114:115] op_sel:[0,1]
	s_delay_alu instid0(VALU_DEP_1) | instskip(SKIP_1) | instid1(VALU_DEP_1)
	v_pk_fma_f32 v[116:117], v[104:105], v[112:113], v[102:103] op_sel:[0,0,1] op_sel_hi:[1,1,0] neg_lo:[0,0,1] neg_hi:[0,0,1]
	v_pk_fma_f32 v[102:103], v[104:105], v[112:113], v[102:103] op_sel:[0,0,1] op_sel_hi:[1,0,0]
	v_mov_b32_e32 v117, v103
	ds_load_2addr_b64 v[102:105], v106 offset0:42 offset1:43
	v_pk_add_f32 v[36:37], v[36:37], v[118:119] neg_lo:[0,1] neg_hi:[0,1]
	v_pk_add_f32 v[30:31], v[30:31], v[116:117] neg_lo:[0,1] neg_hi:[0,1]
	s_wait_dscnt 0x0
	v_dual_mul_f32 v116, v103, v115 :: v_dual_mul_f32 v118, v103, v112
	s_delay_alu instid0(VALU_DEP_1) | instskip(NEXT) | instid1(VALU_DEP_2)
	v_pk_fma_f32 v[116:117], v[102:103], v[44:45], v[116:117] op_sel_hi:[1,1,0] neg_lo:[0,0,1] neg_hi:[0,0,1]
	v_pk_fma_f32 v[102:103], v[102:103], v[44:45], v[118:119] op_sel:[1,0,0] op_sel_hi:[0,1,0]
	s_delay_alu instid0(VALU_DEP_1) | instskip(SKIP_1) | instid1(VALU_DEP_2)
	v_mov_b32_e32 v117, v103
	v_pk_mul_f32 v[102:103], v[104:105], v[114:115] op_sel:[0,1]
	v_pk_add_f32 v[34:35], v[34:35], v[116:117] neg_lo:[0,1] neg_hi:[0,1]
	s_delay_alu instid0(VALU_DEP_2) | instskip(SKIP_1) | instid1(VALU_DEP_1)
	v_pk_fma_f32 v[116:117], v[104:105], v[112:113], v[102:103] op_sel:[0,0,1] op_sel_hi:[1,1,0] neg_lo:[0,0,1] neg_hi:[0,0,1]
	v_pk_fma_f32 v[102:103], v[104:105], v[112:113], v[102:103] op_sel:[0,0,1] op_sel_hi:[1,0,0]
	v_mov_b32_e32 v117, v103
	ds_load_2addr_b64 v[102:105], v106 offset0:44 offset1:45
	v_pk_add_f32 v[8:9], v[8:9], v[116:117] neg_lo:[0,1] neg_hi:[0,1]
	s_wait_dscnt 0x0
	v_pk_mul_f32 v[116:117], v[102:103], v[114:115] op_sel:[0,1]
	s_delay_alu instid0(VALU_DEP_1) | instskip(SKIP_1) | instid1(VALU_DEP_1)
	v_pk_fma_f32 v[118:119], v[102:103], v[112:113], v[116:117] op_sel:[0,0,1] op_sel_hi:[1,1,0] neg_lo:[0,0,1] neg_hi:[0,0,1]
	v_pk_fma_f32 v[102:103], v[102:103], v[112:113], v[116:117] op_sel:[0,0,1] op_sel_hi:[1,0,0]
	v_mov_b32_e32 v119, v103
	v_pk_mul_f32 v[102:103], v[104:105], v[114:115] op_sel:[0,1]
	s_delay_alu instid0(VALU_DEP_2) | instskip(NEXT) | instid1(VALU_DEP_2)
	v_pk_add_f32 v[28:29], v[28:29], v[118:119] neg_lo:[0,1] neg_hi:[0,1]
	v_pk_fma_f32 v[116:117], v[104:105], v[112:113], v[102:103] op_sel:[0,0,1] op_sel_hi:[1,1,0] neg_lo:[0,0,1] neg_hi:[0,0,1]
	v_pk_fma_f32 v[102:103], v[104:105], v[112:113], v[102:103] op_sel:[0,0,1] op_sel_hi:[1,0,0]
	s_delay_alu instid0(VALU_DEP_1) | instskip(SKIP_4) | instid1(VALU_DEP_1)
	v_mov_b32_e32 v117, v103
	ds_load_2addr_b64 v[102:105], v106 offset0:46 offset1:47
	v_pk_add_f32 v[18:19], v[18:19], v[116:117] neg_lo:[0,1] neg_hi:[0,1]
	s_wait_dscnt 0x0
	v_pk_mul_f32 v[116:117], v[102:103], v[114:115] op_sel:[0,1]
	v_pk_fma_f32 v[118:119], v[102:103], v[112:113], v[116:117] op_sel:[0,0,1] op_sel_hi:[1,1,0] neg_lo:[0,0,1] neg_hi:[0,0,1]
	v_pk_fma_f32 v[102:103], v[102:103], v[112:113], v[116:117] op_sel:[0,0,1] op_sel_hi:[1,0,0]
	s_delay_alu instid0(VALU_DEP_1) | instskip(SKIP_1) | instid1(VALU_DEP_2)
	v_mov_b32_e32 v119, v103
	v_pk_mul_f32 v[102:103], v[104:105], v[114:115] op_sel:[0,1]
	v_pk_add_f32 v[14:15], v[14:15], v[118:119] neg_lo:[0,1] neg_hi:[0,1]
	s_delay_alu instid0(VALU_DEP_2) | instskip(SKIP_1) | instid1(VALU_DEP_1)
	v_pk_fma_f32 v[114:115], v[104:105], v[112:113], v[102:103] op_sel:[0,0,1] op_sel_hi:[1,1,0] neg_lo:[0,0,1] neg_hi:[0,0,1]
	v_pk_fma_f32 v[102:103], v[104:105], v[112:113], v[102:103] op_sel:[0,0,1] op_sel_hi:[1,0,0]
	v_mov_b32_e32 v115, v103
	s_delay_alu instid0(VALU_DEP_1)
	v_pk_add_f32 v[100:101], v[100:101], v[114:115] neg_lo:[0,1] neg_hi:[0,1]
.LBB94_713:
	s_or_b32 exec_lo, exec_lo, s0
	v_lshl_add_u32 v102, v110, 3, v106
	s_barrier_signal -1
	s_barrier_wait -1
	ds_store_b64 v102, v[46:47]
	s_wait_dscnt 0x0
	s_barrier_signal -1
	s_barrier_wait -1
	ds_load_b64 v[102:103], v106 offset:272
	v_mov_b32_e32 v104, 34
	s_cmp_lt_i32 s18, 36
	s_cbranch_scc1 .LBB94_716
; %bb.714:
	v_add3_u32 v105, v107, 0, 0x118
	v_mov_b32_e32 v104, 34
	s_mov_b32 s0, 35
.LBB94_715:                             ; =>This Inner Loop Header: Depth=1
	ds_load_b64 v[112:113], v105
	s_wait_dscnt 0x1
	v_cmp_gt_f32_e32 vcc_lo, 0, v102
	v_cndmask_b32_e64 v114, v102, -v102, vcc_lo
	v_cmp_gt_f32_e32 vcc_lo, 0, v103
	v_cndmask_b32_e64 v116, v103, -v103, vcc_lo
	s_wait_dscnt 0x0
	v_cmp_gt_f32_e32 vcc_lo, 0, v112
	v_cndmask_b32_e64 v115, v112, -v112, vcc_lo
	v_cmp_gt_f32_e32 vcc_lo, 0, v113
	v_cndmask_b32_e64 v117, v113, -v113, vcc_lo
	s_delay_alu instid0(VALU_DEP_1) | instskip(NEXT) | instid1(VALU_DEP_1)
	v_pk_add_f32 v[114:115], v[114:115], v[116:117]
	v_cmp_lt_f32_e32 vcc_lo, v114, v115
	v_dual_cndmask_b32 v102, v102, v112 :: v_dual_add_nc_u32 v105, 8, v105
	v_cndmask_b32_e32 v103, v103, v113, vcc_lo
	v_cndmask_b32_e64 v104, v104, s0, vcc_lo
	s_add_co_i32 s0, s0, 1
	s_delay_alu instid0(SALU_CYCLE_1)
	s_cmp_lg_u32 s18, s0
	s_cbranch_scc1 .LBB94_715
.LBB94_716:
	s_wait_dscnt 0x0
	v_cmp_eq_f32_e32 vcc_lo, 0, v102
	v_cmp_eq_f32_e64 s0, 0, v103
	s_and_b32 s0, vcc_lo, s0
	s_delay_alu instid0(SALU_CYCLE_1) | instskip(NEXT) | instid1(SALU_CYCLE_1)
	s_and_saveexec_b32 s1, s0
	s_xor_b32 s0, exec_lo, s1
; %bb.717:
	v_cmp_ne_u32_e32 vcc_lo, 0, v108
	v_cndmask_b32_e32 v108, 35, v108, vcc_lo
; %bb.718:
	s_and_not1_saveexec_b32 s0, s0
	s_cbranch_execz .LBB94_724
; %bb.719:
	v_cmp_ngt_f32_e64 s1, |v102|, |v103|
	s_and_saveexec_b32 s12, s1
	s_delay_alu instid0(SALU_CYCLE_1)
	s_xor_b32 s1, exec_lo, s12
	s_cbranch_execz .LBB94_721
; %bb.720:
	v_div_scale_f32 v105, null, v103, v103, v102
	v_div_scale_f32 v113, vcc_lo, v102, v103, v102
	s_delay_alu instid0(VALU_DEP_2) | instskip(SKIP_1) | instid1(TRANS32_DEP_1)
	v_rcp_f32_e32 v111, v105
	v_nop
	v_fma_f32 v112, -v105, v111, 1.0
	s_delay_alu instid0(VALU_DEP_1) | instskip(NEXT) | instid1(VALU_DEP_1)
	v_fmac_f32_e32 v111, v112, v111
	v_mul_f32_e32 v112, v113, v111
	s_delay_alu instid0(VALU_DEP_1) | instskip(NEXT) | instid1(VALU_DEP_1)
	v_fma_f32 v114, -v105, v112, v113
	v_fmac_f32_e32 v112, v114, v111
	s_delay_alu instid0(VALU_DEP_1) | instskip(NEXT) | instid1(VALU_DEP_1)
	v_fma_f32 v105, -v105, v112, v113
	v_div_fmas_f32 v105, v105, v111, v112
	s_delay_alu instid0(VALU_DEP_1) | instskip(NEXT) | instid1(VALU_DEP_1)
	v_div_fixup_f32 v105, v105, v103, v102
	v_fmac_f32_e32 v103, v102, v105
	s_delay_alu instid0(VALU_DEP_1) | instskip(SKIP_1) | instid1(VALU_DEP_2)
	v_div_scale_f32 v102, null, v103, v103, 1.0
	v_div_scale_f32 v113, vcc_lo, 1.0, v103, 1.0
	v_rcp_f32_e32 v111, v102
	v_nop
	s_delay_alu instid0(TRANS32_DEP_1) | instskip(NEXT) | instid1(VALU_DEP_1)
	v_fma_f32 v112, -v102, v111, 1.0
	v_fmac_f32_e32 v111, v112, v111
	s_delay_alu instid0(VALU_DEP_1) | instskip(NEXT) | instid1(VALU_DEP_1)
	v_mul_f32_e32 v112, v113, v111
	v_fma_f32 v114, -v102, v112, v113
	s_delay_alu instid0(VALU_DEP_1) | instskip(NEXT) | instid1(VALU_DEP_1)
	v_fmac_f32_e32 v112, v114, v111
	v_fma_f32 v102, -v102, v112, v113
	s_delay_alu instid0(VALU_DEP_1) | instskip(NEXT) | instid1(VALU_DEP_1)
	v_div_fmas_f32 v102, v102, v111, v112
	v_div_fixup_f32 v103, v102, v103, 1.0
	s_delay_alu instid0(VALU_DEP_1)
	v_mul_f32_e32 v102, v105, v103
	v_xor_b32_e32 v103, 0x80000000, v103
.LBB94_721:
	s_and_not1_saveexec_b32 s1, s1
	s_cbranch_execz .LBB94_723
; %bb.722:
	s_delay_alu instid0(VALU_DEP_1) | instskip(SKIP_1) | instid1(VALU_DEP_2)
	v_div_scale_f32 v105, null, v102, v102, v103
	v_div_scale_f32 v113, vcc_lo, v103, v102, v103
	v_rcp_f32_e32 v111, v105
	v_nop
	s_delay_alu instid0(TRANS32_DEP_1) | instskip(NEXT) | instid1(VALU_DEP_1)
	v_fma_f32 v112, -v105, v111, 1.0
	v_fmac_f32_e32 v111, v112, v111
	s_delay_alu instid0(VALU_DEP_1) | instskip(NEXT) | instid1(VALU_DEP_1)
	v_mul_f32_e32 v112, v113, v111
	v_fma_f32 v114, -v105, v112, v113
	s_delay_alu instid0(VALU_DEP_1) | instskip(NEXT) | instid1(VALU_DEP_1)
	v_fmac_f32_e32 v112, v114, v111
	v_fma_f32 v105, -v105, v112, v113
	s_delay_alu instid0(VALU_DEP_1) | instskip(NEXT) | instid1(VALU_DEP_1)
	v_div_fmas_f32 v105, v105, v111, v112
	v_div_fixup_f32 v105, v105, v102, v103
	s_delay_alu instid0(VALU_DEP_1) | instskip(NEXT) | instid1(VALU_DEP_1)
	v_fmac_f32_e32 v102, v103, v105
	v_div_scale_f32 v103, null, v102, v102, 1.0
	s_delay_alu instid0(VALU_DEP_1) | instskip(SKIP_1) | instid1(TRANS32_DEP_1)
	v_rcp_f32_e32 v111, v103
	v_nop
	v_fma_f32 v112, -v103, v111, 1.0
	s_delay_alu instid0(VALU_DEP_1) | instskip(SKIP_1) | instid1(VALU_DEP_1)
	v_fmac_f32_e32 v111, v112, v111
	v_div_scale_f32 v112, vcc_lo, 1.0, v102, 1.0
	v_mul_f32_e32 v113, v112, v111
	s_delay_alu instid0(VALU_DEP_1) | instskip(NEXT) | instid1(VALU_DEP_1)
	v_fma_f32 v114, -v103, v113, v112
	v_fmac_f32_e32 v113, v114, v111
	s_delay_alu instid0(VALU_DEP_1) | instskip(NEXT) | instid1(VALU_DEP_1)
	v_fma_f32 v103, -v103, v113, v112
	v_div_fmas_f32 v103, v103, v111, v113
	s_delay_alu instid0(VALU_DEP_1) | instskip(NEXT) | instid1(VALU_DEP_1)
	v_div_fixup_f32 v102, v103, v102, 1.0
	v_mul_f32_e64 v103, v105, -v102
.LBB94_723:
	s_or_b32 exec_lo, exec_lo, s1
.LBB94_724:
	s_delay_alu instid0(SALU_CYCLE_1) | instskip(NEXT) | instid1(SALU_CYCLE_1)
	s_or_b32 exec_lo, exec_lo, s0
	s_mov_b32 s0, exec_lo
	v_cmpx_ne_u32_e64 v110, v104
	s_xor_b32 s0, exec_lo, s0
	s_cbranch_execz .LBB94_730
; %bb.725:
	s_mov_b32 s1, exec_lo
	v_cmpx_eq_u32_e32 34, v110
	s_cbranch_execz .LBB94_729
; %bb.726:
	v_cmp_ne_u32_e32 vcc_lo, 34, v104
	s_xor_b32 s12, s16, -1
	s_delay_alu instid0(SALU_CYCLE_1) | instskip(NEXT) | instid1(SALU_CYCLE_1)
	s_and_b32 s13, s12, vcc_lo
	s_and_saveexec_b32 s12, s13
	s_cbranch_execz .LBB94_728
; %bb.727:
	v_ashrrev_i32_e32 v105, 31, v104
	s_delay_alu instid0(VALU_DEP_1)
	v_lshl_add_u64 v[110:111], v[104:105], 2, v[4:5]
	s_clause 0x1
	global_load_b32 v105, v[110:111], off
	global_load_b32 v109, v[4:5], off offset:136
	s_wait_loadcnt 0x1
	global_store_b32 v[4:5], v105, off offset:136
	s_wait_loadcnt 0x0
	global_store_b32 v[110:111], v109, off
.LBB94_728:
	s_wait_xcnt 0x0
	s_or_b32 exec_lo, exec_lo, s12
	v_dual_mov_b32 v110, v104 :: v_dual_mov_b32 v109, v104
.LBB94_729:
	s_or_b32 exec_lo, exec_lo, s1
.LBB94_730:
	s_and_not1_saveexec_b32 s0, s0
	s_cbranch_execz .LBB94_732
; %bb.731:
	v_mov_b32_e32 v110, 34
	ds_store_2addr_b64 v106, v[10:11], v[42:43] offset0:35 offset1:36
	ds_store_2addr_b64 v106, v[38:39], v[40:41] offset0:37 offset1:38
	;; [unrolled: 1-line block ×6, first 2 shown]
	ds_store_b64 v106, v[100:101] offset:376
.LBB94_732:
	s_or_b32 exec_lo, exec_lo, s0
	s_delay_alu instid0(SALU_CYCLE_1)
	s_mov_b32 s0, exec_lo
	s_wait_storecnt_dscnt 0x0
	s_barrier_signal -1
	s_barrier_wait -1
	v_cmpx_lt_i32_e32 34, v110
	s_cbranch_execz .LBB94_734
; %bb.733:
	v_pk_mul_f32 v[104:105], v[102:103], v[46:47] op_sel:[1,1] op_sel_hi:[0,1]
	s_delay_alu instid0(VALU_DEP_1)
	v_pk_fma_f32 v[112:113], v[102:103], v[46:47], v[104:105] op_sel_hi:[1,0,1] neg_lo:[0,0,1] neg_hi:[0,0,1]
	v_pk_fma_f32 v[114:115], v[102:103], v[46:47], v[104:105] op_sel_hi:[1,0,1]
	ds_load_2addr_b64 v[102:105], v106 offset0:35 offset1:36
	v_dual_mov_b32 v46, v112 :: v_dual_mov_b32 v47, v115
	s_wait_dscnt 0x0
	v_pk_mul_f32 v[116:117], v[102:103], v[114:115] op_sel:[0,1]
	s_delay_alu instid0(VALU_DEP_1) | instskip(SKIP_1) | instid1(VALU_DEP_1)
	v_pk_fma_f32 v[118:119], v[102:103], v[112:113], v[116:117] op_sel:[0,0,1] op_sel_hi:[1,1,0] neg_lo:[0,0,1] neg_hi:[0,0,1]
	v_pk_fma_f32 v[102:103], v[102:103], v[112:113], v[116:117] op_sel:[0,0,1] op_sel_hi:[1,0,0]
	v_mov_b32_e32 v119, v103
	v_pk_mul_f32 v[102:103], v[104:105], v[114:115] op_sel:[0,1]
	s_delay_alu instid0(VALU_DEP_1) | instskip(SKIP_1) | instid1(VALU_DEP_1)
	v_pk_fma_f32 v[116:117], v[104:105], v[112:113], v[102:103] op_sel:[0,0,1] op_sel_hi:[1,1,0] neg_lo:[0,0,1] neg_hi:[0,0,1]
	v_pk_fma_f32 v[102:103], v[104:105], v[112:113], v[102:103] op_sel:[0,0,1] op_sel_hi:[1,0,0]
	v_mov_b32_e32 v117, v103
	ds_load_2addr_b64 v[102:105], v106 offset0:37 offset1:38
	v_pk_add_f32 v[10:11], v[10:11], v[118:119] neg_lo:[0,1] neg_hi:[0,1]
	v_pk_add_f32 v[42:43], v[42:43], v[116:117] neg_lo:[0,1] neg_hi:[0,1]
	s_wait_dscnt 0x0
	v_pk_mul_f32 v[116:117], v[102:103], v[114:115] op_sel:[0,1]
	s_delay_alu instid0(VALU_DEP_1) | instskip(SKIP_2) | instid1(VALU_DEP_2)
	v_pk_fma_f32 v[118:119], v[102:103], v[112:113], v[116:117] op_sel:[0,0,1] op_sel_hi:[1,1,0] neg_lo:[0,0,1] neg_hi:[0,0,1]
	v_pk_fma_f32 v[102:103], v[102:103], v[112:113], v[116:117] op_sel:[0,0,1] op_sel_hi:[1,0,0]
	v_dual_mul_f32 v116, v105, v115 :: v_dual_mov_b32 v102, v105
	v_dual_mov_b32 v119, v103 :: v_dual_mov_b32 v103, v104
	s_delay_alu instid0(VALU_DEP_2) | instskip(SKIP_1) | instid1(VALU_DEP_3)
	v_pk_fma_f32 v[116:117], v[104:105], v[46:47], v[116:117] op_sel_hi:[1,1,0] neg_lo:[0,0,1] neg_hi:[0,0,1]
	v_mul_f32_e32 v104, v105, v112
	v_pk_add_f32 v[38:39], v[38:39], v[118:119] neg_lo:[0,1] neg_hi:[0,1]
	s_delay_alu instid0(VALU_DEP_2) | instskip(NEXT) | instid1(VALU_DEP_1)
	v_pk_fma_f32 v[102:103], v[102:103], v[46:47], v[104:105] op_sel_hi:[1,1,0]
	v_mov_b32_e32 v117, v103
	ds_load_2addr_b64 v[102:105], v106 offset0:39 offset1:40
	v_pk_add_f32 v[40:41], v[40:41], v[116:117] neg_lo:[0,1] neg_hi:[0,1]
	s_wait_dscnt 0x0
	v_pk_mul_f32 v[116:117], v[102:103], v[114:115] op_sel:[0,1]
	s_delay_alu instid0(VALU_DEP_1) | instskip(SKIP_1) | instid1(VALU_DEP_1)
	v_pk_fma_f32 v[118:119], v[102:103], v[112:113], v[116:117] op_sel:[0,0,1] op_sel_hi:[1,1,0] neg_lo:[0,0,1] neg_hi:[0,0,1]
	v_pk_fma_f32 v[102:103], v[102:103], v[112:113], v[116:117] op_sel:[0,0,1] op_sel_hi:[1,0,0]
	v_mov_b32_e32 v119, v103
	v_pk_mul_f32 v[102:103], v[104:105], v[114:115] op_sel:[0,1]
	s_delay_alu instid0(VALU_DEP_1) | instskip(SKIP_1) | instid1(VALU_DEP_1)
	v_pk_fma_f32 v[116:117], v[104:105], v[112:113], v[102:103] op_sel:[0,0,1] op_sel_hi:[1,1,0] neg_lo:[0,0,1] neg_hi:[0,0,1]
	v_pk_fma_f32 v[102:103], v[104:105], v[112:113], v[102:103] op_sel:[0,0,1] op_sel_hi:[1,0,0]
	v_mov_b32_e32 v117, v103
	ds_load_2addr_b64 v[102:105], v106 offset0:41 offset1:42
	v_pk_add_f32 v[6:7], v[6:7], v[118:119] neg_lo:[0,1] neg_hi:[0,1]
	v_pk_add_f32 v[36:37], v[36:37], v[116:117] neg_lo:[0,1] neg_hi:[0,1]
	s_wait_dscnt 0x0
	v_pk_mul_f32 v[116:117], v[102:103], v[114:115] op_sel:[0,1]
	s_delay_alu instid0(VALU_DEP_1) | instskip(SKIP_1) | instid1(VALU_DEP_1)
	v_pk_fma_f32 v[118:119], v[102:103], v[112:113], v[116:117] op_sel:[0,0,1] op_sel_hi:[1,1,0] neg_lo:[0,0,1] neg_hi:[0,0,1]
	v_pk_fma_f32 v[102:103], v[102:103], v[112:113], v[116:117] op_sel:[0,0,1] op_sel_hi:[1,0,0]
	v_mov_b32_e32 v119, v103
	v_pk_mul_f32 v[102:103], v[104:105], v[114:115] op_sel:[0,1]
	s_delay_alu instid0(VALU_DEP_1) | instskip(SKIP_1) | instid1(VALU_DEP_1)
	v_pk_fma_f32 v[116:117], v[104:105], v[112:113], v[102:103] op_sel:[0,0,1] op_sel_hi:[1,1,0] neg_lo:[0,0,1] neg_hi:[0,0,1]
	v_pk_fma_f32 v[102:103], v[104:105], v[112:113], v[102:103] op_sel:[0,0,1] op_sel_hi:[1,0,0]
	v_mov_b32_e32 v117, v103
	ds_load_2addr_b64 v[102:105], v106 offset0:43 offset1:44
	v_pk_add_f32 v[30:31], v[30:31], v[118:119] neg_lo:[0,1] neg_hi:[0,1]
	v_pk_add_f32 v[34:35], v[34:35], v[116:117] neg_lo:[0,1] neg_hi:[0,1]
	s_wait_dscnt 0x0
	v_dual_mul_f32 v116, v103, v115 :: v_dual_mul_f32 v118, v103, v112
	s_delay_alu instid0(VALU_DEP_1) | instskip(NEXT) | instid1(VALU_DEP_2)
	v_pk_fma_f32 v[116:117], v[102:103], v[46:47], v[116:117] op_sel_hi:[1,1,0] neg_lo:[0,0,1] neg_hi:[0,0,1]
	v_pk_fma_f32 v[102:103], v[102:103], v[46:47], v[118:119] op_sel:[1,0,0] op_sel_hi:[0,1,0]
	s_delay_alu instid0(VALU_DEP_1) | instskip(SKIP_1) | instid1(VALU_DEP_2)
	v_mov_b32_e32 v117, v103
	v_pk_mul_f32 v[102:103], v[104:105], v[114:115] op_sel:[0,1]
	v_pk_add_f32 v[8:9], v[8:9], v[116:117] neg_lo:[0,1] neg_hi:[0,1]
	s_delay_alu instid0(VALU_DEP_2) | instskip(SKIP_1) | instid1(VALU_DEP_1)
	v_pk_fma_f32 v[116:117], v[104:105], v[112:113], v[102:103] op_sel:[0,0,1] op_sel_hi:[1,1,0] neg_lo:[0,0,1] neg_hi:[0,0,1]
	v_pk_fma_f32 v[102:103], v[104:105], v[112:113], v[102:103] op_sel:[0,0,1] op_sel_hi:[1,0,0]
	v_mov_b32_e32 v117, v103
	ds_load_2addr_b64 v[102:105], v106 offset0:45 offset1:46
	v_pk_add_f32 v[28:29], v[28:29], v[116:117] neg_lo:[0,1] neg_hi:[0,1]
	s_wait_dscnt 0x0
	v_pk_mul_f32 v[116:117], v[102:103], v[114:115] op_sel:[0,1]
	s_delay_alu instid0(VALU_DEP_1) | instskip(SKIP_1) | instid1(VALU_DEP_1)
	v_pk_fma_f32 v[118:119], v[102:103], v[112:113], v[116:117] op_sel:[0,0,1] op_sel_hi:[1,1,0] neg_lo:[0,0,1] neg_hi:[0,0,1]
	v_pk_fma_f32 v[102:103], v[102:103], v[112:113], v[116:117] op_sel:[0,0,1] op_sel_hi:[1,0,0]
	v_mov_b32_e32 v119, v103
	v_pk_mul_f32 v[102:103], v[104:105], v[114:115] op_sel:[0,1]
	s_delay_alu instid0(VALU_DEP_2) | instskip(NEXT) | instid1(VALU_DEP_2)
	v_pk_add_f32 v[18:19], v[18:19], v[118:119] neg_lo:[0,1] neg_hi:[0,1]
	v_pk_fma_f32 v[116:117], v[104:105], v[112:113], v[102:103] op_sel:[0,0,1] op_sel_hi:[1,1,0] neg_lo:[0,0,1] neg_hi:[0,0,1]
	v_pk_fma_f32 v[102:103], v[104:105], v[112:113], v[102:103] op_sel:[0,0,1] op_sel_hi:[1,0,0]
	s_delay_alu instid0(VALU_DEP_1) | instskip(SKIP_4) | instid1(VALU_DEP_1)
	v_mov_b32_e32 v117, v103
	ds_load_b64 v[102:103], v106 offset:376
	v_pk_add_f32 v[14:15], v[14:15], v[116:117] neg_lo:[0,1] neg_hi:[0,1]
	s_wait_dscnt 0x0
	v_pk_mul_f32 v[104:105], v[102:103], v[114:115] op_sel:[0,1]
	v_pk_fma_f32 v[114:115], v[102:103], v[112:113], v[104:105] op_sel:[0,0,1] op_sel_hi:[1,1,0] neg_lo:[0,0,1] neg_hi:[0,0,1]
	v_pk_fma_f32 v[102:103], v[102:103], v[112:113], v[104:105] op_sel:[0,0,1] op_sel_hi:[1,0,0]
	s_delay_alu instid0(VALU_DEP_1) | instskip(NEXT) | instid1(VALU_DEP_1)
	v_mov_b32_e32 v115, v103
	v_pk_add_f32 v[100:101], v[100:101], v[114:115] neg_lo:[0,1] neg_hi:[0,1]
.LBB94_734:
	s_or_b32 exec_lo, exec_lo, s0
	v_lshl_add_u32 v102, v110, 3, v106
	s_barrier_signal -1
	s_barrier_wait -1
	ds_store_b64 v102, v[10:11]
	s_wait_dscnt 0x0
	s_barrier_signal -1
	s_barrier_wait -1
	ds_load_b64 v[102:103], v106 offset:280
	v_mov_b32_e32 v104, 35
	s_cmp_lt_i32 s18, 37
	s_cbranch_scc1 .LBB94_737
; %bb.735:
	v_add3_u32 v105, v107, 0, 0x120
	v_mov_b32_e32 v104, 35
	s_mov_b32 s0, 36
.LBB94_736:                             ; =>This Inner Loop Header: Depth=1
	ds_load_b64 v[112:113], v105
	s_wait_dscnt 0x1
	v_cmp_gt_f32_e32 vcc_lo, 0, v102
	v_cndmask_b32_e64 v114, v102, -v102, vcc_lo
	v_cmp_gt_f32_e32 vcc_lo, 0, v103
	v_cndmask_b32_e64 v116, v103, -v103, vcc_lo
	s_wait_dscnt 0x0
	v_cmp_gt_f32_e32 vcc_lo, 0, v112
	v_cndmask_b32_e64 v115, v112, -v112, vcc_lo
	v_cmp_gt_f32_e32 vcc_lo, 0, v113
	v_cndmask_b32_e64 v117, v113, -v113, vcc_lo
	s_delay_alu instid0(VALU_DEP_1) | instskip(NEXT) | instid1(VALU_DEP_1)
	v_pk_add_f32 v[114:115], v[114:115], v[116:117]
	v_cmp_lt_f32_e32 vcc_lo, v114, v115
	v_dual_cndmask_b32 v102, v102, v112 :: v_dual_add_nc_u32 v105, 8, v105
	v_cndmask_b32_e32 v103, v103, v113, vcc_lo
	v_cndmask_b32_e64 v104, v104, s0, vcc_lo
	s_add_co_i32 s0, s0, 1
	s_delay_alu instid0(SALU_CYCLE_1)
	s_cmp_lg_u32 s18, s0
	s_cbranch_scc1 .LBB94_736
.LBB94_737:
	s_wait_dscnt 0x0
	v_cmp_eq_f32_e32 vcc_lo, 0, v102
	v_cmp_eq_f32_e64 s0, 0, v103
	s_and_b32 s0, vcc_lo, s0
	s_delay_alu instid0(SALU_CYCLE_1) | instskip(NEXT) | instid1(SALU_CYCLE_1)
	s_and_saveexec_b32 s1, s0
	s_xor_b32 s0, exec_lo, s1
; %bb.738:
	v_cmp_ne_u32_e32 vcc_lo, 0, v108
	v_cndmask_b32_e32 v108, 36, v108, vcc_lo
; %bb.739:
	s_and_not1_saveexec_b32 s0, s0
	s_cbranch_execz .LBB94_745
; %bb.740:
	v_cmp_ngt_f32_e64 s1, |v102|, |v103|
	s_and_saveexec_b32 s12, s1
	s_delay_alu instid0(SALU_CYCLE_1)
	s_xor_b32 s1, exec_lo, s12
	s_cbranch_execz .LBB94_742
; %bb.741:
	v_div_scale_f32 v105, null, v103, v103, v102
	v_div_scale_f32 v113, vcc_lo, v102, v103, v102
	s_delay_alu instid0(VALU_DEP_2) | instskip(SKIP_1) | instid1(TRANS32_DEP_1)
	v_rcp_f32_e32 v111, v105
	v_nop
	v_fma_f32 v112, -v105, v111, 1.0
	s_delay_alu instid0(VALU_DEP_1) | instskip(NEXT) | instid1(VALU_DEP_1)
	v_fmac_f32_e32 v111, v112, v111
	v_mul_f32_e32 v112, v113, v111
	s_delay_alu instid0(VALU_DEP_1) | instskip(NEXT) | instid1(VALU_DEP_1)
	v_fma_f32 v114, -v105, v112, v113
	v_fmac_f32_e32 v112, v114, v111
	s_delay_alu instid0(VALU_DEP_1) | instskip(NEXT) | instid1(VALU_DEP_1)
	v_fma_f32 v105, -v105, v112, v113
	v_div_fmas_f32 v105, v105, v111, v112
	s_delay_alu instid0(VALU_DEP_1) | instskip(NEXT) | instid1(VALU_DEP_1)
	v_div_fixup_f32 v105, v105, v103, v102
	v_fmac_f32_e32 v103, v102, v105
	s_delay_alu instid0(VALU_DEP_1) | instskip(SKIP_1) | instid1(VALU_DEP_2)
	v_div_scale_f32 v102, null, v103, v103, 1.0
	v_div_scale_f32 v113, vcc_lo, 1.0, v103, 1.0
	v_rcp_f32_e32 v111, v102
	v_nop
	s_delay_alu instid0(TRANS32_DEP_1) | instskip(NEXT) | instid1(VALU_DEP_1)
	v_fma_f32 v112, -v102, v111, 1.0
	v_fmac_f32_e32 v111, v112, v111
	s_delay_alu instid0(VALU_DEP_1) | instskip(NEXT) | instid1(VALU_DEP_1)
	v_mul_f32_e32 v112, v113, v111
	v_fma_f32 v114, -v102, v112, v113
	s_delay_alu instid0(VALU_DEP_1) | instskip(NEXT) | instid1(VALU_DEP_1)
	v_fmac_f32_e32 v112, v114, v111
	v_fma_f32 v102, -v102, v112, v113
	s_delay_alu instid0(VALU_DEP_1) | instskip(NEXT) | instid1(VALU_DEP_1)
	v_div_fmas_f32 v102, v102, v111, v112
	v_div_fixup_f32 v103, v102, v103, 1.0
	s_delay_alu instid0(VALU_DEP_1)
	v_mul_f32_e32 v102, v105, v103
	v_xor_b32_e32 v103, 0x80000000, v103
.LBB94_742:
	s_and_not1_saveexec_b32 s1, s1
	s_cbranch_execz .LBB94_744
; %bb.743:
	s_delay_alu instid0(VALU_DEP_1) | instskip(SKIP_1) | instid1(VALU_DEP_2)
	v_div_scale_f32 v105, null, v102, v102, v103
	v_div_scale_f32 v113, vcc_lo, v103, v102, v103
	v_rcp_f32_e32 v111, v105
	v_nop
	s_delay_alu instid0(TRANS32_DEP_1) | instskip(NEXT) | instid1(VALU_DEP_1)
	v_fma_f32 v112, -v105, v111, 1.0
	v_fmac_f32_e32 v111, v112, v111
	s_delay_alu instid0(VALU_DEP_1) | instskip(NEXT) | instid1(VALU_DEP_1)
	v_mul_f32_e32 v112, v113, v111
	v_fma_f32 v114, -v105, v112, v113
	s_delay_alu instid0(VALU_DEP_1) | instskip(NEXT) | instid1(VALU_DEP_1)
	v_fmac_f32_e32 v112, v114, v111
	v_fma_f32 v105, -v105, v112, v113
	s_delay_alu instid0(VALU_DEP_1) | instskip(NEXT) | instid1(VALU_DEP_1)
	v_div_fmas_f32 v105, v105, v111, v112
	v_div_fixup_f32 v105, v105, v102, v103
	s_delay_alu instid0(VALU_DEP_1) | instskip(NEXT) | instid1(VALU_DEP_1)
	v_fmac_f32_e32 v102, v103, v105
	v_div_scale_f32 v103, null, v102, v102, 1.0
	s_delay_alu instid0(VALU_DEP_1) | instskip(SKIP_1) | instid1(TRANS32_DEP_1)
	v_rcp_f32_e32 v111, v103
	v_nop
	v_fma_f32 v112, -v103, v111, 1.0
	s_delay_alu instid0(VALU_DEP_1) | instskip(SKIP_1) | instid1(VALU_DEP_1)
	v_fmac_f32_e32 v111, v112, v111
	v_div_scale_f32 v112, vcc_lo, 1.0, v102, 1.0
	v_mul_f32_e32 v113, v112, v111
	s_delay_alu instid0(VALU_DEP_1) | instskip(NEXT) | instid1(VALU_DEP_1)
	v_fma_f32 v114, -v103, v113, v112
	v_fmac_f32_e32 v113, v114, v111
	s_delay_alu instid0(VALU_DEP_1) | instskip(NEXT) | instid1(VALU_DEP_1)
	v_fma_f32 v103, -v103, v113, v112
	v_div_fmas_f32 v103, v103, v111, v113
	s_delay_alu instid0(VALU_DEP_1) | instskip(NEXT) | instid1(VALU_DEP_1)
	v_div_fixup_f32 v102, v103, v102, 1.0
	v_mul_f32_e64 v103, v105, -v102
.LBB94_744:
	s_or_b32 exec_lo, exec_lo, s1
.LBB94_745:
	s_delay_alu instid0(SALU_CYCLE_1) | instskip(NEXT) | instid1(SALU_CYCLE_1)
	s_or_b32 exec_lo, exec_lo, s0
	s_mov_b32 s0, exec_lo
	v_cmpx_ne_u32_e64 v110, v104
	s_xor_b32 s0, exec_lo, s0
	s_cbranch_execz .LBB94_751
; %bb.746:
	s_mov_b32 s1, exec_lo
	v_cmpx_eq_u32_e32 35, v110
	s_cbranch_execz .LBB94_750
; %bb.747:
	v_cmp_ne_u32_e32 vcc_lo, 35, v104
	s_xor_b32 s12, s16, -1
	s_delay_alu instid0(SALU_CYCLE_1) | instskip(NEXT) | instid1(SALU_CYCLE_1)
	s_and_b32 s13, s12, vcc_lo
	s_and_saveexec_b32 s12, s13
	s_cbranch_execz .LBB94_749
; %bb.748:
	v_ashrrev_i32_e32 v105, 31, v104
	s_delay_alu instid0(VALU_DEP_1)
	v_lshl_add_u64 v[110:111], v[104:105], 2, v[4:5]
	s_clause 0x1
	global_load_b32 v105, v[110:111], off
	global_load_b32 v109, v[4:5], off offset:140
	s_wait_loadcnt 0x1
	global_store_b32 v[4:5], v105, off offset:140
	s_wait_loadcnt 0x0
	global_store_b32 v[110:111], v109, off
.LBB94_749:
	s_wait_xcnt 0x0
	s_or_b32 exec_lo, exec_lo, s12
	v_dual_mov_b32 v110, v104 :: v_dual_mov_b32 v109, v104
.LBB94_750:
	s_or_b32 exec_lo, exec_lo, s1
.LBB94_751:
	s_and_not1_saveexec_b32 s0, s0
	s_cbranch_execz .LBB94_753
; %bb.752:
	v_dual_mov_b32 v104, v42 :: v_dual_mov_b32 v105, v43
	v_dual_mov_b32 v110, v38 :: v_dual_mov_b32 v111, v39
	;; [unrolled: 1-line block ×4, first 2 shown]
	ds_store_2addr_b64 v106, v[104:105], v[110:111] offset0:36 offset1:37
	ds_store_2addr_b64 v106, v[112:113], v[114:115] offset0:38 offset1:39
	v_dual_mov_b32 v104, v36 :: v_dual_mov_b32 v105, v37
	v_dual_mov_b32 v112, v30 :: v_dual_mov_b32 v113, v31
	;; [unrolled: 1-line block ×7, first 2 shown]
	v_mov_b32_e32 v123, v15
	ds_store_2addr_b64 v106, v[104:105], v[112:113] offset0:40 offset1:41
	ds_store_2addr_b64 v106, v[114:115], v[116:117] offset0:42 offset1:43
	;; [unrolled: 1-line block ×4, first 2 shown]
.LBB94_753:
	s_or_b32 exec_lo, exec_lo, s0
	s_delay_alu instid0(SALU_CYCLE_1)
	s_mov_b32 s0, exec_lo
	s_wait_storecnt_dscnt 0x0
	s_barrier_signal -1
	s_barrier_wait -1
	v_cmpx_lt_i32_e32 35, v110
	s_cbranch_execz .LBB94_755
; %bb.754:
	v_pk_mul_f32 v[104:105], v[102:103], v[10:11] op_sel:[1,1] op_sel_hi:[0,1]
	s_delay_alu instid0(VALU_DEP_1)
	v_pk_fma_f32 v[112:113], v[102:103], v[10:11], v[104:105] op_sel_hi:[1,0,1] neg_lo:[0,0,1] neg_hi:[0,0,1]
	v_pk_fma_f32 v[114:115], v[102:103], v[10:11], v[104:105] op_sel_hi:[1,0,1]
	ds_load_2addr_b64 v[102:105], v106 offset0:36 offset1:37
	v_dual_mov_b32 v10, v112 :: v_dual_mov_b32 v11, v115
	s_wait_dscnt 0x0
	v_pk_mul_f32 v[116:117], v[102:103], v[114:115] op_sel:[0,1]
	s_delay_alu instid0(VALU_DEP_1) | instskip(SKIP_1) | instid1(VALU_DEP_1)
	v_pk_fma_f32 v[118:119], v[102:103], v[112:113], v[116:117] op_sel:[0,0,1] op_sel_hi:[1,1,0] neg_lo:[0,0,1] neg_hi:[0,0,1]
	v_pk_fma_f32 v[102:103], v[102:103], v[112:113], v[116:117] op_sel:[0,0,1] op_sel_hi:[1,0,0]
	v_mov_b32_e32 v119, v103
	v_pk_mul_f32 v[102:103], v[104:105], v[114:115] op_sel:[0,1]
	s_delay_alu instid0(VALU_DEP_1) | instskip(SKIP_1) | instid1(VALU_DEP_1)
	v_pk_fma_f32 v[116:117], v[104:105], v[112:113], v[102:103] op_sel:[0,0,1] op_sel_hi:[1,1,0] neg_lo:[0,0,1] neg_hi:[0,0,1]
	v_pk_fma_f32 v[102:103], v[104:105], v[112:113], v[102:103] op_sel:[0,0,1] op_sel_hi:[1,0,0]
	v_mov_b32_e32 v117, v103
	ds_load_2addr_b64 v[102:105], v106 offset0:38 offset1:39
	v_pk_add_f32 v[42:43], v[42:43], v[118:119] neg_lo:[0,1] neg_hi:[0,1]
	v_pk_add_f32 v[38:39], v[38:39], v[116:117] neg_lo:[0,1] neg_hi:[0,1]
	s_wait_dscnt 0x0
	v_pk_mul_f32 v[116:117], v[102:103], v[114:115] op_sel:[0,1]
	s_delay_alu instid0(VALU_DEP_1) | instskip(SKIP_2) | instid1(VALU_DEP_2)
	v_pk_fma_f32 v[118:119], v[102:103], v[112:113], v[116:117] op_sel:[0,0,1] op_sel_hi:[1,1,0] neg_lo:[0,0,1] neg_hi:[0,0,1]
	v_pk_fma_f32 v[102:103], v[102:103], v[112:113], v[116:117] op_sel:[0,0,1] op_sel_hi:[1,0,0]
	v_dual_mul_f32 v116, v105, v115 :: v_dual_mov_b32 v102, v105
	v_dual_mov_b32 v119, v103 :: v_dual_mov_b32 v103, v104
	s_delay_alu instid0(VALU_DEP_2) | instskip(SKIP_1) | instid1(VALU_DEP_3)
	v_pk_fma_f32 v[116:117], v[104:105], v[10:11], v[116:117] op_sel_hi:[1,1,0] neg_lo:[0,0,1] neg_hi:[0,0,1]
	v_mul_f32_e32 v104, v105, v112
	v_pk_add_f32 v[40:41], v[40:41], v[118:119] neg_lo:[0,1] neg_hi:[0,1]
	s_delay_alu instid0(VALU_DEP_2) | instskip(NEXT) | instid1(VALU_DEP_1)
	v_pk_fma_f32 v[102:103], v[102:103], v[10:11], v[104:105] op_sel_hi:[1,1,0]
	v_mov_b32_e32 v117, v103
	ds_load_2addr_b64 v[102:105], v106 offset0:40 offset1:41
	v_pk_add_f32 v[6:7], v[6:7], v[116:117] neg_lo:[0,1] neg_hi:[0,1]
	s_wait_dscnt 0x0
	v_pk_mul_f32 v[116:117], v[102:103], v[114:115] op_sel:[0,1]
	s_delay_alu instid0(VALU_DEP_1) | instskip(SKIP_1) | instid1(VALU_DEP_1)
	v_pk_fma_f32 v[118:119], v[102:103], v[112:113], v[116:117] op_sel:[0,0,1] op_sel_hi:[1,1,0] neg_lo:[0,0,1] neg_hi:[0,0,1]
	v_pk_fma_f32 v[102:103], v[102:103], v[112:113], v[116:117] op_sel:[0,0,1] op_sel_hi:[1,0,0]
	v_mov_b32_e32 v119, v103
	v_pk_mul_f32 v[102:103], v[104:105], v[114:115] op_sel:[0,1]
	s_delay_alu instid0(VALU_DEP_1) | instskip(SKIP_1) | instid1(VALU_DEP_1)
	v_pk_fma_f32 v[116:117], v[104:105], v[112:113], v[102:103] op_sel:[0,0,1] op_sel_hi:[1,1,0] neg_lo:[0,0,1] neg_hi:[0,0,1]
	v_pk_fma_f32 v[102:103], v[104:105], v[112:113], v[102:103] op_sel:[0,0,1] op_sel_hi:[1,0,0]
	v_mov_b32_e32 v117, v103
	ds_load_2addr_b64 v[102:105], v106 offset0:42 offset1:43
	v_pk_add_f32 v[36:37], v[36:37], v[118:119] neg_lo:[0,1] neg_hi:[0,1]
	v_pk_add_f32 v[30:31], v[30:31], v[116:117] neg_lo:[0,1] neg_hi:[0,1]
	s_wait_dscnt 0x0
	v_pk_mul_f32 v[116:117], v[102:103], v[114:115] op_sel:[0,1]
	s_delay_alu instid0(VALU_DEP_1) | instskip(SKIP_1) | instid1(VALU_DEP_1)
	v_pk_fma_f32 v[118:119], v[102:103], v[112:113], v[116:117] op_sel:[0,0,1] op_sel_hi:[1,1,0] neg_lo:[0,0,1] neg_hi:[0,0,1]
	v_pk_fma_f32 v[102:103], v[102:103], v[112:113], v[116:117] op_sel:[0,0,1] op_sel_hi:[1,0,0]
	v_mov_b32_e32 v119, v103
	v_pk_mul_f32 v[102:103], v[104:105], v[114:115] op_sel:[0,1]
	s_delay_alu instid0(VALU_DEP_1) | instskip(SKIP_1) | instid1(VALU_DEP_1)
	v_pk_fma_f32 v[116:117], v[104:105], v[112:113], v[102:103] op_sel:[0,0,1] op_sel_hi:[1,1,0] neg_lo:[0,0,1] neg_hi:[0,0,1]
	v_pk_fma_f32 v[102:103], v[104:105], v[112:113], v[102:103] op_sel:[0,0,1] op_sel_hi:[1,0,0]
	v_mov_b32_e32 v117, v103
	ds_load_2addr_b64 v[102:105], v106 offset0:44 offset1:45
	v_pk_add_f32 v[34:35], v[34:35], v[118:119] neg_lo:[0,1] neg_hi:[0,1]
	v_pk_add_f32 v[8:9], v[8:9], v[116:117] neg_lo:[0,1] neg_hi:[0,1]
	s_wait_dscnt 0x0
	v_dual_mul_f32 v116, v103, v115 :: v_dual_mul_f32 v118, v103, v112
	s_delay_alu instid0(VALU_DEP_1) | instskip(NEXT) | instid1(VALU_DEP_2)
	v_pk_fma_f32 v[116:117], v[102:103], v[10:11], v[116:117] op_sel_hi:[1,1,0] neg_lo:[0,0,1] neg_hi:[0,0,1]
	v_pk_fma_f32 v[102:103], v[102:103], v[10:11], v[118:119] op_sel:[1,0,0] op_sel_hi:[0,1,0]
	s_delay_alu instid0(VALU_DEP_1) | instskip(SKIP_1) | instid1(VALU_DEP_2)
	v_mov_b32_e32 v117, v103
	v_pk_mul_f32 v[102:103], v[104:105], v[114:115] op_sel:[0,1]
	v_pk_add_f32 v[28:29], v[28:29], v[116:117] neg_lo:[0,1] neg_hi:[0,1]
	s_delay_alu instid0(VALU_DEP_2) | instskip(SKIP_1) | instid1(VALU_DEP_1)
	v_pk_fma_f32 v[116:117], v[104:105], v[112:113], v[102:103] op_sel:[0,0,1] op_sel_hi:[1,1,0] neg_lo:[0,0,1] neg_hi:[0,0,1]
	v_pk_fma_f32 v[102:103], v[104:105], v[112:113], v[102:103] op_sel:[0,0,1] op_sel_hi:[1,0,0]
	v_mov_b32_e32 v117, v103
	ds_load_2addr_b64 v[102:105], v106 offset0:46 offset1:47
	v_pk_add_f32 v[18:19], v[18:19], v[116:117] neg_lo:[0,1] neg_hi:[0,1]
	s_wait_dscnt 0x0
	v_pk_mul_f32 v[116:117], v[102:103], v[114:115] op_sel:[0,1]
	v_mul_f32_e32 v114, v105, v115
	s_delay_alu instid0(VALU_DEP_2) | instskip(SKIP_2) | instid1(VALU_DEP_4)
	v_pk_fma_f32 v[118:119], v[102:103], v[112:113], v[116:117] op_sel:[0,0,1] op_sel_hi:[1,1,0] neg_lo:[0,0,1] neg_hi:[0,0,1]
	v_pk_fma_f32 v[102:103], v[102:103], v[112:113], v[116:117] op_sel:[0,0,1] op_sel_hi:[1,0,0]
	v_mov_b32_e32 v102, v105
	v_pk_fma_f32 v[114:115], v[104:105], v[10:11], v[114:115] op_sel_hi:[1,1,0] neg_lo:[0,0,1] neg_hi:[0,0,1]
	s_delay_alu instid0(VALU_DEP_3) | instskip(SKIP_1) | instid1(VALU_DEP_2)
	v_dual_mov_b32 v119, v103 :: v_dual_mov_b32 v103, v104
	v_mul_f32_e32 v104, v105, v112
	v_pk_add_f32 v[14:15], v[14:15], v[118:119] neg_lo:[0,1] neg_hi:[0,1]
	s_delay_alu instid0(VALU_DEP_2) | instskip(NEXT) | instid1(VALU_DEP_1)
	v_pk_fma_f32 v[102:103], v[102:103], v[10:11], v[104:105] op_sel_hi:[1,1,0]
	v_mov_b32_e32 v115, v103
	s_delay_alu instid0(VALU_DEP_1)
	v_pk_add_f32 v[100:101], v[100:101], v[114:115] neg_lo:[0,1] neg_hi:[0,1]
.LBB94_755:
	s_or_b32 exec_lo, exec_lo, s0
	v_lshl_add_u32 v102, v110, 3, v106
	s_barrier_signal -1
	s_barrier_wait -1
	ds_store_b64 v102, v[42:43]
	s_wait_dscnt 0x0
	s_barrier_signal -1
	s_barrier_wait -1
	ds_load_b64 v[102:103], v106 offset:288
	v_mov_b32_e32 v104, 36
	s_cmp_lt_i32 s18, 38
	s_cbranch_scc1 .LBB94_758
; %bb.756:
	v_add3_u32 v105, v107, 0, 0x128
	v_mov_b32_e32 v104, 36
	s_mov_b32 s0, 37
.LBB94_757:                             ; =>This Inner Loop Header: Depth=1
	ds_load_b64 v[112:113], v105
	s_wait_dscnt 0x1
	v_cmp_gt_f32_e32 vcc_lo, 0, v102
	v_cndmask_b32_e64 v114, v102, -v102, vcc_lo
	v_cmp_gt_f32_e32 vcc_lo, 0, v103
	v_cndmask_b32_e64 v116, v103, -v103, vcc_lo
	s_wait_dscnt 0x0
	v_cmp_gt_f32_e32 vcc_lo, 0, v112
	v_cndmask_b32_e64 v115, v112, -v112, vcc_lo
	v_cmp_gt_f32_e32 vcc_lo, 0, v113
	v_cndmask_b32_e64 v117, v113, -v113, vcc_lo
	s_delay_alu instid0(VALU_DEP_1) | instskip(NEXT) | instid1(VALU_DEP_1)
	v_pk_add_f32 v[114:115], v[114:115], v[116:117]
	v_cmp_lt_f32_e32 vcc_lo, v114, v115
	v_dual_cndmask_b32 v102, v102, v112 :: v_dual_add_nc_u32 v105, 8, v105
	v_cndmask_b32_e32 v103, v103, v113, vcc_lo
	v_cndmask_b32_e64 v104, v104, s0, vcc_lo
	s_add_co_i32 s0, s0, 1
	s_delay_alu instid0(SALU_CYCLE_1)
	s_cmp_lg_u32 s18, s0
	s_cbranch_scc1 .LBB94_757
.LBB94_758:
	s_wait_dscnt 0x0
	v_cmp_eq_f32_e32 vcc_lo, 0, v102
	v_cmp_eq_f32_e64 s0, 0, v103
	s_and_b32 s0, vcc_lo, s0
	s_delay_alu instid0(SALU_CYCLE_1) | instskip(NEXT) | instid1(SALU_CYCLE_1)
	s_and_saveexec_b32 s1, s0
	s_xor_b32 s0, exec_lo, s1
; %bb.759:
	v_cmp_ne_u32_e32 vcc_lo, 0, v108
	v_cndmask_b32_e32 v108, 37, v108, vcc_lo
; %bb.760:
	s_and_not1_saveexec_b32 s0, s0
	s_cbranch_execz .LBB94_766
; %bb.761:
	v_cmp_ngt_f32_e64 s1, |v102|, |v103|
	s_and_saveexec_b32 s12, s1
	s_delay_alu instid0(SALU_CYCLE_1)
	s_xor_b32 s1, exec_lo, s12
	s_cbranch_execz .LBB94_763
; %bb.762:
	v_div_scale_f32 v105, null, v103, v103, v102
	v_div_scale_f32 v113, vcc_lo, v102, v103, v102
	s_delay_alu instid0(VALU_DEP_2) | instskip(SKIP_1) | instid1(TRANS32_DEP_1)
	v_rcp_f32_e32 v111, v105
	v_nop
	v_fma_f32 v112, -v105, v111, 1.0
	s_delay_alu instid0(VALU_DEP_1) | instskip(NEXT) | instid1(VALU_DEP_1)
	v_fmac_f32_e32 v111, v112, v111
	v_mul_f32_e32 v112, v113, v111
	s_delay_alu instid0(VALU_DEP_1) | instskip(NEXT) | instid1(VALU_DEP_1)
	v_fma_f32 v114, -v105, v112, v113
	v_fmac_f32_e32 v112, v114, v111
	s_delay_alu instid0(VALU_DEP_1) | instskip(NEXT) | instid1(VALU_DEP_1)
	v_fma_f32 v105, -v105, v112, v113
	v_div_fmas_f32 v105, v105, v111, v112
	s_delay_alu instid0(VALU_DEP_1) | instskip(NEXT) | instid1(VALU_DEP_1)
	v_div_fixup_f32 v105, v105, v103, v102
	v_fmac_f32_e32 v103, v102, v105
	s_delay_alu instid0(VALU_DEP_1) | instskip(SKIP_1) | instid1(VALU_DEP_2)
	v_div_scale_f32 v102, null, v103, v103, 1.0
	v_div_scale_f32 v113, vcc_lo, 1.0, v103, 1.0
	v_rcp_f32_e32 v111, v102
	v_nop
	s_delay_alu instid0(TRANS32_DEP_1) | instskip(NEXT) | instid1(VALU_DEP_1)
	v_fma_f32 v112, -v102, v111, 1.0
	v_fmac_f32_e32 v111, v112, v111
	s_delay_alu instid0(VALU_DEP_1) | instskip(NEXT) | instid1(VALU_DEP_1)
	v_mul_f32_e32 v112, v113, v111
	v_fma_f32 v114, -v102, v112, v113
	s_delay_alu instid0(VALU_DEP_1) | instskip(NEXT) | instid1(VALU_DEP_1)
	v_fmac_f32_e32 v112, v114, v111
	v_fma_f32 v102, -v102, v112, v113
	s_delay_alu instid0(VALU_DEP_1) | instskip(NEXT) | instid1(VALU_DEP_1)
	v_div_fmas_f32 v102, v102, v111, v112
	v_div_fixup_f32 v103, v102, v103, 1.0
	s_delay_alu instid0(VALU_DEP_1)
	v_mul_f32_e32 v102, v105, v103
	v_xor_b32_e32 v103, 0x80000000, v103
.LBB94_763:
	s_and_not1_saveexec_b32 s1, s1
	s_cbranch_execz .LBB94_765
; %bb.764:
	s_delay_alu instid0(VALU_DEP_1) | instskip(SKIP_1) | instid1(VALU_DEP_2)
	v_div_scale_f32 v105, null, v102, v102, v103
	v_div_scale_f32 v113, vcc_lo, v103, v102, v103
	v_rcp_f32_e32 v111, v105
	v_nop
	s_delay_alu instid0(TRANS32_DEP_1) | instskip(NEXT) | instid1(VALU_DEP_1)
	v_fma_f32 v112, -v105, v111, 1.0
	v_fmac_f32_e32 v111, v112, v111
	s_delay_alu instid0(VALU_DEP_1) | instskip(NEXT) | instid1(VALU_DEP_1)
	v_mul_f32_e32 v112, v113, v111
	v_fma_f32 v114, -v105, v112, v113
	s_delay_alu instid0(VALU_DEP_1) | instskip(NEXT) | instid1(VALU_DEP_1)
	v_fmac_f32_e32 v112, v114, v111
	v_fma_f32 v105, -v105, v112, v113
	s_delay_alu instid0(VALU_DEP_1) | instskip(NEXT) | instid1(VALU_DEP_1)
	v_div_fmas_f32 v105, v105, v111, v112
	v_div_fixup_f32 v105, v105, v102, v103
	s_delay_alu instid0(VALU_DEP_1) | instskip(NEXT) | instid1(VALU_DEP_1)
	v_fmac_f32_e32 v102, v103, v105
	v_div_scale_f32 v103, null, v102, v102, 1.0
	s_delay_alu instid0(VALU_DEP_1) | instskip(SKIP_1) | instid1(TRANS32_DEP_1)
	v_rcp_f32_e32 v111, v103
	v_nop
	v_fma_f32 v112, -v103, v111, 1.0
	s_delay_alu instid0(VALU_DEP_1) | instskip(SKIP_1) | instid1(VALU_DEP_1)
	v_fmac_f32_e32 v111, v112, v111
	v_div_scale_f32 v112, vcc_lo, 1.0, v102, 1.0
	v_mul_f32_e32 v113, v112, v111
	s_delay_alu instid0(VALU_DEP_1) | instskip(NEXT) | instid1(VALU_DEP_1)
	v_fma_f32 v114, -v103, v113, v112
	v_fmac_f32_e32 v113, v114, v111
	s_delay_alu instid0(VALU_DEP_1) | instskip(NEXT) | instid1(VALU_DEP_1)
	v_fma_f32 v103, -v103, v113, v112
	v_div_fmas_f32 v103, v103, v111, v113
	s_delay_alu instid0(VALU_DEP_1) | instskip(NEXT) | instid1(VALU_DEP_1)
	v_div_fixup_f32 v102, v103, v102, 1.0
	v_mul_f32_e64 v103, v105, -v102
.LBB94_765:
	s_or_b32 exec_lo, exec_lo, s1
.LBB94_766:
	s_delay_alu instid0(SALU_CYCLE_1) | instskip(NEXT) | instid1(SALU_CYCLE_1)
	s_or_b32 exec_lo, exec_lo, s0
	s_mov_b32 s0, exec_lo
	v_cmpx_ne_u32_e64 v110, v104
	s_xor_b32 s0, exec_lo, s0
	s_cbranch_execz .LBB94_772
; %bb.767:
	s_mov_b32 s1, exec_lo
	v_cmpx_eq_u32_e32 36, v110
	s_cbranch_execz .LBB94_771
; %bb.768:
	v_cmp_ne_u32_e32 vcc_lo, 36, v104
	s_xor_b32 s12, s16, -1
	s_delay_alu instid0(SALU_CYCLE_1) | instskip(NEXT) | instid1(SALU_CYCLE_1)
	s_and_b32 s13, s12, vcc_lo
	s_and_saveexec_b32 s12, s13
	s_cbranch_execz .LBB94_770
; %bb.769:
	v_ashrrev_i32_e32 v105, 31, v104
	s_delay_alu instid0(VALU_DEP_1)
	v_lshl_add_u64 v[110:111], v[104:105], 2, v[4:5]
	s_clause 0x1
	global_load_b32 v105, v[110:111], off
	global_load_b32 v109, v[4:5], off offset:144
	s_wait_loadcnt 0x1
	global_store_b32 v[4:5], v105, off offset:144
	s_wait_loadcnt 0x0
	global_store_b32 v[110:111], v109, off
.LBB94_770:
	s_wait_xcnt 0x0
	s_or_b32 exec_lo, exec_lo, s12
	v_dual_mov_b32 v110, v104 :: v_dual_mov_b32 v109, v104
.LBB94_771:
	s_or_b32 exec_lo, exec_lo, s1
.LBB94_772:
	s_and_not1_saveexec_b32 s0, s0
	s_cbranch_execz .LBB94_774
; %bb.773:
	v_mov_b32_e32 v110, 36
	ds_store_2addr_b64 v106, v[38:39], v[40:41] offset0:37 offset1:38
	ds_store_2addr_b64 v106, v[6:7], v[36:37] offset0:39 offset1:40
	;; [unrolled: 1-line block ×5, first 2 shown]
	ds_store_b64 v106, v[100:101] offset:376
.LBB94_774:
	s_or_b32 exec_lo, exec_lo, s0
	s_delay_alu instid0(SALU_CYCLE_1)
	s_mov_b32 s0, exec_lo
	s_wait_storecnt_dscnt 0x0
	s_barrier_signal -1
	s_barrier_wait -1
	v_cmpx_lt_i32_e32 36, v110
	s_cbranch_execz .LBB94_776
; %bb.775:
	v_pk_mul_f32 v[104:105], v[102:103], v[42:43] op_sel:[1,1] op_sel_hi:[0,1]
	s_delay_alu instid0(VALU_DEP_1)
	v_pk_fma_f32 v[112:113], v[102:103], v[42:43], v[104:105] op_sel_hi:[1,0,1] neg_lo:[0,0,1] neg_hi:[0,0,1]
	v_pk_fma_f32 v[114:115], v[102:103], v[42:43], v[104:105] op_sel_hi:[1,0,1]
	ds_load_2addr_b64 v[102:105], v106 offset0:37 offset1:38
	v_dual_mov_b32 v42, v112 :: v_dual_mov_b32 v43, v115
	s_wait_dscnt 0x0
	v_pk_mul_f32 v[116:117], v[102:103], v[114:115] op_sel:[0,1]
	s_delay_alu instid0(VALU_DEP_1) | instskip(SKIP_1) | instid1(VALU_DEP_1)
	v_pk_fma_f32 v[118:119], v[102:103], v[112:113], v[116:117] op_sel:[0,0,1] op_sel_hi:[1,1,0] neg_lo:[0,0,1] neg_hi:[0,0,1]
	v_pk_fma_f32 v[102:103], v[102:103], v[112:113], v[116:117] op_sel:[0,0,1] op_sel_hi:[1,0,0]
	v_mov_b32_e32 v119, v103
	v_pk_mul_f32 v[102:103], v[104:105], v[114:115] op_sel:[0,1]
	s_delay_alu instid0(VALU_DEP_1) | instskip(SKIP_1) | instid1(VALU_DEP_1)
	v_pk_fma_f32 v[116:117], v[104:105], v[112:113], v[102:103] op_sel:[0,0,1] op_sel_hi:[1,1,0] neg_lo:[0,0,1] neg_hi:[0,0,1]
	v_pk_fma_f32 v[102:103], v[104:105], v[112:113], v[102:103] op_sel:[0,0,1] op_sel_hi:[1,0,0]
	v_mov_b32_e32 v117, v103
	ds_load_2addr_b64 v[102:105], v106 offset0:39 offset1:40
	v_pk_add_f32 v[38:39], v[38:39], v[118:119] neg_lo:[0,1] neg_hi:[0,1]
	v_pk_add_f32 v[40:41], v[40:41], v[116:117] neg_lo:[0,1] neg_hi:[0,1]
	s_wait_dscnt 0x0
	v_pk_mul_f32 v[116:117], v[102:103], v[114:115] op_sel:[0,1]
	s_delay_alu instid0(VALU_DEP_1) | instskip(SKIP_2) | instid1(VALU_DEP_2)
	v_pk_fma_f32 v[118:119], v[102:103], v[112:113], v[116:117] op_sel:[0,0,1] op_sel_hi:[1,1,0] neg_lo:[0,0,1] neg_hi:[0,0,1]
	v_pk_fma_f32 v[102:103], v[102:103], v[112:113], v[116:117] op_sel:[0,0,1] op_sel_hi:[1,0,0]
	v_dual_mul_f32 v116, v105, v115 :: v_dual_mov_b32 v102, v105
	v_dual_mov_b32 v119, v103 :: v_dual_mov_b32 v103, v104
	s_delay_alu instid0(VALU_DEP_2) | instskip(SKIP_1) | instid1(VALU_DEP_3)
	v_pk_fma_f32 v[116:117], v[104:105], v[42:43], v[116:117] op_sel_hi:[1,1,0] neg_lo:[0,0,1] neg_hi:[0,0,1]
	v_mul_f32_e32 v104, v105, v112
	v_pk_add_f32 v[6:7], v[6:7], v[118:119] neg_lo:[0,1] neg_hi:[0,1]
	s_delay_alu instid0(VALU_DEP_2) | instskip(NEXT) | instid1(VALU_DEP_1)
	v_pk_fma_f32 v[102:103], v[102:103], v[42:43], v[104:105] op_sel_hi:[1,1,0]
	v_mov_b32_e32 v117, v103
	ds_load_2addr_b64 v[102:105], v106 offset0:41 offset1:42
	v_pk_add_f32 v[36:37], v[36:37], v[116:117] neg_lo:[0,1] neg_hi:[0,1]
	s_wait_dscnt 0x0
	v_pk_mul_f32 v[116:117], v[102:103], v[114:115] op_sel:[0,1]
	s_delay_alu instid0(VALU_DEP_1) | instskip(SKIP_1) | instid1(VALU_DEP_1)
	v_pk_fma_f32 v[118:119], v[102:103], v[112:113], v[116:117] op_sel:[0,0,1] op_sel_hi:[1,1,0] neg_lo:[0,0,1] neg_hi:[0,0,1]
	v_pk_fma_f32 v[102:103], v[102:103], v[112:113], v[116:117] op_sel:[0,0,1] op_sel_hi:[1,0,0]
	v_mov_b32_e32 v119, v103
	v_pk_mul_f32 v[102:103], v[104:105], v[114:115] op_sel:[0,1]
	s_delay_alu instid0(VALU_DEP_1) | instskip(SKIP_1) | instid1(VALU_DEP_1)
	v_pk_fma_f32 v[116:117], v[104:105], v[112:113], v[102:103] op_sel:[0,0,1] op_sel_hi:[1,1,0] neg_lo:[0,0,1] neg_hi:[0,0,1]
	v_pk_fma_f32 v[102:103], v[104:105], v[112:113], v[102:103] op_sel:[0,0,1] op_sel_hi:[1,0,0]
	v_mov_b32_e32 v117, v103
	ds_load_2addr_b64 v[102:105], v106 offset0:43 offset1:44
	v_pk_add_f32 v[30:31], v[30:31], v[118:119] neg_lo:[0,1] neg_hi:[0,1]
	v_pk_add_f32 v[34:35], v[34:35], v[116:117] neg_lo:[0,1] neg_hi:[0,1]
	s_wait_dscnt 0x0
	v_pk_mul_f32 v[116:117], v[102:103], v[114:115] op_sel:[0,1]
	s_delay_alu instid0(VALU_DEP_1) | instskip(SKIP_1) | instid1(VALU_DEP_1)
	v_pk_fma_f32 v[118:119], v[102:103], v[112:113], v[116:117] op_sel:[0,0,1] op_sel_hi:[1,1,0] neg_lo:[0,0,1] neg_hi:[0,0,1]
	v_pk_fma_f32 v[102:103], v[102:103], v[112:113], v[116:117] op_sel:[0,0,1] op_sel_hi:[1,0,0]
	v_mov_b32_e32 v119, v103
	v_pk_mul_f32 v[102:103], v[104:105], v[114:115] op_sel:[0,1]
	s_delay_alu instid0(VALU_DEP_1) | instskip(SKIP_1) | instid1(VALU_DEP_1)
	v_pk_fma_f32 v[116:117], v[104:105], v[112:113], v[102:103] op_sel:[0,0,1] op_sel_hi:[1,1,0] neg_lo:[0,0,1] neg_hi:[0,0,1]
	v_pk_fma_f32 v[102:103], v[104:105], v[112:113], v[102:103] op_sel:[0,0,1] op_sel_hi:[1,0,0]
	v_mov_b32_e32 v117, v103
	ds_load_2addr_b64 v[102:105], v106 offset0:45 offset1:46
	v_pk_add_f32 v[8:9], v[8:9], v[118:119] neg_lo:[0,1] neg_hi:[0,1]
	v_pk_add_f32 v[28:29], v[28:29], v[116:117] neg_lo:[0,1] neg_hi:[0,1]
	s_wait_dscnt 0x0
	v_dual_mul_f32 v116, v103, v115 :: v_dual_mul_f32 v118, v103, v112
	s_delay_alu instid0(VALU_DEP_1) | instskip(NEXT) | instid1(VALU_DEP_2)
	v_pk_fma_f32 v[116:117], v[102:103], v[42:43], v[116:117] op_sel_hi:[1,1,0] neg_lo:[0,0,1] neg_hi:[0,0,1]
	v_pk_fma_f32 v[102:103], v[102:103], v[42:43], v[118:119] op_sel:[1,0,0] op_sel_hi:[0,1,0]
	s_delay_alu instid0(VALU_DEP_1) | instskip(SKIP_1) | instid1(VALU_DEP_2)
	v_mov_b32_e32 v117, v103
	v_pk_mul_f32 v[102:103], v[104:105], v[114:115] op_sel:[0,1]
	v_pk_add_f32 v[18:19], v[18:19], v[116:117] neg_lo:[0,1] neg_hi:[0,1]
	s_delay_alu instid0(VALU_DEP_2) | instskip(SKIP_1) | instid1(VALU_DEP_1)
	v_pk_fma_f32 v[116:117], v[104:105], v[112:113], v[102:103] op_sel:[0,0,1] op_sel_hi:[1,1,0] neg_lo:[0,0,1] neg_hi:[0,0,1]
	v_pk_fma_f32 v[102:103], v[104:105], v[112:113], v[102:103] op_sel:[0,0,1] op_sel_hi:[1,0,0]
	v_mov_b32_e32 v117, v103
	ds_load_b64 v[102:103], v106 offset:376
	v_pk_add_f32 v[14:15], v[14:15], v[116:117] neg_lo:[0,1] neg_hi:[0,1]
	s_wait_dscnt 0x0
	v_pk_mul_f32 v[104:105], v[102:103], v[114:115] op_sel:[0,1]
	s_delay_alu instid0(VALU_DEP_1) | instskip(SKIP_1) | instid1(VALU_DEP_1)
	v_pk_fma_f32 v[114:115], v[102:103], v[112:113], v[104:105] op_sel:[0,0,1] op_sel_hi:[1,1,0] neg_lo:[0,0,1] neg_hi:[0,0,1]
	v_pk_fma_f32 v[102:103], v[102:103], v[112:113], v[104:105] op_sel:[0,0,1] op_sel_hi:[1,0,0]
	v_mov_b32_e32 v115, v103
	s_delay_alu instid0(VALU_DEP_1)
	v_pk_add_f32 v[100:101], v[100:101], v[114:115] neg_lo:[0,1] neg_hi:[0,1]
.LBB94_776:
	s_or_b32 exec_lo, exec_lo, s0
	v_lshl_add_u32 v102, v110, 3, v106
	s_barrier_signal -1
	s_barrier_wait -1
	ds_store_b64 v102, v[38:39]
	s_wait_dscnt 0x0
	s_barrier_signal -1
	s_barrier_wait -1
	ds_load_b64 v[102:103], v106 offset:296
	v_mov_b32_e32 v104, 37
	s_cmp_lt_i32 s18, 39
	s_cbranch_scc1 .LBB94_779
; %bb.777:
	v_add3_u32 v105, v107, 0, 0x130
	v_mov_b32_e32 v104, 37
	s_mov_b32 s0, 38
.LBB94_778:                             ; =>This Inner Loop Header: Depth=1
	ds_load_b64 v[112:113], v105
	s_wait_dscnt 0x1
	v_cmp_gt_f32_e32 vcc_lo, 0, v102
	v_cndmask_b32_e64 v114, v102, -v102, vcc_lo
	v_cmp_gt_f32_e32 vcc_lo, 0, v103
	v_cndmask_b32_e64 v116, v103, -v103, vcc_lo
	s_wait_dscnt 0x0
	v_cmp_gt_f32_e32 vcc_lo, 0, v112
	v_cndmask_b32_e64 v115, v112, -v112, vcc_lo
	v_cmp_gt_f32_e32 vcc_lo, 0, v113
	v_cndmask_b32_e64 v117, v113, -v113, vcc_lo
	s_delay_alu instid0(VALU_DEP_1) | instskip(NEXT) | instid1(VALU_DEP_1)
	v_pk_add_f32 v[114:115], v[114:115], v[116:117]
	v_cmp_lt_f32_e32 vcc_lo, v114, v115
	v_dual_cndmask_b32 v102, v102, v112 :: v_dual_add_nc_u32 v105, 8, v105
	v_cndmask_b32_e32 v103, v103, v113, vcc_lo
	v_cndmask_b32_e64 v104, v104, s0, vcc_lo
	s_add_co_i32 s0, s0, 1
	s_delay_alu instid0(SALU_CYCLE_1)
	s_cmp_lg_u32 s18, s0
	s_cbranch_scc1 .LBB94_778
.LBB94_779:
	s_wait_dscnt 0x0
	v_cmp_eq_f32_e32 vcc_lo, 0, v102
	v_cmp_eq_f32_e64 s0, 0, v103
	s_and_b32 s0, vcc_lo, s0
	s_delay_alu instid0(SALU_CYCLE_1) | instskip(NEXT) | instid1(SALU_CYCLE_1)
	s_and_saveexec_b32 s1, s0
	s_xor_b32 s0, exec_lo, s1
; %bb.780:
	v_cmp_ne_u32_e32 vcc_lo, 0, v108
	v_cndmask_b32_e32 v108, 38, v108, vcc_lo
; %bb.781:
	s_and_not1_saveexec_b32 s0, s0
	s_cbranch_execz .LBB94_787
; %bb.782:
	v_cmp_ngt_f32_e64 s1, |v102|, |v103|
	s_and_saveexec_b32 s12, s1
	s_delay_alu instid0(SALU_CYCLE_1)
	s_xor_b32 s1, exec_lo, s12
	s_cbranch_execz .LBB94_784
; %bb.783:
	v_div_scale_f32 v105, null, v103, v103, v102
	v_div_scale_f32 v113, vcc_lo, v102, v103, v102
	s_delay_alu instid0(VALU_DEP_2) | instskip(SKIP_1) | instid1(TRANS32_DEP_1)
	v_rcp_f32_e32 v111, v105
	v_nop
	v_fma_f32 v112, -v105, v111, 1.0
	s_delay_alu instid0(VALU_DEP_1) | instskip(NEXT) | instid1(VALU_DEP_1)
	v_fmac_f32_e32 v111, v112, v111
	v_mul_f32_e32 v112, v113, v111
	s_delay_alu instid0(VALU_DEP_1) | instskip(NEXT) | instid1(VALU_DEP_1)
	v_fma_f32 v114, -v105, v112, v113
	v_fmac_f32_e32 v112, v114, v111
	s_delay_alu instid0(VALU_DEP_1) | instskip(NEXT) | instid1(VALU_DEP_1)
	v_fma_f32 v105, -v105, v112, v113
	v_div_fmas_f32 v105, v105, v111, v112
	s_delay_alu instid0(VALU_DEP_1) | instskip(NEXT) | instid1(VALU_DEP_1)
	v_div_fixup_f32 v105, v105, v103, v102
	v_fmac_f32_e32 v103, v102, v105
	s_delay_alu instid0(VALU_DEP_1) | instskip(SKIP_1) | instid1(VALU_DEP_2)
	v_div_scale_f32 v102, null, v103, v103, 1.0
	v_div_scale_f32 v113, vcc_lo, 1.0, v103, 1.0
	v_rcp_f32_e32 v111, v102
	v_nop
	s_delay_alu instid0(TRANS32_DEP_1) | instskip(NEXT) | instid1(VALU_DEP_1)
	v_fma_f32 v112, -v102, v111, 1.0
	v_fmac_f32_e32 v111, v112, v111
	s_delay_alu instid0(VALU_DEP_1) | instskip(NEXT) | instid1(VALU_DEP_1)
	v_mul_f32_e32 v112, v113, v111
	v_fma_f32 v114, -v102, v112, v113
	s_delay_alu instid0(VALU_DEP_1) | instskip(NEXT) | instid1(VALU_DEP_1)
	v_fmac_f32_e32 v112, v114, v111
	v_fma_f32 v102, -v102, v112, v113
	s_delay_alu instid0(VALU_DEP_1) | instskip(NEXT) | instid1(VALU_DEP_1)
	v_div_fmas_f32 v102, v102, v111, v112
	v_div_fixup_f32 v103, v102, v103, 1.0
	s_delay_alu instid0(VALU_DEP_1)
	v_mul_f32_e32 v102, v105, v103
	v_xor_b32_e32 v103, 0x80000000, v103
.LBB94_784:
	s_and_not1_saveexec_b32 s1, s1
	s_cbranch_execz .LBB94_786
; %bb.785:
	s_delay_alu instid0(VALU_DEP_1) | instskip(SKIP_1) | instid1(VALU_DEP_2)
	v_div_scale_f32 v105, null, v102, v102, v103
	v_div_scale_f32 v113, vcc_lo, v103, v102, v103
	v_rcp_f32_e32 v111, v105
	v_nop
	s_delay_alu instid0(TRANS32_DEP_1) | instskip(NEXT) | instid1(VALU_DEP_1)
	v_fma_f32 v112, -v105, v111, 1.0
	v_fmac_f32_e32 v111, v112, v111
	s_delay_alu instid0(VALU_DEP_1) | instskip(NEXT) | instid1(VALU_DEP_1)
	v_mul_f32_e32 v112, v113, v111
	v_fma_f32 v114, -v105, v112, v113
	s_delay_alu instid0(VALU_DEP_1) | instskip(NEXT) | instid1(VALU_DEP_1)
	v_fmac_f32_e32 v112, v114, v111
	v_fma_f32 v105, -v105, v112, v113
	s_delay_alu instid0(VALU_DEP_1) | instskip(NEXT) | instid1(VALU_DEP_1)
	v_div_fmas_f32 v105, v105, v111, v112
	v_div_fixup_f32 v105, v105, v102, v103
	s_delay_alu instid0(VALU_DEP_1) | instskip(NEXT) | instid1(VALU_DEP_1)
	v_fmac_f32_e32 v102, v103, v105
	v_div_scale_f32 v103, null, v102, v102, 1.0
	s_delay_alu instid0(VALU_DEP_1) | instskip(SKIP_1) | instid1(TRANS32_DEP_1)
	v_rcp_f32_e32 v111, v103
	v_nop
	v_fma_f32 v112, -v103, v111, 1.0
	s_delay_alu instid0(VALU_DEP_1) | instskip(SKIP_1) | instid1(VALU_DEP_1)
	v_fmac_f32_e32 v111, v112, v111
	v_div_scale_f32 v112, vcc_lo, 1.0, v102, 1.0
	v_mul_f32_e32 v113, v112, v111
	s_delay_alu instid0(VALU_DEP_1) | instskip(NEXT) | instid1(VALU_DEP_1)
	v_fma_f32 v114, -v103, v113, v112
	v_fmac_f32_e32 v113, v114, v111
	s_delay_alu instid0(VALU_DEP_1) | instskip(NEXT) | instid1(VALU_DEP_1)
	v_fma_f32 v103, -v103, v113, v112
	v_div_fmas_f32 v103, v103, v111, v113
	s_delay_alu instid0(VALU_DEP_1) | instskip(NEXT) | instid1(VALU_DEP_1)
	v_div_fixup_f32 v102, v103, v102, 1.0
	v_mul_f32_e64 v103, v105, -v102
.LBB94_786:
	s_or_b32 exec_lo, exec_lo, s1
.LBB94_787:
	s_delay_alu instid0(SALU_CYCLE_1) | instskip(NEXT) | instid1(SALU_CYCLE_1)
	s_or_b32 exec_lo, exec_lo, s0
	s_mov_b32 s0, exec_lo
	v_cmpx_ne_u32_e64 v110, v104
	s_xor_b32 s0, exec_lo, s0
	s_cbranch_execz .LBB94_793
; %bb.788:
	s_mov_b32 s1, exec_lo
	v_cmpx_eq_u32_e32 37, v110
	s_cbranch_execz .LBB94_792
; %bb.789:
	v_cmp_ne_u32_e32 vcc_lo, 37, v104
	s_xor_b32 s12, s16, -1
	s_delay_alu instid0(SALU_CYCLE_1) | instskip(NEXT) | instid1(SALU_CYCLE_1)
	s_and_b32 s13, s12, vcc_lo
	s_and_saveexec_b32 s12, s13
	s_cbranch_execz .LBB94_791
; %bb.790:
	v_ashrrev_i32_e32 v105, 31, v104
	s_delay_alu instid0(VALU_DEP_1)
	v_lshl_add_u64 v[110:111], v[104:105], 2, v[4:5]
	s_clause 0x1
	global_load_b32 v105, v[110:111], off
	global_load_b32 v109, v[4:5], off offset:148
	s_wait_loadcnt 0x1
	global_store_b32 v[4:5], v105, off offset:148
	s_wait_loadcnt 0x0
	global_store_b32 v[110:111], v109, off
.LBB94_791:
	s_wait_xcnt 0x0
	s_or_b32 exec_lo, exec_lo, s12
	v_dual_mov_b32 v110, v104 :: v_dual_mov_b32 v109, v104
.LBB94_792:
	s_or_b32 exec_lo, exec_lo, s1
.LBB94_793:
	s_and_not1_saveexec_b32 s0, s0
	s_cbranch_execz .LBB94_795
; %bb.794:
	v_dual_mov_b32 v104, v40 :: v_dual_mov_b32 v105, v41
	v_dual_mov_b32 v112, v6 :: v_dual_mov_b32 v113, v7
	;; [unrolled: 1-line block ×9, first 2 shown]
	v_mov_b32_e32 v127, v15
	ds_store_2addr_b64 v106, v[104:105], v[112:113] offset0:38 offset1:39
	ds_store_2addr_b64 v106, v[114:115], v[116:117] offset0:40 offset1:41
	;; [unrolled: 1-line block ×5, first 2 shown]
.LBB94_795:
	s_or_b32 exec_lo, exec_lo, s0
	s_delay_alu instid0(SALU_CYCLE_1)
	s_mov_b32 s0, exec_lo
	s_wait_storecnt_dscnt 0x0
	s_barrier_signal -1
	s_barrier_wait -1
	v_cmpx_lt_i32_e32 37, v110
	s_cbranch_execz .LBB94_797
; %bb.796:
	v_pk_mul_f32 v[104:105], v[102:103], v[38:39] op_sel:[1,1] op_sel_hi:[0,1]
	s_delay_alu instid0(VALU_DEP_1)
	v_pk_fma_f32 v[112:113], v[102:103], v[38:39], v[104:105] op_sel_hi:[1,0,1] neg_lo:[0,0,1] neg_hi:[0,0,1]
	v_pk_fma_f32 v[114:115], v[102:103], v[38:39], v[104:105] op_sel_hi:[1,0,1]
	ds_load_2addr_b64 v[102:105], v106 offset0:38 offset1:39
	v_dual_mov_b32 v38, v112 :: v_dual_mov_b32 v39, v115
	s_wait_dscnt 0x0
	v_pk_mul_f32 v[116:117], v[102:103], v[114:115] op_sel:[0,1]
	s_delay_alu instid0(VALU_DEP_1) | instskip(SKIP_1) | instid1(VALU_DEP_1)
	v_pk_fma_f32 v[118:119], v[102:103], v[112:113], v[116:117] op_sel:[0,0,1] op_sel_hi:[1,1,0] neg_lo:[0,0,1] neg_hi:[0,0,1]
	v_pk_fma_f32 v[102:103], v[102:103], v[112:113], v[116:117] op_sel:[0,0,1] op_sel_hi:[1,0,0]
	v_mov_b32_e32 v119, v103
	v_pk_mul_f32 v[102:103], v[104:105], v[114:115] op_sel:[0,1]
	s_delay_alu instid0(VALU_DEP_1) | instskip(SKIP_1) | instid1(VALU_DEP_1)
	v_pk_fma_f32 v[116:117], v[104:105], v[112:113], v[102:103] op_sel:[0,0,1] op_sel_hi:[1,1,0] neg_lo:[0,0,1] neg_hi:[0,0,1]
	v_pk_fma_f32 v[102:103], v[104:105], v[112:113], v[102:103] op_sel:[0,0,1] op_sel_hi:[1,0,0]
	v_mov_b32_e32 v117, v103
	ds_load_2addr_b64 v[102:105], v106 offset0:40 offset1:41
	v_pk_add_f32 v[40:41], v[40:41], v[118:119] neg_lo:[0,1] neg_hi:[0,1]
	v_pk_add_f32 v[6:7], v[6:7], v[116:117] neg_lo:[0,1] neg_hi:[0,1]
	s_wait_dscnt 0x0
	v_pk_mul_f32 v[116:117], v[102:103], v[114:115] op_sel:[0,1]
	s_delay_alu instid0(VALU_DEP_1) | instskip(SKIP_2) | instid1(VALU_DEP_2)
	v_pk_fma_f32 v[118:119], v[102:103], v[112:113], v[116:117] op_sel:[0,0,1] op_sel_hi:[1,1,0] neg_lo:[0,0,1] neg_hi:[0,0,1]
	v_pk_fma_f32 v[102:103], v[102:103], v[112:113], v[116:117] op_sel:[0,0,1] op_sel_hi:[1,0,0]
	v_dual_mul_f32 v116, v105, v115 :: v_dual_mov_b32 v102, v105
	v_dual_mov_b32 v119, v103 :: v_dual_mov_b32 v103, v104
	s_delay_alu instid0(VALU_DEP_2) | instskip(SKIP_1) | instid1(VALU_DEP_3)
	v_pk_fma_f32 v[116:117], v[104:105], v[38:39], v[116:117] op_sel_hi:[1,1,0] neg_lo:[0,0,1] neg_hi:[0,0,1]
	v_mul_f32_e32 v104, v105, v112
	v_pk_add_f32 v[36:37], v[36:37], v[118:119] neg_lo:[0,1] neg_hi:[0,1]
	s_delay_alu instid0(VALU_DEP_2) | instskip(NEXT) | instid1(VALU_DEP_1)
	v_pk_fma_f32 v[102:103], v[102:103], v[38:39], v[104:105] op_sel_hi:[1,1,0]
	v_mov_b32_e32 v117, v103
	ds_load_2addr_b64 v[102:105], v106 offset0:42 offset1:43
	v_pk_add_f32 v[30:31], v[30:31], v[116:117] neg_lo:[0,1] neg_hi:[0,1]
	s_wait_dscnt 0x0
	v_pk_mul_f32 v[116:117], v[102:103], v[114:115] op_sel:[0,1]
	s_delay_alu instid0(VALU_DEP_1) | instskip(SKIP_1) | instid1(VALU_DEP_1)
	v_pk_fma_f32 v[118:119], v[102:103], v[112:113], v[116:117] op_sel:[0,0,1] op_sel_hi:[1,1,0] neg_lo:[0,0,1] neg_hi:[0,0,1]
	v_pk_fma_f32 v[102:103], v[102:103], v[112:113], v[116:117] op_sel:[0,0,1] op_sel_hi:[1,0,0]
	v_mov_b32_e32 v119, v103
	v_pk_mul_f32 v[102:103], v[104:105], v[114:115] op_sel:[0,1]
	s_delay_alu instid0(VALU_DEP_1) | instskip(SKIP_1) | instid1(VALU_DEP_1)
	v_pk_fma_f32 v[116:117], v[104:105], v[112:113], v[102:103] op_sel:[0,0,1] op_sel_hi:[1,1,0] neg_lo:[0,0,1] neg_hi:[0,0,1]
	v_pk_fma_f32 v[102:103], v[104:105], v[112:113], v[102:103] op_sel:[0,0,1] op_sel_hi:[1,0,0]
	v_mov_b32_e32 v117, v103
	ds_load_2addr_b64 v[102:105], v106 offset0:44 offset1:45
	v_pk_add_f32 v[34:35], v[34:35], v[118:119] neg_lo:[0,1] neg_hi:[0,1]
	v_pk_add_f32 v[8:9], v[8:9], v[116:117] neg_lo:[0,1] neg_hi:[0,1]
	s_wait_dscnt 0x0
	v_pk_mul_f32 v[116:117], v[102:103], v[114:115] op_sel:[0,1]
	s_delay_alu instid0(VALU_DEP_1) | instskip(SKIP_1) | instid1(VALU_DEP_1)
	v_pk_fma_f32 v[118:119], v[102:103], v[112:113], v[116:117] op_sel:[0,0,1] op_sel_hi:[1,1,0] neg_lo:[0,0,1] neg_hi:[0,0,1]
	v_pk_fma_f32 v[102:103], v[102:103], v[112:113], v[116:117] op_sel:[0,0,1] op_sel_hi:[1,0,0]
	v_mov_b32_e32 v119, v103
	v_pk_mul_f32 v[102:103], v[104:105], v[114:115] op_sel:[0,1]
	s_delay_alu instid0(VALU_DEP_1) | instskip(SKIP_1) | instid1(VALU_DEP_1)
	v_pk_fma_f32 v[116:117], v[104:105], v[112:113], v[102:103] op_sel:[0,0,1] op_sel_hi:[1,1,0] neg_lo:[0,0,1] neg_hi:[0,0,1]
	v_pk_fma_f32 v[102:103], v[104:105], v[112:113], v[102:103] op_sel:[0,0,1] op_sel_hi:[1,0,0]
	v_mov_b32_e32 v117, v103
	ds_load_2addr_b64 v[102:105], v106 offset0:46 offset1:47
	v_pk_add_f32 v[28:29], v[28:29], v[118:119] neg_lo:[0,1] neg_hi:[0,1]
	v_pk_add_f32 v[18:19], v[18:19], v[116:117] neg_lo:[0,1] neg_hi:[0,1]
	s_wait_dscnt 0x0
	v_dual_mul_f32 v116, v103, v115 :: v_dual_mul_f32 v118, v103, v112
	s_delay_alu instid0(VALU_DEP_1) | instskip(NEXT) | instid1(VALU_DEP_2)
	v_pk_fma_f32 v[116:117], v[102:103], v[38:39], v[116:117] op_sel_hi:[1,1,0] neg_lo:[0,0,1] neg_hi:[0,0,1]
	v_pk_fma_f32 v[102:103], v[102:103], v[38:39], v[118:119] op_sel:[1,0,0] op_sel_hi:[0,1,0]
	s_delay_alu instid0(VALU_DEP_1) | instskip(SKIP_1) | instid1(VALU_DEP_1)
	v_mov_b32_e32 v117, v103
	v_pk_mul_f32 v[102:103], v[104:105], v[114:115] op_sel:[0,1]
	v_pk_fma_f32 v[114:115], v[104:105], v[112:113], v[102:103] op_sel:[0,0,1] op_sel_hi:[1,1,0] neg_lo:[0,0,1] neg_hi:[0,0,1]
	v_pk_fma_f32 v[102:103], v[104:105], v[112:113], v[102:103] op_sel:[0,0,1] op_sel_hi:[1,0,0]
	s_delay_alu instid0(VALU_DEP_1) | instskip(SKIP_1) | instid1(VALU_DEP_2)
	v_mov_b32_e32 v115, v103
	v_pk_add_f32 v[14:15], v[14:15], v[116:117] neg_lo:[0,1] neg_hi:[0,1]
	v_pk_add_f32 v[100:101], v[100:101], v[114:115] neg_lo:[0,1] neg_hi:[0,1]
.LBB94_797:
	s_or_b32 exec_lo, exec_lo, s0
	v_lshl_add_u32 v102, v110, 3, v106
	s_barrier_signal -1
	s_barrier_wait -1
	ds_store_b64 v102, v[40:41]
	s_wait_dscnt 0x0
	s_barrier_signal -1
	s_barrier_wait -1
	ds_load_b64 v[102:103], v106 offset:304
	v_mov_b32_e32 v104, 38
	s_cmp_lt_i32 s18, 40
	s_cbranch_scc1 .LBB94_800
; %bb.798:
	v_add3_u32 v105, v107, 0, 0x138
	v_mov_b32_e32 v104, 38
	s_mov_b32 s0, 39
.LBB94_799:                             ; =>This Inner Loop Header: Depth=1
	ds_load_b64 v[112:113], v105
	s_wait_dscnt 0x1
	v_cmp_gt_f32_e32 vcc_lo, 0, v102
	v_cndmask_b32_e64 v114, v102, -v102, vcc_lo
	v_cmp_gt_f32_e32 vcc_lo, 0, v103
	v_cndmask_b32_e64 v116, v103, -v103, vcc_lo
	s_wait_dscnt 0x0
	v_cmp_gt_f32_e32 vcc_lo, 0, v112
	v_cndmask_b32_e64 v115, v112, -v112, vcc_lo
	v_cmp_gt_f32_e32 vcc_lo, 0, v113
	v_cndmask_b32_e64 v117, v113, -v113, vcc_lo
	s_delay_alu instid0(VALU_DEP_1) | instskip(NEXT) | instid1(VALU_DEP_1)
	v_pk_add_f32 v[114:115], v[114:115], v[116:117]
	v_cmp_lt_f32_e32 vcc_lo, v114, v115
	v_dual_cndmask_b32 v102, v102, v112 :: v_dual_add_nc_u32 v105, 8, v105
	v_cndmask_b32_e32 v103, v103, v113, vcc_lo
	v_cndmask_b32_e64 v104, v104, s0, vcc_lo
	s_add_co_i32 s0, s0, 1
	s_delay_alu instid0(SALU_CYCLE_1)
	s_cmp_lg_u32 s18, s0
	s_cbranch_scc1 .LBB94_799
.LBB94_800:
	s_wait_dscnt 0x0
	v_cmp_eq_f32_e32 vcc_lo, 0, v102
	v_cmp_eq_f32_e64 s0, 0, v103
	s_and_b32 s0, vcc_lo, s0
	s_delay_alu instid0(SALU_CYCLE_1) | instskip(NEXT) | instid1(SALU_CYCLE_1)
	s_and_saveexec_b32 s1, s0
	s_xor_b32 s0, exec_lo, s1
; %bb.801:
	v_cmp_ne_u32_e32 vcc_lo, 0, v108
	v_cndmask_b32_e32 v108, 39, v108, vcc_lo
; %bb.802:
	s_and_not1_saveexec_b32 s0, s0
	s_cbranch_execz .LBB94_808
; %bb.803:
	v_cmp_ngt_f32_e64 s1, |v102|, |v103|
	s_and_saveexec_b32 s12, s1
	s_delay_alu instid0(SALU_CYCLE_1)
	s_xor_b32 s1, exec_lo, s12
	s_cbranch_execz .LBB94_805
; %bb.804:
	v_div_scale_f32 v105, null, v103, v103, v102
	v_div_scale_f32 v113, vcc_lo, v102, v103, v102
	s_delay_alu instid0(VALU_DEP_2) | instskip(SKIP_1) | instid1(TRANS32_DEP_1)
	v_rcp_f32_e32 v111, v105
	v_nop
	v_fma_f32 v112, -v105, v111, 1.0
	s_delay_alu instid0(VALU_DEP_1) | instskip(NEXT) | instid1(VALU_DEP_1)
	v_fmac_f32_e32 v111, v112, v111
	v_mul_f32_e32 v112, v113, v111
	s_delay_alu instid0(VALU_DEP_1) | instskip(NEXT) | instid1(VALU_DEP_1)
	v_fma_f32 v114, -v105, v112, v113
	v_fmac_f32_e32 v112, v114, v111
	s_delay_alu instid0(VALU_DEP_1) | instskip(NEXT) | instid1(VALU_DEP_1)
	v_fma_f32 v105, -v105, v112, v113
	v_div_fmas_f32 v105, v105, v111, v112
	s_delay_alu instid0(VALU_DEP_1) | instskip(NEXT) | instid1(VALU_DEP_1)
	v_div_fixup_f32 v105, v105, v103, v102
	v_fmac_f32_e32 v103, v102, v105
	s_delay_alu instid0(VALU_DEP_1) | instskip(SKIP_1) | instid1(VALU_DEP_2)
	v_div_scale_f32 v102, null, v103, v103, 1.0
	v_div_scale_f32 v113, vcc_lo, 1.0, v103, 1.0
	v_rcp_f32_e32 v111, v102
	v_nop
	s_delay_alu instid0(TRANS32_DEP_1) | instskip(NEXT) | instid1(VALU_DEP_1)
	v_fma_f32 v112, -v102, v111, 1.0
	v_fmac_f32_e32 v111, v112, v111
	s_delay_alu instid0(VALU_DEP_1) | instskip(NEXT) | instid1(VALU_DEP_1)
	v_mul_f32_e32 v112, v113, v111
	v_fma_f32 v114, -v102, v112, v113
	s_delay_alu instid0(VALU_DEP_1) | instskip(NEXT) | instid1(VALU_DEP_1)
	v_fmac_f32_e32 v112, v114, v111
	v_fma_f32 v102, -v102, v112, v113
	s_delay_alu instid0(VALU_DEP_1) | instskip(NEXT) | instid1(VALU_DEP_1)
	v_div_fmas_f32 v102, v102, v111, v112
	v_div_fixup_f32 v103, v102, v103, 1.0
	s_delay_alu instid0(VALU_DEP_1)
	v_mul_f32_e32 v102, v105, v103
	v_xor_b32_e32 v103, 0x80000000, v103
.LBB94_805:
	s_and_not1_saveexec_b32 s1, s1
	s_cbranch_execz .LBB94_807
; %bb.806:
	s_delay_alu instid0(VALU_DEP_1) | instskip(SKIP_1) | instid1(VALU_DEP_2)
	v_div_scale_f32 v105, null, v102, v102, v103
	v_div_scale_f32 v113, vcc_lo, v103, v102, v103
	v_rcp_f32_e32 v111, v105
	v_nop
	s_delay_alu instid0(TRANS32_DEP_1) | instskip(NEXT) | instid1(VALU_DEP_1)
	v_fma_f32 v112, -v105, v111, 1.0
	v_fmac_f32_e32 v111, v112, v111
	s_delay_alu instid0(VALU_DEP_1) | instskip(NEXT) | instid1(VALU_DEP_1)
	v_mul_f32_e32 v112, v113, v111
	v_fma_f32 v114, -v105, v112, v113
	s_delay_alu instid0(VALU_DEP_1) | instskip(NEXT) | instid1(VALU_DEP_1)
	v_fmac_f32_e32 v112, v114, v111
	v_fma_f32 v105, -v105, v112, v113
	s_delay_alu instid0(VALU_DEP_1) | instskip(NEXT) | instid1(VALU_DEP_1)
	v_div_fmas_f32 v105, v105, v111, v112
	v_div_fixup_f32 v105, v105, v102, v103
	s_delay_alu instid0(VALU_DEP_1) | instskip(NEXT) | instid1(VALU_DEP_1)
	v_fmac_f32_e32 v102, v103, v105
	v_div_scale_f32 v103, null, v102, v102, 1.0
	s_delay_alu instid0(VALU_DEP_1) | instskip(SKIP_1) | instid1(TRANS32_DEP_1)
	v_rcp_f32_e32 v111, v103
	v_nop
	v_fma_f32 v112, -v103, v111, 1.0
	s_delay_alu instid0(VALU_DEP_1) | instskip(SKIP_1) | instid1(VALU_DEP_1)
	v_fmac_f32_e32 v111, v112, v111
	v_div_scale_f32 v112, vcc_lo, 1.0, v102, 1.0
	v_mul_f32_e32 v113, v112, v111
	s_delay_alu instid0(VALU_DEP_1) | instskip(NEXT) | instid1(VALU_DEP_1)
	v_fma_f32 v114, -v103, v113, v112
	v_fmac_f32_e32 v113, v114, v111
	s_delay_alu instid0(VALU_DEP_1) | instskip(NEXT) | instid1(VALU_DEP_1)
	v_fma_f32 v103, -v103, v113, v112
	v_div_fmas_f32 v103, v103, v111, v113
	s_delay_alu instid0(VALU_DEP_1) | instskip(NEXT) | instid1(VALU_DEP_1)
	v_div_fixup_f32 v102, v103, v102, 1.0
	v_mul_f32_e64 v103, v105, -v102
.LBB94_807:
	s_or_b32 exec_lo, exec_lo, s1
.LBB94_808:
	s_delay_alu instid0(SALU_CYCLE_1) | instskip(NEXT) | instid1(SALU_CYCLE_1)
	s_or_b32 exec_lo, exec_lo, s0
	s_mov_b32 s0, exec_lo
	v_cmpx_ne_u32_e64 v110, v104
	s_xor_b32 s0, exec_lo, s0
	s_cbranch_execz .LBB94_814
; %bb.809:
	s_mov_b32 s1, exec_lo
	v_cmpx_eq_u32_e32 38, v110
	s_cbranch_execz .LBB94_813
; %bb.810:
	v_cmp_ne_u32_e32 vcc_lo, 38, v104
	s_xor_b32 s12, s16, -1
	s_delay_alu instid0(SALU_CYCLE_1) | instskip(NEXT) | instid1(SALU_CYCLE_1)
	s_and_b32 s13, s12, vcc_lo
	s_and_saveexec_b32 s12, s13
	s_cbranch_execz .LBB94_812
; %bb.811:
	v_ashrrev_i32_e32 v105, 31, v104
	s_delay_alu instid0(VALU_DEP_1)
	v_lshl_add_u64 v[110:111], v[104:105], 2, v[4:5]
	s_clause 0x1
	global_load_b32 v105, v[110:111], off
	global_load_b32 v109, v[4:5], off offset:152
	s_wait_loadcnt 0x1
	global_store_b32 v[4:5], v105, off offset:152
	s_wait_loadcnt 0x0
	global_store_b32 v[110:111], v109, off
.LBB94_812:
	s_wait_xcnt 0x0
	s_or_b32 exec_lo, exec_lo, s12
	v_dual_mov_b32 v110, v104 :: v_dual_mov_b32 v109, v104
.LBB94_813:
	s_or_b32 exec_lo, exec_lo, s1
.LBB94_814:
	s_and_not1_saveexec_b32 s0, s0
	s_cbranch_execz .LBB94_816
; %bb.815:
	v_mov_b32_e32 v110, 38
	ds_store_2addr_b64 v106, v[6:7], v[36:37] offset0:39 offset1:40
	ds_store_2addr_b64 v106, v[30:31], v[34:35] offset0:41 offset1:42
	ds_store_2addr_b64 v106, v[8:9], v[28:29] offset0:43 offset1:44
	ds_store_2addr_b64 v106, v[18:19], v[14:15] offset0:45 offset1:46
	ds_store_b64 v106, v[100:101] offset:376
.LBB94_816:
	s_or_b32 exec_lo, exec_lo, s0
	s_delay_alu instid0(SALU_CYCLE_1)
	s_mov_b32 s0, exec_lo
	s_wait_storecnt_dscnt 0x0
	s_barrier_signal -1
	s_barrier_wait -1
	v_cmpx_lt_i32_e32 38, v110
	s_cbranch_execz .LBB94_818
; %bb.817:
	v_pk_mul_f32 v[104:105], v[102:103], v[40:41] op_sel:[1,1] op_sel_hi:[0,1]
	s_delay_alu instid0(VALU_DEP_1)
	v_pk_fma_f32 v[112:113], v[102:103], v[40:41], v[104:105] op_sel_hi:[1,0,1] neg_lo:[0,0,1] neg_hi:[0,0,1]
	v_pk_fma_f32 v[114:115], v[102:103], v[40:41], v[104:105] op_sel_hi:[1,0,1]
	ds_load_2addr_b64 v[102:105], v106 offset0:39 offset1:40
	v_dual_mov_b32 v40, v112 :: v_dual_mov_b32 v41, v115
	s_wait_dscnt 0x0
	v_pk_mul_f32 v[116:117], v[102:103], v[114:115] op_sel:[0,1]
	s_delay_alu instid0(VALU_DEP_1) | instskip(SKIP_1) | instid1(VALU_DEP_1)
	v_pk_fma_f32 v[118:119], v[102:103], v[112:113], v[116:117] op_sel:[0,0,1] op_sel_hi:[1,1,0] neg_lo:[0,0,1] neg_hi:[0,0,1]
	v_pk_fma_f32 v[102:103], v[102:103], v[112:113], v[116:117] op_sel:[0,0,1] op_sel_hi:[1,0,0]
	v_mov_b32_e32 v119, v103
	v_pk_mul_f32 v[102:103], v[104:105], v[114:115] op_sel:[0,1]
	s_delay_alu instid0(VALU_DEP_1) | instskip(SKIP_1) | instid1(VALU_DEP_1)
	v_pk_fma_f32 v[116:117], v[104:105], v[112:113], v[102:103] op_sel:[0,0,1] op_sel_hi:[1,1,0] neg_lo:[0,0,1] neg_hi:[0,0,1]
	v_pk_fma_f32 v[102:103], v[104:105], v[112:113], v[102:103] op_sel:[0,0,1] op_sel_hi:[1,0,0]
	v_mov_b32_e32 v117, v103
	ds_load_2addr_b64 v[102:105], v106 offset0:41 offset1:42
	v_pk_add_f32 v[6:7], v[6:7], v[118:119] neg_lo:[0,1] neg_hi:[0,1]
	v_pk_add_f32 v[36:37], v[36:37], v[116:117] neg_lo:[0,1] neg_hi:[0,1]
	s_wait_dscnt 0x0
	v_pk_mul_f32 v[116:117], v[102:103], v[114:115] op_sel:[0,1]
	s_delay_alu instid0(VALU_DEP_1) | instskip(SKIP_2) | instid1(VALU_DEP_2)
	v_pk_fma_f32 v[118:119], v[102:103], v[112:113], v[116:117] op_sel:[0,0,1] op_sel_hi:[1,1,0] neg_lo:[0,0,1] neg_hi:[0,0,1]
	v_pk_fma_f32 v[102:103], v[102:103], v[112:113], v[116:117] op_sel:[0,0,1] op_sel_hi:[1,0,0]
	v_dual_mul_f32 v116, v105, v115 :: v_dual_mov_b32 v102, v105
	v_dual_mov_b32 v119, v103 :: v_dual_mov_b32 v103, v104
	s_delay_alu instid0(VALU_DEP_2) | instskip(SKIP_1) | instid1(VALU_DEP_3)
	v_pk_fma_f32 v[116:117], v[104:105], v[40:41], v[116:117] op_sel_hi:[1,1,0] neg_lo:[0,0,1] neg_hi:[0,0,1]
	v_mul_f32_e32 v104, v105, v112
	v_pk_add_f32 v[30:31], v[30:31], v[118:119] neg_lo:[0,1] neg_hi:[0,1]
	s_delay_alu instid0(VALU_DEP_2) | instskip(NEXT) | instid1(VALU_DEP_1)
	v_pk_fma_f32 v[102:103], v[102:103], v[40:41], v[104:105] op_sel_hi:[1,1,0]
	v_mov_b32_e32 v117, v103
	ds_load_2addr_b64 v[102:105], v106 offset0:43 offset1:44
	v_pk_add_f32 v[34:35], v[34:35], v[116:117] neg_lo:[0,1] neg_hi:[0,1]
	s_wait_dscnt 0x0
	v_pk_mul_f32 v[116:117], v[102:103], v[114:115] op_sel:[0,1]
	s_delay_alu instid0(VALU_DEP_1) | instskip(SKIP_1) | instid1(VALU_DEP_1)
	v_pk_fma_f32 v[118:119], v[102:103], v[112:113], v[116:117] op_sel:[0,0,1] op_sel_hi:[1,1,0] neg_lo:[0,0,1] neg_hi:[0,0,1]
	v_pk_fma_f32 v[102:103], v[102:103], v[112:113], v[116:117] op_sel:[0,0,1] op_sel_hi:[1,0,0]
	v_mov_b32_e32 v119, v103
	v_pk_mul_f32 v[102:103], v[104:105], v[114:115] op_sel:[0,1]
	s_delay_alu instid0(VALU_DEP_1) | instskip(SKIP_1) | instid1(VALU_DEP_1)
	v_pk_fma_f32 v[116:117], v[104:105], v[112:113], v[102:103] op_sel:[0,0,1] op_sel_hi:[1,1,0] neg_lo:[0,0,1] neg_hi:[0,0,1]
	v_pk_fma_f32 v[102:103], v[104:105], v[112:113], v[102:103] op_sel:[0,0,1] op_sel_hi:[1,0,0]
	v_mov_b32_e32 v117, v103
	ds_load_2addr_b64 v[102:105], v106 offset0:45 offset1:46
	v_pk_add_f32 v[8:9], v[8:9], v[118:119] neg_lo:[0,1] neg_hi:[0,1]
	v_pk_add_f32 v[28:29], v[28:29], v[116:117] neg_lo:[0,1] neg_hi:[0,1]
	s_wait_dscnt 0x0
	v_pk_mul_f32 v[116:117], v[102:103], v[114:115] op_sel:[0,1]
	s_delay_alu instid0(VALU_DEP_1) | instskip(SKIP_1) | instid1(VALU_DEP_1)
	v_pk_fma_f32 v[118:119], v[102:103], v[112:113], v[116:117] op_sel:[0,0,1] op_sel_hi:[1,1,0] neg_lo:[0,0,1] neg_hi:[0,0,1]
	v_pk_fma_f32 v[102:103], v[102:103], v[112:113], v[116:117] op_sel:[0,0,1] op_sel_hi:[1,0,0]
	v_mov_b32_e32 v119, v103
	v_pk_mul_f32 v[102:103], v[104:105], v[114:115] op_sel:[0,1]
	s_delay_alu instid0(VALU_DEP_1) | instskip(SKIP_1) | instid1(VALU_DEP_1)
	v_pk_fma_f32 v[116:117], v[104:105], v[112:113], v[102:103] op_sel:[0,0,1] op_sel_hi:[1,1,0] neg_lo:[0,0,1] neg_hi:[0,0,1]
	v_pk_fma_f32 v[102:103], v[104:105], v[112:113], v[102:103] op_sel:[0,0,1] op_sel_hi:[1,0,0]
	v_mov_b32_e32 v117, v103
	ds_load_b64 v[102:103], v106 offset:376
	v_pk_add_f32 v[18:19], v[18:19], v[118:119] neg_lo:[0,1] neg_hi:[0,1]
	v_pk_add_f32 v[14:15], v[14:15], v[116:117] neg_lo:[0,1] neg_hi:[0,1]
	s_wait_dscnt 0x0
	v_pk_mul_f32 v[104:105], v[102:103], v[114:115] op_sel:[0,1]
	s_delay_alu instid0(VALU_DEP_1) | instskip(SKIP_1) | instid1(VALU_DEP_1)
	v_pk_fma_f32 v[114:115], v[102:103], v[112:113], v[104:105] op_sel:[0,0,1] op_sel_hi:[1,1,0] neg_lo:[0,0,1] neg_hi:[0,0,1]
	v_pk_fma_f32 v[102:103], v[102:103], v[112:113], v[104:105] op_sel:[0,0,1] op_sel_hi:[1,0,0]
	v_mov_b32_e32 v115, v103
	s_delay_alu instid0(VALU_DEP_1)
	v_pk_add_f32 v[100:101], v[100:101], v[114:115] neg_lo:[0,1] neg_hi:[0,1]
.LBB94_818:
	s_or_b32 exec_lo, exec_lo, s0
	v_lshl_add_u32 v102, v110, 3, v106
	s_barrier_signal -1
	s_barrier_wait -1
	ds_store_b64 v102, v[6:7]
	s_wait_dscnt 0x0
	s_barrier_signal -1
	s_barrier_wait -1
	ds_load_b64 v[102:103], v106 offset:312
	v_mov_b32_e32 v104, 39
	s_cmp_lt_i32 s18, 41
	s_cbranch_scc1 .LBB94_821
; %bb.819:
	v_add3_u32 v105, v107, 0, 0x140
	v_mov_b32_e32 v104, 39
	s_mov_b32 s0, 40
.LBB94_820:                             ; =>This Inner Loop Header: Depth=1
	ds_load_b64 v[112:113], v105
	s_wait_dscnt 0x1
	v_cmp_gt_f32_e32 vcc_lo, 0, v102
	v_cndmask_b32_e64 v114, v102, -v102, vcc_lo
	v_cmp_gt_f32_e32 vcc_lo, 0, v103
	v_cndmask_b32_e64 v116, v103, -v103, vcc_lo
	s_wait_dscnt 0x0
	v_cmp_gt_f32_e32 vcc_lo, 0, v112
	v_cndmask_b32_e64 v115, v112, -v112, vcc_lo
	v_cmp_gt_f32_e32 vcc_lo, 0, v113
	v_cndmask_b32_e64 v117, v113, -v113, vcc_lo
	s_delay_alu instid0(VALU_DEP_1) | instskip(NEXT) | instid1(VALU_DEP_1)
	v_pk_add_f32 v[114:115], v[114:115], v[116:117]
	v_cmp_lt_f32_e32 vcc_lo, v114, v115
	v_dual_cndmask_b32 v102, v102, v112 :: v_dual_add_nc_u32 v105, 8, v105
	v_cndmask_b32_e32 v103, v103, v113, vcc_lo
	v_cndmask_b32_e64 v104, v104, s0, vcc_lo
	s_add_co_i32 s0, s0, 1
	s_delay_alu instid0(SALU_CYCLE_1)
	s_cmp_lg_u32 s18, s0
	s_cbranch_scc1 .LBB94_820
.LBB94_821:
	s_wait_dscnt 0x0
	v_cmp_eq_f32_e32 vcc_lo, 0, v102
	v_cmp_eq_f32_e64 s0, 0, v103
	s_and_b32 s0, vcc_lo, s0
	s_delay_alu instid0(SALU_CYCLE_1) | instskip(NEXT) | instid1(SALU_CYCLE_1)
	s_and_saveexec_b32 s1, s0
	s_xor_b32 s0, exec_lo, s1
; %bb.822:
	v_cmp_ne_u32_e32 vcc_lo, 0, v108
	v_cndmask_b32_e32 v108, 40, v108, vcc_lo
; %bb.823:
	s_and_not1_saveexec_b32 s0, s0
	s_cbranch_execz .LBB94_829
; %bb.824:
	v_cmp_ngt_f32_e64 s1, |v102|, |v103|
	s_and_saveexec_b32 s12, s1
	s_delay_alu instid0(SALU_CYCLE_1)
	s_xor_b32 s1, exec_lo, s12
	s_cbranch_execz .LBB94_826
; %bb.825:
	v_div_scale_f32 v105, null, v103, v103, v102
	v_div_scale_f32 v113, vcc_lo, v102, v103, v102
	s_delay_alu instid0(VALU_DEP_2) | instskip(SKIP_1) | instid1(TRANS32_DEP_1)
	v_rcp_f32_e32 v111, v105
	v_nop
	v_fma_f32 v112, -v105, v111, 1.0
	s_delay_alu instid0(VALU_DEP_1) | instskip(NEXT) | instid1(VALU_DEP_1)
	v_fmac_f32_e32 v111, v112, v111
	v_mul_f32_e32 v112, v113, v111
	s_delay_alu instid0(VALU_DEP_1) | instskip(NEXT) | instid1(VALU_DEP_1)
	v_fma_f32 v114, -v105, v112, v113
	v_fmac_f32_e32 v112, v114, v111
	s_delay_alu instid0(VALU_DEP_1) | instskip(NEXT) | instid1(VALU_DEP_1)
	v_fma_f32 v105, -v105, v112, v113
	v_div_fmas_f32 v105, v105, v111, v112
	s_delay_alu instid0(VALU_DEP_1) | instskip(NEXT) | instid1(VALU_DEP_1)
	v_div_fixup_f32 v105, v105, v103, v102
	v_fmac_f32_e32 v103, v102, v105
	s_delay_alu instid0(VALU_DEP_1) | instskip(SKIP_1) | instid1(VALU_DEP_2)
	v_div_scale_f32 v102, null, v103, v103, 1.0
	v_div_scale_f32 v113, vcc_lo, 1.0, v103, 1.0
	v_rcp_f32_e32 v111, v102
	v_nop
	s_delay_alu instid0(TRANS32_DEP_1) | instskip(NEXT) | instid1(VALU_DEP_1)
	v_fma_f32 v112, -v102, v111, 1.0
	v_fmac_f32_e32 v111, v112, v111
	s_delay_alu instid0(VALU_DEP_1) | instskip(NEXT) | instid1(VALU_DEP_1)
	v_mul_f32_e32 v112, v113, v111
	v_fma_f32 v114, -v102, v112, v113
	s_delay_alu instid0(VALU_DEP_1) | instskip(NEXT) | instid1(VALU_DEP_1)
	v_fmac_f32_e32 v112, v114, v111
	v_fma_f32 v102, -v102, v112, v113
	s_delay_alu instid0(VALU_DEP_1) | instskip(NEXT) | instid1(VALU_DEP_1)
	v_div_fmas_f32 v102, v102, v111, v112
	v_div_fixup_f32 v103, v102, v103, 1.0
	s_delay_alu instid0(VALU_DEP_1)
	v_mul_f32_e32 v102, v105, v103
	v_xor_b32_e32 v103, 0x80000000, v103
.LBB94_826:
	s_and_not1_saveexec_b32 s1, s1
	s_cbranch_execz .LBB94_828
; %bb.827:
	s_delay_alu instid0(VALU_DEP_1) | instskip(SKIP_1) | instid1(VALU_DEP_2)
	v_div_scale_f32 v105, null, v102, v102, v103
	v_div_scale_f32 v113, vcc_lo, v103, v102, v103
	v_rcp_f32_e32 v111, v105
	v_nop
	s_delay_alu instid0(TRANS32_DEP_1) | instskip(NEXT) | instid1(VALU_DEP_1)
	v_fma_f32 v112, -v105, v111, 1.0
	v_fmac_f32_e32 v111, v112, v111
	s_delay_alu instid0(VALU_DEP_1) | instskip(NEXT) | instid1(VALU_DEP_1)
	v_mul_f32_e32 v112, v113, v111
	v_fma_f32 v114, -v105, v112, v113
	s_delay_alu instid0(VALU_DEP_1) | instskip(NEXT) | instid1(VALU_DEP_1)
	v_fmac_f32_e32 v112, v114, v111
	v_fma_f32 v105, -v105, v112, v113
	s_delay_alu instid0(VALU_DEP_1) | instskip(NEXT) | instid1(VALU_DEP_1)
	v_div_fmas_f32 v105, v105, v111, v112
	v_div_fixup_f32 v105, v105, v102, v103
	s_delay_alu instid0(VALU_DEP_1) | instskip(NEXT) | instid1(VALU_DEP_1)
	v_fmac_f32_e32 v102, v103, v105
	v_div_scale_f32 v103, null, v102, v102, 1.0
	s_delay_alu instid0(VALU_DEP_1) | instskip(SKIP_1) | instid1(TRANS32_DEP_1)
	v_rcp_f32_e32 v111, v103
	v_nop
	v_fma_f32 v112, -v103, v111, 1.0
	s_delay_alu instid0(VALU_DEP_1) | instskip(SKIP_1) | instid1(VALU_DEP_1)
	v_fmac_f32_e32 v111, v112, v111
	v_div_scale_f32 v112, vcc_lo, 1.0, v102, 1.0
	v_mul_f32_e32 v113, v112, v111
	s_delay_alu instid0(VALU_DEP_1) | instskip(NEXT) | instid1(VALU_DEP_1)
	v_fma_f32 v114, -v103, v113, v112
	v_fmac_f32_e32 v113, v114, v111
	s_delay_alu instid0(VALU_DEP_1) | instskip(NEXT) | instid1(VALU_DEP_1)
	v_fma_f32 v103, -v103, v113, v112
	v_div_fmas_f32 v103, v103, v111, v113
	s_delay_alu instid0(VALU_DEP_1) | instskip(NEXT) | instid1(VALU_DEP_1)
	v_div_fixup_f32 v102, v103, v102, 1.0
	v_mul_f32_e64 v103, v105, -v102
.LBB94_828:
	s_or_b32 exec_lo, exec_lo, s1
.LBB94_829:
	s_delay_alu instid0(SALU_CYCLE_1) | instskip(NEXT) | instid1(SALU_CYCLE_1)
	s_or_b32 exec_lo, exec_lo, s0
	s_mov_b32 s0, exec_lo
	v_cmpx_ne_u32_e64 v110, v104
	s_xor_b32 s0, exec_lo, s0
	s_cbranch_execz .LBB94_835
; %bb.830:
	s_mov_b32 s1, exec_lo
	v_cmpx_eq_u32_e32 39, v110
	s_cbranch_execz .LBB94_834
; %bb.831:
	v_cmp_ne_u32_e32 vcc_lo, 39, v104
	s_xor_b32 s12, s16, -1
	s_delay_alu instid0(SALU_CYCLE_1) | instskip(NEXT) | instid1(SALU_CYCLE_1)
	s_and_b32 s13, s12, vcc_lo
	s_and_saveexec_b32 s12, s13
	s_cbranch_execz .LBB94_833
; %bb.832:
	v_ashrrev_i32_e32 v105, 31, v104
	s_delay_alu instid0(VALU_DEP_1)
	v_lshl_add_u64 v[110:111], v[104:105], 2, v[4:5]
	s_clause 0x1
	global_load_b32 v105, v[110:111], off
	global_load_b32 v109, v[4:5], off offset:156
	s_wait_loadcnt 0x1
	global_store_b32 v[4:5], v105, off offset:156
	s_wait_loadcnt 0x0
	global_store_b32 v[110:111], v109, off
.LBB94_833:
	s_wait_xcnt 0x0
	s_or_b32 exec_lo, exec_lo, s12
	v_dual_mov_b32 v110, v104 :: v_dual_mov_b32 v109, v104
.LBB94_834:
	s_or_b32 exec_lo, exec_lo, s1
.LBB94_835:
	s_and_not1_saveexec_b32 s0, s0
	s_cbranch_execz .LBB94_837
; %bb.836:
	v_dual_mov_b32 v104, v36 :: v_dual_mov_b32 v105, v37
	v_dual_mov_b32 v112, v30 :: v_dual_mov_b32 v113, v31
	;; [unrolled: 1-line block ×7, first 2 shown]
	v_mov_b32_e32 v123, v15
	ds_store_2addr_b64 v106, v[104:105], v[112:113] offset0:40 offset1:41
	ds_store_2addr_b64 v106, v[114:115], v[116:117] offset0:42 offset1:43
	;; [unrolled: 1-line block ×4, first 2 shown]
.LBB94_837:
	s_or_b32 exec_lo, exec_lo, s0
	s_delay_alu instid0(SALU_CYCLE_1)
	s_mov_b32 s0, exec_lo
	s_wait_storecnt_dscnt 0x0
	s_barrier_signal -1
	s_barrier_wait -1
	v_cmpx_lt_i32_e32 39, v110
	s_cbranch_execz .LBB94_839
; %bb.838:
	v_pk_mul_f32 v[104:105], v[102:103], v[6:7] op_sel:[1,1] op_sel_hi:[0,1]
	s_delay_alu instid0(VALU_DEP_1)
	v_pk_fma_f32 v[112:113], v[102:103], v[6:7], v[104:105] op_sel_hi:[1,0,1] neg_lo:[0,0,1] neg_hi:[0,0,1]
	v_pk_fma_f32 v[114:115], v[102:103], v[6:7], v[104:105] op_sel_hi:[1,0,1]
	ds_load_2addr_b64 v[102:105], v106 offset0:40 offset1:41
	v_dual_mov_b32 v6, v112 :: v_dual_mov_b32 v7, v115
	s_wait_dscnt 0x0
	v_pk_mul_f32 v[116:117], v[102:103], v[114:115] op_sel:[0,1]
	s_delay_alu instid0(VALU_DEP_1) | instskip(SKIP_1) | instid1(VALU_DEP_1)
	v_pk_fma_f32 v[118:119], v[102:103], v[112:113], v[116:117] op_sel:[0,0,1] op_sel_hi:[1,1,0] neg_lo:[0,0,1] neg_hi:[0,0,1]
	v_pk_fma_f32 v[102:103], v[102:103], v[112:113], v[116:117] op_sel:[0,0,1] op_sel_hi:[1,0,0]
	v_mov_b32_e32 v119, v103
	v_pk_mul_f32 v[102:103], v[104:105], v[114:115] op_sel:[0,1]
	s_delay_alu instid0(VALU_DEP_1) | instskip(SKIP_1) | instid1(VALU_DEP_1)
	v_pk_fma_f32 v[116:117], v[104:105], v[112:113], v[102:103] op_sel:[0,0,1] op_sel_hi:[1,1,0] neg_lo:[0,0,1] neg_hi:[0,0,1]
	v_pk_fma_f32 v[102:103], v[104:105], v[112:113], v[102:103] op_sel:[0,0,1] op_sel_hi:[1,0,0]
	v_mov_b32_e32 v117, v103
	ds_load_2addr_b64 v[102:105], v106 offset0:42 offset1:43
	v_pk_add_f32 v[36:37], v[36:37], v[118:119] neg_lo:[0,1] neg_hi:[0,1]
	v_pk_add_f32 v[30:31], v[30:31], v[116:117] neg_lo:[0,1] neg_hi:[0,1]
	s_wait_dscnt 0x0
	v_pk_mul_f32 v[116:117], v[102:103], v[114:115] op_sel:[0,1]
	s_delay_alu instid0(VALU_DEP_1) | instskip(SKIP_2) | instid1(VALU_DEP_2)
	v_pk_fma_f32 v[118:119], v[102:103], v[112:113], v[116:117] op_sel:[0,0,1] op_sel_hi:[1,1,0] neg_lo:[0,0,1] neg_hi:[0,0,1]
	v_pk_fma_f32 v[102:103], v[102:103], v[112:113], v[116:117] op_sel:[0,0,1] op_sel_hi:[1,0,0]
	v_dual_mul_f32 v116, v105, v115 :: v_dual_mov_b32 v102, v105
	v_dual_mov_b32 v119, v103 :: v_dual_mov_b32 v103, v104
	s_delay_alu instid0(VALU_DEP_2) | instskip(SKIP_1) | instid1(VALU_DEP_3)
	v_pk_fma_f32 v[116:117], v[104:105], v[6:7], v[116:117] op_sel_hi:[1,1,0] neg_lo:[0,0,1] neg_hi:[0,0,1]
	v_mul_f32_e32 v104, v105, v112
	v_pk_add_f32 v[34:35], v[34:35], v[118:119] neg_lo:[0,1] neg_hi:[0,1]
	s_delay_alu instid0(VALU_DEP_2) | instskip(NEXT) | instid1(VALU_DEP_1)
	v_pk_fma_f32 v[102:103], v[102:103], v[6:7], v[104:105] op_sel_hi:[1,1,0]
	v_mov_b32_e32 v117, v103
	ds_load_2addr_b64 v[102:105], v106 offset0:44 offset1:45
	v_pk_add_f32 v[8:9], v[8:9], v[116:117] neg_lo:[0,1] neg_hi:[0,1]
	s_wait_dscnt 0x0
	v_pk_mul_f32 v[116:117], v[102:103], v[114:115] op_sel:[0,1]
	s_delay_alu instid0(VALU_DEP_1) | instskip(SKIP_1) | instid1(VALU_DEP_1)
	v_pk_fma_f32 v[118:119], v[102:103], v[112:113], v[116:117] op_sel:[0,0,1] op_sel_hi:[1,1,0] neg_lo:[0,0,1] neg_hi:[0,0,1]
	v_pk_fma_f32 v[102:103], v[102:103], v[112:113], v[116:117] op_sel:[0,0,1] op_sel_hi:[1,0,0]
	v_mov_b32_e32 v119, v103
	v_pk_mul_f32 v[102:103], v[104:105], v[114:115] op_sel:[0,1]
	s_delay_alu instid0(VALU_DEP_1) | instskip(SKIP_1) | instid1(VALU_DEP_1)
	v_pk_fma_f32 v[116:117], v[104:105], v[112:113], v[102:103] op_sel:[0,0,1] op_sel_hi:[1,1,0] neg_lo:[0,0,1] neg_hi:[0,0,1]
	v_pk_fma_f32 v[102:103], v[104:105], v[112:113], v[102:103] op_sel:[0,0,1] op_sel_hi:[1,0,0]
	v_mov_b32_e32 v117, v103
	ds_load_2addr_b64 v[102:105], v106 offset0:46 offset1:47
	v_pk_add_f32 v[28:29], v[28:29], v[118:119] neg_lo:[0,1] neg_hi:[0,1]
	v_pk_add_f32 v[18:19], v[18:19], v[116:117] neg_lo:[0,1] neg_hi:[0,1]
	s_wait_dscnt 0x0
	v_pk_mul_f32 v[116:117], v[102:103], v[114:115] op_sel:[0,1]
	s_delay_alu instid0(VALU_DEP_1) | instskip(SKIP_1) | instid1(VALU_DEP_1)
	v_pk_fma_f32 v[118:119], v[102:103], v[112:113], v[116:117] op_sel:[0,0,1] op_sel_hi:[1,1,0] neg_lo:[0,0,1] neg_hi:[0,0,1]
	v_pk_fma_f32 v[102:103], v[102:103], v[112:113], v[116:117] op_sel:[0,0,1] op_sel_hi:[1,0,0]
	v_mov_b32_e32 v119, v103
	v_pk_mul_f32 v[102:103], v[104:105], v[114:115] op_sel:[0,1]
	s_delay_alu instid0(VALU_DEP_1) | instskip(SKIP_1) | instid1(VALU_DEP_1)
	v_pk_fma_f32 v[114:115], v[104:105], v[112:113], v[102:103] op_sel:[0,0,1] op_sel_hi:[1,1,0] neg_lo:[0,0,1] neg_hi:[0,0,1]
	v_pk_fma_f32 v[102:103], v[104:105], v[112:113], v[102:103] op_sel:[0,0,1] op_sel_hi:[1,0,0]
	v_mov_b32_e32 v115, v103
	v_pk_add_f32 v[14:15], v[14:15], v[118:119] neg_lo:[0,1] neg_hi:[0,1]
	s_delay_alu instid0(VALU_DEP_2)
	v_pk_add_f32 v[100:101], v[100:101], v[114:115] neg_lo:[0,1] neg_hi:[0,1]
.LBB94_839:
	s_or_b32 exec_lo, exec_lo, s0
	v_lshl_add_u32 v102, v110, 3, v106
	s_barrier_signal -1
	s_barrier_wait -1
	ds_store_b64 v102, v[36:37]
	s_wait_dscnt 0x0
	s_barrier_signal -1
	s_barrier_wait -1
	ds_load_b64 v[102:103], v106 offset:320
	v_mov_b32_e32 v104, 40
	s_cmp_lt_i32 s18, 42
	s_cbranch_scc1 .LBB94_842
; %bb.840:
	v_add3_u32 v105, v107, 0, 0x148
	v_mov_b32_e32 v104, 40
	s_mov_b32 s0, 41
.LBB94_841:                             ; =>This Inner Loop Header: Depth=1
	ds_load_b64 v[112:113], v105
	s_wait_dscnt 0x1
	v_cmp_gt_f32_e32 vcc_lo, 0, v102
	v_cndmask_b32_e64 v114, v102, -v102, vcc_lo
	v_cmp_gt_f32_e32 vcc_lo, 0, v103
	v_cndmask_b32_e64 v116, v103, -v103, vcc_lo
	s_wait_dscnt 0x0
	v_cmp_gt_f32_e32 vcc_lo, 0, v112
	v_cndmask_b32_e64 v115, v112, -v112, vcc_lo
	v_cmp_gt_f32_e32 vcc_lo, 0, v113
	v_cndmask_b32_e64 v117, v113, -v113, vcc_lo
	s_delay_alu instid0(VALU_DEP_1) | instskip(NEXT) | instid1(VALU_DEP_1)
	v_pk_add_f32 v[114:115], v[114:115], v[116:117]
	v_cmp_lt_f32_e32 vcc_lo, v114, v115
	v_dual_cndmask_b32 v102, v102, v112 :: v_dual_add_nc_u32 v105, 8, v105
	v_cndmask_b32_e32 v103, v103, v113, vcc_lo
	v_cndmask_b32_e64 v104, v104, s0, vcc_lo
	s_add_co_i32 s0, s0, 1
	s_delay_alu instid0(SALU_CYCLE_1)
	s_cmp_lg_u32 s18, s0
	s_cbranch_scc1 .LBB94_841
.LBB94_842:
	s_wait_dscnt 0x0
	v_cmp_eq_f32_e32 vcc_lo, 0, v102
	v_cmp_eq_f32_e64 s0, 0, v103
	s_and_b32 s0, vcc_lo, s0
	s_delay_alu instid0(SALU_CYCLE_1) | instskip(NEXT) | instid1(SALU_CYCLE_1)
	s_and_saveexec_b32 s1, s0
	s_xor_b32 s0, exec_lo, s1
; %bb.843:
	v_cmp_ne_u32_e32 vcc_lo, 0, v108
	v_cndmask_b32_e32 v108, 41, v108, vcc_lo
; %bb.844:
	s_and_not1_saveexec_b32 s0, s0
	s_cbranch_execz .LBB94_850
; %bb.845:
	v_cmp_ngt_f32_e64 s1, |v102|, |v103|
	s_and_saveexec_b32 s12, s1
	s_delay_alu instid0(SALU_CYCLE_1)
	s_xor_b32 s1, exec_lo, s12
	s_cbranch_execz .LBB94_847
; %bb.846:
	v_div_scale_f32 v105, null, v103, v103, v102
	v_div_scale_f32 v113, vcc_lo, v102, v103, v102
	s_delay_alu instid0(VALU_DEP_2) | instskip(SKIP_1) | instid1(TRANS32_DEP_1)
	v_rcp_f32_e32 v111, v105
	v_nop
	v_fma_f32 v112, -v105, v111, 1.0
	s_delay_alu instid0(VALU_DEP_1) | instskip(NEXT) | instid1(VALU_DEP_1)
	v_fmac_f32_e32 v111, v112, v111
	v_mul_f32_e32 v112, v113, v111
	s_delay_alu instid0(VALU_DEP_1) | instskip(NEXT) | instid1(VALU_DEP_1)
	v_fma_f32 v114, -v105, v112, v113
	v_fmac_f32_e32 v112, v114, v111
	s_delay_alu instid0(VALU_DEP_1) | instskip(NEXT) | instid1(VALU_DEP_1)
	v_fma_f32 v105, -v105, v112, v113
	v_div_fmas_f32 v105, v105, v111, v112
	s_delay_alu instid0(VALU_DEP_1) | instskip(NEXT) | instid1(VALU_DEP_1)
	v_div_fixup_f32 v105, v105, v103, v102
	v_fmac_f32_e32 v103, v102, v105
	s_delay_alu instid0(VALU_DEP_1) | instskip(SKIP_1) | instid1(VALU_DEP_2)
	v_div_scale_f32 v102, null, v103, v103, 1.0
	v_div_scale_f32 v113, vcc_lo, 1.0, v103, 1.0
	v_rcp_f32_e32 v111, v102
	v_nop
	s_delay_alu instid0(TRANS32_DEP_1) | instskip(NEXT) | instid1(VALU_DEP_1)
	v_fma_f32 v112, -v102, v111, 1.0
	v_fmac_f32_e32 v111, v112, v111
	s_delay_alu instid0(VALU_DEP_1) | instskip(NEXT) | instid1(VALU_DEP_1)
	v_mul_f32_e32 v112, v113, v111
	v_fma_f32 v114, -v102, v112, v113
	s_delay_alu instid0(VALU_DEP_1) | instskip(NEXT) | instid1(VALU_DEP_1)
	v_fmac_f32_e32 v112, v114, v111
	v_fma_f32 v102, -v102, v112, v113
	s_delay_alu instid0(VALU_DEP_1) | instskip(NEXT) | instid1(VALU_DEP_1)
	v_div_fmas_f32 v102, v102, v111, v112
	v_div_fixup_f32 v103, v102, v103, 1.0
	s_delay_alu instid0(VALU_DEP_1)
	v_mul_f32_e32 v102, v105, v103
	v_xor_b32_e32 v103, 0x80000000, v103
.LBB94_847:
	s_and_not1_saveexec_b32 s1, s1
	s_cbranch_execz .LBB94_849
; %bb.848:
	s_delay_alu instid0(VALU_DEP_1) | instskip(SKIP_1) | instid1(VALU_DEP_2)
	v_div_scale_f32 v105, null, v102, v102, v103
	v_div_scale_f32 v113, vcc_lo, v103, v102, v103
	v_rcp_f32_e32 v111, v105
	v_nop
	s_delay_alu instid0(TRANS32_DEP_1) | instskip(NEXT) | instid1(VALU_DEP_1)
	v_fma_f32 v112, -v105, v111, 1.0
	v_fmac_f32_e32 v111, v112, v111
	s_delay_alu instid0(VALU_DEP_1) | instskip(NEXT) | instid1(VALU_DEP_1)
	v_mul_f32_e32 v112, v113, v111
	v_fma_f32 v114, -v105, v112, v113
	s_delay_alu instid0(VALU_DEP_1) | instskip(NEXT) | instid1(VALU_DEP_1)
	v_fmac_f32_e32 v112, v114, v111
	v_fma_f32 v105, -v105, v112, v113
	s_delay_alu instid0(VALU_DEP_1) | instskip(NEXT) | instid1(VALU_DEP_1)
	v_div_fmas_f32 v105, v105, v111, v112
	v_div_fixup_f32 v105, v105, v102, v103
	s_delay_alu instid0(VALU_DEP_1) | instskip(NEXT) | instid1(VALU_DEP_1)
	v_fmac_f32_e32 v102, v103, v105
	v_div_scale_f32 v103, null, v102, v102, 1.0
	s_delay_alu instid0(VALU_DEP_1) | instskip(SKIP_1) | instid1(TRANS32_DEP_1)
	v_rcp_f32_e32 v111, v103
	v_nop
	v_fma_f32 v112, -v103, v111, 1.0
	s_delay_alu instid0(VALU_DEP_1) | instskip(SKIP_1) | instid1(VALU_DEP_1)
	v_fmac_f32_e32 v111, v112, v111
	v_div_scale_f32 v112, vcc_lo, 1.0, v102, 1.0
	v_mul_f32_e32 v113, v112, v111
	s_delay_alu instid0(VALU_DEP_1) | instskip(NEXT) | instid1(VALU_DEP_1)
	v_fma_f32 v114, -v103, v113, v112
	v_fmac_f32_e32 v113, v114, v111
	s_delay_alu instid0(VALU_DEP_1) | instskip(NEXT) | instid1(VALU_DEP_1)
	v_fma_f32 v103, -v103, v113, v112
	v_div_fmas_f32 v103, v103, v111, v113
	s_delay_alu instid0(VALU_DEP_1) | instskip(NEXT) | instid1(VALU_DEP_1)
	v_div_fixup_f32 v102, v103, v102, 1.0
	v_mul_f32_e64 v103, v105, -v102
.LBB94_849:
	s_or_b32 exec_lo, exec_lo, s1
.LBB94_850:
	s_delay_alu instid0(SALU_CYCLE_1) | instskip(NEXT) | instid1(SALU_CYCLE_1)
	s_or_b32 exec_lo, exec_lo, s0
	s_mov_b32 s0, exec_lo
	v_cmpx_ne_u32_e64 v110, v104
	s_xor_b32 s0, exec_lo, s0
	s_cbranch_execz .LBB94_856
; %bb.851:
	s_mov_b32 s1, exec_lo
	v_cmpx_eq_u32_e32 40, v110
	s_cbranch_execz .LBB94_855
; %bb.852:
	v_cmp_ne_u32_e32 vcc_lo, 40, v104
	s_xor_b32 s12, s16, -1
	s_delay_alu instid0(SALU_CYCLE_1) | instskip(NEXT) | instid1(SALU_CYCLE_1)
	s_and_b32 s13, s12, vcc_lo
	s_and_saveexec_b32 s12, s13
	s_cbranch_execz .LBB94_854
; %bb.853:
	v_ashrrev_i32_e32 v105, 31, v104
	s_delay_alu instid0(VALU_DEP_1)
	v_lshl_add_u64 v[110:111], v[104:105], 2, v[4:5]
	s_clause 0x1
	global_load_b32 v105, v[110:111], off
	global_load_b32 v109, v[4:5], off offset:160
	s_wait_loadcnt 0x1
	global_store_b32 v[4:5], v105, off offset:160
	s_wait_loadcnt 0x0
	global_store_b32 v[110:111], v109, off
.LBB94_854:
	s_wait_xcnt 0x0
	s_or_b32 exec_lo, exec_lo, s12
	v_dual_mov_b32 v110, v104 :: v_dual_mov_b32 v109, v104
.LBB94_855:
	s_or_b32 exec_lo, exec_lo, s1
.LBB94_856:
	s_and_not1_saveexec_b32 s0, s0
	s_cbranch_execz .LBB94_858
; %bb.857:
	v_mov_b32_e32 v110, 40
	ds_store_2addr_b64 v106, v[30:31], v[34:35] offset0:41 offset1:42
	ds_store_2addr_b64 v106, v[8:9], v[28:29] offset0:43 offset1:44
	;; [unrolled: 1-line block ×3, first 2 shown]
	ds_store_b64 v106, v[100:101] offset:376
.LBB94_858:
	s_or_b32 exec_lo, exec_lo, s0
	s_delay_alu instid0(SALU_CYCLE_1)
	s_mov_b32 s0, exec_lo
	s_wait_storecnt_dscnt 0x0
	s_barrier_signal -1
	s_barrier_wait -1
	v_cmpx_lt_i32_e32 40, v110
	s_cbranch_execz .LBB94_860
; %bb.859:
	v_pk_mul_f32 v[104:105], v[102:103], v[36:37] op_sel:[1,1] op_sel_hi:[0,1]
	s_delay_alu instid0(VALU_DEP_1)
	v_pk_fma_f32 v[112:113], v[102:103], v[36:37], v[104:105] op_sel_hi:[1,0,1] neg_lo:[0,0,1] neg_hi:[0,0,1]
	v_pk_fma_f32 v[114:115], v[102:103], v[36:37], v[104:105] op_sel_hi:[1,0,1]
	ds_load_2addr_b64 v[102:105], v106 offset0:41 offset1:42
	v_dual_mov_b32 v36, v112 :: v_dual_mov_b32 v37, v115
	s_wait_dscnt 0x0
	v_pk_mul_f32 v[116:117], v[102:103], v[114:115] op_sel:[0,1]
	s_delay_alu instid0(VALU_DEP_1) | instskip(SKIP_1) | instid1(VALU_DEP_1)
	v_pk_fma_f32 v[118:119], v[102:103], v[112:113], v[116:117] op_sel:[0,0,1] op_sel_hi:[1,1,0] neg_lo:[0,0,1] neg_hi:[0,0,1]
	v_pk_fma_f32 v[102:103], v[102:103], v[112:113], v[116:117] op_sel:[0,0,1] op_sel_hi:[1,0,0]
	v_mov_b32_e32 v119, v103
	v_pk_mul_f32 v[102:103], v[104:105], v[114:115] op_sel:[0,1]
	s_delay_alu instid0(VALU_DEP_1) | instskip(SKIP_1) | instid1(VALU_DEP_1)
	v_pk_fma_f32 v[116:117], v[104:105], v[112:113], v[102:103] op_sel:[0,0,1] op_sel_hi:[1,1,0] neg_lo:[0,0,1] neg_hi:[0,0,1]
	v_pk_fma_f32 v[102:103], v[104:105], v[112:113], v[102:103] op_sel:[0,0,1] op_sel_hi:[1,0,0]
	v_mov_b32_e32 v117, v103
	ds_load_2addr_b64 v[102:105], v106 offset0:43 offset1:44
	v_pk_add_f32 v[30:31], v[30:31], v[118:119] neg_lo:[0,1] neg_hi:[0,1]
	v_pk_add_f32 v[34:35], v[34:35], v[116:117] neg_lo:[0,1] neg_hi:[0,1]
	s_wait_dscnt 0x0
	v_pk_mul_f32 v[116:117], v[102:103], v[114:115] op_sel:[0,1]
	s_delay_alu instid0(VALU_DEP_1) | instskip(SKIP_2) | instid1(VALU_DEP_2)
	v_pk_fma_f32 v[118:119], v[102:103], v[112:113], v[116:117] op_sel:[0,0,1] op_sel_hi:[1,1,0] neg_lo:[0,0,1] neg_hi:[0,0,1]
	v_pk_fma_f32 v[102:103], v[102:103], v[112:113], v[116:117] op_sel:[0,0,1] op_sel_hi:[1,0,0]
	v_dual_mul_f32 v116, v105, v115 :: v_dual_mov_b32 v102, v105
	v_dual_mov_b32 v119, v103 :: v_dual_mov_b32 v103, v104
	s_delay_alu instid0(VALU_DEP_2) | instskip(SKIP_1) | instid1(VALU_DEP_3)
	v_pk_fma_f32 v[116:117], v[104:105], v[36:37], v[116:117] op_sel_hi:[1,1,0] neg_lo:[0,0,1] neg_hi:[0,0,1]
	v_mul_f32_e32 v104, v105, v112
	v_pk_add_f32 v[8:9], v[8:9], v[118:119] neg_lo:[0,1] neg_hi:[0,1]
	s_delay_alu instid0(VALU_DEP_2) | instskip(NEXT) | instid1(VALU_DEP_1)
	v_pk_fma_f32 v[102:103], v[102:103], v[36:37], v[104:105] op_sel_hi:[1,1,0]
	v_mov_b32_e32 v117, v103
	ds_load_2addr_b64 v[102:105], v106 offset0:45 offset1:46
	v_pk_add_f32 v[28:29], v[28:29], v[116:117] neg_lo:[0,1] neg_hi:[0,1]
	s_wait_dscnt 0x0
	v_pk_mul_f32 v[116:117], v[102:103], v[114:115] op_sel:[0,1]
	s_delay_alu instid0(VALU_DEP_1) | instskip(SKIP_1) | instid1(VALU_DEP_1)
	v_pk_fma_f32 v[118:119], v[102:103], v[112:113], v[116:117] op_sel:[0,0,1] op_sel_hi:[1,1,0] neg_lo:[0,0,1] neg_hi:[0,0,1]
	v_pk_fma_f32 v[102:103], v[102:103], v[112:113], v[116:117] op_sel:[0,0,1] op_sel_hi:[1,0,0]
	v_mov_b32_e32 v119, v103
	v_pk_mul_f32 v[102:103], v[104:105], v[114:115] op_sel:[0,1]
	s_delay_alu instid0(VALU_DEP_1) | instskip(SKIP_1) | instid1(VALU_DEP_1)
	v_pk_fma_f32 v[116:117], v[104:105], v[112:113], v[102:103] op_sel:[0,0,1] op_sel_hi:[1,1,0] neg_lo:[0,0,1] neg_hi:[0,0,1]
	v_pk_fma_f32 v[102:103], v[104:105], v[112:113], v[102:103] op_sel:[0,0,1] op_sel_hi:[1,0,0]
	v_mov_b32_e32 v117, v103
	ds_load_b64 v[102:103], v106 offset:376
	v_pk_add_f32 v[18:19], v[18:19], v[118:119] neg_lo:[0,1] neg_hi:[0,1]
	v_pk_add_f32 v[14:15], v[14:15], v[116:117] neg_lo:[0,1] neg_hi:[0,1]
	s_wait_dscnt 0x0
	v_pk_mul_f32 v[104:105], v[102:103], v[114:115] op_sel:[0,1]
	s_delay_alu instid0(VALU_DEP_1) | instskip(SKIP_1) | instid1(VALU_DEP_1)
	v_pk_fma_f32 v[114:115], v[102:103], v[112:113], v[104:105] op_sel:[0,0,1] op_sel_hi:[1,1,0] neg_lo:[0,0,1] neg_hi:[0,0,1]
	v_pk_fma_f32 v[102:103], v[102:103], v[112:113], v[104:105] op_sel:[0,0,1] op_sel_hi:[1,0,0]
	v_mov_b32_e32 v115, v103
	s_delay_alu instid0(VALU_DEP_1)
	v_pk_add_f32 v[100:101], v[100:101], v[114:115] neg_lo:[0,1] neg_hi:[0,1]
.LBB94_860:
	s_or_b32 exec_lo, exec_lo, s0
	v_lshl_add_u32 v102, v110, 3, v106
	s_barrier_signal -1
	s_barrier_wait -1
	ds_store_b64 v102, v[30:31]
	s_wait_dscnt 0x0
	s_barrier_signal -1
	s_barrier_wait -1
	ds_load_b64 v[102:103], v106 offset:328
	v_mov_b32_e32 v104, 41
	s_cmp_lt_i32 s18, 43
	s_cbranch_scc1 .LBB94_863
; %bb.861:
	v_add3_u32 v105, v107, 0, 0x150
	v_mov_b32_e32 v104, 41
	s_mov_b32 s0, 42
.LBB94_862:                             ; =>This Inner Loop Header: Depth=1
	ds_load_b64 v[112:113], v105
	s_wait_dscnt 0x1
	v_cmp_gt_f32_e32 vcc_lo, 0, v102
	v_cndmask_b32_e64 v114, v102, -v102, vcc_lo
	v_cmp_gt_f32_e32 vcc_lo, 0, v103
	v_cndmask_b32_e64 v116, v103, -v103, vcc_lo
	s_wait_dscnt 0x0
	v_cmp_gt_f32_e32 vcc_lo, 0, v112
	v_cndmask_b32_e64 v115, v112, -v112, vcc_lo
	v_cmp_gt_f32_e32 vcc_lo, 0, v113
	v_cndmask_b32_e64 v117, v113, -v113, vcc_lo
	s_delay_alu instid0(VALU_DEP_1) | instskip(NEXT) | instid1(VALU_DEP_1)
	v_pk_add_f32 v[114:115], v[114:115], v[116:117]
	v_cmp_lt_f32_e32 vcc_lo, v114, v115
	v_dual_cndmask_b32 v102, v102, v112 :: v_dual_add_nc_u32 v105, 8, v105
	v_cndmask_b32_e32 v103, v103, v113, vcc_lo
	v_cndmask_b32_e64 v104, v104, s0, vcc_lo
	s_add_co_i32 s0, s0, 1
	s_delay_alu instid0(SALU_CYCLE_1)
	s_cmp_lg_u32 s18, s0
	s_cbranch_scc1 .LBB94_862
.LBB94_863:
	s_wait_dscnt 0x0
	v_cmp_eq_f32_e32 vcc_lo, 0, v102
	v_cmp_eq_f32_e64 s0, 0, v103
	s_and_b32 s0, vcc_lo, s0
	s_delay_alu instid0(SALU_CYCLE_1) | instskip(NEXT) | instid1(SALU_CYCLE_1)
	s_and_saveexec_b32 s1, s0
	s_xor_b32 s0, exec_lo, s1
; %bb.864:
	v_cmp_ne_u32_e32 vcc_lo, 0, v108
	v_cndmask_b32_e32 v108, 42, v108, vcc_lo
; %bb.865:
	s_and_not1_saveexec_b32 s0, s0
	s_cbranch_execz .LBB94_871
; %bb.866:
	v_cmp_ngt_f32_e64 s1, |v102|, |v103|
	s_and_saveexec_b32 s12, s1
	s_delay_alu instid0(SALU_CYCLE_1)
	s_xor_b32 s1, exec_lo, s12
	s_cbranch_execz .LBB94_868
; %bb.867:
	v_div_scale_f32 v105, null, v103, v103, v102
	v_div_scale_f32 v113, vcc_lo, v102, v103, v102
	s_delay_alu instid0(VALU_DEP_2) | instskip(SKIP_1) | instid1(TRANS32_DEP_1)
	v_rcp_f32_e32 v111, v105
	v_nop
	v_fma_f32 v112, -v105, v111, 1.0
	s_delay_alu instid0(VALU_DEP_1) | instskip(NEXT) | instid1(VALU_DEP_1)
	v_fmac_f32_e32 v111, v112, v111
	v_mul_f32_e32 v112, v113, v111
	s_delay_alu instid0(VALU_DEP_1) | instskip(NEXT) | instid1(VALU_DEP_1)
	v_fma_f32 v114, -v105, v112, v113
	v_fmac_f32_e32 v112, v114, v111
	s_delay_alu instid0(VALU_DEP_1) | instskip(NEXT) | instid1(VALU_DEP_1)
	v_fma_f32 v105, -v105, v112, v113
	v_div_fmas_f32 v105, v105, v111, v112
	s_delay_alu instid0(VALU_DEP_1) | instskip(NEXT) | instid1(VALU_DEP_1)
	v_div_fixup_f32 v105, v105, v103, v102
	v_fmac_f32_e32 v103, v102, v105
	s_delay_alu instid0(VALU_DEP_1) | instskip(SKIP_1) | instid1(VALU_DEP_2)
	v_div_scale_f32 v102, null, v103, v103, 1.0
	v_div_scale_f32 v113, vcc_lo, 1.0, v103, 1.0
	v_rcp_f32_e32 v111, v102
	v_nop
	s_delay_alu instid0(TRANS32_DEP_1) | instskip(NEXT) | instid1(VALU_DEP_1)
	v_fma_f32 v112, -v102, v111, 1.0
	v_fmac_f32_e32 v111, v112, v111
	s_delay_alu instid0(VALU_DEP_1) | instskip(NEXT) | instid1(VALU_DEP_1)
	v_mul_f32_e32 v112, v113, v111
	v_fma_f32 v114, -v102, v112, v113
	s_delay_alu instid0(VALU_DEP_1) | instskip(NEXT) | instid1(VALU_DEP_1)
	v_fmac_f32_e32 v112, v114, v111
	v_fma_f32 v102, -v102, v112, v113
	s_delay_alu instid0(VALU_DEP_1) | instskip(NEXT) | instid1(VALU_DEP_1)
	v_div_fmas_f32 v102, v102, v111, v112
	v_div_fixup_f32 v103, v102, v103, 1.0
	s_delay_alu instid0(VALU_DEP_1)
	v_mul_f32_e32 v102, v105, v103
	v_xor_b32_e32 v103, 0x80000000, v103
.LBB94_868:
	s_and_not1_saveexec_b32 s1, s1
	s_cbranch_execz .LBB94_870
; %bb.869:
	s_delay_alu instid0(VALU_DEP_1) | instskip(SKIP_1) | instid1(VALU_DEP_2)
	v_div_scale_f32 v105, null, v102, v102, v103
	v_div_scale_f32 v113, vcc_lo, v103, v102, v103
	v_rcp_f32_e32 v111, v105
	v_nop
	s_delay_alu instid0(TRANS32_DEP_1) | instskip(NEXT) | instid1(VALU_DEP_1)
	v_fma_f32 v112, -v105, v111, 1.0
	v_fmac_f32_e32 v111, v112, v111
	s_delay_alu instid0(VALU_DEP_1) | instskip(NEXT) | instid1(VALU_DEP_1)
	v_mul_f32_e32 v112, v113, v111
	v_fma_f32 v114, -v105, v112, v113
	s_delay_alu instid0(VALU_DEP_1) | instskip(NEXT) | instid1(VALU_DEP_1)
	v_fmac_f32_e32 v112, v114, v111
	v_fma_f32 v105, -v105, v112, v113
	s_delay_alu instid0(VALU_DEP_1) | instskip(NEXT) | instid1(VALU_DEP_1)
	v_div_fmas_f32 v105, v105, v111, v112
	v_div_fixup_f32 v105, v105, v102, v103
	s_delay_alu instid0(VALU_DEP_1) | instskip(NEXT) | instid1(VALU_DEP_1)
	v_fmac_f32_e32 v102, v103, v105
	v_div_scale_f32 v103, null, v102, v102, 1.0
	s_delay_alu instid0(VALU_DEP_1) | instskip(SKIP_1) | instid1(TRANS32_DEP_1)
	v_rcp_f32_e32 v111, v103
	v_nop
	v_fma_f32 v112, -v103, v111, 1.0
	s_delay_alu instid0(VALU_DEP_1) | instskip(SKIP_1) | instid1(VALU_DEP_1)
	v_fmac_f32_e32 v111, v112, v111
	v_div_scale_f32 v112, vcc_lo, 1.0, v102, 1.0
	v_mul_f32_e32 v113, v112, v111
	s_delay_alu instid0(VALU_DEP_1) | instskip(NEXT) | instid1(VALU_DEP_1)
	v_fma_f32 v114, -v103, v113, v112
	v_fmac_f32_e32 v113, v114, v111
	s_delay_alu instid0(VALU_DEP_1) | instskip(NEXT) | instid1(VALU_DEP_1)
	v_fma_f32 v103, -v103, v113, v112
	v_div_fmas_f32 v103, v103, v111, v113
	s_delay_alu instid0(VALU_DEP_1) | instskip(NEXT) | instid1(VALU_DEP_1)
	v_div_fixup_f32 v102, v103, v102, 1.0
	v_mul_f32_e64 v103, v105, -v102
.LBB94_870:
	s_or_b32 exec_lo, exec_lo, s1
.LBB94_871:
	s_delay_alu instid0(SALU_CYCLE_1) | instskip(NEXT) | instid1(SALU_CYCLE_1)
	s_or_b32 exec_lo, exec_lo, s0
	s_mov_b32 s0, exec_lo
	v_cmpx_ne_u32_e64 v110, v104
	s_xor_b32 s0, exec_lo, s0
	s_cbranch_execz .LBB94_877
; %bb.872:
	s_mov_b32 s1, exec_lo
	v_cmpx_eq_u32_e32 41, v110
	s_cbranch_execz .LBB94_876
; %bb.873:
	v_cmp_ne_u32_e32 vcc_lo, 41, v104
	s_xor_b32 s12, s16, -1
	s_delay_alu instid0(SALU_CYCLE_1) | instskip(NEXT) | instid1(SALU_CYCLE_1)
	s_and_b32 s13, s12, vcc_lo
	s_and_saveexec_b32 s12, s13
	s_cbranch_execz .LBB94_875
; %bb.874:
	v_ashrrev_i32_e32 v105, 31, v104
	s_delay_alu instid0(VALU_DEP_1)
	v_lshl_add_u64 v[110:111], v[104:105], 2, v[4:5]
	s_clause 0x1
	global_load_b32 v105, v[110:111], off
	global_load_b32 v109, v[4:5], off offset:164
	s_wait_loadcnt 0x1
	global_store_b32 v[4:5], v105, off offset:164
	s_wait_loadcnt 0x0
	global_store_b32 v[110:111], v109, off
.LBB94_875:
	s_wait_xcnt 0x0
	s_or_b32 exec_lo, exec_lo, s12
	v_dual_mov_b32 v110, v104 :: v_dual_mov_b32 v109, v104
.LBB94_876:
	s_or_b32 exec_lo, exec_lo, s1
.LBB94_877:
	s_and_not1_saveexec_b32 s0, s0
	s_cbranch_execz .LBB94_879
; %bb.878:
	v_dual_mov_b32 v104, v34 :: v_dual_mov_b32 v105, v35
	v_dual_mov_b32 v112, v8 :: v_dual_mov_b32 v113, v9
	;; [unrolled: 1-line block ×5, first 2 shown]
	v_mov_b32_e32 v119, v15
	ds_store_2addr_b64 v106, v[104:105], v[112:113] offset0:42 offset1:43
	ds_store_2addr_b64 v106, v[114:115], v[116:117] offset0:44 offset1:45
	;; [unrolled: 1-line block ×3, first 2 shown]
.LBB94_879:
	s_or_b32 exec_lo, exec_lo, s0
	s_delay_alu instid0(SALU_CYCLE_1)
	s_mov_b32 s0, exec_lo
	s_wait_storecnt_dscnt 0x0
	s_barrier_signal -1
	s_barrier_wait -1
	v_cmpx_lt_i32_e32 41, v110
	s_cbranch_execz .LBB94_881
; %bb.880:
	v_pk_mul_f32 v[104:105], v[102:103], v[30:31] op_sel:[1,1] op_sel_hi:[0,1]
	s_delay_alu instid0(VALU_DEP_1)
	v_pk_fma_f32 v[112:113], v[102:103], v[30:31], v[104:105] op_sel_hi:[1,0,1] neg_lo:[0,0,1] neg_hi:[0,0,1]
	v_pk_fma_f32 v[114:115], v[102:103], v[30:31], v[104:105] op_sel_hi:[1,0,1]
	ds_load_2addr_b64 v[102:105], v106 offset0:42 offset1:43
	v_dual_mov_b32 v30, v112 :: v_dual_mov_b32 v31, v115
	s_wait_dscnt 0x0
	v_pk_mul_f32 v[116:117], v[102:103], v[114:115] op_sel:[0,1]
	s_delay_alu instid0(VALU_DEP_1) | instskip(SKIP_1) | instid1(VALU_DEP_1)
	v_pk_fma_f32 v[118:119], v[102:103], v[112:113], v[116:117] op_sel:[0,0,1] op_sel_hi:[1,1,0] neg_lo:[0,0,1] neg_hi:[0,0,1]
	v_pk_fma_f32 v[102:103], v[102:103], v[112:113], v[116:117] op_sel:[0,0,1] op_sel_hi:[1,0,0]
	v_mov_b32_e32 v119, v103
	v_pk_mul_f32 v[102:103], v[104:105], v[114:115] op_sel:[0,1]
	s_delay_alu instid0(VALU_DEP_1) | instskip(SKIP_1) | instid1(VALU_DEP_1)
	v_pk_fma_f32 v[116:117], v[104:105], v[112:113], v[102:103] op_sel:[0,0,1] op_sel_hi:[1,1,0] neg_lo:[0,0,1] neg_hi:[0,0,1]
	v_pk_fma_f32 v[102:103], v[104:105], v[112:113], v[102:103] op_sel:[0,0,1] op_sel_hi:[1,0,0]
	v_mov_b32_e32 v117, v103
	ds_load_2addr_b64 v[102:105], v106 offset0:44 offset1:45
	v_pk_add_f32 v[34:35], v[34:35], v[118:119] neg_lo:[0,1] neg_hi:[0,1]
	v_pk_add_f32 v[8:9], v[8:9], v[116:117] neg_lo:[0,1] neg_hi:[0,1]
	s_wait_dscnt 0x0
	v_pk_mul_f32 v[116:117], v[102:103], v[114:115] op_sel:[0,1]
	s_delay_alu instid0(VALU_DEP_1) | instskip(SKIP_2) | instid1(VALU_DEP_2)
	v_pk_fma_f32 v[118:119], v[102:103], v[112:113], v[116:117] op_sel:[0,0,1] op_sel_hi:[1,1,0] neg_lo:[0,0,1] neg_hi:[0,0,1]
	v_pk_fma_f32 v[102:103], v[102:103], v[112:113], v[116:117] op_sel:[0,0,1] op_sel_hi:[1,0,0]
	v_dual_mul_f32 v116, v105, v115 :: v_dual_mov_b32 v102, v105
	v_dual_mov_b32 v119, v103 :: v_dual_mov_b32 v103, v104
	s_delay_alu instid0(VALU_DEP_2) | instskip(SKIP_1) | instid1(VALU_DEP_3)
	v_pk_fma_f32 v[116:117], v[104:105], v[30:31], v[116:117] op_sel_hi:[1,1,0] neg_lo:[0,0,1] neg_hi:[0,0,1]
	v_mul_f32_e32 v104, v105, v112
	v_pk_add_f32 v[28:29], v[28:29], v[118:119] neg_lo:[0,1] neg_hi:[0,1]
	s_delay_alu instid0(VALU_DEP_2) | instskip(NEXT) | instid1(VALU_DEP_1)
	v_pk_fma_f32 v[102:103], v[102:103], v[30:31], v[104:105] op_sel_hi:[1,1,0]
	v_mov_b32_e32 v117, v103
	ds_load_2addr_b64 v[102:105], v106 offset0:46 offset1:47
	v_pk_add_f32 v[18:19], v[18:19], v[116:117] neg_lo:[0,1] neg_hi:[0,1]
	s_wait_dscnt 0x0
	v_pk_mul_f32 v[116:117], v[102:103], v[114:115] op_sel:[0,1]
	v_mul_f32_e32 v114, v105, v115
	s_delay_alu instid0(VALU_DEP_2) | instskip(SKIP_2) | instid1(VALU_DEP_4)
	v_pk_fma_f32 v[118:119], v[102:103], v[112:113], v[116:117] op_sel:[0,0,1] op_sel_hi:[1,1,0] neg_lo:[0,0,1] neg_hi:[0,0,1]
	v_pk_fma_f32 v[102:103], v[102:103], v[112:113], v[116:117] op_sel:[0,0,1] op_sel_hi:[1,0,0]
	v_mov_b32_e32 v102, v105
	v_pk_fma_f32 v[114:115], v[104:105], v[30:31], v[114:115] op_sel_hi:[1,1,0] neg_lo:[0,0,1] neg_hi:[0,0,1]
	s_delay_alu instid0(VALU_DEP_3) | instskip(SKIP_1) | instid1(VALU_DEP_2)
	v_dual_mov_b32 v119, v103 :: v_dual_mov_b32 v103, v104
	v_mul_f32_e32 v104, v105, v112
	v_pk_add_f32 v[14:15], v[14:15], v[118:119] neg_lo:[0,1] neg_hi:[0,1]
	s_delay_alu instid0(VALU_DEP_2) | instskip(NEXT) | instid1(VALU_DEP_1)
	v_pk_fma_f32 v[102:103], v[102:103], v[30:31], v[104:105] op_sel_hi:[1,1,0]
	v_mov_b32_e32 v115, v103
	s_delay_alu instid0(VALU_DEP_1)
	v_pk_add_f32 v[100:101], v[100:101], v[114:115] neg_lo:[0,1] neg_hi:[0,1]
.LBB94_881:
	s_or_b32 exec_lo, exec_lo, s0
	v_lshl_add_u32 v102, v110, 3, v106
	s_barrier_signal -1
	s_barrier_wait -1
	ds_store_b64 v102, v[34:35]
	s_wait_dscnt 0x0
	s_barrier_signal -1
	s_barrier_wait -1
	ds_load_b64 v[102:103], v106 offset:336
	v_mov_b32_e32 v104, 42
	s_cmp_lt_i32 s18, 44
	s_cbranch_scc1 .LBB94_884
; %bb.882:
	v_add3_u32 v105, v107, 0, 0x158
	v_mov_b32_e32 v104, 42
	s_mov_b32 s0, 43
.LBB94_883:                             ; =>This Inner Loop Header: Depth=1
	ds_load_b64 v[112:113], v105
	s_wait_dscnt 0x1
	v_cmp_gt_f32_e32 vcc_lo, 0, v102
	v_cndmask_b32_e64 v114, v102, -v102, vcc_lo
	v_cmp_gt_f32_e32 vcc_lo, 0, v103
	v_cndmask_b32_e64 v116, v103, -v103, vcc_lo
	s_wait_dscnt 0x0
	v_cmp_gt_f32_e32 vcc_lo, 0, v112
	v_cndmask_b32_e64 v115, v112, -v112, vcc_lo
	v_cmp_gt_f32_e32 vcc_lo, 0, v113
	v_cndmask_b32_e64 v117, v113, -v113, vcc_lo
	s_delay_alu instid0(VALU_DEP_1) | instskip(NEXT) | instid1(VALU_DEP_1)
	v_pk_add_f32 v[114:115], v[114:115], v[116:117]
	v_cmp_lt_f32_e32 vcc_lo, v114, v115
	v_dual_cndmask_b32 v102, v102, v112 :: v_dual_add_nc_u32 v105, 8, v105
	v_cndmask_b32_e32 v103, v103, v113, vcc_lo
	v_cndmask_b32_e64 v104, v104, s0, vcc_lo
	s_add_co_i32 s0, s0, 1
	s_delay_alu instid0(SALU_CYCLE_1)
	s_cmp_lg_u32 s18, s0
	s_cbranch_scc1 .LBB94_883
.LBB94_884:
	s_wait_dscnt 0x0
	v_cmp_eq_f32_e32 vcc_lo, 0, v102
	v_cmp_eq_f32_e64 s0, 0, v103
	s_and_b32 s0, vcc_lo, s0
	s_delay_alu instid0(SALU_CYCLE_1) | instskip(NEXT) | instid1(SALU_CYCLE_1)
	s_and_saveexec_b32 s1, s0
	s_xor_b32 s0, exec_lo, s1
; %bb.885:
	v_cmp_ne_u32_e32 vcc_lo, 0, v108
	v_cndmask_b32_e32 v108, 43, v108, vcc_lo
; %bb.886:
	s_and_not1_saveexec_b32 s0, s0
	s_cbranch_execz .LBB94_892
; %bb.887:
	v_cmp_ngt_f32_e64 s1, |v102|, |v103|
	s_and_saveexec_b32 s12, s1
	s_delay_alu instid0(SALU_CYCLE_1)
	s_xor_b32 s1, exec_lo, s12
	s_cbranch_execz .LBB94_889
; %bb.888:
	v_div_scale_f32 v105, null, v103, v103, v102
	v_div_scale_f32 v113, vcc_lo, v102, v103, v102
	s_delay_alu instid0(VALU_DEP_2) | instskip(SKIP_1) | instid1(TRANS32_DEP_1)
	v_rcp_f32_e32 v111, v105
	v_nop
	v_fma_f32 v112, -v105, v111, 1.0
	s_delay_alu instid0(VALU_DEP_1) | instskip(NEXT) | instid1(VALU_DEP_1)
	v_fmac_f32_e32 v111, v112, v111
	v_mul_f32_e32 v112, v113, v111
	s_delay_alu instid0(VALU_DEP_1) | instskip(NEXT) | instid1(VALU_DEP_1)
	v_fma_f32 v114, -v105, v112, v113
	v_fmac_f32_e32 v112, v114, v111
	s_delay_alu instid0(VALU_DEP_1) | instskip(NEXT) | instid1(VALU_DEP_1)
	v_fma_f32 v105, -v105, v112, v113
	v_div_fmas_f32 v105, v105, v111, v112
	s_delay_alu instid0(VALU_DEP_1) | instskip(NEXT) | instid1(VALU_DEP_1)
	v_div_fixup_f32 v105, v105, v103, v102
	v_fmac_f32_e32 v103, v102, v105
	s_delay_alu instid0(VALU_DEP_1) | instskip(SKIP_1) | instid1(VALU_DEP_2)
	v_div_scale_f32 v102, null, v103, v103, 1.0
	v_div_scale_f32 v113, vcc_lo, 1.0, v103, 1.0
	v_rcp_f32_e32 v111, v102
	v_nop
	s_delay_alu instid0(TRANS32_DEP_1) | instskip(NEXT) | instid1(VALU_DEP_1)
	v_fma_f32 v112, -v102, v111, 1.0
	v_fmac_f32_e32 v111, v112, v111
	s_delay_alu instid0(VALU_DEP_1) | instskip(NEXT) | instid1(VALU_DEP_1)
	v_mul_f32_e32 v112, v113, v111
	v_fma_f32 v114, -v102, v112, v113
	s_delay_alu instid0(VALU_DEP_1) | instskip(NEXT) | instid1(VALU_DEP_1)
	v_fmac_f32_e32 v112, v114, v111
	v_fma_f32 v102, -v102, v112, v113
	s_delay_alu instid0(VALU_DEP_1) | instskip(NEXT) | instid1(VALU_DEP_1)
	v_div_fmas_f32 v102, v102, v111, v112
	v_div_fixup_f32 v103, v102, v103, 1.0
	s_delay_alu instid0(VALU_DEP_1)
	v_mul_f32_e32 v102, v105, v103
	v_xor_b32_e32 v103, 0x80000000, v103
.LBB94_889:
	s_and_not1_saveexec_b32 s1, s1
	s_cbranch_execz .LBB94_891
; %bb.890:
	s_delay_alu instid0(VALU_DEP_1) | instskip(SKIP_1) | instid1(VALU_DEP_2)
	v_div_scale_f32 v105, null, v102, v102, v103
	v_div_scale_f32 v113, vcc_lo, v103, v102, v103
	v_rcp_f32_e32 v111, v105
	v_nop
	s_delay_alu instid0(TRANS32_DEP_1) | instskip(NEXT) | instid1(VALU_DEP_1)
	v_fma_f32 v112, -v105, v111, 1.0
	v_fmac_f32_e32 v111, v112, v111
	s_delay_alu instid0(VALU_DEP_1) | instskip(NEXT) | instid1(VALU_DEP_1)
	v_mul_f32_e32 v112, v113, v111
	v_fma_f32 v114, -v105, v112, v113
	s_delay_alu instid0(VALU_DEP_1) | instskip(NEXT) | instid1(VALU_DEP_1)
	v_fmac_f32_e32 v112, v114, v111
	v_fma_f32 v105, -v105, v112, v113
	s_delay_alu instid0(VALU_DEP_1) | instskip(NEXT) | instid1(VALU_DEP_1)
	v_div_fmas_f32 v105, v105, v111, v112
	v_div_fixup_f32 v105, v105, v102, v103
	s_delay_alu instid0(VALU_DEP_1) | instskip(NEXT) | instid1(VALU_DEP_1)
	v_fmac_f32_e32 v102, v103, v105
	v_div_scale_f32 v103, null, v102, v102, 1.0
	s_delay_alu instid0(VALU_DEP_1) | instskip(SKIP_1) | instid1(TRANS32_DEP_1)
	v_rcp_f32_e32 v111, v103
	v_nop
	v_fma_f32 v112, -v103, v111, 1.0
	s_delay_alu instid0(VALU_DEP_1) | instskip(SKIP_1) | instid1(VALU_DEP_1)
	v_fmac_f32_e32 v111, v112, v111
	v_div_scale_f32 v112, vcc_lo, 1.0, v102, 1.0
	v_mul_f32_e32 v113, v112, v111
	s_delay_alu instid0(VALU_DEP_1) | instskip(NEXT) | instid1(VALU_DEP_1)
	v_fma_f32 v114, -v103, v113, v112
	v_fmac_f32_e32 v113, v114, v111
	s_delay_alu instid0(VALU_DEP_1) | instskip(NEXT) | instid1(VALU_DEP_1)
	v_fma_f32 v103, -v103, v113, v112
	v_div_fmas_f32 v103, v103, v111, v113
	s_delay_alu instid0(VALU_DEP_1) | instskip(NEXT) | instid1(VALU_DEP_1)
	v_div_fixup_f32 v102, v103, v102, 1.0
	v_mul_f32_e64 v103, v105, -v102
.LBB94_891:
	s_or_b32 exec_lo, exec_lo, s1
.LBB94_892:
	s_delay_alu instid0(SALU_CYCLE_1) | instskip(NEXT) | instid1(SALU_CYCLE_1)
	s_or_b32 exec_lo, exec_lo, s0
	s_mov_b32 s0, exec_lo
	v_cmpx_ne_u32_e64 v110, v104
	s_xor_b32 s0, exec_lo, s0
	s_cbranch_execz .LBB94_898
; %bb.893:
	s_mov_b32 s1, exec_lo
	v_cmpx_eq_u32_e32 42, v110
	s_cbranch_execz .LBB94_897
; %bb.894:
	v_cmp_ne_u32_e32 vcc_lo, 42, v104
	s_xor_b32 s12, s16, -1
	s_delay_alu instid0(SALU_CYCLE_1) | instskip(NEXT) | instid1(SALU_CYCLE_1)
	s_and_b32 s13, s12, vcc_lo
	s_and_saveexec_b32 s12, s13
	s_cbranch_execz .LBB94_896
; %bb.895:
	v_ashrrev_i32_e32 v105, 31, v104
	s_delay_alu instid0(VALU_DEP_1)
	v_lshl_add_u64 v[110:111], v[104:105], 2, v[4:5]
	s_clause 0x1
	global_load_b32 v105, v[110:111], off
	global_load_b32 v109, v[4:5], off offset:168
	s_wait_loadcnt 0x1
	global_store_b32 v[4:5], v105, off offset:168
	s_wait_loadcnt 0x0
	global_store_b32 v[110:111], v109, off
.LBB94_896:
	s_wait_xcnt 0x0
	s_or_b32 exec_lo, exec_lo, s12
	v_dual_mov_b32 v110, v104 :: v_dual_mov_b32 v109, v104
.LBB94_897:
	s_or_b32 exec_lo, exec_lo, s1
.LBB94_898:
	s_and_not1_saveexec_b32 s0, s0
	s_cbranch_execz .LBB94_900
; %bb.899:
	v_mov_b32_e32 v110, 42
	ds_store_2addr_b64 v106, v[8:9], v[28:29] offset0:43 offset1:44
	ds_store_2addr_b64 v106, v[18:19], v[14:15] offset0:45 offset1:46
	ds_store_b64 v106, v[100:101] offset:376
.LBB94_900:
	s_or_b32 exec_lo, exec_lo, s0
	s_delay_alu instid0(SALU_CYCLE_1)
	s_mov_b32 s0, exec_lo
	s_wait_storecnt_dscnt 0x0
	s_barrier_signal -1
	s_barrier_wait -1
	v_cmpx_lt_i32_e32 42, v110
	s_cbranch_execz .LBB94_902
; %bb.901:
	v_pk_mul_f32 v[104:105], v[102:103], v[34:35] op_sel:[1,1] op_sel_hi:[0,1]
	s_delay_alu instid0(VALU_DEP_1)
	v_pk_fma_f32 v[112:113], v[102:103], v[34:35], v[104:105] op_sel_hi:[1,0,1] neg_lo:[0,0,1] neg_hi:[0,0,1]
	v_pk_fma_f32 v[114:115], v[102:103], v[34:35], v[104:105] op_sel_hi:[1,0,1]
	ds_load_2addr_b64 v[102:105], v106 offset0:43 offset1:44
	v_dual_mov_b32 v34, v112 :: v_dual_mov_b32 v35, v115
	s_wait_dscnt 0x0
	v_pk_mul_f32 v[116:117], v[102:103], v[114:115] op_sel:[0,1]
	s_delay_alu instid0(VALU_DEP_1) | instskip(SKIP_1) | instid1(VALU_DEP_1)
	v_pk_fma_f32 v[118:119], v[102:103], v[112:113], v[116:117] op_sel:[0,0,1] op_sel_hi:[1,1,0] neg_lo:[0,0,1] neg_hi:[0,0,1]
	v_pk_fma_f32 v[102:103], v[102:103], v[112:113], v[116:117] op_sel:[0,0,1] op_sel_hi:[1,0,0]
	v_mov_b32_e32 v119, v103
	v_pk_mul_f32 v[102:103], v[104:105], v[114:115] op_sel:[0,1]
	s_delay_alu instid0(VALU_DEP_1) | instskip(SKIP_1) | instid1(VALU_DEP_1)
	v_pk_fma_f32 v[116:117], v[104:105], v[112:113], v[102:103] op_sel:[0,0,1] op_sel_hi:[1,1,0] neg_lo:[0,0,1] neg_hi:[0,0,1]
	v_pk_fma_f32 v[102:103], v[104:105], v[112:113], v[102:103] op_sel:[0,0,1] op_sel_hi:[1,0,0]
	v_mov_b32_e32 v117, v103
	ds_load_2addr_b64 v[102:105], v106 offset0:45 offset1:46
	v_pk_add_f32 v[8:9], v[8:9], v[118:119] neg_lo:[0,1] neg_hi:[0,1]
	v_pk_add_f32 v[28:29], v[28:29], v[116:117] neg_lo:[0,1] neg_hi:[0,1]
	s_wait_dscnt 0x0
	v_pk_mul_f32 v[116:117], v[102:103], v[114:115] op_sel:[0,1]
	s_delay_alu instid0(VALU_DEP_1) | instskip(SKIP_2) | instid1(VALU_DEP_2)
	v_pk_fma_f32 v[118:119], v[102:103], v[112:113], v[116:117] op_sel:[0,0,1] op_sel_hi:[1,1,0] neg_lo:[0,0,1] neg_hi:[0,0,1]
	v_pk_fma_f32 v[102:103], v[102:103], v[112:113], v[116:117] op_sel:[0,0,1] op_sel_hi:[1,0,0]
	v_dual_mul_f32 v116, v105, v115 :: v_dual_mov_b32 v102, v105
	v_dual_mov_b32 v119, v103 :: v_dual_mov_b32 v103, v104
	s_delay_alu instid0(VALU_DEP_2) | instskip(SKIP_1) | instid1(VALU_DEP_3)
	v_pk_fma_f32 v[116:117], v[104:105], v[34:35], v[116:117] op_sel_hi:[1,1,0] neg_lo:[0,0,1] neg_hi:[0,0,1]
	v_mul_f32_e32 v104, v105, v112
	v_pk_add_f32 v[18:19], v[18:19], v[118:119] neg_lo:[0,1] neg_hi:[0,1]
	s_delay_alu instid0(VALU_DEP_2) | instskip(NEXT) | instid1(VALU_DEP_1)
	v_pk_fma_f32 v[102:103], v[102:103], v[34:35], v[104:105] op_sel_hi:[1,1,0]
	v_mov_b32_e32 v117, v103
	ds_load_b64 v[102:103], v106 offset:376
	v_pk_add_f32 v[14:15], v[14:15], v[116:117] neg_lo:[0,1] neg_hi:[0,1]
	s_wait_dscnt 0x0
	v_pk_mul_f32 v[104:105], v[102:103], v[114:115] op_sel:[0,1]
	s_delay_alu instid0(VALU_DEP_1) | instskip(SKIP_1) | instid1(VALU_DEP_1)
	v_pk_fma_f32 v[114:115], v[102:103], v[112:113], v[104:105] op_sel:[0,0,1] op_sel_hi:[1,1,0] neg_lo:[0,0,1] neg_hi:[0,0,1]
	v_pk_fma_f32 v[102:103], v[102:103], v[112:113], v[104:105] op_sel:[0,0,1] op_sel_hi:[1,0,0]
	v_mov_b32_e32 v115, v103
	s_delay_alu instid0(VALU_DEP_1)
	v_pk_add_f32 v[100:101], v[100:101], v[114:115] neg_lo:[0,1] neg_hi:[0,1]
.LBB94_902:
	s_or_b32 exec_lo, exec_lo, s0
	v_lshl_add_u32 v102, v110, 3, v106
	s_barrier_signal -1
	s_barrier_wait -1
	ds_store_b64 v102, v[8:9]
	s_wait_dscnt 0x0
	s_barrier_signal -1
	s_barrier_wait -1
	ds_load_b64 v[102:103], v106 offset:344
	v_mov_b32_e32 v104, 43
	s_cmp_lt_i32 s18, 45
	s_cbranch_scc1 .LBB94_905
; %bb.903:
	v_add3_u32 v105, v107, 0, 0x160
	v_mov_b32_e32 v104, 43
	s_mov_b32 s0, 44
.LBB94_904:                             ; =>This Inner Loop Header: Depth=1
	ds_load_b64 v[112:113], v105
	s_wait_dscnt 0x1
	v_cmp_gt_f32_e32 vcc_lo, 0, v102
	v_cndmask_b32_e64 v114, v102, -v102, vcc_lo
	v_cmp_gt_f32_e32 vcc_lo, 0, v103
	v_cndmask_b32_e64 v116, v103, -v103, vcc_lo
	s_wait_dscnt 0x0
	v_cmp_gt_f32_e32 vcc_lo, 0, v112
	v_cndmask_b32_e64 v115, v112, -v112, vcc_lo
	v_cmp_gt_f32_e32 vcc_lo, 0, v113
	v_cndmask_b32_e64 v117, v113, -v113, vcc_lo
	s_delay_alu instid0(VALU_DEP_1) | instskip(NEXT) | instid1(VALU_DEP_1)
	v_pk_add_f32 v[114:115], v[114:115], v[116:117]
	v_cmp_lt_f32_e32 vcc_lo, v114, v115
	v_dual_cndmask_b32 v102, v102, v112 :: v_dual_add_nc_u32 v105, 8, v105
	v_cndmask_b32_e32 v103, v103, v113, vcc_lo
	v_cndmask_b32_e64 v104, v104, s0, vcc_lo
	s_add_co_i32 s0, s0, 1
	s_delay_alu instid0(SALU_CYCLE_1)
	s_cmp_lg_u32 s18, s0
	s_cbranch_scc1 .LBB94_904
.LBB94_905:
	s_wait_dscnt 0x0
	v_cmp_eq_f32_e32 vcc_lo, 0, v102
	v_cmp_eq_f32_e64 s0, 0, v103
	s_and_b32 s0, vcc_lo, s0
	s_delay_alu instid0(SALU_CYCLE_1) | instskip(NEXT) | instid1(SALU_CYCLE_1)
	s_and_saveexec_b32 s1, s0
	s_xor_b32 s0, exec_lo, s1
; %bb.906:
	v_cmp_ne_u32_e32 vcc_lo, 0, v108
	v_cndmask_b32_e32 v108, 44, v108, vcc_lo
; %bb.907:
	s_and_not1_saveexec_b32 s0, s0
	s_cbranch_execz .LBB94_913
; %bb.908:
	v_cmp_ngt_f32_e64 s1, |v102|, |v103|
	s_and_saveexec_b32 s12, s1
	s_delay_alu instid0(SALU_CYCLE_1)
	s_xor_b32 s1, exec_lo, s12
	s_cbranch_execz .LBB94_910
; %bb.909:
	v_div_scale_f32 v105, null, v103, v103, v102
	v_div_scale_f32 v113, vcc_lo, v102, v103, v102
	s_delay_alu instid0(VALU_DEP_2) | instskip(SKIP_1) | instid1(TRANS32_DEP_1)
	v_rcp_f32_e32 v111, v105
	v_nop
	v_fma_f32 v112, -v105, v111, 1.0
	s_delay_alu instid0(VALU_DEP_1) | instskip(NEXT) | instid1(VALU_DEP_1)
	v_fmac_f32_e32 v111, v112, v111
	v_mul_f32_e32 v112, v113, v111
	s_delay_alu instid0(VALU_DEP_1) | instskip(NEXT) | instid1(VALU_DEP_1)
	v_fma_f32 v114, -v105, v112, v113
	v_fmac_f32_e32 v112, v114, v111
	s_delay_alu instid0(VALU_DEP_1) | instskip(NEXT) | instid1(VALU_DEP_1)
	v_fma_f32 v105, -v105, v112, v113
	v_div_fmas_f32 v105, v105, v111, v112
	s_delay_alu instid0(VALU_DEP_1) | instskip(NEXT) | instid1(VALU_DEP_1)
	v_div_fixup_f32 v105, v105, v103, v102
	v_fmac_f32_e32 v103, v102, v105
	s_delay_alu instid0(VALU_DEP_1) | instskip(SKIP_1) | instid1(VALU_DEP_2)
	v_div_scale_f32 v102, null, v103, v103, 1.0
	v_div_scale_f32 v113, vcc_lo, 1.0, v103, 1.0
	v_rcp_f32_e32 v111, v102
	v_nop
	s_delay_alu instid0(TRANS32_DEP_1) | instskip(NEXT) | instid1(VALU_DEP_1)
	v_fma_f32 v112, -v102, v111, 1.0
	v_fmac_f32_e32 v111, v112, v111
	s_delay_alu instid0(VALU_DEP_1) | instskip(NEXT) | instid1(VALU_DEP_1)
	v_mul_f32_e32 v112, v113, v111
	v_fma_f32 v114, -v102, v112, v113
	s_delay_alu instid0(VALU_DEP_1) | instskip(NEXT) | instid1(VALU_DEP_1)
	v_fmac_f32_e32 v112, v114, v111
	v_fma_f32 v102, -v102, v112, v113
	s_delay_alu instid0(VALU_DEP_1) | instskip(NEXT) | instid1(VALU_DEP_1)
	v_div_fmas_f32 v102, v102, v111, v112
	v_div_fixup_f32 v103, v102, v103, 1.0
	s_delay_alu instid0(VALU_DEP_1)
	v_mul_f32_e32 v102, v105, v103
	v_xor_b32_e32 v103, 0x80000000, v103
.LBB94_910:
	s_and_not1_saveexec_b32 s1, s1
	s_cbranch_execz .LBB94_912
; %bb.911:
	s_delay_alu instid0(VALU_DEP_1) | instskip(SKIP_1) | instid1(VALU_DEP_2)
	v_div_scale_f32 v105, null, v102, v102, v103
	v_div_scale_f32 v113, vcc_lo, v103, v102, v103
	v_rcp_f32_e32 v111, v105
	v_nop
	s_delay_alu instid0(TRANS32_DEP_1) | instskip(NEXT) | instid1(VALU_DEP_1)
	v_fma_f32 v112, -v105, v111, 1.0
	v_fmac_f32_e32 v111, v112, v111
	s_delay_alu instid0(VALU_DEP_1) | instskip(NEXT) | instid1(VALU_DEP_1)
	v_mul_f32_e32 v112, v113, v111
	v_fma_f32 v114, -v105, v112, v113
	s_delay_alu instid0(VALU_DEP_1) | instskip(NEXT) | instid1(VALU_DEP_1)
	v_fmac_f32_e32 v112, v114, v111
	v_fma_f32 v105, -v105, v112, v113
	s_delay_alu instid0(VALU_DEP_1) | instskip(NEXT) | instid1(VALU_DEP_1)
	v_div_fmas_f32 v105, v105, v111, v112
	v_div_fixup_f32 v105, v105, v102, v103
	s_delay_alu instid0(VALU_DEP_1) | instskip(NEXT) | instid1(VALU_DEP_1)
	v_fmac_f32_e32 v102, v103, v105
	v_div_scale_f32 v103, null, v102, v102, 1.0
	s_delay_alu instid0(VALU_DEP_1) | instskip(SKIP_1) | instid1(TRANS32_DEP_1)
	v_rcp_f32_e32 v111, v103
	v_nop
	v_fma_f32 v112, -v103, v111, 1.0
	s_delay_alu instid0(VALU_DEP_1) | instskip(SKIP_1) | instid1(VALU_DEP_1)
	v_fmac_f32_e32 v111, v112, v111
	v_div_scale_f32 v112, vcc_lo, 1.0, v102, 1.0
	v_mul_f32_e32 v113, v112, v111
	s_delay_alu instid0(VALU_DEP_1) | instskip(NEXT) | instid1(VALU_DEP_1)
	v_fma_f32 v114, -v103, v113, v112
	v_fmac_f32_e32 v113, v114, v111
	s_delay_alu instid0(VALU_DEP_1) | instskip(NEXT) | instid1(VALU_DEP_1)
	v_fma_f32 v103, -v103, v113, v112
	v_div_fmas_f32 v103, v103, v111, v113
	s_delay_alu instid0(VALU_DEP_1) | instskip(NEXT) | instid1(VALU_DEP_1)
	v_div_fixup_f32 v102, v103, v102, 1.0
	v_mul_f32_e64 v103, v105, -v102
.LBB94_912:
	s_or_b32 exec_lo, exec_lo, s1
.LBB94_913:
	s_delay_alu instid0(SALU_CYCLE_1) | instskip(NEXT) | instid1(SALU_CYCLE_1)
	s_or_b32 exec_lo, exec_lo, s0
	s_mov_b32 s0, exec_lo
	v_cmpx_ne_u32_e64 v110, v104
	s_xor_b32 s0, exec_lo, s0
	s_cbranch_execz .LBB94_919
; %bb.914:
	s_mov_b32 s1, exec_lo
	v_cmpx_eq_u32_e32 43, v110
	s_cbranch_execz .LBB94_918
; %bb.915:
	v_cmp_ne_u32_e32 vcc_lo, 43, v104
	s_xor_b32 s12, s16, -1
	s_delay_alu instid0(SALU_CYCLE_1) | instskip(NEXT) | instid1(SALU_CYCLE_1)
	s_and_b32 s13, s12, vcc_lo
	s_and_saveexec_b32 s12, s13
	s_cbranch_execz .LBB94_917
; %bb.916:
	v_ashrrev_i32_e32 v105, 31, v104
	s_delay_alu instid0(VALU_DEP_1)
	v_lshl_add_u64 v[110:111], v[104:105], 2, v[4:5]
	s_clause 0x1
	global_load_b32 v105, v[110:111], off
	global_load_b32 v109, v[4:5], off offset:172
	s_wait_loadcnt 0x1
	global_store_b32 v[4:5], v105, off offset:172
	s_wait_loadcnt 0x0
	global_store_b32 v[110:111], v109, off
.LBB94_917:
	s_wait_xcnt 0x0
	s_or_b32 exec_lo, exec_lo, s12
	v_dual_mov_b32 v110, v104 :: v_dual_mov_b32 v109, v104
.LBB94_918:
	s_or_b32 exec_lo, exec_lo, s1
.LBB94_919:
	s_and_not1_saveexec_b32 s0, s0
	s_cbranch_execz .LBB94_921
; %bb.920:
	v_dual_mov_b32 v104, v28 :: v_dual_mov_b32 v105, v29
	v_dual_mov_b32 v112, v18 :: v_dual_mov_b32 v113, v19
	;; [unrolled: 1-line block ×3, first 2 shown]
	v_mov_b32_e32 v115, v15
	ds_store_2addr_b64 v106, v[104:105], v[112:113] offset0:44 offset1:45
	ds_store_2addr_b64 v106, v[114:115], v[100:101] offset0:46 offset1:47
.LBB94_921:
	s_or_b32 exec_lo, exec_lo, s0
	s_delay_alu instid0(SALU_CYCLE_1)
	s_mov_b32 s0, exec_lo
	s_wait_storecnt_dscnt 0x0
	s_barrier_signal -1
	s_barrier_wait -1
	v_cmpx_lt_i32_e32 43, v110
	s_cbranch_execz .LBB94_923
; %bb.922:
	v_pk_mul_f32 v[104:105], v[102:103], v[8:9] op_sel:[1,1] op_sel_hi:[0,1]
	s_delay_alu instid0(VALU_DEP_1)
	v_pk_fma_f32 v[112:113], v[102:103], v[8:9], v[104:105] op_sel_hi:[1,0,1] neg_lo:[0,0,1] neg_hi:[0,0,1]
	v_pk_fma_f32 v[114:115], v[102:103], v[8:9], v[104:105] op_sel_hi:[1,0,1]
	ds_load_2addr_b64 v[102:105], v106 offset0:44 offset1:45
	v_dual_mov_b32 v8, v112 :: v_dual_mov_b32 v9, v115
	s_wait_dscnt 0x0
	v_pk_mul_f32 v[116:117], v[102:103], v[114:115] op_sel:[0,1]
	s_delay_alu instid0(VALU_DEP_1) | instskip(SKIP_1) | instid1(VALU_DEP_1)
	v_pk_fma_f32 v[118:119], v[102:103], v[112:113], v[116:117] op_sel:[0,0,1] op_sel_hi:[1,1,0] neg_lo:[0,0,1] neg_hi:[0,0,1]
	v_pk_fma_f32 v[102:103], v[102:103], v[112:113], v[116:117] op_sel:[0,0,1] op_sel_hi:[1,0,0]
	v_mov_b32_e32 v119, v103
	v_pk_mul_f32 v[102:103], v[104:105], v[114:115] op_sel:[0,1]
	s_delay_alu instid0(VALU_DEP_1) | instskip(SKIP_1) | instid1(VALU_DEP_1)
	v_pk_fma_f32 v[116:117], v[104:105], v[112:113], v[102:103] op_sel:[0,0,1] op_sel_hi:[1,1,0] neg_lo:[0,0,1] neg_hi:[0,0,1]
	v_pk_fma_f32 v[102:103], v[104:105], v[112:113], v[102:103] op_sel:[0,0,1] op_sel_hi:[1,0,0]
	v_mov_b32_e32 v117, v103
	ds_load_2addr_b64 v[102:105], v106 offset0:46 offset1:47
	v_pk_add_f32 v[28:29], v[28:29], v[118:119] neg_lo:[0,1] neg_hi:[0,1]
	v_pk_add_f32 v[18:19], v[18:19], v[116:117] neg_lo:[0,1] neg_hi:[0,1]
	s_wait_dscnt 0x0
	v_pk_mul_f32 v[116:117], v[102:103], v[114:115] op_sel:[0,1]
	s_delay_alu instid0(VALU_DEP_1) | instskip(SKIP_1) | instid1(VALU_DEP_1)
	v_pk_fma_f32 v[118:119], v[102:103], v[112:113], v[116:117] op_sel:[0,0,1] op_sel_hi:[1,1,0] neg_lo:[0,0,1] neg_hi:[0,0,1]
	v_pk_fma_f32 v[102:103], v[102:103], v[112:113], v[116:117] op_sel:[0,0,1] op_sel_hi:[1,0,0]
	v_dual_mov_b32 v102, v105 :: v_dual_mov_b32 v119, v103
	v_mov_b32_e32 v103, v104
	s_delay_alu instid0(VALU_DEP_2) | instskip(NEXT) | instid1(VALU_DEP_2)
	v_pk_add_f32 v[14:15], v[14:15], v[118:119] neg_lo:[0,1] neg_hi:[0,1]
	v_pk_mul_f32 v[102:103], v[102:103], v[114:115] op_sel:[0,1]
	s_delay_alu instid0(VALU_DEP_1) | instskip(SKIP_1) | instid1(VALU_DEP_1)
	v_pk_fma_f32 v[114:115], v[104:105], v[112:113], v[102:103] neg_lo:[0,0,1] neg_hi:[0,0,1]
	v_pk_fma_f32 v[102:103], v[104:105], v[112:113], v[102:103] op_sel_hi:[1,0,1]
	v_mov_b32_e32 v115, v103
	s_delay_alu instid0(VALU_DEP_1)
	v_pk_add_f32 v[100:101], v[100:101], v[114:115] neg_lo:[0,1] neg_hi:[0,1]
.LBB94_923:
	s_or_b32 exec_lo, exec_lo, s0
	v_lshl_add_u32 v102, v110, 3, v106
	s_barrier_signal -1
	s_barrier_wait -1
	ds_store_b64 v102, v[28:29]
	s_wait_dscnt 0x0
	s_barrier_signal -1
	s_barrier_wait -1
	ds_load_b64 v[102:103], v106 offset:352
	v_mov_b32_e32 v104, 44
	s_cmp_lt_i32 s18, 46
	s_cbranch_scc1 .LBB94_926
; %bb.924:
	v_add3_u32 v105, v107, 0, 0x168
	v_mov_b32_e32 v104, 44
	s_mov_b32 s0, 45
.LBB94_925:                             ; =>This Inner Loop Header: Depth=1
	ds_load_b64 v[112:113], v105
	s_wait_dscnt 0x1
	v_cmp_gt_f32_e32 vcc_lo, 0, v102
	v_cndmask_b32_e64 v114, v102, -v102, vcc_lo
	v_cmp_gt_f32_e32 vcc_lo, 0, v103
	v_cndmask_b32_e64 v116, v103, -v103, vcc_lo
	s_wait_dscnt 0x0
	v_cmp_gt_f32_e32 vcc_lo, 0, v112
	v_cndmask_b32_e64 v115, v112, -v112, vcc_lo
	v_cmp_gt_f32_e32 vcc_lo, 0, v113
	v_cndmask_b32_e64 v117, v113, -v113, vcc_lo
	s_delay_alu instid0(VALU_DEP_1) | instskip(NEXT) | instid1(VALU_DEP_1)
	v_pk_add_f32 v[114:115], v[114:115], v[116:117]
	v_cmp_lt_f32_e32 vcc_lo, v114, v115
	v_dual_cndmask_b32 v102, v102, v112 :: v_dual_add_nc_u32 v105, 8, v105
	v_cndmask_b32_e32 v103, v103, v113, vcc_lo
	v_cndmask_b32_e64 v104, v104, s0, vcc_lo
	s_add_co_i32 s0, s0, 1
	s_delay_alu instid0(SALU_CYCLE_1)
	s_cmp_lg_u32 s18, s0
	s_cbranch_scc1 .LBB94_925
.LBB94_926:
	s_wait_dscnt 0x0
	v_cmp_eq_f32_e32 vcc_lo, 0, v102
	v_cmp_eq_f32_e64 s0, 0, v103
	s_and_b32 s0, vcc_lo, s0
	s_delay_alu instid0(SALU_CYCLE_1) | instskip(NEXT) | instid1(SALU_CYCLE_1)
	s_and_saveexec_b32 s1, s0
	s_xor_b32 s0, exec_lo, s1
; %bb.927:
	v_cmp_ne_u32_e32 vcc_lo, 0, v108
	v_cndmask_b32_e32 v108, 45, v108, vcc_lo
; %bb.928:
	s_and_not1_saveexec_b32 s0, s0
	s_cbranch_execz .LBB94_934
; %bb.929:
	v_cmp_ngt_f32_e64 s1, |v102|, |v103|
	s_and_saveexec_b32 s12, s1
	s_delay_alu instid0(SALU_CYCLE_1)
	s_xor_b32 s1, exec_lo, s12
	s_cbranch_execz .LBB94_931
; %bb.930:
	v_div_scale_f32 v105, null, v103, v103, v102
	v_div_scale_f32 v113, vcc_lo, v102, v103, v102
	s_delay_alu instid0(VALU_DEP_2) | instskip(SKIP_1) | instid1(TRANS32_DEP_1)
	v_rcp_f32_e32 v111, v105
	v_nop
	v_fma_f32 v112, -v105, v111, 1.0
	s_delay_alu instid0(VALU_DEP_1) | instskip(NEXT) | instid1(VALU_DEP_1)
	v_fmac_f32_e32 v111, v112, v111
	v_mul_f32_e32 v112, v113, v111
	s_delay_alu instid0(VALU_DEP_1) | instskip(NEXT) | instid1(VALU_DEP_1)
	v_fma_f32 v114, -v105, v112, v113
	v_fmac_f32_e32 v112, v114, v111
	s_delay_alu instid0(VALU_DEP_1) | instskip(NEXT) | instid1(VALU_DEP_1)
	v_fma_f32 v105, -v105, v112, v113
	v_div_fmas_f32 v105, v105, v111, v112
	s_delay_alu instid0(VALU_DEP_1) | instskip(NEXT) | instid1(VALU_DEP_1)
	v_div_fixup_f32 v105, v105, v103, v102
	v_fmac_f32_e32 v103, v102, v105
	s_delay_alu instid0(VALU_DEP_1) | instskip(SKIP_1) | instid1(VALU_DEP_2)
	v_div_scale_f32 v102, null, v103, v103, 1.0
	v_div_scale_f32 v113, vcc_lo, 1.0, v103, 1.0
	v_rcp_f32_e32 v111, v102
	v_nop
	s_delay_alu instid0(TRANS32_DEP_1) | instskip(NEXT) | instid1(VALU_DEP_1)
	v_fma_f32 v112, -v102, v111, 1.0
	v_fmac_f32_e32 v111, v112, v111
	s_delay_alu instid0(VALU_DEP_1) | instskip(NEXT) | instid1(VALU_DEP_1)
	v_mul_f32_e32 v112, v113, v111
	v_fma_f32 v114, -v102, v112, v113
	s_delay_alu instid0(VALU_DEP_1) | instskip(NEXT) | instid1(VALU_DEP_1)
	v_fmac_f32_e32 v112, v114, v111
	v_fma_f32 v102, -v102, v112, v113
	s_delay_alu instid0(VALU_DEP_1) | instskip(NEXT) | instid1(VALU_DEP_1)
	v_div_fmas_f32 v102, v102, v111, v112
	v_div_fixup_f32 v103, v102, v103, 1.0
	s_delay_alu instid0(VALU_DEP_1)
	v_mul_f32_e32 v102, v105, v103
	v_xor_b32_e32 v103, 0x80000000, v103
.LBB94_931:
	s_and_not1_saveexec_b32 s1, s1
	s_cbranch_execz .LBB94_933
; %bb.932:
	s_delay_alu instid0(VALU_DEP_1) | instskip(SKIP_1) | instid1(VALU_DEP_2)
	v_div_scale_f32 v105, null, v102, v102, v103
	v_div_scale_f32 v113, vcc_lo, v103, v102, v103
	v_rcp_f32_e32 v111, v105
	v_nop
	s_delay_alu instid0(TRANS32_DEP_1) | instskip(NEXT) | instid1(VALU_DEP_1)
	v_fma_f32 v112, -v105, v111, 1.0
	v_fmac_f32_e32 v111, v112, v111
	s_delay_alu instid0(VALU_DEP_1) | instskip(NEXT) | instid1(VALU_DEP_1)
	v_mul_f32_e32 v112, v113, v111
	v_fma_f32 v114, -v105, v112, v113
	s_delay_alu instid0(VALU_DEP_1) | instskip(NEXT) | instid1(VALU_DEP_1)
	v_fmac_f32_e32 v112, v114, v111
	v_fma_f32 v105, -v105, v112, v113
	s_delay_alu instid0(VALU_DEP_1) | instskip(NEXT) | instid1(VALU_DEP_1)
	v_div_fmas_f32 v105, v105, v111, v112
	v_div_fixup_f32 v105, v105, v102, v103
	s_delay_alu instid0(VALU_DEP_1) | instskip(NEXT) | instid1(VALU_DEP_1)
	v_fmac_f32_e32 v102, v103, v105
	v_div_scale_f32 v103, null, v102, v102, 1.0
	s_delay_alu instid0(VALU_DEP_1) | instskip(SKIP_1) | instid1(TRANS32_DEP_1)
	v_rcp_f32_e32 v111, v103
	v_nop
	v_fma_f32 v112, -v103, v111, 1.0
	s_delay_alu instid0(VALU_DEP_1) | instskip(SKIP_1) | instid1(VALU_DEP_1)
	v_fmac_f32_e32 v111, v112, v111
	v_div_scale_f32 v112, vcc_lo, 1.0, v102, 1.0
	v_mul_f32_e32 v113, v112, v111
	s_delay_alu instid0(VALU_DEP_1) | instskip(NEXT) | instid1(VALU_DEP_1)
	v_fma_f32 v114, -v103, v113, v112
	v_fmac_f32_e32 v113, v114, v111
	s_delay_alu instid0(VALU_DEP_1) | instskip(NEXT) | instid1(VALU_DEP_1)
	v_fma_f32 v103, -v103, v113, v112
	v_div_fmas_f32 v103, v103, v111, v113
	s_delay_alu instid0(VALU_DEP_1) | instskip(NEXT) | instid1(VALU_DEP_1)
	v_div_fixup_f32 v102, v103, v102, 1.0
	v_mul_f32_e64 v103, v105, -v102
.LBB94_933:
	s_or_b32 exec_lo, exec_lo, s1
.LBB94_934:
	s_delay_alu instid0(SALU_CYCLE_1) | instskip(NEXT) | instid1(SALU_CYCLE_1)
	s_or_b32 exec_lo, exec_lo, s0
	s_mov_b32 s0, exec_lo
	v_cmpx_ne_u32_e64 v110, v104
	s_xor_b32 s0, exec_lo, s0
	s_cbranch_execz .LBB94_940
; %bb.935:
	s_mov_b32 s1, exec_lo
	v_cmpx_eq_u32_e32 44, v110
	s_cbranch_execz .LBB94_939
; %bb.936:
	v_cmp_ne_u32_e32 vcc_lo, 44, v104
	s_xor_b32 s12, s16, -1
	s_delay_alu instid0(SALU_CYCLE_1) | instskip(NEXT) | instid1(SALU_CYCLE_1)
	s_and_b32 s13, s12, vcc_lo
	s_and_saveexec_b32 s12, s13
	s_cbranch_execz .LBB94_938
; %bb.937:
	v_ashrrev_i32_e32 v105, 31, v104
	s_delay_alu instid0(VALU_DEP_1)
	v_lshl_add_u64 v[110:111], v[104:105], 2, v[4:5]
	s_clause 0x1
	global_load_b32 v105, v[110:111], off
	global_load_b32 v109, v[4:5], off offset:176
	s_wait_loadcnt 0x1
	global_store_b32 v[4:5], v105, off offset:176
	s_wait_loadcnt 0x0
	global_store_b32 v[110:111], v109, off
.LBB94_938:
	s_wait_xcnt 0x0
	s_or_b32 exec_lo, exec_lo, s12
	v_dual_mov_b32 v110, v104 :: v_dual_mov_b32 v109, v104
.LBB94_939:
	s_or_b32 exec_lo, exec_lo, s1
.LBB94_940:
	s_and_not1_saveexec_b32 s0, s0
	s_cbranch_execz .LBB94_942
; %bb.941:
	v_mov_b32_e32 v110, 44
	ds_store_2addr_b64 v106, v[18:19], v[14:15] offset0:45 offset1:46
	ds_store_b64 v106, v[100:101] offset:376
.LBB94_942:
	s_or_b32 exec_lo, exec_lo, s0
	s_delay_alu instid0(SALU_CYCLE_1)
	s_mov_b32 s0, exec_lo
	s_wait_storecnt_dscnt 0x0
	s_barrier_signal -1
	s_barrier_wait -1
	v_cmpx_lt_i32_e32 44, v110
	s_cbranch_execz .LBB94_944
; %bb.943:
	ds_load_2addr_b64 v[112:115], v106 offset0:45 offset1:46
	ds_load_b64 v[104:105], v106 offset:376
	v_pk_mul_f32 v[116:117], v[102:103], v[28:29] op_sel:[1,1] op_sel_hi:[0,1]
	s_delay_alu instid0(VALU_DEP_1) | instskip(SKIP_2) | instid1(VALU_DEP_2)
	v_pk_fma_f32 v[118:119], v[102:103], v[28:29], v[116:117] op_sel_hi:[1,0,1]
	v_pk_fma_f32 v[28:29], v[102:103], v[28:29], v[116:117] op_sel_hi:[1,0,1] neg_lo:[0,0,1] neg_hi:[0,0,1]
	s_wait_dscnt 0x1
	v_pk_mul_f32 v[102:103], v[112:113], v[118:119] op_sel:[0,1]
	v_pk_mul_f32 v[116:117], v[114:115], v[118:119] op_sel:[0,1]
	s_wait_dscnt 0x0
	v_pk_mul_f32 v[120:121], v[104:105], v[118:119] op_sel:[1,1] op_sel_hi:[0,1]
	s_delay_alu instid0(VALU_DEP_3) | instskip(SKIP_2) | instid1(VALU_DEP_4)
	v_pk_fma_f32 v[122:123], v[112:113], v[28:29], v[102:103] op_sel:[0,0,1] op_sel_hi:[1,1,0] neg_lo:[0,0,1] neg_hi:[0,0,1]
	v_pk_fma_f32 v[102:103], v[112:113], v[28:29], v[102:103] op_sel:[0,0,1] op_sel_hi:[1,0,0]
	v_pk_fma_f32 v[112:113], v[114:115], v[28:29], v[116:117] op_sel:[0,0,1] op_sel_hi:[1,0,0]
	v_pk_fma_f32 v[124:125], v[104:105], v[28:29], v[120:121] op_sel_hi:[1,0,1]
	v_pk_fma_f32 v[114:115], v[114:115], v[28:29], v[116:117] op_sel:[0,0,1] op_sel_hi:[1,1,0] neg_lo:[0,0,1] neg_hi:[0,0,1]
	v_pk_fma_f32 v[104:105], v[104:105], v[28:29], v[120:121] neg_lo:[0,0,1] neg_hi:[0,0,1]
	s_delay_alu instid0(VALU_DEP_4) | instskip(NEXT) | instid1(VALU_DEP_4)
	v_dual_mov_b32 v123, v103 :: v_dual_mov_b32 v115, v113
	v_dual_mov_b32 v105, v125 :: v_dual_mov_b32 v29, v119
	s_delay_alu instid0(VALU_DEP_2) | instskip(NEXT) | instid1(VALU_DEP_3)
	v_pk_add_f32 v[18:19], v[18:19], v[122:123] neg_lo:[0,1] neg_hi:[0,1]
	v_pk_add_f32 v[14:15], v[14:15], v[114:115] neg_lo:[0,1] neg_hi:[0,1]
	s_delay_alu instid0(VALU_DEP_3)
	v_pk_add_f32 v[100:101], v[100:101], v[104:105] neg_lo:[0,1] neg_hi:[0,1]
.LBB94_944:
	s_or_b32 exec_lo, exec_lo, s0
	v_lshl_add_u32 v102, v110, 3, v106
	s_barrier_signal -1
	s_barrier_wait -1
	ds_store_b64 v102, v[18:19]
	s_wait_dscnt 0x0
	s_barrier_signal -1
	s_barrier_wait -1
	ds_load_b64 v[102:103], v106 offset:360
	v_mov_b32_e32 v104, 45
	s_cmp_lt_i32 s18, 47
	s_cbranch_scc1 .LBB94_947
; %bb.945:
	v_add3_u32 v105, v107, 0, 0x170
	v_mov_b32_e32 v104, 45
	s_mov_b32 s0, 46
.LBB94_946:                             ; =>This Inner Loop Header: Depth=1
	ds_load_b64 v[112:113], v105
	s_wait_dscnt 0x1
	v_cmp_gt_f32_e32 vcc_lo, 0, v102
	v_cndmask_b32_e64 v114, v102, -v102, vcc_lo
	v_cmp_gt_f32_e32 vcc_lo, 0, v103
	v_cndmask_b32_e64 v116, v103, -v103, vcc_lo
	s_wait_dscnt 0x0
	v_cmp_gt_f32_e32 vcc_lo, 0, v112
	v_cndmask_b32_e64 v115, v112, -v112, vcc_lo
	v_cmp_gt_f32_e32 vcc_lo, 0, v113
	v_cndmask_b32_e64 v117, v113, -v113, vcc_lo
	s_delay_alu instid0(VALU_DEP_1) | instskip(NEXT) | instid1(VALU_DEP_1)
	v_pk_add_f32 v[114:115], v[114:115], v[116:117]
	v_cmp_lt_f32_e32 vcc_lo, v114, v115
	v_dual_cndmask_b32 v102, v102, v112 :: v_dual_add_nc_u32 v105, 8, v105
	v_cndmask_b32_e32 v103, v103, v113, vcc_lo
	v_cndmask_b32_e64 v104, v104, s0, vcc_lo
	s_add_co_i32 s0, s0, 1
	s_delay_alu instid0(SALU_CYCLE_1)
	s_cmp_lg_u32 s18, s0
	s_cbranch_scc1 .LBB94_946
.LBB94_947:
	s_wait_dscnt 0x0
	v_cmp_eq_f32_e32 vcc_lo, 0, v102
	v_cmp_eq_f32_e64 s0, 0, v103
	s_and_b32 s0, vcc_lo, s0
	s_delay_alu instid0(SALU_CYCLE_1) | instskip(NEXT) | instid1(SALU_CYCLE_1)
	s_and_saveexec_b32 s1, s0
	s_xor_b32 s0, exec_lo, s1
; %bb.948:
	v_cmp_ne_u32_e32 vcc_lo, 0, v108
	v_cndmask_b32_e32 v108, 46, v108, vcc_lo
; %bb.949:
	s_and_not1_saveexec_b32 s0, s0
	s_cbranch_execz .LBB94_955
; %bb.950:
	v_cmp_ngt_f32_e64 s1, |v102|, |v103|
	s_and_saveexec_b32 s12, s1
	s_delay_alu instid0(SALU_CYCLE_1)
	s_xor_b32 s1, exec_lo, s12
	s_cbranch_execz .LBB94_952
; %bb.951:
	v_div_scale_f32 v105, null, v103, v103, v102
	v_div_scale_f32 v113, vcc_lo, v102, v103, v102
	s_delay_alu instid0(VALU_DEP_2) | instskip(SKIP_1) | instid1(TRANS32_DEP_1)
	v_rcp_f32_e32 v111, v105
	v_nop
	v_fma_f32 v112, -v105, v111, 1.0
	s_delay_alu instid0(VALU_DEP_1) | instskip(NEXT) | instid1(VALU_DEP_1)
	v_fmac_f32_e32 v111, v112, v111
	v_mul_f32_e32 v112, v113, v111
	s_delay_alu instid0(VALU_DEP_1) | instskip(NEXT) | instid1(VALU_DEP_1)
	v_fma_f32 v114, -v105, v112, v113
	v_fmac_f32_e32 v112, v114, v111
	s_delay_alu instid0(VALU_DEP_1) | instskip(NEXT) | instid1(VALU_DEP_1)
	v_fma_f32 v105, -v105, v112, v113
	v_div_fmas_f32 v105, v105, v111, v112
	s_delay_alu instid0(VALU_DEP_1) | instskip(NEXT) | instid1(VALU_DEP_1)
	v_div_fixup_f32 v105, v105, v103, v102
	v_fmac_f32_e32 v103, v102, v105
	s_delay_alu instid0(VALU_DEP_1) | instskip(SKIP_1) | instid1(VALU_DEP_2)
	v_div_scale_f32 v102, null, v103, v103, 1.0
	v_div_scale_f32 v113, vcc_lo, 1.0, v103, 1.0
	v_rcp_f32_e32 v111, v102
	v_nop
	s_delay_alu instid0(TRANS32_DEP_1) | instskip(NEXT) | instid1(VALU_DEP_1)
	v_fma_f32 v112, -v102, v111, 1.0
	v_fmac_f32_e32 v111, v112, v111
	s_delay_alu instid0(VALU_DEP_1) | instskip(NEXT) | instid1(VALU_DEP_1)
	v_mul_f32_e32 v112, v113, v111
	v_fma_f32 v114, -v102, v112, v113
	s_delay_alu instid0(VALU_DEP_1) | instskip(NEXT) | instid1(VALU_DEP_1)
	v_fmac_f32_e32 v112, v114, v111
	v_fma_f32 v102, -v102, v112, v113
	s_delay_alu instid0(VALU_DEP_1) | instskip(NEXT) | instid1(VALU_DEP_1)
	v_div_fmas_f32 v102, v102, v111, v112
	v_div_fixup_f32 v103, v102, v103, 1.0
	s_delay_alu instid0(VALU_DEP_1)
	v_mul_f32_e32 v102, v105, v103
	v_xor_b32_e32 v103, 0x80000000, v103
.LBB94_952:
	s_and_not1_saveexec_b32 s1, s1
	s_cbranch_execz .LBB94_954
; %bb.953:
	s_delay_alu instid0(VALU_DEP_1) | instskip(SKIP_1) | instid1(VALU_DEP_2)
	v_div_scale_f32 v105, null, v102, v102, v103
	v_div_scale_f32 v113, vcc_lo, v103, v102, v103
	v_rcp_f32_e32 v111, v105
	v_nop
	s_delay_alu instid0(TRANS32_DEP_1) | instskip(NEXT) | instid1(VALU_DEP_1)
	v_fma_f32 v112, -v105, v111, 1.0
	v_fmac_f32_e32 v111, v112, v111
	s_delay_alu instid0(VALU_DEP_1) | instskip(NEXT) | instid1(VALU_DEP_1)
	v_mul_f32_e32 v112, v113, v111
	v_fma_f32 v114, -v105, v112, v113
	s_delay_alu instid0(VALU_DEP_1) | instskip(NEXT) | instid1(VALU_DEP_1)
	v_fmac_f32_e32 v112, v114, v111
	v_fma_f32 v105, -v105, v112, v113
	s_delay_alu instid0(VALU_DEP_1) | instskip(NEXT) | instid1(VALU_DEP_1)
	v_div_fmas_f32 v105, v105, v111, v112
	v_div_fixup_f32 v105, v105, v102, v103
	s_delay_alu instid0(VALU_DEP_1) | instskip(NEXT) | instid1(VALU_DEP_1)
	v_fmac_f32_e32 v102, v103, v105
	v_div_scale_f32 v103, null, v102, v102, 1.0
	s_delay_alu instid0(VALU_DEP_1) | instskip(SKIP_1) | instid1(TRANS32_DEP_1)
	v_rcp_f32_e32 v111, v103
	v_nop
	v_fma_f32 v112, -v103, v111, 1.0
	s_delay_alu instid0(VALU_DEP_1) | instskip(SKIP_1) | instid1(VALU_DEP_1)
	v_fmac_f32_e32 v111, v112, v111
	v_div_scale_f32 v112, vcc_lo, 1.0, v102, 1.0
	v_mul_f32_e32 v113, v112, v111
	s_delay_alu instid0(VALU_DEP_1) | instskip(NEXT) | instid1(VALU_DEP_1)
	v_fma_f32 v114, -v103, v113, v112
	v_fmac_f32_e32 v113, v114, v111
	s_delay_alu instid0(VALU_DEP_1) | instskip(NEXT) | instid1(VALU_DEP_1)
	v_fma_f32 v103, -v103, v113, v112
	v_div_fmas_f32 v103, v103, v111, v113
	s_delay_alu instid0(VALU_DEP_1) | instskip(NEXT) | instid1(VALU_DEP_1)
	v_div_fixup_f32 v102, v103, v102, 1.0
	v_mul_f32_e64 v103, v105, -v102
.LBB94_954:
	s_or_b32 exec_lo, exec_lo, s1
.LBB94_955:
	s_delay_alu instid0(SALU_CYCLE_1) | instskip(NEXT) | instid1(SALU_CYCLE_1)
	s_or_b32 exec_lo, exec_lo, s0
	s_mov_b32 s0, exec_lo
	v_cmpx_ne_u32_e64 v110, v104
	s_xor_b32 s0, exec_lo, s0
	s_cbranch_execz .LBB94_961
; %bb.956:
	s_mov_b32 s1, exec_lo
	v_cmpx_eq_u32_e32 45, v110
	s_cbranch_execz .LBB94_960
; %bb.957:
	v_cmp_ne_u32_e32 vcc_lo, 45, v104
	s_xor_b32 s12, s16, -1
	s_delay_alu instid0(SALU_CYCLE_1) | instskip(NEXT) | instid1(SALU_CYCLE_1)
	s_and_b32 s13, s12, vcc_lo
	s_and_saveexec_b32 s12, s13
	s_cbranch_execz .LBB94_959
; %bb.958:
	v_ashrrev_i32_e32 v105, 31, v104
	s_delay_alu instid0(VALU_DEP_1)
	v_lshl_add_u64 v[110:111], v[104:105], 2, v[4:5]
	s_clause 0x1
	global_load_b32 v105, v[110:111], off
	global_load_b32 v109, v[4:5], off offset:180
	s_wait_loadcnt 0x1
	global_store_b32 v[4:5], v105, off offset:180
	s_wait_loadcnt 0x0
	global_store_b32 v[110:111], v109, off
.LBB94_959:
	s_wait_xcnt 0x0
	s_or_b32 exec_lo, exec_lo, s12
	v_dual_mov_b32 v110, v104 :: v_dual_mov_b32 v109, v104
.LBB94_960:
	s_or_b32 exec_lo, exec_lo, s1
.LBB94_961:
	s_and_not1_saveexec_b32 s0, s0
; %bb.962:
	v_dual_mov_b32 v104, v14 :: v_dual_mov_b32 v105, v15
	v_mov_b32_e32 v110, 45
	ds_store_2addr_b64 v106, v[104:105], v[100:101] offset0:46 offset1:47
; %bb.963:
	s_or_b32 exec_lo, exec_lo, s0
	s_delay_alu instid0(SALU_CYCLE_1)
	s_mov_b32 s0, exec_lo
	s_wait_storecnt_dscnt 0x0
	s_barrier_signal -1
	s_barrier_wait -1
	v_cmpx_lt_i32_e32 45, v110
	s_cbranch_execz .LBB94_965
; %bb.964:
	ds_load_2addr_b64 v[112:115], v106 offset0:46 offset1:47
	v_pk_mul_f32 v[104:105], v[102:103], v[18:19] op_sel:[1,1] op_sel_hi:[0,1]
	s_delay_alu instid0(VALU_DEP_1) | instskip(SKIP_3) | instid1(VALU_DEP_3)
	v_pk_fma_f32 v[116:117], v[102:103], v[18:19], v[104:105] op_sel_hi:[1,0,1]
	v_pk_fma_f32 v[18:19], v[102:103], v[18:19], v[104:105] op_sel_hi:[1,0,1] neg_lo:[0,0,1] neg_hi:[0,0,1]
	s_wait_dscnt 0x0
	v_dual_mov_b32 v118, v115 :: v_dual_mov_b32 v119, v114
	v_pk_mul_f32 v[102:103], v[112:113], v[116:117] op_sel:[0,1]
	s_delay_alu instid0(VALU_DEP_2) | instskip(NEXT) | instid1(VALU_DEP_2)
	v_pk_mul_f32 v[104:105], v[118:119], v[116:117] op_sel:[0,1]
	v_pk_fma_f32 v[118:119], v[112:113], v[18:19], v[102:103] op_sel:[0,0,1] op_sel_hi:[1,0,0]
	v_pk_fma_f32 v[102:103], v[112:113], v[18:19], v[102:103] op_sel:[0,0,1] op_sel_hi:[1,1,0] neg_lo:[0,0,1] neg_hi:[0,0,1]
	s_delay_alu instid0(VALU_DEP_3) | instskip(SKIP_1) | instid1(VALU_DEP_4)
	v_pk_fma_f32 v[120:121], v[114:115], v[18:19], v[104:105] op_sel_hi:[1,0,1]
	v_pk_fma_f32 v[104:105], v[114:115], v[18:19], v[104:105] neg_lo:[0,0,1] neg_hi:[0,0,1]
	v_dual_mov_b32 v103, v119 :: v_dual_mov_b32 v19, v117
	s_delay_alu instid0(VALU_DEP_3) | instskip(NEXT) | instid1(VALU_DEP_2)
	v_mov_b32_e32 v105, v121
	v_pk_add_f32 v[14:15], v[14:15], v[102:103] neg_lo:[0,1] neg_hi:[0,1]
	s_delay_alu instid0(VALU_DEP_2)
	v_pk_add_f32 v[100:101], v[100:101], v[104:105] neg_lo:[0,1] neg_hi:[0,1]
.LBB94_965:
	s_or_b32 exec_lo, exec_lo, s0
	v_lshl_add_u32 v102, v110, 3, v106
	s_barrier_signal -1
	s_barrier_wait -1
	ds_store_b64 v102, v[14:15]
	s_wait_dscnt 0x0
	s_barrier_signal -1
	s_barrier_wait -1
	ds_load_b64 v[102:103], v106 offset:368
	v_mov_b32_e32 v104, 46
	s_cmp_lt_i32 s18, 48
	s_cbranch_scc1 .LBB94_968
; %bb.966:
	v_add3_u32 v105, v107, 0, 0x178
	v_mov_b32_e32 v104, 46
	s_mov_b32 s0, 47
.LBB94_967:                             ; =>This Inner Loop Header: Depth=1
	ds_load_b64 v[112:113], v105
	s_wait_dscnt 0x1
	v_cmp_gt_f32_e32 vcc_lo, 0, v102
	v_cndmask_b32_e64 v114, v102, -v102, vcc_lo
	v_cmp_gt_f32_e32 vcc_lo, 0, v103
	v_cndmask_b32_e64 v116, v103, -v103, vcc_lo
	s_wait_dscnt 0x0
	v_cmp_gt_f32_e32 vcc_lo, 0, v112
	v_cndmask_b32_e64 v115, v112, -v112, vcc_lo
	v_cmp_gt_f32_e32 vcc_lo, 0, v113
	v_cndmask_b32_e64 v117, v113, -v113, vcc_lo
	s_delay_alu instid0(VALU_DEP_1) | instskip(NEXT) | instid1(VALU_DEP_1)
	v_pk_add_f32 v[114:115], v[114:115], v[116:117]
	v_cmp_lt_f32_e32 vcc_lo, v114, v115
	v_dual_cndmask_b32 v102, v102, v112 :: v_dual_add_nc_u32 v105, 8, v105
	v_cndmask_b32_e32 v103, v103, v113, vcc_lo
	v_cndmask_b32_e64 v104, v104, s0, vcc_lo
	s_add_co_i32 s0, s0, 1
	s_delay_alu instid0(SALU_CYCLE_1)
	s_cmp_lg_u32 s18, s0
	s_cbranch_scc1 .LBB94_967
.LBB94_968:
	s_wait_dscnt 0x0
	v_cmp_eq_f32_e32 vcc_lo, 0, v102
	v_cmp_eq_f32_e64 s0, 0, v103
	s_and_b32 s0, vcc_lo, s0
	s_delay_alu instid0(SALU_CYCLE_1) | instskip(NEXT) | instid1(SALU_CYCLE_1)
	s_and_saveexec_b32 s1, s0
	s_xor_b32 s0, exec_lo, s1
; %bb.969:
	v_cmp_ne_u32_e32 vcc_lo, 0, v108
	v_cndmask_b32_e32 v108, 47, v108, vcc_lo
; %bb.970:
	s_and_not1_saveexec_b32 s0, s0
	s_cbranch_execz .LBB94_976
; %bb.971:
	v_cmp_ngt_f32_e64 s1, |v102|, |v103|
	s_and_saveexec_b32 s12, s1
	s_delay_alu instid0(SALU_CYCLE_1)
	s_xor_b32 s1, exec_lo, s12
	s_cbranch_execz .LBB94_973
; %bb.972:
	v_div_scale_f32 v105, null, v103, v103, v102
	v_div_scale_f32 v113, vcc_lo, v102, v103, v102
	s_delay_alu instid0(VALU_DEP_2) | instskip(SKIP_1) | instid1(TRANS32_DEP_1)
	v_rcp_f32_e32 v111, v105
	v_nop
	v_fma_f32 v112, -v105, v111, 1.0
	s_delay_alu instid0(VALU_DEP_1) | instskip(NEXT) | instid1(VALU_DEP_1)
	v_fmac_f32_e32 v111, v112, v111
	v_mul_f32_e32 v112, v113, v111
	s_delay_alu instid0(VALU_DEP_1) | instskip(NEXT) | instid1(VALU_DEP_1)
	v_fma_f32 v114, -v105, v112, v113
	v_fmac_f32_e32 v112, v114, v111
	s_delay_alu instid0(VALU_DEP_1) | instskip(NEXT) | instid1(VALU_DEP_1)
	v_fma_f32 v105, -v105, v112, v113
	v_div_fmas_f32 v105, v105, v111, v112
	s_delay_alu instid0(VALU_DEP_1) | instskip(NEXT) | instid1(VALU_DEP_1)
	v_div_fixup_f32 v105, v105, v103, v102
	v_fmac_f32_e32 v103, v102, v105
	s_delay_alu instid0(VALU_DEP_1) | instskip(SKIP_1) | instid1(VALU_DEP_2)
	v_div_scale_f32 v102, null, v103, v103, 1.0
	v_div_scale_f32 v113, vcc_lo, 1.0, v103, 1.0
	v_rcp_f32_e32 v111, v102
	v_nop
	s_delay_alu instid0(TRANS32_DEP_1) | instskip(NEXT) | instid1(VALU_DEP_1)
	v_fma_f32 v112, -v102, v111, 1.0
	v_fmac_f32_e32 v111, v112, v111
	s_delay_alu instid0(VALU_DEP_1) | instskip(NEXT) | instid1(VALU_DEP_1)
	v_mul_f32_e32 v112, v113, v111
	v_fma_f32 v114, -v102, v112, v113
	s_delay_alu instid0(VALU_DEP_1) | instskip(NEXT) | instid1(VALU_DEP_1)
	v_fmac_f32_e32 v112, v114, v111
	v_fma_f32 v102, -v102, v112, v113
	s_delay_alu instid0(VALU_DEP_1) | instskip(NEXT) | instid1(VALU_DEP_1)
	v_div_fmas_f32 v102, v102, v111, v112
	v_div_fixup_f32 v103, v102, v103, 1.0
	s_delay_alu instid0(VALU_DEP_1)
	v_mul_f32_e32 v102, v105, v103
	v_xor_b32_e32 v103, 0x80000000, v103
.LBB94_973:
	s_and_not1_saveexec_b32 s1, s1
	s_cbranch_execz .LBB94_975
; %bb.974:
	s_delay_alu instid0(VALU_DEP_1) | instskip(SKIP_1) | instid1(VALU_DEP_2)
	v_div_scale_f32 v105, null, v102, v102, v103
	v_div_scale_f32 v113, vcc_lo, v103, v102, v103
	v_rcp_f32_e32 v111, v105
	v_nop
	s_delay_alu instid0(TRANS32_DEP_1) | instskip(NEXT) | instid1(VALU_DEP_1)
	v_fma_f32 v112, -v105, v111, 1.0
	v_fmac_f32_e32 v111, v112, v111
	s_delay_alu instid0(VALU_DEP_1) | instskip(NEXT) | instid1(VALU_DEP_1)
	v_mul_f32_e32 v112, v113, v111
	v_fma_f32 v114, -v105, v112, v113
	s_delay_alu instid0(VALU_DEP_1) | instskip(NEXT) | instid1(VALU_DEP_1)
	v_fmac_f32_e32 v112, v114, v111
	v_fma_f32 v105, -v105, v112, v113
	s_delay_alu instid0(VALU_DEP_1) | instskip(NEXT) | instid1(VALU_DEP_1)
	v_div_fmas_f32 v105, v105, v111, v112
	v_div_fixup_f32 v105, v105, v102, v103
	s_delay_alu instid0(VALU_DEP_1) | instskip(NEXT) | instid1(VALU_DEP_1)
	v_fmac_f32_e32 v102, v103, v105
	v_div_scale_f32 v103, null, v102, v102, 1.0
	s_delay_alu instid0(VALU_DEP_1) | instskip(SKIP_1) | instid1(TRANS32_DEP_1)
	v_rcp_f32_e32 v111, v103
	v_nop
	v_fma_f32 v112, -v103, v111, 1.0
	s_delay_alu instid0(VALU_DEP_1) | instskip(SKIP_1) | instid1(VALU_DEP_1)
	v_fmac_f32_e32 v111, v112, v111
	v_div_scale_f32 v112, vcc_lo, 1.0, v102, 1.0
	v_mul_f32_e32 v113, v112, v111
	s_delay_alu instid0(VALU_DEP_1) | instskip(NEXT) | instid1(VALU_DEP_1)
	v_fma_f32 v114, -v103, v113, v112
	v_fmac_f32_e32 v113, v114, v111
	s_delay_alu instid0(VALU_DEP_1) | instskip(NEXT) | instid1(VALU_DEP_1)
	v_fma_f32 v103, -v103, v113, v112
	v_div_fmas_f32 v103, v103, v111, v113
	s_delay_alu instid0(VALU_DEP_1) | instskip(NEXT) | instid1(VALU_DEP_1)
	v_div_fixup_f32 v102, v103, v102, 1.0
	v_mul_f32_e64 v103, v105, -v102
.LBB94_975:
	s_or_b32 exec_lo, exec_lo, s1
.LBB94_976:
	s_delay_alu instid0(SALU_CYCLE_1) | instskip(NEXT) | instid1(SALU_CYCLE_1)
	s_or_b32 exec_lo, exec_lo, s0
	s_mov_b32 s0, exec_lo
	v_cmpx_ne_u32_e64 v110, v104
	s_xor_b32 s0, exec_lo, s0
	s_cbranch_execz .LBB94_982
; %bb.977:
	s_mov_b32 s1, exec_lo
	v_cmpx_eq_u32_e32 46, v110
	s_cbranch_execz .LBB94_981
; %bb.978:
	v_cmp_ne_u32_e32 vcc_lo, 46, v104
	s_xor_b32 s12, s16, -1
	s_delay_alu instid0(SALU_CYCLE_1) | instskip(NEXT) | instid1(SALU_CYCLE_1)
	s_and_b32 s13, s12, vcc_lo
	s_and_saveexec_b32 s12, s13
	s_cbranch_execz .LBB94_980
; %bb.979:
	v_ashrrev_i32_e32 v105, 31, v104
	s_delay_alu instid0(VALU_DEP_1)
	v_lshl_add_u64 v[110:111], v[104:105], 2, v[4:5]
	s_clause 0x1
	global_load_b32 v105, v[110:111], off
	global_load_b32 v109, v[4:5], off offset:184
	s_wait_loadcnt 0x1
	global_store_b32 v[4:5], v105, off offset:184
	s_wait_loadcnt 0x0
	global_store_b32 v[110:111], v109, off
.LBB94_980:
	s_wait_xcnt 0x0
	s_or_b32 exec_lo, exec_lo, s12
	v_dual_mov_b32 v110, v104 :: v_dual_mov_b32 v109, v104
.LBB94_981:
	s_or_b32 exec_lo, exec_lo, s1
.LBB94_982:
	s_and_not1_saveexec_b32 s0, s0
; %bb.983:
	v_mov_b32_e32 v110, 46
	ds_store_b64 v106, v[100:101] offset:376
; %bb.984:
	s_or_b32 exec_lo, exec_lo, s0
	s_delay_alu instid0(SALU_CYCLE_1)
	s_mov_b32 s0, exec_lo
	s_wait_storecnt_dscnt 0x0
	s_barrier_signal -1
	s_barrier_wait -1
	v_cmpx_lt_i32_e32 46, v110
	s_cbranch_execz .LBB94_986
; %bb.985:
	ds_load_b64 v[104:105], v106 offset:376
	v_pk_mul_f32 v[112:113], v[102:103], v[14:15] op_sel:[1,1] op_sel_hi:[0,1]
	s_delay_alu instid0(VALU_DEP_1) | instskip(SKIP_2) | instid1(VALU_DEP_2)
	v_pk_fma_f32 v[114:115], v[102:103], v[14:15], v[112:113] op_sel_hi:[1,0,1]
	v_pk_fma_f32 v[14:15], v[102:103], v[14:15], v[112:113] op_sel_hi:[1,0,1] neg_lo:[0,0,1] neg_hi:[0,0,1]
	s_wait_dscnt 0x0
	v_pk_mul_f32 v[102:103], v[104:105], v[114:115] op_sel:[1,1] op_sel_hi:[0,1]
	s_delay_alu instid0(VALU_DEP_1) | instskip(SKIP_1) | instid1(VALU_DEP_2)
	v_pk_fma_f32 v[112:113], v[104:105], v[14:15], v[102:103] op_sel_hi:[1,0,1]
	v_pk_fma_f32 v[102:103], v[104:105], v[14:15], v[102:103] neg_lo:[0,0,1] neg_hi:[0,0,1]
	v_dual_mov_b32 v15, v115 :: v_dual_mov_b32 v103, v113
	s_delay_alu instid0(VALU_DEP_1)
	v_pk_add_f32 v[100:101], v[100:101], v[102:103] neg_lo:[0,1] neg_hi:[0,1]
.LBB94_986:
	s_or_b32 exec_lo, exec_lo, s0
	v_lshl_add_u32 v102, v110, 3, v106
	s_barrier_signal -1
	s_barrier_wait -1
	ds_store_b64 v102, v[100:101]
	s_wait_dscnt 0x0
	s_barrier_signal -1
	s_barrier_wait -1
	ds_load_b64 v[102:103], v106 offset:376
	v_mov_b32_e32 v104, 47
	s_cmp_lt_i32 s18, 49
	s_cbranch_scc1 .LBB94_989
; %bb.987:
	v_add3_u32 v105, v107, 0, 0x180
	v_mov_b32_e32 v104, 47
	s_mov_b32 s0, 48
.LBB94_988:                             ; =>This Inner Loop Header: Depth=1
	ds_load_b64 v[106:107], v105
	s_wait_dscnt 0x1
	v_cmp_gt_f32_e32 vcc_lo, 0, v102
	v_cndmask_b32_e64 v112, v102, -v102, vcc_lo
	v_cmp_gt_f32_e32 vcc_lo, 0, v103
	v_cndmask_b32_e64 v114, v103, -v103, vcc_lo
	s_wait_dscnt 0x0
	v_cmp_gt_f32_e32 vcc_lo, 0, v106
	v_cndmask_b32_e64 v113, v106, -v106, vcc_lo
	v_cmp_gt_f32_e32 vcc_lo, 0, v107
	v_cndmask_b32_e64 v115, v107, -v107, vcc_lo
	s_delay_alu instid0(VALU_DEP_1) | instskip(NEXT) | instid1(VALU_DEP_1)
	v_pk_add_f32 v[112:113], v[112:113], v[114:115]
	v_cmp_lt_f32_e32 vcc_lo, v112, v113
	v_dual_add_nc_u32 v105, 8, v105 :: v_dual_cndmask_b32 v103, v103, v107, vcc_lo
	v_cndmask_b32_e32 v102, v102, v106, vcc_lo
	v_cndmask_b32_e64 v104, v104, s0, vcc_lo
	s_add_co_i32 s0, s0, 1
	s_delay_alu instid0(SALU_CYCLE_1)
	s_cmp_lg_u32 s18, s0
	s_cbranch_scc1 .LBB94_988
.LBB94_989:
	s_wait_dscnt 0x0
	v_cmp_eq_f32_e32 vcc_lo, 0, v102
	v_cmp_eq_f32_e64 s0, 0, v103
	s_and_b32 s0, vcc_lo, s0
	s_delay_alu instid0(SALU_CYCLE_1) | instskip(NEXT) | instid1(SALU_CYCLE_1)
	s_and_saveexec_b32 s1, s0
	s_xor_b32 s0, exec_lo, s1
; %bb.990:
	v_cmp_ne_u32_e32 vcc_lo, 0, v108
	v_cndmask_b32_e32 v108, 48, v108, vcc_lo
; %bb.991:
	s_and_not1_saveexec_b32 s0, s0
	s_cbranch_execz .LBB94_997
; %bb.992:
	v_cmp_ngt_f32_e64 s1, |v102|, |v103|
	s_and_saveexec_b32 s12, s1
	s_delay_alu instid0(SALU_CYCLE_1)
	s_xor_b32 s1, exec_lo, s12
	s_cbranch_execz .LBB94_994
; %bb.993:
	v_div_scale_f32 v105, null, v103, v103, v102
	v_div_scale_f32 v111, vcc_lo, v102, v103, v102
	s_delay_alu instid0(VALU_DEP_2) | instskip(SKIP_1) | instid1(TRANS32_DEP_1)
	v_rcp_f32_e32 v106, v105
	v_nop
	v_fma_f32 v107, -v105, v106, 1.0
	s_delay_alu instid0(VALU_DEP_1) | instskip(NEXT) | instid1(VALU_DEP_1)
	v_fmac_f32_e32 v106, v107, v106
	v_mul_f32_e32 v107, v111, v106
	s_delay_alu instid0(VALU_DEP_1) | instskip(NEXT) | instid1(VALU_DEP_1)
	v_fma_f32 v112, -v105, v107, v111
	v_fmac_f32_e32 v107, v112, v106
	s_delay_alu instid0(VALU_DEP_1) | instskip(NEXT) | instid1(VALU_DEP_1)
	v_fma_f32 v105, -v105, v107, v111
	v_div_fmas_f32 v105, v105, v106, v107
	s_delay_alu instid0(VALU_DEP_1) | instskip(NEXT) | instid1(VALU_DEP_1)
	v_div_fixup_f32 v105, v105, v103, v102
	v_fmac_f32_e32 v103, v102, v105
	s_delay_alu instid0(VALU_DEP_1) | instskip(SKIP_1) | instid1(VALU_DEP_2)
	v_div_scale_f32 v102, null, v103, v103, 1.0
	v_div_scale_f32 v111, vcc_lo, 1.0, v103, 1.0
	v_rcp_f32_e32 v106, v102
	v_nop
	s_delay_alu instid0(TRANS32_DEP_1) | instskip(NEXT) | instid1(VALU_DEP_1)
	v_fma_f32 v107, -v102, v106, 1.0
	v_fmac_f32_e32 v106, v107, v106
	s_delay_alu instid0(VALU_DEP_1) | instskip(NEXT) | instid1(VALU_DEP_1)
	v_mul_f32_e32 v107, v111, v106
	v_fma_f32 v112, -v102, v107, v111
	s_delay_alu instid0(VALU_DEP_1) | instskip(NEXT) | instid1(VALU_DEP_1)
	v_fmac_f32_e32 v107, v112, v106
	v_fma_f32 v102, -v102, v107, v111
	s_delay_alu instid0(VALU_DEP_1) | instskip(NEXT) | instid1(VALU_DEP_1)
	v_div_fmas_f32 v102, v102, v106, v107
	v_div_fixup_f32 v103, v102, v103, 1.0
	s_delay_alu instid0(VALU_DEP_1)
	v_mul_f32_e32 v102, v105, v103
	v_xor_b32_e32 v103, 0x80000000, v103
.LBB94_994:
	s_and_not1_saveexec_b32 s1, s1
	s_cbranch_execz .LBB94_996
; %bb.995:
	s_delay_alu instid0(VALU_DEP_1) | instskip(SKIP_1) | instid1(VALU_DEP_2)
	v_div_scale_f32 v105, null, v102, v102, v103
	v_div_scale_f32 v111, vcc_lo, v103, v102, v103
	v_rcp_f32_e32 v106, v105
	v_nop
	s_delay_alu instid0(TRANS32_DEP_1) | instskip(NEXT) | instid1(VALU_DEP_1)
	v_fma_f32 v107, -v105, v106, 1.0
	v_fmac_f32_e32 v106, v107, v106
	s_delay_alu instid0(VALU_DEP_1) | instskip(NEXT) | instid1(VALU_DEP_1)
	v_mul_f32_e32 v107, v111, v106
	v_fma_f32 v112, -v105, v107, v111
	s_delay_alu instid0(VALU_DEP_1) | instskip(NEXT) | instid1(VALU_DEP_1)
	v_fmac_f32_e32 v107, v112, v106
	v_fma_f32 v105, -v105, v107, v111
	s_delay_alu instid0(VALU_DEP_1) | instskip(NEXT) | instid1(VALU_DEP_1)
	v_div_fmas_f32 v105, v105, v106, v107
	v_div_fixup_f32 v105, v105, v102, v103
	s_delay_alu instid0(VALU_DEP_1) | instskip(NEXT) | instid1(VALU_DEP_1)
	v_fmac_f32_e32 v102, v103, v105
	v_div_scale_f32 v103, null, v102, v102, 1.0
	s_delay_alu instid0(VALU_DEP_1) | instskip(SKIP_1) | instid1(TRANS32_DEP_1)
	v_rcp_f32_e32 v106, v103
	v_nop
	v_fma_f32 v107, -v103, v106, 1.0
	s_delay_alu instid0(VALU_DEP_1) | instskip(SKIP_1) | instid1(VALU_DEP_1)
	v_fmac_f32_e32 v106, v107, v106
	v_div_scale_f32 v107, vcc_lo, 1.0, v102, 1.0
	v_mul_f32_e32 v111, v107, v106
	s_delay_alu instid0(VALU_DEP_1) | instskip(NEXT) | instid1(VALU_DEP_1)
	v_fma_f32 v112, -v103, v111, v107
	v_fmac_f32_e32 v111, v112, v106
	s_delay_alu instid0(VALU_DEP_1) | instskip(NEXT) | instid1(VALU_DEP_1)
	v_fma_f32 v103, -v103, v111, v107
	v_div_fmas_f32 v103, v103, v106, v111
	s_delay_alu instid0(VALU_DEP_1) | instskip(NEXT) | instid1(VALU_DEP_1)
	v_div_fixup_f32 v102, v103, v102, 1.0
	v_mul_f32_e64 v103, v105, -v102
.LBB94_996:
	s_or_b32 exec_lo, exec_lo, s1
.LBB94_997:
	s_delay_alu instid0(SALU_CYCLE_1)
	s_or_b32 exec_lo, exec_lo, s0
	v_mov_b32_e32 v106, 47
	s_mov_b32 s0, exec_lo
	v_cmpx_ne_u32_e64 v110, v104
	s_cbranch_execz .LBB94_1003
; %bb.998:
	s_mov_b32 s1, exec_lo
	v_cmpx_eq_u32_e32 47, v110
	s_cbranch_execz .LBB94_1002
; %bb.999:
	v_cmp_ne_u32_e32 vcc_lo, 47, v104
	s_xor_b32 s12, s16, -1
	s_delay_alu instid0(SALU_CYCLE_1) | instskip(NEXT) | instid1(SALU_CYCLE_1)
	s_and_b32 s13, s12, vcc_lo
	s_and_saveexec_b32 s12, s13
	s_cbranch_execz .LBB94_1001
; %bb.1000:
	v_ashrrev_i32_e32 v105, 31, v104
	s_delay_alu instid0(VALU_DEP_1)
	v_lshl_add_u64 v[106:107], v[104:105], 2, v[4:5]
	s_clause 0x1
	global_load_b32 v105, v[106:107], off
	global_load_b32 v109, v[4:5], off offset:188
	s_wait_loadcnt 0x1
	global_store_b32 v[4:5], v105, off offset:188
	s_wait_loadcnt 0x0
	global_store_b32 v[106:107], v109, off
.LBB94_1001:
	s_wait_xcnt 0x0
	s_or_b32 exec_lo, exec_lo, s12
	v_dual_mov_b32 v110, v104 :: v_dual_mov_b32 v109, v104
.LBB94_1002:
	s_or_b32 exec_lo, exec_lo, s1
	s_delay_alu instid0(VALU_DEP_1)
	v_mov_b32_e32 v106, v110
.LBB94_1003:
	s_or_b32 exec_lo, exec_lo, s0
	s_delay_alu instid0(VALU_DEP_1)
	v_ashrrev_i32_e32 v107, 31, v106
	s_mov_b32 s0, exec_lo
	s_wait_storecnt 0x0
	s_barrier_signal -1
	s_barrier_wait -1
	s_barrier_signal -1
	s_barrier_wait -1
	v_cmpx_gt_i32_e32 48, v106
	s_cbranch_execz .LBB94_1005
; %bb.1004:
	v_mul_u64_e32 v[4:5], s[10:11], v[2:3]
	v_add3_u32 v104, v109, s17, 1
	s_delay_alu instid0(VALU_DEP_2) | instskip(NEXT) | instid1(VALU_DEP_1)
	v_lshl_add_u64 v[4:5], v[4:5], 2, s[6:7]
	v_lshl_add_u64 v[4:5], s[8:9], 2, v[4:5]
	s_delay_alu instid0(VALU_DEP_1)
	v_lshl_add_u64 v[4:5], v[106:107], 2, v[4:5]
	global_store_b32 v[4:5], v104, off
.LBB94_1005:
	s_wait_xcnt 0x0
	s_or_b32 exec_lo, exec_lo, s0
	s_delay_alu instid0(SALU_CYCLE_1)
	s_mov_b32 s1, exec_lo
	v_cmpx_eq_u32_e32 0, v106
	s_cbranch_execz .LBB94_1008
; %bb.1006:
	s_wait_kmcnt 0x0
	v_lshl_add_u64 v[2:3], v[2:3], 2, s[4:5]
	v_cmp_ne_u32_e64 s0, 0, v108
	global_load_b32 v4, v[2:3], off
	s_wait_loadcnt 0x0
	v_cmp_eq_u32_e32 vcc_lo, 0, v4
	s_and_b32 s0, vcc_lo, s0
	s_wait_xcnt 0x0
	s_and_b32 exec_lo, exec_lo, s0
	s_cbranch_execz .LBB94_1008
; %bb.1007:
	v_add_nc_u32_e32 v4, s17, v108
	global_store_b32 v[2:3], v4, off
.LBB94_1008:
	s_wait_xcnt 0x0
	s_or_b32 exec_lo, exec_lo, s1
	v_add3_u32 v4, s2, s2, v106
	v_pk_mul_f32 v[2:3], v[102:103], v[100:101] op_sel:[1,1] op_sel_hi:[0,1]
	v_cmp_lt_i32_e32 vcc_lo, 47, v106
	v_lshl_add_u64 v[106:107], v[106:107], 3, v[0:1]
	s_delay_alu instid0(VALU_DEP_4) | instskip(NEXT) | instid1(VALU_DEP_4)
	v_add_nc_u32_e32 v104, s2, v4
	v_pk_fma_f32 v[122:123], v[102:103], v[100:101], v[2:3] op_sel_hi:[1,0,1]
	v_pk_fma_f32 v[2:3], v[102:103], v[100:101], v[2:3] neg_lo:[0,0,1] neg_hi:[0,0,1]
	global_store_b64 v[106:107], v[98:99], off
	s_wait_xcnt 0x0
	v_lshl_add_u64 v[98:99], s[2:3], 3, v[106:107]
	v_dual_cndmask_b32 v3, v101, v123 :: v_dual_add_nc_u32 v108, s2, v104
	v_dual_cndmask_b32 v2, v100, v2 :: v_dual_ashrrev_i32 v5, 31, v4
	global_store_b64 v[98:99], v[96:97], off
	v_add_nc_u32_e32 v110, s2, v108
	v_lshl_add_u64 v[4:5], v[4:5], 3, v[0:1]
	s_delay_alu instid0(VALU_DEP_2) | instskip(SKIP_2) | instid1(VALU_DEP_1)
	v_add_nc_u32_e32 v112, s2, v110
	global_store_b64 v[4:5], v[94:95], off
	v_dual_add_nc_u32 v114, s2, v112 :: v_dual_ashrrev_i32 v113, 31, v112
	v_dual_ashrrev_i32 v115, 31, v114 :: v_dual_add_nc_u32 v116, s2, v114
	s_delay_alu instid0(VALU_DEP_1) | instskip(NEXT) | instid1(VALU_DEP_1)
	v_add_nc_u32_e32 v118, s2, v116
	v_add_nc_u32_e32 v120, s2, v118
	v_ashrrev_i32_e32 v111, 31, v110
	s_delay_alu instid0(VALU_DEP_2) | instskip(NEXT) | instid1(VALU_DEP_1)
	v_dual_ashrrev_i32 v119, 31, v118 :: v_dual_add_nc_u32 v102, s2, v120
	v_add_nc_u32_e32 v100, s2, v102
	s_delay_alu instid0(VALU_DEP_1) | instskip(NEXT) | instid1(VALU_DEP_1)
	v_add_nc_u32_e32 v122, s2, v100
	v_dual_add_nc_u32 v106, s2, v122 :: v_dual_ashrrev_i32 v117, 31, v116
	v_ashrrev_i32_e32 v103, 31, v102
	s_wait_xcnt 0x1
	s_delay_alu instid0(VALU_DEP_2) | instskip(SKIP_1) | instid1(VALU_DEP_2)
	v_dual_add_nc_u32 v96, s2, v106 :: v_dual_ashrrev_i32 v121, 31, v120
	v_ashrrev_i32_e32 v123, 31, v122
	v_dual_ashrrev_i32 v107, 31, v106 :: v_dual_add_nc_u32 v98, s2, v96
	v_ashrrev_i32_e32 v105, 31, v104
	v_ashrrev_i32_e32 v101, 31, v100
	s_wait_xcnt 0x0
	s_delay_alu instid0(VALU_DEP_3) | instskip(NEXT) | instid1(VALU_DEP_3)
	v_dual_ashrrev_i32 v97, 31, v96 :: v_dual_add_nc_u32 v4, s2, v98
	v_lshl_add_u64 v[94:95], v[104:105], 3, v[0:1]
	s_delay_alu instid0(VALU_DEP_2)
	v_dual_ashrrev_i32 v99, 31, v98 :: v_dual_add_nc_u32 v104, s2, v4
	global_store_b64 v[94:95], v[92:93], off
	s_wait_xcnt 0x0
	v_lshl_add_u64 v[94:95], v[110:111], 3, v[0:1]
	v_ashrrev_i32_e32 v5, 31, v4
	v_add_nc_u32_e32 v110, s2, v104
	v_ashrrev_i32_e32 v109, 31, v108
	v_ashrrev_i32_e32 v105, 31, v104
	s_delay_alu instid0(VALU_DEP_4) | instskip(NEXT) | instid1(VALU_DEP_3)
	v_lshl_add_u64 v[4:5], v[4:5], 3, v[0:1]
	v_lshl_add_u64 v[92:93], v[108:109], 3, v[0:1]
	;; [unrolled: 1-line block ×3, first 2 shown]
	s_clause 0x2
	global_store_b64 v[92:93], v[60:61], off
	global_store_b64 v[94:95], v[56:57], off
	;; [unrolled: 1-line block ×3, first 2 shown]
	s_wait_xcnt 0x1
	v_add_nc_u32_e32 v56, s2, v110
	v_lshl_add_u64 v[60:61], v[114:115], 3, v[0:1]
	v_lshl_add_u64 v[92:93], v[116:117], 3, v[0:1]
	;; [unrolled: 1-line block ×3, first 2 shown]
	s_wait_xcnt 0x0
	v_lshl_add_u64 v[108:109], v[120:121], 3, v[0:1]
	v_add_nc_u32_e32 v58, s2, v56
	s_clause 0x3
	global_store_b64 v[60:61], v[16:17], off
	global_store_b64 v[92:93], v[90:91], off
	global_store_b64 v[94:95], v[86:87], off
	global_store_b64 v[108:109], v[88:89], off
	s_wait_xcnt 0x1
	v_lshl_add_u64 v[86:87], v[102:103], 3, v[0:1]
	s_wait_xcnt 0x0
	v_lshl_add_u64 v[88:89], v[100:101], 3, v[0:1]
	v_lshl_add_u64 v[90:91], v[122:123], 3, v[0:1]
	v_add_nc_u32_e32 v112, s2, v58
	v_lshl_add_u64 v[92:93], v[106:107], 3, v[0:1]
	s_clause 0x3
	global_store_b64 v[86:87], v[32:33], off
	global_store_b64 v[88:89], v[84:85], off
	;; [unrolled: 1-line block ×4, first 2 shown]
	s_wait_xcnt 0x0
	v_lshl_add_u64 v[82:83], v[96:97], 3, v[0:1]
	v_add_nc_u32_e32 v16, s2, v112
	v_lshl_add_u64 v[84:85], v[98:99], 3, v[0:1]
	v_ashrrev_i32_e32 v111, 31, v110
	v_lshl_add_u64 v[86:87], v[104:105], 3, v[0:1]
	s_clause 0x3
	global_store_b64 v[82:83], v[26:27], off
	global_store_b64 v[84:85], v[78:79], off
	;; [unrolled: 1-line block ×4, first 2 shown]
	v_dual_add_nc_u32 v60, s2, v16 :: v_dual_ashrrev_i32 v59, 31, v58
	v_ashrrev_i32_e32 v57, 31, v56
	s_wait_xcnt 0x1
	v_lshl_add_u64 v[74:75], v[110:111], 3, v[0:1]
	s_delay_alu instid0(VALU_DEP_3) | instskip(SKIP_2) | instid1(VALU_DEP_3)
	v_add_nc_u32_e32 v94, s2, v60
	v_lshl_add_u64 v[58:59], v[58:59], 3, v[0:1]
	v_lshl_add_u64 v[56:57], v[56:57], 3, v[0:1]
	v_dual_ashrrev_i32 v61, 31, v60 :: v_dual_add_nc_u32 v32, s2, v94
	v_dual_ashrrev_i32 v95, 31, v94 :: v_dual_ashrrev_i32 v17, 31, v16
	s_delay_alu instid0(VALU_DEP_2) | instskip(NEXT) | instid1(VALU_DEP_2)
	v_add_nc_u32_e32 v80, s2, v32
	v_lshl_add_u64 v[16:17], v[16:17], 3, v[0:1]
	s_delay_alu instid0(VALU_DEP_2) | instskip(NEXT) | instid1(VALU_DEP_1)
	v_dual_add_nc_u32 v88, s2, v80 :: v_dual_ashrrev_i32 v81, 31, v80
	v_dual_add_nc_u32 v4, s2, v88 :: v_dual_ashrrev_i32 v89, 31, v88
	s_delay_alu instid0(VALU_DEP_1) | instskip(SKIP_1) | instid1(VALU_DEP_2)
	v_add_nc_u32_e32 v26, s2, v4
	v_ashrrev_i32_e32 v113, 31, v112
	v_dual_ashrrev_i32 v5, 31, v4 :: v_dual_add_nc_u32 v78, s2, v26
	v_ashrrev_i32_e32 v27, 31, v26
	s_wait_xcnt 0x0
	s_delay_alu instid0(VALU_DEP_3)
	v_lshl_add_u64 v[76:77], v[112:113], 3, v[0:1]
	s_clause 0x3
	global_store_b64 v[74:75], v[24:25], off
	global_store_b64 v[56:57], v[72:73], off
	;; [unrolled: 1-line block ×4, first 2 shown]
	s_wait_xcnt 0x3
	v_dual_add_nc_u32 v24, s2, v78 :: v_dual_ashrrev_i32 v33, 31, v32
	v_ashrrev_i32_e32 v79, 31, v78
	s_wait_xcnt 0x1
	v_lshl_add_u64 v[58:59], v[60:61], 3, v[0:1]
	v_lshl_add_u64 v[60:61], v[94:95], 3, v[0:1]
	v_dual_add_nc_u32 v56, s2, v24 :: v_dual_ashrrev_i32 v25, 31, v24
	v_lshl_add_u64 v[32:33], v[32:33], 3, v[0:1]
	s_clause 0x3
	global_store_b64 v[16:17], v[22:23], off
	global_store_b64 v[58:59], v[66:67], off
	;; [unrolled: 1-line block ×4, first 2 shown]
	v_add_nc_u32_e32 v68, s2, v56
	s_wait_xcnt 0x0
	v_lshl_add_u64 v[32:33], v[80:81], 3, v[0:1]
	v_lshl_add_u64 v[58:59], v[88:89], 3, v[0:1]
	;; [unrolled: 1-line block ×4, first 2 shown]
	v_dual_add_nc_u32 v16, s2, v68 :: v_dual_ashrrev_i32 v69, 31, v68
	s_clause 0x3
	global_store_b64 v[32:33], v[20:21], off
	global_store_b64 v[58:59], v[54:55], off
	;; [unrolled: 1-line block ×4, first 2 shown]
	v_ashrrev_i32_e32 v57, 31, v56
	s_wait_xcnt 0x0
	v_lshl_add_u64 v[26:27], v[78:79], 3, v[0:1]
	v_add_nc_u32_e32 v22, s2, v16
	v_lshl_add_u64 v[24:25], v[24:25], 3, v[0:1]
	v_lshl_add_u64 v[50:51], v[68:69], 3, v[0:1]
	;; [unrolled: 1-line block ×3, first 2 shown]
	s_clause 0x3
	global_store_b64 v[26:27], v[12:13], off
	global_store_b64 v[24:25], v[48:49], off
	;; [unrolled: 1-line block ×4, first 2 shown]
	v_dual_add_nc_u32 v60, s2, v22 :: v_dual_ashrrev_i32 v23, 31, v22
	v_ashrrev_i32_e32 v17, 31, v16
	s_delay_alu instid0(VALU_DEP_2) | instskip(NEXT) | instid1(VALU_DEP_2)
	v_dual_add_nc_u32 v4, s2, v60 :: v_dual_ashrrev_i32 v61, 31, v60
	v_lshl_add_u64 v[16:17], v[16:17], 3, v[0:1]
	s_delay_alu instid0(VALU_DEP_4) | instskip(NEXT) | instid1(VALU_DEP_3)
	v_lshl_add_u64 v[22:23], v[22:23], 3, v[0:1]
	v_dual_add_nc_u32 v20, s2, v4 :: v_dual_ashrrev_i32 v5, 31, v4
	s_wait_xcnt 0x3
	v_lshl_add_u64 v[26:27], v[60:61], 3, v[0:1]
	s_delay_alu instid0(VALU_DEP_2) | instskip(NEXT) | instid1(VALU_DEP_3)
	v_dual_add_nc_u32 v52, s2, v20 :: v_dual_ashrrev_i32 v21, 31, v20
	v_lshl_add_u64 v[4:5], v[4:5], 3, v[0:1]
	s_clause 0x3
	global_store_b64 v[16:17], v[10:11], off
	global_store_b64 v[22:23], v[42:43], off
	global_store_b64 v[26:27], v[38:39], off
	global_store_b64 v[4:5], v[40:41], off
	v_dual_add_nc_u32 v12, s2, v52 :: v_dual_ashrrev_i32 v53, 31, v52
	s_wait_xcnt 0x3
	v_lshl_add_u64 v[16:17], v[20:21], 3, v[0:1]
	s_delay_alu instid0(VALU_DEP_2) | instskip(NEXT) | instid1(VALU_DEP_3)
	v_dual_add_nc_u32 v24, s2, v12 :: v_dual_ashrrev_i32 v13, 31, v12
	v_lshl_add_u64 v[20:21], v[52:53], 3, v[0:1]
	s_delay_alu instid0(VALU_DEP_2) | instskip(NEXT) | instid1(VALU_DEP_3)
	v_dual_add_nc_u32 v32, s2, v24 :: v_dual_ashrrev_i32 v25, 31, v24
	v_lshl_add_u64 v[12:13], v[12:13], 3, v[0:1]
	s_wait_xcnt 0x0
	s_delay_alu instid0(VALU_DEP_2) | instskip(NEXT) | instid1(VALU_DEP_3)
	v_dual_add_nc_u32 v4, s2, v32 :: v_dual_ashrrev_i32 v33, 31, v32
	v_lshl_add_u64 v[22:23], v[24:25], 3, v[0:1]
	s_clause 0x3
	global_store_b64 v[16:17], v[6:7], off
	global_store_b64 v[20:21], v[36:37], off
	;; [unrolled: 1-line block ×4, first 2 shown]
	v_dual_add_nc_u32 v10, s2, v4 :: v_dual_ashrrev_i32 v5, 31, v4
	s_wait_xcnt 0x1
	v_lshl_add_u64 v[12:13], v[32:33], 3, v[0:1]
	s_delay_alu instid0(VALU_DEP_2) | instskip(NEXT) | instid1(VALU_DEP_3)
	v_dual_add_nc_u32 v24, s2, v10 :: v_dual_ashrrev_i32 v11, 31, v10
	v_lshl_add_u64 v[4:5], v[4:5], 3, v[0:1]
	s_delay_alu instid0(VALU_DEP_2) | instskip(NEXT) | instid1(VALU_DEP_3)
	v_dual_add_nc_u32 v6, s2, v24 :: v_dual_ashrrev_i32 v25, 31, v24
	v_lshl_add_u64 v[10:11], v[10:11], 3, v[0:1]
	s_delay_alu instid0(VALU_DEP_2) | instskip(NEXT) | instid1(VALU_DEP_3)
	v_ashrrev_i32_e32 v7, 31, v6
	v_lshl_add_u64 v[16:17], v[24:25], 3, v[0:1]
	s_delay_alu instid0(VALU_DEP_2)
	v_lshl_add_u64 v[0:1], v[6:7], 3, v[0:1]
	s_clause 0x4
	global_store_b64 v[12:13], v[8:9], off
	global_store_b64 v[4:5], v[28:29], off
	;; [unrolled: 1-line block ×5, first 2 shown]
.LBB94_1009:
	s_sendmsg sendmsg(MSG_DEALLOC_VGPRS)
	s_endpgm
	.section	.rodata,"a",@progbits
	.p2align	6, 0x0
	.amdhsa_kernel _ZN9rocsolver6v33100L18getf2_small_kernelILi48E19rocblas_complex_numIfEiiPS3_EEvT1_T3_lS5_lPS5_llPT2_S5_S5_S7_l
		.amdhsa_group_segment_fixed_size 0
		.amdhsa_private_segment_fixed_size 0
		.amdhsa_kernarg_size 352
		.amdhsa_user_sgpr_count 2
		.amdhsa_user_sgpr_dispatch_ptr 0
		.amdhsa_user_sgpr_queue_ptr 0
		.amdhsa_user_sgpr_kernarg_segment_ptr 1
		.amdhsa_user_sgpr_dispatch_id 0
		.amdhsa_user_sgpr_kernarg_preload_length 0
		.amdhsa_user_sgpr_kernarg_preload_offset 0
		.amdhsa_user_sgpr_private_segment_size 0
		.amdhsa_wavefront_size32 1
		.amdhsa_uses_dynamic_stack 0
		.amdhsa_enable_private_segment 0
		.amdhsa_system_sgpr_workgroup_id_x 1
		.amdhsa_system_sgpr_workgroup_id_y 1
		.amdhsa_system_sgpr_workgroup_id_z 0
		.amdhsa_system_sgpr_workgroup_info 0
		.amdhsa_system_vgpr_workitem_id 1
		.amdhsa_next_free_vgpr 128
		.amdhsa_next_free_sgpr 19
		.amdhsa_named_barrier_count 0
		.amdhsa_reserve_vcc 1
		.amdhsa_float_round_mode_32 0
		.amdhsa_float_round_mode_16_64 0
		.amdhsa_float_denorm_mode_32 3
		.amdhsa_float_denorm_mode_16_64 3
		.amdhsa_fp16_overflow 0
		.amdhsa_memory_ordered 1
		.amdhsa_forward_progress 1
		.amdhsa_inst_pref_size 255
		.amdhsa_round_robin_scheduling 0
		.amdhsa_exception_fp_ieee_invalid_op 0
		.amdhsa_exception_fp_denorm_src 0
		.amdhsa_exception_fp_ieee_div_zero 0
		.amdhsa_exception_fp_ieee_overflow 0
		.amdhsa_exception_fp_ieee_underflow 0
		.amdhsa_exception_fp_ieee_inexact 0
		.amdhsa_exception_int_div_zero 0
	.end_amdhsa_kernel
	.section	.text._ZN9rocsolver6v33100L18getf2_small_kernelILi48E19rocblas_complex_numIfEiiPS3_EEvT1_T3_lS5_lPS5_llPT2_S5_S5_S7_l,"axG",@progbits,_ZN9rocsolver6v33100L18getf2_small_kernelILi48E19rocblas_complex_numIfEiiPS3_EEvT1_T3_lS5_lPS5_llPT2_S5_S5_S7_l,comdat
.Lfunc_end94:
	.size	_ZN9rocsolver6v33100L18getf2_small_kernelILi48E19rocblas_complex_numIfEiiPS3_EEvT1_T3_lS5_lPS5_llPT2_S5_S5_S7_l, .Lfunc_end94-_ZN9rocsolver6v33100L18getf2_small_kernelILi48E19rocblas_complex_numIfEiiPS3_EEvT1_T3_lS5_lPS5_llPT2_S5_S5_S7_l
                                        ; -- End function
	.set _ZN9rocsolver6v33100L18getf2_small_kernelILi48E19rocblas_complex_numIfEiiPS3_EEvT1_T3_lS5_lPS5_llPT2_S5_S5_S7_l.num_vgpr, 128
	.set _ZN9rocsolver6v33100L18getf2_small_kernelILi48E19rocblas_complex_numIfEiiPS3_EEvT1_T3_lS5_lPS5_llPT2_S5_S5_S7_l.num_agpr, 0
	.set _ZN9rocsolver6v33100L18getf2_small_kernelILi48E19rocblas_complex_numIfEiiPS3_EEvT1_T3_lS5_lPS5_llPT2_S5_S5_S7_l.numbered_sgpr, 19
	.set _ZN9rocsolver6v33100L18getf2_small_kernelILi48E19rocblas_complex_numIfEiiPS3_EEvT1_T3_lS5_lPS5_llPT2_S5_S5_S7_l.num_named_barrier, 0
	.set _ZN9rocsolver6v33100L18getf2_small_kernelILi48E19rocblas_complex_numIfEiiPS3_EEvT1_T3_lS5_lPS5_llPT2_S5_S5_S7_l.private_seg_size, 0
	.set _ZN9rocsolver6v33100L18getf2_small_kernelILi48E19rocblas_complex_numIfEiiPS3_EEvT1_T3_lS5_lPS5_llPT2_S5_S5_S7_l.uses_vcc, 1
	.set _ZN9rocsolver6v33100L18getf2_small_kernelILi48E19rocblas_complex_numIfEiiPS3_EEvT1_T3_lS5_lPS5_llPT2_S5_S5_S7_l.uses_flat_scratch, 0
	.set _ZN9rocsolver6v33100L18getf2_small_kernelILi48E19rocblas_complex_numIfEiiPS3_EEvT1_T3_lS5_lPS5_llPT2_S5_S5_S7_l.has_dyn_sized_stack, 0
	.set _ZN9rocsolver6v33100L18getf2_small_kernelILi48E19rocblas_complex_numIfEiiPS3_EEvT1_T3_lS5_lPS5_llPT2_S5_S5_S7_l.has_recursion, 0
	.set _ZN9rocsolver6v33100L18getf2_small_kernelILi48E19rocblas_complex_numIfEiiPS3_EEvT1_T3_lS5_lPS5_llPT2_S5_S5_S7_l.has_indirect_call, 0
	.section	.AMDGPU.csdata,"",@progbits
; Kernel info:
; codeLenInByte = 113536
; TotalNumSgprs: 21
; NumVgprs: 128
; ScratchSize: 0
; MemoryBound: 0
; FloatMode: 240
; IeeeMode: 1
; LDSByteSize: 0 bytes/workgroup (compile time only)
; SGPRBlocks: 0
; VGPRBlocks: 7
; NumSGPRsForWavesPerEU: 21
; NumVGPRsForWavesPerEU: 128
; NamedBarCnt: 0
; Occupancy: 8
; WaveLimiterHint : 0
; COMPUTE_PGM_RSRC2:SCRATCH_EN: 0
; COMPUTE_PGM_RSRC2:USER_SGPR: 2
; COMPUTE_PGM_RSRC2:TRAP_HANDLER: 0
; COMPUTE_PGM_RSRC2:TGID_X_EN: 1
; COMPUTE_PGM_RSRC2:TGID_Y_EN: 1
; COMPUTE_PGM_RSRC2:TGID_Z_EN: 0
; COMPUTE_PGM_RSRC2:TIDIG_COMP_CNT: 1
	.section	.text._ZN9rocsolver6v33100L23getf2_npvt_small_kernelILi48E19rocblas_complex_numIfEiiPS3_EEvT1_T3_lS5_lPT2_S5_S5_,"axG",@progbits,_ZN9rocsolver6v33100L23getf2_npvt_small_kernelILi48E19rocblas_complex_numIfEiiPS3_EEvT1_T3_lS5_lPT2_S5_S5_,comdat
	.globl	_ZN9rocsolver6v33100L23getf2_npvt_small_kernelILi48E19rocblas_complex_numIfEiiPS3_EEvT1_T3_lS5_lPT2_S5_S5_ ; -- Begin function _ZN9rocsolver6v33100L23getf2_npvt_small_kernelILi48E19rocblas_complex_numIfEiiPS3_EEvT1_T3_lS5_lPT2_S5_S5_
	.p2align	8
	.type	_ZN9rocsolver6v33100L23getf2_npvt_small_kernelILi48E19rocblas_complex_numIfEiiPS3_EEvT1_T3_lS5_lPT2_S5_S5_,@function
_ZN9rocsolver6v33100L23getf2_npvt_small_kernelILi48E19rocblas_complex_numIfEiiPS3_EEvT1_T3_lS5_lPT2_S5_S5_: ; @_ZN9rocsolver6v33100L23getf2_npvt_small_kernelILi48E19rocblas_complex_numIfEiiPS3_EEvT1_T3_lS5_lPT2_S5_S5_
; %bb.0:
	s_clause 0x1
	s_load_u16 s14, s[0:1], 0x46
	s_load_b64 s[2:3], s[0:1], 0x30
	s_bfe_u32 s4, ttmp6, 0x40010
	s_bfe_u32 s5, ttmp6, 0x40004
	s_add_co_i32 s4, s4, 1
	s_getreg_b32 s6, hwreg(HW_REG_IB_STS2, 6, 4)
	s_mul_i32 s4, ttmp7, s4
	v_bfe_u32 v38, v0, 10, 10
	s_add_co_i32 s5, s5, s4
	s_cmp_eq_u32 s6, 0
	s_cselect_b32 s4, ttmp7, s5
	s_wait_kmcnt 0x0
	v_mad_u32 v176, s4, s14, v38
	s_delay_alu instid0(VALU_DEP_1)
	v_cmp_gt_i32_e32 vcc_lo, s2, v176
	s_and_saveexec_b32 s2, vcc_lo
	s_cbranch_execz .LBB95_435
; %bb.1:
	s_clause 0x1
	s_load_b32 s12, s[0:1], 0x18
	s_load_b128 s[8:11], s[0:1], 0x8
	v_and_b32_e32 v54, 0x3ff, v0
	s_load_b128 s[4:7], s[0:1], 0x20
	s_mulk_i32 s14, 0x180
	v_mov_b32_e32 v31, 0
	s_wait_xcnt 0x0
	v_cmp_ne_u32_e64 s1, 0, v54
	v_cmp_eq_u32_e64 s0, 0, v54
	s_wait_kmcnt 0x0
	v_add3_u32 v28, s12, s12, v54
	s_ashr_i32 s13, s12, 31
	s_delay_alu instid0(VALU_DEP_1) | instskip(NEXT) | instid1(VALU_DEP_1)
	v_add_nc_u32_e32 v18, s12, v28
	v_add_nc_u32_e32 v20, s12, v18
	s_delay_alu instid0(VALU_DEP_1) | instskip(NEXT) | instid1(VALU_DEP_1)
	v_add_nc_u32_e32 v22, s12, v20
	v_dual_add_nc_u32 v24, s12, v22 :: v_dual_ashrrev_i32 v29, 31, v28
	s_delay_alu instid0(VALU_DEP_1) | instskip(NEXT) | instid1(VALU_DEP_1)
	v_dual_ashrrev_i32 v19, 31, v18 :: v_dual_add_nc_u32 v12, s12, v24
	v_add_nc_u32_e32 v26, s12, v12
	s_delay_alu instid0(VALU_DEP_1) | instskip(SKIP_1) | instid1(VALU_DEP_2)
	v_dual_add_nc_u32 v14, s12, v26 :: v_dual_ashrrev_i32 v13, 31, v12
	v_dual_ashrrev_i32 v21, 31, v20 :: v_dual_ashrrev_i32 v23, 31, v22
	v_dual_add_nc_u32 v8, s12, v14 :: v_dual_ashrrev_i32 v15, 31, v14
	s_delay_alu instid0(VALU_DEP_1) | instskip(SKIP_1) | instid1(VALU_DEP_2)
	v_dual_ashrrev_i32 v27, 31, v26 :: v_dual_add_nc_u32 v0, s12, v8
	v_ashrrev_i32_e32 v9, 31, v8
	v_add_nc_u32_e32 v4, s12, v0
	s_delay_alu instid0(VALU_DEP_1) | instskip(NEXT) | instid1(VALU_DEP_1)
	v_add_nc_u32_e32 v2, s12, v4
	v_dual_ashrrev_i32 v177, 31, v176 :: v_dual_add_nc_u32 v6, s12, v2
	s_delay_alu instid0(VALU_DEP_1) | instskip(SKIP_1) | instid1(VALU_DEP_3)
	v_mul_u64_e32 v[16:17], s[4:5], v[176:177]
	v_ashrrev_i32_e32 v3, 31, v2
	v_dual_add_nc_u32 v10, s12, v6 :: v_dual_ashrrev_i32 v7, 31, v6
	s_delay_alu instid0(VALU_DEP_1) | instskip(SKIP_1) | instid1(VALU_DEP_2)
	v_add_nc_u32_e32 v32, s12, v10
	v_dual_lshlrev_b32 v30, 3, v54 :: v_dual_ashrrev_i32 v5, 31, v4
	v_dual_ashrrev_i32 v11, 31, v10 :: v_dual_add_nc_u32 v40, s12, v32
	s_delay_alu instid0(VALU_DEP_1) | instskip(NEXT) | instid1(VALU_DEP_1)
	v_add_nc_u32_e32 v42, s12, v40
	v_dual_ashrrev_i32 v25, 31, v24 :: v_dual_add_nc_u32 v56, s12, v42
	s_delay_alu instid0(VALU_DEP_1) | instskip(SKIP_1) | instid1(VALU_DEP_1)
	v_dual_ashrrev_i32 v43, 31, v42 :: v_dual_add_nc_u32 v58, s12, v56
	v_lshl_add_u64 v[16:17], v[16:17], 3, s[8:9]
	v_lshl_add_u64 v[52:53], s[10:11], 3, v[16:17]
	s_delay_alu instid0(VALU_DEP_1) | instskip(NEXT) | instid1(VALU_DEP_4)
	v_lshl_add_u64 v[104:105], v[18:19], 3, v[52:53]
	v_add_nc_u32_e32 v18, s12, v58
	v_lshl_add_u64 v[100:101], v[12:13], 3, v[52:53]
	v_lshl_add_u64 v[116:117], v[14:15], 3, v[52:53]
	;; [unrolled: 1-line block ×4, first 2 shown]
	v_add_nc_u32_e32 v12, s12, v18
	v_lshl_add_u64 v[134:135], v[2:3], 3, v[52:53]
	v_lshl_add_u64 v[136:137], v[6:7], 3, v[52:53]
	v_lshl_add_u64 v[146:147], v[10:11], 3, v[52:53]
	v_lshl_add_u64 v[114:115], v[20:21], 3, v[52:53]
	v_add_nc_u32_e32 v14, s12, v12
	v_ashrrev_i32_e32 v1, 31, v0
	v_lshl_add_u64 v[80:81], v[22:23], 3, v[52:53]
	v_lshl_add_u64 v[82:83], v[24:25], 3, v[52:53]
	v_add_nc_u64_e32 v[16:17], v[52:53], v[30:31]
	v_add_nc_u32_e32 v8, s12, v14
	v_lshl_add_u64 v[120:121], v[0:1], 3, v[52:53]
	v_dual_ashrrev_i32 v15, 31, v14 :: v_dual_ashrrev_i32 v41, 31, v40
	s_delay_alu instid0(VALU_DEP_3) | instskip(SKIP_3) | instid1(VALU_DEP_4)
	v_dual_ashrrev_i32 v59, 31, v58 :: v_dual_add_nc_u32 v0, s12, v8
	v_ashrrev_i32_e32 v9, 31, v8
	v_lshl_add_u64 v[102:103], v[26:27], 3, v[52:53]
	v_lshl_add_u64 v[132:133], s[12:13], 3, v[16:17]
	;; [unrolled: 1-line block ×3, first 2 shown]
	v_add_nc_u32_e32 v4, s12, v0
	v_lshl_add_u64 v[172:173], v[8:9], 3, v[52:53]
	v_lshl_add_u64 v[150:151], v[40:41], 3, v[52:53]
	;; [unrolled: 1-line block ×4, first 2 shown]
	v_add_nc_u32_e32 v2, s12, v4
	s_clause 0x7
	global_load_b64 v[62:63], v[114:115], off
	global_load_b64 v[34:35], v[80:81], off
	;; [unrolled: 1-line block ×8, first 2 shown]
	v_lshl_add_u64 v[152:153], v[42:43], 3, v[52:53]
	s_clause 0x3
	global_load_b64 v[84:85], v[102:103], off
	global_load_b64 v[28:29], v[116:117], off
	;; [unrolled: 1-line block ×4, first 2 shown]
	v_dual_add_nc_u32 v6, s12, v2 :: v_dual_ashrrev_i32 v33, 31, v32
	s_clause 0x3
	global_load_b64 v[50:51], v[130:131], off
	global_load_b64 v[46:47], v[134:135], off
	;; [unrolled: 1-line block ×4, first 2 shown]
	v_dual_ashrrev_i32 v13, 31, v12 :: v_dual_ashrrev_i32 v3, 31, v2
	v_dual_add_nc_u32 v10, s12, v6 :: v_dual_ashrrev_i32 v57, 31, v56
	v_ashrrev_i32_e32 v5, 31, v4
	v_lshl_add_u64 v[148:149], v[32:33], 3, v[52:53]
	s_delay_alu instid0(VALU_DEP_4) | instskip(NEXT) | instid1(VALU_DEP_4)
	v_lshl_add_u64 v[168:169], v[12:13], 3, v[52:53]
	v_add_nc_u32_e32 v20, s12, v10
	v_ashrrev_i32_e32 v19, 31, v18
	v_ashrrev_i32_e32 v11, 31, v10
	v_lshl_add_u64 v[194:195], v[4:5], 3, v[52:53]
	v_lshl_add_u64 v[154:155], v[56:57], 3, v[52:53]
	v_add_nc_u32_e32 v22, s12, v20
	v_lshl_add_u64 v[166:167], v[18:19], 3, v[52:53]
	s_clause 0x3
	global_load_b64 v[74:75], v[148:149], off
	global_load_b64 v[70:71], v[150:151], off
	;; [unrolled: 1-line block ×4, first 2 shown]
	v_lshl_add_u64 v[32:33], v[10:11], 3, v[52:53]
	v_mad_u32_u24 v56, 0x180, v38, 0
	v_add_nc_u32_e32 v24, s12, v22
	s_clause 0x3
	global_load_b64 v[96:97], v[156:157], off
	global_load_b64 v[92:93], v[166:167], off
	;; [unrolled: 1-line block ×4, first 2 shown]
	v_lshl_add_u64 v[4:5], v[2:3], 3, v[52:53]
	v_ashrrev_i32_e32 v7, 31, v6
	v_dual_ashrrev_i32 v23, 31, v22 :: v_dual_add_nc_u32 v18, s12, v24
	v_ashrrev_i32_e32 v1, 31, v0
	v_ashrrev_i32_e32 v21, 31, v20
	s_delay_alu instid0(VALU_DEP_4) | instskip(NEXT) | instid1(VALU_DEP_4)
	v_lshl_add_u64 v[14:15], v[6:7], 3, v[52:53]
	v_lshl_add_u64 v[22:23], v[22:23], 3, v[52:53]
	v_add_nc_u32_e32 v8, s12, v18
	v_lshl_add_u64 v[174:175], v[0:1], 3, v[52:53]
	s_clause 0x2
	global_load_b64 v[112:113], v[172:173], off
	global_load_b64 v[108:109], v[174:175], off
	;; [unrolled: 1-line block ×3, first 2 shown]
	v_dual_ashrrev_i32 v9, 31, v8 :: v_dual_add_nc_u32 v12, s12, v8
	s_clause 0x1
	global_load_b64 v[106:107], v[4:5], off
	global_load_b64 v[128:129], v[14:15], off
	s_clause 0x1
	scratch_store_b64 off, v[4:5], off
	scratch_store_b64 off, v[14:15], off offset:8
	v_lshl_add_u64 v[8:9], v[8:9], 3, v[52:53]
	v_ashrrev_i32_e32 v19, 31, v18
	v_lshl_add_u64 v[20:21], v[20:21], 3, v[52:53]
	scratch_store_b64 off, v[32:33], off offset:16 ; 8-byte Folded Spill
	s_clause 0x1
	global_load_b64 v[124:125], v[32:33], off
	global_load_b64 v[142:143], v[8:9], off
	v_add_nc_u32_e32 v0, s12, v12
	scratch_store_b64 off, v[20:21], off offset:24 ; 8-byte Folded Spill
	s_clause 0x1
	global_load_b64 v[126:127], v[20:21], off
	global_load_b64 v[122:123], v[22:23], off
	scratch_store_b64 off, v[8:9], off offset:56 ; 8-byte Folded Spill
	v_add_nc_u32_e32 v2, s12, v0
	s_delay_alu instid0(VALU_DEP_1) | instskip(NEXT) | instid1(VALU_DEP_1)
	v_dual_ashrrev_i32 v13, 31, v12 :: v_dual_ashrrev_i32 v3, 31, v2
	v_lshl_add_u64 v[12:13], v[12:13], 3, v[52:53]
	global_load_b64 v[138:139], v[12:13], off
	s_wait_xcnt 0x9
	v_dual_add_nc_u32 v4, s12, v2 :: v_dual_ashrrev_i32 v1, 31, v0
	s_delay_alu instid0(VALU_DEP_1) | instskip(NEXT) | instid1(VALU_DEP_1)
	v_add_nc_u32_e32 v6, s12, v4
	v_dual_ashrrev_i32 v25, 31, v24 :: v_dual_add_nc_u32 v10, s12, v6
	s_delay_alu instid0(VALU_DEP_1)
	v_lshl_add_u64 v[24:25], v[24:25], 3, v[52:53]
	scratch_store_b64 off, v[22:23], off offset:32 ; 8-byte Folded Spill
	s_wait_xcnt 0x9
	v_add_nc_u32_e32 v14, s12, v10
	global_load_b64 v[144:145], v[24:25], off
	s_wait_xcnt 0x1
	v_lshl_add_u64 v[22:23], v[0:1], 3, v[52:53]
	scratch_store_b64 off, v[12:13], off offset:64 ; 8-byte Folded Spill
	s_wait_xcnt 0x0
	v_lshl_add_u64 v[12:13], v[2:3], 3, v[52:53]
	v_dual_ashrrev_i32 v5, 31, v4 :: v_dual_ashrrev_i32 v7, 31, v6
	scratch_store_b64 off, v[22:23], off offset:72 ; 8-byte Folded Spill
	v_ashrrev_i32_e32 v11, 31, v10
	global_load_b64 v[160:161], v[12:13], off
	v_lshl_add_u64 v[20:21], v[18:19], 3, v[52:53]
	v_add_nc_u32_e32 v18, s12, v14
	scratch_store_b64 off, v[24:25], off offset:40 ; 8-byte Folded Spill
	v_lshl_add_u64 v[6:7], v[6:7], 3, v[52:53]
	v_lshl_add_u64 v[10:11], v[10:11], 3, v[52:53]
	scratch_store_b64 off, v[20:21], off offset:48 ; 8-byte Folded Spill
	v_add_nc_u32_e32 v0, s12, v18
	v_ashrrev_i32_e32 v15, 31, v14
	s_clause 0x1
	global_load_b64 v[158:159], v[6:7], off
	global_load_b64 v[188:189], v[10:11], off
	v_dual_ashrrev_i32 v19, 31, v18 :: v_dual_add_nc_u32 v8, s12, v0
	s_clause 0x1
	scratch_store_b64 off, v[12:13], off offset:80
	scratch_store_b64 off, v[6:7], off offset:96
	s_wait_xcnt 0x1
	v_lshl_add_u64 v[12:13], v[14:15], 3, v[52:53]
	v_lshl_add_u64 v[14:15], v[18:19], 3, v[52:53]
	v_add_nc_u32_e32 v2, s12, v8
	v_ashrrev_i32_e32 v1, 31, v0
	s_clause 0x2
	global_load_b64 v[140:141], v[20:21], off
	global_load_b64 v[182:183], v[12:13], off
	;; [unrolled: 1-line block ×3, first 2 shown]
	v_ashrrev_i32_e32 v3, 31, v2
	v_lshl_add_u64 v[18:19], v[0:1], 3, v[52:53]
	v_ashrrev_i32_e32 v9, 31, v8
	global_load_b64 v[164:165], v[22:23], off
	s_clause 0x2
	scratch_store_b64 off, v[10:11], off offset:104
	scratch_store_b64 off, v[12:13], off offset:112
	;; [unrolled: 1-line block ×3, first 2 shown]
	global_load_b64 v[180:181], v[18:19], off
	s_wait_xcnt 0x7
	v_lshl_add_u64 v[20:21], v[4:5], 3, v[52:53]
	v_add_nc_u32_e32 v4, s12, v2
	v_lshl_add_u64 v[8:9], v[8:9], 3, v[52:53]
	v_lshl_add_u64 v[2:3], v[2:3], 3, v[52:53]
	global_load_b64 v[162:163], v[20:21], off
	v_dual_add_nc_u32 v6, s12, v4 :: v_dual_ashrrev_i32 v5, 31, v4
	s_clause 0x1
	global_load_b64 v[184:185], v[8:9], off
	global_load_b64 v[178:179], v[2:3], off
	scratch_store_b64 off, v[20:21], off offset:88 ; 8-byte Folded Spill
	v_ashrrev_i32_e32 v7, 31, v6
	v_lshl_add_u64 v[4:5], v[4:5], 3, v[52:53]
	s_clause 0x1
	scratch_store_b64 off, v[8:9], off offset:144
	scratch_store_b64 off, v[2:3], off offset:152
	v_lshl_add_u64 v[0:1], v[6:7], 3, v[52:53]
	global_load_b64 v[190:191], v[4:5], off
	s_clause 0x1
	scratch_store_b64 off, v[18:19], off offset:136
	scratch_store_b64 off, v[4:5], off offset:160
	global_load_b64 v[192:193], v[0:1], off
	scratch_store_b64 off, v[0:1], off offset:128 ; 8-byte Folded Spill
	s_wait_xcnt 0x0
	v_lshlrev_b32_e32 v0, 3, v38
	s_delay_alu instid0(VALU_DEP_1)
	v_add3_u32 v55, 0, s14, v0
	s_and_saveexec_b32 s4, s0
	s_cbranch_execz .LBB95_8
; %bb.2:
	s_wait_loadcnt 0x2b
	ds_store_b64 v55, v[64:65]
	s_wait_loadcnt 0x29
	ds_store_2addr_b64 v56, v[66:67], v[88:89] offset0:1 offset1:2
	s_wait_loadcnt 0x28
	ds_store_2addr_b64 v56, v[86:87], v[62:63] offset0:3 offset1:4
	ds_store_2addr_b64 v56, v[34:35], v[36:37] offset0:5 offset1:6
	s_wait_loadcnt 0x27
	ds_store_2addr_b64 v56, v[60:61], v[84:85] offset0:7 offset1:8
	s_wait_loadcnt 0x25
	ds_store_2addr_b64 v56, v[28:29], v[30:31] offset0:9 offset1:10
	s_wait_loadcnt 0x23
	ds_store_2addr_b64 v56, v[26:27], v[50:51] offset0:11 offset1:12
	s_wait_loadcnt 0x21
	ds_store_2addr_b64 v56, v[46:47], v[48:49] offset0:13 offset1:14
	s_wait_loadcnt 0x1f
	ds_store_2addr_b64 v56, v[44:45], v[74:75] offset0:15 offset1:16
	s_wait_loadcnt 0x1d
	ds_store_2addr_b64 v56, v[70:71], v[72:73] offset0:17 offset1:18
	s_wait_loadcnt 0x1b
	ds_store_2addr_b64 v56, v[68:69], v[96:97] offset0:19 offset1:20
	s_wait_loadcnt 0x19
	ds_store_2addr_b64 v56, v[92:93], v[94:95] offset0:21 offset1:22
	s_wait_loadcnt 0x17
	ds_store_2addr_b64 v56, v[90:91], v[112:113] offset0:23 offset1:24
	s_wait_loadcnt 0x15
	ds_store_2addr_b64 v56, v[108:109], v[110:111] offset0:25 offset1:26
	s_wait_loadcnt 0x13
	ds_store_2addr_b64 v56, v[106:107], v[128:129] offset0:27 offset1:28
	s_wait_loadcnt 0x10
	ds_store_2addr_b64 v56, v[124:125], v[126:127] offset0:29 offset1:30
	s_wait_loadcnt 0xd
	ds_store_2addr_b64 v56, v[122:123], v[144:145] offset0:31 offset1:32
	s_wait_loadcnt 0x9
	ds_store_2addr_b64 v56, v[140:141], v[142:143] offset0:33 offset1:34
	s_wait_loadcnt 0x6
	ds_store_2addr_b64 v56, v[138:139], v[164:165] offset0:35 offset1:36
	s_wait_loadcnt 0x4
	ds_store_2addr_b64 v56, v[160:161], v[162:163] offset0:37 offset1:38
	ds_store_2addr_b64 v56, v[158:159], v[188:189] offset0:39 offset1:40
	;; [unrolled: 1-line block ×3, first 2 shown]
	s_wait_loadcnt 0x3
	ds_store_2addr_b64 v56, v[180:181], v[184:185] offset0:43 offset1:44
	s_wait_loadcnt 0x1
	ds_store_2addr_b64 v56, v[178:179], v[190:191] offset0:45 offset1:46
	s_wait_loadcnt 0x0
	ds_store_b64 v56, v[192:193] offset:376
	ds_load_b64 v[0:1], v55
	s_wait_dscnt 0x0
	v_cmp_neq_f32_e32 vcc_lo, 0, v0
	v_cmp_neq_f32_e64 s2, 0, v1
	s_or_b32 s2, vcc_lo, s2
	s_delay_alu instid0(SALU_CYCLE_1)
	s_and_b32 exec_lo, exec_lo, s2
	s_cbranch_execz .LBB95_8
; %bb.3:
	v_cmp_ngt_f32_e64 s2, |v0|, |v1|
                                        ; implicit-def: $vgpr2_vgpr3
	s_and_saveexec_b32 s5, s2
	s_delay_alu instid0(SALU_CYCLE_1)
	s_xor_b32 s2, exec_lo, s5
	s_cbranch_execz .LBB95_5
; %bb.4:
	v_div_scale_f32 v2, null, v1, v1, v0
	v_div_scale_f32 v5, vcc_lo, v0, v1, v0
	s_delay_alu instid0(VALU_DEP_2) | instskip(SKIP_1) | instid1(TRANS32_DEP_1)
	v_rcp_f32_e32 v3, v2
	v_nop
	v_fma_f32 v4, -v2, v3, 1.0
	s_delay_alu instid0(VALU_DEP_1) | instskip(NEXT) | instid1(VALU_DEP_1)
	v_fmac_f32_e32 v3, v4, v3
	v_mul_f32_e32 v4, v5, v3
	s_delay_alu instid0(VALU_DEP_1) | instskip(NEXT) | instid1(VALU_DEP_1)
	v_fma_f32 v6, -v2, v4, v5
	v_fmac_f32_e32 v4, v6, v3
	s_delay_alu instid0(VALU_DEP_1) | instskip(NEXT) | instid1(VALU_DEP_1)
	v_fma_f32 v2, -v2, v4, v5
	v_div_fmas_f32 v2, v2, v3, v4
	s_delay_alu instid0(VALU_DEP_1) | instskip(NEXT) | instid1(VALU_DEP_1)
	v_div_fixup_f32 v2, v2, v1, v0
	v_fmac_f32_e32 v1, v0, v2
	s_delay_alu instid0(VALU_DEP_1) | instskip(SKIP_1) | instid1(VALU_DEP_2)
	v_div_scale_f32 v0, null, v1, v1, 1.0
	v_div_scale_f32 v5, vcc_lo, 1.0, v1, 1.0
	v_rcp_f32_e32 v3, v0
	v_nop
	s_delay_alu instid0(TRANS32_DEP_1) | instskip(NEXT) | instid1(VALU_DEP_1)
	v_fma_f32 v4, -v0, v3, 1.0
	v_fmac_f32_e32 v3, v4, v3
	s_delay_alu instid0(VALU_DEP_1) | instskip(NEXT) | instid1(VALU_DEP_1)
	v_mul_f32_e32 v4, v5, v3
	v_fma_f32 v6, -v0, v4, v5
	s_delay_alu instid0(VALU_DEP_1) | instskip(NEXT) | instid1(VALU_DEP_1)
	v_fmac_f32_e32 v4, v6, v3
	v_fma_f32 v0, -v0, v4, v5
	s_delay_alu instid0(VALU_DEP_1) | instskip(NEXT) | instid1(VALU_DEP_1)
	v_div_fmas_f32 v0, v0, v3, v4
	v_div_fixup_f32 v0, v0, v1, 1.0
	s_delay_alu instid0(VALU_DEP_1)
	v_mul_f32_e32 v2, v2, v0
	v_xor_b32_e32 v3, 0x80000000, v0
                                        ; implicit-def: $vgpr0_vgpr1
.LBB95_5:
	s_and_not1_saveexec_b32 s2, s2
	s_cbranch_execz .LBB95_7
; %bb.6:
	v_div_scale_f32 v2, null, v0, v0, v1
	v_div_scale_f32 v5, vcc_lo, v1, v0, v1
	s_delay_alu instid0(VALU_DEP_2) | instskip(SKIP_1) | instid1(TRANS32_DEP_1)
	v_rcp_f32_e32 v3, v2
	v_nop
	v_fma_f32 v4, -v2, v3, 1.0
	s_delay_alu instid0(VALU_DEP_1) | instskip(NEXT) | instid1(VALU_DEP_1)
	v_fmac_f32_e32 v3, v4, v3
	v_mul_f32_e32 v4, v5, v3
	s_delay_alu instid0(VALU_DEP_1) | instskip(NEXT) | instid1(VALU_DEP_1)
	v_fma_f32 v6, -v2, v4, v5
	v_fmac_f32_e32 v4, v6, v3
	s_delay_alu instid0(VALU_DEP_1) | instskip(NEXT) | instid1(VALU_DEP_1)
	v_fma_f32 v2, -v2, v4, v5
	v_div_fmas_f32 v2, v2, v3, v4
	s_delay_alu instid0(VALU_DEP_1) | instskip(NEXT) | instid1(VALU_DEP_1)
	v_div_fixup_f32 v3, v2, v0, v1
	v_fmac_f32_e32 v0, v1, v3
	s_delay_alu instid0(VALU_DEP_1) | instskip(NEXT) | instid1(VALU_DEP_1)
	v_div_scale_f32 v1, null, v0, v0, 1.0
	v_rcp_f32_e32 v2, v1
	v_nop
	s_delay_alu instid0(TRANS32_DEP_1) | instskip(NEXT) | instid1(VALU_DEP_1)
	v_fma_f32 v4, -v1, v2, 1.0
	v_fmac_f32_e32 v2, v4, v2
	v_div_scale_f32 v4, vcc_lo, 1.0, v0, 1.0
	s_delay_alu instid0(VALU_DEP_1) | instskip(NEXT) | instid1(VALU_DEP_1)
	v_mul_f32_e32 v5, v4, v2
	v_fma_f32 v6, -v1, v5, v4
	s_delay_alu instid0(VALU_DEP_1) | instskip(NEXT) | instid1(VALU_DEP_1)
	v_fmac_f32_e32 v5, v6, v2
	v_fma_f32 v1, -v1, v5, v4
	s_delay_alu instid0(VALU_DEP_1) | instskip(NEXT) | instid1(VALU_DEP_1)
	v_div_fmas_f32 v1, v1, v2, v5
	v_div_fixup_f32 v2, v1, v0, 1.0
	s_delay_alu instid0(VALU_DEP_1)
	v_mul_f32_e64 v3, v3, -v2
.LBB95_7:
	s_or_b32 exec_lo, exec_lo, s2
	ds_store_b64 v55, v[2:3]
.LBB95_8:
	s_or_b32 exec_lo, exec_lo, s4
	s_wait_storecnt 0x0
	s_wait_loadcnt_dscnt 0x0
	s_barrier_signal -1
	s_barrier_wait -1
	ds_load_b64 v[0:1], v55
	s_wait_dscnt 0x0
	scratch_store_b64 off, v[0:1], off offset:168 ; 8-byte Folded Spill
	s_wait_xcnt 0x0
	s_and_saveexec_b32 s2, s1
	s_cbranch_execz .LBB95_10
; %bb.9:
	ds_load_2addr_b64 v[4:7], v56 offset0:1 offset1:2
	ds_load_2addr_b64 v[8:11], v56 offset0:3 offset1:4
	ds_load_2addr_b64 v[12:15], v56 offset0:5 offset1:6
	scratch_load_b64 v[22:23], off, off offset:168 ; 8-byte Folded Reload
	ds_load_2addr_b64 v[18:21], v56 offset0:7 offset1:8
	s_wait_dscnt 0x2
	v_dual_mov_b32 v42, v11 :: v_dual_mov_b32 v43, v10
	s_wait_loadcnt 0x0
	v_pk_mul_f32 v[2:3], v[22:23], v[64:65] op_sel:[1,1] op_sel_hi:[0,1]
	s_delay_alu instid0(VALU_DEP_1)
	v_pk_fma_f32 v[0:1], v[22:23], v[64:65], v[2:3] op_sel_hi:[1,0,1] neg_lo:[0,0,1] neg_hi:[0,0,1]
	v_pk_fma_f32 v[2:3], v[22:23], v[64:65], v[2:3] op_sel_hi:[1,0,1]
	ds_load_2addr_b64 v[22:25], v56 offset0:9 offset1:10
	v_dual_mov_b32 v64, v0 :: v_dual_mov_b32 v65, v3
	v_pk_mul_f32 v[32:33], v[4:5], v[2:3] op_sel:[0,1]
	v_pk_mul_f32 v[38:39], v[6:7], v[2:3] op_sel:[0,1]
	;; [unrolled: 1-line block ×3, first 2 shown]
	s_wait_dscnt 0x2
	v_pk_mul_f32 v[78:79], v[12:13], v[2:3] op_sel:[0,1]
	v_dual_mul_f32 v52, v11, v3 :: v_dual_mul_f32 v76, v11, v0
	v_pk_fma_f32 v[200:201], v[4:5], v[0:1], v[32:33] op_sel:[0,0,1] op_sel_hi:[1,1,0] neg_lo:[0,0,1] neg_hi:[0,0,1]
	v_pk_fma_f32 v[4:5], v[4:5], v[0:1], v[32:33] op_sel:[0,0,1] op_sel_hi:[1,0,0]
	v_pk_fma_f32 v[32:33], v[6:7], v[0:1], v[38:39] op_sel:[0,0,1] op_sel_hi:[1,1,0] neg_lo:[0,0,1] neg_hi:[0,0,1]
	v_pk_fma_f32 v[6:7], v[6:7], v[0:1], v[38:39] op_sel:[0,0,1] op_sel_hi:[1,0,0]
	v_pk_mul_f32 v[196:197], v[14:15], v[2:3] op_sel:[0,1]
	v_pk_fma_f32 v[38:39], v[8:9], v[0:1], v[40:41] op_sel:[0,0,1] op_sel_hi:[1,1,0] neg_lo:[0,0,1] neg_hi:[0,0,1]
	v_pk_fma_f32 v[8:9], v[8:9], v[0:1], v[40:41] op_sel:[0,0,1] op_sel_hi:[1,0,0]
	s_wait_dscnt 0x1
	v_pk_mul_f32 v[198:199], v[18:19], v[2:3] op_sel:[0,1]
	v_dual_mov_b32 v201, v5 :: v_dual_mov_b32 v33, v7
	v_pk_fma_f32 v[4:5], v[12:13], v[0:1], v[78:79] op_sel:[0,0,1] op_sel_hi:[1,0,0]
	v_pk_fma_f32 v[40:41], v[42:43], v[64:65], v[76:77] op_sel_hi:[1,1,0]
	v_mov_b32_e32 v39, v9
	v_pk_fma_f32 v[8:9], v[12:13], v[0:1], v[78:79] op_sel:[0,0,1] op_sel_hi:[1,1,0] neg_lo:[0,0,1] neg_hi:[0,0,1]
	v_pk_fma_f32 v[12:13], v[14:15], v[0:1], v[196:197] op_sel:[0,0,1] op_sel_hi:[1,0,0]
	v_pk_add_f32 v[88:89], v[88:89], v[32:33] neg_lo:[0,1] neg_hi:[0,1]
	v_pk_fma_f32 v[32:33], v[18:19], v[0:1], v[198:199] op_sel:[0,0,1] op_sel_hi:[1,0,0]
	v_mov_b32_e32 v9, v5
	ds_load_2addr_b64 v[4:7], v56 offset0:11 offset1:12
	v_pk_fma_f32 v[14:15], v[14:15], v[0:1], v[196:197] op_sel:[0,0,1] op_sel_hi:[1,1,0] neg_lo:[0,0,1] neg_hi:[0,0,1]
	v_mov_b32_e32 v15, v13
	v_pk_fma_f32 v[12:13], v[18:19], v[0:1], v[198:199] op_sel:[0,0,1] op_sel_hi:[1,1,0] neg_lo:[0,0,1] neg_hi:[0,0,1]
	v_mov_b32_e32 v13, v33
	v_pk_fma_f32 v[10:11], v[10:11], v[64:65], v[52:53] op_sel_hi:[1,1,0] neg_lo:[0,0,1] neg_hi:[0,0,1]
	v_pk_mul_f32 v[18:19], v[20:21], v[2:3] op_sel:[0,1]
	v_mov_b32_e32 v11, v41
	s_wait_dscnt 0x1
	v_pk_mul_f32 v[32:33], v[24:25], v[2:3] op_sel:[0,1]
	v_pk_add_f32 v[60:61], v[60:61], v[12:13] neg_lo:[0,1] neg_hi:[0,1]
	v_mul_f32_e32 v12, v23, v0
	v_pk_add_f32 v[36:37], v[36:37], v[14:15] neg_lo:[0,1] neg_hi:[0,1]
	v_pk_fma_f32 v[14:15], v[20:21], v[0:1], v[18:19] op_sel:[0,0,1] op_sel_hi:[1,0,0]
	v_pk_add_f32 v[62:63], v[62:63], v[10:11] neg_lo:[0,1] neg_hi:[0,1]
	v_pk_add_f32 v[34:35], v[34:35], v[8:9] neg_lo:[0,1] neg_hi:[0,1]
	ds_load_2addr_b64 v[8:11], v56 offset0:13 offset1:14
	v_pk_fma_f32 v[12:13], v[22:23], v[64:65], v[12:13] op_sel:[1,0,0] op_sel_hi:[0,1,0]
	v_mul_f32_e32 v14, v23, v3
	v_pk_fma_f32 v[18:19], v[20:21], v[0:1], v[18:19] op_sel:[0,0,1] op_sel_hi:[1,1,0] neg_lo:[0,0,1] neg_hi:[0,0,1]
	v_pk_fma_f32 v[20:21], v[24:25], v[0:1], v[32:33] op_sel:[0,0,1] op_sel_hi:[1,0,0]
	v_mov_b32_e32 v19, v15
	v_pk_add_f32 v[86:87], v[86:87], v[38:39] neg_lo:[0,1] neg_hi:[0,1]
	v_pk_fma_f32 v[14:15], v[22:23], v[64:65], v[14:15] op_sel_hi:[1,1,0] neg_lo:[0,0,1] neg_hi:[0,0,1]
	v_mov_b32_e32 v15, v13
	v_pk_fma_f32 v[12:13], v[24:25], v[0:1], v[32:33] op_sel:[0,0,1] op_sel_hi:[1,1,0] neg_lo:[0,0,1] neg_hi:[0,0,1]
	s_wait_dscnt 0x1
	v_pk_mul_f32 v[22:23], v[4:5], v[2:3] op_sel:[0,1]
	v_mov_b32_e32 v13, v21
	v_pk_add_f32 v[84:85], v[84:85], v[18:19] neg_lo:[0,1] neg_hi:[0,1]
	v_pk_add_f32 v[28:29], v[28:29], v[14:15] neg_lo:[0,1] neg_hi:[0,1]
	v_pk_mul_f32 v[20:21], v[6:7], v[2:3] op_sel:[0,1]
	v_pk_fma_f32 v[18:19], v[4:5], v[0:1], v[22:23] op_sel:[0,0,1] op_sel_hi:[1,0,0]
	v_pk_add_f32 v[30:31], v[30:31], v[12:13] neg_lo:[0,1] neg_hi:[0,1]
	ds_load_2addr_b64 v[12:15], v56 offset0:15 offset1:16
	v_pk_fma_f32 v[22:23], v[4:5], v[0:1], v[22:23] op_sel:[0,0,1] op_sel_hi:[1,1,0] neg_lo:[0,0,1] neg_hi:[0,0,1]
	v_pk_add_f32 v[66:67], v[66:67], v[200:201] neg_lo:[0,1] neg_hi:[0,1]
	s_wait_dscnt 0x1
	v_dual_mov_b32 v23, v19 :: v_dual_mov_b32 v32, v11
	v_pk_fma_f32 v[18:19], v[6:7], v[0:1], v[20:21] op_sel:[0,0,1] op_sel_hi:[1,1,0] neg_lo:[0,0,1] neg_hi:[0,0,1]
	v_pk_fma_f32 v[20:21], v[6:7], v[0:1], v[20:21] op_sel:[0,0,1] op_sel_hi:[1,0,0]
	ds_load_2addr_b64 v[4:7], v56 offset0:17 offset1:18
	v_pk_mul_f32 v[24:25], v[8:9], v[2:3] op_sel:[0,1]
	v_dual_mov_b32 v33, v10 :: v_dual_mul_f32 v20, v11, v0
	v_mov_b32_e32 v19, v21
	v_pk_add_f32 v[26:27], v[26:27], v[22:23] neg_lo:[0,1] neg_hi:[0,1]
	s_delay_alu instid0(VALU_DEP_4)
	v_pk_fma_f32 v[22:23], v[8:9], v[0:1], v[24:25] op_sel:[0,0,1] op_sel_hi:[1,0,0]
	v_mul_f32_e32 v22, v11, v3
	v_pk_fma_f32 v[20:21], v[32:33], v[64:65], v[20:21] op_sel_hi:[1,1,0]
	v_pk_add_f32 v[50:51], v[50:51], v[18:19] neg_lo:[0,1] neg_hi:[0,1]
	v_pk_fma_f32 v[18:19], v[8:9], v[0:1], v[24:25] op_sel:[0,0,1] op_sel_hi:[1,1,0] neg_lo:[0,0,1] neg_hi:[0,0,1]
	v_mov_b32_e32 v19, v23
	v_pk_fma_f32 v[22:23], v[10:11], v[64:65], v[22:23] op_sel_hi:[1,1,0] neg_lo:[0,0,1] neg_hi:[0,0,1]
	v_mov_b32_e32 v23, v21
	s_wait_dscnt 0x1
	v_pk_mul_f32 v[24:25], v[12:13], v[2:3] op_sel:[0,1]
	ds_load_2addr_b64 v[8:11], v56 offset0:19 offset1:20
	v_pk_mul_f32 v[32:33], v[14:15], v[2:3] op_sel:[0,1]
	v_pk_add_f32 v[46:47], v[46:47], v[18:19] neg_lo:[0,1] neg_hi:[0,1]
	v_pk_add_f32 v[48:49], v[48:49], v[22:23] neg_lo:[0,1] neg_hi:[0,1]
	v_pk_fma_f32 v[22:23], v[12:13], v[0:1], v[24:25] op_sel:[0,0,1] op_sel_hi:[1,0,0]
	s_wait_dscnt 0x1
	v_pk_mul_f32 v[38:39], v[4:5], v[2:3] op_sel:[0,1]
	v_pk_fma_f32 v[12:13], v[12:13], v[0:1], v[24:25] op_sel:[0,0,1] op_sel_hi:[1,1,0] neg_lo:[0,0,1] neg_hi:[0,0,1]
	v_pk_fma_f32 v[40:41], v[14:15], v[0:1], v[32:33] op_sel:[0,0,1] op_sel_hi:[1,0,0]
	ds_load_2addr_b64 v[18:21], v56 offset0:21 offset1:22
	v_mov_b32_e32 v13, v23
	v_pk_fma_f32 v[22:23], v[4:5], v[0:1], v[38:39] op_sel:[0,0,1] op_sel_hi:[1,0,0]
	v_pk_fma_f32 v[14:15], v[14:15], v[0:1], v[32:33] op_sel:[0,0,1] op_sel_hi:[1,1,0] neg_lo:[0,0,1] neg_hi:[0,0,1]
	v_pk_mul_f32 v[24:25], v[6:7], v[2:3] op_sel:[0,1]
	v_pk_fma_f32 v[4:5], v[4:5], v[0:1], v[38:39] op_sel:[0,0,1] op_sel_hi:[1,1,0] neg_lo:[0,0,1] neg_hi:[0,0,1]
	s_delay_alu instid0(VALU_DEP_4) | instskip(SKIP_1) | instid1(VALU_DEP_4)
	v_dual_mov_b32 v15, v41 :: v_dual_mov_b32 v5, v23
	v_pk_add_f32 v[44:45], v[44:45], v[12:13] neg_lo:[0,1] neg_hi:[0,1]
	v_pk_fma_f32 v[22:23], v[6:7], v[0:1], v[24:25] op_sel:[0,0,1] op_sel_hi:[1,0,0]
	v_pk_fma_f32 v[6:7], v[6:7], v[0:1], v[24:25] op_sel:[0,0,1] op_sel_hi:[1,1,0] neg_lo:[0,0,1] neg_hi:[0,0,1]
	s_delay_alu instid0(VALU_DEP_4)
	v_pk_add_f32 v[74:75], v[74:75], v[14:15] neg_lo:[0,1] neg_hi:[0,1]
	ds_load_2addr_b64 v[12:15], v56 offset0:23 offset1:24
	v_pk_add_f32 v[70:71], v[70:71], v[4:5] neg_lo:[0,1] neg_hi:[0,1]
	s_wait_dscnt 0x2
	v_dual_mul_f32 v4, v9, v0 :: v_dual_mov_b32 v7, v23
	v_mul_f32_e32 v22, v9, v3
	v_pk_mul_f32 v[24:25], v[10:11], v[2:3] op_sel:[0,1]
	s_delay_alu instid0(VALU_DEP_3)
	v_pk_fma_f32 v[4:5], v[8:9], v[64:65], v[4:5] op_sel:[1,0,0] op_sel_hi:[0,1,0]
	s_wait_dscnt 0x1
	v_pk_mul_f32 v[32:33], v[18:19], v[2:3] op_sel:[0,1]
	v_pk_fma_f32 v[8:9], v[8:9], v[64:65], v[22:23] op_sel_hi:[1,1,0] neg_lo:[0,0,1] neg_hi:[0,0,1]
	v_pk_add_f32 v[72:73], v[72:73], v[6:7] neg_lo:[0,1] neg_hi:[0,1]
	v_pk_fma_f32 v[22:23], v[10:11], v[0:1], v[24:25] op_sel:[0,0,1] op_sel_hi:[1,0,0]
	v_mov_b32_e32 v9, v5
	ds_load_2addr_b64 v[4:7], v56 offset0:25 offset1:26
	v_pk_fma_f32 v[10:11], v[10:11], v[0:1], v[24:25] op_sel:[0,0,1] op_sel_hi:[1,1,0] neg_lo:[0,0,1] neg_hi:[0,0,1]
	v_pk_fma_f32 v[38:39], v[18:19], v[0:1], v[32:33] op_sel:[0,0,1] op_sel_hi:[1,0,0]
	v_mov_b32_e32 v11, v23
	v_pk_mul_f32 v[22:23], v[20:21], v[2:3] op_sel:[0,1]
	v_pk_fma_f32 v[18:19], v[18:19], v[0:1], v[32:33] op_sel:[0,0,1] op_sel_hi:[1,1,0] neg_lo:[0,0,1] neg_hi:[0,0,1]
	v_pk_add_f32 v[68:69], v[68:69], v[8:9] neg_lo:[0,1] neg_hi:[0,1]
	s_wait_dscnt 0x1
	v_pk_mul_f32 v[24:25], v[12:13], v[2:3] op_sel:[0,1]
	v_pk_add_f32 v[96:97], v[96:97], v[10:11] neg_lo:[0,1] neg_hi:[0,1]
	v_pk_fma_f32 v[32:33], v[20:21], v[0:1], v[22:23] op_sel:[0,0,1] op_sel_hi:[1,0,0]
	v_mov_b32_e32 v19, v39
	ds_load_2addr_b64 v[8:11], v56 offset0:27 offset1:28
	v_pk_fma_f32 v[20:21], v[20:21], v[0:1], v[22:23] op_sel:[0,0,1] op_sel_hi:[1,1,0] neg_lo:[0,0,1] neg_hi:[0,0,1]
	v_dual_mul_f32 v22, v15, v0 :: v_dual_mov_b32 v21, v33
	v_pk_add_f32 v[92:93], v[92:93], v[18:19] neg_lo:[0,1] neg_hi:[0,1]
	v_pk_fma_f32 v[18:19], v[12:13], v[0:1], v[24:25] op_sel:[0,0,1] op_sel_hi:[1,0,0]
	v_pk_fma_f32 v[12:13], v[12:13], v[0:1], v[24:25] op_sel:[0,0,1] op_sel_hi:[1,1,0] neg_lo:[0,0,1] neg_hi:[0,0,1]
	v_mov_b32_e32 v18, v15
	v_pk_add_f32 v[94:95], v[94:95], v[20:21] neg_lo:[0,1] neg_hi:[0,1]
	s_wait_dscnt 0x1
	v_pk_mul_f32 v[24:25], v[4:5], v[2:3] op_sel:[0,1]
	v_dual_mov_b32 v13, v19 :: v_dual_mov_b32 v19, v14
	v_pk_mul_f32 v[38:39], v[6:7], v[2:3] op_sel:[0,1]
	s_delay_alu instid0(VALU_DEP_3) | instskip(NEXT) | instid1(VALU_DEP_3)
	v_pk_fma_f32 v[32:33], v[4:5], v[0:1], v[24:25] op_sel:[0,0,1] op_sel_hi:[1,0,0]
	v_pk_add_f32 v[90:91], v[90:91], v[12:13] neg_lo:[0,1] neg_hi:[0,1]
	v_mul_f32_e32 v12, v15, v3
	v_pk_fma_f32 v[22:23], v[18:19], v[64:65], v[22:23] op_sel_hi:[1,1,0]
	ds_load_2addr_b64 v[18:21], v56 offset0:29 offset1:30
	v_pk_fma_f32 v[4:5], v[4:5], v[0:1], v[24:25] op_sel:[0,0,1] op_sel_hi:[1,1,0] neg_lo:[0,0,1] neg_hi:[0,0,1]
	v_mov_b32_e32 v5, v33
	v_pk_fma_f32 v[40:41], v[14:15], v[64:65], v[12:13] op_sel_hi:[1,1,0] neg_lo:[0,0,1] neg_hi:[0,0,1]
	v_mov_b32_e32 v41, v23
	v_pk_fma_f32 v[22:23], v[6:7], v[0:1], v[38:39] op_sel:[0,0,1] op_sel_hi:[1,0,0]
	ds_load_2addr_b64 v[12:15], v56 offset0:31 offset1:32
	s_wait_dscnt 0x2
	v_pk_mul_f32 v[24:25], v[8:9], v[2:3] op_sel:[0,1]
	v_pk_fma_f32 v[6:7], v[6:7], v[0:1], v[38:39] op_sel:[0,0,1] op_sel_hi:[1,1,0] neg_lo:[0,0,1] neg_hi:[0,0,1]
	v_pk_add_f32 v[108:109], v[108:109], v[4:5] neg_lo:[0,1] neg_hi:[0,1]
	v_mov_b32_e32 v7, v23
	v_pk_mul_f32 v[22:23], v[10:11], v[2:3] op_sel:[0,1]
	v_pk_fma_f32 v[32:33], v[8:9], v[0:1], v[24:25] op_sel:[0,0,1] op_sel_hi:[1,0,0]
	v_pk_fma_f32 v[8:9], v[8:9], v[0:1], v[24:25] op_sel:[0,0,1] op_sel_hi:[1,1,0] neg_lo:[0,0,1] neg_hi:[0,0,1]
	v_pk_add_f32 v[112:113], v[112:113], v[40:41] neg_lo:[0,1] neg_hi:[0,1]
	v_pk_add_f32 v[110:111], v[110:111], v[6:7] neg_lo:[0,1] neg_hi:[0,1]
	ds_load_2addr_b64 v[4:7], v56 offset0:33 offset1:34
	v_pk_fma_f32 v[24:25], v[10:11], v[0:1], v[22:23] op_sel:[0,0,1] op_sel_hi:[1,0,0]
	v_mov_b32_e32 v9, v33
	v_pk_fma_f32 v[10:11], v[10:11], v[0:1], v[22:23] op_sel:[0,0,1] op_sel_hi:[1,1,0] neg_lo:[0,0,1] neg_hi:[0,0,1]
	s_wait_dscnt 0x2
	v_dual_mul_f32 v22, v19, v0 :: v_dual_mul_f32 v24, v19, v3
	v_mov_b32_e32 v11, v25
	v_pk_add_f32 v[106:107], v[106:107], v[8:9] neg_lo:[0,1] neg_hi:[0,1]
	v_pk_mul_f32 v[8:9], v[20:21], v[2:3] op_sel:[0,1]
	s_delay_alu instid0(VALU_DEP_4)
	v_pk_fma_f32 v[22:23], v[18:19], v[64:65], v[22:23] op_sel:[1,0,0] op_sel_hi:[0,1,0]
	s_wait_dscnt 0x1
	v_pk_mul_f32 v[32:33], v[12:13], v[2:3] op_sel:[0,1]
	v_pk_add_f32 v[128:129], v[128:129], v[10:11] neg_lo:[0,1] neg_hi:[0,1]
	v_pk_fma_f32 v[18:19], v[18:19], v[64:65], v[24:25] op_sel_hi:[1,1,0] neg_lo:[0,0,1] neg_hi:[0,0,1]
	v_pk_fma_f32 v[10:11], v[20:21], v[0:1], v[8:9] op_sel:[0,0,1] op_sel_hi:[1,0,0]
	v_mov_b32_e32 v19, v23
	v_pk_fma_f32 v[20:21], v[20:21], v[0:1], v[8:9] op_sel:[0,0,1] op_sel_hi:[1,1,0] neg_lo:[0,0,1] neg_hi:[0,0,1]
	v_pk_fma_f32 v[22:23], v[12:13], v[0:1], v[32:33] op_sel:[0,0,1] op_sel_hi:[1,0,0]
	v_pk_mul_f32 v[24:25], v[14:15], v[2:3] op_sel:[0,1]
	v_mov_b32_e32 v21, v11
	ds_load_2addr_b64 v[8:11], v56 offset0:35 offset1:36
	v_pk_fma_f32 v[12:13], v[12:13], v[0:1], v[32:33] op_sel:[0,0,1] op_sel_hi:[1,1,0] neg_lo:[0,0,1] neg_hi:[0,0,1]
	v_pk_add_f32 v[124:125], v[124:125], v[18:19] neg_lo:[0,1] neg_hi:[0,1]
	v_pk_fma_f32 v[18:19], v[14:15], v[0:1], v[24:25] op_sel:[0,0,1] op_sel_hi:[1,0,0]
	v_mov_b32_e32 v13, v23
	s_wait_dscnt 0x1
	v_pk_mul_f32 v[22:23], v[4:5], v[2:3] op_sel:[0,1]
	v_pk_add_f32 v[126:127], v[126:127], v[20:21] neg_lo:[0,1] neg_hi:[0,1]
	v_pk_fma_f32 v[24:25], v[14:15], v[0:1], v[24:25] op_sel:[0,0,1] op_sel_hi:[1,1,0] neg_lo:[0,0,1] neg_hi:[0,0,1]
	v_mov_b32_e32 v25, v19
	v_pk_add_f32 v[122:123], v[122:123], v[12:13] neg_lo:[0,1] neg_hi:[0,1]
	v_pk_fma_f32 v[20:21], v[4:5], v[0:1], v[22:23] op_sel:[0,0,1] op_sel_hi:[1,0,0]
	ds_load_2addr_b64 v[12:15], v56 offset0:37 offset1:38
	v_pk_fma_f32 v[4:5], v[4:5], v[0:1], v[22:23] op_sel:[0,0,1] op_sel_hi:[1,1,0] neg_lo:[0,0,1] neg_hi:[0,0,1]
	v_dual_mov_b32 v18, v7 :: v_dual_mov_b32 v19, v6
	v_dual_mul_f32 v20, v7, v0 :: v_dual_mov_b32 v5, v21
	v_pk_add_f32 v[144:145], v[144:145], v[24:25] neg_lo:[0,1] neg_hi:[0,1]
	s_delay_alu instid0(VALU_DEP_2) | instskip(SKIP_1) | instid1(VALU_DEP_4)
	v_pk_fma_f32 v[24:25], v[18:19], v[64:65], v[20:21] op_sel_hi:[1,1,0]
	v_mul_f32_e32 v22, v7, v3
	v_pk_add_f32 v[140:141], v[140:141], v[4:5] neg_lo:[0,1] neg_hi:[0,1]
	s_wait_dscnt 0x1
	v_pk_mul_f32 v[4:5], v[8:9], v[2:3] op_sel:[0,1]
	v_pk_mul_f32 v[32:33], v[10:11], v[2:3] op_sel:[0,1]
	ds_load_2addr_b64 v[18:21], v56 offset0:39 offset1:40
	v_pk_fma_f32 v[22:23], v[6:7], v[64:65], v[22:23] op_sel_hi:[1,1,0] neg_lo:[0,0,1] neg_hi:[0,0,1]
	v_mov_b32_e32 v23, v25
	v_pk_fma_f32 v[38:39], v[8:9], v[0:1], v[4:5] op_sel:[0,0,1] op_sel_hi:[1,0,0]
	v_pk_fma_f32 v[24:25], v[10:11], v[0:1], v[32:33] op_sel:[0,0,1] op_sel_hi:[1,0,0]
	v_pk_fma_f32 v[8:9], v[8:9], v[0:1], v[4:5] op_sel:[0,0,1] op_sel_hi:[1,1,0] neg_lo:[0,0,1] neg_hi:[0,0,1]
	ds_load_2addr_b64 v[4:7], v56 offset0:41 offset1:42
	v_pk_fma_f32 v[10:11], v[10:11], v[0:1], v[32:33] op_sel:[0,0,1] op_sel_hi:[1,1,0] neg_lo:[0,0,1] neg_hi:[0,0,1]
	v_dual_mov_b32 v9, v39 :: v_dual_mov_b32 v11, v25
	s_wait_dscnt 0x2
	v_pk_mul_f32 v[32:33], v[12:13], v[2:3] op_sel:[0,1]
	v_pk_mul_f32 v[24:25], v[14:15], v[2:3] op_sel:[0,1]
	v_pk_add_f32 v[142:143], v[142:143], v[22:23] neg_lo:[0,1] neg_hi:[0,1]
	v_pk_add_f32 v[138:139], v[138:139], v[8:9] neg_lo:[0,1] neg_hi:[0,1]
	;; [unrolled: 1-line block ×3, first 2 shown]
	v_pk_fma_f32 v[22:23], v[12:13], v[0:1], v[32:33] op_sel:[0,0,1] op_sel_hi:[1,0,0]
	v_pk_fma_f32 v[8:9], v[14:15], v[0:1], v[24:25] op_sel:[0,0,1] op_sel_hi:[1,0,0]
	v_pk_fma_f32 v[12:13], v[12:13], v[0:1], v[32:33] op_sel:[0,0,1] op_sel_hi:[1,1,0] neg_lo:[0,0,1] neg_hi:[0,0,1]
	v_pk_fma_f32 v[14:15], v[14:15], v[0:1], v[24:25] op_sel:[0,0,1] op_sel_hi:[1,1,0] neg_lo:[0,0,1] neg_hi:[0,0,1]
	s_delay_alu instid0(VALU_DEP_3)
	v_dual_mov_b32 v13, v23 :: v_dual_mov_b32 v15, v9
	ds_load_2addr_b64 v[8:11], v56 offset0:43 offset1:44
	s_wait_dscnt 0x2
	v_dual_mul_f32 v22, v19, v0 :: v_dual_mul_f32 v24, v19, v3
	v_pk_add_f32 v[160:161], v[160:161], v[12:13] neg_lo:[0,1] neg_hi:[0,1]
	v_pk_add_f32 v[162:163], v[162:163], v[14:15] neg_lo:[0,1] neg_hi:[0,1]
	s_wait_dscnt 0x1
	v_pk_mul_f32 v[38:39], v[6:7], v[2:3] op_sel:[0,1]
	v_pk_fma_f32 v[12:13], v[18:19], v[64:65], v[22:23] op_sel:[1,0,0] op_sel_hi:[0,1,0]
	v_pk_mul_f32 v[22:23], v[20:21], v[2:3] op_sel:[0,1]
	v_pk_fma_f32 v[18:19], v[18:19], v[64:65], v[24:25] op_sel_hi:[1,1,0] neg_lo:[0,0,1] neg_hi:[0,0,1]
	v_pk_mul_f32 v[24:25], v[4:5], v[2:3] op_sel:[0,1]
	s_delay_alu instid0(VALU_DEP_3) | instskip(SKIP_2) | instid1(VALU_DEP_4)
	v_pk_fma_f32 v[32:33], v[20:21], v[0:1], v[22:23] op_sel:[0,0,1] op_sel_hi:[1,0,0]
	v_mov_b32_e32 v19, v13
	v_pk_fma_f32 v[20:21], v[20:21], v[0:1], v[22:23] op_sel:[0,0,1] op_sel_hi:[1,1,0] neg_lo:[0,0,1] neg_hi:[0,0,1]
	v_pk_fma_f32 v[22:23], v[4:5], v[0:1], v[24:25] op_sel:[0,0,1] op_sel_hi:[1,0,0]
	ds_load_2addr_b64 v[12:15], v56 offset0:45 offset1:46
	v_pk_fma_f32 v[4:5], v[4:5], v[0:1], v[24:25] op_sel:[0,0,1] op_sel_hi:[1,1,0] neg_lo:[0,0,1] neg_hi:[0,0,1]
	ds_load_b64 v[24:25], v56 offset:376
	v_mov_b32_e32 v21, v33
	v_pk_fma_f32 v[32:33], v[6:7], v[0:1], v[38:39] op_sel:[0,0,1] op_sel_hi:[1,0,0]
	v_mov_b32_e32 v5, v23
	v_pk_fma_f32 v[6:7], v[6:7], v[0:1], v[38:39] op_sel:[0,0,1] op_sel_hi:[1,1,0] neg_lo:[0,0,1] neg_hi:[0,0,1]
	s_wait_dscnt 0x2
	v_pk_mul_f32 v[22:23], v[8:9], v[2:3] op_sel:[0,1]
	v_pk_add_f32 v[158:159], v[158:159], v[18:19] neg_lo:[0,1] neg_hi:[0,1]
	v_mov_b32_e32 v7, v33
	v_pk_add_f32 v[182:183], v[182:183], v[4:5] neg_lo:[0,1] neg_hi:[0,1]
	v_mul_f32_e32 v18, v11, v3
	v_pk_fma_f32 v[4:5], v[8:9], v[0:1], v[22:23] op_sel:[0,0,1] op_sel_hi:[1,0,0]
	v_mul_f32_e32 v4, v11, v0
	v_pk_add_f32 v[186:187], v[186:187], v[6:7] neg_lo:[0,1] neg_hi:[0,1]
	v_dual_mov_b32 v6, v11 :: v_dual_mov_b32 v7, v10
	v_pk_fma_f32 v[8:9], v[8:9], v[0:1], v[22:23] op_sel:[0,0,1] op_sel_hi:[1,1,0] neg_lo:[0,0,1] neg_hi:[0,0,1]
	v_pk_add_f32 v[188:189], v[188:189], v[20:21] neg_lo:[0,1] neg_hi:[0,1]
	v_mov_b32_e32 v9, v5
	s_wait_dscnt 0x1
	v_pk_mul_f32 v[20:21], v[12:13], v[2:3] op_sel:[0,1]
	v_pk_fma_f32 v[4:5], v[6:7], v[64:65], v[4:5] op_sel_hi:[1,1,0]
	v_pk_mul_f32 v[6:7], v[14:15], v[2:3] op_sel:[0,1]
	s_wait_dscnt 0x0
	v_pk_mul_f32 v[2:3], v[24:25], v[2:3] op_sel:[0,1]
	v_pk_fma_f32 v[10:11], v[10:11], v[64:65], v[18:19] op_sel_hi:[1,1,0] neg_lo:[0,0,1] neg_hi:[0,0,1]
	v_pk_fma_f32 v[18:19], v[12:13], v[0:1], v[20:21] op_sel:[0,0,1] op_sel_hi:[1,0,0]
	v_mov_b32_e32 v11, v5
	v_pk_fma_f32 v[4:5], v[14:15], v[0:1], v[6:7] op_sel:[0,0,1] op_sel_hi:[1,0,0]
	v_pk_fma_f32 v[12:13], v[12:13], v[0:1], v[20:21] op_sel:[0,0,1] op_sel_hi:[1,1,0] neg_lo:[0,0,1] neg_hi:[0,0,1]
	v_pk_fma_f32 v[20:21], v[24:25], v[0:1], v[2:3] op_sel:[0,0,1] op_sel_hi:[1,0,0]
	v_pk_fma_f32 v[6:7], v[14:15], v[0:1], v[6:7] op_sel:[0,0,1] op_sel_hi:[1,1,0] neg_lo:[0,0,1] neg_hi:[0,0,1]
	v_pk_fma_f32 v[0:1], v[24:25], v[0:1], v[2:3] op_sel:[0,0,1] op_sel_hi:[1,1,0] neg_lo:[0,0,1] neg_hi:[0,0,1]
	v_dual_mov_b32 v13, v19 :: v_dual_mov_b32 v7, v5
	s_delay_alu instid0(VALU_DEP_4) | instskip(SKIP_2) | instid1(VALU_DEP_4)
	v_mov_b32_e32 v1, v21
	v_pk_add_f32 v[180:181], v[180:181], v[8:9] neg_lo:[0,1] neg_hi:[0,1]
	v_pk_add_f32 v[184:185], v[184:185], v[10:11] neg_lo:[0,1] neg_hi:[0,1]
	;; [unrolled: 1-line block ×5, first 2 shown]
.LBB95_10:
	s_wait_xcnt 0x0
	s_or_b32 exec_lo, exec_lo, s2
	s_delay_alu instid0(SALU_CYCLE_1)
	s_mov_b32 s2, exec_lo
	s_wait_storecnt 0x0
	s_barrier_signal -1
	s_barrier_wait -1
	v_cmpx_eq_u32_e32 1, v54
	s_cbranch_execz .LBB95_17
; %bb.11:
	v_dual_mov_b32 v0, v88 :: v_dual_mov_b32 v1, v89
	v_dual_mov_b32 v2, v86 :: v_dual_mov_b32 v3, v87
	;; [unrolled: 1-line block ×10, first 2 shown]
	ds_store_b64 v55, v[66:67]
	v_dual_mov_b32 v22, v50 :: v_dual_mov_b32 v23, v51
	v_dual_mov_b32 v24, v46 :: v_dual_mov_b32 v25, v47
	ds_store_2addr_b64 v56, v[0:1], v[2:3] offset0:2 offset1:3
	ds_store_2addr_b64 v56, v[4:5], v[6:7] offset0:4 offset1:5
	;; [unrolled: 1-line block ×6, first 2 shown]
	v_dual_mov_b32 v0, v48 :: v_dual_mov_b32 v1, v49
	v_dual_mov_b32 v2, v44 :: v_dual_mov_b32 v3, v45
	;; [unrolled: 1-line block ×12, first 2 shown]
	ds_store_2addr_b64 v56, v[0:1], v[2:3] offset0:14 offset1:15
	ds_store_2addr_b64 v56, v[4:5], v[6:7] offset0:16 offset1:17
	;; [unrolled: 1-line block ×6, first 2 shown]
	v_dual_mov_b32 v0, v110 :: v_dual_mov_b32 v1, v111
	v_dual_mov_b32 v2, v106 :: v_dual_mov_b32 v3, v107
	v_dual_mov_b32 v4, v128 :: v_dual_mov_b32 v5, v129
	v_dual_mov_b32 v6, v124 :: v_dual_mov_b32 v7, v125
	v_dual_mov_b32 v8, v126 :: v_dual_mov_b32 v9, v127
	v_dual_mov_b32 v10, v122 :: v_dual_mov_b32 v11, v123
	v_dual_mov_b32 v12, v144 :: v_dual_mov_b32 v13, v145
	v_dual_mov_b32 v14, v140 :: v_dual_mov_b32 v15, v141
	v_dual_mov_b32 v18, v142 :: v_dual_mov_b32 v19, v143
	v_dual_mov_b32 v20, v138 :: v_dual_mov_b32 v21, v139
	v_dual_mov_b32 v22, v164 :: v_dual_mov_b32 v23, v165
	v_dual_mov_b32 v24, v160 :: v_dual_mov_b32 v25, v161
	ds_store_2addr_b64 v56, v[0:1], v[2:3] offset0:26 offset1:27
	ds_store_2addr_b64 v56, v[4:5], v[6:7] offset0:28 offset1:29
	ds_store_2addr_b64 v56, v[8:9], v[10:11] offset0:30 offset1:31
	ds_store_2addr_b64 v56, v[12:13], v[14:15] offset0:32 offset1:33
	ds_store_2addr_b64 v56, v[18:19], v[20:21] offset0:34 offset1:35
	ds_store_2addr_b64 v56, v[22:23], v[24:25] offset0:36 offset1:37
	v_dual_mov_b32 v0, v162 :: v_dual_mov_b32 v1, v163
	v_dual_mov_b32 v2, v158 :: v_dual_mov_b32 v3, v159
	;; [unrolled: 1-line block ×9, first 2 shown]
	ds_store_2addr_b64 v56, v[0:1], v[2:3] offset0:38 offset1:39
	ds_store_2addr_b64 v56, v[4:5], v[6:7] offset0:40 offset1:41
	;; [unrolled: 1-line block ×5, first 2 shown]
	ds_load_b64 v[0:1], v55
	s_wait_dscnt 0x0
	v_cmp_neq_f32_e32 vcc_lo, 0, v0
	v_cmp_neq_f32_e64 s1, 0, v1
	s_or_b32 s1, vcc_lo, s1
	s_delay_alu instid0(SALU_CYCLE_1)
	s_and_b32 exec_lo, exec_lo, s1
	s_cbranch_execz .LBB95_17
; %bb.12:
	v_cmp_ngt_f32_e64 s1, |v0|, |v1|
                                        ; implicit-def: $vgpr2_vgpr3
	s_and_saveexec_b32 s4, s1
	s_delay_alu instid0(SALU_CYCLE_1)
	s_xor_b32 s1, exec_lo, s4
	s_cbranch_execz .LBB95_14
; %bb.13:
	v_div_scale_f32 v2, null, v1, v1, v0
	v_div_scale_f32 v5, vcc_lo, v0, v1, v0
	s_delay_alu instid0(VALU_DEP_2) | instskip(SKIP_1) | instid1(TRANS32_DEP_1)
	v_rcp_f32_e32 v3, v2
	v_nop
	v_fma_f32 v4, -v2, v3, 1.0
	s_delay_alu instid0(VALU_DEP_1) | instskip(NEXT) | instid1(VALU_DEP_1)
	v_fmac_f32_e32 v3, v4, v3
	v_mul_f32_e32 v4, v5, v3
	s_delay_alu instid0(VALU_DEP_1) | instskip(NEXT) | instid1(VALU_DEP_1)
	v_fma_f32 v6, -v2, v4, v5
	v_fmac_f32_e32 v4, v6, v3
	s_delay_alu instid0(VALU_DEP_1) | instskip(NEXT) | instid1(VALU_DEP_1)
	v_fma_f32 v2, -v2, v4, v5
	v_div_fmas_f32 v2, v2, v3, v4
	s_delay_alu instid0(VALU_DEP_1) | instskip(NEXT) | instid1(VALU_DEP_1)
	v_div_fixup_f32 v2, v2, v1, v0
	v_fmac_f32_e32 v1, v0, v2
	s_delay_alu instid0(VALU_DEP_1) | instskip(SKIP_1) | instid1(VALU_DEP_2)
	v_div_scale_f32 v0, null, v1, v1, 1.0
	v_div_scale_f32 v5, vcc_lo, 1.0, v1, 1.0
	v_rcp_f32_e32 v3, v0
	v_nop
	s_delay_alu instid0(TRANS32_DEP_1) | instskip(NEXT) | instid1(VALU_DEP_1)
	v_fma_f32 v4, -v0, v3, 1.0
	v_fmac_f32_e32 v3, v4, v3
	s_delay_alu instid0(VALU_DEP_1) | instskip(NEXT) | instid1(VALU_DEP_1)
	v_mul_f32_e32 v4, v5, v3
	v_fma_f32 v6, -v0, v4, v5
	s_delay_alu instid0(VALU_DEP_1) | instskip(NEXT) | instid1(VALU_DEP_1)
	v_fmac_f32_e32 v4, v6, v3
	v_fma_f32 v0, -v0, v4, v5
	s_delay_alu instid0(VALU_DEP_1) | instskip(NEXT) | instid1(VALU_DEP_1)
	v_div_fmas_f32 v0, v0, v3, v4
	v_div_fixup_f32 v0, v0, v1, 1.0
	s_delay_alu instid0(VALU_DEP_1)
	v_mul_f32_e32 v2, v2, v0
	v_xor_b32_e32 v3, 0x80000000, v0
                                        ; implicit-def: $vgpr0_vgpr1
.LBB95_14:
	s_and_not1_saveexec_b32 s1, s1
	s_cbranch_execz .LBB95_16
; %bb.15:
	v_div_scale_f32 v2, null, v0, v0, v1
	v_div_scale_f32 v5, vcc_lo, v1, v0, v1
	s_delay_alu instid0(VALU_DEP_2) | instskip(SKIP_1) | instid1(TRANS32_DEP_1)
	v_rcp_f32_e32 v3, v2
	v_nop
	v_fma_f32 v4, -v2, v3, 1.0
	s_delay_alu instid0(VALU_DEP_1) | instskip(NEXT) | instid1(VALU_DEP_1)
	v_fmac_f32_e32 v3, v4, v3
	v_mul_f32_e32 v4, v5, v3
	s_delay_alu instid0(VALU_DEP_1) | instskip(NEXT) | instid1(VALU_DEP_1)
	v_fma_f32 v6, -v2, v4, v5
	v_fmac_f32_e32 v4, v6, v3
	s_delay_alu instid0(VALU_DEP_1) | instskip(NEXT) | instid1(VALU_DEP_1)
	v_fma_f32 v2, -v2, v4, v5
	v_div_fmas_f32 v2, v2, v3, v4
	s_delay_alu instid0(VALU_DEP_1) | instskip(NEXT) | instid1(VALU_DEP_1)
	v_div_fixup_f32 v3, v2, v0, v1
	v_fmac_f32_e32 v0, v1, v3
	s_delay_alu instid0(VALU_DEP_1) | instskip(NEXT) | instid1(VALU_DEP_1)
	v_div_scale_f32 v1, null, v0, v0, 1.0
	v_rcp_f32_e32 v2, v1
	v_nop
	s_delay_alu instid0(TRANS32_DEP_1) | instskip(NEXT) | instid1(VALU_DEP_1)
	v_fma_f32 v4, -v1, v2, 1.0
	v_fmac_f32_e32 v2, v4, v2
	v_div_scale_f32 v4, vcc_lo, 1.0, v0, 1.0
	s_delay_alu instid0(VALU_DEP_1) | instskip(NEXT) | instid1(VALU_DEP_1)
	v_mul_f32_e32 v5, v4, v2
	v_fma_f32 v6, -v1, v5, v4
	s_delay_alu instid0(VALU_DEP_1) | instskip(NEXT) | instid1(VALU_DEP_1)
	v_fmac_f32_e32 v5, v6, v2
	v_fma_f32 v1, -v1, v5, v4
	s_delay_alu instid0(VALU_DEP_1) | instskip(NEXT) | instid1(VALU_DEP_1)
	v_div_fmas_f32 v1, v1, v2, v5
	v_div_fixup_f32 v2, v1, v0, 1.0
	s_delay_alu instid0(VALU_DEP_1)
	v_mul_f32_e64 v3, v3, -v2
.LBB95_16:
	s_or_b32 exec_lo, exec_lo, s1
	ds_store_b64 v55, v[2:3]
.LBB95_17:
	s_or_b32 exec_lo, exec_lo, s2
	s_wait_dscnt 0x0
	s_barrier_signal -1
	s_barrier_wait -1
	ds_load_b64 v[196:197], v55
	s_mov_b32 s1, exec_lo
	v_cmpx_lt_u32_e32 1, v54
	s_cbranch_execz .LBB95_19
; %bb.18:
	ds_load_2addr_b64 v[4:7], v56 offset0:2 offset1:3
	ds_load_2addr_b64 v[8:11], v56 offset0:4 offset1:5
	;; [unrolled: 1-line block ×3, first 2 shown]
	s_wait_dscnt 0x3
	v_pk_mul_f32 v[2:3], v[196:197], v[66:67] op_sel:[1,1] op_sel_hi:[0,1]
	ds_load_2addr_b64 v[18:21], v56 offset0:8 offset1:9
	ds_load_2addr_b64 v[22:25], v56 offset0:10 offset1:11
	v_pk_fma_f32 v[0:1], v[196:197], v[66:67], v[2:3] op_sel_hi:[1,0,1] neg_lo:[0,0,1] neg_hi:[0,0,1]
	v_pk_fma_f32 v[2:3], v[196:197], v[66:67], v[2:3] op_sel_hi:[1,0,1]
	s_delay_alu instid0(VALU_DEP_1) | instskip(SKIP_1) | instid1(VALU_DEP_2)
	v_dual_mov_b32 v66, v0 :: v_dual_mov_b32 v67, v3
	s_wait_dscnt 0x4
	v_pk_mul_f32 v[32:33], v[4:5], v[2:3] op_sel:[0,1]
	v_pk_mul_f32 v[38:39], v[6:7], v[2:3] op_sel:[0,1]
	s_wait_dscnt 0x3
	v_pk_mul_f32 v[40:41], v[8:9], v[2:3] op_sel:[0,1]
	s_wait_dscnt 0x2
	v_pk_mul_f32 v[78:79], v[12:13], v[2:3] op_sel:[0,1]
	v_dual_mov_b32 v42, v11 :: v_dual_mov_b32 v43, v10
	v_pk_fma_f32 v[202:203], v[4:5], v[0:1], v[32:33] op_sel:[0,0,1] op_sel_hi:[1,1,0] neg_lo:[0,0,1] neg_hi:[0,0,1]
	v_pk_fma_f32 v[4:5], v[4:5], v[0:1], v[32:33] op_sel:[0,0,1] op_sel_hi:[1,0,0]
	v_pk_fma_f32 v[32:33], v[6:7], v[0:1], v[38:39] op_sel:[0,0,1] op_sel_hi:[1,1,0] neg_lo:[0,0,1] neg_hi:[0,0,1]
	v_pk_fma_f32 v[6:7], v[6:7], v[0:1], v[38:39] op_sel:[0,0,1] op_sel_hi:[1,0,0]
	v_dual_mul_f32 v52, v11, v3 :: v_dual_mul_f32 v76, v11, v0
	v_pk_mul_f32 v[198:199], v[14:15], v[2:3] op_sel:[0,1]
	v_pk_fma_f32 v[38:39], v[8:9], v[0:1], v[40:41] op_sel:[0,0,1] op_sel_hi:[1,1,0] neg_lo:[0,0,1] neg_hi:[0,0,1]
	v_pk_fma_f32 v[8:9], v[8:9], v[0:1], v[40:41] op_sel:[0,0,1] op_sel_hi:[1,0,0]
	s_wait_dscnt 0x1
	v_pk_mul_f32 v[200:201], v[18:19], v[2:3] op_sel:[0,1]
	v_dual_mov_b32 v203, v5 :: v_dual_mov_b32 v33, v7
	v_pk_fma_f32 v[4:5], v[12:13], v[0:1], v[78:79] op_sel:[0,0,1] op_sel_hi:[1,0,0]
	v_pk_fma_f32 v[40:41], v[42:43], v[66:67], v[76:77] op_sel_hi:[1,1,0]
	v_mov_b32_e32 v39, v9
	v_pk_fma_f32 v[8:9], v[12:13], v[0:1], v[78:79] op_sel:[0,0,1] op_sel_hi:[1,1,0] neg_lo:[0,0,1] neg_hi:[0,0,1]
	v_pk_fma_f32 v[12:13], v[14:15], v[0:1], v[198:199] op_sel:[0,0,1] op_sel_hi:[1,0,0]
	v_pk_add_f32 v[86:87], v[86:87], v[32:33] neg_lo:[0,1] neg_hi:[0,1]
	v_pk_fma_f32 v[32:33], v[18:19], v[0:1], v[200:201] op_sel:[0,0,1] op_sel_hi:[1,0,0]
	v_mov_b32_e32 v9, v5
	ds_load_2addr_b64 v[4:7], v56 offset0:12 offset1:13
	v_pk_fma_f32 v[14:15], v[14:15], v[0:1], v[198:199] op_sel:[0,0,1] op_sel_hi:[1,1,0] neg_lo:[0,0,1] neg_hi:[0,0,1]
	v_mov_b32_e32 v15, v13
	v_pk_fma_f32 v[12:13], v[18:19], v[0:1], v[200:201] op_sel:[0,0,1] op_sel_hi:[1,1,0] neg_lo:[0,0,1] neg_hi:[0,0,1]
	v_mov_b32_e32 v13, v33
	v_pk_fma_f32 v[10:11], v[10:11], v[66:67], v[52:53] op_sel_hi:[1,1,0] neg_lo:[0,0,1] neg_hi:[0,0,1]
	v_pk_mul_f32 v[18:19], v[20:21], v[2:3] op_sel:[0,1]
	v_mov_b32_e32 v11, v41
	s_wait_dscnt 0x1
	v_pk_mul_f32 v[32:33], v[24:25], v[2:3] op_sel:[0,1]
	v_pk_add_f32 v[84:85], v[84:85], v[12:13] neg_lo:[0,1] neg_hi:[0,1]
	v_mul_f32_e32 v12, v23, v0
	v_pk_add_f32 v[60:61], v[60:61], v[14:15] neg_lo:[0,1] neg_hi:[0,1]
	v_pk_fma_f32 v[14:15], v[20:21], v[0:1], v[18:19] op_sel:[0,0,1] op_sel_hi:[1,0,0]
	v_pk_add_f32 v[34:35], v[34:35], v[10:11] neg_lo:[0,1] neg_hi:[0,1]
	v_pk_add_f32 v[36:37], v[36:37], v[8:9] neg_lo:[0,1] neg_hi:[0,1]
	ds_load_2addr_b64 v[8:11], v56 offset0:14 offset1:15
	v_pk_fma_f32 v[12:13], v[22:23], v[66:67], v[12:13] op_sel:[1,0,0] op_sel_hi:[0,1,0]
	v_mul_f32_e32 v14, v23, v3
	v_pk_fma_f32 v[18:19], v[20:21], v[0:1], v[18:19] op_sel:[0,0,1] op_sel_hi:[1,1,0] neg_lo:[0,0,1] neg_hi:[0,0,1]
	v_pk_fma_f32 v[20:21], v[24:25], v[0:1], v[32:33] op_sel:[0,0,1] op_sel_hi:[1,0,0]
	v_mov_b32_e32 v19, v15
	v_pk_add_f32 v[62:63], v[62:63], v[38:39] neg_lo:[0,1] neg_hi:[0,1]
	v_pk_fma_f32 v[14:15], v[22:23], v[66:67], v[14:15] op_sel_hi:[1,1,0] neg_lo:[0,0,1] neg_hi:[0,0,1]
	v_mov_b32_e32 v15, v13
	v_pk_fma_f32 v[12:13], v[24:25], v[0:1], v[32:33] op_sel:[0,0,1] op_sel_hi:[1,1,0] neg_lo:[0,0,1] neg_hi:[0,0,1]
	s_wait_dscnt 0x1
	v_pk_mul_f32 v[22:23], v[4:5], v[2:3] op_sel:[0,1]
	v_mov_b32_e32 v13, v21
	v_pk_add_f32 v[28:29], v[28:29], v[18:19] neg_lo:[0,1] neg_hi:[0,1]
	v_pk_add_f32 v[30:31], v[30:31], v[14:15] neg_lo:[0,1] neg_hi:[0,1]
	v_pk_mul_f32 v[20:21], v[6:7], v[2:3] op_sel:[0,1]
	v_pk_fma_f32 v[18:19], v[4:5], v[0:1], v[22:23] op_sel:[0,0,1] op_sel_hi:[1,0,0]
	v_pk_add_f32 v[26:27], v[26:27], v[12:13] neg_lo:[0,1] neg_hi:[0,1]
	ds_load_2addr_b64 v[12:15], v56 offset0:16 offset1:17
	v_pk_fma_f32 v[22:23], v[4:5], v[0:1], v[22:23] op_sel:[0,0,1] op_sel_hi:[1,1,0] neg_lo:[0,0,1] neg_hi:[0,0,1]
	v_pk_add_f32 v[88:89], v[88:89], v[202:203] neg_lo:[0,1] neg_hi:[0,1]
	s_wait_dscnt 0x1
	v_dual_mov_b32 v23, v19 :: v_dual_mov_b32 v32, v11
	v_pk_fma_f32 v[18:19], v[6:7], v[0:1], v[20:21] op_sel:[0,0,1] op_sel_hi:[1,1,0] neg_lo:[0,0,1] neg_hi:[0,0,1]
	v_pk_fma_f32 v[20:21], v[6:7], v[0:1], v[20:21] op_sel:[0,0,1] op_sel_hi:[1,0,0]
	ds_load_2addr_b64 v[4:7], v56 offset0:18 offset1:19
	v_pk_mul_f32 v[24:25], v[8:9], v[2:3] op_sel:[0,1]
	v_dual_mov_b32 v33, v10 :: v_dual_mul_f32 v20, v11, v0
	v_mov_b32_e32 v19, v21
	v_pk_add_f32 v[50:51], v[50:51], v[22:23] neg_lo:[0,1] neg_hi:[0,1]
	s_delay_alu instid0(VALU_DEP_4)
	v_pk_fma_f32 v[22:23], v[8:9], v[0:1], v[24:25] op_sel:[0,0,1] op_sel_hi:[1,0,0]
	v_mul_f32_e32 v22, v11, v3
	v_pk_fma_f32 v[20:21], v[32:33], v[66:67], v[20:21] op_sel_hi:[1,1,0]
	v_pk_add_f32 v[46:47], v[46:47], v[18:19] neg_lo:[0,1] neg_hi:[0,1]
	v_pk_fma_f32 v[18:19], v[8:9], v[0:1], v[24:25] op_sel:[0,0,1] op_sel_hi:[1,1,0] neg_lo:[0,0,1] neg_hi:[0,0,1]
	v_mov_b32_e32 v19, v23
	v_pk_fma_f32 v[22:23], v[10:11], v[66:67], v[22:23] op_sel_hi:[1,1,0] neg_lo:[0,0,1] neg_hi:[0,0,1]
	v_mov_b32_e32 v23, v21
	s_wait_dscnt 0x1
	v_pk_mul_f32 v[24:25], v[12:13], v[2:3] op_sel:[0,1]
	ds_load_2addr_b64 v[8:11], v56 offset0:20 offset1:21
	v_pk_mul_f32 v[32:33], v[14:15], v[2:3] op_sel:[0,1]
	v_pk_add_f32 v[48:49], v[48:49], v[18:19] neg_lo:[0,1] neg_hi:[0,1]
	v_pk_add_f32 v[44:45], v[44:45], v[22:23] neg_lo:[0,1] neg_hi:[0,1]
	v_pk_fma_f32 v[22:23], v[12:13], v[0:1], v[24:25] op_sel:[0,0,1] op_sel_hi:[1,0,0]
	s_wait_dscnt 0x1
	v_pk_mul_f32 v[38:39], v[4:5], v[2:3] op_sel:[0,1]
	v_pk_fma_f32 v[12:13], v[12:13], v[0:1], v[24:25] op_sel:[0,0,1] op_sel_hi:[1,1,0] neg_lo:[0,0,1] neg_hi:[0,0,1]
	v_pk_fma_f32 v[40:41], v[14:15], v[0:1], v[32:33] op_sel:[0,0,1] op_sel_hi:[1,0,0]
	ds_load_2addr_b64 v[18:21], v56 offset0:22 offset1:23
	v_mov_b32_e32 v13, v23
	v_pk_fma_f32 v[22:23], v[4:5], v[0:1], v[38:39] op_sel:[0,0,1] op_sel_hi:[1,0,0]
	v_pk_fma_f32 v[14:15], v[14:15], v[0:1], v[32:33] op_sel:[0,0,1] op_sel_hi:[1,1,0] neg_lo:[0,0,1] neg_hi:[0,0,1]
	v_pk_mul_f32 v[24:25], v[6:7], v[2:3] op_sel:[0,1]
	v_pk_fma_f32 v[4:5], v[4:5], v[0:1], v[38:39] op_sel:[0,0,1] op_sel_hi:[1,1,0] neg_lo:[0,0,1] neg_hi:[0,0,1]
	s_delay_alu instid0(VALU_DEP_4) | instskip(SKIP_1) | instid1(VALU_DEP_4)
	v_dual_mov_b32 v15, v41 :: v_dual_mov_b32 v5, v23
	v_pk_add_f32 v[74:75], v[74:75], v[12:13] neg_lo:[0,1] neg_hi:[0,1]
	v_pk_fma_f32 v[22:23], v[6:7], v[0:1], v[24:25] op_sel:[0,0,1] op_sel_hi:[1,0,0]
	v_pk_fma_f32 v[6:7], v[6:7], v[0:1], v[24:25] op_sel:[0,0,1] op_sel_hi:[1,1,0] neg_lo:[0,0,1] neg_hi:[0,0,1]
	s_delay_alu instid0(VALU_DEP_4)
	v_pk_add_f32 v[70:71], v[70:71], v[14:15] neg_lo:[0,1] neg_hi:[0,1]
	ds_load_2addr_b64 v[12:15], v56 offset0:24 offset1:25
	v_pk_add_f32 v[72:73], v[72:73], v[4:5] neg_lo:[0,1] neg_hi:[0,1]
	s_wait_dscnt 0x2
	v_dual_mul_f32 v4, v9, v0 :: v_dual_mov_b32 v7, v23
	v_mul_f32_e32 v22, v9, v3
	v_pk_mul_f32 v[24:25], v[10:11], v[2:3] op_sel:[0,1]
	s_delay_alu instid0(VALU_DEP_3)
	v_pk_fma_f32 v[4:5], v[8:9], v[66:67], v[4:5] op_sel:[1,0,0] op_sel_hi:[0,1,0]
	s_wait_dscnt 0x1
	v_pk_mul_f32 v[32:33], v[18:19], v[2:3] op_sel:[0,1]
	v_pk_fma_f32 v[8:9], v[8:9], v[66:67], v[22:23] op_sel_hi:[1,1,0] neg_lo:[0,0,1] neg_hi:[0,0,1]
	v_pk_add_f32 v[68:69], v[68:69], v[6:7] neg_lo:[0,1] neg_hi:[0,1]
	v_pk_fma_f32 v[22:23], v[10:11], v[0:1], v[24:25] op_sel:[0,0,1] op_sel_hi:[1,0,0]
	v_mov_b32_e32 v9, v5
	ds_load_2addr_b64 v[4:7], v56 offset0:26 offset1:27
	v_pk_fma_f32 v[10:11], v[10:11], v[0:1], v[24:25] op_sel:[0,0,1] op_sel_hi:[1,1,0] neg_lo:[0,0,1] neg_hi:[0,0,1]
	v_pk_fma_f32 v[38:39], v[18:19], v[0:1], v[32:33] op_sel:[0,0,1] op_sel_hi:[1,0,0]
	v_mov_b32_e32 v11, v23
	v_pk_mul_f32 v[22:23], v[20:21], v[2:3] op_sel:[0,1]
	v_pk_fma_f32 v[18:19], v[18:19], v[0:1], v[32:33] op_sel:[0,0,1] op_sel_hi:[1,1,0] neg_lo:[0,0,1] neg_hi:[0,0,1]
	v_pk_add_f32 v[96:97], v[96:97], v[8:9] neg_lo:[0,1] neg_hi:[0,1]
	s_wait_dscnt 0x1
	v_pk_mul_f32 v[24:25], v[12:13], v[2:3] op_sel:[0,1]
	v_pk_add_f32 v[92:93], v[92:93], v[10:11] neg_lo:[0,1] neg_hi:[0,1]
	v_pk_fma_f32 v[32:33], v[20:21], v[0:1], v[22:23] op_sel:[0,0,1] op_sel_hi:[1,0,0]
	v_mov_b32_e32 v19, v39
	ds_load_2addr_b64 v[8:11], v56 offset0:28 offset1:29
	v_pk_fma_f32 v[20:21], v[20:21], v[0:1], v[22:23] op_sel:[0,0,1] op_sel_hi:[1,1,0] neg_lo:[0,0,1] neg_hi:[0,0,1]
	v_dual_mul_f32 v22, v15, v0 :: v_dual_mov_b32 v21, v33
	v_pk_add_f32 v[94:95], v[94:95], v[18:19] neg_lo:[0,1] neg_hi:[0,1]
	v_pk_fma_f32 v[18:19], v[12:13], v[0:1], v[24:25] op_sel:[0,0,1] op_sel_hi:[1,0,0]
	v_pk_fma_f32 v[12:13], v[12:13], v[0:1], v[24:25] op_sel:[0,0,1] op_sel_hi:[1,1,0] neg_lo:[0,0,1] neg_hi:[0,0,1]
	v_mov_b32_e32 v18, v15
	v_pk_add_f32 v[90:91], v[90:91], v[20:21] neg_lo:[0,1] neg_hi:[0,1]
	s_wait_dscnt 0x1
	v_pk_mul_f32 v[24:25], v[4:5], v[2:3] op_sel:[0,1]
	v_dual_mov_b32 v13, v19 :: v_dual_mov_b32 v19, v14
	v_pk_mul_f32 v[38:39], v[6:7], v[2:3] op_sel:[0,1]
	s_delay_alu instid0(VALU_DEP_3) | instskip(NEXT) | instid1(VALU_DEP_3)
	v_pk_fma_f32 v[32:33], v[4:5], v[0:1], v[24:25] op_sel:[0,0,1] op_sel_hi:[1,0,0]
	v_pk_add_f32 v[112:113], v[112:113], v[12:13] neg_lo:[0,1] neg_hi:[0,1]
	v_mul_f32_e32 v12, v15, v3
	v_pk_fma_f32 v[22:23], v[18:19], v[66:67], v[22:23] op_sel_hi:[1,1,0]
	ds_load_2addr_b64 v[18:21], v56 offset0:30 offset1:31
	v_pk_fma_f32 v[4:5], v[4:5], v[0:1], v[24:25] op_sel:[0,0,1] op_sel_hi:[1,1,0] neg_lo:[0,0,1] neg_hi:[0,0,1]
	v_mov_b32_e32 v5, v33
	v_pk_fma_f32 v[40:41], v[14:15], v[66:67], v[12:13] op_sel_hi:[1,1,0] neg_lo:[0,0,1] neg_hi:[0,0,1]
	v_mov_b32_e32 v41, v23
	v_pk_fma_f32 v[22:23], v[6:7], v[0:1], v[38:39] op_sel:[0,0,1] op_sel_hi:[1,0,0]
	s_wait_dscnt 0x1
	v_pk_mul_f32 v[24:25], v[8:9], v[2:3] op_sel:[0,1]
	ds_load_2addr_b64 v[12:15], v56 offset0:32 offset1:33
	v_pk_fma_f32 v[6:7], v[6:7], v[0:1], v[38:39] op_sel:[0,0,1] op_sel_hi:[1,1,0] neg_lo:[0,0,1] neg_hi:[0,0,1]
	v_pk_add_f32 v[110:111], v[110:111], v[4:5] neg_lo:[0,1] neg_hi:[0,1]
	v_mov_b32_e32 v7, v23
	v_pk_mul_f32 v[22:23], v[10:11], v[2:3] op_sel:[0,1]
	v_pk_fma_f32 v[32:33], v[8:9], v[0:1], v[24:25] op_sel:[0,0,1] op_sel_hi:[1,0,0]
	v_pk_fma_f32 v[8:9], v[8:9], v[0:1], v[24:25] op_sel:[0,0,1] op_sel_hi:[1,1,0] neg_lo:[0,0,1] neg_hi:[0,0,1]
	v_pk_add_f32 v[108:109], v[108:109], v[40:41] neg_lo:[0,1] neg_hi:[0,1]
	v_pk_add_f32 v[106:107], v[106:107], v[6:7] neg_lo:[0,1] neg_hi:[0,1]
	v_pk_fma_f32 v[24:25], v[10:11], v[0:1], v[22:23] op_sel:[0,0,1] op_sel_hi:[1,0,0]
	v_mov_b32_e32 v9, v33
	ds_load_2addr_b64 v[4:7], v56 offset0:34 offset1:35
	v_pk_fma_f32 v[10:11], v[10:11], v[0:1], v[22:23] op_sel:[0,0,1] op_sel_hi:[1,1,0] neg_lo:[0,0,1] neg_hi:[0,0,1]
	s_wait_dscnt 0x2
	v_dual_mul_f32 v22, v19, v0 :: v_dual_mov_b32 v11, v25
	v_pk_add_f32 v[128:129], v[128:129], v[8:9] neg_lo:[0,1] neg_hi:[0,1]
	v_mul_f32_e32 v8, v19, v3
	v_pk_mul_f32 v[24:25], v[20:21], v[2:3] op_sel:[0,1]
	s_delay_alu instid0(VALU_DEP_4)
	v_pk_fma_f32 v[22:23], v[18:19], v[66:67], v[22:23] op_sel:[1,0,0] op_sel_hi:[0,1,0]
	v_pk_add_f32 v[124:125], v[124:125], v[10:11] neg_lo:[0,1] neg_hi:[0,1]
	s_wait_dscnt 0x1
	v_pk_mul_f32 v[32:33], v[12:13], v[2:3] op_sel:[0,1]
	v_pk_fma_f32 v[18:19], v[18:19], v[66:67], v[8:9] op_sel_hi:[1,1,0] neg_lo:[0,0,1] neg_hi:[0,0,1]
	ds_load_2addr_b64 v[8:11], v56 offset0:36 offset1:37
	v_pk_fma_f32 v[38:39], v[20:21], v[0:1], v[24:25] op_sel:[0,0,1] op_sel_hi:[1,0,0]
	v_mov_b32_e32 v19, v23
	v_pk_fma_f32 v[20:21], v[20:21], v[0:1], v[24:25] op_sel:[0,0,1] op_sel_hi:[1,1,0] neg_lo:[0,0,1] neg_hi:[0,0,1]
	v_pk_fma_f32 v[22:23], v[12:13], v[0:1], v[32:33] op_sel:[0,0,1] op_sel_hi:[1,0,0]
	v_pk_mul_f32 v[24:25], v[14:15], v[2:3] op_sel:[0,1]
	v_pk_fma_f32 v[12:13], v[12:13], v[0:1], v[32:33] op_sel:[0,0,1] op_sel_hi:[1,1,0] neg_lo:[0,0,1] neg_hi:[0,0,1]
	v_mov_b32_e32 v21, v39
	v_pk_add_f32 v[126:127], v[126:127], v[18:19] neg_lo:[0,1] neg_hi:[0,1]
	s_delay_alu instid0(VALU_DEP_4)
	v_pk_fma_f32 v[18:19], v[14:15], v[0:1], v[24:25] op_sel:[0,0,1] op_sel_hi:[1,0,0]
	v_mov_b32_e32 v13, v23
	s_wait_dscnt 0x1
	v_pk_mul_f32 v[22:23], v[4:5], v[2:3] op_sel:[0,1]
	v_pk_fma_f32 v[24:25], v[14:15], v[0:1], v[24:25] op_sel:[0,0,1] op_sel_hi:[1,1,0] neg_lo:[0,0,1] neg_hi:[0,0,1]
	v_pk_add_f32 v[122:123], v[122:123], v[20:21] neg_lo:[0,1] neg_hi:[0,1]
	v_mov_b32_e32 v25, v19
	v_pk_add_f32 v[144:145], v[144:145], v[12:13] neg_lo:[0,1] neg_hi:[0,1]
	v_pk_fma_f32 v[20:21], v[4:5], v[0:1], v[22:23] op_sel:[0,0,1] op_sel_hi:[1,0,0]
	ds_load_2addr_b64 v[12:15], v56 offset0:38 offset1:39
	v_pk_fma_f32 v[4:5], v[4:5], v[0:1], v[22:23] op_sel:[0,0,1] op_sel_hi:[1,1,0] neg_lo:[0,0,1] neg_hi:[0,0,1]
	v_dual_mov_b32 v18, v7 :: v_dual_mov_b32 v19, v6
	v_dual_mul_f32 v20, v7, v0 :: v_dual_mov_b32 v5, v21
	s_wait_dscnt 0x1
	v_pk_mul_f32 v[32:33], v[8:9], v[2:3] op_sel:[0,1]
	v_pk_add_f32 v[140:141], v[140:141], v[24:25] neg_lo:[0,1] neg_hi:[0,1]
	v_pk_mul_f32 v[24:25], v[10:11], v[2:3] op_sel:[0,1]
	v_pk_fma_f32 v[18:19], v[18:19], v[66:67], v[20:21] op_sel_hi:[1,1,0]
	v_pk_add_f32 v[142:143], v[142:143], v[4:5] neg_lo:[0,1] neg_hi:[0,1]
	v_pk_fma_f32 v[20:21], v[8:9], v[0:1], v[32:33] op_sel:[0,0,1] op_sel_hi:[1,0,0]
	v_mul_f32_e32 v22, v7, v3
	v_pk_fma_f32 v[8:9], v[8:9], v[0:1], v[32:33] op_sel:[0,0,1] op_sel_hi:[1,1,0] neg_lo:[0,0,1] neg_hi:[0,0,1]
	v_pk_fma_f32 v[32:33], v[10:11], v[0:1], v[24:25] op_sel:[0,0,1] op_sel_hi:[1,0,0]
	v_pk_fma_f32 v[10:11], v[10:11], v[0:1], v[24:25] op_sel:[0,0,1] op_sel_hi:[1,1,0] neg_lo:[0,0,1] neg_hi:[0,0,1]
	v_mov_b32_e32 v9, v21
	v_pk_fma_f32 v[22:23], v[6:7], v[66:67], v[22:23] op_sel_hi:[1,1,0] neg_lo:[0,0,1] neg_hi:[0,0,1]
	ds_load_2addr_b64 v[4:7], v56 offset0:40 offset1:41
	v_dual_mov_b32 v23, v19 :: v_dual_mov_b32 v11, v33
	s_wait_dscnt 0x1
	v_pk_mul_f32 v[38:39], v[12:13], v[2:3] op_sel:[0,1]
	ds_load_2addr_b64 v[18:21], v56 offset0:42 offset1:43
	v_pk_mul_f32 v[24:25], v[14:15], v[2:3] op_sel:[0,1]
	v_pk_add_f32 v[138:139], v[138:139], v[22:23] neg_lo:[0,1] neg_hi:[0,1]
	v_pk_add_f32 v[164:165], v[164:165], v[8:9] neg_lo:[0,1] neg_hi:[0,1]
	v_pk_fma_f32 v[22:23], v[12:13], v[0:1], v[38:39] op_sel:[0,0,1] op_sel_hi:[1,0,0]
	v_pk_fma_f32 v[12:13], v[12:13], v[0:1], v[38:39] op_sel:[0,0,1] op_sel_hi:[1,1,0] neg_lo:[0,0,1] neg_hi:[0,0,1]
	v_pk_fma_f32 v[8:9], v[14:15], v[0:1], v[24:25] op_sel:[0,0,1] op_sel_hi:[1,0,0]
	v_pk_fma_f32 v[14:15], v[14:15], v[0:1], v[24:25] op_sel:[0,0,1] op_sel_hi:[1,1,0] neg_lo:[0,0,1] neg_hi:[0,0,1]
	v_pk_add_f32 v[160:161], v[160:161], v[10:11] neg_lo:[0,1] neg_hi:[0,1]
	s_delay_alu instid0(VALU_DEP_3)
	v_dual_mov_b32 v13, v23 :: v_dual_mov_b32 v15, v9
	ds_load_2addr_b64 v[8:11], v56 offset0:44 offset1:45
	v_pk_add_f32 v[162:163], v[162:163], v[12:13] neg_lo:[0,1] neg_hi:[0,1]
	s_wait_dscnt 0x2
	v_dual_mul_f32 v22, v5, v0 :: v_dual_mul_f32 v12, v5, v3
	v_pk_add_f32 v[158:159], v[158:159], v[14:15] neg_lo:[0,1] neg_hi:[0,1]
	v_pk_mul_f32 v[24:25], v[6:7], v[2:3] op_sel:[0,1]
	s_wait_dscnt 0x1
	v_pk_mul_f32 v[32:33], v[18:19], v[2:3] op_sel:[0,1]
	v_pk_fma_f32 v[22:23], v[4:5], v[66:67], v[22:23] op_sel:[1,0,0] op_sel_hi:[0,1,0]
	v_pk_fma_f32 v[4:5], v[4:5], v[66:67], v[12:13] op_sel_hi:[1,1,0] neg_lo:[0,0,1] neg_hi:[0,0,1]
	ds_load_2addr_b64 v[12:15], v56 offset0:46 offset1:47
	v_pk_fma_f32 v[38:39], v[6:7], v[0:1], v[24:25] op_sel:[0,0,1] op_sel_hi:[1,0,0]
	v_pk_fma_f32 v[6:7], v[6:7], v[0:1], v[24:25] op_sel:[0,0,1] op_sel_hi:[1,1,0] neg_lo:[0,0,1] neg_hi:[0,0,1]
	v_mov_b32_e32 v5, v23
	v_pk_fma_f32 v[22:23], v[18:19], v[0:1], v[32:33] op_sel:[0,0,1] op_sel_hi:[1,0,0]
	v_pk_mul_f32 v[24:25], v[20:21], v[2:3] op_sel:[0,1]
	v_mov_b32_e32 v7, v39
	v_pk_fma_f32 v[18:19], v[18:19], v[0:1], v[32:33] op_sel:[0,0,1] op_sel_hi:[1,1,0] neg_lo:[0,0,1] neg_hi:[0,0,1]
	v_pk_add_f32 v[188:189], v[188:189], v[4:5] neg_lo:[0,1] neg_hi:[0,1]
	s_delay_alu instid0(VALU_DEP_4)
	v_pk_fma_f32 v[4:5], v[20:21], v[0:1], v[24:25] op_sel:[0,0,1] op_sel_hi:[1,0,0]
	v_mov_b32_e32 v19, v23
	s_wait_dscnt 0x1
	v_pk_mul_f32 v[22:23], v[8:9], v[2:3] op_sel:[0,1]
	v_pk_add_f32 v[182:183], v[182:183], v[6:7] neg_lo:[0,1] neg_hi:[0,1]
	v_pk_fma_f32 v[6:7], v[20:21], v[0:1], v[24:25] op_sel:[0,0,1] op_sel_hi:[1,1,0] neg_lo:[0,0,1] neg_hi:[0,0,1]
	v_mov_b32_e32 v7, v5
	v_pk_add_f32 v[186:187], v[186:187], v[18:19] neg_lo:[0,1] neg_hi:[0,1]
	v_pk_fma_f32 v[4:5], v[8:9], v[0:1], v[22:23] op_sel:[0,0,1] op_sel_hi:[1,1,0] neg_lo:[0,0,1] neg_hi:[0,0,1]
	v_pk_fma_f32 v[8:9], v[8:9], v[0:1], v[22:23] op_sel:[0,0,1] op_sel_hi:[1,0,0]
	v_dual_mov_b32 v18, v11 :: v_dual_mov_b32 v19, v10
	v_dual_mul_f32 v20, v11, v0 :: v_dual_mul_f32 v8, v11, v3
	s_wait_dscnt 0x0
	v_pk_mul_f32 v[22:23], v[12:13], v[2:3] op_sel:[0,1]
	v_pk_mul_f32 v[2:3], v[14:15], v[2:3] op_sel:[0,1]
	v_pk_add_f32 v[180:181], v[180:181], v[6:7] neg_lo:[0,1] neg_hi:[0,1]
	v_pk_fma_f32 v[18:19], v[18:19], v[66:67], v[20:21] op_sel_hi:[1,1,0]
	v_mov_b32_e32 v5, v9
	v_pk_fma_f32 v[20:21], v[12:13], v[0:1], v[22:23] op_sel:[0,0,1] op_sel_hi:[1,0,0]
	v_pk_fma_f32 v[8:9], v[10:11], v[66:67], v[8:9] op_sel_hi:[1,1,0] neg_lo:[0,0,1] neg_hi:[0,0,1]
	v_pk_fma_f32 v[10:11], v[14:15], v[0:1], v[2:3] op_sel:[0,0,1] op_sel_hi:[1,0,0]
	v_pk_fma_f32 v[12:13], v[12:13], v[0:1], v[22:23] op_sel:[0,0,1] op_sel_hi:[1,1,0] neg_lo:[0,0,1] neg_hi:[0,0,1]
	v_pk_fma_f32 v[0:1], v[14:15], v[0:1], v[2:3] op_sel:[0,0,1] op_sel_hi:[1,1,0] neg_lo:[0,0,1] neg_hi:[0,0,1]
	v_dual_mov_b32 v9, v19 :: v_dual_mov_b32 v13, v21
	s_delay_alu instid0(VALU_DEP_4) | instskip(SKIP_1) | instid1(VALU_DEP_3)
	v_mov_b32_e32 v1, v11
	v_pk_add_f32 v[184:185], v[184:185], v[4:5] neg_lo:[0,1] neg_hi:[0,1]
	v_pk_add_f32 v[178:179], v[178:179], v[8:9] neg_lo:[0,1] neg_hi:[0,1]
	s_delay_alu instid0(VALU_DEP_4) | instskip(NEXT) | instid1(VALU_DEP_4)
	v_pk_add_f32 v[190:191], v[190:191], v[12:13] neg_lo:[0,1] neg_hi:[0,1]
	v_pk_add_f32 v[192:193], v[192:193], v[0:1] neg_lo:[0,1] neg_hi:[0,1]
.LBB95_19:
	s_or_b32 exec_lo, exec_lo, s1
	s_delay_alu instid0(SALU_CYCLE_1)
	s_mov_b32 s2, exec_lo
	s_wait_dscnt 0x0
	s_barrier_signal -1
	s_barrier_wait -1
	v_cmpx_eq_u32_e32 2, v54
	s_cbranch_execz .LBB95_26
; %bb.20:
	ds_store_b64 v55, v[88:89]
	ds_store_2addr_b64 v56, v[86:87], v[62:63] offset0:3 offset1:4
	ds_store_2addr_b64 v56, v[34:35], v[36:37] offset0:5 offset1:6
	;; [unrolled: 1-line block ×22, first 2 shown]
	ds_store_b64 v56, v[192:193] offset:376
	ds_load_b64 v[0:1], v55
	s_wait_dscnt 0x0
	v_cmp_neq_f32_e32 vcc_lo, 0, v0
	v_cmp_neq_f32_e64 s1, 0, v1
	s_or_b32 s1, vcc_lo, s1
	s_delay_alu instid0(SALU_CYCLE_1)
	s_and_b32 exec_lo, exec_lo, s1
	s_cbranch_execz .LBB95_26
; %bb.21:
	v_cmp_ngt_f32_e64 s1, |v0|, |v1|
                                        ; implicit-def: $vgpr2_vgpr3
	s_and_saveexec_b32 s4, s1
	s_delay_alu instid0(SALU_CYCLE_1)
	s_xor_b32 s1, exec_lo, s4
	s_cbranch_execz .LBB95_23
; %bb.22:
	v_div_scale_f32 v2, null, v1, v1, v0
	v_div_scale_f32 v5, vcc_lo, v0, v1, v0
	s_delay_alu instid0(VALU_DEP_2) | instskip(SKIP_1) | instid1(TRANS32_DEP_1)
	v_rcp_f32_e32 v3, v2
	v_nop
	v_fma_f32 v4, -v2, v3, 1.0
	s_delay_alu instid0(VALU_DEP_1) | instskip(NEXT) | instid1(VALU_DEP_1)
	v_fmac_f32_e32 v3, v4, v3
	v_mul_f32_e32 v4, v5, v3
	s_delay_alu instid0(VALU_DEP_1) | instskip(NEXT) | instid1(VALU_DEP_1)
	v_fma_f32 v6, -v2, v4, v5
	v_fmac_f32_e32 v4, v6, v3
	s_delay_alu instid0(VALU_DEP_1) | instskip(NEXT) | instid1(VALU_DEP_1)
	v_fma_f32 v2, -v2, v4, v5
	v_div_fmas_f32 v2, v2, v3, v4
	s_delay_alu instid0(VALU_DEP_1) | instskip(NEXT) | instid1(VALU_DEP_1)
	v_div_fixup_f32 v2, v2, v1, v0
	v_fmac_f32_e32 v1, v0, v2
	s_delay_alu instid0(VALU_DEP_1) | instskip(SKIP_1) | instid1(VALU_DEP_2)
	v_div_scale_f32 v0, null, v1, v1, 1.0
	v_div_scale_f32 v5, vcc_lo, 1.0, v1, 1.0
	v_rcp_f32_e32 v3, v0
	v_nop
	s_delay_alu instid0(TRANS32_DEP_1) | instskip(NEXT) | instid1(VALU_DEP_1)
	v_fma_f32 v4, -v0, v3, 1.0
	v_fmac_f32_e32 v3, v4, v3
	s_delay_alu instid0(VALU_DEP_1) | instskip(NEXT) | instid1(VALU_DEP_1)
	v_mul_f32_e32 v4, v5, v3
	v_fma_f32 v6, -v0, v4, v5
	s_delay_alu instid0(VALU_DEP_1) | instskip(NEXT) | instid1(VALU_DEP_1)
	v_fmac_f32_e32 v4, v6, v3
	v_fma_f32 v0, -v0, v4, v5
	s_delay_alu instid0(VALU_DEP_1) | instskip(NEXT) | instid1(VALU_DEP_1)
	v_div_fmas_f32 v0, v0, v3, v4
	v_div_fixup_f32 v0, v0, v1, 1.0
	s_delay_alu instid0(VALU_DEP_1)
	v_mul_f32_e32 v2, v2, v0
	v_xor_b32_e32 v3, 0x80000000, v0
                                        ; implicit-def: $vgpr0_vgpr1
.LBB95_23:
	s_and_not1_saveexec_b32 s1, s1
	s_cbranch_execz .LBB95_25
; %bb.24:
	v_div_scale_f32 v2, null, v0, v0, v1
	v_div_scale_f32 v5, vcc_lo, v1, v0, v1
	s_delay_alu instid0(VALU_DEP_2) | instskip(SKIP_1) | instid1(TRANS32_DEP_1)
	v_rcp_f32_e32 v3, v2
	v_nop
	v_fma_f32 v4, -v2, v3, 1.0
	s_delay_alu instid0(VALU_DEP_1) | instskip(NEXT) | instid1(VALU_DEP_1)
	v_fmac_f32_e32 v3, v4, v3
	v_mul_f32_e32 v4, v5, v3
	s_delay_alu instid0(VALU_DEP_1) | instskip(NEXT) | instid1(VALU_DEP_1)
	v_fma_f32 v6, -v2, v4, v5
	v_fmac_f32_e32 v4, v6, v3
	s_delay_alu instid0(VALU_DEP_1) | instskip(NEXT) | instid1(VALU_DEP_1)
	v_fma_f32 v2, -v2, v4, v5
	v_div_fmas_f32 v2, v2, v3, v4
	s_delay_alu instid0(VALU_DEP_1) | instskip(NEXT) | instid1(VALU_DEP_1)
	v_div_fixup_f32 v3, v2, v0, v1
	v_fmac_f32_e32 v0, v1, v3
	s_delay_alu instid0(VALU_DEP_1) | instskip(NEXT) | instid1(VALU_DEP_1)
	v_div_scale_f32 v1, null, v0, v0, 1.0
	v_rcp_f32_e32 v2, v1
	v_nop
	s_delay_alu instid0(TRANS32_DEP_1) | instskip(NEXT) | instid1(VALU_DEP_1)
	v_fma_f32 v4, -v1, v2, 1.0
	v_fmac_f32_e32 v2, v4, v2
	v_div_scale_f32 v4, vcc_lo, 1.0, v0, 1.0
	s_delay_alu instid0(VALU_DEP_1) | instskip(NEXT) | instid1(VALU_DEP_1)
	v_mul_f32_e32 v5, v4, v2
	v_fma_f32 v6, -v1, v5, v4
	s_delay_alu instid0(VALU_DEP_1) | instskip(NEXT) | instid1(VALU_DEP_1)
	v_fmac_f32_e32 v5, v6, v2
	v_fma_f32 v1, -v1, v5, v4
	s_delay_alu instid0(VALU_DEP_1) | instskip(NEXT) | instid1(VALU_DEP_1)
	v_div_fmas_f32 v1, v1, v2, v5
	v_div_fixup_f32 v2, v1, v0, 1.0
	s_delay_alu instid0(VALU_DEP_1)
	v_mul_f32_e64 v3, v3, -v2
.LBB95_25:
	s_or_b32 exec_lo, exec_lo, s1
	ds_store_b64 v55, v[2:3]
.LBB95_26:
	s_or_b32 exec_lo, exec_lo, s2
	s_wait_dscnt 0x0
	s_barrier_signal -1
	s_barrier_wait -1
	ds_load_b64 v[198:199], v55
	s_mov_b32 s1, exec_lo
	v_cmpx_lt_u32_e32 2, v54
	s_cbranch_execz .LBB95_28
; %bb.27:
	ds_load_2addr_b64 v[4:7], v56 offset0:3 offset1:4
	ds_load_2addr_b64 v[8:11], v56 offset0:5 offset1:6
	;; [unrolled: 1-line block ×3, first 2 shown]
	s_wait_dscnt 0x3
	v_pk_mul_f32 v[2:3], v[198:199], v[88:89] op_sel:[1,1] op_sel_hi:[0,1]
	ds_load_2addr_b64 v[18:21], v56 offset0:9 offset1:10
	ds_load_2addr_b64 v[22:25], v56 offset0:11 offset1:12
	v_pk_fma_f32 v[0:1], v[198:199], v[88:89], v[2:3] op_sel_hi:[1,0,1] neg_lo:[0,0,1] neg_hi:[0,0,1]
	v_pk_fma_f32 v[2:3], v[198:199], v[88:89], v[2:3] op_sel_hi:[1,0,1]
	s_delay_alu instid0(VALU_DEP_1) | instskip(SKIP_1) | instid1(VALU_DEP_2)
	v_dual_mov_b32 v88, v0 :: v_dual_mov_b32 v89, v3
	s_wait_dscnt 0x4
	v_pk_mul_f32 v[32:33], v[4:5], v[2:3] op_sel:[0,1]
	v_pk_mul_f32 v[38:39], v[6:7], v[2:3] op_sel:[0,1]
	s_wait_dscnt 0x3
	v_pk_mul_f32 v[40:41], v[8:9], v[2:3] op_sel:[0,1]
	v_dual_mov_b32 v42, v11 :: v_dual_mov_b32 v43, v10
	v_dual_mul_f32 v52, v11, v3 :: v_dual_mul_f32 v76, v11, v0
	s_wait_dscnt 0x2
	v_pk_mul_f32 v[78:79], v[12:13], v[2:3] op_sel:[0,1]
	v_pk_mul_f32 v[200:201], v[14:15], v[2:3] op_sel:[0,1]
	v_pk_fma_f32 v[202:203], v[4:5], v[0:1], v[32:33] op_sel:[0,0,1] op_sel_hi:[1,1,0] neg_lo:[0,0,1] neg_hi:[0,0,1]
	v_pk_fma_f32 v[4:5], v[4:5], v[0:1], v[32:33] op_sel:[0,0,1] op_sel_hi:[1,0,0]
	v_pk_fma_f32 v[32:33], v[6:7], v[0:1], v[38:39] op_sel:[0,0,1] op_sel_hi:[1,1,0] neg_lo:[0,0,1] neg_hi:[0,0,1]
	v_pk_fma_f32 v[6:7], v[6:7], v[0:1], v[38:39] op_sel:[0,0,1] op_sel_hi:[1,0,0]
	v_pk_fma_f32 v[38:39], v[8:9], v[0:1], v[40:41] op_sel:[0,0,1] op_sel_hi:[1,1,0] neg_lo:[0,0,1] neg_hi:[0,0,1]
	v_pk_fma_f32 v[8:9], v[8:9], v[0:1], v[40:41] op_sel:[0,0,1] op_sel_hi:[1,0,0]
	v_pk_fma_f32 v[40:41], v[42:43], v[88:89], v[76:77] op_sel_hi:[1,1,0]
	v_pk_fma_f32 v[42:43], v[12:13], v[0:1], v[78:79] op_sel:[0,0,1] op_sel_hi:[1,1,0] neg_lo:[0,0,1] neg_hi:[0,0,1]
	v_dual_mov_b32 v203, v5 :: v_dual_mov_b32 v33, v7
	s_delay_alu instid0(VALU_DEP_4)
	v_mov_b32_e32 v39, v9
	v_pk_fma_f32 v[4:5], v[12:13], v[0:1], v[78:79] op_sel:[0,0,1] op_sel_hi:[1,0,0]
	v_pk_fma_f32 v[8:9], v[14:15], v[0:1], v[200:201] op_sel:[0,0,1] op_sel_hi:[1,0,0]
	s_wait_dscnt 0x1
	v_pk_mul_f32 v[12:13], v[18:19], v[2:3] op_sel:[0,1]
	v_pk_fma_f32 v[14:15], v[14:15], v[0:1], v[200:201] op_sel:[0,0,1] op_sel_hi:[1,1,0] neg_lo:[0,0,1] neg_hi:[0,0,1]
	v_pk_add_f32 v[62:63], v[62:63], v[32:33] neg_lo:[0,1] neg_hi:[0,1]
	v_dual_mov_b32 v43, v5 :: v_dual_mov_b32 v15, v9
	s_delay_alu instid0(VALU_DEP_4)
	v_pk_fma_f32 v[8:9], v[18:19], v[0:1], v[12:13] op_sel:[0,0,1] op_sel_hi:[1,0,0]
	ds_load_2addr_b64 v[4:7], v56 offset0:13 offset1:14
	v_pk_mul_f32 v[32:33], v[20:21], v[2:3] op_sel:[0,1]
	v_pk_fma_f32 v[12:13], v[18:19], v[0:1], v[12:13] op_sel:[0,0,1] op_sel_hi:[1,1,0] neg_lo:[0,0,1] neg_hi:[0,0,1]
	v_pk_fma_f32 v[10:11], v[10:11], v[88:89], v[52:53] op_sel_hi:[1,1,0] neg_lo:[0,0,1] neg_hi:[0,0,1]
	v_dual_mov_b32 v13, v9 :: v_dual_mov_b32 v11, v41
	v_pk_add_f32 v[84:85], v[84:85], v[14:15] neg_lo:[0,1] neg_hi:[0,1]
	v_pk_fma_f32 v[14:15], v[20:21], v[0:1], v[32:33] op_sel:[0,0,1] op_sel_hi:[1,0,0]
	s_wait_dscnt 0x1
	v_mul_f32_e32 v14, v23, v0
	v_pk_add_f32 v[28:29], v[28:29], v[12:13] neg_lo:[0,1] neg_hi:[0,1]
	v_pk_mul_f32 v[12:13], v[24:25], v[2:3] op_sel:[0,1]
	v_pk_add_f32 v[36:37], v[36:37], v[10:11] neg_lo:[0,1] neg_hi:[0,1]
	ds_load_2addr_b64 v[8:11], v56 offset0:15 offset1:16
	v_pk_fma_f32 v[18:19], v[20:21], v[0:1], v[32:33] op_sel:[0,0,1] op_sel_hi:[1,1,0] neg_lo:[0,0,1] neg_hi:[0,0,1]
	v_mov_b32_e32 v19, v15
	v_pk_fma_f32 v[32:33], v[24:25], v[0:1], v[12:13] op_sel:[0,0,1] op_sel_hi:[1,0,0]
	v_mul_f32_e32 v20, v23, v3
	v_pk_fma_f32 v[14:15], v[22:23], v[88:89], v[14:15] op_sel:[1,0,0] op_sel_hi:[0,1,0]
	v_pk_add_f32 v[34:35], v[34:35], v[38:39] neg_lo:[0,1] neg_hi:[0,1]
	v_pk_add_f32 v[86:87], v[86:87], v[202:203] neg_lo:[0,1] neg_hi:[0,1]
	v_pk_add_f32 v[60:61], v[60:61], v[42:43] neg_lo:[0,1] neg_hi:[0,1]
	v_pk_fma_f32 v[20:21], v[22:23], v[88:89], v[20:21] op_sel_hi:[1,1,0] neg_lo:[0,0,1] neg_hi:[0,0,1]
	v_mov_b32_e32 v21, v15
	v_pk_add_f32 v[30:31], v[30:31], v[18:19] neg_lo:[0,1] neg_hi:[0,1]
	s_wait_dscnt 0x1
	v_pk_mul_f32 v[18:19], v[4:5], v[2:3] op_sel:[0,1]
	v_pk_fma_f32 v[22:23], v[24:25], v[0:1], v[12:13] op_sel:[0,0,1] op_sel_hi:[1,1,0] neg_lo:[0,0,1] neg_hi:[0,0,1]
	ds_load_2addr_b64 v[12:15], v56 offset0:17 offset1:18
	v_mov_b32_e32 v23, v33
	v_pk_add_f32 v[26:27], v[26:27], v[20:21] neg_lo:[0,1] neg_hi:[0,1]
	v_pk_fma_f32 v[24:25], v[4:5], v[0:1], v[18:19] op_sel:[0,0,1] op_sel_hi:[1,0,0]
	v_pk_fma_f32 v[4:5], v[4:5], v[0:1], v[18:19] op_sel:[0,0,1] op_sel_hi:[1,1,0] neg_lo:[0,0,1] neg_hi:[0,0,1]
	v_pk_mul_f32 v[18:19], v[6:7], v[2:3] op_sel:[0,1]
	v_pk_add_f32 v[50:51], v[50:51], v[22:23] neg_lo:[0,1] neg_hi:[0,1]
	s_delay_alu instid0(VALU_DEP_2)
	v_pk_fma_f32 v[20:21], v[6:7], v[0:1], v[18:19] op_sel:[0,0,1] op_sel_hi:[1,0,0]
	v_mov_b32_e32 v5, v25
	s_wait_dscnt 0x1
	v_pk_mul_f32 v[24:25], v[8:9], v[2:3] op_sel:[0,1]
	v_pk_fma_f32 v[18:19], v[6:7], v[0:1], v[18:19] op_sel:[0,0,1] op_sel_hi:[1,1,0] neg_lo:[0,0,1] neg_hi:[0,0,1]
	v_dual_mov_b32 v20, v11 :: v_dual_mov_b32 v19, v21
	v_pk_add_f32 v[46:47], v[46:47], v[4:5] neg_lo:[0,1] neg_hi:[0,1]
	s_delay_alu instid0(VALU_DEP_4)
	v_pk_fma_f32 v[22:23], v[8:9], v[0:1], v[24:25] op_sel:[0,0,1] op_sel_hi:[1,0,0]
	ds_load_2addr_b64 v[4:7], v56 offset0:19 offset1:20
	v_pk_fma_f32 v[8:9], v[8:9], v[0:1], v[24:25] op_sel:[0,0,1] op_sel_hi:[1,1,0] neg_lo:[0,0,1] neg_hi:[0,0,1]
	v_dual_mov_b32 v21, v10 :: v_dual_mul_f32 v22, v11, v0
	v_mov_b32_e32 v9, v23
	v_mul_f32_e32 v24, v11, v3
	s_wait_dscnt 0x1
	v_pk_mul_f32 v[32:33], v[14:15], v[2:3] op_sel:[0,1]
	v_pk_add_f32 v[48:49], v[48:49], v[18:19] neg_lo:[0,1] neg_hi:[0,1]
	v_pk_fma_f32 v[22:23], v[20:21], v[88:89], v[22:23] op_sel_hi:[1,1,0]
	v_pk_add_f32 v[44:45], v[44:45], v[8:9] neg_lo:[0,1] neg_hi:[0,1]
	v_pk_mul_f32 v[8:9], v[12:13], v[2:3] op_sel:[0,1]
	ds_load_2addr_b64 v[18:21], v56 offset0:21 offset1:22
	v_pk_fma_f32 v[24:25], v[10:11], v[88:89], v[24:25] op_sel_hi:[1,1,0] neg_lo:[0,0,1] neg_hi:[0,0,1]
	v_pk_fma_f32 v[38:39], v[12:13], v[0:1], v[8:9] op_sel:[0,0,1] op_sel_hi:[1,0,0]
	v_mov_b32_e32 v25, v23
	v_pk_fma_f32 v[22:23], v[14:15], v[0:1], v[32:33] op_sel:[0,0,1] op_sel_hi:[1,0,0]
	v_pk_fma_f32 v[12:13], v[12:13], v[0:1], v[8:9] op_sel:[0,0,1] op_sel_hi:[1,1,0] neg_lo:[0,0,1] neg_hi:[0,0,1]
	v_pk_fma_f32 v[14:15], v[14:15], v[0:1], v[32:33] op_sel:[0,0,1] op_sel_hi:[1,1,0] neg_lo:[0,0,1] neg_hi:[0,0,1]
	v_mov_b32_e32 v13, v39
	s_wait_dscnt 0x1
	v_pk_mul_f32 v[38:39], v[4:5], v[2:3] op_sel:[0,1]
	v_mov_b32_e32 v15, v23
	v_pk_mul_f32 v[22:23], v[6:7], v[2:3] op_sel:[0,1]
	ds_load_2addr_b64 v[8:11], v56 offset0:23 offset1:24
	v_pk_add_f32 v[74:75], v[74:75], v[24:25] neg_lo:[0,1] neg_hi:[0,1]
	v_pk_fma_f32 v[24:25], v[4:5], v[0:1], v[38:39] op_sel:[0,0,1] op_sel_hi:[1,0,0]
	v_pk_fma_f32 v[4:5], v[4:5], v[0:1], v[38:39] op_sel:[0,0,1] op_sel_hi:[1,1,0] neg_lo:[0,0,1] neg_hi:[0,0,1]
	v_pk_fma_f32 v[32:33], v[6:7], v[0:1], v[22:23] op_sel:[0,0,1] op_sel_hi:[1,0,0]
	v_pk_fma_f32 v[6:7], v[6:7], v[0:1], v[22:23] op_sel:[0,0,1] op_sel_hi:[1,1,0] neg_lo:[0,0,1] neg_hi:[0,0,1]
	v_pk_add_f32 v[70:71], v[70:71], v[12:13] neg_lo:[0,1] neg_hi:[0,1]
	s_wait_dscnt 0x1
	v_dual_mov_b32 v5, v25 :: v_dual_mul_f32 v24, v19, v0
	v_mov_b32_e32 v7, v33
	v_pk_add_f32 v[72:73], v[72:73], v[14:15] neg_lo:[0,1] neg_hi:[0,1]
	ds_load_2addr_b64 v[12:15], v56 offset0:25 offset1:26
	v_pk_add_f32 v[68:69], v[68:69], v[4:5] neg_lo:[0,1] neg_hi:[0,1]
	v_mul_f32_e32 v4, v19, v3
	v_pk_fma_f32 v[22:23], v[18:19], v[88:89], v[24:25] op_sel:[1,0,0] op_sel_hi:[0,1,0]
	v_pk_mul_f32 v[24:25], v[20:21], v[2:3] op_sel:[0,1]
	v_pk_add_f32 v[96:97], v[96:97], v[6:7] neg_lo:[0,1] neg_hi:[0,1]
	s_delay_alu instid0(VALU_DEP_4)
	v_pk_fma_f32 v[18:19], v[18:19], v[88:89], v[4:5] op_sel_hi:[1,1,0] neg_lo:[0,0,1] neg_hi:[0,0,1]
	ds_load_2addr_b64 v[4:7], v56 offset0:27 offset1:28
	s_wait_dscnt 0x2
	v_pk_mul_f32 v[32:33], v[8:9], v[2:3] op_sel:[0,1]
	v_mov_b32_e32 v19, v23
	v_pk_fma_f32 v[22:23], v[20:21], v[0:1], v[24:25] op_sel:[0,0,1] op_sel_hi:[1,0,0]
	v_pk_mul_f32 v[38:39], v[10:11], v[2:3] op_sel:[0,1]
	v_pk_fma_f32 v[20:21], v[20:21], v[0:1], v[24:25] op_sel:[0,0,1] op_sel_hi:[1,1,0] neg_lo:[0,0,1] neg_hi:[0,0,1]
	v_pk_fma_f32 v[40:41], v[8:9], v[0:1], v[32:33] op_sel:[0,0,1] op_sel_hi:[1,0,0]
	v_pk_fma_f32 v[8:9], v[8:9], v[0:1], v[32:33] op_sel:[0,0,1] op_sel_hi:[1,1,0] neg_lo:[0,0,1] neg_hi:[0,0,1]
	v_mov_b32_e32 v21, v23
	v_pk_fma_f32 v[22:23], v[10:11], v[0:1], v[38:39] op_sel:[0,0,1] op_sel_hi:[1,0,0]
	v_pk_fma_f32 v[10:11], v[10:11], v[0:1], v[38:39] op_sel:[0,0,1] op_sel_hi:[1,1,0] neg_lo:[0,0,1] neg_hi:[0,0,1]
	v_mov_b32_e32 v9, v41
	s_wait_dscnt 0x1
	v_pk_mul_f32 v[24:25], v[12:13], v[2:3] op_sel:[0,1]
	v_pk_add_f32 v[92:93], v[92:93], v[18:19] neg_lo:[0,1] neg_hi:[0,1]
	v_dual_mov_b32 v11, v23 :: v_dual_mov_b32 v22, v15
	v_pk_add_f32 v[90:91], v[90:91], v[8:9] neg_lo:[0,1] neg_hi:[0,1]
	s_delay_alu instid0(VALU_DEP_4) | instskip(SKIP_1) | instid1(VALU_DEP_4)
	v_pk_fma_f32 v[18:19], v[12:13], v[0:1], v[24:25] op_sel:[0,0,1] op_sel_hi:[1,0,0]
	v_pk_fma_f32 v[12:13], v[12:13], v[0:1], v[24:25] op_sel:[0,0,1] op_sel_hi:[1,1,0] neg_lo:[0,0,1] neg_hi:[0,0,1]
	v_pk_add_f32 v[112:113], v[112:113], v[10:11] neg_lo:[0,1] neg_hi:[0,1]
	ds_load_2addr_b64 v[8:11], v56 offset0:29 offset1:30
	s_wait_dscnt 0x1
	v_pk_mul_f32 v[32:33], v[4:5], v[2:3] op_sel:[0,1]
	v_dual_mov_b32 v13, v19 :: v_dual_mov_b32 v23, v14
	v_mul_f32_e32 v24, v15, v0
	v_pk_add_f32 v[94:95], v[94:95], v[20:21] neg_lo:[0,1] neg_hi:[0,1]
	ds_load_2addr_b64 v[18:21], v56 offset0:31 offset1:32
	v_pk_mul_f32 v[40:41], v[6:7], v[2:3] op_sel:[0,1]
	v_pk_add_f32 v[108:109], v[108:109], v[12:13] neg_lo:[0,1] neg_hi:[0,1]
	v_pk_fma_f32 v[12:13], v[4:5], v[0:1], v[32:33] op_sel:[0,0,1] op_sel_hi:[1,0,0]
	v_mul_f32_e32 v38, v15, v3
	v_pk_fma_f32 v[22:23], v[22:23], v[88:89], v[24:25] op_sel_hi:[1,1,0]
	v_pk_fma_f32 v[24:25], v[6:7], v[0:1], v[40:41] op_sel:[0,0,1] op_sel_hi:[1,0,0]
	s_delay_alu instid0(VALU_DEP_3) | instskip(NEXT) | instid1(VALU_DEP_3)
	v_pk_fma_f32 v[14:15], v[14:15], v[88:89], v[38:39] op_sel_hi:[1,1,0] neg_lo:[0,0,1] neg_hi:[0,0,1]
	v_mov_b32_e32 v15, v23
	v_pk_fma_f32 v[22:23], v[4:5], v[0:1], v[32:33] op_sel:[0,0,1] op_sel_hi:[1,1,0] neg_lo:[0,0,1] neg_hi:[0,0,1]
	v_mov_b32_e32 v23, v13
	v_pk_fma_f32 v[12:13], v[6:7], v[0:1], v[40:41] op_sel:[0,0,1] op_sel_hi:[1,1,0] neg_lo:[0,0,1] neg_hi:[0,0,1]
	v_mov_b32_e32 v13, v25
	ds_load_2addr_b64 v[4:7], v56 offset0:33 offset1:34
	s_wait_dscnt 0x2
	v_pk_mul_f32 v[24:25], v[8:9], v[2:3] op_sel:[0,1]
	v_pk_add_f32 v[110:111], v[110:111], v[14:15] neg_lo:[0,1] neg_hi:[0,1]
	v_pk_add_f32 v[106:107], v[106:107], v[22:23] neg_lo:[0,1] neg_hi:[0,1]
	;; [unrolled: 1-line block ×3, first 2 shown]
	ds_load_2addr_b64 v[12:15], v56 offset0:35 offset1:36
	v_pk_fma_f32 v[32:33], v[8:9], v[0:1], v[24:25] op_sel:[0,0,1] op_sel_hi:[1,1,0] neg_lo:[0,0,1] neg_hi:[0,0,1]
	v_pk_fma_f32 v[8:9], v[8:9], v[0:1], v[24:25] op_sel:[0,0,1] op_sel_hi:[1,0,0]
	v_pk_mul_f32 v[22:23], v[10:11], v[2:3] op_sel:[0,1]
	s_wait_dscnt 0x2
	v_dual_mul_f32 v38, v19, v0 :: v_dual_mul_f32 v8, v19, v3
	s_delay_alu instid0(VALU_DEP_2) | instskip(NEXT) | instid1(VALU_DEP_2)
	v_pk_fma_f32 v[24:25], v[10:11], v[0:1], v[22:23] op_sel:[0,0,1] op_sel_hi:[1,0,0]
	v_pk_fma_f32 v[38:39], v[18:19], v[88:89], v[38:39] op_sel:[1,0,0] op_sel_hi:[0,1,0]
	v_mov_b32_e32 v33, v9
	s_delay_alu instid0(VALU_DEP_4)
	v_pk_fma_f32 v[8:9], v[18:19], v[88:89], v[8:9] op_sel_hi:[1,1,0] neg_lo:[0,0,1] neg_hi:[0,0,1]
	v_pk_mul_f32 v[18:19], v[20:21], v[2:3] op_sel:[0,1]
	v_pk_fma_f32 v[10:11], v[10:11], v[0:1], v[22:23] op_sel:[0,0,1] op_sel_hi:[1,1,0] neg_lo:[0,0,1] neg_hi:[0,0,1]
	v_mov_b32_e32 v11, v25
	s_wait_dscnt 0x1
	v_pk_mul_f32 v[22:23], v[4:5], v[2:3] op_sel:[0,1]
	v_pk_add_f32 v[124:125], v[124:125], v[32:33] neg_lo:[0,1] neg_hi:[0,1]
	v_pk_fma_f32 v[24:25], v[20:21], v[0:1], v[18:19] op_sel:[0,0,1] op_sel_hi:[1,0,0]
	v_mov_b32_e32 v9, v39
	v_pk_fma_f32 v[32:33], v[20:21], v[0:1], v[18:19] op_sel:[0,0,1] op_sel_hi:[1,1,0] neg_lo:[0,0,1] neg_hi:[0,0,1]
	v_pk_add_f32 v[126:127], v[126:127], v[10:11] neg_lo:[0,1] neg_hi:[0,1]
	v_pk_fma_f32 v[18:19], v[4:5], v[0:1], v[22:23] op_sel:[0,0,1] op_sel_hi:[1,0,0]
	v_mov_b32_e32 v33, v25
	v_pk_add_f32 v[122:123], v[122:123], v[8:9] neg_lo:[0,1] neg_hi:[0,1]
	ds_load_2addr_b64 v[8:11], v56 offset0:37 offset1:38
	v_pk_fma_f32 v[4:5], v[4:5], v[0:1], v[22:23] op_sel:[0,0,1] op_sel_hi:[1,1,0] neg_lo:[0,0,1] neg_hi:[0,0,1]
	s_wait_dscnt 0x1
	v_pk_mul_f32 v[22:23], v[12:13], v[2:3] op_sel:[0,1]
	v_pk_add_f32 v[144:145], v[144:145], v[32:33] neg_lo:[0,1] neg_hi:[0,1]
	v_pk_mul_f32 v[38:39], v[6:7], v[2:3] op_sel:[0,1]
	s_delay_alu instid0(VALU_DEP_3)
	v_pk_fma_f32 v[32:33], v[12:13], v[0:1], v[22:23] op_sel:[0,0,1] op_sel_hi:[1,0,0]
	v_mov_b32_e32 v5, v19
	ds_load_2addr_b64 v[18:21], v56 offset0:39 offset1:40
	v_pk_fma_f32 v[24:25], v[6:7], v[0:1], v[38:39] op_sel:[0,0,1] op_sel_hi:[1,0,0]
	v_mul_f32_e32 v24, v15, v0
	v_pk_add_f32 v[140:141], v[140:141], v[4:5] neg_lo:[0,1] neg_hi:[0,1]
	v_pk_fma_f32 v[4:5], v[6:7], v[0:1], v[38:39] op_sel:[0,0,1] op_sel_hi:[1,1,0] neg_lo:[0,0,1] neg_hi:[0,0,1]
	v_pk_fma_f32 v[6:7], v[12:13], v[0:1], v[22:23] op_sel:[0,0,1] op_sel_hi:[1,1,0] neg_lo:[0,0,1] neg_hi:[0,0,1]
	v_dual_mov_b32 v5, v25 :: v_dual_mov_b32 v12, v15
	v_dual_mov_b32 v7, v33 :: v_dual_mov_b32 v13, v14
	v_mul_f32_e32 v22, v15, v3
	s_wait_dscnt 0x1
	v_pk_mul_f32 v[32:33], v[8:9], v[2:3] op_sel:[0,1]
	v_pk_add_f32 v[142:143], v[142:143], v[4:5] neg_lo:[0,1] neg_hi:[0,1]
	v_pk_add_f32 v[138:139], v[138:139], v[6:7] neg_lo:[0,1] neg_hi:[0,1]
	ds_load_2addr_b64 v[4:7], v56 offset0:41 offset1:42
	v_pk_fma_f32 v[14:15], v[14:15], v[88:89], v[22:23] op_sel_hi:[1,1,0] neg_lo:[0,0,1] neg_hi:[0,0,1]
	v_pk_fma_f32 v[12:13], v[12:13], v[88:89], v[24:25] op_sel_hi:[1,1,0]
	v_pk_mul_f32 v[22:23], v[10:11], v[2:3] op_sel:[0,1]
	v_pk_fma_f32 v[24:25], v[8:9], v[0:1], v[32:33] op_sel:[0,0,1] op_sel_hi:[1,0,0]
	s_wait_dscnt 0x1
	v_pk_mul_f32 v[38:39], v[18:19], v[2:3] op_sel:[0,1]
	v_mov_b32_e32 v15, v13
	v_pk_fma_f32 v[12:13], v[8:9], v[0:1], v[32:33] op_sel:[0,0,1] op_sel_hi:[1,1,0] neg_lo:[0,0,1] neg_hi:[0,0,1]
	v_pk_fma_f32 v[32:33], v[10:11], v[0:1], v[22:23] op_sel:[0,0,1] op_sel_hi:[1,0,0]
	v_pk_fma_f32 v[22:23], v[10:11], v[0:1], v[22:23] op_sel:[0,0,1] op_sel_hi:[1,1,0] neg_lo:[0,0,1] neg_hi:[0,0,1]
	ds_load_2addr_b64 v[8:11], v56 offset0:43 offset1:44
	v_mov_b32_e32 v13, v25
	v_pk_fma_f32 v[24:25], v[18:19], v[0:1], v[38:39] op_sel:[0,0,1] op_sel_hi:[1,0,0]
	v_pk_fma_f32 v[18:19], v[18:19], v[0:1], v[38:39] op_sel:[0,0,1] op_sel_hi:[1,1,0] neg_lo:[0,0,1] neg_hi:[0,0,1]
	v_mov_b32_e32 v23, v33
	v_pk_add_f32 v[164:165], v[164:165], v[14:15] neg_lo:[0,1] neg_hi:[0,1]
	v_pk_add_f32 v[160:161], v[160:161], v[12:13] neg_lo:[0,1] neg_hi:[0,1]
	v_mov_b32_e32 v19, v25
	v_pk_mul_f32 v[24:25], v[20:21], v[2:3] op_sel:[0,1]
	ds_load_2addr_b64 v[12:15], v56 offset0:45 offset1:46
	ds_load_b64 v[38:39], v56 offset:376
	v_pk_add_f32 v[162:163], v[162:163], v[22:23] neg_lo:[0,1] neg_hi:[0,1]
	v_pk_add_f32 v[158:159], v[158:159], v[18:19] neg_lo:[0,1] neg_hi:[0,1]
	v_pk_fma_f32 v[18:19], v[20:21], v[0:1], v[24:25] op_sel:[0,0,1] op_sel_hi:[1,1,0] neg_lo:[0,0,1] neg_hi:[0,0,1]
	v_pk_fma_f32 v[20:21], v[20:21], v[0:1], v[24:25] op_sel:[0,0,1] op_sel_hi:[1,0,0]
	s_wait_dscnt 0x3
	v_dual_mul_f32 v20, v5, v0 :: v_dual_mul_f32 v24, v5, v3
	v_pk_mul_f32 v[22:23], v[6:7], v[2:3] op_sel:[0,1]
	s_delay_alu instid0(VALU_DEP_1) | instskip(SKIP_1) | instid1(VALU_DEP_4)
	v_pk_fma_f32 v[32:33], v[6:7], v[0:1], v[22:23] op_sel:[0,0,1] op_sel_hi:[1,0,0]
	v_mov_b32_e32 v19, v21
	v_pk_fma_f32 v[20:21], v[4:5], v[88:89], v[20:21] op_sel:[1,0,0] op_sel_hi:[0,1,0]
	v_pk_fma_f32 v[4:5], v[4:5], v[88:89], v[24:25] op_sel_hi:[1,1,0] neg_lo:[0,0,1] neg_hi:[0,0,1]
	s_wait_dscnt 0x2
	v_pk_mul_f32 v[24:25], v[8:9], v[2:3] op_sel:[0,1]
	v_pk_fma_f32 v[6:7], v[6:7], v[0:1], v[22:23] op_sel:[0,0,1] op_sel_hi:[1,1,0] neg_lo:[0,0,1] neg_hi:[0,0,1]
	v_dual_mov_b32 v7, v33 :: v_dual_mov_b32 v5, v21
	v_pk_mul_f32 v[20:21], v[10:11], v[2:3] op_sel:[0,1]
	v_pk_add_f32 v[188:189], v[188:189], v[18:19] neg_lo:[0,1] neg_hi:[0,1]
	v_pk_fma_f32 v[18:19], v[8:9], v[0:1], v[24:25] op_sel:[0,0,1] op_sel_hi:[1,0,0]
	s_delay_alu instid0(VALU_DEP_4)
	v_pk_add_f32 v[186:187], v[186:187], v[6:7] neg_lo:[0,1] neg_hi:[0,1]
	v_pk_add_f32 v[182:183], v[182:183], v[4:5] neg_lo:[0,1] neg_hi:[0,1]
	v_pk_fma_f32 v[4:5], v[8:9], v[0:1], v[24:25] op_sel:[0,0,1] op_sel_hi:[1,1,0] neg_lo:[0,0,1] neg_hi:[0,0,1]
	v_pk_fma_f32 v[8:9], v[10:11], v[0:1], v[20:21] op_sel:[0,0,1] op_sel_hi:[1,0,0]
	s_wait_dscnt 0x1
	v_dual_mov_b32 v5, v19 :: v_dual_mov_b32 v18, v15
	v_pk_fma_f32 v[6:7], v[10:11], v[0:1], v[20:21] op_sel:[0,0,1] op_sel_hi:[1,1,0] neg_lo:[0,0,1] neg_hi:[0,0,1]
	v_pk_mul_f32 v[10:11], v[12:13], v[2:3] op_sel:[0,1]
	v_dual_mov_b32 v19, v14 :: v_dual_mul_f32 v8, v15, v0
	s_wait_dscnt 0x0
	v_pk_mul_f32 v[20:21], v[38:39], v[2:3] op_sel:[0,1]
	v_dual_mov_b32 v7, v9 :: v_dual_mul_f32 v2, v15, v3
	v_pk_fma_f32 v[22:23], v[12:13], v[0:1], v[10:11] op_sel:[0,0,1] op_sel_hi:[1,0,0]
	v_pk_fma_f32 v[8:9], v[18:19], v[88:89], v[8:9] op_sel_hi:[1,1,0]
	v_pk_fma_f32 v[10:11], v[12:13], v[0:1], v[10:11] op_sel:[0,0,1] op_sel_hi:[1,1,0] neg_lo:[0,0,1] neg_hi:[0,0,1]
	v_pk_fma_f32 v[12:13], v[38:39], v[0:1], v[20:21] op_sel:[0,0,1] op_sel_hi:[1,0,0]
	v_pk_fma_f32 v[2:3], v[14:15], v[88:89], v[2:3] op_sel_hi:[1,1,0] neg_lo:[0,0,1] neg_hi:[0,0,1]
	v_pk_fma_f32 v[0:1], v[38:39], v[0:1], v[20:21] op_sel:[0,0,1] op_sel_hi:[1,1,0] neg_lo:[0,0,1] neg_hi:[0,0,1]
	v_dual_mov_b32 v11, v23 :: v_dual_mov_b32 v3, v9
	s_delay_alu instid0(VALU_DEP_4) | instskip(SKIP_2) | instid1(VALU_DEP_4)
	v_mov_b32_e32 v1, v13
	v_pk_add_f32 v[180:181], v[180:181], v[4:5] neg_lo:[0,1] neg_hi:[0,1]
	v_pk_add_f32 v[184:185], v[184:185], v[6:7] neg_lo:[0,1] neg_hi:[0,1]
	;; [unrolled: 1-line block ×5, first 2 shown]
.LBB95_28:
	s_or_b32 exec_lo, exec_lo, s1
	s_delay_alu instid0(SALU_CYCLE_1)
	s_mov_b32 s2, exec_lo
	s_wait_dscnt 0x0
	s_barrier_signal -1
	s_barrier_wait -1
	v_cmpx_eq_u32_e32 3, v54
	s_cbranch_execz .LBB95_35
; %bb.29:
	v_dual_mov_b32 v0, v62 :: v_dual_mov_b32 v1, v63
	v_dual_mov_b32 v2, v34 :: v_dual_mov_b32 v3, v35
	;; [unrolled: 1-line block ×8, first 2 shown]
	ds_store_b64 v55, v[86:87]
	ds_store_2addr_b64 v56, v[0:1], v[2:3] offset0:4 offset1:5
	ds_store_2addr_b64 v56, v[4:5], v[6:7] offset0:6 offset1:7
	ds_store_2addr_b64 v56, v[8:9], v[10:11] offset0:8 offset1:9
	ds_store_2addr_b64 v56, v[12:13], v[14:15] offset0:10 offset1:11
	v_dual_mov_b32 v0, v50 :: v_dual_mov_b32 v1, v51
	v_dual_mov_b32 v2, v46 :: v_dual_mov_b32 v3, v47
	;; [unrolled: 1-line block ×12, first 2 shown]
	ds_store_2addr_b64 v56, v[0:1], v[2:3] offset0:12 offset1:13
	ds_store_2addr_b64 v56, v[4:5], v[6:7] offset0:14 offset1:15
	;; [unrolled: 1-line block ×6, first 2 shown]
	v_dual_mov_b32 v0, v112 :: v_dual_mov_b32 v1, v113
	v_dual_mov_b32 v2, v108 :: v_dual_mov_b32 v3, v109
	;; [unrolled: 1-line block ×12, first 2 shown]
	ds_store_2addr_b64 v56, v[0:1], v[2:3] offset0:24 offset1:25
	ds_store_2addr_b64 v56, v[4:5], v[6:7] offset0:26 offset1:27
	;; [unrolled: 1-line block ×6, first 2 shown]
	v_dual_mov_b32 v0, v164 :: v_dual_mov_b32 v1, v165
	v_dual_mov_b32 v2, v160 :: v_dual_mov_b32 v3, v161
	;; [unrolled: 1-line block ×11, first 2 shown]
	ds_store_2addr_b64 v56, v[0:1], v[2:3] offset0:36 offset1:37
	ds_store_2addr_b64 v56, v[4:5], v[6:7] offset0:38 offset1:39
	;; [unrolled: 1-line block ×6, first 2 shown]
	ds_load_b64 v[0:1], v55
	s_wait_dscnt 0x0
	v_cmp_neq_f32_e32 vcc_lo, 0, v0
	v_cmp_neq_f32_e64 s1, 0, v1
	s_or_b32 s1, vcc_lo, s1
	s_delay_alu instid0(SALU_CYCLE_1)
	s_and_b32 exec_lo, exec_lo, s1
	s_cbranch_execz .LBB95_35
; %bb.30:
	v_cmp_ngt_f32_e64 s1, |v0|, |v1|
                                        ; implicit-def: $vgpr2_vgpr3
	s_and_saveexec_b32 s4, s1
	s_delay_alu instid0(SALU_CYCLE_1)
	s_xor_b32 s1, exec_lo, s4
	s_cbranch_execz .LBB95_32
; %bb.31:
	v_div_scale_f32 v2, null, v1, v1, v0
	v_div_scale_f32 v5, vcc_lo, v0, v1, v0
	s_delay_alu instid0(VALU_DEP_2) | instskip(SKIP_1) | instid1(TRANS32_DEP_1)
	v_rcp_f32_e32 v3, v2
	v_nop
	v_fma_f32 v4, -v2, v3, 1.0
	s_delay_alu instid0(VALU_DEP_1) | instskip(NEXT) | instid1(VALU_DEP_1)
	v_fmac_f32_e32 v3, v4, v3
	v_mul_f32_e32 v4, v5, v3
	s_delay_alu instid0(VALU_DEP_1) | instskip(NEXT) | instid1(VALU_DEP_1)
	v_fma_f32 v6, -v2, v4, v5
	v_fmac_f32_e32 v4, v6, v3
	s_delay_alu instid0(VALU_DEP_1) | instskip(NEXT) | instid1(VALU_DEP_1)
	v_fma_f32 v2, -v2, v4, v5
	v_div_fmas_f32 v2, v2, v3, v4
	s_delay_alu instid0(VALU_DEP_1) | instskip(NEXT) | instid1(VALU_DEP_1)
	v_div_fixup_f32 v2, v2, v1, v0
	v_fmac_f32_e32 v1, v0, v2
	s_delay_alu instid0(VALU_DEP_1) | instskip(SKIP_1) | instid1(VALU_DEP_2)
	v_div_scale_f32 v0, null, v1, v1, 1.0
	v_div_scale_f32 v5, vcc_lo, 1.0, v1, 1.0
	v_rcp_f32_e32 v3, v0
	v_nop
	s_delay_alu instid0(TRANS32_DEP_1) | instskip(NEXT) | instid1(VALU_DEP_1)
	v_fma_f32 v4, -v0, v3, 1.0
	v_fmac_f32_e32 v3, v4, v3
	s_delay_alu instid0(VALU_DEP_1) | instskip(NEXT) | instid1(VALU_DEP_1)
	v_mul_f32_e32 v4, v5, v3
	v_fma_f32 v6, -v0, v4, v5
	s_delay_alu instid0(VALU_DEP_1) | instskip(NEXT) | instid1(VALU_DEP_1)
	v_fmac_f32_e32 v4, v6, v3
	v_fma_f32 v0, -v0, v4, v5
	s_delay_alu instid0(VALU_DEP_1) | instskip(NEXT) | instid1(VALU_DEP_1)
	v_div_fmas_f32 v0, v0, v3, v4
	v_div_fixup_f32 v0, v0, v1, 1.0
	s_delay_alu instid0(VALU_DEP_1)
	v_mul_f32_e32 v2, v2, v0
	v_xor_b32_e32 v3, 0x80000000, v0
                                        ; implicit-def: $vgpr0_vgpr1
.LBB95_32:
	s_and_not1_saveexec_b32 s1, s1
	s_cbranch_execz .LBB95_34
; %bb.33:
	v_div_scale_f32 v2, null, v0, v0, v1
	v_div_scale_f32 v5, vcc_lo, v1, v0, v1
	s_delay_alu instid0(VALU_DEP_2) | instskip(SKIP_1) | instid1(TRANS32_DEP_1)
	v_rcp_f32_e32 v3, v2
	v_nop
	v_fma_f32 v4, -v2, v3, 1.0
	s_delay_alu instid0(VALU_DEP_1) | instskip(NEXT) | instid1(VALU_DEP_1)
	v_fmac_f32_e32 v3, v4, v3
	v_mul_f32_e32 v4, v5, v3
	s_delay_alu instid0(VALU_DEP_1) | instskip(NEXT) | instid1(VALU_DEP_1)
	v_fma_f32 v6, -v2, v4, v5
	v_fmac_f32_e32 v4, v6, v3
	s_delay_alu instid0(VALU_DEP_1) | instskip(NEXT) | instid1(VALU_DEP_1)
	v_fma_f32 v2, -v2, v4, v5
	v_div_fmas_f32 v2, v2, v3, v4
	s_delay_alu instid0(VALU_DEP_1) | instskip(NEXT) | instid1(VALU_DEP_1)
	v_div_fixup_f32 v3, v2, v0, v1
	v_fmac_f32_e32 v0, v1, v3
	s_delay_alu instid0(VALU_DEP_1) | instskip(NEXT) | instid1(VALU_DEP_1)
	v_div_scale_f32 v1, null, v0, v0, 1.0
	v_rcp_f32_e32 v2, v1
	v_nop
	s_delay_alu instid0(TRANS32_DEP_1) | instskip(NEXT) | instid1(VALU_DEP_1)
	v_fma_f32 v4, -v1, v2, 1.0
	v_fmac_f32_e32 v2, v4, v2
	v_div_scale_f32 v4, vcc_lo, 1.0, v0, 1.0
	s_delay_alu instid0(VALU_DEP_1) | instskip(NEXT) | instid1(VALU_DEP_1)
	v_mul_f32_e32 v5, v4, v2
	v_fma_f32 v6, -v1, v5, v4
	s_delay_alu instid0(VALU_DEP_1) | instskip(NEXT) | instid1(VALU_DEP_1)
	v_fmac_f32_e32 v5, v6, v2
	v_fma_f32 v1, -v1, v5, v4
	s_delay_alu instid0(VALU_DEP_1) | instskip(NEXT) | instid1(VALU_DEP_1)
	v_div_fmas_f32 v1, v1, v2, v5
	v_div_fixup_f32 v2, v1, v0, 1.0
	s_delay_alu instid0(VALU_DEP_1)
	v_mul_f32_e64 v3, v3, -v2
.LBB95_34:
	s_or_b32 exec_lo, exec_lo, s1
	ds_store_b64 v55, v[2:3]
.LBB95_35:
	s_or_b32 exec_lo, exec_lo, s2
	s_wait_dscnt 0x0
	s_barrier_signal -1
	s_barrier_wait -1
	ds_load_b64 v[200:201], v55
	s_mov_b32 s1, exec_lo
	v_cmpx_lt_u32_e32 3, v54
	s_cbranch_execz .LBB95_37
; %bb.36:
	ds_load_2addr_b64 v[4:7], v56 offset0:4 offset1:5
	ds_load_2addr_b64 v[8:11], v56 offset0:6 offset1:7
	;; [unrolled: 1-line block ×3, first 2 shown]
	s_wait_dscnt 0x3
	v_pk_mul_f32 v[2:3], v[200:201], v[86:87] op_sel:[1,1] op_sel_hi:[0,1]
	ds_load_2addr_b64 v[18:21], v56 offset0:10 offset1:11
	ds_load_2addr_b64 v[22:25], v56 offset0:12 offset1:13
	v_pk_fma_f32 v[0:1], v[200:201], v[86:87], v[2:3] op_sel_hi:[1,0,1] neg_lo:[0,0,1] neg_hi:[0,0,1]
	v_pk_fma_f32 v[2:3], v[200:201], v[86:87], v[2:3] op_sel_hi:[1,0,1]
	s_delay_alu instid0(VALU_DEP_1) | instskip(SKIP_1) | instid1(VALU_DEP_2)
	v_dual_mov_b32 v86, v0 :: v_dual_mov_b32 v87, v3
	s_wait_dscnt 0x4
	v_pk_mul_f32 v[32:33], v[4:5], v[2:3] op_sel:[0,1]
	v_pk_mul_f32 v[38:39], v[6:7], v[2:3] op_sel:[0,1]
	s_wait_dscnt 0x3
	v_pk_mul_f32 v[40:41], v[8:9], v[2:3] op_sel:[0,1]
	v_dual_mov_b32 v42, v11 :: v_dual_mov_b32 v43, v10
	v_dual_mul_f32 v52, v11, v3 :: v_dual_mul_f32 v76, v11, v0
	v_pk_fma_f32 v[204:205], v[4:5], v[0:1], v[32:33] op_sel:[0,0,1] op_sel_hi:[1,1,0] neg_lo:[0,0,1] neg_hi:[0,0,1]
	v_pk_fma_f32 v[4:5], v[4:5], v[0:1], v[32:33] op_sel:[0,0,1] op_sel_hi:[1,0,0]
	v_pk_fma_f32 v[32:33], v[6:7], v[0:1], v[38:39] op_sel:[0,0,1] op_sel_hi:[1,1,0] neg_lo:[0,0,1] neg_hi:[0,0,1]
	v_pk_fma_f32 v[6:7], v[6:7], v[0:1], v[38:39] op_sel:[0,0,1] op_sel_hi:[1,0,0]
	;; [unrolled: 2-line block ×3, first 2 shown]
	v_pk_fma_f32 v[40:41], v[42:43], v[86:87], v[76:77] op_sel_hi:[1,1,0]
	v_pk_fma_f32 v[10:11], v[10:11], v[86:87], v[52:53] op_sel_hi:[1,1,0] neg_lo:[0,0,1] neg_hi:[0,0,1]
	s_wait_dscnt 0x2
	v_pk_mul_f32 v[78:79], v[12:13], v[2:3] op_sel:[0,1]
	v_pk_mul_f32 v[202:203], v[14:15], v[2:3] op_sel:[0,1]
	v_dual_mov_b32 v205, v5 :: v_dual_mov_b32 v33, v7
	v_dual_mov_b32 v39, v9 :: v_dual_mov_b32 v11, v41
	s_delay_alu instid0(VALU_DEP_4)
	v_pk_fma_f32 v[8:9], v[12:13], v[0:1], v[78:79] op_sel:[0,0,1] op_sel_hi:[1,0,0]
	ds_load_2addr_b64 v[4:7], v56 offset0:14 offset1:15
	v_pk_add_f32 v[34:35], v[34:35], v[32:33] neg_lo:[0,1] neg_hi:[0,1]
	v_pk_fma_f32 v[32:33], v[14:15], v[0:1], v[202:203] op_sel:[0,0,1] op_sel_hi:[1,0,0]
	v_pk_add_f32 v[60:61], v[60:61], v[10:11] neg_lo:[0,1] neg_hi:[0,1]
	s_wait_dscnt 0x2
	v_pk_mul_f32 v[10:11], v[18:19], v[2:3] op_sel:[0,1]
	v_pk_fma_f32 v[12:13], v[12:13], v[0:1], v[78:79] op_sel:[0,0,1] op_sel_hi:[1,1,0] neg_lo:[0,0,1] neg_hi:[0,0,1]
	v_pk_fma_f32 v[14:15], v[14:15], v[0:1], v[202:203] op_sel:[0,0,1] op_sel_hi:[1,1,0] neg_lo:[0,0,1] neg_hi:[0,0,1]
	v_dual_mov_b32 v13, v9 :: v_dual_mov_b32 v15, v33
	s_delay_alu instid0(VALU_DEP_4) | instskip(SKIP_2) | instid1(VALU_DEP_4)
	v_pk_fma_f32 v[8:9], v[18:19], v[0:1], v[10:11] op_sel:[0,0,1] op_sel_hi:[1,0,0]
	v_pk_mul_f32 v[32:33], v[20:21], v[2:3] op_sel:[0,1]
	v_pk_fma_f32 v[18:19], v[18:19], v[0:1], v[10:11] op_sel:[0,0,1] op_sel_hi:[1,1,0] neg_lo:[0,0,1] neg_hi:[0,0,1]
	v_pk_add_f32 v[84:85], v[84:85], v[12:13] neg_lo:[0,1] neg_hi:[0,1]
	v_pk_add_f32 v[28:29], v[28:29], v[14:15] neg_lo:[0,1] neg_hi:[0,1]
	v_mov_b32_e32 v19, v9
	v_pk_fma_f32 v[12:13], v[20:21], v[0:1], v[32:33] op_sel:[0,0,1] op_sel_hi:[1,0,0]
	ds_load_2addr_b64 v[8:11], v56 offset0:16 offset1:17
	s_wait_dscnt 0x2
	v_mul_f32_e32 v12, v23, v0
	v_pk_fma_f32 v[14:15], v[20:21], v[0:1], v[32:33] op_sel:[0,0,1] op_sel_hi:[1,1,0] neg_lo:[0,0,1] neg_hi:[0,0,1]
	v_pk_add_f32 v[30:31], v[30:31], v[18:19] neg_lo:[0,1] neg_hi:[0,1]
	v_dual_mov_b32 v15, v13 :: v_dual_mul_f32 v18, v23, v3
	v_pk_mul_f32 v[20:21], v[24:25], v[2:3] op_sel:[0,1]
	v_pk_fma_f32 v[12:13], v[22:23], v[86:87], v[12:13] op_sel:[1,0,0] op_sel_hi:[0,1,0]
	s_wait_dscnt 0x1
	v_pk_mul_f32 v[32:33], v[4:5], v[2:3] op_sel:[0,1]
	v_pk_add_f32 v[26:27], v[26:27], v[14:15] neg_lo:[0,1] neg_hi:[0,1]
	v_pk_fma_f32 v[18:19], v[22:23], v[86:87], v[18:19] op_sel_hi:[1,1,0] neg_lo:[0,0,1] neg_hi:[0,0,1]
	v_pk_fma_f32 v[22:23], v[24:25], v[0:1], v[20:21] op_sel:[0,0,1] op_sel_hi:[1,0,0]
	v_mov_b32_e32 v19, v13
	ds_load_2addr_b64 v[12:15], v56 offset0:18 offset1:19
	v_pk_fma_f32 v[20:21], v[24:25], v[0:1], v[20:21] op_sel:[0,0,1] op_sel_hi:[1,1,0] neg_lo:[0,0,1] neg_hi:[0,0,1]
	v_pk_add_f32 v[36:37], v[36:37], v[38:39] neg_lo:[0,1] neg_hi:[0,1]
	v_pk_fma_f32 v[38:39], v[4:5], v[0:1], v[32:33] op_sel:[0,0,1] op_sel_hi:[1,0,0]
	v_mov_b32_e32 v21, v23
	v_pk_mul_f32 v[22:23], v[6:7], v[2:3] op_sel:[0,1]
	v_pk_fma_f32 v[4:5], v[4:5], v[0:1], v[32:33] op_sel:[0,0,1] op_sel_hi:[1,1,0] neg_lo:[0,0,1] neg_hi:[0,0,1]
	v_pk_add_f32 v[50:51], v[50:51], v[18:19] neg_lo:[0,1] neg_hi:[0,1]
	s_wait_dscnt 0x1
	v_pk_mul_f32 v[24:25], v[8:9], v[2:3] op_sel:[0,1]
	v_pk_add_f32 v[46:47], v[46:47], v[20:21] neg_lo:[0,1] neg_hi:[0,1]
	v_pk_fma_f32 v[18:19], v[6:7], v[0:1], v[22:23] op_sel:[0,0,1] op_sel_hi:[1,0,0]
	v_mov_b32_e32 v5, v39
	v_pk_fma_f32 v[22:23], v[6:7], v[0:1], v[22:23] op_sel:[0,0,1] op_sel_hi:[1,1,0] neg_lo:[0,0,1] neg_hi:[0,0,1]
	v_pk_fma_f32 v[20:21], v[8:9], v[0:1], v[24:25] op_sel:[0,0,1] op_sel_hi:[1,0,0]
	v_pk_fma_f32 v[8:9], v[8:9], v[0:1], v[24:25] op_sel:[0,0,1] op_sel_hi:[1,1,0] neg_lo:[0,0,1] neg_hi:[0,0,1]
	v_mov_b32_e32 v23, v19
	v_pk_add_f32 v[48:49], v[48:49], v[4:5] neg_lo:[0,1] neg_hi:[0,1]
	ds_load_2addr_b64 v[4:7], v56 offset0:20 offset1:21
	v_dual_mov_b32 v9, v21 :: v_dual_mov_b32 v18, v11
	s_wait_dscnt 0x1
	v_pk_mul_f32 v[24:25], v[12:13], v[2:3] op_sel:[0,1]
	v_dual_mov_b32 v19, v10 :: v_dual_mul_f32 v20, v11, v0
	s_delay_alu instid0(VALU_DEP_3) | instskip(SKIP_1) | instid1(VALU_DEP_4)
	v_pk_add_f32 v[74:75], v[74:75], v[8:9] neg_lo:[0,1] neg_hi:[0,1]
	v_pk_add_f32 v[44:45], v[44:45], v[22:23] neg_lo:[0,1] neg_hi:[0,1]
	v_pk_fma_f32 v[32:33], v[12:13], v[0:1], v[24:25] op_sel:[0,0,1] op_sel_hi:[1,0,0]
	v_mul_f32_e32 v8, v11, v3
	v_pk_fma_f32 v[22:23], v[18:19], v[86:87], v[20:21] op_sel_hi:[1,1,0]
	v_pk_mul_f32 v[38:39], v[14:15], v[2:3] op_sel:[0,1]
	ds_load_2addr_b64 v[18:21], v56 offset0:22 offset1:23
	v_pk_fma_f32 v[12:13], v[12:13], v[0:1], v[24:25] op_sel:[0,0,1] op_sel_hi:[1,1,0] neg_lo:[0,0,1] neg_hi:[0,0,1]
	v_mov_b32_e32 v13, v33
	v_pk_fma_f32 v[40:41], v[10:11], v[86:87], v[8:9] op_sel_hi:[1,1,0] neg_lo:[0,0,1] neg_hi:[0,0,1]
	v_mov_b32_e32 v41, v23
	v_pk_fma_f32 v[22:23], v[14:15], v[0:1], v[38:39] op_sel:[0,0,1] op_sel_hi:[1,0,0]
	ds_load_2addr_b64 v[8:11], v56 offset0:24 offset1:25
	v_pk_fma_f32 v[14:15], v[14:15], v[0:1], v[38:39] op_sel:[0,0,1] op_sel_hi:[1,1,0] neg_lo:[0,0,1] neg_hi:[0,0,1]
	s_wait_dscnt 0x2
	v_pk_mul_f32 v[24:25], v[4:5], v[2:3] op_sel:[0,1]
	v_pk_add_f32 v[72:73], v[72:73], v[12:13] neg_lo:[0,1] neg_hi:[0,1]
	v_mov_b32_e32 v15, v23
	v_pk_mul_f32 v[22:23], v[6:7], v[2:3] op_sel:[0,1]
	v_pk_add_f32 v[70:71], v[70:71], v[40:41] neg_lo:[0,1] neg_hi:[0,1]
	v_pk_fma_f32 v[32:33], v[4:5], v[0:1], v[24:25] op_sel:[0,0,1] op_sel_hi:[1,0,0]
	v_pk_fma_f32 v[4:5], v[4:5], v[0:1], v[24:25] op_sel:[0,0,1] op_sel_hi:[1,1,0] neg_lo:[0,0,1] neg_hi:[0,0,1]
	v_pk_add_f32 v[68:69], v[68:69], v[14:15] neg_lo:[0,1] neg_hi:[0,1]
	v_pk_fma_f32 v[24:25], v[6:7], v[0:1], v[22:23] op_sel:[0,0,1] op_sel_hi:[1,0,0]
	ds_load_2addr_b64 v[12:15], v56 offset0:26 offset1:27
	v_mov_b32_e32 v5, v33
	v_pk_fma_f32 v[6:7], v[6:7], v[0:1], v[22:23] op_sel:[0,0,1] op_sel_hi:[1,1,0] neg_lo:[0,0,1] neg_hi:[0,0,1]
	s_wait_dscnt 0x2
	v_dual_mul_f32 v22, v19, v0 :: v_dual_mov_b32 v7, v25
	v_mul_f32_e32 v24, v19, v3
	v_pk_add_f32 v[96:97], v[96:97], v[4:5] neg_lo:[0,1] neg_hi:[0,1]
	v_pk_mul_f32 v[4:5], v[20:21], v[2:3] op_sel:[0,1]
	s_delay_alu instid0(VALU_DEP_4)
	v_pk_fma_f32 v[22:23], v[18:19], v[86:87], v[22:23] op_sel:[1,0,0] op_sel_hi:[0,1,0]
	v_pk_add_f32 v[92:93], v[92:93], v[6:7] neg_lo:[0,1] neg_hi:[0,1]
	s_wait_dscnt 0x1
	v_pk_mul_f32 v[32:33], v[8:9], v[2:3] op_sel:[0,1]
	v_pk_fma_f32 v[18:19], v[18:19], v[86:87], v[24:25] op_sel_hi:[1,1,0] neg_lo:[0,0,1] neg_hi:[0,0,1]
	v_pk_fma_f32 v[6:7], v[20:21], v[0:1], v[4:5] op_sel:[0,0,1] op_sel_hi:[1,0,0]
	v_pk_fma_f32 v[20:21], v[20:21], v[0:1], v[4:5] op_sel:[0,0,1] op_sel_hi:[1,1,0] neg_lo:[0,0,1] neg_hi:[0,0,1]
	v_mov_b32_e32 v19, v23
	v_pk_fma_f32 v[22:23], v[8:9], v[0:1], v[32:33] op_sel:[0,0,1] op_sel_hi:[1,0,0]
	v_pk_mul_f32 v[24:25], v[10:11], v[2:3] op_sel:[0,1]
	v_mov_b32_e32 v21, v7
	ds_load_2addr_b64 v[4:7], v56 offset0:28 offset1:29
	v_pk_fma_f32 v[8:9], v[8:9], v[0:1], v[32:33] op_sel:[0,0,1] op_sel_hi:[1,1,0] neg_lo:[0,0,1] neg_hi:[0,0,1]
	v_pk_add_f32 v[94:95], v[94:95], v[18:19] neg_lo:[0,1] neg_hi:[0,1]
	v_pk_fma_f32 v[18:19], v[10:11], v[0:1], v[24:25] op_sel:[0,0,1] op_sel_hi:[1,0,0]
	v_mov_b32_e32 v9, v23
	s_wait_dscnt 0x1
	v_pk_mul_f32 v[22:23], v[12:13], v[2:3] op_sel:[0,1]
	v_pk_fma_f32 v[24:25], v[10:11], v[0:1], v[24:25] op_sel:[0,0,1] op_sel_hi:[1,1,0] neg_lo:[0,0,1] neg_hi:[0,0,1]
	v_pk_add_f32 v[90:91], v[90:91], v[20:21] neg_lo:[0,1] neg_hi:[0,1]
	v_mov_b32_e32 v25, v19
	v_pk_add_f32 v[112:113], v[112:113], v[8:9] neg_lo:[0,1] neg_hi:[0,1]
	v_pk_fma_f32 v[20:21], v[12:13], v[0:1], v[22:23] op_sel:[0,0,1] op_sel_hi:[1,0,0]
	ds_load_2addr_b64 v[8:11], v56 offset0:30 offset1:31
	v_pk_fma_f32 v[12:13], v[12:13], v[0:1], v[22:23] op_sel:[0,0,1] op_sel_hi:[1,1,0] neg_lo:[0,0,1] neg_hi:[0,0,1]
	v_dual_mov_b32 v18, v15 :: v_dual_mov_b32 v19, v14
	v_dual_mul_f32 v20, v15, v0 :: v_dual_mov_b32 v13, v21
	v_pk_add_f32 v[108:109], v[108:109], v[24:25] neg_lo:[0,1] neg_hi:[0,1]
	v_pk_add_f32 v[62:63], v[62:63], v[204:205] neg_lo:[0,1] neg_hi:[0,1]
	s_delay_alu instid0(VALU_DEP_3) | instskip(NEXT) | instid1(VALU_DEP_4)
	v_pk_fma_f32 v[24:25], v[18:19], v[86:87], v[20:21] op_sel_hi:[1,1,0]
	v_pk_add_f32 v[110:111], v[110:111], v[12:13] neg_lo:[0,1] neg_hi:[0,1]
	s_wait_dscnt 0x1
	v_pk_mul_f32 v[12:13], v[4:5], v[2:3] op_sel:[0,1]
	ds_load_2addr_b64 v[18:21], v56 offset0:32 offset1:33
	v_mul_f32_e32 v22, v15, v3
	v_pk_mul_f32 v[32:33], v[6:7], v[2:3] op_sel:[0,1]
	v_pk_fma_f32 v[38:39], v[4:5], v[0:1], v[12:13] op_sel:[0,0,1] op_sel_hi:[1,0,0]
	v_pk_fma_f32 v[4:5], v[4:5], v[0:1], v[12:13] op_sel:[0,0,1] op_sel_hi:[1,1,0] neg_lo:[0,0,1] neg_hi:[0,0,1]
	s_delay_alu instid0(VALU_DEP_4)
	v_pk_fma_f32 v[22:23], v[14:15], v[86:87], v[22:23] op_sel_hi:[1,1,0] neg_lo:[0,0,1] neg_hi:[0,0,1]
	v_mov_b32_e32 v23, v25
	v_pk_fma_f32 v[24:25], v[6:7], v[0:1], v[32:33] op_sel:[0,0,1] op_sel_hi:[1,0,0]
	v_mov_b32_e32 v5, v39
	s_wait_dscnt 0x1
	v_pk_mul_f32 v[38:39], v[8:9], v[2:3] op_sel:[0,1]
	ds_load_2addr_b64 v[12:15], v56 offset0:34 offset1:35
	v_pk_fma_f32 v[6:7], v[6:7], v[0:1], v[32:33] op_sel:[0,0,1] op_sel_hi:[1,1,0] neg_lo:[0,0,1] neg_hi:[0,0,1]
	v_mov_b32_e32 v7, v25
	v_pk_add_f32 v[106:107], v[106:107], v[22:23] neg_lo:[0,1] neg_hi:[0,1]
	v_pk_mul_f32 v[22:23], v[10:11], v[2:3] op_sel:[0,1]
	v_pk_fma_f32 v[24:25], v[8:9], v[0:1], v[38:39] op_sel:[0,0,1] op_sel_hi:[1,0,0]
	v_pk_fma_f32 v[8:9], v[8:9], v[0:1], v[38:39] op_sel:[0,0,1] op_sel_hi:[1,1,0] neg_lo:[0,0,1] neg_hi:[0,0,1]
	v_pk_add_f32 v[128:129], v[128:129], v[4:5] neg_lo:[0,1] neg_hi:[0,1]
	v_pk_add_f32 v[124:125], v[124:125], v[6:7] neg_lo:[0,1] neg_hi:[0,1]
	v_pk_fma_f32 v[32:33], v[10:11], v[0:1], v[22:23] op_sel:[0,0,1] op_sel_hi:[1,0,0]
	s_wait_dscnt 0x1
	v_dual_mov_b32 v9, v25 :: v_dual_mul_f32 v24, v19, v0
	ds_load_2addr_b64 v[4:7], v56 offset0:36 offset1:37
	v_pk_fma_f32 v[10:11], v[10:11], v[0:1], v[22:23] op_sel:[0,0,1] op_sel_hi:[1,1,0] neg_lo:[0,0,1] neg_hi:[0,0,1]
	v_mov_b32_e32 v11, v33
	v_pk_add_f32 v[126:127], v[126:127], v[8:9] neg_lo:[0,1] neg_hi:[0,1]
	v_mul_f32_e32 v8, v19, v3
	v_pk_fma_f32 v[22:23], v[18:19], v[86:87], v[24:25] op_sel:[1,0,0] op_sel_hi:[0,1,0]
	v_pk_mul_f32 v[24:25], v[20:21], v[2:3] op_sel:[0,1]
	v_pk_add_f32 v[122:123], v[122:123], v[10:11] neg_lo:[0,1] neg_hi:[0,1]
	s_wait_dscnt 0x1
	v_pk_mul_f32 v[32:33], v[12:13], v[2:3] op_sel:[0,1]
	v_pk_fma_f32 v[18:19], v[18:19], v[86:87], v[8:9] op_sel_hi:[1,1,0] neg_lo:[0,0,1] neg_hi:[0,0,1]
	v_mov_b32_e32 v19, v23
	v_pk_fma_f32 v[22:23], v[20:21], v[0:1], v[24:25] op_sel:[0,0,1] op_sel_hi:[1,0,0]
	v_pk_mul_f32 v[38:39], v[14:15], v[2:3] op_sel:[0,1]
	ds_load_2addr_b64 v[8:11], v56 offset0:38 offset1:39
	v_pk_fma_f32 v[20:21], v[20:21], v[0:1], v[24:25] op_sel:[0,0,1] op_sel_hi:[1,1,0] neg_lo:[0,0,1] neg_hi:[0,0,1]
	v_pk_fma_f32 v[40:41], v[12:13], v[0:1], v[32:33] op_sel:[0,0,1] op_sel_hi:[1,0,0]
	v_mov_b32_e32 v21, v23
	v_pk_fma_f32 v[22:23], v[14:15], v[0:1], v[38:39] op_sel:[0,0,1] op_sel_hi:[1,0,0]
	v_pk_fma_f32 v[12:13], v[12:13], v[0:1], v[32:33] op_sel:[0,0,1] op_sel_hi:[1,1,0] neg_lo:[0,0,1] neg_hi:[0,0,1]
	v_pk_fma_f32 v[14:15], v[14:15], v[0:1], v[38:39] op_sel:[0,0,1] op_sel_hi:[1,1,0] neg_lo:[0,0,1] neg_hi:[0,0,1]
	v_mov_b32_e32 v13, v41
	s_wait_dscnt 0x1
	v_pk_mul_f32 v[24:25], v[4:5], v[2:3] op_sel:[0,1]
	v_mov_b32_e32 v15, v23
	v_pk_add_f32 v[144:145], v[144:145], v[18:19] neg_lo:[0,1] neg_hi:[0,1]
	v_pk_add_f32 v[140:141], v[140:141], v[20:21] neg_lo:[0,1] neg_hi:[0,1]
	;; [unrolled: 1-line block ×3, first 2 shown]
	v_pk_fma_f32 v[18:19], v[4:5], v[0:1], v[24:25] op_sel:[0,0,1] op_sel_hi:[1,0,0]
	v_pk_add_f32 v[138:139], v[138:139], v[14:15] neg_lo:[0,1] neg_hi:[0,1]
	ds_load_2addr_b64 v[12:15], v56 offset0:40 offset1:41
	v_pk_fma_f32 v[4:5], v[4:5], v[0:1], v[24:25] op_sel:[0,0,1] op_sel_hi:[1,1,0] neg_lo:[0,0,1] neg_hi:[0,0,1]
	v_dual_mov_b32 v22, v7 :: v_dual_mov_b32 v5, v19
	ds_load_2addr_b64 v[18:21], v56 offset0:42 offset1:43
	s_wait_dscnt 0x2
	v_pk_mul_f32 v[32:33], v[8:9], v[2:3] op_sel:[0,1]
	v_dual_mov_b32 v23, v6 :: v_dual_mul_f32 v24, v7, v0
	v_pk_add_f32 v[164:165], v[164:165], v[4:5] neg_lo:[0,1] neg_hi:[0,1]
	v_pk_mul_f32 v[40:41], v[10:11], v[2:3] op_sel:[0,1]
	s_delay_alu instid0(VALU_DEP_4)
	v_pk_fma_f32 v[4:5], v[8:9], v[0:1], v[32:33] op_sel:[0,0,1] op_sel_hi:[1,0,0]
	v_mul_f32_e32 v38, v7, v3
	v_pk_fma_f32 v[22:23], v[22:23], v[86:87], v[24:25] op_sel_hi:[1,1,0]
	v_pk_fma_f32 v[8:9], v[8:9], v[0:1], v[32:33] op_sel:[0,0,1] op_sel_hi:[1,1,0] neg_lo:[0,0,1] neg_hi:[0,0,1]
	v_pk_fma_f32 v[24:25], v[10:11], v[0:1], v[40:41] op_sel:[0,0,1] op_sel_hi:[1,0,0]
	v_mov_b32_e32 v9, v5
	v_pk_fma_f32 v[6:7], v[6:7], v[86:87], v[38:39] op_sel_hi:[1,1,0] neg_lo:[0,0,1] neg_hi:[0,0,1]
	v_mov_b32_e32 v7, v23
	v_pk_fma_f32 v[10:11], v[10:11], v[0:1], v[40:41] op_sel:[0,0,1] op_sel_hi:[1,1,0] neg_lo:[0,0,1] neg_hi:[0,0,1]
	v_mov_b32_e32 v11, v25
	s_wait_dscnt 0x1
	v_pk_mul_f32 v[22:23], v[12:13], v[2:3] op_sel:[0,1]
	v_pk_mul_f32 v[32:33], v[14:15], v[2:3] op_sel:[0,1]
	v_pk_add_f32 v[160:161], v[160:161], v[6:7] neg_lo:[0,1] neg_hi:[0,1]
	ds_load_2addr_b64 v[4:7], v56 offset0:44 offset1:45
	v_pk_add_f32 v[162:163], v[162:163], v[8:9] neg_lo:[0,1] neg_hi:[0,1]
	v_pk_fma_f32 v[24:25], v[12:13], v[0:1], v[22:23] op_sel:[0,0,1] op_sel_hi:[1,0,0]
	s_wait_dscnt 0x1
	v_mul_f32_e32 v24, v19, v0
	v_pk_add_f32 v[158:159], v[158:159], v[10:11] neg_lo:[0,1] neg_hi:[0,1]
	ds_load_2addr_b64 v[8:11], v56 offset0:46 offset1:47
	v_pk_fma_f32 v[12:13], v[12:13], v[0:1], v[22:23] op_sel:[0,0,1] op_sel_hi:[1,1,0] neg_lo:[0,0,1] neg_hi:[0,0,1]
	v_pk_fma_f32 v[22:23], v[14:15], v[0:1], v[32:33] op_sel:[0,0,1] op_sel_hi:[1,0,0]
	v_mov_b32_e32 v13, v25
	v_pk_fma_f32 v[24:25], v[18:19], v[86:87], v[24:25] op_sel:[1,0,0] op_sel_hi:[0,1,0]
	v_mul_f32_e32 v22, v19, v3
	v_pk_fma_f32 v[14:15], v[14:15], v[0:1], v[32:33] op_sel:[0,0,1] op_sel_hi:[1,1,0] neg_lo:[0,0,1] neg_hi:[0,0,1]
	v_pk_mul_f32 v[32:33], v[20:21], v[2:3] op_sel:[0,1]
	v_pk_add_f32 v[188:189], v[188:189], v[12:13] neg_lo:[0,1] neg_hi:[0,1]
	s_delay_alu instid0(VALU_DEP_4) | instskip(SKIP_1) | instid1(VALU_DEP_4)
	v_pk_fma_f32 v[18:19], v[18:19], v[86:87], v[22:23] op_sel_hi:[1,1,0] neg_lo:[0,0,1] neg_hi:[0,0,1]
	v_mov_b32_e32 v19, v25
	v_pk_fma_f32 v[12:13], v[20:21], v[0:1], v[32:33] op_sel:[0,0,1] op_sel_hi:[1,0,0]
	v_mov_b32_e32 v15, v23
	s_delay_alu instid0(VALU_DEP_3) | instskip(SKIP_1) | instid1(VALU_DEP_4)
	v_pk_add_f32 v[186:187], v[186:187], v[18:19] neg_lo:[0,1] neg_hi:[0,1]
	v_pk_fma_f32 v[18:19], v[20:21], v[0:1], v[32:33] op_sel:[0,0,1] op_sel_hi:[1,1,0] neg_lo:[0,0,1] neg_hi:[0,0,1]
	v_mov_b32_e32 v19, v13
	s_delay_alu instid0(VALU_DEP_4)
	v_pk_add_f32 v[182:183], v[182:183], v[14:15] neg_lo:[0,1] neg_hi:[0,1]
	s_wait_dscnt 0x1
	v_pk_mul_f32 v[14:15], v[4:5], v[2:3] op_sel:[0,1]
	v_pk_mul_f32 v[12:13], v[6:7], v[2:3] op_sel:[0,1]
	s_wait_dscnt 0x0
	v_pk_mul_f32 v[22:23], v[8:9], v[2:3] op_sel:[0,1]
	v_pk_mul_f32 v[2:3], v[10:11], v[2:3] op_sel:[0,1]
	v_pk_add_f32 v[180:181], v[180:181], v[18:19] neg_lo:[0,1] neg_hi:[0,1]
	v_pk_fma_f32 v[20:21], v[4:5], v[0:1], v[14:15] op_sel:[0,0,1] op_sel_hi:[1,0,0]
	v_pk_fma_f32 v[4:5], v[4:5], v[0:1], v[14:15] op_sel:[0,0,1] op_sel_hi:[1,1,0] neg_lo:[0,0,1] neg_hi:[0,0,1]
	v_pk_fma_f32 v[14:15], v[6:7], v[0:1], v[12:13] op_sel:[0,0,1] op_sel_hi:[1,0,0]
	v_pk_fma_f32 v[6:7], v[6:7], v[0:1], v[12:13] op_sel:[0,0,1] op_sel_hi:[1,1,0] neg_lo:[0,0,1] neg_hi:[0,0,1]
	v_pk_fma_f32 v[12:13], v[10:11], v[0:1], v[2:3] op_sel:[0,0,1] op_sel_hi:[1,0,0]
	v_mov_b32_e32 v5, v21
	v_pk_fma_f32 v[20:21], v[8:9], v[0:1], v[22:23] op_sel:[0,0,1] op_sel_hi:[1,0,0]
	v_pk_fma_f32 v[8:9], v[8:9], v[0:1], v[22:23] op_sel:[0,0,1] op_sel_hi:[1,1,0] neg_lo:[0,0,1] neg_hi:[0,0,1]
	v_pk_fma_f32 v[0:1], v[10:11], v[0:1], v[2:3] op_sel:[0,0,1] op_sel_hi:[1,1,0] neg_lo:[0,0,1] neg_hi:[0,0,1]
	v_dual_mov_b32 v7, v15 :: v_dual_mov_b32 v1, v13
	s_delay_alu instid0(VALU_DEP_4) | instskip(SKIP_1) | instid1(VALU_DEP_3)
	v_mov_b32_e32 v9, v21
	v_pk_add_f32 v[184:185], v[184:185], v[4:5] neg_lo:[0,1] neg_hi:[0,1]
	v_pk_add_f32 v[178:179], v[178:179], v[6:7] neg_lo:[0,1] neg_hi:[0,1]
	s_delay_alu instid0(VALU_DEP_4) | instskip(NEXT) | instid1(VALU_DEP_4)
	v_pk_add_f32 v[192:193], v[192:193], v[0:1] neg_lo:[0,1] neg_hi:[0,1]
	v_pk_add_f32 v[190:191], v[190:191], v[8:9] neg_lo:[0,1] neg_hi:[0,1]
.LBB95_37:
	s_or_b32 exec_lo, exec_lo, s1
	s_delay_alu instid0(SALU_CYCLE_1)
	s_mov_b32 s2, exec_lo
	s_wait_dscnt 0x0
	s_barrier_signal -1
	s_barrier_wait -1
	v_cmpx_eq_u32_e32 4, v54
	s_cbranch_execz .LBB95_44
; %bb.38:
	ds_store_b64 v55, v[62:63]
	ds_store_2addr_b64 v56, v[34:35], v[36:37] offset0:5 offset1:6
	ds_store_2addr_b64 v56, v[60:61], v[84:85] offset0:7 offset1:8
	;; [unrolled: 1-line block ×21, first 2 shown]
	ds_store_b64 v56, v[192:193] offset:376
	ds_load_b64 v[0:1], v55
	s_wait_dscnt 0x0
	v_cmp_neq_f32_e32 vcc_lo, 0, v0
	v_cmp_neq_f32_e64 s1, 0, v1
	s_or_b32 s1, vcc_lo, s1
	s_delay_alu instid0(SALU_CYCLE_1)
	s_and_b32 exec_lo, exec_lo, s1
	s_cbranch_execz .LBB95_44
; %bb.39:
	v_cmp_ngt_f32_e64 s1, |v0|, |v1|
                                        ; implicit-def: $vgpr2_vgpr3
	s_and_saveexec_b32 s4, s1
	s_delay_alu instid0(SALU_CYCLE_1)
	s_xor_b32 s1, exec_lo, s4
	s_cbranch_execz .LBB95_41
; %bb.40:
	v_div_scale_f32 v2, null, v1, v1, v0
	v_div_scale_f32 v5, vcc_lo, v0, v1, v0
	s_delay_alu instid0(VALU_DEP_2) | instskip(SKIP_1) | instid1(TRANS32_DEP_1)
	v_rcp_f32_e32 v3, v2
	v_nop
	v_fma_f32 v4, -v2, v3, 1.0
	s_delay_alu instid0(VALU_DEP_1) | instskip(NEXT) | instid1(VALU_DEP_1)
	v_fmac_f32_e32 v3, v4, v3
	v_mul_f32_e32 v4, v5, v3
	s_delay_alu instid0(VALU_DEP_1) | instskip(NEXT) | instid1(VALU_DEP_1)
	v_fma_f32 v6, -v2, v4, v5
	v_fmac_f32_e32 v4, v6, v3
	s_delay_alu instid0(VALU_DEP_1) | instskip(NEXT) | instid1(VALU_DEP_1)
	v_fma_f32 v2, -v2, v4, v5
	v_div_fmas_f32 v2, v2, v3, v4
	s_delay_alu instid0(VALU_DEP_1) | instskip(NEXT) | instid1(VALU_DEP_1)
	v_div_fixup_f32 v2, v2, v1, v0
	v_fmac_f32_e32 v1, v0, v2
	s_delay_alu instid0(VALU_DEP_1) | instskip(SKIP_1) | instid1(VALU_DEP_2)
	v_div_scale_f32 v0, null, v1, v1, 1.0
	v_div_scale_f32 v5, vcc_lo, 1.0, v1, 1.0
	v_rcp_f32_e32 v3, v0
	v_nop
	s_delay_alu instid0(TRANS32_DEP_1) | instskip(NEXT) | instid1(VALU_DEP_1)
	v_fma_f32 v4, -v0, v3, 1.0
	v_fmac_f32_e32 v3, v4, v3
	s_delay_alu instid0(VALU_DEP_1) | instskip(NEXT) | instid1(VALU_DEP_1)
	v_mul_f32_e32 v4, v5, v3
	v_fma_f32 v6, -v0, v4, v5
	s_delay_alu instid0(VALU_DEP_1) | instskip(NEXT) | instid1(VALU_DEP_1)
	v_fmac_f32_e32 v4, v6, v3
	v_fma_f32 v0, -v0, v4, v5
	s_delay_alu instid0(VALU_DEP_1) | instskip(NEXT) | instid1(VALU_DEP_1)
	v_div_fmas_f32 v0, v0, v3, v4
	v_div_fixup_f32 v0, v0, v1, 1.0
	s_delay_alu instid0(VALU_DEP_1)
	v_mul_f32_e32 v2, v2, v0
	v_xor_b32_e32 v3, 0x80000000, v0
                                        ; implicit-def: $vgpr0_vgpr1
.LBB95_41:
	s_and_not1_saveexec_b32 s1, s1
	s_cbranch_execz .LBB95_43
; %bb.42:
	v_div_scale_f32 v2, null, v0, v0, v1
	v_div_scale_f32 v5, vcc_lo, v1, v0, v1
	s_delay_alu instid0(VALU_DEP_2) | instskip(SKIP_1) | instid1(TRANS32_DEP_1)
	v_rcp_f32_e32 v3, v2
	v_nop
	v_fma_f32 v4, -v2, v3, 1.0
	s_delay_alu instid0(VALU_DEP_1) | instskip(NEXT) | instid1(VALU_DEP_1)
	v_fmac_f32_e32 v3, v4, v3
	v_mul_f32_e32 v4, v5, v3
	s_delay_alu instid0(VALU_DEP_1) | instskip(NEXT) | instid1(VALU_DEP_1)
	v_fma_f32 v6, -v2, v4, v5
	v_fmac_f32_e32 v4, v6, v3
	s_delay_alu instid0(VALU_DEP_1) | instskip(NEXT) | instid1(VALU_DEP_1)
	v_fma_f32 v2, -v2, v4, v5
	v_div_fmas_f32 v2, v2, v3, v4
	s_delay_alu instid0(VALU_DEP_1) | instskip(NEXT) | instid1(VALU_DEP_1)
	v_div_fixup_f32 v3, v2, v0, v1
	v_fmac_f32_e32 v0, v1, v3
	s_delay_alu instid0(VALU_DEP_1) | instskip(NEXT) | instid1(VALU_DEP_1)
	v_div_scale_f32 v1, null, v0, v0, 1.0
	v_rcp_f32_e32 v2, v1
	v_nop
	s_delay_alu instid0(TRANS32_DEP_1) | instskip(NEXT) | instid1(VALU_DEP_1)
	v_fma_f32 v4, -v1, v2, 1.0
	v_fmac_f32_e32 v2, v4, v2
	v_div_scale_f32 v4, vcc_lo, 1.0, v0, 1.0
	s_delay_alu instid0(VALU_DEP_1) | instskip(NEXT) | instid1(VALU_DEP_1)
	v_mul_f32_e32 v5, v4, v2
	v_fma_f32 v6, -v1, v5, v4
	s_delay_alu instid0(VALU_DEP_1) | instskip(NEXT) | instid1(VALU_DEP_1)
	v_fmac_f32_e32 v5, v6, v2
	v_fma_f32 v1, -v1, v5, v4
	s_delay_alu instid0(VALU_DEP_1) | instskip(NEXT) | instid1(VALU_DEP_1)
	v_div_fmas_f32 v1, v1, v2, v5
	v_div_fixup_f32 v2, v1, v0, 1.0
	s_delay_alu instid0(VALU_DEP_1)
	v_mul_f32_e64 v3, v3, -v2
.LBB95_43:
	s_or_b32 exec_lo, exec_lo, s1
	ds_store_b64 v55, v[2:3]
.LBB95_44:
	s_or_b32 exec_lo, exec_lo, s2
	s_wait_dscnt 0x0
	s_barrier_signal -1
	s_barrier_wait -1
	ds_load_b64 v[202:203], v55
	s_mov_b32 s1, exec_lo
	v_cmpx_lt_u32_e32 4, v54
	s_cbranch_execz .LBB95_46
; %bb.45:
	ds_load_2addr_b64 v[4:7], v56 offset0:5 offset1:6
	ds_load_2addr_b64 v[8:11], v56 offset0:7 offset1:8
	;; [unrolled: 1-line block ×3, first 2 shown]
	s_wait_dscnt 0x3
	v_pk_mul_f32 v[2:3], v[202:203], v[62:63] op_sel:[1,1] op_sel_hi:[0,1]
	ds_load_2addr_b64 v[18:21], v56 offset0:11 offset1:12
	ds_load_2addr_b64 v[22:25], v56 offset0:13 offset1:14
	v_pk_fma_f32 v[0:1], v[202:203], v[62:63], v[2:3] op_sel_hi:[1,0,1] neg_lo:[0,0,1] neg_hi:[0,0,1]
	v_pk_fma_f32 v[2:3], v[202:203], v[62:63], v[2:3] op_sel_hi:[1,0,1]
	s_delay_alu instid0(VALU_DEP_1) | instskip(SKIP_1) | instid1(VALU_DEP_2)
	v_dual_mov_b32 v62, v0 :: v_dual_mov_b32 v63, v3
	s_wait_dscnt 0x4
	v_pk_mul_f32 v[32:33], v[4:5], v[2:3] op_sel:[0,1]
	v_pk_mul_f32 v[38:39], v[6:7], v[2:3] op_sel:[0,1]
	s_wait_dscnt 0x3
	v_pk_mul_f32 v[40:41], v[8:9], v[2:3] op_sel:[0,1]
	v_dual_mov_b32 v42, v11 :: v_dual_mov_b32 v43, v10
	v_dual_mul_f32 v52, v11, v3 :: v_dual_mul_f32 v76, v11, v0
	v_pk_fma_f32 v[206:207], v[4:5], v[0:1], v[32:33] op_sel:[0,0,1] op_sel_hi:[1,1,0] neg_lo:[0,0,1] neg_hi:[0,0,1]
	v_pk_fma_f32 v[4:5], v[4:5], v[0:1], v[32:33] op_sel:[0,0,1] op_sel_hi:[1,0,0]
	v_pk_fma_f32 v[32:33], v[6:7], v[0:1], v[38:39] op_sel:[0,0,1] op_sel_hi:[1,1,0] neg_lo:[0,0,1] neg_hi:[0,0,1]
	v_pk_fma_f32 v[6:7], v[6:7], v[0:1], v[38:39] op_sel:[0,0,1] op_sel_hi:[1,0,0]
	;; [unrolled: 2-line block ×3, first 2 shown]
	v_pk_fma_f32 v[40:41], v[42:43], v[62:63], v[76:77] op_sel_hi:[1,1,0]
	v_pk_fma_f32 v[10:11], v[10:11], v[62:63], v[52:53] op_sel_hi:[1,1,0] neg_lo:[0,0,1] neg_hi:[0,0,1]
	s_wait_dscnt 0x2
	v_pk_mul_f32 v[78:79], v[12:13], v[2:3] op_sel:[0,1]
	v_pk_mul_f32 v[204:205], v[14:15], v[2:3] op_sel:[0,1]
	v_dual_mov_b32 v207, v5 :: v_dual_mov_b32 v33, v7
	v_dual_mov_b32 v39, v9 :: v_dual_mov_b32 v11, v41
	s_delay_alu instid0(VALU_DEP_4)
	v_pk_fma_f32 v[8:9], v[12:13], v[0:1], v[78:79] op_sel:[0,0,1] op_sel_hi:[1,0,0]
	ds_load_2addr_b64 v[4:7], v56 offset0:15 offset1:16
	v_pk_add_f32 v[36:37], v[36:37], v[32:33] neg_lo:[0,1] neg_hi:[0,1]
	v_pk_fma_f32 v[32:33], v[14:15], v[0:1], v[204:205] op_sel:[0,0,1] op_sel_hi:[1,0,0]
	v_pk_add_f32 v[84:85], v[84:85], v[10:11] neg_lo:[0,1] neg_hi:[0,1]
	s_wait_dscnt 0x2
	v_pk_mul_f32 v[10:11], v[18:19], v[2:3] op_sel:[0,1]
	v_pk_fma_f32 v[12:13], v[12:13], v[0:1], v[78:79] op_sel:[0,0,1] op_sel_hi:[1,1,0] neg_lo:[0,0,1] neg_hi:[0,0,1]
	v_pk_fma_f32 v[14:15], v[14:15], v[0:1], v[204:205] op_sel:[0,0,1] op_sel_hi:[1,1,0] neg_lo:[0,0,1] neg_hi:[0,0,1]
	v_dual_mov_b32 v13, v9 :: v_dual_mov_b32 v15, v33
	s_delay_alu instid0(VALU_DEP_4) | instskip(SKIP_2) | instid1(VALU_DEP_4)
	v_pk_fma_f32 v[8:9], v[18:19], v[0:1], v[10:11] op_sel:[0,0,1] op_sel_hi:[1,0,0]
	v_pk_mul_f32 v[32:33], v[20:21], v[2:3] op_sel:[0,1]
	v_pk_fma_f32 v[10:11], v[18:19], v[0:1], v[10:11] op_sel:[0,0,1] op_sel_hi:[1,1,0] neg_lo:[0,0,1] neg_hi:[0,0,1]
	v_pk_add_f32 v[28:29], v[28:29], v[12:13] neg_lo:[0,1] neg_hi:[0,1]
	v_pk_add_f32 v[30:31], v[30:31], v[14:15] neg_lo:[0,1] neg_hi:[0,1]
	v_mov_b32_e32 v11, v9
	v_pk_fma_f32 v[8:9], v[20:21], v[0:1], v[32:33] op_sel:[0,0,1] op_sel_hi:[1,0,0]
	s_wait_dscnt 0x1
	v_mul_f32_e32 v8, v23, v0
	v_pk_fma_f32 v[18:19], v[20:21], v[0:1], v[32:33] op_sel:[0,0,1] op_sel_hi:[1,1,0] neg_lo:[0,0,1] neg_hi:[0,0,1]
	v_mul_f32_e32 v12, v23, v3
	v_pk_add_f32 v[26:27], v[26:27], v[10:11] neg_lo:[0,1] neg_hi:[0,1]
	v_mov_b32_e32 v19, v9
	v_pk_fma_f32 v[14:15], v[22:23], v[62:63], v[8:9] op_sel:[1,0,0] op_sel_hi:[0,1,0]
	ds_load_2addr_b64 v[8:11], v56 offset0:17 offset1:18
	v_pk_mul_f32 v[20:21], v[24:25], v[2:3] op_sel:[0,1]
	v_pk_add_f32 v[60:61], v[60:61], v[38:39] neg_lo:[0,1] neg_hi:[0,1]
	s_wait_dscnt 0x1
	v_pk_mul_f32 v[32:33], v[4:5], v[2:3] op_sel:[0,1]
	v_pk_mul_f32 v[38:39], v[6:7], v[2:3] op_sel:[0,1]
	v_pk_fma_f32 v[22:23], v[22:23], v[62:63], v[12:13] op_sel_hi:[1,1,0] neg_lo:[0,0,1] neg_hi:[0,0,1]
	v_pk_fma_f32 v[40:41], v[24:25], v[0:1], v[20:21] op_sel:[0,0,1] op_sel_hi:[1,0,0]
	v_mov_b32_e32 v23, v15
	ds_load_2addr_b64 v[12:15], v56 offset0:19 offset1:20
	v_pk_fma_f32 v[20:21], v[24:25], v[0:1], v[20:21] op_sel:[0,0,1] op_sel_hi:[1,1,0] neg_lo:[0,0,1] neg_hi:[0,0,1]
	v_pk_fma_f32 v[24:25], v[4:5], v[0:1], v[32:33] op_sel:[0,0,1] op_sel_hi:[1,0,0]
	v_pk_fma_f32 v[42:43], v[6:7], v[0:1], v[38:39] op_sel:[0,0,1] op_sel_hi:[1,0,0]
	v_pk_fma_f32 v[4:5], v[4:5], v[0:1], v[32:33] op_sel:[0,0,1] op_sel_hi:[1,1,0] neg_lo:[0,0,1] neg_hi:[0,0,1]
	v_pk_fma_f32 v[6:7], v[6:7], v[0:1], v[38:39] op_sel:[0,0,1] op_sel_hi:[1,1,0] neg_lo:[0,0,1] neg_hi:[0,0,1]
	s_delay_alu instid0(VALU_DEP_4) | instskip(NEXT) | instid1(VALU_DEP_4)
	v_dual_mov_b32 v21, v41 :: v_dual_mov_b32 v5, v25
	v_mov_b32_e32 v7, v43
	v_pk_add_f32 v[50:51], v[50:51], v[18:19] neg_lo:[0,1] neg_hi:[0,1]
	v_pk_add_f32 v[46:47], v[46:47], v[22:23] neg_lo:[0,1] neg_hi:[0,1]
	s_delay_alu instid0(VALU_DEP_4)
	v_pk_add_f32 v[48:49], v[48:49], v[20:21] neg_lo:[0,1] neg_hi:[0,1]
	v_pk_add_f32 v[44:45], v[44:45], v[4:5] neg_lo:[0,1] neg_hi:[0,1]
	;; [unrolled: 1-line block ×3, first 2 shown]
	s_wait_dscnt 0x1
	v_pk_mul_f32 v[18:19], v[8:9], v[2:3] op_sel:[0,1]
	ds_load_2addr_b64 v[4:7], v56 offset0:21 offset1:22
	v_dual_mov_b32 v20, v11 :: v_dual_mov_b32 v21, v10
	v_mul_f32_e32 v22, v11, v0
	v_pk_fma_f32 v[24:25], v[8:9], v[0:1], v[18:19] op_sel:[0,0,1] op_sel_hi:[1,1,0] neg_lo:[0,0,1] neg_hi:[0,0,1]
	v_pk_fma_f32 v[8:9], v[8:9], v[0:1], v[18:19] op_sel:[0,0,1] op_sel_hi:[1,0,0]
	v_mul_f32_e32 v8, v11, v3
	s_wait_dscnt 0x1
	v_pk_mul_f32 v[32:33], v[12:13], v[2:3] op_sel:[0,1]
	v_pk_fma_f32 v[22:23], v[20:21], v[62:63], v[22:23] op_sel_hi:[1,1,0]
	ds_load_2addr_b64 v[18:21], v56 offset0:23 offset1:24
	v_pk_mul_f32 v[38:39], v[14:15], v[2:3] op_sel:[0,1]
	v_mov_b32_e32 v25, v9
	v_pk_fma_f32 v[40:41], v[12:13], v[0:1], v[32:33] op_sel:[0,0,1] op_sel_hi:[1,0,0]
	v_pk_fma_f32 v[8:9], v[10:11], v[62:63], v[8:9] op_sel_hi:[1,1,0] neg_lo:[0,0,1] neg_hi:[0,0,1]
	v_pk_fma_f32 v[12:13], v[12:13], v[0:1], v[32:33] op_sel:[0,0,1] op_sel_hi:[1,1,0] neg_lo:[0,0,1] neg_hi:[0,0,1]
	v_pk_fma_f32 v[10:11], v[14:15], v[0:1], v[38:39] op_sel:[0,0,1] op_sel_hi:[1,0,0]
	v_pk_fma_f32 v[14:15], v[14:15], v[0:1], v[38:39] op_sel:[0,0,1] op_sel_hi:[1,1,0] neg_lo:[0,0,1] neg_hi:[0,0,1]
	v_dual_mov_b32 v9, v23 :: v_dual_mov_b32 v13, v41
	v_pk_add_f32 v[70:71], v[70:71], v[24:25] neg_lo:[0,1] neg_hi:[0,1]
	s_delay_alu instid0(VALU_DEP_4)
	v_mov_b32_e32 v15, v11
	s_wait_dscnt 0x1
	v_pk_mul_f32 v[22:23], v[4:5], v[2:3] op_sel:[0,1]
	v_pk_add_f32 v[72:73], v[72:73], v[8:9] neg_lo:[0,1] neg_hi:[0,1]
	v_pk_add_f32 v[68:69], v[68:69], v[12:13] neg_lo:[0,1] neg_hi:[0,1]
	ds_load_2addr_b64 v[8:11], v56 offset0:25 offset1:26
	v_pk_add_f32 v[96:97], v[96:97], v[14:15] neg_lo:[0,1] neg_hi:[0,1]
	ds_load_2addr_b64 v[12:15], v56 offset0:27 offset1:28
	v_pk_fma_f32 v[24:25], v[4:5], v[0:1], v[22:23] op_sel:[0,0,1] op_sel_hi:[1,0,0]
	v_pk_fma_f32 v[4:5], v[4:5], v[0:1], v[22:23] op_sel:[0,0,1] op_sel_hi:[1,1,0] neg_lo:[0,0,1] neg_hi:[0,0,1]
	v_pk_mul_f32 v[22:23], v[6:7], v[2:3] op_sel:[0,1]
	s_wait_dscnt 0x2
	v_mul_f32_e32 v24, v19, v0
	v_pk_mul_f32 v[32:33], v[20:21], v[2:3] op_sel:[0,1]
	v_mov_b32_e32 v5, v25
	v_pk_add_f32 v[34:35], v[34:35], v[206:207] neg_lo:[0,1] neg_hi:[0,1]
	v_pk_fma_f32 v[38:39], v[6:7], v[0:1], v[22:23] op_sel:[0,0,1] op_sel_hi:[1,0,0]
	v_pk_fma_f32 v[24:25], v[18:19], v[62:63], v[24:25] op_sel:[1,0,0] op_sel_hi:[0,1,0]
	v_mul_f32_e32 v38, v19, v3
	v_pk_fma_f32 v[6:7], v[6:7], v[0:1], v[22:23] op_sel:[0,0,1] op_sel_hi:[1,1,0] neg_lo:[0,0,1] neg_hi:[0,0,1]
	v_pk_fma_f32 v[22:23], v[20:21], v[0:1], v[32:33] op_sel:[0,0,1] op_sel_hi:[1,0,0]
	v_mov_b32_e32 v7, v39
	v_pk_fma_f32 v[20:21], v[20:21], v[0:1], v[32:33] op_sel:[0,0,1] op_sel_hi:[1,1,0] neg_lo:[0,0,1] neg_hi:[0,0,1]
	v_pk_fma_f32 v[18:19], v[18:19], v[62:63], v[38:39] op_sel_hi:[1,1,0] neg_lo:[0,0,1] neg_hi:[0,0,1]
	s_delay_alu instid0(VALU_DEP_4)
	v_dual_mov_b32 v19, v25 :: v_dual_mov_b32 v21, v23
	v_pk_add_f32 v[92:93], v[92:93], v[4:5] neg_lo:[0,1] neg_hi:[0,1]
	v_pk_add_f32 v[94:95], v[94:95], v[6:7] neg_lo:[0,1] neg_hi:[0,1]
	ds_load_2addr_b64 v[4:7], v56 offset0:29 offset1:30
	v_pk_add_f32 v[90:91], v[90:91], v[18:19] neg_lo:[0,1] neg_hi:[0,1]
	s_wait_dscnt 0x2
	v_pk_mul_f32 v[18:19], v[8:9], v[2:3] op_sel:[0,1]
	s_wait_dscnt 0x1
	v_pk_mul_f32 v[24:25], v[12:13], v[2:3] op_sel:[0,1]
	v_pk_add_f32 v[112:113], v[112:113], v[20:21] neg_lo:[0,1] neg_hi:[0,1]
	v_pk_mul_f32 v[22:23], v[10:11], v[2:3] op_sel:[0,1]
	v_pk_fma_f32 v[32:33], v[8:9], v[0:1], v[18:19] op_sel:[0,0,1] op_sel_hi:[1,0,0]
	v_pk_fma_f32 v[8:9], v[8:9], v[0:1], v[18:19] op_sel:[0,0,1] op_sel_hi:[1,1,0] neg_lo:[0,0,1] neg_hi:[0,0,1]
	ds_load_2addr_b64 v[18:21], v56 offset0:31 offset1:32
	v_pk_fma_f32 v[40:41], v[12:13], v[0:1], v[24:25] op_sel:[0,0,1] op_sel_hi:[1,0,0]
	v_pk_fma_f32 v[12:13], v[12:13], v[0:1], v[24:25] op_sel:[0,0,1] op_sel_hi:[1,1,0] neg_lo:[0,0,1] neg_hi:[0,0,1]
	v_pk_fma_f32 v[38:39], v[10:11], v[0:1], v[22:23] op_sel:[0,0,1] op_sel_hi:[1,0,0]
	v_pk_fma_f32 v[10:11], v[10:11], v[0:1], v[22:23] op_sel:[0,0,1] op_sel_hi:[1,1,0] neg_lo:[0,0,1] neg_hi:[0,0,1]
	s_delay_alu instid0(VALU_DEP_4) | instskip(SKIP_1) | instid1(VALU_DEP_4)
	v_dual_mov_b32 v22, v15 :: v_dual_mov_b32 v13, v41
	v_dual_mov_b32 v23, v14 :: v_dual_mul_f32 v24, v15, v0
	v_dual_mov_b32 v9, v33 :: v_dual_mov_b32 v11, v39
	s_delay_alu instid0(VALU_DEP_3) | instskip(NEXT) | instid1(VALU_DEP_3)
	v_pk_add_f32 v[106:107], v[106:107], v[12:13] neg_lo:[0,1] neg_hi:[0,1]
	v_pk_fma_f32 v[12:13], v[22:23], v[62:63], v[24:25] op_sel_hi:[1,1,0]
	v_mul_f32_e32 v32, v15, v3
	s_delay_alu instid0(VALU_DEP_4)
	v_pk_add_f32 v[108:109], v[108:109], v[8:9] neg_lo:[0,1] neg_hi:[0,1]
	v_pk_add_f32 v[110:111], v[110:111], v[10:11] neg_lo:[0,1] neg_hi:[0,1]
	ds_load_2addr_b64 v[8:11], v56 offset0:33 offset1:34
	s_wait_dscnt 0x2
	v_pk_mul_f32 v[24:25], v[4:5], v[2:3] op_sel:[0,1]
	v_pk_fma_f32 v[22:23], v[14:15], v[62:63], v[32:33] op_sel_hi:[1,1,0] neg_lo:[0,0,1] neg_hi:[0,0,1]
	v_mov_b32_e32 v23, v13
	ds_load_2addr_b64 v[12:15], v56 offset0:35 offset1:36
	v_pk_mul_f32 v[32:33], v[6:7], v[2:3] op_sel:[0,1]
	s_wait_dscnt 0x2
	v_pk_mul_f32 v[38:39], v[18:19], v[2:3] op_sel:[0,1]
	v_pk_fma_f32 v[40:41], v[4:5], v[0:1], v[24:25] op_sel:[0,0,1] op_sel_hi:[1,0,0]
	v_pk_fma_f32 v[4:5], v[4:5], v[0:1], v[24:25] op_sel:[0,0,1] op_sel_hi:[1,1,0] neg_lo:[0,0,1] neg_hi:[0,0,1]
	v_pk_add_f32 v[128:129], v[128:129], v[22:23] neg_lo:[0,1] neg_hi:[0,1]
	v_pk_fma_f32 v[42:43], v[6:7], v[0:1], v[32:33] op_sel:[0,0,1] op_sel_hi:[1,0,0]
	v_pk_fma_f32 v[24:25], v[18:19], v[0:1], v[38:39] op_sel:[0,0,1] op_sel_hi:[1,0,0]
	v_pk_fma_f32 v[6:7], v[6:7], v[0:1], v[32:33] op_sel:[0,0,1] op_sel_hi:[1,1,0] neg_lo:[0,0,1] neg_hi:[0,0,1]
	v_pk_fma_f32 v[18:19], v[18:19], v[0:1], v[38:39] op_sel:[0,0,1] op_sel_hi:[1,1,0] neg_lo:[0,0,1] neg_hi:[0,0,1]
	s_delay_alu instid0(VALU_DEP_4) | instskip(NEXT) | instid1(VALU_DEP_4)
	v_dual_mov_b32 v5, v41 :: v_dual_mov_b32 v7, v43
	v_mov_b32_e32 v19, v25
	v_pk_mul_f32 v[24:25], v[20:21], v[2:3] op_sel:[0,1]
	s_delay_alu instid0(VALU_DEP_3) | instskip(NEXT) | instid1(VALU_DEP_4)
	v_pk_add_f32 v[124:125], v[124:125], v[4:5] neg_lo:[0,1] neg_hi:[0,1]
	v_pk_add_f32 v[126:127], v[126:127], v[6:7] neg_lo:[0,1] neg_hi:[0,1]
	s_delay_alu instid0(VALU_DEP_4) | instskip(NEXT) | instid1(VALU_DEP_4)
	v_pk_add_f32 v[122:123], v[122:123], v[18:19] neg_lo:[0,1] neg_hi:[0,1]
	v_pk_fma_f32 v[18:19], v[20:21], v[0:1], v[24:25] op_sel:[0,0,1] op_sel_hi:[1,1,0] neg_lo:[0,0,1] neg_hi:[0,0,1]
	v_pk_fma_f32 v[20:21], v[20:21], v[0:1], v[24:25] op_sel:[0,0,1] op_sel_hi:[1,0,0]
	ds_load_2addr_b64 v[4:7], v56 offset0:37 offset1:38
	s_wait_dscnt 0x2
	v_dual_mul_f32 v20, v9, v0 :: v_dual_mul_f32 v22, v9, v3
	s_wait_dscnt 0x1
	v_pk_mul_f32 v[32:33], v[12:13], v[2:3] op_sel:[0,1]
	v_pk_mul_f32 v[24:25], v[10:11], v[2:3] op_sel:[0,1]
	v_mov_b32_e32 v19, v21
	v_pk_fma_f32 v[38:39], v[8:9], v[62:63], v[20:21] op_sel:[1,0,0] op_sel_hi:[0,1,0]
	v_pk_fma_f32 v[22:23], v[8:9], v[62:63], v[22:23] op_sel_hi:[1,1,0] neg_lo:[0,0,1] neg_hi:[0,0,1]
	v_pk_fma_f32 v[8:9], v[12:13], v[0:1], v[32:33] op_sel:[0,0,1] op_sel_hi:[1,0,0]
	v_pk_fma_f32 v[12:13], v[12:13], v[0:1], v[32:33] op_sel:[0,0,1] op_sel_hi:[1,1,0] neg_lo:[0,0,1] neg_hi:[0,0,1]
	v_pk_fma_f32 v[20:21], v[10:11], v[0:1], v[24:25] op_sel:[0,0,1] op_sel_hi:[1,0,0]
	v_pk_fma_f32 v[24:25], v[10:11], v[0:1], v[24:25] op_sel:[0,0,1] op_sel_hi:[1,1,0] neg_lo:[0,0,1] neg_hi:[0,0,1]
	s_delay_alu instid0(VALU_DEP_4)
	v_dual_mov_b32 v23, v39 :: v_dual_mov_b32 v13, v9
	ds_load_2addr_b64 v[8:11], v56 offset0:39 offset1:40
	v_mov_b32_e32 v25, v21
	v_pk_mul_f32 v[20:21], v[14:15], v[2:3] op_sel:[0,1]
	v_pk_add_f32 v[140:141], v[140:141], v[22:23] neg_lo:[0,1] neg_hi:[0,1]
	v_pk_add_f32 v[144:145], v[144:145], v[18:19] neg_lo:[0,1] neg_hi:[0,1]
	s_wait_dscnt 0x1
	v_pk_mul_f32 v[22:23], v[4:5], v[2:3] op_sel:[0,1]
	v_pk_fma_f32 v[18:19], v[14:15], v[0:1], v[20:21] op_sel:[0,0,1] op_sel_hi:[1,1,0] neg_lo:[0,0,1] neg_hi:[0,0,1]
	v_pk_fma_f32 v[20:21], v[14:15], v[0:1], v[20:21] op_sel:[0,0,1] op_sel_hi:[1,0,0]
	v_pk_add_f32 v[142:143], v[142:143], v[24:25] neg_lo:[0,1] neg_hi:[0,1]
	v_mov_b32_e32 v24, v7
	v_pk_add_f32 v[138:139], v[138:139], v[12:13] neg_lo:[0,1] neg_hi:[0,1]
	v_dual_mov_b32 v25, v6 :: v_dual_mul_f32 v20, v7, v0
	ds_load_2addr_b64 v[12:15], v56 offset0:41 offset1:42
	v_pk_fma_f32 v[32:33], v[4:5], v[0:1], v[22:23] op_sel:[0,0,1] op_sel_hi:[1,0,0]
	v_dual_mul_f32 v32, v7, v3 :: v_dual_mov_b32 v19, v21
	v_pk_fma_f32 v[20:21], v[24:25], v[62:63], v[20:21] op_sel_hi:[1,1,0]
	v_pk_fma_f32 v[22:23], v[4:5], v[0:1], v[22:23] op_sel:[0,0,1] op_sel_hi:[1,1,0] neg_lo:[0,0,1] neg_hi:[0,0,1]
	s_delay_alu instid0(VALU_DEP_4) | instskip(NEXT) | instid1(VALU_DEP_4)
	v_mov_b32_e32 v23, v33
	v_pk_fma_f32 v[24:25], v[6:7], v[62:63], v[32:33] op_sel_hi:[1,1,0] neg_lo:[0,0,1] neg_hi:[0,0,1]
	s_wait_dscnt 0x1
	v_pk_mul_f32 v[32:33], v[8:9], v[2:3] op_sel:[0,1]
	ds_load_2addr_b64 v[4:7], v56 offset0:43 offset1:44
	v_mov_b32_e32 v25, v21
	v_pk_add_f32 v[164:165], v[164:165], v[18:19] neg_lo:[0,1] neg_hi:[0,1]
	v_pk_mul_f32 v[18:19], v[10:11], v[2:3] op_sel:[0,1]
	v_pk_fma_f32 v[20:21], v[8:9], v[0:1], v[32:33] op_sel:[0,0,1] op_sel_hi:[1,0,0]
	v_pk_add_f32 v[160:161], v[160:161], v[22:23] neg_lo:[0,1] neg_hi:[0,1]
	v_pk_add_f32 v[162:163], v[162:163], v[24:25] neg_lo:[0,1] neg_hi:[0,1]
	v_pk_fma_f32 v[22:23], v[8:9], v[0:1], v[32:33] op_sel:[0,0,1] op_sel_hi:[1,1,0] neg_lo:[0,0,1] neg_hi:[0,0,1]
	v_pk_fma_f32 v[24:25], v[10:11], v[0:1], v[18:19] op_sel:[0,0,1] op_sel_hi:[1,0,0]
	v_mov_b32_e32 v23, v21
	v_pk_fma_f32 v[18:19], v[10:11], v[0:1], v[18:19] op_sel:[0,0,1] op_sel_hi:[1,1,0] neg_lo:[0,0,1] neg_hi:[0,0,1]
	s_wait_dscnt 0x1
	v_pk_mul_f32 v[20:21], v[12:13], v[2:3] op_sel:[0,1]
	ds_load_2addr_b64 v[8:11], v56 offset0:45 offset1:46
	v_mov_b32_e32 v19, v25
	v_pk_mul_f32 v[24:25], v[14:15], v[2:3] op_sel:[0,1]
	v_pk_add_f32 v[158:159], v[158:159], v[22:23] neg_lo:[0,1] neg_hi:[0,1]
	ds_load_b64 v[22:23], v56 offset:376
	v_pk_fma_f32 v[32:33], v[12:13], v[0:1], v[20:21] op_sel:[0,0,1] op_sel_hi:[1,0,0]
	v_pk_add_f32 v[188:189], v[188:189], v[18:19] neg_lo:[0,1] neg_hi:[0,1]
	v_pk_fma_f32 v[18:19], v[14:15], v[0:1], v[24:25] op_sel:[0,0,1] op_sel_hi:[1,0,0]
	s_wait_dscnt 0x2
	v_mul_f32_e32 v18, v5, v0
	v_pk_fma_f32 v[12:13], v[12:13], v[0:1], v[20:21] op_sel:[0,0,1] op_sel_hi:[1,1,0] neg_lo:[0,0,1] neg_hi:[0,0,1]
	v_pk_fma_f32 v[14:15], v[14:15], v[0:1], v[24:25] op_sel:[0,0,1] op_sel_hi:[1,1,0] neg_lo:[0,0,1] neg_hi:[0,0,1]
	v_dual_mul_f32 v20, v5, v3 :: v_dual_mov_b32 v15, v19
	s_delay_alu instid0(VALU_DEP_4) | instskip(SKIP_1) | instid1(VALU_DEP_3)
	v_pk_fma_f32 v[18:19], v[4:5], v[62:63], v[18:19] op_sel:[1,0,0] op_sel_hi:[0,1,0]
	v_mov_b32_e32 v13, v33
	v_pk_fma_f32 v[4:5], v[4:5], v[62:63], v[20:21] op_sel_hi:[1,1,0] neg_lo:[0,0,1] neg_hi:[0,0,1]
	s_delay_alu instid0(VALU_DEP_4) | instskip(NEXT) | instid1(VALU_DEP_4)
	v_pk_add_f32 v[186:187], v[186:187], v[14:15] neg_lo:[0,1] neg_hi:[0,1]
	v_mov_b32_e32 v5, v19
	s_delay_alu instid0(VALU_DEP_4)
	v_pk_add_f32 v[182:183], v[182:183], v[12:13] neg_lo:[0,1] neg_hi:[0,1]
	v_pk_mul_f32 v[12:13], v[6:7], v[2:3] op_sel:[0,1]
	s_wait_dscnt 0x1
	v_pk_mul_f32 v[14:15], v[8:9], v[2:3] op_sel:[0,1]
	v_pk_mul_f32 v[20:21], v[10:11], v[2:3] op_sel:[0,1]
	v_pk_add_f32 v[180:181], v[180:181], v[4:5] neg_lo:[0,1] neg_hi:[0,1]
	s_wait_dscnt 0x0
	v_pk_mul_f32 v[2:3], v[22:23], v[2:3] op_sel:[0,1]
	v_pk_fma_f32 v[18:19], v[6:7], v[0:1], v[12:13] op_sel:[0,0,1] op_sel_hi:[1,0,0]
	v_pk_fma_f32 v[6:7], v[6:7], v[0:1], v[12:13] op_sel:[0,0,1] op_sel_hi:[1,1,0] neg_lo:[0,0,1] neg_hi:[0,0,1]
	v_pk_fma_f32 v[12:13], v[8:9], v[0:1], v[14:15] op_sel:[0,0,1] op_sel_hi:[1,0,0]
	v_pk_fma_f32 v[8:9], v[8:9], v[0:1], v[14:15] op_sel:[0,0,1] op_sel_hi:[1,1,0] neg_lo:[0,0,1] neg_hi:[0,0,1]
	v_pk_fma_f32 v[14:15], v[22:23], v[0:1], v[2:3] op_sel:[0,0,1] op_sel_hi:[1,0,0]
	v_mov_b32_e32 v7, v19
	v_pk_fma_f32 v[18:19], v[10:11], v[0:1], v[20:21] op_sel:[0,0,1] op_sel_hi:[1,0,0]
	v_pk_fma_f32 v[10:11], v[10:11], v[0:1], v[20:21] op_sel:[0,0,1] op_sel_hi:[1,1,0] neg_lo:[0,0,1] neg_hi:[0,0,1]
	v_pk_fma_f32 v[0:1], v[22:23], v[0:1], v[2:3] op_sel:[0,0,1] op_sel_hi:[1,1,0] neg_lo:[0,0,1] neg_hi:[0,0,1]
	v_dual_mov_b32 v9, v13 :: v_dual_mov_b32 v1, v15
	s_delay_alu instid0(VALU_DEP_4) | instskip(SKIP_1) | instid1(VALU_DEP_3)
	v_mov_b32_e32 v11, v19
	v_pk_add_f32 v[184:185], v[184:185], v[6:7] neg_lo:[0,1] neg_hi:[0,1]
	v_pk_add_f32 v[178:179], v[178:179], v[8:9] neg_lo:[0,1] neg_hi:[0,1]
	s_delay_alu instid0(VALU_DEP_4) | instskip(NEXT) | instid1(VALU_DEP_4)
	v_pk_add_f32 v[192:193], v[192:193], v[0:1] neg_lo:[0,1] neg_hi:[0,1]
	v_pk_add_f32 v[190:191], v[190:191], v[10:11] neg_lo:[0,1] neg_hi:[0,1]
.LBB95_46:
	s_or_b32 exec_lo, exec_lo, s1
	s_delay_alu instid0(SALU_CYCLE_1)
	s_mov_b32 s2, exec_lo
	s_wait_dscnt 0x0
	s_barrier_signal -1
	s_barrier_wait -1
	v_cmpx_eq_u32_e32 5, v54
	s_cbranch_execz .LBB95_53
; %bb.47:
	v_dual_mov_b32 v0, v36 :: v_dual_mov_b32 v1, v37
	v_dual_mov_b32 v2, v60 :: v_dual_mov_b32 v3, v61
	;; [unrolled: 1-line block ×8, first 2 shown]
	ds_store_b64 v55, v[34:35]
	ds_store_2addr_b64 v56, v[0:1], v[2:3] offset0:6 offset1:7
	ds_store_2addr_b64 v56, v[4:5], v[6:7] offset0:8 offset1:9
	;; [unrolled: 1-line block ×4, first 2 shown]
	v_dual_mov_b32 v0, v48 :: v_dual_mov_b32 v1, v49
	v_dual_mov_b32 v2, v44 :: v_dual_mov_b32 v3, v45
	;; [unrolled: 1-line block ×12, first 2 shown]
	ds_store_2addr_b64 v56, v[0:1], v[2:3] offset0:14 offset1:15
	ds_store_2addr_b64 v56, v[4:5], v[6:7] offset0:16 offset1:17
	;; [unrolled: 1-line block ×6, first 2 shown]
	v_dual_mov_b32 v0, v110 :: v_dual_mov_b32 v1, v111
	v_dual_mov_b32 v2, v106 :: v_dual_mov_b32 v3, v107
	;; [unrolled: 1-line block ×12, first 2 shown]
	ds_store_2addr_b64 v56, v[0:1], v[2:3] offset0:26 offset1:27
	ds_store_2addr_b64 v56, v[4:5], v[6:7] offset0:28 offset1:29
	;; [unrolled: 1-line block ×6, first 2 shown]
	v_dual_mov_b32 v0, v162 :: v_dual_mov_b32 v1, v163
	v_dual_mov_b32 v2, v158 :: v_dual_mov_b32 v3, v159
	;; [unrolled: 1-line block ×9, first 2 shown]
	ds_store_2addr_b64 v56, v[0:1], v[2:3] offset0:38 offset1:39
	ds_store_2addr_b64 v56, v[4:5], v[6:7] offset0:40 offset1:41
	;; [unrolled: 1-line block ×5, first 2 shown]
	ds_load_b64 v[0:1], v55
	s_wait_dscnt 0x0
	v_cmp_neq_f32_e32 vcc_lo, 0, v0
	v_cmp_neq_f32_e64 s1, 0, v1
	s_or_b32 s1, vcc_lo, s1
	s_delay_alu instid0(SALU_CYCLE_1)
	s_and_b32 exec_lo, exec_lo, s1
	s_cbranch_execz .LBB95_53
; %bb.48:
	v_cmp_ngt_f32_e64 s1, |v0|, |v1|
                                        ; implicit-def: $vgpr2_vgpr3
	s_and_saveexec_b32 s4, s1
	s_delay_alu instid0(SALU_CYCLE_1)
	s_xor_b32 s1, exec_lo, s4
	s_cbranch_execz .LBB95_50
; %bb.49:
	v_div_scale_f32 v2, null, v1, v1, v0
	v_div_scale_f32 v5, vcc_lo, v0, v1, v0
	s_delay_alu instid0(VALU_DEP_2) | instskip(SKIP_1) | instid1(TRANS32_DEP_1)
	v_rcp_f32_e32 v3, v2
	v_nop
	v_fma_f32 v4, -v2, v3, 1.0
	s_delay_alu instid0(VALU_DEP_1) | instskip(NEXT) | instid1(VALU_DEP_1)
	v_fmac_f32_e32 v3, v4, v3
	v_mul_f32_e32 v4, v5, v3
	s_delay_alu instid0(VALU_DEP_1) | instskip(NEXT) | instid1(VALU_DEP_1)
	v_fma_f32 v6, -v2, v4, v5
	v_fmac_f32_e32 v4, v6, v3
	s_delay_alu instid0(VALU_DEP_1) | instskip(NEXT) | instid1(VALU_DEP_1)
	v_fma_f32 v2, -v2, v4, v5
	v_div_fmas_f32 v2, v2, v3, v4
	s_delay_alu instid0(VALU_DEP_1) | instskip(NEXT) | instid1(VALU_DEP_1)
	v_div_fixup_f32 v2, v2, v1, v0
	v_fmac_f32_e32 v1, v0, v2
	s_delay_alu instid0(VALU_DEP_1) | instskip(SKIP_1) | instid1(VALU_DEP_2)
	v_div_scale_f32 v0, null, v1, v1, 1.0
	v_div_scale_f32 v5, vcc_lo, 1.0, v1, 1.0
	v_rcp_f32_e32 v3, v0
	v_nop
	s_delay_alu instid0(TRANS32_DEP_1) | instskip(NEXT) | instid1(VALU_DEP_1)
	v_fma_f32 v4, -v0, v3, 1.0
	v_fmac_f32_e32 v3, v4, v3
	s_delay_alu instid0(VALU_DEP_1) | instskip(NEXT) | instid1(VALU_DEP_1)
	v_mul_f32_e32 v4, v5, v3
	v_fma_f32 v6, -v0, v4, v5
	s_delay_alu instid0(VALU_DEP_1) | instskip(NEXT) | instid1(VALU_DEP_1)
	v_fmac_f32_e32 v4, v6, v3
	v_fma_f32 v0, -v0, v4, v5
	s_delay_alu instid0(VALU_DEP_1) | instskip(NEXT) | instid1(VALU_DEP_1)
	v_div_fmas_f32 v0, v0, v3, v4
	v_div_fixup_f32 v0, v0, v1, 1.0
	s_delay_alu instid0(VALU_DEP_1)
	v_mul_f32_e32 v2, v2, v0
	v_xor_b32_e32 v3, 0x80000000, v0
                                        ; implicit-def: $vgpr0_vgpr1
.LBB95_50:
	s_and_not1_saveexec_b32 s1, s1
	s_cbranch_execz .LBB95_52
; %bb.51:
	v_div_scale_f32 v2, null, v0, v0, v1
	v_div_scale_f32 v5, vcc_lo, v1, v0, v1
	s_delay_alu instid0(VALU_DEP_2) | instskip(SKIP_1) | instid1(TRANS32_DEP_1)
	v_rcp_f32_e32 v3, v2
	v_nop
	v_fma_f32 v4, -v2, v3, 1.0
	s_delay_alu instid0(VALU_DEP_1) | instskip(NEXT) | instid1(VALU_DEP_1)
	v_fmac_f32_e32 v3, v4, v3
	v_mul_f32_e32 v4, v5, v3
	s_delay_alu instid0(VALU_DEP_1) | instskip(NEXT) | instid1(VALU_DEP_1)
	v_fma_f32 v6, -v2, v4, v5
	v_fmac_f32_e32 v4, v6, v3
	s_delay_alu instid0(VALU_DEP_1) | instskip(NEXT) | instid1(VALU_DEP_1)
	v_fma_f32 v2, -v2, v4, v5
	v_div_fmas_f32 v2, v2, v3, v4
	s_delay_alu instid0(VALU_DEP_1) | instskip(NEXT) | instid1(VALU_DEP_1)
	v_div_fixup_f32 v3, v2, v0, v1
	v_fmac_f32_e32 v0, v1, v3
	s_delay_alu instid0(VALU_DEP_1) | instskip(NEXT) | instid1(VALU_DEP_1)
	v_div_scale_f32 v1, null, v0, v0, 1.0
	v_rcp_f32_e32 v2, v1
	v_nop
	s_delay_alu instid0(TRANS32_DEP_1) | instskip(NEXT) | instid1(VALU_DEP_1)
	v_fma_f32 v4, -v1, v2, 1.0
	v_fmac_f32_e32 v2, v4, v2
	v_div_scale_f32 v4, vcc_lo, 1.0, v0, 1.0
	s_delay_alu instid0(VALU_DEP_1) | instskip(NEXT) | instid1(VALU_DEP_1)
	v_mul_f32_e32 v5, v4, v2
	v_fma_f32 v6, -v1, v5, v4
	s_delay_alu instid0(VALU_DEP_1) | instskip(NEXT) | instid1(VALU_DEP_1)
	v_fmac_f32_e32 v5, v6, v2
	v_fma_f32 v1, -v1, v5, v4
	s_delay_alu instid0(VALU_DEP_1) | instskip(NEXT) | instid1(VALU_DEP_1)
	v_div_fmas_f32 v1, v1, v2, v5
	v_div_fixup_f32 v2, v1, v0, 1.0
	s_delay_alu instid0(VALU_DEP_1)
	v_mul_f32_e64 v3, v3, -v2
.LBB95_52:
	s_or_b32 exec_lo, exec_lo, s1
	ds_store_b64 v55, v[2:3]
.LBB95_53:
	s_or_b32 exec_lo, exec_lo, s2
	s_wait_dscnt 0x0
	s_barrier_signal -1
	s_barrier_wait -1
	ds_load_b64 v[204:205], v55
	s_mov_b32 s1, exec_lo
	v_cmpx_lt_u32_e32 5, v54
	s_cbranch_execz .LBB95_55
; %bb.54:
	ds_load_2addr_b64 v[4:7], v56 offset0:6 offset1:7
	ds_load_2addr_b64 v[8:11], v56 offset0:8 offset1:9
	;; [unrolled: 1-line block ×3, first 2 shown]
	s_wait_dscnt 0x3
	v_pk_mul_f32 v[2:3], v[204:205], v[34:35] op_sel:[1,1] op_sel_hi:[0,1]
	ds_load_2addr_b64 v[18:21], v56 offset0:12 offset1:13
	ds_load_2addr_b64 v[22:25], v56 offset0:14 offset1:15
	v_pk_fma_f32 v[0:1], v[204:205], v[34:35], v[2:3] op_sel_hi:[1,0,1] neg_lo:[0,0,1] neg_hi:[0,0,1]
	v_pk_fma_f32 v[2:3], v[204:205], v[34:35], v[2:3] op_sel_hi:[1,0,1]
	s_delay_alu instid0(VALU_DEP_1) | instskip(SKIP_1) | instid1(VALU_DEP_2)
	v_dual_mov_b32 v34, v0 :: v_dual_mov_b32 v35, v3
	s_wait_dscnt 0x4
	v_pk_mul_f32 v[32:33], v[4:5], v[2:3] op_sel:[0,1]
	v_pk_mul_f32 v[38:39], v[6:7], v[2:3] op_sel:[0,1]
	s_wait_dscnt 0x3
	v_pk_mul_f32 v[40:41], v[8:9], v[2:3] op_sel:[0,1]
	s_wait_dscnt 0x2
	v_pk_mul_f32 v[78:79], v[12:13], v[2:3] op_sel:[0,1]
	v_dual_mov_b32 v42, v11 :: v_dual_mov_b32 v43, v10
	v_pk_fma_f32 v[210:211], v[4:5], v[0:1], v[32:33] op_sel:[0,0,1] op_sel_hi:[1,1,0] neg_lo:[0,0,1] neg_hi:[0,0,1]
	v_pk_fma_f32 v[4:5], v[4:5], v[0:1], v[32:33] op_sel:[0,0,1] op_sel_hi:[1,0,0]
	v_pk_fma_f32 v[32:33], v[6:7], v[0:1], v[38:39] op_sel:[0,0,1] op_sel_hi:[1,1,0] neg_lo:[0,0,1] neg_hi:[0,0,1]
	v_pk_fma_f32 v[6:7], v[6:7], v[0:1], v[38:39] op_sel:[0,0,1] op_sel_hi:[1,0,0]
	v_dual_mul_f32 v52, v11, v3 :: v_dual_mul_f32 v76, v11, v0
	v_pk_mul_f32 v[206:207], v[14:15], v[2:3] op_sel:[0,1]
	v_pk_fma_f32 v[38:39], v[8:9], v[0:1], v[40:41] op_sel:[0,0,1] op_sel_hi:[1,1,0] neg_lo:[0,0,1] neg_hi:[0,0,1]
	v_pk_fma_f32 v[8:9], v[8:9], v[0:1], v[40:41] op_sel:[0,0,1] op_sel_hi:[1,0,0]
	s_wait_dscnt 0x1
	v_pk_mul_f32 v[208:209], v[18:19], v[2:3] op_sel:[0,1]
	v_dual_mov_b32 v211, v5 :: v_dual_mov_b32 v33, v7
	v_pk_fma_f32 v[4:5], v[12:13], v[0:1], v[78:79] op_sel:[0,0,1] op_sel_hi:[1,0,0]
	v_pk_fma_f32 v[40:41], v[42:43], v[34:35], v[76:77] op_sel_hi:[1,1,0]
	v_mov_b32_e32 v39, v9
	v_pk_fma_f32 v[8:9], v[12:13], v[0:1], v[78:79] op_sel:[0,0,1] op_sel_hi:[1,1,0] neg_lo:[0,0,1] neg_hi:[0,0,1]
	v_pk_fma_f32 v[12:13], v[14:15], v[0:1], v[206:207] op_sel:[0,0,1] op_sel_hi:[1,0,0]
	v_pk_add_f32 v[60:61], v[60:61], v[32:33] neg_lo:[0,1] neg_hi:[0,1]
	v_pk_fma_f32 v[32:33], v[18:19], v[0:1], v[208:209] op_sel:[0,0,1] op_sel_hi:[1,0,0]
	v_mov_b32_e32 v9, v5
	ds_load_2addr_b64 v[4:7], v56 offset0:16 offset1:17
	v_pk_fma_f32 v[14:15], v[14:15], v[0:1], v[206:207] op_sel:[0,0,1] op_sel_hi:[1,1,0] neg_lo:[0,0,1] neg_hi:[0,0,1]
	v_mov_b32_e32 v15, v13
	v_pk_fma_f32 v[12:13], v[18:19], v[0:1], v[208:209] op_sel:[0,0,1] op_sel_hi:[1,1,0] neg_lo:[0,0,1] neg_hi:[0,0,1]
	v_mov_b32_e32 v13, v33
	v_pk_fma_f32 v[10:11], v[10:11], v[34:35], v[52:53] op_sel_hi:[1,1,0] neg_lo:[0,0,1] neg_hi:[0,0,1]
	v_pk_mul_f32 v[18:19], v[20:21], v[2:3] op_sel:[0,1]
	v_mov_b32_e32 v11, v41
	s_wait_dscnt 0x1
	v_pk_mul_f32 v[32:33], v[24:25], v[2:3] op_sel:[0,1]
	v_pk_add_f32 v[50:51], v[50:51], v[12:13] neg_lo:[0,1] neg_hi:[0,1]
	v_mul_f32_e32 v12, v23, v0
	v_pk_add_f32 v[26:27], v[26:27], v[14:15] neg_lo:[0,1] neg_hi:[0,1]
	v_pk_fma_f32 v[14:15], v[20:21], v[0:1], v[18:19] op_sel:[0,0,1] op_sel_hi:[1,0,0]
	v_pk_add_f32 v[28:29], v[28:29], v[10:11] neg_lo:[0,1] neg_hi:[0,1]
	v_pk_add_f32 v[30:31], v[30:31], v[8:9] neg_lo:[0,1] neg_hi:[0,1]
	ds_load_2addr_b64 v[8:11], v56 offset0:18 offset1:19
	v_pk_fma_f32 v[12:13], v[22:23], v[34:35], v[12:13] op_sel:[1,0,0] op_sel_hi:[0,1,0]
	v_mul_f32_e32 v14, v23, v3
	v_pk_fma_f32 v[18:19], v[20:21], v[0:1], v[18:19] op_sel:[0,0,1] op_sel_hi:[1,1,0] neg_lo:[0,0,1] neg_hi:[0,0,1]
	v_pk_fma_f32 v[20:21], v[24:25], v[0:1], v[32:33] op_sel:[0,0,1] op_sel_hi:[1,0,0]
	v_mov_b32_e32 v19, v15
	v_pk_add_f32 v[84:85], v[84:85], v[38:39] neg_lo:[0,1] neg_hi:[0,1]
	v_pk_fma_f32 v[14:15], v[22:23], v[34:35], v[14:15] op_sel_hi:[1,1,0] neg_lo:[0,0,1] neg_hi:[0,0,1]
	v_mov_b32_e32 v15, v13
	v_pk_fma_f32 v[12:13], v[24:25], v[0:1], v[32:33] op_sel:[0,0,1] op_sel_hi:[1,1,0] neg_lo:[0,0,1] neg_hi:[0,0,1]
	s_wait_dscnt 0x1
	v_pk_mul_f32 v[22:23], v[4:5], v[2:3] op_sel:[0,1]
	v_mov_b32_e32 v13, v21
	v_pk_add_f32 v[46:47], v[46:47], v[18:19] neg_lo:[0,1] neg_hi:[0,1]
	v_pk_add_f32 v[48:49], v[48:49], v[14:15] neg_lo:[0,1] neg_hi:[0,1]
	v_pk_mul_f32 v[20:21], v[6:7], v[2:3] op_sel:[0,1]
	v_pk_fma_f32 v[18:19], v[4:5], v[0:1], v[22:23] op_sel:[0,0,1] op_sel_hi:[1,0,0]
	v_pk_add_f32 v[44:45], v[44:45], v[12:13] neg_lo:[0,1] neg_hi:[0,1]
	ds_load_2addr_b64 v[12:15], v56 offset0:20 offset1:21
	v_pk_fma_f32 v[22:23], v[4:5], v[0:1], v[22:23] op_sel:[0,0,1] op_sel_hi:[1,1,0] neg_lo:[0,0,1] neg_hi:[0,0,1]
	v_pk_add_f32 v[36:37], v[36:37], v[210:211] neg_lo:[0,1] neg_hi:[0,1]
	s_wait_dscnt 0x1
	v_dual_mov_b32 v23, v19 :: v_dual_mov_b32 v32, v11
	v_pk_fma_f32 v[18:19], v[6:7], v[0:1], v[20:21] op_sel:[0,0,1] op_sel_hi:[1,1,0] neg_lo:[0,0,1] neg_hi:[0,0,1]
	v_pk_fma_f32 v[20:21], v[6:7], v[0:1], v[20:21] op_sel:[0,0,1] op_sel_hi:[1,0,0]
	ds_load_2addr_b64 v[4:7], v56 offset0:22 offset1:23
	v_pk_mul_f32 v[24:25], v[8:9], v[2:3] op_sel:[0,1]
	v_dual_mov_b32 v33, v10 :: v_dual_mul_f32 v20, v11, v0
	v_mov_b32_e32 v19, v21
	v_pk_add_f32 v[74:75], v[74:75], v[22:23] neg_lo:[0,1] neg_hi:[0,1]
	s_delay_alu instid0(VALU_DEP_4)
	v_pk_fma_f32 v[22:23], v[8:9], v[0:1], v[24:25] op_sel:[0,0,1] op_sel_hi:[1,0,0]
	v_mul_f32_e32 v22, v11, v3
	v_pk_fma_f32 v[20:21], v[32:33], v[34:35], v[20:21] op_sel_hi:[1,1,0]
	v_pk_add_f32 v[70:71], v[70:71], v[18:19] neg_lo:[0,1] neg_hi:[0,1]
	v_pk_fma_f32 v[18:19], v[8:9], v[0:1], v[24:25] op_sel:[0,0,1] op_sel_hi:[1,1,0] neg_lo:[0,0,1] neg_hi:[0,0,1]
	v_mov_b32_e32 v19, v23
	v_pk_fma_f32 v[22:23], v[10:11], v[34:35], v[22:23] op_sel_hi:[1,1,0] neg_lo:[0,0,1] neg_hi:[0,0,1]
	v_mov_b32_e32 v23, v21
	s_wait_dscnt 0x1
	v_pk_mul_f32 v[20:21], v[12:13], v[2:3] op_sel:[0,1]
	ds_load_2addr_b64 v[8:11], v56 offset0:24 offset1:25
	v_pk_mul_f32 v[24:25], v[14:15], v[2:3] op_sel:[0,1]
	v_pk_add_f32 v[72:73], v[72:73], v[18:19] neg_lo:[0,1] neg_hi:[0,1]
	v_pk_add_f32 v[68:69], v[68:69], v[22:23] neg_lo:[0,1] neg_hi:[0,1]
	v_pk_fma_f32 v[22:23], v[12:13], v[0:1], v[20:21] op_sel:[0,0,1] op_sel_hi:[1,0,0]
	s_wait_dscnt 0x1
	v_pk_mul_f32 v[38:39], v[4:5], v[2:3] op_sel:[0,1]
	v_pk_fma_f32 v[12:13], v[12:13], v[0:1], v[20:21] op_sel:[0,0,1] op_sel_hi:[1,1,0] neg_lo:[0,0,1] neg_hi:[0,0,1]
	v_pk_fma_f32 v[32:33], v[14:15], v[0:1], v[24:25] op_sel:[0,0,1] op_sel_hi:[1,0,0]
	ds_load_2addr_b64 v[18:21], v56 offset0:26 offset1:27
	v_mov_b32_e32 v13, v23
	v_pk_fma_f32 v[14:15], v[14:15], v[0:1], v[24:25] op_sel:[0,0,1] op_sel_hi:[1,1,0] neg_lo:[0,0,1] neg_hi:[0,0,1]
	v_pk_mul_f32 v[22:23], v[6:7], v[2:3] op_sel:[0,1]
	v_pk_fma_f32 v[24:25], v[4:5], v[0:1], v[38:39] op_sel:[0,0,1] op_sel_hi:[1,0,0]
	v_mov_b32_e32 v15, v33
	v_pk_fma_f32 v[4:5], v[4:5], v[0:1], v[38:39] op_sel:[0,0,1] op_sel_hi:[1,1,0] neg_lo:[0,0,1] neg_hi:[0,0,1]
	v_pk_add_f32 v[96:97], v[96:97], v[12:13] neg_lo:[0,1] neg_hi:[0,1]
	v_pk_fma_f32 v[12:13], v[6:7], v[0:1], v[22:23] op_sel:[0,0,1] op_sel_hi:[1,0,0]
	v_mov_b32_e32 v5, v25
	v_pk_add_f32 v[92:93], v[92:93], v[14:15] neg_lo:[0,1] neg_hi:[0,1]
	v_pk_fma_f32 v[14:15], v[6:7], v[0:1], v[22:23] op_sel:[0,0,1] op_sel_hi:[1,1,0] neg_lo:[0,0,1] neg_hi:[0,0,1]
	s_wait_dscnt 0x1
	v_dual_mul_f32 v12, v9, v0 :: v_dual_mul_f32 v22, v9, v3
	v_mov_b32_e32 v15, v13
	v_pk_add_f32 v[94:95], v[94:95], v[4:5] neg_lo:[0,1] neg_hi:[0,1]
	ds_load_2addr_b64 v[4:7], v56 offset0:28 offset1:29
	v_pk_fma_f32 v[12:13], v[8:9], v[34:35], v[12:13] op_sel:[1,0,0] op_sel_hi:[0,1,0]
	v_pk_mul_f32 v[24:25], v[10:11], v[2:3] op_sel:[0,1]
	v_pk_fma_f32 v[8:9], v[8:9], v[34:35], v[22:23] op_sel_hi:[1,1,0] neg_lo:[0,0,1] neg_hi:[0,0,1]
	s_wait_dscnt 0x1
	v_pk_mul_f32 v[32:33], v[18:19], v[2:3] op_sel:[0,1]
	v_pk_add_f32 v[90:91], v[90:91], v[14:15] neg_lo:[0,1] neg_hi:[0,1]
	v_pk_mul_f32 v[22:23], v[20:21], v[2:3] op_sel:[0,1]
	v_pk_fma_f32 v[38:39], v[10:11], v[0:1], v[24:25] op_sel:[0,0,1] op_sel_hi:[1,0,0]
	v_mov_b32_e32 v9, v13
	ds_load_2addr_b64 v[12:15], v56 offset0:30 offset1:31
	v_pk_fma_f32 v[40:41], v[18:19], v[0:1], v[32:33] op_sel:[0,0,1] op_sel_hi:[1,0,0]
	v_pk_fma_f32 v[10:11], v[10:11], v[0:1], v[24:25] op_sel:[0,0,1] op_sel_hi:[1,1,0] neg_lo:[0,0,1] neg_hi:[0,0,1]
	v_mov_b32_e32 v11, v39
	v_pk_fma_f32 v[18:19], v[18:19], v[0:1], v[32:33] op_sel:[0,0,1] op_sel_hi:[1,1,0] neg_lo:[0,0,1] neg_hi:[0,0,1]
	v_pk_fma_f32 v[24:25], v[20:21], v[0:1], v[22:23] op_sel:[0,0,1] op_sel_hi:[1,0,0]
	v_mov_b32_e32 v19, v41
	v_pk_fma_f32 v[20:21], v[20:21], v[0:1], v[22:23] op_sel:[0,0,1] op_sel_hi:[1,1,0] neg_lo:[0,0,1] neg_hi:[0,0,1]
	v_pk_add_f32 v[112:113], v[112:113], v[8:9] neg_lo:[0,1] neg_hi:[0,1]
	v_pk_add_f32 v[108:109], v[108:109], v[10:11] neg_lo:[0,1] neg_hi:[0,1]
	ds_load_2addr_b64 v[8:11], v56 offset0:32 offset1:33
	s_wait_dscnt 0x2
	v_pk_mul_f32 v[22:23], v[4:5], v[2:3] op_sel:[0,1]
	v_mov_b32_e32 v21, v25
	v_pk_add_f32 v[110:111], v[110:111], v[18:19] neg_lo:[0,1] neg_hi:[0,1]
	v_dual_mul_f32 v24, v7, v0 :: v_dual_mul_f32 v38, v7, v3
	s_delay_alu instid0(VALU_DEP_4)
	v_pk_fma_f32 v[18:19], v[4:5], v[0:1], v[22:23] op_sel:[0,0,1] op_sel_hi:[1,0,0]
	v_pk_fma_f32 v[4:5], v[4:5], v[0:1], v[22:23] op_sel:[0,0,1] op_sel_hi:[1,1,0] neg_lo:[0,0,1] neg_hi:[0,0,1]
	v_dual_mov_b32 v22, v7 :: v_dual_mov_b32 v23, v6
	v_pk_add_f32 v[106:107], v[106:107], v[20:21] neg_lo:[0,1] neg_hi:[0,1]
	s_wait_dscnt 0x1
	v_pk_mul_f32 v[32:33], v[12:13], v[2:3] op_sel:[0,1]
	v_pk_fma_f32 v[38:39], v[6:7], v[34:35], v[38:39] op_sel_hi:[1,1,0] neg_lo:[0,0,1] neg_hi:[0,0,1]
	v_pk_fma_f32 v[22:23], v[22:23], v[34:35], v[24:25] op_sel_hi:[1,1,0]
	v_mov_b32_e32 v5, v19
	ds_load_2addr_b64 v[18:21], v56 offset0:34 offset1:35
	v_pk_mul_f32 v[24:25], v[14:15], v[2:3] op_sel:[0,1]
	v_mov_b32_e32 v39, v23
	v_pk_add_f32 v[128:129], v[128:129], v[4:5] neg_lo:[0,1] neg_hi:[0,1]
	v_pk_fma_f32 v[4:5], v[12:13], v[0:1], v[32:33] op_sel:[0,0,1] op_sel_hi:[1,0,0]
	v_pk_fma_f32 v[12:13], v[12:13], v[0:1], v[32:33] op_sel:[0,0,1] op_sel_hi:[1,1,0] neg_lo:[0,0,1] neg_hi:[0,0,1]
	v_pk_fma_f32 v[6:7], v[14:15], v[0:1], v[24:25] op_sel:[0,0,1] op_sel_hi:[1,0,0]
	s_wait_dscnt 0x1
	v_pk_mul_f32 v[22:23], v[8:9], v[2:3] op_sel:[0,1]
	v_pk_fma_f32 v[14:15], v[14:15], v[0:1], v[24:25] op_sel:[0,0,1] op_sel_hi:[1,1,0] neg_lo:[0,0,1] neg_hi:[0,0,1]
	v_mov_b32_e32 v13, v5
	v_pk_mul_f32 v[24:25], v[10:11], v[2:3] op_sel:[0,1]
	v_mov_b32_e32 v15, v7
	ds_load_2addr_b64 v[4:7], v56 offset0:36 offset1:37
	v_pk_add_f32 v[124:125], v[124:125], v[38:39] neg_lo:[0,1] neg_hi:[0,1]
	v_pk_add_f32 v[126:127], v[126:127], v[12:13] neg_lo:[0,1] neg_hi:[0,1]
	v_pk_fma_f32 v[12:13], v[8:9], v[0:1], v[22:23] op_sel:[0,0,1] op_sel_hi:[1,0,0]
	v_pk_add_f32 v[122:123], v[122:123], v[14:15] neg_lo:[0,1] neg_hi:[0,1]
	v_pk_fma_f32 v[14:15], v[8:9], v[0:1], v[22:23] op_sel:[0,0,1] op_sel_hi:[1,1,0] neg_lo:[0,0,1] neg_hi:[0,0,1]
	v_pk_fma_f32 v[22:23], v[10:11], v[0:1], v[24:25] op_sel:[0,0,1] op_sel_hi:[1,0,0]
	s_wait_dscnt 0x1
	v_dual_mul_f32 v12, v19, v0 :: v_dual_mov_b32 v15, v13
	v_pk_fma_f32 v[24:25], v[10:11], v[0:1], v[24:25] op_sel:[0,0,1] op_sel_hi:[1,1,0] neg_lo:[0,0,1] neg_hi:[0,0,1]
	ds_load_2addr_b64 v[8:11], v56 offset0:38 offset1:39
	v_mov_b32_e32 v25, v23
	v_pk_fma_f32 v[12:13], v[18:19], v[34:35], v[12:13] op_sel:[1,0,0] op_sel_hi:[0,1,0]
	v_mul_f32_e32 v22, v19, v3
	v_pk_add_f32 v[144:145], v[144:145], v[14:15] neg_lo:[0,1] neg_hi:[0,1]
	s_delay_alu instid0(VALU_DEP_2)
	v_pk_fma_f32 v[18:19], v[18:19], v[34:35], v[22:23] op_sel_hi:[1,1,0] neg_lo:[0,0,1] neg_hi:[0,0,1]
	v_pk_mul_f32 v[22:23], v[20:21], v[2:3] op_sel:[0,1]
	v_mov_b32_e32 v19, v13
	ds_load_2addr_b64 v[12:15], v56 offset0:40 offset1:41
	v_pk_fma_f32 v[32:33], v[20:21], v[0:1], v[22:23] op_sel:[0,0,1] op_sel_hi:[1,0,0]
	v_pk_fma_f32 v[20:21], v[20:21], v[0:1], v[22:23] op_sel:[0,0,1] op_sel_hi:[1,1,0] neg_lo:[0,0,1] neg_hi:[0,0,1]
	v_pk_add_f32 v[142:143], v[142:143], v[18:19] neg_lo:[0,1] neg_hi:[0,1]
	s_wait_dscnt 0x2
	v_pk_mul_f32 v[18:19], v[6:7], v[2:3] op_sel:[0,1]
	v_mov_b32_e32 v21, v33
	v_pk_add_f32 v[140:141], v[140:141], v[24:25] neg_lo:[0,1] neg_hi:[0,1]
	v_pk_mul_f32 v[24:25], v[4:5], v[2:3] op_sel:[0,1]
	s_delay_alu instid0(VALU_DEP_4) | instskip(SKIP_2) | instid1(VALU_DEP_4)
	v_pk_fma_f32 v[22:23], v[6:7], v[0:1], v[18:19] op_sel:[0,0,1] op_sel_hi:[1,0,0]
	v_pk_fma_f32 v[18:19], v[6:7], v[0:1], v[18:19] op_sel:[0,0,1] op_sel_hi:[1,1,0] neg_lo:[0,0,1] neg_hi:[0,0,1]
	v_pk_add_f32 v[138:139], v[138:139], v[20:21] neg_lo:[0,1] neg_hi:[0,1]
	v_pk_fma_f32 v[38:39], v[4:5], v[0:1], v[24:25] op_sel:[0,0,1] op_sel_hi:[1,0,0]
	v_pk_fma_f32 v[4:5], v[4:5], v[0:1], v[24:25] op_sel:[0,0,1] op_sel_hi:[1,1,0] neg_lo:[0,0,1] neg_hi:[0,0,1]
	v_mov_b32_e32 v19, v23
	s_wait_dscnt 0x1
	v_pk_mul_f32 v[22:23], v[8:9], v[2:3] op_sel:[0,1]
	v_dual_mul_f32 v24, v11, v0 :: v_dual_mul_f32 v38, v11, v3
	v_mov_b32_e32 v5, v39
	v_pk_add_f32 v[160:161], v[160:161], v[18:19] neg_lo:[0,1] neg_hi:[0,1]
	s_delay_alu instid0(VALU_DEP_4)
	v_pk_fma_f32 v[18:19], v[8:9], v[0:1], v[22:23] op_sel:[0,0,1] op_sel_hi:[1,0,0]
	v_pk_fma_f32 v[8:9], v[8:9], v[0:1], v[22:23] op_sel:[0,0,1] op_sel_hi:[1,1,0] neg_lo:[0,0,1] neg_hi:[0,0,1]
	v_dual_mov_b32 v22, v11 :: v_dual_mov_b32 v23, v10
	v_pk_add_f32 v[164:165], v[164:165], v[4:5] neg_lo:[0,1] neg_hi:[0,1]
	ds_load_2addr_b64 v[4:7], v56 offset0:42 offset1:43
	s_wait_dscnt 0x1
	v_pk_mul_f32 v[32:33], v[12:13], v[2:3] op_sel:[0,1]
	v_pk_fma_f32 v[38:39], v[10:11], v[34:35], v[38:39] op_sel_hi:[1,1,0] neg_lo:[0,0,1] neg_hi:[0,0,1]
	v_pk_fma_f32 v[22:23], v[22:23], v[34:35], v[24:25] op_sel_hi:[1,1,0]
	v_mov_b32_e32 v9, v19
	ds_load_2addr_b64 v[18:21], v56 offset0:44 offset1:45
	v_pk_mul_f32 v[24:25], v[14:15], v[2:3] op_sel:[0,1]
	v_mov_b32_e32 v39, v23
	v_pk_add_f32 v[162:163], v[162:163], v[8:9] neg_lo:[0,1] neg_hi:[0,1]
	v_pk_fma_f32 v[8:9], v[12:13], v[0:1], v[32:33] op_sel:[0,0,1] op_sel_hi:[1,0,0]
	v_pk_fma_f32 v[12:13], v[12:13], v[0:1], v[32:33] op_sel:[0,0,1] op_sel_hi:[1,1,0] neg_lo:[0,0,1] neg_hi:[0,0,1]
	v_pk_fma_f32 v[22:23], v[14:15], v[0:1], v[24:25] op_sel:[0,0,1] op_sel_hi:[1,0,0]
	v_pk_add_f32 v[158:159], v[158:159], v[38:39] neg_lo:[0,1] neg_hi:[0,1]
	s_delay_alu instid0(VALU_DEP_4)
	v_mov_b32_e32 v13, v9
	ds_load_2addr_b64 v[8:11], v56 offset0:46 offset1:47
	s_wait_dscnt 0x2
	v_pk_mul_f32 v[32:33], v[4:5], v[2:3] op_sel:[0,1]
	v_pk_add_f32 v[188:189], v[188:189], v[12:13] neg_lo:[0,1] neg_hi:[0,1]
	v_pk_fma_f32 v[12:13], v[14:15], v[0:1], v[24:25] op_sel:[0,0,1] op_sel_hi:[1,1,0] neg_lo:[0,0,1] neg_hi:[0,0,1]
	s_delay_alu instid0(VALU_DEP_3)
	v_pk_fma_f32 v[14:15], v[4:5], v[0:1], v[32:33] op_sel:[0,0,1] op_sel_hi:[1,0,0]
	v_mov_b32_e32 v13, v23
	v_pk_mul_f32 v[22:23], v[6:7], v[2:3] op_sel:[0,1]
	s_wait_dscnt 0x1
	v_mul_f32_e32 v14, v19, v0
	v_pk_fma_f32 v[4:5], v[4:5], v[0:1], v[32:33] op_sel:[0,0,1] op_sel_hi:[1,1,0] neg_lo:[0,0,1] neg_hi:[0,0,1]
	v_mov_b32_e32 v5, v15
	v_pk_add_f32 v[182:183], v[182:183], v[12:13] neg_lo:[0,1] neg_hi:[0,1]
	v_pk_fma_f32 v[12:13], v[6:7], v[0:1], v[22:23] op_sel:[0,0,1] op_sel_hi:[1,0,0]
	v_mul_f32_e32 v12, v19, v3
	v_pk_fma_f32 v[14:15], v[18:19], v[34:35], v[14:15] op_sel:[1,0,0] op_sel_hi:[0,1,0]
	v_pk_add_f32 v[186:187], v[186:187], v[4:5] neg_lo:[0,1] neg_hi:[0,1]
	v_pk_fma_f32 v[4:5], v[6:7], v[0:1], v[22:23] op_sel:[0,0,1] op_sel_hi:[1,1,0] neg_lo:[0,0,1] neg_hi:[0,0,1]
	v_mov_b32_e32 v5, v13
	v_pk_fma_f32 v[6:7], v[18:19], v[34:35], v[12:13] op_sel_hi:[1,1,0] neg_lo:[0,0,1] neg_hi:[0,0,1]
	s_wait_dscnt 0x0
	v_dual_mov_b32 v7, v15 :: v_dual_mov_b32 v18, v11
	v_pk_mul_f32 v[12:13], v[20:21], v[2:3] op_sel:[0,1]
	v_pk_mul_f32 v[14:15], v[8:9], v[2:3] op_sel:[0,1]
	v_dual_mov_b32 v19, v10 :: v_dual_mul_f32 v2, v11, v0
	v_pk_add_f32 v[180:181], v[180:181], v[4:5] neg_lo:[0,1] neg_hi:[0,1]
	s_delay_alu instid0(VALU_DEP_4)
	v_pk_fma_f32 v[22:23], v[20:21], v[0:1], v[12:13] op_sel:[0,0,1] op_sel_hi:[1,0,0]
	v_pk_fma_f32 v[12:13], v[20:21], v[0:1], v[12:13] op_sel:[0,0,1] op_sel_hi:[1,1,0] neg_lo:[0,0,1] neg_hi:[0,0,1]
	v_pk_fma_f32 v[20:21], v[8:9], v[0:1], v[14:15] op_sel:[0,0,1] op_sel_hi:[1,0,0]
	v_mul_f32_e32 v20, v11, v3
	v_pk_fma_f32 v[2:3], v[18:19], v[34:35], v[2:3] op_sel_hi:[1,1,0]
	v_pk_fma_f32 v[0:1], v[8:9], v[0:1], v[14:15] op_sel:[0,0,1] op_sel_hi:[1,1,0] neg_lo:[0,0,1] neg_hi:[0,0,1]
	s_delay_alu instid0(VALU_DEP_4) | instskip(NEXT) | instid1(VALU_DEP_4)
	v_dual_mov_b32 v13, v23 :: v_dual_mov_b32 v1, v21
	v_pk_fma_f32 v[8:9], v[10:11], v[34:35], v[20:21] op_sel_hi:[1,1,0] neg_lo:[0,0,1] neg_hi:[0,0,1]
	s_delay_alu instid0(VALU_DEP_4) | instskip(SKIP_1) | instid1(VALU_DEP_4)
	v_mov_b32_e32 v9, v3
	v_pk_add_f32 v[184:185], v[184:185], v[6:7] neg_lo:[0,1] neg_hi:[0,1]
	v_pk_add_f32 v[178:179], v[178:179], v[12:13] neg_lo:[0,1] neg_hi:[0,1]
	;; [unrolled: 1-line block ×3, first 2 shown]
	s_delay_alu instid0(VALU_DEP_4)
	v_pk_add_f32 v[192:193], v[192:193], v[8:9] neg_lo:[0,1] neg_hi:[0,1]
.LBB95_55:
	s_or_b32 exec_lo, exec_lo, s1
	s_delay_alu instid0(SALU_CYCLE_1)
	s_mov_b32 s2, exec_lo
	s_wait_dscnt 0x0
	s_barrier_signal -1
	s_barrier_wait -1
	v_cmpx_eq_u32_e32 6, v54
	s_cbranch_execz .LBB95_62
; %bb.56:
	ds_store_b64 v55, v[36:37]
	ds_store_2addr_b64 v56, v[60:61], v[84:85] offset0:7 offset1:8
	ds_store_2addr_b64 v56, v[28:29], v[30:31] offset0:9 offset1:10
	;; [unrolled: 1-line block ×20, first 2 shown]
	ds_store_b64 v56, v[192:193] offset:376
	ds_load_b64 v[0:1], v55
	s_wait_dscnt 0x0
	v_cmp_neq_f32_e32 vcc_lo, 0, v0
	v_cmp_neq_f32_e64 s1, 0, v1
	s_or_b32 s1, vcc_lo, s1
	s_delay_alu instid0(SALU_CYCLE_1)
	s_and_b32 exec_lo, exec_lo, s1
	s_cbranch_execz .LBB95_62
; %bb.57:
	v_cmp_ngt_f32_e64 s1, |v0|, |v1|
                                        ; implicit-def: $vgpr2_vgpr3
	s_and_saveexec_b32 s4, s1
	s_delay_alu instid0(SALU_CYCLE_1)
	s_xor_b32 s1, exec_lo, s4
	s_cbranch_execz .LBB95_59
; %bb.58:
	v_div_scale_f32 v2, null, v1, v1, v0
	v_div_scale_f32 v5, vcc_lo, v0, v1, v0
	s_delay_alu instid0(VALU_DEP_2) | instskip(SKIP_1) | instid1(TRANS32_DEP_1)
	v_rcp_f32_e32 v3, v2
	v_nop
	v_fma_f32 v4, -v2, v3, 1.0
	s_delay_alu instid0(VALU_DEP_1) | instskip(NEXT) | instid1(VALU_DEP_1)
	v_fmac_f32_e32 v3, v4, v3
	v_mul_f32_e32 v4, v5, v3
	s_delay_alu instid0(VALU_DEP_1) | instskip(NEXT) | instid1(VALU_DEP_1)
	v_fma_f32 v6, -v2, v4, v5
	v_fmac_f32_e32 v4, v6, v3
	s_delay_alu instid0(VALU_DEP_1) | instskip(NEXT) | instid1(VALU_DEP_1)
	v_fma_f32 v2, -v2, v4, v5
	v_div_fmas_f32 v2, v2, v3, v4
	s_delay_alu instid0(VALU_DEP_1) | instskip(NEXT) | instid1(VALU_DEP_1)
	v_div_fixup_f32 v2, v2, v1, v0
	v_fmac_f32_e32 v1, v0, v2
	s_delay_alu instid0(VALU_DEP_1) | instskip(SKIP_1) | instid1(VALU_DEP_2)
	v_div_scale_f32 v0, null, v1, v1, 1.0
	v_div_scale_f32 v5, vcc_lo, 1.0, v1, 1.0
	v_rcp_f32_e32 v3, v0
	v_nop
	s_delay_alu instid0(TRANS32_DEP_1) | instskip(NEXT) | instid1(VALU_DEP_1)
	v_fma_f32 v4, -v0, v3, 1.0
	v_fmac_f32_e32 v3, v4, v3
	s_delay_alu instid0(VALU_DEP_1) | instskip(NEXT) | instid1(VALU_DEP_1)
	v_mul_f32_e32 v4, v5, v3
	v_fma_f32 v6, -v0, v4, v5
	s_delay_alu instid0(VALU_DEP_1) | instskip(NEXT) | instid1(VALU_DEP_1)
	v_fmac_f32_e32 v4, v6, v3
	v_fma_f32 v0, -v0, v4, v5
	s_delay_alu instid0(VALU_DEP_1) | instskip(NEXT) | instid1(VALU_DEP_1)
	v_div_fmas_f32 v0, v0, v3, v4
	v_div_fixup_f32 v0, v0, v1, 1.0
	s_delay_alu instid0(VALU_DEP_1)
	v_mul_f32_e32 v2, v2, v0
	v_xor_b32_e32 v3, 0x80000000, v0
                                        ; implicit-def: $vgpr0_vgpr1
.LBB95_59:
	s_and_not1_saveexec_b32 s1, s1
	s_cbranch_execz .LBB95_61
; %bb.60:
	v_div_scale_f32 v2, null, v0, v0, v1
	v_div_scale_f32 v5, vcc_lo, v1, v0, v1
	s_delay_alu instid0(VALU_DEP_2) | instskip(SKIP_1) | instid1(TRANS32_DEP_1)
	v_rcp_f32_e32 v3, v2
	v_nop
	v_fma_f32 v4, -v2, v3, 1.0
	s_delay_alu instid0(VALU_DEP_1) | instskip(NEXT) | instid1(VALU_DEP_1)
	v_fmac_f32_e32 v3, v4, v3
	v_mul_f32_e32 v4, v5, v3
	s_delay_alu instid0(VALU_DEP_1) | instskip(NEXT) | instid1(VALU_DEP_1)
	v_fma_f32 v6, -v2, v4, v5
	v_fmac_f32_e32 v4, v6, v3
	s_delay_alu instid0(VALU_DEP_1) | instskip(NEXT) | instid1(VALU_DEP_1)
	v_fma_f32 v2, -v2, v4, v5
	v_div_fmas_f32 v2, v2, v3, v4
	s_delay_alu instid0(VALU_DEP_1) | instskip(NEXT) | instid1(VALU_DEP_1)
	v_div_fixup_f32 v3, v2, v0, v1
	v_fmac_f32_e32 v0, v1, v3
	s_delay_alu instid0(VALU_DEP_1) | instskip(NEXT) | instid1(VALU_DEP_1)
	v_div_scale_f32 v1, null, v0, v0, 1.0
	v_rcp_f32_e32 v2, v1
	v_nop
	s_delay_alu instid0(TRANS32_DEP_1) | instskip(NEXT) | instid1(VALU_DEP_1)
	v_fma_f32 v4, -v1, v2, 1.0
	v_fmac_f32_e32 v2, v4, v2
	v_div_scale_f32 v4, vcc_lo, 1.0, v0, 1.0
	s_delay_alu instid0(VALU_DEP_1) | instskip(NEXT) | instid1(VALU_DEP_1)
	v_mul_f32_e32 v5, v4, v2
	v_fma_f32 v6, -v1, v5, v4
	s_delay_alu instid0(VALU_DEP_1) | instskip(NEXT) | instid1(VALU_DEP_1)
	v_fmac_f32_e32 v5, v6, v2
	v_fma_f32 v1, -v1, v5, v4
	s_delay_alu instid0(VALU_DEP_1) | instskip(NEXT) | instid1(VALU_DEP_1)
	v_div_fmas_f32 v1, v1, v2, v5
	v_div_fixup_f32 v2, v1, v0, 1.0
	s_delay_alu instid0(VALU_DEP_1)
	v_mul_f32_e64 v3, v3, -v2
.LBB95_61:
	s_or_b32 exec_lo, exec_lo, s1
	ds_store_b64 v55, v[2:3]
.LBB95_62:
	s_or_b32 exec_lo, exec_lo, s2
	s_wait_dscnt 0x0
	s_barrier_signal -1
	s_barrier_wait -1
	ds_load_b64 v[206:207], v55
	s_mov_b32 s1, exec_lo
	v_cmpx_lt_u32_e32 6, v54
	s_cbranch_execz .LBB95_64
; %bb.63:
	ds_load_2addr_b64 v[4:7], v56 offset0:7 offset1:8
	ds_load_2addr_b64 v[8:11], v56 offset0:9 offset1:10
	;; [unrolled: 1-line block ×3, first 2 shown]
	s_wait_dscnt 0x3
	v_pk_mul_f32 v[2:3], v[206:207], v[36:37] op_sel:[1,1] op_sel_hi:[0,1]
	ds_load_2addr_b64 v[18:21], v56 offset0:13 offset1:14
	ds_load_2addr_b64 v[22:25], v56 offset0:15 offset1:16
	v_pk_fma_f32 v[0:1], v[206:207], v[36:37], v[2:3] op_sel_hi:[1,0,1] neg_lo:[0,0,1] neg_hi:[0,0,1]
	v_pk_fma_f32 v[2:3], v[206:207], v[36:37], v[2:3] op_sel_hi:[1,0,1]
	s_delay_alu instid0(VALU_DEP_1) | instskip(SKIP_1) | instid1(VALU_DEP_2)
	v_dual_mov_b32 v36, v0 :: v_dual_mov_b32 v37, v3
	s_wait_dscnt 0x4
	v_pk_mul_f32 v[32:33], v[4:5], v[2:3] op_sel:[0,1]
	v_pk_mul_f32 v[38:39], v[6:7], v[2:3] op_sel:[0,1]
	s_wait_dscnt 0x3
	v_pk_mul_f32 v[40:41], v[8:9], v[2:3] op_sel:[0,1]
	s_wait_dscnt 0x2
	v_pk_mul_f32 v[78:79], v[12:13], v[2:3] op_sel:[0,1]
	v_dual_mov_b32 v42, v11 :: v_dual_mov_b32 v43, v10
	v_pk_fma_f32 v[212:213], v[4:5], v[0:1], v[32:33] op_sel:[0,0,1] op_sel_hi:[1,1,0] neg_lo:[0,0,1] neg_hi:[0,0,1]
	v_pk_fma_f32 v[4:5], v[4:5], v[0:1], v[32:33] op_sel:[0,0,1] op_sel_hi:[1,0,0]
	v_pk_fma_f32 v[32:33], v[6:7], v[0:1], v[38:39] op_sel:[0,0,1] op_sel_hi:[1,1,0] neg_lo:[0,0,1] neg_hi:[0,0,1]
	v_pk_fma_f32 v[6:7], v[6:7], v[0:1], v[38:39] op_sel:[0,0,1] op_sel_hi:[1,0,0]
	v_dual_mul_f32 v52, v11, v3 :: v_dual_mul_f32 v76, v11, v0
	v_pk_mul_f32 v[208:209], v[14:15], v[2:3] op_sel:[0,1]
	v_pk_fma_f32 v[38:39], v[8:9], v[0:1], v[40:41] op_sel:[0,0,1] op_sel_hi:[1,1,0] neg_lo:[0,0,1] neg_hi:[0,0,1]
	v_pk_fma_f32 v[8:9], v[8:9], v[0:1], v[40:41] op_sel:[0,0,1] op_sel_hi:[1,0,0]
	s_wait_dscnt 0x1
	v_pk_mul_f32 v[210:211], v[18:19], v[2:3] op_sel:[0,1]
	v_dual_mov_b32 v213, v5 :: v_dual_mov_b32 v33, v7
	v_pk_fma_f32 v[4:5], v[12:13], v[0:1], v[78:79] op_sel:[0,0,1] op_sel_hi:[1,0,0]
	v_pk_fma_f32 v[40:41], v[42:43], v[36:37], v[76:77] op_sel_hi:[1,1,0]
	v_mov_b32_e32 v39, v9
	v_pk_fma_f32 v[8:9], v[12:13], v[0:1], v[78:79] op_sel:[0,0,1] op_sel_hi:[1,1,0] neg_lo:[0,0,1] neg_hi:[0,0,1]
	v_pk_fma_f32 v[12:13], v[14:15], v[0:1], v[208:209] op_sel:[0,0,1] op_sel_hi:[1,0,0]
	v_pk_add_f32 v[84:85], v[84:85], v[32:33] neg_lo:[0,1] neg_hi:[0,1]
	v_pk_fma_f32 v[32:33], v[18:19], v[0:1], v[210:211] op_sel:[0,0,1] op_sel_hi:[1,0,0]
	v_mov_b32_e32 v9, v5
	ds_load_2addr_b64 v[4:7], v56 offset0:17 offset1:18
	v_pk_fma_f32 v[14:15], v[14:15], v[0:1], v[208:209] op_sel:[0,0,1] op_sel_hi:[1,1,0] neg_lo:[0,0,1] neg_hi:[0,0,1]
	v_mov_b32_e32 v15, v13
	v_pk_fma_f32 v[12:13], v[18:19], v[0:1], v[210:211] op_sel:[0,0,1] op_sel_hi:[1,1,0] neg_lo:[0,0,1] neg_hi:[0,0,1]
	v_mov_b32_e32 v13, v33
	v_pk_fma_f32 v[10:11], v[10:11], v[36:37], v[52:53] op_sel_hi:[1,1,0] neg_lo:[0,0,1] neg_hi:[0,0,1]
	v_pk_mul_f32 v[18:19], v[20:21], v[2:3] op_sel:[0,1]
	v_mov_b32_e32 v11, v41
	s_wait_dscnt 0x1
	v_pk_mul_f32 v[32:33], v[24:25], v[2:3] op_sel:[0,1]
	v_pk_add_f32 v[46:47], v[46:47], v[12:13] neg_lo:[0,1] neg_hi:[0,1]
	v_mul_f32_e32 v12, v23, v0
	v_pk_add_f32 v[50:51], v[50:51], v[14:15] neg_lo:[0,1] neg_hi:[0,1]
	v_pk_fma_f32 v[14:15], v[20:21], v[0:1], v[18:19] op_sel:[0,0,1] op_sel_hi:[1,0,0]
	v_pk_add_f32 v[30:31], v[30:31], v[10:11] neg_lo:[0,1] neg_hi:[0,1]
	v_pk_add_f32 v[26:27], v[26:27], v[8:9] neg_lo:[0,1] neg_hi:[0,1]
	ds_load_2addr_b64 v[8:11], v56 offset0:19 offset1:20
	v_pk_fma_f32 v[12:13], v[22:23], v[36:37], v[12:13] op_sel:[1,0,0] op_sel_hi:[0,1,0]
	v_mul_f32_e32 v14, v23, v3
	v_pk_fma_f32 v[18:19], v[20:21], v[0:1], v[18:19] op_sel:[0,0,1] op_sel_hi:[1,1,0] neg_lo:[0,0,1] neg_hi:[0,0,1]
	v_pk_fma_f32 v[20:21], v[24:25], v[0:1], v[32:33] op_sel:[0,0,1] op_sel_hi:[1,0,0]
	v_mov_b32_e32 v19, v15
	v_pk_add_f32 v[28:29], v[28:29], v[38:39] neg_lo:[0,1] neg_hi:[0,1]
	v_pk_fma_f32 v[14:15], v[22:23], v[36:37], v[14:15] op_sel_hi:[1,1,0] neg_lo:[0,0,1] neg_hi:[0,0,1]
	v_mov_b32_e32 v15, v13
	v_pk_fma_f32 v[12:13], v[24:25], v[0:1], v[32:33] op_sel:[0,0,1] op_sel_hi:[1,1,0] neg_lo:[0,0,1] neg_hi:[0,0,1]
	s_wait_dscnt 0x1
	v_pk_mul_f32 v[22:23], v[4:5], v[2:3] op_sel:[0,1]
	v_mov_b32_e32 v13, v21
	v_pk_add_f32 v[48:49], v[48:49], v[18:19] neg_lo:[0,1] neg_hi:[0,1]
	v_pk_add_f32 v[44:45], v[44:45], v[14:15] neg_lo:[0,1] neg_hi:[0,1]
	v_pk_mul_f32 v[20:21], v[6:7], v[2:3] op_sel:[0,1]
	v_pk_fma_f32 v[18:19], v[4:5], v[0:1], v[22:23] op_sel:[0,0,1] op_sel_hi:[1,0,0]
	v_pk_add_f32 v[74:75], v[74:75], v[12:13] neg_lo:[0,1] neg_hi:[0,1]
	ds_load_2addr_b64 v[12:15], v56 offset0:21 offset1:22
	v_pk_fma_f32 v[22:23], v[4:5], v[0:1], v[22:23] op_sel:[0,0,1] op_sel_hi:[1,1,0] neg_lo:[0,0,1] neg_hi:[0,0,1]
	v_pk_add_f32 v[60:61], v[60:61], v[212:213] neg_lo:[0,1] neg_hi:[0,1]
	s_wait_dscnt 0x1
	v_dual_mov_b32 v23, v19 :: v_dual_mov_b32 v32, v11
	v_pk_fma_f32 v[18:19], v[6:7], v[0:1], v[20:21] op_sel:[0,0,1] op_sel_hi:[1,1,0] neg_lo:[0,0,1] neg_hi:[0,0,1]
	v_pk_fma_f32 v[20:21], v[6:7], v[0:1], v[20:21] op_sel:[0,0,1] op_sel_hi:[1,0,0]
	ds_load_2addr_b64 v[4:7], v56 offset0:23 offset1:24
	v_pk_mul_f32 v[24:25], v[8:9], v[2:3] op_sel:[0,1]
	v_dual_mov_b32 v33, v10 :: v_dual_mul_f32 v20, v11, v0
	v_mov_b32_e32 v19, v21
	v_pk_add_f32 v[70:71], v[70:71], v[22:23] neg_lo:[0,1] neg_hi:[0,1]
	s_delay_alu instid0(VALU_DEP_4)
	v_pk_fma_f32 v[22:23], v[8:9], v[0:1], v[24:25] op_sel:[0,0,1] op_sel_hi:[1,0,0]
	v_mul_f32_e32 v22, v11, v3
	v_pk_fma_f32 v[20:21], v[32:33], v[36:37], v[20:21] op_sel_hi:[1,1,0]
	v_pk_add_f32 v[72:73], v[72:73], v[18:19] neg_lo:[0,1] neg_hi:[0,1]
	v_pk_fma_f32 v[18:19], v[8:9], v[0:1], v[24:25] op_sel:[0,0,1] op_sel_hi:[1,1,0] neg_lo:[0,0,1] neg_hi:[0,0,1]
	v_mov_b32_e32 v19, v23
	v_pk_fma_f32 v[22:23], v[10:11], v[36:37], v[22:23] op_sel_hi:[1,1,0] neg_lo:[0,0,1] neg_hi:[0,0,1]
	v_mov_b32_e32 v23, v21
	s_wait_dscnt 0x1
	v_pk_mul_f32 v[24:25], v[12:13], v[2:3] op_sel:[0,1]
	ds_load_2addr_b64 v[8:11], v56 offset0:25 offset1:26
	v_pk_mul_f32 v[32:33], v[14:15], v[2:3] op_sel:[0,1]
	v_pk_add_f32 v[68:69], v[68:69], v[18:19] neg_lo:[0,1] neg_hi:[0,1]
	v_pk_add_f32 v[96:97], v[96:97], v[22:23] neg_lo:[0,1] neg_hi:[0,1]
	v_pk_fma_f32 v[22:23], v[12:13], v[0:1], v[24:25] op_sel:[0,0,1] op_sel_hi:[1,0,0]
	s_wait_dscnt 0x1
	v_pk_mul_f32 v[38:39], v[4:5], v[2:3] op_sel:[0,1]
	v_pk_fma_f32 v[12:13], v[12:13], v[0:1], v[24:25] op_sel:[0,0,1] op_sel_hi:[1,1,0] neg_lo:[0,0,1] neg_hi:[0,0,1]
	v_pk_fma_f32 v[40:41], v[14:15], v[0:1], v[32:33] op_sel:[0,0,1] op_sel_hi:[1,0,0]
	ds_load_2addr_b64 v[18:21], v56 offset0:27 offset1:28
	v_mov_b32_e32 v13, v23
	v_pk_fma_f32 v[22:23], v[4:5], v[0:1], v[38:39] op_sel:[0,0,1] op_sel_hi:[1,0,0]
	v_pk_fma_f32 v[14:15], v[14:15], v[0:1], v[32:33] op_sel:[0,0,1] op_sel_hi:[1,1,0] neg_lo:[0,0,1] neg_hi:[0,0,1]
	v_pk_mul_f32 v[24:25], v[6:7], v[2:3] op_sel:[0,1]
	v_pk_fma_f32 v[4:5], v[4:5], v[0:1], v[38:39] op_sel:[0,0,1] op_sel_hi:[1,1,0] neg_lo:[0,0,1] neg_hi:[0,0,1]
	s_delay_alu instid0(VALU_DEP_4) | instskip(SKIP_1) | instid1(VALU_DEP_4)
	v_dual_mov_b32 v15, v41 :: v_dual_mov_b32 v5, v23
	v_pk_add_f32 v[92:93], v[92:93], v[12:13] neg_lo:[0,1] neg_hi:[0,1]
	v_pk_fma_f32 v[22:23], v[6:7], v[0:1], v[24:25] op_sel:[0,0,1] op_sel_hi:[1,0,0]
	v_pk_fma_f32 v[6:7], v[6:7], v[0:1], v[24:25] op_sel:[0,0,1] op_sel_hi:[1,1,0] neg_lo:[0,0,1] neg_hi:[0,0,1]
	s_delay_alu instid0(VALU_DEP_4)
	v_pk_add_f32 v[94:95], v[94:95], v[14:15] neg_lo:[0,1] neg_hi:[0,1]
	ds_load_2addr_b64 v[12:15], v56 offset0:29 offset1:30
	v_pk_add_f32 v[90:91], v[90:91], v[4:5] neg_lo:[0,1] neg_hi:[0,1]
	s_wait_dscnt 0x2
	v_dual_mul_f32 v4, v9, v0 :: v_dual_mov_b32 v7, v23
	v_mul_f32_e32 v22, v9, v3
	v_pk_mul_f32 v[24:25], v[10:11], v[2:3] op_sel:[0,1]
	s_delay_alu instid0(VALU_DEP_3)
	v_pk_fma_f32 v[4:5], v[8:9], v[36:37], v[4:5] op_sel:[1,0,0] op_sel_hi:[0,1,0]
	s_wait_dscnt 0x1
	v_pk_mul_f32 v[32:33], v[18:19], v[2:3] op_sel:[0,1]
	v_pk_fma_f32 v[8:9], v[8:9], v[36:37], v[22:23] op_sel_hi:[1,1,0] neg_lo:[0,0,1] neg_hi:[0,0,1]
	v_pk_add_f32 v[112:113], v[112:113], v[6:7] neg_lo:[0,1] neg_hi:[0,1]
	v_pk_fma_f32 v[22:23], v[10:11], v[0:1], v[24:25] op_sel:[0,0,1] op_sel_hi:[1,0,0]
	v_mov_b32_e32 v9, v5
	ds_load_2addr_b64 v[4:7], v56 offset0:31 offset1:32
	v_pk_fma_f32 v[10:11], v[10:11], v[0:1], v[24:25] op_sel:[0,0,1] op_sel_hi:[1,1,0] neg_lo:[0,0,1] neg_hi:[0,0,1]
	v_pk_fma_f32 v[38:39], v[18:19], v[0:1], v[32:33] op_sel:[0,0,1] op_sel_hi:[1,0,0]
	v_mov_b32_e32 v11, v23
	v_pk_mul_f32 v[22:23], v[20:21], v[2:3] op_sel:[0,1]
	v_pk_fma_f32 v[18:19], v[18:19], v[0:1], v[32:33] op_sel:[0,0,1] op_sel_hi:[1,1,0] neg_lo:[0,0,1] neg_hi:[0,0,1]
	v_pk_add_f32 v[108:109], v[108:109], v[8:9] neg_lo:[0,1] neg_hi:[0,1]
	s_wait_dscnt 0x1
	v_pk_mul_f32 v[24:25], v[12:13], v[2:3] op_sel:[0,1]
	v_pk_add_f32 v[110:111], v[110:111], v[10:11] neg_lo:[0,1] neg_hi:[0,1]
	v_pk_fma_f32 v[32:33], v[20:21], v[0:1], v[22:23] op_sel:[0,0,1] op_sel_hi:[1,0,0]
	v_mov_b32_e32 v19, v39
	v_pk_fma_f32 v[20:21], v[20:21], v[0:1], v[22:23] op_sel:[0,0,1] op_sel_hi:[1,1,0] neg_lo:[0,0,1] neg_hi:[0,0,1]
	ds_load_2addr_b64 v[8:11], v56 offset0:33 offset1:34
	v_dual_mul_f32 v22, v15, v0 :: v_dual_mov_b32 v21, v33
	v_pk_add_f32 v[106:107], v[106:107], v[18:19] neg_lo:[0,1] neg_hi:[0,1]
	v_pk_fma_f32 v[18:19], v[12:13], v[0:1], v[24:25] op_sel:[0,0,1] op_sel_hi:[1,0,0]
	v_pk_fma_f32 v[12:13], v[12:13], v[0:1], v[24:25] op_sel:[0,0,1] op_sel_hi:[1,1,0] neg_lo:[0,0,1] neg_hi:[0,0,1]
	v_mov_b32_e32 v18, v15
	v_pk_add_f32 v[128:129], v[128:129], v[20:21] neg_lo:[0,1] neg_hi:[0,1]
	s_wait_dscnt 0x1
	v_pk_mul_f32 v[24:25], v[4:5], v[2:3] op_sel:[0,1]
	v_dual_mov_b32 v13, v19 :: v_dual_mov_b32 v19, v14
	v_pk_mul_f32 v[38:39], v[6:7], v[2:3] op_sel:[0,1]
	s_delay_alu instid0(VALU_DEP_3) | instskip(NEXT) | instid1(VALU_DEP_3)
	v_pk_fma_f32 v[32:33], v[4:5], v[0:1], v[24:25] op_sel:[0,0,1] op_sel_hi:[1,0,0]
	v_pk_add_f32 v[124:125], v[124:125], v[12:13] neg_lo:[0,1] neg_hi:[0,1]
	v_mul_f32_e32 v12, v15, v3
	v_pk_fma_f32 v[22:23], v[18:19], v[36:37], v[22:23] op_sel_hi:[1,1,0]
	ds_load_2addr_b64 v[18:21], v56 offset0:35 offset1:36
	v_pk_fma_f32 v[4:5], v[4:5], v[0:1], v[24:25] op_sel:[0,0,1] op_sel_hi:[1,1,0] neg_lo:[0,0,1] neg_hi:[0,0,1]
	v_mov_b32_e32 v5, v33
	v_pk_fma_f32 v[40:41], v[14:15], v[36:37], v[12:13] op_sel_hi:[1,1,0] neg_lo:[0,0,1] neg_hi:[0,0,1]
	v_mov_b32_e32 v41, v23
	v_pk_fma_f32 v[22:23], v[6:7], v[0:1], v[38:39] op_sel:[0,0,1] op_sel_hi:[1,0,0]
	ds_load_2addr_b64 v[12:15], v56 offset0:37 offset1:38
	v_pk_fma_f32 v[6:7], v[6:7], v[0:1], v[38:39] op_sel:[0,0,1] op_sel_hi:[1,1,0] neg_lo:[0,0,1] neg_hi:[0,0,1]
	s_wait_dscnt 0x2
	v_pk_mul_f32 v[24:25], v[8:9], v[2:3] op_sel:[0,1]
	v_pk_add_f32 v[122:123], v[122:123], v[4:5] neg_lo:[0,1] neg_hi:[0,1]
	v_mov_b32_e32 v7, v23
	v_pk_mul_f32 v[22:23], v[10:11], v[2:3] op_sel:[0,1]
	v_pk_add_f32 v[126:127], v[126:127], v[40:41] neg_lo:[0,1] neg_hi:[0,1]
	v_pk_fma_f32 v[32:33], v[8:9], v[0:1], v[24:25] op_sel:[0,0,1] op_sel_hi:[1,0,0]
	v_pk_fma_f32 v[8:9], v[8:9], v[0:1], v[24:25] op_sel:[0,0,1] op_sel_hi:[1,1,0] neg_lo:[0,0,1] neg_hi:[0,0,1]
	v_pk_add_f32 v[144:145], v[144:145], v[6:7] neg_lo:[0,1] neg_hi:[0,1]
	v_pk_fma_f32 v[24:25], v[10:11], v[0:1], v[22:23] op_sel:[0,0,1] op_sel_hi:[1,0,0]
	ds_load_2addr_b64 v[4:7], v56 offset0:39 offset1:40
	v_pk_fma_f32 v[10:11], v[10:11], v[0:1], v[22:23] op_sel:[0,0,1] op_sel_hi:[1,1,0] neg_lo:[0,0,1] neg_hi:[0,0,1]
	s_wait_dscnt 0x2
	v_dual_mov_b32 v9, v33 :: v_dual_mul_f32 v22, v19, v0
	v_dual_mov_b32 v11, v25 :: v_dual_mul_f32 v24, v19, v3
	ds_load_b64 v[38:39], v56 offset:376
	v_pk_add_f32 v[140:141], v[140:141], v[8:9] neg_lo:[0,1] neg_hi:[0,1]
	v_pk_mul_f32 v[8:9], v[20:21], v[2:3] op_sel:[0,1]
	v_pk_fma_f32 v[22:23], v[18:19], v[36:37], v[22:23] op_sel:[1,0,0] op_sel_hi:[0,1,0]
	v_pk_add_f32 v[142:143], v[142:143], v[10:11] neg_lo:[0,1] neg_hi:[0,1]
	s_wait_dscnt 0x2
	v_pk_mul_f32 v[10:11], v[12:13], v[2:3] op_sel:[0,1]
	v_pk_fma_f32 v[18:19], v[18:19], v[36:37], v[24:25] op_sel_hi:[1,1,0] neg_lo:[0,0,1] neg_hi:[0,0,1]
	v_pk_fma_f32 v[32:33], v[20:21], v[0:1], v[8:9] op_sel:[0,0,1] op_sel_hi:[1,0,0]
	v_mov_b32_e32 v19, v23
	v_pk_mul_f32 v[24:25], v[14:15], v[2:3] op_sel:[0,1]
	v_pk_fma_f32 v[22:23], v[12:13], v[0:1], v[10:11] op_sel:[0,0,1] op_sel_hi:[1,0,0]
	v_pk_fma_f32 v[20:21], v[20:21], v[0:1], v[8:9] op_sel:[0,0,1] op_sel_hi:[1,1,0] neg_lo:[0,0,1] neg_hi:[0,0,1]
	v_pk_fma_f32 v[12:13], v[12:13], v[0:1], v[10:11] op_sel:[0,0,1] op_sel_hi:[1,1,0] neg_lo:[0,0,1] neg_hi:[0,0,1]
	ds_load_2addr_b64 v[8:11], v56 offset0:41 offset1:42
	v_mov_b32_e32 v21, v33
	v_pk_add_f32 v[138:139], v[138:139], v[18:19] neg_lo:[0,1] neg_hi:[0,1]
	v_pk_fma_f32 v[18:19], v[14:15], v[0:1], v[24:25] op_sel:[0,0,1] op_sel_hi:[1,0,0]
	v_mov_b32_e32 v13, v23
	s_wait_dscnt 0x2
	v_pk_mul_f32 v[22:23], v[4:5], v[2:3] op_sel:[0,1]
	v_pk_fma_f32 v[24:25], v[14:15], v[0:1], v[24:25] op_sel:[0,0,1] op_sel_hi:[1,1,0] neg_lo:[0,0,1] neg_hi:[0,0,1]
	v_pk_add_f32 v[164:165], v[164:165], v[20:21] neg_lo:[0,1] neg_hi:[0,1]
	v_mov_b32_e32 v25, v19
	v_pk_add_f32 v[160:161], v[160:161], v[12:13] neg_lo:[0,1] neg_hi:[0,1]
	v_pk_fma_f32 v[20:21], v[4:5], v[0:1], v[22:23] op_sel:[0,0,1] op_sel_hi:[1,0,0]
	ds_load_2addr_b64 v[12:15], v56 offset0:43 offset1:44
	v_pk_fma_f32 v[4:5], v[4:5], v[0:1], v[22:23] op_sel:[0,0,1] op_sel_hi:[1,1,0] neg_lo:[0,0,1] neg_hi:[0,0,1]
	v_dual_mov_b32 v18, v7 :: v_dual_mov_b32 v19, v6
	v_dual_mul_f32 v20, v7, v0 :: v_dual_mov_b32 v5, v21
	v_pk_add_f32 v[162:163], v[162:163], v[24:25] neg_lo:[0,1] neg_hi:[0,1]
	s_delay_alu instid0(VALU_DEP_2)
	v_pk_fma_f32 v[24:25], v[18:19], v[36:37], v[20:21] op_sel_hi:[1,1,0]
	ds_load_2addr_b64 v[18:21], v56 offset0:45 offset1:46
	v_pk_add_f32 v[158:159], v[158:159], v[4:5] neg_lo:[0,1] neg_hi:[0,1]
	v_mul_f32_e32 v4, v7, v3
	s_wait_dscnt 0x2
	v_pk_mul_f32 v[22:23], v[8:9], v[2:3] op_sel:[0,1]
	v_pk_mul_f32 v[32:33], v[10:11], v[2:3] op_sel:[0,1]
	s_delay_alu instid0(VALU_DEP_3) | instskip(NEXT) | instid1(VALU_DEP_3)
	v_pk_fma_f32 v[4:5], v[6:7], v[36:37], v[4:5] op_sel_hi:[1,1,0] neg_lo:[0,0,1] neg_hi:[0,0,1]
	v_pk_fma_f32 v[6:7], v[8:9], v[0:1], v[22:23] op_sel:[0,0,1] op_sel_hi:[1,0,0]
	v_mov_b32_e32 v5, v25
	s_delay_alu instid0(VALU_DEP_4)
	v_pk_fma_f32 v[24:25], v[10:11], v[0:1], v[32:33] op_sel:[0,0,1] op_sel_hi:[1,0,0]
	v_pk_fma_f32 v[8:9], v[8:9], v[0:1], v[22:23] op_sel:[0,0,1] op_sel_hi:[1,1,0] neg_lo:[0,0,1] neg_hi:[0,0,1]
	s_wait_dscnt 0x1
	v_pk_mul_f32 v[22:23], v[12:13], v[2:3] op_sel:[0,1]
	v_mov_b32_e32 v9, v7
	v_pk_fma_f32 v[6:7], v[10:11], v[0:1], v[32:33] op_sel:[0,0,1] op_sel_hi:[1,1,0] neg_lo:[0,0,1] neg_hi:[0,0,1]
	v_mov_b32_e32 v7, v25
	v_pk_add_f32 v[188:189], v[188:189], v[4:5] neg_lo:[0,1] neg_hi:[0,1]
	v_pk_fma_f32 v[4:5], v[12:13], v[0:1], v[22:23] op_sel:[0,0,1] op_sel_hi:[1,0,0]
	v_pk_mul_f32 v[10:11], v[14:15], v[2:3] op_sel:[0,1]
	v_pk_add_f32 v[182:183], v[182:183], v[8:9] neg_lo:[0,1] neg_hi:[0,1]
	v_pk_add_f32 v[186:187], v[186:187], v[6:7] neg_lo:[0,1] neg_hi:[0,1]
	v_pk_fma_f32 v[6:7], v[12:13], v[0:1], v[22:23] op_sel:[0,0,1] op_sel_hi:[1,1,0] neg_lo:[0,0,1] neg_hi:[0,0,1]
	s_wait_dscnt 0x0
	v_dual_mov_b32 v7, v5 :: v_dual_mul_f32 v8, v19, v0
	v_pk_fma_f32 v[4:5], v[14:15], v[0:1], v[10:11] op_sel:[0,0,1] op_sel_hi:[1,1,0] neg_lo:[0,0,1] neg_hi:[0,0,1]
	v_pk_fma_f32 v[10:11], v[14:15], v[0:1], v[10:11] op_sel:[0,0,1] op_sel_hi:[1,0,0]
	v_pk_mul_f32 v[12:13], v[20:21], v[2:3] op_sel:[0,1]
	s_delay_alu instid0(VALU_DEP_4)
	v_pk_add_f32 v[180:181], v[180:181], v[6:7] neg_lo:[0,1] neg_hi:[0,1]
	v_pk_fma_f32 v[8:9], v[18:19], v[36:37], v[8:9] op_sel:[1,0,0] op_sel_hi:[0,1,0]
	v_mul_f32_e32 v10, v19, v3
	v_pk_mul_f32 v[2:3], v[38:39], v[2:3] op_sel:[0,1]
	v_pk_fma_f32 v[14:15], v[20:21], v[0:1], v[12:13] op_sel:[0,0,1] op_sel_hi:[1,0,0]
	v_mov_b32_e32 v5, v11
	s_delay_alu instid0(VALU_DEP_4) | instskip(NEXT) | instid1(VALU_DEP_4)
	v_pk_fma_f32 v[10:11], v[18:19], v[36:37], v[10:11] op_sel_hi:[1,1,0] neg_lo:[0,0,1] neg_hi:[0,0,1]
	v_pk_fma_f32 v[18:19], v[38:39], v[0:1], v[2:3] op_sel:[0,0,1] op_sel_hi:[1,0,0]
	v_mov_b32_e32 v11, v9
	v_pk_fma_f32 v[8:9], v[20:21], v[0:1], v[12:13] op_sel:[0,0,1] op_sel_hi:[1,1,0] neg_lo:[0,0,1] neg_hi:[0,0,1]
	v_pk_fma_f32 v[0:1], v[38:39], v[0:1], v[2:3] op_sel:[0,0,1] op_sel_hi:[1,1,0] neg_lo:[0,0,1] neg_hi:[0,0,1]
	s_delay_alu instid0(VALU_DEP_4) | instskip(SKIP_2) | instid1(VALU_DEP_3)
	v_dual_mov_b32 v9, v15 :: v_dual_mov_b32 v1, v19
	v_pk_add_f32 v[184:185], v[184:185], v[4:5] neg_lo:[0,1] neg_hi:[0,1]
	v_pk_add_f32 v[178:179], v[178:179], v[10:11] neg_lo:[0,1] neg_hi:[0,1]
	;; [unrolled: 1-line block ×3, first 2 shown]
	s_delay_alu instid0(VALU_DEP_4)
	v_pk_add_f32 v[192:193], v[192:193], v[0:1] neg_lo:[0,1] neg_hi:[0,1]
.LBB95_64:
	s_or_b32 exec_lo, exec_lo, s1
	s_delay_alu instid0(SALU_CYCLE_1)
	s_mov_b32 s2, exec_lo
	s_wait_dscnt 0x0
	s_barrier_signal -1
	s_barrier_wait -1
	v_cmpx_eq_u32_e32 7, v54
	s_cbranch_execz .LBB95_71
; %bb.65:
	v_dual_mov_b32 v0, v84 :: v_dual_mov_b32 v1, v85
	v_dual_mov_b32 v2, v28 :: v_dual_mov_b32 v3, v29
	;; [unrolled: 1-line block ×4, first 2 shown]
	ds_store_b64 v55, v[60:61]
	ds_store_2addr_b64 v56, v[0:1], v[2:3] offset0:8 offset1:9
	ds_store_2addr_b64 v56, v[4:5], v[6:7] offset0:10 offset1:11
	v_dual_mov_b32 v0, v50 :: v_dual_mov_b32 v1, v51
	v_dual_mov_b32 v2, v46 :: v_dual_mov_b32 v3, v47
	;; [unrolled: 1-line block ×12, first 2 shown]
	ds_store_2addr_b64 v56, v[0:1], v[2:3] offset0:12 offset1:13
	ds_store_2addr_b64 v56, v[4:5], v[6:7] offset0:14 offset1:15
	;; [unrolled: 1-line block ×6, first 2 shown]
	v_dual_mov_b32 v0, v112 :: v_dual_mov_b32 v1, v113
	v_dual_mov_b32 v2, v108 :: v_dual_mov_b32 v3, v109
	;; [unrolled: 1-line block ×12, first 2 shown]
	ds_store_2addr_b64 v56, v[0:1], v[2:3] offset0:24 offset1:25
	ds_store_2addr_b64 v56, v[4:5], v[6:7] offset0:26 offset1:27
	;; [unrolled: 1-line block ×6, first 2 shown]
	v_dual_mov_b32 v0, v164 :: v_dual_mov_b32 v1, v165
	v_dual_mov_b32 v2, v160 :: v_dual_mov_b32 v3, v161
	;; [unrolled: 1-line block ×11, first 2 shown]
	ds_store_2addr_b64 v56, v[0:1], v[2:3] offset0:36 offset1:37
	ds_store_2addr_b64 v56, v[4:5], v[6:7] offset0:38 offset1:39
	;; [unrolled: 1-line block ×6, first 2 shown]
	ds_load_b64 v[0:1], v55
	s_wait_dscnt 0x0
	v_cmp_neq_f32_e32 vcc_lo, 0, v0
	v_cmp_neq_f32_e64 s1, 0, v1
	s_or_b32 s1, vcc_lo, s1
	s_delay_alu instid0(SALU_CYCLE_1)
	s_and_b32 exec_lo, exec_lo, s1
	s_cbranch_execz .LBB95_71
; %bb.66:
	v_cmp_ngt_f32_e64 s1, |v0|, |v1|
                                        ; implicit-def: $vgpr2_vgpr3
	s_and_saveexec_b32 s4, s1
	s_delay_alu instid0(SALU_CYCLE_1)
	s_xor_b32 s1, exec_lo, s4
	s_cbranch_execz .LBB95_68
; %bb.67:
	v_div_scale_f32 v2, null, v1, v1, v0
	v_div_scale_f32 v5, vcc_lo, v0, v1, v0
	s_delay_alu instid0(VALU_DEP_2) | instskip(SKIP_1) | instid1(TRANS32_DEP_1)
	v_rcp_f32_e32 v3, v2
	v_nop
	v_fma_f32 v4, -v2, v3, 1.0
	s_delay_alu instid0(VALU_DEP_1) | instskip(NEXT) | instid1(VALU_DEP_1)
	v_fmac_f32_e32 v3, v4, v3
	v_mul_f32_e32 v4, v5, v3
	s_delay_alu instid0(VALU_DEP_1) | instskip(NEXT) | instid1(VALU_DEP_1)
	v_fma_f32 v6, -v2, v4, v5
	v_fmac_f32_e32 v4, v6, v3
	s_delay_alu instid0(VALU_DEP_1) | instskip(NEXT) | instid1(VALU_DEP_1)
	v_fma_f32 v2, -v2, v4, v5
	v_div_fmas_f32 v2, v2, v3, v4
	s_delay_alu instid0(VALU_DEP_1) | instskip(NEXT) | instid1(VALU_DEP_1)
	v_div_fixup_f32 v2, v2, v1, v0
	v_fmac_f32_e32 v1, v0, v2
	s_delay_alu instid0(VALU_DEP_1) | instskip(SKIP_1) | instid1(VALU_DEP_2)
	v_div_scale_f32 v0, null, v1, v1, 1.0
	v_div_scale_f32 v5, vcc_lo, 1.0, v1, 1.0
	v_rcp_f32_e32 v3, v0
	v_nop
	s_delay_alu instid0(TRANS32_DEP_1) | instskip(NEXT) | instid1(VALU_DEP_1)
	v_fma_f32 v4, -v0, v3, 1.0
	v_fmac_f32_e32 v3, v4, v3
	s_delay_alu instid0(VALU_DEP_1) | instskip(NEXT) | instid1(VALU_DEP_1)
	v_mul_f32_e32 v4, v5, v3
	v_fma_f32 v6, -v0, v4, v5
	s_delay_alu instid0(VALU_DEP_1) | instskip(NEXT) | instid1(VALU_DEP_1)
	v_fmac_f32_e32 v4, v6, v3
	v_fma_f32 v0, -v0, v4, v5
	s_delay_alu instid0(VALU_DEP_1) | instskip(NEXT) | instid1(VALU_DEP_1)
	v_div_fmas_f32 v0, v0, v3, v4
	v_div_fixup_f32 v0, v0, v1, 1.0
	s_delay_alu instid0(VALU_DEP_1)
	v_mul_f32_e32 v2, v2, v0
	v_xor_b32_e32 v3, 0x80000000, v0
                                        ; implicit-def: $vgpr0_vgpr1
.LBB95_68:
	s_and_not1_saveexec_b32 s1, s1
	s_cbranch_execz .LBB95_70
; %bb.69:
	v_div_scale_f32 v2, null, v0, v0, v1
	v_div_scale_f32 v5, vcc_lo, v1, v0, v1
	s_delay_alu instid0(VALU_DEP_2) | instskip(SKIP_1) | instid1(TRANS32_DEP_1)
	v_rcp_f32_e32 v3, v2
	v_nop
	v_fma_f32 v4, -v2, v3, 1.0
	s_delay_alu instid0(VALU_DEP_1) | instskip(NEXT) | instid1(VALU_DEP_1)
	v_fmac_f32_e32 v3, v4, v3
	v_mul_f32_e32 v4, v5, v3
	s_delay_alu instid0(VALU_DEP_1) | instskip(NEXT) | instid1(VALU_DEP_1)
	v_fma_f32 v6, -v2, v4, v5
	v_fmac_f32_e32 v4, v6, v3
	s_delay_alu instid0(VALU_DEP_1) | instskip(NEXT) | instid1(VALU_DEP_1)
	v_fma_f32 v2, -v2, v4, v5
	v_div_fmas_f32 v2, v2, v3, v4
	s_delay_alu instid0(VALU_DEP_1) | instskip(NEXT) | instid1(VALU_DEP_1)
	v_div_fixup_f32 v3, v2, v0, v1
	v_fmac_f32_e32 v0, v1, v3
	s_delay_alu instid0(VALU_DEP_1) | instskip(NEXT) | instid1(VALU_DEP_1)
	v_div_scale_f32 v1, null, v0, v0, 1.0
	v_rcp_f32_e32 v2, v1
	v_nop
	s_delay_alu instid0(TRANS32_DEP_1) | instskip(NEXT) | instid1(VALU_DEP_1)
	v_fma_f32 v4, -v1, v2, 1.0
	v_fmac_f32_e32 v2, v4, v2
	v_div_scale_f32 v4, vcc_lo, 1.0, v0, 1.0
	s_delay_alu instid0(VALU_DEP_1) | instskip(NEXT) | instid1(VALU_DEP_1)
	v_mul_f32_e32 v5, v4, v2
	v_fma_f32 v6, -v1, v5, v4
	s_delay_alu instid0(VALU_DEP_1) | instskip(NEXT) | instid1(VALU_DEP_1)
	v_fmac_f32_e32 v5, v6, v2
	v_fma_f32 v1, -v1, v5, v4
	s_delay_alu instid0(VALU_DEP_1) | instskip(NEXT) | instid1(VALU_DEP_1)
	v_div_fmas_f32 v1, v1, v2, v5
	v_div_fixup_f32 v2, v1, v0, 1.0
	s_delay_alu instid0(VALU_DEP_1)
	v_mul_f32_e64 v3, v3, -v2
.LBB95_70:
	s_or_b32 exec_lo, exec_lo, s1
	ds_store_b64 v55, v[2:3]
.LBB95_71:
	s_or_b32 exec_lo, exec_lo, s2
	s_wait_dscnt 0x0
	s_barrier_signal -1
	s_barrier_wait -1
	ds_load_b64 v[208:209], v55
	s_mov_b32 s1, exec_lo
	v_cmpx_lt_u32_e32 7, v54
	s_cbranch_execz .LBB95_73
; %bb.72:
	ds_load_2addr_b64 v[4:7], v56 offset0:8 offset1:9
	ds_load_2addr_b64 v[8:11], v56 offset0:10 offset1:11
	;; [unrolled: 1-line block ×3, first 2 shown]
	s_wait_dscnt 0x3
	v_pk_mul_f32 v[2:3], v[208:209], v[60:61] op_sel:[1,1] op_sel_hi:[0,1]
	ds_load_2addr_b64 v[18:21], v56 offset0:14 offset1:15
	ds_load_2addr_b64 v[22:25], v56 offset0:16 offset1:17
	v_pk_fma_f32 v[0:1], v[208:209], v[60:61], v[2:3] op_sel_hi:[1,0,1] neg_lo:[0,0,1] neg_hi:[0,0,1]
	v_pk_fma_f32 v[2:3], v[208:209], v[60:61], v[2:3] op_sel_hi:[1,0,1]
	s_delay_alu instid0(VALU_DEP_1) | instskip(SKIP_1) | instid1(VALU_DEP_2)
	v_dual_mov_b32 v60, v0 :: v_dual_mov_b32 v61, v3
	s_wait_dscnt 0x4
	v_pk_mul_f32 v[32:33], v[4:5], v[2:3] op_sel:[0,1]
	v_pk_mul_f32 v[38:39], v[6:7], v[2:3] op_sel:[0,1]
	s_wait_dscnt 0x3
	v_pk_mul_f32 v[40:41], v[8:9], v[2:3] op_sel:[0,1]
	v_dual_mov_b32 v42, v11 :: v_dual_mov_b32 v43, v10
	v_dual_mul_f32 v52, v11, v3 :: v_dual_mul_f32 v76, v11, v0
	s_wait_dscnt 0x2
	v_pk_mul_f32 v[78:79], v[12:13], v[2:3] op_sel:[0,1]
	v_pk_mul_f32 v[210:211], v[14:15], v[2:3] op_sel:[0,1]
	v_pk_fma_f32 v[212:213], v[4:5], v[0:1], v[32:33] op_sel:[0,0,1] op_sel_hi:[1,1,0] neg_lo:[0,0,1] neg_hi:[0,0,1]
	v_pk_fma_f32 v[4:5], v[4:5], v[0:1], v[32:33] op_sel:[0,0,1] op_sel_hi:[1,0,0]
	v_pk_fma_f32 v[32:33], v[6:7], v[0:1], v[38:39] op_sel:[0,0,1] op_sel_hi:[1,1,0] neg_lo:[0,0,1] neg_hi:[0,0,1]
	v_pk_fma_f32 v[6:7], v[6:7], v[0:1], v[38:39] op_sel:[0,0,1] op_sel_hi:[1,0,0]
	;; [unrolled: 2-line block ×3, first 2 shown]
	v_pk_fma_f32 v[40:41], v[42:43], v[60:61], v[76:77] op_sel_hi:[1,1,0]
	v_pk_fma_f32 v[42:43], v[12:13], v[0:1], v[78:79] op_sel:[0,0,1] op_sel_hi:[1,1,0] neg_lo:[0,0,1] neg_hi:[0,0,1]
	v_pk_fma_f32 v[12:13], v[12:13], v[0:1], v[78:79] op_sel:[0,0,1] op_sel_hi:[1,0,0]
	v_dual_mov_b32 v213, v5 :: v_dual_mov_b32 v33, v7
	v_pk_fma_f32 v[4:5], v[14:15], v[0:1], v[210:211] op_sel:[0,0,1] op_sel_hi:[1,0,0]
	v_pk_fma_f32 v[6:7], v[14:15], v[0:1], v[210:211] op_sel:[0,0,1] op_sel_hi:[1,1,0] neg_lo:[0,0,1] neg_hi:[0,0,1]
	v_pk_fma_f32 v[10:11], v[10:11], v[60:61], v[52:53] op_sel_hi:[1,1,0] neg_lo:[0,0,1] neg_hi:[0,0,1]
	v_dual_mov_b32 v43, v13 :: v_dual_mov_b32 v39, v9
	s_delay_alu instid0(VALU_DEP_4)
	v_dual_mov_b32 v11, v41 :: v_dual_mov_b32 v7, v5
	s_wait_dscnt 0x1
	v_pk_mul_f32 v[8:9], v[18:19], v[2:3] op_sel:[0,1]
	v_pk_add_f32 v[28:29], v[28:29], v[32:33] neg_lo:[0,1] neg_hi:[0,1]
	s_wait_dscnt 0x0
	v_pk_mul_f32 v[32:33], v[24:25], v[2:3] op_sel:[0,1]
	v_pk_add_f32 v[26:27], v[26:27], v[10:11] neg_lo:[0,1] neg_hi:[0,1]
	v_pk_add_f32 v[46:47], v[46:47], v[6:7] neg_lo:[0,1] neg_hi:[0,1]
	ds_load_2addr_b64 v[4:7], v56 offset0:18 offset1:19
	v_pk_fma_f32 v[12:13], v[18:19], v[0:1], v[8:9] op_sel:[0,0,1] op_sel_hi:[1,0,0]
	v_pk_fma_f32 v[14:15], v[18:19], v[0:1], v[8:9] op_sel:[0,0,1] op_sel_hi:[1,1,0] neg_lo:[0,0,1] neg_hi:[0,0,1]
	ds_load_2addr_b64 v[8:11], v56 offset0:20 offset1:21
	v_pk_mul_f32 v[18:19], v[20:21], v[2:3] op_sel:[0,1]
	v_dual_mul_f32 v12, v23, v0 :: v_dual_mov_b32 v15, v13
	v_pk_add_f32 v[30:31], v[30:31], v[38:39] neg_lo:[0,1] neg_hi:[0,1]
	v_pk_add_f32 v[50:51], v[50:51], v[42:43] neg_lo:[0,1] neg_hi:[0,1]
	s_delay_alu instid0(VALU_DEP_4) | instskip(NEXT) | instid1(VALU_DEP_4)
	v_pk_fma_f32 v[38:39], v[20:21], v[0:1], v[18:19] op_sel:[0,0,1] op_sel_hi:[1,0,0]
	v_pk_fma_f32 v[12:13], v[22:23], v[60:61], v[12:13] op_sel:[1,0,0] op_sel_hi:[0,1,0]
	v_mul_f32_e32 v38, v23, v3
	v_pk_fma_f32 v[18:19], v[20:21], v[0:1], v[18:19] op_sel:[0,0,1] op_sel_hi:[1,1,0] neg_lo:[0,0,1] neg_hi:[0,0,1]
	v_pk_fma_f32 v[20:21], v[24:25], v[0:1], v[32:33] op_sel:[0,0,1] op_sel_hi:[1,0,0]
	v_mov_b32_e32 v19, v39
	v_pk_add_f32 v[48:49], v[48:49], v[14:15] neg_lo:[0,1] neg_hi:[0,1]
	v_pk_fma_f32 v[22:23], v[22:23], v[60:61], v[38:39] op_sel_hi:[1,1,0] neg_lo:[0,0,1] neg_hi:[0,0,1]
	v_mov_b32_e32 v23, v13
	v_pk_fma_f32 v[12:13], v[24:25], v[0:1], v[32:33] op_sel:[0,0,1] op_sel_hi:[1,1,0] neg_lo:[0,0,1] neg_hi:[0,0,1]
	v_mov_b32_e32 v13, v21
	v_pk_add_f32 v[44:45], v[44:45], v[18:19] neg_lo:[0,1] neg_hi:[0,1]
	s_wait_dscnt 0x1
	v_pk_mul_f32 v[18:19], v[4:5], v[2:3] op_sel:[0,1]
	v_pk_add_f32 v[74:75], v[74:75], v[22:23] neg_lo:[0,1] neg_hi:[0,1]
	s_wait_dscnt 0x0
	v_pk_mul_f32 v[24:25], v[8:9], v[2:3] op_sel:[0,1]
	v_pk_add_f32 v[70:71], v[70:71], v[12:13] neg_lo:[0,1] neg_hi:[0,1]
	ds_load_2addr_b64 v[12:15], v56 offset0:22 offset1:23
	v_pk_fma_f32 v[32:33], v[4:5], v[0:1], v[18:19] op_sel:[0,0,1] op_sel_hi:[1,0,0]
	v_pk_fma_f32 v[4:5], v[4:5], v[0:1], v[18:19] op_sel:[0,0,1] op_sel_hi:[1,1,0] neg_lo:[0,0,1] neg_hi:[0,0,1]
	ds_load_2addr_b64 v[18:21], v56 offset0:24 offset1:25
	v_pk_mul_f32 v[22:23], v[6:7], v[2:3] op_sel:[0,1]
	v_pk_fma_f32 v[40:41], v[8:9], v[0:1], v[24:25] op_sel:[0,0,1] op_sel_hi:[1,0,0]
	v_pk_fma_f32 v[8:9], v[8:9], v[0:1], v[24:25] op_sel:[0,0,1] op_sel_hi:[1,1,0] neg_lo:[0,0,1] neg_hi:[0,0,1]
	v_mul_f32_e32 v24, v11, v0
	v_pk_add_f32 v[84:85], v[84:85], v[212:213] neg_lo:[0,1] neg_hi:[0,1]
	v_pk_fma_f32 v[38:39], v[6:7], v[0:1], v[22:23] op_sel:[0,0,1] op_sel_hi:[1,0,0]
	v_pk_fma_f32 v[6:7], v[6:7], v[0:1], v[22:23] op_sel:[0,0,1] op_sel_hi:[1,1,0] neg_lo:[0,0,1] neg_hi:[0,0,1]
	v_dual_mov_b32 v9, v41 :: v_dual_mov_b32 v22, v11
	v_dual_mov_b32 v23, v10 :: v_dual_mov_b32 v5, v33
	s_delay_alu instid0(VALU_DEP_4) | instskip(NEXT) | instid1(VALU_DEP_3)
	v_mov_b32_e32 v7, v39
	v_pk_add_f32 v[96:97], v[96:97], v[8:9] neg_lo:[0,1] neg_hi:[0,1]
	s_delay_alu instid0(VALU_DEP_3)
	v_pk_fma_f32 v[8:9], v[22:23], v[60:61], v[24:25] op_sel_hi:[1,1,0]
	v_mul_f32_e32 v32, v11, v3
	v_pk_add_f32 v[72:73], v[72:73], v[4:5] neg_lo:[0,1] neg_hi:[0,1]
	v_pk_add_f32 v[68:69], v[68:69], v[6:7] neg_lo:[0,1] neg_hi:[0,1]
	s_wait_dscnt 0x1
	v_pk_mul_f32 v[24:25], v[12:13], v[2:3] op_sel:[0,1]
	ds_load_2addr_b64 v[4:7], v56 offset0:26 offset1:27
	v_pk_fma_f32 v[22:23], v[10:11], v[60:61], v[32:33] op_sel_hi:[1,1,0] neg_lo:[0,0,1] neg_hi:[0,0,1]
	v_pk_mul_f32 v[32:33], v[14:15], v[2:3] op_sel:[0,1]
	v_mov_b32_e32 v23, v9
	ds_load_2addr_b64 v[8:11], v56 offset0:28 offset1:29
	s_wait_dscnt 0x2
	v_pk_mul_f32 v[38:39], v[18:19], v[2:3] op_sel:[0,1]
	v_pk_fma_f32 v[40:41], v[12:13], v[0:1], v[24:25] op_sel:[0,0,1] op_sel_hi:[1,0,0]
	v_pk_fma_f32 v[42:43], v[14:15], v[0:1], v[32:33] op_sel:[0,0,1] op_sel_hi:[1,0,0]
	v_pk_fma_f32 v[12:13], v[12:13], v[0:1], v[24:25] op_sel:[0,0,1] op_sel_hi:[1,1,0] neg_lo:[0,0,1] neg_hi:[0,0,1]
	v_pk_fma_f32 v[14:15], v[14:15], v[0:1], v[32:33] op_sel:[0,0,1] op_sel_hi:[1,1,0] neg_lo:[0,0,1] neg_hi:[0,0,1]
	v_pk_fma_f32 v[24:25], v[18:19], v[0:1], v[38:39] op_sel:[0,0,1] op_sel_hi:[1,0,0]
	s_delay_alu instid0(VALU_DEP_4) | instskip(SKIP_2) | instid1(VALU_DEP_4)
	v_dual_mov_b32 v13, v41 :: v_dual_mov_b32 v15, v43
	v_pk_fma_f32 v[18:19], v[18:19], v[0:1], v[38:39] op_sel:[0,0,1] op_sel_hi:[1,1,0] neg_lo:[0,0,1] neg_hi:[0,0,1]
	v_pk_add_f32 v[92:93], v[92:93], v[22:23] neg_lo:[0,1] neg_hi:[0,1]
	v_mov_b32_e32 v19, v25
	v_pk_mul_f32 v[24:25], v[20:21], v[2:3] op_sel:[0,1]
	v_pk_add_f32 v[94:95], v[94:95], v[12:13] neg_lo:[0,1] neg_hi:[0,1]
	v_pk_add_f32 v[90:91], v[90:91], v[14:15] neg_lo:[0,1] neg_hi:[0,1]
	ds_load_2addr_b64 v[12:15], v56 offset0:30 offset1:31
	v_pk_add_f32 v[112:113], v[112:113], v[18:19] neg_lo:[0,1] neg_hi:[0,1]
	v_pk_fma_f32 v[18:19], v[20:21], v[0:1], v[24:25] op_sel:[0,0,1] op_sel_hi:[1,1,0] neg_lo:[0,0,1] neg_hi:[0,0,1]
	v_pk_fma_f32 v[20:21], v[20:21], v[0:1], v[24:25] op_sel:[0,0,1] op_sel_hi:[1,0,0]
	s_wait_dscnt 0x2
	v_dual_mul_f32 v20, v5, v0 :: v_dual_mul_f32 v24, v5, v3
	v_pk_mul_f32 v[22:23], v[6:7], v[2:3] op_sel:[0,1]
	s_wait_dscnt 0x1
	v_pk_mul_f32 v[32:33], v[8:9], v[2:3] op_sel:[0,1]
	v_mov_b32_e32 v19, v21
	v_pk_fma_f32 v[38:39], v[4:5], v[60:61], v[20:21] op_sel:[1,0,0] op_sel_hi:[0,1,0]
	v_pk_fma_f32 v[24:25], v[4:5], v[60:61], v[24:25] op_sel_hi:[1,1,0] neg_lo:[0,0,1] neg_hi:[0,0,1]
	v_pk_fma_f32 v[20:21], v[6:7], v[0:1], v[22:23] op_sel:[0,0,1] op_sel_hi:[1,0,0]
	v_pk_fma_f32 v[4:5], v[8:9], v[0:1], v[32:33] op_sel:[0,0,1] op_sel_hi:[1,0,0]
	v_pk_fma_f32 v[22:23], v[6:7], v[0:1], v[22:23] op_sel:[0,0,1] op_sel_hi:[1,1,0] neg_lo:[0,0,1] neg_hi:[0,0,1]
	v_pk_fma_f32 v[8:9], v[8:9], v[0:1], v[32:33] op_sel:[0,0,1] op_sel_hi:[1,1,0] neg_lo:[0,0,1] neg_hi:[0,0,1]
	s_delay_alu instid0(VALU_DEP_4) | instskip(NEXT) | instid1(VALU_DEP_4)
	v_dual_mov_b32 v25, v39 :: v_dual_mov_b32 v23, v21
	v_mov_b32_e32 v9, v5
	ds_load_2addr_b64 v[4:7], v56 offset0:32 offset1:33
	v_pk_mul_f32 v[32:33], v[10:11], v[2:3] op_sel:[0,1]
	v_pk_add_f32 v[108:109], v[108:109], v[18:19] neg_lo:[0,1] neg_hi:[0,1]
	v_pk_add_f32 v[106:107], v[106:107], v[22:23] neg_lo:[0,1] neg_hi:[0,1]
	s_wait_dscnt 0x1
	v_pk_mul_f32 v[22:23], v[12:13], v[2:3] op_sel:[0,1]
	v_pk_add_f32 v[110:111], v[110:111], v[24:25] neg_lo:[0,1] neg_hi:[0,1]
	ds_load_2addr_b64 v[18:21], v56 offset0:34 offset1:35
	v_mov_b32_e32 v24, v15
	v_pk_add_f32 v[128:129], v[128:129], v[8:9] neg_lo:[0,1] neg_hi:[0,1]
	v_pk_fma_f32 v[8:9], v[10:11], v[0:1], v[32:33] op_sel:[0,0,1] op_sel_hi:[1,0,0]
	v_dual_mov_b32 v25, v14 :: v_dual_mul_f32 v8, v15, v0
	v_pk_fma_f32 v[32:33], v[10:11], v[0:1], v[32:33] op_sel:[0,0,1] op_sel_hi:[1,1,0] neg_lo:[0,0,1] neg_hi:[0,0,1]
	v_pk_fma_f32 v[10:11], v[12:13], v[0:1], v[22:23] op_sel:[0,0,1] op_sel_hi:[1,0,0]
	s_delay_alu instid0(VALU_DEP_4) | instskip(NEXT) | instid1(VALU_DEP_4)
	v_dual_mul_f32 v10, v15, v3 :: v_dual_mov_b32 v33, v9
	v_pk_fma_f32 v[8:9], v[24:25], v[60:61], v[8:9] op_sel_hi:[1,1,0]
	v_pk_fma_f32 v[12:13], v[12:13], v[0:1], v[22:23] op_sel:[0,0,1] op_sel_hi:[1,1,0] neg_lo:[0,0,1] neg_hi:[0,0,1]
	s_delay_alu instid0(VALU_DEP_4) | instskip(NEXT) | instid1(VALU_DEP_4)
	v_mov_b32_e32 v13, v11
	v_pk_fma_f32 v[14:15], v[14:15], v[60:61], v[10:11] op_sel_hi:[1,1,0] neg_lo:[0,0,1] neg_hi:[0,0,1]
	s_wait_dscnt 0x1
	v_pk_mul_f32 v[22:23], v[4:5], v[2:3] op_sel:[0,1]
	v_mov_b32_e32 v15, v9
	ds_load_2addr_b64 v[8:11], v56 offset0:36 offset1:37
	v_pk_add_f32 v[124:125], v[124:125], v[32:33] neg_lo:[0,1] neg_hi:[0,1]
	v_pk_add_f32 v[126:127], v[126:127], v[12:13] neg_lo:[0,1] neg_hi:[0,1]
	v_pk_fma_f32 v[12:13], v[4:5], v[0:1], v[22:23] op_sel:[0,0,1] op_sel_hi:[1,0,0]
	v_pk_mul_f32 v[24:25], v[6:7], v[2:3] op_sel:[0,1]
	s_wait_dscnt 0x1
	v_pk_mul_f32 v[32:33], v[18:19], v[2:3] op_sel:[0,1]
	v_pk_fma_f32 v[4:5], v[4:5], v[0:1], v[22:23] op_sel:[0,0,1] op_sel_hi:[1,1,0] neg_lo:[0,0,1] neg_hi:[0,0,1]
	v_pk_add_f32 v[122:123], v[122:123], v[14:15] neg_lo:[0,1] neg_hi:[0,1]
	v_pk_fma_f32 v[22:23], v[6:7], v[0:1], v[24:25] op_sel:[0,0,1] op_sel_hi:[1,0,0]
	v_mov_b32_e32 v5, v13
	v_pk_fma_f32 v[38:39], v[18:19], v[0:1], v[32:33] op_sel:[0,0,1] op_sel_hi:[1,0,0]
	v_pk_fma_f32 v[6:7], v[6:7], v[0:1], v[24:25] op_sel:[0,0,1] op_sel_hi:[1,1,0] neg_lo:[0,0,1] neg_hi:[0,0,1]
	v_pk_mul_f32 v[24:25], v[20:21], v[2:3] op_sel:[0,1]
	ds_load_2addr_b64 v[12:15], v56 offset0:38 offset1:39
	v_pk_fma_f32 v[18:19], v[18:19], v[0:1], v[32:33] op_sel:[0,0,1] op_sel_hi:[1,1,0] neg_lo:[0,0,1] neg_hi:[0,0,1]
	v_dual_mov_b32 v7, v23 :: v_dual_mov_b32 v19, v39
	v_pk_add_f32 v[144:145], v[144:145], v[4:5] neg_lo:[0,1] neg_hi:[0,1]
	v_pk_fma_f32 v[4:5], v[20:21], v[0:1], v[24:25] op_sel:[0,0,1] op_sel_hi:[1,0,0]
	s_wait_dscnt 0x1
	v_mul_f32_e32 v4, v9, v0
	v_pk_add_f32 v[140:141], v[140:141], v[6:7] neg_lo:[0,1] neg_hi:[0,1]
	v_pk_add_f32 v[142:143], v[142:143], v[18:19] neg_lo:[0,1] neg_hi:[0,1]
	v_pk_fma_f32 v[18:19], v[20:21], v[0:1], v[24:25] op_sel:[0,0,1] op_sel_hi:[1,1,0] neg_lo:[0,0,1] neg_hi:[0,0,1]
	v_mul_f32_e32 v20, v9, v3
	v_pk_fma_f32 v[22:23], v[8:9], v[60:61], v[4:5] op_sel:[1,0,0] op_sel_hi:[0,1,0]
	v_mov_b32_e32 v19, v5
	ds_load_2addr_b64 v[4:7], v56 offset0:40 offset1:41
	v_pk_mul_f32 v[24:25], v[10:11], v[2:3] op_sel:[0,1]
	v_pk_fma_f32 v[8:9], v[8:9], v[60:61], v[20:21] op_sel_hi:[1,1,0] neg_lo:[0,0,1] neg_hi:[0,0,1]
	v_mov_b32_e32 v9, v23
	v_pk_add_f32 v[138:139], v[138:139], v[18:19] neg_lo:[0,1] neg_hi:[0,1]
	ds_load_2addr_b64 v[18:21], v56 offset0:42 offset1:43
	v_pk_fma_f32 v[22:23], v[10:11], v[0:1], v[24:25] op_sel:[0,0,1] op_sel_hi:[1,0,0]
	s_wait_dscnt 0x2
	v_pk_mul_f32 v[32:33], v[12:13], v[2:3] op_sel:[0,1]
	v_pk_mul_f32 v[38:39], v[14:15], v[2:3] op_sel:[0,1]
	v_pk_fma_f32 v[10:11], v[10:11], v[0:1], v[24:25] op_sel:[0,0,1] op_sel_hi:[1,1,0] neg_lo:[0,0,1] neg_hi:[0,0,1]
	v_pk_add_f32 v[164:165], v[164:165], v[8:9] neg_lo:[0,1] neg_hi:[0,1]
	v_mov_b32_e32 v11, v23
	v_pk_fma_f32 v[40:41], v[12:13], v[0:1], v[32:33] op_sel:[0,0,1] op_sel_hi:[1,0,0]
	v_pk_fma_f32 v[22:23], v[14:15], v[0:1], v[38:39] op_sel:[0,0,1] op_sel_hi:[1,0,0]
	v_pk_fma_f32 v[12:13], v[12:13], v[0:1], v[32:33] op_sel:[0,0,1] op_sel_hi:[1,1,0] neg_lo:[0,0,1] neg_hi:[0,0,1]
	v_pk_fma_f32 v[14:15], v[14:15], v[0:1], v[38:39] op_sel:[0,0,1] op_sel_hi:[1,1,0] neg_lo:[0,0,1] neg_hi:[0,0,1]
	v_pk_add_f32 v[160:161], v[160:161], v[10:11] neg_lo:[0,1] neg_hi:[0,1]
	ds_load_2addr_b64 v[8:11], v56 offset0:44 offset1:45
	v_dual_mov_b32 v13, v41 :: v_dual_mov_b32 v15, v23
	s_wait_dscnt 0x2
	v_pk_mul_f32 v[22:23], v[4:5], v[2:3] op_sel:[0,1]
	v_dual_mov_b32 v24, v7 :: v_dual_mov_b32 v25, v6
	v_mul_f32_e32 v32, v7, v0
	v_pk_add_f32 v[162:163], v[162:163], v[12:13] neg_lo:[0,1] neg_hi:[0,1]
	s_delay_alu instid0(VALU_DEP_4)
	v_pk_fma_f32 v[38:39], v[4:5], v[0:1], v[22:23] op_sel:[0,0,1] op_sel_hi:[1,0,0]
	v_mul_f32_e32 v38, v7, v3
	v_pk_add_f32 v[158:159], v[158:159], v[14:15] neg_lo:[0,1] neg_hi:[0,1]
	s_wait_dscnt 0x1
	v_pk_mul_f32 v[40:41], v[18:19], v[2:3] op_sel:[0,1]
	ds_load_2addr_b64 v[12:15], v56 offset0:46 offset1:47
	v_pk_fma_f32 v[24:25], v[24:25], v[60:61], v[32:33] op_sel_hi:[1,1,0]
	v_pk_fma_f32 v[4:5], v[4:5], v[0:1], v[22:23] op_sel:[0,0,1] op_sel_hi:[1,1,0] neg_lo:[0,0,1] neg_hi:[0,0,1]
	v_pk_fma_f32 v[6:7], v[6:7], v[60:61], v[38:39] op_sel_hi:[1,1,0] neg_lo:[0,0,1] neg_hi:[0,0,1]
	v_mov_b32_e32 v5, v39
	v_pk_fma_f32 v[22:23], v[18:19], v[0:1], v[40:41] op_sel:[0,0,1] op_sel_hi:[1,0,0]
	v_mov_b32_e32 v7, v25
	v_pk_mul_f32 v[24:25], v[20:21], v[2:3] op_sel:[0,1]
	v_pk_fma_f32 v[18:19], v[18:19], v[0:1], v[40:41] op_sel:[0,0,1] op_sel_hi:[1,1,0] neg_lo:[0,0,1] neg_hi:[0,0,1]
	v_pk_add_f32 v[188:189], v[188:189], v[4:5] neg_lo:[0,1] neg_hi:[0,1]
	v_mov_b32_e32 v19, v23
	s_wait_dscnt 0x1
	v_pk_mul_f32 v[4:5], v[8:9], v[2:3] op_sel:[0,1]
	v_pk_fma_f32 v[22:23], v[20:21], v[0:1], v[24:25] op_sel:[0,0,1] op_sel_hi:[1,0,0]
	v_pk_add_f32 v[182:183], v[182:183], v[6:7] neg_lo:[0,1] neg_hi:[0,1]
	v_pk_fma_f32 v[6:7], v[20:21], v[0:1], v[24:25] op_sel:[0,0,1] op_sel_hi:[1,1,0] neg_lo:[0,0,1] neg_hi:[0,0,1]
	v_pk_mul_f32 v[20:21], v[10:11], v[2:3] op_sel:[0,1]
	s_delay_alu instid0(VALU_DEP_4)
	v_mov_b32_e32 v7, v23
	v_pk_add_f32 v[186:187], v[186:187], v[18:19] neg_lo:[0,1] neg_hi:[0,1]
	v_pk_fma_f32 v[18:19], v[8:9], v[0:1], v[4:5] op_sel:[0,0,1] op_sel_hi:[1,0,0]
	v_pk_fma_f32 v[4:5], v[8:9], v[0:1], v[4:5] op_sel:[0,0,1] op_sel_hi:[1,1,0] neg_lo:[0,0,1] neg_hi:[0,0,1]
	s_wait_dscnt 0x0
	v_mul_f32_e32 v8, v13, v0
	v_pk_fma_f32 v[22:23], v[10:11], v[0:1], v[20:21] op_sel:[0,0,1] op_sel_hi:[1,0,0]
	v_pk_fma_f32 v[10:11], v[10:11], v[0:1], v[20:21] op_sel:[0,0,1] op_sel_hi:[1,1,0] neg_lo:[0,0,1] neg_hi:[0,0,1]
	v_mov_b32_e32 v5, v19
	v_pk_mul_f32 v[18:19], v[14:15], v[2:3] op_sel:[0,1]
	s_delay_alu instid0(VALU_DEP_4) | instskip(SKIP_2) | instid1(VALU_DEP_4)
	v_dual_mul_f32 v2, v13, v3 :: v_dual_mov_b32 v11, v23
	v_pk_fma_f32 v[8:9], v[12:13], v[60:61], v[8:9] op_sel:[1,0,0] op_sel_hi:[0,1,0]
	v_pk_add_f32 v[180:181], v[180:181], v[6:7] neg_lo:[0,1] neg_hi:[0,1]
	v_pk_fma_f32 v[20:21], v[14:15], v[0:1], v[18:19] op_sel:[0,0,1] op_sel_hi:[1,0,0]
	s_delay_alu instid0(VALU_DEP_4)
	v_pk_fma_f32 v[2:3], v[12:13], v[60:61], v[2:3] op_sel_hi:[1,1,0] neg_lo:[0,0,1] neg_hi:[0,0,1]
	v_pk_fma_f32 v[0:1], v[14:15], v[0:1], v[18:19] op_sel:[0,0,1] op_sel_hi:[1,1,0] neg_lo:[0,0,1] neg_hi:[0,0,1]
	v_mov_b32_e32 v3, v9
	v_pk_add_f32 v[184:185], v[184:185], v[4:5] neg_lo:[0,1] neg_hi:[0,1]
	v_mov_b32_e32 v1, v21
	v_pk_add_f32 v[178:179], v[178:179], v[10:11] neg_lo:[0,1] neg_hi:[0,1]
	s_delay_alu instid0(VALU_DEP_4) | instskip(NEXT) | instid1(VALU_DEP_3)
	v_pk_add_f32 v[190:191], v[190:191], v[2:3] neg_lo:[0,1] neg_hi:[0,1]
	v_pk_add_f32 v[192:193], v[192:193], v[0:1] neg_lo:[0,1] neg_hi:[0,1]
.LBB95_73:
	s_or_b32 exec_lo, exec_lo, s1
	s_delay_alu instid0(SALU_CYCLE_1)
	s_mov_b32 s2, exec_lo
	s_wait_dscnt 0x0
	s_barrier_signal -1
	s_barrier_wait -1
	v_cmpx_eq_u32_e32 8, v54
	s_cbranch_execz .LBB95_80
; %bb.74:
	ds_store_b64 v55, v[84:85]
	ds_store_2addr_b64 v56, v[28:29], v[30:31] offset0:9 offset1:10
	ds_store_2addr_b64 v56, v[26:27], v[50:51] offset0:11 offset1:12
	ds_store_2addr_b64 v56, v[46:47], v[48:49] offset0:13 offset1:14
	ds_store_2addr_b64 v56, v[44:45], v[74:75] offset0:15 offset1:16
	ds_store_2addr_b64 v56, v[70:71], v[72:73] offset0:17 offset1:18
	ds_store_2addr_b64 v56, v[68:69], v[96:97] offset0:19 offset1:20
	ds_store_2addr_b64 v56, v[92:93], v[94:95] offset0:21 offset1:22
	ds_store_2addr_b64 v56, v[90:91], v[112:113] offset0:23 offset1:24
	ds_store_2addr_b64 v56, v[108:109], v[110:111] offset0:25 offset1:26
	ds_store_2addr_b64 v56, v[106:107], v[128:129] offset0:27 offset1:28
	ds_store_2addr_b64 v56, v[124:125], v[126:127] offset0:29 offset1:30
	ds_store_2addr_b64 v56, v[122:123], v[144:145] offset0:31 offset1:32
	ds_store_2addr_b64 v56, v[140:141], v[142:143] offset0:33 offset1:34
	ds_store_2addr_b64 v56, v[138:139], v[164:165] offset0:35 offset1:36
	ds_store_2addr_b64 v56, v[160:161], v[162:163] offset0:37 offset1:38
	ds_store_2addr_b64 v56, v[158:159], v[188:189] offset0:39 offset1:40
	ds_store_2addr_b64 v56, v[182:183], v[186:187] offset0:41 offset1:42
	ds_store_2addr_b64 v56, v[180:181], v[184:185] offset0:43 offset1:44
	ds_store_2addr_b64 v56, v[178:179], v[190:191] offset0:45 offset1:46
	ds_store_b64 v56, v[192:193] offset:376
	ds_load_b64 v[0:1], v55
	s_wait_dscnt 0x0
	v_cmp_neq_f32_e32 vcc_lo, 0, v0
	v_cmp_neq_f32_e64 s1, 0, v1
	s_or_b32 s1, vcc_lo, s1
	s_delay_alu instid0(SALU_CYCLE_1)
	s_and_b32 exec_lo, exec_lo, s1
	s_cbranch_execz .LBB95_80
; %bb.75:
	v_cmp_ngt_f32_e64 s1, |v0|, |v1|
                                        ; implicit-def: $vgpr2_vgpr3
	s_and_saveexec_b32 s4, s1
	s_delay_alu instid0(SALU_CYCLE_1)
	s_xor_b32 s1, exec_lo, s4
	s_cbranch_execz .LBB95_77
; %bb.76:
	v_div_scale_f32 v2, null, v1, v1, v0
	v_div_scale_f32 v5, vcc_lo, v0, v1, v0
	s_delay_alu instid0(VALU_DEP_2) | instskip(SKIP_1) | instid1(TRANS32_DEP_1)
	v_rcp_f32_e32 v3, v2
	v_nop
	v_fma_f32 v4, -v2, v3, 1.0
	s_delay_alu instid0(VALU_DEP_1) | instskip(NEXT) | instid1(VALU_DEP_1)
	v_fmac_f32_e32 v3, v4, v3
	v_mul_f32_e32 v4, v5, v3
	s_delay_alu instid0(VALU_DEP_1) | instskip(NEXT) | instid1(VALU_DEP_1)
	v_fma_f32 v6, -v2, v4, v5
	v_fmac_f32_e32 v4, v6, v3
	s_delay_alu instid0(VALU_DEP_1) | instskip(NEXT) | instid1(VALU_DEP_1)
	v_fma_f32 v2, -v2, v4, v5
	v_div_fmas_f32 v2, v2, v3, v4
	s_delay_alu instid0(VALU_DEP_1) | instskip(NEXT) | instid1(VALU_DEP_1)
	v_div_fixup_f32 v2, v2, v1, v0
	v_fmac_f32_e32 v1, v0, v2
	s_delay_alu instid0(VALU_DEP_1) | instskip(SKIP_1) | instid1(VALU_DEP_2)
	v_div_scale_f32 v0, null, v1, v1, 1.0
	v_div_scale_f32 v5, vcc_lo, 1.0, v1, 1.0
	v_rcp_f32_e32 v3, v0
	v_nop
	s_delay_alu instid0(TRANS32_DEP_1) | instskip(NEXT) | instid1(VALU_DEP_1)
	v_fma_f32 v4, -v0, v3, 1.0
	v_fmac_f32_e32 v3, v4, v3
	s_delay_alu instid0(VALU_DEP_1) | instskip(NEXT) | instid1(VALU_DEP_1)
	v_mul_f32_e32 v4, v5, v3
	v_fma_f32 v6, -v0, v4, v5
	s_delay_alu instid0(VALU_DEP_1) | instskip(NEXT) | instid1(VALU_DEP_1)
	v_fmac_f32_e32 v4, v6, v3
	v_fma_f32 v0, -v0, v4, v5
	s_delay_alu instid0(VALU_DEP_1) | instskip(NEXT) | instid1(VALU_DEP_1)
	v_div_fmas_f32 v0, v0, v3, v4
	v_div_fixup_f32 v0, v0, v1, 1.0
	s_delay_alu instid0(VALU_DEP_1)
	v_mul_f32_e32 v2, v2, v0
	v_xor_b32_e32 v3, 0x80000000, v0
                                        ; implicit-def: $vgpr0_vgpr1
.LBB95_77:
	s_and_not1_saveexec_b32 s1, s1
	s_cbranch_execz .LBB95_79
; %bb.78:
	v_div_scale_f32 v2, null, v0, v0, v1
	v_div_scale_f32 v5, vcc_lo, v1, v0, v1
	s_delay_alu instid0(VALU_DEP_2) | instskip(SKIP_1) | instid1(TRANS32_DEP_1)
	v_rcp_f32_e32 v3, v2
	v_nop
	v_fma_f32 v4, -v2, v3, 1.0
	s_delay_alu instid0(VALU_DEP_1) | instskip(NEXT) | instid1(VALU_DEP_1)
	v_fmac_f32_e32 v3, v4, v3
	v_mul_f32_e32 v4, v5, v3
	s_delay_alu instid0(VALU_DEP_1) | instskip(NEXT) | instid1(VALU_DEP_1)
	v_fma_f32 v6, -v2, v4, v5
	v_fmac_f32_e32 v4, v6, v3
	s_delay_alu instid0(VALU_DEP_1) | instskip(NEXT) | instid1(VALU_DEP_1)
	v_fma_f32 v2, -v2, v4, v5
	v_div_fmas_f32 v2, v2, v3, v4
	s_delay_alu instid0(VALU_DEP_1) | instskip(NEXT) | instid1(VALU_DEP_1)
	v_div_fixup_f32 v3, v2, v0, v1
	v_fmac_f32_e32 v0, v1, v3
	s_delay_alu instid0(VALU_DEP_1) | instskip(NEXT) | instid1(VALU_DEP_1)
	v_div_scale_f32 v1, null, v0, v0, 1.0
	v_rcp_f32_e32 v2, v1
	v_nop
	s_delay_alu instid0(TRANS32_DEP_1) | instskip(NEXT) | instid1(VALU_DEP_1)
	v_fma_f32 v4, -v1, v2, 1.0
	v_fmac_f32_e32 v2, v4, v2
	v_div_scale_f32 v4, vcc_lo, 1.0, v0, 1.0
	s_delay_alu instid0(VALU_DEP_1) | instskip(NEXT) | instid1(VALU_DEP_1)
	v_mul_f32_e32 v5, v4, v2
	v_fma_f32 v6, -v1, v5, v4
	s_delay_alu instid0(VALU_DEP_1) | instskip(NEXT) | instid1(VALU_DEP_1)
	v_fmac_f32_e32 v5, v6, v2
	v_fma_f32 v1, -v1, v5, v4
	s_delay_alu instid0(VALU_DEP_1) | instskip(NEXT) | instid1(VALU_DEP_1)
	v_div_fmas_f32 v1, v1, v2, v5
	v_div_fixup_f32 v2, v1, v0, 1.0
	s_delay_alu instid0(VALU_DEP_1)
	v_mul_f32_e64 v3, v3, -v2
.LBB95_79:
	s_or_b32 exec_lo, exec_lo, s1
	ds_store_b64 v55, v[2:3]
.LBB95_80:
	s_or_b32 exec_lo, exec_lo, s2
	s_wait_dscnt 0x0
	s_barrier_signal -1
	s_barrier_wait -1
	ds_load_b64 v[210:211], v55
	s_mov_b32 s1, exec_lo
	v_cmpx_lt_u32_e32 8, v54
	s_cbranch_execz .LBB95_82
; %bb.81:
	ds_load_2addr_b64 v[4:7], v56 offset0:9 offset1:10
	ds_load_2addr_b64 v[8:11], v56 offset0:11 offset1:12
	ds_load_2addr_b64 v[12:15], v56 offset0:13 offset1:14
	s_wait_dscnt 0x3
	v_pk_mul_f32 v[2:3], v[210:211], v[84:85] op_sel:[1,1] op_sel_hi:[0,1]
	ds_load_2addr_b64 v[18:21], v56 offset0:15 offset1:16
	ds_load_2addr_b64 v[22:25], v56 offset0:17 offset1:18
	v_pk_fma_f32 v[0:1], v[210:211], v[84:85], v[2:3] op_sel_hi:[1,0,1] neg_lo:[0,0,1] neg_hi:[0,0,1]
	v_pk_fma_f32 v[2:3], v[210:211], v[84:85], v[2:3] op_sel_hi:[1,0,1]
	s_delay_alu instid0(VALU_DEP_1) | instskip(SKIP_1) | instid1(VALU_DEP_2)
	v_dual_mov_b32 v84, v0 :: v_dual_mov_b32 v85, v3
	s_wait_dscnt 0x4
	v_pk_mul_f32 v[32:33], v[4:5], v[2:3] op_sel:[0,1]
	v_pk_mul_f32 v[38:39], v[6:7], v[2:3] op_sel:[0,1]
	s_wait_dscnt 0x3
	v_pk_mul_f32 v[40:41], v[8:9], v[2:3] op_sel:[0,1]
	v_dual_mov_b32 v42, v11 :: v_dual_mov_b32 v43, v10
	v_dual_mul_f32 v52, v11, v3 :: v_dual_mul_f32 v76, v11, v0
	v_pk_fma_f32 v[214:215], v[4:5], v[0:1], v[32:33] op_sel:[0,0,1] op_sel_hi:[1,1,0] neg_lo:[0,0,1] neg_hi:[0,0,1]
	v_pk_fma_f32 v[4:5], v[4:5], v[0:1], v[32:33] op_sel:[0,0,1] op_sel_hi:[1,0,0]
	v_pk_fma_f32 v[32:33], v[6:7], v[0:1], v[38:39] op_sel:[0,0,1] op_sel_hi:[1,1,0] neg_lo:[0,0,1] neg_hi:[0,0,1]
	v_pk_fma_f32 v[6:7], v[6:7], v[0:1], v[38:39] op_sel:[0,0,1] op_sel_hi:[1,0,0]
	;; [unrolled: 2-line block ×3, first 2 shown]
	v_pk_fma_f32 v[40:41], v[42:43], v[84:85], v[76:77] op_sel_hi:[1,1,0]
	s_wait_dscnt 0x2
	v_pk_mul_f32 v[78:79], v[12:13], v[2:3] op_sel:[0,1]
	v_dual_mov_b32 v215, v5 :: v_dual_mov_b32 v33, v7
	ds_load_2addr_b64 v[4:7], v56 offset0:19 offset1:20
	v_pk_fma_f32 v[10:11], v[10:11], v[84:85], v[52:53] op_sel_hi:[1,1,0] neg_lo:[0,0,1] neg_hi:[0,0,1]
	v_dual_mov_b32 v39, v9 :: v_dual_mov_b32 v11, v41
	v_pk_mul_f32 v[212:213], v[14:15], v[2:3] op_sel:[0,1]
	v_pk_fma_f32 v[8:9], v[12:13], v[0:1], v[78:79] op_sel:[0,0,1] op_sel_hi:[1,0,0]
	v_pk_add_f32 v[30:31], v[30:31], v[32:33] neg_lo:[0,1] neg_hi:[0,1]
	s_wait_dscnt 0x2
	v_pk_mul_f32 v[32:33], v[18:19], v[2:3] op_sel:[0,1]
	v_pk_add_f32 v[50:51], v[50:51], v[10:11] neg_lo:[0,1] neg_hi:[0,1]
	v_pk_fma_f32 v[10:11], v[12:13], v[0:1], v[78:79] op_sel:[0,0,1] op_sel_hi:[1,1,0] neg_lo:[0,0,1] neg_hi:[0,0,1]
	v_pk_fma_f32 v[12:13], v[14:15], v[0:1], v[212:213] op_sel:[0,0,1] op_sel_hi:[1,0,0]
	v_mov_b32_e32 v11, v9
	v_pk_add_f32 v[26:27], v[26:27], v[38:39] neg_lo:[0,1] neg_hi:[0,1]
	v_pk_fma_f32 v[8:9], v[14:15], v[0:1], v[212:213] op_sel:[0,0,1] op_sel_hi:[1,1,0] neg_lo:[0,0,1] neg_hi:[0,0,1]
	v_pk_mul_f32 v[14:15], v[20:21], v[2:3] op_sel:[0,1]
	v_pk_fma_f32 v[38:39], v[18:19], v[0:1], v[32:33] op_sel:[0,0,1] op_sel_hi:[1,0,0]
	v_mov_b32_e32 v9, v13
	v_pk_add_f32 v[46:47], v[46:47], v[10:11] neg_lo:[0,1] neg_hi:[0,1]
	v_pk_fma_f32 v[10:11], v[18:19], v[0:1], v[32:33] op_sel:[0,0,1] op_sel_hi:[1,1,0] neg_lo:[0,0,1] neg_hi:[0,0,1]
	v_pk_fma_f32 v[12:13], v[20:21], v[0:1], v[14:15] op_sel:[0,0,1] op_sel_hi:[1,0,0]
	v_mov_b32_e32 v11, v39
	s_wait_dscnt 0x1
	v_dual_mul_f32 v12, v23, v0 :: v_dual_mul_f32 v18, v23, v3
	v_pk_fma_f32 v[14:15], v[20:21], v[0:1], v[14:15] op_sel:[0,0,1] op_sel_hi:[1,1,0] neg_lo:[0,0,1] neg_hi:[0,0,1]
	v_pk_add_f32 v[48:49], v[48:49], v[8:9] neg_lo:[0,1] neg_hi:[0,1]
	v_mov_b32_e32 v15, v13
	v_pk_add_f32 v[44:45], v[44:45], v[10:11] neg_lo:[0,1] neg_hi:[0,1]
	ds_load_2addr_b64 v[8:11], v56 offset0:21 offset1:22
	v_pk_fma_f32 v[12:13], v[22:23], v[84:85], v[12:13] op_sel:[1,0,0] op_sel_hi:[0,1,0]
	v_pk_mul_f32 v[20:21], v[24:25], v[2:3] op_sel:[0,1]
	s_wait_dscnt 0x1
	v_pk_mul_f32 v[32:33], v[4:5], v[2:3] op_sel:[0,1]
	v_pk_fma_f32 v[18:19], v[22:23], v[84:85], v[18:19] op_sel_hi:[1,1,0] neg_lo:[0,0,1] neg_hi:[0,0,1]
	v_pk_mul_f32 v[22:23], v[6:7], v[2:3] op_sel:[0,1]
	v_pk_add_f32 v[74:75], v[74:75], v[14:15] neg_lo:[0,1] neg_hi:[0,1]
	v_pk_fma_f32 v[38:39], v[24:25], v[0:1], v[20:21] op_sel:[0,0,1] op_sel_hi:[1,0,0]
	v_mov_b32_e32 v19, v13
	v_pk_fma_f32 v[40:41], v[4:5], v[0:1], v[32:33] op_sel:[0,0,1] op_sel_hi:[1,0,0]
	ds_load_2addr_b64 v[12:15], v56 offset0:23 offset1:24
	v_pk_fma_f32 v[20:21], v[24:25], v[0:1], v[20:21] op_sel:[0,0,1] op_sel_hi:[1,1,0] neg_lo:[0,0,1] neg_hi:[0,0,1]
	v_pk_fma_f32 v[24:25], v[6:7], v[0:1], v[22:23] op_sel:[0,0,1] op_sel_hi:[1,0,0]
	v_pk_fma_f32 v[4:5], v[4:5], v[0:1], v[32:33] op_sel:[0,0,1] op_sel_hi:[1,1,0] neg_lo:[0,0,1] neg_hi:[0,0,1]
	v_pk_fma_f32 v[6:7], v[6:7], v[0:1], v[22:23] op_sel:[0,0,1] op_sel_hi:[1,1,0] neg_lo:[0,0,1] neg_hi:[0,0,1]
	v_dual_mov_b32 v5, v41 :: v_dual_mov_b32 v21, v39
	s_delay_alu instid0(VALU_DEP_4) | instskip(SKIP_2) | instid1(VALU_DEP_4)
	v_mov_b32_e32 v7, v25
	v_pk_add_f32 v[70:71], v[70:71], v[18:19] neg_lo:[0,1] neg_hi:[0,1]
	v_pk_add_f32 v[28:29], v[28:29], v[214:215] neg_lo:[0,1] neg_hi:[0,1]
	;; [unrolled: 1-line block ×3, first 2 shown]
	s_wait_dscnt 0x1
	v_pk_mul_f32 v[18:19], v[8:9], v[2:3] op_sel:[0,1]
	v_pk_add_f32 v[96:97], v[96:97], v[6:7] neg_lo:[0,1] neg_hi:[0,1]
	ds_load_2addr_b64 v[4:7], v56 offset0:25 offset1:26
	v_dual_mov_b32 v24, v11 :: v_dual_mov_b32 v25, v10
	v_pk_fma_f32 v[22:23], v[8:9], v[0:1], v[18:19] op_sel:[0,0,1] op_sel_hi:[1,1,0] neg_lo:[0,0,1] neg_hi:[0,0,1]
	v_pk_fma_f32 v[8:9], v[8:9], v[0:1], v[18:19] op_sel:[0,0,1] op_sel_hi:[1,0,0]
	v_dual_mul_f32 v8, v11, v0 :: v_dual_mul_f32 v32, v11, v3
	s_wait_dscnt 0x1
	v_pk_mul_f32 v[38:39], v[12:13], v[2:3] op_sel:[0,1]
	v_pk_add_f32 v[72:73], v[72:73], v[20:21] neg_lo:[0,1] neg_hi:[0,1]
	v_pk_mul_f32 v[40:41], v[14:15], v[2:3] op_sel:[0,1]
	ds_load_2addr_b64 v[18:21], v56 offset0:27 offset1:28
	v_pk_fma_f32 v[24:25], v[24:25], v[84:85], v[8:9] op_sel_hi:[1,1,0]
	v_mov_b32_e32 v23, v9
	v_pk_fma_f32 v[8:9], v[12:13], v[0:1], v[38:39] op_sel:[0,0,1] op_sel_hi:[1,0,0]
	v_pk_fma_f32 v[10:11], v[10:11], v[84:85], v[32:33] op_sel_hi:[1,1,0] neg_lo:[0,0,1] neg_hi:[0,0,1]
	v_pk_fma_f32 v[32:33], v[14:15], v[0:1], v[40:41] op_sel:[0,0,1] op_sel_hi:[1,0,0]
	v_pk_fma_f32 v[12:13], v[12:13], v[0:1], v[38:39] op_sel:[0,0,1] op_sel_hi:[1,1,0] neg_lo:[0,0,1] neg_hi:[0,0,1]
	s_delay_alu instid0(VALU_DEP_4)
	v_dual_mov_b32 v11, v25 :: v_dual_mov_b32 v13, v9
	v_pk_fma_f32 v[8:9], v[14:15], v[0:1], v[40:41] op_sel:[0,0,1] op_sel_hi:[1,1,0] neg_lo:[0,0,1] neg_hi:[0,0,1]
	s_wait_dscnt 0x1
	v_pk_mul_f32 v[14:15], v[4:5], v[2:3] op_sel:[0,1]
	v_mov_b32_e32 v9, v33
	v_pk_add_f32 v[92:93], v[92:93], v[22:23] neg_lo:[0,1] neg_hi:[0,1]
	v_pk_add_f32 v[90:91], v[90:91], v[12:13] neg_lo:[0,1] neg_hi:[0,1]
	v_pk_mul_f32 v[24:25], v[6:7], v[2:3] op_sel:[0,1]
	v_pk_fma_f32 v[22:23], v[4:5], v[0:1], v[14:15] op_sel:[0,0,1] op_sel_hi:[1,0,0]
	v_pk_fma_f32 v[4:5], v[4:5], v[0:1], v[14:15] op_sel:[0,0,1] op_sel_hi:[1,1,0] neg_lo:[0,0,1] neg_hi:[0,0,1]
	ds_load_2addr_b64 v[12:15], v56 offset0:31 offset1:32
	v_pk_add_f32 v[94:95], v[94:95], v[10:11] neg_lo:[0,1] neg_hi:[0,1]
	v_pk_add_f32 v[112:113], v[112:113], v[8:9] neg_lo:[0,1] neg_hi:[0,1]
	ds_load_2addr_b64 v[8:11], v56 offset0:29 offset1:30
	v_pk_fma_f32 v[38:39], v[6:7], v[0:1], v[24:25] op_sel:[0,0,1] op_sel_hi:[1,0,0]
	s_wait_dscnt 0x2
	v_dual_mul_f32 v22, v19, v0 :: v_dual_mul_f32 v38, v19, v3
	v_pk_fma_f32 v[6:7], v[6:7], v[0:1], v[24:25] op_sel:[0,0,1] op_sel_hi:[1,1,0] neg_lo:[0,0,1] neg_hi:[0,0,1]
	s_delay_alu instid0(VALU_DEP_3) | instskip(SKIP_1) | instid1(VALU_DEP_4)
	v_dual_mov_b32 v5, v23 :: v_dual_mov_b32 v7, v39
	v_pk_mul_f32 v[32:33], v[20:21], v[2:3] op_sel:[0,1]
	v_pk_fma_f32 v[22:23], v[18:19], v[84:85], v[22:23] op_sel:[1,0,0] op_sel_hi:[0,1,0]
	v_pk_fma_f32 v[18:19], v[18:19], v[84:85], v[38:39] op_sel_hi:[1,1,0] neg_lo:[0,0,1] neg_hi:[0,0,1]
	s_delay_alu instid0(VALU_DEP_4)
	v_pk_add_f32 v[108:109], v[108:109], v[4:5] neg_lo:[0,1] neg_hi:[0,1]
	v_pk_add_f32 v[110:111], v[110:111], v[6:7] neg_lo:[0,1] neg_hi:[0,1]
	v_pk_fma_f32 v[24:25], v[20:21], v[0:1], v[32:33] op_sel:[0,0,1] op_sel_hi:[1,0,0]
	ds_load_2addr_b64 v[4:7], v56 offset0:33 offset1:34
	v_mov_b32_e32 v19, v23
	v_pk_fma_f32 v[20:21], v[20:21], v[0:1], v[32:33] op_sel:[0,0,1] op_sel_hi:[1,1,0] neg_lo:[0,0,1] neg_hi:[0,0,1]
	v_mov_b32_e32 v21, v25
	s_wait_dscnt 0x2
	v_pk_mul_f32 v[24:25], v[12:13], v[2:3] op_sel:[0,1]
	v_pk_add_f32 v[106:107], v[106:107], v[18:19] neg_lo:[0,1] neg_hi:[0,1]
	s_wait_dscnt 0x1
	v_pk_mul_f32 v[18:19], v[8:9], v[2:3] op_sel:[0,1]
	v_pk_mul_f32 v[22:23], v[10:11], v[2:3] op_sel:[0,1]
	v_pk_add_f32 v[128:129], v[128:129], v[20:21] neg_lo:[0,1] neg_hi:[0,1]
	v_pk_fma_f32 v[40:41], v[12:13], v[0:1], v[24:25] op_sel:[0,0,1] op_sel_hi:[1,0,0]
	v_pk_fma_f32 v[12:13], v[12:13], v[0:1], v[24:25] op_sel:[0,0,1] op_sel_hi:[1,1,0] neg_lo:[0,0,1] neg_hi:[0,0,1]
	v_pk_fma_f32 v[32:33], v[8:9], v[0:1], v[18:19] op_sel:[0,0,1] op_sel_hi:[1,0,0]
	v_pk_fma_f32 v[8:9], v[8:9], v[0:1], v[18:19] op_sel:[0,0,1] op_sel_hi:[1,1,0] neg_lo:[0,0,1] neg_hi:[0,0,1]
	ds_load_2addr_b64 v[18:21], v56 offset0:35 offset1:36
	v_pk_fma_f32 v[38:39], v[10:11], v[0:1], v[22:23] op_sel:[0,0,1] op_sel_hi:[1,0,0]
	v_pk_fma_f32 v[10:11], v[10:11], v[0:1], v[22:23] op_sel:[0,0,1] op_sel_hi:[1,1,0] neg_lo:[0,0,1] neg_hi:[0,0,1]
	v_dual_mov_b32 v13, v41 :: v_dual_mov_b32 v22, v15
	v_dual_mov_b32 v23, v14 :: v_dual_mul_f32 v24, v15, v0
	s_delay_alu instid0(VALU_DEP_4) | instskip(NEXT) | instid1(VALU_DEP_3)
	v_dual_mov_b32 v9, v33 :: v_dual_mov_b32 v11, v39
	v_pk_add_f32 v[122:123], v[122:123], v[12:13] neg_lo:[0,1] neg_hi:[0,1]
	s_wait_dscnt 0x1
	v_pk_mul_f32 v[32:33], v[6:7], v[2:3] op_sel:[0,1]
	v_pk_fma_f32 v[22:23], v[22:23], v[84:85], v[24:25] op_sel_hi:[1,1,0]
	v_pk_mul_f32 v[24:25], v[4:5], v[2:3] op_sel:[0,1]
	v_pk_add_f32 v[124:125], v[124:125], v[8:9] neg_lo:[0,1] neg_hi:[0,1]
	v_pk_add_f32 v[126:127], v[126:127], v[10:11] neg_lo:[0,1] neg_hi:[0,1]
	ds_load_2addr_b64 v[8:11], v56 offset0:37 offset1:38
	v_pk_fma_f32 v[42:43], v[6:7], v[0:1], v[32:33] op_sel:[0,0,1] op_sel_hi:[1,0,0]
	v_pk_fma_f32 v[40:41], v[4:5], v[0:1], v[24:25] op_sel:[0,0,1] op_sel_hi:[1,0,0]
	v_mul_f32_e32 v12, v15, v3
	v_pk_fma_f32 v[4:5], v[4:5], v[0:1], v[24:25] op_sel:[0,0,1] op_sel_hi:[1,1,0] neg_lo:[0,0,1] neg_hi:[0,0,1]
	v_pk_fma_f32 v[6:7], v[6:7], v[0:1], v[32:33] op_sel:[0,0,1] op_sel_hi:[1,1,0] neg_lo:[0,0,1] neg_hi:[0,0,1]
	s_delay_alu instid0(VALU_DEP_4) | instskip(NEXT) | instid1(VALU_DEP_4)
	v_dual_mov_b32 v7, v43 :: v_dual_mov_b32 v5, v41
	v_pk_fma_f32 v[38:39], v[14:15], v[84:85], v[12:13] op_sel_hi:[1,1,0] neg_lo:[0,0,1] neg_hi:[0,0,1]
	ds_load_2addr_b64 v[12:15], v56 offset0:39 offset1:40
	v_mov_b32_e32 v39, v23
	s_wait_dscnt 0x2
	v_pk_mul_f32 v[22:23], v[18:19], v[2:3] op_sel:[0,1]
	v_pk_add_f32 v[140:141], v[140:141], v[4:5] neg_lo:[0,1] neg_hi:[0,1]
	v_pk_add_f32 v[142:143], v[142:143], v[6:7] neg_lo:[0,1] neg_hi:[0,1]
	ds_load_2addr_b64 v[4:7], v56 offset0:41 offset1:42
	v_pk_add_f32 v[144:145], v[144:145], v[38:39] neg_lo:[0,1] neg_hi:[0,1]
	v_pk_fma_f32 v[24:25], v[18:19], v[0:1], v[22:23] op_sel:[0,0,1] op_sel_hi:[1,0,0]
	v_pk_fma_f32 v[18:19], v[18:19], v[0:1], v[22:23] op_sel:[0,0,1] op_sel_hi:[1,1,0] neg_lo:[0,0,1] neg_hi:[0,0,1]
	v_pk_mul_f32 v[22:23], v[20:21], v[2:3] op_sel:[0,1]
	s_wait_dscnt 0x2
	v_mul_f32_e32 v24, v9, v0
	v_mov_b32_e32 v19, v25
	s_delay_alu instid0(VALU_DEP_1)
	v_pk_add_f32 v[138:139], v[138:139], v[18:19] neg_lo:[0,1] neg_hi:[0,1]
	v_pk_fma_f32 v[18:19], v[20:21], v[0:1], v[22:23] op_sel:[0,0,1] op_sel_hi:[1,1,0] neg_lo:[0,0,1] neg_hi:[0,0,1]
	v_pk_fma_f32 v[20:21], v[20:21], v[0:1], v[22:23] op_sel:[0,0,1] op_sel_hi:[1,0,0]
	v_mul_f32_e32 v20, v9, v3
	v_pk_mul_f32 v[22:23], v[10:11], v[2:3] op_sel:[0,1]
	v_pk_fma_f32 v[24:25], v[8:9], v[84:85], v[24:25] op_sel:[1,0,0] op_sel_hi:[0,1,0]
	s_wait_dscnt 0x1
	v_pk_mul_f32 v[32:33], v[12:13], v[2:3] op_sel:[0,1]
	s_delay_alu instid0(VALU_DEP_3)
	v_pk_fma_f32 v[38:39], v[10:11], v[0:1], v[22:23] op_sel:[0,0,1] op_sel_hi:[1,0,0]
	v_mov_b32_e32 v19, v21
	v_pk_fma_f32 v[20:21], v[8:9], v[84:85], v[20:21] op_sel_hi:[1,1,0] neg_lo:[0,0,1] neg_hi:[0,0,1]
	v_mov_b32_e32 v21, v25
	v_pk_fma_f32 v[24:25], v[12:13], v[0:1], v[32:33] op_sel:[0,0,1] op_sel_hi:[1,0,0]
	v_pk_fma_f32 v[22:23], v[10:11], v[0:1], v[22:23] op_sel:[0,0,1] op_sel_hi:[1,1,0] neg_lo:[0,0,1] neg_hi:[0,0,1]
	ds_load_2addr_b64 v[8:11], v56 offset0:43 offset1:44
	v_pk_fma_f32 v[12:13], v[12:13], v[0:1], v[32:33] op_sel:[0,0,1] op_sel_hi:[1,1,0] neg_lo:[0,0,1] neg_hi:[0,0,1]
	v_dual_mov_b32 v23, v39 :: v_dual_mov_b32 v13, v25
	v_pk_mul_f32 v[24:25], v[14:15], v[2:3] op_sel:[0,1]
	v_pk_add_f32 v[164:165], v[164:165], v[18:19] neg_lo:[0,1] neg_hi:[0,1]
	v_pk_add_f32 v[160:161], v[160:161], v[20:21] neg_lo:[0,1] neg_hi:[0,1]
	s_delay_alu instid0(VALU_DEP_4)
	v_pk_add_f32 v[162:163], v[162:163], v[22:23] neg_lo:[0,1] neg_hi:[0,1]
	s_wait_dscnt 0x1
	v_pk_mul_f32 v[22:23], v[4:5], v[2:3] op_sel:[0,1]
	v_pk_fma_f32 v[18:19], v[14:15], v[0:1], v[24:25] op_sel:[0,0,1] op_sel_hi:[1,1,0] neg_lo:[0,0,1] neg_hi:[0,0,1]
	v_pk_fma_f32 v[20:21], v[14:15], v[0:1], v[24:25] op_sel:[0,0,1] op_sel_hi:[1,0,0]
	v_mov_b32_e32 v24, v7
	v_pk_add_f32 v[158:159], v[158:159], v[12:13] neg_lo:[0,1] neg_hi:[0,1]
	ds_load_2addr_b64 v[12:15], v56 offset0:45 offset1:46
	ds_load_b64 v[32:33], v56 offset:376
	v_dual_mov_b32 v25, v6 :: v_dual_mul_f32 v20, v7, v0
	v_pk_fma_f32 v[38:39], v[4:5], v[0:1], v[22:23] op_sel:[0,0,1] op_sel_hi:[1,0,0]
	v_dual_mov_b32 v19, v21 :: v_dual_mul_f32 v38, v7, v3
	v_pk_fma_f32 v[4:5], v[4:5], v[0:1], v[22:23] op_sel:[0,0,1] op_sel_hi:[1,1,0] neg_lo:[0,0,1] neg_hi:[0,0,1]
	s_delay_alu instid0(VALU_DEP_4)
	v_pk_fma_f32 v[20:21], v[24:25], v[84:85], v[20:21] op_sel_hi:[1,1,0]
	s_wait_dscnt 0x2
	v_pk_mul_f32 v[22:23], v[8:9], v[2:3] op_sel:[0,1]
	v_mov_b32_e32 v5, v39
	v_pk_fma_f32 v[6:7], v[6:7], v[84:85], v[38:39] op_sel_hi:[1,1,0] neg_lo:[0,0,1] neg_hi:[0,0,1]
	v_pk_add_f32 v[188:189], v[188:189], v[18:19] neg_lo:[0,1] neg_hi:[0,1]
	v_mov_b32_e32 v7, v21
	v_pk_fma_f32 v[18:19], v[8:9], v[0:1], v[22:23] op_sel:[0,0,1] op_sel_hi:[1,0,0]
	v_pk_add_f32 v[182:183], v[182:183], v[4:5] neg_lo:[0,1] neg_hi:[0,1]
	v_pk_mul_f32 v[4:5], v[10:11], v[2:3] op_sel:[0,1]
	s_delay_alu instid0(VALU_DEP_4)
	v_pk_add_f32 v[186:187], v[186:187], v[6:7] neg_lo:[0,1] neg_hi:[0,1]
	v_pk_fma_f32 v[6:7], v[8:9], v[0:1], v[22:23] op_sel:[0,0,1] op_sel_hi:[1,1,0] neg_lo:[0,0,1] neg_hi:[0,0,1]
	s_wait_dscnt 0x1
	v_pk_mul_f32 v[8:9], v[12:13], v[2:3] op_sel:[0,1]
	v_mov_b32_e32 v7, v19
	v_pk_fma_f32 v[18:19], v[10:11], v[0:1], v[4:5] op_sel:[0,0,1] op_sel_hi:[1,0,0]
	v_pk_mul_f32 v[20:21], v[14:15], v[2:3] op_sel:[0,1]
	s_wait_dscnt 0x0
	v_pk_mul_f32 v[2:3], v[32:33], v[2:3] op_sel:[0,1]
	v_pk_fma_f32 v[4:5], v[10:11], v[0:1], v[4:5] op_sel:[0,0,1] op_sel_hi:[1,1,0] neg_lo:[0,0,1] neg_hi:[0,0,1]
	v_pk_fma_f32 v[10:11], v[12:13], v[0:1], v[8:9] op_sel:[0,0,1] op_sel_hi:[1,0,0]
	v_mov_b32_e32 v5, v19
	v_pk_fma_f32 v[18:19], v[14:15], v[0:1], v[20:21] op_sel:[0,0,1] op_sel_hi:[1,0,0]
	v_pk_fma_f32 v[8:9], v[12:13], v[0:1], v[8:9] op_sel:[0,0,1] op_sel_hi:[1,1,0] neg_lo:[0,0,1] neg_hi:[0,0,1]
	v_pk_fma_f32 v[12:13], v[32:33], v[0:1], v[2:3] op_sel:[0,0,1] op_sel_hi:[1,0,0]
	v_mov_b32_e32 v9, v11
	v_pk_fma_f32 v[10:11], v[14:15], v[0:1], v[20:21] op_sel:[0,0,1] op_sel_hi:[1,1,0] neg_lo:[0,0,1] neg_hi:[0,0,1]
	v_pk_fma_f32 v[0:1], v[32:33], v[0:1], v[2:3] op_sel:[0,0,1] op_sel_hi:[1,1,0] neg_lo:[0,0,1] neg_hi:[0,0,1]
	s_delay_alu instid0(VALU_DEP_4) | instskip(SKIP_3) | instid1(VALU_DEP_4)
	v_dual_mov_b32 v11, v19 :: v_dual_mov_b32 v1, v13
	v_pk_add_f32 v[180:181], v[180:181], v[6:7] neg_lo:[0,1] neg_hi:[0,1]
	v_pk_add_f32 v[184:185], v[184:185], v[4:5] neg_lo:[0,1] neg_hi:[0,1]
	;; [unrolled: 1-line block ×5, first 2 shown]
.LBB95_82:
	s_or_b32 exec_lo, exec_lo, s1
	s_delay_alu instid0(SALU_CYCLE_1)
	s_mov_b32 s2, exec_lo
	s_wait_dscnt 0x0
	s_barrier_signal -1
	s_barrier_wait -1
	v_cmpx_eq_u32_e32 9, v54
	s_cbranch_execz .LBB95_89
; %bb.83:
	v_dual_mov_b32 v0, v30 :: v_dual_mov_b32 v1, v31
	v_dual_mov_b32 v2, v26 :: v_dual_mov_b32 v3, v27
	;; [unrolled: 1-line block ×4, first 2 shown]
	ds_store_b64 v55, v[28:29]
	ds_store_2addr_b64 v56, v[0:1], v[2:3] offset0:10 offset1:11
	ds_store_2addr_b64 v56, v[4:5], v[6:7] offset0:12 offset1:13
	v_dual_mov_b32 v0, v48 :: v_dual_mov_b32 v1, v49
	v_dual_mov_b32 v2, v44 :: v_dual_mov_b32 v3, v45
	;; [unrolled: 1-line block ×12, first 2 shown]
	ds_store_2addr_b64 v56, v[0:1], v[2:3] offset0:14 offset1:15
	ds_store_2addr_b64 v56, v[4:5], v[6:7] offset0:16 offset1:17
	;; [unrolled: 1-line block ×6, first 2 shown]
	v_dual_mov_b32 v0, v110 :: v_dual_mov_b32 v1, v111
	v_dual_mov_b32 v2, v106 :: v_dual_mov_b32 v3, v107
	;; [unrolled: 1-line block ×12, first 2 shown]
	ds_store_2addr_b64 v56, v[0:1], v[2:3] offset0:26 offset1:27
	ds_store_2addr_b64 v56, v[4:5], v[6:7] offset0:28 offset1:29
	;; [unrolled: 1-line block ×6, first 2 shown]
	v_dual_mov_b32 v0, v162 :: v_dual_mov_b32 v1, v163
	v_dual_mov_b32 v2, v158 :: v_dual_mov_b32 v3, v159
	;; [unrolled: 1-line block ×9, first 2 shown]
	ds_store_2addr_b64 v56, v[0:1], v[2:3] offset0:38 offset1:39
	ds_store_2addr_b64 v56, v[4:5], v[6:7] offset0:40 offset1:41
	;; [unrolled: 1-line block ×5, first 2 shown]
	ds_load_b64 v[0:1], v55
	s_wait_dscnt 0x0
	v_cmp_neq_f32_e32 vcc_lo, 0, v0
	v_cmp_neq_f32_e64 s1, 0, v1
	s_or_b32 s1, vcc_lo, s1
	s_delay_alu instid0(SALU_CYCLE_1)
	s_and_b32 exec_lo, exec_lo, s1
	s_cbranch_execz .LBB95_89
; %bb.84:
	v_cmp_ngt_f32_e64 s1, |v0|, |v1|
                                        ; implicit-def: $vgpr2_vgpr3
	s_and_saveexec_b32 s4, s1
	s_delay_alu instid0(SALU_CYCLE_1)
	s_xor_b32 s1, exec_lo, s4
	s_cbranch_execz .LBB95_86
; %bb.85:
	v_div_scale_f32 v2, null, v1, v1, v0
	v_div_scale_f32 v5, vcc_lo, v0, v1, v0
	s_delay_alu instid0(VALU_DEP_2) | instskip(SKIP_1) | instid1(TRANS32_DEP_1)
	v_rcp_f32_e32 v3, v2
	v_nop
	v_fma_f32 v4, -v2, v3, 1.0
	s_delay_alu instid0(VALU_DEP_1) | instskip(NEXT) | instid1(VALU_DEP_1)
	v_fmac_f32_e32 v3, v4, v3
	v_mul_f32_e32 v4, v5, v3
	s_delay_alu instid0(VALU_DEP_1) | instskip(NEXT) | instid1(VALU_DEP_1)
	v_fma_f32 v6, -v2, v4, v5
	v_fmac_f32_e32 v4, v6, v3
	s_delay_alu instid0(VALU_DEP_1) | instskip(NEXT) | instid1(VALU_DEP_1)
	v_fma_f32 v2, -v2, v4, v5
	v_div_fmas_f32 v2, v2, v3, v4
	s_delay_alu instid0(VALU_DEP_1) | instskip(NEXT) | instid1(VALU_DEP_1)
	v_div_fixup_f32 v2, v2, v1, v0
	v_fmac_f32_e32 v1, v0, v2
	s_delay_alu instid0(VALU_DEP_1) | instskip(SKIP_1) | instid1(VALU_DEP_2)
	v_div_scale_f32 v0, null, v1, v1, 1.0
	v_div_scale_f32 v5, vcc_lo, 1.0, v1, 1.0
	v_rcp_f32_e32 v3, v0
	v_nop
	s_delay_alu instid0(TRANS32_DEP_1) | instskip(NEXT) | instid1(VALU_DEP_1)
	v_fma_f32 v4, -v0, v3, 1.0
	v_fmac_f32_e32 v3, v4, v3
	s_delay_alu instid0(VALU_DEP_1) | instskip(NEXT) | instid1(VALU_DEP_1)
	v_mul_f32_e32 v4, v5, v3
	v_fma_f32 v6, -v0, v4, v5
	s_delay_alu instid0(VALU_DEP_1) | instskip(NEXT) | instid1(VALU_DEP_1)
	v_fmac_f32_e32 v4, v6, v3
	v_fma_f32 v0, -v0, v4, v5
	s_delay_alu instid0(VALU_DEP_1) | instskip(NEXT) | instid1(VALU_DEP_1)
	v_div_fmas_f32 v0, v0, v3, v4
	v_div_fixup_f32 v0, v0, v1, 1.0
	s_delay_alu instid0(VALU_DEP_1)
	v_mul_f32_e32 v2, v2, v0
	v_xor_b32_e32 v3, 0x80000000, v0
                                        ; implicit-def: $vgpr0_vgpr1
.LBB95_86:
	s_and_not1_saveexec_b32 s1, s1
	s_cbranch_execz .LBB95_88
; %bb.87:
	v_div_scale_f32 v2, null, v0, v0, v1
	v_div_scale_f32 v5, vcc_lo, v1, v0, v1
	s_delay_alu instid0(VALU_DEP_2) | instskip(SKIP_1) | instid1(TRANS32_DEP_1)
	v_rcp_f32_e32 v3, v2
	v_nop
	v_fma_f32 v4, -v2, v3, 1.0
	s_delay_alu instid0(VALU_DEP_1) | instskip(NEXT) | instid1(VALU_DEP_1)
	v_fmac_f32_e32 v3, v4, v3
	v_mul_f32_e32 v4, v5, v3
	s_delay_alu instid0(VALU_DEP_1) | instskip(NEXT) | instid1(VALU_DEP_1)
	v_fma_f32 v6, -v2, v4, v5
	v_fmac_f32_e32 v4, v6, v3
	s_delay_alu instid0(VALU_DEP_1) | instskip(NEXT) | instid1(VALU_DEP_1)
	v_fma_f32 v2, -v2, v4, v5
	v_div_fmas_f32 v2, v2, v3, v4
	s_delay_alu instid0(VALU_DEP_1) | instskip(NEXT) | instid1(VALU_DEP_1)
	v_div_fixup_f32 v3, v2, v0, v1
	v_fmac_f32_e32 v0, v1, v3
	s_delay_alu instid0(VALU_DEP_1) | instskip(NEXT) | instid1(VALU_DEP_1)
	v_div_scale_f32 v1, null, v0, v0, 1.0
	v_rcp_f32_e32 v2, v1
	v_nop
	s_delay_alu instid0(TRANS32_DEP_1) | instskip(NEXT) | instid1(VALU_DEP_1)
	v_fma_f32 v4, -v1, v2, 1.0
	v_fmac_f32_e32 v2, v4, v2
	v_div_scale_f32 v4, vcc_lo, 1.0, v0, 1.0
	s_delay_alu instid0(VALU_DEP_1) | instskip(NEXT) | instid1(VALU_DEP_1)
	v_mul_f32_e32 v5, v4, v2
	v_fma_f32 v6, -v1, v5, v4
	s_delay_alu instid0(VALU_DEP_1) | instskip(NEXT) | instid1(VALU_DEP_1)
	v_fmac_f32_e32 v5, v6, v2
	v_fma_f32 v1, -v1, v5, v4
	s_delay_alu instid0(VALU_DEP_1) | instskip(NEXT) | instid1(VALU_DEP_1)
	v_div_fmas_f32 v1, v1, v2, v5
	v_div_fixup_f32 v2, v1, v0, 1.0
	s_delay_alu instid0(VALU_DEP_1)
	v_mul_f32_e64 v3, v3, -v2
.LBB95_88:
	s_or_b32 exec_lo, exec_lo, s1
	ds_store_b64 v55, v[2:3]
.LBB95_89:
	s_or_b32 exec_lo, exec_lo, s2
	s_wait_dscnt 0x0
	s_barrier_signal -1
	s_barrier_wait -1
	ds_load_b64 v[212:213], v55
	s_mov_b32 s1, exec_lo
	v_cmpx_lt_u32_e32 9, v54
	s_cbranch_execz .LBB95_91
; %bb.90:
	ds_load_2addr_b64 v[4:7], v56 offset0:10 offset1:11
	s_wait_dscnt 0x1
	v_pk_mul_f32 v[2:3], v[212:213], v[28:29] op_sel:[1,1] op_sel_hi:[0,1]
	s_delay_alu instid0(VALU_DEP_1) | instskip(SKIP_1) | instid1(VALU_DEP_1)
	v_pk_fma_f32 v[0:1], v[212:213], v[28:29], v[2:3] op_sel_hi:[1,0,1] neg_lo:[0,0,1] neg_hi:[0,0,1]
	v_pk_fma_f32 v[2:3], v[212:213], v[28:29], v[2:3] op_sel_hi:[1,0,1]
	v_dual_mov_b32 v28, v0 :: v_dual_mov_b32 v29, v3
	s_wait_dscnt 0x0
	s_delay_alu instid0(VALU_DEP_2) | instskip(NEXT) | instid1(VALU_DEP_1)
	v_pk_mul_f32 v[8:9], v[4:5], v[2:3] op_sel:[0,1]
	v_pk_fma_f32 v[10:11], v[4:5], v[0:1], v[8:9] op_sel:[0,0,1] op_sel_hi:[1,1,0] neg_lo:[0,0,1] neg_hi:[0,0,1]
	v_pk_fma_f32 v[4:5], v[4:5], v[0:1], v[8:9] op_sel:[0,0,1] op_sel_hi:[1,0,0]
	s_delay_alu instid0(VALU_DEP_1) | instskip(SKIP_1) | instid1(VALU_DEP_1)
	v_mov_b32_e32 v11, v5
	v_pk_mul_f32 v[4:5], v[6:7], v[2:3] op_sel:[0,1]
	v_pk_fma_f32 v[8:9], v[6:7], v[0:1], v[4:5] op_sel:[0,0,1] op_sel_hi:[1,1,0] neg_lo:[0,0,1] neg_hi:[0,0,1]
	v_pk_fma_f32 v[4:5], v[6:7], v[0:1], v[4:5] op_sel:[0,0,1] op_sel_hi:[1,0,0]
	s_delay_alu instid0(VALU_DEP_1)
	v_mov_b32_e32 v9, v5
	ds_load_2addr_b64 v[4:7], v56 offset0:12 offset1:13
	v_pk_add_f32 v[30:31], v[30:31], v[10:11] neg_lo:[0,1] neg_hi:[0,1]
	v_pk_add_f32 v[26:27], v[26:27], v[8:9] neg_lo:[0,1] neg_hi:[0,1]
	s_wait_dscnt 0x0
	v_pk_mul_f32 v[8:9], v[4:5], v[2:3] op_sel:[0,1]
	s_delay_alu instid0(VALU_DEP_1) | instskip(SKIP_2) | instid1(VALU_DEP_2)
	v_pk_fma_f32 v[10:11], v[4:5], v[0:1], v[8:9] op_sel:[0,0,1] op_sel_hi:[1,1,0] neg_lo:[0,0,1] neg_hi:[0,0,1]
	v_pk_fma_f32 v[4:5], v[4:5], v[0:1], v[8:9] op_sel:[0,0,1] op_sel_hi:[1,0,0]
	v_dual_mul_f32 v8, v7, v3 :: v_dual_mov_b32 v4, v7
	v_dual_mov_b32 v11, v5 :: v_dual_mov_b32 v5, v6
	s_delay_alu instid0(VALU_DEP_2) | instskip(SKIP_1) | instid1(VALU_DEP_3)
	v_pk_fma_f32 v[8:9], v[6:7], v[28:29], v[8:9] op_sel_hi:[1,1,0] neg_lo:[0,0,1] neg_hi:[0,0,1]
	v_mul_f32_e32 v6, v7, v0
	v_pk_add_f32 v[50:51], v[50:51], v[10:11] neg_lo:[0,1] neg_hi:[0,1]
	s_delay_alu instid0(VALU_DEP_2) | instskip(NEXT) | instid1(VALU_DEP_1)
	v_pk_fma_f32 v[4:5], v[4:5], v[28:29], v[6:7] op_sel_hi:[1,1,0]
	v_mov_b32_e32 v9, v5
	ds_load_2addr_b64 v[4:7], v56 offset0:14 offset1:15
	v_pk_add_f32 v[46:47], v[46:47], v[8:9] neg_lo:[0,1] neg_hi:[0,1]
	s_wait_dscnt 0x0
	v_pk_mul_f32 v[8:9], v[4:5], v[2:3] op_sel:[0,1]
	s_delay_alu instid0(VALU_DEP_1) | instskip(SKIP_1) | instid1(VALU_DEP_1)
	v_pk_fma_f32 v[10:11], v[4:5], v[0:1], v[8:9] op_sel:[0,0,1] op_sel_hi:[1,1,0] neg_lo:[0,0,1] neg_hi:[0,0,1]
	v_pk_fma_f32 v[4:5], v[4:5], v[0:1], v[8:9] op_sel:[0,0,1] op_sel_hi:[1,0,0]
	v_mov_b32_e32 v11, v5
	v_pk_mul_f32 v[4:5], v[6:7], v[2:3] op_sel:[0,1]
	s_delay_alu instid0(VALU_DEP_1) | instskip(SKIP_1) | instid1(VALU_DEP_1)
	v_pk_fma_f32 v[8:9], v[6:7], v[0:1], v[4:5] op_sel:[0,0,1] op_sel_hi:[1,1,0] neg_lo:[0,0,1] neg_hi:[0,0,1]
	v_pk_fma_f32 v[4:5], v[6:7], v[0:1], v[4:5] op_sel:[0,0,1] op_sel_hi:[1,0,0]
	v_mov_b32_e32 v9, v5
	ds_load_2addr_b64 v[4:7], v56 offset0:16 offset1:17
	v_pk_add_f32 v[48:49], v[48:49], v[10:11] neg_lo:[0,1] neg_hi:[0,1]
	v_pk_add_f32 v[44:45], v[44:45], v[8:9] neg_lo:[0,1] neg_hi:[0,1]
	s_wait_dscnt 0x0
	v_pk_mul_f32 v[8:9], v[4:5], v[2:3] op_sel:[0,1]
	s_delay_alu instid0(VALU_DEP_1) | instskip(SKIP_1) | instid1(VALU_DEP_1)
	v_pk_fma_f32 v[10:11], v[4:5], v[0:1], v[8:9] op_sel:[0,0,1] op_sel_hi:[1,1,0] neg_lo:[0,0,1] neg_hi:[0,0,1]
	v_pk_fma_f32 v[4:5], v[4:5], v[0:1], v[8:9] op_sel:[0,0,1] op_sel_hi:[1,0,0]
	v_mov_b32_e32 v11, v5
	v_pk_mul_f32 v[4:5], v[6:7], v[2:3] op_sel:[0,1]
	s_delay_alu instid0(VALU_DEP_1) | instskip(SKIP_1) | instid1(VALU_DEP_1)
	v_pk_fma_f32 v[8:9], v[6:7], v[0:1], v[4:5] op_sel:[0,0,1] op_sel_hi:[1,1,0] neg_lo:[0,0,1] neg_hi:[0,0,1]
	v_pk_fma_f32 v[4:5], v[6:7], v[0:1], v[4:5] op_sel:[0,0,1] op_sel_hi:[1,0,0]
	v_mov_b32_e32 v9, v5
	ds_load_2addr_b64 v[4:7], v56 offset0:18 offset1:19
	v_pk_add_f32 v[74:75], v[74:75], v[10:11] neg_lo:[0,1] neg_hi:[0,1]
	v_pk_add_f32 v[70:71], v[70:71], v[8:9] neg_lo:[0,1] neg_hi:[0,1]
	s_wait_dscnt 0x0
	v_dual_mul_f32 v8, v5, v3 :: v_dual_mul_f32 v10, v5, v0
	s_delay_alu instid0(VALU_DEP_1) | instskip(NEXT) | instid1(VALU_DEP_2)
	v_pk_fma_f32 v[8:9], v[4:5], v[28:29], v[8:9] op_sel_hi:[1,1,0] neg_lo:[0,0,1] neg_hi:[0,0,1]
	v_pk_fma_f32 v[4:5], v[4:5], v[28:29], v[10:11] op_sel:[1,0,0] op_sel_hi:[0,1,0]
	s_delay_alu instid0(VALU_DEP_1) | instskip(SKIP_1) | instid1(VALU_DEP_2)
	v_mov_b32_e32 v9, v5
	v_pk_mul_f32 v[4:5], v[6:7], v[2:3] op_sel:[0,1]
	v_pk_add_f32 v[72:73], v[72:73], v[8:9] neg_lo:[0,1] neg_hi:[0,1]
	s_delay_alu instid0(VALU_DEP_2) | instskip(SKIP_1) | instid1(VALU_DEP_1)
	v_pk_fma_f32 v[8:9], v[6:7], v[0:1], v[4:5] op_sel:[0,0,1] op_sel_hi:[1,1,0] neg_lo:[0,0,1] neg_hi:[0,0,1]
	v_pk_fma_f32 v[4:5], v[6:7], v[0:1], v[4:5] op_sel:[0,0,1] op_sel_hi:[1,0,0]
	v_mov_b32_e32 v9, v5
	ds_load_2addr_b64 v[4:7], v56 offset0:20 offset1:21
	v_pk_add_f32 v[68:69], v[68:69], v[8:9] neg_lo:[0,1] neg_hi:[0,1]
	s_wait_dscnt 0x0
	v_pk_mul_f32 v[8:9], v[4:5], v[2:3] op_sel:[0,1]
	s_delay_alu instid0(VALU_DEP_1) | instskip(SKIP_1) | instid1(VALU_DEP_1)
	v_pk_fma_f32 v[10:11], v[4:5], v[0:1], v[8:9] op_sel:[0,0,1] op_sel_hi:[1,1,0] neg_lo:[0,0,1] neg_hi:[0,0,1]
	v_pk_fma_f32 v[4:5], v[4:5], v[0:1], v[8:9] op_sel:[0,0,1] op_sel_hi:[1,0,0]
	v_mov_b32_e32 v11, v5
	v_pk_mul_f32 v[4:5], v[6:7], v[2:3] op_sel:[0,1]
	s_delay_alu instid0(VALU_DEP_2) | instskip(NEXT) | instid1(VALU_DEP_2)
	v_pk_add_f32 v[96:97], v[96:97], v[10:11] neg_lo:[0,1] neg_hi:[0,1]
	v_pk_fma_f32 v[8:9], v[6:7], v[0:1], v[4:5] op_sel:[0,0,1] op_sel_hi:[1,1,0] neg_lo:[0,0,1] neg_hi:[0,0,1]
	v_pk_fma_f32 v[4:5], v[6:7], v[0:1], v[4:5] op_sel:[0,0,1] op_sel_hi:[1,0,0]
	s_delay_alu instid0(VALU_DEP_1) | instskip(SKIP_4) | instid1(VALU_DEP_1)
	v_mov_b32_e32 v9, v5
	ds_load_2addr_b64 v[4:7], v56 offset0:22 offset1:23
	v_pk_add_f32 v[92:93], v[92:93], v[8:9] neg_lo:[0,1] neg_hi:[0,1]
	s_wait_dscnt 0x0
	v_pk_mul_f32 v[8:9], v[4:5], v[2:3] op_sel:[0,1]
	v_pk_fma_f32 v[10:11], v[4:5], v[0:1], v[8:9] op_sel:[0,0,1] op_sel_hi:[1,1,0] neg_lo:[0,0,1] neg_hi:[0,0,1]
	v_pk_fma_f32 v[4:5], v[4:5], v[0:1], v[8:9] op_sel:[0,0,1] op_sel_hi:[1,0,0]
	v_dual_mul_f32 v8, v7, v3 :: v_dual_mov_b32 v4, v7
	s_delay_alu instid0(VALU_DEP_2) | instskip(NEXT) | instid1(VALU_DEP_2)
	v_dual_mov_b32 v11, v5 :: v_dual_mov_b32 v5, v6
	v_pk_fma_f32 v[8:9], v[6:7], v[28:29], v[8:9] op_sel_hi:[1,1,0] neg_lo:[0,0,1] neg_hi:[0,0,1]
	v_mul_f32_e32 v6, v7, v0
	s_delay_alu instid0(VALU_DEP_3) | instskip(NEXT) | instid1(VALU_DEP_2)
	v_pk_add_f32 v[94:95], v[94:95], v[10:11] neg_lo:[0,1] neg_hi:[0,1]
	v_pk_fma_f32 v[4:5], v[4:5], v[28:29], v[6:7] op_sel_hi:[1,1,0]
	s_delay_alu instid0(VALU_DEP_1) | instskip(SKIP_4) | instid1(VALU_DEP_1)
	v_mov_b32_e32 v9, v5
	ds_load_2addr_b64 v[4:7], v56 offset0:24 offset1:25
	v_pk_add_f32 v[90:91], v[90:91], v[8:9] neg_lo:[0,1] neg_hi:[0,1]
	s_wait_dscnt 0x0
	v_pk_mul_f32 v[8:9], v[4:5], v[2:3] op_sel:[0,1]
	v_pk_fma_f32 v[10:11], v[4:5], v[0:1], v[8:9] op_sel:[0,0,1] op_sel_hi:[1,1,0] neg_lo:[0,0,1] neg_hi:[0,0,1]
	v_pk_fma_f32 v[4:5], v[4:5], v[0:1], v[8:9] op_sel:[0,0,1] op_sel_hi:[1,0,0]
	s_delay_alu instid0(VALU_DEP_1) | instskip(SKIP_1) | instid1(VALU_DEP_1)
	v_mov_b32_e32 v11, v5
	v_pk_mul_f32 v[4:5], v[6:7], v[2:3] op_sel:[0,1]
	v_pk_fma_f32 v[8:9], v[6:7], v[0:1], v[4:5] op_sel:[0,0,1] op_sel_hi:[1,1,0] neg_lo:[0,0,1] neg_hi:[0,0,1]
	v_pk_fma_f32 v[4:5], v[6:7], v[0:1], v[4:5] op_sel:[0,0,1] op_sel_hi:[1,0,0]
	s_delay_alu instid0(VALU_DEP_1)
	v_mov_b32_e32 v9, v5
	ds_load_2addr_b64 v[4:7], v56 offset0:26 offset1:27
	v_pk_add_f32 v[112:113], v[112:113], v[10:11] neg_lo:[0,1] neg_hi:[0,1]
	v_pk_add_f32 v[108:109], v[108:109], v[8:9] neg_lo:[0,1] neg_hi:[0,1]
	s_wait_dscnt 0x0
	v_pk_mul_f32 v[8:9], v[4:5], v[2:3] op_sel:[0,1]
	s_delay_alu instid0(VALU_DEP_1) | instskip(SKIP_1) | instid1(VALU_DEP_1)
	v_pk_fma_f32 v[10:11], v[4:5], v[0:1], v[8:9] op_sel:[0,0,1] op_sel_hi:[1,1,0] neg_lo:[0,0,1] neg_hi:[0,0,1]
	v_pk_fma_f32 v[4:5], v[4:5], v[0:1], v[8:9] op_sel:[0,0,1] op_sel_hi:[1,0,0]
	v_mov_b32_e32 v11, v5
	v_pk_mul_f32 v[4:5], v[6:7], v[2:3] op_sel:[0,1]
	s_delay_alu instid0(VALU_DEP_1) | instskip(SKIP_1) | instid1(VALU_DEP_1)
	v_pk_fma_f32 v[8:9], v[6:7], v[0:1], v[4:5] op_sel:[0,0,1] op_sel_hi:[1,1,0] neg_lo:[0,0,1] neg_hi:[0,0,1]
	v_pk_fma_f32 v[4:5], v[6:7], v[0:1], v[4:5] op_sel:[0,0,1] op_sel_hi:[1,0,0]
	v_mov_b32_e32 v9, v5
	ds_load_2addr_b64 v[4:7], v56 offset0:28 offset1:29
	v_pk_add_f32 v[110:111], v[110:111], v[10:11] neg_lo:[0,1] neg_hi:[0,1]
	v_pk_add_f32 v[106:107], v[106:107], v[8:9] neg_lo:[0,1] neg_hi:[0,1]
	s_wait_dscnt 0x0
	v_dual_mul_f32 v8, v5, v3 :: v_dual_mul_f32 v10, v5, v0
	s_delay_alu instid0(VALU_DEP_1) | instskip(NEXT) | instid1(VALU_DEP_2)
	v_pk_fma_f32 v[8:9], v[4:5], v[28:29], v[8:9] op_sel_hi:[1,1,0] neg_lo:[0,0,1] neg_hi:[0,0,1]
	v_pk_fma_f32 v[4:5], v[4:5], v[28:29], v[10:11] op_sel:[1,0,0] op_sel_hi:[0,1,0]
	s_delay_alu instid0(VALU_DEP_1) | instskip(SKIP_1) | instid1(VALU_DEP_2)
	v_mov_b32_e32 v9, v5
	v_pk_mul_f32 v[4:5], v[6:7], v[2:3] op_sel:[0,1]
	v_pk_add_f32 v[128:129], v[128:129], v[8:9] neg_lo:[0,1] neg_hi:[0,1]
	s_delay_alu instid0(VALU_DEP_2) | instskip(SKIP_1) | instid1(VALU_DEP_1)
	v_pk_fma_f32 v[8:9], v[6:7], v[0:1], v[4:5] op_sel:[0,0,1] op_sel_hi:[1,1,0] neg_lo:[0,0,1] neg_hi:[0,0,1]
	v_pk_fma_f32 v[4:5], v[6:7], v[0:1], v[4:5] op_sel:[0,0,1] op_sel_hi:[1,0,0]
	v_mov_b32_e32 v9, v5
	ds_load_2addr_b64 v[4:7], v56 offset0:30 offset1:31
	v_pk_add_f32 v[124:125], v[124:125], v[8:9] neg_lo:[0,1] neg_hi:[0,1]
	s_wait_dscnt 0x0
	v_pk_mul_f32 v[8:9], v[4:5], v[2:3] op_sel:[0,1]
	s_delay_alu instid0(VALU_DEP_1) | instskip(SKIP_1) | instid1(VALU_DEP_1)
	v_pk_fma_f32 v[10:11], v[4:5], v[0:1], v[8:9] op_sel:[0,0,1] op_sel_hi:[1,1,0] neg_lo:[0,0,1] neg_hi:[0,0,1]
	v_pk_fma_f32 v[4:5], v[4:5], v[0:1], v[8:9] op_sel:[0,0,1] op_sel_hi:[1,0,0]
	v_mov_b32_e32 v11, v5
	v_pk_mul_f32 v[4:5], v[6:7], v[2:3] op_sel:[0,1]
	s_delay_alu instid0(VALU_DEP_2) | instskip(NEXT) | instid1(VALU_DEP_2)
	v_pk_add_f32 v[126:127], v[126:127], v[10:11] neg_lo:[0,1] neg_hi:[0,1]
	v_pk_fma_f32 v[8:9], v[6:7], v[0:1], v[4:5] op_sel:[0,0,1] op_sel_hi:[1,1,0] neg_lo:[0,0,1] neg_hi:[0,0,1]
	v_pk_fma_f32 v[4:5], v[6:7], v[0:1], v[4:5] op_sel:[0,0,1] op_sel_hi:[1,0,0]
	s_delay_alu instid0(VALU_DEP_1) | instskip(SKIP_4) | instid1(VALU_DEP_1)
	v_mov_b32_e32 v9, v5
	ds_load_2addr_b64 v[4:7], v56 offset0:32 offset1:33
	v_pk_add_f32 v[122:123], v[122:123], v[8:9] neg_lo:[0,1] neg_hi:[0,1]
	s_wait_dscnt 0x0
	v_pk_mul_f32 v[8:9], v[4:5], v[2:3] op_sel:[0,1]
	v_pk_fma_f32 v[10:11], v[4:5], v[0:1], v[8:9] op_sel:[0,0,1] op_sel_hi:[1,1,0] neg_lo:[0,0,1] neg_hi:[0,0,1]
	v_pk_fma_f32 v[4:5], v[4:5], v[0:1], v[8:9] op_sel:[0,0,1] op_sel_hi:[1,0,0]
	v_dual_mul_f32 v8, v7, v3 :: v_dual_mov_b32 v4, v7
	s_delay_alu instid0(VALU_DEP_2) | instskip(NEXT) | instid1(VALU_DEP_2)
	v_dual_mov_b32 v11, v5 :: v_dual_mov_b32 v5, v6
	v_pk_fma_f32 v[8:9], v[6:7], v[28:29], v[8:9] op_sel_hi:[1,1,0] neg_lo:[0,0,1] neg_hi:[0,0,1]
	v_mul_f32_e32 v6, v7, v0
	s_delay_alu instid0(VALU_DEP_3) | instskip(NEXT) | instid1(VALU_DEP_2)
	v_pk_add_f32 v[144:145], v[144:145], v[10:11] neg_lo:[0,1] neg_hi:[0,1]
	v_pk_fma_f32 v[4:5], v[4:5], v[28:29], v[6:7] op_sel_hi:[1,1,0]
	s_delay_alu instid0(VALU_DEP_1) | instskip(SKIP_4) | instid1(VALU_DEP_1)
	v_mov_b32_e32 v9, v5
	ds_load_2addr_b64 v[4:7], v56 offset0:34 offset1:35
	v_pk_add_f32 v[140:141], v[140:141], v[8:9] neg_lo:[0,1] neg_hi:[0,1]
	s_wait_dscnt 0x0
	v_pk_mul_f32 v[8:9], v[4:5], v[2:3] op_sel:[0,1]
	v_pk_fma_f32 v[10:11], v[4:5], v[0:1], v[8:9] op_sel:[0,0,1] op_sel_hi:[1,1,0] neg_lo:[0,0,1] neg_hi:[0,0,1]
	v_pk_fma_f32 v[4:5], v[4:5], v[0:1], v[8:9] op_sel:[0,0,1] op_sel_hi:[1,0,0]
	s_delay_alu instid0(VALU_DEP_1) | instskip(SKIP_1) | instid1(VALU_DEP_1)
	v_mov_b32_e32 v11, v5
	v_pk_mul_f32 v[4:5], v[6:7], v[2:3] op_sel:[0,1]
	v_pk_fma_f32 v[8:9], v[6:7], v[0:1], v[4:5] op_sel:[0,0,1] op_sel_hi:[1,1,0] neg_lo:[0,0,1] neg_hi:[0,0,1]
	v_pk_fma_f32 v[4:5], v[6:7], v[0:1], v[4:5] op_sel:[0,0,1] op_sel_hi:[1,0,0]
	s_delay_alu instid0(VALU_DEP_1)
	v_mov_b32_e32 v9, v5
	ds_load_2addr_b64 v[4:7], v56 offset0:36 offset1:37
	v_pk_add_f32 v[142:143], v[142:143], v[10:11] neg_lo:[0,1] neg_hi:[0,1]
	v_pk_add_f32 v[138:139], v[138:139], v[8:9] neg_lo:[0,1] neg_hi:[0,1]
	s_wait_dscnt 0x0
	v_pk_mul_f32 v[8:9], v[4:5], v[2:3] op_sel:[0,1]
	s_delay_alu instid0(VALU_DEP_1) | instskip(SKIP_1) | instid1(VALU_DEP_1)
	v_pk_fma_f32 v[10:11], v[4:5], v[0:1], v[8:9] op_sel:[0,0,1] op_sel_hi:[1,1,0] neg_lo:[0,0,1] neg_hi:[0,0,1]
	v_pk_fma_f32 v[4:5], v[4:5], v[0:1], v[8:9] op_sel:[0,0,1] op_sel_hi:[1,0,0]
	v_mov_b32_e32 v11, v5
	v_pk_mul_f32 v[4:5], v[6:7], v[2:3] op_sel:[0,1]
	s_delay_alu instid0(VALU_DEP_1) | instskip(SKIP_1) | instid1(VALU_DEP_1)
	v_pk_fma_f32 v[8:9], v[6:7], v[0:1], v[4:5] op_sel:[0,0,1] op_sel_hi:[1,1,0] neg_lo:[0,0,1] neg_hi:[0,0,1]
	v_pk_fma_f32 v[4:5], v[6:7], v[0:1], v[4:5] op_sel:[0,0,1] op_sel_hi:[1,0,0]
	v_mov_b32_e32 v9, v5
	ds_load_2addr_b64 v[4:7], v56 offset0:38 offset1:39
	v_pk_add_f32 v[164:165], v[164:165], v[10:11] neg_lo:[0,1] neg_hi:[0,1]
	v_pk_add_f32 v[160:161], v[160:161], v[8:9] neg_lo:[0,1] neg_hi:[0,1]
	s_wait_dscnt 0x0
	v_dual_mul_f32 v8, v5, v3 :: v_dual_mul_f32 v10, v5, v0
	s_delay_alu instid0(VALU_DEP_1) | instskip(NEXT) | instid1(VALU_DEP_2)
	v_pk_fma_f32 v[8:9], v[4:5], v[28:29], v[8:9] op_sel_hi:[1,1,0] neg_lo:[0,0,1] neg_hi:[0,0,1]
	v_pk_fma_f32 v[4:5], v[4:5], v[28:29], v[10:11] op_sel:[1,0,0] op_sel_hi:[0,1,0]
	s_delay_alu instid0(VALU_DEP_1) | instskip(SKIP_1) | instid1(VALU_DEP_2)
	v_mov_b32_e32 v9, v5
	v_pk_mul_f32 v[4:5], v[6:7], v[2:3] op_sel:[0,1]
	v_pk_add_f32 v[162:163], v[162:163], v[8:9] neg_lo:[0,1] neg_hi:[0,1]
	s_delay_alu instid0(VALU_DEP_2) | instskip(SKIP_1) | instid1(VALU_DEP_1)
	v_pk_fma_f32 v[8:9], v[6:7], v[0:1], v[4:5] op_sel:[0,0,1] op_sel_hi:[1,1,0] neg_lo:[0,0,1] neg_hi:[0,0,1]
	v_pk_fma_f32 v[4:5], v[6:7], v[0:1], v[4:5] op_sel:[0,0,1] op_sel_hi:[1,0,0]
	v_mov_b32_e32 v9, v5
	ds_load_2addr_b64 v[4:7], v56 offset0:40 offset1:41
	v_pk_add_f32 v[158:159], v[158:159], v[8:9] neg_lo:[0,1] neg_hi:[0,1]
	s_wait_dscnt 0x0
	v_pk_mul_f32 v[8:9], v[4:5], v[2:3] op_sel:[0,1]
	s_delay_alu instid0(VALU_DEP_1) | instskip(SKIP_1) | instid1(VALU_DEP_1)
	v_pk_fma_f32 v[10:11], v[4:5], v[0:1], v[8:9] op_sel:[0,0,1] op_sel_hi:[1,1,0] neg_lo:[0,0,1] neg_hi:[0,0,1]
	v_pk_fma_f32 v[4:5], v[4:5], v[0:1], v[8:9] op_sel:[0,0,1] op_sel_hi:[1,0,0]
	v_mov_b32_e32 v11, v5
	v_pk_mul_f32 v[4:5], v[6:7], v[2:3] op_sel:[0,1]
	s_delay_alu instid0(VALU_DEP_2) | instskip(NEXT) | instid1(VALU_DEP_2)
	v_pk_add_f32 v[188:189], v[188:189], v[10:11] neg_lo:[0,1] neg_hi:[0,1]
	v_pk_fma_f32 v[8:9], v[6:7], v[0:1], v[4:5] op_sel:[0,0,1] op_sel_hi:[1,1,0] neg_lo:[0,0,1] neg_hi:[0,0,1]
	v_pk_fma_f32 v[4:5], v[6:7], v[0:1], v[4:5] op_sel:[0,0,1] op_sel_hi:[1,0,0]
	s_delay_alu instid0(VALU_DEP_1) | instskip(SKIP_4) | instid1(VALU_DEP_1)
	v_mov_b32_e32 v9, v5
	ds_load_2addr_b64 v[4:7], v56 offset0:42 offset1:43
	v_pk_add_f32 v[182:183], v[182:183], v[8:9] neg_lo:[0,1] neg_hi:[0,1]
	s_wait_dscnt 0x0
	v_pk_mul_f32 v[8:9], v[4:5], v[2:3] op_sel:[0,1]
	v_pk_fma_f32 v[10:11], v[4:5], v[0:1], v[8:9] op_sel:[0,0,1] op_sel_hi:[1,1,0] neg_lo:[0,0,1] neg_hi:[0,0,1]
	v_pk_fma_f32 v[4:5], v[4:5], v[0:1], v[8:9] op_sel:[0,0,1] op_sel_hi:[1,0,0]
	v_dual_mul_f32 v8, v7, v3 :: v_dual_mov_b32 v4, v7
	s_delay_alu instid0(VALU_DEP_2) | instskip(NEXT) | instid1(VALU_DEP_2)
	v_dual_mov_b32 v11, v5 :: v_dual_mov_b32 v5, v6
	v_pk_fma_f32 v[8:9], v[6:7], v[28:29], v[8:9] op_sel_hi:[1,1,0] neg_lo:[0,0,1] neg_hi:[0,0,1]
	v_mul_f32_e32 v6, v7, v0
	s_delay_alu instid0(VALU_DEP_3) | instskip(NEXT) | instid1(VALU_DEP_2)
	v_pk_add_f32 v[186:187], v[186:187], v[10:11] neg_lo:[0,1] neg_hi:[0,1]
	v_pk_fma_f32 v[4:5], v[4:5], v[28:29], v[6:7] op_sel_hi:[1,1,0]
	s_delay_alu instid0(VALU_DEP_1) | instskip(SKIP_4) | instid1(VALU_DEP_1)
	v_mov_b32_e32 v9, v5
	ds_load_2addr_b64 v[4:7], v56 offset0:44 offset1:45
	v_pk_add_f32 v[180:181], v[180:181], v[8:9] neg_lo:[0,1] neg_hi:[0,1]
	s_wait_dscnt 0x0
	v_pk_mul_f32 v[8:9], v[4:5], v[2:3] op_sel:[0,1]
	v_pk_fma_f32 v[10:11], v[4:5], v[0:1], v[8:9] op_sel:[0,0,1] op_sel_hi:[1,1,0] neg_lo:[0,0,1] neg_hi:[0,0,1]
	v_pk_fma_f32 v[4:5], v[4:5], v[0:1], v[8:9] op_sel:[0,0,1] op_sel_hi:[1,0,0]
	s_delay_alu instid0(VALU_DEP_1) | instskip(SKIP_1) | instid1(VALU_DEP_1)
	v_mov_b32_e32 v11, v5
	v_pk_mul_f32 v[4:5], v[6:7], v[2:3] op_sel:[0,1]
	v_pk_fma_f32 v[8:9], v[6:7], v[0:1], v[4:5] op_sel:[0,0,1] op_sel_hi:[1,1,0] neg_lo:[0,0,1] neg_hi:[0,0,1]
	v_pk_fma_f32 v[4:5], v[6:7], v[0:1], v[4:5] op_sel:[0,0,1] op_sel_hi:[1,0,0]
	s_delay_alu instid0(VALU_DEP_1)
	v_mov_b32_e32 v9, v5
	ds_load_2addr_b64 v[4:7], v56 offset0:46 offset1:47
	v_pk_add_f32 v[184:185], v[184:185], v[10:11] neg_lo:[0,1] neg_hi:[0,1]
	v_pk_add_f32 v[178:179], v[178:179], v[8:9] neg_lo:[0,1] neg_hi:[0,1]
	s_wait_dscnt 0x0
	v_pk_mul_f32 v[8:9], v[4:5], v[2:3] op_sel:[0,1]
	v_pk_mul_f32 v[2:3], v[6:7], v[2:3] op_sel:[0,1]
	s_delay_alu instid0(VALU_DEP_2) | instskip(SKIP_1) | instid1(VALU_DEP_1)
	v_pk_fma_f32 v[10:11], v[4:5], v[0:1], v[8:9] op_sel:[0,0,1] op_sel_hi:[1,1,0] neg_lo:[0,0,1] neg_hi:[0,0,1]
	v_pk_fma_f32 v[4:5], v[4:5], v[0:1], v[8:9] op_sel:[0,0,1] op_sel_hi:[1,0,0]
	v_mov_b32_e32 v11, v5
	s_delay_alu instid0(VALU_DEP_4) | instskip(SKIP_1) | instid1(VALU_DEP_1)
	v_pk_fma_f32 v[4:5], v[6:7], v[0:1], v[2:3] op_sel:[0,0,1] op_sel_hi:[1,1,0] neg_lo:[0,0,1] neg_hi:[0,0,1]
	v_pk_fma_f32 v[0:1], v[6:7], v[0:1], v[2:3] op_sel:[0,0,1] op_sel_hi:[1,0,0]
	v_mov_b32_e32 v5, v1
	s_delay_alu instid0(VALU_DEP_4) | instskip(NEXT) | instid1(VALU_DEP_2)
	v_pk_add_f32 v[190:191], v[190:191], v[10:11] neg_lo:[0,1] neg_hi:[0,1]
	v_pk_add_f32 v[192:193], v[192:193], v[4:5] neg_lo:[0,1] neg_hi:[0,1]
.LBB95_91:
	s_or_b32 exec_lo, exec_lo, s1
	s_delay_alu instid0(SALU_CYCLE_1)
	s_mov_b32 s2, exec_lo
	s_wait_dscnt 0x0
	s_barrier_signal -1
	s_barrier_wait -1
	v_cmpx_eq_u32_e32 10, v54
	s_cbranch_execz .LBB95_98
; %bb.92:
	ds_store_b64 v55, v[30:31]
	ds_store_2addr_b64 v56, v[26:27], v[50:51] offset0:11 offset1:12
	ds_store_2addr_b64 v56, v[46:47], v[48:49] offset0:13 offset1:14
	;; [unrolled: 1-line block ×18, first 2 shown]
	ds_store_b64 v56, v[192:193] offset:376
	ds_load_b64 v[0:1], v55
	s_wait_dscnt 0x0
	v_cmp_neq_f32_e32 vcc_lo, 0, v0
	v_cmp_neq_f32_e64 s1, 0, v1
	s_or_b32 s1, vcc_lo, s1
	s_delay_alu instid0(SALU_CYCLE_1)
	s_and_b32 exec_lo, exec_lo, s1
	s_cbranch_execz .LBB95_98
; %bb.93:
	v_cmp_ngt_f32_e64 s1, |v0|, |v1|
                                        ; implicit-def: $vgpr2_vgpr3
	s_and_saveexec_b32 s4, s1
	s_delay_alu instid0(SALU_CYCLE_1)
	s_xor_b32 s1, exec_lo, s4
	s_cbranch_execz .LBB95_95
; %bb.94:
	v_div_scale_f32 v2, null, v1, v1, v0
	v_div_scale_f32 v5, vcc_lo, v0, v1, v0
	s_delay_alu instid0(VALU_DEP_2) | instskip(SKIP_1) | instid1(TRANS32_DEP_1)
	v_rcp_f32_e32 v3, v2
	v_nop
	v_fma_f32 v4, -v2, v3, 1.0
	s_delay_alu instid0(VALU_DEP_1) | instskip(NEXT) | instid1(VALU_DEP_1)
	v_fmac_f32_e32 v3, v4, v3
	v_mul_f32_e32 v4, v5, v3
	s_delay_alu instid0(VALU_DEP_1) | instskip(NEXT) | instid1(VALU_DEP_1)
	v_fma_f32 v6, -v2, v4, v5
	v_fmac_f32_e32 v4, v6, v3
	s_delay_alu instid0(VALU_DEP_1) | instskip(NEXT) | instid1(VALU_DEP_1)
	v_fma_f32 v2, -v2, v4, v5
	v_div_fmas_f32 v2, v2, v3, v4
	s_delay_alu instid0(VALU_DEP_1) | instskip(NEXT) | instid1(VALU_DEP_1)
	v_div_fixup_f32 v2, v2, v1, v0
	v_fmac_f32_e32 v1, v0, v2
	s_delay_alu instid0(VALU_DEP_1) | instskip(SKIP_1) | instid1(VALU_DEP_2)
	v_div_scale_f32 v0, null, v1, v1, 1.0
	v_div_scale_f32 v5, vcc_lo, 1.0, v1, 1.0
	v_rcp_f32_e32 v3, v0
	v_nop
	s_delay_alu instid0(TRANS32_DEP_1) | instskip(NEXT) | instid1(VALU_DEP_1)
	v_fma_f32 v4, -v0, v3, 1.0
	v_fmac_f32_e32 v3, v4, v3
	s_delay_alu instid0(VALU_DEP_1) | instskip(NEXT) | instid1(VALU_DEP_1)
	v_mul_f32_e32 v4, v5, v3
	v_fma_f32 v6, -v0, v4, v5
	s_delay_alu instid0(VALU_DEP_1) | instskip(NEXT) | instid1(VALU_DEP_1)
	v_fmac_f32_e32 v4, v6, v3
	v_fma_f32 v0, -v0, v4, v5
	s_delay_alu instid0(VALU_DEP_1) | instskip(NEXT) | instid1(VALU_DEP_1)
	v_div_fmas_f32 v0, v0, v3, v4
	v_div_fixup_f32 v0, v0, v1, 1.0
	s_delay_alu instid0(VALU_DEP_1)
	v_mul_f32_e32 v2, v2, v0
	v_xor_b32_e32 v3, 0x80000000, v0
                                        ; implicit-def: $vgpr0_vgpr1
.LBB95_95:
	s_and_not1_saveexec_b32 s1, s1
	s_cbranch_execz .LBB95_97
; %bb.96:
	v_div_scale_f32 v2, null, v0, v0, v1
	v_div_scale_f32 v5, vcc_lo, v1, v0, v1
	s_delay_alu instid0(VALU_DEP_2) | instskip(SKIP_1) | instid1(TRANS32_DEP_1)
	v_rcp_f32_e32 v3, v2
	v_nop
	v_fma_f32 v4, -v2, v3, 1.0
	s_delay_alu instid0(VALU_DEP_1) | instskip(NEXT) | instid1(VALU_DEP_1)
	v_fmac_f32_e32 v3, v4, v3
	v_mul_f32_e32 v4, v5, v3
	s_delay_alu instid0(VALU_DEP_1) | instskip(NEXT) | instid1(VALU_DEP_1)
	v_fma_f32 v6, -v2, v4, v5
	v_fmac_f32_e32 v4, v6, v3
	s_delay_alu instid0(VALU_DEP_1) | instskip(NEXT) | instid1(VALU_DEP_1)
	v_fma_f32 v2, -v2, v4, v5
	v_div_fmas_f32 v2, v2, v3, v4
	s_delay_alu instid0(VALU_DEP_1) | instskip(NEXT) | instid1(VALU_DEP_1)
	v_div_fixup_f32 v3, v2, v0, v1
	v_fmac_f32_e32 v0, v1, v3
	s_delay_alu instid0(VALU_DEP_1) | instskip(NEXT) | instid1(VALU_DEP_1)
	v_div_scale_f32 v1, null, v0, v0, 1.0
	v_rcp_f32_e32 v2, v1
	v_nop
	s_delay_alu instid0(TRANS32_DEP_1) | instskip(NEXT) | instid1(VALU_DEP_1)
	v_fma_f32 v4, -v1, v2, 1.0
	v_fmac_f32_e32 v2, v4, v2
	v_div_scale_f32 v4, vcc_lo, 1.0, v0, 1.0
	s_delay_alu instid0(VALU_DEP_1) | instskip(NEXT) | instid1(VALU_DEP_1)
	v_mul_f32_e32 v5, v4, v2
	v_fma_f32 v6, -v1, v5, v4
	s_delay_alu instid0(VALU_DEP_1) | instskip(NEXT) | instid1(VALU_DEP_1)
	v_fmac_f32_e32 v5, v6, v2
	v_fma_f32 v1, -v1, v5, v4
	s_delay_alu instid0(VALU_DEP_1) | instskip(NEXT) | instid1(VALU_DEP_1)
	v_div_fmas_f32 v1, v1, v2, v5
	v_div_fixup_f32 v2, v1, v0, 1.0
	s_delay_alu instid0(VALU_DEP_1)
	v_mul_f32_e64 v3, v3, -v2
.LBB95_97:
	s_or_b32 exec_lo, exec_lo, s1
	ds_store_b64 v55, v[2:3]
.LBB95_98:
	s_or_b32 exec_lo, exec_lo, s2
	s_wait_dscnt 0x0
	s_barrier_signal -1
	s_barrier_wait -1
	ds_load_b64 v[214:215], v55
	s_mov_b32 s1, exec_lo
	v_cmpx_lt_u32_e32 10, v54
	s_cbranch_execz .LBB95_100
; %bb.99:
	ds_load_2addr_b64 v[4:7], v56 offset0:11 offset1:12
	s_wait_dscnt 0x1
	v_pk_mul_f32 v[2:3], v[214:215], v[30:31] op_sel:[1,1] op_sel_hi:[0,1]
	s_delay_alu instid0(VALU_DEP_1) | instskip(SKIP_1) | instid1(VALU_DEP_1)
	v_pk_fma_f32 v[0:1], v[214:215], v[30:31], v[2:3] op_sel_hi:[1,0,1] neg_lo:[0,0,1] neg_hi:[0,0,1]
	v_pk_fma_f32 v[2:3], v[214:215], v[30:31], v[2:3] op_sel_hi:[1,0,1]
	v_dual_mov_b32 v30, v0 :: v_dual_mov_b32 v31, v3
	s_wait_dscnt 0x0
	s_delay_alu instid0(VALU_DEP_2) | instskip(NEXT) | instid1(VALU_DEP_1)
	v_pk_mul_f32 v[8:9], v[4:5], v[2:3] op_sel:[0,1]
	v_pk_fma_f32 v[10:11], v[4:5], v[0:1], v[8:9] op_sel:[0,0,1] op_sel_hi:[1,1,0] neg_lo:[0,0,1] neg_hi:[0,0,1]
	v_pk_fma_f32 v[4:5], v[4:5], v[0:1], v[8:9] op_sel:[0,0,1] op_sel_hi:[1,0,0]
	s_delay_alu instid0(VALU_DEP_1) | instskip(SKIP_1) | instid1(VALU_DEP_1)
	v_mov_b32_e32 v11, v5
	v_pk_mul_f32 v[4:5], v[6:7], v[2:3] op_sel:[0,1]
	v_pk_fma_f32 v[8:9], v[6:7], v[0:1], v[4:5] op_sel:[0,0,1] op_sel_hi:[1,1,0] neg_lo:[0,0,1] neg_hi:[0,0,1]
	v_pk_fma_f32 v[4:5], v[6:7], v[0:1], v[4:5] op_sel:[0,0,1] op_sel_hi:[1,0,0]
	s_delay_alu instid0(VALU_DEP_1)
	v_mov_b32_e32 v9, v5
	ds_load_2addr_b64 v[4:7], v56 offset0:13 offset1:14
	v_pk_add_f32 v[26:27], v[26:27], v[10:11] neg_lo:[0,1] neg_hi:[0,1]
	v_pk_add_f32 v[50:51], v[50:51], v[8:9] neg_lo:[0,1] neg_hi:[0,1]
	s_wait_dscnt 0x0
	v_pk_mul_f32 v[8:9], v[4:5], v[2:3] op_sel:[0,1]
	s_delay_alu instid0(VALU_DEP_1) | instskip(SKIP_2) | instid1(VALU_DEP_2)
	v_pk_fma_f32 v[10:11], v[4:5], v[0:1], v[8:9] op_sel:[0,0,1] op_sel_hi:[1,1,0] neg_lo:[0,0,1] neg_hi:[0,0,1]
	v_pk_fma_f32 v[4:5], v[4:5], v[0:1], v[8:9] op_sel:[0,0,1] op_sel_hi:[1,0,0]
	v_dual_mul_f32 v8, v7, v3 :: v_dual_mov_b32 v4, v7
	v_dual_mov_b32 v11, v5 :: v_dual_mov_b32 v5, v6
	s_delay_alu instid0(VALU_DEP_2) | instskip(SKIP_1) | instid1(VALU_DEP_3)
	v_pk_fma_f32 v[8:9], v[6:7], v[30:31], v[8:9] op_sel_hi:[1,1,0] neg_lo:[0,0,1] neg_hi:[0,0,1]
	v_mul_f32_e32 v6, v7, v0
	v_pk_add_f32 v[46:47], v[46:47], v[10:11] neg_lo:[0,1] neg_hi:[0,1]
	s_delay_alu instid0(VALU_DEP_2) | instskip(NEXT) | instid1(VALU_DEP_1)
	v_pk_fma_f32 v[4:5], v[4:5], v[30:31], v[6:7] op_sel_hi:[1,1,0]
	v_mov_b32_e32 v9, v5
	ds_load_2addr_b64 v[4:7], v56 offset0:15 offset1:16
	v_pk_add_f32 v[48:49], v[48:49], v[8:9] neg_lo:[0,1] neg_hi:[0,1]
	s_wait_dscnt 0x0
	v_pk_mul_f32 v[8:9], v[4:5], v[2:3] op_sel:[0,1]
	s_delay_alu instid0(VALU_DEP_1) | instskip(SKIP_1) | instid1(VALU_DEP_1)
	v_pk_fma_f32 v[10:11], v[4:5], v[0:1], v[8:9] op_sel:[0,0,1] op_sel_hi:[1,1,0] neg_lo:[0,0,1] neg_hi:[0,0,1]
	v_pk_fma_f32 v[4:5], v[4:5], v[0:1], v[8:9] op_sel:[0,0,1] op_sel_hi:[1,0,0]
	v_mov_b32_e32 v11, v5
	v_pk_mul_f32 v[4:5], v[6:7], v[2:3] op_sel:[0,1]
	s_delay_alu instid0(VALU_DEP_1) | instskip(SKIP_1) | instid1(VALU_DEP_1)
	v_pk_fma_f32 v[8:9], v[6:7], v[0:1], v[4:5] op_sel:[0,0,1] op_sel_hi:[1,1,0] neg_lo:[0,0,1] neg_hi:[0,0,1]
	v_pk_fma_f32 v[4:5], v[6:7], v[0:1], v[4:5] op_sel:[0,0,1] op_sel_hi:[1,0,0]
	v_mov_b32_e32 v9, v5
	ds_load_2addr_b64 v[4:7], v56 offset0:17 offset1:18
	v_pk_add_f32 v[44:45], v[44:45], v[10:11] neg_lo:[0,1] neg_hi:[0,1]
	v_pk_add_f32 v[74:75], v[74:75], v[8:9] neg_lo:[0,1] neg_hi:[0,1]
	s_wait_dscnt 0x0
	v_pk_mul_f32 v[8:9], v[4:5], v[2:3] op_sel:[0,1]
	s_delay_alu instid0(VALU_DEP_1) | instskip(SKIP_1) | instid1(VALU_DEP_1)
	v_pk_fma_f32 v[10:11], v[4:5], v[0:1], v[8:9] op_sel:[0,0,1] op_sel_hi:[1,1,0] neg_lo:[0,0,1] neg_hi:[0,0,1]
	v_pk_fma_f32 v[4:5], v[4:5], v[0:1], v[8:9] op_sel:[0,0,1] op_sel_hi:[1,0,0]
	v_mov_b32_e32 v11, v5
	v_pk_mul_f32 v[4:5], v[6:7], v[2:3] op_sel:[0,1]
	s_delay_alu instid0(VALU_DEP_1) | instskip(SKIP_1) | instid1(VALU_DEP_1)
	v_pk_fma_f32 v[8:9], v[6:7], v[0:1], v[4:5] op_sel:[0,0,1] op_sel_hi:[1,1,0] neg_lo:[0,0,1] neg_hi:[0,0,1]
	v_pk_fma_f32 v[4:5], v[6:7], v[0:1], v[4:5] op_sel:[0,0,1] op_sel_hi:[1,0,0]
	v_mov_b32_e32 v9, v5
	ds_load_2addr_b64 v[4:7], v56 offset0:19 offset1:20
	v_pk_add_f32 v[70:71], v[70:71], v[10:11] neg_lo:[0,1] neg_hi:[0,1]
	v_pk_add_f32 v[72:73], v[72:73], v[8:9] neg_lo:[0,1] neg_hi:[0,1]
	s_wait_dscnt 0x0
	v_dual_mul_f32 v8, v5, v3 :: v_dual_mul_f32 v10, v5, v0
	s_delay_alu instid0(VALU_DEP_1) | instskip(NEXT) | instid1(VALU_DEP_2)
	v_pk_fma_f32 v[8:9], v[4:5], v[30:31], v[8:9] op_sel_hi:[1,1,0] neg_lo:[0,0,1] neg_hi:[0,0,1]
	v_pk_fma_f32 v[4:5], v[4:5], v[30:31], v[10:11] op_sel:[1,0,0] op_sel_hi:[0,1,0]
	s_delay_alu instid0(VALU_DEP_1) | instskip(SKIP_1) | instid1(VALU_DEP_2)
	v_mov_b32_e32 v9, v5
	v_pk_mul_f32 v[4:5], v[6:7], v[2:3] op_sel:[0,1]
	v_pk_add_f32 v[68:69], v[68:69], v[8:9] neg_lo:[0,1] neg_hi:[0,1]
	s_delay_alu instid0(VALU_DEP_2) | instskip(SKIP_1) | instid1(VALU_DEP_1)
	v_pk_fma_f32 v[8:9], v[6:7], v[0:1], v[4:5] op_sel:[0,0,1] op_sel_hi:[1,1,0] neg_lo:[0,0,1] neg_hi:[0,0,1]
	v_pk_fma_f32 v[4:5], v[6:7], v[0:1], v[4:5] op_sel:[0,0,1] op_sel_hi:[1,0,0]
	v_mov_b32_e32 v9, v5
	ds_load_2addr_b64 v[4:7], v56 offset0:21 offset1:22
	v_pk_add_f32 v[96:97], v[96:97], v[8:9] neg_lo:[0,1] neg_hi:[0,1]
	s_wait_dscnt 0x0
	v_pk_mul_f32 v[8:9], v[4:5], v[2:3] op_sel:[0,1]
	s_delay_alu instid0(VALU_DEP_1) | instskip(SKIP_1) | instid1(VALU_DEP_1)
	v_pk_fma_f32 v[10:11], v[4:5], v[0:1], v[8:9] op_sel:[0,0,1] op_sel_hi:[1,1,0] neg_lo:[0,0,1] neg_hi:[0,0,1]
	v_pk_fma_f32 v[4:5], v[4:5], v[0:1], v[8:9] op_sel:[0,0,1] op_sel_hi:[1,0,0]
	v_mov_b32_e32 v11, v5
	v_pk_mul_f32 v[4:5], v[6:7], v[2:3] op_sel:[0,1]
	s_delay_alu instid0(VALU_DEP_2) | instskip(NEXT) | instid1(VALU_DEP_2)
	v_pk_add_f32 v[92:93], v[92:93], v[10:11] neg_lo:[0,1] neg_hi:[0,1]
	v_pk_fma_f32 v[8:9], v[6:7], v[0:1], v[4:5] op_sel:[0,0,1] op_sel_hi:[1,1,0] neg_lo:[0,0,1] neg_hi:[0,0,1]
	v_pk_fma_f32 v[4:5], v[6:7], v[0:1], v[4:5] op_sel:[0,0,1] op_sel_hi:[1,0,0]
	s_delay_alu instid0(VALU_DEP_1) | instskip(SKIP_4) | instid1(VALU_DEP_1)
	v_mov_b32_e32 v9, v5
	ds_load_2addr_b64 v[4:7], v56 offset0:23 offset1:24
	v_pk_add_f32 v[94:95], v[94:95], v[8:9] neg_lo:[0,1] neg_hi:[0,1]
	s_wait_dscnt 0x0
	v_pk_mul_f32 v[8:9], v[4:5], v[2:3] op_sel:[0,1]
	v_pk_fma_f32 v[10:11], v[4:5], v[0:1], v[8:9] op_sel:[0,0,1] op_sel_hi:[1,1,0] neg_lo:[0,0,1] neg_hi:[0,0,1]
	v_pk_fma_f32 v[4:5], v[4:5], v[0:1], v[8:9] op_sel:[0,0,1] op_sel_hi:[1,0,0]
	v_dual_mul_f32 v8, v7, v3 :: v_dual_mov_b32 v4, v7
	s_delay_alu instid0(VALU_DEP_2) | instskip(NEXT) | instid1(VALU_DEP_2)
	v_dual_mov_b32 v11, v5 :: v_dual_mov_b32 v5, v6
	v_pk_fma_f32 v[8:9], v[6:7], v[30:31], v[8:9] op_sel_hi:[1,1,0] neg_lo:[0,0,1] neg_hi:[0,0,1]
	v_mul_f32_e32 v6, v7, v0
	s_delay_alu instid0(VALU_DEP_3) | instskip(NEXT) | instid1(VALU_DEP_2)
	v_pk_add_f32 v[90:91], v[90:91], v[10:11] neg_lo:[0,1] neg_hi:[0,1]
	v_pk_fma_f32 v[4:5], v[4:5], v[30:31], v[6:7] op_sel_hi:[1,1,0]
	s_delay_alu instid0(VALU_DEP_1) | instskip(SKIP_4) | instid1(VALU_DEP_1)
	v_mov_b32_e32 v9, v5
	ds_load_2addr_b64 v[4:7], v56 offset0:25 offset1:26
	v_pk_add_f32 v[112:113], v[112:113], v[8:9] neg_lo:[0,1] neg_hi:[0,1]
	s_wait_dscnt 0x0
	v_pk_mul_f32 v[8:9], v[4:5], v[2:3] op_sel:[0,1]
	v_pk_fma_f32 v[10:11], v[4:5], v[0:1], v[8:9] op_sel:[0,0,1] op_sel_hi:[1,1,0] neg_lo:[0,0,1] neg_hi:[0,0,1]
	v_pk_fma_f32 v[4:5], v[4:5], v[0:1], v[8:9] op_sel:[0,0,1] op_sel_hi:[1,0,0]
	s_delay_alu instid0(VALU_DEP_1) | instskip(SKIP_1) | instid1(VALU_DEP_1)
	v_mov_b32_e32 v11, v5
	v_pk_mul_f32 v[4:5], v[6:7], v[2:3] op_sel:[0,1]
	v_pk_fma_f32 v[8:9], v[6:7], v[0:1], v[4:5] op_sel:[0,0,1] op_sel_hi:[1,1,0] neg_lo:[0,0,1] neg_hi:[0,0,1]
	v_pk_fma_f32 v[4:5], v[6:7], v[0:1], v[4:5] op_sel:[0,0,1] op_sel_hi:[1,0,0]
	s_delay_alu instid0(VALU_DEP_1)
	v_mov_b32_e32 v9, v5
	ds_load_2addr_b64 v[4:7], v56 offset0:27 offset1:28
	v_pk_add_f32 v[108:109], v[108:109], v[10:11] neg_lo:[0,1] neg_hi:[0,1]
	v_pk_add_f32 v[110:111], v[110:111], v[8:9] neg_lo:[0,1] neg_hi:[0,1]
	s_wait_dscnt 0x0
	v_pk_mul_f32 v[8:9], v[4:5], v[2:3] op_sel:[0,1]
	s_delay_alu instid0(VALU_DEP_1) | instskip(SKIP_1) | instid1(VALU_DEP_1)
	v_pk_fma_f32 v[10:11], v[4:5], v[0:1], v[8:9] op_sel:[0,0,1] op_sel_hi:[1,1,0] neg_lo:[0,0,1] neg_hi:[0,0,1]
	v_pk_fma_f32 v[4:5], v[4:5], v[0:1], v[8:9] op_sel:[0,0,1] op_sel_hi:[1,0,0]
	v_mov_b32_e32 v11, v5
	v_pk_mul_f32 v[4:5], v[6:7], v[2:3] op_sel:[0,1]
	s_delay_alu instid0(VALU_DEP_1) | instskip(SKIP_1) | instid1(VALU_DEP_1)
	v_pk_fma_f32 v[8:9], v[6:7], v[0:1], v[4:5] op_sel:[0,0,1] op_sel_hi:[1,1,0] neg_lo:[0,0,1] neg_hi:[0,0,1]
	v_pk_fma_f32 v[4:5], v[6:7], v[0:1], v[4:5] op_sel:[0,0,1] op_sel_hi:[1,0,0]
	v_mov_b32_e32 v9, v5
	ds_load_2addr_b64 v[4:7], v56 offset0:29 offset1:30
	v_pk_add_f32 v[106:107], v[106:107], v[10:11] neg_lo:[0,1] neg_hi:[0,1]
	v_pk_add_f32 v[128:129], v[128:129], v[8:9] neg_lo:[0,1] neg_hi:[0,1]
	s_wait_dscnt 0x0
	v_dual_mul_f32 v8, v5, v3 :: v_dual_mul_f32 v10, v5, v0
	s_delay_alu instid0(VALU_DEP_1) | instskip(NEXT) | instid1(VALU_DEP_2)
	v_pk_fma_f32 v[8:9], v[4:5], v[30:31], v[8:9] op_sel_hi:[1,1,0] neg_lo:[0,0,1] neg_hi:[0,0,1]
	v_pk_fma_f32 v[4:5], v[4:5], v[30:31], v[10:11] op_sel:[1,0,0] op_sel_hi:[0,1,0]
	s_delay_alu instid0(VALU_DEP_1) | instskip(SKIP_1) | instid1(VALU_DEP_2)
	v_mov_b32_e32 v9, v5
	v_pk_mul_f32 v[4:5], v[6:7], v[2:3] op_sel:[0,1]
	v_pk_add_f32 v[124:125], v[124:125], v[8:9] neg_lo:[0,1] neg_hi:[0,1]
	s_delay_alu instid0(VALU_DEP_2) | instskip(SKIP_1) | instid1(VALU_DEP_1)
	v_pk_fma_f32 v[8:9], v[6:7], v[0:1], v[4:5] op_sel:[0,0,1] op_sel_hi:[1,1,0] neg_lo:[0,0,1] neg_hi:[0,0,1]
	v_pk_fma_f32 v[4:5], v[6:7], v[0:1], v[4:5] op_sel:[0,0,1] op_sel_hi:[1,0,0]
	v_mov_b32_e32 v9, v5
	ds_load_2addr_b64 v[4:7], v56 offset0:31 offset1:32
	v_pk_add_f32 v[126:127], v[126:127], v[8:9] neg_lo:[0,1] neg_hi:[0,1]
	s_wait_dscnt 0x0
	v_pk_mul_f32 v[8:9], v[4:5], v[2:3] op_sel:[0,1]
	s_delay_alu instid0(VALU_DEP_1) | instskip(SKIP_1) | instid1(VALU_DEP_1)
	v_pk_fma_f32 v[10:11], v[4:5], v[0:1], v[8:9] op_sel:[0,0,1] op_sel_hi:[1,1,0] neg_lo:[0,0,1] neg_hi:[0,0,1]
	v_pk_fma_f32 v[4:5], v[4:5], v[0:1], v[8:9] op_sel:[0,0,1] op_sel_hi:[1,0,0]
	v_mov_b32_e32 v11, v5
	v_pk_mul_f32 v[4:5], v[6:7], v[2:3] op_sel:[0,1]
	s_delay_alu instid0(VALU_DEP_2) | instskip(NEXT) | instid1(VALU_DEP_2)
	v_pk_add_f32 v[122:123], v[122:123], v[10:11] neg_lo:[0,1] neg_hi:[0,1]
	v_pk_fma_f32 v[8:9], v[6:7], v[0:1], v[4:5] op_sel:[0,0,1] op_sel_hi:[1,1,0] neg_lo:[0,0,1] neg_hi:[0,0,1]
	v_pk_fma_f32 v[4:5], v[6:7], v[0:1], v[4:5] op_sel:[0,0,1] op_sel_hi:[1,0,0]
	s_delay_alu instid0(VALU_DEP_1) | instskip(SKIP_4) | instid1(VALU_DEP_1)
	v_mov_b32_e32 v9, v5
	ds_load_2addr_b64 v[4:7], v56 offset0:33 offset1:34
	v_pk_add_f32 v[144:145], v[144:145], v[8:9] neg_lo:[0,1] neg_hi:[0,1]
	s_wait_dscnt 0x0
	v_pk_mul_f32 v[8:9], v[4:5], v[2:3] op_sel:[0,1]
	v_pk_fma_f32 v[10:11], v[4:5], v[0:1], v[8:9] op_sel:[0,0,1] op_sel_hi:[1,1,0] neg_lo:[0,0,1] neg_hi:[0,0,1]
	v_pk_fma_f32 v[4:5], v[4:5], v[0:1], v[8:9] op_sel:[0,0,1] op_sel_hi:[1,0,0]
	v_dual_mul_f32 v8, v7, v3 :: v_dual_mov_b32 v4, v7
	s_delay_alu instid0(VALU_DEP_2) | instskip(NEXT) | instid1(VALU_DEP_2)
	v_dual_mov_b32 v11, v5 :: v_dual_mov_b32 v5, v6
	v_pk_fma_f32 v[8:9], v[6:7], v[30:31], v[8:9] op_sel_hi:[1,1,0] neg_lo:[0,0,1] neg_hi:[0,0,1]
	v_mul_f32_e32 v6, v7, v0
	s_delay_alu instid0(VALU_DEP_3) | instskip(NEXT) | instid1(VALU_DEP_2)
	v_pk_add_f32 v[140:141], v[140:141], v[10:11] neg_lo:[0,1] neg_hi:[0,1]
	v_pk_fma_f32 v[4:5], v[4:5], v[30:31], v[6:7] op_sel_hi:[1,1,0]
	s_delay_alu instid0(VALU_DEP_1) | instskip(SKIP_4) | instid1(VALU_DEP_1)
	v_mov_b32_e32 v9, v5
	ds_load_2addr_b64 v[4:7], v56 offset0:35 offset1:36
	v_pk_add_f32 v[142:143], v[142:143], v[8:9] neg_lo:[0,1] neg_hi:[0,1]
	s_wait_dscnt 0x0
	v_pk_mul_f32 v[8:9], v[4:5], v[2:3] op_sel:[0,1]
	v_pk_fma_f32 v[10:11], v[4:5], v[0:1], v[8:9] op_sel:[0,0,1] op_sel_hi:[1,1,0] neg_lo:[0,0,1] neg_hi:[0,0,1]
	v_pk_fma_f32 v[4:5], v[4:5], v[0:1], v[8:9] op_sel:[0,0,1] op_sel_hi:[1,0,0]
	s_delay_alu instid0(VALU_DEP_1) | instskip(SKIP_1) | instid1(VALU_DEP_1)
	v_mov_b32_e32 v11, v5
	v_pk_mul_f32 v[4:5], v[6:7], v[2:3] op_sel:[0,1]
	v_pk_fma_f32 v[8:9], v[6:7], v[0:1], v[4:5] op_sel:[0,0,1] op_sel_hi:[1,1,0] neg_lo:[0,0,1] neg_hi:[0,0,1]
	v_pk_fma_f32 v[4:5], v[6:7], v[0:1], v[4:5] op_sel:[0,0,1] op_sel_hi:[1,0,0]
	s_delay_alu instid0(VALU_DEP_1)
	v_mov_b32_e32 v9, v5
	ds_load_2addr_b64 v[4:7], v56 offset0:37 offset1:38
	v_pk_add_f32 v[138:139], v[138:139], v[10:11] neg_lo:[0,1] neg_hi:[0,1]
	v_pk_add_f32 v[164:165], v[164:165], v[8:9] neg_lo:[0,1] neg_hi:[0,1]
	s_wait_dscnt 0x0
	v_pk_mul_f32 v[8:9], v[4:5], v[2:3] op_sel:[0,1]
	s_delay_alu instid0(VALU_DEP_1) | instskip(SKIP_1) | instid1(VALU_DEP_1)
	v_pk_fma_f32 v[10:11], v[4:5], v[0:1], v[8:9] op_sel:[0,0,1] op_sel_hi:[1,1,0] neg_lo:[0,0,1] neg_hi:[0,0,1]
	v_pk_fma_f32 v[4:5], v[4:5], v[0:1], v[8:9] op_sel:[0,0,1] op_sel_hi:[1,0,0]
	v_mov_b32_e32 v11, v5
	v_pk_mul_f32 v[4:5], v[6:7], v[2:3] op_sel:[0,1]
	s_delay_alu instid0(VALU_DEP_1) | instskip(SKIP_1) | instid1(VALU_DEP_1)
	v_pk_fma_f32 v[8:9], v[6:7], v[0:1], v[4:5] op_sel:[0,0,1] op_sel_hi:[1,1,0] neg_lo:[0,0,1] neg_hi:[0,0,1]
	v_pk_fma_f32 v[4:5], v[6:7], v[0:1], v[4:5] op_sel:[0,0,1] op_sel_hi:[1,0,0]
	v_mov_b32_e32 v9, v5
	ds_load_2addr_b64 v[4:7], v56 offset0:39 offset1:40
	v_pk_add_f32 v[160:161], v[160:161], v[10:11] neg_lo:[0,1] neg_hi:[0,1]
	v_pk_add_f32 v[162:163], v[162:163], v[8:9] neg_lo:[0,1] neg_hi:[0,1]
	s_wait_dscnt 0x0
	v_dual_mul_f32 v8, v5, v3 :: v_dual_mul_f32 v10, v5, v0
	s_delay_alu instid0(VALU_DEP_1) | instskip(NEXT) | instid1(VALU_DEP_2)
	v_pk_fma_f32 v[8:9], v[4:5], v[30:31], v[8:9] op_sel_hi:[1,1,0] neg_lo:[0,0,1] neg_hi:[0,0,1]
	v_pk_fma_f32 v[4:5], v[4:5], v[30:31], v[10:11] op_sel:[1,0,0] op_sel_hi:[0,1,0]
	s_delay_alu instid0(VALU_DEP_1) | instskip(SKIP_1) | instid1(VALU_DEP_2)
	v_mov_b32_e32 v9, v5
	v_pk_mul_f32 v[4:5], v[6:7], v[2:3] op_sel:[0,1]
	v_pk_add_f32 v[158:159], v[158:159], v[8:9] neg_lo:[0,1] neg_hi:[0,1]
	s_delay_alu instid0(VALU_DEP_2) | instskip(SKIP_1) | instid1(VALU_DEP_1)
	v_pk_fma_f32 v[8:9], v[6:7], v[0:1], v[4:5] op_sel:[0,0,1] op_sel_hi:[1,1,0] neg_lo:[0,0,1] neg_hi:[0,0,1]
	v_pk_fma_f32 v[4:5], v[6:7], v[0:1], v[4:5] op_sel:[0,0,1] op_sel_hi:[1,0,0]
	v_mov_b32_e32 v9, v5
	ds_load_2addr_b64 v[4:7], v56 offset0:41 offset1:42
	v_pk_add_f32 v[188:189], v[188:189], v[8:9] neg_lo:[0,1] neg_hi:[0,1]
	s_wait_dscnt 0x0
	v_pk_mul_f32 v[8:9], v[4:5], v[2:3] op_sel:[0,1]
	s_delay_alu instid0(VALU_DEP_1) | instskip(SKIP_1) | instid1(VALU_DEP_1)
	v_pk_fma_f32 v[10:11], v[4:5], v[0:1], v[8:9] op_sel:[0,0,1] op_sel_hi:[1,1,0] neg_lo:[0,0,1] neg_hi:[0,0,1]
	v_pk_fma_f32 v[4:5], v[4:5], v[0:1], v[8:9] op_sel:[0,0,1] op_sel_hi:[1,0,0]
	v_mov_b32_e32 v11, v5
	v_pk_mul_f32 v[4:5], v[6:7], v[2:3] op_sel:[0,1]
	s_delay_alu instid0(VALU_DEP_2) | instskip(NEXT) | instid1(VALU_DEP_2)
	v_pk_add_f32 v[182:183], v[182:183], v[10:11] neg_lo:[0,1] neg_hi:[0,1]
	v_pk_fma_f32 v[8:9], v[6:7], v[0:1], v[4:5] op_sel:[0,0,1] op_sel_hi:[1,1,0] neg_lo:[0,0,1] neg_hi:[0,0,1]
	v_pk_fma_f32 v[4:5], v[6:7], v[0:1], v[4:5] op_sel:[0,0,1] op_sel_hi:[1,0,0]
	s_delay_alu instid0(VALU_DEP_1) | instskip(SKIP_4) | instid1(VALU_DEP_1)
	v_mov_b32_e32 v9, v5
	ds_load_2addr_b64 v[4:7], v56 offset0:43 offset1:44
	v_pk_add_f32 v[186:187], v[186:187], v[8:9] neg_lo:[0,1] neg_hi:[0,1]
	s_wait_dscnt 0x0
	v_pk_mul_f32 v[8:9], v[4:5], v[2:3] op_sel:[0,1]
	v_pk_fma_f32 v[10:11], v[4:5], v[0:1], v[8:9] op_sel:[0,0,1] op_sel_hi:[1,1,0] neg_lo:[0,0,1] neg_hi:[0,0,1]
	v_pk_fma_f32 v[4:5], v[4:5], v[0:1], v[8:9] op_sel:[0,0,1] op_sel_hi:[1,0,0]
	v_dual_mul_f32 v8, v7, v3 :: v_dual_mov_b32 v4, v7
	s_delay_alu instid0(VALU_DEP_2) | instskip(NEXT) | instid1(VALU_DEP_2)
	v_dual_mov_b32 v11, v5 :: v_dual_mov_b32 v5, v6
	v_pk_fma_f32 v[8:9], v[6:7], v[30:31], v[8:9] op_sel_hi:[1,1,0] neg_lo:[0,0,1] neg_hi:[0,0,1]
	v_mul_f32_e32 v6, v7, v0
	s_delay_alu instid0(VALU_DEP_3) | instskip(NEXT) | instid1(VALU_DEP_2)
	v_pk_add_f32 v[180:181], v[180:181], v[10:11] neg_lo:[0,1] neg_hi:[0,1]
	v_pk_fma_f32 v[4:5], v[4:5], v[30:31], v[6:7] op_sel_hi:[1,1,0]
	s_delay_alu instid0(VALU_DEP_1) | instskip(SKIP_4) | instid1(VALU_DEP_1)
	v_mov_b32_e32 v9, v5
	ds_load_2addr_b64 v[4:7], v56 offset0:45 offset1:46
	v_pk_add_f32 v[184:185], v[184:185], v[8:9] neg_lo:[0,1] neg_hi:[0,1]
	s_wait_dscnt 0x0
	v_pk_mul_f32 v[8:9], v[4:5], v[2:3] op_sel:[0,1]
	v_pk_fma_f32 v[10:11], v[4:5], v[0:1], v[8:9] op_sel:[0,0,1] op_sel_hi:[1,1,0] neg_lo:[0,0,1] neg_hi:[0,0,1]
	v_pk_fma_f32 v[4:5], v[4:5], v[0:1], v[8:9] op_sel:[0,0,1] op_sel_hi:[1,0,0]
	s_delay_alu instid0(VALU_DEP_1) | instskip(SKIP_1) | instid1(VALU_DEP_1)
	v_mov_b32_e32 v11, v5
	v_pk_mul_f32 v[4:5], v[6:7], v[2:3] op_sel:[0,1]
	v_pk_fma_f32 v[8:9], v[6:7], v[0:1], v[4:5] op_sel:[0,0,1] op_sel_hi:[1,1,0] neg_lo:[0,0,1] neg_hi:[0,0,1]
	v_pk_fma_f32 v[4:5], v[6:7], v[0:1], v[4:5] op_sel:[0,0,1] op_sel_hi:[1,0,0]
	s_delay_alu instid0(VALU_DEP_1)
	v_mov_b32_e32 v9, v5
	ds_load_b64 v[4:5], v56 offset:376
	v_pk_add_f32 v[178:179], v[178:179], v[10:11] neg_lo:[0,1] neg_hi:[0,1]
	v_pk_add_f32 v[190:191], v[190:191], v[8:9] neg_lo:[0,1] neg_hi:[0,1]
	s_wait_dscnt 0x0
	v_pk_mul_f32 v[2:3], v[4:5], v[2:3] op_sel:[0,1]
	s_delay_alu instid0(VALU_DEP_1) | instskip(SKIP_1) | instid1(VALU_DEP_1)
	v_pk_fma_f32 v[6:7], v[4:5], v[0:1], v[2:3] op_sel:[0,0,1] op_sel_hi:[1,1,0] neg_lo:[0,0,1] neg_hi:[0,0,1]
	v_pk_fma_f32 v[0:1], v[4:5], v[0:1], v[2:3] op_sel:[0,0,1] op_sel_hi:[1,0,0]
	v_mov_b32_e32 v7, v1
	s_delay_alu instid0(VALU_DEP_1)
	v_pk_add_f32 v[192:193], v[192:193], v[6:7] neg_lo:[0,1] neg_hi:[0,1]
.LBB95_100:
	s_or_b32 exec_lo, exec_lo, s1
	s_delay_alu instid0(SALU_CYCLE_1)
	s_mov_b32 s2, exec_lo
	s_wait_dscnt 0x0
	s_barrier_signal -1
	s_barrier_wait -1
	v_cmpx_eq_u32_e32 11, v54
	s_cbranch_execz .LBB95_107
; %bb.101:
	v_dual_mov_b32 v0, v50 :: v_dual_mov_b32 v1, v51
	v_dual_mov_b32 v2, v46 :: v_dual_mov_b32 v3, v47
	;; [unrolled: 1-line block ×10, first 2 shown]
	ds_store_b64 v55, v[26:27]
	v_dual_mov_b32 v22, v94 :: v_dual_mov_b32 v23, v95
	v_dual_mov_b32 v24, v90 :: v_dual_mov_b32 v25, v91
	ds_store_2addr_b64 v56, v[0:1], v[2:3] offset0:12 offset1:13
	ds_store_2addr_b64 v56, v[4:5], v[6:7] offset0:14 offset1:15
	;; [unrolled: 1-line block ×6, first 2 shown]
	v_dual_mov_b32 v0, v112 :: v_dual_mov_b32 v1, v113
	v_dual_mov_b32 v2, v108 :: v_dual_mov_b32 v3, v109
	;; [unrolled: 1-line block ×12, first 2 shown]
	ds_store_2addr_b64 v56, v[0:1], v[2:3] offset0:24 offset1:25
	ds_store_2addr_b64 v56, v[4:5], v[6:7] offset0:26 offset1:27
	;; [unrolled: 1-line block ×6, first 2 shown]
	v_dual_mov_b32 v0, v164 :: v_dual_mov_b32 v1, v165
	v_dual_mov_b32 v2, v160 :: v_dual_mov_b32 v3, v161
	;; [unrolled: 1-line block ×11, first 2 shown]
	ds_store_2addr_b64 v56, v[0:1], v[2:3] offset0:36 offset1:37
	ds_store_2addr_b64 v56, v[4:5], v[6:7] offset0:38 offset1:39
	;; [unrolled: 1-line block ×6, first 2 shown]
	ds_load_b64 v[0:1], v55
	s_wait_dscnt 0x0
	v_cmp_neq_f32_e32 vcc_lo, 0, v0
	v_cmp_neq_f32_e64 s1, 0, v1
	s_or_b32 s1, vcc_lo, s1
	s_delay_alu instid0(SALU_CYCLE_1)
	s_and_b32 exec_lo, exec_lo, s1
	s_cbranch_execz .LBB95_107
; %bb.102:
	v_cmp_ngt_f32_e64 s1, |v0|, |v1|
                                        ; implicit-def: $vgpr2_vgpr3
	s_and_saveexec_b32 s4, s1
	s_delay_alu instid0(SALU_CYCLE_1)
	s_xor_b32 s1, exec_lo, s4
	s_cbranch_execz .LBB95_104
; %bb.103:
	v_div_scale_f32 v2, null, v1, v1, v0
	v_div_scale_f32 v5, vcc_lo, v0, v1, v0
	s_delay_alu instid0(VALU_DEP_2) | instskip(SKIP_1) | instid1(TRANS32_DEP_1)
	v_rcp_f32_e32 v3, v2
	v_nop
	v_fma_f32 v4, -v2, v3, 1.0
	s_delay_alu instid0(VALU_DEP_1) | instskip(NEXT) | instid1(VALU_DEP_1)
	v_fmac_f32_e32 v3, v4, v3
	v_mul_f32_e32 v4, v5, v3
	s_delay_alu instid0(VALU_DEP_1) | instskip(NEXT) | instid1(VALU_DEP_1)
	v_fma_f32 v6, -v2, v4, v5
	v_fmac_f32_e32 v4, v6, v3
	s_delay_alu instid0(VALU_DEP_1) | instskip(NEXT) | instid1(VALU_DEP_1)
	v_fma_f32 v2, -v2, v4, v5
	v_div_fmas_f32 v2, v2, v3, v4
	s_delay_alu instid0(VALU_DEP_1) | instskip(NEXT) | instid1(VALU_DEP_1)
	v_div_fixup_f32 v2, v2, v1, v0
	v_fmac_f32_e32 v1, v0, v2
	s_delay_alu instid0(VALU_DEP_1) | instskip(SKIP_1) | instid1(VALU_DEP_2)
	v_div_scale_f32 v0, null, v1, v1, 1.0
	v_div_scale_f32 v5, vcc_lo, 1.0, v1, 1.0
	v_rcp_f32_e32 v3, v0
	v_nop
	s_delay_alu instid0(TRANS32_DEP_1) | instskip(NEXT) | instid1(VALU_DEP_1)
	v_fma_f32 v4, -v0, v3, 1.0
	v_fmac_f32_e32 v3, v4, v3
	s_delay_alu instid0(VALU_DEP_1) | instskip(NEXT) | instid1(VALU_DEP_1)
	v_mul_f32_e32 v4, v5, v3
	v_fma_f32 v6, -v0, v4, v5
	s_delay_alu instid0(VALU_DEP_1) | instskip(NEXT) | instid1(VALU_DEP_1)
	v_fmac_f32_e32 v4, v6, v3
	v_fma_f32 v0, -v0, v4, v5
	s_delay_alu instid0(VALU_DEP_1) | instskip(NEXT) | instid1(VALU_DEP_1)
	v_div_fmas_f32 v0, v0, v3, v4
	v_div_fixup_f32 v0, v0, v1, 1.0
	s_delay_alu instid0(VALU_DEP_1)
	v_mul_f32_e32 v2, v2, v0
	v_xor_b32_e32 v3, 0x80000000, v0
                                        ; implicit-def: $vgpr0_vgpr1
.LBB95_104:
	s_and_not1_saveexec_b32 s1, s1
	s_cbranch_execz .LBB95_106
; %bb.105:
	v_div_scale_f32 v2, null, v0, v0, v1
	v_div_scale_f32 v5, vcc_lo, v1, v0, v1
	s_delay_alu instid0(VALU_DEP_2) | instskip(SKIP_1) | instid1(TRANS32_DEP_1)
	v_rcp_f32_e32 v3, v2
	v_nop
	v_fma_f32 v4, -v2, v3, 1.0
	s_delay_alu instid0(VALU_DEP_1) | instskip(NEXT) | instid1(VALU_DEP_1)
	v_fmac_f32_e32 v3, v4, v3
	v_mul_f32_e32 v4, v5, v3
	s_delay_alu instid0(VALU_DEP_1) | instskip(NEXT) | instid1(VALU_DEP_1)
	v_fma_f32 v6, -v2, v4, v5
	v_fmac_f32_e32 v4, v6, v3
	s_delay_alu instid0(VALU_DEP_1) | instskip(NEXT) | instid1(VALU_DEP_1)
	v_fma_f32 v2, -v2, v4, v5
	v_div_fmas_f32 v2, v2, v3, v4
	s_delay_alu instid0(VALU_DEP_1) | instskip(NEXT) | instid1(VALU_DEP_1)
	v_div_fixup_f32 v3, v2, v0, v1
	v_fmac_f32_e32 v0, v1, v3
	s_delay_alu instid0(VALU_DEP_1) | instskip(NEXT) | instid1(VALU_DEP_1)
	v_div_scale_f32 v1, null, v0, v0, 1.0
	v_rcp_f32_e32 v2, v1
	v_nop
	s_delay_alu instid0(TRANS32_DEP_1) | instskip(NEXT) | instid1(VALU_DEP_1)
	v_fma_f32 v4, -v1, v2, 1.0
	v_fmac_f32_e32 v2, v4, v2
	v_div_scale_f32 v4, vcc_lo, 1.0, v0, 1.0
	s_delay_alu instid0(VALU_DEP_1) | instskip(NEXT) | instid1(VALU_DEP_1)
	v_mul_f32_e32 v5, v4, v2
	v_fma_f32 v6, -v1, v5, v4
	s_delay_alu instid0(VALU_DEP_1) | instskip(NEXT) | instid1(VALU_DEP_1)
	v_fmac_f32_e32 v5, v6, v2
	v_fma_f32 v1, -v1, v5, v4
	s_delay_alu instid0(VALU_DEP_1) | instskip(NEXT) | instid1(VALU_DEP_1)
	v_div_fmas_f32 v1, v1, v2, v5
	v_div_fixup_f32 v2, v1, v0, 1.0
	s_delay_alu instid0(VALU_DEP_1)
	v_mul_f32_e64 v3, v3, -v2
.LBB95_106:
	s_or_b32 exec_lo, exec_lo, s1
	ds_store_b64 v55, v[2:3]
.LBB95_107:
	s_or_b32 exec_lo, exec_lo, s2
	s_wait_dscnt 0x0
	s_barrier_signal -1
	s_barrier_wait -1
	ds_load_b64 v[216:217], v55
	s_mov_b32 s1, exec_lo
	v_cmpx_lt_u32_e32 11, v54
	s_cbranch_execz .LBB95_109
; %bb.108:
	ds_load_2addr_b64 v[4:7], v56 offset0:12 offset1:13
	s_wait_dscnt 0x1
	v_pk_mul_f32 v[2:3], v[216:217], v[26:27] op_sel:[1,1] op_sel_hi:[0,1]
	s_delay_alu instid0(VALU_DEP_1) | instskip(SKIP_1) | instid1(VALU_DEP_1)
	v_pk_fma_f32 v[0:1], v[216:217], v[26:27], v[2:3] op_sel_hi:[1,0,1] neg_lo:[0,0,1] neg_hi:[0,0,1]
	v_pk_fma_f32 v[2:3], v[216:217], v[26:27], v[2:3] op_sel_hi:[1,0,1]
	v_dual_mov_b32 v26, v0 :: v_dual_mov_b32 v27, v3
	s_wait_dscnt 0x0
	s_delay_alu instid0(VALU_DEP_2) | instskip(NEXT) | instid1(VALU_DEP_1)
	v_pk_mul_f32 v[8:9], v[4:5], v[2:3] op_sel:[0,1]
	v_pk_fma_f32 v[10:11], v[4:5], v[0:1], v[8:9] op_sel:[0,0,1] op_sel_hi:[1,1,0] neg_lo:[0,0,1] neg_hi:[0,0,1]
	v_pk_fma_f32 v[4:5], v[4:5], v[0:1], v[8:9] op_sel:[0,0,1] op_sel_hi:[1,0,0]
	s_delay_alu instid0(VALU_DEP_1) | instskip(SKIP_1) | instid1(VALU_DEP_1)
	v_mov_b32_e32 v11, v5
	v_pk_mul_f32 v[4:5], v[6:7], v[2:3] op_sel:[0,1]
	v_pk_fma_f32 v[8:9], v[6:7], v[0:1], v[4:5] op_sel:[0,0,1] op_sel_hi:[1,1,0] neg_lo:[0,0,1] neg_hi:[0,0,1]
	v_pk_fma_f32 v[4:5], v[6:7], v[0:1], v[4:5] op_sel:[0,0,1] op_sel_hi:[1,0,0]
	s_delay_alu instid0(VALU_DEP_1)
	v_mov_b32_e32 v9, v5
	ds_load_2addr_b64 v[4:7], v56 offset0:14 offset1:15
	v_pk_add_f32 v[50:51], v[50:51], v[10:11] neg_lo:[0,1] neg_hi:[0,1]
	v_pk_add_f32 v[46:47], v[46:47], v[8:9] neg_lo:[0,1] neg_hi:[0,1]
	s_wait_dscnt 0x0
	v_pk_mul_f32 v[8:9], v[4:5], v[2:3] op_sel:[0,1]
	s_delay_alu instid0(VALU_DEP_1) | instskip(SKIP_2) | instid1(VALU_DEP_2)
	v_pk_fma_f32 v[10:11], v[4:5], v[0:1], v[8:9] op_sel:[0,0,1] op_sel_hi:[1,1,0] neg_lo:[0,0,1] neg_hi:[0,0,1]
	v_pk_fma_f32 v[4:5], v[4:5], v[0:1], v[8:9] op_sel:[0,0,1] op_sel_hi:[1,0,0]
	v_dual_mul_f32 v8, v7, v3 :: v_dual_mov_b32 v4, v7
	v_dual_mov_b32 v11, v5 :: v_dual_mov_b32 v5, v6
	s_delay_alu instid0(VALU_DEP_2) | instskip(SKIP_1) | instid1(VALU_DEP_3)
	v_pk_fma_f32 v[8:9], v[6:7], v[26:27], v[8:9] op_sel_hi:[1,1,0] neg_lo:[0,0,1] neg_hi:[0,0,1]
	v_mul_f32_e32 v6, v7, v0
	v_pk_add_f32 v[48:49], v[48:49], v[10:11] neg_lo:[0,1] neg_hi:[0,1]
	s_delay_alu instid0(VALU_DEP_2) | instskip(NEXT) | instid1(VALU_DEP_1)
	v_pk_fma_f32 v[4:5], v[4:5], v[26:27], v[6:7] op_sel_hi:[1,1,0]
	v_mov_b32_e32 v9, v5
	ds_load_2addr_b64 v[4:7], v56 offset0:16 offset1:17
	v_pk_add_f32 v[44:45], v[44:45], v[8:9] neg_lo:[0,1] neg_hi:[0,1]
	s_wait_dscnt 0x0
	v_pk_mul_f32 v[8:9], v[4:5], v[2:3] op_sel:[0,1]
	s_delay_alu instid0(VALU_DEP_1) | instskip(SKIP_1) | instid1(VALU_DEP_1)
	v_pk_fma_f32 v[10:11], v[4:5], v[0:1], v[8:9] op_sel:[0,0,1] op_sel_hi:[1,1,0] neg_lo:[0,0,1] neg_hi:[0,0,1]
	v_pk_fma_f32 v[4:5], v[4:5], v[0:1], v[8:9] op_sel:[0,0,1] op_sel_hi:[1,0,0]
	v_mov_b32_e32 v11, v5
	v_pk_mul_f32 v[4:5], v[6:7], v[2:3] op_sel:[0,1]
	s_delay_alu instid0(VALU_DEP_1) | instskip(SKIP_1) | instid1(VALU_DEP_1)
	v_pk_fma_f32 v[8:9], v[6:7], v[0:1], v[4:5] op_sel:[0,0,1] op_sel_hi:[1,1,0] neg_lo:[0,0,1] neg_hi:[0,0,1]
	v_pk_fma_f32 v[4:5], v[6:7], v[0:1], v[4:5] op_sel:[0,0,1] op_sel_hi:[1,0,0]
	v_mov_b32_e32 v9, v5
	ds_load_2addr_b64 v[4:7], v56 offset0:18 offset1:19
	v_pk_add_f32 v[74:75], v[74:75], v[10:11] neg_lo:[0,1] neg_hi:[0,1]
	v_pk_add_f32 v[70:71], v[70:71], v[8:9] neg_lo:[0,1] neg_hi:[0,1]
	s_wait_dscnt 0x0
	v_pk_mul_f32 v[8:9], v[4:5], v[2:3] op_sel:[0,1]
	s_delay_alu instid0(VALU_DEP_1) | instskip(SKIP_1) | instid1(VALU_DEP_1)
	v_pk_fma_f32 v[10:11], v[4:5], v[0:1], v[8:9] op_sel:[0,0,1] op_sel_hi:[1,1,0] neg_lo:[0,0,1] neg_hi:[0,0,1]
	v_pk_fma_f32 v[4:5], v[4:5], v[0:1], v[8:9] op_sel:[0,0,1] op_sel_hi:[1,0,0]
	v_mov_b32_e32 v11, v5
	v_pk_mul_f32 v[4:5], v[6:7], v[2:3] op_sel:[0,1]
	s_delay_alu instid0(VALU_DEP_1) | instskip(SKIP_1) | instid1(VALU_DEP_1)
	v_pk_fma_f32 v[8:9], v[6:7], v[0:1], v[4:5] op_sel:[0,0,1] op_sel_hi:[1,1,0] neg_lo:[0,0,1] neg_hi:[0,0,1]
	v_pk_fma_f32 v[4:5], v[6:7], v[0:1], v[4:5] op_sel:[0,0,1] op_sel_hi:[1,0,0]
	v_mov_b32_e32 v9, v5
	ds_load_2addr_b64 v[4:7], v56 offset0:20 offset1:21
	v_pk_add_f32 v[72:73], v[72:73], v[10:11] neg_lo:[0,1] neg_hi:[0,1]
	v_pk_add_f32 v[68:69], v[68:69], v[8:9] neg_lo:[0,1] neg_hi:[0,1]
	s_wait_dscnt 0x0
	v_dual_mul_f32 v8, v5, v3 :: v_dual_mul_f32 v10, v5, v0
	s_delay_alu instid0(VALU_DEP_1) | instskip(NEXT) | instid1(VALU_DEP_2)
	v_pk_fma_f32 v[8:9], v[4:5], v[26:27], v[8:9] op_sel_hi:[1,1,0] neg_lo:[0,0,1] neg_hi:[0,0,1]
	v_pk_fma_f32 v[4:5], v[4:5], v[26:27], v[10:11] op_sel:[1,0,0] op_sel_hi:[0,1,0]
	s_delay_alu instid0(VALU_DEP_1) | instskip(SKIP_1) | instid1(VALU_DEP_2)
	v_mov_b32_e32 v9, v5
	v_pk_mul_f32 v[4:5], v[6:7], v[2:3] op_sel:[0,1]
	v_pk_add_f32 v[96:97], v[96:97], v[8:9] neg_lo:[0,1] neg_hi:[0,1]
	s_delay_alu instid0(VALU_DEP_2) | instskip(SKIP_1) | instid1(VALU_DEP_1)
	v_pk_fma_f32 v[8:9], v[6:7], v[0:1], v[4:5] op_sel:[0,0,1] op_sel_hi:[1,1,0] neg_lo:[0,0,1] neg_hi:[0,0,1]
	v_pk_fma_f32 v[4:5], v[6:7], v[0:1], v[4:5] op_sel:[0,0,1] op_sel_hi:[1,0,0]
	v_mov_b32_e32 v9, v5
	ds_load_2addr_b64 v[4:7], v56 offset0:22 offset1:23
	v_pk_add_f32 v[92:93], v[92:93], v[8:9] neg_lo:[0,1] neg_hi:[0,1]
	s_wait_dscnt 0x0
	v_pk_mul_f32 v[8:9], v[4:5], v[2:3] op_sel:[0,1]
	s_delay_alu instid0(VALU_DEP_1) | instskip(SKIP_1) | instid1(VALU_DEP_1)
	v_pk_fma_f32 v[10:11], v[4:5], v[0:1], v[8:9] op_sel:[0,0,1] op_sel_hi:[1,1,0] neg_lo:[0,0,1] neg_hi:[0,0,1]
	v_pk_fma_f32 v[4:5], v[4:5], v[0:1], v[8:9] op_sel:[0,0,1] op_sel_hi:[1,0,0]
	v_mov_b32_e32 v11, v5
	v_pk_mul_f32 v[4:5], v[6:7], v[2:3] op_sel:[0,1]
	s_delay_alu instid0(VALU_DEP_2) | instskip(NEXT) | instid1(VALU_DEP_2)
	v_pk_add_f32 v[94:95], v[94:95], v[10:11] neg_lo:[0,1] neg_hi:[0,1]
	v_pk_fma_f32 v[8:9], v[6:7], v[0:1], v[4:5] op_sel:[0,0,1] op_sel_hi:[1,1,0] neg_lo:[0,0,1] neg_hi:[0,0,1]
	v_pk_fma_f32 v[4:5], v[6:7], v[0:1], v[4:5] op_sel:[0,0,1] op_sel_hi:[1,0,0]
	s_delay_alu instid0(VALU_DEP_1) | instskip(SKIP_4) | instid1(VALU_DEP_1)
	v_mov_b32_e32 v9, v5
	ds_load_2addr_b64 v[4:7], v56 offset0:24 offset1:25
	v_pk_add_f32 v[90:91], v[90:91], v[8:9] neg_lo:[0,1] neg_hi:[0,1]
	s_wait_dscnt 0x0
	v_pk_mul_f32 v[8:9], v[4:5], v[2:3] op_sel:[0,1]
	v_pk_fma_f32 v[10:11], v[4:5], v[0:1], v[8:9] op_sel:[0,0,1] op_sel_hi:[1,1,0] neg_lo:[0,0,1] neg_hi:[0,0,1]
	v_pk_fma_f32 v[4:5], v[4:5], v[0:1], v[8:9] op_sel:[0,0,1] op_sel_hi:[1,0,0]
	v_dual_mul_f32 v8, v7, v3 :: v_dual_mov_b32 v4, v7
	s_delay_alu instid0(VALU_DEP_2) | instskip(NEXT) | instid1(VALU_DEP_2)
	v_dual_mov_b32 v11, v5 :: v_dual_mov_b32 v5, v6
	v_pk_fma_f32 v[8:9], v[6:7], v[26:27], v[8:9] op_sel_hi:[1,1,0] neg_lo:[0,0,1] neg_hi:[0,0,1]
	v_mul_f32_e32 v6, v7, v0
	s_delay_alu instid0(VALU_DEP_3) | instskip(NEXT) | instid1(VALU_DEP_2)
	v_pk_add_f32 v[112:113], v[112:113], v[10:11] neg_lo:[0,1] neg_hi:[0,1]
	v_pk_fma_f32 v[4:5], v[4:5], v[26:27], v[6:7] op_sel_hi:[1,1,0]
	s_delay_alu instid0(VALU_DEP_1) | instskip(SKIP_4) | instid1(VALU_DEP_1)
	v_mov_b32_e32 v9, v5
	ds_load_2addr_b64 v[4:7], v56 offset0:26 offset1:27
	v_pk_add_f32 v[108:109], v[108:109], v[8:9] neg_lo:[0,1] neg_hi:[0,1]
	s_wait_dscnt 0x0
	v_pk_mul_f32 v[8:9], v[4:5], v[2:3] op_sel:[0,1]
	v_pk_fma_f32 v[10:11], v[4:5], v[0:1], v[8:9] op_sel:[0,0,1] op_sel_hi:[1,1,0] neg_lo:[0,0,1] neg_hi:[0,0,1]
	v_pk_fma_f32 v[4:5], v[4:5], v[0:1], v[8:9] op_sel:[0,0,1] op_sel_hi:[1,0,0]
	s_delay_alu instid0(VALU_DEP_1) | instskip(SKIP_1) | instid1(VALU_DEP_1)
	v_mov_b32_e32 v11, v5
	v_pk_mul_f32 v[4:5], v[6:7], v[2:3] op_sel:[0,1]
	v_pk_fma_f32 v[8:9], v[6:7], v[0:1], v[4:5] op_sel:[0,0,1] op_sel_hi:[1,1,0] neg_lo:[0,0,1] neg_hi:[0,0,1]
	v_pk_fma_f32 v[4:5], v[6:7], v[0:1], v[4:5] op_sel:[0,0,1] op_sel_hi:[1,0,0]
	s_delay_alu instid0(VALU_DEP_1)
	v_mov_b32_e32 v9, v5
	ds_load_2addr_b64 v[4:7], v56 offset0:28 offset1:29
	v_pk_add_f32 v[110:111], v[110:111], v[10:11] neg_lo:[0,1] neg_hi:[0,1]
	v_pk_add_f32 v[106:107], v[106:107], v[8:9] neg_lo:[0,1] neg_hi:[0,1]
	s_wait_dscnt 0x0
	v_pk_mul_f32 v[8:9], v[4:5], v[2:3] op_sel:[0,1]
	s_delay_alu instid0(VALU_DEP_1) | instskip(SKIP_1) | instid1(VALU_DEP_1)
	v_pk_fma_f32 v[10:11], v[4:5], v[0:1], v[8:9] op_sel:[0,0,1] op_sel_hi:[1,1,0] neg_lo:[0,0,1] neg_hi:[0,0,1]
	v_pk_fma_f32 v[4:5], v[4:5], v[0:1], v[8:9] op_sel:[0,0,1] op_sel_hi:[1,0,0]
	v_mov_b32_e32 v11, v5
	v_pk_mul_f32 v[4:5], v[6:7], v[2:3] op_sel:[0,1]
	s_delay_alu instid0(VALU_DEP_1) | instskip(SKIP_1) | instid1(VALU_DEP_1)
	v_pk_fma_f32 v[8:9], v[6:7], v[0:1], v[4:5] op_sel:[0,0,1] op_sel_hi:[1,1,0] neg_lo:[0,0,1] neg_hi:[0,0,1]
	v_pk_fma_f32 v[4:5], v[6:7], v[0:1], v[4:5] op_sel:[0,0,1] op_sel_hi:[1,0,0]
	v_mov_b32_e32 v9, v5
	ds_load_2addr_b64 v[4:7], v56 offset0:30 offset1:31
	v_pk_add_f32 v[128:129], v[128:129], v[10:11] neg_lo:[0,1] neg_hi:[0,1]
	v_pk_add_f32 v[124:125], v[124:125], v[8:9] neg_lo:[0,1] neg_hi:[0,1]
	s_wait_dscnt 0x0
	v_dual_mul_f32 v8, v5, v3 :: v_dual_mul_f32 v10, v5, v0
	s_delay_alu instid0(VALU_DEP_1) | instskip(NEXT) | instid1(VALU_DEP_2)
	v_pk_fma_f32 v[8:9], v[4:5], v[26:27], v[8:9] op_sel_hi:[1,1,0] neg_lo:[0,0,1] neg_hi:[0,0,1]
	v_pk_fma_f32 v[4:5], v[4:5], v[26:27], v[10:11] op_sel:[1,0,0] op_sel_hi:[0,1,0]
	s_delay_alu instid0(VALU_DEP_1) | instskip(SKIP_1) | instid1(VALU_DEP_2)
	v_mov_b32_e32 v9, v5
	v_pk_mul_f32 v[4:5], v[6:7], v[2:3] op_sel:[0,1]
	v_pk_add_f32 v[126:127], v[126:127], v[8:9] neg_lo:[0,1] neg_hi:[0,1]
	s_delay_alu instid0(VALU_DEP_2) | instskip(SKIP_1) | instid1(VALU_DEP_1)
	v_pk_fma_f32 v[8:9], v[6:7], v[0:1], v[4:5] op_sel:[0,0,1] op_sel_hi:[1,1,0] neg_lo:[0,0,1] neg_hi:[0,0,1]
	v_pk_fma_f32 v[4:5], v[6:7], v[0:1], v[4:5] op_sel:[0,0,1] op_sel_hi:[1,0,0]
	v_mov_b32_e32 v9, v5
	ds_load_2addr_b64 v[4:7], v56 offset0:32 offset1:33
	v_pk_add_f32 v[122:123], v[122:123], v[8:9] neg_lo:[0,1] neg_hi:[0,1]
	s_wait_dscnt 0x0
	v_pk_mul_f32 v[8:9], v[4:5], v[2:3] op_sel:[0,1]
	s_delay_alu instid0(VALU_DEP_1) | instskip(SKIP_1) | instid1(VALU_DEP_1)
	v_pk_fma_f32 v[10:11], v[4:5], v[0:1], v[8:9] op_sel:[0,0,1] op_sel_hi:[1,1,0] neg_lo:[0,0,1] neg_hi:[0,0,1]
	v_pk_fma_f32 v[4:5], v[4:5], v[0:1], v[8:9] op_sel:[0,0,1] op_sel_hi:[1,0,0]
	v_mov_b32_e32 v11, v5
	v_pk_mul_f32 v[4:5], v[6:7], v[2:3] op_sel:[0,1]
	s_delay_alu instid0(VALU_DEP_2) | instskip(NEXT) | instid1(VALU_DEP_2)
	v_pk_add_f32 v[144:145], v[144:145], v[10:11] neg_lo:[0,1] neg_hi:[0,1]
	v_pk_fma_f32 v[8:9], v[6:7], v[0:1], v[4:5] op_sel:[0,0,1] op_sel_hi:[1,1,0] neg_lo:[0,0,1] neg_hi:[0,0,1]
	v_pk_fma_f32 v[4:5], v[6:7], v[0:1], v[4:5] op_sel:[0,0,1] op_sel_hi:[1,0,0]
	s_delay_alu instid0(VALU_DEP_1) | instskip(SKIP_4) | instid1(VALU_DEP_1)
	v_mov_b32_e32 v9, v5
	ds_load_2addr_b64 v[4:7], v56 offset0:34 offset1:35
	v_pk_add_f32 v[140:141], v[140:141], v[8:9] neg_lo:[0,1] neg_hi:[0,1]
	s_wait_dscnt 0x0
	v_pk_mul_f32 v[8:9], v[4:5], v[2:3] op_sel:[0,1]
	v_pk_fma_f32 v[10:11], v[4:5], v[0:1], v[8:9] op_sel:[0,0,1] op_sel_hi:[1,1,0] neg_lo:[0,0,1] neg_hi:[0,0,1]
	v_pk_fma_f32 v[4:5], v[4:5], v[0:1], v[8:9] op_sel:[0,0,1] op_sel_hi:[1,0,0]
	v_dual_mul_f32 v8, v7, v3 :: v_dual_mov_b32 v4, v7
	s_delay_alu instid0(VALU_DEP_2) | instskip(NEXT) | instid1(VALU_DEP_2)
	v_dual_mov_b32 v11, v5 :: v_dual_mov_b32 v5, v6
	v_pk_fma_f32 v[8:9], v[6:7], v[26:27], v[8:9] op_sel_hi:[1,1,0] neg_lo:[0,0,1] neg_hi:[0,0,1]
	v_mul_f32_e32 v6, v7, v0
	s_delay_alu instid0(VALU_DEP_3) | instskip(NEXT) | instid1(VALU_DEP_2)
	v_pk_add_f32 v[142:143], v[142:143], v[10:11] neg_lo:[0,1] neg_hi:[0,1]
	v_pk_fma_f32 v[4:5], v[4:5], v[26:27], v[6:7] op_sel_hi:[1,1,0]
	s_delay_alu instid0(VALU_DEP_1) | instskip(SKIP_4) | instid1(VALU_DEP_1)
	v_mov_b32_e32 v9, v5
	ds_load_2addr_b64 v[4:7], v56 offset0:36 offset1:37
	v_pk_add_f32 v[138:139], v[138:139], v[8:9] neg_lo:[0,1] neg_hi:[0,1]
	s_wait_dscnt 0x0
	v_pk_mul_f32 v[8:9], v[4:5], v[2:3] op_sel:[0,1]
	v_pk_fma_f32 v[10:11], v[4:5], v[0:1], v[8:9] op_sel:[0,0,1] op_sel_hi:[1,1,0] neg_lo:[0,0,1] neg_hi:[0,0,1]
	v_pk_fma_f32 v[4:5], v[4:5], v[0:1], v[8:9] op_sel:[0,0,1] op_sel_hi:[1,0,0]
	s_delay_alu instid0(VALU_DEP_1) | instskip(SKIP_1) | instid1(VALU_DEP_1)
	v_mov_b32_e32 v11, v5
	v_pk_mul_f32 v[4:5], v[6:7], v[2:3] op_sel:[0,1]
	v_pk_fma_f32 v[8:9], v[6:7], v[0:1], v[4:5] op_sel:[0,0,1] op_sel_hi:[1,1,0] neg_lo:[0,0,1] neg_hi:[0,0,1]
	v_pk_fma_f32 v[4:5], v[6:7], v[0:1], v[4:5] op_sel:[0,0,1] op_sel_hi:[1,0,0]
	s_delay_alu instid0(VALU_DEP_1)
	v_mov_b32_e32 v9, v5
	ds_load_2addr_b64 v[4:7], v56 offset0:38 offset1:39
	v_pk_add_f32 v[164:165], v[164:165], v[10:11] neg_lo:[0,1] neg_hi:[0,1]
	v_pk_add_f32 v[160:161], v[160:161], v[8:9] neg_lo:[0,1] neg_hi:[0,1]
	s_wait_dscnt 0x0
	v_pk_mul_f32 v[8:9], v[4:5], v[2:3] op_sel:[0,1]
	s_delay_alu instid0(VALU_DEP_1) | instskip(SKIP_1) | instid1(VALU_DEP_1)
	v_pk_fma_f32 v[10:11], v[4:5], v[0:1], v[8:9] op_sel:[0,0,1] op_sel_hi:[1,1,0] neg_lo:[0,0,1] neg_hi:[0,0,1]
	v_pk_fma_f32 v[4:5], v[4:5], v[0:1], v[8:9] op_sel:[0,0,1] op_sel_hi:[1,0,0]
	v_mov_b32_e32 v11, v5
	v_pk_mul_f32 v[4:5], v[6:7], v[2:3] op_sel:[0,1]
	s_delay_alu instid0(VALU_DEP_1) | instskip(SKIP_1) | instid1(VALU_DEP_1)
	v_pk_fma_f32 v[8:9], v[6:7], v[0:1], v[4:5] op_sel:[0,0,1] op_sel_hi:[1,1,0] neg_lo:[0,0,1] neg_hi:[0,0,1]
	v_pk_fma_f32 v[4:5], v[6:7], v[0:1], v[4:5] op_sel:[0,0,1] op_sel_hi:[1,0,0]
	v_mov_b32_e32 v9, v5
	ds_load_2addr_b64 v[4:7], v56 offset0:40 offset1:41
	v_pk_add_f32 v[162:163], v[162:163], v[10:11] neg_lo:[0,1] neg_hi:[0,1]
	v_pk_add_f32 v[158:159], v[158:159], v[8:9] neg_lo:[0,1] neg_hi:[0,1]
	s_wait_dscnt 0x0
	v_dual_mul_f32 v8, v5, v3 :: v_dual_mul_f32 v10, v5, v0
	s_delay_alu instid0(VALU_DEP_1) | instskip(NEXT) | instid1(VALU_DEP_2)
	v_pk_fma_f32 v[8:9], v[4:5], v[26:27], v[8:9] op_sel_hi:[1,1,0] neg_lo:[0,0,1] neg_hi:[0,0,1]
	v_pk_fma_f32 v[4:5], v[4:5], v[26:27], v[10:11] op_sel:[1,0,0] op_sel_hi:[0,1,0]
	s_delay_alu instid0(VALU_DEP_1) | instskip(SKIP_1) | instid1(VALU_DEP_2)
	v_mov_b32_e32 v9, v5
	v_pk_mul_f32 v[4:5], v[6:7], v[2:3] op_sel:[0,1]
	v_pk_add_f32 v[188:189], v[188:189], v[8:9] neg_lo:[0,1] neg_hi:[0,1]
	s_delay_alu instid0(VALU_DEP_2) | instskip(SKIP_1) | instid1(VALU_DEP_1)
	v_pk_fma_f32 v[8:9], v[6:7], v[0:1], v[4:5] op_sel:[0,0,1] op_sel_hi:[1,1,0] neg_lo:[0,0,1] neg_hi:[0,0,1]
	v_pk_fma_f32 v[4:5], v[6:7], v[0:1], v[4:5] op_sel:[0,0,1] op_sel_hi:[1,0,0]
	v_mov_b32_e32 v9, v5
	ds_load_2addr_b64 v[4:7], v56 offset0:42 offset1:43
	v_pk_add_f32 v[182:183], v[182:183], v[8:9] neg_lo:[0,1] neg_hi:[0,1]
	s_wait_dscnt 0x0
	v_pk_mul_f32 v[8:9], v[4:5], v[2:3] op_sel:[0,1]
	s_delay_alu instid0(VALU_DEP_1) | instskip(SKIP_1) | instid1(VALU_DEP_1)
	v_pk_fma_f32 v[10:11], v[4:5], v[0:1], v[8:9] op_sel:[0,0,1] op_sel_hi:[1,1,0] neg_lo:[0,0,1] neg_hi:[0,0,1]
	v_pk_fma_f32 v[4:5], v[4:5], v[0:1], v[8:9] op_sel:[0,0,1] op_sel_hi:[1,0,0]
	v_mov_b32_e32 v11, v5
	v_pk_mul_f32 v[4:5], v[6:7], v[2:3] op_sel:[0,1]
	s_delay_alu instid0(VALU_DEP_2) | instskip(NEXT) | instid1(VALU_DEP_2)
	v_pk_add_f32 v[186:187], v[186:187], v[10:11] neg_lo:[0,1] neg_hi:[0,1]
	v_pk_fma_f32 v[8:9], v[6:7], v[0:1], v[4:5] op_sel:[0,0,1] op_sel_hi:[1,1,0] neg_lo:[0,0,1] neg_hi:[0,0,1]
	v_pk_fma_f32 v[4:5], v[6:7], v[0:1], v[4:5] op_sel:[0,0,1] op_sel_hi:[1,0,0]
	s_delay_alu instid0(VALU_DEP_1) | instskip(SKIP_4) | instid1(VALU_DEP_1)
	v_mov_b32_e32 v9, v5
	ds_load_2addr_b64 v[4:7], v56 offset0:44 offset1:45
	v_pk_add_f32 v[180:181], v[180:181], v[8:9] neg_lo:[0,1] neg_hi:[0,1]
	s_wait_dscnt 0x0
	v_pk_mul_f32 v[8:9], v[4:5], v[2:3] op_sel:[0,1]
	v_pk_fma_f32 v[10:11], v[4:5], v[0:1], v[8:9] op_sel:[0,0,1] op_sel_hi:[1,1,0] neg_lo:[0,0,1] neg_hi:[0,0,1]
	v_pk_fma_f32 v[4:5], v[4:5], v[0:1], v[8:9] op_sel:[0,0,1] op_sel_hi:[1,0,0]
	v_dual_mul_f32 v8, v7, v3 :: v_dual_mov_b32 v4, v7
	s_delay_alu instid0(VALU_DEP_2) | instskip(NEXT) | instid1(VALU_DEP_2)
	v_dual_mov_b32 v11, v5 :: v_dual_mov_b32 v5, v6
	v_pk_fma_f32 v[8:9], v[6:7], v[26:27], v[8:9] op_sel_hi:[1,1,0] neg_lo:[0,0,1] neg_hi:[0,0,1]
	v_mul_f32_e32 v6, v7, v0
	s_delay_alu instid0(VALU_DEP_3) | instskip(NEXT) | instid1(VALU_DEP_2)
	v_pk_add_f32 v[184:185], v[184:185], v[10:11] neg_lo:[0,1] neg_hi:[0,1]
	v_pk_fma_f32 v[4:5], v[4:5], v[26:27], v[6:7] op_sel_hi:[1,1,0]
	s_delay_alu instid0(VALU_DEP_1)
	v_mov_b32_e32 v9, v5
	ds_load_2addr_b64 v[4:7], v56 offset0:46 offset1:47
	v_pk_add_f32 v[178:179], v[178:179], v[8:9] neg_lo:[0,1] neg_hi:[0,1]
	s_wait_dscnt 0x0
	v_pk_mul_f32 v[8:9], v[4:5], v[2:3] op_sel:[0,1]
	v_mul_f32_e32 v2, v7, v3
	s_delay_alu instid0(VALU_DEP_2) | instskip(SKIP_2) | instid1(VALU_DEP_4)
	v_pk_fma_f32 v[10:11], v[4:5], v[0:1], v[8:9] op_sel:[0,0,1] op_sel_hi:[1,1,0] neg_lo:[0,0,1] neg_hi:[0,0,1]
	v_pk_fma_f32 v[4:5], v[4:5], v[0:1], v[8:9] op_sel:[0,0,1] op_sel_hi:[1,0,0]
	v_dual_mov_b32 v4, v7 :: v_dual_mul_f32 v0, v7, v0
	v_pk_fma_f32 v[2:3], v[6:7], v[26:27], v[2:3] op_sel_hi:[1,1,0] neg_lo:[0,0,1] neg_hi:[0,0,1]
	s_delay_alu instid0(VALU_DEP_3) | instskip(NEXT) | instid1(VALU_DEP_1)
	v_dual_mov_b32 v11, v5 :: v_dual_mov_b32 v5, v6
	v_pk_add_f32 v[190:191], v[190:191], v[10:11] neg_lo:[0,1] neg_hi:[0,1]
	s_delay_alu instid0(VALU_DEP_2) | instskip(NEXT) | instid1(VALU_DEP_1)
	v_pk_fma_f32 v[0:1], v[4:5], v[26:27], v[0:1] op_sel_hi:[1,1,0]
	v_mov_b32_e32 v3, v1
	s_delay_alu instid0(VALU_DEP_1)
	v_pk_add_f32 v[192:193], v[192:193], v[2:3] neg_lo:[0,1] neg_hi:[0,1]
.LBB95_109:
	s_or_b32 exec_lo, exec_lo, s1
	s_delay_alu instid0(SALU_CYCLE_1)
	s_mov_b32 s2, exec_lo
	s_wait_dscnt 0x0
	s_barrier_signal -1
	s_barrier_wait -1
	v_cmpx_eq_u32_e32 12, v54
	s_cbranch_execz .LBB95_116
; %bb.110:
	ds_store_b64 v55, v[50:51]
	ds_store_2addr_b64 v56, v[46:47], v[48:49] offset0:13 offset1:14
	ds_store_2addr_b64 v56, v[44:45], v[74:75] offset0:15 offset1:16
	;; [unrolled: 1-line block ×17, first 2 shown]
	ds_store_b64 v56, v[192:193] offset:376
	ds_load_b64 v[0:1], v55
	s_wait_dscnt 0x0
	v_cmp_neq_f32_e32 vcc_lo, 0, v0
	v_cmp_neq_f32_e64 s1, 0, v1
	s_or_b32 s1, vcc_lo, s1
	s_delay_alu instid0(SALU_CYCLE_1)
	s_and_b32 exec_lo, exec_lo, s1
	s_cbranch_execz .LBB95_116
; %bb.111:
	v_cmp_ngt_f32_e64 s1, |v0|, |v1|
                                        ; implicit-def: $vgpr2_vgpr3
	s_and_saveexec_b32 s4, s1
	s_delay_alu instid0(SALU_CYCLE_1)
	s_xor_b32 s1, exec_lo, s4
	s_cbranch_execz .LBB95_113
; %bb.112:
	v_div_scale_f32 v2, null, v1, v1, v0
	v_div_scale_f32 v5, vcc_lo, v0, v1, v0
	s_delay_alu instid0(VALU_DEP_2) | instskip(SKIP_1) | instid1(TRANS32_DEP_1)
	v_rcp_f32_e32 v3, v2
	v_nop
	v_fma_f32 v4, -v2, v3, 1.0
	s_delay_alu instid0(VALU_DEP_1) | instskip(NEXT) | instid1(VALU_DEP_1)
	v_fmac_f32_e32 v3, v4, v3
	v_mul_f32_e32 v4, v5, v3
	s_delay_alu instid0(VALU_DEP_1) | instskip(NEXT) | instid1(VALU_DEP_1)
	v_fma_f32 v6, -v2, v4, v5
	v_fmac_f32_e32 v4, v6, v3
	s_delay_alu instid0(VALU_DEP_1) | instskip(NEXT) | instid1(VALU_DEP_1)
	v_fma_f32 v2, -v2, v4, v5
	v_div_fmas_f32 v2, v2, v3, v4
	s_delay_alu instid0(VALU_DEP_1) | instskip(NEXT) | instid1(VALU_DEP_1)
	v_div_fixup_f32 v2, v2, v1, v0
	v_fmac_f32_e32 v1, v0, v2
	s_delay_alu instid0(VALU_DEP_1) | instskip(SKIP_1) | instid1(VALU_DEP_2)
	v_div_scale_f32 v0, null, v1, v1, 1.0
	v_div_scale_f32 v5, vcc_lo, 1.0, v1, 1.0
	v_rcp_f32_e32 v3, v0
	v_nop
	s_delay_alu instid0(TRANS32_DEP_1) | instskip(NEXT) | instid1(VALU_DEP_1)
	v_fma_f32 v4, -v0, v3, 1.0
	v_fmac_f32_e32 v3, v4, v3
	s_delay_alu instid0(VALU_DEP_1) | instskip(NEXT) | instid1(VALU_DEP_1)
	v_mul_f32_e32 v4, v5, v3
	v_fma_f32 v6, -v0, v4, v5
	s_delay_alu instid0(VALU_DEP_1) | instskip(NEXT) | instid1(VALU_DEP_1)
	v_fmac_f32_e32 v4, v6, v3
	v_fma_f32 v0, -v0, v4, v5
	s_delay_alu instid0(VALU_DEP_1) | instskip(NEXT) | instid1(VALU_DEP_1)
	v_div_fmas_f32 v0, v0, v3, v4
	v_div_fixup_f32 v0, v0, v1, 1.0
	s_delay_alu instid0(VALU_DEP_1)
	v_mul_f32_e32 v2, v2, v0
	v_xor_b32_e32 v3, 0x80000000, v0
                                        ; implicit-def: $vgpr0_vgpr1
.LBB95_113:
	s_and_not1_saveexec_b32 s1, s1
	s_cbranch_execz .LBB95_115
; %bb.114:
	v_div_scale_f32 v2, null, v0, v0, v1
	v_div_scale_f32 v5, vcc_lo, v1, v0, v1
	s_delay_alu instid0(VALU_DEP_2) | instskip(SKIP_1) | instid1(TRANS32_DEP_1)
	v_rcp_f32_e32 v3, v2
	v_nop
	v_fma_f32 v4, -v2, v3, 1.0
	s_delay_alu instid0(VALU_DEP_1) | instskip(NEXT) | instid1(VALU_DEP_1)
	v_fmac_f32_e32 v3, v4, v3
	v_mul_f32_e32 v4, v5, v3
	s_delay_alu instid0(VALU_DEP_1) | instskip(NEXT) | instid1(VALU_DEP_1)
	v_fma_f32 v6, -v2, v4, v5
	v_fmac_f32_e32 v4, v6, v3
	s_delay_alu instid0(VALU_DEP_1) | instskip(NEXT) | instid1(VALU_DEP_1)
	v_fma_f32 v2, -v2, v4, v5
	v_div_fmas_f32 v2, v2, v3, v4
	s_delay_alu instid0(VALU_DEP_1) | instskip(NEXT) | instid1(VALU_DEP_1)
	v_div_fixup_f32 v3, v2, v0, v1
	v_fmac_f32_e32 v0, v1, v3
	s_delay_alu instid0(VALU_DEP_1) | instskip(NEXT) | instid1(VALU_DEP_1)
	v_div_scale_f32 v1, null, v0, v0, 1.0
	v_rcp_f32_e32 v2, v1
	v_nop
	s_delay_alu instid0(TRANS32_DEP_1) | instskip(NEXT) | instid1(VALU_DEP_1)
	v_fma_f32 v4, -v1, v2, 1.0
	v_fmac_f32_e32 v2, v4, v2
	v_div_scale_f32 v4, vcc_lo, 1.0, v0, 1.0
	s_delay_alu instid0(VALU_DEP_1) | instskip(NEXT) | instid1(VALU_DEP_1)
	v_mul_f32_e32 v5, v4, v2
	v_fma_f32 v6, -v1, v5, v4
	s_delay_alu instid0(VALU_DEP_1) | instskip(NEXT) | instid1(VALU_DEP_1)
	v_fmac_f32_e32 v5, v6, v2
	v_fma_f32 v1, -v1, v5, v4
	s_delay_alu instid0(VALU_DEP_1) | instskip(NEXT) | instid1(VALU_DEP_1)
	v_div_fmas_f32 v1, v1, v2, v5
	v_div_fixup_f32 v2, v1, v0, 1.0
	s_delay_alu instid0(VALU_DEP_1)
	v_mul_f32_e64 v3, v3, -v2
.LBB95_115:
	s_or_b32 exec_lo, exec_lo, s1
	ds_store_b64 v55, v[2:3]
.LBB95_116:
	s_or_b32 exec_lo, exec_lo, s2
	s_wait_dscnt 0x0
	s_barrier_signal -1
	s_barrier_wait -1
	ds_load_b64 v[218:219], v55
	s_mov_b32 s1, exec_lo
	v_cmpx_lt_u32_e32 12, v54
	s_cbranch_execz .LBB95_118
; %bb.117:
	ds_load_2addr_b64 v[4:7], v56 offset0:13 offset1:14
	s_wait_dscnt 0x1
	v_pk_mul_f32 v[2:3], v[218:219], v[50:51] op_sel:[1,1] op_sel_hi:[0,1]
	s_delay_alu instid0(VALU_DEP_1) | instskip(SKIP_1) | instid1(VALU_DEP_1)
	v_pk_fma_f32 v[0:1], v[218:219], v[50:51], v[2:3] op_sel_hi:[1,0,1] neg_lo:[0,0,1] neg_hi:[0,0,1]
	v_pk_fma_f32 v[2:3], v[218:219], v[50:51], v[2:3] op_sel_hi:[1,0,1]
	v_dual_mov_b32 v50, v0 :: v_dual_mov_b32 v51, v3
	s_wait_dscnt 0x0
	s_delay_alu instid0(VALU_DEP_2) | instskip(NEXT) | instid1(VALU_DEP_1)
	v_pk_mul_f32 v[8:9], v[4:5], v[2:3] op_sel:[0,1]
	v_pk_fma_f32 v[10:11], v[4:5], v[0:1], v[8:9] op_sel:[0,0,1] op_sel_hi:[1,1,0] neg_lo:[0,0,1] neg_hi:[0,0,1]
	v_pk_fma_f32 v[4:5], v[4:5], v[0:1], v[8:9] op_sel:[0,0,1] op_sel_hi:[1,0,0]
	s_delay_alu instid0(VALU_DEP_1) | instskip(SKIP_1) | instid1(VALU_DEP_1)
	v_mov_b32_e32 v11, v5
	v_pk_mul_f32 v[4:5], v[6:7], v[2:3] op_sel:[0,1]
	v_pk_fma_f32 v[8:9], v[6:7], v[0:1], v[4:5] op_sel:[0,0,1] op_sel_hi:[1,1,0] neg_lo:[0,0,1] neg_hi:[0,0,1]
	v_pk_fma_f32 v[4:5], v[6:7], v[0:1], v[4:5] op_sel:[0,0,1] op_sel_hi:[1,0,0]
	s_delay_alu instid0(VALU_DEP_1)
	v_mov_b32_e32 v9, v5
	ds_load_2addr_b64 v[4:7], v56 offset0:15 offset1:16
	v_pk_add_f32 v[46:47], v[46:47], v[10:11] neg_lo:[0,1] neg_hi:[0,1]
	v_pk_add_f32 v[48:49], v[48:49], v[8:9] neg_lo:[0,1] neg_hi:[0,1]
	s_wait_dscnt 0x0
	v_pk_mul_f32 v[8:9], v[4:5], v[2:3] op_sel:[0,1]
	s_delay_alu instid0(VALU_DEP_1) | instskip(SKIP_2) | instid1(VALU_DEP_2)
	v_pk_fma_f32 v[10:11], v[4:5], v[0:1], v[8:9] op_sel:[0,0,1] op_sel_hi:[1,1,0] neg_lo:[0,0,1] neg_hi:[0,0,1]
	v_pk_fma_f32 v[4:5], v[4:5], v[0:1], v[8:9] op_sel:[0,0,1] op_sel_hi:[1,0,0]
	v_dual_mul_f32 v8, v7, v3 :: v_dual_mov_b32 v4, v7
	v_dual_mov_b32 v11, v5 :: v_dual_mov_b32 v5, v6
	s_delay_alu instid0(VALU_DEP_2) | instskip(SKIP_1) | instid1(VALU_DEP_3)
	v_pk_fma_f32 v[8:9], v[6:7], v[50:51], v[8:9] op_sel_hi:[1,1,0] neg_lo:[0,0,1] neg_hi:[0,0,1]
	v_mul_f32_e32 v6, v7, v0
	v_pk_add_f32 v[44:45], v[44:45], v[10:11] neg_lo:[0,1] neg_hi:[0,1]
	s_delay_alu instid0(VALU_DEP_2) | instskip(NEXT) | instid1(VALU_DEP_1)
	v_pk_fma_f32 v[4:5], v[4:5], v[50:51], v[6:7] op_sel_hi:[1,1,0]
	v_mov_b32_e32 v9, v5
	ds_load_2addr_b64 v[4:7], v56 offset0:17 offset1:18
	v_pk_add_f32 v[74:75], v[74:75], v[8:9] neg_lo:[0,1] neg_hi:[0,1]
	s_wait_dscnt 0x0
	v_pk_mul_f32 v[8:9], v[4:5], v[2:3] op_sel:[0,1]
	s_delay_alu instid0(VALU_DEP_1) | instskip(SKIP_1) | instid1(VALU_DEP_1)
	v_pk_fma_f32 v[10:11], v[4:5], v[0:1], v[8:9] op_sel:[0,0,1] op_sel_hi:[1,1,0] neg_lo:[0,0,1] neg_hi:[0,0,1]
	v_pk_fma_f32 v[4:5], v[4:5], v[0:1], v[8:9] op_sel:[0,0,1] op_sel_hi:[1,0,0]
	v_mov_b32_e32 v11, v5
	v_pk_mul_f32 v[4:5], v[6:7], v[2:3] op_sel:[0,1]
	s_delay_alu instid0(VALU_DEP_1) | instskip(SKIP_1) | instid1(VALU_DEP_1)
	v_pk_fma_f32 v[8:9], v[6:7], v[0:1], v[4:5] op_sel:[0,0,1] op_sel_hi:[1,1,0] neg_lo:[0,0,1] neg_hi:[0,0,1]
	v_pk_fma_f32 v[4:5], v[6:7], v[0:1], v[4:5] op_sel:[0,0,1] op_sel_hi:[1,0,0]
	v_mov_b32_e32 v9, v5
	ds_load_2addr_b64 v[4:7], v56 offset0:19 offset1:20
	v_pk_add_f32 v[70:71], v[70:71], v[10:11] neg_lo:[0,1] neg_hi:[0,1]
	v_pk_add_f32 v[72:73], v[72:73], v[8:9] neg_lo:[0,1] neg_hi:[0,1]
	s_wait_dscnt 0x0
	v_pk_mul_f32 v[8:9], v[4:5], v[2:3] op_sel:[0,1]
	s_delay_alu instid0(VALU_DEP_1) | instskip(SKIP_1) | instid1(VALU_DEP_1)
	v_pk_fma_f32 v[10:11], v[4:5], v[0:1], v[8:9] op_sel:[0,0,1] op_sel_hi:[1,1,0] neg_lo:[0,0,1] neg_hi:[0,0,1]
	v_pk_fma_f32 v[4:5], v[4:5], v[0:1], v[8:9] op_sel:[0,0,1] op_sel_hi:[1,0,0]
	v_mov_b32_e32 v11, v5
	v_pk_mul_f32 v[4:5], v[6:7], v[2:3] op_sel:[0,1]
	s_delay_alu instid0(VALU_DEP_1) | instskip(SKIP_1) | instid1(VALU_DEP_1)
	v_pk_fma_f32 v[8:9], v[6:7], v[0:1], v[4:5] op_sel:[0,0,1] op_sel_hi:[1,1,0] neg_lo:[0,0,1] neg_hi:[0,0,1]
	v_pk_fma_f32 v[4:5], v[6:7], v[0:1], v[4:5] op_sel:[0,0,1] op_sel_hi:[1,0,0]
	v_mov_b32_e32 v9, v5
	ds_load_2addr_b64 v[4:7], v56 offset0:21 offset1:22
	v_pk_add_f32 v[68:69], v[68:69], v[10:11] neg_lo:[0,1] neg_hi:[0,1]
	v_pk_add_f32 v[96:97], v[96:97], v[8:9] neg_lo:[0,1] neg_hi:[0,1]
	s_wait_dscnt 0x0
	v_dual_mul_f32 v8, v5, v3 :: v_dual_mul_f32 v10, v5, v0
	s_delay_alu instid0(VALU_DEP_1) | instskip(NEXT) | instid1(VALU_DEP_2)
	v_pk_fma_f32 v[8:9], v[4:5], v[50:51], v[8:9] op_sel_hi:[1,1,0] neg_lo:[0,0,1] neg_hi:[0,0,1]
	v_pk_fma_f32 v[4:5], v[4:5], v[50:51], v[10:11] op_sel:[1,0,0] op_sel_hi:[0,1,0]
	s_delay_alu instid0(VALU_DEP_1) | instskip(SKIP_1) | instid1(VALU_DEP_2)
	v_mov_b32_e32 v9, v5
	v_pk_mul_f32 v[4:5], v[6:7], v[2:3] op_sel:[0,1]
	v_pk_add_f32 v[92:93], v[92:93], v[8:9] neg_lo:[0,1] neg_hi:[0,1]
	s_delay_alu instid0(VALU_DEP_2) | instskip(SKIP_1) | instid1(VALU_DEP_1)
	v_pk_fma_f32 v[8:9], v[6:7], v[0:1], v[4:5] op_sel:[0,0,1] op_sel_hi:[1,1,0] neg_lo:[0,0,1] neg_hi:[0,0,1]
	v_pk_fma_f32 v[4:5], v[6:7], v[0:1], v[4:5] op_sel:[0,0,1] op_sel_hi:[1,0,0]
	v_mov_b32_e32 v9, v5
	ds_load_2addr_b64 v[4:7], v56 offset0:23 offset1:24
	v_pk_add_f32 v[94:95], v[94:95], v[8:9] neg_lo:[0,1] neg_hi:[0,1]
	s_wait_dscnt 0x0
	v_pk_mul_f32 v[8:9], v[4:5], v[2:3] op_sel:[0,1]
	s_delay_alu instid0(VALU_DEP_1) | instskip(SKIP_1) | instid1(VALU_DEP_1)
	v_pk_fma_f32 v[10:11], v[4:5], v[0:1], v[8:9] op_sel:[0,0,1] op_sel_hi:[1,1,0] neg_lo:[0,0,1] neg_hi:[0,0,1]
	v_pk_fma_f32 v[4:5], v[4:5], v[0:1], v[8:9] op_sel:[0,0,1] op_sel_hi:[1,0,0]
	v_mov_b32_e32 v11, v5
	v_pk_mul_f32 v[4:5], v[6:7], v[2:3] op_sel:[0,1]
	s_delay_alu instid0(VALU_DEP_2) | instskip(NEXT) | instid1(VALU_DEP_2)
	v_pk_add_f32 v[90:91], v[90:91], v[10:11] neg_lo:[0,1] neg_hi:[0,1]
	v_pk_fma_f32 v[8:9], v[6:7], v[0:1], v[4:5] op_sel:[0,0,1] op_sel_hi:[1,1,0] neg_lo:[0,0,1] neg_hi:[0,0,1]
	v_pk_fma_f32 v[4:5], v[6:7], v[0:1], v[4:5] op_sel:[0,0,1] op_sel_hi:[1,0,0]
	s_delay_alu instid0(VALU_DEP_1) | instskip(SKIP_4) | instid1(VALU_DEP_1)
	v_mov_b32_e32 v9, v5
	ds_load_2addr_b64 v[4:7], v56 offset0:25 offset1:26
	v_pk_add_f32 v[112:113], v[112:113], v[8:9] neg_lo:[0,1] neg_hi:[0,1]
	s_wait_dscnt 0x0
	v_pk_mul_f32 v[8:9], v[4:5], v[2:3] op_sel:[0,1]
	v_pk_fma_f32 v[10:11], v[4:5], v[0:1], v[8:9] op_sel:[0,0,1] op_sel_hi:[1,1,0] neg_lo:[0,0,1] neg_hi:[0,0,1]
	v_pk_fma_f32 v[4:5], v[4:5], v[0:1], v[8:9] op_sel:[0,0,1] op_sel_hi:[1,0,0]
	v_dual_mul_f32 v8, v7, v3 :: v_dual_mov_b32 v4, v7
	s_delay_alu instid0(VALU_DEP_2) | instskip(NEXT) | instid1(VALU_DEP_2)
	v_dual_mov_b32 v11, v5 :: v_dual_mov_b32 v5, v6
	v_pk_fma_f32 v[8:9], v[6:7], v[50:51], v[8:9] op_sel_hi:[1,1,0] neg_lo:[0,0,1] neg_hi:[0,0,1]
	v_mul_f32_e32 v6, v7, v0
	s_delay_alu instid0(VALU_DEP_3) | instskip(NEXT) | instid1(VALU_DEP_2)
	v_pk_add_f32 v[108:109], v[108:109], v[10:11] neg_lo:[0,1] neg_hi:[0,1]
	v_pk_fma_f32 v[4:5], v[4:5], v[50:51], v[6:7] op_sel_hi:[1,1,0]
	s_delay_alu instid0(VALU_DEP_1) | instskip(SKIP_4) | instid1(VALU_DEP_1)
	v_mov_b32_e32 v9, v5
	ds_load_2addr_b64 v[4:7], v56 offset0:27 offset1:28
	v_pk_add_f32 v[110:111], v[110:111], v[8:9] neg_lo:[0,1] neg_hi:[0,1]
	s_wait_dscnt 0x0
	v_pk_mul_f32 v[8:9], v[4:5], v[2:3] op_sel:[0,1]
	v_pk_fma_f32 v[10:11], v[4:5], v[0:1], v[8:9] op_sel:[0,0,1] op_sel_hi:[1,1,0] neg_lo:[0,0,1] neg_hi:[0,0,1]
	v_pk_fma_f32 v[4:5], v[4:5], v[0:1], v[8:9] op_sel:[0,0,1] op_sel_hi:[1,0,0]
	s_delay_alu instid0(VALU_DEP_1) | instskip(SKIP_1) | instid1(VALU_DEP_1)
	v_mov_b32_e32 v11, v5
	v_pk_mul_f32 v[4:5], v[6:7], v[2:3] op_sel:[0,1]
	v_pk_fma_f32 v[8:9], v[6:7], v[0:1], v[4:5] op_sel:[0,0,1] op_sel_hi:[1,1,0] neg_lo:[0,0,1] neg_hi:[0,0,1]
	v_pk_fma_f32 v[4:5], v[6:7], v[0:1], v[4:5] op_sel:[0,0,1] op_sel_hi:[1,0,0]
	s_delay_alu instid0(VALU_DEP_1)
	v_mov_b32_e32 v9, v5
	ds_load_2addr_b64 v[4:7], v56 offset0:29 offset1:30
	v_pk_add_f32 v[106:107], v[106:107], v[10:11] neg_lo:[0,1] neg_hi:[0,1]
	v_pk_add_f32 v[128:129], v[128:129], v[8:9] neg_lo:[0,1] neg_hi:[0,1]
	s_wait_dscnt 0x0
	v_pk_mul_f32 v[8:9], v[4:5], v[2:3] op_sel:[0,1]
	s_delay_alu instid0(VALU_DEP_1) | instskip(SKIP_1) | instid1(VALU_DEP_1)
	v_pk_fma_f32 v[10:11], v[4:5], v[0:1], v[8:9] op_sel:[0,0,1] op_sel_hi:[1,1,0] neg_lo:[0,0,1] neg_hi:[0,0,1]
	v_pk_fma_f32 v[4:5], v[4:5], v[0:1], v[8:9] op_sel:[0,0,1] op_sel_hi:[1,0,0]
	v_mov_b32_e32 v11, v5
	v_pk_mul_f32 v[4:5], v[6:7], v[2:3] op_sel:[0,1]
	s_delay_alu instid0(VALU_DEP_1) | instskip(SKIP_1) | instid1(VALU_DEP_1)
	v_pk_fma_f32 v[8:9], v[6:7], v[0:1], v[4:5] op_sel:[0,0,1] op_sel_hi:[1,1,0] neg_lo:[0,0,1] neg_hi:[0,0,1]
	v_pk_fma_f32 v[4:5], v[6:7], v[0:1], v[4:5] op_sel:[0,0,1] op_sel_hi:[1,0,0]
	v_mov_b32_e32 v9, v5
	ds_load_2addr_b64 v[4:7], v56 offset0:31 offset1:32
	v_pk_add_f32 v[124:125], v[124:125], v[10:11] neg_lo:[0,1] neg_hi:[0,1]
	v_pk_add_f32 v[126:127], v[126:127], v[8:9] neg_lo:[0,1] neg_hi:[0,1]
	s_wait_dscnt 0x0
	v_dual_mul_f32 v8, v5, v3 :: v_dual_mul_f32 v10, v5, v0
	s_delay_alu instid0(VALU_DEP_1) | instskip(NEXT) | instid1(VALU_DEP_2)
	v_pk_fma_f32 v[8:9], v[4:5], v[50:51], v[8:9] op_sel_hi:[1,1,0] neg_lo:[0,0,1] neg_hi:[0,0,1]
	v_pk_fma_f32 v[4:5], v[4:5], v[50:51], v[10:11] op_sel:[1,0,0] op_sel_hi:[0,1,0]
	s_delay_alu instid0(VALU_DEP_1) | instskip(SKIP_1) | instid1(VALU_DEP_2)
	v_mov_b32_e32 v9, v5
	v_pk_mul_f32 v[4:5], v[6:7], v[2:3] op_sel:[0,1]
	v_pk_add_f32 v[122:123], v[122:123], v[8:9] neg_lo:[0,1] neg_hi:[0,1]
	s_delay_alu instid0(VALU_DEP_2) | instskip(SKIP_1) | instid1(VALU_DEP_1)
	v_pk_fma_f32 v[8:9], v[6:7], v[0:1], v[4:5] op_sel:[0,0,1] op_sel_hi:[1,1,0] neg_lo:[0,0,1] neg_hi:[0,0,1]
	v_pk_fma_f32 v[4:5], v[6:7], v[0:1], v[4:5] op_sel:[0,0,1] op_sel_hi:[1,0,0]
	v_mov_b32_e32 v9, v5
	ds_load_2addr_b64 v[4:7], v56 offset0:33 offset1:34
	v_pk_add_f32 v[144:145], v[144:145], v[8:9] neg_lo:[0,1] neg_hi:[0,1]
	s_wait_dscnt 0x0
	v_pk_mul_f32 v[8:9], v[4:5], v[2:3] op_sel:[0,1]
	s_delay_alu instid0(VALU_DEP_1) | instskip(SKIP_1) | instid1(VALU_DEP_1)
	v_pk_fma_f32 v[10:11], v[4:5], v[0:1], v[8:9] op_sel:[0,0,1] op_sel_hi:[1,1,0] neg_lo:[0,0,1] neg_hi:[0,0,1]
	v_pk_fma_f32 v[4:5], v[4:5], v[0:1], v[8:9] op_sel:[0,0,1] op_sel_hi:[1,0,0]
	v_mov_b32_e32 v11, v5
	v_pk_mul_f32 v[4:5], v[6:7], v[2:3] op_sel:[0,1]
	s_delay_alu instid0(VALU_DEP_2) | instskip(NEXT) | instid1(VALU_DEP_2)
	v_pk_add_f32 v[140:141], v[140:141], v[10:11] neg_lo:[0,1] neg_hi:[0,1]
	v_pk_fma_f32 v[8:9], v[6:7], v[0:1], v[4:5] op_sel:[0,0,1] op_sel_hi:[1,1,0] neg_lo:[0,0,1] neg_hi:[0,0,1]
	v_pk_fma_f32 v[4:5], v[6:7], v[0:1], v[4:5] op_sel:[0,0,1] op_sel_hi:[1,0,0]
	s_delay_alu instid0(VALU_DEP_1) | instskip(SKIP_4) | instid1(VALU_DEP_1)
	v_mov_b32_e32 v9, v5
	ds_load_2addr_b64 v[4:7], v56 offset0:35 offset1:36
	v_pk_add_f32 v[142:143], v[142:143], v[8:9] neg_lo:[0,1] neg_hi:[0,1]
	s_wait_dscnt 0x0
	v_pk_mul_f32 v[8:9], v[4:5], v[2:3] op_sel:[0,1]
	v_pk_fma_f32 v[10:11], v[4:5], v[0:1], v[8:9] op_sel:[0,0,1] op_sel_hi:[1,1,0] neg_lo:[0,0,1] neg_hi:[0,0,1]
	v_pk_fma_f32 v[4:5], v[4:5], v[0:1], v[8:9] op_sel:[0,0,1] op_sel_hi:[1,0,0]
	v_dual_mul_f32 v8, v7, v3 :: v_dual_mov_b32 v4, v7
	s_delay_alu instid0(VALU_DEP_2) | instskip(NEXT) | instid1(VALU_DEP_2)
	v_dual_mov_b32 v11, v5 :: v_dual_mov_b32 v5, v6
	v_pk_fma_f32 v[8:9], v[6:7], v[50:51], v[8:9] op_sel_hi:[1,1,0] neg_lo:[0,0,1] neg_hi:[0,0,1]
	v_mul_f32_e32 v6, v7, v0
	s_delay_alu instid0(VALU_DEP_3) | instskip(NEXT) | instid1(VALU_DEP_2)
	v_pk_add_f32 v[138:139], v[138:139], v[10:11] neg_lo:[0,1] neg_hi:[0,1]
	v_pk_fma_f32 v[4:5], v[4:5], v[50:51], v[6:7] op_sel_hi:[1,1,0]
	s_delay_alu instid0(VALU_DEP_1) | instskip(SKIP_4) | instid1(VALU_DEP_1)
	v_mov_b32_e32 v9, v5
	ds_load_2addr_b64 v[4:7], v56 offset0:37 offset1:38
	v_pk_add_f32 v[164:165], v[164:165], v[8:9] neg_lo:[0,1] neg_hi:[0,1]
	s_wait_dscnt 0x0
	v_pk_mul_f32 v[8:9], v[4:5], v[2:3] op_sel:[0,1]
	v_pk_fma_f32 v[10:11], v[4:5], v[0:1], v[8:9] op_sel:[0,0,1] op_sel_hi:[1,1,0] neg_lo:[0,0,1] neg_hi:[0,0,1]
	v_pk_fma_f32 v[4:5], v[4:5], v[0:1], v[8:9] op_sel:[0,0,1] op_sel_hi:[1,0,0]
	s_delay_alu instid0(VALU_DEP_1) | instskip(SKIP_1) | instid1(VALU_DEP_1)
	v_mov_b32_e32 v11, v5
	v_pk_mul_f32 v[4:5], v[6:7], v[2:3] op_sel:[0,1]
	v_pk_fma_f32 v[8:9], v[6:7], v[0:1], v[4:5] op_sel:[0,0,1] op_sel_hi:[1,1,0] neg_lo:[0,0,1] neg_hi:[0,0,1]
	v_pk_fma_f32 v[4:5], v[6:7], v[0:1], v[4:5] op_sel:[0,0,1] op_sel_hi:[1,0,0]
	s_delay_alu instid0(VALU_DEP_1)
	v_mov_b32_e32 v9, v5
	ds_load_2addr_b64 v[4:7], v56 offset0:39 offset1:40
	v_pk_add_f32 v[160:161], v[160:161], v[10:11] neg_lo:[0,1] neg_hi:[0,1]
	v_pk_add_f32 v[162:163], v[162:163], v[8:9] neg_lo:[0,1] neg_hi:[0,1]
	s_wait_dscnt 0x0
	v_pk_mul_f32 v[8:9], v[4:5], v[2:3] op_sel:[0,1]
	s_delay_alu instid0(VALU_DEP_1) | instskip(SKIP_1) | instid1(VALU_DEP_1)
	v_pk_fma_f32 v[10:11], v[4:5], v[0:1], v[8:9] op_sel:[0,0,1] op_sel_hi:[1,1,0] neg_lo:[0,0,1] neg_hi:[0,0,1]
	v_pk_fma_f32 v[4:5], v[4:5], v[0:1], v[8:9] op_sel:[0,0,1] op_sel_hi:[1,0,0]
	v_mov_b32_e32 v11, v5
	v_pk_mul_f32 v[4:5], v[6:7], v[2:3] op_sel:[0,1]
	s_delay_alu instid0(VALU_DEP_1) | instskip(SKIP_1) | instid1(VALU_DEP_1)
	v_pk_fma_f32 v[8:9], v[6:7], v[0:1], v[4:5] op_sel:[0,0,1] op_sel_hi:[1,1,0] neg_lo:[0,0,1] neg_hi:[0,0,1]
	v_pk_fma_f32 v[4:5], v[6:7], v[0:1], v[4:5] op_sel:[0,0,1] op_sel_hi:[1,0,0]
	v_mov_b32_e32 v9, v5
	ds_load_2addr_b64 v[4:7], v56 offset0:41 offset1:42
	v_pk_add_f32 v[158:159], v[158:159], v[10:11] neg_lo:[0,1] neg_hi:[0,1]
	v_pk_add_f32 v[188:189], v[188:189], v[8:9] neg_lo:[0,1] neg_hi:[0,1]
	s_wait_dscnt 0x0
	v_dual_mul_f32 v8, v5, v3 :: v_dual_mul_f32 v10, v5, v0
	s_delay_alu instid0(VALU_DEP_1) | instskip(NEXT) | instid1(VALU_DEP_2)
	v_pk_fma_f32 v[8:9], v[4:5], v[50:51], v[8:9] op_sel_hi:[1,1,0] neg_lo:[0,0,1] neg_hi:[0,0,1]
	v_pk_fma_f32 v[4:5], v[4:5], v[50:51], v[10:11] op_sel:[1,0,0] op_sel_hi:[0,1,0]
	s_delay_alu instid0(VALU_DEP_1) | instskip(SKIP_1) | instid1(VALU_DEP_2)
	v_mov_b32_e32 v9, v5
	v_pk_mul_f32 v[4:5], v[6:7], v[2:3] op_sel:[0,1]
	v_pk_add_f32 v[182:183], v[182:183], v[8:9] neg_lo:[0,1] neg_hi:[0,1]
	s_delay_alu instid0(VALU_DEP_2) | instskip(SKIP_1) | instid1(VALU_DEP_1)
	v_pk_fma_f32 v[8:9], v[6:7], v[0:1], v[4:5] op_sel:[0,0,1] op_sel_hi:[1,1,0] neg_lo:[0,0,1] neg_hi:[0,0,1]
	v_pk_fma_f32 v[4:5], v[6:7], v[0:1], v[4:5] op_sel:[0,0,1] op_sel_hi:[1,0,0]
	v_mov_b32_e32 v9, v5
	ds_load_2addr_b64 v[4:7], v56 offset0:43 offset1:44
	v_pk_add_f32 v[186:187], v[186:187], v[8:9] neg_lo:[0,1] neg_hi:[0,1]
	s_wait_dscnt 0x0
	v_pk_mul_f32 v[8:9], v[4:5], v[2:3] op_sel:[0,1]
	s_delay_alu instid0(VALU_DEP_1) | instskip(SKIP_1) | instid1(VALU_DEP_1)
	v_pk_fma_f32 v[10:11], v[4:5], v[0:1], v[8:9] op_sel:[0,0,1] op_sel_hi:[1,1,0] neg_lo:[0,0,1] neg_hi:[0,0,1]
	v_pk_fma_f32 v[4:5], v[4:5], v[0:1], v[8:9] op_sel:[0,0,1] op_sel_hi:[1,0,0]
	v_mov_b32_e32 v11, v5
	v_pk_mul_f32 v[4:5], v[6:7], v[2:3] op_sel:[0,1]
	s_delay_alu instid0(VALU_DEP_2) | instskip(NEXT) | instid1(VALU_DEP_2)
	v_pk_add_f32 v[180:181], v[180:181], v[10:11] neg_lo:[0,1] neg_hi:[0,1]
	v_pk_fma_f32 v[8:9], v[6:7], v[0:1], v[4:5] op_sel:[0,0,1] op_sel_hi:[1,1,0] neg_lo:[0,0,1] neg_hi:[0,0,1]
	v_pk_fma_f32 v[4:5], v[6:7], v[0:1], v[4:5] op_sel:[0,0,1] op_sel_hi:[1,0,0]
	s_delay_alu instid0(VALU_DEP_1) | instskip(SKIP_4) | instid1(VALU_DEP_1)
	v_mov_b32_e32 v9, v5
	ds_load_2addr_b64 v[4:7], v56 offset0:45 offset1:46
	v_pk_add_f32 v[184:185], v[184:185], v[8:9] neg_lo:[0,1] neg_hi:[0,1]
	s_wait_dscnt 0x0
	v_pk_mul_f32 v[8:9], v[4:5], v[2:3] op_sel:[0,1]
	v_pk_fma_f32 v[10:11], v[4:5], v[0:1], v[8:9] op_sel:[0,0,1] op_sel_hi:[1,1,0] neg_lo:[0,0,1] neg_hi:[0,0,1]
	v_pk_fma_f32 v[4:5], v[4:5], v[0:1], v[8:9] op_sel:[0,0,1] op_sel_hi:[1,0,0]
	v_dual_mul_f32 v8, v7, v3 :: v_dual_mov_b32 v4, v7
	s_delay_alu instid0(VALU_DEP_2) | instskip(NEXT) | instid1(VALU_DEP_2)
	v_dual_mov_b32 v11, v5 :: v_dual_mov_b32 v5, v6
	v_pk_fma_f32 v[8:9], v[6:7], v[50:51], v[8:9] op_sel_hi:[1,1,0] neg_lo:[0,0,1] neg_hi:[0,0,1]
	v_mul_f32_e32 v6, v7, v0
	s_delay_alu instid0(VALU_DEP_3) | instskip(NEXT) | instid1(VALU_DEP_2)
	v_pk_add_f32 v[178:179], v[178:179], v[10:11] neg_lo:[0,1] neg_hi:[0,1]
	v_pk_fma_f32 v[4:5], v[4:5], v[50:51], v[6:7] op_sel_hi:[1,1,0]
	s_delay_alu instid0(VALU_DEP_1) | instskip(SKIP_4) | instid1(VALU_DEP_1)
	v_mov_b32_e32 v9, v5
	ds_load_b64 v[4:5], v56 offset:376
	v_pk_add_f32 v[190:191], v[190:191], v[8:9] neg_lo:[0,1] neg_hi:[0,1]
	s_wait_dscnt 0x0
	v_pk_mul_f32 v[2:3], v[4:5], v[2:3] op_sel:[0,1]
	v_pk_fma_f32 v[6:7], v[4:5], v[0:1], v[2:3] op_sel:[0,0,1] op_sel_hi:[1,1,0] neg_lo:[0,0,1] neg_hi:[0,0,1]
	v_pk_fma_f32 v[0:1], v[4:5], v[0:1], v[2:3] op_sel:[0,0,1] op_sel_hi:[1,0,0]
	s_delay_alu instid0(VALU_DEP_1) | instskip(NEXT) | instid1(VALU_DEP_1)
	v_mov_b32_e32 v7, v1
	v_pk_add_f32 v[192:193], v[192:193], v[6:7] neg_lo:[0,1] neg_hi:[0,1]
.LBB95_118:
	s_or_b32 exec_lo, exec_lo, s1
	s_delay_alu instid0(SALU_CYCLE_1)
	s_mov_b32 s2, exec_lo
	s_wait_dscnt 0x0
	s_barrier_signal -1
	s_barrier_wait -1
	v_cmpx_eq_u32_e32 13, v54
	s_cbranch_execz .LBB95_125
; %bb.119:
	v_dual_mov_b32 v0, v48 :: v_dual_mov_b32 v1, v49
	v_dual_mov_b32 v2, v44 :: v_dual_mov_b32 v3, v45
	;; [unrolled: 1-line block ×10, first 2 shown]
	ds_store_b64 v55, v[46:47]
	v_dual_mov_b32 v22, v112 :: v_dual_mov_b32 v23, v113
	v_dual_mov_b32 v24, v108 :: v_dual_mov_b32 v25, v109
	ds_store_2addr_b64 v56, v[0:1], v[2:3] offset0:14 offset1:15
	ds_store_2addr_b64 v56, v[4:5], v[6:7] offset0:16 offset1:17
	;; [unrolled: 1-line block ×6, first 2 shown]
	v_dual_mov_b32 v0, v110 :: v_dual_mov_b32 v1, v111
	v_dual_mov_b32 v2, v106 :: v_dual_mov_b32 v3, v107
	;; [unrolled: 1-line block ×12, first 2 shown]
	ds_store_2addr_b64 v56, v[0:1], v[2:3] offset0:26 offset1:27
	ds_store_2addr_b64 v56, v[4:5], v[6:7] offset0:28 offset1:29
	;; [unrolled: 1-line block ×6, first 2 shown]
	v_dual_mov_b32 v0, v162 :: v_dual_mov_b32 v1, v163
	v_dual_mov_b32 v2, v158 :: v_dual_mov_b32 v3, v159
	v_dual_mov_b32 v4, v188 :: v_dual_mov_b32 v5, v189
	v_dual_mov_b32 v6, v182 :: v_dual_mov_b32 v7, v183
	v_dual_mov_b32 v8, v186 :: v_dual_mov_b32 v9, v187
	v_dual_mov_b32 v10, v180 :: v_dual_mov_b32 v11, v181
	v_dual_mov_b32 v12, v184 :: v_dual_mov_b32 v13, v185
	v_dual_mov_b32 v14, v178 :: v_dual_mov_b32 v15, v179
	v_dual_mov_b32 v18, v190 :: v_dual_mov_b32 v19, v191
	ds_store_2addr_b64 v56, v[0:1], v[2:3] offset0:38 offset1:39
	ds_store_2addr_b64 v56, v[4:5], v[6:7] offset0:40 offset1:41
	;; [unrolled: 1-line block ×5, first 2 shown]
	ds_load_b64 v[0:1], v55
	s_wait_dscnt 0x0
	v_cmp_neq_f32_e32 vcc_lo, 0, v0
	v_cmp_neq_f32_e64 s1, 0, v1
	s_or_b32 s1, vcc_lo, s1
	s_delay_alu instid0(SALU_CYCLE_1)
	s_and_b32 exec_lo, exec_lo, s1
	s_cbranch_execz .LBB95_125
; %bb.120:
	v_cmp_ngt_f32_e64 s1, |v0|, |v1|
                                        ; implicit-def: $vgpr2_vgpr3
	s_and_saveexec_b32 s4, s1
	s_delay_alu instid0(SALU_CYCLE_1)
	s_xor_b32 s1, exec_lo, s4
	s_cbranch_execz .LBB95_122
; %bb.121:
	v_div_scale_f32 v2, null, v1, v1, v0
	v_div_scale_f32 v5, vcc_lo, v0, v1, v0
	s_delay_alu instid0(VALU_DEP_2) | instskip(SKIP_1) | instid1(TRANS32_DEP_1)
	v_rcp_f32_e32 v3, v2
	v_nop
	v_fma_f32 v4, -v2, v3, 1.0
	s_delay_alu instid0(VALU_DEP_1) | instskip(NEXT) | instid1(VALU_DEP_1)
	v_fmac_f32_e32 v3, v4, v3
	v_mul_f32_e32 v4, v5, v3
	s_delay_alu instid0(VALU_DEP_1) | instskip(NEXT) | instid1(VALU_DEP_1)
	v_fma_f32 v6, -v2, v4, v5
	v_fmac_f32_e32 v4, v6, v3
	s_delay_alu instid0(VALU_DEP_1) | instskip(NEXT) | instid1(VALU_DEP_1)
	v_fma_f32 v2, -v2, v4, v5
	v_div_fmas_f32 v2, v2, v3, v4
	s_delay_alu instid0(VALU_DEP_1) | instskip(NEXT) | instid1(VALU_DEP_1)
	v_div_fixup_f32 v2, v2, v1, v0
	v_fmac_f32_e32 v1, v0, v2
	s_delay_alu instid0(VALU_DEP_1) | instskip(SKIP_1) | instid1(VALU_DEP_2)
	v_div_scale_f32 v0, null, v1, v1, 1.0
	v_div_scale_f32 v5, vcc_lo, 1.0, v1, 1.0
	v_rcp_f32_e32 v3, v0
	v_nop
	s_delay_alu instid0(TRANS32_DEP_1) | instskip(NEXT) | instid1(VALU_DEP_1)
	v_fma_f32 v4, -v0, v3, 1.0
	v_fmac_f32_e32 v3, v4, v3
	s_delay_alu instid0(VALU_DEP_1) | instskip(NEXT) | instid1(VALU_DEP_1)
	v_mul_f32_e32 v4, v5, v3
	v_fma_f32 v6, -v0, v4, v5
	s_delay_alu instid0(VALU_DEP_1) | instskip(NEXT) | instid1(VALU_DEP_1)
	v_fmac_f32_e32 v4, v6, v3
	v_fma_f32 v0, -v0, v4, v5
	s_delay_alu instid0(VALU_DEP_1) | instskip(NEXT) | instid1(VALU_DEP_1)
	v_div_fmas_f32 v0, v0, v3, v4
	v_div_fixup_f32 v0, v0, v1, 1.0
	s_delay_alu instid0(VALU_DEP_1)
	v_mul_f32_e32 v2, v2, v0
	v_xor_b32_e32 v3, 0x80000000, v0
                                        ; implicit-def: $vgpr0_vgpr1
.LBB95_122:
	s_and_not1_saveexec_b32 s1, s1
	s_cbranch_execz .LBB95_124
; %bb.123:
	v_div_scale_f32 v2, null, v0, v0, v1
	v_div_scale_f32 v5, vcc_lo, v1, v0, v1
	s_delay_alu instid0(VALU_DEP_2) | instskip(SKIP_1) | instid1(TRANS32_DEP_1)
	v_rcp_f32_e32 v3, v2
	v_nop
	v_fma_f32 v4, -v2, v3, 1.0
	s_delay_alu instid0(VALU_DEP_1) | instskip(NEXT) | instid1(VALU_DEP_1)
	v_fmac_f32_e32 v3, v4, v3
	v_mul_f32_e32 v4, v5, v3
	s_delay_alu instid0(VALU_DEP_1) | instskip(NEXT) | instid1(VALU_DEP_1)
	v_fma_f32 v6, -v2, v4, v5
	v_fmac_f32_e32 v4, v6, v3
	s_delay_alu instid0(VALU_DEP_1) | instskip(NEXT) | instid1(VALU_DEP_1)
	v_fma_f32 v2, -v2, v4, v5
	v_div_fmas_f32 v2, v2, v3, v4
	s_delay_alu instid0(VALU_DEP_1) | instskip(NEXT) | instid1(VALU_DEP_1)
	v_div_fixup_f32 v3, v2, v0, v1
	v_fmac_f32_e32 v0, v1, v3
	s_delay_alu instid0(VALU_DEP_1) | instskip(NEXT) | instid1(VALU_DEP_1)
	v_div_scale_f32 v1, null, v0, v0, 1.0
	v_rcp_f32_e32 v2, v1
	v_nop
	s_delay_alu instid0(TRANS32_DEP_1) | instskip(NEXT) | instid1(VALU_DEP_1)
	v_fma_f32 v4, -v1, v2, 1.0
	v_fmac_f32_e32 v2, v4, v2
	v_div_scale_f32 v4, vcc_lo, 1.0, v0, 1.0
	s_delay_alu instid0(VALU_DEP_1) | instskip(NEXT) | instid1(VALU_DEP_1)
	v_mul_f32_e32 v5, v4, v2
	v_fma_f32 v6, -v1, v5, v4
	s_delay_alu instid0(VALU_DEP_1) | instskip(NEXT) | instid1(VALU_DEP_1)
	v_fmac_f32_e32 v5, v6, v2
	v_fma_f32 v1, -v1, v5, v4
	s_delay_alu instid0(VALU_DEP_1) | instskip(NEXT) | instid1(VALU_DEP_1)
	v_div_fmas_f32 v1, v1, v2, v5
	v_div_fixup_f32 v2, v1, v0, 1.0
	s_delay_alu instid0(VALU_DEP_1)
	v_mul_f32_e64 v3, v3, -v2
.LBB95_124:
	s_or_b32 exec_lo, exec_lo, s1
	ds_store_b64 v55, v[2:3]
.LBB95_125:
	s_or_b32 exec_lo, exec_lo, s2
	s_wait_dscnt 0x0
	s_barrier_signal -1
	s_barrier_wait -1
	ds_load_b64 v[220:221], v55
	s_mov_b32 s1, exec_lo
	v_cmpx_lt_u32_e32 13, v54
	s_cbranch_execz .LBB95_127
; %bb.126:
	ds_load_2addr_b64 v[4:7], v56 offset0:14 offset1:15
	s_wait_dscnt 0x1
	v_pk_mul_f32 v[2:3], v[220:221], v[46:47] op_sel:[1,1] op_sel_hi:[0,1]
	s_delay_alu instid0(VALU_DEP_1) | instskip(SKIP_1) | instid1(VALU_DEP_1)
	v_pk_fma_f32 v[0:1], v[220:221], v[46:47], v[2:3] op_sel_hi:[1,0,1] neg_lo:[0,0,1] neg_hi:[0,0,1]
	v_pk_fma_f32 v[2:3], v[220:221], v[46:47], v[2:3] op_sel_hi:[1,0,1]
	v_dual_mov_b32 v46, v0 :: v_dual_mov_b32 v47, v3
	s_wait_dscnt 0x0
	s_delay_alu instid0(VALU_DEP_2) | instskip(NEXT) | instid1(VALU_DEP_1)
	v_pk_mul_f32 v[8:9], v[4:5], v[2:3] op_sel:[0,1]
	v_pk_fma_f32 v[10:11], v[4:5], v[0:1], v[8:9] op_sel:[0,0,1] op_sel_hi:[1,1,0] neg_lo:[0,0,1] neg_hi:[0,0,1]
	v_pk_fma_f32 v[4:5], v[4:5], v[0:1], v[8:9] op_sel:[0,0,1] op_sel_hi:[1,0,0]
	s_delay_alu instid0(VALU_DEP_1) | instskip(SKIP_1) | instid1(VALU_DEP_1)
	v_mov_b32_e32 v11, v5
	v_pk_mul_f32 v[4:5], v[6:7], v[2:3] op_sel:[0,1]
	v_pk_fma_f32 v[8:9], v[6:7], v[0:1], v[4:5] op_sel:[0,0,1] op_sel_hi:[1,1,0] neg_lo:[0,0,1] neg_hi:[0,0,1]
	v_pk_fma_f32 v[4:5], v[6:7], v[0:1], v[4:5] op_sel:[0,0,1] op_sel_hi:[1,0,0]
	s_delay_alu instid0(VALU_DEP_1)
	v_mov_b32_e32 v9, v5
	ds_load_2addr_b64 v[4:7], v56 offset0:16 offset1:17
	v_pk_add_f32 v[48:49], v[48:49], v[10:11] neg_lo:[0,1] neg_hi:[0,1]
	v_pk_add_f32 v[44:45], v[44:45], v[8:9] neg_lo:[0,1] neg_hi:[0,1]
	s_wait_dscnt 0x0
	v_pk_mul_f32 v[8:9], v[4:5], v[2:3] op_sel:[0,1]
	s_delay_alu instid0(VALU_DEP_1) | instskip(SKIP_2) | instid1(VALU_DEP_2)
	v_pk_fma_f32 v[10:11], v[4:5], v[0:1], v[8:9] op_sel:[0,0,1] op_sel_hi:[1,1,0] neg_lo:[0,0,1] neg_hi:[0,0,1]
	v_pk_fma_f32 v[4:5], v[4:5], v[0:1], v[8:9] op_sel:[0,0,1] op_sel_hi:[1,0,0]
	v_dual_mul_f32 v8, v7, v3 :: v_dual_mov_b32 v4, v7
	v_dual_mov_b32 v11, v5 :: v_dual_mov_b32 v5, v6
	s_delay_alu instid0(VALU_DEP_2) | instskip(SKIP_1) | instid1(VALU_DEP_3)
	v_pk_fma_f32 v[8:9], v[6:7], v[46:47], v[8:9] op_sel_hi:[1,1,0] neg_lo:[0,0,1] neg_hi:[0,0,1]
	v_mul_f32_e32 v6, v7, v0
	v_pk_add_f32 v[74:75], v[74:75], v[10:11] neg_lo:[0,1] neg_hi:[0,1]
	s_delay_alu instid0(VALU_DEP_2) | instskip(NEXT) | instid1(VALU_DEP_1)
	v_pk_fma_f32 v[4:5], v[4:5], v[46:47], v[6:7] op_sel_hi:[1,1,0]
	v_mov_b32_e32 v9, v5
	ds_load_2addr_b64 v[4:7], v56 offset0:18 offset1:19
	v_pk_add_f32 v[70:71], v[70:71], v[8:9] neg_lo:[0,1] neg_hi:[0,1]
	s_wait_dscnt 0x0
	v_pk_mul_f32 v[8:9], v[4:5], v[2:3] op_sel:[0,1]
	s_delay_alu instid0(VALU_DEP_1) | instskip(SKIP_1) | instid1(VALU_DEP_1)
	v_pk_fma_f32 v[10:11], v[4:5], v[0:1], v[8:9] op_sel:[0,0,1] op_sel_hi:[1,1,0] neg_lo:[0,0,1] neg_hi:[0,0,1]
	v_pk_fma_f32 v[4:5], v[4:5], v[0:1], v[8:9] op_sel:[0,0,1] op_sel_hi:[1,0,0]
	v_mov_b32_e32 v11, v5
	v_pk_mul_f32 v[4:5], v[6:7], v[2:3] op_sel:[0,1]
	s_delay_alu instid0(VALU_DEP_1) | instskip(SKIP_1) | instid1(VALU_DEP_1)
	v_pk_fma_f32 v[8:9], v[6:7], v[0:1], v[4:5] op_sel:[0,0,1] op_sel_hi:[1,1,0] neg_lo:[0,0,1] neg_hi:[0,0,1]
	v_pk_fma_f32 v[4:5], v[6:7], v[0:1], v[4:5] op_sel:[0,0,1] op_sel_hi:[1,0,0]
	v_mov_b32_e32 v9, v5
	ds_load_2addr_b64 v[4:7], v56 offset0:20 offset1:21
	v_pk_add_f32 v[72:73], v[72:73], v[10:11] neg_lo:[0,1] neg_hi:[0,1]
	v_pk_add_f32 v[68:69], v[68:69], v[8:9] neg_lo:[0,1] neg_hi:[0,1]
	s_wait_dscnt 0x0
	v_pk_mul_f32 v[8:9], v[4:5], v[2:3] op_sel:[0,1]
	s_delay_alu instid0(VALU_DEP_1) | instskip(SKIP_1) | instid1(VALU_DEP_1)
	v_pk_fma_f32 v[10:11], v[4:5], v[0:1], v[8:9] op_sel:[0,0,1] op_sel_hi:[1,1,0] neg_lo:[0,0,1] neg_hi:[0,0,1]
	v_pk_fma_f32 v[4:5], v[4:5], v[0:1], v[8:9] op_sel:[0,0,1] op_sel_hi:[1,0,0]
	v_mov_b32_e32 v11, v5
	v_pk_mul_f32 v[4:5], v[6:7], v[2:3] op_sel:[0,1]
	s_delay_alu instid0(VALU_DEP_1) | instskip(SKIP_1) | instid1(VALU_DEP_1)
	v_pk_fma_f32 v[8:9], v[6:7], v[0:1], v[4:5] op_sel:[0,0,1] op_sel_hi:[1,1,0] neg_lo:[0,0,1] neg_hi:[0,0,1]
	v_pk_fma_f32 v[4:5], v[6:7], v[0:1], v[4:5] op_sel:[0,0,1] op_sel_hi:[1,0,0]
	v_mov_b32_e32 v9, v5
	ds_load_2addr_b64 v[4:7], v56 offset0:22 offset1:23
	v_pk_add_f32 v[96:97], v[96:97], v[10:11] neg_lo:[0,1] neg_hi:[0,1]
	v_pk_add_f32 v[92:93], v[92:93], v[8:9] neg_lo:[0,1] neg_hi:[0,1]
	s_wait_dscnt 0x0
	v_dual_mul_f32 v8, v5, v3 :: v_dual_mul_f32 v10, v5, v0
	s_delay_alu instid0(VALU_DEP_1) | instskip(NEXT) | instid1(VALU_DEP_2)
	v_pk_fma_f32 v[8:9], v[4:5], v[46:47], v[8:9] op_sel_hi:[1,1,0] neg_lo:[0,0,1] neg_hi:[0,0,1]
	v_pk_fma_f32 v[4:5], v[4:5], v[46:47], v[10:11] op_sel:[1,0,0] op_sel_hi:[0,1,0]
	s_delay_alu instid0(VALU_DEP_1) | instskip(SKIP_1) | instid1(VALU_DEP_2)
	v_mov_b32_e32 v9, v5
	v_pk_mul_f32 v[4:5], v[6:7], v[2:3] op_sel:[0,1]
	v_pk_add_f32 v[94:95], v[94:95], v[8:9] neg_lo:[0,1] neg_hi:[0,1]
	s_delay_alu instid0(VALU_DEP_2) | instskip(SKIP_1) | instid1(VALU_DEP_1)
	v_pk_fma_f32 v[8:9], v[6:7], v[0:1], v[4:5] op_sel:[0,0,1] op_sel_hi:[1,1,0] neg_lo:[0,0,1] neg_hi:[0,0,1]
	v_pk_fma_f32 v[4:5], v[6:7], v[0:1], v[4:5] op_sel:[0,0,1] op_sel_hi:[1,0,0]
	v_mov_b32_e32 v9, v5
	ds_load_2addr_b64 v[4:7], v56 offset0:24 offset1:25
	v_pk_add_f32 v[90:91], v[90:91], v[8:9] neg_lo:[0,1] neg_hi:[0,1]
	s_wait_dscnt 0x0
	v_pk_mul_f32 v[8:9], v[4:5], v[2:3] op_sel:[0,1]
	s_delay_alu instid0(VALU_DEP_1) | instskip(SKIP_1) | instid1(VALU_DEP_1)
	v_pk_fma_f32 v[10:11], v[4:5], v[0:1], v[8:9] op_sel:[0,0,1] op_sel_hi:[1,1,0] neg_lo:[0,0,1] neg_hi:[0,0,1]
	v_pk_fma_f32 v[4:5], v[4:5], v[0:1], v[8:9] op_sel:[0,0,1] op_sel_hi:[1,0,0]
	v_mov_b32_e32 v11, v5
	v_pk_mul_f32 v[4:5], v[6:7], v[2:3] op_sel:[0,1]
	s_delay_alu instid0(VALU_DEP_2) | instskip(NEXT) | instid1(VALU_DEP_2)
	v_pk_add_f32 v[112:113], v[112:113], v[10:11] neg_lo:[0,1] neg_hi:[0,1]
	v_pk_fma_f32 v[8:9], v[6:7], v[0:1], v[4:5] op_sel:[0,0,1] op_sel_hi:[1,1,0] neg_lo:[0,0,1] neg_hi:[0,0,1]
	v_pk_fma_f32 v[4:5], v[6:7], v[0:1], v[4:5] op_sel:[0,0,1] op_sel_hi:[1,0,0]
	s_delay_alu instid0(VALU_DEP_1) | instskip(SKIP_4) | instid1(VALU_DEP_1)
	v_mov_b32_e32 v9, v5
	ds_load_2addr_b64 v[4:7], v56 offset0:26 offset1:27
	v_pk_add_f32 v[108:109], v[108:109], v[8:9] neg_lo:[0,1] neg_hi:[0,1]
	s_wait_dscnt 0x0
	v_pk_mul_f32 v[8:9], v[4:5], v[2:3] op_sel:[0,1]
	v_pk_fma_f32 v[10:11], v[4:5], v[0:1], v[8:9] op_sel:[0,0,1] op_sel_hi:[1,1,0] neg_lo:[0,0,1] neg_hi:[0,0,1]
	v_pk_fma_f32 v[4:5], v[4:5], v[0:1], v[8:9] op_sel:[0,0,1] op_sel_hi:[1,0,0]
	v_dual_mul_f32 v8, v7, v3 :: v_dual_mov_b32 v4, v7
	s_delay_alu instid0(VALU_DEP_2) | instskip(NEXT) | instid1(VALU_DEP_2)
	v_dual_mov_b32 v11, v5 :: v_dual_mov_b32 v5, v6
	v_pk_fma_f32 v[8:9], v[6:7], v[46:47], v[8:9] op_sel_hi:[1,1,0] neg_lo:[0,0,1] neg_hi:[0,0,1]
	v_mul_f32_e32 v6, v7, v0
	s_delay_alu instid0(VALU_DEP_3) | instskip(NEXT) | instid1(VALU_DEP_2)
	v_pk_add_f32 v[110:111], v[110:111], v[10:11] neg_lo:[0,1] neg_hi:[0,1]
	v_pk_fma_f32 v[4:5], v[4:5], v[46:47], v[6:7] op_sel_hi:[1,1,0]
	s_delay_alu instid0(VALU_DEP_1) | instskip(SKIP_4) | instid1(VALU_DEP_1)
	v_mov_b32_e32 v9, v5
	ds_load_2addr_b64 v[4:7], v56 offset0:28 offset1:29
	v_pk_add_f32 v[106:107], v[106:107], v[8:9] neg_lo:[0,1] neg_hi:[0,1]
	s_wait_dscnt 0x0
	v_pk_mul_f32 v[8:9], v[4:5], v[2:3] op_sel:[0,1]
	v_pk_fma_f32 v[10:11], v[4:5], v[0:1], v[8:9] op_sel:[0,0,1] op_sel_hi:[1,1,0] neg_lo:[0,0,1] neg_hi:[0,0,1]
	v_pk_fma_f32 v[4:5], v[4:5], v[0:1], v[8:9] op_sel:[0,0,1] op_sel_hi:[1,0,0]
	s_delay_alu instid0(VALU_DEP_1) | instskip(SKIP_1) | instid1(VALU_DEP_1)
	v_mov_b32_e32 v11, v5
	v_pk_mul_f32 v[4:5], v[6:7], v[2:3] op_sel:[0,1]
	v_pk_fma_f32 v[8:9], v[6:7], v[0:1], v[4:5] op_sel:[0,0,1] op_sel_hi:[1,1,0] neg_lo:[0,0,1] neg_hi:[0,0,1]
	v_pk_fma_f32 v[4:5], v[6:7], v[0:1], v[4:5] op_sel:[0,0,1] op_sel_hi:[1,0,0]
	s_delay_alu instid0(VALU_DEP_1)
	v_mov_b32_e32 v9, v5
	ds_load_2addr_b64 v[4:7], v56 offset0:30 offset1:31
	v_pk_add_f32 v[128:129], v[128:129], v[10:11] neg_lo:[0,1] neg_hi:[0,1]
	v_pk_add_f32 v[124:125], v[124:125], v[8:9] neg_lo:[0,1] neg_hi:[0,1]
	s_wait_dscnt 0x0
	v_pk_mul_f32 v[8:9], v[4:5], v[2:3] op_sel:[0,1]
	s_delay_alu instid0(VALU_DEP_1) | instskip(SKIP_1) | instid1(VALU_DEP_1)
	v_pk_fma_f32 v[10:11], v[4:5], v[0:1], v[8:9] op_sel:[0,0,1] op_sel_hi:[1,1,0] neg_lo:[0,0,1] neg_hi:[0,0,1]
	v_pk_fma_f32 v[4:5], v[4:5], v[0:1], v[8:9] op_sel:[0,0,1] op_sel_hi:[1,0,0]
	v_mov_b32_e32 v11, v5
	v_pk_mul_f32 v[4:5], v[6:7], v[2:3] op_sel:[0,1]
	s_delay_alu instid0(VALU_DEP_1) | instskip(SKIP_1) | instid1(VALU_DEP_1)
	v_pk_fma_f32 v[8:9], v[6:7], v[0:1], v[4:5] op_sel:[0,0,1] op_sel_hi:[1,1,0] neg_lo:[0,0,1] neg_hi:[0,0,1]
	v_pk_fma_f32 v[4:5], v[6:7], v[0:1], v[4:5] op_sel:[0,0,1] op_sel_hi:[1,0,0]
	v_mov_b32_e32 v9, v5
	ds_load_2addr_b64 v[4:7], v56 offset0:32 offset1:33
	v_pk_add_f32 v[126:127], v[126:127], v[10:11] neg_lo:[0,1] neg_hi:[0,1]
	v_pk_add_f32 v[122:123], v[122:123], v[8:9] neg_lo:[0,1] neg_hi:[0,1]
	s_wait_dscnt 0x0
	v_dual_mul_f32 v8, v5, v3 :: v_dual_mul_f32 v10, v5, v0
	s_delay_alu instid0(VALU_DEP_1) | instskip(NEXT) | instid1(VALU_DEP_2)
	v_pk_fma_f32 v[8:9], v[4:5], v[46:47], v[8:9] op_sel_hi:[1,1,0] neg_lo:[0,0,1] neg_hi:[0,0,1]
	v_pk_fma_f32 v[4:5], v[4:5], v[46:47], v[10:11] op_sel:[1,0,0] op_sel_hi:[0,1,0]
	s_delay_alu instid0(VALU_DEP_1) | instskip(SKIP_1) | instid1(VALU_DEP_2)
	v_mov_b32_e32 v9, v5
	v_pk_mul_f32 v[4:5], v[6:7], v[2:3] op_sel:[0,1]
	v_pk_add_f32 v[144:145], v[144:145], v[8:9] neg_lo:[0,1] neg_hi:[0,1]
	s_delay_alu instid0(VALU_DEP_2) | instskip(SKIP_1) | instid1(VALU_DEP_1)
	v_pk_fma_f32 v[8:9], v[6:7], v[0:1], v[4:5] op_sel:[0,0,1] op_sel_hi:[1,1,0] neg_lo:[0,0,1] neg_hi:[0,0,1]
	v_pk_fma_f32 v[4:5], v[6:7], v[0:1], v[4:5] op_sel:[0,0,1] op_sel_hi:[1,0,0]
	v_mov_b32_e32 v9, v5
	ds_load_2addr_b64 v[4:7], v56 offset0:34 offset1:35
	v_pk_add_f32 v[140:141], v[140:141], v[8:9] neg_lo:[0,1] neg_hi:[0,1]
	s_wait_dscnt 0x0
	v_pk_mul_f32 v[8:9], v[4:5], v[2:3] op_sel:[0,1]
	s_delay_alu instid0(VALU_DEP_1) | instskip(SKIP_1) | instid1(VALU_DEP_1)
	v_pk_fma_f32 v[10:11], v[4:5], v[0:1], v[8:9] op_sel:[0,0,1] op_sel_hi:[1,1,0] neg_lo:[0,0,1] neg_hi:[0,0,1]
	v_pk_fma_f32 v[4:5], v[4:5], v[0:1], v[8:9] op_sel:[0,0,1] op_sel_hi:[1,0,0]
	v_mov_b32_e32 v11, v5
	v_pk_mul_f32 v[4:5], v[6:7], v[2:3] op_sel:[0,1]
	s_delay_alu instid0(VALU_DEP_2) | instskip(NEXT) | instid1(VALU_DEP_2)
	v_pk_add_f32 v[142:143], v[142:143], v[10:11] neg_lo:[0,1] neg_hi:[0,1]
	v_pk_fma_f32 v[8:9], v[6:7], v[0:1], v[4:5] op_sel:[0,0,1] op_sel_hi:[1,1,0] neg_lo:[0,0,1] neg_hi:[0,0,1]
	v_pk_fma_f32 v[4:5], v[6:7], v[0:1], v[4:5] op_sel:[0,0,1] op_sel_hi:[1,0,0]
	s_delay_alu instid0(VALU_DEP_1) | instskip(SKIP_4) | instid1(VALU_DEP_1)
	v_mov_b32_e32 v9, v5
	ds_load_2addr_b64 v[4:7], v56 offset0:36 offset1:37
	v_pk_add_f32 v[138:139], v[138:139], v[8:9] neg_lo:[0,1] neg_hi:[0,1]
	s_wait_dscnt 0x0
	v_pk_mul_f32 v[8:9], v[4:5], v[2:3] op_sel:[0,1]
	v_pk_fma_f32 v[10:11], v[4:5], v[0:1], v[8:9] op_sel:[0,0,1] op_sel_hi:[1,1,0] neg_lo:[0,0,1] neg_hi:[0,0,1]
	v_pk_fma_f32 v[4:5], v[4:5], v[0:1], v[8:9] op_sel:[0,0,1] op_sel_hi:[1,0,0]
	v_dual_mul_f32 v8, v7, v3 :: v_dual_mov_b32 v4, v7
	s_delay_alu instid0(VALU_DEP_2) | instskip(NEXT) | instid1(VALU_DEP_2)
	v_dual_mov_b32 v11, v5 :: v_dual_mov_b32 v5, v6
	v_pk_fma_f32 v[8:9], v[6:7], v[46:47], v[8:9] op_sel_hi:[1,1,0] neg_lo:[0,0,1] neg_hi:[0,0,1]
	v_mul_f32_e32 v6, v7, v0
	s_delay_alu instid0(VALU_DEP_3) | instskip(NEXT) | instid1(VALU_DEP_2)
	v_pk_add_f32 v[164:165], v[164:165], v[10:11] neg_lo:[0,1] neg_hi:[0,1]
	v_pk_fma_f32 v[4:5], v[4:5], v[46:47], v[6:7] op_sel_hi:[1,1,0]
	s_delay_alu instid0(VALU_DEP_1) | instskip(SKIP_4) | instid1(VALU_DEP_1)
	v_mov_b32_e32 v9, v5
	ds_load_2addr_b64 v[4:7], v56 offset0:38 offset1:39
	v_pk_add_f32 v[160:161], v[160:161], v[8:9] neg_lo:[0,1] neg_hi:[0,1]
	s_wait_dscnt 0x0
	v_pk_mul_f32 v[8:9], v[4:5], v[2:3] op_sel:[0,1]
	v_pk_fma_f32 v[10:11], v[4:5], v[0:1], v[8:9] op_sel:[0,0,1] op_sel_hi:[1,1,0] neg_lo:[0,0,1] neg_hi:[0,0,1]
	v_pk_fma_f32 v[4:5], v[4:5], v[0:1], v[8:9] op_sel:[0,0,1] op_sel_hi:[1,0,0]
	s_delay_alu instid0(VALU_DEP_1) | instskip(SKIP_1) | instid1(VALU_DEP_1)
	v_mov_b32_e32 v11, v5
	v_pk_mul_f32 v[4:5], v[6:7], v[2:3] op_sel:[0,1]
	v_pk_fma_f32 v[8:9], v[6:7], v[0:1], v[4:5] op_sel:[0,0,1] op_sel_hi:[1,1,0] neg_lo:[0,0,1] neg_hi:[0,0,1]
	v_pk_fma_f32 v[4:5], v[6:7], v[0:1], v[4:5] op_sel:[0,0,1] op_sel_hi:[1,0,0]
	s_delay_alu instid0(VALU_DEP_1)
	v_mov_b32_e32 v9, v5
	ds_load_2addr_b64 v[4:7], v56 offset0:40 offset1:41
	v_pk_add_f32 v[162:163], v[162:163], v[10:11] neg_lo:[0,1] neg_hi:[0,1]
	v_pk_add_f32 v[158:159], v[158:159], v[8:9] neg_lo:[0,1] neg_hi:[0,1]
	s_wait_dscnt 0x0
	v_pk_mul_f32 v[8:9], v[4:5], v[2:3] op_sel:[0,1]
	s_delay_alu instid0(VALU_DEP_1) | instskip(SKIP_1) | instid1(VALU_DEP_1)
	v_pk_fma_f32 v[10:11], v[4:5], v[0:1], v[8:9] op_sel:[0,0,1] op_sel_hi:[1,1,0] neg_lo:[0,0,1] neg_hi:[0,0,1]
	v_pk_fma_f32 v[4:5], v[4:5], v[0:1], v[8:9] op_sel:[0,0,1] op_sel_hi:[1,0,0]
	v_mov_b32_e32 v11, v5
	v_pk_mul_f32 v[4:5], v[6:7], v[2:3] op_sel:[0,1]
	s_delay_alu instid0(VALU_DEP_1) | instskip(SKIP_1) | instid1(VALU_DEP_1)
	v_pk_fma_f32 v[8:9], v[6:7], v[0:1], v[4:5] op_sel:[0,0,1] op_sel_hi:[1,1,0] neg_lo:[0,0,1] neg_hi:[0,0,1]
	v_pk_fma_f32 v[4:5], v[6:7], v[0:1], v[4:5] op_sel:[0,0,1] op_sel_hi:[1,0,0]
	v_mov_b32_e32 v9, v5
	ds_load_2addr_b64 v[4:7], v56 offset0:42 offset1:43
	v_pk_add_f32 v[188:189], v[188:189], v[10:11] neg_lo:[0,1] neg_hi:[0,1]
	v_pk_add_f32 v[182:183], v[182:183], v[8:9] neg_lo:[0,1] neg_hi:[0,1]
	s_wait_dscnt 0x0
	v_dual_mul_f32 v8, v5, v3 :: v_dual_mul_f32 v10, v5, v0
	s_delay_alu instid0(VALU_DEP_1) | instskip(NEXT) | instid1(VALU_DEP_2)
	v_pk_fma_f32 v[8:9], v[4:5], v[46:47], v[8:9] op_sel_hi:[1,1,0] neg_lo:[0,0,1] neg_hi:[0,0,1]
	v_pk_fma_f32 v[4:5], v[4:5], v[46:47], v[10:11] op_sel:[1,0,0] op_sel_hi:[0,1,0]
	s_delay_alu instid0(VALU_DEP_1) | instskip(SKIP_1) | instid1(VALU_DEP_2)
	v_mov_b32_e32 v9, v5
	v_pk_mul_f32 v[4:5], v[6:7], v[2:3] op_sel:[0,1]
	v_pk_add_f32 v[186:187], v[186:187], v[8:9] neg_lo:[0,1] neg_hi:[0,1]
	s_delay_alu instid0(VALU_DEP_2) | instskip(SKIP_1) | instid1(VALU_DEP_1)
	v_pk_fma_f32 v[8:9], v[6:7], v[0:1], v[4:5] op_sel:[0,0,1] op_sel_hi:[1,1,0] neg_lo:[0,0,1] neg_hi:[0,0,1]
	v_pk_fma_f32 v[4:5], v[6:7], v[0:1], v[4:5] op_sel:[0,0,1] op_sel_hi:[1,0,0]
	v_mov_b32_e32 v9, v5
	ds_load_2addr_b64 v[4:7], v56 offset0:44 offset1:45
	v_pk_add_f32 v[180:181], v[180:181], v[8:9] neg_lo:[0,1] neg_hi:[0,1]
	s_wait_dscnt 0x0
	v_pk_mul_f32 v[8:9], v[4:5], v[2:3] op_sel:[0,1]
	s_delay_alu instid0(VALU_DEP_1) | instskip(SKIP_1) | instid1(VALU_DEP_1)
	v_pk_fma_f32 v[10:11], v[4:5], v[0:1], v[8:9] op_sel:[0,0,1] op_sel_hi:[1,1,0] neg_lo:[0,0,1] neg_hi:[0,0,1]
	v_pk_fma_f32 v[4:5], v[4:5], v[0:1], v[8:9] op_sel:[0,0,1] op_sel_hi:[1,0,0]
	v_mov_b32_e32 v11, v5
	v_pk_mul_f32 v[4:5], v[6:7], v[2:3] op_sel:[0,1]
	s_delay_alu instid0(VALU_DEP_2) | instskip(NEXT) | instid1(VALU_DEP_2)
	v_pk_add_f32 v[184:185], v[184:185], v[10:11] neg_lo:[0,1] neg_hi:[0,1]
	v_pk_fma_f32 v[8:9], v[6:7], v[0:1], v[4:5] op_sel:[0,0,1] op_sel_hi:[1,1,0] neg_lo:[0,0,1] neg_hi:[0,0,1]
	v_pk_fma_f32 v[4:5], v[6:7], v[0:1], v[4:5] op_sel:[0,0,1] op_sel_hi:[1,0,0]
	s_delay_alu instid0(VALU_DEP_1)
	v_mov_b32_e32 v9, v5
	ds_load_2addr_b64 v[4:7], v56 offset0:46 offset1:47
	v_pk_add_f32 v[178:179], v[178:179], v[8:9] neg_lo:[0,1] neg_hi:[0,1]
	s_wait_dscnt 0x0
	v_pk_mul_f32 v[8:9], v[4:5], v[2:3] op_sel:[0,1]
	v_pk_mul_f32 v[2:3], v[6:7], v[2:3] op_sel:[0,1]
	s_delay_alu instid0(VALU_DEP_2) | instskip(SKIP_1) | instid1(VALU_DEP_1)
	v_pk_fma_f32 v[10:11], v[4:5], v[0:1], v[8:9] op_sel:[0,0,1] op_sel_hi:[1,1,0] neg_lo:[0,0,1] neg_hi:[0,0,1]
	v_pk_fma_f32 v[4:5], v[4:5], v[0:1], v[8:9] op_sel:[0,0,1] op_sel_hi:[1,0,0]
	v_mov_b32_e32 v11, v5
	s_delay_alu instid0(VALU_DEP_4) | instskip(SKIP_1) | instid1(VALU_DEP_3)
	v_pk_fma_f32 v[4:5], v[6:7], v[0:1], v[2:3] op_sel:[0,0,1] op_sel_hi:[1,1,0] neg_lo:[0,0,1] neg_hi:[0,0,1]
	v_pk_fma_f32 v[0:1], v[6:7], v[0:1], v[2:3] op_sel:[0,0,1] op_sel_hi:[1,0,0]
	v_pk_add_f32 v[190:191], v[190:191], v[10:11] neg_lo:[0,1] neg_hi:[0,1]
	s_delay_alu instid0(VALU_DEP_2) | instskip(NEXT) | instid1(VALU_DEP_1)
	v_mov_b32_e32 v5, v1
	v_pk_add_f32 v[192:193], v[192:193], v[4:5] neg_lo:[0,1] neg_hi:[0,1]
.LBB95_127:
	s_or_b32 exec_lo, exec_lo, s1
	s_delay_alu instid0(SALU_CYCLE_1)
	s_mov_b32 s2, exec_lo
	s_wait_dscnt 0x0
	s_barrier_signal -1
	s_barrier_wait -1
	v_cmpx_eq_u32_e32 14, v54
	s_cbranch_execz .LBB95_134
; %bb.128:
	ds_store_b64 v55, v[48:49]
	ds_store_2addr_b64 v56, v[44:45], v[74:75] offset0:15 offset1:16
	ds_store_2addr_b64 v56, v[70:71], v[72:73] offset0:17 offset1:18
	;; [unrolled: 1-line block ×16, first 2 shown]
	ds_store_b64 v56, v[192:193] offset:376
	ds_load_b64 v[0:1], v55
	s_wait_dscnt 0x0
	v_cmp_neq_f32_e32 vcc_lo, 0, v0
	v_cmp_neq_f32_e64 s1, 0, v1
	s_or_b32 s1, vcc_lo, s1
	s_delay_alu instid0(SALU_CYCLE_1)
	s_and_b32 exec_lo, exec_lo, s1
	s_cbranch_execz .LBB95_134
; %bb.129:
	v_cmp_ngt_f32_e64 s1, |v0|, |v1|
                                        ; implicit-def: $vgpr2_vgpr3
	s_and_saveexec_b32 s4, s1
	s_delay_alu instid0(SALU_CYCLE_1)
	s_xor_b32 s1, exec_lo, s4
	s_cbranch_execz .LBB95_131
; %bb.130:
	v_div_scale_f32 v2, null, v1, v1, v0
	v_div_scale_f32 v5, vcc_lo, v0, v1, v0
	s_delay_alu instid0(VALU_DEP_2) | instskip(SKIP_1) | instid1(TRANS32_DEP_1)
	v_rcp_f32_e32 v3, v2
	v_nop
	v_fma_f32 v4, -v2, v3, 1.0
	s_delay_alu instid0(VALU_DEP_1) | instskip(NEXT) | instid1(VALU_DEP_1)
	v_fmac_f32_e32 v3, v4, v3
	v_mul_f32_e32 v4, v5, v3
	s_delay_alu instid0(VALU_DEP_1) | instskip(NEXT) | instid1(VALU_DEP_1)
	v_fma_f32 v6, -v2, v4, v5
	v_fmac_f32_e32 v4, v6, v3
	s_delay_alu instid0(VALU_DEP_1) | instskip(NEXT) | instid1(VALU_DEP_1)
	v_fma_f32 v2, -v2, v4, v5
	v_div_fmas_f32 v2, v2, v3, v4
	s_delay_alu instid0(VALU_DEP_1) | instskip(NEXT) | instid1(VALU_DEP_1)
	v_div_fixup_f32 v2, v2, v1, v0
	v_fmac_f32_e32 v1, v0, v2
	s_delay_alu instid0(VALU_DEP_1) | instskip(SKIP_1) | instid1(VALU_DEP_2)
	v_div_scale_f32 v0, null, v1, v1, 1.0
	v_div_scale_f32 v5, vcc_lo, 1.0, v1, 1.0
	v_rcp_f32_e32 v3, v0
	v_nop
	s_delay_alu instid0(TRANS32_DEP_1) | instskip(NEXT) | instid1(VALU_DEP_1)
	v_fma_f32 v4, -v0, v3, 1.0
	v_fmac_f32_e32 v3, v4, v3
	s_delay_alu instid0(VALU_DEP_1) | instskip(NEXT) | instid1(VALU_DEP_1)
	v_mul_f32_e32 v4, v5, v3
	v_fma_f32 v6, -v0, v4, v5
	s_delay_alu instid0(VALU_DEP_1) | instskip(NEXT) | instid1(VALU_DEP_1)
	v_fmac_f32_e32 v4, v6, v3
	v_fma_f32 v0, -v0, v4, v5
	s_delay_alu instid0(VALU_DEP_1) | instskip(NEXT) | instid1(VALU_DEP_1)
	v_div_fmas_f32 v0, v0, v3, v4
	v_div_fixup_f32 v0, v0, v1, 1.0
	s_delay_alu instid0(VALU_DEP_1)
	v_mul_f32_e32 v2, v2, v0
	v_xor_b32_e32 v3, 0x80000000, v0
                                        ; implicit-def: $vgpr0_vgpr1
.LBB95_131:
	s_and_not1_saveexec_b32 s1, s1
	s_cbranch_execz .LBB95_133
; %bb.132:
	v_div_scale_f32 v2, null, v0, v0, v1
	v_div_scale_f32 v5, vcc_lo, v1, v0, v1
	s_delay_alu instid0(VALU_DEP_2) | instskip(SKIP_1) | instid1(TRANS32_DEP_1)
	v_rcp_f32_e32 v3, v2
	v_nop
	v_fma_f32 v4, -v2, v3, 1.0
	s_delay_alu instid0(VALU_DEP_1) | instskip(NEXT) | instid1(VALU_DEP_1)
	v_fmac_f32_e32 v3, v4, v3
	v_mul_f32_e32 v4, v5, v3
	s_delay_alu instid0(VALU_DEP_1) | instskip(NEXT) | instid1(VALU_DEP_1)
	v_fma_f32 v6, -v2, v4, v5
	v_fmac_f32_e32 v4, v6, v3
	s_delay_alu instid0(VALU_DEP_1) | instskip(NEXT) | instid1(VALU_DEP_1)
	v_fma_f32 v2, -v2, v4, v5
	v_div_fmas_f32 v2, v2, v3, v4
	s_delay_alu instid0(VALU_DEP_1) | instskip(NEXT) | instid1(VALU_DEP_1)
	v_div_fixup_f32 v3, v2, v0, v1
	v_fmac_f32_e32 v0, v1, v3
	s_delay_alu instid0(VALU_DEP_1) | instskip(NEXT) | instid1(VALU_DEP_1)
	v_div_scale_f32 v1, null, v0, v0, 1.0
	v_rcp_f32_e32 v2, v1
	v_nop
	s_delay_alu instid0(TRANS32_DEP_1) | instskip(NEXT) | instid1(VALU_DEP_1)
	v_fma_f32 v4, -v1, v2, 1.0
	v_fmac_f32_e32 v2, v4, v2
	v_div_scale_f32 v4, vcc_lo, 1.0, v0, 1.0
	s_delay_alu instid0(VALU_DEP_1) | instskip(NEXT) | instid1(VALU_DEP_1)
	v_mul_f32_e32 v5, v4, v2
	v_fma_f32 v6, -v1, v5, v4
	s_delay_alu instid0(VALU_DEP_1) | instskip(NEXT) | instid1(VALU_DEP_1)
	v_fmac_f32_e32 v5, v6, v2
	v_fma_f32 v1, -v1, v5, v4
	s_delay_alu instid0(VALU_DEP_1) | instskip(NEXT) | instid1(VALU_DEP_1)
	v_div_fmas_f32 v1, v1, v2, v5
	v_div_fixup_f32 v2, v1, v0, 1.0
	s_delay_alu instid0(VALU_DEP_1)
	v_mul_f32_e64 v3, v3, -v2
.LBB95_133:
	s_or_b32 exec_lo, exec_lo, s1
	ds_store_b64 v55, v[2:3]
.LBB95_134:
	s_or_b32 exec_lo, exec_lo, s2
	s_wait_dscnt 0x0
	s_barrier_signal -1
	s_barrier_wait -1
	ds_load_b64 v[222:223], v55
	s_mov_b32 s1, exec_lo
	v_cmpx_lt_u32_e32 14, v54
	s_cbranch_execz .LBB95_136
; %bb.135:
	ds_load_2addr_b64 v[4:7], v56 offset0:15 offset1:16
	s_wait_dscnt 0x1
	v_pk_mul_f32 v[2:3], v[222:223], v[48:49] op_sel:[1,1] op_sel_hi:[0,1]
	s_delay_alu instid0(VALU_DEP_1) | instskip(SKIP_1) | instid1(VALU_DEP_1)
	v_pk_fma_f32 v[0:1], v[222:223], v[48:49], v[2:3] op_sel_hi:[1,0,1] neg_lo:[0,0,1] neg_hi:[0,0,1]
	v_pk_fma_f32 v[2:3], v[222:223], v[48:49], v[2:3] op_sel_hi:[1,0,1]
	v_dual_mov_b32 v48, v0 :: v_dual_mov_b32 v49, v3
	s_wait_dscnt 0x0
	s_delay_alu instid0(VALU_DEP_2) | instskip(NEXT) | instid1(VALU_DEP_1)
	v_pk_mul_f32 v[8:9], v[4:5], v[2:3] op_sel:[0,1]
	v_pk_fma_f32 v[10:11], v[4:5], v[0:1], v[8:9] op_sel:[0,0,1] op_sel_hi:[1,1,0] neg_lo:[0,0,1] neg_hi:[0,0,1]
	v_pk_fma_f32 v[4:5], v[4:5], v[0:1], v[8:9] op_sel:[0,0,1] op_sel_hi:[1,0,0]
	s_delay_alu instid0(VALU_DEP_1) | instskip(SKIP_1) | instid1(VALU_DEP_1)
	v_mov_b32_e32 v11, v5
	v_pk_mul_f32 v[4:5], v[6:7], v[2:3] op_sel:[0,1]
	v_pk_fma_f32 v[8:9], v[6:7], v[0:1], v[4:5] op_sel:[0,0,1] op_sel_hi:[1,1,0] neg_lo:[0,0,1] neg_hi:[0,0,1]
	v_pk_fma_f32 v[4:5], v[6:7], v[0:1], v[4:5] op_sel:[0,0,1] op_sel_hi:[1,0,0]
	s_delay_alu instid0(VALU_DEP_1)
	v_mov_b32_e32 v9, v5
	ds_load_2addr_b64 v[4:7], v56 offset0:17 offset1:18
	v_pk_add_f32 v[44:45], v[44:45], v[10:11] neg_lo:[0,1] neg_hi:[0,1]
	v_pk_add_f32 v[74:75], v[74:75], v[8:9] neg_lo:[0,1] neg_hi:[0,1]
	s_wait_dscnt 0x0
	v_pk_mul_f32 v[8:9], v[4:5], v[2:3] op_sel:[0,1]
	s_delay_alu instid0(VALU_DEP_1) | instskip(SKIP_2) | instid1(VALU_DEP_2)
	v_pk_fma_f32 v[10:11], v[4:5], v[0:1], v[8:9] op_sel:[0,0,1] op_sel_hi:[1,1,0] neg_lo:[0,0,1] neg_hi:[0,0,1]
	v_pk_fma_f32 v[4:5], v[4:5], v[0:1], v[8:9] op_sel:[0,0,1] op_sel_hi:[1,0,0]
	v_dual_mul_f32 v8, v7, v3 :: v_dual_mov_b32 v4, v7
	v_dual_mov_b32 v11, v5 :: v_dual_mov_b32 v5, v6
	s_delay_alu instid0(VALU_DEP_2) | instskip(SKIP_1) | instid1(VALU_DEP_3)
	v_pk_fma_f32 v[8:9], v[6:7], v[48:49], v[8:9] op_sel_hi:[1,1,0] neg_lo:[0,0,1] neg_hi:[0,0,1]
	v_mul_f32_e32 v6, v7, v0
	v_pk_add_f32 v[70:71], v[70:71], v[10:11] neg_lo:[0,1] neg_hi:[0,1]
	s_delay_alu instid0(VALU_DEP_2) | instskip(NEXT) | instid1(VALU_DEP_1)
	v_pk_fma_f32 v[4:5], v[4:5], v[48:49], v[6:7] op_sel_hi:[1,1,0]
	v_mov_b32_e32 v9, v5
	ds_load_2addr_b64 v[4:7], v56 offset0:19 offset1:20
	v_pk_add_f32 v[72:73], v[72:73], v[8:9] neg_lo:[0,1] neg_hi:[0,1]
	s_wait_dscnt 0x0
	v_pk_mul_f32 v[8:9], v[4:5], v[2:3] op_sel:[0,1]
	s_delay_alu instid0(VALU_DEP_1) | instskip(SKIP_1) | instid1(VALU_DEP_1)
	v_pk_fma_f32 v[10:11], v[4:5], v[0:1], v[8:9] op_sel:[0,0,1] op_sel_hi:[1,1,0] neg_lo:[0,0,1] neg_hi:[0,0,1]
	v_pk_fma_f32 v[4:5], v[4:5], v[0:1], v[8:9] op_sel:[0,0,1] op_sel_hi:[1,0,0]
	v_mov_b32_e32 v11, v5
	v_pk_mul_f32 v[4:5], v[6:7], v[2:3] op_sel:[0,1]
	s_delay_alu instid0(VALU_DEP_1) | instskip(SKIP_1) | instid1(VALU_DEP_1)
	v_pk_fma_f32 v[8:9], v[6:7], v[0:1], v[4:5] op_sel:[0,0,1] op_sel_hi:[1,1,0] neg_lo:[0,0,1] neg_hi:[0,0,1]
	v_pk_fma_f32 v[4:5], v[6:7], v[0:1], v[4:5] op_sel:[0,0,1] op_sel_hi:[1,0,0]
	v_mov_b32_e32 v9, v5
	ds_load_2addr_b64 v[4:7], v56 offset0:21 offset1:22
	v_pk_add_f32 v[68:69], v[68:69], v[10:11] neg_lo:[0,1] neg_hi:[0,1]
	v_pk_add_f32 v[96:97], v[96:97], v[8:9] neg_lo:[0,1] neg_hi:[0,1]
	s_wait_dscnt 0x0
	v_pk_mul_f32 v[8:9], v[4:5], v[2:3] op_sel:[0,1]
	s_delay_alu instid0(VALU_DEP_1) | instskip(SKIP_1) | instid1(VALU_DEP_1)
	v_pk_fma_f32 v[10:11], v[4:5], v[0:1], v[8:9] op_sel:[0,0,1] op_sel_hi:[1,1,0] neg_lo:[0,0,1] neg_hi:[0,0,1]
	v_pk_fma_f32 v[4:5], v[4:5], v[0:1], v[8:9] op_sel:[0,0,1] op_sel_hi:[1,0,0]
	v_mov_b32_e32 v11, v5
	v_pk_mul_f32 v[4:5], v[6:7], v[2:3] op_sel:[0,1]
	s_delay_alu instid0(VALU_DEP_1) | instskip(SKIP_1) | instid1(VALU_DEP_1)
	v_pk_fma_f32 v[8:9], v[6:7], v[0:1], v[4:5] op_sel:[0,0,1] op_sel_hi:[1,1,0] neg_lo:[0,0,1] neg_hi:[0,0,1]
	v_pk_fma_f32 v[4:5], v[6:7], v[0:1], v[4:5] op_sel:[0,0,1] op_sel_hi:[1,0,0]
	v_mov_b32_e32 v9, v5
	ds_load_2addr_b64 v[4:7], v56 offset0:23 offset1:24
	v_pk_add_f32 v[92:93], v[92:93], v[10:11] neg_lo:[0,1] neg_hi:[0,1]
	v_pk_add_f32 v[94:95], v[94:95], v[8:9] neg_lo:[0,1] neg_hi:[0,1]
	s_wait_dscnt 0x0
	v_dual_mul_f32 v8, v5, v3 :: v_dual_mul_f32 v10, v5, v0
	s_delay_alu instid0(VALU_DEP_1) | instskip(NEXT) | instid1(VALU_DEP_2)
	v_pk_fma_f32 v[8:9], v[4:5], v[48:49], v[8:9] op_sel_hi:[1,1,0] neg_lo:[0,0,1] neg_hi:[0,0,1]
	v_pk_fma_f32 v[4:5], v[4:5], v[48:49], v[10:11] op_sel:[1,0,0] op_sel_hi:[0,1,0]
	s_delay_alu instid0(VALU_DEP_1) | instskip(SKIP_1) | instid1(VALU_DEP_2)
	v_mov_b32_e32 v9, v5
	v_pk_mul_f32 v[4:5], v[6:7], v[2:3] op_sel:[0,1]
	v_pk_add_f32 v[90:91], v[90:91], v[8:9] neg_lo:[0,1] neg_hi:[0,1]
	s_delay_alu instid0(VALU_DEP_2) | instskip(SKIP_1) | instid1(VALU_DEP_1)
	v_pk_fma_f32 v[8:9], v[6:7], v[0:1], v[4:5] op_sel:[0,0,1] op_sel_hi:[1,1,0] neg_lo:[0,0,1] neg_hi:[0,0,1]
	v_pk_fma_f32 v[4:5], v[6:7], v[0:1], v[4:5] op_sel:[0,0,1] op_sel_hi:[1,0,0]
	v_mov_b32_e32 v9, v5
	ds_load_2addr_b64 v[4:7], v56 offset0:25 offset1:26
	v_pk_add_f32 v[112:113], v[112:113], v[8:9] neg_lo:[0,1] neg_hi:[0,1]
	s_wait_dscnt 0x0
	v_pk_mul_f32 v[8:9], v[4:5], v[2:3] op_sel:[0,1]
	s_delay_alu instid0(VALU_DEP_1) | instskip(SKIP_1) | instid1(VALU_DEP_1)
	v_pk_fma_f32 v[10:11], v[4:5], v[0:1], v[8:9] op_sel:[0,0,1] op_sel_hi:[1,1,0] neg_lo:[0,0,1] neg_hi:[0,0,1]
	v_pk_fma_f32 v[4:5], v[4:5], v[0:1], v[8:9] op_sel:[0,0,1] op_sel_hi:[1,0,0]
	v_mov_b32_e32 v11, v5
	v_pk_mul_f32 v[4:5], v[6:7], v[2:3] op_sel:[0,1]
	s_delay_alu instid0(VALU_DEP_2) | instskip(NEXT) | instid1(VALU_DEP_2)
	v_pk_add_f32 v[108:109], v[108:109], v[10:11] neg_lo:[0,1] neg_hi:[0,1]
	v_pk_fma_f32 v[8:9], v[6:7], v[0:1], v[4:5] op_sel:[0,0,1] op_sel_hi:[1,1,0] neg_lo:[0,0,1] neg_hi:[0,0,1]
	v_pk_fma_f32 v[4:5], v[6:7], v[0:1], v[4:5] op_sel:[0,0,1] op_sel_hi:[1,0,0]
	s_delay_alu instid0(VALU_DEP_1) | instskip(SKIP_4) | instid1(VALU_DEP_1)
	v_mov_b32_e32 v9, v5
	ds_load_2addr_b64 v[4:7], v56 offset0:27 offset1:28
	v_pk_add_f32 v[110:111], v[110:111], v[8:9] neg_lo:[0,1] neg_hi:[0,1]
	s_wait_dscnt 0x0
	v_pk_mul_f32 v[8:9], v[4:5], v[2:3] op_sel:[0,1]
	v_pk_fma_f32 v[10:11], v[4:5], v[0:1], v[8:9] op_sel:[0,0,1] op_sel_hi:[1,1,0] neg_lo:[0,0,1] neg_hi:[0,0,1]
	v_pk_fma_f32 v[4:5], v[4:5], v[0:1], v[8:9] op_sel:[0,0,1] op_sel_hi:[1,0,0]
	v_dual_mul_f32 v8, v7, v3 :: v_dual_mov_b32 v4, v7
	s_delay_alu instid0(VALU_DEP_2) | instskip(NEXT) | instid1(VALU_DEP_2)
	v_dual_mov_b32 v11, v5 :: v_dual_mov_b32 v5, v6
	v_pk_fma_f32 v[8:9], v[6:7], v[48:49], v[8:9] op_sel_hi:[1,1,0] neg_lo:[0,0,1] neg_hi:[0,0,1]
	v_mul_f32_e32 v6, v7, v0
	s_delay_alu instid0(VALU_DEP_3) | instskip(NEXT) | instid1(VALU_DEP_2)
	v_pk_add_f32 v[106:107], v[106:107], v[10:11] neg_lo:[0,1] neg_hi:[0,1]
	v_pk_fma_f32 v[4:5], v[4:5], v[48:49], v[6:7] op_sel_hi:[1,1,0]
	s_delay_alu instid0(VALU_DEP_1) | instskip(SKIP_4) | instid1(VALU_DEP_1)
	v_mov_b32_e32 v9, v5
	ds_load_2addr_b64 v[4:7], v56 offset0:29 offset1:30
	v_pk_add_f32 v[128:129], v[128:129], v[8:9] neg_lo:[0,1] neg_hi:[0,1]
	s_wait_dscnt 0x0
	v_pk_mul_f32 v[8:9], v[4:5], v[2:3] op_sel:[0,1]
	v_pk_fma_f32 v[10:11], v[4:5], v[0:1], v[8:9] op_sel:[0,0,1] op_sel_hi:[1,1,0] neg_lo:[0,0,1] neg_hi:[0,0,1]
	v_pk_fma_f32 v[4:5], v[4:5], v[0:1], v[8:9] op_sel:[0,0,1] op_sel_hi:[1,0,0]
	s_delay_alu instid0(VALU_DEP_1) | instskip(SKIP_1) | instid1(VALU_DEP_1)
	v_mov_b32_e32 v11, v5
	v_pk_mul_f32 v[4:5], v[6:7], v[2:3] op_sel:[0,1]
	v_pk_fma_f32 v[8:9], v[6:7], v[0:1], v[4:5] op_sel:[0,0,1] op_sel_hi:[1,1,0] neg_lo:[0,0,1] neg_hi:[0,0,1]
	v_pk_fma_f32 v[4:5], v[6:7], v[0:1], v[4:5] op_sel:[0,0,1] op_sel_hi:[1,0,0]
	s_delay_alu instid0(VALU_DEP_1)
	v_mov_b32_e32 v9, v5
	ds_load_2addr_b64 v[4:7], v56 offset0:31 offset1:32
	v_pk_add_f32 v[124:125], v[124:125], v[10:11] neg_lo:[0,1] neg_hi:[0,1]
	v_pk_add_f32 v[126:127], v[126:127], v[8:9] neg_lo:[0,1] neg_hi:[0,1]
	s_wait_dscnt 0x0
	v_pk_mul_f32 v[8:9], v[4:5], v[2:3] op_sel:[0,1]
	s_delay_alu instid0(VALU_DEP_1) | instskip(SKIP_1) | instid1(VALU_DEP_1)
	v_pk_fma_f32 v[10:11], v[4:5], v[0:1], v[8:9] op_sel:[0,0,1] op_sel_hi:[1,1,0] neg_lo:[0,0,1] neg_hi:[0,0,1]
	v_pk_fma_f32 v[4:5], v[4:5], v[0:1], v[8:9] op_sel:[0,0,1] op_sel_hi:[1,0,0]
	v_mov_b32_e32 v11, v5
	v_pk_mul_f32 v[4:5], v[6:7], v[2:3] op_sel:[0,1]
	s_delay_alu instid0(VALU_DEP_1) | instskip(SKIP_1) | instid1(VALU_DEP_1)
	v_pk_fma_f32 v[8:9], v[6:7], v[0:1], v[4:5] op_sel:[0,0,1] op_sel_hi:[1,1,0] neg_lo:[0,0,1] neg_hi:[0,0,1]
	v_pk_fma_f32 v[4:5], v[6:7], v[0:1], v[4:5] op_sel:[0,0,1] op_sel_hi:[1,0,0]
	v_mov_b32_e32 v9, v5
	ds_load_2addr_b64 v[4:7], v56 offset0:33 offset1:34
	v_pk_add_f32 v[122:123], v[122:123], v[10:11] neg_lo:[0,1] neg_hi:[0,1]
	v_pk_add_f32 v[144:145], v[144:145], v[8:9] neg_lo:[0,1] neg_hi:[0,1]
	s_wait_dscnt 0x0
	v_dual_mul_f32 v8, v5, v3 :: v_dual_mul_f32 v10, v5, v0
	s_delay_alu instid0(VALU_DEP_1) | instskip(NEXT) | instid1(VALU_DEP_2)
	v_pk_fma_f32 v[8:9], v[4:5], v[48:49], v[8:9] op_sel_hi:[1,1,0] neg_lo:[0,0,1] neg_hi:[0,0,1]
	v_pk_fma_f32 v[4:5], v[4:5], v[48:49], v[10:11] op_sel:[1,0,0] op_sel_hi:[0,1,0]
	s_delay_alu instid0(VALU_DEP_1) | instskip(SKIP_1) | instid1(VALU_DEP_2)
	v_mov_b32_e32 v9, v5
	v_pk_mul_f32 v[4:5], v[6:7], v[2:3] op_sel:[0,1]
	v_pk_add_f32 v[140:141], v[140:141], v[8:9] neg_lo:[0,1] neg_hi:[0,1]
	s_delay_alu instid0(VALU_DEP_2) | instskip(SKIP_1) | instid1(VALU_DEP_1)
	v_pk_fma_f32 v[8:9], v[6:7], v[0:1], v[4:5] op_sel:[0,0,1] op_sel_hi:[1,1,0] neg_lo:[0,0,1] neg_hi:[0,0,1]
	v_pk_fma_f32 v[4:5], v[6:7], v[0:1], v[4:5] op_sel:[0,0,1] op_sel_hi:[1,0,0]
	v_mov_b32_e32 v9, v5
	ds_load_2addr_b64 v[4:7], v56 offset0:35 offset1:36
	v_pk_add_f32 v[142:143], v[142:143], v[8:9] neg_lo:[0,1] neg_hi:[0,1]
	s_wait_dscnt 0x0
	v_pk_mul_f32 v[8:9], v[4:5], v[2:3] op_sel:[0,1]
	s_delay_alu instid0(VALU_DEP_1) | instskip(SKIP_1) | instid1(VALU_DEP_1)
	v_pk_fma_f32 v[10:11], v[4:5], v[0:1], v[8:9] op_sel:[0,0,1] op_sel_hi:[1,1,0] neg_lo:[0,0,1] neg_hi:[0,0,1]
	v_pk_fma_f32 v[4:5], v[4:5], v[0:1], v[8:9] op_sel:[0,0,1] op_sel_hi:[1,0,0]
	v_mov_b32_e32 v11, v5
	v_pk_mul_f32 v[4:5], v[6:7], v[2:3] op_sel:[0,1]
	s_delay_alu instid0(VALU_DEP_2) | instskip(NEXT) | instid1(VALU_DEP_2)
	v_pk_add_f32 v[138:139], v[138:139], v[10:11] neg_lo:[0,1] neg_hi:[0,1]
	v_pk_fma_f32 v[8:9], v[6:7], v[0:1], v[4:5] op_sel:[0,0,1] op_sel_hi:[1,1,0] neg_lo:[0,0,1] neg_hi:[0,0,1]
	v_pk_fma_f32 v[4:5], v[6:7], v[0:1], v[4:5] op_sel:[0,0,1] op_sel_hi:[1,0,0]
	s_delay_alu instid0(VALU_DEP_1) | instskip(SKIP_4) | instid1(VALU_DEP_1)
	v_mov_b32_e32 v9, v5
	ds_load_2addr_b64 v[4:7], v56 offset0:37 offset1:38
	v_pk_add_f32 v[164:165], v[164:165], v[8:9] neg_lo:[0,1] neg_hi:[0,1]
	s_wait_dscnt 0x0
	v_pk_mul_f32 v[8:9], v[4:5], v[2:3] op_sel:[0,1]
	v_pk_fma_f32 v[10:11], v[4:5], v[0:1], v[8:9] op_sel:[0,0,1] op_sel_hi:[1,1,0] neg_lo:[0,0,1] neg_hi:[0,0,1]
	v_pk_fma_f32 v[4:5], v[4:5], v[0:1], v[8:9] op_sel:[0,0,1] op_sel_hi:[1,0,0]
	v_dual_mul_f32 v8, v7, v3 :: v_dual_mov_b32 v4, v7
	s_delay_alu instid0(VALU_DEP_2) | instskip(NEXT) | instid1(VALU_DEP_2)
	v_dual_mov_b32 v11, v5 :: v_dual_mov_b32 v5, v6
	v_pk_fma_f32 v[8:9], v[6:7], v[48:49], v[8:9] op_sel_hi:[1,1,0] neg_lo:[0,0,1] neg_hi:[0,0,1]
	v_mul_f32_e32 v6, v7, v0
	s_delay_alu instid0(VALU_DEP_3) | instskip(NEXT) | instid1(VALU_DEP_2)
	v_pk_add_f32 v[160:161], v[160:161], v[10:11] neg_lo:[0,1] neg_hi:[0,1]
	v_pk_fma_f32 v[4:5], v[4:5], v[48:49], v[6:7] op_sel_hi:[1,1,0]
	s_delay_alu instid0(VALU_DEP_1) | instskip(SKIP_4) | instid1(VALU_DEP_1)
	v_mov_b32_e32 v9, v5
	ds_load_2addr_b64 v[4:7], v56 offset0:39 offset1:40
	v_pk_add_f32 v[162:163], v[162:163], v[8:9] neg_lo:[0,1] neg_hi:[0,1]
	s_wait_dscnt 0x0
	v_pk_mul_f32 v[8:9], v[4:5], v[2:3] op_sel:[0,1]
	v_pk_fma_f32 v[10:11], v[4:5], v[0:1], v[8:9] op_sel:[0,0,1] op_sel_hi:[1,1,0] neg_lo:[0,0,1] neg_hi:[0,0,1]
	v_pk_fma_f32 v[4:5], v[4:5], v[0:1], v[8:9] op_sel:[0,0,1] op_sel_hi:[1,0,0]
	s_delay_alu instid0(VALU_DEP_1) | instskip(SKIP_1) | instid1(VALU_DEP_1)
	v_mov_b32_e32 v11, v5
	v_pk_mul_f32 v[4:5], v[6:7], v[2:3] op_sel:[0,1]
	v_pk_fma_f32 v[8:9], v[6:7], v[0:1], v[4:5] op_sel:[0,0,1] op_sel_hi:[1,1,0] neg_lo:[0,0,1] neg_hi:[0,0,1]
	v_pk_fma_f32 v[4:5], v[6:7], v[0:1], v[4:5] op_sel:[0,0,1] op_sel_hi:[1,0,0]
	s_delay_alu instid0(VALU_DEP_1)
	v_mov_b32_e32 v9, v5
	ds_load_2addr_b64 v[4:7], v56 offset0:41 offset1:42
	v_pk_add_f32 v[158:159], v[158:159], v[10:11] neg_lo:[0,1] neg_hi:[0,1]
	v_pk_add_f32 v[188:189], v[188:189], v[8:9] neg_lo:[0,1] neg_hi:[0,1]
	s_wait_dscnt 0x0
	v_pk_mul_f32 v[8:9], v[4:5], v[2:3] op_sel:[0,1]
	s_delay_alu instid0(VALU_DEP_1) | instskip(SKIP_1) | instid1(VALU_DEP_1)
	v_pk_fma_f32 v[10:11], v[4:5], v[0:1], v[8:9] op_sel:[0,0,1] op_sel_hi:[1,1,0] neg_lo:[0,0,1] neg_hi:[0,0,1]
	v_pk_fma_f32 v[4:5], v[4:5], v[0:1], v[8:9] op_sel:[0,0,1] op_sel_hi:[1,0,0]
	v_mov_b32_e32 v11, v5
	v_pk_mul_f32 v[4:5], v[6:7], v[2:3] op_sel:[0,1]
	s_delay_alu instid0(VALU_DEP_1) | instskip(SKIP_1) | instid1(VALU_DEP_1)
	v_pk_fma_f32 v[8:9], v[6:7], v[0:1], v[4:5] op_sel:[0,0,1] op_sel_hi:[1,1,0] neg_lo:[0,0,1] neg_hi:[0,0,1]
	v_pk_fma_f32 v[4:5], v[6:7], v[0:1], v[4:5] op_sel:[0,0,1] op_sel_hi:[1,0,0]
	v_mov_b32_e32 v9, v5
	ds_load_2addr_b64 v[4:7], v56 offset0:43 offset1:44
	v_pk_add_f32 v[182:183], v[182:183], v[10:11] neg_lo:[0,1] neg_hi:[0,1]
	v_pk_add_f32 v[186:187], v[186:187], v[8:9] neg_lo:[0,1] neg_hi:[0,1]
	s_wait_dscnt 0x0
	v_dual_mul_f32 v8, v5, v3 :: v_dual_mul_f32 v10, v5, v0
	s_delay_alu instid0(VALU_DEP_1) | instskip(NEXT) | instid1(VALU_DEP_2)
	v_pk_fma_f32 v[8:9], v[4:5], v[48:49], v[8:9] op_sel_hi:[1,1,0] neg_lo:[0,0,1] neg_hi:[0,0,1]
	v_pk_fma_f32 v[4:5], v[4:5], v[48:49], v[10:11] op_sel:[1,0,0] op_sel_hi:[0,1,0]
	s_delay_alu instid0(VALU_DEP_1) | instskip(SKIP_1) | instid1(VALU_DEP_2)
	v_mov_b32_e32 v9, v5
	v_pk_mul_f32 v[4:5], v[6:7], v[2:3] op_sel:[0,1]
	v_pk_add_f32 v[180:181], v[180:181], v[8:9] neg_lo:[0,1] neg_hi:[0,1]
	s_delay_alu instid0(VALU_DEP_2) | instskip(SKIP_1) | instid1(VALU_DEP_1)
	v_pk_fma_f32 v[8:9], v[6:7], v[0:1], v[4:5] op_sel:[0,0,1] op_sel_hi:[1,1,0] neg_lo:[0,0,1] neg_hi:[0,0,1]
	v_pk_fma_f32 v[4:5], v[6:7], v[0:1], v[4:5] op_sel:[0,0,1] op_sel_hi:[1,0,0]
	v_mov_b32_e32 v9, v5
	ds_load_2addr_b64 v[4:7], v56 offset0:45 offset1:46
	v_pk_add_f32 v[184:185], v[184:185], v[8:9] neg_lo:[0,1] neg_hi:[0,1]
	s_wait_dscnt 0x0
	v_pk_mul_f32 v[8:9], v[4:5], v[2:3] op_sel:[0,1]
	s_delay_alu instid0(VALU_DEP_1) | instskip(SKIP_1) | instid1(VALU_DEP_1)
	v_pk_fma_f32 v[10:11], v[4:5], v[0:1], v[8:9] op_sel:[0,0,1] op_sel_hi:[1,1,0] neg_lo:[0,0,1] neg_hi:[0,0,1]
	v_pk_fma_f32 v[4:5], v[4:5], v[0:1], v[8:9] op_sel:[0,0,1] op_sel_hi:[1,0,0]
	v_mov_b32_e32 v11, v5
	v_pk_mul_f32 v[4:5], v[6:7], v[2:3] op_sel:[0,1]
	s_delay_alu instid0(VALU_DEP_2) | instskip(NEXT) | instid1(VALU_DEP_2)
	v_pk_add_f32 v[178:179], v[178:179], v[10:11] neg_lo:[0,1] neg_hi:[0,1]
	v_pk_fma_f32 v[8:9], v[6:7], v[0:1], v[4:5] op_sel:[0,0,1] op_sel_hi:[1,1,0] neg_lo:[0,0,1] neg_hi:[0,0,1]
	v_pk_fma_f32 v[4:5], v[6:7], v[0:1], v[4:5] op_sel:[0,0,1] op_sel_hi:[1,0,0]
	s_delay_alu instid0(VALU_DEP_1) | instskip(SKIP_4) | instid1(VALU_DEP_1)
	v_mov_b32_e32 v9, v5
	ds_load_b64 v[4:5], v56 offset:376
	v_pk_add_f32 v[190:191], v[190:191], v[8:9] neg_lo:[0,1] neg_hi:[0,1]
	s_wait_dscnt 0x0
	v_pk_mul_f32 v[2:3], v[4:5], v[2:3] op_sel:[0,1]
	v_pk_fma_f32 v[6:7], v[4:5], v[0:1], v[2:3] op_sel:[0,0,1] op_sel_hi:[1,1,0] neg_lo:[0,0,1] neg_hi:[0,0,1]
	v_pk_fma_f32 v[0:1], v[4:5], v[0:1], v[2:3] op_sel:[0,0,1] op_sel_hi:[1,0,0]
	s_delay_alu instid0(VALU_DEP_1) | instskip(NEXT) | instid1(VALU_DEP_1)
	v_mov_b32_e32 v7, v1
	v_pk_add_f32 v[192:193], v[192:193], v[6:7] neg_lo:[0,1] neg_hi:[0,1]
.LBB95_136:
	s_or_b32 exec_lo, exec_lo, s1
	s_delay_alu instid0(SALU_CYCLE_1)
	s_mov_b32 s2, exec_lo
	s_wait_dscnt 0x0
	s_barrier_signal -1
	s_barrier_wait -1
	v_cmpx_eq_u32_e32 15, v54
	s_cbranch_execz .LBB95_143
; %bb.137:
	v_dual_mov_b32 v0, v74 :: v_dual_mov_b32 v1, v75
	v_dual_mov_b32 v2, v70 :: v_dual_mov_b32 v3, v71
	;; [unrolled: 1-line block ×8, first 2 shown]
	ds_store_b64 v55, v[44:45]
	ds_store_2addr_b64 v56, v[0:1], v[2:3] offset0:16 offset1:17
	ds_store_2addr_b64 v56, v[4:5], v[6:7] offset0:18 offset1:19
	;; [unrolled: 1-line block ×4, first 2 shown]
	v_dual_mov_b32 v0, v112 :: v_dual_mov_b32 v1, v113
	v_dual_mov_b32 v2, v108 :: v_dual_mov_b32 v3, v109
	;; [unrolled: 1-line block ×12, first 2 shown]
	ds_store_2addr_b64 v56, v[0:1], v[2:3] offset0:24 offset1:25
	ds_store_2addr_b64 v56, v[4:5], v[6:7] offset0:26 offset1:27
	;; [unrolled: 1-line block ×6, first 2 shown]
	v_dual_mov_b32 v0, v164 :: v_dual_mov_b32 v1, v165
	v_dual_mov_b32 v2, v160 :: v_dual_mov_b32 v3, v161
	;; [unrolled: 1-line block ×11, first 2 shown]
	ds_store_2addr_b64 v56, v[0:1], v[2:3] offset0:36 offset1:37
	ds_store_2addr_b64 v56, v[4:5], v[6:7] offset0:38 offset1:39
	;; [unrolled: 1-line block ×6, first 2 shown]
	ds_load_b64 v[0:1], v55
	s_wait_dscnt 0x0
	v_cmp_neq_f32_e32 vcc_lo, 0, v0
	v_cmp_neq_f32_e64 s1, 0, v1
	s_or_b32 s1, vcc_lo, s1
	s_delay_alu instid0(SALU_CYCLE_1)
	s_and_b32 exec_lo, exec_lo, s1
	s_cbranch_execz .LBB95_143
; %bb.138:
	v_cmp_ngt_f32_e64 s1, |v0|, |v1|
                                        ; implicit-def: $vgpr2_vgpr3
	s_and_saveexec_b32 s4, s1
	s_delay_alu instid0(SALU_CYCLE_1)
	s_xor_b32 s1, exec_lo, s4
	s_cbranch_execz .LBB95_140
; %bb.139:
	v_div_scale_f32 v2, null, v1, v1, v0
	v_div_scale_f32 v5, vcc_lo, v0, v1, v0
	s_delay_alu instid0(VALU_DEP_2) | instskip(SKIP_1) | instid1(TRANS32_DEP_1)
	v_rcp_f32_e32 v3, v2
	v_nop
	v_fma_f32 v4, -v2, v3, 1.0
	s_delay_alu instid0(VALU_DEP_1) | instskip(NEXT) | instid1(VALU_DEP_1)
	v_fmac_f32_e32 v3, v4, v3
	v_mul_f32_e32 v4, v5, v3
	s_delay_alu instid0(VALU_DEP_1) | instskip(NEXT) | instid1(VALU_DEP_1)
	v_fma_f32 v6, -v2, v4, v5
	v_fmac_f32_e32 v4, v6, v3
	s_delay_alu instid0(VALU_DEP_1) | instskip(NEXT) | instid1(VALU_DEP_1)
	v_fma_f32 v2, -v2, v4, v5
	v_div_fmas_f32 v2, v2, v3, v4
	s_delay_alu instid0(VALU_DEP_1) | instskip(NEXT) | instid1(VALU_DEP_1)
	v_div_fixup_f32 v2, v2, v1, v0
	v_fmac_f32_e32 v1, v0, v2
	s_delay_alu instid0(VALU_DEP_1) | instskip(SKIP_1) | instid1(VALU_DEP_2)
	v_div_scale_f32 v0, null, v1, v1, 1.0
	v_div_scale_f32 v5, vcc_lo, 1.0, v1, 1.0
	v_rcp_f32_e32 v3, v0
	v_nop
	s_delay_alu instid0(TRANS32_DEP_1) | instskip(NEXT) | instid1(VALU_DEP_1)
	v_fma_f32 v4, -v0, v3, 1.0
	v_fmac_f32_e32 v3, v4, v3
	s_delay_alu instid0(VALU_DEP_1) | instskip(NEXT) | instid1(VALU_DEP_1)
	v_mul_f32_e32 v4, v5, v3
	v_fma_f32 v6, -v0, v4, v5
	s_delay_alu instid0(VALU_DEP_1) | instskip(NEXT) | instid1(VALU_DEP_1)
	v_fmac_f32_e32 v4, v6, v3
	v_fma_f32 v0, -v0, v4, v5
	s_delay_alu instid0(VALU_DEP_1) | instskip(NEXT) | instid1(VALU_DEP_1)
	v_div_fmas_f32 v0, v0, v3, v4
	v_div_fixup_f32 v0, v0, v1, 1.0
	s_delay_alu instid0(VALU_DEP_1)
	v_mul_f32_e32 v2, v2, v0
	v_xor_b32_e32 v3, 0x80000000, v0
                                        ; implicit-def: $vgpr0_vgpr1
.LBB95_140:
	s_and_not1_saveexec_b32 s1, s1
	s_cbranch_execz .LBB95_142
; %bb.141:
	v_div_scale_f32 v2, null, v0, v0, v1
	v_div_scale_f32 v5, vcc_lo, v1, v0, v1
	s_delay_alu instid0(VALU_DEP_2) | instskip(SKIP_1) | instid1(TRANS32_DEP_1)
	v_rcp_f32_e32 v3, v2
	v_nop
	v_fma_f32 v4, -v2, v3, 1.0
	s_delay_alu instid0(VALU_DEP_1) | instskip(NEXT) | instid1(VALU_DEP_1)
	v_fmac_f32_e32 v3, v4, v3
	v_mul_f32_e32 v4, v5, v3
	s_delay_alu instid0(VALU_DEP_1) | instskip(NEXT) | instid1(VALU_DEP_1)
	v_fma_f32 v6, -v2, v4, v5
	v_fmac_f32_e32 v4, v6, v3
	s_delay_alu instid0(VALU_DEP_1) | instskip(NEXT) | instid1(VALU_DEP_1)
	v_fma_f32 v2, -v2, v4, v5
	v_div_fmas_f32 v2, v2, v3, v4
	s_delay_alu instid0(VALU_DEP_1) | instskip(NEXT) | instid1(VALU_DEP_1)
	v_div_fixup_f32 v3, v2, v0, v1
	v_fmac_f32_e32 v0, v1, v3
	s_delay_alu instid0(VALU_DEP_1) | instskip(NEXT) | instid1(VALU_DEP_1)
	v_div_scale_f32 v1, null, v0, v0, 1.0
	v_rcp_f32_e32 v2, v1
	v_nop
	s_delay_alu instid0(TRANS32_DEP_1) | instskip(NEXT) | instid1(VALU_DEP_1)
	v_fma_f32 v4, -v1, v2, 1.0
	v_fmac_f32_e32 v2, v4, v2
	v_div_scale_f32 v4, vcc_lo, 1.0, v0, 1.0
	s_delay_alu instid0(VALU_DEP_1) | instskip(NEXT) | instid1(VALU_DEP_1)
	v_mul_f32_e32 v5, v4, v2
	v_fma_f32 v6, -v1, v5, v4
	s_delay_alu instid0(VALU_DEP_1) | instskip(NEXT) | instid1(VALU_DEP_1)
	v_fmac_f32_e32 v5, v6, v2
	v_fma_f32 v1, -v1, v5, v4
	s_delay_alu instid0(VALU_DEP_1) | instskip(NEXT) | instid1(VALU_DEP_1)
	v_div_fmas_f32 v1, v1, v2, v5
	v_div_fixup_f32 v2, v1, v0, 1.0
	s_delay_alu instid0(VALU_DEP_1)
	v_mul_f32_e64 v3, v3, -v2
.LBB95_142:
	s_or_b32 exec_lo, exec_lo, s1
	ds_store_b64 v55, v[2:3]
.LBB95_143:
	s_or_b32 exec_lo, exec_lo, s2
	s_wait_dscnt 0x0
	s_barrier_signal -1
	s_barrier_wait -1
	ds_load_b64 v[224:225], v55
	s_mov_b32 s1, exec_lo
	v_cmpx_lt_u32_e32 15, v54
	s_cbranch_execz .LBB95_145
; %bb.144:
	ds_load_2addr_b64 v[4:7], v56 offset0:16 offset1:17
	s_wait_dscnt 0x1
	v_pk_mul_f32 v[2:3], v[224:225], v[44:45] op_sel:[1,1] op_sel_hi:[0,1]
	s_delay_alu instid0(VALU_DEP_1) | instskip(SKIP_1) | instid1(VALU_DEP_1)
	v_pk_fma_f32 v[0:1], v[224:225], v[44:45], v[2:3] op_sel_hi:[1,0,1] neg_lo:[0,0,1] neg_hi:[0,0,1]
	v_pk_fma_f32 v[2:3], v[224:225], v[44:45], v[2:3] op_sel_hi:[1,0,1]
	v_dual_mov_b32 v44, v0 :: v_dual_mov_b32 v45, v3
	s_wait_dscnt 0x0
	s_delay_alu instid0(VALU_DEP_2) | instskip(NEXT) | instid1(VALU_DEP_1)
	v_pk_mul_f32 v[8:9], v[4:5], v[2:3] op_sel:[0,1]
	v_pk_fma_f32 v[10:11], v[4:5], v[0:1], v[8:9] op_sel:[0,0,1] op_sel_hi:[1,1,0] neg_lo:[0,0,1] neg_hi:[0,0,1]
	v_pk_fma_f32 v[4:5], v[4:5], v[0:1], v[8:9] op_sel:[0,0,1] op_sel_hi:[1,0,0]
	s_delay_alu instid0(VALU_DEP_1) | instskip(SKIP_1) | instid1(VALU_DEP_1)
	v_mov_b32_e32 v11, v5
	v_pk_mul_f32 v[4:5], v[6:7], v[2:3] op_sel:[0,1]
	v_pk_fma_f32 v[8:9], v[6:7], v[0:1], v[4:5] op_sel:[0,0,1] op_sel_hi:[1,1,0] neg_lo:[0,0,1] neg_hi:[0,0,1]
	v_pk_fma_f32 v[4:5], v[6:7], v[0:1], v[4:5] op_sel:[0,0,1] op_sel_hi:[1,0,0]
	s_delay_alu instid0(VALU_DEP_1)
	v_mov_b32_e32 v9, v5
	ds_load_2addr_b64 v[4:7], v56 offset0:18 offset1:19
	v_pk_add_f32 v[74:75], v[74:75], v[10:11] neg_lo:[0,1] neg_hi:[0,1]
	v_pk_add_f32 v[70:71], v[70:71], v[8:9] neg_lo:[0,1] neg_hi:[0,1]
	s_wait_dscnt 0x0
	v_pk_mul_f32 v[8:9], v[4:5], v[2:3] op_sel:[0,1]
	s_delay_alu instid0(VALU_DEP_1) | instskip(SKIP_2) | instid1(VALU_DEP_2)
	v_pk_fma_f32 v[10:11], v[4:5], v[0:1], v[8:9] op_sel:[0,0,1] op_sel_hi:[1,1,0] neg_lo:[0,0,1] neg_hi:[0,0,1]
	v_pk_fma_f32 v[4:5], v[4:5], v[0:1], v[8:9] op_sel:[0,0,1] op_sel_hi:[1,0,0]
	v_dual_mul_f32 v8, v7, v3 :: v_dual_mov_b32 v4, v7
	v_dual_mov_b32 v11, v5 :: v_dual_mov_b32 v5, v6
	s_delay_alu instid0(VALU_DEP_2) | instskip(SKIP_1) | instid1(VALU_DEP_3)
	v_pk_fma_f32 v[8:9], v[6:7], v[44:45], v[8:9] op_sel_hi:[1,1,0] neg_lo:[0,0,1] neg_hi:[0,0,1]
	v_mul_f32_e32 v6, v7, v0
	v_pk_add_f32 v[72:73], v[72:73], v[10:11] neg_lo:[0,1] neg_hi:[0,1]
	s_delay_alu instid0(VALU_DEP_2) | instskip(NEXT) | instid1(VALU_DEP_1)
	v_pk_fma_f32 v[4:5], v[4:5], v[44:45], v[6:7] op_sel_hi:[1,1,0]
	v_mov_b32_e32 v9, v5
	ds_load_2addr_b64 v[4:7], v56 offset0:20 offset1:21
	v_pk_add_f32 v[68:69], v[68:69], v[8:9] neg_lo:[0,1] neg_hi:[0,1]
	s_wait_dscnt 0x0
	v_pk_mul_f32 v[8:9], v[4:5], v[2:3] op_sel:[0,1]
	s_delay_alu instid0(VALU_DEP_1) | instskip(SKIP_1) | instid1(VALU_DEP_1)
	v_pk_fma_f32 v[10:11], v[4:5], v[0:1], v[8:9] op_sel:[0,0,1] op_sel_hi:[1,1,0] neg_lo:[0,0,1] neg_hi:[0,0,1]
	v_pk_fma_f32 v[4:5], v[4:5], v[0:1], v[8:9] op_sel:[0,0,1] op_sel_hi:[1,0,0]
	v_mov_b32_e32 v11, v5
	v_pk_mul_f32 v[4:5], v[6:7], v[2:3] op_sel:[0,1]
	s_delay_alu instid0(VALU_DEP_1) | instskip(SKIP_1) | instid1(VALU_DEP_1)
	v_pk_fma_f32 v[8:9], v[6:7], v[0:1], v[4:5] op_sel:[0,0,1] op_sel_hi:[1,1,0] neg_lo:[0,0,1] neg_hi:[0,0,1]
	v_pk_fma_f32 v[4:5], v[6:7], v[0:1], v[4:5] op_sel:[0,0,1] op_sel_hi:[1,0,0]
	v_mov_b32_e32 v9, v5
	ds_load_2addr_b64 v[4:7], v56 offset0:22 offset1:23
	v_pk_add_f32 v[96:97], v[96:97], v[10:11] neg_lo:[0,1] neg_hi:[0,1]
	v_pk_add_f32 v[92:93], v[92:93], v[8:9] neg_lo:[0,1] neg_hi:[0,1]
	s_wait_dscnt 0x0
	v_pk_mul_f32 v[8:9], v[4:5], v[2:3] op_sel:[0,1]
	s_delay_alu instid0(VALU_DEP_1) | instskip(SKIP_1) | instid1(VALU_DEP_1)
	v_pk_fma_f32 v[10:11], v[4:5], v[0:1], v[8:9] op_sel:[0,0,1] op_sel_hi:[1,1,0] neg_lo:[0,0,1] neg_hi:[0,0,1]
	v_pk_fma_f32 v[4:5], v[4:5], v[0:1], v[8:9] op_sel:[0,0,1] op_sel_hi:[1,0,0]
	v_mov_b32_e32 v11, v5
	v_pk_mul_f32 v[4:5], v[6:7], v[2:3] op_sel:[0,1]
	s_delay_alu instid0(VALU_DEP_1) | instskip(SKIP_1) | instid1(VALU_DEP_1)
	v_pk_fma_f32 v[8:9], v[6:7], v[0:1], v[4:5] op_sel:[0,0,1] op_sel_hi:[1,1,0] neg_lo:[0,0,1] neg_hi:[0,0,1]
	v_pk_fma_f32 v[4:5], v[6:7], v[0:1], v[4:5] op_sel:[0,0,1] op_sel_hi:[1,0,0]
	v_mov_b32_e32 v9, v5
	ds_load_2addr_b64 v[4:7], v56 offset0:24 offset1:25
	v_pk_add_f32 v[94:95], v[94:95], v[10:11] neg_lo:[0,1] neg_hi:[0,1]
	v_pk_add_f32 v[90:91], v[90:91], v[8:9] neg_lo:[0,1] neg_hi:[0,1]
	s_wait_dscnt 0x0
	v_dual_mul_f32 v8, v5, v3 :: v_dual_mul_f32 v10, v5, v0
	s_delay_alu instid0(VALU_DEP_1) | instskip(NEXT) | instid1(VALU_DEP_2)
	v_pk_fma_f32 v[8:9], v[4:5], v[44:45], v[8:9] op_sel_hi:[1,1,0] neg_lo:[0,0,1] neg_hi:[0,0,1]
	v_pk_fma_f32 v[4:5], v[4:5], v[44:45], v[10:11] op_sel:[1,0,0] op_sel_hi:[0,1,0]
	s_delay_alu instid0(VALU_DEP_1) | instskip(SKIP_1) | instid1(VALU_DEP_2)
	v_mov_b32_e32 v9, v5
	v_pk_mul_f32 v[4:5], v[6:7], v[2:3] op_sel:[0,1]
	v_pk_add_f32 v[112:113], v[112:113], v[8:9] neg_lo:[0,1] neg_hi:[0,1]
	s_delay_alu instid0(VALU_DEP_2) | instskip(SKIP_1) | instid1(VALU_DEP_1)
	v_pk_fma_f32 v[8:9], v[6:7], v[0:1], v[4:5] op_sel:[0,0,1] op_sel_hi:[1,1,0] neg_lo:[0,0,1] neg_hi:[0,0,1]
	v_pk_fma_f32 v[4:5], v[6:7], v[0:1], v[4:5] op_sel:[0,0,1] op_sel_hi:[1,0,0]
	v_mov_b32_e32 v9, v5
	ds_load_2addr_b64 v[4:7], v56 offset0:26 offset1:27
	v_pk_add_f32 v[108:109], v[108:109], v[8:9] neg_lo:[0,1] neg_hi:[0,1]
	s_wait_dscnt 0x0
	v_pk_mul_f32 v[8:9], v[4:5], v[2:3] op_sel:[0,1]
	s_delay_alu instid0(VALU_DEP_1) | instskip(SKIP_1) | instid1(VALU_DEP_1)
	v_pk_fma_f32 v[10:11], v[4:5], v[0:1], v[8:9] op_sel:[0,0,1] op_sel_hi:[1,1,0] neg_lo:[0,0,1] neg_hi:[0,0,1]
	v_pk_fma_f32 v[4:5], v[4:5], v[0:1], v[8:9] op_sel:[0,0,1] op_sel_hi:[1,0,0]
	v_mov_b32_e32 v11, v5
	v_pk_mul_f32 v[4:5], v[6:7], v[2:3] op_sel:[0,1]
	s_delay_alu instid0(VALU_DEP_2) | instskip(NEXT) | instid1(VALU_DEP_2)
	v_pk_add_f32 v[110:111], v[110:111], v[10:11] neg_lo:[0,1] neg_hi:[0,1]
	v_pk_fma_f32 v[8:9], v[6:7], v[0:1], v[4:5] op_sel:[0,0,1] op_sel_hi:[1,1,0] neg_lo:[0,0,1] neg_hi:[0,0,1]
	v_pk_fma_f32 v[4:5], v[6:7], v[0:1], v[4:5] op_sel:[0,0,1] op_sel_hi:[1,0,0]
	s_delay_alu instid0(VALU_DEP_1) | instskip(SKIP_4) | instid1(VALU_DEP_1)
	v_mov_b32_e32 v9, v5
	ds_load_2addr_b64 v[4:7], v56 offset0:28 offset1:29
	v_pk_add_f32 v[106:107], v[106:107], v[8:9] neg_lo:[0,1] neg_hi:[0,1]
	s_wait_dscnt 0x0
	v_pk_mul_f32 v[8:9], v[4:5], v[2:3] op_sel:[0,1]
	v_pk_fma_f32 v[10:11], v[4:5], v[0:1], v[8:9] op_sel:[0,0,1] op_sel_hi:[1,1,0] neg_lo:[0,0,1] neg_hi:[0,0,1]
	v_pk_fma_f32 v[4:5], v[4:5], v[0:1], v[8:9] op_sel:[0,0,1] op_sel_hi:[1,0,0]
	v_dual_mul_f32 v8, v7, v3 :: v_dual_mov_b32 v4, v7
	s_delay_alu instid0(VALU_DEP_2) | instskip(NEXT) | instid1(VALU_DEP_2)
	v_dual_mov_b32 v11, v5 :: v_dual_mov_b32 v5, v6
	v_pk_fma_f32 v[8:9], v[6:7], v[44:45], v[8:9] op_sel_hi:[1,1,0] neg_lo:[0,0,1] neg_hi:[0,0,1]
	v_mul_f32_e32 v6, v7, v0
	s_delay_alu instid0(VALU_DEP_3) | instskip(NEXT) | instid1(VALU_DEP_2)
	v_pk_add_f32 v[128:129], v[128:129], v[10:11] neg_lo:[0,1] neg_hi:[0,1]
	v_pk_fma_f32 v[4:5], v[4:5], v[44:45], v[6:7] op_sel_hi:[1,1,0]
	s_delay_alu instid0(VALU_DEP_1) | instskip(SKIP_4) | instid1(VALU_DEP_1)
	v_mov_b32_e32 v9, v5
	ds_load_2addr_b64 v[4:7], v56 offset0:30 offset1:31
	v_pk_add_f32 v[124:125], v[124:125], v[8:9] neg_lo:[0,1] neg_hi:[0,1]
	s_wait_dscnt 0x0
	v_pk_mul_f32 v[8:9], v[4:5], v[2:3] op_sel:[0,1]
	v_pk_fma_f32 v[10:11], v[4:5], v[0:1], v[8:9] op_sel:[0,0,1] op_sel_hi:[1,1,0] neg_lo:[0,0,1] neg_hi:[0,0,1]
	v_pk_fma_f32 v[4:5], v[4:5], v[0:1], v[8:9] op_sel:[0,0,1] op_sel_hi:[1,0,0]
	s_delay_alu instid0(VALU_DEP_1) | instskip(SKIP_1) | instid1(VALU_DEP_1)
	v_mov_b32_e32 v11, v5
	v_pk_mul_f32 v[4:5], v[6:7], v[2:3] op_sel:[0,1]
	v_pk_fma_f32 v[8:9], v[6:7], v[0:1], v[4:5] op_sel:[0,0,1] op_sel_hi:[1,1,0] neg_lo:[0,0,1] neg_hi:[0,0,1]
	v_pk_fma_f32 v[4:5], v[6:7], v[0:1], v[4:5] op_sel:[0,0,1] op_sel_hi:[1,0,0]
	s_delay_alu instid0(VALU_DEP_1)
	v_mov_b32_e32 v9, v5
	ds_load_2addr_b64 v[4:7], v56 offset0:32 offset1:33
	v_pk_add_f32 v[126:127], v[126:127], v[10:11] neg_lo:[0,1] neg_hi:[0,1]
	v_pk_add_f32 v[122:123], v[122:123], v[8:9] neg_lo:[0,1] neg_hi:[0,1]
	s_wait_dscnt 0x0
	v_pk_mul_f32 v[8:9], v[4:5], v[2:3] op_sel:[0,1]
	s_delay_alu instid0(VALU_DEP_1) | instskip(SKIP_1) | instid1(VALU_DEP_1)
	v_pk_fma_f32 v[10:11], v[4:5], v[0:1], v[8:9] op_sel:[0,0,1] op_sel_hi:[1,1,0] neg_lo:[0,0,1] neg_hi:[0,0,1]
	v_pk_fma_f32 v[4:5], v[4:5], v[0:1], v[8:9] op_sel:[0,0,1] op_sel_hi:[1,0,0]
	v_mov_b32_e32 v11, v5
	v_pk_mul_f32 v[4:5], v[6:7], v[2:3] op_sel:[0,1]
	s_delay_alu instid0(VALU_DEP_1) | instskip(SKIP_1) | instid1(VALU_DEP_1)
	v_pk_fma_f32 v[8:9], v[6:7], v[0:1], v[4:5] op_sel:[0,0,1] op_sel_hi:[1,1,0] neg_lo:[0,0,1] neg_hi:[0,0,1]
	v_pk_fma_f32 v[4:5], v[6:7], v[0:1], v[4:5] op_sel:[0,0,1] op_sel_hi:[1,0,0]
	v_mov_b32_e32 v9, v5
	ds_load_2addr_b64 v[4:7], v56 offset0:34 offset1:35
	v_pk_add_f32 v[144:145], v[144:145], v[10:11] neg_lo:[0,1] neg_hi:[0,1]
	v_pk_add_f32 v[140:141], v[140:141], v[8:9] neg_lo:[0,1] neg_hi:[0,1]
	s_wait_dscnt 0x0
	v_dual_mul_f32 v8, v5, v3 :: v_dual_mul_f32 v10, v5, v0
	s_delay_alu instid0(VALU_DEP_1) | instskip(NEXT) | instid1(VALU_DEP_2)
	v_pk_fma_f32 v[8:9], v[4:5], v[44:45], v[8:9] op_sel_hi:[1,1,0] neg_lo:[0,0,1] neg_hi:[0,0,1]
	v_pk_fma_f32 v[4:5], v[4:5], v[44:45], v[10:11] op_sel:[1,0,0] op_sel_hi:[0,1,0]
	s_delay_alu instid0(VALU_DEP_1) | instskip(SKIP_1) | instid1(VALU_DEP_2)
	v_mov_b32_e32 v9, v5
	v_pk_mul_f32 v[4:5], v[6:7], v[2:3] op_sel:[0,1]
	v_pk_add_f32 v[142:143], v[142:143], v[8:9] neg_lo:[0,1] neg_hi:[0,1]
	s_delay_alu instid0(VALU_DEP_2) | instskip(SKIP_1) | instid1(VALU_DEP_1)
	v_pk_fma_f32 v[8:9], v[6:7], v[0:1], v[4:5] op_sel:[0,0,1] op_sel_hi:[1,1,0] neg_lo:[0,0,1] neg_hi:[0,0,1]
	v_pk_fma_f32 v[4:5], v[6:7], v[0:1], v[4:5] op_sel:[0,0,1] op_sel_hi:[1,0,0]
	v_mov_b32_e32 v9, v5
	ds_load_2addr_b64 v[4:7], v56 offset0:36 offset1:37
	v_pk_add_f32 v[138:139], v[138:139], v[8:9] neg_lo:[0,1] neg_hi:[0,1]
	s_wait_dscnt 0x0
	v_pk_mul_f32 v[8:9], v[4:5], v[2:3] op_sel:[0,1]
	s_delay_alu instid0(VALU_DEP_1) | instskip(SKIP_1) | instid1(VALU_DEP_1)
	v_pk_fma_f32 v[10:11], v[4:5], v[0:1], v[8:9] op_sel:[0,0,1] op_sel_hi:[1,1,0] neg_lo:[0,0,1] neg_hi:[0,0,1]
	v_pk_fma_f32 v[4:5], v[4:5], v[0:1], v[8:9] op_sel:[0,0,1] op_sel_hi:[1,0,0]
	v_mov_b32_e32 v11, v5
	v_pk_mul_f32 v[4:5], v[6:7], v[2:3] op_sel:[0,1]
	s_delay_alu instid0(VALU_DEP_2) | instskip(NEXT) | instid1(VALU_DEP_2)
	v_pk_add_f32 v[164:165], v[164:165], v[10:11] neg_lo:[0,1] neg_hi:[0,1]
	v_pk_fma_f32 v[8:9], v[6:7], v[0:1], v[4:5] op_sel:[0,0,1] op_sel_hi:[1,1,0] neg_lo:[0,0,1] neg_hi:[0,0,1]
	v_pk_fma_f32 v[4:5], v[6:7], v[0:1], v[4:5] op_sel:[0,0,1] op_sel_hi:[1,0,0]
	s_delay_alu instid0(VALU_DEP_1) | instskip(SKIP_4) | instid1(VALU_DEP_1)
	v_mov_b32_e32 v9, v5
	ds_load_2addr_b64 v[4:7], v56 offset0:38 offset1:39
	v_pk_add_f32 v[160:161], v[160:161], v[8:9] neg_lo:[0,1] neg_hi:[0,1]
	s_wait_dscnt 0x0
	v_pk_mul_f32 v[8:9], v[4:5], v[2:3] op_sel:[0,1]
	v_pk_fma_f32 v[10:11], v[4:5], v[0:1], v[8:9] op_sel:[0,0,1] op_sel_hi:[1,1,0] neg_lo:[0,0,1] neg_hi:[0,0,1]
	v_pk_fma_f32 v[4:5], v[4:5], v[0:1], v[8:9] op_sel:[0,0,1] op_sel_hi:[1,0,0]
	v_dual_mul_f32 v8, v7, v3 :: v_dual_mov_b32 v4, v7
	s_delay_alu instid0(VALU_DEP_2) | instskip(NEXT) | instid1(VALU_DEP_2)
	v_dual_mov_b32 v11, v5 :: v_dual_mov_b32 v5, v6
	v_pk_fma_f32 v[8:9], v[6:7], v[44:45], v[8:9] op_sel_hi:[1,1,0] neg_lo:[0,0,1] neg_hi:[0,0,1]
	v_mul_f32_e32 v6, v7, v0
	s_delay_alu instid0(VALU_DEP_3) | instskip(NEXT) | instid1(VALU_DEP_2)
	v_pk_add_f32 v[162:163], v[162:163], v[10:11] neg_lo:[0,1] neg_hi:[0,1]
	v_pk_fma_f32 v[4:5], v[4:5], v[44:45], v[6:7] op_sel_hi:[1,1,0]
	s_delay_alu instid0(VALU_DEP_1) | instskip(SKIP_4) | instid1(VALU_DEP_1)
	v_mov_b32_e32 v9, v5
	ds_load_2addr_b64 v[4:7], v56 offset0:40 offset1:41
	v_pk_add_f32 v[158:159], v[158:159], v[8:9] neg_lo:[0,1] neg_hi:[0,1]
	s_wait_dscnt 0x0
	v_pk_mul_f32 v[8:9], v[4:5], v[2:3] op_sel:[0,1]
	v_pk_fma_f32 v[10:11], v[4:5], v[0:1], v[8:9] op_sel:[0,0,1] op_sel_hi:[1,1,0] neg_lo:[0,0,1] neg_hi:[0,0,1]
	v_pk_fma_f32 v[4:5], v[4:5], v[0:1], v[8:9] op_sel:[0,0,1] op_sel_hi:[1,0,0]
	s_delay_alu instid0(VALU_DEP_1) | instskip(SKIP_1) | instid1(VALU_DEP_1)
	v_mov_b32_e32 v11, v5
	v_pk_mul_f32 v[4:5], v[6:7], v[2:3] op_sel:[0,1]
	v_pk_fma_f32 v[8:9], v[6:7], v[0:1], v[4:5] op_sel:[0,0,1] op_sel_hi:[1,1,0] neg_lo:[0,0,1] neg_hi:[0,0,1]
	v_pk_fma_f32 v[4:5], v[6:7], v[0:1], v[4:5] op_sel:[0,0,1] op_sel_hi:[1,0,0]
	s_delay_alu instid0(VALU_DEP_1)
	v_mov_b32_e32 v9, v5
	ds_load_2addr_b64 v[4:7], v56 offset0:42 offset1:43
	v_pk_add_f32 v[188:189], v[188:189], v[10:11] neg_lo:[0,1] neg_hi:[0,1]
	v_pk_add_f32 v[182:183], v[182:183], v[8:9] neg_lo:[0,1] neg_hi:[0,1]
	s_wait_dscnt 0x0
	v_pk_mul_f32 v[8:9], v[4:5], v[2:3] op_sel:[0,1]
	s_delay_alu instid0(VALU_DEP_1) | instskip(SKIP_1) | instid1(VALU_DEP_1)
	v_pk_fma_f32 v[10:11], v[4:5], v[0:1], v[8:9] op_sel:[0,0,1] op_sel_hi:[1,1,0] neg_lo:[0,0,1] neg_hi:[0,0,1]
	v_pk_fma_f32 v[4:5], v[4:5], v[0:1], v[8:9] op_sel:[0,0,1] op_sel_hi:[1,0,0]
	v_mov_b32_e32 v11, v5
	v_pk_mul_f32 v[4:5], v[6:7], v[2:3] op_sel:[0,1]
	s_delay_alu instid0(VALU_DEP_1) | instskip(SKIP_1) | instid1(VALU_DEP_1)
	v_pk_fma_f32 v[8:9], v[6:7], v[0:1], v[4:5] op_sel:[0,0,1] op_sel_hi:[1,1,0] neg_lo:[0,0,1] neg_hi:[0,0,1]
	v_pk_fma_f32 v[4:5], v[6:7], v[0:1], v[4:5] op_sel:[0,0,1] op_sel_hi:[1,0,0]
	v_mov_b32_e32 v9, v5
	ds_load_2addr_b64 v[4:7], v56 offset0:44 offset1:45
	v_pk_add_f32 v[186:187], v[186:187], v[10:11] neg_lo:[0,1] neg_hi:[0,1]
	v_pk_add_f32 v[180:181], v[180:181], v[8:9] neg_lo:[0,1] neg_hi:[0,1]
	s_wait_dscnt 0x0
	v_dual_mul_f32 v8, v5, v3 :: v_dual_mul_f32 v10, v5, v0
	s_delay_alu instid0(VALU_DEP_1) | instskip(NEXT) | instid1(VALU_DEP_2)
	v_pk_fma_f32 v[8:9], v[4:5], v[44:45], v[8:9] op_sel_hi:[1,1,0] neg_lo:[0,0,1] neg_hi:[0,0,1]
	v_pk_fma_f32 v[4:5], v[4:5], v[44:45], v[10:11] op_sel:[1,0,0] op_sel_hi:[0,1,0]
	s_delay_alu instid0(VALU_DEP_1) | instskip(SKIP_1) | instid1(VALU_DEP_2)
	v_mov_b32_e32 v9, v5
	v_pk_mul_f32 v[4:5], v[6:7], v[2:3] op_sel:[0,1]
	v_pk_add_f32 v[184:185], v[184:185], v[8:9] neg_lo:[0,1] neg_hi:[0,1]
	s_delay_alu instid0(VALU_DEP_2) | instskip(SKIP_1) | instid1(VALU_DEP_1)
	v_pk_fma_f32 v[8:9], v[6:7], v[0:1], v[4:5] op_sel:[0,0,1] op_sel_hi:[1,1,0] neg_lo:[0,0,1] neg_hi:[0,0,1]
	v_pk_fma_f32 v[4:5], v[6:7], v[0:1], v[4:5] op_sel:[0,0,1] op_sel_hi:[1,0,0]
	v_mov_b32_e32 v9, v5
	ds_load_2addr_b64 v[4:7], v56 offset0:46 offset1:47
	v_pk_add_f32 v[178:179], v[178:179], v[8:9] neg_lo:[0,1] neg_hi:[0,1]
	s_wait_dscnt 0x0
	v_pk_mul_f32 v[8:9], v[4:5], v[2:3] op_sel:[0,1]
	v_pk_mul_f32 v[2:3], v[6:7], v[2:3] op_sel:[0,1]
	s_delay_alu instid0(VALU_DEP_2) | instskip(SKIP_1) | instid1(VALU_DEP_1)
	v_pk_fma_f32 v[10:11], v[4:5], v[0:1], v[8:9] op_sel:[0,0,1] op_sel_hi:[1,1,0] neg_lo:[0,0,1] neg_hi:[0,0,1]
	v_pk_fma_f32 v[4:5], v[4:5], v[0:1], v[8:9] op_sel:[0,0,1] op_sel_hi:[1,0,0]
	v_mov_b32_e32 v11, v5
	s_delay_alu instid0(VALU_DEP_4) | instskip(SKIP_1) | instid1(VALU_DEP_3)
	v_pk_fma_f32 v[4:5], v[6:7], v[0:1], v[2:3] op_sel:[0,0,1] op_sel_hi:[1,1,0] neg_lo:[0,0,1] neg_hi:[0,0,1]
	v_pk_fma_f32 v[0:1], v[6:7], v[0:1], v[2:3] op_sel:[0,0,1] op_sel_hi:[1,0,0]
	v_pk_add_f32 v[190:191], v[190:191], v[10:11] neg_lo:[0,1] neg_hi:[0,1]
	s_delay_alu instid0(VALU_DEP_2) | instskip(NEXT) | instid1(VALU_DEP_1)
	v_mov_b32_e32 v5, v1
	v_pk_add_f32 v[192:193], v[192:193], v[4:5] neg_lo:[0,1] neg_hi:[0,1]
.LBB95_145:
	s_or_b32 exec_lo, exec_lo, s1
	s_delay_alu instid0(SALU_CYCLE_1)
	s_mov_b32 s2, exec_lo
	s_wait_dscnt 0x0
	s_barrier_signal -1
	s_barrier_wait -1
	v_cmpx_eq_u32_e32 16, v54
	s_cbranch_execz .LBB95_152
; %bb.146:
	ds_store_b64 v55, v[74:75]
	ds_store_2addr_b64 v56, v[70:71], v[72:73] offset0:17 offset1:18
	ds_store_2addr_b64 v56, v[68:69], v[96:97] offset0:19 offset1:20
	;; [unrolled: 1-line block ×15, first 2 shown]
	ds_store_b64 v56, v[192:193] offset:376
	ds_load_b64 v[0:1], v55
	s_wait_dscnt 0x0
	v_cmp_neq_f32_e32 vcc_lo, 0, v0
	v_cmp_neq_f32_e64 s1, 0, v1
	s_or_b32 s1, vcc_lo, s1
	s_delay_alu instid0(SALU_CYCLE_1)
	s_and_b32 exec_lo, exec_lo, s1
	s_cbranch_execz .LBB95_152
; %bb.147:
	v_cmp_ngt_f32_e64 s1, |v0|, |v1|
                                        ; implicit-def: $vgpr2_vgpr3
	s_and_saveexec_b32 s4, s1
	s_delay_alu instid0(SALU_CYCLE_1)
	s_xor_b32 s1, exec_lo, s4
	s_cbranch_execz .LBB95_149
; %bb.148:
	v_div_scale_f32 v2, null, v1, v1, v0
	v_div_scale_f32 v5, vcc_lo, v0, v1, v0
	s_delay_alu instid0(VALU_DEP_2) | instskip(SKIP_1) | instid1(TRANS32_DEP_1)
	v_rcp_f32_e32 v3, v2
	v_nop
	v_fma_f32 v4, -v2, v3, 1.0
	s_delay_alu instid0(VALU_DEP_1) | instskip(NEXT) | instid1(VALU_DEP_1)
	v_fmac_f32_e32 v3, v4, v3
	v_mul_f32_e32 v4, v5, v3
	s_delay_alu instid0(VALU_DEP_1) | instskip(NEXT) | instid1(VALU_DEP_1)
	v_fma_f32 v6, -v2, v4, v5
	v_fmac_f32_e32 v4, v6, v3
	s_delay_alu instid0(VALU_DEP_1) | instskip(NEXT) | instid1(VALU_DEP_1)
	v_fma_f32 v2, -v2, v4, v5
	v_div_fmas_f32 v2, v2, v3, v4
	s_delay_alu instid0(VALU_DEP_1) | instskip(NEXT) | instid1(VALU_DEP_1)
	v_div_fixup_f32 v2, v2, v1, v0
	v_fmac_f32_e32 v1, v0, v2
	s_delay_alu instid0(VALU_DEP_1) | instskip(SKIP_1) | instid1(VALU_DEP_2)
	v_div_scale_f32 v0, null, v1, v1, 1.0
	v_div_scale_f32 v5, vcc_lo, 1.0, v1, 1.0
	v_rcp_f32_e32 v3, v0
	v_nop
	s_delay_alu instid0(TRANS32_DEP_1) | instskip(NEXT) | instid1(VALU_DEP_1)
	v_fma_f32 v4, -v0, v3, 1.0
	v_fmac_f32_e32 v3, v4, v3
	s_delay_alu instid0(VALU_DEP_1) | instskip(NEXT) | instid1(VALU_DEP_1)
	v_mul_f32_e32 v4, v5, v3
	v_fma_f32 v6, -v0, v4, v5
	s_delay_alu instid0(VALU_DEP_1) | instskip(NEXT) | instid1(VALU_DEP_1)
	v_fmac_f32_e32 v4, v6, v3
	v_fma_f32 v0, -v0, v4, v5
	s_delay_alu instid0(VALU_DEP_1) | instskip(NEXT) | instid1(VALU_DEP_1)
	v_div_fmas_f32 v0, v0, v3, v4
	v_div_fixup_f32 v0, v0, v1, 1.0
	s_delay_alu instid0(VALU_DEP_1)
	v_mul_f32_e32 v2, v2, v0
	v_xor_b32_e32 v3, 0x80000000, v0
                                        ; implicit-def: $vgpr0_vgpr1
.LBB95_149:
	s_and_not1_saveexec_b32 s1, s1
	s_cbranch_execz .LBB95_151
; %bb.150:
	v_div_scale_f32 v2, null, v0, v0, v1
	v_div_scale_f32 v5, vcc_lo, v1, v0, v1
	s_delay_alu instid0(VALU_DEP_2) | instskip(SKIP_1) | instid1(TRANS32_DEP_1)
	v_rcp_f32_e32 v3, v2
	v_nop
	v_fma_f32 v4, -v2, v3, 1.0
	s_delay_alu instid0(VALU_DEP_1) | instskip(NEXT) | instid1(VALU_DEP_1)
	v_fmac_f32_e32 v3, v4, v3
	v_mul_f32_e32 v4, v5, v3
	s_delay_alu instid0(VALU_DEP_1) | instskip(NEXT) | instid1(VALU_DEP_1)
	v_fma_f32 v6, -v2, v4, v5
	v_fmac_f32_e32 v4, v6, v3
	s_delay_alu instid0(VALU_DEP_1) | instskip(NEXT) | instid1(VALU_DEP_1)
	v_fma_f32 v2, -v2, v4, v5
	v_div_fmas_f32 v2, v2, v3, v4
	s_delay_alu instid0(VALU_DEP_1) | instskip(NEXT) | instid1(VALU_DEP_1)
	v_div_fixup_f32 v3, v2, v0, v1
	v_fmac_f32_e32 v0, v1, v3
	s_delay_alu instid0(VALU_DEP_1) | instskip(NEXT) | instid1(VALU_DEP_1)
	v_div_scale_f32 v1, null, v0, v0, 1.0
	v_rcp_f32_e32 v2, v1
	v_nop
	s_delay_alu instid0(TRANS32_DEP_1) | instskip(NEXT) | instid1(VALU_DEP_1)
	v_fma_f32 v4, -v1, v2, 1.0
	v_fmac_f32_e32 v2, v4, v2
	v_div_scale_f32 v4, vcc_lo, 1.0, v0, 1.0
	s_delay_alu instid0(VALU_DEP_1) | instskip(NEXT) | instid1(VALU_DEP_1)
	v_mul_f32_e32 v5, v4, v2
	v_fma_f32 v6, -v1, v5, v4
	s_delay_alu instid0(VALU_DEP_1) | instskip(NEXT) | instid1(VALU_DEP_1)
	v_fmac_f32_e32 v5, v6, v2
	v_fma_f32 v1, -v1, v5, v4
	s_delay_alu instid0(VALU_DEP_1) | instskip(NEXT) | instid1(VALU_DEP_1)
	v_div_fmas_f32 v1, v1, v2, v5
	v_div_fixup_f32 v2, v1, v0, 1.0
	s_delay_alu instid0(VALU_DEP_1)
	v_mul_f32_e64 v3, v3, -v2
.LBB95_151:
	s_or_b32 exec_lo, exec_lo, s1
	ds_store_b64 v55, v[2:3]
.LBB95_152:
	s_or_b32 exec_lo, exec_lo, s2
	s_wait_dscnt 0x0
	s_barrier_signal -1
	s_barrier_wait -1
	ds_load_b64 v[226:227], v55
	s_mov_b32 s1, exec_lo
	v_cmpx_lt_u32_e32 16, v54
	s_cbranch_execz .LBB95_154
; %bb.153:
	ds_load_2addr_b64 v[4:7], v56 offset0:17 offset1:18
	s_wait_dscnt 0x1
	v_pk_mul_f32 v[2:3], v[226:227], v[74:75] op_sel:[1,1] op_sel_hi:[0,1]
	s_delay_alu instid0(VALU_DEP_1) | instskip(SKIP_1) | instid1(VALU_DEP_1)
	v_pk_fma_f32 v[0:1], v[226:227], v[74:75], v[2:3] op_sel_hi:[1,0,1] neg_lo:[0,0,1] neg_hi:[0,0,1]
	v_pk_fma_f32 v[2:3], v[226:227], v[74:75], v[2:3] op_sel_hi:[1,0,1]
	v_dual_mov_b32 v74, v0 :: v_dual_mov_b32 v75, v3
	s_wait_dscnt 0x0
	s_delay_alu instid0(VALU_DEP_2) | instskip(NEXT) | instid1(VALU_DEP_1)
	v_pk_mul_f32 v[8:9], v[4:5], v[2:3] op_sel:[0,1]
	v_pk_fma_f32 v[10:11], v[4:5], v[0:1], v[8:9] op_sel:[0,0,1] op_sel_hi:[1,1,0] neg_lo:[0,0,1] neg_hi:[0,0,1]
	v_pk_fma_f32 v[4:5], v[4:5], v[0:1], v[8:9] op_sel:[0,0,1] op_sel_hi:[1,0,0]
	s_delay_alu instid0(VALU_DEP_1) | instskip(SKIP_1) | instid1(VALU_DEP_1)
	v_mov_b32_e32 v11, v5
	v_pk_mul_f32 v[4:5], v[6:7], v[2:3] op_sel:[0,1]
	v_pk_fma_f32 v[8:9], v[6:7], v[0:1], v[4:5] op_sel:[0,0,1] op_sel_hi:[1,1,0] neg_lo:[0,0,1] neg_hi:[0,0,1]
	v_pk_fma_f32 v[4:5], v[6:7], v[0:1], v[4:5] op_sel:[0,0,1] op_sel_hi:[1,0,0]
	s_delay_alu instid0(VALU_DEP_1)
	v_mov_b32_e32 v9, v5
	ds_load_2addr_b64 v[4:7], v56 offset0:19 offset1:20
	v_pk_add_f32 v[70:71], v[70:71], v[10:11] neg_lo:[0,1] neg_hi:[0,1]
	v_pk_add_f32 v[72:73], v[72:73], v[8:9] neg_lo:[0,1] neg_hi:[0,1]
	s_wait_dscnt 0x0
	v_pk_mul_f32 v[8:9], v[4:5], v[2:3] op_sel:[0,1]
	s_delay_alu instid0(VALU_DEP_1) | instskip(SKIP_2) | instid1(VALU_DEP_2)
	v_pk_fma_f32 v[10:11], v[4:5], v[0:1], v[8:9] op_sel:[0,0,1] op_sel_hi:[1,1,0] neg_lo:[0,0,1] neg_hi:[0,0,1]
	v_pk_fma_f32 v[4:5], v[4:5], v[0:1], v[8:9] op_sel:[0,0,1] op_sel_hi:[1,0,0]
	v_dual_mul_f32 v8, v7, v3 :: v_dual_mov_b32 v4, v7
	v_dual_mov_b32 v11, v5 :: v_dual_mov_b32 v5, v6
	s_delay_alu instid0(VALU_DEP_2) | instskip(SKIP_1) | instid1(VALU_DEP_3)
	v_pk_fma_f32 v[8:9], v[6:7], v[74:75], v[8:9] op_sel_hi:[1,1,0] neg_lo:[0,0,1] neg_hi:[0,0,1]
	v_mul_f32_e32 v6, v7, v0
	v_pk_add_f32 v[68:69], v[68:69], v[10:11] neg_lo:[0,1] neg_hi:[0,1]
	s_delay_alu instid0(VALU_DEP_2) | instskip(NEXT) | instid1(VALU_DEP_1)
	v_pk_fma_f32 v[4:5], v[4:5], v[74:75], v[6:7] op_sel_hi:[1,1,0]
	v_mov_b32_e32 v9, v5
	ds_load_2addr_b64 v[4:7], v56 offset0:21 offset1:22
	v_pk_add_f32 v[96:97], v[96:97], v[8:9] neg_lo:[0,1] neg_hi:[0,1]
	s_wait_dscnt 0x0
	v_pk_mul_f32 v[8:9], v[4:5], v[2:3] op_sel:[0,1]
	s_delay_alu instid0(VALU_DEP_1) | instskip(SKIP_1) | instid1(VALU_DEP_1)
	v_pk_fma_f32 v[10:11], v[4:5], v[0:1], v[8:9] op_sel:[0,0,1] op_sel_hi:[1,1,0] neg_lo:[0,0,1] neg_hi:[0,0,1]
	v_pk_fma_f32 v[4:5], v[4:5], v[0:1], v[8:9] op_sel:[0,0,1] op_sel_hi:[1,0,0]
	v_mov_b32_e32 v11, v5
	v_pk_mul_f32 v[4:5], v[6:7], v[2:3] op_sel:[0,1]
	s_delay_alu instid0(VALU_DEP_1) | instskip(SKIP_1) | instid1(VALU_DEP_1)
	v_pk_fma_f32 v[8:9], v[6:7], v[0:1], v[4:5] op_sel:[0,0,1] op_sel_hi:[1,1,0] neg_lo:[0,0,1] neg_hi:[0,0,1]
	v_pk_fma_f32 v[4:5], v[6:7], v[0:1], v[4:5] op_sel:[0,0,1] op_sel_hi:[1,0,0]
	v_mov_b32_e32 v9, v5
	ds_load_2addr_b64 v[4:7], v56 offset0:23 offset1:24
	v_pk_add_f32 v[92:93], v[92:93], v[10:11] neg_lo:[0,1] neg_hi:[0,1]
	v_pk_add_f32 v[94:95], v[94:95], v[8:9] neg_lo:[0,1] neg_hi:[0,1]
	s_wait_dscnt 0x0
	v_pk_mul_f32 v[8:9], v[4:5], v[2:3] op_sel:[0,1]
	s_delay_alu instid0(VALU_DEP_1) | instskip(SKIP_1) | instid1(VALU_DEP_1)
	v_pk_fma_f32 v[10:11], v[4:5], v[0:1], v[8:9] op_sel:[0,0,1] op_sel_hi:[1,1,0] neg_lo:[0,0,1] neg_hi:[0,0,1]
	v_pk_fma_f32 v[4:5], v[4:5], v[0:1], v[8:9] op_sel:[0,0,1] op_sel_hi:[1,0,0]
	v_mov_b32_e32 v11, v5
	v_pk_mul_f32 v[4:5], v[6:7], v[2:3] op_sel:[0,1]
	s_delay_alu instid0(VALU_DEP_1) | instskip(SKIP_1) | instid1(VALU_DEP_1)
	v_pk_fma_f32 v[8:9], v[6:7], v[0:1], v[4:5] op_sel:[0,0,1] op_sel_hi:[1,1,0] neg_lo:[0,0,1] neg_hi:[0,0,1]
	v_pk_fma_f32 v[4:5], v[6:7], v[0:1], v[4:5] op_sel:[0,0,1] op_sel_hi:[1,0,0]
	v_mov_b32_e32 v9, v5
	ds_load_2addr_b64 v[4:7], v56 offset0:25 offset1:26
	v_pk_add_f32 v[90:91], v[90:91], v[10:11] neg_lo:[0,1] neg_hi:[0,1]
	v_pk_add_f32 v[112:113], v[112:113], v[8:9] neg_lo:[0,1] neg_hi:[0,1]
	s_wait_dscnt 0x0
	v_dual_mul_f32 v8, v5, v3 :: v_dual_mul_f32 v10, v5, v0
	s_delay_alu instid0(VALU_DEP_1) | instskip(NEXT) | instid1(VALU_DEP_2)
	v_pk_fma_f32 v[8:9], v[4:5], v[74:75], v[8:9] op_sel_hi:[1,1,0] neg_lo:[0,0,1] neg_hi:[0,0,1]
	v_pk_fma_f32 v[4:5], v[4:5], v[74:75], v[10:11] op_sel:[1,0,0] op_sel_hi:[0,1,0]
	s_delay_alu instid0(VALU_DEP_1) | instskip(SKIP_1) | instid1(VALU_DEP_2)
	v_mov_b32_e32 v9, v5
	v_pk_mul_f32 v[4:5], v[6:7], v[2:3] op_sel:[0,1]
	v_pk_add_f32 v[108:109], v[108:109], v[8:9] neg_lo:[0,1] neg_hi:[0,1]
	s_delay_alu instid0(VALU_DEP_2) | instskip(SKIP_1) | instid1(VALU_DEP_1)
	v_pk_fma_f32 v[8:9], v[6:7], v[0:1], v[4:5] op_sel:[0,0,1] op_sel_hi:[1,1,0] neg_lo:[0,0,1] neg_hi:[0,0,1]
	v_pk_fma_f32 v[4:5], v[6:7], v[0:1], v[4:5] op_sel:[0,0,1] op_sel_hi:[1,0,0]
	v_mov_b32_e32 v9, v5
	ds_load_2addr_b64 v[4:7], v56 offset0:27 offset1:28
	v_pk_add_f32 v[110:111], v[110:111], v[8:9] neg_lo:[0,1] neg_hi:[0,1]
	s_wait_dscnt 0x0
	v_pk_mul_f32 v[8:9], v[4:5], v[2:3] op_sel:[0,1]
	s_delay_alu instid0(VALU_DEP_1) | instskip(SKIP_1) | instid1(VALU_DEP_1)
	v_pk_fma_f32 v[10:11], v[4:5], v[0:1], v[8:9] op_sel:[0,0,1] op_sel_hi:[1,1,0] neg_lo:[0,0,1] neg_hi:[0,0,1]
	v_pk_fma_f32 v[4:5], v[4:5], v[0:1], v[8:9] op_sel:[0,0,1] op_sel_hi:[1,0,0]
	v_mov_b32_e32 v11, v5
	v_pk_mul_f32 v[4:5], v[6:7], v[2:3] op_sel:[0,1]
	s_delay_alu instid0(VALU_DEP_2) | instskip(NEXT) | instid1(VALU_DEP_2)
	v_pk_add_f32 v[106:107], v[106:107], v[10:11] neg_lo:[0,1] neg_hi:[0,1]
	v_pk_fma_f32 v[8:9], v[6:7], v[0:1], v[4:5] op_sel:[0,0,1] op_sel_hi:[1,1,0] neg_lo:[0,0,1] neg_hi:[0,0,1]
	v_pk_fma_f32 v[4:5], v[6:7], v[0:1], v[4:5] op_sel:[0,0,1] op_sel_hi:[1,0,0]
	s_delay_alu instid0(VALU_DEP_1) | instskip(SKIP_4) | instid1(VALU_DEP_1)
	v_mov_b32_e32 v9, v5
	ds_load_2addr_b64 v[4:7], v56 offset0:29 offset1:30
	v_pk_add_f32 v[128:129], v[128:129], v[8:9] neg_lo:[0,1] neg_hi:[0,1]
	s_wait_dscnt 0x0
	v_pk_mul_f32 v[8:9], v[4:5], v[2:3] op_sel:[0,1]
	v_pk_fma_f32 v[10:11], v[4:5], v[0:1], v[8:9] op_sel:[0,0,1] op_sel_hi:[1,1,0] neg_lo:[0,0,1] neg_hi:[0,0,1]
	v_pk_fma_f32 v[4:5], v[4:5], v[0:1], v[8:9] op_sel:[0,0,1] op_sel_hi:[1,0,0]
	v_dual_mul_f32 v8, v7, v3 :: v_dual_mov_b32 v4, v7
	s_delay_alu instid0(VALU_DEP_2) | instskip(NEXT) | instid1(VALU_DEP_2)
	v_dual_mov_b32 v11, v5 :: v_dual_mov_b32 v5, v6
	v_pk_fma_f32 v[8:9], v[6:7], v[74:75], v[8:9] op_sel_hi:[1,1,0] neg_lo:[0,0,1] neg_hi:[0,0,1]
	v_mul_f32_e32 v6, v7, v0
	s_delay_alu instid0(VALU_DEP_3) | instskip(NEXT) | instid1(VALU_DEP_2)
	v_pk_add_f32 v[124:125], v[124:125], v[10:11] neg_lo:[0,1] neg_hi:[0,1]
	v_pk_fma_f32 v[4:5], v[4:5], v[74:75], v[6:7] op_sel_hi:[1,1,0]
	s_delay_alu instid0(VALU_DEP_1) | instskip(SKIP_4) | instid1(VALU_DEP_1)
	v_mov_b32_e32 v9, v5
	ds_load_2addr_b64 v[4:7], v56 offset0:31 offset1:32
	v_pk_add_f32 v[126:127], v[126:127], v[8:9] neg_lo:[0,1] neg_hi:[0,1]
	s_wait_dscnt 0x0
	v_pk_mul_f32 v[8:9], v[4:5], v[2:3] op_sel:[0,1]
	v_pk_fma_f32 v[10:11], v[4:5], v[0:1], v[8:9] op_sel:[0,0,1] op_sel_hi:[1,1,0] neg_lo:[0,0,1] neg_hi:[0,0,1]
	v_pk_fma_f32 v[4:5], v[4:5], v[0:1], v[8:9] op_sel:[0,0,1] op_sel_hi:[1,0,0]
	s_delay_alu instid0(VALU_DEP_1) | instskip(SKIP_1) | instid1(VALU_DEP_1)
	v_mov_b32_e32 v11, v5
	v_pk_mul_f32 v[4:5], v[6:7], v[2:3] op_sel:[0,1]
	v_pk_fma_f32 v[8:9], v[6:7], v[0:1], v[4:5] op_sel:[0,0,1] op_sel_hi:[1,1,0] neg_lo:[0,0,1] neg_hi:[0,0,1]
	v_pk_fma_f32 v[4:5], v[6:7], v[0:1], v[4:5] op_sel:[0,0,1] op_sel_hi:[1,0,0]
	s_delay_alu instid0(VALU_DEP_1)
	v_mov_b32_e32 v9, v5
	ds_load_2addr_b64 v[4:7], v56 offset0:33 offset1:34
	v_pk_add_f32 v[122:123], v[122:123], v[10:11] neg_lo:[0,1] neg_hi:[0,1]
	v_pk_add_f32 v[144:145], v[144:145], v[8:9] neg_lo:[0,1] neg_hi:[0,1]
	s_wait_dscnt 0x0
	v_pk_mul_f32 v[8:9], v[4:5], v[2:3] op_sel:[0,1]
	s_delay_alu instid0(VALU_DEP_1) | instskip(SKIP_1) | instid1(VALU_DEP_1)
	v_pk_fma_f32 v[10:11], v[4:5], v[0:1], v[8:9] op_sel:[0,0,1] op_sel_hi:[1,1,0] neg_lo:[0,0,1] neg_hi:[0,0,1]
	v_pk_fma_f32 v[4:5], v[4:5], v[0:1], v[8:9] op_sel:[0,0,1] op_sel_hi:[1,0,0]
	v_mov_b32_e32 v11, v5
	v_pk_mul_f32 v[4:5], v[6:7], v[2:3] op_sel:[0,1]
	s_delay_alu instid0(VALU_DEP_1) | instskip(SKIP_1) | instid1(VALU_DEP_1)
	v_pk_fma_f32 v[8:9], v[6:7], v[0:1], v[4:5] op_sel:[0,0,1] op_sel_hi:[1,1,0] neg_lo:[0,0,1] neg_hi:[0,0,1]
	v_pk_fma_f32 v[4:5], v[6:7], v[0:1], v[4:5] op_sel:[0,0,1] op_sel_hi:[1,0,0]
	v_mov_b32_e32 v9, v5
	ds_load_2addr_b64 v[4:7], v56 offset0:35 offset1:36
	v_pk_add_f32 v[140:141], v[140:141], v[10:11] neg_lo:[0,1] neg_hi:[0,1]
	v_pk_add_f32 v[142:143], v[142:143], v[8:9] neg_lo:[0,1] neg_hi:[0,1]
	s_wait_dscnt 0x0
	v_dual_mul_f32 v8, v5, v3 :: v_dual_mul_f32 v10, v5, v0
	s_delay_alu instid0(VALU_DEP_1) | instskip(NEXT) | instid1(VALU_DEP_2)
	v_pk_fma_f32 v[8:9], v[4:5], v[74:75], v[8:9] op_sel_hi:[1,1,0] neg_lo:[0,0,1] neg_hi:[0,0,1]
	v_pk_fma_f32 v[4:5], v[4:5], v[74:75], v[10:11] op_sel:[1,0,0] op_sel_hi:[0,1,0]
	s_delay_alu instid0(VALU_DEP_1) | instskip(SKIP_1) | instid1(VALU_DEP_2)
	v_mov_b32_e32 v9, v5
	v_pk_mul_f32 v[4:5], v[6:7], v[2:3] op_sel:[0,1]
	v_pk_add_f32 v[138:139], v[138:139], v[8:9] neg_lo:[0,1] neg_hi:[0,1]
	s_delay_alu instid0(VALU_DEP_2) | instskip(SKIP_1) | instid1(VALU_DEP_1)
	v_pk_fma_f32 v[8:9], v[6:7], v[0:1], v[4:5] op_sel:[0,0,1] op_sel_hi:[1,1,0] neg_lo:[0,0,1] neg_hi:[0,0,1]
	v_pk_fma_f32 v[4:5], v[6:7], v[0:1], v[4:5] op_sel:[0,0,1] op_sel_hi:[1,0,0]
	v_mov_b32_e32 v9, v5
	ds_load_2addr_b64 v[4:7], v56 offset0:37 offset1:38
	v_pk_add_f32 v[164:165], v[164:165], v[8:9] neg_lo:[0,1] neg_hi:[0,1]
	s_wait_dscnt 0x0
	v_pk_mul_f32 v[8:9], v[4:5], v[2:3] op_sel:[0,1]
	s_delay_alu instid0(VALU_DEP_1) | instskip(SKIP_1) | instid1(VALU_DEP_1)
	v_pk_fma_f32 v[10:11], v[4:5], v[0:1], v[8:9] op_sel:[0,0,1] op_sel_hi:[1,1,0] neg_lo:[0,0,1] neg_hi:[0,0,1]
	v_pk_fma_f32 v[4:5], v[4:5], v[0:1], v[8:9] op_sel:[0,0,1] op_sel_hi:[1,0,0]
	v_mov_b32_e32 v11, v5
	v_pk_mul_f32 v[4:5], v[6:7], v[2:3] op_sel:[0,1]
	s_delay_alu instid0(VALU_DEP_2) | instskip(NEXT) | instid1(VALU_DEP_2)
	v_pk_add_f32 v[160:161], v[160:161], v[10:11] neg_lo:[0,1] neg_hi:[0,1]
	v_pk_fma_f32 v[8:9], v[6:7], v[0:1], v[4:5] op_sel:[0,0,1] op_sel_hi:[1,1,0] neg_lo:[0,0,1] neg_hi:[0,0,1]
	v_pk_fma_f32 v[4:5], v[6:7], v[0:1], v[4:5] op_sel:[0,0,1] op_sel_hi:[1,0,0]
	s_delay_alu instid0(VALU_DEP_1) | instskip(SKIP_4) | instid1(VALU_DEP_1)
	v_mov_b32_e32 v9, v5
	ds_load_2addr_b64 v[4:7], v56 offset0:39 offset1:40
	v_pk_add_f32 v[162:163], v[162:163], v[8:9] neg_lo:[0,1] neg_hi:[0,1]
	s_wait_dscnt 0x0
	v_pk_mul_f32 v[8:9], v[4:5], v[2:3] op_sel:[0,1]
	v_pk_fma_f32 v[10:11], v[4:5], v[0:1], v[8:9] op_sel:[0,0,1] op_sel_hi:[1,1,0] neg_lo:[0,0,1] neg_hi:[0,0,1]
	v_pk_fma_f32 v[4:5], v[4:5], v[0:1], v[8:9] op_sel:[0,0,1] op_sel_hi:[1,0,0]
	v_dual_mul_f32 v8, v7, v3 :: v_dual_mov_b32 v4, v7
	s_delay_alu instid0(VALU_DEP_2) | instskip(NEXT) | instid1(VALU_DEP_2)
	v_dual_mov_b32 v11, v5 :: v_dual_mov_b32 v5, v6
	v_pk_fma_f32 v[8:9], v[6:7], v[74:75], v[8:9] op_sel_hi:[1,1,0] neg_lo:[0,0,1] neg_hi:[0,0,1]
	v_mul_f32_e32 v6, v7, v0
	s_delay_alu instid0(VALU_DEP_3) | instskip(NEXT) | instid1(VALU_DEP_2)
	v_pk_add_f32 v[158:159], v[158:159], v[10:11] neg_lo:[0,1] neg_hi:[0,1]
	v_pk_fma_f32 v[4:5], v[4:5], v[74:75], v[6:7] op_sel_hi:[1,1,0]
	s_delay_alu instid0(VALU_DEP_1) | instskip(SKIP_4) | instid1(VALU_DEP_1)
	v_mov_b32_e32 v9, v5
	ds_load_2addr_b64 v[4:7], v56 offset0:41 offset1:42
	v_pk_add_f32 v[188:189], v[188:189], v[8:9] neg_lo:[0,1] neg_hi:[0,1]
	s_wait_dscnt 0x0
	v_pk_mul_f32 v[8:9], v[4:5], v[2:3] op_sel:[0,1]
	v_pk_fma_f32 v[10:11], v[4:5], v[0:1], v[8:9] op_sel:[0,0,1] op_sel_hi:[1,1,0] neg_lo:[0,0,1] neg_hi:[0,0,1]
	v_pk_fma_f32 v[4:5], v[4:5], v[0:1], v[8:9] op_sel:[0,0,1] op_sel_hi:[1,0,0]
	s_delay_alu instid0(VALU_DEP_1) | instskip(SKIP_1) | instid1(VALU_DEP_1)
	v_mov_b32_e32 v11, v5
	v_pk_mul_f32 v[4:5], v[6:7], v[2:3] op_sel:[0,1]
	v_pk_fma_f32 v[8:9], v[6:7], v[0:1], v[4:5] op_sel:[0,0,1] op_sel_hi:[1,1,0] neg_lo:[0,0,1] neg_hi:[0,0,1]
	v_pk_fma_f32 v[4:5], v[6:7], v[0:1], v[4:5] op_sel:[0,0,1] op_sel_hi:[1,0,0]
	s_delay_alu instid0(VALU_DEP_1)
	v_mov_b32_e32 v9, v5
	ds_load_2addr_b64 v[4:7], v56 offset0:43 offset1:44
	v_pk_add_f32 v[182:183], v[182:183], v[10:11] neg_lo:[0,1] neg_hi:[0,1]
	v_pk_add_f32 v[186:187], v[186:187], v[8:9] neg_lo:[0,1] neg_hi:[0,1]
	s_wait_dscnt 0x0
	v_pk_mul_f32 v[8:9], v[4:5], v[2:3] op_sel:[0,1]
	s_delay_alu instid0(VALU_DEP_1) | instskip(SKIP_1) | instid1(VALU_DEP_1)
	v_pk_fma_f32 v[10:11], v[4:5], v[0:1], v[8:9] op_sel:[0,0,1] op_sel_hi:[1,1,0] neg_lo:[0,0,1] neg_hi:[0,0,1]
	v_pk_fma_f32 v[4:5], v[4:5], v[0:1], v[8:9] op_sel:[0,0,1] op_sel_hi:[1,0,0]
	v_mov_b32_e32 v11, v5
	v_pk_mul_f32 v[4:5], v[6:7], v[2:3] op_sel:[0,1]
	s_delay_alu instid0(VALU_DEP_1) | instskip(SKIP_1) | instid1(VALU_DEP_1)
	v_pk_fma_f32 v[8:9], v[6:7], v[0:1], v[4:5] op_sel:[0,0,1] op_sel_hi:[1,1,0] neg_lo:[0,0,1] neg_hi:[0,0,1]
	v_pk_fma_f32 v[4:5], v[6:7], v[0:1], v[4:5] op_sel:[0,0,1] op_sel_hi:[1,0,0]
	v_mov_b32_e32 v9, v5
	ds_load_2addr_b64 v[4:7], v56 offset0:45 offset1:46
	v_pk_add_f32 v[180:181], v[180:181], v[10:11] neg_lo:[0,1] neg_hi:[0,1]
	v_pk_add_f32 v[184:185], v[184:185], v[8:9] neg_lo:[0,1] neg_hi:[0,1]
	s_wait_dscnt 0x0
	v_dual_mul_f32 v8, v5, v3 :: v_dual_mul_f32 v10, v5, v0
	s_delay_alu instid0(VALU_DEP_1) | instskip(NEXT) | instid1(VALU_DEP_2)
	v_pk_fma_f32 v[8:9], v[4:5], v[74:75], v[8:9] op_sel_hi:[1,1,0] neg_lo:[0,0,1] neg_hi:[0,0,1]
	v_pk_fma_f32 v[4:5], v[4:5], v[74:75], v[10:11] op_sel:[1,0,0] op_sel_hi:[0,1,0]
	s_delay_alu instid0(VALU_DEP_1) | instskip(SKIP_1) | instid1(VALU_DEP_2)
	v_mov_b32_e32 v9, v5
	v_pk_mul_f32 v[4:5], v[6:7], v[2:3] op_sel:[0,1]
	v_pk_add_f32 v[178:179], v[178:179], v[8:9] neg_lo:[0,1] neg_hi:[0,1]
	s_delay_alu instid0(VALU_DEP_2) | instskip(SKIP_1) | instid1(VALU_DEP_1)
	v_pk_fma_f32 v[8:9], v[6:7], v[0:1], v[4:5] op_sel:[0,0,1] op_sel_hi:[1,1,0] neg_lo:[0,0,1] neg_hi:[0,0,1]
	v_pk_fma_f32 v[4:5], v[6:7], v[0:1], v[4:5] op_sel:[0,0,1] op_sel_hi:[1,0,0]
	v_mov_b32_e32 v9, v5
	ds_load_b64 v[4:5], v56 offset:376
	v_pk_add_f32 v[190:191], v[190:191], v[8:9] neg_lo:[0,1] neg_hi:[0,1]
	s_wait_dscnt 0x0
	v_pk_mul_f32 v[2:3], v[4:5], v[2:3] op_sel:[0,1]
	s_delay_alu instid0(VALU_DEP_1) | instskip(SKIP_1) | instid1(VALU_DEP_1)
	v_pk_fma_f32 v[6:7], v[4:5], v[0:1], v[2:3] op_sel:[0,0,1] op_sel_hi:[1,1,0] neg_lo:[0,0,1] neg_hi:[0,0,1]
	v_pk_fma_f32 v[0:1], v[4:5], v[0:1], v[2:3] op_sel:[0,0,1] op_sel_hi:[1,0,0]
	v_mov_b32_e32 v7, v1
	s_delay_alu instid0(VALU_DEP_1)
	v_pk_add_f32 v[192:193], v[192:193], v[6:7] neg_lo:[0,1] neg_hi:[0,1]
.LBB95_154:
	s_or_b32 exec_lo, exec_lo, s1
	s_delay_alu instid0(SALU_CYCLE_1)
	s_mov_b32 s2, exec_lo
	s_wait_dscnt 0x0
	s_barrier_signal -1
	s_barrier_wait -1
	v_cmpx_eq_u32_e32 17, v54
	s_cbranch_execz .LBB95_161
; %bb.155:
	v_dual_mov_b32 v0, v72 :: v_dual_mov_b32 v1, v73
	v_dual_mov_b32 v2, v68 :: v_dual_mov_b32 v3, v69
	;; [unrolled: 1-line block ×8, first 2 shown]
	ds_store_b64 v55, v[70:71]
	ds_store_2addr_b64 v56, v[0:1], v[2:3] offset0:18 offset1:19
	ds_store_2addr_b64 v56, v[4:5], v[6:7] offset0:20 offset1:21
	;; [unrolled: 1-line block ×4, first 2 shown]
	v_dual_mov_b32 v0, v110 :: v_dual_mov_b32 v1, v111
	v_dual_mov_b32 v2, v106 :: v_dual_mov_b32 v3, v107
	;; [unrolled: 1-line block ×12, first 2 shown]
	ds_store_2addr_b64 v56, v[0:1], v[2:3] offset0:26 offset1:27
	ds_store_2addr_b64 v56, v[4:5], v[6:7] offset0:28 offset1:29
	;; [unrolled: 1-line block ×6, first 2 shown]
	v_dual_mov_b32 v0, v162 :: v_dual_mov_b32 v1, v163
	v_dual_mov_b32 v2, v158 :: v_dual_mov_b32 v3, v159
	;; [unrolled: 1-line block ×9, first 2 shown]
	ds_store_2addr_b64 v56, v[0:1], v[2:3] offset0:38 offset1:39
	ds_store_2addr_b64 v56, v[4:5], v[6:7] offset0:40 offset1:41
	;; [unrolled: 1-line block ×5, first 2 shown]
	ds_load_b64 v[0:1], v55
	s_wait_dscnt 0x0
	v_cmp_neq_f32_e32 vcc_lo, 0, v0
	v_cmp_neq_f32_e64 s1, 0, v1
	s_or_b32 s1, vcc_lo, s1
	s_delay_alu instid0(SALU_CYCLE_1)
	s_and_b32 exec_lo, exec_lo, s1
	s_cbranch_execz .LBB95_161
; %bb.156:
	v_cmp_ngt_f32_e64 s1, |v0|, |v1|
                                        ; implicit-def: $vgpr2_vgpr3
	s_and_saveexec_b32 s4, s1
	s_delay_alu instid0(SALU_CYCLE_1)
	s_xor_b32 s1, exec_lo, s4
	s_cbranch_execz .LBB95_158
; %bb.157:
	v_div_scale_f32 v2, null, v1, v1, v0
	v_div_scale_f32 v5, vcc_lo, v0, v1, v0
	s_delay_alu instid0(VALU_DEP_2) | instskip(SKIP_1) | instid1(TRANS32_DEP_1)
	v_rcp_f32_e32 v3, v2
	v_nop
	v_fma_f32 v4, -v2, v3, 1.0
	s_delay_alu instid0(VALU_DEP_1) | instskip(NEXT) | instid1(VALU_DEP_1)
	v_fmac_f32_e32 v3, v4, v3
	v_mul_f32_e32 v4, v5, v3
	s_delay_alu instid0(VALU_DEP_1) | instskip(NEXT) | instid1(VALU_DEP_1)
	v_fma_f32 v6, -v2, v4, v5
	v_fmac_f32_e32 v4, v6, v3
	s_delay_alu instid0(VALU_DEP_1) | instskip(NEXT) | instid1(VALU_DEP_1)
	v_fma_f32 v2, -v2, v4, v5
	v_div_fmas_f32 v2, v2, v3, v4
	s_delay_alu instid0(VALU_DEP_1) | instskip(NEXT) | instid1(VALU_DEP_1)
	v_div_fixup_f32 v2, v2, v1, v0
	v_fmac_f32_e32 v1, v0, v2
	s_delay_alu instid0(VALU_DEP_1) | instskip(SKIP_1) | instid1(VALU_DEP_2)
	v_div_scale_f32 v0, null, v1, v1, 1.0
	v_div_scale_f32 v5, vcc_lo, 1.0, v1, 1.0
	v_rcp_f32_e32 v3, v0
	v_nop
	s_delay_alu instid0(TRANS32_DEP_1) | instskip(NEXT) | instid1(VALU_DEP_1)
	v_fma_f32 v4, -v0, v3, 1.0
	v_fmac_f32_e32 v3, v4, v3
	s_delay_alu instid0(VALU_DEP_1) | instskip(NEXT) | instid1(VALU_DEP_1)
	v_mul_f32_e32 v4, v5, v3
	v_fma_f32 v6, -v0, v4, v5
	s_delay_alu instid0(VALU_DEP_1) | instskip(NEXT) | instid1(VALU_DEP_1)
	v_fmac_f32_e32 v4, v6, v3
	v_fma_f32 v0, -v0, v4, v5
	s_delay_alu instid0(VALU_DEP_1) | instskip(NEXT) | instid1(VALU_DEP_1)
	v_div_fmas_f32 v0, v0, v3, v4
	v_div_fixup_f32 v0, v0, v1, 1.0
	s_delay_alu instid0(VALU_DEP_1)
	v_mul_f32_e32 v2, v2, v0
	v_xor_b32_e32 v3, 0x80000000, v0
                                        ; implicit-def: $vgpr0_vgpr1
.LBB95_158:
	s_and_not1_saveexec_b32 s1, s1
	s_cbranch_execz .LBB95_160
; %bb.159:
	v_div_scale_f32 v2, null, v0, v0, v1
	v_div_scale_f32 v5, vcc_lo, v1, v0, v1
	s_delay_alu instid0(VALU_DEP_2) | instskip(SKIP_1) | instid1(TRANS32_DEP_1)
	v_rcp_f32_e32 v3, v2
	v_nop
	v_fma_f32 v4, -v2, v3, 1.0
	s_delay_alu instid0(VALU_DEP_1) | instskip(NEXT) | instid1(VALU_DEP_1)
	v_fmac_f32_e32 v3, v4, v3
	v_mul_f32_e32 v4, v5, v3
	s_delay_alu instid0(VALU_DEP_1) | instskip(NEXT) | instid1(VALU_DEP_1)
	v_fma_f32 v6, -v2, v4, v5
	v_fmac_f32_e32 v4, v6, v3
	s_delay_alu instid0(VALU_DEP_1) | instskip(NEXT) | instid1(VALU_DEP_1)
	v_fma_f32 v2, -v2, v4, v5
	v_div_fmas_f32 v2, v2, v3, v4
	s_delay_alu instid0(VALU_DEP_1) | instskip(NEXT) | instid1(VALU_DEP_1)
	v_div_fixup_f32 v3, v2, v0, v1
	v_fmac_f32_e32 v0, v1, v3
	s_delay_alu instid0(VALU_DEP_1) | instskip(NEXT) | instid1(VALU_DEP_1)
	v_div_scale_f32 v1, null, v0, v0, 1.0
	v_rcp_f32_e32 v2, v1
	v_nop
	s_delay_alu instid0(TRANS32_DEP_1) | instskip(NEXT) | instid1(VALU_DEP_1)
	v_fma_f32 v4, -v1, v2, 1.0
	v_fmac_f32_e32 v2, v4, v2
	v_div_scale_f32 v4, vcc_lo, 1.0, v0, 1.0
	s_delay_alu instid0(VALU_DEP_1) | instskip(NEXT) | instid1(VALU_DEP_1)
	v_mul_f32_e32 v5, v4, v2
	v_fma_f32 v6, -v1, v5, v4
	s_delay_alu instid0(VALU_DEP_1) | instskip(NEXT) | instid1(VALU_DEP_1)
	v_fmac_f32_e32 v5, v6, v2
	v_fma_f32 v1, -v1, v5, v4
	s_delay_alu instid0(VALU_DEP_1) | instskip(NEXT) | instid1(VALU_DEP_1)
	v_div_fmas_f32 v1, v1, v2, v5
	v_div_fixup_f32 v2, v1, v0, 1.0
	s_delay_alu instid0(VALU_DEP_1)
	v_mul_f32_e64 v3, v3, -v2
.LBB95_160:
	s_or_b32 exec_lo, exec_lo, s1
	ds_store_b64 v55, v[2:3]
.LBB95_161:
	s_or_b32 exec_lo, exec_lo, s2
	s_wait_dscnt 0x0
	s_barrier_signal -1
	s_barrier_wait -1
	ds_load_b64 v[228:229], v55
	s_mov_b32 s1, exec_lo
	v_cmpx_lt_u32_e32 17, v54
	s_cbranch_execz .LBB95_163
; %bb.162:
	ds_load_2addr_b64 v[4:7], v56 offset0:18 offset1:19
	s_wait_dscnt 0x1
	v_pk_mul_f32 v[2:3], v[228:229], v[70:71] op_sel:[1,1] op_sel_hi:[0,1]
	s_delay_alu instid0(VALU_DEP_1) | instskip(SKIP_1) | instid1(VALU_DEP_1)
	v_pk_fma_f32 v[0:1], v[228:229], v[70:71], v[2:3] op_sel_hi:[1,0,1] neg_lo:[0,0,1] neg_hi:[0,0,1]
	v_pk_fma_f32 v[2:3], v[228:229], v[70:71], v[2:3] op_sel_hi:[1,0,1]
	v_dual_mov_b32 v70, v0 :: v_dual_mov_b32 v71, v3
	s_wait_dscnt 0x0
	s_delay_alu instid0(VALU_DEP_2) | instskip(NEXT) | instid1(VALU_DEP_1)
	v_pk_mul_f32 v[8:9], v[4:5], v[2:3] op_sel:[0,1]
	v_pk_fma_f32 v[10:11], v[4:5], v[0:1], v[8:9] op_sel:[0,0,1] op_sel_hi:[1,1,0] neg_lo:[0,0,1] neg_hi:[0,0,1]
	v_pk_fma_f32 v[4:5], v[4:5], v[0:1], v[8:9] op_sel:[0,0,1] op_sel_hi:[1,0,0]
	s_delay_alu instid0(VALU_DEP_1) | instskip(SKIP_1) | instid1(VALU_DEP_1)
	v_mov_b32_e32 v11, v5
	v_pk_mul_f32 v[4:5], v[6:7], v[2:3] op_sel:[0,1]
	v_pk_fma_f32 v[8:9], v[6:7], v[0:1], v[4:5] op_sel:[0,0,1] op_sel_hi:[1,1,0] neg_lo:[0,0,1] neg_hi:[0,0,1]
	v_pk_fma_f32 v[4:5], v[6:7], v[0:1], v[4:5] op_sel:[0,0,1] op_sel_hi:[1,0,0]
	s_delay_alu instid0(VALU_DEP_1)
	v_mov_b32_e32 v9, v5
	ds_load_2addr_b64 v[4:7], v56 offset0:20 offset1:21
	v_pk_add_f32 v[72:73], v[72:73], v[10:11] neg_lo:[0,1] neg_hi:[0,1]
	v_pk_add_f32 v[68:69], v[68:69], v[8:9] neg_lo:[0,1] neg_hi:[0,1]
	s_wait_dscnt 0x0
	v_pk_mul_f32 v[8:9], v[4:5], v[2:3] op_sel:[0,1]
	s_delay_alu instid0(VALU_DEP_1) | instskip(SKIP_2) | instid1(VALU_DEP_2)
	v_pk_fma_f32 v[10:11], v[4:5], v[0:1], v[8:9] op_sel:[0,0,1] op_sel_hi:[1,1,0] neg_lo:[0,0,1] neg_hi:[0,0,1]
	v_pk_fma_f32 v[4:5], v[4:5], v[0:1], v[8:9] op_sel:[0,0,1] op_sel_hi:[1,0,0]
	v_dual_mul_f32 v8, v7, v3 :: v_dual_mov_b32 v4, v7
	v_dual_mov_b32 v11, v5 :: v_dual_mov_b32 v5, v6
	s_delay_alu instid0(VALU_DEP_2) | instskip(SKIP_1) | instid1(VALU_DEP_3)
	v_pk_fma_f32 v[8:9], v[6:7], v[70:71], v[8:9] op_sel_hi:[1,1,0] neg_lo:[0,0,1] neg_hi:[0,0,1]
	v_mul_f32_e32 v6, v7, v0
	v_pk_add_f32 v[96:97], v[96:97], v[10:11] neg_lo:[0,1] neg_hi:[0,1]
	s_delay_alu instid0(VALU_DEP_2) | instskip(NEXT) | instid1(VALU_DEP_1)
	v_pk_fma_f32 v[4:5], v[4:5], v[70:71], v[6:7] op_sel_hi:[1,1,0]
	v_mov_b32_e32 v9, v5
	ds_load_2addr_b64 v[4:7], v56 offset0:22 offset1:23
	v_pk_add_f32 v[92:93], v[92:93], v[8:9] neg_lo:[0,1] neg_hi:[0,1]
	s_wait_dscnt 0x0
	v_pk_mul_f32 v[8:9], v[4:5], v[2:3] op_sel:[0,1]
	s_delay_alu instid0(VALU_DEP_1) | instskip(SKIP_1) | instid1(VALU_DEP_1)
	v_pk_fma_f32 v[10:11], v[4:5], v[0:1], v[8:9] op_sel:[0,0,1] op_sel_hi:[1,1,0] neg_lo:[0,0,1] neg_hi:[0,0,1]
	v_pk_fma_f32 v[4:5], v[4:5], v[0:1], v[8:9] op_sel:[0,0,1] op_sel_hi:[1,0,0]
	v_mov_b32_e32 v11, v5
	v_pk_mul_f32 v[4:5], v[6:7], v[2:3] op_sel:[0,1]
	s_delay_alu instid0(VALU_DEP_1) | instskip(SKIP_1) | instid1(VALU_DEP_1)
	v_pk_fma_f32 v[8:9], v[6:7], v[0:1], v[4:5] op_sel:[0,0,1] op_sel_hi:[1,1,0] neg_lo:[0,0,1] neg_hi:[0,0,1]
	v_pk_fma_f32 v[4:5], v[6:7], v[0:1], v[4:5] op_sel:[0,0,1] op_sel_hi:[1,0,0]
	v_mov_b32_e32 v9, v5
	ds_load_2addr_b64 v[4:7], v56 offset0:24 offset1:25
	v_pk_add_f32 v[94:95], v[94:95], v[10:11] neg_lo:[0,1] neg_hi:[0,1]
	v_pk_add_f32 v[90:91], v[90:91], v[8:9] neg_lo:[0,1] neg_hi:[0,1]
	s_wait_dscnt 0x0
	v_pk_mul_f32 v[8:9], v[4:5], v[2:3] op_sel:[0,1]
	s_delay_alu instid0(VALU_DEP_1) | instskip(SKIP_1) | instid1(VALU_DEP_1)
	v_pk_fma_f32 v[10:11], v[4:5], v[0:1], v[8:9] op_sel:[0,0,1] op_sel_hi:[1,1,0] neg_lo:[0,0,1] neg_hi:[0,0,1]
	v_pk_fma_f32 v[4:5], v[4:5], v[0:1], v[8:9] op_sel:[0,0,1] op_sel_hi:[1,0,0]
	v_mov_b32_e32 v11, v5
	v_pk_mul_f32 v[4:5], v[6:7], v[2:3] op_sel:[0,1]
	s_delay_alu instid0(VALU_DEP_1) | instskip(SKIP_1) | instid1(VALU_DEP_1)
	v_pk_fma_f32 v[8:9], v[6:7], v[0:1], v[4:5] op_sel:[0,0,1] op_sel_hi:[1,1,0] neg_lo:[0,0,1] neg_hi:[0,0,1]
	v_pk_fma_f32 v[4:5], v[6:7], v[0:1], v[4:5] op_sel:[0,0,1] op_sel_hi:[1,0,0]
	v_mov_b32_e32 v9, v5
	ds_load_2addr_b64 v[4:7], v56 offset0:26 offset1:27
	v_pk_add_f32 v[112:113], v[112:113], v[10:11] neg_lo:[0,1] neg_hi:[0,1]
	v_pk_add_f32 v[108:109], v[108:109], v[8:9] neg_lo:[0,1] neg_hi:[0,1]
	s_wait_dscnt 0x0
	v_dual_mul_f32 v8, v5, v3 :: v_dual_mul_f32 v10, v5, v0
	s_delay_alu instid0(VALU_DEP_1) | instskip(NEXT) | instid1(VALU_DEP_2)
	v_pk_fma_f32 v[8:9], v[4:5], v[70:71], v[8:9] op_sel_hi:[1,1,0] neg_lo:[0,0,1] neg_hi:[0,0,1]
	v_pk_fma_f32 v[4:5], v[4:5], v[70:71], v[10:11] op_sel:[1,0,0] op_sel_hi:[0,1,0]
	s_delay_alu instid0(VALU_DEP_1) | instskip(SKIP_1) | instid1(VALU_DEP_2)
	v_mov_b32_e32 v9, v5
	v_pk_mul_f32 v[4:5], v[6:7], v[2:3] op_sel:[0,1]
	v_pk_add_f32 v[110:111], v[110:111], v[8:9] neg_lo:[0,1] neg_hi:[0,1]
	s_delay_alu instid0(VALU_DEP_2) | instskip(SKIP_1) | instid1(VALU_DEP_1)
	v_pk_fma_f32 v[8:9], v[6:7], v[0:1], v[4:5] op_sel:[0,0,1] op_sel_hi:[1,1,0] neg_lo:[0,0,1] neg_hi:[0,0,1]
	v_pk_fma_f32 v[4:5], v[6:7], v[0:1], v[4:5] op_sel:[0,0,1] op_sel_hi:[1,0,0]
	v_mov_b32_e32 v9, v5
	ds_load_2addr_b64 v[4:7], v56 offset0:28 offset1:29
	v_pk_add_f32 v[106:107], v[106:107], v[8:9] neg_lo:[0,1] neg_hi:[0,1]
	s_wait_dscnt 0x0
	v_pk_mul_f32 v[8:9], v[4:5], v[2:3] op_sel:[0,1]
	s_delay_alu instid0(VALU_DEP_1) | instskip(SKIP_1) | instid1(VALU_DEP_1)
	v_pk_fma_f32 v[10:11], v[4:5], v[0:1], v[8:9] op_sel:[0,0,1] op_sel_hi:[1,1,0] neg_lo:[0,0,1] neg_hi:[0,0,1]
	v_pk_fma_f32 v[4:5], v[4:5], v[0:1], v[8:9] op_sel:[0,0,1] op_sel_hi:[1,0,0]
	v_mov_b32_e32 v11, v5
	v_pk_mul_f32 v[4:5], v[6:7], v[2:3] op_sel:[0,1]
	s_delay_alu instid0(VALU_DEP_2) | instskip(NEXT) | instid1(VALU_DEP_2)
	v_pk_add_f32 v[128:129], v[128:129], v[10:11] neg_lo:[0,1] neg_hi:[0,1]
	v_pk_fma_f32 v[8:9], v[6:7], v[0:1], v[4:5] op_sel:[0,0,1] op_sel_hi:[1,1,0] neg_lo:[0,0,1] neg_hi:[0,0,1]
	v_pk_fma_f32 v[4:5], v[6:7], v[0:1], v[4:5] op_sel:[0,0,1] op_sel_hi:[1,0,0]
	s_delay_alu instid0(VALU_DEP_1) | instskip(SKIP_4) | instid1(VALU_DEP_1)
	v_mov_b32_e32 v9, v5
	ds_load_2addr_b64 v[4:7], v56 offset0:30 offset1:31
	v_pk_add_f32 v[124:125], v[124:125], v[8:9] neg_lo:[0,1] neg_hi:[0,1]
	s_wait_dscnt 0x0
	v_pk_mul_f32 v[8:9], v[4:5], v[2:3] op_sel:[0,1]
	v_pk_fma_f32 v[10:11], v[4:5], v[0:1], v[8:9] op_sel:[0,0,1] op_sel_hi:[1,1,0] neg_lo:[0,0,1] neg_hi:[0,0,1]
	v_pk_fma_f32 v[4:5], v[4:5], v[0:1], v[8:9] op_sel:[0,0,1] op_sel_hi:[1,0,0]
	v_dual_mul_f32 v8, v7, v3 :: v_dual_mov_b32 v4, v7
	s_delay_alu instid0(VALU_DEP_2) | instskip(NEXT) | instid1(VALU_DEP_2)
	v_dual_mov_b32 v11, v5 :: v_dual_mov_b32 v5, v6
	v_pk_fma_f32 v[8:9], v[6:7], v[70:71], v[8:9] op_sel_hi:[1,1,0] neg_lo:[0,0,1] neg_hi:[0,0,1]
	v_mul_f32_e32 v6, v7, v0
	s_delay_alu instid0(VALU_DEP_3) | instskip(NEXT) | instid1(VALU_DEP_2)
	v_pk_add_f32 v[126:127], v[126:127], v[10:11] neg_lo:[0,1] neg_hi:[0,1]
	v_pk_fma_f32 v[4:5], v[4:5], v[70:71], v[6:7] op_sel_hi:[1,1,0]
	s_delay_alu instid0(VALU_DEP_1) | instskip(SKIP_4) | instid1(VALU_DEP_1)
	v_mov_b32_e32 v9, v5
	ds_load_2addr_b64 v[4:7], v56 offset0:32 offset1:33
	v_pk_add_f32 v[122:123], v[122:123], v[8:9] neg_lo:[0,1] neg_hi:[0,1]
	s_wait_dscnt 0x0
	v_pk_mul_f32 v[8:9], v[4:5], v[2:3] op_sel:[0,1]
	v_pk_fma_f32 v[10:11], v[4:5], v[0:1], v[8:9] op_sel:[0,0,1] op_sel_hi:[1,1,0] neg_lo:[0,0,1] neg_hi:[0,0,1]
	v_pk_fma_f32 v[4:5], v[4:5], v[0:1], v[8:9] op_sel:[0,0,1] op_sel_hi:[1,0,0]
	s_delay_alu instid0(VALU_DEP_1) | instskip(SKIP_1) | instid1(VALU_DEP_1)
	v_mov_b32_e32 v11, v5
	v_pk_mul_f32 v[4:5], v[6:7], v[2:3] op_sel:[0,1]
	v_pk_fma_f32 v[8:9], v[6:7], v[0:1], v[4:5] op_sel:[0,0,1] op_sel_hi:[1,1,0] neg_lo:[0,0,1] neg_hi:[0,0,1]
	v_pk_fma_f32 v[4:5], v[6:7], v[0:1], v[4:5] op_sel:[0,0,1] op_sel_hi:[1,0,0]
	s_delay_alu instid0(VALU_DEP_1)
	v_mov_b32_e32 v9, v5
	ds_load_2addr_b64 v[4:7], v56 offset0:34 offset1:35
	v_pk_add_f32 v[144:145], v[144:145], v[10:11] neg_lo:[0,1] neg_hi:[0,1]
	v_pk_add_f32 v[140:141], v[140:141], v[8:9] neg_lo:[0,1] neg_hi:[0,1]
	s_wait_dscnt 0x0
	v_pk_mul_f32 v[8:9], v[4:5], v[2:3] op_sel:[0,1]
	s_delay_alu instid0(VALU_DEP_1) | instskip(SKIP_1) | instid1(VALU_DEP_1)
	v_pk_fma_f32 v[10:11], v[4:5], v[0:1], v[8:9] op_sel:[0,0,1] op_sel_hi:[1,1,0] neg_lo:[0,0,1] neg_hi:[0,0,1]
	v_pk_fma_f32 v[4:5], v[4:5], v[0:1], v[8:9] op_sel:[0,0,1] op_sel_hi:[1,0,0]
	v_mov_b32_e32 v11, v5
	v_pk_mul_f32 v[4:5], v[6:7], v[2:3] op_sel:[0,1]
	s_delay_alu instid0(VALU_DEP_1) | instskip(SKIP_1) | instid1(VALU_DEP_1)
	v_pk_fma_f32 v[8:9], v[6:7], v[0:1], v[4:5] op_sel:[0,0,1] op_sel_hi:[1,1,0] neg_lo:[0,0,1] neg_hi:[0,0,1]
	v_pk_fma_f32 v[4:5], v[6:7], v[0:1], v[4:5] op_sel:[0,0,1] op_sel_hi:[1,0,0]
	v_mov_b32_e32 v9, v5
	ds_load_2addr_b64 v[4:7], v56 offset0:36 offset1:37
	v_pk_add_f32 v[142:143], v[142:143], v[10:11] neg_lo:[0,1] neg_hi:[0,1]
	v_pk_add_f32 v[138:139], v[138:139], v[8:9] neg_lo:[0,1] neg_hi:[0,1]
	s_wait_dscnt 0x0
	v_dual_mul_f32 v8, v5, v3 :: v_dual_mul_f32 v10, v5, v0
	s_delay_alu instid0(VALU_DEP_1) | instskip(NEXT) | instid1(VALU_DEP_2)
	v_pk_fma_f32 v[8:9], v[4:5], v[70:71], v[8:9] op_sel_hi:[1,1,0] neg_lo:[0,0,1] neg_hi:[0,0,1]
	v_pk_fma_f32 v[4:5], v[4:5], v[70:71], v[10:11] op_sel:[1,0,0] op_sel_hi:[0,1,0]
	s_delay_alu instid0(VALU_DEP_1) | instskip(SKIP_1) | instid1(VALU_DEP_2)
	v_mov_b32_e32 v9, v5
	v_pk_mul_f32 v[4:5], v[6:7], v[2:3] op_sel:[0,1]
	v_pk_add_f32 v[164:165], v[164:165], v[8:9] neg_lo:[0,1] neg_hi:[0,1]
	s_delay_alu instid0(VALU_DEP_2) | instskip(SKIP_1) | instid1(VALU_DEP_1)
	v_pk_fma_f32 v[8:9], v[6:7], v[0:1], v[4:5] op_sel:[0,0,1] op_sel_hi:[1,1,0] neg_lo:[0,0,1] neg_hi:[0,0,1]
	v_pk_fma_f32 v[4:5], v[6:7], v[0:1], v[4:5] op_sel:[0,0,1] op_sel_hi:[1,0,0]
	v_mov_b32_e32 v9, v5
	ds_load_2addr_b64 v[4:7], v56 offset0:38 offset1:39
	v_pk_add_f32 v[160:161], v[160:161], v[8:9] neg_lo:[0,1] neg_hi:[0,1]
	s_wait_dscnt 0x0
	v_pk_mul_f32 v[8:9], v[4:5], v[2:3] op_sel:[0,1]
	s_delay_alu instid0(VALU_DEP_1) | instskip(SKIP_1) | instid1(VALU_DEP_1)
	v_pk_fma_f32 v[10:11], v[4:5], v[0:1], v[8:9] op_sel:[0,0,1] op_sel_hi:[1,1,0] neg_lo:[0,0,1] neg_hi:[0,0,1]
	v_pk_fma_f32 v[4:5], v[4:5], v[0:1], v[8:9] op_sel:[0,0,1] op_sel_hi:[1,0,0]
	v_mov_b32_e32 v11, v5
	v_pk_mul_f32 v[4:5], v[6:7], v[2:3] op_sel:[0,1]
	s_delay_alu instid0(VALU_DEP_2) | instskip(NEXT) | instid1(VALU_DEP_2)
	v_pk_add_f32 v[162:163], v[162:163], v[10:11] neg_lo:[0,1] neg_hi:[0,1]
	v_pk_fma_f32 v[8:9], v[6:7], v[0:1], v[4:5] op_sel:[0,0,1] op_sel_hi:[1,1,0] neg_lo:[0,0,1] neg_hi:[0,0,1]
	v_pk_fma_f32 v[4:5], v[6:7], v[0:1], v[4:5] op_sel:[0,0,1] op_sel_hi:[1,0,0]
	s_delay_alu instid0(VALU_DEP_1) | instskip(SKIP_4) | instid1(VALU_DEP_1)
	v_mov_b32_e32 v9, v5
	ds_load_2addr_b64 v[4:7], v56 offset0:40 offset1:41
	v_pk_add_f32 v[158:159], v[158:159], v[8:9] neg_lo:[0,1] neg_hi:[0,1]
	s_wait_dscnt 0x0
	v_pk_mul_f32 v[8:9], v[4:5], v[2:3] op_sel:[0,1]
	v_pk_fma_f32 v[10:11], v[4:5], v[0:1], v[8:9] op_sel:[0,0,1] op_sel_hi:[1,1,0] neg_lo:[0,0,1] neg_hi:[0,0,1]
	v_pk_fma_f32 v[4:5], v[4:5], v[0:1], v[8:9] op_sel:[0,0,1] op_sel_hi:[1,0,0]
	v_dual_mul_f32 v8, v7, v3 :: v_dual_mov_b32 v4, v7
	s_delay_alu instid0(VALU_DEP_2) | instskip(NEXT) | instid1(VALU_DEP_2)
	v_dual_mov_b32 v11, v5 :: v_dual_mov_b32 v5, v6
	v_pk_fma_f32 v[8:9], v[6:7], v[70:71], v[8:9] op_sel_hi:[1,1,0] neg_lo:[0,0,1] neg_hi:[0,0,1]
	v_mul_f32_e32 v6, v7, v0
	s_delay_alu instid0(VALU_DEP_3) | instskip(NEXT) | instid1(VALU_DEP_2)
	v_pk_add_f32 v[188:189], v[188:189], v[10:11] neg_lo:[0,1] neg_hi:[0,1]
	v_pk_fma_f32 v[4:5], v[4:5], v[70:71], v[6:7] op_sel_hi:[1,1,0]
	s_delay_alu instid0(VALU_DEP_1) | instskip(SKIP_4) | instid1(VALU_DEP_1)
	v_mov_b32_e32 v9, v5
	ds_load_2addr_b64 v[4:7], v56 offset0:42 offset1:43
	v_pk_add_f32 v[182:183], v[182:183], v[8:9] neg_lo:[0,1] neg_hi:[0,1]
	s_wait_dscnt 0x0
	v_pk_mul_f32 v[8:9], v[4:5], v[2:3] op_sel:[0,1]
	v_pk_fma_f32 v[10:11], v[4:5], v[0:1], v[8:9] op_sel:[0,0,1] op_sel_hi:[1,1,0] neg_lo:[0,0,1] neg_hi:[0,0,1]
	v_pk_fma_f32 v[4:5], v[4:5], v[0:1], v[8:9] op_sel:[0,0,1] op_sel_hi:[1,0,0]
	s_delay_alu instid0(VALU_DEP_1) | instskip(SKIP_1) | instid1(VALU_DEP_1)
	v_mov_b32_e32 v11, v5
	v_pk_mul_f32 v[4:5], v[6:7], v[2:3] op_sel:[0,1]
	v_pk_fma_f32 v[8:9], v[6:7], v[0:1], v[4:5] op_sel:[0,0,1] op_sel_hi:[1,1,0] neg_lo:[0,0,1] neg_hi:[0,0,1]
	v_pk_fma_f32 v[4:5], v[6:7], v[0:1], v[4:5] op_sel:[0,0,1] op_sel_hi:[1,0,0]
	s_delay_alu instid0(VALU_DEP_1)
	v_mov_b32_e32 v9, v5
	ds_load_2addr_b64 v[4:7], v56 offset0:44 offset1:45
	v_pk_add_f32 v[186:187], v[186:187], v[10:11] neg_lo:[0,1] neg_hi:[0,1]
	v_pk_add_f32 v[180:181], v[180:181], v[8:9] neg_lo:[0,1] neg_hi:[0,1]
	s_wait_dscnt 0x0
	v_pk_mul_f32 v[8:9], v[4:5], v[2:3] op_sel:[0,1]
	s_delay_alu instid0(VALU_DEP_1) | instskip(SKIP_1) | instid1(VALU_DEP_1)
	v_pk_fma_f32 v[10:11], v[4:5], v[0:1], v[8:9] op_sel:[0,0,1] op_sel_hi:[1,1,0] neg_lo:[0,0,1] neg_hi:[0,0,1]
	v_pk_fma_f32 v[4:5], v[4:5], v[0:1], v[8:9] op_sel:[0,0,1] op_sel_hi:[1,0,0]
	v_mov_b32_e32 v11, v5
	v_pk_mul_f32 v[4:5], v[6:7], v[2:3] op_sel:[0,1]
	s_delay_alu instid0(VALU_DEP_1) | instskip(SKIP_1) | instid1(VALU_DEP_1)
	v_pk_fma_f32 v[8:9], v[6:7], v[0:1], v[4:5] op_sel:[0,0,1] op_sel_hi:[1,1,0] neg_lo:[0,0,1] neg_hi:[0,0,1]
	v_pk_fma_f32 v[4:5], v[6:7], v[0:1], v[4:5] op_sel:[0,0,1] op_sel_hi:[1,0,0]
	v_mov_b32_e32 v9, v5
	ds_load_2addr_b64 v[4:7], v56 offset0:46 offset1:47
	v_pk_add_f32 v[184:185], v[184:185], v[10:11] neg_lo:[0,1] neg_hi:[0,1]
	v_pk_add_f32 v[178:179], v[178:179], v[8:9] neg_lo:[0,1] neg_hi:[0,1]
	s_wait_dscnt 0x0
	v_mul_f32_e32 v2, v5, v3
	s_delay_alu instid0(VALU_DEP_1) | instskip(SKIP_1) | instid1(VALU_DEP_1)
	v_pk_fma_f32 v[8:9], v[4:5], v[70:71], v[2:3] op_sel_hi:[1,1,0] neg_lo:[0,0,1] neg_hi:[0,0,1]
	v_dual_mul_f32 v2, v5, v0 :: v_dual_mul_f32 v0, v7, v0
	v_pk_fma_f32 v[4:5], v[4:5], v[70:71], v[2:3] op_sel:[1,0,0] op_sel_hi:[0,1,0]
	v_dual_mov_b32 v4, v7 :: v_dual_mul_f32 v2, v7, v3
	s_delay_alu instid0(VALU_DEP_2) | instskip(NEXT) | instid1(VALU_DEP_2)
	v_dual_mov_b32 v9, v5 :: v_dual_mov_b32 v5, v6
	v_pk_fma_f32 v[2:3], v[6:7], v[70:71], v[2:3] op_sel_hi:[1,1,0] neg_lo:[0,0,1] neg_hi:[0,0,1]
	s_delay_alu instid0(VALU_DEP_2) | instskip(NEXT) | instid1(VALU_DEP_3)
	v_pk_add_f32 v[190:191], v[190:191], v[8:9] neg_lo:[0,1] neg_hi:[0,1]
	v_pk_fma_f32 v[0:1], v[4:5], v[70:71], v[0:1] op_sel_hi:[1,1,0]
	s_delay_alu instid0(VALU_DEP_1) | instskip(NEXT) | instid1(VALU_DEP_1)
	v_mov_b32_e32 v3, v1
	v_pk_add_f32 v[192:193], v[192:193], v[2:3] neg_lo:[0,1] neg_hi:[0,1]
.LBB95_163:
	s_or_b32 exec_lo, exec_lo, s1
	s_delay_alu instid0(SALU_CYCLE_1)
	s_mov_b32 s2, exec_lo
	s_wait_dscnt 0x0
	s_barrier_signal -1
	s_barrier_wait -1
	v_cmpx_eq_u32_e32 18, v54
	s_cbranch_execz .LBB95_170
; %bb.164:
	ds_store_b64 v55, v[72:73]
	ds_store_2addr_b64 v56, v[68:69], v[96:97] offset0:19 offset1:20
	ds_store_2addr_b64 v56, v[92:93], v[94:95] offset0:21 offset1:22
	;; [unrolled: 1-line block ×14, first 2 shown]
	ds_store_b64 v56, v[192:193] offset:376
	ds_load_b64 v[0:1], v55
	s_wait_dscnt 0x0
	v_cmp_neq_f32_e32 vcc_lo, 0, v0
	v_cmp_neq_f32_e64 s1, 0, v1
	s_or_b32 s1, vcc_lo, s1
	s_delay_alu instid0(SALU_CYCLE_1)
	s_and_b32 exec_lo, exec_lo, s1
	s_cbranch_execz .LBB95_170
; %bb.165:
	v_cmp_ngt_f32_e64 s1, |v0|, |v1|
                                        ; implicit-def: $vgpr2_vgpr3
	s_and_saveexec_b32 s4, s1
	s_delay_alu instid0(SALU_CYCLE_1)
	s_xor_b32 s1, exec_lo, s4
	s_cbranch_execz .LBB95_167
; %bb.166:
	v_div_scale_f32 v2, null, v1, v1, v0
	v_div_scale_f32 v5, vcc_lo, v0, v1, v0
	s_delay_alu instid0(VALU_DEP_2) | instskip(SKIP_1) | instid1(TRANS32_DEP_1)
	v_rcp_f32_e32 v3, v2
	v_nop
	v_fma_f32 v4, -v2, v3, 1.0
	s_delay_alu instid0(VALU_DEP_1) | instskip(NEXT) | instid1(VALU_DEP_1)
	v_fmac_f32_e32 v3, v4, v3
	v_mul_f32_e32 v4, v5, v3
	s_delay_alu instid0(VALU_DEP_1) | instskip(NEXT) | instid1(VALU_DEP_1)
	v_fma_f32 v6, -v2, v4, v5
	v_fmac_f32_e32 v4, v6, v3
	s_delay_alu instid0(VALU_DEP_1) | instskip(NEXT) | instid1(VALU_DEP_1)
	v_fma_f32 v2, -v2, v4, v5
	v_div_fmas_f32 v2, v2, v3, v4
	s_delay_alu instid0(VALU_DEP_1) | instskip(NEXT) | instid1(VALU_DEP_1)
	v_div_fixup_f32 v2, v2, v1, v0
	v_fmac_f32_e32 v1, v0, v2
	s_delay_alu instid0(VALU_DEP_1) | instskip(SKIP_1) | instid1(VALU_DEP_2)
	v_div_scale_f32 v0, null, v1, v1, 1.0
	v_div_scale_f32 v5, vcc_lo, 1.0, v1, 1.0
	v_rcp_f32_e32 v3, v0
	v_nop
	s_delay_alu instid0(TRANS32_DEP_1) | instskip(NEXT) | instid1(VALU_DEP_1)
	v_fma_f32 v4, -v0, v3, 1.0
	v_fmac_f32_e32 v3, v4, v3
	s_delay_alu instid0(VALU_DEP_1) | instskip(NEXT) | instid1(VALU_DEP_1)
	v_mul_f32_e32 v4, v5, v3
	v_fma_f32 v6, -v0, v4, v5
	s_delay_alu instid0(VALU_DEP_1) | instskip(NEXT) | instid1(VALU_DEP_1)
	v_fmac_f32_e32 v4, v6, v3
	v_fma_f32 v0, -v0, v4, v5
	s_delay_alu instid0(VALU_DEP_1) | instskip(NEXT) | instid1(VALU_DEP_1)
	v_div_fmas_f32 v0, v0, v3, v4
	v_div_fixup_f32 v0, v0, v1, 1.0
	s_delay_alu instid0(VALU_DEP_1)
	v_mul_f32_e32 v2, v2, v0
	v_xor_b32_e32 v3, 0x80000000, v0
                                        ; implicit-def: $vgpr0_vgpr1
.LBB95_167:
	s_and_not1_saveexec_b32 s1, s1
	s_cbranch_execz .LBB95_169
; %bb.168:
	v_div_scale_f32 v2, null, v0, v0, v1
	v_div_scale_f32 v5, vcc_lo, v1, v0, v1
	s_delay_alu instid0(VALU_DEP_2) | instskip(SKIP_1) | instid1(TRANS32_DEP_1)
	v_rcp_f32_e32 v3, v2
	v_nop
	v_fma_f32 v4, -v2, v3, 1.0
	s_delay_alu instid0(VALU_DEP_1) | instskip(NEXT) | instid1(VALU_DEP_1)
	v_fmac_f32_e32 v3, v4, v3
	v_mul_f32_e32 v4, v5, v3
	s_delay_alu instid0(VALU_DEP_1) | instskip(NEXT) | instid1(VALU_DEP_1)
	v_fma_f32 v6, -v2, v4, v5
	v_fmac_f32_e32 v4, v6, v3
	s_delay_alu instid0(VALU_DEP_1) | instskip(NEXT) | instid1(VALU_DEP_1)
	v_fma_f32 v2, -v2, v4, v5
	v_div_fmas_f32 v2, v2, v3, v4
	s_delay_alu instid0(VALU_DEP_1) | instskip(NEXT) | instid1(VALU_DEP_1)
	v_div_fixup_f32 v3, v2, v0, v1
	v_fmac_f32_e32 v0, v1, v3
	s_delay_alu instid0(VALU_DEP_1) | instskip(NEXT) | instid1(VALU_DEP_1)
	v_div_scale_f32 v1, null, v0, v0, 1.0
	v_rcp_f32_e32 v2, v1
	v_nop
	s_delay_alu instid0(TRANS32_DEP_1) | instskip(NEXT) | instid1(VALU_DEP_1)
	v_fma_f32 v4, -v1, v2, 1.0
	v_fmac_f32_e32 v2, v4, v2
	v_div_scale_f32 v4, vcc_lo, 1.0, v0, 1.0
	s_delay_alu instid0(VALU_DEP_1) | instskip(NEXT) | instid1(VALU_DEP_1)
	v_mul_f32_e32 v5, v4, v2
	v_fma_f32 v6, -v1, v5, v4
	s_delay_alu instid0(VALU_DEP_1) | instskip(NEXT) | instid1(VALU_DEP_1)
	v_fmac_f32_e32 v5, v6, v2
	v_fma_f32 v1, -v1, v5, v4
	s_delay_alu instid0(VALU_DEP_1) | instskip(NEXT) | instid1(VALU_DEP_1)
	v_div_fmas_f32 v1, v1, v2, v5
	v_div_fixup_f32 v2, v1, v0, 1.0
	s_delay_alu instid0(VALU_DEP_1)
	v_mul_f32_e64 v3, v3, -v2
.LBB95_169:
	s_or_b32 exec_lo, exec_lo, s1
	ds_store_b64 v55, v[2:3]
.LBB95_170:
	s_or_b32 exec_lo, exec_lo, s2
	s_wait_dscnt 0x0
	s_barrier_signal -1
	s_barrier_wait -1
	ds_load_b64 v[230:231], v55
	s_mov_b32 s1, exec_lo
	v_cmpx_lt_u32_e32 18, v54
	s_cbranch_execz .LBB95_172
; %bb.171:
	ds_load_2addr_b64 v[4:7], v56 offset0:19 offset1:20
	s_wait_dscnt 0x1
	v_pk_mul_f32 v[2:3], v[230:231], v[72:73] op_sel:[1,1] op_sel_hi:[0,1]
	s_delay_alu instid0(VALU_DEP_1) | instskip(SKIP_1) | instid1(VALU_DEP_1)
	v_pk_fma_f32 v[0:1], v[230:231], v[72:73], v[2:3] op_sel_hi:[1,0,1] neg_lo:[0,0,1] neg_hi:[0,0,1]
	v_pk_fma_f32 v[2:3], v[230:231], v[72:73], v[2:3] op_sel_hi:[1,0,1]
	v_dual_mov_b32 v72, v0 :: v_dual_mov_b32 v73, v3
	s_wait_dscnt 0x0
	s_delay_alu instid0(VALU_DEP_2) | instskip(NEXT) | instid1(VALU_DEP_1)
	v_pk_mul_f32 v[8:9], v[4:5], v[2:3] op_sel:[0,1]
	v_pk_fma_f32 v[10:11], v[4:5], v[0:1], v[8:9] op_sel:[0,0,1] op_sel_hi:[1,1,0] neg_lo:[0,0,1] neg_hi:[0,0,1]
	v_pk_fma_f32 v[4:5], v[4:5], v[0:1], v[8:9] op_sel:[0,0,1] op_sel_hi:[1,0,0]
	s_delay_alu instid0(VALU_DEP_1) | instskip(SKIP_1) | instid1(VALU_DEP_1)
	v_mov_b32_e32 v11, v5
	v_pk_mul_f32 v[4:5], v[6:7], v[2:3] op_sel:[0,1]
	v_pk_fma_f32 v[8:9], v[6:7], v[0:1], v[4:5] op_sel:[0,0,1] op_sel_hi:[1,1,0] neg_lo:[0,0,1] neg_hi:[0,0,1]
	v_pk_fma_f32 v[4:5], v[6:7], v[0:1], v[4:5] op_sel:[0,0,1] op_sel_hi:[1,0,0]
	s_delay_alu instid0(VALU_DEP_1)
	v_mov_b32_e32 v9, v5
	ds_load_2addr_b64 v[4:7], v56 offset0:21 offset1:22
	v_pk_add_f32 v[68:69], v[68:69], v[10:11] neg_lo:[0,1] neg_hi:[0,1]
	v_pk_add_f32 v[96:97], v[96:97], v[8:9] neg_lo:[0,1] neg_hi:[0,1]
	s_wait_dscnt 0x0
	v_pk_mul_f32 v[8:9], v[4:5], v[2:3] op_sel:[0,1]
	s_delay_alu instid0(VALU_DEP_1) | instskip(SKIP_2) | instid1(VALU_DEP_2)
	v_pk_fma_f32 v[10:11], v[4:5], v[0:1], v[8:9] op_sel:[0,0,1] op_sel_hi:[1,1,0] neg_lo:[0,0,1] neg_hi:[0,0,1]
	v_pk_fma_f32 v[4:5], v[4:5], v[0:1], v[8:9] op_sel:[0,0,1] op_sel_hi:[1,0,0]
	v_dual_mul_f32 v8, v7, v3 :: v_dual_mov_b32 v4, v7
	v_dual_mov_b32 v11, v5 :: v_dual_mov_b32 v5, v6
	s_delay_alu instid0(VALU_DEP_2) | instskip(SKIP_1) | instid1(VALU_DEP_3)
	v_pk_fma_f32 v[8:9], v[6:7], v[72:73], v[8:9] op_sel_hi:[1,1,0] neg_lo:[0,0,1] neg_hi:[0,0,1]
	v_mul_f32_e32 v6, v7, v0
	v_pk_add_f32 v[92:93], v[92:93], v[10:11] neg_lo:[0,1] neg_hi:[0,1]
	s_delay_alu instid0(VALU_DEP_2) | instskip(NEXT) | instid1(VALU_DEP_1)
	v_pk_fma_f32 v[4:5], v[4:5], v[72:73], v[6:7] op_sel_hi:[1,1,0]
	v_mov_b32_e32 v9, v5
	ds_load_2addr_b64 v[4:7], v56 offset0:23 offset1:24
	v_pk_add_f32 v[94:95], v[94:95], v[8:9] neg_lo:[0,1] neg_hi:[0,1]
	s_wait_dscnt 0x0
	v_pk_mul_f32 v[8:9], v[4:5], v[2:3] op_sel:[0,1]
	s_delay_alu instid0(VALU_DEP_1) | instskip(SKIP_1) | instid1(VALU_DEP_1)
	v_pk_fma_f32 v[10:11], v[4:5], v[0:1], v[8:9] op_sel:[0,0,1] op_sel_hi:[1,1,0] neg_lo:[0,0,1] neg_hi:[0,0,1]
	v_pk_fma_f32 v[4:5], v[4:5], v[0:1], v[8:9] op_sel:[0,0,1] op_sel_hi:[1,0,0]
	v_mov_b32_e32 v11, v5
	v_pk_mul_f32 v[4:5], v[6:7], v[2:3] op_sel:[0,1]
	s_delay_alu instid0(VALU_DEP_1) | instskip(SKIP_1) | instid1(VALU_DEP_1)
	v_pk_fma_f32 v[8:9], v[6:7], v[0:1], v[4:5] op_sel:[0,0,1] op_sel_hi:[1,1,0] neg_lo:[0,0,1] neg_hi:[0,0,1]
	v_pk_fma_f32 v[4:5], v[6:7], v[0:1], v[4:5] op_sel:[0,0,1] op_sel_hi:[1,0,0]
	v_mov_b32_e32 v9, v5
	ds_load_2addr_b64 v[4:7], v56 offset0:25 offset1:26
	v_pk_add_f32 v[90:91], v[90:91], v[10:11] neg_lo:[0,1] neg_hi:[0,1]
	v_pk_add_f32 v[112:113], v[112:113], v[8:9] neg_lo:[0,1] neg_hi:[0,1]
	s_wait_dscnt 0x0
	v_pk_mul_f32 v[8:9], v[4:5], v[2:3] op_sel:[0,1]
	s_delay_alu instid0(VALU_DEP_1) | instskip(SKIP_1) | instid1(VALU_DEP_1)
	v_pk_fma_f32 v[10:11], v[4:5], v[0:1], v[8:9] op_sel:[0,0,1] op_sel_hi:[1,1,0] neg_lo:[0,0,1] neg_hi:[0,0,1]
	v_pk_fma_f32 v[4:5], v[4:5], v[0:1], v[8:9] op_sel:[0,0,1] op_sel_hi:[1,0,0]
	v_mov_b32_e32 v11, v5
	v_pk_mul_f32 v[4:5], v[6:7], v[2:3] op_sel:[0,1]
	s_delay_alu instid0(VALU_DEP_1) | instskip(SKIP_1) | instid1(VALU_DEP_1)
	v_pk_fma_f32 v[8:9], v[6:7], v[0:1], v[4:5] op_sel:[0,0,1] op_sel_hi:[1,1,0] neg_lo:[0,0,1] neg_hi:[0,0,1]
	v_pk_fma_f32 v[4:5], v[6:7], v[0:1], v[4:5] op_sel:[0,0,1] op_sel_hi:[1,0,0]
	v_mov_b32_e32 v9, v5
	ds_load_2addr_b64 v[4:7], v56 offset0:27 offset1:28
	v_pk_add_f32 v[108:109], v[108:109], v[10:11] neg_lo:[0,1] neg_hi:[0,1]
	v_pk_add_f32 v[110:111], v[110:111], v[8:9] neg_lo:[0,1] neg_hi:[0,1]
	s_wait_dscnt 0x0
	v_dual_mul_f32 v8, v5, v3 :: v_dual_mul_f32 v10, v5, v0
	s_delay_alu instid0(VALU_DEP_1) | instskip(NEXT) | instid1(VALU_DEP_2)
	v_pk_fma_f32 v[8:9], v[4:5], v[72:73], v[8:9] op_sel_hi:[1,1,0] neg_lo:[0,0,1] neg_hi:[0,0,1]
	v_pk_fma_f32 v[4:5], v[4:5], v[72:73], v[10:11] op_sel:[1,0,0] op_sel_hi:[0,1,0]
	s_delay_alu instid0(VALU_DEP_1) | instskip(SKIP_1) | instid1(VALU_DEP_2)
	v_mov_b32_e32 v9, v5
	v_pk_mul_f32 v[4:5], v[6:7], v[2:3] op_sel:[0,1]
	v_pk_add_f32 v[106:107], v[106:107], v[8:9] neg_lo:[0,1] neg_hi:[0,1]
	s_delay_alu instid0(VALU_DEP_2) | instskip(SKIP_1) | instid1(VALU_DEP_1)
	v_pk_fma_f32 v[8:9], v[6:7], v[0:1], v[4:5] op_sel:[0,0,1] op_sel_hi:[1,1,0] neg_lo:[0,0,1] neg_hi:[0,0,1]
	v_pk_fma_f32 v[4:5], v[6:7], v[0:1], v[4:5] op_sel:[0,0,1] op_sel_hi:[1,0,0]
	v_mov_b32_e32 v9, v5
	ds_load_2addr_b64 v[4:7], v56 offset0:29 offset1:30
	v_pk_add_f32 v[128:129], v[128:129], v[8:9] neg_lo:[0,1] neg_hi:[0,1]
	s_wait_dscnt 0x0
	v_pk_mul_f32 v[8:9], v[4:5], v[2:3] op_sel:[0,1]
	s_delay_alu instid0(VALU_DEP_1) | instskip(SKIP_1) | instid1(VALU_DEP_1)
	v_pk_fma_f32 v[10:11], v[4:5], v[0:1], v[8:9] op_sel:[0,0,1] op_sel_hi:[1,1,0] neg_lo:[0,0,1] neg_hi:[0,0,1]
	v_pk_fma_f32 v[4:5], v[4:5], v[0:1], v[8:9] op_sel:[0,0,1] op_sel_hi:[1,0,0]
	v_mov_b32_e32 v11, v5
	v_pk_mul_f32 v[4:5], v[6:7], v[2:3] op_sel:[0,1]
	s_delay_alu instid0(VALU_DEP_2) | instskip(NEXT) | instid1(VALU_DEP_2)
	v_pk_add_f32 v[124:125], v[124:125], v[10:11] neg_lo:[0,1] neg_hi:[0,1]
	v_pk_fma_f32 v[8:9], v[6:7], v[0:1], v[4:5] op_sel:[0,0,1] op_sel_hi:[1,1,0] neg_lo:[0,0,1] neg_hi:[0,0,1]
	v_pk_fma_f32 v[4:5], v[6:7], v[0:1], v[4:5] op_sel:[0,0,1] op_sel_hi:[1,0,0]
	s_delay_alu instid0(VALU_DEP_1) | instskip(SKIP_4) | instid1(VALU_DEP_1)
	v_mov_b32_e32 v9, v5
	ds_load_2addr_b64 v[4:7], v56 offset0:31 offset1:32
	v_pk_add_f32 v[126:127], v[126:127], v[8:9] neg_lo:[0,1] neg_hi:[0,1]
	s_wait_dscnt 0x0
	v_pk_mul_f32 v[8:9], v[4:5], v[2:3] op_sel:[0,1]
	v_pk_fma_f32 v[10:11], v[4:5], v[0:1], v[8:9] op_sel:[0,0,1] op_sel_hi:[1,1,0] neg_lo:[0,0,1] neg_hi:[0,0,1]
	v_pk_fma_f32 v[4:5], v[4:5], v[0:1], v[8:9] op_sel:[0,0,1] op_sel_hi:[1,0,0]
	v_dual_mul_f32 v8, v7, v3 :: v_dual_mov_b32 v4, v7
	s_delay_alu instid0(VALU_DEP_2) | instskip(NEXT) | instid1(VALU_DEP_2)
	v_dual_mov_b32 v11, v5 :: v_dual_mov_b32 v5, v6
	v_pk_fma_f32 v[8:9], v[6:7], v[72:73], v[8:9] op_sel_hi:[1,1,0] neg_lo:[0,0,1] neg_hi:[0,0,1]
	v_mul_f32_e32 v6, v7, v0
	s_delay_alu instid0(VALU_DEP_3) | instskip(NEXT) | instid1(VALU_DEP_2)
	v_pk_add_f32 v[122:123], v[122:123], v[10:11] neg_lo:[0,1] neg_hi:[0,1]
	v_pk_fma_f32 v[4:5], v[4:5], v[72:73], v[6:7] op_sel_hi:[1,1,0]
	s_delay_alu instid0(VALU_DEP_1) | instskip(SKIP_4) | instid1(VALU_DEP_1)
	v_mov_b32_e32 v9, v5
	ds_load_2addr_b64 v[4:7], v56 offset0:33 offset1:34
	v_pk_add_f32 v[144:145], v[144:145], v[8:9] neg_lo:[0,1] neg_hi:[0,1]
	s_wait_dscnt 0x0
	v_pk_mul_f32 v[8:9], v[4:5], v[2:3] op_sel:[0,1]
	v_pk_fma_f32 v[10:11], v[4:5], v[0:1], v[8:9] op_sel:[0,0,1] op_sel_hi:[1,1,0] neg_lo:[0,0,1] neg_hi:[0,0,1]
	v_pk_fma_f32 v[4:5], v[4:5], v[0:1], v[8:9] op_sel:[0,0,1] op_sel_hi:[1,0,0]
	s_delay_alu instid0(VALU_DEP_1) | instskip(SKIP_1) | instid1(VALU_DEP_1)
	v_mov_b32_e32 v11, v5
	v_pk_mul_f32 v[4:5], v[6:7], v[2:3] op_sel:[0,1]
	v_pk_fma_f32 v[8:9], v[6:7], v[0:1], v[4:5] op_sel:[0,0,1] op_sel_hi:[1,1,0] neg_lo:[0,0,1] neg_hi:[0,0,1]
	v_pk_fma_f32 v[4:5], v[6:7], v[0:1], v[4:5] op_sel:[0,0,1] op_sel_hi:[1,0,0]
	s_delay_alu instid0(VALU_DEP_1)
	v_mov_b32_e32 v9, v5
	ds_load_2addr_b64 v[4:7], v56 offset0:35 offset1:36
	v_pk_add_f32 v[140:141], v[140:141], v[10:11] neg_lo:[0,1] neg_hi:[0,1]
	v_pk_add_f32 v[142:143], v[142:143], v[8:9] neg_lo:[0,1] neg_hi:[0,1]
	s_wait_dscnt 0x0
	v_pk_mul_f32 v[8:9], v[4:5], v[2:3] op_sel:[0,1]
	s_delay_alu instid0(VALU_DEP_1) | instskip(SKIP_1) | instid1(VALU_DEP_1)
	v_pk_fma_f32 v[10:11], v[4:5], v[0:1], v[8:9] op_sel:[0,0,1] op_sel_hi:[1,1,0] neg_lo:[0,0,1] neg_hi:[0,0,1]
	v_pk_fma_f32 v[4:5], v[4:5], v[0:1], v[8:9] op_sel:[0,0,1] op_sel_hi:[1,0,0]
	v_mov_b32_e32 v11, v5
	v_pk_mul_f32 v[4:5], v[6:7], v[2:3] op_sel:[0,1]
	s_delay_alu instid0(VALU_DEP_1) | instskip(SKIP_1) | instid1(VALU_DEP_1)
	v_pk_fma_f32 v[8:9], v[6:7], v[0:1], v[4:5] op_sel:[0,0,1] op_sel_hi:[1,1,0] neg_lo:[0,0,1] neg_hi:[0,0,1]
	v_pk_fma_f32 v[4:5], v[6:7], v[0:1], v[4:5] op_sel:[0,0,1] op_sel_hi:[1,0,0]
	v_mov_b32_e32 v9, v5
	ds_load_2addr_b64 v[4:7], v56 offset0:37 offset1:38
	v_pk_add_f32 v[138:139], v[138:139], v[10:11] neg_lo:[0,1] neg_hi:[0,1]
	v_pk_add_f32 v[164:165], v[164:165], v[8:9] neg_lo:[0,1] neg_hi:[0,1]
	s_wait_dscnt 0x0
	v_dual_mul_f32 v8, v5, v3 :: v_dual_mul_f32 v10, v5, v0
	s_delay_alu instid0(VALU_DEP_1) | instskip(NEXT) | instid1(VALU_DEP_2)
	v_pk_fma_f32 v[8:9], v[4:5], v[72:73], v[8:9] op_sel_hi:[1,1,0] neg_lo:[0,0,1] neg_hi:[0,0,1]
	v_pk_fma_f32 v[4:5], v[4:5], v[72:73], v[10:11] op_sel:[1,0,0] op_sel_hi:[0,1,0]
	s_delay_alu instid0(VALU_DEP_1) | instskip(SKIP_1) | instid1(VALU_DEP_2)
	v_mov_b32_e32 v9, v5
	v_pk_mul_f32 v[4:5], v[6:7], v[2:3] op_sel:[0,1]
	v_pk_add_f32 v[160:161], v[160:161], v[8:9] neg_lo:[0,1] neg_hi:[0,1]
	s_delay_alu instid0(VALU_DEP_2) | instskip(SKIP_1) | instid1(VALU_DEP_1)
	v_pk_fma_f32 v[8:9], v[6:7], v[0:1], v[4:5] op_sel:[0,0,1] op_sel_hi:[1,1,0] neg_lo:[0,0,1] neg_hi:[0,0,1]
	v_pk_fma_f32 v[4:5], v[6:7], v[0:1], v[4:5] op_sel:[0,0,1] op_sel_hi:[1,0,0]
	v_mov_b32_e32 v9, v5
	ds_load_2addr_b64 v[4:7], v56 offset0:39 offset1:40
	v_pk_add_f32 v[162:163], v[162:163], v[8:9] neg_lo:[0,1] neg_hi:[0,1]
	s_wait_dscnt 0x0
	v_pk_mul_f32 v[8:9], v[4:5], v[2:3] op_sel:[0,1]
	s_delay_alu instid0(VALU_DEP_1) | instskip(SKIP_1) | instid1(VALU_DEP_1)
	v_pk_fma_f32 v[10:11], v[4:5], v[0:1], v[8:9] op_sel:[0,0,1] op_sel_hi:[1,1,0] neg_lo:[0,0,1] neg_hi:[0,0,1]
	v_pk_fma_f32 v[4:5], v[4:5], v[0:1], v[8:9] op_sel:[0,0,1] op_sel_hi:[1,0,0]
	v_mov_b32_e32 v11, v5
	v_pk_mul_f32 v[4:5], v[6:7], v[2:3] op_sel:[0,1]
	s_delay_alu instid0(VALU_DEP_2) | instskip(NEXT) | instid1(VALU_DEP_2)
	v_pk_add_f32 v[158:159], v[158:159], v[10:11] neg_lo:[0,1] neg_hi:[0,1]
	v_pk_fma_f32 v[8:9], v[6:7], v[0:1], v[4:5] op_sel:[0,0,1] op_sel_hi:[1,1,0] neg_lo:[0,0,1] neg_hi:[0,0,1]
	v_pk_fma_f32 v[4:5], v[6:7], v[0:1], v[4:5] op_sel:[0,0,1] op_sel_hi:[1,0,0]
	s_delay_alu instid0(VALU_DEP_1) | instskip(SKIP_4) | instid1(VALU_DEP_1)
	v_mov_b32_e32 v9, v5
	ds_load_2addr_b64 v[4:7], v56 offset0:41 offset1:42
	v_pk_add_f32 v[188:189], v[188:189], v[8:9] neg_lo:[0,1] neg_hi:[0,1]
	s_wait_dscnt 0x0
	v_pk_mul_f32 v[8:9], v[4:5], v[2:3] op_sel:[0,1]
	v_pk_fma_f32 v[10:11], v[4:5], v[0:1], v[8:9] op_sel:[0,0,1] op_sel_hi:[1,1,0] neg_lo:[0,0,1] neg_hi:[0,0,1]
	v_pk_fma_f32 v[4:5], v[4:5], v[0:1], v[8:9] op_sel:[0,0,1] op_sel_hi:[1,0,0]
	v_dual_mul_f32 v8, v7, v3 :: v_dual_mov_b32 v4, v7
	s_delay_alu instid0(VALU_DEP_2) | instskip(NEXT) | instid1(VALU_DEP_2)
	v_dual_mov_b32 v11, v5 :: v_dual_mov_b32 v5, v6
	v_pk_fma_f32 v[8:9], v[6:7], v[72:73], v[8:9] op_sel_hi:[1,1,0] neg_lo:[0,0,1] neg_hi:[0,0,1]
	v_mul_f32_e32 v6, v7, v0
	s_delay_alu instid0(VALU_DEP_3) | instskip(NEXT) | instid1(VALU_DEP_2)
	v_pk_add_f32 v[182:183], v[182:183], v[10:11] neg_lo:[0,1] neg_hi:[0,1]
	v_pk_fma_f32 v[4:5], v[4:5], v[72:73], v[6:7] op_sel_hi:[1,1,0]
	s_delay_alu instid0(VALU_DEP_1) | instskip(SKIP_4) | instid1(VALU_DEP_1)
	v_mov_b32_e32 v9, v5
	ds_load_2addr_b64 v[4:7], v56 offset0:43 offset1:44
	v_pk_add_f32 v[186:187], v[186:187], v[8:9] neg_lo:[0,1] neg_hi:[0,1]
	s_wait_dscnt 0x0
	v_pk_mul_f32 v[8:9], v[4:5], v[2:3] op_sel:[0,1]
	v_pk_fma_f32 v[10:11], v[4:5], v[0:1], v[8:9] op_sel:[0,0,1] op_sel_hi:[1,1,0] neg_lo:[0,0,1] neg_hi:[0,0,1]
	v_pk_fma_f32 v[4:5], v[4:5], v[0:1], v[8:9] op_sel:[0,0,1] op_sel_hi:[1,0,0]
	s_delay_alu instid0(VALU_DEP_1) | instskip(SKIP_1) | instid1(VALU_DEP_1)
	v_mov_b32_e32 v11, v5
	v_pk_mul_f32 v[4:5], v[6:7], v[2:3] op_sel:[0,1]
	v_pk_fma_f32 v[8:9], v[6:7], v[0:1], v[4:5] op_sel:[0,0,1] op_sel_hi:[1,1,0] neg_lo:[0,0,1] neg_hi:[0,0,1]
	v_pk_fma_f32 v[4:5], v[6:7], v[0:1], v[4:5] op_sel:[0,0,1] op_sel_hi:[1,0,0]
	s_delay_alu instid0(VALU_DEP_1)
	v_mov_b32_e32 v9, v5
	ds_load_2addr_b64 v[4:7], v56 offset0:45 offset1:46
	v_pk_add_f32 v[180:181], v[180:181], v[10:11] neg_lo:[0,1] neg_hi:[0,1]
	v_pk_add_f32 v[184:185], v[184:185], v[8:9] neg_lo:[0,1] neg_hi:[0,1]
	s_wait_dscnt 0x0
	v_pk_mul_f32 v[8:9], v[4:5], v[2:3] op_sel:[0,1]
	s_delay_alu instid0(VALU_DEP_1) | instskip(SKIP_1) | instid1(VALU_DEP_1)
	v_pk_fma_f32 v[10:11], v[4:5], v[0:1], v[8:9] op_sel:[0,0,1] op_sel_hi:[1,1,0] neg_lo:[0,0,1] neg_hi:[0,0,1]
	v_pk_fma_f32 v[4:5], v[4:5], v[0:1], v[8:9] op_sel:[0,0,1] op_sel_hi:[1,0,0]
	v_mov_b32_e32 v11, v5
	v_pk_mul_f32 v[4:5], v[6:7], v[2:3] op_sel:[0,1]
	s_delay_alu instid0(VALU_DEP_1) | instskip(SKIP_1) | instid1(VALU_DEP_1)
	v_pk_fma_f32 v[8:9], v[6:7], v[0:1], v[4:5] op_sel:[0,0,1] op_sel_hi:[1,1,0] neg_lo:[0,0,1] neg_hi:[0,0,1]
	v_pk_fma_f32 v[4:5], v[6:7], v[0:1], v[4:5] op_sel:[0,0,1] op_sel_hi:[1,0,0]
	v_mov_b32_e32 v9, v5
	ds_load_b64 v[4:5], v56 offset:376
	v_pk_add_f32 v[178:179], v[178:179], v[10:11] neg_lo:[0,1] neg_hi:[0,1]
	v_pk_add_f32 v[190:191], v[190:191], v[8:9] neg_lo:[0,1] neg_hi:[0,1]
	s_wait_dscnt 0x0
	v_pk_mul_f32 v[2:3], v[4:5], v[2:3] op_sel:[0,1]
	s_delay_alu instid0(VALU_DEP_1) | instskip(SKIP_1) | instid1(VALU_DEP_1)
	v_pk_fma_f32 v[6:7], v[4:5], v[0:1], v[2:3] op_sel:[0,0,1] op_sel_hi:[1,1,0] neg_lo:[0,0,1] neg_hi:[0,0,1]
	v_pk_fma_f32 v[0:1], v[4:5], v[0:1], v[2:3] op_sel:[0,0,1] op_sel_hi:[1,0,0]
	v_mov_b32_e32 v7, v1
	s_delay_alu instid0(VALU_DEP_1)
	v_pk_add_f32 v[192:193], v[192:193], v[6:7] neg_lo:[0,1] neg_hi:[0,1]
.LBB95_172:
	s_or_b32 exec_lo, exec_lo, s1
	s_delay_alu instid0(SALU_CYCLE_1)
	s_mov_b32 s2, exec_lo
	s_wait_dscnt 0x0
	s_barrier_signal -1
	s_barrier_wait -1
	v_cmpx_eq_u32_e32 19, v54
	s_cbranch_execz .LBB95_179
; %bb.173:
	v_dual_mov_b32 v0, v96 :: v_dual_mov_b32 v1, v97
	v_dual_mov_b32 v2, v92 :: v_dual_mov_b32 v3, v93
	ds_store_b64 v55, v[68:69]
	ds_store_2addr_b64 v56, v[0:1], v[2:3] offset0:20 offset1:21
	v_dual_mov_b32 v0, v94 :: v_dual_mov_b32 v1, v95
	v_dual_mov_b32 v2, v90 :: v_dual_mov_b32 v3, v91
	ds_store_2addr_b64 v56, v[0:1], v[2:3] offset0:22 offset1:23
	v_dual_mov_b32 v0, v112 :: v_dual_mov_b32 v1, v113
	v_dual_mov_b32 v2, v108 :: v_dual_mov_b32 v3, v109
	;; [unrolled: 3-line block ×12, first 2 shown]
	ds_store_2addr_b64 v56, v[0:1], v[2:3] offset0:44 offset1:45
	v_dual_mov_b32 v0, v190 :: v_dual_mov_b32 v1, v191
	ds_store_2addr_b64 v56, v[0:1], v[192:193] offset0:46 offset1:47
	ds_load_b64 v[0:1], v55
	s_wait_dscnt 0x0
	v_cmp_neq_f32_e32 vcc_lo, 0, v0
	v_cmp_neq_f32_e64 s1, 0, v1
	s_or_b32 s1, vcc_lo, s1
	s_delay_alu instid0(SALU_CYCLE_1)
	s_and_b32 exec_lo, exec_lo, s1
	s_cbranch_execz .LBB95_179
; %bb.174:
	v_cmp_ngt_f32_e64 s1, |v0|, |v1|
                                        ; implicit-def: $vgpr2_vgpr3
	s_and_saveexec_b32 s4, s1
	s_delay_alu instid0(SALU_CYCLE_1)
	s_xor_b32 s1, exec_lo, s4
	s_cbranch_execz .LBB95_176
; %bb.175:
	v_div_scale_f32 v2, null, v1, v1, v0
	v_div_scale_f32 v5, vcc_lo, v0, v1, v0
	s_delay_alu instid0(VALU_DEP_2) | instskip(SKIP_1) | instid1(TRANS32_DEP_1)
	v_rcp_f32_e32 v3, v2
	v_nop
	v_fma_f32 v4, -v2, v3, 1.0
	s_delay_alu instid0(VALU_DEP_1) | instskip(NEXT) | instid1(VALU_DEP_1)
	v_fmac_f32_e32 v3, v4, v3
	v_mul_f32_e32 v4, v5, v3
	s_delay_alu instid0(VALU_DEP_1) | instskip(NEXT) | instid1(VALU_DEP_1)
	v_fma_f32 v6, -v2, v4, v5
	v_fmac_f32_e32 v4, v6, v3
	s_delay_alu instid0(VALU_DEP_1) | instskip(NEXT) | instid1(VALU_DEP_1)
	v_fma_f32 v2, -v2, v4, v5
	v_div_fmas_f32 v2, v2, v3, v4
	s_delay_alu instid0(VALU_DEP_1) | instskip(NEXT) | instid1(VALU_DEP_1)
	v_div_fixup_f32 v2, v2, v1, v0
	v_fmac_f32_e32 v1, v0, v2
	s_delay_alu instid0(VALU_DEP_1) | instskip(SKIP_1) | instid1(VALU_DEP_2)
	v_div_scale_f32 v0, null, v1, v1, 1.0
	v_div_scale_f32 v5, vcc_lo, 1.0, v1, 1.0
	v_rcp_f32_e32 v3, v0
	v_nop
	s_delay_alu instid0(TRANS32_DEP_1) | instskip(NEXT) | instid1(VALU_DEP_1)
	v_fma_f32 v4, -v0, v3, 1.0
	v_fmac_f32_e32 v3, v4, v3
	s_delay_alu instid0(VALU_DEP_1) | instskip(NEXT) | instid1(VALU_DEP_1)
	v_mul_f32_e32 v4, v5, v3
	v_fma_f32 v6, -v0, v4, v5
	s_delay_alu instid0(VALU_DEP_1) | instskip(NEXT) | instid1(VALU_DEP_1)
	v_fmac_f32_e32 v4, v6, v3
	v_fma_f32 v0, -v0, v4, v5
	s_delay_alu instid0(VALU_DEP_1) | instskip(NEXT) | instid1(VALU_DEP_1)
	v_div_fmas_f32 v0, v0, v3, v4
	v_div_fixup_f32 v0, v0, v1, 1.0
	s_delay_alu instid0(VALU_DEP_1)
	v_mul_f32_e32 v2, v2, v0
	v_xor_b32_e32 v3, 0x80000000, v0
                                        ; implicit-def: $vgpr0_vgpr1
.LBB95_176:
	s_and_not1_saveexec_b32 s1, s1
	s_cbranch_execz .LBB95_178
; %bb.177:
	v_div_scale_f32 v2, null, v0, v0, v1
	v_div_scale_f32 v5, vcc_lo, v1, v0, v1
	s_delay_alu instid0(VALU_DEP_2) | instskip(SKIP_1) | instid1(TRANS32_DEP_1)
	v_rcp_f32_e32 v3, v2
	v_nop
	v_fma_f32 v4, -v2, v3, 1.0
	s_delay_alu instid0(VALU_DEP_1) | instskip(NEXT) | instid1(VALU_DEP_1)
	v_fmac_f32_e32 v3, v4, v3
	v_mul_f32_e32 v4, v5, v3
	s_delay_alu instid0(VALU_DEP_1) | instskip(NEXT) | instid1(VALU_DEP_1)
	v_fma_f32 v6, -v2, v4, v5
	v_fmac_f32_e32 v4, v6, v3
	s_delay_alu instid0(VALU_DEP_1) | instskip(NEXT) | instid1(VALU_DEP_1)
	v_fma_f32 v2, -v2, v4, v5
	v_div_fmas_f32 v2, v2, v3, v4
	s_delay_alu instid0(VALU_DEP_1) | instskip(NEXT) | instid1(VALU_DEP_1)
	v_div_fixup_f32 v3, v2, v0, v1
	v_fmac_f32_e32 v0, v1, v3
	s_delay_alu instid0(VALU_DEP_1) | instskip(NEXT) | instid1(VALU_DEP_1)
	v_div_scale_f32 v1, null, v0, v0, 1.0
	v_rcp_f32_e32 v2, v1
	v_nop
	s_delay_alu instid0(TRANS32_DEP_1) | instskip(NEXT) | instid1(VALU_DEP_1)
	v_fma_f32 v4, -v1, v2, 1.0
	v_fmac_f32_e32 v2, v4, v2
	v_div_scale_f32 v4, vcc_lo, 1.0, v0, 1.0
	s_delay_alu instid0(VALU_DEP_1) | instskip(NEXT) | instid1(VALU_DEP_1)
	v_mul_f32_e32 v5, v4, v2
	v_fma_f32 v6, -v1, v5, v4
	s_delay_alu instid0(VALU_DEP_1) | instskip(NEXT) | instid1(VALU_DEP_1)
	v_fmac_f32_e32 v5, v6, v2
	v_fma_f32 v1, -v1, v5, v4
	s_delay_alu instid0(VALU_DEP_1) | instskip(NEXT) | instid1(VALU_DEP_1)
	v_div_fmas_f32 v1, v1, v2, v5
	v_div_fixup_f32 v2, v1, v0, 1.0
	s_delay_alu instid0(VALU_DEP_1)
	v_mul_f32_e64 v3, v3, -v2
.LBB95_178:
	s_or_b32 exec_lo, exec_lo, s1
	ds_store_b64 v55, v[2:3]
.LBB95_179:
	s_or_b32 exec_lo, exec_lo, s2
	s_wait_dscnt 0x0
	s_barrier_signal -1
	s_barrier_wait -1
	ds_load_b64 v[232:233], v55
	s_mov_b32 s1, exec_lo
	v_cmpx_lt_u32_e32 19, v54
	s_cbranch_execz .LBB95_181
; %bb.180:
	ds_load_2addr_b64 v[4:7], v56 offset0:20 offset1:21
	s_wait_dscnt 0x1
	v_pk_mul_f32 v[2:3], v[232:233], v[68:69] op_sel:[1,1] op_sel_hi:[0,1]
	s_delay_alu instid0(VALU_DEP_1) | instskip(SKIP_1) | instid1(VALU_DEP_1)
	v_pk_fma_f32 v[0:1], v[232:233], v[68:69], v[2:3] op_sel_hi:[1,0,1] neg_lo:[0,0,1] neg_hi:[0,0,1]
	v_pk_fma_f32 v[2:3], v[232:233], v[68:69], v[2:3] op_sel_hi:[1,0,1]
	v_dual_mov_b32 v68, v0 :: v_dual_mov_b32 v69, v3
	s_wait_dscnt 0x0
	s_delay_alu instid0(VALU_DEP_2) | instskip(NEXT) | instid1(VALU_DEP_1)
	v_pk_mul_f32 v[8:9], v[4:5], v[2:3] op_sel:[0,1]
	v_pk_fma_f32 v[10:11], v[4:5], v[0:1], v[8:9] op_sel:[0,0,1] op_sel_hi:[1,1,0] neg_lo:[0,0,1] neg_hi:[0,0,1]
	v_pk_fma_f32 v[4:5], v[4:5], v[0:1], v[8:9] op_sel:[0,0,1] op_sel_hi:[1,0,0]
	s_delay_alu instid0(VALU_DEP_1) | instskip(SKIP_1) | instid1(VALU_DEP_1)
	v_mov_b32_e32 v11, v5
	v_pk_mul_f32 v[4:5], v[6:7], v[2:3] op_sel:[0,1]
	v_pk_fma_f32 v[8:9], v[6:7], v[0:1], v[4:5] op_sel:[0,0,1] op_sel_hi:[1,1,0] neg_lo:[0,0,1] neg_hi:[0,0,1]
	v_pk_fma_f32 v[4:5], v[6:7], v[0:1], v[4:5] op_sel:[0,0,1] op_sel_hi:[1,0,0]
	s_delay_alu instid0(VALU_DEP_1)
	v_mov_b32_e32 v9, v5
	ds_load_2addr_b64 v[4:7], v56 offset0:22 offset1:23
	v_pk_add_f32 v[96:97], v[96:97], v[10:11] neg_lo:[0,1] neg_hi:[0,1]
	v_pk_add_f32 v[92:93], v[92:93], v[8:9] neg_lo:[0,1] neg_hi:[0,1]
	s_wait_dscnt 0x0
	v_pk_mul_f32 v[8:9], v[4:5], v[2:3] op_sel:[0,1]
	s_delay_alu instid0(VALU_DEP_1) | instskip(SKIP_2) | instid1(VALU_DEP_2)
	v_pk_fma_f32 v[10:11], v[4:5], v[0:1], v[8:9] op_sel:[0,0,1] op_sel_hi:[1,1,0] neg_lo:[0,0,1] neg_hi:[0,0,1]
	v_pk_fma_f32 v[4:5], v[4:5], v[0:1], v[8:9] op_sel:[0,0,1] op_sel_hi:[1,0,0]
	v_dual_mul_f32 v8, v7, v3 :: v_dual_mov_b32 v4, v7
	v_dual_mov_b32 v11, v5 :: v_dual_mov_b32 v5, v6
	s_delay_alu instid0(VALU_DEP_2) | instskip(SKIP_1) | instid1(VALU_DEP_3)
	v_pk_fma_f32 v[8:9], v[6:7], v[68:69], v[8:9] op_sel_hi:[1,1,0] neg_lo:[0,0,1] neg_hi:[0,0,1]
	v_mul_f32_e32 v6, v7, v0
	v_pk_add_f32 v[94:95], v[94:95], v[10:11] neg_lo:[0,1] neg_hi:[0,1]
	s_delay_alu instid0(VALU_DEP_2) | instskip(NEXT) | instid1(VALU_DEP_1)
	v_pk_fma_f32 v[4:5], v[4:5], v[68:69], v[6:7] op_sel_hi:[1,1,0]
	v_mov_b32_e32 v9, v5
	ds_load_2addr_b64 v[4:7], v56 offset0:24 offset1:25
	v_pk_add_f32 v[90:91], v[90:91], v[8:9] neg_lo:[0,1] neg_hi:[0,1]
	s_wait_dscnt 0x0
	v_pk_mul_f32 v[8:9], v[4:5], v[2:3] op_sel:[0,1]
	s_delay_alu instid0(VALU_DEP_1) | instskip(SKIP_1) | instid1(VALU_DEP_1)
	v_pk_fma_f32 v[10:11], v[4:5], v[0:1], v[8:9] op_sel:[0,0,1] op_sel_hi:[1,1,0] neg_lo:[0,0,1] neg_hi:[0,0,1]
	v_pk_fma_f32 v[4:5], v[4:5], v[0:1], v[8:9] op_sel:[0,0,1] op_sel_hi:[1,0,0]
	v_mov_b32_e32 v11, v5
	v_pk_mul_f32 v[4:5], v[6:7], v[2:3] op_sel:[0,1]
	s_delay_alu instid0(VALU_DEP_1) | instskip(SKIP_1) | instid1(VALU_DEP_1)
	v_pk_fma_f32 v[8:9], v[6:7], v[0:1], v[4:5] op_sel:[0,0,1] op_sel_hi:[1,1,0] neg_lo:[0,0,1] neg_hi:[0,0,1]
	v_pk_fma_f32 v[4:5], v[6:7], v[0:1], v[4:5] op_sel:[0,0,1] op_sel_hi:[1,0,0]
	v_mov_b32_e32 v9, v5
	ds_load_2addr_b64 v[4:7], v56 offset0:26 offset1:27
	v_pk_add_f32 v[112:113], v[112:113], v[10:11] neg_lo:[0,1] neg_hi:[0,1]
	v_pk_add_f32 v[108:109], v[108:109], v[8:9] neg_lo:[0,1] neg_hi:[0,1]
	s_wait_dscnt 0x0
	v_pk_mul_f32 v[8:9], v[4:5], v[2:3] op_sel:[0,1]
	s_delay_alu instid0(VALU_DEP_1) | instskip(SKIP_1) | instid1(VALU_DEP_1)
	v_pk_fma_f32 v[10:11], v[4:5], v[0:1], v[8:9] op_sel:[0,0,1] op_sel_hi:[1,1,0] neg_lo:[0,0,1] neg_hi:[0,0,1]
	v_pk_fma_f32 v[4:5], v[4:5], v[0:1], v[8:9] op_sel:[0,0,1] op_sel_hi:[1,0,0]
	v_mov_b32_e32 v11, v5
	v_pk_mul_f32 v[4:5], v[6:7], v[2:3] op_sel:[0,1]
	s_delay_alu instid0(VALU_DEP_1) | instskip(SKIP_1) | instid1(VALU_DEP_1)
	v_pk_fma_f32 v[8:9], v[6:7], v[0:1], v[4:5] op_sel:[0,0,1] op_sel_hi:[1,1,0] neg_lo:[0,0,1] neg_hi:[0,0,1]
	v_pk_fma_f32 v[4:5], v[6:7], v[0:1], v[4:5] op_sel:[0,0,1] op_sel_hi:[1,0,0]
	v_mov_b32_e32 v9, v5
	ds_load_2addr_b64 v[4:7], v56 offset0:28 offset1:29
	v_pk_add_f32 v[110:111], v[110:111], v[10:11] neg_lo:[0,1] neg_hi:[0,1]
	v_pk_add_f32 v[106:107], v[106:107], v[8:9] neg_lo:[0,1] neg_hi:[0,1]
	s_wait_dscnt 0x0
	v_dual_mul_f32 v8, v5, v3 :: v_dual_mul_f32 v10, v5, v0
	s_delay_alu instid0(VALU_DEP_1) | instskip(NEXT) | instid1(VALU_DEP_2)
	v_pk_fma_f32 v[8:9], v[4:5], v[68:69], v[8:9] op_sel_hi:[1,1,0] neg_lo:[0,0,1] neg_hi:[0,0,1]
	v_pk_fma_f32 v[4:5], v[4:5], v[68:69], v[10:11] op_sel:[1,0,0] op_sel_hi:[0,1,0]
	s_delay_alu instid0(VALU_DEP_1) | instskip(SKIP_1) | instid1(VALU_DEP_2)
	v_mov_b32_e32 v9, v5
	v_pk_mul_f32 v[4:5], v[6:7], v[2:3] op_sel:[0,1]
	v_pk_add_f32 v[128:129], v[128:129], v[8:9] neg_lo:[0,1] neg_hi:[0,1]
	s_delay_alu instid0(VALU_DEP_2) | instskip(SKIP_1) | instid1(VALU_DEP_1)
	v_pk_fma_f32 v[8:9], v[6:7], v[0:1], v[4:5] op_sel:[0,0,1] op_sel_hi:[1,1,0] neg_lo:[0,0,1] neg_hi:[0,0,1]
	v_pk_fma_f32 v[4:5], v[6:7], v[0:1], v[4:5] op_sel:[0,0,1] op_sel_hi:[1,0,0]
	v_mov_b32_e32 v9, v5
	ds_load_2addr_b64 v[4:7], v56 offset0:30 offset1:31
	v_pk_add_f32 v[124:125], v[124:125], v[8:9] neg_lo:[0,1] neg_hi:[0,1]
	s_wait_dscnt 0x0
	v_pk_mul_f32 v[8:9], v[4:5], v[2:3] op_sel:[0,1]
	s_delay_alu instid0(VALU_DEP_1) | instskip(SKIP_1) | instid1(VALU_DEP_1)
	v_pk_fma_f32 v[10:11], v[4:5], v[0:1], v[8:9] op_sel:[0,0,1] op_sel_hi:[1,1,0] neg_lo:[0,0,1] neg_hi:[0,0,1]
	v_pk_fma_f32 v[4:5], v[4:5], v[0:1], v[8:9] op_sel:[0,0,1] op_sel_hi:[1,0,0]
	v_mov_b32_e32 v11, v5
	v_pk_mul_f32 v[4:5], v[6:7], v[2:3] op_sel:[0,1]
	s_delay_alu instid0(VALU_DEP_2) | instskip(NEXT) | instid1(VALU_DEP_2)
	v_pk_add_f32 v[126:127], v[126:127], v[10:11] neg_lo:[0,1] neg_hi:[0,1]
	v_pk_fma_f32 v[8:9], v[6:7], v[0:1], v[4:5] op_sel:[0,0,1] op_sel_hi:[1,1,0] neg_lo:[0,0,1] neg_hi:[0,0,1]
	v_pk_fma_f32 v[4:5], v[6:7], v[0:1], v[4:5] op_sel:[0,0,1] op_sel_hi:[1,0,0]
	s_delay_alu instid0(VALU_DEP_1) | instskip(SKIP_4) | instid1(VALU_DEP_1)
	v_mov_b32_e32 v9, v5
	ds_load_2addr_b64 v[4:7], v56 offset0:32 offset1:33
	v_pk_add_f32 v[122:123], v[122:123], v[8:9] neg_lo:[0,1] neg_hi:[0,1]
	s_wait_dscnt 0x0
	v_pk_mul_f32 v[8:9], v[4:5], v[2:3] op_sel:[0,1]
	v_pk_fma_f32 v[10:11], v[4:5], v[0:1], v[8:9] op_sel:[0,0,1] op_sel_hi:[1,1,0] neg_lo:[0,0,1] neg_hi:[0,0,1]
	v_pk_fma_f32 v[4:5], v[4:5], v[0:1], v[8:9] op_sel:[0,0,1] op_sel_hi:[1,0,0]
	v_dual_mul_f32 v8, v7, v3 :: v_dual_mov_b32 v4, v7
	s_delay_alu instid0(VALU_DEP_2) | instskip(NEXT) | instid1(VALU_DEP_2)
	v_dual_mov_b32 v11, v5 :: v_dual_mov_b32 v5, v6
	v_pk_fma_f32 v[8:9], v[6:7], v[68:69], v[8:9] op_sel_hi:[1,1,0] neg_lo:[0,0,1] neg_hi:[0,0,1]
	v_mul_f32_e32 v6, v7, v0
	s_delay_alu instid0(VALU_DEP_3) | instskip(NEXT) | instid1(VALU_DEP_2)
	v_pk_add_f32 v[144:145], v[144:145], v[10:11] neg_lo:[0,1] neg_hi:[0,1]
	v_pk_fma_f32 v[4:5], v[4:5], v[68:69], v[6:7] op_sel_hi:[1,1,0]
	s_delay_alu instid0(VALU_DEP_1) | instskip(SKIP_4) | instid1(VALU_DEP_1)
	v_mov_b32_e32 v9, v5
	ds_load_2addr_b64 v[4:7], v56 offset0:34 offset1:35
	v_pk_add_f32 v[140:141], v[140:141], v[8:9] neg_lo:[0,1] neg_hi:[0,1]
	s_wait_dscnt 0x0
	v_pk_mul_f32 v[8:9], v[4:5], v[2:3] op_sel:[0,1]
	v_pk_fma_f32 v[10:11], v[4:5], v[0:1], v[8:9] op_sel:[0,0,1] op_sel_hi:[1,1,0] neg_lo:[0,0,1] neg_hi:[0,0,1]
	v_pk_fma_f32 v[4:5], v[4:5], v[0:1], v[8:9] op_sel:[0,0,1] op_sel_hi:[1,0,0]
	s_delay_alu instid0(VALU_DEP_1) | instskip(SKIP_1) | instid1(VALU_DEP_1)
	v_mov_b32_e32 v11, v5
	v_pk_mul_f32 v[4:5], v[6:7], v[2:3] op_sel:[0,1]
	v_pk_fma_f32 v[8:9], v[6:7], v[0:1], v[4:5] op_sel:[0,0,1] op_sel_hi:[1,1,0] neg_lo:[0,0,1] neg_hi:[0,0,1]
	v_pk_fma_f32 v[4:5], v[6:7], v[0:1], v[4:5] op_sel:[0,0,1] op_sel_hi:[1,0,0]
	s_delay_alu instid0(VALU_DEP_1)
	v_mov_b32_e32 v9, v5
	ds_load_2addr_b64 v[4:7], v56 offset0:36 offset1:37
	v_pk_add_f32 v[142:143], v[142:143], v[10:11] neg_lo:[0,1] neg_hi:[0,1]
	v_pk_add_f32 v[138:139], v[138:139], v[8:9] neg_lo:[0,1] neg_hi:[0,1]
	s_wait_dscnt 0x0
	v_pk_mul_f32 v[8:9], v[4:5], v[2:3] op_sel:[0,1]
	s_delay_alu instid0(VALU_DEP_1) | instskip(SKIP_1) | instid1(VALU_DEP_1)
	v_pk_fma_f32 v[10:11], v[4:5], v[0:1], v[8:9] op_sel:[0,0,1] op_sel_hi:[1,1,0] neg_lo:[0,0,1] neg_hi:[0,0,1]
	v_pk_fma_f32 v[4:5], v[4:5], v[0:1], v[8:9] op_sel:[0,0,1] op_sel_hi:[1,0,0]
	v_mov_b32_e32 v11, v5
	v_pk_mul_f32 v[4:5], v[6:7], v[2:3] op_sel:[0,1]
	s_delay_alu instid0(VALU_DEP_1) | instskip(SKIP_1) | instid1(VALU_DEP_1)
	v_pk_fma_f32 v[8:9], v[6:7], v[0:1], v[4:5] op_sel:[0,0,1] op_sel_hi:[1,1,0] neg_lo:[0,0,1] neg_hi:[0,0,1]
	v_pk_fma_f32 v[4:5], v[6:7], v[0:1], v[4:5] op_sel:[0,0,1] op_sel_hi:[1,0,0]
	v_mov_b32_e32 v9, v5
	ds_load_2addr_b64 v[4:7], v56 offset0:38 offset1:39
	v_pk_add_f32 v[164:165], v[164:165], v[10:11] neg_lo:[0,1] neg_hi:[0,1]
	v_pk_add_f32 v[160:161], v[160:161], v[8:9] neg_lo:[0,1] neg_hi:[0,1]
	s_wait_dscnt 0x0
	v_dual_mul_f32 v8, v5, v3 :: v_dual_mul_f32 v10, v5, v0
	s_delay_alu instid0(VALU_DEP_1) | instskip(NEXT) | instid1(VALU_DEP_2)
	v_pk_fma_f32 v[8:9], v[4:5], v[68:69], v[8:9] op_sel_hi:[1,1,0] neg_lo:[0,0,1] neg_hi:[0,0,1]
	v_pk_fma_f32 v[4:5], v[4:5], v[68:69], v[10:11] op_sel:[1,0,0] op_sel_hi:[0,1,0]
	s_delay_alu instid0(VALU_DEP_1) | instskip(SKIP_1) | instid1(VALU_DEP_2)
	v_mov_b32_e32 v9, v5
	v_pk_mul_f32 v[4:5], v[6:7], v[2:3] op_sel:[0,1]
	v_pk_add_f32 v[162:163], v[162:163], v[8:9] neg_lo:[0,1] neg_hi:[0,1]
	s_delay_alu instid0(VALU_DEP_2) | instskip(SKIP_1) | instid1(VALU_DEP_1)
	v_pk_fma_f32 v[8:9], v[6:7], v[0:1], v[4:5] op_sel:[0,0,1] op_sel_hi:[1,1,0] neg_lo:[0,0,1] neg_hi:[0,0,1]
	v_pk_fma_f32 v[4:5], v[6:7], v[0:1], v[4:5] op_sel:[0,0,1] op_sel_hi:[1,0,0]
	v_mov_b32_e32 v9, v5
	ds_load_2addr_b64 v[4:7], v56 offset0:40 offset1:41
	v_pk_add_f32 v[158:159], v[158:159], v[8:9] neg_lo:[0,1] neg_hi:[0,1]
	s_wait_dscnt 0x0
	v_pk_mul_f32 v[8:9], v[4:5], v[2:3] op_sel:[0,1]
	s_delay_alu instid0(VALU_DEP_1) | instskip(SKIP_1) | instid1(VALU_DEP_1)
	v_pk_fma_f32 v[10:11], v[4:5], v[0:1], v[8:9] op_sel:[0,0,1] op_sel_hi:[1,1,0] neg_lo:[0,0,1] neg_hi:[0,0,1]
	v_pk_fma_f32 v[4:5], v[4:5], v[0:1], v[8:9] op_sel:[0,0,1] op_sel_hi:[1,0,0]
	v_mov_b32_e32 v11, v5
	v_pk_mul_f32 v[4:5], v[6:7], v[2:3] op_sel:[0,1]
	s_delay_alu instid0(VALU_DEP_2) | instskip(NEXT) | instid1(VALU_DEP_2)
	v_pk_add_f32 v[188:189], v[188:189], v[10:11] neg_lo:[0,1] neg_hi:[0,1]
	v_pk_fma_f32 v[8:9], v[6:7], v[0:1], v[4:5] op_sel:[0,0,1] op_sel_hi:[1,1,0] neg_lo:[0,0,1] neg_hi:[0,0,1]
	v_pk_fma_f32 v[4:5], v[6:7], v[0:1], v[4:5] op_sel:[0,0,1] op_sel_hi:[1,0,0]
	s_delay_alu instid0(VALU_DEP_1) | instskip(SKIP_4) | instid1(VALU_DEP_1)
	v_mov_b32_e32 v9, v5
	ds_load_2addr_b64 v[4:7], v56 offset0:42 offset1:43
	v_pk_add_f32 v[182:183], v[182:183], v[8:9] neg_lo:[0,1] neg_hi:[0,1]
	s_wait_dscnt 0x0
	v_pk_mul_f32 v[8:9], v[4:5], v[2:3] op_sel:[0,1]
	v_pk_fma_f32 v[10:11], v[4:5], v[0:1], v[8:9] op_sel:[0,0,1] op_sel_hi:[1,1,0] neg_lo:[0,0,1] neg_hi:[0,0,1]
	v_pk_fma_f32 v[4:5], v[4:5], v[0:1], v[8:9] op_sel:[0,0,1] op_sel_hi:[1,0,0]
	v_dual_mul_f32 v8, v7, v3 :: v_dual_mov_b32 v4, v7
	s_delay_alu instid0(VALU_DEP_2) | instskip(NEXT) | instid1(VALU_DEP_2)
	v_dual_mov_b32 v11, v5 :: v_dual_mov_b32 v5, v6
	v_pk_fma_f32 v[8:9], v[6:7], v[68:69], v[8:9] op_sel_hi:[1,1,0] neg_lo:[0,0,1] neg_hi:[0,0,1]
	v_mul_f32_e32 v6, v7, v0
	s_delay_alu instid0(VALU_DEP_3) | instskip(NEXT) | instid1(VALU_DEP_2)
	v_pk_add_f32 v[186:187], v[186:187], v[10:11] neg_lo:[0,1] neg_hi:[0,1]
	v_pk_fma_f32 v[4:5], v[4:5], v[68:69], v[6:7] op_sel_hi:[1,1,0]
	s_delay_alu instid0(VALU_DEP_1) | instskip(SKIP_4) | instid1(VALU_DEP_1)
	v_mov_b32_e32 v9, v5
	ds_load_2addr_b64 v[4:7], v56 offset0:44 offset1:45
	v_pk_add_f32 v[180:181], v[180:181], v[8:9] neg_lo:[0,1] neg_hi:[0,1]
	s_wait_dscnt 0x0
	v_pk_mul_f32 v[8:9], v[4:5], v[2:3] op_sel:[0,1]
	v_pk_fma_f32 v[10:11], v[4:5], v[0:1], v[8:9] op_sel:[0,0,1] op_sel_hi:[1,1,0] neg_lo:[0,0,1] neg_hi:[0,0,1]
	v_pk_fma_f32 v[4:5], v[4:5], v[0:1], v[8:9] op_sel:[0,0,1] op_sel_hi:[1,0,0]
	s_delay_alu instid0(VALU_DEP_1) | instskip(SKIP_1) | instid1(VALU_DEP_1)
	v_mov_b32_e32 v11, v5
	v_pk_mul_f32 v[4:5], v[6:7], v[2:3] op_sel:[0,1]
	v_pk_fma_f32 v[8:9], v[6:7], v[0:1], v[4:5] op_sel:[0,0,1] op_sel_hi:[1,1,0] neg_lo:[0,0,1] neg_hi:[0,0,1]
	v_pk_fma_f32 v[4:5], v[6:7], v[0:1], v[4:5] op_sel:[0,0,1] op_sel_hi:[1,0,0]
	s_delay_alu instid0(VALU_DEP_1)
	v_mov_b32_e32 v9, v5
	ds_load_2addr_b64 v[4:7], v56 offset0:46 offset1:47
	v_pk_add_f32 v[184:185], v[184:185], v[10:11] neg_lo:[0,1] neg_hi:[0,1]
	v_pk_add_f32 v[178:179], v[178:179], v[8:9] neg_lo:[0,1] neg_hi:[0,1]
	s_wait_dscnt 0x0
	v_pk_mul_f32 v[8:9], v[4:5], v[2:3] op_sel:[0,1]
	v_pk_mul_f32 v[2:3], v[6:7], v[2:3] op_sel:[0,1]
	s_delay_alu instid0(VALU_DEP_2) | instskip(SKIP_1) | instid1(VALU_DEP_1)
	v_pk_fma_f32 v[10:11], v[4:5], v[0:1], v[8:9] op_sel:[0,0,1] op_sel_hi:[1,1,0] neg_lo:[0,0,1] neg_hi:[0,0,1]
	v_pk_fma_f32 v[4:5], v[4:5], v[0:1], v[8:9] op_sel:[0,0,1] op_sel_hi:[1,0,0]
	v_mov_b32_e32 v11, v5
	s_delay_alu instid0(VALU_DEP_4) | instskip(SKIP_1) | instid1(VALU_DEP_1)
	v_pk_fma_f32 v[4:5], v[6:7], v[0:1], v[2:3] op_sel:[0,0,1] op_sel_hi:[1,1,0] neg_lo:[0,0,1] neg_hi:[0,0,1]
	v_pk_fma_f32 v[0:1], v[6:7], v[0:1], v[2:3] op_sel:[0,0,1] op_sel_hi:[1,0,0]
	v_mov_b32_e32 v5, v1
	s_delay_alu instid0(VALU_DEP_4) | instskip(NEXT) | instid1(VALU_DEP_2)
	v_pk_add_f32 v[190:191], v[190:191], v[10:11] neg_lo:[0,1] neg_hi:[0,1]
	v_pk_add_f32 v[192:193], v[192:193], v[4:5] neg_lo:[0,1] neg_hi:[0,1]
.LBB95_181:
	s_or_b32 exec_lo, exec_lo, s1
	s_delay_alu instid0(SALU_CYCLE_1)
	s_mov_b32 s2, exec_lo
	s_wait_dscnt 0x0
	s_barrier_signal -1
	s_barrier_wait -1
	v_cmpx_eq_u32_e32 20, v54
	s_cbranch_execz .LBB95_188
; %bb.182:
	ds_store_b64 v55, v[96:97]
	ds_store_2addr_b64 v56, v[92:93], v[94:95] offset0:21 offset1:22
	ds_store_2addr_b64 v56, v[90:91], v[112:113] offset0:23 offset1:24
	;; [unrolled: 1-line block ×13, first 2 shown]
	ds_store_b64 v56, v[192:193] offset:376
	ds_load_b64 v[0:1], v55
	s_wait_dscnt 0x0
	v_cmp_neq_f32_e32 vcc_lo, 0, v0
	v_cmp_neq_f32_e64 s1, 0, v1
	s_or_b32 s1, vcc_lo, s1
	s_delay_alu instid0(SALU_CYCLE_1)
	s_and_b32 exec_lo, exec_lo, s1
	s_cbranch_execz .LBB95_188
; %bb.183:
	v_cmp_ngt_f32_e64 s1, |v0|, |v1|
                                        ; implicit-def: $vgpr2_vgpr3
	s_and_saveexec_b32 s4, s1
	s_delay_alu instid0(SALU_CYCLE_1)
	s_xor_b32 s1, exec_lo, s4
	s_cbranch_execz .LBB95_185
; %bb.184:
	v_div_scale_f32 v2, null, v1, v1, v0
	v_div_scale_f32 v5, vcc_lo, v0, v1, v0
	s_delay_alu instid0(VALU_DEP_2) | instskip(SKIP_1) | instid1(TRANS32_DEP_1)
	v_rcp_f32_e32 v3, v2
	v_nop
	v_fma_f32 v4, -v2, v3, 1.0
	s_delay_alu instid0(VALU_DEP_1) | instskip(NEXT) | instid1(VALU_DEP_1)
	v_fmac_f32_e32 v3, v4, v3
	v_mul_f32_e32 v4, v5, v3
	s_delay_alu instid0(VALU_DEP_1) | instskip(NEXT) | instid1(VALU_DEP_1)
	v_fma_f32 v6, -v2, v4, v5
	v_fmac_f32_e32 v4, v6, v3
	s_delay_alu instid0(VALU_DEP_1) | instskip(NEXT) | instid1(VALU_DEP_1)
	v_fma_f32 v2, -v2, v4, v5
	v_div_fmas_f32 v2, v2, v3, v4
	s_delay_alu instid0(VALU_DEP_1) | instskip(NEXT) | instid1(VALU_DEP_1)
	v_div_fixup_f32 v2, v2, v1, v0
	v_fmac_f32_e32 v1, v0, v2
	s_delay_alu instid0(VALU_DEP_1) | instskip(SKIP_1) | instid1(VALU_DEP_2)
	v_div_scale_f32 v0, null, v1, v1, 1.0
	v_div_scale_f32 v5, vcc_lo, 1.0, v1, 1.0
	v_rcp_f32_e32 v3, v0
	v_nop
	s_delay_alu instid0(TRANS32_DEP_1) | instskip(NEXT) | instid1(VALU_DEP_1)
	v_fma_f32 v4, -v0, v3, 1.0
	v_fmac_f32_e32 v3, v4, v3
	s_delay_alu instid0(VALU_DEP_1) | instskip(NEXT) | instid1(VALU_DEP_1)
	v_mul_f32_e32 v4, v5, v3
	v_fma_f32 v6, -v0, v4, v5
	s_delay_alu instid0(VALU_DEP_1) | instskip(NEXT) | instid1(VALU_DEP_1)
	v_fmac_f32_e32 v4, v6, v3
	v_fma_f32 v0, -v0, v4, v5
	s_delay_alu instid0(VALU_DEP_1) | instskip(NEXT) | instid1(VALU_DEP_1)
	v_div_fmas_f32 v0, v0, v3, v4
	v_div_fixup_f32 v0, v0, v1, 1.0
	s_delay_alu instid0(VALU_DEP_1)
	v_mul_f32_e32 v2, v2, v0
	v_xor_b32_e32 v3, 0x80000000, v0
                                        ; implicit-def: $vgpr0_vgpr1
.LBB95_185:
	s_and_not1_saveexec_b32 s1, s1
	s_cbranch_execz .LBB95_187
; %bb.186:
	v_div_scale_f32 v2, null, v0, v0, v1
	v_div_scale_f32 v5, vcc_lo, v1, v0, v1
	s_delay_alu instid0(VALU_DEP_2) | instskip(SKIP_1) | instid1(TRANS32_DEP_1)
	v_rcp_f32_e32 v3, v2
	v_nop
	v_fma_f32 v4, -v2, v3, 1.0
	s_delay_alu instid0(VALU_DEP_1) | instskip(NEXT) | instid1(VALU_DEP_1)
	v_fmac_f32_e32 v3, v4, v3
	v_mul_f32_e32 v4, v5, v3
	s_delay_alu instid0(VALU_DEP_1) | instskip(NEXT) | instid1(VALU_DEP_1)
	v_fma_f32 v6, -v2, v4, v5
	v_fmac_f32_e32 v4, v6, v3
	s_delay_alu instid0(VALU_DEP_1) | instskip(NEXT) | instid1(VALU_DEP_1)
	v_fma_f32 v2, -v2, v4, v5
	v_div_fmas_f32 v2, v2, v3, v4
	s_delay_alu instid0(VALU_DEP_1) | instskip(NEXT) | instid1(VALU_DEP_1)
	v_div_fixup_f32 v3, v2, v0, v1
	v_fmac_f32_e32 v0, v1, v3
	s_delay_alu instid0(VALU_DEP_1) | instskip(NEXT) | instid1(VALU_DEP_1)
	v_div_scale_f32 v1, null, v0, v0, 1.0
	v_rcp_f32_e32 v2, v1
	v_nop
	s_delay_alu instid0(TRANS32_DEP_1) | instskip(NEXT) | instid1(VALU_DEP_1)
	v_fma_f32 v4, -v1, v2, 1.0
	v_fmac_f32_e32 v2, v4, v2
	v_div_scale_f32 v4, vcc_lo, 1.0, v0, 1.0
	s_delay_alu instid0(VALU_DEP_1) | instskip(NEXT) | instid1(VALU_DEP_1)
	v_mul_f32_e32 v5, v4, v2
	v_fma_f32 v6, -v1, v5, v4
	s_delay_alu instid0(VALU_DEP_1) | instskip(NEXT) | instid1(VALU_DEP_1)
	v_fmac_f32_e32 v5, v6, v2
	v_fma_f32 v1, -v1, v5, v4
	s_delay_alu instid0(VALU_DEP_1) | instskip(NEXT) | instid1(VALU_DEP_1)
	v_div_fmas_f32 v1, v1, v2, v5
	v_div_fixup_f32 v2, v1, v0, 1.0
	s_delay_alu instid0(VALU_DEP_1)
	v_mul_f32_e64 v3, v3, -v2
.LBB95_187:
	s_or_b32 exec_lo, exec_lo, s1
	ds_store_b64 v55, v[2:3]
.LBB95_188:
	s_or_b32 exec_lo, exec_lo, s2
	s_wait_dscnt 0x0
	s_barrier_signal -1
	s_barrier_wait -1
	ds_load_b64 v[234:235], v55
	s_mov_b32 s1, exec_lo
	v_cmpx_lt_u32_e32 20, v54
	s_cbranch_execz .LBB95_190
; %bb.189:
	ds_load_2addr_b64 v[4:7], v56 offset0:21 offset1:22
	s_wait_dscnt 0x1
	v_pk_mul_f32 v[2:3], v[234:235], v[96:97] op_sel:[1,1] op_sel_hi:[0,1]
	s_delay_alu instid0(VALU_DEP_1) | instskip(SKIP_1) | instid1(VALU_DEP_1)
	v_pk_fma_f32 v[0:1], v[234:235], v[96:97], v[2:3] op_sel_hi:[1,0,1] neg_lo:[0,0,1] neg_hi:[0,0,1]
	v_pk_fma_f32 v[2:3], v[234:235], v[96:97], v[2:3] op_sel_hi:[1,0,1]
	v_dual_mov_b32 v96, v0 :: v_dual_mov_b32 v97, v3
	s_wait_dscnt 0x0
	s_delay_alu instid0(VALU_DEP_2) | instskip(NEXT) | instid1(VALU_DEP_1)
	v_pk_mul_f32 v[8:9], v[4:5], v[2:3] op_sel:[0,1]
	v_pk_fma_f32 v[10:11], v[4:5], v[0:1], v[8:9] op_sel:[0,0,1] op_sel_hi:[1,1,0] neg_lo:[0,0,1] neg_hi:[0,0,1]
	v_pk_fma_f32 v[4:5], v[4:5], v[0:1], v[8:9] op_sel:[0,0,1] op_sel_hi:[1,0,0]
	s_delay_alu instid0(VALU_DEP_1) | instskip(SKIP_1) | instid1(VALU_DEP_1)
	v_mov_b32_e32 v11, v5
	v_pk_mul_f32 v[4:5], v[6:7], v[2:3] op_sel:[0,1]
	v_pk_fma_f32 v[8:9], v[6:7], v[0:1], v[4:5] op_sel:[0,0,1] op_sel_hi:[1,1,0] neg_lo:[0,0,1] neg_hi:[0,0,1]
	v_pk_fma_f32 v[4:5], v[6:7], v[0:1], v[4:5] op_sel:[0,0,1] op_sel_hi:[1,0,0]
	s_delay_alu instid0(VALU_DEP_1)
	v_mov_b32_e32 v9, v5
	ds_load_2addr_b64 v[4:7], v56 offset0:23 offset1:24
	v_pk_add_f32 v[92:93], v[92:93], v[10:11] neg_lo:[0,1] neg_hi:[0,1]
	v_pk_add_f32 v[94:95], v[94:95], v[8:9] neg_lo:[0,1] neg_hi:[0,1]
	s_wait_dscnt 0x0
	v_pk_mul_f32 v[8:9], v[4:5], v[2:3] op_sel:[0,1]
	s_delay_alu instid0(VALU_DEP_1) | instskip(SKIP_2) | instid1(VALU_DEP_2)
	v_pk_fma_f32 v[10:11], v[4:5], v[0:1], v[8:9] op_sel:[0,0,1] op_sel_hi:[1,1,0] neg_lo:[0,0,1] neg_hi:[0,0,1]
	v_pk_fma_f32 v[4:5], v[4:5], v[0:1], v[8:9] op_sel:[0,0,1] op_sel_hi:[1,0,0]
	v_dual_mul_f32 v8, v7, v3 :: v_dual_mov_b32 v4, v7
	v_dual_mov_b32 v11, v5 :: v_dual_mov_b32 v5, v6
	s_delay_alu instid0(VALU_DEP_2) | instskip(SKIP_1) | instid1(VALU_DEP_3)
	v_pk_fma_f32 v[8:9], v[6:7], v[96:97], v[8:9] op_sel_hi:[1,1,0] neg_lo:[0,0,1] neg_hi:[0,0,1]
	v_mul_f32_e32 v6, v7, v0
	v_pk_add_f32 v[90:91], v[90:91], v[10:11] neg_lo:[0,1] neg_hi:[0,1]
	s_delay_alu instid0(VALU_DEP_2) | instskip(NEXT) | instid1(VALU_DEP_1)
	v_pk_fma_f32 v[4:5], v[4:5], v[96:97], v[6:7] op_sel_hi:[1,1,0]
	v_mov_b32_e32 v9, v5
	ds_load_2addr_b64 v[4:7], v56 offset0:25 offset1:26
	v_pk_add_f32 v[112:113], v[112:113], v[8:9] neg_lo:[0,1] neg_hi:[0,1]
	s_wait_dscnt 0x0
	v_pk_mul_f32 v[8:9], v[4:5], v[2:3] op_sel:[0,1]
	s_delay_alu instid0(VALU_DEP_1) | instskip(SKIP_1) | instid1(VALU_DEP_1)
	v_pk_fma_f32 v[10:11], v[4:5], v[0:1], v[8:9] op_sel:[0,0,1] op_sel_hi:[1,1,0] neg_lo:[0,0,1] neg_hi:[0,0,1]
	v_pk_fma_f32 v[4:5], v[4:5], v[0:1], v[8:9] op_sel:[0,0,1] op_sel_hi:[1,0,0]
	v_mov_b32_e32 v11, v5
	v_pk_mul_f32 v[4:5], v[6:7], v[2:3] op_sel:[0,1]
	s_delay_alu instid0(VALU_DEP_1) | instskip(SKIP_1) | instid1(VALU_DEP_1)
	v_pk_fma_f32 v[8:9], v[6:7], v[0:1], v[4:5] op_sel:[0,0,1] op_sel_hi:[1,1,0] neg_lo:[0,0,1] neg_hi:[0,0,1]
	v_pk_fma_f32 v[4:5], v[6:7], v[0:1], v[4:5] op_sel:[0,0,1] op_sel_hi:[1,0,0]
	v_mov_b32_e32 v9, v5
	ds_load_2addr_b64 v[4:7], v56 offset0:27 offset1:28
	v_pk_add_f32 v[108:109], v[108:109], v[10:11] neg_lo:[0,1] neg_hi:[0,1]
	v_pk_add_f32 v[110:111], v[110:111], v[8:9] neg_lo:[0,1] neg_hi:[0,1]
	s_wait_dscnt 0x0
	v_pk_mul_f32 v[8:9], v[4:5], v[2:3] op_sel:[0,1]
	s_delay_alu instid0(VALU_DEP_1) | instskip(SKIP_1) | instid1(VALU_DEP_1)
	v_pk_fma_f32 v[10:11], v[4:5], v[0:1], v[8:9] op_sel:[0,0,1] op_sel_hi:[1,1,0] neg_lo:[0,0,1] neg_hi:[0,0,1]
	v_pk_fma_f32 v[4:5], v[4:5], v[0:1], v[8:9] op_sel:[0,0,1] op_sel_hi:[1,0,0]
	v_mov_b32_e32 v11, v5
	v_pk_mul_f32 v[4:5], v[6:7], v[2:3] op_sel:[0,1]
	s_delay_alu instid0(VALU_DEP_1) | instskip(SKIP_1) | instid1(VALU_DEP_1)
	v_pk_fma_f32 v[8:9], v[6:7], v[0:1], v[4:5] op_sel:[0,0,1] op_sel_hi:[1,1,0] neg_lo:[0,0,1] neg_hi:[0,0,1]
	v_pk_fma_f32 v[4:5], v[6:7], v[0:1], v[4:5] op_sel:[0,0,1] op_sel_hi:[1,0,0]
	v_mov_b32_e32 v9, v5
	ds_load_2addr_b64 v[4:7], v56 offset0:29 offset1:30
	v_pk_add_f32 v[106:107], v[106:107], v[10:11] neg_lo:[0,1] neg_hi:[0,1]
	v_pk_add_f32 v[128:129], v[128:129], v[8:9] neg_lo:[0,1] neg_hi:[0,1]
	s_wait_dscnt 0x0
	v_dual_mul_f32 v8, v5, v3 :: v_dual_mul_f32 v10, v5, v0
	s_delay_alu instid0(VALU_DEP_1) | instskip(NEXT) | instid1(VALU_DEP_2)
	v_pk_fma_f32 v[8:9], v[4:5], v[96:97], v[8:9] op_sel_hi:[1,1,0] neg_lo:[0,0,1] neg_hi:[0,0,1]
	v_pk_fma_f32 v[4:5], v[4:5], v[96:97], v[10:11] op_sel:[1,0,0] op_sel_hi:[0,1,0]
	s_delay_alu instid0(VALU_DEP_1) | instskip(SKIP_1) | instid1(VALU_DEP_2)
	v_mov_b32_e32 v9, v5
	v_pk_mul_f32 v[4:5], v[6:7], v[2:3] op_sel:[0,1]
	v_pk_add_f32 v[124:125], v[124:125], v[8:9] neg_lo:[0,1] neg_hi:[0,1]
	s_delay_alu instid0(VALU_DEP_2) | instskip(SKIP_1) | instid1(VALU_DEP_1)
	v_pk_fma_f32 v[8:9], v[6:7], v[0:1], v[4:5] op_sel:[0,0,1] op_sel_hi:[1,1,0] neg_lo:[0,0,1] neg_hi:[0,0,1]
	v_pk_fma_f32 v[4:5], v[6:7], v[0:1], v[4:5] op_sel:[0,0,1] op_sel_hi:[1,0,0]
	v_mov_b32_e32 v9, v5
	ds_load_2addr_b64 v[4:7], v56 offset0:31 offset1:32
	v_pk_add_f32 v[126:127], v[126:127], v[8:9] neg_lo:[0,1] neg_hi:[0,1]
	s_wait_dscnt 0x0
	v_pk_mul_f32 v[8:9], v[4:5], v[2:3] op_sel:[0,1]
	s_delay_alu instid0(VALU_DEP_1) | instskip(SKIP_1) | instid1(VALU_DEP_1)
	v_pk_fma_f32 v[10:11], v[4:5], v[0:1], v[8:9] op_sel:[0,0,1] op_sel_hi:[1,1,0] neg_lo:[0,0,1] neg_hi:[0,0,1]
	v_pk_fma_f32 v[4:5], v[4:5], v[0:1], v[8:9] op_sel:[0,0,1] op_sel_hi:[1,0,0]
	v_mov_b32_e32 v11, v5
	v_pk_mul_f32 v[4:5], v[6:7], v[2:3] op_sel:[0,1]
	s_delay_alu instid0(VALU_DEP_2) | instskip(NEXT) | instid1(VALU_DEP_2)
	v_pk_add_f32 v[122:123], v[122:123], v[10:11] neg_lo:[0,1] neg_hi:[0,1]
	v_pk_fma_f32 v[8:9], v[6:7], v[0:1], v[4:5] op_sel:[0,0,1] op_sel_hi:[1,1,0] neg_lo:[0,0,1] neg_hi:[0,0,1]
	v_pk_fma_f32 v[4:5], v[6:7], v[0:1], v[4:5] op_sel:[0,0,1] op_sel_hi:[1,0,0]
	s_delay_alu instid0(VALU_DEP_1) | instskip(SKIP_4) | instid1(VALU_DEP_1)
	v_mov_b32_e32 v9, v5
	ds_load_2addr_b64 v[4:7], v56 offset0:33 offset1:34
	v_pk_add_f32 v[144:145], v[144:145], v[8:9] neg_lo:[0,1] neg_hi:[0,1]
	s_wait_dscnt 0x0
	v_pk_mul_f32 v[8:9], v[4:5], v[2:3] op_sel:[0,1]
	v_pk_fma_f32 v[10:11], v[4:5], v[0:1], v[8:9] op_sel:[0,0,1] op_sel_hi:[1,1,0] neg_lo:[0,0,1] neg_hi:[0,0,1]
	v_pk_fma_f32 v[4:5], v[4:5], v[0:1], v[8:9] op_sel:[0,0,1] op_sel_hi:[1,0,0]
	v_dual_mul_f32 v8, v7, v3 :: v_dual_mov_b32 v4, v7
	s_delay_alu instid0(VALU_DEP_2) | instskip(NEXT) | instid1(VALU_DEP_2)
	v_dual_mov_b32 v11, v5 :: v_dual_mov_b32 v5, v6
	v_pk_fma_f32 v[8:9], v[6:7], v[96:97], v[8:9] op_sel_hi:[1,1,0] neg_lo:[0,0,1] neg_hi:[0,0,1]
	v_mul_f32_e32 v6, v7, v0
	s_delay_alu instid0(VALU_DEP_3) | instskip(NEXT) | instid1(VALU_DEP_2)
	v_pk_add_f32 v[140:141], v[140:141], v[10:11] neg_lo:[0,1] neg_hi:[0,1]
	v_pk_fma_f32 v[4:5], v[4:5], v[96:97], v[6:7] op_sel_hi:[1,1,0]
	s_delay_alu instid0(VALU_DEP_1) | instskip(SKIP_4) | instid1(VALU_DEP_1)
	v_mov_b32_e32 v9, v5
	ds_load_2addr_b64 v[4:7], v56 offset0:35 offset1:36
	v_pk_add_f32 v[142:143], v[142:143], v[8:9] neg_lo:[0,1] neg_hi:[0,1]
	s_wait_dscnt 0x0
	v_pk_mul_f32 v[8:9], v[4:5], v[2:3] op_sel:[0,1]
	v_pk_fma_f32 v[10:11], v[4:5], v[0:1], v[8:9] op_sel:[0,0,1] op_sel_hi:[1,1,0] neg_lo:[0,0,1] neg_hi:[0,0,1]
	v_pk_fma_f32 v[4:5], v[4:5], v[0:1], v[8:9] op_sel:[0,0,1] op_sel_hi:[1,0,0]
	s_delay_alu instid0(VALU_DEP_1) | instskip(SKIP_1) | instid1(VALU_DEP_1)
	v_mov_b32_e32 v11, v5
	v_pk_mul_f32 v[4:5], v[6:7], v[2:3] op_sel:[0,1]
	v_pk_fma_f32 v[8:9], v[6:7], v[0:1], v[4:5] op_sel:[0,0,1] op_sel_hi:[1,1,0] neg_lo:[0,0,1] neg_hi:[0,0,1]
	v_pk_fma_f32 v[4:5], v[6:7], v[0:1], v[4:5] op_sel:[0,0,1] op_sel_hi:[1,0,0]
	s_delay_alu instid0(VALU_DEP_1)
	v_mov_b32_e32 v9, v5
	ds_load_2addr_b64 v[4:7], v56 offset0:37 offset1:38
	v_pk_add_f32 v[138:139], v[138:139], v[10:11] neg_lo:[0,1] neg_hi:[0,1]
	v_pk_add_f32 v[164:165], v[164:165], v[8:9] neg_lo:[0,1] neg_hi:[0,1]
	s_wait_dscnt 0x0
	v_pk_mul_f32 v[8:9], v[4:5], v[2:3] op_sel:[0,1]
	s_delay_alu instid0(VALU_DEP_1) | instskip(SKIP_1) | instid1(VALU_DEP_1)
	v_pk_fma_f32 v[10:11], v[4:5], v[0:1], v[8:9] op_sel:[0,0,1] op_sel_hi:[1,1,0] neg_lo:[0,0,1] neg_hi:[0,0,1]
	v_pk_fma_f32 v[4:5], v[4:5], v[0:1], v[8:9] op_sel:[0,0,1] op_sel_hi:[1,0,0]
	v_mov_b32_e32 v11, v5
	v_pk_mul_f32 v[4:5], v[6:7], v[2:3] op_sel:[0,1]
	s_delay_alu instid0(VALU_DEP_1) | instskip(SKIP_1) | instid1(VALU_DEP_1)
	v_pk_fma_f32 v[8:9], v[6:7], v[0:1], v[4:5] op_sel:[0,0,1] op_sel_hi:[1,1,0] neg_lo:[0,0,1] neg_hi:[0,0,1]
	v_pk_fma_f32 v[4:5], v[6:7], v[0:1], v[4:5] op_sel:[0,0,1] op_sel_hi:[1,0,0]
	v_mov_b32_e32 v9, v5
	ds_load_2addr_b64 v[4:7], v56 offset0:39 offset1:40
	v_pk_add_f32 v[160:161], v[160:161], v[10:11] neg_lo:[0,1] neg_hi:[0,1]
	v_pk_add_f32 v[162:163], v[162:163], v[8:9] neg_lo:[0,1] neg_hi:[0,1]
	s_wait_dscnt 0x0
	v_dual_mul_f32 v8, v5, v3 :: v_dual_mul_f32 v10, v5, v0
	s_delay_alu instid0(VALU_DEP_1) | instskip(NEXT) | instid1(VALU_DEP_2)
	v_pk_fma_f32 v[8:9], v[4:5], v[96:97], v[8:9] op_sel_hi:[1,1,0] neg_lo:[0,0,1] neg_hi:[0,0,1]
	v_pk_fma_f32 v[4:5], v[4:5], v[96:97], v[10:11] op_sel:[1,0,0] op_sel_hi:[0,1,0]
	s_delay_alu instid0(VALU_DEP_1) | instskip(SKIP_1) | instid1(VALU_DEP_2)
	v_mov_b32_e32 v9, v5
	v_pk_mul_f32 v[4:5], v[6:7], v[2:3] op_sel:[0,1]
	v_pk_add_f32 v[158:159], v[158:159], v[8:9] neg_lo:[0,1] neg_hi:[0,1]
	s_delay_alu instid0(VALU_DEP_2) | instskip(SKIP_1) | instid1(VALU_DEP_1)
	v_pk_fma_f32 v[8:9], v[6:7], v[0:1], v[4:5] op_sel:[0,0,1] op_sel_hi:[1,1,0] neg_lo:[0,0,1] neg_hi:[0,0,1]
	v_pk_fma_f32 v[4:5], v[6:7], v[0:1], v[4:5] op_sel:[0,0,1] op_sel_hi:[1,0,0]
	v_mov_b32_e32 v9, v5
	ds_load_2addr_b64 v[4:7], v56 offset0:41 offset1:42
	v_pk_add_f32 v[188:189], v[188:189], v[8:9] neg_lo:[0,1] neg_hi:[0,1]
	s_wait_dscnt 0x0
	v_pk_mul_f32 v[8:9], v[4:5], v[2:3] op_sel:[0,1]
	s_delay_alu instid0(VALU_DEP_1) | instskip(SKIP_1) | instid1(VALU_DEP_1)
	v_pk_fma_f32 v[10:11], v[4:5], v[0:1], v[8:9] op_sel:[0,0,1] op_sel_hi:[1,1,0] neg_lo:[0,0,1] neg_hi:[0,0,1]
	v_pk_fma_f32 v[4:5], v[4:5], v[0:1], v[8:9] op_sel:[0,0,1] op_sel_hi:[1,0,0]
	v_mov_b32_e32 v11, v5
	v_pk_mul_f32 v[4:5], v[6:7], v[2:3] op_sel:[0,1]
	s_delay_alu instid0(VALU_DEP_2) | instskip(NEXT) | instid1(VALU_DEP_2)
	v_pk_add_f32 v[182:183], v[182:183], v[10:11] neg_lo:[0,1] neg_hi:[0,1]
	v_pk_fma_f32 v[8:9], v[6:7], v[0:1], v[4:5] op_sel:[0,0,1] op_sel_hi:[1,1,0] neg_lo:[0,0,1] neg_hi:[0,0,1]
	v_pk_fma_f32 v[4:5], v[6:7], v[0:1], v[4:5] op_sel:[0,0,1] op_sel_hi:[1,0,0]
	s_delay_alu instid0(VALU_DEP_1) | instskip(SKIP_4) | instid1(VALU_DEP_1)
	v_mov_b32_e32 v9, v5
	ds_load_2addr_b64 v[4:7], v56 offset0:43 offset1:44
	v_pk_add_f32 v[186:187], v[186:187], v[8:9] neg_lo:[0,1] neg_hi:[0,1]
	s_wait_dscnt 0x0
	v_pk_mul_f32 v[8:9], v[4:5], v[2:3] op_sel:[0,1]
	v_pk_fma_f32 v[10:11], v[4:5], v[0:1], v[8:9] op_sel:[0,0,1] op_sel_hi:[1,1,0] neg_lo:[0,0,1] neg_hi:[0,0,1]
	v_pk_fma_f32 v[4:5], v[4:5], v[0:1], v[8:9] op_sel:[0,0,1] op_sel_hi:[1,0,0]
	v_dual_mul_f32 v8, v7, v3 :: v_dual_mov_b32 v4, v7
	s_delay_alu instid0(VALU_DEP_2) | instskip(NEXT) | instid1(VALU_DEP_2)
	v_dual_mov_b32 v11, v5 :: v_dual_mov_b32 v5, v6
	v_pk_fma_f32 v[8:9], v[6:7], v[96:97], v[8:9] op_sel_hi:[1,1,0] neg_lo:[0,0,1] neg_hi:[0,0,1]
	v_mul_f32_e32 v6, v7, v0
	s_delay_alu instid0(VALU_DEP_3) | instskip(NEXT) | instid1(VALU_DEP_2)
	v_pk_add_f32 v[180:181], v[180:181], v[10:11] neg_lo:[0,1] neg_hi:[0,1]
	v_pk_fma_f32 v[4:5], v[4:5], v[96:97], v[6:7] op_sel_hi:[1,1,0]
	s_delay_alu instid0(VALU_DEP_1) | instskip(SKIP_4) | instid1(VALU_DEP_1)
	v_mov_b32_e32 v9, v5
	ds_load_2addr_b64 v[4:7], v56 offset0:45 offset1:46
	v_pk_add_f32 v[184:185], v[184:185], v[8:9] neg_lo:[0,1] neg_hi:[0,1]
	s_wait_dscnt 0x0
	v_pk_mul_f32 v[8:9], v[4:5], v[2:3] op_sel:[0,1]
	v_pk_fma_f32 v[10:11], v[4:5], v[0:1], v[8:9] op_sel:[0,0,1] op_sel_hi:[1,1,0] neg_lo:[0,0,1] neg_hi:[0,0,1]
	v_pk_fma_f32 v[4:5], v[4:5], v[0:1], v[8:9] op_sel:[0,0,1] op_sel_hi:[1,0,0]
	s_delay_alu instid0(VALU_DEP_1) | instskip(SKIP_1) | instid1(VALU_DEP_1)
	v_mov_b32_e32 v11, v5
	v_pk_mul_f32 v[4:5], v[6:7], v[2:3] op_sel:[0,1]
	v_pk_fma_f32 v[8:9], v[6:7], v[0:1], v[4:5] op_sel:[0,0,1] op_sel_hi:[1,1,0] neg_lo:[0,0,1] neg_hi:[0,0,1]
	v_pk_fma_f32 v[4:5], v[6:7], v[0:1], v[4:5] op_sel:[0,0,1] op_sel_hi:[1,0,0]
	s_delay_alu instid0(VALU_DEP_1)
	v_mov_b32_e32 v9, v5
	ds_load_b64 v[4:5], v56 offset:376
	v_pk_add_f32 v[178:179], v[178:179], v[10:11] neg_lo:[0,1] neg_hi:[0,1]
	v_pk_add_f32 v[190:191], v[190:191], v[8:9] neg_lo:[0,1] neg_hi:[0,1]
	s_wait_dscnt 0x0
	v_pk_mul_f32 v[2:3], v[4:5], v[2:3] op_sel:[0,1]
	s_delay_alu instid0(VALU_DEP_1) | instskip(SKIP_1) | instid1(VALU_DEP_1)
	v_pk_fma_f32 v[6:7], v[4:5], v[0:1], v[2:3] op_sel:[0,0,1] op_sel_hi:[1,1,0] neg_lo:[0,0,1] neg_hi:[0,0,1]
	v_pk_fma_f32 v[0:1], v[4:5], v[0:1], v[2:3] op_sel:[0,0,1] op_sel_hi:[1,0,0]
	v_mov_b32_e32 v7, v1
	s_delay_alu instid0(VALU_DEP_1)
	v_pk_add_f32 v[192:193], v[192:193], v[6:7] neg_lo:[0,1] neg_hi:[0,1]
.LBB95_190:
	s_or_b32 exec_lo, exec_lo, s1
	s_delay_alu instid0(SALU_CYCLE_1)
	s_mov_b32 s2, exec_lo
	s_wait_dscnt 0x0
	s_barrier_signal -1
	s_barrier_wait -1
	v_cmpx_eq_u32_e32 21, v54
	s_cbranch_execz .LBB95_197
; %bb.191:
	v_dual_mov_b32 v0, v94 :: v_dual_mov_b32 v1, v95
	v_dual_mov_b32 v2, v90 :: v_dual_mov_b32 v3, v91
	ds_store_b64 v55, v[92:93]
	ds_store_2addr_b64 v56, v[0:1], v[2:3] offset0:22 offset1:23
	v_dual_mov_b32 v0, v112 :: v_dual_mov_b32 v1, v113
	v_dual_mov_b32 v2, v108 :: v_dual_mov_b32 v3, v109
	ds_store_2addr_b64 v56, v[0:1], v[2:3] offset0:24 offset1:25
	v_dual_mov_b32 v0, v110 :: v_dual_mov_b32 v1, v111
	v_dual_mov_b32 v2, v106 :: v_dual_mov_b32 v3, v107
	;; [unrolled: 3-line block ×11, first 2 shown]
	ds_store_2addr_b64 v56, v[0:1], v[2:3] offset0:44 offset1:45
	v_dual_mov_b32 v0, v190 :: v_dual_mov_b32 v1, v191
	ds_store_2addr_b64 v56, v[0:1], v[192:193] offset0:46 offset1:47
	ds_load_b64 v[0:1], v55
	s_wait_dscnt 0x0
	v_cmp_neq_f32_e32 vcc_lo, 0, v0
	v_cmp_neq_f32_e64 s1, 0, v1
	s_or_b32 s1, vcc_lo, s1
	s_delay_alu instid0(SALU_CYCLE_1)
	s_and_b32 exec_lo, exec_lo, s1
	s_cbranch_execz .LBB95_197
; %bb.192:
	v_cmp_ngt_f32_e64 s1, |v0|, |v1|
                                        ; implicit-def: $vgpr2_vgpr3
	s_and_saveexec_b32 s4, s1
	s_delay_alu instid0(SALU_CYCLE_1)
	s_xor_b32 s1, exec_lo, s4
	s_cbranch_execz .LBB95_194
; %bb.193:
	v_div_scale_f32 v2, null, v1, v1, v0
	v_div_scale_f32 v5, vcc_lo, v0, v1, v0
	s_delay_alu instid0(VALU_DEP_2) | instskip(SKIP_1) | instid1(TRANS32_DEP_1)
	v_rcp_f32_e32 v3, v2
	v_nop
	v_fma_f32 v4, -v2, v3, 1.0
	s_delay_alu instid0(VALU_DEP_1) | instskip(NEXT) | instid1(VALU_DEP_1)
	v_fmac_f32_e32 v3, v4, v3
	v_mul_f32_e32 v4, v5, v3
	s_delay_alu instid0(VALU_DEP_1) | instskip(NEXT) | instid1(VALU_DEP_1)
	v_fma_f32 v6, -v2, v4, v5
	v_fmac_f32_e32 v4, v6, v3
	s_delay_alu instid0(VALU_DEP_1) | instskip(NEXT) | instid1(VALU_DEP_1)
	v_fma_f32 v2, -v2, v4, v5
	v_div_fmas_f32 v2, v2, v3, v4
	s_delay_alu instid0(VALU_DEP_1) | instskip(NEXT) | instid1(VALU_DEP_1)
	v_div_fixup_f32 v2, v2, v1, v0
	v_fmac_f32_e32 v1, v0, v2
	s_delay_alu instid0(VALU_DEP_1) | instskip(SKIP_1) | instid1(VALU_DEP_2)
	v_div_scale_f32 v0, null, v1, v1, 1.0
	v_div_scale_f32 v5, vcc_lo, 1.0, v1, 1.0
	v_rcp_f32_e32 v3, v0
	v_nop
	s_delay_alu instid0(TRANS32_DEP_1) | instskip(NEXT) | instid1(VALU_DEP_1)
	v_fma_f32 v4, -v0, v3, 1.0
	v_fmac_f32_e32 v3, v4, v3
	s_delay_alu instid0(VALU_DEP_1) | instskip(NEXT) | instid1(VALU_DEP_1)
	v_mul_f32_e32 v4, v5, v3
	v_fma_f32 v6, -v0, v4, v5
	s_delay_alu instid0(VALU_DEP_1) | instskip(NEXT) | instid1(VALU_DEP_1)
	v_fmac_f32_e32 v4, v6, v3
	v_fma_f32 v0, -v0, v4, v5
	s_delay_alu instid0(VALU_DEP_1) | instskip(NEXT) | instid1(VALU_DEP_1)
	v_div_fmas_f32 v0, v0, v3, v4
	v_div_fixup_f32 v0, v0, v1, 1.0
	s_delay_alu instid0(VALU_DEP_1)
	v_mul_f32_e32 v2, v2, v0
	v_xor_b32_e32 v3, 0x80000000, v0
                                        ; implicit-def: $vgpr0_vgpr1
.LBB95_194:
	s_and_not1_saveexec_b32 s1, s1
	s_cbranch_execz .LBB95_196
; %bb.195:
	v_div_scale_f32 v2, null, v0, v0, v1
	v_div_scale_f32 v5, vcc_lo, v1, v0, v1
	s_delay_alu instid0(VALU_DEP_2) | instskip(SKIP_1) | instid1(TRANS32_DEP_1)
	v_rcp_f32_e32 v3, v2
	v_nop
	v_fma_f32 v4, -v2, v3, 1.0
	s_delay_alu instid0(VALU_DEP_1) | instskip(NEXT) | instid1(VALU_DEP_1)
	v_fmac_f32_e32 v3, v4, v3
	v_mul_f32_e32 v4, v5, v3
	s_delay_alu instid0(VALU_DEP_1) | instskip(NEXT) | instid1(VALU_DEP_1)
	v_fma_f32 v6, -v2, v4, v5
	v_fmac_f32_e32 v4, v6, v3
	s_delay_alu instid0(VALU_DEP_1) | instskip(NEXT) | instid1(VALU_DEP_1)
	v_fma_f32 v2, -v2, v4, v5
	v_div_fmas_f32 v2, v2, v3, v4
	s_delay_alu instid0(VALU_DEP_1) | instskip(NEXT) | instid1(VALU_DEP_1)
	v_div_fixup_f32 v3, v2, v0, v1
	v_fmac_f32_e32 v0, v1, v3
	s_delay_alu instid0(VALU_DEP_1) | instskip(NEXT) | instid1(VALU_DEP_1)
	v_div_scale_f32 v1, null, v0, v0, 1.0
	v_rcp_f32_e32 v2, v1
	v_nop
	s_delay_alu instid0(TRANS32_DEP_1) | instskip(NEXT) | instid1(VALU_DEP_1)
	v_fma_f32 v4, -v1, v2, 1.0
	v_fmac_f32_e32 v2, v4, v2
	v_div_scale_f32 v4, vcc_lo, 1.0, v0, 1.0
	s_delay_alu instid0(VALU_DEP_1) | instskip(NEXT) | instid1(VALU_DEP_1)
	v_mul_f32_e32 v5, v4, v2
	v_fma_f32 v6, -v1, v5, v4
	s_delay_alu instid0(VALU_DEP_1) | instskip(NEXT) | instid1(VALU_DEP_1)
	v_fmac_f32_e32 v5, v6, v2
	v_fma_f32 v1, -v1, v5, v4
	s_delay_alu instid0(VALU_DEP_1) | instskip(NEXT) | instid1(VALU_DEP_1)
	v_div_fmas_f32 v1, v1, v2, v5
	v_div_fixup_f32 v2, v1, v0, 1.0
	s_delay_alu instid0(VALU_DEP_1)
	v_mul_f32_e64 v3, v3, -v2
.LBB95_196:
	s_or_b32 exec_lo, exec_lo, s1
	ds_store_b64 v55, v[2:3]
.LBB95_197:
	s_or_b32 exec_lo, exec_lo, s2
	s_wait_dscnt 0x0
	s_barrier_signal -1
	s_barrier_wait -1
	ds_load_b64 v[236:237], v55
	s_mov_b32 s1, exec_lo
	v_cmpx_lt_u32_e32 21, v54
	s_cbranch_execz .LBB95_199
; %bb.198:
	ds_load_2addr_b64 v[4:7], v56 offset0:22 offset1:23
	s_wait_dscnt 0x1
	v_pk_mul_f32 v[2:3], v[236:237], v[92:93] op_sel:[1,1] op_sel_hi:[0,1]
	s_delay_alu instid0(VALU_DEP_1) | instskip(SKIP_1) | instid1(VALU_DEP_1)
	v_pk_fma_f32 v[0:1], v[236:237], v[92:93], v[2:3] op_sel_hi:[1,0,1] neg_lo:[0,0,1] neg_hi:[0,0,1]
	v_pk_fma_f32 v[2:3], v[236:237], v[92:93], v[2:3] op_sel_hi:[1,0,1]
	v_dual_mov_b32 v92, v0 :: v_dual_mov_b32 v93, v3
	s_wait_dscnt 0x0
	s_delay_alu instid0(VALU_DEP_2) | instskip(NEXT) | instid1(VALU_DEP_1)
	v_pk_mul_f32 v[8:9], v[4:5], v[2:3] op_sel:[0,1]
	v_pk_fma_f32 v[10:11], v[4:5], v[0:1], v[8:9] op_sel:[0,0,1] op_sel_hi:[1,1,0] neg_lo:[0,0,1] neg_hi:[0,0,1]
	v_pk_fma_f32 v[4:5], v[4:5], v[0:1], v[8:9] op_sel:[0,0,1] op_sel_hi:[1,0,0]
	s_delay_alu instid0(VALU_DEP_1) | instskip(SKIP_1) | instid1(VALU_DEP_1)
	v_mov_b32_e32 v11, v5
	v_pk_mul_f32 v[4:5], v[6:7], v[2:3] op_sel:[0,1]
	v_pk_fma_f32 v[8:9], v[6:7], v[0:1], v[4:5] op_sel:[0,0,1] op_sel_hi:[1,1,0] neg_lo:[0,0,1] neg_hi:[0,0,1]
	v_pk_fma_f32 v[4:5], v[6:7], v[0:1], v[4:5] op_sel:[0,0,1] op_sel_hi:[1,0,0]
	s_delay_alu instid0(VALU_DEP_1)
	v_mov_b32_e32 v9, v5
	ds_load_2addr_b64 v[4:7], v56 offset0:24 offset1:25
	v_pk_add_f32 v[94:95], v[94:95], v[10:11] neg_lo:[0,1] neg_hi:[0,1]
	v_pk_add_f32 v[90:91], v[90:91], v[8:9] neg_lo:[0,1] neg_hi:[0,1]
	s_wait_dscnt 0x0
	v_pk_mul_f32 v[8:9], v[4:5], v[2:3] op_sel:[0,1]
	s_delay_alu instid0(VALU_DEP_1) | instskip(SKIP_2) | instid1(VALU_DEP_2)
	v_pk_fma_f32 v[10:11], v[4:5], v[0:1], v[8:9] op_sel:[0,0,1] op_sel_hi:[1,1,0] neg_lo:[0,0,1] neg_hi:[0,0,1]
	v_pk_fma_f32 v[4:5], v[4:5], v[0:1], v[8:9] op_sel:[0,0,1] op_sel_hi:[1,0,0]
	v_dual_mul_f32 v8, v7, v3 :: v_dual_mov_b32 v4, v7
	v_dual_mov_b32 v11, v5 :: v_dual_mov_b32 v5, v6
	s_delay_alu instid0(VALU_DEP_2) | instskip(SKIP_1) | instid1(VALU_DEP_3)
	v_pk_fma_f32 v[8:9], v[6:7], v[92:93], v[8:9] op_sel_hi:[1,1,0] neg_lo:[0,0,1] neg_hi:[0,0,1]
	v_mul_f32_e32 v6, v7, v0
	v_pk_add_f32 v[112:113], v[112:113], v[10:11] neg_lo:[0,1] neg_hi:[0,1]
	s_delay_alu instid0(VALU_DEP_2) | instskip(NEXT) | instid1(VALU_DEP_1)
	v_pk_fma_f32 v[4:5], v[4:5], v[92:93], v[6:7] op_sel_hi:[1,1,0]
	v_mov_b32_e32 v9, v5
	ds_load_2addr_b64 v[4:7], v56 offset0:26 offset1:27
	v_pk_add_f32 v[108:109], v[108:109], v[8:9] neg_lo:[0,1] neg_hi:[0,1]
	s_wait_dscnt 0x0
	v_pk_mul_f32 v[8:9], v[4:5], v[2:3] op_sel:[0,1]
	s_delay_alu instid0(VALU_DEP_1) | instskip(SKIP_1) | instid1(VALU_DEP_1)
	v_pk_fma_f32 v[10:11], v[4:5], v[0:1], v[8:9] op_sel:[0,0,1] op_sel_hi:[1,1,0] neg_lo:[0,0,1] neg_hi:[0,0,1]
	v_pk_fma_f32 v[4:5], v[4:5], v[0:1], v[8:9] op_sel:[0,0,1] op_sel_hi:[1,0,0]
	v_mov_b32_e32 v11, v5
	v_pk_mul_f32 v[4:5], v[6:7], v[2:3] op_sel:[0,1]
	s_delay_alu instid0(VALU_DEP_1) | instskip(SKIP_1) | instid1(VALU_DEP_1)
	v_pk_fma_f32 v[8:9], v[6:7], v[0:1], v[4:5] op_sel:[0,0,1] op_sel_hi:[1,1,0] neg_lo:[0,0,1] neg_hi:[0,0,1]
	v_pk_fma_f32 v[4:5], v[6:7], v[0:1], v[4:5] op_sel:[0,0,1] op_sel_hi:[1,0,0]
	v_mov_b32_e32 v9, v5
	ds_load_2addr_b64 v[4:7], v56 offset0:28 offset1:29
	v_pk_add_f32 v[110:111], v[110:111], v[10:11] neg_lo:[0,1] neg_hi:[0,1]
	v_pk_add_f32 v[106:107], v[106:107], v[8:9] neg_lo:[0,1] neg_hi:[0,1]
	s_wait_dscnt 0x0
	v_pk_mul_f32 v[8:9], v[4:5], v[2:3] op_sel:[0,1]
	s_delay_alu instid0(VALU_DEP_1) | instskip(SKIP_1) | instid1(VALU_DEP_1)
	v_pk_fma_f32 v[10:11], v[4:5], v[0:1], v[8:9] op_sel:[0,0,1] op_sel_hi:[1,1,0] neg_lo:[0,0,1] neg_hi:[0,0,1]
	v_pk_fma_f32 v[4:5], v[4:5], v[0:1], v[8:9] op_sel:[0,0,1] op_sel_hi:[1,0,0]
	v_mov_b32_e32 v11, v5
	v_pk_mul_f32 v[4:5], v[6:7], v[2:3] op_sel:[0,1]
	s_delay_alu instid0(VALU_DEP_1) | instskip(SKIP_1) | instid1(VALU_DEP_1)
	v_pk_fma_f32 v[8:9], v[6:7], v[0:1], v[4:5] op_sel:[0,0,1] op_sel_hi:[1,1,0] neg_lo:[0,0,1] neg_hi:[0,0,1]
	v_pk_fma_f32 v[4:5], v[6:7], v[0:1], v[4:5] op_sel:[0,0,1] op_sel_hi:[1,0,0]
	v_mov_b32_e32 v9, v5
	ds_load_2addr_b64 v[4:7], v56 offset0:30 offset1:31
	v_pk_add_f32 v[128:129], v[128:129], v[10:11] neg_lo:[0,1] neg_hi:[0,1]
	v_pk_add_f32 v[124:125], v[124:125], v[8:9] neg_lo:[0,1] neg_hi:[0,1]
	s_wait_dscnt 0x0
	v_dual_mul_f32 v8, v5, v3 :: v_dual_mul_f32 v10, v5, v0
	s_delay_alu instid0(VALU_DEP_1) | instskip(NEXT) | instid1(VALU_DEP_2)
	v_pk_fma_f32 v[8:9], v[4:5], v[92:93], v[8:9] op_sel_hi:[1,1,0] neg_lo:[0,0,1] neg_hi:[0,0,1]
	v_pk_fma_f32 v[4:5], v[4:5], v[92:93], v[10:11] op_sel:[1,0,0] op_sel_hi:[0,1,0]
	s_delay_alu instid0(VALU_DEP_1) | instskip(SKIP_1) | instid1(VALU_DEP_2)
	v_mov_b32_e32 v9, v5
	v_pk_mul_f32 v[4:5], v[6:7], v[2:3] op_sel:[0,1]
	v_pk_add_f32 v[126:127], v[126:127], v[8:9] neg_lo:[0,1] neg_hi:[0,1]
	s_delay_alu instid0(VALU_DEP_2) | instskip(SKIP_1) | instid1(VALU_DEP_1)
	v_pk_fma_f32 v[8:9], v[6:7], v[0:1], v[4:5] op_sel:[0,0,1] op_sel_hi:[1,1,0] neg_lo:[0,0,1] neg_hi:[0,0,1]
	v_pk_fma_f32 v[4:5], v[6:7], v[0:1], v[4:5] op_sel:[0,0,1] op_sel_hi:[1,0,0]
	v_mov_b32_e32 v9, v5
	ds_load_2addr_b64 v[4:7], v56 offset0:32 offset1:33
	v_pk_add_f32 v[122:123], v[122:123], v[8:9] neg_lo:[0,1] neg_hi:[0,1]
	s_wait_dscnt 0x0
	v_pk_mul_f32 v[8:9], v[4:5], v[2:3] op_sel:[0,1]
	s_delay_alu instid0(VALU_DEP_1) | instskip(SKIP_1) | instid1(VALU_DEP_1)
	v_pk_fma_f32 v[10:11], v[4:5], v[0:1], v[8:9] op_sel:[0,0,1] op_sel_hi:[1,1,0] neg_lo:[0,0,1] neg_hi:[0,0,1]
	v_pk_fma_f32 v[4:5], v[4:5], v[0:1], v[8:9] op_sel:[0,0,1] op_sel_hi:[1,0,0]
	v_mov_b32_e32 v11, v5
	v_pk_mul_f32 v[4:5], v[6:7], v[2:3] op_sel:[0,1]
	s_delay_alu instid0(VALU_DEP_2) | instskip(NEXT) | instid1(VALU_DEP_2)
	v_pk_add_f32 v[144:145], v[144:145], v[10:11] neg_lo:[0,1] neg_hi:[0,1]
	v_pk_fma_f32 v[8:9], v[6:7], v[0:1], v[4:5] op_sel:[0,0,1] op_sel_hi:[1,1,0] neg_lo:[0,0,1] neg_hi:[0,0,1]
	v_pk_fma_f32 v[4:5], v[6:7], v[0:1], v[4:5] op_sel:[0,0,1] op_sel_hi:[1,0,0]
	s_delay_alu instid0(VALU_DEP_1) | instskip(SKIP_4) | instid1(VALU_DEP_1)
	v_mov_b32_e32 v9, v5
	ds_load_2addr_b64 v[4:7], v56 offset0:34 offset1:35
	v_pk_add_f32 v[140:141], v[140:141], v[8:9] neg_lo:[0,1] neg_hi:[0,1]
	s_wait_dscnt 0x0
	v_pk_mul_f32 v[8:9], v[4:5], v[2:3] op_sel:[0,1]
	v_pk_fma_f32 v[10:11], v[4:5], v[0:1], v[8:9] op_sel:[0,0,1] op_sel_hi:[1,1,0] neg_lo:[0,0,1] neg_hi:[0,0,1]
	v_pk_fma_f32 v[4:5], v[4:5], v[0:1], v[8:9] op_sel:[0,0,1] op_sel_hi:[1,0,0]
	v_dual_mul_f32 v8, v7, v3 :: v_dual_mov_b32 v4, v7
	s_delay_alu instid0(VALU_DEP_2) | instskip(NEXT) | instid1(VALU_DEP_2)
	v_dual_mov_b32 v11, v5 :: v_dual_mov_b32 v5, v6
	v_pk_fma_f32 v[8:9], v[6:7], v[92:93], v[8:9] op_sel_hi:[1,1,0] neg_lo:[0,0,1] neg_hi:[0,0,1]
	v_mul_f32_e32 v6, v7, v0
	s_delay_alu instid0(VALU_DEP_3) | instskip(NEXT) | instid1(VALU_DEP_2)
	v_pk_add_f32 v[142:143], v[142:143], v[10:11] neg_lo:[0,1] neg_hi:[0,1]
	v_pk_fma_f32 v[4:5], v[4:5], v[92:93], v[6:7] op_sel_hi:[1,1,0]
	s_delay_alu instid0(VALU_DEP_1) | instskip(SKIP_4) | instid1(VALU_DEP_1)
	v_mov_b32_e32 v9, v5
	ds_load_2addr_b64 v[4:7], v56 offset0:36 offset1:37
	v_pk_add_f32 v[138:139], v[138:139], v[8:9] neg_lo:[0,1] neg_hi:[0,1]
	s_wait_dscnt 0x0
	v_pk_mul_f32 v[8:9], v[4:5], v[2:3] op_sel:[0,1]
	v_pk_fma_f32 v[10:11], v[4:5], v[0:1], v[8:9] op_sel:[0,0,1] op_sel_hi:[1,1,0] neg_lo:[0,0,1] neg_hi:[0,0,1]
	v_pk_fma_f32 v[4:5], v[4:5], v[0:1], v[8:9] op_sel:[0,0,1] op_sel_hi:[1,0,0]
	s_delay_alu instid0(VALU_DEP_1) | instskip(SKIP_1) | instid1(VALU_DEP_1)
	v_mov_b32_e32 v11, v5
	v_pk_mul_f32 v[4:5], v[6:7], v[2:3] op_sel:[0,1]
	v_pk_fma_f32 v[8:9], v[6:7], v[0:1], v[4:5] op_sel:[0,0,1] op_sel_hi:[1,1,0] neg_lo:[0,0,1] neg_hi:[0,0,1]
	v_pk_fma_f32 v[4:5], v[6:7], v[0:1], v[4:5] op_sel:[0,0,1] op_sel_hi:[1,0,0]
	s_delay_alu instid0(VALU_DEP_1)
	v_mov_b32_e32 v9, v5
	ds_load_2addr_b64 v[4:7], v56 offset0:38 offset1:39
	v_pk_add_f32 v[164:165], v[164:165], v[10:11] neg_lo:[0,1] neg_hi:[0,1]
	v_pk_add_f32 v[160:161], v[160:161], v[8:9] neg_lo:[0,1] neg_hi:[0,1]
	s_wait_dscnt 0x0
	v_pk_mul_f32 v[8:9], v[4:5], v[2:3] op_sel:[0,1]
	s_delay_alu instid0(VALU_DEP_1) | instskip(SKIP_1) | instid1(VALU_DEP_1)
	v_pk_fma_f32 v[10:11], v[4:5], v[0:1], v[8:9] op_sel:[0,0,1] op_sel_hi:[1,1,0] neg_lo:[0,0,1] neg_hi:[0,0,1]
	v_pk_fma_f32 v[4:5], v[4:5], v[0:1], v[8:9] op_sel:[0,0,1] op_sel_hi:[1,0,0]
	v_mov_b32_e32 v11, v5
	v_pk_mul_f32 v[4:5], v[6:7], v[2:3] op_sel:[0,1]
	s_delay_alu instid0(VALU_DEP_1) | instskip(SKIP_1) | instid1(VALU_DEP_1)
	v_pk_fma_f32 v[8:9], v[6:7], v[0:1], v[4:5] op_sel:[0,0,1] op_sel_hi:[1,1,0] neg_lo:[0,0,1] neg_hi:[0,0,1]
	v_pk_fma_f32 v[4:5], v[6:7], v[0:1], v[4:5] op_sel:[0,0,1] op_sel_hi:[1,0,0]
	v_mov_b32_e32 v9, v5
	ds_load_2addr_b64 v[4:7], v56 offset0:40 offset1:41
	v_pk_add_f32 v[162:163], v[162:163], v[10:11] neg_lo:[0,1] neg_hi:[0,1]
	v_pk_add_f32 v[158:159], v[158:159], v[8:9] neg_lo:[0,1] neg_hi:[0,1]
	s_wait_dscnt 0x0
	v_dual_mul_f32 v8, v5, v3 :: v_dual_mul_f32 v10, v5, v0
	s_delay_alu instid0(VALU_DEP_1) | instskip(NEXT) | instid1(VALU_DEP_2)
	v_pk_fma_f32 v[8:9], v[4:5], v[92:93], v[8:9] op_sel_hi:[1,1,0] neg_lo:[0,0,1] neg_hi:[0,0,1]
	v_pk_fma_f32 v[4:5], v[4:5], v[92:93], v[10:11] op_sel:[1,0,0] op_sel_hi:[0,1,0]
	s_delay_alu instid0(VALU_DEP_1) | instskip(SKIP_1) | instid1(VALU_DEP_2)
	v_mov_b32_e32 v9, v5
	v_pk_mul_f32 v[4:5], v[6:7], v[2:3] op_sel:[0,1]
	v_pk_add_f32 v[188:189], v[188:189], v[8:9] neg_lo:[0,1] neg_hi:[0,1]
	s_delay_alu instid0(VALU_DEP_2) | instskip(SKIP_1) | instid1(VALU_DEP_1)
	v_pk_fma_f32 v[8:9], v[6:7], v[0:1], v[4:5] op_sel:[0,0,1] op_sel_hi:[1,1,0] neg_lo:[0,0,1] neg_hi:[0,0,1]
	v_pk_fma_f32 v[4:5], v[6:7], v[0:1], v[4:5] op_sel:[0,0,1] op_sel_hi:[1,0,0]
	v_mov_b32_e32 v9, v5
	ds_load_2addr_b64 v[4:7], v56 offset0:42 offset1:43
	v_pk_add_f32 v[182:183], v[182:183], v[8:9] neg_lo:[0,1] neg_hi:[0,1]
	s_wait_dscnt 0x0
	v_pk_mul_f32 v[8:9], v[4:5], v[2:3] op_sel:[0,1]
	s_delay_alu instid0(VALU_DEP_1) | instskip(SKIP_1) | instid1(VALU_DEP_1)
	v_pk_fma_f32 v[10:11], v[4:5], v[0:1], v[8:9] op_sel:[0,0,1] op_sel_hi:[1,1,0] neg_lo:[0,0,1] neg_hi:[0,0,1]
	v_pk_fma_f32 v[4:5], v[4:5], v[0:1], v[8:9] op_sel:[0,0,1] op_sel_hi:[1,0,0]
	v_mov_b32_e32 v11, v5
	v_pk_mul_f32 v[4:5], v[6:7], v[2:3] op_sel:[0,1]
	s_delay_alu instid0(VALU_DEP_2) | instskip(NEXT) | instid1(VALU_DEP_2)
	v_pk_add_f32 v[186:187], v[186:187], v[10:11] neg_lo:[0,1] neg_hi:[0,1]
	v_pk_fma_f32 v[8:9], v[6:7], v[0:1], v[4:5] op_sel:[0,0,1] op_sel_hi:[1,1,0] neg_lo:[0,0,1] neg_hi:[0,0,1]
	v_pk_fma_f32 v[4:5], v[6:7], v[0:1], v[4:5] op_sel:[0,0,1] op_sel_hi:[1,0,0]
	s_delay_alu instid0(VALU_DEP_1) | instskip(SKIP_4) | instid1(VALU_DEP_1)
	v_mov_b32_e32 v9, v5
	ds_load_2addr_b64 v[4:7], v56 offset0:44 offset1:45
	v_pk_add_f32 v[180:181], v[180:181], v[8:9] neg_lo:[0,1] neg_hi:[0,1]
	s_wait_dscnt 0x0
	v_pk_mul_f32 v[8:9], v[4:5], v[2:3] op_sel:[0,1]
	v_pk_fma_f32 v[10:11], v[4:5], v[0:1], v[8:9] op_sel:[0,0,1] op_sel_hi:[1,1,0] neg_lo:[0,0,1] neg_hi:[0,0,1]
	v_pk_fma_f32 v[4:5], v[4:5], v[0:1], v[8:9] op_sel:[0,0,1] op_sel_hi:[1,0,0]
	v_dual_mul_f32 v8, v7, v3 :: v_dual_mov_b32 v4, v7
	s_delay_alu instid0(VALU_DEP_2) | instskip(NEXT) | instid1(VALU_DEP_2)
	v_dual_mov_b32 v11, v5 :: v_dual_mov_b32 v5, v6
	v_pk_fma_f32 v[8:9], v[6:7], v[92:93], v[8:9] op_sel_hi:[1,1,0] neg_lo:[0,0,1] neg_hi:[0,0,1]
	v_mul_f32_e32 v6, v7, v0
	s_delay_alu instid0(VALU_DEP_3) | instskip(NEXT) | instid1(VALU_DEP_2)
	v_pk_add_f32 v[184:185], v[184:185], v[10:11] neg_lo:[0,1] neg_hi:[0,1]
	v_pk_fma_f32 v[4:5], v[4:5], v[92:93], v[6:7] op_sel_hi:[1,1,0]
	s_delay_alu instid0(VALU_DEP_1)
	v_mov_b32_e32 v9, v5
	ds_load_2addr_b64 v[4:7], v56 offset0:46 offset1:47
	v_pk_add_f32 v[178:179], v[178:179], v[8:9] neg_lo:[0,1] neg_hi:[0,1]
	s_wait_dscnt 0x0
	v_pk_mul_f32 v[8:9], v[4:5], v[2:3] op_sel:[0,1]
	v_pk_mul_f32 v[2:3], v[6:7], v[2:3] op_sel:[0,1]
	s_delay_alu instid0(VALU_DEP_2) | instskip(SKIP_1) | instid1(VALU_DEP_1)
	v_pk_fma_f32 v[10:11], v[4:5], v[0:1], v[8:9] op_sel:[0,0,1] op_sel_hi:[1,1,0] neg_lo:[0,0,1] neg_hi:[0,0,1]
	v_pk_fma_f32 v[4:5], v[4:5], v[0:1], v[8:9] op_sel:[0,0,1] op_sel_hi:[1,0,0]
	v_mov_b32_e32 v11, v5
	s_delay_alu instid0(VALU_DEP_4) | instskip(SKIP_1) | instid1(VALU_DEP_1)
	v_pk_fma_f32 v[4:5], v[6:7], v[0:1], v[2:3] op_sel:[0,0,1] op_sel_hi:[1,1,0] neg_lo:[0,0,1] neg_hi:[0,0,1]
	v_pk_fma_f32 v[0:1], v[6:7], v[0:1], v[2:3] op_sel:[0,0,1] op_sel_hi:[1,0,0]
	v_mov_b32_e32 v5, v1
	s_delay_alu instid0(VALU_DEP_4) | instskip(NEXT) | instid1(VALU_DEP_2)
	v_pk_add_f32 v[190:191], v[190:191], v[10:11] neg_lo:[0,1] neg_hi:[0,1]
	v_pk_add_f32 v[192:193], v[192:193], v[4:5] neg_lo:[0,1] neg_hi:[0,1]
.LBB95_199:
	s_or_b32 exec_lo, exec_lo, s1
	s_delay_alu instid0(SALU_CYCLE_1)
	s_mov_b32 s2, exec_lo
	s_wait_dscnt 0x0
	s_barrier_signal -1
	s_barrier_wait -1
	v_cmpx_eq_u32_e32 22, v54
	s_cbranch_execz .LBB95_206
; %bb.200:
	ds_store_b64 v55, v[94:95]
	ds_store_2addr_b64 v56, v[90:91], v[112:113] offset0:23 offset1:24
	ds_store_2addr_b64 v56, v[108:109], v[110:111] offset0:25 offset1:26
	ds_store_2addr_b64 v56, v[106:107], v[128:129] offset0:27 offset1:28
	ds_store_2addr_b64 v56, v[124:125], v[126:127] offset0:29 offset1:30
	ds_store_2addr_b64 v56, v[122:123], v[144:145] offset0:31 offset1:32
	ds_store_2addr_b64 v56, v[140:141], v[142:143] offset0:33 offset1:34
	ds_store_2addr_b64 v56, v[138:139], v[164:165] offset0:35 offset1:36
	ds_store_2addr_b64 v56, v[160:161], v[162:163] offset0:37 offset1:38
	ds_store_2addr_b64 v56, v[158:159], v[188:189] offset0:39 offset1:40
	ds_store_2addr_b64 v56, v[182:183], v[186:187] offset0:41 offset1:42
	ds_store_2addr_b64 v56, v[180:181], v[184:185] offset0:43 offset1:44
	ds_store_2addr_b64 v56, v[178:179], v[190:191] offset0:45 offset1:46
	ds_store_b64 v56, v[192:193] offset:376
	ds_load_b64 v[0:1], v55
	s_wait_dscnt 0x0
	v_cmp_neq_f32_e32 vcc_lo, 0, v0
	v_cmp_neq_f32_e64 s1, 0, v1
	s_or_b32 s1, vcc_lo, s1
	s_delay_alu instid0(SALU_CYCLE_1)
	s_and_b32 exec_lo, exec_lo, s1
	s_cbranch_execz .LBB95_206
; %bb.201:
	v_cmp_ngt_f32_e64 s1, |v0|, |v1|
                                        ; implicit-def: $vgpr2_vgpr3
	s_and_saveexec_b32 s4, s1
	s_delay_alu instid0(SALU_CYCLE_1)
	s_xor_b32 s1, exec_lo, s4
	s_cbranch_execz .LBB95_203
; %bb.202:
	v_div_scale_f32 v2, null, v1, v1, v0
	v_div_scale_f32 v5, vcc_lo, v0, v1, v0
	s_delay_alu instid0(VALU_DEP_2) | instskip(SKIP_1) | instid1(TRANS32_DEP_1)
	v_rcp_f32_e32 v3, v2
	v_nop
	v_fma_f32 v4, -v2, v3, 1.0
	s_delay_alu instid0(VALU_DEP_1) | instskip(NEXT) | instid1(VALU_DEP_1)
	v_fmac_f32_e32 v3, v4, v3
	v_mul_f32_e32 v4, v5, v3
	s_delay_alu instid0(VALU_DEP_1) | instskip(NEXT) | instid1(VALU_DEP_1)
	v_fma_f32 v6, -v2, v4, v5
	v_fmac_f32_e32 v4, v6, v3
	s_delay_alu instid0(VALU_DEP_1) | instskip(NEXT) | instid1(VALU_DEP_1)
	v_fma_f32 v2, -v2, v4, v5
	v_div_fmas_f32 v2, v2, v3, v4
	s_delay_alu instid0(VALU_DEP_1) | instskip(NEXT) | instid1(VALU_DEP_1)
	v_div_fixup_f32 v2, v2, v1, v0
	v_fmac_f32_e32 v1, v0, v2
	s_delay_alu instid0(VALU_DEP_1) | instskip(SKIP_1) | instid1(VALU_DEP_2)
	v_div_scale_f32 v0, null, v1, v1, 1.0
	v_div_scale_f32 v5, vcc_lo, 1.0, v1, 1.0
	v_rcp_f32_e32 v3, v0
	v_nop
	s_delay_alu instid0(TRANS32_DEP_1) | instskip(NEXT) | instid1(VALU_DEP_1)
	v_fma_f32 v4, -v0, v3, 1.0
	v_fmac_f32_e32 v3, v4, v3
	s_delay_alu instid0(VALU_DEP_1) | instskip(NEXT) | instid1(VALU_DEP_1)
	v_mul_f32_e32 v4, v5, v3
	v_fma_f32 v6, -v0, v4, v5
	s_delay_alu instid0(VALU_DEP_1) | instskip(NEXT) | instid1(VALU_DEP_1)
	v_fmac_f32_e32 v4, v6, v3
	v_fma_f32 v0, -v0, v4, v5
	s_delay_alu instid0(VALU_DEP_1) | instskip(NEXT) | instid1(VALU_DEP_1)
	v_div_fmas_f32 v0, v0, v3, v4
	v_div_fixup_f32 v0, v0, v1, 1.0
	s_delay_alu instid0(VALU_DEP_1)
	v_mul_f32_e32 v2, v2, v0
	v_xor_b32_e32 v3, 0x80000000, v0
                                        ; implicit-def: $vgpr0_vgpr1
.LBB95_203:
	s_and_not1_saveexec_b32 s1, s1
	s_cbranch_execz .LBB95_205
; %bb.204:
	v_div_scale_f32 v2, null, v0, v0, v1
	v_div_scale_f32 v5, vcc_lo, v1, v0, v1
	s_delay_alu instid0(VALU_DEP_2) | instskip(SKIP_1) | instid1(TRANS32_DEP_1)
	v_rcp_f32_e32 v3, v2
	v_nop
	v_fma_f32 v4, -v2, v3, 1.0
	s_delay_alu instid0(VALU_DEP_1) | instskip(NEXT) | instid1(VALU_DEP_1)
	v_fmac_f32_e32 v3, v4, v3
	v_mul_f32_e32 v4, v5, v3
	s_delay_alu instid0(VALU_DEP_1) | instskip(NEXT) | instid1(VALU_DEP_1)
	v_fma_f32 v6, -v2, v4, v5
	v_fmac_f32_e32 v4, v6, v3
	s_delay_alu instid0(VALU_DEP_1) | instskip(NEXT) | instid1(VALU_DEP_1)
	v_fma_f32 v2, -v2, v4, v5
	v_div_fmas_f32 v2, v2, v3, v4
	s_delay_alu instid0(VALU_DEP_1) | instskip(NEXT) | instid1(VALU_DEP_1)
	v_div_fixup_f32 v3, v2, v0, v1
	v_fmac_f32_e32 v0, v1, v3
	s_delay_alu instid0(VALU_DEP_1) | instskip(NEXT) | instid1(VALU_DEP_1)
	v_div_scale_f32 v1, null, v0, v0, 1.0
	v_rcp_f32_e32 v2, v1
	v_nop
	s_delay_alu instid0(TRANS32_DEP_1) | instskip(NEXT) | instid1(VALU_DEP_1)
	v_fma_f32 v4, -v1, v2, 1.0
	v_fmac_f32_e32 v2, v4, v2
	v_div_scale_f32 v4, vcc_lo, 1.0, v0, 1.0
	s_delay_alu instid0(VALU_DEP_1) | instskip(NEXT) | instid1(VALU_DEP_1)
	v_mul_f32_e32 v5, v4, v2
	v_fma_f32 v6, -v1, v5, v4
	s_delay_alu instid0(VALU_DEP_1) | instskip(NEXT) | instid1(VALU_DEP_1)
	v_fmac_f32_e32 v5, v6, v2
	v_fma_f32 v1, -v1, v5, v4
	s_delay_alu instid0(VALU_DEP_1) | instskip(NEXT) | instid1(VALU_DEP_1)
	v_div_fmas_f32 v1, v1, v2, v5
	v_div_fixup_f32 v2, v1, v0, 1.0
	s_delay_alu instid0(VALU_DEP_1)
	v_mul_f32_e64 v3, v3, -v2
.LBB95_205:
	s_or_b32 exec_lo, exec_lo, s1
	ds_store_b64 v55, v[2:3]
.LBB95_206:
	s_or_b32 exec_lo, exec_lo, s2
	s_wait_dscnt 0x0
	s_barrier_signal -1
	s_barrier_wait -1
	ds_load_b64 v[238:239], v55
	s_mov_b32 s1, exec_lo
	v_cmpx_lt_u32_e32 22, v54
	s_cbranch_execz .LBB95_208
; %bb.207:
	ds_load_2addr_b64 v[4:7], v56 offset0:23 offset1:24
	s_wait_dscnt 0x1
	v_pk_mul_f32 v[2:3], v[238:239], v[94:95] op_sel:[1,1] op_sel_hi:[0,1]
	s_delay_alu instid0(VALU_DEP_1) | instskip(SKIP_1) | instid1(VALU_DEP_1)
	v_pk_fma_f32 v[0:1], v[238:239], v[94:95], v[2:3] op_sel_hi:[1,0,1] neg_lo:[0,0,1] neg_hi:[0,0,1]
	v_pk_fma_f32 v[2:3], v[238:239], v[94:95], v[2:3] op_sel_hi:[1,0,1]
	v_dual_mov_b32 v94, v0 :: v_dual_mov_b32 v95, v3
	s_wait_dscnt 0x0
	s_delay_alu instid0(VALU_DEP_2) | instskip(NEXT) | instid1(VALU_DEP_1)
	v_pk_mul_f32 v[8:9], v[4:5], v[2:3] op_sel:[0,1]
	v_pk_fma_f32 v[10:11], v[4:5], v[0:1], v[8:9] op_sel:[0,0,1] op_sel_hi:[1,1,0] neg_lo:[0,0,1] neg_hi:[0,0,1]
	v_pk_fma_f32 v[4:5], v[4:5], v[0:1], v[8:9] op_sel:[0,0,1] op_sel_hi:[1,0,0]
	s_delay_alu instid0(VALU_DEP_1) | instskip(SKIP_1) | instid1(VALU_DEP_1)
	v_mov_b32_e32 v11, v5
	v_pk_mul_f32 v[4:5], v[6:7], v[2:3] op_sel:[0,1]
	v_pk_fma_f32 v[8:9], v[6:7], v[0:1], v[4:5] op_sel:[0,0,1] op_sel_hi:[1,1,0] neg_lo:[0,0,1] neg_hi:[0,0,1]
	v_pk_fma_f32 v[4:5], v[6:7], v[0:1], v[4:5] op_sel:[0,0,1] op_sel_hi:[1,0,0]
	s_delay_alu instid0(VALU_DEP_1)
	v_mov_b32_e32 v9, v5
	ds_load_2addr_b64 v[4:7], v56 offset0:25 offset1:26
	v_pk_add_f32 v[90:91], v[90:91], v[10:11] neg_lo:[0,1] neg_hi:[0,1]
	v_pk_add_f32 v[112:113], v[112:113], v[8:9] neg_lo:[0,1] neg_hi:[0,1]
	s_wait_dscnt 0x0
	v_pk_mul_f32 v[8:9], v[4:5], v[2:3] op_sel:[0,1]
	s_delay_alu instid0(VALU_DEP_1) | instskip(SKIP_2) | instid1(VALU_DEP_2)
	v_pk_fma_f32 v[10:11], v[4:5], v[0:1], v[8:9] op_sel:[0,0,1] op_sel_hi:[1,1,0] neg_lo:[0,0,1] neg_hi:[0,0,1]
	v_pk_fma_f32 v[4:5], v[4:5], v[0:1], v[8:9] op_sel:[0,0,1] op_sel_hi:[1,0,0]
	v_dual_mul_f32 v8, v7, v3 :: v_dual_mov_b32 v4, v7
	v_dual_mov_b32 v11, v5 :: v_dual_mov_b32 v5, v6
	s_delay_alu instid0(VALU_DEP_2) | instskip(SKIP_1) | instid1(VALU_DEP_3)
	v_pk_fma_f32 v[8:9], v[6:7], v[94:95], v[8:9] op_sel_hi:[1,1,0] neg_lo:[0,0,1] neg_hi:[0,0,1]
	v_mul_f32_e32 v6, v7, v0
	v_pk_add_f32 v[108:109], v[108:109], v[10:11] neg_lo:[0,1] neg_hi:[0,1]
	s_delay_alu instid0(VALU_DEP_2) | instskip(NEXT) | instid1(VALU_DEP_1)
	v_pk_fma_f32 v[4:5], v[4:5], v[94:95], v[6:7] op_sel_hi:[1,1,0]
	v_mov_b32_e32 v9, v5
	ds_load_2addr_b64 v[4:7], v56 offset0:27 offset1:28
	v_pk_add_f32 v[110:111], v[110:111], v[8:9] neg_lo:[0,1] neg_hi:[0,1]
	s_wait_dscnt 0x0
	v_pk_mul_f32 v[8:9], v[4:5], v[2:3] op_sel:[0,1]
	s_delay_alu instid0(VALU_DEP_1) | instskip(SKIP_1) | instid1(VALU_DEP_1)
	v_pk_fma_f32 v[10:11], v[4:5], v[0:1], v[8:9] op_sel:[0,0,1] op_sel_hi:[1,1,0] neg_lo:[0,0,1] neg_hi:[0,0,1]
	v_pk_fma_f32 v[4:5], v[4:5], v[0:1], v[8:9] op_sel:[0,0,1] op_sel_hi:[1,0,0]
	v_mov_b32_e32 v11, v5
	v_pk_mul_f32 v[4:5], v[6:7], v[2:3] op_sel:[0,1]
	s_delay_alu instid0(VALU_DEP_1) | instskip(SKIP_1) | instid1(VALU_DEP_1)
	v_pk_fma_f32 v[8:9], v[6:7], v[0:1], v[4:5] op_sel:[0,0,1] op_sel_hi:[1,1,0] neg_lo:[0,0,1] neg_hi:[0,0,1]
	v_pk_fma_f32 v[4:5], v[6:7], v[0:1], v[4:5] op_sel:[0,0,1] op_sel_hi:[1,0,0]
	v_mov_b32_e32 v9, v5
	ds_load_2addr_b64 v[4:7], v56 offset0:29 offset1:30
	v_pk_add_f32 v[106:107], v[106:107], v[10:11] neg_lo:[0,1] neg_hi:[0,1]
	v_pk_add_f32 v[128:129], v[128:129], v[8:9] neg_lo:[0,1] neg_hi:[0,1]
	s_wait_dscnt 0x0
	v_pk_mul_f32 v[8:9], v[4:5], v[2:3] op_sel:[0,1]
	s_delay_alu instid0(VALU_DEP_1) | instskip(SKIP_1) | instid1(VALU_DEP_1)
	v_pk_fma_f32 v[10:11], v[4:5], v[0:1], v[8:9] op_sel:[0,0,1] op_sel_hi:[1,1,0] neg_lo:[0,0,1] neg_hi:[0,0,1]
	v_pk_fma_f32 v[4:5], v[4:5], v[0:1], v[8:9] op_sel:[0,0,1] op_sel_hi:[1,0,0]
	v_mov_b32_e32 v11, v5
	v_pk_mul_f32 v[4:5], v[6:7], v[2:3] op_sel:[0,1]
	s_delay_alu instid0(VALU_DEP_1) | instskip(SKIP_1) | instid1(VALU_DEP_1)
	v_pk_fma_f32 v[8:9], v[6:7], v[0:1], v[4:5] op_sel:[0,0,1] op_sel_hi:[1,1,0] neg_lo:[0,0,1] neg_hi:[0,0,1]
	v_pk_fma_f32 v[4:5], v[6:7], v[0:1], v[4:5] op_sel:[0,0,1] op_sel_hi:[1,0,0]
	v_mov_b32_e32 v9, v5
	ds_load_2addr_b64 v[4:7], v56 offset0:31 offset1:32
	v_pk_add_f32 v[124:125], v[124:125], v[10:11] neg_lo:[0,1] neg_hi:[0,1]
	v_pk_add_f32 v[126:127], v[126:127], v[8:9] neg_lo:[0,1] neg_hi:[0,1]
	s_wait_dscnt 0x0
	v_dual_mul_f32 v8, v5, v3 :: v_dual_mul_f32 v10, v5, v0
	s_delay_alu instid0(VALU_DEP_1) | instskip(NEXT) | instid1(VALU_DEP_2)
	v_pk_fma_f32 v[8:9], v[4:5], v[94:95], v[8:9] op_sel_hi:[1,1,0] neg_lo:[0,0,1] neg_hi:[0,0,1]
	v_pk_fma_f32 v[4:5], v[4:5], v[94:95], v[10:11] op_sel:[1,0,0] op_sel_hi:[0,1,0]
	s_delay_alu instid0(VALU_DEP_1) | instskip(SKIP_1) | instid1(VALU_DEP_2)
	v_mov_b32_e32 v9, v5
	v_pk_mul_f32 v[4:5], v[6:7], v[2:3] op_sel:[0,1]
	v_pk_add_f32 v[122:123], v[122:123], v[8:9] neg_lo:[0,1] neg_hi:[0,1]
	s_delay_alu instid0(VALU_DEP_2) | instskip(SKIP_1) | instid1(VALU_DEP_1)
	v_pk_fma_f32 v[8:9], v[6:7], v[0:1], v[4:5] op_sel:[0,0,1] op_sel_hi:[1,1,0] neg_lo:[0,0,1] neg_hi:[0,0,1]
	v_pk_fma_f32 v[4:5], v[6:7], v[0:1], v[4:5] op_sel:[0,0,1] op_sel_hi:[1,0,0]
	v_mov_b32_e32 v9, v5
	ds_load_2addr_b64 v[4:7], v56 offset0:33 offset1:34
	v_pk_add_f32 v[144:145], v[144:145], v[8:9] neg_lo:[0,1] neg_hi:[0,1]
	s_wait_dscnt 0x0
	v_pk_mul_f32 v[8:9], v[4:5], v[2:3] op_sel:[0,1]
	s_delay_alu instid0(VALU_DEP_1) | instskip(SKIP_1) | instid1(VALU_DEP_1)
	v_pk_fma_f32 v[10:11], v[4:5], v[0:1], v[8:9] op_sel:[0,0,1] op_sel_hi:[1,1,0] neg_lo:[0,0,1] neg_hi:[0,0,1]
	v_pk_fma_f32 v[4:5], v[4:5], v[0:1], v[8:9] op_sel:[0,0,1] op_sel_hi:[1,0,0]
	v_mov_b32_e32 v11, v5
	v_pk_mul_f32 v[4:5], v[6:7], v[2:3] op_sel:[0,1]
	s_delay_alu instid0(VALU_DEP_2) | instskip(NEXT) | instid1(VALU_DEP_2)
	v_pk_add_f32 v[140:141], v[140:141], v[10:11] neg_lo:[0,1] neg_hi:[0,1]
	v_pk_fma_f32 v[8:9], v[6:7], v[0:1], v[4:5] op_sel:[0,0,1] op_sel_hi:[1,1,0] neg_lo:[0,0,1] neg_hi:[0,0,1]
	v_pk_fma_f32 v[4:5], v[6:7], v[0:1], v[4:5] op_sel:[0,0,1] op_sel_hi:[1,0,0]
	s_delay_alu instid0(VALU_DEP_1) | instskip(SKIP_4) | instid1(VALU_DEP_1)
	v_mov_b32_e32 v9, v5
	ds_load_2addr_b64 v[4:7], v56 offset0:35 offset1:36
	v_pk_add_f32 v[142:143], v[142:143], v[8:9] neg_lo:[0,1] neg_hi:[0,1]
	s_wait_dscnt 0x0
	v_pk_mul_f32 v[8:9], v[4:5], v[2:3] op_sel:[0,1]
	v_pk_fma_f32 v[10:11], v[4:5], v[0:1], v[8:9] op_sel:[0,0,1] op_sel_hi:[1,1,0] neg_lo:[0,0,1] neg_hi:[0,0,1]
	v_pk_fma_f32 v[4:5], v[4:5], v[0:1], v[8:9] op_sel:[0,0,1] op_sel_hi:[1,0,0]
	v_dual_mul_f32 v8, v7, v3 :: v_dual_mov_b32 v4, v7
	s_delay_alu instid0(VALU_DEP_2) | instskip(NEXT) | instid1(VALU_DEP_2)
	v_dual_mov_b32 v11, v5 :: v_dual_mov_b32 v5, v6
	v_pk_fma_f32 v[8:9], v[6:7], v[94:95], v[8:9] op_sel_hi:[1,1,0] neg_lo:[0,0,1] neg_hi:[0,0,1]
	v_mul_f32_e32 v6, v7, v0
	s_delay_alu instid0(VALU_DEP_3) | instskip(NEXT) | instid1(VALU_DEP_2)
	v_pk_add_f32 v[138:139], v[138:139], v[10:11] neg_lo:[0,1] neg_hi:[0,1]
	v_pk_fma_f32 v[4:5], v[4:5], v[94:95], v[6:7] op_sel_hi:[1,1,0]
	s_delay_alu instid0(VALU_DEP_1) | instskip(SKIP_4) | instid1(VALU_DEP_1)
	v_mov_b32_e32 v9, v5
	ds_load_2addr_b64 v[4:7], v56 offset0:37 offset1:38
	v_pk_add_f32 v[164:165], v[164:165], v[8:9] neg_lo:[0,1] neg_hi:[0,1]
	s_wait_dscnt 0x0
	v_pk_mul_f32 v[8:9], v[4:5], v[2:3] op_sel:[0,1]
	v_pk_fma_f32 v[10:11], v[4:5], v[0:1], v[8:9] op_sel:[0,0,1] op_sel_hi:[1,1,0] neg_lo:[0,0,1] neg_hi:[0,0,1]
	v_pk_fma_f32 v[4:5], v[4:5], v[0:1], v[8:9] op_sel:[0,0,1] op_sel_hi:[1,0,0]
	s_delay_alu instid0(VALU_DEP_1) | instskip(SKIP_1) | instid1(VALU_DEP_1)
	v_mov_b32_e32 v11, v5
	v_pk_mul_f32 v[4:5], v[6:7], v[2:3] op_sel:[0,1]
	v_pk_fma_f32 v[8:9], v[6:7], v[0:1], v[4:5] op_sel:[0,0,1] op_sel_hi:[1,1,0] neg_lo:[0,0,1] neg_hi:[0,0,1]
	v_pk_fma_f32 v[4:5], v[6:7], v[0:1], v[4:5] op_sel:[0,0,1] op_sel_hi:[1,0,0]
	s_delay_alu instid0(VALU_DEP_1)
	v_mov_b32_e32 v9, v5
	ds_load_2addr_b64 v[4:7], v56 offset0:39 offset1:40
	v_pk_add_f32 v[160:161], v[160:161], v[10:11] neg_lo:[0,1] neg_hi:[0,1]
	v_pk_add_f32 v[162:163], v[162:163], v[8:9] neg_lo:[0,1] neg_hi:[0,1]
	s_wait_dscnt 0x0
	v_pk_mul_f32 v[8:9], v[4:5], v[2:3] op_sel:[0,1]
	s_delay_alu instid0(VALU_DEP_1) | instskip(SKIP_1) | instid1(VALU_DEP_1)
	v_pk_fma_f32 v[10:11], v[4:5], v[0:1], v[8:9] op_sel:[0,0,1] op_sel_hi:[1,1,0] neg_lo:[0,0,1] neg_hi:[0,0,1]
	v_pk_fma_f32 v[4:5], v[4:5], v[0:1], v[8:9] op_sel:[0,0,1] op_sel_hi:[1,0,0]
	v_mov_b32_e32 v11, v5
	v_pk_mul_f32 v[4:5], v[6:7], v[2:3] op_sel:[0,1]
	s_delay_alu instid0(VALU_DEP_1) | instskip(SKIP_1) | instid1(VALU_DEP_1)
	v_pk_fma_f32 v[8:9], v[6:7], v[0:1], v[4:5] op_sel:[0,0,1] op_sel_hi:[1,1,0] neg_lo:[0,0,1] neg_hi:[0,0,1]
	v_pk_fma_f32 v[4:5], v[6:7], v[0:1], v[4:5] op_sel:[0,0,1] op_sel_hi:[1,0,0]
	v_mov_b32_e32 v9, v5
	ds_load_2addr_b64 v[4:7], v56 offset0:41 offset1:42
	v_pk_add_f32 v[158:159], v[158:159], v[10:11] neg_lo:[0,1] neg_hi:[0,1]
	v_pk_add_f32 v[188:189], v[188:189], v[8:9] neg_lo:[0,1] neg_hi:[0,1]
	s_wait_dscnt 0x0
	v_dual_mul_f32 v8, v5, v3 :: v_dual_mul_f32 v10, v5, v0
	s_delay_alu instid0(VALU_DEP_1) | instskip(NEXT) | instid1(VALU_DEP_2)
	v_pk_fma_f32 v[8:9], v[4:5], v[94:95], v[8:9] op_sel_hi:[1,1,0] neg_lo:[0,0,1] neg_hi:[0,0,1]
	v_pk_fma_f32 v[4:5], v[4:5], v[94:95], v[10:11] op_sel:[1,0,0] op_sel_hi:[0,1,0]
	s_delay_alu instid0(VALU_DEP_1) | instskip(SKIP_1) | instid1(VALU_DEP_2)
	v_mov_b32_e32 v9, v5
	v_pk_mul_f32 v[4:5], v[6:7], v[2:3] op_sel:[0,1]
	v_pk_add_f32 v[182:183], v[182:183], v[8:9] neg_lo:[0,1] neg_hi:[0,1]
	s_delay_alu instid0(VALU_DEP_2) | instskip(SKIP_1) | instid1(VALU_DEP_1)
	v_pk_fma_f32 v[8:9], v[6:7], v[0:1], v[4:5] op_sel:[0,0,1] op_sel_hi:[1,1,0] neg_lo:[0,0,1] neg_hi:[0,0,1]
	v_pk_fma_f32 v[4:5], v[6:7], v[0:1], v[4:5] op_sel:[0,0,1] op_sel_hi:[1,0,0]
	v_mov_b32_e32 v9, v5
	ds_load_2addr_b64 v[4:7], v56 offset0:43 offset1:44
	v_pk_add_f32 v[186:187], v[186:187], v[8:9] neg_lo:[0,1] neg_hi:[0,1]
	s_wait_dscnt 0x0
	v_pk_mul_f32 v[8:9], v[4:5], v[2:3] op_sel:[0,1]
	s_delay_alu instid0(VALU_DEP_1) | instskip(SKIP_1) | instid1(VALU_DEP_1)
	v_pk_fma_f32 v[10:11], v[4:5], v[0:1], v[8:9] op_sel:[0,0,1] op_sel_hi:[1,1,0] neg_lo:[0,0,1] neg_hi:[0,0,1]
	v_pk_fma_f32 v[4:5], v[4:5], v[0:1], v[8:9] op_sel:[0,0,1] op_sel_hi:[1,0,0]
	v_mov_b32_e32 v11, v5
	v_pk_mul_f32 v[4:5], v[6:7], v[2:3] op_sel:[0,1]
	s_delay_alu instid0(VALU_DEP_2) | instskip(NEXT) | instid1(VALU_DEP_2)
	v_pk_add_f32 v[180:181], v[180:181], v[10:11] neg_lo:[0,1] neg_hi:[0,1]
	v_pk_fma_f32 v[8:9], v[6:7], v[0:1], v[4:5] op_sel:[0,0,1] op_sel_hi:[1,1,0] neg_lo:[0,0,1] neg_hi:[0,0,1]
	v_pk_fma_f32 v[4:5], v[6:7], v[0:1], v[4:5] op_sel:[0,0,1] op_sel_hi:[1,0,0]
	s_delay_alu instid0(VALU_DEP_1) | instskip(SKIP_4) | instid1(VALU_DEP_1)
	v_mov_b32_e32 v9, v5
	ds_load_2addr_b64 v[4:7], v56 offset0:45 offset1:46
	v_pk_add_f32 v[184:185], v[184:185], v[8:9] neg_lo:[0,1] neg_hi:[0,1]
	s_wait_dscnt 0x0
	v_pk_mul_f32 v[8:9], v[4:5], v[2:3] op_sel:[0,1]
	v_pk_fma_f32 v[10:11], v[4:5], v[0:1], v[8:9] op_sel:[0,0,1] op_sel_hi:[1,1,0] neg_lo:[0,0,1] neg_hi:[0,0,1]
	v_pk_fma_f32 v[4:5], v[4:5], v[0:1], v[8:9] op_sel:[0,0,1] op_sel_hi:[1,0,0]
	v_dual_mul_f32 v8, v7, v3 :: v_dual_mov_b32 v4, v7
	s_delay_alu instid0(VALU_DEP_2) | instskip(NEXT) | instid1(VALU_DEP_2)
	v_dual_mov_b32 v11, v5 :: v_dual_mov_b32 v5, v6
	v_pk_fma_f32 v[8:9], v[6:7], v[94:95], v[8:9] op_sel_hi:[1,1,0] neg_lo:[0,0,1] neg_hi:[0,0,1]
	v_mul_f32_e32 v6, v7, v0
	s_delay_alu instid0(VALU_DEP_3) | instskip(NEXT) | instid1(VALU_DEP_2)
	v_pk_add_f32 v[178:179], v[178:179], v[10:11] neg_lo:[0,1] neg_hi:[0,1]
	v_pk_fma_f32 v[4:5], v[4:5], v[94:95], v[6:7] op_sel_hi:[1,1,0]
	s_delay_alu instid0(VALU_DEP_1) | instskip(SKIP_4) | instid1(VALU_DEP_1)
	v_mov_b32_e32 v9, v5
	ds_load_b64 v[4:5], v56 offset:376
	v_pk_add_f32 v[190:191], v[190:191], v[8:9] neg_lo:[0,1] neg_hi:[0,1]
	s_wait_dscnt 0x0
	v_pk_mul_f32 v[2:3], v[4:5], v[2:3] op_sel:[0,1]
	v_pk_fma_f32 v[6:7], v[4:5], v[0:1], v[2:3] op_sel:[0,0,1] op_sel_hi:[1,1,0] neg_lo:[0,0,1] neg_hi:[0,0,1]
	v_pk_fma_f32 v[0:1], v[4:5], v[0:1], v[2:3] op_sel:[0,0,1] op_sel_hi:[1,0,0]
	s_delay_alu instid0(VALU_DEP_1) | instskip(NEXT) | instid1(VALU_DEP_1)
	v_mov_b32_e32 v7, v1
	v_pk_add_f32 v[192:193], v[192:193], v[6:7] neg_lo:[0,1] neg_hi:[0,1]
.LBB95_208:
	s_or_b32 exec_lo, exec_lo, s1
	s_delay_alu instid0(SALU_CYCLE_1)
	s_mov_b32 s2, exec_lo
	s_wait_dscnt 0x0
	s_barrier_signal -1
	s_barrier_wait -1
	v_cmpx_eq_u32_e32 23, v54
	s_cbranch_execz .LBB95_215
; %bb.209:
	v_dual_mov_b32 v0, v112 :: v_dual_mov_b32 v1, v113
	v_dual_mov_b32 v2, v108 :: v_dual_mov_b32 v3, v109
	ds_store_b64 v55, v[90:91]
	ds_store_2addr_b64 v56, v[0:1], v[2:3] offset0:24 offset1:25
	v_dual_mov_b32 v0, v110 :: v_dual_mov_b32 v1, v111
	v_dual_mov_b32 v2, v106 :: v_dual_mov_b32 v3, v107
	ds_store_2addr_b64 v56, v[0:1], v[2:3] offset0:26 offset1:27
	v_dual_mov_b32 v0, v128 :: v_dual_mov_b32 v1, v129
	v_dual_mov_b32 v2, v124 :: v_dual_mov_b32 v3, v125
	;; [unrolled: 3-line block ×10, first 2 shown]
	ds_store_2addr_b64 v56, v[0:1], v[2:3] offset0:44 offset1:45
	v_dual_mov_b32 v0, v190 :: v_dual_mov_b32 v1, v191
	ds_store_2addr_b64 v56, v[0:1], v[192:193] offset0:46 offset1:47
	ds_load_b64 v[0:1], v55
	s_wait_dscnt 0x0
	v_cmp_neq_f32_e32 vcc_lo, 0, v0
	v_cmp_neq_f32_e64 s1, 0, v1
	s_or_b32 s1, vcc_lo, s1
	s_delay_alu instid0(SALU_CYCLE_1)
	s_and_b32 exec_lo, exec_lo, s1
	s_cbranch_execz .LBB95_215
; %bb.210:
	v_cmp_ngt_f32_e64 s1, |v0|, |v1|
                                        ; implicit-def: $vgpr2_vgpr3
	s_and_saveexec_b32 s4, s1
	s_delay_alu instid0(SALU_CYCLE_1)
	s_xor_b32 s1, exec_lo, s4
	s_cbranch_execz .LBB95_212
; %bb.211:
	v_div_scale_f32 v2, null, v1, v1, v0
	v_div_scale_f32 v5, vcc_lo, v0, v1, v0
	s_delay_alu instid0(VALU_DEP_2) | instskip(SKIP_1) | instid1(TRANS32_DEP_1)
	v_rcp_f32_e32 v3, v2
	v_nop
	v_fma_f32 v4, -v2, v3, 1.0
	s_delay_alu instid0(VALU_DEP_1) | instskip(NEXT) | instid1(VALU_DEP_1)
	v_fmac_f32_e32 v3, v4, v3
	v_mul_f32_e32 v4, v5, v3
	s_delay_alu instid0(VALU_DEP_1) | instskip(NEXT) | instid1(VALU_DEP_1)
	v_fma_f32 v6, -v2, v4, v5
	v_fmac_f32_e32 v4, v6, v3
	s_delay_alu instid0(VALU_DEP_1) | instskip(NEXT) | instid1(VALU_DEP_1)
	v_fma_f32 v2, -v2, v4, v5
	v_div_fmas_f32 v2, v2, v3, v4
	s_delay_alu instid0(VALU_DEP_1) | instskip(NEXT) | instid1(VALU_DEP_1)
	v_div_fixup_f32 v2, v2, v1, v0
	v_fmac_f32_e32 v1, v0, v2
	s_delay_alu instid0(VALU_DEP_1) | instskip(SKIP_1) | instid1(VALU_DEP_2)
	v_div_scale_f32 v0, null, v1, v1, 1.0
	v_div_scale_f32 v5, vcc_lo, 1.0, v1, 1.0
	v_rcp_f32_e32 v3, v0
	v_nop
	s_delay_alu instid0(TRANS32_DEP_1) | instskip(NEXT) | instid1(VALU_DEP_1)
	v_fma_f32 v4, -v0, v3, 1.0
	v_fmac_f32_e32 v3, v4, v3
	s_delay_alu instid0(VALU_DEP_1) | instskip(NEXT) | instid1(VALU_DEP_1)
	v_mul_f32_e32 v4, v5, v3
	v_fma_f32 v6, -v0, v4, v5
	s_delay_alu instid0(VALU_DEP_1) | instskip(NEXT) | instid1(VALU_DEP_1)
	v_fmac_f32_e32 v4, v6, v3
	v_fma_f32 v0, -v0, v4, v5
	s_delay_alu instid0(VALU_DEP_1) | instskip(NEXT) | instid1(VALU_DEP_1)
	v_div_fmas_f32 v0, v0, v3, v4
	v_div_fixup_f32 v0, v0, v1, 1.0
	s_delay_alu instid0(VALU_DEP_1)
	v_mul_f32_e32 v2, v2, v0
	v_xor_b32_e32 v3, 0x80000000, v0
                                        ; implicit-def: $vgpr0_vgpr1
.LBB95_212:
	s_and_not1_saveexec_b32 s1, s1
	s_cbranch_execz .LBB95_214
; %bb.213:
	v_div_scale_f32 v2, null, v0, v0, v1
	v_div_scale_f32 v5, vcc_lo, v1, v0, v1
	s_delay_alu instid0(VALU_DEP_2) | instskip(SKIP_1) | instid1(TRANS32_DEP_1)
	v_rcp_f32_e32 v3, v2
	v_nop
	v_fma_f32 v4, -v2, v3, 1.0
	s_delay_alu instid0(VALU_DEP_1) | instskip(NEXT) | instid1(VALU_DEP_1)
	v_fmac_f32_e32 v3, v4, v3
	v_mul_f32_e32 v4, v5, v3
	s_delay_alu instid0(VALU_DEP_1) | instskip(NEXT) | instid1(VALU_DEP_1)
	v_fma_f32 v6, -v2, v4, v5
	v_fmac_f32_e32 v4, v6, v3
	s_delay_alu instid0(VALU_DEP_1) | instskip(NEXT) | instid1(VALU_DEP_1)
	v_fma_f32 v2, -v2, v4, v5
	v_div_fmas_f32 v2, v2, v3, v4
	s_delay_alu instid0(VALU_DEP_1) | instskip(NEXT) | instid1(VALU_DEP_1)
	v_div_fixup_f32 v3, v2, v0, v1
	v_fmac_f32_e32 v0, v1, v3
	s_delay_alu instid0(VALU_DEP_1) | instskip(NEXT) | instid1(VALU_DEP_1)
	v_div_scale_f32 v1, null, v0, v0, 1.0
	v_rcp_f32_e32 v2, v1
	v_nop
	s_delay_alu instid0(TRANS32_DEP_1) | instskip(NEXT) | instid1(VALU_DEP_1)
	v_fma_f32 v4, -v1, v2, 1.0
	v_fmac_f32_e32 v2, v4, v2
	v_div_scale_f32 v4, vcc_lo, 1.0, v0, 1.0
	s_delay_alu instid0(VALU_DEP_1) | instskip(NEXT) | instid1(VALU_DEP_1)
	v_mul_f32_e32 v5, v4, v2
	v_fma_f32 v6, -v1, v5, v4
	s_delay_alu instid0(VALU_DEP_1) | instskip(NEXT) | instid1(VALU_DEP_1)
	v_fmac_f32_e32 v5, v6, v2
	v_fma_f32 v1, -v1, v5, v4
	s_delay_alu instid0(VALU_DEP_1) | instskip(NEXT) | instid1(VALU_DEP_1)
	v_div_fmas_f32 v1, v1, v2, v5
	v_div_fixup_f32 v2, v1, v0, 1.0
	s_delay_alu instid0(VALU_DEP_1)
	v_mul_f32_e64 v3, v3, -v2
.LBB95_214:
	s_or_b32 exec_lo, exec_lo, s1
	ds_store_b64 v55, v[2:3]
.LBB95_215:
	s_or_b32 exec_lo, exec_lo, s2
	s_wait_dscnt 0x0
	s_barrier_signal -1
	s_barrier_wait -1
	ds_load_b64 v[240:241], v55
	s_mov_b32 s1, exec_lo
	v_cmpx_lt_u32_e32 23, v54
	s_cbranch_execz .LBB95_217
; %bb.216:
	ds_load_2addr_b64 v[4:7], v56 offset0:24 offset1:25
	s_wait_dscnt 0x1
	v_pk_mul_f32 v[2:3], v[240:241], v[90:91] op_sel:[1,1] op_sel_hi:[0,1]
	s_delay_alu instid0(VALU_DEP_1) | instskip(SKIP_1) | instid1(VALU_DEP_1)
	v_pk_fma_f32 v[0:1], v[240:241], v[90:91], v[2:3] op_sel_hi:[1,0,1] neg_lo:[0,0,1] neg_hi:[0,0,1]
	v_pk_fma_f32 v[2:3], v[240:241], v[90:91], v[2:3] op_sel_hi:[1,0,1]
	v_dual_mov_b32 v90, v0 :: v_dual_mov_b32 v91, v3
	s_wait_dscnt 0x0
	s_delay_alu instid0(VALU_DEP_2) | instskip(NEXT) | instid1(VALU_DEP_1)
	v_pk_mul_f32 v[8:9], v[4:5], v[2:3] op_sel:[0,1]
	v_pk_fma_f32 v[10:11], v[4:5], v[0:1], v[8:9] op_sel:[0,0,1] op_sel_hi:[1,1,0] neg_lo:[0,0,1] neg_hi:[0,0,1]
	v_pk_fma_f32 v[4:5], v[4:5], v[0:1], v[8:9] op_sel:[0,0,1] op_sel_hi:[1,0,0]
	s_delay_alu instid0(VALU_DEP_1) | instskip(SKIP_1) | instid1(VALU_DEP_1)
	v_mov_b32_e32 v11, v5
	v_pk_mul_f32 v[4:5], v[6:7], v[2:3] op_sel:[0,1]
	v_pk_fma_f32 v[8:9], v[6:7], v[0:1], v[4:5] op_sel:[0,0,1] op_sel_hi:[1,1,0] neg_lo:[0,0,1] neg_hi:[0,0,1]
	v_pk_fma_f32 v[4:5], v[6:7], v[0:1], v[4:5] op_sel:[0,0,1] op_sel_hi:[1,0,0]
	s_delay_alu instid0(VALU_DEP_1)
	v_mov_b32_e32 v9, v5
	ds_load_2addr_b64 v[4:7], v56 offset0:26 offset1:27
	v_pk_add_f32 v[112:113], v[112:113], v[10:11] neg_lo:[0,1] neg_hi:[0,1]
	v_pk_add_f32 v[108:109], v[108:109], v[8:9] neg_lo:[0,1] neg_hi:[0,1]
	s_wait_dscnt 0x0
	v_pk_mul_f32 v[8:9], v[4:5], v[2:3] op_sel:[0,1]
	s_delay_alu instid0(VALU_DEP_1) | instskip(SKIP_2) | instid1(VALU_DEP_2)
	v_pk_fma_f32 v[10:11], v[4:5], v[0:1], v[8:9] op_sel:[0,0,1] op_sel_hi:[1,1,0] neg_lo:[0,0,1] neg_hi:[0,0,1]
	v_pk_fma_f32 v[4:5], v[4:5], v[0:1], v[8:9] op_sel:[0,0,1] op_sel_hi:[1,0,0]
	v_dual_mul_f32 v8, v7, v3 :: v_dual_mov_b32 v4, v7
	v_dual_mov_b32 v11, v5 :: v_dual_mov_b32 v5, v6
	s_delay_alu instid0(VALU_DEP_2) | instskip(SKIP_1) | instid1(VALU_DEP_3)
	v_pk_fma_f32 v[8:9], v[6:7], v[90:91], v[8:9] op_sel_hi:[1,1,0] neg_lo:[0,0,1] neg_hi:[0,0,1]
	v_mul_f32_e32 v6, v7, v0
	v_pk_add_f32 v[110:111], v[110:111], v[10:11] neg_lo:[0,1] neg_hi:[0,1]
	s_delay_alu instid0(VALU_DEP_2) | instskip(NEXT) | instid1(VALU_DEP_1)
	v_pk_fma_f32 v[4:5], v[4:5], v[90:91], v[6:7] op_sel_hi:[1,1,0]
	v_mov_b32_e32 v9, v5
	ds_load_2addr_b64 v[4:7], v56 offset0:28 offset1:29
	v_pk_add_f32 v[106:107], v[106:107], v[8:9] neg_lo:[0,1] neg_hi:[0,1]
	s_wait_dscnt 0x0
	v_pk_mul_f32 v[8:9], v[4:5], v[2:3] op_sel:[0,1]
	s_delay_alu instid0(VALU_DEP_1) | instskip(SKIP_1) | instid1(VALU_DEP_1)
	v_pk_fma_f32 v[10:11], v[4:5], v[0:1], v[8:9] op_sel:[0,0,1] op_sel_hi:[1,1,0] neg_lo:[0,0,1] neg_hi:[0,0,1]
	v_pk_fma_f32 v[4:5], v[4:5], v[0:1], v[8:9] op_sel:[0,0,1] op_sel_hi:[1,0,0]
	v_mov_b32_e32 v11, v5
	v_pk_mul_f32 v[4:5], v[6:7], v[2:3] op_sel:[0,1]
	s_delay_alu instid0(VALU_DEP_1) | instskip(SKIP_1) | instid1(VALU_DEP_1)
	v_pk_fma_f32 v[8:9], v[6:7], v[0:1], v[4:5] op_sel:[0,0,1] op_sel_hi:[1,1,0] neg_lo:[0,0,1] neg_hi:[0,0,1]
	v_pk_fma_f32 v[4:5], v[6:7], v[0:1], v[4:5] op_sel:[0,0,1] op_sel_hi:[1,0,0]
	v_mov_b32_e32 v9, v5
	ds_load_2addr_b64 v[4:7], v56 offset0:30 offset1:31
	v_pk_add_f32 v[128:129], v[128:129], v[10:11] neg_lo:[0,1] neg_hi:[0,1]
	v_pk_add_f32 v[124:125], v[124:125], v[8:9] neg_lo:[0,1] neg_hi:[0,1]
	s_wait_dscnt 0x0
	v_pk_mul_f32 v[8:9], v[4:5], v[2:3] op_sel:[0,1]
	s_delay_alu instid0(VALU_DEP_1) | instskip(SKIP_1) | instid1(VALU_DEP_1)
	v_pk_fma_f32 v[10:11], v[4:5], v[0:1], v[8:9] op_sel:[0,0,1] op_sel_hi:[1,1,0] neg_lo:[0,0,1] neg_hi:[0,0,1]
	v_pk_fma_f32 v[4:5], v[4:5], v[0:1], v[8:9] op_sel:[0,0,1] op_sel_hi:[1,0,0]
	v_mov_b32_e32 v11, v5
	v_pk_mul_f32 v[4:5], v[6:7], v[2:3] op_sel:[0,1]
	s_delay_alu instid0(VALU_DEP_1) | instskip(SKIP_1) | instid1(VALU_DEP_1)
	v_pk_fma_f32 v[8:9], v[6:7], v[0:1], v[4:5] op_sel:[0,0,1] op_sel_hi:[1,1,0] neg_lo:[0,0,1] neg_hi:[0,0,1]
	v_pk_fma_f32 v[4:5], v[6:7], v[0:1], v[4:5] op_sel:[0,0,1] op_sel_hi:[1,0,0]
	v_mov_b32_e32 v9, v5
	ds_load_2addr_b64 v[4:7], v56 offset0:32 offset1:33
	v_pk_add_f32 v[126:127], v[126:127], v[10:11] neg_lo:[0,1] neg_hi:[0,1]
	v_pk_add_f32 v[122:123], v[122:123], v[8:9] neg_lo:[0,1] neg_hi:[0,1]
	s_wait_dscnt 0x0
	v_dual_mul_f32 v8, v5, v3 :: v_dual_mul_f32 v10, v5, v0
	s_delay_alu instid0(VALU_DEP_1) | instskip(NEXT) | instid1(VALU_DEP_2)
	v_pk_fma_f32 v[8:9], v[4:5], v[90:91], v[8:9] op_sel_hi:[1,1,0] neg_lo:[0,0,1] neg_hi:[0,0,1]
	v_pk_fma_f32 v[4:5], v[4:5], v[90:91], v[10:11] op_sel:[1,0,0] op_sel_hi:[0,1,0]
	s_delay_alu instid0(VALU_DEP_1) | instskip(SKIP_1) | instid1(VALU_DEP_2)
	v_mov_b32_e32 v9, v5
	v_pk_mul_f32 v[4:5], v[6:7], v[2:3] op_sel:[0,1]
	v_pk_add_f32 v[144:145], v[144:145], v[8:9] neg_lo:[0,1] neg_hi:[0,1]
	s_delay_alu instid0(VALU_DEP_2) | instskip(SKIP_1) | instid1(VALU_DEP_1)
	v_pk_fma_f32 v[8:9], v[6:7], v[0:1], v[4:5] op_sel:[0,0,1] op_sel_hi:[1,1,0] neg_lo:[0,0,1] neg_hi:[0,0,1]
	v_pk_fma_f32 v[4:5], v[6:7], v[0:1], v[4:5] op_sel:[0,0,1] op_sel_hi:[1,0,0]
	v_mov_b32_e32 v9, v5
	ds_load_2addr_b64 v[4:7], v56 offset0:34 offset1:35
	v_pk_add_f32 v[140:141], v[140:141], v[8:9] neg_lo:[0,1] neg_hi:[0,1]
	s_wait_dscnt 0x0
	v_pk_mul_f32 v[8:9], v[4:5], v[2:3] op_sel:[0,1]
	s_delay_alu instid0(VALU_DEP_1) | instskip(SKIP_1) | instid1(VALU_DEP_1)
	v_pk_fma_f32 v[10:11], v[4:5], v[0:1], v[8:9] op_sel:[0,0,1] op_sel_hi:[1,1,0] neg_lo:[0,0,1] neg_hi:[0,0,1]
	v_pk_fma_f32 v[4:5], v[4:5], v[0:1], v[8:9] op_sel:[0,0,1] op_sel_hi:[1,0,0]
	v_mov_b32_e32 v11, v5
	v_pk_mul_f32 v[4:5], v[6:7], v[2:3] op_sel:[0,1]
	s_delay_alu instid0(VALU_DEP_2) | instskip(NEXT) | instid1(VALU_DEP_2)
	v_pk_add_f32 v[142:143], v[142:143], v[10:11] neg_lo:[0,1] neg_hi:[0,1]
	v_pk_fma_f32 v[8:9], v[6:7], v[0:1], v[4:5] op_sel:[0,0,1] op_sel_hi:[1,1,0] neg_lo:[0,0,1] neg_hi:[0,0,1]
	v_pk_fma_f32 v[4:5], v[6:7], v[0:1], v[4:5] op_sel:[0,0,1] op_sel_hi:[1,0,0]
	s_delay_alu instid0(VALU_DEP_1) | instskip(SKIP_4) | instid1(VALU_DEP_1)
	v_mov_b32_e32 v9, v5
	ds_load_2addr_b64 v[4:7], v56 offset0:36 offset1:37
	v_pk_add_f32 v[138:139], v[138:139], v[8:9] neg_lo:[0,1] neg_hi:[0,1]
	s_wait_dscnt 0x0
	v_pk_mul_f32 v[8:9], v[4:5], v[2:3] op_sel:[0,1]
	v_pk_fma_f32 v[10:11], v[4:5], v[0:1], v[8:9] op_sel:[0,0,1] op_sel_hi:[1,1,0] neg_lo:[0,0,1] neg_hi:[0,0,1]
	v_pk_fma_f32 v[4:5], v[4:5], v[0:1], v[8:9] op_sel:[0,0,1] op_sel_hi:[1,0,0]
	v_dual_mul_f32 v8, v7, v3 :: v_dual_mov_b32 v4, v7
	s_delay_alu instid0(VALU_DEP_2) | instskip(NEXT) | instid1(VALU_DEP_2)
	v_dual_mov_b32 v11, v5 :: v_dual_mov_b32 v5, v6
	v_pk_fma_f32 v[8:9], v[6:7], v[90:91], v[8:9] op_sel_hi:[1,1,0] neg_lo:[0,0,1] neg_hi:[0,0,1]
	v_mul_f32_e32 v6, v7, v0
	s_delay_alu instid0(VALU_DEP_3) | instskip(NEXT) | instid1(VALU_DEP_2)
	v_pk_add_f32 v[164:165], v[164:165], v[10:11] neg_lo:[0,1] neg_hi:[0,1]
	v_pk_fma_f32 v[4:5], v[4:5], v[90:91], v[6:7] op_sel_hi:[1,1,0]
	s_delay_alu instid0(VALU_DEP_1) | instskip(SKIP_4) | instid1(VALU_DEP_1)
	v_mov_b32_e32 v9, v5
	ds_load_2addr_b64 v[4:7], v56 offset0:38 offset1:39
	v_pk_add_f32 v[160:161], v[160:161], v[8:9] neg_lo:[0,1] neg_hi:[0,1]
	s_wait_dscnt 0x0
	v_pk_mul_f32 v[8:9], v[4:5], v[2:3] op_sel:[0,1]
	v_pk_fma_f32 v[10:11], v[4:5], v[0:1], v[8:9] op_sel:[0,0,1] op_sel_hi:[1,1,0] neg_lo:[0,0,1] neg_hi:[0,0,1]
	v_pk_fma_f32 v[4:5], v[4:5], v[0:1], v[8:9] op_sel:[0,0,1] op_sel_hi:[1,0,0]
	s_delay_alu instid0(VALU_DEP_1) | instskip(SKIP_1) | instid1(VALU_DEP_1)
	v_mov_b32_e32 v11, v5
	v_pk_mul_f32 v[4:5], v[6:7], v[2:3] op_sel:[0,1]
	v_pk_fma_f32 v[8:9], v[6:7], v[0:1], v[4:5] op_sel:[0,0,1] op_sel_hi:[1,1,0] neg_lo:[0,0,1] neg_hi:[0,0,1]
	v_pk_fma_f32 v[4:5], v[6:7], v[0:1], v[4:5] op_sel:[0,0,1] op_sel_hi:[1,0,0]
	s_delay_alu instid0(VALU_DEP_1)
	v_mov_b32_e32 v9, v5
	ds_load_2addr_b64 v[4:7], v56 offset0:40 offset1:41
	v_pk_add_f32 v[162:163], v[162:163], v[10:11] neg_lo:[0,1] neg_hi:[0,1]
	v_pk_add_f32 v[158:159], v[158:159], v[8:9] neg_lo:[0,1] neg_hi:[0,1]
	s_wait_dscnt 0x0
	v_pk_mul_f32 v[8:9], v[4:5], v[2:3] op_sel:[0,1]
	s_delay_alu instid0(VALU_DEP_1) | instskip(SKIP_1) | instid1(VALU_DEP_1)
	v_pk_fma_f32 v[10:11], v[4:5], v[0:1], v[8:9] op_sel:[0,0,1] op_sel_hi:[1,1,0] neg_lo:[0,0,1] neg_hi:[0,0,1]
	v_pk_fma_f32 v[4:5], v[4:5], v[0:1], v[8:9] op_sel:[0,0,1] op_sel_hi:[1,0,0]
	v_mov_b32_e32 v11, v5
	v_pk_mul_f32 v[4:5], v[6:7], v[2:3] op_sel:[0,1]
	s_delay_alu instid0(VALU_DEP_1) | instskip(SKIP_1) | instid1(VALU_DEP_1)
	v_pk_fma_f32 v[8:9], v[6:7], v[0:1], v[4:5] op_sel:[0,0,1] op_sel_hi:[1,1,0] neg_lo:[0,0,1] neg_hi:[0,0,1]
	v_pk_fma_f32 v[4:5], v[6:7], v[0:1], v[4:5] op_sel:[0,0,1] op_sel_hi:[1,0,0]
	v_mov_b32_e32 v9, v5
	ds_load_2addr_b64 v[4:7], v56 offset0:42 offset1:43
	v_pk_add_f32 v[188:189], v[188:189], v[10:11] neg_lo:[0,1] neg_hi:[0,1]
	v_pk_add_f32 v[182:183], v[182:183], v[8:9] neg_lo:[0,1] neg_hi:[0,1]
	s_wait_dscnt 0x0
	v_dual_mul_f32 v8, v5, v3 :: v_dual_mul_f32 v10, v5, v0
	s_delay_alu instid0(VALU_DEP_1) | instskip(NEXT) | instid1(VALU_DEP_2)
	v_pk_fma_f32 v[8:9], v[4:5], v[90:91], v[8:9] op_sel_hi:[1,1,0] neg_lo:[0,0,1] neg_hi:[0,0,1]
	v_pk_fma_f32 v[4:5], v[4:5], v[90:91], v[10:11] op_sel:[1,0,0] op_sel_hi:[0,1,0]
	s_delay_alu instid0(VALU_DEP_1) | instskip(SKIP_1) | instid1(VALU_DEP_2)
	v_mov_b32_e32 v9, v5
	v_pk_mul_f32 v[4:5], v[6:7], v[2:3] op_sel:[0,1]
	v_pk_add_f32 v[186:187], v[186:187], v[8:9] neg_lo:[0,1] neg_hi:[0,1]
	s_delay_alu instid0(VALU_DEP_2) | instskip(SKIP_1) | instid1(VALU_DEP_1)
	v_pk_fma_f32 v[8:9], v[6:7], v[0:1], v[4:5] op_sel:[0,0,1] op_sel_hi:[1,1,0] neg_lo:[0,0,1] neg_hi:[0,0,1]
	v_pk_fma_f32 v[4:5], v[6:7], v[0:1], v[4:5] op_sel:[0,0,1] op_sel_hi:[1,0,0]
	v_mov_b32_e32 v9, v5
	ds_load_2addr_b64 v[4:7], v56 offset0:44 offset1:45
	v_pk_add_f32 v[180:181], v[180:181], v[8:9] neg_lo:[0,1] neg_hi:[0,1]
	s_wait_dscnt 0x0
	v_pk_mul_f32 v[8:9], v[4:5], v[2:3] op_sel:[0,1]
	s_delay_alu instid0(VALU_DEP_1) | instskip(SKIP_1) | instid1(VALU_DEP_1)
	v_pk_fma_f32 v[10:11], v[4:5], v[0:1], v[8:9] op_sel:[0,0,1] op_sel_hi:[1,1,0] neg_lo:[0,0,1] neg_hi:[0,0,1]
	v_pk_fma_f32 v[4:5], v[4:5], v[0:1], v[8:9] op_sel:[0,0,1] op_sel_hi:[1,0,0]
	v_mov_b32_e32 v11, v5
	v_pk_mul_f32 v[4:5], v[6:7], v[2:3] op_sel:[0,1]
	s_delay_alu instid0(VALU_DEP_2) | instskip(NEXT) | instid1(VALU_DEP_2)
	v_pk_add_f32 v[184:185], v[184:185], v[10:11] neg_lo:[0,1] neg_hi:[0,1]
	v_pk_fma_f32 v[8:9], v[6:7], v[0:1], v[4:5] op_sel:[0,0,1] op_sel_hi:[1,1,0] neg_lo:[0,0,1] neg_hi:[0,0,1]
	v_pk_fma_f32 v[4:5], v[6:7], v[0:1], v[4:5] op_sel:[0,0,1] op_sel_hi:[1,0,0]
	s_delay_alu instid0(VALU_DEP_1)
	v_mov_b32_e32 v9, v5
	ds_load_2addr_b64 v[4:7], v56 offset0:46 offset1:47
	v_pk_add_f32 v[178:179], v[178:179], v[8:9] neg_lo:[0,1] neg_hi:[0,1]
	s_wait_dscnt 0x0
	v_pk_mul_f32 v[8:9], v[4:5], v[2:3] op_sel:[0,1]
	v_mul_f32_e32 v2, v7, v3
	s_delay_alu instid0(VALU_DEP_2) | instskip(SKIP_2) | instid1(VALU_DEP_4)
	v_pk_fma_f32 v[10:11], v[4:5], v[0:1], v[8:9] op_sel:[0,0,1] op_sel_hi:[1,1,0] neg_lo:[0,0,1] neg_hi:[0,0,1]
	v_pk_fma_f32 v[4:5], v[4:5], v[0:1], v[8:9] op_sel:[0,0,1] op_sel_hi:[1,0,0]
	v_dual_mov_b32 v4, v7 :: v_dual_mul_f32 v0, v7, v0
	v_pk_fma_f32 v[2:3], v[6:7], v[90:91], v[2:3] op_sel_hi:[1,1,0] neg_lo:[0,0,1] neg_hi:[0,0,1]
	s_delay_alu instid0(VALU_DEP_3) | instskip(NEXT) | instid1(VALU_DEP_1)
	v_dual_mov_b32 v11, v5 :: v_dual_mov_b32 v5, v6
	v_pk_add_f32 v[190:191], v[190:191], v[10:11] neg_lo:[0,1] neg_hi:[0,1]
	s_delay_alu instid0(VALU_DEP_2) | instskip(NEXT) | instid1(VALU_DEP_1)
	v_pk_fma_f32 v[0:1], v[4:5], v[90:91], v[0:1] op_sel_hi:[1,1,0]
	v_mov_b32_e32 v3, v1
	s_delay_alu instid0(VALU_DEP_1)
	v_pk_add_f32 v[192:193], v[192:193], v[2:3] neg_lo:[0,1] neg_hi:[0,1]
.LBB95_217:
	s_or_b32 exec_lo, exec_lo, s1
	s_delay_alu instid0(SALU_CYCLE_1)
	s_mov_b32 s2, exec_lo
	s_wait_dscnt 0x0
	s_barrier_signal -1
	s_barrier_wait -1
	v_cmpx_eq_u32_e32 24, v54
	s_cbranch_execz .LBB95_224
; %bb.218:
	ds_store_b64 v55, v[112:113]
	ds_store_2addr_b64 v56, v[108:109], v[110:111] offset0:25 offset1:26
	ds_store_2addr_b64 v56, v[106:107], v[128:129] offset0:27 offset1:28
	;; [unrolled: 1-line block ×11, first 2 shown]
	ds_store_b64 v56, v[192:193] offset:376
	ds_load_b64 v[0:1], v55
	s_wait_dscnt 0x0
	v_cmp_neq_f32_e32 vcc_lo, 0, v0
	v_cmp_neq_f32_e64 s1, 0, v1
	s_or_b32 s1, vcc_lo, s1
	s_delay_alu instid0(SALU_CYCLE_1)
	s_and_b32 exec_lo, exec_lo, s1
	s_cbranch_execz .LBB95_224
; %bb.219:
	v_cmp_ngt_f32_e64 s1, |v0|, |v1|
                                        ; implicit-def: $vgpr2_vgpr3
	s_and_saveexec_b32 s4, s1
	s_delay_alu instid0(SALU_CYCLE_1)
	s_xor_b32 s1, exec_lo, s4
	s_cbranch_execz .LBB95_221
; %bb.220:
	v_div_scale_f32 v2, null, v1, v1, v0
	v_div_scale_f32 v5, vcc_lo, v0, v1, v0
	s_delay_alu instid0(VALU_DEP_2) | instskip(SKIP_1) | instid1(TRANS32_DEP_1)
	v_rcp_f32_e32 v3, v2
	v_nop
	v_fma_f32 v4, -v2, v3, 1.0
	s_delay_alu instid0(VALU_DEP_1) | instskip(NEXT) | instid1(VALU_DEP_1)
	v_fmac_f32_e32 v3, v4, v3
	v_mul_f32_e32 v4, v5, v3
	s_delay_alu instid0(VALU_DEP_1) | instskip(NEXT) | instid1(VALU_DEP_1)
	v_fma_f32 v6, -v2, v4, v5
	v_fmac_f32_e32 v4, v6, v3
	s_delay_alu instid0(VALU_DEP_1) | instskip(NEXT) | instid1(VALU_DEP_1)
	v_fma_f32 v2, -v2, v4, v5
	v_div_fmas_f32 v2, v2, v3, v4
	s_delay_alu instid0(VALU_DEP_1) | instskip(NEXT) | instid1(VALU_DEP_1)
	v_div_fixup_f32 v2, v2, v1, v0
	v_fmac_f32_e32 v1, v0, v2
	s_delay_alu instid0(VALU_DEP_1) | instskip(SKIP_1) | instid1(VALU_DEP_2)
	v_div_scale_f32 v0, null, v1, v1, 1.0
	v_div_scale_f32 v5, vcc_lo, 1.0, v1, 1.0
	v_rcp_f32_e32 v3, v0
	v_nop
	s_delay_alu instid0(TRANS32_DEP_1) | instskip(NEXT) | instid1(VALU_DEP_1)
	v_fma_f32 v4, -v0, v3, 1.0
	v_fmac_f32_e32 v3, v4, v3
	s_delay_alu instid0(VALU_DEP_1) | instskip(NEXT) | instid1(VALU_DEP_1)
	v_mul_f32_e32 v4, v5, v3
	v_fma_f32 v6, -v0, v4, v5
	s_delay_alu instid0(VALU_DEP_1) | instskip(NEXT) | instid1(VALU_DEP_1)
	v_fmac_f32_e32 v4, v6, v3
	v_fma_f32 v0, -v0, v4, v5
	s_delay_alu instid0(VALU_DEP_1) | instskip(NEXT) | instid1(VALU_DEP_1)
	v_div_fmas_f32 v0, v0, v3, v4
	v_div_fixup_f32 v0, v0, v1, 1.0
	s_delay_alu instid0(VALU_DEP_1)
	v_mul_f32_e32 v2, v2, v0
	v_xor_b32_e32 v3, 0x80000000, v0
                                        ; implicit-def: $vgpr0_vgpr1
.LBB95_221:
	s_and_not1_saveexec_b32 s1, s1
	s_cbranch_execz .LBB95_223
; %bb.222:
	v_div_scale_f32 v2, null, v0, v0, v1
	v_div_scale_f32 v5, vcc_lo, v1, v0, v1
	s_delay_alu instid0(VALU_DEP_2) | instskip(SKIP_1) | instid1(TRANS32_DEP_1)
	v_rcp_f32_e32 v3, v2
	v_nop
	v_fma_f32 v4, -v2, v3, 1.0
	s_delay_alu instid0(VALU_DEP_1) | instskip(NEXT) | instid1(VALU_DEP_1)
	v_fmac_f32_e32 v3, v4, v3
	v_mul_f32_e32 v4, v5, v3
	s_delay_alu instid0(VALU_DEP_1) | instskip(NEXT) | instid1(VALU_DEP_1)
	v_fma_f32 v6, -v2, v4, v5
	v_fmac_f32_e32 v4, v6, v3
	s_delay_alu instid0(VALU_DEP_1) | instskip(NEXT) | instid1(VALU_DEP_1)
	v_fma_f32 v2, -v2, v4, v5
	v_div_fmas_f32 v2, v2, v3, v4
	s_delay_alu instid0(VALU_DEP_1) | instskip(NEXT) | instid1(VALU_DEP_1)
	v_div_fixup_f32 v3, v2, v0, v1
	v_fmac_f32_e32 v0, v1, v3
	s_delay_alu instid0(VALU_DEP_1) | instskip(NEXT) | instid1(VALU_DEP_1)
	v_div_scale_f32 v1, null, v0, v0, 1.0
	v_rcp_f32_e32 v2, v1
	v_nop
	s_delay_alu instid0(TRANS32_DEP_1) | instskip(NEXT) | instid1(VALU_DEP_1)
	v_fma_f32 v4, -v1, v2, 1.0
	v_fmac_f32_e32 v2, v4, v2
	v_div_scale_f32 v4, vcc_lo, 1.0, v0, 1.0
	s_delay_alu instid0(VALU_DEP_1) | instskip(NEXT) | instid1(VALU_DEP_1)
	v_mul_f32_e32 v5, v4, v2
	v_fma_f32 v6, -v1, v5, v4
	s_delay_alu instid0(VALU_DEP_1) | instskip(NEXT) | instid1(VALU_DEP_1)
	v_fmac_f32_e32 v5, v6, v2
	v_fma_f32 v1, -v1, v5, v4
	s_delay_alu instid0(VALU_DEP_1) | instskip(NEXT) | instid1(VALU_DEP_1)
	v_div_fmas_f32 v1, v1, v2, v5
	v_div_fixup_f32 v2, v1, v0, 1.0
	s_delay_alu instid0(VALU_DEP_1)
	v_mul_f32_e64 v3, v3, -v2
.LBB95_223:
	s_or_b32 exec_lo, exec_lo, s1
	ds_store_b64 v55, v[2:3]
.LBB95_224:
	s_or_b32 exec_lo, exec_lo, s2
	s_wait_dscnt 0x0
	s_barrier_signal -1
	s_barrier_wait -1
	ds_load_b64 v[242:243], v55
	s_mov_b32 s1, exec_lo
	v_cmpx_lt_u32_e32 24, v54
	s_cbranch_execz .LBB95_226
; %bb.225:
	ds_load_2addr_b64 v[4:7], v56 offset0:25 offset1:26
	s_wait_dscnt 0x1
	v_pk_mul_f32 v[2:3], v[242:243], v[112:113] op_sel:[1,1] op_sel_hi:[0,1]
	s_delay_alu instid0(VALU_DEP_1) | instskip(SKIP_1) | instid1(VALU_DEP_1)
	v_pk_fma_f32 v[0:1], v[242:243], v[112:113], v[2:3] op_sel_hi:[1,0,1] neg_lo:[0,0,1] neg_hi:[0,0,1]
	v_pk_fma_f32 v[2:3], v[242:243], v[112:113], v[2:3] op_sel_hi:[1,0,1]
	v_dual_mov_b32 v112, v0 :: v_dual_mov_b32 v113, v3
	s_wait_dscnt 0x0
	s_delay_alu instid0(VALU_DEP_2) | instskip(NEXT) | instid1(VALU_DEP_1)
	v_pk_mul_f32 v[8:9], v[4:5], v[2:3] op_sel:[0,1]
	v_pk_fma_f32 v[10:11], v[4:5], v[0:1], v[8:9] op_sel:[0,0,1] op_sel_hi:[1,1,0] neg_lo:[0,0,1] neg_hi:[0,0,1]
	v_pk_fma_f32 v[4:5], v[4:5], v[0:1], v[8:9] op_sel:[0,0,1] op_sel_hi:[1,0,0]
	s_delay_alu instid0(VALU_DEP_1) | instskip(SKIP_1) | instid1(VALU_DEP_1)
	v_mov_b32_e32 v11, v5
	v_pk_mul_f32 v[4:5], v[6:7], v[2:3] op_sel:[0,1]
	v_pk_fma_f32 v[8:9], v[6:7], v[0:1], v[4:5] op_sel:[0,0,1] op_sel_hi:[1,1,0] neg_lo:[0,0,1] neg_hi:[0,0,1]
	v_pk_fma_f32 v[4:5], v[6:7], v[0:1], v[4:5] op_sel:[0,0,1] op_sel_hi:[1,0,0]
	s_delay_alu instid0(VALU_DEP_1)
	v_mov_b32_e32 v9, v5
	ds_load_2addr_b64 v[4:7], v56 offset0:27 offset1:28
	v_pk_add_f32 v[108:109], v[108:109], v[10:11] neg_lo:[0,1] neg_hi:[0,1]
	v_pk_add_f32 v[110:111], v[110:111], v[8:9] neg_lo:[0,1] neg_hi:[0,1]
	s_wait_dscnt 0x0
	v_pk_mul_f32 v[8:9], v[4:5], v[2:3] op_sel:[0,1]
	s_delay_alu instid0(VALU_DEP_1) | instskip(SKIP_2) | instid1(VALU_DEP_2)
	v_pk_fma_f32 v[10:11], v[4:5], v[0:1], v[8:9] op_sel:[0,0,1] op_sel_hi:[1,1,0] neg_lo:[0,0,1] neg_hi:[0,0,1]
	v_pk_fma_f32 v[4:5], v[4:5], v[0:1], v[8:9] op_sel:[0,0,1] op_sel_hi:[1,0,0]
	v_dual_mul_f32 v8, v7, v3 :: v_dual_mov_b32 v4, v7
	v_dual_mov_b32 v11, v5 :: v_dual_mov_b32 v5, v6
	s_delay_alu instid0(VALU_DEP_2) | instskip(SKIP_1) | instid1(VALU_DEP_3)
	v_pk_fma_f32 v[8:9], v[6:7], v[112:113], v[8:9] op_sel_hi:[1,1,0] neg_lo:[0,0,1] neg_hi:[0,0,1]
	v_mul_f32_e32 v6, v7, v0
	v_pk_add_f32 v[106:107], v[106:107], v[10:11] neg_lo:[0,1] neg_hi:[0,1]
	s_delay_alu instid0(VALU_DEP_2) | instskip(NEXT) | instid1(VALU_DEP_1)
	v_pk_fma_f32 v[4:5], v[4:5], v[112:113], v[6:7] op_sel_hi:[1,1,0]
	v_mov_b32_e32 v9, v5
	ds_load_2addr_b64 v[4:7], v56 offset0:29 offset1:30
	v_pk_add_f32 v[128:129], v[128:129], v[8:9] neg_lo:[0,1] neg_hi:[0,1]
	s_wait_dscnt 0x0
	v_pk_mul_f32 v[8:9], v[4:5], v[2:3] op_sel:[0,1]
	s_delay_alu instid0(VALU_DEP_1) | instskip(SKIP_1) | instid1(VALU_DEP_1)
	v_pk_fma_f32 v[10:11], v[4:5], v[0:1], v[8:9] op_sel:[0,0,1] op_sel_hi:[1,1,0] neg_lo:[0,0,1] neg_hi:[0,0,1]
	v_pk_fma_f32 v[4:5], v[4:5], v[0:1], v[8:9] op_sel:[0,0,1] op_sel_hi:[1,0,0]
	v_mov_b32_e32 v11, v5
	v_pk_mul_f32 v[4:5], v[6:7], v[2:3] op_sel:[0,1]
	s_delay_alu instid0(VALU_DEP_1) | instskip(SKIP_1) | instid1(VALU_DEP_1)
	v_pk_fma_f32 v[8:9], v[6:7], v[0:1], v[4:5] op_sel:[0,0,1] op_sel_hi:[1,1,0] neg_lo:[0,0,1] neg_hi:[0,0,1]
	v_pk_fma_f32 v[4:5], v[6:7], v[0:1], v[4:5] op_sel:[0,0,1] op_sel_hi:[1,0,0]
	v_mov_b32_e32 v9, v5
	ds_load_2addr_b64 v[4:7], v56 offset0:31 offset1:32
	v_pk_add_f32 v[124:125], v[124:125], v[10:11] neg_lo:[0,1] neg_hi:[0,1]
	v_pk_add_f32 v[126:127], v[126:127], v[8:9] neg_lo:[0,1] neg_hi:[0,1]
	s_wait_dscnt 0x0
	v_pk_mul_f32 v[8:9], v[4:5], v[2:3] op_sel:[0,1]
	s_delay_alu instid0(VALU_DEP_1) | instskip(SKIP_1) | instid1(VALU_DEP_1)
	v_pk_fma_f32 v[10:11], v[4:5], v[0:1], v[8:9] op_sel:[0,0,1] op_sel_hi:[1,1,0] neg_lo:[0,0,1] neg_hi:[0,0,1]
	v_pk_fma_f32 v[4:5], v[4:5], v[0:1], v[8:9] op_sel:[0,0,1] op_sel_hi:[1,0,0]
	v_mov_b32_e32 v11, v5
	v_pk_mul_f32 v[4:5], v[6:7], v[2:3] op_sel:[0,1]
	s_delay_alu instid0(VALU_DEP_1) | instskip(SKIP_1) | instid1(VALU_DEP_1)
	v_pk_fma_f32 v[8:9], v[6:7], v[0:1], v[4:5] op_sel:[0,0,1] op_sel_hi:[1,1,0] neg_lo:[0,0,1] neg_hi:[0,0,1]
	v_pk_fma_f32 v[4:5], v[6:7], v[0:1], v[4:5] op_sel:[0,0,1] op_sel_hi:[1,0,0]
	v_mov_b32_e32 v9, v5
	ds_load_2addr_b64 v[4:7], v56 offset0:33 offset1:34
	v_pk_add_f32 v[122:123], v[122:123], v[10:11] neg_lo:[0,1] neg_hi:[0,1]
	v_pk_add_f32 v[144:145], v[144:145], v[8:9] neg_lo:[0,1] neg_hi:[0,1]
	s_wait_dscnt 0x0
	v_dual_mul_f32 v8, v5, v3 :: v_dual_mul_f32 v10, v5, v0
	s_delay_alu instid0(VALU_DEP_1) | instskip(NEXT) | instid1(VALU_DEP_2)
	v_pk_fma_f32 v[8:9], v[4:5], v[112:113], v[8:9] op_sel_hi:[1,1,0] neg_lo:[0,0,1] neg_hi:[0,0,1]
	v_pk_fma_f32 v[4:5], v[4:5], v[112:113], v[10:11] op_sel:[1,0,0] op_sel_hi:[0,1,0]
	s_delay_alu instid0(VALU_DEP_1) | instskip(SKIP_1) | instid1(VALU_DEP_2)
	v_mov_b32_e32 v9, v5
	v_pk_mul_f32 v[4:5], v[6:7], v[2:3] op_sel:[0,1]
	v_pk_add_f32 v[140:141], v[140:141], v[8:9] neg_lo:[0,1] neg_hi:[0,1]
	s_delay_alu instid0(VALU_DEP_2) | instskip(SKIP_1) | instid1(VALU_DEP_1)
	v_pk_fma_f32 v[8:9], v[6:7], v[0:1], v[4:5] op_sel:[0,0,1] op_sel_hi:[1,1,0] neg_lo:[0,0,1] neg_hi:[0,0,1]
	v_pk_fma_f32 v[4:5], v[6:7], v[0:1], v[4:5] op_sel:[0,0,1] op_sel_hi:[1,0,0]
	v_mov_b32_e32 v9, v5
	ds_load_2addr_b64 v[4:7], v56 offset0:35 offset1:36
	v_pk_add_f32 v[142:143], v[142:143], v[8:9] neg_lo:[0,1] neg_hi:[0,1]
	s_wait_dscnt 0x0
	v_pk_mul_f32 v[8:9], v[4:5], v[2:3] op_sel:[0,1]
	s_delay_alu instid0(VALU_DEP_1) | instskip(SKIP_1) | instid1(VALU_DEP_1)
	v_pk_fma_f32 v[10:11], v[4:5], v[0:1], v[8:9] op_sel:[0,0,1] op_sel_hi:[1,1,0] neg_lo:[0,0,1] neg_hi:[0,0,1]
	v_pk_fma_f32 v[4:5], v[4:5], v[0:1], v[8:9] op_sel:[0,0,1] op_sel_hi:[1,0,0]
	v_mov_b32_e32 v11, v5
	v_pk_mul_f32 v[4:5], v[6:7], v[2:3] op_sel:[0,1]
	s_delay_alu instid0(VALU_DEP_2) | instskip(NEXT) | instid1(VALU_DEP_2)
	v_pk_add_f32 v[138:139], v[138:139], v[10:11] neg_lo:[0,1] neg_hi:[0,1]
	v_pk_fma_f32 v[8:9], v[6:7], v[0:1], v[4:5] op_sel:[0,0,1] op_sel_hi:[1,1,0] neg_lo:[0,0,1] neg_hi:[0,0,1]
	v_pk_fma_f32 v[4:5], v[6:7], v[0:1], v[4:5] op_sel:[0,0,1] op_sel_hi:[1,0,0]
	s_delay_alu instid0(VALU_DEP_1) | instskip(SKIP_4) | instid1(VALU_DEP_1)
	v_mov_b32_e32 v9, v5
	ds_load_2addr_b64 v[4:7], v56 offset0:37 offset1:38
	v_pk_add_f32 v[164:165], v[164:165], v[8:9] neg_lo:[0,1] neg_hi:[0,1]
	s_wait_dscnt 0x0
	v_pk_mul_f32 v[8:9], v[4:5], v[2:3] op_sel:[0,1]
	v_pk_fma_f32 v[10:11], v[4:5], v[0:1], v[8:9] op_sel:[0,0,1] op_sel_hi:[1,1,0] neg_lo:[0,0,1] neg_hi:[0,0,1]
	v_pk_fma_f32 v[4:5], v[4:5], v[0:1], v[8:9] op_sel:[0,0,1] op_sel_hi:[1,0,0]
	v_dual_mul_f32 v8, v7, v3 :: v_dual_mov_b32 v4, v7
	s_delay_alu instid0(VALU_DEP_2) | instskip(NEXT) | instid1(VALU_DEP_2)
	v_dual_mov_b32 v11, v5 :: v_dual_mov_b32 v5, v6
	v_pk_fma_f32 v[8:9], v[6:7], v[112:113], v[8:9] op_sel_hi:[1,1,0] neg_lo:[0,0,1] neg_hi:[0,0,1]
	v_mul_f32_e32 v6, v7, v0
	s_delay_alu instid0(VALU_DEP_3) | instskip(NEXT) | instid1(VALU_DEP_2)
	v_pk_add_f32 v[160:161], v[160:161], v[10:11] neg_lo:[0,1] neg_hi:[0,1]
	v_pk_fma_f32 v[4:5], v[4:5], v[112:113], v[6:7] op_sel_hi:[1,1,0]
	s_delay_alu instid0(VALU_DEP_1) | instskip(SKIP_4) | instid1(VALU_DEP_1)
	v_mov_b32_e32 v9, v5
	ds_load_2addr_b64 v[4:7], v56 offset0:39 offset1:40
	v_pk_add_f32 v[162:163], v[162:163], v[8:9] neg_lo:[0,1] neg_hi:[0,1]
	s_wait_dscnt 0x0
	v_pk_mul_f32 v[8:9], v[4:5], v[2:3] op_sel:[0,1]
	v_pk_fma_f32 v[10:11], v[4:5], v[0:1], v[8:9] op_sel:[0,0,1] op_sel_hi:[1,1,0] neg_lo:[0,0,1] neg_hi:[0,0,1]
	v_pk_fma_f32 v[4:5], v[4:5], v[0:1], v[8:9] op_sel:[0,0,1] op_sel_hi:[1,0,0]
	s_delay_alu instid0(VALU_DEP_1) | instskip(SKIP_1) | instid1(VALU_DEP_1)
	v_mov_b32_e32 v11, v5
	v_pk_mul_f32 v[4:5], v[6:7], v[2:3] op_sel:[0,1]
	v_pk_fma_f32 v[8:9], v[6:7], v[0:1], v[4:5] op_sel:[0,0,1] op_sel_hi:[1,1,0] neg_lo:[0,0,1] neg_hi:[0,0,1]
	v_pk_fma_f32 v[4:5], v[6:7], v[0:1], v[4:5] op_sel:[0,0,1] op_sel_hi:[1,0,0]
	s_delay_alu instid0(VALU_DEP_1)
	v_mov_b32_e32 v9, v5
	ds_load_2addr_b64 v[4:7], v56 offset0:41 offset1:42
	v_pk_add_f32 v[158:159], v[158:159], v[10:11] neg_lo:[0,1] neg_hi:[0,1]
	v_pk_add_f32 v[188:189], v[188:189], v[8:9] neg_lo:[0,1] neg_hi:[0,1]
	s_wait_dscnt 0x0
	v_pk_mul_f32 v[8:9], v[4:5], v[2:3] op_sel:[0,1]
	s_delay_alu instid0(VALU_DEP_1) | instskip(SKIP_1) | instid1(VALU_DEP_1)
	v_pk_fma_f32 v[10:11], v[4:5], v[0:1], v[8:9] op_sel:[0,0,1] op_sel_hi:[1,1,0] neg_lo:[0,0,1] neg_hi:[0,0,1]
	v_pk_fma_f32 v[4:5], v[4:5], v[0:1], v[8:9] op_sel:[0,0,1] op_sel_hi:[1,0,0]
	v_mov_b32_e32 v11, v5
	v_pk_mul_f32 v[4:5], v[6:7], v[2:3] op_sel:[0,1]
	s_delay_alu instid0(VALU_DEP_1) | instskip(SKIP_1) | instid1(VALU_DEP_1)
	v_pk_fma_f32 v[8:9], v[6:7], v[0:1], v[4:5] op_sel:[0,0,1] op_sel_hi:[1,1,0] neg_lo:[0,0,1] neg_hi:[0,0,1]
	v_pk_fma_f32 v[4:5], v[6:7], v[0:1], v[4:5] op_sel:[0,0,1] op_sel_hi:[1,0,0]
	v_mov_b32_e32 v9, v5
	ds_load_2addr_b64 v[4:7], v56 offset0:43 offset1:44
	v_pk_add_f32 v[182:183], v[182:183], v[10:11] neg_lo:[0,1] neg_hi:[0,1]
	v_pk_add_f32 v[186:187], v[186:187], v[8:9] neg_lo:[0,1] neg_hi:[0,1]
	s_wait_dscnt 0x0
	v_dual_mul_f32 v8, v5, v3 :: v_dual_mul_f32 v10, v5, v0
	s_delay_alu instid0(VALU_DEP_1) | instskip(NEXT) | instid1(VALU_DEP_2)
	v_pk_fma_f32 v[8:9], v[4:5], v[112:113], v[8:9] op_sel_hi:[1,1,0] neg_lo:[0,0,1] neg_hi:[0,0,1]
	v_pk_fma_f32 v[4:5], v[4:5], v[112:113], v[10:11] op_sel:[1,0,0] op_sel_hi:[0,1,0]
	s_delay_alu instid0(VALU_DEP_1) | instskip(SKIP_1) | instid1(VALU_DEP_2)
	v_mov_b32_e32 v9, v5
	v_pk_mul_f32 v[4:5], v[6:7], v[2:3] op_sel:[0,1]
	v_pk_add_f32 v[180:181], v[180:181], v[8:9] neg_lo:[0,1] neg_hi:[0,1]
	s_delay_alu instid0(VALU_DEP_2) | instskip(SKIP_1) | instid1(VALU_DEP_1)
	v_pk_fma_f32 v[8:9], v[6:7], v[0:1], v[4:5] op_sel:[0,0,1] op_sel_hi:[1,1,0] neg_lo:[0,0,1] neg_hi:[0,0,1]
	v_pk_fma_f32 v[4:5], v[6:7], v[0:1], v[4:5] op_sel:[0,0,1] op_sel_hi:[1,0,0]
	v_mov_b32_e32 v9, v5
	ds_load_2addr_b64 v[4:7], v56 offset0:45 offset1:46
	v_pk_add_f32 v[184:185], v[184:185], v[8:9] neg_lo:[0,1] neg_hi:[0,1]
	s_wait_dscnt 0x0
	v_pk_mul_f32 v[8:9], v[4:5], v[2:3] op_sel:[0,1]
	s_delay_alu instid0(VALU_DEP_1) | instskip(SKIP_1) | instid1(VALU_DEP_1)
	v_pk_fma_f32 v[10:11], v[4:5], v[0:1], v[8:9] op_sel:[0,0,1] op_sel_hi:[1,1,0] neg_lo:[0,0,1] neg_hi:[0,0,1]
	v_pk_fma_f32 v[4:5], v[4:5], v[0:1], v[8:9] op_sel:[0,0,1] op_sel_hi:[1,0,0]
	v_mov_b32_e32 v11, v5
	v_pk_mul_f32 v[4:5], v[6:7], v[2:3] op_sel:[0,1]
	s_delay_alu instid0(VALU_DEP_2) | instskip(NEXT) | instid1(VALU_DEP_2)
	v_pk_add_f32 v[178:179], v[178:179], v[10:11] neg_lo:[0,1] neg_hi:[0,1]
	v_pk_fma_f32 v[8:9], v[6:7], v[0:1], v[4:5] op_sel:[0,0,1] op_sel_hi:[1,1,0] neg_lo:[0,0,1] neg_hi:[0,0,1]
	v_pk_fma_f32 v[4:5], v[6:7], v[0:1], v[4:5] op_sel:[0,0,1] op_sel_hi:[1,0,0]
	s_delay_alu instid0(VALU_DEP_1) | instskip(SKIP_4) | instid1(VALU_DEP_1)
	v_mov_b32_e32 v9, v5
	ds_load_b64 v[4:5], v56 offset:376
	v_pk_add_f32 v[190:191], v[190:191], v[8:9] neg_lo:[0,1] neg_hi:[0,1]
	s_wait_dscnt 0x0
	v_pk_mul_f32 v[2:3], v[4:5], v[2:3] op_sel:[0,1]
	v_pk_fma_f32 v[6:7], v[4:5], v[0:1], v[2:3] op_sel:[0,0,1] op_sel_hi:[1,1,0] neg_lo:[0,0,1] neg_hi:[0,0,1]
	v_pk_fma_f32 v[0:1], v[4:5], v[0:1], v[2:3] op_sel:[0,0,1] op_sel_hi:[1,0,0]
	s_delay_alu instid0(VALU_DEP_1) | instskip(NEXT) | instid1(VALU_DEP_1)
	v_mov_b32_e32 v7, v1
	v_pk_add_f32 v[192:193], v[192:193], v[6:7] neg_lo:[0,1] neg_hi:[0,1]
.LBB95_226:
	s_or_b32 exec_lo, exec_lo, s1
	s_delay_alu instid0(SALU_CYCLE_1)
	s_mov_b32 s2, exec_lo
	s_wait_dscnt 0x0
	s_barrier_signal -1
	s_barrier_wait -1
	v_cmpx_eq_u32_e32 25, v54
	s_cbranch_execz .LBB95_233
; %bb.227:
	v_dual_mov_b32 v0, v110 :: v_dual_mov_b32 v1, v111
	v_dual_mov_b32 v2, v106 :: v_dual_mov_b32 v3, v107
	ds_store_b64 v55, v[108:109]
	ds_store_2addr_b64 v56, v[0:1], v[2:3] offset0:26 offset1:27
	v_dual_mov_b32 v0, v128 :: v_dual_mov_b32 v1, v129
	v_dual_mov_b32 v2, v124 :: v_dual_mov_b32 v3, v125
	ds_store_2addr_b64 v56, v[0:1], v[2:3] offset0:28 offset1:29
	v_dual_mov_b32 v0, v126 :: v_dual_mov_b32 v1, v127
	v_dual_mov_b32 v2, v122 :: v_dual_mov_b32 v3, v123
	;; [unrolled: 3-line block ×9, first 2 shown]
	ds_store_2addr_b64 v56, v[0:1], v[2:3] offset0:44 offset1:45
	v_dual_mov_b32 v0, v190 :: v_dual_mov_b32 v1, v191
	ds_store_2addr_b64 v56, v[0:1], v[192:193] offset0:46 offset1:47
	ds_load_b64 v[0:1], v55
	s_wait_dscnt 0x0
	v_cmp_neq_f32_e32 vcc_lo, 0, v0
	v_cmp_neq_f32_e64 s1, 0, v1
	s_or_b32 s1, vcc_lo, s1
	s_delay_alu instid0(SALU_CYCLE_1)
	s_and_b32 exec_lo, exec_lo, s1
	s_cbranch_execz .LBB95_233
; %bb.228:
	v_cmp_ngt_f32_e64 s1, |v0|, |v1|
                                        ; implicit-def: $vgpr2_vgpr3
	s_and_saveexec_b32 s4, s1
	s_delay_alu instid0(SALU_CYCLE_1)
	s_xor_b32 s1, exec_lo, s4
	s_cbranch_execz .LBB95_230
; %bb.229:
	v_div_scale_f32 v2, null, v1, v1, v0
	v_div_scale_f32 v5, vcc_lo, v0, v1, v0
	s_delay_alu instid0(VALU_DEP_2) | instskip(SKIP_1) | instid1(TRANS32_DEP_1)
	v_rcp_f32_e32 v3, v2
	v_nop
	v_fma_f32 v4, -v2, v3, 1.0
	s_delay_alu instid0(VALU_DEP_1) | instskip(NEXT) | instid1(VALU_DEP_1)
	v_fmac_f32_e32 v3, v4, v3
	v_mul_f32_e32 v4, v5, v3
	s_delay_alu instid0(VALU_DEP_1) | instskip(NEXT) | instid1(VALU_DEP_1)
	v_fma_f32 v6, -v2, v4, v5
	v_fmac_f32_e32 v4, v6, v3
	s_delay_alu instid0(VALU_DEP_1) | instskip(NEXT) | instid1(VALU_DEP_1)
	v_fma_f32 v2, -v2, v4, v5
	v_div_fmas_f32 v2, v2, v3, v4
	s_delay_alu instid0(VALU_DEP_1) | instskip(NEXT) | instid1(VALU_DEP_1)
	v_div_fixup_f32 v2, v2, v1, v0
	v_fmac_f32_e32 v1, v0, v2
	s_delay_alu instid0(VALU_DEP_1) | instskip(SKIP_1) | instid1(VALU_DEP_2)
	v_div_scale_f32 v0, null, v1, v1, 1.0
	v_div_scale_f32 v5, vcc_lo, 1.0, v1, 1.0
	v_rcp_f32_e32 v3, v0
	v_nop
	s_delay_alu instid0(TRANS32_DEP_1) | instskip(NEXT) | instid1(VALU_DEP_1)
	v_fma_f32 v4, -v0, v3, 1.0
	v_fmac_f32_e32 v3, v4, v3
	s_delay_alu instid0(VALU_DEP_1) | instskip(NEXT) | instid1(VALU_DEP_1)
	v_mul_f32_e32 v4, v5, v3
	v_fma_f32 v6, -v0, v4, v5
	s_delay_alu instid0(VALU_DEP_1) | instskip(NEXT) | instid1(VALU_DEP_1)
	v_fmac_f32_e32 v4, v6, v3
	v_fma_f32 v0, -v0, v4, v5
	s_delay_alu instid0(VALU_DEP_1) | instskip(NEXT) | instid1(VALU_DEP_1)
	v_div_fmas_f32 v0, v0, v3, v4
	v_div_fixup_f32 v0, v0, v1, 1.0
	s_delay_alu instid0(VALU_DEP_1)
	v_mul_f32_e32 v2, v2, v0
	v_xor_b32_e32 v3, 0x80000000, v0
                                        ; implicit-def: $vgpr0_vgpr1
.LBB95_230:
	s_and_not1_saveexec_b32 s1, s1
	s_cbranch_execz .LBB95_232
; %bb.231:
	v_div_scale_f32 v2, null, v0, v0, v1
	v_div_scale_f32 v5, vcc_lo, v1, v0, v1
	s_delay_alu instid0(VALU_DEP_2) | instskip(SKIP_1) | instid1(TRANS32_DEP_1)
	v_rcp_f32_e32 v3, v2
	v_nop
	v_fma_f32 v4, -v2, v3, 1.0
	s_delay_alu instid0(VALU_DEP_1) | instskip(NEXT) | instid1(VALU_DEP_1)
	v_fmac_f32_e32 v3, v4, v3
	v_mul_f32_e32 v4, v5, v3
	s_delay_alu instid0(VALU_DEP_1) | instskip(NEXT) | instid1(VALU_DEP_1)
	v_fma_f32 v6, -v2, v4, v5
	v_fmac_f32_e32 v4, v6, v3
	s_delay_alu instid0(VALU_DEP_1) | instskip(NEXT) | instid1(VALU_DEP_1)
	v_fma_f32 v2, -v2, v4, v5
	v_div_fmas_f32 v2, v2, v3, v4
	s_delay_alu instid0(VALU_DEP_1) | instskip(NEXT) | instid1(VALU_DEP_1)
	v_div_fixup_f32 v3, v2, v0, v1
	v_fmac_f32_e32 v0, v1, v3
	s_delay_alu instid0(VALU_DEP_1) | instskip(NEXT) | instid1(VALU_DEP_1)
	v_div_scale_f32 v1, null, v0, v0, 1.0
	v_rcp_f32_e32 v2, v1
	v_nop
	s_delay_alu instid0(TRANS32_DEP_1) | instskip(NEXT) | instid1(VALU_DEP_1)
	v_fma_f32 v4, -v1, v2, 1.0
	v_fmac_f32_e32 v2, v4, v2
	v_div_scale_f32 v4, vcc_lo, 1.0, v0, 1.0
	s_delay_alu instid0(VALU_DEP_1) | instskip(NEXT) | instid1(VALU_DEP_1)
	v_mul_f32_e32 v5, v4, v2
	v_fma_f32 v6, -v1, v5, v4
	s_delay_alu instid0(VALU_DEP_1) | instskip(NEXT) | instid1(VALU_DEP_1)
	v_fmac_f32_e32 v5, v6, v2
	v_fma_f32 v1, -v1, v5, v4
	s_delay_alu instid0(VALU_DEP_1) | instskip(NEXT) | instid1(VALU_DEP_1)
	v_div_fmas_f32 v1, v1, v2, v5
	v_div_fixup_f32 v2, v1, v0, 1.0
	s_delay_alu instid0(VALU_DEP_1)
	v_mul_f32_e64 v3, v3, -v2
.LBB95_232:
	s_or_b32 exec_lo, exec_lo, s1
	ds_store_b64 v55, v[2:3]
.LBB95_233:
	s_or_b32 exec_lo, exec_lo, s2
	s_wait_dscnt 0x0
	s_barrier_signal -1
	s_barrier_wait -1
	ds_load_b64 v[244:245], v55
	s_mov_b32 s1, exec_lo
	v_cmpx_lt_u32_e32 25, v54
	s_cbranch_execz .LBB95_235
; %bb.234:
	ds_load_2addr_b64 v[4:7], v56 offset0:26 offset1:27
	s_wait_dscnt 0x1
	v_pk_mul_f32 v[2:3], v[244:245], v[108:109] op_sel:[1,1] op_sel_hi:[0,1]
	s_delay_alu instid0(VALU_DEP_1) | instskip(SKIP_1) | instid1(VALU_DEP_1)
	v_pk_fma_f32 v[0:1], v[244:245], v[108:109], v[2:3] op_sel_hi:[1,0,1] neg_lo:[0,0,1] neg_hi:[0,0,1]
	v_pk_fma_f32 v[2:3], v[244:245], v[108:109], v[2:3] op_sel_hi:[1,0,1]
	v_dual_mov_b32 v108, v0 :: v_dual_mov_b32 v109, v3
	s_wait_dscnt 0x0
	s_delay_alu instid0(VALU_DEP_2) | instskip(NEXT) | instid1(VALU_DEP_1)
	v_pk_mul_f32 v[8:9], v[4:5], v[2:3] op_sel:[0,1]
	v_pk_fma_f32 v[10:11], v[4:5], v[0:1], v[8:9] op_sel:[0,0,1] op_sel_hi:[1,1,0] neg_lo:[0,0,1] neg_hi:[0,0,1]
	v_pk_fma_f32 v[4:5], v[4:5], v[0:1], v[8:9] op_sel:[0,0,1] op_sel_hi:[1,0,0]
	s_delay_alu instid0(VALU_DEP_1) | instskip(SKIP_1) | instid1(VALU_DEP_1)
	v_mov_b32_e32 v11, v5
	v_pk_mul_f32 v[4:5], v[6:7], v[2:3] op_sel:[0,1]
	v_pk_fma_f32 v[8:9], v[6:7], v[0:1], v[4:5] op_sel:[0,0,1] op_sel_hi:[1,1,0] neg_lo:[0,0,1] neg_hi:[0,0,1]
	v_pk_fma_f32 v[4:5], v[6:7], v[0:1], v[4:5] op_sel:[0,0,1] op_sel_hi:[1,0,0]
	s_delay_alu instid0(VALU_DEP_1)
	v_mov_b32_e32 v9, v5
	ds_load_2addr_b64 v[4:7], v56 offset0:28 offset1:29
	v_pk_add_f32 v[110:111], v[110:111], v[10:11] neg_lo:[0,1] neg_hi:[0,1]
	v_pk_add_f32 v[106:107], v[106:107], v[8:9] neg_lo:[0,1] neg_hi:[0,1]
	s_wait_dscnt 0x0
	v_pk_mul_f32 v[8:9], v[4:5], v[2:3] op_sel:[0,1]
	s_delay_alu instid0(VALU_DEP_1) | instskip(SKIP_2) | instid1(VALU_DEP_2)
	v_pk_fma_f32 v[10:11], v[4:5], v[0:1], v[8:9] op_sel:[0,0,1] op_sel_hi:[1,1,0] neg_lo:[0,0,1] neg_hi:[0,0,1]
	v_pk_fma_f32 v[4:5], v[4:5], v[0:1], v[8:9] op_sel:[0,0,1] op_sel_hi:[1,0,0]
	v_dual_mul_f32 v8, v7, v3 :: v_dual_mov_b32 v4, v7
	v_dual_mov_b32 v11, v5 :: v_dual_mov_b32 v5, v6
	s_delay_alu instid0(VALU_DEP_2) | instskip(SKIP_1) | instid1(VALU_DEP_3)
	v_pk_fma_f32 v[8:9], v[6:7], v[108:109], v[8:9] op_sel_hi:[1,1,0] neg_lo:[0,0,1] neg_hi:[0,0,1]
	v_mul_f32_e32 v6, v7, v0
	v_pk_add_f32 v[128:129], v[128:129], v[10:11] neg_lo:[0,1] neg_hi:[0,1]
	s_delay_alu instid0(VALU_DEP_2) | instskip(NEXT) | instid1(VALU_DEP_1)
	v_pk_fma_f32 v[4:5], v[4:5], v[108:109], v[6:7] op_sel_hi:[1,1,0]
	v_mov_b32_e32 v9, v5
	ds_load_2addr_b64 v[4:7], v56 offset0:30 offset1:31
	v_pk_add_f32 v[124:125], v[124:125], v[8:9] neg_lo:[0,1] neg_hi:[0,1]
	s_wait_dscnt 0x0
	v_pk_mul_f32 v[8:9], v[4:5], v[2:3] op_sel:[0,1]
	s_delay_alu instid0(VALU_DEP_1) | instskip(SKIP_1) | instid1(VALU_DEP_1)
	v_pk_fma_f32 v[10:11], v[4:5], v[0:1], v[8:9] op_sel:[0,0,1] op_sel_hi:[1,1,0] neg_lo:[0,0,1] neg_hi:[0,0,1]
	v_pk_fma_f32 v[4:5], v[4:5], v[0:1], v[8:9] op_sel:[0,0,1] op_sel_hi:[1,0,0]
	v_mov_b32_e32 v11, v5
	v_pk_mul_f32 v[4:5], v[6:7], v[2:3] op_sel:[0,1]
	s_delay_alu instid0(VALU_DEP_1) | instskip(SKIP_1) | instid1(VALU_DEP_1)
	v_pk_fma_f32 v[8:9], v[6:7], v[0:1], v[4:5] op_sel:[0,0,1] op_sel_hi:[1,1,0] neg_lo:[0,0,1] neg_hi:[0,0,1]
	v_pk_fma_f32 v[4:5], v[6:7], v[0:1], v[4:5] op_sel:[0,0,1] op_sel_hi:[1,0,0]
	v_mov_b32_e32 v9, v5
	ds_load_2addr_b64 v[4:7], v56 offset0:32 offset1:33
	v_pk_add_f32 v[126:127], v[126:127], v[10:11] neg_lo:[0,1] neg_hi:[0,1]
	v_pk_add_f32 v[122:123], v[122:123], v[8:9] neg_lo:[0,1] neg_hi:[0,1]
	s_wait_dscnt 0x0
	v_pk_mul_f32 v[8:9], v[4:5], v[2:3] op_sel:[0,1]
	s_delay_alu instid0(VALU_DEP_1) | instskip(SKIP_1) | instid1(VALU_DEP_1)
	v_pk_fma_f32 v[10:11], v[4:5], v[0:1], v[8:9] op_sel:[0,0,1] op_sel_hi:[1,1,0] neg_lo:[0,0,1] neg_hi:[0,0,1]
	v_pk_fma_f32 v[4:5], v[4:5], v[0:1], v[8:9] op_sel:[0,0,1] op_sel_hi:[1,0,0]
	v_mov_b32_e32 v11, v5
	v_pk_mul_f32 v[4:5], v[6:7], v[2:3] op_sel:[0,1]
	s_delay_alu instid0(VALU_DEP_1) | instskip(SKIP_1) | instid1(VALU_DEP_1)
	v_pk_fma_f32 v[8:9], v[6:7], v[0:1], v[4:5] op_sel:[0,0,1] op_sel_hi:[1,1,0] neg_lo:[0,0,1] neg_hi:[0,0,1]
	v_pk_fma_f32 v[4:5], v[6:7], v[0:1], v[4:5] op_sel:[0,0,1] op_sel_hi:[1,0,0]
	v_mov_b32_e32 v9, v5
	ds_load_2addr_b64 v[4:7], v56 offset0:34 offset1:35
	v_pk_add_f32 v[144:145], v[144:145], v[10:11] neg_lo:[0,1] neg_hi:[0,1]
	v_pk_add_f32 v[140:141], v[140:141], v[8:9] neg_lo:[0,1] neg_hi:[0,1]
	s_wait_dscnt 0x0
	v_dual_mul_f32 v8, v5, v3 :: v_dual_mul_f32 v10, v5, v0
	s_delay_alu instid0(VALU_DEP_1) | instskip(NEXT) | instid1(VALU_DEP_2)
	v_pk_fma_f32 v[8:9], v[4:5], v[108:109], v[8:9] op_sel_hi:[1,1,0] neg_lo:[0,0,1] neg_hi:[0,0,1]
	v_pk_fma_f32 v[4:5], v[4:5], v[108:109], v[10:11] op_sel:[1,0,0] op_sel_hi:[0,1,0]
	s_delay_alu instid0(VALU_DEP_1) | instskip(SKIP_1) | instid1(VALU_DEP_2)
	v_mov_b32_e32 v9, v5
	v_pk_mul_f32 v[4:5], v[6:7], v[2:3] op_sel:[0,1]
	v_pk_add_f32 v[142:143], v[142:143], v[8:9] neg_lo:[0,1] neg_hi:[0,1]
	s_delay_alu instid0(VALU_DEP_2) | instskip(SKIP_1) | instid1(VALU_DEP_1)
	v_pk_fma_f32 v[8:9], v[6:7], v[0:1], v[4:5] op_sel:[0,0,1] op_sel_hi:[1,1,0] neg_lo:[0,0,1] neg_hi:[0,0,1]
	v_pk_fma_f32 v[4:5], v[6:7], v[0:1], v[4:5] op_sel:[0,0,1] op_sel_hi:[1,0,0]
	v_mov_b32_e32 v9, v5
	ds_load_2addr_b64 v[4:7], v56 offset0:36 offset1:37
	v_pk_add_f32 v[138:139], v[138:139], v[8:9] neg_lo:[0,1] neg_hi:[0,1]
	s_wait_dscnt 0x0
	v_pk_mul_f32 v[8:9], v[4:5], v[2:3] op_sel:[0,1]
	s_delay_alu instid0(VALU_DEP_1) | instskip(SKIP_1) | instid1(VALU_DEP_1)
	v_pk_fma_f32 v[10:11], v[4:5], v[0:1], v[8:9] op_sel:[0,0,1] op_sel_hi:[1,1,0] neg_lo:[0,0,1] neg_hi:[0,0,1]
	v_pk_fma_f32 v[4:5], v[4:5], v[0:1], v[8:9] op_sel:[0,0,1] op_sel_hi:[1,0,0]
	v_mov_b32_e32 v11, v5
	v_pk_mul_f32 v[4:5], v[6:7], v[2:3] op_sel:[0,1]
	s_delay_alu instid0(VALU_DEP_2) | instskip(NEXT) | instid1(VALU_DEP_2)
	v_pk_add_f32 v[164:165], v[164:165], v[10:11] neg_lo:[0,1] neg_hi:[0,1]
	v_pk_fma_f32 v[8:9], v[6:7], v[0:1], v[4:5] op_sel:[0,0,1] op_sel_hi:[1,1,0] neg_lo:[0,0,1] neg_hi:[0,0,1]
	v_pk_fma_f32 v[4:5], v[6:7], v[0:1], v[4:5] op_sel:[0,0,1] op_sel_hi:[1,0,0]
	s_delay_alu instid0(VALU_DEP_1) | instskip(SKIP_4) | instid1(VALU_DEP_1)
	v_mov_b32_e32 v9, v5
	ds_load_2addr_b64 v[4:7], v56 offset0:38 offset1:39
	v_pk_add_f32 v[160:161], v[160:161], v[8:9] neg_lo:[0,1] neg_hi:[0,1]
	s_wait_dscnt 0x0
	v_pk_mul_f32 v[8:9], v[4:5], v[2:3] op_sel:[0,1]
	v_pk_fma_f32 v[10:11], v[4:5], v[0:1], v[8:9] op_sel:[0,0,1] op_sel_hi:[1,1,0] neg_lo:[0,0,1] neg_hi:[0,0,1]
	v_pk_fma_f32 v[4:5], v[4:5], v[0:1], v[8:9] op_sel:[0,0,1] op_sel_hi:[1,0,0]
	v_dual_mul_f32 v8, v7, v3 :: v_dual_mov_b32 v4, v7
	s_delay_alu instid0(VALU_DEP_2) | instskip(NEXT) | instid1(VALU_DEP_2)
	v_dual_mov_b32 v11, v5 :: v_dual_mov_b32 v5, v6
	v_pk_fma_f32 v[8:9], v[6:7], v[108:109], v[8:9] op_sel_hi:[1,1,0] neg_lo:[0,0,1] neg_hi:[0,0,1]
	v_mul_f32_e32 v6, v7, v0
	s_delay_alu instid0(VALU_DEP_3) | instskip(NEXT) | instid1(VALU_DEP_2)
	v_pk_add_f32 v[162:163], v[162:163], v[10:11] neg_lo:[0,1] neg_hi:[0,1]
	v_pk_fma_f32 v[4:5], v[4:5], v[108:109], v[6:7] op_sel_hi:[1,1,0]
	s_delay_alu instid0(VALU_DEP_1) | instskip(SKIP_4) | instid1(VALU_DEP_1)
	v_mov_b32_e32 v9, v5
	ds_load_2addr_b64 v[4:7], v56 offset0:40 offset1:41
	v_pk_add_f32 v[158:159], v[158:159], v[8:9] neg_lo:[0,1] neg_hi:[0,1]
	s_wait_dscnt 0x0
	v_pk_mul_f32 v[8:9], v[4:5], v[2:3] op_sel:[0,1]
	v_pk_fma_f32 v[10:11], v[4:5], v[0:1], v[8:9] op_sel:[0,0,1] op_sel_hi:[1,1,0] neg_lo:[0,0,1] neg_hi:[0,0,1]
	v_pk_fma_f32 v[4:5], v[4:5], v[0:1], v[8:9] op_sel:[0,0,1] op_sel_hi:[1,0,0]
	s_delay_alu instid0(VALU_DEP_1) | instskip(SKIP_1) | instid1(VALU_DEP_1)
	v_mov_b32_e32 v11, v5
	v_pk_mul_f32 v[4:5], v[6:7], v[2:3] op_sel:[0,1]
	v_pk_fma_f32 v[8:9], v[6:7], v[0:1], v[4:5] op_sel:[0,0,1] op_sel_hi:[1,1,0] neg_lo:[0,0,1] neg_hi:[0,0,1]
	v_pk_fma_f32 v[4:5], v[6:7], v[0:1], v[4:5] op_sel:[0,0,1] op_sel_hi:[1,0,0]
	s_delay_alu instid0(VALU_DEP_1)
	v_mov_b32_e32 v9, v5
	ds_load_2addr_b64 v[4:7], v56 offset0:42 offset1:43
	v_pk_add_f32 v[188:189], v[188:189], v[10:11] neg_lo:[0,1] neg_hi:[0,1]
	v_pk_add_f32 v[182:183], v[182:183], v[8:9] neg_lo:[0,1] neg_hi:[0,1]
	s_wait_dscnt 0x0
	v_pk_mul_f32 v[8:9], v[4:5], v[2:3] op_sel:[0,1]
	s_delay_alu instid0(VALU_DEP_1) | instskip(SKIP_1) | instid1(VALU_DEP_1)
	v_pk_fma_f32 v[10:11], v[4:5], v[0:1], v[8:9] op_sel:[0,0,1] op_sel_hi:[1,1,0] neg_lo:[0,0,1] neg_hi:[0,0,1]
	v_pk_fma_f32 v[4:5], v[4:5], v[0:1], v[8:9] op_sel:[0,0,1] op_sel_hi:[1,0,0]
	v_mov_b32_e32 v11, v5
	v_pk_mul_f32 v[4:5], v[6:7], v[2:3] op_sel:[0,1]
	s_delay_alu instid0(VALU_DEP_1) | instskip(SKIP_1) | instid1(VALU_DEP_1)
	v_pk_fma_f32 v[8:9], v[6:7], v[0:1], v[4:5] op_sel:[0,0,1] op_sel_hi:[1,1,0] neg_lo:[0,0,1] neg_hi:[0,0,1]
	v_pk_fma_f32 v[4:5], v[6:7], v[0:1], v[4:5] op_sel:[0,0,1] op_sel_hi:[1,0,0]
	v_mov_b32_e32 v9, v5
	ds_load_2addr_b64 v[4:7], v56 offset0:44 offset1:45
	v_pk_add_f32 v[186:187], v[186:187], v[10:11] neg_lo:[0,1] neg_hi:[0,1]
	v_pk_add_f32 v[180:181], v[180:181], v[8:9] neg_lo:[0,1] neg_hi:[0,1]
	s_wait_dscnt 0x0
	v_dual_mul_f32 v8, v5, v3 :: v_dual_mul_f32 v10, v5, v0
	s_delay_alu instid0(VALU_DEP_1) | instskip(NEXT) | instid1(VALU_DEP_2)
	v_pk_fma_f32 v[8:9], v[4:5], v[108:109], v[8:9] op_sel_hi:[1,1,0] neg_lo:[0,0,1] neg_hi:[0,0,1]
	v_pk_fma_f32 v[4:5], v[4:5], v[108:109], v[10:11] op_sel:[1,0,0] op_sel_hi:[0,1,0]
	s_delay_alu instid0(VALU_DEP_1) | instskip(SKIP_1) | instid1(VALU_DEP_2)
	v_mov_b32_e32 v9, v5
	v_pk_mul_f32 v[4:5], v[6:7], v[2:3] op_sel:[0,1]
	v_pk_add_f32 v[184:185], v[184:185], v[8:9] neg_lo:[0,1] neg_hi:[0,1]
	s_delay_alu instid0(VALU_DEP_2) | instskip(SKIP_1) | instid1(VALU_DEP_1)
	v_pk_fma_f32 v[8:9], v[6:7], v[0:1], v[4:5] op_sel:[0,0,1] op_sel_hi:[1,1,0] neg_lo:[0,0,1] neg_hi:[0,0,1]
	v_pk_fma_f32 v[4:5], v[6:7], v[0:1], v[4:5] op_sel:[0,0,1] op_sel_hi:[1,0,0]
	v_mov_b32_e32 v9, v5
	ds_load_2addr_b64 v[4:7], v56 offset0:46 offset1:47
	v_pk_add_f32 v[178:179], v[178:179], v[8:9] neg_lo:[0,1] neg_hi:[0,1]
	s_wait_dscnt 0x0
	v_pk_mul_f32 v[8:9], v[4:5], v[2:3] op_sel:[0,1]
	v_pk_mul_f32 v[2:3], v[6:7], v[2:3] op_sel:[0,1]
	s_delay_alu instid0(VALU_DEP_2) | instskip(SKIP_1) | instid1(VALU_DEP_1)
	v_pk_fma_f32 v[10:11], v[4:5], v[0:1], v[8:9] op_sel:[0,0,1] op_sel_hi:[1,1,0] neg_lo:[0,0,1] neg_hi:[0,0,1]
	v_pk_fma_f32 v[4:5], v[4:5], v[0:1], v[8:9] op_sel:[0,0,1] op_sel_hi:[1,0,0]
	v_mov_b32_e32 v11, v5
	s_delay_alu instid0(VALU_DEP_4) | instskip(SKIP_1) | instid1(VALU_DEP_3)
	v_pk_fma_f32 v[4:5], v[6:7], v[0:1], v[2:3] op_sel:[0,0,1] op_sel_hi:[1,1,0] neg_lo:[0,0,1] neg_hi:[0,0,1]
	v_pk_fma_f32 v[0:1], v[6:7], v[0:1], v[2:3] op_sel:[0,0,1] op_sel_hi:[1,0,0]
	v_pk_add_f32 v[190:191], v[190:191], v[10:11] neg_lo:[0,1] neg_hi:[0,1]
	s_delay_alu instid0(VALU_DEP_2) | instskip(NEXT) | instid1(VALU_DEP_1)
	v_mov_b32_e32 v5, v1
	v_pk_add_f32 v[192:193], v[192:193], v[4:5] neg_lo:[0,1] neg_hi:[0,1]
.LBB95_235:
	s_or_b32 exec_lo, exec_lo, s1
	s_delay_alu instid0(SALU_CYCLE_1)
	s_mov_b32 s2, exec_lo
	s_wait_dscnt 0x0
	s_barrier_signal -1
	s_barrier_wait -1
	v_cmpx_eq_u32_e32 26, v54
	s_cbranch_execz .LBB95_242
; %bb.236:
	ds_store_b64 v55, v[110:111]
	ds_store_2addr_b64 v56, v[106:107], v[128:129] offset0:27 offset1:28
	ds_store_2addr_b64 v56, v[124:125], v[126:127] offset0:29 offset1:30
	;; [unrolled: 1-line block ×10, first 2 shown]
	ds_store_b64 v56, v[192:193] offset:376
	ds_load_b64 v[0:1], v55
	s_wait_dscnt 0x0
	v_cmp_neq_f32_e32 vcc_lo, 0, v0
	v_cmp_neq_f32_e64 s1, 0, v1
	s_or_b32 s1, vcc_lo, s1
	s_delay_alu instid0(SALU_CYCLE_1)
	s_and_b32 exec_lo, exec_lo, s1
	s_cbranch_execz .LBB95_242
; %bb.237:
	v_cmp_ngt_f32_e64 s1, |v0|, |v1|
                                        ; implicit-def: $vgpr2_vgpr3
	s_and_saveexec_b32 s4, s1
	s_delay_alu instid0(SALU_CYCLE_1)
	s_xor_b32 s1, exec_lo, s4
	s_cbranch_execz .LBB95_239
; %bb.238:
	v_div_scale_f32 v2, null, v1, v1, v0
	v_div_scale_f32 v5, vcc_lo, v0, v1, v0
	s_delay_alu instid0(VALU_DEP_2) | instskip(SKIP_1) | instid1(TRANS32_DEP_1)
	v_rcp_f32_e32 v3, v2
	v_nop
	v_fma_f32 v4, -v2, v3, 1.0
	s_delay_alu instid0(VALU_DEP_1) | instskip(NEXT) | instid1(VALU_DEP_1)
	v_fmac_f32_e32 v3, v4, v3
	v_mul_f32_e32 v4, v5, v3
	s_delay_alu instid0(VALU_DEP_1) | instskip(NEXT) | instid1(VALU_DEP_1)
	v_fma_f32 v6, -v2, v4, v5
	v_fmac_f32_e32 v4, v6, v3
	s_delay_alu instid0(VALU_DEP_1) | instskip(NEXT) | instid1(VALU_DEP_1)
	v_fma_f32 v2, -v2, v4, v5
	v_div_fmas_f32 v2, v2, v3, v4
	s_delay_alu instid0(VALU_DEP_1) | instskip(NEXT) | instid1(VALU_DEP_1)
	v_div_fixup_f32 v2, v2, v1, v0
	v_fmac_f32_e32 v1, v0, v2
	s_delay_alu instid0(VALU_DEP_1) | instskip(SKIP_1) | instid1(VALU_DEP_2)
	v_div_scale_f32 v0, null, v1, v1, 1.0
	v_div_scale_f32 v5, vcc_lo, 1.0, v1, 1.0
	v_rcp_f32_e32 v3, v0
	v_nop
	s_delay_alu instid0(TRANS32_DEP_1) | instskip(NEXT) | instid1(VALU_DEP_1)
	v_fma_f32 v4, -v0, v3, 1.0
	v_fmac_f32_e32 v3, v4, v3
	s_delay_alu instid0(VALU_DEP_1) | instskip(NEXT) | instid1(VALU_DEP_1)
	v_mul_f32_e32 v4, v5, v3
	v_fma_f32 v6, -v0, v4, v5
	s_delay_alu instid0(VALU_DEP_1) | instskip(NEXT) | instid1(VALU_DEP_1)
	v_fmac_f32_e32 v4, v6, v3
	v_fma_f32 v0, -v0, v4, v5
	s_delay_alu instid0(VALU_DEP_1) | instskip(NEXT) | instid1(VALU_DEP_1)
	v_div_fmas_f32 v0, v0, v3, v4
	v_div_fixup_f32 v0, v0, v1, 1.0
	s_delay_alu instid0(VALU_DEP_1)
	v_mul_f32_e32 v2, v2, v0
	v_xor_b32_e32 v3, 0x80000000, v0
                                        ; implicit-def: $vgpr0_vgpr1
.LBB95_239:
	s_and_not1_saveexec_b32 s1, s1
	s_cbranch_execz .LBB95_241
; %bb.240:
	v_div_scale_f32 v2, null, v0, v0, v1
	v_div_scale_f32 v5, vcc_lo, v1, v0, v1
	s_delay_alu instid0(VALU_DEP_2) | instskip(SKIP_1) | instid1(TRANS32_DEP_1)
	v_rcp_f32_e32 v3, v2
	v_nop
	v_fma_f32 v4, -v2, v3, 1.0
	s_delay_alu instid0(VALU_DEP_1) | instskip(NEXT) | instid1(VALU_DEP_1)
	v_fmac_f32_e32 v3, v4, v3
	v_mul_f32_e32 v4, v5, v3
	s_delay_alu instid0(VALU_DEP_1) | instskip(NEXT) | instid1(VALU_DEP_1)
	v_fma_f32 v6, -v2, v4, v5
	v_fmac_f32_e32 v4, v6, v3
	s_delay_alu instid0(VALU_DEP_1) | instskip(NEXT) | instid1(VALU_DEP_1)
	v_fma_f32 v2, -v2, v4, v5
	v_div_fmas_f32 v2, v2, v3, v4
	s_delay_alu instid0(VALU_DEP_1) | instskip(NEXT) | instid1(VALU_DEP_1)
	v_div_fixup_f32 v3, v2, v0, v1
	v_fmac_f32_e32 v0, v1, v3
	s_delay_alu instid0(VALU_DEP_1) | instskip(NEXT) | instid1(VALU_DEP_1)
	v_div_scale_f32 v1, null, v0, v0, 1.0
	v_rcp_f32_e32 v2, v1
	v_nop
	s_delay_alu instid0(TRANS32_DEP_1) | instskip(NEXT) | instid1(VALU_DEP_1)
	v_fma_f32 v4, -v1, v2, 1.0
	v_fmac_f32_e32 v2, v4, v2
	v_div_scale_f32 v4, vcc_lo, 1.0, v0, 1.0
	s_delay_alu instid0(VALU_DEP_1) | instskip(NEXT) | instid1(VALU_DEP_1)
	v_mul_f32_e32 v5, v4, v2
	v_fma_f32 v6, -v1, v5, v4
	s_delay_alu instid0(VALU_DEP_1) | instskip(NEXT) | instid1(VALU_DEP_1)
	v_fmac_f32_e32 v5, v6, v2
	v_fma_f32 v1, -v1, v5, v4
	s_delay_alu instid0(VALU_DEP_1) | instskip(NEXT) | instid1(VALU_DEP_1)
	v_div_fmas_f32 v1, v1, v2, v5
	v_div_fixup_f32 v2, v1, v0, 1.0
	s_delay_alu instid0(VALU_DEP_1)
	v_mul_f32_e64 v3, v3, -v2
.LBB95_241:
	s_or_b32 exec_lo, exec_lo, s1
	ds_store_b64 v55, v[2:3]
.LBB95_242:
	s_or_b32 exec_lo, exec_lo, s2
	s_wait_dscnt 0x0
	s_barrier_signal -1
	s_barrier_wait -1
	ds_load_b64 v[246:247], v55
	s_mov_b32 s1, exec_lo
	v_cmpx_lt_u32_e32 26, v54
	s_cbranch_execz .LBB95_244
; %bb.243:
	ds_load_2addr_b64 v[4:7], v56 offset0:27 offset1:28
	s_wait_dscnt 0x1
	v_pk_mul_f32 v[2:3], v[246:247], v[110:111] op_sel:[1,1] op_sel_hi:[0,1]
	s_delay_alu instid0(VALU_DEP_1) | instskip(SKIP_1) | instid1(VALU_DEP_1)
	v_pk_fma_f32 v[0:1], v[246:247], v[110:111], v[2:3] op_sel_hi:[1,0,1] neg_lo:[0,0,1] neg_hi:[0,0,1]
	v_pk_fma_f32 v[2:3], v[246:247], v[110:111], v[2:3] op_sel_hi:[1,0,1]
	v_dual_mov_b32 v110, v0 :: v_dual_mov_b32 v111, v3
	s_wait_dscnt 0x0
	s_delay_alu instid0(VALU_DEP_2) | instskip(NEXT) | instid1(VALU_DEP_1)
	v_pk_mul_f32 v[8:9], v[4:5], v[2:3] op_sel:[0,1]
	v_pk_fma_f32 v[10:11], v[4:5], v[0:1], v[8:9] op_sel:[0,0,1] op_sel_hi:[1,1,0] neg_lo:[0,0,1] neg_hi:[0,0,1]
	v_pk_fma_f32 v[4:5], v[4:5], v[0:1], v[8:9] op_sel:[0,0,1] op_sel_hi:[1,0,0]
	s_delay_alu instid0(VALU_DEP_1) | instskip(SKIP_1) | instid1(VALU_DEP_1)
	v_mov_b32_e32 v11, v5
	v_pk_mul_f32 v[4:5], v[6:7], v[2:3] op_sel:[0,1]
	v_pk_fma_f32 v[8:9], v[6:7], v[0:1], v[4:5] op_sel:[0,0,1] op_sel_hi:[1,1,0] neg_lo:[0,0,1] neg_hi:[0,0,1]
	v_pk_fma_f32 v[4:5], v[6:7], v[0:1], v[4:5] op_sel:[0,0,1] op_sel_hi:[1,0,0]
	s_delay_alu instid0(VALU_DEP_1)
	v_mov_b32_e32 v9, v5
	ds_load_2addr_b64 v[4:7], v56 offset0:29 offset1:30
	v_pk_add_f32 v[106:107], v[106:107], v[10:11] neg_lo:[0,1] neg_hi:[0,1]
	v_pk_add_f32 v[128:129], v[128:129], v[8:9] neg_lo:[0,1] neg_hi:[0,1]
	s_wait_dscnt 0x0
	v_pk_mul_f32 v[8:9], v[4:5], v[2:3] op_sel:[0,1]
	s_delay_alu instid0(VALU_DEP_1) | instskip(SKIP_2) | instid1(VALU_DEP_2)
	v_pk_fma_f32 v[10:11], v[4:5], v[0:1], v[8:9] op_sel:[0,0,1] op_sel_hi:[1,1,0] neg_lo:[0,0,1] neg_hi:[0,0,1]
	v_pk_fma_f32 v[4:5], v[4:5], v[0:1], v[8:9] op_sel:[0,0,1] op_sel_hi:[1,0,0]
	v_dual_mul_f32 v8, v7, v3 :: v_dual_mov_b32 v4, v7
	v_dual_mov_b32 v11, v5 :: v_dual_mov_b32 v5, v6
	s_delay_alu instid0(VALU_DEP_2) | instskip(SKIP_1) | instid1(VALU_DEP_3)
	v_pk_fma_f32 v[8:9], v[6:7], v[110:111], v[8:9] op_sel_hi:[1,1,0] neg_lo:[0,0,1] neg_hi:[0,0,1]
	v_mul_f32_e32 v6, v7, v0
	v_pk_add_f32 v[124:125], v[124:125], v[10:11] neg_lo:[0,1] neg_hi:[0,1]
	s_delay_alu instid0(VALU_DEP_2) | instskip(NEXT) | instid1(VALU_DEP_1)
	v_pk_fma_f32 v[4:5], v[4:5], v[110:111], v[6:7] op_sel_hi:[1,1,0]
	v_mov_b32_e32 v9, v5
	ds_load_2addr_b64 v[4:7], v56 offset0:31 offset1:32
	v_pk_add_f32 v[126:127], v[126:127], v[8:9] neg_lo:[0,1] neg_hi:[0,1]
	s_wait_dscnt 0x0
	v_pk_mul_f32 v[8:9], v[4:5], v[2:3] op_sel:[0,1]
	s_delay_alu instid0(VALU_DEP_1) | instskip(SKIP_1) | instid1(VALU_DEP_1)
	v_pk_fma_f32 v[10:11], v[4:5], v[0:1], v[8:9] op_sel:[0,0,1] op_sel_hi:[1,1,0] neg_lo:[0,0,1] neg_hi:[0,0,1]
	v_pk_fma_f32 v[4:5], v[4:5], v[0:1], v[8:9] op_sel:[0,0,1] op_sel_hi:[1,0,0]
	v_mov_b32_e32 v11, v5
	v_pk_mul_f32 v[4:5], v[6:7], v[2:3] op_sel:[0,1]
	s_delay_alu instid0(VALU_DEP_1) | instskip(SKIP_1) | instid1(VALU_DEP_1)
	v_pk_fma_f32 v[8:9], v[6:7], v[0:1], v[4:5] op_sel:[0,0,1] op_sel_hi:[1,1,0] neg_lo:[0,0,1] neg_hi:[0,0,1]
	v_pk_fma_f32 v[4:5], v[6:7], v[0:1], v[4:5] op_sel:[0,0,1] op_sel_hi:[1,0,0]
	v_mov_b32_e32 v9, v5
	ds_load_2addr_b64 v[4:7], v56 offset0:33 offset1:34
	v_pk_add_f32 v[122:123], v[122:123], v[10:11] neg_lo:[0,1] neg_hi:[0,1]
	v_pk_add_f32 v[144:145], v[144:145], v[8:9] neg_lo:[0,1] neg_hi:[0,1]
	s_wait_dscnt 0x0
	v_pk_mul_f32 v[8:9], v[4:5], v[2:3] op_sel:[0,1]
	s_delay_alu instid0(VALU_DEP_1) | instskip(SKIP_1) | instid1(VALU_DEP_1)
	v_pk_fma_f32 v[10:11], v[4:5], v[0:1], v[8:9] op_sel:[0,0,1] op_sel_hi:[1,1,0] neg_lo:[0,0,1] neg_hi:[0,0,1]
	v_pk_fma_f32 v[4:5], v[4:5], v[0:1], v[8:9] op_sel:[0,0,1] op_sel_hi:[1,0,0]
	v_mov_b32_e32 v11, v5
	v_pk_mul_f32 v[4:5], v[6:7], v[2:3] op_sel:[0,1]
	s_delay_alu instid0(VALU_DEP_1) | instskip(SKIP_1) | instid1(VALU_DEP_1)
	v_pk_fma_f32 v[8:9], v[6:7], v[0:1], v[4:5] op_sel:[0,0,1] op_sel_hi:[1,1,0] neg_lo:[0,0,1] neg_hi:[0,0,1]
	v_pk_fma_f32 v[4:5], v[6:7], v[0:1], v[4:5] op_sel:[0,0,1] op_sel_hi:[1,0,0]
	v_mov_b32_e32 v9, v5
	ds_load_2addr_b64 v[4:7], v56 offset0:35 offset1:36
	v_pk_add_f32 v[140:141], v[140:141], v[10:11] neg_lo:[0,1] neg_hi:[0,1]
	v_pk_add_f32 v[142:143], v[142:143], v[8:9] neg_lo:[0,1] neg_hi:[0,1]
	s_wait_dscnt 0x0
	v_dual_mul_f32 v8, v5, v3 :: v_dual_mul_f32 v10, v5, v0
	s_delay_alu instid0(VALU_DEP_1) | instskip(NEXT) | instid1(VALU_DEP_2)
	v_pk_fma_f32 v[8:9], v[4:5], v[110:111], v[8:9] op_sel_hi:[1,1,0] neg_lo:[0,0,1] neg_hi:[0,0,1]
	v_pk_fma_f32 v[4:5], v[4:5], v[110:111], v[10:11] op_sel:[1,0,0] op_sel_hi:[0,1,0]
	s_delay_alu instid0(VALU_DEP_1) | instskip(SKIP_1) | instid1(VALU_DEP_2)
	v_mov_b32_e32 v9, v5
	v_pk_mul_f32 v[4:5], v[6:7], v[2:3] op_sel:[0,1]
	v_pk_add_f32 v[138:139], v[138:139], v[8:9] neg_lo:[0,1] neg_hi:[0,1]
	s_delay_alu instid0(VALU_DEP_2) | instskip(SKIP_1) | instid1(VALU_DEP_1)
	v_pk_fma_f32 v[8:9], v[6:7], v[0:1], v[4:5] op_sel:[0,0,1] op_sel_hi:[1,1,0] neg_lo:[0,0,1] neg_hi:[0,0,1]
	v_pk_fma_f32 v[4:5], v[6:7], v[0:1], v[4:5] op_sel:[0,0,1] op_sel_hi:[1,0,0]
	v_mov_b32_e32 v9, v5
	ds_load_2addr_b64 v[4:7], v56 offset0:37 offset1:38
	v_pk_add_f32 v[164:165], v[164:165], v[8:9] neg_lo:[0,1] neg_hi:[0,1]
	s_wait_dscnt 0x0
	v_pk_mul_f32 v[8:9], v[4:5], v[2:3] op_sel:[0,1]
	s_delay_alu instid0(VALU_DEP_1) | instskip(SKIP_1) | instid1(VALU_DEP_1)
	v_pk_fma_f32 v[10:11], v[4:5], v[0:1], v[8:9] op_sel:[0,0,1] op_sel_hi:[1,1,0] neg_lo:[0,0,1] neg_hi:[0,0,1]
	v_pk_fma_f32 v[4:5], v[4:5], v[0:1], v[8:9] op_sel:[0,0,1] op_sel_hi:[1,0,0]
	v_mov_b32_e32 v11, v5
	v_pk_mul_f32 v[4:5], v[6:7], v[2:3] op_sel:[0,1]
	s_delay_alu instid0(VALU_DEP_2) | instskip(NEXT) | instid1(VALU_DEP_2)
	v_pk_add_f32 v[160:161], v[160:161], v[10:11] neg_lo:[0,1] neg_hi:[0,1]
	v_pk_fma_f32 v[8:9], v[6:7], v[0:1], v[4:5] op_sel:[0,0,1] op_sel_hi:[1,1,0] neg_lo:[0,0,1] neg_hi:[0,0,1]
	v_pk_fma_f32 v[4:5], v[6:7], v[0:1], v[4:5] op_sel:[0,0,1] op_sel_hi:[1,0,0]
	s_delay_alu instid0(VALU_DEP_1) | instskip(SKIP_4) | instid1(VALU_DEP_1)
	v_mov_b32_e32 v9, v5
	ds_load_2addr_b64 v[4:7], v56 offset0:39 offset1:40
	v_pk_add_f32 v[162:163], v[162:163], v[8:9] neg_lo:[0,1] neg_hi:[0,1]
	s_wait_dscnt 0x0
	v_pk_mul_f32 v[8:9], v[4:5], v[2:3] op_sel:[0,1]
	v_pk_fma_f32 v[10:11], v[4:5], v[0:1], v[8:9] op_sel:[0,0,1] op_sel_hi:[1,1,0] neg_lo:[0,0,1] neg_hi:[0,0,1]
	v_pk_fma_f32 v[4:5], v[4:5], v[0:1], v[8:9] op_sel:[0,0,1] op_sel_hi:[1,0,0]
	v_dual_mul_f32 v8, v7, v3 :: v_dual_mov_b32 v4, v7
	s_delay_alu instid0(VALU_DEP_2) | instskip(NEXT) | instid1(VALU_DEP_2)
	v_dual_mov_b32 v11, v5 :: v_dual_mov_b32 v5, v6
	v_pk_fma_f32 v[8:9], v[6:7], v[110:111], v[8:9] op_sel_hi:[1,1,0] neg_lo:[0,0,1] neg_hi:[0,0,1]
	v_mul_f32_e32 v6, v7, v0
	s_delay_alu instid0(VALU_DEP_3) | instskip(NEXT) | instid1(VALU_DEP_2)
	v_pk_add_f32 v[158:159], v[158:159], v[10:11] neg_lo:[0,1] neg_hi:[0,1]
	v_pk_fma_f32 v[4:5], v[4:5], v[110:111], v[6:7] op_sel_hi:[1,1,0]
	s_delay_alu instid0(VALU_DEP_1) | instskip(SKIP_4) | instid1(VALU_DEP_1)
	v_mov_b32_e32 v9, v5
	ds_load_2addr_b64 v[4:7], v56 offset0:41 offset1:42
	v_pk_add_f32 v[188:189], v[188:189], v[8:9] neg_lo:[0,1] neg_hi:[0,1]
	s_wait_dscnt 0x0
	v_pk_mul_f32 v[8:9], v[4:5], v[2:3] op_sel:[0,1]
	v_pk_fma_f32 v[10:11], v[4:5], v[0:1], v[8:9] op_sel:[0,0,1] op_sel_hi:[1,1,0] neg_lo:[0,0,1] neg_hi:[0,0,1]
	v_pk_fma_f32 v[4:5], v[4:5], v[0:1], v[8:9] op_sel:[0,0,1] op_sel_hi:[1,0,0]
	s_delay_alu instid0(VALU_DEP_1) | instskip(SKIP_1) | instid1(VALU_DEP_1)
	v_mov_b32_e32 v11, v5
	v_pk_mul_f32 v[4:5], v[6:7], v[2:3] op_sel:[0,1]
	v_pk_fma_f32 v[8:9], v[6:7], v[0:1], v[4:5] op_sel:[0,0,1] op_sel_hi:[1,1,0] neg_lo:[0,0,1] neg_hi:[0,0,1]
	v_pk_fma_f32 v[4:5], v[6:7], v[0:1], v[4:5] op_sel:[0,0,1] op_sel_hi:[1,0,0]
	s_delay_alu instid0(VALU_DEP_1)
	v_mov_b32_e32 v9, v5
	ds_load_2addr_b64 v[4:7], v56 offset0:43 offset1:44
	v_pk_add_f32 v[182:183], v[182:183], v[10:11] neg_lo:[0,1] neg_hi:[0,1]
	v_pk_add_f32 v[186:187], v[186:187], v[8:9] neg_lo:[0,1] neg_hi:[0,1]
	s_wait_dscnt 0x0
	v_pk_mul_f32 v[8:9], v[4:5], v[2:3] op_sel:[0,1]
	s_delay_alu instid0(VALU_DEP_1) | instskip(SKIP_1) | instid1(VALU_DEP_1)
	v_pk_fma_f32 v[10:11], v[4:5], v[0:1], v[8:9] op_sel:[0,0,1] op_sel_hi:[1,1,0] neg_lo:[0,0,1] neg_hi:[0,0,1]
	v_pk_fma_f32 v[4:5], v[4:5], v[0:1], v[8:9] op_sel:[0,0,1] op_sel_hi:[1,0,0]
	v_mov_b32_e32 v11, v5
	v_pk_mul_f32 v[4:5], v[6:7], v[2:3] op_sel:[0,1]
	s_delay_alu instid0(VALU_DEP_1) | instskip(SKIP_1) | instid1(VALU_DEP_1)
	v_pk_fma_f32 v[8:9], v[6:7], v[0:1], v[4:5] op_sel:[0,0,1] op_sel_hi:[1,1,0] neg_lo:[0,0,1] neg_hi:[0,0,1]
	v_pk_fma_f32 v[4:5], v[6:7], v[0:1], v[4:5] op_sel:[0,0,1] op_sel_hi:[1,0,0]
	v_mov_b32_e32 v9, v5
	ds_load_2addr_b64 v[4:7], v56 offset0:45 offset1:46
	v_pk_add_f32 v[180:181], v[180:181], v[10:11] neg_lo:[0,1] neg_hi:[0,1]
	v_pk_add_f32 v[184:185], v[184:185], v[8:9] neg_lo:[0,1] neg_hi:[0,1]
	s_wait_dscnt 0x0
	v_dual_mul_f32 v8, v5, v3 :: v_dual_mul_f32 v10, v5, v0
	s_delay_alu instid0(VALU_DEP_1) | instskip(NEXT) | instid1(VALU_DEP_2)
	v_pk_fma_f32 v[8:9], v[4:5], v[110:111], v[8:9] op_sel_hi:[1,1,0] neg_lo:[0,0,1] neg_hi:[0,0,1]
	v_pk_fma_f32 v[4:5], v[4:5], v[110:111], v[10:11] op_sel:[1,0,0] op_sel_hi:[0,1,0]
	s_delay_alu instid0(VALU_DEP_1) | instskip(SKIP_1) | instid1(VALU_DEP_2)
	v_mov_b32_e32 v9, v5
	v_pk_mul_f32 v[4:5], v[6:7], v[2:3] op_sel:[0,1]
	v_pk_add_f32 v[178:179], v[178:179], v[8:9] neg_lo:[0,1] neg_hi:[0,1]
	s_delay_alu instid0(VALU_DEP_2) | instskip(SKIP_1) | instid1(VALU_DEP_1)
	v_pk_fma_f32 v[8:9], v[6:7], v[0:1], v[4:5] op_sel:[0,0,1] op_sel_hi:[1,1,0] neg_lo:[0,0,1] neg_hi:[0,0,1]
	v_pk_fma_f32 v[4:5], v[6:7], v[0:1], v[4:5] op_sel:[0,0,1] op_sel_hi:[1,0,0]
	v_mov_b32_e32 v9, v5
	ds_load_b64 v[4:5], v56 offset:376
	v_pk_add_f32 v[190:191], v[190:191], v[8:9] neg_lo:[0,1] neg_hi:[0,1]
	s_wait_dscnt 0x0
	v_pk_mul_f32 v[2:3], v[4:5], v[2:3] op_sel:[0,1]
	s_delay_alu instid0(VALU_DEP_1) | instskip(SKIP_1) | instid1(VALU_DEP_1)
	v_pk_fma_f32 v[6:7], v[4:5], v[0:1], v[2:3] op_sel:[0,0,1] op_sel_hi:[1,1,0] neg_lo:[0,0,1] neg_hi:[0,0,1]
	v_pk_fma_f32 v[0:1], v[4:5], v[0:1], v[2:3] op_sel:[0,0,1] op_sel_hi:[1,0,0]
	v_mov_b32_e32 v7, v1
	s_delay_alu instid0(VALU_DEP_1)
	v_pk_add_f32 v[192:193], v[192:193], v[6:7] neg_lo:[0,1] neg_hi:[0,1]
.LBB95_244:
	s_or_b32 exec_lo, exec_lo, s1
	s_delay_alu instid0(SALU_CYCLE_1)
	s_mov_b32 s2, exec_lo
	s_wait_dscnt 0x0
	s_barrier_signal -1
	s_barrier_wait -1
	v_cmpx_eq_u32_e32 27, v54
	s_cbranch_execz .LBB95_251
; %bb.245:
	v_dual_mov_b32 v0, v128 :: v_dual_mov_b32 v1, v129
	v_dual_mov_b32 v2, v124 :: v_dual_mov_b32 v3, v125
	ds_store_b64 v55, v[106:107]
	ds_store_2addr_b64 v56, v[0:1], v[2:3] offset0:28 offset1:29
	v_dual_mov_b32 v0, v126 :: v_dual_mov_b32 v1, v127
	v_dual_mov_b32 v2, v122 :: v_dual_mov_b32 v3, v123
	ds_store_2addr_b64 v56, v[0:1], v[2:3] offset0:30 offset1:31
	v_dual_mov_b32 v0, v144 :: v_dual_mov_b32 v1, v145
	v_dual_mov_b32 v2, v140 :: v_dual_mov_b32 v3, v141
	;; [unrolled: 3-line block ×8, first 2 shown]
	ds_store_2addr_b64 v56, v[0:1], v[2:3] offset0:44 offset1:45
	v_dual_mov_b32 v0, v190 :: v_dual_mov_b32 v1, v191
	ds_store_2addr_b64 v56, v[0:1], v[192:193] offset0:46 offset1:47
	ds_load_b64 v[0:1], v55
	s_wait_dscnt 0x0
	v_cmp_neq_f32_e32 vcc_lo, 0, v0
	v_cmp_neq_f32_e64 s1, 0, v1
	s_or_b32 s1, vcc_lo, s1
	s_delay_alu instid0(SALU_CYCLE_1)
	s_and_b32 exec_lo, exec_lo, s1
	s_cbranch_execz .LBB95_251
; %bb.246:
	v_cmp_ngt_f32_e64 s1, |v0|, |v1|
                                        ; implicit-def: $vgpr2_vgpr3
	s_and_saveexec_b32 s4, s1
	s_delay_alu instid0(SALU_CYCLE_1)
	s_xor_b32 s1, exec_lo, s4
	s_cbranch_execz .LBB95_248
; %bb.247:
	v_div_scale_f32 v2, null, v1, v1, v0
	v_div_scale_f32 v5, vcc_lo, v0, v1, v0
	s_delay_alu instid0(VALU_DEP_2) | instskip(SKIP_1) | instid1(TRANS32_DEP_1)
	v_rcp_f32_e32 v3, v2
	v_nop
	v_fma_f32 v4, -v2, v3, 1.0
	s_delay_alu instid0(VALU_DEP_1) | instskip(NEXT) | instid1(VALU_DEP_1)
	v_fmac_f32_e32 v3, v4, v3
	v_mul_f32_e32 v4, v5, v3
	s_delay_alu instid0(VALU_DEP_1) | instskip(NEXT) | instid1(VALU_DEP_1)
	v_fma_f32 v6, -v2, v4, v5
	v_fmac_f32_e32 v4, v6, v3
	s_delay_alu instid0(VALU_DEP_1) | instskip(NEXT) | instid1(VALU_DEP_1)
	v_fma_f32 v2, -v2, v4, v5
	v_div_fmas_f32 v2, v2, v3, v4
	s_delay_alu instid0(VALU_DEP_1) | instskip(NEXT) | instid1(VALU_DEP_1)
	v_div_fixup_f32 v2, v2, v1, v0
	v_fmac_f32_e32 v1, v0, v2
	s_delay_alu instid0(VALU_DEP_1) | instskip(SKIP_1) | instid1(VALU_DEP_2)
	v_div_scale_f32 v0, null, v1, v1, 1.0
	v_div_scale_f32 v5, vcc_lo, 1.0, v1, 1.0
	v_rcp_f32_e32 v3, v0
	v_nop
	s_delay_alu instid0(TRANS32_DEP_1) | instskip(NEXT) | instid1(VALU_DEP_1)
	v_fma_f32 v4, -v0, v3, 1.0
	v_fmac_f32_e32 v3, v4, v3
	s_delay_alu instid0(VALU_DEP_1) | instskip(NEXT) | instid1(VALU_DEP_1)
	v_mul_f32_e32 v4, v5, v3
	v_fma_f32 v6, -v0, v4, v5
	s_delay_alu instid0(VALU_DEP_1) | instskip(NEXT) | instid1(VALU_DEP_1)
	v_fmac_f32_e32 v4, v6, v3
	v_fma_f32 v0, -v0, v4, v5
	s_delay_alu instid0(VALU_DEP_1) | instskip(NEXT) | instid1(VALU_DEP_1)
	v_div_fmas_f32 v0, v0, v3, v4
	v_div_fixup_f32 v0, v0, v1, 1.0
	s_delay_alu instid0(VALU_DEP_1)
	v_mul_f32_e32 v2, v2, v0
	v_xor_b32_e32 v3, 0x80000000, v0
                                        ; implicit-def: $vgpr0_vgpr1
.LBB95_248:
	s_and_not1_saveexec_b32 s1, s1
	s_cbranch_execz .LBB95_250
; %bb.249:
	v_div_scale_f32 v2, null, v0, v0, v1
	v_div_scale_f32 v5, vcc_lo, v1, v0, v1
	s_delay_alu instid0(VALU_DEP_2) | instskip(SKIP_1) | instid1(TRANS32_DEP_1)
	v_rcp_f32_e32 v3, v2
	v_nop
	v_fma_f32 v4, -v2, v3, 1.0
	s_delay_alu instid0(VALU_DEP_1) | instskip(NEXT) | instid1(VALU_DEP_1)
	v_fmac_f32_e32 v3, v4, v3
	v_mul_f32_e32 v4, v5, v3
	s_delay_alu instid0(VALU_DEP_1) | instskip(NEXT) | instid1(VALU_DEP_1)
	v_fma_f32 v6, -v2, v4, v5
	v_fmac_f32_e32 v4, v6, v3
	s_delay_alu instid0(VALU_DEP_1) | instskip(NEXT) | instid1(VALU_DEP_1)
	v_fma_f32 v2, -v2, v4, v5
	v_div_fmas_f32 v2, v2, v3, v4
	s_delay_alu instid0(VALU_DEP_1) | instskip(NEXT) | instid1(VALU_DEP_1)
	v_div_fixup_f32 v3, v2, v0, v1
	v_fmac_f32_e32 v0, v1, v3
	s_delay_alu instid0(VALU_DEP_1) | instskip(NEXT) | instid1(VALU_DEP_1)
	v_div_scale_f32 v1, null, v0, v0, 1.0
	v_rcp_f32_e32 v2, v1
	v_nop
	s_delay_alu instid0(TRANS32_DEP_1) | instskip(NEXT) | instid1(VALU_DEP_1)
	v_fma_f32 v4, -v1, v2, 1.0
	v_fmac_f32_e32 v2, v4, v2
	v_div_scale_f32 v4, vcc_lo, 1.0, v0, 1.0
	s_delay_alu instid0(VALU_DEP_1) | instskip(NEXT) | instid1(VALU_DEP_1)
	v_mul_f32_e32 v5, v4, v2
	v_fma_f32 v6, -v1, v5, v4
	s_delay_alu instid0(VALU_DEP_1) | instskip(NEXT) | instid1(VALU_DEP_1)
	v_fmac_f32_e32 v5, v6, v2
	v_fma_f32 v1, -v1, v5, v4
	s_delay_alu instid0(VALU_DEP_1) | instskip(NEXT) | instid1(VALU_DEP_1)
	v_div_fmas_f32 v1, v1, v2, v5
	v_div_fixup_f32 v2, v1, v0, 1.0
	s_delay_alu instid0(VALU_DEP_1)
	v_mul_f32_e64 v3, v3, -v2
.LBB95_250:
	s_or_b32 exec_lo, exec_lo, s1
	ds_store_b64 v55, v[2:3]
.LBB95_251:
	s_or_b32 exec_lo, exec_lo, s2
	s_wait_dscnt 0x0
	s_barrier_signal -1
	s_barrier_wait -1
	ds_load_b64 v[248:249], v55
	s_mov_b32 s1, exec_lo
	v_cmpx_lt_u32_e32 27, v54
	s_cbranch_execz .LBB95_253
; %bb.252:
	ds_load_2addr_b64 v[4:7], v56 offset0:28 offset1:29
	s_wait_dscnt 0x1
	v_pk_mul_f32 v[2:3], v[248:249], v[106:107] op_sel:[1,1] op_sel_hi:[0,1]
	s_delay_alu instid0(VALU_DEP_1) | instskip(SKIP_1) | instid1(VALU_DEP_1)
	v_pk_fma_f32 v[0:1], v[248:249], v[106:107], v[2:3] op_sel_hi:[1,0,1] neg_lo:[0,0,1] neg_hi:[0,0,1]
	v_pk_fma_f32 v[2:3], v[248:249], v[106:107], v[2:3] op_sel_hi:[1,0,1]
	v_dual_mov_b32 v106, v0 :: v_dual_mov_b32 v107, v3
	s_wait_dscnt 0x0
	s_delay_alu instid0(VALU_DEP_2) | instskip(NEXT) | instid1(VALU_DEP_1)
	v_pk_mul_f32 v[8:9], v[4:5], v[2:3] op_sel:[0,1]
	v_pk_fma_f32 v[10:11], v[4:5], v[0:1], v[8:9] op_sel:[0,0,1] op_sel_hi:[1,1,0] neg_lo:[0,0,1] neg_hi:[0,0,1]
	v_pk_fma_f32 v[4:5], v[4:5], v[0:1], v[8:9] op_sel:[0,0,1] op_sel_hi:[1,0,0]
	s_delay_alu instid0(VALU_DEP_1) | instskip(SKIP_1) | instid1(VALU_DEP_1)
	v_mov_b32_e32 v11, v5
	v_pk_mul_f32 v[4:5], v[6:7], v[2:3] op_sel:[0,1]
	v_pk_fma_f32 v[8:9], v[6:7], v[0:1], v[4:5] op_sel:[0,0,1] op_sel_hi:[1,1,0] neg_lo:[0,0,1] neg_hi:[0,0,1]
	v_pk_fma_f32 v[4:5], v[6:7], v[0:1], v[4:5] op_sel:[0,0,1] op_sel_hi:[1,0,0]
	s_delay_alu instid0(VALU_DEP_1)
	v_mov_b32_e32 v9, v5
	ds_load_2addr_b64 v[4:7], v56 offset0:30 offset1:31
	v_pk_add_f32 v[128:129], v[128:129], v[10:11] neg_lo:[0,1] neg_hi:[0,1]
	v_pk_add_f32 v[124:125], v[124:125], v[8:9] neg_lo:[0,1] neg_hi:[0,1]
	s_wait_dscnt 0x0
	v_pk_mul_f32 v[8:9], v[4:5], v[2:3] op_sel:[0,1]
	s_delay_alu instid0(VALU_DEP_1) | instskip(SKIP_2) | instid1(VALU_DEP_2)
	v_pk_fma_f32 v[10:11], v[4:5], v[0:1], v[8:9] op_sel:[0,0,1] op_sel_hi:[1,1,0] neg_lo:[0,0,1] neg_hi:[0,0,1]
	v_pk_fma_f32 v[4:5], v[4:5], v[0:1], v[8:9] op_sel:[0,0,1] op_sel_hi:[1,0,0]
	v_dual_mul_f32 v8, v7, v3 :: v_dual_mov_b32 v4, v7
	v_dual_mov_b32 v11, v5 :: v_dual_mov_b32 v5, v6
	s_delay_alu instid0(VALU_DEP_2) | instskip(SKIP_1) | instid1(VALU_DEP_3)
	v_pk_fma_f32 v[8:9], v[6:7], v[106:107], v[8:9] op_sel_hi:[1,1,0] neg_lo:[0,0,1] neg_hi:[0,0,1]
	v_mul_f32_e32 v6, v7, v0
	v_pk_add_f32 v[126:127], v[126:127], v[10:11] neg_lo:[0,1] neg_hi:[0,1]
	s_delay_alu instid0(VALU_DEP_2) | instskip(NEXT) | instid1(VALU_DEP_1)
	v_pk_fma_f32 v[4:5], v[4:5], v[106:107], v[6:7] op_sel_hi:[1,1,0]
	v_mov_b32_e32 v9, v5
	ds_load_2addr_b64 v[4:7], v56 offset0:32 offset1:33
	v_pk_add_f32 v[122:123], v[122:123], v[8:9] neg_lo:[0,1] neg_hi:[0,1]
	s_wait_dscnt 0x0
	v_pk_mul_f32 v[8:9], v[4:5], v[2:3] op_sel:[0,1]
	s_delay_alu instid0(VALU_DEP_1) | instskip(SKIP_1) | instid1(VALU_DEP_1)
	v_pk_fma_f32 v[10:11], v[4:5], v[0:1], v[8:9] op_sel:[0,0,1] op_sel_hi:[1,1,0] neg_lo:[0,0,1] neg_hi:[0,0,1]
	v_pk_fma_f32 v[4:5], v[4:5], v[0:1], v[8:9] op_sel:[0,0,1] op_sel_hi:[1,0,0]
	v_mov_b32_e32 v11, v5
	v_pk_mul_f32 v[4:5], v[6:7], v[2:3] op_sel:[0,1]
	s_delay_alu instid0(VALU_DEP_1) | instskip(SKIP_1) | instid1(VALU_DEP_1)
	v_pk_fma_f32 v[8:9], v[6:7], v[0:1], v[4:5] op_sel:[0,0,1] op_sel_hi:[1,1,0] neg_lo:[0,0,1] neg_hi:[0,0,1]
	v_pk_fma_f32 v[4:5], v[6:7], v[0:1], v[4:5] op_sel:[0,0,1] op_sel_hi:[1,0,0]
	v_mov_b32_e32 v9, v5
	ds_load_2addr_b64 v[4:7], v56 offset0:34 offset1:35
	v_pk_add_f32 v[144:145], v[144:145], v[10:11] neg_lo:[0,1] neg_hi:[0,1]
	v_pk_add_f32 v[140:141], v[140:141], v[8:9] neg_lo:[0,1] neg_hi:[0,1]
	s_wait_dscnt 0x0
	v_pk_mul_f32 v[8:9], v[4:5], v[2:3] op_sel:[0,1]
	s_delay_alu instid0(VALU_DEP_1) | instskip(SKIP_1) | instid1(VALU_DEP_1)
	v_pk_fma_f32 v[10:11], v[4:5], v[0:1], v[8:9] op_sel:[0,0,1] op_sel_hi:[1,1,0] neg_lo:[0,0,1] neg_hi:[0,0,1]
	v_pk_fma_f32 v[4:5], v[4:5], v[0:1], v[8:9] op_sel:[0,0,1] op_sel_hi:[1,0,0]
	v_mov_b32_e32 v11, v5
	v_pk_mul_f32 v[4:5], v[6:7], v[2:3] op_sel:[0,1]
	s_delay_alu instid0(VALU_DEP_1) | instskip(SKIP_1) | instid1(VALU_DEP_1)
	v_pk_fma_f32 v[8:9], v[6:7], v[0:1], v[4:5] op_sel:[0,0,1] op_sel_hi:[1,1,0] neg_lo:[0,0,1] neg_hi:[0,0,1]
	v_pk_fma_f32 v[4:5], v[6:7], v[0:1], v[4:5] op_sel:[0,0,1] op_sel_hi:[1,0,0]
	v_mov_b32_e32 v9, v5
	ds_load_2addr_b64 v[4:7], v56 offset0:36 offset1:37
	v_pk_add_f32 v[142:143], v[142:143], v[10:11] neg_lo:[0,1] neg_hi:[0,1]
	v_pk_add_f32 v[138:139], v[138:139], v[8:9] neg_lo:[0,1] neg_hi:[0,1]
	s_wait_dscnt 0x0
	v_dual_mul_f32 v8, v5, v3 :: v_dual_mul_f32 v10, v5, v0
	s_delay_alu instid0(VALU_DEP_1) | instskip(NEXT) | instid1(VALU_DEP_2)
	v_pk_fma_f32 v[8:9], v[4:5], v[106:107], v[8:9] op_sel_hi:[1,1,0] neg_lo:[0,0,1] neg_hi:[0,0,1]
	v_pk_fma_f32 v[4:5], v[4:5], v[106:107], v[10:11] op_sel:[1,0,0] op_sel_hi:[0,1,0]
	s_delay_alu instid0(VALU_DEP_1) | instskip(SKIP_1) | instid1(VALU_DEP_2)
	v_mov_b32_e32 v9, v5
	v_pk_mul_f32 v[4:5], v[6:7], v[2:3] op_sel:[0,1]
	v_pk_add_f32 v[164:165], v[164:165], v[8:9] neg_lo:[0,1] neg_hi:[0,1]
	s_delay_alu instid0(VALU_DEP_2) | instskip(SKIP_1) | instid1(VALU_DEP_1)
	v_pk_fma_f32 v[8:9], v[6:7], v[0:1], v[4:5] op_sel:[0,0,1] op_sel_hi:[1,1,0] neg_lo:[0,0,1] neg_hi:[0,0,1]
	v_pk_fma_f32 v[4:5], v[6:7], v[0:1], v[4:5] op_sel:[0,0,1] op_sel_hi:[1,0,0]
	v_mov_b32_e32 v9, v5
	ds_load_2addr_b64 v[4:7], v56 offset0:38 offset1:39
	v_pk_add_f32 v[160:161], v[160:161], v[8:9] neg_lo:[0,1] neg_hi:[0,1]
	s_wait_dscnt 0x0
	v_pk_mul_f32 v[8:9], v[4:5], v[2:3] op_sel:[0,1]
	s_delay_alu instid0(VALU_DEP_1) | instskip(SKIP_1) | instid1(VALU_DEP_1)
	v_pk_fma_f32 v[10:11], v[4:5], v[0:1], v[8:9] op_sel:[0,0,1] op_sel_hi:[1,1,0] neg_lo:[0,0,1] neg_hi:[0,0,1]
	v_pk_fma_f32 v[4:5], v[4:5], v[0:1], v[8:9] op_sel:[0,0,1] op_sel_hi:[1,0,0]
	v_mov_b32_e32 v11, v5
	v_pk_mul_f32 v[4:5], v[6:7], v[2:3] op_sel:[0,1]
	s_delay_alu instid0(VALU_DEP_2) | instskip(NEXT) | instid1(VALU_DEP_2)
	v_pk_add_f32 v[162:163], v[162:163], v[10:11] neg_lo:[0,1] neg_hi:[0,1]
	v_pk_fma_f32 v[8:9], v[6:7], v[0:1], v[4:5] op_sel:[0,0,1] op_sel_hi:[1,1,0] neg_lo:[0,0,1] neg_hi:[0,0,1]
	v_pk_fma_f32 v[4:5], v[6:7], v[0:1], v[4:5] op_sel:[0,0,1] op_sel_hi:[1,0,0]
	s_delay_alu instid0(VALU_DEP_1) | instskip(SKIP_4) | instid1(VALU_DEP_1)
	v_mov_b32_e32 v9, v5
	ds_load_2addr_b64 v[4:7], v56 offset0:40 offset1:41
	v_pk_add_f32 v[158:159], v[158:159], v[8:9] neg_lo:[0,1] neg_hi:[0,1]
	s_wait_dscnt 0x0
	v_pk_mul_f32 v[8:9], v[4:5], v[2:3] op_sel:[0,1]
	v_pk_fma_f32 v[10:11], v[4:5], v[0:1], v[8:9] op_sel:[0,0,1] op_sel_hi:[1,1,0] neg_lo:[0,0,1] neg_hi:[0,0,1]
	v_pk_fma_f32 v[4:5], v[4:5], v[0:1], v[8:9] op_sel:[0,0,1] op_sel_hi:[1,0,0]
	v_dual_mul_f32 v8, v7, v3 :: v_dual_mov_b32 v4, v7
	s_delay_alu instid0(VALU_DEP_2) | instskip(NEXT) | instid1(VALU_DEP_2)
	v_dual_mov_b32 v11, v5 :: v_dual_mov_b32 v5, v6
	v_pk_fma_f32 v[8:9], v[6:7], v[106:107], v[8:9] op_sel_hi:[1,1,0] neg_lo:[0,0,1] neg_hi:[0,0,1]
	v_mul_f32_e32 v6, v7, v0
	s_delay_alu instid0(VALU_DEP_3) | instskip(NEXT) | instid1(VALU_DEP_2)
	v_pk_add_f32 v[188:189], v[188:189], v[10:11] neg_lo:[0,1] neg_hi:[0,1]
	v_pk_fma_f32 v[4:5], v[4:5], v[106:107], v[6:7] op_sel_hi:[1,1,0]
	s_delay_alu instid0(VALU_DEP_1) | instskip(SKIP_4) | instid1(VALU_DEP_1)
	v_mov_b32_e32 v9, v5
	ds_load_2addr_b64 v[4:7], v56 offset0:42 offset1:43
	v_pk_add_f32 v[182:183], v[182:183], v[8:9] neg_lo:[0,1] neg_hi:[0,1]
	s_wait_dscnt 0x0
	v_pk_mul_f32 v[8:9], v[4:5], v[2:3] op_sel:[0,1]
	v_pk_fma_f32 v[10:11], v[4:5], v[0:1], v[8:9] op_sel:[0,0,1] op_sel_hi:[1,1,0] neg_lo:[0,0,1] neg_hi:[0,0,1]
	v_pk_fma_f32 v[4:5], v[4:5], v[0:1], v[8:9] op_sel:[0,0,1] op_sel_hi:[1,0,0]
	s_delay_alu instid0(VALU_DEP_1) | instskip(SKIP_1) | instid1(VALU_DEP_1)
	v_mov_b32_e32 v11, v5
	v_pk_mul_f32 v[4:5], v[6:7], v[2:3] op_sel:[0,1]
	v_pk_fma_f32 v[8:9], v[6:7], v[0:1], v[4:5] op_sel:[0,0,1] op_sel_hi:[1,1,0] neg_lo:[0,0,1] neg_hi:[0,0,1]
	v_pk_fma_f32 v[4:5], v[6:7], v[0:1], v[4:5] op_sel:[0,0,1] op_sel_hi:[1,0,0]
	s_delay_alu instid0(VALU_DEP_1)
	v_mov_b32_e32 v9, v5
	ds_load_2addr_b64 v[4:7], v56 offset0:44 offset1:45
	v_pk_add_f32 v[186:187], v[186:187], v[10:11] neg_lo:[0,1] neg_hi:[0,1]
	v_pk_add_f32 v[180:181], v[180:181], v[8:9] neg_lo:[0,1] neg_hi:[0,1]
	s_wait_dscnt 0x0
	v_pk_mul_f32 v[8:9], v[4:5], v[2:3] op_sel:[0,1]
	s_delay_alu instid0(VALU_DEP_1) | instskip(SKIP_1) | instid1(VALU_DEP_1)
	v_pk_fma_f32 v[10:11], v[4:5], v[0:1], v[8:9] op_sel:[0,0,1] op_sel_hi:[1,1,0] neg_lo:[0,0,1] neg_hi:[0,0,1]
	v_pk_fma_f32 v[4:5], v[4:5], v[0:1], v[8:9] op_sel:[0,0,1] op_sel_hi:[1,0,0]
	v_mov_b32_e32 v11, v5
	v_pk_mul_f32 v[4:5], v[6:7], v[2:3] op_sel:[0,1]
	s_delay_alu instid0(VALU_DEP_1) | instskip(SKIP_1) | instid1(VALU_DEP_1)
	v_pk_fma_f32 v[8:9], v[6:7], v[0:1], v[4:5] op_sel:[0,0,1] op_sel_hi:[1,1,0] neg_lo:[0,0,1] neg_hi:[0,0,1]
	v_pk_fma_f32 v[4:5], v[6:7], v[0:1], v[4:5] op_sel:[0,0,1] op_sel_hi:[1,0,0]
	v_mov_b32_e32 v9, v5
	ds_load_2addr_b64 v[4:7], v56 offset0:46 offset1:47
	v_pk_add_f32 v[184:185], v[184:185], v[10:11] neg_lo:[0,1] neg_hi:[0,1]
	v_pk_add_f32 v[178:179], v[178:179], v[8:9] neg_lo:[0,1] neg_hi:[0,1]
	s_wait_dscnt 0x0
	v_dual_mul_f32 v8, v5, v3 :: v_dual_mul_f32 v10, v5, v0
	v_pk_mul_f32 v[2:3], v[6:7], v[2:3] op_sel:[0,1]
	s_delay_alu instid0(VALU_DEP_2) | instskip(NEXT) | instid1(VALU_DEP_3)
	v_pk_fma_f32 v[8:9], v[4:5], v[106:107], v[8:9] op_sel_hi:[1,1,0] neg_lo:[0,0,1] neg_hi:[0,0,1]
	v_pk_fma_f32 v[4:5], v[4:5], v[106:107], v[10:11] op_sel:[1,0,0] op_sel_hi:[0,1,0]
	s_delay_alu instid0(VALU_DEP_1) | instskip(NEXT) | instid1(VALU_DEP_4)
	v_mov_b32_e32 v9, v5
	v_pk_fma_f32 v[4:5], v[6:7], v[0:1], v[2:3] op_sel:[0,0,1] op_sel_hi:[1,1,0] neg_lo:[0,0,1] neg_hi:[0,0,1]
	v_pk_fma_f32 v[0:1], v[6:7], v[0:1], v[2:3] op_sel:[0,0,1] op_sel_hi:[1,0,0]
	s_delay_alu instid0(VALU_DEP_1) | instskip(NEXT) | instid1(VALU_DEP_4)
	v_mov_b32_e32 v5, v1
	v_pk_add_f32 v[190:191], v[190:191], v[8:9] neg_lo:[0,1] neg_hi:[0,1]
	s_delay_alu instid0(VALU_DEP_2)
	v_pk_add_f32 v[192:193], v[192:193], v[4:5] neg_lo:[0,1] neg_hi:[0,1]
.LBB95_253:
	s_or_b32 exec_lo, exec_lo, s1
	s_delay_alu instid0(SALU_CYCLE_1)
	s_mov_b32 s2, exec_lo
	s_wait_dscnt 0x0
	s_barrier_signal -1
	s_barrier_wait -1
	v_cmpx_eq_u32_e32 28, v54
	s_cbranch_execz .LBB95_260
; %bb.254:
	ds_store_b64 v55, v[128:129]
	ds_store_2addr_b64 v56, v[124:125], v[126:127] offset0:29 offset1:30
	ds_store_2addr_b64 v56, v[122:123], v[144:145] offset0:31 offset1:32
	;; [unrolled: 1-line block ×9, first 2 shown]
	ds_store_b64 v56, v[192:193] offset:376
	ds_load_b64 v[0:1], v55
	s_wait_dscnt 0x0
	v_cmp_neq_f32_e32 vcc_lo, 0, v0
	v_cmp_neq_f32_e64 s1, 0, v1
	s_or_b32 s1, vcc_lo, s1
	s_delay_alu instid0(SALU_CYCLE_1)
	s_and_b32 exec_lo, exec_lo, s1
	s_cbranch_execz .LBB95_260
; %bb.255:
	v_cmp_ngt_f32_e64 s1, |v0|, |v1|
                                        ; implicit-def: $vgpr2_vgpr3
	s_and_saveexec_b32 s4, s1
	s_delay_alu instid0(SALU_CYCLE_1)
	s_xor_b32 s1, exec_lo, s4
	s_cbranch_execz .LBB95_257
; %bb.256:
	v_div_scale_f32 v2, null, v1, v1, v0
	v_div_scale_f32 v5, vcc_lo, v0, v1, v0
	s_delay_alu instid0(VALU_DEP_2) | instskip(SKIP_1) | instid1(TRANS32_DEP_1)
	v_rcp_f32_e32 v3, v2
	v_nop
	v_fma_f32 v4, -v2, v3, 1.0
	s_delay_alu instid0(VALU_DEP_1) | instskip(NEXT) | instid1(VALU_DEP_1)
	v_fmac_f32_e32 v3, v4, v3
	v_mul_f32_e32 v4, v5, v3
	s_delay_alu instid0(VALU_DEP_1) | instskip(NEXT) | instid1(VALU_DEP_1)
	v_fma_f32 v6, -v2, v4, v5
	v_fmac_f32_e32 v4, v6, v3
	s_delay_alu instid0(VALU_DEP_1) | instskip(NEXT) | instid1(VALU_DEP_1)
	v_fma_f32 v2, -v2, v4, v5
	v_div_fmas_f32 v2, v2, v3, v4
	s_delay_alu instid0(VALU_DEP_1) | instskip(NEXT) | instid1(VALU_DEP_1)
	v_div_fixup_f32 v2, v2, v1, v0
	v_fmac_f32_e32 v1, v0, v2
	s_delay_alu instid0(VALU_DEP_1) | instskip(SKIP_1) | instid1(VALU_DEP_2)
	v_div_scale_f32 v0, null, v1, v1, 1.0
	v_div_scale_f32 v5, vcc_lo, 1.0, v1, 1.0
	v_rcp_f32_e32 v3, v0
	v_nop
	s_delay_alu instid0(TRANS32_DEP_1) | instskip(NEXT) | instid1(VALU_DEP_1)
	v_fma_f32 v4, -v0, v3, 1.0
	v_fmac_f32_e32 v3, v4, v3
	s_delay_alu instid0(VALU_DEP_1) | instskip(NEXT) | instid1(VALU_DEP_1)
	v_mul_f32_e32 v4, v5, v3
	v_fma_f32 v6, -v0, v4, v5
	s_delay_alu instid0(VALU_DEP_1) | instskip(NEXT) | instid1(VALU_DEP_1)
	v_fmac_f32_e32 v4, v6, v3
	v_fma_f32 v0, -v0, v4, v5
	s_delay_alu instid0(VALU_DEP_1) | instskip(NEXT) | instid1(VALU_DEP_1)
	v_div_fmas_f32 v0, v0, v3, v4
	v_div_fixup_f32 v0, v0, v1, 1.0
	s_delay_alu instid0(VALU_DEP_1)
	v_mul_f32_e32 v2, v2, v0
	v_xor_b32_e32 v3, 0x80000000, v0
                                        ; implicit-def: $vgpr0_vgpr1
.LBB95_257:
	s_and_not1_saveexec_b32 s1, s1
	s_cbranch_execz .LBB95_259
; %bb.258:
	v_div_scale_f32 v2, null, v0, v0, v1
	v_div_scale_f32 v5, vcc_lo, v1, v0, v1
	s_delay_alu instid0(VALU_DEP_2) | instskip(SKIP_1) | instid1(TRANS32_DEP_1)
	v_rcp_f32_e32 v3, v2
	v_nop
	v_fma_f32 v4, -v2, v3, 1.0
	s_delay_alu instid0(VALU_DEP_1) | instskip(NEXT) | instid1(VALU_DEP_1)
	v_fmac_f32_e32 v3, v4, v3
	v_mul_f32_e32 v4, v5, v3
	s_delay_alu instid0(VALU_DEP_1) | instskip(NEXT) | instid1(VALU_DEP_1)
	v_fma_f32 v6, -v2, v4, v5
	v_fmac_f32_e32 v4, v6, v3
	s_delay_alu instid0(VALU_DEP_1) | instskip(NEXT) | instid1(VALU_DEP_1)
	v_fma_f32 v2, -v2, v4, v5
	v_div_fmas_f32 v2, v2, v3, v4
	s_delay_alu instid0(VALU_DEP_1) | instskip(NEXT) | instid1(VALU_DEP_1)
	v_div_fixup_f32 v3, v2, v0, v1
	v_fmac_f32_e32 v0, v1, v3
	s_delay_alu instid0(VALU_DEP_1) | instskip(NEXT) | instid1(VALU_DEP_1)
	v_div_scale_f32 v1, null, v0, v0, 1.0
	v_rcp_f32_e32 v2, v1
	v_nop
	s_delay_alu instid0(TRANS32_DEP_1) | instskip(NEXT) | instid1(VALU_DEP_1)
	v_fma_f32 v4, -v1, v2, 1.0
	v_fmac_f32_e32 v2, v4, v2
	v_div_scale_f32 v4, vcc_lo, 1.0, v0, 1.0
	s_delay_alu instid0(VALU_DEP_1) | instskip(NEXT) | instid1(VALU_DEP_1)
	v_mul_f32_e32 v5, v4, v2
	v_fma_f32 v6, -v1, v5, v4
	s_delay_alu instid0(VALU_DEP_1) | instskip(NEXT) | instid1(VALU_DEP_1)
	v_fmac_f32_e32 v5, v6, v2
	v_fma_f32 v1, -v1, v5, v4
	s_delay_alu instid0(VALU_DEP_1) | instskip(NEXT) | instid1(VALU_DEP_1)
	v_div_fmas_f32 v1, v1, v2, v5
	v_div_fixup_f32 v2, v1, v0, 1.0
	s_delay_alu instid0(VALU_DEP_1)
	v_mul_f32_e64 v3, v3, -v2
.LBB95_259:
	s_or_b32 exec_lo, exec_lo, s1
	ds_store_b64 v55, v[2:3]
.LBB95_260:
	s_or_b32 exec_lo, exec_lo, s2
	s_wait_dscnt 0x0
	s_barrier_signal -1
	s_barrier_wait -1
	ds_load_b64 v[250:251], v55
	s_mov_b32 s1, exec_lo
	v_cmpx_lt_u32_e32 28, v54
	s_cbranch_execz .LBB95_262
; %bb.261:
	ds_load_2addr_b64 v[4:7], v56 offset0:29 offset1:30
	s_wait_dscnt 0x1
	v_pk_mul_f32 v[2:3], v[250:251], v[128:129] op_sel:[1,1] op_sel_hi:[0,1]
	s_delay_alu instid0(VALU_DEP_1) | instskip(SKIP_1) | instid1(VALU_DEP_1)
	v_pk_fma_f32 v[0:1], v[250:251], v[128:129], v[2:3] op_sel_hi:[1,0,1] neg_lo:[0,0,1] neg_hi:[0,0,1]
	v_pk_fma_f32 v[2:3], v[250:251], v[128:129], v[2:3] op_sel_hi:[1,0,1]
	v_dual_mov_b32 v128, v0 :: v_dual_mov_b32 v129, v3
	s_wait_dscnt 0x0
	s_delay_alu instid0(VALU_DEP_2) | instskip(NEXT) | instid1(VALU_DEP_1)
	v_pk_mul_f32 v[8:9], v[4:5], v[2:3] op_sel:[0,1]
	v_pk_fma_f32 v[10:11], v[4:5], v[0:1], v[8:9] op_sel:[0,0,1] op_sel_hi:[1,1,0] neg_lo:[0,0,1] neg_hi:[0,0,1]
	v_pk_fma_f32 v[4:5], v[4:5], v[0:1], v[8:9] op_sel:[0,0,1] op_sel_hi:[1,0,0]
	s_delay_alu instid0(VALU_DEP_1) | instskip(SKIP_1) | instid1(VALU_DEP_1)
	v_mov_b32_e32 v11, v5
	v_pk_mul_f32 v[4:5], v[6:7], v[2:3] op_sel:[0,1]
	v_pk_fma_f32 v[8:9], v[6:7], v[0:1], v[4:5] op_sel:[0,0,1] op_sel_hi:[1,1,0] neg_lo:[0,0,1] neg_hi:[0,0,1]
	v_pk_fma_f32 v[4:5], v[6:7], v[0:1], v[4:5] op_sel:[0,0,1] op_sel_hi:[1,0,0]
	s_delay_alu instid0(VALU_DEP_1)
	v_mov_b32_e32 v9, v5
	ds_load_2addr_b64 v[4:7], v56 offset0:31 offset1:32
	v_pk_add_f32 v[124:125], v[124:125], v[10:11] neg_lo:[0,1] neg_hi:[0,1]
	v_pk_add_f32 v[126:127], v[126:127], v[8:9] neg_lo:[0,1] neg_hi:[0,1]
	s_wait_dscnt 0x0
	v_pk_mul_f32 v[8:9], v[4:5], v[2:3] op_sel:[0,1]
	s_delay_alu instid0(VALU_DEP_1) | instskip(SKIP_2) | instid1(VALU_DEP_2)
	v_pk_fma_f32 v[10:11], v[4:5], v[0:1], v[8:9] op_sel:[0,0,1] op_sel_hi:[1,1,0] neg_lo:[0,0,1] neg_hi:[0,0,1]
	v_pk_fma_f32 v[4:5], v[4:5], v[0:1], v[8:9] op_sel:[0,0,1] op_sel_hi:[1,0,0]
	v_dual_mul_f32 v8, v7, v3 :: v_dual_mov_b32 v4, v7
	v_dual_mov_b32 v11, v5 :: v_dual_mov_b32 v5, v6
	s_delay_alu instid0(VALU_DEP_2) | instskip(SKIP_1) | instid1(VALU_DEP_3)
	v_pk_fma_f32 v[8:9], v[6:7], v[128:129], v[8:9] op_sel_hi:[1,1,0] neg_lo:[0,0,1] neg_hi:[0,0,1]
	v_mul_f32_e32 v6, v7, v0
	v_pk_add_f32 v[122:123], v[122:123], v[10:11] neg_lo:[0,1] neg_hi:[0,1]
	s_delay_alu instid0(VALU_DEP_2) | instskip(NEXT) | instid1(VALU_DEP_1)
	v_pk_fma_f32 v[4:5], v[4:5], v[128:129], v[6:7] op_sel_hi:[1,1,0]
	v_mov_b32_e32 v9, v5
	ds_load_2addr_b64 v[4:7], v56 offset0:33 offset1:34
	v_pk_add_f32 v[144:145], v[144:145], v[8:9] neg_lo:[0,1] neg_hi:[0,1]
	s_wait_dscnt 0x0
	v_pk_mul_f32 v[8:9], v[4:5], v[2:3] op_sel:[0,1]
	s_delay_alu instid0(VALU_DEP_1) | instskip(SKIP_1) | instid1(VALU_DEP_1)
	v_pk_fma_f32 v[10:11], v[4:5], v[0:1], v[8:9] op_sel:[0,0,1] op_sel_hi:[1,1,0] neg_lo:[0,0,1] neg_hi:[0,0,1]
	v_pk_fma_f32 v[4:5], v[4:5], v[0:1], v[8:9] op_sel:[0,0,1] op_sel_hi:[1,0,0]
	v_mov_b32_e32 v11, v5
	v_pk_mul_f32 v[4:5], v[6:7], v[2:3] op_sel:[0,1]
	s_delay_alu instid0(VALU_DEP_1) | instskip(SKIP_1) | instid1(VALU_DEP_1)
	v_pk_fma_f32 v[8:9], v[6:7], v[0:1], v[4:5] op_sel:[0,0,1] op_sel_hi:[1,1,0] neg_lo:[0,0,1] neg_hi:[0,0,1]
	v_pk_fma_f32 v[4:5], v[6:7], v[0:1], v[4:5] op_sel:[0,0,1] op_sel_hi:[1,0,0]
	v_mov_b32_e32 v9, v5
	ds_load_2addr_b64 v[4:7], v56 offset0:35 offset1:36
	v_pk_add_f32 v[140:141], v[140:141], v[10:11] neg_lo:[0,1] neg_hi:[0,1]
	v_pk_add_f32 v[142:143], v[142:143], v[8:9] neg_lo:[0,1] neg_hi:[0,1]
	s_wait_dscnt 0x0
	v_pk_mul_f32 v[8:9], v[4:5], v[2:3] op_sel:[0,1]
	s_delay_alu instid0(VALU_DEP_1) | instskip(SKIP_1) | instid1(VALU_DEP_1)
	v_pk_fma_f32 v[10:11], v[4:5], v[0:1], v[8:9] op_sel:[0,0,1] op_sel_hi:[1,1,0] neg_lo:[0,0,1] neg_hi:[0,0,1]
	v_pk_fma_f32 v[4:5], v[4:5], v[0:1], v[8:9] op_sel:[0,0,1] op_sel_hi:[1,0,0]
	v_mov_b32_e32 v11, v5
	v_pk_mul_f32 v[4:5], v[6:7], v[2:3] op_sel:[0,1]
	s_delay_alu instid0(VALU_DEP_1) | instskip(SKIP_1) | instid1(VALU_DEP_1)
	v_pk_fma_f32 v[8:9], v[6:7], v[0:1], v[4:5] op_sel:[0,0,1] op_sel_hi:[1,1,0] neg_lo:[0,0,1] neg_hi:[0,0,1]
	v_pk_fma_f32 v[4:5], v[6:7], v[0:1], v[4:5] op_sel:[0,0,1] op_sel_hi:[1,0,0]
	v_mov_b32_e32 v9, v5
	ds_load_2addr_b64 v[4:7], v56 offset0:37 offset1:38
	v_pk_add_f32 v[138:139], v[138:139], v[10:11] neg_lo:[0,1] neg_hi:[0,1]
	v_pk_add_f32 v[164:165], v[164:165], v[8:9] neg_lo:[0,1] neg_hi:[0,1]
	s_wait_dscnt 0x0
	v_dual_mul_f32 v8, v5, v3 :: v_dual_mul_f32 v10, v5, v0
	s_delay_alu instid0(VALU_DEP_1) | instskip(NEXT) | instid1(VALU_DEP_2)
	v_pk_fma_f32 v[8:9], v[4:5], v[128:129], v[8:9] op_sel_hi:[1,1,0] neg_lo:[0,0,1] neg_hi:[0,0,1]
	v_pk_fma_f32 v[4:5], v[4:5], v[128:129], v[10:11] op_sel:[1,0,0] op_sel_hi:[0,1,0]
	s_delay_alu instid0(VALU_DEP_1) | instskip(SKIP_1) | instid1(VALU_DEP_2)
	v_mov_b32_e32 v9, v5
	v_pk_mul_f32 v[4:5], v[6:7], v[2:3] op_sel:[0,1]
	v_pk_add_f32 v[160:161], v[160:161], v[8:9] neg_lo:[0,1] neg_hi:[0,1]
	s_delay_alu instid0(VALU_DEP_2) | instskip(SKIP_1) | instid1(VALU_DEP_1)
	v_pk_fma_f32 v[8:9], v[6:7], v[0:1], v[4:5] op_sel:[0,0,1] op_sel_hi:[1,1,0] neg_lo:[0,0,1] neg_hi:[0,0,1]
	v_pk_fma_f32 v[4:5], v[6:7], v[0:1], v[4:5] op_sel:[0,0,1] op_sel_hi:[1,0,0]
	v_mov_b32_e32 v9, v5
	ds_load_2addr_b64 v[4:7], v56 offset0:39 offset1:40
	v_pk_add_f32 v[162:163], v[162:163], v[8:9] neg_lo:[0,1] neg_hi:[0,1]
	s_wait_dscnt 0x0
	v_pk_mul_f32 v[8:9], v[4:5], v[2:3] op_sel:[0,1]
	s_delay_alu instid0(VALU_DEP_1) | instskip(SKIP_1) | instid1(VALU_DEP_1)
	v_pk_fma_f32 v[10:11], v[4:5], v[0:1], v[8:9] op_sel:[0,0,1] op_sel_hi:[1,1,0] neg_lo:[0,0,1] neg_hi:[0,0,1]
	v_pk_fma_f32 v[4:5], v[4:5], v[0:1], v[8:9] op_sel:[0,0,1] op_sel_hi:[1,0,0]
	v_mov_b32_e32 v11, v5
	v_pk_mul_f32 v[4:5], v[6:7], v[2:3] op_sel:[0,1]
	s_delay_alu instid0(VALU_DEP_2) | instskip(NEXT) | instid1(VALU_DEP_2)
	v_pk_add_f32 v[158:159], v[158:159], v[10:11] neg_lo:[0,1] neg_hi:[0,1]
	v_pk_fma_f32 v[8:9], v[6:7], v[0:1], v[4:5] op_sel:[0,0,1] op_sel_hi:[1,1,0] neg_lo:[0,0,1] neg_hi:[0,0,1]
	v_pk_fma_f32 v[4:5], v[6:7], v[0:1], v[4:5] op_sel:[0,0,1] op_sel_hi:[1,0,0]
	s_delay_alu instid0(VALU_DEP_1) | instskip(SKIP_4) | instid1(VALU_DEP_1)
	v_mov_b32_e32 v9, v5
	ds_load_2addr_b64 v[4:7], v56 offset0:41 offset1:42
	v_pk_add_f32 v[188:189], v[188:189], v[8:9] neg_lo:[0,1] neg_hi:[0,1]
	s_wait_dscnt 0x0
	v_pk_mul_f32 v[8:9], v[4:5], v[2:3] op_sel:[0,1]
	v_pk_fma_f32 v[10:11], v[4:5], v[0:1], v[8:9] op_sel:[0,0,1] op_sel_hi:[1,1,0] neg_lo:[0,0,1] neg_hi:[0,0,1]
	v_pk_fma_f32 v[4:5], v[4:5], v[0:1], v[8:9] op_sel:[0,0,1] op_sel_hi:[1,0,0]
	v_dual_mul_f32 v8, v7, v3 :: v_dual_mov_b32 v4, v7
	s_delay_alu instid0(VALU_DEP_2) | instskip(NEXT) | instid1(VALU_DEP_2)
	v_dual_mov_b32 v11, v5 :: v_dual_mov_b32 v5, v6
	v_pk_fma_f32 v[8:9], v[6:7], v[128:129], v[8:9] op_sel_hi:[1,1,0] neg_lo:[0,0,1] neg_hi:[0,0,1]
	v_mul_f32_e32 v6, v7, v0
	s_delay_alu instid0(VALU_DEP_3) | instskip(NEXT) | instid1(VALU_DEP_2)
	v_pk_add_f32 v[182:183], v[182:183], v[10:11] neg_lo:[0,1] neg_hi:[0,1]
	v_pk_fma_f32 v[4:5], v[4:5], v[128:129], v[6:7] op_sel_hi:[1,1,0]
	s_delay_alu instid0(VALU_DEP_1) | instskip(SKIP_4) | instid1(VALU_DEP_1)
	v_mov_b32_e32 v9, v5
	ds_load_2addr_b64 v[4:7], v56 offset0:43 offset1:44
	v_pk_add_f32 v[186:187], v[186:187], v[8:9] neg_lo:[0,1] neg_hi:[0,1]
	s_wait_dscnt 0x0
	v_pk_mul_f32 v[8:9], v[4:5], v[2:3] op_sel:[0,1]
	v_pk_fma_f32 v[10:11], v[4:5], v[0:1], v[8:9] op_sel:[0,0,1] op_sel_hi:[1,1,0] neg_lo:[0,0,1] neg_hi:[0,0,1]
	v_pk_fma_f32 v[4:5], v[4:5], v[0:1], v[8:9] op_sel:[0,0,1] op_sel_hi:[1,0,0]
	s_delay_alu instid0(VALU_DEP_1) | instskip(SKIP_1) | instid1(VALU_DEP_1)
	v_mov_b32_e32 v11, v5
	v_pk_mul_f32 v[4:5], v[6:7], v[2:3] op_sel:[0,1]
	v_pk_fma_f32 v[8:9], v[6:7], v[0:1], v[4:5] op_sel:[0,0,1] op_sel_hi:[1,1,0] neg_lo:[0,0,1] neg_hi:[0,0,1]
	v_pk_fma_f32 v[4:5], v[6:7], v[0:1], v[4:5] op_sel:[0,0,1] op_sel_hi:[1,0,0]
	s_delay_alu instid0(VALU_DEP_1)
	v_mov_b32_e32 v9, v5
	ds_load_2addr_b64 v[4:7], v56 offset0:45 offset1:46
	v_pk_add_f32 v[180:181], v[180:181], v[10:11] neg_lo:[0,1] neg_hi:[0,1]
	v_pk_add_f32 v[184:185], v[184:185], v[8:9] neg_lo:[0,1] neg_hi:[0,1]
	s_wait_dscnt 0x0
	v_pk_mul_f32 v[8:9], v[4:5], v[2:3] op_sel:[0,1]
	s_delay_alu instid0(VALU_DEP_1) | instskip(SKIP_1) | instid1(VALU_DEP_1)
	v_pk_fma_f32 v[10:11], v[4:5], v[0:1], v[8:9] op_sel:[0,0,1] op_sel_hi:[1,1,0] neg_lo:[0,0,1] neg_hi:[0,0,1]
	v_pk_fma_f32 v[4:5], v[4:5], v[0:1], v[8:9] op_sel:[0,0,1] op_sel_hi:[1,0,0]
	v_mov_b32_e32 v11, v5
	v_pk_mul_f32 v[4:5], v[6:7], v[2:3] op_sel:[0,1]
	s_delay_alu instid0(VALU_DEP_1) | instskip(SKIP_1) | instid1(VALU_DEP_1)
	v_pk_fma_f32 v[8:9], v[6:7], v[0:1], v[4:5] op_sel:[0,0,1] op_sel_hi:[1,1,0] neg_lo:[0,0,1] neg_hi:[0,0,1]
	v_pk_fma_f32 v[4:5], v[6:7], v[0:1], v[4:5] op_sel:[0,0,1] op_sel_hi:[1,0,0]
	v_mov_b32_e32 v9, v5
	ds_load_b64 v[4:5], v56 offset:376
	v_pk_add_f32 v[178:179], v[178:179], v[10:11] neg_lo:[0,1] neg_hi:[0,1]
	v_pk_add_f32 v[190:191], v[190:191], v[8:9] neg_lo:[0,1] neg_hi:[0,1]
	s_wait_dscnt 0x0
	v_pk_mul_f32 v[2:3], v[4:5], v[2:3] op_sel:[0,1]
	s_delay_alu instid0(VALU_DEP_1) | instskip(SKIP_1) | instid1(VALU_DEP_1)
	v_pk_fma_f32 v[6:7], v[4:5], v[0:1], v[2:3] op_sel:[0,0,1] op_sel_hi:[1,1,0] neg_lo:[0,0,1] neg_hi:[0,0,1]
	v_pk_fma_f32 v[0:1], v[4:5], v[0:1], v[2:3] op_sel:[0,0,1] op_sel_hi:[1,0,0]
	v_mov_b32_e32 v7, v1
	s_delay_alu instid0(VALU_DEP_1)
	v_pk_add_f32 v[192:193], v[192:193], v[6:7] neg_lo:[0,1] neg_hi:[0,1]
.LBB95_262:
	s_or_b32 exec_lo, exec_lo, s1
	s_delay_alu instid0(SALU_CYCLE_1)
	s_mov_b32 s2, exec_lo
	s_wait_dscnt 0x0
	s_barrier_signal -1
	s_barrier_wait -1
	v_cmpx_eq_u32_e32 29, v54
	s_cbranch_execz .LBB95_269
; %bb.263:
	v_dual_mov_b32 v0, v126 :: v_dual_mov_b32 v1, v127
	v_dual_mov_b32 v2, v122 :: v_dual_mov_b32 v3, v123
	ds_store_b64 v55, v[124:125]
	ds_store_2addr_b64 v56, v[0:1], v[2:3] offset0:30 offset1:31
	v_dual_mov_b32 v0, v144 :: v_dual_mov_b32 v1, v145
	v_dual_mov_b32 v2, v140 :: v_dual_mov_b32 v3, v141
	ds_store_2addr_b64 v56, v[0:1], v[2:3] offset0:32 offset1:33
	v_dual_mov_b32 v0, v142 :: v_dual_mov_b32 v1, v143
	v_dual_mov_b32 v2, v138 :: v_dual_mov_b32 v3, v139
	ds_store_2addr_b64 v56, v[0:1], v[2:3] offset0:34 offset1:35
	v_dual_mov_b32 v0, v164 :: v_dual_mov_b32 v1, v165
	v_dual_mov_b32 v2, v160 :: v_dual_mov_b32 v3, v161
	ds_store_2addr_b64 v56, v[0:1], v[2:3] offset0:36 offset1:37
	v_dual_mov_b32 v0, v162 :: v_dual_mov_b32 v1, v163
	v_dual_mov_b32 v2, v158 :: v_dual_mov_b32 v3, v159
	ds_store_2addr_b64 v56, v[0:1], v[2:3] offset0:38 offset1:39
	v_dual_mov_b32 v0, v188 :: v_dual_mov_b32 v1, v189
	v_dual_mov_b32 v2, v182 :: v_dual_mov_b32 v3, v183
	ds_store_2addr_b64 v56, v[0:1], v[2:3] offset0:40 offset1:41
	v_dual_mov_b32 v0, v186 :: v_dual_mov_b32 v1, v187
	v_dual_mov_b32 v2, v180 :: v_dual_mov_b32 v3, v181
	ds_store_2addr_b64 v56, v[0:1], v[2:3] offset0:42 offset1:43
	v_dual_mov_b32 v0, v184 :: v_dual_mov_b32 v1, v185
	v_dual_mov_b32 v2, v178 :: v_dual_mov_b32 v3, v179
	ds_store_2addr_b64 v56, v[0:1], v[2:3] offset0:44 offset1:45
	v_dual_mov_b32 v0, v190 :: v_dual_mov_b32 v1, v191
	ds_store_2addr_b64 v56, v[0:1], v[192:193] offset0:46 offset1:47
	ds_load_b64 v[0:1], v55
	s_wait_dscnt 0x0
	v_cmp_neq_f32_e32 vcc_lo, 0, v0
	v_cmp_neq_f32_e64 s1, 0, v1
	s_or_b32 s1, vcc_lo, s1
	s_delay_alu instid0(SALU_CYCLE_1)
	s_and_b32 exec_lo, exec_lo, s1
	s_cbranch_execz .LBB95_269
; %bb.264:
	v_cmp_ngt_f32_e64 s1, |v0|, |v1|
                                        ; implicit-def: $vgpr2_vgpr3
	s_and_saveexec_b32 s4, s1
	s_delay_alu instid0(SALU_CYCLE_1)
	s_xor_b32 s1, exec_lo, s4
	s_cbranch_execz .LBB95_266
; %bb.265:
	v_div_scale_f32 v2, null, v1, v1, v0
	v_div_scale_f32 v5, vcc_lo, v0, v1, v0
	s_delay_alu instid0(VALU_DEP_2) | instskip(SKIP_1) | instid1(TRANS32_DEP_1)
	v_rcp_f32_e32 v3, v2
	v_nop
	v_fma_f32 v4, -v2, v3, 1.0
	s_delay_alu instid0(VALU_DEP_1) | instskip(NEXT) | instid1(VALU_DEP_1)
	v_fmac_f32_e32 v3, v4, v3
	v_mul_f32_e32 v4, v5, v3
	s_delay_alu instid0(VALU_DEP_1) | instskip(NEXT) | instid1(VALU_DEP_1)
	v_fma_f32 v6, -v2, v4, v5
	v_fmac_f32_e32 v4, v6, v3
	s_delay_alu instid0(VALU_DEP_1) | instskip(NEXT) | instid1(VALU_DEP_1)
	v_fma_f32 v2, -v2, v4, v5
	v_div_fmas_f32 v2, v2, v3, v4
	s_delay_alu instid0(VALU_DEP_1) | instskip(NEXT) | instid1(VALU_DEP_1)
	v_div_fixup_f32 v2, v2, v1, v0
	v_fmac_f32_e32 v1, v0, v2
	s_delay_alu instid0(VALU_DEP_1) | instskip(SKIP_1) | instid1(VALU_DEP_2)
	v_div_scale_f32 v0, null, v1, v1, 1.0
	v_div_scale_f32 v5, vcc_lo, 1.0, v1, 1.0
	v_rcp_f32_e32 v3, v0
	v_nop
	s_delay_alu instid0(TRANS32_DEP_1) | instskip(NEXT) | instid1(VALU_DEP_1)
	v_fma_f32 v4, -v0, v3, 1.0
	v_fmac_f32_e32 v3, v4, v3
	s_delay_alu instid0(VALU_DEP_1) | instskip(NEXT) | instid1(VALU_DEP_1)
	v_mul_f32_e32 v4, v5, v3
	v_fma_f32 v6, -v0, v4, v5
	s_delay_alu instid0(VALU_DEP_1) | instskip(NEXT) | instid1(VALU_DEP_1)
	v_fmac_f32_e32 v4, v6, v3
	v_fma_f32 v0, -v0, v4, v5
	s_delay_alu instid0(VALU_DEP_1) | instskip(NEXT) | instid1(VALU_DEP_1)
	v_div_fmas_f32 v0, v0, v3, v4
	v_div_fixup_f32 v0, v0, v1, 1.0
	s_delay_alu instid0(VALU_DEP_1)
	v_mul_f32_e32 v2, v2, v0
	v_xor_b32_e32 v3, 0x80000000, v0
                                        ; implicit-def: $vgpr0_vgpr1
.LBB95_266:
	s_and_not1_saveexec_b32 s1, s1
	s_cbranch_execz .LBB95_268
; %bb.267:
	v_div_scale_f32 v2, null, v0, v0, v1
	v_div_scale_f32 v5, vcc_lo, v1, v0, v1
	s_delay_alu instid0(VALU_DEP_2) | instskip(SKIP_1) | instid1(TRANS32_DEP_1)
	v_rcp_f32_e32 v3, v2
	v_nop
	v_fma_f32 v4, -v2, v3, 1.0
	s_delay_alu instid0(VALU_DEP_1) | instskip(NEXT) | instid1(VALU_DEP_1)
	v_fmac_f32_e32 v3, v4, v3
	v_mul_f32_e32 v4, v5, v3
	s_delay_alu instid0(VALU_DEP_1) | instskip(NEXT) | instid1(VALU_DEP_1)
	v_fma_f32 v6, -v2, v4, v5
	v_fmac_f32_e32 v4, v6, v3
	s_delay_alu instid0(VALU_DEP_1) | instskip(NEXT) | instid1(VALU_DEP_1)
	v_fma_f32 v2, -v2, v4, v5
	v_div_fmas_f32 v2, v2, v3, v4
	s_delay_alu instid0(VALU_DEP_1) | instskip(NEXT) | instid1(VALU_DEP_1)
	v_div_fixup_f32 v3, v2, v0, v1
	v_fmac_f32_e32 v0, v1, v3
	s_delay_alu instid0(VALU_DEP_1) | instskip(NEXT) | instid1(VALU_DEP_1)
	v_div_scale_f32 v1, null, v0, v0, 1.0
	v_rcp_f32_e32 v2, v1
	v_nop
	s_delay_alu instid0(TRANS32_DEP_1) | instskip(NEXT) | instid1(VALU_DEP_1)
	v_fma_f32 v4, -v1, v2, 1.0
	v_fmac_f32_e32 v2, v4, v2
	v_div_scale_f32 v4, vcc_lo, 1.0, v0, 1.0
	s_delay_alu instid0(VALU_DEP_1) | instskip(NEXT) | instid1(VALU_DEP_1)
	v_mul_f32_e32 v5, v4, v2
	v_fma_f32 v6, -v1, v5, v4
	s_delay_alu instid0(VALU_DEP_1) | instskip(NEXT) | instid1(VALU_DEP_1)
	v_fmac_f32_e32 v5, v6, v2
	v_fma_f32 v1, -v1, v5, v4
	s_delay_alu instid0(VALU_DEP_1) | instskip(NEXT) | instid1(VALU_DEP_1)
	v_div_fmas_f32 v1, v1, v2, v5
	v_div_fixup_f32 v2, v1, v0, 1.0
	s_delay_alu instid0(VALU_DEP_1)
	v_mul_f32_e64 v3, v3, -v2
.LBB95_268:
	s_or_b32 exec_lo, exec_lo, s1
	ds_store_b64 v55, v[2:3]
.LBB95_269:
	s_or_b32 exec_lo, exec_lo, s2
	s_wait_dscnt 0x0
	s_barrier_signal -1
	s_barrier_wait -1
	ds_load_b64 v[252:253], v55
	s_mov_b32 s1, exec_lo
	v_cmpx_lt_u32_e32 29, v54
	s_cbranch_execz .LBB95_271
; %bb.270:
	ds_load_2addr_b64 v[4:7], v56 offset0:30 offset1:31
	s_wait_dscnt 0x1
	v_pk_mul_f32 v[2:3], v[252:253], v[124:125] op_sel:[1,1] op_sel_hi:[0,1]
	s_delay_alu instid0(VALU_DEP_1) | instskip(SKIP_1) | instid1(VALU_DEP_1)
	v_pk_fma_f32 v[0:1], v[252:253], v[124:125], v[2:3] op_sel_hi:[1,0,1] neg_lo:[0,0,1] neg_hi:[0,0,1]
	v_pk_fma_f32 v[2:3], v[252:253], v[124:125], v[2:3] op_sel_hi:[1,0,1]
	v_dual_mov_b32 v124, v0 :: v_dual_mov_b32 v125, v3
	s_wait_dscnt 0x0
	s_delay_alu instid0(VALU_DEP_2) | instskip(NEXT) | instid1(VALU_DEP_1)
	v_pk_mul_f32 v[8:9], v[4:5], v[2:3] op_sel:[0,1]
	v_pk_fma_f32 v[10:11], v[4:5], v[0:1], v[8:9] op_sel:[0,0,1] op_sel_hi:[1,1,0] neg_lo:[0,0,1] neg_hi:[0,0,1]
	v_pk_fma_f32 v[4:5], v[4:5], v[0:1], v[8:9] op_sel:[0,0,1] op_sel_hi:[1,0,0]
	s_delay_alu instid0(VALU_DEP_1) | instskip(SKIP_1) | instid1(VALU_DEP_1)
	v_mov_b32_e32 v11, v5
	v_pk_mul_f32 v[4:5], v[6:7], v[2:3] op_sel:[0,1]
	v_pk_fma_f32 v[8:9], v[6:7], v[0:1], v[4:5] op_sel:[0,0,1] op_sel_hi:[1,1,0] neg_lo:[0,0,1] neg_hi:[0,0,1]
	v_pk_fma_f32 v[4:5], v[6:7], v[0:1], v[4:5] op_sel:[0,0,1] op_sel_hi:[1,0,0]
	s_delay_alu instid0(VALU_DEP_1)
	v_mov_b32_e32 v9, v5
	ds_load_2addr_b64 v[4:7], v56 offset0:32 offset1:33
	v_pk_add_f32 v[126:127], v[126:127], v[10:11] neg_lo:[0,1] neg_hi:[0,1]
	v_pk_add_f32 v[122:123], v[122:123], v[8:9] neg_lo:[0,1] neg_hi:[0,1]
	s_wait_dscnt 0x0
	v_pk_mul_f32 v[8:9], v[4:5], v[2:3] op_sel:[0,1]
	s_delay_alu instid0(VALU_DEP_1) | instskip(SKIP_2) | instid1(VALU_DEP_2)
	v_pk_fma_f32 v[10:11], v[4:5], v[0:1], v[8:9] op_sel:[0,0,1] op_sel_hi:[1,1,0] neg_lo:[0,0,1] neg_hi:[0,0,1]
	v_pk_fma_f32 v[4:5], v[4:5], v[0:1], v[8:9] op_sel:[0,0,1] op_sel_hi:[1,0,0]
	v_dual_mul_f32 v8, v7, v3 :: v_dual_mov_b32 v4, v7
	v_dual_mov_b32 v11, v5 :: v_dual_mov_b32 v5, v6
	s_delay_alu instid0(VALU_DEP_2) | instskip(SKIP_1) | instid1(VALU_DEP_3)
	v_pk_fma_f32 v[8:9], v[6:7], v[124:125], v[8:9] op_sel_hi:[1,1,0] neg_lo:[0,0,1] neg_hi:[0,0,1]
	v_mul_f32_e32 v6, v7, v0
	v_pk_add_f32 v[144:145], v[144:145], v[10:11] neg_lo:[0,1] neg_hi:[0,1]
	s_delay_alu instid0(VALU_DEP_2) | instskip(NEXT) | instid1(VALU_DEP_1)
	v_pk_fma_f32 v[4:5], v[4:5], v[124:125], v[6:7] op_sel_hi:[1,1,0]
	v_mov_b32_e32 v9, v5
	ds_load_2addr_b64 v[4:7], v56 offset0:34 offset1:35
	v_pk_add_f32 v[140:141], v[140:141], v[8:9] neg_lo:[0,1] neg_hi:[0,1]
	s_wait_dscnt 0x0
	v_pk_mul_f32 v[8:9], v[4:5], v[2:3] op_sel:[0,1]
	s_delay_alu instid0(VALU_DEP_1) | instskip(SKIP_1) | instid1(VALU_DEP_1)
	v_pk_fma_f32 v[10:11], v[4:5], v[0:1], v[8:9] op_sel:[0,0,1] op_sel_hi:[1,1,0] neg_lo:[0,0,1] neg_hi:[0,0,1]
	v_pk_fma_f32 v[4:5], v[4:5], v[0:1], v[8:9] op_sel:[0,0,1] op_sel_hi:[1,0,0]
	v_mov_b32_e32 v11, v5
	v_pk_mul_f32 v[4:5], v[6:7], v[2:3] op_sel:[0,1]
	s_delay_alu instid0(VALU_DEP_1) | instskip(SKIP_1) | instid1(VALU_DEP_1)
	v_pk_fma_f32 v[8:9], v[6:7], v[0:1], v[4:5] op_sel:[0,0,1] op_sel_hi:[1,1,0] neg_lo:[0,0,1] neg_hi:[0,0,1]
	v_pk_fma_f32 v[4:5], v[6:7], v[0:1], v[4:5] op_sel:[0,0,1] op_sel_hi:[1,0,0]
	v_mov_b32_e32 v9, v5
	ds_load_2addr_b64 v[4:7], v56 offset0:36 offset1:37
	v_pk_add_f32 v[142:143], v[142:143], v[10:11] neg_lo:[0,1] neg_hi:[0,1]
	v_pk_add_f32 v[138:139], v[138:139], v[8:9] neg_lo:[0,1] neg_hi:[0,1]
	s_wait_dscnt 0x0
	v_pk_mul_f32 v[8:9], v[4:5], v[2:3] op_sel:[0,1]
	s_delay_alu instid0(VALU_DEP_1) | instskip(SKIP_1) | instid1(VALU_DEP_1)
	v_pk_fma_f32 v[10:11], v[4:5], v[0:1], v[8:9] op_sel:[0,0,1] op_sel_hi:[1,1,0] neg_lo:[0,0,1] neg_hi:[0,0,1]
	v_pk_fma_f32 v[4:5], v[4:5], v[0:1], v[8:9] op_sel:[0,0,1] op_sel_hi:[1,0,0]
	v_mov_b32_e32 v11, v5
	v_pk_mul_f32 v[4:5], v[6:7], v[2:3] op_sel:[0,1]
	s_delay_alu instid0(VALU_DEP_1) | instskip(SKIP_1) | instid1(VALU_DEP_1)
	v_pk_fma_f32 v[8:9], v[6:7], v[0:1], v[4:5] op_sel:[0,0,1] op_sel_hi:[1,1,0] neg_lo:[0,0,1] neg_hi:[0,0,1]
	v_pk_fma_f32 v[4:5], v[6:7], v[0:1], v[4:5] op_sel:[0,0,1] op_sel_hi:[1,0,0]
	v_mov_b32_e32 v9, v5
	ds_load_2addr_b64 v[4:7], v56 offset0:38 offset1:39
	v_pk_add_f32 v[164:165], v[164:165], v[10:11] neg_lo:[0,1] neg_hi:[0,1]
	v_pk_add_f32 v[160:161], v[160:161], v[8:9] neg_lo:[0,1] neg_hi:[0,1]
	s_wait_dscnt 0x0
	v_dual_mul_f32 v8, v5, v3 :: v_dual_mul_f32 v10, v5, v0
	s_delay_alu instid0(VALU_DEP_1) | instskip(NEXT) | instid1(VALU_DEP_2)
	v_pk_fma_f32 v[8:9], v[4:5], v[124:125], v[8:9] op_sel_hi:[1,1,0] neg_lo:[0,0,1] neg_hi:[0,0,1]
	v_pk_fma_f32 v[4:5], v[4:5], v[124:125], v[10:11] op_sel:[1,0,0] op_sel_hi:[0,1,0]
	s_delay_alu instid0(VALU_DEP_1) | instskip(SKIP_1) | instid1(VALU_DEP_2)
	v_mov_b32_e32 v9, v5
	v_pk_mul_f32 v[4:5], v[6:7], v[2:3] op_sel:[0,1]
	v_pk_add_f32 v[162:163], v[162:163], v[8:9] neg_lo:[0,1] neg_hi:[0,1]
	s_delay_alu instid0(VALU_DEP_2) | instskip(SKIP_1) | instid1(VALU_DEP_1)
	v_pk_fma_f32 v[8:9], v[6:7], v[0:1], v[4:5] op_sel:[0,0,1] op_sel_hi:[1,1,0] neg_lo:[0,0,1] neg_hi:[0,0,1]
	v_pk_fma_f32 v[4:5], v[6:7], v[0:1], v[4:5] op_sel:[0,0,1] op_sel_hi:[1,0,0]
	v_mov_b32_e32 v9, v5
	ds_load_2addr_b64 v[4:7], v56 offset0:40 offset1:41
	v_pk_add_f32 v[158:159], v[158:159], v[8:9] neg_lo:[0,1] neg_hi:[0,1]
	s_wait_dscnt 0x0
	v_pk_mul_f32 v[8:9], v[4:5], v[2:3] op_sel:[0,1]
	s_delay_alu instid0(VALU_DEP_1) | instskip(SKIP_1) | instid1(VALU_DEP_1)
	v_pk_fma_f32 v[10:11], v[4:5], v[0:1], v[8:9] op_sel:[0,0,1] op_sel_hi:[1,1,0] neg_lo:[0,0,1] neg_hi:[0,0,1]
	v_pk_fma_f32 v[4:5], v[4:5], v[0:1], v[8:9] op_sel:[0,0,1] op_sel_hi:[1,0,0]
	v_mov_b32_e32 v11, v5
	v_pk_mul_f32 v[4:5], v[6:7], v[2:3] op_sel:[0,1]
	s_delay_alu instid0(VALU_DEP_2) | instskip(NEXT) | instid1(VALU_DEP_2)
	v_pk_add_f32 v[188:189], v[188:189], v[10:11] neg_lo:[0,1] neg_hi:[0,1]
	v_pk_fma_f32 v[8:9], v[6:7], v[0:1], v[4:5] op_sel:[0,0,1] op_sel_hi:[1,1,0] neg_lo:[0,0,1] neg_hi:[0,0,1]
	v_pk_fma_f32 v[4:5], v[6:7], v[0:1], v[4:5] op_sel:[0,0,1] op_sel_hi:[1,0,0]
	s_delay_alu instid0(VALU_DEP_1) | instskip(SKIP_4) | instid1(VALU_DEP_1)
	v_mov_b32_e32 v9, v5
	ds_load_2addr_b64 v[4:7], v56 offset0:42 offset1:43
	v_pk_add_f32 v[182:183], v[182:183], v[8:9] neg_lo:[0,1] neg_hi:[0,1]
	s_wait_dscnt 0x0
	v_pk_mul_f32 v[8:9], v[4:5], v[2:3] op_sel:[0,1]
	v_pk_fma_f32 v[10:11], v[4:5], v[0:1], v[8:9] op_sel:[0,0,1] op_sel_hi:[1,1,0] neg_lo:[0,0,1] neg_hi:[0,0,1]
	v_pk_fma_f32 v[4:5], v[4:5], v[0:1], v[8:9] op_sel:[0,0,1] op_sel_hi:[1,0,0]
	v_dual_mul_f32 v8, v7, v3 :: v_dual_mov_b32 v4, v7
	s_delay_alu instid0(VALU_DEP_2) | instskip(NEXT) | instid1(VALU_DEP_2)
	v_dual_mov_b32 v11, v5 :: v_dual_mov_b32 v5, v6
	v_pk_fma_f32 v[8:9], v[6:7], v[124:125], v[8:9] op_sel_hi:[1,1,0] neg_lo:[0,0,1] neg_hi:[0,0,1]
	v_mul_f32_e32 v6, v7, v0
	s_delay_alu instid0(VALU_DEP_3) | instskip(NEXT) | instid1(VALU_DEP_2)
	v_pk_add_f32 v[186:187], v[186:187], v[10:11] neg_lo:[0,1] neg_hi:[0,1]
	v_pk_fma_f32 v[4:5], v[4:5], v[124:125], v[6:7] op_sel_hi:[1,1,0]
	s_delay_alu instid0(VALU_DEP_1) | instskip(SKIP_4) | instid1(VALU_DEP_1)
	v_mov_b32_e32 v9, v5
	ds_load_2addr_b64 v[4:7], v56 offset0:44 offset1:45
	v_pk_add_f32 v[180:181], v[180:181], v[8:9] neg_lo:[0,1] neg_hi:[0,1]
	s_wait_dscnt 0x0
	v_pk_mul_f32 v[8:9], v[4:5], v[2:3] op_sel:[0,1]
	v_pk_fma_f32 v[10:11], v[4:5], v[0:1], v[8:9] op_sel:[0,0,1] op_sel_hi:[1,1,0] neg_lo:[0,0,1] neg_hi:[0,0,1]
	v_pk_fma_f32 v[4:5], v[4:5], v[0:1], v[8:9] op_sel:[0,0,1] op_sel_hi:[1,0,0]
	s_delay_alu instid0(VALU_DEP_1) | instskip(SKIP_1) | instid1(VALU_DEP_1)
	v_mov_b32_e32 v11, v5
	v_pk_mul_f32 v[4:5], v[6:7], v[2:3] op_sel:[0,1]
	v_pk_fma_f32 v[8:9], v[6:7], v[0:1], v[4:5] op_sel:[0,0,1] op_sel_hi:[1,1,0] neg_lo:[0,0,1] neg_hi:[0,0,1]
	v_pk_fma_f32 v[4:5], v[6:7], v[0:1], v[4:5] op_sel:[0,0,1] op_sel_hi:[1,0,0]
	s_delay_alu instid0(VALU_DEP_1)
	v_mov_b32_e32 v9, v5
	ds_load_2addr_b64 v[4:7], v56 offset0:46 offset1:47
	v_pk_add_f32 v[184:185], v[184:185], v[10:11] neg_lo:[0,1] neg_hi:[0,1]
	v_pk_add_f32 v[178:179], v[178:179], v[8:9] neg_lo:[0,1] neg_hi:[0,1]
	s_wait_dscnt 0x0
	v_pk_mul_f32 v[8:9], v[4:5], v[2:3] op_sel:[0,1]
	v_mul_f32_e32 v2, v7, v3
	s_delay_alu instid0(VALU_DEP_2) | instskip(SKIP_2) | instid1(VALU_DEP_4)
	v_pk_fma_f32 v[10:11], v[4:5], v[0:1], v[8:9] op_sel:[0,0,1] op_sel_hi:[1,1,0] neg_lo:[0,0,1] neg_hi:[0,0,1]
	v_pk_fma_f32 v[4:5], v[4:5], v[0:1], v[8:9] op_sel:[0,0,1] op_sel_hi:[1,0,0]
	v_dual_mov_b32 v4, v7 :: v_dual_mul_f32 v0, v7, v0
	v_pk_fma_f32 v[2:3], v[6:7], v[124:125], v[2:3] op_sel_hi:[1,1,0] neg_lo:[0,0,1] neg_hi:[0,0,1]
	s_delay_alu instid0(VALU_DEP_3) | instskip(NEXT) | instid1(VALU_DEP_1)
	v_dual_mov_b32 v11, v5 :: v_dual_mov_b32 v5, v6
	v_pk_add_f32 v[190:191], v[190:191], v[10:11] neg_lo:[0,1] neg_hi:[0,1]
	s_delay_alu instid0(VALU_DEP_2) | instskip(NEXT) | instid1(VALU_DEP_1)
	v_pk_fma_f32 v[0:1], v[4:5], v[124:125], v[0:1] op_sel_hi:[1,1,0]
	v_mov_b32_e32 v3, v1
	s_delay_alu instid0(VALU_DEP_1)
	v_pk_add_f32 v[192:193], v[192:193], v[2:3] neg_lo:[0,1] neg_hi:[0,1]
.LBB95_271:
	s_or_b32 exec_lo, exec_lo, s1
	s_delay_alu instid0(SALU_CYCLE_1)
	s_mov_b32 s2, exec_lo
	s_wait_dscnt 0x0
	s_barrier_signal -1
	s_barrier_wait -1
	v_cmpx_eq_u32_e32 30, v54
	s_cbranch_execz .LBB95_278
; %bb.272:
	ds_store_b64 v55, v[126:127]
	ds_store_2addr_b64 v56, v[122:123], v[144:145] offset0:31 offset1:32
	ds_store_2addr_b64 v56, v[140:141], v[142:143] offset0:33 offset1:34
	;; [unrolled: 1-line block ×8, first 2 shown]
	ds_store_b64 v56, v[192:193] offset:376
	ds_load_b64 v[0:1], v55
	s_wait_dscnt 0x0
	v_cmp_neq_f32_e32 vcc_lo, 0, v0
	v_cmp_neq_f32_e64 s1, 0, v1
	s_or_b32 s1, vcc_lo, s1
	s_delay_alu instid0(SALU_CYCLE_1)
	s_and_b32 exec_lo, exec_lo, s1
	s_cbranch_execz .LBB95_278
; %bb.273:
	v_cmp_ngt_f32_e64 s1, |v0|, |v1|
                                        ; implicit-def: $vgpr2_vgpr3
	s_and_saveexec_b32 s4, s1
	s_delay_alu instid0(SALU_CYCLE_1)
	s_xor_b32 s1, exec_lo, s4
	s_cbranch_execz .LBB95_275
; %bb.274:
	v_div_scale_f32 v2, null, v1, v1, v0
	v_div_scale_f32 v5, vcc_lo, v0, v1, v0
	s_delay_alu instid0(VALU_DEP_2) | instskip(SKIP_1) | instid1(TRANS32_DEP_1)
	v_rcp_f32_e32 v3, v2
	v_nop
	v_fma_f32 v4, -v2, v3, 1.0
	s_delay_alu instid0(VALU_DEP_1) | instskip(NEXT) | instid1(VALU_DEP_1)
	v_fmac_f32_e32 v3, v4, v3
	v_mul_f32_e32 v4, v5, v3
	s_delay_alu instid0(VALU_DEP_1) | instskip(NEXT) | instid1(VALU_DEP_1)
	v_fma_f32 v6, -v2, v4, v5
	v_fmac_f32_e32 v4, v6, v3
	s_delay_alu instid0(VALU_DEP_1) | instskip(NEXT) | instid1(VALU_DEP_1)
	v_fma_f32 v2, -v2, v4, v5
	v_div_fmas_f32 v2, v2, v3, v4
	s_delay_alu instid0(VALU_DEP_1) | instskip(NEXT) | instid1(VALU_DEP_1)
	v_div_fixup_f32 v2, v2, v1, v0
	v_fmac_f32_e32 v1, v0, v2
	s_delay_alu instid0(VALU_DEP_1) | instskip(SKIP_1) | instid1(VALU_DEP_2)
	v_div_scale_f32 v0, null, v1, v1, 1.0
	v_div_scale_f32 v5, vcc_lo, 1.0, v1, 1.0
	v_rcp_f32_e32 v3, v0
	v_nop
	s_delay_alu instid0(TRANS32_DEP_1) | instskip(NEXT) | instid1(VALU_DEP_1)
	v_fma_f32 v4, -v0, v3, 1.0
	v_fmac_f32_e32 v3, v4, v3
	s_delay_alu instid0(VALU_DEP_1) | instskip(NEXT) | instid1(VALU_DEP_1)
	v_mul_f32_e32 v4, v5, v3
	v_fma_f32 v6, -v0, v4, v5
	s_delay_alu instid0(VALU_DEP_1) | instskip(NEXT) | instid1(VALU_DEP_1)
	v_fmac_f32_e32 v4, v6, v3
	v_fma_f32 v0, -v0, v4, v5
	s_delay_alu instid0(VALU_DEP_1) | instskip(NEXT) | instid1(VALU_DEP_1)
	v_div_fmas_f32 v0, v0, v3, v4
	v_div_fixup_f32 v0, v0, v1, 1.0
	s_delay_alu instid0(VALU_DEP_1)
	v_mul_f32_e32 v2, v2, v0
	v_xor_b32_e32 v3, 0x80000000, v0
                                        ; implicit-def: $vgpr0_vgpr1
.LBB95_275:
	s_and_not1_saveexec_b32 s1, s1
	s_cbranch_execz .LBB95_277
; %bb.276:
	v_div_scale_f32 v2, null, v0, v0, v1
	v_div_scale_f32 v5, vcc_lo, v1, v0, v1
	s_delay_alu instid0(VALU_DEP_2) | instskip(SKIP_1) | instid1(TRANS32_DEP_1)
	v_rcp_f32_e32 v3, v2
	v_nop
	v_fma_f32 v4, -v2, v3, 1.0
	s_delay_alu instid0(VALU_DEP_1) | instskip(NEXT) | instid1(VALU_DEP_1)
	v_fmac_f32_e32 v3, v4, v3
	v_mul_f32_e32 v4, v5, v3
	s_delay_alu instid0(VALU_DEP_1) | instskip(NEXT) | instid1(VALU_DEP_1)
	v_fma_f32 v6, -v2, v4, v5
	v_fmac_f32_e32 v4, v6, v3
	s_delay_alu instid0(VALU_DEP_1) | instskip(NEXT) | instid1(VALU_DEP_1)
	v_fma_f32 v2, -v2, v4, v5
	v_div_fmas_f32 v2, v2, v3, v4
	s_delay_alu instid0(VALU_DEP_1) | instskip(NEXT) | instid1(VALU_DEP_1)
	v_div_fixup_f32 v3, v2, v0, v1
	v_fmac_f32_e32 v0, v1, v3
	s_delay_alu instid0(VALU_DEP_1) | instskip(NEXT) | instid1(VALU_DEP_1)
	v_div_scale_f32 v1, null, v0, v0, 1.0
	v_rcp_f32_e32 v2, v1
	v_nop
	s_delay_alu instid0(TRANS32_DEP_1) | instskip(NEXT) | instid1(VALU_DEP_1)
	v_fma_f32 v4, -v1, v2, 1.0
	v_fmac_f32_e32 v2, v4, v2
	v_div_scale_f32 v4, vcc_lo, 1.0, v0, 1.0
	s_delay_alu instid0(VALU_DEP_1) | instskip(NEXT) | instid1(VALU_DEP_1)
	v_mul_f32_e32 v5, v4, v2
	v_fma_f32 v6, -v1, v5, v4
	s_delay_alu instid0(VALU_DEP_1) | instskip(NEXT) | instid1(VALU_DEP_1)
	v_fmac_f32_e32 v5, v6, v2
	v_fma_f32 v1, -v1, v5, v4
	s_delay_alu instid0(VALU_DEP_1) | instskip(NEXT) | instid1(VALU_DEP_1)
	v_div_fmas_f32 v1, v1, v2, v5
	v_div_fixup_f32 v2, v1, v0, 1.0
	s_delay_alu instid0(VALU_DEP_1)
	v_mul_f32_e64 v3, v3, -v2
.LBB95_277:
	s_or_b32 exec_lo, exec_lo, s1
	ds_store_b64 v55, v[2:3]
.LBB95_278:
	s_or_b32 exec_lo, exec_lo, s2
	s_wait_dscnt 0x0
	s_barrier_signal -1
	s_barrier_wait -1
	ds_load_b64 v[254:255], v55
	s_mov_b32 s1, exec_lo
	v_cmpx_lt_u32_e32 30, v54
	s_cbranch_execz .LBB95_280
; %bb.279:
	ds_load_2addr_b64 v[4:7], v56 offset0:31 offset1:32
	s_wait_dscnt 0x1
	v_pk_mul_f32 v[2:3], v[254:255], v[126:127] op_sel:[1,1] op_sel_hi:[0,1]
	s_delay_alu instid0(VALU_DEP_1) | instskip(SKIP_1) | instid1(VALU_DEP_1)
	v_pk_fma_f32 v[0:1], v[254:255], v[126:127], v[2:3] op_sel_hi:[1,0,1] neg_lo:[0,0,1] neg_hi:[0,0,1]
	v_pk_fma_f32 v[2:3], v[254:255], v[126:127], v[2:3] op_sel_hi:[1,0,1]
	v_dual_mov_b32 v126, v0 :: v_dual_mov_b32 v127, v3
	s_wait_dscnt 0x0
	s_delay_alu instid0(VALU_DEP_2) | instskip(NEXT) | instid1(VALU_DEP_1)
	v_pk_mul_f32 v[8:9], v[4:5], v[2:3] op_sel:[0,1]
	v_pk_fma_f32 v[10:11], v[4:5], v[0:1], v[8:9] op_sel:[0,0,1] op_sel_hi:[1,1,0] neg_lo:[0,0,1] neg_hi:[0,0,1]
	v_pk_fma_f32 v[4:5], v[4:5], v[0:1], v[8:9] op_sel:[0,0,1] op_sel_hi:[1,0,0]
	s_delay_alu instid0(VALU_DEP_1) | instskip(SKIP_1) | instid1(VALU_DEP_1)
	v_mov_b32_e32 v11, v5
	v_pk_mul_f32 v[4:5], v[6:7], v[2:3] op_sel:[0,1]
	v_pk_fma_f32 v[8:9], v[6:7], v[0:1], v[4:5] op_sel:[0,0,1] op_sel_hi:[1,1,0] neg_lo:[0,0,1] neg_hi:[0,0,1]
	v_pk_fma_f32 v[4:5], v[6:7], v[0:1], v[4:5] op_sel:[0,0,1] op_sel_hi:[1,0,0]
	s_delay_alu instid0(VALU_DEP_1)
	v_mov_b32_e32 v9, v5
	ds_load_2addr_b64 v[4:7], v56 offset0:33 offset1:34
	v_pk_add_f32 v[122:123], v[122:123], v[10:11] neg_lo:[0,1] neg_hi:[0,1]
	v_pk_add_f32 v[144:145], v[144:145], v[8:9] neg_lo:[0,1] neg_hi:[0,1]
	s_wait_dscnt 0x0
	v_pk_mul_f32 v[8:9], v[4:5], v[2:3] op_sel:[0,1]
	s_delay_alu instid0(VALU_DEP_1) | instskip(SKIP_2) | instid1(VALU_DEP_2)
	v_pk_fma_f32 v[10:11], v[4:5], v[0:1], v[8:9] op_sel:[0,0,1] op_sel_hi:[1,1,0] neg_lo:[0,0,1] neg_hi:[0,0,1]
	v_pk_fma_f32 v[4:5], v[4:5], v[0:1], v[8:9] op_sel:[0,0,1] op_sel_hi:[1,0,0]
	v_dual_mul_f32 v8, v7, v3 :: v_dual_mov_b32 v4, v7
	v_dual_mov_b32 v11, v5 :: v_dual_mov_b32 v5, v6
	s_delay_alu instid0(VALU_DEP_2) | instskip(SKIP_1) | instid1(VALU_DEP_3)
	v_pk_fma_f32 v[8:9], v[6:7], v[126:127], v[8:9] op_sel_hi:[1,1,0] neg_lo:[0,0,1] neg_hi:[0,0,1]
	v_mul_f32_e32 v6, v7, v0
	v_pk_add_f32 v[140:141], v[140:141], v[10:11] neg_lo:[0,1] neg_hi:[0,1]
	s_delay_alu instid0(VALU_DEP_2) | instskip(NEXT) | instid1(VALU_DEP_1)
	v_pk_fma_f32 v[4:5], v[4:5], v[126:127], v[6:7] op_sel_hi:[1,1,0]
	v_mov_b32_e32 v9, v5
	ds_load_2addr_b64 v[4:7], v56 offset0:35 offset1:36
	v_pk_add_f32 v[142:143], v[142:143], v[8:9] neg_lo:[0,1] neg_hi:[0,1]
	s_wait_dscnt 0x0
	v_pk_mul_f32 v[8:9], v[4:5], v[2:3] op_sel:[0,1]
	s_delay_alu instid0(VALU_DEP_1) | instskip(SKIP_1) | instid1(VALU_DEP_1)
	v_pk_fma_f32 v[10:11], v[4:5], v[0:1], v[8:9] op_sel:[0,0,1] op_sel_hi:[1,1,0] neg_lo:[0,0,1] neg_hi:[0,0,1]
	v_pk_fma_f32 v[4:5], v[4:5], v[0:1], v[8:9] op_sel:[0,0,1] op_sel_hi:[1,0,0]
	v_mov_b32_e32 v11, v5
	v_pk_mul_f32 v[4:5], v[6:7], v[2:3] op_sel:[0,1]
	s_delay_alu instid0(VALU_DEP_1) | instskip(SKIP_1) | instid1(VALU_DEP_1)
	v_pk_fma_f32 v[8:9], v[6:7], v[0:1], v[4:5] op_sel:[0,0,1] op_sel_hi:[1,1,0] neg_lo:[0,0,1] neg_hi:[0,0,1]
	v_pk_fma_f32 v[4:5], v[6:7], v[0:1], v[4:5] op_sel:[0,0,1] op_sel_hi:[1,0,0]
	v_mov_b32_e32 v9, v5
	ds_load_2addr_b64 v[4:7], v56 offset0:37 offset1:38
	v_pk_add_f32 v[138:139], v[138:139], v[10:11] neg_lo:[0,1] neg_hi:[0,1]
	v_pk_add_f32 v[164:165], v[164:165], v[8:9] neg_lo:[0,1] neg_hi:[0,1]
	s_wait_dscnt 0x0
	v_pk_mul_f32 v[8:9], v[4:5], v[2:3] op_sel:[0,1]
	s_delay_alu instid0(VALU_DEP_1) | instskip(SKIP_1) | instid1(VALU_DEP_1)
	v_pk_fma_f32 v[10:11], v[4:5], v[0:1], v[8:9] op_sel:[0,0,1] op_sel_hi:[1,1,0] neg_lo:[0,0,1] neg_hi:[0,0,1]
	v_pk_fma_f32 v[4:5], v[4:5], v[0:1], v[8:9] op_sel:[0,0,1] op_sel_hi:[1,0,0]
	v_mov_b32_e32 v11, v5
	v_pk_mul_f32 v[4:5], v[6:7], v[2:3] op_sel:[0,1]
	s_delay_alu instid0(VALU_DEP_1) | instskip(SKIP_1) | instid1(VALU_DEP_1)
	v_pk_fma_f32 v[8:9], v[6:7], v[0:1], v[4:5] op_sel:[0,0,1] op_sel_hi:[1,1,0] neg_lo:[0,0,1] neg_hi:[0,0,1]
	v_pk_fma_f32 v[4:5], v[6:7], v[0:1], v[4:5] op_sel:[0,0,1] op_sel_hi:[1,0,0]
	v_mov_b32_e32 v9, v5
	ds_load_2addr_b64 v[4:7], v56 offset0:39 offset1:40
	v_pk_add_f32 v[160:161], v[160:161], v[10:11] neg_lo:[0,1] neg_hi:[0,1]
	v_pk_add_f32 v[162:163], v[162:163], v[8:9] neg_lo:[0,1] neg_hi:[0,1]
	s_wait_dscnt 0x0
	v_dual_mul_f32 v8, v5, v3 :: v_dual_mul_f32 v10, v5, v0
	s_delay_alu instid0(VALU_DEP_1) | instskip(NEXT) | instid1(VALU_DEP_2)
	v_pk_fma_f32 v[8:9], v[4:5], v[126:127], v[8:9] op_sel_hi:[1,1,0] neg_lo:[0,0,1] neg_hi:[0,0,1]
	v_pk_fma_f32 v[4:5], v[4:5], v[126:127], v[10:11] op_sel:[1,0,0] op_sel_hi:[0,1,0]
	s_delay_alu instid0(VALU_DEP_1) | instskip(SKIP_1) | instid1(VALU_DEP_2)
	v_mov_b32_e32 v9, v5
	v_pk_mul_f32 v[4:5], v[6:7], v[2:3] op_sel:[0,1]
	v_pk_add_f32 v[158:159], v[158:159], v[8:9] neg_lo:[0,1] neg_hi:[0,1]
	s_delay_alu instid0(VALU_DEP_2) | instskip(SKIP_1) | instid1(VALU_DEP_1)
	v_pk_fma_f32 v[8:9], v[6:7], v[0:1], v[4:5] op_sel:[0,0,1] op_sel_hi:[1,1,0] neg_lo:[0,0,1] neg_hi:[0,0,1]
	v_pk_fma_f32 v[4:5], v[6:7], v[0:1], v[4:5] op_sel:[0,0,1] op_sel_hi:[1,0,0]
	v_mov_b32_e32 v9, v5
	ds_load_2addr_b64 v[4:7], v56 offset0:41 offset1:42
	v_pk_add_f32 v[188:189], v[188:189], v[8:9] neg_lo:[0,1] neg_hi:[0,1]
	s_wait_dscnt 0x0
	v_pk_mul_f32 v[8:9], v[4:5], v[2:3] op_sel:[0,1]
	s_delay_alu instid0(VALU_DEP_1) | instskip(SKIP_1) | instid1(VALU_DEP_1)
	v_pk_fma_f32 v[10:11], v[4:5], v[0:1], v[8:9] op_sel:[0,0,1] op_sel_hi:[1,1,0] neg_lo:[0,0,1] neg_hi:[0,0,1]
	v_pk_fma_f32 v[4:5], v[4:5], v[0:1], v[8:9] op_sel:[0,0,1] op_sel_hi:[1,0,0]
	v_mov_b32_e32 v11, v5
	v_pk_mul_f32 v[4:5], v[6:7], v[2:3] op_sel:[0,1]
	s_delay_alu instid0(VALU_DEP_2) | instskip(NEXT) | instid1(VALU_DEP_2)
	v_pk_add_f32 v[182:183], v[182:183], v[10:11] neg_lo:[0,1] neg_hi:[0,1]
	v_pk_fma_f32 v[8:9], v[6:7], v[0:1], v[4:5] op_sel:[0,0,1] op_sel_hi:[1,1,0] neg_lo:[0,0,1] neg_hi:[0,0,1]
	v_pk_fma_f32 v[4:5], v[6:7], v[0:1], v[4:5] op_sel:[0,0,1] op_sel_hi:[1,0,0]
	s_delay_alu instid0(VALU_DEP_1) | instskip(SKIP_4) | instid1(VALU_DEP_1)
	v_mov_b32_e32 v9, v5
	ds_load_2addr_b64 v[4:7], v56 offset0:43 offset1:44
	v_pk_add_f32 v[186:187], v[186:187], v[8:9] neg_lo:[0,1] neg_hi:[0,1]
	s_wait_dscnt 0x0
	v_pk_mul_f32 v[8:9], v[4:5], v[2:3] op_sel:[0,1]
	v_pk_fma_f32 v[10:11], v[4:5], v[0:1], v[8:9] op_sel:[0,0,1] op_sel_hi:[1,1,0] neg_lo:[0,0,1] neg_hi:[0,0,1]
	v_pk_fma_f32 v[4:5], v[4:5], v[0:1], v[8:9] op_sel:[0,0,1] op_sel_hi:[1,0,0]
	v_dual_mul_f32 v8, v7, v3 :: v_dual_mov_b32 v4, v7
	s_delay_alu instid0(VALU_DEP_2) | instskip(NEXT) | instid1(VALU_DEP_2)
	v_dual_mov_b32 v11, v5 :: v_dual_mov_b32 v5, v6
	v_pk_fma_f32 v[8:9], v[6:7], v[126:127], v[8:9] op_sel_hi:[1,1,0] neg_lo:[0,0,1] neg_hi:[0,0,1]
	v_mul_f32_e32 v6, v7, v0
	s_delay_alu instid0(VALU_DEP_3) | instskip(NEXT) | instid1(VALU_DEP_2)
	v_pk_add_f32 v[180:181], v[180:181], v[10:11] neg_lo:[0,1] neg_hi:[0,1]
	v_pk_fma_f32 v[4:5], v[4:5], v[126:127], v[6:7] op_sel_hi:[1,1,0]
	s_delay_alu instid0(VALU_DEP_1) | instskip(SKIP_4) | instid1(VALU_DEP_1)
	v_mov_b32_e32 v9, v5
	ds_load_2addr_b64 v[4:7], v56 offset0:45 offset1:46
	v_pk_add_f32 v[184:185], v[184:185], v[8:9] neg_lo:[0,1] neg_hi:[0,1]
	s_wait_dscnt 0x0
	v_pk_mul_f32 v[8:9], v[4:5], v[2:3] op_sel:[0,1]
	v_pk_fma_f32 v[10:11], v[4:5], v[0:1], v[8:9] op_sel:[0,0,1] op_sel_hi:[1,1,0] neg_lo:[0,0,1] neg_hi:[0,0,1]
	v_pk_fma_f32 v[4:5], v[4:5], v[0:1], v[8:9] op_sel:[0,0,1] op_sel_hi:[1,0,0]
	s_delay_alu instid0(VALU_DEP_1) | instskip(SKIP_1) | instid1(VALU_DEP_1)
	v_mov_b32_e32 v11, v5
	v_pk_mul_f32 v[4:5], v[6:7], v[2:3] op_sel:[0,1]
	v_pk_fma_f32 v[8:9], v[6:7], v[0:1], v[4:5] op_sel:[0,0,1] op_sel_hi:[1,1,0] neg_lo:[0,0,1] neg_hi:[0,0,1]
	v_pk_fma_f32 v[4:5], v[6:7], v[0:1], v[4:5] op_sel:[0,0,1] op_sel_hi:[1,0,0]
	s_delay_alu instid0(VALU_DEP_1)
	v_mov_b32_e32 v9, v5
	ds_load_b64 v[4:5], v56 offset:376
	v_pk_add_f32 v[178:179], v[178:179], v[10:11] neg_lo:[0,1] neg_hi:[0,1]
	v_pk_add_f32 v[190:191], v[190:191], v[8:9] neg_lo:[0,1] neg_hi:[0,1]
	s_wait_dscnt 0x0
	v_pk_mul_f32 v[2:3], v[4:5], v[2:3] op_sel:[0,1]
	s_delay_alu instid0(VALU_DEP_1) | instskip(SKIP_1) | instid1(VALU_DEP_1)
	v_pk_fma_f32 v[6:7], v[4:5], v[0:1], v[2:3] op_sel:[0,0,1] op_sel_hi:[1,1,0] neg_lo:[0,0,1] neg_hi:[0,0,1]
	v_pk_fma_f32 v[0:1], v[4:5], v[0:1], v[2:3] op_sel:[0,0,1] op_sel_hi:[1,0,0]
	v_mov_b32_e32 v7, v1
	s_delay_alu instid0(VALU_DEP_1)
	v_pk_add_f32 v[192:193], v[192:193], v[6:7] neg_lo:[0,1] neg_hi:[0,1]
.LBB95_280:
	s_or_b32 exec_lo, exec_lo, s1
	s_delay_alu instid0(SALU_CYCLE_1)
	s_mov_b32 s2, exec_lo
	s_wait_dscnt 0x0
	s_barrier_signal -1
	s_barrier_wait -1
	v_cmpx_eq_u32_e32 31, v54
	s_cbranch_execz .LBB95_287
; %bb.281:
	v_dual_mov_b32 v0, v144 :: v_dual_mov_b32 v1, v145
	v_dual_mov_b32 v2, v140 :: v_dual_mov_b32 v3, v141
	ds_store_b64 v55, v[122:123]
	ds_store_2addr_b64 v56, v[0:1], v[2:3] offset0:32 offset1:33
	v_dual_mov_b32 v0, v142 :: v_dual_mov_b32 v1, v143
	v_dual_mov_b32 v2, v138 :: v_dual_mov_b32 v3, v139
	ds_store_2addr_b64 v56, v[0:1], v[2:3] offset0:34 offset1:35
	v_dual_mov_b32 v0, v164 :: v_dual_mov_b32 v1, v165
	v_dual_mov_b32 v2, v160 :: v_dual_mov_b32 v3, v161
	ds_store_2addr_b64 v56, v[0:1], v[2:3] offset0:36 offset1:37
	v_dual_mov_b32 v0, v162 :: v_dual_mov_b32 v1, v163
	v_dual_mov_b32 v2, v158 :: v_dual_mov_b32 v3, v159
	ds_store_2addr_b64 v56, v[0:1], v[2:3] offset0:38 offset1:39
	v_dual_mov_b32 v0, v188 :: v_dual_mov_b32 v1, v189
	v_dual_mov_b32 v2, v182 :: v_dual_mov_b32 v3, v183
	ds_store_2addr_b64 v56, v[0:1], v[2:3] offset0:40 offset1:41
	v_dual_mov_b32 v0, v186 :: v_dual_mov_b32 v1, v187
	v_dual_mov_b32 v2, v180 :: v_dual_mov_b32 v3, v181
	ds_store_2addr_b64 v56, v[0:1], v[2:3] offset0:42 offset1:43
	v_dual_mov_b32 v0, v184 :: v_dual_mov_b32 v1, v185
	v_dual_mov_b32 v2, v178 :: v_dual_mov_b32 v3, v179
	ds_store_2addr_b64 v56, v[0:1], v[2:3] offset0:44 offset1:45
	v_dual_mov_b32 v0, v190 :: v_dual_mov_b32 v1, v191
	ds_store_2addr_b64 v56, v[0:1], v[192:193] offset0:46 offset1:47
	ds_load_b64 v[0:1], v55
	s_wait_dscnt 0x0
	v_cmp_neq_f32_e32 vcc_lo, 0, v0
	v_cmp_neq_f32_e64 s1, 0, v1
	s_or_b32 s1, vcc_lo, s1
	s_delay_alu instid0(SALU_CYCLE_1)
	s_and_b32 exec_lo, exec_lo, s1
	s_cbranch_execz .LBB95_287
; %bb.282:
	v_cmp_ngt_f32_e64 s1, |v0|, |v1|
                                        ; implicit-def: $vgpr2_vgpr3
	s_and_saveexec_b32 s4, s1
	s_delay_alu instid0(SALU_CYCLE_1)
	s_xor_b32 s1, exec_lo, s4
	s_cbranch_execz .LBB95_284
; %bb.283:
	v_div_scale_f32 v2, null, v1, v1, v0
	v_div_scale_f32 v5, vcc_lo, v0, v1, v0
	s_delay_alu instid0(VALU_DEP_2) | instskip(SKIP_1) | instid1(TRANS32_DEP_1)
	v_rcp_f32_e32 v3, v2
	v_nop
	v_fma_f32 v4, -v2, v3, 1.0
	s_delay_alu instid0(VALU_DEP_1) | instskip(NEXT) | instid1(VALU_DEP_1)
	v_fmac_f32_e32 v3, v4, v3
	v_mul_f32_e32 v4, v5, v3
	s_delay_alu instid0(VALU_DEP_1) | instskip(NEXT) | instid1(VALU_DEP_1)
	v_fma_f32 v6, -v2, v4, v5
	v_fmac_f32_e32 v4, v6, v3
	s_delay_alu instid0(VALU_DEP_1) | instskip(NEXT) | instid1(VALU_DEP_1)
	v_fma_f32 v2, -v2, v4, v5
	v_div_fmas_f32 v2, v2, v3, v4
	s_delay_alu instid0(VALU_DEP_1) | instskip(NEXT) | instid1(VALU_DEP_1)
	v_div_fixup_f32 v2, v2, v1, v0
	v_fmac_f32_e32 v1, v0, v2
	s_delay_alu instid0(VALU_DEP_1) | instskip(SKIP_1) | instid1(VALU_DEP_2)
	v_div_scale_f32 v0, null, v1, v1, 1.0
	v_div_scale_f32 v5, vcc_lo, 1.0, v1, 1.0
	v_rcp_f32_e32 v3, v0
	v_nop
	s_delay_alu instid0(TRANS32_DEP_1) | instskip(NEXT) | instid1(VALU_DEP_1)
	v_fma_f32 v4, -v0, v3, 1.0
	v_fmac_f32_e32 v3, v4, v3
	s_delay_alu instid0(VALU_DEP_1) | instskip(NEXT) | instid1(VALU_DEP_1)
	v_mul_f32_e32 v4, v5, v3
	v_fma_f32 v6, -v0, v4, v5
	s_delay_alu instid0(VALU_DEP_1) | instskip(NEXT) | instid1(VALU_DEP_1)
	v_fmac_f32_e32 v4, v6, v3
	v_fma_f32 v0, -v0, v4, v5
	s_delay_alu instid0(VALU_DEP_1) | instskip(NEXT) | instid1(VALU_DEP_1)
	v_div_fmas_f32 v0, v0, v3, v4
	v_div_fixup_f32 v0, v0, v1, 1.0
	s_delay_alu instid0(VALU_DEP_1)
	v_mul_f32_e32 v2, v2, v0
	v_xor_b32_e32 v3, 0x80000000, v0
                                        ; implicit-def: $vgpr0_vgpr1
.LBB95_284:
	s_and_not1_saveexec_b32 s1, s1
	s_cbranch_execz .LBB95_286
; %bb.285:
	v_div_scale_f32 v2, null, v0, v0, v1
	v_div_scale_f32 v5, vcc_lo, v1, v0, v1
	s_delay_alu instid0(VALU_DEP_2) | instskip(SKIP_1) | instid1(TRANS32_DEP_1)
	v_rcp_f32_e32 v3, v2
	v_nop
	v_fma_f32 v4, -v2, v3, 1.0
	s_delay_alu instid0(VALU_DEP_1) | instskip(NEXT) | instid1(VALU_DEP_1)
	v_fmac_f32_e32 v3, v4, v3
	v_mul_f32_e32 v4, v5, v3
	s_delay_alu instid0(VALU_DEP_1) | instskip(NEXT) | instid1(VALU_DEP_1)
	v_fma_f32 v6, -v2, v4, v5
	v_fmac_f32_e32 v4, v6, v3
	s_delay_alu instid0(VALU_DEP_1) | instskip(NEXT) | instid1(VALU_DEP_1)
	v_fma_f32 v2, -v2, v4, v5
	v_div_fmas_f32 v2, v2, v3, v4
	s_delay_alu instid0(VALU_DEP_1) | instskip(NEXT) | instid1(VALU_DEP_1)
	v_div_fixup_f32 v3, v2, v0, v1
	v_fmac_f32_e32 v0, v1, v3
	s_delay_alu instid0(VALU_DEP_1) | instskip(NEXT) | instid1(VALU_DEP_1)
	v_div_scale_f32 v1, null, v0, v0, 1.0
	v_rcp_f32_e32 v2, v1
	v_nop
	s_delay_alu instid0(TRANS32_DEP_1) | instskip(NEXT) | instid1(VALU_DEP_1)
	v_fma_f32 v4, -v1, v2, 1.0
	v_fmac_f32_e32 v2, v4, v2
	v_div_scale_f32 v4, vcc_lo, 1.0, v0, 1.0
	s_delay_alu instid0(VALU_DEP_1) | instskip(NEXT) | instid1(VALU_DEP_1)
	v_mul_f32_e32 v5, v4, v2
	v_fma_f32 v6, -v1, v5, v4
	s_delay_alu instid0(VALU_DEP_1) | instskip(NEXT) | instid1(VALU_DEP_1)
	v_fmac_f32_e32 v5, v6, v2
	v_fma_f32 v1, -v1, v5, v4
	s_delay_alu instid0(VALU_DEP_1) | instskip(NEXT) | instid1(VALU_DEP_1)
	v_div_fmas_f32 v1, v1, v2, v5
	v_div_fixup_f32 v2, v1, v0, 1.0
	s_delay_alu instid0(VALU_DEP_1)
	v_mul_f32_e64 v3, v3, -v2
.LBB95_286:
	s_or_b32 exec_lo, exec_lo, s1
	ds_store_b64 v55, v[2:3]
.LBB95_287:
	s_or_b32 exec_lo, exec_lo, s2
	s_wait_dscnt 0x0
	s_barrier_signal -1
	s_barrier_wait -1
	ds_load_b64 v[0:1], v55
	s_mov_b32 s1, exec_lo
	v_cmpx_lt_u32_e32 31, v54
	s_cbranch_execz .LBB95_289
; %bb.288:
	ds_load_2addr_b64 v[6:9], v56 offset0:32 offset1:33
	s_wait_dscnt 0x1
	v_pk_mul_f32 v[4:5], v[0:1], v[122:123] op_sel:[1,1] op_sel_hi:[0,1]
	s_delay_alu instid0(VALU_DEP_1) | instskip(SKIP_1) | instid1(VALU_DEP_1)
	v_pk_fma_f32 v[2:3], v[0:1], v[122:123], v[4:5] op_sel_hi:[1,0,1] neg_lo:[0,0,1] neg_hi:[0,0,1]
	v_pk_fma_f32 v[4:5], v[0:1], v[122:123], v[4:5] op_sel_hi:[1,0,1]
	v_dual_mov_b32 v122, v2 :: v_dual_mov_b32 v123, v5
	s_wait_dscnt 0x0
	s_delay_alu instid0(VALU_DEP_2) | instskip(NEXT) | instid1(VALU_DEP_1)
	v_pk_mul_f32 v[10:11], v[6:7], v[4:5] op_sel:[0,1]
	v_pk_fma_f32 v[12:13], v[6:7], v[2:3], v[10:11] op_sel:[0,0,1] op_sel_hi:[1,1,0] neg_lo:[0,0,1] neg_hi:[0,0,1]
	v_pk_fma_f32 v[6:7], v[6:7], v[2:3], v[10:11] op_sel:[0,0,1] op_sel_hi:[1,0,0]
	s_delay_alu instid0(VALU_DEP_1) | instskip(SKIP_1) | instid1(VALU_DEP_1)
	v_mov_b32_e32 v13, v7
	v_pk_mul_f32 v[6:7], v[8:9], v[4:5] op_sel:[0,1]
	v_pk_fma_f32 v[10:11], v[8:9], v[2:3], v[6:7] op_sel:[0,0,1] op_sel_hi:[1,1,0] neg_lo:[0,0,1] neg_hi:[0,0,1]
	v_pk_fma_f32 v[6:7], v[8:9], v[2:3], v[6:7] op_sel:[0,0,1] op_sel_hi:[1,0,0]
	s_delay_alu instid0(VALU_DEP_1)
	v_mov_b32_e32 v11, v7
	ds_load_2addr_b64 v[6:9], v56 offset0:34 offset1:35
	v_pk_add_f32 v[144:145], v[144:145], v[12:13] neg_lo:[0,1] neg_hi:[0,1]
	v_pk_add_f32 v[140:141], v[140:141], v[10:11] neg_lo:[0,1] neg_hi:[0,1]
	s_wait_dscnt 0x0
	v_pk_mul_f32 v[10:11], v[6:7], v[4:5] op_sel:[0,1]
	s_delay_alu instid0(VALU_DEP_1) | instskip(SKIP_2) | instid1(VALU_DEP_2)
	v_pk_fma_f32 v[12:13], v[6:7], v[2:3], v[10:11] op_sel:[0,0,1] op_sel_hi:[1,1,0] neg_lo:[0,0,1] neg_hi:[0,0,1]
	v_pk_fma_f32 v[6:7], v[6:7], v[2:3], v[10:11] op_sel:[0,0,1] op_sel_hi:[1,0,0]
	v_dual_mul_f32 v10, v9, v5 :: v_dual_mov_b32 v6, v9
	v_dual_mov_b32 v13, v7 :: v_dual_mov_b32 v7, v8
	s_delay_alu instid0(VALU_DEP_2) | instskip(SKIP_1) | instid1(VALU_DEP_3)
	v_pk_fma_f32 v[10:11], v[8:9], v[122:123], v[10:11] op_sel_hi:[1,1,0] neg_lo:[0,0,1] neg_hi:[0,0,1]
	v_mul_f32_e32 v8, v9, v2
	v_pk_add_f32 v[142:143], v[142:143], v[12:13] neg_lo:[0,1] neg_hi:[0,1]
	s_delay_alu instid0(VALU_DEP_2) | instskip(NEXT) | instid1(VALU_DEP_1)
	v_pk_fma_f32 v[6:7], v[6:7], v[122:123], v[8:9] op_sel_hi:[1,1,0]
	v_mov_b32_e32 v11, v7
	ds_load_2addr_b64 v[6:9], v56 offset0:36 offset1:37
	v_pk_add_f32 v[138:139], v[138:139], v[10:11] neg_lo:[0,1] neg_hi:[0,1]
	s_wait_dscnt 0x0
	v_pk_mul_f32 v[10:11], v[6:7], v[4:5] op_sel:[0,1]
	s_delay_alu instid0(VALU_DEP_1) | instskip(SKIP_1) | instid1(VALU_DEP_1)
	v_pk_fma_f32 v[12:13], v[6:7], v[2:3], v[10:11] op_sel:[0,0,1] op_sel_hi:[1,1,0] neg_lo:[0,0,1] neg_hi:[0,0,1]
	v_pk_fma_f32 v[6:7], v[6:7], v[2:3], v[10:11] op_sel:[0,0,1] op_sel_hi:[1,0,0]
	v_mov_b32_e32 v13, v7
	v_pk_mul_f32 v[6:7], v[8:9], v[4:5] op_sel:[0,1]
	s_delay_alu instid0(VALU_DEP_1) | instskip(SKIP_1) | instid1(VALU_DEP_1)
	v_pk_fma_f32 v[10:11], v[8:9], v[2:3], v[6:7] op_sel:[0,0,1] op_sel_hi:[1,1,0] neg_lo:[0,0,1] neg_hi:[0,0,1]
	v_pk_fma_f32 v[6:7], v[8:9], v[2:3], v[6:7] op_sel:[0,0,1] op_sel_hi:[1,0,0]
	v_mov_b32_e32 v11, v7
	ds_load_2addr_b64 v[6:9], v56 offset0:38 offset1:39
	v_pk_add_f32 v[164:165], v[164:165], v[12:13] neg_lo:[0,1] neg_hi:[0,1]
	v_pk_add_f32 v[160:161], v[160:161], v[10:11] neg_lo:[0,1] neg_hi:[0,1]
	s_wait_dscnt 0x0
	v_pk_mul_f32 v[10:11], v[6:7], v[4:5] op_sel:[0,1]
	s_delay_alu instid0(VALU_DEP_1) | instskip(SKIP_1) | instid1(VALU_DEP_1)
	v_pk_fma_f32 v[12:13], v[6:7], v[2:3], v[10:11] op_sel:[0,0,1] op_sel_hi:[1,1,0] neg_lo:[0,0,1] neg_hi:[0,0,1]
	v_pk_fma_f32 v[6:7], v[6:7], v[2:3], v[10:11] op_sel:[0,0,1] op_sel_hi:[1,0,0]
	v_mov_b32_e32 v13, v7
	v_pk_mul_f32 v[6:7], v[8:9], v[4:5] op_sel:[0,1]
	s_delay_alu instid0(VALU_DEP_1) | instskip(SKIP_1) | instid1(VALU_DEP_1)
	v_pk_fma_f32 v[10:11], v[8:9], v[2:3], v[6:7] op_sel:[0,0,1] op_sel_hi:[1,1,0] neg_lo:[0,0,1] neg_hi:[0,0,1]
	v_pk_fma_f32 v[6:7], v[8:9], v[2:3], v[6:7] op_sel:[0,0,1] op_sel_hi:[1,0,0]
	v_mov_b32_e32 v11, v7
	ds_load_2addr_b64 v[6:9], v56 offset0:40 offset1:41
	v_pk_add_f32 v[162:163], v[162:163], v[12:13] neg_lo:[0,1] neg_hi:[0,1]
	v_pk_add_f32 v[158:159], v[158:159], v[10:11] neg_lo:[0,1] neg_hi:[0,1]
	s_wait_dscnt 0x0
	v_dual_mul_f32 v10, v7, v5 :: v_dual_mul_f32 v12, v7, v2
	s_delay_alu instid0(VALU_DEP_1) | instskip(NEXT) | instid1(VALU_DEP_2)
	v_pk_fma_f32 v[10:11], v[6:7], v[122:123], v[10:11] op_sel_hi:[1,1,0] neg_lo:[0,0,1] neg_hi:[0,0,1]
	v_pk_fma_f32 v[6:7], v[6:7], v[122:123], v[12:13] op_sel:[1,0,0] op_sel_hi:[0,1,0]
	s_delay_alu instid0(VALU_DEP_1) | instskip(SKIP_1) | instid1(VALU_DEP_2)
	v_mov_b32_e32 v11, v7
	v_pk_mul_f32 v[6:7], v[8:9], v[4:5] op_sel:[0,1]
	v_pk_add_f32 v[188:189], v[188:189], v[10:11] neg_lo:[0,1] neg_hi:[0,1]
	s_delay_alu instid0(VALU_DEP_2) | instskip(SKIP_1) | instid1(VALU_DEP_1)
	v_pk_fma_f32 v[10:11], v[8:9], v[2:3], v[6:7] op_sel:[0,0,1] op_sel_hi:[1,1,0] neg_lo:[0,0,1] neg_hi:[0,0,1]
	v_pk_fma_f32 v[6:7], v[8:9], v[2:3], v[6:7] op_sel:[0,0,1] op_sel_hi:[1,0,0]
	v_mov_b32_e32 v11, v7
	ds_load_2addr_b64 v[6:9], v56 offset0:42 offset1:43
	v_pk_add_f32 v[182:183], v[182:183], v[10:11] neg_lo:[0,1] neg_hi:[0,1]
	s_wait_dscnt 0x0
	v_pk_mul_f32 v[10:11], v[6:7], v[4:5] op_sel:[0,1]
	s_delay_alu instid0(VALU_DEP_1) | instskip(SKIP_1) | instid1(VALU_DEP_1)
	v_pk_fma_f32 v[12:13], v[6:7], v[2:3], v[10:11] op_sel:[0,0,1] op_sel_hi:[1,1,0] neg_lo:[0,0,1] neg_hi:[0,0,1]
	v_pk_fma_f32 v[6:7], v[6:7], v[2:3], v[10:11] op_sel:[0,0,1] op_sel_hi:[1,0,0]
	v_mov_b32_e32 v13, v7
	v_pk_mul_f32 v[6:7], v[8:9], v[4:5] op_sel:[0,1]
	s_delay_alu instid0(VALU_DEP_2) | instskip(NEXT) | instid1(VALU_DEP_2)
	v_pk_add_f32 v[186:187], v[186:187], v[12:13] neg_lo:[0,1] neg_hi:[0,1]
	v_pk_fma_f32 v[10:11], v[8:9], v[2:3], v[6:7] op_sel:[0,0,1] op_sel_hi:[1,1,0] neg_lo:[0,0,1] neg_hi:[0,0,1]
	v_pk_fma_f32 v[6:7], v[8:9], v[2:3], v[6:7] op_sel:[0,0,1] op_sel_hi:[1,0,0]
	s_delay_alu instid0(VALU_DEP_1) | instskip(SKIP_4) | instid1(VALU_DEP_1)
	v_mov_b32_e32 v11, v7
	ds_load_2addr_b64 v[6:9], v56 offset0:44 offset1:45
	v_pk_add_f32 v[180:181], v[180:181], v[10:11] neg_lo:[0,1] neg_hi:[0,1]
	s_wait_dscnt 0x0
	v_pk_mul_f32 v[10:11], v[6:7], v[4:5] op_sel:[0,1]
	v_pk_fma_f32 v[12:13], v[6:7], v[2:3], v[10:11] op_sel:[0,0,1] op_sel_hi:[1,1,0] neg_lo:[0,0,1] neg_hi:[0,0,1]
	v_pk_fma_f32 v[6:7], v[6:7], v[2:3], v[10:11] op_sel:[0,0,1] op_sel_hi:[1,0,0]
	v_dual_mul_f32 v10, v9, v5 :: v_dual_mov_b32 v6, v9
	s_delay_alu instid0(VALU_DEP_2) | instskip(NEXT) | instid1(VALU_DEP_2)
	v_dual_mov_b32 v13, v7 :: v_dual_mov_b32 v7, v8
	v_pk_fma_f32 v[10:11], v[8:9], v[122:123], v[10:11] op_sel_hi:[1,1,0] neg_lo:[0,0,1] neg_hi:[0,0,1]
	v_mul_f32_e32 v8, v9, v2
	s_delay_alu instid0(VALU_DEP_3) | instskip(NEXT) | instid1(VALU_DEP_2)
	v_pk_add_f32 v[184:185], v[184:185], v[12:13] neg_lo:[0,1] neg_hi:[0,1]
	v_pk_fma_f32 v[6:7], v[6:7], v[122:123], v[8:9] op_sel_hi:[1,1,0]
	s_delay_alu instid0(VALU_DEP_1)
	v_mov_b32_e32 v11, v7
	ds_load_2addr_b64 v[6:9], v56 offset0:46 offset1:47
	v_pk_add_f32 v[178:179], v[178:179], v[10:11] neg_lo:[0,1] neg_hi:[0,1]
	s_wait_dscnt 0x0
	v_pk_mul_f32 v[10:11], v[6:7], v[4:5] op_sel:[0,1]
	v_pk_mul_f32 v[4:5], v[8:9], v[4:5] op_sel:[0,1]
	s_delay_alu instid0(VALU_DEP_2) | instskip(SKIP_1) | instid1(VALU_DEP_1)
	v_pk_fma_f32 v[12:13], v[6:7], v[2:3], v[10:11] op_sel:[0,0,1] op_sel_hi:[1,1,0] neg_lo:[0,0,1] neg_hi:[0,0,1]
	v_pk_fma_f32 v[6:7], v[6:7], v[2:3], v[10:11] op_sel:[0,0,1] op_sel_hi:[1,0,0]
	v_mov_b32_e32 v13, v7
	s_delay_alu instid0(VALU_DEP_4) | instskip(SKIP_1) | instid1(VALU_DEP_1)
	v_pk_fma_f32 v[6:7], v[8:9], v[2:3], v[4:5] op_sel:[0,0,1] op_sel_hi:[1,1,0] neg_lo:[0,0,1] neg_hi:[0,0,1]
	v_pk_fma_f32 v[2:3], v[8:9], v[2:3], v[4:5] op_sel:[0,0,1] op_sel_hi:[1,0,0]
	v_mov_b32_e32 v7, v3
	s_delay_alu instid0(VALU_DEP_4) | instskip(NEXT) | instid1(VALU_DEP_2)
	v_pk_add_f32 v[190:191], v[190:191], v[12:13] neg_lo:[0,1] neg_hi:[0,1]
	v_pk_add_f32 v[192:193], v[192:193], v[6:7] neg_lo:[0,1] neg_hi:[0,1]
.LBB95_289:
	s_or_b32 exec_lo, exec_lo, s1
	s_delay_alu instid0(SALU_CYCLE_1)
	s_mov_b32 s2, exec_lo
	s_wait_dscnt 0x0
	s_barrier_signal -1
	s_barrier_wait -1
	v_cmpx_eq_u32_e32 32, v54
	s_cbranch_execz .LBB95_296
; %bb.290:
	ds_store_b64 v55, v[144:145]
	ds_store_2addr_b64 v56, v[140:141], v[142:143] offset0:33 offset1:34
	ds_store_2addr_b64 v56, v[138:139], v[164:165] offset0:35 offset1:36
	;; [unrolled: 1-line block ×7, first 2 shown]
	ds_store_b64 v56, v[192:193] offset:376
	ds_load_b64 v[2:3], v55
	s_wait_dscnt 0x0
	v_cmp_neq_f32_e32 vcc_lo, 0, v2
	v_cmp_neq_f32_e64 s1, 0, v3
	s_or_b32 s1, vcc_lo, s1
	s_delay_alu instid0(SALU_CYCLE_1)
	s_and_b32 exec_lo, exec_lo, s1
	s_cbranch_execz .LBB95_296
; %bb.291:
	v_cmp_ngt_f32_e64 s1, |v2|, |v3|
                                        ; implicit-def: $vgpr4_vgpr5
	s_and_saveexec_b32 s4, s1
	s_delay_alu instid0(SALU_CYCLE_1)
	s_xor_b32 s1, exec_lo, s4
	s_cbranch_execz .LBB95_293
; %bb.292:
	v_div_scale_f32 v4, null, v3, v3, v2
	v_div_scale_f32 v7, vcc_lo, v2, v3, v2
	s_delay_alu instid0(VALU_DEP_2) | instskip(SKIP_1) | instid1(TRANS32_DEP_1)
	v_rcp_f32_e32 v5, v4
	v_nop
	v_fma_f32 v6, -v4, v5, 1.0
	s_delay_alu instid0(VALU_DEP_1) | instskip(NEXT) | instid1(VALU_DEP_1)
	v_fmac_f32_e32 v5, v6, v5
	v_mul_f32_e32 v6, v7, v5
	s_delay_alu instid0(VALU_DEP_1) | instskip(NEXT) | instid1(VALU_DEP_1)
	v_fma_f32 v8, -v4, v6, v7
	v_fmac_f32_e32 v6, v8, v5
	s_delay_alu instid0(VALU_DEP_1) | instskip(NEXT) | instid1(VALU_DEP_1)
	v_fma_f32 v4, -v4, v6, v7
	v_div_fmas_f32 v4, v4, v5, v6
	s_delay_alu instid0(VALU_DEP_1) | instskip(NEXT) | instid1(VALU_DEP_1)
	v_div_fixup_f32 v4, v4, v3, v2
	v_fmac_f32_e32 v3, v2, v4
	s_delay_alu instid0(VALU_DEP_1) | instskip(SKIP_1) | instid1(VALU_DEP_2)
	v_div_scale_f32 v2, null, v3, v3, 1.0
	v_div_scale_f32 v7, vcc_lo, 1.0, v3, 1.0
	v_rcp_f32_e32 v5, v2
	v_nop
	s_delay_alu instid0(TRANS32_DEP_1) | instskip(NEXT) | instid1(VALU_DEP_1)
	v_fma_f32 v6, -v2, v5, 1.0
	v_fmac_f32_e32 v5, v6, v5
	s_delay_alu instid0(VALU_DEP_1) | instskip(NEXT) | instid1(VALU_DEP_1)
	v_mul_f32_e32 v6, v7, v5
	v_fma_f32 v8, -v2, v6, v7
	s_delay_alu instid0(VALU_DEP_1) | instskip(NEXT) | instid1(VALU_DEP_1)
	v_fmac_f32_e32 v6, v8, v5
	v_fma_f32 v2, -v2, v6, v7
	s_delay_alu instid0(VALU_DEP_1) | instskip(NEXT) | instid1(VALU_DEP_1)
	v_div_fmas_f32 v2, v2, v5, v6
	v_div_fixup_f32 v2, v2, v3, 1.0
	s_delay_alu instid0(VALU_DEP_1)
	v_mul_f32_e32 v4, v4, v2
	v_xor_b32_e32 v5, 0x80000000, v2
                                        ; implicit-def: $vgpr2_vgpr3
.LBB95_293:
	s_and_not1_saveexec_b32 s1, s1
	s_cbranch_execz .LBB95_295
; %bb.294:
	v_div_scale_f32 v4, null, v2, v2, v3
	v_div_scale_f32 v7, vcc_lo, v3, v2, v3
	s_delay_alu instid0(VALU_DEP_2) | instskip(SKIP_1) | instid1(TRANS32_DEP_1)
	v_rcp_f32_e32 v5, v4
	v_nop
	v_fma_f32 v6, -v4, v5, 1.0
	s_delay_alu instid0(VALU_DEP_1) | instskip(NEXT) | instid1(VALU_DEP_1)
	v_fmac_f32_e32 v5, v6, v5
	v_mul_f32_e32 v6, v7, v5
	s_delay_alu instid0(VALU_DEP_1) | instskip(NEXT) | instid1(VALU_DEP_1)
	v_fma_f32 v8, -v4, v6, v7
	v_fmac_f32_e32 v6, v8, v5
	s_delay_alu instid0(VALU_DEP_1) | instskip(NEXT) | instid1(VALU_DEP_1)
	v_fma_f32 v4, -v4, v6, v7
	v_div_fmas_f32 v4, v4, v5, v6
	s_delay_alu instid0(VALU_DEP_1) | instskip(NEXT) | instid1(VALU_DEP_1)
	v_div_fixup_f32 v5, v4, v2, v3
	v_fmac_f32_e32 v2, v3, v5
	s_delay_alu instid0(VALU_DEP_1) | instskip(NEXT) | instid1(VALU_DEP_1)
	v_div_scale_f32 v3, null, v2, v2, 1.0
	v_rcp_f32_e32 v4, v3
	v_nop
	s_delay_alu instid0(TRANS32_DEP_1) | instskip(NEXT) | instid1(VALU_DEP_1)
	v_fma_f32 v6, -v3, v4, 1.0
	v_fmac_f32_e32 v4, v6, v4
	v_div_scale_f32 v6, vcc_lo, 1.0, v2, 1.0
	s_delay_alu instid0(VALU_DEP_1) | instskip(NEXT) | instid1(VALU_DEP_1)
	v_mul_f32_e32 v7, v6, v4
	v_fma_f32 v8, -v3, v7, v6
	s_delay_alu instid0(VALU_DEP_1) | instskip(NEXT) | instid1(VALU_DEP_1)
	v_fmac_f32_e32 v7, v8, v4
	v_fma_f32 v3, -v3, v7, v6
	s_delay_alu instid0(VALU_DEP_1) | instskip(NEXT) | instid1(VALU_DEP_1)
	v_div_fmas_f32 v3, v3, v4, v7
	v_div_fixup_f32 v4, v3, v2, 1.0
	s_delay_alu instid0(VALU_DEP_1)
	v_mul_f32_e64 v5, v5, -v4
.LBB95_295:
	s_or_b32 exec_lo, exec_lo, s1
	ds_store_b64 v55, v[4:5]
.LBB95_296:
	s_or_b32 exec_lo, exec_lo, s2
	s_wait_dscnt 0x0
	s_barrier_signal -1
	s_barrier_wait -1
	ds_load_b64 v[2:3], v55
	s_mov_b32 s1, exec_lo
	v_cmpx_lt_u32_e32 32, v54
	s_cbranch_execz .LBB95_298
; %bb.297:
	ds_load_2addr_b64 v[8:11], v56 offset0:33 offset1:34
	s_wait_dscnt 0x1
	v_pk_mul_f32 v[6:7], v[2:3], v[144:145] op_sel:[1,1] op_sel_hi:[0,1]
	s_delay_alu instid0(VALU_DEP_1) | instskip(SKIP_1) | instid1(VALU_DEP_1)
	v_pk_fma_f32 v[4:5], v[2:3], v[144:145], v[6:7] op_sel_hi:[1,0,1] neg_lo:[0,0,1] neg_hi:[0,0,1]
	v_pk_fma_f32 v[6:7], v[2:3], v[144:145], v[6:7] op_sel_hi:[1,0,1]
	v_dual_mov_b32 v144, v4 :: v_dual_mov_b32 v145, v7
	s_wait_dscnt 0x0
	s_delay_alu instid0(VALU_DEP_2) | instskip(NEXT) | instid1(VALU_DEP_1)
	v_pk_mul_f32 v[12:13], v[8:9], v[6:7] op_sel:[0,1]
	v_pk_fma_f32 v[14:15], v[8:9], v[4:5], v[12:13] op_sel:[0,0,1] op_sel_hi:[1,1,0] neg_lo:[0,0,1] neg_hi:[0,0,1]
	v_pk_fma_f32 v[8:9], v[8:9], v[4:5], v[12:13] op_sel:[0,0,1] op_sel_hi:[1,0,0]
	s_delay_alu instid0(VALU_DEP_1) | instskip(SKIP_1) | instid1(VALU_DEP_1)
	v_mov_b32_e32 v15, v9
	v_pk_mul_f32 v[8:9], v[10:11], v[6:7] op_sel:[0,1]
	v_pk_fma_f32 v[12:13], v[10:11], v[4:5], v[8:9] op_sel:[0,0,1] op_sel_hi:[1,1,0] neg_lo:[0,0,1] neg_hi:[0,0,1]
	v_pk_fma_f32 v[8:9], v[10:11], v[4:5], v[8:9] op_sel:[0,0,1] op_sel_hi:[1,0,0]
	s_delay_alu instid0(VALU_DEP_1)
	v_mov_b32_e32 v13, v9
	ds_load_2addr_b64 v[8:11], v56 offset0:35 offset1:36
	v_pk_add_f32 v[140:141], v[140:141], v[14:15] neg_lo:[0,1] neg_hi:[0,1]
	v_pk_add_f32 v[142:143], v[142:143], v[12:13] neg_lo:[0,1] neg_hi:[0,1]
	s_wait_dscnt 0x0
	v_pk_mul_f32 v[12:13], v[8:9], v[6:7] op_sel:[0,1]
	s_delay_alu instid0(VALU_DEP_1) | instskip(SKIP_2) | instid1(VALU_DEP_2)
	v_pk_fma_f32 v[14:15], v[8:9], v[4:5], v[12:13] op_sel:[0,0,1] op_sel_hi:[1,1,0] neg_lo:[0,0,1] neg_hi:[0,0,1]
	v_pk_fma_f32 v[8:9], v[8:9], v[4:5], v[12:13] op_sel:[0,0,1] op_sel_hi:[1,0,0]
	v_dual_mul_f32 v12, v11, v7 :: v_dual_mov_b32 v8, v11
	v_dual_mov_b32 v15, v9 :: v_dual_mov_b32 v9, v10
	s_delay_alu instid0(VALU_DEP_2) | instskip(SKIP_1) | instid1(VALU_DEP_3)
	v_pk_fma_f32 v[12:13], v[10:11], v[144:145], v[12:13] op_sel_hi:[1,1,0] neg_lo:[0,0,1] neg_hi:[0,0,1]
	v_mul_f32_e32 v10, v11, v4
	v_pk_add_f32 v[138:139], v[138:139], v[14:15] neg_lo:[0,1] neg_hi:[0,1]
	s_delay_alu instid0(VALU_DEP_2) | instskip(NEXT) | instid1(VALU_DEP_1)
	v_pk_fma_f32 v[8:9], v[8:9], v[144:145], v[10:11] op_sel_hi:[1,1,0]
	v_mov_b32_e32 v13, v9
	ds_load_2addr_b64 v[8:11], v56 offset0:37 offset1:38
	v_pk_add_f32 v[164:165], v[164:165], v[12:13] neg_lo:[0,1] neg_hi:[0,1]
	s_wait_dscnt 0x0
	v_pk_mul_f32 v[12:13], v[8:9], v[6:7] op_sel:[0,1]
	s_delay_alu instid0(VALU_DEP_1) | instskip(SKIP_1) | instid1(VALU_DEP_1)
	v_pk_fma_f32 v[14:15], v[8:9], v[4:5], v[12:13] op_sel:[0,0,1] op_sel_hi:[1,1,0] neg_lo:[0,0,1] neg_hi:[0,0,1]
	v_pk_fma_f32 v[8:9], v[8:9], v[4:5], v[12:13] op_sel:[0,0,1] op_sel_hi:[1,0,0]
	v_mov_b32_e32 v15, v9
	v_pk_mul_f32 v[8:9], v[10:11], v[6:7] op_sel:[0,1]
	s_delay_alu instid0(VALU_DEP_1) | instskip(SKIP_1) | instid1(VALU_DEP_1)
	v_pk_fma_f32 v[12:13], v[10:11], v[4:5], v[8:9] op_sel:[0,0,1] op_sel_hi:[1,1,0] neg_lo:[0,0,1] neg_hi:[0,0,1]
	v_pk_fma_f32 v[8:9], v[10:11], v[4:5], v[8:9] op_sel:[0,0,1] op_sel_hi:[1,0,0]
	v_mov_b32_e32 v13, v9
	ds_load_2addr_b64 v[8:11], v56 offset0:39 offset1:40
	v_pk_add_f32 v[160:161], v[160:161], v[14:15] neg_lo:[0,1] neg_hi:[0,1]
	v_pk_add_f32 v[162:163], v[162:163], v[12:13] neg_lo:[0,1] neg_hi:[0,1]
	s_wait_dscnt 0x0
	v_pk_mul_f32 v[12:13], v[8:9], v[6:7] op_sel:[0,1]
	s_delay_alu instid0(VALU_DEP_1) | instskip(SKIP_1) | instid1(VALU_DEP_1)
	v_pk_fma_f32 v[14:15], v[8:9], v[4:5], v[12:13] op_sel:[0,0,1] op_sel_hi:[1,1,0] neg_lo:[0,0,1] neg_hi:[0,0,1]
	v_pk_fma_f32 v[8:9], v[8:9], v[4:5], v[12:13] op_sel:[0,0,1] op_sel_hi:[1,0,0]
	v_mov_b32_e32 v15, v9
	v_pk_mul_f32 v[8:9], v[10:11], v[6:7] op_sel:[0,1]
	s_delay_alu instid0(VALU_DEP_1) | instskip(SKIP_1) | instid1(VALU_DEP_1)
	v_pk_fma_f32 v[12:13], v[10:11], v[4:5], v[8:9] op_sel:[0,0,1] op_sel_hi:[1,1,0] neg_lo:[0,0,1] neg_hi:[0,0,1]
	v_pk_fma_f32 v[8:9], v[10:11], v[4:5], v[8:9] op_sel:[0,0,1] op_sel_hi:[1,0,0]
	v_mov_b32_e32 v13, v9
	ds_load_2addr_b64 v[8:11], v56 offset0:41 offset1:42
	v_pk_add_f32 v[158:159], v[158:159], v[14:15] neg_lo:[0,1] neg_hi:[0,1]
	v_pk_add_f32 v[188:189], v[188:189], v[12:13] neg_lo:[0,1] neg_hi:[0,1]
	s_wait_dscnt 0x0
	v_dual_mul_f32 v12, v9, v7 :: v_dual_mul_f32 v14, v9, v4
	s_delay_alu instid0(VALU_DEP_1) | instskip(NEXT) | instid1(VALU_DEP_2)
	v_pk_fma_f32 v[12:13], v[8:9], v[144:145], v[12:13] op_sel_hi:[1,1,0] neg_lo:[0,0,1] neg_hi:[0,0,1]
	v_pk_fma_f32 v[8:9], v[8:9], v[144:145], v[14:15] op_sel:[1,0,0] op_sel_hi:[0,1,0]
	s_delay_alu instid0(VALU_DEP_1) | instskip(SKIP_1) | instid1(VALU_DEP_2)
	v_mov_b32_e32 v13, v9
	v_pk_mul_f32 v[8:9], v[10:11], v[6:7] op_sel:[0,1]
	v_pk_add_f32 v[182:183], v[182:183], v[12:13] neg_lo:[0,1] neg_hi:[0,1]
	s_delay_alu instid0(VALU_DEP_2) | instskip(SKIP_1) | instid1(VALU_DEP_1)
	v_pk_fma_f32 v[12:13], v[10:11], v[4:5], v[8:9] op_sel:[0,0,1] op_sel_hi:[1,1,0] neg_lo:[0,0,1] neg_hi:[0,0,1]
	v_pk_fma_f32 v[8:9], v[10:11], v[4:5], v[8:9] op_sel:[0,0,1] op_sel_hi:[1,0,0]
	v_mov_b32_e32 v13, v9
	ds_load_2addr_b64 v[8:11], v56 offset0:43 offset1:44
	v_pk_add_f32 v[186:187], v[186:187], v[12:13] neg_lo:[0,1] neg_hi:[0,1]
	s_wait_dscnt 0x0
	v_pk_mul_f32 v[12:13], v[8:9], v[6:7] op_sel:[0,1]
	s_delay_alu instid0(VALU_DEP_1) | instskip(SKIP_1) | instid1(VALU_DEP_1)
	v_pk_fma_f32 v[14:15], v[8:9], v[4:5], v[12:13] op_sel:[0,0,1] op_sel_hi:[1,1,0] neg_lo:[0,0,1] neg_hi:[0,0,1]
	v_pk_fma_f32 v[8:9], v[8:9], v[4:5], v[12:13] op_sel:[0,0,1] op_sel_hi:[1,0,0]
	v_mov_b32_e32 v15, v9
	v_pk_mul_f32 v[8:9], v[10:11], v[6:7] op_sel:[0,1]
	s_delay_alu instid0(VALU_DEP_2) | instskip(NEXT) | instid1(VALU_DEP_2)
	v_pk_add_f32 v[180:181], v[180:181], v[14:15] neg_lo:[0,1] neg_hi:[0,1]
	v_pk_fma_f32 v[12:13], v[10:11], v[4:5], v[8:9] op_sel:[0,0,1] op_sel_hi:[1,1,0] neg_lo:[0,0,1] neg_hi:[0,0,1]
	v_pk_fma_f32 v[8:9], v[10:11], v[4:5], v[8:9] op_sel:[0,0,1] op_sel_hi:[1,0,0]
	s_delay_alu instid0(VALU_DEP_1) | instskip(SKIP_4) | instid1(VALU_DEP_1)
	v_mov_b32_e32 v13, v9
	ds_load_2addr_b64 v[8:11], v56 offset0:45 offset1:46
	v_pk_add_f32 v[184:185], v[184:185], v[12:13] neg_lo:[0,1] neg_hi:[0,1]
	s_wait_dscnt 0x0
	v_pk_mul_f32 v[12:13], v[8:9], v[6:7] op_sel:[0,1]
	v_pk_fma_f32 v[14:15], v[8:9], v[4:5], v[12:13] op_sel:[0,0,1] op_sel_hi:[1,1,0] neg_lo:[0,0,1] neg_hi:[0,0,1]
	v_pk_fma_f32 v[8:9], v[8:9], v[4:5], v[12:13] op_sel:[0,0,1] op_sel_hi:[1,0,0]
	v_dual_mul_f32 v12, v11, v7 :: v_dual_mov_b32 v8, v11
	s_delay_alu instid0(VALU_DEP_2) | instskip(NEXT) | instid1(VALU_DEP_2)
	v_dual_mov_b32 v15, v9 :: v_dual_mov_b32 v9, v10
	v_pk_fma_f32 v[12:13], v[10:11], v[144:145], v[12:13] op_sel_hi:[1,1,0] neg_lo:[0,0,1] neg_hi:[0,0,1]
	v_mul_f32_e32 v10, v11, v4
	s_delay_alu instid0(VALU_DEP_3) | instskip(NEXT) | instid1(VALU_DEP_2)
	v_pk_add_f32 v[178:179], v[178:179], v[14:15] neg_lo:[0,1] neg_hi:[0,1]
	v_pk_fma_f32 v[8:9], v[8:9], v[144:145], v[10:11] op_sel_hi:[1,1,0]
	s_delay_alu instid0(VALU_DEP_1) | instskip(SKIP_4) | instid1(VALU_DEP_1)
	v_mov_b32_e32 v13, v9
	ds_load_b64 v[8:9], v56 offset:376
	v_pk_add_f32 v[190:191], v[190:191], v[12:13] neg_lo:[0,1] neg_hi:[0,1]
	s_wait_dscnt 0x0
	v_pk_mul_f32 v[6:7], v[8:9], v[6:7] op_sel:[0,1]
	v_pk_fma_f32 v[10:11], v[8:9], v[4:5], v[6:7] op_sel:[0,0,1] op_sel_hi:[1,1,0] neg_lo:[0,0,1] neg_hi:[0,0,1]
	v_pk_fma_f32 v[4:5], v[8:9], v[4:5], v[6:7] op_sel:[0,0,1] op_sel_hi:[1,0,0]
	s_delay_alu instid0(VALU_DEP_1) | instskip(NEXT) | instid1(VALU_DEP_1)
	v_mov_b32_e32 v11, v5
	v_pk_add_f32 v[192:193], v[192:193], v[10:11] neg_lo:[0,1] neg_hi:[0,1]
.LBB95_298:
	s_or_b32 exec_lo, exec_lo, s1
	s_delay_alu instid0(SALU_CYCLE_1)
	s_mov_b32 s2, exec_lo
	s_wait_dscnt 0x0
	s_barrier_signal -1
	s_barrier_wait -1
	v_cmpx_eq_u32_e32 33, v54
	s_cbranch_execz .LBB95_305
; %bb.299:
	v_dual_mov_b32 v4, v142 :: v_dual_mov_b32 v5, v143
	v_dual_mov_b32 v6, v138 :: v_dual_mov_b32 v7, v139
	ds_store_b64 v55, v[140:141]
	ds_store_2addr_b64 v56, v[4:5], v[6:7] offset0:34 offset1:35
	v_dual_mov_b32 v4, v164 :: v_dual_mov_b32 v5, v165
	v_dual_mov_b32 v6, v160 :: v_dual_mov_b32 v7, v161
	ds_store_2addr_b64 v56, v[4:5], v[6:7] offset0:36 offset1:37
	v_dual_mov_b32 v4, v162 :: v_dual_mov_b32 v5, v163
	v_dual_mov_b32 v6, v158 :: v_dual_mov_b32 v7, v159
	;; [unrolled: 3-line block ×5, first 2 shown]
	ds_store_2addr_b64 v56, v[4:5], v[6:7] offset0:44 offset1:45
	v_dual_mov_b32 v4, v190 :: v_dual_mov_b32 v5, v191
	ds_store_2addr_b64 v56, v[4:5], v[192:193] offset0:46 offset1:47
	ds_load_b64 v[4:5], v55
	s_wait_dscnt 0x0
	v_cmp_neq_f32_e32 vcc_lo, 0, v4
	v_cmp_neq_f32_e64 s1, 0, v5
	s_or_b32 s1, vcc_lo, s1
	s_delay_alu instid0(SALU_CYCLE_1)
	s_and_b32 exec_lo, exec_lo, s1
	s_cbranch_execz .LBB95_305
; %bb.300:
	v_cmp_ngt_f32_e64 s1, |v4|, |v5|
                                        ; implicit-def: $vgpr6_vgpr7
	s_and_saveexec_b32 s4, s1
	s_delay_alu instid0(SALU_CYCLE_1)
	s_xor_b32 s1, exec_lo, s4
	s_cbranch_execz .LBB95_302
; %bb.301:
	v_div_scale_f32 v6, null, v5, v5, v4
	v_div_scale_f32 v9, vcc_lo, v4, v5, v4
	s_delay_alu instid0(VALU_DEP_2) | instskip(SKIP_1) | instid1(TRANS32_DEP_1)
	v_rcp_f32_e32 v7, v6
	v_nop
	v_fma_f32 v8, -v6, v7, 1.0
	s_delay_alu instid0(VALU_DEP_1) | instskip(NEXT) | instid1(VALU_DEP_1)
	v_fmac_f32_e32 v7, v8, v7
	v_mul_f32_e32 v8, v9, v7
	s_delay_alu instid0(VALU_DEP_1) | instskip(NEXT) | instid1(VALU_DEP_1)
	v_fma_f32 v10, -v6, v8, v9
	v_fmac_f32_e32 v8, v10, v7
	s_delay_alu instid0(VALU_DEP_1) | instskip(NEXT) | instid1(VALU_DEP_1)
	v_fma_f32 v6, -v6, v8, v9
	v_div_fmas_f32 v6, v6, v7, v8
	s_delay_alu instid0(VALU_DEP_1) | instskip(NEXT) | instid1(VALU_DEP_1)
	v_div_fixup_f32 v6, v6, v5, v4
	v_fmac_f32_e32 v5, v4, v6
	s_delay_alu instid0(VALU_DEP_1) | instskip(SKIP_1) | instid1(VALU_DEP_2)
	v_div_scale_f32 v4, null, v5, v5, 1.0
	v_div_scale_f32 v9, vcc_lo, 1.0, v5, 1.0
	v_rcp_f32_e32 v7, v4
	v_nop
	s_delay_alu instid0(TRANS32_DEP_1) | instskip(NEXT) | instid1(VALU_DEP_1)
	v_fma_f32 v8, -v4, v7, 1.0
	v_fmac_f32_e32 v7, v8, v7
	s_delay_alu instid0(VALU_DEP_1) | instskip(NEXT) | instid1(VALU_DEP_1)
	v_mul_f32_e32 v8, v9, v7
	v_fma_f32 v10, -v4, v8, v9
	s_delay_alu instid0(VALU_DEP_1) | instskip(NEXT) | instid1(VALU_DEP_1)
	v_fmac_f32_e32 v8, v10, v7
	v_fma_f32 v4, -v4, v8, v9
	s_delay_alu instid0(VALU_DEP_1) | instskip(NEXT) | instid1(VALU_DEP_1)
	v_div_fmas_f32 v4, v4, v7, v8
	v_div_fixup_f32 v4, v4, v5, 1.0
	s_delay_alu instid0(VALU_DEP_1)
	v_mul_f32_e32 v6, v6, v4
	v_xor_b32_e32 v7, 0x80000000, v4
                                        ; implicit-def: $vgpr4_vgpr5
.LBB95_302:
	s_and_not1_saveexec_b32 s1, s1
	s_cbranch_execz .LBB95_304
; %bb.303:
	v_div_scale_f32 v6, null, v4, v4, v5
	v_div_scale_f32 v9, vcc_lo, v5, v4, v5
	s_delay_alu instid0(VALU_DEP_2) | instskip(SKIP_1) | instid1(TRANS32_DEP_1)
	v_rcp_f32_e32 v7, v6
	v_nop
	v_fma_f32 v8, -v6, v7, 1.0
	s_delay_alu instid0(VALU_DEP_1) | instskip(NEXT) | instid1(VALU_DEP_1)
	v_fmac_f32_e32 v7, v8, v7
	v_mul_f32_e32 v8, v9, v7
	s_delay_alu instid0(VALU_DEP_1) | instskip(NEXT) | instid1(VALU_DEP_1)
	v_fma_f32 v10, -v6, v8, v9
	v_fmac_f32_e32 v8, v10, v7
	s_delay_alu instid0(VALU_DEP_1) | instskip(NEXT) | instid1(VALU_DEP_1)
	v_fma_f32 v6, -v6, v8, v9
	v_div_fmas_f32 v6, v6, v7, v8
	s_delay_alu instid0(VALU_DEP_1) | instskip(NEXT) | instid1(VALU_DEP_1)
	v_div_fixup_f32 v7, v6, v4, v5
	v_fmac_f32_e32 v4, v5, v7
	s_delay_alu instid0(VALU_DEP_1) | instskip(NEXT) | instid1(VALU_DEP_1)
	v_div_scale_f32 v5, null, v4, v4, 1.0
	v_rcp_f32_e32 v6, v5
	v_nop
	s_delay_alu instid0(TRANS32_DEP_1) | instskip(NEXT) | instid1(VALU_DEP_1)
	v_fma_f32 v8, -v5, v6, 1.0
	v_fmac_f32_e32 v6, v8, v6
	v_div_scale_f32 v8, vcc_lo, 1.0, v4, 1.0
	s_delay_alu instid0(VALU_DEP_1) | instskip(NEXT) | instid1(VALU_DEP_1)
	v_mul_f32_e32 v9, v8, v6
	v_fma_f32 v10, -v5, v9, v8
	s_delay_alu instid0(VALU_DEP_1) | instskip(NEXT) | instid1(VALU_DEP_1)
	v_fmac_f32_e32 v9, v10, v6
	v_fma_f32 v5, -v5, v9, v8
	s_delay_alu instid0(VALU_DEP_1) | instskip(NEXT) | instid1(VALU_DEP_1)
	v_div_fmas_f32 v5, v5, v6, v9
	v_div_fixup_f32 v6, v5, v4, 1.0
	s_delay_alu instid0(VALU_DEP_1)
	v_mul_f32_e64 v7, v7, -v6
.LBB95_304:
	s_or_b32 exec_lo, exec_lo, s1
	ds_store_b64 v55, v[6:7]
.LBB95_305:
	s_or_b32 exec_lo, exec_lo, s2
	s_wait_dscnt 0x0
	s_barrier_signal -1
	s_barrier_wait -1
	ds_load_b64 v[4:5], v55
	s_mov_b32 s1, exec_lo
	v_cmpx_lt_u32_e32 33, v54
	s_cbranch_execz .LBB95_307
; %bb.306:
	ds_load_2addr_b64 v[10:13], v56 offset0:34 offset1:35
	s_wait_dscnt 0x1
	v_pk_mul_f32 v[8:9], v[4:5], v[140:141] op_sel:[1,1] op_sel_hi:[0,1]
	s_delay_alu instid0(VALU_DEP_1) | instskip(SKIP_1) | instid1(VALU_DEP_1)
	v_pk_fma_f32 v[6:7], v[4:5], v[140:141], v[8:9] op_sel_hi:[1,0,1] neg_lo:[0,0,1] neg_hi:[0,0,1]
	v_pk_fma_f32 v[8:9], v[4:5], v[140:141], v[8:9] op_sel_hi:[1,0,1]
	v_dual_mov_b32 v140, v6 :: v_dual_mov_b32 v141, v9
	s_wait_dscnt 0x0
	s_delay_alu instid0(VALU_DEP_2) | instskip(NEXT) | instid1(VALU_DEP_1)
	v_pk_mul_f32 v[14:15], v[10:11], v[8:9] op_sel:[0,1]
	v_pk_fma_f32 v[18:19], v[10:11], v[6:7], v[14:15] op_sel:[0,0,1] op_sel_hi:[1,1,0] neg_lo:[0,0,1] neg_hi:[0,0,1]
	v_pk_fma_f32 v[10:11], v[10:11], v[6:7], v[14:15] op_sel:[0,0,1] op_sel_hi:[1,0,0]
	s_delay_alu instid0(VALU_DEP_1) | instskip(SKIP_1) | instid1(VALU_DEP_1)
	v_mov_b32_e32 v19, v11
	v_pk_mul_f32 v[10:11], v[12:13], v[8:9] op_sel:[0,1]
	v_pk_fma_f32 v[14:15], v[12:13], v[6:7], v[10:11] op_sel:[0,0,1] op_sel_hi:[1,1,0] neg_lo:[0,0,1] neg_hi:[0,0,1]
	v_pk_fma_f32 v[10:11], v[12:13], v[6:7], v[10:11] op_sel:[0,0,1] op_sel_hi:[1,0,0]
	s_delay_alu instid0(VALU_DEP_1)
	v_mov_b32_e32 v15, v11
	ds_load_2addr_b64 v[10:13], v56 offset0:36 offset1:37
	v_pk_add_f32 v[142:143], v[142:143], v[18:19] neg_lo:[0,1] neg_hi:[0,1]
	v_pk_add_f32 v[138:139], v[138:139], v[14:15] neg_lo:[0,1] neg_hi:[0,1]
	s_wait_dscnt 0x0
	v_pk_mul_f32 v[14:15], v[10:11], v[8:9] op_sel:[0,1]
	s_delay_alu instid0(VALU_DEP_1) | instskip(SKIP_2) | instid1(VALU_DEP_2)
	v_pk_fma_f32 v[18:19], v[10:11], v[6:7], v[14:15] op_sel:[0,0,1] op_sel_hi:[1,1,0] neg_lo:[0,0,1] neg_hi:[0,0,1]
	v_pk_fma_f32 v[10:11], v[10:11], v[6:7], v[14:15] op_sel:[0,0,1] op_sel_hi:[1,0,0]
	v_dual_mul_f32 v14, v13, v9 :: v_dual_mov_b32 v10, v13
	v_dual_mov_b32 v19, v11 :: v_dual_mov_b32 v11, v12
	s_delay_alu instid0(VALU_DEP_2) | instskip(SKIP_1) | instid1(VALU_DEP_3)
	v_pk_fma_f32 v[14:15], v[12:13], v[140:141], v[14:15] op_sel_hi:[1,1,0] neg_lo:[0,0,1] neg_hi:[0,0,1]
	v_mul_f32_e32 v12, v13, v6
	v_pk_add_f32 v[164:165], v[164:165], v[18:19] neg_lo:[0,1] neg_hi:[0,1]
	s_delay_alu instid0(VALU_DEP_2) | instskip(NEXT) | instid1(VALU_DEP_1)
	v_pk_fma_f32 v[10:11], v[10:11], v[140:141], v[12:13] op_sel_hi:[1,1,0]
	v_mov_b32_e32 v15, v11
	ds_load_2addr_b64 v[10:13], v56 offset0:38 offset1:39
	v_pk_add_f32 v[160:161], v[160:161], v[14:15] neg_lo:[0,1] neg_hi:[0,1]
	s_wait_dscnt 0x0
	v_pk_mul_f32 v[14:15], v[10:11], v[8:9] op_sel:[0,1]
	s_delay_alu instid0(VALU_DEP_1) | instskip(SKIP_1) | instid1(VALU_DEP_1)
	v_pk_fma_f32 v[18:19], v[10:11], v[6:7], v[14:15] op_sel:[0,0,1] op_sel_hi:[1,1,0] neg_lo:[0,0,1] neg_hi:[0,0,1]
	v_pk_fma_f32 v[10:11], v[10:11], v[6:7], v[14:15] op_sel:[0,0,1] op_sel_hi:[1,0,0]
	v_mov_b32_e32 v19, v11
	v_pk_mul_f32 v[10:11], v[12:13], v[8:9] op_sel:[0,1]
	s_delay_alu instid0(VALU_DEP_1) | instskip(SKIP_1) | instid1(VALU_DEP_1)
	v_pk_fma_f32 v[14:15], v[12:13], v[6:7], v[10:11] op_sel:[0,0,1] op_sel_hi:[1,1,0] neg_lo:[0,0,1] neg_hi:[0,0,1]
	v_pk_fma_f32 v[10:11], v[12:13], v[6:7], v[10:11] op_sel:[0,0,1] op_sel_hi:[1,0,0]
	v_mov_b32_e32 v15, v11
	ds_load_2addr_b64 v[10:13], v56 offset0:40 offset1:41
	v_pk_add_f32 v[162:163], v[162:163], v[18:19] neg_lo:[0,1] neg_hi:[0,1]
	v_pk_add_f32 v[158:159], v[158:159], v[14:15] neg_lo:[0,1] neg_hi:[0,1]
	s_wait_dscnt 0x0
	v_pk_mul_f32 v[14:15], v[10:11], v[8:9] op_sel:[0,1]
	s_delay_alu instid0(VALU_DEP_1) | instskip(SKIP_1) | instid1(VALU_DEP_1)
	v_pk_fma_f32 v[18:19], v[10:11], v[6:7], v[14:15] op_sel:[0,0,1] op_sel_hi:[1,1,0] neg_lo:[0,0,1] neg_hi:[0,0,1]
	v_pk_fma_f32 v[10:11], v[10:11], v[6:7], v[14:15] op_sel:[0,0,1] op_sel_hi:[1,0,0]
	v_mov_b32_e32 v19, v11
	v_pk_mul_f32 v[10:11], v[12:13], v[8:9] op_sel:[0,1]
	s_delay_alu instid0(VALU_DEP_1) | instskip(SKIP_1) | instid1(VALU_DEP_1)
	v_pk_fma_f32 v[14:15], v[12:13], v[6:7], v[10:11] op_sel:[0,0,1] op_sel_hi:[1,1,0] neg_lo:[0,0,1] neg_hi:[0,0,1]
	v_pk_fma_f32 v[10:11], v[12:13], v[6:7], v[10:11] op_sel:[0,0,1] op_sel_hi:[1,0,0]
	v_mov_b32_e32 v15, v11
	ds_load_2addr_b64 v[10:13], v56 offset0:42 offset1:43
	v_pk_add_f32 v[188:189], v[188:189], v[18:19] neg_lo:[0,1] neg_hi:[0,1]
	v_pk_add_f32 v[182:183], v[182:183], v[14:15] neg_lo:[0,1] neg_hi:[0,1]
	s_wait_dscnt 0x0
	v_dual_mul_f32 v14, v11, v9 :: v_dual_mul_f32 v18, v11, v6
	s_delay_alu instid0(VALU_DEP_1) | instskip(NEXT) | instid1(VALU_DEP_2)
	v_pk_fma_f32 v[14:15], v[10:11], v[140:141], v[14:15] op_sel_hi:[1,1,0] neg_lo:[0,0,1] neg_hi:[0,0,1]
	v_pk_fma_f32 v[10:11], v[10:11], v[140:141], v[18:19] op_sel:[1,0,0] op_sel_hi:[0,1,0]
	s_delay_alu instid0(VALU_DEP_1) | instskip(SKIP_1) | instid1(VALU_DEP_2)
	v_mov_b32_e32 v15, v11
	v_pk_mul_f32 v[10:11], v[12:13], v[8:9] op_sel:[0,1]
	v_pk_add_f32 v[186:187], v[186:187], v[14:15] neg_lo:[0,1] neg_hi:[0,1]
	s_delay_alu instid0(VALU_DEP_2) | instskip(SKIP_1) | instid1(VALU_DEP_1)
	v_pk_fma_f32 v[14:15], v[12:13], v[6:7], v[10:11] op_sel:[0,0,1] op_sel_hi:[1,1,0] neg_lo:[0,0,1] neg_hi:[0,0,1]
	v_pk_fma_f32 v[10:11], v[12:13], v[6:7], v[10:11] op_sel:[0,0,1] op_sel_hi:[1,0,0]
	v_mov_b32_e32 v15, v11
	ds_load_2addr_b64 v[10:13], v56 offset0:44 offset1:45
	v_pk_add_f32 v[180:181], v[180:181], v[14:15] neg_lo:[0,1] neg_hi:[0,1]
	s_wait_dscnt 0x0
	v_pk_mul_f32 v[14:15], v[10:11], v[8:9] op_sel:[0,1]
	s_delay_alu instid0(VALU_DEP_1) | instskip(SKIP_1) | instid1(VALU_DEP_1)
	v_pk_fma_f32 v[18:19], v[10:11], v[6:7], v[14:15] op_sel:[0,0,1] op_sel_hi:[1,1,0] neg_lo:[0,0,1] neg_hi:[0,0,1]
	v_pk_fma_f32 v[10:11], v[10:11], v[6:7], v[14:15] op_sel:[0,0,1] op_sel_hi:[1,0,0]
	v_mov_b32_e32 v19, v11
	v_pk_mul_f32 v[10:11], v[12:13], v[8:9] op_sel:[0,1]
	s_delay_alu instid0(VALU_DEP_2) | instskip(NEXT) | instid1(VALU_DEP_2)
	v_pk_add_f32 v[184:185], v[184:185], v[18:19] neg_lo:[0,1] neg_hi:[0,1]
	v_pk_fma_f32 v[14:15], v[12:13], v[6:7], v[10:11] op_sel:[0,0,1] op_sel_hi:[1,1,0] neg_lo:[0,0,1] neg_hi:[0,0,1]
	v_pk_fma_f32 v[10:11], v[12:13], v[6:7], v[10:11] op_sel:[0,0,1] op_sel_hi:[1,0,0]
	s_delay_alu instid0(VALU_DEP_1)
	v_mov_b32_e32 v15, v11
	ds_load_2addr_b64 v[10:13], v56 offset0:46 offset1:47
	v_pk_add_f32 v[178:179], v[178:179], v[14:15] neg_lo:[0,1] neg_hi:[0,1]
	s_wait_dscnt 0x0
	v_pk_mul_f32 v[14:15], v[10:11], v[8:9] op_sel:[0,1]
	v_pk_mul_f32 v[8:9], v[12:13], v[8:9] op_sel:[0,1]
	s_delay_alu instid0(VALU_DEP_2) | instskip(SKIP_1) | instid1(VALU_DEP_1)
	v_pk_fma_f32 v[18:19], v[10:11], v[6:7], v[14:15] op_sel:[0,0,1] op_sel_hi:[1,1,0] neg_lo:[0,0,1] neg_hi:[0,0,1]
	v_pk_fma_f32 v[10:11], v[10:11], v[6:7], v[14:15] op_sel:[0,0,1] op_sel_hi:[1,0,0]
	v_mov_b32_e32 v19, v11
	s_delay_alu instid0(VALU_DEP_4) | instskip(SKIP_1) | instid1(VALU_DEP_3)
	v_pk_fma_f32 v[10:11], v[12:13], v[6:7], v[8:9] op_sel:[0,0,1] op_sel_hi:[1,1,0] neg_lo:[0,0,1] neg_hi:[0,0,1]
	v_pk_fma_f32 v[6:7], v[12:13], v[6:7], v[8:9] op_sel:[0,0,1] op_sel_hi:[1,0,0]
	v_pk_add_f32 v[190:191], v[190:191], v[18:19] neg_lo:[0,1] neg_hi:[0,1]
	s_delay_alu instid0(VALU_DEP_2) | instskip(NEXT) | instid1(VALU_DEP_1)
	v_mov_b32_e32 v11, v7
	v_pk_add_f32 v[192:193], v[192:193], v[10:11] neg_lo:[0,1] neg_hi:[0,1]
.LBB95_307:
	s_or_b32 exec_lo, exec_lo, s1
	s_delay_alu instid0(SALU_CYCLE_1)
	s_mov_b32 s2, exec_lo
	s_wait_dscnt 0x0
	s_barrier_signal -1
	s_barrier_wait -1
	v_cmpx_eq_u32_e32 34, v54
	s_cbranch_execz .LBB95_314
; %bb.308:
	ds_store_b64 v55, v[142:143]
	ds_store_2addr_b64 v56, v[138:139], v[164:165] offset0:35 offset1:36
	ds_store_2addr_b64 v56, v[160:161], v[162:163] offset0:37 offset1:38
	;; [unrolled: 1-line block ×6, first 2 shown]
	ds_store_b64 v56, v[192:193] offset:376
	ds_load_b64 v[6:7], v55
	s_wait_dscnt 0x0
	v_cmp_neq_f32_e32 vcc_lo, 0, v6
	v_cmp_neq_f32_e64 s1, 0, v7
	s_or_b32 s1, vcc_lo, s1
	s_delay_alu instid0(SALU_CYCLE_1)
	s_and_b32 exec_lo, exec_lo, s1
	s_cbranch_execz .LBB95_314
; %bb.309:
	v_cmp_ngt_f32_e64 s1, |v6|, |v7|
                                        ; implicit-def: $vgpr8_vgpr9
	s_and_saveexec_b32 s4, s1
	s_delay_alu instid0(SALU_CYCLE_1)
	s_xor_b32 s1, exec_lo, s4
	s_cbranch_execz .LBB95_311
; %bb.310:
	v_div_scale_f32 v8, null, v7, v7, v6
	v_div_scale_f32 v11, vcc_lo, v6, v7, v6
	s_delay_alu instid0(VALU_DEP_2) | instskip(SKIP_1) | instid1(TRANS32_DEP_1)
	v_rcp_f32_e32 v9, v8
	v_nop
	v_fma_f32 v10, -v8, v9, 1.0
	s_delay_alu instid0(VALU_DEP_1) | instskip(NEXT) | instid1(VALU_DEP_1)
	v_fmac_f32_e32 v9, v10, v9
	v_mul_f32_e32 v10, v11, v9
	s_delay_alu instid0(VALU_DEP_1) | instskip(NEXT) | instid1(VALU_DEP_1)
	v_fma_f32 v12, -v8, v10, v11
	v_fmac_f32_e32 v10, v12, v9
	s_delay_alu instid0(VALU_DEP_1) | instskip(NEXT) | instid1(VALU_DEP_1)
	v_fma_f32 v8, -v8, v10, v11
	v_div_fmas_f32 v8, v8, v9, v10
	s_delay_alu instid0(VALU_DEP_1) | instskip(NEXT) | instid1(VALU_DEP_1)
	v_div_fixup_f32 v8, v8, v7, v6
	v_fmac_f32_e32 v7, v6, v8
	s_delay_alu instid0(VALU_DEP_1) | instskip(SKIP_1) | instid1(VALU_DEP_2)
	v_div_scale_f32 v6, null, v7, v7, 1.0
	v_div_scale_f32 v11, vcc_lo, 1.0, v7, 1.0
	v_rcp_f32_e32 v9, v6
	v_nop
	s_delay_alu instid0(TRANS32_DEP_1) | instskip(NEXT) | instid1(VALU_DEP_1)
	v_fma_f32 v10, -v6, v9, 1.0
	v_fmac_f32_e32 v9, v10, v9
	s_delay_alu instid0(VALU_DEP_1) | instskip(NEXT) | instid1(VALU_DEP_1)
	v_mul_f32_e32 v10, v11, v9
	v_fma_f32 v12, -v6, v10, v11
	s_delay_alu instid0(VALU_DEP_1) | instskip(NEXT) | instid1(VALU_DEP_1)
	v_fmac_f32_e32 v10, v12, v9
	v_fma_f32 v6, -v6, v10, v11
	s_delay_alu instid0(VALU_DEP_1) | instskip(NEXT) | instid1(VALU_DEP_1)
	v_div_fmas_f32 v6, v6, v9, v10
	v_div_fixup_f32 v6, v6, v7, 1.0
	s_delay_alu instid0(VALU_DEP_1)
	v_mul_f32_e32 v8, v8, v6
	v_xor_b32_e32 v9, 0x80000000, v6
                                        ; implicit-def: $vgpr6_vgpr7
.LBB95_311:
	s_and_not1_saveexec_b32 s1, s1
	s_cbranch_execz .LBB95_313
; %bb.312:
	v_div_scale_f32 v8, null, v6, v6, v7
	v_div_scale_f32 v11, vcc_lo, v7, v6, v7
	s_delay_alu instid0(VALU_DEP_2) | instskip(SKIP_1) | instid1(TRANS32_DEP_1)
	v_rcp_f32_e32 v9, v8
	v_nop
	v_fma_f32 v10, -v8, v9, 1.0
	s_delay_alu instid0(VALU_DEP_1) | instskip(NEXT) | instid1(VALU_DEP_1)
	v_fmac_f32_e32 v9, v10, v9
	v_mul_f32_e32 v10, v11, v9
	s_delay_alu instid0(VALU_DEP_1) | instskip(NEXT) | instid1(VALU_DEP_1)
	v_fma_f32 v12, -v8, v10, v11
	v_fmac_f32_e32 v10, v12, v9
	s_delay_alu instid0(VALU_DEP_1) | instskip(NEXT) | instid1(VALU_DEP_1)
	v_fma_f32 v8, -v8, v10, v11
	v_div_fmas_f32 v8, v8, v9, v10
	s_delay_alu instid0(VALU_DEP_1) | instskip(NEXT) | instid1(VALU_DEP_1)
	v_div_fixup_f32 v9, v8, v6, v7
	v_fmac_f32_e32 v6, v7, v9
	s_delay_alu instid0(VALU_DEP_1) | instskip(NEXT) | instid1(VALU_DEP_1)
	v_div_scale_f32 v7, null, v6, v6, 1.0
	v_rcp_f32_e32 v8, v7
	v_nop
	s_delay_alu instid0(TRANS32_DEP_1) | instskip(NEXT) | instid1(VALU_DEP_1)
	v_fma_f32 v10, -v7, v8, 1.0
	v_fmac_f32_e32 v8, v10, v8
	v_div_scale_f32 v10, vcc_lo, 1.0, v6, 1.0
	s_delay_alu instid0(VALU_DEP_1) | instskip(NEXT) | instid1(VALU_DEP_1)
	v_mul_f32_e32 v11, v10, v8
	v_fma_f32 v12, -v7, v11, v10
	s_delay_alu instid0(VALU_DEP_1) | instskip(NEXT) | instid1(VALU_DEP_1)
	v_fmac_f32_e32 v11, v12, v8
	v_fma_f32 v7, -v7, v11, v10
	s_delay_alu instid0(VALU_DEP_1) | instskip(NEXT) | instid1(VALU_DEP_1)
	v_div_fmas_f32 v7, v7, v8, v11
	v_div_fixup_f32 v8, v7, v6, 1.0
	s_delay_alu instid0(VALU_DEP_1)
	v_mul_f32_e64 v9, v9, -v8
.LBB95_313:
	s_or_b32 exec_lo, exec_lo, s1
	ds_store_b64 v55, v[8:9]
.LBB95_314:
	s_or_b32 exec_lo, exec_lo, s2
	s_wait_dscnt 0x0
	s_barrier_signal -1
	s_barrier_wait -1
	ds_load_b64 v[6:7], v55
	s_mov_b32 s1, exec_lo
	v_cmpx_lt_u32_e32 34, v54
	s_cbranch_execz .LBB95_316
; %bb.315:
	ds_load_2addr_b64 v[12:15], v56 offset0:35 offset1:36
	s_wait_dscnt 0x1
	v_pk_mul_f32 v[10:11], v[6:7], v[142:143] op_sel:[1,1] op_sel_hi:[0,1]
	s_delay_alu instid0(VALU_DEP_1) | instskip(SKIP_1) | instid1(VALU_DEP_1)
	v_pk_fma_f32 v[8:9], v[6:7], v[142:143], v[10:11] op_sel_hi:[1,0,1] neg_lo:[0,0,1] neg_hi:[0,0,1]
	v_pk_fma_f32 v[10:11], v[6:7], v[142:143], v[10:11] op_sel_hi:[1,0,1]
	v_dual_mov_b32 v142, v8 :: v_dual_mov_b32 v143, v11
	s_wait_dscnt 0x0
	s_delay_alu instid0(VALU_DEP_2) | instskip(NEXT) | instid1(VALU_DEP_1)
	v_pk_mul_f32 v[18:19], v[12:13], v[10:11] op_sel:[0,1]
	v_pk_fma_f32 v[20:21], v[12:13], v[8:9], v[18:19] op_sel:[0,0,1] op_sel_hi:[1,1,0] neg_lo:[0,0,1] neg_hi:[0,0,1]
	v_pk_fma_f32 v[12:13], v[12:13], v[8:9], v[18:19] op_sel:[0,0,1] op_sel_hi:[1,0,0]
	s_delay_alu instid0(VALU_DEP_1) | instskip(SKIP_1) | instid1(VALU_DEP_1)
	v_mov_b32_e32 v21, v13
	v_pk_mul_f32 v[12:13], v[14:15], v[10:11] op_sel:[0,1]
	v_pk_fma_f32 v[18:19], v[14:15], v[8:9], v[12:13] op_sel:[0,0,1] op_sel_hi:[1,1,0] neg_lo:[0,0,1] neg_hi:[0,0,1]
	v_pk_fma_f32 v[12:13], v[14:15], v[8:9], v[12:13] op_sel:[0,0,1] op_sel_hi:[1,0,0]
	s_delay_alu instid0(VALU_DEP_1)
	v_mov_b32_e32 v19, v13
	ds_load_2addr_b64 v[12:15], v56 offset0:37 offset1:38
	v_pk_add_f32 v[138:139], v[138:139], v[20:21] neg_lo:[0,1] neg_hi:[0,1]
	v_pk_add_f32 v[164:165], v[164:165], v[18:19] neg_lo:[0,1] neg_hi:[0,1]
	s_wait_dscnt 0x0
	v_pk_mul_f32 v[18:19], v[12:13], v[10:11] op_sel:[0,1]
	s_delay_alu instid0(VALU_DEP_1) | instskip(SKIP_2) | instid1(VALU_DEP_2)
	v_pk_fma_f32 v[20:21], v[12:13], v[8:9], v[18:19] op_sel:[0,0,1] op_sel_hi:[1,1,0] neg_lo:[0,0,1] neg_hi:[0,0,1]
	v_pk_fma_f32 v[12:13], v[12:13], v[8:9], v[18:19] op_sel:[0,0,1] op_sel_hi:[1,0,0]
	v_dual_mul_f32 v18, v15, v11 :: v_dual_mov_b32 v12, v15
	v_dual_mov_b32 v21, v13 :: v_dual_mov_b32 v13, v14
	s_delay_alu instid0(VALU_DEP_2) | instskip(SKIP_1) | instid1(VALU_DEP_3)
	v_pk_fma_f32 v[18:19], v[14:15], v[142:143], v[18:19] op_sel_hi:[1,1,0] neg_lo:[0,0,1] neg_hi:[0,0,1]
	v_mul_f32_e32 v14, v15, v8
	v_pk_add_f32 v[160:161], v[160:161], v[20:21] neg_lo:[0,1] neg_hi:[0,1]
	s_delay_alu instid0(VALU_DEP_2) | instskip(NEXT) | instid1(VALU_DEP_1)
	v_pk_fma_f32 v[12:13], v[12:13], v[142:143], v[14:15] op_sel_hi:[1,1,0]
	v_mov_b32_e32 v19, v13
	ds_load_2addr_b64 v[12:15], v56 offset0:39 offset1:40
	v_pk_add_f32 v[162:163], v[162:163], v[18:19] neg_lo:[0,1] neg_hi:[0,1]
	s_wait_dscnt 0x0
	v_pk_mul_f32 v[18:19], v[12:13], v[10:11] op_sel:[0,1]
	s_delay_alu instid0(VALU_DEP_1) | instskip(SKIP_1) | instid1(VALU_DEP_1)
	v_pk_fma_f32 v[20:21], v[12:13], v[8:9], v[18:19] op_sel:[0,0,1] op_sel_hi:[1,1,0] neg_lo:[0,0,1] neg_hi:[0,0,1]
	v_pk_fma_f32 v[12:13], v[12:13], v[8:9], v[18:19] op_sel:[0,0,1] op_sel_hi:[1,0,0]
	v_mov_b32_e32 v21, v13
	v_pk_mul_f32 v[12:13], v[14:15], v[10:11] op_sel:[0,1]
	s_delay_alu instid0(VALU_DEP_1) | instskip(SKIP_1) | instid1(VALU_DEP_1)
	v_pk_fma_f32 v[18:19], v[14:15], v[8:9], v[12:13] op_sel:[0,0,1] op_sel_hi:[1,1,0] neg_lo:[0,0,1] neg_hi:[0,0,1]
	v_pk_fma_f32 v[12:13], v[14:15], v[8:9], v[12:13] op_sel:[0,0,1] op_sel_hi:[1,0,0]
	v_mov_b32_e32 v19, v13
	ds_load_2addr_b64 v[12:15], v56 offset0:41 offset1:42
	v_pk_add_f32 v[158:159], v[158:159], v[20:21] neg_lo:[0,1] neg_hi:[0,1]
	v_pk_add_f32 v[188:189], v[188:189], v[18:19] neg_lo:[0,1] neg_hi:[0,1]
	s_wait_dscnt 0x0
	v_pk_mul_f32 v[18:19], v[12:13], v[10:11] op_sel:[0,1]
	s_delay_alu instid0(VALU_DEP_1) | instskip(SKIP_1) | instid1(VALU_DEP_1)
	v_pk_fma_f32 v[20:21], v[12:13], v[8:9], v[18:19] op_sel:[0,0,1] op_sel_hi:[1,1,0] neg_lo:[0,0,1] neg_hi:[0,0,1]
	v_pk_fma_f32 v[12:13], v[12:13], v[8:9], v[18:19] op_sel:[0,0,1] op_sel_hi:[1,0,0]
	v_mov_b32_e32 v21, v13
	v_pk_mul_f32 v[12:13], v[14:15], v[10:11] op_sel:[0,1]
	s_delay_alu instid0(VALU_DEP_1) | instskip(SKIP_1) | instid1(VALU_DEP_1)
	v_pk_fma_f32 v[18:19], v[14:15], v[8:9], v[12:13] op_sel:[0,0,1] op_sel_hi:[1,1,0] neg_lo:[0,0,1] neg_hi:[0,0,1]
	v_pk_fma_f32 v[12:13], v[14:15], v[8:9], v[12:13] op_sel:[0,0,1] op_sel_hi:[1,0,0]
	v_mov_b32_e32 v19, v13
	ds_load_2addr_b64 v[12:15], v56 offset0:43 offset1:44
	v_pk_add_f32 v[182:183], v[182:183], v[20:21] neg_lo:[0,1] neg_hi:[0,1]
	v_pk_add_f32 v[186:187], v[186:187], v[18:19] neg_lo:[0,1] neg_hi:[0,1]
	s_wait_dscnt 0x0
	v_dual_mul_f32 v18, v13, v11 :: v_dual_mul_f32 v20, v13, v8
	s_delay_alu instid0(VALU_DEP_1) | instskip(NEXT) | instid1(VALU_DEP_2)
	v_pk_fma_f32 v[18:19], v[12:13], v[142:143], v[18:19] op_sel_hi:[1,1,0] neg_lo:[0,0,1] neg_hi:[0,0,1]
	v_pk_fma_f32 v[12:13], v[12:13], v[142:143], v[20:21] op_sel:[1,0,0] op_sel_hi:[0,1,0]
	s_delay_alu instid0(VALU_DEP_1) | instskip(SKIP_1) | instid1(VALU_DEP_2)
	v_mov_b32_e32 v19, v13
	v_pk_mul_f32 v[12:13], v[14:15], v[10:11] op_sel:[0,1]
	v_pk_add_f32 v[180:181], v[180:181], v[18:19] neg_lo:[0,1] neg_hi:[0,1]
	s_delay_alu instid0(VALU_DEP_2) | instskip(SKIP_1) | instid1(VALU_DEP_1)
	v_pk_fma_f32 v[18:19], v[14:15], v[8:9], v[12:13] op_sel:[0,0,1] op_sel_hi:[1,1,0] neg_lo:[0,0,1] neg_hi:[0,0,1]
	v_pk_fma_f32 v[12:13], v[14:15], v[8:9], v[12:13] op_sel:[0,0,1] op_sel_hi:[1,0,0]
	v_mov_b32_e32 v19, v13
	ds_load_2addr_b64 v[12:15], v56 offset0:45 offset1:46
	v_pk_add_f32 v[184:185], v[184:185], v[18:19] neg_lo:[0,1] neg_hi:[0,1]
	s_wait_dscnt 0x0
	v_pk_mul_f32 v[18:19], v[12:13], v[10:11] op_sel:[0,1]
	s_delay_alu instid0(VALU_DEP_1) | instskip(SKIP_1) | instid1(VALU_DEP_1)
	v_pk_fma_f32 v[20:21], v[12:13], v[8:9], v[18:19] op_sel:[0,0,1] op_sel_hi:[1,1,0] neg_lo:[0,0,1] neg_hi:[0,0,1]
	v_pk_fma_f32 v[12:13], v[12:13], v[8:9], v[18:19] op_sel:[0,0,1] op_sel_hi:[1,0,0]
	v_mov_b32_e32 v21, v13
	v_pk_mul_f32 v[12:13], v[14:15], v[10:11] op_sel:[0,1]
	s_delay_alu instid0(VALU_DEP_2) | instskip(NEXT) | instid1(VALU_DEP_2)
	v_pk_add_f32 v[178:179], v[178:179], v[20:21] neg_lo:[0,1] neg_hi:[0,1]
	v_pk_fma_f32 v[18:19], v[14:15], v[8:9], v[12:13] op_sel:[0,0,1] op_sel_hi:[1,1,0] neg_lo:[0,0,1] neg_hi:[0,0,1]
	v_pk_fma_f32 v[12:13], v[14:15], v[8:9], v[12:13] op_sel:[0,0,1] op_sel_hi:[1,0,0]
	s_delay_alu instid0(VALU_DEP_1) | instskip(SKIP_4) | instid1(VALU_DEP_1)
	v_mov_b32_e32 v19, v13
	ds_load_b64 v[12:13], v56 offset:376
	v_pk_add_f32 v[190:191], v[190:191], v[18:19] neg_lo:[0,1] neg_hi:[0,1]
	s_wait_dscnt 0x0
	v_pk_mul_f32 v[10:11], v[12:13], v[10:11] op_sel:[0,1]
	v_pk_fma_f32 v[14:15], v[12:13], v[8:9], v[10:11] op_sel:[0,0,1] op_sel_hi:[1,1,0] neg_lo:[0,0,1] neg_hi:[0,0,1]
	v_pk_fma_f32 v[8:9], v[12:13], v[8:9], v[10:11] op_sel:[0,0,1] op_sel_hi:[1,0,0]
	s_delay_alu instid0(VALU_DEP_1) | instskip(NEXT) | instid1(VALU_DEP_1)
	v_mov_b32_e32 v15, v9
	v_pk_add_f32 v[192:193], v[192:193], v[14:15] neg_lo:[0,1] neg_hi:[0,1]
.LBB95_316:
	s_or_b32 exec_lo, exec_lo, s1
	s_delay_alu instid0(SALU_CYCLE_1)
	s_mov_b32 s2, exec_lo
	s_wait_dscnt 0x0
	s_barrier_signal -1
	s_barrier_wait -1
	v_cmpx_eq_u32_e32 35, v54
	s_cbranch_execz .LBB95_323
; %bb.317:
	v_dual_mov_b32 v8, v164 :: v_dual_mov_b32 v9, v165
	v_dual_mov_b32 v10, v160 :: v_dual_mov_b32 v11, v161
	ds_store_b64 v55, v[138:139]
	ds_store_2addr_b64 v56, v[8:9], v[10:11] offset0:36 offset1:37
	v_dual_mov_b32 v8, v162 :: v_dual_mov_b32 v9, v163
	v_dual_mov_b32 v10, v158 :: v_dual_mov_b32 v11, v159
	ds_store_2addr_b64 v56, v[8:9], v[10:11] offset0:38 offset1:39
	v_dual_mov_b32 v8, v188 :: v_dual_mov_b32 v9, v189
	v_dual_mov_b32 v10, v182 :: v_dual_mov_b32 v11, v183
	;; [unrolled: 3-line block ×4, first 2 shown]
	ds_store_2addr_b64 v56, v[8:9], v[10:11] offset0:44 offset1:45
	v_dual_mov_b32 v8, v190 :: v_dual_mov_b32 v9, v191
	ds_store_2addr_b64 v56, v[8:9], v[192:193] offset0:46 offset1:47
	ds_load_b64 v[8:9], v55
	s_wait_dscnt 0x0
	v_cmp_neq_f32_e32 vcc_lo, 0, v8
	v_cmp_neq_f32_e64 s1, 0, v9
	s_or_b32 s1, vcc_lo, s1
	s_delay_alu instid0(SALU_CYCLE_1)
	s_and_b32 exec_lo, exec_lo, s1
	s_cbranch_execz .LBB95_323
; %bb.318:
	v_cmp_ngt_f32_e64 s1, |v8|, |v9|
                                        ; implicit-def: $vgpr10_vgpr11
	s_and_saveexec_b32 s4, s1
	s_delay_alu instid0(SALU_CYCLE_1)
	s_xor_b32 s1, exec_lo, s4
	s_cbranch_execz .LBB95_320
; %bb.319:
	v_div_scale_f32 v10, null, v9, v9, v8
	v_div_scale_f32 v13, vcc_lo, v8, v9, v8
	s_delay_alu instid0(VALU_DEP_2) | instskip(SKIP_1) | instid1(TRANS32_DEP_1)
	v_rcp_f32_e32 v11, v10
	v_nop
	v_fma_f32 v12, -v10, v11, 1.0
	s_delay_alu instid0(VALU_DEP_1) | instskip(NEXT) | instid1(VALU_DEP_1)
	v_fmac_f32_e32 v11, v12, v11
	v_mul_f32_e32 v12, v13, v11
	s_delay_alu instid0(VALU_DEP_1) | instskip(NEXT) | instid1(VALU_DEP_1)
	v_fma_f32 v14, -v10, v12, v13
	v_fmac_f32_e32 v12, v14, v11
	s_delay_alu instid0(VALU_DEP_1) | instskip(NEXT) | instid1(VALU_DEP_1)
	v_fma_f32 v10, -v10, v12, v13
	v_div_fmas_f32 v10, v10, v11, v12
	s_delay_alu instid0(VALU_DEP_1) | instskip(NEXT) | instid1(VALU_DEP_1)
	v_div_fixup_f32 v10, v10, v9, v8
	v_fmac_f32_e32 v9, v8, v10
	s_delay_alu instid0(VALU_DEP_1) | instskip(SKIP_1) | instid1(VALU_DEP_2)
	v_div_scale_f32 v8, null, v9, v9, 1.0
	v_div_scale_f32 v13, vcc_lo, 1.0, v9, 1.0
	v_rcp_f32_e32 v11, v8
	v_nop
	s_delay_alu instid0(TRANS32_DEP_1) | instskip(NEXT) | instid1(VALU_DEP_1)
	v_fma_f32 v12, -v8, v11, 1.0
	v_fmac_f32_e32 v11, v12, v11
	s_delay_alu instid0(VALU_DEP_1) | instskip(NEXT) | instid1(VALU_DEP_1)
	v_mul_f32_e32 v12, v13, v11
	v_fma_f32 v14, -v8, v12, v13
	s_delay_alu instid0(VALU_DEP_1) | instskip(NEXT) | instid1(VALU_DEP_1)
	v_fmac_f32_e32 v12, v14, v11
	v_fma_f32 v8, -v8, v12, v13
	s_delay_alu instid0(VALU_DEP_1) | instskip(NEXT) | instid1(VALU_DEP_1)
	v_div_fmas_f32 v8, v8, v11, v12
	v_div_fixup_f32 v8, v8, v9, 1.0
	s_delay_alu instid0(VALU_DEP_1)
	v_mul_f32_e32 v10, v10, v8
	v_xor_b32_e32 v11, 0x80000000, v8
                                        ; implicit-def: $vgpr8_vgpr9
.LBB95_320:
	s_and_not1_saveexec_b32 s1, s1
	s_cbranch_execz .LBB95_322
; %bb.321:
	v_div_scale_f32 v10, null, v8, v8, v9
	v_div_scale_f32 v13, vcc_lo, v9, v8, v9
	s_delay_alu instid0(VALU_DEP_2) | instskip(SKIP_1) | instid1(TRANS32_DEP_1)
	v_rcp_f32_e32 v11, v10
	v_nop
	v_fma_f32 v12, -v10, v11, 1.0
	s_delay_alu instid0(VALU_DEP_1) | instskip(NEXT) | instid1(VALU_DEP_1)
	v_fmac_f32_e32 v11, v12, v11
	v_mul_f32_e32 v12, v13, v11
	s_delay_alu instid0(VALU_DEP_1) | instskip(NEXT) | instid1(VALU_DEP_1)
	v_fma_f32 v14, -v10, v12, v13
	v_fmac_f32_e32 v12, v14, v11
	s_delay_alu instid0(VALU_DEP_1) | instskip(NEXT) | instid1(VALU_DEP_1)
	v_fma_f32 v10, -v10, v12, v13
	v_div_fmas_f32 v10, v10, v11, v12
	s_delay_alu instid0(VALU_DEP_1) | instskip(NEXT) | instid1(VALU_DEP_1)
	v_div_fixup_f32 v11, v10, v8, v9
	v_fmac_f32_e32 v8, v9, v11
	s_delay_alu instid0(VALU_DEP_1) | instskip(NEXT) | instid1(VALU_DEP_1)
	v_div_scale_f32 v9, null, v8, v8, 1.0
	v_rcp_f32_e32 v10, v9
	v_nop
	s_delay_alu instid0(TRANS32_DEP_1) | instskip(NEXT) | instid1(VALU_DEP_1)
	v_fma_f32 v12, -v9, v10, 1.0
	v_fmac_f32_e32 v10, v12, v10
	v_div_scale_f32 v12, vcc_lo, 1.0, v8, 1.0
	s_delay_alu instid0(VALU_DEP_1) | instskip(NEXT) | instid1(VALU_DEP_1)
	v_mul_f32_e32 v13, v12, v10
	v_fma_f32 v14, -v9, v13, v12
	s_delay_alu instid0(VALU_DEP_1) | instskip(NEXT) | instid1(VALU_DEP_1)
	v_fmac_f32_e32 v13, v14, v10
	v_fma_f32 v9, -v9, v13, v12
	s_delay_alu instid0(VALU_DEP_1) | instskip(NEXT) | instid1(VALU_DEP_1)
	v_div_fmas_f32 v9, v9, v10, v13
	v_div_fixup_f32 v10, v9, v8, 1.0
	s_delay_alu instid0(VALU_DEP_1)
	v_mul_f32_e64 v11, v11, -v10
.LBB95_322:
	s_or_b32 exec_lo, exec_lo, s1
	ds_store_b64 v55, v[10:11]
.LBB95_323:
	s_or_b32 exec_lo, exec_lo, s2
	s_wait_dscnt 0x0
	s_barrier_signal -1
	s_barrier_wait -1
	ds_load_b64 v[8:9], v55
	s_mov_b32 s1, exec_lo
	v_cmpx_lt_u32_e32 35, v54
	s_cbranch_execz .LBB95_325
; %bb.324:
	ds_load_2addr_b64 v[18:21], v56 offset0:36 offset1:37
	s_wait_dscnt 0x1
	v_pk_mul_f32 v[12:13], v[8:9], v[138:139] op_sel:[1,1] op_sel_hi:[0,1]
	s_delay_alu instid0(VALU_DEP_1) | instskip(SKIP_1) | instid1(VALU_DEP_1)
	v_pk_fma_f32 v[10:11], v[8:9], v[138:139], v[12:13] op_sel_hi:[1,0,1] neg_lo:[0,0,1] neg_hi:[0,0,1]
	v_pk_fma_f32 v[12:13], v[8:9], v[138:139], v[12:13] op_sel_hi:[1,0,1]
	v_dual_mov_b32 v138, v10 :: v_dual_mov_b32 v139, v13
	s_wait_dscnt 0x0
	s_delay_alu instid0(VALU_DEP_2) | instskip(NEXT) | instid1(VALU_DEP_1)
	v_pk_mul_f32 v[14:15], v[18:19], v[12:13] op_sel:[0,1]
	v_pk_fma_f32 v[22:23], v[18:19], v[10:11], v[14:15] op_sel:[0,0,1] op_sel_hi:[1,1,0] neg_lo:[0,0,1] neg_hi:[0,0,1]
	v_pk_fma_f32 v[14:15], v[18:19], v[10:11], v[14:15] op_sel:[0,0,1] op_sel_hi:[1,0,0]
	s_delay_alu instid0(VALU_DEP_1) | instskip(SKIP_1) | instid1(VALU_DEP_1)
	v_mov_b32_e32 v23, v15
	v_pk_mul_f32 v[14:15], v[20:21], v[12:13] op_sel:[0,1]
	v_pk_fma_f32 v[18:19], v[20:21], v[10:11], v[14:15] op_sel:[0,0,1] op_sel_hi:[1,1,0] neg_lo:[0,0,1] neg_hi:[0,0,1]
	v_pk_fma_f32 v[14:15], v[20:21], v[10:11], v[14:15] op_sel:[0,0,1] op_sel_hi:[1,0,0]
	s_delay_alu instid0(VALU_DEP_1) | instskip(SKIP_1) | instid1(VALU_DEP_2)
	v_mov_b32_e32 v19, v15
	v_pk_add_f32 v[164:165], v[164:165], v[22:23] neg_lo:[0,1] neg_hi:[0,1]
	v_pk_add_f32 v[160:161], v[160:161], v[18:19] neg_lo:[0,1] neg_hi:[0,1]
	ds_load_2addr_b64 v[18:21], v56 offset0:38 offset1:39
	s_wait_dscnt 0x0
	v_pk_mul_f32 v[14:15], v[18:19], v[12:13] op_sel:[0,1]
	s_delay_alu instid0(VALU_DEP_1) | instskip(SKIP_2) | instid1(VALU_DEP_2)
	v_pk_fma_f32 v[22:23], v[18:19], v[10:11], v[14:15] op_sel:[0,0,1] op_sel_hi:[1,1,0] neg_lo:[0,0,1] neg_hi:[0,0,1]
	v_pk_fma_f32 v[14:15], v[18:19], v[10:11], v[14:15] op_sel:[0,0,1] op_sel_hi:[1,0,0]
	v_dual_mul_f32 v18, v21, v13 :: v_dual_mov_b32 v14, v21
	v_dual_mov_b32 v23, v15 :: v_dual_mov_b32 v15, v20
	s_delay_alu instid0(VALU_DEP_2) | instskip(SKIP_1) | instid1(VALU_DEP_3)
	v_pk_fma_f32 v[18:19], v[20:21], v[138:139], v[18:19] op_sel_hi:[1,1,0] neg_lo:[0,0,1] neg_hi:[0,0,1]
	v_mul_f32_e32 v20, v21, v10
	v_pk_add_f32 v[162:163], v[162:163], v[22:23] neg_lo:[0,1] neg_hi:[0,1]
	s_delay_alu instid0(VALU_DEP_2) | instskip(NEXT) | instid1(VALU_DEP_1)
	v_pk_fma_f32 v[14:15], v[14:15], v[138:139], v[20:21] op_sel_hi:[1,1,0]
	v_mov_b32_e32 v19, v15
	s_delay_alu instid0(VALU_DEP_1) | instskip(SKIP_3) | instid1(VALU_DEP_1)
	v_pk_add_f32 v[158:159], v[158:159], v[18:19] neg_lo:[0,1] neg_hi:[0,1]
	ds_load_2addr_b64 v[18:21], v56 offset0:40 offset1:41
	s_wait_dscnt 0x0
	v_pk_mul_f32 v[14:15], v[18:19], v[12:13] op_sel:[0,1]
	v_pk_fma_f32 v[22:23], v[18:19], v[10:11], v[14:15] op_sel:[0,0,1] op_sel_hi:[1,1,0] neg_lo:[0,0,1] neg_hi:[0,0,1]
	v_pk_fma_f32 v[14:15], v[18:19], v[10:11], v[14:15] op_sel:[0,0,1] op_sel_hi:[1,0,0]
	s_delay_alu instid0(VALU_DEP_1) | instskip(SKIP_1) | instid1(VALU_DEP_1)
	v_mov_b32_e32 v23, v15
	v_pk_mul_f32 v[14:15], v[20:21], v[12:13] op_sel:[0,1]
	v_pk_fma_f32 v[18:19], v[20:21], v[10:11], v[14:15] op_sel:[0,0,1] op_sel_hi:[1,1,0] neg_lo:[0,0,1] neg_hi:[0,0,1]
	v_pk_fma_f32 v[14:15], v[20:21], v[10:11], v[14:15] op_sel:[0,0,1] op_sel_hi:[1,0,0]
	s_delay_alu instid0(VALU_DEP_1) | instskip(SKIP_1) | instid1(VALU_DEP_2)
	v_mov_b32_e32 v19, v15
	v_pk_add_f32 v[188:189], v[188:189], v[22:23] neg_lo:[0,1] neg_hi:[0,1]
	v_pk_add_f32 v[182:183], v[182:183], v[18:19] neg_lo:[0,1] neg_hi:[0,1]
	ds_load_2addr_b64 v[18:21], v56 offset0:42 offset1:43
	s_wait_dscnt 0x0
	v_pk_mul_f32 v[14:15], v[18:19], v[12:13] op_sel:[0,1]
	s_delay_alu instid0(VALU_DEP_1) | instskip(SKIP_1) | instid1(VALU_DEP_1)
	v_pk_fma_f32 v[22:23], v[18:19], v[10:11], v[14:15] op_sel:[0,0,1] op_sel_hi:[1,1,0] neg_lo:[0,0,1] neg_hi:[0,0,1]
	v_pk_fma_f32 v[14:15], v[18:19], v[10:11], v[14:15] op_sel:[0,0,1] op_sel_hi:[1,0,0]
	v_mov_b32_e32 v23, v15
	v_pk_mul_f32 v[14:15], v[20:21], v[12:13] op_sel:[0,1]
	s_delay_alu instid0(VALU_DEP_1) | instskip(SKIP_1) | instid1(VALU_DEP_1)
	v_pk_fma_f32 v[18:19], v[20:21], v[10:11], v[14:15] op_sel:[0,0,1] op_sel_hi:[1,1,0] neg_lo:[0,0,1] neg_hi:[0,0,1]
	v_pk_fma_f32 v[14:15], v[20:21], v[10:11], v[14:15] op_sel:[0,0,1] op_sel_hi:[1,0,0]
	v_mov_b32_e32 v19, v15
	v_pk_add_f32 v[186:187], v[186:187], v[22:23] neg_lo:[0,1] neg_hi:[0,1]
	s_delay_alu instid0(VALU_DEP_2) | instskip(SKIP_3) | instid1(VALU_DEP_1)
	v_pk_add_f32 v[180:181], v[180:181], v[18:19] neg_lo:[0,1] neg_hi:[0,1]
	ds_load_2addr_b64 v[18:21], v56 offset0:44 offset1:45
	s_wait_dscnt 0x0
	v_dual_mul_f32 v14, v19, v13 :: v_dual_mul_f32 v22, v19, v10
	v_pk_fma_f32 v[14:15], v[18:19], v[138:139], v[14:15] op_sel_hi:[1,1,0] neg_lo:[0,0,1] neg_hi:[0,0,1]
	s_delay_alu instid0(VALU_DEP_2) | instskip(NEXT) | instid1(VALU_DEP_1)
	v_pk_fma_f32 v[18:19], v[18:19], v[138:139], v[22:23] op_sel:[1,0,0] op_sel_hi:[0,1,0]
	v_mov_b32_e32 v15, v19
	s_delay_alu instid0(VALU_DEP_1) | instskip(SKIP_1) | instid1(VALU_DEP_1)
	v_pk_add_f32 v[184:185], v[184:185], v[14:15] neg_lo:[0,1] neg_hi:[0,1]
	v_pk_mul_f32 v[14:15], v[20:21], v[12:13] op_sel:[0,1]
	v_pk_fma_f32 v[18:19], v[20:21], v[10:11], v[14:15] op_sel:[0,0,1] op_sel_hi:[1,1,0] neg_lo:[0,0,1] neg_hi:[0,0,1]
	v_pk_fma_f32 v[14:15], v[20:21], v[10:11], v[14:15] op_sel:[0,0,1] op_sel_hi:[1,0,0]
	s_delay_alu instid0(VALU_DEP_1) | instskip(NEXT) | instid1(VALU_DEP_1)
	v_mov_b32_e32 v19, v15
	v_pk_add_f32 v[178:179], v[178:179], v[18:19] neg_lo:[0,1] neg_hi:[0,1]
	ds_load_2addr_b64 v[18:21], v56 offset0:46 offset1:47
	s_wait_dscnt 0x0
	v_pk_mul_f32 v[14:15], v[18:19], v[12:13] op_sel:[0,1]
	v_mul_f32_e32 v12, v21, v13
	s_delay_alu instid0(VALU_DEP_2) | instskip(SKIP_2) | instid1(VALU_DEP_4)
	v_pk_fma_f32 v[22:23], v[18:19], v[10:11], v[14:15] op_sel:[0,0,1] op_sel_hi:[1,1,0] neg_lo:[0,0,1] neg_hi:[0,0,1]
	v_pk_fma_f32 v[14:15], v[18:19], v[10:11], v[14:15] op_sel:[0,0,1] op_sel_hi:[1,0,0]
	v_dual_mov_b32 v14, v21 :: v_dual_mul_f32 v10, v21, v10
	v_pk_fma_f32 v[12:13], v[20:21], v[138:139], v[12:13] op_sel_hi:[1,1,0] neg_lo:[0,0,1] neg_hi:[0,0,1]
	s_delay_alu instid0(VALU_DEP_3) | instskip(NEXT) | instid1(VALU_DEP_1)
	v_dual_mov_b32 v23, v15 :: v_dual_mov_b32 v15, v20
	v_pk_add_f32 v[190:191], v[190:191], v[22:23] neg_lo:[0,1] neg_hi:[0,1]
	s_delay_alu instid0(VALU_DEP_2) | instskip(NEXT) | instid1(VALU_DEP_1)
	v_pk_fma_f32 v[10:11], v[14:15], v[138:139], v[10:11] op_sel_hi:[1,1,0]
	v_mov_b32_e32 v13, v11
	s_delay_alu instid0(VALU_DEP_1)
	v_pk_add_f32 v[192:193], v[192:193], v[12:13] neg_lo:[0,1] neg_hi:[0,1]
.LBB95_325:
	s_or_b32 exec_lo, exec_lo, s1
	s_delay_alu instid0(SALU_CYCLE_1)
	s_mov_b32 s2, exec_lo
	s_wait_dscnt 0x0
	s_barrier_signal -1
	s_barrier_wait -1
	v_cmpx_eq_u32_e32 36, v54
	s_cbranch_execz .LBB95_332
; %bb.326:
	ds_store_b64 v55, v[164:165]
	ds_store_2addr_b64 v56, v[160:161], v[162:163] offset0:37 offset1:38
	ds_store_2addr_b64 v56, v[158:159], v[188:189] offset0:39 offset1:40
	;; [unrolled: 1-line block ×5, first 2 shown]
	ds_store_b64 v56, v[192:193] offset:376
	ds_load_b64 v[10:11], v55
	s_wait_dscnt 0x0
	v_cmp_neq_f32_e32 vcc_lo, 0, v10
	v_cmp_neq_f32_e64 s1, 0, v11
	s_or_b32 s1, vcc_lo, s1
	s_delay_alu instid0(SALU_CYCLE_1)
	s_and_b32 exec_lo, exec_lo, s1
	s_cbranch_execz .LBB95_332
; %bb.327:
	v_cmp_ngt_f32_e64 s1, |v10|, |v11|
                                        ; implicit-def: $vgpr12_vgpr13
	s_and_saveexec_b32 s4, s1
	s_delay_alu instid0(SALU_CYCLE_1)
	s_xor_b32 s1, exec_lo, s4
	s_cbranch_execz .LBB95_329
; %bb.328:
	v_div_scale_f32 v12, null, v11, v11, v10
	v_div_scale_f32 v15, vcc_lo, v10, v11, v10
	s_delay_alu instid0(VALU_DEP_2) | instskip(SKIP_1) | instid1(TRANS32_DEP_1)
	v_rcp_f32_e32 v13, v12
	v_nop
	v_fma_f32 v14, -v12, v13, 1.0
	s_delay_alu instid0(VALU_DEP_1) | instskip(NEXT) | instid1(VALU_DEP_1)
	v_fmac_f32_e32 v13, v14, v13
	v_mul_f32_e32 v14, v15, v13
	s_delay_alu instid0(VALU_DEP_1) | instskip(NEXT) | instid1(VALU_DEP_1)
	v_fma_f32 v18, -v12, v14, v15
	v_fmac_f32_e32 v14, v18, v13
	s_delay_alu instid0(VALU_DEP_1) | instskip(NEXT) | instid1(VALU_DEP_1)
	v_fma_f32 v12, -v12, v14, v15
	v_div_fmas_f32 v12, v12, v13, v14
	s_delay_alu instid0(VALU_DEP_1) | instskip(NEXT) | instid1(VALU_DEP_1)
	v_div_fixup_f32 v12, v12, v11, v10
	v_fmac_f32_e32 v11, v10, v12
	s_delay_alu instid0(VALU_DEP_1) | instskip(SKIP_1) | instid1(VALU_DEP_2)
	v_div_scale_f32 v10, null, v11, v11, 1.0
	v_div_scale_f32 v15, vcc_lo, 1.0, v11, 1.0
	v_rcp_f32_e32 v13, v10
	v_nop
	s_delay_alu instid0(TRANS32_DEP_1) | instskip(NEXT) | instid1(VALU_DEP_1)
	v_fma_f32 v14, -v10, v13, 1.0
	v_fmac_f32_e32 v13, v14, v13
	s_delay_alu instid0(VALU_DEP_1) | instskip(NEXT) | instid1(VALU_DEP_1)
	v_mul_f32_e32 v14, v15, v13
	v_fma_f32 v18, -v10, v14, v15
	s_delay_alu instid0(VALU_DEP_1) | instskip(NEXT) | instid1(VALU_DEP_1)
	v_fmac_f32_e32 v14, v18, v13
	v_fma_f32 v10, -v10, v14, v15
	s_delay_alu instid0(VALU_DEP_1) | instskip(NEXT) | instid1(VALU_DEP_1)
	v_div_fmas_f32 v10, v10, v13, v14
	v_div_fixup_f32 v10, v10, v11, 1.0
	s_delay_alu instid0(VALU_DEP_1)
	v_mul_f32_e32 v12, v12, v10
	v_xor_b32_e32 v13, 0x80000000, v10
                                        ; implicit-def: $vgpr10_vgpr11
.LBB95_329:
	s_and_not1_saveexec_b32 s1, s1
	s_cbranch_execz .LBB95_331
; %bb.330:
	v_div_scale_f32 v12, null, v10, v10, v11
	v_div_scale_f32 v15, vcc_lo, v11, v10, v11
	s_delay_alu instid0(VALU_DEP_2) | instskip(SKIP_1) | instid1(TRANS32_DEP_1)
	v_rcp_f32_e32 v13, v12
	v_nop
	v_fma_f32 v14, -v12, v13, 1.0
	s_delay_alu instid0(VALU_DEP_1) | instskip(NEXT) | instid1(VALU_DEP_1)
	v_fmac_f32_e32 v13, v14, v13
	v_mul_f32_e32 v14, v15, v13
	s_delay_alu instid0(VALU_DEP_1) | instskip(NEXT) | instid1(VALU_DEP_1)
	v_fma_f32 v18, -v12, v14, v15
	v_fmac_f32_e32 v14, v18, v13
	s_delay_alu instid0(VALU_DEP_1) | instskip(NEXT) | instid1(VALU_DEP_1)
	v_fma_f32 v12, -v12, v14, v15
	v_div_fmas_f32 v12, v12, v13, v14
	s_delay_alu instid0(VALU_DEP_1) | instskip(NEXT) | instid1(VALU_DEP_1)
	v_div_fixup_f32 v13, v12, v10, v11
	v_fmac_f32_e32 v10, v11, v13
	s_delay_alu instid0(VALU_DEP_1) | instskip(NEXT) | instid1(VALU_DEP_1)
	v_div_scale_f32 v11, null, v10, v10, 1.0
	v_rcp_f32_e32 v12, v11
	v_nop
	s_delay_alu instid0(TRANS32_DEP_1) | instskip(NEXT) | instid1(VALU_DEP_1)
	v_fma_f32 v14, -v11, v12, 1.0
	v_fmac_f32_e32 v12, v14, v12
	v_div_scale_f32 v14, vcc_lo, 1.0, v10, 1.0
	s_delay_alu instid0(VALU_DEP_1) | instskip(NEXT) | instid1(VALU_DEP_1)
	v_mul_f32_e32 v15, v14, v12
	v_fma_f32 v18, -v11, v15, v14
	s_delay_alu instid0(VALU_DEP_1) | instskip(NEXT) | instid1(VALU_DEP_1)
	v_fmac_f32_e32 v15, v18, v12
	v_fma_f32 v11, -v11, v15, v14
	s_delay_alu instid0(VALU_DEP_1) | instskip(NEXT) | instid1(VALU_DEP_1)
	v_div_fmas_f32 v11, v11, v12, v15
	v_div_fixup_f32 v12, v11, v10, 1.0
	s_delay_alu instid0(VALU_DEP_1)
	v_mul_f32_e64 v13, v13, -v12
.LBB95_331:
	s_or_b32 exec_lo, exec_lo, s1
	ds_store_b64 v55, v[12:13]
.LBB95_332:
	s_or_b32 exec_lo, exec_lo, s2
	s_wait_dscnt 0x0
	s_barrier_signal -1
	s_barrier_wait -1
	ds_load_b64 v[10:11], v55
	s_mov_b32 s1, exec_lo
	v_cmpx_lt_u32_e32 36, v54
	s_cbranch_execz .LBB95_334
; %bb.333:
	ds_load_2addr_b64 v[18:21], v56 offset0:37 offset1:38
	s_wait_dscnt 0x1
	v_pk_mul_f32 v[14:15], v[10:11], v[164:165] op_sel:[1,1] op_sel_hi:[0,1]
	s_delay_alu instid0(VALU_DEP_1) | instskip(SKIP_1) | instid1(VALU_DEP_1)
	v_pk_fma_f32 v[12:13], v[10:11], v[164:165], v[14:15] op_sel_hi:[1,0,1] neg_lo:[0,0,1] neg_hi:[0,0,1]
	v_pk_fma_f32 v[14:15], v[10:11], v[164:165], v[14:15] op_sel_hi:[1,0,1]
	v_dual_mov_b32 v164, v12 :: v_dual_mov_b32 v165, v15
	s_wait_dscnt 0x0
	s_delay_alu instid0(VALU_DEP_2) | instskip(NEXT) | instid1(VALU_DEP_1)
	v_pk_mul_f32 v[22:23], v[18:19], v[14:15] op_sel:[0,1]
	v_pk_fma_f32 v[24:25], v[18:19], v[12:13], v[22:23] op_sel:[0,0,1] op_sel_hi:[1,1,0] neg_lo:[0,0,1] neg_hi:[0,0,1]
	v_pk_fma_f32 v[18:19], v[18:19], v[12:13], v[22:23] op_sel:[0,0,1] op_sel_hi:[1,0,0]
	s_delay_alu instid0(VALU_DEP_1) | instskip(SKIP_1) | instid1(VALU_DEP_1)
	v_mov_b32_e32 v25, v19
	v_pk_mul_f32 v[18:19], v[20:21], v[14:15] op_sel:[0,1]
	v_pk_fma_f32 v[22:23], v[20:21], v[12:13], v[18:19] op_sel:[0,0,1] op_sel_hi:[1,1,0] neg_lo:[0,0,1] neg_hi:[0,0,1]
	v_pk_fma_f32 v[18:19], v[20:21], v[12:13], v[18:19] op_sel:[0,0,1] op_sel_hi:[1,0,0]
	s_delay_alu instid0(VALU_DEP_1)
	v_mov_b32_e32 v23, v19
	ds_load_2addr_b64 v[18:21], v56 offset0:39 offset1:40
	v_pk_add_f32 v[160:161], v[160:161], v[24:25] neg_lo:[0,1] neg_hi:[0,1]
	v_pk_add_f32 v[162:163], v[162:163], v[22:23] neg_lo:[0,1] neg_hi:[0,1]
	s_wait_dscnt 0x0
	v_pk_mul_f32 v[22:23], v[18:19], v[14:15] op_sel:[0,1]
	s_delay_alu instid0(VALU_DEP_1) | instskip(SKIP_2) | instid1(VALU_DEP_2)
	v_pk_fma_f32 v[24:25], v[18:19], v[12:13], v[22:23] op_sel:[0,0,1] op_sel_hi:[1,1,0] neg_lo:[0,0,1] neg_hi:[0,0,1]
	v_pk_fma_f32 v[18:19], v[18:19], v[12:13], v[22:23] op_sel:[0,0,1] op_sel_hi:[1,0,0]
	v_dual_mul_f32 v22, v21, v15 :: v_dual_mov_b32 v18, v21
	v_dual_mov_b32 v25, v19 :: v_dual_mov_b32 v19, v20
	s_delay_alu instid0(VALU_DEP_2) | instskip(SKIP_1) | instid1(VALU_DEP_3)
	v_pk_fma_f32 v[22:23], v[20:21], v[164:165], v[22:23] op_sel_hi:[1,1,0] neg_lo:[0,0,1] neg_hi:[0,0,1]
	v_mul_f32_e32 v20, v21, v12
	v_pk_add_f32 v[158:159], v[158:159], v[24:25] neg_lo:[0,1] neg_hi:[0,1]
	s_delay_alu instid0(VALU_DEP_2) | instskip(NEXT) | instid1(VALU_DEP_1)
	v_pk_fma_f32 v[18:19], v[18:19], v[164:165], v[20:21] op_sel_hi:[1,1,0]
	v_mov_b32_e32 v23, v19
	ds_load_2addr_b64 v[18:21], v56 offset0:41 offset1:42
	v_pk_add_f32 v[188:189], v[188:189], v[22:23] neg_lo:[0,1] neg_hi:[0,1]
	s_wait_dscnt 0x0
	v_pk_mul_f32 v[22:23], v[18:19], v[14:15] op_sel:[0,1]
	s_delay_alu instid0(VALU_DEP_1) | instskip(SKIP_1) | instid1(VALU_DEP_1)
	v_pk_fma_f32 v[24:25], v[18:19], v[12:13], v[22:23] op_sel:[0,0,1] op_sel_hi:[1,1,0] neg_lo:[0,0,1] neg_hi:[0,0,1]
	v_pk_fma_f32 v[18:19], v[18:19], v[12:13], v[22:23] op_sel:[0,0,1] op_sel_hi:[1,0,0]
	v_mov_b32_e32 v25, v19
	v_pk_mul_f32 v[18:19], v[20:21], v[14:15] op_sel:[0,1]
	s_delay_alu instid0(VALU_DEP_1) | instskip(SKIP_1) | instid1(VALU_DEP_1)
	v_pk_fma_f32 v[22:23], v[20:21], v[12:13], v[18:19] op_sel:[0,0,1] op_sel_hi:[1,1,0] neg_lo:[0,0,1] neg_hi:[0,0,1]
	v_pk_fma_f32 v[18:19], v[20:21], v[12:13], v[18:19] op_sel:[0,0,1] op_sel_hi:[1,0,0]
	v_mov_b32_e32 v23, v19
	ds_load_2addr_b64 v[18:21], v56 offset0:43 offset1:44
	v_pk_add_f32 v[182:183], v[182:183], v[24:25] neg_lo:[0,1] neg_hi:[0,1]
	v_pk_add_f32 v[186:187], v[186:187], v[22:23] neg_lo:[0,1] neg_hi:[0,1]
	s_wait_dscnt 0x0
	v_pk_mul_f32 v[22:23], v[18:19], v[14:15] op_sel:[0,1]
	s_delay_alu instid0(VALU_DEP_1) | instskip(SKIP_1) | instid1(VALU_DEP_1)
	v_pk_fma_f32 v[24:25], v[18:19], v[12:13], v[22:23] op_sel:[0,0,1] op_sel_hi:[1,1,0] neg_lo:[0,0,1] neg_hi:[0,0,1]
	v_pk_fma_f32 v[18:19], v[18:19], v[12:13], v[22:23] op_sel:[0,0,1] op_sel_hi:[1,0,0]
	v_mov_b32_e32 v25, v19
	v_pk_mul_f32 v[18:19], v[20:21], v[14:15] op_sel:[0,1]
	s_delay_alu instid0(VALU_DEP_1) | instskip(SKIP_1) | instid1(VALU_DEP_1)
	v_pk_fma_f32 v[22:23], v[20:21], v[12:13], v[18:19] op_sel:[0,0,1] op_sel_hi:[1,1,0] neg_lo:[0,0,1] neg_hi:[0,0,1]
	v_pk_fma_f32 v[18:19], v[20:21], v[12:13], v[18:19] op_sel:[0,0,1] op_sel_hi:[1,0,0]
	v_mov_b32_e32 v23, v19
	ds_load_2addr_b64 v[18:21], v56 offset0:45 offset1:46
	v_pk_add_f32 v[180:181], v[180:181], v[24:25] neg_lo:[0,1] neg_hi:[0,1]
	v_pk_add_f32 v[184:185], v[184:185], v[22:23] neg_lo:[0,1] neg_hi:[0,1]
	s_wait_dscnt 0x0
	v_dual_mul_f32 v22, v19, v15 :: v_dual_mul_f32 v24, v19, v12
	s_delay_alu instid0(VALU_DEP_1) | instskip(NEXT) | instid1(VALU_DEP_2)
	v_pk_fma_f32 v[22:23], v[18:19], v[164:165], v[22:23] op_sel_hi:[1,1,0] neg_lo:[0,0,1] neg_hi:[0,0,1]
	v_pk_fma_f32 v[18:19], v[18:19], v[164:165], v[24:25] op_sel:[1,0,0] op_sel_hi:[0,1,0]
	s_delay_alu instid0(VALU_DEP_1) | instskip(SKIP_1) | instid1(VALU_DEP_2)
	v_mov_b32_e32 v23, v19
	v_pk_mul_f32 v[18:19], v[20:21], v[14:15] op_sel:[0,1]
	v_pk_add_f32 v[178:179], v[178:179], v[22:23] neg_lo:[0,1] neg_hi:[0,1]
	s_delay_alu instid0(VALU_DEP_2) | instskip(SKIP_1) | instid1(VALU_DEP_1)
	v_pk_fma_f32 v[22:23], v[20:21], v[12:13], v[18:19] op_sel:[0,0,1] op_sel_hi:[1,1,0] neg_lo:[0,0,1] neg_hi:[0,0,1]
	v_pk_fma_f32 v[18:19], v[20:21], v[12:13], v[18:19] op_sel:[0,0,1] op_sel_hi:[1,0,0]
	v_mov_b32_e32 v23, v19
	ds_load_b64 v[18:19], v56 offset:376
	v_pk_add_f32 v[190:191], v[190:191], v[22:23] neg_lo:[0,1] neg_hi:[0,1]
	s_wait_dscnt 0x0
	v_pk_mul_f32 v[14:15], v[18:19], v[14:15] op_sel:[0,1]
	s_delay_alu instid0(VALU_DEP_1) | instskip(SKIP_1) | instid1(VALU_DEP_1)
	v_pk_fma_f32 v[20:21], v[18:19], v[12:13], v[14:15] op_sel:[0,0,1] op_sel_hi:[1,1,0] neg_lo:[0,0,1] neg_hi:[0,0,1]
	v_pk_fma_f32 v[12:13], v[18:19], v[12:13], v[14:15] op_sel:[0,0,1] op_sel_hi:[1,0,0]
	v_mov_b32_e32 v21, v13
	s_delay_alu instid0(VALU_DEP_1)
	v_pk_add_f32 v[192:193], v[192:193], v[20:21] neg_lo:[0,1] neg_hi:[0,1]
.LBB95_334:
	s_or_b32 exec_lo, exec_lo, s1
	s_delay_alu instid0(SALU_CYCLE_1)
	s_mov_b32 s2, exec_lo
	s_wait_dscnt 0x0
	s_barrier_signal -1
	s_barrier_wait -1
	v_cmpx_eq_u32_e32 37, v54
	s_cbranch_execz .LBB95_341
; %bb.335:
	v_dual_mov_b32 v12, v162 :: v_dual_mov_b32 v13, v163
	v_dual_mov_b32 v14, v158 :: v_dual_mov_b32 v15, v159
	ds_store_b64 v55, v[160:161]
	ds_store_2addr_b64 v56, v[12:13], v[14:15] offset0:38 offset1:39
	v_dual_mov_b32 v12, v188 :: v_dual_mov_b32 v13, v189
	v_dual_mov_b32 v14, v182 :: v_dual_mov_b32 v15, v183
	ds_store_2addr_b64 v56, v[12:13], v[14:15] offset0:40 offset1:41
	v_dual_mov_b32 v12, v186 :: v_dual_mov_b32 v13, v187
	v_dual_mov_b32 v14, v180 :: v_dual_mov_b32 v15, v181
	;; [unrolled: 3-line block ×3, first 2 shown]
	ds_store_2addr_b64 v56, v[12:13], v[14:15] offset0:44 offset1:45
	v_dual_mov_b32 v12, v190 :: v_dual_mov_b32 v13, v191
	ds_store_2addr_b64 v56, v[12:13], v[192:193] offset0:46 offset1:47
	ds_load_b64 v[12:13], v55
	s_wait_dscnt 0x0
	v_cmp_neq_f32_e32 vcc_lo, 0, v12
	v_cmp_neq_f32_e64 s1, 0, v13
	s_or_b32 s1, vcc_lo, s1
	s_delay_alu instid0(SALU_CYCLE_1)
	s_and_b32 exec_lo, exec_lo, s1
	s_cbranch_execz .LBB95_341
; %bb.336:
	v_cmp_ngt_f32_e64 s1, |v12|, |v13|
                                        ; implicit-def: $vgpr14_vgpr15
	s_and_saveexec_b32 s4, s1
	s_delay_alu instid0(SALU_CYCLE_1)
	s_xor_b32 s1, exec_lo, s4
	s_cbranch_execz .LBB95_338
; %bb.337:
	v_div_scale_f32 v14, null, v13, v13, v12
	v_div_scale_f32 v19, vcc_lo, v12, v13, v12
	s_delay_alu instid0(VALU_DEP_2) | instskip(SKIP_1) | instid1(TRANS32_DEP_1)
	v_rcp_f32_e32 v15, v14
	v_nop
	v_fma_f32 v18, -v14, v15, 1.0
	s_delay_alu instid0(VALU_DEP_1) | instskip(NEXT) | instid1(VALU_DEP_1)
	v_fmac_f32_e32 v15, v18, v15
	v_mul_f32_e32 v18, v19, v15
	s_delay_alu instid0(VALU_DEP_1) | instskip(NEXT) | instid1(VALU_DEP_1)
	v_fma_f32 v20, -v14, v18, v19
	v_fmac_f32_e32 v18, v20, v15
	s_delay_alu instid0(VALU_DEP_1) | instskip(NEXT) | instid1(VALU_DEP_1)
	v_fma_f32 v14, -v14, v18, v19
	v_div_fmas_f32 v14, v14, v15, v18
	s_delay_alu instid0(VALU_DEP_1) | instskip(NEXT) | instid1(VALU_DEP_1)
	v_div_fixup_f32 v14, v14, v13, v12
	v_fmac_f32_e32 v13, v12, v14
	s_delay_alu instid0(VALU_DEP_1) | instskip(SKIP_1) | instid1(VALU_DEP_2)
	v_div_scale_f32 v12, null, v13, v13, 1.0
	v_div_scale_f32 v19, vcc_lo, 1.0, v13, 1.0
	v_rcp_f32_e32 v15, v12
	v_nop
	s_delay_alu instid0(TRANS32_DEP_1) | instskip(NEXT) | instid1(VALU_DEP_1)
	v_fma_f32 v18, -v12, v15, 1.0
	v_fmac_f32_e32 v15, v18, v15
	s_delay_alu instid0(VALU_DEP_1) | instskip(NEXT) | instid1(VALU_DEP_1)
	v_mul_f32_e32 v18, v19, v15
	v_fma_f32 v20, -v12, v18, v19
	s_delay_alu instid0(VALU_DEP_1) | instskip(NEXT) | instid1(VALU_DEP_1)
	v_fmac_f32_e32 v18, v20, v15
	v_fma_f32 v12, -v12, v18, v19
	s_delay_alu instid0(VALU_DEP_1) | instskip(NEXT) | instid1(VALU_DEP_1)
	v_div_fmas_f32 v12, v12, v15, v18
	v_div_fixup_f32 v12, v12, v13, 1.0
	s_delay_alu instid0(VALU_DEP_1)
	v_mul_f32_e32 v14, v14, v12
	v_xor_b32_e32 v15, 0x80000000, v12
                                        ; implicit-def: $vgpr12_vgpr13
.LBB95_338:
	s_and_not1_saveexec_b32 s1, s1
	s_cbranch_execz .LBB95_340
; %bb.339:
	v_div_scale_f32 v14, null, v12, v12, v13
	v_div_scale_f32 v19, vcc_lo, v13, v12, v13
	s_delay_alu instid0(VALU_DEP_2) | instskip(SKIP_1) | instid1(TRANS32_DEP_1)
	v_rcp_f32_e32 v15, v14
	v_nop
	v_fma_f32 v18, -v14, v15, 1.0
	s_delay_alu instid0(VALU_DEP_1) | instskip(NEXT) | instid1(VALU_DEP_1)
	v_fmac_f32_e32 v15, v18, v15
	v_mul_f32_e32 v18, v19, v15
	s_delay_alu instid0(VALU_DEP_1) | instskip(NEXT) | instid1(VALU_DEP_1)
	v_fma_f32 v20, -v14, v18, v19
	v_fmac_f32_e32 v18, v20, v15
	s_delay_alu instid0(VALU_DEP_1) | instskip(NEXT) | instid1(VALU_DEP_1)
	v_fma_f32 v14, -v14, v18, v19
	v_div_fmas_f32 v14, v14, v15, v18
	s_delay_alu instid0(VALU_DEP_1) | instskip(NEXT) | instid1(VALU_DEP_1)
	v_div_fixup_f32 v15, v14, v12, v13
	v_fmac_f32_e32 v12, v13, v15
	s_delay_alu instid0(VALU_DEP_1) | instskip(NEXT) | instid1(VALU_DEP_1)
	v_div_scale_f32 v13, null, v12, v12, 1.0
	v_rcp_f32_e32 v14, v13
	v_nop
	s_delay_alu instid0(TRANS32_DEP_1) | instskip(NEXT) | instid1(VALU_DEP_1)
	v_fma_f32 v18, -v13, v14, 1.0
	v_fmac_f32_e32 v14, v18, v14
	v_div_scale_f32 v18, vcc_lo, 1.0, v12, 1.0
	s_delay_alu instid0(VALU_DEP_1) | instskip(NEXT) | instid1(VALU_DEP_1)
	v_mul_f32_e32 v19, v18, v14
	v_fma_f32 v20, -v13, v19, v18
	s_delay_alu instid0(VALU_DEP_1) | instskip(NEXT) | instid1(VALU_DEP_1)
	v_fmac_f32_e32 v19, v20, v14
	v_fma_f32 v13, -v13, v19, v18
	s_delay_alu instid0(VALU_DEP_1) | instskip(NEXT) | instid1(VALU_DEP_1)
	v_div_fmas_f32 v13, v13, v14, v19
	v_div_fixup_f32 v14, v13, v12, 1.0
	s_delay_alu instid0(VALU_DEP_1)
	v_mul_f32_e64 v15, v15, -v14
.LBB95_340:
	s_or_b32 exec_lo, exec_lo, s1
	ds_store_b64 v55, v[14:15]
.LBB95_341:
	s_or_b32 exec_lo, exec_lo, s2
	s_wait_dscnt 0x0
	s_barrier_signal -1
	s_barrier_wait -1
	ds_load_b64 v[12:13], v55
	s_mov_b32 s1, exec_lo
	v_cmpx_lt_u32_e32 37, v54
	s_cbranch_execz .LBB95_343
; %bb.342:
	ds_load_2addr_b64 v[20:23], v56 offset0:38 offset1:39
	s_wait_dscnt 0x1
	v_pk_mul_f32 v[18:19], v[12:13], v[160:161] op_sel:[1,1] op_sel_hi:[0,1]
	s_delay_alu instid0(VALU_DEP_1) | instskip(SKIP_1) | instid1(VALU_DEP_1)
	v_pk_fma_f32 v[14:15], v[12:13], v[160:161], v[18:19] op_sel_hi:[1,0,1] neg_lo:[0,0,1] neg_hi:[0,0,1]
	v_pk_fma_f32 v[18:19], v[12:13], v[160:161], v[18:19] op_sel_hi:[1,0,1]
	v_dual_mov_b32 v160, v14 :: v_dual_mov_b32 v161, v19
	s_wait_dscnt 0x0
	s_delay_alu instid0(VALU_DEP_2) | instskip(NEXT) | instid1(VALU_DEP_1)
	v_pk_mul_f32 v[24:25], v[20:21], v[18:19] op_sel:[0,1]
	v_pk_fma_f32 v[32:33], v[20:21], v[14:15], v[24:25] op_sel:[0,0,1] op_sel_hi:[1,1,0] neg_lo:[0,0,1] neg_hi:[0,0,1]
	v_pk_fma_f32 v[20:21], v[20:21], v[14:15], v[24:25] op_sel:[0,0,1] op_sel_hi:[1,0,0]
	s_delay_alu instid0(VALU_DEP_1) | instskip(SKIP_1) | instid1(VALU_DEP_1)
	v_mov_b32_e32 v33, v21
	v_pk_mul_f32 v[20:21], v[22:23], v[18:19] op_sel:[0,1]
	v_pk_fma_f32 v[24:25], v[22:23], v[14:15], v[20:21] op_sel:[0,0,1] op_sel_hi:[1,1,0] neg_lo:[0,0,1] neg_hi:[0,0,1]
	v_pk_fma_f32 v[20:21], v[22:23], v[14:15], v[20:21] op_sel:[0,0,1] op_sel_hi:[1,0,0]
	s_delay_alu instid0(VALU_DEP_1)
	v_mov_b32_e32 v25, v21
	ds_load_2addr_b64 v[20:23], v56 offset0:40 offset1:41
	v_pk_add_f32 v[162:163], v[162:163], v[32:33] neg_lo:[0,1] neg_hi:[0,1]
	v_pk_add_f32 v[158:159], v[158:159], v[24:25] neg_lo:[0,1] neg_hi:[0,1]
	s_wait_dscnt 0x0
	v_pk_mul_f32 v[24:25], v[20:21], v[18:19] op_sel:[0,1]
	s_delay_alu instid0(VALU_DEP_1) | instskip(SKIP_2) | instid1(VALU_DEP_2)
	v_pk_fma_f32 v[32:33], v[20:21], v[14:15], v[24:25] op_sel:[0,0,1] op_sel_hi:[1,1,0] neg_lo:[0,0,1] neg_hi:[0,0,1]
	v_pk_fma_f32 v[20:21], v[20:21], v[14:15], v[24:25] op_sel:[0,0,1] op_sel_hi:[1,0,0]
	v_dual_mul_f32 v24, v23, v19 :: v_dual_mov_b32 v20, v23
	v_dual_mov_b32 v33, v21 :: v_dual_mov_b32 v21, v22
	s_delay_alu instid0(VALU_DEP_2) | instskip(SKIP_1) | instid1(VALU_DEP_3)
	v_pk_fma_f32 v[24:25], v[22:23], v[160:161], v[24:25] op_sel_hi:[1,1,0] neg_lo:[0,0,1] neg_hi:[0,0,1]
	v_mul_f32_e32 v22, v23, v14
	v_pk_add_f32 v[188:189], v[188:189], v[32:33] neg_lo:[0,1] neg_hi:[0,1]
	s_delay_alu instid0(VALU_DEP_2) | instskip(NEXT) | instid1(VALU_DEP_1)
	v_pk_fma_f32 v[20:21], v[20:21], v[160:161], v[22:23] op_sel_hi:[1,1,0]
	v_mov_b32_e32 v25, v21
	ds_load_2addr_b64 v[20:23], v56 offset0:42 offset1:43
	v_pk_add_f32 v[182:183], v[182:183], v[24:25] neg_lo:[0,1] neg_hi:[0,1]
	s_wait_dscnt 0x0
	v_pk_mul_f32 v[24:25], v[20:21], v[18:19] op_sel:[0,1]
	s_delay_alu instid0(VALU_DEP_1) | instskip(SKIP_1) | instid1(VALU_DEP_1)
	v_pk_fma_f32 v[32:33], v[20:21], v[14:15], v[24:25] op_sel:[0,0,1] op_sel_hi:[1,1,0] neg_lo:[0,0,1] neg_hi:[0,0,1]
	v_pk_fma_f32 v[20:21], v[20:21], v[14:15], v[24:25] op_sel:[0,0,1] op_sel_hi:[1,0,0]
	v_mov_b32_e32 v33, v21
	v_pk_mul_f32 v[20:21], v[22:23], v[18:19] op_sel:[0,1]
	s_delay_alu instid0(VALU_DEP_1) | instskip(SKIP_1) | instid1(VALU_DEP_1)
	v_pk_fma_f32 v[24:25], v[22:23], v[14:15], v[20:21] op_sel:[0,0,1] op_sel_hi:[1,1,0] neg_lo:[0,0,1] neg_hi:[0,0,1]
	v_pk_fma_f32 v[20:21], v[22:23], v[14:15], v[20:21] op_sel:[0,0,1] op_sel_hi:[1,0,0]
	v_mov_b32_e32 v25, v21
	ds_load_2addr_b64 v[20:23], v56 offset0:44 offset1:45
	v_pk_add_f32 v[186:187], v[186:187], v[32:33] neg_lo:[0,1] neg_hi:[0,1]
	v_pk_add_f32 v[180:181], v[180:181], v[24:25] neg_lo:[0,1] neg_hi:[0,1]
	s_wait_dscnt 0x0
	v_pk_mul_f32 v[24:25], v[20:21], v[18:19] op_sel:[0,1]
	s_delay_alu instid0(VALU_DEP_1) | instskip(SKIP_1) | instid1(VALU_DEP_1)
	v_pk_fma_f32 v[32:33], v[20:21], v[14:15], v[24:25] op_sel:[0,0,1] op_sel_hi:[1,1,0] neg_lo:[0,0,1] neg_hi:[0,0,1]
	v_pk_fma_f32 v[20:21], v[20:21], v[14:15], v[24:25] op_sel:[0,0,1] op_sel_hi:[1,0,0]
	v_mov_b32_e32 v33, v21
	v_pk_mul_f32 v[20:21], v[22:23], v[18:19] op_sel:[0,1]
	s_delay_alu instid0(VALU_DEP_1) | instskip(SKIP_1) | instid1(VALU_DEP_1)
	v_pk_fma_f32 v[24:25], v[22:23], v[14:15], v[20:21] op_sel:[0,0,1] op_sel_hi:[1,1,0] neg_lo:[0,0,1] neg_hi:[0,0,1]
	v_pk_fma_f32 v[20:21], v[22:23], v[14:15], v[20:21] op_sel:[0,0,1] op_sel_hi:[1,0,0]
	v_mov_b32_e32 v25, v21
	ds_load_2addr_b64 v[20:23], v56 offset0:46 offset1:47
	v_pk_add_f32 v[184:185], v[184:185], v[32:33] neg_lo:[0,1] neg_hi:[0,1]
	v_pk_add_f32 v[178:179], v[178:179], v[24:25] neg_lo:[0,1] neg_hi:[0,1]
	s_wait_dscnt 0x0
	v_dual_mul_f32 v24, v21, v19 :: v_dual_mul_f32 v32, v21, v14
	v_pk_mul_f32 v[18:19], v[22:23], v[18:19] op_sel:[0,1]
	s_delay_alu instid0(VALU_DEP_2) | instskip(NEXT) | instid1(VALU_DEP_3)
	v_pk_fma_f32 v[24:25], v[20:21], v[160:161], v[24:25] op_sel_hi:[1,1,0] neg_lo:[0,0,1] neg_hi:[0,0,1]
	v_pk_fma_f32 v[20:21], v[20:21], v[160:161], v[32:33] op_sel:[1,0,0] op_sel_hi:[0,1,0]
	s_delay_alu instid0(VALU_DEP_1) | instskip(NEXT) | instid1(VALU_DEP_4)
	v_mov_b32_e32 v25, v21
	v_pk_fma_f32 v[20:21], v[22:23], v[14:15], v[18:19] op_sel:[0,0,1] op_sel_hi:[1,1,0] neg_lo:[0,0,1] neg_hi:[0,0,1]
	v_pk_fma_f32 v[14:15], v[22:23], v[14:15], v[18:19] op_sel:[0,0,1] op_sel_hi:[1,0,0]
	s_delay_alu instid0(VALU_DEP_1) | instskip(NEXT) | instid1(VALU_DEP_4)
	v_mov_b32_e32 v21, v15
	v_pk_add_f32 v[190:191], v[190:191], v[24:25] neg_lo:[0,1] neg_hi:[0,1]
	s_delay_alu instid0(VALU_DEP_2)
	v_pk_add_f32 v[192:193], v[192:193], v[20:21] neg_lo:[0,1] neg_hi:[0,1]
.LBB95_343:
	s_or_b32 exec_lo, exec_lo, s1
	s_delay_alu instid0(SALU_CYCLE_1)
	s_mov_b32 s2, exec_lo
	s_wait_dscnt 0x0
	s_barrier_signal -1
	s_barrier_wait -1
	v_cmpx_eq_u32_e32 38, v54
	s_cbranch_execz .LBB95_350
; %bb.344:
	ds_store_b64 v55, v[162:163]
	ds_store_2addr_b64 v56, v[158:159], v[188:189] offset0:39 offset1:40
	ds_store_2addr_b64 v56, v[182:183], v[186:187] offset0:41 offset1:42
	;; [unrolled: 1-line block ×4, first 2 shown]
	ds_store_b64 v56, v[192:193] offset:376
	ds_load_b64 v[14:15], v55
	s_wait_dscnt 0x0
	v_cmp_neq_f32_e32 vcc_lo, 0, v14
	v_cmp_neq_f32_e64 s1, 0, v15
	s_or_b32 s1, vcc_lo, s1
	s_delay_alu instid0(SALU_CYCLE_1)
	s_and_b32 exec_lo, exec_lo, s1
	s_cbranch_execz .LBB95_350
; %bb.345:
	v_cmp_ngt_f32_e64 s1, |v14|, |v15|
                                        ; implicit-def: $vgpr18_vgpr19
	s_and_saveexec_b32 s4, s1
	s_delay_alu instid0(SALU_CYCLE_1)
	s_xor_b32 s1, exec_lo, s4
	s_cbranch_execz .LBB95_347
; %bb.346:
	v_div_scale_f32 v18, null, v15, v15, v14
	v_div_scale_f32 v21, vcc_lo, v14, v15, v14
	s_delay_alu instid0(VALU_DEP_2) | instskip(SKIP_1) | instid1(TRANS32_DEP_1)
	v_rcp_f32_e32 v19, v18
	v_nop
	v_fma_f32 v20, -v18, v19, 1.0
	s_delay_alu instid0(VALU_DEP_1) | instskip(NEXT) | instid1(VALU_DEP_1)
	v_fmac_f32_e32 v19, v20, v19
	v_mul_f32_e32 v20, v21, v19
	s_delay_alu instid0(VALU_DEP_1) | instskip(NEXT) | instid1(VALU_DEP_1)
	v_fma_f32 v22, -v18, v20, v21
	v_fmac_f32_e32 v20, v22, v19
	s_delay_alu instid0(VALU_DEP_1) | instskip(NEXT) | instid1(VALU_DEP_1)
	v_fma_f32 v18, -v18, v20, v21
	v_div_fmas_f32 v18, v18, v19, v20
	s_delay_alu instid0(VALU_DEP_1) | instskip(NEXT) | instid1(VALU_DEP_1)
	v_div_fixup_f32 v18, v18, v15, v14
	v_fmac_f32_e32 v15, v14, v18
	s_delay_alu instid0(VALU_DEP_1) | instskip(SKIP_1) | instid1(VALU_DEP_2)
	v_div_scale_f32 v14, null, v15, v15, 1.0
	v_div_scale_f32 v21, vcc_lo, 1.0, v15, 1.0
	v_rcp_f32_e32 v19, v14
	v_nop
	s_delay_alu instid0(TRANS32_DEP_1) | instskip(NEXT) | instid1(VALU_DEP_1)
	v_fma_f32 v20, -v14, v19, 1.0
	v_fmac_f32_e32 v19, v20, v19
	s_delay_alu instid0(VALU_DEP_1) | instskip(NEXT) | instid1(VALU_DEP_1)
	v_mul_f32_e32 v20, v21, v19
	v_fma_f32 v22, -v14, v20, v21
	s_delay_alu instid0(VALU_DEP_1) | instskip(NEXT) | instid1(VALU_DEP_1)
	v_fmac_f32_e32 v20, v22, v19
	v_fma_f32 v14, -v14, v20, v21
	s_delay_alu instid0(VALU_DEP_1) | instskip(NEXT) | instid1(VALU_DEP_1)
	v_div_fmas_f32 v14, v14, v19, v20
	v_div_fixup_f32 v14, v14, v15, 1.0
	s_delay_alu instid0(VALU_DEP_1)
	v_mul_f32_e32 v18, v18, v14
	v_xor_b32_e32 v19, 0x80000000, v14
                                        ; implicit-def: $vgpr14_vgpr15
.LBB95_347:
	s_and_not1_saveexec_b32 s1, s1
	s_cbranch_execz .LBB95_349
; %bb.348:
	v_div_scale_f32 v18, null, v14, v14, v15
	v_div_scale_f32 v21, vcc_lo, v15, v14, v15
	s_delay_alu instid0(VALU_DEP_2) | instskip(SKIP_1) | instid1(TRANS32_DEP_1)
	v_rcp_f32_e32 v19, v18
	v_nop
	v_fma_f32 v20, -v18, v19, 1.0
	s_delay_alu instid0(VALU_DEP_1) | instskip(NEXT) | instid1(VALU_DEP_1)
	v_fmac_f32_e32 v19, v20, v19
	v_mul_f32_e32 v20, v21, v19
	s_delay_alu instid0(VALU_DEP_1) | instskip(NEXT) | instid1(VALU_DEP_1)
	v_fma_f32 v22, -v18, v20, v21
	v_fmac_f32_e32 v20, v22, v19
	s_delay_alu instid0(VALU_DEP_1) | instskip(NEXT) | instid1(VALU_DEP_1)
	v_fma_f32 v18, -v18, v20, v21
	v_div_fmas_f32 v18, v18, v19, v20
	s_delay_alu instid0(VALU_DEP_1) | instskip(NEXT) | instid1(VALU_DEP_1)
	v_div_fixup_f32 v19, v18, v14, v15
	v_fmac_f32_e32 v14, v15, v19
	s_delay_alu instid0(VALU_DEP_1) | instskip(NEXT) | instid1(VALU_DEP_1)
	v_div_scale_f32 v15, null, v14, v14, 1.0
	v_rcp_f32_e32 v18, v15
	v_nop
	s_delay_alu instid0(TRANS32_DEP_1) | instskip(NEXT) | instid1(VALU_DEP_1)
	v_fma_f32 v20, -v15, v18, 1.0
	v_fmac_f32_e32 v18, v20, v18
	v_div_scale_f32 v20, vcc_lo, 1.0, v14, 1.0
	s_delay_alu instid0(VALU_DEP_1) | instskip(NEXT) | instid1(VALU_DEP_1)
	v_mul_f32_e32 v21, v20, v18
	v_fma_f32 v22, -v15, v21, v20
	s_delay_alu instid0(VALU_DEP_1) | instskip(NEXT) | instid1(VALU_DEP_1)
	v_fmac_f32_e32 v21, v22, v18
	v_fma_f32 v15, -v15, v21, v20
	s_delay_alu instid0(VALU_DEP_1) | instskip(NEXT) | instid1(VALU_DEP_1)
	v_div_fmas_f32 v15, v15, v18, v21
	v_div_fixup_f32 v18, v15, v14, 1.0
	s_delay_alu instid0(VALU_DEP_1)
	v_mul_f32_e64 v19, v19, -v18
.LBB95_349:
	s_or_b32 exec_lo, exec_lo, s1
	ds_store_b64 v55, v[18:19]
.LBB95_350:
	s_or_b32 exec_lo, exec_lo, s2
	s_wait_dscnt 0x0
	s_barrier_signal -1
	s_barrier_wait -1
	ds_load_b64 v[14:15], v55
	s_mov_b32 s1, exec_lo
	v_cmpx_lt_u32_e32 38, v54
	s_cbranch_execz .LBB95_352
; %bb.351:
	ds_load_2addr_b64 v[22:25], v56 offset0:39 offset1:40
	s_wait_dscnt 0x1
	v_pk_mul_f32 v[20:21], v[14:15], v[162:163] op_sel:[1,1] op_sel_hi:[0,1]
	s_delay_alu instid0(VALU_DEP_1) | instskip(SKIP_1) | instid1(VALU_DEP_1)
	v_pk_fma_f32 v[18:19], v[14:15], v[162:163], v[20:21] op_sel_hi:[1,0,1] neg_lo:[0,0,1] neg_hi:[0,0,1]
	v_pk_fma_f32 v[20:21], v[14:15], v[162:163], v[20:21] op_sel_hi:[1,0,1]
	v_dual_mov_b32 v162, v18 :: v_dual_mov_b32 v163, v21
	s_wait_dscnt 0x0
	s_delay_alu instid0(VALU_DEP_2) | instskip(NEXT) | instid1(VALU_DEP_1)
	v_pk_mul_f32 v[32:33], v[22:23], v[20:21] op_sel:[0,1]
	v_pk_fma_f32 v[38:39], v[22:23], v[18:19], v[32:33] op_sel:[0,0,1] op_sel_hi:[1,1,0] neg_lo:[0,0,1] neg_hi:[0,0,1]
	v_pk_fma_f32 v[22:23], v[22:23], v[18:19], v[32:33] op_sel:[0,0,1] op_sel_hi:[1,0,0]
	s_delay_alu instid0(VALU_DEP_1) | instskip(SKIP_1) | instid1(VALU_DEP_1)
	v_mov_b32_e32 v39, v23
	v_pk_mul_f32 v[22:23], v[24:25], v[20:21] op_sel:[0,1]
	v_pk_fma_f32 v[32:33], v[24:25], v[18:19], v[22:23] op_sel:[0,0,1] op_sel_hi:[1,1,0] neg_lo:[0,0,1] neg_hi:[0,0,1]
	v_pk_fma_f32 v[22:23], v[24:25], v[18:19], v[22:23] op_sel:[0,0,1] op_sel_hi:[1,0,0]
	s_delay_alu instid0(VALU_DEP_1)
	v_mov_b32_e32 v33, v23
	ds_load_2addr_b64 v[22:25], v56 offset0:41 offset1:42
	v_pk_add_f32 v[158:159], v[158:159], v[38:39] neg_lo:[0,1] neg_hi:[0,1]
	v_pk_add_f32 v[188:189], v[188:189], v[32:33] neg_lo:[0,1] neg_hi:[0,1]
	s_wait_dscnt 0x0
	v_pk_mul_f32 v[32:33], v[22:23], v[20:21] op_sel:[0,1]
	s_delay_alu instid0(VALU_DEP_1) | instskip(SKIP_2) | instid1(VALU_DEP_2)
	v_pk_fma_f32 v[38:39], v[22:23], v[18:19], v[32:33] op_sel:[0,0,1] op_sel_hi:[1,1,0] neg_lo:[0,0,1] neg_hi:[0,0,1]
	v_pk_fma_f32 v[22:23], v[22:23], v[18:19], v[32:33] op_sel:[0,0,1] op_sel_hi:[1,0,0]
	v_dual_mul_f32 v32, v25, v21 :: v_dual_mov_b32 v22, v25
	v_dual_mov_b32 v39, v23 :: v_dual_mov_b32 v23, v24
	s_delay_alu instid0(VALU_DEP_2) | instskip(SKIP_1) | instid1(VALU_DEP_3)
	v_pk_fma_f32 v[32:33], v[24:25], v[162:163], v[32:33] op_sel_hi:[1,1,0] neg_lo:[0,0,1] neg_hi:[0,0,1]
	v_mul_f32_e32 v24, v25, v18
	v_pk_add_f32 v[182:183], v[182:183], v[38:39] neg_lo:[0,1] neg_hi:[0,1]
	s_delay_alu instid0(VALU_DEP_2) | instskip(NEXT) | instid1(VALU_DEP_1)
	v_pk_fma_f32 v[22:23], v[22:23], v[162:163], v[24:25] op_sel_hi:[1,1,0]
	v_mov_b32_e32 v33, v23
	ds_load_2addr_b64 v[22:25], v56 offset0:43 offset1:44
	v_pk_add_f32 v[186:187], v[186:187], v[32:33] neg_lo:[0,1] neg_hi:[0,1]
	s_wait_dscnt 0x0
	v_pk_mul_f32 v[32:33], v[22:23], v[20:21] op_sel:[0,1]
	s_delay_alu instid0(VALU_DEP_1) | instskip(SKIP_1) | instid1(VALU_DEP_1)
	v_pk_fma_f32 v[38:39], v[22:23], v[18:19], v[32:33] op_sel:[0,0,1] op_sel_hi:[1,1,0] neg_lo:[0,0,1] neg_hi:[0,0,1]
	v_pk_fma_f32 v[22:23], v[22:23], v[18:19], v[32:33] op_sel:[0,0,1] op_sel_hi:[1,0,0]
	v_mov_b32_e32 v39, v23
	v_pk_mul_f32 v[22:23], v[24:25], v[20:21] op_sel:[0,1]
	s_delay_alu instid0(VALU_DEP_1) | instskip(SKIP_1) | instid1(VALU_DEP_1)
	v_pk_fma_f32 v[32:33], v[24:25], v[18:19], v[22:23] op_sel:[0,0,1] op_sel_hi:[1,1,0] neg_lo:[0,0,1] neg_hi:[0,0,1]
	v_pk_fma_f32 v[22:23], v[24:25], v[18:19], v[22:23] op_sel:[0,0,1] op_sel_hi:[1,0,0]
	v_mov_b32_e32 v33, v23
	ds_load_2addr_b64 v[22:25], v56 offset0:45 offset1:46
	v_pk_add_f32 v[180:181], v[180:181], v[38:39] neg_lo:[0,1] neg_hi:[0,1]
	v_pk_add_f32 v[184:185], v[184:185], v[32:33] neg_lo:[0,1] neg_hi:[0,1]
	s_wait_dscnt 0x0
	v_pk_mul_f32 v[32:33], v[22:23], v[20:21] op_sel:[0,1]
	s_delay_alu instid0(VALU_DEP_1) | instskip(SKIP_1) | instid1(VALU_DEP_1)
	v_pk_fma_f32 v[38:39], v[22:23], v[18:19], v[32:33] op_sel:[0,0,1] op_sel_hi:[1,1,0] neg_lo:[0,0,1] neg_hi:[0,0,1]
	v_pk_fma_f32 v[22:23], v[22:23], v[18:19], v[32:33] op_sel:[0,0,1] op_sel_hi:[1,0,0]
	v_mov_b32_e32 v39, v23
	v_pk_mul_f32 v[22:23], v[24:25], v[20:21] op_sel:[0,1]
	s_delay_alu instid0(VALU_DEP_1) | instskip(SKIP_1) | instid1(VALU_DEP_1)
	v_pk_fma_f32 v[32:33], v[24:25], v[18:19], v[22:23] op_sel:[0,0,1] op_sel_hi:[1,1,0] neg_lo:[0,0,1] neg_hi:[0,0,1]
	v_pk_fma_f32 v[22:23], v[24:25], v[18:19], v[22:23] op_sel:[0,0,1] op_sel_hi:[1,0,0]
	v_mov_b32_e32 v33, v23
	ds_load_b64 v[22:23], v56 offset:376
	v_pk_add_f32 v[178:179], v[178:179], v[38:39] neg_lo:[0,1] neg_hi:[0,1]
	v_pk_add_f32 v[190:191], v[190:191], v[32:33] neg_lo:[0,1] neg_hi:[0,1]
	s_wait_dscnt 0x0
	v_pk_mul_f32 v[20:21], v[22:23], v[20:21] op_sel:[0,1]
	s_delay_alu instid0(VALU_DEP_1) | instskip(SKIP_1) | instid1(VALU_DEP_1)
	v_pk_fma_f32 v[24:25], v[22:23], v[18:19], v[20:21] op_sel:[0,0,1] op_sel_hi:[1,1,0] neg_lo:[0,0,1] neg_hi:[0,0,1]
	v_pk_fma_f32 v[18:19], v[22:23], v[18:19], v[20:21] op_sel:[0,0,1] op_sel_hi:[1,0,0]
	v_mov_b32_e32 v25, v19
	s_delay_alu instid0(VALU_DEP_1)
	v_pk_add_f32 v[192:193], v[192:193], v[24:25] neg_lo:[0,1] neg_hi:[0,1]
.LBB95_352:
	s_or_b32 exec_lo, exec_lo, s1
	s_delay_alu instid0(SALU_CYCLE_1)
	s_mov_b32 s2, exec_lo
	s_wait_dscnt 0x0
	s_barrier_signal -1
	s_barrier_wait -1
	v_cmpx_eq_u32_e32 39, v54
	s_cbranch_execz .LBB95_359
; %bb.353:
	v_dual_mov_b32 v18, v188 :: v_dual_mov_b32 v19, v189
	v_dual_mov_b32 v20, v182 :: v_dual_mov_b32 v21, v183
	ds_store_b64 v55, v[158:159]
	ds_store_2addr_b64 v56, v[18:19], v[20:21] offset0:40 offset1:41
	v_dual_mov_b32 v18, v186 :: v_dual_mov_b32 v19, v187
	v_dual_mov_b32 v20, v180 :: v_dual_mov_b32 v21, v181
	ds_store_2addr_b64 v56, v[18:19], v[20:21] offset0:42 offset1:43
	v_dual_mov_b32 v18, v184 :: v_dual_mov_b32 v19, v185
	v_dual_mov_b32 v20, v178 :: v_dual_mov_b32 v21, v179
	ds_store_2addr_b64 v56, v[18:19], v[20:21] offset0:44 offset1:45
	v_dual_mov_b32 v18, v190 :: v_dual_mov_b32 v19, v191
	ds_store_2addr_b64 v56, v[18:19], v[192:193] offset0:46 offset1:47
	ds_load_b64 v[18:19], v55
	s_wait_dscnt 0x0
	v_cmp_neq_f32_e32 vcc_lo, 0, v18
	v_cmp_neq_f32_e64 s1, 0, v19
	s_or_b32 s1, vcc_lo, s1
	s_delay_alu instid0(SALU_CYCLE_1)
	s_and_b32 exec_lo, exec_lo, s1
	s_cbranch_execz .LBB95_359
; %bb.354:
	v_cmp_ngt_f32_e64 s1, |v18|, |v19|
                                        ; implicit-def: $vgpr20_vgpr21
	s_and_saveexec_b32 s4, s1
	s_delay_alu instid0(SALU_CYCLE_1)
	s_xor_b32 s1, exec_lo, s4
	s_cbranch_execz .LBB95_356
; %bb.355:
	v_div_scale_f32 v20, null, v19, v19, v18
	v_div_scale_f32 v23, vcc_lo, v18, v19, v18
	s_delay_alu instid0(VALU_DEP_2) | instskip(SKIP_1) | instid1(TRANS32_DEP_1)
	v_rcp_f32_e32 v21, v20
	v_nop
	v_fma_f32 v22, -v20, v21, 1.0
	s_delay_alu instid0(VALU_DEP_1) | instskip(NEXT) | instid1(VALU_DEP_1)
	v_fmac_f32_e32 v21, v22, v21
	v_mul_f32_e32 v22, v23, v21
	s_delay_alu instid0(VALU_DEP_1) | instskip(NEXT) | instid1(VALU_DEP_1)
	v_fma_f32 v24, -v20, v22, v23
	v_fmac_f32_e32 v22, v24, v21
	s_delay_alu instid0(VALU_DEP_1) | instskip(NEXT) | instid1(VALU_DEP_1)
	v_fma_f32 v20, -v20, v22, v23
	v_div_fmas_f32 v20, v20, v21, v22
	s_delay_alu instid0(VALU_DEP_1) | instskip(NEXT) | instid1(VALU_DEP_1)
	v_div_fixup_f32 v20, v20, v19, v18
	v_fmac_f32_e32 v19, v18, v20
	s_delay_alu instid0(VALU_DEP_1) | instskip(SKIP_1) | instid1(VALU_DEP_2)
	v_div_scale_f32 v18, null, v19, v19, 1.0
	v_div_scale_f32 v23, vcc_lo, 1.0, v19, 1.0
	v_rcp_f32_e32 v21, v18
	v_nop
	s_delay_alu instid0(TRANS32_DEP_1) | instskip(NEXT) | instid1(VALU_DEP_1)
	v_fma_f32 v22, -v18, v21, 1.0
	v_fmac_f32_e32 v21, v22, v21
	s_delay_alu instid0(VALU_DEP_1) | instskip(NEXT) | instid1(VALU_DEP_1)
	v_mul_f32_e32 v22, v23, v21
	v_fma_f32 v24, -v18, v22, v23
	s_delay_alu instid0(VALU_DEP_1) | instskip(NEXT) | instid1(VALU_DEP_1)
	v_fmac_f32_e32 v22, v24, v21
	v_fma_f32 v18, -v18, v22, v23
	s_delay_alu instid0(VALU_DEP_1) | instskip(NEXT) | instid1(VALU_DEP_1)
	v_div_fmas_f32 v18, v18, v21, v22
	v_div_fixup_f32 v18, v18, v19, 1.0
	s_delay_alu instid0(VALU_DEP_1)
	v_mul_f32_e32 v20, v20, v18
	v_xor_b32_e32 v21, 0x80000000, v18
                                        ; implicit-def: $vgpr18_vgpr19
.LBB95_356:
	s_and_not1_saveexec_b32 s1, s1
	s_cbranch_execz .LBB95_358
; %bb.357:
	v_div_scale_f32 v20, null, v18, v18, v19
	v_div_scale_f32 v23, vcc_lo, v19, v18, v19
	s_delay_alu instid0(VALU_DEP_2) | instskip(SKIP_1) | instid1(TRANS32_DEP_1)
	v_rcp_f32_e32 v21, v20
	v_nop
	v_fma_f32 v22, -v20, v21, 1.0
	s_delay_alu instid0(VALU_DEP_1) | instskip(NEXT) | instid1(VALU_DEP_1)
	v_fmac_f32_e32 v21, v22, v21
	v_mul_f32_e32 v22, v23, v21
	s_delay_alu instid0(VALU_DEP_1) | instskip(NEXT) | instid1(VALU_DEP_1)
	v_fma_f32 v24, -v20, v22, v23
	v_fmac_f32_e32 v22, v24, v21
	s_delay_alu instid0(VALU_DEP_1) | instskip(NEXT) | instid1(VALU_DEP_1)
	v_fma_f32 v20, -v20, v22, v23
	v_div_fmas_f32 v20, v20, v21, v22
	s_delay_alu instid0(VALU_DEP_1) | instskip(NEXT) | instid1(VALU_DEP_1)
	v_div_fixup_f32 v21, v20, v18, v19
	v_fmac_f32_e32 v18, v19, v21
	s_delay_alu instid0(VALU_DEP_1) | instskip(NEXT) | instid1(VALU_DEP_1)
	v_div_scale_f32 v19, null, v18, v18, 1.0
	v_rcp_f32_e32 v20, v19
	v_nop
	s_delay_alu instid0(TRANS32_DEP_1) | instskip(NEXT) | instid1(VALU_DEP_1)
	v_fma_f32 v22, -v19, v20, 1.0
	v_fmac_f32_e32 v20, v22, v20
	v_div_scale_f32 v22, vcc_lo, 1.0, v18, 1.0
	s_delay_alu instid0(VALU_DEP_1) | instskip(NEXT) | instid1(VALU_DEP_1)
	v_mul_f32_e32 v23, v22, v20
	v_fma_f32 v24, -v19, v23, v22
	s_delay_alu instid0(VALU_DEP_1) | instskip(NEXT) | instid1(VALU_DEP_1)
	v_fmac_f32_e32 v23, v24, v20
	v_fma_f32 v19, -v19, v23, v22
	s_delay_alu instid0(VALU_DEP_1) | instskip(NEXT) | instid1(VALU_DEP_1)
	v_div_fmas_f32 v19, v19, v20, v23
	v_div_fixup_f32 v20, v19, v18, 1.0
	s_delay_alu instid0(VALU_DEP_1)
	v_mul_f32_e64 v21, v21, -v20
.LBB95_358:
	s_or_b32 exec_lo, exec_lo, s1
	ds_store_b64 v55, v[20:21]
.LBB95_359:
	s_or_b32 exec_lo, exec_lo, s2
	s_wait_dscnt 0x0
	s_barrier_signal -1
	s_barrier_wait -1
	ds_load_b64 v[18:19], v55
	s_mov_b32 s1, exec_lo
	v_cmpx_lt_u32_e32 39, v54
	s_cbranch_execz .LBB95_361
; %bb.360:
	ds_load_2addr_b64 v[38:41], v56 offset0:40 offset1:41
	s_wait_dscnt 0x1
	v_pk_mul_f32 v[22:23], v[18:19], v[158:159] op_sel:[1,1] op_sel_hi:[0,1]
	s_delay_alu instid0(VALU_DEP_1) | instskip(SKIP_1) | instid1(VALU_DEP_1)
	v_pk_fma_f32 v[20:21], v[18:19], v[158:159], v[22:23] op_sel_hi:[1,0,1] neg_lo:[0,0,1] neg_hi:[0,0,1]
	v_pk_fma_f32 v[22:23], v[18:19], v[158:159], v[22:23] op_sel_hi:[1,0,1]
	v_dual_mov_b32 v158, v20 :: v_dual_mov_b32 v159, v23
	s_wait_dscnt 0x0
	s_delay_alu instid0(VALU_DEP_2) | instskip(NEXT) | instid1(VALU_DEP_1)
	v_pk_mul_f32 v[24:25], v[38:39], v[22:23] op_sel:[0,1]
	v_pk_fma_f32 v[32:33], v[38:39], v[20:21], v[24:25] op_sel:[0,0,1] op_sel_hi:[1,1,0] neg_lo:[0,0,1] neg_hi:[0,0,1]
	v_pk_fma_f32 v[24:25], v[38:39], v[20:21], v[24:25] op_sel:[0,0,1] op_sel_hi:[1,0,0]
	s_delay_alu instid0(VALU_DEP_1) | instskip(SKIP_1) | instid1(VALU_DEP_2)
	v_mov_b32_e32 v33, v25
	v_pk_mul_f32 v[24:25], v[40:41], v[22:23] op_sel:[0,1]
	v_pk_add_f32 v[188:189], v[188:189], v[32:33] neg_lo:[0,1] neg_hi:[0,1]
	s_delay_alu instid0(VALU_DEP_2) | instskip(SKIP_3) | instid1(VALU_DEP_1)
	v_pk_fma_f32 v[32:33], v[40:41], v[20:21], v[24:25] op_sel:[0,0,1] op_sel_hi:[1,1,0] neg_lo:[0,0,1] neg_hi:[0,0,1]
	v_pk_fma_f32 v[24:25], v[40:41], v[20:21], v[24:25] op_sel:[0,0,1] op_sel_hi:[1,0,0]
	ds_load_2addr_b64 v[38:41], v56 offset0:42 offset1:43
	v_mov_b32_e32 v33, v25
	v_pk_add_f32 v[182:183], v[182:183], v[32:33] neg_lo:[0,1] neg_hi:[0,1]
	s_wait_dscnt 0x0
	v_pk_mul_f32 v[24:25], v[38:39], v[22:23] op_sel:[0,1]
	s_delay_alu instid0(VALU_DEP_1) | instskip(SKIP_2) | instid1(VALU_DEP_2)
	v_pk_fma_f32 v[32:33], v[38:39], v[20:21], v[24:25] op_sel:[0,0,1] op_sel_hi:[1,1,0] neg_lo:[0,0,1] neg_hi:[0,0,1]
	v_pk_fma_f32 v[24:25], v[38:39], v[20:21], v[24:25] op_sel:[0,0,1] op_sel_hi:[1,0,0]
	v_dual_mov_b32 v24, v41 :: v_dual_mul_f32 v38, v41, v20
	v_dual_mov_b32 v33, v25 :: v_dual_mov_b32 v25, v40
	s_delay_alu instid0(VALU_DEP_1) | instskip(SKIP_1) | instid1(VALU_DEP_3)
	v_pk_add_f32 v[186:187], v[186:187], v[32:33] neg_lo:[0,1] neg_hi:[0,1]
	v_mul_f32_e32 v32, v41, v23
	v_pk_fma_f32 v[24:25], v[24:25], v[158:159], v[38:39] op_sel_hi:[1,1,0]
	s_delay_alu instid0(VALU_DEP_2) | instskip(SKIP_2) | instid1(VALU_DEP_1)
	v_pk_fma_f32 v[32:33], v[40:41], v[158:159], v[32:33] op_sel_hi:[1,1,0] neg_lo:[0,0,1] neg_hi:[0,0,1]
	ds_load_2addr_b64 v[38:41], v56 offset0:44 offset1:45
	v_mov_b32_e32 v33, v25
	v_pk_add_f32 v[180:181], v[180:181], v[32:33] neg_lo:[0,1] neg_hi:[0,1]
	s_wait_dscnt 0x0
	v_pk_mul_f32 v[24:25], v[38:39], v[22:23] op_sel:[0,1]
	s_delay_alu instid0(VALU_DEP_1) | instskip(SKIP_1) | instid1(VALU_DEP_1)
	v_pk_fma_f32 v[32:33], v[38:39], v[20:21], v[24:25] op_sel:[0,0,1] op_sel_hi:[1,1,0] neg_lo:[0,0,1] neg_hi:[0,0,1]
	v_pk_fma_f32 v[24:25], v[38:39], v[20:21], v[24:25] op_sel:[0,0,1] op_sel_hi:[1,0,0]
	v_mov_b32_e32 v33, v25
	v_pk_mul_f32 v[24:25], v[40:41], v[22:23] op_sel:[0,1]
	s_delay_alu instid0(VALU_DEP_2) | instskip(NEXT) | instid1(VALU_DEP_2)
	v_pk_add_f32 v[184:185], v[184:185], v[32:33] neg_lo:[0,1] neg_hi:[0,1]
	v_pk_fma_f32 v[32:33], v[40:41], v[20:21], v[24:25] op_sel:[0,0,1] op_sel_hi:[1,1,0] neg_lo:[0,0,1] neg_hi:[0,0,1]
	v_pk_fma_f32 v[24:25], v[40:41], v[20:21], v[24:25] op_sel:[0,0,1] op_sel_hi:[1,0,0]
	ds_load_2addr_b64 v[38:41], v56 offset0:46 offset1:47
	v_mov_b32_e32 v33, v25
	s_delay_alu instid0(VALU_DEP_1) | instskip(SKIP_3) | instid1(VALU_DEP_2)
	v_pk_add_f32 v[178:179], v[178:179], v[32:33] neg_lo:[0,1] neg_hi:[0,1]
	s_wait_dscnt 0x0
	v_pk_mul_f32 v[24:25], v[38:39], v[22:23] op_sel:[0,1]
	v_pk_mul_f32 v[22:23], v[40:41], v[22:23] op_sel:[0,1]
	v_pk_fma_f32 v[32:33], v[38:39], v[20:21], v[24:25] op_sel:[0,0,1] op_sel_hi:[1,1,0] neg_lo:[0,0,1] neg_hi:[0,0,1]
	v_pk_fma_f32 v[24:25], v[38:39], v[20:21], v[24:25] op_sel:[0,0,1] op_sel_hi:[1,0,0]
	s_delay_alu instid0(VALU_DEP_1) | instskip(NEXT) | instid1(VALU_DEP_4)
	v_mov_b32_e32 v33, v25
	v_pk_fma_f32 v[24:25], v[40:41], v[20:21], v[22:23] op_sel:[0,0,1] op_sel_hi:[1,1,0] neg_lo:[0,0,1] neg_hi:[0,0,1]
	v_pk_fma_f32 v[20:21], v[40:41], v[20:21], v[22:23] op_sel:[0,0,1] op_sel_hi:[1,0,0]
	s_delay_alu instid0(VALU_DEP_3) | instskip(NEXT) | instid1(VALU_DEP_2)
	v_pk_add_f32 v[190:191], v[190:191], v[32:33] neg_lo:[0,1] neg_hi:[0,1]
	v_mov_b32_e32 v25, v21
	s_delay_alu instid0(VALU_DEP_1)
	v_pk_add_f32 v[192:193], v[192:193], v[24:25] neg_lo:[0,1] neg_hi:[0,1]
.LBB95_361:
	s_or_b32 exec_lo, exec_lo, s1
	s_delay_alu instid0(SALU_CYCLE_1)
	s_mov_b32 s2, exec_lo
	s_wait_dscnt 0x0
	s_barrier_signal -1
	s_barrier_wait -1
	v_cmpx_eq_u32_e32 40, v54
	s_cbranch_execz .LBB95_368
; %bb.362:
	ds_store_b64 v55, v[188:189]
	ds_store_2addr_b64 v56, v[182:183], v[186:187] offset0:41 offset1:42
	ds_store_2addr_b64 v56, v[180:181], v[184:185] offset0:43 offset1:44
	;; [unrolled: 1-line block ×3, first 2 shown]
	ds_store_b64 v56, v[192:193] offset:376
	ds_load_b64 v[20:21], v55
	s_wait_dscnt 0x0
	v_cmp_neq_f32_e32 vcc_lo, 0, v20
	v_cmp_neq_f32_e64 s1, 0, v21
	s_or_b32 s1, vcc_lo, s1
	s_delay_alu instid0(SALU_CYCLE_1)
	s_and_b32 exec_lo, exec_lo, s1
	s_cbranch_execz .LBB95_368
; %bb.363:
	v_cmp_ngt_f32_e64 s1, |v20|, |v21|
                                        ; implicit-def: $vgpr22_vgpr23
	s_and_saveexec_b32 s4, s1
	s_delay_alu instid0(SALU_CYCLE_1)
	s_xor_b32 s1, exec_lo, s4
	s_cbranch_execz .LBB95_365
; %bb.364:
	v_div_scale_f32 v22, null, v21, v21, v20
	v_div_scale_f32 v25, vcc_lo, v20, v21, v20
	s_delay_alu instid0(VALU_DEP_2) | instskip(SKIP_1) | instid1(TRANS32_DEP_1)
	v_rcp_f32_e32 v23, v22
	v_nop
	v_fma_f32 v24, -v22, v23, 1.0
	s_delay_alu instid0(VALU_DEP_1) | instskip(NEXT) | instid1(VALU_DEP_1)
	v_fmac_f32_e32 v23, v24, v23
	v_mul_f32_e32 v24, v25, v23
	s_delay_alu instid0(VALU_DEP_1) | instskip(NEXT) | instid1(VALU_DEP_1)
	v_fma_f32 v32, -v22, v24, v25
	v_fmac_f32_e32 v24, v32, v23
	s_delay_alu instid0(VALU_DEP_1) | instskip(NEXT) | instid1(VALU_DEP_1)
	v_fma_f32 v22, -v22, v24, v25
	v_div_fmas_f32 v22, v22, v23, v24
	s_delay_alu instid0(VALU_DEP_1) | instskip(NEXT) | instid1(VALU_DEP_1)
	v_div_fixup_f32 v22, v22, v21, v20
	v_fmac_f32_e32 v21, v20, v22
	s_delay_alu instid0(VALU_DEP_1) | instskip(SKIP_1) | instid1(VALU_DEP_2)
	v_div_scale_f32 v20, null, v21, v21, 1.0
	v_div_scale_f32 v25, vcc_lo, 1.0, v21, 1.0
	v_rcp_f32_e32 v23, v20
	v_nop
	s_delay_alu instid0(TRANS32_DEP_1) | instskip(NEXT) | instid1(VALU_DEP_1)
	v_fma_f32 v24, -v20, v23, 1.0
	v_fmac_f32_e32 v23, v24, v23
	s_delay_alu instid0(VALU_DEP_1) | instskip(NEXT) | instid1(VALU_DEP_1)
	v_mul_f32_e32 v24, v25, v23
	v_fma_f32 v32, -v20, v24, v25
	s_delay_alu instid0(VALU_DEP_1) | instskip(NEXT) | instid1(VALU_DEP_1)
	v_fmac_f32_e32 v24, v32, v23
	v_fma_f32 v20, -v20, v24, v25
	s_delay_alu instid0(VALU_DEP_1) | instskip(NEXT) | instid1(VALU_DEP_1)
	v_div_fmas_f32 v20, v20, v23, v24
	v_div_fixup_f32 v20, v20, v21, 1.0
	s_delay_alu instid0(VALU_DEP_1)
	v_mul_f32_e32 v22, v22, v20
	v_xor_b32_e32 v23, 0x80000000, v20
                                        ; implicit-def: $vgpr20_vgpr21
.LBB95_365:
	s_and_not1_saveexec_b32 s1, s1
	s_cbranch_execz .LBB95_367
; %bb.366:
	v_div_scale_f32 v22, null, v20, v20, v21
	v_div_scale_f32 v25, vcc_lo, v21, v20, v21
	s_delay_alu instid0(VALU_DEP_2) | instskip(SKIP_1) | instid1(TRANS32_DEP_1)
	v_rcp_f32_e32 v23, v22
	v_nop
	v_fma_f32 v24, -v22, v23, 1.0
	s_delay_alu instid0(VALU_DEP_1) | instskip(NEXT) | instid1(VALU_DEP_1)
	v_fmac_f32_e32 v23, v24, v23
	v_mul_f32_e32 v24, v25, v23
	s_delay_alu instid0(VALU_DEP_1) | instskip(NEXT) | instid1(VALU_DEP_1)
	v_fma_f32 v32, -v22, v24, v25
	v_fmac_f32_e32 v24, v32, v23
	s_delay_alu instid0(VALU_DEP_1) | instskip(NEXT) | instid1(VALU_DEP_1)
	v_fma_f32 v22, -v22, v24, v25
	v_div_fmas_f32 v22, v22, v23, v24
	s_delay_alu instid0(VALU_DEP_1) | instskip(NEXT) | instid1(VALU_DEP_1)
	v_div_fixup_f32 v23, v22, v20, v21
	v_fmac_f32_e32 v20, v21, v23
	s_delay_alu instid0(VALU_DEP_1) | instskip(NEXT) | instid1(VALU_DEP_1)
	v_div_scale_f32 v21, null, v20, v20, 1.0
	v_rcp_f32_e32 v22, v21
	v_nop
	s_delay_alu instid0(TRANS32_DEP_1) | instskip(NEXT) | instid1(VALU_DEP_1)
	v_fma_f32 v24, -v21, v22, 1.0
	v_fmac_f32_e32 v22, v24, v22
	v_div_scale_f32 v24, vcc_lo, 1.0, v20, 1.0
	s_delay_alu instid0(VALU_DEP_1) | instskip(NEXT) | instid1(VALU_DEP_1)
	v_mul_f32_e32 v25, v24, v22
	v_fma_f32 v32, -v21, v25, v24
	s_delay_alu instid0(VALU_DEP_1) | instskip(NEXT) | instid1(VALU_DEP_1)
	v_fmac_f32_e32 v25, v32, v22
	v_fma_f32 v21, -v21, v25, v24
	s_delay_alu instid0(VALU_DEP_1) | instskip(NEXT) | instid1(VALU_DEP_1)
	v_div_fmas_f32 v21, v21, v22, v25
	v_div_fixup_f32 v22, v21, v20, 1.0
	s_delay_alu instid0(VALU_DEP_1)
	v_mul_f32_e64 v23, v23, -v22
.LBB95_367:
	s_or_b32 exec_lo, exec_lo, s1
	ds_store_b64 v55, v[22:23]
.LBB95_368:
	s_or_b32 exec_lo, exec_lo, s2
	s_wait_dscnt 0x0
	s_barrier_signal -1
	s_barrier_wait -1
	ds_load_b64 v[20:21], v55
	s_mov_b32 s1, exec_lo
	v_cmpx_lt_u32_e32 40, v54
	s_cbranch_execz .LBB95_370
; %bb.369:
	ds_load_2addr_b64 v[38:41], v56 offset0:41 offset1:42
	s_wait_dscnt 0x1
	v_pk_mul_f32 v[24:25], v[20:21], v[188:189] op_sel:[1,1] op_sel_hi:[0,1]
	s_delay_alu instid0(VALU_DEP_1) | instskip(SKIP_1) | instid1(VALU_DEP_1)
	v_pk_fma_f32 v[22:23], v[20:21], v[188:189], v[24:25] op_sel_hi:[1,0,1] neg_lo:[0,0,1] neg_hi:[0,0,1]
	v_pk_fma_f32 v[24:25], v[20:21], v[188:189], v[24:25] op_sel_hi:[1,0,1]
	v_dual_mov_b32 v188, v22 :: v_dual_mov_b32 v189, v25
	s_wait_dscnt 0x0
	s_delay_alu instid0(VALU_DEP_2) | instskip(NEXT) | instid1(VALU_DEP_1)
	v_pk_mul_f32 v[32:33], v[38:39], v[24:25] op_sel:[0,1]
	v_pk_fma_f32 v[42:43], v[38:39], v[22:23], v[32:33] op_sel:[0,0,1] op_sel_hi:[1,1,0] neg_lo:[0,0,1] neg_hi:[0,0,1]
	v_pk_fma_f32 v[32:33], v[38:39], v[22:23], v[32:33] op_sel:[0,0,1] op_sel_hi:[1,0,0]
	s_delay_alu instid0(VALU_DEP_1) | instskip(SKIP_1) | instid1(VALU_DEP_1)
	v_mov_b32_e32 v43, v33
	v_pk_mul_f32 v[32:33], v[40:41], v[24:25] op_sel:[0,1]
	v_pk_fma_f32 v[38:39], v[40:41], v[22:23], v[32:33] op_sel:[0,0,1] op_sel_hi:[1,1,0] neg_lo:[0,0,1] neg_hi:[0,0,1]
	v_pk_fma_f32 v[32:33], v[40:41], v[22:23], v[32:33] op_sel:[0,0,1] op_sel_hi:[1,0,0]
	s_delay_alu instid0(VALU_DEP_1) | instskip(SKIP_1) | instid1(VALU_DEP_2)
	v_mov_b32_e32 v39, v33
	v_pk_add_f32 v[182:183], v[182:183], v[42:43] neg_lo:[0,1] neg_hi:[0,1]
	v_pk_add_f32 v[186:187], v[186:187], v[38:39] neg_lo:[0,1] neg_hi:[0,1]
	ds_load_2addr_b64 v[38:41], v56 offset0:43 offset1:44
	s_wait_dscnt 0x0
	v_pk_mul_f32 v[32:33], v[38:39], v[24:25] op_sel:[0,1]
	s_delay_alu instid0(VALU_DEP_1) | instskip(SKIP_2) | instid1(VALU_DEP_2)
	v_pk_fma_f32 v[42:43], v[38:39], v[22:23], v[32:33] op_sel:[0,0,1] op_sel_hi:[1,1,0] neg_lo:[0,0,1] neg_hi:[0,0,1]
	v_pk_fma_f32 v[32:33], v[38:39], v[22:23], v[32:33] op_sel:[0,0,1] op_sel_hi:[1,0,0]
	v_dual_mul_f32 v38, v41, v25 :: v_dual_mov_b32 v32, v41
	v_dual_mov_b32 v43, v33 :: v_dual_mov_b32 v33, v40
	s_delay_alu instid0(VALU_DEP_2) | instskip(SKIP_1) | instid1(VALU_DEP_3)
	v_pk_fma_f32 v[38:39], v[40:41], v[188:189], v[38:39] op_sel_hi:[1,1,0] neg_lo:[0,0,1] neg_hi:[0,0,1]
	v_mul_f32_e32 v40, v41, v22
	v_pk_add_f32 v[180:181], v[180:181], v[42:43] neg_lo:[0,1] neg_hi:[0,1]
	s_delay_alu instid0(VALU_DEP_2) | instskip(NEXT) | instid1(VALU_DEP_1)
	v_pk_fma_f32 v[32:33], v[32:33], v[188:189], v[40:41] op_sel_hi:[1,1,0]
	v_mov_b32_e32 v39, v33
	s_delay_alu instid0(VALU_DEP_1) | instskip(SKIP_3) | instid1(VALU_DEP_1)
	v_pk_add_f32 v[184:185], v[184:185], v[38:39] neg_lo:[0,1] neg_hi:[0,1]
	ds_load_2addr_b64 v[38:41], v56 offset0:45 offset1:46
	s_wait_dscnt 0x0
	v_pk_mul_f32 v[32:33], v[38:39], v[24:25] op_sel:[0,1]
	v_pk_fma_f32 v[42:43], v[38:39], v[22:23], v[32:33] op_sel:[0,0,1] op_sel_hi:[1,1,0] neg_lo:[0,0,1] neg_hi:[0,0,1]
	v_pk_fma_f32 v[32:33], v[38:39], v[22:23], v[32:33] op_sel:[0,0,1] op_sel_hi:[1,0,0]
	s_delay_alu instid0(VALU_DEP_1) | instskip(SKIP_1) | instid1(VALU_DEP_2)
	v_mov_b32_e32 v43, v33
	v_pk_mul_f32 v[32:33], v[40:41], v[24:25] op_sel:[0,1]
	v_pk_add_f32 v[178:179], v[178:179], v[42:43] neg_lo:[0,1] neg_hi:[0,1]
	s_delay_alu instid0(VALU_DEP_2) | instskip(SKIP_1) | instid1(VALU_DEP_1)
	v_pk_fma_f32 v[38:39], v[40:41], v[22:23], v[32:33] op_sel:[0,0,1] op_sel_hi:[1,1,0] neg_lo:[0,0,1] neg_hi:[0,0,1]
	v_pk_fma_f32 v[32:33], v[40:41], v[22:23], v[32:33] op_sel:[0,0,1] op_sel_hi:[1,0,0]
	v_mov_b32_e32 v39, v33
	ds_load_b64 v[32:33], v56 offset:376
	v_pk_add_f32 v[190:191], v[190:191], v[38:39] neg_lo:[0,1] neg_hi:[0,1]
	s_wait_dscnt 0x0
	v_pk_mul_f32 v[24:25], v[32:33], v[24:25] op_sel:[0,1]
	s_delay_alu instid0(VALU_DEP_1) | instskip(SKIP_1) | instid1(VALU_DEP_1)
	v_pk_fma_f32 v[38:39], v[32:33], v[22:23], v[24:25] op_sel:[0,0,1] op_sel_hi:[1,1,0] neg_lo:[0,0,1] neg_hi:[0,0,1]
	v_pk_fma_f32 v[22:23], v[32:33], v[22:23], v[24:25] op_sel:[0,0,1] op_sel_hi:[1,0,0]
	v_mov_b32_e32 v39, v23
	s_delay_alu instid0(VALU_DEP_1)
	v_pk_add_f32 v[192:193], v[192:193], v[38:39] neg_lo:[0,1] neg_hi:[0,1]
.LBB95_370:
	s_or_b32 exec_lo, exec_lo, s1
	s_delay_alu instid0(SALU_CYCLE_1)
	s_mov_b32 s2, exec_lo
	s_wait_dscnt 0x0
	s_barrier_signal -1
	s_barrier_wait -1
	v_cmpx_eq_u32_e32 41, v54
	s_cbranch_execz .LBB95_377
; %bb.371:
	v_dual_mov_b32 v22, v186 :: v_dual_mov_b32 v23, v187
	v_dual_mov_b32 v24, v180 :: v_dual_mov_b32 v25, v181
	ds_store_b64 v55, v[182:183]
	ds_store_2addr_b64 v56, v[22:23], v[24:25] offset0:42 offset1:43
	v_dual_mov_b32 v22, v184 :: v_dual_mov_b32 v23, v185
	v_dual_mov_b32 v24, v178 :: v_dual_mov_b32 v25, v179
	ds_store_2addr_b64 v56, v[22:23], v[24:25] offset0:44 offset1:45
	v_dual_mov_b32 v22, v190 :: v_dual_mov_b32 v23, v191
	ds_store_2addr_b64 v56, v[22:23], v[192:193] offset0:46 offset1:47
	ds_load_b64 v[22:23], v55
	s_wait_dscnt 0x0
	v_cmp_neq_f32_e32 vcc_lo, 0, v22
	v_cmp_neq_f32_e64 s1, 0, v23
	s_or_b32 s1, vcc_lo, s1
	s_delay_alu instid0(SALU_CYCLE_1)
	s_and_b32 exec_lo, exec_lo, s1
	s_cbranch_execz .LBB95_377
; %bb.372:
	v_cmp_ngt_f32_e64 s1, |v22|, |v23|
                                        ; implicit-def: $vgpr24_vgpr25
	s_and_saveexec_b32 s4, s1
	s_delay_alu instid0(SALU_CYCLE_1)
	s_xor_b32 s1, exec_lo, s4
	s_cbranch_execz .LBB95_374
; %bb.373:
	v_div_scale_f32 v24, null, v23, v23, v22
	v_div_scale_f32 v33, vcc_lo, v22, v23, v22
	s_delay_alu instid0(VALU_DEP_2) | instskip(SKIP_1) | instid1(TRANS32_DEP_1)
	v_rcp_f32_e32 v25, v24
	v_nop
	v_fma_f32 v32, -v24, v25, 1.0
	s_delay_alu instid0(VALU_DEP_1) | instskip(NEXT) | instid1(VALU_DEP_1)
	v_fmac_f32_e32 v25, v32, v25
	v_mul_f32_e32 v32, v33, v25
	s_delay_alu instid0(VALU_DEP_1) | instskip(NEXT) | instid1(VALU_DEP_1)
	v_fma_f32 v38, -v24, v32, v33
	v_fmac_f32_e32 v32, v38, v25
	s_delay_alu instid0(VALU_DEP_1) | instskip(NEXT) | instid1(VALU_DEP_1)
	v_fma_f32 v24, -v24, v32, v33
	v_div_fmas_f32 v24, v24, v25, v32
	s_delay_alu instid0(VALU_DEP_1) | instskip(NEXT) | instid1(VALU_DEP_1)
	v_div_fixup_f32 v24, v24, v23, v22
	v_fmac_f32_e32 v23, v22, v24
	s_delay_alu instid0(VALU_DEP_1) | instskip(SKIP_1) | instid1(VALU_DEP_2)
	v_div_scale_f32 v22, null, v23, v23, 1.0
	v_div_scale_f32 v33, vcc_lo, 1.0, v23, 1.0
	v_rcp_f32_e32 v25, v22
	v_nop
	s_delay_alu instid0(TRANS32_DEP_1) | instskip(NEXT) | instid1(VALU_DEP_1)
	v_fma_f32 v32, -v22, v25, 1.0
	v_fmac_f32_e32 v25, v32, v25
	s_delay_alu instid0(VALU_DEP_1) | instskip(NEXT) | instid1(VALU_DEP_1)
	v_mul_f32_e32 v32, v33, v25
	v_fma_f32 v38, -v22, v32, v33
	s_delay_alu instid0(VALU_DEP_1) | instskip(NEXT) | instid1(VALU_DEP_1)
	v_fmac_f32_e32 v32, v38, v25
	v_fma_f32 v22, -v22, v32, v33
	s_delay_alu instid0(VALU_DEP_1) | instskip(NEXT) | instid1(VALU_DEP_1)
	v_div_fmas_f32 v22, v22, v25, v32
	v_div_fixup_f32 v22, v22, v23, 1.0
	s_delay_alu instid0(VALU_DEP_1)
	v_mul_f32_e32 v24, v24, v22
	v_xor_b32_e32 v25, 0x80000000, v22
                                        ; implicit-def: $vgpr22_vgpr23
.LBB95_374:
	s_and_not1_saveexec_b32 s1, s1
	s_cbranch_execz .LBB95_376
; %bb.375:
	v_div_scale_f32 v24, null, v22, v22, v23
	v_div_scale_f32 v33, vcc_lo, v23, v22, v23
	s_delay_alu instid0(VALU_DEP_2) | instskip(SKIP_1) | instid1(TRANS32_DEP_1)
	v_rcp_f32_e32 v25, v24
	v_nop
	v_fma_f32 v32, -v24, v25, 1.0
	s_delay_alu instid0(VALU_DEP_1) | instskip(NEXT) | instid1(VALU_DEP_1)
	v_fmac_f32_e32 v25, v32, v25
	v_mul_f32_e32 v32, v33, v25
	s_delay_alu instid0(VALU_DEP_1) | instskip(NEXT) | instid1(VALU_DEP_1)
	v_fma_f32 v38, -v24, v32, v33
	v_fmac_f32_e32 v32, v38, v25
	s_delay_alu instid0(VALU_DEP_1) | instskip(NEXT) | instid1(VALU_DEP_1)
	v_fma_f32 v24, -v24, v32, v33
	v_div_fmas_f32 v24, v24, v25, v32
	s_delay_alu instid0(VALU_DEP_1) | instskip(NEXT) | instid1(VALU_DEP_1)
	v_div_fixup_f32 v25, v24, v22, v23
	v_fmac_f32_e32 v22, v23, v25
	s_delay_alu instid0(VALU_DEP_1) | instskip(NEXT) | instid1(VALU_DEP_1)
	v_div_scale_f32 v23, null, v22, v22, 1.0
	v_rcp_f32_e32 v24, v23
	v_nop
	s_delay_alu instid0(TRANS32_DEP_1) | instskip(NEXT) | instid1(VALU_DEP_1)
	v_fma_f32 v32, -v23, v24, 1.0
	v_fmac_f32_e32 v24, v32, v24
	v_div_scale_f32 v32, vcc_lo, 1.0, v22, 1.0
	s_delay_alu instid0(VALU_DEP_1) | instskip(NEXT) | instid1(VALU_DEP_1)
	v_mul_f32_e32 v33, v32, v24
	v_fma_f32 v38, -v23, v33, v32
	s_delay_alu instid0(VALU_DEP_1) | instskip(NEXT) | instid1(VALU_DEP_1)
	v_fmac_f32_e32 v33, v38, v24
	v_fma_f32 v23, -v23, v33, v32
	s_delay_alu instid0(VALU_DEP_1) | instskip(NEXT) | instid1(VALU_DEP_1)
	v_div_fmas_f32 v23, v23, v24, v33
	v_div_fixup_f32 v24, v23, v22, 1.0
	s_delay_alu instid0(VALU_DEP_1)
	v_mul_f32_e64 v25, v25, -v24
.LBB95_376:
	s_or_b32 exec_lo, exec_lo, s1
	ds_store_b64 v55, v[24:25]
.LBB95_377:
	s_or_b32 exec_lo, exec_lo, s2
	s_wait_dscnt 0x0
	s_barrier_signal -1
	s_barrier_wait -1
	ds_load_b64 v[22:23], v55
	s_mov_b32 s1, exec_lo
	v_cmpx_lt_u32_e32 41, v54
	s_cbranch_execz .LBB95_379
; %bb.378:
	ds_load_2addr_b64 v[38:41], v56 offset0:42 offset1:43
	s_wait_dscnt 0x1
	v_pk_mul_f32 v[24:25], v[22:23], v[182:183] op_sel:[1,1] op_sel_hi:[0,1]
	s_delay_alu instid0(VALU_DEP_1) | instskip(SKIP_1) | instid1(VALU_DEP_1)
	v_pk_fma_f32 v[32:33], v[22:23], v[182:183], v[24:25] op_sel_hi:[1,0,1] neg_lo:[0,0,1] neg_hi:[0,0,1]
	v_pk_fma_f32 v[24:25], v[22:23], v[182:183], v[24:25] op_sel_hi:[1,0,1]
	v_dual_mov_b32 v182, v32 :: v_dual_mov_b32 v183, v25
	s_wait_dscnt 0x0
	s_delay_alu instid0(VALU_DEP_2) | instskip(NEXT) | instid1(VALU_DEP_1)
	v_pk_mul_f32 v[42:43], v[38:39], v[24:25] op_sel:[0,1]
	v_pk_fma_f32 v[52:53], v[38:39], v[32:33], v[42:43] op_sel:[0,0,1] op_sel_hi:[1,1,0] neg_lo:[0,0,1] neg_hi:[0,0,1]
	v_pk_fma_f32 v[38:39], v[38:39], v[32:33], v[42:43] op_sel:[0,0,1] op_sel_hi:[1,0,0]
	s_delay_alu instid0(VALU_DEP_1) | instskip(SKIP_1) | instid1(VALU_DEP_1)
	v_mov_b32_e32 v53, v39
	v_pk_mul_f32 v[38:39], v[40:41], v[24:25] op_sel:[0,1]
	v_pk_fma_f32 v[42:43], v[40:41], v[32:33], v[38:39] op_sel:[0,0,1] op_sel_hi:[1,1,0] neg_lo:[0,0,1] neg_hi:[0,0,1]
	v_pk_fma_f32 v[38:39], v[40:41], v[32:33], v[38:39] op_sel:[0,0,1] op_sel_hi:[1,0,0]
	s_delay_alu instid0(VALU_DEP_1)
	v_mov_b32_e32 v43, v39
	ds_load_2addr_b64 v[38:41], v56 offset0:44 offset1:45
	v_pk_add_f32 v[186:187], v[186:187], v[52:53] neg_lo:[0,1] neg_hi:[0,1]
	v_pk_add_f32 v[180:181], v[180:181], v[42:43] neg_lo:[0,1] neg_hi:[0,1]
	s_wait_dscnt 0x0
	v_pk_mul_f32 v[42:43], v[38:39], v[24:25] op_sel:[0,1]
	s_delay_alu instid0(VALU_DEP_1) | instskip(SKIP_2) | instid1(VALU_DEP_2)
	v_pk_fma_f32 v[52:53], v[38:39], v[32:33], v[42:43] op_sel:[0,0,1] op_sel_hi:[1,1,0] neg_lo:[0,0,1] neg_hi:[0,0,1]
	v_pk_fma_f32 v[38:39], v[38:39], v[32:33], v[42:43] op_sel:[0,0,1] op_sel_hi:[1,0,0]
	v_dual_mul_f32 v42, v41, v25 :: v_dual_mov_b32 v38, v41
	v_dual_mov_b32 v53, v39 :: v_dual_mov_b32 v39, v40
	s_delay_alu instid0(VALU_DEP_2) | instskip(SKIP_1) | instid1(VALU_DEP_3)
	v_pk_fma_f32 v[42:43], v[40:41], v[182:183], v[42:43] op_sel_hi:[1,1,0] neg_lo:[0,0,1] neg_hi:[0,0,1]
	v_mul_f32_e32 v40, v41, v32
	v_pk_add_f32 v[184:185], v[184:185], v[52:53] neg_lo:[0,1] neg_hi:[0,1]
	s_delay_alu instid0(VALU_DEP_2) | instskip(NEXT) | instid1(VALU_DEP_1)
	v_pk_fma_f32 v[38:39], v[38:39], v[182:183], v[40:41] op_sel_hi:[1,1,0]
	v_mov_b32_e32 v43, v39
	ds_load_2addr_b64 v[38:41], v56 offset0:46 offset1:47
	v_pk_add_f32 v[178:179], v[178:179], v[42:43] neg_lo:[0,1] neg_hi:[0,1]
	s_wait_dscnt 0x0
	v_pk_mul_f32 v[42:43], v[38:39], v[24:25] op_sel:[0,1]
	v_mul_f32_e32 v24, v41, v25
	s_delay_alu instid0(VALU_DEP_2) | instskip(SKIP_2) | instid1(VALU_DEP_4)
	v_pk_fma_f32 v[52:53], v[38:39], v[32:33], v[42:43] op_sel:[0,0,1] op_sel_hi:[1,1,0] neg_lo:[0,0,1] neg_hi:[0,0,1]
	v_pk_fma_f32 v[38:39], v[38:39], v[32:33], v[42:43] op_sel:[0,0,1] op_sel_hi:[1,0,0]
	v_dual_mov_b32 v38, v41 :: v_dual_mul_f32 v32, v41, v32
	v_pk_fma_f32 v[24:25], v[40:41], v[182:183], v[24:25] op_sel_hi:[1,1,0] neg_lo:[0,0,1] neg_hi:[0,0,1]
	s_delay_alu instid0(VALU_DEP_3) | instskip(NEXT) | instid1(VALU_DEP_1)
	v_dual_mov_b32 v53, v39 :: v_dual_mov_b32 v39, v40
	v_pk_add_f32 v[190:191], v[190:191], v[52:53] neg_lo:[0,1] neg_hi:[0,1]
	s_delay_alu instid0(VALU_DEP_2) | instskip(NEXT) | instid1(VALU_DEP_1)
	v_pk_fma_f32 v[32:33], v[38:39], v[182:183], v[32:33] op_sel_hi:[1,1,0]
	v_mov_b32_e32 v25, v33
	s_delay_alu instid0(VALU_DEP_1)
	v_pk_add_f32 v[192:193], v[192:193], v[24:25] neg_lo:[0,1] neg_hi:[0,1]
.LBB95_379:
	s_or_b32 exec_lo, exec_lo, s1
	s_delay_alu instid0(SALU_CYCLE_1)
	s_mov_b32 s2, exec_lo
	s_wait_dscnt 0x0
	s_barrier_signal -1
	s_barrier_wait -1
	v_cmpx_eq_u32_e32 42, v54
	s_cbranch_execz .LBB95_386
; %bb.380:
	ds_store_b64 v55, v[186:187]
	ds_store_2addr_b64 v56, v[180:181], v[184:185] offset0:43 offset1:44
	ds_store_2addr_b64 v56, v[178:179], v[190:191] offset0:45 offset1:46
	ds_store_b64 v56, v[192:193] offset:376
	ds_load_b64 v[24:25], v55
	s_wait_dscnt 0x0
	v_cmp_neq_f32_e32 vcc_lo, 0, v24
	v_cmp_neq_f32_e64 s1, 0, v25
	s_or_b32 s1, vcc_lo, s1
	s_delay_alu instid0(SALU_CYCLE_1)
	s_and_b32 exec_lo, exec_lo, s1
	s_cbranch_execz .LBB95_386
; %bb.381:
	v_cmp_ngt_f32_e64 s1, |v24|, |v25|
                                        ; implicit-def: $vgpr32_vgpr33
	s_and_saveexec_b32 s4, s1
	s_delay_alu instid0(SALU_CYCLE_1)
	s_xor_b32 s1, exec_lo, s4
	s_cbranch_execz .LBB95_383
; %bb.382:
	v_div_scale_f32 v32, null, v25, v25, v24
	v_div_scale_f32 v39, vcc_lo, v24, v25, v24
	s_delay_alu instid0(VALU_DEP_2) | instskip(SKIP_1) | instid1(TRANS32_DEP_1)
	v_rcp_f32_e32 v33, v32
	v_nop
	v_fma_f32 v38, -v32, v33, 1.0
	s_delay_alu instid0(VALU_DEP_1) | instskip(NEXT) | instid1(VALU_DEP_1)
	v_fmac_f32_e32 v33, v38, v33
	v_mul_f32_e32 v38, v39, v33
	s_delay_alu instid0(VALU_DEP_1) | instskip(NEXT) | instid1(VALU_DEP_1)
	v_fma_f32 v40, -v32, v38, v39
	v_fmac_f32_e32 v38, v40, v33
	s_delay_alu instid0(VALU_DEP_1) | instskip(NEXT) | instid1(VALU_DEP_1)
	v_fma_f32 v32, -v32, v38, v39
	v_div_fmas_f32 v32, v32, v33, v38
	s_delay_alu instid0(VALU_DEP_1) | instskip(NEXT) | instid1(VALU_DEP_1)
	v_div_fixup_f32 v32, v32, v25, v24
	v_fmac_f32_e32 v25, v24, v32
	s_delay_alu instid0(VALU_DEP_1) | instskip(SKIP_1) | instid1(VALU_DEP_2)
	v_div_scale_f32 v24, null, v25, v25, 1.0
	v_div_scale_f32 v39, vcc_lo, 1.0, v25, 1.0
	v_rcp_f32_e32 v33, v24
	v_nop
	s_delay_alu instid0(TRANS32_DEP_1) | instskip(NEXT) | instid1(VALU_DEP_1)
	v_fma_f32 v38, -v24, v33, 1.0
	v_fmac_f32_e32 v33, v38, v33
	s_delay_alu instid0(VALU_DEP_1) | instskip(NEXT) | instid1(VALU_DEP_1)
	v_mul_f32_e32 v38, v39, v33
	v_fma_f32 v40, -v24, v38, v39
	s_delay_alu instid0(VALU_DEP_1) | instskip(NEXT) | instid1(VALU_DEP_1)
	v_fmac_f32_e32 v38, v40, v33
	v_fma_f32 v24, -v24, v38, v39
	s_delay_alu instid0(VALU_DEP_1) | instskip(NEXT) | instid1(VALU_DEP_1)
	v_div_fmas_f32 v24, v24, v33, v38
	v_div_fixup_f32 v24, v24, v25, 1.0
	s_delay_alu instid0(VALU_DEP_1)
	v_mul_f32_e32 v32, v32, v24
	v_xor_b32_e32 v33, 0x80000000, v24
                                        ; implicit-def: $vgpr24_vgpr25
.LBB95_383:
	s_and_not1_saveexec_b32 s1, s1
	s_cbranch_execz .LBB95_385
; %bb.384:
	v_div_scale_f32 v32, null, v24, v24, v25
	v_div_scale_f32 v39, vcc_lo, v25, v24, v25
	s_delay_alu instid0(VALU_DEP_2) | instskip(SKIP_1) | instid1(TRANS32_DEP_1)
	v_rcp_f32_e32 v33, v32
	v_nop
	v_fma_f32 v38, -v32, v33, 1.0
	s_delay_alu instid0(VALU_DEP_1) | instskip(NEXT) | instid1(VALU_DEP_1)
	v_fmac_f32_e32 v33, v38, v33
	v_mul_f32_e32 v38, v39, v33
	s_delay_alu instid0(VALU_DEP_1) | instskip(NEXT) | instid1(VALU_DEP_1)
	v_fma_f32 v40, -v32, v38, v39
	v_fmac_f32_e32 v38, v40, v33
	s_delay_alu instid0(VALU_DEP_1) | instskip(NEXT) | instid1(VALU_DEP_1)
	v_fma_f32 v32, -v32, v38, v39
	v_div_fmas_f32 v32, v32, v33, v38
	s_delay_alu instid0(VALU_DEP_1) | instskip(NEXT) | instid1(VALU_DEP_1)
	v_div_fixup_f32 v33, v32, v24, v25
	v_fmac_f32_e32 v24, v25, v33
	s_delay_alu instid0(VALU_DEP_1) | instskip(NEXT) | instid1(VALU_DEP_1)
	v_div_scale_f32 v25, null, v24, v24, 1.0
	v_rcp_f32_e32 v32, v25
	v_nop
	s_delay_alu instid0(TRANS32_DEP_1) | instskip(NEXT) | instid1(VALU_DEP_1)
	v_fma_f32 v38, -v25, v32, 1.0
	v_fmac_f32_e32 v32, v38, v32
	v_div_scale_f32 v38, vcc_lo, 1.0, v24, 1.0
	s_delay_alu instid0(VALU_DEP_1) | instskip(NEXT) | instid1(VALU_DEP_1)
	v_mul_f32_e32 v39, v38, v32
	v_fma_f32 v40, -v25, v39, v38
	s_delay_alu instid0(VALU_DEP_1) | instskip(NEXT) | instid1(VALU_DEP_1)
	v_fmac_f32_e32 v39, v40, v32
	v_fma_f32 v25, -v25, v39, v38
	s_delay_alu instid0(VALU_DEP_1) | instskip(NEXT) | instid1(VALU_DEP_1)
	v_div_fmas_f32 v25, v25, v32, v39
	v_div_fixup_f32 v32, v25, v24, 1.0
	s_delay_alu instid0(VALU_DEP_1)
	v_mul_f32_e64 v33, v33, -v32
.LBB95_385:
	s_or_b32 exec_lo, exec_lo, s1
	ds_store_b64 v55, v[32:33]
.LBB95_386:
	s_or_b32 exec_lo, exec_lo, s2
	s_wait_dscnt 0x0
	s_barrier_signal -1
	s_barrier_wait -1
	ds_load_b64 v[24:25], v55
	s_mov_b32 s1, exec_lo
	v_cmpx_lt_u32_e32 42, v54
	s_cbranch_execz .LBB95_388
; %bb.387:
	ds_load_2addr_b64 v[38:41], v56 offset0:43 offset1:44
	s_wait_dscnt 0x1
	v_pk_mul_f32 v[32:33], v[24:25], v[186:187] op_sel:[1,1] op_sel_hi:[0,1]
	s_delay_alu instid0(VALU_DEP_1) | instskip(SKIP_1) | instid1(VALU_DEP_1)
	v_pk_fma_f32 v[42:43], v[24:25], v[186:187], v[32:33] op_sel_hi:[1,0,1] neg_lo:[0,0,1] neg_hi:[0,0,1]
	v_pk_fma_f32 v[32:33], v[24:25], v[186:187], v[32:33] op_sel_hi:[1,0,1]
	v_dual_mov_b32 v186, v42 :: v_dual_mov_b32 v187, v33
	s_wait_dscnt 0x0
	s_delay_alu instid0(VALU_DEP_2) | instskip(NEXT) | instid1(VALU_DEP_1)
	v_pk_mul_f32 v[52:53], v[38:39], v[32:33] op_sel:[0,1]
	v_pk_fma_f32 v[76:77], v[38:39], v[42:43], v[52:53] op_sel:[0,0,1] op_sel_hi:[1,1,0] neg_lo:[0,0,1] neg_hi:[0,0,1]
	v_pk_fma_f32 v[38:39], v[38:39], v[42:43], v[52:53] op_sel:[0,0,1] op_sel_hi:[1,0,0]
	s_delay_alu instid0(VALU_DEP_1) | instskip(SKIP_1) | instid1(VALU_DEP_1)
	v_mov_b32_e32 v77, v39
	v_pk_mul_f32 v[38:39], v[40:41], v[32:33] op_sel:[0,1]
	v_pk_fma_f32 v[52:53], v[40:41], v[42:43], v[38:39] op_sel:[0,0,1] op_sel_hi:[1,1,0] neg_lo:[0,0,1] neg_hi:[0,0,1]
	v_pk_fma_f32 v[38:39], v[40:41], v[42:43], v[38:39] op_sel:[0,0,1] op_sel_hi:[1,0,0]
	s_delay_alu instid0(VALU_DEP_1)
	v_mov_b32_e32 v53, v39
	ds_load_2addr_b64 v[38:41], v56 offset0:45 offset1:46
	v_pk_add_f32 v[180:181], v[180:181], v[76:77] neg_lo:[0,1] neg_hi:[0,1]
	v_pk_add_f32 v[184:185], v[184:185], v[52:53] neg_lo:[0,1] neg_hi:[0,1]
	s_wait_dscnt 0x0
	v_pk_mul_f32 v[52:53], v[38:39], v[32:33] op_sel:[0,1]
	s_delay_alu instid0(VALU_DEP_1) | instskip(SKIP_2) | instid1(VALU_DEP_2)
	v_pk_fma_f32 v[76:77], v[38:39], v[42:43], v[52:53] op_sel:[0,0,1] op_sel_hi:[1,1,0] neg_lo:[0,0,1] neg_hi:[0,0,1]
	v_pk_fma_f32 v[38:39], v[38:39], v[42:43], v[52:53] op_sel:[0,0,1] op_sel_hi:[1,0,0]
	v_dual_mul_f32 v52, v41, v33 :: v_dual_mov_b32 v38, v41
	v_dual_mov_b32 v77, v39 :: v_dual_mov_b32 v39, v40
	s_delay_alu instid0(VALU_DEP_2) | instskip(SKIP_1) | instid1(VALU_DEP_3)
	v_pk_fma_f32 v[52:53], v[40:41], v[186:187], v[52:53] op_sel_hi:[1,1,0] neg_lo:[0,0,1] neg_hi:[0,0,1]
	v_mul_f32_e32 v40, v41, v42
	v_pk_add_f32 v[178:179], v[178:179], v[76:77] neg_lo:[0,1] neg_hi:[0,1]
	s_delay_alu instid0(VALU_DEP_2) | instskip(NEXT) | instid1(VALU_DEP_1)
	v_pk_fma_f32 v[38:39], v[38:39], v[186:187], v[40:41] op_sel_hi:[1,1,0]
	v_mov_b32_e32 v53, v39
	ds_load_b64 v[38:39], v56 offset:376
	v_pk_add_f32 v[190:191], v[190:191], v[52:53] neg_lo:[0,1] neg_hi:[0,1]
	s_wait_dscnt 0x0
	v_pk_mul_f32 v[32:33], v[38:39], v[32:33] op_sel:[0,1]
	s_delay_alu instid0(VALU_DEP_1) | instskip(SKIP_1) | instid1(VALU_DEP_1)
	v_pk_fma_f32 v[40:41], v[38:39], v[42:43], v[32:33] op_sel:[0,0,1] op_sel_hi:[1,1,0] neg_lo:[0,0,1] neg_hi:[0,0,1]
	v_pk_fma_f32 v[32:33], v[38:39], v[42:43], v[32:33] op_sel:[0,0,1] op_sel_hi:[1,0,0]
	v_mov_b32_e32 v41, v33
	s_delay_alu instid0(VALU_DEP_1)
	v_pk_add_f32 v[192:193], v[192:193], v[40:41] neg_lo:[0,1] neg_hi:[0,1]
.LBB95_388:
	s_or_b32 exec_lo, exec_lo, s1
	s_delay_alu instid0(SALU_CYCLE_1)
	s_mov_b32 s2, exec_lo
	s_wait_dscnt 0x0
	s_barrier_signal -1
	s_barrier_wait -1
	v_cmpx_eq_u32_e32 43, v54
	s_cbranch_execz .LBB95_395
; %bb.389:
	v_dual_mov_b32 v32, v184 :: v_dual_mov_b32 v33, v185
	v_dual_mov_b32 v38, v178 :: v_dual_mov_b32 v39, v179
	ds_store_b64 v55, v[180:181]
	ds_store_2addr_b64 v56, v[32:33], v[38:39] offset0:44 offset1:45
	v_dual_mov_b32 v32, v190 :: v_dual_mov_b32 v33, v191
	ds_store_2addr_b64 v56, v[32:33], v[192:193] offset0:46 offset1:47
	ds_load_b64 v[32:33], v55
	s_wait_dscnt 0x0
	v_cmp_neq_f32_e32 vcc_lo, 0, v32
	v_cmp_neq_f32_e64 s1, 0, v33
	s_or_b32 s1, vcc_lo, s1
	s_delay_alu instid0(SALU_CYCLE_1)
	s_and_b32 exec_lo, exec_lo, s1
	s_cbranch_execz .LBB95_395
; %bb.390:
	v_cmp_ngt_f32_e64 s1, |v32|, |v33|
                                        ; implicit-def: $vgpr38_vgpr39
	s_and_saveexec_b32 s4, s1
	s_delay_alu instid0(SALU_CYCLE_1)
	s_xor_b32 s1, exec_lo, s4
	s_cbranch_execz .LBB95_392
; %bb.391:
	v_div_scale_f32 v38, null, v33, v33, v32
	v_div_scale_f32 v41, vcc_lo, v32, v33, v32
	s_delay_alu instid0(VALU_DEP_2) | instskip(SKIP_1) | instid1(TRANS32_DEP_1)
	v_rcp_f32_e32 v39, v38
	v_nop
	v_fma_f32 v40, -v38, v39, 1.0
	s_delay_alu instid0(VALU_DEP_1) | instskip(NEXT) | instid1(VALU_DEP_1)
	v_fmac_f32_e32 v39, v40, v39
	v_mul_f32_e32 v40, v41, v39
	s_delay_alu instid0(VALU_DEP_1) | instskip(NEXT) | instid1(VALU_DEP_1)
	v_fma_f32 v42, -v38, v40, v41
	v_fmac_f32_e32 v40, v42, v39
	s_delay_alu instid0(VALU_DEP_1) | instskip(NEXT) | instid1(VALU_DEP_1)
	v_fma_f32 v38, -v38, v40, v41
	v_div_fmas_f32 v38, v38, v39, v40
	s_delay_alu instid0(VALU_DEP_1) | instskip(NEXT) | instid1(VALU_DEP_1)
	v_div_fixup_f32 v38, v38, v33, v32
	v_fmac_f32_e32 v33, v32, v38
	s_delay_alu instid0(VALU_DEP_1) | instskip(SKIP_1) | instid1(VALU_DEP_2)
	v_div_scale_f32 v32, null, v33, v33, 1.0
	v_div_scale_f32 v41, vcc_lo, 1.0, v33, 1.0
	v_rcp_f32_e32 v39, v32
	v_nop
	s_delay_alu instid0(TRANS32_DEP_1) | instskip(NEXT) | instid1(VALU_DEP_1)
	v_fma_f32 v40, -v32, v39, 1.0
	v_fmac_f32_e32 v39, v40, v39
	s_delay_alu instid0(VALU_DEP_1) | instskip(NEXT) | instid1(VALU_DEP_1)
	v_mul_f32_e32 v40, v41, v39
	v_fma_f32 v42, -v32, v40, v41
	s_delay_alu instid0(VALU_DEP_1) | instskip(NEXT) | instid1(VALU_DEP_1)
	v_fmac_f32_e32 v40, v42, v39
	v_fma_f32 v32, -v32, v40, v41
	s_delay_alu instid0(VALU_DEP_1) | instskip(NEXT) | instid1(VALU_DEP_1)
	v_div_fmas_f32 v32, v32, v39, v40
	v_div_fixup_f32 v32, v32, v33, 1.0
	s_delay_alu instid0(VALU_DEP_1)
	v_mul_f32_e32 v38, v38, v32
	v_xor_b32_e32 v39, 0x80000000, v32
                                        ; implicit-def: $vgpr32_vgpr33
.LBB95_392:
	s_and_not1_saveexec_b32 s1, s1
	s_cbranch_execz .LBB95_394
; %bb.393:
	v_div_scale_f32 v38, null, v32, v32, v33
	v_div_scale_f32 v41, vcc_lo, v33, v32, v33
	s_delay_alu instid0(VALU_DEP_2) | instskip(SKIP_1) | instid1(TRANS32_DEP_1)
	v_rcp_f32_e32 v39, v38
	v_nop
	v_fma_f32 v40, -v38, v39, 1.0
	s_delay_alu instid0(VALU_DEP_1) | instskip(NEXT) | instid1(VALU_DEP_1)
	v_fmac_f32_e32 v39, v40, v39
	v_mul_f32_e32 v40, v41, v39
	s_delay_alu instid0(VALU_DEP_1) | instskip(NEXT) | instid1(VALU_DEP_1)
	v_fma_f32 v42, -v38, v40, v41
	v_fmac_f32_e32 v40, v42, v39
	s_delay_alu instid0(VALU_DEP_1) | instskip(NEXT) | instid1(VALU_DEP_1)
	v_fma_f32 v38, -v38, v40, v41
	v_div_fmas_f32 v38, v38, v39, v40
	s_delay_alu instid0(VALU_DEP_1) | instskip(NEXT) | instid1(VALU_DEP_1)
	v_div_fixup_f32 v39, v38, v32, v33
	v_fmac_f32_e32 v32, v33, v39
	s_delay_alu instid0(VALU_DEP_1) | instskip(NEXT) | instid1(VALU_DEP_1)
	v_div_scale_f32 v33, null, v32, v32, 1.0
	v_rcp_f32_e32 v38, v33
	v_nop
	s_delay_alu instid0(TRANS32_DEP_1) | instskip(NEXT) | instid1(VALU_DEP_1)
	v_fma_f32 v40, -v33, v38, 1.0
	v_fmac_f32_e32 v38, v40, v38
	v_div_scale_f32 v40, vcc_lo, 1.0, v32, 1.0
	s_delay_alu instid0(VALU_DEP_1) | instskip(NEXT) | instid1(VALU_DEP_1)
	v_mul_f32_e32 v41, v40, v38
	v_fma_f32 v42, -v33, v41, v40
	s_delay_alu instid0(VALU_DEP_1) | instskip(NEXT) | instid1(VALU_DEP_1)
	v_fmac_f32_e32 v41, v42, v38
	v_fma_f32 v33, -v33, v41, v40
	s_delay_alu instid0(VALU_DEP_1) | instskip(NEXT) | instid1(VALU_DEP_1)
	v_div_fmas_f32 v33, v33, v38, v41
	v_div_fixup_f32 v38, v33, v32, 1.0
	s_delay_alu instid0(VALU_DEP_1)
	v_mul_f32_e64 v39, v39, -v38
.LBB95_394:
	s_or_b32 exec_lo, exec_lo, s1
	ds_store_b64 v55, v[38:39]
.LBB95_395:
	s_or_b32 exec_lo, exec_lo, s2
	s_wait_dscnt 0x0
	s_barrier_signal -1
	s_barrier_wait -1
	ds_load_b64 v[38:39], v55
	s_mov_b32 s1, exec_lo
	v_cmpx_lt_u32_e32 43, v54
	s_cbranch_execz .LBB95_397
; %bb.396:
	ds_load_2addr_b64 v[40:43], v56 offset0:44 offset1:45
	s_wait_dscnt 0x1
	v_pk_mul_f32 v[32:33], v[38:39], v[180:181] op_sel:[1,1] op_sel_hi:[0,1]
	s_delay_alu instid0(VALU_DEP_1) | instskip(SKIP_1) | instid1(VALU_DEP_1)
	v_pk_fma_f32 v[52:53], v[38:39], v[180:181], v[32:33] op_sel_hi:[1,0,1] neg_lo:[0,0,1] neg_hi:[0,0,1]
	v_pk_fma_f32 v[32:33], v[38:39], v[180:181], v[32:33] op_sel_hi:[1,0,1]
	v_dual_mov_b32 v180, v52 :: v_dual_mov_b32 v181, v33
	s_wait_dscnt 0x0
	s_delay_alu instid0(VALU_DEP_2) | instskip(NEXT) | instid1(VALU_DEP_1)
	v_pk_mul_f32 v[76:77], v[40:41], v[32:33] op_sel:[0,1]
	v_pk_fma_f32 v[78:79], v[40:41], v[52:53], v[76:77] op_sel:[0,0,1] op_sel_hi:[1,1,0] neg_lo:[0,0,1] neg_hi:[0,0,1]
	v_pk_fma_f32 v[40:41], v[40:41], v[52:53], v[76:77] op_sel:[0,0,1] op_sel_hi:[1,0,0]
	s_delay_alu instid0(VALU_DEP_1) | instskip(SKIP_1) | instid1(VALU_DEP_1)
	v_mov_b32_e32 v79, v41
	v_pk_mul_f32 v[40:41], v[42:43], v[32:33] op_sel:[0,1]
	v_pk_fma_f32 v[76:77], v[42:43], v[52:53], v[40:41] op_sel:[0,0,1] op_sel_hi:[1,1,0] neg_lo:[0,0,1] neg_hi:[0,0,1]
	v_pk_fma_f32 v[40:41], v[42:43], v[52:53], v[40:41] op_sel:[0,0,1] op_sel_hi:[1,0,0]
	s_delay_alu instid0(VALU_DEP_1)
	v_mov_b32_e32 v77, v41
	ds_load_2addr_b64 v[40:43], v56 offset0:46 offset1:47
	v_pk_add_f32 v[184:185], v[184:185], v[78:79] neg_lo:[0,1] neg_hi:[0,1]
	v_pk_add_f32 v[178:179], v[178:179], v[76:77] neg_lo:[0,1] neg_hi:[0,1]
	s_wait_dscnt 0x0
	v_pk_mul_f32 v[76:77], v[40:41], v[32:33] op_sel:[0,1]
	s_delay_alu instid0(VALU_DEP_1) | instskip(SKIP_1) | instid1(VALU_DEP_1)
	v_pk_fma_f32 v[78:79], v[40:41], v[52:53], v[76:77] op_sel:[0,0,1] op_sel_hi:[1,1,0] neg_lo:[0,0,1] neg_hi:[0,0,1]
	v_pk_fma_f32 v[40:41], v[40:41], v[52:53], v[76:77] op_sel:[0,0,1] op_sel_hi:[1,0,0]
	v_dual_mov_b32 v40, v43 :: v_dual_mov_b32 v79, v41
	v_mov_b32_e32 v41, v42
	s_delay_alu instid0(VALU_DEP_2) | instskip(NEXT) | instid1(VALU_DEP_2)
	v_pk_add_f32 v[190:191], v[190:191], v[78:79] neg_lo:[0,1] neg_hi:[0,1]
	v_pk_mul_f32 v[32:33], v[40:41], v[32:33] op_sel:[0,1]
	s_delay_alu instid0(VALU_DEP_1) | instskip(SKIP_1) | instid1(VALU_DEP_1)
	v_pk_fma_f32 v[40:41], v[42:43], v[52:53], v[32:33] neg_lo:[0,0,1] neg_hi:[0,0,1]
	v_pk_fma_f32 v[32:33], v[42:43], v[52:53], v[32:33] op_sel_hi:[1,0,1]
	v_mov_b32_e32 v41, v33
	s_delay_alu instid0(VALU_DEP_1)
	v_pk_add_f32 v[192:193], v[192:193], v[40:41] neg_lo:[0,1] neg_hi:[0,1]
.LBB95_397:
	s_or_b32 exec_lo, exec_lo, s1
	s_delay_alu instid0(SALU_CYCLE_1)
	s_mov_b32 s2, exec_lo
	s_wait_dscnt 0x0
	s_barrier_signal -1
	s_barrier_wait -1
	v_cmpx_eq_u32_e32 44, v54
	s_cbranch_execz .LBB95_404
; %bb.398:
	ds_store_b64 v55, v[184:185]
	ds_store_2addr_b64 v56, v[178:179], v[190:191] offset0:45 offset1:46
	ds_store_b64 v56, v[192:193] offset:376
	ds_load_b64 v[32:33], v55
	s_wait_dscnt 0x0
	v_cmp_neq_f32_e32 vcc_lo, 0, v32
	v_cmp_neq_f32_e64 s1, 0, v33
	s_or_b32 s1, vcc_lo, s1
	s_delay_alu instid0(SALU_CYCLE_1)
	s_and_b32 exec_lo, exec_lo, s1
	s_cbranch_execz .LBB95_404
; %bb.399:
	v_cmp_ngt_f32_e64 s1, |v32|, |v33|
                                        ; implicit-def: $vgpr40_vgpr41
	s_and_saveexec_b32 s4, s1
	s_delay_alu instid0(SALU_CYCLE_1)
	s_xor_b32 s1, exec_lo, s4
	s_cbranch_execz .LBB95_401
; %bb.400:
	v_div_scale_f32 v40, null, v33, v33, v32
	v_div_scale_f32 v43, vcc_lo, v32, v33, v32
	s_delay_alu instid0(VALU_DEP_2) | instskip(SKIP_1) | instid1(TRANS32_DEP_1)
	v_rcp_f32_e32 v41, v40
	v_nop
	v_fma_f32 v42, -v40, v41, 1.0
	s_delay_alu instid0(VALU_DEP_1) | instskip(NEXT) | instid1(VALU_DEP_1)
	v_fmac_f32_e32 v41, v42, v41
	v_mul_f32_e32 v42, v43, v41
	s_delay_alu instid0(VALU_DEP_1) | instskip(NEXT) | instid1(VALU_DEP_1)
	v_fma_f32 v52, -v40, v42, v43
	v_fmac_f32_e32 v42, v52, v41
	s_delay_alu instid0(VALU_DEP_1) | instskip(NEXT) | instid1(VALU_DEP_1)
	v_fma_f32 v40, -v40, v42, v43
	v_div_fmas_f32 v40, v40, v41, v42
	s_delay_alu instid0(VALU_DEP_1) | instskip(NEXT) | instid1(VALU_DEP_1)
	v_div_fixup_f32 v40, v40, v33, v32
	v_fmac_f32_e32 v33, v32, v40
	s_delay_alu instid0(VALU_DEP_1) | instskip(SKIP_1) | instid1(VALU_DEP_2)
	v_div_scale_f32 v32, null, v33, v33, 1.0
	v_div_scale_f32 v43, vcc_lo, 1.0, v33, 1.0
	v_rcp_f32_e32 v41, v32
	v_nop
	s_delay_alu instid0(TRANS32_DEP_1) | instskip(NEXT) | instid1(VALU_DEP_1)
	v_fma_f32 v42, -v32, v41, 1.0
	v_fmac_f32_e32 v41, v42, v41
	s_delay_alu instid0(VALU_DEP_1) | instskip(NEXT) | instid1(VALU_DEP_1)
	v_mul_f32_e32 v42, v43, v41
	v_fma_f32 v52, -v32, v42, v43
	s_delay_alu instid0(VALU_DEP_1) | instskip(NEXT) | instid1(VALU_DEP_1)
	v_fmac_f32_e32 v42, v52, v41
	v_fma_f32 v32, -v32, v42, v43
	s_delay_alu instid0(VALU_DEP_1) | instskip(NEXT) | instid1(VALU_DEP_1)
	v_div_fmas_f32 v32, v32, v41, v42
	v_div_fixup_f32 v32, v32, v33, 1.0
	s_delay_alu instid0(VALU_DEP_1)
	v_mul_f32_e32 v40, v40, v32
	v_xor_b32_e32 v41, 0x80000000, v32
                                        ; implicit-def: $vgpr32_vgpr33
.LBB95_401:
	s_and_not1_saveexec_b32 s1, s1
	s_cbranch_execz .LBB95_403
; %bb.402:
	v_div_scale_f32 v40, null, v32, v32, v33
	v_div_scale_f32 v43, vcc_lo, v33, v32, v33
	s_delay_alu instid0(VALU_DEP_2) | instskip(SKIP_1) | instid1(TRANS32_DEP_1)
	v_rcp_f32_e32 v41, v40
	v_nop
	v_fma_f32 v42, -v40, v41, 1.0
	s_delay_alu instid0(VALU_DEP_1) | instskip(NEXT) | instid1(VALU_DEP_1)
	v_fmac_f32_e32 v41, v42, v41
	v_mul_f32_e32 v42, v43, v41
	s_delay_alu instid0(VALU_DEP_1) | instskip(NEXT) | instid1(VALU_DEP_1)
	v_fma_f32 v52, -v40, v42, v43
	v_fmac_f32_e32 v42, v52, v41
	s_delay_alu instid0(VALU_DEP_1) | instskip(NEXT) | instid1(VALU_DEP_1)
	v_fma_f32 v40, -v40, v42, v43
	v_div_fmas_f32 v40, v40, v41, v42
	s_delay_alu instid0(VALU_DEP_1) | instskip(NEXT) | instid1(VALU_DEP_1)
	v_div_fixup_f32 v41, v40, v32, v33
	v_fmac_f32_e32 v32, v33, v41
	s_delay_alu instid0(VALU_DEP_1) | instskip(NEXT) | instid1(VALU_DEP_1)
	v_div_scale_f32 v33, null, v32, v32, 1.0
	v_rcp_f32_e32 v40, v33
	v_nop
	s_delay_alu instid0(TRANS32_DEP_1) | instskip(NEXT) | instid1(VALU_DEP_1)
	v_fma_f32 v42, -v33, v40, 1.0
	v_fmac_f32_e32 v40, v42, v40
	v_div_scale_f32 v42, vcc_lo, 1.0, v32, 1.0
	s_delay_alu instid0(VALU_DEP_1) | instskip(NEXT) | instid1(VALU_DEP_1)
	v_mul_f32_e32 v43, v42, v40
	v_fma_f32 v52, -v33, v43, v42
	s_delay_alu instid0(VALU_DEP_1) | instskip(NEXT) | instid1(VALU_DEP_1)
	v_fmac_f32_e32 v43, v52, v40
	v_fma_f32 v33, -v33, v43, v42
	s_delay_alu instid0(VALU_DEP_1) | instskip(NEXT) | instid1(VALU_DEP_1)
	v_div_fmas_f32 v33, v33, v40, v43
	v_div_fixup_f32 v40, v33, v32, 1.0
	s_delay_alu instid0(VALU_DEP_1)
	v_mul_f32_e64 v41, v41, -v40
.LBB95_403:
	s_or_b32 exec_lo, exec_lo, s1
	ds_store_b64 v55, v[40:41]
.LBB95_404:
	s_or_b32 exec_lo, exec_lo, s2
	s_wait_dscnt 0x0
	s_barrier_signal -1
	s_barrier_wait -1
	ds_load_b64 v[40:41], v55
	s_mov_b32 s1, exec_lo
	v_cmpx_lt_u32_e32 44, v54
	s_cbranch_execz .LBB95_406
; %bb.405:
	ds_load_2addr_b64 v[76:79], v56 offset0:45 offset1:46
	s_wait_dscnt 0x1
	v_pk_mul_f32 v[32:33], v[40:41], v[184:185] op_sel:[1,1] op_sel_hi:[0,1]
	s_delay_alu instid0(VALU_DEP_1) | instskip(SKIP_1) | instid1(VALU_DEP_1)
	v_pk_fma_f32 v[42:43], v[40:41], v[184:185], v[32:33] op_sel_hi:[1,0,1] neg_lo:[0,0,1] neg_hi:[0,0,1]
	v_pk_fma_f32 v[32:33], v[40:41], v[184:185], v[32:33] op_sel_hi:[1,0,1]
	v_dual_mov_b32 v184, v42 :: v_dual_mov_b32 v185, v33
	s_wait_dscnt 0x0
	s_delay_alu instid0(VALU_DEP_2) | instskip(NEXT) | instid1(VALU_DEP_1)
	v_pk_mul_f32 v[52:53], v[76:77], v[32:33] op_sel:[0,1]
	v_pk_fma_f32 v[58:59], v[76:77], v[42:43], v[52:53] op_sel:[0,0,1] op_sel_hi:[1,1,0] neg_lo:[0,0,1] neg_hi:[0,0,1]
	v_pk_fma_f32 v[52:53], v[76:77], v[42:43], v[52:53] op_sel:[0,0,1] op_sel_hi:[1,0,0]
	s_delay_alu instid0(VALU_DEP_1) | instskip(SKIP_1) | instid1(VALU_DEP_2)
	v_mov_b32_e32 v59, v53
	v_pk_mul_f32 v[52:53], v[78:79], v[32:33] op_sel:[0,1]
	v_pk_add_f32 v[178:179], v[178:179], v[58:59] neg_lo:[0,1] neg_hi:[0,1]
	s_delay_alu instid0(VALU_DEP_2) | instskip(SKIP_1) | instid1(VALU_DEP_1)
	v_pk_fma_f32 v[58:59], v[78:79], v[42:43], v[52:53] op_sel:[0,0,1] op_sel_hi:[1,1,0] neg_lo:[0,0,1] neg_hi:[0,0,1]
	v_pk_fma_f32 v[52:53], v[78:79], v[42:43], v[52:53] op_sel:[0,0,1] op_sel_hi:[1,0,0]
	v_mov_b32_e32 v59, v53
	ds_load_b64 v[52:53], v56 offset:376
	v_pk_add_f32 v[190:191], v[190:191], v[58:59] neg_lo:[0,1] neg_hi:[0,1]
	s_wait_dscnt 0x0
	v_pk_mul_f32 v[32:33], v[52:53], v[32:33] op_sel:[1,1] op_sel_hi:[0,1]
	s_delay_alu instid0(VALU_DEP_1) | instskip(SKIP_1) | instid1(VALU_DEP_1)
	v_pk_fma_f32 v[58:59], v[52:53], v[42:43], v[32:33] neg_lo:[0,0,1] neg_hi:[0,0,1]
	v_pk_fma_f32 v[32:33], v[52:53], v[42:43], v[32:33] op_sel_hi:[1,0,1]
	v_mov_b32_e32 v59, v33
	s_delay_alu instid0(VALU_DEP_1)
	v_pk_add_f32 v[192:193], v[192:193], v[58:59] neg_lo:[0,1] neg_hi:[0,1]
.LBB95_406:
	s_or_b32 exec_lo, exec_lo, s1
	s_delay_alu instid0(SALU_CYCLE_1)
	s_mov_b32 s2, exec_lo
	s_wait_dscnt 0x0
	s_barrier_signal -1
	s_barrier_wait -1
	v_cmpx_eq_u32_e32 45, v54
	s_cbranch_execz .LBB95_413
; %bb.407:
	v_dual_mov_b32 v32, v190 :: v_dual_mov_b32 v33, v191
	ds_store_b64 v55, v[178:179]
	ds_store_2addr_b64 v56, v[32:33], v[192:193] offset0:46 offset1:47
	ds_load_b64 v[32:33], v55
	s_wait_dscnt 0x0
	v_cmp_neq_f32_e32 vcc_lo, 0, v32
	v_cmp_neq_f32_e64 s1, 0, v33
	s_or_b32 s1, vcc_lo, s1
	s_delay_alu instid0(SALU_CYCLE_1)
	s_and_b32 exec_lo, exec_lo, s1
	s_cbranch_execz .LBB95_413
; %bb.408:
	v_cmp_ngt_f32_e64 s1, |v32|, |v33|
                                        ; implicit-def: $vgpr42_vgpr43
	s_and_saveexec_b32 s4, s1
	s_delay_alu instid0(SALU_CYCLE_1)
	s_xor_b32 s1, exec_lo, s4
	s_cbranch_execz .LBB95_410
; %bb.409:
	v_div_scale_f32 v42, null, v33, v33, v32
	v_div_scale_f32 v53, vcc_lo, v32, v33, v32
	s_delay_alu instid0(VALU_DEP_2) | instskip(SKIP_1) | instid1(TRANS32_DEP_1)
	v_rcp_f32_e32 v43, v42
	v_nop
	v_fma_f32 v52, -v42, v43, 1.0
	s_delay_alu instid0(VALU_DEP_1) | instskip(NEXT) | instid1(VALU_DEP_1)
	v_fmac_f32_e32 v43, v52, v43
	v_mul_f32_e32 v52, v53, v43
	s_delay_alu instid0(VALU_DEP_1) | instskip(NEXT) | instid1(VALU_DEP_1)
	v_fma_f32 v57, -v42, v52, v53
	v_fmac_f32_e32 v52, v57, v43
	s_delay_alu instid0(VALU_DEP_1) | instskip(NEXT) | instid1(VALU_DEP_1)
	v_fma_f32 v42, -v42, v52, v53
	v_div_fmas_f32 v42, v42, v43, v52
	s_delay_alu instid0(VALU_DEP_1) | instskip(NEXT) | instid1(VALU_DEP_1)
	v_div_fixup_f32 v42, v42, v33, v32
	v_fmac_f32_e32 v33, v32, v42
	s_delay_alu instid0(VALU_DEP_1) | instskip(SKIP_1) | instid1(VALU_DEP_2)
	v_div_scale_f32 v32, null, v33, v33, 1.0
	v_div_scale_f32 v53, vcc_lo, 1.0, v33, 1.0
	v_rcp_f32_e32 v43, v32
	v_nop
	s_delay_alu instid0(TRANS32_DEP_1) | instskip(NEXT) | instid1(VALU_DEP_1)
	v_fma_f32 v52, -v32, v43, 1.0
	v_fmac_f32_e32 v43, v52, v43
	s_delay_alu instid0(VALU_DEP_1) | instskip(NEXT) | instid1(VALU_DEP_1)
	v_mul_f32_e32 v52, v53, v43
	v_fma_f32 v57, -v32, v52, v53
	s_delay_alu instid0(VALU_DEP_1) | instskip(NEXT) | instid1(VALU_DEP_1)
	v_fmac_f32_e32 v52, v57, v43
	v_fma_f32 v32, -v32, v52, v53
	s_delay_alu instid0(VALU_DEP_1) | instskip(NEXT) | instid1(VALU_DEP_1)
	v_div_fmas_f32 v32, v32, v43, v52
	v_div_fixup_f32 v32, v32, v33, 1.0
	s_delay_alu instid0(VALU_DEP_1)
	v_mul_f32_e32 v42, v42, v32
	v_xor_b32_e32 v43, 0x80000000, v32
                                        ; implicit-def: $vgpr32_vgpr33
.LBB95_410:
	s_and_not1_saveexec_b32 s1, s1
	s_cbranch_execz .LBB95_412
; %bb.411:
	v_div_scale_f32 v42, null, v32, v32, v33
	v_div_scale_f32 v53, vcc_lo, v33, v32, v33
	s_delay_alu instid0(VALU_DEP_2) | instskip(SKIP_1) | instid1(TRANS32_DEP_1)
	v_rcp_f32_e32 v43, v42
	v_nop
	v_fma_f32 v52, -v42, v43, 1.0
	s_delay_alu instid0(VALU_DEP_1) | instskip(NEXT) | instid1(VALU_DEP_1)
	v_fmac_f32_e32 v43, v52, v43
	v_mul_f32_e32 v52, v53, v43
	s_delay_alu instid0(VALU_DEP_1) | instskip(NEXT) | instid1(VALU_DEP_1)
	v_fma_f32 v57, -v42, v52, v53
	v_fmac_f32_e32 v52, v57, v43
	s_delay_alu instid0(VALU_DEP_1) | instskip(NEXT) | instid1(VALU_DEP_1)
	v_fma_f32 v42, -v42, v52, v53
	v_div_fmas_f32 v42, v42, v43, v52
	s_delay_alu instid0(VALU_DEP_1) | instskip(NEXT) | instid1(VALU_DEP_1)
	v_div_fixup_f32 v43, v42, v32, v33
	v_fmac_f32_e32 v32, v33, v43
	s_delay_alu instid0(VALU_DEP_1) | instskip(NEXT) | instid1(VALU_DEP_1)
	v_div_scale_f32 v33, null, v32, v32, 1.0
	v_rcp_f32_e32 v42, v33
	v_nop
	s_delay_alu instid0(TRANS32_DEP_1) | instskip(NEXT) | instid1(VALU_DEP_1)
	v_fma_f32 v52, -v33, v42, 1.0
	v_fmac_f32_e32 v42, v52, v42
	v_div_scale_f32 v52, vcc_lo, 1.0, v32, 1.0
	s_delay_alu instid0(VALU_DEP_1) | instskip(NEXT) | instid1(VALU_DEP_1)
	v_mul_f32_e32 v53, v52, v42
	v_fma_f32 v57, -v33, v53, v52
	s_delay_alu instid0(VALU_DEP_1) | instskip(NEXT) | instid1(VALU_DEP_1)
	v_fmac_f32_e32 v53, v57, v42
	v_fma_f32 v33, -v33, v53, v52
	s_delay_alu instid0(VALU_DEP_1) | instskip(NEXT) | instid1(VALU_DEP_1)
	v_div_fmas_f32 v33, v33, v42, v53
	v_div_fixup_f32 v42, v33, v32, 1.0
	s_delay_alu instid0(VALU_DEP_1)
	v_mul_f32_e64 v43, v43, -v42
.LBB95_412:
	s_or_b32 exec_lo, exec_lo, s1
	ds_store_b64 v55, v[42:43]
.LBB95_413:
	s_or_b32 exec_lo, exec_lo, s2
	s_wait_dscnt 0x0
	s_barrier_signal -1
	s_barrier_wait -1
	ds_load_b64 v[42:43], v55
	s_mov_b32 s1, exec_lo
	v_cmpx_lt_u32_e32 45, v54
	s_cbranch_execz .LBB95_415
; %bb.414:
	ds_load_2addr_b64 v[76:79], v56 offset0:46 offset1:47
	s_wait_dscnt 0x1
	v_pk_mul_f32 v[32:33], v[42:43], v[178:179] op_sel:[1,1] op_sel_hi:[0,1]
	v_mov_b32_e32 v57, v54
	scratch_store_b64 off, v[42:43], off offset:176 ; 8-byte Folded Spill
	v_pk_fma_f32 v[52:53], v[42:43], v[178:179], v[32:33] op_sel_hi:[1,0,1] neg_lo:[0,0,1] neg_hi:[0,0,1]
	v_pk_fma_f32 v[32:33], v[42:43], v[178:179], v[32:33] op_sel_hi:[1,0,1]
	s_wait_xcnt 0x0
	v_mov_b64_e32 v[42:43], v[40:41]
	v_mov_b64_e32 v[40:41], v[38:39]
	v_mov_b32_e32 v38, v55
	v_mov_b64_e32 v[54:55], v[24:25]
	v_mov_b64_e32 v[24:25], v[184:185]
	;; [unrolled: 1-line block ×9, first 2 shown]
	s_wait_dscnt 0x0
	v_pk_mul_f32 v[58:59], v[76:77], v[32:33] op_sel:[0,1]
	v_mov_b64_e32 v[158:159], v[162:163]
	v_mov_b64_e32 v[162:163], v[160:161]
	;; [unrolled: 1-line block ×107, first 2 shown]
	v_pk_fma_f32 v[80:81], v[76:77], v[52:53], v[58:59] op_sel:[0,0,1] op_sel_hi:[1,1,0] neg_lo:[0,0,1] neg_hi:[0,0,1]
	v_pk_fma_f32 v[58:59], v[76:77], v[52:53], v[58:59] op_sel:[0,0,1] op_sel_hi:[1,0,0]
	v_dual_mov_b32 v58, v79 :: v_dual_mov_b32 v178, v52
	s_delay_alu instid0(VALU_DEP_2) | instskip(SKIP_1) | instid1(VALU_DEP_2)
	v_dual_mov_b32 v179, v33 :: v_dual_mov_b32 v81, v59
	v_mov_b32_e32 v59, v78
	v_pk_add_f32 v[190:191], v[190:191], v[80:81] neg_lo:[0,1] neg_hi:[0,1]
	v_mov_b64_e32 v[80:81], v[82:83]
	v_mov_b64_e32 v[82:83], v[98:99]
	;; [unrolled: 1-line block ×116, first 2 shown]
	v_mov_b32_e32 v55, v38
	v_mov_b64_e32 v[38:39], v[40:41]
	v_mov_b64_e32 v[40:41], v[42:43]
	scratch_load_b64 v[42:43], off, off offset:176 ; 8-byte Folded Reload
	v_mov_b32_e32 v54, v57
	v_pk_mul_f32 v[32:33], v[58:59], v[32:33] op_sel:[0,1]
	s_delay_alu instid0(VALU_DEP_1) | instskip(SKIP_1) | instid1(VALU_DEP_1)
	v_pk_fma_f32 v[58:59], v[78:79], v[52:53], v[32:33] neg_lo:[0,0,1] neg_hi:[0,0,1]
	v_pk_fma_f32 v[32:33], v[78:79], v[52:53], v[32:33] op_sel_hi:[1,0,1]
	v_mov_b32_e32 v59, v33
	s_delay_alu instid0(VALU_DEP_1)
	v_pk_add_f32 v[192:193], v[192:193], v[58:59] neg_lo:[0,1] neg_hi:[0,1]
.LBB95_415:
	s_wait_xcnt 0x0
	s_or_b32 exec_lo, exec_lo, s1
	s_delay_alu instid0(SALU_CYCLE_1)
	s_mov_b32 s2, exec_lo
	s_wait_storecnt 0x0
	s_wait_loadcnt_dscnt 0x0
	s_barrier_signal -1
	s_barrier_wait -1
	v_cmpx_eq_u32_e32 46, v54
	s_cbranch_execz .LBB95_422
; %bb.416:
	ds_store_b64 v55, v[190:191]
	ds_store_b64 v56, v[192:193] offset:376
	ds_load_b64 v[32:33], v55
	s_wait_dscnt 0x0
	v_cmp_neq_f32_e32 vcc_lo, 0, v32
	v_cmp_neq_f32_e64 s1, 0, v33
	s_or_b32 s1, vcc_lo, s1
	s_delay_alu instid0(SALU_CYCLE_1)
	s_and_b32 exec_lo, exec_lo, s1
	s_cbranch_execz .LBB95_422
; %bb.417:
	v_cmp_ngt_f32_e64 s1, |v32|, |v33|
                                        ; implicit-def: $vgpr52_vgpr53
	s_and_saveexec_b32 s4, s1
	s_delay_alu instid0(SALU_CYCLE_1)
	s_xor_b32 s1, exec_lo, s4
	s_cbranch_execz .LBB95_419
; %bb.418:
	v_div_scale_f32 v52, null, v33, v33, v32
	v_div_scale_f32 v58, vcc_lo, v32, v33, v32
	s_delay_alu instid0(VALU_DEP_2) | instskip(SKIP_1) | instid1(TRANS32_DEP_1)
	v_rcp_f32_e32 v53, v52
	v_nop
	v_fma_f32 v57, -v52, v53, 1.0
	s_delay_alu instid0(VALU_DEP_1) | instskip(NEXT) | instid1(VALU_DEP_1)
	v_fmac_f32_e32 v53, v57, v53
	v_mul_f32_e32 v57, v58, v53
	s_delay_alu instid0(VALU_DEP_1) | instskip(NEXT) | instid1(VALU_DEP_1)
	v_fma_f32 v59, -v52, v57, v58
	v_fmac_f32_e32 v57, v59, v53
	s_delay_alu instid0(VALU_DEP_1) | instskip(NEXT) | instid1(VALU_DEP_1)
	v_fma_f32 v52, -v52, v57, v58
	v_div_fmas_f32 v52, v52, v53, v57
	s_delay_alu instid0(VALU_DEP_1) | instskip(NEXT) | instid1(VALU_DEP_1)
	v_div_fixup_f32 v52, v52, v33, v32
	v_fmac_f32_e32 v33, v32, v52
	s_delay_alu instid0(VALU_DEP_1) | instskip(SKIP_1) | instid1(VALU_DEP_2)
	v_div_scale_f32 v32, null, v33, v33, 1.0
	v_div_scale_f32 v58, vcc_lo, 1.0, v33, 1.0
	v_rcp_f32_e32 v53, v32
	v_nop
	s_delay_alu instid0(TRANS32_DEP_1) | instskip(NEXT) | instid1(VALU_DEP_1)
	v_fma_f32 v57, -v32, v53, 1.0
	v_fmac_f32_e32 v53, v57, v53
	s_delay_alu instid0(VALU_DEP_1) | instskip(NEXT) | instid1(VALU_DEP_1)
	v_mul_f32_e32 v57, v58, v53
	v_fma_f32 v59, -v32, v57, v58
	s_delay_alu instid0(VALU_DEP_1) | instskip(NEXT) | instid1(VALU_DEP_1)
	v_fmac_f32_e32 v57, v59, v53
	v_fma_f32 v32, -v32, v57, v58
	s_delay_alu instid0(VALU_DEP_1) | instskip(NEXT) | instid1(VALU_DEP_1)
	v_div_fmas_f32 v32, v32, v53, v57
	v_div_fixup_f32 v32, v32, v33, 1.0
	s_delay_alu instid0(VALU_DEP_1)
	v_mul_f32_e32 v52, v52, v32
	v_xor_b32_e32 v53, 0x80000000, v32
                                        ; implicit-def: $vgpr32_vgpr33
.LBB95_419:
	s_and_not1_saveexec_b32 s1, s1
	s_cbranch_execz .LBB95_421
; %bb.420:
	v_div_scale_f32 v52, null, v32, v32, v33
	v_div_scale_f32 v58, vcc_lo, v33, v32, v33
	s_delay_alu instid0(VALU_DEP_2) | instskip(SKIP_1) | instid1(TRANS32_DEP_1)
	v_rcp_f32_e32 v53, v52
	v_nop
	v_fma_f32 v57, -v52, v53, 1.0
	s_delay_alu instid0(VALU_DEP_1) | instskip(NEXT) | instid1(VALU_DEP_1)
	v_fmac_f32_e32 v53, v57, v53
	v_mul_f32_e32 v57, v58, v53
	s_delay_alu instid0(VALU_DEP_1) | instskip(NEXT) | instid1(VALU_DEP_1)
	v_fma_f32 v59, -v52, v57, v58
	v_fmac_f32_e32 v57, v59, v53
	s_delay_alu instid0(VALU_DEP_1) | instskip(NEXT) | instid1(VALU_DEP_1)
	v_fma_f32 v52, -v52, v57, v58
	v_div_fmas_f32 v52, v52, v53, v57
	s_delay_alu instid0(VALU_DEP_1) | instskip(NEXT) | instid1(VALU_DEP_1)
	v_div_fixup_f32 v53, v52, v32, v33
	v_fmac_f32_e32 v32, v33, v53
	s_delay_alu instid0(VALU_DEP_1) | instskip(NEXT) | instid1(VALU_DEP_1)
	v_div_scale_f32 v33, null, v32, v32, 1.0
	v_rcp_f32_e32 v52, v33
	v_nop
	s_delay_alu instid0(TRANS32_DEP_1) | instskip(NEXT) | instid1(VALU_DEP_1)
	v_fma_f32 v57, -v33, v52, 1.0
	v_fmac_f32_e32 v52, v57, v52
	v_div_scale_f32 v57, vcc_lo, 1.0, v32, 1.0
	s_delay_alu instid0(VALU_DEP_1) | instskip(NEXT) | instid1(VALU_DEP_1)
	v_mul_f32_e32 v58, v57, v52
	v_fma_f32 v59, -v33, v58, v57
	s_delay_alu instid0(VALU_DEP_1) | instskip(NEXT) | instid1(VALU_DEP_1)
	v_fmac_f32_e32 v58, v59, v52
	v_fma_f32 v33, -v33, v58, v57
	s_delay_alu instid0(VALU_DEP_1) | instskip(NEXT) | instid1(VALU_DEP_1)
	v_div_fmas_f32 v33, v33, v52, v58
	v_div_fixup_f32 v52, v33, v32, 1.0
	s_delay_alu instid0(VALU_DEP_1)
	v_mul_f32_e64 v53, v53, -v52
.LBB95_421:
	s_or_b32 exec_lo, exec_lo, s1
	ds_store_b64 v55, v[52:53]
.LBB95_422:
	s_or_b32 exec_lo, exec_lo, s2
	s_wait_dscnt 0x0
	s_barrier_signal -1
	s_barrier_wait -1
	ds_load_b64 v[52:53], v55
	s_mov_b32 s1, exec_lo
	v_cmpx_lt_u32_e32 46, v54
	s_cbranch_execz .LBB95_424
; %bb.423:
	ds_load_b64 v[32:33], v56 offset:376
	s_wait_dscnt 0x1
	v_pk_mul_f32 v[56:57], v[52:53], v[190:191] op_sel:[1,1] op_sel_hi:[0,1]
	s_delay_alu instid0(VALU_DEP_1) | instskip(SKIP_2) | instid1(VALU_DEP_2)
	v_pk_fma_f32 v[58:59], v[52:53], v[190:191], v[56:57] op_sel_hi:[1,0,1]
	v_pk_fma_f32 v[190:191], v[52:53], v[190:191], v[56:57] op_sel_hi:[1,0,1] neg_lo:[0,0,1] neg_hi:[0,0,1]
	s_wait_dscnt 0x0
	v_pk_mul_f32 v[56:57], v[32:33], v[58:59] op_sel:[1,1] op_sel_hi:[0,1]
	s_delay_alu instid0(VALU_DEP_1) | instskip(SKIP_1) | instid1(VALU_DEP_2)
	v_pk_fma_f32 v[76:77], v[32:33], v[190:191], v[56:57] op_sel_hi:[1,0,1]
	v_pk_fma_f32 v[32:33], v[32:33], v[190:191], v[56:57] neg_lo:[0,0,1] neg_hi:[0,0,1]
	v_dual_mov_b32 v191, v59 :: v_dual_mov_b32 v33, v77
	s_delay_alu instid0(VALU_DEP_1)
	v_pk_add_f32 v[192:193], v[192:193], v[32:33] neg_lo:[0,1] neg_hi:[0,1]
.LBB95_424:
	s_or_b32 exec_lo, exec_lo, s1
	s_delay_alu instid0(SALU_CYCLE_1)
	s_mov_b32 s2, exec_lo
	s_wait_dscnt 0x0
	s_barrier_signal -1
	s_barrier_wait -1
	v_cmpx_eq_u32_e32 47, v54
	s_cbranch_execz .LBB95_431
; %bb.425:
	v_cmp_neq_f32_e32 vcc_lo, 0, v192
	v_cmp_neq_f32_e64 s1, 0, v193
	ds_store_b64 v55, v[192:193]
	s_or_b32 s1, vcc_lo, s1
	s_delay_alu instid0(SALU_CYCLE_1)
	s_and_b32 exec_lo, exec_lo, s1
	s_cbranch_execz .LBB95_431
; %bb.426:
	v_cmp_ngt_f32_e64 s1, |v192|, |v193|
                                        ; implicit-def: $vgpr32_vgpr33
	s_and_saveexec_b32 s4, s1
	s_delay_alu instid0(SALU_CYCLE_1)
	s_xor_b32 s1, exec_lo, s4
	s_cbranch_execz .LBB95_428
; %bb.427:
	v_div_scale_f32 v32, null, v193, v193, v192
	v_div_scale_f32 v57, vcc_lo, v192, v193, v192
	s_delay_alu instid0(VALU_DEP_2) | instskip(SKIP_1) | instid1(TRANS32_DEP_1)
	v_rcp_f32_e32 v33, v32
	v_nop
	v_fma_f32 v56, -v32, v33, 1.0
	s_delay_alu instid0(VALU_DEP_1) | instskip(NEXT) | instid1(VALU_DEP_1)
	v_fmac_f32_e32 v33, v56, v33
	v_mul_f32_e32 v56, v57, v33
	s_delay_alu instid0(VALU_DEP_1) | instskip(NEXT) | instid1(VALU_DEP_1)
	v_fma_f32 v58, -v32, v56, v57
	v_fmac_f32_e32 v56, v58, v33
	s_delay_alu instid0(VALU_DEP_1) | instskip(NEXT) | instid1(VALU_DEP_1)
	v_fma_f32 v32, -v32, v56, v57
	v_div_fmas_f32 v32, v32, v33, v56
	s_delay_alu instid0(VALU_DEP_1) | instskip(NEXT) | instid1(VALU_DEP_1)
	v_div_fixup_f32 v32, v32, v193, v192
	v_fma_f32 v33, v192, v32, v193
	s_delay_alu instid0(VALU_DEP_1) | instskip(SKIP_1) | instid1(VALU_DEP_2)
	v_div_scale_f32 v56, null, v33, v33, 1.0
	v_div_scale_f32 v59, vcc_lo, 1.0, v33, 1.0
	v_rcp_f32_e32 v57, v56
	v_nop
	s_delay_alu instid0(TRANS32_DEP_1) | instskip(NEXT) | instid1(VALU_DEP_1)
	v_fma_f32 v58, -v56, v57, 1.0
	v_fmac_f32_e32 v57, v58, v57
	s_delay_alu instid0(VALU_DEP_1) | instskip(NEXT) | instid1(VALU_DEP_1)
	v_mul_f32_e32 v58, v59, v57
	v_fma_f32 v76, -v56, v58, v59
	s_delay_alu instid0(VALU_DEP_1) | instskip(NEXT) | instid1(VALU_DEP_1)
	v_fmac_f32_e32 v58, v76, v57
	v_fma_f32 v56, -v56, v58, v59
	s_delay_alu instid0(VALU_DEP_1) | instskip(NEXT) | instid1(VALU_DEP_1)
	v_div_fmas_f32 v56, v56, v57, v58
	v_div_fixup_f32 v33, v56, v33, 1.0
	s_delay_alu instid0(VALU_DEP_1)
	v_mul_f32_e32 v32, v32, v33
	v_xor_b32_e32 v33, 0x80000000, v33
.LBB95_428:
	s_and_not1_saveexec_b32 s1, s1
	s_cbranch_execz .LBB95_430
; %bb.429:
	v_div_scale_f32 v32, null, v192, v192, v193
	v_div_scale_f32 v57, vcc_lo, v193, v192, v193
	s_delay_alu instid0(VALU_DEP_2) | instskip(SKIP_1) | instid1(TRANS32_DEP_1)
	v_rcp_f32_e32 v33, v32
	v_nop
	v_fma_f32 v56, -v32, v33, 1.0
	s_delay_alu instid0(VALU_DEP_1) | instskip(NEXT) | instid1(VALU_DEP_1)
	v_fmac_f32_e32 v33, v56, v33
	v_mul_f32_e32 v56, v57, v33
	s_delay_alu instid0(VALU_DEP_1) | instskip(NEXT) | instid1(VALU_DEP_1)
	v_fma_f32 v58, -v32, v56, v57
	v_fmac_f32_e32 v56, v58, v33
	s_delay_alu instid0(VALU_DEP_1) | instskip(NEXT) | instid1(VALU_DEP_1)
	v_fma_f32 v32, -v32, v56, v57
	v_div_fmas_f32 v32, v32, v33, v56
	s_delay_alu instid0(VALU_DEP_1) | instskip(NEXT) | instid1(VALU_DEP_1)
	v_div_fixup_f32 v33, v32, v192, v193
	v_fma_f32 v32, v193, v33, v192
	s_delay_alu instid0(VALU_DEP_1) | instskip(NEXT) | instid1(VALU_DEP_1)
	v_div_scale_f32 v56, null, v32, v32, 1.0
	v_rcp_f32_e32 v57, v56
	v_nop
	s_delay_alu instid0(TRANS32_DEP_1) | instskip(NEXT) | instid1(VALU_DEP_1)
	v_fma_f32 v58, -v56, v57, 1.0
	v_fmac_f32_e32 v57, v58, v57
	v_div_scale_f32 v58, vcc_lo, 1.0, v32, 1.0
	s_delay_alu instid0(VALU_DEP_1) | instskip(NEXT) | instid1(VALU_DEP_1)
	v_mul_f32_e32 v59, v58, v57
	v_fma_f32 v76, -v56, v59, v58
	s_delay_alu instid0(VALU_DEP_1) | instskip(NEXT) | instid1(VALU_DEP_1)
	v_fmac_f32_e32 v59, v76, v57
	v_fma_f32 v56, -v56, v59, v58
	s_delay_alu instid0(VALU_DEP_1) | instskip(NEXT) | instid1(VALU_DEP_1)
	v_div_fmas_f32 v56, v56, v57, v59
	v_div_fixup_f32 v32, v56, v32, 1.0
	s_delay_alu instid0(VALU_DEP_1)
	v_mul_f32_e64 v33, v33, -v32
.LBB95_430:
	s_or_b32 exec_lo, exec_lo, s1
	ds_store_b64 v55, v[32:33]
.LBB95_431:
	s_or_b32 exec_lo, exec_lo, s2
	s_wait_dscnt 0x0
	s_barrier_signal -1
	s_barrier_wait -1
	ds_load_b64 v[32:33], v55
	s_wait_dscnt 0x0
	s_barrier_signal -1
	s_barrier_wait -1
	s_and_saveexec_b32 s2, s0
	s_cbranch_execz .LBB95_434
; %bb.432:
	scratch_load_b64 v[56:57], off, off offset:168 th:TH_LOAD_LU ; 8-byte Folded Reload
	s_wait_loadcnt 0x0
	v_cmp_eq_f32_e32 vcc_lo, 0, v56
	v_cmp_eq_f32_e64 s0, 0, v57
	s_and_b32 s1, vcc_lo, s0
	v_cmp_neq_f32_e32 vcc_lo, 0, v196
	v_cmp_neq_f32_e64 s0, 0, v197
	v_cndmask_b32_e64 v55, 0, 1, s1
	s_or_b32 s0, vcc_lo, s0
	s_delay_alu instid0(SALU_CYCLE_1) | instskip(SKIP_1) | instid1(VALU_DEP_2)
	s_or_b32 vcc_lo, s0, s1
	v_cmp_eq_f32_e64 s0, 0, v199
	v_cndmask_b32_e32 v55, 2, v55, vcc_lo
	v_cmp_eq_f32_e32 vcc_lo, 0, v198
	v_cmp_eq_f32_e64 s1, 0, v33
	s_and_b32 s0, vcc_lo, s0
	v_cmp_eq_u32_e32 vcc_lo, 0, v55
	s_and_b32 s0, s0, vcc_lo
	v_cmp_eq_f32_e32 vcc_lo, 0, v200
	v_cndmask_b32_e64 v55, v55, 3, s0
	v_cmp_eq_f32_e64 s0, 0, v201
	s_and_b32 s0, vcc_lo, s0
	v_cmp_eq_u32_e32 vcc_lo, 0, v55
	s_and_b32 s0, s0, vcc_lo
	v_cmp_eq_f32_e32 vcc_lo, 0, v202
	v_cndmask_b32_e64 v55, v55, 4, s0
	v_cmp_eq_f32_e64 s0, 0, v203
	s_and_b32 s0, vcc_lo, s0
	v_cmp_eq_u32_e32 vcc_lo, 0, v55
	s_and_b32 s0, s0, vcc_lo
	v_cmp_eq_f32_e32 vcc_lo, 0, v204
	v_cndmask_b32_e64 v55, v55, 5, s0
	v_cmp_eq_f32_e64 s0, 0, v205
	s_and_b32 s0, vcc_lo, s0
	v_cmp_eq_u32_e32 vcc_lo, 0, v55
	s_and_b32 s0, s0, vcc_lo
	v_cmp_eq_f32_e32 vcc_lo, 0, v206
	v_cndmask_b32_e64 v55, v55, 6, s0
	v_cmp_eq_f32_e64 s0, 0, v207
	s_and_b32 s0, vcc_lo, s0
	v_cmp_eq_u32_e32 vcc_lo, 0, v55
	s_and_b32 s0, s0, vcc_lo
	v_cmp_eq_f32_e32 vcc_lo, 0, v208
	v_cndmask_b32_e64 v55, v55, 7, s0
	v_cmp_eq_f32_e64 s0, 0, v209
	s_and_b32 s0, vcc_lo, s0
	v_cmp_eq_u32_e32 vcc_lo, 0, v55
	s_and_b32 s0, s0, vcc_lo
	v_cmp_eq_f32_e32 vcc_lo, 0, v210
	v_cndmask_b32_e64 v55, v55, 8, s0
	v_cmp_eq_f32_e64 s0, 0, v211
	s_and_b32 s0, vcc_lo, s0
	v_cmp_eq_u32_e32 vcc_lo, 0, v55
	s_and_b32 s0, s0, vcc_lo
	v_cmp_eq_f32_e32 vcc_lo, 0, v212
	v_cndmask_b32_e64 v55, v55, 9, s0
	v_cmp_eq_f32_e64 s0, 0, v213
	s_and_b32 s0, vcc_lo, s0
	v_cmp_eq_u32_e32 vcc_lo, 0, v55
	s_and_b32 s0, s0, vcc_lo
	v_cmp_eq_f32_e32 vcc_lo, 0, v214
	v_cndmask_b32_e64 v55, v55, 10, s0
	v_cmp_eq_f32_e64 s0, 0, v215
	s_and_b32 s0, vcc_lo, s0
	v_cmp_eq_u32_e32 vcc_lo, 0, v55
	s_and_b32 s0, s0, vcc_lo
	v_cmp_eq_f32_e32 vcc_lo, 0, v216
	v_cndmask_b32_e64 v55, v55, 11, s0
	v_cmp_eq_f32_e64 s0, 0, v217
	s_and_b32 s0, vcc_lo, s0
	v_cmp_eq_u32_e32 vcc_lo, 0, v55
	s_and_b32 s0, s0, vcc_lo
	v_cmp_eq_f32_e32 vcc_lo, 0, v218
	v_cndmask_b32_e64 v55, v55, 12, s0
	v_cmp_eq_f32_e64 s0, 0, v219
	s_and_b32 s0, vcc_lo, s0
	v_cmp_eq_u32_e32 vcc_lo, 0, v55
	s_and_b32 s0, s0, vcc_lo
	v_cmp_eq_f32_e32 vcc_lo, 0, v220
	v_cndmask_b32_e64 v55, v55, 13, s0
	v_cmp_eq_f32_e64 s0, 0, v221
	s_and_b32 s0, vcc_lo, s0
	v_cmp_eq_u32_e32 vcc_lo, 0, v55
	s_and_b32 s0, s0, vcc_lo
	v_cmp_eq_f32_e32 vcc_lo, 0, v222
	v_cndmask_b32_e64 v55, v55, 14, s0
	v_cmp_eq_f32_e64 s0, 0, v223
	s_and_b32 s0, vcc_lo, s0
	v_cmp_eq_u32_e32 vcc_lo, 0, v55
	s_and_b32 s0, s0, vcc_lo
	v_cmp_eq_f32_e32 vcc_lo, 0, v224
	v_cndmask_b32_e64 v55, v55, 15, s0
	v_cmp_eq_f32_e64 s0, 0, v225
	s_and_b32 s0, vcc_lo, s0
	v_cmp_eq_u32_e32 vcc_lo, 0, v55
	s_and_b32 s0, s0, vcc_lo
	v_cmp_eq_f32_e32 vcc_lo, 0, v226
	v_cndmask_b32_e64 v55, v55, 16, s0
	v_cmp_eq_f32_e64 s0, 0, v227
	s_and_b32 s0, vcc_lo, s0
	v_cmp_eq_u32_e32 vcc_lo, 0, v55
	s_and_b32 s0, s0, vcc_lo
	v_cmp_eq_f32_e32 vcc_lo, 0, v228
	v_cndmask_b32_e64 v55, v55, 17, s0
	v_cmp_eq_f32_e64 s0, 0, v229
	s_and_b32 s0, vcc_lo, s0
	v_cmp_eq_u32_e32 vcc_lo, 0, v55
	s_and_b32 s0, s0, vcc_lo
	v_cmp_eq_f32_e32 vcc_lo, 0, v230
	v_cndmask_b32_e64 v55, v55, 18, s0
	v_cmp_eq_f32_e64 s0, 0, v231
	s_and_b32 s0, vcc_lo, s0
	v_cmp_eq_u32_e32 vcc_lo, 0, v55
	s_and_b32 s0, s0, vcc_lo
	v_cmp_eq_f32_e32 vcc_lo, 0, v232
	v_cndmask_b32_e64 v55, v55, 19, s0
	v_cmp_eq_f32_e64 s0, 0, v233
	s_and_b32 s0, vcc_lo, s0
	v_cmp_eq_u32_e32 vcc_lo, 0, v55
	s_and_b32 s0, s0, vcc_lo
	v_cmp_eq_f32_e32 vcc_lo, 0, v234
	v_cndmask_b32_e64 v55, v55, 20, s0
	v_cmp_eq_f32_e64 s0, 0, v235
	s_and_b32 s0, vcc_lo, s0
	v_cmp_eq_u32_e32 vcc_lo, 0, v55
	s_and_b32 s0, s0, vcc_lo
	v_cmp_eq_f32_e32 vcc_lo, 0, v236
	v_cndmask_b32_e64 v55, v55, 21, s0
	v_cmp_eq_f32_e64 s0, 0, v237
	s_and_b32 s0, vcc_lo, s0
	v_cmp_eq_u32_e32 vcc_lo, 0, v55
	s_and_b32 s0, s0, vcc_lo
	v_cmp_eq_f32_e32 vcc_lo, 0, v238
	v_cndmask_b32_e64 v55, v55, 22, s0
	v_cmp_eq_f32_e64 s0, 0, v239
	s_and_b32 s0, vcc_lo, s0
	v_cmp_eq_u32_e32 vcc_lo, 0, v55
	s_and_b32 s0, s0, vcc_lo
	v_cmp_eq_f32_e32 vcc_lo, 0, v240
	v_cndmask_b32_e64 v55, v55, 23, s0
	v_cmp_eq_f32_e64 s0, 0, v241
	s_and_b32 s0, vcc_lo, s0
	v_cmp_eq_u32_e32 vcc_lo, 0, v55
	s_and_b32 s0, s0, vcc_lo
	v_cmp_eq_f32_e32 vcc_lo, 0, v242
	v_cndmask_b32_e64 v55, v55, 24, s0
	v_cmp_eq_f32_e64 s0, 0, v243
	s_and_b32 s0, vcc_lo, s0
	v_cmp_eq_u32_e32 vcc_lo, 0, v55
	s_and_b32 s0, s0, vcc_lo
	v_cmp_eq_f32_e32 vcc_lo, 0, v244
	v_cndmask_b32_e64 v55, v55, 25, s0
	v_cmp_eq_f32_e64 s0, 0, v245
	s_and_b32 s0, vcc_lo, s0
	v_cmp_eq_u32_e32 vcc_lo, 0, v55
	s_and_b32 s0, s0, vcc_lo
	v_cmp_eq_f32_e32 vcc_lo, 0, v246
	v_cndmask_b32_e64 v55, v55, 26, s0
	v_cmp_eq_f32_e64 s0, 0, v247
	s_and_b32 s0, vcc_lo, s0
	v_cmp_eq_u32_e32 vcc_lo, 0, v55
	s_and_b32 s0, s0, vcc_lo
	v_cmp_eq_f32_e32 vcc_lo, 0, v248
	v_cndmask_b32_e64 v55, v55, 27, s0
	v_cmp_eq_f32_e64 s0, 0, v249
	s_and_b32 s0, vcc_lo, s0
	v_cmp_eq_u32_e32 vcc_lo, 0, v55
	s_and_b32 s0, s0, vcc_lo
	v_cmp_eq_f32_e32 vcc_lo, 0, v250
	v_cndmask_b32_e64 v55, v55, 28, s0
	v_cmp_eq_f32_e64 s0, 0, v251
	s_and_b32 s0, vcc_lo, s0
	v_cmp_eq_u32_e32 vcc_lo, 0, v55
	s_and_b32 s0, s0, vcc_lo
	v_cmp_eq_f32_e32 vcc_lo, 0, v252
	v_cndmask_b32_e64 v55, v55, 29, s0
	v_cmp_eq_f32_e64 s0, 0, v253
	s_and_b32 s0, vcc_lo, s0
	v_cmp_eq_u32_e32 vcc_lo, 0, v55
	s_and_b32 s0, s0, vcc_lo
	v_cmp_eq_f32_e32 vcc_lo, 0, v254
	v_cndmask_b32_e64 v55, v55, 30, s0
	v_cmp_eq_f32_e64 s0, 0, v255
	s_and_b32 s0, vcc_lo, s0
	v_cmp_eq_u32_e32 vcc_lo, 0, v55
	s_and_b32 s0, s0, vcc_lo
	v_cmp_eq_f32_e32 vcc_lo, 0, v0
	v_cndmask_b32_e64 v55, v55, 31, s0
	v_cmp_eq_f32_e64 s0, 0, v1
	s_and_b32 s0, vcc_lo, s0
	v_cmp_eq_u32_e32 vcc_lo, 0, v55
	s_and_b32 s0, s0, vcc_lo
	v_cmp_eq_f32_e32 vcc_lo, 0, v2
	v_cndmask_b32_e64 v0, v55, 32, s0
	v_cmp_eq_f32_e64 s0, 0, v3
	s_and_b32 s0, vcc_lo, s0
	v_cmp_eq_u32_e32 vcc_lo, 0, v0
	s_and_b32 s0, s0, vcc_lo
	v_cmp_eq_f32_e32 vcc_lo, 0, v4
	v_cndmask_b32_e64 v0, v0, 33, s0
	v_cmp_eq_f32_e64 s0, 0, v5
	s_and_b32 s0, vcc_lo, s0
	v_cmp_eq_u32_e32 vcc_lo, 0, v0
	s_and_b32 s0, s0, vcc_lo
	v_cmp_eq_f32_e32 vcc_lo, 0, v6
	v_cndmask_b32_e64 v0, v0, 34, s0
	v_cmp_eq_f32_e64 s0, 0, v7
	s_and_b32 s0, vcc_lo, s0
	v_cmp_eq_u32_e32 vcc_lo, 0, v0
	s_and_b32 s0, s0, vcc_lo
	v_cmp_eq_f32_e32 vcc_lo, 0, v8
	v_cndmask_b32_e64 v0, v0, 35, s0
	v_cmp_eq_f32_e64 s0, 0, v9
	s_and_b32 s0, vcc_lo, s0
	v_cmp_eq_u32_e32 vcc_lo, 0, v0
	s_and_b32 s0, s0, vcc_lo
	v_cmp_eq_f32_e32 vcc_lo, 0, v10
	v_cndmask_b32_e64 v0, v0, 36, s0
	v_cmp_eq_f32_e64 s0, 0, v11
	s_and_b32 s0, vcc_lo, s0
	v_cmp_eq_u32_e32 vcc_lo, 0, v0
	s_and_b32 s0, s0, vcc_lo
	v_cmp_eq_f32_e32 vcc_lo, 0, v12
	v_cndmask_b32_e64 v0, v0, 37, s0
	v_cmp_eq_f32_e64 s0, 0, v13
	s_and_b32 s0, vcc_lo, s0
	v_cmp_eq_u32_e32 vcc_lo, 0, v0
	s_and_b32 s0, s0, vcc_lo
	v_cmp_eq_f32_e32 vcc_lo, 0, v14
	v_cndmask_b32_e64 v0, v0, 38, s0
	v_cmp_eq_f32_e64 s0, 0, v15
	s_and_b32 s0, vcc_lo, s0
	v_cmp_eq_u32_e32 vcc_lo, 0, v0
	s_and_b32 s0, s0, vcc_lo
	v_cmp_eq_f32_e32 vcc_lo, 0, v18
	v_cndmask_b32_e64 v0, v0, 39, s0
	v_cmp_eq_f32_e64 s0, 0, v19
	s_and_b32 s0, vcc_lo, s0
	v_cmp_eq_u32_e32 vcc_lo, 0, v0
	s_and_b32 s0, s0, vcc_lo
	v_cmp_eq_f32_e32 vcc_lo, 0, v20
	v_cndmask_b32_e64 v0, v0, 40, s0
	v_cmp_eq_f32_e64 s0, 0, v21
	s_and_b32 s0, vcc_lo, s0
	v_cmp_eq_u32_e32 vcc_lo, 0, v0
	s_and_b32 s0, s0, vcc_lo
	v_cmp_eq_f32_e32 vcc_lo, 0, v22
	v_cndmask_b32_e64 v0, v0, 41, s0
	v_cmp_eq_f32_e64 s0, 0, v23
	s_and_b32 s0, vcc_lo, s0
	v_cmp_eq_u32_e32 vcc_lo, 0, v0
	s_and_b32 s0, s0, vcc_lo
	v_cmp_eq_f32_e32 vcc_lo, 0, v24
	v_cndmask_b32_e64 v0, v0, 42, s0
	v_cmp_eq_f32_e64 s0, 0, v25
	s_and_b32 s0, vcc_lo, s0
	v_cmp_eq_u32_e32 vcc_lo, 0, v0
	s_and_b32 s0, s0, vcc_lo
	v_cmp_eq_f32_e32 vcc_lo, 0, v38
	v_cndmask_b32_e64 v0, v0, 43, s0
	v_cmp_eq_f32_e64 s0, 0, v39
	s_and_b32 s0, vcc_lo, s0
	v_cmp_eq_u32_e32 vcc_lo, 0, v0
	s_and_b32 s0, s0, vcc_lo
	v_cmp_eq_f32_e32 vcc_lo, 0, v40
	v_cndmask_b32_e64 v0, v0, 44, s0
	v_cmp_eq_f32_e64 s0, 0, v41
	s_and_b32 s0, vcc_lo, s0
	v_cmp_eq_u32_e32 vcc_lo, 0, v0
	s_and_b32 s0, s0, vcc_lo
	v_cmp_eq_f32_e32 vcc_lo, 0, v42
	v_cndmask_b32_e64 v0, v0, 45, s0
	v_cmp_eq_f32_e64 s0, 0, v43
	s_and_b32 s0, vcc_lo, s0
	v_cmp_eq_u32_e32 vcc_lo, 0, v0
	s_and_b32 s0, s0, vcc_lo
	v_cmp_eq_f32_e32 vcc_lo, 0, v52
	v_cndmask_b32_e64 v0, v0, 46, s0
	v_cmp_eq_f32_e64 s0, 0, v53
	s_and_b32 s0, vcc_lo, s0
	v_cmp_eq_u32_e32 vcc_lo, 0, v0
	s_and_b32 s0, s0, vcc_lo
	s_delay_alu instid0(SALU_CYCLE_1) | instskip(SKIP_1) | instid1(VALU_DEP_2)
	v_cndmask_b32_e64 v0, v0, 47, s0
	v_cmp_eq_f32_e64 s0, 0, v32
	v_cmp_eq_u32_e32 vcc_lo, 0, v0
	s_and_b32 s0, s0, s1
	s_delay_alu instid0(SALU_CYCLE_1) | instskip(NEXT) | instid1(SALU_CYCLE_1)
	s_and_b32 s0, s0, vcc_lo
	v_cndmask_b32_e64 v2, v0, 48, s0
	v_lshl_add_u64 v[0:1], v[176:177], 2, s[6:7]
	s_delay_alu instid0(VALU_DEP_2) | instskip(SKIP_4) | instid1(SALU_CYCLE_1)
	v_cmp_ne_u32_e64 s0, 0, v2
	global_load_b32 v3, v[0:1], off
	s_wait_loadcnt 0x0
	v_cmp_eq_u32_e32 vcc_lo, 0, v3
	s_and_b32 s0, vcc_lo, s0
	s_and_b32 exec_lo, exec_lo, s0
	s_cbranch_execz .LBB95_434
; %bb.433:
	v_add_nc_u32_e32 v2, s3, v2
	global_store_b32 v[0:1], v2, off
.LBB95_434:
	s_wait_xcnt 0x0
	s_or_b32 exec_lo, exec_lo, s2
	v_pk_mul_f32 v[0:1], v[32:33], v[192:193] op_sel:[1,1] op_sel_hi:[0,1]
	v_cmp_lt_u32_e32 vcc_lo, 47, v54
	s_clause 0x1a
	global_store_b64 v[16:17], v[64:65], off
	global_store_b64 v[132:133], v[66:67], off
	;; [unrolled: 1-line block ×27, first 2 shown]
	v_pk_fma_f32 v[2:3], v[32:33], v[192:193], v[0:1] op_sel_hi:[1,0,1]
	v_pk_fma_f32 v[0:1], v[32:33], v[192:193], v[0:1] neg_lo:[0,0,1] neg_hi:[0,0,1]
	s_delay_alu instid0(VALU_DEP_1)
	v_dual_cndmask_b32 v1, v193, v3 :: v_dual_cndmask_b32 v0, v192, v0
	scratch_load_b64 v[2:3], off, off th:TH_LOAD_LU ; 8-byte Folded Reload
	s_wait_loadcnt 0x0
	global_store_b64 v[2:3], v[106:107], off
	scratch_load_b64 v[2:3], off, off offset:8 th:TH_LOAD_LU ; 8-byte Folded Reload
	s_wait_loadcnt 0x0
	global_store_b64 v[2:3], v[128:129], off
	scratch_load_b64 v[2:3], off, off offset:16 th:TH_LOAD_LU ; 8-byte Folded Reload
	s_wait_loadcnt 0x0
	global_store_b64 v[2:3], v[124:125], off
	scratch_load_b64 v[2:3], off, off offset:24 th:TH_LOAD_LU ; 8-byte Folded Reload
	s_wait_loadcnt 0x0
	global_store_b64 v[2:3], v[126:127], off
	scratch_load_b64 v[2:3], off, off offset:32 th:TH_LOAD_LU ; 8-byte Folded Reload
	s_wait_loadcnt 0x0
	global_store_b64 v[2:3], v[122:123], off
	scratch_load_b64 v[2:3], off, off offset:40 th:TH_LOAD_LU ; 8-byte Folded Reload
	s_wait_loadcnt 0x0
	global_store_b64 v[2:3], v[144:145], off
	scratch_load_b64 v[2:3], off, off offset:48 th:TH_LOAD_LU ; 8-byte Folded Reload
	s_wait_loadcnt 0x0
	global_store_b64 v[2:3], v[140:141], off
	scratch_load_b64 v[2:3], off, off offset:56 th:TH_LOAD_LU ; 8-byte Folded Reload
	s_wait_loadcnt 0x0
	global_store_b64 v[2:3], v[142:143], off
	scratch_load_b64 v[2:3], off, off offset:64 th:TH_LOAD_LU ; 8-byte Folded Reload
	s_wait_loadcnt 0x0
	global_store_b64 v[2:3], v[138:139], off
	scratch_load_b64 v[2:3], off, off offset:72 th:TH_LOAD_LU ; 8-byte Folded Reload
	s_wait_loadcnt 0x0
	global_store_b64 v[2:3], v[164:165], off
	scratch_load_b64 v[2:3], off, off offset:80 th:TH_LOAD_LU ; 8-byte Folded Reload
	s_wait_loadcnt 0x0
	global_store_b64 v[2:3], v[160:161], off
	scratch_load_b64 v[2:3], off, off offset:88 th:TH_LOAD_LU ; 8-byte Folded Reload
	s_wait_loadcnt 0x0
	global_store_b64 v[2:3], v[162:163], off
	scratch_load_b64 v[2:3], off, off offset:96 th:TH_LOAD_LU ; 8-byte Folded Reload
	s_wait_loadcnt 0x0
	global_store_b64 v[2:3], v[158:159], off
	scratch_load_b64 v[2:3], off, off offset:104 th:TH_LOAD_LU ; 8-byte Folded Reload
	s_wait_loadcnt 0x0
	global_store_b64 v[2:3], v[188:189], off
	scratch_load_b64 v[2:3], off, off offset:112 th:TH_LOAD_LU ; 8-byte Folded Reload
	s_wait_loadcnt 0x0
	global_store_b64 v[2:3], v[182:183], off
	scratch_load_b64 v[2:3], off, off offset:120 th:TH_LOAD_LU ; 8-byte Folded Reload
	s_wait_loadcnt 0x0
	global_store_b64 v[2:3], v[186:187], off
	scratch_load_b64 v[2:3], off, off offset:136 th:TH_LOAD_LU ; 8-byte Folded Reload
	s_wait_loadcnt 0x0
	global_store_b64 v[2:3], v[180:181], off
	scratch_load_b64 v[2:3], off, off offset:144 th:TH_LOAD_LU ; 8-byte Folded Reload
	s_wait_loadcnt 0x0
	global_store_b64 v[2:3], v[184:185], off
	scratch_load_b64 v[2:3], off, off offset:152 th:TH_LOAD_LU ; 8-byte Folded Reload
	s_wait_loadcnt 0x0
	global_store_b64 v[2:3], v[178:179], off
	scratch_load_b64 v[2:3], off, off offset:160 th:TH_LOAD_LU ; 8-byte Folded Reload
	s_wait_loadcnt 0x0
	global_store_b64 v[2:3], v[190:191], off
	scratch_load_b64 v[2:3], off, off offset:128 th:TH_LOAD_LU ; 8-byte Folded Reload
	s_wait_loadcnt 0x0
	global_store_b64 v[2:3], v[0:1], off
.LBB95_435:
	s_sendmsg sendmsg(MSG_DEALLOC_VGPRS)
	s_endpgm
	.section	.rodata,"a",@progbits
	.p2align	6, 0x0
	.amdhsa_kernel _ZN9rocsolver6v33100L23getf2_npvt_small_kernelILi48E19rocblas_complex_numIfEiiPS3_EEvT1_T3_lS5_lPT2_S5_S5_
		.amdhsa_group_segment_fixed_size 0
		.amdhsa_private_segment_fixed_size 188
		.amdhsa_kernarg_size 312
		.amdhsa_user_sgpr_count 2
		.amdhsa_user_sgpr_dispatch_ptr 0
		.amdhsa_user_sgpr_queue_ptr 0
		.amdhsa_user_sgpr_kernarg_segment_ptr 1
		.amdhsa_user_sgpr_dispatch_id 0
		.amdhsa_user_sgpr_kernarg_preload_length 0
		.amdhsa_user_sgpr_kernarg_preload_offset 0
		.amdhsa_user_sgpr_private_segment_size 0
		.amdhsa_wavefront_size32 1
		.amdhsa_uses_dynamic_stack 0
		.amdhsa_enable_private_segment 1
		.amdhsa_system_sgpr_workgroup_id_x 1
		.amdhsa_system_sgpr_workgroup_id_y 1
		.amdhsa_system_sgpr_workgroup_id_z 0
		.amdhsa_system_sgpr_workgroup_info 0
		.amdhsa_system_vgpr_workitem_id 1
		.amdhsa_next_free_vgpr 256
		.amdhsa_next_free_sgpr 15
		.amdhsa_named_barrier_count 0
		.amdhsa_reserve_vcc 1
		.amdhsa_float_round_mode_32 0
		.amdhsa_float_round_mode_16_64 0
		.amdhsa_float_denorm_mode_32 3
		.amdhsa_float_denorm_mode_16_64 3
		.amdhsa_fp16_overflow 0
		.amdhsa_memory_ordered 1
		.amdhsa_forward_progress 1
		.amdhsa_inst_pref_size 255
		.amdhsa_round_robin_scheduling 0
		.amdhsa_exception_fp_ieee_invalid_op 0
		.amdhsa_exception_fp_denorm_src 0
		.amdhsa_exception_fp_ieee_div_zero 0
		.amdhsa_exception_fp_ieee_overflow 0
		.amdhsa_exception_fp_ieee_underflow 0
		.amdhsa_exception_fp_ieee_inexact 0
		.amdhsa_exception_int_div_zero 0
	.end_amdhsa_kernel
	.section	.text._ZN9rocsolver6v33100L23getf2_npvt_small_kernelILi48E19rocblas_complex_numIfEiiPS3_EEvT1_T3_lS5_lPT2_S5_S5_,"axG",@progbits,_ZN9rocsolver6v33100L23getf2_npvt_small_kernelILi48E19rocblas_complex_numIfEiiPS3_EEvT1_T3_lS5_lPT2_S5_S5_,comdat
.Lfunc_end95:
	.size	_ZN9rocsolver6v33100L23getf2_npvt_small_kernelILi48E19rocblas_complex_numIfEiiPS3_EEvT1_T3_lS5_lPT2_S5_S5_, .Lfunc_end95-_ZN9rocsolver6v33100L23getf2_npvt_small_kernelILi48E19rocblas_complex_numIfEiiPS3_EEvT1_T3_lS5_lPT2_S5_S5_
                                        ; -- End function
	.set _ZN9rocsolver6v33100L23getf2_npvt_small_kernelILi48E19rocblas_complex_numIfEiiPS3_EEvT1_T3_lS5_lPT2_S5_S5_.num_vgpr, 256
	.set _ZN9rocsolver6v33100L23getf2_npvt_small_kernelILi48E19rocblas_complex_numIfEiiPS3_EEvT1_T3_lS5_lPT2_S5_S5_.num_agpr, 0
	.set _ZN9rocsolver6v33100L23getf2_npvt_small_kernelILi48E19rocblas_complex_numIfEiiPS3_EEvT1_T3_lS5_lPT2_S5_S5_.numbered_sgpr, 15
	.set _ZN9rocsolver6v33100L23getf2_npvt_small_kernelILi48E19rocblas_complex_numIfEiiPS3_EEvT1_T3_lS5_lPT2_S5_S5_.num_named_barrier, 0
	.set _ZN9rocsolver6v33100L23getf2_npvt_small_kernelILi48E19rocblas_complex_numIfEiiPS3_EEvT1_T3_lS5_lPT2_S5_S5_.private_seg_size, 188
	.set _ZN9rocsolver6v33100L23getf2_npvt_small_kernelILi48E19rocblas_complex_numIfEiiPS3_EEvT1_T3_lS5_lPT2_S5_S5_.uses_vcc, 1
	.set _ZN9rocsolver6v33100L23getf2_npvt_small_kernelILi48E19rocblas_complex_numIfEiiPS3_EEvT1_T3_lS5_lPT2_S5_S5_.uses_flat_scratch, 1
	.set _ZN9rocsolver6v33100L23getf2_npvt_small_kernelILi48E19rocblas_complex_numIfEiiPS3_EEvT1_T3_lS5_lPT2_S5_S5_.has_dyn_sized_stack, 0
	.set _ZN9rocsolver6v33100L23getf2_npvt_small_kernelILi48E19rocblas_complex_numIfEiiPS3_EEvT1_T3_lS5_lPT2_S5_S5_.has_recursion, 0
	.set _ZN9rocsolver6v33100L23getf2_npvt_small_kernelILi48E19rocblas_complex_numIfEiiPS3_EEvT1_T3_lS5_lPT2_S5_S5_.has_indirect_call, 0
	.section	.AMDGPU.csdata,"",@progbits
; Kernel info:
; codeLenInByte = 98480
; TotalNumSgprs: 17
; NumVgprs: 256
; ScratchSize: 188
; MemoryBound: 0
; FloatMode: 240
; IeeeMode: 1
; LDSByteSize: 0 bytes/workgroup (compile time only)
; SGPRBlocks: 0
; VGPRBlocks: 15
; NumSGPRsForWavesPerEU: 17
; NumVGPRsForWavesPerEU: 256
; NamedBarCnt: 0
; Occupancy: 4
; WaveLimiterHint : 0
; COMPUTE_PGM_RSRC2:SCRATCH_EN: 1
; COMPUTE_PGM_RSRC2:USER_SGPR: 2
; COMPUTE_PGM_RSRC2:TRAP_HANDLER: 0
; COMPUTE_PGM_RSRC2:TGID_X_EN: 1
; COMPUTE_PGM_RSRC2:TGID_Y_EN: 1
; COMPUTE_PGM_RSRC2:TGID_Z_EN: 0
; COMPUTE_PGM_RSRC2:TIDIG_COMP_CNT: 1
	.section	.text._ZN9rocsolver6v33100L18getf2_small_kernelILi49E19rocblas_complex_numIfEiiPS3_EEvT1_T3_lS5_lPS5_llPT2_S5_S5_S7_l,"axG",@progbits,_ZN9rocsolver6v33100L18getf2_small_kernelILi49E19rocblas_complex_numIfEiiPS3_EEvT1_T3_lS5_lPS5_llPT2_S5_S5_S7_l,comdat
	.globl	_ZN9rocsolver6v33100L18getf2_small_kernelILi49E19rocblas_complex_numIfEiiPS3_EEvT1_T3_lS5_lPS5_llPT2_S5_S5_S7_l ; -- Begin function _ZN9rocsolver6v33100L18getf2_small_kernelILi49E19rocblas_complex_numIfEiiPS3_EEvT1_T3_lS5_lPS5_llPT2_S5_S5_S7_l
	.p2align	8
	.type	_ZN9rocsolver6v33100L18getf2_small_kernelILi49E19rocblas_complex_numIfEiiPS3_EEvT1_T3_lS5_lPS5_llPT2_S5_S5_S7_l,@function
_ZN9rocsolver6v33100L18getf2_small_kernelILi49E19rocblas_complex_numIfEiiPS3_EEvT1_T3_lS5_lPS5_llPT2_S5_S5_S7_l: ; @_ZN9rocsolver6v33100L18getf2_small_kernelILi49E19rocblas_complex_numIfEiiPS3_EEvT1_T3_lS5_lPS5_llPT2_S5_S5_S7_l
; %bb.0:
	s_clause 0x1
	s_load_u16 s2, s[0:1], 0x6e
	s_load_b64 s[16:17], s[0:1], 0x48
	s_bfe_u32 s3, ttmp6, 0x40010
	s_bfe_u32 s4, ttmp6, 0x40004
	s_add_co_i32 s3, s3, 1
	s_getreg_b32 s5, hwreg(HW_REG_IB_STS2, 6, 4)
	s_mul_i32 s3, ttmp7, s3
	v_bfe_u32 v106, v0, 10, 10
	s_add_co_i32 s4, s4, s3
	s_cmp_eq_u32 s5, 0
	s_cselect_b32 s3, ttmp7, s4
	s_wait_kmcnt 0x0
	v_mad_u32 v2, s3, s2, v106
	s_mov_b32 s2, exec_lo
	s_delay_alu instid0(VALU_DEP_1)
	v_cmpx_gt_i32_e64 s16, v2
	s_cbranch_execz .LBB96_1030
; %bb.1:
	s_load_b128 s[4:7], s[0:1], 0x50
	v_mov_b64_e32 v[4:5], 0
	v_ashrrev_i32_e32 v3, 31, v2
	s_wait_kmcnt 0x0
	s_cmp_eq_u64 s[4:5], 0
	s_cselect_b32 s16, -1, 0
	s_delay_alu instid0(SALU_CYCLE_1)
	s_and_b32 vcc_lo, exec_lo, s16
	s_cbranch_vccnz .LBB96_3
; %bb.2:
	v_mul_u64_e32 v[4:5], s[6:7], v[2:3]
	s_delay_alu instid0(VALU_DEP_1)
	v_lshl_add_u64 v[4:5], v[4:5], 2, s[4:5]
.LBB96_3:
	s_clause 0x2
	s_load_b32 s2, s[0:1], 0x18
	s_load_b128 s[12:15], s[0:1], 0x8
	s_load_b32 s18, s[0:1], 0x0
	v_and_b32_e32 v111, 0x3ff, v0
	s_load_b256 s[4:11], s[0:1], 0x20
	s_delay_alu instid0(VALU_DEP_1) | instskip(SKIP_4) | instid1(VALU_DEP_2)
	v_dual_mov_b32 v105, 0 :: v_dual_lshlrev_b32 v104, 3, v111
	s_wait_kmcnt 0x0
	v_add3_u32 v6, s2, s2, v111
	s_ashr_i32 s3, s2, 31
	v_mul_u64_e32 v[0:1], s[4:5], v[2:3]
	v_add_nc_u32_e32 v8, s2, v6
	s_max_i32 s4, s18, 49
	s_cmp_lt_i32 s18, 2
	s_delay_alu instid0(VALU_DEP_1) | instskip(NEXT) | instid1(VALU_DEP_1)
	v_add_nc_u32_e32 v10, s2, v8
	v_add_nc_u32_e32 v12, s2, v10
	s_delay_alu instid0(VALU_DEP_1) | instskip(NEXT) | instid1(VALU_DEP_1)
	v_add_nc_u32_e32 v14, s2, v12
	v_dual_ashrrev_i32 v9, 31, v8 :: v_dual_add_nc_u32 v16, s2, v14
	s_delay_alu instid0(VALU_DEP_1) | instskip(SKIP_1) | instid1(VALU_DEP_1)
	v_dual_ashrrev_i32 v15, 31, v14 :: v_dual_ashrrev_i32 v17, 31, v16
	v_dual_add_nc_u32 v18, s2, v16 :: v_dual_ashrrev_i32 v11, 31, v10
	v_dual_ashrrev_i32 v13, 31, v12 :: v_dual_add_nc_u32 v20, s2, v18
	v_lshl_add_u64 v[0:1], v[0:1], 3, s[12:13]
	s_delay_alu instid0(VALU_DEP_2) | instskip(NEXT) | instid1(VALU_DEP_2)
	v_add_nc_u32_e32 v22, s2, v20
	v_lshl_add_u64 v[0:1], s[14:15], 3, v[0:1]
	s_delay_alu instid0(VALU_DEP_2) | instskip(NEXT) | instid1(VALU_DEP_2)
	v_add_nc_u32_e32 v24, s2, v22
	v_lshl_add_u64 v[10:11], v[10:11], 3, v[0:1]
	v_add_nc_u64_e32 v[42:43], v[0:1], v[104:105]
	v_lshl_add_u64 v[12:13], v[12:13], 3, v[0:1]
	v_lshl_add_u64 v[14:15], v[14:15], 3, v[0:1]
	v_add_nc_u32_e32 v26, s2, v24
	v_lshl_add_u64 v[16:17], v[16:17], 3, v[0:1]
	s_clause 0x3
	global_load_b64 v[92:93], v[10:11], off
	global_load_b64 v[52:53], v[12:13], off
	;; [unrolled: 1-line block ×4, first 2 shown]
	v_lshl_add_u64 v[8:9], v[8:9], 3, v[0:1]
	v_add_nc_u32_e32 v28, s2, v26
	s_wait_xcnt 0x3
	v_lshl_add_u64 v[10:11], s[2:3], 3, v[42:43]
	v_dual_ashrrev_i32 v21, 31, v20 :: v_dual_ashrrev_i32 v23, 31, v22
	s_delay_alu instid0(VALU_DEP_3) | instskip(SKIP_1) | instid1(VALU_DEP_3)
	v_dual_ashrrev_i32 v27, 31, v26 :: v_dual_add_nc_u32 v30, s2, v28
	v_ashrrev_i32_e32 v25, 31, v24
	v_lshl_add_u64 v[20:21], v[20:21], 3, v[0:1]
	s_wait_xcnt 0x2
	v_lshl_add_u64 v[12:13], v[22:23], 3, v[0:1]
	v_dual_ashrrev_i32 v29, 31, v28 :: v_dual_add_nc_u32 v32, s2, v30
	v_ashrrev_i32_e32 v31, 31, v30
	s_wait_xcnt 0x0
	s_delay_alu instid0(VALU_DEP_2) | instskip(NEXT) | instid1(VALU_DEP_3)
	v_lshl_add_u64 v[16:17], v[28:29], 3, v[0:1]
	v_add_nc_u32_e32 v34, s2, v32
	s_delay_alu instid0(VALU_DEP_1) | instskip(NEXT) | instid1(VALU_DEP_1)
	v_add_nc_u32_e32 v36, s2, v34
	v_dual_ashrrev_i32 v7, 31, v6 :: v_dual_add_nc_u32 v38, s2, v36
	s_delay_alu instid0(VALU_DEP_1)
	v_lshl_add_u64 v[6:7], v[6:7], 3, v[0:1]
	s_clause 0x3
	global_load_b64 v[96:97], v[6:7], off
	global_load_b64 v[94:95], v[8:9], off
	;; [unrolled: 1-line block ×4, first 2 shown]
	v_add_nc_u32_e32 v40, s2, v38
	v_ashrrev_i32_e32 v19, 31, v18
	s_wait_xcnt 0x3
	v_lshl_add_u64 v[6:7], v[24:25], 3, v[0:1]
	s_wait_xcnt 0x0
	v_lshl_add_u64 v[10:11], v[26:27], 3, v[0:1]
	v_dual_ashrrev_i32 v39, 31, v38 :: v_dual_ashrrev_i32 v41, 31, v40
	v_add_nc_u32_e32 v44, s2, v40
	v_lshl_add_u64 v[18:19], v[18:19], 3, v[0:1]
	s_clause 0x3
	global_load_b64 v[66:67], v[18:19], off
	global_load_b64 v[62:63], v[20:21], off
	;; [unrolled: 1-line block ×4, first 2 shown]
	v_add_nc_u32_e32 v46, s2, v44
	v_lshl_add_u64 v[24:25], v[38:39], 3, v[0:1]
	v_lshl_add_u64 v[26:27], v[40:41], 3, v[0:1]
	s_wait_xcnt 0x3
	v_lshl_add_u64 v[18:19], v[30:31], 3, v[0:1]
	v_dual_ashrrev_i32 v37, 31, v36 :: v_dual_add_nc_u32 v48, s2, v46
	v_dual_ashrrev_i32 v45, 31, v44 :: v_dual_ashrrev_i32 v47, 31, v46
	s_delay_alu instid0(VALU_DEP_2) | instskip(NEXT) | instid1(VALU_DEP_1)
	v_dual_add_nc_u32 v14, s2, v48 :: v_dual_ashrrev_i32 v49, 31, v48
	v_add_nc_u32_e32 v8, s2, v14
	s_delay_alu instid0(VALU_DEP_2) | instskip(SKIP_1) | instid1(VALU_DEP_2)
	v_lshl_add_u64 v[30:31], v[48:49], 3, v[0:1]
	s_wait_xcnt 0x0
	v_add_nc_u32_e32 v6, s2, v8
	v_ashrrev_i32_e32 v33, 31, v32
	s_delay_alu instid0(VALU_DEP_2) | instskip(SKIP_2) | instid1(VALU_DEP_4)
	v_dual_ashrrev_i32 v9, 31, v8 :: v_dual_ashrrev_i32 v7, 31, v6
	v_add_nc_u32_e32 v12, s2, v6
	v_ashrrev_i32_e32 v35, 31, v34
	v_lshl_add_u64 v[20:21], v[32:33], 3, v[0:1]
	s_clause 0x3
	global_load_b64 v[90:91], v[10:11], off
	global_load_b64 v[86:87], v[16:17], off
	;; [unrolled: 1-line block ×4, first 2 shown]
	v_add_nc_u32_e32 v22, s2, v12
	s_wait_xcnt 0x2
	v_lshl_add_u64 v[16:17], v[34:35], 3, v[0:1]
	s_wait_xcnt 0x0
	v_lshl_add_u64 v[20:21], v[36:37], 3, v[0:1]
	s_clause 0x3
	global_load_b64 v[82:83], v[16:17], off
	global_load_b64 v[78:79], v[20:21], off
	;; [unrolled: 1-line block ×4, first 2 shown]
	v_add_nc_u32_e32 v10, s2, v22
	s_wait_xcnt 0x2
	v_lshl_add_u64 v[20:21], v[44:45], 3, v[0:1]
	v_lshl_add_u64 v[8:9], v[8:9], 3, v[0:1]
	;; [unrolled: 1-line block ×3, first 2 shown]
	s_wait_xcnt 0x0
	v_lshl_add_u64 v[26:27], v[46:47], 3, v[0:1]
	v_add_nc_u32_e32 v18, s2, v10
	v_ashrrev_i32_e32 v23, 31, v22
	v_ashrrev_i32_e32 v11, 31, v10
	s_delay_alu instid0(VALU_DEP_3) | instskip(NEXT) | instid1(VALU_DEP_3)
	v_add_nc_u32_e32 v28, s2, v18
	v_lshl_add_u64 v[22:23], v[22:23], 3, v[0:1]
	s_delay_alu instid0(VALU_DEP_2) | instskip(SKIP_1) | instid1(VALU_DEP_2)
	v_dual_ashrrev_i32 v19, 31, v18 :: v_dual_add_nc_u32 v16, s2, v28
	v_dual_ashrrev_i32 v15, 31, v14 :: v_dual_ashrrev_i32 v29, 31, v28
	v_add_nc_u32_e32 v24, s2, v16
	s_delay_alu instid0(VALU_DEP_2)
	v_lshl_add_u64 v[14:15], v[14:15], 3, v[0:1]
	s_clause 0x3
	global_load_b64 v[74:75], v[20:21], off
	global_load_b64 v[70:71], v[26:27], off
	;; [unrolled: 1-line block ×4, first 2 shown]
	v_add_nc_u32_e32 v32, s2, v24
	s_wait_xcnt 0x0
	s_delay_alu instid0(VALU_DEP_1) | instskip(SKIP_1) | instid1(VALU_DEP_2)
	v_add_nc_u32_e32 v14, s2, v32
	v_ashrrev_i32_e32 v13, 31, v12
	v_dual_ashrrev_i32 v33, 31, v32 :: v_dual_add_nc_u32 v20, s2, v14
	s_delay_alu instid0(VALU_DEP_2)
	v_lshl_add_u64 v[12:13], v[12:13], 3, v[0:1]
	s_clause 0x3
	global_load_b64 v[56:57], v[8:9], off
	global_load_b64 v[48:49], v[6:7], off
	;; [unrolled: 1-line block ×4, first 2 shown]
	v_add_nc_u32_e32 v26, s2, v20
	s_wait_xcnt 0x3
	v_lshl_add_u64 v[8:9], v[10:11], 3, v[0:1]
	s_wait_xcnt 0x1
	v_lshl_add_u64 v[12:13], v[18:19], 3, v[0:1]
	v_lshl_add_u64 v[18:19], v[28:29], 3, v[0:1]
	v_dual_ashrrev_i32 v15, 31, v14 :: v_dual_ashrrev_i32 v21, 31, v20
	v_dual_add_nc_u32 v6, s2, v26 :: v_dual_ashrrev_i32 v17, 31, v16
	v_ashrrev_i32_e32 v27, 31, v26
	s_delay_alu instid0(VALU_DEP_3) | instskip(NEXT) | instid1(VALU_DEP_4)
	v_lshl_add_u64 v[14:15], v[14:15], 3, v[0:1]
	v_lshl_add_u64 v[20:21], v[20:21], 3, v[0:1]
	s_delay_alu instid0(VALU_DEP_4)
	v_dual_add_nc_u32 v10, s2, v6 :: v_dual_ashrrev_i32 v25, 31, v24
	v_lshl_add_u64 v[16:17], v[16:17], 3, v[0:1]
	s_clause 0x3
	global_load_b64 v[44:45], v[8:9], off
	global_load_b64 v[40:41], v[12:13], off
	;; [unrolled: 1-line block ×4, first 2 shown]
	s_wait_xcnt 0x4
	v_add_nc_u32_e32 v22, s2, v10
	s_wait_xcnt 0x2
	v_lshl_add_u64 v[12:13], v[24:25], 3, v[0:1]
	s_wait_xcnt 0x1
	v_lshl_add_u64 v[18:19], v[32:33], 3, v[0:1]
	s_clause 0x3
	global_load_b64 v[36:37], v[12:13], off
	global_load_b64 v[32:33], v[18:19], off
	;; [unrolled: 1-line block ×4, first 2 shown]
	v_add_nc_u32_e32 v8, s2, v22
	v_ashrrev_i32_e32 v7, 31, v6
	s_wait_xcnt 0x1
	v_lshl_add_u64 v[14:15], v[26:27], 3, v[0:1]
	s_delay_alu instid0(VALU_DEP_3) | instskip(NEXT) | instid1(VALU_DEP_3)
	v_dual_ashrrev_i32 v11, 31, v10 :: v_dual_add_nc_u32 v16, s2, v8
	v_lshl_add_u64 v[6:7], v[6:7], 3, v[0:1]
	s_delay_alu instid0(VALU_DEP_2) | instskip(NEXT) | instid1(VALU_DEP_3)
	v_lshl_add_u64 v[10:11], v[10:11], 3, v[0:1]
	v_add_nc_u32_e32 v28, s2, v16
	s_delay_alu instid0(VALU_DEP_1) | instskip(NEXT) | instid1(VALU_DEP_1)
	v_dual_add_nc_u32 v12, s2, v28 :: v_dual_ashrrev_i32 v23, 31, v22
	v_add_nc_u32_e32 v18, s2, v12
	v_ashrrev_i32_e32 v9, 31, v8
	s_delay_alu instid0(VALU_DEP_3)
	v_lshl_add_u64 v[102:103], v[22:23], 3, v[0:1]
	s_clause 0x3
	global_load_b64 v[26:27], v[14:15], off
	global_load_b64 v[22:23], v[6:7], off
	;; [unrolled: 1-line block ×4, first 2 shown]
	v_dual_add_nc_u32 v108, s2, v18 :: v_dual_ashrrev_i32 v19, 31, v18
	v_ashrrev_i32_e32 v13, 31, v12
	s_wait_xcnt 0x0
	v_lshl_add_u64 v[102:103], v[8:9], 3, v[0:1]
	s_delay_alu instid0(VALU_DEP_3)
	v_add_nc_u32_e32 v6, s2, v108
	v_ashrrev_i32_e32 v17, 31, v16
	v_ashrrev_i32_e32 v29, 31, v28
	;; [unrolled: 1-line block ×3, first 2 shown]
	v_lshl_add_u64 v[114:115], v[12:13], 3, v[0:1]
	v_add_nc_u32_e32 v112, s2, v6
	v_lshl_add_u64 v[16:17], v[16:17], 3, v[0:1]
	v_ashrrev_i32_e32 v7, 31, v6
	v_lshl_add_u64 v[28:29], v[28:29], 3, v[0:1]
	s_clause 0x3
	global_load_b64 v[14:15], v[102:103], off
	global_load_b64 v[10:11], v[16:17], off
	;; [unrolled: 1-line block ×4, first 2 shown]
	v_dual_add_nc_u32 v116, s2, v112 :: v_dual_ashrrev_i32 v113, 31, v112
	s_wait_xcnt 0x0
	v_lshl_add_u64 v[114:115], v[18:19], 3, v[0:1]
	v_lshl_add_u64 v[108:109], v[108:109], 3, v[0:1]
	;; [unrolled: 1-line block ×3, first 2 shown]
	v_ashrrev_i32_e32 v117, 31, v116
	v_lshl_add_u64 v[112:113], v[112:113], 3, v[0:1]
	s_delay_alu instid0(VALU_DEP_2)
	v_lshl_add_u64 v[116:117], v[116:117], 3, v[0:1]
	s_clause 0x4
	global_load_b64 v[6:7], v[114:115], off
	global_load_b64 v[28:29], v[108:109], off
	;; [unrolled: 1-line block ×5, first 2 shown]
	s_wait_xcnt 0x3
	v_mul_lo_u32 v109, s4, v106
	s_load_b64 s[4:5], s[0:1], 0x40
	s_delay_alu instid0(VALU_DEP_1) | instskip(NEXT) | instid1(VALU_DEP_1)
	v_lshl_add_u32 v108, v109, 3, 0
	v_dual_lshlrev_b32 v109, 3, v109 :: v_dual_add_nc_u32 v104, v108, v104
	s_wait_loadcnt 0x2a
	ds_store_b64 v104, v[100:101]
	s_wait_loadcnt_dscnt 0x0
	s_barrier_signal -1
	s_barrier_wait -1
	ds_load_b64 v[106:107], v108
	s_cbranch_scc1 .LBB96_6
; %bb.4:
	v_add3_u32 v104, v109, 0, 8
	v_mov_b32_e32 v105, 0
	s_wait_xcnt 0x0
	s_mov_b32 s1, 1
.LBB96_5:                               ; =>This Inner Loop Header: Depth=1
	ds_load_b64 v[112:113], v104
	s_wait_dscnt 0x1
	v_cmp_gt_f32_e32 vcc_lo, 0, v106
	v_cmp_gt_f32_e64 s0, 0, v107
	s_delay_alu instid0(VALU_DEP_1) | instskip(SKIP_3) | instid1(VALU_DEP_1)
	v_dual_cndmask_b32 v114, v106, -v106, vcc_lo :: v_dual_cndmask_b32 v116, v107, -v107, s0
	s_wait_dscnt 0x0
	v_cmp_gt_f32_e32 vcc_lo, 0, v112
	v_cmp_gt_f32_e64 s0, 0, v113
	v_dual_cndmask_b32 v115, v112, -v112, vcc_lo :: v_dual_cndmask_b32 v117, v113, -v113, s0
	s_delay_alu instid0(VALU_DEP_1) | instskip(NEXT) | instid1(VALU_DEP_1)
	v_pk_add_f32 v[114:115], v[114:115], v[116:117]
	v_cmp_lt_f32_e32 vcc_lo, v114, v115
	v_dual_cndmask_b32 v107, v107, v113 :: v_dual_add_nc_u32 v104, 8, v104
	v_cndmask_b32_e32 v106, v106, v112, vcc_lo
	v_cndmask_b32_e64 v105, v105, s1, vcc_lo
	s_add_co_i32 s1, s1, 1
	s_delay_alu instid0(SALU_CYCLE_1)
	s_cmp_eq_u32 s18, s1
	s_cbranch_scc0 .LBB96_5
.LBB96_6:
	s_wait_dscnt 0x0
	v_cmp_neq_f32_e32 vcc_lo, 0, v106
	s_wait_xcnt 0x0
	v_cmp_neq_f32_e64 s0, 0, v107
	v_dual_mov_b32 v110, 1 :: v_dual_mov_b32 v113, 1
	s_or_b32 s1, vcc_lo, s0
	s_delay_alu instid0(SALU_CYCLE_1)
	s_and_saveexec_b32 s0, s1
	s_cbranch_execz .LBB96_12
; %bb.7:
	v_cmp_ngt_f32_e64 s1, |v106|, |v107|
	s_and_saveexec_b32 s12, s1
	s_delay_alu instid0(SALU_CYCLE_1)
	s_xor_b32 s1, exec_lo, s12
	s_cbranch_execz .LBB96_9
; %bb.8:
	v_div_scale_f32 v104, null, v107, v107, v106
	v_div_scale_f32 v113, vcc_lo, v106, v107, v106
	s_delay_alu instid0(VALU_DEP_2) | instskip(SKIP_1) | instid1(TRANS32_DEP_1)
	v_rcp_f32_e32 v110, v104
	v_nop
	v_fma_f32 v112, -v104, v110, 1.0
	s_delay_alu instid0(VALU_DEP_1) | instskip(NEXT) | instid1(VALU_DEP_1)
	v_fmac_f32_e32 v110, v112, v110
	v_mul_f32_e32 v112, v113, v110
	s_delay_alu instid0(VALU_DEP_1) | instskip(NEXT) | instid1(VALU_DEP_1)
	v_fma_f32 v114, -v104, v112, v113
	v_fmac_f32_e32 v112, v114, v110
	s_delay_alu instid0(VALU_DEP_1) | instskip(NEXT) | instid1(VALU_DEP_1)
	v_fma_f32 v104, -v104, v112, v113
	v_div_fmas_f32 v104, v104, v110, v112
	s_delay_alu instid0(VALU_DEP_1) | instskip(NEXT) | instid1(VALU_DEP_1)
	v_div_fixup_f32 v104, v104, v107, v106
	v_fmac_f32_e32 v107, v106, v104
	s_delay_alu instid0(VALU_DEP_1) | instskip(SKIP_1) | instid1(VALU_DEP_2)
	v_div_scale_f32 v106, null, v107, v107, 1.0
	v_div_scale_f32 v113, vcc_lo, 1.0, v107, 1.0
	v_rcp_f32_e32 v110, v106
	v_nop
	s_delay_alu instid0(TRANS32_DEP_1) | instskip(NEXT) | instid1(VALU_DEP_1)
	v_fma_f32 v112, -v106, v110, 1.0
	v_fmac_f32_e32 v110, v112, v110
	s_delay_alu instid0(VALU_DEP_1) | instskip(NEXT) | instid1(VALU_DEP_1)
	v_mul_f32_e32 v112, v113, v110
	v_fma_f32 v114, -v106, v112, v113
	s_delay_alu instid0(VALU_DEP_1) | instskip(NEXT) | instid1(VALU_DEP_1)
	v_fmac_f32_e32 v112, v114, v110
	v_fma_f32 v106, -v106, v112, v113
	s_delay_alu instid0(VALU_DEP_1) | instskip(NEXT) | instid1(VALU_DEP_1)
	v_div_fmas_f32 v106, v106, v110, v112
	v_div_fixup_f32 v107, v106, v107, 1.0
	s_delay_alu instid0(VALU_DEP_1)
	v_mul_f32_e32 v106, v104, v107
	v_xor_b32_e32 v107, 0x80000000, v107
.LBB96_9:
	s_and_not1_saveexec_b32 s1, s1
	s_cbranch_execz .LBB96_11
; %bb.10:
	s_delay_alu instid0(VALU_DEP_1) | instskip(SKIP_1) | instid1(VALU_DEP_2)
	v_div_scale_f32 v104, null, v106, v106, v107
	v_div_scale_f32 v113, vcc_lo, v107, v106, v107
	v_rcp_f32_e32 v110, v104
	v_nop
	s_delay_alu instid0(TRANS32_DEP_1) | instskip(NEXT) | instid1(VALU_DEP_1)
	v_fma_f32 v112, -v104, v110, 1.0
	v_fmac_f32_e32 v110, v112, v110
	s_delay_alu instid0(VALU_DEP_1) | instskip(NEXT) | instid1(VALU_DEP_1)
	v_mul_f32_e32 v112, v113, v110
	v_fma_f32 v114, -v104, v112, v113
	s_delay_alu instid0(VALU_DEP_1) | instskip(NEXT) | instid1(VALU_DEP_1)
	v_fmac_f32_e32 v112, v114, v110
	v_fma_f32 v104, -v104, v112, v113
	s_delay_alu instid0(VALU_DEP_1) | instskip(NEXT) | instid1(VALU_DEP_1)
	v_div_fmas_f32 v104, v104, v110, v112
	v_div_fixup_f32 v104, v104, v106, v107
	s_delay_alu instid0(VALU_DEP_1) | instskip(NEXT) | instid1(VALU_DEP_1)
	v_fmac_f32_e32 v106, v107, v104
	v_div_scale_f32 v107, null, v106, v106, 1.0
	s_delay_alu instid0(VALU_DEP_1) | instskip(SKIP_1) | instid1(TRANS32_DEP_1)
	v_rcp_f32_e32 v110, v107
	v_nop
	v_fma_f32 v112, -v107, v110, 1.0
	s_delay_alu instid0(VALU_DEP_1) | instskip(SKIP_1) | instid1(VALU_DEP_1)
	v_fmac_f32_e32 v110, v112, v110
	v_div_scale_f32 v112, vcc_lo, 1.0, v106, 1.0
	v_mul_f32_e32 v113, v112, v110
	s_delay_alu instid0(VALU_DEP_1) | instskip(NEXT) | instid1(VALU_DEP_1)
	v_fma_f32 v114, -v107, v113, v112
	v_fmac_f32_e32 v113, v114, v110
	s_delay_alu instid0(VALU_DEP_1) | instskip(NEXT) | instid1(VALU_DEP_1)
	v_fma_f32 v107, -v107, v113, v112
	v_div_fmas_f32 v107, v107, v110, v113
	s_delay_alu instid0(VALU_DEP_1) | instskip(NEXT) | instid1(VALU_DEP_1)
	v_div_fixup_f32 v106, v107, v106, 1.0
	v_mul_f32_e64 v107, v104, -v106
.LBB96_11:
	s_or_b32 exec_lo, exec_lo, s1
	v_dual_mov_b32 v113, 0 :: v_dual_mov_b32 v110, 2
.LBB96_12:
	s_or_b32 exec_lo, exec_lo, s0
	s_delay_alu instid0(SALU_CYCLE_1)
	s_mov_b32 s0, exec_lo
	v_cmpx_ne_u32_e64 v111, v105
	s_xor_b32 s0, exec_lo, s0
	s_cbranch_execz .LBB96_18
; %bb.13:
	s_mov_b32 s1, exec_lo
	v_cmpx_eq_u32_e32 0, v111
	s_cbranch_execz .LBB96_17
; %bb.14:
	v_cmp_ne_u32_e32 vcc_lo, 0, v105
	s_xor_b32 s12, s16, -1
	s_delay_alu instid0(SALU_CYCLE_1) | instskip(NEXT) | instid1(SALU_CYCLE_1)
	s_and_b32 s13, s12, vcc_lo
	s_and_saveexec_b32 s12, s13
	s_cbranch_execz .LBB96_16
; %bb.15:
	v_dual_mov_b32 v114, v105 :: v_dual_ashrrev_i32 v115, 31, v105
	s_delay_alu instid0(VALU_DEP_1)
	v_lshl_add_u64 v[114:115], v[114:115], 2, v[4:5]
	s_clause 0x1
	global_load_b32 v104, v[114:115], off
	global_load_b32 v111, v[4:5], off
	s_wait_loadcnt 0x1
	global_store_b32 v[4:5], v104, off
	s_wait_loadcnt 0x0
	global_store_b32 v[114:115], v111, off
.LBB96_16:
	s_wait_xcnt 0x0
	s_or_b32 exec_lo, exec_lo, s12
	v_mov_b32_e32 v111, v105
.LBB96_17:
	s_or_b32 exec_lo, exec_lo, s1
.LBB96_18:
	s_or_saveexec_b32 s0, s0
	s_delay_alu instid0(VALU_DEP_1)
	v_mov_b32_e32 v112, v111
	s_xor_b32 exec_lo, exec_lo, s0
	s_cbranch_execz .LBB96_20
; %bb.19:
	v_mov_b32_e32 v112, 0
	ds_store_2addr_b64 v108, v[98:99], v[96:97] offset0:1 offset1:2
	ds_store_2addr_b64 v108, v[94:95], v[92:93] offset0:3 offset1:4
	;; [unrolled: 1-line block ×24, first 2 shown]
.LBB96_20:
	s_or_b32 exec_lo, exec_lo, s0
	s_delay_alu instid0(SALU_CYCLE_1)
	s_mov_b32 s0, exec_lo
	s_wait_storecnt_dscnt 0x0
	s_barrier_signal -1
	s_barrier_wait -1
	v_cmpx_lt_i32_e32 0, v112
	s_cbranch_execz .LBB96_22
; %bb.21:
	v_pk_mul_f32 v[114:115], v[106:107], v[100:101] op_sel:[1,1] op_sel_hi:[0,1]
	s_delay_alu instid0(VALU_DEP_1)
	v_pk_fma_f32 v[104:105], v[106:107], v[100:101], v[114:115] op_sel_hi:[1,0,1] neg_lo:[0,0,1] neg_hi:[0,0,1]
	v_pk_fma_f32 v[106:107], v[106:107], v[100:101], v[114:115] op_sel_hi:[1,0,1]
	ds_load_2addr_b64 v[114:117], v108 offset0:1 offset1:2
	v_dual_mov_b32 v100, v104 :: v_dual_mov_b32 v101, v107
	s_wait_dscnt 0x0
	v_pk_mul_f32 v[118:119], v[114:115], v[106:107] op_sel:[0,1]
	s_delay_alu instid0(VALU_DEP_1) | instskip(SKIP_1) | instid1(VALU_DEP_1)
	v_pk_fma_f32 v[120:121], v[114:115], v[104:105], v[118:119] op_sel:[0,0,1] op_sel_hi:[1,1,0] neg_lo:[0,0,1] neg_hi:[0,0,1]
	v_pk_fma_f32 v[114:115], v[114:115], v[104:105], v[118:119] op_sel:[0,0,1] op_sel_hi:[1,0,0]
	v_mov_b32_e32 v121, v115
	v_pk_mul_f32 v[114:115], v[116:117], v[106:107] op_sel:[0,1]
	s_delay_alu instid0(VALU_DEP_1) | instskip(SKIP_1) | instid1(VALU_DEP_1)
	v_pk_fma_f32 v[118:119], v[116:117], v[104:105], v[114:115] op_sel:[0,0,1] op_sel_hi:[1,1,0] neg_lo:[0,0,1] neg_hi:[0,0,1]
	v_pk_fma_f32 v[114:115], v[116:117], v[104:105], v[114:115] op_sel:[0,0,1] op_sel_hi:[1,0,0]
	v_mov_b32_e32 v119, v115
	ds_load_2addr_b64 v[114:117], v108 offset0:3 offset1:4
	v_pk_add_f32 v[98:99], v[98:99], v[120:121] neg_lo:[0,1] neg_hi:[0,1]
	v_pk_add_f32 v[96:97], v[96:97], v[118:119] neg_lo:[0,1] neg_hi:[0,1]
	s_wait_dscnt 0x0
	v_pk_mul_f32 v[118:119], v[114:115], v[106:107] op_sel:[0,1]
	s_delay_alu instid0(VALU_DEP_1) | instskip(SKIP_2) | instid1(VALU_DEP_2)
	v_pk_fma_f32 v[120:121], v[114:115], v[104:105], v[118:119] op_sel:[0,0,1] op_sel_hi:[1,1,0] neg_lo:[0,0,1] neg_hi:[0,0,1]
	v_pk_fma_f32 v[114:115], v[114:115], v[104:105], v[118:119] op_sel:[0,0,1] op_sel_hi:[1,0,0]
	v_dual_mul_f32 v118, v117, v107 :: v_dual_mov_b32 v114, v117
	v_dual_mov_b32 v121, v115 :: v_dual_mov_b32 v115, v116
	s_delay_alu instid0(VALU_DEP_2) | instskip(SKIP_1) | instid1(VALU_DEP_3)
	v_pk_fma_f32 v[118:119], v[116:117], v[100:101], v[118:119] op_sel_hi:[1,1,0] neg_lo:[0,0,1] neg_hi:[0,0,1]
	v_mul_f32_e32 v116, v117, v104
	v_pk_add_f32 v[94:95], v[94:95], v[120:121] neg_lo:[0,1] neg_hi:[0,1]
	s_delay_alu instid0(VALU_DEP_2) | instskip(NEXT) | instid1(VALU_DEP_1)
	v_pk_fma_f32 v[114:115], v[114:115], v[100:101], v[116:117] op_sel_hi:[1,1,0]
	v_mov_b32_e32 v119, v115
	ds_load_2addr_b64 v[114:117], v108 offset0:5 offset1:6
	v_pk_add_f32 v[92:93], v[92:93], v[118:119] neg_lo:[0,1] neg_hi:[0,1]
	s_wait_dscnt 0x0
	v_pk_mul_f32 v[118:119], v[114:115], v[106:107] op_sel:[0,1]
	s_delay_alu instid0(VALU_DEP_1) | instskip(SKIP_1) | instid1(VALU_DEP_1)
	v_pk_fma_f32 v[120:121], v[114:115], v[104:105], v[118:119] op_sel:[0,0,1] op_sel_hi:[1,1,0] neg_lo:[0,0,1] neg_hi:[0,0,1]
	v_pk_fma_f32 v[114:115], v[114:115], v[104:105], v[118:119] op_sel:[0,0,1] op_sel_hi:[1,0,0]
	v_mov_b32_e32 v121, v115
	v_pk_mul_f32 v[114:115], v[116:117], v[106:107] op_sel:[0,1]
	s_delay_alu instid0(VALU_DEP_1) | instskip(SKIP_1) | instid1(VALU_DEP_1)
	v_pk_fma_f32 v[118:119], v[116:117], v[104:105], v[114:115] op_sel:[0,0,1] op_sel_hi:[1,1,0] neg_lo:[0,0,1] neg_hi:[0,0,1]
	v_pk_fma_f32 v[114:115], v[116:117], v[104:105], v[114:115] op_sel:[0,0,1] op_sel_hi:[1,0,0]
	v_mov_b32_e32 v119, v115
	ds_load_2addr_b64 v[114:117], v108 offset0:7 offset1:8
	v_pk_add_f32 v[52:53], v[52:53], v[120:121] neg_lo:[0,1] neg_hi:[0,1]
	v_pk_add_f32 v[58:59], v[58:59], v[118:119] neg_lo:[0,1] neg_hi:[0,1]
	s_wait_dscnt 0x0
	v_pk_mul_f32 v[118:119], v[114:115], v[106:107] op_sel:[0,1]
	s_delay_alu instid0(VALU_DEP_1) | instskip(SKIP_1) | instid1(VALU_DEP_1)
	v_pk_fma_f32 v[120:121], v[114:115], v[104:105], v[118:119] op_sel:[0,0,1] op_sel_hi:[1,1,0] neg_lo:[0,0,1] neg_hi:[0,0,1]
	v_pk_fma_f32 v[114:115], v[114:115], v[104:105], v[118:119] op_sel:[0,0,1] op_sel_hi:[1,0,0]
	v_mov_b32_e32 v121, v115
	v_pk_mul_f32 v[114:115], v[116:117], v[106:107] op_sel:[0,1]
	s_delay_alu instid0(VALU_DEP_1) | instskip(SKIP_1) | instid1(VALU_DEP_1)
	v_pk_fma_f32 v[118:119], v[116:117], v[104:105], v[114:115] op_sel:[0,0,1] op_sel_hi:[1,1,0] neg_lo:[0,0,1] neg_hi:[0,0,1]
	v_pk_fma_f32 v[114:115], v[116:117], v[104:105], v[114:115] op_sel:[0,0,1] op_sel_hi:[1,0,0]
	v_mov_b32_e32 v119, v115
	ds_load_2addr_b64 v[114:117], v108 offset0:9 offset1:10
	v_pk_add_f32 v[50:51], v[50:51], v[120:121] neg_lo:[0,1] neg_hi:[0,1]
	v_pk_add_f32 v[66:67], v[66:67], v[118:119] neg_lo:[0,1] neg_hi:[0,1]
	s_wait_dscnt 0x0
	v_dual_mul_f32 v118, v115, v107 :: v_dual_mul_f32 v120, v115, v104
	s_delay_alu instid0(VALU_DEP_1) | instskip(NEXT) | instid1(VALU_DEP_2)
	v_pk_fma_f32 v[118:119], v[114:115], v[100:101], v[118:119] op_sel_hi:[1,1,0] neg_lo:[0,0,1] neg_hi:[0,0,1]
	v_pk_fma_f32 v[114:115], v[114:115], v[100:101], v[120:121] op_sel:[1,0,0] op_sel_hi:[0,1,0]
	s_delay_alu instid0(VALU_DEP_1) | instskip(SKIP_1) | instid1(VALU_DEP_2)
	v_mov_b32_e32 v119, v115
	v_pk_mul_f32 v[114:115], v[116:117], v[106:107] op_sel:[0,1]
	v_pk_add_f32 v[62:63], v[62:63], v[118:119] neg_lo:[0,1] neg_hi:[0,1]
	s_delay_alu instid0(VALU_DEP_2) | instskip(SKIP_1) | instid1(VALU_DEP_1)
	v_pk_fma_f32 v[118:119], v[116:117], v[104:105], v[114:115] op_sel:[0,0,1] op_sel_hi:[1,1,0] neg_lo:[0,0,1] neg_hi:[0,0,1]
	v_pk_fma_f32 v[114:115], v[116:117], v[104:105], v[114:115] op_sel:[0,0,1] op_sel_hi:[1,0,0]
	v_mov_b32_e32 v119, v115
	ds_load_2addr_b64 v[114:117], v108 offset0:11 offset1:12
	v_pk_add_f32 v[64:65], v[64:65], v[118:119] neg_lo:[0,1] neg_hi:[0,1]
	s_wait_dscnt 0x0
	v_pk_mul_f32 v[118:119], v[114:115], v[106:107] op_sel:[0,1]
	s_delay_alu instid0(VALU_DEP_1) | instskip(SKIP_1) | instid1(VALU_DEP_1)
	v_pk_fma_f32 v[120:121], v[114:115], v[104:105], v[118:119] op_sel:[0,0,1] op_sel_hi:[1,1,0] neg_lo:[0,0,1] neg_hi:[0,0,1]
	v_pk_fma_f32 v[114:115], v[114:115], v[104:105], v[118:119] op_sel:[0,0,1] op_sel_hi:[1,0,0]
	v_mov_b32_e32 v121, v115
	v_pk_mul_f32 v[114:115], v[116:117], v[106:107] op_sel:[0,1]
	s_delay_alu instid0(VALU_DEP_2) | instskip(NEXT) | instid1(VALU_DEP_2)
	v_pk_add_f32 v[60:61], v[60:61], v[120:121] neg_lo:[0,1] neg_hi:[0,1]
	v_pk_fma_f32 v[118:119], v[116:117], v[104:105], v[114:115] op_sel:[0,0,1] op_sel_hi:[1,1,0] neg_lo:[0,0,1] neg_hi:[0,0,1]
	v_pk_fma_f32 v[114:115], v[116:117], v[104:105], v[114:115] op_sel:[0,0,1] op_sel_hi:[1,0,0]
	s_delay_alu instid0(VALU_DEP_1) | instskip(SKIP_4) | instid1(VALU_DEP_1)
	v_mov_b32_e32 v119, v115
	ds_load_2addr_b64 v[114:117], v108 offset0:13 offset1:14
	v_pk_add_f32 v[90:91], v[90:91], v[118:119] neg_lo:[0,1] neg_hi:[0,1]
	s_wait_dscnt 0x0
	v_pk_mul_f32 v[118:119], v[114:115], v[106:107] op_sel:[0,1]
	v_pk_fma_f32 v[120:121], v[114:115], v[104:105], v[118:119] op_sel:[0,0,1] op_sel_hi:[1,1,0] neg_lo:[0,0,1] neg_hi:[0,0,1]
	v_pk_fma_f32 v[114:115], v[114:115], v[104:105], v[118:119] op_sel:[0,0,1] op_sel_hi:[1,0,0]
	v_dual_mul_f32 v118, v117, v107 :: v_dual_mov_b32 v114, v117
	s_delay_alu instid0(VALU_DEP_2) | instskip(NEXT) | instid1(VALU_DEP_2)
	v_dual_mov_b32 v121, v115 :: v_dual_mov_b32 v115, v116
	v_pk_fma_f32 v[118:119], v[116:117], v[100:101], v[118:119] op_sel_hi:[1,1,0] neg_lo:[0,0,1] neg_hi:[0,0,1]
	v_mul_f32_e32 v116, v117, v104
	s_delay_alu instid0(VALU_DEP_3) | instskip(NEXT) | instid1(VALU_DEP_2)
	v_pk_add_f32 v[86:87], v[86:87], v[120:121] neg_lo:[0,1] neg_hi:[0,1]
	v_pk_fma_f32 v[114:115], v[114:115], v[100:101], v[116:117] op_sel_hi:[1,1,0]
	s_delay_alu instid0(VALU_DEP_1) | instskip(SKIP_4) | instid1(VALU_DEP_1)
	v_mov_b32_e32 v119, v115
	ds_load_2addr_b64 v[114:117], v108 offset0:15 offset1:16
	v_pk_add_f32 v[88:89], v[88:89], v[118:119] neg_lo:[0,1] neg_hi:[0,1]
	s_wait_dscnt 0x0
	v_pk_mul_f32 v[118:119], v[114:115], v[106:107] op_sel:[0,1]
	v_pk_fma_f32 v[120:121], v[114:115], v[104:105], v[118:119] op_sel:[0,0,1] op_sel_hi:[1,1,0] neg_lo:[0,0,1] neg_hi:[0,0,1]
	v_pk_fma_f32 v[114:115], v[114:115], v[104:105], v[118:119] op_sel:[0,0,1] op_sel_hi:[1,0,0]
	s_delay_alu instid0(VALU_DEP_1) | instskip(SKIP_1) | instid1(VALU_DEP_1)
	v_mov_b32_e32 v121, v115
	v_pk_mul_f32 v[114:115], v[116:117], v[106:107] op_sel:[0,1]
	v_pk_fma_f32 v[118:119], v[116:117], v[104:105], v[114:115] op_sel:[0,0,1] op_sel_hi:[1,1,0] neg_lo:[0,0,1] neg_hi:[0,0,1]
	v_pk_fma_f32 v[114:115], v[116:117], v[104:105], v[114:115] op_sel:[0,0,1] op_sel_hi:[1,0,0]
	s_delay_alu instid0(VALU_DEP_1)
	v_mov_b32_e32 v119, v115
	ds_load_2addr_b64 v[114:117], v108 offset0:17 offset1:18
	v_pk_add_f32 v[84:85], v[84:85], v[120:121] neg_lo:[0,1] neg_hi:[0,1]
	v_pk_add_f32 v[82:83], v[82:83], v[118:119] neg_lo:[0,1] neg_hi:[0,1]
	s_wait_dscnt 0x0
	v_pk_mul_f32 v[118:119], v[114:115], v[106:107] op_sel:[0,1]
	s_delay_alu instid0(VALU_DEP_1) | instskip(SKIP_1) | instid1(VALU_DEP_1)
	v_pk_fma_f32 v[120:121], v[114:115], v[104:105], v[118:119] op_sel:[0,0,1] op_sel_hi:[1,1,0] neg_lo:[0,0,1] neg_hi:[0,0,1]
	v_pk_fma_f32 v[114:115], v[114:115], v[104:105], v[118:119] op_sel:[0,0,1] op_sel_hi:[1,0,0]
	v_mov_b32_e32 v121, v115
	v_pk_mul_f32 v[114:115], v[116:117], v[106:107] op_sel:[0,1]
	s_delay_alu instid0(VALU_DEP_1) | instskip(SKIP_1) | instid1(VALU_DEP_1)
	v_pk_fma_f32 v[118:119], v[116:117], v[104:105], v[114:115] op_sel:[0,0,1] op_sel_hi:[1,1,0] neg_lo:[0,0,1] neg_hi:[0,0,1]
	v_pk_fma_f32 v[114:115], v[116:117], v[104:105], v[114:115] op_sel:[0,0,1] op_sel_hi:[1,0,0]
	v_mov_b32_e32 v119, v115
	ds_load_2addr_b64 v[114:117], v108 offset0:19 offset1:20
	v_pk_add_f32 v[78:79], v[78:79], v[120:121] neg_lo:[0,1] neg_hi:[0,1]
	v_pk_add_f32 v[80:81], v[80:81], v[118:119] neg_lo:[0,1] neg_hi:[0,1]
	s_wait_dscnt 0x0
	v_dual_mul_f32 v118, v115, v107 :: v_dual_mul_f32 v120, v115, v104
	s_delay_alu instid0(VALU_DEP_1) | instskip(NEXT) | instid1(VALU_DEP_2)
	v_pk_fma_f32 v[118:119], v[114:115], v[100:101], v[118:119] op_sel_hi:[1,1,0] neg_lo:[0,0,1] neg_hi:[0,0,1]
	v_pk_fma_f32 v[114:115], v[114:115], v[100:101], v[120:121] op_sel:[1,0,0] op_sel_hi:[0,1,0]
	s_delay_alu instid0(VALU_DEP_1) | instskip(SKIP_1) | instid1(VALU_DEP_2)
	v_mov_b32_e32 v119, v115
	v_pk_mul_f32 v[114:115], v[116:117], v[106:107] op_sel:[0,1]
	v_pk_add_f32 v[76:77], v[76:77], v[118:119] neg_lo:[0,1] neg_hi:[0,1]
	s_delay_alu instid0(VALU_DEP_2) | instskip(SKIP_1) | instid1(VALU_DEP_1)
	v_pk_fma_f32 v[118:119], v[116:117], v[104:105], v[114:115] op_sel:[0,0,1] op_sel_hi:[1,1,0] neg_lo:[0,0,1] neg_hi:[0,0,1]
	v_pk_fma_f32 v[114:115], v[116:117], v[104:105], v[114:115] op_sel:[0,0,1] op_sel_hi:[1,0,0]
	v_mov_b32_e32 v119, v115
	ds_load_2addr_b64 v[114:117], v108 offset0:21 offset1:22
	v_pk_add_f32 v[74:75], v[74:75], v[118:119] neg_lo:[0,1] neg_hi:[0,1]
	s_wait_dscnt 0x0
	v_pk_mul_f32 v[118:119], v[114:115], v[106:107] op_sel:[0,1]
	s_delay_alu instid0(VALU_DEP_1) | instskip(SKIP_1) | instid1(VALU_DEP_1)
	v_pk_fma_f32 v[120:121], v[114:115], v[104:105], v[118:119] op_sel:[0,0,1] op_sel_hi:[1,1,0] neg_lo:[0,0,1] neg_hi:[0,0,1]
	v_pk_fma_f32 v[114:115], v[114:115], v[104:105], v[118:119] op_sel:[0,0,1] op_sel_hi:[1,0,0]
	v_mov_b32_e32 v121, v115
	v_pk_mul_f32 v[114:115], v[116:117], v[106:107] op_sel:[0,1]
	s_delay_alu instid0(VALU_DEP_2) | instskip(NEXT) | instid1(VALU_DEP_2)
	v_pk_add_f32 v[70:71], v[70:71], v[120:121] neg_lo:[0,1] neg_hi:[0,1]
	v_pk_fma_f32 v[118:119], v[116:117], v[104:105], v[114:115] op_sel:[0,0,1] op_sel_hi:[1,1,0] neg_lo:[0,0,1] neg_hi:[0,0,1]
	v_pk_fma_f32 v[114:115], v[116:117], v[104:105], v[114:115] op_sel:[0,0,1] op_sel_hi:[1,0,0]
	s_delay_alu instid0(VALU_DEP_1) | instskip(SKIP_4) | instid1(VALU_DEP_1)
	v_mov_b32_e32 v119, v115
	ds_load_2addr_b64 v[114:117], v108 offset0:23 offset1:24
	v_pk_add_f32 v[72:73], v[72:73], v[118:119] neg_lo:[0,1] neg_hi:[0,1]
	s_wait_dscnt 0x0
	v_pk_mul_f32 v[118:119], v[114:115], v[106:107] op_sel:[0,1]
	v_pk_fma_f32 v[120:121], v[114:115], v[104:105], v[118:119] op_sel:[0,0,1] op_sel_hi:[1,1,0] neg_lo:[0,0,1] neg_hi:[0,0,1]
	v_pk_fma_f32 v[114:115], v[114:115], v[104:105], v[118:119] op_sel:[0,0,1] op_sel_hi:[1,0,0]
	v_dual_mul_f32 v118, v117, v107 :: v_dual_mov_b32 v114, v117
	s_delay_alu instid0(VALU_DEP_2) | instskip(NEXT) | instid1(VALU_DEP_2)
	v_dual_mov_b32 v121, v115 :: v_dual_mov_b32 v115, v116
	v_pk_fma_f32 v[118:119], v[116:117], v[100:101], v[118:119] op_sel_hi:[1,1,0] neg_lo:[0,0,1] neg_hi:[0,0,1]
	v_mul_f32_e32 v116, v117, v104
	s_delay_alu instid0(VALU_DEP_3) | instskip(NEXT) | instid1(VALU_DEP_2)
	v_pk_add_f32 v[68:69], v[68:69], v[120:121] neg_lo:[0,1] neg_hi:[0,1]
	v_pk_fma_f32 v[114:115], v[114:115], v[100:101], v[116:117] op_sel_hi:[1,1,0]
	s_delay_alu instid0(VALU_DEP_1) | instskip(SKIP_4) | instid1(VALU_DEP_1)
	v_mov_b32_e32 v119, v115
	ds_load_2addr_b64 v[114:117], v108 offset0:25 offset1:26
	v_pk_add_f32 v[56:57], v[56:57], v[118:119] neg_lo:[0,1] neg_hi:[0,1]
	s_wait_dscnt 0x0
	v_pk_mul_f32 v[118:119], v[114:115], v[106:107] op_sel:[0,1]
	v_pk_fma_f32 v[120:121], v[114:115], v[104:105], v[118:119] op_sel:[0,0,1] op_sel_hi:[1,1,0] neg_lo:[0,0,1] neg_hi:[0,0,1]
	v_pk_fma_f32 v[114:115], v[114:115], v[104:105], v[118:119] op_sel:[0,0,1] op_sel_hi:[1,0,0]
	s_delay_alu instid0(VALU_DEP_1) | instskip(SKIP_1) | instid1(VALU_DEP_1)
	v_mov_b32_e32 v121, v115
	v_pk_mul_f32 v[114:115], v[116:117], v[106:107] op_sel:[0,1]
	v_pk_fma_f32 v[118:119], v[116:117], v[104:105], v[114:115] op_sel:[0,0,1] op_sel_hi:[1,1,0] neg_lo:[0,0,1] neg_hi:[0,0,1]
	v_pk_fma_f32 v[114:115], v[116:117], v[104:105], v[114:115] op_sel:[0,0,1] op_sel_hi:[1,0,0]
	s_delay_alu instid0(VALU_DEP_1)
	v_mov_b32_e32 v119, v115
	ds_load_2addr_b64 v[114:117], v108 offset0:27 offset1:28
	v_pk_add_f32 v[48:49], v[48:49], v[120:121] neg_lo:[0,1] neg_hi:[0,1]
	v_pk_add_f32 v[54:55], v[54:55], v[118:119] neg_lo:[0,1] neg_hi:[0,1]
	s_wait_dscnt 0x0
	v_pk_mul_f32 v[118:119], v[114:115], v[106:107] op_sel:[0,1]
	s_delay_alu instid0(VALU_DEP_1) | instskip(SKIP_1) | instid1(VALU_DEP_1)
	v_pk_fma_f32 v[120:121], v[114:115], v[104:105], v[118:119] op_sel:[0,0,1] op_sel_hi:[1,1,0] neg_lo:[0,0,1] neg_hi:[0,0,1]
	v_pk_fma_f32 v[114:115], v[114:115], v[104:105], v[118:119] op_sel:[0,0,1] op_sel_hi:[1,0,0]
	v_mov_b32_e32 v121, v115
	v_pk_mul_f32 v[114:115], v[116:117], v[106:107] op_sel:[0,1]
	s_delay_alu instid0(VALU_DEP_1) | instskip(SKIP_1) | instid1(VALU_DEP_1)
	v_pk_fma_f32 v[118:119], v[116:117], v[104:105], v[114:115] op_sel:[0,0,1] op_sel_hi:[1,1,0] neg_lo:[0,0,1] neg_hi:[0,0,1]
	v_pk_fma_f32 v[114:115], v[116:117], v[104:105], v[114:115] op_sel:[0,0,1] op_sel_hi:[1,0,0]
	v_mov_b32_e32 v119, v115
	ds_load_2addr_b64 v[114:117], v108 offset0:29 offset1:30
	v_pk_add_f32 v[46:47], v[46:47], v[120:121] neg_lo:[0,1] neg_hi:[0,1]
	v_pk_add_f32 v[44:45], v[44:45], v[118:119] neg_lo:[0,1] neg_hi:[0,1]
	s_wait_dscnt 0x0
	v_dual_mul_f32 v118, v115, v107 :: v_dual_mul_f32 v120, v115, v104
	s_delay_alu instid0(VALU_DEP_1) | instskip(NEXT) | instid1(VALU_DEP_2)
	v_pk_fma_f32 v[118:119], v[114:115], v[100:101], v[118:119] op_sel_hi:[1,1,0] neg_lo:[0,0,1] neg_hi:[0,0,1]
	v_pk_fma_f32 v[114:115], v[114:115], v[100:101], v[120:121] op_sel:[1,0,0] op_sel_hi:[0,1,0]
	s_delay_alu instid0(VALU_DEP_1) | instskip(SKIP_1) | instid1(VALU_DEP_2)
	v_mov_b32_e32 v119, v115
	v_pk_mul_f32 v[114:115], v[116:117], v[106:107] op_sel:[0,1]
	v_pk_add_f32 v[40:41], v[40:41], v[118:119] neg_lo:[0,1] neg_hi:[0,1]
	s_delay_alu instid0(VALU_DEP_2) | instskip(SKIP_1) | instid1(VALU_DEP_1)
	v_pk_fma_f32 v[118:119], v[116:117], v[104:105], v[114:115] op_sel:[0,0,1] op_sel_hi:[1,1,0] neg_lo:[0,0,1] neg_hi:[0,0,1]
	v_pk_fma_f32 v[114:115], v[116:117], v[104:105], v[114:115] op_sel:[0,0,1] op_sel_hi:[1,0,0]
	v_mov_b32_e32 v119, v115
	ds_load_2addr_b64 v[114:117], v108 offset0:31 offset1:32
	v_pk_add_f32 v[42:43], v[42:43], v[118:119] neg_lo:[0,1] neg_hi:[0,1]
	s_wait_dscnt 0x0
	v_pk_mul_f32 v[118:119], v[114:115], v[106:107] op_sel:[0,1]
	s_delay_alu instid0(VALU_DEP_1) | instskip(SKIP_1) | instid1(VALU_DEP_1)
	v_pk_fma_f32 v[120:121], v[114:115], v[104:105], v[118:119] op_sel:[0,0,1] op_sel_hi:[1,1,0] neg_lo:[0,0,1] neg_hi:[0,0,1]
	v_pk_fma_f32 v[114:115], v[114:115], v[104:105], v[118:119] op_sel:[0,0,1] op_sel_hi:[1,0,0]
	v_mov_b32_e32 v121, v115
	v_pk_mul_f32 v[114:115], v[116:117], v[106:107] op_sel:[0,1]
	s_delay_alu instid0(VALU_DEP_2) | instskip(NEXT) | instid1(VALU_DEP_2)
	v_pk_add_f32 v[38:39], v[38:39], v[120:121] neg_lo:[0,1] neg_hi:[0,1]
	v_pk_fma_f32 v[118:119], v[116:117], v[104:105], v[114:115] op_sel:[0,0,1] op_sel_hi:[1,1,0] neg_lo:[0,0,1] neg_hi:[0,0,1]
	v_pk_fma_f32 v[114:115], v[116:117], v[104:105], v[114:115] op_sel:[0,0,1] op_sel_hi:[1,0,0]
	s_delay_alu instid0(VALU_DEP_1) | instskip(SKIP_4) | instid1(VALU_DEP_1)
	v_mov_b32_e32 v119, v115
	ds_load_2addr_b64 v[114:117], v108 offset0:33 offset1:34
	v_pk_add_f32 v[36:37], v[36:37], v[118:119] neg_lo:[0,1] neg_hi:[0,1]
	s_wait_dscnt 0x0
	v_pk_mul_f32 v[118:119], v[114:115], v[106:107] op_sel:[0,1]
	v_pk_fma_f32 v[120:121], v[114:115], v[104:105], v[118:119] op_sel:[0,0,1] op_sel_hi:[1,1,0] neg_lo:[0,0,1] neg_hi:[0,0,1]
	v_pk_fma_f32 v[114:115], v[114:115], v[104:105], v[118:119] op_sel:[0,0,1] op_sel_hi:[1,0,0]
	v_dual_mul_f32 v118, v117, v107 :: v_dual_mov_b32 v114, v117
	s_delay_alu instid0(VALU_DEP_2) | instskip(NEXT) | instid1(VALU_DEP_2)
	v_dual_mov_b32 v121, v115 :: v_dual_mov_b32 v115, v116
	v_pk_fma_f32 v[118:119], v[116:117], v[100:101], v[118:119] op_sel_hi:[1,1,0] neg_lo:[0,0,1] neg_hi:[0,0,1]
	v_mul_f32_e32 v116, v117, v104
	s_delay_alu instid0(VALU_DEP_3) | instskip(NEXT) | instid1(VALU_DEP_2)
	v_pk_add_f32 v[32:33], v[32:33], v[120:121] neg_lo:[0,1] neg_hi:[0,1]
	v_pk_fma_f32 v[114:115], v[114:115], v[100:101], v[116:117] op_sel_hi:[1,1,0]
	s_delay_alu instid0(VALU_DEP_1) | instskip(SKIP_4) | instid1(VALU_DEP_1)
	v_mov_b32_e32 v119, v115
	ds_load_2addr_b64 v[114:117], v108 offset0:35 offset1:36
	v_pk_add_f32 v[34:35], v[34:35], v[118:119] neg_lo:[0,1] neg_hi:[0,1]
	s_wait_dscnt 0x0
	v_pk_mul_f32 v[118:119], v[114:115], v[106:107] op_sel:[0,1]
	v_pk_fma_f32 v[120:121], v[114:115], v[104:105], v[118:119] op_sel:[0,0,1] op_sel_hi:[1,1,0] neg_lo:[0,0,1] neg_hi:[0,0,1]
	v_pk_fma_f32 v[114:115], v[114:115], v[104:105], v[118:119] op_sel:[0,0,1] op_sel_hi:[1,0,0]
	s_delay_alu instid0(VALU_DEP_1) | instskip(SKIP_1) | instid1(VALU_DEP_1)
	v_mov_b32_e32 v121, v115
	v_pk_mul_f32 v[114:115], v[116:117], v[106:107] op_sel:[0,1]
	v_pk_fma_f32 v[118:119], v[116:117], v[104:105], v[114:115] op_sel:[0,0,1] op_sel_hi:[1,1,0] neg_lo:[0,0,1] neg_hi:[0,0,1]
	v_pk_fma_f32 v[114:115], v[116:117], v[104:105], v[114:115] op_sel:[0,0,1] op_sel_hi:[1,0,0]
	s_delay_alu instid0(VALU_DEP_1)
	v_mov_b32_e32 v119, v115
	ds_load_2addr_b64 v[114:117], v108 offset0:37 offset1:38
	v_pk_add_f32 v[30:31], v[30:31], v[120:121] neg_lo:[0,1] neg_hi:[0,1]
	v_pk_add_f32 v[26:27], v[26:27], v[118:119] neg_lo:[0,1] neg_hi:[0,1]
	s_wait_dscnt 0x0
	v_pk_mul_f32 v[118:119], v[114:115], v[106:107] op_sel:[0,1]
	s_delay_alu instid0(VALU_DEP_1) | instskip(SKIP_1) | instid1(VALU_DEP_1)
	v_pk_fma_f32 v[120:121], v[114:115], v[104:105], v[118:119] op_sel:[0,0,1] op_sel_hi:[1,1,0] neg_lo:[0,0,1] neg_hi:[0,0,1]
	v_pk_fma_f32 v[114:115], v[114:115], v[104:105], v[118:119] op_sel:[0,0,1] op_sel_hi:[1,0,0]
	v_mov_b32_e32 v121, v115
	v_pk_mul_f32 v[114:115], v[116:117], v[106:107] op_sel:[0,1]
	s_delay_alu instid0(VALU_DEP_1) | instskip(SKIP_1) | instid1(VALU_DEP_1)
	v_pk_fma_f32 v[118:119], v[116:117], v[104:105], v[114:115] op_sel:[0,0,1] op_sel_hi:[1,1,0] neg_lo:[0,0,1] neg_hi:[0,0,1]
	v_pk_fma_f32 v[114:115], v[116:117], v[104:105], v[114:115] op_sel:[0,0,1] op_sel_hi:[1,0,0]
	v_mov_b32_e32 v119, v115
	ds_load_2addr_b64 v[114:117], v108 offset0:39 offset1:40
	v_pk_add_f32 v[22:23], v[22:23], v[120:121] neg_lo:[0,1] neg_hi:[0,1]
	v_pk_add_f32 v[24:25], v[24:25], v[118:119] neg_lo:[0,1] neg_hi:[0,1]
	s_wait_dscnt 0x0
	v_dual_mul_f32 v118, v115, v107 :: v_dual_mul_f32 v120, v115, v104
	s_delay_alu instid0(VALU_DEP_1) | instskip(NEXT) | instid1(VALU_DEP_2)
	v_pk_fma_f32 v[118:119], v[114:115], v[100:101], v[118:119] op_sel_hi:[1,1,0] neg_lo:[0,0,1] neg_hi:[0,0,1]
	v_pk_fma_f32 v[114:115], v[114:115], v[100:101], v[120:121] op_sel:[1,0,0] op_sel_hi:[0,1,0]
	s_delay_alu instid0(VALU_DEP_1) | instskip(SKIP_1) | instid1(VALU_DEP_2)
	v_mov_b32_e32 v119, v115
	v_pk_mul_f32 v[114:115], v[116:117], v[106:107] op_sel:[0,1]
	v_pk_add_f32 v[20:21], v[20:21], v[118:119] neg_lo:[0,1] neg_hi:[0,1]
	s_delay_alu instid0(VALU_DEP_2) | instskip(SKIP_1) | instid1(VALU_DEP_1)
	v_pk_fma_f32 v[118:119], v[116:117], v[104:105], v[114:115] op_sel:[0,0,1] op_sel_hi:[1,1,0] neg_lo:[0,0,1] neg_hi:[0,0,1]
	v_pk_fma_f32 v[114:115], v[116:117], v[104:105], v[114:115] op_sel:[0,0,1] op_sel_hi:[1,0,0]
	v_mov_b32_e32 v119, v115
	ds_load_2addr_b64 v[114:117], v108 offset0:41 offset1:42
	v_pk_add_f32 v[14:15], v[14:15], v[118:119] neg_lo:[0,1] neg_hi:[0,1]
	s_wait_dscnt 0x0
	v_pk_mul_f32 v[118:119], v[114:115], v[106:107] op_sel:[0,1]
	s_delay_alu instid0(VALU_DEP_1) | instskip(SKIP_1) | instid1(VALU_DEP_1)
	v_pk_fma_f32 v[120:121], v[114:115], v[104:105], v[118:119] op_sel:[0,0,1] op_sel_hi:[1,1,0] neg_lo:[0,0,1] neg_hi:[0,0,1]
	v_pk_fma_f32 v[114:115], v[114:115], v[104:105], v[118:119] op_sel:[0,0,1] op_sel_hi:[1,0,0]
	v_mov_b32_e32 v121, v115
	v_pk_mul_f32 v[114:115], v[116:117], v[106:107] op_sel:[0,1]
	s_delay_alu instid0(VALU_DEP_2) | instskip(NEXT) | instid1(VALU_DEP_2)
	v_pk_add_f32 v[10:11], v[10:11], v[120:121] neg_lo:[0,1] neg_hi:[0,1]
	v_pk_fma_f32 v[118:119], v[116:117], v[104:105], v[114:115] op_sel:[0,0,1] op_sel_hi:[1,1,0] neg_lo:[0,0,1] neg_hi:[0,0,1]
	v_pk_fma_f32 v[114:115], v[116:117], v[104:105], v[114:115] op_sel:[0,0,1] op_sel_hi:[1,0,0]
	s_delay_alu instid0(VALU_DEP_1) | instskip(SKIP_4) | instid1(VALU_DEP_1)
	v_mov_b32_e32 v119, v115
	ds_load_2addr_b64 v[114:117], v108 offset0:43 offset1:44
	v_pk_add_f32 v[12:13], v[12:13], v[118:119] neg_lo:[0,1] neg_hi:[0,1]
	s_wait_dscnt 0x0
	v_pk_mul_f32 v[118:119], v[114:115], v[106:107] op_sel:[0,1]
	v_pk_fma_f32 v[120:121], v[114:115], v[104:105], v[118:119] op_sel:[0,0,1] op_sel_hi:[1,1,0] neg_lo:[0,0,1] neg_hi:[0,0,1]
	v_pk_fma_f32 v[114:115], v[114:115], v[104:105], v[118:119] op_sel:[0,0,1] op_sel_hi:[1,0,0]
	v_dual_mul_f32 v118, v117, v107 :: v_dual_mov_b32 v114, v117
	s_delay_alu instid0(VALU_DEP_2) | instskip(NEXT) | instid1(VALU_DEP_2)
	v_dual_mov_b32 v121, v115 :: v_dual_mov_b32 v115, v116
	v_pk_fma_f32 v[118:119], v[116:117], v[100:101], v[118:119] op_sel_hi:[1,1,0] neg_lo:[0,0,1] neg_hi:[0,0,1]
	v_mul_f32_e32 v116, v117, v104
	s_delay_alu instid0(VALU_DEP_3) | instskip(NEXT) | instid1(VALU_DEP_2)
	v_pk_add_f32 v[8:9], v[8:9], v[120:121] neg_lo:[0,1] neg_hi:[0,1]
	v_pk_fma_f32 v[114:115], v[114:115], v[100:101], v[116:117] op_sel_hi:[1,1,0]
	s_delay_alu instid0(VALU_DEP_1) | instskip(SKIP_4) | instid1(VALU_DEP_1)
	v_mov_b32_e32 v119, v115
	ds_load_2addr_b64 v[114:117], v108 offset0:45 offset1:46
	v_pk_add_f32 v[6:7], v[6:7], v[118:119] neg_lo:[0,1] neg_hi:[0,1]
	s_wait_dscnt 0x0
	v_pk_mul_f32 v[118:119], v[114:115], v[106:107] op_sel:[0,1]
	v_pk_fma_f32 v[120:121], v[114:115], v[104:105], v[118:119] op_sel:[0,0,1] op_sel_hi:[1,1,0] neg_lo:[0,0,1] neg_hi:[0,0,1]
	v_pk_fma_f32 v[114:115], v[114:115], v[104:105], v[118:119] op_sel:[0,0,1] op_sel_hi:[1,0,0]
	s_delay_alu instid0(VALU_DEP_1) | instskip(SKIP_1) | instid1(VALU_DEP_1)
	v_mov_b32_e32 v121, v115
	v_pk_mul_f32 v[114:115], v[116:117], v[106:107] op_sel:[0,1]
	v_pk_fma_f32 v[118:119], v[116:117], v[104:105], v[114:115] op_sel:[0,0,1] op_sel_hi:[1,1,0] neg_lo:[0,0,1] neg_hi:[0,0,1]
	v_pk_fma_f32 v[114:115], v[116:117], v[104:105], v[114:115] op_sel:[0,0,1] op_sel_hi:[1,0,0]
	s_delay_alu instid0(VALU_DEP_1)
	v_mov_b32_e32 v119, v115
	ds_load_2addr_b64 v[114:117], v108 offset0:47 offset1:48
	v_pk_add_f32 v[28:29], v[28:29], v[120:121] neg_lo:[0,1] neg_hi:[0,1]
	v_pk_add_f32 v[18:19], v[18:19], v[118:119] neg_lo:[0,1] neg_hi:[0,1]
	s_wait_dscnt 0x0
	v_pk_mul_f32 v[118:119], v[114:115], v[106:107] op_sel:[0,1]
	v_mul_f32_e32 v106, v117, v107
	s_delay_alu instid0(VALU_DEP_2) | instskip(SKIP_2) | instid1(VALU_DEP_4)
	v_pk_fma_f32 v[120:121], v[114:115], v[104:105], v[118:119] op_sel:[0,0,1] op_sel_hi:[1,1,0] neg_lo:[0,0,1] neg_hi:[0,0,1]
	v_pk_fma_f32 v[114:115], v[114:115], v[104:105], v[118:119] op_sel:[0,0,1] op_sel_hi:[1,0,0]
	v_dual_mov_b32 v114, v117 :: v_dual_mul_f32 v104, v117, v104
	v_pk_fma_f32 v[106:107], v[116:117], v[100:101], v[106:107] op_sel_hi:[1,1,0] neg_lo:[0,0,1] neg_hi:[0,0,1]
	s_delay_alu instid0(VALU_DEP_3) | instskip(NEXT) | instid1(VALU_DEP_1)
	v_dual_mov_b32 v121, v115 :: v_dual_mov_b32 v115, v116
	v_pk_add_f32 v[16:17], v[16:17], v[120:121] neg_lo:[0,1] neg_hi:[0,1]
	s_delay_alu instid0(VALU_DEP_2) | instskip(NEXT) | instid1(VALU_DEP_1)
	v_pk_fma_f32 v[104:105], v[114:115], v[100:101], v[104:105] op_sel_hi:[1,1,0]
	v_mov_b32_e32 v107, v105
	s_delay_alu instid0(VALU_DEP_1)
	v_pk_add_f32 v[102:103], v[102:103], v[106:107] neg_lo:[0,1] neg_hi:[0,1]
.LBB96_22:
	s_or_b32 exec_lo, exec_lo, s0
	v_lshl_add_u32 v104, v112, 3, v108
	s_barrier_signal -1
	s_barrier_wait -1
	ds_store_b64 v104, v[98:99]
	s_wait_dscnt 0x0
	s_barrier_signal -1
	s_barrier_wait -1
	ds_load_b64 v[106:107], v108 offset:8
	v_mov_b32_e32 v104, 1
	s_cmp_lt_i32 s18, 3
	s_cbranch_scc1 .LBB96_25
; %bb.23:
	v_add3_u32 v105, v109, 0, 16
	v_mov_b32_e32 v104, 1
	s_mov_b32 s0, 2
.LBB96_24:                              ; =>This Inner Loop Header: Depth=1
	ds_load_b64 v[114:115], v105
	s_wait_dscnt 0x1
	v_cmp_gt_f32_e32 vcc_lo, 0, v106
	v_cndmask_b32_e64 v116, v106, -v106, vcc_lo
	v_cmp_gt_f32_e32 vcc_lo, 0, v107
	v_cndmask_b32_e64 v118, v107, -v107, vcc_lo
	s_wait_dscnt 0x0
	v_cmp_gt_f32_e32 vcc_lo, 0, v114
	v_cndmask_b32_e64 v117, v114, -v114, vcc_lo
	v_cmp_gt_f32_e32 vcc_lo, 0, v115
	v_cndmask_b32_e64 v119, v115, -v115, vcc_lo
	s_delay_alu instid0(VALU_DEP_1) | instskip(NEXT) | instid1(VALU_DEP_1)
	v_pk_add_f32 v[116:117], v[116:117], v[118:119]
	v_cmp_lt_f32_e32 vcc_lo, v116, v117
	v_dual_add_nc_u32 v105, 8, v105 :: v_dual_cndmask_b32 v107, v107, v115, vcc_lo
	v_cndmask_b32_e32 v106, v106, v114, vcc_lo
	v_cndmask_b32_e64 v104, v104, s0, vcc_lo
	s_add_co_i32 s0, s0, 1
	s_delay_alu instid0(SALU_CYCLE_1)
	s_cmp_lg_u32 s18, s0
	s_cbranch_scc1 .LBB96_24
.LBB96_25:
	s_wait_dscnt 0x0
	v_cmp_neq_f32_e32 vcc_lo, 0, v106
	v_cmp_neq_f32_e64 s0, 0, v107
	s_or_b32 s1, vcc_lo, s0
	s_delay_alu instid0(SALU_CYCLE_1)
	s_and_saveexec_b32 s0, s1
	s_cbranch_execz .LBB96_31
; %bb.26:
	v_cmp_ngt_f32_e64 s1, |v106|, |v107|
	s_and_saveexec_b32 s12, s1
	s_delay_alu instid0(SALU_CYCLE_1)
	s_xor_b32 s1, exec_lo, s12
	s_cbranch_execz .LBB96_28
; %bb.27:
	v_div_scale_f32 v105, null, v107, v107, v106
	v_div_scale_f32 v115, vcc_lo, v106, v107, v106
	s_delay_alu instid0(VALU_DEP_2) | instskip(SKIP_1) | instid1(TRANS32_DEP_1)
	v_rcp_f32_e32 v110, v105
	v_nop
	v_fma_f32 v114, -v105, v110, 1.0
	s_delay_alu instid0(VALU_DEP_1) | instskip(NEXT) | instid1(VALU_DEP_1)
	v_fmac_f32_e32 v110, v114, v110
	v_mul_f32_e32 v114, v115, v110
	s_delay_alu instid0(VALU_DEP_1) | instskip(NEXT) | instid1(VALU_DEP_1)
	v_fma_f32 v116, -v105, v114, v115
	v_fmac_f32_e32 v114, v116, v110
	s_delay_alu instid0(VALU_DEP_1) | instskip(NEXT) | instid1(VALU_DEP_1)
	v_fma_f32 v105, -v105, v114, v115
	v_div_fmas_f32 v105, v105, v110, v114
	s_delay_alu instid0(VALU_DEP_1) | instskip(NEXT) | instid1(VALU_DEP_1)
	v_div_fixup_f32 v105, v105, v107, v106
	v_fmac_f32_e32 v107, v106, v105
	s_delay_alu instid0(VALU_DEP_1) | instskip(SKIP_1) | instid1(VALU_DEP_2)
	v_div_scale_f32 v106, null, v107, v107, 1.0
	v_div_scale_f32 v115, vcc_lo, 1.0, v107, 1.0
	v_rcp_f32_e32 v110, v106
	v_nop
	s_delay_alu instid0(TRANS32_DEP_1) | instskip(NEXT) | instid1(VALU_DEP_1)
	v_fma_f32 v114, -v106, v110, 1.0
	v_fmac_f32_e32 v110, v114, v110
	s_delay_alu instid0(VALU_DEP_1) | instskip(NEXT) | instid1(VALU_DEP_1)
	v_mul_f32_e32 v114, v115, v110
	v_fma_f32 v116, -v106, v114, v115
	s_delay_alu instid0(VALU_DEP_1) | instskip(NEXT) | instid1(VALU_DEP_1)
	v_fmac_f32_e32 v114, v116, v110
	v_fma_f32 v106, -v106, v114, v115
	s_delay_alu instid0(VALU_DEP_1) | instskip(NEXT) | instid1(VALU_DEP_1)
	v_div_fmas_f32 v106, v106, v110, v114
	v_div_fixup_f32 v107, v106, v107, 1.0
	s_delay_alu instid0(VALU_DEP_1)
	v_mul_f32_e32 v106, v105, v107
	v_xor_b32_e32 v107, 0x80000000, v107
.LBB96_28:
	s_and_not1_saveexec_b32 s1, s1
	s_cbranch_execz .LBB96_30
; %bb.29:
	s_delay_alu instid0(VALU_DEP_1) | instskip(SKIP_1) | instid1(VALU_DEP_2)
	v_div_scale_f32 v105, null, v106, v106, v107
	v_div_scale_f32 v115, vcc_lo, v107, v106, v107
	v_rcp_f32_e32 v110, v105
	v_nop
	s_delay_alu instid0(TRANS32_DEP_1) | instskip(NEXT) | instid1(VALU_DEP_1)
	v_fma_f32 v114, -v105, v110, 1.0
	v_fmac_f32_e32 v110, v114, v110
	s_delay_alu instid0(VALU_DEP_1) | instskip(NEXT) | instid1(VALU_DEP_1)
	v_mul_f32_e32 v114, v115, v110
	v_fma_f32 v116, -v105, v114, v115
	s_delay_alu instid0(VALU_DEP_1) | instskip(NEXT) | instid1(VALU_DEP_1)
	v_fmac_f32_e32 v114, v116, v110
	v_fma_f32 v105, -v105, v114, v115
	s_delay_alu instid0(VALU_DEP_1) | instskip(NEXT) | instid1(VALU_DEP_1)
	v_div_fmas_f32 v105, v105, v110, v114
	v_div_fixup_f32 v105, v105, v106, v107
	s_delay_alu instid0(VALU_DEP_1) | instskip(NEXT) | instid1(VALU_DEP_1)
	v_fmac_f32_e32 v106, v107, v105
	v_div_scale_f32 v107, null, v106, v106, 1.0
	s_delay_alu instid0(VALU_DEP_1) | instskip(SKIP_1) | instid1(TRANS32_DEP_1)
	v_rcp_f32_e32 v110, v107
	v_nop
	v_fma_f32 v114, -v107, v110, 1.0
	s_delay_alu instid0(VALU_DEP_1) | instskip(SKIP_1) | instid1(VALU_DEP_1)
	v_fmac_f32_e32 v110, v114, v110
	v_div_scale_f32 v114, vcc_lo, 1.0, v106, 1.0
	v_mul_f32_e32 v115, v114, v110
	s_delay_alu instid0(VALU_DEP_1) | instskip(NEXT) | instid1(VALU_DEP_1)
	v_fma_f32 v116, -v107, v115, v114
	v_fmac_f32_e32 v115, v116, v110
	s_delay_alu instid0(VALU_DEP_1) | instskip(NEXT) | instid1(VALU_DEP_1)
	v_fma_f32 v107, -v107, v115, v114
	v_div_fmas_f32 v107, v107, v110, v115
	s_delay_alu instid0(VALU_DEP_1) | instskip(NEXT) | instid1(VALU_DEP_1)
	v_div_fixup_f32 v106, v107, v106, 1.0
	v_mul_f32_e64 v107, v105, -v106
.LBB96_30:
	s_or_b32 exec_lo, exec_lo, s1
	v_mov_b32_e32 v110, v113
.LBB96_31:
	s_or_b32 exec_lo, exec_lo, s0
	s_delay_alu instid0(SALU_CYCLE_1)
	s_mov_b32 s0, exec_lo
	v_cmpx_ne_u32_e64 v112, v104
	s_xor_b32 s0, exec_lo, s0
	s_cbranch_execz .LBB96_37
; %bb.32:
	s_mov_b32 s1, exec_lo
	v_cmpx_eq_u32_e32 1, v112
	s_cbranch_execz .LBB96_36
; %bb.33:
	v_cmp_ne_u32_e32 vcc_lo, 1, v104
	s_xor_b32 s12, s16, -1
	s_delay_alu instid0(SALU_CYCLE_1) | instskip(NEXT) | instid1(SALU_CYCLE_1)
	s_and_b32 s13, s12, vcc_lo
	s_and_saveexec_b32 s12, s13
	s_cbranch_execz .LBB96_35
; %bb.34:
	v_ashrrev_i32_e32 v105, 31, v104
	s_delay_alu instid0(VALU_DEP_1)
	v_lshl_add_u64 v[112:113], v[104:105], 2, v[4:5]
	s_clause 0x1
	global_load_b32 v105, v[112:113], off
	global_load_b32 v111, v[4:5], off offset:4
	s_wait_loadcnt 0x1
	global_store_b32 v[4:5], v105, off offset:4
	s_wait_loadcnt 0x0
	global_store_b32 v[112:113], v111, off
.LBB96_35:
	s_wait_xcnt 0x0
	s_or_b32 exec_lo, exec_lo, s12
	v_dual_mov_b32 v112, v104 :: v_dual_mov_b32 v111, v104
.LBB96_36:
	s_or_b32 exec_lo, exec_lo, s1
.LBB96_37:
	s_and_not1_saveexec_b32 s0, s0
	s_cbranch_execz .LBB96_39
; %bb.38:
	v_dual_mov_b32 v104, v96 :: v_dual_mov_b32 v105, v97
	v_dual_mov_b32 v112, v94 :: v_dual_mov_b32 v113, v95
	ds_store_2addr_b64 v108, v[104:105], v[112:113] offset0:2 offset1:3
	v_dual_mov_b32 v104, v92 :: v_dual_mov_b32 v105, v93
	v_dual_mov_b32 v112, v52 :: v_dual_mov_b32 v113, v53
	ds_store_2addr_b64 v108, v[104:105], v[112:113] offset0:4 offset1:5
	;; [unrolled: 3-line block ×23, first 2 shown]
	ds_store_b64 v108, v[102:103] offset:384
	v_mov_b32_e32 v112, 1
.LBB96_39:
	s_or_b32 exec_lo, exec_lo, s0
	s_delay_alu instid0(SALU_CYCLE_1)
	s_mov_b32 s0, exec_lo
	s_wait_storecnt_dscnt 0x0
	s_barrier_signal -1
	s_barrier_wait -1
	v_cmpx_lt_i32_e32 1, v112
	s_cbranch_execz .LBB96_41
; %bb.40:
	v_pk_mul_f32 v[114:115], v[106:107], v[98:99] op_sel:[1,1] op_sel_hi:[0,1]
	s_delay_alu instid0(VALU_DEP_1)
	v_pk_fma_f32 v[104:105], v[106:107], v[98:99], v[114:115] op_sel_hi:[1,0,1] neg_lo:[0,0,1] neg_hi:[0,0,1]
	v_pk_fma_f32 v[106:107], v[106:107], v[98:99], v[114:115] op_sel_hi:[1,0,1]
	ds_load_2addr_b64 v[114:117], v108 offset0:2 offset1:3
	v_dual_mov_b32 v98, v104 :: v_dual_mov_b32 v99, v107
	s_wait_dscnt 0x0
	v_pk_mul_f32 v[118:119], v[114:115], v[106:107] op_sel:[0,1]
	s_delay_alu instid0(VALU_DEP_1) | instskip(SKIP_1) | instid1(VALU_DEP_1)
	v_pk_fma_f32 v[120:121], v[114:115], v[104:105], v[118:119] op_sel:[0,0,1] op_sel_hi:[1,1,0] neg_lo:[0,0,1] neg_hi:[0,0,1]
	v_pk_fma_f32 v[114:115], v[114:115], v[104:105], v[118:119] op_sel:[0,0,1] op_sel_hi:[1,0,0]
	v_mov_b32_e32 v121, v115
	v_pk_mul_f32 v[114:115], v[116:117], v[106:107] op_sel:[0,1]
	s_delay_alu instid0(VALU_DEP_1) | instskip(SKIP_1) | instid1(VALU_DEP_1)
	v_pk_fma_f32 v[118:119], v[116:117], v[104:105], v[114:115] op_sel:[0,0,1] op_sel_hi:[1,1,0] neg_lo:[0,0,1] neg_hi:[0,0,1]
	v_pk_fma_f32 v[114:115], v[116:117], v[104:105], v[114:115] op_sel:[0,0,1] op_sel_hi:[1,0,0]
	v_mov_b32_e32 v119, v115
	ds_load_2addr_b64 v[114:117], v108 offset0:4 offset1:5
	v_pk_add_f32 v[96:97], v[96:97], v[120:121] neg_lo:[0,1] neg_hi:[0,1]
	v_pk_add_f32 v[94:95], v[94:95], v[118:119] neg_lo:[0,1] neg_hi:[0,1]
	s_wait_dscnt 0x0
	v_pk_mul_f32 v[118:119], v[114:115], v[106:107] op_sel:[0,1]
	s_delay_alu instid0(VALU_DEP_1) | instskip(SKIP_2) | instid1(VALU_DEP_2)
	v_pk_fma_f32 v[120:121], v[114:115], v[104:105], v[118:119] op_sel:[0,0,1] op_sel_hi:[1,1,0] neg_lo:[0,0,1] neg_hi:[0,0,1]
	v_pk_fma_f32 v[114:115], v[114:115], v[104:105], v[118:119] op_sel:[0,0,1] op_sel_hi:[1,0,0]
	v_dual_mul_f32 v118, v117, v107 :: v_dual_mov_b32 v114, v117
	v_dual_mov_b32 v121, v115 :: v_dual_mov_b32 v115, v116
	s_delay_alu instid0(VALU_DEP_2) | instskip(SKIP_1) | instid1(VALU_DEP_3)
	v_pk_fma_f32 v[118:119], v[116:117], v[98:99], v[118:119] op_sel_hi:[1,1,0] neg_lo:[0,0,1] neg_hi:[0,0,1]
	v_mul_f32_e32 v116, v117, v104
	v_pk_add_f32 v[92:93], v[92:93], v[120:121] neg_lo:[0,1] neg_hi:[0,1]
	s_delay_alu instid0(VALU_DEP_2) | instskip(NEXT) | instid1(VALU_DEP_1)
	v_pk_fma_f32 v[114:115], v[114:115], v[98:99], v[116:117] op_sel_hi:[1,1,0]
	v_mov_b32_e32 v119, v115
	ds_load_2addr_b64 v[114:117], v108 offset0:6 offset1:7
	v_pk_add_f32 v[52:53], v[52:53], v[118:119] neg_lo:[0,1] neg_hi:[0,1]
	s_wait_dscnt 0x0
	v_pk_mul_f32 v[118:119], v[114:115], v[106:107] op_sel:[0,1]
	s_delay_alu instid0(VALU_DEP_1) | instskip(SKIP_1) | instid1(VALU_DEP_1)
	v_pk_fma_f32 v[120:121], v[114:115], v[104:105], v[118:119] op_sel:[0,0,1] op_sel_hi:[1,1,0] neg_lo:[0,0,1] neg_hi:[0,0,1]
	v_pk_fma_f32 v[114:115], v[114:115], v[104:105], v[118:119] op_sel:[0,0,1] op_sel_hi:[1,0,0]
	v_mov_b32_e32 v121, v115
	v_pk_mul_f32 v[114:115], v[116:117], v[106:107] op_sel:[0,1]
	s_delay_alu instid0(VALU_DEP_1) | instskip(SKIP_1) | instid1(VALU_DEP_1)
	v_pk_fma_f32 v[118:119], v[116:117], v[104:105], v[114:115] op_sel:[0,0,1] op_sel_hi:[1,1,0] neg_lo:[0,0,1] neg_hi:[0,0,1]
	v_pk_fma_f32 v[114:115], v[116:117], v[104:105], v[114:115] op_sel:[0,0,1] op_sel_hi:[1,0,0]
	v_mov_b32_e32 v119, v115
	ds_load_2addr_b64 v[114:117], v108 offset0:8 offset1:9
	v_pk_add_f32 v[58:59], v[58:59], v[120:121] neg_lo:[0,1] neg_hi:[0,1]
	v_pk_add_f32 v[50:51], v[50:51], v[118:119] neg_lo:[0,1] neg_hi:[0,1]
	s_wait_dscnt 0x0
	v_pk_mul_f32 v[118:119], v[114:115], v[106:107] op_sel:[0,1]
	s_delay_alu instid0(VALU_DEP_1) | instskip(SKIP_1) | instid1(VALU_DEP_1)
	v_pk_fma_f32 v[120:121], v[114:115], v[104:105], v[118:119] op_sel:[0,0,1] op_sel_hi:[1,1,0] neg_lo:[0,0,1] neg_hi:[0,0,1]
	v_pk_fma_f32 v[114:115], v[114:115], v[104:105], v[118:119] op_sel:[0,0,1] op_sel_hi:[1,0,0]
	v_mov_b32_e32 v121, v115
	v_pk_mul_f32 v[114:115], v[116:117], v[106:107] op_sel:[0,1]
	s_delay_alu instid0(VALU_DEP_1) | instskip(SKIP_1) | instid1(VALU_DEP_1)
	v_pk_fma_f32 v[118:119], v[116:117], v[104:105], v[114:115] op_sel:[0,0,1] op_sel_hi:[1,1,0] neg_lo:[0,0,1] neg_hi:[0,0,1]
	v_pk_fma_f32 v[114:115], v[116:117], v[104:105], v[114:115] op_sel:[0,0,1] op_sel_hi:[1,0,0]
	v_mov_b32_e32 v119, v115
	ds_load_2addr_b64 v[114:117], v108 offset0:10 offset1:11
	v_pk_add_f32 v[66:67], v[66:67], v[120:121] neg_lo:[0,1] neg_hi:[0,1]
	v_pk_add_f32 v[62:63], v[62:63], v[118:119] neg_lo:[0,1] neg_hi:[0,1]
	s_wait_dscnt 0x0
	v_dual_mul_f32 v118, v115, v107 :: v_dual_mul_f32 v120, v115, v104
	s_delay_alu instid0(VALU_DEP_1) | instskip(NEXT) | instid1(VALU_DEP_2)
	v_pk_fma_f32 v[118:119], v[114:115], v[98:99], v[118:119] op_sel_hi:[1,1,0] neg_lo:[0,0,1] neg_hi:[0,0,1]
	v_pk_fma_f32 v[114:115], v[114:115], v[98:99], v[120:121] op_sel:[1,0,0] op_sel_hi:[0,1,0]
	s_delay_alu instid0(VALU_DEP_1) | instskip(SKIP_1) | instid1(VALU_DEP_2)
	v_mov_b32_e32 v119, v115
	v_pk_mul_f32 v[114:115], v[116:117], v[106:107] op_sel:[0,1]
	v_pk_add_f32 v[64:65], v[64:65], v[118:119] neg_lo:[0,1] neg_hi:[0,1]
	s_delay_alu instid0(VALU_DEP_2) | instskip(SKIP_1) | instid1(VALU_DEP_1)
	v_pk_fma_f32 v[118:119], v[116:117], v[104:105], v[114:115] op_sel:[0,0,1] op_sel_hi:[1,1,0] neg_lo:[0,0,1] neg_hi:[0,0,1]
	v_pk_fma_f32 v[114:115], v[116:117], v[104:105], v[114:115] op_sel:[0,0,1] op_sel_hi:[1,0,0]
	v_mov_b32_e32 v119, v115
	ds_load_2addr_b64 v[114:117], v108 offset0:12 offset1:13
	v_pk_add_f32 v[60:61], v[60:61], v[118:119] neg_lo:[0,1] neg_hi:[0,1]
	s_wait_dscnt 0x0
	v_pk_mul_f32 v[118:119], v[114:115], v[106:107] op_sel:[0,1]
	s_delay_alu instid0(VALU_DEP_1) | instskip(SKIP_1) | instid1(VALU_DEP_1)
	v_pk_fma_f32 v[120:121], v[114:115], v[104:105], v[118:119] op_sel:[0,0,1] op_sel_hi:[1,1,0] neg_lo:[0,0,1] neg_hi:[0,0,1]
	v_pk_fma_f32 v[114:115], v[114:115], v[104:105], v[118:119] op_sel:[0,0,1] op_sel_hi:[1,0,0]
	v_mov_b32_e32 v121, v115
	v_pk_mul_f32 v[114:115], v[116:117], v[106:107] op_sel:[0,1]
	s_delay_alu instid0(VALU_DEP_2) | instskip(NEXT) | instid1(VALU_DEP_2)
	v_pk_add_f32 v[90:91], v[90:91], v[120:121] neg_lo:[0,1] neg_hi:[0,1]
	v_pk_fma_f32 v[118:119], v[116:117], v[104:105], v[114:115] op_sel:[0,0,1] op_sel_hi:[1,1,0] neg_lo:[0,0,1] neg_hi:[0,0,1]
	v_pk_fma_f32 v[114:115], v[116:117], v[104:105], v[114:115] op_sel:[0,0,1] op_sel_hi:[1,0,0]
	s_delay_alu instid0(VALU_DEP_1) | instskip(SKIP_4) | instid1(VALU_DEP_1)
	v_mov_b32_e32 v119, v115
	ds_load_2addr_b64 v[114:117], v108 offset0:14 offset1:15
	v_pk_add_f32 v[86:87], v[86:87], v[118:119] neg_lo:[0,1] neg_hi:[0,1]
	s_wait_dscnt 0x0
	v_pk_mul_f32 v[118:119], v[114:115], v[106:107] op_sel:[0,1]
	v_pk_fma_f32 v[120:121], v[114:115], v[104:105], v[118:119] op_sel:[0,0,1] op_sel_hi:[1,1,0] neg_lo:[0,0,1] neg_hi:[0,0,1]
	v_pk_fma_f32 v[114:115], v[114:115], v[104:105], v[118:119] op_sel:[0,0,1] op_sel_hi:[1,0,0]
	v_dual_mul_f32 v118, v117, v107 :: v_dual_mov_b32 v114, v117
	s_delay_alu instid0(VALU_DEP_2) | instskip(NEXT) | instid1(VALU_DEP_2)
	v_dual_mov_b32 v121, v115 :: v_dual_mov_b32 v115, v116
	v_pk_fma_f32 v[118:119], v[116:117], v[98:99], v[118:119] op_sel_hi:[1,1,0] neg_lo:[0,0,1] neg_hi:[0,0,1]
	v_mul_f32_e32 v116, v117, v104
	s_delay_alu instid0(VALU_DEP_3) | instskip(NEXT) | instid1(VALU_DEP_2)
	v_pk_add_f32 v[88:89], v[88:89], v[120:121] neg_lo:[0,1] neg_hi:[0,1]
	v_pk_fma_f32 v[114:115], v[114:115], v[98:99], v[116:117] op_sel_hi:[1,1,0]
	s_delay_alu instid0(VALU_DEP_1) | instskip(SKIP_4) | instid1(VALU_DEP_1)
	v_mov_b32_e32 v119, v115
	ds_load_2addr_b64 v[114:117], v108 offset0:16 offset1:17
	v_pk_add_f32 v[84:85], v[84:85], v[118:119] neg_lo:[0,1] neg_hi:[0,1]
	s_wait_dscnt 0x0
	v_pk_mul_f32 v[118:119], v[114:115], v[106:107] op_sel:[0,1]
	v_pk_fma_f32 v[120:121], v[114:115], v[104:105], v[118:119] op_sel:[0,0,1] op_sel_hi:[1,1,0] neg_lo:[0,0,1] neg_hi:[0,0,1]
	v_pk_fma_f32 v[114:115], v[114:115], v[104:105], v[118:119] op_sel:[0,0,1] op_sel_hi:[1,0,0]
	s_delay_alu instid0(VALU_DEP_1) | instskip(SKIP_1) | instid1(VALU_DEP_1)
	v_mov_b32_e32 v121, v115
	v_pk_mul_f32 v[114:115], v[116:117], v[106:107] op_sel:[0,1]
	v_pk_fma_f32 v[118:119], v[116:117], v[104:105], v[114:115] op_sel:[0,0,1] op_sel_hi:[1,1,0] neg_lo:[0,0,1] neg_hi:[0,0,1]
	v_pk_fma_f32 v[114:115], v[116:117], v[104:105], v[114:115] op_sel:[0,0,1] op_sel_hi:[1,0,0]
	s_delay_alu instid0(VALU_DEP_1)
	v_mov_b32_e32 v119, v115
	ds_load_2addr_b64 v[114:117], v108 offset0:18 offset1:19
	v_pk_add_f32 v[82:83], v[82:83], v[120:121] neg_lo:[0,1] neg_hi:[0,1]
	v_pk_add_f32 v[78:79], v[78:79], v[118:119] neg_lo:[0,1] neg_hi:[0,1]
	s_wait_dscnt 0x0
	v_pk_mul_f32 v[118:119], v[114:115], v[106:107] op_sel:[0,1]
	s_delay_alu instid0(VALU_DEP_1) | instskip(SKIP_1) | instid1(VALU_DEP_1)
	v_pk_fma_f32 v[120:121], v[114:115], v[104:105], v[118:119] op_sel:[0,0,1] op_sel_hi:[1,1,0] neg_lo:[0,0,1] neg_hi:[0,0,1]
	v_pk_fma_f32 v[114:115], v[114:115], v[104:105], v[118:119] op_sel:[0,0,1] op_sel_hi:[1,0,0]
	v_mov_b32_e32 v121, v115
	v_pk_mul_f32 v[114:115], v[116:117], v[106:107] op_sel:[0,1]
	s_delay_alu instid0(VALU_DEP_1) | instskip(SKIP_1) | instid1(VALU_DEP_1)
	v_pk_fma_f32 v[118:119], v[116:117], v[104:105], v[114:115] op_sel:[0,0,1] op_sel_hi:[1,1,0] neg_lo:[0,0,1] neg_hi:[0,0,1]
	v_pk_fma_f32 v[114:115], v[116:117], v[104:105], v[114:115] op_sel:[0,0,1] op_sel_hi:[1,0,0]
	v_mov_b32_e32 v119, v115
	ds_load_2addr_b64 v[114:117], v108 offset0:20 offset1:21
	v_pk_add_f32 v[80:81], v[80:81], v[120:121] neg_lo:[0,1] neg_hi:[0,1]
	v_pk_add_f32 v[76:77], v[76:77], v[118:119] neg_lo:[0,1] neg_hi:[0,1]
	s_wait_dscnt 0x0
	v_dual_mul_f32 v118, v115, v107 :: v_dual_mul_f32 v120, v115, v104
	s_delay_alu instid0(VALU_DEP_1) | instskip(NEXT) | instid1(VALU_DEP_2)
	v_pk_fma_f32 v[118:119], v[114:115], v[98:99], v[118:119] op_sel_hi:[1,1,0] neg_lo:[0,0,1] neg_hi:[0,0,1]
	v_pk_fma_f32 v[114:115], v[114:115], v[98:99], v[120:121] op_sel:[1,0,0] op_sel_hi:[0,1,0]
	s_delay_alu instid0(VALU_DEP_1) | instskip(SKIP_1) | instid1(VALU_DEP_2)
	v_mov_b32_e32 v119, v115
	v_pk_mul_f32 v[114:115], v[116:117], v[106:107] op_sel:[0,1]
	v_pk_add_f32 v[74:75], v[74:75], v[118:119] neg_lo:[0,1] neg_hi:[0,1]
	s_delay_alu instid0(VALU_DEP_2) | instskip(SKIP_1) | instid1(VALU_DEP_1)
	v_pk_fma_f32 v[118:119], v[116:117], v[104:105], v[114:115] op_sel:[0,0,1] op_sel_hi:[1,1,0] neg_lo:[0,0,1] neg_hi:[0,0,1]
	v_pk_fma_f32 v[114:115], v[116:117], v[104:105], v[114:115] op_sel:[0,0,1] op_sel_hi:[1,0,0]
	v_mov_b32_e32 v119, v115
	ds_load_2addr_b64 v[114:117], v108 offset0:22 offset1:23
	v_pk_add_f32 v[70:71], v[70:71], v[118:119] neg_lo:[0,1] neg_hi:[0,1]
	s_wait_dscnt 0x0
	v_pk_mul_f32 v[118:119], v[114:115], v[106:107] op_sel:[0,1]
	s_delay_alu instid0(VALU_DEP_1) | instskip(SKIP_1) | instid1(VALU_DEP_1)
	v_pk_fma_f32 v[120:121], v[114:115], v[104:105], v[118:119] op_sel:[0,0,1] op_sel_hi:[1,1,0] neg_lo:[0,0,1] neg_hi:[0,0,1]
	v_pk_fma_f32 v[114:115], v[114:115], v[104:105], v[118:119] op_sel:[0,0,1] op_sel_hi:[1,0,0]
	v_mov_b32_e32 v121, v115
	v_pk_mul_f32 v[114:115], v[116:117], v[106:107] op_sel:[0,1]
	s_delay_alu instid0(VALU_DEP_2) | instskip(NEXT) | instid1(VALU_DEP_2)
	v_pk_add_f32 v[72:73], v[72:73], v[120:121] neg_lo:[0,1] neg_hi:[0,1]
	v_pk_fma_f32 v[118:119], v[116:117], v[104:105], v[114:115] op_sel:[0,0,1] op_sel_hi:[1,1,0] neg_lo:[0,0,1] neg_hi:[0,0,1]
	v_pk_fma_f32 v[114:115], v[116:117], v[104:105], v[114:115] op_sel:[0,0,1] op_sel_hi:[1,0,0]
	s_delay_alu instid0(VALU_DEP_1) | instskip(SKIP_4) | instid1(VALU_DEP_1)
	v_mov_b32_e32 v119, v115
	ds_load_2addr_b64 v[114:117], v108 offset0:24 offset1:25
	v_pk_add_f32 v[68:69], v[68:69], v[118:119] neg_lo:[0,1] neg_hi:[0,1]
	s_wait_dscnt 0x0
	v_pk_mul_f32 v[118:119], v[114:115], v[106:107] op_sel:[0,1]
	v_pk_fma_f32 v[120:121], v[114:115], v[104:105], v[118:119] op_sel:[0,0,1] op_sel_hi:[1,1,0] neg_lo:[0,0,1] neg_hi:[0,0,1]
	v_pk_fma_f32 v[114:115], v[114:115], v[104:105], v[118:119] op_sel:[0,0,1] op_sel_hi:[1,0,0]
	v_dual_mul_f32 v118, v117, v107 :: v_dual_mov_b32 v114, v117
	s_delay_alu instid0(VALU_DEP_2) | instskip(NEXT) | instid1(VALU_DEP_2)
	v_dual_mov_b32 v121, v115 :: v_dual_mov_b32 v115, v116
	v_pk_fma_f32 v[118:119], v[116:117], v[98:99], v[118:119] op_sel_hi:[1,1,0] neg_lo:[0,0,1] neg_hi:[0,0,1]
	v_mul_f32_e32 v116, v117, v104
	s_delay_alu instid0(VALU_DEP_3) | instskip(NEXT) | instid1(VALU_DEP_2)
	v_pk_add_f32 v[56:57], v[56:57], v[120:121] neg_lo:[0,1] neg_hi:[0,1]
	v_pk_fma_f32 v[114:115], v[114:115], v[98:99], v[116:117] op_sel_hi:[1,1,0]
	s_delay_alu instid0(VALU_DEP_1) | instskip(SKIP_4) | instid1(VALU_DEP_1)
	v_mov_b32_e32 v119, v115
	ds_load_2addr_b64 v[114:117], v108 offset0:26 offset1:27
	v_pk_add_f32 v[48:49], v[48:49], v[118:119] neg_lo:[0,1] neg_hi:[0,1]
	s_wait_dscnt 0x0
	v_pk_mul_f32 v[118:119], v[114:115], v[106:107] op_sel:[0,1]
	v_pk_fma_f32 v[120:121], v[114:115], v[104:105], v[118:119] op_sel:[0,0,1] op_sel_hi:[1,1,0] neg_lo:[0,0,1] neg_hi:[0,0,1]
	v_pk_fma_f32 v[114:115], v[114:115], v[104:105], v[118:119] op_sel:[0,0,1] op_sel_hi:[1,0,0]
	s_delay_alu instid0(VALU_DEP_1) | instskip(SKIP_1) | instid1(VALU_DEP_1)
	v_mov_b32_e32 v121, v115
	v_pk_mul_f32 v[114:115], v[116:117], v[106:107] op_sel:[0,1]
	v_pk_fma_f32 v[118:119], v[116:117], v[104:105], v[114:115] op_sel:[0,0,1] op_sel_hi:[1,1,0] neg_lo:[0,0,1] neg_hi:[0,0,1]
	v_pk_fma_f32 v[114:115], v[116:117], v[104:105], v[114:115] op_sel:[0,0,1] op_sel_hi:[1,0,0]
	s_delay_alu instid0(VALU_DEP_1)
	v_mov_b32_e32 v119, v115
	ds_load_2addr_b64 v[114:117], v108 offset0:28 offset1:29
	v_pk_add_f32 v[54:55], v[54:55], v[120:121] neg_lo:[0,1] neg_hi:[0,1]
	v_pk_add_f32 v[46:47], v[46:47], v[118:119] neg_lo:[0,1] neg_hi:[0,1]
	s_wait_dscnt 0x0
	v_pk_mul_f32 v[118:119], v[114:115], v[106:107] op_sel:[0,1]
	s_delay_alu instid0(VALU_DEP_1) | instskip(SKIP_1) | instid1(VALU_DEP_1)
	v_pk_fma_f32 v[120:121], v[114:115], v[104:105], v[118:119] op_sel:[0,0,1] op_sel_hi:[1,1,0] neg_lo:[0,0,1] neg_hi:[0,0,1]
	v_pk_fma_f32 v[114:115], v[114:115], v[104:105], v[118:119] op_sel:[0,0,1] op_sel_hi:[1,0,0]
	v_mov_b32_e32 v121, v115
	v_pk_mul_f32 v[114:115], v[116:117], v[106:107] op_sel:[0,1]
	s_delay_alu instid0(VALU_DEP_1) | instskip(SKIP_1) | instid1(VALU_DEP_1)
	v_pk_fma_f32 v[118:119], v[116:117], v[104:105], v[114:115] op_sel:[0,0,1] op_sel_hi:[1,1,0] neg_lo:[0,0,1] neg_hi:[0,0,1]
	v_pk_fma_f32 v[114:115], v[116:117], v[104:105], v[114:115] op_sel:[0,0,1] op_sel_hi:[1,0,0]
	v_mov_b32_e32 v119, v115
	ds_load_2addr_b64 v[114:117], v108 offset0:30 offset1:31
	v_pk_add_f32 v[44:45], v[44:45], v[120:121] neg_lo:[0,1] neg_hi:[0,1]
	v_pk_add_f32 v[40:41], v[40:41], v[118:119] neg_lo:[0,1] neg_hi:[0,1]
	s_wait_dscnt 0x0
	v_dual_mul_f32 v118, v115, v107 :: v_dual_mul_f32 v120, v115, v104
	s_delay_alu instid0(VALU_DEP_1) | instskip(NEXT) | instid1(VALU_DEP_2)
	v_pk_fma_f32 v[118:119], v[114:115], v[98:99], v[118:119] op_sel_hi:[1,1,0] neg_lo:[0,0,1] neg_hi:[0,0,1]
	v_pk_fma_f32 v[114:115], v[114:115], v[98:99], v[120:121] op_sel:[1,0,0] op_sel_hi:[0,1,0]
	s_delay_alu instid0(VALU_DEP_1) | instskip(SKIP_1) | instid1(VALU_DEP_2)
	v_mov_b32_e32 v119, v115
	v_pk_mul_f32 v[114:115], v[116:117], v[106:107] op_sel:[0,1]
	v_pk_add_f32 v[42:43], v[42:43], v[118:119] neg_lo:[0,1] neg_hi:[0,1]
	s_delay_alu instid0(VALU_DEP_2) | instskip(SKIP_1) | instid1(VALU_DEP_1)
	v_pk_fma_f32 v[118:119], v[116:117], v[104:105], v[114:115] op_sel:[0,0,1] op_sel_hi:[1,1,0] neg_lo:[0,0,1] neg_hi:[0,0,1]
	v_pk_fma_f32 v[114:115], v[116:117], v[104:105], v[114:115] op_sel:[0,0,1] op_sel_hi:[1,0,0]
	v_mov_b32_e32 v119, v115
	ds_load_2addr_b64 v[114:117], v108 offset0:32 offset1:33
	v_pk_add_f32 v[38:39], v[38:39], v[118:119] neg_lo:[0,1] neg_hi:[0,1]
	s_wait_dscnt 0x0
	v_pk_mul_f32 v[118:119], v[114:115], v[106:107] op_sel:[0,1]
	s_delay_alu instid0(VALU_DEP_1) | instskip(SKIP_1) | instid1(VALU_DEP_1)
	v_pk_fma_f32 v[120:121], v[114:115], v[104:105], v[118:119] op_sel:[0,0,1] op_sel_hi:[1,1,0] neg_lo:[0,0,1] neg_hi:[0,0,1]
	v_pk_fma_f32 v[114:115], v[114:115], v[104:105], v[118:119] op_sel:[0,0,1] op_sel_hi:[1,0,0]
	v_mov_b32_e32 v121, v115
	v_pk_mul_f32 v[114:115], v[116:117], v[106:107] op_sel:[0,1]
	s_delay_alu instid0(VALU_DEP_2) | instskip(NEXT) | instid1(VALU_DEP_2)
	v_pk_add_f32 v[36:37], v[36:37], v[120:121] neg_lo:[0,1] neg_hi:[0,1]
	v_pk_fma_f32 v[118:119], v[116:117], v[104:105], v[114:115] op_sel:[0,0,1] op_sel_hi:[1,1,0] neg_lo:[0,0,1] neg_hi:[0,0,1]
	v_pk_fma_f32 v[114:115], v[116:117], v[104:105], v[114:115] op_sel:[0,0,1] op_sel_hi:[1,0,0]
	s_delay_alu instid0(VALU_DEP_1) | instskip(SKIP_4) | instid1(VALU_DEP_1)
	v_mov_b32_e32 v119, v115
	ds_load_2addr_b64 v[114:117], v108 offset0:34 offset1:35
	v_pk_add_f32 v[32:33], v[32:33], v[118:119] neg_lo:[0,1] neg_hi:[0,1]
	s_wait_dscnt 0x0
	v_pk_mul_f32 v[118:119], v[114:115], v[106:107] op_sel:[0,1]
	v_pk_fma_f32 v[120:121], v[114:115], v[104:105], v[118:119] op_sel:[0,0,1] op_sel_hi:[1,1,0] neg_lo:[0,0,1] neg_hi:[0,0,1]
	v_pk_fma_f32 v[114:115], v[114:115], v[104:105], v[118:119] op_sel:[0,0,1] op_sel_hi:[1,0,0]
	v_dual_mul_f32 v118, v117, v107 :: v_dual_mov_b32 v114, v117
	s_delay_alu instid0(VALU_DEP_2) | instskip(NEXT) | instid1(VALU_DEP_2)
	v_dual_mov_b32 v121, v115 :: v_dual_mov_b32 v115, v116
	v_pk_fma_f32 v[118:119], v[116:117], v[98:99], v[118:119] op_sel_hi:[1,1,0] neg_lo:[0,0,1] neg_hi:[0,0,1]
	v_mul_f32_e32 v116, v117, v104
	s_delay_alu instid0(VALU_DEP_3) | instskip(NEXT) | instid1(VALU_DEP_2)
	v_pk_add_f32 v[34:35], v[34:35], v[120:121] neg_lo:[0,1] neg_hi:[0,1]
	v_pk_fma_f32 v[114:115], v[114:115], v[98:99], v[116:117] op_sel_hi:[1,1,0]
	s_delay_alu instid0(VALU_DEP_1) | instskip(SKIP_4) | instid1(VALU_DEP_1)
	v_mov_b32_e32 v119, v115
	ds_load_2addr_b64 v[114:117], v108 offset0:36 offset1:37
	v_pk_add_f32 v[30:31], v[30:31], v[118:119] neg_lo:[0,1] neg_hi:[0,1]
	s_wait_dscnt 0x0
	v_pk_mul_f32 v[118:119], v[114:115], v[106:107] op_sel:[0,1]
	v_pk_fma_f32 v[120:121], v[114:115], v[104:105], v[118:119] op_sel:[0,0,1] op_sel_hi:[1,1,0] neg_lo:[0,0,1] neg_hi:[0,0,1]
	v_pk_fma_f32 v[114:115], v[114:115], v[104:105], v[118:119] op_sel:[0,0,1] op_sel_hi:[1,0,0]
	s_delay_alu instid0(VALU_DEP_1) | instskip(SKIP_1) | instid1(VALU_DEP_1)
	v_mov_b32_e32 v121, v115
	v_pk_mul_f32 v[114:115], v[116:117], v[106:107] op_sel:[0,1]
	v_pk_fma_f32 v[118:119], v[116:117], v[104:105], v[114:115] op_sel:[0,0,1] op_sel_hi:[1,1,0] neg_lo:[0,0,1] neg_hi:[0,0,1]
	v_pk_fma_f32 v[114:115], v[116:117], v[104:105], v[114:115] op_sel:[0,0,1] op_sel_hi:[1,0,0]
	s_delay_alu instid0(VALU_DEP_1)
	v_mov_b32_e32 v119, v115
	ds_load_2addr_b64 v[114:117], v108 offset0:38 offset1:39
	v_pk_add_f32 v[26:27], v[26:27], v[120:121] neg_lo:[0,1] neg_hi:[0,1]
	v_pk_add_f32 v[22:23], v[22:23], v[118:119] neg_lo:[0,1] neg_hi:[0,1]
	s_wait_dscnt 0x0
	v_pk_mul_f32 v[118:119], v[114:115], v[106:107] op_sel:[0,1]
	s_delay_alu instid0(VALU_DEP_1) | instskip(SKIP_1) | instid1(VALU_DEP_1)
	v_pk_fma_f32 v[120:121], v[114:115], v[104:105], v[118:119] op_sel:[0,0,1] op_sel_hi:[1,1,0] neg_lo:[0,0,1] neg_hi:[0,0,1]
	v_pk_fma_f32 v[114:115], v[114:115], v[104:105], v[118:119] op_sel:[0,0,1] op_sel_hi:[1,0,0]
	v_mov_b32_e32 v121, v115
	v_pk_mul_f32 v[114:115], v[116:117], v[106:107] op_sel:[0,1]
	s_delay_alu instid0(VALU_DEP_1) | instskip(SKIP_1) | instid1(VALU_DEP_1)
	v_pk_fma_f32 v[118:119], v[116:117], v[104:105], v[114:115] op_sel:[0,0,1] op_sel_hi:[1,1,0] neg_lo:[0,0,1] neg_hi:[0,0,1]
	v_pk_fma_f32 v[114:115], v[116:117], v[104:105], v[114:115] op_sel:[0,0,1] op_sel_hi:[1,0,0]
	v_mov_b32_e32 v119, v115
	ds_load_2addr_b64 v[114:117], v108 offset0:40 offset1:41
	v_pk_add_f32 v[24:25], v[24:25], v[120:121] neg_lo:[0,1] neg_hi:[0,1]
	v_pk_add_f32 v[20:21], v[20:21], v[118:119] neg_lo:[0,1] neg_hi:[0,1]
	s_wait_dscnt 0x0
	v_dual_mul_f32 v118, v115, v107 :: v_dual_mul_f32 v120, v115, v104
	s_delay_alu instid0(VALU_DEP_1) | instskip(NEXT) | instid1(VALU_DEP_2)
	v_pk_fma_f32 v[118:119], v[114:115], v[98:99], v[118:119] op_sel_hi:[1,1,0] neg_lo:[0,0,1] neg_hi:[0,0,1]
	v_pk_fma_f32 v[114:115], v[114:115], v[98:99], v[120:121] op_sel:[1,0,0] op_sel_hi:[0,1,0]
	s_delay_alu instid0(VALU_DEP_1) | instskip(SKIP_1) | instid1(VALU_DEP_2)
	v_mov_b32_e32 v119, v115
	v_pk_mul_f32 v[114:115], v[116:117], v[106:107] op_sel:[0,1]
	v_pk_add_f32 v[14:15], v[14:15], v[118:119] neg_lo:[0,1] neg_hi:[0,1]
	s_delay_alu instid0(VALU_DEP_2) | instskip(SKIP_1) | instid1(VALU_DEP_1)
	v_pk_fma_f32 v[118:119], v[116:117], v[104:105], v[114:115] op_sel:[0,0,1] op_sel_hi:[1,1,0] neg_lo:[0,0,1] neg_hi:[0,0,1]
	v_pk_fma_f32 v[114:115], v[116:117], v[104:105], v[114:115] op_sel:[0,0,1] op_sel_hi:[1,0,0]
	v_mov_b32_e32 v119, v115
	ds_load_2addr_b64 v[114:117], v108 offset0:42 offset1:43
	v_pk_add_f32 v[10:11], v[10:11], v[118:119] neg_lo:[0,1] neg_hi:[0,1]
	s_wait_dscnt 0x0
	v_pk_mul_f32 v[118:119], v[114:115], v[106:107] op_sel:[0,1]
	s_delay_alu instid0(VALU_DEP_1) | instskip(SKIP_1) | instid1(VALU_DEP_1)
	v_pk_fma_f32 v[120:121], v[114:115], v[104:105], v[118:119] op_sel:[0,0,1] op_sel_hi:[1,1,0] neg_lo:[0,0,1] neg_hi:[0,0,1]
	v_pk_fma_f32 v[114:115], v[114:115], v[104:105], v[118:119] op_sel:[0,0,1] op_sel_hi:[1,0,0]
	v_mov_b32_e32 v121, v115
	v_pk_mul_f32 v[114:115], v[116:117], v[106:107] op_sel:[0,1]
	s_delay_alu instid0(VALU_DEP_2) | instskip(NEXT) | instid1(VALU_DEP_2)
	v_pk_add_f32 v[12:13], v[12:13], v[120:121] neg_lo:[0,1] neg_hi:[0,1]
	v_pk_fma_f32 v[118:119], v[116:117], v[104:105], v[114:115] op_sel:[0,0,1] op_sel_hi:[1,1,0] neg_lo:[0,0,1] neg_hi:[0,0,1]
	v_pk_fma_f32 v[114:115], v[116:117], v[104:105], v[114:115] op_sel:[0,0,1] op_sel_hi:[1,0,0]
	s_delay_alu instid0(VALU_DEP_1) | instskip(SKIP_4) | instid1(VALU_DEP_1)
	v_mov_b32_e32 v119, v115
	ds_load_2addr_b64 v[114:117], v108 offset0:44 offset1:45
	v_pk_add_f32 v[8:9], v[8:9], v[118:119] neg_lo:[0,1] neg_hi:[0,1]
	s_wait_dscnt 0x0
	v_pk_mul_f32 v[118:119], v[114:115], v[106:107] op_sel:[0,1]
	v_pk_fma_f32 v[120:121], v[114:115], v[104:105], v[118:119] op_sel:[0,0,1] op_sel_hi:[1,1,0] neg_lo:[0,0,1] neg_hi:[0,0,1]
	v_pk_fma_f32 v[114:115], v[114:115], v[104:105], v[118:119] op_sel:[0,0,1] op_sel_hi:[1,0,0]
	v_dual_mul_f32 v118, v117, v107 :: v_dual_mov_b32 v114, v117
	s_delay_alu instid0(VALU_DEP_2) | instskip(NEXT) | instid1(VALU_DEP_2)
	v_dual_mov_b32 v121, v115 :: v_dual_mov_b32 v115, v116
	v_pk_fma_f32 v[118:119], v[116:117], v[98:99], v[118:119] op_sel_hi:[1,1,0] neg_lo:[0,0,1] neg_hi:[0,0,1]
	v_mul_f32_e32 v116, v117, v104
	s_delay_alu instid0(VALU_DEP_3) | instskip(NEXT) | instid1(VALU_DEP_2)
	v_pk_add_f32 v[6:7], v[6:7], v[120:121] neg_lo:[0,1] neg_hi:[0,1]
	v_pk_fma_f32 v[114:115], v[114:115], v[98:99], v[116:117] op_sel_hi:[1,1,0]
	s_delay_alu instid0(VALU_DEP_1) | instskip(SKIP_4) | instid1(VALU_DEP_1)
	v_mov_b32_e32 v119, v115
	ds_load_2addr_b64 v[114:117], v108 offset0:46 offset1:47
	v_pk_add_f32 v[28:29], v[28:29], v[118:119] neg_lo:[0,1] neg_hi:[0,1]
	s_wait_dscnt 0x0
	v_pk_mul_f32 v[118:119], v[114:115], v[106:107] op_sel:[0,1]
	v_pk_fma_f32 v[120:121], v[114:115], v[104:105], v[118:119] op_sel:[0,0,1] op_sel_hi:[1,1,0] neg_lo:[0,0,1] neg_hi:[0,0,1]
	v_pk_fma_f32 v[114:115], v[114:115], v[104:105], v[118:119] op_sel:[0,0,1] op_sel_hi:[1,0,0]
	s_delay_alu instid0(VALU_DEP_1) | instskip(SKIP_1) | instid1(VALU_DEP_1)
	v_mov_b32_e32 v121, v115
	v_pk_mul_f32 v[114:115], v[116:117], v[106:107] op_sel:[0,1]
	v_pk_fma_f32 v[118:119], v[116:117], v[104:105], v[114:115] op_sel:[0,0,1] op_sel_hi:[1,1,0] neg_lo:[0,0,1] neg_hi:[0,0,1]
	v_pk_fma_f32 v[114:115], v[116:117], v[104:105], v[114:115] op_sel:[0,0,1] op_sel_hi:[1,0,0]
	s_delay_alu instid0(VALU_DEP_1)
	v_mov_b32_e32 v119, v115
	ds_load_b64 v[114:115], v108 offset:384
	v_pk_add_f32 v[18:19], v[18:19], v[120:121] neg_lo:[0,1] neg_hi:[0,1]
	v_pk_add_f32 v[16:17], v[16:17], v[118:119] neg_lo:[0,1] neg_hi:[0,1]
	s_wait_dscnt 0x0
	v_pk_mul_f32 v[106:107], v[114:115], v[106:107] op_sel:[0,1]
	s_delay_alu instid0(VALU_DEP_1) | instskip(SKIP_1) | instid1(VALU_DEP_1)
	v_pk_fma_f32 v[116:117], v[114:115], v[104:105], v[106:107] op_sel:[0,0,1] op_sel_hi:[1,1,0] neg_lo:[0,0,1] neg_hi:[0,0,1]
	v_pk_fma_f32 v[104:105], v[114:115], v[104:105], v[106:107] op_sel:[0,0,1] op_sel_hi:[1,0,0]
	v_mov_b32_e32 v117, v105
	s_delay_alu instid0(VALU_DEP_1)
	v_pk_add_f32 v[102:103], v[102:103], v[116:117] neg_lo:[0,1] neg_hi:[0,1]
.LBB96_41:
	s_or_b32 exec_lo, exec_lo, s0
	v_lshl_add_u32 v104, v112, 3, v108
	s_barrier_signal -1
	s_barrier_wait -1
	ds_store_b64 v104, v[96:97]
	s_wait_dscnt 0x0
	s_barrier_signal -1
	s_barrier_wait -1
	ds_load_b64 v[106:107], v108 offset:16
	v_mov_b32_e32 v104, 2
	s_cmp_lt_i32 s18, 4
	s_mov_b32 s0, 3
	s_cbranch_scc1 .LBB96_44
; %bb.42:
	v_add3_u32 v105, v109, 0, 24
	v_mov_b32_e32 v104, 2
.LBB96_43:                              ; =>This Inner Loop Header: Depth=1
	ds_load_b64 v[114:115], v105
	s_wait_dscnt 0x1
	v_cmp_gt_f32_e32 vcc_lo, 0, v106
	v_cndmask_b32_e64 v116, v106, -v106, vcc_lo
	v_cmp_gt_f32_e32 vcc_lo, 0, v107
	v_cndmask_b32_e64 v118, v107, -v107, vcc_lo
	s_wait_dscnt 0x0
	v_cmp_gt_f32_e32 vcc_lo, 0, v114
	v_cndmask_b32_e64 v117, v114, -v114, vcc_lo
	v_cmp_gt_f32_e32 vcc_lo, 0, v115
	v_cndmask_b32_e64 v119, v115, -v115, vcc_lo
	s_delay_alu instid0(VALU_DEP_1) | instskip(NEXT) | instid1(VALU_DEP_1)
	v_pk_add_f32 v[116:117], v[116:117], v[118:119]
	v_cmp_lt_f32_e32 vcc_lo, v116, v117
	v_dual_add_nc_u32 v105, 8, v105 :: v_dual_cndmask_b32 v107, v107, v115, vcc_lo
	v_cndmask_b32_e32 v106, v106, v114, vcc_lo
	v_cndmask_b32_e64 v104, v104, s0, vcc_lo
	s_add_co_i32 s0, s0, 1
	s_delay_alu instid0(SALU_CYCLE_1)
	s_cmp_lg_u32 s18, s0
	s_cbranch_scc1 .LBB96_43
.LBB96_44:
	s_wait_dscnt 0x0
	v_cmp_eq_f32_e32 vcc_lo, 0, v106
	v_cmp_eq_f32_e64 s0, 0, v107
	s_and_b32 s0, vcc_lo, s0
	s_delay_alu instid0(SALU_CYCLE_1) | instskip(NEXT) | instid1(SALU_CYCLE_1)
	s_and_saveexec_b32 s1, s0
	s_xor_b32 s0, exec_lo, s1
; %bb.45:
	v_cmp_ne_u32_e32 vcc_lo, 0, v110
	v_cndmask_b32_e32 v110, 3, v110, vcc_lo
; %bb.46:
	s_and_not1_saveexec_b32 s0, s0
	s_cbranch_execz .LBB96_52
; %bb.47:
	v_cmp_ngt_f32_e64 s1, |v106|, |v107|
	s_and_saveexec_b32 s12, s1
	s_delay_alu instid0(SALU_CYCLE_1)
	s_xor_b32 s1, exec_lo, s12
	s_cbranch_execz .LBB96_49
; %bb.48:
	v_div_scale_f32 v105, null, v107, v107, v106
	v_div_scale_f32 v115, vcc_lo, v106, v107, v106
	s_delay_alu instid0(VALU_DEP_2) | instskip(SKIP_1) | instid1(TRANS32_DEP_1)
	v_rcp_f32_e32 v113, v105
	v_nop
	v_fma_f32 v114, -v105, v113, 1.0
	s_delay_alu instid0(VALU_DEP_1) | instskip(NEXT) | instid1(VALU_DEP_1)
	v_fmac_f32_e32 v113, v114, v113
	v_mul_f32_e32 v114, v115, v113
	s_delay_alu instid0(VALU_DEP_1) | instskip(NEXT) | instid1(VALU_DEP_1)
	v_fma_f32 v116, -v105, v114, v115
	v_fmac_f32_e32 v114, v116, v113
	s_delay_alu instid0(VALU_DEP_1) | instskip(NEXT) | instid1(VALU_DEP_1)
	v_fma_f32 v105, -v105, v114, v115
	v_div_fmas_f32 v105, v105, v113, v114
	s_delay_alu instid0(VALU_DEP_1) | instskip(NEXT) | instid1(VALU_DEP_1)
	v_div_fixup_f32 v105, v105, v107, v106
	v_fmac_f32_e32 v107, v106, v105
	s_delay_alu instid0(VALU_DEP_1) | instskip(SKIP_1) | instid1(VALU_DEP_2)
	v_div_scale_f32 v106, null, v107, v107, 1.0
	v_div_scale_f32 v115, vcc_lo, 1.0, v107, 1.0
	v_rcp_f32_e32 v113, v106
	v_nop
	s_delay_alu instid0(TRANS32_DEP_1) | instskip(NEXT) | instid1(VALU_DEP_1)
	v_fma_f32 v114, -v106, v113, 1.0
	v_fmac_f32_e32 v113, v114, v113
	s_delay_alu instid0(VALU_DEP_1) | instskip(NEXT) | instid1(VALU_DEP_1)
	v_mul_f32_e32 v114, v115, v113
	v_fma_f32 v116, -v106, v114, v115
	s_delay_alu instid0(VALU_DEP_1) | instskip(NEXT) | instid1(VALU_DEP_1)
	v_fmac_f32_e32 v114, v116, v113
	v_fma_f32 v106, -v106, v114, v115
	s_delay_alu instid0(VALU_DEP_1) | instskip(NEXT) | instid1(VALU_DEP_1)
	v_div_fmas_f32 v106, v106, v113, v114
	v_div_fixup_f32 v107, v106, v107, 1.0
	s_delay_alu instid0(VALU_DEP_1)
	v_mul_f32_e32 v106, v105, v107
	v_xor_b32_e32 v107, 0x80000000, v107
.LBB96_49:
	s_and_not1_saveexec_b32 s1, s1
	s_cbranch_execz .LBB96_51
; %bb.50:
	s_delay_alu instid0(VALU_DEP_1) | instskip(SKIP_1) | instid1(VALU_DEP_2)
	v_div_scale_f32 v105, null, v106, v106, v107
	v_div_scale_f32 v115, vcc_lo, v107, v106, v107
	v_rcp_f32_e32 v113, v105
	v_nop
	s_delay_alu instid0(TRANS32_DEP_1) | instskip(NEXT) | instid1(VALU_DEP_1)
	v_fma_f32 v114, -v105, v113, 1.0
	v_fmac_f32_e32 v113, v114, v113
	s_delay_alu instid0(VALU_DEP_1) | instskip(NEXT) | instid1(VALU_DEP_1)
	v_mul_f32_e32 v114, v115, v113
	v_fma_f32 v116, -v105, v114, v115
	s_delay_alu instid0(VALU_DEP_1) | instskip(NEXT) | instid1(VALU_DEP_1)
	v_fmac_f32_e32 v114, v116, v113
	v_fma_f32 v105, -v105, v114, v115
	s_delay_alu instid0(VALU_DEP_1) | instskip(NEXT) | instid1(VALU_DEP_1)
	v_div_fmas_f32 v105, v105, v113, v114
	v_div_fixup_f32 v105, v105, v106, v107
	s_delay_alu instid0(VALU_DEP_1) | instskip(NEXT) | instid1(VALU_DEP_1)
	v_fmac_f32_e32 v106, v107, v105
	v_div_scale_f32 v107, null, v106, v106, 1.0
	s_delay_alu instid0(VALU_DEP_1) | instskip(SKIP_1) | instid1(TRANS32_DEP_1)
	v_rcp_f32_e32 v113, v107
	v_nop
	v_fma_f32 v114, -v107, v113, 1.0
	s_delay_alu instid0(VALU_DEP_1) | instskip(SKIP_1) | instid1(VALU_DEP_1)
	v_fmac_f32_e32 v113, v114, v113
	v_div_scale_f32 v114, vcc_lo, 1.0, v106, 1.0
	v_mul_f32_e32 v115, v114, v113
	s_delay_alu instid0(VALU_DEP_1) | instskip(NEXT) | instid1(VALU_DEP_1)
	v_fma_f32 v116, -v107, v115, v114
	v_fmac_f32_e32 v115, v116, v113
	s_delay_alu instid0(VALU_DEP_1) | instskip(NEXT) | instid1(VALU_DEP_1)
	v_fma_f32 v107, -v107, v115, v114
	v_div_fmas_f32 v107, v107, v113, v115
	s_delay_alu instid0(VALU_DEP_1) | instskip(NEXT) | instid1(VALU_DEP_1)
	v_div_fixup_f32 v106, v107, v106, 1.0
	v_mul_f32_e64 v107, v105, -v106
.LBB96_51:
	s_or_b32 exec_lo, exec_lo, s1
.LBB96_52:
	s_delay_alu instid0(SALU_CYCLE_1) | instskip(NEXT) | instid1(SALU_CYCLE_1)
	s_or_b32 exec_lo, exec_lo, s0
	s_mov_b32 s0, exec_lo
	v_cmpx_ne_u32_e64 v112, v104
	s_xor_b32 s0, exec_lo, s0
	s_cbranch_execz .LBB96_58
; %bb.53:
	s_mov_b32 s1, exec_lo
	v_cmpx_eq_u32_e32 2, v112
	s_cbranch_execz .LBB96_57
; %bb.54:
	v_cmp_ne_u32_e32 vcc_lo, 2, v104
	s_xor_b32 s12, s16, -1
	s_delay_alu instid0(SALU_CYCLE_1) | instskip(NEXT) | instid1(SALU_CYCLE_1)
	s_and_b32 s13, s12, vcc_lo
	s_and_saveexec_b32 s12, s13
	s_cbranch_execz .LBB96_56
; %bb.55:
	v_ashrrev_i32_e32 v105, 31, v104
	s_delay_alu instid0(VALU_DEP_1)
	v_lshl_add_u64 v[112:113], v[104:105], 2, v[4:5]
	s_clause 0x1
	global_load_b32 v105, v[112:113], off
	global_load_b32 v111, v[4:5], off offset:8
	s_wait_loadcnt 0x1
	global_store_b32 v[4:5], v105, off offset:8
	s_wait_loadcnt 0x0
	global_store_b32 v[112:113], v111, off
.LBB96_56:
	s_wait_xcnt 0x0
	s_or_b32 exec_lo, exec_lo, s12
	v_dual_mov_b32 v112, v104 :: v_dual_mov_b32 v111, v104
.LBB96_57:
	s_or_b32 exec_lo, exec_lo, s1
.LBB96_58:
	s_and_not1_saveexec_b32 s0, s0
	s_cbranch_execz .LBB96_60
; %bb.59:
	v_mov_b32_e32 v112, 2
	ds_store_2addr_b64 v108, v[94:95], v[92:93] offset0:3 offset1:4
	ds_store_2addr_b64 v108, v[52:53], v[58:59] offset0:5 offset1:6
	;; [unrolled: 1-line block ×23, first 2 shown]
.LBB96_60:
	s_or_b32 exec_lo, exec_lo, s0
	s_delay_alu instid0(SALU_CYCLE_1)
	s_mov_b32 s0, exec_lo
	s_wait_storecnt_dscnt 0x0
	s_barrier_signal -1
	s_barrier_wait -1
	v_cmpx_lt_i32_e32 2, v112
	s_cbranch_execz .LBB96_62
; %bb.61:
	v_pk_mul_f32 v[114:115], v[106:107], v[96:97] op_sel:[1,1] op_sel_hi:[0,1]
	s_delay_alu instid0(VALU_DEP_1)
	v_pk_fma_f32 v[104:105], v[106:107], v[96:97], v[114:115] op_sel_hi:[1,0,1] neg_lo:[0,0,1] neg_hi:[0,0,1]
	v_pk_fma_f32 v[106:107], v[106:107], v[96:97], v[114:115] op_sel_hi:[1,0,1]
	ds_load_2addr_b64 v[114:117], v108 offset0:3 offset1:4
	v_dual_mov_b32 v96, v104 :: v_dual_mov_b32 v97, v107
	s_wait_dscnt 0x0
	v_pk_mul_f32 v[118:119], v[114:115], v[106:107] op_sel:[0,1]
	s_delay_alu instid0(VALU_DEP_1) | instskip(SKIP_1) | instid1(VALU_DEP_1)
	v_pk_fma_f32 v[120:121], v[114:115], v[104:105], v[118:119] op_sel:[0,0,1] op_sel_hi:[1,1,0] neg_lo:[0,0,1] neg_hi:[0,0,1]
	v_pk_fma_f32 v[114:115], v[114:115], v[104:105], v[118:119] op_sel:[0,0,1] op_sel_hi:[1,0,0]
	v_mov_b32_e32 v121, v115
	v_pk_mul_f32 v[114:115], v[116:117], v[106:107] op_sel:[0,1]
	s_delay_alu instid0(VALU_DEP_1) | instskip(SKIP_1) | instid1(VALU_DEP_1)
	v_pk_fma_f32 v[118:119], v[116:117], v[104:105], v[114:115] op_sel:[0,0,1] op_sel_hi:[1,1,0] neg_lo:[0,0,1] neg_hi:[0,0,1]
	v_pk_fma_f32 v[114:115], v[116:117], v[104:105], v[114:115] op_sel:[0,0,1] op_sel_hi:[1,0,0]
	v_mov_b32_e32 v119, v115
	ds_load_2addr_b64 v[114:117], v108 offset0:5 offset1:6
	v_pk_add_f32 v[94:95], v[94:95], v[120:121] neg_lo:[0,1] neg_hi:[0,1]
	v_pk_add_f32 v[92:93], v[92:93], v[118:119] neg_lo:[0,1] neg_hi:[0,1]
	s_wait_dscnt 0x0
	v_pk_mul_f32 v[118:119], v[114:115], v[106:107] op_sel:[0,1]
	s_delay_alu instid0(VALU_DEP_1) | instskip(SKIP_2) | instid1(VALU_DEP_2)
	v_pk_fma_f32 v[120:121], v[114:115], v[104:105], v[118:119] op_sel:[0,0,1] op_sel_hi:[1,1,0] neg_lo:[0,0,1] neg_hi:[0,0,1]
	v_pk_fma_f32 v[114:115], v[114:115], v[104:105], v[118:119] op_sel:[0,0,1] op_sel_hi:[1,0,0]
	v_dual_mul_f32 v118, v117, v107 :: v_dual_mov_b32 v114, v117
	v_dual_mov_b32 v121, v115 :: v_dual_mov_b32 v115, v116
	s_delay_alu instid0(VALU_DEP_2) | instskip(SKIP_1) | instid1(VALU_DEP_3)
	v_pk_fma_f32 v[118:119], v[116:117], v[96:97], v[118:119] op_sel_hi:[1,1,0] neg_lo:[0,0,1] neg_hi:[0,0,1]
	v_mul_f32_e32 v116, v117, v104
	v_pk_add_f32 v[52:53], v[52:53], v[120:121] neg_lo:[0,1] neg_hi:[0,1]
	s_delay_alu instid0(VALU_DEP_2) | instskip(NEXT) | instid1(VALU_DEP_1)
	v_pk_fma_f32 v[114:115], v[114:115], v[96:97], v[116:117] op_sel_hi:[1,1,0]
	v_mov_b32_e32 v119, v115
	ds_load_2addr_b64 v[114:117], v108 offset0:7 offset1:8
	v_pk_add_f32 v[58:59], v[58:59], v[118:119] neg_lo:[0,1] neg_hi:[0,1]
	s_wait_dscnt 0x0
	v_pk_mul_f32 v[118:119], v[114:115], v[106:107] op_sel:[0,1]
	s_delay_alu instid0(VALU_DEP_1) | instskip(SKIP_1) | instid1(VALU_DEP_1)
	v_pk_fma_f32 v[120:121], v[114:115], v[104:105], v[118:119] op_sel:[0,0,1] op_sel_hi:[1,1,0] neg_lo:[0,0,1] neg_hi:[0,0,1]
	v_pk_fma_f32 v[114:115], v[114:115], v[104:105], v[118:119] op_sel:[0,0,1] op_sel_hi:[1,0,0]
	v_mov_b32_e32 v121, v115
	v_pk_mul_f32 v[114:115], v[116:117], v[106:107] op_sel:[0,1]
	s_delay_alu instid0(VALU_DEP_1) | instskip(SKIP_1) | instid1(VALU_DEP_1)
	v_pk_fma_f32 v[118:119], v[116:117], v[104:105], v[114:115] op_sel:[0,0,1] op_sel_hi:[1,1,0] neg_lo:[0,0,1] neg_hi:[0,0,1]
	v_pk_fma_f32 v[114:115], v[116:117], v[104:105], v[114:115] op_sel:[0,0,1] op_sel_hi:[1,0,0]
	v_mov_b32_e32 v119, v115
	ds_load_2addr_b64 v[114:117], v108 offset0:9 offset1:10
	v_pk_add_f32 v[50:51], v[50:51], v[120:121] neg_lo:[0,1] neg_hi:[0,1]
	v_pk_add_f32 v[66:67], v[66:67], v[118:119] neg_lo:[0,1] neg_hi:[0,1]
	s_wait_dscnt 0x0
	v_pk_mul_f32 v[118:119], v[114:115], v[106:107] op_sel:[0,1]
	s_delay_alu instid0(VALU_DEP_1) | instskip(SKIP_1) | instid1(VALU_DEP_1)
	v_pk_fma_f32 v[120:121], v[114:115], v[104:105], v[118:119] op_sel:[0,0,1] op_sel_hi:[1,1,0] neg_lo:[0,0,1] neg_hi:[0,0,1]
	v_pk_fma_f32 v[114:115], v[114:115], v[104:105], v[118:119] op_sel:[0,0,1] op_sel_hi:[1,0,0]
	v_mov_b32_e32 v121, v115
	v_pk_mul_f32 v[114:115], v[116:117], v[106:107] op_sel:[0,1]
	s_delay_alu instid0(VALU_DEP_1) | instskip(SKIP_1) | instid1(VALU_DEP_1)
	v_pk_fma_f32 v[118:119], v[116:117], v[104:105], v[114:115] op_sel:[0,0,1] op_sel_hi:[1,1,0] neg_lo:[0,0,1] neg_hi:[0,0,1]
	v_pk_fma_f32 v[114:115], v[116:117], v[104:105], v[114:115] op_sel:[0,0,1] op_sel_hi:[1,0,0]
	v_mov_b32_e32 v119, v115
	ds_load_2addr_b64 v[114:117], v108 offset0:11 offset1:12
	v_pk_add_f32 v[62:63], v[62:63], v[120:121] neg_lo:[0,1] neg_hi:[0,1]
	v_pk_add_f32 v[64:65], v[64:65], v[118:119] neg_lo:[0,1] neg_hi:[0,1]
	s_wait_dscnt 0x0
	v_dual_mul_f32 v118, v115, v107 :: v_dual_mul_f32 v120, v115, v104
	s_delay_alu instid0(VALU_DEP_1) | instskip(NEXT) | instid1(VALU_DEP_2)
	v_pk_fma_f32 v[118:119], v[114:115], v[96:97], v[118:119] op_sel_hi:[1,1,0] neg_lo:[0,0,1] neg_hi:[0,0,1]
	v_pk_fma_f32 v[114:115], v[114:115], v[96:97], v[120:121] op_sel:[1,0,0] op_sel_hi:[0,1,0]
	s_delay_alu instid0(VALU_DEP_1) | instskip(SKIP_1) | instid1(VALU_DEP_2)
	v_mov_b32_e32 v119, v115
	v_pk_mul_f32 v[114:115], v[116:117], v[106:107] op_sel:[0,1]
	v_pk_add_f32 v[60:61], v[60:61], v[118:119] neg_lo:[0,1] neg_hi:[0,1]
	s_delay_alu instid0(VALU_DEP_2) | instskip(SKIP_1) | instid1(VALU_DEP_1)
	v_pk_fma_f32 v[118:119], v[116:117], v[104:105], v[114:115] op_sel:[0,0,1] op_sel_hi:[1,1,0] neg_lo:[0,0,1] neg_hi:[0,0,1]
	v_pk_fma_f32 v[114:115], v[116:117], v[104:105], v[114:115] op_sel:[0,0,1] op_sel_hi:[1,0,0]
	v_mov_b32_e32 v119, v115
	ds_load_2addr_b64 v[114:117], v108 offset0:13 offset1:14
	v_pk_add_f32 v[90:91], v[90:91], v[118:119] neg_lo:[0,1] neg_hi:[0,1]
	s_wait_dscnt 0x0
	v_pk_mul_f32 v[118:119], v[114:115], v[106:107] op_sel:[0,1]
	s_delay_alu instid0(VALU_DEP_1) | instskip(SKIP_1) | instid1(VALU_DEP_1)
	v_pk_fma_f32 v[120:121], v[114:115], v[104:105], v[118:119] op_sel:[0,0,1] op_sel_hi:[1,1,0] neg_lo:[0,0,1] neg_hi:[0,0,1]
	v_pk_fma_f32 v[114:115], v[114:115], v[104:105], v[118:119] op_sel:[0,0,1] op_sel_hi:[1,0,0]
	v_mov_b32_e32 v121, v115
	v_pk_mul_f32 v[114:115], v[116:117], v[106:107] op_sel:[0,1]
	s_delay_alu instid0(VALU_DEP_2) | instskip(NEXT) | instid1(VALU_DEP_2)
	v_pk_add_f32 v[86:87], v[86:87], v[120:121] neg_lo:[0,1] neg_hi:[0,1]
	v_pk_fma_f32 v[118:119], v[116:117], v[104:105], v[114:115] op_sel:[0,0,1] op_sel_hi:[1,1,0] neg_lo:[0,0,1] neg_hi:[0,0,1]
	v_pk_fma_f32 v[114:115], v[116:117], v[104:105], v[114:115] op_sel:[0,0,1] op_sel_hi:[1,0,0]
	s_delay_alu instid0(VALU_DEP_1) | instskip(SKIP_4) | instid1(VALU_DEP_1)
	v_mov_b32_e32 v119, v115
	ds_load_2addr_b64 v[114:117], v108 offset0:15 offset1:16
	v_pk_add_f32 v[88:89], v[88:89], v[118:119] neg_lo:[0,1] neg_hi:[0,1]
	s_wait_dscnt 0x0
	v_pk_mul_f32 v[118:119], v[114:115], v[106:107] op_sel:[0,1]
	v_pk_fma_f32 v[120:121], v[114:115], v[104:105], v[118:119] op_sel:[0,0,1] op_sel_hi:[1,1,0] neg_lo:[0,0,1] neg_hi:[0,0,1]
	v_pk_fma_f32 v[114:115], v[114:115], v[104:105], v[118:119] op_sel:[0,0,1] op_sel_hi:[1,0,0]
	v_dual_mul_f32 v118, v117, v107 :: v_dual_mov_b32 v114, v117
	s_delay_alu instid0(VALU_DEP_2) | instskip(NEXT) | instid1(VALU_DEP_2)
	v_dual_mov_b32 v121, v115 :: v_dual_mov_b32 v115, v116
	v_pk_fma_f32 v[118:119], v[116:117], v[96:97], v[118:119] op_sel_hi:[1,1,0] neg_lo:[0,0,1] neg_hi:[0,0,1]
	v_mul_f32_e32 v116, v117, v104
	s_delay_alu instid0(VALU_DEP_3) | instskip(NEXT) | instid1(VALU_DEP_2)
	v_pk_add_f32 v[84:85], v[84:85], v[120:121] neg_lo:[0,1] neg_hi:[0,1]
	v_pk_fma_f32 v[114:115], v[114:115], v[96:97], v[116:117] op_sel_hi:[1,1,0]
	s_delay_alu instid0(VALU_DEP_1) | instskip(SKIP_4) | instid1(VALU_DEP_1)
	v_mov_b32_e32 v119, v115
	ds_load_2addr_b64 v[114:117], v108 offset0:17 offset1:18
	v_pk_add_f32 v[82:83], v[82:83], v[118:119] neg_lo:[0,1] neg_hi:[0,1]
	s_wait_dscnt 0x0
	v_pk_mul_f32 v[118:119], v[114:115], v[106:107] op_sel:[0,1]
	v_pk_fma_f32 v[120:121], v[114:115], v[104:105], v[118:119] op_sel:[0,0,1] op_sel_hi:[1,1,0] neg_lo:[0,0,1] neg_hi:[0,0,1]
	v_pk_fma_f32 v[114:115], v[114:115], v[104:105], v[118:119] op_sel:[0,0,1] op_sel_hi:[1,0,0]
	s_delay_alu instid0(VALU_DEP_1) | instskip(SKIP_1) | instid1(VALU_DEP_1)
	v_mov_b32_e32 v121, v115
	v_pk_mul_f32 v[114:115], v[116:117], v[106:107] op_sel:[0,1]
	v_pk_fma_f32 v[118:119], v[116:117], v[104:105], v[114:115] op_sel:[0,0,1] op_sel_hi:[1,1,0] neg_lo:[0,0,1] neg_hi:[0,0,1]
	v_pk_fma_f32 v[114:115], v[116:117], v[104:105], v[114:115] op_sel:[0,0,1] op_sel_hi:[1,0,0]
	s_delay_alu instid0(VALU_DEP_1)
	v_mov_b32_e32 v119, v115
	ds_load_2addr_b64 v[114:117], v108 offset0:19 offset1:20
	v_pk_add_f32 v[78:79], v[78:79], v[120:121] neg_lo:[0,1] neg_hi:[0,1]
	v_pk_add_f32 v[80:81], v[80:81], v[118:119] neg_lo:[0,1] neg_hi:[0,1]
	s_wait_dscnt 0x0
	v_pk_mul_f32 v[118:119], v[114:115], v[106:107] op_sel:[0,1]
	s_delay_alu instid0(VALU_DEP_1) | instskip(SKIP_1) | instid1(VALU_DEP_1)
	v_pk_fma_f32 v[120:121], v[114:115], v[104:105], v[118:119] op_sel:[0,0,1] op_sel_hi:[1,1,0] neg_lo:[0,0,1] neg_hi:[0,0,1]
	v_pk_fma_f32 v[114:115], v[114:115], v[104:105], v[118:119] op_sel:[0,0,1] op_sel_hi:[1,0,0]
	v_mov_b32_e32 v121, v115
	v_pk_mul_f32 v[114:115], v[116:117], v[106:107] op_sel:[0,1]
	s_delay_alu instid0(VALU_DEP_1) | instskip(SKIP_1) | instid1(VALU_DEP_1)
	v_pk_fma_f32 v[118:119], v[116:117], v[104:105], v[114:115] op_sel:[0,0,1] op_sel_hi:[1,1,0] neg_lo:[0,0,1] neg_hi:[0,0,1]
	v_pk_fma_f32 v[114:115], v[116:117], v[104:105], v[114:115] op_sel:[0,0,1] op_sel_hi:[1,0,0]
	v_mov_b32_e32 v119, v115
	ds_load_2addr_b64 v[114:117], v108 offset0:21 offset1:22
	v_pk_add_f32 v[76:77], v[76:77], v[120:121] neg_lo:[0,1] neg_hi:[0,1]
	v_pk_add_f32 v[74:75], v[74:75], v[118:119] neg_lo:[0,1] neg_hi:[0,1]
	s_wait_dscnt 0x0
	v_dual_mul_f32 v118, v115, v107 :: v_dual_mul_f32 v120, v115, v104
	s_delay_alu instid0(VALU_DEP_1) | instskip(NEXT) | instid1(VALU_DEP_2)
	v_pk_fma_f32 v[118:119], v[114:115], v[96:97], v[118:119] op_sel_hi:[1,1,0] neg_lo:[0,0,1] neg_hi:[0,0,1]
	v_pk_fma_f32 v[114:115], v[114:115], v[96:97], v[120:121] op_sel:[1,0,0] op_sel_hi:[0,1,0]
	s_delay_alu instid0(VALU_DEP_1) | instskip(SKIP_1) | instid1(VALU_DEP_2)
	v_mov_b32_e32 v119, v115
	v_pk_mul_f32 v[114:115], v[116:117], v[106:107] op_sel:[0,1]
	v_pk_add_f32 v[70:71], v[70:71], v[118:119] neg_lo:[0,1] neg_hi:[0,1]
	s_delay_alu instid0(VALU_DEP_2) | instskip(SKIP_1) | instid1(VALU_DEP_1)
	v_pk_fma_f32 v[118:119], v[116:117], v[104:105], v[114:115] op_sel:[0,0,1] op_sel_hi:[1,1,0] neg_lo:[0,0,1] neg_hi:[0,0,1]
	v_pk_fma_f32 v[114:115], v[116:117], v[104:105], v[114:115] op_sel:[0,0,1] op_sel_hi:[1,0,0]
	v_mov_b32_e32 v119, v115
	ds_load_2addr_b64 v[114:117], v108 offset0:23 offset1:24
	v_pk_add_f32 v[72:73], v[72:73], v[118:119] neg_lo:[0,1] neg_hi:[0,1]
	s_wait_dscnt 0x0
	v_pk_mul_f32 v[118:119], v[114:115], v[106:107] op_sel:[0,1]
	s_delay_alu instid0(VALU_DEP_1) | instskip(SKIP_1) | instid1(VALU_DEP_1)
	v_pk_fma_f32 v[120:121], v[114:115], v[104:105], v[118:119] op_sel:[0,0,1] op_sel_hi:[1,1,0] neg_lo:[0,0,1] neg_hi:[0,0,1]
	v_pk_fma_f32 v[114:115], v[114:115], v[104:105], v[118:119] op_sel:[0,0,1] op_sel_hi:[1,0,0]
	v_mov_b32_e32 v121, v115
	v_pk_mul_f32 v[114:115], v[116:117], v[106:107] op_sel:[0,1]
	s_delay_alu instid0(VALU_DEP_2) | instskip(NEXT) | instid1(VALU_DEP_2)
	v_pk_add_f32 v[68:69], v[68:69], v[120:121] neg_lo:[0,1] neg_hi:[0,1]
	v_pk_fma_f32 v[118:119], v[116:117], v[104:105], v[114:115] op_sel:[0,0,1] op_sel_hi:[1,1,0] neg_lo:[0,0,1] neg_hi:[0,0,1]
	v_pk_fma_f32 v[114:115], v[116:117], v[104:105], v[114:115] op_sel:[0,0,1] op_sel_hi:[1,0,0]
	s_delay_alu instid0(VALU_DEP_1) | instskip(SKIP_4) | instid1(VALU_DEP_1)
	v_mov_b32_e32 v119, v115
	ds_load_2addr_b64 v[114:117], v108 offset0:25 offset1:26
	v_pk_add_f32 v[56:57], v[56:57], v[118:119] neg_lo:[0,1] neg_hi:[0,1]
	s_wait_dscnt 0x0
	v_pk_mul_f32 v[118:119], v[114:115], v[106:107] op_sel:[0,1]
	v_pk_fma_f32 v[120:121], v[114:115], v[104:105], v[118:119] op_sel:[0,0,1] op_sel_hi:[1,1,0] neg_lo:[0,0,1] neg_hi:[0,0,1]
	v_pk_fma_f32 v[114:115], v[114:115], v[104:105], v[118:119] op_sel:[0,0,1] op_sel_hi:[1,0,0]
	v_dual_mul_f32 v118, v117, v107 :: v_dual_mov_b32 v114, v117
	s_delay_alu instid0(VALU_DEP_2) | instskip(NEXT) | instid1(VALU_DEP_2)
	v_dual_mov_b32 v121, v115 :: v_dual_mov_b32 v115, v116
	v_pk_fma_f32 v[118:119], v[116:117], v[96:97], v[118:119] op_sel_hi:[1,1,0] neg_lo:[0,0,1] neg_hi:[0,0,1]
	v_mul_f32_e32 v116, v117, v104
	s_delay_alu instid0(VALU_DEP_3) | instskip(NEXT) | instid1(VALU_DEP_2)
	v_pk_add_f32 v[48:49], v[48:49], v[120:121] neg_lo:[0,1] neg_hi:[0,1]
	v_pk_fma_f32 v[114:115], v[114:115], v[96:97], v[116:117] op_sel_hi:[1,1,0]
	s_delay_alu instid0(VALU_DEP_1) | instskip(SKIP_4) | instid1(VALU_DEP_1)
	v_mov_b32_e32 v119, v115
	ds_load_2addr_b64 v[114:117], v108 offset0:27 offset1:28
	v_pk_add_f32 v[54:55], v[54:55], v[118:119] neg_lo:[0,1] neg_hi:[0,1]
	s_wait_dscnt 0x0
	v_pk_mul_f32 v[118:119], v[114:115], v[106:107] op_sel:[0,1]
	v_pk_fma_f32 v[120:121], v[114:115], v[104:105], v[118:119] op_sel:[0,0,1] op_sel_hi:[1,1,0] neg_lo:[0,0,1] neg_hi:[0,0,1]
	v_pk_fma_f32 v[114:115], v[114:115], v[104:105], v[118:119] op_sel:[0,0,1] op_sel_hi:[1,0,0]
	s_delay_alu instid0(VALU_DEP_1) | instskip(SKIP_1) | instid1(VALU_DEP_1)
	v_mov_b32_e32 v121, v115
	v_pk_mul_f32 v[114:115], v[116:117], v[106:107] op_sel:[0,1]
	v_pk_fma_f32 v[118:119], v[116:117], v[104:105], v[114:115] op_sel:[0,0,1] op_sel_hi:[1,1,0] neg_lo:[0,0,1] neg_hi:[0,0,1]
	v_pk_fma_f32 v[114:115], v[116:117], v[104:105], v[114:115] op_sel:[0,0,1] op_sel_hi:[1,0,0]
	s_delay_alu instid0(VALU_DEP_1)
	v_mov_b32_e32 v119, v115
	ds_load_2addr_b64 v[114:117], v108 offset0:29 offset1:30
	v_pk_add_f32 v[46:47], v[46:47], v[120:121] neg_lo:[0,1] neg_hi:[0,1]
	v_pk_add_f32 v[44:45], v[44:45], v[118:119] neg_lo:[0,1] neg_hi:[0,1]
	s_wait_dscnt 0x0
	v_pk_mul_f32 v[118:119], v[114:115], v[106:107] op_sel:[0,1]
	s_delay_alu instid0(VALU_DEP_1) | instskip(SKIP_1) | instid1(VALU_DEP_1)
	v_pk_fma_f32 v[120:121], v[114:115], v[104:105], v[118:119] op_sel:[0,0,1] op_sel_hi:[1,1,0] neg_lo:[0,0,1] neg_hi:[0,0,1]
	v_pk_fma_f32 v[114:115], v[114:115], v[104:105], v[118:119] op_sel:[0,0,1] op_sel_hi:[1,0,0]
	v_mov_b32_e32 v121, v115
	v_pk_mul_f32 v[114:115], v[116:117], v[106:107] op_sel:[0,1]
	s_delay_alu instid0(VALU_DEP_1) | instskip(SKIP_1) | instid1(VALU_DEP_1)
	v_pk_fma_f32 v[118:119], v[116:117], v[104:105], v[114:115] op_sel:[0,0,1] op_sel_hi:[1,1,0] neg_lo:[0,0,1] neg_hi:[0,0,1]
	v_pk_fma_f32 v[114:115], v[116:117], v[104:105], v[114:115] op_sel:[0,0,1] op_sel_hi:[1,0,0]
	v_mov_b32_e32 v119, v115
	ds_load_2addr_b64 v[114:117], v108 offset0:31 offset1:32
	v_pk_add_f32 v[40:41], v[40:41], v[120:121] neg_lo:[0,1] neg_hi:[0,1]
	v_pk_add_f32 v[42:43], v[42:43], v[118:119] neg_lo:[0,1] neg_hi:[0,1]
	s_wait_dscnt 0x0
	v_dual_mul_f32 v118, v115, v107 :: v_dual_mul_f32 v120, v115, v104
	s_delay_alu instid0(VALU_DEP_1) | instskip(NEXT) | instid1(VALU_DEP_2)
	v_pk_fma_f32 v[118:119], v[114:115], v[96:97], v[118:119] op_sel_hi:[1,1,0] neg_lo:[0,0,1] neg_hi:[0,0,1]
	v_pk_fma_f32 v[114:115], v[114:115], v[96:97], v[120:121] op_sel:[1,0,0] op_sel_hi:[0,1,0]
	s_delay_alu instid0(VALU_DEP_1) | instskip(SKIP_1) | instid1(VALU_DEP_2)
	v_mov_b32_e32 v119, v115
	v_pk_mul_f32 v[114:115], v[116:117], v[106:107] op_sel:[0,1]
	v_pk_add_f32 v[38:39], v[38:39], v[118:119] neg_lo:[0,1] neg_hi:[0,1]
	s_delay_alu instid0(VALU_DEP_2) | instskip(SKIP_1) | instid1(VALU_DEP_1)
	v_pk_fma_f32 v[118:119], v[116:117], v[104:105], v[114:115] op_sel:[0,0,1] op_sel_hi:[1,1,0] neg_lo:[0,0,1] neg_hi:[0,0,1]
	v_pk_fma_f32 v[114:115], v[116:117], v[104:105], v[114:115] op_sel:[0,0,1] op_sel_hi:[1,0,0]
	v_mov_b32_e32 v119, v115
	ds_load_2addr_b64 v[114:117], v108 offset0:33 offset1:34
	v_pk_add_f32 v[36:37], v[36:37], v[118:119] neg_lo:[0,1] neg_hi:[0,1]
	s_wait_dscnt 0x0
	v_pk_mul_f32 v[118:119], v[114:115], v[106:107] op_sel:[0,1]
	s_delay_alu instid0(VALU_DEP_1) | instskip(SKIP_1) | instid1(VALU_DEP_1)
	v_pk_fma_f32 v[120:121], v[114:115], v[104:105], v[118:119] op_sel:[0,0,1] op_sel_hi:[1,1,0] neg_lo:[0,0,1] neg_hi:[0,0,1]
	v_pk_fma_f32 v[114:115], v[114:115], v[104:105], v[118:119] op_sel:[0,0,1] op_sel_hi:[1,0,0]
	v_mov_b32_e32 v121, v115
	v_pk_mul_f32 v[114:115], v[116:117], v[106:107] op_sel:[0,1]
	s_delay_alu instid0(VALU_DEP_2) | instskip(NEXT) | instid1(VALU_DEP_2)
	v_pk_add_f32 v[32:33], v[32:33], v[120:121] neg_lo:[0,1] neg_hi:[0,1]
	v_pk_fma_f32 v[118:119], v[116:117], v[104:105], v[114:115] op_sel:[0,0,1] op_sel_hi:[1,1,0] neg_lo:[0,0,1] neg_hi:[0,0,1]
	v_pk_fma_f32 v[114:115], v[116:117], v[104:105], v[114:115] op_sel:[0,0,1] op_sel_hi:[1,0,0]
	s_delay_alu instid0(VALU_DEP_1) | instskip(SKIP_4) | instid1(VALU_DEP_1)
	v_mov_b32_e32 v119, v115
	ds_load_2addr_b64 v[114:117], v108 offset0:35 offset1:36
	v_pk_add_f32 v[34:35], v[34:35], v[118:119] neg_lo:[0,1] neg_hi:[0,1]
	s_wait_dscnt 0x0
	v_pk_mul_f32 v[118:119], v[114:115], v[106:107] op_sel:[0,1]
	v_pk_fma_f32 v[120:121], v[114:115], v[104:105], v[118:119] op_sel:[0,0,1] op_sel_hi:[1,1,0] neg_lo:[0,0,1] neg_hi:[0,0,1]
	v_pk_fma_f32 v[114:115], v[114:115], v[104:105], v[118:119] op_sel:[0,0,1] op_sel_hi:[1,0,0]
	v_dual_mul_f32 v118, v117, v107 :: v_dual_mov_b32 v114, v117
	s_delay_alu instid0(VALU_DEP_2) | instskip(NEXT) | instid1(VALU_DEP_2)
	v_dual_mov_b32 v121, v115 :: v_dual_mov_b32 v115, v116
	v_pk_fma_f32 v[118:119], v[116:117], v[96:97], v[118:119] op_sel_hi:[1,1,0] neg_lo:[0,0,1] neg_hi:[0,0,1]
	v_mul_f32_e32 v116, v117, v104
	s_delay_alu instid0(VALU_DEP_3) | instskip(NEXT) | instid1(VALU_DEP_2)
	v_pk_add_f32 v[30:31], v[30:31], v[120:121] neg_lo:[0,1] neg_hi:[0,1]
	v_pk_fma_f32 v[114:115], v[114:115], v[96:97], v[116:117] op_sel_hi:[1,1,0]
	s_delay_alu instid0(VALU_DEP_1) | instskip(SKIP_4) | instid1(VALU_DEP_1)
	v_mov_b32_e32 v119, v115
	ds_load_2addr_b64 v[114:117], v108 offset0:37 offset1:38
	v_pk_add_f32 v[26:27], v[26:27], v[118:119] neg_lo:[0,1] neg_hi:[0,1]
	s_wait_dscnt 0x0
	v_pk_mul_f32 v[118:119], v[114:115], v[106:107] op_sel:[0,1]
	v_pk_fma_f32 v[120:121], v[114:115], v[104:105], v[118:119] op_sel:[0,0,1] op_sel_hi:[1,1,0] neg_lo:[0,0,1] neg_hi:[0,0,1]
	v_pk_fma_f32 v[114:115], v[114:115], v[104:105], v[118:119] op_sel:[0,0,1] op_sel_hi:[1,0,0]
	s_delay_alu instid0(VALU_DEP_1) | instskip(SKIP_1) | instid1(VALU_DEP_1)
	v_mov_b32_e32 v121, v115
	v_pk_mul_f32 v[114:115], v[116:117], v[106:107] op_sel:[0,1]
	v_pk_fma_f32 v[118:119], v[116:117], v[104:105], v[114:115] op_sel:[0,0,1] op_sel_hi:[1,1,0] neg_lo:[0,0,1] neg_hi:[0,0,1]
	v_pk_fma_f32 v[114:115], v[116:117], v[104:105], v[114:115] op_sel:[0,0,1] op_sel_hi:[1,0,0]
	s_delay_alu instid0(VALU_DEP_1)
	v_mov_b32_e32 v119, v115
	ds_load_2addr_b64 v[114:117], v108 offset0:39 offset1:40
	v_pk_add_f32 v[22:23], v[22:23], v[120:121] neg_lo:[0,1] neg_hi:[0,1]
	v_pk_add_f32 v[24:25], v[24:25], v[118:119] neg_lo:[0,1] neg_hi:[0,1]
	s_wait_dscnt 0x0
	v_pk_mul_f32 v[118:119], v[114:115], v[106:107] op_sel:[0,1]
	s_delay_alu instid0(VALU_DEP_1) | instskip(SKIP_1) | instid1(VALU_DEP_1)
	v_pk_fma_f32 v[120:121], v[114:115], v[104:105], v[118:119] op_sel:[0,0,1] op_sel_hi:[1,1,0] neg_lo:[0,0,1] neg_hi:[0,0,1]
	v_pk_fma_f32 v[114:115], v[114:115], v[104:105], v[118:119] op_sel:[0,0,1] op_sel_hi:[1,0,0]
	v_mov_b32_e32 v121, v115
	v_pk_mul_f32 v[114:115], v[116:117], v[106:107] op_sel:[0,1]
	s_delay_alu instid0(VALU_DEP_1) | instskip(SKIP_1) | instid1(VALU_DEP_1)
	v_pk_fma_f32 v[118:119], v[116:117], v[104:105], v[114:115] op_sel:[0,0,1] op_sel_hi:[1,1,0] neg_lo:[0,0,1] neg_hi:[0,0,1]
	v_pk_fma_f32 v[114:115], v[116:117], v[104:105], v[114:115] op_sel:[0,0,1] op_sel_hi:[1,0,0]
	v_mov_b32_e32 v119, v115
	ds_load_2addr_b64 v[114:117], v108 offset0:41 offset1:42
	v_pk_add_f32 v[20:21], v[20:21], v[120:121] neg_lo:[0,1] neg_hi:[0,1]
	v_pk_add_f32 v[14:15], v[14:15], v[118:119] neg_lo:[0,1] neg_hi:[0,1]
	s_wait_dscnt 0x0
	v_dual_mul_f32 v118, v115, v107 :: v_dual_mul_f32 v120, v115, v104
	s_delay_alu instid0(VALU_DEP_1) | instskip(NEXT) | instid1(VALU_DEP_2)
	v_pk_fma_f32 v[118:119], v[114:115], v[96:97], v[118:119] op_sel_hi:[1,1,0] neg_lo:[0,0,1] neg_hi:[0,0,1]
	v_pk_fma_f32 v[114:115], v[114:115], v[96:97], v[120:121] op_sel:[1,0,0] op_sel_hi:[0,1,0]
	s_delay_alu instid0(VALU_DEP_1) | instskip(SKIP_1) | instid1(VALU_DEP_2)
	v_mov_b32_e32 v119, v115
	v_pk_mul_f32 v[114:115], v[116:117], v[106:107] op_sel:[0,1]
	v_pk_add_f32 v[10:11], v[10:11], v[118:119] neg_lo:[0,1] neg_hi:[0,1]
	s_delay_alu instid0(VALU_DEP_2) | instskip(SKIP_1) | instid1(VALU_DEP_1)
	v_pk_fma_f32 v[118:119], v[116:117], v[104:105], v[114:115] op_sel:[0,0,1] op_sel_hi:[1,1,0] neg_lo:[0,0,1] neg_hi:[0,0,1]
	v_pk_fma_f32 v[114:115], v[116:117], v[104:105], v[114:115] op_sel:[0,0,1] op_sel_hi:[1,0,0]
	v_mov_b32_e32 v119, v115
	ds_load_2addr_b64 v[114:117], v108 offset0:43 offset1:44
	v_pk_add_f32 v[12:13], v[12:13], v[118:119] neg_lo:[0,1] neg_hi:[0,1]
	s_wait_dscnt 0x0
	v_pk_mul_f32 v[118:119], v[114:115], v[106:107] op_sel:[0,1]
	s_delay_alu instid0(VALU_DEP_1) | instskip(SKIP_1) | instid1(VALU_DEP_1)
	v_pk_fma_f32 v[120:121], v[114:115], v[104:105], v[118:119] op_sel:[0,0,1] op_sel_hi:[1,1,0] neg_lo:[0,0,1] neg_hi:[0,0,1]
	v_pk_fma_f32 v[114:115], v[114:115], v[104:105], v[118:119] op_sel:[0,0,1] op_sel_hi:[1,0,0]
	v_mov_b32_e32 v121, v115
	v_pk_mul_f32 v[114:115], v[116:117], v[106:107] op_sel:[0,1]
	s_delay_alu instid0(VALU_DEP_2) | instskip(NEXT) | instid1(VALU_DEP_2)
	v_pk_add_f32 v[8:9], v[8:9], v[120:121] neg_lo:[0,1] neg_hi:[0,1]
	v_pk_fma_f32 v[118:119], v[116:117], v[104:105], v[114:115] op_sel:[0,0,1] op_sel_hi:[1,1,0] neg_lo:[0,0,1] neg_hi:[0,0,1]
	v_pk_fma_f32 v[114:115], v[116:117], v[104:105], v[114:115] op_sel:[0,0,1] op_sel_hi:[1,0,0]
	s_delay_alu instid0(VALU_DEP_1) | instskip(SKIP_4) | instid1(VALU_DEP_1)
	v_mov_b32_e32 v119, v115
	ds_load_2addr_b64 v[114:117], v108 offset0:45 offset1:46
	v_pk_add_f32 v[6:7], v[6:7], v[118:119] neg_lo:[0,1] neg_hi:[0,1]
	s_wait_dscnt 0x0
	v_pk_mul_f32 v[118:119], v[114:115], v[106:107] op_sel:[0,1]
	v_pk_fma_f32 v[120:121], v[114:115], v[104:105], v[118:119] op_sel:[0,0,1] op_sel_hi:[1,1,0] neg_lo:[0,0,1] neg_hi:[0,0,1]
	v_pk_fma_f32 v[114:115], v[114:115], v[104:105], v[118:119] op_sel:[0,0,1] op_sel_hi:[1,0,0]
	v_dual_mul_f32 v118, v117, v107 :: v_dual_mov_b32 v114, v117
	s_delay_alu instid0(VALU_DEP_2) | instskip(NEXT) | instid1(VALU_DEP_2)
	v_dual_mov_b32 v121, v115 :: v_dual_mov_b32 v115, v116
	v_pk_fma_f32 v[118:119], v[116:117], v[96:97], v[118:119] op_sel_hi:[1,1,0] neg_lo:[0,0,1] neg_hi:[0,0,1]
	v_mul_f32_e32 v116, v117, v104
	s_delay_alu instid0(VALU_DEP_3) | instskip(NEXT) | instid1(VALU_DEP_2)
	v_pk_add_f32 v[28:29], v[28:29], v[120:121] neg_lo:[0,1] neg_hi:[0,1]
	v_pk_fma_f32 v[114:115], v[114:115], v[96:97], v[116:117] op_sel_hi:[1,1,0]
	s_delay_alu instid0(VALU_DEP_1)
	v_mov_b32_e32 v119, v115
	ds_load_2addr_b64 v[114:117], v108 offset0:47 offset1:48
	v_pk_add_f32 v[18:19], v[18:19], v[118:119] neg_lo:[0,1] neg_hi:[0,1]
	s_wait_dscnt 0x0
	v_pk_mul_f32 v[118:119], v[114:115], v[106:107] op_sel:[0,1]
	v_pk_mul_f32 v[106:107], v[116:117], v[106:107] op_sel:[0,1]
	s_delay_alu instid0(VALU_DEP_2) | instskip(SKIP_1) | instid1(VALU_DEP_1)
	v_pk_fma_f32 v[120:121], v[114:115], v[104:105], v[118:119] op_sel:[0,0,1] op_sel_hi:[1,1,0] neg_lo:[0,0,1] neg_hi:[0,0,1]
	v_pk_fma_f32 v[114:115], v[114:115], v[104:105], v[118:119] op_sel:[0,0,1] op_sel_hi:[1,0,0]
	v_mov_b32_e32 v121, v115
	s_delay_alu instid0(VALU_DEP_4) | instskip(SKIP_1) | instid1(VALU_DEP_1)
	v_pk_fma_f32 v[114:115], v[116:117], v[104:105], v[106:107] op_sel:[0,0,1] op_sel_hi:[1,1,0] neg_lo:[0,0,1] neg_hi:[0,0,1]
	v_pk_fma_f32 v[104:105], v[116:117], v[104:105], v[106:107] op_sel:[0,0,1] op_sel_hi:[1,0,0]
	v_mov_b32_e32 v115, v105
	s_delay_alu instid0(VALU_DEP_4) | instskip(NEXT) | instid1(VALU_DEP_2)
	v_pk_add_f32 v[16:17], v[16:17], v[120:121] neg_lo:[0,1] neg_hi:[0,1]
	v_pk_add_f32 v[102:103], v[102:103], v[114:115] neg_lo:[0,1] neg_hi:[0,1]
.LBB96_62:
	s_or_b32 exec_lo, exec_lo, s0
	v_lshl_add_u32 v104, v112, 3, v108
	s_barrier_signal -1
	s_barrier_wait -1
	ds_store_b64 v104, v[94:95]
	s_wait_dscnt 0x0
	s_barrier_signal -1
	s_barrier_wait -1
	ds_load_b64 v[106:107], v108 offset:24
	v_mov_b32_e32 v104, 3
	s_cmp_lt_i32 s18, 5
	s_cbranch_scc1 .LBB96_65
; %bb.63:
	v_mov_b32_e32 v104, 3
	v_add3_u32 v105, v109, 0, 32
	s_mov_b32 s0, 4
.LBB96_64:                              ; =>This Inner Loop Header: Depth=1
	ds_load_b64 v[114:115], v105
	s_wait_dscnt 0x1
	v_cmp_gt_f32_e32 vcc_lo, 0, v106
	v_cndmask_b32_e64 v116, v106, -v106, vcc_lo
	v_cmp_gt_f32_e32 vcc_lo, 0, v107
	v_cndmask_b32_e64 v118, v107, -v107, vcc_lo
	s_wait_dscnt 0x0
	v_cmp_gt_f32_e32 vcc_lo, 0, v114
	v_cndmask_b32_e64 v117, v114, -v114, vcc_lo
	v_cmp_gt_f32_e32 vcc_lo, 0, v115
	v_cndmask_b32_e64 v119, v115, -v115, vcc_lo
	s_delay_alu instid0(VALU_DEP_1) | instskip(NEXT) | instid1(VALU_DEP_1)
	v_pk_add_f32 v[116:117], v[116:117], v[118:119]
	v_cmp_lt_f32_e32 vcc_lo, v116, v117
	v_dual_add_nc_u32 v105, 8, v105 :: v_dual_cndmask_b32 v107, v107, v115, vcc_lo
	v_cndmask_b32_e32 v106, v106, v114, vcc_lo
	v_cndmask_b32_e64 v104, v104, s0, vcc_lo
	s_add_co_i32 s0, s0, 1
	s_delay_alu instid0(SALU_CYCLE_1)
	s_cmp_lg_u32 s18, s0
	s_cbranch_scc1 .LBB96_64
.LBB96_65:
	s_wait_dscnt 0x0
	v_cmp_eq_f32_e32 vcc_lo, 0, v106
	v_cmp_eq_f32_e64 s0, 0, v107
	s_and_b32 s0, vcc_lo, s0
	s_delay_alu instid0(SALU_CYCLE_1) | instskip(NEXT) | instid1(SALU_CYCLE_1)
	s_and_saveexec_b32 s1, s0
	s_xor_b32 s0, exec_lo, s1
; %bb.66:
	v_cmp_ne_u32_e32 vcc_lo, 0, v110
	v_cndmask_b32_e32 v110, 4, v110, vcc_lo
; %bb.67:
	s_and_not1_saveexec_b32 s0, s0
	s_cbranch_execz .LBB96_73
; %bb.68:
	v_cmp_ngt_f32_e64 s1, |v106|, |v107|
	s_and_saveexec_b32 s12, s1
	s_delay_alu instid0(SALU_CYCLE_1)
	s_xor_b32 s1, exec_lo, s12
	s_cbranch_execz .LBB96_70
; %bb.69:
	v_div_scale_f32 v105, null, v107, v107, v106
	v_div_scale_f32 v115, vcc_lo, v106, v107, v106
	s_delay_alu instid0(VALU_DEP_2) | instskip(SKIP_1) | instid1(TRANS32_DEP_1)
	v_rcp_f32_e32 v113, v105
	v_nop
	v_fma_f32 v114, -v105, v113, 1.0
	s_delay_alu instid0(VALU_DEP_1) | instskip(NEXT) | instid1(VALU_DEP_1)
	v_fmac_f32_e32 v113, v114, v113
	v_mul_f32_e32 v114, v115, v113
	s_delay_alu instid0(VALU_DEP_1) | instskip(NEXT) | instid1(VALU_DEP_1)
	v_fma_f32 v116, -v105, v114, v115
	v_fmac_f32_e32 v114, v116, v113
	s_delay_alu instid0(VALU_DEP_1) | instskip(NEXT) | instid1(VALU_DEP_1)
	v_fma_f32 v105, -v105, v114, v115
	v_div_fmas_f32 v105, v105, v113, v114
	s_delay_alu instid0(VALU_DEP_1) | instskip(NEXT) | instid1(VALU_DEP_1)
	v_div_fixup_f32 v105, v105, v107, v106
	v_fmac_f32_e32 v107, v106, v105
	s_delay_alu instid0(VALU_DEP_1) | instskip(SKIP_1) | instid1(VALU_DEP_2)
	v_div_scale_f32 v106, null, v107, v107, 1.0
	v_div_scale_f32 v115, vcc_lo, 1.0, v107, 1.0
	v_rcp_f32_e32 v113, v106
	v_nop
	s_delay_alu instid0(TRANS32_DEP_1) | instskip(NEXT) | instid1(VALU_DEP_1)
	v_fma_f32 v114, -v106, v113, 1.0
	v_fmac_f32_e32 v113, v114, v113
	s_delay_alu instid0(VALU_DEP_1) | instskip(NEXT) | instid1(VALU_DEP_1)
	v_mul_f32_e32 v114, v115, v113
	v_fma_f32 v116, -v106, v114, v115
	s_delay_alu instid0(VALU_DEP_1) | instskip(NEXT) | instid1(VALU_DEP_1)
	v_fmac_f32_e32 v114, v116, v113
	v_fma_f32 v106, -v106, v114, v115
	s_delay_alu instid0(VALU_DEP_1) | instskip(NEXT) | instid1(VALU_DEP_1)
	v_div_fmas_f32 v106, v106, v113, v114
	v_div_fixup_f32 v107, v106, v107, 1.0
	s_delay_alu instid0(VALU_DEP_1)
	v_mul_f32_e32 v106, v105, v107
	v_xor_b32_e32 v107, 0x80000000, v107
.LBB96_70:
	s_and_not1_saveexec_b32 s1, s1
	s_cbranch_execz .LBB96_72
; %bb.71:
	s_delay_alu instid0(VALU_DEP_1) | instskip(SKIP_1) | instid1(VALU_DEP_2)
	v_div_scale_f32 v105, null, v106, v106, v107
	v_div_scale_f32 v115, vcc_lo, v107, v106, v107
	v_rcp_f32_e32 v113, v105
	v_nop
	s_delay_alu instid0(TRANS32_DEP_1) | instskip(NEXT) | instid1(VALU_DEP_1)
	v_fma_f32 v114, -v105, v113, 1.0
	v_fmac_f32_e32 v113, v114, v113
	s_delay_alu instid0(VALU_DEP_1) | instskip(NEXT) | instid1(VALU_DEP_1)
	v_mul_f32_e32 v114, v115, v113
	v_fma_f32 v116, -v105, v114, v115
	s_delay_alu instid0(VALU_DEP_1) | instskip(NEXT) | instid1(VALU_DEP_1)
	v_fmac_f32_e32 v114, v116, v113
	v_fma_f32 v105, -v105, v114, v115
	s_delay_alu instid0(VALU_DEP_1) | instskip(NEXT) | instid1(VALU_DEP_1)
	v_div_fmas_f32 v105, v105, v113, v114
	v_div_fixup_f32 v105, v105, v106, v107
	s_delay_alu instid0(VALU_DEP_1) | instskip(NEXT) | instid1(VALU_DEP_1)
	v_fmac_f32_e32 v106, v107, v105
	v_div_scale_f32 v107, null, v106, v106, 1.0
	s_delay_alu instid0(VALU_DEP_1) | instskip(SKIP_1) | instid1(TRANS32_DEP_1)
	v_rcp_f32_e32 v113, v107
	v_nop
	v_fma_f32 v114, -v107, v113, 1.0
	s_delay_alu instid0(VALU_DEP_1) | instskip(SKIP_1) | instid1(VALU_DEP_1)
	v_fmac_f32_e32 v113, v114, v113
	v_div_scale_f32 v114, vcc_lo, 1.0, v106, 1.0
	v_mul_f32_e32 v115, v114, v113
	s_delay_alu instid0(VALU_DEP_1) | instskip(NEXT) | instid1(VALU_DEP_1)
	v_fma_f32 v116, -v107, v115, v114
	v_fmac_f32_e32 v115, v116, v113
	s_delay_alu instid0(VALU_DEP_1) | instskip(NEXT) | instid1(VALU_DEP_1)
	v_fma_f32 v107, -v107, v115, v114
	v_div_fmas_f32 v107, v107, v113, v115
	s_delay_alu instid0(VALU_DEP_1) | instskip(NEXT) | instid1(VALU_DEP_1)
	v_div_fixup_f32 v106, v107, v106, 1.0
	v_mul_f32_e64 v107, v105, -v106
.LBB96_72:
	s_or_b32 exec_lo, exec_lo, s1
.LBB96_73:
	s_delay_alu instid0(SALU_CYCLE_1) | instskip(NEXT) | instid1(SALU_CYCLE_1)
	s_or_b32 exec_lo, exec_lo, s0
	s_mov_b32 s0, exec_lo
	v_cmpx_ne_u32_e64 v112, v104
	s_xor_b32 s0, exec_lo, s0
	s_cbranch_execz .LBB96_79
; %bb.74:
	s_mov_b32 s1, exec_lo
	v_cmpx_eq_u32_e32 3, v112
	s_cbranch_execz .LBB96_78
; %bb.75:
	v_cmp_ne_u32_e32 vcc_lo, 3, v104
	s_xor_b32 s12, s16, -1
	s_delay_alu instid0(SALU_CYCLE_1) | instskip(NEXT) | instid1(SALU_CYCLE_1)
	s_and_b32 s13, s12, vcc_lo
	s_and_saveexec_b32 s12, s13
	s_cbranch_execz .LBB96_77
; %bb.76:
	v_ashrrev_i32_e32 v105, 31, v104
	s_delay_alu instid0(VALU_DEP_1)
	v_lshl_add_u64 v[112:113], v[104:105], 2, v[4:5]
	s_clause 0x1
	global_load_b32 v105, v[112:113], off
	global_load_b32 v111, v[4:5], off offset:12
	s_wait_loadcnt 0x1
	global_store_b32 v[4:5], v105, off offset:12
	s_wait_loadcnt 0x0
	global_store_b32 v[112:113], v111, off
.LBB96_77:
	s_wait_xcnt 0x0
	s_or_b32 exec_lo, exec_lo, s12
	v_dual_mov_b32 v112, v104 :: v_dual_mov_b32 v111, v104
.LBB96_78:
	s_or_b32 exec_lo, exec_lo, s1
.LBB96_79:
	s_and_not1_saveexec_b32 s0, s0
	s_cbranch_execz .LBB96_81
; %bb.80:
	v_dual_mov_b32 v104, v92 :: v_dual_mov_b32 v105, v93
	v_dual_mov_b32 v112, v52 :: v_dual_mov_b32 v113, v53
	ds_store_2addr_b64 v108, v[104:105], v[112:113] offset0:4 offset1:5
	v_dual_mov_b32 v104, v58 :: v_dual_mov_b32 v105, v59
	v_dual_mov_b32 v112, v50 :: v_dual_mov_b32 v113, v51
	ds_store_2addr_b64 v108, v[104:105], v[112:113] offset0:6 offset1:7
	;; [unrolled: 3-line block ×22, first 2 shown]
	ds_store_b64 v108, v[102:103] offset:384
	v_mov_b32_e32 v112, 3
.LBB96_81:
	s_or_b32 exec_lo, exec_lo, s0
	s_delay_alu instid0(SALU_CYCLE_1)
	s_mov_b32 s0, exec_lo
	s_wait_storecnt_dscnt 0x0
	s_barrier_signal -1
	s_barrier_wait -1
	v_cmpx_lt_i32_e32 3, v112
	s_cbranch_execz .LBB96_83
; %bb.82:
	v_pk_mul_f32 v[114:115], v[106:107], v[94:95] op_sel:[1,1] op_sel_hi:[0,1]
	s_delay_alu instid0(VALU_DEP_1)
	v_pk_fma_f32 v[104:105], v[106:107], v[94:95], v[114:115] op_sel_hi:[1,0,1] neg_lo:[0,0,1] neg_hi:[0,0,1]
	v_pk_fma_f32 v[106:107], v[106:107], v[94:95], v[114:115] op_sel_hi:[1,0,1]
	ds_load_2addr_b64 v[114:117], v108 offset0:4 offset1:5
	v_dual_mov_b32 v94, v104 :: v_dual_mov_b32 v95, v107
	s_wait_dscnt 0x0
	v_pk_mul_f32 v[118:119], v[114:115], v[106:107] op_sel:[0,1]
	s_delay_alu instid0(VALU_DEP_1) | instskip(SKIP_1) | instid1(VALU_DEP_1)
	v_pk_fma_f32 v[120:121], v[114:115], v[104:105], v[118:119] op_sel:[0,0,1] op_sel_hi:[1,1,0] neg_lo:[0,0,1] neg_hi:[0,0,1]
	v_pk_fma_f32 v[114:115], v[114:115], v[104:105], v[118:119] op_sel:[0,0,1] op_sel_hi:[1,0,0]
	v_mov_b32_e32 v121, v115
	v_pk_mul_f32 v[114:115], v[116:117], v[106:107] op_sel:[0,1]
	s_delay_alu instid0(VALU_DEP_1) | instskip(SKIP_1) | instid1(VALU_DEP_1)
	v_pk_fma_f32 v[118:119], v[116:117], v[104:105], v[114:115] op_sel:[0,0,1] op_sel_hi:[1,1,0] neg_lo:[0,0,1] neg_hi:[0,0,1]
	v_pk_fma_f32 v[114:115], v[116:117], v[104:105], v[114:115] op_sel:[0,0,1] op_sel_hi:[1,0,0]
	v_mov_b32_e32 v119, v115
	ds_load_2addr_b64 v[114:117], v108 offset0:6 offset1:7
	v_pk_add_f32 v[92:93], v[92:93], v[120:121] neg_lo:[0,1] neg_hi:[0,1]
	v_pk_add_f32 v[52:53], v[52:53], v[118:119] neg_lo:[0,1] neg_hi:[0,1]
	s_wait_dscnt 0x0
	v_pk_mul_f32 v[118:119], v[114:115], v[106:107] op_sel:[0,1]
	s_delay_alu instid0(VALU_DEP_1) | instskip(SKIP_2) | instid1(VALU_DEP_2)
	v_pk_fma_f32 v[120:121], v[114:115], v[104:105], v[118:119] op_sel:[0,0,1] op_sel_hi:[1,1,0] neg_lo:[0,0,1] neg_hi:[0,0,1]
	v_pk_fma_f32 v[114:115], v[114:115], v[104:105], v[118:119] op_sel:[0,0,1] op_sel_hi:[1,0,0]
	v_dual_mul_f32 v118, v117, v107 :: v_dual_mov_b32 v114, v117
	v_dual_mov_b32 v121, v115 :: v_dual_mov_b32 v115, v116
	s_delay_alu instid0(VALU_DEP_2) | instskip(SKIP_1) | instid1(VALU_DEP_3)
	v_pk_fma_f32 v[118:119], v[116:117], v[94:95], v[118:119] op_sel_hi:[1,1,0] neg_lo:[0,0,1] neg_hi:[0,0,1]
	v_mul_f32_e32 v116, v117, v104
	v_pk_add_f32 v[58:59], v[58:59], v[120:121] neg_lo:[0,1] neg_hi:[0,1]
	s_delay_alu instid0(VALU_DEP_2) | instskip(NEXT) | instid1(VALU_DEP_1)
	v_pk_fma_f32 v[114:115], v[114:115], v[94:95], v[116:117] op_sel_hi:[1,1,0]
	v_mov_b32_e32 v119, v115
	ds_load_2addr_b64 v[114:117], v108 offset0:8 offset1:9
	v_pk_add_f32 v[50:51], v[50:51], v[118:119] neg_lo:[0,1] neg_hi:[0,1]
	s_wait_dscnt 0x0
	v_pk_mul_f32 v[118:119], v[114:115], v[106:107] op_sel:[0,1]
	s_delay_alu instid0(VALU_DEP_1) | instskip(SKIP_1) | instid1(VALU_DEP_1)
	v_pk_fma_f32 v[120:121], v[114:115], v[104:105], v[118:119] op_sel:[0,0,1] op_sel_hi:[1,1,0] neg_lo:[0,0,1] neg_hi:[0,0,1]
	v_pk_fma_f32 v[114:115], v[114:115], v[104:105], v[118:119] op_sel:[0,0,1] op_sel_hi:[1,0,0]
	v_mov_b32_e32 v121, v115
	v_pk_mul_f32 v[114:115], v[116:117], v[106:107] op_sel:[0,1]
	s_delay_alu instid0(VALU_DEP_1) | instskip(SKIP_1) | instid1(VALU_DEP_1)
	v_pk_fma_f32 v[118:119], v[116:117], v[104:105], v[114:115] op_sel:[0,0,1] op_sel_hi:[1,1,0] neg_lo:[0,0,1] neg_hi:[0,0,1]
	v_pk_fma_f32 v[114:115], v[116:117], v[104:105], v[114:115] op_sel:[0,0,1] op_sel_hi:[1,0,0]
	v_mov_b32_e32 v119, v115
	ds_load_2addr_b64 v[114:117], v108 offset0:10 offset1:11
	v_pk_add_f32 v[66:67], v[66:67], v[120:121] neg_lo:[0,1] neg_hi:[0,1]
	v_pk_add_f32 v[62:63], v[62:63], v[118:119] neg_lo:[0,1] neg_hi:[0,1]
	s_wait_dscnt 0x0
	v_pk_mul_f32 v[118:119], v[114:115], v[106:107] op_sel:[0,1]
	s_delay_alu instid0(VALU_DEP_1) | instskip(SKIP_1) | instid1(VALU_DEP_1)
	v_pk_fma_f32 v[120:121], v[114:115], v[104:105], v[118:119] op_sel:[0,0,1] op_sel_hi:[1,1,0] neg_lo:[0,0,1] neg_hi:[0,0,1]
	v_pk_fma_f32 v[114:115], v[114:115], v[104:105], v[118:119] op_sel:[0,0,1] op_sel_hi:[1,0,0]
	v_mov_b32_e32 v121, v115
	v_pk_mul_f32 v[114:115], v[116:117], v[106:107] op_sel:[0,1]
	s_delay_alu instid0(VALU_DEP_1) | instskip(SKIP_1) | instid1(VALU_DEP_1)
	v_pk_fma_f32 v[118:119], v[116:117], v[104:105], v[114:115] op_sel:[0,0,1] op_sel_hi:[1,1,0] neg_lo:[0,0,1] neg_hi:[0,0,1]
	v_pk_fma_f32 v[114:115], v[116:117], v[104:105], v[114:115] op_sel:[0,0,1] op_sel_hi:[1,0,0]
	v_mov_b32_e32 v119, v115
	ds_load_2addr_b64 v[114:117], v108 offset0:12 offset1:13
	v_pk_add_f32 v[64:65], v[64:65], v[120:121] neg_lo:[0,1] neg_hi:[0,1]
	v_pk_add_f32 v[60:61], v[60:61], v[118:119] neg_lo:[0,1] neg_hi:[0,1]
	s_wait_dscnt 0x0
	v_dual_mul_f32 v118, v115, v107 :: v_dual_mul_f32 v120, v115, v104
	s_delay_alu instid0(VALU_DEP_1) | instskip(NEXT) | instid1(VALU_DEP_2)
	v_pk_fma_f32 v[118:119], v[114:115], v[94:95], v[118:119] op_sel_hi:[1,1,0] neg_lo:[0,0,1] neg_hi:[0,0,1]
	v_pk_fma_f32 v[114:115], v[114:115], v[94:95], v[120:121] op_sel:[1,0,0] op_sel_hi:[0,1,0]
	s_delay_alu instid0(VALU_DEP_1) | instskip(SKIP_1) | instid1(VALU_DEP_2)
	v_mov_b32_e32 v119, v115
	v_pk_mul_f32 v[114:115], v[116:117], v[106:107] op_sel:[0,1]
	v_pk_add_f32 v[90:91], v[90:91], v[118:119] neg_lo:[0,1] neg_hi:[0,1]
	s_delay_alu instid0(VALU_DEP_2) | instskip(SKIP_1) | instid1(VALU_DEP_1)
	v_pk_fma_f32 v[118:119], v[116:117], v[104:105], v[114:115] op_sel:[0,0,1] op_sel_hi:[1,1,0] neg_lo:[0,0,1] neg_hi:[0,0,1]
	v_pk_fma_f32 v[114:115], v[116:117], v[104:105], v[114:115] op_sel:[0,0,1] op_sel_hi:[1,0,0]
	v_mov_b32_e32 v119, v115
	ds_load_2addr_b64 v[114:117], v108 offset0:14 offset1:15
	v_pk_add_f32 v[86:87], v[86:87], v[118:119] neg_lo:[0,1] neg_hi:[0,1]
	s_wait_dscnt 0x0
	v_pk_mul_f32 v[118:119], v[114:115], v[106:107] op_sel:[0,1]
	s_delay_alu instid0(VALU_DEP_1) | instskip(SKIP_1) | instid1(VALU_DEP_1)
	v_pk_fma_f32 v[120:121], v[114:115], v[104:105], v[118:119] op_sel:[0,0,1] op_sel_hi:[1,1,0] neg_lo:[0,0,1] neg_hi:[0,0,1]
	v_pk_fma_f32 v[114:115], v[114:115], v[104:105], v[118:119] op_sel:[0,0,1] op_sel_hi:[1,0,0]
	v_mov_b32_e32 v121, v115
	v_pk_mul_f32 v[114:115], v[116:117], v[106:107] op_sel:[0,1]
	s_delay_alu instid0(VALU_DEP_2) | instskip(NEXT) | instid1(VALU_DEP_2)
	v_pk_add_f32 v[88:89], v[88:89], v[120:121] neg_lo:[0,1] neg_hi:[0,1]
	v_pk_fma_f32 v[118:119], v[116:117], v[104:105], v[114:115] op_sel:[0,0,1] op_sel_hi:[1,1,0] neg_lo:[0,0,1] neg_hi:[0,0,1]
	v_pk_fma_f32 v[114:115], v[116:117], v[104:105], v[114:115] op_sel:[0,0,1] op_sel_hi:[1,0,0]
	s_delay_alu instid0(VALU_DEP_1) | instskip(SKIP_4) | instid1(VALU_DEP_1)
	v_mov_b32_e32 v119, v115
	ds_load_2addr_b64 v[114:117], v108 offset0:16 offset1:17
	v_pk_add_f32 v[84:85], v[84:85], v[118:119] neg_lo:[0,1] neg_hi:[0,1]
	s_wait_dscnt 0x0
	v_pk_mul_f32 v[118:119], v[114:115], v[106:107] op_sel:[0,1]
	v_pk_fma_f32 v[120:121], v[114:115], v[104:105], v[118:119] op_sel:[0,0,1] op_sel_hi:[1,1,0] neg_lo:[0,0,1] neg_hi:[0,0,1]
	v_pk_fma_f32 v[114:115], v[114:115], v[104:105], v[118:119] op_sel:[0,0,1] op_sel_hi:[1,0,0]
	v_dual_mul_f32 v118, v117, v107 :: v_dual_mov_b32 v114, v117
	s_delay_alu instid0(VALU_DEP_2) | instskip(NEXT) | instid1(VALU_DEP_2)
	v_dual_mov_b32 v121, v115 :: v_dual_mov_b32 v115, v116
	v_pk_fma_f32 v[118:119], v[116:117], v[94:95], v[118:119] op_sel_hi:[1,1,0] neg_lo:[0,0,1] neg_hi:[0,0,1]
	v_mul_f32_e32 v116, v117, v104
	s_delay_alu instid0(VALU_DEP_3) | instskip(NEXT) | instid1(VALU_DEP_2)
	v_pk_add_f32 v[82:83], v[82:83], v[120:121] neg_lo:[0,1] neg_hi:[0,1]
	v_pk_fma_f32 v[114:115], v[114:115], v[94:95], v[116:117] op_sel_hi:[1,1,0]
	s_delay_alu instid0(VALU_DEP_1) | instskip(SKIP_4) | instid1(VALU_DEP_1)
	v_mov_b32_e32 v119, v115
	ds_load_2addr_b64 v[114:117], v108 offset0:18 offset1:19
	v_pk_add_f32 v[78:79], v[78:79], v[118:119] neg_lo:[0,1] neg_hi:[0,1]
	s_wait_dscnt 0x0
	v_pk_mul_f32 v[118:119], v[114:115], v[106:107] op_sel:[0,1]
	v_pk_fma_f32 v[120:121], v[114:115], v[104:105], v[118:119] op_sel:[0,0,1] op_sel_hi:[1,1,0] neg_lo:[0,0,1] neg_hi:[0,0,1]
	v_pk_fma_f32 v[114:115], v[114:115], v[104:105], v[118:119] op_sel:[0,0,1] op_sel_hi:[1,0,0]
	s_delay_alu instid0(VALU_DEP_1) | instskip(SKIP_1) | instid1(VALU_DEP_1)
	v_mov_b32_e32 v121, v115
	v_pk_mul_f32 v[114:115], v[116:117], v[106:107] op_sel:[0,1]
	v_pk_fma_f32 v[118:119], v[116:117], v[104:105], v[114:115] op_sel:[0,0,1] op_sel_hi:[1,1,0] neg_lo:[0,0,1] neg_hi:[0,0,1]
	v_pk_fma_f32 v[114:115], v[116:117], v[104:105], v[114:115] op_sel:[0,0,1] op_sel_hi:[1,0,0]
	s_delay_alu instid0(VALU_DEP_1)
	v_mov_b32_e32 v119, v115
	ds_load_2addr_b64 v[114:117], v108 offset0:20 offset1:21
	v_pk_add_f32 v[80:81], v[80:81], v[120:121] neg_lo:[0,1] neg_hi:[0,1]
	v_pk_add_f32 v[76:77], v[76:77], v[118:119] neg_lo:[0,1] neg_hi:[0,1]
	s_wait_dscnt 0x0
	v_pk_mul_f32 v[118:119], v[114:115], v[106:107] op_sel:[0,1]
	s_delay_alu instid0(VALU_DEP_1) | instskip(SKIP_1) | instid1(VALU_DEP_1)
	v_pk_fma_f32 v[120:121], v[114:115], v[104:105], v[118:119] op_sel:[0,0,1] op_sel_hi:[1,1,0] neg_lo:[0,0,1] neg_hi:[0,0,1]
	v_pk_fma_f32 v[114:115], v[114:115], v[104:105], v[118:119] op_sel:[0,0,1] op_sel_hi:[1,0,0]
	v_mov_b32_e32 v121, v115
	v_pk_mul_f32 v[114:115], v[116:117], v[106:107] op_sel:[0,1]
	s_delay_alu instid0(VALU_DEP_1) | instskip(SKIP_1) | instid1(VALU_DEP_1)
	v_pk_fma_f32 v[118:119], v[116:117], v[104:105], v[114:115] op_sel:[0,0,1] op_sel_hi:[1,1,0] neg_lo:[0,0,1] neg_hi:[0,0,1]
	v_pk_fma_f32 v[114:115], v[116:117], v[104:105], v[114:115] op_sel:[0,0,1] op_sel_hi:[1,0,0]
	v_mov_b32_e32 v119, v115
	ds_load_2addr_b64 v[114:117], v108 offset0:22 offset1:23
	v_pk_add_f32 v[74:75], v[74:75], v[120:121] neg_lo:[0,1] neg_hi:[0,1]
	v_pk_add_f32 v[70:71], v[70:71], v[118:119] neg_lo:[0,1] neg_hi:[0,1]
	s_wait_dscnt 0x0
	v_dual_mul_f32 v118, v115, v107 :: v_dual_mul_f32 v120, v115, v104
	s_delay_alu instid0(VALU_DEP_1) | instskip(NEXT) | instid1(VALU_DEP_2)
	v_pk_fma_f32 v[118:119], v[114:115], v[94:95], v[118:119] op_sel_hi:[1,1,0] neg_lo:[0,0,1] neg_hi:[0,0,1]
	v_pk_fma_f32 v[114:115], v[114:115], v[94:95], v[120:121] op_sel:[1,0,0] op_sel_hi:[0,1,0]
	s_delay_alu instid0(VALU_DEP_1) | instskip(SKIP_1) | instid1(VALU_DEP_2)
	v_mov_b32_e32 v119, v115
	v_pk_mul_f32 v[114:115], v[116:117], v[106:107] op_sel:[0,1]
	v_pk_add_f32 v[72:73], v[72:73], v[118:119] neg_lo:[0,1] neg_hi:[0,1]
	s_delay_alu instid0(VALU_DEP_2) | instskip(SKIP_1) | instid1(VALU_DEP_1)
	v_pk_fma_f32 v[118:119], v[116:117], v[104:105], v[114:115] op_sel:[0,0,1] op_sel_hi:[1,1,0] neg_lo:[0,0,1] neg_hi:[0,0,1]
	v_pk_fma_f32 v[114:115], v[116:117], v[104:105], v[114:115] op_sel:[0,0,1] op_sel_hi:[1,0,0]
	v_mov_b32_e32 v119, v115
	ds_load_2addr_b64 v[114:117], v108 offset0:24 offset1:25
	v_pk_add_f32 v[68:69], v[68:69], v[118:119] neg_lo:[0,1] neg_hi:[0,1]
	s_wait_dscnt 0x0
	v_pk_mul_f32 v[118:119], v[114:115], v[106:107] op_sel:[0,1]
	s_delay_alu instid0(VALU_DEP_1) | instskip(SKIP_1) | instid1(VALU_DEP_1)
	v_pk_fma_f32 v[120:121], v[114:115], v[104:105], v[118:119] op_sel:[0,0,1] op_sel_hi:[1,1,0] neg_lo:[0,0,1] neg_hi:[0,0,1]
	v_pk_fma_f32 v[114:115], v[114:115], v[104:105], v[118:119] op_sel:[0,0,1] op_sel_hi:[1,0,0]
	v_mov_b32_e32 v121, v115
	v_pk_mul_f32 v[114:115], v[116:117], v[106:107] op_sel:[0,1]
	s_delay_alu instid0(VALU_DEP_2) | instskip(NEXT) | instid1(VALU_DEP_2)
	v_pk_add_f32 v[56:57], v[56:57], v[120:121] neg_lo:[0,1] neg_hi:[0,1]
	v_pk_fma_f32 v[118:119], v[116:117], v[104:105], v[114:115] op_sel:[0,0,1] op_sel_hi:[1,1,0] neg_lo:[0,0,1] neg_hi:[0,0,1]
	v_pk_fma_f32 v[114:115], v[116:117], v[104:105], v[114:115] op_sel:[0,0,1] op_sel_hi:[1,0,0]
	s_delay_alu instid0(VALU_DEP_1) | instskip(SKIP_4) | instid1(VALU_DEP_1)
	v_mov_b32_e32 v119, v115
	ds_load_2addr_b64 v[114:117], v108 offset0:26 offset1:27
	v_pk_add_f32 v[48:49], v[48:49], v[118:119] neg_lo:[0,1] neg_hi:[0,1]
	s_wait_dscnt 0x0
	v_pk_mul_f32 v[118:119], v[114:115], v[106:107] op_sel:[0,1]
	v_pk_fma_f32 v[120:121], v[114:115], v[104:105], v[118:119] op_sel:[0,0,1] op_sel_hi:[1,1,0] neg_lo:[0,0,1] neg_hi:[0,0,1]
	v_pk_fma_f32 v[114:115], v[114:115], v[104:105], v[118:119] op_sel:[0,0,1] op_sel_hi:[1,0,0]
	v_dual_mul_f32 v118, v117, v107 :: v_dual_mov_b32 v114, v117
	s_delay_alu instid0(VALU_DEP_2) | instskip(NEXT) | instid1(VALU_DEP_2)
	v_dual_mov_b32 v121, v115 :: v_dual_mov_b32 v115, v116
	v_pk_fma_f32 v[118:119], v[116:117], v[94:95], v[118:119] op_sel_hi:[1,1,0] neg_lo:[0,0,1] neg_hi:[0,0,1]
	v_mul_f32_e32 v116, v117, v104
	s_delay_alu instid0(VALU_DEP_3) | instskip(NEXT) | instid1(VALU_DEP_2)
	v_pk_add_f32 v[54:55], v[54:55], v[120:121] neg_lo:[0,1] neg_hi:[0,1]
	v_pk_fma_f32 v[114:115], v[114:115], v[94:95], v[116:117] op_sel_hi:[1,1,0]
	s_delay_alu instid0(VALU_DEP_1) | instskip(SKIP_4) | instid1(VALU_DEP_1)
	v_mov_b32_e32 v119, v115
	ds_load_2addr_b64 v[114:117], v108 offset0:28 offset1:29
	v_pk_add_f32 v[46:47], v[46:47], v[118:119] neg_lo:[0,1] neg_hi:[0,1]
	s_wait_dscnt 0x0
	v_pk_mul_f32 v[118:119], v[114:115], v[106:107] op_sel:[0,1]
	v_pk_fma_f32 v[120:121], v[114:115], v[104:105], v[118:119] op_sel:[0,0,1] op_sel_hi:[1,1,0] neg_lo:[0,0,1] neg_hi:[0,0,1]
	v_pk_fma_f32 v[114:115], v[114:115], v[104:105], v[118:119] op_sel:[0,0,1] op_sel_hi:[1,0,0]
	s_delay_alu instid0(VALU_DEP_1) | instskip(SKIP_1) | instid1(VALU_DEP_1)
	v_mov_b32_e32 v121, v115
	v_pk_mul_f32 v[114:115], v[116:117], v[106:107] op_sel:[0,1]
	v_pk_fma_f32 v[118:119], v[116:117], v[104:105], v[114:115] op_sel:[0,0,1] op_sel_hi:[1,1,0] neg_lo:[0,0,1] neg_hi:[0,0,1]
	v_pk_fma_f32 v[114:115], v[116:117], v[104:105], v[114:115] op_sel:[0,0,1] op_sel_hi:[1,0,0]
	s_delay_alu instid0(VALU_DEP_1)
	v_mov_b32_e32 v119, v115
	ds_load_2addr_b64 v[114:117], v108 offset0:30 offset1:31
	v_pk_add_f32 v[44:45], v[44:45], v[120:121] neg_lo:[0,1] neg_hi:[0,1]
	v_pk_add_f32 v[40:41], v[40:41], v[118:119] neg_lo:[0,1] neg_hi:[0,1]
	s_wait_dscnt 0x0
	v_pk_mul_f32 v[118:119], v[114:115], v[106:107] op_sel:[0,1]
	s_delay_alu instid0(VALU_DEP_1) | instskip(SKIP_1) | instid1(VALU_DEP_1)
	v_pk_fma_f32 v[120:121], v[114:115], v[104:105], v[118:119] op_sel:[0,0,1] op_sel_hi:[1,1,0] neg_lo:[0,0,1] neg_hi:[0,0,1]
	v_pk_fma_f32 v[114:115], v[114:115], v[104:105], v[118:119] op_sel:[0,0,1] op_sel_hi:[1,0,0]
	v_mov_b32_e32 v121, v115
	v_pk_mul_f32 v[114:115], v[116:117], v[106:107] op_sel:[0,1]
	s_delay_alu instid0(VALU_DEP_1) | instskip(SKIP_1) | instid1(VALU_DEP_1)
	v_pk_fma_f32 v[118:119], v[116:117], v[104:105], v[114:115] op_sel:[0,0,1] op_sel_hi:[1,1,0] neg_lo:[0,0,1] neg_hi:[0,0,1]
	v_pk_fma_f32 v[114:115], v[116:117], v[104:105], v[114:115] op_sel:[0,0,1] op_sel_hi:[1,0,0]
	v_mov_b32_e32 v119, v115
	ds_load_2addr_b64 v[114:117], v108 offset0:32 offset1:33
	v_pk_add_f32 v[42:43], v[42:43], v[120:121] neg_lo:[0,1] neg_hi:[0,1]
	v_pk_add_f32 v[38:39], v[38:39], v[118:119] neg_lo:[0,1] neg_hi:[0,1]
	s_wait_dscnt 0x0
	v_dual_mul_f32 v118, v115, v107 :: v_dual_mul_f32 v120, v115, v104
	s_delay_alu instid0(VALU_DEP_1) | instskip(NEXT) | instid1(VALU_DEP_2)
	v_pk_fma_f32 v[118:119], v[114:115], v[94:95], v[118:119] op_sel_hi:[1,1,0] neg_lo:[0,0,1] neg_hi:[0,0,1]
	v_pk_fma_f32 v[114:115], v[114:115], v[94:95], v[120:121] op_sel:[1,0,0] op_sel_hi:[0,1,0]
	s_delay_alu instid0(VALU_DEP_1) | instskip(SKIP_1) | instid1(VALU_DEP_2)
	v_mov_b32_e32 v119, v115
	v_pk_mul_f32 v[114:115], v[116:117], v[106:107] op_sel:[0,1]
	v_pk_add_f32 v[36:37], v[36:37], v[118:119] neg_lo:[0,1] neg_hi:[0,1]
	s_delay_alu instid0(VALU_DEP_2) | instskip(SKIP_1) | instid1(VALU_DEP_1)
	v_pk_fma_f32 v[118:119], v[116:117], v[104:105], v[114:115] op_sel:[0,0,1] op_sel_hi:[1,1,0] neg_lo:[0,0,1] neg_hi:[0,0,1]
	v_pk_fma_f32 v[114:115], v[116:117], v[104:105], v[114:115] op_sel:[0,0,1] op_sel_hi:[1,0,0]
	v_mov_b32_e32 v119, v115
	ds_load_2addr_b64 v[114:117], v108 offset0:34 offset1:35
	v_pk_add_f32 v[32:33], v[32:33], v[118:119] neg_lo:[0,1] neg_hi:[0,1]
	s_wait_dscnt 0x0
	v_pk_mul_f32 v[118:119], v[114:115], v[106:107] op_sel:[0,1]
	s_delay_alu instid0(VALU_DEP_1) | instskip(SKIP_1) | instid1(VALU_DEP_1)
	v_pk_fma_f32 v[120:121], v[114:115], v[104:105], v[118:119] op_sel:[0,0,1] op_sel_hi:[1,1,0] neg_lo:[0,0,1] neg_hi:[0,0,1]
	v_pk_fma_f32 v[114:115], v[114:115], v[104:105], v[118:119] op_sel:[0,0,1] op_sel_hi:[1,0,0]
	v_mov_b32_e32 v121, v115
	v_pk_mul_f32 v[114:115], v[116:117], v[106:107] op_sel:[0,1]
	s_delay_alu instid0(VALU_DEP_2) | instskip(NEXT) | instid1(VALU_DEP_2)
	v_pk_add_f32 v[34:35], v[34:35], v[120:121] neg_lo:[0,1] neg_hi:[0,1]
	v_pk_fma_f32 v[118:119], v[116:117], v[104:105], v[114:115] op_sel:[0,0,1] op_sel_hi:[1,1,0] neg_lo:[0,0,1] neg_hi:[0,0,1]
	v_pk_fma_f32 v[114:115], v[116:117], v[104:105], v[114:115] op_sel:[0,0,1] op_sel_hi:[1,0,0]
	s_delay_alu instid0(VALU_DEP_1) | instskip(SKIP_4) | instid1(VALU_DEP_1)
	v_mov_b32_e32 v119, v115
	ds_load_2addr_b64 v[114:117], v108 offset0:36 offset1:37
	v_pk_add_f32 v[30:31], v[30:31], v[118:119] neg_lo:[0,1] neg_hi:[0,1]
	s_wait_dscnt 0x0
	v_pk_mul_f32 v[118:119], v[114:115], v[106:107] op_sel:[0,1]
	v_pk_fma_f32 v[120:121], v[114:115], v[104:105], v[118:119] op_sel:[0,0,1] op_sel_hi:[1,1,0] neg_lo:[0,0,1] neg_hi:[0,0,1]
	v_pk_fma_f32 v[114:115], v[114:115], v[104:105], v[118:119] op_sel:[0,0,1] op_sel_hi:[1,0,0]
	v_dual_mul_f32 v118, v117, v107 :: v_dual_mov_b32 v114, v117
	s_delay_alu instid0(VALU_DEP_2) | instskip(NEXT) | instid1(VALU_DEP_2)
	v_dual_mov_b32 v121, v115 :: v_dual_mov_b32 v115, v116
	v_pk_fma_f32 v[118:119], v[116:117], v[94:95], v[118:119] op_sel_hi:[1,1,0] neg_lo:[0,0,1] neg_hi:[0,0,1]
	v_mul_f32_e32 v116, v117, v104
	s_delay_alu instid0(VALU_DEP_3) | instskip(NEXT) | instid1(VALU_DEP_2)
	v_pk_add_f32 v[26:27], v[26:27], v[120:121] neg_lo:[0,1] neg_hi:[0,1]
	v_pk_fma_f32 v[114:115], v[114:115], v[94:95], v[116:117] op_sel_hi:[1,1,0]
	s_delay_alu instid0(VALU_DEP_1) | instskip(SKIP_4) | instid1(VALU_DEP_1)
	v_mov_b32_e32 v119, v115
	ds_load_2addr_b64 v[114:117], v108 offset0:38 offset1:39
	v_pk_add_f32 v[22:23], v[22:23], v[118:119] neg_lo:[0,1] neg_hi:[0,1]
	s_wait_dscnt 0x0
	v_pk_mul_f32 v[118:119], v[114:115], v[106:107] op_sel:[0,1]
	v_pk_fma_f32 v[120:121], v[114:115], v[104:105], v[118:119] op_sel:[0,0,1] op_sel_hi:[1,1,0] neg_lo:[0,0,1] neg_hi:[0,0,1]
	v_pk_fma_f32 v[114:115], v[114:115], v[104:105], v[118:119] op_sel:[0,0,1] op_sel_hi:[1,0,0]
	s_delay_alu instid0(VALU_DEP_1) | instskip(SKIP_1) | instid1(VALU_DEP_1)
	v_mov_b32_e32 v121, v115
	v_pk_mul_f32 v[114:115], v[116:117], v[106:107] op_sel:[0,1]
	v_pk_fma_f32 v[118:119], v[116:117], v[104:105], v[114:115] op_sel:[0,0,1] op_sel_hi:[1,1,0] neg_lo:[0,0,1] neg_hi:[0,0,1]
	v_pk_fma_f32 v[114:115], v[116:117], v[104:105], v[114:115] op_sel:[0,0,1] op_sel_hi:[1,0,0]
	s_delay_alu instid0(VALU_DEP_1)
	v_mov_b32_e32 v119, v115
	ds_load_2addr_b64 v[114:117], v108 offset0:40 offset1:41
	v_pk_add_f32 v[24:25], v[24:25], v[120:121] neg_lo:[0,1] neg_hi:[0,1]
	v_pk_add_f32 v[20:21], v[20:21], v[118:119] neg_lo:[0,1] neg_hi:[0,1]
	s_wait_dscnt 0x0
	v_pk_mul_f32 v[118:119], v[114:115], v[106:107] op_sel:[0,1]
	s_delay_alu instid0(VALU_DEP_1) | instskip(SKIP_1) | instid1(VALU_DEP_1)
	v_pk_fma_f32 v[120:121], v[114:115], v[104:105], v[118:119] op_sel:[0,0,1] op_sel_hi:[1,1,0] neg_lo:[0,0,1] neg_hi:[0,0,1]
	v_pk_fma_f32 v[114:115], v[114:115], v[104:105], v[118:119] op_sel:[0,0,1] op_sel_hi:[1,0,0]
	v_mov_b32_e32 v121, v115
	v_pk_mul_f32 v[114:115], v[116:117], v[106:107] op_sel:[0,1]
	s_delay_alu instid0(VALU_DEP_1) | instskip(SKIP_1) | instid1(VALU_DEP_1)
	v_pk_fma_f32 v[118:119], v[116:117], v[104:105], v[114:115] op_sel:[0,0,1] op_sel_hi:[1,1,0] neg_lo:[0,0,1] neg_hi:[0,0,1]
	v_pk_fma_f32 v[114:115], v[116:117], v[104:105], v[114:115] op_sel:[0,0,1] op_sel_hi:[1,0,0]
	v_mov_b32_e32 v119, v115
	ds_load_2addr_b64 v[114:117], v108 offset0:42 offset1:43
	v_pk_add_f32 v[14:15], v[14:15], v[120:121] neg_lo:[0,1] neg_hi:[0,1]
	v_pk_add_f32 v[10:11], v[10:11], v[118:119] neg_lo:[0,1] neg_hi:[0,1]
	s_wait_dscnt 0x0
	v_dual_mul_f32 v118, v115, v107 :: v_dual_mul_f32 v120, v115, v104
	s_delay_alu instid0(VALU_DEP_1) | instskip(NEXT) | instid1(VALU_DEP_2)
	v_pk_fma_f32 v[118:119], v[114:115], v[94:95], v[118:119] op_sel_hi:[1,1,0] neg_lo:[0,0,1] neg_hi:[0,0,1]
	v_pk_fma_f32 v[114:115], v[114:115], v[94:95], v[120:121] op_sel:[1,0,0] op_sel_hi:[0,1,0]
	s_delay_alu instid0(VALU_DEP_1) | instskip(SKIP_1) | instid1(VALU_DEP_2)
	v_mov_b32_e32 v119, v115
	v_pk_mul_f32 v[114:115], v[116:117], v[106:107] op_sel:[0,1]
	v_pk_add_f32 v[12:13], v[12:13], v[118:119] neg_lo:[0,1] neg_hi:[0,1]
	s_delay_alu instid0(VALU_DEP_2) | instskip(SKIP_1) | instid1(VALU_DEP_1)
	v_pk_fma_f32 v[118:119], v[116:117], v[104:105], v[114:115] op_sel:[0,0,1] op_sel_hi:[1,1,0] neg_lo:[0,0,1] neg_hi:[0,0,1]
	v_pk_fma_f32 v[114:115], v[116:117], v[104:105], v[114:115] op_sel:[0,0,1] op_sel_hi:[1,0,0]
	v_mov_b32_e32 v119, v115
	ds_load_2addr_b64 v[114:117], v108 offset0:44 offset1:45
	v_pk_add_f32 v[8:9], v[8:9], v[118:119] neg_lo:[0,1] neg_hi:[0,1]
	s_wait_dscnt 0x0
	v_pk_mul_f32 v[118:119], v[114:115], v[106:107] op_sel:[0,1]
	s_delay_alu instid0(VALU_DEP_1) | instskip(SKIP_1) | instid1(VALU_DEP_1)
	v_pk_fma_f32 v[120:121], v[114:115], v[104:105], v[118:119] op_sel:[0,0,1] op_sel_hi:[1,1,0] neg_lo:[0,0,1] neg_hi:[0,0,1]
	v_pk_fma_f32 v[114:115], v[114:115], v[104:105], v[118:119] op_sel:[0,0,1] op_sel_hi:[1,0,0]
	v_mov_b32_e32 v121, v115
	v_pk_mul_f32 v[114:115], v[116:117], v[106:107] op_sel:[0,1]
	s_delay_alu instid0(VALU_DEP_2) | instskip(NEXT) | instid1(VALU_DEP_2)
	v_pk_add_f32 v[6:7], v[6:7], v[120:121] neg_lo:[0,1] neg_hi:[0,1]
	v_pk_fma_f32 v[118:119], v[116:117], v[104:105], v[114:115] op_sel:[0,0,1] op_sel_hi:[1,1,0] neg_lo:[0,0,1] neg_hi:[0,0,1]
	v_pk_fma_f32 v[114:115], v[116:117], v[104:105], v[114:115] op_sel:[0,0,1] op_sel_hi:[1,0,0]
	s_delay_alu instid0(VALU_DEP_1) | instskip(SKIP_4) | instid1(VALU_DEP_1)
	v_mov_b32_e32 v119, v115
	ds_load_2addr_b64 v[114:117], v108 offset0:46 offset1:47
	v_pk_add_f32 v[28:29], v[28:29], v[118:119] neg_lo:[0,1] neg_hi:[0,1]
	s_wait_dscnt 0x0
	v_pk_mul_f32 v[118:119], v[114:115], v[106:107] op_sel:[0,1]
	v_pk_fma_f32 v[120:121], v[114:115], v[104:105], v[118:119] op_sel:[0,0,1] op_sel_hi:[1,1,0] neg_lo:[0,0,1] neg_hi:[0,0,1]
	v_pk_fma_f32 v[114:115], v[114:115], v[104:105], v[118:119] op_sel:[0,0,1] op_sel_hi:[1,0,0]
	v_dual_mul_f32 v118, v117, v107 :: v_dual_mov_b32 v114, v117
	s_delay_alu instid0(VALU_DEP_2) | instskip(NEXT) | instid1(VALU_DEP_2)
	v_dual_mov_b32 v121, v115 :: v_dual_mov_b32 v115, v116
	v_pk_fma_f32 v[118:119], v[116:117], v[94:95], v[118:119] op_sel_hi:[1,1,0] neg_lo:[0,0,1] neg_hi:[0,0,1]
	v_mul_f32_e32 v116, v117, v104
	s_delay_alu instid0(VALU_DEP_3) | instskip(NEXT) | instid1(VALU_DEP_2)
	v_pk_add_f32 v[18:19], v[18:19], v[120:121] neg_lo:[0,1] neg_hi:[0,1]
	v_pk_fma_f32 v[114:115], v[114:115], v[94:95], v[116:117] op_sel_hi:[1,1,0]
	s_delay_alu instid0(VALU_DEP_1) | instskip(SKIP_4) | instid1(VALU_DEP_1)
	v_mov_b32_e32 v119, v115
	ds_load_b64 v[114:115], v108 offset:384
	v_pk_add_f32 v[16:17], v[16:17], v[118:119] neg_lo:[0,1] neg_hi:[0,1]
	s_wait_dscnt 0x0
	v_pk_mul_f32 v[106:107], v[114:115], v[106:107] op_sel:[0,1]
	v_pk_fma_f32 v[116:117], v[114:115], v[104:105], v[106:107] op_sel:[0,0,1] op_sel_hi:[1,1,0] neg_lo:[0,0,1] neg_hi:[0,0,1]
	v_pk_fma_f32 v[104:105], v[114:115], v[104:105], v[106:107] op_sel:[0,0,1] op_sel_hi:[1,0,0]
	s_delay_alu instid0(VALU_DEP_1) | instskip(NEXT) | instid1(VALU_DEP_1)
	v_mov_b32_e32 v117, v105
	v_pk_add_f32 v[102:103], v[102:103], v[116:117] neg_lo:[0,1] neg_hi:[0,1]
.LBB96_83:
	s_or_b32 exec_lo, exec_lo, s0
	v_lshl_add_u32 v104, v112, 3, v108
	s_barrier_signal -1
	s_barrier_wait -1
	ds_store_b64 v104, v[92:93]
	s_wait_dscnt 0x0
	s_barrier_signal -1
	s_barrier_wait -1
	ds_load_b64 v[106:107], v108 offset:32
	v_mov_b32_e32 v104, 4
	s_cmp_lt_i32 s18, 6
	s_cbranch_scc1 .LBB96_86
; %bb.84:
	v_add3_u32 v105, v109, 0, 40
	v_mov_b32_e32 v104, 4
	s_mov_b32 s0, 5
.LBB96_85:                              ; =>This Inner Loop Header: Depth=1
	ds_load_b64 v[114:115], v105
	s_wait_dscnt 0x1
	v_cmp_gt_f32_e32 vcc_lo, 0, v106
	v_cndmask_b32_e64 v116, v106, -v106, vcc_lo
	v_cmp_gt_f32_e32 vcc_lo, 0, v107
	v_cndmask_b32_e64 v118, v107, -v107, vcc_lo
	s_wait_dscnt 0x0
	v_cmp_gt_f32_e32 vcc_lo, 0, v114
	v_cndmask_b32_e64 v117, v114, -v114, vcc_lo
	v_cmp_gt_f32_e32 vcc_lo, 0, v115
	v_cndmask_b32_e64 v119, v115, -v115, vcc_lo
	s_delay_alu instid0(VALU_DEP_1) | instskip(NEXT) | instid1(VALU_DEP_1)
	v_pk_add_f32 v[116:117], v[116:117], v[118:119]
	v_cmp_lt_f32_e32 vcc_lo, v116, v117
	v_dual_add_nc_u32 v105, 8, v105 :: v_dual_cndmask_b32 v107, v107, v115, vcc_lo
	v_cndmask_b32_e32 v106, v106, v114, vcc_lo
	v_cndmask_b32_e64 v104, v104, s0, vcc_lo
	s_add_co_i32 s0, s0, 1
	s_delay_alu instid0(SALU_CYCLE_1)
	s_cmp_lg_u32 s18, s0
	s_cbranch_scc1 .LBB96_85
.LBB96_86:
	s_wait_dscnt 0x0
	v_cmp_eq_f32_e32 vcc_lo, 0, v106
	v_cmp_eq_f32_e64 s0, 0, v107
	s_and_b32 s0, vcc_lo, s0
	s_delay_alu instid0(SALU_CYCLE_1) | instskip(NEXT) | instid1(SALU_CYCLE_1)
	s_and_saveexec_b32 s1, s0
	s_xor_b32 s0, exec_lo, s1
; %bb.87:
	v_cmp_ne_u32_e32 vcc_lo, 0, v110
	v_cndmask_b32_e32 v110, 5, v110, vcc_lo
; %bb.88:
	s_and_not1_saveexec_b32 s0, s0
	s_cbranch_execz .LBB96_94
; %bb.89:
	v_cmp_ngt_f32_e64 s1, |v106|, |v107|
	s_and_saveexec_b32 s12, s1
	s_delay_alu instid0(SALU_CYCLE_1)
	s_xor_b32 s1, exec_lo, s12
	s_cbranch_execz .LBB96_91
; %bb.90:
	v_div_scale_f32 v105, null, v107, v107, v106
	v_div_scale_f32 v115, vcc_lo, v106, v107, v106
	s_delay_alu instid0(VALU_DEP_2) | instskip(SKIP_1) | instid1(TRANS32_DEP_1)
	v_rcp_f32_e32 v113, v105
	v_nop
	v_fma_f32 v114, -v105, v113, 1.0
	s_delay_alu instid0(VALU_DEP_1) | instskip(NEXT) | instid1(VALU_DEP_1)
	v_fmac_f32_e32 v113, v114, v113
	v_mul_f32_e32 v114, v115, v113
	s_delay_alu instid0(VALU_DEP_1) | instskip(NEXT) | instid1(VALU_DEP_1)
	v_fma_f32 v116, -v105, v114, v115
	v_fmac_f32_e32 v114, v116, v113
	s_delay_alu instid0(VALU_DEP_1) | instskip(NEXT) | instid1(VALU_DEP_1)
	v_fma_f32 v105, -v105, v114, v115
	v_div_fmas_f32 v105, v105, v113, v114
	s_delay_alu instid0(VALU_DEP_1) | instskip(NEXT) | instid1(VALU_DEP_1)
	v_div_fixup_f32 v105, v105, v107, v106
	v_fmac_f32_e32 v107, v106, v105
	s_delay_alu instid0(VALU_DEP_1) | instskip(SKIP_1) | instid1(VALU_DEP_2)
	v_div_scale_f32 v106, null, v107, v107, 1.0
	v_div_scale_f32 v115, vcc_lo, 1.0, v107, 1.0
	v_rcp_f32_e32 v113, v106
	v_nop
	s_delay_alu instid0(TRANS32_DEP_1) | instskip(NEXT) | instid1(VALU_DEP_1)
	v_fma_f32 v114, -v106, v113, 1.0
	v_fmac_f32_e32 v113, v114, v113
	s_delay_alu instid0(VALU_DEP_1) | instskip(NEXT) | instid1(VALU_DEP_1)
	v_mul_f32_e32 v114, v115, v113
	v_fma_f32 v116, -v106, v114, v115
	s_delay_alu instid0(VALU_DEP_1) | instskip(NEXT) | instid1(VALU_DEP_1)
	v_fmac_f32_e32 v114, v116, v113
	v_fma_f32 v106, -v106, v114, v115
	s_delay_alu instid0(VALU_DEP_1) | instskip(NEXT) | instid1(VALU_DEP_1)
	v_div_fmas_f32 v106, v106, v113, v114
	v_div_fixup_f32 v107, v106, v107, 1.0
	s_delay_alu instid0(VALU_DEP_1)
	v_mul_f32_e32 v106, v105, v107
	v_xor_b32_e32 v107, 0x80000000, v107
.LBB96_91:
	s_and_not1_saveexec_b32 s1, s1
	s_cbranch_execz .LBB96_93
; %bb.92:
	s_delay_alu instid0(VALU_DEP_1) | instskip(SKIP_1) | instid1(VALU_DEP_2)
	v_div_scale_f32 v105, null, v106, v106, v107
	v_div_scale_f32 v115, vcc_lo, v107, v106, v107
	v_rcp_f32_e32 v113, v105
	v_nop
	s_delay_alu instid0(TRANS32_DEP_1) | instskip(NEXT) | instid1(VALU_DEP_1)
	v_fma_f32 v114, -v105, v113, 1.0
	v_fmac_f32_e32 v113, v114, v113
	s_delay_alu instid0(VALU_DEP_1) | instskip(NEXT) | instid1(VALU_DEP_1)
	v_mul_f32_e32 v114, v115, v113
	v_fma_f32 v116, -v105, v114, v115
	s_delay_alu instid0(VALU_DEP_1) | instskip(NEXT) | instid1(VALU_DEP_1)
	v_fmac_f32_e32 v114, v116, v113
	v_fma_f32 v105, -v105, v114, v115
	s_delay_alu instid0(VALU_DEP_1) | instskip(NEXT) | instid1(VALU_DEP_1)
	v_div_fmas_f32 v105, v105, v113, v114
	v_div_fixup_f32 v105, v105, v106, v107
	s_delay_alu instid0(VALU_DEP_1) | instskip(NEXT) | instid1(VALU_DEP_1)
	v_fmac_f32_e32 v106, v107, v105
	v_div_scale_f32 v107, null, v106, v106, 1.0
	s_delay_alu instid0(VALU_DEP_1) | instskip(SKIP_1) | instid1(TRANS32_DEP_1)
	v_rcp_f32_e32 v113, v107
	v_nop
	v_fma_f32 v114, -v107, v113, 1.0
	s_delay_alu instid0(VALU_DEP_1) | instskip(SKIP_1) | instid1(VALU_DEP_1)
	v_fmac_f32_e32 v113, v114, v113
	v_div_scale_f32 v114, vcc_lo, 1.0, v106, 1.0
	v_mul_f32_e32 v115, v114, v113
	s_delay_alu instid0(VALU_DEP_1) | instskip(NEXT) | instid1(VALU_DEP_1)
	v_fma_f32 v116, -v107, v115, v114
	v_fmac_f32_e32 v115, v116, v113
	s_delay_alu instid0(VALU_DEP_1) | instskip(NEXT) | instid1(VALU_DEP_1)
	v_fma_f32 v107, -v107, v115, v114
	v_div_fmas_f32 v107, v107, v113, v115
	s_delay_alu instid0(VALU_DEP_1) | instskip(NEXT) | instid1(VALU_DEP_1)
	v_div_fixup_f32 v106, v107, v106, 1.0
	v_mul_f32_e64 v107, v105, -v106
.LBB96_93:
	s_or_b32 exec_lo, exec_lo, s1
.LBB96_94:
	s_delay_alu instid0(SALU_CYCLE_1) | instskip(NEXT) | instid1(SALU_CYCLE_1)
	s_or_b32 exec_lo, exec_lo, s0
	s_mov_b32 s0, exec_lo
	v_cmpx_ne_u32_e64 v112, v104
	s_xor_b32 s0, exec_lo, s0
	s_cbranch_execz .LBB96_100
; %bb.95:
	s_mov_b32 s1, exec_lo
	v_cmpx_eq_u32_e32 4, v112
	s_cbranch_execz .LBB96_99
; %bb.96:
	v_cmp_ne_u32_e32 vcc_lo, 4, v104
	s_xor_b32 s12, s16, -1
	s_delay_alu instid0(SALU_CYCLE_1) | instskip(NEXT) | instid1(SALU_CYCLE_1)
	s_and_b32 s13, s12, vcc_lo
	s_and_saveexec_b32 s12, s13
	s_cbranch_execz .LBB96_98
; %bb.97:
	v_ashrrev_i32_e32 v105, 31, v104
	s_delay_alu instid0(VALU_DEP_1)
	v_lshl_add_u64 v[112:113], v[104:105], 2, v[4:5]
	s_clause 0x1
	global_load_b32 v105, v[112:113], off
	global_load_b32 v111, v[4:5], off offset:16
	s_wait_loadcnt 0x1
	global_store_b32 v[4:5], v105, off offset:16
	s_wait_loadcnt 0x0
	global_store_b32 v[112:113], v111, off
.LBB96_98:
	s_wait_xcnt 0x0
	s_or_b32 exec_lo, exec_lo, s12
	v_dual_mov_b32 v112, v104 :: v_dual_mov_b32 v111, v104
.LBB96_99:
	s_or_b32 exec_lo, exec_lo, s1
.LBB96_100:
	s_and_not1_saveexec_b32 s0, s0
	s_cbranch_execz .LBB96_102
; %bb.101:
	v_mov_b32_e32 v112, 4
	ds_store_2addr_b64 v108, v[52:53], v[58:59] offset0:5 offset1:6
	ds_store_2addr_b64 v108, v[50:51], v[66:67] offset0:7 offset1:8
	ds_store_2addr_b64 v108, v[62:63], v[64:65] offset0:9 offset1:10
	ds_store_2addr_b64 v108, v[60:61], v[90:91] offset0:11 offset1:12
	ds_store_2addr_b64 v108, v[86:87], v[88:89] offset0:13 offset1:14
	ds_store_2addr_b64 v108, v[84:85], v[82:83] offset0:15 offset1:16
	ds_store_2addr_b64 v108, v[78:79], v[80:81] offset0:17 offset1:18
	ds_store_2addr_b64 v108, v[76:77], v[74:75] offset0:19 offset1:20
	ds_store_2addr_b64 v108, v[70:71], v[72:73] offset0:21 offset1:22
	ds_store_2addr_b64 v108, v[68:69], v[56:57] offset0:23 offset1:24
	ds_store_2addr_b64 v108, v[48:49], v[54:55] offset0:25 offset1:26
	ds_store_2addr_b64 v108, v[46:47], v[44:45] offset0:27 offset1:28
	ds_store_2addr_b64 v108, v[40:41], v[42:43] offset0:29 offset1:30
	ds_store_2addr_b64 v108, v[38:39], v[36:37] offset0:31 offset1:32
	ds_store_2addr_b64 v108, v[32:33], v[34:35] offset0:33 offset1:34
	ds_store_2addr_b64 v108, v[30:31], v[26:27] offset0:35 offset1:36
	ds_store_2addr_b64 v108, v[22:23], v[24:25] offset0:37 offset1:38
	ds_store_2addr_b64 v108, v[20:21], v[14:15] offset0:39 offset1:40
	ds_store_2addr_b64 v108, v[10:11], v[12:13] offset0:41 offset1:42
	ds_store_2addr_b64 v108, v[8:9], v[6:7] offset0:43 offset1:44
	ds_store_2addr_b64 v108, v[28:29], v[18:19] offset0:45 offset1:46
	ds_store_2addr_b64 v108, v[16:17], v[102:103] offset0:47 offset1:48
.LBB96_102:
	s_or_b32 exec_lo, exec_lo, s0
	s_delay_alu instid0(SALU_CYCLE_1)
	s_mov_b32 s0, exec_lo
	s_wait_storecnt_dscnt 0x0
	s_barrier_signal -1
	s_barrier_wait -1
	v_cmpx_lt_i32_e32 4, v112
	s_cbranch_execz .LBB96_104
; %bb.103:
	v_pk_mul_f32 v[114:115], v[106:107], v[92:93] op_sel:[1,1] op_sel_hi:[0,1]
	s_delay_alu instid0(VALU_DEP_1)
	v_pk_fma_f32 v[104:105], v[106:107], v[92:93], v[114:115] op_sel_hi:[1,0,1] neg_lo:[0,0,1] neg_hi:[0,0,1]
	v_pk_fma_f32 v[106:107], v[106:107], v[92:93], v[114:115] op_sel_hi:[1,0,1]
	ds_load_2addr_b64 v[114:117], v108 offset0:5 offset1:6
	v_dual_mov_b32 v92, v104 :: v_dual_mov_b32 v93, v107
	s_wait_dscnt 0x0
	v_pk_mul_f32 v[118:119], v[114:115], v[106:107] op_sel:[0,1]
	s_delay_alu instid0(VALU_DEP_1) | instskip(SKIP_1) | instid1(VALU_DEP_1)
	v_pk_fma_f32 v[120:121], v[114:115], v[104:105], v[118:119] op_sel:[0,0,1] op_sel_hi:[1,1,0] neg_lo:[0,0,1] neg_hi:[0,0,1]
	v_pk_fma_f32 v[114:115], v[114:115], v[104:105], v[118:119] op_sel:[0,0,1] op_sel_hi:[1,0,0]
	v_mov_b32_e32 v121, v115
	v_pk_mul_f32 v[114:115], v[116:117], v[106:107] op_sel:[0,1]
	s_delay_alu instid0(VALU_DEP_1) | instskip(SKIP_1) | instid1(VALU_DEP_1)
	v_pk_fma_f32 v[118:119], v[116:117], v[104:105], v[114:115] op_sel:[0,0,1] op_sel_hi:[1,1,0] neg_lo:[0,0,1] neg_hi:[0,0,1]
	v_pk_fma_f32 v[114:115], v[116:117], v[104:105], v[114:115] op_sel:[0,0,1] op_sel_hi:[1,0,0]
	v_mov_b32_e32 v119, v115
	ds_load_2addr_b64 v[114:117], v108 offset0:7 offset1:8
	v_pk_add_f32 v[52:53], v[52:53], v[120:121] neg_lo:[0,1] neg_hi:[0,1]
	v_pk_add_f32 v[58:59], v[58:59], v[118:119] neg_lo:[0,1] neg_hi:[0,1]
	s_wait_dscnt 0x0
	v_pk_mul_f32 v[118:119], v[114:115], v[106:107] op_sel:[0,1]
	s_delay_alu instid0(VALU_DEP_1) | instskip(SKIP_2) | instid1(VALU_DEP_2)
	v_pk_fma_f32 v[120:121], v[114:115], v[104:105], v[118:119] op_sel:[0,0,1] op_sel_hi:[1,1,0] neg_lo:[0,0,1] neg_hi:[0,0,1]
	v_pk_fma_f32 v[114:115], v[114:115], v[104:105], v[118:119] op_sel:[0,0,1] op_sel_hi:[1,0,0]
	v_dual_mul_f32 v118, v117, v107 :: v_dual_mov_b32 v114, v117
	v_dual_mov_b32 v121, v115 :: v_dual_mov_b32 v115, v116
	s_delay_alu instid0(VALU_DEP_2) | instskip(SKIP_1) | instid1(VALU_DEP_3)
	v_pk_fma_f32 v[118:119], v[116:117], v[92:93], v[118:119] op_sel_hi:[1,1,0] neg_lo:[0,0,1] neg_hi:[0,0,1]
	v_mul_f32_e32 v116, v117, v104
	v_pk_add_f32 v[50:51], v[50:51], v[120:121] neg_lo:[0,1] neg_hi:[0,1]
	s_delay_alu instid0(VALU_DEP_2) | instskip(NEXT) | instid1(VALU_DEP_1)
	v_pk_fma_f32 v[114:115], v[114:115], v[92:93], v[116:117] op_sel_hi:[1,1,0]
	v_mov_b32_e32 v119, v115
	ds_load_2addr_b64 v[114:117], v108 offset0:9 offset1:10
	v_pk_add_f32 v[66:67], v[66:67], v[118:119] neg_lo:[0,1] neg_hi:[0,1]
	s_wait_dscnt 0x0
	v_pk_mul_f32 v[118:119], v[114:115], v[106:107] op_sel:[0,1]
	s_delay_alu instid0(VALU_DEP_1) | instskip(SKIP_1) | instid1(VALU_DEP_1)
	v_pk_fma_f32 v[120:121], v[114:115], v[104:105], v[118:119] op_sel:[0,0,1] op_sel_hi:[1,1,0] neg_lo:[0,0,1] neg_hi:[0,0,1]
	v_pk_fma_f32 v[114:115], v[114:115], v[104:105], v[118:119] op_sel:[0,0,1] op_sel_hi:[1,0,0]
	v_mov_b32_e32 v121, v115
	v_pk_mul_f32 v[114:115], v[116:117], v[106:107] op_sel:[0,1]
	s_delay_alu instid0(VALU_DEP_1) | instskip(SKIP_1) | instid1(VALU_DEP_1)
	v_pk_fma_f32 v[118:119], v[116:117], v[104:105], v[114:115] op_sel:[0,0,1] op_sel_hi:[1,1,0] neg_lo:[0,0,1] neg_hi:[0,0,1]
	v_pk_fma_f32 v[114:115], v[116:117], v[104:105], v[114:115] op_sel:[0,0,1] op_sel_hi:[1,0,0]
	v_mov_b32_e32 v119, v115
	ds_load_2addr_b64 v[114:117], v108 offset0:11 offset1:12
	v_pk_add_f32 v[62:63], v[62:63], v[120:121] neg_lo:[0,1] neg_hi:[0,1]
	v_pk_add_f32 v[64:65], v[64:65], v[118:119] neg_lo:[0,1] neg_hi:[0,1]
	s_wait_dscnt 0x0
	v_pk_mul_f32 v[118:119], v[114:115], v[106:107] op_sel:[0,1]
	s_delay_alu instid0(VALU_DEP_1) | instskip(SKIP_1) | instid1(VALU_DEP_1)
	v_pk_fma_f32 v[120:121], v[114:115], v[104:105], v[118:119] op_sel:[0,0,1] op_sel_hi:[1,1,0] neg_lo:[0,0,1] neg_hi:[0,0,1]
	v_pk_fma_f32 v[114:115], v[114:115], v[104:105], v[118:119] op_sel:[0,0,1] op_sel_hi:[1,0,0]
	v_mov_b32_e32 v121, v115
	v_pk_mul_f32 v[114:115], v[116:117], v[106:107] op_sel:[0,1]
	s_delay_alu instid0(VALU_DEP_1) | instskip(SKIP_1) | instid1(VALU_DEP_1)
	v_pk_fma_f32 v[118:119], v[116:117], v[104:105], v[114:115] op_sel:[0,0,1] op_sel_hi:[1,1,0] neg_lo:[0,0,1] neg_hi:[0,0,1]
	v_pk_fma_f32 v[114:115], v[116:117], v[104:105], v[114:115] op_sel:[0,0,1] op_sel_hi:[1,0,0]
	v_mov_b32_e32 v119, v115
	ds_load_2addr_b64 v[114:117], v108 offset0:13 offset1:14
	v_pk_add_f32 v[60:61], v[60:61], v[120:121] neg_lo:[0,1] neg_hi:[0,1]
	v_pk_add_f32 v[90:91], v[90:91], v[118:119] neg_lo:[0,1] neg_hi:[0,1]
	s_wait_dscnt 0x0
	v_dual_mul_f32 v118, v115, v107 :: v_dual_mul_f32 v120, v115, v104
	s_delay_alu instid0(VALU_DEP_1) | instskip(NEXT) | instid1(VALU_DEP_2)
	v_pk_fma_f32 v[118:119], v[114:115], v[92:93], v[118:119] op_sel_hi:[1,1,0] neg_lo:[0,0,1] neg_hi:[0,0,1]
	v_pk_fma_f32 v[114:115], v[114:115], v[92:93], v[120:121] op_sel:[1,0,0] op_sel_hi:[0,1,0]
	s_delay_alu instid0(VALU_DEP_1) | instskip(SKIP_1) | instid1(VALU_DEP_2)
	v_mov_b32_e32 v119, v115
	v_pk_mul_f32 v[114:115], v[116:117], v[106:107] op_sel:[0,1]
	v_pk_add_f32 v[86:87], v[86:87], v[118:119] neg_lo:[0,1] neg_hi:[0,1]
	s_delay_alu instid0(VALU_DEP_2) | instskip(SKIP_1) | instid1(VALU_DEP_1)
	v_pk_fma_f32 v[118:119], v[116:117], v[104:105], v[114:115] op_sel:[0,0,1] op_sel_hi:[1,1,0] neg_lo:[0,0,1] neg_hi:[0,0,1]
	v_pk_fma_f32 v[114:115], v[116:117], v[104:105], v[114:115] op_sel:[0,0,1] op_sel_hi:[1,0,0]
	v_mov_b32_e32 v119, v115
	ds_load_2addr_b64 v[114:117], v108 offset0:15 offset1:16
	v_pk_add_f32 v[88:89], v[88:89], v[118:119] neg_lo:[0,1] neg_hi:[0,1]
	s_wait_dscnt 0x0
	v_pk_mul_f32 v[118:119], v[114:115], v[106:107] op_sel:[0,1]
	s_delay_alu instid0(VALU_DEP_1) | instskip(SKIP_1) | instid1(VALU_DEP_1)
	v_pk_fma_f32 v[120:121], v[114:115], v[104:105], v[118:119] op_sel:[0,0,1] op_sel_hi:[1,1,0] neg_lo:[0,0,1] neg_hi:[0,0,1]
	v_pk_fma_f32 v[114:115], v[114:115], v[104:105], v[118:119] op_sel:[0,0,1] op_sel_hi:[1,0,0]
	v_mov_b32_e32 v121, v115
	v_pk_mul_f32 v[114:115], v[116:117], v[106:107] op_sel:[0,1]
	s_delay_alu instid0(VALU_DEP_2) | instskip(NEXT) | instid1(VALU_DEP_2)
	v_pk_add_f32 v[84:85], v[84:85], v[120:121] neg_lo:[0,1] neg_hi:[0,1]
	v_pk_fma_f32 v[118:119], v[116:117], v[104:105], v[114:115] op_sel:[0,0,1] op_sel_hi:[1,1,0] neg_lo:[0,0,1] neg_hi:[0,0,1]
	v_pk_fma_f32 v[114:115], v[116:117], v[104:105], v[114:115] op_sel:[0,0,1] op_sel_hi:[1,0,0]
	s_delay_alu instid0(VALU_DEP_1) | instskip(SKIP_4) | instid1(VALU_DEP_1)
	v_mov_b32_e32 v119, v115
	ds_load_2addr_b64 v[114:117], v108 offset0:17 offset1:18
	v_pk_add_f32 v[82:83], v[82:83], v[118:119] neg_lo:[0,1] neg_hi:[0,1]
	s_wait_dscnt 0x0
	v_pk_mul_f32 v[118:119], v[114:115], v[106:107] op_sel:[0,1]
	v_pk_fma_f32 v[120:121], v[114:115], v[104:105], v[118:119] op_sel:[0,0,1] op_sel_hi:[1,1,0] neg_lo:[0,0,1] neg_hi:[0,0,1]
	v_pk_fma_f32 v[114:115], v[114:115], v[104:105], v[118:119] op_sel:[0,0,1] op_sel_hi:[1,0,0]
	v_dual_mul_f32 v118, v117, v107 :: v_dual_mov_b32 v114, v117
	s_delay_alu instid0(VALU_DEP_2) | instskip(NEXT) | instid1(VALU_DEP_2)
	v_dual_mov_b32 v121, v115 :: v_dual_mov_b32 v115, v116
	v_pk_fma_f32 v[118:119], v[116:117], v[92:93], v[118:119] op_sel_hi:[1,1,0] neg_lo:[0,0,1] neg_hi:[0,0,1]
	v_mul_f32_e32 v116, v117, v104
	s_delay_alu instid0(VALU_DEP_3) | instskip(NEXT) | instid1(VALU_DEP_2)
	v_pk_add_f32 v[78:79], v[78:79], v[120:121] neg_lo:[0,1] neg_hi:[0,1]
	v_pk_fma_f32 v[114:115], v[114:115], v[92:93], v[116:117] op_sel_hi:[1,1,0]
	s_delay_alu instid0(VALU_DEP_1) | instskip(SKIP_4) | instid1(VALU_DEP_1)
	v_mov_b32_e32 v119, v115
	ds_load_2addr_b64 v[114:117], v108 offset0:19 offset1:20
	v_pk_add_f32 v[80:81], v[80:81], v[118:119] neg_lo:[0,1] neg_hi:[0,1]
	s_wait_dscnt 0x0
	v_pk_mul_f32 v[118:119], v[114:115], v[106:107] op_sel:[0,1]
	v_pk_fma_f32 v[120:121], v[114:115], v[104:105], v[118:119] op_sel:[0,0,1] op_sel_hi:[1,1,0] neg_lo:[0,0,1] neg_hi:[0,0,1]
	v_pk_fma_f32 v[114:115], v[114:115], v[104:105], v[118:119] op_sel:[0,0,1] op_sel_hi:[1,0,0]
	s_delay_alu instid0(VALU_DEP_1) | instskip(SKIP_1) | instid1(VALU_DEP_1)
	v_mov_b32_e32 v121, v115
	v_pk_mul_f32 v[114:115], v[116:117], v[106:107] op_sel:[0,1]
	v_pk_fma_f32 v[118:119], v[116:117], v[104:105], v[114:115] op_sel:[0,0,1] op_sel_hi:[1,1,0] neg_lo:[0,0,1] neg_hi:[0,0,1]
	v_pk_fma_f32 v[114:115], v[116:117], v[104:105], v[114:115] op_sel:[0,0,1] op_sel_hi:[1,0,0]
	s_delay_alu instid0(VALU_DEP_1)
	v_mov_b32_e32 v119, v115
	ds_load_2addr_b64 v[114:117], v108 offset0:21 offset1:22
	v_pk_add_f32 v[76:77], v[76:77], v[120:121] neg_lo:[0,1] neg_hi:[0,1]
	v_pk_add_f32 v[74:75], v[74:75], v[118:119] neg_lo:[0,1] neg_hi:[0,1]
	s_wait_dscnt 0x0
	v_pk_mul_f32 v[118:119], v[114:115], v[106:107] op_sel:[0,1]
	s_delay_alu instid0(VALU_DEP_1) | instskip(SKIP_1) | instid1(VALU_DEP_1)
	v_pk_fma_f32 v[120:121], v[114:115], v[104:105], v[118:119] op_sel:[0,0,1] op_sel_hi:[1,1,0] neg_lo:[0,0,1] neg_hi:[0,0,1]
	v_pk_fma_f32 v[114:115], v[114:115], v[104:105], v[118:119] op_sel:[0,0,1] op_sel_hi:[1,0,0]
	v_mov_b32_e32 v121, v115
	v_pk_mul_f32 v[114:115], v[116:117], v[106:107] op_sel:[0,1]
	s_delay_alu instid0(VALU_DEP_1) | instskip(SKIP_1) | instid1(VALU_DEP_1)
	v_pk_fma_f32 v[118:119], v[116:117], v[104:105], v[114:115] op_sel:[0,0,1] op_sel_hi:[1,1,0] neg_lo:[0,0,1] neg_hi:[0,0,1]
	v_pk_fma_f32 v[114:115], v[116:117], v[104:105], v[114:115] op_sel:[0,0,1] op_sel_hi:[1,0,0]
	v_mov_b32_e32 v119, v115
	ds_load_2addr_b64 v[114:117], v108 offset0:23 offset1:24
	v_pk_add_f32 v[70:71], v[70:71], v[120:121] neg_lo:[0,1] neg_hi:[0,1]
	v_pk_add_f32 v[72:73], v[72:73], v[118:119] neg_lo:[0,1] neg_hi:[0,1]
	s_wait_dscnt 0x0
	v_dual_mul_f32 v118, v115, v107 :: v_dual_mul_f32 v120, v115, v104
	s_delay_alu instid0(VALU_DEP_1) | instskip(NEXT) | instid1(VALU_DEP_2)
	v_pk_fma_f32 v[118:119], v[114:115], v[92:93], v[118:119] op_sel_hi:[1,1,0] neg_lo:[0,0,1] neg_hi:[0,0,1]
	v_pk_fma_f32 v[114:115], v[114:115], v[92:93], v[120:121] op_sel:[1,0,0] op_sel_hi:[0,1,0]
	s_delay_alu instid0(VALU_DEP_1) | instskip(SKIP_1) | instid1(VALU_DEP_2)
	v_mov_b32_e32 v119, v115
	v_pk_mul_f32 v[114:115], v[116:117], v[106:107] op_sel:[0,1]
	v_pk_add_f32 v[68:69], v[68:69], v[118:119] neg_lo:[0,1] neg_hi:[0,1]
	s_delay_alu instid0(VALU_DEP_2) | instskip(SKIP_1) | instid1(VALU_DEP_1)
	v_pk_fma_f32 v[118:119], v[116:117], v[104:105], v[114:115] op_sel:[0,0,1] op_sel_hi:[1,1,0] neg_lo:[0,0,1] neg_hi:[0,0,1]
	v_pk_fma_f32 v[114:115], v[116:117], v[104:105], v[114:115] op_sel:[0,0,1] op_sel_hi:[1,0,0]
	v_mov_b32_e32 v119, v115
	ds_load_2addr_b64 v[114:117], v108 offset0:25 offset1:26
	v_pk_add_f32 v[56:57], v[56:57], v[118:119] neg_lo:[0,1] neg_hi:[0,1]
	s_wait_dscnt 0x0
	v_pk_mul_f32 v[118:119], v[114:115], v[106:107] op_sel:[0,1]
	s_delay_alu instid0(VALU_DEP_1) | instskip(SKIP_1) | instid1(VALU_DEP_1)
	v_pk_fma_f32 v[120:121], v[114:115], v[104:105], v[118:119] op_sel:[0,0,1] op_sel_hi:[1,1,0] neg_lo:[0,0,1] neg_hi:[0,0,1]
	v_pk_fma_f32 v[114:115], v[114:115], v[104:105], v[118:119] op_sel:[0,0,1] op_sel_hi:[1,0,0]
	v_mov_b32_e32 v121, v115
	v_pk_mul_f32 v[114:115], v[116:117], v[106:107] op_sel:[0,1]
	s_delay_alu instid0(VALU_DEP_2) | instskip(NEXT) | instid1(VALU_DEP_2)
	v_pk_add_f32 v[48:49], v[48:49], v[120:121] neg_lo:[0,1] neg_hi:[0,1]
	v_pk_fma_f32 v[118:119], v[116:117], v[104:105], v[114:115] op_sel:[0,0,1] op_sel_hi:[1,1,0] neg_lo:[0,0,1] neg_hi:[0,0,1]
	v_pk_fma_f32 v[114:115], v[116:117], v[104:105], v[114:115] op_sel:[0,0,1] op_sel_hi:[1,0,0]
	s_delay_alu instid0(VALU_DEP_1) | instskip(SKIP_4) | instid1(VALU_DEP_1)
	v_mov_b32_e32 v119, v115
	ds_load_2addr_b64 v[114:117], v108 offset0:27 offset1:28
	v_pk_add_f32 v[54:55], v[54:55], v[118:119] neg_lo:[0,1] neg_hi:[0,1]
	s_wait_dscnt 0x0
	v_pk_mul_f32 v[118:119], v[114:115], v[106:107] op_sel:[0,1]
	v_pk_fma_f32 v[120:121], v[114:115], v[104:105], v[118:119] op_sel:[0,0,1] op_sel_hi:[1,1,0] neg_lo:[0,0,1] neg_hi:[0,0,1]
	v_pk_fma_f32 v[114:115], v[114:115], v[104:105], v[118:119] op_sel:[0,0,1] op_sel_hi:[1,0,0]
	v_dual_mul_f32 v118, v117, v107 :: v_dual_mov_b32 v114, v117
	s_delay_alu instid0(VALU_DEP_2) | instskip(NEXT) | instid1(VALU_DEP_2)
	v_dual_mov_b32 v121, v115 :: v_dual_mov_b32 v115, v116
	v_pk_fma_f32 v[118:119], v[116:117], v[92:93], v[118:119] op_sel_hi:[1,1,0] neg_lo:[0,0,1] neg_hi:[0,0,1]
	v_mul_f32_e32 v116, v117, v104
	s_delay_alu instid0(VALU_DEP_3) | instskip(NEXT) | instid1(VALU_DEP_2)
	v_pk_add_f32 v[46:47], v[46:47], v[120:121] neg_lo:[0,1] neg_hi:[0,1]
	v_pk_fma_f32 v[114:115], v[114:115], v[92:93], v[116:117] op_sel_hi:[1,1,0]
	s_delay_alu instid0(VALU_DEP_1) | instskip(SKIP_4) | instid1(VALU_DEP_1)
	v_mov_b32_e32 v119, v115
	ds_load_2addr_b64 v[114:117], v108 offset0:29 offset1:30
	v_pk_add_f32 v[44:45], v[44:45], v[118:119] neg_lo:[0,1] neg_hi:[0,1]
	s_wait_dscnt 0x0
	v_pk_mul_f32 v[118:119], v[114:115], v[106:107] op_sel:[0,1]
	v_pk_fma_f32 v[120:121], v[114:115], v[104:105], v[118:119] op_sel:[0,0,1] op_sel_hi:[1,1,0] neg_lo:[0,0,1] neg_hi:[0,0,1]
	v_pk_fma_f32 v[114:115], v[114:115], v[104:105], v[118:119] op_sel:[0,0,1] op_sel_hi:[1,0,0]
	s_delay_alu instid0(VALU_DEP_1) | instskip(SKIP_1) | instid1(VALU_DEP_1)
	v_mov_b32_e32 v121, v115
	v_pk_mul_f32 v[114:115], v[116:117], v[106:107] op_sel:[0,1]
	v_pk_fma_f32 v[118:119], v[116:117], v[104:105], v[114:115] op_sel:[0,0,1] op_sel_hi:[1,1,0] neg_lo:[0,0,1] neg_hi:[0,0,1]
	v_pk_fma_f32 v[114:115], v[116:117], v[104:105], v[114:115] op_sel:[0,0,1] op_sel_hi:[1,0,0]
	s_delay_alu instid0(VALU_DEP_1)
	v_mov_b32_e32 v119, v115
	ds_load_2addr_b64 v[114:117], v108 offset0:31 offset1:32
	v_pk_add_f32 v[40:41], v[40:41], v[120:121] neg_lo:[0,1] neg_hi:[0,1]
	v_pk_add_f32 v[42:43], v[42:43], v[118:119] neg_lo:[0,1] neg_hi:[0,1]
	s_wait_dscnt 0x0
	v_pk_mul_f32 v[118:119], v[114:115], v[106:107] op_sel:[0,1]
	s_delay_alu instid0(VALU_DEP_1) | instskip(SKIP_1) | instid1(VALU_DEP_1)
	v_pk_fma_f32 v[120:121], v[114:115], v[104:105], v[118:119] op_sel:[0,0,1] op_sel_hi:[1,1,0] neg_lo:[0,0,1] neg_hi:[0,0,1]
	v_pk_fma_f32 v[114:115], v[114:115], v[104:105], v[118:119] op_sel:[0,0,1] op_sel_hi:[1,0,0]
	v_mov_b32_e32 v121, v115
	v_pk_mul_f32 v[114:115], v[116:117], v[106:107] op_sel:[0,1]
	s_delay_alu instid0(VALU_DEP_1) | instskip(SKIP_1) | instid1(VALU_DEP_1)
	v_pk_fma_f32 v[118:119], v[116:117], v[104:105], v[114:115] op_sel:[0,0,1] op_sel_hi:[1,1,0] neg_lo:[0,0,1] neg_hi:[0,0,1]
	v_pk_fma_f32 v[114:115], v[116:117], v[104:105], v[114:115] op_sel:[0,0,1] op_sel_hi:[1,0,0]
	v_mov_b32_e32 v119, v115
	ds_load_2addr_b64 v[114:117], v108 offset0:33 offset1:34
	v_pk_add_f32 v[38:39], v[38:39], v[120:121] neg_lo:[0,1] neg_hi:[0,1]
	v_pk_add_f32 v[36:37], v[36:37], v[118:119] neg_lo:[0,1] neg_hi:[0,1]
	s_wait_dscnt 0x0
	v_dual_mul_f32 v118, v115, v107 :: v_dual_mul_f32 v120, v115, v104
	s_delay_alu instid0(VALU_DEP_1) | instskip(NEXT) | instid1(VALU_DEP_2)
	v_pk_fma_f32 v[118:119], v[114:115], v[92:93], v[118:119] op_sel_hi:[1,1,0] neg_lo:[0,0,1] neg_hi:[0,0,1]
	v_pk_fma_f32 v[114:115], v[114:115], v[92:93], v[120:121] op_sel:[1,0,0] op_sel_hi:[0,1,0]
	s_delay_alu instid0(VALU_DEP_1) | instskip(SKIP_1) | instid1(VALU_DEP_2)
	v_mov_b32_e32 v119, v115
	v_pk_mul_f32 v[114:115], v[116:117], v[106:107] op_sel:[0,1]
	v_pk_add_f32 v[32:33], v[32:33], v[118:119] neg_lo:[0,1] neg_hi:[0,1]
	s_delay_alu instid0(VALU_DEP_2) | instskip(SKIP_1) | instid1(VALU_DEP_1)
	v_pk_fma_f32 v[118:119], v[116:117], v[104:105], v[114:115] op_sel:[0,0,1] op_sel_hi:[1,1,0] neg_lo:[0,0,1] neg_hi:[0,0,1]
	v_pk_fma_f32 v[114:115], v[116:117], v[104:105], v[114:115] op_sel:[0,0,1] op_sel_hi:[1,0,0]
	v_mov_b32_e32 v119, v115
	ds_load_2addr_b64 v[114:117], v108 offset0:35 offset1:36
	v_pk_add_f32 v[34:35], v[34:35], v[118:119] neg_lo:[0,1] neg_hi:[0,1]
	s_wait_dscnt 0x0
	v_pk_mul_f32 v[118:119], v[114:115], v[106:107] op_sel:[0,1]
	s_delay_alu instid0(VALU_DEP_1) | instskip(SKIP_1) | instid1(VALU_DEP_1)
	v_pk_fma_f32 v[120:121], v[114:115], v[104:105], v[118:119] op_sel:[0,0,1] op_sel_hi:[1,1,0] neg_lo:[0,0,1] neg_hi:[0,0,1]
	v_pk_fma_f32 v[114:115], v[114:115], v[104:105], v[118:119] op_sel:[0,0,1] op_sel_hi:[1,0,0]
	v_mov_b32_e32 v121, v115
	v_pk_mul_f32 v[114:115], v[116:117], v[106:107] op_sel:[0,1]
	s_delay_alu instid0(VALU_DEP_2) | instskip(NEXT) | instid1(VALU_DEP_2)
	v_pk_add_f32 v[30:31], v[30:31], v[120:121] neg_lo:[0,1] neg_hi:[0,1]
	v_pk_fma_f32 v[118:119], v[116:117], v[104:105], v[114:115] op_sel:[0,0,1] op_sel_hi:[1,1,0] neg_lo:[0,0,1] neg_hi:[0,0,1]
	v_pk_fma_f32 v[114:115], v[116:117], v[104:105], v[114:115] op_sel:[0,0,1] op_sel_hi:[1,0,0]
	s_delay_alu instid0(VALU_DEP_1) | instskip(SKIP_4) | instid1(VALU_DEP_1)
	v_mov_b32_e32 v119, v115
	ds_load_2addr_b64 v[114:117], v108 offset0:37 offset1:38
	v_pk_add_f32 v[26:27], v[26:27], v[118:119] neg_lo:[0,1] neg_hi:[0,1]
	s_wait_dscnt 0x0
	v_pk_mul_f32 v[118:119], v[114:115], v[106:107] op_sel:[0,1]
	v_pk_fma_f32 v[120:121], v[114:115], v[104:105], v[118:119] op_sel:[0,0,1] op_sel_hi:[1,1,0] neg_lo:[0,0,1] neg_hi:[0,0,1]
	v_pk_fma_f32 v[114:115], v[114:115], v[104:105], v[118:119] op_sel:[0,0,1] op_sel_hi:[1,0,0]
	v_dual_mul_f32 v118, v117, v107 :: v_dual_mov_b32 v114, v117
	s_delay_alu instid0(VALU_DEP_2) | instskip(NEXT) | instid1(VALU_DEP_2)
	v_dual_mov_b32 v121, v115 :: v_dual_mov_b32 v115, v116
	v_pk_fma_f32 v[118:119], v[116:117], v[92:93], v[118:119] op_sel_hi:[1,1,0] neg_lo:[0,0,1] neg_hi:[0,0,1]
	v_mul_f32_e32 v116, v117, v104
	s_delay_alu instid0(VALU_DEP_3) | instskip(NEXT) | instid1(VALU_DEP_2)
	v_pk_add_f32 v[22:23], v[22:23], v[120:121] neg_lo:[0,1] neg_hi:[0,1]
	v_pk_fma_f32 v[114:115], v[114:115], v[92:93], v[116:117] op_sel_hi:[1,1,0]
	s_delay_alu instid0(VALU_DEP_1) | instskip(SKIP_4) | instid1(VALU_DEP_1)
	v_mov_b32_e32 v119, v115
	ds_load_2addr_b64 v[114:117], v108 offset0:39 offset1:40
	v_pk_add_f32 v[24:25], v[24:25], v[118:119] neg_lo:[0,1] neg_hi:[0,1]
	s_wait_dscnt 0x0
	v_pk_mul_f32 v[118:119], v[114:115], v[106:107] op_sel:[0,1]
	v_pk_fma_f32 v[120:121], v[114:115], v[104:105], v[118:119] op_sel:[0,0,1] op_sel_hi:[1,1,0] neg_lo:[0,0,1] neg_hi:[0,0,1]
	v_pk_fma_f32 v[114:115], v[114:115], v[104:105], v[118:119] op_sel:[0,0,1] op_sel_hi:[1,0,0]
	s_delay_alu instid0(VALU_DEP_1) | instskip(SKIP_1) | instid1(VALU_DEP_1)
	v_mov_b32_e32 v121, v115
	v_pk_mul_f32 v[114:115], v[116:117], v[106:107] op_sel:[0,1]
	v_pk_fma_f32 v[118:119], v[116:117], v[104:105], v[114:115] op_sel:[0,0,1] op_sel_hi:[1,1,0] neg_lo:[0,0,1] neg_hi:[0,0,1]
	v_pk_fma_f32 v[114:115], v[116:117], v[104:105], v[114:115] op_sel:[0,0,1] op_sel_hi:[1,0,0]
	s_delay_alu instid0(VALU_DEP_1)
	v_mov_b32_e32 v119, v115
	ds_load_2addr_b64 v[114:117], v108 offset0:41 offset1:42
	v_pk_add_f32 v[20:21], v[20:21], v[120:121] neg_lo:[0,1] neg_hi:[0,1]
	v_pk_add_f32 v[14:15], v[14:15], v[118:119] neg_lo:[0,1] neg_hi:[0,1]
	s_wait_dscnt 0x0
	v_pk_mul_f32 v[118:119], v[114:115], v[106:107] op_sel:[0,1]
	s_delay_alu instid0(VALU_DEP_1) | instskip(SKIP_1) | instid1(VALU_DEP_1)
	v_pk_fma_f32 v[120:121], v[114:115], v[104:105], v[118:119] op_sel:[0,0,1] op_sel_hi:[1,1,0] neg_lo:[0,0,1] neg_hi:[0,0,1]
	v_pk_fma_f32 v[114:115], v[114:115], v[104:105], v[118:119] op_sel:[0,0,1] op_sel_hi:[1,0,0]
	v_mov_b32_e32 v121, v115
	v_pk_mul_f32 v[114:115], v[116:117], v[106:107] op_sel:[0,1]
	s_delay_alu instid0(VALU_DEP_1) | instskip(SKIP_1) | instid1(VALU_DEP_1)
	v_pk_fma_f32 v[118:119], v[116:117], v[104:105], v[114:115] op_sel:[0,0,1] op_sel_hi:[1,1,0] neg_lo:[0,0,1] neg_hi:[0,0,1]
	v_pk_fma_f32 v[114:115], v[116:117], v[104:105], v[114:115] op_sel:[0,0,1] op_sel_hi:[1,0,0]
	v_mov_b32_e32 v119, v115
	ds_load_2addr_b64 v[114:117], v108 offset0:43 offset1:44
	v_pk_add_f32 v[10:11], v[10:11], v[120:121] neg_lo:[0,1] neg_hi:[0,1]
	v_pk_add_f32 v[12:13], v[12:13], v[118:119] neg_lo:[0,1] neg_hi:[0,1]
	s_wait_dscnt 0x0
	v_dual_mul_f32 v118, v115, v107 :: v_dual_mul_f32 v120, v115, v104
	s_delay_alu instid0(VALU_DEP_1) | instskip(NEXT) | instid1(VALU_DEP_2)
	v_pk_fma_f32 v[118:119], v[114:115], v[92:93], v[118:119] op_sel_hi:[1,1,0] neg_lo:[0,0,1] neg_hi:[0,0,1]
	v_pk_fma_f32 v[114:115], v[114:115], v[92:93], v[120:121] op_sel:[1,0,0] op_sel_hi:[0,1,0]
	s_delay_alu instid0(VALU_DEP_1) | instskip(SKIP_1) | instid1(VALU_DEP_2)
	v_mov_b32_e32 v119, v115
	v_pk_mul_f32 v[114:115], v[116:117], v[106:107] op_sel:[0,1]
	v_pk_add_f32 v[8:9], v[8:9], v[118:119] neg_lo:[0,1] neg_hi:[0,1]
	s_delay_alu instid0(VALU_DEP_2) | instskip(SKIP_1) | instid1(VALU_DEP_1)
	v_pk_fma_f32 v[118:119], v[116:117], v[104:105], v[114:115] op_sel:[0,0,1] op_sel_hi:[1,1,0] neg_lo:[0,0,1] neg_hi:[0,0,1]
	v_pk_fma_f32 v[114:115], v[116:117], v[104:105], v[114:115] op_sel:[0,0,1] op_sel_hi:[1,0,0]
	v_mov_b32_e32 v119, v115
	ds_load_2addr_b64 v[114:117], v108 offset0:45 offset1:46
	v_pk_add_f32 v[6:7], v[6:7], v[118:119] neg_lo:[0,1] neg_hi:[0,1]
	s_wait_dscnt 0x0
	v_pk_mul_f32 v[118:119], v[114:115], v[106:107] op_sel:[0,1]
	s_delay_alu instid0(VALU_DEP_1) | instskip(SKIP_1) | instid1(VALU_DEP_1)
	v_pk_fma_f32 v[120:121], v[114:115], v[104:105], v[118:119] op_sel:[0,0,1] op_sel_hi:[1,1,0] neg_lo:[0,0,1] neg_hi:[0,0,1]
	v_pk_fma_f32 v[114:115], v[114:115], v[104:105], v[118:119] op_sel:[0,0,1] op_sel_hi:[1,0,0]
	v_mov_b32_e32 v121, v115
	v_pk_mul_f32 v[114:115], v[116:117], v[106:107] op_sel:[0,1]
	s_delay_alu instid0(VALU_DEP_2) | instskip(NEXT) | instid1(VALU_DEP_2)
	v_pk_add_f32 v[28:29], v[28:29], v[120:121] neg_lo:[0,1] neg_hi:[0,1]
	v_pk_fma_f32 v[118:119], v[116:117], v[104:105], v[114:115] op_sel:[0,0,1] op_sel_hi:[1,1,0] neg_lo:[0,0,1] neg_hi:[0,0,1]
	v_pk_fma_f32 v[114:115], v[116:117], v[104:105], v[114:115] op_sel:[0,0,1] op_sel_hi:[1,0,0]
	s_delay_alu instid0(VALU_DEP_1)
	v_mov_b32_e32 v119, v115
	ds_load_2addr_b64 v[114:117], v108 offset0:47 offset1:48
	v_pk_add_f32 v[18:19], v[18:19], v[118:119] neg_lo:[0,1] neg_hi:[0,1]
	s_wait_dscnt 0x0
	v_pk_mul_f32 v[118:119], v[114:115], v[106:107] op_sel:[0,1]
	v_pk_mul_f32 v[106:107], v[116:117], v[106:107] op_sel:[0,1]
	s_delay_alu instid0(VALU_DEP_2) | instskip(SKIP_1) | instid1(VALU_DEP_1)
	v_pk_fma_f32 v[120:121], v[114:115], v[104:105], v[118:119] op_sel:[0,0,1] op_sel_hi:[1,1,0] neg_lo:[0,0,1] neg_hi:[0,0,1]
	v_pk_fma_f32 v[114:115], v[114:115], v[104:105], v[118:119] op_sel:[0,0,1] op_sel_hi:[1,0,0]
	v_mov_b32_e32 v121, v115
	s_delay_alu instid0(VALU_DEP_4) | instskip(SKIP_1) | instid1(VALU_DEP_3)
	v_pk_fma_f32 v[114:115], v[116:117], v[104:105], v[106:107] op_sel:[0,0,1] op_sel_hi:[1,1,0] neg_lo:[0,0,1] neg_hi:[0,0,1]
	v_pk_fma_f32 v[104:105], v[116:117], v[104:105], v[106:107] op_sel:[0,0,1] op_sel_hi:[1,0,0]
	v_pk_add_f32 v[16:17], v[16:17], v[120:121] neg_lo:[0,1] neg_hi:[0,1]
	s_delay_alu instid0(VALU_DEP_2) | instskip(NEXT) | instid1(VALU_DEP_1)
	v_mov_b32_e32 v115, v105
	v_pk_add_f32 v[102:103], v[102:103], v[114:115] neg_lo:[0,1] neg_hi:[0,1]
.LBB96_104:
	s_or_b32 exec_lo, exec_lo, s0
	v_lshl_add_u32 v104, v112, 3, v108
	s_barrier_signal -1
	s_barrier_wait -1
	ds_store_b64 v104, v[52:53]
	s_wait_dscnt 0x0
	s_barrier_signal -1
	s_barrier_wait -1
	ds_load_b64 v[106:107], v108 offset:40
	v_mov_b32_e32 v104, 5
	s_cmp_lt_i32 s18, 7
	s_cbranch_scc1 .LBB96_107
; %bb.105:
	v_add3_u32 v105, v109, 0, 48
	v_mov_b32_e32 v104, 5
	s_mov_b32 s0, 6
.LBB96_106:                             ; =>This Inner Loop Header: Depth=1
	ds_load_b64 v[114:115], v105
	s_wait_dscnt 0x1
	v_cmp_gt_f32_e32 vcc_lo, 0, v106
	v_cndmask_b32_e64 v116, v106, -v106, vcc_lo
	v_cmp_gt_f32_e32 vcc_lo, 0, v107
	v_cndmask_b32_e64 v118, v107, -v107, vcc_lo
	s_wait_dscnt 0x0
	v_cmp_gt_f32_e32 vcc_lo, 0, v114
	v_cndmask_b32_e64 v117, v114, -v114, vcc_lo
	v_cmp_gt_f32_e32 vcc_lo, 0, v115
	v_cndmask_b32_e64 v119, v115, -v115, vcc_lo
	s_delay_alu instid0(VALU_DEP_1) | instskip(NEXT) | instid1(VALU_DEP_1)
	v_pk_add_f32 v[116:117], v[116:117], v[118:119]
	v_cmp_lt_f32_e32 vcc_lo, v116, v117
	v_dual_add_nc_u32 v105, 8, v105 :: v_dual_cndmask_b32 v107, v107, v115, vcc_lo
	v_cndmask_b32_e32 v106, v106, v114, vcc_lo
	v_cndmask_b32_e64 v104, v104, s0, vcc_lo
	s_add_co_i32 s0, s0, 1
	s_delay_alu instid0(SALU_CYCLE_1)
	s_cmp_lg_u32 s18, s0
	s_cbranch_scc1 .LBB96_106
.LBB96_107:
	s_wait_dscnt 0x0
	v_cmp_eq_f32_e32 vcc_lo, 0, v106
	v_cmp_eq_f32_e64 s0, 0, v107
	s_and_b32 s0, vcc_lo, s0
	s_delay_alu instid0(SALU_CYCLE_1) | instskip(NEXT) | instid1(SALU_CYCLE_1)
	s_and_saveexec_b32 s1, s0
	s_xor_b32 s0, exec_lo, s1
; %bb.108:
	v_cmp_ne_u32_e32 vcc_lo, 0, v110
	v_cndmask_b32_e32 v110, 6, v110, vcc_lo
; %bb.109:
	s_and_not1_saveexec_b32 s0, s0
	s_cbranch_execz .LBB96_115
; %bb.110:
	v_cmp_ngt_f32_e64 s1, |v106|, |v107|
	s_and_saveexec_b32 s12, s1
	s_delay_alu instid0(SALU_CYCLE_1)
	s_xor_b32 s1, exec_lo, s12
	s_cbranch_execz .LBB96_112
; %bb.111:
	v_div_scale_f32 v105, null, v107, v107, v106
	v_div_scale_f32 v115, vcc_lo, v106, v107, v106
	s_delay_alu instid0(VALU_DEP_2) | instskip(SKIP_1) | instid1(TRANS32_DEP_1)
	v_rcp_f32_e32 v113, v105
	v_nop
	v_fma_f32 v114, -v105, v113, 1.0
	s_delay_alu instid0(VALU_DEP_1) | instskip(NEXT) | instid1(VALU_DEP_1)
	v_fmac_f32_e32 v113, v114, v113
	v_mul_f32_e32 v114, v115, v113
	s_delay_alu instid0(VALU_DEP_1) | instskip(NEXT) | instid1(VALU_DEP_1)
	v_fma_f32 v116, -v105, v114, v115
	v_fmac_f32_e32 v114, v116, v113
	s_delay_alu instid0(VALU_DEP_1) | instskip(NEXT) | instid1(VALU_DEP_1)
	v_fma_f32 v105, -v105, v114, v115
	v_div_fmas_f32 v105, v105, v113, v114
	s_delay_alu instid0(VALU_DEP_1) | instskip(NEXT) | instid1(VALU_DEP_1)
	v_div_fixup_f32 v105, v105, v107, v106
	v_fmac_f32_e32 v107, v106, v105
	s_delay_alu instid0(VALU_DEP_1) | instskip(SKIP_1) | instid1(VALU_DEP_2)
	v_div_scale_f32 v106, null, v107, v107, 1.0
	v_div_scale_f32 v115, vcc_lo, 1.0, v107, 1.0
	v_rcp_f32_e32 v113, v106
	v_nop
	s_delay_alu instid0(TRANS32_DEP_1) | instskip(NEXT) | instid1(VALU_DEP_1)
	v_fma_f32 v114, -v106, v113, 1.0
	v_fmac_f32_e32 v113, v114, v113
	s_delay_alu instid0(VALU_DEP_1) | instskip(NEXT) | instid1(VALU_DEP_1)
	v_mul_f32_e32 v114, v115, v113
	v_fma_f32 v116, -v106, v114, v115
	s_delay_alu instid0(VALU_DEP_1) | instskip(NEXT) | instid1(VALU_DEP_1)
	v_fmac_f32_e32 v114, v116, v113
	v_fma_f32 v106, -v106, v114, v115
	s_delay_alu instid0(VALU_DEP_1) | instskip(NEXT) | instid1(VALU_DEP_1)
	v_div_fmas_f32 v106, v106, v113, v114
	v_div_fixup_f32 v107, v106, v107, 1.0
	s_delay_alu instid0(VALU_DEP_1)
	v_mul_f32_e32 v106, v105, v107
	v_xor_b32_e32 v107, 0x80000000, v107
.LBB96_112:
	s_and_not1_saveexec_b32 s1, s1
	s_cbranch_execz .LBB96_114
; %bb.113:
	s_delay_alu instid0(VALU_DEP_1) | instskip(SKIP_1) | instid1(VALU_DEP_2)
	v_div_scale_f32 v105, null, v106, v106, v107
	v_div_scale_f32 v115, vcc_lo, v107, v106, v107
	v_rcp_f32_e32 v113, v105
	v_nop
	s_delay_alu instid0(TRANS32_DEP_1) | instskip(NEXT) | instid1(VALU_DEP_1)
	v_fma_f32 v114, -v105, v113, 1.0
	v_fmac_f32_e32 v113, v114, v113
	s_delay_alu instid0(VALU_DEP_1) | instskip(NEXT) | instid1(VALU_DEP_1)
	v_mul_f32_e32 v114, v115, v113
	v_fma_f32 v116, -v105, v114, v115
	s_delay_alu instid0(VALU_DEP_1) | instskip(NEXT) | instid1(VALU_DEP_1)
	v_fmac_f32_e32 v114, v116, v113
	v_fma_f32 v105, -v105, v114, v115
	s_delay_alu instid0(VALU_DEP_1) | instskip(NEXT) | instid1(VALU_DEP_1)
	v_div_fmas_f32 v105, v105, v113, v114
	v_div_fixup_f32 v105, v105, v106, v107
	s_delay_alu instid0(VALU_DEP_1) | instskip(NEXT) | instid1(VALU_DEP_1)
	v_fmac_f32_e32 v106, v107, v105
	v_div_scale_f32 v107, null, v106, v106, 1.0
	s_delay_alu instid0(VALU_DEP_1) | instskip(SKIP_1) | instid1(TRANS32_DEP_1)
	v_rcp_f32_e32 v113, v107
	v_nop
	v_fma_f32 v114, -v107, v113, 1.0
	s_delay_alu instid0(VALU_DEP_1) | instskip(SKIP_1) | instid1(VALU_DEP_1)
	v_fmac_f32_e32 v113, v114, v113
	v_div_scale_f32 v114, vcc_lo, 1.0, v106, 1.0
	v_mul_f32_e32 v115, v114, v113
	s_delay_alu instid0(VALU_DEP_1) | instskip(NEXT) | instid1(VALU_DEP_1)
	v_fma_f32 v116, -v107, v115, v114
	v_fmac_f32_e32 v115, v116, v113
	s_delay_alu instid0(VALU_DEP_1) | instskip(NEXT) | instid1(VALU_DEP_1)
	v_fma_f32 v107, -v107, v115, v114
	v_div_fmas_f32 v107, v107, v113, v115
	s_delay_alu instid0(VALU_DEP_1) | instskip(NEXT) | instid1(VALU_DEP_1)
	v_div_fixup_f32 v106, v107, v106, 1.0
	v_mul_f32_e64 v107, v105, -v106
.LBB96_114:
	s_or_b32 exec_lo, exec_lo, s1
.LBB96_115:
	s_delay_alu instid0(SALU_CYCLE_1) | instskip(NEXT) | instid1(SALU_CYCLE_1)
	s_or_b32 exec_lo, exec_lo, s0
	s_mov_b32 s0, exec_lo
	v_cmpx_ne_u32_e64 v112, v104
	s_xor_b32 s0, exec_lo, s0
	s_cbranch_execz .LBB96_121
; %bb.116:
	s_mov_b32 s1, exec_lo
	v_cmpx_eq_u32_e32 5, v112
	s_cbranch_execz .LBB96_120
; %bb.117:
	v_cmp_ne_u32_e32 vcc_lo, 5, v104
	s_xor_b32 s12, s16, -1
	s_delay_alu instid0(SALU_CYCLE_1) | instskip(NEXT) | instid1(SALU_CYCLE_1)
	s_and_b32 s13, s12, vcc_lo
	s_and_saveexec_b32 s12, s13
	s_cbranch_execz .LBB96_119
; %bb.118:
	v_ashrrev_i32_e32 v105, 31, v104
	s_delay_alu instid0(VALU_DEP_1)
	v_lshl_add_u64 v[112:113], v[104:105], 2, v[4:5]
	s_clause 0x1
	global_load_b32 v105, v[112:113], off
	global_load_b32 v111, v[4:5], off offset:20
	s_wait_loadcnt 0x1
	global_store_b32 v[4:5], v105, off offset:20
	s_wait_loadcnt 0x0
	global_store_b32 v[112:113], v111, off
.LBB96_119:
	s_wait_xcnt 0x0
	s_or_b32 exec_lo, exec_lo, s12
	v_dual_mov_b32 v112, v104 :: v_dual_mov_b32 v111, v104
.LBB96_120:
	s_or_b32 exec_lo, exec_lo, s1
.LBB96_121:
	s_and_not1_saveexec_b32 s0, s0
	s_cbranch_execz .LBB96_123
; %bb.122:
	v_dual_mov_b32 v104, v58 :: v_dual_mov_b32 v105, v59
	v_dual_mov_b32 v112, v50 :: v_dual_mov_b32 v113, v51
	ds_store_2addr_b64 v108, v[104:105], v[112:113] offset0:6 offset1:7
	v_dual_mov_b32 v104, v66 :: v_dual_mov_b32 v105, v67
	v_dual_mov_b32 v112, v62 :: v_dual_mov_b32 v113, v63
	ds_store_2addr_b64 v108, v[104:105], v[112:113] offset0:8 offset1:9
	;; [unrolled: 3-line block ×21, first 2 shown]
	ds_store_b64 v108, v[102:103] offset:384
	v_mov_b32_e32 v112, 5
.LBB96_123:
	s_or_b32 exec_lo, exec_lo, s0
	s_delay_alu instid0(SALU_CYCLE_1)
	s_mov_b32 s0, exec_lo
	s_wait_storecnt_dscnt 0x0
	s_barrier_signal -1
	s_barrier_wait -1
	v_cmpx_lt_i32_e32 5, v112
	s_cbranch_execz .LBB96_125
; %bb.124:
	v_pk_mul_f32 v[114:115], v[106:107], v[52:53] op_sel:[1,1] op_sel_hi:[0,1]
	s_delay_alu instid0(VALU_DEP_1)
	v_pk_fma_f32 v[104:105], v[106:107], v[52:53], v[114:115] op_sel_hi:[1,0,1] neg_lo:[0,0,1] neg_hi:[0,0,1]
	v_pk_fma_f32 v[106:107], v[106:107], v[52:53], v[114:115] op_sel_hi:[1,0,1]
	ds_load_2addr_b64 v[114:117], v108 offset0:6 offset1:7
	v_dual_mov_b32 v52, v104 :: v_dual_mov_b32 v53, v107
	s_wait_dscnt 0x0
	v_pk_mul_f32 v[118:119], v[114:115], v[106:107] op_sel:[0,1]
	s_delay_alu instid0(VALU_DEP_1) | instskip(SKIP_1) | instid1(VALU_DEP_1)
	v_pk_fma_f32 v[120:121], v[114:115], v[104:105], v[118:119] op_sel:[0,0,1] op_sel_hi:[1,1,0] neg_lo:[0,0,1] neg_hi:[0,0,1]
	v_pk_fma_f32 v[114:115], v[114:115], v[104:105], v[118:119] op_sel:[0,0,1] op_sel_hi:[1,0,0]
	v_mov_b32_e32 v121, v115
	v_pk_mul_f32 v[114:115], v[116:117], v[106:107] op_sel:[0,1]
	s_delay_alu instid0(VALU_DEP_1) | instskip(SKIP_1) | instid1(VALU_DEP_1)
	v_pk_fma_f32 v[118:119], v[116:117], v[104:105], v[114:115] op_sel:[0,0,1] op_sel_hi:[1,1,0] neg_lo:[0,0,1] neg_hi:[0,0,1]
	v_pk_fma_f32 v[114:115], v[116:117], v[104:105], v[114:115] op_sel:[0,0,1] op_sel_hi:[1,0,0]
	v_mov_b32_e32 v119, v115
	ds_load_2addr_b64 v[114:117], v108 offset0:8 offset1:9
	v_pk_add_f32 v[58:59], v[58:59], v[120:121] neg_lo:[0,1] neg_hi:[0,1]
	v_pk_add_f32 v[50:51], v[50:51], v[118:119] neg_lo:[0,1] neg_hi:[0,1]
	s_wait_dscnt 0x0
	v_pk_mul_f32 v[118:119], v[114:115], v[106:107] op_sel:[0,1]
	s_delay_alu instid0(VALU_DEP_1) | instskip(SKIP_2) | instid1(VALU_DEP_2)
	v_pk_fma_f32 v[120:121], v[114:115], v[104:105], v[118:119] op_sel:[0,0,1] op_sel_hi:[1,1,0] neg_lo:[0,0,1] neg_hi:[0,0,1]
	v_pk_fma_f32 v[114:115], v[114:115], v[104:105], v[118:119] op_sel:[0,0,1] op_sel_hi:[1,0,0]
	v_dual_mul_f32 v118, v117, v107 :: v_dual_mov_b32 v114, v117
	v_dual_mov_b32 v121, v115 :: v_dual_mov_b32 v115, v116
	s_delay_alu instid0(VALU_DEP_2) | instskip(SKIP_1) | instid1(VALU_DEP_3)
	v_pk_fma_f32 v[118:119], v[116:117], v[52:53], v[118:119] op_sel_hi:[1,1,0] neg_lo:[0,0,1] neg_hi:[0,0,1]
	v_mul_f32_e32 v116, v117, v104
	v_pk_add_f32 v[66:67], v[66:67], v[120:121] neg_lo:[0,1] neg_hi:[0,1]
	s_delay_alu instid0(VALU_DEP_2) | instskip(NEXT) | instid1(VALU_DEP_1)
	v_pk_fma_f32 v[114:115], v[114:115], v[52:53], v[116:117] op_sel_hi:[1,1,0]
	v_mov_b32_e32 v119, v115
	ds_load_2addr_b64 v[114:117], v108 offset0:10 offset1:11
	v_pk_add_f32 v[62:63], v[62:63], v[118:119] neg_lo:[0,1] neg_hi:[0,1]
	s_wait_dscnt 0x0
	v_pk_mul_f32 v[118:119], v[114:115], v[106:107] op_sel:[0,1]
	s_delay_alu instid0(VALU_DEP_1) | instskip(SKIP_1) | instid1(VALU_DEP_1)
	v_pk_fma_f32 v[120:121], v[114:115], v[104:105], v[118:119] op_sel:[0,0,1] op_sel_hi:[1,1,0] neg_lo:[0,0,1] neg_hi:[0,0,1]
	v_pk_fma_f32 v[114:115], v[114:115], v[104:105], v[118:119] op_sel:[0,0,1] op_sel_hi:[1,0,0]
	v_mov_b32_e32 v121, v115
	v_pk_mul_f32 v[114:115], v[116:117], v[106:107] op_sel:[0,1]
	s_delay_alu instid0(VALU_DEP_1) | instskip(SKIP_1) | instid1(VALU_DEP_1)
	v_pk_fma_f32 v[118:119], v[116:117], v[104:105], v[114:115] op_sel:[0,0,1] op_sel_hi:[1,1,0] neg_lo:[0,0,1] neg_hi:[0,0,1]
	v_pk_fma_f32 v[114:115], v[116:117], v[104:105], v[114:115] op_sel:[0,0,1] op_sel_hi:[1,0,0]
	v_mov_b32_e32 v119, v115
	ds_load_2addr_b64 v[114:117], v108 offset0:12 offset1:13
	v_pk_add_f32 v[64:65], v[64:65], v[120:121] neg_lo:[0,1] neg_hi:[0,1]
	v_pk_add_f32 v[60:61], v[60:61], v[118:119] neg_lo:[0,1] neg_hi:[0,1]
	s_wait_dscnt 0x0
	v_pk_mul_f32 v[118:119], v[114:115], v[106:107] op_sel:[0,1]
	s_delay_alu instid0(VALU_DEP_1) | instskip(SKIP_1) | instid1(VALU_DEP_1)
	v_pk_fma_f32 v[120:121], v[114:115], v[104:105], v[118:119] op_sel:[0,0,1] op_sel_hi:[1,1,0] neg_lo:[0,0,1] neg_hi:[0,0,1]
	v_pk_fma_f32 v[114:115], v[114:115], v[104:105], v[118:119] op_sel:[0,0,1] op_sel_hi:[1,0,0]
	v_mov_b32_e32 v121, v115
	v_pk_mul_f32 v[114:115], v[116:117], v[106:107] op_sel:[0,1]
	s_delay_alu instid0(VALU_DEP_1) | instskip(SKIP_1) | instid1(VALU_DEP_1)
	v_pk_fma_f32 v[118:119], v[116:117], v[104:105], v[114:115] op_sel:[0,0,1] op_sel_hi:[1,1,0] neg_lo:[0,0,1] neg_hi:[0,0,1]
	v_pk_fma_f32 v[114:115], v[116:117], v[104:105], v[114:115] op_sel:[0,0,1] op_sel_hi:[1,0,0]
	v_mov_b32_e32 v119, v115
	ds_load_2addr_b64 v[114:117], v108 offset0:14 offset1:15
	v_pk_add_f32 v[90:91], v[90:91], v[120:121] neg_lo:[0,1] neg_hi:[0,1]
	v_pk_add_f32 v[86:87], v[86:87], v[118:119] neg_lo:[0,1] neg_hi:[0,1]
	s_wait_dscnt 0x0
	v_dual_mul_f32 v118, v115, v107 :: v_dual_mul_f32 v120, v115, v104
	s_delay_alu instid0(VALU_DEP_1) | instskip(NEXT) | instid1(VALU_DEP_2)
	v_pk_fma_f32 v[118:119], v[114:115], v[52:53], v[118:119] op_sel_hi:[1,1,0] neg_lo:[0,0,1] neg_hi:[0,0,1]
	v_pk_fma_f32 v[114:115], v[114:115], v[52:53], v[120:121] op_sel:[1,0,0] op_sel_hi:[0,1,0]
	s_delay_alu instid0(VALU_DEP_1) | instskip(SKIP_1) | instid1(VALU_DEP_2)
	v_mov_b32_e32 v119, v115
	v_pk_mul_f32 v[114:115], v[116:117], v[106:107] op_sel:[0,1]
	v_pk_add_f32 v[88:89], v[88:89], v[118:119] neg_lo:[0,1] neg_hi:[0,1]
	s_delay_alu instid0(VALU_DEP_2) | instskip(SKIP_1) | instid1(VALU_DEP_1)
	v_pk_fma_f32 v[118:119], v[116:117], v[104:105], v[114:115] op_sel:[0,0,1] op_sel_hi:[1,1,0] neg_lo:[0,0,1] neg_hi:[0,0,1]
	v_pk_fma_f32 v[114:115], v[116:117], v[104:105], v[114:115] op_sel:[0,0,1] op_sel_hi:[1,0,0]
	v_mov_b32_e32 v119, v115
	ds_load_2addr_b64 v[114:117], v108 offset0:16 offset1:17
	v_pk_add_f32 v[84:85], v[84:85], v[118:119] neg_lo:[0,1] neg_hi:[0,1]
	s_wait_dscnt 0x0
	v_pk_mul_f32 v[118:119], v[114:115], v[106:107] op_sel:[0,1]
	s_delay_alu instid0(VALU_DEP_1) | instskip(SKIP_1) | instid1(VALU_DEP_1)
	v_pk_fma_f32 v[120:121], v[114:115], v[104:105], v[118:119] op_sel:[0,0,1] op_sel_hi:[1,1,0] neg_lo:[0,0,1] neg_hi:[0,0,1]
	v_pk_fma_f32 v[114:115], v[114:115], v[104:105], v[118:119] op_sel:[0,0,1] op_sel_hi:[1,0,0]
	v_mov_b32_e32 v121, v115
	v_pk_mul_f32 v[114:115], v[116:117], v[106:107] op_sel:[0,1]
	s_delay_alu instid0(VALU_DEP_2) | instskip(NEXT) | instid1(VALU_DEP_2)
	v_pk_add_f32 v[82:83], v[82:83], v[120:121] neg_lo:[0,1] neg_hi:[0,1]
	v_pk_fma_f32 v[118:119], v[116:117], v[104:105], v[114:115] op_sel:[0,0,1] op_sel_hi:[1,1,0] neg_lo:[0,0,1] neg_hi:[0,0,1]
	v_pk_fma_f32 v[114:115], v[116:117], v[104:105], v[114:115] op_sel:[0,0,1] op_sel_hi:[1,0,0]
	s_delay_alu instid0(VALU_DEP_1) | instskip(SKIP_4) | instid1(VALU_DEP_1)
	v_mov_b32_e32 v119, v115
	ds_load_2addr_b64 v[114:117], v108 offset0:18 offset1:19
	v_pk_add_f32 v[78:79], v[78:79], v[118:119] neg_lo:[0,1] neg_hi:[0,1]
	s_wait_dscnt 0x0
	v_pk_mul_f32 v[118:119], v[114:115], v[106:107] op_sel:[0,1]
	v_pk_fma_f32 v[120:121], v[114:115], v[104:105], v[118:119] op_sel:[0,0,1] op_sel_hi:[1,1,0] neg_lo:[0,0,1] neg_hi:[0,0,1]
	v_pk_fma_f32 v[114:115], v[114:115], v[104:105], v[118:119] op_sel:[0,0,1] op_sel_hi:[1,0,0]
	v_dual_mul_f32 v118, v117, v107 :: v_dual_mov_b32 v114, v117
	s_delay_alu instid0(VALU_DEP_2) | instskip(NEXT) | instid1(VALU_DEP_2)
	v_dual_mov_b32 v121, v115 :: v_dual_mov_b32 v115, v116
	v_pk_fma_f32 v[118:119], v[116:117], v[52:53], v[118:119] op_sel_hi:[1,1,0] neg_lo:[0,0,1] neg_hi:[0,0,1]
	v_mul_f32_e32 v116, v117, v104
	s_delay_alu instid0(VALU_DEP_3) | instskip(NEXT) | instid1(VALU_DEP_2)
	v_pk_add_f32 v[80:81], v[80:81], v[120:121] neg_lo:[0,1] neg_hi:[0,1]
	v_pk_fma_f32 v[114:115], v[114:115], v[52:53], v[116:117] op_sel_hi:[1,1,0]
	s_delay_alu instid0(VALU_DEP_1) | instskip(SKIP_4) | instid1(VALU_DEP_1)
	v_mov_b32_e32 v119, v115
	ds_load_2addr_b64 v[114:117], v108 offset0:20 offset1:21
	v_pk_add_f32 v[76:77], v[76:77], v[118:119] neg_lo:[0,1] neg_hi:[0,1]
	s_wait_dscnt 0x0
	v_pk_mul_f32 v[118:119], v[114:115], v[106:107] op_sel:[0,1]
	v_pk_fma_f32 v[120:121], v[114:115], v[104:105], v[118:119] op_sel:[0,0,1] op_sel_hi:[1,1,0] neg_lo:[0,0,1] neg_hi:[0,0,1]
	v_pk_fma_f32 v[114:115], v[114:115], v[104:105], v[118:119] op_sel:[0,0,1] op_sel_hi:[1,0,0]
	s_delay_alu instid0(VALU_DEP_1) | instskip(SKIP_1) | instid1(VALU_DEP_1)
	v_mov_b32_e32 v121, v115
	v_pk_mul_f32 v[114:115], v[116:117], v[106:107] op_sel:[0,1]
	v_pk_fma_f32 v[118:119], v[116:117], v[104:105], v[114:115] op_sel:[0,0,1] op_sel_hi:[1,1,0] neg_lo:[0,0,1] neg_hi:[0,0,1]
	v_pk_fma_f32 v[114:115], v[116:117], v[104:105], v[114:115] op_sel:[0,0,1] op_sel_hi:[1,0,0]
	s_delay_alu instid0(VALU_DEP_1)
	v_mov_b32_e32 v119, v115
	ds_load_2addr_b64 v[114:117], v108 offset0:22 offset1:23
	v_pk_add_f32 v[74:75], v[74:75], v[120:121] neg_lo:[0,1] neg_hi:[0,1]
	v_pk_add_f32 v[70:71], v[70:71], v[118:119] neg_lo:[0,1] neg_hi:[0,1]
	s_wait_dscnt 0x0
	v_pk_mul_f32 v[118:119], v[114:115], v[106:107] op_sel:[0,1]
	s_delay_alu instid0(VALU_DEP_1) | instskip(SKIP_1) | instid1(VALU_DEP_1)
	v_pk_fma_f32 v[120:121], v[114:115], v[104:105], v[118:119] op_sel:[0,0,1] op_sel_hi:[1,1,0] neg_lo:[0,0,1] neg_hi:[0,0,1]
	v_pk_fma_f32 v[114:115], v[114:115], v[104:105], v[118:119] op_sel:[0,0,1] op_sel_hi:[1,0,0]
	v_mov_b32_e32 v121, v115
	v_pk_mul_f32 v[114:115], v[116:117], v[106:107] op_sel:[0,1]
	s_delay_alu instid0(VALU_DEP_1) | instskip(SKIP_1) | instid1(VALU_DEP_1)
	v_pk_fma_f32 v[118:119], v[116:117], v[104:105], v[114:115] op_sel:[0,0,1] op_sel_hi:[1,1,0] neg_lo:[0,0,1] neg_hi:[0,0,1]
	v_pk_fma_f32 v[114:115], v[116:117], v[104:105], v[114:115] op_sel:[0,0,1] op_sel_hi:[1,0,0]
	v_mov_b32_e32 v119, v115
	ds_load_2addr_b64 v[114:117], v108 offset0:24 offset1:25
	v_pk_add_f32 v[72:73], v[72:73], v[120:121] neg_lo:[0,1] neg_hi:[0,1]
	v_pk_add_f32 v[68:69], v[68:69], v[118:119] neg_lo:[0,1] neg_hi:[0,1]
	s_wait_dscnt 0x0
	v_dual_mul_f32 v118, v115, v107 :: v_dual_mul_f32 v120, v115, v104
	s_delay_alu instid0(VALU_DEP_1) | instskip(NEXT) | instid1(VALU_DEP_2)
	v_pk_fma_f32 v[118:119], v[114:115], v[52:53], v[118:119] op_sel_hi:[1,1,0] neg_lo:[0,0,1] neg_hi:[0,0,1]
	v_pk_fma_f32 v[114:115], v[114:115], v[52:53], v[120:121] op_sel:[1,0,0] op_sel_hi:[0,1,0]
	s_delay_alu instid0(VALU_DEP_1) | instskip(SKIP_1) | instid1(VALU_DEP_2)
	v_mov_b32_e32 v119, v115
	v_pk_mul_f32 v[114:115], v[116:117], v[106:107] op_sel:[0,1]
	v_pk_add_f32 v[56:57], v[56:57], v[118:119] neg_lo:[0,1] neg_hi:[0,1]
	s_delay_alu instid0(VALU_DEP_2) | instskip(SKIP_1) | instid1(VALU_DEP_1)
	v_pk_fma_f32 v[118:119], v[116:117], v[104:105], v[114:115] op_sel:[0,0,1] op_sel_hi:[1,1,0] neg_lo:[0,0,1] neg_hi:[0,0,1]
	v_pk_fma_f32 v[114:115], v[116:117], v[104:105], v[114:115] op_sel:[0,0,1] op_sel_hi:[1,0,0]
	v_mov_b32_e32 v119, v115
	ds_load_2addr_b64 v[114:117], v108 offset0:26 offset1:27
	v_pk_add_f32 v[48:49], v[48:49], v[118:119] neg_lo:[0,1] neg_hi:[0,1]
	s_wait_dscnt 0x0
	v_pk_mul_f32 v[118:119], v[114:115], v[106:107] op_sel:[0,1]
	s_delay_alu instid0(VALU_DEP_1) | instskip(SKIP_1) | instid1(VALU_DEP_1)
	v_pk_fma_f32 v[120:121], v[114:115], v[104:105], v[118:119] op_sel:[0,0,1] op_sel_hi:[1,1,0] neg_lo:[0,0,1] neg_hi:[0,0,1]
	v_pk_fma_f32 v[114:115], v[114:115], v[104:105], v[118:119] op_sel:[0,0,1] op_sel_hi:[1,0,0]
	v_mov_b32_e32 v121, v115
	v_pk_mul_f32 v[114:115], v[116:117], v[106:107] op_sel:[0,1]
	s_delay_alu instid0(VALU_DEP_2) | instskip(NEXT) | instid1(VALU_DEP_2)
	v_pk_add_f32 v[54:55], v[54:55], v[120:121] neg_lo:[0,1] neg_hi:[0,1]
	v_pk_fma_f32 v[118:119], v[116:117], v[104:105], v[114:115] op_sel:[0,0,1] op_sel_hi:[1,1,0] neg_lo:[0,0,1] neg_hi:[0,0,1]
	v_pk_fma_f32 v[114:115], v[116:117], v[104:105], v[114:115] op_sel:[0,0,1] op_sel_hi:[1,0,0]
	s_delay_alu instid0(VALU_DEP_1) | instskip(SKIP_4) | instid1(VALU_DEP_1)
	v_mov_b32_e32 v119, v115
	ds_load_2addr_b64 v[114:117], v108 offset0:28 offset1:29
	v_pk_add_f32 v[46:47], v[46:47], v[118:119] neg_lo:[0,1] neg_hi:[0,1]
	s_wait_dscnt 0x0
	v_pk_mul_f32 v[118:119], v[114:115], v[106:107] op_sel:[0,1]
	v_pk_fma_f32 v[120:121], v[114:115], v[104:105], v[118:119] op_sel:[0,0,1] op_sel_hi:[1,1,0] neg_lo:[0,0,1] neg_hi:[0,0,1]
	v_pk_fma_f32 v[114:115], v[114:115], v[104:105], v[118:119] op_sel:[0,0,1] op_sel_hi:[1,0,0]
	v_dual_mul_f32 v118, v117, v107 :: v_dual_mov_b32 v114, v117
	s_delay_alu instid0(VALU_DEP_2) | instskip(NEXT) | instid1(VALU_DEP_2)
	v_dual_mov_b32 v121, v115 :: v_dual_mov_b32 v115, v116
	v_pk_fma_f32 v[118:119], v[116:117], v[52:53], v[118:119] op_sel_hi:[1,1,0] neg_lo:[0,0,1] neg_hi:[0,0,1]
	v_mul_f32_e32 v116, v117, v104
	s_delay_alu instid0(VALU_DEP_3) | instskip(NEXT) | instid1(VALU_DEP_2)
	v_pk_add_f32 v[44:45], v[44:45], v[120:121] neg_lo:[0,1] neg_hi:[0,1]
	v_pk_fma_f32 v[114:115], v[114:115], v[52:53], v[116:117] op_sel_hi:[1,1,0]
	s_delay_alu instid0(VALU_DEP_1) | instskip(SKIP_4) | instid1(VALU_DEP_1)
	v_mov_b32_e32 v119, v115
	ds_load_2addr_b64 v[114:117], v108 offset0:30 offset1:31
	v_pk_add_f32 v[40:41], v[40:41], v[118:119] neg_lo:[0,1] neg_hi:[0,1]
	s_wait_dscnt 0x0
	v_pk_mul_f32 v[118:119], v[114:115], v[106:107] op_sel:[0,1]
	v_pk_fma_f32 v[120:121], v[114:115], v[104:105], v[118:119] op_sel:[0,0,1] op_sel_hi:[1,1,0] neg_lo:[0,0,1] neg_hi:[0,0,1]
	v_pk_fma_f32 v[114:115], v[114:115], v[104:105], v[118:119] op_sel:[0,0,1] op_sel_hi:[1,0,0]
	s_delay_alu instid0(VALU_DEP_1) | instskip(SKIP_1) | instid1(VALU_DEP_1)
	v_mov_b32_e32 v121, v115
	v_pk_mul_f32 v[114:115], v[116:117], v[106:107] op_sel:[0,1]
	v_pk_fma_f32 v[118:119], v[116:117], v[104:105], v[114:115] op_sel:[0,0,1] op_sel_hi:[1,1,0] neg_lo:[0,0,1] neg_hi:[0,0,1]
	v_pk_fma_f32 v[114:115], v[116:117], v[104:105], v[114:115] op_sel:[0,0,1] op_sel_hi:[1,0,0]
	s_delay_alu instid0(VALU_DEP_1)
	v_mov_b32_e32 v119, v115
	ds_load_2addr_b64 v[114:117], v108 offset0:32 offset1:33
	v_pk_add_f32 v[42:43], v[42:43], v[120:121] neg_lo:[0,1] neg_hi:[0,1]
	v_pk_add_f32 v[38:39], v[38:39], v[118:119] neg_lo:[0,1] neg_hi:[0,1]
	s_wait_dscnt 0x0
	v_pk_mul_f32 v[118:119], v[114:115], v[106:107] op_sel:[0,1]
	s_delay_alu instid0(VALU_DEP_1) | instskip(SKIP_1) | instid1(VALU_DEP_1)
	v_pk_fma_f32 v[120:121], v[114:115], v[104:105], v[118:119] op_sel:[0,0,1] op_sel_hi:[1,1,0] neg_lo:[0,0,1] neg_hi:[0,0,1]
	v_pk_fma_f32 v[114:115], v[114:115], v[104:105], v[118:119] op_sel:[0,0,1] op_sel_hi:[1,0,0]
	v_mov_b32_e32 v121, v115
	v_pk_mul_f32 v[114:115], v[116:117], v[106:107] op_sel:[0,1]
	s_delay_alu instid0(VALU_DEP_1) | instskip(SKIP_1) | instid1(VALU_DEP_1)
	v_pk_fma_f32 v[118:119], v[116:117], v[104:105], v[114:115] op_sel:[0,0,1] op_sel_hi:[1,1,0] neg_lo:[0,0,1] neg_hi:[0,0,1]
	v_pk_fma_f32 v[114:115], v[116:117], v[104:105], v[114:115] op_sel:[0,0,1] op_sel_hi:[1,0,0]
	v_mov_b32_e32 v119, v115
	ds_load_2addr_b64 v[114:117], v108 offset0:34 offset1:35
	v_pk_add_f32 v[36:37], v[36:37], v[120:121] neg_lo:[0,1] neg_hi:[0,1]
	v_pk_add_f32 v[32:33], v[32:33], v[118:119] neg_lo:[0,1] neg_hi:[0,1]
	s_wait_dscnt 0x0
	v_dual_mul_f32 v118, v115, v107 :: v_dual_mul_f32 v120, v115, v104
	s_delay_alu instid0(VALU_DEP_1) | instskip(NEXT) | instid1(VALU_DEP_2)
	v_pk_fma_f32 v[118:119], v[114:115], v[52:53], v[118:119] op_sel_hi:[1,1,0] neg_lo:[0,0,1] neg_hi:[0,0,1]
	v_pk_fma_f32 v[114:115], v[114:115], v[52:53], v[120:121] op_sel:[1,0,0] op_sel_hi:[0,1,0]
	s_delay_alu instid0(VALU_DEP_1) | instskip(SKIP_1) | instid1(VALU_DEP_2)
	v_mov_b32_e32 v119, v115
	v_pk_mul_f32 v[114:115], v[116:117], v[106:107] op_sel:[0,1]
	v_pk_add_f32 v[34:35], v[34:35], v[118:119] neg_lo:[0,1] neg_hi:[0,1]
	s_delay_alu instid0(VALU_DEP_2) | instskip(SKIP_1) | instid1(VALU_DEP_1)
	v_pk_fma_f32 v[118:119], v[116:117], v[104:105], v[114:115] op_sel:[0,0,1] op_sel_hi:[1,1,0] neg_lo:[0,0,1] neg_hi:[0,0,1]
	v_pk_fma_f32 v[114:115], v[116:117], v[104:105], v[114:115] op_sel:[0,0,1] op_sel_hi:[1,0,0]
	v_mov_b32_e32 v119, v115
	ds_load_2addr_b64 v[114:117], v108 offset0:36 offset1:37
	v_pk_add_f32 v[30:31], v[30:31], v[118:119] neg_lo:[0,1] neg_hi:[0,1]
	s_wait_dscnt 0x0
	v_pk_mul_f32 v[118:119], v[114:115], v[106:107] op_sel:[0,1]
	s_delay_alu instid0(VALU_DEP_1) | instskip(SKIP_1) | instid1(VALU_DEP_1)
	v_pk_fma_f32 v[120:121], v[114:115], v[104:105], v[118:119] op_sel:[0,0,1] op_sel_hi:[1,1,0] neg_lo:[0,0,1] neg_hi:[0,0,1]
	v_pk_fma_f32 v[114:115], v[114:115], v[104:105], v[118:119] op_sel:[0,0,1] op_sel_hi:[1,0,0]
	v_mov_b32_e32 v121, v115
	v_pk_mul_f32 v[114:115], v[116:117], v[106:107] op_sel:[0,1]
	s_delay_alu instid0(VALU_DEP_2) | instskip(NEXT) | instid1(VALU_DEP_2)
	v_pk_add_f32 v[26:27], v[26:27], v[120:121] neg_lo:[0,1] neg_hi:[0,1]
	v_pk_fma_f32 v[118:119], v[116:117], v[104:105], v[114:115] op_sel:[0,0,1] op_sel_hi:[1,1,0] neg_lo:[0,0,1] neg_hi:[0,0,1]
	v_pk_fma_f32 v[114:115], v[116:117], v[104:105], v[114:115] op_sel:[0,0,1] op_sel_hi:[1,0,0]
	s_delay_alu instid0(VALU_DEP_1) | instskip(SKIP_4) | instid1(VALU_DEP_1)
	v_mov_b32_e32 v119, v115
	ds_load_2addr_b64 v[114:117], v108 offset0:38 offset1:39
	v_pk_add_f32 v[22:23], v[22:23], v[118:119] neg_lo:[0,1] neg_hi:[0,1]
	s_wait_dscnt 0x0
	v_pk_mul_f32 v[118:119], v[114:115], v[106:107] op_sel:[0,1]
	v_pk_fma_f32 v[120:121], v[114:115], v[104:105], v[118:119] op_sel:[0,0,1] op_sel_hi:[1,1,0] neg_lo:[0,0,1] neg_hi:[0,0,1]
	v_pk_fma_f32 v[114:115], v[114:115], v[104:105], v[118:119] op_sel:[0,0,1] op_sel_hi:[1,0,0]
	v_dual_mul_f32 v118, v117, v107 :: v_dual_mov_b32 v114, v117
	s_delay_alu instid0(VALU_DEP_2) | instskip(NEXT) | instid1(VALU_DEP_2)
	v_dual_mov_b32 v121, v115 :: v_dual_mov_b32 v115, v116
	v_pk_fma_f32 v[118:119], v[116:117], v[52:53], v[118:119] op_sel_hi:[1,1,0] neg_lo:[0,0,1] neg_hi:[0,0,1]
	v_mul_f32_e32 v116, v117, v104
	s_delay_alu instid0(VALU_DEP_3) | instskip(NEXT) | instid1(VALU_DEP_2)
	v_pk_add_f32 v[24:25], v[24:25], v[120:121] neg_lo:[0,1] neg_hi:[0,1]
	v_pk_fma_f32 v[114:115], v[114:115], v[52:53], v[116:117] op_sel_hi:[1,1,0]
	s_delay_alu instid0(VALU_DEP_1) | instskip(SKIP_4) | instid1(VALU_DEP_1)
	v_mov_b32_e32 v119, v115
	ds_load_2addr_b64 v[114:117], v108 offset0:40 offset1:41
	v_pk_add_f32 v[20:21], v[20:21], v[118:119] neg_lo:[0,1] neg_hi:[0,1]
	s_wait_dscnt 0x0
	v_pk_mul_f32 v[118:119], v[114:115], v[106:107] op_sel:[0,1]
	v_pk_fma_f32 v[120:121], v[114:115], v[104:105], v[118:119] op_sel:[0,0,1] op_sel_hi:[1,1,0] neg_lo:[0,0,1] neg_hi:[0,0,1]
	v_pk_fma_f32 v[114:115], v[114:115], v[104:105], v[118:119] op_sel:[0,0,1] op_sel_hi:[1,0,0]
	s_delay_alu instid0(VALU_DEP_1) | instskip(SKIP_1) | instid1(VALU_DEP_1)
	v_mov_b32_e32 v121, v115
	v_pk_mul_f32 v[114:115], v[116:117], v[106:107] op_sel:[0,1]
	v_pk_fma_f32 v[118:119], v[116:117], v[104:105], v[114:115] op_sel:[0,0,1] op_sel_hi:[1,1,0] neg_lo:[0,0,1] neg_hi:[0,0,1]
	v_pk_fma_f32 v[114:115], v[116:117], v[104:105], v[114:115] op_sel:[0,0,1] op_sel_hi:[1,0,0]
	s_delay_alu instid0(VALU_DEP_1)
	v_mov_b32_e32 v119, v115
	ds_load_2addr_b64 v[114:117], v108 offset0:42 offset1:43
	v_pk_add_f32 v[14:15], v[14:15], v[120:121] neg_lo:[0,1] neg_hi:[0,1]
	v_pk_add_f32 v[10:11], v[10:11], v[118:119] neg_lo:[0,1] neg_hi:[0,1]
	s_wait_dscnt 0x0
	v_pk_mul_f32 v[118:119], v[114:115], v[106:107] op_sel:[0,1]
	s_delay_alu instid0(VALU_DEP_1) | instskip(SKIP_1) | instid1(VALU_DEP_1)
	v_pk_fma_f32 v[120:121], v[114:115], v[104:105], v[118:119] op_sel:[0,0,1] op_sel_hi:[1,1,0] neg_lo:[0,0,1] neg_hi:[0,0,1]
	v_pk_fma_f32 v[114:115], v[114:115], v[104:105], v[118:119] op_sel:[0,0,1] op_sel_hi:[1,0,0]
	v_mov_b32_e32 v121, v115
	v_pk_mul_f32 v[114:115], v[116:117], v[106:107] op_sel:[0,1]
	s_delay_alu instid0(VALU_DEP_1) | instskip(SKIP_1) | instid1(VALU_DEP_1)
	v_pk_fma_f32 v[118:119], v[116:117], v[104:105], v[114:115] op_sel:[0,0,1] op_sel_hi:[1,1,0] neg_lo:[0,0,1] neg_hi:[0,0,1]
	v_pk_fma_f32 v[114:115], v[116:117], v[104:105], v[114:115] op_sel:[0,0,1] op_sel_hi:[1,0,0]
	v_mov_b32_e32 v119, v115
	ds_load_2addr_b64 v[114:117], v108 offset0:44 offset1:45
	v_pk_add_f32 v[12:13], v[12:13], v[120:121] neg_lo:[0,1] neg_hi:[0,1]
	v_pk_add_f32 v[8:9], v[8:9], v[118:119] neg_lo:[0,1] neg_hi:[0,1]
	s_wait_dscnt 0x0
	v_dual_mul_f32 v118, v115, v107 :: v_dual_mul_f32 v120, v115, v104
	s_delay_alu instid0(VALU_DEP_1) | instskip(NEXT) | instid1(VALU_DEP_2)
	v_pk_fma_f32 v[118:119], v[114:115], v[52:53], v[118:119] op_sel_hi:[1,1,0] neg_lo:[0,0,1] neg_hi:[0,0,1]
	v_pk_fma_f32 v[114:115], v[114:115], v[52:53], v[120:121] op_sel:[1,0,0] op_sel_hi:[0,1,0]
	s_delay_alu instid0(VALU_DEP_1) | instskip(SKIP_1) | instid1(VALU_DEP_2)
	v_mov_b32_e32 v119, v115
	v_pk_mul_f32 v[114:115], v[116:117], v[106:107] op_sel:[0,1]
	v_pk_add_f32 v[6:7], v[6:7], v[118:119] neg_lo:[0,1] neg_hi:[0,1]
	s_delay_alu instid0(VALU_DEP_2) | instskip(SKIP_1) | instid1(VALU_DEP_1)
	v_pk_fma_f32 v[118:119], v[116:117], v[104:105], v[114:115] op_sel:[0,0,1] op_sel_hi:[1,1,0] neg_lo:[0,0,1] neg_hi:[0,0,1]
	v_pk_fma_f32 v[114:115], v[116:117], v[104:105], v[114:115] op_sel:[0,0,1] op_sel_hi:[1,0,0]
	v_mov_b32_e32 v119, v115
	ds_load_2addr_b64 v[114:117], v108 offset0:46 offset1:47
	v_pk_add_f32 v[28:29], v[28:29], v[118:119] neg_lo:[0,1] neg_hi:[0,1]
	s_wait_dscnt 0x0
	v_pk_mul_f32 v[118:119], v[114:115], v[106:107] op_sel:[0,1]
	s_delay_alu instid0(VALU_DEP_1) | instskip(SKIP_1) | instid1(VALU_DEP_1)
	v_pk_fma_f32 v[120:121], v[114:115], v[104:105], v[118:119] op_sel:[0,0,1] op_sel_hi:[1,1,0] neg_lo:[0,0,1] neg_hi:[0,0,1]
	v_pk_fma_f32 v[114:115], v[114:115], v[104:105], v[118:119] op_sel:[0,0,1] op_sel_hi:[1,0,0]
	v_mov_b32_e32 v121, v115
	v_pk_mul_f32 v[114:115], v[116:117], v[106:107] op_sel:[0,1]
	s_delay_alu instid0(VALU_DEP_2) | instskip(NEXT) | instid1(VALU_DEP_2)
	v_pk_add_f32 v[18:19], v[18:19], v[120:121] neg_lo:[0,1] neg_hi:[0,1]
	v_pk_fma_f32 v[118:119], v[116:117], v[104:105], v[114:115] op_sel:[0,0,1] op_sel_hi:[1,1,0] neg_lo:[0,0,1] neg_hi:[0,0,1]
	v_pk_fma_f32 v[114:115], v[116:117], v[104:105], v[114:115] op_sel:[0,0,1] op_sel_hi:[1,0,0]
	s_delay_alu instid0(VALU_DEP_1) | instskip(SKIP_4) | instid1(VALU_DEP_1)
	v_mov_b32_e32 v119, v115
	ds_load_b64 v[114:115], v108 offset:384
	v_pk_add_f32 v[16:17], v[16:17], v[118:119] neg_lo:[0,1] neg_hi:[0,1]
	s_wait_dscnt 0x0
	v_pk_mul_f32 v[106:107], v[114:115], v[106:107] op_sel:[0,1]
	v_pk_fma_f32 v[116:117], v[114:115], v[104:105], v[106:107] op_sel:[0,0,1] op_sel_hi:[1,1,0] neg_lo:[0,0,1] neg_hi:[0,0,1]
	v_pk_fma_f32 v[104:105], v[114:115], v[104:105], v[106:107] op_sel:[0,0,1] op_sel_hi:[1,0,0]
	s_delay_alu instid0(VALU_DEP_1) | instskip(NEXT) | instid1(VALU_DEP_1)
	v_mov_b32_e32 v117, v105
	v_pk_add_f32 v[102:103], v[102:103], v[116:117] neg_lo:[0,1] neg_hi:[0,1]
.LBB96_125:
	s_or_b32 exec_lo, exec_lo, s0
	v_lshl_add_u32 v104, v112, 3, v108
	s_barrier_signal -1
	s_barrier_wait -1
	ds_store_b64 v104, v[58:59]
	s_wait_dscnt 0x0
	s_barrier_signal -1
	s_barrier_wait -1
	ds_load_b64 v[106:107], v108 offset:48
	v_mov_b32_e32 v104, 6
	s_cmp_lt_i32 s18, 8
	s_cbranch_scc1 .LBB96_128
; %bb.126:
	v_add3_u32 v105, v109, 0, 56
	v_mov_b32_e32 v104, 6
	s_mov_b32 s0, 7
.LBB96_127:                             ; =>This Inner Loop Header: Depth=1
	ds_load_b64 v[114:115], v105
	s_wait_dscnt 0x1
	v_cmp_gt_f32_e32 vcc_lo, 0, v106
	v_cndmask_b32_e64 v116, v106, -v106, vcc_lo
	v_cmp_gt_f32_e32 vcc_lo, 0, v107
	v_cndmask_b32_e64 v118, v107, -v107, vcc_lo
	s_wait_dscnt 0x0
	v_cmp_gt_f32_e32 vcc_lo, 0, v114
	v_cndmask_b32_e64 v117, v114, -v114, vcc_lo
	v_cmp_gt_f32_e32 vcc_lo, 0, v115
	v_cndmask_b32_e64 v119, v115, -v115, vcc_lo
	s_delay_alu instid0(VALU_DEP_1) | instskip(NEXT) | instid1(VALU_DEP_1)
	v_pk_add_f32 v[116:117], v[116:117], v[118:119]
	v_cmp_lt_f32_e32 vcc_lo, v116, v117
	v_dual_add_nc_u32 v105, 8, v105 :: v_dual_cndmask_b32 v107, v107, v115, vcc_lo
	v_cndmask_b32_e32 v106, v106, v114, vcc_lo
	v_cndmask_b32_e64 v104, v104, s0, vcc_lo
	s_add_co_i32 s0, s0, 1
	s_delay_alu instid0(SALU_CYCLE_1)
	s_cmp_lg_u32 s18, s0
	s_cbranch_scc1 .LBB96_127
.LBB96_128:
	s_wait_dscnt 0x0
	v_cmp_eq_f32_e32 vcc_lo, 0, v106
	v_cmp_eq_f32_e64 s0, 0, v107
	s_and_b32 s0, vcc_lo, s0
	s_delay_alu instid0(SALU_CYCLE_1) | instskip(NEXT) | instid1(SALU_CYCLE_1)
	s_and_saveexec_b32 s1, s0
	s_xor_b32 s0, exec_lo, s1
; %bb.129:
	v_cmp_ne_u32_e32 vcc_lo, 0, v110
	v_cndmask_b32_e32 v110, 7, v110, vcc_lo
; %bb.130:
	s_and_not1_saveexec_b32 s0, s0
	s_cbranch_execz .LBB96_136
; %bb.131:
	v_cmp_ngt_f32_e64 s1, |v106|, |v107|
	s_and_saveexec_b32 s12, s1
	s_delay_alu instid0(SALU_CYCLE_1)
	s_xor_b32 s1, exec_lo, s12
	s_cbranch_execz .LBB96_133
; %bb.132:
	v_div_scale_f32 v105, null, v107, v107, v106
	v_div_scale_f32 v115, vcc_lo, v106, v107, v106
	s_delay_alu instid0(VALU_DEP_2) | instskip(SKIP_1) | instid1(TRANS32_DEP_1)
	v_rcp_f32_e32 v113, v105
	v_nop
	v_fma_f32 v114, -v105, v113, 1.0
	s_delay_alu instid0(VALU_DEP_1) | instskip(NEXT) | instid1(VALU_DEP_1)
	v_fmac_f32_e32 v113, v114, v113
	v_mul_f32_e32 v114, v115, v113
	s_delay_alu instid0(VALU_DEP_1) | instskip(NEXT) | instid1(VALU_DEP_1)
	v_fma_f32 v116, -v105, v114, v115
	v_fmac_f32_e32 v114, v116, v113
	s_delay_alu instid0(VALU_DEP_1) | instskip(NEXT) | instid1(VALU_DEP_1)
	v_fma_f32 v105, -v105, v114, v115
	v_div_fmas_f32 v105, v105, v113, v114
	s_delay_alu instid0(VALU_DEP_1) | instskip(NEXT) | instid1(VALU_DEP_1)
	v_div_fixup_f32 v105, v105, v107, v106
	v_fmac_f32_e32 v107, v106, v105
	s_delay_alu instid0(VALU_DEP_1) | instskip(SKIP_1) | instid1(VALU_DEP_2)
	v_div_scale_f32 v106, null, v107, v107, 1.0
	v_div_scale_f32 v115, vcc_lo, 1.0, v107, 1.0
	v_rcp_f32_e32 v113, v106
	v_nop
	s_delay_alu instid0(TRANS32_DEP_1) | instskip(NEXT) | instid1(VALU_DEP_1)
	v_fma_f32 v114, -v106, v113, 1.0
	v_fmac_f32_e32 v113, v114, v113
	s_delay_alu instid0(VALU_DEP_1) | instskip(NEXT) | instid1(VALU_DEP_1)
	v_mul_f32_e32 v114, v115, v113
	v_fma_f32 v116, -v106, v114, v115
	s_delay_alu instid0(VALU_DEP_1) | instskip(NEXT) | instid1(VALU_DEP_1)
	v_fmac_f32_e32 v114, v116, v113
	v_fma_f32 v106, -v106, v114, v115
	s_delay_alu instid0(VALU_DEP_1) | instskip(NEXT) | instid1(VALU_DEP_1)
	v_div_fmas_f32 v106, v106, v113, v114
	v_div_fixup_f32 v107, v106, v107, 1.0
	s_delay_alu instid0(VALU_DEP_1)
	v_mul_f32_e32 v106, v105, v107
	v_xor_b32_e32 v107, 0x80000000, v107
.LBB96_133:
	s_and_not1_saveexec_b32 s1, s1
	s_cbranch_execz .LBB96_135
; %bb.134:
	s_delay_alu instid0(VALU_DEP_1) | instskip(SKIP_1) | instid1(VALU_DEP_2)
	v_div_scale_f32 v105, null, v106, v106, v107
	v_div_scale_f32 v115, vcc_lo, v107, v106, v107
	v_rcp_f32_e32 v113, v105
	v_nop
	s_delay_alu instid0(TRANS32_DEP_1) | instskip(NEXT) | instid1(VALU_DEP_1)
	v_fma_f32 v114, -v105, v113, 1.0
	v_fmac_f32_e32 v113, v114, v113
	s_delay_alu instid0(VALU_DEP_1) | instskip(NEXT) | instid1(VALU_DEP_1)
	v_mul_f32_e32 v114, v115, v113
	v_fma_f32 v116, -v105, v114, v115
	s_delay_alu instid0(VALU_DEP_1) | instskip(NEXT) | instid1(VALU_DEP_1)
	v_fmac_f32_e32 v114, v116, v113
	v_fma_f32 v105, -v105, v114, v115
	s_delay_alu instid0(VALU_DEP_1) | instskip(NEXT) | instid1(VALU_DEP_1)
	v_div_fmas_f32 v105, v105, v113, v114
	v_div_fixup_f32 v105, v105, v106, v107
	s_delay_alu instid0(VALU_DEP_1) | instskip(NEXT) | instid1(VALU_DEP_1)
	v_fmac_f32_e32 v106, v107, v105
	v_div_scale_f32 v107, null, v106, v106, 1.0
	s_delay_alu instid0(VALU_DEP_1) | instskip(SKIP_1) | instid1(TRANS32_DEP_1)
	v_rcp_f32_e32 v113, v107
	v_nop
	v_fma_f32 v114, -v107, v113, 1.0
	s_delay_alu instid0(VALU_DEP_1) | instskip(SKIP_1) | instid1(VALU_DEP_1)
	v_fmac_f32_e32 v113, v114, v113
	v_div_scale_f32 v114, vcc_lo, 1.0, v106, 1.0
	v_mul_f32_e32 v115, v114, v113
	s_delay_alu instid0(VALU_DEP_1) | instskip(NEXT) | instid1(VALU_DEP_1)
	v_fma_f32 v116, -v107, v115, v114
	v_fmac_f32_e32 v115, v116, v113
	s_delay_alu instid0(VALU_DEP_1) | instskip(NEXT) | instid1(VALU_DEP_1)
	v_fma_f32 v107, -v107, v115, v114
	v_div_fmas_f32 v107, v107, v113, v115
	s_delay_alu instid0(VALU_DEP_1) | instskip(NEXT) | instid1(VALU_DEP_1)
	v_div_fixup_f32 v106, v107, v106, 1.0
	v_mul_f32_e64 v107, v105, -v106
.LBB96_135:
	s_or_b32 exec_lo, exec_lo, s1
.LBB96_136:
	s_delay_alu instid0(SALU_CYCLE_1) | instskip(NEXT) | instid1(SALU_CYCLE_1)
	s_or_b32 exec_lo, exec_lo, s0
	s_mov_b32 s0, exec_lo
	v_cmpx_ne_u32_e64 v112, v104
	s_xor_b32 s0, exec_lo, s0
	s_cbranch_execz .LBB96_142
; %bb.137:
	s_mov_b32 s1, exec_lo
	v_cmpx_eq_u32_e32 6, v112
	s_cbranch_execz .LBB96_141
; %bb.138:
	v_cmp_ne_u32_e32 vcc_lo, 6, v104
	s_xor_b32 s12, s16, -1
	s_delay_alu instid0(SALU_CYCLE_1) | instskip(NEXT) | instid1(SALU_CYCLE_1)
	s_and_b32 s13, s12, vcc_lo
	s_and_saveexec_b32 s12, s13
	s_cbranch_execz .LBB96_140
; %bb.139:
	v_ashrrev_i32_e32 v105, 31, v104
	s_delay_alu instid0(VALU_DEP_1)
	v_lshl_add_u64 v[112:113], v[104:105], 2, v[4:5]
	s_clause 0x1
	global_load_b32 v105, v[112:113], off
	global_load_b32 v111, v[4:5], off offset:24
	s_wait_loadcnt 0x1
	global_store_b32 v[4:5], v105, off offset:24
	s_wait_loadcnt 0x0
	global_store_b32 v[112:113], v111, off
.LBB96_140:
	s_wait_xcnt 0x0
	s_or_b32 exec_lo, exec_lo, s12
	v_dual_mov_b32 v112, v104 :: v_dual_mov_b32 v111, v104
.LBB96_141:
	s_or_b32 exec_lo, exec_lo, s1
.LBB96_142:
	s_and_not1_saveexec_b32 s0, s0
	s_cbranch_execz .LBB96_144
; %bb.143:
	v_mov_b32_e32 v112, 6
	ds_store_2addr_b64 v108, v[50:51], v[66:67] offset0:7 offset1:8
	ds_store_2addr_b64 v108, v[62:63], v[64:65] offset0:9 offset1:10
	;; [unrolled: 1-line block ×21, first 2 shown]
.LBB96_144:
	s_or_b32 exec_lo, exec_lo, s0
	s_delay_alu instid0(SALU_CYCLE_1)
	s_mov_b32 s0, exec_lo
	s_wait_storecnt_dscnt 0x0
	s_barrier_signal -1
	s_barrier_wait -1
	v_cmpx_lt_i32_e32 6, v112
	s_cbranch_execz .LBB96_146
; %bb.145:
	v_pk_mul_f32 v[114:115], v[106:107], v[58:59] op_sel:[1,1] op_sel_hi:[0,1]
	s_delay_alu instid0(VALU_DEP_1)
	v_pk_fma_f32 v[104:105], v[106:107], v[58:59], v[114:115] op_sel_hi:[1,0,1] neg_lo:[0,0,1] neg_hi:[0,0,1]
	v_pk_fma_f32 v[106:107], v[106:107], v[58:59], v[114:115] op_sel_hi:[1,0,1]
	ds_load_2addr_b64 v[114:117], v108 offset0:7 offset1:8
	v_dual_mov_b32 v58, v104 :: v_dual_mov_b32 v59, v107
	s_wait_dscnt 0x0
	v_pk_mul_f32 v[118:119], v[114:115], v[106:107] op_sel:[0,1]
	s_delay_alu instid0(VALU_DEP_1) | instskip(SKIP_1) | instid1(VALU_DEP_1)
	v_pk_fma_f32 v[120:121], v[114:115], v[104:105], v[118:119] op_sel:[0,0,1] op_sel_hi:[1,1,0] neg_lo:[0,0,1] neg_hi:[0,0,1]
	v_pk_fma_f32 v[114:115], v[114:115], v[104:105], v[118:119] op_sel:[0,0,1] op_sel_hi:[1,0,0]
	v_mov_b32_e32 v121, v115
	v_pk_mul_f32 v[114:115], v[116:117], v[106:107] op_sel:[0,1]
	s_delay_alu instid0(VALU_DEP_1) | instskip(SKIP_1) | instid1(VALU_DEP_1)
	v_pk_fma_f32 v[118:119], v[116:117], v[104:105], v[114:115] op_sel:[0,0,1] op_sel_hi:[1,1,0] neg_lo:[0,0,1] neg_hi:[0,0,1]
	v_pk_fma_f32 v[114:115], v[116:117], v[104:105], v[114:115] op_sel:[0,0,1] op_sel_hi:[1,0,0]
	v_mov_b32_e32 v119, v115
	ds_load_2addr_b64 v[114:117], v108 offset0:9 offset1:10
	v_pk_add_f32 v[50:51], v[50:51], v[120:121] neg_lo:[0,1] neg_hi:[0,1]
	v_pk_add_f32 v[66:67], v[66:67], v[118:119] neg_lo:[0,1] neg_hi:[0,1]
	s_wait_dscnt 0x0
	v_pk_mul_f32 v[118:119], v[114:115], v[106:107] op_sel:[0,1]
	s_delay_alu instid0(VALU_DEP_1) | instskip(SKIP_2) | instid1(VALU_DEP_2)
	v_pk_fma_f32 v[120:121], v[114:115], v[104:105], v[118:119] op_sel:[0,0,1] op_sel_hi:[1,1,0] neg_lo:[0,0,1] neg_hi:[0,0,1]
	v_pk_fma_f32 v[114:115], v[114:115], v[104:105], v[118:119] op_sel:[0,0,1] op_sel_hi:[1,0,0]
	v_dual_mul_f32 v118, v117, v107 :: v_dual_mov_b32 v114, v117
	v_dual_mov_b32 v121, v115 :: v_dual_mov_b32 v115, v116
	s_delay_alu instid0(VALU_DEP_2) | instskip(SKIP_1) | instid1(VALU_DEP_3)
	v_pk_fma_f32 v[118:119], v[116:117], v[58:59], v[118:119] op_sel_hi:[1,1,0] neg_lo:[0,0,1] neg_hi:[0,0,1]
	v_mul_f32_e32 v116, v117, v104
	v_pk_add_f32 v[62:63], v[62:63], v[120:121] neg_lo:[0,1] neg_hi:[0,1]
	s_delay_alu instid0(VALU_DEP_2) | instskip(NEXT) | instid1(VALU_DEP_1)
	v_pk_fma_f32 v[114:115], v[114:115], v[58:59], v[116:117] op_sel_hi:[1,1,0]
	v_mov_b32_e32 v119, v115
	ds_load_2addr_b64 v[114:117], v108 offset0:11 offset1:12
	v_pk_add_f32 v[64:65], v[64:65], v[118:119] neg_lo:[0,1] neg_hi:[0,1]
	s_wait_dscnt 0x0
	v_pk_mul_f32 v[118:119], v[114:115], v[106:107] op_sel:[0,1]
	s_delay_alu instid0(VALU_DEP_1) | instskip(SKIP_1) | instid1(VALU_DEP_1)
	v_pk_fma_f32 v[120:121], v[114:115], v[104:105], v[118:119] op_sel:[0,0,1] op_sel_hi:[1,1,0] neg_lo:[0,0,1] neg_hi:[0,0,1]
	v_pk_fma_f32 v[114:115], v[114:115], v[104:105], v[118:119] op_sel:[0,0,1] op_sel_hi:[1,0,0]
	v_mov_b32_e32 v121, v115
	v_pk_mul_f32 v[114:115], v[116:117], v[106:107] op_sel:[0,1]
	s_delay_alu instid0(VALU_DEP_1) | instskip(SKIP_1) | instid1(VALU_DEP_1)
	v_pk_fma_f32 v[118:119], v[116:117], v[104:105], v[114:115] op_sel:[0,0,1] op_sel_hi:[1,1,0] neg_lo:[0,0,1] neg_hi:[0,0,1]
	v_pk_fma_f32 v[114:115], v[116:117], v[104:105], v[114:115] op_sel:[0,0,1] op_sel_hi:[1,0,0]
	v_mov_b32_e32 v119, v115
	ds_load_2addr_b64 v[114:117], v108 offset0:13 offset1:14
	v_pk_add_f32 v[60:61], v[60:61], v[120:121] neg_lo:[0,1] neg_hi:[0,1]
	v_pk_add_f32 v[90:91], v[90:91], v[118:119] neg_lo:[0,1] neg_hi:[0,1]
	s_wait_dscnt 0x0
	v_pk_mul_f32 v[118:119], v[114:115], v[106:107] op_sel:[0,1]
	s_delay_alu instid0(VALU_DEP_1) | instskip(SKIP_1) | instid1(VALU_DEP_1)
	v_pk_fma_f32 v[120:121], v[114:115], v[104:105], v[118:119] op_sel:[0,0,1] op_sel_hi:[1,1,0] neg_lo:[0,0,1] neg_hi:[0,0,1]
	v_pk_fma_f32 v[114:115], v[114:115], v[104:105], v[118:119] op_sel:[0,0,1] op_sel_hi:[1,0,0]
	v_mov_b32_e32 v121, v115
	v_pk_mul_f32 v[114:115], v[116:117], v[106:107] op_sel:[0,1]
	s_delay_alu instid0(VALU_DEP_1) | instskip(SKIP_1) | instid1(VALU_DEP_1)
	v_pk_fma_f32 v[118:119], v[116:117], v[104:105], v[114:115] op_sel:[0,0,1] op_sel_hi:[1,1,0] neg_lo:[0,0,1] neg_hi:[0,0,1]
	v_pk_fma_f32 v[114:115], v[116:117], v[104:105], v[114:115] op_sel:[0,0,1] op_sel_hi:[1,0,0]
	v_mov_b32_e32 v119, v115
	ds_load_2addr_b64 v[114:117], v108 offset0:15 offset1:16
	v_pk_add_f32 v[86:87], v[86:87], v[120:121] neg_lo:[0,1] neg_hi:[0,1]
	v_pk_add_f32 v[88:89], v[88:89], v[118:119] neg_lo:[0,1] neg_hi:[0,1]
	s_wait_dscnt 0x0
	v_dual_mul_f32 v118, v115, v107 :: v_dual_mul_f32 v120, v115, v104
	s_delay_alu instid0(VALU_DEP_1) | instskip(NEXT) | instid1(VALU_DEP_2)
	v_pk_fma_f32 v[118:119], v[114:115], v[58:59], v[118:119] op_sel_hi:[1,1,0] neg_lo:[0,0,1] neg_hi:[0,0,1]
	v_pk_fma_f32 v[114:115], v[114:115], v[58:59], v[120:121] op_sel:[1,0,0] op_sel_hi:[0,1,0]
	s_delay_alu instid0(VALU_DEP_1) | instskip(SKIP_1) | instid1(VALU_DEP_2)
	v_mov_b32_e32 v119, v115
	v_pk_mul_f32 v[114:115], v[116:117], v[106:107] op_sel:[0,1]
	v_pk_add_f32 v[84:85], v[84:85], v[118:119] neg_lo:[0,1] neg_hi:[0,1]
	s_delay_alu instid0(VALU_DEP_2) | instskip(SKIP_1) | instid1(VALU_DEP_1)
	v_pk_fma_f32 v[118:119], v[116:117], v[104:105], v[114:115] op_sel:[0,0,1] op_sel_hi:[1,1,0] neg_lo:[0,0,1] neg_hi:[0,0,1]
	v_pk_fma_f32 v[114:115], v[116:117], v[104:105], v[114:115] op_sel:[0,0,1] op_sel_hi:[1,0,0]
	v_mov_b32_e32 v119, v115
	ds_load_2addr_b64 v[114:117], v108 offset0:17 offset1:18
	v_pk_add_f32 v[82:83], v[82:83], v[118:119] neg_lo:[0,1] neg_hi:[0,1]
	s_wait_dscnt 0x0
	v_pk_mul_f32 v[118:119], v[114:115], v[106:107] op_sel:[0,1]
	s_delay_alu instid0(VALU_DEP_1) | instskip(SKIP_1) | instid1(VALU_DEP_1)
	v_pk_fma_f32 v[120:121], v[114:115], v[104:105], v[118:119] op_sel:[0,0,1] op_sel_hi:[1,1,0] neg_lo:[0,0,1] neg_hi:[0,0,1]
	v_pk_fma_f32 v[114:115], v[114:115], v[104:105], v[118:119] op_sel:[0,0,1] op_sel_hi:[1,0,0]
	v_mov_b32_e32 v121, v115
	v_pk_mul_f32 v[114:115], v[116:117], v[106:107] op_sel:[0,1]
	s_delay_alu instid0(VALU_DEP_2) | instskip(NEXT) | instid1(VALU_DEP_2)
	v_pk_add_f32 v[78:79], v[78:79], v[120:121] neg_lo:[0,1] neg_hi:[0,1]
	v_pk_fma_f32 v[118:119], v[116:117], v[104:105], v[114:115] op_sel:[0,0,1] op_sel_hi:[1,1,0] neg_lo:[0,0,1] neg_hi:[0,0,1]
	v_pk_fma_f32 v[114:115], v[116:117], v[104:105], v[114:115] op_sel:[0,0,1] op_sel_hi:[1,0,0]
	s_delay_alu instid0(VALU_DEP_1) | instskip(SKIP_4) | instid1(VALU_DEP_1)
	v_mov_b32_e32 v119, v115
	ds_load_2addr_b64 v[114:117], v108 offset0:19 offset1:20
	v_pk_add_f32 v[80:81], v[80:81], v[118:119] neg_lo:[0,1] neg_hi:[0,1]
	s_wait_dscnt 0x0
	v_pk_mul_f32 v[118:119], v[114:115], v[106:107] op_sel:[0,1]
	v_pk_fma_f32 v[120:121], v[114:115], v[104:105], v[118:119] op_sel:[0,0,1] op_sel_hi:[1,1,0] neg_lo:[0,0,1] neg_hi:[0,0,1]
	v_pk_fma_f32 v[114:115], v[114:115], v[104:105], v[118:119] op_sel:[0,0,1] op_sel_hi:[1,0,0]
	v_dual_mul_f32 v118, v117, v107 :: v_dual_mov_b32 v114, v117
	s_delay_alu instid0(VALU_DEP_2) | instskip(NEXT) | instid1(VALU_DEP_2)
	v_dual_mov_b32 v121, v115 :: v_dual_mov_b32 v115, v116
	v_pk_fma_f32 v[118:119], v[116:117], v[58:59], v[118:119] op_sel_hi:[1,1,0] neg_lo:[0,0,1] neg_hi:[0,0,1]
	v_mul_f32_e32 v116, v117, v104
	s_delay_alu instid0(VALU_DEP_3) | instskip(NEXT) | instid1(VALU_DEP_2)
	v_pk_add_f32 v[76:77], v[76:77], v[120:121] neg_lo:[0,1] neg_hi:[0,1]
	v_pk_fma_f32 v[114:115], v[114:115], v[58:59], v[116:117] op_sel_hi:[1,1,0]
	s_delay_alu instid0(VALU_DEP_1) | instskip(SKIP_4) | instid1(VALU_DEP_1)
	v_mov_b32_e32 v119, v115
	ds_load_2addr_b64 v[114:117], v108 offset0:21 offset1:22
	v_pk_add_f32 v[74:75], v[74:75], v[118:119] neg_lo:[0,1] neg_hi:[0,1]
	s_wait_dscnt 0x0
	v_pk_mul_f32 v[118:119], v[114:115], v[106:107] op_sel:[0,1]
	v_pk_fma_f32 v[120:121], v[114:115], v[104:105], v[118:119] op_sel:[0,0,1] op_sel_hi:[1,1,0] neg_lo:[0,0,1] neg_hi:[0,0,1]
	v_pk_fma_f32 v[114:115], v[114:115], v[104:105], v[118:119] op_sel:[0,0,1] op_sel_hi:[1,0,0]
	s_delay_alu instid0(VALU_DEP_1) | instskip(SKIP_1) | instid1(VALU_DEP_1)
	v_mov_b32_e32 v121, v115
	v_pk_mul_f32 v[114:115], v[116:117], v[106:107] op_sel:[0,1]
	v_pk_fma_f32 v[118:119], v[116:117], v[104:105], v[114:115] op_sel:[0,0,1] op_sel_hi:[1,1,0] neg_lo:[0,0,1] neg_hi:[0,0,1]
	v_pk_fma_f32 v[114:115], v[116:117], v[104:105], v[114:115] op_sel:[0,0,1] op_sel_hi:[1,0,0]
	s_delay_alu instid0(VALU_DEP_1)
	v_mov_b32_e32 v119, v115
	ds_load_2addr_b64 v[114:117], v108 offset0:23 offset1:24
	v_pk_add_f32 v[70:71], v[70:71], v[120:121] neg_lo:[0,1] neg_hi:[0,1]
	v_pk_add_f32 v[72:73], v[72:73], v[118:119] neg_lo:[0,1] neg_hi:[0,1]
	s_wait_dscnt 0x0
	v_pk_mul_f32 v[118:119], v[114:115], v[106:107] op_sel:[0,1]
	s_delay_alu instid0(VALU_DEP_1) | instskip(SKIP_1) | instid1(VALU_DEP_1)
	v_pk_fma_f32 v[120:121], v[114:115], v[104:105], v[118:119] op_sel:[0,0,1] op_sel_hi:[1,1,0] neg_lo:[0,0,1] neg_hi:[0,0,1]
	v_pk_fma_f32 v[114:115], v[114:115], v[104:105], v[118:119] op_sel:[0,0,1] op_sel_hi:[1,0,0]
	v_mov_b32_e32 v121, v115
	v_pk_mul_f32 v[114:115], v[116:117], v[106:107] op_sel:[0,1]
	s_delay_alu instid0(VALU_DEP_1) | instskip(SKIP_1) | instid1(VALU_DEP_1)
	v_pk_fma_f32 v[118:119], v[116:117], v[104:105], v[114:115] op_sel:[0,0,1] op_sel_hi:[1,1,0] neg_lo:[0,0,1] neg_hi:[0,0,1]
	v_pk_fma_f32 v[114:115], v[116:117], v[104:105], v[114:115] op_sel:[0,0,1] op_sel_hi:[1,0,0]
	v_mov_b32_e32 v119, v115
	ds_load_2addr_b64 v[114:117], v108 offset0:25 offset1:26
	v_pk_add_f32 v[68:69], v[68:69], v[120:121] neg_lo:[0,1] neg_hi:[0,1]
	v_pk_add_f32 v[56:57], v[56:57], v[118:119] neg_lo:[0,1] neg_hi:[0,1]
	s_wait_dscnt 0x0
	v_dual_mul_f32 v118, v115, v107 :: v_dual_mul_f32 v120, v115, v104
	s_delay_alu instid0(VALU_DEP_1) | instskip(NEXT) | instid1(VALU_DEP_2)
	v_pk_fma_f32 v[118:119], v[114:115], v[58:59], v[118:119] op_sel_hi:[1,1,0] neg_lo:[0,0,1] neg_hi:[0,0,1]
	v_pk_fma_f32 v[114:115], v[114:115], v[58:59], v[120:121] op_sel:[1,0,0] op_sel_hi:[0,1,0]
	s_delay_alu instid0(VALU_DEP_1) | instskip(SKIP_1) | instid1(VALU_DEP_2)
	v_mov_b32_e32 v119, v115
	v_pk_mul_f32 v[114:115], v[116:117], v[106:107] op_sel:[0,1]
	v_pk_add_f32 v[48:49], v[48:49], v[118:119] neg_lo:[0,1] neg_hi:[0,1]
	s_delay_alu instid0(VALU_DEP_2) | instskip(SKIP_1) | instid1(VALU_DEP_1)
	v_pk_fma_f32 v[118:119], v[116:117], v[104:105], v[114:115] op_sel:[0,0,1] op_sel_hi:[1,1,0] neg_lo:[0,0,1] neg_hi:[0,0,1]
	v_pk_fma_f32 v[114:115], v[116:117], v[104:105], v[114:115] op_sel:[0,0,1] op_sel_hi:[1,0,0]
	v_mov_b32_e32 v119, v115
	ds_load_2addr_b64 v[114:117], v108 offset0:27 offset1:28
	v_pk_add_f32 v[54:55], v[54:55], v[118:119] neg_lo:[0,1] neg_hi:[0,1]
	s_wait_dscnt 0x0
	v_pk_mul_f32 v[118:119], v[114:115], v[106:107] op_sel:[0,1]
	s_delay_alu instid0(VALU_DEP_1) | instskip(SKIP_1) | instid1(VALU_DEP_1)
	v_pk_fma_f32 v[120:121], v[114:115], v[104:105], v[118:119] op_sel:[0,0,1] op_sel_hi:[1,1,0] neg_lo:[0,0,1] neg_hi:[0,0,1]
	v_pk_fma_f32 v[114:115], v[114:115], v[104:105], v[118:119] op_sel:[0,0,1] op_sel_hi:[1,0,0]
	v_mov_b32_e32 v121, v115
	v_pk_mul_f32 v[114:115], v[116:117], v[106:107] op_sel:[0,1]
	s_delay_alu instid0(VALU_DEP_2) | instskip(NEXT) | instid1(VALU_DEP_2)
	v_pk_add_f32 v[46:47], v[46:47], v[120:121] neg_lo:[0,1] neg_hi:[0,1]
	v_pk_fma_f32 v[118:119], v[116:117], v[104:105], v[114:115] op_sel:[0,0,1] op_sel_hi:[1,1,0] neg_lo:[0,0,1] neg_hi:[0,0,1]
	v_pk_fma_f32 v[114:115], v[116:117], v[104:105], v[114:115] op_sel:[0,0,1] op_sel_hi:[1,0,0]
	s_delay_alu instid0(VALU_DEP_1) | instskip(SKIP_4) | instid1(VALU_DEP_1)
	v_mov_b32_e32 v119, v115
	ds_load_2addr_b64 v[114:117], v108 offset0:29 offset1:30
	v_pk_add_f32 v[44:45], v[44:45], v[118:119] neg_lo:[0,1] neg_hi:[0,1]
	s_wait_dscnt 0x0
	v_pk_mul_f32 v[118:119], v[114:115], v[106:107] op_sel:[0,1]
	v_pk_fma_f32 v[120:121], v[114:115], v[104:105], v[118:119] op_sel:[0,0,1] op_sel_hi:[1,1,0] neg_lo:[0,0,1] neg_hi:[0,0,1]
	v_pk_fma_f32 v[114:115], v[114:115], v[104:105], v[118:119] op_sel:[0,0,1] op_sel_hi:[1,0,0]
	v_dual_mul_f32 v118, v117, v107 :: v_dual_mov_b32 v114, v117
	s_delay_alu instid0(VALU_DEP_2) | instskip(NEXT) | instid1(VALU_DEP_2)
	v_dual_mov_b32 v121, v115 :: v_dual_mov_b32 v115, v116
	v_pk_fma_f32 v[118:119], v[116:117], v[58:59], v[118:119] op_sel_hi:[1,1,0] neg_lo:[0,0,1] neg_hi:[0,0,1]
	v_mul_f32_e32 v116, v117, v104
	s_delay_alu instid0(VALU_DEP_3) | instskip(NEXT) | instid1(VALU_DEP_2)
	v_pk_add_f32 v[40:41], v[40:41], v[120:121] neg_lo:[0,1] neg_hi:[0,1]
	v_pk_fma_f32 v[114:115], v[114:115], v[58:59], v[116:117] op_sel_hi:[1,1,0]
	s_delay_alu instid0(VALU_DEP_1) | instskip(SKIP_4) | instid1(VALU_DEP_1)
	v_mov_b32_e32 v119, v115
	ds_load_2addr_b64 v[114:117], v108 offset0:31 offset1:32
	v_pk_add_f32 v[42:43], v[42:43], v[118:119] neg_lo:[0,1] neg_hi:[0,1]
	s_wait_dscnt 0x0
	v_pk_mul_f32 v[118:119], v[114:115], v[106:107] op_sel:[0,1]
	v_pk_fma_f32 v[120:121], v[114:115], v[104:105], v[118:119] op_sel:[0,0,1] op_sel_hi:[1,1,0] neg_lo:[0,0,1] neg_hi:[0,0,1]
	v_pk_fma_f32 v[114:115], v[114:115], v[104:105], v[118:119] op_sel:[0,0,1] op_sel_hi:[1,0,0]
	s_delay_alu instid0(VALU_DEP_1) | instskip(SKIP_1) | instid1(VALU_DEP_1)
	v_mov_b32_e32 v121, v115
	v_pk_mul_f32 v[114:115], v[116:117], v[106:107] op_sel:[0,1]
	v_pk_fma_f32 v[118:119], v[116:117], v[104:105], v[114:115] op_sel:[0,0,1] op_sel_hi:[1,1,0] neg_lo:[0,0,1] neg_hi:[0,0,1]
	v_pk_fma_f32 v[114:115], v[116:117], v[104:105], v[114:115] op_sel:[0,0,1] op_sel_hi:[1,0,0]
	s_delay_alu instid0(VALU_DEP_1)
	v_mov_b32_e32 v119, v115
	ds_load_2addr_b64 v[114:117], v108 offset0:33 offset1:34
	v_pk_add_f32 v[38:39], v[38:39], v[120:121] neg_lo:[0,1] neg_hi:[0,1]
	v_pk_add_f32 v[36:37], v[36:37], v[118:119] neg_lo:[0,1] neg_hi:[0,1]
	s_wait_dscnt 0x0
	v_pk_mul_f32 v[118:119], v[114:115], v[106:107] op_sel:[0,1]
	s_delay_alu instid0(VALU_DEP_1) | instskip(SKIP_1) | instid1(VALU_DEP_1)
	v_pk_fma_f32 v[120:121], v[114:115], v[104:105], v[118:119] op_sel:[0,0,1] op_sel_hi:[1,1,0] neg_lo:[0,0,1] neg_hi:[0,0,1]
	v_pk_fma_f32 v[114:115], v[114:115], v[104:105], v[118:119] op_sel:[0,0,1] op_sel_hi:[1,0,0]
	v_mov_b32_e32 v121, v115
	v_pk_mul_f32 v[114:115], v[116:117], v[106:107] op_sel:[0,1]
	s_delay_alu instid0(VALU_DEP_1) | instskip(SKIP_1) | instid1(VALU_DEP_1)
	v_pk_fma_f32 v[118:119], v[116:117], v[104:105], v[114:115] op_sel:[0,0,1] op_sel_hi:[1,1,0] neg_lo:[0,0,1] neg_hi:[0,0,1]
	v_pk_fma_f32 v[114:115], v[116:117], v[104:105], v[114:115] op_sel:[0,0,1] op_sel_hi:[1,0,0]
	v_mov_b32_e32 v119, v115
	ds_load_2addr_b64 v[114:117], v108 offset0:35 offset1:36
	v_pk_add_f32 v[32:33], v[32:33], v[120:121] neg_lo:[0,1] neg_hi:[0,1]
	v_pk_add_f32 v[34:35], v[34:35], v[118:119] neg_lo:[0,1] neg_hi:[0,1]
	s_wait_dscnt 0x0
	v_dual_mul_f32 v118, v115, v107 :: v_dual_mul_f32 v120, v115, v104
	s_delay_alu instid0(VALU_DEP_1) | instskip(NEXT) | instid1(VALU_DEP_2)
	v_pk_fma_f32 v[118:119], v[114:115], v[58:59], v[118:119] op_sel_hi:[1,1,0] neg_lo:[0,0,1] neg_hi:[0,0,1]
	v_pk_fma_f32 v[114:115], v[114:115], v[58:59], v[120:121] op_sel:[1,0,0] op_sel_hi:[0,1,0]
	s_delay_alu instid0(VALU_DEP_1) | instskip(SKIP_1) | instid1(VALU_DEP_2)
	v_mov_b32_e32 v119, v115
	v_pk_mul_f32 v[114:115], v[116:117], v[106:107] op_sel:[0,1]
	v_pk_add_f32 v[30:31], v[30:31], v[118:119] neg_lo:[0,1] neg_hi:[0,1]
	s_delay_alu instid0(VALU_DEP_2) | instskip(SKIP_1) | instid1(VALU_DEP_1)
	v_pk_fma_f32 v[118:119], v[116:117], v[104:105], v[114:115] op_sel:[0,0,1] op_sel_hi:[1,1,0] neg_lo:[0,0,1] neg_hi:[0,0,1]
	v_pk_fma_f32 v[114:115], v[116:117], v[104:105], v[114:115] op_sel:[0,0,1] op_sel_hi:[1,0,0]
	v_mov_b32_e32 v119, v115
	ds_load_2addr_b64 v[114:117], v108 offset0:37 offset1:38
	v_pk_add_f32 v[26:27], v[26:27], v[118:119] neg_lo:[0,1] neg_hi:[0,1]
	s_wait_dscnt 0x0
	v_pk_mul_f32 v[118:119], v[114:115], v[106:107] op_sel:[0,1]
	s_delay_alu instid0(VALU_DEP_1) | instskip(SKIP_1) | instid1(VALU_DEP_1)
	v_pk_fma_f32 v[120:121], v[114:115], v[104:105], v[118:119] op_sel:[0,0,1] op_sel_hi:[1,1,0] neg_lo:[0,0,1] neg_hi:[0,0,1]
	v_pk_fma_f32 v[114:115], v[114:115], v[104:105], v[118:119] op_sel:[0,0,1] op_sel_hi:[1,0,0]
	v_mov_b32_e32 v121, v115
	v_pk_mul_f32 v[114:115], v[116:117], v[106:107] op_sel:[0,1]
	s_delay_alu instid0(VALU_DEP_2) | instskip(NEXT) | instid1(VALU_DEP_2)
	v_pk_add_f32 v[22:23], v[22:23], v[120:121] neg_lo:[0,1] neg_hi:[0,1]
	v_pk_fma_f32 v[118:119], v[116:117], v[104:105], v[114:115] op_sel:[0,0,1] op_sel_hi:[1,1,0] neg_lo:[0,0,1] neg_hi:[0,0,1]
	v_pk_fma_f32 v[114:115], v[116:117], v[104:105], v[114:115] op_sel:[0,0,1] op_sel_hi:[1,0,0]
	s_delay_alu instid0(VALU_DEP_1) | instskip(SKIP_4) | instid1(VALU_DEP_1)
	v_mov_b32_e32 v119, v115
	ds_load_2addr_b64 v[114:117], v108 offset0:39 offset1:40
	v_pk_add_f32 v[24:25], v[24:25], v[118:119] neg_lo:[0,1] neg_hi:[0,1]
	s_wait_dscnt 0x0
	v_pk_mul_f32 v[118:119], v[114:115], v[106:107] op_sel:[0,1]
	v_pk_fma_f32 v[120:121], v[114:115], v[104:105], v[118:119] op_sel:[0,0,1] op_sel_hi:[1,1,0] neg_lo:[0,0,1] neg_hi:[0,0,1]
	v_pk_fma_f32 v[114:115], v[114:115], v[104:105], v[118:119] op_sel:[0,0,1] op_sel_hi:[1,0,0]
	v_dual_mul_f32 v118, v117, v107 :: v_dual_mov_b32 v114, v117
	s_delay_alu instid0(VALU_DEP_2) | instskip(NEXT) | instid1(VALU_DEP_2)
	v_dual_mov_b32 v121, v115 :: v_dual_mov_b32 v115, v116
	v_pk_fma_f32 v[118:119], v[116:117], v[58:59], v[118:119] op_sel_hi:[1,1,0] neg_lo:[0,0,1] neg_hi:[0,0,1]
	v_mul_f32_e32 v116, v117, v104
	s_delay_alu instid0(VALU_DEP_3) | instskip(NEXT) | instid1(VALU_DEP_2)
	v_pk_add_f32 v[20:21], v[20:21], v[120:121] neg_lo:[0,1] neg_hi:[0,1]
	v_pk_fma_f32 v[114:115], v[114:115], v[58:59], v[116:117] op_sel_hi:[1,1,0]
	s_delay_alu instid0(VALU_DEP_1) | instskip(SKIP_4) | instid1(VALU_DEP_1)
	v_mov_b32_e32 v119, v115
	ds_load_2addr_b64 v[114:117], v108 offset0:41 offset1:42
	v_pk_add_f32 v[14:15], v[14:15], v[118:119] neg_lo:[0,1] neg_hi:[0,1]
	s_wait_dscnt 0x0
	v_pk_mul_f32 v[118:119], v[114:115], v[106:107] op_sel:[0,1]
	v_pk_fma_f32 v[120:121], v[114:115], v[104:105], v[118:119] op_sel:[0,0,1] op_sel_hi:[1,1,0] neg_lo:[0,0,1] neg_hi:[0,0,1]
	v_pk_fma_f32 v[114:115], v[114:115], v[104:105], v[118:119] op_sel:[0,0,1] op_sel_hi:[1,0,0]
	s_delay_alu instid0(VALU_DEP_1) | instskip(SKIP_1) | instid1(VALU_DEP_1)
	v_mov_b32_e32 v121, v115
	v_pk_mul_f32 v[114:115], v[116:117], v[106:107] op_sel:[0,1]
	v_pk_fma_f32 v[118:119], v[116:117], v[104:105], v[114:115] op_sel:[0,0,1] op_sel_hi:[1,1,0] neg_lo:[0,0,1] neg_hi:[0,0,1]
	v_pk_fma_f32 v[114:115], v[116:117], v[104:105], v[114:115] op_sel:[0,0,1] op_sel_hi:[1,0,0]
	s_delay_alu instid0(VALU_DEP_1)
	v_mov_b32_e32 v119, v115
	ds_load_2addr_b64 v[114:117], v108 offset0:43 offset1:44
	v_pk_add_f32 v[10:11], v[10:11], v[120:121] neg_lo:[0,1] neg_hi:[0,1]
	v_pk_add_f32 v[12:13], v[12:13], v[118:119] neg_lo:[0,1] neg_hi:[0,1]
	s_wait_dscnt 0x0
	v_pk_mul_f32 v[118:119], v[114:115], v[106:107] op_sel:[0,1]
	s_delay_alu instid0(VALU_DEP_1) | instskip(SKIP_1) | instid1(VALU_DEP_1)
	v_pk_fma_f32 v[120:121], v[114:115], v[104:105], v[118:119] op_sel:[0,0,1] op_sel_hi:[1,1,0] neg_lo:[0,0,1] neg_hi:[0,0,1]
	v_pk_fma_f32 v[114:115], v[114:115], v[104:105], v[118:119] op_sel:[0,0,1] op_sel_hi:[1,0,0]
	v_mov_b32_e32 v121, v115
	v_pk_mul_f32 v[114:115], v[116:117], v[106:107] op_sel:[0,1]
	s_delay_alu instid0(VALU_DEP_1) | instskip(SKIP_1) | instid1(VALU_DEP_1)
	v_pk_fma_f32 v[118:119], v[116:117], v[104:105], v[114:115] op_sel:[0,0,1] op_sel_hi:[1,1,0] neg_lo:[0,0,1] neg_hi:[0,0,1]
	v_pk_fma_f32 v[114:115], v[116:117], v[104:105], v[114:115] op_sel:[0,0,1] op_sel_hi:[1,0,0]
	v_mov_b32_e32 v119, v115
	ds_load_2addr_b64 v[114:117], v108 offset0:45 offset1:46
	v_pk_add_f32 v[8:9], v[8:9], v[120:121] neg_lo:[0,1] neg_hi:[0,1]
	v_pk_add_f32 v[6:7], v[6:7], v[118:119] neg_lo:[0,1] neg_hi:[0,1]
	s_wait_dscnt 0x0
	v_dual_mul_f32 v118, v115, v107 :: v_dual_mul_f32 v120, v115, v104
	s_delay_alu instid0(VALU_DEP_1) | instskip(NEXT) | instid1(VALU_DEP_2)
	v_pk_fma_f32 v[118:119], v[114:115], v[58:59], v[118:119] op_sel_hi:[1,1,0] neg_lo:[0,0,1] neg_hi:[0,0,1]
	v_pk_fma_f32 v[114:115], v[114:115], v[58:59], v[120:121] op_sel:[1,0,0] op_sel_hi:[0,1,0]
	s_delay_alu instid0(VALU_DEP_1) | instskip(SKIP_1) | instid1(VALU_DEP_2)
	v_mov_b32_e32 v119, v115
	v_pk_mul_f32 v[114:115], v[116:117], v[106:107] op_sel:[0,1]
	v_pk_add_f32 v[28:29], v[28:29], v[118:119] neg_lo:[0,1] neg_hi:[0,1]
	s_delay_alu instid0(VALU_DEP_2) | instskip(SKIP_1) | instid1(VALU_DEP_1)
	v_pk_fma_f32 v[118:119], v[116:117], v[104:105], v[114:115] op_sel:[0,0,1] op_sel_hi:[1,1,0] neg_lo:[0,0,1] neg_hi:[0,0,1]
	v_pk_fma_f32 v[114:115], v[116:117], v[104:105], v[114:115] op_sel:[0,0,1] op_sel_hi:[1,0,0]
	v_mov_b32_e32 v119, v115
	ds_load_2addr_b64 v[114:117], v108 offset0:47 offset1:48
	v_pk_add_f32 v[18:19], v[18:19], v[118:119] neg_lo:[0,1] neg_hi:[0,1]
	s_wait_dscnt 0x0
	v_pk_mul_f32 v[118:119], v[114:115], v[106:107] op_sel:[0,1]
	v_mul_f32_e32 v106, v117, v107
	s_delay_alu instid0(VALU_DEP_2) | instskip(SKIP_2) | instid1(VALU_DEP_4)
	v_pk_fma_f32 v[120:121], v[114:115], v[104:105], v[118:119] op_sel:[0,0,1] op_sel_hi:[1,1,0] neg_lo:[0,0,1] neg_hi:[0,0,1]
	v_pk_fma_f32 v[114:115], v[114:115], v[104:105], v[118:119] op_sel:[0,0,1] op_sel_hi:[1,0,0]
	v_dual_mov_b32 v114, v117 :: v_dual_mul_f32 v104, v117, v104
	v_pk_fma_f32 v[106:107], v[116:117], v[58:59], v[106:107] op_sel_hi:[1,1,0] neg_lo:[0,0,1] neg_hi:[0,0,1]
	s_delay_alu instid0(VALU_DEP_3) | instskip(NEXT) | instid1(VALU_DEP_1)
	v_dual_mov_b32 v121, v115 :: v_dual_mov_b32 v115, v116
	v_pk_add_f32 v[16:17], v[16:17], v[120:121] neg_lo:[0,1] neg_hi:[0,1]
	s_delay_alu instid0(VALU_DEP_2) | instskip(NEXT) | instid1(VALU_DEP_1)
	v_pk_fma_f32 v[104:105], v[114:115], v[58:59], v[104:105] op_sel_hi:[1,1,0]
	v_mov_b32_e32 v107, v105
	s_delay_alu instid0(VALU_DEP_1)
	v_pk_add_f32 v[102:103], v[102:103], v[106:107] neg_lo:[0,1] neg_hi:[0,1]
.LBB96_146:
	s_or_b32 exec_lo, exec_lo, s0
	v_lshl_add_u32 v104, v112, 3, v108
	s_barrier_signal -1
	s_barrier_wait -1
	ds_store_b64 v104, v[50:51]
	s_wait_dscnt 0x0
	s_barrier_signal -1
	s_barrier_wait -1
	ds_load_b64 v[106:107], v108 offset:56
	v_mov_b32_e32 v104, 7
	s_cmp_lt_i32 s18, 9
	s_cbranch_scc1 .LBB96_149
; %bb.147:
	v_add3_u32 v105, v109, 0, 64
	v_mov_b32_e32 v104, 7
	s_mov_b32 s0, 8
.LBB96_148:                             ; =>This Inner Loop Header: Depth=1
	ds_load_b64 v[114:115], v105
	s_wait_dscnt 0x1
	v_cmp_gt_f32_e32 vcc_lo, 0, v106
	v_cndmask_b32_e64 v116, v106, -v106, vcc_lo
	v_cmp_gt_f32_e32 vcc_lo, 0, v107
	v_cndmask_b32_e64 v118, v107, -v107, vcc_lo
	s_wait_dscnt 0x0
	v_cmp_gt_f32_e32 vcc_lo, 0, v114
	v_cndmask_b32_e64 v117, v114, -v114, vcc_lo
	v_cmp_gt_f32_e32 vcc_lo, 0, v115
	v_cndmask_b32_e64 v119, v115, -v115, vcc_lo
	s_delay_alu instid0(VALU_DEP_1) | instskip(NEXT) | instid1(VALU_DEP_1)
	v_pk_add_f32 v[116:117], v[116:117], v[118:119]
	v_cmp_lt_f32_e32 vcc_lo, v116, v117
	v_dual_add_nc_u32 v105, 8, v105 :: v_dual_cndmask_b32 v107, v107, v115, vcc_lo
	v_cndmask_b32_e32 v106, v106, v114, vcc_lo
	v_cndmask_b32_e64 v104, v104, s0, vcc_lo
	s_add_co_i32 s0, s0, 1
	s_delay_alu instid0(SALU_CYCLE_1)
	s_cmp_lg_u32 s18, s0
	s_cbranch_scc1 .LBB96_148
.LBB96_149:
	s_wait_dscnt 0x0
	v_cmp_eq_f32_e32 vcc_lo, 0, v106
	v_cmp_eq_f32_e64 s0, 0, v107
	s_and_b32 s0, vcc_lo, s0
	s_delay_alu instid0(SALU_CYCLE_1) | instskip(NEXT) | instid1(SALU_CYCLE_1)
	s_and_saveexec_b32 s1, s0
	s_xor_b32 s0, exec_lo, s1
; %bb.150:
	v_cmp_ne_u32_e32 vcc_lo, 0, v110
	v_cndmask_b32_e32 v110, 8, v110, vcc_lo
; %bb.151:
	s_and_not1_saveexec_b32 s0, s0
	s_cbranch_execz .LBB96_157
; %bb.152:
	v_cmp_ngt_f32_e64 s1, |v106|, |v107|
	s_and_saveexec_b32 s12, s1
	s_delay_alu instid0(SALU_CYCLE_1)
	s_xor_b32 s1, exec_lo, s12
	s_cbranch_execz .LBB96_154
; %bb.153:
	v_div_scale_f32 v105, null, v107, v107, v106
	v_div_scale_f32 v115, vcc_lo, v106, v107, v106
	s_delay_alu instid0(VALU_DEP_2) | instskip(SKIP_1) | instid1(TRANS32_DEP_1)
	v_rcp_f32_e32 v113, v105
	v_nop
	v_fma_f32 v114, -v105, v113, 1.0
	s_delay_alu instid0(VALU_DEP_1) | instskip(NEXT) | instid1(VALU_DEP_1)
	v_fmac_f32_e32 v113, v114, v113
	v_mul_f32_e32 v114, v115, v113
	s_delay_alu instid0(VALU_DEP_1) | instskip(NEXT) | instid1(VALU_DEP_1)
	v_fma_f32 v116, -v105, v114, v115
	v_fmac_f32_e32 v114, v116, v113
	s_delay_alu instid0(VALU_DEP_1) | instskip(NEXT) | instid1(VALU_DEP_1)
	v_fma_f32 v105, -v105, v114, v115
	v_div_fmas_f32 v105, v105, v113, v114
	s_delay_alu instid0(VALU_DEP_1) | instskip(NEXT) | instid1(VALU_DEP_1)
	v_div_fixup_f32 v105, v105, v107, v106
	v_fmac_f32_e32 v107, v106, v105
	s_delay_alu instid0(VALU_DEP_1) | instskip(SKIP_1) | instid1(VALU_DEP_2)
	v_div_scale_f32 v106, null, v107, v107, 1.0
	v_div_scale_f32 v115, vcc_lo, 1.0, v107, 1.0
	v_rcp_f32_e32 v113, v106
	v_nop
	s_delay_alu instid0(TRANS32_DEP_1) | instskip(NEXT) | instid1(VALU_DEP_1)
	v_fma_f32 v114, -v106, v113, 1.0
	v_fmac_f32_e32 v113, v114, v113
	s_delay_alu instid0(VALU_DEP_1) | instskip(NEXT) | instid1(VALU_DEP_1)
	v_mul_f32_e32 v114, v115, v113
	v_fma_f32 v116, -v106, v114, v115
	s_delay_alu instid0(VALU_DEP_1) | instskip(NEXT) | instid1(VALU_DEP_1)
	v_fmac_f32_e32 v114, v116, v113
	v_fma_f32 v106, -v106, v114, v115
	s_delay_alu instid0(VALU_DEP_1) | instskip(NEXT) | instid1(VALU_DEP_1)
	v_div_fmas_f32 v106, v106, v113, v114
	v_div_fixup_f32 v107, v106, v107, 1.0
	s_delay_alu instid0(VALU_DEP_1)
	v_mul_f32_e32 v106, v105, v107
	v_xor_b32_e32 v107, 0x80000000, v107
.LBB96_154:
	s_and_not1_saveexec_b32 s1, s1
	s_cbranch_execz .LBB96_156
; %bb.155:
	s_delay_alu instid0(VALU_DEP_1) | instskip(SKIP_1) | instid1(VALU_DEP_2)
	v_div_scale_f32 v105, null, v106, v106, v107
	v_div_scale_f32 v115, vcc_lo, v107, v106, v107
	v_rcp_f32_e32 v113, v105
	v_nop
	s_delay_alu instid0(TRANS32_DEP_1) | instskip(NEXT) | instid1(VALU_DEP_1)
	v_fma_f32 v114, -v105, v113, 1.0
	v_fmac_f32_e32 v113, v114, v113
	s_delay_alu instid0(VALU_DEP_1) | instskip(NEXT) | instid1(VALU_DEP_1)
	v_mul_f32_e32 v114, v115, v113
	v_fma_f32 v116, -v105, v114, v115
	s_delay_alu instid0(VALU_DEP_1) | instskip(NEXT) | instid1(VALU_DEP_1)
	v_fmac_f32_e32 v114, v116, v113
	v_fma_f32 v105, -v105, v114, v115
	s_delay_alu instid0(VALU_DEP_1) | instskip(NEXT) | instid1(VALU_DEP_1)
	v_div_fmas_f32 v105, v105, v113, v114
	v_div_fixup_f32 v105, v105, v106, v107
	s_delay_alu instid0(VALU_DEP_1) | instskip(NEXT) | instid1(VALU_DEP_1)
	v_fmac_f32_e32 v106, v107, v105
	v_div_scale_f32 v107, null, v106, v106, 1.0
	s_delay_alu instid0(VALU_DEP_1) | instskip(SKIP_1) | instid1(TRANS32_DEP_1)
	v_rcp_f32_e32 v113, v107
	v_nop
	v_fma_f32 v114, -v107, v113, 1.0
	s_delay_alu instid0(VALU_DEP_1) | instskip(SKIP_1) | instid1(VALU_DEP_1)
	v_fmac_f32_e32 v113, v114, v113
	v_div_scale_f32 v114, vcc_lo, 1.0, v106, 1.0
	v_mul_f32_e32 v115, v114, v113
	s_delay_alu instid0(VALU_DEP_1) | instskip(NEXT) | instid1(VALU_DEP_1)
	v_fma_f32 v116, -v107, v115, v114
	v_fmac_f32_e32 v115, v116, v113
	s_delay_alu instid0(VALU_DEP_1) | instskip(NEXT) | instid1(VALU_DEP_1)
	v_fma_f32 v107, -v107, v115, v114
	v_div_fmas_f32 v107, v107, v113, v115
	s_delay_alu instid0(VALU_DEP_1) | instskip(NEXT) | instid1(VALU_DEP_1)
	v_div_fixup_f32 v106, v107, v106, 1.0
	v_mul_f32_e64 v107, v105, -v106
.LBB96_156:
	s_or_b32 exec_lo, exec_lo, s1
.LBB96_157:
	s_delay_alu instid0(SALU_CYCLE_1) | instskip(NEXT) | instid1(SALU_CYCLE_1)
	s_or_b32 exec_lo, exec_lo, s0
	s_mov_b32 s0, exec_lo
	v_cmpx_ne_u32_e64 v112, v104
	s_xor_b32 s0, exec_lo, s0
	s_cbranch_execz .LBB96_163
; %bb.158:
	s_mov_b32 s1, exec_lo
	v_cmpx_eq_u32_e32 7, v112
	s_cbranch_execz .LBB96_162
; %bb.159:
	v_cmp_ne_u32_e32 vcc_lo, 7, v104
	s_xor_b32 s12, s16, -1
	s_delay_alu instid0(SALU_CYCLE_1) | instskip(NEXT) | instid1(SALU_CYCLE_1)
	s_and_b32 s13, s12, vcc_lo
	s_and_saveexec_b32 s12, s13
	s_cbranch_execz .LBB96_161
; %bb.160:
	v_ashrrev_i32_e32 v105, 31, v104
	s_delay_alu instid0(VALU_DEP_1)
	v_lshl_add_u64 v[112:113], v[104:105], 2, v[4:5]
	s_clause 0x1
	global_load_b32 v105, v[112:113], off
	global_load_b32 v111, v[4:5], off offset:28
	s_wait_loadcnt 0x1
	global_store_b32 v[4:5], v105, off offset:28
	s_wait_loadcnt 0x0
	global_store_b32 v[112:113], v111, off
.LBB96_161:
	s_wait_xcnt 0x0
	s_or_b32 exec_lo, exec_lo, s12
	v_dual_mov_b32 v112, v104 :: v_dual_mov_b32 v111, v104
.LBB96_162:
	s_or_b32 exec_lo, exec_lo, s1
.LBB96_163:
	s_and_not1_saveexec_b32 s0, s0
	s_cbranch_execz .LBB96_165
; %bb.164:
	v_dual_mov_b32 v104, v66 :: v_dual_mov_b32 v105, v67
	v_dual_mov_b32 v112, v62 :: v_dual_mov_b32 v113, v63
	ds_store_2addr_b64 v108, v[104:105], v[112:113] offset0:8 offset1:9
	v_dual_mov_b32 v104, v64 :: v_dual_mov_b32 v105, v65
	v_dual_mov_b32 v112, v60 :: v_dual_mov_b32 v113, v61
	ds_store_2addr_b64 v108, v[104:105], v[112:113] offset0:10 offset1:11
	;; [unrolled: 3-line block ×20, first 2 shown]
	ds_store_b64 v108, v[102:103] offset:384
	v_mov_b32_e32 v112, 7
.LBB96_165:
	s_or_b32 exec_lo, exec_lo, s0
	s_delay_alu instid0(SALU_CYCLE_1)
	s_mov_b32 s0, exec_lo
	s_wait_storecnt_dscnt 0x0
	s_barrier_signal -1
	s_barrier_wait -1
	v_cmpx_lt_i32_e32 7, v112
	s_cbranch_execz .LBB96_167
; %bb.166:
	v_pk_mul_f32 v[114:115], v[106:107], v[50:51] op_sel:[1,1] op_sel_hi:[0,1]
	s_delay_alu instid0(VALU_DEP_1)
	v_pk_fma_f32 v[104:105], v[106:107], v[50:51], v[114:115] op_sel_hi:[1,0,1] neg_lo:[0,0,1] neg_hi:[0,0,1]
	v_pk_fma_f32 v[106:107], v[106:107], v[50:51], v[114:115] op_sel_hi:[1,0,1]
	ds_load_2addr_b64 v[114:117], v108 offset0:8 offset1:9
	v_dual_mov_b32 v50, v104 :: v_dual_mov_b32 v51, v107
	s_wait_dscnt 0x0
	v_pk_mul_f32 v[118:119], v[114:115], v[106:107] op_sel:[0,1]
	s_delay_alu instid0(VALU_DEP_1) | instskip(SKIP_1) | instid1(VALU_DEP_1)
	v_pk_fma_f32 v[120:121], v[114:115], v[104:105], v[118:119] op_sel:[0,0,1] op_sel_hi:[1,1,0] neg_lo:[0,0,1] neg_hi:[0,0,1]
	v_pk_fma_f32 v[114:115], v[114:115], v[104:105], v[118:119] op_sel:[0,0,1] op_sel_hi:[1,0,0]
	v_mov_b32_e32 v121, v115
	v_pk_mul_f32 v[114:115], v[116:117], v[106:107] op_sel:[0,1]
	s_delay_alu instid0(VALU_DEP_1) | instskip(SKIP_1) | instid1(VALU_DEP_1)
	v_pk_fma_f32 v[118:119], v[116:117], v[104:105], v[114:115] op_sel:[0,0,1] op_sel_hi:[1,1,0] neg_lo:[0,0,1] neg_hi:[0,0,1]
	v_pk_fma_f32 v[114:115], v[116:117], v[104:105], v[114:115] op_sel:[0,0,1] op_sel_hi:[1,0,0]
	v_mov_b32_e32 v119, v115
	ds_load_2addr_b64 v[114:117], v108 offset0:10 offset1:11
	v_pk_add_f32 v[66:67], v[66:67], v[120:121] neg_lo:[0,1] neg_hi:[0,1]
	v_pk_add_f32 v[62:63], v[62:63], v[118:119] neg_lo:[0,1] neg_hi:[0,1]
	s_wait_dscnt 0x0
	v_pk_mul_f32 v[118:119], v[114:115], v[106:107] op_sel:[0,1]
	s_delay_alu instid0(VALU_DEP_1) | instskip(SKIP_2) | instid1(VALU_DEP_2)
	v_pk_fma_f32 v[120:121], v[114:115], v[104:105], v[118:119] op_sel:[0,0,1] op_sel_hi:[1,1,0] neg_lo:[0,0,1] neg_hi:[0,0,1]
	v_pk_fma_f32 v[114:115], v[114:115], v[104:105], v[118:119] op_sel:[0,0,1] op_sel_hi:[1,0,0]
	v_dual_mul_f32 v118, v117, v107 :: v_dual_mov_b32 v114, v117
	v_dual_mov_b32 v121, v115 :: v_dual_mov_b32 v115, v116
	s_delay_alu instid0(VALU_DEP_2) | instskip(SKIP_1) | instid1(VALU_DEP_3)
	v_pk_fma_f32 v[118:119], v[116:117], v[50:51], v[118:119] op_sel_hi:[1,1,0] neg_lo:[0,0,1] neg_hi:[0,0,1]
	v_mul_f32_e32 v116, v117, v104
	v_pk_add_f32 v[64:65], v[64:65], v[120:121] neg_lo:[0,1] neg_hi:[0,1]
	s_delay_alu instid0(VALU_DEP_2) | instskip(NEXT) | instid1(VALU_DEP_1)
	v_pk_fma_f32 v[114:115], v[114:115], v[50:51], v[116:117] op_sel_hi:[1,1,0]
	v_mov_b32_e32 v119, v115
	ds_load_2addr_b64 v[114:117], v108 offset0:12 offset1:13
	v_pk_add_f32 v[60:61], v[60:61], v[118:119] neg_lo:[0,1] neg_hi:[0,1]
	s_wait_dscnt 0x0
	v_pk_mul_f32 v[118:119], v[114:115], v[106:107] op_sel:[0,1]
	s_delay_alu instid0(VALU_DEP_1) | instskip(SKIP_1) | instid1(VALU_DEP_1)
	v_pk_fma_f32 v[120:121], v[114:115], v[104:105], v[118:119] op_sel:[0,0,1] op_sel_hi:[1,1,0] neg_lo:[0,0,1] neg_hi:[0,0,1]
	v_pk_fma_f32 v[114:115], v[114:115], v[104:105], v[118:119] op_sel:[0,0,1] op_sel_hi:[1,0,0]
	v_mov_b32_e32 v121, v115
	v_pk_mul_f32 v[114:115], v[116:117], v[106:107] op_sel:[0,1]
	s_delay_alu instid0(VALU_DEP_1) | instskip(SKIP_1) | instid1(VALU_DEP_1)
	v_pk_fma_f32 v[118:119], v[116:117], v[104:105], v[114:115] op_sel:[0,0,1] op_sel_hi:[1,1,0] neg_lo:[0,0,1] neg_hi:[0,0,1]
	v_pk_fma_f32 v[114:115], v[116:117], v[104:105], v[114:115] op_sel:[0,0,1] op_sel_hi:[1,0,0]
	v_mov_b32_e32 v119, v115
	ds_load_2addr_b64 v[114:117], v108 offset0:14 offset1:15
	v_pk_add_f32 v[90:91], v[90:91], v[120:121] neg_lo:[0,1] neg_hi:[0,1]
	v_pk_add_f32 v[86:87], v[86:87], v[118:119] neg_lo:[0,1] neg_hi:[0,1]
	s_wait_dscnt 0x0
	v_pk_mul_f32 v[118:119], v[114:115], v[106:107] op_sel:[0,1]
	s_delay_alu instid0(VALU_DEP_1) | instskip(SKIP_1) | instid1(VALU_DEP_1)
	v_pk_fma_f32 v[120:121], v[114:115], v[104:105], v[118:119] op_sel:[0,0,1] op_sel_hi:[1,1,0] neg_lo:[0,0,1] neg_hi:[0,0,1]
	v_pk_fma_f32 v[114:115], v[114:115], v[104:105], v[118:119] op_sel:[0,0,1] op_sel_hi:[1,0,0]
	v_mov_b32_e32 v121, v115
	v_pk_mul_f32 v[114:115], v[116:117], v[106:107] op_sel:[0,1]
	s_delay_alu instid0(VALU_DEP_1) | instskip(SKIP_1) | instid1(VALU_DEP_1)
	v_pk_fma_f32 v[118:119], v[116:117], v[104:105], v[114:115] op_sel:[0,0,1] op_sel_hi:[1,1,0] neg_lo:[0,0,1] neg_hi:[0,0,1]
	v_pk_fma_f32 v[114:115], v[116:117], v[104:105], v[114:115] op_sel:[0,0,1] op_sel_hi:[1,0,0]
	v_mov_b32_e32 v119, v115
	ds_load_2addr_b64 v[114:117], v108 offset0:16 offset1:17
	v_pk_add_f32 v[88:89], v[88:89], v[120:121] neg_lo:[0,1] neg_hi:[0,1]
	v_pk_add_f32 v[84:85], v[84:85], v[118:119] neg_lo:[0,1] neg_hi:[0,1]
	s_wait_dscnt 0x0
	v_dual_mul_f32 v118, v115, v107 :: v_dual_mul_f32 v120, v115, v104
	s_delay_alu instid0(VALU_DEP_1) | instskip(NEXT) | instid1(VALU_DEP_2)
	v_pk_fma_f32 v[118:119], v[114:115], v[50:51], v[118:119] op_sel_hi:[1,1,0] neg_lo:[0,0,1] neg_hi:[0,0,1]
	v_pk_fma_f32 v[114:115], v[114:115], v[50:51], v[120:121] op_sel:[1,0,0] op_sel_hi:[0,1,0]
	s_delay_alu instid0(VALU_DEP_1) | instskip(SKIP_1) | instid1(VALU_DEP_2)
	v_mov_b32_e32 v119, v115
	v_pk_mul_f32 v[114:115], v[116:117], v[106:107] op_sel:[0,1]
	v_pk_add_f32 v[82:83], v[82:83], v[118:119] neg_lo:[0,1] neg_hi:[0,1]
	s_delay_alu instid0(VALU_DEP_2) | instskip(SKIP_1) | instid1(VALU_DEP_1)
	v_pk_fma_f32 v[118:119], v[116:117], v[104:105], v[114:115] op_sel:[0,0,1] op_sel_hi:[1,1,0] neg_lo:[0,0,1] neg_hi:[0,0,1]
	v_pk_fma_f32 v[114:115], v[116:117], v[104:105], v[114:115] op_sel:[0,0,1] op_sel_hi:[1,0,0]
	v_mov_b32_e32 v119, v115
	ds_load_2addr_b64 v[114:117], v108 offset0:18 offset1:19
	v_pk_add_f32 v[78:79], v[78:79], v[118:119] neg_lo:[0,1] neg_hi:[0,1]
	s_wait_dscnt 0x0
	v_pk_mul_f32 v[118:119], v[114:115], v[106:107] op_sel:[0,1]
	s_delay_alu instid0(VALU_DEP_1) | instskip(SKIP_1) | instid1(VALU_DEP_1)
	v_pk_fma_f32 v[120:121], v[114:115], v[104:105], v[118:119] op_sel:[0,0,1] op_sel_hi:[1,1,0] neg_lo:[0,0,1] neg_hi:[0,0,1]
	v_pk_fma_f32 v[114:115], v[114:115], v[104:105], v[118:119] op_sel:[0,0,1] op_sel_hi:[1,0,0]
	v_mov_b32_e32 v121, v115
	v_pk_mul_f32 v[114:115], v[116:117], v[106:107] op_sel:[0,1]
	s_delay_alu instid0(VALU_DEP_2) | instskip(NEXT) | instid1(VALU_DEP_2)
	v_pk_add_f32 v[80:81], v[80:81], v[120:121] neg_lo:[0,1] neg_hi:[0,1]
	v_pk_fma_f32 v[118:119], v[116:117], v[104:105], v[114:115] op_sel:[0,0,1] op_sel_hi:[1,1,0] neg_lo:[0,0,1] neg_hi:[0,0,1]
	v_pk_fma_f32 v[114:115], v[116:117], v[104:105], v[114:115] op_sel:[0,0,1] op_sel_hi:[1,0,0]
	s_delay_alu instid0(VALU_DEP_1) | instskip(SKIP_4) | instid1(VALU_DEP_1)
	v_mov_b32_e32 v119, v115
	ds_load_2addr_b64 v[114:117], v108 offset0:20 offset1:21
	v_pk_add_f32 v[76:77], v[76:77], v[118:119] neg_lo:[0,1] neg_hi:[0,1]
	s_wait_dscnt 0x0
	v_pk_mul_f32 v[118:119], v[114:115], v[106:107] op_sel:[0,1]
	v_pk_fma_f32 v[120:121], v[114:115], v[104:105], v[118:119] op_sel:[0,0,1] op_sel_hi:[1,1,0] neg_lo:[0,0,1] neg_hi:[0,0,1]
	v_pk_fma_f32 v[114:115], v[114:115], v[104:105], v[118:119] op_sel:[0,0,1] op_sel_hi:[1,0,0]
	v_dual_mul_f32 v118, v117, v107 :: v_dual_mov_b32 v114, v117
	s_delay_alu instid0(VALU_DEP_2) | instskip(NEXT) | instid1(VALU_DEP_2)
	v_dual_mov_b32 v121, v115 :: v_dual_mov_b32 v115, v116
	v_pk_fma_f32 v[118:119], v[116:117], v[50:51], v[118:119] op_sel_hi:[1,1,0] neg_lo:[0,0,1] neg_hi:[0,0,1]
	v_mul_f32_e32 v116, v117, v104
	s_delay_alu instid0(VALU_DEP_3) | instskip(NEXT) | instid1(VALU_DEP_2)
	v_pk_add_f32 v[74:75], v[74:75], v[120:121] neg_lo:[0,1] neg_hi:[0,1]
	v_pk_fma_f32 v[114:115], v[114:115], v[50:51], v[116:117] op_sel_hi:[1,1,0]
	s_delay_alu instid0(VALU_DEP_1) | instskip(SKIP_4) | instid1(VALU_DEP_1)
	v_mov_b32_e32 v119, v115
	ds_load_2addr_b64 v[114:117], v108 offset0:22 offset1:23
	v_pk_add_f32 v[70:71], v[70:71], v[118:119] neg_lo:[0,1] neg_hi:[0,1]
	s_wait_dscnt 0x0
	v_pk_mul_f32 v[118:119], v[114:115], v[106:107] op_sel:[0,1]
	v_pk_fma_f32 v[120:121], v[114:115], v[104:105], v[118:119] op_sel:[0,0,1] op_sel_hi:[1,1,0] neg_lo:[0,0,1] neg_hi:[0,0,1]
	v_pk_fma_f32 v[114:115], v[114:115], v[104:105], v[118:119] op_sel:[0,0,1] op_sel_hi:[1,0,0]
	s_delay_alu instid0(VALU_DEP_1) | instskip(SKIP_1) | instid1(VALU_DEP_1)
	v_mov_b32_e32 v121, v115
	v_pk_mul_f32 v[114:115], v[116:117], v[106:107] op_sel:[0,1]
	v_pk_fma_f32 v[118:119], v[116:117], v[104:105], v[114:115] op_sel:[0,0,1] op_sel_hi:[1,1,0] neg_lo:[0,0,1] neg_hi:[0,0,1]
	v_pk_fma_f32 v[114:115], v[116:117], v[104:105], v[114:115] op_sel:[0,0,1] op_sel_hi:[1,0,0]
	s_delay_alu instid0(VALU_DEP_1)
	v_mov_b32_e32 v119, v115
	ds_load_2addr_b64 v[114:117], v108 offset0:24 offset1:25
	v_pk_add_f32 v[72:73], v[72:73], v[120:121] neg_lo:[0,1] neg_hi:[0,1]
	v_pk_add_f32 v[68:69], v[68:69], v[118:119] neg_lo:[0,1] neg_hi:[0,1]
	s_wait_dscnt 0x0
	v_pk_mul_f32 v[118:119], v[114:115], v[106:107] op_sel:[0,1]
	s_delay_alu instid0(VALU_DEP_1) | instskip(SKIP_1) | instid1(VALU_DEP_1)
	v_pk_fma_f32 v[120:121], v[114:115], v[104:105], v[118:119] op_sel:[0,0,1] op_sel_hi:[1,1,0] neg_lo:[0,0,1] neg_hi:[0,0,1]
	v_pk_fma_f32 v[114:115], v[114:115], v[104:105], v[118:119] op_sel:[0,0,1] op_sel_hi:[1,0,0]
	v_mov_b32_e32 v121, v115
	v_pk_mul_f32 v[114:115], v[116:117], v[106:107] op_sel:[0,1]
	s_delay_alu instid0(VALU_DEP_1) | instskip(SKIP_1) | instid1(VALU_DEP_1)
	v_pk_fma_f32 v[118:119], v[116:117], v[104:105], v[114:115] op_sel:[0,0,1] op_sel_hi:[1,1,0] neg_lo:[0,0,1] neg_hi:[0,0,1]
	v_pk_fma_f32 v[114:115], v[116:117], v[104:105], v[114:115] op_sel:[0,0,1] op_sel_hi:[1,0,0]
	v_mov_b32_e32 v119, v115
	ds_load_2addr_b64 v[114:117], v108 offset0:26 offset1:27
	v_pk_add_f32 v[56:57], v[56:57], v[120:121] neg_lo:[0,1] neg_hi:[0,1]
	v_pk_add_f32 v[48:49], v[48:49], v[118:119] neg_lo:[0,1] neg_hi:[0,1]
	s_wait_dscnt 0x0
	v_dual_mul_f32 v118, v115, v107 :: v_dual_mul_f32 v120, v115, v104
	s_delay_alu instid0(VALU_DEP_1) | instskip(NEXT) | instid1(VALU_DEP_2)
	v_pk_fma_f32 v[118:119], v[114:115], v[50:51], v[118:119] op_sel_hi:[1,1,0] neg_lo:[0,0,1] neg_hi:[0,0,1]
	v_pk_fma_f32 v[114:115], v[114:115], v[50:51], v[120:121] op_sel:[1,0,0] op_sel_hi:[0,1,0]
	s_delay_alu instid0(VALU_DEP_1) | instskip(SKIP_1) | instid1(VALU_DEP_2)
	v_mov_b32_e32 v119, v115
	v_pk_mul_f32 v[114:115], v[116:117], v[106:107] op_sel:[0,1]
	v_pk_add_f32 v[54:55], v[54:55], v[118:119] neg_lo:[0,1] neg_hi:[0,1]
	s_delay_alu instid0(VALU_DEP_2) | instskip(SKIP_1) | instid1(VALU_DEP_1)
	v_pk_fma_f32 v[118:119], v[116:117], v[104:105], v[114:115] op_sel:[0,0,1] op_sel_hi:[1,1,0] neg_lo:[0,0,1] neg_hi:[0,0,1]
	v_pk_fma_f32 v[114:115], v[116:117], v[104:105], v[114:115] op_sel:[0,0,1] op_sel_hi:[1,0,0]
	v_mov_b32_e32 v119, v115
	ds_load_2addr_b64 v[114:117], v108 offset0:28 offset1:29
	v_pk_add_f32 v[46:47], v[46:47], v[118:119] neg_lo:[0,1] neg_hi:[0,1]
	s_wait_dscnt 0x0
	v_pk_mul_f32 v[118:119], v[114:115], v[106:107] op_sel:[0,1]
	s_delay_alu instid0(VALU_DEP_1) | instskip(SKIP_1) | instid1(VALU_DEP_1)
	v_pk_fma_f32 v[120:121], v[114:115], v[104:105], v[118:119] op_sel:[0,0,1] op_sel_hi:[1,1,0] neg_lo:[0,0,1] neg_hi:[0,0,1]
	v_pk_fma_f32 v[114:115], v[114:115], v[104:105], v[118:119] op_sel:[0,0,1] op_sel_hi:[1,0,0]
	v_mov_b32_e32 v121, v115
	v_pk_mul_f32 v[114:115], v[116:117], v[106:107] op_sel:[0,1]
	s_delay_alu instid0(VALU_DEP_2) | instskip(NEXT) | instid1(VALU_DEP_2)
	v_pk_add_f32 v[44:45], v[44:45], v[120:121] neg_lo:[0,1] neg_hi:[0,1]
	v_pk_fma_f32 v[118:119], v[116:117], v[104:105], v[114:115] op_sel:[0,0,1] op_sel_hi:[1,1,0] neg_lo:[0,0,1] neg_hi:[0,0,1]
	v_pk_fma_f32 v[114:115], v[116:117], v[104:105], v[114:115] op_sel:[0,0,1] op_sel_hi:[1,0,0]
	s_delay_alu instid0(VALU_DEP_1) | instskip(SKIP_4) | instid1(VALU_DEP_1)
	v_mov_b32_e32 v119, v115
	ds_load_2addr_b64 v[114:117], v108 offset0:30 offset1:31
	v_pk_add_f32 v[40:41], v[40:41], v[118:119] neg_lo:[0,1] neg_hi:[0,1]
	s_wait_dscnt 0x0
	v_pk_mul_f32 v[118:119], v[114:115], v[106:107] op_sel:[0,1]
	v_pk_fma_f32 v[120:121], v[114:115], v[104:105], v[118:119] op_sel:[0,0,1] op_sel_hi:[1,1,0] neg_lo:[0,0,1] neg_hi:[0,0,1]
	v_pk_fma_f32 v[114:115], v[114:115], v[104:105], v[118:119] op_sel:[0,0,1] op_sel_hi:[1,0,0]
	v_dual_mul_f32 v118, v117, v107 :: v_dual_mov_b32 v114, v117
	s_delay_alu instid0(VALU_DEP_2) | instskip(NEXT) | instid1(VALU_DEP_2)
	v_dual_mov_b32 v121, v115 :: v_dual_mov_b32 v115, v116
	v_pk_fma_f32 v[118:119], v[116:117], v[50:51], v[118:119] op_sel_hi:[1,1,0] neg_lo:[0,0,1] neg_hi:[0,0,1]
	v_mul_f32_e32 v116, v117, v104
	s_delay_alu instid0(VALU_DEP_3) | instskip(NEXT) | instid1(VALU_DEP_2)
	v_pk_add_f32 v[42:43], v[42:43], v[120:121] neg_lo:[0,1] neg_hi:[0,1]
	v_pk_fma_f32 v[114:115], v[114:115], v[50:51], v[116:117] op_sel_hi:[1,1,0]
	s_delay_alu instid0(VALU_DEP_1) | instskip(SKIP_4) | instid1(VALU_DEP_1)
	v_mov_b32_e32 v119, v115
	ds_load_2addr_b64 v[114:117], v108 offset0:32 offset1:33
	v_pk_add_f32 v[38:39], v[38:39], v[118:119] neg_lo:[0,1] neg_hi:[0,1]
	s_wait_dscnt 0x0
	v_pk_mul_f32 v[118:119], v[114:115], v[106:107] op_sel:[0,1]
	v_pk_fma_f32 v[120:121], v[114:115], v[104:105], v[118:119] op_sel:[0,0,1] op_sel_hi:[1,1,0] neg_lo:[0,0,1] neg_hi:[0,0,1]
	v_pk_fma_f32 v[114:115], v[114:115], v[104:105], v[118:119] op_sel:[0,0,1] op_sel_hi:[1,0,0]
	s_delay_alu instid0(VALU_DEP_1) | instskip(SKIP_1) | instid1(VALU_DEP_1)
	v_mov_b32_e32 v121, v115
	v_pk_mul_f32 v[114:115], v[116:117], v[106:107] op_sel:[0,1]
	v_pk_fma_f32 v[118:119], v[116:117], v[104:105], v[114:115] op_sel:[0,0,1] op_sel_hi:[1,1,0] neg_lo:[0,0,1] neg_hi:[0,0,1]
	v_pk_fma_f32 v[114:115], v[116:117], v[104:105], v[114:115] op_sel:[0,0,1] op_sel_hi:[1,0,0]
	s_delay_alu instid0(VALU_DEP_1)
	v_mov_b32_e32 v119, v115
	ds_load_2addr_b64 v[114:117], v108 offset0:34 offset1:35
	v_pk_add_f32 v[36:37], v[36:37], v[120:121] neg_lo:[0,1] neg_hi:[0,1]
	v_pk_add_f32 v[32:33], v[32:33], v[118:119] neg_lo:[0,1] neg_hi:[0,1]
	s_wait_dscnt 0x0
	v_pk_mul_f32 v[118:119], v[114:115], v[106:107] op_sel:[0,1]
	s_delay_alu instid0(VALU_DEP_1) | instskip(SKIP_1) | instid1(VALU_DEP_1)
	v_pk_fma_f32 v[120:121], v[114:115], v[104:105], v[118:119] op_sel:[0,0,1] op_sel_hi:[1,1,0] neg_lo:[0,0,1] neg_hi:[0,0,1]
	v_pk_fma_f32 v[114:115], v[114:115], v[104:105], v[118:119] op_sel:[0,0,1] op_sel_hi:[1,0,0]
	v_mov_b32_e32 v121, v115
	v_pk_mul_f32 v[114:115], v[116:117], v[106:107] op_sel:[0,1]
	s_delay_alu instid0(VALU_DEP_1) | instskip(SKIP_1) | instid1(VALU_DEP_1)
	v_pk_fma_f32 v[118:119], v[116:117], v[104:105], v[114:115] op_sel:[0,0,1] op_sel_hi:[1,1,0] neg_lo:[0,0,1] neg_hi:[0,0,1]
	v_pk_fma_f32 v[114:115], v[116:117], v[104:105], v[114:115] op_sel:[0,0,1] op_sel_hi:[1,0,0]
	v_mov_b32_e32 v119, v115
	ds_load_2addr_b64 v[114:117], v108 offset0:36 offset1:37
	v_pk_add_f32 v[34:35], v[34:35], v[120:121] neg_lo:[0,1] neg_hi:[0,1]
	v_pk_add_f32 v[30:31], v[30:31], v[118:119] neg_lo:[0,1] neg_hi:[0,1]
	s_wait_dscnt 0x0
	v_dual_mul_f32 v118, v115, v107 :: v_dual_mul_f32 v120, v115, v104
	s_delay_alu instid0(VALU_DEP_1) | instskip(NEXT) | instid1(VALU_DEP_2)
	v_pk_fma_f32 v[118:119], v[114:115], v[50:51], v[118:119] op_sel_hi:[1,1,0] neg_lo:[0,0,1] neg_hi:[0,0,1]
	v_pk_fma_f32 v[114:115], v[114:115], v[50:51], v[120:121] op_sel:[1,0,0] op_sel_hi:[0,1,0]
	s_delay_alu instid0(VALU_DEP_1) | instskip(SKIP_1) | instid1(VALU_DEP_2)
	v_mov_b32_e32 v119, v115
	v_pk_mul_f32 v[114:115], v[116:117], v[106:107] op_sel:[0,1]
	v_pk_add_f32 v[26:27], v[26:27], v[118:119] neg_lo:[0,1] neg_hi:[0,1]
	s_delay_alu instid0(VALU_DEP_2) | instskip(SKIP_1) | instid1(VALU_DEP_1)
	v_pk_fma_f32 v[118:119], v[116:117], v[104:105], v[114:115] op_sel:[0,0,1] op_sel_hi:[1,1,0] neg_lo:[0,0,1] neg_hi:[0,0,1]
	v_pk_fma_f32 v[114:115], v[116:117], v[104:105], v[114:115] op_sel:[0,0,1] op_sel_hi:[1,0,0]
	v_mov_b32_e32 v119, v115
	ds_load_2addr_b64 v[114:117], v108 offset0:38 offset1:39
	v_pk_add_f32 v[22:23], v[22:23], v[118:119] neg_lo:[0,1] neg_hi:[0,1]
	s_wait_dscnt 0x0
	v_pk_mul_f32 v[118:119], v[114:115], v[106:107] op_sel:[0,1]
	s_delay_alu instid0(VALU_DEP_1) | instskip(SKIP_1) | instid1(VALU_DEP_1)
	v_pk_fma_f32 v[120:121], v[114:115], v[104:105], v[118:119] op_sel:[0,0,1] op_sel_hi:[1,1,0] neg_lo:[0,0,1] neg_hi:[0,0,1]
	v_pk_fma_f32 v[114:115], v[114:115], v[104:105], v[118:119] op_sel:[0,0,1] op_sel_hi:[1,0,0]
	v_mov_b32_e32 v121, v115
	v_pk_mul_f32 v[114:115], v[116:117], v[106:107] op_sel:[0,1]
	s_delay_alu instid0(VALU_DEP_2) | instskip(NEXT) | instid1(VALU_DEP_2)
	v_pk_add_f32 v[24:25], v[24:25], v[120:121] neg_lo:[0,1] neg_hi:[0,1]
	v_pk_fma_f32 v[118:119], v[116:117], v[104:105], v[114:115] op_sel:[0,0,1] op_sel_hi:[1,1,0] neg_lo:[0,0,1] neg_hi:[0,0,1]
	v_pk_fma_f32 v[114:115], v[116:117], v[104:105], v[114:115] op_sel:[0,0,1] op_sel_hi:[1,0,0]
	s_delay_alu instid0(VALU_DEP_1) | instskip(SKIP_4) | instid1(VALU_DEP_1)
	v_mov_b32_e32 v119, v115
	ds_load_2addr_b64 v[114:117], v108 offset0:40 offset1:41
	v_pk_add_f32 v[20:21], v[20:21], v[118:119] neg_lo:[0,1] neg_hi:[0,1]
	s_wait_dscnt 0x0
	v_pk_mul_f32 v[118:119], v[114:115], v[106:107] op_sel:[0,1]
	v_pk_fma_f32 v[120:121], v[114:115], v[104:105], v[118:119] op_sel:[0,0,1] op_sel_hi:[1,1,0] neg_lo:[0,0,1] neg_hi:[0,0,1]
	v_pk_fma_f32 v[114:115], v[114:115], v[104:105], v[118:119] op_sel:[0,0,1] op_sel_hi:[1,0,0]
	v_dual_mul_f32 v118, v117, v107 :: v_dual_mov_b32 v114, v117
	s_delay_alu instid0(VALU_DEP_2) | instskip(NEXT) | instid1(VALU_DEP_2)
	v_dual_mov_b32 v121, v115 :: v_dual_mov_b32 v115, v116
	v_pk_fma_f32 v[118:119], v[116:117], v[50:51], v[118:119] op_sel_hi:[1,1,0] neg_lo:[0,0,1] neg_hi:[0,0,1]
	v_mul_f32_e32 v116, v117, v104
	s_delay_alu instid0(VALU_DEP_3) | instskip(NEXT) | instid1(VALU_DEP_2)
	v_pk_add_f32 v[14:15], v[14:15], v[120:121] neg_lo:[0,1] neg_hi:[0,1]
	v_pk_fma_f32 v[114:115], v[114:115], v[50:51], v[116:117] op_sel_hi:[1,1,0]
	s_delay_alu instid0(VALU_DEP_1) | instskip(SKIP_4) | instid1(VALU_DEP_1)
	v_mov_b32_e32 v119, v115
	ds_load_2addr_b64 v[114:117], v108 offset0:42 offset1:43
	v_pk_add_f32 v[10:11], v[10:11], v[118:119] neg_lo:[0,1] neg_hi:[0,1]
	s_wait_dscnt 0x0
	v_pk_mul_f32 v[118:119], v[114:115], v[106:107] op_sel:[0,1]
	v_pk_fma_f32 v[120:121], v[114:115], v[104:105], v[118:119] op_sel:[0,0,1] op_sel_hi:[1,1,0] neg_lo:[0,0,1] neg_hi:[0,0,1]
	v_pk_fma_f32 v[114:115], v[114:115], v[104:105], v[118:119] op_sel:[0,0,1] op_sel_hi:[1,0,0]
	s_delay_alu instid0(VALU_DEP_1) | instskip(SKIP_1) | instid1(VALU_DEP_1)
	v_mov_b32_e32 v121, v115
	v_pk_mul_f32 v[114:115], v[116:117], v[106:107] op_sel:[0,1]
	v_pk_fma_f32 v[118:119], v[116:117], v[104:105], v[114:115] op_sel:[0,0,1] op_sel_hi:[1,1,0] neg_lo:[0,0,1] neg_hi:[0,0,1]
	v_pk_fma_f32 v[114:115], v[116:117], v[104:105], v[114:115] op_sel:[0,0,1] op_sel_hi:[1,0,0]
	s_delay_alu instid0(VALU_DEP_1)
	v_mov_b32_e32 v119, v115
	ds_load_2addr_b64 v[114:117], v108 offset0:44 offset1:45
	v_pk_add_f32 v[12:13], v[12:13], v[120:121] neg_lo:[0,1] neg_hi:[0,1]
	v_pk_add_f32 v[8:9], v[8:9], v[118:119] neg_lo:[0,1] neg_hi:[0,1]
	s_wait_dscnt 0x0
	v_pk_mul_f32 v[118:119], v[114:115], v[106:107] op_sel:[0,1]
	s_delay_alu instid0(VALU_DEP_1) | instskip(SKIP_1) | instid1(VALU_DEP_1)
	v_pk_fma_f32 v[120:121], v[114:115], v[104:105], v[118:119] op_sel:[0,0,1] op_sel_hi:[1,1,0] neg_lo:[0,0,1] neg_hi:[0,0,1]
	v_pk_fma_f32 v[114:115], v[114:115], v[104:105], v[118:119] op_sel:[0,0,1] op_sel_hi:[1,0,0]
	v_mov_b32_e32 v121, v115
	v_pk_mul_f32 v[114:115], v[116:117], v[106:107] op_sel:[0,1]
	s_delay_alu instid0(VALU_DEP_1) | instskip(SKIP_1) | instid1(VALU_DEP_1)
	v_pk_fma_f32 v[118:119], v[116:117], v[104:105], v[114:115] op_sel:[0,0,1] op_sel_hi:[1,1,0] neg_lo:[0,0,1] neg_hi:[0,0,1]
	v_pk_fma_f32 v[114:115], v[116:117], v[104:105], v[114:115] op_sel:[0,0,1] op_sel_hi:[1,0,0]
	v_mov_b32_e32 v119, v115
	ds_load_2addr_b64 v[114:117], v108 offset0:46 offset1:47
	v_pk_add_f32 v[6:7], v[6:7], v[120:121] neg_lo:[0,1] neg_hi:[0,1]
	v_pk_add_f32 v[28:29], v[28:29], v[118:119] neg_lo:[0,1] neg_hi:[0,1]
	s_wait_dscnt 0x0
	v_dual_mul_f32 v118, v115, v107 :: v_dual_mul_f32 v120, v115, v104
	s_delay_alu instid0(VALU_DEP_1) | instskip(NEXT) | instid1(VALU_DEP_2)
	v_pk_fma_f32 v[118:119], v[114:115], v[50:51], v[118:119] op_sel_hi:[1,1,0] neg_lo:[0,0,1] neg_hi:[0,0,1]
	v_pk_fma_f32 v[114:115], v[114:115], v[50:51], v[120:121] op_sel:[1,0,0] op_sel_hi:[0,1,0]
	s_delay_alu instid0(VALU_DEP_1) | instskip(SKIP_1) | instid1(VALU_DEP_2)
	v_mov_b32_e32 v119, v115
	v_pk_mul_f32 v[114:115], v[116:117], v[106:107] op_sel:[0,1]
	v_pk_add_f32 v[18:19], v[18:19], v[118:119] neg_lo:[0,1] neg_hi:[0,1]
	s_delay_alu instid0(VALU_DEP_2) | instskip(SKIP_1) | instid1(VALU_DEP_1)
	v_pk_fma_f32 v[118:119], v[116:117], v[104:105], v[114:115] op_sel:[0,0,1] op_sel_hi:[1,1,0] neg_lo:[0,0,1] neg_hi:[0,0,1]
	v_pk_fma_f32 v[114:115], v[116:117], v[104:105], v[114:115] op_sel:[0,0,1] op_sel_hi:[1,0,0]
	v_mov_b32_e32 v119, v115
	ds_load_b64 v[114:115], v108 offset:384
	v_pk_add_f32 v[16:17], v[16:17], v[118:119] neg_lo:[0,1] neg_hi:[0,1]
	s_wait_dscnt 0x0
	v_pk_mul_f32 v[106:107], v[114:115], v[106:107] op_sel:[0,1]
	s_delay_alu instid0(VALU_DEP_1) | instskip(SKIP_1) | instid1(VALU_DEP_1)
	v_pk_fma_f32 v[116:117], v[114:115], v[104:105], v[106:107] op_sel:[0,0,1] op_sel_hi:[1,1,0] neg_lo:[0,0,1] neg_hi:[0,0,1]
	v_pk_fma_f32 v[104:105], v[114:115], v[104:105], v[106:107] op_sel:[0,0,1] op_sel_hi:[1,0,0]
	v_mov_b32_e32 v117, v105
	s_delay_alu instid0(VALU_DEP_1)
	v_pk_add_f32 v[102:103], v[102:103], v[116:117] neg_lo:[0,1] neg_hi:[0,1]
.LBB96_167:
	s_or_b32 exec_lo, exec_lo, s0
	v_lshl_add_u32 v104, v112, 3, v108
	s_barrier_signal -1
	s_barrier_wait -1
	ds_store_b64 v104, v[66:67]
	s_wait_dscnt 0x0
	s_barrier_signal -1
	s_barrier_wait -1
	ds_load_b64 v[106:107], v108 offset:64
	v_mov_b32_e32 v104, 8
	s_cmp_lt_i32 s18, 10
	s_cbranch_scc1 .LBB96_170
; %bb.168:
	v_add3_u32 v105, v109, 0, 0x48
	v_mov_b32_e32 v104, 8
	s_mov_b32 s0, 9
.LBB96_169:                             ; =>This Inner Loop Header: Depth=1
	ds_load_b64 v[114:115], v105
	s_wait_dscnt 0x1
	v_cmp_gt_f32_e32 vcc_lo, 0, v106
	v_cndmask_b32_e64 v116, v106, -v106, vcc_lo
	v_cmp_gt_f32_e32 vcc_lo, 0, v107
	v_cndmask_b32_e64 v118, v107, -v107, vcc_lo
	s_wait_dscnt 0x0
	v_cmp_gt_f32_e32 vcc_lo, 0, v114
	v_cndmask_b32_e64 v117, v114, -v114, vcc_lo
	v_cmp_gt_f32_e32 vcc_lo, 0, v115
	v_cndmask_b32_e64 v119, v115, -v115, vcc_lo
	s_delay_alu instid0(VALU_DEP_1) | instskip(NEXT) | instid1(VALU_DEP_1)
	v_pk_add_f32 v[116:117], v[116:117], v[118:119]
	v_cmp_lt_f32_e32 vcc_lo, v116, v117
	v_dual_add_nc_u32 v105, 8, v105 :: v_dual_cndmask_b32 v107, v107, v115, vcc_lo
	v_cndmask_b32_e32 v106, v106, v114, vcc_lo
	v_cndmask_b32_e64 v104, v104, s0, vcc_lo
	s_add_co_i32 s0, s0, 1
	s_delay_alu instid0(SALU_CYCLE_1)
	s_cmp_lg_u32 s18, s0
	s_cbranch_scc1 .LBB96_169
.LBB96_170:
	s_wait_dscnt 0x0
	v_cmp_eq_f32_e32 vcc_lo, 0, v106
	v_cmp_eq_f32_e64 s0, 0, v107
	s_and_b32 s0, vcc_lo, s0
	s_delay_alu instid0(SALU_CYCLE_1) | instskip(NEXT) | instid1(SALU_CYCLE_1)
	s_and_saveexec_b32 s1, s0
	s_xor_b32 s0, exec_lo, s1
; %bb.171:
	v_cmp_ne_u32_e32 vcc_lo, 0, v110
	v_cndmask_b32_e32 v110, 9, v110, vcc_lo
; %bb.172:
	s_and_not1_saveexec_b32 s0, s0
	s_cbranch_execz .LBB96_178
; %bb.173:
	v_cmp_ngt_f32_e64 s1, |v106|, |v107|
	s_and_saveexec_b32 s12, s1
	s_delay_alu instid0(SALU_CYCLE_1)
	s_xor_b32 s1, exec_lo, s12
	s_cbranch_execz .LBB96_175
; %bb.174:
	v_div_scale_f32 v105, null, v107, v107, v106
	v_div_scale_f32 v115, vcc_lo, v106, v107, v106
	s_delay_alu instid0(VALU_DEP_2) | instskip(SKIP_1) | instid1(TRANS32_DEP_1)
	v_rcp_f32_e32 v113, v105
	v_nop
	v_fma_f32 v114, -v105, v113, 1.0
	s_delay_alu instid0(VALU_DEP_1) | instskip(NEXT) | instid1(VALU_DEP_1)
	v_fmac_f32_e32 v113, v114, v113
	v_mul_f32_e32 v114, v115, v113
	s_delay_alu instid0(VALU_DEP_1) | instskip(NEXT) | instid1(VALU_DEP_1)
	v_fma_f32 v116, -v105, v114, v115
	v_fmac_f32_e32 v114, v116, v113
	s_delay_alu instid0(VALU_DEP_1) | instskip(NEXT) | instid1(VALU_DEP_1)
	v_fma_f32 v105, -v105, v114, v115
	v_div_fmas_f32 v105, v105, v113, v114
	s_delay_alu instid0(VALU_DEP_1) | instskip(NEXT) | instid1(VALU_DEP_1)
	v_div_fixup_f32 v105, v105, v107, v106
	v_fmac_f32_e32 v107, v106, v105
	s_delay_alu instid0(VALU_DEP_1) | instskip(SKIP_1) | instid1(VALU_DEP_2)
	v_div_scale_f32 v106, null, v107, v107, 1.0
	v_div_scale_f32 v115, vcc_lo, 1.0, v107, 1.0
	v_rcp_f32_e32 v113, v106
	v_nop
	s_delay_alu instid0(TRANS32_DEP_1) | instskip(NEXT) | instid1(VALU_DEP_1)
	v_fma_f32 v114, -v106, v113, 1.0
	v_fmac_f32_e32 v113, v114, v113
	s_delay_alu instid0(VALU_DEP_1) | instskip(NEXT) | instid1(VALU_DEP_1)
	v_mul_f32_e32 v114, v115, v113
	v_fma_f32 v116, -v106, v114, v115
	s_delay_alu instid0(VALU_DEP_1) | instskip(NEXT) | instid1(VALU_DEP_1)
	v_fmac_f32_e32 v114, v116, v113
	v_fma_f32 v106, -v106, v114, v115
	s_delay_alu instid0(VALU_DEP_1) | instskip(NEXT) | instid1(VALU_DEP_1)
	v_div_fmas_f32 v106, v106, v113, v114
	v_div_fixup_f32 v107, v106, v107, 1.0
	s_delay_alu instid0(VALU_DEP_1)
	v_mul_f32_e32 v106, v105, v107
	v_xor_b32_e32 v107, 0x80000000, v107
.LBB96_175:
	s_and_not1_saveexec_b32 s1, s1
	s_cbranch_execz .LBB96_177
; %bb.176:
	s_delay_alu instid0(VALU_DEP_1) | instskip(SKIP_1) | instid1(VALU_DEP_2)
	v_div_scale_f32 v105, null, v106, v106, v107
	v_div_scale_f32 v115, vcc_lo, v107, v106, v107
	v_rcp_f32_e32 v113, v105
	v_nop
	s_delay_alu instid0(TRANS32_DEP_1) | instskip(NEXT) | instid1(VALU_DEP_1)
	v_fma_f32 v114, -v105, v113, 1.0
	v_fmac_f32_e32 v113, v114, v113
	s_delay_alu instid0(VALU_DEP_1) | instskip(NEXT) | instid1(VALU_DEP_1)
	v_mul_f32_e32 v114, v115, v113
	v_fma_f32 v116, -v105, v114, v115
	s_delay_alu instid0(VALU_DEP_1) | instskip(NEXT) | instid1(VALU_DEP_1)
	v_fmac_f32_e32 v114, v116, v113
	v_fma_f32 v105, -v105, v114, v115
	s_delay_alu instid0(VALU_DEP_1) | instskip(NEXT) | instid1(VALU_DEP_1)
	v_div_fmas_f32 v105, v105, v113, v114
	v_div_fixup_f32 v105, v105, v106, v107
	s_delay_alu instid0(VALU_DEP_1) | instskip(NEXT) | instid1(VALU_DEP_1)
	v_fmac_f32_e32 v106, v107, v105
	v_div_scale_f32 v107, null, v106, v106, 1.0
	s_delay_alu instid0(VALU_DEP_1) | instskip(SKIP_1) | instid1(TRANS32_DEP_1)
	v_rcp_f32_e32 v113, v107
	v_nop
	v_fma_f32 v114, -v107, v113, 1.0
	s_delay_alu instid0(VALU_DEP_1) | instskip(SKIP_1) | instid1(VALU_DEP_1)
	v_fmac_f32_e32 v113, v114, v113
	v_div_scale_f32 v114, vcc_lo, 1.0, v106, 1.0
	v_mul_f32_e32 v115, v114, v113
	s_delay_alu instid0(VALU_DEP_1) | instskip(NEXT) | instid1(VALU_DEP_1)
	v_fma_f32 v116, -v107, v115, v114
	v_fmac_f32_e32 v115, v116, v113
	s_delay_alu instid0(VALU_DEP_1) | instskip(NEXT) | instid1(VALU_DEP_1)
	v_fma_f32 v107, -v107, v115, v114
	v_div_fmas_f32 v107, v107, v113, v115
	s_delay_alu instid0(VALU_DEP_1) | instskip(NEXT) | instid1(VALU_DEP_1)
	v_div_fixup_f32 v106, v107, v106, 1.0
	v_mul_f32_e64 v107, v105, -v106
.LBB96_177:
	s_or_b32 exec_lo, exec_lo, s1
.LBB96_178:
	s_delay_alu instid0(SALU_CYCLE_1) | instskip(NEXT) | instid1(SALU_CYCLE_1)
	s_or_b32 exec_lo, exec_lo, s0
	s_mov_b32 s0, exec_lo
	v_cmpx_ne_u32_e64 v112, v104
	s_xor_b32 s0, exec_lo, s0
	s_cbranch_execz .LBB96_184
; %bb.179:
	s_mov_b32 s1, exec_lo
	v_cmpx_eq_u32_e32 8, v112
	s_cbranch_execz .LBB96_183
; %bb.180:
	v_cmp_ne_u32_e32 vcc_lo, 8, v104
	s_xor_b32 s12, s16, -1
	s_delay_alu instid0(SALU_CYCLE_1) | instskip(NEXT) | instid1(SALU_CYCLE_1)
	s_and_b32 s13, s12, vcc_lo
	s_and_saveexec_b32 s12, s13
	s_cbranch_execz .LBB96_182
; %bb.181:
	v_ashrrev_i32_e32 v105, 31, v104
	s_delay_alu instid0(VALU_DEP_1)
	v_lshl_add_u64 v[112:113], v[104:105], 2, v[4:5]
	s_clause 0x1
	global_load_b32 v105, v[112:113], off
	global_load_b32 v111, v[4:5], off offset:32
	s_wait_loadcnt 0x1
	global_store_b32 v[4:5], v105, off offset:32
	s_wait_loadcnt 0x0
	global_store_b32 v[112:113], v111, off
.LBB96_182:
	s_wait_xcnt 0x0
	s_or_b32 exec_lo, exec_lo, s12
	v_dual_mov_b32 v112, v104 :: v_dual_mov_b32 v111, v104
.LBB96_183:
	s_or_b32 exec_lo, exec_lo, s1
.LBB96_184:
	s_and_not1_saveexec_b32 s0, s0
	s_cbranch_execz .LBB96_186
; %bb.185:
	v_mov_b32_e32 v112, 8
	ds_store_2addr_b64 v108, v[62:63], v[64:65] offset0:9 offset1:10
	ds_store_2addr_b64 v108, v[60:61], v[90:91] offset0:11 offset1:12
	;; [unrolled: 1-line block ×20, first 2 shown]
.LBB96_186:
	s_or_b32 exec_lo, exec_lo, s0
	s_delay_alu instid0(SALU_CYCLE_1)
	s_mov_b32 s0, exec_lo
	s_wait_storecnt_dscnt 0x0
	s_barrier_signal -1
	s_barrier_wait -1
	v_cmpx_lt_i32_e32 8, v112
	s_cbranch_execz .LBB96_188
; %bb.187:
	v_pk_mul_f32 v[114:115], v[106:107], v[66:67] op_sel:[1,1] op_sel_hi:[0,1]
	s_delay_alu instid0(VALU_DEP_1)
	v_pk_fma_f32 v[104:105], v[106:107], v[66:67], v[114:115] op_sel_hi:[1,0,1] neg_lo:[0,0,1] neg_hi:[0,0,1]
	v_pk_fma_f32 v[106:107], v[106:107], v[66:67], v[114:115] op_sel_hi:[1,0,1]
	ds_load_2addr_b64 v[114:117], v108 offset0:9 offset1:10
	v_dual_mov_b32 v66, v104 :: v_dual_mov_b32 v67, v107
	s_wait_dscnt 0x0
	v_pk_mul_f32 v[118:119], v[114:115], v[106:107] op_sel:[0,1]
	s_delay_alu instid0(VALU_DEP_1) | instskip(SKIP_1) | instid1(VALU_DEP_1)
	v_pk_fma_f32 v[120:121], v[114:115], v[104:105], v[118:119] op_sel:[0,0,1] op_sel_hi:[1,1,0] neg_lo:[0,0,1] neg_hi:[0,0,1]
	v_pk_fma_f32 v[114:115], v[114:115], v[104:105], v[118:119] op_sel:[0,0,1] op_sel_hi:[1,0,0]
	v_mov_b32_e32 v121, v115
	v_pk_mul_f32 v[114:115], v[116:117], v[106:107] op_sel:[0,1]
	s_delay_alu instid0(VALU_DEP_1) | instskip(SKIP_1) | instid1(VALU_DEP_1)
	v_pk_fma_f32 v[118:119], v[116:117], v[104:105], v[114:115] op_sel:[0,0,1] op_sel_hi:[1,1,0] neg_lo:[0,0,1] neg_hi:[0,0,1]
	v_pk_fma_f32 v[114:115], v[116:117], v[104:105], v[114:115] op_sel:[0,0,1] op_sel_hi:[1,0,0]
	v_mov_b32_e32 v119, v115
	ds_load_2addr_b64 v[114:117], v108 offset0:11 offset1:12
	v_pk_add_f32 v[62:63], v[62:63], v[120:121] neg_lo:[0,1] neg_hi:[0,1]
	v_pk_add_f32 v[64:65], v[64:65], v[118:119] neg_lo:[0,1] neg_hi:[0,1]
	s_wait_dscnt 0x0
	v_pk_mul_f32 v[118:119], v[114:115], v[106:107] op_sel:[0,1]
	s_delay_alu instid0(VALU_DEP_1) | instskip(SKIP_2) | instid1(VALU_DEP_2)
	v_pk_fma_f32 v[120:121], v[114:115], v[104:105], v[118:119] op_sel:[0,0,1] op_sel_hi:[1,1,0] neg_lo:[0,0,1] neg_hi:[0,0,1]
	v_pk_fma_f32 v[114:115], v[114:115], v[104:105], v[118:119] op_sel:[0,0,1] op_sel_hi:[1,0,0]
	v_dual_mul_f32 v118, v117, v107 :: v_dual_mov_b32 v114, v117
	v_dual_mov_b32 v121, v115 :: v_dual_mov_b32 v115, v116
	s_delay_alu instid0(VALU_DEP_2) | instskip(SKIP_1) | instid1(VALU_DEP_3)
	v_pk_fma_f32 v[118:119], v[116:117], v[66:67], v[118:119] op_sel_hi:[1,1,0] neg_lo:[0,0,1] neg_hi:[0,0,1]
	v_mul_f32_e32 v116, v117, v104
	v_pk_add_f32 v[60:61], v[60:61], v[120:121] neg_lo:[0,1] neg_hi:[0,1]
	s_delay_alu instid0(VALU_DEP_2) | instskip(NEXT) | instid1(VALU_DEP_1)
	v_pk_fma_f32 v[114:115], v[114:115], v[66:67], v[116:117] op_sel_hi:[1,1,0]
	v_mov_b32_e32 v119, v115
	ds_load_2addr_b64 v[114:117], v108 offset0:13 offset1:14
	v_pk_add_f32 v[90:91], v[90:91], v[118:119] neg_lo:[0,1] neg_hi:[0,1]
	s_wait_dscnt 0x0
	v_pk_mul_f32 v[118:119], v[114:115], v[106:107] op_sel:[0,1]
	s_delay_alu instid0(VALU_DEP_1) | instskip(SKIP_1) | instid1(VALU_DEP_1)
	v_pk_fma_f32 v[120:121], v[114:115], v[104:105], v[118:119] op_sel:[0,0,1] op_sel_hi:[1,1,0] neg_lo:[0,0,1] neg_hi:[0,0,1]
	v_pk_fma_f32 v[114:115], v[114:115], v[104:105], v[118:119] op_sel:[0,0,1] op_sel_hi:[1,0,0]
	v_mov_b32_e32 v121, v115
	v_pk_mul_f32 v[114:115], v[116:117], v[106:107] op_sel:[0,1]
	s_delay_alu instid0(VALU_DEP_1) | instskip(SKIP_1) | instid1(VALU_DEP_1)
	v_pk_fma_f32 v[118:119], v[116:117], v[104:105], v[114:115] op_sel:[0,0,1] op_sel_hi:[1,1,0] neg_lo:[0,0,1] neg_hi:[0,0,1]
	v_pk_fma_f32 v[114:115], v[116:117], v[104:105], v[114:115] op_sel:[0,0,1] op_sel_hi:[1,0,0]
	v_mov_b32_e32 v119, v115
	ds_load_2addr_b64 v[114:117], v108 offset0:15 offset1:16
	v_pk_add_f32 v[86:87], v[86:87], v[120:121] neg_lo:[0,1] neg_hi:[0,1]
	v_pk_add_f32 v[88:89], v[88:89], v[118:119] neg_lo:[0,1] neg_hi:[0,1]
	s_wait_dscnt 0x0
	v_pk_mul_f32 v[118:119], v[114:115], v[106:107] op_sel:[0,1]
	s_delay_alu instid0(VALU_DEP_1) | instskip(SKIP_1) | instid1(VALU_DEP_1)
	v_pk_fma_f32 v[120:121], v[114:115], v[104:105], v[118:119] op_sel:[0,0,1] op_sel_hi:[1,1,0] neg_lo:[0,0,1] neg_hi:[0,0,1]
	v_pk_fma_f32 v[114:115], v[114:115], v[104:105], v[118:119] op_sel:[0,0,1] op_sel_hi:[1,0,0]
	v_mov_b32_e32 v121, v115
	v_pk_mul_f32 v[114:115], v[116:117], v[106:107] op_sel:[0,1]
	s_delay_alu instid0(VALU_DEP_1) | instskip(SKIP_1) | instid1(VALU_DEP_1)
	v_pk_fma_f32 v[118:119], v[116:117], v[104:105], v[114:115] op_sel:[0,0,1] op_sel_hi:[1,1,0] neg_lo:[0,0,1] neg_hi:[0,0,1]
	v_pk_fma_f32 v[114:115], v[116:117], v[104:105], v[114:115] op_sel:[0,0,1] op_sel_hi:[1,0,0]
	v_mov_b32_e32 v119, v115
	ds_load_2addr_b64 v[114:117], v108 offset0:17 offset1:18
	v_pk_add_f32 v[84:85], v[84:85], v[120:121] neg_lo:[0,1] neg_hi:[0,1]
	v_pk_add_f32 v[82:83], v[82:83], v[118:119] neg_lo:[0,1] neg_hi:[0,1]
	s_wait_dscnt 0x0
	v_dual_mul_f32 v118, v115, v107 :: v_dual_mul_f32 v120, v115, v104
	s_delay_alu instid0(VALU_DEP_1) | instskip(NEXT) | instid1(VALU_DEP_2)
	v_pk_fma_f32 v[118:119], v[114:115], v[66:67], v[118:119] op_sel_hi:[1,1,0] neg_lo:[0,0,1] neg_hi:[0,0,1]
	v_pk_fma_f32 v[114:115], v[114:115], v[66:67], v[120:121] op_sel:[1,0,0] op_sel_hi:[0,1,0]
	s_delay_alu instid0(VALU_DEP_1) | instskip(SKIP_1) | instid1(VALU_DEP_2)
	v_mov_b32_e32 v119, v115
	v_pk_mul_f32 v[114:115], v[116:117], v[106:107] op_sel:[0,1]
	v_pk_add_f32 v[78:79], v[78:79], v[118:119] neg_lo:[0,1] neg_hi:[0,1]
	s_delay_alu instid0(VALU_DEP_2) | instskip(SKIP_1) | instid1(VALU_DEP_1)
	v_pk_fma_f32 v[118:119], v[116:117], v[104:105], v[114:115] op_sel:[0,0,1] op_sel_hi:[1,1,0] neg_lo:[0,0,1] neg_hi:[0,0,1]
	v_pk_fma_f32 v[114:115], v[116:117], v[104:105], v[114:115] op_sel:[0,0,1] op_sel_hi:[1,0,0]
	v_mov_b32_e32 v119, v115
	ds_load_2addr_b64 v[114:117], v108 offset0:19 offset1:20
	v_pk_add_f32 v[80:81], v[80:81], v[118:119] neg_lo:[0,1] neg_hi:[0,1]
	s_wait_dscnt 0x0
	v_pk_mul_f32 v[118:119], v[114:115], v[106:107] op_sel:[0,1]
	s_delay_alu instid0(VALU_DEP_1) | instskip(SKIP_1) | instid1(VALU_DEP_1)
	v_pk_fma_f32 v[120:121], v[114:115], v[104:105], v[118:119] op_sel:[0,0,1] op_sel_hi:[1,1,0] neg_lo:[0,0,1] neg_hi:[0,0,1]
	v_pk_fma_f32 v[114:115], v[114:115], v[104:105], v[118:119] op_sel:[0,0,1] op_sel_hi:[1,0,0]
	v_mov_b32_e32 v121, v115
	v_pk_mul_f32 v[114:115], v[116:117], v[106:107] op_sel:[0,1]
	s_delay_alu instid0(VALU_DEP_2) | instskip(NEXT) | instid1(VALU_DEP_2)
	v_pk_add_f32 v[76:77], v[76:77], v[120:121] neg_lo:[0,1] neg_hi:[0,1]
	v_pk_fma_f32 v[118:119], v[116:117], v[104:105], v[114:115] op_sel:[0,0,1] op_sel_hi:[1,1,0] neg_lo:[0,0,1] neg_hi:[0,0,1]
	v_pk_fma_f32 v[114:115], v[116:117], v[104:105], v[114:115] op_sel:[0,0,1] op_sel_hi:[1,0,0]
	s_delay_alu instid0(VALU_DEP_1) | instskip(SKIP_4) | instid1(VALU_DEP_1)
	v_mov_b32_e32 v119, v115
	ds_load_2addr_b64 v[114:117], v108 offset0:21 offset1:22
	v_pk_add_f32 v[74:75], v[74:75], v[118:119] neg_lo:[0,1] neg_hi:[0,1]
	s_wait_dscnt 0x0
	v_pk_mul_f32 v[118:119], v[114:115], v[106:107] op_sel:[0,1]
	v_pk_fma_f32 v[120:121], v[114:115], v[104:105], v[118:119] op_sel:[0,0,1] op_sel_hi:[1,1,0] neg_lo:[0,0,1] neg_hi:[0,0,1]
	v_pk_fma_f32 v[114:115], v[114:115], v[104:105], v[118:119] op_sel:[0,0,1] op_sel_hi:[1,0,0]
	v_dual_mul_f32 v118, v117, v107 :: v_dual_mov_b32 v114, v117
	s_delay_alu instid0(VALU_DEP_2) | instskip(NEXT) | instid1(VALU_DEP_2)
	v_dual_mov_b32 v121, v115 :: v_dual_mov_b32 v115, v116
	v_pk_fma_f32 v[118:119], v[116:117], v[66:67], v[118:119] op_sel_hi:[1,1,0] neg_lo:[0,0,1] neg_hi:[0,0,1]
	v_mul_f32_e32 v116, v117, v104
	s_delay_alu instid0(VALU_DEP_3) | instskip(NEXT) | instid1(VALU_DEP_2)
	v_pk_add_f32 v[70:71], v[70:71], v[120:121] neg_lo:[0,1] neg_hi:[0,1]
	v_pk_fma_f32 v[114:115], v[114:115], v[66:67], v[116:117] op_sel_hi:[1,1,0]
	s_delay_alu instid0(VALU_DEP_1) | instskip(SKIP_4) | instid1(VALU_DEP_1)
	v_mov_b32_e32 v119, v115
	ds_load_2addr_b64 v[114:117], v108 offset0:23 offset1:24
	v_pk_add_f32 v[72:73], v[72:73], v[118:119] neg_lo:[0,1] neg_hi:[0,1]
	s_wait_dscnt 0x0
	v_pk_mul_f32 v[118:119], v[114:115], v[106:107] op_sel:[0,1]
	v_pk_fma_f32 v[120:121], v[114:115], v[104:105], v[118:119] op_sel:[0,0,1] op_sel_hi:[1,1,0] neg_lo:[0,0,1] neg_hi:[0,0,1]
	v_pk_fma_f32 v[114:115], v[114:115], v[104:105], v[118:119] op_sel:[0,0,1] op_sel_hi:[1,0,0]
	s_delay_alu instid0(VALU_DEP_1) | instskip(SKIP_1) | instid1(VALU_DEP_1)
	v_mov_b32_e32 v121, v115
	v_pk_mul_f32 v[114:115], v[116:117], v[106:107] op_sel:[0,1]
	v_pk_fma_f32 v[118:119], v[116:117], v[104:105], v[114:115] op_sel:[0,0,1] op_sel_hi:[1,1,0] neg_lo:[0,0,1] neg_hi:[0,0,1]
	v_pk_fma_f32 v[114:115], v[116:117], v[104:105], v[114:115] op_sel:[0,0,1] op_sel_hi:[1,0,0]
	s_delay_alu instid0(VALU_DEP_1)
	v_mov_b32_e32 v119, v115
	ds_load_2addr_b64 v[114:117], v108 offset0:25 offset1:26
	v_pk_add_f32 v[68:69], v[68:69], v[120:121] neg_lo:[0,1] neg_hi:[0,1]
	v_pk_add_f32 v[56:57], v[56:57], v[118:119] neg_lo:[0,1] neg_hi:[0,1]
	s_wait_dscnt 0x0
	v_pk_mul_f32 v[118:119], v[114:115], v[106:107] op_sel:[0,1]
	s_delay_alu instid0(VALU_DEP_1) | instskip(SKIP_1) | instid1(VALU_DEP_1)
	v_pk_fma_f32 v[120:121], v[114:115], v[104:105], v[118:119] op_sel:[0,0,1] op_sel_hi:[1,1,0] neg_lo:[0,0,1] neg_hi:[0,0,1]
	v_pk_fma_f32 v[114:115], v[114:115], v[104:105], v[118:119] op_sel:[0,0,1] op_sel_hi:[1,0,0]
	v_mov_b32_e32 v121, v115
	v_pk_mul_f32 v[114:115], v[116:117], v[106:107] op_sel:[0,1]
	s_delay_alu instid0(VALU_DEP_1) | instskip(SKIP_1) | instid1(VALU_DEP_1)
	v_pk_fma_f32 v[118:119], v[116:117], v[104:105], v[114:115] op_sel:[0,0,1] op_sel_hi:[1,1,0] neg_lo:[0,0,1] neg_hi:[0,0,1]
	v_pk_fma_f32 v[114:115], v[116:117], v[104:105], v[114:115] op_sel:[0,0,1] op_sel_hi:[1,0,0]
	v_mov_b32_e32 v119, v115
	ds_load_2addr_b64 v[114:117], v108 offset0:27 offset1:28
	v_pk_add_f32 v[48:49], v[48:49], v[120:121] neg_lo:[0,1] neg_hi:[0,1]
	v_pk_add_f32 v[54:55], v[54:55], v[118:119] neg_lo:[0,1] neg_hi:[0,1]
	s_wait_dscnt 0x0
	v_dual_mul_f32 v118, v115, v107 :: v_dual_mul_f32 v120, v115, v104
	s_delay_alu instid0(VALU_DEP_1) | instskip(NEXT) | instid1(VALU_DEP_2)
	v_pk_fma_f32 v[118:119], v[114:115], v[66:67], v[118:119] op_sel_hi:[1,1,0] neg_lo:[0,0,1] neg_hi:[0,0,1]
	v_pk_fma_f32 v[114:115], v[114:115], v[66:67], v[120:121] op_sel:[1,0,0] op_sel_hi:[0,1,0]
	s_delay_alu instid0(VALU_DEP_1) | instskip(SKIP_1) | instid1(VALU_DEP_2)
	v_mov_b32_e32 v119, v115
	v_pk_mul_f32 v[114:115], v[116:117], v[106:107] op_sel:[0,1]
	v_pk_add_f32 v[46:47], v[46:47], v[118:119] neg_lo:[0,1] neg_hi:[0,1]
	s_delay_alu instid0(VALU_DEP_2) | instskip(SKIP_1) | instid1(VALU_DEP_1)
	v_pk_fma_f32 v[118:119], v[116:117], v[104:105], v[114:115] op_sel:[0,0,1] op_sel_hi:[1,1,0] neg_lo:[0,0,1] neg_hi:[0,0,1]
	v_pk_fma_f32 v[114:115], v[116:117], v[104:105], v[114:115] op_sel:[0,0,1] op_sel_hi:[1,0,0]
	v_mov_b32_e32 v119, v115
	ds_load_2addr_b64 v[114:117], v108 offset0:29 offset1:30
	v_pk_add_f32 v[44:45], v[44:45], v[118:119] neg_lo:[0,1] neg_hi:[0,1]
	s_wait_dscnt 0x0
	v_pk_mul_f32 v[118:119], v[114:115], v[106:107] op_sel:[0,1]
	s_delay_alu instid0(VALU_DEP_1) | instskip(SKIP_1) | instid1(VALU_DEP_1)
	v_pk_fma_f32 v[120:121], v[114:115], v[104:105], v[118:119] op_sel:[0,0,1] op_sel_hi:[1,1,0] neg_lo:[0,0,1] neg_hi:[0,0,1]
	v_pk_fma_f32 v[114:115], v[114:115], v[104:105], v[118:119] op_sel:[0,0,1] op_sel_hi:[1,0,0]
	v_mov_b32_e32 v121, v115
	v_pk_mul_f32 v[114:115], v[116:117], v[106:107] op_sel:[0,1]
	s_delay_alu instid0(VALU_DEP_2) | instskip(NEXT) | instid1(VALU_DEP_2)
	v_pk_add_f32 v[40:41], v[40:41], v[120:121] neg_lo:[0,1] neg_hi:[0,1]
	v_pk_fma_f32 v[118:119], v[116:117], v[104:105], v[114:115] op_sel:[0,0,1] op_sel_hi:[1,1,0] neg_lo:[0,0,1] neg_hi:[0,0,1]
	v_pk_fma_f32 v[114:115], v[116:117], v[104:105], v[114:115] op_sel:[0,0,1] op_sel_hi:[1,0,0]
	s_delay_alu instid0(VALU_DEP_1) | instskip(SKIP_4) | instid1(VALU_DEP_1)
	v_mov_b32_e32 v119, v115
	ds_load_2addr_b64 v[114:117], v108 offset0:31 offset1:32
	v_pk_add_f32 v[42:43], v[42:43], v[118:119] neg_lo:[0,1] neg_hi:[0,1]
	s_wait_dscnt 0x0
	v_pk_mul_f32 v[118:119], v[114:115], v[106:107] op_sel:[0,1]
	v_pk_fma_f32 v[120:121], v[114:115], v[104:105], v[118:119] op_sel:[0,0,1] op_sel_hi:[1,1,0] neg_lo:[0,0,1] neg_hi:[0,0,1]
	v_pk_fma_f32 v[114:115], v[114:115], v[104:105], v[118:119] op_sel:[0,0,1] op_sel_hi:[1,0,0]
	v_dual_mul_f32 v118, v117, v107 :: v_dual_mov_b32 v114, v117
	s_delay_alu instid0(VALU_DEP_2) | instskip(NEXT) | instid1(VALU_DEP_2)
	v_dual_mov_b32 v121, v115 :: v_dual_mov_b32 v115, v116
	v_pk_fma_f32 v[118:119], v[116:117], v[66:67], v[118:119] op_sel_hi:[1,1,0] neg_lo:[0,0,1] neg_hi:[0,0,1]
	v_mul_f32_e32 v116, v117, v104
	s_delay_alu instid0(VALU_DEP_3) | instskip(NEXT) | instid1(VALU_DEP_2)
	v_pk_add_f32 v[38:39], v[38:39], v[120:121] neg_lo:[0,1] neg_hi:[0,1]
	v_pk_fma_f32 v[114:115], v[114:115], v[66:67], v[116:117] op_sel_hi:[1,1,0]
	s_delay_alu instid0(VALU_DEP_1) | instskip(SKIP_4) | instid1(VALU_DEP_1)
	v_mov_b32_e32 v119, v115
	ds_load_2addr_b64 v[114:117], v108 offset0:33 offset1:34
	v_pk_add_f32 v[36:37], v[36:37], v[118:119] neg_lo:[0,1] neg_hi:[0,1]
	s_wait_dscnt 0x0
	v_pk_mul_f32 v[118:119], v[114:115], v[106:107] op_sel:[0,1]
	v_pk_fma_f32 v[120:121], v[114:115], v[104:105], v[118:119] op_sel:[0,0,1] op_sel_hi:[1,1,0] neg_lo:[0,0,1] neg_hi:[0,0,1]
	v_pk_fma_f32 v[114:115], v[114:115], v[104:105], v[118:119] op_sel:[0,0,1] op_sel_hi:[1,0,0]
	s_delay_alu instid0(VALU_DEP_1) | instskip(SKIP_1) | instid1(VALU_DEP_1)
	v_mov_b32_e32 v121, v115
	v_pk_mul_f32 v[114:115], v[116:117], v[106:107] op_sel:[0,1]
	v_pk_fma_f32 v[118:119], v[116:117], v[104:105], v[114:115] op_sel:[0,0,1] op_sel_hi:[1,1,0] neg_lo:[0,0,1] neg_hi:[0,0,1]
	v_pk_fma_f32 v[114:115], v[116:117], v[104:105], v[114:115] op_sel:[0,0,1] op_sel_hi:[1,0,0]
	s_delay_alu instid0(VALU_DEP_1)
	v_mov_b32_e32 v119, v115
	ds_load_2addr_b64 v[114:117], v108 offset0:35 offset1:36
	v_pk_add_f32 v[32:33], v[32:33], v[120:121] neg_lo:[0,1] neg_hi:[0,1]
	v_pk_add_f32 v[34:35], v[34:35], v[118:119] neg_lo:[0,1] neg_hi:[0,1]
	s_wait_dscnt 0x0
	v_pk_mul_f32 v[118:119], v[114:115], v[106:107] op_sel:[0,1]
	s_delay_alu instid0(VALU_DEP_1) | instskip(SKIP_1) | instid1(VALU_DEP_1)
	v_pk_fma_f32 v[120:121], v[114:115], v[104:105], v[118:119] op_sel:[0,0,1] op_sel_hi:[1,1,0] neg_lo:[0,0,1] neg_hi:[0,0,1]
	v_pk_fma_f32 v[114:115], v[114:115], v[104:105], v[118:119] op_sel:[0,0,1] op_sel_hi:[1,0,0]
	v_mov_b32_e32 v121, v115
	v_pk_mul_f32 v[114:115], v[116:117], v[106:107] op_sel:[0,1]
	s_delay_alu instid0(VALU_DEP_1) | instskip(SKIP_1) | instid1(VALU_DEP_1)
	v_pk_fma_f32 v[118:119], v[116:117], v[104:105], v[114:115] op_sel:[0,0,1] op_sel_hi:[1,1,0] neg_lo:[0,0,1] neg_hi:[0,0,1]
	v_pk_fma_f32 v[114:115], v[116:117], v[104:105], v[114:115] op_sel:[0,0,1] op_sel_hi:[1,0,0]
	v_mov_b32_e32 v119, v115
	ds_load_2addr_b64 v[114:117], v108 offset0:37 offset1:38
	v_pk_add_f32 v[30:31], v[30:31], v[120:121] neg_lo:[0,1] neg_hi:[0,1]
	v_pk_add_f32 v[26:27], v[26:27], v[118:119] neg_lo:[0,1] neg_hi:[0,1]
	s_wait_dscnt 0x0
	v_dual_mul_f32 v118, v115, v107 :: v_dual_mul_f32 v120, v115, v104
	s_delay_alu instid0(VALU_DEP_1) | instskip(NEXT) | instid1(VALU_DEP_2)
	v_pk_fma_f32 v[118:119], v[114:115], v[66:67], v[118:119] op_sel_hi:[1,1,0] neg_lo:[0,0,1] neg_hi:[0,0,1]
	v_pk_fma_f32 v[114:115], v[114:115], v[66:67], v[120:121] op_sel:[1,0,0] op_sel_hi:[0,1,0]
	s_delay_alu instid0(VALU_DEP_1) | instskip(SKIP_1) | instid1(VALU_DEP_2)
	v_mov_b32_e32 v119, v115
	v_pk_mul_f32 v[114:115], v[116:117], v[106:107] op_sel:[0,1]
	v_pk_add_f32 v[22:23], v[22:23], v[118:119] neg_lo:[0,1] neg_hi:[0,1]
	s_delay_alu instid0(VALU_DEP_2) | instskip(SKIP_1) | instid1(VALU_DEP_1)
	v_pk_fma_f32 v[118:119], v[116:117], v[104:105], v[114:115] op_sel:[0,0,1] op_sel_hi:[1,1,0] neg_lo:[0,0,1] neg_hi:[0,0,1]
	v_pk_fma_f32 v[114:115], v[116:117], v[104:105], v[114:115] op_sel:[0,0,1] op_sel_hi:[1,0,0]
	v_mov_b32_e32 v119, v115
	ds_load_2addr_b64 v[114:117], v108 offset0:39 offset1:40
	v_pk_add_f32 v[24:25], v[24:25], v[118:119] neg_lo:[0,1] neg_hi:[0,1]
	s_wait_dscnt 0x0
	v_pk_mul_f32 v[118:119], v[114:115], v[106:107] op_sel:[0,1]
	s_delay_alu instid0(VALU_DEP_1) | instskip(SKIP_1) | instid1(VALU_DEP_1)
	v_pk_fma_f32 v[120:121], v[114:115], v[104:105], v[118:119] op_sel:[0,0,1] op_sel_hi:[1,1,0] neg_lo:[0,0,1] neg_hi:[0,0,1]
	v_pk_fma_f32 v[114:115], v[114:115], v[104:105], v[118:119] op_sel:[0,0,1] op_sel_hi:[1,0,0]
	v_mov_b32_e32 v121, v115
	v_pk_mul_f32 v[114:115], v[116:117], v[106:107] op_sel:[0,1]
	s_delay_alu instid0(VALU_DEP_2) | instskip(NEXT) | instid1(VALU_DEP_2)
	v_pk_add_f32 v[20:21], v[20:21], v[120:121] neg_lo:[0,1] neg_hi:[0,1]
	v_pk_fma_f32 v[118:119], v[116:117], v[104:105], v[114:115] op_sel:[0,0,1] op_sel_hi:[1,1,0] neg_lo:[0,0,1] neg_hi:[0,0,1]
	v_pk_fma_f32 v[114:115], v[116:117], v[104:105], v[114:115] op_sel:[0,0,1] op_sel_hi:[1,0,0]
	s_delay_alu instid0(VALU_DEP_1) | instskip(SKIP_4) | instid1(VALU_DEP_1)
	v_mov_b32_e32 v119, v115
	ds_load_2addr_b64 v[114:117], v108 offset0:41 offset1:42
	v_pk_add_f32 v[14:15], v[14:15], v[118:119] neg_lo:[0,1] neg_hi:[0,1]
	s_wait_dscnt 0x0
	v_pk_mul_f32 v[118:119], v[114:115], v[106:107] op_sel:[0,1]
	v_pk_fma_f32 v[120:121], v[114:115], v[104:105], v[118:119] op_sel:[0,0,1] op_sel_hi:[1,1,0] neg_lo:[0,0,1] neg_hi:[0,0,1]
	v_pk_fma_f32 v[114:115], v[114:115], v[104:105], v[118:119] op_sel:[0,0,1] op_sel_hi:[1,0,0]
	v_dual_mul_f32 v118, v117, v107 :: v_dual_mov_b32 v114, v117
	s_delay_alu instid0(VALU_DEP_2) | instskip(NEXT) | instid1(VALU_DEP_2)
	v_dual_mov_b32 v121, v115 :: v_dual_mov_b32 v115, v116
	v_pk_fma_f32 v[118:119], v[116:117], v[66:67], v[118:119] op_sel_hi:[1,1,0] neg_lo:[0,0,1] neg_hi:[0,0,1]
	v_mul_f32_e32 v116, v117, v104
	s_delay_alu instid0(VALU_DEP_3) | instskip(NEXT) | instid1(VALU_DEP_2)
	v_pk_add_f32 v[10:11], v[10:11], v[120:121] neg_lo:[0,1] neg_hi:[0,1]
	v_pk_fma_f32 v[114:115], v[114:115], v[66:67], v[116:117] op_sel_hi:[1,1,0]
	s_delay_alu instid0(VALU_DEP_1) | instskip(SKIP_4) | instid1(VALU_DEP_1)
	v_mov_b32_e32 v119, v115
	ds_load_2addr_b64 v[114:117], v108 offset0:43 offset1:44
	v_pk_add_f32 v[12:13], v[12:13], v[118:119] neg_lo:[0,1] neg_hi:[0,1]
	s_wait_dscnt 0x0
	v_pk_mul_f32 v[118:119], v[114:115], v[106:107] op_sel:[0,1]
	v_pk_fma_f32 v[120:121], v[114:115], v[104:105], v[118:119] op_sel:[0,0,1] op_sel_hi:[1,1,0] neg_lo:[0,0,1] neg_hi:[0,0,1]
	v_pk_fma_f32 v[114:115], v[114:115], v[104:105], v[118:119] op_sel:[0,0,1] op_sel_hi:[1,0,0]
	s_delay_alu instid0(VALU_DEP_1) | instskip(SKIP_1) | instid1(VALU_DEP_1)
	v_mov_b32_e32 v121, v115
	v_pk_mul_f32 v[114:115], v[116:117], v[106:107] op_sel:[0,1]
	v_pk_fma_f32 v[118:119], v[116:117], v[104:105], v[114:115] op_sel:[0,0,1] op_sel_hi:[1,1,0] neg_lo:[0,0,1] neg_hi:[0,0,1]
	v_pk_fma_f32 v[114:115], v[116:117], v[104:105], v[114:115] op_sel:[0,0,1] op_sel_hi:[1,0,0]
	s_delay_alu instid0(VALU_DEP_1)
	v_mov_b32_e32 v119, v115
	ds_load_2addr_b64 v[114:117], v108 offset0:45 offset1:46
	v_pk_add_f32 v[8:9], v[8:9], v[120:121] neg_lo:[0,1] neg_hi:[0,1]
	v_pk_add_f32 v[6:7], v[6:7], v[118:119] neg_lo:[0,1] neg_hi:[0,1]
	s_wait_dscnt 0x0
	v_pk_mul_f32 v[118:119], v[114:115], v[106:107] op_sel:[0,1]
	s_delay_alu instid0(VALU_DEP_1) | instskip(SKIP_1) | instid1(VALU_DEP_1)
	v_pk_fma_f32 v[120:121], v[114:115], v[104:105], v[118:119] op_sel:[0,0,1] op_sel_hi:[1,1,0] neg_lo:[0,0,1] neg_hi:[0,0,1]
	v_pk_fma_f32 v[114:115], v[114:115], v[104:105], v[118:119] op_sel:[0,0,1] op_sel_hi:[1,0,0]
	v_mov_b32_e32 v121, v115
	v_pk_mul_f32 v[114:115], v[116:117], v[106:107] op_sel:[0,1]
	s_delay_alu instid0(VALU_DEP_1) | instskip(SKIP_1) | instid1(VALU_DEP_1)
	v_pk_fma_f32 v[118:119], v[116:117], v[104:105], v[114:115] op_sel:[0,0,1] op_sel_hi:[1,1,0] neg_lo:[0,0,1] neg_hi:[0,0,1]
	v_pk_fma_f32 v[114:115], v[116:117], v[104:105], v[114:115] op_sel:[0,0,1] op_sel_hi:[1,0,0]
	v_mov_b32_e32 v119, v115
	ds_load_2addr_b64 v[114:117], v108 offset0:47 offset1:48
	v_pk_add_f32 v[28:29], v[28:29], v[120:121] neg_lo:[0,1] neg_hi:[0,1]
	v_pk_add_f32 v[18:19], v[18:19], v[118:119] neg_lo:[0,1] neg_hi:[0,1]
	s_wait_dscnt 0x0
	v_dual_mul_f32 v118, v115, v107 :: v_dual_mul_f32 v120, v115, v104
	v_pk_mul_f32 v[106:107], v[116:117], v[106:107] op_sel:[0,1]
	s_delay_alu instid0(VALU_DEP_2) | instskip(NEXT) | instid1(VALU_DEP_3)
	v_pk_fma_f32 v[118:119], v[114:115], v[66:67], v[118:119] op_sel_hi:[1,1,0] neg_lo:[0,0,1] neg_hi:[0,0,1]
	v_pk_fma_f32 v[114:115], v[114:115], v[66:67], v[120:121] op_sel:[1,0,0] op_sel_hi:[0,1,0]
	s_delay_alu instid0(VALU_DEP_1) | instskip(NEXT) | instid1(VALU_DEP_4)
	v_mov_b32_e32 v119, v115
	v_pk_fma_f32 v[114:115], v[116:117], v[104:105], v[106:107] op_sel:[0,0,1] op_sel_hi:[1,1,0] neg_lo:[0,0,1] neg_hi:[0,0,1]
	v_pk_fma_f32 v[104:105], v[116:117], v[104:105], v[106:107] op_sel:[0,0,1] op_sel_hi:[1,0,0]
	s_delay_alu instid0(VALU_DEP_1) | instskip(NEXT) | instid1(VALU_DEP_4)
	v_mov_b32_e32 v115, v105
	v_pk_add_f32 v[16:17], v[16:17], v[118:119] neg_lo:[0,1] neg_hi:[0,1]
	s_delay_alu instid0(VALU_DEP_2)
	v_pk_add_f32 v[102:103], v[102:103], v[114:115] neg_lo:[0,1] neg_hi:[0,1]
.LBB96_188:
	s_or_b32 exec_lo, exec_lo, s0
	v_lshl_add_u32 v104, v112, 3, v108
	s_barrier_signal -1
	s_barrier_wait -1
	ds_store_b64 v104, v[62:63]
	s_wait_dscnt 0x0
	s_barrier_signal -1
	s_barrier_wait -1
	ds_load_b64 v[106:107], v108 offset:72
	v_mov_b32_e32 v104, 9
	s_cmp_lt_i32 s18, 11
	s_cbranch_scc1 .LBB96_191
; %bb.189:
	v_add3_u32 v105, v109, 0, 0x50
	v_mov_b32_e32 v104, 9
	s_mov_b32 s0, 10
.LBB96_190:                             ; =>This Inner Loop Header: Depth=1
	ds_load_b64 v[114:115], v105
	s_wait_dscnt 0x1
	v_cmp_gt_f32_e32 vcc_lo, 0, v106
	v_cndmask_b32_e64 v116, v106, -v106, vcc_lo
	v_cmp_gt_f32_e32 vcc_lo, 0, v107
	v_cndmask_b32_e64 v118, v107, -v107, vcc_lo
	s_wait_dscnt 0x0
	v_cmp_gt_f32_e32 vcc_lo, 0, v114
	v_cndmask_b32_e64 v117, v114, -v114, vcc_lo
	v_cmp_gt_f32_e32 vcc_lo, 0, v115
	v_cndmask_b32_e64 v119, v115, -v115, vcc_lo
	s_delay_alu instid0(VALU_DEP_1) | instskip(NEXT) | instid1(VALU_DEP_1)
	v_pk_add_f32 v[116:117], v[116:117], v[118:119]
	v_cmp_lt_f32_e32 vcc_lo, v116, v117
	v_dual_add_nc_u32 v105, 8, v105 :: v_dual_cndmask_b32 v107, v107, v115, vcc_lo
	v_cndmask_b32_e32 v106, v106, v114, vcc_lo
	v_cndmask_b32_e64 v104, v104, s0, vcc_lo
	s_add_co_i32 s0, s0, 1
	s_delay_alu instid0(SALU_CYCLE_1)
	s_cmp_lg_u32 s18, s0
	s_cbranch_scc1 .LBB96_190
.LBB96_191:
	s_wait_dscnt 0x0
	v_cmp_eq_f32_e32 vcc_lo, 0, v106
	v_cmp_eq_f32_e64 s0, 0, v107
	s_and_b32 s0, vcc_lo, s0
	s_delay_alu instid0(SALU_CYCLE_1) | instskip(NEXT) | instid1(SALU_CYCLE_1)
	s_and_saveexec_b32 s1, s0
	s_xor_b32 s0, exec_lo, s1
; %bb.192:
	v_cmp_ne_u32_e32 vcc_lo, 0, v110
	v_cndmask_b32_e32 v110, 10, v110, vcc_lo
; %bb.193:
	s_and_not1_saveexec_b32 s0, s0
	s_cbranch_execz .LBB96_199
; %bb.194:
	v_cmp_ngt_f32_e64 s1, |v106|, |v107|
	s_and_saveexec_b32 s12, s1
	s_delay_alu instid0(SALU_CYCLE_1)
	s_xor_b32 s1, exec_lo, s12
	s_cbranch_execz .LBB96_196
; %bb.195:
	v_div_scale_f32 v105, null, v107, v107, v106
	v_div_scale_f32 v115, vcc_lo, v106, v107, v106
	s_delay_alu instid0(VALU_DEP_2) | instskip(SKIP_1) | instid1(TRANS32_DEP_1)
	v_rcp_f32_e32 v113, v105
	v_nop
	v_fma_f32 v114, -v105, v113, 1.0
	s_delay_alu instid0(VALU_DEP_1) | instskip(NEXT) | instid1(VALU_DEP_1)
	v_fmac_f32_e32 v113, v114, v113
	v_mul_f32_e32 v114, v115, v113
	s_delay_alu instid0(VALU_DEP_1) | instskip(NEXT) | instid1(VALU_DEP_1)
	v_fma_f32 v116, -v105, v114, v115
	v_fmac_f32_e32 v114, v116, v113
	s_delay_alu instid0(VALU_DEP_1) | instskip(NEXT) | instid1(VALU_DEP_1)
	v_fma_f32 v105, -v105, v114, v115
	v_div_fmas_f32 v105, v105, v113, v114
	s_delay_alu instid0(VALU_DEP_1) | instskip(NEXT) | instid1(VALU_DEP_1)
	v_div_fixup_f32 v105, v105, v107, v106
	v_fmac_f32_e32 v107, v106, v105
	s_delay_alu instid0(VALU_DEP_1) | instskip(SKIP_1) | instid1(VALU_DEP_2)
	v_div_scale_f32 v106, null, v107, v107, 1.0
	v_div_scale_f32 v115, vcc_lo, 1.0, v107, 1.0
	v_rcp_f32_e32 v113, v106
	v_nop
	s_delay_alu instid0(TRANS32_DEP_1) | instskip(NEXT) | instid1(VALU_DEP_1)
	v_fma_f32 v114, -v106, v113, 1.0
	v_fmac_f32_e32 v113, v114, v113
	s_delay_alu instid0(VALU_DEP_1) | instskip(NEXT) | instid1(VALU_DEP_1)
	v_mul_f32_e32 v114, v115, v113
	v_fma_f32 v116, -v106, v114, v115
	s_delay_alu instid0(VALU_DEP_1) | instskip(NEXT) | instid1(VALU_DEP_1)
	v_fmac_f32_e32 v114, v116, v113
	v_fma_f32 v106, -v106, v114, v115
	s_delay_alu instid0(VALU_DEP_1) | instskip(NEXT) | instid1(VALU_DEP_1)
	v_div_fmas_f32 v106, v106, v113, v114
	v_div_fixup_f32 v107, v106, v107, 1.0
	s_delay_alu instid0(VALU_DEP_1)
	v_mul_f32_e32 v106, v105, v107
	v_xor_b32_e32 v107, 0x80000000, v107
.LBB96_196:
	s_and_not1_saveexec_b32 s1, s1
	s_cbranch_execz .LBB96_198
; %bb.197:
	s_delay_alu instid0(VALU_DEP_1) | instskip(SKIP_1) | instid1(VALU_DEP_2)
	v_div_scale_f32 v105, null, v106, v106, v107
	v_div_scale_f32 v115, vcc_lo, v107, v106, v107
	v_rcp_f32_e32 v113, v105
	v_nop
	s_delay_alu instid0(TRANS32_DEP_1) | instskip(NEXT) | instid1(VALU_DEP_1)
	v_fma_f32 v114, -v105, v113, 1.0
	v_fmac_f32_e32 v113, v114, v113
	s_delay_alu instid0(VALU_DEP_1) | instskip(NEXT) | instid1(VALU_DEP_1)
	v_mul_f32_e32 v114, v115, v113
	v_fma_f32 v116, -v105, v114, v115
	s_delay_alu instid0(VALU_DEP_1) | instskip(NEXT) | instid1(VALU_DEP_1)
	v_fmac_f32_e32 v114, v116, v113
	v_fma_f32 v105, -v105, v114, v115
	s_delay_alu instid0(VALU_DEP_1) | instskip(NEXT) | instid1(VALU_DEP_1)
	v_div_fmas_f32 v105, v105, v113, v114
	v_div_fixup_f32 v105, v105, v106, v107
	s_delay_alu instid0(VALU_DEP_1) | instskip(NEXT) | instid1(VALU_DEP_1)
	v_fmac_f32_e32 v106, v107, v105
	v_div_scale_f32 v107, null, v106, v106, 1.0
	s_delay_alu instid0(VALU_DEP_1) | instskip(SKIP_1) | instid1(TRANS32_DEP_1)
	v_rcp_f32_e32 v113, v107
	v_nop
	v_fma_f32 v114, -v107, v113, 1.0
	s_delay_alu instid0(VALU_DEP_1) | instskip(SKIP_1) | instid1(VALU_DEP_1)
	v_fmac_f32_e32 v113, v114, v113
	v_div_scale_f32 v114, vcc_lo, 1.0, v106, 1.0
	v_mul_f32_e32 v115, v114, v113
	s_delay_alu instid0(VALU_DEP_1) | instskip(NEXT) | instid1(VALU_DEP_1)
	v_fma_f32 v116, -v107, v115, v114
	v_fmac_f32_e32 v115, v116, v113
	s_delay_alu instid0(VALU_DEP_1) | instskip(NEXT) | instid1(VALU_DEP_1)
	v_fma_f32 v107, -v107, v115, v114
	v_div_fmas_f32 v107, v107, v113, v115
	s_delay_alu instid0(VALU_DEP_1) | instskip(NEXT) | instid1(VALU_DEP_1)
	v_div_fixup_f32 v106, v107, v106, 1.0
	v_mul_f32_e64 v107, v105, -v106
.LBB96_198:
	s_or_b32 exec_lo, exec_lo, s1
.LBB96_199:
	s_delay_alu instid0(SALU_CYCLE_1) | instskip(NEXT) | instid1(SALU_CYCLE_1)
	s_or_b32 exec_lo, exec_lo, s0
	s_mov_b32 s0, exec_lo
	v_cmpx_ne_u32_e64 v112, v104
	s_xor_b32 s0, exec_lo, s0
	s_cbranch_execz .LBB96_205
; %bb.200:
	s_mov_b32 s1, exec_lo
	v_cmpx_eq_u32_e32 9, v112
	s_cbranch_execz .LBB96_204
; %bb.201:
	v_cmp_ne_u32_e32 vcc_lo, 9, v104
	s_xor_b32 s12, s16, -1
	s_delay_alu instid0(SALU_CYCLE_1) | instskip(NEXT) | instid1(SALU_CYCLE_1)
	s_and_b32 s13, s12, vcc_lo
	s_and_saveexec_b32 s12, s13
	s_cbranch_execz .LBB96_203
; %bb.202:
	v_ashrrev_i32_e32 v105, 31, v104
	s_delay_alu instid0(VALU_DEP_1)
	v_lshl_add_u64 v[112:113], v[104:105], 2, v[4:5]
	s_clause 0x1
	global_load_b32 v105, v[112:113], off
	global_load_b32 v111, v[4:5], off offset:36
	s_wait_loadcnt 0x1
	global_store_b32 v[4:5], v105, off offset:36
	s_wait_loadcnt 0x0
	global_store_b32 v[112:113], v111, off
.LBB96_203:
	s_wait_xcnt 0x0
	s_or_b32 exec_lo, exec_lo, s12
	v_dual_mov_b32 v112, v104 :: v_dual_mov_b32 v111, v104
.LBB96_204:
	s_or_b32 exec_lo, exec_lo, s1
.LBB96_205:
	s_and_not1_saveexec_b32 s0, s0
	s_cbranch_execz .LBB96_207
; %bb.206:
	v_dual_mov_b32 v104, v64 :: v_dual_mov_b32 v105, v65
	v_dual_mov_b32 v112, v60 :: v_dual_mov_b32 v113, v61
	ds_store_2addr_b64 v108, v[104:105], v[112:113] offset0:10 offset1:11
	v_dual_mov_b32 v104, v90 :: v_dual_mov_b32 v105, v91
	v_dual_mov_b32 v112, v86 :: v_dual_mov_b32 v113, v87
	ds_store_2addr_b64 v108, v[104:105], v[112:113] offset0:12 offset1:13
	;; [unrolled: 3-line block ×19, first 2 shown]
	ds_store_b64 v108, v[102:103] offset:384
	v_mov_b32_e32 v112, 9
.LBB96_207:
	s_or_b32 exec_lo, exec_lo, s0
	s_delay_alu instid0(SALU_CYCLE_1)
	s_mov_b32 s0, exec_lo
	s_wait_storecnt_dscnt 0x0
	s_barrier_signal -1
	s_barrier_wait -1
	v_cmpx_lt_i32_e32 9, v112
	s_cbranch_execz .LBB96_209
; %bb.208:
	v_pk_mul_f32 v[114:115], v[106:107], v[62:63] op_sel:[1,1] op_sel_hi:[0,1]
	s_delay_alu instid0(VALU_DEP_1)
	v_pk_fma_f32 v[104:105], v[106:107], v[62:63], v[114:115] op_sel_hi:[1,0,1] neg_lo:[0,0,1] neg_hi:[0,0,1]
	v_pk_fma_f32 v[106:107], v[106:107], v[62:63], v[114:115] op_sel_hi:[1,0,1]
	ds_load_2addr_b64 v[114:117], v108 offset0:10 offset1:11
	v_dual_mov_b32 v62, v104 :: v_dual_mov_b32 v63, v107
	s_wait_dscnt 0x0
	v_pk_mul_f32 v[118:119], v[114:115], v[106:107] op_sel:[0,1]
	s_delay_alu instid0(VALU_DEP_1) | instskip(SKIP_1) | instid1(VALU_DEP_1)
	v_pk_fma_f32 v[120:121], v[114:115], v[104:105], v[118:119] op_sel:[0,0,1] op_sel_hi:[1,1,0] neg_lo:[0,0,1] neg_hi:[0,0,1]
	v_pk_fma_f32 v[114:115], v[114:115], v[104:105], v[118:119] op_sel:[0,0,1] op_sel_hi:[1,0,0]
	v_mov_b32_e32 v121, v115
	v_pk_mul_f32 v[114:115], v[116:117], v[106:107] op_sel:[0,1]
	s_delay_alu instid0(VALU_DEP_1) | instskip(SKIP_1) | instid1(VALU_DEP_1)
	v_pk_fma_f32 v[118:119], v[116:117], v[104:105], v[114:115] op_sel:[0,0,1] op_sel_hi:[1,1,0] neg_lo:[0,0,1] neg_hi:[0,0,1]
	v_pk_fma_f32 v[114:115], v[116:117], v[104:105], v[114:115] op_sel:[0,0,1] op_sel_hi:[1,0,0]
	v_mov_b32_e32 v119, v115
	ds_load_2addr_b64 v[114:117], v108 offset0:12 offset1:13
	v_pk_add_f32 v[64:65], v[64:65], v[120:121] neg_lo:[0,1] neg_hi:[0,1]
	v_pk_add_f32 v[60:61], v[60:61], v[118:119] neg_lo:[0,1] neg_hi:[0,1]
	s_wait_dscnt 0x0
	v_pk_mul_f32 v[118:119], v[114:115], v[106:107] op_sel:[0,1]
	s_delay_alu instid0(VALU_DEP_1) | instskip(SKIP_2) | instid1(VALU_DEP_2)
	v_pk_fma_f32 v[120:121], v[114:115], v[104:105], v[118:119] op_sel:[0,0,1] op_sel_hi:[1,1,0] neg_lo:[0,0,1] neg_hi:[0,0,1]
	v_pk_fma_f32 v[114:115], v[114:115], v[104:105], v[118:119] op_sel:[0,0,1] op_sel_hi:[1,0,0]
	v_dual_mul_f32 v118, v117, v107 :: v_dual_mov_b32 v114, v117
	v_dual_mov_b32 v121, v115 :: v_dual_mov_b32 v115, v116
	s_delay_alu instid0(VALU_DEP_2) | instskip(SKIP_1) | instid1(VALU_DEP_3)
	v_pk_fma_f32 v[118:119], v[116:117], v[62:63], v[118:119] op_sel_hi:[1,1,0] neg_lo:[0,0,1] neg_hi:[0,0,1]
	v_mul_f32_e32 v116, v117, v104
	v_pk_add_f32 v[90:91], v[90:91], v[120:121] neg_lo:[0,1] neg_hi:[0,1]
	s_delay_alu instid0(VALU_DEP_2) | instskip(NEXT) | instid1(VALU_DEP_1)
	v_pk_fma_f32 v[114:115], v[114:115], v[62:63], v[116:117] op_sel_hi:[1,1,0]
	v_mov_b32_e32 v119, v115
	ds_load_2addr_b64 v[114:117], v108 offset0:14 offset1:15
	v_pk_add_f32 v[86:87], v[86:87], v[118:119] neg_lo:[0,1] neg_hi:[0,1]
	s_wait_dscnt 0x0
	v_pk_mul_f32 v[118:119], v[114:115], v[106:107] op_sel:[0,1]
	s_delay_alu instid0(VALU_DEP_1) | instskip(SKIP_1) | instid1(VALU_DEP_1)
	v_pk_fma_f32 v[120:121], v[114:115], v[104:105], v[118:119] op_sel:[0,0,1] op_sel_hi:[1,1,0] neg_lo:[0,0,1] neg_hi:[0,0,1]
	v_pk_fma_f32 v[114:115], v[114:115], v[104:105], v[118:119] op_sel:[0,0,1] op_sel_hi:[1,0,0]
	v_mov_b32_e32 v121, v115
	v_pk_mul_f32 v[114:115], v[116:117], v[106:107] op_sel:[0,1]
	s_delay_alu instid0(VALU_DEP_1) | instskip(SKIP_1) | instid1(VALU_DEP_1)
	v_pk_fma_f32 v[118:119], v[116:117], v[104:105], v[114:115] op_sel:[0,0,1] op_sel_hi:[1,1,0] neg_lo:[0,0,1] neg_hi:[0,0,1]
	v_pk_fma_f32 v[114:115], v[116:117], v[104:105], v[114:115] op_sel:[0,0,1] op_sel_hi:[1,0,0]
	v_mov_b32_e32 v119, v115
	ds_load_2addr_b64 v[114:117], v108 offset0:16 offset1:17
	v_pk_add_f32 v[88:89], v[88:89], v[120:121] neg_lo:[0,1] neg_hi:[0,1]
	v_pk_add_f32 v[84:85], v[84:85], v[118:119] neg_lo:[0,1] neg_hi:[0,1]
	s_wait_dscnt 0x0
	v_pk_mul_f32 v[118:119], v[114:115], v[106:107] op_sel:[0,1]
	s_delay_alu instid0(VALU_DEP_1) | instskip(SKIP_1) | instid1(VALU_DEP_1)
	v_pk_fma_f32 v[120:121], v[114:115], v[104:105], v[118:119] op_sel:[0,0,1] op_sel_hi:[1,1,0] neg_lo:[0,0,1] neg_hi:[0,0,1]
	v_pk_fma_f32 v[114:115], v[114:115], v[104:105], v[118:119] op_sel:[0,0,1] op_sel_hi:[1,0,0]
	v_mov_b32_e32 v121, v115
	v_pk_mul_f32 v[114:115], v[116:117], v[106:107] op_sel:[0,1]
	s_delay_alu instid0(VALU_DEP_1) | instskip(SKIP_1) | instid1(VALU_DEP_1)
	v_pk_fma_f32 v[118:119], v[116:117], v[104:105], v[114:115] op_sel:[0,0,1] op_sel_hi:[1,1,0] neg_lo:[0,0,1] neg_hi:[0,0,1]
	v_pk_fma_f32 v[114:115], v[116:117], v[104:105], v[114:115] op_sel:[0,0,1] op_sel_hi:[1,0,0]
	v_mov_b32_e32 v119, v115
	ds_load_2addr_b64 v[114:117], v108 offset0:18 offset1:19
	v_pk_add_f32 v[82:83], v[82:83], v[120:121] neg_lo:[0,1] neg_hi:[0,1]
	v_pk_add_f32 v[78:79], v[78:79], v[118:119] neg_lo:[0,1] neg_hi:[0,1]
	s_wait_dscnt 0x0
	v_dual_mul_f32 v118, v115, v107 :: v_dual_mul_f32 v120, v115, v104
	s_delay_alu instid0(VALU_DEP_1) | instskip(NEXT) | instid1(VALU_DEP_2)
	v_pk_fma_f32 v[118:119], v[114:115], v[62:63], v[118:119] op_sel_hi:[1,1,0] neg_lo:[0,0,1] neg_hi:[0,0,1]
	v_pk_fma_f32 v[114:115], v[114:115], v[62:63], v[120:121] op_sel:[1,0,0] op_sel_hi:[0,1,0]
	s_delay_alu instid0(VALU_DEP_1) | instskip(SKIP_1) | instid1(VALU_DEP_2)
	v_mov_b32_e32 v119, v115
	v_pk_mul_f32 v[114:115], v[116:117], v[106:107] op_sel:[0,1]
	v_pk_add_f32 v[80:81], v[80:81], v[118:119] neg_lo:[0,1] neg_hi:[0,1]
	s_delay_alu instid0(VALU_DEP_2) | instskip(SKIP_1) | instid1(VALU_DEP_1)
	v_pk_fma_f32 v[118:119], v[116:117], v[104:105], v[114:115] op_sel:[0,0,1] op_sel_hi:[1,1,0] neg_lo:[0,0,1] neg_hi:[0,0,1]
	v_pk_fma_f32 v[114:115], v[116:117], v[104:105], v[114:115] op_sel:[0,0,1] op_sel_hi:[1,0,0]
	v_mov_b32_e32 v119, v115
	ds_load_2addr_b64 v[114:117], v108 offset0:20 offset1:21
	v_pk_add_f32 v[76:77], v[76:77], v[118:119] neg_lo:[0,1] neg_hi:[0,1]
	s_wait_dscnt 0x0
	v_pk_mul_f32 v[118:119], v[114:115], v[106:107] op_sel:[0,1]
	s_delay_alu instid0(VALU_DEP_1) | instskip(SKIP_1) | instid1(VALU_DEP_1)
	v_pk_fma_f32 v[120:121], v[114:115], v[104:105], v[118:119] op_sel:[0,0,1] op_sel_hi:[1,1,0] neg_lo:[0,0,1] neg_hi:[0,0,1]
	v_pk_fma_f32 v[114:115], v[114:115], v[104:105], v[118:119] op_sel:[0,0,1] op_sel_hi:[1,0,0]
	v_mov_b32_e32 v121, v115
	v_pk_mul_f32 v[114:115], v[116:117], v[106:107] op_sel:[0,1]
	s_delay_alu instid0(VALU_DEP_2) | instskip(NEXT) | instid1(VALU_DEP_2)
	v_pk_add_f32 v[74:75], v[74:75], v[120:121] neg_lo:[0,1] neg_hi:[0,1]
	v_pk_fma_f32 v[118:119], v[116:117], v[104:105], v[114:115] op_sel:[0,0,1] op_sel_hi:[1,1,0] neg_lo:[0,0,1] neg_hi:[0,0,1]
	v_pk_fma_f32 v[114:115], v[116:117], v[104:105], v[114:115] op_sel:[0,0,1] op_sel_hi:[1,0,0]
	s_delay_alu instid0(VALU_DEP_1) | instskip(SKIP_4) | instid1(VALU_DEP_1)
	v_mov_b32_e32 v119, v115
	ds_load_2addr_b64 v[114:117], v108 offset0:22 offset1:23
	v_pk_add_f32 v[70:71], v[70:71], v[118:119] neg_lo:[0,1] neg_hi:[0,1]
	s_wait_dscnt 0x0
	v_pk_mul_f32 v[118:119], v[114:115], v[106:107] op_sel:[0,1]
	v_pk_fma_f32 v[120:121], v[114:115], v[104:105], v[118:119] op_sel:[0,0,1] op_sel_hi:[1,1,0] neg_lo:[0,0,1] neg_hi:[0,0,1]
	v_pk_fma_f32 v[114:115], v[114:115], v[104:105], v[118:119] op_sel:[0,0,1] op_sel_hi:[1,0,0]
	v_dual_mul_f32 v118, v117, v107 :: v_dual_mov_b32 v114, v117
	s_delay_alu instid0(VALU_DEP_2) | instskip(NEXT) | instid1(VALU_DEP_2)
	v_dual_mov_b32 v121, v115 :: v_dual_mov_b32 v115, v116
	v_pk_fma_f32 v[118:119], v[116:117], v[62:63], v[118:119] op_sel_hi:[1,1,0] neg_lo:[0,0,1] neg_hi:[0,0,1]
	v_mul_f32_e32 v116, v117, v104
	s_delay_alu instid0(VALU_DEP_3) | instskip(NEXT) | instid1(VALU_DEP_2)
	v_pk_add_f32 v[72:73], v[72:73], v[120:121] neg_lo:[0,1] neg_hi:[0,1]
	v_pk_fma_f32 v[114:115], v[114:115], v[62:63], v[116:117] op_sel_hi:[1,1,0]
	s_delay_alu instid0(VALU_DEP_1) | instskip(SKIP_4) | instid1(VALU_DEP_1)
	v_mov_b32_e32 v119, v115
	ds_load_2addr_b64 v[114:117], v108 offset0:24 offset1:25
	v_pk_add_f32 v[68:69], v[68:69], v[118:119] neg_lo:[0,1] neg_hi:[0,1]
	s_wait_dscnt 0x0
	v_pk_mul_f32 v[118:119], v[114:115], v[106:107] op_sel:[0,1]
	v_pk_fma_f32 v[120:121], v[114:115], v[104:105], v[118:119] op_sel:[0,0,1] op_sel_hi:[1,1,0] neg_lo:[0,0,1] neg_hi:[0,0,1]
	v_pk_fma_f32 v[114:115], v[114:115], v[104:105], v[118:119] op_sel:[0,0,1] op_sel_hi:[1,0,0]
	s_delay_alu instid0(VALU_DEP_1) | instskip(SKIP_1) | instid1(VALU_DEP_1)
	v_mov_b32_e32 v121, v115
	v_pk_mul_f32 v[114:115], v[116:117], v[106:107] op_sel:[0,1]
	v_pk_fma_f32 v[118:119], v[116:117], v[104:105], v[114:115] op_sel:[0,0,1] op_sel_hi:[1,1,0] neg_lo:[0,0,1] neg_hi:[0,0,1]
	v_pk_fma_f32 v[114:115], v[116:117], v[104:105], v[114:115] op_sel:[0,0,1] op_sel_hi:[1,0,0]
	s_delay_alu instid0(VALU_DEP_1)
	v_mov_b32_e32 v119, v115
	ds_load_2addr_b64 v[114:117], v108 offset0:26 offset1:27
	v_pk_add_f32 v[56:57], v[56:57], v[120:121] neg_lo:[0,1] neg_hi:[0,1]
	v_pk_add_f32 v[48:49], v[48:49], v[118:119] neg_lo:[0,1] neg_hi:[0,1]
	s_wait_dscnt 0x0
	v_pk_mul_f32 v[118:119], v[114:115], v[106:107] op_sel:[0,1]
	s_delay_alu instid0(VALU_DEP_1) | instskip(SKIP_1) | instid1(VALU_DEP_1)
	v_pk_fma_f32 v[120:121], v[114:115], v[104:105], v[118:119] op_sel:[0,0,1] op_sel_hi:[1,1,0] neg_lo:[0,0,1] neg_hi:[0,0,1]
	v_pk_fma_f32 v[114:115], v[114:115], v[104:105], v[118:119] op_sel:[0,0,1] op_sel_hi:[1,0,0]
	v_mov_b32_e32 v121, v115
	v_pk_mul_f32 v[114:115], v[116:117], v[106:107] op_sel:[0,1]
	s_delay_alu instid0(VALU_DEP_1) | instskip(SKIP_1) | instid1(VALU_DEP_1)
	v_pk_fma_f32 v[118:119], v[116:117], v[104:105], v[114:115] op_sel:[0,0,1] op_sel_hi:[1,1,0] neg_lo:[0,0,1] neg_hi:[0,0,1]
	v_pk_fma_f32 v[114:115], v[116:117], v[104:105], v[114:115] op_sel:[0,0,1] op_sel_hi:[1,0,0]
	v_mov_b32_e32 v119, v115
	ds_load_2addr_b64 v[114:117], v108 offset0:28 offset1:29
	v_pk_add_f32 v[54:55], v[54:55], v[120:121] neg_lo:[0,1] neg_hi:[0,1]
	v_pk_add_f32 v[46:47], v[46:47], v[118:119] neg_lo:[0,1] neg_hi:[0,1]
	s_wait_dscnt 0x0
	v_dual_mul_f32 v118, v115, v107 :: v_dual_mul_f32 v120, v115, v104
	s_delay_alu instid0(VALU_DEP_1) | instskip(NEXT) | instid1(VALU_DEP_2)
	v_pk_fma_f32 v[118:119], v[114:115], v[62:63], v[118:119] op_sel_hi:[1,1,0] neg_lo:[0,0,1] neg_hi:[0,0,1]
	v_pk_fma_f32 v[114:115], v[114:115], v[62:63], v[120:121] op_sel:[1,0,0] op_sel_hi:[0,1,0]
	s_delay_alu instid0(VALU_DEP_1) | instskip(SKIP_1) | instid1(VALU_DEP_2)
	v_mov_b32_e32 v119, v115
	v_pk_mul_f32 v[114:115], v[116:117], v[106:107] op_sel:[0,1]
	v_pk_add_f32 v[44:45], v[44:45], v[118:119] neg_lo:[0,1] neg_hi:[0,1]
	s_delay_alu instid0(VALU_DEP_2) | instskip(SKIP_1) | instid1(VALU_DEP_1)
	v_pk_fma_f32 v[118:119], v[116:117], v[104:105], v[114:115] op_sel:[0,0,1] op_sel_hi:[1,1,0] neg_lo:[0,0,1] neg_hi:[0,0,1]
	v_pk_fma_f32 v[114:115], v[116:117], v[104:105], v[114:115] op_sel:[0,0,1] op_sel_hi:[1,0,0]
	v_mov_b32_e32 v119, v115
	ds_load_2addr_b64 v[114:117], v108 offset0:30 offset1:31
	v_pk_add_f32 v[40:41], v[40:41], v[118:119] neg_lo:[0,1] neg_hi:[0,1]
	s_wait_dscnt 0x0
	v_pk_mul_f32 v[118:119], v[114:115], v[106:107] op_sel:[0,1]
	s_delay_alu instid0(VALU_DEP_1) | instskip(SKIP_1) | instid1(VALU_DEP_1)
	v_pk_fma_f32 v[120:121], v[114:115], v[104:105], v[118:119] op_sel:[0,0,1] op_sel_hi:[1,1,0] neg_lo:[0,0,1] neg_hi:[0,0,1]
	v_pk_fma_f32 v[114:115], v[114:115], v[104:105], v[118:119] op_sel:[0,0,1] op_sel_hi:[1,0,0]
	v_mov_b32_e32 v121, v115
	v_pk_mul_f32 v[114:115], v[116:117], v[106:107] op_sel:[0,1]
	s_delay_alu instid0(VALU_DEP_2) | instskip(NEXT) | instid1(VALU_DEP_2)
	v_pk_add_f32 v[42:43], v[42:43], v[120:121] neg_lo:[0,1] neg_hi:[0,1]
	v_pk_fma_f32 v[118:119], v[116:117], v[104:105], v[114:115] op_sel:[0,0,1] op_sel_hi:[1,1,0] neg_lo:[0,0,1] neg_hi:[0,0,1]
	v_pk_fma_f32 v[114:115], v[116:117], v[104:105], v[114:115] op_sel:[0,0,1] op_sel_hi:[1,0,0]
	s_delay_alu instid0(VALU_DEP_1) | instskip(SKIP_4) | instid1(VALU_DEP_1)
	v_mov_b32_e32 v119, v115
	ds_load_2addr_b64 v[114:117], v108 offset0:32 offset1:33
	v_pk_add_f32 v[38:39], v[38:39], v[118:119] neg_lo:[0,1] neg_hi:[0,1]
	s_wait_dscnt 0x0
	v_pk_mul_f32 v[118:119], v[114:115], v[106:107] op_sel:[0,1]
	v_pk_fma_f32 v[120:121], v[114:115], v[104:105], v[118:119] op_sel:[0,0,1] op_sel_hi:[1,1,0] neg_lo:[0,0,1] neg_hi:[0,0,1]
	v_pk_fma_f32 v[114:115], v[114:115], v[104:105], v[118:119] op_sel:[0,0,1] op_sel_hi:[1,0,0]
	v_dual_mul_f32 v118, v117, v107 :: v_dual_mov_b32 v114, v117
	s_delay_alu instid0(VALU_DEP_2) | instskip(NEXT) | instid1(VALU_DEP_2)
	v_dual_mov_b32 v121, v115 :: v_dual_mov_b32 v115, v116
	v_pk_fma_f32 v[118:119], v[116:117], v[62:63], v[118:119] op_sel_hi:[1,1,0] neg_lo:[0,0,1] neg_hi:[0,0,1]
	v_mul_f32_e32 v116, v117, v104
	s_delay_alu instid0(VALU_DEP_3) | instskip(NEXT) | instid1(VALU_DEP_2)
	v_pk_add_f32 v[36:37], v[36:37], v[120:121] neg_lo:[0,1] neg_hi:[0,1]
	v_pk_fma_f32 v[114:115], v[114:115], v[62:63], v[116:117] op_sel_hi:[1,1,0]
	s_delay_alu instid0(VALU_DEP_1) | instskip(SKIP_4) | instid1(VALU_DEP_1)
	v_mov_b32_e32 v119, v115
	ds_load_2addr_b64 v[114:117], v108 offset0:34 offset1:35
	v_pk_add_f32 v[32:33], v[32:33], v[118:119] neg_lo:[0,1] neg_hi:[0,1]
	s_wait_dscnt 0x0
	v_pk_mul_f32 v[118:119], v[114:115], v[106:107] op_sel:[0,1]
	v_pk_fma_f32 v[120:121], v[114:115], v[104:105], v[118:119] op_sel:[0,0,1] op_sel_hi:[1,1,0] neg_lo:[0,0,1] neg_hi:[0,0,1]
	v_pk_fma_f32 v[114:115], v[114:115], v[104:105], v[118:119] op_sel:[0,0,1] op_sel_hi:[1,0,0]
	s_delay_alu instid0(VALU_DEP_1) | instskip(SKIP_1) | instid1(VALU_DEP_1)
	v_mov_b32_e32 v121, v115
	v_pk_mul_f32 v[114:115], v[116:117], v[106:107] op_sel:[0,1]
	v_pk_fma_f32 v[118:119], v[116:117], v[104:105], v[114:115] op_sel:[0,0,1] op_sel_hi:[1,1,0] neg_lo:[0,0,1] neg_hi:[0,0,1]
	v_pk_fma_f32 v[114:115], v[116:117], v[104:105], v[114:115] op_sel:[0,0,1] op_sel_hi:[1,0,0]
	s_delay_alu instid0(VALU_DEP_1)
	v_mov_b32_e32 v119, v115
	ds_load_2addr_b64 v[114:117], v108 offset0:36 offset1:37
	v_pk_add_f32 v[34:35], v[34:35], v[120:121] neg_lo:[0,1] neg_hi:[0,1]
	v_pk_add_f32 v[30:31], v[30:31], v[118:119] neg_lo:[0,1] neg_hi:[0,1]
	s_wait_dscnt 0x0
	v_pk_mul_f32 v[118:119], v[114:115], v[106:107] op_sel:[0,1]
	s_delay_alu instid0(VALU_DEP_1) | instskip(SKIP_1) | instid1(VALU_DEP_1)
	v_pk_fma_f32 v[120:121], v[114:115], v[104:105], v[118:119] op_sel:[0,0,1] op_sel_hi:[1,1,0] neg_lo:[0,0,1] neg_hi:[0,0,1]
	v_pk_fma_f32 v[114:115], v[114:115], v[104:105], v[118:119] op_sel:[0,0,1] op_sel_hi:[1,0,0]
	v_mov_b32_e32 v121, v115
	v_pk_mul_f32 v[114:115], v[116:117], v[106:107] op_sel:[0,1]
	s_delay_alu instid0(VALU_DEP_1) | instskip(SKIP_1) | instid1(VALU_DEP_1)
	v_pk_fma_f32 v[118:119], v[116:117], v[104:105], v[114:115] op_sel:[0,0,1] op_sel_hi:[1,1,0] neg_lo:[0,0,1] neg_hi:[0,0,1]
	v_pk_fma_f32 v[114:115], v[116:117], v[104:105], v[114:115] op_sel:[0,0,1] op_sel_hi:[1,0,0]
	v_mov_b32_e32 v119, v115
	ds_load_2addr_b64 v[114:117], v108 offset0:38 offset1:39
	v_pk_add_f32 v[26:27], v[26:27], v[120:121] neg_lo:[0,1] neg_hi:[0,1]
	v_pk_add_f32 v[22:23], v[22:23], v[118:119] neg_lo:[0,1] neg_hi:[0,1]
	s_wait_dscnt 0x0
	v_dual_mul_f32 v118, v115, v107 :: v_dual_mul_f32 v120, v115, v104
	s_delay_alu instid0(VALU_DEP_1) | instskip(NEXT) | instid1(VALU_DEP_2)
	v_pk_fma_f32 v[118:119], v[114:115], v[62:63], v[118:119] op_sel_hi:[1,1,0] neg_lo:[0,0,1] neg_hi:[0,0,1]
	v_pk_fma_f32 v[114:115], v[114:115], v[62:63], v[120:121] op_sel:[1,0,0] op_sel_hi:[0,1,0]
	s_delay_alu instid0(VALU_DEP_1) | instskip(SKIP_1) | instid1(VALU_DEP_2)
	v_mov_b32_e32 v119, v115
	v_pk_mul_f32 v[114:115], v[116:117], v[106:107] op_sel:[0,1]
	v_pk_add_f32 v[24:25], v[24:25], v[118:119] neg_lo:[0,1] neg_hi:[0,1]
	s_delay_alu instid0(VALU_DEP_2) | instskip(SKIP_1) | instid1(VALU_DEP_1)
	v_pk_fma_f32 v[118:119], v[116:117], v[104:105], v[114:115] op_sel:[0,0,1] op_sel_hi:[1,1,0] neg_lo:[0,0,1] neg_hi:[0,0,1]
	v_pk_fma_f32 v[114:115], v[116:117], v[104:105], v[114:115] op_sel:[0,0,1] op_sel_hi:[1,0,0]
	v_mov_b32_e32 v119, v115
	ds_load_2addr_b64 v[114:117], v108 offset0:40 offset1:41
	v_pk_add_f32 v[20:21], v[20:21], v[118:119] neg_lo:[0,1] neg_hi:[0,1]
	s_wait_dscnt 0x0
	v_pk_mul_f32 v[118:119], v[114:115], v[106:107] op_sel:[0,1]
	s_delay_alu instid0(VALU_DEP_1) | instskip(SKIP_1) | instid1(VALU_DEP_1)
	v_pk_fma_f32 v[120:121], v[114:115], v[104:105], v[118:119] op_sel:[0,0,1] op_sel_hi:[1,1,0] neg_lo:[0,0,1] neg_hi:[0,0,1]
	v_pk_fma_f32 v[114:115], v[114:115], v[104:105], v[118:119] op_sel:[0,0,1] op_sel_hi:[1,0,0]
	v_mov_b32_e32 v121, v115
	v_pk_mul_f32 v[114:115], v[116:117], v[106:107] op_sel:[0,1]
	s_delay_alu instid0(VALU_DEP_2) | instskip(NEXT) | instid1(VALU_DEP_2)
	v_pk_add_f32 v[14:15], v[14:15], v[120:121] neg_lo:[0,1] neg_hi:[0,1]
	v_pk_fma_f32 v[118:119], v[116:117], v[104:105], v[114:115] op_sel:[0,0,1] op_sel_hi:[1,1,0] neg_lo:[0,0,1] neg_hi:[0,0,1]
	v_pk_fma_f32 v[114:115], v[116:117], v[104:105], v[114:115] op_sel:[0,0,1] op_sel_hi:[1,0,0]
	s_delay_alu instid0(VALU_DEP_1) | instskip(SKIP_4) | instid1(VALU_DEP_1)
	v_mov_b32_e32 v119, v115
	ds_load_2addr_b64 v[114:117], v108 offset0:42 offset1:43
	v_pk_add_f32 v[10:11], v[10:11], v[118:119] neg_lo:[0,1] neg_hi:[0,1]
	s_wait_dscnt 0x0
	v_pk_mul_f32 v[118:119], v[114:115], v[106:107] op_sel:[0,1]
	v_pk_fma_f32 v[120:121], v[114:115], v[104:105], v[118:119] op_sel:[0,0,1] op_sel_hi:[1,1,0] neg_lo:[0,0,1] neg_hi:[0,0,1]
	v_pk_fma_f32 v[114:115], v[114:115], v[104:105], v[118:119] op_sel:[0,0,1] op_sel_hi:[1,0,0]
	v_dual_mul_f32 v118, v117, v107 :: v_dual_mov_b32 v114, v117
	s_delay_alu instid0(VALU_DEP_2) | instskip(NEXT) | instid1(VALU_DEP_2)
	v_dual_mov_b32 v121, v115 :: v_dual_mov_b32 v115, v116
	v_pk_fma_f32 v[118:119], v[116:117], v[62:63], v[118:119] op_sel_hi:[1,1,0] neg_lo:[0,0,1] neg_hi:[0,0,1]
	v_mul_f32_e32 v116, v117, v104
	s_delay_alu instid0(VALU_DEP_3) | instskip(NEXT) | instid1(VALU_DEP_2)
	v_pk_add_f32 v[12:13], v[12:13], v[120:121] neg_lo:[0,1] neg_hi:[0,1]
	v_pk_fma_f32 v[114:115], v[114:115], v[62:63], v[116:117] op_sel_hi:[1,1,0]
	s_delay_alu instid0(VALU_DEP_1) | instskip(SKIP_4) | instid1(VALU_DEP_1)
	v_mov_b32_e32 v119, v115
	ds_load_2addr_b64 v[114:117], v108 offset0:44 offset1:45
	v_pk_add_f32 v[8:9], v[8:9], v[118:119] neg_lo:[0,1] neg_hi:[0,1]
	s_wait_dscnt 0x0
	v_pk_mul_f32 v[118:119], v[114:115], v[106:107] op_sel:[0,1]
	v_pk_fma_f32 v[120:121], v[114:115], v[104:105], v[118:119] op_sel:[0,0,1] op_sel_hi:[1,1,0] neg_lo:[0,0,1] neg_hi:[0,0,1]
	v_pk_fma_f32 v[114:115], v[114:115], v[104:105], v[118:119] op_sel:[0,0,1] op_sel_hi:[1,0,0]
	s_delay_alu instid0(VALU_DEP_1) | instskip(SKIP_1) | instid1(VALU_DEP_1)
	v_mov_b32_e32 v121, v115
	v_pk_mul_f32 v[114:115], v[116:117], v[106:107] op_sel:[0,1]
	v_pk_fma_f32 v[118:119], v[116:117], v[104:105], v[114:115] op_sel:[0,0,1] op_sel_hi:[1,1,0] neg_lo:[0,0,1] neg_hi:[0,0,1]
	v_pk_fma_f32 v[114:115], v[116:117], v[104:105], v[114:115] op_sel:[0,0,1] op_sel_hi:[1,0,0]
	s_delay_alu instid0(VALU_DEP_1)
	v_mov_b32_e32 v119, v115
	ds_load_2addr_b64 v[114:117], v108 offset0:46 offset1:47
	v_pk_add_f32 v[6:7], v[6:7], v[120:121] neg_lo:[0,1] neg_hi:[0,1]
	v_pk_add_f32 v[28:29], v[28:29], v[118:119] neg_lo:[0,1] neg_hi:[0,1]
	s_wait_dscnt 0x0
	v_pk_mul_f32 v[118:119], v[114:115], v[106:107] op_sel:[0,1]
	s_delay_alu instid0(VALU_DEP_1) | instskip(SKIP_1) | instid1(VALU_DEP_1)
	v_pk_fma_f32 v[120:121], v[114:115], v[104:105], v[118:119] op_sel:[0,0,1] op_sel_hi:[1,1,0] neg_lo:[0,0,1] neg_hi:[0,0,1]
	v_pk_fma_f32 v[114:115], v[114:115], v[104:105], v[118:119] op_sel:[0,0,1] op_sel_hi:[1,0,0]
	v_mov_b32_e32 v121, v115
	v_pk_mul_f32 v[114:115], v[116:117], v[106:107] op_sel:[0,1]
	s_delay_alu instid0(VALU_DEP_1) | instskip(SKIP_1) | instid1(VALU_DEP_1)
	v_pk_fma_f32 v[118:119], v[116:117], v[104:105], v[114:115] op_sel:[0,0,1] op_sel_hi:[1,1,0] neg_lo:[0,0,1] neg_hi:[0,0,1]
	v_pk_fma_f32 v[114:115], v[116:117], v[104:105], v[114:115] op_sel:[0,0,1] op_sel_hi:[1,0,0]
	v_mov_b32_e32 v119, v115
	ds_load_b64 v[114:115], v108 offset:384
	v_pk_add_f32 v[18:19], v[18:19], v[120:121] neg_lo:[0,1] neg_hi:[0,1]
	v_pk_add_f32 v[16:17], v[16:17], v[118:119] neg_lo:[0,1] neg_hi:[0,1]
	s_wait_dscnt 0x0
	v_pk_mul_f32 v[106:107], v[114:115], v[106:107] op_sel:[0,1]
	s_delay_alu instid0(VALU_DEP_1) | instskip(SKIP_1) | instid1(VALU_DEP_1)
	v_pk_fma_f32 v[116:117], v[114:115], v[104:105], v[106:107] op_sel:[0,0,1] op_sel_hi:[1,1,0] neg_lo:[0,0,1] neg_hi:[0,0,1]
	v_pk_fma_f32 v[104:105], v[114:115], v[104:105], v[106:107] op_sel:[0,0,1] op_sel_hi:[1,0,0]
	v_mov_b32_e32 v117, v105
	s_delay_alu instid0(VALU_DEP_1)
	v_pk_add_f32 v[102:103], v[102:103], v[116:117] neg_lo:[0,1] neg_hi:[0,1]
.LBB96_209:
	s_or_b32 exec_lo, exec_lo, s0
	v_lshl_add_u32 v104, v112, 3, v108
	s_barrier_signal -1
	s_barrier_wait -1
	ds_store_b64 v104, v[64:65]
	s_wait_dscnt 0x0
	s_barrier_signal -1
	s_barrier_wait -1
	ds_load_b64 v[106:107], v108 offset:80
	v_mov_b32_e32 v104, 10
	s_cmp_lt_i32 s18, 12
	s_cbranch_scc1 .LBB96_212
; %bb.210:
	v_add3_u32 v105, v109, 0, 0x58
	v_mov_b32_e32 v104, 10
	s_mov_b32 s0, 11
.LBB96_211:                             ; =>This Inner Loop Header: Depth=1
	ds_load_b64 v[114:115], v105
	s_wait_dscnt 0x1
	v_cmp_gt_f32_e32 vcc_lo, 0, v106
	v_cndmask_b32_e64 v116, v106, -v106, vcc_lo
	v_cmp_gt_f32_e32 vcc_lo, 0, v107
	v_cndmask_b32_e64 v118, v107, -v107, vcc_lo
	s_wait_dscnt 0x0
	v_cmp_gt_f32_e32 vcc_lo, 0, v114
	v_cndmask_b32_e64 v117, v114, -v114, vcc_lo
	v_cmp_gt_f32_e32 vcc_lo, 0, v115
	v_cndmask_b32_e64 v119, v115, -v115, vcc_lo
	s_delay_alu instid0(VALU_DEP_1) | instskip(NEXT) | instid1(VALU_DEP_1)
	v_pk_add_f32 v[116:117], v[116:117], v[118:119]
	v_cmp_lt_f32_e32 vcc_lo, v116, v117
	v_dual_add_nc_u32 v105, 8, v105 :: v_dual_cndmask_b32 v107, v107, v115, vcc_lo
	v_cndmask_b32_e32 v106, v106, v114, vcc_lo
	v_cndmask_b32_e64 v104, v104, s0, vcc_lo
	s_add_co_i32 s0, s0, 1
	s_delay_alu instid0(SALU_CYCLE_1)
	s_cmp_lg_u32 s18, s0
	s_cbranch_scc1 .LBB96_211
.LBB96_212:
	s_wait_dscnt 0x0
	v_cmp_eq_f32_e32 vcc_lo, 0, v106
	v_cmp_eq_f32_e64 s0, 0, v107
	s_and_b32 s0, vcc_lo, s0
	s_delay_alu instid0(SALU_CYCLE_1) | instskip(NEXT) | instid1(SALU_CYCLE_1)
	s_and_saveexec_b32 s1, s0
	s_xor_b32 s0, exec_lo, s1
; %bb.213:
	v_cmp_ne_u32_e32 vcc_lo, 0, v110
	v_cndmask_b32_e32 v110, 11, v110, vcc_lo
; %bb.214:
	s_and_not1_saveexec_b32 s0, s0
	s_cbranch_execz .LBB96_220
; %bb.215:
	v_cmp_ngt_f32_e64 s1, |v106|, |v107|
	s_and_saveexec_b32 s12, s1
	s_delay_alu instid0(SALU_CYCLE_1)
	s_xor_b32 s1, exec_lo, s12
	s_cbranch_execz .LBB96_217
; %bb.216:
	v_div_scale_f32 v105, null, v107, v107, v106
	v_div_scale_f32 v115, vcc_lo, v106, v107, v106
	s_delay_alu instid0(VALU_DEP_2) | instskip(SKIP_1) | instid1(TRANS32_DEP_1)
	v_rcp_f32_e32 v113, v105
	v_nop
	v_fma_f32 v114, -v105, v113, 1.0
	s_delay_alu instid0(VALU_DEP_1) | instskip(NEXT) | instid1(VALU_DEP_1)
	v_fmac_f32_e32 v113, v114, v113
	v_mul_f32_e32 v114, v115, v113
	s_delay_alu instid0(VALU_DEP_1) | instskip(NEXT) | instid1(VALU_DEP_1)
	v_fma_f32 v116, -v105, v114, v115
	v_fmac_f32_e32 v114, v116, v113
	s_delay_alu instid0(VALU_DEP_1) | instskip(NEXT) | instid1(VALU_DEP_1)
	v_fma_f32 v105, -v105, v114, v115
	v_div_fmas_f32 v105, v105, v113, v114
	s_delay_alu instid0(VALU_DEP_1) | instskip(NEXT) | instid1(VALU_DEP_1)
	v_div_fixup_f32 v105, v105, v107, v106
	v_fmac_f32_e32 v107, v106, v105
	s_delay_alu instid0(VALU_DEP_1) | instskip(SKIP_1) | instid1(VALU_DEP_2)
	v_div_scale_f32 v106, null, v107, v107, 1.0
	v_div_scale_f32 v115, vcc_lo, 1.0, v107, 1.0
	v_rcp_f32_e32 v113, v106
	v_nop
	s_delay_alu instid0(TRANS32_DEP_1) | instskip(NEXT) | instid1(VALU_DEP_1)
	v_fma_f32 v114, -v106, v113, 1.0
	v_fmac_f32_e32 v113, v114, v113
	s_delay_alu instid0(VALU_DEP_1) | instskip(NEXT) | instid1(VALU_DEP_1)
	v_mul_f32_e32 v114, v115, v113
	v_fma_f32 v116, -v106, v114, v115
	s_delay_alu instid0(VALU_DEP_1) | instskip(NEXT) | instid1(VALU_DEP_1)
	v_fmac_f32_e32 v114, v116, v113
	v_fma_f32 v106, -v106, v114, v115
	s_delay_alu instid0(VALU_DEP_1) | instskip(NEXT) | instid1(VALU_DEP_1)
	v_div_fmas_f32 v106, v106, v113, v114
	v_div_fixup_f32 v107, v106, v107, 1.0
	s_delay_alu instid0(VALU_DEP_1)
	v_mul_f32_e32 v106, v105, v107
	v_xor_b32_e32 v107, 0x80000000, v107
.LBB96_217:
	s_and_not1_saveexec_b32 s1, s1
	s_cbranch_execz .LBB96_219
; %bb.218:
	s_delay_alu instid0(VALU_DEP_1) | instskip(SKIP_1) | instid1(VALU_DEP_2)
	v_div_scale_f32 v105, null, v106, v106, v107
	v_div_scale_f32 v115, vcc_lo, v107, v106, v107
	v_rcp_f32_e32 v113, v105
	v_nop
	s_delay_alu instid0(TRANS32_DEP_1) | instskip(NEXT) | instid1(VALU_DEP_1)
	v_fma_f32 v114, -v105, v113, 1.0
	v_fmac_f32_e32 v113, v114, v113
	s_delay_alu instid0(VALU_DEP_1) | instskip(NEXT) | instid1(VALU_DEP_1)
	v_mul_f32_e32 v114, v115, v113
	v_fma_f32 v116, -v105, v114, v115
	s_delay_alu instid0(VALU_DEP_1) | instskip(NEXT) | instid1(VALU_DEP_1)
	v_fmac_f32_e32 v114, v116, v113
	v_fma_f32 v105, -v105, v114, v115
	s_delay_alu instid0(VALU_DEP_1) | instskip(NEXT) | instid1(VALU_DEP_1)
	v_div_fmas_f32 v105, v105, v113, v114
	v_div_fixup_f32 v105, v105, v106, v107
	s_delay_alu instid0(VALU_DEP_1) | instskip(NEXT) | instid1(VALU_DEP_1)
	v_fmac_f32_e32 v106, v107, v105
	v_div_scale_f32 v107, null, v106, v106, 1.0
	s_delay_alu instid0(VALU_DEP_1) | instskip(SKIP_1) | instid1(TRANS32_DEP_1)
	v_rcp_f32_e32 v113, v107
	v_nop
	v_fma_f32 v114, -v107, v113, 1.0
	s_delay_alu instid0(VALU_DEP_1) | instskip(SKIP_1) | instid1(VALU_DEP_1)
	v_fmac_f32_e32 v113, v114, v113
	v_div_scale_f32 v114, vcc_lo, 1.0, v106, 1.0
	v_mul_f32_e32 v115, v114, v113
	s_delay_alu instid0(VALU_DEP_1) | instskip(NEXT) | instid1(VALU_DEP_1)
	v_fma_f32 v116, -v107, v115, v114
	v_fmac_f32_e32 v115, v116, v113
	s_delay_alu instid0(VALU_DEP_1) | instskip(NEXT) | instid1(VALU_DEP_1)
	v_fma_f32 v107, -v107, v115, v114
	v_div_fmas_f32 v107, v107, v113, v115
	s_delay_alu instid0(VALU_DEP_1) | instskip(NEXT) | instid1(VALU_DEP_1)
	v_div_fixup_f32 v106, v107, v106, 1.0
	v_mul_f32_e64 v107, v105, -v106
.LBB96_219:
	s_or_b32 exec_lo, exec_lo, s1
.LBB96_220:
	s_delay_alu instid0(SALU_CYCLE_1) | instskip(NEXT) | instid1(SALU_CYCLE_1)
	s_or_b32 exec_lo, exec_lo, s0
	s_mov_b32 s0, exec_lo
	v_cmpx_ne_u32_e64 v112, v104
	s_xor_b32 s0, exec_lo, s0
	s_cbranch_execz .LBB96_226
; %bb.221:
	s_mov_b32 s1, exec_lo
	v_cmpx_eq_u32_e32 10, v112
	s_cbranch_execz .LBB96_225
; %bb.222:
	v_cmp_ne_u32_e32 vcc_lo, 10, v104
	s_xor_b32 s12, s16, -1
	s_delay_alu instid0(SALU_CYCLE_1) | instskip(NEXT) | instid1(SALU_CYCLE_1)
	s_and_b32 s13, s12, vcc_lo
	s_and_saveexec_b32 s12, s13
	s_cbranch_execz .LBB96_224
; %bb.223:
	v_ashrrev_i32_e32 v105, 31, v104
	s_delay_alu instid0(VALU_DEP_1)
	v_lshl_add_u64 v[112:113], v[104:105], 2, v[4:5]
	s_clause 0x1
	global_load_b32 v105, v[112:113], off
	global_load_b32 v111, v[4:5], off offset:40
	s_wait_loadcnt 0x1
	global_store_b32 v[4:5], v105, off offset:40
	s_wait_loadcnt 0x0
	global_store_b32 v[112:113], v111, off
.LBB96_224:
	s_wait_xcnt 0x0
	s_or_b32 exec_lo, exec_lo, s12
	v_dual_mov_b32 v112, v104 :: v_dual_mov_b32 v111, v104
.LBB96_225:
	s_or_b32 exec_lo, exec_lo, s1
.LBB96_226:
	s_and_not1_saveexec_b32 s0, s0
	s_cbranch_execz .LBB96_228
; %bb.227:
	v_mov_b32_e32 v112, 10
	ds_store_2addr_b64 v108, v[60:61], v[90:91] offset0:11 offset1:12
	ds_store_2addr_b64 v108, v[86:87], v[88:89] offset0:13 offset1:14
	ds_store_2addr_b64 v108, v[84:85], v[82:83] offset0:15 offset1:16
	ds_store_2addr_b64 v108, v[78:79], v[80:81] offset0:17 offset1:18
	ds_store_2addr_b64 v108, v[76:77], v[74:75] offset0:19 offset1:20
	ds_store_2addr_b64 v108, v[70:71], v[72:73] offset0:21 offset1:22
	ds_store_2addr_b64 v108, v[68:69], v[56:57] offset0:23 offset1:24
	ds_store_2addr_b64 v108, v[48:49], v[54:55] offset0:25 offset1:26
	ds_store_2addr_b64 v108, v[46:47], v[44:45] offset0:27 offset1:28
	ds_store_2addr_b64 v108, v[40:41], v[42:43] offset0:29 offset1:30
	ds_store_2addr_b64 v108, v[38:39], v[36:37] offset0:31 offset1:32
	ds_store_2addr_b64 v108, v[32:33], v[34:35] offset0:33 offset1:34
	ds_store_2addr_b64 v108, v[30:31], v[26:27] offset0:35 offset1:36
	ds_store_2addr_b64 v108, v[22:23], v[24:25] offset0:37 offset1:38
	ds_store_2addr_b64 v108, v[20:21], v[14:15] offset0:39 offset1:40
	ds_store_2addr_b64 v108, v[10:11], v[12:13] offset0:41 offset1:42
	ds_store_2addr_b64 v108, v[8:9], v[6:7] offset0:43 offset1:44
	ds_store_2addr_b64 v108, v[28:29], v[18:19] offset0:45 offset1:46
	ds_store_2addr_b64 v108, v[16:17], v[102:103] offset0:47 offset1:48
.LBB96_228:
	s_or_b32 exec_lo, exec_lo, s0
	s_delay_alu instid0(SALU_CYCLE_1)
	s_mov_b32 s0, exec_lo
	s_wait_storecnt_dscnt 0x0
	s_barrier_signal -1
	s_barrier_wait -1
	v_cmpx_lt_i32_e32 10, v112
	s_cbranch_execz .LBB96_230
; %bb.229:
	v_pk_mul_f32 v[114:115], v[106:107], v[64:65] op_sel:[1,1] op_sel_hi:[0,1]
	s_delay_alu instid0(VALU_DEP_1)
	v_pk_fma_f32 v[104:105], v[106:107], v[64:65], v[114:115] op_sel_hi:[1,0,1] neg_lo:[0,0,1] neg_hi:[0,0,1]
	v_pk_fma_f32 v[106:107], v[106:107], v[64:65], v[114:115] op_sel_hi:[1,0,1]
	ds_load_2addr_b64 v[114:117], v108 offset0:11 offset1:12
	v_dual_mov_b32 v64, v104 :: v_dual_mov_b32 v65, v107
	s_wait_dscnt 0x0
	v_pk_mul_f32 v[118:119], v[114:115], v[106:107] op_sel:[0,1]
	s_delay_alu instid0(VALU_DEP_1) | instskip(SKIP_1) | instid1(VALU_DEP_1)
	v_pk_fma_f32 v[120:121], v[114:115], v[104:105], v[118:119] op_sel:[0,0,1] op_sel_hi:[1,1,0] neg_lo:[0,0,1] neg_hi:[0,0,1]
	v_pk_fma_f32 v[114:115], v[114:115], v[104:105], v[118:119] op_sel:[0,0,1] op_sel_hi:[1,0,0]
	v_mov_b32_e32 v121, v115
	v_pk_mul_f32 v[114:115], v[116:117], v[106:107] op_sel:[0,1]
	s_delay_alu instid0(VALU_DEP_1) | instskip(SKIP_1) | instid1(VALU_DEP_1)
	v_pk_fma_f32 v[118:119], v[116:117], v[104:105], v[114:115] op_sel:[0,0,1] op_sel_hi:[1,1,0] neg_lo:[0,0,1] neg_hi:[0,0,1]
	v_pk_fma_f32 v[114:115], v[116:117], v[104:105], v[114:115] op_sel:[0,0,1] op_sel_hi:[1,0,0]
	v_mov_b32_e32 v119, v115
	ds_load_2addr_b64 v[114:117], v108 offset0:13 offset1:14
	v_pk_add_f32 v[60:61], v[60:61], v[120:121] neg_lo:[0,1] neg_hi:[0,1]
	v_pk_add_f32 v[90:91], v[90:91], v[118:119] neg_lo:[0,1] neg_hi:[0,1]
	s_wait_dscnt 0x0
	v_pk_mul_f32 v[118:119], v[114:115], v[106:107] op_sel:[0,1]
	s_delay_alu instid0(VALU_DEP_1) | instskip(SKIP_2) | instid1(VALU_DEP_2)
	v_pk_fma_f32 v[120:121], v[114:115], v[104:105], v[118:119] op_sel:[0,0,1] op_sel_hi:[1,1,0] neg_lo:[0,0,1] neg_hi:[0,0,1]
	v_pk_fma_f32 v[114:115], v[114:115], v[104:105], v[118:119] op_sel:[0,0,1] op_sel_hi:[1,0,0]
	v_dual_mul_f32 v118, v117, v107 :: v_dual_mov_b32 v114, v117
	v_dual_mov_b32 v121, v115 :: v_dual_mov_b32 v115, v116
	s_delay_alu instid0(VALU_DEP_2) | instskip(SKIP_1) | instid1(VALU_DEP_3)
	v_pk_fma_f32 v[118:119], v[116:117], v[64:65], v[118:119] op_sel_hi:[1,1,0] neg_lo:[0,0,1] neg_hi:[0,0,1]
	v_mul_f32_e32 v116, v117, v104
	v_pk_add_f32 v[86:87], v[86:87], v[120:121] neg_lo:[0,1] neg_hi:[0,1]
	s_delay_alu instid0(VALU_DEP_2) | instskip(NEXT) | instid1(VALU_DEP_1)
	v_pk_fma_f32 v[114:115], v[114:115], v[64:65], v[116:117] op_sel_hi:[1,1,0]
	v_mov_b32_e32 v119, v115
	ds_load_2addr_b64 v[114:117], v108 offset0:15 offset1:16
	v_pk_add_f32 v[88:89], v[88:89], v[118:119] neg_lo:[0,1] neg_hi:[0,1]
	s_wait_dscnt 0x0
	v_pk_mul_f32 v[118:119], v[114:115], v[106:107] op_sel:[0,1]
	s_delay_alu instid0(VALU_DEP_1) | instskip(SKIP_1) | instid1(VALU_DEP_1)
	v_pk_fma_f32 v[120:121], v[114:115], v[104:105], v[118:119] op_sel:[0,0,1] op_sel_hi:[1,1,0] neg_lo:[0,0,1] neg_hi:[0,0,1]
	v_pk_fma_f32 v[114:115], v[114:115], v[104:105], v[118:119] op_sel:[0,0,1] op_sel_hi:[1,0,0]
	v_mov_b32_e32 v121, v115
	v_pk_mul_f32 v[114:115], v[116:117], v[106:107] op_sel:[0,1]
	s_delay_alu instid0(VALU_DEP_1) | instskip(SKIP_1) | instid1(VALU_DEP_1)
	v_pk_fma_f32 v[118:119], v[116:117], v[104:105], v[114:115] op_sel:[0,0,1] op_sel_hi:[1,1,0] neg_lo:[0,0,1] neg_hi:[0,0,1]
	v_pk_fma_f32 v[114:115], v[116:117], v[104:105], v[114:115] op_sel:[0,0,1] op_sel_hi:[1,0,0]
	v_mov_b32_e32 v119, v115
	ds_load_2addr_b64 v[114:117], v108 offset0:17 offset1:18
	v_pk_add_f32 v[84:85], v[84:85], v[120:121] neg_lo:[0,1] neg_hi:[0,1]
	v_pk_add_f32 v[82:83], v[82:83], v[118:119] neg_lo:[0,1] neg_hi:[0,1]
	s_wait_dscnt 0x0
	v_pk_mul_f32 v[118:119], v[114:115], v[106:107] op_sel:[0,1]
	s_delay_alu instid0(VALU_DEP_1) | instskip(SKIP_1) | instid1(VALU_DEP_1)
	v_pk_fma_f32 v[120:121], v[114:115], v[104:105], v[118:119] op_sel:[0,0,1] op_sel_hi:[1,1,0] neg_lo:[0,0,1] neg_hi:[0,0,1]
	v_pk_fma_f32 v[114:115], v[114:115], v[104:105], v[118:119] op_sel:[0,0,1] op_sel_hi:[1,0,0]
	v_mov_b32_e32 v121, v115
	v_pk_mul_f32 v[114:115], v[116:117], v[106:107] op_sel:[0,1]
	s_delay_alu instid0(VALU_DEP_1) | instskip(SKIP_1) | instid1(VALU_DEP_1)
	v_pk_fma_f32 v[118:119], v[116:117], v[104:105], v[114:115] op_sel:[0,0,1] op_sel_hi:[1,1,0] neg_lo:[0,0,1] neg_hi:[0,0,1]
	v_pk_fma_f32 v[114:115], v[116:117], v[104:105], v[114:115] op_sel:[0,0,1] op_sel_hi:[1,0,0]
	v_mov_b32_e32 v119, v115
	ds_load_2addr_b64 v[114:117], v108 offset0:19 offset1:20
	v_pk_add_f32 v[78:79], v[78:79], v[120:121] neg_lo:[0,1] neg_hi:[0,1]
	v_pk_add_f32 v[80:81], v[80:81], v[118:119] neg_lo:[0,1] neg_hi:[0,1]
	s_wait_dscnt 0x0
	v_dual_mul_f32 v118, v115, v107 :: v_dual_mul_f32 v120, v115, v104
	s_delay_alu instid0(VALU_DEP_1) | instskip(NEXT) | instid1(VALU_DEP_2)
	v_pk_fma_f32 v[118:119], v[114:115], v[64:65], v[118:119] op_sel_hi:[1,1,0] neg_lo:[0,0,1] neg_hi:[0,0,1]
	v_pk_fma_f32 v[114:115], v[114:115], v[64:65], v[120:121] op_sel:[1,0,0] op_sel_hi:[0,1,0]
	s_delay_alu instid0(VALU_DEP_1) | instskip(SKIP_1) | instid1(VALU_DEP_2)
	v_mov_b32_e32 v119, v115
	v_pk_mul_f32 v[114:115], v[116:117], v[106:107] op_sel:[0,1]
	v_pk_add_f32 v[76:77], v[76:77], v[118:119] neg_lo:[0,1] neg_hi:[0,1]
	s_delay_alu instid0(VALU_DEP_2) | instskip(SKIP_1) | instid1(VALU_DEP_1)
	v_pk_fma_f32 v[118:119], v[116:117], v[104:105], v[114:115] op_sel:[0,0,1] op_sel_hi:[1,1,0] neg_lo:[0,0,1] neg_hi:[0,0,1]
	v_pk_fma_f32 v[114:115], v[116:117], v[104:105], v[114:115] op_sel:[0,0,1] op_sel_hi:[1,0,0]
	v_mov_b32_e32 v119, v115
	ds_load_2addr_b64 v[114:117], v108 offset0:21 offset1:22
	v_pk_add_f32 v[74:75], v[74:75], v[118:119] neg_lo:[0,1] neg_hi:[0,1]
	s_wait_dscnt 0x0
	v_pk_mul_f32 v[118:119], v[114:115], v[106:107] op_sel:[0,1]
	s_delay_alu instid0(VALU_DEP_1) | instskip(SKIP_1) | instid1(VALU_DEP_1)
	v_pk_fma_f32 v[120:121], v[114:115], v[104:105], v[118:119] op_sel:[0,0,1] op_sel_hi:[1,1,0] neg_lo:[0,0,1] neg_hi:[0,0,1]
	v_pk_fma_f32 v[114:115], v[114:115], v[104:105], v[118:119] op_sel:[0,0,1] op_sel_hi:[1,0,0]
	v_mov_b32_e32 v121, v115
	v_pk_mul_f32 v[114:115], v[116:117], v[106:107] op_sel:[0,1]
	s_delay_alu instid0(VALU_DEP_2) | instskip(NEXT) | instid1(VALU_DEP_2)
	v_pk_add_f32 v[70:71], v[70:71], v[120:121] neg_lo:[0,1] neg_hi:[0,1]
	v_pk_fma_f32 v[118:119], v[116:117], v[104:105], v[114:115] op_sel:[0,0,1] op_sel_hi:[1,1,0] neg_lo:[0,0,1] neg_hi:[0,0,1]
	v_pk_fma_f32 v[114:115], v[116:117], v[104:105], v[114:115] op_sel:[0,0,1] op_sel_hi:[1,0,0]
	s_delay_alu instid0(VALU_DEP_1) | instskip(SKIP_4) | instid1(VALU_DEP_1)
	v_mov_b32_e32 v119, v115
	ds_load_2addr_b64 v[114:117], v108 offset0:23 offset1:24
	v_pk_add_f32 v[72:73], v[72:73], v[118:119] neg_lo:[0,1] neg_hi:[0,1]
	s_wait_dscnt 0x0
	v_pk_mul_f32 v[118:119], v[114:115], v[106:107] op_sel:[0,1]
	v_pk_fma_f32 v[120:121], v[114:115], v[104:105], v[118:119] op_sel:[0,0,1] op_sel_hi:[1,1,0] neg_lo:[0,0,1] neg_hi:[0,0,1]
	v_pk_fma_f32 v[114:115], v[114:115], v[104:105], v[118:119] op_sel:[0,0,1] op_sel_hi:[1,0,0]
	v_dual_mul_f32 v118, v117, v107 :: v_dual_mov_b32 v114, v117
	s_delay_alu instid0(VALU_DEP_2) | instskip(NEXT) | instid1(VALU_DEP_2)
	v_dual_mov_b32 v121, v115 :: v_dual_mov_b32 v115, v116
	v_pk_fma_f32 v[118:119], v[116:117], v[64:65], v[118:119] op_sel_hi:[1,1,0] neg_lo:[0,0,1] neg_hi:[0,0,1]
	v_mul_f32_e32 v116, v117, v104
	s_delay_alu instid0(VALU_DEP_3) | instskip(NEXT) | instid1(VALU_DEP_2)
	v_pk_add_f32 v[68:69], v[68:69], v[120:121] neg_lo:[0,1] neg_hi:[0,1]
	v_pk_fma_f32 v[114:115], v[114:115], v[64:65], v[116:117] op_sel_hi:[1,1,0]
	s_delay_alu instid0(VALU_DEP_1) | instskip(SKIP_4) | instid1(VALU_DEP_1)
	v_mov_b32_e32 v119, v115
	ds_load_2addr_b64 v[114:117], v108 offset0:25 offset1:26
	v_pk_add_f32 v[56:57], v[56:57], v[118:119] neg_lo:[0,1] neg_hi:[0,1]
	s_wait_dscnt 0x0
	v_pk_mul_f32 v[118:119], v[114:115], v[106:107] op_sel:[0,1]
	v_pk_fma_f32 v[120:121], v[114:115], v[104:105], v[118:119] op_sel:[0,0,1] op_sel_hi:[1,1,0] neg_lo:[0,0,1] neg_hi:[0,0,1]
	v_pk_fma_f32 v[114:115], v[114:115], v[104:105], v[118:119] op_sel:[0,0,1] op_sel_hi:[1,0,0]
	s_delay_alu instid0(VALU_DEP_1) | instskip(SKIP_1) | instid1(VALU_DEP_1)
	v_mov_b32_e32 v121, v115
	v_pk_mul_f32 v[114:115], v[116:117], v[106:107] op_sel:[0,1]
	v_pk_fma_f32 v[118:119], v[116:117], v[104:105], v[114:115] op_sel:[0,0,1] op_sel_hi:[1,1,0] neg_lo:[0,0,1] neg_hi:[0,0,1]
	v_pk_fma_f32 v[114:115], v[116:117], v[104:105], v[114:115] op_sel:[0,0,1] op_sel_hi:[1,0,0]
	s_delay_alu instid0(VALU_DEP_1)
	v_mov_b32_e32 v119, v115
	ds_load_2addr_b64 v[114:117], v108 offset0:27 offset1:28
	v_pk_add_f32 v[48:49], v[48:49], v[120:121] neg_lo:[0,1] neg_hi:[0,1]
	v_pk_add_f32 v[54:55], v[54:55], v[118:119] neg_lo:[0,1] neg_hi:[0,1]
	s_wait_dscnt 0x0
	v_pk_mul_f32 v[118:119], v[114:115], v[106:107] op_sel:[0,1]
	s_delay_alu instid0(VALU_DEP_1) | instskip(SKIP_1) | instid1(VALU_DEP_1)
	v_pk_fma_f32 v[120:121], v[114:115], v[104:105], v[118:119] op_sel:[0,0,1] op_sel_hi:[1,1,0] neg_lo:[0,0,1] neg_hi:[0,0,1]
	v_pk_fma_f32 v[114:115], v[114:115], v[104:105], v[118:119] op_sel:[0,0,1] op_sel_hi:[1,0,0]
	v_mov_b32_e32 v121, v115
	v_pk_mul_f32 v[114:115], v[116:117], v[106:107] op_sel:[0,1]
	s_delay_alu instid0(VALU_DEP_1) | instskip(SKIP_1) | instid1(VALU_DEP_1)
	v_pk_fma_f32 v[118:119], v[116:117], v[104:105], v[114:115] op_sel:[0,0,1] op_sel_hi:[1,1,0] neg_lo:[0,0,1] neg_hi:[0,0,1]
	v_pk_fma_f32 v[114:115], v[116:117], v[104:105], v[114:115] op_sel:[0,0,1] op_sel_hi:[1,0,0]
	v_mov_b32_e32 v119, v115
	ds_load_2addr_b64 v[114:117], v108 offset0:29 offset1:30
	v_pk_add_f32 v[46:47], v[46:47], v[120:121] neg_lo:[0,1] neg_hi:[0,1]
	v_pk_add_f32 v[44:45], v[44:45], v[118:119] neg_lo:[0,1] neg_hi:[0,1]
	s_wait_dscnt 0x0
	v_dual_mul_f32 v118, v115, v107 :: v_dual_mul_f32 v120, v115, v104
	s_delay_alu instid0(VALU_DEP_1) | instskip(NEXT) | instid1(VALU_DEP_2)
	v_pk_fma_f32 v[118:119], v[114:115], v[64:65], v[118:119] op_sel_hi:[1,1,0] neg_lo:[0,0,1] neg_hi:[0,0,1]
	v_pk_fma_f32 v[114:115], v[114:115], v[64:65], v[120:121] op_sel:[1,0,0] op_sel_hi:[0,1,0]
	s_delay_alu instid0(VALU_DEP_1) | instskip(SKIP_1) | instid1(VALU_DEP_2)
	v_mov_b32_e32 v119, v115
	v_pk_mul_f32 v[114:115], v[116:117], v[106:107] op_sel:[0,1]
	v_pk_add_f32 v[40:41], v[40:41], v[118:119] neg_lo:[0,1] neg_hi:[0,1]
	s_delay_alu instid0(VALU_DEP_2) | instskip(SKIP_1) | instid1(VALU_DEP_1)
	v_pk_fma_f32 v[118:119], v[116:117], v[104:105], v[114:115] op_sel:[0,0,1] op_sel_hi:[1,1,0] neg_lo:[0,0,1] neg_hi:[0,0,1]
	v_pk_fma_f32 v[114:115], v[116:117], v[104:105], v[114:115] op_sel:[0,0,1] op_sel_hi:[1,0,0]
	v_mov_b32_e32 v119, v115
	ds_load_2addr_b64 v[114:117], v108 offset0:31 offset1:32
	v_pk_add_f32 v[42:43], v[42:43], v[118:119] neg_lo:[0,1] neg_hi:[0,1]
	s_wait_dscnt 0x0
	v_pk_mul_f32 v[118:119], v[114:115], v[106:107] op_sel:[0,1]
	s_delay_alu instid0(VALU_DEP_1) | instskip(SKIP_1) | instid1(VALU_DEP_1)
	v_pk_fma_f32 v[120:121], v[114:115], v[104:105], v[118:119] op_sel:[0,0,1] op_sel_hi:[1,1,0] neg_lo:[0,0,1] neg_hi:[0,0,1]
	v_pk_fma_f32 v[114:115], v[114:115], v[104:105], v[118:119] op_sel:[0,0,1] op_sel_hi:[1,0,0]
	v_mov_b32_e32 v121, v115
	v_pk_mul_f32 v[114:115], v[116:117], v[106:107] op_sel:[0,1]
	s_delay_alu instid0(VALU_DEP_2) | instskip(NEXT) | instid1(VALU_DEP_2)
	v_pk_add_f32 v[38:39], v[38:39], v[120:121] neg_lo:[0,1] neg_hi:[0,1]
	v_pk_fma_f32 v[118:119], v[116:117], v[104:105], v[114:115] op_sel:[0,0,1] op_sel_hi:[1,1,0] neg_lo:[0,0,1] neg_hi:[0,0,1]
	v_pk_fma_f32 v[114:115], v[116:117], v[104:105], v[114:115] op_sel:[0,0,1] op_sel_hi:[1,0,0]
	s_delay_alu instid0(VALU_DEP_1) | instskip(SKIP_4) | instid1(VALU_DEP_1)
	v_mov_b32_e32 v119, v115
	ds_load_2addr_b64 v[114:117], v108 offset0:33 offset1:34
	v_pk_add_f32 v[36:37], v[36:37], v[118:119] neg_lo:[0,1] neg_hi:[0,1]
	s_wait_dscnt 0x0
	v_pk_mul_f32 v[118:119], v[114:115], v[106:107] op_sel:[0,1]
	v_pk_fma_f32 v[120:121], v[114:115], v[104:105], v[118:119] op_sel:[0,0,1] op_sel_hi:[1,1,0] neg_lo:[0,0,1] neg_hi:[0,0,1]
	v_pk_fma_f32 v[114:115], v[114:115], v[104:105], v[118:119] op_sel:[0,0,1] op_sel_hi:[1,0,0]
	v_dual_mul_f32 v118, v117, v107 :: v_dual_mov_b32 v114, v117
	s_delay_alu instid0(VALU_DEP_2) | instskip(NEXT) | instid1(VALU_DEP_2)
	v_dual_mov_b32 v121, v115 :: v_dual_mov_b32 v115, v116
	v_pk_fma_f32 v[118:119], v[116:117], v[64:65], v[118:119] op_sel_hi:[1,1,0] neg_lo:[0,0,1] neg_hi:[0,0,1]
	v_mul_f32_e32 v116, v117, v104
	s_delay_alu instid0(VALU_DEP_3) | instskip(NEXT) | instid1(VALU_DEP_2)
	v_pk_add_f32 v[32:33], v[32:33], v[120:121] neg_lo:[0,1] neg_hi:[0,1]
	v_pk_fma_f32 v[114:115], v[114:115], v[64:65], v[116:117] op_sel_hi:[1,1,0]
	s_delay_alu instid0(VALU_DEP_1) | instskip(SKIP_4) | instid1(VALU_DEP_1)
	v_mov_b32_e32 v119, v115
	ds_load_2addr_b64 v[114:117], v108 offset0:35 offset1:36
	v_pk_add_f32 v[34:35], v[34:35], v[118:119] neg_lo:[0,1] neg_hi:[0,1]
	s_wait_dscnt 0x0
	v_pk_mul_f32 v[118:119], v[114:115], v[106:107] op_sel:[0,1]
	v_pk_fma_f32 v[120:121], v[114:115], v[104:105], v[118:119] op_sel:[0,0,1] op_sel_hi:[1,1,0] neg_lo:[0,0,1] neg_hi:[0,0,1]
	v_pk_fma_f32 v[114:115], v[114:115], v[104:105], v[118:119] op_sel:[0,0,1] op_sel_hi:[1,0,0]
	s_delay_alu instid0(VALU_DEP_1) | instskip(SKIP_1) | instid1(VALU_DEP_1)
	v_mov_b32_e32 v121, v115
	v_pk_mul_f32 v[114:115], v[116:117], v[106:107] op_sel:[0,1]
	v_pk_fma_f32 v[118:119], v[116:117], v[104:105], v[114:115] op_sel:[0,0,1] op_sel_hi:[1,1,0] neg_lo:[0,0,1] neg_hi:[0,0,1]
	v_pk_fma_f32 v[114:115], v[116:117], v[104:105], v[114:115] op_sel:[0,0,1] op_sel_hi:[1,0,0]
	s_delay_alu instid0(VALU_DEP_1)
	v_mov_b32_e32 v119, v115
	ds_load_2addr_b64 v[114:117], v108 offset0:37 offset1:38
	v_pk_add_f32 v[30:31], v[30:31], v[120:121] neg_lo:[0,1] neg_hi:[0,1]
	v_pk_add_f32 v[26:27], v[26:27], v[118:119] neg_lo:[0,1] neg_hi:[0,1]
	s_wait_dscnt 0x0
	v_pk_mul_f32 v[118:119], v[114:115], v[106:107] op_sel:[0,1]
	s_delay_alu instid0(VALU_DEP_1) | instskip(SKIP_1) | instid1(VALU_DEP_1)
	v_pk_fma_f32 v[120:121], v[114:115], v[104:105], v[118:119] op_sel:[0,0,1] op_sel_hi:[1,1,0] neg_lo:[0,0,1] neg_hi:[0,0,1]
	v_pk_fma_f32 v[114:115], v[114:115], v[104:105], v[118:119] op_sel:[0,0,1] op_sel_hi:[1,0,0]
	v_mov_b32_e32 v121, v115
	v_pk_mul_f32 v[114:115], v[116:117], v[106:107] op_sel:[0,1]
	s_delay_alu instid0(VALU_DEP_1) | instskip(SKIP_1) | instid1(VALU_DEP_1)
	v_pk_fma_f32 v[118:119], v[116:117], v[104:105], v[114:115] op_sel:[0,0,1] op_sel_hi:[1,1,0] neg_lo:[0,0,1] neg_hi:[0,0,1]
	v_pk_fma_f32 v[114:115], v[116:117], v[104:105], v[114:115] op_sel:[0,0,1] op_sel_hi:[1,0,0]
	v_mov_b32_e32 v119, v115
	ds_load_2addr_b64 v[114:117], v108 offset0:39 offset1:40
	v_pk_add_f32 v[22:23], v[22:23], v[120:121] neg_lo:[0,1] neg_hi:[0,1]
	v_pk_add_f32 v[24:25], v[24:25], v[118:119] neg_lo:[0,1] neg_hi:[0,1]
	s_wait_dscnt 0x0
	v_dual_mul_f32 v118, v115, v107 :: v_dual_mul_f32 v120, v115, v104
	s_delay_alu instid0(VALU_DEP_1) | instskip(NEXT) | instid1(VALU_DEP_2)
	v_pk_fma_f32 v[118:119], v[114:115], v[64:65], v[118:119] op_sel_hi:[1,1,0] neg_lo:[0,0,1] neg_hi:[0,0,1]
	v_pk_fma_f32 v[114:115], v[114:115], v[64:65], v[120:121] op_sel:[1,0,0] op_sel_hi:[0,1,0]
	s_delay_alu instid0(VALU_DEP_1) | instskip(SKIP_1) | instid1(VALU_DEP_2)
	v_mov_b32_e32 v119, v115
	v_pk_mul_f32 v[114:115], v[116:117], v[106:107] op_sel:[0,1]
	v_pk_add_f32 v[20:21], v[20:21], v[118:119] neg_lo:[0,1] neg_hi:[0,1]
	s_delay_alu instid0(VALU_DEP_2) | instskip(SKIP_1) | instid1(VALU_DEP_1)
	v_pk_fma_f32 v[118:119], v[116:117], v[104:105], v[114:115] op_sel:[0,0,1] op_sel_hi:[1,1,0] neg_lo:[0,0,1] neg_hi:[0,0,1]
	v_pk_fma_f32 v[114:115], v[116:117], v[104:105], v[114:115] op_sel:[0,0,1] op_sel_hi:[1,0,0]
	v_mov_b32_e32 v119, v115
	ds_load_2addr_b64 v[114:117], v108 offset0:41 offset1:42
	v_pk_add_f32 v[14:15], v[14:15], v[118:119] neg_lo:[0,1] neg_hi:[0,1]
	s_wait_dscnt 0x0
	v_pk_mul_f32 v[118:119], v[114:115], v[106:107] op_sel:[0,1]
	s_delay_alu instid0(VALU_DEP_1) | instskip(SKIP_1) | instid1(VALU_DEP_1)
	v_pk_fma_f32 v[120:121], v[114:115], v[104:105], v[118:119] op_sel:[0,0,1] op_sel_hi:[1,1,0] neg_lo:[0,0,1] neg_hi:[0,0,1]
	v_pk_fma_f32 v[114:115], v[114:115], v[104:105], v[118:119] op_sel:[0,0,1] op_sel_hi:[1,0,0]
	v_mov_b32_e32 v121, v115
	v_pk_mul_f32 v[114:115], v[116:117], v[106:107] op_sel:[0,1]
	s_delay_alu instid0(VALU_DEP_2) | instskip(NEXT) | instid1(VALU_DEP_2)
	v_pk_add_f32 v[10:11], v[10:11], v[120:121] neg_lo:[0,1] neg_hi:[0,1]
	v_pk_fma_f32 v[118:119], v[116:117], v[104:105], v[114:115] op_sel:[0,0,1] op_sel_hi:[1,1,0] neg_lo:[0,0,1] neg_hi:[0,0,1]
	v_pk_fma_f32 v[114:115], v[116:117], v[104:105], v[114:115] op_sel:[0,0,1] op_sel_hi:[1,0,0]
	s_delay_alu instid0(VALU_DEP_1) | instskip(SKIP_4) | instid1(VALU_DEP_1)
	v_mov_b32_e32 v119, v115
	ds_load_2addr_b64 v[114:117], v108 offset0:43 offset1:44
	v_pk_add_f32 v[12:13], v[12:13], v[118:119] neg_lo:[0,1] neg_hi:[0,1]
	s_wait_dscnt 0x0
	v_pk_mul_f32 v[118:119], v[114:115], v[106:107] op_sel:[0,1]
	v_pk_fma_f32 v[120:121], v[114:115], v[104:105], v[118:119] op_sel:[0,0,1] op_sel_hi:[1,1,0] neg_lo:[0,0,1] neg_hi:[0,0,1]
	v_pk_fma_f32 v[114:115], v[114:115], v[104:105], v[118:119] op_sel:[0,0,1] op_sel_hi:[1,0,0]
	v_dual_mul_f32 v118, v117, v107 :: v_dual_mov_b32 v114, v117
	s_delay_alu instid0(VALU_DEP_2) | instskip(NEXT) | instid1(VALU_DEP_2)
	v_dual_mov_b32 v121, v115 :: v_dual_mov_b32 v115, v116
	v_pk_fma_f32 v[118:119], v[116:117], v[64:65], v[118:119] op_sel_hi:[1,1,0] neg_lo:[0,0,1] neg_hi:[0,0,1]
	v_mul_f32_e32 v116, v117, v104
	s_delay_alu instid0(VALU_DEP_3) | instskip(NEXT) | instid1(VALU_DEP_2)
	v_pk_add_f32 v[8:9], v[8:9], v[120:121] neg_lo:[0,1] neg_hi:[0,1]
	v_pk_fma_f32 v[114:115], v[114:115], v[64:65], v[116:117] op_sel_hi:[1,1,0]
	s_delay_alu instid0(VALU_DEP_1) | instskip(SKIP_4) | instid1(VALU_DEP_1)
	v_mov_b32_e32 v119, v115
	ds_load_2addr_b64 v[114:117], v108 offset0:45 offset1:46
	v_pk_add_f32 v[6:7], v[6:7], v[118:119] neg_lo:[0,1] neg_hi:[0,1]
	s_wait_dscnt 0x0
	v_pk_mul_f32 v[118:119], v[114:115], v[106:107] op_sel:[0,1]
	v_pk_fma_f32 v[120:121], v[114:115], v[104:105], v[118:119] op_sel:[0,0,1] op_sel_hi:[1,1,0] neg_lo:[0,0,1] neg_hi:[0,0,1]
	v_pk_fma_f32 v[114:115], v[114:115], v[104:105], v[118:119] op_sel:[0,0,1] op_sel_hi:[1,0,0]
	s_delay_alu instid0(VALU_DEP_1) | instskip(SKIP_1) | instid1(VALU_DEP_1)
	v_mov_b32_e32 v121, v115
	v_pk_mul_f32 v[114:115], v[116:117], v[106:107] op_sel:[0,1]
	v_pk_fma_f32 v[118:119], v[116:117], v[104:105], v[114:115] op_sel:[0,0,1] op_sel_hi:[1,1,0] neg_lo:[0,0,1] neg_hi:[0,0,1]
	v_pk_fma_f32 v[114:115], v[116:117], v[104:105], v[114:115] op_sel:[0,0,1] op_sel_hi:[1,0,0]
	s_delay_alu instid0(VALU_DEP_1)
	v_mov_b32_e32 v119, v115
	ds_load_2addr_b64 v[114:117], v108 offset0:47 offset1:48
	v_pk_add_f32 v[28:29], v[28:29], v[120:121] neg_lo:[0,1] neg_hi:[0,1]
	v_pk_add_f32 v[18:19], v[18:19], v[118:119] neg_lo:[0,1] neg_hi:[0,1]
	s_wait_dscnt 0x0
	v_pk_mul_f32 v[118:119], v[114:115], v[106:107] op_sel:[0,1]
	v_pk_mul_f32 v[106:107], v[116:117], v[106:107] op_sel:[0,1]
	s_delay_alu instid0(VALU_DEP_2) | instskip(SKIP_1) | instid1(VALU_DEP_1)
	v_pk_fma_f32 v[120:121], v[114:115], v[104:105], v[118:119] op_sel:[0,0,1] op_sel_hi:[1,1,0] neg_lo:[0,0,1] neg_hi:[0,0,1]
	v_pk_fma_f32 v[114:115], v[114:115], v[104:105], v[118:119] op_sel:[0,0,1] op_sel_hi:[1,0,0]
	v_mov_b32_e32 v121, v115
	s_delay_alu instid0(VALU_DEP_4) | instskip(SKIP_1) | instid1(VALU_DEP_1)
	v_pk_fma_f32 v[114:115], v[116:117], v[104:105], v[106:107] op_sel:[0,0,1] op_sel_hi:[1,1,0] neg_lo:[0,0,1] neg_hi:[0,0,1]
	v_pk_fma_f32 v[104:105], v[116:117], v[104:105], v[106:107] op_sel:[0,0,1] op_sel_hi:[1,0,0]
	v_mov_b32_e32 v115, v105
	s_delay_alu instid0(VALU_DEP_4) | instskip(NEXT) | instid1(VALU_DEP_2)
	v_pk_add_f32 v[16:17], v[16:17], v[120:121] neg_lo:[0,1] neg_hi:[0,1]
	v_pk_add_f32 v[102:103], v[102:103], v[114:115] neg_lo:[0,1] neg_hi:[0,1]
.LBB96_230:
	s_or_b32 exec_lo, exec_lo, s0
	v_lshl_add_u32 v104, v112, 3, v108
	s_barrier_signal -1
	s_barrier_wait -1
	ds_store_b64 v104, v[60:61]
	s_wait_dscnt 0x0
	s_barrier_signal -1
	s_barrier_wait -1
	ds_load_b64 v[106:107], v108 offset:88
	v_mov_b32_e32 v104, 11
	s_cmp_lt_i32 s18, 13
	s_cbranch_scc1 .LBB96_233
; %bb.231:
	v_add3_u32 v105, v109, 0, 0x60
	v_mov_b32_e32 v104, 11
	s_mov_b32 s0, 12
.LBB96_232:                             ; =>This Inner Loop Header: Depth=1
	ds_load_b64 v[114:115], v105
	s_wait_dscnt 0x1
	v_cmp_gt_f32_e32 vcc_lo, 0, v106
	v_cndmask_b32_e64 v116, v106, -v106, vcc_lo
	v_cmp_gt_f32_e32 vcc_lo, 0, v107
	v_cndmask_b32_e64 v118, v107, -v107, vcc_lo
	s_wait_dscnt 0x0
	v_cmp_gt_f32_e32 vcc_lo, 0, v114
	v_cndmask_b32_e64 v117, v114, -v114, vcc_lo
	v_cmp_gt_f32_e32 vcc_lo, 0, v115
	v_cndmask_b32_e64 v119, v115, -v115, vcc_lo
	s_delay_alu instid0(VALU_DEP_1) | instskip(NEXT) | instid1(VALU_DEP_1)
	v_pk_add_f32 v[116:117], v[116:117], v[118:119]
	v_cmp_lt_f32_e32 vcc_lo, v116, v117
	v_dual_add_nc_u32 v105, 8, v105 :: v_dual_cndmask_b32 v107, v107, v115, vcc_lo
	v_cndmask_b32_e32 v106, v106, v114, vcc_lo
	v_cndmask_b32_e64 v104, v104, s0, vcc_lo
	s_add_co_i32 s0, s0, 1
	s_delay_alu instid0(SALU_CYCLE_1)
	s_cmp_lg_u32 s18, s0
	s_cbranch_scc1 .LBB96_232
.LBB96_233:
	s_wait_dscnt 0x0
	v_cmp_eq_f32_e32 vcc_lo, 0, v106
	v_cmp_eq_f32_e64 s0, 0, v107
	s_and_b32 s0, vcc_lo, s0
	s_delay_alu instid0(SALU_CYCLE_1) | instskip(NEXT) | instid1(SALU_CYCLE_1)
	s_and_saveexec_b32 s1, s0
	s_xor_b32 s0, exec_lo, s1
; %bb.234:
	v_cmp_ne_u32_e32 vcc_lo, 0, v110
	v_cndmask_b32_e32 v110, 12, v110, vcc_lo
; %bb.235:
	s_and_not1_saveexec_b32 s0, s0
	s_cbranch_execz .LBB96_241
; %bb.236:
	v_cmp_ngt_f32_e64 s1, |v106|, |v107|
	s_and_saveexec_b32 s12, s1
	s_delay_alu instid0(SALU_CYCLE_1)
	s_xor_b32 s1, exec_lo, s12
	s_cbranch_execz .LBB96_238
; %bb.237:
	v_div_scale_f32 v105, null, v107, v107, v106
	v_div_scale_f32 v115, vcc_lo, v106, v107, v106
	s_delay_alu instid0(VALU_DEP_2) | instskip(SKIP_1) | instid1(TRANS32_DEP_1)
	v_rcp_f32_e32 v113, v105
	v_nop
	v_fma_f32 v114, -v105, v113, 1.0
	s_delay_alu instid0(VALU_DEP_1) | instskip(NEXT) | instid1(VALU_DEP_1)
	v_fmac_f32_e32 v113, v114, v113
	v_mul_f32_e32 v114, v115, v113
	s_delay_alu instid0(VALU_DEP_1) | instskip(NEXT) | instid1(VALU_DEP_1)
	v_fma_f32 v116, -v105, v114, v115
	v_fmac_f32_e32 v114, v116, v113
	s_delay_alu instid0(VALU_DEP_1) | instskip(NEXT) | instid1(VALU_DEP_1)
	v_fma_f32 v105, -v105, v114, v115
	v_div_fmas_f32 v105, v105, v113, v114
	s_delay_alu instid0(VALU_DEP_1) | instskip(NEXT) | instid1(VALU_DEP_1)
	v_div_fixup_f32 v105, v105, v107, v106
	v_fmac_f32_e32 v107, v106, v105
	s_delay_alu instid0(VALU_DEP_1) | instskip(SKIP_1) | instid1(VALU_DEP_2)
	v_div_scale_f32 v106, null, v107, v107, 1.0
	v_div_scale_f32 v115, vcc_lo, 1.0, v107, 1.0
	v_rcp_f32_e32 v113, v106
	v_nop
	s_delay_alu instid0(TRANS32_DEP_1) | instskip(NEXT) | instid1(VALU_DEP_1)
	v_fma_f32 v114, -v106, v113, 1.0
	v_fmac_f32_e32 v113, v114, v113
	s_delay_alu instid0(VALU_DEP_1) | instskip(NEXT) | instid1(VALU_DEP_1)
	v_mul_f32_e32 v114, v115, v113
	v_fma_f32 v116, -v106, v114, v115
	s_delay_alu instid0(VALU_DEP_1) | instskip(NEXT) | instid1(VALU_DEP_1)
	v_fmac_f32_e32 v114, v116, v113
	v_fma_f32 v106, -v106, v114, v115
	s_delay_alu instid0(VALU_DEP_1) | instskip(NEXT) | instid1(VALU_DEP_1)
	v_div_fmas_f32 v106, v106, v113, v114
	v_div_fixup_f32 v107, v106, v107, 1.0
	s_delay_alu instid0(VALU_DEP_1)
	v_mul_f32_e32 v106, v105, v107
	v_xor_b32_e32 v107, 0x80000000, v107
.LBB96_238:
	s_and_not1_saveexec_b32 s1, s1
	s_cbranch_execz .LBB96_240
; %bb.239:
	s_delay_alu instid0(VALU_DEP_1) | instskip(SKIP_1) | instid1(VALU_DEP_2)
	v_div_scale_f32 v105, null, v106, v106, v107
	v_div_scale_f32 v115, vcc_lo, v107, v106, v107
	v_rcp_f32_e32 v113, v105
	v_nop
	s_delay_alu instid0(TRANS32_DEP_1) | instskip(NEXT) | instid1(VALU_DEP_1)
	v_fma_f32 v114, -v105, v113, 1.0
	v_fmac_f32_e32 v113, v114, v113
	s_delay_alu instid0(VALU_DEP_1) | instskip(NEXT) | instid1(VALU_DEP_1)
	v_mul_f32_e32 v114, v115, v113
	v_fma_f32 v116, -v105, v114, v115
	s_delay_alu instid0(VALU_DEP_1) | instskip(NEXT) | instid1(VALU_DEP_1)
	v_fmac_f32_e32 v114, v116, v113
	v_fma_f32 v105, -v105, v114, v115
	s_delay_alu instid0(VALU_DEP_1) | instskip(NEXT) | instid1(VALU_DEP_1)
	v_div_fmas_f32 v105, v105, v113, v114
	v_div_fixup_f32 v105, v105, v106, v107
	s_delay_alu instid0(VALU_DEP_1) | instskip(NEXT) | instid1(VALU_DEP_1)
	v_fmac_f32_e32 v106, v107, v105
	v_div_scale_f32 v107, null, v106, v106, 1.0
	s_delay_alu instid0(VALU_DEP_1) | instskip(SKIP_1) | instid1(TRANS32_DEP_1)
	v_rcp_f32_e32 v113, v107
	v_nop
	v_fma_f32 v114, -v107, v113, 1.0
	s_delay_alu instid0(VALU_DEP_1) | instskip(SKIP_1) | instid1(VALU_DEP_1)
	v_fmac_f32_e32 v113, v114, v113
	v_div_scale_f32 v114, vcc_lo, 1.0, v106, 1.0
	v_mul_f32_e32 v115, v114, v113
	s_delay_alu instid0(VALU_DEP_1) | instskip(NEXT) | instid1(VALU_DEP_1)
	v_fma_f32 v116, -v107, v115, v114
	v_fmac_f32_e32 v115, v116, v113
	s_delay_alu instid0(VALU_DEP_1) | instskip(NEXT) | instid1(VALU_DEP_1)
	v_fma_f32 v107, -v107, v115, v114
	v_div_fmas_f32 v107, v107, v113, v115
	s_delay_alu instid0(VALU_DEP_1) | instskip(NEXT) | instid1(VALU_DEP_1)
	v_div_fixup_f32 v106, v107, v106, 1.0
	v_mul_f32_e64 v107, v105, -v106
.LBB96_240:
	s_or_b32 exec_lo, exec_lo, s1
.LBB96_241:
	s_delay_alu instid0(SALU_CYCLE_1) | instskip(NEXT) | instid1(SALU_CYCLE_1)
	s_or_b32 exec_lo, exec_lo, s0
	s_mov_b32 s0, exec_lo
	v_cmpx_ne_u32_e64 v112, v104
	s_xor_b32 s0, exec_lo, s0
	s_cbranch_execz .LBB96_247
; %bb.242:
	s_mov_b32 s1, exec_lo
	v_cmpx_eq_u32_e32 11, v112
	s_cbranch_execz .LBB96_246
; %bb.243:
	v_cmp_ne_u32_e32 vcc_lo, 11, v104
	s_xor_b32 s12, s16, -1
	s_delay_alu instid0(SALU_CYCLE_1) | instskip(NEXT) | instid1(SALU_CYCLE_1)
	s_and_b32 s13, s12, vcc_lo
	s_and_saveexec_b32 s12, s13
	s_cbranch_execz .LBB96_245
; %bb.244:
	v_ashrrev_i32_e32 v105, 31, v104
	s_delay_alu instid0(VALU_DEP_1)
	v_lshl_add_u64 v[112:113], v[104:105], 2, v[4:5]
	s_clause 0x1
	global_load_b32 v105, v[112:113], off
	global_load_b32 v111, v[4:5], off offset:44
	s_wait_loadcnt 0x1
	global_store_b32 v[4:5], v105, off offset:44
	s_wait_loadcnt 0x0
	global_store_b32 v[112:113], v111, off
.LBB96_245:
	s_wait_xcnt 0x0
	s_or_b32 exec_lo, exec_lo, s12
	v_dual_mov_b32 v112, v104 :: v_dual_mov_b32 v111, v104
.LBB96_246:
	s_or_b32 exec_lo, exec_lo, s1
.LBB96_247:
	s_and_not1_saveexec_b32 s0, s0
	s_cbranch_execz .LBB96_249
; %bb.248:
	v_dual_mov_b32 v104, v90 :: v_dual_mov_b32 v105, v91
	v_dual_mov_b32 v112, v86 :: v_dual_mov_b32 v113, v87
	ds_store_2addr_b64 v108, v[104:105], v[112:113] offset0:12 offset1:13
	v_dual_mov_b32 v104, v88 :: v_dual_mov_b32 v105, v89
	v_dual_mov_b32 v112, v84 :: v_dual_mov_b32 v113, v85
	ds_store_2addr_b64 v108, v[104:105], v[112:113] offset0:14 offset1:15
	;; [unrolled: 3-line block ×18, first 2 shown]
	ds_store_b64 v108, v[102:103] offset:384
	v_mov_b32_e32 v112, 11
.LBB96_249:
	s_or_b32 exec_lo, exec_lo, s0
	s_delay_alu instid0(SALU_CYCLE_1)
	s_mov_b32 s0, exec_lo
	s_wait_storecnt_dscnt 0x0
	s_barrier_signal -1
	s_barrier_wait -1
	v_cmpx_lt_i32_e32 11, v112
	s_cbranch_execz .LBB96_251
; %bb.250:
	v_pk_mul_f32 v[114:115], v[106:107], v[60:61] op_sel:[1,1] op_sel_hi:[0,1]
	s_delay_alu instid0(VALU_DEP_1)
	v_pk_fma_f32 v[104:105], v[106:107], v[60:61], v[114:115] op_sel_hi:[1,0,1] neg_lo:[0,0,1] neg_hi:[0,0,1]
	v_pk_fma_f32 v[106:107], v[106:107], v[60:61], v[114:115] op_sel_hi:[1,0,1]
	ds_load_2addr_b64 v[114:117], v108 offset0:12 offset1:13
	v_dual_mov_b32 v60, v104 :: v_dual_mov_b32 v61, v107
	s_wait_dscnt 0x0
	v_pk_mul_f32 v[118:119], v[114:115], v[106:107] op_sel:[0,1]
	s_delay_alu instid0(VALU_DEP_1) | instskip(SKIP_1) | instid1(VALU_DEP_1)
	v_pk_fma_f32 v[120:121], v[114:115], v[104:105], v[118:119] op_sel:[0,0,1] op_sel_hi:[1,1,0] neg_lo:[0,0,1] neg_hi:[0,0,1]
	v_pk_fma_f32 v[114:115], v[114:115], v[104:105], v[118:119] op_sel:[0,0,1] op_sel_hi:[1,0,0]
	v_mov_b32_e32 v121, v115
	v_pk_mul_f32 v[114:115], v[116:117], v[106:107] op_sel:[0,1]
	s_delay_alu instid0(VALU_DEP_1) | instskip(SKIP_1) | instid1(VALU_DEP_1)
	v_pk_fma_f32 v[118:119], v[116:117], v[104:105], v[114:115] op_sel:[0,0,1] op_sel_hi:[1,1,0] neg_lo:[0,0,1] neg_hi:[0,0,1]
	v_pk_fma_f32 v[114:115], v[116:117], v[104:105], v[114:115] op_sel:[0,0,1] op_sel_hi:[1,0,0]
	v_mov_b32_e32 v119, v115
	ds_load_2addr_b64 v[114:117], v108 offset0:14 offset1:15
	v_pk_add_f32 v[90:91], v[90:91], v[120:121] neg_lo:[0,1] neg_hi:[0,1]
	v_pk_add_f32 v[86:87], v[86:87], v[118:119] neg_lo:[0,1] neg_hi:[0,1]
	s_wait_dscnt 0x0
	v_pk_mul_f32 v[118:119], v[114:115], v[106:107] op_sel:[0,1]
	s_delay_alu instid0(VALU_DEP_1) | instskip(SKIP_2) | instid1(VALU_DEP_2)
	v_pk_fma_f32 v[120:121], v[114:115], v[104:105], v[118:119] op_sel:[0,0,1] op_sel_hi:[1,1,0] neg_lo:[0,0,1] neg_hi:[0,0,1]
	v_pk_fma_f32 v[114:115], v[114:115], v[104:105], v[118:119] op_sel:[0,0,1] op_sel_hi:[1,0,0]
	v_dual_mul_f32 v118, v117, v107 :: v_dual_mov_b32 v114, v117
	v_dual_mov_b32 v121, v115 :: v_dual_mov_b32 v115, v116
	s_delay_alu instid0(VALU_DEP_2) | instskip(SKIP_1) | instid1(VALU_DEP_3)
	v_pk_fma_f32 v[118:119], v[116:117], v[60:61], v[118:119] op_sel_hi:[1,1,0] neg_lo:[0,0,1] neg_hi:[0,0,1]
	v_mul_f32_e32 v116, v117, v104
	v_pk_add_f32 v[88:89], v[88:89], v[120:121] neg_lo:[0,1] neg_hi:[0,1]
	s_delay_alu instid0(VALU_DEP_2) | instskip(NEXT) | instid1(VALU_DEP_1)
	v_pk_fma_f32 v[114:115], v[114:115], v[60:61], v[116:117] op_sel_hi:[1,1,0]
	v_mov_b32_e32 v119, v115
	ds_load_2addr_b64 v[114:117], v108 offset0:16 offset1:17
	v_pk_add_f32 v[84:85], v[84:85], v[118:119] neg_lo:[0,1] neg_hi:[0,1]
	s_wait_dscnt 0x0
	v_pk_mul_f32 v[118:119], v[114:115], v[106:107] op_sel:[0,1]
	s_delay_alu instid0(VALU_DEP_1) | instskip(SKIP_1) | instid1(VALU_DEP_1)
	v_pk_fma_f32 v[120:121], v[114:115], v[104:105], v[118:119] op_sel:[0,0,1] op_sel_hi:[1,1,0] neg_lo:[0,0,1] neg_hi:[0,0,1]
	v_pk_fma_f32 v[114:115], v[114:115], v[104:105], v[118:119] op_sel:[0,0,1] op_sel_hi:[1,0,0]
	v_mov_b32_e32 v121, v115
	v_pk_mul_f32 v[114:115], v[116:117], v[106:107] op_sel:[0,1]
	s_delay_alu instid0(VALU_DEP_1) | instskip(SKIP_1) | instid1(VALU_DEP_1)
	v_pk_fma_f32 v[118:119], v[116:117], v[104:105], v[114:115] op_sel:[0,0,1] op_sel_hi:[1,1,0] neg_lo:[0,0,1] neg_hi:[0,0,1]
	v_pk_fma_f32 v[114:115], v[116:117], v[104:105], v[114:115] op_sel:[0,0,1] op_sel_hi:[1,0,0]
	v_mov_b32_e32 v119, v115
	ds_load_2addr_b64 v[114:117], v108 offset0:18 offset1:19
	v_pk_add_f32 v[82:83], v[82:83], v[120:121] neg_lo:[0,1] neg_hi:[0,1]
	v_pk_add_f32 v[78:79], v[78:79], v[118:119] neg_lo:[0,1] neg_hi:[0,1]
	s_wait_dscnt 0x0
	v_pk_mul_f32 v[118:119], v[114:115], v[106:107] op_sel:[0,1]
	s_delay_alu instid0(VALU_DEP_1) | instskip(SKIP_1) | instid1(VALU_DEP_1)
	v_pk_fma_f32 v[120:121], v[114:115], v[104:105], v[118:119] op_sel:[0,0,1] op_sel_hi:[1,1,0] neg_lo:[0,0,1] neg_hi:[0,0,1]
	v_pk_fma_f32 v[114:115], v[114:115], v[104:105], v[118:119] op_sel:[0,0,1] op_sel_hi:[1,0,0]
	v_mov_b32_e32 v121, v115
	v_pk_mul_f32 v[114:115], v[116:117], v[106:107] op_sel:[0,1]
	s_delay_alu instid0(VALU_DEP_1) | instskip(SKIP_1) | instid1(VALU_DEP_1)
	v_pk_fma_f32 v[118:119], v[116:117], v[104:105], v[114:115] op_sel:[0,0,1] op_sel_hi:[1,1,0] neg_lo:[0,0,1] neg_hi:[0,0,1]
	v_pk_fma_f32 v[114:115], v[116:117], v[104:105], v[114:115] op_sel:[0,0,1] op_sel_hi:[1,0,0]
	v_mov_b32_e32 v119, v115
	ds_load_2addr_b64 v[114:117], v108 offset0:20 offset1:21
	v_pk_add_f32 v[80:81], v[80:81], v[120:121] neg_lo:[0,1] neg_hi:[0,1]
	v_pk_add_f32 v[76:77], v[76:77], v[118:119] neg_lo:[0,1] neg_hi:[0,1]
	s_wait_dscnt 0x0
	v_dual_mul_f32 v118, v115, v107 :: v_dual_mul_f32 v120, v115, v104
	s_delay_alu instid0(VALU_DEP_1) | instskip(NEXT) | instid1(VALU_DEP_2)
	v_pk_fma_f32 v[118:119], v[114:115], v[60:61], v[118:119] op_sel_hi:[1,1,0] neg_lo:[0,0,1] neg_hi:[0,0,1]
	v_pk_fma_f32 v[114:115], v[114:115], v[60:61], v[120:121] op_sel:[1,0,0] op_sel_hi:[0,1,0]
	s_delay_alu instid0(VALU_DEP_1) | instskip(SKIP_1) | instid1(VALU_DEP_2)
	v_mov_b32_e32 v119, v115
	v_pk_mul_f32 v[114:115], v[116:117], v[106:107] op_sel:[0,1]
	v_pk_add_f32 v[74:75], v[74:75], v[118:119] neg_lo:[0,1] neg_hi:[0,1]
	s_delay_alu instid0(VALU_DEP_2) | instskip(SKIP_1) | instid1(VALU_DEP_1)
	v_pk_fma_f32 v[118:119], v[116:117], v[104:105], v[114:115] op_sel:[0,0,1] op_sel_hi:[1,1,0] neg_lo:[0,0,1] neg_hi:[0,0,1]
	v_pk_fma_f32 v[114:115], v[116:117], v[104:105], v[114:115] op_sel:[0,0,1] op_sel_hi:[1,0,0]
	v_mov_b32_e32 v119, v115
	ds_load_2addr_b64 v[114:117], v108 offset0:22 offset1:23
	v_pk_add_f32 v[70:71], v[70:71], v[118:119] neg_lo:[0,1] neg_hi:[0,1]
	s_wait_dscnt 0x0
	v_pk_mul_f32 v[118:119], v[114:115], v[106:107] op_sel:[0,1]
	s_delay_alu instid0(VALU_DEP_1) | instskip(SKIP_1) | instid1(VALU_DEP_1)
	v_pk_fma_f32 v[120:121], v[114:115], v[104:105], v[118:119] op_sel:[0,0,1] op_sel_hi:[1,1,0] neg_lo:[0,0,1] neg_hi:[0,0,1]
	v_pk_fma_f32 v[114:115], v[114:115], v[104:105], v[118:119] op_sel:[0,0,1] op_sel_hi:[1,0,0]
	v_mov_b32_e32 v121, v115
	v_pk_mul_f32 v[114:115], v[116:117], v[106:107] op_sel:[0,1]
	s_delay_alu instid0(VALU_DEP_2) | instskip(NEXT) | instid1(VALU_DEP_2)
	v_pk_add_f32 v[72:73], v[72:73], v[120:121] neg_lo:[0,1] neg_hi:[0,1]
	v_pk_fma_f32 v[118:119], v[116:117], v[104:105], v[114:115] op_sel:[0,0,1] op_sel_hi:[1,1,0] neg_lo:[0,0,1] neg_hi:[0,0,1]
	v_pk_fma_f32 v[114:115], v[116:117], v[104:105], v[114:115] op_sel:[0,0,1] op_sel_hi:[1,0,0]
	s_delay_alu instid0(VALU_DEP_1) | instskip(SKIP_4) | instid1(VALU_DEP_1)
	v_mov_b32_e32 v119, v115
	ds_load_2addr_b64 v[114:117], v108 offset0:24 offset1:25
	v_pk_add_f32 v[68:69], v[68:69], v[118:119] neg_lo:[0,1] neg_hi:[0,1]
	s_wait_dscnt 0x0
	v_pk_mul_f32 v[118:119], v[114:115], v[106:107] op_sel:[0,1]
	v_pk_fma_f32 v[120:121], v[114:115], v[104:105], v[118:119] op_sel:[0,0,1] op_sel_hi:[1,1,0] neg_lo:[0,0,1] neg_hi:[0,0,1]
	v_pk_fma_f32 v[114:115], v[114:115], v[104:105], v[118:119] op_sel:[0,0,1] op_sel_hi:[1,0,0]
	v_dual_mul_f32 v118, v117, v107 :: v_dual_mov_b32 v114, v117
	s_delay_alu instid0(VALU_DEP_2) | instskip(NEXT) | instid1(VALU_DEP_2)
	v_dual_mov_b32 v121, v115 :: v_dual_mov_b32 v115, v116
	v_pk_fma_f32 v[118:119], v[116:117], v[60:61], v[118:119] op_sel_hi:[1,1,0] neg_lo:[0,0,1] neg_hi:[0,0,1]
	v_mul_f32_e32 v116, v117, v104
	s_delay_alu instid0(VALU_DEP_3) | instskip(NEXT) | instid1(VALU_DEP_2)
	v_pk_add_f32 v[56:57], v[56:57], v[120:121] neg_lo:[0,1] neg_hi:[0,1]
	v_pk_fma_f32 v[114:115], v[114:115], v[60:61], v[116:117] op_sel_hi:[1,1,0]
	s_delay_alu instid0(VALU_DEP_1) | instskip(SKIP_4) | instid1(VALU_DEP_1)
	v_mov_b32_e32 v119, v115
	ds_load_2addr_b64 v[114:117], v108 offset0:26 offset1:27
	v_pk_add_f32 v[48:49], v[48:49], v[118:119] neg_lo:[0,1] neg_hi:[0,1]
	s_wait_dscnt 0x0
	v_pk_mul_f32 v[118:119], v[114:115], v[106:107] op_sel:[0,1]
	v_pk_fma_f32 v[120:121], v[114:115], v[104:105], v[118:119] op_sel:[0,0,1] op_sel_hi:[1,1,0] neg_lo:[0,0,1] neg_hi:[0,0,1]
	v_pk_fma_f32 v[114:115], v[114:115], v[104:105], v[118:119] op_sel:[0,0,1] op_sel_hi:[1,0,0]
	s_delay_alu instid0(VALU_DEP_1) | instskip(SKIP_1) | instid1(VALU_DEP_1)
	v_mov_b32_e32 v121, v115
	v_pk_mul_f32 v[114:115], v[116:117], v[106:107] op_sel:[0,1]
	v_pk_fma_f32 v[118:119], v[116:117], v[104:105], v[114:115] op_sel:[0,0,1] op_sel_hi:[1,1,0] neg_lo:[0,0,1] neg_hi:[0,0,1]
	v_pk_fma_f32 v[114:115], v[116:117], v[104:105], v[114:115] op_sel:[0,0,1] op_sel_hi:[1,0,0]
	s_delay_alu instid0(VALU_DEP_1)
	v_mov_b32_e32 v119, v115
	ds_load_2addr_b64 v[114:117], v108 offset0:28 offset1:29
	v_pk_add_f32 v[54:55], v[54:55], v[120:121] neg_lo:[0,1] neg_hi:[0,1]
	v_pk_add_f32 v[46:47], v[46:47], v[118:119] neg_lo:[0,1] neg_hi:[0,1]
	s_wait_dscnt 0x0
	v_pk_mul_f32 v[118:119], v[114:115], v[106:107] op_sel:[0,1]
	s_delay_alu instid0(VALU_DEP_1) | instskip(SKIP_1) | instid1(VALU_DEP_1)
	v_pk_fma_f32 v[120:121], v[114:115], v[104:105], v[118:119] op_sel:[0,0,1] op_sel_hi:[1,1,0] neg_lo:[0,0,1] neg_hi:[0,0,1]
	v_pk_fma_f32 v[114:115], v[114:115], v[104:105], v[118:119] op_sel:[0,0,1] op_sel_hi:[1,0,0]
	v_mov_b32_e32 v121, v115
	v_pk_mul_f32 v[114:115], v[116:117], v[106:107] op_sel:[0,1]
	s_delay_alu instid0(VALU_DEP_1) | instskip(SKIP_1) | instid1(VALU_DEP_1)
	v_pk_fma_f32 v[118:119], v[116:117], v[104:105], v[114:115] op_sel:[0,0,1] op_sel_hi:[1,1,0] neg_lo:[0,0,1] neg_hi:[0,0,1]
	v_pk_fma_f32 v[114:115], v[116:117], v[104:105], v[114:115] op_sel:[0,0,1] op_sel_hi:[1,0,0]
	v_mov_b32_e32 v119, v115
	ds_load_2addr_b64 v[114:117], v108 offset0:30 offset1:31
	v_pk_add_f32 v[44:45], v[44:45], v[120:121] neg_lo:[0,1] neg_hi:[0,1]
	v_pk_add_f32 v[40:41], v[40:41], v[118:119] neg_lo:[0,1] neg_hi:[0,1]
	s_wait_dscnt 0x0
	v_dual_mul_f32 v118, v115, v107 :: v_dual_mul_f32 v120, v115, v104
	s_delay_alu instid0(VALU_DEP_1) | instskip(NEXT) | instid1(VALU_DEP_2)
	v_pk_fma_f32 v[118:119], v[114:115], v[60:61], v[118:119] op_sel_hi:[1,1,0] neg_lo:[0,0,1] neg_hi:[0,0,1]
	v_pk_fma_f32 v[114:115], v[114:115], v[60:61], v[120:121] op_sel:[1,0,0] op_sel_hi:[0,1,0]
	s_delay_alu instid0(VALU_DEP_1) | instskip(SKIP_1) | instid1(VALU_DEP_2)
	v_mov_b32_e32 v119, v115
	v_pk_mul_f32 v[114:115], v[116:117], v[106:107] op_sel:[0,1]
	v_pk_add_f32 v[42:43], v[42:43], v[118:119] neg_lo:[0,1] neg_hi:[0,1]
	s_delay_alu instid0(VALU_DEP_2) | instskip(SKIP_1) | instid1(VALU_DEP_1)
	v_pk_fma_f32 v[118:119], v[116:117], v[104:105], v[114:115] op_sel:[0,0,1] op_sel_hi:[1,1,0] neg_lo:[0,0,1] neg_hi:[0,0,1]
	v_pk_fma_f32 v[114:115], v[116:117], v[104:105], v[114:115] op_sel:[0,0,1] op_sel_hi:[1,0,0]
	v_mov_b32_e32 v119, v115
	ds_load_2addr_b64 v[114:117], v108 offset0:32 offset1:33
	v_pk_add_f32 v[38:39], v[38:39], v[118:119] neg_lo:[0,1] neg_hi:[0,1]
	s_wait_dscnt 0x0
	v_pk_mul_f32 v[118:119], v[114:115], v[106:107] op_sel:[0,1]
	s_delay_alu instid0(VALU_DEP_1) | instskip(SKIP_1) | instid1(VALU_DEP_1)
	v_pk_fma_f32 v[120:121], v[114:115], v[104:105], v[118:119] op_sel:[0,0,1] op_sel_hi:[1,1,0] neg_lo:[0,0,1] neg_hi:[0,0,1]
	v_pk_fma_f32 v[114:115], v[114:115], v[104:105], v[118:119] op_sel:[0,0,1] op_sel_hi:[1,0,0]
	v_mov_b32_e32 v121, v115
	v_pk_mul_f32 v[114:115], v[116:117], v[106:107] op_sel:[0,1]
	s_delay_alu instid0(VALU_DEP_2) | instskip(NEXT) | instid1(VALU_DEP_2)
	v_pk_add_f32 v[36:37], v[36:37], v[120:121] neg_lo:[0,1] neg_hi:[0,1]
	v_pk_fma_f32 v[118:119], v[116:117], v[104:105], v[114:115] op_sel:[0,0,1] op_sel_hi:[1,1,0] neg_lo:[0,0,1] neg_hi:[0,0,1]
	v_pk_fma_f32 v[114:115], v[116:117], v[104:105], v[114:115] op_sel:[0,0,1] op_sel_hi:[1,0,0]
	s_delay_alu instid0(VALU_DEP_1) | instskip(SKIP_4) | instid1(VALU_DEP_1)
	v_mov_b32_e32 v119, v115
	ds_load_2addr_b64 v[114:117], v108 offset0:34 offset1:35
	v_pk_add_f32 v[32:33], v[32:33], v[118:119] neg_lo:[0,1] neg_hi:[0,1]
	s_wait_dscnt 0x0
	v_pk_mul_f32 v[118:119], v[114:115], v[106:107] op_sel:[0,1]
	v_pk_fma_f32 v[120:121], v[114:115], v[104:105], v[118:119] op_sel:[0,0,1] op_sel_hi:[1,1,0] neg_lo:[0,0,1] neg_hi:[0,0,1]
	v_pk_fma_f32 v[114:115], v[114:115], v[104:105], v[118:119] op_sel:[0,0,1] op_sel_hi:[1,0,0]
	v_dual_mul_f32 v118, v117, v107 :: v_dual_mov_b32 v114, v117
	s_delay_alu instid0(VALU_DEP_2) | instskip(NEXT) | instid1(VALU_DEP_2)
	v_dual_mov_b32 v121, v115 :: v_dual_mov_b32 v115, v116
	v_pk_fma_f32 v[118:119], v[116:117], v[60:61], v[118:119] op_sel_hi:[1,1,0] neg_lo:[0,0,1] neg_hi:[0,0,1]
	v_mul_f32_e32 v116, v117, v104
	s_delay_alu instid0(VALU_DEP_3) | instskip(NEXT) | instid1(VALU_DEP_2)
	v_pk_add_f32 v[34:35], v[34:35], v[120:121] neg_lo:[0,1] neg_hi:[0,1]
	v_pk_fma_f32 v[114:115], v[114:115], v[60:61], v[116:117] op_sel_hi:[1,1,0]
	s_delay_alu instid0(VALU_DEP_1) | instskip(SKIP_4) | instid1(VALU_DEP_1)
	v_mov_b32_e32 v119, v115
	ds_load_2addr_b64 v[114:117], v108 offset0:36 offset1:37
	v_pk_add_f32 v[30:31], v[30:31], v[118:119] neg_lo:[0,1] neg_hi:[0,1]
	s_wait_dscnt 0x0
	v_pk_mul_f32 v[118:119], v[114:115], v[106:107] op_sel:[0,1]
	v_pk_fma_f32 v[120:121], v[114:115], v[104:105], v[118:119] op_sel:[0,0,1] op_sel_hi:[1,1,0] neg_lo:[0,0,1] neg_hi:[0,0,1]
	v_pk_fma_f32 v[114:115], v[114:115], v[104:105], v[118:119] op_sel:[0,0,1] op_sel_hi:[1,0,0]
	s_delay_alu instid0(VALU_DEP_1) | instskip(SKIP_1) | instid1(VALU_DEP_1)
	v_mov_b32_e32 v121, v115
	v_pk_mul_f32 v[114:115], v[116:117], v[106:107] op_sel:[0,1]
	v_pk_fma_f32 v[118:119], v[116:117], v[104:105], v[114:115] op_sel:[0,0,1] op_sel_hi:[1,1,0] neg_lo:[0,0,1] neg_hi:[0,0,1]
	v_pk_fma_f32 v[114:115], v[116:117], v[104:105], v[114:115] op_sel:[0,0,1] op_sel_hi:[1,0,0]
	s_delay_alu instid0(VALU_DEP_1)
	v_mov_b32_e32 v119, v115
	ds_load_2addr_b64 v[114:117], v108 offset0:38 offset1:39
	v_pk_add_f32 v[26:27], v[26:27], v[120:121] neg_lo:[0,1] neg_hi:[0,1]
	v_pk_add_f32 v[22:23], v[22:23], v[118:119] neg_lo:[0,1] neg_hi:[0,1]
	s_wait_dscnt 0x0
	v_pk_mul_f32 v[118:119], v[114:115], v[106:107] op_sel:[0,1]
	s_delay_alu instid0(VALU_DEP_1) | instskip(SKIP_1) | instid1(VALU_DEP_1)
	v_pk_fma_f32 v[120:121], v[114:115], v[104:105], v[118:119] op_sel:[0,0,1] op_sel_hi:[1,1,0] neg_lo:[0,0,1] neg_hi:[0,0,1]
	v_pk_fma_f32 v[114:115], v[114:115], v[104:105], v[118:119] op_sel:[0,0,1] op_sel_hi:[1,0,0]
	v_mov_b32_e32 v121, v115
	v_pk_mul_f32 v[114:115], v[116:117], v[106:107] op_sel:[0,1]
	s_delay_alu instid0(VALU_DEP_1) | instskip(SKIP_1) | instid1(VALU_DEP_1)
	v_pk_fma_f32 v[118:119], v[116:117], v[104:105], v[114:115] op_sel:[0,0,1] op_sel_hi:[1,1,0] neg_lo:[0,0,1] neg_hi:[0,0,1]
	v_pk_fma_f32 v[114:115], v[116:117], v[104:105], v[114:115] op_sel:[0,0,1] op_sel_hi:[1,0,0]
	v_mov_b32_e32 v119, v115
	ds_load_2addr_b64 v[114:117], v108 offset0:40 offset1:41
	v_pk_add_f32 v[24:25], v[24:25], v[120:121] neg_lo:[0,1] neg_hi:[0,1]
	v_pk_add_f32 v[20:21], v[20:21], v[118:119] neg_lo:[0,1] neg_hi:[0,1]
	s_wait_dscnt 0x0
	v_dual_mul_f32 v118, v115, v107 :: v_dual_mul_f32 v120, v115, v104
	s_delay_alu instid0(VALU_DEP_1) | instskip(NEXT) | instid1(VALU_DEP_2)
	v_pk_fma_f32 v[118:119], v[114:115], v[60:61], v[118:119] op_sel_hi:[1,1,0] neg_lo:[0,0,1] neg_hi:[0,0,1]
	v_pk_fma_f32 v[114:115], v[114:115], v[60:61], v[120:121] op_sel:[1,0,0] op_sel_hi:[0,1,0]
	s_delay_alu instid0(VALU_DEP_1) | instskip(SKIP_1) | instid1(VALU_DEP_2)
	v_mov_b32_e32 v119, v115
	v_pk_mul_f32 v[114:115], v[116:117], v[106:107] op_sel:[0,1]
	v_pk_add_f32 v[14:15], v[14:15], v[118:119] neg_lo:[0,1] neg_hi:[0,1]
	s_delay_alu instid0(VALU_DEP_2) | instskip(SKIP_1) | instid1(VALU_DEP_1)
	v_pk_fma_f32 v[118:119], v[116:117], v[104:105], v[114:115] op_sel:[0,0,1] op_sel_hi:[1,1,0] neg_lo:[0,0,1] neg_hi:[0,0,1]
	v_pk_fma_f32 v[114:115], v[116:117], v[104:105], v[114:115] op_sel:[0,0,1] op_sel_hi:[1,0,0]
	v_mov_b32_e32 v119, v115
	ds_load_2addr_b64 v[114:117], v108 offset0:42 offset1:43
	v_pk_add_f32 v[10:11], v[10:11], v[118:119] neg_lo:[0,1] neg_hi:[0,1]
	s_wait_dscnt 0x0
	v_pk_mul_f32 v[118:119], v[114:115], v[106:107] op_sel:[0,1]
	s_delay_alu instid0(VALU_DEP_1) | instskip(SKIP_1) | instid1(VALU_DEP_1)
	v_pk_fma_f32 v[120:121], v[114:115], v[104:105], v[118:119] op_sel:[0,0,1] op_sel_hi:[1,1,0] neg_lo:[0,0,1] neg_hi:[0,0,1]
	v_pk_fma_f32 v[114:115], v[114:115], v[104:105], v[118:119] op_sel:[0,0,1] op_sel_hi:[1,0,0]
	v_mov_b32_e32 v121, v115
	v_pk_mul_f32 v[114:115], v[116:117], v[106:107] op_sel:[0,1]
	s_delay_alu instid0(VALU_DEP_2) | instskip(NEXT) | instid1(VALU_DEP_2)
	v_pk_add_f32 v[12:13], v[12:13], v[120:121] neg_lo:[0,1] neg_hi:[0,1]
	v_pk_fma_f32 v[118:119], v[116:117], v[104:105], v[114:115] op_sel:[0,0,1] op_sel_hi:[1,1,0] neg_lo:[0,0,1] neg_hi:[0,0,1]
	v_pk_fma_f32 v[114:115], v[116:117], v[104:105], v[114:115] op_sel:[0,0,1] op_sel_hi:[1,0,0]
	s_delay_alu instid0(VALU_DEP_1) | instskip(SKIP_4) | instid1(VALU_DEP_1)
	v_mov_b32_e32 v119, v115
	ds_load_2addr_b64 v[114:117], v108 offset0:44 offset1:45
	v_pk_add_f32 v[8:9], v[8:9], v[118:119] neg_lo:[0,1] neg_hi:[0,1]
	s_wait_dscnt 0x0
	v_pk_mul_f32 v[118:119], v[114:115], v[106:107] op_sel:[0,1]
	v_pk_fma_f32 v[120:121], v[114:115], v[104:105], v[118:119] op_sel:[0,0,1] op_sel_hi:[1,1,0] neg_lo:[0,0,1] neg_hi:[0,0,1]
	v_pk_fma_f32 v[114:115], v[114:115], v[104:105], v[118:119] op_sel:[0,0,1] op_sel_hi:[1,0,0]
	v_dual_mul_f32 v118, v117, v107 :: v_dual_mov_b32 v114, v117
	s_delay_alu instid0(VALU_DEP_2) | instskip(NEXT) | instid1(VALU_DEP_2)
	v_dual_mov_b32 v121, v115 :: v_dual_mov_b32 v115, v116
	v_pk_fma_f32 v[118:119], v[116:117], v[60:61], v[118:119] op_sel_hi:[1,1,0] neg_lo:[0,0,1] neg_hi:[0,0,1]
	v_mul_f32_e32 v116, v117, v104
	s_delay_alu instid0(VALU_DEP_3) | instskip(NEXT) | instid1(VALU_DEP_2)
	v_pk_add_f32 v[6:7], v[6:7], v[120:121] neg_lo:[0,1] neg_hi:[0,1]
	v_pk_fma_f32 v[114:115], v[114:115], v[60:61], v[116:117] op_sel_hi:[1,1,0]
	s_delay_alu instid0(VALU_DEP_1) | instskip(SKIP_4) | instid1(VALU_DEP_1)
	v_mov_b32_e32 v119, v115
	ds_load_2addr_b64 v[114:117], v108 offset0:46 offset1:47
	v_pk_add_f32 v[28:29], v[28:29], v[118:119] neg_lo:[0,1] neg_hi:[0,1]
	s_wait_dscnt 0x0
	v_pk_mul_f32 v[118:119], v[114:115], v[106:107] op_sel:[0,1]
	v_pk_fma_f32 v[120:121], v[114:115], v[104:105], v[118:119] op_sel:[0,0,1] op_sel_hi:[1,1,0] neg_lo:[0,0,1] neg_hi:[0,0,1]
	v_pk_fma_f32 v[114:115], v[114:115], v[104:105], v[118:119] op_sel:[0,0,1] op_sel_hi:[1,0,0]
	s_delay_alu instid0(VALU_DEP_1) | instskip(SKIP_1) | instid1(VALU_DEP_1)
	v_mov_b32_e32 v121, v115
	v_pk_mul_f32 v[114:115], v[116:117], v[106:107] op_sel:[0,1]
	v_pk_fma_f32 v[118:119], v[116:117], v[104:105], v[114:115] op_sel:[0,0,1] op_sel_hi:[1,1,0] neg_lo:[0,0,1] neg_hi:[0,0,1]
	v_pk_fma_f32 v[114:115], v[116:117], v[104:105], v[114:115] op_sel:[0,0,1] op_sel_hi:[1,0,0]
	s_delay_alu instid0(VALU_DEP_1)
	v_mov_b32_e32 v119, v115
	ds_load_b64 v[114:115], v108 offset:384
	v_pk_add_f32 v[18:19], v[18:19], v[120:121] neg_lo:[0,1] neg_hi:[0,1]
	v_pk_add_f32 v[16:17], v[16:17], v[118:119] neg_lo:[0,1] neg_hi:[0,1]
	s_wait_dscnt 0x0
	v_pk_mul_f32 v[106:107], v[114:115], v[106:107] op_sel:[0,1]
	s_delay_alu instid0(VALU_DEP_1) | instskip(SKIP_1) | instid1(VALU_DEP_1)
	v_pk_fma_f32 v[116:117], v[114:115], v[104:105], v[106:107] op_sel:[0,0,1] op_sel_hi:[1,1,0] neg_lo:[0,0,1] neg_hi:[0,0,1]
	v_pk_fma_f32 v[104:105], v[114:115], v[104:105], v[106:107] op_sel:[0,0,1] op_sel_hi:[1,0,0]
	v_mov_b32_e32 v117, v105
	s_delay_alu instid0(VALU_DEP_1)
	v_pk_add_f32 v[102:103], v[102:103], v[116:117] neg_lo:[0,1] neg_hi:[0,1]
.LBB96_251:
	s_or_b32 exec_lo, exec_lo, s0
	v_lshl_add_u32 v104, v112, 3, v108
	s_barrier_signal -1
	s_barrier_wait -1
	ds_store_b64 v104, v[90:91]
	s_wait_dscnt 0x0
	s_barrier_signal -1
	s_barrier_wait -1
	ds_load_b64 v[106:107], v108 offset:96
	v_mov_b32_e32 v104, 12
	s_cmp_lt_i32 s18, 14
	s_cbranch_scc1 .LBB96_254
; %bb.252:
	v_add3_u32 v105, v109, 0, 0x68
	v_mov_b32_e32 v104, 12
	s_mov_b32 s0, 13
.LBB96_253:                             ; =>This Inner Loop Header: Depth=1
	ds_load_b64 v[114:115], v105
	s_wait_dscnt 0x1
	v_cmp_gt_f32_e32 vcc_lo, 0, v106
	v_cndmask_b32_e64 v116, v106, -v106, vcc_lo
	v_cmp_gt_f32_e32 vcc_lo, 0, v107
	v_cndmask_b32_e64 v118, v107, -v107, vcc_lo
	s_wait_dscnt 0x0
	v_cmp_gt_f32_e32 vcc_lo, 0, v114
	v_cndmask_b32_e64 v117, v114, -v114, vcc_lo
	v_cmp_gt_f32_e32 vcc_lo, 0, v115
	v_cndmask_b32_e64 v119, v115, -v115, vcc_lo
	s_delay_alu instid0(VALU_DEP_1) | instskip(NEXT) | instid1(VALU_DEP_1)
	v_pk_add_f32 v[116:117], v[116:117], v[118:119]
	v_cmp_lt_f32_e32 vcc_lo, v116, v117
	v_dual_add_nc_u32 v105, 8, v105 :: v_dual_cndmask_b32 v107, v107, v115, vcc_lo
	v_cndmask_b32_e32 v106, v106, v114, vcc_lo
	v_cndmask_b32_e64 v104, v104, s0, vcc_lo
	s_add_co_i32 s0, s0, 1
	s_delay_alu instid0(SALU_CYCLE_1)
	s_cmp_lg_u32 s18, s0
	s_cbranch_scc1 .LBB96_253
.LBB96_254:
	s_wait_dscnt 0x0
	v_cmp_eq_f32_e32 vcc_lo, 0, v106
	v_cmp_eq_f32_e64 s0, 0, v107
	s_and_b32 s0, vcc_lo, s0
	s_delay_alu instid0(SALU_CYCLE_1) | instskip(NEXT) | instid1(SALU_CYCLE_1)
	s_and_saveexec_b32 s1, s0
	s_xor_b32 s0, exec_lo, s1
; %bb.255:
	v_cmp_ne_u32_e32 vcc_lo, 0, v110
	v_cndmask_b32_e32 v110, 13, v110, vcc_lo
; %bb.256:
	s_and_not1_saveexec_b32 s0, s0
	s_cbranch_execz .LBB96_262
; %bb.257:
	v_cmp_ngt_f32_e64 s1, |v106|, |v107|
	s_and_saveexec_b32 s12, s1
	s_delay_alu instid0(SALU_CYCLE_1)
	s_xor_b32 s1, exec_lo, s12
	s_cbranch_execz .LBB96_259
; %bb.258:
	v_div_scale_f32 v105, null, v107, v107, v106
	v_div_scale_f32 v115, vcc_lo, v106, v107, v106
	s_delay_alu instid0(VALU_DEP_2) | instskip(SKIP_1) | instid1(TRANS32_DEP_1)
	v_rcp_f32_e32 v113, v105
	v_nop
	v_fma_f32 v114, -v105, v113, 1.0
	s_delay_alu instid0(VALU_DEP_1) | instskip(NEXT) | instid1(VALU_DEP_1)
	v_fmac_f32_e32 v113, v114, v113
	v_mul_f32_e32 v114, v115, v113
	s_delay_alu instid0(VALU_DEP_1) | instskip(NEXT) | instid1(VALU_DEP_1)
	v_fma_f32 v116, -v105, v114, v115
	v_fmac_f32_e32 v114, v116, v113
	s_delay_alu instid0(VALU_DEP_1) | instskip(NEXT) | instid1(VALU_DEP_1)
	v_fma_f32 v105, -v105, v114, v115
	v_div_fmas_f32 v105, v105, v113, v114
	s_delay_alu instid0(VALU_DEP_1) | instskip(NEXT) | instid1(VALU_DEP_1)
	v_div_fixup_f32 v105, v105, v107, v106
	v_fmac_f32_e32 v107, v106, v105
	s_delay_alu instid0(VALU_DEP_1) | instskip(SKIP_1) | instid1(VALU_DEP_2)
	v_div_scale_f32 v106, null, v107, v107, 1.0
	v_div_scale_f32 v115, vcc_lo, 1.0, v107, 1.0
	v_rcp_f32_e32 v113, v106
	v_nop
	s_delay_alu instid0(TRANS32_DEP_1) | instskip(NEXT) | instid1(VALU_DEP_1)
	v_fma_f32 v114, -v106, v113, 1.0
	v_fmac_f32_e32 v113, v114, v113
	s_delay_alu instid0(VALU_DEP_1) | instskip(NEXT) | instid1(VALU_DEP_1)
	v_mul_f32_e32 v114, v115, v113
	v_fma_f32 v116, -v106, v114, v115
	s_delay_alu instid0(VALU_DEP_1) | instskip(NEXT) | instid1(VALU_DEP_1)
	v_fmac_f32_e32 v114, v116, v113
	v_fma_f32 v106, -v106, v114, v115
	s_delay_alu instid0(VALU_DEP_1) | instskip(NEXT) | instid1(VALU_DEP_1)
	v_div_fmas_f32 v106, v106, v113, v114
	v_div_fixup_f32 v107, v106, v107, 1.0
	s_delay_alu instid0(VALU_DEP_1)
	v_mul_f32_e32 v106, v105, v107
	v_xor_b32_e32 v107, 0x80000000, v107
.LBB96_259:
	s_and_not1_saveexec_b32 s1, s1
	s_cbranch_execz .LBB96_261
; %bb.260:
	s_delay_alu instid0(VALU_DEP_1) | instskip(SKIP_1) | instid1(VALU_DEP_2)
	v_div_scale_f32 v105, null, v106, v106, v107
	v_div_scale_f32 v115, vcc_lo, v107, v106, v107
	v_rcp_f32_e32 v113, v105
	v_nop
	s_delay_alu instid0(TRANS32_DEP_1) | instskip(NEXT) | instid1(VALU_DEP_1)
	v_fma_f32 v114, -v105, v113, 1.0
	v_fmac_f32_e32 v113, v114, v113
	s_delay_alu instid0(VALU_DEP_1) | instskip(NEXT) | instid1(VALU_DEP_1)
	v_mul_f32_e32 v114, v115, v113
	v_fma_f32 v116, -v105, v114, v115
	s_delay_alu instid0(VALU_DEP_1) | instskip(NEXT) | instid1(VALU_DEP_1)
	v_fmac_f32_e32 v114, v116, v113
	v_fma_f32 v105, -v105, v114, v115
	s_delay_alu instid0(VALU_DEP_1) | instskip(NEXT) | instid1(VALU_DEP_1)
	v_div_fmas_f32 v105, v105, v113, v114
	v_div_fixup_f32 v105, v105, v106, v107
	s_delay_alu instid0(VALU_DEP_1) | instskip(NEXT) | instid1(VALU_DEP_1)
	v_fmac_f32_e32 v106, v107, v105
	v_div_scale_f32 v107, null, v106, v106, 1.0
	s_delay_alu instid0(VALU_DEP_1) | instskip(SKIP_1) | instid1(TRANS32_DEP_1)
	v_rcp_f32_e32 v113, v107
	v_nop
	v_fma_f32 v114, -v107, v113, 1.0
	s_delay_alu instid0(VALU_DEP_1) | instskip(SKIP_1) | instid1(VALU_DEP_1)
	v_fmac_f32_e32 v113, v114, v113
	v_div_scale_f32 v114, vcc_lo, 1.0, v106, 1.0
	v_mul_f32_e32 v115, v114, v113
	s_delay_alu instid0(VALU_DEP_1) | instskip(NEXT) | instid1(VALU_DEP_1)
	v_fma_f32 v116, -v107, v115, v114
	v_fmac_f32_e32 v115, v116, v113
	s_delay_alu instid0(VALU_DEP_1) | instskip(NEXT) | instid1(VALU_DEP_1)
	v_fma_f32 v107, -v107, v115, v114
	v_div_fmas_f32 v107, v107, v113, v115
	s_delay_alu instid0(VALU_DEP_1) | instskip(NEXT) | instid1(VALU_DEP_1)
	v_div_fixup_f32 v106, v107, v106, 1.0
	v_mul_f32_e64 v107, v105, -v106
.LBB96_261:
	s_or_b32 exec_lo, exec_lo, s1
.LBB96_262:
	s_delay_alu instid0(SALU_CYCLE_1) | instskip(NEXT) | instid1(SALU_CYCLE_1)
	s_or_b32 exec_lo, exec_lo, s0
	s_mov_b32 s0, exec_lo
	v_cmpx_ne_u32_e64 v112, v104
	s_xor_b32 s0, exec_lo, s0
	s_cbranch_execz .LBB96_268
; %bb.263:
	s_mov_b32 s1, exec_lo
	v_cmpx_eq_u32_e32 12, v112
	s_cbranch_execz .LBB96_267
; %bb.264:
	v_cmp_ne_u32_e32 vcc_lo, 12, v104
	s_xor_b32 s12, s16, -1
	s_delay_alu instid0(SALU_CYCLE_1) | instskip(NEXT) | instid1(SALU_CYCLE_1)
	s_and_b32 s13, s12, vcc_lo
	s_and_saveexec_b32 s12, s13
	s_cbranch_execz .LBB96_266
; %bb.265:
	v_ashrrev_i32_e32 v105, 31, v104
	s_delay_alu instid0(VALU_DEP_1)
	v_lshl_add_u64 v[112:113], v[104:105], 2, v[4:5]
	s_clause 0x1
	global_load_b32 v105, v[112:113], off
	global_load_b32 v111, v[4:5], off offset:48
	s_wait_loadcnt 0x1
	global_store_b32 v[4:5], v105, off offset:48
	s_wait_loadcnt 0x0
	global_store_b32 v[112:113], v111, off
.LBB96_266:
	s_wait_xcnt 0x0
	s_or_b32 exec_lo, exec_lo, s12
	v_dual_mov_b32 v112, v104 :: v_dual_mov_b32 v111, v104
.LBB96_267:
	s_or_b32 exec_lo, exec_lo, s1
.LBB96_268:
	s_and_not1_saveexec_b32 s0, s0
	s_cbranch_execz .LBB96_270
; %bb.269:
	v_mov_b32_e32 v112, 12
	ds_store_2addr_b64 v108, v[86:87], v[88:89] offset0:13 offset1:14
	ds_store_2addr_b64 v108, v[84:85], v[82:83] offset0:15 offset1:16
	;; [unrolled: 1-line block ×18, first 2 shown]
.LBB96_270:
	s_or_b32 exec_lo, exec_lo, s0
	s_delay_alu instid0(SALU_CYCLE_1)
	s_mov_b32 s0, exec_lo
	s_wait_storecnt_dscnt 0x0
	s_barrier_signal -1
	s_barrier_wait -1
	v_cmpx_lt_i32_e32 12, v112
	s_cbranch_execz .LBB96_272
; %bb.271:
	v_pk_mul_f32 v[114:115], v[106:107], v[90:91] op_sel:[1,1] op_sel_hi:[0,1]
	s_delay_alu instid0(VALU_DEP_1)
	v_pk_fma_f32 v[104:105], v[106:107], v[90:91], v[114:115] op_sel_hi:[1,0,1] neg_lo:[0,0,1] neg_hi:[0,0,1]
	v_pk_fma_f32 v[106:107], v[106:107], v[90:91], v[114:115] op_sel_hi:[1,0,1]
	ds_load_2addr_b64 v[114:117], v108 offset0:13 offset1:14
	v_dual_mov_b32 v90, v104 :: v_dual_mov_b32 v91, v107
	s_wait_dscnt 0x0
	v_pk_mul_f32 v[118:119], v[114:115], v[106:107] op_sel:[0,1]
	s_delay_alu instid0(VALU_DEP_1) | instskip(SKIP_1) | instid1(VALU_DEP_1)
	v_pk_fma_f32 v[120:121], v[114:115], v[104:105], v[118:119] op_sel:[0,0,1] op_sel_hi:[1,1,0] neg_lo:[0,0,1] neg_hi:[0,0,1]
	v_pk_fma_f32 v[114:115], v[114:115], v[104:105], v[118:119] op_sel:[0,0,1] op_sel_hi:[1,0,0]
	v_mov_b32_e32 v121, v115
	v_pk_mul_f32 v[114:115], v[116:117], v[106:107] op_sel:[0,1]
	s_delay_alu instid0(VALU_DEP_1) | instskip(SKIP_1) | instid1(VALU_DEP_1)
	v_pk_fma_f32 v[118:119], v[116:117], v[104:105], v[114:115] op_sel:[0,0,1] op_sel_hi:[1,1,0] neg_lo:[0,0,1] neg_hi:[0,0,1]
	v_pk_fma_f32 v[114:115], v[116:117], v[104:105], v[114:115] op_sel:[0,0,1] op_sel_hi:[1,0,0]
	v_mov_b32_e32 v119, v115
	ds_load_2addr_b64 v[114:117], v108 offset0:15 offset1:16
	v_pk_add_f32 v[86:87], v[86:87], v[120:121] neg_lo:[0,1] neg_hi:[0,1]
	v_pk_add_f32 v[88:89], v[88:89], v[118:119] neg_lo:[0,1] neg_hi:[0,1]
	s_wait_dscnt 0x0
	v_pk_mul_f32 v[118:119], v[114:115], v[106:107] op_sel:[0,1]
	s_delay_alu instid0(VALU_DEP_1) | instskip(SKIP_2) | instid1(VALU_DEP_2)
	v_pk_fma_f32 v[120:121], v[114:115], v[104:105], v[118:119] op_sel:[0,0,1] op_sel_hi:[1,1,0] neg_lo:[0,0,1] neg_hi:[0,0,1]
	v_pk_fma_f32 v[114:115], v[114:115], v[104:105], v[118:119] op_sel:[0,0,1] op_sel_hi:[1,0,0]
	v_dual_mul_f32 v118, v117, v107 :: v_dual_mov_b32 v114, v117
	v_dual_mov_b32 v121, v115 :: v_dual_mov_b32 v115, v116
	s_delay_alu instid0(VALU_DEP_2) | instskip(SKIP_1) | instid1(VALU_DEP_3)
	v_pk_fma_f32 v[118:119], v[116:117], v[90:91], v[118:119] op_sel_hi:[1,1,0] neg_lo:[0,0,1] neg_hi:[0,0,1]
	v_mul_f32_e32 v116, v117, v104
	v_pk_add_f32 v[84:85], v[84:85], v[120:121] neg_lo:[0,1] neg_hi:[0,1]
	s_delay_alu instid0(VALU_DEP_2) | instskip(NEXT) | instid1(VALU_DEP_1)
	v_pk_fma_f32 v[114:115], v[114:115], v[90:91], v[116:117] op_sel_hi:[1,1,0]
	v_mov_b32_e32 v119, v115
	ds_load_2addr_b64 v[114:117], v108 offset0:17 offset1:18
	v_pk_add_f32 v[82:83], v[82:83], v[118:119] neg_lo:[0,1] neg_hi:[0,1]
	s_wait_dscnt 0x0
	v_pk_mul_f32 v[118:119], v[114:115], v[106:107] op_sel:[0,1]
	s_delay_alu instid0(VALU_DEP_1) | instskip(SKIP_1) | instid1(VALU_DEP_1)
	v_pk_fma_f32 v[120:121], v[114:115], v[104:105], v[118:119] op_sel:[0,0,1] op_sel_hi:[1,1,0] neg_lo:[0,0,1] neg_hi:[0,0,1]
	v_pk_fma_f32 v[114:115], v[114:115], v[104:105], v[118:119] op_sel:[0,0,1] op_sel_hi:[1,0,0]
	v_mov_b32_e32 v121, v115
	v_pk_mul_f32 v[114:115], v[116:117], v[106:107] op_sel:[0,1]
	s_delay_alu instid0(VALU_DEP_1) | instskip(SKIP_1) | instid1(VALU_DEP_1)
	v_pk_fma_f32 v[118:119], v[116:117], v[104:105], v[114:115] op_sel:[0,0,1] op_sel_hi:[1,1,0] neg_lo:[0,0,1] neg_hi:[0,0,1]
	v_pk_fma_f32 v[114:115], v[116:117], v[104:105], v[114:115] op_sel:[0,0,1] op_sel_hi:[1,0,0]
	v_mov_b32_e32 v119, v115
	ds_load_2addr_b64 v[114:117], v108 offset0:19 offset1:20
	v_pk_add_f32 v[78:79], v[78:79], v[120:121] neg_lo:[0,1] neg_hi:[0,1]
	v_pk_add_f32 v[80:81], v[80:81], v[118:119] neg_lo:[0,1] neg_hi:[0,1]
	s_wait_dscnt 0x0
	v_pk_mul_f32 v[118:119], v[114:115], v[106:107] op_sel:[0,1]
	s_delay_alu instid0(VALU_DEP_1) | instskip(SKIP_1) | instid1(VALU_DEP_1)
	v_pk_fma_f32 v[120:121], v[114:115], v[104:105], v[118:119] op_sel:[0,0,1] op_sel_hi:[1,1,0] neg_lo:[0,0,1] neg_hi:[0,0,1]
	v_pk_fma_f32 v[114:115], v[114:115], v[104:105], v[118:119] op_sel:[0,0,1] op_sel_hi:[1,0,0]
	v_mov_b32_e32 v121, v115
	v_pk_mul_f32 v[114:115], v[116:117], v[106:107] op_sel:[0,1]
	s_delay_alu instid0(VALU_DEP_1) | instskip(SKIP_1) | instid1(VALU_DEP_1)
	v_pk_fma_f32 v[118:119], v[116:117], v[104:105], v[114:115] op_sel:[0,0,1] op_sel_hi:[1,1,0] neg_lo:[0,0,1] neg_hi:[0,0,1]
	v_pk_fma_f32 v[114:115], v[116:117], v[104:105], v[114:115] op_sel:[0,0,1] op_sel_hi:[1,0,0]
	v_mov_b32_e32 v119, v115
	ds_load_2addr_b64 v[114:117], v108 offset0:21 offset1:22
	v_pk_add_f32 v[76:77], v[76:77], v[120:121] neg_lo:[0,1] neg_hi:[0,1]
	v_pk_add_f32 v[74:75], v[74:75], v[118:119] neg_lo:[0,1] neg_hi:[0,1]
	s_wait_dscnt 0x0
	v_dual_mul_f32 v118, v115, v107 :: v_dual_mul_f32 v120, v115, v104
	s_delay_alu instid0(VALU_DEP_1) | instskip(NEXT) | instid1(VALU_DEP_2)
	v_pk_fma_f32 v[118:119], v[114:115], v[90:91], v[118:119] op_sel_hi:[1,1,0] neg_lo:[0,0,1] neg_hi:[0,0,1]
	v_pk_fma_f32 v[114:115], v[114:115], v[90:91], v[120:121] op_sel:[1,0,0] op_sel_hi:[0,1,0]
	s_delay_alu instid0(VALU_DEP_1) | instskip(SKIP_1) | instid1(VALU_DEP_2)
	v_mov_b32_e32 v119, v115
	v_pk_mul_f32 v[114:115], v[116:117], v[106:107] op_sel:[0,1]
	v_pk_add_f32 v[70:71], v[70:71], v[118:119] neg_lo:[0,1] neg_hi:[0,1]
	s_delay_alu instid0(VALU_DEP_2) | instskip(SKIP_1) | instid1(VALU_DEP_1)
	v_pk_fma_f32 v[118:119], v[116:117], v[104:105], v[114:115] op_sel:[0,0,1] op_sel_hi:[1,1,0] neg_lo:[0,0,1] neg_hi:[0,0,1]
	v_pk_fma_f32 v[114:115], v[116:117], v[104:105], v[114:115] op_sel:[0,0,1] op_sel_hi:[1,0,0]
	v_mov_b32_e32 v119, v115
	ds_load_2addr_b64 v[114:117], v108 offset0:23 offset1:24
	v_pk_add_f32 v[72:73], v[72:73], v[118:119] neg_lo:[0,1] neg_hi:[0,1]
	s_wait_dscnt 0x0
	v_pk_mul_f32 v[118:119], v[114:115], v[106:107] op_sel:[0,1]
	s_delay_alu instid0(VALU_DEP_1) | instskip(SKIP_1) | instid1(VALU_DEP_1)
	v_pk_fma_f32 v[120:121], v[114:115], v[104:105], v[118:119] op_sel:[0,0,1] op_sel_hi:[1,1,0] neg_lo:[0,0,1] neg_hi:[0,0,1]
	v_pk_fma_f32 v[114:115], v[114:115], v[104:105], v[118:119] op_sel:[0,0,1] op_sel_hi:[1,0,0]
	v_mov_b32_e32 v121, v115
	v_pk_mul_f32 v[114:115], v[116:117], v[106:107] op_sel:[0,1]
	s_delay_alu instid0(VALU_DEP_2) | instskip(NEXT) | instid1(VALU_DEP_2)
	v_pk_add_f32 v[68:69], v[68:69], v[120:121] neg_lo:[0,1] neg_hi:[0,1]
	v_pk_fma_f32 v[118:119], v[116:117], v[104:105], v[114:115] op_sel:[0,0,1] op_sel_hi:[1,1,0] neg_lo:[0,0,1] neg_hi:[0,0,1]
	v_pk_fma_f32 v[114:115], v[116:117], v[104:105], v[114:115] op_sel:[0,0,1] op_sel_hi:[1,0,0]
	s_delay_alu instid0(VALU_DEP_1) | instskip(SKIP_4) | instid1(VALU_DEP_1)
	v_mov_b32_e32 v119, v115
	ds_load_2addr_b64 v[114:117], v108 offset0:25 offset1:26
	v_pk_add_f32 v[56:57], v[56:57], v[118:119] neg_lo:[0,1] neg_hi:[0,1]
	s_wait_dscnt 0x0
	v_pk_mul_f32 v[118:119], v[114:115], v[106:107] op_sel:[0,1]
	v_pk_fma_f32 v[120:121], v[114:115], v[104:105], v[118:119] op_sel:[0,0,1] op_sel_hi:[1,1,0] neg_lo:[0,0,1] neg_hi:[0,0,1]
	v_pk_fma_f32 v[114:115], v[114:115], v[104:105], v[118:119] op_sel:[0,0,1] op_sel_hi:[1,0,0]
	v_dual_mul_f32 v118, v117, v107 :: v_dual_mov_b32 v114, v117
	s_delay_alu instid0(VALU_DEP_2) | instskip(NEXT) | instid1(VALU_DEP_2)
	v_dual_mov_b32 v121, v115 :: v_dual_mov_b32 v115, v116
	v_pk_fma_f32 v[118:119], v[116:117], v[90:91], v[118:119] op_sel_hi:[1,1,0] neg_lo:[0,0,1] neg_hi:[0,0,1]
	v_mul_f32_e32 v116, v117, v104
	s_delay_alu instid0(VALU_DEP_3) | instskip(NEXT) | instid1(VALU_DEP_2)
	v_pk_add_f32 v[48:49], v[48:49], v[120:121] neg_lo:[0,1] neg_hi:[0,1]
	v_pk_fma_f32 v[114:115], v[114:115], v[90:91], v[116:117] op_sel_hi:[1,1,0]
	s_delay_alu instid0(VALU_DEP_1) | instskip(SKIP_4) | instid1(VALU_DEP_1)
	v_mov_b32_e32 v119, v115
	ds_load_2addr_b64 v[114:117], v108 offset0:27 offset1:28
	v_pk_add_f32 v[54:55], v[54:55], v[118:119] neg_lo:[0,1] neg_hi:[0,1]
	s_wait_dscnt 0x0
	v_pk_mul_f32 v[118:119], v[114:115], v[106:107] op_sel:[0,1]
	v_pk_fma_f32 v[120:121], v[114:115], v[104:105], v[118:119] op_sel:[0,0,1] op_sel_hi:[1,1,0] neg_lo:[0,0,1] neg_hi:[0,0,1]
	v_pk_fma_f32 v[114:115], v[114:115], v[104:105], v[118:119] op_sel:[0,0,1] op_sel_hi:[1,0,0]
	s_delay_alu instid0(VALU_DEP_1) | instskip(SKIP_1) | instid1(VALU_DEP_1)
	v_mov_b32_e32 v121, v115
	v_pk_mul_f32 v[114:115], v[116:117], v[106:107] op_sel:[0,1]
	v_pk_fma_f32 v[118:119], v[116:117], v[104:105], v[114:115] op_sel:[0,0,1] op_sel_hi:[1,1,0] neg_lo:[0,0,1] neg_hi:[0,0,1]
	v_pk_fma_f32 v[114:115], v[116:117], v[104:105], v[114:115] op_sel:[0,0,1] op_sel_hi:[1,0,0]
	s_delay_alu instid0(VALU_DEP_1)
	v_mov_b32_e32 v119, v115
	ds_load_2addr_b64 v[114:117], v108 offset0:29 offset1:30
	v_pk_add_f32 v[46:47], v[46:47], v[120:121] neg_lo:[0,1] neg_hi:[0,1]
	v_pk_add_f32 v[44:45], v[44:45], v[118:119] neg_lo:[0,1] neg_hi:[0,1]
	s_wait_dscnt 0x0
	v_pk_mul_f32 v[118:119], v[114:115], v[106:107] op_sel:[0,1]
	s_delay_alu instid0(VALU_DEP_1) | instskip(SKIP_1) | instid1(VALU_DEP_1)
	v_pk_fma_f32 v[120:121], v[114:115], v[104:105], v[118:119] op_sel:[0,0,1] op_sel_hi:[1,1,0] neg_lo:[0,0,1] neg_hi:[0,0,1]
	v_pk_fma_f32 v[114:115], v[114:115], v[104:105], v[118:119] op_sel:[0,0,1] op_sel_hi:[1,0,0]
	v_mov_b32_e32 v121, v115
	v_pk_mul_f32 v[114:115], v[116:117], v[106:107] op_sel:[0,1]
	s_delay_alu instid0(VALU_DEP_1) | instskip(SKIP_1) | instid1(VALU_DEP_1)
	v_pk_fma_f32 v[118:119], v[116:117], v[104:105], v[114:115] op_sel:[0,0,1] op_sel_hi:[1,1,0] neg_lo:[0,0,1] neg_hi:[0,0,1]
	v_pk_fma_f32 v[114:115], v[116:117], v[104:105], v[114:115] op_sel:[0,0,1] op_sel_hi:[1,0,0]
	v_mov_b32_e32 v119, v115
	ds_load_2addr_b64 v[114:117], v108 offset0:31 offset1:32
	v_pk_add_f32 v[40:41], v[40:41], v[120:121] neg_lo:[0,1] neg_hi:[0,1]
	v_pk_add_f32 v[42:43], v[42:43], v[118:119] neg_lo:[0,1] neg_hi:[0,1]
	s_wait_dscnt 0x0
	v_dual_mul_f32 v118, v115, v107 :: v_dual_mul_f32 v120, v115, v104
	s_delay_alu instid0(VALU_DEP_1) | instskip(NEXT) | instid1(VALU_DEP_2)
	v_pk_fma_f32 v[118:119], v[114:115], v[90:91], v[118:119] op_sel_hi:[1,1,0] neg_lo:[0,0,1] neg_hi:[0,0,1]
	v_pk_fma_f32 v[114:115], v[114:115], v[90:91], v[120:121] op_sel:[1,0,0] op_sel_hi:[0,1,0]
	s_delay_alu instid0(VALU_DEP_1) | instskip(SKIP_1) | instid1(VALU_DEP_2)
	v_mov_b32_e32 v119, v115
	v_pk_mul_f32 v[114:115], v[116:117], v[106:107] op_sel:[0,1]
	v_pk_add_f32 v[38:39], v[38:39], v[118:119] neg_lo:[0,1] neg_hi:[0,1]
	s_delay_alu instid0(VALU_DEP_2) | instskip(SKIP_1) | instid1(VALU_DEP_1)
	v_pk_fma_f32 v[118:119], v[116:117], v[104:105], v[114:115] op_sel:[0,0,1] op_sel_hi:[1,1,0] neg_lo:[0,0,1] neg_hi:[0,0,1]
	v_pk_fma_f32 v[114:115], v[116:117], v[104:105], v[114:115] op_sel:[0,0,1] op_sel_hi:[1,0,0]
	v_mov_b32_e32 v119, v115
	ds_load_2addr_b64 v[114:117], v108 offset0:33 offset1:34
	v_pk_add_f32 v[36:37], v[36:37], v[118:119] neg_lo:[0,1] neg_hi:[0,1]
	s_wait_dscnt 0x0
	v_pk_mul_f32 v[118:119], v[114:115], v[106:107] op_sel:[0,1]
	s_delay_alu instid0(VALU_DEP_1) | instskip(SKIP_1) | instid1(VALU_DEP_1)
	v_pk_fma_f32 v[120:121], v[114:115], v[104:105], v[118:119] op_sel:[0,0,1] op_sel_hi:[1,1,0] neg_lo:[0,0,1] neg_hi:[0,0,1]
	v_pk_fma_f32 v[114:115], v[114:115], v[104:105], v[118:119] op_sel:[0,0,1] op_sel_hi:[1,0,0]
	v_mov_b32_e32 v121, v115
	v_pk_mul_f32 v[114:115], v[116:117], v[106:107] op_sel:[0,1]
	s_delay_alu instid0(VALU_DEP_2) | instskip(NEXT) | instid1(VALU_DEP_2)
	v_pk_add_f32 v[32:33], v[32:33], v[120:121] neg_lo:[0,1] neg_hi:[0,1]
	v_pk_fma_f32 v[118:119], v[116:117], v[104:105], v[114:115] op_sel:[0,0,1] op_sel_hi:[1,1,0] neg_lo:[0,0,1] neg_hi:[0,0,1]
	v_pk_fma_f32 v[114:115], v[116:117], v[104:105], v[114:115] op_sel:[0,0,1] op_sel_hi:[1,0,0]
	s_delay_alu instid0(VALU_DEP_1) | instskip(SKIP_4) | instid1(VALU_DEP_1)
	v_mov_b32_e32 v119, v115
	ds_load_2addr_b64 v[114:117], v108 offset0:35 offset1:36
	v_pk_add_f32 v[34:35], v[34:35], v[118:119] neg_lo:[0,1] neg_hi:[0,1]
	s_wait_dscnt 0x0
	v_pk_mul_f32 v[118:119], v[114:115], v[106:107] op_sel:[0,1]
	v_pk_fma_f32 v[120:121], v[114:115], v[104:105], v[118:119] op_sel:[0,0,1] op_sel_hi:[1,1,0] neg_lo:[0,0,1] neg_hi:[0,0,1]
	v_pk_fma_f32 v[114:115], v[114:115], v[104:105], v[118:119] op_sel:[0,0,1] op_sel_hi:[1,0,0]
	v_dual_mul_f32 v118, v117, v107 :: v_dual_mov_b32 v114, v117
	s_delay_alu instid0(VALU_DEP_2) | instskip(NEXT) | instid1(VALU_DEP_2)
	v_dual_mov_b32 v121, v115 :: v_dual_mov_b32 v115, v116
	v_pk_fma_f32 v[118:119], v[116:117], v[90:91], v[118:119] op_sel_hi:[1,1,0] neg_lo:[0,0,1] neg_hi:[0,0,1]
	v_mul_f32_e32 v116, v117, v104
	s_delay_alu instid0(VALU_DEP_3) | instskip(NEXT) | instid1(VALU_DEP_2)
	v_pk_add_f32 v[30:31], v[30:31], v[120:121] neg_lo:[0,1] neg_hi:[0,1]
	v_pk_fma_f32 v[114:115], v[114:115], v[90:91], v[116:117] op_sel_hi:[1,1,0]
	s_delay_alu instid0(VALU_DEP_1) | instskip(SKIP_4) | instid1(VALU_DEP_1)
	v_mov_b32_e32 v119, v115
	ds_load_2addr_b64 v[114:117], v108 offset0:37 offset1:38
	v_pk_add_f32 v[26:27], v[26:27], v[118:119] neg_lo:[0,1] neg_hi:[0,1]
	s_wait_dscnt 0x0
	v_pk_mul_f32 v[118:119], v[114:115], v[106:107] op_sel:[0,1]
	v_pk_fma_f32 v[120:121], v[114:115], v[104:105], v[118:119] op_sel:[0,0,1] op_sel_hi:[1,1,0] neg_lo:[0,0,1] neg_hi:[0,0,1]
	v_pk_fma_f32 v[114:115], v[114:115], v[104:105], v[118:119] op_sel:[0,0,1] op_sel_hi:[1,0,0]
	s_delay_alu instid0(VALU_DEP_1) | instskip(SKIP_1) | instid1(VALU_DEP_1)
	v_mov_b32_e32 v121, v115
	v_pk_mul_f32 v[114:115], v[116:117], v[106:107] op_sel:[0,1]
	v_pk_fma_f32 v[118:119], v[116:117], v[104:105], v[114:115] op_sel:[0,0,1] op_sel_hi:[1,1,0] neg_lo:[0,0,1] neg_hi:[0,0,1]
	v_pk_fma_f32 v[114:115], v[116:117], v[104:105], v[114:115] op_sel:[0,0,1] op_sel_hi:[1,0,0]
	s_delay_alu instid0(VALU_DEP_1)
	v_mov_b32_e32 v119, v115
	ds_load_2addr_b64 v[114:117], v108 offset0:39 offset1:40
	v_pk_add_f32 v[22:23], v[22:23], v[120:121] neg_lo:[0,1] neg_hi:[0,1]
	v_pk_add_f32 v[24:25], v[24:25], v[118:119] neg_lo:[0,1] neg_hi:[0,1]
	s_wait_dscnt 0x0
	v_pk_mul_f32 v[118:119], v[114:115], v[106:107] op_sel:[0,1]
	s_delay_alu instid0(VALU_DEP_1) | instskip(SKIP_1) | instid1(VALU_DEP_1)
	v_pk_fma_f32 v[120:121], v[114:115], v[104:105], v[118:119] op_sel:[0,0,1] op_sel_hi:[1,1,0] neg_lo:[0,0,1] neg_hi:[0,0,1]
	v_pk_fma_f32 v[114:115], v[114:115], v[104:105], v[118:119] op_sel:[0,0,1] op_sel_hi:[1,0,0]
	v_mov_b32_e32 v121, v115
	v_pk_mul_f32 v[114:115], v[116:117], v[106:107] op_sel:[0,1]
	s_delay_alu instid0(VALU_DEP_1) | instskip(SKIP_1) | instid1(VALU_DEP_1)
	v_pk_fma_f32 v[118:119], v[116:117], v[104:105], v[114:115] op_sel:[0,0,1] op_sel_hi:[1,1,0] neg_lo:[0,0,1] neg_hi:[0,0,1]
	v_pk_fma_f32 v[114:115], v[116:117], v[104:105], v[114:115] op_sel:[0,0,1] op_sel_hi:[1,0,0]
	v_mov_b32_e32 v119, v115
	ds_load_2addr_b64 v[114:117], v108 offset0:41 offset1:42
	v_pk_add_f32 v[20:21], v[20:21], v[120:121] neg_lo:[0,1] neg_hi:[0,1]
	v_pk_add_f32 v[14:15], v[14:15], v[118:119] neg_lo:[0,1] neg_hi:[0,1]
	s_wait_dscnt 0x0
	v_dual_mul_f32 v118, v115, v107 :: v_dual_mul_f32 v120, v115, v104
	s_delay_alu instid0(VALU_DEP_1) | instskip(NEXT) | instid1(VALU_DEP_2)
	v_pk_fma_f32 v[118:119], v[114:115], v[90:91], v[118:119] op_sel_hi:[1,1,0] neg_lo:[0,0,1] neg_hi:[0,0,1]
	v_pk_fma_f32 v[114:115], v[114:115], v[90:91], v[120:121] op_sel:[1,0,0] op_sel_hi:[0,1,0]
	s_delay_alu instid0(VALU_DEP_1) | instskip(SKIP_1) | instid1(VALU_DEP_2)
	v_mov_b32_e32 v119, v115
	v_pk_mul_f32 v[114:115], v[116:117], v[106:107] op_sel:[0,1]
	v_pk_add_f32 v[10:11], v[10:11], v[118:119] neg_lo:[0,1] neg_hi:[0,1]
	s_delay_alu instid0(VALU_DEP_2) | instskip(SKIP_1) | instid1(VALU_DEP_1)
	v_pk_fma_f32 v[118:119], v[116:117], v[104:105], v[114:115] op_sel:[0,0,1] op_sel_hi:[1,1,0] neg_lo:[0,0,1] neg_hi:[0,0,1]
	v_pk_fma_f32 v[114:115], v[116:117], v[104:105], v[114:115] op_sel:[0,0,1] op_sel_hi:[1,0,0]
	v_mov_b32_e32 v119, v115
	ds_load_2addr_b64 v[114:117], v108 offset0:43 offset1:44
	v_pk_add_f32 v[12:13], v[12:13], v[118:119] neg_lo:[0,1] neg_hi:[0,1]
	s_wait_dscnt 0x0
	v_pk_mul_f32 v[118:119], v[114:115], v[106:107] op_sel:[0,1]
	s_delay_alu instid0(VALU_DEP_1) | instskip(SKIP_1) | instid1(VALU_DEP_1)
	v_pk_fma_f32 v[120:121], v[114:115], v[104:105], v[118:119] op_sel:[0,0,1] op_sel_hi:[1,1,0] neg_lo:[0,0,1] neg_hi:[0,0,1]
	v_pk_fma_f32 v[114:115], v[114:115], v[104:105], v[118:119] op_sel:[0,0,1] op_sel_hi:[1,0,0]
	v_mov_b32_e32 v121, v115
	v_pk_mul_f32 v[114:115], v[116:117], v[106:107] op_sel:[0,1]
	s_delay_alu instid0(VALU_DEP_2) | instskip(NEXT) | instid1(VALU_DEP_2)
	v_pk_add_f32 v[8:9], v[8:9], v[120:121] neg_lo:[0,1] neg_hi:[0,1]
	v_pk_fma_f32 v[118:119], v[116:117], v[104:105], v[114:115] op_sel:[0,0,1] op_sel_hi:[1,1,0] neg_lo:[0,0,1] neg_hi:[0,0,1]
	v_pk_fma_f32 v[114:115], v[116:117], v[104:105], v[114:115] op_sel:[0,0,1] op_sel_hi:[1,0,0]
	s_delay_alu instid0(VALU_DEP_1) | instskip(SKIP_4) | instid1(VALU_DEP_1)
	v_mov_b32_e32 v119, v115
	ds_load_2addr_b64 v[114:117], v108 offset0:45 offset1:46
	v_pk_add_f32 v[6:7], v[6:7], v[118:119] neg_lo:[0,1] neg_hi:[0,1]
	s_wait_dscnt 0x0
	v_pk_mul_f32 v[118:119], v[114:115], v[106:107] op_sel:[0,1]
	v_pk_fma_f32 v[120:121], v[114:115], v[104:105], v[118:119] op_sel:[0,0,1] op_sel_hi:[1,1,0] neg_lo:[0,0,1] neg_hi:[0,0,1]
	v_pk_fma_f32 v[114:115], v[114:115], v[104:105], v[118:119] op_sel:[0,0,1] op_sel_hi:[1,0,0]
	v_dual_mul_f32 v118, v117, v107 :: v_dual_mov_b32 v114, v117
	s_delay_alu instid0(VALU_DEP_2) | instskip(NEXT) | instid1(VALU_DEP_2)
	v_dual_mov_b32 v121, v115 :: v_dual_mov_b32 v115, v116
	v_pk_fma_f32 v[118:119], v[116:117], v[90:91], v[118:119] op_sel_hi:[1,1,0] neg_lo:[0,0,1] neg_hi:[0,0,1]
	v_mul_f32_e32 v116, v117, v104
	s_delay_alu instid0(VALU_DEP_3) | instskip(NEXT) | instid1(VALU_DEP_2)
	v_pk_add_f32 v[28:29], v[28:29], v[120:121] neg_lo:[0,1] neg_hi:[0,1]
	v_pk_fma_f32 v[114:115], v[114:115], v[90:91], v[116:117] op_sel_hi:[1,1,0]
	s_delay_alu instid0(VALU_DEP_1)
	v_mov_b32_e32 v119, v115
	ds_load_2addr_b64 v[114:117], v108 offset0:47 offset1:48
	v_pk_add_f32 v[18:19], v[18:19], v[118:119] neg_lo:[0,1] neg_hi:[0,1]
	s_wait_dscnt 0x0
	v_pk_mul_f32 v[118:119], v[114:115], v[106:107] op_sel:[0,1]
	v_mul_f32_e32 v106, v117, v107
	s_delay_alu instid0(VALU_DEP_2) | instskip(SKIP_2) | instid1(VALU_DEP_4)
	v_pk_fma_f32 v[120:121], v[114:115], v[104:105], v[118:119] op_sel:[0,0,1] op_sel_hi:[1,1,0] neg_lo:[0,0,1] neg_hi:[0,0,1]
	v_pk_fma_f32 v[114:115], v[114:115], v[104:105], v[118:119] op_sel:[0,0,1] op_sel_hi:[1,0,0]
	v_dual_mov_b32 v114, v117 :: v_dual_mul_f32 v104, v117, v104
	v_pk_fma_f32 v[106:107], v[116:117], v[90:91], v[106:107] op_sel_hi:[1,1,0] neg_lo:[0,0,1] neg_hi:[0,0,1]
	s_delay_alu instid0(VALU_DEP_3) | instskip(NEXT) | instid1(VALU_DEP_1)
	v_dual_mov_b32 v121, v115 :: v_dual_mov_b32 v115, v116
	v_pk_add_f32 v[16:17], v[16:17], v[120:121] neg_lo:[0,1] neg_hi:[0,1]
	s_delay_alu instid0(VALU_DEP_2) | instskip(NEXT) | instid1(VALU_DEP_1)
	v_pk_fma_f32 v[104:105], v[114:115], v[90:91], v[104:105] op_sel_hi:[1,1,0]
	v_mov_b32_e32 v107, v105
	s_delay_alu instid0(VALU_DEP_1)
	v_pk_add_f32 v[102:103], v[102:103], v[106:107] neg_lo:[0,1] neg_hi:[0,1]
.LBB96_272:
	s_or_b32 exec_lo, exec_lo, s0
	v_lshl_add_u32 v104, v112, 3, v108
	s_barrier_signal -1
	s_barrier_wait -1
	ds_store_b64 v104, v[86:87]
	s_wait_dscnt 0x0
	s_barrier_signal -1
	s_barrier_wait -1
	ds_load_b64 v[106:107], v108 offset:104
	v_mov_b32_e32 v104, 13
	s_cmp_lt_i32 s18, 15
	s_cbranch_scc1 .LBB96_275
; %bb.273:
	v_add3_u32 v105, v109, 0, 0x70
	v_mov_b32_e32 v104, 13
	s_mov_b32 s0, 14
.LBB96_274:                             ; =>This Inner Loop Header: Depth=1
	ds_load_b64 v[114:115], v105
	s_wait_dscnt 0x1
	v_cmp_gt_f32_e32 vcc_lo, 0, v106
	v_cndmask_b32_e64 v116, v106, -v106, vcc_lo
	v_cmp_gt_f32_e32 vcc_lo, 0, v107
	v_cndmask_b32_e64 v118, v107, -v107, vcc_lo
	s_wait_dscnt 0x0
	v_cmp_gt_f32_e32 vcc_lo, 0, v114
	v_cndmask_b32_e64 v117, v114, -v114, vcc_lo
	v_cmp_gt_f32_e32 vcc_lo, 0, v115
	v_cndmask_b32_e64 v119, v115, -v115, vcc_lo
	s_delay_alu instid0(VALU_DEP_1) | instskip(NEXT) | instid1(VALU_DEP_1)
	v_pk_add_f32 v[116:117], v[116:117], v[118:119]
	v_cmp_lt_f32_e32 vcc_lo, v116, v117
	v_dual_add_nc_u32 v105, 8, v105 :: v_dual_cndmask_b32 v107, v107, v115, vcc_lo
	v_cndmask_b32_e32 v106, v106, v114, vcc_lo
	v_cndmask_b32_e64 v104, v104, s0, vcc_lo
	s_add_co_i32 s0, s0, 1
	s_delay_alu instid0(SALU_CYCLE_1)
	s_cmp_lg_u32 s18, s0
	s_cbranch_scc1 .LBB96_274
.LBB96_275:
	s_wait_dscnt 0x0
	v_cmp_eq_f32_e32 vcc_lo, 0, v106
	v_cmp_eq_f32_e64 s0, 0, v107
	s_and_b32 s0, vcc_lo, s0
	s_delay_alu instid0(SALU_CYCLE_1) | instskip(NEXT) | instid1(SALU_CYCLE_1)
	s_and_saveexec_b32 s1, s0
	s_xor_b32 s0, exec_lo, s1
; %bb.276:
	v_cmp_ne_u32_e32 vcc_lo, 0, v110
	v_cndmask_b32_e32 v110, 14, v110, vcc_lo
; %bb.277:
	s_and_not1_saveexec_b32 s0, s0
	s_cbranch_execz .LBB96_283
; %bb.278:
	v_cmp_ngt_f32_e64 s1, |v106|, |v107|
	s_and_saveexec_b32 s12, s1
	s_delay_alu instid0(SALU_CYCLE_1)
	s_xor_b32 s1, exec_lo, s12
	s_cbranch_execz .LBB96_280
; %bb.279:
	v_div_scale_f32 v105, null, v107, v107, v106
	v_div_scale_f32 v115, vcc_lo, v106, v107, v106
	s_delay_alu instid0(VALU_DEP_2) | instskip(SKIP_1) | instid1(TRANS32_DEP_1)
	v_rcp_f32_e32 v113, v105
	v_nop
	v_fma_f32 v114, -v105, v113, 1.0
	s_delay_alu instid0(VALU_DEP_1) | instskip(NEXT) | instid1(VALU_DEP_1)
	v_fmac_f32_e32 v113, v114, v113
	v_mul_f32_e32 v114, v115, v113
	s_delay_alu instid0(VALU_DEP_1) | instskip(NEXT) | instid1(VALU_DEP_1)
	v_fma_f32 v116, -v105, v114, v115
	v_fmac_f32_e32 v114, v116, v113
	s_delay_alu instid0(VALU_DEP_1) | instskip(NEXT) | instid1(VALU_DEP_1)
	v_fma_f32 v105, -v105, v114, v115
	v_div_fmas_f32 v105, v105, v113, v114
	s_delay_alu instid0(VALU_DEP_1) | instskip(NEXT) | instid1(VALU_DEP_1)
	v_div_fixup_f32 v105, v105, v107, v106
	v_fmac_f32_e32 v107, v106, v105
	s_delay_alu instid0(VALU_DEP_1) | instskip(SKIP_1) | instid1(VALU_DEP_2)
	v_div_scale_f32 v106, null, v107, v107, 1.0
	v_div_scale_f32 v115, vcc_lo, 1.0, v107, 1.0
	v_rcp_f32_e32 v113, v106
	v_nop
	s_delay_alu instid0(TRANS32_DEP_1) | instskip(NEXT) | instid1(VALU_DEP_1)
	v_fma_f32 v114, -v106, v113, 1.0
	v_fmac_f32_e32 v113, v114, v113
	s_delay_alu instid0(VALU_DEP_1) | instskip(NEXT) | instid1(VALU_DEP_1)
	v_mul_f32_e32 v114, v115, v113
	v_fma_f32 v116, -v106, v114, v115
	s_delay_alu instid0(VALU_DEP_1) | instskip(NEXT) | instid1(VALU_DEP_1)
	v_fmac_f32_e32 v114, v116, v113
	v_fma_f32 v106, -v106, v114, v115
	s_delay_alu instid0(VALU_DEP_1) | instskip(NEXT) | instid1(VALU_DEP_1)
	v_div_fmas_f32 v106, v106, v113, v114
	v_div_fixup_f32 v107, v106, v107, 1.0
	s_delay_alu instid0(VALU_DEP_1)
	v_mul_f32_e32 v106, v105, v107
	v_xor_b32_e32 v107, 0x80000000, v107
.LBB96_280:
	s_and_not1_saveexec_b32 s1, s1
	s_cbranch_execz .LBB96_282
; %bb.281:
	s_delay_alu instid0(VALU_DEP_1) | instskip(SKIP_1) | instid1(VALU_DEP_2)
	v_div_scale_f32 v105, null, v106, v106, v107
	v_div_scale_f32 v115, vcc_lo, v107, v106, v107
	v_rcp_f32_e32 v113, v105
	v_nop
	s_delay_alu instid0(TRANS32_DEP_1) | instskip(NEXT) | instid1(VALU_DEP_1)
	v_fma_f32 v114, -v105, v113, 1.0
	v_fmac_f32_e32 v113, v114, v113
	s_delay_alu instid0(VALU_DEP_1) | instskip(NEXT) | instid1(VALU_DEP_1)
	v_mul_f32_e32 v114, v115, v113
	v_fma_f32 v116, -v105, v114, v115
	s_delay_alu instid0(VALU_DEP_1) | instskip(NEXT) | instid1(VALU_DEP_1)
	v_fmac_f32_e32 v114, v116, v113
	v_fma_f32 v105, -v105, v114, v115
	s_delay_alu instid0(VALU_DEP_1) | instskip(NEXT) | instid1(VALU_DEP_1)
	v_div_fmas_f32 v105, v105, v113, v114
	v_div_fixup_f32 v105, v105, v106, v107
	s_delay_alu instid0(VALU_DEP_1) | instskip(NEXT) | instid1(VALU_DEP_1)
	v_fmac_f32_e32 v106, v107, v105
	v_div_scale_f32 v107, null, v106, v106, 1.0
	s_delay_alu instid0(VALU_DEP_1) | instskip(SKIP_1) | instid1(TRANS32_DEP_1)
	v_rcp_f32_e32 v113, v107
	v_nop
	v_fma_f32 v114, -v107, v113, 1.0
	s_delay_alu instid0(VALU_DEP_1) | instskip(SKIP_1) | instid1(VALU_DEP_1)
	v_fmac_f32_e32 v113, v114, v113
	v_div_scale_f32 v114, vcc_lo, 1.0, v106, 1.0
	v_mul_f32_e32 v115, v114, v113
	s_delay_alu instid0(VALU_DEP_1) | instskip(NEXT) | instid1(VALU_DEP_1)
	v_fma_f32 v116, -v107, v115, v114
	v_fmac_f32_e32 v115, v116, v113
	s_delay_alu instid0(VALU_DEP_1) | instskip(NEXT) | instid1(VALU_DEP_1)
	v_fma_f32 v107, -v107, v115, v114
	v_div_fmas_f32 v107, v107, v113, v115
	s_delay_alu instid0(VALU_DEP_1) | instskip(NEXT) | instid1(VALU_DEP_1)
	v_div_fixup_f32 v106, v107, v106, 1.0
	v_mul_f32_e64 v107, v105, -v106
.LBB96_282:
	s_or_b32 exec_lo, exec_lo, s1
.LBB96_283:
	s_delay_alu instid0(SALU_CYCLE_1) | instskip(NEXT) | instid1(SALU_CYCLE_1)
	s_or_b32 exec_lo, exec_lo, s0
	s_mov_b32 s0, exec_lo
	v_cmpx_ne_u32_e64 v112, v104
	s_xor_b32 s0, exec_lo, s0
	s_cbranch_execz .LBB96_289
; %bb.284:
	s_mov_b32 s1, exec_lo
	v_cmpx_eq_u32_e32 13, v112
	s_cbranch_execz .LBB96_288
; %bb.285:
	v_cmp_ne_u32_e32 vcc_lo, 13, v104
	s_xor_b32 s12, s16, -1
	s_delay_alu instid0(SALU_CYCLE_1) | instskip(NEXT) | instid1(SALU_CYCLE_1)
	s_and_b32 s13, s12, vcc_lo
	s_and_saveexec_b32 s12, s13
	s_cbranch_execz .LBB96_287
; %bb.286:
	v_ashrrev_i32_e32 v105, 31, v104
	s_delay_alu instid0(VALU_DEP_1)
	v_lshl_add_u64 v[112:113], v[104:105], 2, v[4:5]
	s_clause 0x1
	global_load_b32 v105, v[112:113], off
	global_load_b32 v111, v[4:5], off offset:52
	s_wait_loadcnt 0x1
	global_store_b32 v[4:5], v105, off offset:52
	s_wait_loadcnt 0x0
	global_store_b32 v[112:113], v111, off
.LBB96_287:
	s_wait_xcnt 0x0
	s_or_b32 exec_lo, exec_lo, s12
	v_dual_mov_b32 v112, v104 :: v_dual_mov_b32 v111, v104
.LBB96_288:
	s_or_b32 exec_lo, exec_lo, s1
.LBB96_289:
	s_and_not1_saveexec_b32 s0, s0
	s_cbranch_execz .LBB96_291
; %bb.290:
	v_dual_mov_b32 v104, v88 :: v_dual_mov_b32 v105, v89
	v_dual_mov_b32 v112, v84 :: v_dual_mov_b32 v113, v85
	ds_store_2addr_b64 v108, v[104:105], v[112:113] offset0:14 offset1:15
	v_dual_mov_b32 v104, v82 :: v_dual_mov_b32 v105, v83
	v_dual_mov_b32 v112, v78 :: v_dual_mov_b32 v113, v79
	ds_store_2addr_b64 v108, v[104:105], v[112:113] offset0:16 offset1:17
	;; [unrolled: 3-line block ×17, first 2 shown]
	ds_store_b64 v108, v[102:103] offset:384
	v_mov_b32_e32 v112, 13
.LBB96_291:
	s_or_b32 exec_lo, exec_lo, s0
	s_delay_alu instid0(SALU_CYCLE_1)
	s_mov_b32 s0, exec_lo
	s_wait_storecnt_dscnt 0x0
	s_barrier_signal -1
	s_barrier_wait -1
	v_cmpx_lt_i32_e32 13, v112
	s_cbranch_execz .LBB96_293
; %bb.292:
	v_pk_mul_f32 v[114:115], v[106:107], v[86:87] op_sel:[1,1] op_sel_hi:[0,1]
	s_delay_alu instid0(VALU_DEP_1)
	v_pk_fma_f32 v[104:105], v[106:107], v[86:87], v[114:115] op_sel_hi:[1,0,1] neg_lo:[0,0,1] neg_hi:[0,0,1]
	v_pk_fma_f32 v[106:107], v[106:107], v[86:87], v[114:115] op_sel_hi:[1,0,1]
	ds_load_2addr_b64 v[114:117], v108 offset0:14 offset1:15
	v_dual_mov_b32 v86, v104 :: v_dual_mov_b32 v87, v107
	s_wait_dscnt 0x0
	v_pk_mul_f32 v[118:119], v[114:115], v[106:107] op_sel:[0,1]
	s_delay_alu instid0(VALU_DEP_1) | instskip(SKIP_1) | instid1(VALU_DEP_1)
	v_pk_fma_f32 v[120:121], v[114:115], v[104:105], v[118:119] op_sel:[0,0,1] op_sel_hi:[1,1,0] neg_lo:[0,0,1] neg_hi:[0,0,1]
	v_pk_fma_f32 v[114:115], v[114:115], v[104:105], v[118:119] op_sel:[0,0,1] op_sel_hi:[1,0,0]
	v_mov_b32_e32 v121, v115
	v_pk_mul_f32 v[114:115], v[116:117], v[106:107] op_sel:[0,1]
	s_delay_alu instid0(VALU_DEP_1) | instskip(SKIP_1) | instid1(VALU_DEP_1)
	v_pk_fma_f32 v[118:119], v[116:117], v[104:105], v[114:115] op_sel:[0,0,1] op_sel_hi:[1,1,0] neg_lo:[0,0,1] neg_hi:[0,0,1]
	v_pk_fma_f32 v[114:115], v[116:117], v[104:105], v[114:115] op_sel:[0,0,1] op_sel_hi:[1,0,0]
	v_mov_b32_e32 v119, v115
	ds_load_2addr_b64 v[114:117], v108 offset0:16 offset1:17
	v_pk_add_f32 v[88:89], v[88:89], v[120:121] neg_lo:[0,1] neg_hi:[0,1]
	v_pk_add_f32 v[84:85], v[84:85], v[118:119] neg_lo:[0,1] neg_hi:[0,1]
	s_wait_dscnt 0x0
	v_pk_mul_f32 v[118:119], v[114:115], v[106:107] op_sel:[0,1]
	s_delay_alu instid0(VALU_DEP_1) | instskip(SKIP_2) | instid1(VALU_DEP_2)
	v_pk_fma_f32 v[120:121], v[114:115], v[104:105], v[118:119] op_sel:[0,0,1] op_sel_hi:[1,1,0] neg_lo:[0,0,1] neg_hi:[0,0,1]
	v_pk_fma_f32 v[114:115], v[114:115], v[104:105], v[118:119] op_sel:[0,0,1] op_sel_hi:[1,0,0]
	v_dual_mul_f32 v118, v117, v107 :: v_dual_mov_b32 v114, v117
	v_dual_mov_b32 v121, v115 :: v_dual_mov_b32 v115, v116
	s_delay_alu instid0(VALU_DEP_2) | instskip(SKIP_1) | instid1(VALU_DEP_3)
	v_pk_fma_f32 v[118:119], v[116:117], v[86:87], v[118:119] op_sel_hi:[1,1,0] neg_lo:[0,0,1] neg_hi:[0,0,1]
	v_mul_f32_e32 v116, v117, v104
	v_pk_add_f32 v[82:83], v[82:83], v[120:121] neg_lo:[0,1] neg_hi:[0,1]
	s_delay_alu instid0(VALU_DEP_2) | instskip(NEXT) | instid1(VALU_DEP_1)
	v_pk_fma_f32 v[114:115], v[114:115], v[86:87], v[116:117] op_sel_hi:[1,1,0]
	v_mov_b32_e32 v119, v115
	ds_load_2addr_b64 v[114:117], v108 offset0:18 offset1:19
	v_pk_add_f32 v[78:79], v[78:79], v[118:119] neg_lo:[0,1] neg_hi:[0,1]
	s_wait_dscnt 0x0
	v_pk_mul_f32 v[118:119], v[114:115], v[106:107] op_sel:[0,1]
	s_delay_alu instid0(VALU_DEP_1) | instskip(SKIP_1) | instid1(VALU_DEP_1)
	v_pk_fma_f32 v[120:121], v[114:115], v[104:105], v[118:119] op_sel:[0,0,1] op_sel_hi:[1,1,0] neg_lo:[0,0,1] neg_hi:[0,0,1]
	v_pk_fma_f32 v[114:115], v[114:115], v[104:105], v[118:119] op_sel:[0,0,1] op_sel_hi:[1,0,0]
	v_mov_b32_e32 v121, v115
	v_pk_mul_f32 v[114:115], v[116:117], v[106:107] op_sel:[0,1]
	s_delay_alu instid0(VALU_DEP_1) | instskip(SKIP_1) | instid1(VALU_DEP_1)
	v_pk_fma_f32 v[118:119], v[116:117], v[104:105], v[114:115] op_sel:[0,0,1] op_sel_hi:[1,1,0] neg_lo:[0,0,1] neg_hi:[0,0,1]
	v_pk_fma_f32 v[114:115], v[116:117], v[104:105], v[114:115] op_sel:[0,0,1] op_sel_hi:[1,0,0]
	v_mov_b32_e32 v119, v115
	ds_load_2addr_b64 v[114:117], v108 offset0:20 offset1:21
	v_pk_add_f32 v[80:81], v[80:81], v[120:121] neg_lo:[0,1] neg_hi:[0,1]
	v_pk_add_f32 v[76:77], v[76:77], v[118:119] neg_lo:[0,1] neg_hi:[0,1]
	s_wait_dscnt 0x0
	v_pk_mul_f32 v[118:119], v[114:115], v[106:107] op_sel:[0,1]
	s_delay_alu instid0(VALU_DEP_1) | instskip(SKIP_1) | instid1(VALU_DEP_1)
	v_pk_fma_f32 v[120:121], v[114:115], v[104:105], v[118:119] op_sel:[0,0,1] op_sel_hi:[1,1,0] neg_lo:[0,0,1] neg_hi:[0,0,1]
	v_pk_fma_f32 v[114:115], v[114:115], v[104:105], v[118:119] op_sel:[0,0,1] op_sel_hi:[1,0,0]
	v_mov_b32_e32 v121, v115
	v_pk_mul_f32 v[114:115], v[116:117], v[106:107] op_sel:[0,1]
	s_delay_alu instid0(VALU_DEP_1) | instskip(SKIP_1) | instid1(VALU_DEP_1)
	v_pk_fma_f32 v[118:119], v[116:117], v[104:105], v[114:115] op_sel:[0,0,1] op_sel_hi:[1,1,0] neg_lo:[0,0,1] neg_hi:[0,0,1]
	v_pk_fma_f32 v[114:115], v[116:117], v[104:105], v[114:115] op_sel:[0,0,1] op_sel_hi:[1,0,0]
	v_mov_b32_e32 v119, v115
	ds_load_2addr_b64 v[114:117], v108 offset0:22 offset1:23
	v_pk_add_f32 v[74:75], v[74:75], v[120:121] neg_lo:[0,1] neg_hi:[0,1]
	v_pk_add_f32 v[70:71], v[70:71], v[118:119] neg_lo:[0,1] neg_hi:[0,1]
	s_wait_dscnt 0x0
	v_dual_mul_f32 v118, v115, v107 :: v_dual_mul_f32 v120, v115, v104
	s_delay_alu instid0(VALU_DEP_1) | instskip(NEXT) | instid1(VALU_DEP_2)
	v_pk_fma_f32 v[118:119], v[114:115], v[86:87], v[118:119] op_sel_hi:[1,1,0] neg_lo:[0,0,1] neg_hi:[0,0,1]
	v_pk_fma_f32 v[114:115], v[114:115], v[86:87], v[120:121] op_sel:[1,0,0] op_sel_hi:[0,1,0]
	s_delay_alu instid0(VALU_DEP_1) | instskip(SKIP_1) | instid1(VALU_DEP_2)
	v_mov_b32_e32 v119, v115
	v_pk_mul_f32 v[114:115], v[116:117], v[106:107] op_sel:[0,1]
	v_pk_add_f32 v[72:73], v[72:73], v[118:119] neg_lo:[0,1] neg_hi:[0,1]
	s_delay_alu instid0(VALU_DEP_2) | instskip(SKIP_1) | instid1(VALU_DEP_1)
	v_pk_fma_f32 v[118:119], v[116:117], v[104:105], v[114:115] op_sel:[0,0,1] op_sel_hi:[1,1,0] neg_lo:[0,0,1] neg_hi:[0,0,1]
	v_pk_fma_f32 v[114:115], v[116:117], v[104:105], v[114:115] op_sel:[0,0,1] op_sel_hi:[1,0,0]
	v_mov_b32_e32 v119, v115
	ds_load_2addr_b64 v[114:117], v108 offset0:24 offset1:25
	v_pk_add_f32 v[68:69], v[68:69], v[118:119] neg_lo:[0,1] neg_hi:[0,1]
	s_wait_dscnt 0x0
	v_pk_mul_f32 v[118:119], v[114:115], v[106:107] op_sel:[0,1]
	s_delay_alu instid0(VALU_DEP_1) | instskip(SKIP_1) | instid1(VALU_DEP_1)
	v_pk_fma_f32 v[120:121], v[114:115], v[104:105], v[118:119] op_sel:[0,0,1] op_sel_hi:[1,1,0] neg_lo:[0,0,1] neg_hi:[0,0,1]
	v_pk_fma_f32 v[114:115], v[114:115], v[104:105], v[118:119] op_sel:[0,0,1] op_sel_hi:[1,0,0]
	v_mov_b32_e32 v121, v115
	v_pk_mul_f32 v[114:115], v[116:117], v[106:107] op_sel:[0,1]
	s_delay_alu instid0(VALU_DEP_2) | instskip(NEXT) | instid1(VALU_DEP_2)
	v_pk_add_f32 v[56:57], v[56:57], v[120:121] neg_lo:[0,1] neg_hi:[0,1]
	v_pk_fma_f32 v[118:119], v[116:117], v[104:105], v[114:115] op_sel:[0,0,1] op_sel_hi:[1,1,0] neg_lo:[0,0,1] neg_hi:[0,0,1]
	v_pk_fma_f32 v[114:115], v[116:117], v[104:105], v[114:115] op_sel:[0,0,1] op_sel_hi:[1,0,0]
	s_delay_alu instid0(VALU_DEP_1) | instskip(SKIP_4) | instid1(VALU_DEP_1)
	v_mov_b32_e32 v119, v115
	ds_load_2addr_b64 v[114:117], v108 offset0:26 offset1:27
	v_pk_add_f32 v[48:49], v[48:49], v[118:119] neg_lo:[0,1] neg_hi:[0,1]
	s_wait_dscnt 0x0
	v_pk_mul_f32 v[118:119], v[114:115], v[106:107] op_sel:[0,1]
	v_pk_fma_f32 v[120:121], v[114:115], v[104:105], v[118:119] op_sel:[0,0,1] op_sel_hi:[1,1,0] neg_lo:[0,0,1] neg_hi:[0,0,1]
	v_pk_fma_f32 v[114:115], v[114:115], v[104:105], v[118:119] op_sel:[0,0,1] op_sel_hi:[1,0,0]
	v_dual_mul_f32 v118, v117, v107 :: v_dual_mov_b32 v114, v117
	s_delay_alu instid0(VALU_DEP_2) | instskip(NEXT) | instid1(VALU_DEP_2)
	v_dual_mov_b32 v121, v115 :: v_dual_mov_b32 v115, v116
	v_pk_fma_f32 v[118:119], v[116:117], v[86:87], v[118:119] op_sel_hi:[1,1,0] neg_lo:[0,0,1] neg_hi:[0,0,1]
	v_mul_f32_e32 v116, v117, v104
	s_delay_alu instid0(VALU_DEP_3) | instskip(NEXT) | instid1(VALU_DEP_2)
	v_pk_add_f32 v[54:55], v[54:55], v[120:121] neg_lo:[0,1] neg_hi:[0,1]
	v_pk_fma_f32 v[114:115], v[114:115], v[86:87], v[116:117] op_sel_hi:[1,1,0]
	s_delay_alu instid0(VALU_DEP_1) | instskip(SKIP_4) | instid1(VALU_DEP_1)
	v_mov_b32_e32 v119, v115
	ds_load_2addr_b64 v[114:117], v108 offset0:28 offset1:29
	v_pk_add_f32 v[46:47], v[46:47], v[118:119] neg_lo:[0,1] neg_hi:[0,1]
	s_wait_dscnt 0x0
	v_pk_mul_f32 v[118:119], v[114:115], v[106:107] op_sel:[0,1]
	v_pk_fma_f32 v[120:121], v[114:115], v[104:105], v[118:119] op_sel:[0,0,1] op_sel_hi:[1,1,0] neg_lo:[0,0,1] neg_hi:[0,0,1]
	v_pk_fma_f32 v[114:115], v[114:115], v[104:105], v[118:119] op_sel:[0,0,1] op_sel_hi:[1,0,0]
	s_delay_alu instid0(VALU_DEP_1) | instskip(SKIP_1) | instid1(VALU_DEP_1)
	v_mov_b32_e32 v121, v115
	v_pk_mul_f32 v[114:115], v[116:117], v[106:107] op_sel:[0,1]
	v_pk_fma_f32 v[118:119], v[116:117], v[104:105], v[114:115] op_sel:[0,0,1] op_sel_hi:[1,1,0] neg_lo:[0,0,1] neg_hi:[0,0,1]
	v_pk_fma_f32 v[114:115], v[116:117], v[104:105], v[114:115] op_sel:[0,0,1] op_sel_hi:[1,0,0]
	s_delay_alu instid0(VALU_DEP_1)
	v_mov_b32_e32 v119, v115
	ds_load_2addr_b64 v[114:117], v108 offset0:30 offset1:31
	v_pk_add_f32 v[44:45], v[44:45], v[120:121] neg_lo:[0,1] neg_hi:[0,1]
	v_pk_add_f32 v[40:41], v[40:41], v[118:119] neg_lo:[0,1] neg_hi:[0,1]
	s_wait_dscnt 0x0
	v_pk_mul_f32 v[118:119], v[114:115], v[106:107] op_sel:[0,1]
	s_delay_alu instid0(VALU_DEP_1) | instskip(SKIP_1) | instid1(VALU_DEP_1)
	v_pk_fma_f32 v[120:121], v[114:115], v[104:105], v[118:119] op_sel:[0,0,1] op_sel_hi:[1,1,0] neg_lo:[0,0,1] neg_hi:[0,0,1]
	v_pk_fma_f32 v[114:115], v[114:115], v[104:105], v[118:119] op_sel:[0,0,1] op_sel_hi:[1,0,0]
	v_mov_b32_e32 v121, v115
	v_pk_mul_f32 v[114:115], v[116:117], v[106:107] op_sel:[0,1]
	s_delay_alu instid0(VALU_DEP_1) | instskip(SKIP_1) | instid1(VALU_DEP_1)
	v_pk_fma_f32 v[118:119], v[116:117], v[104:105], v[114:115] op_sel:[0,0,1] op_sel_hi:[1,1,0] neg_lo:[0,0,1] neg_hi:[0,0,1]
	v_pk_fma_f32 v[114:115], v[116:117], v[104:105], v[114:115] op_sel:[0,0,1] op_sel_hi:[1,0,0]
	v_mov_b32_e32 v119, v115
	ds_load_2addr_b64 v[114:117], v108 offset0:32 offset1:33
	v_pk_add_f32 v[42:43], v[42:43], v[120:121] neg_lo:[0,1] neg_hi:[0,1]
	v_pk_add_f32 v[38:39], v[38:39], v[118:119] neg_lo:[0,1] neg_hi:[0,1]
	s_wait_dscnt 0x0
	v_dual_mul_f32 v118, v115, v107 :: v_dual_mul_f32 v120, v115, v104
	s_delay_alu instid0(VALU_DEP_1) | instskip(NEXT) | instid1(VALU_DEP_2)
	v_pk_fma_f32 v[118:119], v[114:115], v[86:87], v[118:119] op_sel_hi:[1,1,0] neg_lo:[0,0,1] neg_hi:[0,0,1]
	v_pk_fma_f32 v[114:115], v[114:115], v[86:87], v[120:121] op_sel:[1,0,0] op_sel_hi:[0,1,0]
	s_delay_alu instid0(VALU_DEP_1) | instskip(SKIP_1) | instid1(VALU_DEP_2)
	v_mov_b32_e32 v119, v115
	v_pk_mul_f32 v[114:115], v[116:117], v[106:107] op_sel:[0,1]
	v_pk_add_f32 v[36:37], v[36:37], v[118:119] neg_lo:[0,1] neg_hi:[0,1]
	s_delay_alu instid0(VALU_DEP_2) | instskip(SKIP_1) | instid1(VALU_DEP_1)
	v_pk_fma_f32 v[118:119], v[116:117], v[104:105], v[114:115] op_sel:[0,0,1] op_sel_hi:[1,1,0] neg_lo:[0,0,1] neg_hi:[0,0,1]
	v_pk_fma_f32 v[114:115], v[116:117], v[104:105], v[114:115] op_sel:[0,0,1] op_sel_hi:[1,0,0]
	v_mov_b32_e32 v119, v115
	ds_load_2addr_b64 v[114:117], v108 offset0:34 offset1:35
	v_pk_add_f32 v[32:33], v[32:33], v[118:119] neg_lo:[0,1] neg_hi:[0,1]
	s_wait_dscnt 0x0
	v_pk_mul_f32 v[118:119], v[114:115], v[106:107] op_sel:[0,1]
	s_delay_alu instid0(VALU_DEP_1) | instskip(SKIP_1) | instid1(VALU_DEP_1)
	v_pk_fma_f32 v[120:121], v[114:115], v[104:105], v[118:119] op_sel:[0,0,1] op_sel_hi:[1,1,0] neg_lo:[0,0,1] neg_hi:[0,0,1]
	v_pk_fma_f32 v[114:115], v[114:115], v[104:105], v[118:119] op_sel:[0,0,1] op_sel_hi:[1,0,0]
	v_mov_b32_e32 v121, v115
	v_pk_mul_f32 v[114:115], v[116:117], v[106:107] op_sel:[0,1]
	s_delay_alu instid0(VALU_DEP_2) | instskip(NEXT) | instid1(VALU_DEP_2)
	v_pk_add_f32 v[34:35], v[34:35], v[120:121] neg_lo:[0,1] neg_hi:[0,1]
	v_pk_fma_f32 v[118:119], v[116:117], v[104:105], v[114:115] op_sel:[0,0,1] op_sel_hi:[1,1,0] neg_lo:[0,0,1] neg_hi:[0,0,1]
	v_pk_fma_f32 v[114:115], v[116:117], v[104:105], v[114:115] op_sel:[0,0,1] op_sel_hi:[1,0,0]
	s_delay_alu instid0(VALU_DEP_1) | instskip(SKIP_4) | instid1(VALU_DEP_1)
	v_mov_b32_e32 v119, v115
	ds_load_2addr_b64 v[114:117], v108 offset0:36 offset1:37
	v_pk_add_f32 v[30:31], v[30:31], v[118:119] neg_lo:[0,1] neg_hi:[0,1]
	s_wait_dscnt 0x0
	v_pk_mul_f32 v[118:119], v[114:115], v[106:107] op_sel:[0,1]
	v_pk_fma_f32 v[120:121], v[114:115], v[104:105], v[118:119] op_sel:[0,0,1] op_sel_hi:[1,1,0] neg_lo:[0,0,1] neg_hi:[0,0,1]
	v_pk_fma_f32 v[114:115], v[114:115], v[104:105], v[118:119] op_sel:[0,0,1] op_sel_hi:[1,0,0]
	v_dual_mul_f32 v118, v117, v107 :: v_dual_mov_b32 v114, v117
	s_delay_alu instid0(VALU_DEP_2) | instskip(NEXT) | instid1(VALU_DEP_2)
	v_dual_mov_b32 v121, v115 :: v_dual_mov_b32 v115, v116
	v_pk_fma_f32 v[118:119], v[116:117], v[86:87], v[118:119] op_sel_hi:[1,1,0] neg_lo:[0,0,1] neg_hi:[0,0,1]
	v_mul_f32_e32 v116, v117, v104
	s_delay_alu instid0(VALU_DEP_3) | instskip(NEXT) | instid1(VALU_DEP_2)
	v_pk_add_f32 v[26:27], v[26:27], v[120:121] neg_lo:[0,1] neg_hi:[0,1]
	v_pk_fma_f32 v[114:115], v[114:115], v[86:87], v[116:117] op_sel_hi:[1,1,0]
	s_delay_alu instid0(VALU_DEP_1) | instskip(SKIP_4) | instid1(VALU_DEP_1)
	v_mov_b32_e32 v119, v115
	ds_load_2addr_b64 v[114:117], v108 offset0:38 offset1:39
	v_pk_add_f32 v[22:23], v[22:23], v[118:119] neg_lo:[0,1] neg_hi:[0,1]
	s_wait_dscnt 0x0
	v_pk_mul_f32 v[118:119], v[114:115], v[106:107] op_sel:[0,1]
	v_pk_fma_f32 v[120:121], v[114:115], v[104:105], v[118:119] op_sel:[0,0,1] op_sel_hi:[1,1,0] neg_lo:[0,0,1] neg_hi:[0,0,1]
	v_pk_fma_f32 v[114:115], v[114:115], v[104:105], v[118:119] op_sel:[0,0,1] op_sel_hi:[1,0,0]
	s_delay_alu instid0(VALU_DEP_1) | instskip(SKIP_1) | instid1(VALU_DEP_1)
	v_mov_b32_e32 v121, v115
	v_pk_mul_f32 v[114:115], v[116:117], v[106:107] op_sel:[0,1]
	v_pk_fma_f32 v[118:119], v[116:117], v[104:105], v[114:115] op_sel:[0,0,1] op_sel_hi:[1,1,0] neg_lo:[0,0,1] neg_hi:[0,0,1]
	v_pk_fma_f32 v[114:115], v[116:117], v[104:105], v[114:115] op_sel:[0,0,1] op_sel_hi:[1,0,0]
	s_delay_alu instid0(VALU_DEP_1)
	v_mov_b32_e32 v119, v115
	ds_load_2addr_b64 v[114:117], v108 offset0:40 offset1:41
	v_pk_add_f32 v[24:25], v[24:25], v[120:121] neg_lo:[0,1] neg_hi:[0,1]
	v_pk_add_f32 v[20:21], v[20:21], v[118:119] neg_lo:[0,1] neg_hi:[0,1]
	s_wait_dscnt 0x0
	v_pk_mul_f32 v[118:119], v[114:115], v[106:107] op_sel:[0,1]
	s_delay_alu instid0(VALU_DEP_1) | instskip(SKIP_1) | instid1(VALU_DEP_1)
	v_pk_fma_f32 v[120:121], v[114:115], v[104:105], v[118:119] op_sel:[0,0,1] op_sel_hi:[1,1,0] neg_lo:[0,0,1] neg_hi:[0,0,1]
	v_pk_fma_f32 v[114:115], v[114:115], v[104:105], v[118:119] op_sel:[0,0,1] op_sel_hi:[1,0,0]
	v_mov_b32_e32 v121, v115
	v_pk_mul_f32 v[114:115], v[116:117], v[106:107] op_sel:[0,1]
	s_delay_alu instid0(VALU_DEP_1) | instskip(SKIP_1) | instid1(VALU_DEP_1)
	v_pk_fma_f32 v[118:119], v[116:117], v[104:105], v[114:115] op_sel:[0,0,1] op_sel_hi:[1,1,0] neg_lo:[0,0,1] neg_hi:[0,0,1]
	v_pk_fma_f32 v[114:115], v[116:117], v[104:105], v[114:115] op_sel:[0,0,1] op_sel_hi:[1,0,0]
	v_mov_b32_e32 v119, v115
	ds_load_2addr_b64 v[114:117], v108 offset0:42 offset1:43
	v_pk_add_f32 v[14:15], v[14:15], v[120:121] neg_lo:[0,1] neg_hi:[0,1]
	v_pk_add_f32 v[10:11], v[10:11], v[118:119] neg_lo:[0,1] neg_hi:[0,1]
	s_wait_dscnt 0x0
	v_dual_mul_f32 v118, v115, v107 :: v_dual_mul_f32 v120, v115, v104
	s_delay_alu instid0(VALU_DEP_1) | instskip(NEXT) | instid1(VALU_DEP_2)
	v_pk_fma_f32 v[118:119], v[114:115], v[86:87], v[118:119] op_sel_hi:[1,1,0] neg_lo:[0,0,1] neg_hi:[0,0,1]
	v_pk_fma_f32 v[114:115], v[114:115], v[86:87], v[120:121] op_sel:[1,0,0] op_sel_hi:[0,1,0]
	s_delay_alu instid0(VALU_DEP_1) | instskip(SKIP_1) | instid1(VALU_DEP_2)
	v_mov_b32_e32 v119, v115
	v_pk_mul_f32 v[114:115], v[116:117], v[106:107] op_sel:[0,1]
	v_pk_add_f32 v[12:13], v[12:13], v[118:119] neg_lo:[0,1] neg_hi:[0,1]
	s_delay_alu instid0(VALU_DEP_2) | instskip(SKIP_1) | instid1(VALU_DEP_1)
	v_pk_fma_f32 v[118:119], v[116:117], v[104:105], v[114:115] op_sel:[0,0,1] op_sel_hi:[1,1,0] neg_lo:[0,0,1] neg_hi:[0,0,1]
	v_pk_fma_f32 v[114:115], v[116:117], v[104:105], v[114:115] op_sel:[0,0,1] op_sel_hi:[1,0,0]
	v_mov_b32_e32 v119, v115
	ds_load_2addr_b64 v[114:117], v108 offset0:44 offset1:45
	v_pk_add_f32 v[8:9], v[8:9], v[118:119] neg_lo:[0,1] neg_hi:[0,1]
	s_wait_dscnt 0x0
	v_pk_mul_f32 v[118:119], v[114:115], v[106:107] op_sel:[0,1]
	s_delay_alu instid0(VALU_DEP_1) | instskip(SKIP_1) | instid1(VALU_DEP_1)
	v_pk_fma_f32 v[120:121], v[114:115], v[104:105], v[118:119] op_sel:[0,0,1] op_sel_hi:[1,1,0] neg_lo:[0,0,1] neg_hi:[0,0,1]
	v_pk_fma_f32 v[114:115], v[114:115], v[104:105], v[118:119] op_sel:[0,0,1] op_sel_hi:[1,0,0]
	v_mov_b32_e32 v121, v115
	v_pk_mul_f32 v[114:115], v[116:117], v[106:107] op_sel:[0,1]
	s_delay_alu instid0(VALU_DEP_2) | instskip(NEXT) | instid1(VALU_DEP_2)
	v_pk_add_f32 v[6:7], v[6:7], v[120:121] neg_lo:[0,1] neg_hi:[0,1]
	v_pk_fma_f32 v[118:119], v[116:117], v[104:105], v[114:115] op_sel:[0,0,1] op_sel_hi:[1,1,0] neg_lo:[0,0,1] neg_hi:[0,0,1]
	v_pk_fma_f32 v[114:115], v[116:117], v[104:105], v[114:115] op_sel:[0,0,1] op_sel_hi:[1,0,0]
	s_delay_alu instid0(VALU_DEP_1) | instskip(SKIP_4) | instid1(VALU_DEP_1)
	v_mov_b32_e32 v119, v115
	ds_load_2addr_b64 v[114:117], v108 offset0:46 offset1:47
	v_pk_add_f32 v[28:29], v[28:29], v[118:119] neg_lo:[0,1] neg_hi:[0,1]
	s_wait_dscnt 0x0
	v_pk_mul_f32 v[118:119], v[114:115], v[106:107] op_sel:[0,1]
	v_pk_fma_f32 v[120:121], v[114:115], v[104:105], v[118:119] op_sel:[0,0,1] op_sel_hi:[1,1,0] neg_lo:[0,0,1] neg_hi:[0,0,1]
	v_pk_fma_f32 v[114:115], v[114:115], v[104:105], v[118:119] op_sel:[0,0,1] op_sel_hi:[1,0,0]
	v_dual_mul_f32 v118, v117, v107 :: v_dual_mov_b32 v114, v117
	s_delay_alu instid0(VALU_DEP_2) | instskip(NEXT) | instid1(VALU_DEP_2)
	v_dual_mov_b32 v121, v115 :: v_dual_mov_b32 v115, v116
	v_pk_fma_f32 v[118:119], v[116:117], v[86:87], v[118:119] op_sel_hi:[1,1,0] neg_lo:[0,0,1] neg_hi:[0,0,1]
	v_mul_f32_e32 v116, v117, v104
	s_delay_alu instid0(VALU_DEP_3) | instskip(NEXT) | instid1(VALU_DEP_2)
	v_pk_add_f32 v[18:19], v[18:19], v[120:121] neg_lo:[0,1] neg_hi:[0,1]
	v_pk_fma_f32 v[114:115], v[114:115], v[86:87], v[116:117] op_sel_hi:[1,1,0]
	s_delay_alu instid0(VALU_DEP_1) | instskip(SKIP_4) | instid1(VALU_DEP_1)
	v_mov_b32_e32 v119, v115
	ds_load_b64 v[114:115], v108 offset:384
	v_pk_add_f32 v[16:17], v[16:17], v[118:119] neg_lo:[0,1] neg_hi:[0,1]
	s_wait_dscnt 0x0
	v_pk_mul_f32 v[106:107], v[114:115], v[106:107] op_sel:[0,1]
	v_pk_fma_f32 v[116:117], v[114:115], v[104:105], v[106:107] op_sel:[0,0,1] op_sel_hi:[1,1,0] neg_lo:[0,0,1] neg_hi:[0,0,1]
	v_pk_fma_f32 v[104:105], v[114:115], v[104:105], v[106:107] op_sel:[0,0,1] op_sel_hi:[1,0,0]
	s_delay_alu instid0(VALU_DEP_1) | instskip(NEXT) | instid1(VALU_DEP_1)
	v_mov_b32_e32 v117, v105
	v_pk_add_f32 v[102:103], v[102:103], v[116:117] neg_lo:[0,1] neg_hi:[0,1]
.LBB96_293:
	s_or_b32 exec_lo, exec_lo, s0
	v_lshl_add_u32 v104, v112, 3, v108
	s_barrier_signal -1
	s_barrier_wait -1
	ds_store_b64 v104, v[88:89]
	s_wait_dscnt 0x0
	s_barrier_signal -1
	s_barrier_wait -1
	ds_load_b64 v[106:107], v108 offset:112
	v_mov_b32_e32 v104, 14
	s_cmp_lt_i32 s18, 16
	s_cbranch_scc1 .LBB96_296
; %bb.294:
	v_add3_u32 v105, v109, 0, 0x78
	v_mov_b32_e32 v104, 14
	s_mov_b32 s0, 15
.LBB96_295:                             ; =>This Inner Loop Header: Depth=1
	ds_load_b64 v[114:115], v105
	s_wait_dscnt 0x1
	v_cmp_gt_f32_e32 vcc_lo, 0, v106
	v_cndmask_b32_e64 v116, v106, -v106, vcc_lo
	v_cmp_gt_f32_e32 vcc_lo, 0, v107
	v_cndmask_b32_e64 v118, v107, -v107, vcc_lo
	s_wait_dscnt 0x0
	v_cmp_gt_f32_e32 vcc_lo, 0, v114
	v_cndmask_b32_e64 v117, v114, -v114, vcc_lo
	v_cmp_gt_f32_e32 vcc_lo, 0, v115
	v_cndmask_b32_e64 v119, v115, -v115, vcc_lo
	s_delay_alu instid0(VALU_DEP_1) | instskip(NEXT) | instid1(VALU_DEP_1)
	v_pk_add_f32 v[116:117], v[116:117], v[118:119]
	v_cmp_lt_f32_e32 vcc_lo, v116, v117
	v_dual_add_nc_u32 v105, 8, v105 :: v_dual_cndmask_b32 v107, v107, v115, vcc_lo
	v_cndmask_b32_e32 v106, v106, v114, vcc_lo
	v_cndmask_b32_e64 v104, v104, s0, vcc_lo
	s_add_co_i32 s0, s0, 1
	s_delay_alu instid0(SALU_CYCLE_1)
	s_cmp_lg_u32 s18, s0
	s_cbranch_scc1 .LBB96_295
.LBB96_296:
	s_wait_dscnt 0x0
	v_cmp_eq_f32_e32 vcc_lo, 0, v106
	v_cmp_eq_f32_e64 s0, 0, v107
	s_and_b32 s0, vcc_lo, s0
	s_delay_alu instid0(SALU_CYCLE_1) | instskip(NEXT) | instid1(SALU_CYCLE_1)
	s_and_saveexec_b32 s1, s0
	s_xor_b32 s0, exec_lo, s1
; %bb.297:
	v_cmp_ne_u32_e32 vcc_lo, 0, v110
	v_cndmask_b32_e32 v110, 15, v110, vcc_lo
; %bb.298:
	s_and_not1_saveexec_b32 s0, s0
	s_cbranch_execz .LBB96_304
; %bb.299:
	v_cmp_ngt_f32_e64 s1, |v106|, |v107|
	s_and_saveexec_b32 s12, s1
	s_delay_alu instid0(SALU_CYCLE_1)
	s_xor_b32 s1, exec_lo, s12
	s_cbranch_execz .LBB96_301
; %bb.300:
	v_div_scale_f32 v105, null, v107, v107, v106
	v_div_scale_f32 v115, vcc_lo, v106, v107, v106
	s_delay_alu instid0(VALU_DEP_2) | instskip(SKIP_1) | instid1(TRANS32_DEP_1)
	v_rcp_f32_e32 v113, v105
	v_nop
	v_fma_f32 v114, -v105, v113, 1.0
	s_delay_alu instid0(VALU_DEP_1) | instskip(NEXT) | instid1(VALU_DEP_1)
	v_fmac_f32_e32 v113, v114, v113
	v_mul_f32_e32 v114, v115, v113
	s_delay_alu instid0(VALU_DEP_1) | instskip(NEXT) | instid1(VALU_DEP_1)
	v_fma_f32 v116, -v105, v114, v115
	v_fmac_f32_e32 v114, v116, v113
	s_delay_alu instid0(VALU_DEP_1) | instskip(NEXT) | instid1(VALU_DEP_1)
	v_fma_f32 v105, -v105, v114, v115
	v_div_fmas_f32 v105, v105, v113, v114
	s_delay_alu instid0(VALU_DEP_1) | instskip(NEXT) | instid1(VALU_DEP_1)
	v_div_fixup_f32 v105, v105, v107, v106
	v_fmac_f32_e32 v107, v106, v105
	s_delay_alu instid0(VALU_DEP_1) | instskip(SKIP_1) | instid1(VALU_DEP_2)
	v_div_scale_f32 v106, null, v107, v107, 1.0
	v_div_scale_f32 v115, vcc_lo, 1.0, v107, 1.0
	v_rcp_f32_e32 v113, v106
	v_nop
	s_delay_alu instid0(TRANS32_DEP_1) | instskip(NEXT) | instid1(VALU_DEP_1)
	v_fma_f32 v114, -v106, v113, 1.0
	v_fmac_f32_e32 v113, v114, v113
	s_delay_alu instid0(VALU_DEP_1) | instskip(NEXT) | instid1(VALU_DEP_1)
	v_mul_f32_e32 v114, v115, v113
	v_fma_f32 v116, -v106, v114, v115
	s_delay_alu instid0(VALU_DEP_1) | instskip(NEXT) | instid1(VALU_DEP_1)
	v_fmac_f32_e32 v114, v116, v113
	v_fma_f32 v106, -v106, v114, v115
	s_delay_alu instid0(VALU_DEP_1) | instskip(NEXT) | instid1(VALU_DEP_1)
	v_div_fmas_f32 v106, v106, v113, v114
	v_div_fixup_f32 v107, v106, v107, 1.0
	s_delay_alu instid0(VALU_DEP_1)
	v_mul_f32_e32 v106, v105, v107
	v_xor_b32_e32 v107, 0x80000000, v107
.LBB96_301:
	s_and_not1_saveexec_b32 s1, s1
	s_cbranch_execz .LBB96_303
; %bb.302:
	s_delay_alu instid0(VALU_DEP_1) | instskip(SKIP_1) | instid1(VALU_DEP_2)
	v_div_scale_f32 v105, null, v106, v106, v107
	v_div_scale_f32 v115, vcc_lo, v107, v106, v107
	v_rcp_f32_e32 v113, v105
	v_nop
	s_delay_alu instid0(TRANS32_DEP_1) | instskip(NEXT) | instid1(VALU_DEP_1)
	v_fma_f32 v114, -v105, v113, 1.0
	v_fmac_f32_e32 v113, v114, v113
	s_delay_alu instid0(VALU_DEP_1) | instskip(NEXT) | instid1(VALU_DEP_1)
	v_mul_f32_e32 v114, v115, v113
	v_fma_f32 v116, -v105, v114, v115
	s_delay_alu instid0(VALU_DEP_1) | instskip(NEXT) | instid1(VALU_DEP_1)
	v_fmac_f32_e32 v114, v116, v113
	v_fma_f32 v105, -v105, v114, v115
	s_delay_alu instid0(VALU_DEP_1) | instskip(NEXT) | instid1(VALU_DEP_1)
	v_div_fmas_f32 v105, v105, v113, v114
	v_div_fixup_f32 v105, v105, v106, v107
	s_delay_alu instid0(VALU_DEP_1) | instskip(NEXT) | instid1(VALU_DEP_1)
	v_fmac_f32_e32 v106, v107, v105
	v_div_scale_f32 v107, null, v106, v106, 1.0
	s_delay_alu instid0(VALU_DEP_1) | instskip(SKIP_1) | instid1(TRANS32_DEP_1)
	v_rcp_f32_e32 v113, v107
	v_nop
	v_fma_f32 v114, -v107, v113, 1.0
	s_delay_alu instid0(VALU_DEP_1) | instskip(SKIP_1) | instid1(VALU_DEP_1)
	v_fmac_f32_e32 v113, v114, v113
	v_div_scale_f32 v114, vcc_lo, 1.0, v106, 1.0
	v_mul_f32_e32 v115, v114, v113
	s_delay_alu instid0(VALU_DEP_1) | instskip(NEXT) | instid1(VALU_DEP_1)
	v_fma_f32 v116, -v107, v115, v114
	v_fmac_f32_e32 v115, v116, v113
	s_delay_alu instid0(VALU_DEP_1) | instskip(NEXT) | instid1(VALU_DEP_1)
	v_fma_f32 v107, -v107, v115, v114
	v_div_fmas_f32 v107, v107, v113, v115
	s_delay_alu instid0(VALU_DEP_1) | instskip(NEXT) | instid1(VALU_DEP_1)
	v_div_fixup_f32 v106, v107, v106, 1.0
	v_mul_f32_e64 v107, v105, -v106
.LBB96_303:
	s_or_b32 exec_lo, exec_lo, s1
.LBB96_304:
	s_delay_alu instid0(SALU_CYCLE_1) | instskip(NEXT) | instid1(SALU_CYCLE_1)
	s_or_b32 exec_lo, exec_lo, s0
	s_mov_b32 s0, exec_lo
	v_cmpx_ne_u32_e64 v112, v104
	s_xor_b32 s0, exec_lo, s0
	s_cbranch_execz .LBB96_310
; %bb.305:
	s_mov_b32 s1, exec_lo
	v_cmpx_eq_u32_e32 14, v112
	s_cbranch_execz .LBB96_309
; %bb.306:
	v_cmp_ne_u32_e32 vcc_lo, 14, v104
	s_xor_b32 s12, s16, -1
	s_delay_alu instid0(SALU_CYCLE_1) | instskip(NEXT) | instid1(SALU_CYCLE_1)
	s_and_b32 s13, s12, vcc_lo
	s_and_saveexec_b32 s12, s13
	s_cbranch_execz .LBB96_308
; %bb.307:
	v_ashrrev_i32_e32 v105, 31, v104
	s_delay_alu instid0(VALU_DEP_1)
	v_lshl_add_u64 v[112:113], v[104:105], 2, v[4:5]
	s_clause 0x1
	global_load_b32 v105, v[112:113], off
	global_load_b32 v111, v[4:5], off offset:56
	s_wait_loadcnt 0x1
	global_store_b32 v[4:5], v105, off offset:56
	s_wait_loadcnt 0x0
	global_store_b32 v[112:113], v111, off
.LBB96_308:
	s_wait_xcnt 0x0
	s_or_b32 exec_lo, exec_lo, s12
	v_dual_mov_b32 v112, v104 :: v_dual_mov_b32 v111, v104
.LBB96_309:
	s_or_b32 exec_lo, exec_lo, s1
.LBB96_310:
	s_and_not1_saveexec_b32 s0, s0
	s_cbranch_execz .LBB96_312
; %bb.311:
	v_mov_b32_e32 v112, 14
	ds_store_2addr_b64 v108, v[84:85], v[82:83] offset0:15 offset1:16
	ds_store_2addr_b64 v108, v[78:79], v[80:81] offset0:17 offset1:18
	;; [unrolled: 1-line block ×17, first 2 shown]
.LBB96_312:
	s_or_b32 exec_lo, exec_lo, s0
	s_delay_alu instid0(SALU_CYCLE_1)
	s_mov_b32 s0, exec_lo
	s_wait_storecnt_dscnt 0x0
	s_barrier_signal -1
	s_barrier_wait -1
	v_cmpx_lt_i32_e32 14, v112
	s_cbranch_execz .LBB96_314
; %bb.313:
	v_pk_mul_f32 v[114:115], v[106:107], v[88:89] op_sel:[1,1] op_sel_hi:[0,1]
	s_delay_alu instid0(VALU_DEP_1)
	v_pk_fma_f32 v[104:105], v[106:107], v[88:89], v[114:115] op_sel_hi:[1,0,1] neg_lo:[0,0,1] neg_hi:[0,0,1]
	v_pk_fma_f32 v[106:107], v[106:107], v[88:89], v[114:115] op_sel_hi:[1,0,1]
	ds_load_2addr_b64 v[114:117], v108 offset0:15 offset1:16
	v_dual_mov_b32 v88, v104 :: v_dual_mov_b32 v89, v107
	s_wait_dscnt 0x0
	v_pk_mul_f32 v[118:119], v[114:115], v[106:107] op_sel:[0,1]
	s_delay_alu instid0(VALU_DEP_1) | instskip(SKIP_1) | instid1(VALU_DEP_1)
	v_pk_fma_f32 v[120:121], v[114:115], v[104:105], v[118:119] op_sel:[0,0,1] op_sel_hi:[1,1,0] neg_lo:[0,0,1] neg_hi:[0,0,1]
	v_pk_fma_f32 v[114:115], v[114:115], v[104:105], v[118:119] op_sel:[0,0,1] op_sel_hi:[1,0,0]
	v_mov_b32_e32 v121, v115
	v_pk_mul_f32 v[114:115], v[116:117], v[106:107] op_sel:[0,1]
	s_delay_alu instid0(VALU_DEP_1) | instskip(SKIP_1) | instid1(VALU_DEP_1)
	v_pk_fma_f32 v[118:119], v[116:117], v[104:105], v[114:115] op_sel:[0,0,1] op_sel_hi:[1,1,0] neg_lo:[0,0,1] neg_hi:[0,0,1]
	v_pk_fma_f32 v[114:115], v[116:117], v[104:105], v[114:115] op_sel:[0,0,1] op_sel_hi:[1,0,0]
	v_mov_b32_e32 v119, v115
	ds_load_2addr_b64 v[114:117], v108 offset0:17 offset1:18
	v_pk_add_f32 v[84:85], v[84:85], v[120:121] neg_lo:[0,1] neg_hi:[0,1]
	v_pk_add_f32 v[82:83], v[82:83], v[118:119] neg_lo:[0,1] neg_hi:[0,1]
	s_wait_dscnt 0x0
	v_pk_mul_f32 v[118:119], v[114:115], v[106:107] op_sel:[0,1]
	s_delay_alu instid0(VALU_DEP_1) | instskip(SKIP_2) | instid1(VALU_DEP_2)
	v_pk_fma_f32 v[120:121], v[114:115], v[104:105], v[118:119] op_sel:[0,0,1] op_sel_hi:[1,1,0] neg_lo:[0,0,1] neg_hi:[0,0,1]
	v_pk_fma_f32 v[114:115], v[114:115], v[104:105], v[118:119] op_sel:[0,0,1] op_sel_hi:[1,0,0]
	v_dual_mul_f32 v118, v117, v107 :: v_dual_mov_b32 v114, v117
	v_dual_mov_b32 v121, v115 :: v_dual_mov_b32 v115, v116
	s_delay_alu instid0(VALU_DEP_2) | instskip(SKIP_1) | instid1(VALU_DEP_3)
	v_pk_fma_f32 v[118:119], v[116:117], v[88:89], v[118:119] op_sel_hi:[1,1,0] neg_lo:[0,0,1] neg_hi:[0,0,1]
	v_mul_f32_e32 v116, v117, v104
	v_pk_add_f32 v[78:79], v[78:79], v[120:121] neg_lo:[0,1] neg_hi:[0,1]
	s_delay_alu instid0(VALU_DEP_2) | instskip(NEXT) | instid1(VALU_DEP_1)
	v_pk_fma_f32 v[114:115], v[114:115], v[88:89], v[116:117] op_sel_hi:[1,1,0]
	v_mov_b32_e32 v119, v115
	ds_load_2addr_b64 v[114:117], v108 offset0:19 offset1:20
	v_pk_add_f32 v[80:81], v[80:81], v[118:119] neg_lo:[0,1] neg_hi:[0,1]
	s_wait_dscnt 0x0
	v_pk_mul_f32 v[118:119], v[114:115], v[106:107] op_sel:[0,1]
	s_delay_alu instid0(VALU_DEP_1) | instskip(SKIP_1) | instid1(VALU_DEP_1)
	v_pk_fma_f32 v[120:121], v[114:115], v[104:105], v[118:119] op_sel:[0,0,1] op_sel_hi:[1,1,0] neg_lo:[0,0,1] neg_hi:[0,0,1]
	v_pk_fma_f32 v[114:115], v[114:115], v[104:105], v[118:119] op_sel:[0,0,1] op_sel_hi:[1,0,0]
	v_mov_b32_e32 v121, v115
	v_pk_mul_f32 v[114:115], v[116:117], v[106:107] op_sel:[0,1]
	s_delay_alu instid0(VALU_DEP_1) | instskip(SKIP_1) | instid1(VALU_DEP_1)
	v_pk_fma_f32 v[118:119], v[116:117], v[104:105], v[114:115] op_sel:[0,0,1] op_sel_hi:[1,1,0] neg_lo:[0,0,1] neg_hi:[0,0,1]
	v_pk_fma_f32 v[114:115], v[116:117], v[104:105], v[114:115] op_sel:[0,0,1] op_sel_hi:[1,0,0]
	v_mov_b32_e32 v119, v115
	ds_load_2addr_b64 v[114:117], v108 offset0:21 offset1:22
	v_pk_add_f32 v[76:77], v[76:77], v[120:121] neg_lo:[0,1] neg_hi:[0,1]
	v_pk_add_f32 v[74:75], v[74:75], v[118:119] neg_lo:[0,1] neg_hi:[0,1]
	s_wait_dscnt 0x0
	v_pk_mul_f32 v[118:119], v[114:115], v[106:107] op_sel:[0,1]
	s_delay_alu instid0(VALU_DEP_1) | instskip(SKIP_1) | instid1(VALU_DEP_1)
	v_pk_fma_f32 v[120:121], v[114:115], v[104:105], v[118:119] op_sel:[0,0,1] op_sel_hi:[1,1,0] neg_lo:[0,0,1] neg_hi:[0,0,1]
	v_pk_fma_f32 v[114:115], v[114:115], v[104:105], v[118:119] op_sel:[0,0,1] op_sel_hi:[1,0,0]
	v_mov_b32_e32 v121, v115
	v_pk_mul_f32 v[114:115], v[116:117], v[106:107] op_sel:[0,1]
	s_delay_alu instid0(VALU_DEP_1) | instskip(SKIP_1) | instid1(VALU_DEP_1)
	v_pk_fma_f32 v[118:119], v[116:117], v[104:105], v[114:115] op_sel:[0,0,1] op_sel_hi:[1,1,0] neg_lo:[0,0,1] neg_hi:[0,0,1]
	v_pk_fma_f32 v[114:115], v[116:117], v[104:105], v[114:115] op_sel:[0,0,1] op_sel_hi:[1,0,0]
	v_mov_b32_e32 v119, v115
	ds_load_2addr_b64 v[114:117], v108 offset0:23 offset1:24
	v_pk_add_f32 v[70:71], v[70:71], v[120:121] neg_lo:[0,1] neg_hi:[0,1]
	v_pk_add_f32 v[72:73], v[72:73], v[118:119] neg_lo:[0,1] neg_hi:[0,1]
	s_wait_dscnt 0x0
	v_dual_mul_f32 v118, v115, v107 :: v_dual_mul_f32 v120, v115, v104
	s_delay_alu instid0(VALU_DEP_1) | instskip(NEXT) | instid1(VALU_DEP_2)
	v_pk_fma_f32 v[118:119], v[114:115], v[88:89], v[118:119] op_sel_hi:[1,1,0] neg_lo:[0,0,1] neg_hi:[0,0,1]
	v_pk_fma_f32 v[114:115], v[114:115], v[88:89], v[120:121] op_sel:[1,0,0] op_sel_hi:[0,1,0]
	s_delay_alu instid0(VALU_DEP_1) | instskip(SKIP_1) | instid1(VALU_DEP_2)
	v_mov_b32_e32 v119, v115
	v_pk_mul_f32 v[114:115], v[116:117], v[106:107] op_sel:[0,1]
	v_pk_add_f32 v[68:69], v[68:69], v[118:119] neg_lo:[0,1] neg_hi:[0,1]
	s_delay_alu instid0(VALU_DEP_2) | instskip(SKIP_1) | instid1(VALU_DEP_1)
	v_pk_fma_f32 v[118:119], v[116:117], v[104:105], v[114:115] op_sel:[0,0,1] op_sel_hi:[1,1,0] neg_lo:[0,0,1] neg_hi:[0,0,1]
	v_pk_fma_f32 v[114:115], v[116:117], v[104:105], v[114:115] op_sel:[0,0,1] op_sel_hi:[1,0,0]
	v_mov_b32_e32 v119, v115
	ds_load_2addr_b64 v[114:117], v108 offset0:25 offset1:26
	v_pk_add_f32 v[56:57], v[56:57], v[118:119] neg_lo:[0,1] neg_hi:[0,1]
	s_wait_dscnt 0x0
	v_pk_mul_f32 v[118:119], v[114:115], v[106:107] op_sel:[0,1]
	s_delay_alu instid0(VALU_DEP_1) | instskip(SKIP_1) | instid1(VALU_DEP_1)
	v_pk_fma_f32 v[120:121], v[114:115], v[104:105], v[118:119] op_sel:[0,0,1] op_sel_hi:[1,1,0] neg_lo:[0,0,1] neg_hi:[0,0,1]
	v_pk_fma_f32 v[114:115], v[114:115], v[104:105], v[118:119] op_sel:[0,0,1] op_sel_hi:[1,0,0]
	v_mov_b32_e32 v121, v115
	v_pk_mul_f32 v[114:115], v[116:117], v[106:107] op_sel:[0,1]
	s_delay_alu instid0(VALU_DEP_2) | instskip(NEXT) | instid1(VALU_DEP_2)
	v_pk_add_f32 v[48:49], v[48:49], v[120:121] neg_lo:[0,1] neg_hi:[0,1]
	v_pk_fma_f32 v[118:119], v[116:117], v[104:105], v[114:115] op_sel:[0,0,1] op_sel_hi:[1,1,0] neg_lo:[0,0,1] neg_hi:[0,0,1]
	v_pk_fma_f32 v[114:115], v[116:117], v[104:105], v[114:115] op_sel:[0,0,1] op_sel_hi:[1,0,0]
	s_delay_alu instid0(VALU_DEP_1) | instskip(SKIP_4) | instid1(VALU_DEP_1)
	v_mov_b32_e32 v119, v115
	ds_load_2addr_b64 v[114:117], v108 offset0:27 offset1:28
	v_pk_add_f32 v[54:55], v[54:55], v[118:119] neg_lo:[0,1] neg_hi:[0,1]
	s_wait_dscnt 0x0
	v_pk_mul_f32 v[118:119], v[114:115], v[106:107] op_sel:[0,1]
	v_pk_fma_f32 v[120:121], v[114:115], v[104:105], v[118:119] op_sel:[0,0,1] op_sel_hi:[1,1,0] neg_lo:[0,0,1] neg_hi:[0,0,1]
	v_pk_fma_f32 v[114:115], v[114:115], v[104:105], v[118:119] op_sel:[0,0,1] op_sel_hi:[1,0,0]
	v_dual_mul_f32 v118, v117, v107 :: v_dual_mov_b32 v114, v117
	s_delay_alu instid0(VALU_DEP_2) | instskip(NEXT) | instid1(VALU_DEP_2)
	v_dual_mov_b32 v121, v115 :: v_dual_mov_b32 v115, v116
	v_pk_fma_f32 v[118:119], v[116:117], v[88:89], v[118:119] op_sel_hi:[1,1,0] neg_lo:[0,0,1] neg_hi:[0,0,1]
	v_mul_f32_e32 v116, v117, v104
	s_delay_alu instid0(VALU_DEP_3) | instskip(NEXT) | instid1(VALU_DEP_2)
	v_pk_add_f32 v[46:47], v[46:47], v[120:121] neg_lo:[0,1] neg_hi:[0,1]
	v_pk_fma_f32 v[114:115], v[114:115], v[88:89], v[116:117] op_sel_hi:[1,1,0]
	s_delay_alu instid0(VALU_DEP_1) | instskip(SKIP_4) | instid1(VALU_DEP_1)
	v_mov_b32_e32 v119, v115
	ds_load_2addr_b64 v[114:117], v108 offset0:29 offset1:30
	v_pk_add_f32 v[44:45], v[44:45], v[118:119] neg_lo:[0,1] neg_hi:[0,1]
	s_wait_dscnt 0x0
	v_pk_mul_f32 v[118:119], v[114:115], v[106:107] op_sel:[0,1]
	v_pk_fma_f32 v[120:121], v[114:115], v[104:105], v[118:119] op_sel:[0,0,1] op_sel_hi:[1,1,0] neg_lo:[0,0,1] neg_hi:[0,0,1]
	v_pk_fma_f32 v[114:115], v[114:115], v[104:105], v[118:119] op_sel:[0,0,1] op_sel_hi:[1,0,0]
	s_delay_alu instid0(VALU_DEP_1) | instskip(SKIP_1) | instid1(VALU_DEP_1)
	v_mov_b32_e32 v121, v115
	v_pk_mul_f32 v[114:115], v[116:117], v[106:107] op_sel:[0,1]
	v_pk_fma_f32 v[118:119], v[116:117], v[104:105], v[114:115] op_sel:[0,0,1] op_sel_hi:[1,1,0] neg_lo:[0,0,1] neg_hi:[0,0,1]
	v_pk_fma_f32 v[114:115], v[116:117], v[104:105], v[114:115] op_sel:[0,0,1] op_sel_hi:[1,0,0]
	s_delay_alu instid0(VALU_DEP_1)
	v_mov_b32_e32 v119, v115
	ds_load_2addr_b64 v[114:117], v108 offset0:31 offset1:32
	v_pk_add_f32 v[40:41], v[40:41], v[120:121] neg_lo:[0,1] neg_hi:[0,1]
	v_pk_add_f32 v[42:43], v[42:43], v[118:119] neg_lo:[0,1] neg_hi:[0,1]
	s_wait_dscnt 0x0
	v_pk_mul_f32 v[118:119], v[114:115], v[106:107] op_sel:[0,1]
	s_delay_alu instid0(VALU_DEP_1) | instskip(SKIP_1) | instid1(VALU_DEP_1)
	v_pk_fma_f32 v[120:121], v[114:115], v[104:105], v[118:119] op_sel:[0,0,1] op_sel_hi:[1,1,0] neg_lo:[0,0,1] neg_hi:[0,0,1]
	v_pk_fma_f32 v[114:115], v[114:115], v[104:105], v[118:119] op_sel:[0,0,1] op_sel_hi:[1,0,0]
	v_mov_b32_e32 v121, v115
	v_pk_mul_f32 v[114:115], v[116:117], v[106:107] op_sel:[0,1]
	s_delay_alu instid0(VALU_DEP_1) | instskip(SKIP_1) | instid1(VALU_DEP_1)
	v_pk_fma_f32 v[118:119], v[116:117], v[104:105], v[114:115] op_sel:[0,0,1] op_sel_hi:[1,1,0] neg_lo:[0,0,1] neg_hi:[0,0,1]
	v_pk_fma_f32 v[114:115], v[116:117], v[104:105], v[114:115] op_sel:[0,0,1] op_sel_hi:[1,0,0]
	v_mov_b32_e32 v119, v115
	ds_load_2addr_b64 v[114:117], v108 offset0:33 offset1:34
	v_pk_add_f32 v[38:39], v[38:39], v[120:121] neg_lo:[0,1] neg_hi:[0,1]
	v_pk_add_f32 v[36:37], v[36:37], v[118:119] neg_lo:[0,1] neg_hi:[0,1]
	s_wait_dscnt 0x0
	v_dual_mul_f32 v118, v115, v107 :: v_dual_mul_f32 v120, v115, v104
	s_delay_alu instid0(VALU_DEP_1) | instskip(NEXT) | instid1(VALU_DEP_2)
	v_pk_fma_f32 v[118:119], v[114:115], v[88:89], v[118:119] op_sel_hi:[1,1,0] neg_lo:[0,0,1] neg_hi:[0,0,1]
	v_pk_fma_f32 v[114:115], v[114:115], v[88:89], v[120:121] op_sel:[1,0,0] op_sel_hi:[0,1,0]
	s_delay_alu instid0(VALU_DEP_1) | instskip(SKIP_1) | instid1(VALU_DEP_2)
	v_mov_b32_e32 v119, v115
	v_pk_mul_f32 v[114:115], v[116:117], v[106:107] op_sel:[0,1]
	v_pk_add_f32 v[32:33], v[32:33], v[118:119] neg_lo:[0,1] neg_hi:[0,1]
	s_delay_alu instid0(VALU_DEP_2) | instskip(SKIP_1) | instid1(VALU_DEP_1)
	v_pk_fma_f32 v[118:119], v[116:117], v[104:105], v[114:115] op_sel:[0,0,1] op_sel_hi:[1,1,0] neg_lo:[0,0,1] neg_hi:[0,0,1]
	v_pk_fma_f32 v[114:115], v[116:117], v[104:105], v[114:115] op_sel:[0,0,1] op_sel_hi:[1,0,0]
	v_mov_b32_e32 v119, v115
	ds_load_2addr_b64 v[114:117], v108 offset0:35 offset1:36
	v_pk_add_f32 v[34:35], v[34:35], v[118:119] neg_lo:[0,1] neg_hi:[0,1]
	s_wait_dscnt 0x0
	v_pk_mul_f32 v[118:119], v[114:115], v[106:107] op_sel:[0,1]
	s_delay_alu instid0(VALU_DEP_1) | instskip(SKIP_1) | instid1(VALU_DEP_1)
	v_pk_fma_f32 v[120:121], v[114:115], v[104:105], v[118:119] op_sel:[0,0,1] op_sel_hi:[1,1,0] neg_lo:[0,0,1] neg_hi:[0,0,1]
	v_pk_fma_f32 v[114:115], v[114:115], v[104:105], v[118:119] op_sel:[0,0,1] op_sel_hi:[1,0,0]
	v_mov_b32_e32 v121, v115
	v_pk_mul_f32 v[114:115], v[116:117], v[106:107] op_sel:[0,1]
	s_delay_alu instid0(VALU_DEP_2) | instskip(NEXT) | instid1(VALU_DEP_2)
	v_pk_add_f32 v[30:31], v[30:31], v[120:121] neg_lo:[0,1] neg_hi:[0,1]
	v_pk_fma_f32 v[118:119], v[116:117], v[104:105], v[114:115] op_sel:[0,0,1] op_sel_hi:[1,1,0] neg_lo:[0,0,1] neg_hi:[0,0,1]
	v_pk_fma_f32 v[114:115], v[116:117], v[104:105], v[114:115] op_sel:[0,0,1] op_sel_hi:[1,0,0]
	s_delay_alu instid0(VALU_DEP_1) | instskip(SKIP_4) | instid1(VALU_DEP_1)
	v_mov_b32_e32 v119, v115
	ds_load_2addr_b64 v[114:117], v108 offset0:37 offset1:38
	v_pk_add_f32 v[26:27], v[26:27], v[118:119] neg_lo:[0,1] neg_hi:[0,1]
	s_wait_dscnt 0x0
	v_pk_mul_f32 v[118:119], v[114:115], v[106:107] op_sel:[0,1]
	v_pk_fma_f32 v[120:121], v[114:115], v[104:105], v[118:119] op_sel:[0,0,1] op_sel_hi:[1,1,0] neg_lo:[0,0,1] neg_hi:[0,0,1]
	v_pk_fma_f32 v[114:115], v[114:115], v[104:105], v[118:119] op_sel:[0,0,1] op_sel_hi:[1,0,0]
	v_dual_mul_f32 v118, v117, v107 :: v_dual_mov_b32 v114, v117
	s_delay_alu instid0(VALU_DEP_2) | instskip(NEXT) | instid1(VALU_DEP_2)
	v_dual_mov_b32 v121, v115 :: v_dual_mov_b32 v115, v116
	v_pk_fma_f32 v[118:119], v[116:117], v[88:89], v[118:119] op_sel_hi:[1,1,0] neg_lo:[0,0,1] neg_hi:[0,0,1]
	v_mul_f32_e32 v116, v117, v104
	s_delay_alu instid0(VALU_DEP_3) | instskip(NEXT) | instid1(VALU_DEP_2)
	v_pk_add_f32 v[22:23], v[22:23], v[120:121] neg_lo:[0,1] neg_hi:[0,1]
	v_pk_fma_f32 v[114:115], v[114:115], v[88:89], v[116:117] op_sel_hi:[1,1,0]
	s_delay_alu instid0(VALU_DEP_1) | instskip(SKIP_4) | instid1(VALU_DEP_1)
	v_mov_b32_e32 v119, v115
	ds_load_2addr_b64 v[114:117], v108 offset0:39 offset1:40
	v_pk_add_f32 v[24:25], v[24:25], v[118:119] neg_lo:[0,1] neg_hi:[0,1]
	s_wait_dscnt 0x0
	v_pk_mul_f32 v[118:119], v[114:115], v[106:107] op_sel:[0,1]
	v_pk_fma_f32 v[120:121], v[114:115], v[104:105], v[118:119] op_sel:[0,0,1] op_sel_hi:[1,1,0] neg_lo:[0,0,1] neg_hi:[0,0,1]
	v_pk_fma_f32 v[114:115], v[114:115], v[104:105], v[118:119] op_sel:[0,0,1] op_sel_hi:[1,0,0]
	s_delay_alu instid0(VALU_DEP_1) | instskip(SKIP_1) | instid1(VALU_DEP_1)
	v_mov_b32_e32 v121, v115
	v_pk_mul_f32 v[114:115], v[116:117], v[106:107] op_sel:[0,1]
	v_pk_fma_f32 v[118:119], v[116:117], v[104:105], v[114:115] op_sel:[0,0,1] op_sel_hi:[1,1,0] neg_lo:[0,0,1] neg_hi:[0,0,1]
	v_pk_fma_f32 v[114:115], v[116:117], v[104:105], v[114:115] op_sel:[0,0,1] op_sel_hi:[1,0,0]
	s_delay_alu instid0(VALU_DEP_1)
	v_mov_b32_e32 v119, v115
	ds_load_2addr_b64 v[114:117], v108 offset0:41 offset1:42
	v_pk_add_f32 v[20:21], v[20:21], v[120:121] neg_lo:[0,1] neg_hi:[0,1]
	v_pk_add_f32 v[14:15], v[14:15], v[118:119] neg_lo:[0,1] neg_hi:[0,1]
	s_wait_dscnt 0x0
	v_pk_mul_f32 v[118:119], v[114:115], v[106:107] op_sel:[0,1]
	s_delay_alu instid0(VALU_DEP_1) | instskip(SKIP_1) | instid1(VALU_DEP_1)
	v_pk_fma_f32 v[120:121], v[114:115], v[104:105], v[118:119] op_sel:[0,0,1] op_sel_hi:[1,1,0] neg_lo:[0,0,1] neg_hi:[0,0,1]
	v_pk_fma_f32 v[114:115], v[114:115], v[104:105], v[118:119] op_sel:[0,0,1] op_sel_hi:[1,0,0]
	v_mov_b32_e32 v121, v115
	v_pk_mul_f32 v[114:115], v[116:117], v[106:107] op_sel:[0,1]
	s_delay_alu instid0(VALU_DEP_1) | instskip(SKIP_1) | instid1(VALU_DEP_1)
	v_pk_fma_f32 v[118:119], v[116:117], v[104:105], v[114:115] op_sel:[0,0,1] op_sel_hi:[1,1,0] neg_lo:[0,0,1] neg_hi:[0,0,1]
	v_pk_fma_f32 v[114:115], v[116:117], v[104:105], v[114:115] op_sel:[0,0,1] op_sel_hi:[1,0,0]
	v_mov_b32_e32 v119, v115
	ds_load_2addr_b64 v[114:117], v108 offset0:43 offset1:44
	v_pk_add_f32 v[10:11], v[10:11], v[120:121] neg_lo:[0,1] neg_hi:[0,1]
	v_pk_add_f32 v[12:13], v[12:13], v[118:119] neg_lo:[0,1] neg_hi:[0,1]
	s_wait_dscnt 0x0
	v_dual_mul_f32 v118, v115, v107 :: v_dual_mul_f32 v120, v115, v104
	s_delay_alu instid0(VALU_DEP_1) | instskip(NEXT) | instid1(VALU_DEP_2)
	v_pk_fma_f32 v[118:119], v[114:115], v[88:89], v[118:119] op_sel_hi:[1,1,0] neg_lo:[0,0,1] neg_hi:[0,0,1]
	v_pk_fma_f32 v[114:115], v[114:115], v[88:89], v[120:121] op_sel:[1,0,0] op_sel_hi:[0,1,0]
	s_delay_alu instid0(VALU_DEP_1) | instskip(SKIP_1) | instid1(VALU_DEP_2)
	v_mov_b32_e32 v119, v115
	v_pk_mul_f32 v[114:115], v[116:117], v[106:107] op_sel:[0,1]
	v_pk_add_f32 v[8:9], v[8:9], v[118:119] neg_lo:[0,1] neg_hi:[0,1]
	s_delay_alu instid0(VALU_DEP_2) | instskip(SKIP_1) | instid1(VALU_DEP_1)
	v_pk_fma_f32 v[118:119], v[116:117], v[104:105], v[114:115] op_sel:[0,0,1] op_sel_hi:[1,1,0] neg_lo:[0,0,1] neg_hi:[0,0,1]
	v_pk_fma_f32 v[114:115], v[116:117], v[104:105], v[114:115] op_sel:[0,0,1] op_sel_hi:[1,0,0]
	v_mov_b32_e32 v119, v115
	ds_load_2addr_b64 v[114:117], v108 offset0:45 offset1:46
	v_pk_add_f32 v[6:7], v[6:7], v[118:119] neg_lo:[0,1] neg_hi:[0,1]
	s_wait_dscnt 0x0
	v_pk_mul_f32 v[118:119], v[114:115], v[106:107] op_sel:[0,1]
	s_delay_alu instid0(VALU_DEP_1) | instskip(SKIP_1) | instid1(VALU_DEP_1)
	v_pk_fma_f32 v[120:121], v[114:115], v[104:105], v[118:119] op_sel:[0,0,1] op_sel_hi:[1,1,0] neg_lo:[0,0,1] neg_hi:[0,0,1]
	v_pk_fma_f32 v[114:115], v[114:115], v[104:105], v[118:119] op_sel:[0,0,1] op_sel_hi:[1,0,0]
	v_mov_b32_e32 v121, v115
	v_pk_mul_f32 v[114:115], v[116:117], v[106:107] op_sel:[0,1]
	s_delay_alu instid0(VALU_DEP_2) | instskip(NEXT) | instid1(VALU_DEP_2)
	v_pk_add_f32 v[28:29], v[28:29], v[120:121] neg_lo:[0,1] neg_hi:[0,1]
	v_pk_fma_f32 v[118:119], v[116:117], v[104:105], v[114:115] op_sel:[0,0,1] op_sel_hi:[1,1,0] neg_lo:[0,0,1] neg_hi:[0,0,1]
	v_pk_fma_f32 v[114:115], v[116:117], v[104:105], v[114:115] op_sel:[0,0,1] op_sel_hi:[1,0,0]
	s_delay_alu instid0(VALU_DEP_1)
	v_mov_b32_e32 v119, v115
	ds_load_2addr_b64 v[114:117], v108 offset0:47 offset1:48
	v_pk_add_f32 v[18:19], v[18:19], v[118:119] neg_lo:[0,1] neg_hi:[0,1]
	s_wait_dscnt 0x0
	v_pk_mul_f32 v[118:119], v[114:115], v[106:107] op_sel:[0,1]
	v_pk_mul_f32 v[106:107], v[116:117], v[106:107] op_sel:[0,1]
	s_delay_alu instid0(VALU_DEP_2) | instskip(SKIP_1) | instid1(VALU_DEP_1)
	v_pk_fma_f32 v[120:121], v[114:115], v[104:105], v[118:119] op_sel:[0,0,1] op_sel_hi:[1,1,0] neg_lo:[0,0,1] neg_hi:[0,0,1]
	v_pk_fma_f32 v[114:115], v[114:115], v[104:105], v[118:119] op_sel:[0,0,1] op_sel_hi:[1,0,0]
	v_mov_b32_e32 v121, v115
	s_delay_alu instid0(VALU_DEP_4) | instskip(SKIP_1) | instid1(VALU_DEP_3)
	v_pk_fma_f32 v[114:115], v[116:117], v[104:105], v[106:107] op_sel:[0,0,1] op_sel_hi:[1,1,0] neg_lo:[0,0,1] neg_hi:[0,0,1]
	v_pk_fma_f32 v[104:105], v[116:117], v[104:105], v[106:107] op_sel:[0,0,1] op_sel_hi:[1,0,0]
	v_pk_add_f32 v[16:17], v[16:17], v[120:121] neg_lo:[0,1] neg_hi:[0,1]
	s_delay_alu instid0(VALU_DEP_2) | instskip(NEXT) | instid1(VALU_DEP_1)
	v_mov_b32_e32 v115, v105
	v_pk_add_f32 v[102:103], v[102:103], v[114:115] neg_lo:[0,1] neg_hi:[0,1]
.LBB96_314:
	s_or_b32 exec_lo, exec_lo, s0
	v_lshl_add_u32 v104, v112, 3, v108
	s_barrier_signal -1
	s_barrier_wait -1
	ds_store_b64 v104, v[84:85]
	s_wait_dscnt 0x0
	s_barrier_signal -1
	s_barrier_wait -1
	ds_load_b64 v[106:107], v108 offset:120
	v_mov_b32_e32 v104, 15
	s_cmp_lt_i32 s18, 17
	s_cbranch_scc1 .LBB96_317
; %bb.315:
	v_add3_u32 v105, v109, 0, 0x80
	v_mov_b32_e32 v104, 15
	s_mov_b32 s0, 16
.LBB96_316:                             ; =>This Inner Loop Header: Depth=1
	ds_load_b64 v[114:115], v105
	s_wait_dscnt 0x1
	v_cmp_gt_f32_e32 vcc_lo, 0, v106
	v_cndmask_b32_e64 v116, v106, -v106, vcc_lo
	v_cmp_gt_f32_e32 vcc_lo, 0, v107
	v_cndmask_b32_e64 v118, v107, -v107, vcc_lo
	s_wait_dscnt 0x0
	v_cmp_gt_f32_e32 vcc_lo, 0, v114
	v_cndmask_b32_e64 v117, v114, -v114, vcc_lo
	v_cmp_gt_f32_e32 vcc_lo, 0, v115
	v_cndmask_b32_e64 v119, v115, -v115, vcc_lo
	s_delay_alu instid0(VALU_DEP_1) | instskip(NEXT) | instid1(VALU_DEP_1)
	v_pk_add_f32 v[116:117], v[116:117], v[118:119]
	v_cmp_lt_f32_e32 vcc_lo, v116, v117
	v_dual_add_nc_u32 v105, 8, v105 :: v_dual_cndmask_b32 v107, v107, v115, vcc_lo
	v_cndmask_b32_e32 v106, v106, v114, vcc_lo
	v_cndmask_b32_e64 v104, v104, s0, vcc_lo
	s_add_co_i32 s0, s0, 1
	s_delay_alu instid0(SALU_CYCLE_1)
	s_cmp_lg_u32 s18, s0
	s_cbranch_scc1 .LBB96_316
.LBB96_317:
	s_wait_dscnt 0x0
	v_cmp_eq_f32_e32 vcc_lo, 0, v106
	v_cmp_eq_f32_e64 s0, 0, v107
	s_and_b32 s0, vcc_lo, s0
	s_delay_alu instid0(SALU_CYCLE_1) | instskip(NEXT) | instid1(SALU_CYCLE_1)
	s_and_saveexec_b32 s1, s0
	s_xor_b32 s0, exec_lo, s1
; %bb.318:
	v_cmp_ne_u32_e32 vcc_lo, 0, v110
	v_cndmask_b32_e32 v110, 16, v110, vcc_lo
; %bb.319:
	s_and_not1_saveexec_b32 s0, s0
	s_cbranch_execz .LBB96_325
; %bb.320:
	v_cmp_ngt_f32_e64 s1, |v106|, |v107|
	s_and_saveexec_b32 s12, s1
	s_delay_alu instid0(SALU_CYCLE_1)
	s_xor_b32 s1, exec_lo, s12
	s_cbranch_execz .LBB96_322
; %bb.321:
	v_div_scale_f32 v105, null, v107, v107, v106
	v_div_scale_f32 v115, vcc_lo, v106, v107, v106
	s_delay_alu instid0(VALU_DEP_2) | instskip(SKIP_1) | instid1(TRANS32_DEP_1)
	v_rcp_f32_e32 v113, v105
	v_nop
	v_fma_f32 v114, -v105, v113, 1.0
	s_delay_alu instid0(VALU_DEP_1) | instskip(NEXT) | instid1(VALU_DEP_1)
	v_fmac_f32_e32 v113, v114, v113
	v_mul_f32_e32 v114, v115, v113
	s_delay_alu instid0(VALU_DEP_1) | instskip(NEXT) | instid1(VALU_DEP_1)
	v_fma_f32 v116, -v105, v114, v115
	v_fmac_f32_e32 v114, v116, v113
	s_delay_alu instid0(VALU_DEP_1) | instskip(NEXT) | instid1(VALU_DEP_1)
	v_fma_f32 v105, -v105, v114, v115
	v_div_fmas_f32 v105, v105, v113, v114
	s_delay_alu instid0(VALU_DEP_1) | instskip(NEXT) | instid1(VALU_DEP_1)
	v_div_fixup_f32 v105, v105, v107, v106
	v_fmac_f32_e32 v107, v106, v105
	s_delay_alu instid0(VALU_DEP_1) | instskip(SKIP_1) | instid1(VALU_DEP_2)
	v_div_scale_f32 v106, null, v107, v107, 1.0
	v_div_scale_f32 v115, vcc_lo, 1.0, v107, 1.0
	v_rcp_f32_e32 v113, v106
	v_nop
	s_delay_alu instid0(TRANS32_DEP_1) | instskip(NEXT) | instid1(VALU_DEP_1)
	v_fma_f32 v114, -v106, v113, 1.0
	v_fmac_f32_e32 v113, v114, v113
	s_delay_alu instid0(VALU_DEP_1) | instskip(NEXT) | instid1(VALU_DEP_1)
	v_mul_f32_e32 v114, v115, v113
	v_fma_f32 v116, -v106, v114, v115
	s_delay_alu instid0(VALU_DEP_1) | instskip(NEXT) | instid1(VALU_DEP_1)
	v_fmac_f32_e32 v114, v116, v113
	v_fma_f32 v106, -v106, v114, v115
	s_delay_alu instid0(VALU_DEP_1) | instskip(NEXT) | instid1(VALU_DEP_1)
	v_div_fmas_f32 v106, v106, v113, v114
	v_div_fixup_f32 v107, v106, v107, 1.0
	s_delay_alu instid0(VALU_DEP_1)
	v_mul_f32_e32 v106, v105, v107
	v_xor_b32_e32 v107, 0x80000000, v107
.LBB96_322:
	s_and_not1_saveexec_b32 s1, s1
	s_cbranch_execz .LBB96_324
; %bb.323:
	s_delay_alu instid0(VALU_DEP_1) | instskip(SKIP_1) | instid1(VALU_DEP_2)
	v_div_scale_f32 v105, null, v106, v106, v107
	v_div_scale_f32 v115, vcc_lo, v107, v106, v107
	v_rcp_f32_e32 v113, v105
	v_nop
	s_delay_alu instid0(TRANS32_DEP_1) | instskip(NEXT) | instid1(VALU_DEP_1)
	v_fma_f32 v114, -v105, v113, 1.0
	v_fmac_f32_e32 v113, v114, v113
	s_delay_alu instid0(VALU_DEP_1) | instskip(NEXT) | instid1(VALU_DEP_1)
	v_mul_f32_e32 v114, v115, v113
	v_fma_f32 v116, -v105, v114, v115
	s_delay_alu instid0(VALU_DEP_1) | instskip(NEXT) | instid1(VALU_DEP_1)
	v_fmac_f32_e32 v114, v116, v113
	v_fma_f32 v105, -v105, v114, v115
	s_delay_alu instid0(VALU_DEP_1) | instskip(NEXT) | instid1(VALU_DEP_1)
	v_div_fmas_f32 v105, v105, v113, v114
	v_div_fixup_f32 v105, v105, v106, v107
	s_delay_alu instid0(VALU_DEP_1) | instskip(NEXT) | instid1(VALU_DEP_1)
	v_fmac_f32_e32 v106, v107, v105
	v_div_scale_f32 v107, null, v106, v106, 1.0
	s_delay_alu instid0(VALU_DEP_1) | instskip(SKIP_1) | instid1(TRANS32_DEP_1)
	v_rcp_f32_e32 v113, v107
	v_nop
	v_fma_f32 v114, -v107, v113, 1.0
	s_delay_alu instid0(VALU_DEP_1) | instskip(SKIP_1) | instid1(VALU_DEP_1)
	v_fmac_f32_e32 v113, v114, v113
	v_div_scale_f32 v114, vcc_lo, 1.0, v106, 1.0
	v_mul_f32_e32 v115, v114, v113
	s_delay_alu instid0(VALU_DEP_1) | instskip(NEXT) | instid1(VALU_DEP_1)
	v_fma_f32 v116, -v107, v115, v114
	v_fmac_f32_e32 v115, v116, v113
	s_delay_alu instid0(VALU_DEP_1) | instskip(NEXT) | instid1(VALU_DEP_1)
	v_fma_f32 v107, -v107, v115, v114
	v_div_fmas_f32 v107, v107, v113, v115
	s_delay_alu instid0(VALU_DEP_1) | instskip(NEXT) | instid1(VALU_DEP_1)
	v_div_fixup_f32 v106, v107, v106, 1.0
	v_mul_f32_e64 v107, v105, -v106
.LBB96_324:
	s_or_b32 exec_lo, exec_lo, s1
.LBB96_325:
	s_delay_alu instid0(SALU_CYCLE_1) | instskip(NEXT) | instid1(SALU_CYCLE_1)
	s_or_b32 exec_lo, exec_lo, s0
	s_mov_b32 s0, exec_lo
	v_cmpx_ne_u32_e64 v112, v104
	s_xor_b32 s0, exec_lo, s0
	s_cbranch_execz .LBB96_331
; %bb.326:
	s_mov_b32 s1, exec_lo
	v_cmpx_eq_u32_e32 15, v112
	s_cbranch_execz .LBB96_330
; %bb.327:
	v_cmp_ne_u32_e32 vcc_lo, 15, v104
	s_xor_b32 s12, s16, -1
	s_delay_alu instid0(SALU_CYCLE_1) | instskip(NEXT) | instid1(SALU_CYCLE_1)
	s_and_b32 s13, s12, vcc_lo
	s_and_saveexec_b32 s12, s13
	s_cbranch_execz .LBB96_329
; %bb.328:
	v_ashrrev_i32_e32 v105, 31, v104
	s_delay_alu instid0(VALU_DEP_1)
	v_lshl_add_u64 v[112:113], v[104:105], 2, v[4:5]
	s_clause 0x1
	global_load_b32 v105, v[112:113], off
	global_load_b32 v111, v[4:5], off offset:60
	s_wait_loadcnt 0x1
	global_store_b32 v[4:5], v105, off offset:60
	s_wait_loadcnt 0x0
	global_store_b32 v[112:113], v111, off
.LBB96_329:
	s_wait_xcnt 0x0
	s_or_b32 exec_lo, exec_lo, s12
	v_dual_mov_b32 v112, v104 :: v_dual_mov_b32 v111, v104
.LBB96_330:
	s_or_b32 exec_lo, exec_lo, s1
.LBB96_331:
	s_and_not1_saveexec_b32 s0, s0
	s_cbranch_execz .LBB96_333
; %bb.332:
	v_dual_mov_b32 v104, v82 :: v_dual_mov_b32 v105, v83
	v_dual_mov_b32 v112, v78 :: v_dual_mov_b32 v113, v79
	ds_store_2addr_b64 v108, v[104:105], v[112:113] offset0:16 offset1:17
	v_dual_mov_b32 v104, v80 :: v_dual_mov_b32 v105, v81
	v_dual_mov_b32 v112, v76 :: v_dual_mov_b32 v113, v77
	ds_store_2addr_b64 v108, v[104:105], v[112:113] offset0:18 offset1:19
	;; [unrolled: 3-line block ×16, first 2 shown]
	ds_store_b64 v108, v[102:103] offset:384
	v_mov_b32_e32 v112, 15
.LBB96_333:
	s_or_b32 exec_lo, exec_lo, s0
	s_delay_alu instid0(SALU_CYCLE_1)
	s_mov_b32 s0, exec_lo
	s_wait_storecnt_dscnt 0x0
	s_barrier_signal -1
	s_barrier_wait -1
	v_cmpx_lt_i32_e32 15, v112
	s_cbranch_execz .LBB96_335
; %bb.334:
	v_pk_mul_f32 v[114:115], v[106:107], v[84:85] op_sel:[1,1] op_sel_hi:[0,1]
	s_delay_alu instid0(VALU_DEP_1)
	v_pk_fma_f32 v[104:105], v[106:107], v[84:85], v[114:115] op_sel_hi:[1,0,1] neg_lo:[0,0,1] neg_hi:[0,0,1]
	v_pk_fma_f32 v[106:107], v[106:107], v[84:85], v[114:115] op_sel_hi:[1,0,1]
	ds_load_2addr_b64 v[114:117], v108 offset0:16 offset1:17
	v_dual_mov_b32 v84, v104 :: v_dual_mov_b32 v85, v107
	s_wait_dscnt 0x0
	v_pk_mul_f32 v[118:119], v[114:115], v[106:107] op_sel:[0,1]
	s_delay_alu instid0(VALU_DEP_1) | instskip(SKIP_1) | instid1(VALU_DEP_1)
	v_pk_fma_f32 v[120:121], v[114:115], v[104:105], v[118:119] op_sel:[0,0,1] op_sel_hi:[1,1,0] neg_lo:[0,0,1] neg_hi:[0,0,1]
	v_pk_fma_f32 v[114:115], v[114:115], v[104:105], v[118:119] op_sel:[0,0,1] op_sel_hi:[1,0,0]
	v_mov_b32_e32 v121, v115
	v_pk_mul_f32 v[114:115], v[116:117], v[106:107] op_sel:[0,1]
	s_delay_alu instid0(VALU_DEP_1) | instskip(SKIP_1) | instid1(VALU_DEP_1)
	v_pk_fma_f32 v[118:119], v[116:117], v[104:105], v[114:115] op_sel:[0,0,1] op_sel_hi:[1,1,0] neg_lo:[0,0,1] neg_hi:[0,0,1]
	v_pk_fma_f32 v[114:115], v[116:117], v[104:105], v[114:115] op_sel:[0,0,1] op_sel_hi:[1,0,0]
	v_mov_b32_e32 v119, v115
	ds_load_2addr_b64 v[114:117], v108 offset0:18 offset1:19
	v_pk_add_f32 v[82:83], v[82:83], v[120:121] neg_lo:[0,1] neg_hi:[0,1]
	v_pk_add_f32 v[78:79], v[78:79], v[118:119] neg_lo:[0,1] neg_hi:[0,1]
	s_wait_dscnt 0x0
	v_pk_mul_f32 v[118:119], v[114:115], v[106:107] op_sel:[0,1]
	s_delay_alu instid0(VALU_DEP_1) | instskip(SKIP_2) | instid1(VALU_DEP_2)
	v_pk_fma_f32 v[120:121], v[114:115], v[104:105], v[118:119] op_sel:[0,0,1] op_sel_hi:[1,1,0] neg_lo:[0,0,1] neg_hi:[0,0,1]
	v_pk_fma_f32 v[114:115], v[114:115], v[104:105], v[118:119] op_sel:[0,0,1] op_sel_hi:[1,0,0]
	v_dual_mul_f32 v118, v117, v107 :: v_dual_mov_b32 v114, v117
	v_dual_mov_b32 v121, v115 :: v_dual_mov_b32 v115, v116
	s_delay_alu instid0(VALU_DEP_2) | instskip(SKIP_1) | instid1(VALU_DEP_3)
	v_pk_fma_f32 v[118:119], v[116:117], v[84:85], v[118:119] op_sel_hi:[1,1,0] neg_lo:[0,0,1] neg_hi:[0,0,1]
	v_mul_f32_e32 v116, v117, v104
	v_pk_add_f32 v[80:81], v[80:81], v[120:121] neg_lo:[0,1] neg_hi:[0,1]
	s_delay_alu instid0(VALU_DEP_2) | instskip(NEXT) | instid1(VALU_DEP_1)
	v_pk_fma_f32 v[114:115], v[114:115], v[84:85], v[116:117] op_sel_hi:[1,1,0]
	v_mov_b32_e32 v119, v115
	ds_load_2addr_b64 v[114:117], v108 offset0:20 offset1:21
	v_pk_add_f32 v[76:77], v[76:77], v[118:119] neg_lo:[0,1] neg_hi:[0,1]
	s_wait_dscnt 0x0
	v_pk_mul_f32 v[118:119], v[114:115], v[106:107] op_sel:[0,1]
	s_delay_alu instid0(VALU_DEP_1) | instskip(SKIP_1) | instid1(VALU_DEP_1)
	v_pk_fma_f32 v[120:121], v[114:115], v[104:105], v[118:119] op_sel:[0,0,1] op_sel_hi:[1,1,0] neg_lo:[0,0,1] neg_hi:[0,0,1]
	v_pk_fma_f32 v[114:115], v[114:115], v[104:105], v[118:119] op_sel:[0,0,1] op_sel_hi:[1,0,0]
	v_mov_b32_e32 v121, v115
	v_pk_mul_f32 v[114:115], v[116:117], v[106:107] op_sel:[0,1]
	s_delay_alu instid0(VALU_DEP_1) | instskip(SKIP_1) | instid1(VALU_DEP_1)
	v_pk_fma_f32 v[118:119], v[116:117], v[104:105], v[114:115] op_sel:[0,0,1] op_sel_hi:[1,1,0] neg_lo:[0,0,1] neg_hi:[0,0,1]
	v_pk_fma_f32 v[114:115], v[116:117], v[104:105], v[114:115] op_sel:[0,0,1] op_sel_hi:[1,0,0]
	v_mov_b32_e32 v119, v115
	ds_load_2addr_b64 v[114:117], v108 offset0:22 offset1:23
	v_pk_add_f32 v[74:75], v[74:75], v[120:121] neg_lo:[0,1] neg_hi:[0,1]
	v_pk_add_f32 v[70:71], v[70:71], v[118:119] neg_lo:[0,1] neg_hi:[0,1]
	s_wait_dscnt 0x0
	v_pk_mul_f32 v[118:119], v[114:115], v[106:107] op_sel:[0,1]
	s_delay_alu instid0(VALU_DEP_1) | instskip(SKIP_1) | instid1(VALU_DEP_1)
	v_pk_fma_f32 v[120:121], v[114:115], v[104:105], v[118:119] op_sel:[0,0,1] op_sel_hi:[1,1,0] neg_lo:[0,0,1] neg_hi:[0,0,1]
	v_pk_fma_f32 v[114:115], v[114:115], v[104:105], v[118:119] op_sel:[0,0,1] op_sel_hi:[1,0,0]
	v_mov_b32_e32 v121, v115
	v_pk_mul_f32 v[114:115], v[116:117], v[106:107] op_sel:[0,1]
	s_delay_alu instid0(VALU_DEP_1) | instskip(SKIP_1) | instid1(VALU_DEP_1)
	v_pk_fma_f32 v[118:119], v[116:117], v[104:105], v[114:115] op_sel:[0,0,1] op_sel_hi:[1,1,0] neg_lo:[0,0,1] neg_hi:[0,0,1]
	v_pk_fma_f32 v[114:115], v[116:117], v[104:105], v[114:115] op_sel:[0,0,1] op_sel_hi:[1,0,0]
	v_mov_b32_e32 v119, v115
	ds_load_2addr_b64 v[114:117], v108 offset0:24 offset1:25
	v_pk_add_f32 v[72:73], v[72:73], v[120:121] neg_lo:[0,1] neg_hi:[0,1]
	v_pk_add_f32 v[68:69], v[68:69], v[118:119] neg_lo:[0,1] neg_hi:[0,1]
	s_wait_dscnt 0x0
	v_dual_mul_f32 v118, v115, v107 :: v_dual_mul_f32 v120, v115, v104
	s_delay_alu instid0(VALU_DEP_1) | instskip(NEXT) | instid1(VALU_DEP_2)
	v_pk_fma_f32 v[118:119], v[114:115], v[84:85], v[118:119] op_sel_hi:[1,1,0] neg_lo:[0,0,1] neg_hi:[0,0,1]
	v_pk_fma_f32 v[114:115], v[114:115], v[84:85], v[120:121] op_sel:[1,0,0] op_sel_hi:[0,1,0]
	s_delay_alu instid0(VALU_DEP_1) | instskip(SKIP_1) | instid1(VALU_DEP_2)
	v_mov_b32_e32 v119, v115
	v_pk_mul_f32 v[114:115], v[116:117], v[106:107] op_sel:[0,1]
	v_pk_add_f32 v[56:57], v[56:57], v[118:119] neg_lo:[0,1] neg_hi:[0,1]
	s_delay_alu instid0(VALU_DEP_2) | instskip(SKIP_1) | instid1(VALU_DEP_1)
	v_pk_fma_f32 v[118:119], v[116:117], v[104:105], v[114:115] op_sel:[0,0,1] op_sel_hi:[1,1,0] neg_lo:[0,0,1] neg_hi:[0,0,1]
	v_pk_fma_f32 v[114:115], v[116:117], v[104:105], v[114:115] op_sel:[0,0,1] op_sel_hi:[1,0,0]
	v_mov_b32_e32 v119, v115
	ds_load_2addr_b64 v[114:117], v108 offset0:26 offset1:27
	v_pk_add_f32 v[48:49], v[48:49], v[118:119] neg_lo:[0,1] neg_hi:[0,1]
	s_wait_dscnt 0x0
	v_pk_mul_f32 v[118:119], v[114:115], v[106:107] op_sel:[0,1]
	s_delay_alu instid0(VALU_DEP_1) | instskip(SKIP_1) | instid1(VALU_DEP_1)
	v_pk_fma_f32 v[120:121], v[114:115], v[104:105], v[118:119] op_sel:[0,0,1] op_sel_hi:[1,1,0] neg_lo:[0,0,1] neg_hi:[0,0,1]
	v_pk_fma_f32 v[114:115], v[114:115], v[104:105], v[118:119] op_sel:[0,0,1] op_sel_hi:[1,0,0]
	v_mov_b32_e32 v121, v115
	v_pk_mul_f32 v[114:115], v[116:117], v[106:107] op_sel:[0,1]
	s_delay_alu instid0(VALU_DEP_2) | instskip(NEXT) | instid1(VALU_DEP_2)
	v_pk_add_f32 v[54:55], v[54:55], v[120:121] neg_lo:[0,1] neg_hi:[0,1]
	v_pk_fma_f32 v[118:119], v[116:117], v[104:105], v[114:115] op_sel:[0,0,1] op_sel_hi:[1,1,0] neg_lo:[0,0,1] neg_hi:[0,0,1]
	v_pk_fma_f32 v[114:115], v[116:117], v[104:105], v[114:115] op_sel:[0,0,1] op_sel_hi:[1,0,0]
	s_delay_alu instid0(VALU_DEP_1) | instskip(SKIP_4) | instid1(VALU_DEP_1)
	v_mov_b32_e32 v119, v115
	ds_load_2addr_b64 v[114:117], v108 offset0:28 offset1:29
	v_pk_add_f32 v[46:47], v[46:47], v[118:119] neg_lo:[0,1] neg_hi:[0,1]
	s_wait_dscnt 0x0
	v_pk_mul_f32 v[118:119], v[114:115], v[106:107] op_sel:[0,1]
	v_pk_fma_f32 v[120:121], v[114:115], v[104:105], v[118:119] op_sel:[0,0,1] op_sel_hi:[1,1,0] neg_lo:[0,0,1] neg_hi:[0,0,1]
	v_pk_fma_f32 v[114:115], v[114:115], v[104:105], v[118:119] op_sel:[0,0,1] op_sel_hi:[1,0,0]
	v_dual_mul_f32 v118, v117, v107 :: v_dual_mov_b32 v114, v117
	s_delay_alu instid0(VALU_DEP_2) | instskip(NEXT) | instid1(VALU_DEP_2)
	v_dual_mov_b32 v121, v115 :: v_dual_mov_b32 v115, v116
	v_pk_fma_f32 v[118:119], v[116:117], v[84:85], v[118:119] op_sel_hi:[1,1,0] neg_lo:[0,0,1] neg_hi:[0,0,1]
	v_mul_f32_e32 v116, v117, v104
	s_delay_alu instid0(VALU_DEP_3) | instskip(NEXT) | instid1(VALU_DEP_2)
	v_pk_add_f32 v[44:45], v[44:45], v[120:121] neg_lo:[0,1] neg_hi:[0,1]
	v_pk_fma_f32 v[114:115], v[114:115], v[84:85], v[116:117] op_sel_hi:[1,1,0]
	s_delay_alu instid0(VALU_DEP_1) | instskip(SKIP_4) | instid1(VALU_DEP_1)
	v_mov_b32_e32 v119, v115
	ds_load_2addr_b64 v[114:117], v108 offset0:30 offset1:31
	v_pk_add_f32 v[40:41], v[40:41], v[118:119] neg_lo:[0,1] neg_hi:[0,1]
	s_wait_dscnt 0x0
	v_pk_mul_f32 v[118:119], v[114:115], v[106:107] op_sel:[0,1]
	v_pk_fma_f32 v[120:121], v[114:115], v[104:105], v[118:119] op_sel:[0,0,1] op_sel_hi:[1,1,0] neg_lo:[0,0,1] neg_hi:[0,0,1]
	v_pk_fma_f32 v[114:115], v[114:115], v[104:105], v[118:119] op_sel:[0,0,1] op_sel_hi:[1,0,0]
	s_delay_alu instid0(VALU_DEP_1) | instskip(SKIP_1) | instid1(VALU_DEP_1)
	v_mov_b32_e32 v121, v115
	v_pk_mul_f32 v[114:115], v[116:117], v[106:107] op_sel:[0,1]
	v_pk_fma_f32 v[118:119], v[116:117], v[104:105], v[114:115] op_sel:[0,0,1] op_sel_hi:[1,1,0] neg_lo:[0,0,1] neg_hi:[0,0,1]
	v_pk_fma_f32 v[114:115], v[116:117], v[104:105], v[114:115] op_sel:[0,0,1] op_sel_hi:[1,0,0]
	s_delay_alu instid0(VALU_DEP_1)
	v_mov_b32_e32 v119, v115
	ds_load_2addr_b64 v[114:117], v108 offset0:32 offset1:33
	v_pk_add_f32 v[42:43], v[42:43], v[120:121] neg_lo:[0,1] neg_hi:[0,1]
	v_pk_add_f32 v[38:39], v[38:39], v[118:119] neg_lo:[0,1] neg_hi:[0,1]
	s_wait_dscnt 0x0
	v_pk_mul_f32 v[118:119], v[114:115], v[106:107] op_sel:[0,1]
	s_delay_alu instid0(VALU_DEP_1) | instskip(SKIP_1) | instid1(VALU_DEP_1)
	v_pk_fma_f32 v[120:121], v[114:115], v[104:105], v[118:119] op_sel:[0,0,1] op_sel_hi:[1,1,0] neg_lo:[0,0,1] neg_hi:[0,0,1]
	v_pk_fma_f32 v[114:115], v[114:115], v[104:105], v[118:119] op_sel:[0,0,1] op_sel_hi:[1,0,0]
	v_mov_b32_e32 v121, v115
	v_pk_mul_f32 v[114:115], v[116:117], v[106:107] op_sel:[0,1]
	s_delay_alu instid0(VALU_DEP_1) | instskip(SKIP_1) | instid1(VALU_DEP_1)
	v_pk_fma_f32 v[118:119], v[116:117], v[104:105], v[114:115] op_sel:[0,0,1] op_sel_hi:[1,1,0] neg_lo:[0,0,1] neg_hi:[0,0,1]
	v_pk_fma_f32 v[114:115], v[116:117], v[104:105], v[114:115] op_sel:[0,0,1] op_sel_hi:[1,0,0]
	v_mov_b32_e32 v119, v115
	ds_load_2addr_b64 v[114:117], v108 offset0:34 offset1:35
	v_pk_add_f32 v[36:37], v[36:37], v[120:121] neg_lo:[0,1] neg_hi:[0,1]
	v_pk_add_f32 v[32:33], v[32:33], v[118:119] neg_lo:[0,1] neg_hi:[0,1]
	s_wait_dscnt 0x0
	v_dual_mul_f32 v118, v115, v107 :: v_dual_mul_f32 v120, v115, v104
	s_delay_alu instid0(VALU_DEP_1) | instskip(NEXT) | instid1(VALU_DEP_2)
	v_pk_fma_f32 v[118:119], v[114:115], v[84:85], v[118:119] op_sel_hi:[1,1,0] neg_lo:[0,0,1] neg_hi:[0,0,1]
	v_pk_fma_f32 v[114:115], v[114:115], v[84:85], v[120:121] op_sel:[1,0,0] op_sel_hi:[0,1,0]
	s_delay_alu instid0(VALU_DEP_1) | instskip(SKIP_1) | instid1(VALU_DEP_2)
	v_mov_b32_e32 v119, v115
	v_pk_mul_f32 v[114:115], v[116:117], v[106:107] op_sel:[0,1]
	v_pk_add_f32 v[34:35], v[34:35], v[118:119] neg_lo:[0,1] neg_hi:[0,1]
	s_delay_alu instid0(VALU_DEP_2) | instskip(SKIP_1) | instid1(VALU_DEP_1)
	v_pk_fma_f32 v[118:119], v[116:117], v[104:105], v[114:115] op_sel:[0,0,1] op_sel_hi:[1,1,0] neg_lo:[0,0,1] neg_hi:[0,0,1]
	v_pk_fma_f32 v[114:115], v[116:117], v[104:105], v[114:115] op_sel:[0,0,1] op_sel_hi:[1,0,0]
	v_mov_b32_e32 v119, v115
	ds_load_2addr_b64 v[114:117], v108 offset0:36 offset1:37
	v_pk_add_f32 v[30:31], v[30:31], v[118:119] neg_lo:[0,1] neg_hi:[0,1]
	s_wait_dscnt 0x0
	v_pk_mul_f32 v[118:119], v[114:115], v[106:107] op_sel:[0,1]
	s_delay_alu instid0(VALU_DEP_1) | instskip(SKIP_1) | instid1(VALU_DEP_1)
	v_pk_fma_f32 v[120:121], v[114:115], v[104:105], v[118:119] op_sel:[0,0,1] op_sel_hi:[1,1,0] neg_lo:[0,0,1] neg_hi:[0,0,1]
	v_pk_fma_f32 v[114:115], v[114:115], v[104:105], v[118:119] op_sel:[0,0,1] op_sel_hi:[1,0,0]
	v_mov_b32_e32 v121, v115
	v_pk_mul_f32 v[114:115], v[116:117], v[106:107] op_sel:[0,1]
	s_delay_alu instid0(VALU_DEP_2) | instskip(NEXT) | instid1(VALU_DEP_2)
	v_pk_add_f32 v[26:27], v[26:27], v[120:121] neg_lo:[0,1] neg_hi:[0,1]
	v_pk_fma_f32 v[118:119], v[116:117], v[104:105], v[114:115] op_sel:[0,0,1] op_sel_hi:[1,1,0] neg_lo:[0,0,1] neg_hi:[0,0,1]
	v_pk_fma_f32 v[114:115], v[116:117], v[104:105], v[114:115] op_sel:[0,0,1] op_sel_hi:[1,0,0]
	s_delay_alu instid0(VALU_DEP_1) | instskip(SKIP_4) | instid1(VALU_DEP_1)
	v_mov_b32_e32 v119, v115
	ds_load_2addr_b64 v[114:117], v108 offset0:38 offset1:39
	v_pk_add_f32 v[22:23], v[22:23], v[118:119] neg_lo:[0,1] neg_hi:[0,1]
	s_wait_dscnt 0x0
	v_pk_mul_f32 v[118:119], v[114:115], v[106:107] op_sel:[0,1]
	v_pk_fma_f32 v[120:121], v[114:115], v[104:105], v[118:119] op_sel:[0,0,1] op_sel_hi:[1,1,0] neg_lo:[0,0,1] neg_hi:[0,0,1]
	v_pk_fma_f32 v[114:115], v[114:115], v[104:105], v[118:119] op_sel:[0,0,1] op_sel_hi:[1,0,0]
	v_dual_mul_f32 v118, v117, v107 :: v_dual_mov_b32 v114, v117
	s_delay_alu instid0(VALU_DEP_2) | instskip(NEXT) | instid1(VALU_DEP_2)
	v_dual_mov_b32 v121, v115 :: v_dual_mov_b32 v115, v116
	v_pk_fma_f32 v[118:119], v[116:117], v[84:85], v[118:119] op_sel_hi:[1,1,0] neg_lo:[0,0,1] neg_hi:[0,0,1]
	v_mul_f32_e32 v116, v117, v104
	s_delay_alu instid0(VALU_DEP_3) | instskip(NEXT) | instid1(VALU_DEP_2)
	v_pk_add_f32 v[24:25], v[24:25], v[120:121] neg_lo:[0,1] neg_hi:[0,1]
	v_pk_fma_f32 v[114:115], v[114:115], v[84:85], v[116:117] op_sel_hi:[1,1,0]
	s_delay_alu instid0(VALU_DEP_1) | instskip(SKIP_4) | instid1(VALU_DEP_1)
	v_mov_b32_e32 v119, v115
	ds_load_2addr_b64 v[114:117], v108 offset0:40 offset1:41
	v_pk_add_f32 v[20:21], v[20:21], v[118:119] neg_lo:[0,1] neg_hi:[0,1]
	s_wait_dscnt 0x0
	v_pk_mul_f32 v[118:119], v[114:115], v[106:107] op_sel:[0,1]
	v_pk_fma_f32 v[120:121], v[114:115], v[104:105], v[118:119] op_sel:[0,0,1] op_sel_hi:[1,1,0] neg_lo:[0,0,1] neg_hi:[0,0,1]
	v_pk_fma_f32 v[114:115], v[114:115], v[104:105], v[118:119] op_sel:[0,0,1] op_sel_hi:[1,0,0]
	s_delay_alu instid0(VALU_DEP_1) | instskip(SKIP_1) | instid1(VALU_DEP_1)
	v_mov_b32_e32 v121, v115
	v_pk_mul_f32 v[114:115], v[116:117], v[106:107] op_sel:[0,1]
	v_pk_fma_f32 v[118:119], v[116:117], v[104:105], v[114:115] op_sel:[0,0,1] op_sel_hi:[1,1,0] neg_lo:[0,0,1] neg_hi:[0,0,1]
	v_pk_fma_f32 v[114:115], v[116:117], v[104:105], v[114:115] op_sel:[0,0,1] op_sel_hi:[1,0,0]
	s_delay_alu instid0(VALU_DEP_1)
	v_mov_b32_e32 v119, v115
	ds_load_2addr_b64 v[114:117], v108 offset0:42 offset1:43
	v_pk_add_f32 v[14:15], v[14:15], v[120:121] neg_lo:[0,1] neg_hi:[0,1]
	v_pk_add_f32 v[10:11], v[10:11], v[118:119] neg_lo:[0,1] neg_hi:[0,1]
	s_wait_dscnt 0x0
	v_pk_mul_f32 v[118:119], v[114:115], v[106:107] op_sel:[0,1]
	s_delay_alu instid0(VALU_DEP_1) | instskip(SKIP_1) | instid1(VALU_DEP_1)
	v_pk_fma_f32 v[120:121], v[114:115], v[104:105], v[118:119] op_sel:[0,0,1] op_sel_hi:[1,1,0] neg_lo:[0,0,1] neg_hi:[0,0,1]
	v_pk_fma_f32 v[114:115], v[114:115], v[104:105], v[118:119] op_sel:[0,0,1] op_sel_hi:[1,0,0]
	v_mov_b32_e32 v121, v115
	v_pk_mul_f32 v[114:115], v[116:117], v[106:107] op_sel:[0,1]
	s_delay_alu instid0(VALU_DEP_1) | instskip(SKIP_1) | instid1(VALU_DEP_1)
	v_pk_fma_f32 v[118:119], v[116:117], v[104:105], v[114:115] op_sel:[0,0,1] op_sel_hi:[1,1,0] neg_lo:[0,0,1] neg_hi:[0,0,1]
	v_pk_fma_f32 v[114:115], v[116:117], v[104:105], v[114:115] op_sel:[0,0,1] op_sel_hi:[1,0,0]
	v_mov_b32_e32 v119, v115
	ds_load_2addr_b64 v[114:117], v108 offset0:44 offset1:45
	v_pk_add_f32 v[12:13], v[12:13], v[120:121] neg_lo:[0,1] neg_hi:[0,1]
	v_pk_add_f32 v[8:9], v[8:9], v[118:119] neg_lo:[0,1] neg_hi:[0,1]
	s_wait_dscnt 0x0
	v_dual_mul_f32 v118, v115, v107 :: v_dual_mul_f32 v120, v115, v104
	s_delay_alu instid0(VALU_DEP_1) | instskip(NEXT) | instid1(VALU_DEP_2)
	v_pk_fma_f32 v[118:119], v[114:115], v[84:85], v[118:119] op_sel_hi:[1,1,0] neg_lo:[0,0,1] neg_hi:[0,0,1]
	v_pk_fma_f32 v[114:115], v[114:115], v[84:85], v[120:121] op_sel:[1,0,0] op_sel_hi:[0,1,0]
	s_delay_alu instid0(VALU_DEP_1) | instskip(SKIP_1) | instid1(VALU_DEP_2)
	v_mov_b32_e32 v119, v115
	v_pk_mul_f32 v[114:115], v[116:117], v[106:107] op_sel:[0,1]
	v_pk_add_f32 v[6:7], v[6:7], v[118:119] neg_lo:[0,1] neg_hi:[0,1]
	s_delay_alu instid0(VALU_DEP_2) | instskip(SKIP_1) | instid1(VALU_DEP_1)
	v_pk_fma_f32 v[118:119], v[116:117], v[104:105], v[114:115] op_sel:[0,0,1] op_sel_hi:[1,1,0] neg_lo:[0,0,1] neg_hi:[0,0,1]
	v_pk_fma_f32 v[114:115], v[116:117], v[104:105], v[114:115] op_sel:[0,0,1] op_sel_hi:[1,0,0]
	v_mov_b32_e32 v119, v115
	ds_load_2addr_b64 v[114:117], v108 offset0:46 offset1:47
	v_pk_add_f32 v[28:29], v[28:29], v[118:119] neg_lo:[0,1] neg_hi:[0,1]
	s_wait_dscnt 0x0
	v_pk_mul_f32 v[118:119], v[114:115], v[106:107] op_sel:[0,1]
	s_delay_alu instid0(VALU_DEP_1) | instskip(SKIP_1) | instid1(VALU_DEP_1)
	v_pk_fma_f32 v[120:121], v[114:115], v[104:105], v[118:119] op_sel:[0,0,1] op_sel_hi:[1,1,0] neg_lo:[0,0,1] neg_hi:[0,0,1]
	v_pk_fma_f32 v[114:115], v[114:115], v[104:105], v[118:119] op_sel:[0,0,1] op_sel_hi:[1,0,0]
	v_mov_b32_e32 v121, v115
	v_pk_mul_f32 v[114:115], v[116:117], v[106:107] op_sel:[0,1]
	s_delay_alu instid0(VALU_DEP_2) | instskip(NEXT) | instid1(VALU_DEP_2)
	v_pk_add_f32 v[18:19], v[18:19], v[120:121] neg_lo:[0,1] neg_hi:[0,1]
	v_pk_fma_f32 v[118:119], v[116:117], v[104:105], v[114:115] op_sel:[0,0,1] op_sel_hi:[1,1,0] neg_lo:[0,0,1] neg_hi:[0,0,1]
	v_pk_fma_f32 v[114:115], v[116:117], v[104:105], v[114:115] op_sel:[0,0,1] op_sel_hi:[1,0,0]
	s_delay_alu instid0(VALU_DEP_1) | instskip(SKIP_4) | instid1(VALU_DEP_1)
	v_mov_b32_e32 v119, v115
	ds_load_b64 v[114:115], v108 offset:384
	v_pk_add_f32 v[16:17], v[16:17], v[118:119] neg_lo:[0,1] neg_hi:[0,1]
	s_wait_dscnt 0x0
	v_pk_mul_f32 v[106:107], v[114:115], v[106:107] op_sel:[0,1]
	v_pk_fma_f32 v[116:117], v[114:115], v[104:105], v[106:107] op_sel:[0,0,1] op_sel_hi:[1,1,0] neg_lo:[0,0,1] neg_hi:[0,0,1]
	v_pk_fma_f32 v[104:105], v[114:115], v[104:105], v[106:107] op_sel:[0,0,1] op_sel_hi:[1,0,0]
	s_delay_alu instid0(VALU_DEP_1) | instskip(NEXT) | instid1(VALU_DEP_1)
	v_mov_b32_e32 v117, v105
	v_pk_add_f32 v[102:103], v[102:103], v[116:117] neg_lo:[0,1] neg_hi:[0,1]
.LBB96_335:
	s_or_b32 exec_lo, exec_lo, s0
	v_lshl_add_u32 v104, v112, 3, v108
	s_barrier_signal -1
	s_barrier_wait -1
	ds_store_b64 v104, v[82:83]
	s_wait_dscnt 0x0
	s_barrier_signal -1
	s_barrier_wait -1
	ds_load_b64 v[106:107], v108 offset:128
	v_mov_b32_e32 v104, 16
	s_cmp_lt_i32 s18, 18
	s_cbranch_scc1 .LBB96_338
; %bb.336:
	v_add3_u32 v105, v109, 0, 0x88
	v_mov_b32_e32 v104, 16
	s_mov_b32 s0, 17
.LBB96_337:                             ; =>This Inner Loop Header: Depth=1
	ds_load_b64 v[114:115], v105
	s_wait_dscnt 0x1
	v_cmp_gt_f32_e32 vcc_lo, 0, v106
	v_cndmask_b32_e64 v116, v106, -v106, vcc_lo
	v_cmp_gt_f32_e32 vcc_lo, 0, v107
	v_cndmask_b32_e64 v118, v107, -v107, vcc_lo
	s_wait_dscnt 0x0
	v_cmp_gt_f32_e32 vcc_lo, 0, v114
	v_cndmask_b32_e64 v117, v114, -v114, vcc_lo
	v_cmp_gt_f32_e32 vcc_lo, 0, v115
	v_cndmask_b32_e64 v119, v115, -v115, vcc_lo
	s_delay_alu instid0(VALU_DEP_1) | instskip(NEXT) | instid1(VALU_DEP_1)
	v_pk_add_f32 v[116:117], v[116:117], v[118:119]
	v_cmp_lt_f32_e32 vcc_lo, v116, v117
	v_dual_add_nc_u32 v105, 8, v105 :: v_dual_cndmask_b32 v107, v107, v115, vcc_lo
	v_cndmask_b32_e32 v106, v106, v114, vcc_lo
	v_cndmask_b32_e64 v104, v104, s0, vcc_lo
	s_add_co_i32 s0, s0, 1
	s_delay_alu instid0(SALU_CYCLE_1)
	s_cmp_lg_u32 s18, s0
	s_cbranch_scc1 .LBB96_337
.LBB96_338:
	s_wait_dscnt 0x0
	v_cmp_eq_f32_e32 vcc_lo, 0, v106
	v_cmp_eq_f32_e64 s0, 0, v107
	s_and_b32 s0, vcc_lo, s0
	s_delay_alu instid0(SALU_CYCLE_1) | instskip(NEXT) | instid1(SALU_CYCLE_1)
	s_and_saveexec_b32 s1, s0
	s_xor_b32 s0, exec_lo, s1
; %bb.339:
	v_cmp_ne_u32_e32 vcc_lo, 0, v110
	v_cndmask_b32_e32 v110, 17, v110, vcc_lo
; %bb.340:
	s_and_not1_saveexec_b32 s0, s0
	s_cbranch_execz .LBB96_346
; %bb.341:
	v_cmp_ngt_f32_e64 s1, |v106|, |v107|
	s_and_saveexec_b32 s12, s1
	s_delay_alu instid0(SALU_CYCLE_1)
	s_xor_b32 s1, exec_lo, s12
	s_cbranch_execz .LBB96_343
; %bb.342:
	v_div_scale_f32 v105, null, v107, v107, v106
	v_div_scale_f32 v115, vcc_lo, v106, v107, v106
	s_delay_alu instid0(VALU_DEP_2) | instskip(SKIP_1) | instid1(TRANS32_DEP_1)
	v_rcp_f32_e32 v113, v105
	v_nop
	v_fma_f32 v114, -v105, v113, 1.0
	s_delay_alu instid0(VALU_DEP_1) | instskip(NEXT) | instid1(VALU_DEP_1)
	v_fmac_f32_e32 v113, v114, v113
	v_mul_f32_e32 v114, v115, v113
	s_delay_alu instid0(VALU_DEP_1) | instskip(NEXT) | instid1(VALU_DEP_1)
	v_fma_f32 v116, -v105, v114, v115
	v_fmac_f32_e32 v114, v116, v113
	s_delay_alu instid0(VALU_DEP_1) | instskip(NEXT) | instid1(VALU_DEP_1)
	v_fma_f32 v105, -v105, v114, v115
	v_div_fmas_f32 v105, v105, v113, v114
	s_delay_alu instid0(VALU_DEP_1) | instskip(NEXT) | instid1(VALU_DEP_1)
	v_div_fixup_f32 v105, v105, v107, v106
	v_fmac_f32_e32 v107, v106, v105
	s_delay_alu instid0(VALU_DEP_1) | instskip(SKIP_1) | instid1(VALU_DEP_2)
	v_div_scale_f32 v106, null, v107, v107, 1.0
	v_div_scale_f32 v115, vcc_lo, 1.0, v107, 1.0
	v_rcp_f32_e32 v113, v106
	v_nop
	s_delay_alu instid0(TRANS32_DEP_1) | instskip(NEXT) | instid1(VALU_DEP_1)
	v_fma_f32 v114, -v106, v113, 1.0
	v_fmac_f32_e32 v113, v114, v113
	s_delay_alu instid0(VALU_DEP_1) | instskip(NEXT) | instid1(VALU_DEP_1)
	v_mul_f32_e32 v114, v115, v113
	v_fma_f32 v116, -v106, v114, v115
	s_delay_alu instid0(VALU_DEP_1) | instskip(NEXT) | instid1(VALU_DEP_1)
	v_fmac_f32_e32 v114, v116, v113
	v_fma_f32 v106, -v106, v114, v115
	s_delay_alu instid0(VALU_DEP_1) | instskip(NEXT) | instid1(VALU_DEP_1)
	v_div_fmas_f32 v106, v106, v113, v114
	v_div_fixup_f32 v107, v106, v107, 1.0
	s_delay_alu instid0(VALU_DEP_1)
	v_mul_f32_e32 v106, v105, v107
	v_xor_b32_e32 v107, 0x80000000, v107
.LBB96_343:
	s_and_not1_saveexec_b32 s1, s1
	s_cbranch_execz .LBB96_345
; %bb.344:
	s_delay_alu instid0(VALU_DEP_1) | instskip(SKIP_1) | instid1(VALU_DEP_2)
	v_div_scale_f32 v105, null, v106, v106, v107
	v_div_scale_f32 v115, vcc_lo, v107, v106, v107
	v_rcp_f32_e32 v113, v105
	v_nop
	s_delay_alu instid0(TRANS32_DEP_1) | instskip(NEXT) | instid1(VALU_DEP_1)
	v_fma_f32 v114, -v105, v113, 1.0
	v_fmac_f32_e32 v113, v114, v113
	s_delay_alu instid0(VALU_DEP_1) | instskip(NEXT) | instid1(VALU_DEP_1)
	v_mul_f32_e32 v114, v115, v113
	v_fma_f32 v116, -v105, v114, v115
	s_delay_alu instid0(VALU_DEP_1) | instskip(NEXT) | instid1(VALU_DEP_1)
	v_fmac_f32_e32 v114, v116, v113
	v_fma_f32 v105, -v105, v114, v115
	s_delay_alu instid0(VALU_DEP_1) | instskip(NEXT) | instid1(VALU_DEP_1)
	v_div_fmas_f32 v105, v105, v113, v114
	v_div_fixup_f32 v105, v105, v106, v107
	s_delay_alu instid0(VALU_DEP_1) | instskip(NEXT) | instid1(VALU_DEP_1)
	v_fmac_f32_e32 v106, v107, v105
	v_div_scale_f32 v107, null, v106, v106, 1.0
	s_delay_alu instid0(VALU_DEP_1) | instskip(SKIP_1) | instid1(TRANS32_DEP_1)
	v_rcp_f32_e32 v113, v107
	v_nop
	v_fma_f32 v114, -v107, v113, 1.0
	s_delay_alu instid0(VALU_DEP_1) | instskip(SKIP_1) | instid1(VALU_DEP_1)
	v_fmac_f32_e32 v113, v114, v113
	v_div_scale_f32 v114, vcc_lo, 1.0, v106, 1.0
	v_mul_f32_e32 v115, v114, v113
	s_delay_alu instid0(VALU_DEP_1) | instskip(NEXT) | instid1(VALU_DEP_1)
	v_fma_f32 v116, -v107, v115, v114
	v_fmac_f32_e32 v115, v116, v113
	s_delay_alu instid0(VALU_DEP_1) | instskip(NEXT) | instid1(VALU_DEP_1)
	v_fma_f32 v107, -v107, v115, v114
	v_div_fmas_f32 v107, v107, v113, v115
	s_delay_alu instid0(VALU_DEP_1) | instskip(NEXT) | instid1(VALU_DEP_1)
	v_div_fixup_f32 v106, v107, v106, 1.0
	v_mul_f32_e64 v107, v105, -v106
.LBB96_345:
	s_or_b32 exec_lo, exec_lo, s1
.LBB96_346:
	s_delay_alu instid0(SALU_CYCLE_1) | instskip(NEXT) | instid1(SALU_CYCLE_1)
	s_or_b32 exec_lo, exec_lo, s0
	s_mov_b32 s0, exec_lo
	v_cmpx_ne_u32_e64 v112, v104
	s_xor_b32 s0, exec_lo, s0
	s_cbranch_execz .LBB96_352
; %bb.347:
	s_mov_b32 s1, exec_lo
	v_cmpx_eq_u32_e32 16, v112
	s_cbranch_execz .LBB96_351
; %bb.348:
	v_cmp_ne_u32_e32 vcc_lo, 16, v104
	s_xor_b32 s12, s16, -1
	s_delay_alu instid0(SALU_CYCLE_1) | instskip(NEXT) | instid1(SALU_CYCLE_1)
	s_and_b32 s13, s12, vcc_lo
	s_and_saveexec_b32 s12, s13
	s_cbranch_execz .LBB96_350
; %bb.349:
	v_ashrrev_i32_e32 v105, 31, v104
	s_delay_alu instid0(VALU_DEP_1)
	v_lshl_add_u64 v[112:113], v[104:105], 2, v[4:5]
	s_clause 0x1
	global_load_b32 v105, v[112:113], off
	global_load_b32 v111, v[4:5], off offset:64
	s_wait_loadcnt 0x1
	global_store_b32 v[4:5], v105, off offset:64
	s_wait_loadcnt 0x0
	global_store_b32 v[112:113], v111, off
.LBB96_350:
	s_wait_xcnt 0x0
	s_or_b32 exec_lo, exec_lo, s12
	v_dual_mov_b32 v112, v104 :: v_dual_mov_b32 v111, v104
.LBB96_351:
	s_or_b32 exec_lo, exec_lo, s1
.LBB96_352:
	s_and_not1_saveexec_b32 s0, s0
	s_cbranch_execz .LBB96_354
; %bb.353:
	v_mov_b32_e32 v112, 16
	ds_store_2addr_b64 v108, v[78:79], v[80:81] offset0:17 offset1:18
	ds_store_2addr_b64 v108, v[76:77], v[74:75] offset0:19 offset1:20
	;; [unrolled: 1-line block ×16, first 2 shown]
.LBB96_354:
	s_or_b32 exec_lo, exec_lo, s0
	s_delay_alu instid0(SALU_CYCLE_1)
	s_mov_b32 s0, exec_lo
	s_wait_storecnt_dscnt 0x0
	s_barrier_signal -1
	s_barrier_wait -1
	v_cmpx_lt_i32_e32 16, v112
	s_cbranch_execz .LBB96_356
; %bb.355:
	v_pk_mul_f32 v[114:115], v[106:107], v[82:83] op_sel:[1,1] op_sel_hi:[0,1]
	s_delay_alu instid0(VALU_DEP_1)
	v_pk_fma_f32 v[104:105], v[106:107], v[82:83], v[114:115] op_sel_hi:[1,0,1] neg_lo:[0,0,1] neg_hi:[0,0,1]
	v_pk_fma_f32 v[106:107], v[106:107], v[82:83], v[114:115] op_sel_hi:[1,0,1]
	ds_load_2addr_b64 v[114:117], v108 offset0:17 offset1:18
	v_dual_mov_b32 v82, v104 :: v_dual_mov_b32 v83, v107
	s_wait_dscnt 0x0
	v_pk_mul_f32 v[118:119], v[114:115], v[106:107] op_sel:[0,1]
	s_delay_alu instid0(VALU_DEP_1) | instskip(SKIP_1) | instid1(VALU_DEP_1)
	v_pk_fma_f32 v[120:121], v[114:115], v[104:105], v[118:119] op_sel:[0,0,1] op_sel_hi:[1,1,0] neg_lo:[0,0,1] neg_hi:[0,0,1]
	v_pk_fma_f32 v[114:115], v[114:115], v[104:105], v[118:119] op_sel:[0,0,1] op_sel_hi:[1,0,0]
	v_mov_b32_e32 v121, v115
	v_pk_mul_f32 v[114:115], v[116:117], v[106:107] op_sel:[0,1]
	s_delay_alu instid0(VALU_DEP_1) | instskip(SKIP_1) | instid1(VALU_DEP_1)
	v_pk_fma_f32 v[118:119], v[116:117], v[104:105], v[114:115] op_sel:[0,0,1] op_sel_hi:[1,1,0] neg_lo:[0,0,1] neg_hi:[0,0,1]
	v_pk_fma_f32 v[114:115], v[116:117], v[104:105], v[114:115] op_sel:[0,0,1] op_sel_hi:[1,0,0]
	v_mov_b32_e32 v119, v115
	ds_load_2addr_b64 v[114:117], v108 offset0:19 offset1:20
	v_pk_add_f32 v[78:79], v[78:79], v[120:121] neg_lo:[0,1] neg_hi:[0,1]
	v_pk_add_f32 v[80:81], v[80:81], v[118:119] neg_lo:[0,1] neg_hi:[0,1]
	s_wait_dscnt 0x0
	v_pk_mul_f32 v[118:119], v[114:115], v[106:107] op_sel:[0,1]
	s_delay_alu instid0(VALU_DEP_1) | instskip(SKIP_2) | instid1(VALU_DEP_2)
	v_pk_fma_f32 v[120:121], v[114:115], v[104:105], v[118:119] op_sel:[0,0,1] op_sel_hi:[1,1,0] neg_lo:[0,0,1] neg_hi:[0,0,1]
	v_pk_fma_f32 v[114:115], v[114:115], v[104:105], v[118:119] op_sel:[0,0,1] op_sel_hi:[1,0,0]
	v_dual_mul_f32 v118, v117, v107 :: v_dual_mov_b32 v114, v117
	v_dual_mov_b32 v121, v115 :: v_dual_mov_b32 v115, v116
	s_delay_alu instid0(VALU_DEP_2) | instskip(SKIP_1) | instid1(VALU_DEP_3)
	v_pk_fma_f32 v[118:119], v[116:117], v[82:83], v[118:119] op_sel_hi:[1,1,0] neg_lo:[0,0,1] neg_hi:[0,0,1]
	v_mul_f32_e32 v116, v117, v104
	v_pk_add_f32 v[76:77], v[76:77], v[120:121] neg_lo:[0,1] neg_hi:[0,1]
	s_delay_alu instid0(VALU_DEP_2) | instskip(NEXT) | instid1(VALU_DEP_1)
	v_pk_fma_f32 v[114:115], v[114:115], v[82:83], v[116:117] op_sel_hi:[1,1,0]
	v_mov_b32_e32 v119, v115
	ds_load_2addr_b64 v[114:117], v108 offset0:21 offset1:22
	v_pk_add_f32 v[74:75], v[74:75], v[118:119] neg_lo:[0,1] neg_hi:[0,1]
	s_wait_dscnt 0x0
	v_pk_mul_f32 v[118:119], v[114:115], v[106:107] op_sel:[0,1]
	s_delay_alu instid0(VALU_DEP_1) | instskip(SKIP_1) | instid1(VALU_DEP_1)
	v_pk_fma_f32 v[120:121], v[114:115], v[104:105], v[118:119] op_sel:[0,0,1] op_sel_hi:[1,1,0] neg_lo:[0,0,1] neg_hi:[0,0,1]
	v_pk_fma_f32 v[114:115], v[114:115], v[104:105], v[118:119] op_sel:[0,0,1] op_sel_hi:[1,0,0]
	v_mov_b32_e32 v121, v115
	v_pk_mul_f32 v[114:115], v[116:117], v[106:107] op_sel:[0,1]
	s_delay_alu instid0(VALU_DEP_1) | instskip(SKIP_1) | instid1(VALU_DEP_1)
	v_pk_fma_f32 v[118:119], v[116:117], v[104:105], v[114:115] op_sel:[0,0,1] op_sel_hi:[1,1,0] neg_lo:[0,0,1] neg_hi:[0,0,1]
	v_pk_fma_f32 v[114:115], v[116:117], v[104:105], v[114:115] op_sel:[0,0,1] op_sel_hi:[1,0,0]
	v_mov_b32_e32 v119, v115
	ds_load_2addr_b64 v[114:117], v108 offset0:23 offset1:24
	v_pk_add_f32 v[70:71], v[70:71], v[120:121] neg_lo:[0,1] neg_hi:[0,1]
	v_pk_add_f32 v[72:73], v[72:73], v[118:119] neg_lo:[0,1] neg_hi:[0,1]
	s_wait_dscnt 0x0
	v_pk_mul_f32 v[118:119], v[114:115], v[106:107] op_sel:[0,1]
	s_delay_alu instid0(VALU_DEP_1) | instskip(SKIP_1) | instid1(VALU_DEP_1)
	v_pk_fma_f32 v[120:121], v[114:115], v[104:105], v[118:119] op_sel:[0,0,1] op_sel_hi:[1,1,0] neg_lo:[0,0,1] neg_hi:[0,0,1]
	v_pk_fma_f32 v[114:115], v[114:115], v[104:105], v[118:119] op_sel:[0,0,1] op_sel_hi:[1,0,0]
	v_mov_b32_e32 v121, v115
	v_pk_mul_f32 v[114:115], v[116:117], v[106:107] op_sel:[0,1]
	s_delay_alu instid0(VALU_DEP_1) | instskip(SKIP_1) | instid1(VALU_DEP_1)
	v_pk_fma_f32 v[118:119], v[116:117], v[104:105], v[114:115] op_sel:[0,0,1] op_sel_hi:[1,1,0] neg_lo:[0,0,1] neg_hi:[0,0,1]
	v_pk_fma_f32 v[114:115], v[116:117], v[104:105], v[114:115] op_sel:[0,0,1] op_sel_hi:[1,0,0]
	v_mov_b32_e32 v119, v115
	ds_load_2addr_b64 v[114:117], v108 offset0:25 offset1:26
	v_pk_add_f32 v[68:69], v[68:69], v[120:121] neg_lo:[0,1] neg_hi:[0,1]
	v_pk_add_f32 v[56:57], v[56:57], v[118:119] neg_lo:[0,1] neg_hi:[0,1]
	s_wait_dscnt 0x0
	v_dual_mul_f32 v118, v115, v107 :: v_dual_mul_f32 v120, v115, v104
	s_delay_alu instid0(VALU_DEP_1) | instskip(NEXT) | instid1(VALU_DEP_2)
	v_pk_fma_f32 v[118:119], v[114:115], v[82:83], v[118:119] op_sel_hi:[1,1,0] neg_lo:[0,0,1] neg_hi:[0,0,1]
	v_pk_fma_f32 v[114:115], v[114:115], v[82:83], v[120:121] op_sel:[1,0,0] op_sel_hi:[0,1,0]
	s_delay_alu instid0(VALU_DEP_1) | instskip(SKIP_1) | instid1(VALU_DEP_2)
	v_mov_b32_e32 v119, v115
	v_pk_mul_f32 v[114:115], v[116:117], v[106:107] op_sel:[0,1]
	v_pk_add_f32 v[48:49], v[48:49], v[118:119] neg_lo:[0,1] neg_hi:[0,1]
	s_delay_alu instid0(VALU_DEP_2) | instskip(SKIP_1) | instid1(VALU_DEP_1)
	v_pk_fma_f32 v[118:119], v[116:117], v[104:105], v[114:115] op_sel:[0,0,1] op_sel_hi:[1,1,0] neg_lo:[0,0,1] neg_hi:[0,0,1]
	v_pk_fma_f32 v[114:115], v[116:117], v[104:105], v[114:115] op_sel:[0,0,1] op_sel_hi:[1,0,0]
	v_mov_b32_e32 v119, v115
	ds_load_2addr_b64 v[114:117], v108 offset0:27 offset1:28
	v_pk_add_f32 v[54:55], v[54:55], v[118:119] neg_lo:[0,1] neg_hi:[0,1]
	s_wait_dscnt 0x0
	v_pk_mul_f32 v[118:119], v[114:115], v[106:107] op_sel:[0,1]
	s_delay_alu instid0(VALU_DEP_1) | instskip(SKIP_1) | instid1(VALU_DEP_1)
	v_pk_fma_f32 v[120:121], v[114:115], v[104:105], v[118:119] op_sel:[0,0,1] op_sel_hi:[1,1,0] neg_lo:[0,0,1] neg_hi:[0,0,1]
	v_pk_fma_f32 v[114:115], v[114:115], v[104:105], v[118:119] op_sel:[0,0,1] op_sel_hi:[1,0,0]
	v_mov_b32_e32 v121, v115
	v_pk_mul_f32 v[114:115], v[116:117], v[106:107] op_sel:[0,1]
	s_delay_alu instid0(VALU_DEP_2) | instskip(NEXT) | instid1(VALU_DEP_2)
	v_pk_add_f32 v[46:47], v[46:47], v[120:121] neg_lo:[0,1] neg_hi:[0,1]
	v_pk_fma_f32 v[118:119], v[116:117], v[104:105], v[114:115] op_sel:[0,0,1] op_sel_hi:[1,1,0] neg_lo:[0,0,1] neg_hi:[0,0,1]
	v_pk_fma_f32 v[114:115], v[116:117], v[104:105], v[114:115] op_sel:[0,0,1] op_sel_hi:[1,0,0]
	s_delay_alu instid0(VALU_DEP_1) | instskip(SKIP_4) | instid1(VALU_DEP_1)
	v_mov_b32_e32 v119, v115
	ds_load_2addr_b64 v[114:117], v108 offset0:29 offset1:30
	v_pk_add_f32 v[44:45], v[44:45], v[118:119] neg_lo:[0,1] neg_hi:[0,1]
	s_wait_dscnt 0x0
	v_pk_mul_f32 v[118:119], v[114:115], v[106:107] op_sel:[0,1]
	v_pk_fma_f32 v[120:121], v[114:115], v[104:105], v[118:119] op_sel:[0,0,1] op_sel_hi:[1,1,0] neg_lo:[0,0,1] neg_hi:[0,0,1]
	v_pk_fma_f32 v[114:115], v[114:115], v[104:105], v[118:119] op_sel:[0,0,1] op_sel_hi:[1,0,0]
	v_dual_mul_f32 v118, v117, v107 :: v_dual_mov_b32 v114, v117
	s_delay_alu instid0(VALU_DEP_2) | instskip(NEXT) | instid1(VALU_DEP_2)
	v_dual_mov_b32 v121, v115 :: v_dual_mov_b32 v115, v116
	v_pk_fma_f32 v[118:119], v[116:117], v[82:83], v[118:119] op_sel_hi:[1,1,0] neg_lo:[0,0,1] neg_hi:[0,0,1]
	v_mul_f32_e32 v116, v117, v104
	s_delay_alu instid0(VALU_DEP_3) | instskip(NEXT) | instid1(VALU_DEP_2)
	v_pk_add_f32 v[40:41], v[40:41], v[120:121] neg_lo:[0,1] neg_hi:[0,1]
	v_pk_fma_f32 v[114:115], v[114:115], v[82:83], v[116:117] op_sel_hi:[1,1,0]
	s_delay_alu instid0(VALU_DEP_1) | instskip(SKIP_4) | instid1(VALU_DEP_1)
	v_mov_b32_e32 v119, v115
	ds_load_2addr_b64 v[114:117], v108 offset0:31 offset1:32
	v_pk_add_f32 v[42:43], v[42:43], v[118:119] neg_lo:[0,1] neg_hi:[0,1]
	s_wait_dscnt 0x0
	v_pk_mul_f32 v[118:119], v[114:115], v[106:107] op_sel:[0,1]
	v_pk_fma_f32 v[120:121], v[114:115], v[104:105], v[118:119] op_sel:[0,0,1] op_sel_hi:[1,1,0] neg_lo:[0,0,1] neg_hi:[0,0,1]
	v_pk_fma_f32 v[114:115], v[114:115], v[104:105], v[118:119] op_sel:[0,0,1] op_sel_hi:[1,0,0]
	s_delay_alu instid0(VALU_DEP_1) | instskip(SKIP_1) | instid1(VALU_DEP_1)
	v_mov_b32_e32 v121, v115
	v_pk_mul_f32 v[114:115], v[116:117], v[106:107] op_sel:[0,1]
	v_pk_fma_f32 v[118:119], v[116:117], v[104:105], v[114:115] op_sel:[0,0,1] op_sel_hi:[1,1,0] neg_lo:[0,0,1] neg_hi:[0,0,1]
	v_pk_fma_f32 v[114:115], v[116:117], v[104:105], v[114:115] op_sel:[0,0,1] op_sel_hi:[1,0,0]
	s_delay_alu instid0(VALU_DEP_1)
	v_mov_b32_e32 v119, v115
	ds_load_2addr_b64 v[114:117], v108 offset0:33 offset1:34
	v_pk_add_f32 v[38:39], v[38:39], v[120:121] neg_lo:[0,1] neg_hi:[0,1]
	v_pk_add_f32 v[36:37], v[36:37], v[118:119] neg_lo:[0,1] neg_hi:[0,1]
	s_wait_dscnt 0x0
	v_pk_mul_f32 v[118:119], v[114:115], v[106:107] op_sel:[0,1]
	s_delay_alu instid0(VALU_DEP_1) | instskip(SKIP_1) | instid1(VALU_DEP_1)
	v_pk_fma_f32 v[120:121], v[114:115], v[104:105], v[118:119] op_sel:[0,0,1] op_sel_hi:[1,1,0] neg_lo:[0,0,1] neg_hi:[0,0,1]
	v_pk_fma_f32 v[114:115], v[114:115], v[104:105], v[118:119] op_sel:[0,0,1] op_sel_hi:[1,0,0]
	v_mov_b32_e32 v121, v115
	v_pk_mul_f32 v[114:115], v[116:117], v[106:107] op_sel:[0,1]
	s_delay_alu instid0(VALU_DEP_1) | instskip(SKIP_1) | instid1(VALU_DEP_1)
	v_pk_fma_f32 v[118:119], v[116:117], v[104:105], v[114:115] op_sel:[0,0,1] op_sel_hi:[1,1,0] neg_lo:[0,0,1] neg_hi:[0,0,1]
	v_pk_fma_f32 v[114:115], v[116:117], v[104:105], v[114:115] op_sel:[0,0,1] op_sel_hi:[1,0,0]
	v_mov_b32_e32 v119, v115
	ds_load_2addr_b64 v[114:117], v108 offset0:35 offset1:36
	v_pk_add_f32 v[32:33], v[32:33], v[120:121] neg_lo:[0,1] neg_hi:[0,1]
	v_pk_add_f32 v[34:35], v[34:35], v[118:119] neg_lo:[0,1] neg_hi:[0,1]
	s_wait_dscnt 0x0
	v_dual_mul_f32 v118, v115, v107 :: v_dual_mul_f32 v120, v115, v104
	s_delay_alu instid0(VALU_DEP_1) | instskip(NEXT) | instid1(VALU_DEP_2)
	v_pk_fma_f32 v[118:119], v[114:115], v[82:83], v[118:119] op_sel_hi:[1,1,0] neg_lo:[0,0,1] neg_hi:[0,0,1]
	v_pk_fma_f32 v[114:115], v[114:115], v[82:83], v[120:121] op_sel:[1,0,0] op_sel_hi:[0,1,0]
	s_delay_alu instid0(VALU_DEP_1) | instskip(SKIP_1) | instid1(VALU_DEP_2)
	v_mov_b32_e32 v119, v115
	v_pk_mul_f32 v[114:115], v[116:117], v[106:107] op_sel:[0,1]
	v_pk_add_f32 v[30:31], v[30:31], v[118:119] neg_lo:[0,1] neg_hi:[0,1]
	s_delay_alu instid0(VALU_DEP_2) | instskip(SKIP_1) | instid1(VALU_DEP_1)
	v_pk_fma_f32 v[118:119], v[116:117], v[104:105], v[114:115] op_sel:[0,0,1] op_sel_hi:[1,1,0] neg_lo:[0,0,1] neg_hi:[0,0,1]
	v_pk_fma_f32 v[114:115], v[116:117], v[104:105], v[114:115] op_sel:[0,0,1] op_sel_hi:[1,0,0]
	v_mov_b32_e32 v119, v115
	ds_load_2addr_b64 v[114:117], v108 offset0:37 offset1:38
	v_pk_add_f32 v[26:27], v[26:27], v[118:119] neg_lo:[0,1] neg_hi:[0,1]
	s_wait_dscnt 0x0
	v_pk_mul_f32 v[118:119], v[114:115], v[106:107] op_sel:[0,1]
	s_delay_alu instid0(VALU_DEP_1) | instskip(SKIP_1) | instid1(VALU_DEP_1)
	v_pk_fma_f32 v[120:121], v[114:115], v[104:105], v[118:119] op_sel:[0,0,1] op_sel_hi:[1,1,0] neg_lo:[0,0,1] neg_hi:[0,0,1]
	v_pk_fma_f32 v[114:115], v[114:115], v[104:105], v[118:119] op_sel:[0,0,1] op_sel_hi:[1,0,0]
	v_mov_b32_e32 v121, v115
	v_pk_mul_f32 v[114:115], v[116:117], v[106:107] op_sel:[0,1]
	s_delay_alu instid0(VALU_DEP_2) | instskip(NEXT) | instid1(VALU_DEP_2)
	v_pk_add_f32 v[22:23], v[22:23], v[120:121] neg_lo:[0,1] neg_hi:[0,1]
	v_pk_fma_f32 v[118:119], v[116:117], v[104:105], v[114:115] op_sel:[0,0,1] op_sel_hi:[1,1,0] neg_lo:[0,0,1] neg_hi:[0,0,1]
	v_pk_fma_f32 v[114:115], v[116:117], v[104:105], v[114:115] op_sel:[0,0,1] op_sel_hi:[1,0,0]
	s_delay_alu instid0(VALU_DEP_1) | instskip(SKIP_4) | instid1(VALU_DEP_1)
	v_mov_b32_e32 v119, v115
	ds_load_2addr_b64 v[114:117], v108 offset0:39 offset1:40
	v_pk_add_f32 v[24:25], v[24:25], v[118:119] neg_lo:[0,1] neg_hi:[0,1]
	s_wait_dscnt 0x0
	v_pk_mul_f32 v[118:119], v[114:115], v[106:107] op_sel:[0,1]
	v_pk_fma_f32 v[120:121], v[114:115], v[104:105], v[118:119] op_sel:[0,0,1] op_sel_hi:[1,1,0] neg_lo:[0,0,1] neg_hi:[0,0,1]
	v_pk_fma_f32 v[114:115], v[114:115], v[104:105], v[118:119] op_sel:[0,0,1] op_sel_hi:[1,0,0]
	v_dual_mul_f32 v118, v117, v107 :: v_dual_mov_b32 v114, v117
	s_delay_alu instid0(VALU_DEP_2) | instskip(NEXT) | instid1(VALU_DEP_2)
	v_dual_mov_b32 v121, v115 :: v_dual_mov_b32 v115, v116
	v_pk_fma_f32 v[118:119], v[116:117], v[82:83], v[118:119] op_sel_hi:[1,1,0] neg_lo:[0,0,1] neg_hi:[0,0,1]
	v_mul_f32_e32 v116, v117, v104
	s_delay_alu instid0(VALU_DEP_3) | instskip(NEXT) | instid1(VALU_DEP_2)
	v_pk_add_f32 v[20:21], v[20:21], v[120:121] neg_lo:[0,1] neg_hi:[0,1]
	v_pk_fma_f32 v[114:115], v[114:115], v[82:83], v[116:117] op_sel_hi:[1,1,0]
	s_delay_alu instid0(VALU_DEP_1) | instskip(SKIP_4) | instid1(VALU_DEP_1)
	v_mov_b32_e32 v119, v115
	ds_load_2addr_b64 v[114:117], v108 offset0:41 offset1:42
	v_pk_add_f32 v[14:15], v[14:15], v[118:119] neg_lo:[0,1] neg_hi:[0,1]
	s_wait_dscnt 0x0
	v_pk_mul_f32 v[118:119], v[114:115], v[106:107] op_sel:[0,1]
	v_pk_fma_f32 v[120:121], v[114:115], v[104:105], v[118:119] op_sel:[0,0,1] op_sel_hi:[1,1,0] neg_lo:[0,0,1] neg_hi:[0,0,1]
	v_pk_fma_f32 v[114:115], v[114:115], v[104:105], v[118:119] op_sel:[0,0,1] op_sel_hi:[1,0,0]
	s_delay_alu instid0(VALU_DEP_1) | instskip(SKIP_1) | instid1(VALU_DEP_1)
	v_mov_b32_e32 v121, v115
	v_pk_mul_f32 v[114:115], v[116:117], v[106:107] op_sel:[0,1]
	v_pk_fma_f32 v[118:119], v[116:117], v[104:105], v[114:115] op_sel:[0,0,1] op_sel_hi:[1,1,0] neg_lo:[0,0,1] neg_hi:[0,0,1]
	v_pk_fma_f32 v[114:115], v[116:117], v[104:105], v[114:115] op_sel:[0,0,1] op_sel_hi:[1,0,0]
	s_delay_alu instid0(VALU_DEP_1)
	v_mov_b32_e32 v119, v115
	ds_load_2addr_b64 v[114:117], v108 offset0:43 offset1:44
	v_pk_add_f32 v[10:11], v[10:11], v[120:121] neg_lo:[0,1] neg_hi:[0,1]
	v_pk_add_f32 v[12:13], v[12:13], v[118:119] neg_lo:[0,1] neg_hi:[0,1]
	s_wait_dscnt 0x0
	v_pk_mul_f32 v[118:119], v[114:115], v[106:107] op_sel:[0,1]
	s_delay_alu instid0(VALU_DEP_1) | instskip(SKIP_1) | instid1(VALU_DEP_1)
	v_pk_fma_f32 v[120:121], v[114:115], v[104:105], v[118:119] op_sel:[0,0,1] op_sel_hi:[1,1,0] neg_lo:[0,0,1] neg_hi:[0,0,1]
	v_pk_fma_f32 v[114:115], v[114:115], v[104:105], v[118:119] op_sel:[0,0,1] op_sel_hi:[1,0,0]
	v_mov_b32_e32 v121, v115
	v_pk_mul_f32 v[114:115], v[116:117], v[106:107] op_sel:[0,1]
	s_delay_alu instid0(VALU_DEP_1) | instskip(SKIP_1) | instid1(VALU_DEP_1)
	v_pk_fma_f32 v[118:119], v[116:117], v[104:105], v[114:115] op_sel:[0,0,1] op_sel_hi:[1,1,0] neg_lo:[0,0,1] neg_hi:[0,0,1]
	v_pk_fma_f32 v[114:115], v[116:117], v[104:105], v[114:115] op_sel:[0,0,1] op_sel_hi:[1,0,0]
	v_mov_b32_e32 v119, v115
	ds_load_2addr_b64 v[114:117], v108 offset0:45 offset1:46
	v_pk_add_f32 v[8:9], v[8:9], v[120:121] neg_lo:[0,1] neg_hi:[0,1]
	v_pk_add_f32 v[6:7], v[6:7], v[118:119] neg_lo:[0,1] neg_hi:[0,1]
	s_wait_dscnt 0x0
	v_dual_mul_f32 v118, v115, v107 :: v_dual_mul_f32 v120, v115, v104
	s_delay_alu instid0(VALU_DEP_1) | instskip(NEXT) | instid1(VALU_DEP_2)
	v_pk_fma_f32 v[118:119], v[114:115], v[82:83], v[118:119] op_sel_hi:[1,1,0] neg_lo:[0,0,1] neg_hi:[0,0,1]
	v_pk_fma_f32 v[114:115], v[114:115], v[82:83], v[120:121] op_sel:[1,0,0] op_sel_hi:[0,1,0]
	s_delay_alu instid0(VALU_DEP_1) | instskip(SKIP_1) | instid1(VALU_DEP_2)
	v_mov_b32_e32 v119, v115
	v_pk_mul_f32 v[114:115], v[116:117], v[106:107] op_sel:[0,1]
	v_pk_add_f32 v[28:29], v[28:29], v[118:119] neg_lo:[0,1] neg_hi:[0,1]
	s_delay_alu instid0(VALU_DEP_2) | instskip(SKIP_1) | instid1(VALU_DEP_1)
	v_pk_fma_f32 v[118:119], v[116:117], v[104:105], v[114:115] op_sel:[0,0,1] op_sel_hi:[1,1,0] neg_lo:[0,0,1] neg_hi:[0,0,1]
	v_pk_fma_f32 v[114:115], v[116:117], v[104:105], v[114:115] op_sel:[0,0,1] op_sel_hi:[1,0,0]
	v_mov_b32_e32 v119, v115
	ds_load_2addr_b64 v[114:117], v108 offset0:47 offset1:48
	v_pk_add_f32 v[18:19], v[18:19], v[118:119] neg_lo:[0,1] neg_hi:[0,1]
	s_wait_dscnt 0x0
	v_pk_mul_f32 v[118:119], v[114:115], v[106:107] op_sel:[0,1]
	v_pk_mul_f32 v[106:107], v[116:117], v[106:107] op_sel:[0,1]
	s_delay_alu instid0(VALU_DEP_2) | instskip(SKIP_1) | instid1(VALU_DEP_1)
	v_pk_fma_f32 v[120:121], v[114:115], v[104:105], v[118:119] op_sel:[0,0,1] op_sel_hi:[1,1,0] neg_lo:[0,0,1] neg_hi:[0,0,1]
	v_pk_fma_f32 v[114:115], v[114:115], v[104:105], v[118:119] op_sel:[0,0,1] op_sel_hi:[1,0,0]
	v_mov_b32_e32 v121, v115
	s_delay_alu instid0(VALU_DEP_4) | instskip(SKIP_1) | instid1(VALU_DEP_3)
	v_pk_fma_f32 v[114:115], v[116:117], v[104:105], v[106:107] op_sel:[0,0,1] op_sel_hi:[1,1,0] neg_lo:[0,0,1] neg_hi:[0,0,1]
	v_pk_fma_f32 v[104:105], v[116:117], v[104:105], v[106:107] op_sel:[0,0,1] op_sel_hi:[1,0,0]
	v_pk_add_f32 v[16:17], v[16:17], v[120:121] neg_lo:[0,1] neg_hi:[0,1]
	s_delay_alu instid0(VALU_DEP_2) | instskip(NEXT) | instid1(VALU_DEP_1)
	v_mov_b32_e32 v115, v105
	v_pk_add_f32 v[102:103], v[102:103], v[114:115] neg_lo:[0,1] neg_hi:[0,1]
.LBB96_356:
	s_or_b32 exec_lo, exec_lo, s0
	v_lshl_add_u32 v104, v112, 3, v108
	s_barrier_signal -1
	s_barrier_wait -1
	ds_store_b64 v104, v[78:79]
	s_wait_dscnt 0x0
	s_barrier_signal -1
	s_barrier_wait -1
	ds_load_b64 v[106:107], v108 offset:136
	v_mov_b32_e32 v104, 17
	s_cmp_lt_i32 s18, 19
	s_cbranch_scc1 .LBB96_359
; %bb.357:
	v_add3_u32 v105, v109, 0, 0x90
	v_mov_b32_e32 v104, 17
	s_mov_b32 s0, 18
.LBB96_358:                             ; =>This Inner Loop Header: Depth=1
	ds_load_b64 v[114:115], v105
	s_wait_dscnt 0x1
	v_cmp_gt_f32_e32 vcc_lo, 0, v106
	v_cndmask_b32_e64 v116, v106, -v106, vcc_lo
	v_cmp_gt_f32_e32 vcc_lo, 0, v107
	v_cndmask_b32_e64 v118, v107, -v107, vcc_lo
	s_wait_dscnt 0x0
	v_cmp_gt_f32_e32 vcc_lo, 0, v114
	v_cndmask_b32_e64 v117, v114, -v114, vcc_lo
	v_cmp_gt_f32_e32 vcc_lo, 0, v115
	v_cndmask_b32_e64 v119, v115, -v115, vcc_lo
	s_delay_alu instid0(VALU_DEP_1) | instskip(NEXT) | instid1(VALU_DEP_1)
	v_pk_add_f32 v[116:117], v[116:117], v[118:119]
	v_cmp_lt_f32_e32 vcc_lo, v116, v117
	v_dual_add_nc_u32 v105, 8, v105 :: v_dual_cndmask_b32 v107, v107, v115, vcc_lo
	v_cndmask_b32_e32 v106, v106, v114, vcc_lo
	v_cndmask_b32_e64 v104, v104, s0, vcc_lo
	s_add_co_i32 s0, s0, 1
	s_delay_alu instid0(SALU_CYCLE_1)
	s_cmp_lg_u32 s18, s0
	s_cbranch_scc1 .LBB96_358
.LBB96_359:
	s_wait_dscnt 0x0
	v_cmp_eq_f32_e32 vcc_lo, 0, v106
	v_cmp_eq_f32_e64 s0, 0, v107
	s_and_b32 s0, vcc_lo, s0
	s_delay_alu instid0(SALU_CYCLE_1) | instskip(NEXT) | instid1(SALU_CYCLE_1)
	s_and_saveexec_b32 s1, s0
	s_xor_b32 s0, exec_lo, s1
; %bb.360:
	v_cmp_ne_u32_e32 vcc_lo, 0, v110
	v_cndmask_b32_e32 v110, 18, v110, vcc_lo
; %bb.361:
	s_and_not1_saveexec_b32 s0, s0
	s_cbranch_execz .LBB96_367
; %bb.362:
	v_cmp_ngt_f32_e64 s1, |v106|, |v107|
	s_and_saveexec_b32 s12, s1
	s_delay_alu instid0(SALU_CYCLE_1)
	s_xor_b32 s1, exec_lo, s12
	s_cbranch_execz .LBB96_364
; %bb.363:
	v_div_scale_f32 v105, null, v107, v107, v106
	v_div_scale_f32 v115, vcc_lo, v106, v107, v106
	s_delay_alu instid0(VALU_DEP_2) | instskip(SKIP_1) | instid1(TRANS32_DEP_1)
	v_rcp_f32_e32 v113, v105
	v_nop
	v_fma_f32 v114, -v105, v113, 1.0
	s_delay_alu instid0(VALU_DEP_1) | instskip(NEXT) | instid1(VALU_DEP_1)
	v_fmac_f32_e32 v113, v114, v113
	v_mul_f32_e32 v114, v115, v113
	s_delay_alu instid0(VALU_DEP_1) | instskip(NEXT) | instid1(VALU_DEP_1)
	v_fma_f32 v116, -v105, v114, v115
	v_fmac_f32_e32 v114, v116, v113
	s_delay_alu instid0(VALU_DEP_1) | instskip(NEXT) | instid1(VALU_DEP_1)
	v_fma_f32 v105, -v105, v114, v115
	v_div_fmas_f32 v105, v105, v113, v114
	s_delay_alu instid0(VALU_DEP_1) | instskip(NEXT) | instid1(VALU_DEP_1)
	v_div_fixup_f32 v105, v105, v107, v106
	v_fmac_f32_e32 v107, v106, v105
	s_delay_alu instid0(VALU_DEP_1) | instskip(SKIP_1) | instid1(VALU_DEP_2)
	v_div_scale_f32 v106, null, v107, v107, 1.0
	v_div_scale_f32 v115, vcc_lo, 1.0, v107, 1.0
	v_rcp_f32_e32 v113, v106
	v_nop
	s_delay_alu instid0(TRANS32_DEP_1) | instskip(NEXT) | instid1(VALU_DEP_1)
	v_fma_f32 v114, -v106, v113, 1.0
	v_fmac_f32_e32 v113, v114, v113
	s_delay_alu instid0(VALU_DEP_1) | instskip(NEXT) | instid1(VALU_DEP_1)
	v_mul_f32_e32 v114, v115, v113
	v_fma_f32 v116, -v106, v114, v115
	s_delay_alu instid0(VALU_DEP_1) | instskip(NEXT) | instid1(VALU_DEP_1)
	v_fmac_f32_e32 v114, v116, v113
	v_fma_f32 v106, -v106, v114, v115
	s_delay_alu instid0(VALU_DEP_1) | instskip(NEXT) | instid1(VALU_DEP_1)
	v_div_fmas_f32 v106, v106, v113, v114
	v_div_fixup_f32 v107, v106, v107, 1.0
	s_delay_alu instid0(VALU_DEP_1)
	v_mul_f32_e32 v106, v105, v107
	v_xor_b32_e32 v107, 0x80000000, v107
.LBB96_364:
	s_and_not1_saveexec_b32 s1, s1
	s_cbranch_execz .LBB96_366
; %bb.365:
	s_delay_alu instid0(VALU_DEP_1) | instskip(SKIP_1) | instid1(VALU_DEP_2)
	v_div_scale_f32 v105, null, v106, v106, v107
	v_div_scale_f32 v115, vcc_lo, v107, v106, v107
	v_rcp_f32_e32 v113, v105
	v_nop
	s_delay_alu instid0(TRANS32_DEP_1) | instskip(NEXT) | instid1(VALU_DEP_1)
	v_fma_f32 v114, -v105, v113, 1.0
	v_fmac_f32_e32 v113, v114, v113
	s_delay_alu instid0(VALU_DEP_1) | instskip(NEXT) | instid1(VALU_DEP_1)
	v_mul_f32_e32 v114, v115, v113
	v_fma_f32 v116, -v105, v114, v115
	s_delay_alu instid0(VALU_DEP_1) | instskip(NEXT) | instid1(VALU_DEP_1)
	v_fmac_f32_e32 v114, v116, v113
	v_fma_f32 v105, -v105, v114, v115
	s_delay_alu instid0(VALU_DEP_1) | instskip(NEXT) | instid1(VALU_DEP_1)
	v_div_fmas_f32 v105, v105, v113, v114
	v_div_fixup_f32 v105, v105, v106, v107
	s_delay_alu instid0(VALU_DEP_1) | instskip(NEXT) | instid1(VALU_DEP_1)
	v_fmac_f32_e32 v106, v107, v105
	v_div_scale_f32 v107, null, v106, v106, 1.0
	s_delay_alu instid0(VALU_DEP_1) | instskip(SKIP_1) | instid1(TRANS32_DEP_1)
	v_rcp_f32_e32 v113, v107
	v_nop
	v_fma_f32 v114, -v107, v113, 1.0
	s_delay_alu instid0(VALU_DEP_1) | instskip(SKIP_1) | instid1(VALU_DEP_1)
	v_fmac_f32_e32 v113, v114, v113
	v_div_scale_f32 v114, vcc_lo, 1.0, v106, 1.0
	v_mul_f32_e32 v115, v114, v113
	s_delay_alu instid0(VALU_DEP_1) | instskip(NEXT) | instid1(VALU_DEP_1)
	v_fma_f32 v116, -v107, v115, v114
	v_fmac_f32_e32 v115, v116, v113
	s_delay_alu instid0(VALU_DEP_1) | instskip(NEXT) | instid1(VALU_DEP_1)
	v_fma_f32 v107, -v107, v115, v114
	v_div_fmas_f32 v107, v107, v113, v115
	s_delay_alu instid0(VALU_DEP_1) | instskip(NEXT) | instid1(VALU_DEP_1)
	v_div_fixup_f32 v106, v107, v106, 1.0
	v_mul_f32_e64 v107, v105, -v106
.LBB96_366:
	s_or_b32 exec_lo, exec_lo, s1
.LBB96_367:
	s_delay_alu instid0(SALU_CYCLE_1) | instskip(NEXT) | instid1(SALU_CYCLE_1)
	s_or_b32 exec_lo, exec_lo, s0
	s_mov_b32 s0, exec_lo
	v_cmpx_ne_u32_e64 v112, v104
	s_xor_b32 s0, exec_lo, s0
	s_cbranch_execz .LBB96_373
; %bb.368:
	s_mov_b32 s1, exec_lo
	v_cmpx_eq_u32_e32 17, v112
	s_cbranch_execz .LBB96_372
; %bb.369:
	v_cmp_ne_u32_e32 vcc_lo, 17, v104
	s_xor_b32 s12, s16, -1
	s_delay_alu instid0(SALU_CYCLE_1) | instskip(NEXT) | instid1(SALU_CYCLE_1)
	s_and_b32 s13, s12, vcc_lo
	s_and_saveexec_b32 s12, s13
	s_cbranch_execz .LBB96_371
; %bb.370:
	v_ashrrev_i32_e32 v105, 31, v104
	s_delay_alu instid0(VALU_DEP_1)
	v_lshl_add_u64 v[112:113], v[104:105], 2, v[4:5]
	s_clause 0x1
	global_load_b32 v105, v[112:113], off
	global_load_b32 v111, v[4:5], off offset:68
	s_wait_loadcnt 0x1
	global_store_b32 v[4:5], v105, off offset:68
	s_wait_loadcnt 0x0
	global_store_b32 v[112:113], v111, off
.LBB96_371:
	s_wait_xcnt 0x0
	s_or_b32 exec_lo, exec_lo, s12
	v_dual_mov_b32 v112, v104 :: v_dual_mov_b32 v111, v104
.LBB96_372:
	s_or_b32 exec_lo, exec_lo, s1
.LBB96_373:
	s_and_not1_saveexec_b32 s0, s0
	s_cbranch_execz .LBB96_375
; %bb.374:
	v_dual_mov_b32 v104, v80 :: v_dual_mov_b32 v105, v81
	v_dual_mov_b32 v112, v76 :: v_dual_mov_b32 v113, v77
	ds_store_2addr_b64 v108, v[104:105], v[112:113] offset0:18 offset1:19
	v_dual_mov_b32 v104, v74 :: v_dual_mov_b32 v105, v75
	v_dual_mov_b32 v112, v70 :: v_dual_mov_b32 v113, v71
	ds_store_2addr_b64 v108, v[104:105], v[112:113] offset0:20 offset1:21
	;; [unrolled: 3-line block ×15, first 2 shown]
	ds_store_b64 v108, v[102:103] offset:384
	v_mov_b32_e32 v112, 17
.LBB96_375:
	s_or_b32 exec_lo, exec_lo, s0
	s_delay_alu instid0(SALU_CYCLE_1)
	s_mov_b32 s0, exec_lo
	s_wait_storecnt_dscnt 0x0
	s_barrier_signal -1
	s_barrier_wait -1
	v_cmpx_lt_i32_e32 17, v112
	s_cbranch_execz .LBB96_377
; %bb.376:
	v_pk_mul_f32 v[114:115], v[106:107], v[78:79] op_sel:[1,1] op_sel_hi:[0,1]
	s_delay_alu instid0(VALU_DEP_1)
	v_pk_fma_f32 v[104:105], v[106:107], v[78:79], v[114:115] op_sel_hi:[1,0,1] neg_lo:[0,0,1] neg_hi:[0,0,1]
	v_pk_fma_f32 v[106:107], v[106:107], v[78:79], v[114:115] op_sel_hi:[1,0,1]
	ds_load_2addr_b64 v[114:117], v108 offset0:18 offset1:19
	v_dual_mov_b32 v78, v104 :: v_dual_mov_b32 v79, v107
	s_wait_dscnt 0x0
	v_pk_mul_f32 v[118:119], v[114:115], v[106:107] op_sel:[0,1]
	s_delay_alu instid0(VALU_DEP_1) | instskip(SKIP_1) | instid1(VALU_DEP_1)
	v_pk_fma_f32 v[120:121], v[114:115], v[104:105], v[118:119] op_sel:[0,0,1] op_sel_hi:[1,1,0] neg_lo:[0,0,1] neg_hi:[0,0,1]
	v_pk_fma_f32 v[114:115], v[114:115], v[104:105], v[118:119] op_sel:[0,0,1] op_sel_hi:[1,0,0]
	v_mov_b32_e32 v121, v115
	v_pk_mul_f32 v[114:115], v[116:117], v[106:107] op_sel:[0,1]
	s_delay_alu instid0(VALU_DEP_1) | instskip(SKIP_1) | instid1(VALU_DEP_1)
	v_pk_fma_f32 v[118:119], v[116:117], v[104:105], v[114:115] op_sel:[0,0,1] op_sel_hi:[1,1,0] neg_lo:[0,0,1] neg_hi:[0,0,1]
	v_pk_fma_f32 v[114:115], v[116:117], v[104:105], v[114:115] op_sel:[0,0,1] op_sel_hi:[1,0,0]
	v_mov_b32_e32 v119, v115
	ds_load_2addr_b64 v[114:117], v108 offset0:20 offset1:21
	v_pk_add_f32 v[80:81], v[80:81], v[120:121] neg_lo:[0,1] neg_hi:[0,1]
	v_pk_add_f32 v[76:77], v[76:77], v[118:119] neg_lo:[0,1] neg_hi:[0,1]
	s_wait_dscnt 0x0
	v_pk_mul_f32 v[118:119], v[114:115], v[106:107] op_sel:[0,1]
	s_delay_alu instid0(VALU_DEP_1) | instskip(SKIP_2) | instid1(VALU_DEP_2)
	v_pk_fma_f32 v[120:121], v[114:115], v[104:105], v[118:119] op_sel:[0,0,1] op_sel_hi:[1,1,0] neg_lo:[0,0,1] neg_hi:[0,0,1]
	v_pk_fma_f32 v[114:115], v[114:115], v[104:105], v[118:119] op_sel:[0,0,1] op_sel_hi:[1,0,0]
	v_dual_mul_f32 v118, v117, v107 :: v_dual_mov_b32 v114, v117
	v_dual_mov_b32 v121, v115 :: v_dual_mov_b32 v115, v116
	s_delay_alu instid0(VALU_DEP_2) | instskip(SKIP_1) | instid1(VALU_DEP_3)
	v_pk_fma_f32 v[118:119], v[116:117], v[78:79], v[118:119] op_sel_hi:[1,1,0] neg_lo:[0,0,1] neg_hi:[0,0,1]
	v_mul_f32_e32 v116, v117, v104
	v_pk_add_f32 v[74:75], v[74:75], v[120:121] neg_lo:[0,1] neg_hi:[0,1]
	s_delay_alu instid0(VALU_DEP_2) | instskip(NEXT) | instid1(VALU_DEP_1)
	v_pk_fma_f32 v[114:115], v[114:115], v[78:79], v[116:117] op_sel_hi:[1,1,0]
	v_mov_b32_e32 v119, v115
	ds_load_2addr_b64 v[114:117], v108 offset0:22 offset1:23
	v_pk_add_f32 v[70:71], v[70:71], v[118:119] neg_lo:[0,1] neg_hi:[0,1]
	s_wait_dscnt 0x0
	v_pk_mul_f32 v[118:119], v[114:115], v[106:107] op_sel:[0,1]
	s_delay_alu instid0(VALU_DEP_1) | instskip(SKIP_1) | instid1(VALU_DEP_1)
	v_pk_fma_f32 v[120:121], v[114:115], v[104:105], v[118:119] op_sel:[0,0,1] op_sel_hi:[1,1,0] neg_lo:[0,0,1] neg_hi:[0,0,1]
	v_pk_fma_f32 v[114:115], v[114:115], v[104:105], v[118:119] op_sel:[0,0,1] op_sel_hi:[1,0,0]
	v_mov_b32_e32 v121, v115
	v_pk_mul_f32 v[114:115], v[116:117], v[106:107] op_sel:[0,1]
	s_delay_alu instid0(VALU_DEP_1) | instskip(SKIP_1) | instid1(VALU_DEP_1)
	v_pk_fma_f32 v[118:119], v[116:117], v[104:105], v[114:115] op_sel:[0,0,1] op_sel_hi:[1,1,0] neg_lo:[0,0,1] neg_hi:[0,0,1]
	v_pk_fma_f32 v[114:115], v[116:117], v[104:105], v[114:115] op_sel:[0,0,1] op_sel_hi:[1,0,0]
	v_mov_b32_e32 v119, v115
	ds_load_2addr_b64 v[114:117], v108 offset0:24 offset1:25
	v_pk_add_f32 v[72:73], v[72:73], v[120:121] neg_lo:[0,1] neg_hi:[0,1]
	v_pk_add_f32 v[68:69], v[68:69], v[118:119] neg_lo:[0,1] neg_hi:[0,1]
	s_wait_dscnt 0x0
	v_pk_mul_f32 v[118:119], v[114:115], v[106:107] op_sel:[0,1]
	s_delay_alu instid0(VALU_DEP_1) | instskip(SKIP_1) | instid1(VALU_DEP_1)
	v_pk_fma_f32 v[120:121], v[114:115], v[104:105], v[118:119] op_sel:[0,0,1] op_sel_hi:[1,1,0] neg_lo:[0,0,1] neg_hi:[0,0,1]
	v_pk_fma_f32 v[114:115], v[114:115], v[104:105], v[118:119] op_sel:[0,0,1] op_sel_hi:[1,0,0]
	v_mov_b32_e32 v121, v115
	v_pk_mul_f32 v[114:115], v[116:117], v[106:107] op_sel:[0,1]
	s_delay_alu instid0(VALU_DEP_1) | instskip(SKIP_1) | instid1(VALU_DEP_1)
	v_pk_fma_f32 v[118:119], v[116:117], v[104:105], v[114:115] op_sel:[0,0,1] op_sel_hi:[1,1,0] neg_lo:[0,0,1] neg_hi:[0,0,1]
	v_pk_fma_f32 v[114:115], v[116:117], v[104:105], v[114:115] op_sel:[0,0,1] op_sel_hi:[1,0,0]
	v_mov_b32_e32 v119, v115
	ds_load_2addr_b64 v[114:117], v108 offset0:26 offset1:27
	v_pk_add_f32 v[56:57], v[56:57], v[120:121] neg_lo:[0,1] neg_hi:[0,1]
	v_pk_add_f32 v[48:49], v[48:49], v[118:119] neg_lo:[0,1] neg_hi:[0,1]
	s_wait_dscnt 0x0
	v_dual_mul_f32 v118, v115, v107 :: v_dual_mul_f32 v120, v115, v104
	s_delay_alu instid0(VALU_DEP_1) | instskip(NEXT) | instid1(VALU_DEP_2)
	v_pk_fma_f32 v[118:119], v[114:115], v[78:79], v[118:119] op_sel_hi:[1,1,0] neg_lo:[0,0,1] neg_hi:[0,0,1]
	v_pk_fma_f32 v[114:115], v[114:115], v[78:79], v[120:121] op_sel:[1,0,0] op_sel_hi:[0,1,0]
	s_delay_alu instid0(VALU_DEP_1) | instskip(SKIP_1) | instid1(VALU_DEP_2)
	v_mov_b32_e32 v119, v115
	v_pk_mul_f32 v[114:115], v[116:117], v[106:107] op_sel:[0,1]
	v_pk_add_f32 v[54:55], v[54:55], v[118:119] neg_lo:[0,1] neg_hi:[0,1]
	s_delay_alu instid0(VALU_DEP_2) | instskip(SKIP_1) | instid1(VALU_DEP_1)
	v_pk_fma_f32 v[118:119], v[116:117], v[104:105], v[114:115] op_sel:[0,0,1] op_sel_hi:[1,1,0] neg_lo:[0,0,1] neg_hi:[0,0,1]
	v_pk_fma_f32 v[114:115], v[116:117], v[104:105], v[114:115] op_sel:[0,0,1] op_sel_hi:[1,0,0]
	v_mov_b32_e32 v119, v115
	ds_load_2addr_b64 v[114:117], v108 offset0:28 offset1:29
	v_pk_add_f32 v[46:47], v[46:47], v[118:119] neg_lo:[0,1] neg_hi:[0,1]
	s_wait_dscnt 0x0
	v_pk_mul_f32 v[118:119], v[114:115], v[106:107] op_sel:[0,1]
	s_delay_alu instid0(VALU_DEP_1) | instskip(SKIP_1) | instid1(VALU_DEP_1)
	v_pk_fma_f32 v[120:121], v[114:115], v[104:105], v[118:119] op_sel:[0,0,1] op_sel_hi:[1,1,0] neg_lo:[0,0,1] neg_hi:[0,0,1]
	v_pk_fma_f32 v[114:115], v[114:115], v[104:105], v[118:119] op_sel:[0,0,1] op_sel_hi:[1,0,0]
	v_mov_b32_e32 v121, v115
	v_pk_mul_f32 v[114:115], v[116:117], v[106:107] op_sel:[0,1]
	s_delay_alu instid0(VALU_DEP_2) | instskip(NEXT) | instid1(VALU_DEP_2)
	v_pk_add_f32 v[44:45], v[44:45], v[120:121] neg_lo:[0,1] neg_hi:[0,1]
	v_pk_fma_f32 v[118:119], v[116:117], v[104:105], v[114:115] op_sel:[0,0,1] op_sel_hi:[1,1,0] neg_lo:[0,0,1] neg_hi:[0,0,1]
	v_pk_fma_f32 v[114:115], v[116:117], v[104:105], v[114:115] op_sel:[0,0,1] op_sel_hi:[1,0,0]
	s_delay_alu instid0(VALU_DEP_1) | instskip(SKIP_4) | instid1(VALU_DEP_1)
	v_mov_b32_e32 v119, v115
	ds_load_2addr_b64 v[114:117], v108 offset0:30 offset1:31
	v_pk_add_f32 v[40:41], v[40:41], v[118:119] neg_lo:[0,1] neg_hi:[0,1]
	s_wait_dscnt 0x0
	v_pk_mul_f32 v[118:119], v[114:115], v[106:107] op_sel:[0,1]
	v_pk_fma_f32 v[120:121], v[114:115], v[104:105], v[118:119] op_sel:[0,0,1] op_sel_hi:[1,1,0] neg_lo:[0,0,1] neg_hi:[0,0,1]
	v_pk_fma_f32 v[114:115], v[114:115], v[104:105], v[118:119] op_sel:[0,0,1] op_sel_hi:[1,0,0]
	v_dual_mul_f32 v118, v117, v107 :: v_dual_mov_b32 v114, v117
	s_delay_alu instid0(VALU_DEP_2) | instskip(NEXT) | instid1(VALU_DEP_2)
	v_dual_mov_b32 v121, v115 :: v_dual_mov_b32 v115, v116
	v_pk_fma_f32 v[118:119], v[116:117], v[78:79], v[118:119] op_sel_hi:[1,1,0] neg_lo:[0,0,1] neg_hi:[0,0,1]
	v_mul_f32_e32 v116, v117, v104
	s_delay_alu instid0(VALU_DEP_3) | instskip(NEXT) | instid1(VALU_DEP_2)
	v_pk_add_f32 v[42:43], v[42:43], v[120:121] neg_lo:[0,1] neg_hi:[0,1]
	v_pk_fma_f32 v[114:115], v[114:115], v[78:79], v[116:117] op_sel_hi:[1,1,0]
	s_delay_alu instid0(VALU_DEP_1) | instskip(SKIP_4) | instid1(VALU_DEP_1)
	v_mov_b32_e32 v119, v115
	ds_load_2addr_b64 v[114:117], v108 offset0:32 offset1:33
	v_pk_add_f32 v[38:39], v[38:39], v[118:119] neg_lo:[0,1] neg_hi:[0,1]
	s_wait_dscnt 0x0
	v_pk_mul_f32 v[118:119], v[114:115], v[106:107] op_sel:[0,1]
	v_pk_fma_f32 v[120:121], v[114:115], v[104:105], v[118:119] op_sel:[0,0,1] op_sel_hi:[1,1,0] neg_lo:[0,0,1] neg_hi:[0,0,1]
	v_pk_fma_f32 v[114:115], v[114:115], v[104:105], v[118:119] op_sel:[0,0,1] op_sel_hi:[1,0,0]
	s_delay_alu instid0(VALU_DEP_1) | instskip(SKIP_1) | instid1(VALU_DEP_1)
	v_mov_b32_e32 v121, v115
	v_pk_mul_f32 v[114:115], v[116:117], v[106:107] op_sel:[0,1]
	v_pk_fma_f32 v[118:119], v[116:117], v[104:105], v[114:115] op_sel:[0,0,1] op_sel_hi:[1,1,0] neg_lo:[0,0,1] neg_hi:[0,0,1]
	v_pk_fma_f32 v[114:115], v[116:117], v[104:105], v[114:115] op_sel:[0,0,1] op_sel_hi:[1,0,0]
	s_delay_alu instid0(VALU_DEP_1)
	v_mov_b32_e32 v119, v115
	ds_load_2addr_b64 v[114:117], v108 offset0:34 offset1:35
	v_pk_add_f32 v[36:37], v[36:37], v[120:121] neg_lo:[0,1] neg_hi:[0,1]
	v_pk_add_f32 v[32:33], v[32:33], v[118:119] neg_lo:[0,1] neg_hi:[0,1]
	s_wait_dscnt 0x0
	v_pk_mul_f32 v[118:119], v[114:115], v[106:107] op_sel:[0,1]
	s_delay_alu instid0(VALU_DEP_1) | instskip(SKIP_1) | instid1(VALU_DEP_1)
	v_pk_fma_f32 v[120:121], v[114:115], v[104:105], v[118:119] op_sel:[0,0,1] op_sel_hi:[1,1,0] neg_lo:[0,0,1] neg_hi:[0,0,1]
	v_pk_fma_f32 v[114:115], v[114:115], v[104:105], v[118:119] op_sel:[0,0,1] op_sel_hi:[1,0,0]
	v_mov_b32_e32 v121, v115
	v_pk_mul_f32 v[114:115], v[116:117], v[106:107] op_sel:[0,1]
	s_delay_alu instid0(VALU_DEP_1) | instskip(SKIP_1) | instid1(VALU_DEP_1)
	v_pk_fma_f32 v[118:119], v[116:117], v[104:105], v[114:115] op_sel:[0,0,1] op_sel_hi:[1,1,0] neg_lo:[0,0,1] neg_hi:[0,0,1]
	v_pk_fma_f32 v[114:115], v[116:117], v[104:105], v[114:115] op_sel:[0,0,1] op_sel_hi:[1,0,0]
	v_mov_b32_e32 v119, v115
	ds_load_2addr_b64 v[114:117], v108 offset0:36 offset1:37
	v_pk_add_f32 v[34:35], v[34:35], v[120:121] neg_lo:[0,1] neg_hi:[0,1]
	v_pk_add_f32 v[30:31], v[30:31], v[118:119] neg_lo:[0,1] neg_hi:[0,1]
	s_wait_dscnt 0x0
	v_dual_mul_f32 v118, v115, v107 :: v_dual_mul_f32 v120, v115, v104
	s_delay_alu instid0(VALU_DEP_1) | instskip(NEXT) | instid1(VALU_DEP_2)
	v_pk_fma_f32 v[118:119], v[114:115], v[78:79], v[118:119] op_sel_hi:[1,1,0] neg_lo:[0,0,1] neg_hi:[0,0,1]
	v_pk_fma_f32 v[114:115], v[114:115], v[78:79], v[120:121] op_sel:[1,0,0] op_sel_hi:[0,1,0]
	s_delay_alu instid0(VALU_DEP_1) | instskip(SKIP_1) | instid1(VALU_DEP_2)
	v_mov_b32_e32 v119, v115
	v_pk_mul_f32 v[114:115], v[116:117], v[106:107] op_sel:[0,1]
	v_pk_add_f32 v[26:27], v[26:27], v[118:119] neg_lo:[0,1] neg_hi:[0,1]
	s_delay_alu instid0(VALU_DEP_2) | instskip(SKIP_1) | instid1(VALU_DEP_1)
	v_pk_fma_f32 v[118:119], v[116:117], v[104:105], v[114:115] op_sel:[0,0,1] op_sel_hi:[1,1,0] neg_lo:[0,0,1] neg_hi:[0,0,1]
	v_pk_fma_f32 v[114:115], v[116:117], v[104:105], v[114:115] op_sel:[0,0,1] op_sel_hi:[1,0,0]
	v_mov_b32_e32 v119, v115
	ds_load_2addr_b64 v[114:117], v108 offset0:38 offset1:39
	v_pk_add_f32 v[22:23], v[22:23], v[118:119] neg_lo:[0,1] neg_hi:[0,1]
	s_wait_dscnt 0x0
	v_pk_mul_f32 v[118:119], v[114:115], v[106:107] op_sel:[0,1]
	s_delay_alu instid0(VALU_DEP_1) | instskip(SKIP_1) | instid1(VALU_DEP_1)
	v_pk_fma_f32 v[120:121], v[114:115], v[104:105], v[118:119] op_sel:[0,0,1] op_sel_hi:[1,1,0] neg_lo:[0,0,1] neg_hi:[0,0,1]
	v_pk_fma_f32 v[114:115], v[114:115], v[104:105], v[118:119] op_sel:[0,0,1] op_sel_hi:[1,0,0]
	v_mov_b32_e32 v121, v115
	v_pk_mul_f32 v[114:115], v[116:117], v[106:107] op_sel:[0,1]
	s_delay_alu instid0(VALU_DEP_2) | instskip(NEXT) | instid1(VALU_DEP_2)
	v_pk_add_f32 v[24:25], v[24:25], v[120:121] neg_lo:[0,1] neg_hi:[0,1]
	v_pk_fma_f32 v[118:119], v[116:117], v[104:105], v[114:115] op_sel:[0,0,1] op_sel_hi:[1,1,0] neg_lo:[0,0,1] neg_hi:[0,0,1]
	v_pk_fma_f32 v[114:115], v[116:117], v[104:105], v[114:115] op_sel:[0,0,1] op_sel_hi:[1,0,0]
	s_delay_alu instid0(VALU_DEP_1) | instskip(SKIP_4) | instid1(VALU_DEP_1)
	v_mov_b32_e32 v119, v115
	ds_load_2addr_b64 v[114:117], v108 offset0:40 offset1:41
	v_pk_add_f32 v[20:21], v[20:21], v[118:119] neg_lo:[0,1] neg_hi:[0,1]
	s_wait_dscnt 0x0
	v_pk_mul_f32 v[118:119], v[114:115], v[106:107] op_sel:[0,1]
	v_pk_fma_f32 v[120:121], v[114:115], v[104:105], v[118:119] op_sel:[0,0,1] op_sel_hi:[1,1,0] neg_lo:[0,0,1] neg_hi:[0,0,1]
	v_pk_fma_f32 v[114:115], v[114:115], v[104:105], v[118:119] op_sel:[0,0,1] op_sel_hi:[1,0,0]
	v_dual_mul_f32 v118, v117, v107 :: v_dual_mov_b32 v114, v117
	s_delay_alu instid0(VALU_DEP_2) | instskip(NEXT) | instid1(VALU_DEP_2)
	v_dual_mov_b32 v121, v115 :: v_dual_mov_b32 v115, v116
	v_pk_fma_f32 v[118:119], v[116:117], v[78:79], v[118:119] op_sel_hi:[1,1,0] neg_lo:[0,0,1] neg_hi:[0,0,1]
	v_mul_f32_e32 v116, v117, v104
	s_delay_alu instid0(VALU_DEP_3) | instskip(NEXT) | instid1(VALU_DEP_2)
	v_pk_add_f32 v[14:15], v[14:15], v[120:121] neg_lo:[0,1] neg_hi:[0,1]
	v_pk_fma_f32 v[114:115], v[114:115], v[78:79], v[116:117] op_sel_hi:[1,1,0]
	s_delay_alu instid0(VALU_DEP_1) | instskip(SKIP_4) | instid1(VALU_DEP_1)
	v_mov_b32_e32 v119, v115
	ds_load_2addr_b64 v[114:117], v108 offset0:42 offset1:43
	v_pk_add_f32 v[10:11], v[10:11], v[118:119] neg_lo:[0,1] neg_hi:[0,1]
	s_wait_dscnt 0x0
	v_pk_mul_f32 v[118:119], v[114:115], v[106:107] op_sel:[0,1]
	v_pk_fma_f32 v[120:121], v[114:115], v[104:105], v[118:119] op_sel:[0,0,1] op_sel_hi:[1,1,0] neg_lo:[0,0,1] neg_hi:[0,0,1]
	v_pk_fma_f32 v[114:115], v[114:115], v[104:105], v[118:119] op_sel:[0,0,1] op_sel_hi:[1,0,0]
	s_delay_alu instid0(VALU_DEP_1) | instskip(SKIP_1) | instid1(VALU_DEP_1)
	v_mov_b32_e32 v121, v115
	v_pk_mul_f32 v[114:115], v[116:117], v[106:107] op_sel:[0,1]
	v_pk_fma_f32 v[118:119], v[116:117], v[104:105], v[114:115] op_sel:[0,0,1] op_sel_hi:[1,1,0] neg_lo:[0,0,1] neg_hi:[0,0,1]
	v_pk_fma_f32 v[114:115], v[116:117], v[104:105], v[114:115] op_sel:[0,0,1] op_sel_hi:[1,0,0]
	s_delay_alu instid0(VALU_DEP_1)
	v_mov_b32_e32 v119, v115
	ds_load_2addr_b64 v[114:117], v108 offset0:44 offset1:45
	v_pk_add_f32 v[12:13], v[12:13], v[120:121] neg_lo:[0,1] neg_hi:[0,1]
	v_pk_add_f32 v[8:9], v[8:9], v[118:119] neg_lo:[0,1] neg_hi:[0,1]
	s_wait_dscnt 0x0
	v_pk_mul_f32 v[118:119], v[114:115], v[106:107] op_sel:[0,1]
	s_delay_alu instid0(VALU_DEP_1) | instskip(SKIP_1) | instid1(VALU_DEP_1)
	v_pk_fma_f32 v[120:121], v[114:115], v[104:105], v[118:119] op_sel:[0,0,1] op_sel_hi:[1,1,0] neg_lo:[0,0,1] neg_hi:[0,0,1]
	v_pk_fma_f32 v[114:115], v[114:115], v[104:105], v[118:119] op_sel:[0,0,1] op_sel_hi:[1,0,0]
	v_mov_b32_e32 v121, v115
	v_pk_mul_f32 v[114:115], v[116:117], v[106:107] op_sel:[0,1]
	s_delay_alu instid0(VALU_DEP_1) | instskip(SKIP_1) | instid1(VALU_DEP_1)
	v_pk_fma_f32 v[118:119], v[116:117], v[104:105], v[114:115] op_sel:[0,0,1] op_sel_hi:[1,1,0] neg_lo:[0,0,1] neg_hi:[0,0,1]
	v_pk_fma_f32 v[114:115], v[116:117], v[104:105], v[114:115] op_sel:[0,0,1] op_sel_hi:[1,0,0]
	v_mov_b32_e32 v119, v115
	ds_load_2addr_b64 v[114:117], v108 offset0:46 offset1:47
	v_pk_add_f32 v[6:7], v[6:7], v[120:121] neg_lo:[0,1] neg_hi:[0,1]
	v_pk_add_f32 v[28:29], v[28:29], v[118:119] neg_lo:[0,1] neg_hi:[0,1]
	s_wait_dscnt 0x0
	v_dual_mul_f32 v118, v115, v107 :: v_dual_mul_f32 v120, v115, v104
	s_delay_alu instid0(VALU_DEP_1) | instskip(NEXT) | instid1(VALU_DEP_2)
	v_pk_fma_f32 v[118:119], v[114:115], v[78:79], v[118:119] op_sel_hi:[1,1,0] neg_lo:[0,0,1] neg_hi:[0,0,1]
	v_pk_fma_f32 v[114:115], v[114:115], v[78:79], v[120:121] op_sel:[1,0,0] op_sel_hi:[0,1,0]
	s_delay_alu instid0(VALU_DEP_1) | instskip(SKIP_1) | instid1(VALU_DEP_2)
	v_mov_b32_e32 v119, v115
	v_pk_mul_f32 v[114:115], v[116:117], v[106:107] op_sel:[0,1]
	v_pk_add_f32 v[18:19], v[18:19], v[118:119] neg_lo:[0,1] neg_hi:[0,1]
	s_delay_alu instid0(VALU_DEP_2) | instskip(SKIP_1) | instid1(VALU_DEP_1)
	v_pk_fma_f32 v[118:119], v[116:117], v[104:105], v[114:115] op_sel:[0,0,1] op_sel_hi:[1,1,0] neg_lo:[0,0,1] neg_hi:[0,0,1]
	v_pk_fma_f32 v[114:115], v[116:117], v[104:105], v[114:115] op_sel:[0,0,1] op_sel_hi:[1,0,0]
	v_mov_b32_e32 v119, v115
	ds_load_b64 v[114:115], v108 offset:384
	v_pk_add_f32 v[16:17], v[16:17], v[118:119] neg_lo:[0,1] neg_hi:[0,1]
	s_wait_dscnt 0x0
	v_pk_mul_f32 v[106:107], v[114:115], v[106:107] op_sel:[0,1]
	s_delay_alu instid0(VALU_DEP_1) | instskip(SKIP_1) | instid1(VALU_DEP_1)
	v_pk_fma_f32 v[116:117], v[114:115], v[104:105], v[106:107] op_sel:[0,0,1] op_sel_hi:[1,1,0] neg_lo:[0,0,1] neg_hi:[0,0,1]
	v_pk_fma_f32 v[104:105], v[114:115], v[104:105], v[106:107] op_sel:[0,0,1] op_sel_hi:[1,0,0]
	v_mov_b32_e32 v117, v105
	s_delay_alu instid0(VALU_DEP_1)
	v_pk_add_f32 v[102:103], v[102:103], v[116:117] neg_lo:[0,1] neg_hi:[0,1]
.LBB96_377:
	s_or_b32 exec_lo, exec_lo, s0
	v_lshl_add_u32 v104, v112, 3, v108
	s_barrier_signal -1
	s_barrier_wait -1
	ds_store_b64 v104, v[80:81]
	s_wait_dscnt 0x0
	s_barrier_signal -1
	s_barrier_wait -1
	ds_load_b64 v[106:107], v108 offset:144
	v_mov_b32_e32 v104, 18
	s_cmp_lt_i32 s18, 20
	s_cbranch_scc1 .LBB96_380
; %bb.378:
	v_add3_u32 v105, v109, 0, 0x98
	v_mov_b32_e32 v104, 18
	s_mov_b32 s0, 19
.LBB96_379:                             ; =>This Inner Loop Header: Depth=1
	ds_load_b64 v[114:115], v105
	s_wait_dscnt 0x1
	v_cmp_gt_f32_e32 vcc_lo, 0, v106
	v_cndmask_b32_e64 v116, v106, -v106, vcc_lo
	v_cmp_gt_f32_e32 vcc_lo, 0, v107
	v_cndmask_b32_e64 v118, v107, -v107, vcc_lo
	s_wait_dscnt 0x0
	v_cmp_gt_f32_e32 vcc_lo, 0, v114
	v_cndmask_b32_e64 v117, v114, -v114, vcc_lo
	v_cmp_gt_f32_e32 vcc_lo, 0, v115
	v_cndmask_b32_e64 v119, v115, -v115, vcc_lo
	s_delay_alu instid0(VALU_DEP_1) | instskip(NEXT) | instid1(VALU_DEP_1)
	v_pk_add_f32 v[116:117], v[116:117], v[118:119]
	v_cmp_lt_f32_e32 vcc_lo, v116, v117
	v_dual_add_nc_u32 v105, 8, v105 :: v_dual_cndmask_b32 v107, v107, v115, vcc_lo
	v_cndmask_b32_e32 v106, v106, v114, vcc_lo
	v_cndmask_b32_e64 v104, v104, s0, vcc_lo
	s_add_co_i32 s0, s0, 1
	s_delay_alu instid0(SALU_CYCLE_1)
	s_cmp_lg_u32 s18, s0
	s_cbranch_scc1 .LBB96_379
.LBB96_380:
	s_wait_dscnt 0x0
	v_cmp_eq_f32_e32 vcc_lo, 0, v106
	v_cmp_eq_f32_e64 s0, 0, v107
	s_and_b32 s0, vcc_lo, s0
	s_delay_alu instid0(SALU_CYCLE_1) | instskip(NEXT) | instid1(SALU_CYCLE_1)
	s_and_saveexec_b32 s1, s0
	s_xor_b32 s0, exec_lo, s1
; %bb.381:
	v_cmp_ne_u32_e32 vcc_lo, 0, v110
	v_cndmask_b32_e32 v110, 19, v110, vcc_lo
; %bb.382:
	s_and_not1_saveexec_b32 s0, s0
	s_cbranch_execz .LBB96_388
; %bb.383:
	v_cmp_ngt_f32_e64 s1, |v106|, |v107|
	s_and_saveexec_b32 s12, s1
	s_delay_alu instid0(SALU_CYCLE_1)
	s_xor_b32 s1, exec_lo, s12
	s_cbranch_execz .LBB96_385
; %bb.384:
	v_div_scale_f32 v105, null, v107, v107, v106
	v_div_scale_f32 v115, vcc_lo, v106, v107, v106
	s_delay_alu instid0(VALU_DEP_2) | instskip(SKIP_1) | instid1(TRANS32_DEP_1)
	v_rcp_f32_e32 v113, v105
	v_nop
	v_fma_f32 v114, -v105, v113, 1.0
	s_delay_alu instid0(VALU_DEP_1) | instskip(NEXT) | instid1(VALU_DEP_1)
	v_fmac_f32_e32 v113, v114, v113
	v_mul_f32_e32 v114, v115, v113
	s_delay_alu instid0(VALU_DEP_1) | instskip(NEXT) | instid1(VALU_DEP_1)
	v_fma_f32 v116, -v105, v114, v115
	v_fmac_f32_e32 v114, v116, v113
	s_delay_alu instid0(VALU_DEP_1) | instskip(NEXT) | instid1(VALU_DEP_1)
	v_fma_f32 v105, -v105, v114, v115
	v_div_fmas_f32 v105, v105, v113, v114
	s_delay_alu instid0(VALU_DEP_1) | instskip(NEXT) | instid1(VALU_DEP_1)
	v_div_fixup_f32 v105, v105, v107, v106
	v_fmac_f32_e32 v107, v106, v105
	s_delay_alu instid0(VALU_DEP_1) | instskip(SKIP_1) | instid1(VALU_DEP_2)
	v_div_scale_f32 v106, null, v107, v107, 1.0
	v_div_scale_f32 v115, vcc_lo, 1.0, v107, 1.0
	v_rcp_f32_e32 v113, v106
	v_nop
	s_delay_alu instid0(TRANS32_DEP_1) | instskip(NEXT) | instid1(VALU_DEP_1)
	v_fma_f32 v114, -v106, v113, 1.0
	v_fmac_f32_e32 v113, v114, v113
	s_delay_alu instid0(VALU_DEP_1) | instskip(NEXT) | instid1(VALU_DEP_1)
	v_mul_f32_e32 v114, v115, v113
	v_fma_f32 v116, -v106, v114, v115
	s_delay_alu instid0(VALU_DEP_1) | instskip(NEXT) | instid1(VALU_DEP_1)
	v_fmac_f32_e32 v114, v116, v113
	v_fma_f32 v106, -v106, v114, v115
	s_delay_alu instid0(VALU_DEP_1) | instskip(NEXT) | instid1(VALU_DEP_1)
	v_div_fmas_f32 v106, v106, v113, v114
	v_div_fixup_f32 v107, v106, v107, 1.0
	s_delay_alu instid0(VALU_DEP_1)
	v_mul_f32_e32 v106, v105, v107
	v_xor_b32_e32 v107, 0x80000000, v107
.LBB96_385:
	s_and_not1_saveexec_b32 s1, s1
	s_cbranch_execz .LBB96_387
; %bb.386:
	s_delay_alu instid0(VALU_DEP_1) | instskip(SKIP_1) | instid1(VALU_DEP_2)
	v_div_scale_f32 v105, null, v106, v106, v107
	v_div_scale_f32 v115, vcc_lo, v107, v106, v107
	v_rcp_f32_e32 v113, v105
	v_nop
	s_delay_alu instid0(TRANS32_DEP_1) | instskip(NEXT) | instid1(VALU_DEP_1)
	v_fma_f32 v114, -v105, v113, 1.0
	v_fmac_f32_e32 v113, v114, v113
	s_delay_alu instid0(VALU_DEP_1) | instskip(NEXT) | instid1(VALU_DEP_1)
	v_mul_f32_e32 v114, v115, v113
	v_fma_f32 v116, -v105, v114, v115
	s_delay_alu instid0(VALU_DEP_1) | instskip(NEXT) | instid1(VALU_DEP_1)
	v_fmac_f32_e32 v114, v116, v113
	v_fma_f32 v105, -v105, v114, v115
	s_delay_alu instid0(VALU_DEP_1) | instskip(NEXT) | instid1(VALU_DEP_1)
	v_div_fmas_f32 v105, v105, v113, v114
	v_div_fixup_f32 v105, v105, v106, v107
	s_delay_alu instid0(VALU_DEP_1) | instskip(NEXT) | instid1(VALU_DEP_1)
	v_fmac_f32_e32 v106, v107, v105
	v_div_scale_f32 v107, null, v106, v106, 1.0
	s_delay_alu instid0(VALU_DEP_1) | instskip(SKIP_1) | instid1(TRANS32_DEP_1)
	v_rcp_f32_e32 v113, v107
	v_nop
	v_fma_f32 v114, -v107, v113, 1.0
	s_delay_alu instid0(VALU_DEP_1) | instskip(SKIP_1) | instid1(VALU_DEP_1)
	v_fmac_f32_e32 v113, v114, v113
	v_div_scale_f32 v114, vcc_lo, 1.0, v106, 1.0
	v_mul_f32_e32 v115, v114, v113
	s_delay_alu instid0(VALU_DEP_1) | instskip(NEXT) | instid1(VALU_DEP_1)
	v_fma_f32 v116, -v107, v115, v114
	v_fmac_f32_e32 v115, v116, v113
	s_delay_alu instid0(VALU_DEP_1) | instskip(NEXT) | instid1(VALU_DEP_1)
	v_fma_f32 v107, -v107, v115, v114
	v_div_fmas_f32 v107, v107, v113, v115
	s_delay_alu instid0(VALU_DEP_1) | instskip(NEXT) | instid1(VALU_DEP_1)
	v_div_fixup_f32 v106, v107, v106, 1.0
	v_mul_f32_e64 v107, v105, -v106
.LBB96_387:
	s_or_b32 exec_lo, exec_lo, s1
.LBB96_388:
	s_delay_alu instid0(SALU_CYCLE_1) | instskip(NEXT) | instid1(SALU_CYCLE_1)
	s_or_b32 exec_lo, exec_lo, s0
	s_mov_b32 s0, exec_lo
	v_cmpx_ne_u32_e64 v112, v104
	s_xor_b32 s0, exec_lo, s0
	s_cbranch_execz .LBB96_394
; %bb.389:
	s_mov_b32 s1, exec_lo
	v_cmpx_eq_u32_e32 18, v112
	s_cbranch_execz .LBB96_393
; %bb.390:
	v_cmp_ne_u32_e32 vcc_lo, 18, v104
	s_xor_b32 s12, s16, -1
	s_delay_alu instid0(SALU_CYCLE_1) | instskip(NEXT) | instid1(SALU_CYCLE_1)
	s_and_b32 s13, s12, vcc_lo
	s_and_saveexec_b32 s12, s13
	s_cbranch_execz .LBB96_392
; %bb.391:
	v_ashrrev_i32_e32 v105, 31, v104
	s_delay_alu instid0(VALU_DEP_1)
	v_lshl_add_u64 v[112:113], v[104:105], 2, v[4:5]
	s_clause 0x1
	global_load_b32 v105, v[112:113], off
	global_load_b32 v111, v[4:5], off offset:72
	s_wait_loadcnt 0x1
	global_store_b32 v[4:5], v105, off offset:72
	s_wait_loadcnt 0x0
	global_store_b32 v[112:113], v111, off
.LBB96_392:
	s_wait_xcnt 0x0
	s_or_b32 exec_lo, exec_lo, s12
	v_dual_mov_b32 v112, v104 :: v_dual_mov_b32 v111, v104
.LBB96_393:
	s_or_b32 exec_lo, exec_lo, s1
.LBB96_394:
	s_and_not1_saveexec_b32 s0, s0
	s_cbranch_execz .LBB96_396
; %bb.395:
	v_mov_b32_e32 v112, 18
	ds_store_2addr_b64 v108, v[76:77], v[74:75] offset0:19 offset1:20
	ds_store_2addr_b64 v108, v[70:71], v[72:73] offset0:21 offset1:22
	;; [unrolled: 1-line block ×15, first 2 shown]
.LBB96_396:
	s_or_b32 exec_lo, exec_lo, s0
	s_delay_alu instid0(SALU_CYCLE_1)
	s_mov_b32 s0, exec_lo
	s_wait_storecnt_dscnt 0x0
	s_barrier_signal -1
	s_barrier_wait -1
	v_cmpx_lt_i32_e32 18, v112
	s_cbranch_execz .LBB96_398
; %bb.397:
	v_pk_mul_f32 v[114:115], v[106:107], v[80:81] op_sel:[1,1] op_sel_hi:[0,1]
	s_delay_alu instid0(VALU_DEP_1)
	v_pk_fma_f32 v[104:105], v[106:107], v[80:81], v[114:115] op_sel_hi:[1,0,1] neg_lo:[0,0,1] neg_hi:[0,0,1]
	v_pk_fma_f32 v[106:107], v[106:107], v[80:81], v[114:115] op_sel_hi:[1,0,1]
	ds_load_2addr_b64 v[114:117], v108 offset0:19 offset1:20
	v_dual_mov_b32 v80, v104 :: v_dual_mov_b32 v81, v107
	s_wait_dscnt 0x0
	v_pk_mul_f32 v[118:119], v[114:115], v[106:107] op_sel:[0,1]
	s_delay_alu instid0(VALU_DEP_1) | instskip(SKIP_1) | instid1(VALU_DEP_1)
	v_pk_fma_f32 v[120:121], v[114:115], v[104:105], v[118:119] op_sel:[0,0,1] op_sel_hi:[1,1,0] neg_lo:[0,0,1] neg_hi:[0,0,1]
	v_pk_fma_f32 v[114:115], v[114:115], v[104:105], v[118:119] op_sel:[0,0,1] op_sel_hi:[1,0,0]
	v_mov_b32_e32 v121, v115
	v_pk_mul_f32 v[114:115], v[116:117], v[106:107] op_sel:[0,1]
	s_delay_alu instid0(VALU_DEP_1) | instskip(SKIP_1) | instid1(VALU_DEP_1)
	v_pk_fma_f32 v[118:119], v[116:117], v[104:105], v[114:115] op_sel:[0,0,1] op_sel_hi:[1,1,0] neg_lo:[0,0,1] neg_hi:[0,0,1]
	v_pk_fma_f32 v[114:115], v[116:117], v[104:105], v[114:115] op_sel:[0,0,1] op_sel_hi:[1,0,0]
	v_mov_b32_e32 v119, v115
	ds_load_2addr_b64 v[114:117], v108 offset0:21 offset1:22
	v_pk_add_f32 v[76:77], v[76:77], v[120:121] neg_lo:[0,1] neg_hi:[0,1]
	v_pk_add_f32 v[74:75], v[74:75], v[118:119] neg_lo:[0,1] neg_hi:[0,1]
	s_wait_dscnt 0x0
	v_pk_mul_f32 v[118:119], v[114:115], v[106:107] op_sel:[0,1]
	s_delay_alu instid0(VALU_DEP_1) | instskip(SKIP_2) | instid1(VALU_DEP_2)
	v_pk_fma_f32 v[120:121], v[114:115], v[104:105], v[118:119] op_sel:[0,0,1] op_sel_hi:[1,1,0] neg_lo:[0,0,1] neg_hi:[0,0,1]
	v_pk_fma_f32 v[114:115], v[114:115], v[104:105], v[118:119] op_sel:[0,0,1] op_sel_hi:[1,0,0]
	v_dual_mul_f32 v118, v117, v107 :: v_dual_mov_b32 v114, v117
	v_dual_mov_b32 v121, v115 :: v_dual_mov_b32 v115, v116
	s_delay_alu instid0(VALU_DEP_2) | instskip(SKIP_1) | instid1(VALU_DEP_3)
	v_pk_fma_f32 v[118:119], v[116:117], v[80:81], v[118:119] op_sel_hi:[1,1,0] neg_lo:[0,0,1] neg_hi:[0,0,1]
	v_mul_f32_e32 v116, v117, v104
	v_pk_add_f32 v[70:71], v[70:71], v[120:121] neg_lo:[0,1] neg_hi:[0,1]
	s_delay_alu instid0(VALU_DEP_2) | instskip(NEXT) | instid1(VALU_DEP_1)
	v_pk_fma_f32 v[114:115], v[114:115], v[80:81], v[116:117] op_sel_hi:[1,1,0]
	v_mov_b32_e32 v119, v115
	ds_load_2addr_b64 v[114:117], v108 offset0:23 offset1:24
	v_pk_add_f32 v[72:73], v[72:73], v[118:119] neg_lo:[0,1] neg_hi:[0,1]
	s_wait_dscnt 0x0
	v_pk_mul_f32 v[118:119], v[114:115], v[106:107] op_sel:[0,1]
	s_delay_alu instid0(VALU_DEP_1) | instskip(SKIP_1) | instid1(VALU_DEP_1)
	v_pk_fma_f32 v[120:121], v[114:115], v[104:105], v[118:119] op_sel:[0,0,1] op_sel_hi:[1,1,0] neg_lo:[0,0,1] neg_hi:[0,0,1]
	v_pk_fma_f32 v[114:115], v[114:115], v[104:105], v[118:119] op_sel:[0,0,1] op_sel_hi:[1,0,0]
	v_mov_b32_e32 v121, v115
	v_pk_mul_f32 v[114:115], v[116:117], v[106:107] op_sel:[0,1]
	s_delay_alu instid0(VALU_DEP_1) | instskip(SKIP_1) | instid1(VALU_DEP_1)
	v_pk_fma_f32 v[118:119], v[116:117], v[104:105], v[114:115] op_sel:[0,0,1] op_sel_hi:[1,1,0] neg_lo:[0,0,1] neg_hi:[0,0,1]
	v_pk_fma_f32 v[114:115], v[116:117], v[104:105], v[114:115] op_sel:[0,0,1] op_sel_hi:[1,0,0]
	v_mov_b32_e32 v119, v115
	ds_load_2addr_b64 v[114:117], v108 offset0:25 offset1:26
	v_pk_add_f32 v[68:69], v[68:69], v[120:121] neg_lo:[0,1] neg_hi:[0,1]
	v_pk_add_f32 v[56:57], v[56:57], v[118:119] neg_lo:[0,1] neg_hi:[0,1]
	s_wait_dscnt 0x0
	v_pk_mul_f32 v[118:119], v[114:115], v[106:107] op_sel:[0,1]
	s_delay_alu instid0(VALU_DEP_1) | instskip(SKIP_1) | instid1(VALU_DEP_1)
	v_pk_fma_f32 v[120:121], v[114:115], v[104:105], v[118:119] op_sel:[0,0,1] op_sel_hi:[1,1,0] neg_lo:[0,0,1] neg_hi:[0,0,1]
	v_pk_fma_f32 v[114:115], v[114:115], v[104:105], v[118:119] op_sel:[0,0,1] op_sel_hi:[1,0,0]
	v_mov_b32_e32 v121, v115
	v_pk_mul_f32 v[114:115], v[116:117], v[106:107] op_sel:[0,1]
	s_delay_alu instid0(VALU_DEP_1) | instskip(SKIP_1) | instid1(VALU_DEP_1)
	v_pk_fma_f32 v[118:119], v[116:117], v[104:105], v[114:115] op_sel:[0,0,1] op_sel_hi:[1,1,0] neg_lo:[0,0,1] neg_hi:[0,0,1]
	v_pk_fma_f32 v[114:115], v[116:117], v[104:105], v[114:115] op_sel:[0,0,1] op_sel_hi:[1,0,0]
	v_mov_b32_e32 v119, v115
	ds_load_2addr_b64 v[114:117], v108 offset0:27 offset1:28
	v_pk_add_f32 v[48:49], v[48:49], v[120:121] neg_lo:[0,1] neg_hi:[0,1]
	v_pk_add_f32 v[54:55], v[54:55], v[118:119] neg_lo:[0,1] neg_hi:[0,1]
	s_wait_dscnt 0x0
	v_dual_mul_f32 v118, v115, v107 :: v_dual_mul_f32 v120, v115, v104
	s_delay_alu instid0(VALU_DEP_1) | instskip(NEXT) | instid1(VALU_DEP_2)
	v_pk_fma_f32 v[118:119], v[114:115], v[80:81], v[118:119] op_sel_hi:[1,1,0] neg_lo:[0,0,1] neg_hi:[0,0,1]
	v_pk_fma_f32 v[114:115], v[114:115], v[80:81], v[120:121] op_sel:[1,0,0] op_sel_hi:[0,1,0]
	s_delay_alu instid0(VALU_DEP_1) | instskip(SKIP_1) | instid1(VALU_DEP_2)
	v_mov_b32_e32 v119, v115
	v_pk_mul_f32 v[114:115], v[116:117], v[106:107] op_sel:[0,1]
	v_pk_add_f32 v[46:47], v[46:47], v[118:119] neg_lo:[0,1] neg_hi:[0,1]
	s_delay_alu instid0(VALU_DEP_2) | instskip(SKIP_1) | instid1(VALU_DEP_1)
	v_pk_fma_f32 v[118:119], v[116:117], v[104:105], v[114:115] op_sel:[0,0,1] op_sel_hi:[1,1,0] neg_lo:[0,0,1] neg_hi:[0,0,1]
	v_pk_fma_f32 v[114:115], v[116:117], v[104:105], v[114:115] op_sel:[0,0,1] op_sel_hi:[1,0,0]
	v_mov_b32_e32 v119, v115
	ds_load_2addr_b64 v[114:117], v108 offset0:29 offset1:30
	v_pk_add_f32 v[44:45], v[44:45], v[118:119] neg_lo:[0,1] neg_hi:[0,1]
	s_wait_dscnt 0x0
	v_pk_mul_f32 v[118:119], v[114:115], v[106:107] op_sel:[0,1]
	s_delay_alu instid0(VALU_DEP_1) | instskip(SKIP_1) | instid1(VALU_DEP_1)
	v_pk_fma_f32 v[120:121], v[114:115], v[104:105], v[118:119] op_sel:[0,0,1] op_sel_hi:[1,1,0] neg_lo:[0,0,1] neg_hi:[0,0,1]
	v_pk_fma_f32 v[114:115], v[114:115], v[104:105], v[118:119] op_sel:[0,0,1] op_sel_hi:[1,0,0]
	v_mov_b32_e32 v121, v115
	v_pk_mul_f32 v[114:115], v[116:117], v[106:107] op_sel:[0,1]
	s_delay_alu instid0(VALU_DEP_2) | instskip(NEXT) | instid1(VALU_DEP_2)
	v_pk_add_f32 v[40:41], v[40:41], v[120:121] neg_lo:[0,1] neg_hi:[0,1]
	v_pk_fma_f32 v[118:119], v[116:117], v[104:105], v[114:115] op_sel:[0,0,1] op_sel_hi:[1,1,0] neg_lo:[0,0,1] neg_hi:[0,0,1]
	v_pk_fma_f32 v[114:115], v[116:117], v[104:105], v[114:115] op_sel:[0,0,1] op_sel_hi:[1,0,0]
	s_delay_alu instid0(VALU_DEP_1) | instskip(SKIP_4) | instid1(VALU_DEP_1)
	v_mov_b32_e32 v119, v115
	ds_load_2addr_b64 v[114:117], v108 offset0:31 offset1:32
	v_pk_add_f32 v[42:43], v[42:43], v[118:119] neg_lo:[0,1] neg_hi:[0,1]
	s_wait_dscnt 0x0
	v_pk_mul_f32 v[118:119], v[114:115], v[106:107] op_sel:[0,1]
	v_pk_fma_f32 v[120:121], v[114:115], v[104:105], v[118:119] op_sel:[0,0,1] op_sel_hi:[1,1,0] neg_lo:[0,0,1] neg_hi:[0,0,1]
	v_pk_fma_f32 v[114:115], v[114:115], v[104:105], v[118:119] op_sel:[0,0,1] op_sel_hi:[1,0,0]
	v_dual_mul_f32 v118, v117, v107 :: v_dual_mov_b32 v114, v117
	s_delay_alu instid0(VALU_DEP_2) | instskip(NEXT) | instid1(VALU_DEP_2)
	v_dual_mov_b32 v121, v115 :: v_dual_mov_b32 v115, v116
	v_pk_fma_f32 v[118:119], v[116:117], v[80:81], v[118:119] op_sel_hi:[1,1,0] neg_lo:[0,0,1] neg_hi:[0,0,1]
	v_mul_f32_e32 v116, v117, v104
	s_delay_alu instid0(VALU_DEP_3) | instskip(NEXT) | instid1(VALU_DEP_2)
	v_pk_add_f32 v[38:39], v[38:39], v[120:121] neg_lo:[0,1] neg_hi:[0,1]
	v_pk_fma_f32 v[114:115], v[114:115], v[80:81], v[116:117] op_sel_hi:[1,1,0]
	s_delay_alu instid0(VALU_DEP_1) | instskip(SKIP_4) | instid1(VALU_DEP_1)
	v_mov_b32_e32 v119, v115
	ds_load_2addr_b64 v[114:117], v108 offset0:33 offset1:34
	v_pk_add_f32 v[36:37], v[36:37], v[118:119] neg_lo:[0,1] neg_hi:[0,1]
	s_wait_dscnt 0x0
	v_pk_mul_f32 v[118:119], v[114:115], v[106:107] op_sel:[0,1]
	v_pk_fma_f32 v[120:121], v[114:115], v[104:105], v[118:119] op_sel:[0,0,1] op_sel_hi:[1,1,0] neg_lo:[0,0,1] neg_hi:[0,0,1]
	v_pk_fma_f32 v[114:115], v[114:115], v[104:105], v[118:119] op_sel:[0,0,1] op_sel_hi:[1,0,0]
	s_delay_alu instid0(VALU_DEP_1) | instskip(SKIP_1) | instid1(VALU_DEP_1)
	v_mov_b32_e32 v121, v115
	v_pk_mul_f32 v[114:115], v[116:117], v[106:107] op_sel:[0,1]
	v_pk_fma_f32 v[118:119], v[116:117], v[104:105], v[114:115] op_sel:[0,0,1] op_sel_hi:[1,1,0] neg_lo:[0,0,1] neg_hi:[0,0,1]
	v_pk_fma_f32 v[114:115], v[116:117], v[104:105], v[114:115] op_sel:[0,0,1] op_sel_hi:[1,0,0]
	s_delay_alu instid0(VALU_DEP_1)
	v_mov_b32_e32 v119, v115
	ds_load_2addr_b64 v[114:117], v108 offset0:35 offset1:36
	v_pk_add_f32 v[32:33], v[32:33], v[120:121] neg_lo:[0,1] neg_hi:[0,1]
	v_pk_add_f32 v[34:35], v[34:35], v[118:119] neg_lo:[0,1] neg_hi:[0,1]
	s_wait_dscnt 0x0
	v_pk_mul_f32 v[118:119], v[114:115], v[106:107] op_sel:[0,1]
	s_delay_alu instid0(VALU_DEP_1) | instskip(SKIP_1) | instid1(VALU_DEP_1)
	v_pk_fma_f32 v[120:121], v[114:115], v[104:105], v[118:119] op_sel:[0,0,1] op_sel_hi:[1,1,0] neg_lo:[0,0,1] neg_hi:[0,0,1]
	v_pk_fma_f32 v[114:115], v[114:115], v[104:105], v[118:119] op_sel:[0,0,1] op_sel_hi:[1,0,0]
	v_mov_b32_e32 v121, v115
	v_pk_mul_f32 v[114:115], v[116:117], v[106:107] op_sel:[0,1]
	s_delay_alu instid0(VALU_DEP_1) | instskip(SKIP_1) | instid1(VALU_DEP_1)
	v_pk_fma_f32 v[118:119], v[116:117], v[104:105], v[114:115] op_sel:[0,0,1] op_sel_hi:[1,1,0] neg_lo:[0,0,1] neg_hi:[0,0,1]
	v_pk_fma_f32 v[114:115], v[116:117], v[104:105], v[114:115] op_sel:[0,0,1] op_sel_hi:[1,0,0]
	v_mov_b32_e32 v119, v115
	ds_load_2addr_b64 v[114:117], v108 offset0:37 offset1:38
	v_pk_add_f32 v[30:31], v[30:31], v[120:121] neg_lo:[0,1] neg_hi:[0,1]
	v_pk_add_f32 v[26:27], v[26:27], v[118:119] neg_lo:[0,1] neg_hi:[0,1]
	s_wait_dscnt 0x0
	v_dual_mul_f32 v118, v115, v107 :: v_dual_mul_f32 v120, v115, v104
	s_delay_alu instid0(VALU_DEP_1) | instskip(NEXT) | instid1(VALU_DEP_2)
	v_pk_fma_f32 v[118:119], v[114:115], v[80:81], v[118:119] op_sel_hi:[1,1,0] neg_lo:[0,0,1] neg_hi:[0,0,1]
	v_pk_fma_f32 v[114:115], v[114:115], v[80:81], v[120:121] op_sel:[1,0,0] op_sel_hi:[0,1,0]
	s_delay_alu instid0(VALU_DEP_1) | instskip(SKIP_1) | instid1(VALU_DEP_2)
	v_mov_b32_e32 v119, v115
	v_pk_mul_f32 v[114:115], v[116:117], v[106:107] op_sel:[0,1]
	v_pk_add_f32 v[22:23], v[22:23], v[118:119] neg_lo:[0,1] neg_hi:[0,1]
	s_delay_alu instid0(VALU_DEP_2) | instskip(SKIP_1) | instid1(VALU_DEP_1)
	v_pk_fma_f32 v[118:119], v[116:117], v[104:105], v[114:115] op_sel:[0,0,1] op_sel_hi:[1,1,0] neg_lo:[0,0,1] neg_hi:[0,0,1]
	v_pk_fma_f32 v[114:115], v[116:117], v[104:105], v[114:115] op_sel:[0,0,1] op_sel_hi:[1,0,0]
	v_mov_b32_e32 v119, v115
	ds_load_2addr_b64 v[114:117], v108 offset0:39 offset1:40
	v_pk_add_f32 v[24:25], v[24:25], v[118:119] neg_lo:[0,1] neg_hi:[0,1]
	s_wait_dscnt 0x0
	v_pk_mul_f32 v[118:119], v[114:115], v[106:107] op_sel:[0,1]
	s_delay_alu instid0(VALU_DEP_1) | instskip(SKIP_1) | instid1(VALU_DEP_1)
	v_pk_fma_f32 v[120:121], v[114:115], v[104:105], v[118:119] op_sel:[0,0,1] op_sel_hi:[1,1,0] neg_lo:[0,0,1] neg_hi:[0,0,1]
	v_pk_fma_f32 v[114:115], v[114:115], v[104:105], v[118:119] op_sel:[0,0,1] op_sel_hi:[1,0,0]
	v_mov_b32_e32 v121, v115
	v_pk_mul_f32 v[114:115], v[116:117], v[106:107] op_sel:[0,1]
	s_delay_alu instid0(VALU_DEP_2) | instskip(NEXT) | instid1(VALU_DEP_2)
	v_pk_add_f32 v[20:21], v[20:21], v[120:121] neg_lo:[0,1] neg_hi:[0,1]
	v_pk_fma_f32 v[118:119], v[116:117], v[104:105], v[114:115] op_sel:[0,0,1] op_sel_hi:[1,1,0] neg_lo:[0,0,1] neg_hi:[0,0,1]
	v_pk_fma_f32 v[114:115], v[116:117], v[104:105], v[114:115] op_sel:[0,0,1] op_sel_hi:[1,0,0]
	s_delay_alu instid0(VALU_DEP_1) | instskip(SKIP_4) | instid1(VALU_DEP_1)
	v_mov_b32_e32 v119, v115
	ds_load_2addr_b64 v[114:117], v108 offset0:41 offset1:42
	v_pk_add_f32 v[14:15], v[14:15], v[118:119] neg_lo:[0,1] neg_hi:[0,1]
	s_wait_dscnt 0x0
	v_pk_mul_f32 v[118:119], v[114:115], v[106:107] op_sel:[0,1]
	v_pk_fma_f32 v[120:121], v[114:115], v[104:105], v[118:119] op_sel:[0,0,1] op_sel_hi:[1,1,0] neg_lo:[0,0,1] neg_hi:[0,0,1]
	v_pk_fma_f32 v[114:115], v[114:115], v[104:105], v[118:119] op_sel:[0,0,1] op_sel_hi:[1,0,0]
	v_dual_mul_f32 v118, v117, v107 :: v_dual_mov_b32 v114, v117
	s_delay_alu instid0(VALU_DEP_2) | instskip(NEXT) | instid1(VALU_DEP_2)
	v_dual_mov_b32 v121, v115 :: v_dual_mov_b32 v115, v116
	v_pk_fma_f32 v[118:119], v[116:117], v[80:81], v[118:119] op_sel_hi:[1,1,0] neg_lo:[0,0,1] neg_hi:[0,0,1]
	v_mul_f32_e32 v116, v117, v104
	s_delay_alu instid0(VALU_DEP_3) | instskip(NEXT) | instid1(VALU_DEP_2)
	v_pk_add_f32 v[10:11], v[10:11], v[120:121] neg_lo:[0,1] neg_hi:[0,1]
	v_pk_fma_f32 v[114:115], v[114:115], v[80:81], v[116:117] op_sel_hi:[1,1,0]
	s_delay_alu instid0(VALU_DEP_1) | instskip(SKIP_4) | instid1(VALU_DEP_1)
	v_mov_b32_e32 v119, v115
	ds_load_2addr_b64 v[114:117], v108 offset0:43 offset1:44
	v_pk_add_f32 v[12:13], v[12:13], v[118:119] neg_lo:[0,1] neg_hi:[0,1]
	s_wait_dscnt 0x0
	v_pk_mul_f32 v[118:119], v[114:115], v[106:107] op_sel:[0,1]
	v_pk_fma_f32 v[120:121], v[114:115], v[104:105], v[118:119] op_sel:[0,0,1] op_sel_hi:[1,1,0] neg_lo:[0,0,1] neg_hi:[0,0,1]
	v_pk_fma_f32 v[114:115], v[114:115], v[104:105], v[118:119] op_sel:[0,0,1] op_sel_hi:[1,0,0]
	s_delay_alu instid0(VALU_DEP_1) | instskip(SKIP_1) | instid1(VALU_DEP_1)
	v_mov_b32_e32 v121, v115
	v_pk_mul_f32 v[114:115], v[116:117], v[106:107] op_sel:[0,1]
	v_pk_fma_f32 v[118:119], v[116:117], v[104:105], v[114:115] op_sel:[0,0,1] op_sel_hi:[1,1,0] neg_lo:[0,0,1] neg_hi:[0,0,1]
	v_pk_fma_f32 v[114:115], v[116:117], v[104:105], v[114:115] op_sel:[0,0,1] op_sel_hi:[1,0,0]
	s_delay_alu instid0(VALU_DEP_1)
	v_mov_b32_e32 v119, v115
	ds_load_2addr_b64 v[114:117], v108 offset0:45 offset1:46
	v_pk_add_f32 v[8:9], v[8:9], v[120:121] neg_lo:[0,1] neg_hi:[0,1]
	v_pk_add_f32 v[6:7], v[6:7], v[118:119] neg_lo:[0,1] neg_hi:[0,1]
	s_wait_dscnt 0x0
	v_pk_mul_f32 v[118:119], v[114:115], v[106:107] op_sel:[0,1]
	s_delay_alu instid0(VALU_DEP_1) | instskip(SKIP_1) | instid1(VALU_DEP_1)
	v_pk_fma_f32 v[120:121], v[114:115], v[104:105], v[118:119] op_sel:[0,0,1] op_sel_hi:[1,1,0] neg_lo:[0,0,1] neg_hi:[0,0,1]
	v_pk_fma_f32 v[114:115], v[114:115], v[104:105], v[118:119] op_sel:[0,0,1] op_sel_hi:[1,0,0]
	v_mov_b32_e32 v121, v115
	v_pk_mul_f32 v[114:115], v[116:117], v[106:107] op_sel:[0,1]
	s_delay_alu instid0(VALU_DEP_1) | instskip(SKIP_1) | instid1(VALU_DEP_1)
	v_pk_fma_f32 v[118:119], v[116:117], v[104:105], v[114:115] op_sel:[0,0,1] op_sel_hi:[1,1,0] neg_lo:[0,0,1] neg_hi:[0,0,1]
	v_pk_fma_f32 v[114:115], v[116:117], v[104:105], v[114:115] op_sel:[0,0,1] op_sel_hi:[1,0,0]
	v_mov_b32_e32 v119, v115
	ds_load_2addr_b64 v[114:117], v108 offset0:47 offset1:48
	v_pk_add_f32 v[28:29], v[28:29], v[120:121] neg_lo:[0,1] neg_hi:[0,1]
	v_pk_add_f32 v[18:19], v[18:19], v[118:119] neg_lo:[0,1] neg_hi:[0,1]
	s_wait_dscnt 0x0
	v_mul_f32_e32 v106, v115, v107
	s_delay_alu instid0(VALU_DEP_1) | instskip(SKIP_1) | instid1(VALU_DEP_1)
	v_pk_fma_f32 v[118:119], v[114:115], v[80:81], v[106:107] op_sel_hi:[1,1,0] neg_lo:[0,0,1] neg_hi:[0,0,1]
	v_dual_mul_f32 v106, v115, v104 :: v_dual_mul_f32 v104, v117, v104
	v_pk_fma_f32 v[114:115], v[114:115], v[80:81], v[106:107] op_sel:[1,0,0] op_sel_hi:[0,1,0]
	v_dual_mov_b32 v114, v117 :: v_dual_mul_f32 v106, v117, v107
	s_delay_alu instid0(VALU_DEP_2) | instskip(NEXT) | instid1(VALU_DEP_2)
	v_dual_mov_b32 v119, v115 :: v_dual_mov_b32 v115, v116
	v_pk_fma_f32 v[106:107], v[116:117], v[80:81], v[106:107] op_sel_hi:[1,1,0] neg_lo:[0,0,1] neg_hi:[0,0,1]
	s_delay_alu instid0(VALU_DEP_2) | instskip(NEXT) | instid1(VALU_DEP_3)
	v_pk_add_f32 v[16:17], v[16:17], v[118:119] neg_lo:[0,1] neg_hi:[0,1]
	v_pk_fma_f32 v[104:105], v[114:115], v[80:81], v[104:105] op_sel_hi:[1,1,0]
	s_delay_alu instid0(VALU_DEP_1) | instskip(NEXT) | instid1(VALU_DEP_1)
	v_mov_b32_e32 v107, v105
	v_pk_add_f32 v[102:103], v[102:103], v[106:107] neg_lo:[0,1] neg_hi:[0,1]
.LBB96_398:
	s_or_b32 exec_lo, exec_lo, s0
	v_lshl_add_u32 v104, v112, 3, v108
	s_barrier_signal -1
	s_barrier_wait -1
	ds_store_b64 v104, v[76:77]
	s_wait_dscnt 0x0
	s_barrier_signal -1
	s_barrier_wait -1
	ds_load_b64 v[106:107], v108 offset:152
	v_mov_b32_e32 v104, 19
	s_cmp_lt_i32 s18, 21
	s_cbranch_scc1 .LBB96_401
; %bb.399:
	v_add3_u32 v105, v109, 0, 0xa0
	v_mov_b32_e32 v104, 19
	s_mov_b32 s0, 20
.LBB96_400:                             ; =>This Inner Loop Header: Depth=1
	ds_load_b64 v[114:115], v105
	s_wait_dscnt 0x1
	v_cmp_gt_f32_e32 vcc_lo, 0, v106
	v_cndmask_b32_e64 v116, v106, -v106, vcc_lo
	v_cmp_gt_f32_e32 vcc_lo, 0, v107
	v_cndmask_b32_e64 v118, v107, -v107, vcc_lo
	s_wait_dscnt 0x0
	v_cmp_gt_f32_e32 vcc_lo, 0, v114
	v_cndmask_b32_e64 v117, v114, -v114, vcc_lo
	v_cmp_gt_f32_e32 vcc_lo, 0, v115
	v_cndmask_b32_e64 v119, v115, -v115, vcc_lo
	s_delay_alu instid0(VALU_DEP_1) | instskip(NEXT) | instid1(VALU_DEP_1)
	v_pk_add_f32 v[116:117], v[116:117], v[118:119]
	v_cmp_lt_f32_e32 vcc_lo, v116, v117
	v_dual_add_nc_u32 v105, 8, v105 :: v_dual_cndmask_b32 v107, v107, v115, vcc_lo
	v_cndmask_b32_e32 v106, v106, v114, vcc_lo
	v_cndmask_b32_e64 v104, v104, s0, vcc_lo
	s_add_co_i32 s0, s0, 1
	s_delay_alu instid0(SALU_CYCLE_1)
	s_cmp_lg_u32 s18, s0
	s_cbranch_scc1 .LBB96_400
.LBB96_401:
	s_wait_dscnt 0x0
	v_cmp_eq_f32_e32 vcc_lo, 0, v106
	v_cmp_eq_f32_e64 s0, 0, v107
	s_and_b32 s0, vcc_lo, s0
	s_delay_alu instid0(SALU_CYCLE_1) | instskip(NEXT) | instid1(SALU_CYCLE_1)
	s_and_saveexec_b32 s1, s0
	s_xor_b32 s0, exec_lo, s1
; %bb.402:
	v_cmp_ne_u32_e32 vcc_lo, 0, v110
	v_cndmask_b32_e32 v110, 20, v110, vcc_lo
; %bb.403:
	s_and_not1_saveexec_b32 s0, s0
	s_cbranch_execz .LBB96_409
; %bb.404:
	v_cmp_ngt_f32_e64 s1, |v106|, |v107|
	s_and_saveexec_b32 s12, s1
	s_delay_alu instid0(SALU_CYCLE_1)
	s_xor_b32 s1, exec_lo, s12
	s_cbranch_execz .LBB96_406
; %bb.405:
	v_div_scale_f32 v105, null, v107, v107, v106
	v_div_scale_f32 v115, vcc_lo, v106, v107, v106
	s_delay_alu instid0(VALU_DEP_2) | instskip(SKIP_1) | instid1(TRANS32_DEP_1)
	v_rcp_f32_e32 v113, v105
	v_nop
	v_fma_f32 v114, -v105, v113, 1.0
	s_delay_alu instid0(VALU_DEP_1) | instskip(NEXT) | instid1(VALU_DEP_1)
	v_fmac_f32_e32 v113, v114, v113
	v_mul_f32_e32 v114, v115, v113
	s_delay_alu instid0(VALU_DEP_1) | instskip(NEXT) | instid1(VALU_DEP_1)
	v_fma_f32 v116, -v105, v114, v115
	v_fmac_f32_e32 v114, v116, v113
	s_delay_alu instid0(VALU_DEP_1) | instskip(NEXT) | instid1(VALU_DEP_1)
	v_fma_f32 v105, -v105, v114, v115
	v_div_fmas_f32 v105, v105, v113, v114
	s_delay_alu instid0(VALU_DEP_1) | instskip(NEXT) | instid1(VALU_DEP_1)
	v_div_fixup_f32 v105, v105, v107, v106
	v_fmac_f32_e32 v107, v106, v105
	s_delay_alu instid0(VALU_DEP_1) | instskip(SKIP_1) | instid1(VALU_DEP_2)
	v_div_scale_f32 v106, null, v107, v107, 1.0
	v_div_scale_f32 v115, vcc_lo, 1.0, v107, 1.0
	v_rcp_f32_e32 v113, v106
	v_nop
	s_delay_alu instid0(TRANS32_DEP_1) | instskip(NEXT) | instid1(VALU_DEP_1)
	v_fma_f32 v114, -v106, v113, 1.0
	v_fmac_f32_e32 v113, v114, v113
	s_delay_alu instid0(VALU_DEP_1) | instskip(NEXT) | instid1(VALU_DEP_1)
	v_mul_f32_e32 v114, v115, v113
	v_fma_f32 v116, -v106, v114, v115
	s_delay_alu instid0(VALU_DEP_1) | instskip(NEXT) | instid1(VALU_DEP_1)
	v_fmac_f32_e32 v114, v116, v113
	v_fma_f32 v106, -v106, v114, v115
	s_delay_alu instid0(VALU_DEP_1) | instskip(NEXT) | instid1(VALU_DEP_1)
	v_div_fmas_f32 v106, v106, v113, v114
	v_div_fixup_f32 v107, v106, v107, 1.0
	s_delay_alu instid0(VALU_DEP_1)
	v_mul_f32_e32 v106, v105, v107
	v_xor_b32_e32 v107, 0x80000000, v107
.LBB96_406:
	s_and_not1_saveexec_b32 s1, s1
	s_cbranch_execz .LBB96_408
; %bb.407:
	s_delay_alu instid0(VALU_DEP_1) | instskip(SKIP_1) | instid1(VALU_DEP_2)
	v_div_scale_f32 v105, null, v106, v106, v107
	v_div_scale_f32 v115, vcc_lo, v107, v106, v107
	v_rcp_f32_e32 v113, v105
	v_nop
	s_delay_alu instid0(TRANS32_DEP_1) | instskip(NEXT) | instid1(VALU_DEP_1)
	v_fma_f32 v114, -v105, v113, 1.0
	v_fmac_f32_e32 v113, v114, v113
	s_delay_alu instid0(VALU_DEP_1) | instskip(NEXT) | instid1(VALU_DEP_1)
	v_mul_f32_e32 v114, v115, v113
	v_fma_f32 v116, -v105, v114, v115
	s_delay_alu instid0(VALU_DEP_1) | instskip(NEXT) | instid1(VALU_DEP_1)
	v_fmac_f32_e32 v114, v116, v113
	v_fma_f32 v105, -v105, v114, v115
	s_delay_alu instid0(VALU_DEP_1) | instskip(NEXT) | instid1(VALU_DEP_1)
	v_div_fmas_f32 v105, v105, v113, v114
	v_div_fixup_f32 v105, v105, v106, v107
	s_delay_alu instid0(VALU_DEP_1) | instskip(NEXT) | instid1(VALU_DEP_1)
	v_fmac_f32_e32 v106, v107, v105
	v_div_scale_f32 v107, null, v106, v106, 1.0
	s_delay_alu instid0(VALU_DEP_1) | instskip(SKIP_1) | instid1(TRANS32_DEP_1)
	v_rcp_f32_e32 v113, v107
	v_nop
	v_fma_f32 v114, -v107, v113, 1.0
	s_delay_alu instid0(VALU_DEP_1) | instskip(SKIP_1) | instid1(VALU_DEP_1)
	v_fmac_f32_e32 v113, v114, v113
	v_div_scale_f32 v114, vcc_lo, 1.0, v106, 1.0
	v_mul_f32_e32 v115, v114, v113
	s_delay_alu instid0(VALU_DEP_1) | instskip(NEXT) | instid1(VALU_DEP_1)
	v_fma_f32 v116, -v107, v115, v114
	v_fmac_f32_e32 v115, v116, v113
	s_delay_alu instid0(VALU_DEP_1) | instskip(NEXT) | instid1(VALU_DEP_1)
	v_fma_f32 v107, -v107, v115, v114
	v_div_fmas_f32 v107, v107, v113, v115
	s_delay_alu instid0(VALU_DEP_1) | instskip(NEXT) | instid1(VALU_DEP_1)
	v_div_fixup_f32 v106, v107, v106, 1.0
	v_mul_f32_e64 v107, v105, -v106
.LBB96_408:
	s_or_b32 exec_lo, exec_lo, s1
.LBB96_409:
	s_delay_alu instid0(SALU_CYCLE_1) | instskip(NEXT) | instid1(SALU_CYCLE_1)
	s_or_b32 exec_lo, exec_lo, s0
	s_mov_b32 s0, exec_lo
	v_cmpx_ne_u32_e64 v112, v104
	s_xor_b32 s0, exec_lo, s0
	s_cbranch_execz .LBB96_415
; %bb.410:
	s_mov_b32 s1, exec_lo
	v_cmpx_eq_u32_e32 19, v112
	s_cbranch_execz .LBB96_414
; %bb.411:
	v_cmp_ne_u32_e32 vcc_lo, 19, v104
	s_xor_b32 s12, s16, -1
	s_delay_alu instid0(SALU_CYCLE_1) | instskip(NEXT) | instid1(SALU_CYCLE_1)
	s_and_b32 s13, s12, vcc_lo
	s_and_saveexec_b32 s12, s13
	s_cbranch_execz .LBB96_413
; %bb.412:
	v_ashrrev_i32_e32 v105, 31, v104
	s_delay_alu instid0(VALU_DEP_1)
	v_lshl_add_u64 v[112:113], v[104:105], 2, v[4:5]
	s_clause 0x1
	global_load_b32 v105, v[112:113], off
	global_load_b32 v111, v[4:5], off offset:76
	s_wait_loadcnt 0x1
	global_store_b32 v[4:5], v105, off offset:76
	s_wait_loadcnt 0x0
	global_store_b32 v[112:113], v111, off
.LBB96_413:
	s_wait_xcnt 0x0
	s_or_b32 exec_lo, exec_lo, s12
	v_dual_mov_b32 v112, v104 :: v_dual_mov_b32 v111, v104
.LBB96_414:
	s_or_b32 exec_lo, exec_lo, s1
.LBB96_415:
	s_and_not1_saveexec_b32 s0, s0
	s_cbranch_execz .LBB96_417
; %bb.416:
	v_dual_mov_b32 v104, v74 :: v_dual_mov_b32 v105, v75
	v_dual_mov_b32 v112, v70 :: v_dual_mov_b32 v113, v71
	ds_store_2addr_b64 v108, v[104:105], v[112:113] offset0:20 offset1:21
	v_dual_mov_b32 v104, v72 :: v_dual_mov_b32 v105, v73
	v_dual_mov_b32 v112, v68 :: v_dual_mov_b32 v113, v69
	ds_store_2addr_b64 v108, v[104:105], v[112:113] offset0:22 offset1:23
	;; [unrolled: 3-line block ×14, first 2 shown]
	ds_store_b64 v108, v[102:103] offset:384
	v_mov_b32_e32 v112, 19
.LBB96_417:
	s_or_b32 exec_lo, exec_lo, s0
	s_delay_alu instid0(SALU_CYCLE_1)
	s_mov_b32 s0, exec_lo
	s_wait_storecnt_dscnt 0x0
	s_barrier_signal -1
	s_barrier_wait -1
	v_cmpx_lt_i32_e32 19, v112
	s_cbranch_execz .LBB96_419
; %bb.418:
	v_pk_mul_f32 v[114:115], v[106:107], v[76:77] op_sel:[1,1] op_sel_hi:[0,1]
	s_delay_alu instid0(VALU_DEP_1)
	v_pk_fma_f32 v[104:105], v[106:107], v[76:77], v[114:115] op_sel_hi:[1,0,1] neg_lo:[0,0,1] neg_hi:[0,0,1]
	v_pk_fma_f32 v[106:107], v[106:107], v[76:77], v[114:115] op_sel_hi:[1,0,1]
	ds_load_2addr_b64 v[114:117], v108 offset0:20 offset1:21
	v_dual_mov_b32 v76, v104 :: v_dual_mov_b32 v77, v107
	s_wait_dscnt 0x0
	v_pk_mul_f32 v[118:119], v[114:115], v[106:107] op_sel:[0,1]
	s_delay_alu instid0(VALU_DEP_1) | instskip(SKIP_1) | instid1(VALU_DEP_1)
	v_pk_fma_f32 v[120:121], v[114:115], v[104:105], v[118:119] op_sel:[0,0,1] op_sel_hi:[1,1,0] neg_lo:[0,0,1] neg_hi:[0,0,1]
	v_pk_fma_f32 v[114:115], v[114:115], v[104:105], v[118:119] op_sel:[0,0,1] op_sel_hi:[1,0,0]
	v_mov_b32_e32 v121, v115
	v_pk_mul_f32 v[114:115], v[116:117], v[106:107] op_sel:[0,1]
	s_delay_alu instid0(VALU_DEP_1) | instskip(SKIP_1) | instid1(VALU_DEP_1)
	v_pk_fma_f32 v[118:119], v[116:117], v[104:105], v[114:115] op_sel:[0,0,1] op_sel_hi:[1,1,0] neg_lo:[0,0,1] neg_hi:[0,0,1]
	v_pk_fma_f32 v[114:115], v[116:117], v[104:105], v[114:115] op_sel:[0,0,1] op_sel_hi:[1,0,0]
	v_mov_b32_e32 v119, v115
	ds_load_2addr_b64 v[114:117], v108 offset0:22 offset1:23
	v_pk_add_f32 v[74:75], v[74:75], v[120:121] neg_lo:[0,1] neg_hi:[0,1]
	v_pk_add_f32 v[70:71], v[70:71], v[118:119] neg_lo:[0,1] neg_hi:[0,1]
	s_wait_dscnt 0x0
	v_pk_mul_f32 v[118:119], v[114:115], v[106:107] op_sel:[0,1]
	s_delay_alu instid0(VALU_DEP_1) | instskip(SKIP_2) | instid1(VALU_DEP_2)
	v_pk_fma_f32 v[120:121], v[114:115], v[104:105], v[118:119] op_sel:[0,0,1] op_sel_hi:[1,1,0] neg_lo:[0,0,1] neg_hi:[0,0,1]
	v_pk_fma_f32 v[114:115], v[114:115], v[104:105], v[118:119] op_sel:[0,0,1] op_sel_hi:[1,0,0]
	v_dual_mul_f32 v118, v117, v107 :: v_dual_mov_b32 v114, v117
	v_dual_mov_b32 v121, v115 :: v_dual_mov_b32 v115, v116
	s_delay_alu instid0(VALU_DEP_2) | instskip(SKIP_1) | instid1(VALU_DEP_3)
	v_pk_fma_f32 v[118:119], v[116:117], v[76:77], v[118:119] op_sel_hi:[1,1,0] neg_lo:[0,0,1] neg_hi:[0,0,1]
	v_mul_f32_e32 v116, v117, v104
	v_pk_add_f32 v[72:73], v[72:73], v[120:121] neg_lo:[0,1] neg_hi:[0,1]
	s_delay_alu instid0(VALU_DEP_2) | instskip(NEXT) | instid1(VALU_DEP_1)
	v_pk_fma_f32 v[114:115], v[114:115], v[76:77], v[116:117] op_sel_hi:[1,1,0]
	v_mov_b32_e32 v119, v115
	ds_load_2addr_b64 v[114:117], v108 offset0:24 offset1:25
	v_pk_add_f32 v[68:69], v[68:69], v[118:119] neg_lo:[0,1] neg_hi:[0,1]
	s_wait_dscnt 0x0
	v_pk_mul_f32 v[118:119], v[114:115], v[106:107] op_sel:[0,1]
	s_delay_alu instid0(VALU_DEP_1) | instskip(SKIP_1) | instid1(VALU_DEP_1)
	v_pk_fma_f32 v[120:121], v[114:115], v[104:105], v[118:119] op_sel:[0,0,1] op_sel_hi:[1,1,0] neg_lo:[0,0,1] neg_hi:[0,0,1]
	v_pk_fma_f32 v[114:115], v[114:115], v[104:105], v[118:119] op_sel:[0,0,1] op_sel_hi:[1,0,0]
	v_mov_b32_e32 v121, v115
	v_pk_mul_f32 v[114:115], v[116:117], v[106:107] op_sel:[0,1]
	s_delay_alu instid0(VALU_DEP_1) | instskip(SKIP_1) | instid1(VALU_DEP_1)
	v_pk_fma_f32 v[118:119], v[116:117], v[104:105], v[114:115] op_sel:[0,0,1] op_sel_hi:[1,1,0] neg_lo:[0,0,1] neg_hi:[0,0,1]
	v_pk_fma_f32 v[114:115], v[116:117], v[104:105], v[114:115] op_sel:[0,0,1] op_sel_hi:[1,0,0]
	v_mov_b32_e32 v119, v115
	ds_load_2addr_b64 v[114:117], v108 offset0:26 offset1:27
	v_pk_add_f32 v[56:57], v[56:57], v[120:121] neg_lo:[0,1] neg_hi:[0,1]
	v_pk_add_f32 v[48:49], v[48:49], v[118:119] neg_lo:[0,1] neg_hi:[0,1]
	s_wait_dscnt 0x0
	v_pk_mul_f32 v[118:119], v[114:115], v[106:107] op_sel:[0,1]
	s_delay_alu instid0(VALU_DEP_1) | instskip(SKIP_1) | instid1(VALU_DEP_1)
	v_pk_fma_f32 v[120:121], v[114:115], v[104:105], v[118:119] op_sel:[0,0,1] op_sel_hi:[1,1,0] neg_lo:[0,0,1] neg_hi:[0,0,1]
	v_pk_fma_f32 v[114:115], v[114:115], v[104:105], v[118:119] op_sel:[0,0,1] op_sel_hi:[1,0,0]
	v_mov_b32_e32 v121, v115
	v_pk_mul_f32 v[114:115], v[116:117], v[106:107] op_sel:[0,1]
	s_delay_alu instid0(VALU_DEP_1) | instskip(SKIP_1) | instid1(VALU_DEP_1)
	v_pk_fma_f32 v[118:119], v[116:117], v[104:105], v[114:115] op_sel:[0,0,1] op_sel_hi:[1,1,0] neg_lo:[0,0,1] neg_hi:[0,0,1]
	v_pk_fma_f32 v[114:115], v[116:117], v[104:105], v[114:115] op_sel:[0,0,1] op_sel_hi:[1,0,0]
	v_mov_b32_e32 v119, v115
	ds_load_2addr_b64 v[114:117], v108 offset0:28 offset1:29
	v_pk_add_f32 v[54:55], v[54:55], v[120:121] neg_lo:[0,1] neg_hi:[0,1]
	v_pk_add_f32 v[46:47], v[46:47], v[118:119] neg_lo:[0,1] neg_hi:[0,1]
	s_wait_dscnt 0x0
	v_dual_mul_f32 v118, v115, v107 :: v_dual_mul_f32 v120, v115, v104
	s_delay_alu instid0(VALU_DEP_1) | instskip(NEXT) | instid1(VALU_DEP_2)
	v_pk_fma_f32 v[118:119], v[114:115], v[76:77], v[118:119] op_sel_hi:[1,1,0] neg_lo:[0,0,1] neg_hi:[0,0,1]
	v_pk_fma_f32 v[114:115], v[114:115], v[76:77], v[120:121] op_sel:[1,0,0] op_sel_hi:[0,1,0]
	s_delay_alu instid0(VALU_DEP_1) | instskip(SKIP_1) | instid1(VALU_DEP_2)
	v_mov_b32_e32 v119, v115
	v_pk_mul_f32 v[114:115], v[116:117], v[106:107] op_sel:[0,1]
	v_pk_add_f32 v[44:45], v[44:45], v[118:119] neg_lo:[0,1] neg_hi:[0,1]
	s_delay_alu instid0(VALU_DEP_2) | instskip(SKIP_1) | instid1(VALU_DEP_1)
	v_pk_fma_f32 v[118:119], v[116:117], v[104:105], v[114:115] op_sel:[0,0,1] op_sel_hi:[1,1,0] neg_lo:[0,0,1] neg_hi:[0,0,1]
	v_pk_fma_f32 v[114:115], v[116:117], v[104:105], v[114:115] op_sel:[0,0,1] op_sel_hi:[1,0,0]
	v_mov_b32_e32 v119, v115
	ds_load_2addr_b64 v[114:117], v108 offset0:30 offset1:31
	v_pk_add_f32 v[40:41], v[40:41], v[118:119] neg_lo:[0,1] neg_hi:[0,1]
	s_wait_dscnt 0x0
	v_pk_mul_f32 v[118:119], v[114:115], v[106:107] op_sel:[0,1]
	s_delay_alu instid0(VALU_DEP_1) | instskip(SKIP_1) | instid1(VALU_DEP_1)
	v_pk_fma_f32 v[120:121], v[114:115], v[104:105], v[118:119] op_sel:[0,0,1] op_sel_hi:[1,1,0] neg_lo:[0,0,1] neg_hi:[0,0,1]
	v_pk_fma_f32 v[114:115], v[114:115], v[104:105], v[118:119] op_sel:[0,0,1] op_sel_hi:[1,0,0]
	v_mov_b32_e32 v121, v115
	v_pk_mul_f32 v[114:115], v[116:117], v[106:107] op_sel:[0,1]
	s_delay_alu instid0(VALU_DEP_2) | instskip(NEXT) | instid1(VALU_DEP_2)
	v_pk_add_f32 v[42:43], v[42:43], v[120:121] neg_lo:[0,1] neg_hi:[0,1]
	v_pk_fma_f32 v[118:119], v[116:117], v[104:105], v[114:115] op_sel:[0,0,1] op_sel_hi:[1,1,0] neg_lo:[0,0,1] neg_hi:[0,0,1]
	v_pk_fma_f32 v[114:115], v[116:117], v[104:105], v[114:115] op_sel:[0,0,1] op_sel_hi:[1,0,0]
	s_delay_alu instid0(VALU_DEP_1) | instskip(SKIP_4) | instid1(VALU_DEP_1)
	v_mov_b32_e32 v119, v115
	ds_load_2addr_b64 v[114:117], v108 offset0:32 offset1:33
	v_pk_add_f32 v[38:39], v[38:39], v[118:119] neg_lo:[0,1] neg_hi:[0,1]
	s_wait_dscnt 0x0
	v_pk_mul_f32 v[118:119], v[114:115], v[106:107] op_sel:[0,1]
	v_pk_fma_f32 v[120:121], v[114:115], v[104:105], v[118:119] op_sel:[0,0,1] op_sel_hi:[1,1,0] neg_lo:[0,0,1] neg_hi:[0,0,1]
	v_pk_fma_f32 v[114:115], v[114:115], v[104:105], v[118:119] op_sel:[0,0,1] op_sel_hi:[1,0,0]
	v_dual_mul_f32 v118, v117, v107 :: v_dual_mov_b32 v114, v117
	s_delay_alu instid0(VALU_DEP_2) | instskip(NEXT) | instid1(VALU_DEP_2)
	v_dual_mov_b32 v121, v115 :: v_dual_mov_b32 v115, v116
	v_pk_fma_f32 v[118:119], v[116:117], v[76:77], v[118:119] op_sel_hi:[1,1,0] neg_lo:[0,0,1] neg_hi:[0,0,1]
	v_mul_f32_e32 v116, v117, v104
	s_delay_alu instid0(VALU_DEP_3) | instskip(NEXT) | instid1(VALU_DEP_2)
	v_pk_add_f32 v[36:37], v[36:37], v[120:121] neg_lo:[0,1] neg_hi:[0,1]
	v_pk_fma_f32 v[114:115], v[114:115], v[76:77], v[116:117] op_sel_hi:[1,1,0]
	s_delay_alu instid0(VALU_DEP_1) | instskip(SKIP_4) | instid1(VALU_DEP_1)
	v_mov_b32_e32 v119, v115
	ds_load_2addr_b64 v[114:117], v108 offset0:34 offset1:35
	v_pk_add_f32 v[32:33], v[32:33], v[118:119] neg_lo:[0,1] neg_hi:[0,1]
	s_wait_dscnt 0x0
	v_pk_mul_f32 v[118:119], v[114:115], v[106:107] op_sel:[0,1]
	v_pk_fma_f32 v[120:121], v[114:115], v[104:105], v[118:119] op_sel:[0,0,1] op_sel_hi:[1,1,0] neg_lo:[0,0,1] neg_hi:[0,0,1]
	v_pk_fma_f32 v[114:115], v[114:115], v[104:105], v[118:119] op_sel:[0,0,1] op_sel_hi:[1,0,0]
	s_delay_alu instid0(VALU_DEP_1) | instskip(SKIP_1) | instid1(VALU_DEP_1)
	v_mov_b32_e32 v121, v115
	v_pk_mul_f32 v[114:115], v[116:117], v[106:107] op_sel:[0,1]
	v_pk_fma_f32 v[118:119], v[116:117], v[104:105], v[114:115] op_sel:[0,0,1] op_sel_hi:[1,1,0] neg_lo:[0,0,1] neg_hi:[0,0,1]
	v_pk_fma_f32 v[114:115], v[116:117], v[104:105], v[114:115] op_sel:[0,0,1] op_sel_hi:[1,0,0]
	s_delay_alu instid0(VALU_DEP_1)
	v_mov_b32_e32 v119, v115
	ds_load_2addr_b64 v[114:117], v108 offset0:36 offset1:37
	v_pk_add_f32 v[34:35], v[34:35], v[120:121] neg_lo:[0,1] neg_hi:[0,1]
	v_pk_add_f32 v[30:31], v[30:31], v[118:119] neg_lo:[0,1] neg_hi:[0,1]
	s_wait_dscnt 0x0
	v_pk_mul_f32 v[118:119], v[114:115], v[106:107] op_sel:[0,1]
	s_delay_alu instid0(VALU_DEP_1) | instskip(SKIP_1) | instid1(VALU_DEP_1)
	v_pk_fma_f32 v[120:121], v[114:115], v[104:105], v[118:119] op_sel:[0,0,1] op_sel_hi:[1,1,0] neg_lo:[0,0,1] neg_hi:[0,0,1]
	v_pk_fma_f32 v[114:115], v[114:115], v[104:105], v[118:119] op_sel:[0,0,1] op_sel_hi:[1,0,0]
	v_mov_b32_e32 v121, v115
	v_pk_mul_f32 v[114:115], v[116:117], v[106:107] op_sel:[0,1]
	s_delay_alu instid0(VALU_DEP_1) | instskip(SKIP_1) | instid1(VALU_DEP_1)
	v_pk_fma_f32 v[118:119], v[116:117], v[104:105], v[114:115] op_sel:[0,0,1] op_sel_hi:[1,1,0] neg_lo:[0,0,1] neg_hi:[0,0,1]
	v_pk_fma_f32 v[114:115], v[116:117], v[104:105], v[114:115] op_sel:[0,0,1] op_sel_hi:[1,0,0]
	v_mov_b32_e32 v119, v115
	ds_load_2addr_b64 v[114:117], v108 offset0:38 offset1:39
	v_pk_add_f32 v[26:27], v[26:27], v[120:121] neg_lo:[0,1] neg_hi:[0,1]
	v_pk_add_f32 v[22:23], v[22:23], v[118:119] neg_lo:[0,1] neg_hi:[0,1]
	s_wait_dscnt 0x0
	v_dual_mul_f32 v118, v115, v107 :: v_dual_mul_f32 v120, v115, v104
	s_delay_alu instid0(VALU_DEP_1) | instskip(NEXT) | instid1(VALU_DEP_2)
	v_pk_fma_f32 v[118:119], v[114:115], v[76:77], v[118:119] op_sel_hi:[1,1,0] neg_lo:[0,0,1] neg_hi:[0,0,1]
	v_pk_fma_f32 v[114:115], v[114:115], v[76:77], v[120:121] op_sel:[1,0,0] op_sel_hi:[0,1,0]
	s_delay_alu instid0(VALU_DEP_1) | instskip(SKIP_1) | instid1(VALU_DEP_2)
	v_mov_b32_e32 v119, v115
	v_pk_mul_f32 v[114:115], v[116:117], v[106:107] op_sel:[0,1]
	v_pk_add_f32 v[24:25], v[24:25], v[118:119] neg_lo:[0,1] neg_hi:[0,1]
	s_delay_alu instid0(VALU_DEP_2) | instskip(SKIP_1) | instid1(VALU_DEP_1)
	v_pk_fma_f32 v[118:119], v[116:117], v[104:105], v[114:115] op_sel:[0,0,1] op_sel_hi:[1,1,0] neg_lo:[0,0,1] neg_hi:[0,0,1]
	v_pk_fma_f32 v[114:115], v[116:117], v[104:105], v[114:115] op_sel:[0,0,1] op_sel_hi:[1,0,0]
	v_mov_b32_e32 v119, v115
	ds_load_2addr_b64 v[114:117], v108 offset0:40 offset1:41
	v_pk_add_f32 v[20:21], v[20:21], v[118:119] neg_lo:[0,1] neg_hi:[0,1]
	s_wait_dscnt 0x0
	v_pk_mul_f32 v[118:119], v[114:115], v[106:107] op_sel:[0,1]
	s_delay_alu instid0(VALU_DEP_1) | instskip(SKIP_1) | instid1(VALU_DEP_1)
	v_pk_fma_f32 v[120:121], v[114:115], v[104:105], v[118:119] op_sel:[0,0,1] op_sel_hi:[1,1,0] neg_lo:[0,0,1] neg_hi:[0,0,1]
	v_pk_fma_f32 v[114:115], v[114:115], v[104:105], v[118:119] op_sel:[0,0,1] op_sel_hi:[1,0,0]
	v_mov_b32_e32 v121, v115
	v_pk_mul_f32 v[114:115], v[116:117], v[106:107] op_sel:[0,1]
	s_delay_alu instid0(VALU_DEP_2) | instskip(NEXT) | instid1(VALU_DEP_2)
	v_pk_add_f32 v[14:15], v[14:15], v[120:121] neg_lo:[0,1] neg_hi:[0,1]
	v_pk_fma_f32 v[118:119], v[116:117], v[104:105], v[114:115] op_sel:[0,0,1] op_sel_hi:[1,1,0] neg_lo:[0,0,1] neg_hi:[0,0,1]
	v_pk_fma_f32 v[114:115], v[116:117], v[104:105], v[114:115] op_sel:[0,0,1] op_sel_hi:[1,0,0]
	s_delay_alu instid0(VALU_DEP_1) | instskip(SKIP_4) | instid1(VALU_DEP_1)
	v_mov_b32_e32 v119, v115
	ds_load_2addr_b64 v[114:117], v108 offset0:42 offset1:43
	v_pk_add_f32 v[10:11], v[10:11], v[118:119] neg_lo:[0,1] neg_hi:[0,1]
	s_wait_dscnt 0x0
	v_pk_mul_f32 v[118:119], v[114:115], v[106:107] op_sel:[0,1]
	v_pk_fma_f32 v[120:121], v[114:115], v[104:105], v[118:119] op_sel:[0,0,1] op_sel_hi:[1,1,0] neg_lo:[0,0,1] neg_hi:[0,0,1]
	v_pk_fma_f32 v[114:115], v[114:115], v[104:105], v[118:119] op_sel:[0,0,1] op_sel_hi:[1,0,0]
	v_dual_mul_f32 v118, v117, v107 :: v_dual_mov_b32 v114, v117
	s_delay_alu instid0(VALU_DEP_2) | instskip(NEXT) | instid1(VALU_DEP_2)
	v_dual_mov_b32 v121, v115 :: v_dual_mov_b32 v115, v116
	v_pk_fma_f32 v[118:119], v[116:117], v[76:77], v[118:119] op_sel_hi:[1,1,0] neg_lo:[0,0,1] neg_hi:[0,0,1]
	v_mul_f32_e32 v116, v117, v104
	s_delay_alu instid0(VALU_DEP_3) | instskip(NEXT) | instid1(VALU_DEP_2)
	v_pk_add_f32 v[12:13], v[12:13], v[120:121] neg_lo:[0,1] neg_hi:[0,1]
	v_pk_fma_f32 v[114:115], v[114:115], v[76:77], v[116:117] op_sel_hi:[1,1,0]
	s_delay_alu instid0(VALU_DEP_1) | instskip(SKIP_4) | instid1(VALU_DEP_1)
	v_mov_b32_e32 v119, v115
	ds_load_2addr_b64 v[114:117], v108 offset0:44 offset1:45
	v_pk_add_f32 v[8:9], v[8:9], v[118:119] neg_lo:[0,1] neg_hi:[0,1]
	s_wait_dscnt 0x0
	v_pk_mul_f32 v[118:119], v[114:115], v[106:107] op_sel:[0,1]
	v_pk_fma_f32 v[120:121], v[114:115], v[104:105], v[118:119] op_sel:[0,0,1] op_sel_hi:[1,1,0] neg_lo:[0,0,1] neg_hi:[0,0,1]
	v_pk_fma_f32 v[114:115], v[114:115], v[104:105], v[118:119] op_sel:[0,0,1] op_sel_hi:[1,0,0]
	s_delay_alu instid0(VALU_DEP_1) | instskip(SKIP_1) | instid1(VALU_DEP_1)
	v_mov_b32_e32 v121, v115
	v_pk_mul_f32 v[114:115], v[116:117], v[106:107] op_sel:[0,1]
	v_pk_fma_f32 v[118:119], v[116:117], v[104:105], v[114:115] op_sel:[0,0,1] op_sel_hi:[1,1,0] neg_lo:[0,0,1] neg_hi:[0,0,1]
	v_pk_fma_f32 v[114:115], v[116:117], v[104:105], v[114:115] op_sel:[0,0,1] op_sel_hi:[1,0,0]
	s_delay_alu instid0(VALU_DEP_1)
	v_mov_b32_e32 v119, v115
	ds_load_2addr_b64 v[114:117], v108 offset0:46 offset1:47
	v_pk_add_f32 v[6:7], v[6:7], v[120:121] neg_lo:[0,1] neg_hi:[0,1]
	v_pk_add_f32 v[28:29], v[28:29], v[118:119] neg_lo:[0,1] neg_hi:[0,1]
	s_wait_dscnt 0x0
	v_pk_mul_f32 v[118:119], v[114:115], v[106:107] op_sel:[0,1]
	s_delay_alu instid0(VALU_DEP_1) | instskip(SKIP_1) | instid1(VALU_DEP_1)
	v_pk_fma_f32 v[120:121], v[114:115], v[104:105], v[118:119] op_sel:[0,0,1] op_sel_hi:[1,1,0] neg_lo:[0,0,1] neg_hi:[0,0,1]
	v_pk_fma_f32 v[114:115], v[114:115], v[104:105], v[118:119] op_sel:[0,0,1] op_sel_hi:[1,0,0]
	v_mov_b32_e32 v121, v115
	v_pk_mul_f32 v[114:115], v[116:117], v[106:107] op_sel:[0,1]
	s_delay_alu instid0(VALU_DEP_1) | instskip(SKIP_1) | instid1(VALU_DEP_1)
	v_pk_fma_f32 v[118:119], v[116:117], v[104:105], v[114:115] op_sel:[0,0,1] op_sel_hi:[1,1,0] neg_lo:[0,0,1] neg_hi:[0,0,1]
	v_pk_fma_f32 v[114:115], v[116:117], v[104:105], v[114:115] op_sel:[0,0,1] op_sel_hi:[1,0,0]
	v_mov_b32_e32 v119, v115
	ds_load_b64 v[114:115], v108 offset:384
	v_pk_add_f32 v[18:19], v[18:19], v[120:121] neg_lo:[0,1] neg_hi:[0,1]
	v_pk_add_f32 v[16:17], v[16:17], v[118:119] neg_lo:[0,1] neg_hi:[0,1]
	s_wait_dscnt 0x0
	v_pk_mul_f32 v[106:107], v[114:115], v[106:107] op_sel:[0,1]
	s_delay_alu instid0(VALU_DEP_1) | instskip(SKIP_1) | instid1(VALU_DEP_1)
	v_pk_fma_f32 v[116:117], v[114:115], v[104:105], v[106:107] op_sel:[0,0,1] op_sel_hi:[1,1,0] neg_lo:[0,0,1] neg_hi:[0,0,1]
	v_pk_fma_f32 v[104:105], v[114:115], v[104:105], v[106:107] op_sel:[0,0,1] op_sel_hi:[1,0,0]
	v_mov_b32_e32 v117, v105
	s_delay_alu instid0(VALU_DEP_1)
	v_pk_add_f32 v[102:103], v[102:103], v[116:117] neg_lo:[0,1] neg_hi:[0,1]
.LBB96_419:
	s_or_b32 exec_lo, exec_lo, s0
	v_lshl_add_u32 v104, v112, 3, v108
	s_barrier_signal -1
	s_barrier_wait -1
	ds_store_b64 v104, v[74:75]
	s_wait_dscnt 0x0
	s_barrier_signal -1
	s_barrier_wait -1
	ds_load_b64 v[106:107], v108 offset:160
	v_mov_b32_e32 v104, 20
	s_cmp_lt_i32 s18, 22
	s_cbranch_scc1 .LBB96_422
; %bb.420:
	v_add3_u32 v105, v109, 0, 0xa8
	v_mov_b32_e32 v104, 20
	s_mov_b32 s0, 21
.LBB96_421:                             ; =>This Inner Loop Header: Depth=1
	ds_load_b64 v[114:115], v105
	s_wait_dscnt 0x1
	v_cmp_gt_f32_e32 vcc_lo, 0, v106
	v_cndmask_b32_e64 v116, v106, -v106, vcc_lo
	v_cmp_gt_f32_e32 vcc_lo, 0, v107
	v_cndmask_b32_e64 v118, v107, -v107, vcc_lo
	s_wait_dscnt 0x0
	v_cmp_gt_f32_e32 vcc_lo, 0, v114
	v_cndmask_b32_e64 v117, v114, -v114, vcc_lo
	v_cmp_gt_f32_e32 vcc_lo, 0, v115
	v_cndmask_b32_e64 v119, v115, -v115, vcc_lo
	s_delay_alu instid0(VALU_DEP_1) | instskip(NEXT) | instid1(VALU_DEP_1)
	v_pk_add_f32 v[116:117], v[116:117], v[118:119]
	v_cmp_lt_f32_e32 vcc_lo, v116, v117
	v_dual_add_nc_u32 v105, 8, v105 :: v_dual_cndmask_b32 v107, v107, v115, vcc_lo
	v_cndmask_b32_e32 v106, v106, v114, vcc_lo
	v_cndmask_b32_e64 v104, v104, s0, vcc_lo
	s_add_co_i32 s0, s0, 1
	s_delay_alu instid0(SALU_CYCLE_1)
	s_cmp_lg_u32 s18, s0
	s_cbranch_scc1 .LBB96_421
.LBB96_422:
	s_wait_dscnt 0x0
	v_cmp_eq_f32_e32 vcc_lo, 0, v106
	v_cmp_eq_f32_e64 s0, 0, v107
	s_and_b32 s0, vcc_lo, s0
	s_delay_alu instid0(SALU_CYCLE_1) | instskip(NEXT) | instid1(SALU_CYCLE_1)
	s_and_saveexec_b32 s1, s0
	s_xor_b32 s0, exec_lo, s1
; %bb.423:
	v_cmp_ne_u32_e32 vcc_lo, 0, v110
	v_cndmask_b32_e32 v110, 21, v110, vcc_lo
; %bb.424:
	s_and_not1_saveexec_b32 s0, s0
	s_cbranch_execz .LBB96_430
; %bb.425:
	v_cmp_ngt_f32_e64 s1, |v106|, |v107|
	s_and_saveexec_b32 s12, s1
	s_delay_alu instid0(SALU_CYCLE_1)
	s_xor_b32 s1, exec_lo, s12
	s_cbranch_execz .LBB96_427
; %bb.426:
	v_div_scale_f32 v105, null, v107, v107, v106
	v_div_scale_f32 v115, vcc_lo, v106, v107, v106
	s_delay_alu instid0(VALU_DEP_2) | instskip(SKIP_1) | instid1(TRANS32_DEP_1)
	v_rcp_f32_e32 v113, v105
	v_nop
	v_fma_f32 v114, -v105, v113, 1.0
	s_delay_alu instid0(VALU_DEP_1) | instskip(NEXT) | instid1(VALU_DEP_1)
	v_fmac_f32_e32 v113, v114, v113
	v_mul_f32_e32 v114, v115, v113
	s_delay_alu instid0(VALU_DEP_1) | instskip(NEXT) | instid1(VALU_DEP_1)
	v_fma_f32 v116, -v105, v114, v115
	v_fmac_f32_e32 v114, v116, v113
	s_delay_alu instid0(VALU_DEP_1) | instskip(NEXT) | instid1(VALU_DEP_1)
	v_fma_f32 v105, -v105, v114, v115
	v_div_fmas_f32 v105, v105, v113, v114
	s_delay_alu instid0(VALU_DEP_1) | instskip(NEXT) | instid1(VALU_DEP_1)
	v_div_fixup_f32 v105, v105, v107, v106
	v_fmac_f32_e32 v107, v106, v105
	s_delay_alu instid0(VALU_DEP_1) | instskip(SKIP_1) | instid1(VALU_DEP_2)
	v_div_scale_f32 v106, null, v107, v107, 1.0
	v_div_scale_f32 v115, vcc_lo, 1.0, v107, 1.0
	v_rcp_f32_e32 v113, v106
	v_nop
	s_delay_alu instid0(TRANS32_DEP_1) | instskip(NEXT) | instid1(VALU_DEP_1)
	v_fma_f32 v114, -v106, v113, 1.0
	v_fmac_f32_e32 v113, v114, v113
	s_delay_alu instid0(VALU_DEP_1) | instskip(NEXT) | instid1(VALU_DEP_1)
	v_mul_f32_e32 v114, v115, v113
	v_fma_f32 v116, -v106, v114, v115
	s_delay_alu instid0(VALU_DEP_1) | instskip(NEXT) | instid1(VALU_DEP_1)
	v_fmac_f32_e32 v114, v116, v113
	v_fma_f32 v106, -v106, v114, v115
	s_delay_alu instid0(VALU_DEP_1) | instskip(NEXT) | instid1(VALU_DEP_1)
	v_div_fmas_f32 v106, v106, v113, v114
	v_div_fixup_f32 v107, v106, v107, 1.0
	s_delay_alu instid0(VALU_DEP_1)
	v_mul_f32_e32 v106, v105, v107
	v_xor_b32_e32 v107, 0x80000000, v107
.LBB96_427:
	s_and_not1_saveexec_b32 s1, s1
	s_cbranch_execz .LBB96_429
; %bb.428:
	s_delay_alu instid0(VALU_DEP_1) | instskip(SKIP_1) | instid1(VALU_DEP_2)
	v_div_scale_f32 v105, null, v106, v106, v107
	v_div_scale_f32 v115, vcc_lo, v107, v106, v107
	v_rcp_f32_e32 v113, v105
	v_nop
	s_delay_alu instid0(TRANS32_DEP_1) | instskip(NEXT) | instid1(VALU_DEP_1)
	v_fma_f32 v114, -v105, v113, 1.0
	v_fmac_f32_e32 v113, v114, v113
	s_delay_alu instid0(VALU_DEP_1) | instskip(NEXT) | instid1(VALU_DEP_1)
	v_mul_f32_e32 v114, v115, v113
	v_fma_f32 v116, -v105, v114, v115
	s_delay_alu instid0(VALU_DEP_1) | instskip(NEXT) | instid1(VALU_DEP_1)
	v_fmac_f32_e32 v114, v116, v113
	v_fma_f32 v105, -v105, v114, v115
	s_delay_alu instid0(VALU_DEP_1) | instskip(NEXT) | instid1(VALU_DEP_1)
	v_div_fmas_f32 v105, v105, v113, v114
	v_div_fixup_f32 v105, v105, v106, v107
	s_delay_alu instid0(VALU_DEP_1) | instskip(NEXT) | instid1(VALU_DEP_1)
	v_fmac_f32_e32 v106, v107, v105
	v_div_scale_f32 v107, null, v106, v106, 1.0
	s_delay_alu instid0(VALU_DEP_1) | instskip(SKIP_1) | instid1(TRANS32_DEP_1)
	v_rcp_f32_e32 v113, v107
	v_nop
	v_fma_f32 v114, -v107, v113, 1.0
	s_delay_alu instid0(VALU_DEP_1) | instskip(SKIP_1) | instid1(VALU_DEP_1)
	v_fmac_f32_e32 v113, v114, v113
	v_div_scale_f32 v114, vcc_lo, 1.0, v106, 1.0
	v_mul_f32_e32 v115, v114, v113
	s_delay_alu instid0(VALU_DEP_1) | instskip(NEXT) | instid1(VALU_DEP_1)
	v_fma_f32 v116, -v107, v115, v114
	v_fmac_f32_e32 v115, v116, v113
	s_delay_alu instid0(VALU_DEP_1) | instskip(NEXT) | instid1(VALU_DEP_1)
	v_fma_f32 v107, -v107, v115, v114
	v_div_fmas_f32 v107, v107, v113, v115
	s_delay_alu instid0(VALU_DEP_1) | instskip(NEXT) | instid1(VALU_DEP_1)
	v_div_fixup_f32 v106, v107, v106, 1.0
	v_mul_f32_e64 v107, v105, -v106
.LBB96_429:
	s_or_b32 exec_lo, exec_lo, s1
.LBB96_430:
	s_delay_alu instid0(SALU_CYCLE_1) | instskip(NEXT) | instid1(SALU_CYCLE_1)
	s_or_b32 exec_lo, exec_lo, s0
	s_mov_b32 s0, exec_lo
	v_cmpx_ne_u32_e64 v112, v104
	s_xor_b32 s0, exec_lo, s0
	s_cbranch_execz .LBB96_436
; %bb.431:
	s_mov_b32 s1, exec_lo
	v_cmpx_eq_u32_e32 20, v112
	s_cbranch_execz .LBB96_435
; %bb.432:
	v_cmp_ne_u32_e32 vcc_lo, 20, v104
	s_xor_b32 s12, s16, -1
	s_delay_alu instid0(SALU_CYCLE_1) | instskip(NEXT) | instid1(SALU_CYCLE_1)
	s_and_b32 s13, s12, vcc_lo
	s_and_saveexec_b32 s12, s13
	s_cbranch_execz .LBB96_434
; %bb.433:
	v_ashrrev_i32_e32 v105, 31, v104
	s_delay_alu instid0(VALU_DEP_1)
	v_lshl_add_u64 v[112:113], v[104:105], 2, v[4:5]
	s_clause 0x1
	global_load_b32 v105, v[112:113], off
	global_load_b32 v111, v[4:5], off offset:80
	s_wait_loadcnt 0x1
	global_store_b32 v[4:5], v105, off offset:80
	s_wait_loadcnt 0x0
	global_store_b32 v[112:113], v111, off
.LBB96_434:
	s_wait_xcnt 0x0
	s_or_b32 exec_lo, exec_lo, s12
	v_dual_mov_b32 v112, v104 :: v_dual_mov_b32 v111, v104
.LBB96_435:
	s_or_b32 exec_lo, exec_lo, s1
.LBB96_436:
	s_and_not1_saveexec_b32 s0, s0
	s_cbranch_execz .LBB96_438
; %bb.437:
	v_mov_b32_e32 v112, 20
	ds_store_2addr_b64 v108, v[70:71], v[72:73] offset0:21 offset1:22
	ds_store_2addr_b64 v108, v[68:69], v[56:57] offset0:23 offset1:24
	;; [unrolled: 1-line block ×14, first 2 shown]
.LBB96_438:
	s_or_b32 exec_lo, exec_lo, s0
	s_delay_alu instid0(SALU_CYCLE_1)
	s_mov_b32 s0, exec_lo
	s_wait_storecnt_dscnt 0x0
	s_barrier_signal -1
	s_barrier_wait -1
	v_cmpx_lt_i32_e32 20, v112
	s_cbranch_execz .LBB96_440
; %bb.439:
	v_pk_mul_f32 v[114:115], v[106:107], v[74:75] op_sel:[1,1] op_sel_hi:[0,1]
	s_delay_alu instid0(VALU_DEP_1)
	v_pk_fma_f32 v[104:105], v[106:107], v[74:75], v[114:115] op_sel_hi:[1,0,1] neg_lo:[0,0,1] neg_hi:[0,0,1]
	v_pk_fma_f32 v[106:107], v[106:107], v[74:75], v[114:115] op_sel_hi:[1,0,1]
	ds_load_2addr_b64 v[114:117], v108 offset0:21 offset1:22
	v_dual_mov_b32 v74, v104 :: v_dual_mov_b32 v75, v107
	s_wait_dscnt 0x0
	v_pk_mul_f32 v[118:119], v[114:115], v[106:107] op_sel:[0,1]
	s_delay_alu instid0(VALU_DEP_1) | instskip(SKIP_1) | instid1(VALU_DEP_1)
	v_pk_fma_f32 v[120:121], v[114:115], v[104:105], v[118:119] op_sel:[0,0,1] op_sel_hi:[1,1,0] neg_lo:[0,0,1] neg_hi:[0,0,1]
	v_pk_fma_f32 v[114:115], v[114:115], v[104:105], v[118:119] op_sel:[0,0,1] op_sel_hi:[1,0,0]
	v_mov_b32_e32 v121, v115
	v_pk_mul_f32 v[114:115], v[116:117], v[106:107] op_sel:[0,1]
	s_delay_alu instid0(VALU_DEP_1) | instskip(SKIP_1) | instid1(VALU_DEP_1)
	v_pk_fma_f32 v[118:119], v[116:117], v[104:105], v[114:115] op_sel:[0,0,1] op_sel_hi:[1,1,0] neg_lo:[0,0,1] neg_hi:[0,0,1]
	v_pk_fma_f32 v[114:115], v[116:117], v[104:105], v[114:115] op_sel:[0,0,1] op_sel_hi:[1,0,0]
	v_mov_b32_e32 v119, v115
	ds_load_2addr_b64 v[114:117], v108 offset0:23 offset1:24
	v_pk_add_f32 v[70:71], v[70:71], v[120:121] neg_lo:[0,1] neg_hi:[0,1]
	v_pk_add_f32 v[72:73], v[72:73], v[118:119] neg_lo:[0,1] neg_hi:[0,1]
	s_wait_dscnt 0x0
	v_pk_mul_f32 v[118:119], v[114:115], v[106:107] op_sel:[0,1]
	s_delay_alu instid0(VALU_DEP_1) | instskip(SKIP_2) | instid1(VALU_DEP_2)
	v_pk_fma_f32 v[120:121], v[114:115], v[104:105], v[118:119] op_sel:[0,0,1] op_sel_hi:[1,1,0] neg_lo:[0,0,1] neg_hi:[0,0,1]
	v_pk_fma_f32 v[114:115], v[114:115], v[104:105], v[118:119] op_sel:[0,0,1] op_sel_hi:[1,0,0]
	v_dual_mul_f32 v118, v117, v107 :: v_dual_mov_b32 v114, v117
	v_dual_mov_b32 v121, v115 :: v_dual_mov_b32 v115, v116
	s_delay_alu instid0(VALU_DEP_2) | instskip(SKIP_1) | instid1(VALU_DEP_3)
	v_pk_fma_f32 v[118:119], v[116:117], v[74:75], v[118:119] op_sel_hi:[1,1,0] neg_lo:[0,0,1] neg_hi:[0,0,1]
	v_mul_f32_e32 v116, v117, v104
	v_pk_add_f32 v[68:69], v[68:69], v[120:121] neg_lo:[0,1] neg_hi:[0,1]
	s_delay_alu instid0(VALU_DEP_2) | instskip(NEXT) | instid1(VALU_DEP_1)
	v_pk_fma_f32 v[114:115], v[114:115], v[74:75], v[116:117] op_sel_hi:[1,1,0]
	v_mov_b32_e32 v119, v115
	ds_load_2addr_b64 v[114:117], v108 offset0:25 offset1:26
	v_pk_add_f32 v[56:57], v[56:57], v[118:119] neg_lo:[0,1] neg_hi:[0,1]
	s_wait_dscnt 0x0
	v_pk_mul_f32 v[118:119], v[114:115], v[106:107] op_sel:[0,1]
	s_delay_alu instid0(VALU_DEP_1) | instskip(SKIP_1) | instid1(VALU_DEP_1)
	v_pk_fma_f32 v[120:121], v[114:115], v[104:105], v[118:119] op_sel:[0,0,1] op_sel_hi:[1,1,0] neg_lo:[0,0,1] neg_hi:[0,0,1]
	v_pk_fma_f32 v[114:115], v[114:115], v[104:105], v[118:119] op_sel:[0,0,1] op_sel_hi:[1,0,0]
	v_mov_b32_e32 v121, v115
	v_pk_mul_f32 v[114:115], v[116:117], v[106:107] op_sel:[0,1]
	s_delay_alu instid0(VALU_DEP_1) | instskip(SKIP_1) | instid1(VALU_DEP_1)
	v_pk_fma_f32 v[118:119], v[116:117], v[104:105], v[114:115] op_sel:[0,0,1] op_sel_hi:[1,1,0] neg_lo:[0,0,1] neg_hi:[0,0,1]
	v_pk_fma_f32 v[114:115], v[116:117], v[104:105], v[114:115] op_sel:[0,0,1] op_sel_hi:[1,0,0]
	v_mov_b32_e32 v119, v115
	ds_load_2addr_b64 v[114:117], v108 offset0:27 offset1:28
	v_pk_add_f32 v[48:49], v[48:49], v[120:121] neg_lo:[0,1] neg_hi:[0,1]
	v_pk_add_f32 v[54:55], v[54:55], v[118:119] neg_lo:[0,1] neg_hi:[0,1]
	s_wait_dscnt 0x0
	v_pk_mul_f32 v[118:119], v[114:115], v[106:107] op_sel:[0,1]
	s_delay_alu instid0(VALU_DEP_1) | instskip(SKIP_1) | instid1(VALU_DEP_1)
	v_pk_fma_f32 v[120:121], v[114:115], v[104:105], v[118:119] op_sel:[0,0,1] op_sel_hi:[1,1,0] neg_lo:[0,0,1] neg_hi:[0,0,1]
	v_pk_fma_f32 v[114:115], v[114:115], v[104:105], v[118:119] op_sel:[0,0,1] op_sel_hi:[1,0,0]
	v_mov_b32_e32 v121, v115
	v_pk_mul_f32 v[114:115], v[116:117], v[106:107] op_sel:[0,1]
	s_delay_alu instid0(VALU_DEP_1) | instskip(SKIP_1) | instid1(VALU_DEP_1)
	v_pk_fma_f32 v[118:119], v[116:117], v[104:105], v[114:115] op_sel:[0,0,1] op_sel_hi:[1,1,0] neg_lo:[0,0,1] neg_hi:[0,0,1]
	v_pk_fma_f32 v[114:115], v[116:117], v[104:105], v[114:115] op_sel:[0,0,1] op_sel_hi:[1,0,0]
	v_mov_b32_e32 v119, v115
	ds_load_2addr_b64 v[114:117], v108 offset0:29 offset1:30
	v_pk_add_f32 v[46:47], v[46:47], v[120:121] neg_lo:[0,1] neg_hi:[0,1]
	v_pk_add_f32 v[44:45], v[44:45], v[118:119] neg_lo:[0,1] neg_hi:[0,1]
	s_wait_dscnt 0x0
	v_dual_mul_f32 v118, v115, v107 :: v_dual_mul_f32 v120, v115, v104
	s_delay_alu instid0(VALU_DEP_1) | instskip(NEXT) | instid1(VALU_DEP_2)
	v_pk_fma_f32 v[118:119], v[114:115], v[74:75], v[118:119] op_sel_hi:[1,1,0] neg_lo:[0,0,1] neg_hi:[0,0,1]
	v_pk_fma_f32 v[114:115], v[114:115], v[74:75], v[120:121] op_sel:[1,0,0] op_sel_hi:[0,1,0]
	s_delay_alu instid0(VALU_DEP_1) | instskip(SKIP_1) | instid1(VALU_DEP_2)
	v_mov_b32_e32 v119, v115
	v_pk_mul_f32 v[114:115], v[116:117], v[106:107] op_sel:[0,1]
	v_pk_add_f32 v[40:41], v[40:41], v[118:119] neg_lo:[0,1] neg_hi:[0,1]
	s_delay_alu instid0(VALU_DEP_2) | instskip(SKIP_1) | instid1(VALU_DEP_1)
	v_pk_fma_f32 v[118:119], v[116:117], v[104:105], v[114:115] op_sel:[0,0,1] op_sel_hi:[1,1,0] neg_lo:[0,0,1] neg_hi:[0,0,1]
	v_pk_fma_f32 v[114:115], v[116:117], v[104:105], v[114:115] op_sel:[0,0,1] op_sel_hi:[1,0,0]
	v_mov_b32_e32 v119, v115
	ds_load_2addr_b64 v[114:117], v108 offset0:31 offset1:32
	v_pk_add_f32 v[42:43], v[42:43], v[118:119] neg_lo:[0,1] neg_hi:[0,1]
	s_wait_dscnt 0x0
	v_pk_mul_f32 v[118:119], v[114:115], v[106:107] op_sel:[0,1]
	s_delay_alu instid0(VALU_DEP_1) | instskip(SKIP_1) | instid1(VALU_DEP_1)
	v_pk_fma_f32 v[120:121], v[114:115], v[104:105], v[118:119] op_sel:[0,0,1] op_sel_hi:[1,1,0] neg_lo:[0,0,1] neg_hi:[0,0,1]
	v_pk_fma_f32 v[114:115], v[114:115], v[104:105], v[118:119] op_sel:[0,0,1] op_sel_hi:[1,0,0]
	v_mov_b32_e32 v121, v115
	v_pk_mul_f32 v[114:115], v[116:117], v[106:107] op_sel:[0,1]
	s_delay_alu instid0(VALU_DEP_2) | instskip(NEXT) | instid1(VALU_DEP_2)
	v_pk_add_f32 v[38:39], v[38:39], v[120:121] neg_lo:[0,1] neg_hi:[0,1]
	v_pk_fma_f32 v[118:119], v[116:117], v[104:105], v[114:115] op_sel:[0,0,1] op_sel_hi:[1,1,0] neg_lo:[0,0,1] neg_hi:[0,0,1]
	v_pk_fma_f32 v[114:115], v[116:117], v[104:105], v[114:115] op_sel:[0,0,1] op_sel_hi:[1,0,0]
	s_delay_alu instid0(VALU_DEP_1) | instskip(SKIP_4) | instid1(VALU_DEP_1)
	v_mov_b32_e32 v119, v115
	ds_load_2addr_b64 v[114:117], v108 offset0:33 offset1:34
	v_pk_add_f32 v[36:37], v[36:37], v[118:119] neg_lo:[0,1] neg_hi:[0,1]
	s_wait_dscnt 0x0
	v_pk_mul_f32 v[118:119], v[114:115], v[106:107] op_sel:[0,1]
	v_pk_fma_f32 v[120:121], v[114:115], v[104:105], v[118:119] op_sel:[0,0,1] op_sel_hi:[1,1,0] neg_lo:[0,0,1] neg_hi:[0,0,1]
	v_pk_fma_f32 v[114:115], v[114:115], v[104:105], v[118:119] op_sel:[0,0,1] op_sel_hi:[1,0,0]
	v_dual_mul_f32 v118, v117, v107 :: v_dual_mov_b32 v114, v117
	s_delay_alu instid0(VALU_DEP_2) | instskip(NEXT) | instid1(VALU_DEP_2)
	v_dual_mov_b32 v121, v115 :: v_dual_mov_b32 v115, v116
	v_pk_fma_f32 v[118:119], v[116:117], v[74:75], v[118:119] op_sel_hi:[1,1,0] neg_lo:[0,0,1] neg_hi:[0,0,1]
	v_mul_f32_e32 v116, v117, v104
	s_delay_alu instid0(VALU_DEP_3) | instskip(NEXT) | instid1(VALU_DEP_2)
	v_pk_add_f32 v[32:33], v[32:33], v[120:121] neg_lo:[0,1] neg_hi:[0,1]
	v_pk_fma_f32 v[114:115], v[114:115], v[74:75], v[116:117] op_sel_hi:[1,1,0]
	s_delay_alu instid0(VALU_DEP_1) | instskip(SKIP_4) | instid1(VALU_DEP_1)
	v_mov_b32_e32 v119, v115
	ds_load_2addr_b64 v[114:117], v108 offset0:35 offset1:36
	v_pk_add_f32 v[34:35], v[34:35], v[118:119] neg_lo:[0,1] neg_hi:[0,1]
	s_wait_dscnt 0x0
	v_pk_mul_f32 v[118:119], v[114:115], v[106:107] op_sel:[0,1]
	v_pk_fma_f32 v[120:121], v[114:115], v[104:105], v[118:119] op_sel:[0,0,1] op_sel_hi:[1,1,0] neg_lo:[0,0,1] neg_hi:[0,0,1]
	v_pk_fma_f32 v[114:115], v[114:115], v[104:105], v[118:119] op_sel:[0,0,1] op_sel_hi:[1,0,0]
	s_delay_alu instid0(VALU_DEP_1) | instskip(SKIP_1) | instid1(VALU_DEP_1)
	v_mov_b32_e32 v121, v115
	v_pk_mul_f32 v[114:115], v[116:117], v[106:107] op_sel:[0,1]
	v_pk_fma_f32 v[118:119], v[116:117], v[104:105], v[114:115] op_sel:[0,0,1] op_sel_hi:[1,1,0] neg_lo:[0,0,1] neg_hi:[0,0,1]
	v_pk_fma_f32 v[114:115], v[116:117], v[104:105], v[114:115] op_sel:[0,0,1] op_sel_hi:[1,0,0]
	s_delay_alu instid0(VALU_DEP_1)
	v_mov_b32_e32 v119, v115
	ds_load_2addr_b64 v[114:117], v108 offset0:37 offset1:38
	v_pk_add_f32 v[30:31], v[30:31], v[120:121] neg_lo:[0,1] neg_hi:[0,1]
	v_pk_add_f32 v[26:27], v[26:27], v[118:119] neg_lo:[0,1] neg_hi:[0,1]
	s_wait_dscnt 0x0
	v_pk_mul_f32 v[118:119], v[114:115], v[106:107] op_sel:[0,1]
	s_delay_alu instid0(VALU_DEP_1) | instskip(SKIP_1) | instid1(VALU_DEP_1)
	v_pk_fma_f32 v[120:121], v[114:115], v[104:105], v[118:119] op_sel:[0,0,1] op_sel_hi:[1,1,0] neg_lo:[0,0,1] neg_hi:[0,0,1]
	v_pk_fma_f32 v[114:115], v[114:115], v[104:105], v[118:119] op_sel:[0,0,1] op_sel_hi:[1,0,0]
	v_mov_b32_e32 v121, v115
	v_pk_mul_f32 v[114:115], v[116:117], v[106:107] op_sel:[0,1]
	s_delay_alu instid0(VALU_DEP_1) | instskip(SKIP_1) | instid1(VALU_DEP_1)
	v_pk_fma_f32 v[118:119], v[116:117], v[104:105], v[114:115] op_sel:[0,0,1] op_sel_hi:[1,1,0] neg_lo:[0,0,1] neg_hi:[0,0,1]
	v_pk_fma_f32 v[114:115], v[116:117], v[104:105], v[114:115] op_sel:[0,0,1] op_sel_hi:[1,0,0]
	v_mov_b32_e32 v119, v115
	ds_load_2addr_b64 v[114:117], v108 offset0:39 offset1:40
	v_pk_add_f32 v[22:23], v[22:23], v[120:121] neg_lo:[0,1] neg_hi:[0,1]
	v_pk_add_f32 v[24:25], v[24:25], v[118:119] neg_lo:[0,1] neg_hi:[0,1]
	s_wait_dscnt 0x0
	v_dual_mul_f32 v118, v115, v107 :: v_dual_mul_f32 v120, v115, v104
	s_delay_alu instid0(VALU_DEP_1) | instskip(NEXT) | instid1(VALU_DEP_2)
	v_pk_fma_f32 v[118:119], v[114:115], v[74:75], v[118:119] op_sel_hi:[1,1,0] neg_lo:[0,0,1] neg_hi:[0,0,1]
	v_pk_fma_f32 v[114:115], v[114:115], v[74:75], v[120:121] op_sel:[1,0,0] op_sel_hi:[0,1,0]
	s_delay_alu instid0(VALU_DEP_1) | instskip(SKIP_1) | instid1(VALU_DEP_2)
	v_mov_b32_e32 v119, v115
	v_pk_mul_f32 v[114:115], v[116:117], v[106:107] op_sel:[0,1]
	v_pk_add_f32 v[20:21], v[20:21], v[118:119] neg_lo:[0,1] neg_hi:[0,1]
	s_delay_alu instid0(VALU_DEP_2) | instskip(SKIP_1) | instid1(VALU_DEP_1)
	v_pk_fma_f32 v[118:119], v[116:117], v[104:105], v[114:115] op_sel:[0,0,1] op_sel_hi:[1,1,0] neg_lo:[0,0,1] neg_hi:[0,0,1]
	v_pk_fma_f32 v[114:115], v[116:117], v[104:105], v[114:115] op_sel:[0,0,1] op_sel_hi:[1,0,0]
	v_mov_b32_e32 v119, v115
	ds_load_2addr_b64 v[114:117], v108 offset0:41 offset1:42
	v_pk_add_f32 v[14:15], v[14:15], v[118:119] neg_lo:[0,1] neg_hi:[0,1]
	s_wait_dscnt 0x0
	v_pk_mul_f32 v[118:119], v[114:115], v[106:107] op_sel:[0,1]
	s_delay_alu instid0(VALU_DEP_1) | instskip(SKIP_1) | instid1(VALU_DEP_1)
	v_pk_fma_f32 v[120:121], v[114:115], v[104:105], v[118:119] op_sel:[0,0,1] op_sel_hi:[1,1,0] neg_lo:[0,0,1] neg_hi:[0,0,1]
	v_pk_fma_f32 v[114:115], v[114:115], v[104:105], v[118:119] op_sel:[0,0,1] op_sel_hi:[1,0,0]
	v_mov_b32_e32 v121, v115
	v_pk_mul_f32 v[114:115], v[116:117], v[106:107] op_sel:[0,1]
	s_delay_alu instid0(VALU_DEP_2) | instskip(NEXT) | instid1(VALU_DEP_2)
	v_pk_add_f32 v[10:11], v[10:11], v[120:121] neg_lo:[0,1] neg_hi:[0,1]
	v_pk_fma_f32 v[118:119], v[116:117], v[104:105], v[114:115] op_sel:[0,0,1] op_sel_hi:[1,1,0] neg_lo:[0,0,1] neg_hi:[0,0,1]
	v_pk_fma_f32 v[114:115], v[116:117], v[104:105], v[114:115] op_sel:[0,0,1] op_sel_hi:[1,0,0]
	s_delay_alu instid0(VALU_DEP_1) | instskip(SKIP_4) | instid1(VALU_DEP_1)
	v_mov_b32_e32 v119, v115
	ds_load_2addr_b64 v[114:117], v108 offset0:43 offset1:44
	v_pk_add_f32 v[12:13], v[12:13], v[118:119] neg_lo:[0,1] neg_hi:[0,1]
	s_wait_dscnt 0x0
	v_pk_mul_f32 v[118:119], v[114:115], v[106:107] op_sel:[0,1]
	v_pk_fma_f32 v[120:121], v[114:115], v[104:105], v[118:119] op_sel:[0,0,1] op_sel_hi:[1,1,0] neg_lo:[0,0,1] neg_hi:[0,0,1]
	v_pk_fma_f32 v[114:115], v[114:115], v[104:105], v[118:119] op_sel:[0,0,1] op_sel_hi:[1,0,0]
	v_dual_mul_f32 v118, v117, v107 :: v_dual_mov_b32 v114, v117
	s_delay_alu instid0(VALU_DEP_2) | instskip(NEXT) | instid1(VALU_DEP_2)
	v_dual_mov_b32 v121, v115 :: v_dual_mov_b32 v115, v116
	v_pk_fma_f32 v[118:119], v[116:117], v[74:75], v[118:119] op_sel_hi:[1,1,0] neg_lo:[0,0,1] neg_hi:[0,0,1]
	v_mul_f32_e32 v116, v117, v104
	s_delay_alu instid0(VALU_DEP_3) | instskip(NEXT) | instid1(VALU_DEP_2)
	v_pk_add_f32 v[8:9], v[8:9], v[120:121] neg_lo:[0,1] neg_hi:[0,1]
	v_pk_fma_f32 v[114:115], v[114:115], v[74:75], v[116:117] op_sel_hi:[1,1,0]
	s_delay_alu instid0(VALU_DEP_1) | instskip(SKIP_4) | instid1(VALU_DEP_1)
	v_mov_b32_e32 v119, v115
	ds_load_2addr_b64 v[114:117], v108 offset0:45 offset1:46
	v_pk_add_f32 v[6:7], v[6:7], v[118:119] neg_lo:[0,1] neg_hi:[0,1]
	s_wait_dscnt 0x0
	v_pk_mul_f32 v[118:119], v[114:115], v[106:107] op_sel:[0,1]
	v_pk_fma_f32 v[120:121], v[114:115], v[104:105], v[118:119] op_sel:[0,0,1] op_sel_hi:[1,1,0] neg_lo:[0,0,1] neg_hi:[0,0,1]
	v_pk_fma_f32 v[114:115], v[114:115], v[104:105], v[118:119] op_sel:[0,0,1] op_sel_hi:[1,0,0]
	s_delay_alu instid0(VALU_DEP_1) | instskip(SKIP_1) | instid1(VALU_DEP_1)
	v_mov_b32_e32 v121, v115
	v_pk_mul_f32 v[114:115], v[116:117], v[106:107] op_sel:[0,1]
	v_pk_fma_f32 v[118:119], v[116:117], v[104:105], v[114:115] op_sel:[0,0,1] op_sel_hi:[1,1,0] neg_lo:[0,0,1] neg_hi:[0,0,1]
	v_pk_fma_f32 v[114:115], v[116:117], v[104:105], v[114:115] op_sel:[0,0,1] op_sel_hi:[1,0,0]
	s_delay_alu instid0(VALU_DEP_1)
	v_mov_b32_e32 v119, v115
	ds_load_2addr_b64 v[114:117], v108 offset0:47 offset1:48
	v_pk_add_f32 v[28:29], v[28:29], v[120:121] neg_lo:[0,1] neg_hi:[0,1]
	v_pk_add_f32 v[18:19], v[18:19], v[118:119] neg_lo:[0,1] neg_hi:[0,1]
	s_wait_dscnt 0x0
	v_pk_mul_f32 v[118:119], v[114:115], v[106:107] op_sel:[0,1]
	v_pk_mul_f32 v[106:107], v[116:117], v[106:107] op_sel:[0,1]
	s_delay_alu instid0(VALU_DEP_2) | instskip(SKIP_1) | instid1(VALU_DEP_1)
	v_pk_fma_f32 v[120:121], v[114:115], v[104:105], v[118:119] op_sel:[0,0,1] op_sel_hi:[1,1,0] neg_lo:[0,0,1] neg_hi:[0,0,1]
	v_pk_fma_f32 v[114:115], v[114:115], v[104:105], v[118:119] op_sel:[0,0,1] op_sel_hi:[1,0,0]
	v_mov_b32_e32 v121, v115
	s_delay_alu instid0(VALU_DEP_4) | instskip(SKIP_1) | instid1(VALU_DEP_1)
	v_pk_fma_f32 v[114:115], v[116:117], v[104:105], v[106:107] op_sel:[0,0,1] op_sel_hi:[1,1,0] neg_lo:[0,0,1] neg_hi:[0,0,1]
	v_pk_fma_f32 v[104:105], v[116:117], v[104:105], v[106:107] op_sel:[0,0,1] op_sel_hi:[1,0,0]
	v_mov_b32_e32 v115, v105
	s_delay_alu instid0(VALU_DEP_4) | instskip(NEXT) | instid1(VALU_DEP_2)
	v_pk_add_f32 v[16:17], v[16:17], v[120:121] neg_lo:[0,1] neg_hi:[0,1]
	v_pk_add_f32 v[102:103], v[102:103], v[114:115] neg_lo:[0,1] neg_hi:[0,1]
.LBB96_440:
	s_or_b32 exec_lo, exec_lo, s0
	v_lshl_add_u32 v104, v112, 3, v108
	s_barrier_signal -1
	s_barrier_wait -1
	ds_store_b64 v104, v[70:71]
	s_wait_dscnt 0x0
	s_barrier_signal -1
	s_barrier_wait -1
	ds_load_b64 v[106:107], v108 offset:168
	v_mov_b32_e32 v104, 21
	s_cmp_lt_i32 s18, 23
	s_cbranch_scc1 .LBB96_443
; %bb.441:
	v_add3_u32 v105, v109, 0, 0xb0
	v_mov_b32_e32 v104, 21
	s_mov_b32 s0, 22
.LBB96_442:                             ; =>This Inner Loop Header: Depth=1
	ds_load_b64 v[114:115], v105
	s_wait_dscnt 0x1
	v_cmp_gt_f32_e32 vcc_lo, 0, v106
	v_cndmask_b32_e64 v116, v106, -v106, vcc_lo
	v_cmp_gt_f32_e32 vcc_lo, 0, v107
	v_cndmask_b32_e64 v118, v107, -v107, vcc_lo
	s_wait_dscnt 0x0
	v_cmp_gt_f32_e32 vcc_lo, 0, v114
	v_cndmask_b32_e64 v117, v114, -v114, vcc_lo
	v_cmp_gt_f32_e32 vcc_lo, 0, v115
	v_cndmask_b32_e64 v119, v115, -v115, vcc_lo
	s_delay_alu instid0(VALU_DEP_1) | instskip(NEXT) | instid1(VALU_DEP_1)
	v_pk_add_f32 v[116:117], v[116:117], v[118:119]
	v_cmp_lt_f32_e32 vcc_lo, v116, v117
	v_dual_add_nc_u32 v105, 8, v105 :: v_dual_cndmask_b32 v107, v107, v115, vcc_lo
	v_cndmask_b32_e32 v106, v106, v114, vcc_lo
	v_cndmask_b32_e64 v104, v104, s0, vcc_lo
	s_add_co_i32 s0, s0, 1
	s_delay_alu instid0(SALU_CYCLE_1)
	s_cmp_lg_u32 s18, s0
	s_cbranch_scc1 .LBB96_442
.LBB96_443:
	s_wait_dscnt 0x0
	v_cmp_eq_f32_e32 vcc_lo, 0, v106
	v_cmp_eq_f32_e64 s0, 0, v107
	s_and_b32 s0, vcc_lo, s0
	s_delay_alu instid0(SALU_CYCLE_1) | instskip(NEXT) | instid1(SALU_CYCLE_1)
	s_and_saveexec_b32 s1, s0
	s_xor_b32 s0, exec_lo, s1
; %bb.444:
	v_cmp_ne_u32_e32 vcc_lo, 0, v110
	v_cndmask_b32_e32 v110, 22, v110, vcc_lo
; %bb.445:
	s_and_not1_saveexec_b32 s0, s0
	s_cbranch_execz .LBB96_451
; %bb.446:
	v_cmp_ngt_f32_e64 s1, |v106|, |v107|
	s_and_saveexec_b32 s12, s1
	s_delay_alu instid0(SALU_CYCLE_1)
	s_xor_b32 s1, exec_lo, s12
	s_cbranch_execz .LBB96_448
; %bb.447:
	v_div_scale_f32 v105, null, v107, v107, v106
	v_div_scale_f32 v115, vcc_lo, v106, v107, v106
	s_delay_alu instid0(VALU_DEP_2) | instskip(SKIP_1) | instid1(TRANS32_DEP_1)
	v_rcp_f32_e32 v113, v105
	v_nop
	v_fma_f32 v114, -v105, v113, 1.0
	s_delay_alu instid0(VALU_DEP_1) | instskip(NEXT) | instid1(VALU_DEP_1)
	v_fmac_f32_e32 v113, v114, v113
	v_mul_f32_e32 v114, v115, v113
	s_delay_alu instid0(VALU_DEP_1) | instskip(NEXT) | instid1(VALU_DEP_1)
	v_fma_f32 v116, -v105, v114, v115
	v_fmac_f32_e32 v114, v116, v113
	s_delay_alu instid0(VALU_DEP_1) | instskip(NEXT) | instid1(VALU_DEP_1)
	v_fma_f32 v105, -v105, v114, v115
	v_div_fmas_f32 v105, v105, v113, v114
	s_delay_alu instid0(VALU_DEP_1) | instskip(NEXT) | instid1(VALU_DEP_1)
	v_div_fixup_f32 v105, v105, v107, v106
	v_fmac_f32_e32 v107, v106, v105
	s_delay_alu instid0(VALU_DEP_1) | instskip(SKIP_1) | instid1(VALU_DEP_2)
	v_div_scale_f32 v106, null, v107, v107, 1.0
	v_div_scale_f32 v115, vcc_lo, 1.0, v107, 1.0
	v_rcp_f32_e32 v113, v106
	v_nop
	s_delay_alu instid0(TRANS32_DEP_1) | instskip(NEXT) | instid1(VALU_DEP_1)
	v_fma_f32 v114, -v106, v113, 1.0
	v_fmac_f32_e32 v113, v114, v113
	s_delay_alu instid0(VALU_DEP_1) | instskip(NEXT) | instid1(VALU_DEP_1)
	v_mul_f32_e32 v114, v115, v113
	v_fma_f32 v116, -v106, v114, v115
	s_delay_alu instid0(VALU_DEP_1) | instskip(NEXT) | instid1(VALU_DEP_1)
	v_fmac_f32_e32 v114, v116, v113
	v_fma_f32 v106, -v106, v114, v115
	s_delay_alu instid0(VALU_DEP_1) | instskip(NEXT) | instid1(VALU_DEP_1)
	v_div_fmas_f32 v106, v106, v113, v114
	v_div_fixup_f32 v107, v106, v107, 1.0
	s_delay_alu instid0(VALU_DEP_1)
	v_mul_f32_e32 v106, v105, v107
	v_xor_b32_e32 v107, 0x80000000, v107
.LBB96_448:
	s_and_not1_saveexec_b32 s1, s1
	s_cbranch_execz .LBB96_450
; %bb.449:
	s_delay_alu instid0(VALU_DEP_1) | instskip(SKIP_1) | instid1(VALU_DEP_2)
	v_div_scale_f32 v105, null, v106, v106, v107
	v_div_scale_f32 v115, vcc_lo, v107, v106, v107
	v_rcp_f32_e32 v113, v105
	v_nop
	s_delay_alu instid0(TRANS32_DEP_1) | instskip(NEXT) | instid1(VALU_DEP_1)
	v_fma_f32 v114, -v105, v113, 1.0
	v_fmac_f32_e32 v113, v114, v113
	s_delay_alu instid0(VALU_DEP_1) | instskip(NEXT) | instid1(VALU_DEP_1)
	v_mul_f32_e32 v114, v115, v113
	v_fma_f32 v116, -v105, v114, v115
	s_delay_alu instid0(VALU_DEP_1) | instskip(NEXT) | instid1(VALU_DEP_1)
	v_fmac_f32_e32 v114, v116, v113
	v_fma_f32 v105, -v105, v114, v115
	s_delay_alu instid0(VALU_DEP_1) | instskip(NEXT) | instid1(VALU_DEP_1)
	v_div_fmas_f32 v105, v105, v113, v114
	v_div_fixup_f32 v105, v105, v106, v107
	s_delay_alu instid0(VALU_DEP_1) | instskip(NEXT) | instid1(VALU_DEP_1)
	v_fmac_f32_e32 v106, v107, v105
	v_div_scale_f32 v107, null, v106, v106, 1.0
	s_delay_alu instid0(VALU_DEP_1) | instskip(SKIP_1) | instid1(TRANS32_DEP_1)
	v_rcp_f32_e32 v113, v107
	v_nop
	v_fma_f32 v114, -v107, v113, 1.0
	s_delay_alu instid0(VALU_DEP_1) | instskip(SKIP_1) | instid1(VALU_DEP_1)
	v_fmac_f32_e32 v113, v114, v113
	v_div_scale_f32 v114, vcc_lo, 1.0, v106, 1.0
	v_mul_f32_e32 v115, v114, v113
	s_delay_alu instid0(VALU_DEP_1) | instskip(NEXT) | instid1(VALU_DEP_1)
	v_fma_f32 v116, -v107, v115, v114
	v_fmac_f32_e32 v115, v116, v113
	s_delay_alu instid0(VALU_DEP_1) | instskip(NEXT) | instid1(VALU_DEP_1)
	v_fma_f32 v107, -v107, v115, v114
	v_div_fmas_f32 v107, v107, v113, v115
	s_delay_alu instid0(VALU_DEP_1) | instskip(NEXT) | instid1(VALU_DEP_1)
	v_div_fixup_f32 v106, v107, v106, 1.0
	v_mul_f32_e64 v107, v105, -v106
.LBB96_450:
	s_or_b32 exec_lo, exec_lo, s1
.LBB96_451:
	s_delay_alu instid0(SALU_CYCLE_1) | instskip(NEXT) | instid1(SALU_CYCLE_1)
	s_or_b32 exec_lo, exec_lo, s0
	s_mov_b32 s0, exec_lo
	v_cmpx_ne_u32_e64 v112, v104
	s_xor_b32 s0, exec_lo, s0
	s_cbranch_execz .LBB96_457
; %bb.452:
	s_mov_b32 s1, exec_lo
	v_cmpx_eq_u32_e32 21, v112
	s_cbranch_execz .LBB96_456
; %bb.453:
	v_cmp_ne_u32_e32 vcc_lo, 21, v104
	s_xor_b32 s12, s16, -1
	s_delay_alu instid0(SALU_CYCLE_1) | instskip(NEXT) | instid1(SALU_CYCLE_1)
	s_and_b32 s13, s12, vcc_lo
	s_and_saveexec_b32 s12, s13
	s_cbranch_execz .LBB96_455
; %bb.454:
	v_ashrrev_i32_e32 v105, 31, v104
	s_delay_alu instid0(VALU_DEP_1)
	v_lshl_add_u64 v[112:113], v[104:105], 2, v[4:5]
	s_clause 0x1
	global_load_b32 v105, v[112:113], off
	global_load_b32 v111, v[4:5], off offset:84
	s_wait_loadcnt 0x1
	global_store_b32 v[4:5], v105, off offset:84
	s_wait_loadcnt 0x0
	global_store_b32 v[112:113], v111, off
.LBB96_455:
	s_wait_xcnt 0x0
	s_or_b32 exec_lo, exec_lo, s12
	v_dual_mov_b32 v112, v104 :: v_dual_mov_b32 v111, v104
.LBB96_456:
	s_or_b32 exec_lo, exec_lo, s1
.LBB96_457:
	s_and_not1_saveexec_b32 s0, s0
	s_cbranch_execz .LBB96_459
; %bb.458:
	v_dual_mov_b32 v104, v72 :: v_dual_mov_b32 v105, v73
	v_dual_mov_b32 v112, v68 :: v_dual_mov_b32 v113, v69
	ds_store_2addr_b64 v108, v[104:105], v[112:113] offset0:22 offset1:23
	v_dual_mov_b32 v104, v56 :: v_dual_mov_b32 v105, v57
	v_dual_mov_b32 v112, v48 :: v_dual_mov_b32 v113, v49
	ds_store_2addr_b64 v108, v[104:105], v[112:113] offset0:24 offset1:25
	;; [unrolled: 3-line block ×13, first 2 shown]
	ds_store_b64 v108, v[102:103] offset:384
	v_mov_b32_e32 v112, 21
.LBB96_459:
	s_or_b32 exec_lo, exec_lo, s0
	s_delay_alu instid0(SALU_CYCLE_1)
	s_mov_b32 s0, exec_lo
	s_wait_storecnt_dscnt 0x0
	s_barrier_signal -1
	s_barrier_wait -1
	v_cmpx_lt_i32_e32 21, v112
	s_cbranch_execz .LBB96_461
; %bb.460:
	v_pk_mul_f32 v[114:115], v[106:107], v[70:71] op_sel:[1,1] op_sel_hi:[0,1]
	s_delay_alu instid0(VALU_DEP_1)
	v_pk_fma_f32 v[104:105], v[106:107], v[70:71], v[114:115] op_sel_hi:[1,0,1] neg_lo:[0,0,1] neg_hi:[0,0,1]
	v_pk_fma_f32 v[106:107], v[106:107], v[70:71], v[114:115] op_sel_hi:[1,0,1]
	ds_load_2addr_b64 v[114:117], v108 offset0:22 offset1:23
	v_dual_mov_b32 v70, v104 :: v_dual_mov_b32 v71, v107
	s_wait_dscnt 0x0
	v_pk_mul_f32 v[118:119], v[114:115], v[106:107] op_sel:[0,1]
	s_delay_alu instid0(VALU_DEP_1) | instskip(SKIP_1) | instid1(VALU_DEP_1)
	v_pk_fma_f32 v[120:121], v[114:115], v[104:105], v[118:119] op_sel:[0,0,1] op_sel_hi:[1,1,0] neg_lo:[0,0,1] neg_hi:[0,0,1]
	v_pk_fma_f32 v[114:115], v[114:115], v[104:105], v[118:119] op_sel:[0,0,1] op_sel_hi:[1,0,0]
	v_mov_b32_e32 v121, v115
	v_pk_mul_f32 v[114:115], v[116:117], v[106:107] op_sel:[0,1]
	s_delay_alu instid0(VALU_DEP_1) | instskip(SKIP_1) | instid1(VALU_DEP_1)
	v_pk_fma_f32 v[118:119], v[116:117], v[104:105], v[114:115] op_sel:[0,0,1] op_sel_hi:[1,1,0] neg_lo:[0,0,1] neg_hi:[0,0,1]
	v_pk_fma_f32 v[114:115], v[116:117], v[104:105], v[114:115] op_sel:[0,0,1] op_sel_hi:[1,0,0]
	v_mov_b32_e32 v119, v115
	ds_load_2addr_b64 v[114:117], v108 offset0:24 offset1:25
	v_pk_add_f32 v[72:73], v[72:73], v[120:121] neg_lo:[0,1] neg_hi:[0,1]
	v_pk_add_f32 v[68:69], v[68:69], v[118:119] neg_lo:[0,1] neg_hi:[0,1]
	s_wait_dscnt 0x0
	v_pk_mul_f32 v[118:119], v[114:115], v[106:107] op_sel:[0,1]
	s_delay_alu instid0(VALU_DEP_1) | instskip(SKIP_2) | instid1(VALU_DEP_2)
	v_pk_fma_f32 v[120:121], v[114:115], v[104:105], v[118:119] op_sel:[0,0,1] op_sel_hi:[1,1,0] neg_lo:[0,0,1] neg_hi:[0,0,1]
	v_pk_fma_f32 v[114:115], v[114:115], v[104:105], v[118:119] op_sel:[0,0,1] op_sel_hi:[1,0,0]
	v_dual_mul_f32 v118, v117, v107 :: v_dual_mov_b32 v114, v117
	v_dual_mov_b32 v121, v115 :: v_dual_mov_b32 v115, v116
	s_delay_alu instid0(VALU_DEP_2) | instskip(SKIP_1) | instid1(VALU_DEP_3)
	v_pk_fma_f32 v[118:119], v[116:117], v[70:71], v[118:119] op_sel_hi:[1,1,0] neg_lo:[0,0,1] neg_hi:[0,0,1]
	v_mul_f32_e32 v116, v117, v104
	v_pk_add_f32 v[56:57], v[56:57], v[120:121] neg_lo:[0,1] neg_hi:[0,1]
	s_delay_alu instid0(VALU_DEP_2) | instskip(NEXT) | instid1(VALU_DEP_1)
	v_pk_fma_f32 v[114:115], v[114:115], v[70:71], v[116:117] op_sel_hi:[1,1,0]
	v_mov_b32_e32 v119, v115
	ds_load_2addr_b64 v[114:117], v108 offset0:26 offset1:27
	v_pk_add_f32 v[48:49], v[48:49], v[118:119] neg_lo:[0,1] neg_hi:[0,1]
	s_wait_dscnt 0x0
	v_pk_mul_f32 v[118:119], v[114:115], v[106:107] op_sel:[0,1]
	s_delay_alu instid0(VALU_DEP_1) | instskip(SKIP_1) | instid1(VALU_DEP_1)
	v_pk_fma_f32 v[120:121], v[114:115], v[104:105], v[118:119] op_sel:[0,0,1] op_sel_hi:[1,1,0] neg_lo:[0,0,1] neg_hi:[0,0,1]
	v_pk_fma_f32 v[114:115], v[114:115], v[104:105], v[118:119] op_sel:[0,0,1] op_sel_hi:[1,0,0]
	v_mov_b32_e32 v121, v115
	v_pk_mul_f32 v[114:115], v[116:117], v[106:107] op_sel:[0,1]
	s_delay_alu instid0(VALU_DEP_1) | instskip(SKIP_1) | instid1(VALU_DEP_1)
	v_pk_fma_f32 v[118:119], v[116:117], v[104:105], v[114:115] op_sel:[0,0,1] op_sel_hi:[1,1,0] neg_lo:[0,0,1] neg_hi:[0,0,1]
	v_pk_fma_f32 v[114:115], v[116:117], v[104:105], v[114:115] op_sel:[0,0,1] op_sel_hi:[1,0,0]
	v_mov_b32_e32 v119, v115
	ds_load_2addr_b64 v[114:117], v108 offset0:28 offset1:29
	v_pk_add_f32 v[54:55], v[54:55], v[120:121] neg_lo:[0,1] neg_hi:[0,1]
	v_pk_add_f32 v[46:47], v[46:47], v[118:119] neg_lo:[0,1] neg_hi:[0,1]
	s_wait_dscnt 0x0
	v_pk_mul_f32 v[118:119], v[114:115], v[106:107] op_sel:[0,1]
	s_delay_alu instid0(VALU_DEP_1) | instskip(SKIP_1) | instid1(VALU_DEP_1)
	v_pk_fma_f32 v[120:121], v[114:115], v[104:105], v[118:119] op_sel:[0,0,1] op_sel_hi:[1,1,0] neg_lo:[0,0,1] neg_hi:[0,0,1]
	v_pk_fma_f32 v[114:115], v[114:115], v[104:105], v[118:119] op_sel:[0,0,1] op_sel_hi:[1,0,0]
	v_mov_b32_e32 v121, v115
	v_pk_mul_f32 v[114:115], v[116:117], v[106:107] op_sel:[0,1]
	s_delay_alu instid0(VALU_DEP_1) | instskip(SKIP_1) | instid1(VALU_DEP_1)
	v_pk_fma_f32 v[118:119], v[116:117], v[104:105], v[114:115] op_sel:[0,0,1] op_sel_hi:[1,1,0] neg_lo:[0,0,1] neg_hi:[0,0,1]
	v_pk_fma_f32 v[114:115], v[116:117], v[104:105], v[114:115] op_sel:[0,0,1] op_sel_hi:[1,0,0]
	v_mov_b32_e32 v119, v115
	ds_load_2addr_b64 v[114:117], v108 offset0:30 offset1:31
	v_pk_add_f32 v[44:45], v[44:45], v[120:121] neg_lo:[0,1] neg_hi:[0,1]
	v_pk_add_f32 v[40:41], v[40:41], v[118:119] neg_lo:[0,1] neg_hi:[0,1]
	s_wait_dscnt 0x0
	v_dual_mul_f32 v118, v115, v107 :: v_dual_mul_f32 v120, v115, v104
	s_delay_alu instid0(VALU_DEP_1) | instskip(NEXT) | instid1(VALU_DEP_2)
	v_pk_fma_f32 v[118:119], v[114:115], v[70:71], v[118:119] op_sel_hi:[1,1,0] neg_lo:[0,0,1] neg_hi:[0,0,1]
	v_pk_fma_f32 v[114:115], v[114:115], v[70:71], v[120:121] op_sel:[1,0,0] op_sel_hi:[0,1,0]
	s_delay_alu instid0(VALU_DEP_1) | instskip(SKIP_1) | instid1(VALU_DEP_2)
	v_mov_b32_e32 v119, v115
	v_pk_mul_f32 v[114:115], v[116:117], v[106:107] op_sel:[0,1]
	v_pk_add_f32 v[42:43], v[42:43], v[118:119] neg_lo:[0,1] neg_hi:[0,1]
	s_delay_alu instid0(VALU_DEP_2) | instskip(SKIP_1) | instid1(VALU_DEP_1)
	v_pk_fma_f32 v[118:119], v[116:117], v[104:105], v[114:115] op_sel:[0,0,1] op_sel_hi:[1,1,0] neg_lo:[0,0,1] neg_hi:[0,0,1]
	v_pk_fma_f32 v[114:115], v[116:117], v[104:105], v[114:115] op_sel:[0,0,1] op_sel_hi:[1,0,0]
	v_mov_b32_e32 v119, v115
	ds_load_2addr_b64 v[114:117], v108 offset0:32 offset1:33
	v_pk_add_f32 v[38:39], v[38:39], v[118:119] neg_lo:[0,1] neg_hi:[0,1]
	s_wait_dscnt 0x0
	v_pk_mul_f32 v[118:119], v[114:115], v[106:107] op_sel:[0,1]
	s_delay_alu instid0(VALU_DEP_1) | instskip(SKIP_1) | instid1(VALU_DEP_1)
	v_pk_fma_f32 v[120:121], v[114:115], v[104:105], v[118:119] op_sel:[0,0,1] op_sel_hi:[1,1,0] neg_lo:[0,0,1] neg_hi:[0,0,1]
	v_pk_fma_f32 v[114:115], v[114:115], v[104:105], v[118:119] op_sel:[0,0,1] op_sel_hi:[1,0,0]
	v_mov_b32_e32 v121, v115
	v_pk_mul_f32 v[114:115], v[116:117], v[106:107] op_sel:[0,1]
	s_delay_alu instid0(VALU_DEP_2) | instskip(NEXT) | instid1(VALU_DEP_2)
	v_pk_add_f32 v[36:37], v[36:37], v[120:121] neg_lo:[0,1] neg_hi:[0,1]
	v_pk_fma_f32 v[118:119], v[116:117], v[104:105], v[114:115] op_sel:[0,0,1] op_sel_hi:[1,1,0] neg_lo:[0,0,1] neg_hi:[0,0,1]
	v_pk_fma_f32 v[114:115], v[116:117], v[104:105], v[114:115] op_sel:[0,0,1] op_sel_hi:[1,0,0]
	s_delay_alu instid0(VALU_DEP_1) | instskip(SKIP_4) | instid1(VALU_DEP_1)
	v_mov_b32_e32 v119, v115
	ds_load_2addr_b64 v[114:117], v108 offset0:34 offset1:35
	v_pk_add_f32 v[32:33], v[32:33], v[118:119] neg_lo:[0,1] neg_hi:[0,1]
	s_wait_dscnt 0x0
	v_pk_mul_f32 v[118:119], v[114:115], v[106:107] op_sel:[0,1]
	v_pk_fma_f32 v[120:121], v[114:115], v[104:105], v[118:119] op_sel:[0,0,1] op_sel_hi:[1,1,0] neg_lo:[0,0,1] neg_hi:[0,0,1]
	v_pk_fma_f32 v[114:115], v[114:115], v[104:105], v[118:119] op_sel:[0,0,1] op_sel_hi:[1,0,0]
	v_dual_mul_f32 v118, v117, v107 :: v_dual_mov_b32 v114, v117
	s_delay_alu instid0(VALU_DEP_2) | instskip(NEXT) | instid1(VALU_DEP_2)
	v_dual_mov_b32 v121, v115 :: v_dual_mov_b32 v115, v116
	v_pk_fma_f32 v[118:119], v[116:117], v[70:71], v[118:119] op_sel_hi:[1,1,0] neg_lo:[0,0,1] neg_hi:[0,0,1]
	v_mul_f32_e32 v116, v117, v104
	s_delay_alu instid0(VALU_DEP_3) | instskip(NEXT) | instid1(VALU_DEP_2)
	v_pk_add_f32 v[34:35], v[34:35], v[120:121] neg_lo:[0,1] neg_hi:[0,1]
	v_pk_fma_f32 v[114:115], v[114:115], v[70:71], v[116:117] op_sel_hi:[1,1,0]
	s_delay_alu instid0(VALU_DEP_1) | instskip(SKIP_4) | instid1(VALU_DEP_1)
	v_mov_b32_e32 v119, v115
	ds_load_2addr_b64 v[114:117], v108 offset0:36 offset1:37
	v_pk_add_f32 v[30:31], v[30:31], v[118:119] neg_lo:[0,1] neg_hi:[0,1]
	s_wait_dscnt 0x0
	v_pk_mul_f32 v[118:119], v[114:115], v[106:107] op_sel:[0,1]
	v_pk_fma_f32 v[120:121], v[114:115], v[104:105], v[118:119] op_sel:[0,0,1] op_sel_hi:[1,1,0] neg_lo:[0,0,1] neg_hi:[0,0,1]
	v_pk_fma_f32 v[114:115], v[114:115], v[104:105], v[118:119] op_sel:[0,0,1] op_sel_hi:[1,0,0]
	s_delay_alu instid0(VALU_DEP_1) | instskip(SKIP_1) | instid1(VALU_DEP_1)
	v_mov_b32_e32 v121, v115
	v_pk_mul_f32 v[114:115], v[116:117], v[106:107] op_sel:[0,1]
	v_pk_fma_f32 v[118:119], v[116:117], v[104:105], v[114:115] op_sel:[0,0,1] op_sel_hi:[1,1,0] neg_lo:[0,0,1] neg_hi:[0,0,1]
	v_pk_fma_f32 v[114:115], v[116:117], v[104:105], v[114:115] op_sel:[0,0,1] op_sel_hi:[1,0,0]
	s_delay_alu instid0(VALU_DEP_1)
	v_mov_b32_e32 v119, v115
	ds_load_2addr_b64 v[114:117], v108 offset0:38 offset1:39
	v_pk_add_f32 v[26:27], v[26:27], v[120:121] neg_lo:[0,1] neg_hi:[0,1]
	v_pk_add_f32 v[22:23], v[22:23], v[118:119] neg_lo:[0,1] neg_hi:[0,1]
	s_wait_dscnt 0x0
	v_pk_mul_f32 v[118:119], v[114:115], v[106:107] op_sel:[0,1]
	s_delay_alu instid0(VALU_DEP_1) | instskip(SKIP_1) | instid1(VALU_DEP_1)
	v_pk_fma_f32 v[120:121], v[114:115], v[104:105], v[118:119] op_sel:[0,0,1] op_sel_hi:[1,1,0] neg_lo:[0,0,1] neg_hi:[0,0,1]
	v_pk_fma_f32 v[114:115], v[114:115], v[104:105], v[118:119] op_sel:[0,0,1] op_sel_hi:[1,0,0]
	v_mov_b32_e32 v121, v115
	v_pk_mul_f32 v[114:115], v[116:117], v[106:107] op_sel:[0,1]
	s_delay_alu instid0(VALU_DEP_1) | instskip(SKIP_1) | instid1(VALU_DEP_1)
	v_pk_fma_f32 v[118:119], v[116:117], v[104:105], v[114:115] op_sel:[0,0,1] op_sel_hi:[1,1,0] neg_lo:[0,0,1] neg_hi:[0,0,1]
	v_pk_fma_f32 v[114:115], v[116:117], v[104:105], v[114:115] op_sel:[0,0,1] op_sel_hi:[1,0,0]
	v_mov_b32_e32 v119, v115
	ds_load_2addr_b64 v[114:117], v108 offset0:40 offset1:41
	v_pk_add_f32 v[24:25], v[24:25], v[120:121] neg_lo:[0,1] neg_hi:[0,1]
	v_pk_add_f32 v[20:21], v[20:21], v[118:119] neg_lo:[0,1] neg_hi:[0,1]
	s_wait_dscnt 0x0
	v_dual_mul_f32 v118, v115, v107 :: v_dual_mul_f32 v120, v115, v104
	s_delay_alu instid0(VALU_DEP_1) | instskip(NEXT) | instid1(VALU_DEP_2)
	v_pk_fma_f32 v[118:119], v[114:115], v[70:71], v[118:119] op_sel_hi:[1,1,0] neg_lo:[0,0,1] neg_hi:[0,0,1]
	v_pk_fma_f32 v[114:115], v[114:115], v[70:71], v[120:121] op_sel:[1,0,0] op_sel_hi:[0,1,0]
	s_delay_alu instid0(VALU_DEP_1) | instskip(SKIP_1) | instid1(VALU_DEP_2)
	v_mov_b32_e32 v119, v115
	v_pk_mul_f32 v[114:115], v[116:117], v[106:107] op_sel:[0,1]
	v_pk_add_f32 v[14:15], v[14:15], v[118:119] neg_lo:[0,1] neg_hi:[0,1]
	s_delay_alu instid0(VALU_DEP_2) | instskip(SKIP_1) | instid1(VALU_DEP_1)
	v_pk_fma_f32 v[118:119], v[116:117], v[104:105], v[114:115] op_sel:[0,0,1] op_sel_hi:[1,1,0] neg_lo:[0,0,1] neg_hi:[0,0,1]
	v_pk_fma_f32 v[114:115], v[116:117], v[104:105], v[114:115] op_sel:[0,0,1] op_sel_hi:[1,0,0]
	v_mov_b32_e32 v119, v115
	ds_load_2addr_b64 v[114:117], v108 offset0:42 offset1:43
	v_pk_add_f32 v[10:11], v[10:11], v[118:119] neg_lo:[0,1] neg_hi:[0,1]
	s_wait_dscnt 0x0
	v_pk_mul_f32 v[118:119], v[114:115], v[106:107] op_sel:[0,1]
	s_delay_alu instid0(VALU_DEP_1) | instskip(SKIP_1) | instid1(VALU_DEP_1)
	v_pk_fma_f32 v[120:121], v[114:115], v[104:105], v[118:119] op_sel:[0,0,1] op_sel_hi:[1,1,0] neg_lo:[0,0,1] neg_hi:[0,0,1]
	v_pk_fma_f32 v[114:115], v[114:115], v[104:105], v[118:119] op_sel:[0,0,1] op_sel_hi:[1,0,0]
	v_mov_b32_e32 v121, v115
	v_pk_mul_f32 v[114:115], v[116:117], v[106:107] op_sel:[0,1]
	s_delay_alu instid0(VALU_DEP_2) | instskip(NEXT) | instid1(VALU_DEP_2)
	v_pk_add_f32 v[12:13], v[12:13], v[120:121] neg_lo:[0,1] neg_hi:[0,1]
	v_pk_fma_f32 v[118:119], v[116:117], v[104:105], v[114:115] op_sel:[0,0,1] op_sel_hi:[1,1,0] neg_lo:[0,0,1] neg_hi:[0,0,1]
	v_pk_fma_f32 v[114:115], v[116:117], v[104:105], v[114:115] op_sel:[0,0,1] op_sel_hi:[1,0,0]
	s_delay_alu instid0(VALU_DEP_1) | instskip(SKIP_4) | instid1(VALU_DEP_1)
	v_mov_b32_e32 v119, v115
	ds_load_2addr_b64 v[114:117], v108 offset0:44 offset1:45
	v_pk_add_f32 v[8:9], v[8:9], v[118:119] neg_lo:[0,1] neg_hi:[0,1]
	s_wait_dscnt 0x0
	v_pk_mul_f32 v[118:119], v[114:115], v[106:107] op_sel:[0,1]
	v_pk_fma_f32 v[120:121], v[114:115], v[104:105], v[118:119] op_sel:[0,0,1] op_sel_hi:[1,1,0] neg_lo:[0,0,1] neg_hi:[0,0,1]
	v_pk_fma_f32 v[114:115], v[114:115], v[104:105], v[118:119] op_sel:[0,0,1] op_sel_hi:[1,0,0]
	v_dual_mul_f32 v118, v117, v107 :: v_dual_mov_b32 v114, v117
	s_delay_alu instid0(VALU_DEP_2) | instskip(NEXT) | instid1(VALU_DEP_2)
	v_dual_mov_b32 v121, v115 :: v_dual_mov_b32 v115, v116
	v_pk_fma_f32 v[118:119], v[116:117], v[70:71], v[118:119] op_sel_hi:[1,1,0] neg_lo:[0,0,1] neg_hi:[0,0,1]
	v_mul_f32_e32 v116, v117, v104
	s_delay_alu instid0(VALU_DEP_3) | instskip(NEXT) | instid1(VALU_DEP_2)
	v_pk_add_f32 v[6:7], v[6:7], v[120:121] neg_lo:[0,1] neg_hi:[0,1]
	v_pk_fma_f32 v[114:115], v[114:115], v[70:71], v[116:117] op_sel_hi:[1,1,0]
	s_delay_alu instid0(VALU_DEP_1) | instskip(SKIP_4) | instid1(VALU_DEP_1)
	v_mov_b32_e32 v119, v115
	ds_load_2addr_b64 v[114:117], v108 offset0:46 offset1:47
	v_pk_add_f32 v[28:29], v[28:29], v[118:119] neg_lo:[0,1] neg_hi:[0,1]
	s_wait_dscnt 0x0
	v_pk_mul_f32 v[118:119], v[114:115], v[106:107] op_sel:[0,1]
	v_pk_fma_f32 v[120:121], v[114:115], v[104:105], v[118:119] op_sel:[0,0,1] op_sel_hi:[1,1,0] neg_lo:[0,0,1] neg_hi:[0,0,1]
	v_pk_fma_f32 v[114:115], v[114:115], v[104:105], v[118:119] op_sel:[0,0,1] op_sel_hi:[1,0,0]
	s_delay_alu instid0(VALU_DEP_1) | instskip(SKIP_1) | instid1(VALU_DEP_1)
	v_mov_b32_e32 v121, v115
	v_pk_mul_f32 v[114:115], v[116:117], v[106:107] op_sel:[0,1]
	v_pk_fma_f32 v[118:119], v[116:117], v[104:105], v[114:115] op_sel:[0,0,1] op_sel_hi:[1,1,0] neg_lo:[0,0,1] neg_hi:[0,0,1]
	v_pk_fma_f32 v[114:115], v[116:117], v[104:105], v[114:115] op_sel:[0,0,1] op_sel_hi:[1,0,0]
	s_delay_alu instid0(VALU_DEP_1)
	v_mov_b32_e32 v119, v115
	ds_load_b64 v[114:115], v108 offset:384
	v_pk_add_f32 v[18:19], v[18:19], v[120:121] neg_lo:[0,1] neg_hi:[0,1]
	v_pk_add_f32 v[16:17], v[16:17], v[118:119] neg_lo:[0,1] neg_hi:[0,1]
	s_wait_dscnt 0x0
	v_pk_mul_f32 v[106:107], v[114:115], v[106:107] op_sel:[0,1]
	s_delay_alu instid0(VALU_DEP_1) | instskip(SKIP_1) | instid1(VALU_DEP_1)
	v_pk_fma_f32 v[116:117], v[114:115], v[104:105], v[106:107] op_sel:[0,0,1] op_sel_hi:[1,1,0] neg_lo:[0,0,1] neg_hi:[0,0,1]
	v_pk_fma_f32 v[104:105], v[114:115], v[104:105], v[106:107] op_sel:[0,0,1] op_sel_hi:[1,0,0]
	v_mov_b32_e32 v117, v105
	s_delay_alu instid0(VALU_DEP_1)
	v_pk_add_f32 v[102:103], v[102:103], v[116:117] neg_lo:[0,1] neg_hi:[0,1]
.LBB96_461:
	s_or_b32 exec_lo, exec_lo, s0
	v_lshl_add_u32 v104, v112, 3, v108
	s_barrier_signal -1
	s_barrier_wait -1
	ds_store_b64 v104, v[72:73]
	s_wait_dscnt 0x0
	s_barrier_signal -1
	s_barrier_wait -1
	ds_load_b64 v[106:107], v108 offset:176
	v_mov_b32_e32 v104, 22
	s_cmp_lt_i32 s18, 24
	s_cbranch_scc1 .LBB96_464
; %bb.462:
	v_add3_u32 v105, v109, 0, 0xb8
	v_mov_b32_e32 v104, 22
	s_mov_b32 s0, 23
.LBB96_463:                             ; =>This Inner Loop Header: Depth=1
	ds_load_b64 v[114:115], v105
	s_wait_dscnt 0x1
	v_cmp_gt_f32_e32 vcc_lo, 0, v106
	v_cndmask_b32_e64 v116, v106, -v106, vcc_lo
	v_cmp_gt_f32_e32 vcc_lo, 0, v107
	v_cndmask_b32_e64 v118, v107, -v107, vcc_lo
	s_wait_dscnt 0x0
	v_cmp_gt_f32_e32 vcc_lo, 0, v114
	v_cndmask_b32_e64 v117, v114, -v114, vcc_lo
	v_cmp_gt_f32_e32 vcc_lo, 0, v115
	v_cndmask_b32_e64 v119, v115, -v115, vcc_lo
	s_delay_alu instid0(VALU_DEP_1) | instskip(NEXT) | instid1(VALU_DEP_1)
	v_pk_add_f32 v[116:117], v[116:117], v[118:119]
	v_cmp_lt_f32_e32 vcc_lo, v116, v117
	v_dual_add_nc_u32 v105, 8, v105 :: v_dual_cndmask_b32 v107, v107, v115, vcc_lo
	v_cndmask_b32_e32 v106, v106, v114, vcc_lo
	v_cndmask_b32_e64 v104, v104, s0, vcc_lo
	s_add_co_i32 s0, s0, 1
	s_delay_alu instid0(SALU_CYCLE_1)
	s_cmp_lg_u32 s18, s0
	s_cbranch_scc1 .LBB96_463
.LBB96_464:
	s_wait_dscnt 0x0
	v_cmp_eq_f32_e32 vcc_lo, 0, v106
	v_cmp_eq_f32_e64 s0, 0, v107
	s_and_b32 s0, vcc_lo, s0
	s_delay_alu instid0(SALU_CYCLE_1) | instskip(NEXT) | instid1(SALU_CYCLE_1)
	s_and_saveexec_b32 s1, s0
	s_xor_b32 s0, exec_lo, s1
; %bb.465:
	v_cmp_ne_u32_e32 vcc_lo, 0, v110
	v_cndmask_b32_e32 v110, 23, v110, vcc_lo
; %bb.466:
	s_and_not1_saveexec_b32 s0, s0
	s_cbranch_execz .LBB96_472
; %bb.467:
	v_cmp_ngt_f32_e64 s1, |v106|, |v107|
	s_and_saveexec_b32 s12, s1
	s_delay_alu instid0(SALU_CYCLE_1)
	s_xor_b32 s1, exec_lo, s12
	s_cbranch_execz .LBB96_469
; %bb.468:
	v_div_scale_f32 v105, null, v107, v107, v106
	v_div_scale_f32 v115, vcc_lo, v106, v107, v106
	s_delay_alu instid0(VALU_DEP_2) | instskip(SKIP_1) | instid1(TRANS32_DEP_1)
	v_rcp_f32_e32 v113, v105
	v_nop
	v_fma_f32 v114, -v105, v113, 1.0
	s_delay_alu instid0(VALU_DEP_1) | instskip(NEXT) | instid1(VALU_DEP_1)
	v_fmac_f32_e32 v113, v114, v113
	v_mul_f32_e32 v114, v115, v113
	s_delay_alu instid0(VALU_DEP_1) | instskip(NEXT) | instid1(VALU_DEP_1)
	v_fma_f32 v116, -v105, v114, v115
	v_fmac_f32_e32 v114, v116, v113
	s_delay_alu instid0(VALU_DEP_1) | instskip(NEXT) | instid1(VALU_DEP_1)
	v_fma_f32 v105, -v105, v114, v115
	v_div_fmas_f32 v105, v105, v113, v114
	s_delay_alu instid0(VALU_DEP_1) | instskip(NEXT) | instid1(VALU_DEP_1)
	v_div_fixup_f32 v105, v105, v107, v106
	v_fmac_f32_e32 v107, v106, v105
	s_delay_alu instid0(VALU_DEP_1) | instskip(SKIP_1) | instid1(VALU_DEP_2)
	v_div_scale_f32 v106, null, v107, v107, 1.0
	v_div_scale_f32 v115, vcc_lo, 1.0, v107, 1.0
	v_rcp_f32_e32 v113, v106
	v_nop
	s_delay_alu instid0(TRANS32_DEP_1) | instskip(NEXT) | instid1(VALU_DEP_1)
	v_fma_f32 v114, -v106, v113, 1.0
	v_fmac_f32_e32 v113, v114, v113
	s_delay_alu instid0(VALU_DEP_1) | instskip(NEXT) | instid1(VALU_DEP_1)
	v_mul_f32_e32 v114, v115, v113
	v_fma_f32 v116, -v106, v114, v115
	s_delay_alu instid0(VALU_DEP_1) | instskip(NEXT) | instid1(VALU_DEP_1)
	v_fmac_f32_e32 v114, v116, v113
	v_fma_f32 v106, -v106, v114, v115
	s_delay_alu instid0(VALU_DEP_1) | instskip(NEXT) | instid1(VALU_DEP_1)
	v_div_fmas_f32 v106, v106, v113, v114
	v_div_fixup_f32 v107, v106, v107, 1.0
	s_delay_alu instid0(VALU_DEP_1)
	v_mul_f32_e32 v106, v105, v107
	v_xor_b32_e32 v107, 0x80000000, v107
.LBB96_469:
	s_and_not1_saveexec_b32 s1, s1
	s_cbranch_execz .LBB96_471
; %bb.470:
	s_delay_alu instid0(VALU_DEP_1) | instskip(SKIP_1) | instid1(VALU_DEP_2)
	v_div_scale_f32 v105, null, v106, v106, v107
	v_div_scale_f32 v115, vcc_lo, v107, v106, v107
	v_rcp_f32_e32 v113, v105
	v_nop
	s_delay_alu instid0(TRANS32_DEP_1) | instskip(NEXT) | instid1(VALU_DEP_1)
	v_fma_f32 v114, -v105, v113, 1.0
	v_fmac_f32_e32 v113, v114, v113
	s_delay_alu instid0(VALU_DEP_1) | instskip(NEXT) | instid1(VALU_DEP_1)
	v_mul_f32_e32 v114, v115, v113
	v_fma_f32 v116, -v105, v114, v115
	s_delay_alu instid0(VALU_DEP_1) | instskip(NEXT) | instid1(VALU_DEP_1)
	v_fmac_f32_e32 v114, v116, v113
	v_fma_f32 v105, -v105, v114, v115
	s_delay_alu instid0(VALU_DEP_1) | instskip(NEXT) | instid1(VALU_DEP_1)
	v_div_fmas_f32 v105, v105, v113, v114
	v_div_fixup_f32 v105, v105, v106, v107
	s_delay_alu instid0(VALU_DEP_1) | instskip(NEXT) | instid1(VALU_DEP_1)
	v_fmac_f32_e32 v106, v107, v105
	v_div_scale_f32 v107, null, v106, v106, 1.0
	s_delay_alu instid0(VALU_DEP_1) | instskip(SKIP_1) | instid1(TRANS32_DEP_1)
	v_rcp_f32_e32 v113, v107
	v_nop
	v_fma_f32 v114, -v107, v113, 1.0
	s_delay_alu instid0(VALU_DEP_1) | instskip(SKIP_1) | instid1(VALU_DEP_1)
	v_fmac_f32_e32 v113, v114, v113
	v_div_scale_f32 v114, vcc_lo, 1.0, v106, 1.0
	v_mul_f32_e32 v115, v114, v113
	s_delay_alu instid0(VALU_DEP_1) | instskip(NEXT) | instid1(VALU_DEP_1)
	v_fma_f32 v116, -v107, v115, v114
	v_fmac_f32_e32 v115, v116, v113
	s_delay_alu instid0(VALU_DEP_1) | instskip(NEXT) | instid1(VALU_DEP_1)
	v_fma_f32 v107, -v107, v115, v114
	v_div_fmas_f32 v107, v107, v113, v115
	s_delay_alu instid0(VALU_DEP_1) | instskip(NEXT) | instid1(VALU_DEP_1)
	v_div_fixup_f32 v106, v107, v106, 1.0
	v_mul_f32_e64 v107, v105, -v106
.LBB96_471:
	s_or_b32 exec_lo, exec_lo, s1
.LBB96_472:
	s_delay_alu instid0(SALU_CYCLE_1) | instskip(NEXT) | instid1(SALU_CYCLE_1)
	s_or_b32 exec_lo, exec_lo, s0
	s_mov_b32 s0, exec_lo
	v_cmpx_ne_u32_e64 v112, v104
	s_xor_b32 s0, exec_lo, s0
	s_cbranch_execz .LBB96_478
; %bb.473:
	s_mov_b32 s1, exec_lo
	v_cmpx_eq_u32_e32 22, v112
	s_cbranch_execz .LBB96_477
; %bb.474:
	v_cmp_ne_u32_e32 vcc_lo, 22, v104
	s_xor_b32 s12, s16, -1
	s_delay_alu instid0(SALU_CYCLE_1) | instskip(NEXT) | instid1(SALU_CYCLE_1)
	s_and_b32 s13, s12, vcc_lo
	s_and_saveexec_b32 s12, s13
	s_cbranch_execz .LBB96_476
; %bb.475:
	v_ashrrev_i32_e32 v105, 31, v104
	s_delay_alu instid0(VALU_DEP_1)
	v_lshl_add_u64 v[112:113], v[104:105], 2, v[4:5]
	s_clause 0x1
	global_load_b32 v105, v[112:113], off
	global_load_b32 v111, v[4:5], off offset:88
	s_wait_loadcnt 0x1
	global_store_b32 v[4:5], v105, off offset:88
	s_wait_loadcnt 0x0
	global_store_b32 v[112:113], v111, off
.LBB96_476:
	s_wait_xcnt 0x0
	s_or_b32 exec_lo, exec_lo, s12
	v_dual_mov_b32 v112, v104 :: v_dual_mov_b32 v111, v104
.LBB96_477:
	s_or_b32 exec_lo, exec_lo, s1
.LBB96_478:
	s_and_not1_saveexec_b32 s0, s0
	s_cbranch_execz .LBB96_480
; %bb.479:
	v_mov_b32_e32 v112, 22
	ds_store_2addr_b64 v108, v[68:69], v[56:57] offset0:23 offset1:24
	ds_store_2addr_b64 v108, v[48:49], v[54:55] offset0:25 offset1:26
	;; [unrolled: 1-line block ×13, first 2 shown]
.LBB96_480:
	s_or_b32 exec_lo, exec_lo, s0
	s_delay_alu instid0(SALU_CYCLE_1)
	s_mov_b32 s0, exec_lo
	s_wait_storecnt_dscnt 0x0
	s_barrier_signal -1
	s_barrier_wait -1
	v_cmpx_lt_i32_e32 22, v112
	s_cbranch_execz .LBB96_482
; %bb.481:
	v_pk_mul_f32 v[114:115], v[106:107], v[72:73] op_sel:[1,1] op_sel_hi:[0,1]
	s_delay_alu instid0(VALU_DEP_1)
	v_pk_fma_f32 v[104:105], v[106:107], v[72:73], v[114:115] op_sel_hi:[1,0,1] neg_lo:[0,0,1] neg_hi:[0,0,1]
	v_pk_fma_f32 v[106:107], v[106:107], v[72:73], v[114:115] op_sel_hi:[1,0,1]
	ds_load_2addr_b64 v[114:117], v108 offset0:23 offset1:24
	v_dual_mov_b32 v72, v104 :: v_dual_mov_b32 v73, v107
	s_wait_dscnt 0x0
	v_pk_mul_f32 v[118:119], v[114:115], v[106:107] op_sel:[0,1]
	s_delay_alu instid0(VALU_DEP_1) | instskip(SKIP_1) | instid1(VALU_DEP_1)
	v_pk_fma_f32 v[120:121], v[114:115], v[104:105], v[118:119] op_sel:[0,0,1] op_sel_hi:[1,1,0] neg_lo:[0,0,1] neg_hi:[0,0,1]
	v_pk_fma_f32 v[114:115], v[114:115], v[104:105], v[118:119] op_sel:[0,0,1] op_sel_hi:[1,0,0]
	v_mov_b32_e32 v121, v115
	v_pk_mul_f32 v[114:115], v[116:117], v[106:107] op_sel:[0,1]
	s_delay_alu instid0(VALU_DEP_1) | instskip(SKIP_1) | instid1(VALU_DEP_1)
	v_pk_fma_f32 v[118:119], v[116:117], v[104:105], v[114:115] op_sel:[0,0,1] op_sel_hi:[1,1,0] neg_lo:[0,0,1] neg_hi:[0,0,1]
	v_pk_fma_f32 v[114:115], v[116:117], v[104:105], v[114:115] op_sel:[0,0,1] op_sel_hi:[1,0,0]
	v_mov_b32_e32 v119, v115
	ds_load_2addr_b64 v[114:117], v108 offset0:25 offset1:26
	v_pk_add_f32 v[68:69], v[68:69], v[120:121] neg_lo:[0,1] neg_hi:[0,1]
	v_pk_add_f32 v[56:57], v[56:57], v[118:119] neg_lo:[0,1] neg_hi:[0,1]
	s_wait_dscnt 0x0
	v_pk_mul_f32 v[118:119], v[114:115], v[106:107] op_sel:[0,1]
	s_delay_alu instid0(VALU_DEP_1) | instskip(SKIP_2) | instid1(VALU_DEP_2)
	v_pk_fma_f32 v[120:121], v[114:115], v[104:105], v[118:119] op_sel:[0,0,1] op_sel_hi:[1,1,0] neg_lo:[0,0,1] neg_hi:[0,0,1]
	v_pk_fma_f32 v[114:115], v[114:115], v[104:105], v[118:119] op_sel:[0,0,1] op_sel_hi:[1,0,0]
	v_dual_mul_f32 v118, v117, v107 :: v_dual_mov_b32 v114, v117
	v_dual_mov_b32 v121, v115 :: v_dual_mov_b32 v115, v116
	s_delay_alu instid0(VALU_DEP_2) | instskip(SKIP_1) | instid1(VALU_DEP_3)
	v_pk_fma_f32 v[118:119], v[116:117], v[72:73], v[118:119] op_sel_hi:[1,1,0] neg_lo:[0,0,1] neg_hi:[0,0,1]
	v_mul_f32_e32 v116, v117, v104
	v_pk_add_f32 v[48:49], v[48:49], v[120:121] neg_lo:[0,1] neg_hi:[0,1]
	s_delay_alu instid0(VALU_DEP_2) | instskip(NEXT) | instid1(VALU_DEP_1)
	v_pk_fma_f32 v[114:115], v[114:115], v[72:73], v[116:117] op_sel_hi:[1,1,0]
	v_mov_b32_e32 v119, v115
	ds_load_2addr_b64 v[114:117], v108 offset0:27 offset1:28
	v_pk_add_f32 v[54:55], v[54:55], v[118:119] neg_lo:[0,1] neg_hi:[0,1]
	s_wait_dscnt 0x0
	v_pk_mul_f32 v[118:119], v[114:115], v[106:107] op_sel:[0,1]
	s_delay_alu instid0(VALU_DEP_1) | instskip(SKIP_1) | instid1(VALU_DEP_1)
	v_pk_fma_f32 v[120:121], v[114:115], v[104:105], v[118:119] op_sel:[0,0,1] op_sel_hi:[1,1,0] neg_lo:[0,0,1] neg_hi:[0,0,1]
	v_pk_fma_f32 v[114:115], v[114:115], v[104:105], v[118:119] op_sel:[0,0,1] op_sel_hi:[1,0,0]
	v_mov_b32_e32 v121, v115
	v_pk_mul_f32 v[114:115], v[116:117], v[106:107] op_sel:[0,1]
	s_delay_alu instid0(VALU_DEP_1) | instskip(SKIP_1) | instid1(VALU_DEP_1)
	v_pk_fma_f32 v[118:119], v[116:117], v[104:105], v[114:115] op_sel:[0,0,1] op_sel_hi:[1,1,0] neg_lo:[0,0,1] neg_hi:[0,0,1]
	v_pk_fma_f32 v[114:115], v[116:117], v[104:105], v[114:115] op_sel:[0,0,1] op_sel_hi:[1,0,0]
	v_mov_b32_e32 v119, v115
	ds_load_2addr_b64 v[114:117], v108 offset0:29 offset1:30
	v_pk_add_f32 v[46:47], v[46:47], v[120:121] neg_lo:[0,1] neg_hi:[0,1]
	v_pk_add_f32 v[44:45], v[44:45], v[118:119] neg_lo:[0,1] neg_hi:[0,1]
	s_wait_dscnt 0x0
	v_pk_mul_f32 v[118:119], v[114:115], v[106:107] op_sel:[0,1]
	s_delay_alu instid0(VALU_DEP_1) | instskip(SKIP_1) | instid1(VALU_DEP_1)
	v_pk_fma_f32 v[120:121], v[114:115], v[104:105], v[118:119] op_sel:[0,0,1] op_sel_hi:[1,1,0] neg_lo:[0,0,1] neg_hi:[0,0,1]
	v_pk_fma_f32 v[114:115], v[114:115], v[104:105], v[118:119] op_sel:[0,0,1] op_sel_hi:[1,0,0]
	v_mov_b32_e32 v121, v115
	v_pk_mul_f32 v[114:115], v[116:117], v[106:107] op_sel:[0,1]
	s_delay_alu instid0(VALU_DEP_1) | instskip(SKIP_1) | instid1(VALU_DEP_1)
	v_pk_fma_f32 v[118:119], v[116:117], v[104:105], v[114:115] op_sel:[0,0,1] op_sel_hi:[1,1,0] neg_lo:[0,0,1] neg_hi:[0,0,1]
	v_pk_fma_f32 v[114:115], v[116:117], v[104:105], v[114:115] op_sel:[0,0,1] op_sel_hi:[1,0,0]
	v_mov_b32_e32 v119, v115
	ds_load_2addr_b64 v[114:117], v108 offset0:31 offset1:32
	v_pk_add_f32 v[40:41], v[40:41], v[120:121] neg_lo:[0,1] neg_hi:[0,1]
	v_pk_add_f32 v[42:43], v[42:43], v[118:119] neg_lo:[0,1] neg_hi:[0,1]
	s_wait_dscnt 0x0
	v_dual_mul_f32 v118, v115, v107 :: v_dual_mul_f32 v120, v115, v104
	s_delay_alu instid0(VALU_DEP_1) | instskip(NEXT) | instid1(VALU_DEP_2)
	v_pk_fma_f32 v[118:119], v[114:115], v[72:73], v[118:119] op_sel_hi:[1,1,0] neg_lo:[0,0,1] neg_hi:[0,0,1]
	v_pk_fma_f32 v[114:115], v[114:115], v[72:73], v[120:121] op_sel:[1,0,0] op_sel_hi:[0,1,0]
	s_delay_alu instid0(VALU_DEP_1) | instskip(SKIP_1) | instid1(VALU_DEP_2)
	v_mov_b32_e32 v119, v115
	v_pk_mul_f32 v[114:115], v[116:117], v[106:107] op_sel:[0,1]
	v_pk_add_f32 v[38:39], v[38:39], v[118:119] neg_lo:[0,1] neg_hi:[0,1]
	s_delay_alu instid0(VALU_DEP_2) | instskip(SKIP_1) | instid1(VALU_DEP_1)
	v_pk_fma_f32 v[118:119], v[116:117], v[104:105], v[114:115] op_sel:[0,0,1] op_sel_hi:[1,1,0] neg_lo:[0,0,1] neg_hi:[0,0,1]
	v_pk_fma_f32 v[114:115], v[116:117], v[104:105], v[114:115] op_sel:[0,0,1] op_sel_hi:[1,0,0]
	v_mov_b32_e32 v119, v115
	ds_load_2addr_b64 v[114:117], v108 offset0:33 offset1:34
	v_pk_add_f32 v[36:37], v[36:37], v[118:119] neg_lo:[0,1] neg_hi:[0,1]
	s_wait_dscnt 0x0
	v_pk_mul_f32 v[118:119], v[114:115], v[106:107] op_sel:[0,1]
	s_delay_alu instid0(VALU_DEP_1) | instskip(SKIP_1) | instid1(VALU_DEP_1)
	v_pk_fma_f32 v[120:121], v[114:115], v[104:105], v[118:119] op_sel:[0,0,1] op_sel_hi:[1,1,0] neg_lo:[0,0,1] neg_hi:[0,0,1]
	v_pk_fma_f32 v[114:115], v[114:115], v[104:105], v[118:119] op_sel:[0,0,1] op_sel_hi:[1,0,0]
	v_mov_b32_e32 v121, v115
	v_pk_mul_f32 v[114:115], v[116:117], v[106:107] op_sel:[0,1]
	s_delay_alu instid0(VALU_DEP_2) | instskip(NEXT) | instid1(VALU_DEP_2)
	v_pk_add_f32 v[32:33], v[32:33], v[120:121] neg_lo:[0,1] neg_hi:[0,1]
	v_pk_fma_f32 v[118:119], v[116:117], v[104:105], v[114:115] op_sel:[0,0,1] op_sel_hi:[1,1,0] neg_lo:[0,0,1] neg_hi:[0,0,1]
	v_pk_fma_f32 v[114:115], v[116:117], v[104:105], v[114:115] op_sel:[0,0,1] op_sel_hi:[1,0,0]
	s_delay_alu instid0(VALU_DEP_1) | instskip(SKIP_4) | instid1(VALU_DEP_1)
	v_mov_b32_e32 v119, v115
	ds_load_2addr_b64 v[114:117], v108 offset0:35 offset1:36
	v_pk_add_f32 v[34:35], v[34:35], v[118:119] neg_lo:[0,1] neg_hi:[0,1]
	s_wait_dscnt 0x0
	v_pk_mul_f32 v[118:119], v[114:115], v[106:107] op_sel:[0,1]
	v_pk_fma_f32 v[120:121], v[114:115], v[104:105], v[118:119] op_sel:[0,0,1] op_sel_hi:[1,1,0] neg_lo:[0,0,1] neg_hi:[0,0,1]
	v_pk_fma_f32 v[114:115], v[114:115], v[104:105], v[118:119] op_sel:[0,0,1] op_sel_hi:[1,0,0]
	v_dual_mul_f32 v118, v117, v107 :: v_dual_mov_b32 v114, v117
	s_delay_alu instid0(VALU_DEP_2) | instskip(NEXT) | instid1(VALU_DEP_2)
	v_dual_mov_b32 v121, v115 :: v_dual_mov_b32 v115, v116
	v_pk_fma_f32 v[118:119], v[116:117], v[72:73], v[118:119] op_sel_hi:[1,1,0] neg_lo:[0,0,1] neg_hi:[0,0,1]
	v_mul_f32_e32 v116, v117, v104
	s_delay_alu instid0(VALU_DEP_3) | instskip(NEXT) | instid1(VALU_DEP_2)
	v_pk_add_f32 v[30:31], v[30:31], v[120:121] neg_lo:[0,1] neg_hi:[0,1]
	v_pk_fma_f32 v[114:115], v[114:115], v[72:73], v[116:117] op_sel_hi:[1,1,0]
	s_delay_alu instid0(VALU_DEP_1) | instskip(SKIP_4) | instid1(VALU_DEP_1)
	v_mov_b32_e32 v119, v115
	ds_load_2addr_b64 v[114:117], v108 offset0:37 offset1:38
	v_pk_add_f32 v[26:27], v[26:27], v[118:119] neg_lo:[0,1] neg_hi:[0,1]
	s_wait_dscnt 0x0
	v_pk_mul_f32 v[118:119], v[114:115], v[106:107] op_sel:[0,1]
	v_pk_fma_f32 v[120:121], v[114:115], v[104:105], v[118:119] op_sel:[0,0,1] op_sel_hi:[1,1,0] neg_lo:[0,0,1] neg_hi:[0,0,1]
	v_pk_fma_f32 v[114:115], v[114:115], v[104:105], v[118:119] op_sel:[0,0,1] op_sel_hi:[1,0,0]
	s_delay_alu instid0(VALU_DEP_1) | instskip(SKIP_1) | instid1(VALU_DEP_1)
	v_mov_b32_e32 v121, v115
	v_pk_mul_f32 v[114:115], v[116:117], v[106:107] op_sel:[0,1]
	v_pk_fma_f32 v[118:119], v[116:117], v[104:105], v[114:115] op_sel:[0,0,1] op_sel_hi:[1,1,0] neg_lo:[0,0,1] neg_hi:[0,0,1]
	v_pk_fma_f32 v[114:115], v[116:117], v[104:105], v[114:115] op_sel:[0,0,1] op_sel_hi:[1,0,0]
	s_delay_alu instid0(VALU_DEP_1)
	v_mov_b32_e32 v119, v115
	ds_load_2addr_b64 v[114:117], v108 offset0:39 offset1:40
	v_pk_add_f32 v[22:23], v[22:23], v[120:121] neg_lo:[0,1] neg_hi:[0,1]
	v_pk_add_f32 v[24:25], v[24:25], v[118:119] neg_lo:[0,1] neg_hi:[0,1]
	s_wait_dscnt 0x0
	v_pk_mul_f32 v[118:119], v[114:115], v[106:107] op_sel:[0,1]
	s_delay_alu instid0(VALU_DEP_1) | instskip(SKIP_1) | instid1(VALU_DEP_1)
	v_pk_fma_f32 v[120:121], v[114:115], v[104:105], v[118:119] op_sel:[0,0,1] op_sel_hi:[1,1,0] neg_lo:[0,0,1] neg_hi:[0,0,1]
	v_pk_fma_f32 v[114:115], v[114:115], v[104:105], v[118:119] op_sel:[0,0,1] op_sel_hi:[1,0,0]
	v_mov_b32_e32 v121, v115
	v_pk_mul_f32 v[114:115], v[116:117], v[106:107] op_sel:[0,1]
	s_delay_alu instid0(VALU_DEP_1) | instskip(SKIP_1) | instid1(VALU_DEP_1)
	v_pk_fma_f32 v[118:119], v[116:117], v[104:105], v[114:115] op_sel:[0,0,1] op_sel_hi:[1,1,0] neg_lo:[0,0,1] neg_hi:[0,0,1]
	v_pk_fma_f32 v[114:115], v[116:117], v[104:105], v[114:115] op_sel:[0,0,1] op_sel_hi:[1,0,0]
	v_mov_b32_e32 v119, v115
	ds_load_2addr_b64 v[114:117], v108 offset0:41 offset1:42
	v_pk_add_f32 v[20:21], v[20:21], v[120:121] neg_lo:[0,1] neg_hi:[0,1]
	v_pk_add_f32 v[14:15], v[14:15], v[118:119] neg_lo:[0,1] neg_hi:[0,1]
	s_wait_dscnt 0x0
	v_dual_mul_f32 v118, v115, v107 :: v_dual_mul_f32 v120, v115, v104
	s_delay_alu instid0(VALU_DEP_1) | instskip(NEXT) | instid1(VALU_DEP_2)
	v_pk_fma_f32 v[118:119], v[114:115], v[72:73], v[118:119] op_sel_hi:[1,1,0] neg_lo:[0,0,1] neg_hi:[0,0,1]
	v_pk_fma_f32 v[114:115], v[114:115], v[72:73], v[120:121] op_sel:[1,0,0] op_sel_hi:[0,1,0]
	s_delay_alu instid0(VALU_DEP_1) | instskip(SKIP_1) | instid1(VALU_DEP_2)
	v_mov_b32_e32 v119, v115
	v_pk_mul_f32 v[114:115], v[116:117], v[106:107] op_sel:[0,1]
	v_pk_add_f32 v[10:11], v[10:11], v[118:119] neg_lo:[0,1] neg_hi:[0,1]
	s_delay_alu instid0(VALU_DEP_2) | instskip(SKIP_1) | instid1(VALU_DEP_1)
	v_pk_fma_f32 v[118:119], v[116:117], v[104:105], v[114:115] op_sel:[0,0,1] op_sel_hi:[1,1,0] neg_lo:[0,0,1] neg_hi:[0,0,1]
	v_pk_fma_f32 v[114:115], v[116:117], v[104:105], v[114:115] op_sel:[0,0,1] op_sel_hi:[1,0,0]
	v_mov_b32_e32 v119, v115
	ds_load_2addr_b64 v[114:117], v108 offset0:43 offset1:44
	v_pk_add_f32 v[12:13], v[12:13], v[118:119] neg_lo:[0,1] neg_hi:[0,1]
	s_wait_dscnt 0x0
	v_pk_mul_f32 v[118:119], v[114:115], v[106:107] op_sel:[0,1]
	s_delay_alu instid0(VALU_DEP_1) | instskip(SKIP_1) | instid1(VALU_DEP_1)
	v_pk_fma_f32 v[120:121], v[114:115], v[104:105], v[118:119] op_sel:[0,0,1] op_sel_hi:[1,1,0] neg_lo:[0,0,1] neg_hi:[0,0,1]
	v_pk_fma_f32 v[114:115], v[114:115], v[104:105], v[118:119] op_sel:[0,0,1] op_sel_hi:[1,0,0]
	v_mov_b32_e32 v121, v115
	v_pk_mul_f32 v[114:115], v[116:117], v[106:107] op_sel:[0,1]
	s_delay_alu instid0(VALU_DEP_2) | instskip(NEXT) | instid1(VALU_DEP_2)
	v_pk_add_f32 v[8:9], v[8:9], v[120:121] neg_lo:[0,1] neg_hi:[0,1]
	v_pk_fma_f32 v[118:119], v[116:117], v[104:105], v[114:115] op_sel:[0,0,1] op_sel_hi:[1,1,0] neg_lo:[0,0,1] neg_hi:[0,0,1]
	v_pk_fma_f32 v[114:115], v[116:117], v[104:105], v[114:115] op_sel:[0,0,1] op_sel_hi:[1,0,0]
	s_delay_alu instid0(VALU_DEP_1) | instskip(SKIP_4) | instid1(VALU_DEP_1)
	v_mov_b32_e32 v119, v115
	ds_load_2addr_b64 v[114:117], v108 offset0:45 offset1:46
	v_pk_add_f32 v[6:7], v[6:7], v[118:119] neg_lo:[0,1] neg_hi:[0,1]
	s_wait_dscnt 0x0
	v_pk_mul_f32 v[118:119], v[114:115], v[106:107] op_sel:[0,1]
	v_pk_fma_f32 v[120:121], v[114:115], v[104:105], v[118:119] op_sel:[0,0,1] op_sel_hi:[1,1,0] neg_lo:[0,0,1] neg_hi:[0,0,1]
	v_pk_fma_f32 v[114:115], v[114:115], v[104:105], v[118:119] op_sel:[0,0,1] op_sel_hi:[1,0,0]
	v_dual_mul_f32 v118, v117, v107 :: v_dual_mov_b32 v114, v117
	s_delay_alu instid0(VALU_DEP_2) | instskip(NEXT) | instid1(VALU_DEP_2)
	v_dual_mov_b32 v121, v115 :: v_dual_mov_b32 v115, v116
	v_pk_fma_f32 v[118:119], v[116:117], v[72:73], v[118:119] op_sel_hi:[1,1,0] neg_lo:[0,0,1] neg_hi:[0,0,1]
	v_mul_f32_e32 v116, v117, v104
	s_delay_alu instid0(VALU_DEP_3) | instskip(NEXT) | instid1(VALU_DEP_2)
	v_pk_add_f32 v[28:29], v[28:29], v[120:121] neg_lo:[0,1] neg_hi:[0,1]
	v_pk_fma_f32 v[114:115], v[114:115], v[72:73], v[116:117] op_sel_hi:[1,1,0]
	s_delay_alu instid0(VALU_DEP_1)
	v_mov_b32_e32 v119, v115
	ds_load_2addr_b64 v[114:117], v108 offset0:47 offset1:48
	v_pk_add_f32 v[18:19], v[18:19], v[118:119] neg_lo:[0,1] neg_hi:[0,1]
	s_wait_dscnt 0x0
	v_pk_mul_f32 v[118:119], v[114:115], v[106:107] op_sel:[0,1]
	v_pk_mul_f32 v[106:107], v[116:117], v[106:107] op_sel:[0,1]
	s_delay_alu instid0(VALU_DEP_2) | instskip(SKIP_1) | instid1(VALU_DEP_1)
	v_pk_fma_f32 v[120:121], v[114:115], v[104:105], v[118:119] op_sel:[0,0,1] op_sel_hi:[1,1,0] neg_lo:[0,0,1] neg_hi:[0,0,1]
	v_pk_fma_f32 v[114:115], v[114:115], v[104:105], v[118:119] op_sel:[0,0,1] op_sel_hi:[1,0,0]
	v_mov_b32_e32 v121, v115
	s_delay_alu instid0(VALU_DEP_4) | instskip(SKIP_1) | instid1(VALU_DEP_1)
	v_pk_fma_f32 v[114:115], v[116:117], v[104:105], v[106:107] op_sel:[0,0,1] op_sel_hi:[1,1,0] neg_lo:[0,0,1] neg_hi:[0,0,1]
	v_pk_fma_f32 v[104:105], v[116:117], v[104:105], v[106:107] op_sel:[0,0,1] op_sel_hi:[1,0,0]
	v_mov_b32_e32 v115, v105
	s_delay_alu instid0(VALU_DEP_4) | instskip(NEXT) | instid1(VALU_DEP_2)
	v_pk_add_f32 v[16:17], v[16:17], v[120:121] neg_lo:[0,1] neg_hi:[0,1]
	v_pk_add_f32 v[102:103], v[102:103], v[114:115] neg_lo:[0,1] neg_hi:[0,1]
.LBB96_482:
	s_or_b32 exec_lo, exec_lo, s0
	v_lshl_add_u32 v104, v112, 3, v108
	s_barrier_signal -1
	s_barrier_wait -1
	ds_store_b64 v104, v[68:69]
	s_wait_dscnt 0x0
	s_barrier_signal -1
	s_barrier_wait -1
	ds_load_b64 v[106:107], v108 offset:184
	v_mov_b32_e32 v104, 23
	s_cmp_lt_i32 s18, 25
	s_cbranch_scc1 .LBB96_485
; %bb.483:
	v_add3_u32 v105, v109, 0, 0xc0
	v_mov_b32_e32 v104, 23
	s_mov_b32 s0, 24
.LBB96_484:                             ; =>This Inner Loop Header: Depth=1
	ds_load_b64 v[114:115], v105
	s_wait_dscnt 0x1
	v_cmp_gt_f32_e32 vcc_lo, 0, v106
	v_cndmask_b32_e64 v116, v106, -v106, vcc_lo
	v_cmp_gt_f32_e32 vcc_lo, 0, v107
	v_cndmask_b32_e64 v118, v107, -v107, vcc_lo
	s_wait_dscnt 0x0
	v_cmp_gt_f32_e32 vcc_lo, 0, v114
	v_cndmask_b32_e64 v117, v114, -v114, vcc_lo
	v_cmp_gt_f32_e32 vcc_lo, 0, v115
	v_cndmask_b32_e64 v119, v115, -v115, vcc_lo
	s_delay_alu instid0(VALU_DEP_1) | instskip(NEXT) | instid1(VALU_DEP_1)
	v_pk_add_f32 v[116:117], v[116:117], v[118:119]
	v_cmp_lt_f32_e32 vcc_lo, v116, v117
	v_dual_add_nc_u32 v105, 8, v105 :: v_dual_cndmask_b32 v107, v107, v115, vcc_lo
	v_cndmask_b32_e32 v106, v106, v114, vcc_lo
	v_cndmask_b32_e64 v104, v104, s0, vcc_lo
	s_add_co_i32 s0, s0, 1
	s_delay_alu instid0(SALU_CYCLE_1)
	s_cmp_lg_u32 s18, s0
	s_cbranch_scc1 .LBB96_484
.LBB96_485:
	s_wait_dscnt 0x0
	v_cmp_eq_f32_e32 vcc_lo, 0, v106
	v_cmp_eq_f32_e64 s0, 0, v107
	s_and_b32 s0, vcc_lo, s0
	s_delay_alu instid0(SALU_CYCLE_1) | instskip(NEXT) | instid1(SALU_CYCLE_1)
	s_and_saveexec_b32 s1, s0
	s_xor_b32 s0, exec_lo, s1
; %bb.486:
	v_cmp_ne_u32_e32 vcc_lo, 0, v110
	v_cndmask_b32_e32 v110, 24, v110, vcc_lo
; %bb.487:
	s_and_not1_saveexec_b32 s0, s0
	s_cbranch_execz .LBB96_493
; %bb.488:
	v_cmp_ngt_f32_e64 s1, |v106|, |v107|
	s_and_saveexec_b32 s12, s1
	s_delay_alu instid0(SALU_CYCLE_1)
	s_xor_b32 s1, exec_lo, s12
	s_cbranch_execz .LBB96_490
; %bb.489:
	v_div_scale_f32 v105, null, v107, v107, v106
	v_div_scale_f32 v115, vcc_lo, v106, v107, v106
	s_delay_alu instid0(VALU_DEP_2) | instskip(SKIP_1) | instid1(TRANS32_DEP_1)
	v_rcp_f32_e32 v113, v105
	v_nop
	v_fma_f32 v114, -v105, v113, 1.0
	s_delay_alu instid0(VALU_DEP_1) | instskip(NEXT) | instid1(VALU_DEP_1)
	v_fmac_f32_e32 v113, v114, v113
	v_mul_f32_e32 v114, v115, v113
	s_delay_alu instid0(VALU_DEP_1) | instskip(NEXT) | instid1(VALU_DEP_1)
	v_fma_f32 v116, -v105, v114, v115
	v_fmac_f32_e32 v114, v116, v113
	s_delay_alu instid0(VALU_DEP_1) | instskip(NEXT) | instid1(VALU_DEP_1)
	v_fma_f32 v105, -v105, v114, v115
	v_div_fmas_f32 v105, v105, v113, v114
	s_delay_alu instid0(VALU_DEP_1) | instskip(NEXT) | instid1(VALU_DEP_1)
	v_div_fixup_f32 v105, v105, v107, v106
	v_fmac_f32_e32 v107, v106, v105
	s_delay_alu instid0(VALU_DEP_1) | instskip(SKIP_1) | instid1(VALU_DEP_2)
	v_div_scale_f32 v106, null, v107, v107, 1.0
	v_div_scale_f32 v115, vcc_lo, 1.0, v107, 1.0
	v_rcp_f32_e32 v113, v106
	v_nop
	s_delay_alu instid0(TRANS32_DEP_1) | instskip(NEXT) | instid1(VALU_DEP_1)
	v_fma_f32 v114, -v106, v113, 1.0
	v_fmac_f32_e32 v113, v114, v113
	s_delay_alu instid0(VALU_DEP_1) | instskip(NEXT) | instid1(VALU_DEP_1)
	v_mul_f32_e32 v114, v115, v113
	v_fma_f32 v116, -v106, v114, v115
	s_delay_alu instid0(VALU_DEP_1) | instskip(NEXT) | instid1(VALU_DEP_1)
	v_fmac_f32_e32 v114, v116, v113
	v_fma_f32 v106, -v106, v114, v115
	s_delay_alu instid0(VALU_DEP_1) | instskip(NEXT) | instid1(VALU_DEP_1)
	v_div_fmas_f32 v106, v106, v113, v114
	v_div_fixup_f32 v107, v106, v107, 1.0
	s_delay_alu instid0(VALU_DEP_1)
	v_mul_f32_e32 v106, v105, v107
	v_xor_b32_e32 v107, 0x80000000, v107
.LBB96_490:
	s_and_not1_saveexec_b32 s1, s1
	s_cbranch_execz .LBB96_492
; %bb.491:
	s_delay_alu instid0(VALU_DEP_1) | instskip(SKIP_1) | instid1(VALU_DEP_2)
	v_div_scale_f32 v105, null, v106, v106, v107
	v_div_scale_f32 v115, vcc_lo, v107, v106, v107
	v_rcp_f32_e32 v113, v105
	v_nop
	s_delay_alu instid0(TRANS32_DEP_1) | instskip(NEXT) | instid1(VALU_DEP_1)
	v_fma_f32 v114, -v105, v113, 1.0
	v_fmac_f32_e32 v113, v114, v113
	s_delay_alu instid0(VALU_DEP_1) | instskip(NEXT) | instid1(VALU_DEP_1)
	v_mul_f32_e32 v114, v115, v113
	v_fma_f32 v116, -v105, v114, v115
	s_delay_alu instid0(VALU_DEP_1) | instskip(NEXT) | instid1(VALU_DEP_1)
	v_fmac_f32_e32 v114, v116, v113
	v_fma_f32 v105, -v105, v114, v115
	s_delay_alu instid0(VALU_DEP_1) | instskip(NEXT) | instid1(VALU_DEP_1)
	v_div_fmas_f32 v105, v105, v113, v114
	v_div_fixup_f32 v105, v105, v106, v107
	s_delay_alu instid0(VALU_DEP_1) | instskip(NEXT) | instid1(VALU_DEP_1)
	v_fmac_f32_e32 v106, v107, v105
	v_div_scale_f32 v107, null, v106, v106, 1.0
	s_delay_alu instid0(VALU_DEP_1) | instskip(SKIP_1) | instid1(TRANS32_DEP_1)
	v_rcp_f32_e32 v113, v107
	v_nop
	v_fma_f32 v114, -v107, v113, 1.0
	s_delay_alu instid0(VALU_DEP_1) | instskip(SKIP_1) | instid1(VALU_DEP_1)
	v_fmac_f32_e32 v113, v114, v113
	v_div_scale_f32 v114, vcc_lo, 1.0, v106, 1.0
	v_mul_f32_e32 v115, v114, v113
	s_delay_alu instid0(VALU_DEP_1) | instskip(NEXT) | instid1(VALU_DEP_1)
	v_fma_f32 v116, -v107, v115, v114
	v_fmac_f32_e32 v115, v116, v113
	s_delay_alu instid0(VALU_DEP_1) | instskip(NEXT) | instid1(VALU_DEP_1)
	v_fma_f32 v107, -v107, v115, v114
	v_div_fmas_f32 v107, v107, v113, v115
	s_delay_alu instid0(VALU_DEP_1) | instskip(NEXT) | instid1(VALU_DEP_1)
	v_div_fixup_f32 v106, v107, v106, 1.0
	v_mul_f32_e64 v107, v105, -v106
.LBB96_492:
	s_or_b32 exec_lo, exec_lo, s1
.LBB96_493:
	s_delay_alu instid0(SALU_CYCLE_1) | instskip(NEXT) | instid1(SALU_CYCLE_1)
	s_or_b32 exec_lo, exec_lo, s0
	s_mov_b32 s0, exec_lo
	v_cmpx_ne_u32_e64 v112, v104
	s_xor_b32 s0, exec_lo, s0
	s_cbranch_execz .LBB96_499
; %bb.494:
	s_mov_b32 s1, exec_lo
	v_cmpx_eq_u32_e32 23, v112
	s_cbranch_execz .LBB96_498
; %bb.495:
	v_cmp_ne_u32_e32 vcc_lo, 23, v104
	s_xor_b32 s12, s16, -1
	s_delay_alu instid0(SALU_CYCLE_1) | instskip(NEXT) | instid1(SALU_CYCLE_1)
	s_and_b32 s13, s12, vcc_lo
	s_and_saveexec_b32 s12, s13
	s_cbranch_execz .LBB96_497
; %bb.496:
	v_ashrrev_i32_e32 v105, 31, v104
	s_delay_alu instid0(VALU_DEP_1)
	v_lshl_add_u64 v[112:113], v[104:105], 2, v[4:5]
	s_clause 0x1
	global_load_b32 v105, v[112:113], off
	global_load_b32 v111, v[4:5], off offset:92
	s_wait_loadcnt 0x1
	global_store_b32 v[4:5], v105, off offset:92
	s_wait_loadcnt 0x0
	global_store_b32 v[112:113], v111, off
.LBB96_497:
	s_wait_xcnt 0x0
	s_or_b32 exec_lo, exec_lo, s12
	v_dual_mov_b32 v112, v104 :: v_dual_mov_b32 v111, v104
.LBB96_498:
	s_or_b32 exec_lo, exec_lo, s1
.LBB96_499:
	s_and_not1_saveexec_b32 s0, s0
	s_cbranch_execz .LBB96_501
; %bb.500:
	v_dual_mov_b32 v104, v56 :: v_dual_mov_b32 v105, v57
	v_dual_mov_b32 v112, v48 :: v_dual_mov_b32 v113, v49
	ds_store_2addr_b64 v108, v[104:105], v[112:113] offset0:24 offset1:25
	v_dual_mov_b32 v104, v54 :: v_dual_mov_b32 v105, v55
	v_dual_mov_b32 v112, v46 :: v_dual_mov_b32 v113, v47
	ds_store_2addr_b64 v108, v[104:105], v[112:113] offset0:26 offset1:27
	;; [unrolled: 3-line block ×12, first 2 shown]
	ds_store_b64 v108, v[102:103] offset:384
	v_mov_b32_e32 v112, 23
.LBB96_501:
	s_or_b32 exec_lo, exec_lo, s0
	s_delay_alu instid0(SALU_CYCLE_1)
	s_mov_b32 s0, exec_lo
	s_wait_storecnt_dscnt 0x0
	s_barrier_signal -1
	s_barrier_wait -1
	v_cmpx_lt_i32_e32 23, v112
	s_cbranch_execz .LBB96_503
; %bb.502:
	v_pk_mul_f32 v[114:115], v[106:107], v[68:69] op_sel:[1,1] op_sel_hi:[0,1]
	s_delay_alu instid0(VALU_DEP_1)
	v_pk_fma_f32 v[104:105], v[106:107], v[68:69], v[114:115] op_sel_hi:[1,0,1] neg_lo:[0,0,1] neg_hi:[0,0,1]
	v_pk_fma_f32 v[106:107], v[106:107], v[68:69], v[114:115] op_sel_hi:[1,0,1]
	ds_load_2addr_b64 v[114:117], v108 offset0:24 offset1:25
	v_dual_mov_b32 v68, v104 :: v_dual_mov_b32 v69, v107
	s_wait_dscnt 0x0
	v_pk_mul_f32 v[118:119], v[114:115], v[106:107] op_sel:[0,1]
	s_delay_alu instid0(VALU_DEP_1) | instskip(SKIP_1) | instid1(VALU_DEP_1)
	v_pk_fma_f32 v[120:121], v[114:115], v[104:105], v[118:119] op_sel:[0,0,1] op_sel_hi:[1,1,0] neg_lo:[0,0,1] neg_hi:[0,0,1]
	v_pk_fma_f32 v[114:115], v[114:115], v[104:105], v[118:119] op_sel:[0,0,1] op_sel_hi:[1,0,0]
	v_mov_b32_e32 v121, v115
	v_pk_mul_f32 v[114:115], v[116:117], v[106:107] op_sel:[0,1]
	s_delay_alu instid0(VALU_DEP_1) | instskip(SKIP_1) | instid1(VALU_DEP_1)
	v_pk_fma_f32 v[118:119], v[116:117], v[104:105], v[114:115] op_sel:[0,0,1] op_sel_hi:[1,1,0] neg_lo:[0,0,1] neg_hi:[0,0,1]
	v_pk_fma_f32 v[114:115], v[116:117], v[104:105], v[114:115] op_sel:[0,0,1] op_sel_hi:[1,0,0]
	v_mov_b32_e32 v119, v115
	ds_load_2addr_b64 v[114:117], v108 offset0:26 offset1:27
	v_pk_add_f32 v[56:57], v[56:57], v[120:121] neg_lo:[0,1] neg_hi:[0,1]
	v_pk_add_f32 v[48:49], v[48:49], v[118:119] neg_lo:[0,1] neg_hi:[0,1]
	s_wait_dscnt 0x0
	v_pk_mul_f32 v[118:119], v[114:115], v[106:107] op_sel:[0,1]
	s_delay_alu instid0(VALU_DEP_1) | instskip(SKIP_2) | instid1(VALU_DEP_2)
	v_pk_fma_f32 v[120:121], v[114:115], v[104:105], v[118:119] op_sel:[0,0,1] op_sel_hi:[1,1,0] neg_lo:[0,0,1] neg_hi:[0,0,1]
	v_pk_fma_f32 v[114:115], v[114:115], v[104:105], v[118:119] op_sel:[0,0,1] op_sel_hi:[1,0,0]
	v_dual_mul_f32 v118, v117, v107 :: v_dual_mov_b32 v114, v117
	v_dual_mov_b32 v121, v115 :: v_dual_mov_b32 v115, v116
	s_delay_alu instid0(VALU_DEP_2) | instskip(SKIP_1) | instid1(VALU_DEP_3)
	v_pk_fma_f32 v[118:119], v[116:117], v[68:69], v[118:119] op_sel_hi:[1,1,0] neg_lo:[0,0,1] neg_hi:[0,0,1]
	v_mul_f32_e32 v116, v117, v104
	v_pk_add_f32 v[54:55], v[54:55], v[120:121] neg_lo:[0,1] neg_hi:[0,1]
	s_delay_alu instid0(VALU_DEP_2) | instskip(NEXT) | instid1(VALU_DEP_1)
	v_pk_fma_f32 v[114:115], v[114:115], v[68:69], v[116:117] op_sel_hi:[1,1,0]
	v_mov_b32_e32 v119, v115
	ds_load_2addr_b64 v[114:117], v108 offset0:28 offset1:29
	v_pk_add_f32 v[46:47], v[46:47], v[118:119] neg_lo:[0,1] neg_hi:[0,1]
	s_wait_dscnt 0x0
	v_pk_mul_f32 v[118:119], v[114:115], v[106:107] op_sel:[0,1]
	s_delay_alu instid0(VALU_DEP_1) | instskip(SKIP_1) | instid1(VALU_DEP_1)
	v_pk_fma_f32 v[120:121], v[114:115], v[104:105], v[118:119] op_sel:[0,0,1] op_sel_hi:[1,1,0] neg_lo:[0,0,1] neg_hi:[0,0,1]
	v_pk_fma_f32 v[114:115], v[114:115], v[104:105], v[118:119] op_sel:[0,0,1] op_sel_hi:[1,0,0]
	v_mov_b32_e32 v121, v115
	v_pk_mul_f32 v[114:115], v[116:117], v[106:107] op_sel:[0,1]
	s_delay_alu instid0(VALU_DEP_1) | instskip(SKIP_1) | instid1(VALU_DEP_1)
	v_pk_fma_f32 v[118:119], v[116:117], v[104:105], v[114:115] op_sel:[0,0,1] op_sel_hi:[1,1,0] neg_lo:[0,0,1] neg_hi:[0,0,1]
	v_pk_fma_f32 v[114:115], v[116:117], v[104:105], v[114:115] op_sel:[0,0,1] op_sel_hi:[1,0,0]
	v_mov_b32_e32 v119, v115
	ds_load_2addr_b64 v[114:117], v108 offset0:30 offset1:31
	v_pk_add_f32 v[44:45], v[44:45], v[120:121] neg_lo:[0,1] neg_hi:[0,1]
	v_pk_add_f32 v[40:41], v[40:41], v[118:119] neg_lo:[0,1] neg_hi:[0,1]
	s_wait_dscnt 0x0
	v_pk_mul_f32 v[118:119], v[114:115], v[106:107] op_sel:[0,1]
	s_delay_alu instid0(VALU_DEP_1) | instskip(SKIP_1) | instid1(VALU_DEP_1)
	v_pk_fma_f32 v[120:121], v[114:115], v[104:105], v[118:119] op_sel:[0,0,1] op_sel_hi:[1,1,0] neg_lo:[0,0,1] neg_hi:[0,0,1]
	v_pk_fma_f32 v[114:115], v[114:115], v[104:105], v[118:119] op_sel:[0,0,1] op_sel_hi:[1,0,0]
	v_mov_b32_e32 v121, v115
	v_pk_mul_f32 v[114:115], v[116:117], v[106:107] op_sel:[0,1]
	s_delay_alu instid0(VALU_DEP_1) | instskip(SKIP_1) | instid1(VALU_DEP_1)
	v_pk_fma_f32 v[118:119], v[116:117], v[104:105], v[114:115] op_sel:[0,0,1] op_sel_hi:[1,1,0] neg_lo:[0,0,1] neg_hi:[0,0,1]
	v_pk_fma_f32 v[114:115], v[116:117], v[104:105], v[114:115] op_sel:[0,0,1] op_sel_hi:[1,0,0]
	v_mov_b32_e32 v119, v115
	ds_load_2addr_b64 v[114:117], v108 offset0:32 offset1:33
	v_pk_add_f32 v[42:43], v[42:43], v[120:121] neg_lo:[0,1] neg_hi:[0,1]
	v_pk_add_f32 v[38:39], v[38:39], v[118:119] neg_lo:[0,1] neg_hi:[0,1]
	s_wait_dscnt 0x0
	v_dual_mul_f32 v118, v115, v107 :: v_dual_mul_f32 v120, v115, v104
	s_delay_alu instid0(VALU_DEP_1) | instskip(NEXT) | instid1(VALU_DEP_2)
	v_pk_fma_f32 v[118:119], v[114:115], v[68:69], v[118:119] op_sel_hi:[1,1,0] neg_lo:[0,0,1] neg_hi:[0,0,1]
	v_pk_fma_f32 v[114:115], v[114:115], v[68:69], v[120:121] op_sel:[1,0,0] op_sel_hi:[0,1,0]
	s_delay_alu instid0(VALU_DEP_1) | instskip(SKIP_1) | instid1(VALU_DEP_2)
	v_mov_b32_e32 v119, v115
	v_pk_mul_f32 v[114:115], v[116:117], v[106:107] op_sel:[0,1]
	v_pk_add_f32 v[36:37], v[36:37], v[118:119] neg_lo:[0,1] neg_hi:[0,1]
	s_delay_alu instid0(VALU_DEP_2) | instskip(SKIP_1) | instid1(VALU_DEP_1)
	v_pk_fma_f32 v[118:119], v[116:117], v[104:105], v[114:115] op_sel:[0,0,1] op_sel_hi:[1,1,0] neg_lo:[0,0,1] neg_hi:[0,0,1]
	v_pk_fma_f32 v[114:115], v[116:117], v[104:105], v[114:115] op_sel:[0,0,1] op_sel_hi:[1,0,0]
	v_mov_b32_e32 v119, v115
	ds_load_2addr_b64 v[114:117], v108 offset0:34 offset1:35
	v_pk_add_f32 v[32:33], v[32:33], v[118:119] neg_lo:[0,1] neg_hi:[0,1]
	s_wait_dscnt 0x0
	v_pk_mul_f32 v[118:119], v[114:115], v[106:107] op_sel:[0,1]
	s_delay_alu instid0(VALU_DEP_1) | instskip(SKIP_1) | instid1(VALU_DEP_1)
	v_pk_fma_f32 v[120:121], v[114:115], v[104:105], v[118:119] op_sel:[0,0,1] op_sel_hi:[1,1,0] neg_lo:[0,0,1] neg_hi:[0,0,1]
	v_pk_fma_f32 v[114:115], v[114:115], v[104:105], v[118:119] op_sel:[0,0,1] op_sel_hi:[1,0,0]
	v_mov_b32_e32 v121, v115
	v_pk_mul_f32 v[114:115], v[116:117], v[106:107] op_sel:[0,1]
	s_delay_alu instid0(VALU_DEP_2) | instskip(NEXT) | instid1(VALU_DEP_2)
	v_pk_add_f32 v[34:35], v[34:35], v[120:121] neg_lo:[0,1] neg_hi:[0,1]
	v_pk_fma_f32 v[118:119], v[116:117], v[104:105], v[114:115] op_sel:[0,0,1] op_sel_hi:[1,1,0] neg_lo:[0,0,1] neg_hi:[0,0,1]
	v_pk_fma_f32 v[114:115], v[116:117], v[104:105], v[114:115] op_sel:[0,0,1] op_sel_hi:[1,0,0]
	s_delay_alu instid0(VALU_DEP_1) | instskip(SKIP_4) | instid1(VALU_DEP_1)
	v_mov_b32_e32 v119, v115
	ds_load_2addr_b64 v[114:117], v108 offset0:36 offset1:37
	v_pk_add_f32 v[30:31], v[30:31], v[118:119] neg_lo:[0,1] neg_hi:[0,1]
	s_wait_dscnt 0x0
	v_pk_mul_f32 v[118:119], v[114:115], v[106:107] op_sel:[0,1]
	v_pk_fma_f32 v[120:121], v[114:115], v[104:105], v[118:119] op_sel:[0,0,1] op_sel_hi:[1,1,0] neg_lo:[0,0,1] neg_hi:[0,0,1]
	v_pk_fma_f32 v[114:115], v[114:115], v[104:105], v[118:119] op_sel:[0,0,1] op_sel_hi:[1,0,0]
	v_dual_mul_f32 v118, v117, v107 :: v_dual_mov_b32 v114, v117
	s_delay_alu instid0(VALU_DEP_2) | instskip(NEXT) | instid1(VALU_DEP_2)
	v_dual_mov_b32 v121, v115 :: v_dual_mov_b32 v115, v116
	v_pk_fma_f32 v[118:119], v[116:117], v[68:69], v[118:119] op_sel_hi:[1,1,0] neg_lo:[0,0,1] neg_hi:[0,0,1]
	v_mul_f32_e32 v116, v117, v104
	s_delay_alu instid0(VALU_DEP_3) | instskip(NEXT) | instid1(VALU_DEP_2)
	v_pk_add_f32 v[26:27], v[26:27], v[120:121] neg_lo:[0,1] neg_hi:[0,1]
	v_pk_fma_f32 v[114:115], v[114:115], v[68:69], v[116:117] op_sel_hi:[1,1,0]
	s_delay_alu instid0(VALU_DEP_1) | instskip(SKIP_4) | instid1(VALU_DEP_1)
	v_mov_b32_e32 v119, v115
	ds_load_2addr_b64 v[114:117], v108 offset0:38 offset1:39
	v_pk_add_f32 v[22:23], v[22:23], v[118:119] neg_lo:[0,1] neg_hi:[0,1]
	s_wait_dscnt 0x0
	v_pk_mul_f32 v[118:119], v[114:115], v[106:107] op_sel:[0,1]
	v_pk_fma_f32 v[120:121], v[114:115], v[104:105], v[118:119] op_sel:[0,0,1] op_sel_hi:[1,1,0] neg_lo:[0,0,1] neg_hi:[0,0,1]
	v_pk_fma_f32 v[114:115], v[114:115], v[104:105], v[118:119] op_sel:[0,0,1] op_sel_hi:[1,0,0]
	s_delay_alu instid0(VALU_DEP_1) | instskip(SKIP_1) | instid1(VALU_DEP_1)
	v_mov_b32_e32 v121, v115
	v_pk_mul_f32 v[114:115], v[116:117], v[106:107] op_sel:[0,1]
	v_pk_fma_f32 v[118:119], v[116:117], v[104:105], v[114:115] op_sel:[0,0,1] op_sel_hi:[1,1,0] neg_lo:[0,0,1] neg_hi:[0,0,1]
	v_pk_fma_f32 v[114:115], v[116:117], v[104:105], v[114:115] op_sel:[0,0,1] op_sel_hi:[1,0,0]
	s_delay_alu instid0(VALU_DEP_1)
	v_mov_b32_e32 v119, v115
	ds_load_2addr_b64 v[114:117], v108 offset0:40 offset1:41
	v_pk_add_f32 v[24:25], v[24:25], v[120:121] neg_lo:[0,1] neg_hi:[0,1]
	v_pk_add_f32 v[20:21], v[20:21], v[118:119] neg_lo:[0,1] neg_hi:[0,1]
	s_wait_dscnt 0x0
	v_pk_mul_f32 v[118:119], v[114:115], v[106:107] op_sel:[0,1]
	s_delay_alu instid0(VALU_DEP_1) | instskip(SKIP_1) | instid1(VALU_DEP_1)
	v_pk_fma_f32 v[120:121], v[114:115], v[104:105], v[118:119] op_sel:[0,0,1] op_sel_hi:[1,1,0] neg_lo:[0,0,1] neg_hi:[0,0,1]
	v_pk_fma_f32 v[114:115], v[114:115], v[104:105], v[118:119] op_sel:[0,0,1] op_sel_hi:[1,0,0]
	v_mov_b32_e32 v121, v115
	v_pk_mul_f32 v[114:115], v[116:117], v[106:107] op_sel:[0,1]
	s_delay_alu instid0(VALU_DEP_1) | instskip(SKIP_1) | instid1(VALU_DEP_1)
	v_pk_fma_f32 v[118:119], v[116:117], v[104:105], v[114:115] op_sel:[0,0,1] op_sel_hi:[1,1,0] neg_lo:[0,0,1] neg_hi:[0,0,1]
	v_pk_fma_f32 v[114:115], v[116:117], v[104:105], v[114:115] op_sel:[0,0,1] op_sel_hi:[1,0,0]
	v_mov_b32_e32 v119, v115
	ds_load_2addr_b64 v[114:117], v108 offset0:42 offset1:43
	v_pk_add_f32 v[14:15], v[14:15], v[120:121] neg_lo:[0,1] neg_hi:[0,1]
	v_pk_add_f32 v[10:11], v[10:11], v[118:119] neg_lo:[0,1] neg_hi:[0,1]
	s_wait_dscnt 0x0
	v_dual_mul_f32 v118, v115, v107 :: v_dual_mul_f32 v120, v115, v104
	s_delay_alu instid0(VALU_DEP_1) | instskip(NEXT) | instid1(VALU_DEP_2)
	v_pk_fma_f32 v[118:119], v[114:115], v[68:69], v[118:119] op_sel_hi:[1,1,0] neg_lo:[0,0,1] neg_hi:[0,0,1]
	v_pk_fma_f32 v[114:115], v[114:115], v[68:69], v[120:121] op_sel:[1,0,0] op_sel_hi:[0,1,0]
	s_delay_alu instid0(VALU_DEP_1) | instskip(SKIP_1) | instid1(VALU_DEP_2)
	v_mov_b32_e32 v119, v115
	v_pk_mul_f32 v[114:115], v[116:117], v[106:107] op_sel:[0,1]
	v_pk_add_f32 v[12:13], v[12:13], v[118:119] neg_lo:[0,1] neg_hi:[0,1]
	s_delay_alu instid0(VALU_DEP_2) | instskip(SKIP_1) | instid1(VALU_DEP_1)
	v_pk_fma_f32 v[118:119], v[116:117], v[104:105], v[114:115] op_sel:[0,0,1] op_sel_hi:[1,1,0] neg_lo:[0,0,1] neg_hi:[0,0,1]
	v_pk_fma_f32 v[114:115], v[116:117], v[104:105], v[114:115] op_sel:[0,0,1] op_sel_hi:[1,0,0]
	v_mov_b32_e32 v119, v115
	ds_load_2addr_b64 v[114:117], v108 offset0:44 offset1:45
	v_pk_add_f32 v[8:9], v[8:9], v[118:119] neg_lo:[0,1] neg_hi:[0,1]
	s_wait_dscnt 0x0
	v_pk_mul_f32 v[118:119], v[114:115], v[106:107] op_sel:[0,1]
	s_delay_alu instid0(VALU_DEP_1) | instskip(SKIP_1) | instid1(VALU_DEP_1)
	v_pk_fma_f32 v[120:121], v[114:115], v[104:105], v[118:119] op_sel:[0,0,1] op_sel_hi:[1,1,0] neg_lo:[0,0,1] neg_hi:[0,0,1]
	v_pk_fma_f32 v[114:115], v[114:115], v[104:105], v[118:119] op_sel:[0,0,1] op_sel_hi:[1,0,0]
	v_mov_b32_e32 v121, v115
	v_pk_mul_f32 v[114:115], v[116:117], v[106:107] op_sel:[0,1]
	s_delay_alu instid0(VALU_DEP_2) | instskip(NEXT) | instid1(VALU_DEP_2)
	v_pk_add_f32 v[6:7], v[6:7], v[120:121] neg_lo:[0,1] neg_hi:[0,1]
	v_pk_fma_f32 v[118:119], v[116:117], v[104:105], v[114:115] op_sel:[0,0,1] op_sel_hi:[1,1,0] neg_lo:[0,0,1] neg_hi:[0,0,1]
	v_pk_fma_f32 v[114:115], v[116:117], v[104:105], v[114:115] op_sel:[0,0,1] op_sel_hi:[1,0,0]
	s_delay_alu instid0(VALU_DEP_1) | instskip(SKIP_4) | instid1(VALU_DEP_1)
	v_mov_b32_e32 v119, v115
	ds_load_2addr_b64 v[114:117], v108 offset0:46 offset1:47
	v_pk_add_f32 v[28:29], v[28:29], v[118:119] neg_lo:[0,1] neg_hi:[0,1]
	s_wait_dscnt 0x0
	v_pk_mul_f32 v[118:119], v[114:115], v[106:107] op_sel:[0,1]
	v_pk_fma_f32 v[120:121], v[114:115], v[104:105], v[118:119] op_sel:[0,0,1] op_sel_hi:[1,1,0] neg_lo:[0,0,1] neg_hi:[0,0,1]
	v_pk_fma_f32 v[114:115], v[114:115], v[104:105], v[118:119] op_sel:[0,0,1] op_sel_hi:[1,0,0]
	v_dual_mul_f32 v118, v117, v107 :: v_dual_mov_b32 v114, v117
	s_delay_alu instid0(VALU_DEP_2) | instskip(NEXT) | instid1(VALU_DEP_2)
	v_dual_mov_b32 v121, v115 :: v_dual_mov_b32 v115, v116
	v_pk_fma_f32 v[118:119], v[116:117], v[68:69], v[118:119] op_sel_hi:[1,1,0] neg_lo:[0,0,1] neg_hi:[0,0,1]
	v_mul_f32_e32 v116, v117, v104
	s_delay_alu instid0(VALU_DEP_3) | instskip(NEXT) | instid1(VALU_DEP_2)
	v_pk_add_f32 v[18:19], v[18:19], v[120:121] neg_lo:[0,1] neg_hi:[0,1]
	v_pk_fma_f32 v[114:115], v[114:115], v[68:69], v[116:117] op_sel_hi:[1,1,0]
	s_delay_alu instid0(VALU_DEP_1) | instskip(SKIP_4) | instid1(VALU_DEP_1)
	v_mov_b32_e32 v119, v115
	ds_load_b64 v[114:115], v108 offset:384
	v_pk_add_f32 v[16:17], v[16:17], v[118:119] neg_lo:[0,1] neg_hi:[0,1]
	s_wait_dscnt 0x0
	v_pk_mul_f32 v[106:107], v[114:115], v[106:107] op_sel:[0,1]
	v_pk_fma_f32 v[116:117], v[114:115], v[104:105], v[106:107] op_sel:[0,0,1] op_sel_hi:[1,1,0] neg_lo:[0,0,1] neg_hi:[0,0,1]
	v_pk_fma_f32 v[104:105], v[114:115], v[104:105], v[106:107] op_sel:[0,0,1] op_sel_hi:[1,0,0]
	s_delay_alu instid0(VALU_DEP_1) | instskip(NEXT) | instid1(VALU_DEP_1)
	v_mov_b32_e32 v117, v105
	v_pk_add_f32 v[102:103], v[102:103], v[116:117] neg_lo:[0,1] neg_hi:[0,1]
.LBB96_503:
	s_or_b32 exec_lo, exec_lo, s0
	v_lshl_add_u32 v104, v112, 3, v108
	s_barrier_signal -1
	s_barrier_wait -1
	ds_store_b64 v104, v[56:57]
	s_wait_dscnt 0x0
	s_barrier_signal -1
	s_barrier_wait -1
	ds_load_b64 v[106:107], v108 offset:192
	v_mov_b32_e32 v104, 24
	s_cmp_lt_i32 s18, 26
	s_cbranch_scc1 .LBB96_506
; %bb.504:
	v_add3_u32 v105, v109, 0, 0xc8
	v_mov_b32_e32 v104, 24
	s_mov_b32 s0, 25
.LBB96_505:                             ; =>This Inner Loop Header: Depth=1
	ds_load_b64 v[114:115], v105
	s_wait_dscnt 0x1
	v_cmp_gt_f32_e32 vcc_lo, 0, v106
	v_cndmask_b32_e64 v116, v106, -v106, vcc_lo
	v_cmp_gt_f32_e32 vcc_lo, 0, v107
	v_cndmask_b32_e64 v118, v107, -v107, vcc_lo
	s_wait_dscnt 0x0
	v_cmp_gt_f32_e32 vcc_lo, 0, v114
	v_cndmask_b32_e64 v117, v114, -v114, vcc_lo
	v_cmp_gt_f32_e32 vcc_lo, 0, v115
	v_cndmask_b32_e64 v119, v115, -v115, vcc_lo
	s_delay_alu instid0(VALU_DEP_1) | instskip(NEXT) | instid1(VALU_DEP_1)
	v_pk_add_f32 v[116:117], v[116:117], v[118:119]
	v_cmp_lt_f32_e32 vcc_lo, v116, v117
	v_dual_add_nc_u32 v105, 8, v105 :: v_dual_cndmask_b32 v107, v107, v115, vcc_lo
	v_cndmask_b32_e32 v106, v106, v114, vcc_lo
	v_cndmask_b32_e64 v104, v104, s0, vcc_lo
	s_add_co_i32 s0, s0, 1
	s_delay_alu instid0(SALU_CYCLE_1)
	s_cmp_lg_u32 s18, s0
	s_cbranch_scc1 .LBB96_505
.LBB96_506:
	s_wait_dscnt 0x0
	v_cmp_eq_f32_e32 vcc_lo, 0, v106
	v_cmp_eq_f32_e64 s0, 0, v107
	s_and_b32 s0, vcc_lo, s0
	s_delay_alu instid0(SALU_CYCLE_1) | instskip(NEXT) | instid1(SALU_CYCLE_1)
	s_and_saveexec_b32 s1, s0
	s_xor_b32 s0, exec_lo, s1
; %bb.507:
	v_cmp_ne_u32_e32 vcc_lo, 0, v110
	v_cndmask_b32_e32 v110, 25, v110, vcc_lo
; %bb.508:
	s_and_not1_saveexec_b32 s0, s0
	s_cbranch_execz .LBB96_514
; %bb.509:
	v_cmp_ngt_f32_e64 s1, |v106|, |v107|
	s_and_saveexec_b32 s12, s1
	s_delay_alu instid0(SALU_CYCLE_1)
	s_xor_b32 s1, exec_lo, s12
	s_cbranch_execz .LBB96_511
; %bb.510:
	v_div_scale_f32 v105, null, v107, v107, v106
	v_div_scale_f32 v115, vcc_lo, v106, v107, v106
	s_delay_alu instid0(VALU_DEP_2) | instskip(SKIP_1) | instid1(TRANS32_DEP_1)
	v_rcp_f32_e32 v113, v105
	v_nop
	v_fma_f32 v114, -v105, v113, 1.0
	s_delay_alu instid0(VALU_DEP_1) | instskip(NEXT) | instid1(VALU_DEP_1)
	v_fmac_f32_e32 v113, v114, v113
	v_mul_f32_e32 v114, v115, v113
	s_delay_alu instid0(VALU_DEP_1) | instskip(NEXT) | instid1(VALU_DEP_1)
	v_fma_f32 v116, -v105, v114, v115
	v_fmac_f32_e32 v114, v116, v113
	s_delay_alu instid0(VALU_DEP_1) | instskip(NEXT) | instid1(VALU_DEP_1)
	v_fma_f32 v105, -v105, v114, v115
	v_div_fmas_f32 v105, v105, v113, v114
	s_delay_alu instid0(VALU_DEP_1) | instskip(NEXT) | instid1(VALU_DEP_1)
	v_div_fixup_f32 v105, v105, v107, v106
	v_fmac_f32_e32 v107, v106, v105
	s_delay_alu instid0(VALU_DEP_1) | instskip(SKIP_1) | instid1(VALU_DEP_2)
	v_div_scale_f32 v106, null, v107, v107, 1.0
	v_div_scale_f32 v115, vcc_lo, 1.0, v107, 1.0
	v_rcp_f32_e32 v113, v106
	v_nop
	s_delay_alu instid0(TRANS32_DEP_1) | instskip(NEXT) | instid1(VALU_DEP_1)
	v_fma_f32 v114, -v106, v113, 1.0
	v_fmac_f32_e32 v113, v114, v113
	s_delay_alu instid0(VALU_DEP_1) | instskip(NEXT) | instid1(VALU_DEP_1)
	v_mul_f32_e32 v114, v115, v113
	v_fma_f32 v116, -v106, v114, v115
	s_delay_alu instid0(VALU_DEP_1) | instskip(NEXT) | instid1(VALU_DEP_1)
	v_fmac_f32_e32 v114, v116, v113
	v_fma_f32 v106, -v106, v114, v115
	s_delay_alu instid0(VALU_DEP_1) | instskip(NEXT) | instid1(VALU_DEP_1)
	v_div_fmas_f32 v106, v106, v113, v114
	v_div_fixup_f32 v107, v106, v107, 1.0
	s_delay_alu instid0(VALU_DEP_1)
	v_mul_f32_e32 v106, v105, v107
	v_xor_b32_e32 v107, 0x80000000, v107
.LBB96_511:
	s_and_not1_saveexec_b32 s1, s1
	s_cbranch_execz .LBB96_513
; %bb.512:
	s_delay_alu instid0(VALU_DEP_1) | instskip(SKIP_1) | instid1(VALU_DEP_2)
	v_div_scale_f32 v105, null, v106, v106, v107
	v_div_scale_f32 v115, vcc_lo, v107, v106, v107
	v_rcp_f32_e32 v113, v105
	v_nop
	s_delay_alu instid0(TRANS32_DEP_1) | instskip(NEXT) | instid1(VALU_DEP_1)
	v_fma_f32 v114, -v105, v113, 1.0
	v_fmac_f32_e32 v113, v114, v113
	s_delay_alu instid0(VALU_DEP_1) | instskip(NEXT) | instid1(VALU_DEP_1)
	v_mul_f32_e32 v114, v115, v113
	v_fma_f32 v116, -v105, v114, v115
	s_delay_alu instid0(VALU_DEP_1) | instskip(NEXT) | instid1(VALU_DEP_1)
	v_fmac_f32_e32 v114, v116, v113
	v_fma_f32 v105, -v105, v114, v115
	s_delay_alu instid0(VALU_DEP_1) | instskip(NEXT) | instid1(VALU_DEP_1)
	v_div_fmas_f32 v105, v105, v113, v114
	v_div_fixup_f32 v105, v105, v106, v107
	s_delay_alu instid0(VALU_DEP_1) | instskip(NEXT) | instid1(VALU_DEP_1)
	v_fmac_f32_e32 v106, v107, v105
	v_div_scale_f32 v107, null, v106, v106, 1.0
	s_delay_alu instid0(VALU_DEP_1) | instskip(SKIP_1) | instid1(TRANS32_DEP_1)
	v_rcp_f32_e32 v113, v107
	v_nop
	v_fma_f32 v114, -v107, v113, 1.0
	s_delay_alu instid0(VALU_DEP_1) | instskip(SKIP_1) | instid1(VALU_DEP_1)
	v_fmac_f32_e32 v113, v114, v113
	v_div_scale_f32 v114, vcc_lo, 1.0, v106, 1.0
	v_mul_f32_e32 v115, v114, v113
	s_delay_alu instid0(VALU_DEP_1) | instskip(NEXT) | instid1(VALU_DEP_1)
	v_fma_f32 v116, -v107, v115, v114
	v_fmac_f32_e32 v115, v116, v113
	s_delay_alu instid0(VALU_DEP_1) | instskip(NEXT) | instid1(VALU_DEP_1)
	v_fma_f32 v107, -v107, v115, v114
	v_div_fmas_f32 v107, v107, v113, v115
	s_delay_alu instid0(VALU_DEP_1) | instskip(NEXT) | instid1(VALU_DEP_1)
	v_div_fixup_f32 v106, v107, v106, 1.0
	v_mul_f32_e64 v107, v105, -v106
.LBB96_513:
	s_or_b32 exec_lo, exec_lo, s1
.LBB96_514:
	s_delay_alu instid0(SALU_CYCLE_1) | instskip(NEXT) | instid1(SALU_CYCLE_1)
	s_or_b32 exec_lo, exec_lo, s0
	s_mov_b32 s0, exec_lo
	v_cmpx_ne_u32_e64 v112, v104
	s_xor_b32 s0, exec_lo, s0
	s_cbranch_execz .LBB96_520
; %bb.515:
	s_mov_b32 s1, exec_lo
	v_cmpx_eq_u32_e32 24, v112
	s_cbranch_execz .LBB96_519
; %bb.516:
	v_cmp_ne_u32_e32 vcc_lo, 24, v104
	s_xor_b32 s12, s16, -1
	s_delay_alu instid0(SALU_CYCLE_1) | instskip(NEXT) | instid1(SALU_CYCLE_1)
	s_and_b32 s13, s12, vcc_lo
	s_and_saveexec_b32 s12, s13
	s_cbranch_execz .LBB96_518
; %bb.517:
	v_ashrrev_i32_e32 v105, 31, v104
	s_delay_alu instid0(VALU_DEP_1)
	v_lshl_add_u64 v[112:113], v[104:105], 2, v[4:5]
	s_clause 0x1
	global_load_b32 v105, v[112:113], off
	global_load_b32 v111, v[4:5], off offset:96
	s_wait_loadcnt 0x1
	global_store_b32 v[4:5], v105, off offset:96
	s_wait_loadcnt 0x0
	global_store_b32 v[112:113], v111, off
.LBB96_518:
	s_wait_xcnt 0x0
	s_or_b32 exec_lo, exec_lo, s12
	v_dual_mov_b32 v112, v104 :: v_dual_mov_b32 v111, v104
.LBB96_519:
	s_or_b32 exec_lo, exec_lo, s1
.LBB96_520:
	s_and_not1_saveexec_b32 s0, s0
	s_cbranch_execz .LBB96_522
; %bb.521:
	v_mov_b32_e32 v112, 24
	ds_store_2addr_b64 v108, v[48:49], v[54:55] offset0:25 offset1:26
	ds_store_2addr_b64 v108, v[46:47], v[44:45] offset0:27 offset1:28
	;; [unrolled: 1-line block ×12, first 2 shown]
.LBB96_522:
	s_or_b32 exec_lo, exec_lo, s0
	s_delay_alu instid0(SALU_CYCLE_1)
	s_mov_b32 s0, exec_lo
	s_wait_storecnt_dscnt 0x0
	s_barrier_signal -1
	s_barrier_wait -1
	v_cmpx_lt_i32_e32 24, v112
	s_cbranch_execz .LBB96_524
; %bb.523:
	v_pk_mul_f32 v[114:115], v[106:107], v[56:57] op_sel:[1,1] op_sel_hi:[0,1]
	s_delay_alu instid0(VALU_DEP_1)
	v_pk_fma_f32 v[104:105], v[106:107], v[56:57], v[114:115] op_sel_hi:[1,0,1] neg_lo:[0,0,1] neg_hi:[0,0,1]
	v_pk_fma_f32 v[106:107], v[106:107], v[56:57], v[114:115] op_sel_hi:[1,0,1]
	ds_load_2addr_b64 v[114:117], v108 offset0:25 offset1:26
	v_dual_mov_b32 v56, v104 :: v_dual_mov_b32 v57, v107
	s_wait_dscnt 0x0
	v_pk_mul_f32 v[118:119], v[114:115], v[106:107] op_sel:[0,1]
	s_delay_alu instid0(VALU_DEP_1) | instskip(SKIP_1) | instid1(VALU_DEP_1)
	v_pk_fma_f32 v[120:121], v[114:115], v[104:105], v[118:119] op_sel:[0,0,1] op_sel_hi:[1,1,0] neg_lo:[0,0,1] neg_hi:[0,0,1]
	v_pk_fma_f32 v[114:115], v[114:115], v[104:105], v[118:119] op_sel:[0,0,1] op_sel_hi:[1,0,0]
	v_mov_b32_e32 v121, v115
	v_pk_mul_f32 v[114:115], v[116:117], v[106:107] op_sel:[0,1]
	s_delay_alu instid0(VALU_DEP_1) | instskip(SKIP_1) | instid1(VALU_DEP_1)
	v_pk_fma_f32 v[118:119], v[116:117], v[104:105], v[114:115] op_sel:[0,0,1] op_sel_hi:[1,1,0] neg_lo:[0,0,1] neg_hi:[0,0,1]
	v_pk_fma_f32 v[114:115], v[116:117], v[104:105], v[114:115] op_sel:[0,0,1] op_sel_hi:[1,0,0]
	v_mov_b32_e32 v119, v115
	ds_load_2addr_b64 v[114:117], v108 offset0:27 offset1:28
	v_pk_add_f32 v[48:49], v[48:49], v[120:121] neg_lo:[0,1] neg_hi:[0,1]
	v_pk_add_f32 v[54:55], v[54:55], v[118:119] neg_lo:[0,1] neg_hi:[0,1]
	s_wait_dscnt 0x0
	v_pk_mul_f32 v[118:119], v[114:115], v[106:107] op_sel:[0,1]
	s_delay_alu instid0(VALU_DEP_1) | instskip(SKIP_2) | instid1(VALU_DEP_2)
	v_pk_fma_f32 v[120:121], v[114:115], v[104:105], v[118:119] op_sel:[0,0,1] op_sel_hi:[1,1,0] neg_lo:[0,0,1] neg_hi:[0,0,1]
	v_pk_fma_f32 v[114:115], v[114:115], v[104:105], v[118:119] op_sel:[0,0,1] op_sel_hi:[1,0,0]
	v_dual_mul_f32 v118, v117, v107 :: v_dual_mov_b32 v114, v117
	v_dual_mov_b32 v121, v115 :: v_dual_mov_b32 v115, v116
	s_delay_alu instid0(VALU_DEP_2) | instskip(SKIP_1) | instid1(VALU_DEP_3)
	v_pk_fma_f32 v[118:119], v[116:117], v[56:57], v[118:119] op_sel_hi:[1,1,0] neg_lo:[0,0,1] neg_hi:[0,0,1]
	v_mul_f32_e32 v116, v117, v104
	v_pk_add_f32 v[46:47], v[46:47], v[120:121] neg_lo:[0,1] neg_hi:[0,1]
	s_delay_alu instid0(VALU_DEP_2) | instskip(NEXT) | instid1(VALU_DEP_1)
	v_pk_fma_f32 v[114:115], v[114:115], v[56:57], v[116:117] op_sel_hi:[1,1,0]
	v_mov_b32_e32 v119, v115
	ds_load_2addr_b64 v[114:117], v108 offset0:29 offset1:30
	v_pk_add_f32 v[44:45], v[44:45], v[118:119] neg_lo:[0,1] neg_hi:[0,1]
	s_wait_dscnt 0x0
	v_pk_mul_f32 v[118:119], v[114:115], v[106:107] op_sel:[0,1]
	s_delay_alu instid0(VALU_DEP_1) | instskip(SKIP_1) | instid1(VALU_DEP_1)
	v_pk_fma_f32 v[120:121], v[114:115], v[104:105], v[118:119] op_sel:[0,0,1] op_sel_hi:[1,1,0] neg_lo:[0,0,1] neg_hi:[0,0,1]
	v_pk_fma_f32 v[114:115], v[114:115], v[104:105], v[118:119] op_sel:[0,0,1] op_sel_hi:[1,0,0]
	v_mov_b32_e32 v121, v115
	v_pk_mul_f32 v[114:115], v[116:117], v[106:107] op_sel:[0,1]
	s_delay_alu instid0(VALU_DEP_1) | instskip(SKIP_1) | instid1(VALU_DEP_1)
	v_pk_fma_f32 v[118:119], v[116:117], v[104:105], v[114:115] op_sel:[0,0,1] op_sel_hi:[1,1,0] neg_lo:[0,0,1] neg_hi:[0,0,1]
	v_pk_fma_f32 v[114:115], v[116:117], v[104:105], v[114:115] op_sel:[0,0,1] op_sel_hi:[1,0,0]
	v_mov_b32_e32 v119, v115
	ds_load_2addr_b64 v[114:117], v108 offset0:31 offset1:32
	v_pk_add_f32 v[40:41], v[40:41], v[120:121] neg_lo:[0,1] neg_hi:[0,1]
	v_pk_add_f32 v[42:43], v[42:43], v[118:119] neg_lo:[0,1] neg_hi:[0,1]
	s_wait_dscnt 0x0
	v_pk_mul_f32 v[118:119], v[114:115], v[106:107] op_sel:[0,1]
	s_delay_alu instid0(VALU_DEP_1) | instskip(SKIP_1) | instid1(VALU_DEP_1)
	v_pk_fma_f32 v[120:121], v[114:115], v[104:105], v[118:119] op_sel:[0,0,1] op_sel_hi:[1,1,0] neg_lo:[0,0,1] neg_hi:[0,0,1]
	v_pk_fma_f32 v[114:115], v[114:115], v[104:105], v[118:119] op_sel:[0,0,1] op_sel_hi:[1,0,0]
	v_mov_b32_e32 v121, v115
	v_pk_mul_f32 v[114:115], v[116:117], v[106:107] op_sel:[0,1]
	s_delay_alu instid0(VALU_DEP_1) | instskip(SKIP_1) | instid1(VALU_DEP_1)
	v_pk_fma_f32 v[118:119], v[116:117], v[104:105], v[114:115] op_sel:[0,0,1] op_sel_hi:[1,1,0] neg_lo:[0,0,1] neg_hi:[0,0,1]
	v_pk_fma_f32 v[114:115], v[116:117], v[104:105], v[114:115] op_sel:[0,0,1] op_sel_hi:[1,0,0]
	v_mov_b32_e32 v119, v115
	ds_load_2addr_b64 v[114:117], v108 offset0:33 offset1:34
	v_pk_add_f32 v[38:39], v[38:39], v[120:121] neg_lo:[0,1] neg_hi:[0,1]
	v_pk_add_f32 v[36:37], v[36:37], v[118:119] neg_lo:[0,1] neg_hi:[0,1]
	s_wait_dscnt 0x0
	v_dual_mul_f32 v118, v115, v107 :: v_dual_mul_f32 v120, v115, v104
	s_delay_alu instid0(VALU_DEP_1) | instskip(NEXT) | instid1(VALU_DEP_2)
	v_pk_fma_f32 v[118:119], v[114:115], v[56:57], v[118:119] op_sel_hi:[1,1,0] neg_lo:[0,0,1] neg_hi:[0,0,1]
	v_pk_fma_f32 v[114:115], v[114:115], v[56:57], v[120:121] op_sel:[1,0,0] op_sel_hi:[0,1,0]
	s_delay_alu instid0(VALU_DEP_1) | instskip(SKIP_1) | instid1(VALU_DEP_2)
	v_mov_b32_e32 v119, v115
	v_pk_mul_f32 v[114:115], v[116:117], v[106:107] op_sel:[0,1]
	v_pk_add_f32 v[32:33], v[32:33], v[118:119] neg_lo:[0,1] neg_hi:[0,1]
	s_delay_alu instid0(VALU_DEP_2) | instskip(SKIP_1) | instid1(VALU_DEP_1)
	v_pk_fma_f32 v[118:119], v[116:117], v[104:105], v[114:115] op_sel:[0,0,1] op_sel_hi:[1,1,0] neg_lo:[0,0,1] neg_hi:[0,0,1]
	v_pk_fma_f32 v[114:115], v[116:117], v[104:105], v[114:115] op_sel:[0,0,1] op_sel_hi:[1,0,0]
	v_mov_b32_e32 v119, v115
	ds_load_2addr_b64 v[114:117], v108 offset0:35 offset1:36
	v_pk_add_f32 v[34:35], v[34:35], v[118:119] neg_lo:[0,1] neg_hi:[0,1]
	s_wait_dscnt 0x0
	v_pk_mul_f32 v[118:119], v[114:115], v[106:107] op_sel:[0,1]
	s_delay_alu instid0(VALU_DEP_1) | instskip(SKIP_1) | instid1(VALU_DEP_1)
	v_pk_fma_f32 v[120:121], v[114:115], v[104:105], v[118:119] op_sel:[0,0,1] op_sel_hi:[1,1,0] neg_lo:[0,0,1] neg_hi:[0,0,1]
	v_pk_fma_f32 v[114:115], v[114:115], v[104:105], v[118:119] op_sel:[0,0,1] op_sel_hi:[1,0,0]
	v_mov_b32_e32 v121, v115
	v_pk_mul_f32 v[114:115], v[116:117], v[106:107] op_sel:[0,1]
	s_delay_alu instid0(VALU_DEP_2) | instskip(NEXT) | instid1(VALU_DEP_2)
	v_pk_add_f32 v[30:31], v[30:31], v[120:121] neg_lo:[0,1] neg_hi:[0,1]
	v_pk_fma_f32 v[118:119], v[116:117], v[104:105], v[114:115] op_sel:[0,0,1] op_sel_hi:[1,1,0] neg_lo:[0,0,1] neg_hi:[0,0,1]
	v_pk_fma_f32 v[114:115], v[116:117], v[104:105], v[114:115] op_sel:[0,0,1] op_sel_hi:[1,0,0]
	s_delay_alu instid0(VALU_DEP_1) | instskip(SKIP_4) | instid1(VALU_DEP_1)
	v_mov_b32_e32 v119, v115
	ds_load_2addr_b64 v[114:117], v108 offset0:37 offset1:38
	v_pk_add_f32 v[26:27], v[26:27], v[118:119] neg_lo:[0,1] neg_hi:[0,1]
	s_wait_dscnt 0x0
	v_pk_mul_f32 v[118:119], v[114:115], v[106:107] op_sel:[0,1]
	v_pk_fma_f32 v[120:121], v[114:115], v[104:105], v[118:119] op_sel:[0,0,1] op_sel_hi:[1,1,0] neg_lo:[0,0,1] neg_hi:[0,0,1]
	v_pk_fma_f32 v[114:115], v[114:115], v[104:105], v[118:119] op_sel:[0,0,1] op_sel_hi:[1,0,0]
	v_dual_mul_f32 v118, v117, v107 :: v_dual_mov_b32 v114, v117
	s_delay_alu instid0(VALU_DEP_2) | instskip(NEXT) | instid1(VALU_DEP_2)
	v_dual_mov_b32 v121, v115 :: v_dual_mov_b32 v115, v116
	v_pk_fma_f32 v[118:119], v[116:117], v[56:57], v[118:119] op_sel_hi:[1,1,0] neg_lo:[0,0,1] neg_hi:[0,0,1]
	v_mul_f32_e32 v116, v117, v104
	s_delay_alu instid0(VALU_DEP_3) | instskip(NEXT) | instid1(VALU_DEP_2)
	v_pk_add_f32 v[22:23], v[22:23], v[120:121] neg_lo:[0,1] neg_hi:[0,1]
	v_pk_fma_f32 v[114:115], v[114:115], v[56:57], v[116:117] op_sel_hi:[1,1,0]
	s_delay_alu instid0(VALU_DEP_1) | instskip(SKIP_4) | instid1(VALU_DEP_1)
	v_mov_b32_e32 v119, v115
	ds_load_2addr_b64 v[114:117], v108 offset0:39 offset1:40
	v_pk_add_f32 v[24:25], v[24:25], v[118:119] neg_lo:[0,1] neg_hi:[0,1]
	s_wait_dscnt 0x0
	v_pk_mul_f32 v[118:119], v[114:115], v[106:107] op_sel:[0,1]
	v_pk_fma_f32 v[120:121], v[114:115], v[104:105], v[118:119] op_sel:[0,0,1] op_sel_hi:[1,1,0] neg_lo:[0,0,1] neg_hi:[0,0,1]
	v_pk_fma_f32 v[114:115], v[114:115], v[104:105], v[118:119] op_sel:[0,0,1] op_sel_hi:[1,0,0]
	s_delay_alu instid0(VALU_DEP_1) | instskip(SKIP_1) | instid1(VALU_DEP_1)
	v_mov_b32_e32 v121, v115
	v_pk_mul_f32 v[114:115], v[116:117], v[106:107] op_sel:[0,1]
	v_pk_fma_f32 v[118:119], v[116:117], v[104:105], v[114:115] op_sel:[0,0,1] op_sel_hi:[1,1,0] neg_lo:[0,0,1] neg_hi:[0,0,1]
	v_pk_fma_f32 v[114:115], v[116:117], v[104:105], v[114:115] op_sel:[0,0,1] op_sel_hi:[1,0,0]
	s_delay_alu instid0(VALU_DEP_1)
	v_mov_b32_e32 v119, v115
	ds_load_2addr_b64 v[114:117], v108 offset0:41 offset1:42
	v_pk_add_f32 v[20:21], v[20:21], v[120:121] neg_lo:[0,1] neg_hi:[0,1]
	v_pk_add_f32 v[14:15], v[14:15], v[118:119] neg_lo:[0,1] neg_hi:[0,1]
	s_wait_dscnt 0x0
	v_pk_mul_f32 v[118:119], v[114:115], v[106:107] op_sel:[0,1]
	s_delay_alu instid0(VALU_DEP_1) | instskip(SKIP_1) | instid1(VALU_DEP_1)
	v_pk_fma_f32 v[120:121], v[114:115], v[104:105], v[118:119] op_sel:[0,0,1] op_sel_hi:[1,1,0] neg_lo:[0,0,1] neg_hi:[0,0,1]
	v_pk_fma_f32 v[114:115], v[114:115], v[104:105], v[118:119] op_sel:[0,0,1] op_sel_hi:[1,0,0]
	v_mov_b32_e32 v121, v115
	v_pk_mul_f32 v[114:115], v[116:117], v[106:107] op_sel:[0,1]
	s_delay_alu instid0(VALU_DEP_1) | instskip(SKIP_1) | instid1(VALU_DEP_1)
	v_pk_fma_f32 v[118:119], v[116:117], v[104:105], v[114:115] op_sel:[0,0,1] op_sel_hi:[1,1,0] neg_lo:[0,0,1] neg_hi:[0,0,1]
	v_pk_fma_f32 v[114:115], v[116:117], v[104:105], v[114:115] op_sel:[0,0,1] op_sel_hi:[1,0,0]
	v_mov_b32_e32 v119, v115
	ds_load_2addr_b64 v[114:117], v108 offset0:43 offset1:44
	v_pk_add_f32 v[10:11], v[10:11], v[120:121] neg_lo:[0,1] neg_hi:[0,1]
	v_pk_add_f32 v[12:13], v[12:13], v[118:119] neg_lo:[0,1] neg_hi:[0,1]
	s_wait_dscnt 0x0
	v_dual_mul_f32 v118, v115, v107 :: v_dual_mul_f32 v120, v115, v104
	s_delay_alu instid0(VALU_DEP_1) | instskip(NEXT) | instid1(VALU_DEP_2)
	v_pk_fma_f32 v[118:119], v[114:115], v[56:57], v[118:119] op_sel_hi:[1,1,0] neg_lo:[0,0,1] neg_hi:[0,0,1]
	v_pk_fma_f32 v[114:115], v[114:115], v[56:57], v[120:121] op_sel:[1,0,0] op_sel_hi:[0,1,0]
	s_delay_alu instid0(VALU_DEP_1) | instskip(SKIP_1) | instid1(VALU_DEP_2)
	v_mov_b32_e32 v119, v115
	v_pk_mul_f32 v[114:115], v[116:117], v[106:107] op_sel:[0,1]
	v_pk_add_f32 v[8:9], v[8:9], v[118:119] neg_lo:[0,1] neg_hi:[0,1]
	s_delay_alu instid0(VALU_DEP_2) | instskip(SKIP_1) | instid1(VALU_DEP_1)
	v_pk_fma_f32 v[118:119], v[116:117], v[104:105], v[114:115] op_sel:[0,0,1] op_sel_hi:[1,1,0] neg_lo:[0,0,1] neg_hi:[0,0,1]
	v_pk_fma_f32 v[114:115], v[116:117], v[104:105], v[114:115] op_sel:[0,0,1] op_sel_hi:[1,0,0]
	v_mov_b32_e32 v119, v115
	ds_load_2addr_b64 v[114:117], v108 offset0:45 offset1:46
	v_pk_add_f32 v[6:7], v[6:7], v[118:119] neg_lo:[0,1] neg_hi:[0,1]
	s_wait_dscnt 0x0
	v_pk_mul_f32 v[118:119], v[114:115], v[106:107] op_sel:[0,1]
	s_delay_alu instid0(VALU_DEP_1) | instskip(SKIP_1) | instid1(VALU_DEP_1)
	v_pk_fma_f32 v[120:121], v[114:115], v[104:105], v[118:119] op_sel:[0,0,1] op_sel_hi:[1,1,0] neg_lo:[0,0,1] neg_hi:[0,0,1]
	v_pk_fma_f32 v[114:115], v[114:115], v[104:105], v[118:119] op_sel:[0,0,1] op_sel_hi:[1,0,0]
	v_mov_b32_e32 v121, v115
	v_pk_mul_f32 v[114:115], v[116:117], v[106:107] op_sel:[0,1]
	s_delay_alu instid0(VALU_DEP_2) | instskip(NEXT) | instid1(VALU_DEP_2)
	v_pk_add_f32 v[28:29], v[28:29], v[120:121] neg_lo:[0,1] neg_hi:[0,1]
	v_pk_fma_f32 v[118:119], v[116:117], v[104:105], v[114:115] op_sel:[0,0,1] op_sel_hi:[1,1,0] neg_lo:[0,0,1] neg_hi:[0,0,1]
	v_pk_fma_f32 v[114:115], v[116:117], v[104:105], v[114:115] op_sel:[0,0,1] op_sel_hi:[1,0,0]
	s_delay_alu instid0(VALU_DEP_1)
	v_mov_b32_e32 v119, v115
	ds_load_2addr_b64 v[114:117], v108 offset0:47 offset1:48
	v_pk_add_f32 v[18:19], v[18:19], v[118:119] neg_lo:[0,1] neg_hi:[0,1]
	s_wait_dscnt 0x0
	v_pk_mul_f32 v[118:119], v[114:115], v[106:107] op_sel:[0,1]
	v_mul_f32_e32 v106, v117, v107
	s_delay_alu instid0(VALU_DEP_2) | instskip(SKIP_2) | instid1(VALU_DEP_4)
	v_pk_fma_f32 v[120:121], v[114:115], v[104:105], v[118:119] op_sel:[0,0,1] op_sel_hi:[1,1,0] neg_lo:[0,0,1] neg_hi:[0,0,1]
	v_pk_fma_f32 v[114:115], v[114:115], v[104:105], v[118:119] op_sel:[0,0,1] op_sel_hi:[1,0,0]
	v_dual_mov_b32 v114, v117 :: v_dual_mul_f32 v104, v117, v104
	v_pk_fma_f32 v[106:107], v[116:117], v[56:57], v[106:107] op_sel_hi:[1,1,0] neg_lo:[0,0,1] neg_hi:[0,0,1]
	s_delay_alu instid0(VALU_DEP_3) | instskip(NEXT) | instid1(VALU_DEP_1)
	v_dual_mov_b32 v121, v115 :: v_dual_mov_b32 v115, v116
	v_pk_add_f32 v[16:17], v[16:17], v[120:121] neg_lo:[0,1] neg_hi:[0,1]
	s_delay_alu instid0(VALU_DEP_2) | instskip(NEXT) | instid1(VALU_DEP_1)
	v_pk_fma_f32 v[104:105], v[114:115], v[56:57], v[104:105] op_sel_hi:[1,1,0]
	v_mov_b32_e32 v107, v105
	s_delay_alu instid0(VALU_DEP_1)
	v_pk_add_f32 v[102:103], v[102:103], v[106:107] neg_lo:[0,1] neg_hi:[0,1]
.LBB96_524:
	s_or_b32 exec_lo, exec_lo, s0
	v_lshl_add_u32 v104, v112, 3, v108
	s_barrier_signal -1
	s_barrier_wait -1
	ds_store_b64 v104, v[48:49]
	s_wait_dscnt 0x0
	s_barrier_signal -1
	s_barrier_wait -1
	ds_load_b64 v[106:107], v108 offset:200
	v_mov_b32_e32 v104, 25
	s_cmp_lt_i32 s18, 27
	s_cbranch_scc1 .LBB96_527
; %bb.525:
	v_add3_u32 v105, v109, 0, 0xd0
	v_mov_b32_e32 v104, 25
	s_mov_b32 s0, 26
.LBB96_526:                             ; =>This Inner Loop Header: Depth=1
	ds_load_b64 v[114:115], v105
	s_wait_dscnt 0x1
	v_cmp_gt_f32_e32 vcc_lo, 0, v106
	v_cndmask_b32_e64 v116, v106, -v106, vcc_lo
	v_cmp_gt_f32_e32 vcc_lo, 0, v107
	v_cndmask_b32_e64 v118, v107, -v107, vcc_lo
	s_wait_dscnt 0x0
	v_cmp_gt_f32_e32 vcc_lo, 0, v114
	v_cndmask_b32_e64 v117, v114, -v114, vcc_lo
	v_cmp_gt_f32_e32 vcc_lo, 0, v115
	v_cndmask_b32_e64 v119, v115, -v115, vcc_lo
	s_delay_alu instid0(VALU_DEP_1) | instskip(NEXT) | instid1(VALU_DEP_1)
	v_pk_add_f32 v[116:117], v[116:117], v[118:119]
	v_cmp_lt_f32_e32 vcc_lo, v116, v117
	v_dual_add_nc_u32 v105, 8, v105 :: v_dual_cndmask_b32 v107, v107, v115, vcc_lo
	v_cndmask_b32_e32 v106, v106, v114, vcc_lo
	v_cndmask_b32_e64 v104, v104, s0, vcc_lo
	s_add_co_i32 s0, s0, 1
	s_delay_alu instid0(SALU_CYCLE_1)
	s_cmp_lg_u32 s18, s0
	s_cbranch_scc1 .LBB96_526
.LBB96_527:
	s_wait_dscnt 0x0
	v_cmp_eq_f32_e32 vcc_lo, 0, v106
	v_cmp_eq_f32_e64 s0, 0, v107
	s_and_b32 s0, vcc_lo, s0
	s_delay_alu instid0(SALU_CYCLE_1) | instskip(NEXT) | instid1(SALU_CYCLE_1)
	s_and_saveexec_b32 s1, s0
	s_xor_b32 s0, exec_lo, s1
; %bb.528:
	v_cmp_ne_u32_e32 vcc_lo, 0, v110
	v_cndmask_b32_e32 v110, 26, v110, vcc_lo
; %bb.529:
	s_and_not1_saveexec_b32 s0, s0
	s_cbranch_execz .LBB96_535
; %bb.530:
	v_cmp_ngt_f32_e64 s1, |v106|, |v107|
	s_and_saveexec_b32 s12, s1
	s_delay_alu instid0(SALU_CYCLE_1)
	s_xor_b32 s1, exec_lo, s12
	s_cbranch_execz .LBB96_532
; %bb.531:
	v_div_scale_f32 v105, null, v107, v107, v106
	v_div_scale_f32 v115, vcc_lo, v106, v107, v106
	s_delay_alu instid0(VALU_DEP_2) | instskip(SKIP_1) | instid1(TRANS32_DEP_1)
	v_rcp_f32_e32 v113, v105
	v_nop
	v_fma_f32 v114, -v105, v113, 1.0
	s_delay_alu instid0(VALU_DEP_1) | instskip(NEXT) | instid1(VALU_DEP_1)
	v_fmac_f32_e32 v113, v114, v113
	v_mul_f32_e32 v114, v115, v113
	s_delay_alu instid0(VALU_DEP_1) | instskip(NEXT) | instid1(VALU_DEP_1)
	v_fma_f32 v116, -v105, v114, v115
	v_fmac_f32_e32 v114, v116, v113
	s_delay_alu instid0(VALU_DEP_1) | instskip(NEXT) | instid1(VALU_DEP_1)
	v_fma_f32 v105, -v105, v114, v115
	v_div_fmas_f32 v105, v105, v113, v114
	s_delay_alu instid0(VALU_DEP_1) | instskip(NEXT) | instid1(VALU_DEP_1)
	v_div_fixup_f32 v105, v105, v107, v106
	v_fmac_f32_e32 v107, v106, v105
	s_delay_alu instid0(VALU_DEP_1) | instskip(SKIP_1) | instid1(VALU_DEP_2)
	v_div_scale_f32 v106, null, v107, v107, 1.0
	v_div_scale_f32 v115, vcc_lo, 1.0, v107, 1.0
	v_rcp_f32_e32 v113, v106
	v_nop
	s_delay_alu instid0(TRANS32_DEP_1) | instskip(NEXT) | instid1(VALU_DEP_1)
	v_fma_f32 v114, -v106, v113, 1.0
	v_fmac_f32_e32 v113, v114, v113
	s_delay_alu instid0(VALU_DEP_1) | instskip(NEXT) | instid1(VALU_DEP_1)
	v_mul_f32_e32 v114, v115, v113
	v_fma_f32 v116, -v106, v114, v115
	s_delay_alu instid0(VALU_DEP_1) | instskip(NEXT) | instid1(VALU_DEP_1)
	v_fmac_f32_e32 v114, v116, v113
	v_fma_f32 v106, -v106, v114, v115
	s_delay_alu instid0(VALU_DEP_1) | instskip(NEXT) | instid1(VALU_DEP_1)
	v_div_fmas_f32 v106, v106, v113, v114
	v_div_fixup_f32 v107, v106, v107, 1.0
	s_delay_alu instid0(VALU_DEP_1)
	v_mul_f32_e32 v106, v105, v107
	v_xor_b32_e32 v107, 0x80000000, v107
.LBB96_532:
	s_and_not1_saveexec_b32 s1, s1
	s_cbranch_execz .LBB96_534
; %bb.533:
	s_delay_alu instid0(VALU_DEP_1) | instskip(SKIP_1) | instid1(VALU_DEP_2)
	v_div_scale_f32 v105, null, v106, v106, v107
	v_div_scale_f32 v115, vcc_lo, v107, v106, v107
	v_rcp_f32_e32 v113, v105
	v_nop
	s_delay_alu instid0(TRANS32_DEP_1) | instskip(NEXT) | instid1(VALU_DEP_1)
	v_fma_f32 v114, -v105, v113, 1.0
	v_fmac_f32_e32 v113, v114, v113
	s_delay_alu instid0(VALU_DEP_1) | instskip(NEXT) | instid1(VALU_DEP_1)
	v_mul_f32_e32 v114, v115, v113
	v_fma_f32 v116, -v105, v114, v115
	s_delay_alu instid0(VALU_DEP_1) | instskip(NEXT) | instid1(VALU_DEP_1)
	v_fmac_f32_e32 v114, v116, v113
	v_fma_f32 v105, -v105, v114, v115
	s_delay_alu instid0(VALU_DEP_1) | instskip(NEXT) | instid1(VALU_DEP_1)
	v_div_fmas_f32 v105, v105, v113, v114
	v_div_fixup_f32 v105, v105, v106, v107
	s_delay_alu instid0(VALU_DEP_1) | instskip(NEXT) | instid1(VALU_DEP_1)
	v_fmac_f32_e32 v106, v107, v105
	v_div_scale_f32 v107, null, v106, v106, 1.0
	s_delay_alu instid0(VALU_DEP_1) | instskip(SKIP_1) | instid1(TRANS32_DEP_1)
	v_rcp_f32_e32 v113, v107
	v_nop
	v_fma_f32 v114, -v107, v113, 1.0
	s_delay_alu instid0(VALU_DEP_1) | instskip(SKIP_1) | instid1(VALU_DEP_1)
	v_fmac_f32_e32 v113, v114, v113
	v_div_scale_f32 v114, vcc_lo, 1.0, v106, 1.0
	v_mul_f32_e32 v115, v114, v113
	s_delay_alu instid0(VALU_DEP_1) | instskip(NEXT) | instid1(VALU_DEP_1)
	v_fma_f32 v116, -v107, v115, v114
	v_fmac_f32_e32 v115, v116, v113
	s_delay_alu instid0(VALU_DEP_1) | instskip(NEXT) | instid1(VALU_DEP_1)
	v_fma_f32 v107, -v107, v115, v114
	v_div_fmas_f32 v107, v107, v113, v115
	s_delay_alu instid0(VALU_DEP_1) | instskip(NEXT) | instid1(VALU_DEP_1)
	v_div_fixup_f32 v106, v107, v106, 1.0
	v_mul_f32_e64 v107, v105, -v106
.LBB96_534:
	s_or_b32 exec_lo, exec_lo, s1
.LBB96_535:
	s_delay_alu instid0(SALU_CYCLE_1) | instskip(NEXT) | instid1(SALU_CYCLE_1)
	s_or_b32 exec_lo, exec_lo, s0
	s_mov_b32 s0, exec_lo
	v_cmpx_ne_u32_e64 v112, v104
	s_xor_b32 s0, exec_lo, s0
	s_cbranch_execz .LBB96_541
; %bb.536:
	s_mov_b32 s1, exec_lo
	v_cmpx_eq_u32_e32 25, v112
	s_cbranch_execz .LBB96_540
; %bb.537:
	v_cmp_ne_u32_e32 vcc_lo, 25, v104
	s_xor_b32 s12, s16, -1
	s_delay_alu instid0(SALU_CYCLE_1) | instskip(NEXT) | instid1(SALU_CYCLE_1)
	s_and_b32 s13, s12, vcc_lo
	s_and_saveexec_b32 s12, s13
	s_cbranch_execz .LBB96_539
; %bb.538:
	v_ashrrev_i32_e32 v105, 31, v104
	s_delay_alu instid0(VALU_DEP_1)
	v_lshl_add_u64 v[112:113], v[104:105], 2, v[4:5]
	s_clause 0x1
	global_load_b32 v105, v[112:113], off
	global_load_b32 v111, v[4:5], off offset:100
	s_wait_loadcnt 0x1
	global_store_b32 v[4:5], v105, off offset:100
	s_wait_loadcnt 0x0
	global_store_b32 v[112:113], v111, off
.LBB96_539:
	s_wait_xcnt 0x0
	s_or_b32 exec_lo, exec_lo, s12
	v_dual_mov_b32 v112, v104 :: v_dual_mov_b32 v111, v104
.LBB96_540:
	s_or_b32 exec_lo, exec_lo, s1
.LBB96_541:
	s_and_not1_saveexec_b32 s0, s0
	s_cbranch_execz .LBB96_543
; %bb.542:
	v_dual_mov_b32 v104, v54 :: v_dual_mov_b32 v105, v55
	v_dual_mov_b32 v112, v46 :: v_dual_mov_b32 v113, v47
	ds_store_2addr_b64 v108, v[104:105], v[112:113] offset0:26 offset1:27
	v_dual_mov_b32 v104, v44 :: v_dual_mov_b32 v105, v45
	v_dual_mov_b32 v112, v40 :: v_dual_mov_b32 v113, v41
	ds_store_2addr_b64 v108, v[104:105], v[112:113] offset0:28 offset1:29
	v_dual_mov_b32 v104, v42 :: v_dual_mov_b32 v105, v43
	v_dual_mov_b32 v112, v38 :: v_dual_mov_b32 v113, v39
	ds_store_2addr_b64 v108, v[104:105], v[112:113] offset0:30 offset1:31
	v_dual_mov_b32 v104, v36 :: v_dual_mov_b32 v105, v37
	v_dual_mov_b32 v112, v32 :: v_dual_mov_b32 v113, v33
	ds_store_2addr_b64 v108, v[104:105], v[112:113] offset0:32 offset1:33
	v_dual_mov_b32 v104, v34 :: v_dual_mov_b32 v105, v35
	v_dual_mov_b32 v112, v30 :: v_dual_mov_b32 v113, v31
	ds_store_2addr_b64 v108, v[104:105], v[112:113] offset0:34 offset1:35
	v_dual_mov_b32 v104, v26 :: v_dual_mov_b32 v105, v27
	v_dual_mov_b32 v112, v22 :: v_dual_mov_b32 v113, v23
	ds_store_2addr_b64 v108, v[104:105], v[112:113] offset0:36 offset1:37
	v_dual_mov_b32 v104, v24 :: v_dual_mov_b32 v105, v25
	v_dual_mov_b32 v112, v20 :: v_dual_mov_b32 v113, v21
	ds_store_2addr_b64 v108, v[104:105], v[112:113] offset0:38 offset1:39
	v_dual_mov_b32 v104, v14 :: v_dual_mov_b32 v105, v15
	v_dual_mov_b32 v112, v10 :: v_dual_mov_b32 v113, v11
	ds_store_2addr_b64 v108, v[104:105], v[112:113] offset0:40 offset1:41
	v_dual_mov_b32 v104, v12 :: v_dual_mov_b32 v105, v13
	v_dual_mov_b32 v112, v8 :: v_dual_mov_b32 v113, v9
	ds_store_2addr_b64 v108, v[104:105], v[112:113] offset0:42 offset1:43
	v_dual_mov_b32 v104, v6 :: v_dual_mov_b32 v105, v7
	v_dual_mov_b32 v112, v28 :: v_dual_mov_b32 v113, v29
	ds_store_2addr_b64 v108, v[104:105], v[112:113] offset0:44 offset1:45
	v_dual_mov_b32 v104, v18 :: v_dual_mov_b32 v105, v19
	v_dual_mov_b32 v112, v16 :: v_dual_mov_b32 v113, v17
	ds_store_2addr_b64 v108, v[104:105], v[112:113] offset0:46 offset1:47
	ds_store_b64 v108, v[102:103] offset:384
	v_mov_b32_e32 v112, 25
.LBB96_543:
	s_or_b32 exec_lo, exec_lo, s0
	s_delay_alu instid0(SALU_CYCLE_1)
	s_mov_b32 s0, exec_lo
	s_wait_storecnt_dscnt 0x0
	s_barrier_signal -1
	s_barrier_wait -1
	v_cmpx_lt_i32_e32 25, v112
	s_cbranch_execz .LBB96_545
; %bb.544:
	v_pk_mul_f32 v[114:115], v[106:107], v[48:49] op_sel:[1,1] op_sel_hi:[0,1]
	s_delay_alu instid0(VALU_DEP_1)
	v_pk_fma_f32 v[104:105], v[106:107], v[48:49], v[114:115] op_sel_hi:[1,0,1] neg_lo:[0,0,1] neg_hi:[0,0,1]
	v_pk_fma_f32 v[106:107], v[106:107], v[48:49], v[114:115] op_sel_hi:[1,0,1]
	ds_load_2addr_b64 v[114:117], v108 offset0:26 offset1:27
	v_dual_mov_b32 v48, v104 :: v_dual_mov_b32 v49, v107
	s_wait_dscnt 0x0
	v_pk_mul_f32 v[118:119], v[114:115], v[106:107] op_sel:[0,1]
	s_delay_alu instid0(VALU_DEP_1) | instskip(SKIP_1) | instid1(VALU_DEP_1)
	v_pk_fma_f32 v[120:121], v[114:115], v[104:105], v[118:119] op_sel:[0,0,1] op_sel_hi:[1,1,0] neg_lo:[0,0,1] neg_hi:[0,0,1]
	v_pk_fma_f32 v[114:115], v[114:115], v[104:105], v[118:119] op_sel:[0,0,1] op_sel_hi:[1,0,0]
	v_mov_b32_e32 v121, v115
	v_pk_mul_f32 v[114:115], v[116:117], v[106:107] op_sel:[0,1]
	s_delay_alu instid0(VALU_DEP_1) | instskip(SKIP_1) | instid1(VALU_DEP_1)
	v_pk_fma_f32 v[118:119], v[116:117], v[104:105], v[114:115] op_sel:[0,0,1] op_sel_hi:[1,1,0] neg_lo:[0,0,1] neg_hi:[0,0,1]
	v_pk_fma_f32 v[114:115], v[116:117], v[104:105], v[114:115] op_sel:[0,0,1] op_sel_hi:[1,0,0]
	v_mov_b32_e32 v119, v115
	ds_load_2addr_b64 v[114:117], v108 offset0:28 offset1:29
	v_pk_add_f32 v[54:55], v[54:55], v[120:121] neg_lo:[0,1] neg_hi:[0,1]
	v_pk_add_f32 v[46:47], v[46:47], v[118:119] neg_lo:[0,1] neg_hi:[0,1]
	s_wait_dscnt 0x0
	v_pk_mul_f32 v[118:119], v[114:115], v[106:107] op_sel:[0,1]
	s_delay_alu instid0(VALU_DEP_1) | instskip(SKIP_2) | instid1(VALU_DEP_2)
	v_pk_fma_f32 v[120:121], v[114:115], v[104:105], v[118:119] op_sel:[0,0,1] op_sel_hi:[1,1,0] neg_lo:[0,0,1] neg_hi:[0,0,1]
	v_pk_fma_f32 v[114:115], v[114:115], v[104:105], v[118:119] op_sel:[0,0,1] op_sel_hi:[1,0,0]
	v_dual_mul_f32 v118, v117, v107 :: v_dual_mov_b32 v114, v117
	v_dual_mov_b32 v121, v115 :: v_dual_mov_b32 v115, v116
	s_delay_alu instid0(VALU_DEP_2) | instskip(SKIP_1) | instid1(VALU_DEP_3)
	v_pk_fma_f32 v[118:119], v[116:117], v[48:49], v[118:119] op_sel_hi:[1,1,0] neg_lo:[0,0,1] neg_hi:[0,0,1]
	v_mul_f32_e32 v116, v117, v104
	v_pk_add_f32 v[44:45], v[44:45], v[120:121] neg_lo:[0,1] neg_hi:[0,1]
	s_delay_alu instid0(VALU_DEP_2) | instskip(NEXT) | instid1(VALU_DEP_1)
	v_pk_fma_f32 v[114:115], v[114:115], v[48:49], v[116:117] op_sel_hi:[1,1,0]
	v_mov_b32_e32 v119, v115
	ds_load_2addr_b64 v[114:117], v108 offset0:30 offset1:31
	v_pk_add_f32 v[40:41], v[40:41], v[118:119] neg_lo:[0,1] neg_hi:[0,1]
	s_wait_dscnt 0x0
	v_pk_mul_f32 v[118:119], v[114:115], v[106:107] op_sel:[0,1]
	s_delay_alu instid0(VALU_DEP_1) | instskip(SKIP_1) | instid1(VALU_DEP_1)
	v_pk_fma_f32 v[120:121], v[114:115], v[104:105], v[118:119] op_sel:[0,0,1] op_sel_hi:[1,1,0] neg_lo:[0,0,1] neg_hi:[0,0,1]
	v_pk_fma_f32 v[114:115], v[114:115], v[104:105], v[118:119] op_sel:[0,0,1] op_sel_hi:[1,0,0]
	v_mov_b32_e32 v121, v115
	v_pk_mul_f32 v[114:115], v[116:117], v[106:107] op_sel:[0,1]
	s_delay_alu instid0(VALU_DEP_1) | instskip(SKIP_1) | instid1(VALU_DEP_1)
	v_pk_fma_f32 v[118:119], v[116:117], v[104:105], v[114:115] op_sel:[0,0,1] op_sel_hi:[1,1,0] neg_lo:[0,0,1] neg_hi:[0,0,1]
	v_pk_fma_f32 v[114:115], v[116:117], v[104:105], v[114:115] op_sel:[0,0,1] op_sel_hi:[1,0,0]
	v_mov_b32_e32 v119, v115
	ds_load_2addr_b64 v[114:117], v108 offset0:32 offset1:33
	v_pk_add_f32 v[42:43], v[42:43], v[120:121] neg_lo:[0,1] neg_hi:[0,1]
	v_pk_add_f32 v[38:39], v[38:39], v[118:119] neg_lo:[0,1] neg_hi:[0,1]
	s_wait_dscnt 0x0
	v_pk_mul_f32 v[118:119], v[114:115], v[106:107] op_sel:[0,1]
	s_delay_alu instid0(VALU_DEP_1) | instskip(SKIP_1) | instid1(VALU_DEP_1)
	v_pk_fma_f32 v[120:121], v[114:115], v[104:105], v[118:119] op_sel:[0,0,1] op_sel_hi:[1,1,0] neg_lo:[0,0,1] neg_hi:[0,0,1]
	v_pk_fma_f32 v[114:115], v[114:115], v[104:105], v[118:119] op_sel:[0,0,1] op_sel_hi:[1,0,0]
	v_mov_b32_e32 v121, v115
	v_pk_mul_f32 v[114:115], v[116:117], v[106:107] op_sel:[0,1]
	s_delay_alu instid0(VALU_DEP_1) | instskip(SKIP_1) | instid1(VALU_DEP_1)
	v_pk_fma_f32 v[118:119], v[116:117], v[104:105], v[114:115] op_sel:[0,0,1] op_sel_hi:[1,1,0] neg_lo:[0,0,1] neg_hi:[0,0,1]
	v_pk_fma_f32 v[114:115], v[116:117], v[104:105], v[114:115] op_sel:[0,0,1] op_sel_hi:[1,0,0]
	v_mov_b32_e32 v119, v115
	ds_load_2addr_b64 v[114:117], v108 offset0:34 offset1:35
	v_pk_add_f32 v[36:37], v[36:37], v[120:121] neg_lo:[0,1] neg_hi:[0,1]
	v_pk_add_f32 v[32:33], v[32:33], v[118:119] neg_lo:[0,1] neg_hi:[0,1]
	s_wait_dscnt 0x0
	v_dual_mul_f32 v118, v115, v107 :: v_dual_mul_f32 v120, v115, v104
	s_delay_alu instid0(VALU_DEP_1) | instskip(NEXT) | instid1(VALU_DEP_2)
	v_pk_fma_f32 v[118:119], v[114:115], v[48:49], v[118:119] op_sel_hi:[1,1,0] neg_lo:[0,0,1] neg_hi:[0,0,1]
	v_pk_fma_f32 v[114:115], v[114:115], v[48:49], v[120:121] op_sel:[1,0,0] op_sel_hi:[0,1,0]
	s_delay_alu instid0(VALU_DEP_1) | instskip(SKIP_1) | instid1(VALU_DEP_2)
	v_mov_b32_e32 v119, v115
	v_pk_mul_f32 v[114:115], v[116:117], v[106:107] op_sel:[0,1]
	v_pk_add_f32 v[34:35], v[34:35], v[118:119] neg_lo:[0,1] neg_hi:[0,1]
	s_delay_alu instid0(VALU_DEP_2) | instskip(SKIP_1) | instid1(VALU_DEP_1)
	v_pk_fma_f32 v[118:119], v[116:117], v[104:105], v[114:115] op_sel:[0,0,1] op_sel_hi:[1,1,0] neg_lo:[0,0,1] neg_hi:[0,0,1]
	v_pk_fma_f32 v[114:115], v[116:117], v[104:105], v[114:115] op_sel:[0,0,1] op_sel_hi:[1,0,0]
	v_mov_b32_e32 v119, v115
	ds_load_2addr_b64 v[114:117], v108 offset0:36 offset1:37
	v_pk_add_f32 v[30:31], v[30:31], v[118:119] neg_lo:[0,1] neg_hi:[0,1]
	s_wait_dscnt 0x0
	v_pk_mul_f32 v[118:119], v[114:115], v[106:107] op_sel:[0,1]
	s_delay_alu instid0(VALU_DEP_1) | instskip(SKIP_1) | instid1(VALU_DEP_1)
	v_pk_fma_f32 v[120:121], v[114:115], v[104:105], v[118:119] op_sel:[0,0,1] op_sel_hi:[1,1,0] neg_lo:[0,0,1] neg_hi:[0,0,1]
	v_pk_fma_f32 v[114:115], v[114:115], v[104:105], v[118:119] op_sel:[0,0,1] op_sel_hi:[1,0,0]
	v_mov_b32_e32 v121, v115
	v_pk_mul_f32 v[114:115], v[116:117], v[106:107] op_sel:[0,1]
	s_delay_alu instid0(VALU_DEP_2) | instskip(NEXT) | instid1(VALU_DEP_2)
	v_pk_add_f32 v[26:27], v[26:27], v[120:121] neg_lo:[0,1] neg_hi:[0,1]
	v_pk_fma_f32 v[118:119], v[116:117], v[104:105], v[114:115] op_sel:[0,0,1] op_sel_hi:[1,1,0] neg_lo:[0,0,1] neg_hi:[0,0,1]
	v_pk_fma_f32 v[114:115], v[116:117], v[104:105], v[114:115] op_sel:[0,0,1] op_sel_hi:[1,0,0]
	s_delay_alu instid0(VALU_DEP_1) | instskip(SKIP_4) | instid1(VALU_DEP_1)
	v_mov_b32_e32 v119, v115
	ds_load_2addr_b64 v[114:117], v108 offset0:38 offset1:39
	v_pk_add_f32 v[22:23], v[22:23], v[118:119] neg_lo:[0,1] neg_hi:[0,1]
	s_wait_dscnt 0x0
	v_pk_mul_f32 v[118:119], v[114:115], v[106:107] op_sel:[0,1]
	v_pk_fma_f32 v[120:121], v[114:115], v[104:105], v[118:119] op_sel:[0,0,1] op_sel_hi:[1,1,0] neg_lo:[0,0,1] neg_hi:[0,0,1]
	v_pk_fma_f32 v[114:115], v[114:115], v[104:105], v[118:119] op_sel:[0,0,1] op_sel_hi:[1,0,0]
	v_dual_mul_f32 v118, v117, v107 :: v_dual_mov_b32 v114, v117
	s_delay_alu instid0(VALU_DEP_2) | instskip(NEXT) | instid1(VALU_DEP_2)
	v_dual_mov_b32 v121, v115 :: v_dual_mov_b32 v115, v116
	v_pk_fma_f32 v[118:119], v[116:117], v[48:49], v[118:119] op_sel_hi:[1,1,0] neg_lo:[0,0,1] neg_hi:[0,0,1]
	v_mul_f32_e32 v116, v117, v104
	s_delay_alu instid0(VALU_DEP_3) | instskip(NEXT) | instid1(VALU_DEP_2)
	v_pk_add_f32 v[24:25], v[24:25], v[120:121] neg_lo:[0,1] neg_hi:[0,1]
	v_pk_fma_f32 v[114:115], v[114:115], v[48:49], v[116:117] op_sel_hi:[1,1,0]
	s_delay_alu instid0(VALU_DEP_1) | instskip(SKIP_4) | instid1(VALU_DEP_1)
	v_mov_b32_e32 v119, v115
	ds_load_2addr_b64 v[114:117], v108 offset0:40 offset1:41
	v_pk_add_f32 v[20:21], v[20:21], v[118:119] neg_lo:[0,1] neg_hi:[0,1]
	s_wait_dscnt 0x0
	v_pk_mul_f32 v[118:119], v[114:115], v[106:107] op_sel:[0,1]
	v_pk_fma_f32 v[120:121], v[114:115], v[104:105], v[118:119] op_sel:[0,0,1] op_sel_hi:[1,1,0] neg_lo:[0,0,1] neg_hi:[0,0,1]
	v_pk_fma_f32 v[114:115], v[114:115], v[104:105], v[118:119] op_sel:[0,0,1] op_sel_hi:[1,0,0]
	s_delay_alu instid0(VALU_DEP_1) | instskip(SKIP_1) | instid1(VALU_DEP_1)
	v_mov_b32_e32 v121, v115
	v_pk_mul_f32 v[114:115], v[116:117], v[106:107] op_sel:[0,1]
	v_pk_fma_f32 v[118:119], v[116:117], v[104:105], v[114:115] op_sel:[0,0,1] op_sel_hi:[1,1,0] neg_lo:[0,0,1] neg_hi:[0,0,1]
	v_pk_fma_f32 v[114:115], v[116:117], v[104:105], v[114:115] op_sel:[0,0,1] op_sel_hi:[1,0,0]
	s_delay_alu instid0(VALU_DEP_1)
	v_mov_b32_e32 v119, v115
	ds_load_2addr_b64 v[114:117], v108 offset0:42 offset1:43
	v_pk_add_f32 v[14:15], v[14:15], v[120:121] neg_lo:[0,1] neg_hi:[0,1]
	v_pk_add_f32 v[10:11], v[10:11], v[118:119] neg_lo:[0,1] neg_hi:[0,1]
	s_wait_dscnt 0x0
	v_pk_mul_f32 v[118:119], v[114:115], v[106:107] op_sel:[0,1]
	s_delay_alu instid0(VALU_DEP_1) | instskip(SKIP_1) | instid1(VALU_DEP_1)
	v_pk_fma_f32 v[120:121], v[114:115], v[104:105], v[118:119] op_sel:[0,0,1] op_sel_hi:[1,1,0] neg_lo:[0,0,1] neg_hi:[0,0,1]
	v_pk_fma_f32 v[114:115], v[114:115], v[104:105], v[118:119] op_sel:[0,0,1] op_sel_hi:[1,0,0]
	v_mov_b32_e32 v121, v115
	v_pk_mul_f32 v[114:115], v[116:117], v[106:107] op_sel:[0,1]
	s_delay_alu instid0(VALU_DEP_1) | instskip(SKIP_1) | instid1(VALU_DEP_1)
	v_pk_fma_f32 v[118:119], v[116:117], v[104:105], v[114:115] op_sel:[0,0,1] op_sel_hi:[1,1,0] neg_lo:[0,0,1] neg_hi:[0,0,1]
	v_pk_fma_f32 v[114:115], v[116:117], v[104:105], v[114:115] op_sel:[0,0,1] op_sel_hi:[1,0,0]
	v_mov_b32_e32 v119, v115
	ds_load_2addr_b64 v[114:117], v108 offset0:44 offset1:45
	v_pk_add_f32 v[12:13], v[12:13], v[120:121] neg_lo:[0,1] neg_hi:[0,1]
	v_pk_add_f32 v[8:9], v[8:9], v[118:119] neg_lo:[0,1] neg_hi:[0,1]
	s_wait_dscnt 0x0
	v_dual_mul_f32 v118, v115, v107 :: v_dual_mul_f32 v120, v115, v104
	s_delay_alu instid0(VALU_DEP_1) | instskip(NEXT) | instid1(VALU_DEP_2)
	v_pk_fma_f32 v[118:119], v[114:115], v[48:49], v[118:119] op_sel_hi:[1,1,0] neg_lo:[0,0,1] neg_hi:[0,0,1]
	v_pk_fma_f32 v[114:115], v[114:115], v[48:49], v[120:121] op_sel:[1,0,0] op_sel_hi:[0,1,0]
	s_delay_alu instid0(VALU_DEP_1) | instskip(SKIP_1) | instid1(VALU_DEP_2)
	v_mov_b32_e32 v119, v115
	v_pk_mul_f32 v[114:115], v[116:117], v[106:107] op_sel:[0,1]
	v_pk_add_f32 v[6:7], v[6:7], v[118:119] neg_lo:[0,1] neg_hi:[0,1]
	s_delay_alu instid0(VALU_DEP_2) | instskip(SKIP_1) | instid1(VALU_DEP_1)
	v_pk_fma_f32 v[118:119], v[116:117], v[104:105], v[114:115] op_sel:[0,0,1] op_sel_hi:[1,1,0] neg_lo:[0,0,1] neg_hi:[0,0,1]
	v_pk_fma_f32 v[114:115], v[116:117], v[104:105], v[114:115] op_sel:[0,0,1] op_sel_hi:[1,0,0]
	v_mov_b32_e32 v119, v115
	ds_load_2addr_b64 v[114:117], v108 offset0:46 offset1:47
	v_pk_add_f32 v[28:29], v[28:29], v[118:119] neg_lo:[0,1] neg_hi:[0,1]
	s_wait_dscnt 0x0
	v_pk_mul_f32 v[118:119], v[114:115], v[106:107] op_sel:[0,1]
	s_delay_alu instid0(VALU_DEP_1) | instskip(SKIP_1) | instid1(VALU_DEP_1)
	v_pk_fma_f32 v[120:121], v[114:115], v[104:105], v[118:119] op_sel:[0,0,1] op_sel_hi:[1,1,0] neg_lo:[0,0,1] neg_hi:[0,0,1]
	v_pk_fma_f32 v[114:115], v[114:115], v[104:105], v[118:119] op_sel:[0,0,1] op_sel_hi:[1,0,0]
	v_mov_b32_e32 v121, v115
	v_pk_mul_f32 v[114:115], v[116:117], v[106:107] op_sel:[0,1]
	s_delay_alu instid0(VALU_DEP_2) | instskip(NEXT) | instid1(VALU_DEP_2)
	v_pk_add_f32 v[18:19], v[18:19], v[120:121] neg_lo:[0,1] neg_hi:[0,1]
	v_pk_fma_f32 v[118:119], v[116:117], v[104:105], v[114:115] op_sel:[0,0,1] op_sel_hi:[1,1,0] neg_lo:[0,0,1] neg_hi:[0,0,1]
	v_pk_fma_f32 v[114:115], v[116:117], v[104:105], v[114:115] op_sel:[0,0,1] op_sel_hi:[1,0,0]
	s_delay_alu instid0(VALU_DEP_1) | instskip(SKIP_4) | instid1(VALU_DEP_1)
	v_mov_b32_e32 v119, v115
	ds_load_b64 v[114:115], v108 offset:384
	v_pk_add_f32 v[16:17], v[16:17], v[118:119] neg_lo:[0,1] neg_hi:[0,1]
	s_wait_dscnt 0x0
	v_pk_mul_f32 v[106:107], v[114:115], v[106:107] op_sel:[0,1]
	v_pk_fma_f32 v[116:117], v[114:115], v[104:105], v[106:107] op_sel:[0,0,1] op_sel_hi:[1,1,0] neg_lo:[0,0,1] neg_hi:[0,0,1]
	v_pk_fma_f32 v[104:105], v[114:115], v[104:105], v[106:107] op_sel:[0,0,1] op_sel_hi:[1,0,0]
	s_delay_alu instid0(VALU_DEP_1) | instskip(NEXT) | instid1(VALU_DEP_1)
	v_mov_b32_e32 v117, v105
	v_pk_add_f32 v[102:103], v[102:103], v[116:117] neg_lo:[0,1] neg_hi:[0,1]
.LBB96_545:
	s_or_b32 exec_lo, exec_lo, s0
	v_lshl_add_u32 v104, v112, 3, v108
	s_barrier_signal -1
	s_barrier_wait -1
	ds_store_b64 v104, v[54:55]
	s_wait_dscnt 0x0
	s_barrier_signal -1
	s_barrier_wait -1
	ds_load_b64 v[106:107], v108 offset:208
	v_mov_b32_e32 v104, 26
	s_cmp_lt_i32 s18, 28
	s_cbranch_scc1 .LBB96_548
; %bb.546:
	v_add3_u32 v105, v109, 0, 0xd8
	v_mov_b32_e32 v104, 26
	s_mov_b32 s0, 27
.LBB96_547:                             ; =>This Inner Loop Header: Depth=1
	ds_load_b64 v[114:115], v105
	s_wait_dscnt 0x1
	v_cmp_gt_f32_e32 vcc_lo, 0, v106
	v_cndmask_b32_e64 v116, v106, -v106, vcc_lo
	v_cmp_gt_f32_e32 vcc_lo, 0, v107
	v_cndmask_b32_e64 v118, v107, -v107, vcc_lo
	s_wait_dscnt 0x0
	v_cmp_gt_f32_e32 vcc_lo, 0, v114
	v_cndmask_b32_e64 v117, v114, -v114, vcc_lo
	v_cmp_gt_f32_e32 vcc_lo, 0, v115
	v_cndmask_b32_e64 v119, v115, -v115, vcc_lo
	s_delay_alu instid0(VALU_DEP_1) | instskip(NEXT) | instid1(VALU_DEP_1)
	v_pk_add_f32 v[116:117], v[116:117], v[118:119]
	v_cmp_lt_f32_e32 vcc_lo, v116, v117
	v_dual_add_nc_u32 v105, 8, v105 :: v_dual_cndmask_b32 v107, v107, v115, vcc_lo
	v_cndmask_b32_e32 v106, v106, v114, vcc_lo
	v_cndmask_b32_e64 v104, v104, s0, vcc_lo
	s_add_co_i32 s0, s0, 1
	s_delay_alu instid0(SALU_CYCLE_1)
	s_cmp_lg_u32 s18, s0
	s_cbranch_scc1 .LBB96_547
.LBB96_548:
	s_wait_dscnt 0x0
	v_cmp_eq_f32_e32 vcc_lo, 0, v106
	v_cmp_eq_f32_e64 s0, 0, v107
	s_and_b32 s0, vcc_lo, s0
	s_delay_alu instid0(SALU_CYCLE_1) | instskip(NEXT) | instid1(SALU_CYCLE_1)
	s_and_saveexec_b32 s1, s0
	s_xor_b32 s0, exec_lo, s1
; %bb.549:
	v_cmp_ne_u32_e32 vcc_lo, 0, v110
	v_cndmask_b32_e32 v110, 27, v110, vcc_lo
; %bb.550:
	s_and_not1_saveexec_b32 s0, s0
	s_cbranch_execz .LBB96_556
; %bb.551:
	v_cmp_ngt_f32_e64 s1, |v106|, |v107|
	s_and_saveexec_b32 s12, s1
	s_delay_alu instid0(SALU_CYCLE_1)
	s_xor_b32 s1, exec_lo, s12
	s_cbranch_execz .LBB96_553
; %bb.552:
	v_div_scale_f32 v105, null, v107, v107, v106
	v_div_scale_f32 v115, vcc_lo, v106, v107, v106
	s_delay_alu instid0(VALU_DEP_2) | instskip(SKIP_1) | instid1(TRANS32_DEP_1)
	v_rcp_f32_e32 v113, v105
	v_nop
	v_fma_f32 v114, -v105, v113, 1.0
	s_delay_alu instid0(VALU_DEP_1) | instskip(NEXT) | instid1(VALU_DEP_1)
	v_fmac_f32_e32 v113, v114, v113
	v_mul_f32_e32 v114, v115, v113
	s_delay_alu instid0(VALU_DEP_1) | instskip(NEXT) | instid1(VALU_DEP_1)
	v_fma_f32 v116, -v105, v114, v115
	v_fmac_f32_e32 v114, v116, v113
	s_delay_alu instid0(VALU_DEP_1) | instskip(NEXT) | instid1(VALU_DEP_1)
	v_fma_f32 v105, -v105, v114, v115
	v_div_fmas_f32 v105, v105, v113, v114
	s_delay_alu instid0(VALU_DEP_1) | instskip(NEXT) | instid1(VALU_DEP_1)
	v_div_fixup_f32 v105, v105, v107, v106
	v_fmac_f32_e32 v107, v106, v105
	s_delay_alu instid0(VALU_DEP_1) | instskip(SKIP_1) | instid1(VALU_DEP_2)
	v_div_scale_f32 v106, null, v107, v107, 1.0
	v_div_scale_f32 v115, vcc_lo, 1.0, v107, 1.0
	v_rcp_f32_e32 v113, v106
	v_nop
	s_delay_alu instid0(TRANS32_DEP_1) | instskip(NEXT) | instid1(VALU_DEP_1)
	v_fma_f32 v114, -v106, v113, 1.0
	v_fmac_f32_e32 v113, v114, v113
	s_delay_alu instid0(VALU_DEP_1) | instskip(NEXT) | instid1(VALU_DEP_1)
	v_mul_f32_e32 v114, v115, v113
	v_fma_f32 v116, -v106, v114, v115
	s_delay_alu instid0(VALU_DEP_1) | instskip(NEXT) | instid1(VALU_DEP_1)
	v_fmac_f32_e32 v114, v116, v113
	v_fma_f32 v106, -v106, v114, v115
	s_delay_alu instid0(VALU_DEP_1) | instskip(NEXT) | instid1(VALU_DEP_1)
	v_div_fmas_f32 v106, v106, v113, v114
	v_div_fixup_f32 v107, v106, v107, 1.0
	s_delay_alu instid0(VALU_DEP_1)
	v_mul_f32_e32 v106, v105, v107
	v_xor_b32_e32 v107, 0x80000000, v107
.LBB96_553:
	s_and_not1_saveexec_b32 s1, s1
	s_cbranch_execz .LBB96_555
; %bb.554:
	s_delay_alu instid0(VALU_DEP_1) | instskip(SKIP_1) | instid1(VALU_DEP_2)
	v_div_scale_f32 v105, null, v106, v106, v107
	v_div_scale_f32 v115, vcc_lo, v107, v106, v107
	v_rcp_f32_e32 v113, v105
	v_nop
	s_delay_alu instid0(TRANS32_DEP_1) | instskip(NEXT) | instid1(VALU_DEP_1)
	v_fma_f32 v114, -v105, v113, 1.0
	v_fmac_f32_e32 v113, v114, v113
	s_delay_alu instid0(VALU_DEP_1) | instskip(NEXT) | instid1(VALU_DEP_1)
	v_mul_f32_e32 v114, v115, v113
	v_fma_f32 v116, -v105, v114, v115
	s_delay_alu instid0(VALU_DEP_1) | instskip(NEXT) | instid1(VALU_DEP_1)
	v_fmac_f32_e32 v114, v116, v113
	v_fma_f32 v105, -v105, v114, v115
	s_delay_alu instid0(VALU_DEP_1) | instskip(NEXT) | instid1(VALU_DEP_1)
	v_div_fmas_f32 v105, v105, v113, v114
	v_div_fixup_f32 v105, v105, v106, v107
	s_delay_alu instid0(VALU_DEP_1) | instskip(NEXT) | instid1(VALU_DEP_1)
	v_fmac_f32_e32 v106, v107, v105
	v_div_scale_f32 v107, null, v106, v106, 1.0
	s_delay_alu instid0(VALU_DEP_1) | instskip(SKIP_1) | instid1(TRANS32_DEP_1)
	v_rcp_f32_e32 v113, v107
	v_nop
	v_fma_f32 v114, -v107, v113, 1.0
	s_delay_alu instid0(VALU_DEP_1) | instskip(SKIP_1) | instid1(VALU_DEP_1)
	v_fmac_f32_e32 v113, v114, v113
	v_div_scale_f32 v114, vcc_lo, 1.0, v106, 1.0
	v_mul_f32_e32 v115, v114, v113
	s_delay_alu instid0(VALU_DEP_1) | instskip(NEXT) | instid1(VALU_DEP_1)
	v_fma_f32 v116, -v107, v115, v114
	v_fmac_f32_e32 v115, v116, v113
	s_delay_alu instid0(VALU_DEP_1) | instskip(NEXT) | instid1(VALU_DEP_1)
	v_fma_f32 v107, -v107, v115, v114
	v_div_fmas_f32 v107, v107, v113, v115
	s_delay_alu instid0(VALU_DEP_1) | instskip(NEXT) | instid1(VALU_DEP_1)
	v_div_fixup_f32 v106, v107, v106, 1.0
	v_mul_f32_e64 v107, v105, -v106
.LBB96_555:
	s_or_b32 exec_lo, exec_lo, s1
.LBB96_556:
	s_delay_alu instid0(SALU_CYCLE_1) | instskip(NEXT) | instid1(SALU_CYCLE_1)
	s_or_b32 exec_lo, exec_lo, s0
	s_mov_b32 s0, exec_lo
	v_cmpx_ne_u32_e64 v112, v104
	s_xor_b32 s0, exec_lo, s0
	s_cbranch_execz .LBB96_562
; %bb.557:
	s_mov_b32 s1, exec_lo
	v_cmpx_eq_u32_e32 26, v112
	s_cbranch_execz .LBB96_561
; %bb.558:
	v_cmp_ne_u32_e32 vcc_lo, 26, v104
	s_xor_b32 s12, s16, -1
	s_delay_alu instid0(SALU_CYCLE_1) | instskip(NEXT) | instid1(SALU_CYCLE_1)
	s_and_b32 s13, s12, vcc_lo
	s_and_saveexec_b32 s12, s13
	s_cbranch_execz .LBB96_560
; %bb.559:
	v_ashrrev_i32_e32 v105, 31, v104
	s_delay_alu instid0(VALU_DEP_1)
	v_lshl_add_u64 v[112:113], v[104:105], 2, v[4:5]
	s_clause 0x1
	global_load_b32 v105, v[112:113], off
	global_load_b32 v111, v[4:5], off offset:104
	s_wait_loadcnt 0x1
	global_store_b32 v[4:5], v105, off offset:104
	s_wait_loadcnt 0x0
	global_store_b32 v[112:113], v111, off
.LBB96_560:
	s_wait_xcnt 0x0
	s_or_b32 exec_lo, exec_lo, s12
	v_dual_mov_b32 v112, v104 :: v_dual_mov_b32 v111, v104
.LBB96_561:
	s_or_b32 exec_lo, exec_lo, s1
.LBB96_562:
	s_and_not1_saveexec_b32 s0, s0
	s_cbranch_execz .LBB96_564
; %bb.563:
	v_mov_b32_e32 v112, 26
	ds_store_2addr_b64 v108, v[46:47], v[44:45] offset0:27 offset1:28
	ds_store_2addr_b64 v108, v[40:41], v[42:43] offset0:29 offset1:30
	ds_store_2addr_b64 v108, v[38:39], v[36:37] offset0:31 offset1:32
	ds_store_2addr_b64 v108, v[32:33], v[34:35] offset0:33 offset1:34
	ds_store_2addr_b64 v108, v[30:31], v[26:27] offset0:35 offset1:36
	ds_store_2addr_b64 v108, v[22:23], v[24:25] offset0:37 offset1:38
	ds_store_2addr_b64 v108, v[20:21], v[14:15] offset0:39 offset1:40
	ds_store_2addr_b64 v108, v[10:11], v[12:13] offset0:41 offset1:42
	ds_store_2addr_b64 v108, v[8:9], v[6:7] offset0:43 offset1:44
	ds_store_2addr_b64 v108, v[28:29], v[18:19] offset0:45 offset1:46
	ds_store_2addr_b64 v108, v[16:17], v[102:103] offset0:47 offset1:48
.LBB96_564:
	s_or_b32 exec_lo, exec_lo, s0
	s_delay_alu instid0(SALU_CYCLE_1)
	s_mov_b32 s0, exec_lo
	s_wait_storecnt_dscnt 0x0
	s_barrier_signal -1
	s_barrier_wait -1
	v_cmpx_lt_i32_e32 26, v112
	s_cbranch_execz .LBB96_566
; %bb.565:
	v_pk_mul_f32 v[114:115], v[106:107], v[54:55] op_sel:[1,1] op_sel_hi:[0,1]
	s_delay_alu instid0(VALU_DEP_1)
	v_pk_fma_f32 v[104:105], v[106:107], v[54:55], v[114:115] op_sel_hi:[1,0,1] neg_lo:[0,0,1] neg_hi:[0,0,1]
	v_pk_fma_f32 v[106:107], v[106:107], v[54:55], v[114:115] op_sel_hi:[1,0,1]
	ds_load_2addr_b64 v[114:117], v108 offset0:27 offset1:28
	v_dual_mov_b32 v54, v104 :: v_dual_mov_b32 v55, v107
	s_wait_dscnt 0x0
	v_pk_mul_f32 v[118:119], v[114:115], v[106:107] op_sel:[0,1]
	s_delay_alu instid0(VALU_DEP_1) | instskip(SKIP_1) | instid1(VALU_DEP_1)
	v_pk_fma_f32 v[120:121], v[114:115], v[104:105], v[118:119] op_sel:[0,0,1] op_sel_hi:[1,1,0] neg_lo:[0,0,1] neg_hi:[0,0,1]
	v_pk_fma_f32 v[114:115], v[114:115], v[104:105], v[118:119] op_sel:[0,0,1] op_sel_hi:[1,0,0]
	v_mov_b32_e32 v121, v115
	v_pk_mul_f32 v[114:115], v[116:117], v[106:107] op_sel:[0,1]
	s_delay_alu instid0(VALU_DEP_1) | instskip(SKIP_1) | instid1(VALU_DEP_1)
	v_pk_fma_f32 v[118:119], v[116:117], v[104:105], v[114:115] op_sel:[0,0,1] op_sel_hi:[1,1,0] neg_lo:[0,0,1] neg_hi:[0,0,1]
	v_pk_fma_f32 v[114:115], v[116:117], v[104:105], v[114:115] op_sel:[0,0,1] op_sel_hi:[1,0,0]
	v_mov_b32_e32 v119, v115
	ds_load_2addr_b64 v[114:117], v108 offset0:29 offset1:30
	v_pk_add_f32 v[46:47], v[46:47], v[120:121] neg_lo:[0,1] neg_hi:[0,1]
	v_pk_add_f32 v[44:45], v[44:45], v[118:119] neg_lo:[0,1] neg_hi:[0,1]
	s_wait_dscnt 0x0
	v_pk_mul_f32 v[118:119], v[114:115], v[106:107] op_sel:[0,1]
	s_delay_alu instid0(VALU_DEP_1) | instskip(SKIP_2) | instid1(VALU_DEP_2)
	v_pk_fma_f32 v[120:121], v[114:115], v[104:105], v[118:119] op_sel:[0,0,1] op_sel_hi:[1,1,0] neg_lo:[0,0,1] neg_hi:[0,0,1]
	v_pk_fma_f32 v[114:115], v[114:115], v[104:105], v[118:119] op_sel:[0,0,1] op_sel_hi:[1,0,0]
	v_dual_mul_f32 v118, v117, v107 :: v_dual_mov_b32 v114, v117
	v_dual_mov_b32 v121, v115 :: v_dual_mov_b32 v115, v116
	s_delay_alu instid0(VALU_DEP_2) | instskip(SKIP_1) | instid1(VALU_DEP_3)
	v_pk_fma_f32 v[118:119], v[116:117], v[54:55], v[118:119] op_sel_hi:[1,1,0] neg_lo:[0,0,1] neg_hi:[0,0,1]
	v_mul_f32_e32 v116, v117, v104
	v_pk_add_f32 v[40:41], v[40:41], v[120:121] neg_lo:[0,1] neg_hi:[0,1]
	s_delay_alu instid0(VALU_DEP_2) | instskip(NEXT) | instid1(VALU_DEP_1)
	v_pk_fma_f32 v[114:115], v[114:115], v[54:55], v[116:117] op_sel_hi:[1,1,0]
	v_mov_b32_e32 v119, v115
	ds_load_2addr_b64 v[114:117], v108 offset0:31 offset1:32
	v_pk_add_f32 v[42:43], v[42:43], v[118:119] neg_lo:[0,1] neg_hi:[0,1]
	s_wait_dscnt 0x0
	v_pk_mul_f32 v[118:119], v[114:115], v[106:107] op_sel:[0,1]
	s_delay_alu instid0(VALU_DEP_1) | instskip(SKIP_1) | instid1(VALU_DEP_1)
	v_pk_fma_f32 v[120:121], v[114:115], v[104:105], v[118:119] op_sel:[0,0,1] op_sel_hi:[1,1,0] neg_lo:[0,0,1] neg_hi:[0,0,1]
	v_pk_fma_f32 v[114:115], v[114:115], v[104:105], v[118:119] op_sel:[0,0,1] op_sel_hi:[1,0,0]
	v_mov_b32_e32 v121, v115
	v_pk_mul_f32 v[114:115], v[116:117], v[106:107] op_sel:[0,1]
	s_delay_alu instid0(VALU_DEP_1) | instskip(SKIP_1) | instid1(VALU_DEP_1)
	v_pk_fma_f32 v[118:119], v[116:117], v[104:105], v[114:115] op_sel:[0,0,1] op_sel_hi:[1,1,0] neg_lo:[0,0,1] neg_hi:[0,0,1]
	v_pk_fma_f32 v[114:115], v[116:117], v[104:105], v[114:115] op_sel:[0,0,1] op_sel_hi:[1,0,0]
	v_mov_b32_e32 v119, v115
	ds_load_2addr_b64 v[114:117], v108 offset0:33 offset1:34
	v_pk_add_f32 v[38:39], v[38:39], v[120:121] neg_lo:[0,1] neg_hi:[0,1]
	v_pk_add_f32 v[36:37], v[36:37], v[118:119] neg_lo:[0,1] neg_hi:[0,1]
	s_wait_dscnt 0x0
	v_pk_mul_f32 v[118:119], v[114:115], v[106:107] op_sel:[0,1]
	s_delay_alu instid0(VALU_DEP_1) | instskip(SKIP_1) | instid1(VALU_DEP_1)
	v_pk_fma_f32 v[120:121], v[114:115], v[104:105], v[118:119] op_sel:[0,0,1] op_sel_hi:[1,1,0] neg_lo:[0,0,1] neg_hi:[0,0,1]
	v_pk_fma_f32 v[114:115], v[114:115], v[104:105], v[118:119] op_sel:[0,0,1] op_sel_hi:[1,0,0]
	v_mov_b32_e32 v121, v115
	v_pk_mul_f32 v[114:115], v[116:117], v[106:107] op_sel:[0,1]
	s_delay_alu instid0(VALU_DEP_1) | instskip(SKIP_1) | instid1(VALU_DEP_1)
	v_pk_fma_f32 v[118:119], v[116:117], v[104:105], v[114:115] op_sel:[0,0,1] op_sel_hi:[1,1,0] neg_lo:[0,0,1] neg_hi:[0,0,1]
	v_pk_fma_f32 v[114:115], v[116:117], v[104:105], v[114:115] op_sel:[0,0,1] op_sel_hi:[1,0,0]
	v_mov_b32_e32 v119, v115
	ds_load_2addr_b64 v[114:117], v108 offset0:35 offset1:36
	v_pk_add_f32 v[32:33], v[32:33], v[120:121] neg_lo:[0,1] neg_hi:[0,1]
	v_pk_add_f32 v[34:35], v[34:35], v[118:119] neg_lo:[0,1] neg_hi:[0,1]
	s_wait_dscnt 0x0
	v_dual_mul_f32 v118, v115, v107 :: v_dual_mul_f32 v120, v115, v104
	s_delay_alu instid0(VALU_DEP_1) | instskip(NEXT) | instid1(VALU_DEP_2)
	v_pk_fma_f32 v[118:119], v[114:115], v[54:55], v[118:119] op_sel_hi:[1,1,0] neg_lo:[0,0,1] neg_hi:[0,0,1]
	v_pk_fma_f32 v[114:115], v[114:115], v[54:55], v[120:121] op_sel:[1,0,0] op_sel_hi:[0,1,0]
	s_delay_alu instid0(VALU_DEP_1) | instskip(SKIP_1) | instid1(VALU_DEP_2)
	v_mov_b32_e32 v119, v115
	v_pk_mul_f32 v[114:115], v[116:117], v[106:107] op_sel:[0,1]
	v_pk_add_f32 v[30:31], v[30:31], v[118:119] neg_lo:[0,1] neg_hi:[0,1]
	s_delay_alu instid0(VALU_DEP_2) | instskip(SKIP_1) | instid1(VALU_DEP_1)
	v_pk_fma_f32 v[118:119], v[116:117], v[104:105], v[114:115] op_sel:[0,0,1] op_sel_hi:[1,1,0] neg_lo:[0,0,1] neg_hi:[0,0,1]
	v_pk_fma_f32 v[114:115], v[116:117], v[104:105], v[114:115] op_sel:[0,0,1] op_sel_hi:[1,0,0]
	v_mov_b32_e32 v119, v115
	ds_load_2addr_b64 v[114:117], v108 offset0:37 offset1:38
	v_pk_add_f32 v[26:27], v[26:27], v[118:119] neg_lo:[0,1] neg_hi:[0,1]
	s_wait_dscnt 0x0
	v_pk_mul_f32 v[118:119], v[114:115], v[106:107] op_sel:[0,1]
	s_delay_alu instid0(VALU_DEP_1) | instskip(SKIP_1) | instid1(VALU_DEP_1)
	v_pk_fma_f32 v[120:121], v[114:115], v[104:105], v[118:119] op_sel:[0,0,1] op_sel_hi:[1,1,0] neg_lo:[0,0,1] neg_hi:[0,0,1]
	v_pk_fma_f32 v[114:115], v[114:115], v[104:105], v[118:119] op_sel:[0,0,1] op_sel_hi:[1,0,0]
	v_mov_b32_e32 v121, v115
	v_pk_mul_f32 v[114:115], v[116:117], v[106:107] op_sel:[0,1]
	s_delay_alu instid0(VALU_DEP_2) | instskip(NEXT) | instid1(VALU_DEP_2)
	v_pk_add_f32 v[22:23], v[22:23], v[120:121] neg_lo:[0,1] neg_hi:[0,1]
	v_pk_fma_f32 v[118:119], v[116:117], v[104:105], v[114:115] op_sel:[0,0,1] op_sel_hi:[1,1,0] neg_lo:[0,0,1] neg_hi:[0,0,1]
	v_pk_fma_f32 v[114:115], v[116:117], v[104:105], v[114:115] op_sel:[0,0,1] op_sel_hi:[1,0,0]
	s_delay_alu instid0(VALU_DEP_1) | instskip(SKIP_4) | instid1(VALU_DEP_1)
	v_mov_b32_e32 v119, v115
	ds_load_2addr_b64 v[114:117], v108 offset0:39 offset1:40
	v_pk_add_f32 v[24:25], v[24:25], v[118:119] neg_lo:[0,1] neg_hi:[0,1]
	s_wait_dscnt 0x0
	v_pk_mul_f32 v[118:119], v[114:115], v[106:107] op_sel:[0,1]
	v_pk_fma_f32 v[120:121], v[114:115], v[104:105], v[118:119] op_sel:[0,0,1] op_sel_hi:[1,1,0] neg_lo:[0,0,1] neg_hi:[0,0,1]
	v_pk_fma_f32 v[114:115], v[114:115], v[104:105], v[118:119] op_sel:[0,0,1] op_sel_hi:[1,0,0]
	v_dual_mul_f32 v118, v117, v107 :: v_dual_mov_b32 v114, v117
	s_delay_alu instid0(VALU_DEP_2) | instskip(NEXT) | instid1(VALU_DEP_2)
	v_dual_mov_b32 v121, v115 :: v_dual_mov_b32 v115, v116
	v_pk_fma_f32 v[118:119], v[116:117], v[54:55], v[118:119] op_sel_hi:[1,1,0] neg_lo:[0,0,1] neg_hi:[0,0,1]
	v_mul_f32_e32 v116, v117, v104
	s_delay_alu instid0(VALU_DEP_3) | instskip(NEXT) | instid1(VALU_DEP_2)
	v_pk_add_f32 v[20:21], v[20:21], v[120:121] neg_lo:[0,1] neg_hi:[0,1]
	v_pk_fma_f32 v[114:115], v[114:115], v[54:55], v[116:117] op_sel_hi:[1,1,0]
	s_delay_alu instid0(VALU_DEP_1) | instskip(SKIP_4) | instid1(VALU_DEP_1)
	v_mov_b32_e32 v119, v115
	ds_load_2addr_b64 v[114:117], v108 offset0:41 offset1:42
	v_pk_add_f32 v[14:15], v[14:15], v[118:119] neg_lo:[0,1] neg_hi:[0,1]
	s_wait_dscnt 0x0
	v_pk_mul_f32 v[118:119], v[114:115], v[106:107] op_sel:[0,1]
	v_pk_fma_f32 v[120:121], v[114:115], v[104:105], v[118:119] op_sel:[0,0,1] op_sel_hi:[1,1,0] neg_lo:[0,0,1] neg_hi:[0,0,1]
	v_pk_fma_f32 v[114:115], v[114:115], v[104:105], v[118:119] op_sel:[0,0,1] op_sel_hi:[1,0,0]
	s_delay_alu instid0(VALU_DEP_1) | instskip(SKIP_1) | instid1(VALU_DEP_1)
	v_mov_b32_e32 v121, v115
	v_pk_mul_f32 v[114:115], v[116:117], v[106:107] op_sel:[0,1]
	v_pk_fma_f32 v[118:119], v[116:117], v[104:105], v[114:115] op_sel:[0,0,1] op_sel_hi:[1,1,0] neg_lo:[0,0,1] neg_hi:[0,0,1]
	v_pk_fma_f32 v[114:115], v[116:117], v[104:105], v[114:115] op_sel:[0,0,1] op_sel_hi:[1,0,0]
	s_delay_alu instid0(VALU_DEP_1)
	v_mov_b32_e32 v119, v115
	ds_load_2addr_b64 v[114:117], v108 offset0:43 offset1:44
	v_pk_add_f32 v[10:11], v[10:11], v[120:121] neg_lo:[0,1] neg_hi:[0,1]
	v_pk_add_f32 v[12:13], v[12:13], v[118:119] neg_lo:[0,1] neg_hi:[0,1]
	s_wait_dscnt 0x0
	v_pk_mul_f32 v[118:119], v[114:115], v[106:107] op_sel:[0,1]
	s_delay_alu instid0(VALU_DEP_1) | instskip(SKIP_1) | instid1(VALU_DEP_1)
	v_pk_fma_f32 v[120:121], v[114:115], v[104:105], v[118:119] op_sel:[0,0,1] op_sel_hi:[1,1,0] neg_lo:[0,0,1] neg_hi:[0,0,1]
	v_pk_fma_f32 v[114:115], v[114:115], v[104:105], v[118:119] op_sel:[0,0,1] op_sel_hi:[1,0,0]
	v_mov_b32_e32 v121, v115
	v_pk_mul_f32 v[114:115], v[116:117], v[106:107] op_sel:[0,1]
	s_delay_alu instid0(VALU_DEP_1) | instskip(SKIP_1) | instid1(VALU_DEP_1)
	v_pk_fma_f32 v[118:119], v[116:117], v[104:105], v[114:115] op_sel:[0,0,1] op_sel_hi:[1,1,0] neg_lo:[0,0,1] neg_hi:[0,0,1]
	v_pk_fma_f32 v[114:115], v[116:117], v[104:105], v[114:115] op_sel:[0,0,1] op_sel_hi:[1,0,0]
	v_mov_b32_e32 v119, v115
	ds_load_2addr_b64 v[114:117], v108 offset0:45 offset1:46
	v_pk_add_f32 v[8:9], v[8:9], v[120:121] neg_lo:[0,1] neg_hi:[0,1]
	v_pk_add_f32 v[6:7], v[6:7], v[118:119] neg_lo:[0,1] neg_hi:[0,1]
	s_wait_dscnt 0x0
	v_dual_mul_f32 v118, v115, v107 :: v_dual_mul_f32 v120, v115, v104
	s_delay_alu instid0(VALU_DEP_1) | instskip(NEXT) | instid1(VALU_DEP_2)
	v_pk_fma_f32 v[118:119], v[114:115], v[54:55], v[118:119] op_sel_hi:[1,1,0] neg_lo:[0,0,1] neg_hi:[0,0,1]
	v_pk_fma_f32 v[114:115], v[114:115], v[54:55], v[120:121] op_sel:[1,0,0] op_sel_hi:[0,1,0]
	s_delay_alu instid0(VALU_DEP_1) | instskip(SKIP_1) | instid1(VALU_DEP_2)
	v_mov_b32_e32 v119, v115
	v_pk_mul_f32 v[114:115], v[116:117], v[106:107] op_sel:[0,1]
	v_pk_add_f32 v[28:29], v[28:29], v[118:119] neg_lo:[0,1] neg_hi:[0,1]
	s_delay_alu instid0(VALU_DEP_2) | instskip(SKIP_1) | instid1(VALU_DEP_1)
	v_pk_fma_f32 v[118:119], v[116:117], v[104:105], v[114:115] op_sel:[0,0,1] op_sel_hi:[1,1,0] neg_lo:[0,0,1] neg_hi:[0,0,1]
	v_pk_fma_f32 v[114:115], v[116:117], v[104:105], v[114:115] op_sel:[0,0,1] op_sel_hi:[1,0,0]
	v_mov_b32_e32 v119, v115
	ds_load_2addr_b64 v[114:117], v108 offset0:47 offset1:48
	v_pk_add_f32 v[18:19], v[18:19], v[118:119] neg_lo:[0,1] neg_hi:[0,1]
	s_wait_dscnt 0x0
	v_pk_mul_f32 v[118:119], v[114:115], v[106:107] op_sel:[0,1]
	v_pk_mul_f32 v[106:107], v[116:117], v[106:107] op_sel:[0,1]
	s_delay_alu instid0(VALU_DEP_2) | instskip(SKIP_1) | instid1(VALU_DEP_1)
	v_pk_fma_f32 v[120:121], v[114:115], v[104:105], v[118:119] op_sel:[0,0,1] op_sel_hi:[1,1,0] neg_lo:[0,0,1] neg_hi:[0,0,1]
	v_pk_fma_f32 v[114:115], v[114:115], v[104:105], v[118:119] op_sel:[0,0,1] op_sel_hi:[1,0,0]
	v_mov_b32_e32 v121, v115
	s_delay_alu instid0(VALU_DEP_4) | instskip(SKIP_1) | instid1(VALU_DEP_3)
	v_pk_fma_f32 v[114:115], v[116:117], v[104:105], v[106:107] op_sel:[0,0,1] op_sel_hi:[1,1,0] neg_lo:[0,0,1] neg_hi:[0,0,1]
	v_pk_fma_f32 v[104:105], v[116:117], v[104:105], v[106:107] op_sel:[0,0,1] op_sel_hi:[1,0,0]
	v_pk_add_f32 v[16:17], v[16:17], v[120:121] neg_lo:[0,1] neg_hi:[0,1]
	s_delay_alu instid0(VALU_DEP_2) | instskip(NEXT) | instid1(VALU_DEP_1)
	v_mov_b32_e32 v115, v105
	v_pk_add_f32 v[102:103], v[102:103], v[114:115] neg_lo:[0,1] neg_hi:[0,1]
.LBB96_566:
	s_or_b32 exec_lo, exec_lo, s0
	v_lshl_add_u32 v104, v112, 3, v108
	s_barrier_signal -1
	s_barrier_wait -1
	ds_store_b64 v104, v[46:47]
	s_wait_dscnt 0x0
	s_barrier_signal -1
	s_barrier_wait -1
	ds_load_b64 v[106:107], v108 offset:216
	v_mov_b32_e32 v104, 27
	s_cmp_lt_i32 s18, 29
	s_cbranch_scc1 .LBB96_569
; %bb.567:
	v_add3_u32 v105, v109, 0, 0xe0
	v_mov_b32_e32 v104, 27
	s_mov_b32 s0, 28
.LBB96_568:                             ; =>This Inner Loop Header: Depth=1
	ds_load_b64 v[114:115], v105
	s_wait_dscnt 0x1
	v_cmp_gt_f32_e32 vcc_lo, 0, v106
	v_cndmask_b32_e64 v116, v106, -v106, vcc_lo
	v_cmp_gt_f32_e32 vcc_lo, 0, v107
	v_cndmask_b32_e64 v118, v107, -v107, vcc_lo
	s_wait_dscnt 0x0
	v_cmp_gt_f32_e32 vcc_lo, 0, v114
	v_cndmask_b32_e64 v117, v114, -v114, vcc_lo
	v_cmp_gt_f32_e32 vcc_lo, 0, v115
	v_cndmask_b32_e64 v119, v115, -v115, vcc_lo
	s_delay_alu instid0(VALU_DEP_1) | instskip(NEXT) | instid1(VALU_DEP_1)
	v_pk_add_f32 v[116:117], v[116:117], v[118:119]
	v_cmp_lt_f32_e32 vcc_lo, v116, v117
	v_dual_add_nc_u32 v105, 8, v105 :: v_dual_cndmask_b32 v107, v107, v115, vcc_lo
	v_cndmask_b32_e32 v106, v106, v114, vcc_lo
	v_cndmask_b32_e64 v104, v104, s0, vcc_lo
	s_add_co_i32 s0, s0, 1
	s_delay_alu instid0(SALU_CYCLE_1)
	s_cmp_lg_u32 s18, s0
	s_cbranch_scc1 .LBB96_568
.LBB96_569:
	s_wait_dscnt 0x0
	v_cmp_eq_f32_e32 vcc_lo, 0, v106
	v_cmp_eq_f32_e64 s0, 0, v107
	s_and_b32 s0, vcc_lo, s0
	s_delay_alu instid0(SALU_CYCLE_1) | instskip(NEXT) | instid1(SALU_CYCLE_1)
	s_and_saveexec_b32 s1, s0
	s_xor_b32 s0, exec_lo, s1
; %bb.570:
	v_cmp_ne_u32_e32 vcc_lo, 0, v110
	v_cndmask_b32_e32 v110, 28, v110, vcc_lo
; %bb.571:
	s_and_not1_saveexec_b32 s0, s0
	s_cbranch_execz .LBB96_577
; %bb.572:
	v_cmp_ngt_f32_e64 s1, |v106|, |v107|
	s_and_saveexec_b32 s12, s1
	s_delay_alu instid0(SALU_CYCLE_1)
	s_xor_b32 s1, exec_lo, s12
	s_cbranch_execz .LBB96_574
; %bb.573:
	v_div_scale_f32 v105, null, v107, v107, v106
	v_div_scale_f32 v115, vcc_lo, v106, v107, v106
	s_delay_alu instid0(VALU_DEP_2) | instskip(SKIP_1) | instid1(TRANS32_DEP_1)
	v_rcp_f32_e32 v113, v105
	v_nop
	v_fma_f32 v114, -v105, v113, 1.0
	s_delay_alu instid0(VALU_DEP_1) | instskip(NEXT) | instid1(VALU_DEP_1)
	v_fmac_f32_e32 v113, v114, v113
	v_mul_f32_e32 v114, v115, v113
	s_delay_alu instid0(VALU_DEP_1) | instskip(NEXT) | instid1(VALU_DEP_1)
	v_fma_f32 v116, -v105, v114, v115
	v_fmac_f32_e32 v114, v116, v113
	s_delay_alu instid0(VALU_DEP_1) | instskip(NEXT) | instid1(VALU_DEP_1)
	v_fma_f32 v105, -v105, v114, v115
	v_div_fmas_f32 v105, v105, v113, v114
	s_delay_alu instid0(VALU_DEP_1) | instskip(NEXT) | instid1(VALU_DEP_1)
	v_div_fixup_f32 v105, v105, v107, v106
	v_fmac_f32_e32 v107, v106, v105
	s_delay_alu instid0(VALU_DEP_1) | instskip(SKIP_1) | instid1(VALU_DEP_2)
	v_div_scale_f32 v106, null, v107, v107, 1.0
	v_div_scale_f32 v115, vcc_lo, 1.0, v107, 1.0
	v_rcp_f32_e32 v113, v106
	v_nop
	s_delay_alu instid0(TRANS32_DEP_1) | instskip(NEXT) | instid1(VALU_DEP_1)
	v_fma_f32 v114, -v106, v113, 1.0
	v_fmac_f32_e32 v113, v114, v113
	s_delay_alu instid0(VALU_DEP_1) | instskip(NEXT) | instid1(VALU_DEP_1)
	v_mul_f32_e32 v114, v115, v113
	v_fma_f32 v116, -v106, v114, v115
	s_delay_alu instid0(VALU_DEP_1) | instskip(NEXT) | instid1(VALU_DEP_1)
	v_fmac_f32_e32 v114, v116, v113
	v_fma_f32 v106, -v106, v114, v115
	s_delay_alu instid0(VALU_DEP_1) | instskip(NEXT) | instid1(VALU_DEP_1)
	v_div_fmas_f32 v106, v106, v113, v114
	v_div_fixup_f32 v107, v106, v107, 1.0
	s_delay_alu instid0(VALU_DEP_1)
	v_mul_f32_e32 v106, v105, v107
	v_xor_b32_e32 v107, 0x80000000, v107
.LBB96_574:
	s_and_not1_saveexec_b32 s1, s1
	s_cbranch_execz .LBB96_576
; %bb.575:
	s_delay_alu instid0(VALU_DEP_1) | instskip(SKIP_1) | instid1(VALU_DEP_2)
	v_div_scale_f32 v105, null, v106, v106, v107
	v_div_scale_f32 v115, vcc_lo, v107, v106, v107
	v_rcp_f32_e32 v113, v105
	v_nop
	s_delay_alu instid0(TRANS32_DEP_1) | instskip(NEXT) | instid1(VALU_DEP_1)
	v_fma_f32 v114, -v105, v113, 1.0
	v_fmac_f32_e32 v113, v114, v113
	s_delay_alu instid0(VALU_DEP_1) | instskip(NEXT) | instid1(VALU_DEP_1)
	v_mul_f32_e32 v114, v115, v113
	v_fma_f32 v116, -v105, v114, v115
	s_delay_alu instid0(VALU_DEP_1) | instskip(NEXT) | instid1(VALU_DEP_1)
	v_fmac_f32_e32 v114, v116, v113
	v_fma_f32 v105, -v105, v114, v115
	s_delay_alu instid0(VALU_DEP_1) | instskip(NEXT) | instid1(VALU_DEP_1)
	v_div_fmas_f32 v105, v105, v113, v114
	v_div_fixup_f32 v105, v105, v106, v107
	s_delay_alu instid0(VALU_DEP_1) | instskip(NEXT) | instid1(VALU_DEP_1)
	v_fmac_f32_e32 v106, v107, v105
	v_div_scale_f32 v107, null, v106, v106, 1.0
	s_delay_alu instid0(VALU_DEP_1) | instskip(SKIP_1) | instid1(TRANS32_DEP_1)
	v_rcp_f32_e32 v113, v107
	v_nop
	v_fma_f32 v114, -v107, v113, 1.0
	s_delay_alu instid0(VALU_DEP_1) | instskip(SKIP_1) | instid1(VALU_DEP_1)
	v_fmac_f32_e32 v113, v114, v113
	v_div_scale_f32 v114, vcc_lo, 1.0, v106, 1.0
	v_mul_f32_e32 v115, v114, v113
	s_delay_alu instid0(VALU_DEP_1) | instskip(NEXT) | instid1(VALU_DEP_1)
	v_fma_f32 v116, -v107, v115, v114
	v_fmac_f32_e32 v115, v116, v113
	s_delay_alu instid0(VALU_DEP_1) | instskip(NEXT) | instid1(VALU_DEP_1)
	v_fma_f32 v107, -v107, v115, v114
	v_div_fmas_f32 v107, v107, v113, v115
	s_delay_alu instid0(VALU_DEP_1) | instskip(NEXT) | instid1(VALU_DEP_1)
	v_div_fixup_f32 v106, v107, v106, 1.0
	v_mul_f32_e64 v107, v105, -v106
.LBB96_576:
	s_or_b32 exec_lo, exec_lo, s1
.LBB96_577:
	s_delay_alu instid0(SALU_CYCLE_1) | instskip(NEXT) | instid1(SALU_CYCLE_1)
	s_or_b32 exec_lo, exec_lo, s0
	s_mov_b32 s0, exec_lo
	v_cmpx_ne_u32_e64 v112, v104
	s_xor_b32 s0, exec_lo, s0
	s_cbranch_execz .LBB96_583
; %bb.578:
	s_mov_b32 s1, exec_lo
	v_cmpx_eq_u32_e32 27, v112
	s_cbranch_execz .LBB96_582
; %bb.579:
	v_cmp_ne_u32_e32 vcc_lo, 27, v104
	s_xor_b32 s12, s16, -1
	s_delay_alu instid0(SALU_CYCLE_1) | instskip(NEXT) | instid1(SALU_CYCLE_1)
	s_and_b32 s13, s12, vcc_lo
	s_and_saveexec_b32 s12, s13
	s_cbranch_execz .LBB96_581
; %bb.580:
	v_ashrrev_i32_e32 v105, 31, v104
	s_delay_alu instid0(VALU_DEP_1)
	v_lshl_add_u64 v[112:113], v[104:105], 2, v[4:5]
	s_clause 0x1
	global_load_b32 v105, v[112:113], off
	global_load_b32 v111, v[4:5], off offset:108
	s_wait_loadcnt 0x1
	global_store_b32 v[4:5], v105, off offset:108
	s_wait_loadcnt 0x0
	global_store_b32 v[112:113], v111, off
.LBB96_581:
	s_wait_xcnt 0x0
	s_or_b32 exec_lo, exec_lo, s12
	v_dual_mov_b32 v112, v104 :: v_dual_mov_b32 v111, v104
.LBB96_582:
	s_or_b32 exec_lo, exec_lo, s1
.LBB96_583:
	s_and_not1_saveexec_b32 s0, s0
	s_cbranch_execz .LBB96_585
; %bb.584:
	v_dual_mov_b32 v104, v44 :: v_dual_mov_b32 v105, v45
	v_dual_mov_b32 v112, v40 :: v_dual_mov_b32 v113, v41
	ds_store_2addr_b64 v108, v[104:105], v[112:113] offset0:28 offset1:29
	v_dual_mov_b32 v104, v42 :: v_dual_mov_b32 v105, v43
	v_dual_mov_b32 v112, v38 :: v_dual_mov_b32 v113, v39
	ds_store_2addr_b64 v108, v[104:105], v[112:113] offset0:30 offset1:31
	;; [unrolled: 3-line block ×10, first 2 shown]
	ds_store_b64 v108, v[102:103] offset:384
	v_mov_b32_e32 v112, 27
.LBB96_585:
	s_or_b32 exec_lo, exec_lo, s0
	s_delay_alu instid0(SALU_CYCLE_1)
	s_mov_b32 s0, exec_lo
	s_wait_storecnt_dscnt 0x0
	s_barrier_signal -1
	s_barrier_wait -1
	v_cmpx_lt_i32_e32 27, v112
	s_cbranch_execz .LBB96_587
; %bb.586:
	v_pk_mul_f32 v[114:115], v[106:107], v[46:47] op_sel:[1,1] op_sel_hi:[0,1]
	s_delay_alu instid0(VALU_DEP_1)
	v_pk_fma_f32 v[104:105], v[106:107], v[46:47], v[114:115] op_sel_hi:[1,0,1] neg_lo:[0,0,1] neg_hi:[0,0,1]
	v_pk_fma_f32 v[106:107], v[106:107], v[46:47], v[114:115] op_sel_hi:[1,0,1]
	ds_load_2addr_b64 v[114:117], v108 offset0:28 offset1:29
	v_dual_mov_b32 v46, v104 :: v_dual_mov_b32 v47, v107
	s_wait_dscnt 0x0
	v_pk_mul_f32 v[118:119], v[114:115], v[106:107] op_sel:[0,1]
	s_delay_alu instid0(VALU_DEP_1) | instskip(SKIP_1) | instid1(VALU_DEP_1)
	v_pk_fma_f32 v[120:121], v[114:115], v[104:105], v[118:119] op_sel:[0,0,1] op_sel_hi:[1,1,0] neg_lo:[0,0,1] neg_hi:[0,0,1]
	v_pk_fma_f32 v[114:115], v[114:115], v[104:105], v[118:119] op_sel:[0,0,1] op_sel_hi:[1,0,0]
	v_mov_b32_e32 v121, v115
	v_pk_mul_f32 v[114:115], v[116:117], v[106:107] op_sel:[0,1]
	s_delay_alu instid0(VALU_DEP_1) | instskip(SKIP_1) | instid1(VALU_DEP_1)
	v_pk_fma_f32 v[118:119], v[116:117], v[104:105], v[114:115] op_sel:[0,0,1] op_sel_hi:[1,1,0] neg_lo:[0,0,1] neg_hi:[0,0,1]
	v_pk_fma_f32 v[114:115], v[116:117], v[104:105], v[114:115] op_sel:[0,0,1] op_sel_hi:[1,0,0]
	v_mov_b32_e32 v119, v115
	ds_load_2addr_b64 v[114:117], v108 offset0:30 offset1:31
	v_pk_add_f32 v[44:45], v[44:45], v[120:121] neg_lo:[0,1] neg_hi:[0,1]
	v_pk_add_f32 v[40:41], v[40:41], v[118:119] neg_lo:[0,1] neg_hi:[0,1]
	s_wait_dscnt 0x0
	v_pk_mul_f32 v[118:119], v[114:115], v[106:107] op_sel:[0,1]
	s_delay_alu instid0(VALU_DEP_1) | instskip(SKIP_2) | instid1(VALU_DEP_2)
	v_pk_fma_f32 v[120:121], v[114:115], v[104:105], v[118:119] op_sel:[0,0,1] op_sel_hi:[1,1,0] neg_lo:[0,0,1] neg_hi:[0,0,1]
	v_pk_fma_f32 v[114:115], v[114:115], v[104:105], v[118:119] op_sel:[0,0,1] op_sel_hi:[1,0,0]
	v_dual_mul_f32 v118, v117, v107 :: v_dual_mov_b32 v114, v117
	v_dual_mov_b32 v121, v115 :: v_dual_mov_b32 v115, v116
	s_delay_alu instid0(VALU_DEP_2) | instskip(SKIP_1) | instid1(VALU_DEP_3)
	v_pk_fma_f32 v[118:119], v[116:117], v[46:47], v[118:119] op_sel_hi:[1,1,0] neg_lo:[0,0,1] neg_hi:[0,0,1]
	v_mul_f32_e32 v116, v117, v104
	v_pk_add_f32 v[42:43], v[42:43], v[120:121] neg_lo:[0,1] neg_hi:[0,1]
	s_delay_alu instid0(VALU_DEP_2) | instskip(NEXT) | instid1(VALU_DEP_1)
	v_pk_fma_f32 v[114:115], v[114:115], v[46:47], v[116:117] op_sel_hi:[1,1,0]
	v_mov_b32_e32 v119, v115
	ds_load_2addr_b64 v[114:117], v108 offset0:32 offset1:33
	v_pk_add_f32 v[38:39], v[38:39], v[118:119] neg_lo:[0,1] neg_hi:[0,1]
	s_wait_dscnt 0x0
	v_pk_mul_f32 v[118:119], v[114:115], v[106:107] op_sel:[0,1]
	s_delay_alu instid0(VALU_DEP_1) | instskip(SKIP_1) | instid1(VALU_DEP_1)
	v_pk_fma_f32 v[120:121], v[114:115], v[104:105], v[118:119] op_sel:[0,0,1] op_sel_hi:[1,1,0] neg_lo:[0,0,1] neg_hi:[0,0,1]
	v_pk_fma_f32 v[114:115], v[114:115], v[104:105], v[118:119] op_sel:[0,0,1] op_sel_hi:[1,0,0]
	v_mov_b32_e32 v121, v115
	v_pk_mul_f32 v[114:115], v[116:117], v[106:107] op_sel:[0,1]
	s_delay_alu instid0(VALU_DEP_1) | instskip(SKIP_1) | instid1(VALU_DEP_1)
	v_pk_fma_f32 v[118:119], v[116:117], v[104:105], v[114:115] op_sel:[0,0,1] op_sel_hi:[1,1,0] neg_lo:[0,0,1] neg_hi:[0,0,1]
	v_pk_fma_f32 v[114:115], v[116:117], v[104:105], v[114:115] op_sel:[0,0,1] op_sel_hi:[1,0,0]
	v_mov_b32_e32 v119, v115
	ds_load_2addr_b64 v[114:117], v108 offset0:34 offset1:35
	v_pk_add_f32 v[36:37], v[36:37], v[120:121] neg_lo:[0,1] neg_hi:[0,1]
	v_pk_add_f32 v[32:33], v[32:33], v[118:119] neg_lo:[0,1] neg_hi:[0,1]
	s_wait_dscnt 0x0
	v_pk_mul_f32 v[118:119], v[114:115], v[106:107] op_sel:[0,1]
	s_delay_alu instid0(VALU_DEP_1) | instskip(SKIP_1) | instid1(VALU_DEP_1)
	v_pk_fma_f32 v[120:121], v[114:115], v[104:105], v[118:119] op_sel:[0,0,1] op_sel_hi:[1,1,0] neg_lo:[0,0,1] neg_hi:[0,0,1]
	v_pk_fma_f32 v[114:115], v[114:115], v[104:105], v[118:119] op_sel:[0,0,1] op_sel_hi:[1,0,0]
	v_mov_b32_e32 v121, v115
	v_pk_mul_f32 v[114:115], v[116:117], v[106:107] op_sel:[0,1]
	s_delay_alu instid0(VALU_DEP_1) | instskip(SKIP_1) | instid1(VALU_DEP_1)
	v_pk_fma_f32 v[118:119], v[116:117], v[104:105], v[114:115] op_sel:[0,0,1] op_sel_hi:[1,1,0] neg_lo:[0,0,1] neg_hi:[0,0,1]
	v_pk_fma_f32 v[114:115], v[116:117], v[104:105], v[114:115] op_sel:[0,0,1] op_sel_hi:[1,0,0]
	v_mov_b32_e32 v119, v115
	ds_load_2addr_b64 v[114:117], v108 offset0:36 offset1:37
	v_pk_add_f32 v[34:35], v[34:35], v[120:121] neg_lo:[0,1] neg_hi:[0,1]
	v_pk_add_f32 v[30:31], v[30:31], v[118:119] neg_lo:[0,1] neg_hi:[0,1]
	s_wait_dscnt 0x0
	v_dual_mul_f32 v118, v115, v107 :: v_dual_mul_f32 v120, v115, v104
	s_delay_alu instid0(VALU_DEP_1) | instskip(NEXT) | instid1(VALU_DEP_2)
	v_pk_fma_f32 v[118:119], v[114:115], v[46:47], v[118:119] op_sel_hi:[1,1,0] neg_lo:[0,0,1] neg_hi:[0,0,1]
	v_pk_fma_f32 v[114:115], v[114:115], v[46:47], v[120:121] op_sel:[1,0,0] op_sel_hi:[0,1,0]
	s_delay_alu instid0(VALU_DEP_1) | instskip(SKIP_1) | instid1(VALU_DEP_2)
	v_mov_b32_e32 v119, v115
	v_pk_mul_f32 v[114:115], v[116:117], v[106:107] op_sel:[0,1]
	v_pk_add_f32 v[26:27], v[26:27], v[118:119] neg_lo:[0,1] neg_hi:[0,1]
	s_delay_alu instid0(VALU_DEP_2) | instskip(SKIP_1) | instid1(VALU_DEP_1)
	v_pk_fma_f32 v[118:119], v[116:117], v[104:105], v[114:115] op_sel:[0,0,1] op_sel_hi:[1,1,0] neg_lo:[0,0,1] neg_hi:[0,0,1]
	v_pk_fma_f32 v[114:115], v[116:117], v[104:105], v[114:115] op_sel:[0,0,1] op_sel_hi:[1,0,0]
	v_mov_b32_e32 v119, v115
	ds_load_2addr_b64 v[114:117], v108 offset0:38 offset1:39
	v_pk_add_f32 v[22:23], v[22:23], v[118:119] neg_lo:[0,1] neg_hi:[0,1]
	s_wait_dscnt 0x0
	v_pk_mul_f32 v[118:119], v[114:115], v[106:107] op_sel:[0,1]
	s_delay_alu instid0(VALU_DEP_1) | instskip(SKIP_1) | instid1(VALU_DEP_1)
	v_pk_fma_f32 v[120:121], v[114:115], v[104:105], v[118:119] op_sel:[0,0,1] op_sel_hi:[1,1,0] neg_lo:[0,0,1] neg_hi:[0,0,1]
	v_pk_fma_f32 v[114:115], v[114:115], v[104:105], v[118:119] op_sel:[0,0,1] op_sel_hi:[1,0,0]
	v_mov_b32_e32 v121, v115
	v_pk_mul_f32 v[114:115], v[116:117], v[106:107] op_sel:[0,1]
	s_delay_alu instid0(VALU_DEP_2) | instskip(NEXT) | instid1(VALU_DEP_2)
	v_pk_add_f32 v[24:25], v[24:25], v[120:121] neg_lo:[0,1] neg_hi:[0,1]
	v_pk_fma_f32 v[118:119], v[116:117], v[104:105], v[114:115] op_sel:[0,0,1] op_sel_hi:[1,1,0] neg_lo:[0,0,1] neg_hi:[0,0,1]
	v_pk_fma_f32 v[114:115], v[116:117], v[104:105], v[114:115] op_sel:[0,0,1] op_sel_hi:[1,0,0]
	s_delay_alu instid0(VALU_DEP_1) | instskip(SKIP_4) | instid1(VALU_DEP_1)
	v_mov_b32_e32 v119, v115
	ds_load_2addr_b64 v[114:117], v108 offset0:40 offset1:41
	v_pk_add_f32 v[20:21], v[20:21], v[118:119] neg_lo:[0,1] neg_hi:[0,1]
	s_wait_dscnt 0x0
	v_pk_mul_f32 v[118:119], v[114:115], v[106:107] op_sel:[0,1]
	v_pk_fma_f32 v[120:121], v[114:115], v[104:105], v[118:119] op_sel:[0,0,1] op_sel_hi:[1,1,0] neg_lo:[0,0,1] neg_hi:[0,0,1]
	v_pk_fma_f32 v[114:115], v[114:115], v[104:105], v[118:119] op_sel:[0,0,1] op_sel_hi:[1,0,0]
	v_dual_mul_f32 v118, v117, v107 :: v_dual_mov_b32 v114, v117
	s_delay_alu instid0(VALU_DEP_2) | instskip(NEXT) | instid1(VALU_DEP_2)
	v_dual_mov_b32 v121, v115 :: v_dual_mov_b32 v115, v116
	v_pk_fma_f32 v[118:119], v[116:117], v[46:47], v[118:119] op_sel_hi:[1,1,0] neg_lo:[0,0,1] neg_hi:[0,0,1]
	v_mul_f32_e32 v116, v117, v104
	s_delay_alu instid0(VALU_DEP_3) | instskip(NEXT) | instid1(VALU_DEP_2)
	v_pk_add_f32 v[14:15], v[14:15], v[120:121] neg_lo:[0,1] neg_hi:[0,1]
	v_pk_fma_f32 v[114:115], v[114:115], v[46:47], v[116:117] op_sel_hi:[1,1,0]
	s_delay_alu instid0(VALU_DEP_1) | instskip(SKIP_4) | instid1(VALU_DEP_1)
	v_mov_b32_e32 v119, v115
	ds_load_2addr_b64 v[114:117], v108 offset0:42 offset1:43
	v_pk_add_f32 v[10:11], v[10:11], v[118:119] neg_lo:[0,1] neg_hi:[0,1]
	s_wait_dscnt 0x0
	v_pk_mul_f32 v[118:119], v[114:115], v[106:107] op_sel:[0,1]
	v_pk_fma_f32 v[120:121], v[114:115], v[104:105], v[118:119] op_sel:[0,0,1] op_sel_hi:[1,1,0] neg_lo:[0,0,1] neg_hi:[0,0,1]
	v_pk_fma_f32 v[114:115], v[114:115], v[104:105], v[118:119] op_sel:[0,0,1] op_sel_hi:[1,0,0]
	s_delay_alu instid0(VALU_DEP_1) | instskip(SKIP_1) | instid1(VALU_DEP_1)
	v_mov_b32_e32 v121, v115
	v_pk_mul_f32 v[114:115], v[116:117], v[106:107] op_sel:[0,1]
	v_pk_fma_f32 v[118:119], v[116:117], v[104:105], v[114:115] op_sel:[0,0,1] op_sel_hi:[1,1,0] neg_lo:[0,0,1] neg_hi:[0,0,1]
	v_pk_fma_f32 v[114:115], v[116:117], v[104:105], v[114:115] op_sel:[0,0,1] op_sel_hi:[1,0,0]
	s_delay_alu instid0(VALU_DEP_1)
	v_mov_b32_e32 v119, v115
	ds_load_2addr_b64 v[114:117], v108 offset0:44 offset1:45
	v_pk_add_f32 v[12:13], v[12:13], v[120:121] neg_lo:[0,1] neg_hi:[0,1]
	v_pk_add_f32 v[8:9], v[8:9], v[118:119] neg_lo:[0,1] neg_hi:[0,1]
	s_wait_dscnt 0x0
	v_pk_mul_f32 v[118:119], v[114:115], v[106:107] op_sel:[0,1]
	s_delay_alu instid0(VALU_DEP_1) | instskip(SKIP_1) | instid1(VALU_DEP_1)
	v_pk_fma_f32 v[120:121], v[114:115], v[104:105], v[118:119] op_sel:[0,0,1] op_sel_hi:[1,1,0] neg_lo:[0,0,1] neg_hi:[0,0,1]
	v_pk_fma_f32 v[114:115], v[114:115], v[104:105], v[118:119] op_sel:[0,0,1] op_sel_hi:[1,0,0]
	v_mov_b32_e32 v121, v115
	v_pk_mul_f32 v[114:115], v[116:117], v[106:107] op_sel:[0,1]
	s_delay_alu instid0(VALU_DEP_1) | instskip(SKIP_1) | instid1(VALU_DEP_1)
	v_pk_fma_f32 v[118:119], v[116:117], v[104:105], v[114:115] op_sel:[0,0,1] op_sel_hi:[1,1,0] neg_lo:[0,0,1] neg_hi:[0,0,1]
	v_pk_fma_f32 v[114:115], v[116:117], v[104:105], v[114:115] op_sel:[0,0,1] op_sel_hi:[1,0,0]
	v_mov_b32_e32 v119, v115
	ds_load_2addr_b64 v[114:117], v108 offset0:46 offset1:47
	v_pk_add_f32 v[6:7], v[6:7], v[120:121] neg_lo:[0,1] neg_hi:[0,1]
	v_pk_add_f32 v[28:29], v[28:29], v[118:119] neg_lo:[0,1] neg_hi:[0,1]
	s_wait_dscnt 0x0
	v_dual_mul_f32 v118, v115, v107 :: v_dual_mul_f32 v120, v115, v104
	s_delay_alu instid0(VALU_DEP_1) | instskip(NEXT) | instid1(VALU_DEP_2)
	v_pk_fma_f32 v[118:119], v[114:115], v[46:47], v[118:119] op_sel_hi:[1,1,0] neg_lo:[0,0,1] neg_hi:[0,0,1]
	v_pk_fma_f32 v[114:115], v[114:115], v[46:47], v[120:121] op_sel:[1,0,0] op_sel_hi:[0,1,0]
	s_delay_alu instid0(VALU_DEP_1) | instskip(SKIP_1) | instid1(VALU_DEP_2)
	v_mov_b32_e32 v119, v115
	v_pk_mul_f32 v[114:115], v[116:117], v[106:107] op_sel:[0,1]
	v_pk_add_f32 v[18:19], v[18:19], v[118:119] neg_lo:[0,1] neg_hi:[0,1]
	s_delay_alu instid0(VALU_DEP_2) | instskip(SKIP_1) | instid1(VALU_DEP_1)
	v_pk_fma_f32 v[118:119], v[116:117], v[104:105], v[114:115] op_sel:[0,0,1] op_sel_hi:[1,1,0] neg_lo:[0,0,1] neg_hi:[0,0,1]
	v_pk_fma_f32 v[114:115], v[116:117], v[104:105], v[114:115] op_sel:[0,0,1] op_sel_hi:[1,0,0]
	v_mov_b32_e32 v119, v115
	ds_load_b64 v[114:115], v108 offset:384
	v_pk_add_f32 v[16:17], v[16:17], v[118:119] neg_lo:[0,1] neg_hi:[0,1]
	s_wait_dscnt 0x0
	v_pk_mul_f32 v[106:107], v[114:115], v[106:107] op_sel:[0,1]
	s_delay_alu instid0(VALU_DEP_1) | instskip(SKIP_1) | instid1(VALU_DEP_1)
	v_pk_fma_f32 v[116:117], v[114:115], v[104:105], v[106:107] op_sel:[0,0,1] op_sel_hi:[1,1,0] neg_lo:[0,0,1] neg_hi:[0,0,1]
	v_pk_fma_f32 v[104:105], v[114:115], v[104:105], v[106:107] op_sel:[0,0,1] op_sel_hi:[1,0,0]
	v_mov_b32_e32 v117, v105
	s_delay_alu instid0(VALU_DEP_1)
	v_pk_add_f32 v[102:103], v[102:103], v[116:117] neg_lo:[0,1] neg_hi:[0,1]
.LBB96_587:
	s_or_b32 exec_lo, exec_lo, s0
	v_lshl_add_u32 v104, v112, 3, v108
	s_barrier_signal -1
	s_barrier_wait -1
	ds_store_b64 v104, v[44:45]
	s_wait_dscnt 0x0
	s_barrier_signal -1
	s_barrier_wait -1
	ds_load_b64 v[106:107], v108 offset:224
	v_mov_b32_e32 v104, 28
	s_cmp_lt_i32 s18, 30
	s_cbranch_scc1 .LBB96_590
; %bb.588:
	v_add3_u32 v105, v109, 0, 0xe8
	v_mov_b32_e32 v104, 28
	s_mov_b32 s0, 29
.LBB96_589:                             ; =>This Inner Loop Header: Depth=1
	ds_load_b64 v[114:115], v105
	s_wait_dscnt 0x1
	v_cmp_gt_f32_e32 vcc_lo, 0, v106
	v_cndmask_b32_e64 v116, v106, -v106, vcc_lo
	v_cmp_gt_f32_e32 vcc_lo, 0, v107
	v_cndmask_b32_e64 v118, v107, -v107, vcc_lo
	s_wait_dscnt 0x0
	v_cmp_gt_f32_e32 vcc_lo, 0, v114
	v_cndmask_b32_e64 v117, v114, -v114, vcc_lo
	v_cmp_gt_f32_e32 vcc_lo, 0, v115
	v_cndmask_b32_e64 v119, v115, -v115, vcc_lo
	s_delay_alu instid0(VALU_DEP_1) | instskip(NEXT) | instid1(VALU_DEP_1)
	v_pk_add_f32 v[116:117], v[116:117], v[118:119]
	v_cmp_lt_f32_e32 vcc_lo, v116, v117
	v_dual_add_nc_u32 v105, 8, v105 :: v_dual_cndmask_b32 v107, v107, v115, vcc_lo
	v_cndmask_b32_e32 v106, v106, v114, vcc_lo
	v_cndmask_b32_e64 v104, v104, s0, vcc_lo
	s_add_co_i32 s0, s0, 1
	s_delay_alu instid0(SALU_CYCLE_1)
	s_cmp_lg_u32 s18, s0
	s_cbranch_scc1 .LBB96_589
.LBB96_590:
	s_wait_dscnt 0x0
	v_cmp_eq_f32_e32 vcc_lo, 0, v106
	v_cmp_eq_f32_e64 s0, 0, v107
	s_and_b32 s0, vcc_lo, s0
	s_delay_alu instid0(SALU_CYCLE_1) | instskip(NEXT) | instid1(SALU_CYCLE_1)
	s_and_saveexec_b32 s1, s0
	s_xor_b32 s0, exec_lo, s1
; %bb.591:
	v_cmp_ne_u32_e32 vcc_lo, 0, v110
	v_cndmask_b32_e32 v110, 29, v110, vcc_lo
; %bb.592:
	s_and_not1_saveexec_b32 s0, s0
	s_cbranch_execz .LBB96_598
; %bb.593:
	v_cmp_ngt_f32_e64 s1, |v106|, |v107|
	s_and_saveexec_b32 s12, s1
	s_delay_alu instid0(SALU_CYCLE_1)
	s_xor_b32 s1, exec_lo, s12
	s_cbranch_execz .LBB96_595
; %bb.594:
	v_div_scale_f32 v105, null, v107, v107, v106
	v_div_scale_f32 v115, vcc_lo, v106, v107, v106
	s_delay_alu instid0(VALU_DEP_2) | instskip(SKIP_1) | instid1(TRANS32_DEP_1)
	v_rcp_f32_e32 v113, v105
	v_nop
	v_fma_f32 v114, -v105, v113, 1.0
	s_delay_alu instid0(VALU_DEP_1) | instskip(NEXT) | instid1(VALU_DEP_1)
	v_fmac_f32_e32 v113, v114, v113
	v_mul_f32_e32 v114, v115, v113
	s_delay_alu instid0(VALU_DEP_1) | instskip(NEXT) | instid1(VALU_DEP_1)
	v_fma_f32 v116, -v105, v114, v115
	v_fmac_f32_e32 v114, v116, v113
	s_delay_alu instid0(VALU_DEP_1) | instskip(NEXT) | instid1(VALU_DEP_1)
	v_fma_f32 v105, -v105, v114, v115
	v_div_fmas_f32 v105, v105, v113, v114
	s_delay_alu instid0(VALU_DEP_1) | instskip(NEXT) | instid1(VALU_DEP_1)
	v_div_fixup_f32 v105, v105, v107, v106
	v_fmac_f32_e32 v107, v106, v105
	s_delay_alu instid0(VALU_DEP_1) | instskip(SKIP_1) | instid1(VALU_DEP_2)
	v_div_scale_f32 v106, null, v107, v107, 1.0
	v_div_scale_f32 v115, vcc_lo, 1.0, v107, 1.0
	v_rcp_f32_e32 v113, v106
	v_nop
	s_delay_alu instid0(TRANS32_DEP_1) | instskip(NEXT) | instid1(VALU_DEP_1)
	v_fma_f32 v114, -v106, v113, 1.0
	v_fmac_f32_e32 v113, v114, v113
	s_delay_alu instid0(VALU_DEP_1) | instskip(NEXT) | instid1(VALU_DEP_1)
	v_mul_f32_e32 v114, v115, v113
	v_fma_f32 v116, -v106, v114, v115
	s_delay_alu instid0(VALU_DEP_1) | instskip(NEXT) | instid1(VALU_DEP_1)
	v_fmac_f32_e32 v114, v116, v113
	v_fma_f32 v106, -v106, v114, v115
	s_delay_alu instid0(VALU_DEP_1) | instskip(NEXT) | instid1(VALU_DEP_1)
	v_div_fmas_f32 v106, v106, v113, v114
	v_div_fixup_f32 v107, v106, v107, 1.0
	s_delay_alu instid0(VALU_DEP_1)
	v_mul_f32_e32 v106, v105, v107
	v_xor_b32_e32 v107, 0x80000000, v107
.LBB96_595:
	s_and_not1_saveexec_b32 s1, s1
	s_cbranch_execz .LBB96_597
; %bb.596:
	s_delay_alu instid0(VALU_DEP_1) | instskip(SKIP_1) | instid1(VALU_DEP_2)
	v_div_scale_f32 v105, null, v106, v106, v107
	v_div_scale_f32 v115, vcc_lo, v107, v106, v107
	v_rcp_f32_e32 v113, v105
	v_nop
	s_delay_alu instid0(TRANS32_DEP_1) | instskip(NEXT) | instid1(VALU_DEP_1)
	v_fma_f32 v114, -v105, v113, 1.0
	v_fmac_f32_e32 v113, v114, v113
	s_delay_alu instid0(VALU_DEP_1) | instskip(NEXT) | instid1(VALU_DEP_1)
	v_mul_f32_e32 v114, v115, v113
	v_fma_f32 v116, -v105, v114, v115
	s_delay_alu instid0(VALU_DEP_1) | instskip(NEXT) | instid1(VALU_DEP_1)
	v_fmac_f32_e32 v114, v116, v113
	v_fma_f32 v105, -v105, v114, v115
	s_delay_alu instid0(VALU_DEP_1) | instskip(NEXT) | instid1(VALU_DEP_1)
	v_div_fmas_f32 v105, v105, v113, v114
	v_div_fixup_f32 v105, v105, v106, v107
	s_delay_alu instid0(VALU_DEP_1) | instskip(NEXT) | instid1(VALU_DEP_1)
	v_fmac_f32_e32 v106, v107, v105
	v_div_scale_f32 v107, null, v106, v106, 1.0
	s_delay_alu instid0(VALU_DEP_1) | instskip(SKIP_1) | instid1(TRANS32_DEP_1)
	v_rcp_f32_e32 v113, v107
	v_nop
	v_fma_f32 v114, -v107, v113, 1.0
	s_delay_alu instid0(VALU_DEP_1) | instskip(SKIP_1) | instid1(VALU_DEP_1)
	v_fmac_f32_e32 v113, v114, v113
	v_div_scale_f32 v114, vcc_lo, 1.0, v106, 1.0
	v_mul_f32_e32 v115, v114, v113
	s_delay_alu instid0(VALU_DEP_1) | instskip(NEXT) | instid1(VALU_DEP_1)
	v_fma_f32 v116, -v107, v115, v114
	v_fmac_f32_e32 v115, v116, v113
	s_delay_alu instid0(VALU_DEP_1) | instskip(NEXT) | instid1(VALU_DEP_1)
	v_fma_f32 v107, -v107, v115, v114
	v_div_fmas_f32 v107, v107, v113, v115
	s_delay_alu instid0(VALU_DEP_1) | instskip(NEXT) | instid1(VALU_DEP_1)
	v_div_fixup_f32 v106, v107, v106, 1.0
	v_mul_f32_e64 v107, v105, -v106
.LBB96_597:
	s_or_b32 exec_lo, exec_lo, s1
.LBB96_598:
	s_delay_alu instid0(SALU_CYCLE_1) | instskip(NEXT) | instid1(SALU_CYCLE_1)
	s_or_b32 exec_lo, exec_lo, s0
	s_mov_b32 s0, exec_lo
	v_cmpx_ne_u32_e64 v112, v104
	s_xor_b32 s0, exec_lo, s0
	s_cbranch_execz .LBB96_604
; %bb.599:
	s_mov_b32 s1, exec_lo
	v_cmpx_eq_u32_e32 28, v112
	s_cbranch_execz .LBB96_603
; %bb.600:
	v_cmp_ne_u32_e32 vcc_lo, 28, v104
	s_xor_b32 s12, s16, -1
	s_delay_alu instid0(SALU_CYCLE_1) | instskip(NEXT) | instid1(SALU_CYCLE_1)
	s_and_b32 s13, s12, vcc_lo
	s_and_saveexec_b32 s12, s13
	s_cbranch_execz .LBB96_602
; %bb.601:
	v_ashrrev_i32_e32 v105, 31, v104
	s_delay_alu instid0(VALU_DEP_1)
	v_lshl_add_u64 v[112:113], v[104:105], 2, v[4:5]
	s_clause 0x1
	global_load_b32 v105, v[112:113], off
	global_load_b32 v111, v[4:5], off offset:112
	s_wait_loadcnt 0x1
	global_store_b32 v[4:5], v105, off offset:112
	s_wait_loadcnt 0x0
	global_store_b32 v[112:113], v111, off
.LBB96_602:
	s_wait_xcnt 0x0
	s_or_b32 exec_lo, exec_lo, s12
	v_dual_mov_b32 v112, v104 :: v_dual_mov_b32 v111, v104
.LBB96_603:
	s_or_b32 exec_lo, exec_lo, s1
.LBB96_604:
	s_and_not1_saveexec_b32 s0, s0
	s_cbranch_execz .LBB96_606
; %bb.605:
	v_mov_b32_e32 v112, 28
	ds_store_2addr_b64 v108, v[40:41], v[42:43] offset0:29 offset1:30
	ds_store_2addr_b64 v108, v[38:39], v[36:37] offset0:31 offset1:32
	;; [unrolled: 1-line block ×10, first 2 shown]
.LBB96_606:
	s_or_b32 exec_lo, exec_lo, s0
	s_delay_alu instid0(SALU_CYCLE_1)
	s_mov_b32 s0, exec_lo
	s_wait_storecnt_dscnt 0x0
	s_barrier_signal -1
	s_barrier_wait -1
	v_cmpx_lt_i32_e32 28, v112
	s_cbranch_execz .LBB96_608
; %bb.607:
	v_pk_mul_f32 v[114:115], v[106:107], v[44:45] op_sel:[1,1] op_sel_hi:[0,1]
	s_delay_alu instid0(VALU_DEP_1)
	v_pk_fma_f32 v[104:105], v[106:107], v[44:45], v[114:115] op_sel_hi:[1,0,1] neg_lo:[0,0,1] neg_hi:[0,0,1]
	v_pk_fma_f32 v[106:107], v[106:107], v[44:45], v[114:115] op_sel_hi:[1,0,1]
	ds_load_2addr_b64 v[114:117], v108 offset0:29 offset1:30
	v_dual_mov_b32 v44, v104 :: v_dual_mov_b32 v45, v107
	s_wait_dscnt 0x0
	v_pk_mul_f32 v[118:119], v[114:115], v[106:107] op_sel:[0,1]
	s_delay_alu instid0(VALU_DEP_1) | instskip(SKIP_1) | instid1(VALU_DEP_1)
	v_pk_fma_f32 v[120:121], v[114:115], v[104:105], v[118:119] op_sel:[0,0,1] op_sel_hi:[1,1,0] neg_lo:[0,0,1] neg_hi:[0,0,1]
	v_pk_fma_f32 v[114:115], v[114:115], v[104:105], v[118:119] op_sel:[0,0,1] op_sel_hi:[1,0,0]
	v_mov_b32_e32 v121, v115
	v_pk_mul_f32 v[114:115], v[116:117], v[106:107] op_sel:[0,1]
	s_delay_alu instid0(VALU_DEP_1) | instskip(SKIP_1) | instid1(VALU_DEP_1)
	v_pk_fma_f32 v[118:119], v[116:117], v[104:105], v[114:115] op_sel:[0,0,1] op_sel_hi:[1,1,0] neg_lo:[0,0,1] neg_hi:[0,0,1]
	v_pk_fma_f32 v[114:115], v[116:117], v[104:105], v[114:115] op_sel:[0,0,1] op_sel_hi:[1,0,0]
	v_mov_b32_e32 v119, v115
	ds_load_2addr_b64 v[114:117], v108 offset0:31 offset1:32
	v_pk_add_f32 v[40:41], v[40:41], v[120:121] neg_lo:[0,1] neg_hi:[0,1]
	v_pk_add_f32 v[42:43], v[42:43], v[118:119] neg_lo:[0,1] neg_hi:[0,1]
	s_wait_dscnt 0x0
	v_pk_mul_f32 v[118:119], v[114:115], v[106:107] op_sel:[0,1]
	s_delay_alu instid0(VALU_DEP_1) | instskip(SKIP_2) | instid1(VALU_DEP_2)
	v_pk_fma_f32 v[120:121], v[114:115], v[104:105], v[118:119] op_sel:[0,0,1] op_sel_hi:[1,1,0] neg_lo:[0,0,1] neg_hi:[0,0,1]
	v_pk_fma_f32 v[114:115], v[114:115], v[104:105], v[118:119] op_sel:[0,0,1] op_sel_hi:[1,0,0]
	v_dual_mul_f32 v118, v117, v107 :: v_dual_mov_b32 v114, v117
	v_dual_mov_b32 v121, v115 :: v_dual_mov_b32 v115, v116
	s_delay_alu instid0(VALU_DEP_2) | instskip(SKIP_1) | instid1(VALU_DEP_3)
	v_pk_fma_f32 v[118:119], v[116:117], v[44:45], v[118:119] op_sel_hi:[1,1,0] neg_lo:[0,0,1] neg_hi:[0,0,1]
	v_mul_f32_e32 v116, v117, v104
	v_pk_add_f32 v[38:39], v[38:39], v[120:121] neg_lo:[0,1] neg_hi:[0,1]
	s_delay_alu instid0(VALU_DEP_2) | instskip(NEXT) | instid1(VALU_DEP_1)
	v_pk_fma_f32 v[114:115], v[114:115], v[44:45], v[116:117] op_sel_hi:[1,1,0]
	v_mov_b32_e32 v119, v115
	ds_load_2addr_b64 v[114:117], v108 offset0:33 offset1:34
	v_pk_add_f32 v[36:37], v[36:37], v[118:119] neg_lo:[0,1] neg_hi:[0,1]
	s_wait_dscnt 0x0
	v_pk_mul_f32 v[118:119], v[114:115], v[106:107] op_sel:[0,1]
	s_delay_alu instid0(VALU_DEP_1) | instskip(SKIP_1) | instid1(VALU_DEP_1)
	v_pk_fma_f32 v[120:121], v[114:115], v[104:105], v[118:119] op_sel:[0,0,1] op_sel_hi:[1,1,0] neg_lo:[0,0,1] neg_hi:[0,0,1]
	v_pk_fma_f32 v[114:115], v[114:115], v[104:105], v[118:119] op_sel:[0,0,1] op_sel_hi:[1,0,0]
	v_mov_b32_e32 v121, v115
	v_pk_mul_f32 v[114:115], v[116:117], v[106:107] op_sel:[0,1]
	s_delay_alu instid0(VALU_DEP_1) | instskip(SKIP_1) | instid1(VALU_DEP_1)
	v_pk_fma_f32 v[118:119], v[116:117], v[104:105], v[114:115] op_sel:[0,0,1] op_sel_hi:[1,1,0] neg_lo:[0,0,1] neg_hi:[0,0,1]
	v_pk_fma_f32 v[114:115], v[116:117], v[104:105], v[114:115] op_sel:[0,0,1] op_sel_hi:[1,0,0]
	v_mov_b32_e32 v119, v115
	ds_load_2addr_b64 v[114:117], v108 offset0:35 offset1:36
	v_pk_add_f32 v[32:33], v[32:33], v[120:121] neg_lo:[0,1] neg_hi:[0,1]
	v_pk_add_f32 v[34:35], v[34:35], v[118:119] neg_lo:[0,1] neg_hi:[0,1]
	s_wait_dscnt 0x0
	v_pk_mul_f32 v[118:119], v[114:115], v[106:107] op_sel:[0,1]
	s_delay_alu instid0(VALU_DEP_1) | instskip(SKIP_1) | instid1(VALU_DEP_1)
	v_pk_fma_f32 v[120:121], v[114:115], v[104:105], v[118:119] op_sel:[0,0,1] op_sel_hi:[1,1,0] neg_lo:[0,0,1] neg_hi:[0,0,1]
	v_pk_fma_f32 v[114:115], v[114:115], v[104:105], v[118:119] op_sel:[0,0,1] op_sel_hi:[1,0,0]
	v_mov_b32_e32 v121, v115
	v_pk_mul_f32 v[114:115], v[116:117], v[106:107] op_sel:[0,1]
	s_delay_alu instid0(VALU_DEP_1) | instskip(SKIP_1) | instid1(VALU_DEP_1)
	v_pk_fma_f32 v[118:119], v[116:117], v[104:105], v[114:115] op_sel:[0,0,1] op_sel_hi:[1,1,0] neg_lo:[0,0,1] neg_hi:[0,0,1]
	v_pk_fma_f32 v[114:115], v[116:117], v[104:105], v[114:115] op_sel:[0,0,1] op_sel_hi:[1,0,0]
	v_mov_b32_e32 v119, v115
	ds_load_2addr_b64 v[114:117], v108 offset0:37 offset1:38
	v_pk_add_f32 v[30:31], v[30:31], v[120:121] neg_lo:[0,1] neg_hi:[0,1]
	v_pk_add_f32 v[26:27], v[26:27], v[118:119] neg_lo:[0,1] neg_hi:[0,1]
	s_wait_dscnt 0x0
	v_dual_mul_f32 v118, v115, v107 :: v_dual_mul_f32 v120, v115, v104
	s_delay_alu instid0(VALU_DEP_1) | instskip(NEXT) | instid1(VALU_DEP_2)
	v_pk_fma_f32 v[118:119], v[114:115], v[44:45], v[118:119] op_sel_hi:[1,1,0] neg_lo:[0,0,1] neg_hi:[0,0,1]
	v_pk_fma_f32 v[114:115], v[114:115], v[44:45], v[120:121] op_sel:[1,0,0] op_sel_hi:[0,1,0]
	s_delay_alu instid0(VALU_DEP_1) | instskip(SKIP_1) | instid1(VALU_DEP_2)
	v_mov_b32_e32 v119, v115
	v_pk_mul_f32 v[114:115], v[116:117], v[106:107] op_sel:[0,1]
	v_pk_add_f32 v[22:23], v[22:23], v[118:119] neg_lo:[0,1] neg_hi:[0,1]
	s_delay_alu instid0(VALU_DEP_2) | instskip(SKIP_1) | instid1(VALU_DEP_1)
	v_pk_fma_f32 v[118:119], v[116:117], v[104:105], v[114:115] op_sel:[0,0,1] op_sel_hi:[1,1,0] neg_lo:[0,0,1] neg_hi:[0,0,1]
	v_pk_fma_f32 v[114:115], v[116:117], v[104:105], v[114:115] op_sel:[0,0,1] op_sel_hi:[1,0,0]
	v_mov_b32_e32 v119, v115
	ds_load_2addr_b64 v[114:117], v108 offset0:39 offset1:40
	v_pk_add_f32 v[24:25], v[24:25], v[118:119] neg_lo:[0,1] neg_hi:[0,1]
	s_wait_dscnt 0x0
	v_pk_mul_f32 v[118:119], v[114:115], v[106:107] op_sel:[0,1]
	s_delay_alu instid0(VALU_DEP_1) | instskip(SKIP_1) | instid1(VALU_DEP_1)
	v_pk_fma_f32 v[120:121], v[114:115], v[104:105], v[118:119] op_sel:[0,0,1] op_sel_hi:[1,1,0] neg_lo:[0,0,1] neg_hi:[0,0,1]
	v_pk_fma_f32 v[114:115], v[114:115], v[104:105], v[118:119] op_sel:[0,0,1] op_sel_hi:[1,0,0]
	v_mov_b32_e32 v121, v115
	v_pk_mul_f32 v[114:115], v[116:117], v[106:107] op_sel:[0,1]
	s_delay_alu instid0(VALU_DEP_2) | instskip(NEXT) | instid1(VALU_DEP_2)
	v_pk_add_f32 v[20:21], v[20:21], v[120:121] neg_lo:[0,1] neg_hi:[0,1]
	v_pk_fma_f32 v[118:119], v[116:117], v[104:105], v[114:115] op_sel:[0,0,1] op_sel_hi:[1,1,0] neg_lo:[0,0,1] neg_hi:[0,0,1]
	v_pk_fma_f32 v[114:115], v[116:117], v[104:105], v[114:115] op_sel:[0,0,1] op_sel_hi:[1,0,0]
	s_delay_alu instid0(VALU_DEP_1) | instskip(SKIP_4) | instid1(VALU_DEP_1)
	v_mov_b32_e32 v119, v115
	ds_load_2addr_b64 v[114:117], v108 offset0:41 offset1:42
	v_pk_add_f32 v[14:15], v[14:15], v[118:119] neg_lo:[0,1] neg_hi:[0,1]
	s_wait_dscnt 0x0
	v_pk_mul_f32 v[118:119], v[114:115], v[106:107] op_sel:[0,1]
	v_pk_fma_f32 v[120:121], v[114:115], v[104:105], v[118:119] op_sel:[0,0,1] op_sel_hi:[1,1,0] neg_lo:[0,0,1] neg_hi:[0,0,1]
	v_pk_fma_f32 v[114:115], v[114:115], v[104:105], v[118:119] op_sel:[0,0,1] op_sel_hi:[1,0,0]
	v_dual_mul_f32 v118, v117, v107 :: v_dual_mov_b32 v114, v117
	s_delay_alu instid0(VALU_DEP_2) | instskip(NEXT) | instid1(VALU_DEP_2)
	v_dual_mov_b32 v121, v115 :: v_dual_mov_b32 v115, v116
	v_pk_fma_f32 v[118:119], v[116:117], v[44:45], v[118:119] op_sel_hi:[1,1,0] neg_lo:[0,0,1] neg_hi:[0,0,1]
	v_mul_f32_e32 v116, v117, v104
	s_delay_alu instid0(VALU_DEP_3) | instskip(NEXT) | instid1(VALU_DEP_2)
	v_pk_add_f32 v[10:11], v[10:11], v[120:121] neg_lo:[0,1] neg_hi:[0,1]
	v_pk_fma_f32 v[114:115], v[114:115], v[44:45], v[116:117] op_sel_hi:[1,1,0]
	s_delay_alu instid0(VALU_DEP_1) | instskip(SKIP_4) | instid1(VALU_DEP_1)
	v_mov_b32_e32 v119, v115
	ds_load_2addr_b64 v[114:117], v108 offset0:43 offset1:44
	v_pk_add_f32 v[12:13], v[12:13], v[118:119] neg_lo:[0,1] neg_hi:[0,1]
	s_wait_dscnt 0x0
	v_pk_mul_f32 v[118:119], v[114:115], v[106:107] op_sel:[0,1]
	v_pk_fma_f32 v[120:121], v[114:115], v[104:105], v[118:119] op_sel:[0,0,1] op_sel_hi:[1,1,0] neg_lo:[0,0,1] neg_hi:[0,0,1]
	v_pk_fma_f32 v[114:115], v[114:115], v[104:105], v[118:119] op_sel:[0,0,1] op_sel_hi:[1,0,0]
	s_delay_alu instid0(VALU_DEP_1) | instskip(SKIP_1) | instid1(VALU_DEP_1)
	v_mov_b32_e32 v121, v115
	v_pk_mul_f32 v[114:115], v[116:117], v[106:107] op_sel:[0,1]
	v_pk_fma_f32 v[118:119], v[116:117], v[104:105], v[114:115] op_sel:[0,0,1] op_sel_hi:[1,1,0] neg_lo:[0,0,1] neg_hi:[0,0,1]
	v_pk_fma_f32 v[114:115], v[116:117], v[104:105], v[114:115] op_sel:[0,0,1] op_sel_hi:[1,0,0]
	s_delay_alu instid0(VALU_DEP_1)
	v_mov_b32_e32 v119, v115
	ds_load_2addr_b64 v[114:117], v108 offset0:45 offset1:46
	v_pk_add_f32 v[8:9], v[8:9], v[120:121] neg_lo:[0,1] neg_hi:[0,1]
	v_pk_add_f32 v[6:7], v[6:7], v[118:119] neg_lo:[0,1] neg_hi:[0,1]
	s_wait_dscnt 0x0
	v_pk_mul_f32 v[118:119], v[114:115], v[106:107] op_sel:[0,1]
	s_delay_alu instid0(VALU_DEP_1) | instskip(SKIP_1) | instid1(VALU_DEP_1)
	v_pk_fma_f32 v[120:121], v[114:115], v[104:105], v[118:119] op_sel:[0,0,1] op_sel_hi:[1,1,0] neg_lo:[0,0,1] neg_hi:[0,0,1]
	v_pk_fma_f32 v[114:115], v[114:115], v[104:105], v[118:119] op_sel:[0,0,1] op_sel_hi:[1,0,0]
	v_mov_b32_e32 v121, v115
	v_pk_mul_f32 v[114:115], v[116:117], v[106:107] op_sel:[0,1]
	s_delay_alu instid0(VALU_DEP_1) | instskip(SKIP_1) | instid1(VALU_DEP_1)
	v_pk_fma_f32 v[118:119], v[116:117], v[104:105], v[114:115] op_sel:[0,0,1] op_sel_hi:[1,1,0] neg_lo:[0,0,1] neg_hi:[0,0,1]
	v_pk_fma_f32 v[114:115], v[116:117], v[104:105], v[114:115] op_sel:[0,0,1] op_sel_hi:[1,0,0]
	v_mov_b32_e32 v119, v115
	ds_load_2addr_b64 v[114:117], v108 offset0:47 offset1:48
	v_pk_add_f32 v[28:29], v[28:29], v[120:121] neg_lo:[0,1] neg_hi:[0,1]
	v_pk_add_f32 v[18:19], v[18:19], v[118:119] neg_lo:[0,1] neg_hi:[0,1]
	s_wait_dscnt 0x0
	v_dual_mul_f32 v118, v115, v107 :: v_dual_mul_f32 v120, v115, v104
	v_pk_mul_f32 v[106:107], v[116:117], v[106:107] op_sel:[0,1]
	s_delay_alu instid0(VALU_DEP_2) | instskip(NEXT) | instid1(VALU_DEP_3)
	v_pk_fma_f32 v[118:119], v[114:115], v[44:45], v[118:119] op_sel_hi:[1,1,0] neg_lo:[0,0,1] neg_hi:[0,0,1]
	v_pk_fma_f32 v[114:115], v[114:115], v[44:45], v[120:121] op_sel:[1,0,0] op_sel_hi:[0,1,0]
	s_delay_alu instid0(VALU_DEP_1) | instskip(NEXT) | instid1(VALU_DEP_4)
	v_mov_b32_e32 v119, v115
	v_pk_fma_f32 v[114:115], v[116:117], v[104:105], v[106:107] op_sel:[0,0,1] op_sel_hi:[1,1,0] neg_lo:[0,0,1] neg_hi:[0,0,1]
	v_pk_fma_f32 v[104:105], v[116:117], v[104:105], v[106:107] op_sel:[0,0,1] op_sel_hi:[1,0,0]
	s_delay_alu instid0(VALU_DEP_1) | instskip(NEXT) | instid1(VALU_DEP_4)
	v_mov_b32_e32 v115, v105
	v_pk_add_f32 v[16:17], v[16:17], v[118:119] neg_lo:[0,1] neg_hi:[0,1]
	s_delay_alu instid0(VALU_DEP_2)
	v_pk_add_f32 v[102:103], v[102:103], v[114:115] neg_lo:[0,1] neg_hi:[0,1]
.LBB96_608:
	s_or_b32 exec_lo, exec_lo, s0
	v_lshl_add_u32 v104, v112, 3, v108
	s_barrier_signal -1
	s_barrier_wait -1
	ds_store_b64 v104, v[40:41]
	s_wait_dscnt 0x0
	s_barrier_signal -1
	s_barrier_wait -1
	ds_load_b64 v[104:105], v108 offset:232
	v_mov_b32_e32 v106, 29
	s_cmp_lt_i32 s18, 31
	s_cbranch_scc1 .LBB96_611
; %bb.609:
	v_add3_u32 v107, v109, 0, 0xf0
	v_mov_b32_e32 v106, 29
	s_mov_b32 s0, 30
.LBB96_610:                             ; =>This Inner Loop Header: Depth=1
	ds_load_b64 v[114:115], v107
	s_wait_dscnt 0x1
	v_cmp_gt_f32_e32 vcc_lo, 0, v104
	v_cndmask_b32_e64 v116, v104, -v104, vcc_lo
	v_cmp_gt_f32_e32 vcc_lo, 0, v105
	v_cndmask_b32_e64 v118, v105, -v105, vcc_lo
	s_wait_dscnt 0x0
	v_cmp_gt_f32_e32 vcc_lo, 0, v114
	v_cndmask_b32_e64 v117, v114, -v114, vcc_lo
	v_cmp_gt_f32_e32 vcc_lo, 0, v115
	v_cndmask_b32_e64 v119, v115, -v115, vcc_lo
	s_delay_alu instid0(VALU_DEP_1) | instskip(NEXT) | instid1(VALU_DEP_1)
	v_pk_add_f32 v[116:117], v[116:117], v[118:119]
	v_cmp_lt_f32_e32 vcc_lo, v116, v117
	v_dual_cndmask_b32 v104, v104, v114 :: v_dual_add_nc_u32 v107, 8, v107
	v_cndmask_b32_e32 v105, v105, v115, vcc_lo
	v_cndmask_b32_e64 v106, v106, s0, vcc_lo
	s_add_co_i32 s0, s0, 1
	s_delay_alu instid0(SALU_CYCLE_1)
	s_cmp_lg_u32 s18, s0
	s_cbranch_scc1 .LBB96_610
.LBB96_611:
	s_wait_dscnt 0x0
	v_cmp_eq_f32_e32 vcc_lo, 0, v104
	v_cmp_eq_f32_e64 s0, 0, v105
	s_and_b32 s0, vcc_lo, s0
	s_delay_alu instid0(SALU_CYCLE_1) | instskip(NEXT) | instid1(SALU_CYCLE_1)
	s_and_saveexec_b32 s1, s0
	s_xor_b32 s0, exec_lo, s1
; %bb.612:
	v_cmp_ne_u32_e32 vcc_lo, 0, v110
	v_cndmask_b32_e32 v110, 30, v110, vcc_lo
; %bb.613:
	s_and_not1_saveexec_b32 s0, s0
	s_cbranch_execz .LBB96_619
; %bb.614:
	v_cmp_ngt_f32_e64 s1, |v104|, |v105|
	s_and_saveexec_b32 s12, s1
	s_delay_alu instid0(SALU_CYCLE_1)
	s_xor_b32 s1, exec_lo, s12
	s_cbranch_execz .LBB96_616
; %bb.615:
	v_div_scale_f32 v107, null, v105, v105, v104
	v_div_scale_f32 v115, vcc_lo, v104, v105, v104
	s_delay_alu instid0(VALU_DEP_2) | instskip(SKIP_1) | instid1(TRANS32_DEP_1)
	v_rcp_f32_e32 v113, v107
	v_nop
	v_fma_f32 v114, -v107, v113, 1.0
	s_delay_alu instid0(VALU_DEP_1) | instskip(NEXT) | instid1(VALU_DEP_1)
	v_fmac_f32_e32 v113, v114, v113
	v_mul_f32_e32 v114, v115, v113
	s_delay_alu instid0(VALU_DEP_1) | instskip(NEXT) | instid1(VALU_DEP_1)
	v_fma_f32 v116, -v107, v114, v115
	v_fmac_f32_e32 v114, v116, v113
	s_delay_alu instid0(VALU_DEP_1) | instskip(NEXT) | instid1(VALU_DEP_1)
	v_fma_f32 v107, -v107, v114, v115
	v_div_fmas_f32 v107, v107, v113, v114
	s_delay_alu instid0(VALU_DEP_1) | instskip(NEXT) | instid1(VALU_DEP_1)
	v_div_fixup_f32 v107, v107, v105, v104
	v_fmac_f32_e32 v105, v104, v107
	s_delay_alu instid0(VALU_DEP_1) | instskip(SKIP_1) | instid1(VALU_DEP_2)
	v_div_scale_f32 v104, null, v105, v105, 1.0
	v_div_scale_f32 v115, vcc_lo, 1.0, v105, 1.0
	v_rcp_f32_e32 v113, v104
	v_nop
	s_delay_alu instid0(TRANS32_DEP_1) | instskip(NEXT) | instid1(VALU_DEP_1)
	v_fma_f32 v114, -v104, v113, 1.0
	v_fmac_f32_e32 v113, v114, v113
	s_delay_alu instid0(VALU_DEP_1) | instskip(NEXT) | instid1(VALU_DEP_1)
	v_mul_f32_e32 v114, v115, v113
	v_fma_f32 v116, -v104, v114, v115
	s_delay_alu instid0(VALU_DEP_1) | instskip(NEXT) | instid1(VALU_DEP_1)
	v_fmac_f32_e32 v114, v116, v113
	v_fma_f32 v104, -v104, v114, v115
	s_delay_alu instid0(VALU_DEP_1) | instskip(NEXT) | instid1(VALU_DEP_1)
	v_div_fmas_f32 v104, v104, v113, v114
	v_div_fixup_f32 v105, v104, v105, 1.0
	s_delay_alu instid0(VALU_DEP_1)
	v_mul_f32_e32 v104, v107, v105
	v_xor_b32_e32 v105, 0x80000000, v105
.LBB96_616:
	s_and_not1_saveexec_b32 s1, s1
	s_cbranch_execz .LBB96_618
; %bb.617:
	s_delay_alu instid0(VALU_DEP_1) | instskip(SKIP_1) | instid1(VALU_DEP_2)
	v_div_scale_f32 v107, null, v104, v104, v105
	v_div_scale_f32 v115, vcc_lo, v105, v104, v105
	v_rcp_f32_e32 v113, v107
	v_nop
	s_delay_alu instid0(TRANS32_DEP_1) | instskip(NEXT) | instid1(VALU_DEP_1)
	v_fma_f32 v114, -v107, v113, 1.0
	v_fmac_f32_e32 v113, v114, v113
	s_delay_alu instid0(VALU_DEP_1) | instskip(NEXT) | instid1(VALU_DEP_1)
	v_mul_f32_e32 v114, v115, v113
	v_fma_f32 v116, -v107, v114, v115
	s_delay_alu instid0(VALU_DEP_1) | instskip(NEXT) | instid1(VALU_DEP_1)
	v_fmac_f32_e32 v114, v116, v113
	v_fma_f32 v107, -v107, v114, v115
	s_delay_alu instid0(VALU_DEP_1) | instskip(NEXT) | instid1(VALU_DEP_1)
	v_div_fmas_f32 v107, v107, v113, v114
	v_div_fixup_f32 v107, v107, v104, v105
	s_delay_alu instid0(VALU_DEP_1) | instskip(NEXT) | instid1(VALU_DEP_1)
	v_fmac_f32_e32 v104, v105, v107
	v_div_scale_f32 v105, null, v104, v104, 1.0
	s_delay_alu instid0(VALU_DEP_1) | instskip(SKIP_1) | instid1(TRANS32_DEP_1)
	v_rcp_f32_e32 v113, v105
	v_nop
	v_fma_f32 v114, -v105, v113, 1.0
	s_delay_alu instid0(VALU_DEP_1) | instskip(SKIP_1) | instid1(VALU_DEP_1)
	v_fmac_f32_e32 v113, v114, v113
	v_div_scale_f32 v114, vcc_lo, 1.0, v104, 1.0
	v_mul_f32_e32 v115, v114, v113
	s_delay_alu instid0(VALU_DEP_1) | instskip(NEXT) | instid1(VALU_DEP_1)
	v_fma_f32 v116, -v105, v115, v114
	v_fmac_f32_e32 v115, v116, v113
	s_delay_alu instid0(VALU_DEP_1) | instskip(NEXT) | instid1(VALU_DEP_1)
	v_fma_f32 v105, -v105, v115, v114
	v_div_fmas_f32 v105, v105, v113, v115
	s_delay_alu instid0(VALU_DEP_1) | instskip(NEXT) | instid1(VALU_DEP_1)
	v_div_fixup_f32 v104, v105, v104, 1.0
	v_mul_f32_e64 v105, v107, -v104
.LBB96_618:
	s_or_b32 exec_lo, exec_lo, s1
.LBB96_619:
	s_delay_alu instid0(SALU_CYCLE_1) | instskip(NEXT) | instid1(SALU_CYCLE_1)
	s_or_b32 exec_lo, exec_lo, s0
	s_mov_b32 s0, exec_lo
	v_cmpx_ne_u32_e64 v112, v106
	s_xor_b32 s0, exec_lo, s0
	s_cbranch_execz .LBB96_625
; %bb.620:
	s_mov_b32 s1, exec_lo
	v_cmpx_eq_u32_e32 29, v112
	s_cbranch_execz .LBB96_624
; %bb.621:
	v_cmp_ne_u32_e32 vcc_lo, 29, v106
	s_xor_b32 s12, s16, -1
	s_delay_alu instid0(SALU_CYCLE_1) | instskip(NEXT) | instid1(SALU_CYCLE_1)
	s_and_b32 s13, s12, vcc_lo
	s_and_saveexec_b32 s12, s13
	s_cbranch_execz .LBB96_623
; %bb.622:
	v_ashrrev_i32_e32 v107, 31, v106
	s_delay_alu instid0(VALU_DEP_1)
	v_lshl_add_u64 v[112:113], v[106:107], 2, v[4:5]
	s_clause 0x1
	global_load_b32 v107, v[112:113], off
	global_load_b32 v111, v[4:5], off offset:116
	s_wait_loadcnt 0x1
	global_store_b32 v[4:5], v107, off offset:116
	s_wait_loadcnt 0x0
	global_store_b32 v[112:113], v111, off
.LBB96_623:
	s_wait_xcnt 0x0
	s_or_b32 exec_lo, exec_lo, s12
	v_dual_mov_b32 v112, v106 :: v_dual_mov_b32 v111, v106
.LBB96_624:
	s_or_b32 exec_lo, exec_lo, s1
.LBB96_625:
	s_and_not1_saveexec_b32 s0, s0
	s_cbranch_execz .LBB96_627
; %bb.626:
	v_dual_mov_b32 v106, v42 :: v_dual_mov_b32 v107, v43
	v_dual_mov_b32 v112, v38 :: v_dual_mov_b32 v113, v39
	ds_store_2addr_b64 v108, v[106:107], v[112:113] offset0:30 offset1:31
	v_dual_mov_b32 v106, v36 :: v_dual_mov_b32 v107, v37
	v_dual_mov_b32 v112, v32 :: v_dual_mov_b32 v113, v33
	ds_store_2addr_b64 v108, v[106:107], v[112:113] offset0:32 offset1:33
	;; [unrolled: 3-line block ×9, first 2 shown]
	ds_store_b64 v108, v[102:103] offset:384
	v_mov_b32_e32 v112, 29
.LBB96_627:
	s_or_b32 exec_lo, exec_lo, s0
	s_delay_alu instid0(SALU_CYCLE_1)
	s_mov_b32 s0, exec_lo
	s_wait_storecnt_dscnt 0x0
	s_barrier_signal -1
	s_barrier_wait -1
	v_cmpx_lt_i32_e32 29, v112
	s_cbranch_execz .LBB96_629
; %bb.628:
	v_pk_mul_f32 v[114:115], v[104:105], v[40:41] op_sel:[1,1] op_sel_hi:[0,1]
	s_delay_alu instid0(VALU_DEP_1)
	v_pk_fma_f32 v[106:107], v[104:105], v[40:41], v[114:115] op_sel_hi:[1,0,1] neg_lo:[0,0,1] neg_hi:[0,0,1]
	v_pk_fma_f32 v[104:105], v[104:105], v[40:41], v[114:115] op_sel_hi:[1,0,1]
	ds_load_2addr_b64 v[114:117], v108 offset0:30 offset1:31
	v_dual_mov_b32 v40, v106 :: v_dual_mov_b32 v41, v105
	s_wait_dscnt 0x0
	v_pk_mul_f32 v[118:119], v[114:115], v[104:105] op_sel:[0,1]
	s_delay_alu instid0(VALU_DEP_1) | instskip(SKIP_1) | instid1(VALU_DEP_1)
	v_pk_fma_f32 v[120:121], v[114:115], v[106:107], v[118:119] op_sel:[0,0,1] op_sel_hi:[1,1,0] neg_lo:[0,0,1] neg_hi:[0,0,1]
	v_pk_fma_f32 v[114:115], v[114:115], v[106:107], v[118:119] op_sel:[0,0,1] op_sel_hi:[1,0,0]
	v_mov_b32_e32 v121, v115
	v_pk_mul_f32 v[114:115], v[116:117], v[104:105] op_sel:[0,1]
	s_delay_alu instid0(VALU_DEP_1) | instskip(SKIP_1) | instid1(VALU_DEP_1)
	v_pk_fma_f32 v[118:119], v[116:117], v[106:107], v[114:115] op_sel:[0,0,1] op_sel_hi:[1,1,0] neg_lo:[0,0,1] neg_hi:[0,0,1]
	v_pk_fma_f32 v[114:115], v[116:117], v[106:107], v[114:115] op_sel:[0,0,1] op_sel_hi:[1,0,0]
	v_mov_b32_e32 v119, v115
	ds_load_2addr_b64 v[114:117], v108 offset0:32 offset1:33
	v_pk_add_f32 v[42:43], v[42:43], v[120:121] neg_lo:[0,1] neg_hi:[0,1]
	v_pk_add_f32 v[38:39], v[38:39], v[118:119] neg_lo:[0,1] neg_hi:[0,1]
	s_wait_dscnt 0x0
	v_pk_mul_f32 v[118:119], v[114:115], v[104:105] op_sel:[0,1]
	s_delay_alu instid0(VALU_DEP_1) | instskip(SKIP_2) | instid1(VALU_DEP_2)
	v_pk_fma_f32 v[120:121], v[114:115], v[106:107], v[118:119] op_sel:[0,0,1] op_sel_hi:[1,1,0] neg_lo:[0,0,1] neg_hi:[0,0,1]
	v_pk_fma_f32 v[114:115], v[114:115], v[106:107], v[118:119] op_sel:[0,0,1] op_sel_hi:[1,0,0]
	v_dual_mul_f32 v118, v117, v105 :: v_dual_mov_b32 v114, v117
	v_dual_mov_b32 v121, v115 :: v_dual_mov_b32 v115, v116
	s_delay_alu instid0(VALU_DEP_2) | instskip(SKIP_1) | instid1(VALU_DEP_3)
	v_pk_fma_f32 v[118:119], v[116:117], v[40:41], v[118:119] op_sel_hi:[1,1,0] neg_lo:[0,0,1] neg_hi:[0,0,1]
	v_mul_f32_e32 v116, v117, v106
	v_pk_add_f32 v[36:37], v[36:37], v[120:121] neg_lo:[0,1] neg_hi:[0,1]
	s_delay_alu instid0(VALU_DEP_2) | instskip(NEXT) | instid1(VALU_DEP_1)
	v_pk_fma_f32 v[114:115], v[114:115], v[40:41], v[116:117] op_sel_hi:[1,1,0]
	v_mov_b32_e32 v119, v115
	ds_load_2addr_b64 v[114:117], v108 offset0:34 offset1:35
	v_pk_add_f32 v[32:33], v[32:33], v[118:119] neg_lo:[0,1] neg_hi:[0,1]
	s_wait_dscnt 0x0
	v_pk_mul_f32 v[118:119], v[114:115], v[104:105] op_sel:[0,1]
	s_delay_alu instid0(VALU_DEP_1) | instskip(SKIP_1) | instid1(VALU_DEP_1)
	v_pk_fma_f32 v[120:121], v[114:115], v[106:107], v[118:119] op_sel:[0,0,1] op_sel_hi:[1,1,0] neg_lo:[0,0,1] neg_hi:[0,0,1]
	v_pk_fma_f32 v[114:115], v[114:115], v[106:107], v[118:119] op_sel:[0,0,1] op_sel_hi:[1,0,0]
	v_mov_b32_e32 v121, v115
	v_pk_mul_f32 v[114:115], v[116:117], v[104:105] op_sel:[0,1]
	s_delay_alu instid0(VALU_DEP_1) | instskip(SKIP_1) | instid1(VALU_DEP_1)
	v_pk_fma_f32 v[118:119], v[116:117], v[106:107], v[114:115] op_sel:[0,0,1] op_sel_hi:[1,1,0] neg_lo:[0,0,1] neg_hi:[0,0,1]
	v_pk_fma_f32 v[114:115], v[116:117], v[106:107], v[114:115] op_sel:[0,0,1] op_sel_hi:[1,0,0]
	v_mov_b32_e32 v119, v115
	ds_load_2addr_b64 v[114:117], v108 offset0:36 offset1:37
	v_pk_add_f32 v[34:35], v[34:35], v[120:121] neg_lo:[0,1] neg_hi:[0,1]
	v_pk_add_f32 v[30:31], v[30:31], v[118:119] neg_lo:[0,1] neg_hi:[0,1]
	s_wait_dscnt 0x0
	v_pk_mul_f32 v[118:119], v[114:115], v[104:105] op_sel:[0,1]
	s_delay_alu instid0(VALU_DEP_1) | instskip(SKIP_1) | instid1(VALU_DEP_1)
	v_pk_fma_f32 v[120:121], v[114:115], v[106:107], v[118:119] op_sel:[0,0,1] op_sel_hi:[1,1,0] neg_lo:[0,0,1] neg_hi:[0,0,1]
	v_pk_fma_f32 v[114:115], v[114:115], v[106:107], v[118:119] op_sel:[0,0,1] op_sel_hi:[1,0,0]
	v_mov_b32_e32 v121, v115
	v_pk_mul_f32 v[114:115], v[116:117], v[104:105] op_sel:[0,1]
	s_delay_alu instid0(VALU_DEP_1) | instskip(SKIP_1) | instid1(VALU_DEP_1)
	v_pk_fma_f32 v[118:119], v[116:117], v[106:107], v[114:115] op_sel:[0,0,1] op_sel_hi:[1,1,0] neg_lo:[0,0,1] neg_hi:[0,0,1]
	v_pk_fma_f32 v[114:115], v[116:117], v[106:107], v[114:115] op_sel:[0,0,1] op_sel_hi:[1,0,0]
	v_mov_b32_e32 v119, v115
	ds_load_2addr_b64 v[114:117], v108 offset0:38 offset1:39
	v_pk_add_f32 v[26:27], v[26:27], v[120:121] neg_lo:[0,1] neg_hi:[0,1]
	v_pk_add_f32 v[22:23], v[22:23], v[118:119] neg_lo:[0,1] neg_hi:[0,1]
	s_wait_dscnt 0x0
	v_dual_mul_f32 v118, v115, v105 :: v_dual_mul_f32 v120, v115, v106
	s_delay_alu instid0(VALU_DEP_1) | instskip(NEXT) | instid1(VALU_DEP_2)
	v_pk_fma_f32 v[118:119], v[114:115], v[40:41], v[118:119] op_sel_hi:[1,1,0] neg_lo:[0,0,1] neg_hi:[0,0,1]
	v_pk_fma_f32 v[114:115], v[114:115], v[40:41], v[120:121] op_sel:[1,0,0] op_sel_hi:[0,1,0]
	s_delay_alu instid0(VALU_DEP_1) | instskip(SKIP_1) | instid1(VALU_DEP_2)
	v_mov_b32_e32 v119, v115
	v_pk_mul_f32 v[114:115], v[116:117], v[104:105] op_sel:[0,1]
	v_pk_add_f32 v[24:25], v[24:25], v[118:119] neg_lo:[0,1] neg_hi:[0,1]
	s_delay_alu instid0(VALU_DEP_2) | instskip(SKIP_1) | instid1(VALU_DEP_1)
	v_pk_fma_f32 v[118:119], v[116:117], v[106:107], v[114:115] op_sel:[0,0,1] op_sel_hi:[1,1,0] neg_lo:[0,0,1] neg_hi:[0,0,1]
	v_pk_fma_f32 v[114:115], v[116:117], v[106:107], v[114:115] op_sel:[0,0,1] op_sel_hi:[1,0,0]
	v_mov_b32_e32 v119, v115
	ds_load_2addr_b64 v[114:117], v108 offset0:40 offset1:41
	v_pk_add_f32 v[20:21], v[20:21], v[118:119] neg_lo:[0,1] neg_hi:[0,1]
	s_wait_dscnt 0x0
	v_pk_mul_f32 v[118:119], v[114:115], v[104:105] op_sel:[0,1]
	s_delay_alu instid0(VALU_DEP_1) | instskip(SKIP_1) | instid1(VALU_DEP_1)
	v_pk_fma_f32 v[120:121], v[114:115], v[106:107], v[118:119] op_sel:[0,0,1] op_sel_hi:[1,1,0] neg_lo:[0,0,1] neg_hi:[0,0,1]
	v_pk_fma_f32 v[114:115], v[114:115], v[106:107], v[118:119] op_sel:[0,0,1] op_sel_hi:[1,0,0]
	v_mov_b32_e32 v121, v115
	v_pk_mul_f32 v[114:115], v[116:117], v[104:105] op_sel:[0,1]
	s_delay_alu instid0(VALU_DEP_2) | instskip(NEXT) | instid1(VALU_DEP_2)
	v_pk_add_f32 v[14:15], v[14:15], v[120:121] neg_lo:[0,1] neg_hi:[0,1]
	v_pk_fma_f32 v[118:119], v[116:117], v[106:107], v[114:115] op_sel:[0,0,1] op_sel_hi:[1,1,0] neg_lo:[0,0,1] neg_hi:[0,0,1]
	v_pk_fma_f32 v[114:115], v[116:117], v[106:107], v[114:115] op_sel:[0,0,1] op_sel_hi:[1,0,0]
	s_delay_alu instid0(VALU_DEP_1) | instskip(SKIP_4) | instid1(VALU_DEP_1)
	v_mov_b32_e32 v119, v115
	ds_load_2addr_b64 v[114:117], v108 offset0:42 offset1:43
	v_pk_add_f32 v[10:11], v[10:11], v[118:119] neg_lo:[0,1] neg_hi:[0,1]
	s_wait_dscnt 0x0
	v_pk_mul_f32 v[118:119], v[114:115], v[104:105] op_sel:[0,1]
	v_pk_fma_f32 v[120:121], v[114:115], v[106:107], v[118:119] op_sel:[0,0,1] op_sel_hi:[1,1,0] neg_lo:[0,0,1] neg_hi:[0,0,1]
	v_pk_fma_f32 v[114:115], v[114:115], v[106:107], v[118:119] op_sel:[0,0,1] op_sel_hi:[1,0,0]
	v_dual_mul_f32 v118, v117, v105 :: v_dual_mov_b32 v114, v117
	s_delay_alu instid0(VALU_DEP_2) | instskip(NEXT) | instid1(VALU_DEP_2)
	v_dual_mov_b32 v121, v115 :: v_dual_mov_b32 v115, v116
	v_pk_fma_f32 v[118:119], v[116:117], v[40:41], v[118:119] op_sel_hi:[1,1,0] neg_lo:[0,0,1] neg_hi:[0,0,1]
	v_mul_f32_e32 v116, v117, v106
	s_delay_alu instid0(VALU_DEP_3) | instskip(NEXT) | instid1(VALU_DEP_2)
	v_pk_add_f32 v[12:13], v[12:13], v[120:121] neg_lo:[0,1] neg_hi:[0,1]
	v_pk_fma_f32 v[114:115], v[114:115], v[40:41], v[116:117] op_sel_hi:[1,1,0]
	s_delay_alu instid0(VALU_DEP_1) | instskip(SKIP_4) | instid1(VALU_DEP_1)
	v_mov_b32_e32 v119, v115
	ds_load_2addr_b64 v[114:117], v108 offset0:44 offset1:45
	v_pk_add_f32 v[8:9], v[8:9], v[118:119] neg_lo:[0,1] neg_hi:[0,1]
	s_wait_dscnt 0x0
	v_pk_mul_f32 v[118:119], v[114:115], v[104:105] op_sel:[0,1]
	v_pk_fma_f32 v[120:121], v[114:115], v[106:107], v[118:119] op_sel:[0,0,1] op_sel_hi:[1,1,0] neg_lo:[0,0,1] neg_hi:[0,0,1]
	v_pk_fma_f32 v[114:115], v[114:115], v[106:107], v[118:119] op_sel:[0,0,1] op_sel_hi:[1,0,0]
	s_delay_alu instid0(VALU_DEP_1) | instskip(SKIP_1) | instid1(VALU_DEP_1)
	v_mov_b32_e32 v121, v115
	v_pk_mul_f32 v[114:115], v[116:117], v[104:105] op_sel:[0,1]
	v_pk_fma_f32 v[118:119], v[116:117], v[106:107], v[114:115] op_sel:[0,0,1] op_sel_hi:[1,1,0] neg_lo:[0,0,1] neg_hi:[0,0,1]
	v_pk_fma_f32 v[114:115], v[116:117], v[106:107], v[114:115] op_sel:[0,0,1] op_sel_hi:[1,0,0]
	s_delay_alu instid0(VALU_DEP_1)
	v_mov_b32_e32 v119, v115
	ds_load_2addr_b64 v[114:117], v108 offset0:46 offset1:47
	v_pk_add_f32 v[6:7], v[6:7], v[120:121] neg_lo:[0,1] neg_hi:[0,1]
	v_pk_add_f32 v[28:29], v[28:29], v[118:119] neg_lo:[0,1] neg_hi:[0,1]
	s_wait_dscnt 0x0
	v_pk_mul_f32 v[118:119], v[114:115], v[104:105] op_sel:[0,1]
	s_delay_alu instid0(VALU_DEP_1) | instskip(SKIP_1) | instid1(VALU_DEP_1)
	v_pk_fma_f32 v[120:121], v[114:115], v[106:107], v[118:119] op_sel:[0,0,1] op_sel_hi:[1,1,0] neg_lo:[0,0,1] neg_hi:[0,0,1]
	v_pk_fma_f32 v[114:115], v[114:115], v[106:107], v[118:119] op_sel:[0,0,1] op_sel_hi:[1,0,0]
	v_mov_b32_e32 v121, v115
	v_pk_mul_f32 v[114:115], v[116:117], v[104:105] op_sel:[0,1]
	s_delay_alu instid0(VALU_DEP_1) | instskip(SKIP_1) | instid1(VALU_DEP_1)
	v_pk_fma_f32 v[118:119], v[116:117], v[106:107], v[114:115] op_sel:[0,0,1] op_sel_hi:[1,1,0] neg_lo:[0,0,1] neg_hi:[0,0,1]
	v_pk_fma_f32 v[114:115], v[116:117], v[106:107], v[114:115] op_sel:[0,0,1] op_sel_hi:[1,0,0]
	v_mov_b32_e32 v119, v115
	ds_load_b64 v[114:115], v108 offset:384
	v_pk_add_f32 v[18:19], v[18:19], v[120:121] neg_lo:[0,1] neg_hi:[0,1]
	v_pk_add_f32 v[16:17], v[16:17], v[118:119] neg_lo:[0,1] neg_hi:[0,1]
	s_wait_dscnt 0x0
	v_pk_mul_f32 v[104:105], v[114:115], v[104:105] op_sel:[0,1]
	s_delay_alu instid0(VALU_DEP_1) | instskip(SKIP_1) | instid1(VALU_DEP_1)
	v_pk_fma_f32 v[116:117], v[114:115], v[106:107], v[104:105] op_sel:[0,0,1] op_sel_hi:[1,1,0] neg_lo:[0,0,1] neg_hi:[0,0,1]
	v_pk_fma_f32 v[104:105], v[114:115], v[106:107], v[104:105] op_sel:[0,0,1] op_sel_hi:[1,0,0]
	v_mov_b32_e32 v117, v105
	s_delay_alu instid0(VALU_DEP_1)
	v_pk_add_f32 v[102:103], v[102:103], v[116:117] neg_lo:[0,1] neg_hi:[0,1]
.LBB96_629:
	s_or_b32 exec_lo, exec_lo, s0
	v_lshl_add_u32 v104, v112, 3, v108
	s_barrier_signal -1
	s_barrier_wait -1
	ds_store_b64 v104, v[42:43]
	s_wait_dscnt 0x0
	s_barrier_signal -1
	s_barrier_wait -1
	ds_load_b64 v[104:105], v108 offset:240
	v_mov_b32_e32 v106, 30
	s_cmp_lt_i32 s18, 32
	s_cbranch_scc1 .LBB96_632
; %bb.630:
	v_add3_u32 v107, v109, 0, 0xf8
	v_mov_b32_e32 v106, 30
	s_mov_b32 s0, 31
.LBB96_631:                             ; =>This Inner Loop Header: Depth=1
	ds_load_b64 v[114:115], v107
	s_wait_dscnt 0x1
	v_cmp_gt_f32_e32 vcc_lo, 0, v104
	v_cndmask_b32_e64 v116, v104, -v104, vcc_lo
	v_cmp_gt_f32_e32 vcc_lo, 0, v105
	v_cndmask_b32_e64 v118, v105, -v105, vcc_lo
	s_wait_dscnt 0x0
	v_cmp_gt_f32_e32 vcc_lo, 0, v114
	v_cndmask_b32_e64 v117, v114, -v114, vcc_lo
	v_cmp_gt_f32_e32 vcc_lo, 0, v115
	v_cndmask_b32_e64 v119, v115, -v115, vcc_lo
	s_delay_alu instid0(VALU_DEP_1) | instskip(NEXT) | instid1(VALU_DEP_1)
	v_pk_add_f32 v[116:117], v[116:117], v[118:119]
	v_cmp_lt_f32_e32 vcc_lo, v116, v117
	v_dual_cndmask_b32 v104, v104, v114 :: v_dual_add_nc_u32 v107, 8, v107
	v_cndmask_b32_e32 v105, v105, v115, vcc_lo
	v_cndmask_b32_e64 v106, v106, s0, vcc_lo
	s_add_co_i32 s0, s0, 1
	s_delay_alu instid0(SALU_CYCLE_1)
	s_cmp_lg_u32 s18, s0
	s_cbranch_scc1 .LBB96_631
.LBB96_632:
	s_wait_dscnt 0x0
	v_cmp_eq_f32_e32 vcc_lo, 0, v104
	v_cmp_eq_f32_e64 s0, 0, v105
	s_and_b32 s0, vcc_lo, s0
	s_delay_alu instid0(SALU_CYCLE_1) | instskip(NEXT) | instid1(SALU_CYCLE_1)
	s_and_saveexec_b32 s1, s0
	s_xor_b32 s0, exec_lo, s1
; %bb.633:
	v_cmp_ne_u32_e32 vcc_lo, 0, v110
	v_cndmask_b32_e32 v110, 31, v110, vcc_lo
; %bb.634:
	s_and_not1_saveexec_b32 s0, s0
	s_cbranch_execz .LBB96_640
; %bb.635:
	v_cmp_ngt_f32_e64 s1, |v104|, |v105|
	s_and_saveexec_b32 s12, s1
	s_delay_alu instid0(SALU_CYCLE_1)
	s_xor_b32 s1, exec_lo, s12
	s_cbranch_execz .LBB96_637
; %bb.636:
	v_div_scale_f32 v107, null, v105, v105, v104
	v_div_scale_f32 v115, vcc_lo, v104, v105, v104
	s_delay_alu instid0(VALU_DEP_2) | instskip(SKIP_1) | instid1(TRANS32_DEP_1)
	v_rcp_f32_e32 v113, v107
	v_nop
	v_fma_f32 v114, -v107, v113, 1.0
	s_delay_alu instid0(VALU_DEP_1) | instskip(NEXT) | instid1(VALU_DEP_1)
	v_fmac_f32_e32 v113, v114, v113
	v_mul_f32_e32 v114, v115, v113
	s_delay_alu instid0(VALU_DEP_1) | instskip(NEXT) | instid1(VALU_DEP_1)
	v_fma_f32 v116, -v107, v114, v115
	v_fmac_f32_e32 v114, v116, v113
	s_delay_alu instid0(VALU_DEP_1) | instskip(NEXT) | instid1(VALU_DEP_1)
	v_fma_f32 v107, -v107, v114, v115
	v_div_fmas_f32 v107, v107, v113, v114
	s_delay_alu instid0(VALU_DEP_1) | instskip(NEXT) | instid1(VALU_DEP_1)
	v_div_fixup_f32 v107, v107, v105, v104
	v_fmac_f32_e32 v105, v104, v107
	s_delay_alu instid0(VALU_DEP_1) | instskip(SKIP_1) | instid1(VALU_DEP_2)
	v_div_scale_f32 v104, null, v105, v105, 1.0
	v_div_scale_f32 v115, vcc_lo, 1.0, v105, 1.0
	v_rcp_f32_e32 v113, v104
	v_nop
	s_delay_alu instid0(TRANS32_DEP_1) | instskip(NEXT) | instid1(VALU_DEP_1)
	v_fma_f32 v114, -v104, v113, 1.0
	v_fmac_f32_e32 v113, v114, v113
	s_delay_alu instid0(VALU_DEP_1) | instskip(NEXT) | instid1(VALU_DEP_1)
	v_mul_f32_e32 v114, v115, v113
	v_fma_f32 v116, -v104, v114, v115
	s_delay_alu instid0(VALU_DEP_1) | instskip(NEXT) | instid1(VALU_DEP_1)
	v_fmac_f32_e32 v114, v116, v113
	v_fma_f32 v104, -v104, v114, v115
	s_delay_alu instid0(VALU_DEP_1) | instskip(NEXT) | instid1(VALU_DEP_1)
	v_div_fmas_f32 v104, v104, v113, v114
	v_div_fixup_f32 v105, v104, v105, 1.0
	s_delay_alu instid0(VALU_DEP_1)
	v_mul_f32_e32 v104, v107, v105
	v_xor_b32_e32 v105, 0x80000000, v105
.LBB96_637:
	s_and_not1_saveexec_b32 s1, s1
	s_cbranch_execz .LBB96_639
; %bb.638:
	s_delay_alu instid0(VALU_DEP_1) | instskip(SKIP_1) | instid1(VALU_DEP_2)
	v_div_scale_f32 v107, null, v104, v104, v105
	v_div_scale_f32 v115, vcc_lo, v105, v104, v105
	v_rcp_f32_e32 v113, v107
	v_nop
	s_delay_alu instid0(TRANS32_DEP_1) | instskip(NEXT) | instid1(VALU_DEP_1)
	v_fma_f32 v114, -v107, v113, 1.0
	v_fmac_f32_e32 v113, v114, v113
	s_delay_alu instid0(VALU_DEP_1) | instskip(NEXT) | instid1(VALU_DEP_1)
	v_mul_f32_e32 v114, v115, v113
	v_fma_f32 v116, -v107, v114, v115
	s_delay_alu instid0(VALU_DEP_1) | instskip(NEXT) | instid1(VALU_DEP_1)
	v_fmac_f32_e32 v114, v116, v113
	v_fma_f32 v107, -v107, v114, v115
	s_delay_alu instid0(VALU_DEP_1) | instskip(NEXT) | instid1(VALU_DEP_1)
	v_div_fmas_f32 v107, v107, v113, v114
	v_div_fixup_f32 v107, v107, v104, v105
	s_delay_alu instid0(VALU_DEP_1) | instskip(NEXT) | instid1(VALU_DEP_1)
	v_fmac_f32_e32 v104, v105, v107
	v_div_scale_f32 v105, null, v104, v104, 1.0
	s_delay_alu instid0(VALU_DEP_1) | instskip(SKIP_1) | instid1(TRANS32_DEP_1)
	v_rcp_f32_e32 v113, v105
	v_nop
	v_fma_f32 v114, -v105, v113, 1.0
	s_delay_alu instid0(VALU_DEP_1) | instskip(SKIP_1) | instid1(VALU_DEP_1)
	v_fmac_f32_e32 v113, v114, v113
	v_div_scale_f32 v114, vcc_lo, 1.0, v104, 1.0
	v_mul_f32_e32 v115, v114, v113
	s_delay_alu instid0(VALU_DEP_1) | instskip(NEXT) | instid1(VALU_DEP_1)
	v_fma_f32 v116, -v105, v115, v114
	v_fmac_f32_e32 v115, v116, v113
	s_delay_alu instid0(VALU_DEP_1) | instskip(NEXT) | instid1(VALU_DEP_1)
	v_fma_f32 v105, -v105, v115, v114
	v_div_fmas_f32 v105, v105, v113, v115
	s_delay_alu instid0(VALU_DEP_1) | instskip(NEXT) | instid1(VALU_DEP_1)
	v_div_fixup_f32 v104, v105, v104, 1.0
	v_mul_f32_e64 v105, v107, -v104
.LBB96_639:
	s_or_b32 exec_lo, exec_lo, s1
.LBB96_640:
	s_delay_alu instid0(SALU_CYCLE_1) | instskip(NEXT) | instid1(SALU_CYCLE_1)
	s_or_b32 exec_lo, exec_lo, s0
	s_mov_b32 s0, exec_lo
	v_cmpx_ne_u32_e64 v112, v106
	s_xor_b32 s0, exec_lo, s0
	s_cbranch_execz .LBB96_646
; %bb.641:
	s_mov_b32 s1, exec_lo
	v_cmpx_eq_u32_e32 30, v112
	s_cbranch_execz .LBB96_645
; %bb.642:
	v_cmp_ne_u32_e32 vcc_lo, 30, v106
	s_xor_b32 s12, s16, -1
	s_delay_alu instid0(SALU_CYCLE_1) | instskip(NEXT) | instid1(SALU_CYCLE_1)
	s_and_b32 s13, s12, vcc_lo
	s_and_saveexec_b32 s12, s13
	s_cbranch_execz .LBB96_644
; %bb.643:
	v_ashrrev_i32_e32 v107, 31, v106
	s_delay_alu instid0(VALU_DEP_1)
	v_lshl_add_u64 v[112:113], v[106:107], 2, v[4:5]
	s_clause 0x1
	global_load_b32 v107, v[112:113], off
	global_load_b32 v111, v[4:5], off offset:120
	s_wait_loadcnt 0x1
	global_store_b32 v[4:5], v107, off offset:120
	s_wait_loadcnt 0x0
	global_store_b32 v[112:113], v111, off
.LBB96_644:
	s_wait_xcnt 0x0
	s_or_b32 exec_lo, exec_lo, s12
	v_dual_mov_b32 v112, v106 :: v_dual_mov_b32 v111, v106
.LBB96_645:
	s_or_b32 exec_lo, exec_lo, s1
.LBB96_646:
	s_and_not1_saveexec_b32 s0, s0
	s_cbranch_execz .LBB96_648
; %bb.647:
	v_mov_b32_e32 v112, 30
	ds_store_2addr_b64 v108, v[38:39], v[36:37] offset0:31 offset1:32
	ds_store_2addr_b64 v108, v[32:33], v[34:35] offset0:33 offset1:34
	;; [unrolled: 1-line block ×9, first 2 shown]
.LBB96_648:
	s_or_b32 exec_lo, exec_lo, s0
	s_delay_alu instid0(SALU_CYCLE_1)
	s_mov_b32 s0, exec_lo
	s_wait_storecnt_dscnt 0x0
	s_barrier_signal -1
	s_barrier_wait -1
	v_cmpx_lt_i32_e32 30, v112
	s_cbranch_execz .LBB96_650
; %bb.649:
	v_pk_mul_f32 v[114:115], v[104:105], v[42:43] op_sel:[1,1] op_sel_hi:[0,1]
	s_delay_alu instid0(VALU_DEP_1)
	v_pk_fma_f32 v[106:107], v[104:105], v[42:43], v[114:115] op_sel_hi:[1,0,1] neg_lo:[0,0,1] neg_hi:[0,0,1]
	v_pk_fma_f32 v[104:105], v[104:105], v[42:43], v[114:115] op_sel_hi:[1,0,1]
	ds_load_2addr_b64 v[114:117], v108 offset0:31 offset1:32
	v_dual_mov_b32 v42, v106 :: v_dual_mov_b32 v43, v105
	s_wait_dscnt 0x0
	v_pk_mul_f32 v[118:119], v[114:115], v[104:105] op_sel:[0,1]
	s_delay_alu instid0(VALU_DEP_1) | instskip(SKIP_1) | instid1(VALU_DEP_1)
	v_pk_fma_f32 v[120:121], v[114:115], v[106:107], v[118:119] op_sel:[0,0,1] op_sel_hi:[1,1,0] neg_lo:[0,0,1] neg_hi:[0,0,1]
	v_pk_fma_f32 v[114:115], v[114:115], v[106:107], v[118:119] op_sel:[0,0,1] op_sel_hi:[1,0,0]
	v_mov_b32_e32 v121, v115
	v_pk_mul_f32 v[114:115], v[116:117], v[104:105] op_sel:[0,1]
	s_delay_alu instid0(VALU_DEP_1) | instskip(SKIP_1) | instid1(VALU_DEP_1)
	v_pk_fma_f32 v[118:119], v[116:117], v[106:107], v[114:115] op_sel:[0,0,1] op_sel_hi:[1,1,0] neg_lo:[0,0,1] neg_hi:[0,0,1]
	v_pk_fma_f32 v[114:115], v[116:117], v[106:107], v[114:115] op_sel:[0,0,1] op_sel_hi:[1,0,0]
	v_mov_b32_e32 v119, v115
	ds_load_2addr_b64 v[114:117], v108 offset0:33 offset1:34
	v_pk_add_f32 v[38:39], v[38:39], v[120:121] neg_lo:[0,1] neg_hi:[0,1]
	v_pk_add_f32 v[36:37], v[36:37], v[118:119] neg_lo:[0,1] neg_hi:[0,1]
	s_wait_dscnt 0x0
	v_pk_mul_f32 v[118:119], v[114:115], v[104:105] op_sel:[0,1]
	s_delay_alu instid0(VALU_DEP_1) | instskip(SKIP_2) | instid1(VALU_DEP_2)
	v_pk_fma_f32 v[120:121], v[114:115], v[106:107], v[118:119] op_sel:[0,0,1] op_sel_hi:[1,1,0] neg_lo:[0,0,1] neg_hi:[0,0,1]
	v_pk_fma_f32 v[114:115], v[114:115], v[106:107], v[118:119] op_sel:[0,0,1] op_sel_hi:[1,0,0]
	v_dual_mul_f32 v118, v117, v105 :: v_dual_mov_b32 v114, v117
	v_dual_mov_b32 v121, v115 :: v_dual_mov_b32 v115, v116
	s_delay_alu instid0(VALU_DEP_2) | instskip(SKIP_1) | instid1(VALU_DEP_3)
	v_pk_fma_f32 v[118:119], v[116:117], v[42:43], v[118:119] op_sel_hi:[1,1,0] neg_lo:[0,0,1] neg_hi:[0,0,1]
	v_mul_f32_e32 v116, v117, v106
	v_pk_add_f32 v[32:33], v[32:33], v[120:121] neg_lo:[0,1] neg_hi:[0,1]
	s_delay_alu instid0(VALU_DEP_2) | instskip(NEXT) | instid1(VALU_DEP_1)
	v_pk_fma_f32 v[114:115], v[114:115], v[42:43], v[116:117] op_sel_hi:[1,1,0]
	v_mov_b32_e32 v119, v115
	ds_load_2addr_b64 v[114:117], v108 offset0:35 offset1:36
	v_pk_add_f32 v[34:35], v[34:35], v[118:119] neg_lo:[0,1] neg_hi:[0,1]
	s_wait_dscnt 0x0
	v_pk_mul_f32 v[118:119], v[114:115], v[104:105] op_sel:[0,1]
	s_delay_alu instid0(VALU_DEP_1) | instskip(SKIP_1) | instid1(VALU_DEP_1)
	v_pk_fma_f32 v[120:121], v[114:115], v[106:107], v[118:119] op_sel:[0,0,1] op_sel_hi:[1,1,0] neg_lo:[0,0,1] neg_hi:[0,0,1]
	v_pk_fma_f32 v[114:115], v[114:115], v[106:107], v[118:119] op_sel:[0,0,1] op_sel_hi:[1,0,0]
	v_mov_b32_e32 v121, v115
	v_pk_mul_f32 v[114:115], v[116:117], v[104:105] op_sel:[0,1]
	s_delay_alu instid0(VALU_DEP_1) | instskip(SKIP_1) | instid1(VALU_DEP_1)
	v_pk_fma_f32 v[118:119], v[116:117], v[106:107], v[114:115] op_sel:[0,0,1] op_sel_hi:[1,1,0] neg_lo:[0,0,1] neg_hi:[0,0,1]
	v_pk_fma_f32 v[114:115], v[116:117], v[106:107], v[114:115] op_sel:[0,0,1] op_sel_hi:[1,0,0]
	v_mov_b32_e32 v119, v115
	ds_load_2addr_b64 v[114:117], v108 offset0:37 offset1:38
	v_pk_add_f32 v[30:31], v[30:31], v[120:121] neg_lo:[0,1] neg_hi:[0,1]
	v_pk_add_f32 v[26:27], v[26:27], v[118:119] neg_lo:[0,1] neg_hi:[0,1]
	s_wait_dscnt 0x0
	v_pk_mul_f32 v[118:119], v[114:115], v[104:105] op_sel:[0,1]
	s_delay_alu instid0(VALU_DEP_1) | instskip(SKIP_1) | instid1(VALU_DEP_1)
	v_pk_fma_f32 v[120:121], v[114:115], v[106:107], v[118:119] op_sel:[0,0,1] op_sel_hi:[1,1,0] neg_lo:[0,0,1] neg_hi:[0,0,1]
	v_pk_fma_f32 v[114:115], v[114:115], v[106:107], v[118:119] op_sel:[0,0,1] op_sel_hi:[1,0,0]
	v_mov_b32_e32 v121, v115
	v_pk_mul_f32 v[114:115], v[116:117], v[104:105] op_sel:[0,1]
	s_delay_alu instid0(VALU_DEP_1) | instskip(SKIP_1) | instid1(VALU_DEP_1)
	v_pk_fma_f32 v[118:119], v[116:117], v[106:107], v[114:115] op_sel:[0,0,1] op_sel_hi:[1,1,0] neg_lo:[0,0,1] neg_hi:[0,0,1]
	v_pk_fma_f32 v[114:115], v[116:117], v[106:107], v[114:115] op_sel:[0,0,1] op_sel_hi:[1,0,0]
	v_mov_b32_e32 v119, v115
	ds_load_2addr_b64 v[114:117], v108 offset0:39 offset1:40
	v_pk_add_f32 v[22:23], v[22:23], v[120:121] neg_lo:[0,1] neg_hi:[0,1]
	v_pk_add_f32 v[24:25], v[24:25], v[118:119] neg_lo:[0,1] neg_hi:[0,1]
	s_wait_dscnt 0x0
	v_dual_mul_f32 v118, v115, v105 :: v_dual_mul_f32 v120, v115, v106
	s_delay_alu instid0(VALU_DEP_1) | instskip(NEXT) | instid1(VALU_DEP_2)
	v_pk_fma_f32 v[118:119], v[114:115], v[42:43], v[118:119] op_sel_hi:[1,1,0] neg_lo:[0,0,1] neg_hi:[0,0,1]
	v_pk_fma_f32 v[114:115], v[114:115], v[42:43], v[120:121] op_sel:[1,0,0] op_sel_hi:[0,1,0]
	s_delay_alu instid0(VALU_DEP_1) | instskip(SKIP_1) | instid1(VALU_DEP_2)
	v_mov_b32_e32 v119, v115
	v_pk_mul_f32 v[114:115], v[116:117], v[104:105] op_sel:[0,1]
	v_pk_add_f32 v[20:21], v[20:21], v[118:119] neg_lo:[0,1] neg_hi:[0,1]
	s_delay_alu instid0(VALU_DEP_2) | instskip(SKIP_1) | instid1(VALU_DEP_1)
	v_pk_fma_f32 v[118:119], v[116:117], v[106:107], v[114:115] op_sel:[0,0,1] op_sel_hi:[1,1,0] neg_lo:[0,0,1] neg_hi:[0,0,1]
	v_pk_fma_f32 v[114:115], v[116:117], v[106:107], v[114:115] op_sel:[0,0,1] op_sel_hi:[1,0,0]
	v_mov_b32_e32 v119, v115
	ds_load_2addr_b64 v[114:117], v108 offset0:41 offset1:42
	v_pk_add_f32 v[14:15], v[14:15], v[118:119] neg_lo:[0,1] neg_hi:[0,1]
	s_wait_dscnt 0x0
	v_pk_mul_f32 v[118:119], v[114:115], v[104:105] op_sel:[0,1]
	s_delay_alu instid0(VALU_DEP_1) | instskip(SKIP_1) | instid1(VALU_DEP_1)
	v_pk_fma_f32 v[120:121], v[114:115], v[106:107], v[118:119] op_sel:[0,0,1] op_sel_hi:[1,1,0] neg_lo:[0,0,1] neg_hi:[0,0,1]
	v_pk_fma_f32 v[114:115], v[114:115], v[106:107], v[118:119] op_sel:[0,0,1] op_sel_hi:[1,0,0]
	v_mov_b32_e32 v121, v115
	v_pk_mul_f32 v[114:115], v[116:117], v[104:105] op_sel:[0,1]
	s_delay_alu instid0(VALU_DEP_2) | instskip(NEXT) | instid1(VALU_DEP_2)
	v_pk_add_f32 v[10:11], v[10:11], v[120:121] neg_lo:[0,1] neg_hi:[0,1]
	v_pk_fma_f32 v[118:119], v[116:117], v[106:107], v[114:115] op_sel:[0,0,1] op_sel_hi:[1,1,0] neg_lo:[0,0,1] neg_hi:[0,0,1]
	v_pk_fma_f32 v[114:115], v[116:117], v[106:107], v[114:115] op_sel:[0,0,1] op_sel_hi:[1,0,0]
	s_delay_alu instid0(VALU_DEP_1) | instskip(SKIP_4) | instid1(VALU_DEP_1)
	v_mov_b32_e32 v119, v115
	ds_load_2addr_b64 v[114:117], v108 offset0:43 offset1:44
	v_pk_add_f32 v[12:13], v[12:13], v[118:119] neg_lo:[0,1] neg_hi:[0,1]
	s_wait_dscnt 0x0
	v_pk_mul_f32 v[118:119], v[114:115], v[104:105] op_sel:[0,1]
	v_pk_fma_f32 v[120:121], v[114:115], v[106:107], v[118:119] op_sel:[0,0,1] op_sel_hi:[1,1,0] neg_lo:[0,0,1] neg_hi:[0,0,1]
	v_pk_fma_f32 v[114:115], v[114:115], v[106:107], v[118:119] op_sel:[0,0,1] op_sel_hi:[1,0,0]
	v_dual_mul_f32 v118, v117, v105 :: v_dual_mov_b32 v114, v117
	s_delay_alu instid0(VALU_DEP_2) | instskip(NEXT) | instid1(VALU_DEP_2)
	v_dual_mov_b32 v121, v115 :: v_dual_mov_b32 v115, v116
	v_pk_fma_f32 v[118:119], v[116:117], v[42:43], v[118:119] op_sel_hi:[1,1,0] neg_lo:[0,0,1] neg_hi:[0,0,1]
	v_mul_f32_e32 v116, v117, v106
	s_delay_alu instid0(VALU_DEP_3) | instskip(NEXT) | instid1(VALU_DEP_2)
	v_pk_add_f32 v[8:9], v[8:9], v[120:121] neg_lo:[0,1] neg_hi:[0,1]
	v_pk_fma_f32 v[114:115], v[114:115], v[42:43], v[116:117] op_sel_hi:[1,1,0]
	s_delay_alu instid0(VALU_DEP_1) | instskip(SKIP_4) | instid1(VALU_DEP_1)
	v_mov_b32_e32 v119, v115
	ds_load_2addr_b64 v[114:117], v108 offset0:45 offset1:46
	v_pk_add_f32 v[6:7], v[6:7], v[118:119] neg_lo:[0,1] neg_hi:[0,1]
	s_wait_dscnt 0x0
	v_pk_mul_f32 v[118:119], v[114:115], v[104:105] op_sel:[0,1]
	v_pk_fma_f32 v[120:121], v[114:115], v[106:107], v[118:119] op_sel:[0,0,1] op_sel_hi:[1,1,0] neg_lo:[0,0,1] neg_hi:[0,0,1]
	v_pk_fma_f32 v[114:115], v[114:115], v[106:107], v[118:119] op_sel:[0,0,1] op_sel_hi:[1,0,0]
	s_delay_alu instid0(VALU_DEP_1) | instskip(SKIP_1) | instid1(VALU_DEP_1)
	v_mov_b32_e32 v121, v115
	v_pk_mul_f32 v[114:115], v[116:117], v[104:105] op_sel:[0,1]
	v_pk_fma_f32 v[118:119], v[116:117], v[106:107], v[114:115] op_sel:[0,0,1] op_sel_hi:[1,1,0] neg_lo:[0,0,1] neg_hi:[0,0,1]
	v_pk_fma_f32 v[114:115], v[116:117], v[106:107], v[114:115] op_sel:[0,0,1] op_sel_hi:[1,0,0]
	s_delay_alu instid0(VALU_DEP_1)
	v_mov_b32_e32 v119, v115
	ds_load_2addr_b64 v[114:117], v108 offset0:47 offset1:48
	v_pk_add_f32 v[28:29], v[28:29], v[120:121] neg_lo:[0,1] neg_hi:[0,1]
	v_pk_add_f32 v[18:19], v[18:19], v[118:119] neg_lo:[0,1] neg_hi:[0,1]
	s_wait_dscnt 0x0
	v_pk_mul_f32 v[118:119], v[114:115], v[104:105] op_sel:[0,1]
	v_mul_f32_e32 v104, v117, v105
	s_delay_alu instid0(VALU_DEP_2) | instskip(SKIP_2) | instid1(VALU_DEP_4)
	v_pk_fma_f32 v[120:121], v[114:115], v[106:107], v[118:119] op_sel:[0,0,1] op_sel_hi:[1,1,0] neg_lo:[0,0,1] neg_hi:[0,0,1]
	v_pk_fma_f32 v[114:115], v[114:115], v[106:107], v[118:119] op_sel:[0,0,1] op_sel_hi:[1,0,0]
	v_dual_mov_b32 v114, v117 :: v_dual_mul_f32 v106, v117, v106
	v_pk_fma_f32 v[104:105], v[116:117], v[42:43], v[104:105] op_sel_hi:[1,1,0] neg_lo:[0,0,1] neg_hi:[0,0,1]
	s_delay_alu instid0(VALU_DEP_3) | instskip(NEXT) | instid1(VALU_DEP_1)
	v_dual_mov_b32 v121, v115 :: v_dual_mov_b32 v115, v116
	v_pk_add_f32 v[16:17], v[16:17], v[120:121] neg_lo:[0,1] neg_hi:[0,1]
	s_delay_alu instid0(VALU_DEP_2) | instskip(NEXT) | instid1(VALU_DEP_1)
	v_pk_fma_f32 v[106:107], v[114:115], v[42:43], v[106:107] op_sel_hi:[1,1,0]
	v_mov_b32_e32 v105, v107
	s_delay_alu instid0(VALU_DEP_1)
	v_pk_add_f32 v[102:103], v[102:103], v[104:105] neg_lo:[0,1] neg_hi:[0,1]
.LBB96_650:
	s_or_b32 exec_lo, exec_lo, s0
	v_lshl_add_u32 v104, v112, 3, v108
	s_barrier_signal -1
	s_barrier_wait -1
	ds_store_b64 v104, v[38:39]
	s_wait_dscnt 0x0
	s_barrier_signal -1
	s_barrier_wait -1
	ds_load_b64 v[104:105], v108 offset:248
	v_mov_b32_e32 v106, 31
	s_cmp_lt_i32 s18, 33
	s_cbranch_scc1 .LBB96_653
; %bb.651:
	v_add3_u32 v107, v109, 0, 0x100
	v_mov_b32_e32 v106, 31
	s_mov_b32 s0, 32
.LBB96_652:                             ; =>This Inner Loop Header: Depth=1
	ds_load_b64 v[114:115], v107
	s_wait_dscnt 0x1
	v_cmp_gt_f32_e32 vcc_lo, 0, v104
	v_cndmask_b32_e64 v116, v104, -v104, vcc_lo
	v_cmp_gt_f32_e32 vcc_lo, 0, v105
	v_cndmask_b32_e64 v118, v105, -v105, vcc_lo
	s_wait_dscnt 0x0
	v_cmp_gt_f32_e32 vcc_lo, 0, v114
	v_cndmask_b32_e64 v117, v114, -v114, vcc_lo
	v_cmp_gt_f32_e32 vcc_lo, 0, v115
	v_cndmask_b32_e64 v119, v115, -v115, vcc_lo
	s_delay_alu instid0(VALU_DEP_1) | instskip(NEXT) | instid1(VALU_DEP_1)
	v_pk_add_f32 v[116:117], v[116:117], v[118:119]
	v_cmp_lt_f32_e32 vcc_lo, v116, v117
	v_dual_cndmask_b32 v104, v104, v114 :: v_dual_add_nc_u32 v107, 8, v107
	v_cndmask_b32_e32 v105, v105, v115, vcc_lo
	v_cndmask_b32_e64 v106, v106, s0, vcc_lo
	s_add_co_i32 s0, s0, 1
	s_delay_alu instid0(SALU_CYCLE_1)
	s_cmp_lg_u32 s18, s0
	s_cbranch_scc1 .LBB96_652
.LBB96_653:
	s_wait_dscnt 0x0
	v_cmp_eq_f32_e32 vcc_lo, 0, v104
	v_cmp_eq_f32_e64 s0, 0, v105
	s_and_b32 s0, vcc_lo, s0
	s_delay_alu instid0(SALU_CYCLE_1) | instskip(NEXT) | instid1(SALU_CYCLE_1)
	s_and_saveexec_b32 s1, s0
	s_xor_b32 s0, exec_lo, s1
; %bb.654:
	v_cmp_ne_u32_e32 vcc_lo, 0, v110
	v_cndmask_b32_e32 v110, 32, v110, vcc_lo
; %bb.655:
	s_and_not1_saveexec_b32 s0, s0
	s_cbranch_execz .LBB96_661
; %bb.656:
	v_cmp_ngt_f32_e64 s1, |v104|, |v105|
	s_and_saveexec_b32 s12, s1
	s_delay_alu instid0(SALU_CYCLE_1)
	s_xor_b32 s1, exec_lo, s12
	s_cbranch_execz .LBB96_658
; %bb.657:
	v_div_scale_f32 v107, null, v105, v105, v104
	v_div_scale_f32 v115, vcc_lo, v104, v105, v104
	s_delay_alu instid0(VALU_DEP_2) | instskip(SKIP_1) | instid1(TRANS32_DEP_1)
	v_rcp_f32_e32 v113, v107
	v_nop
	v_fma_f32 v114, -v107, v113, 1.0
	s_delay_alu instid0(VALU_DEP_1) | instskip(NEXT) | instid1(VALU_DEP_1)
	v_fmac_f32_e32 v113, v114, v113
	v_mul_f32_e32 v114, v115, v113
	s_delay_alu instid0(VALU_DEP_1) | instskip(NEXT) | instid1(VALU_DEP_1)
	v_fma_f32 v116, -v107, v114, v115
	v_fmac_f32_e32 v114, v116, v113
	s_delay_alu instid0(VALU_DEP_1) | instskip(NEXT) | instid1(VALU_DEP_1)
	v_fma_f32 v107, -v107, v114, v115
	v_div_fmas_f32 v107, v107, v113, v114
	s_delay_alu instid0(VALU_DEP_1) | instskip(NEXT) | instid1(VALU_DEP_1)
	v_div_fixup_f32 v107, v107, v105, v104
	v_fmac_f32_e32 v105, v104, v107
	s_delay_alu instid0(VALU_DEP_1) | instskip(SKIP_1) | instid1(VALU_DEP_2)
	v_div_scale_f32 v104, null, v105, v105, 1.0
	v_div_scale_f32 v115, vcc_lo, 1.0, v105, 1.0
	v_rcp_f32_e32 v113, v104
	v_nop
	s_delay_alu instid0(TRANS32_DEP_1) | instskip(NEXT) | instid1(VALU_DEP_1)
	v_fma_f32 v114, -v104, v113, 1.0
	v_fmac_f32_e32 v113, v114, v113
	s_delay_alu instid0(VALU_DEP_1) | instskip(NEXT) | instid1(VALU_DEP_1)
	v_mul_f32_e32 v114, v115, v113
	v_fma_f32 v116, -v104, v114, v115
	s_delay_alu instid0(VALU_DEP_1) | instskip(NEXT) | instid1(VALU_DEP_1)
	v_fmac_f32_e32 v114, v116, v113
	v_fma_f32 v104, -v104, v114, v115
	s_delay_alu instid0(VALU_DEP_1) | instskip(NEXT) | instid1(VALU_DEP_1)
	v_div_fmas_f32 v104, v104, v113, v114
	v_div_fixup_f32 v105, v104, v105, 1.0
	s_delay_alu instid0(VALU_DEP_1)
	v_mul_f32_e32 v104, v107, v105
	v_xor_b32_e32 v105, 0x80000000, v105
.LBB96_658:
	s_and_not1_saveexec_b32 s1, s1
	s_cbranch_execz .LBB96_660
; %bb.659:
	s_delay_alu instid0(VALU_DEP_1) | instskip(SKIP_1) | instid1(VALU_DEP_2)
	v_div_scale_f32 v107, null, v104, v104, v105
	v_div_scale_f32 v115, vcc_lo, v105, v104, v105
	v_rcp_f32_e32 v113, v107
	v_nop
	s_delay_alu instid0(TRANS32_DEP_1) | instskip(NEXT) | instid1(VALU_DEP_1)
	v_fma_f32 v114, -v107, v113, 1.0
	v_fmac_f32_e32 v113, v114, v113
	s_delay_alu instid0(VALU_DEP_1) | instskip(NEXT) | instid1(VALU_DEP_1)
	v_mul_f32_e32 v114, v115, v113
	v_fma_f32 v116, -v107, v114, v115
	s_delay_alu instid0(VALU_DEP_1) | instskip(NEXT) | instid1(VALU_DEP_1)
	v_fmac_f32_e32 v114, v116, v113
	v_fma_f32 v107, -v107, v114, v115
	s_delay_alu instid0(VALU_DEP_1) | instskip(NEXT) | instid1(VALU_DEP_1)
	v_div_fmas_f32 v107, v107, v113, v114
	v_div_fixup_f32 v107, v107, v104, v105
	s_delay_alu instid0(VALU_DEP_1) | instskip(NEXT) | instid1(VALU_DEP_1)
	v_fmac_f32_e32 v104, v105, v107
	v_div_scale_f32 v105, null, v104, v104, 1.0
	s_delay_alu instid0(VALU_DEP_1) | instskip(SKIP_1) | instid1(TRANS32_DEP_1)
	v_rcp_f32_e32 v113, v105
	v_nop
	v_fma_f32 v114, -v105, v113, 1.0
	s_delay_alu instid0(VALU_DEP_1) | instskip(SKIP_1) | instid1(VALU_DEP_1)
	v_fmac_f32_e32 v113, v114, v113
	v_div_scale_f32 v114, vcc_lo, 1.0, v104, 1.0
	v_mul_f32_e32 v115, v114, v113
	s_delay_alu instid0(VALU_DEP_1) | instskip(NEXT) | instid1(VALU_DEP_1)
	v_fma_f32 v116, -v105, v115, v114
	v_fmac_f32_e32 v115, v116, v113
	s_delay_alu instid0(VALU_DEP_1) | instskip(NEXT) | instid1(VALU_DEP_1)
	v_fma_f32 v105, -v105, v115, v114
	v_div_fmas_f32 v105, v105, v113, v115
	s_delay_alu instid0(VALU_DEP_1) | instskip(NEXT) | instid1(VALU_DEP_1)
	v_div_fixup_f32 v104, v105, v104, 1.0
	v_mul_f32_e64 v105, v107, -v104
.LBB96_660:
	s_or_b32 exec_lo, exec_lo, s1
.LBB96_661:
	s_delay_alu instid0(SALU_CYCLE_1) | instskip(NEXT) | instid1(SALU_CYCLE_1)
	s_or_b32 exec_lo, exec_lo, s0
	s_mov_b32 s0, exec_lo
	v_cmpx_ne_u32_e64 v112, v106
	s_xor_b32 s0, exec_lo, s0
	s_cbranch_execz .LBB96_667
; %bb.662:
	s_mov_b32 s1, exec_lo
	v_cmpx_eq_u32_e32 31, v112
	s_cbranch_execz .LBB96_666
; %bb.663:
	v_cmp_ne_u32_e32 vcc_lo, 31, v106
	s_xor_b32 s12, s16, -1
	s_delay_alu instid0(SALU_CYCLE_1) | instskip(NEXT) | instid1(SALU_CYCLE_1)
	s_and_b32 s13, s12, vcc_lo
	s_and_saveexec_b32 s12, s13
	s_cbranch_execz .LBB96_665
; %bb.664:
	v_ashrrev_i32_e32 v107, 31, v106
	s_delay_alu instid0(VALU_DEP_1)
	v_lshl_add_u64 v[112:113], v[106:107], 2, v[4:5]
	s_clause 0x1
	global_load_b32 v107, v[112:113], off
	global_load_b32 v111, v[4:5], off offset:124
	s_wait_loadcnt 0x1
	global_store_b32 v[4:5], v107, off offset:124
	s_wait_loadcnt 0x0
	global_store_b32 v[112:113], v111, off
.LBB96_665:
	s_wait_xcnt 0x0
	s_or_b32 exec_lo, exec_lo, s12
	v_dual_mov_b32 v112, v106 :: v_dual_mov_b32 v111, v106
.LBB96_666:
	s_or_b32 exec_lo, exec_lo, s1
.LBB96_667:
	s_and_not1_saveexec_b32 s0, s0
	s_cbranch_execz .LBB96_669
; %bb.668:
	v_dual_mov_b32 v106, v36 :: v_dual_mov_b32 v107, v37
	v_dual_mov_b32 v112, v32 :: v_dual_mov_b32 v113, v33
	;; [unrolled: 1-line block ×8, first 2 shown]
	ds_store_2addr_b64 v108, v[106:107], v[112:113] offset0:32 offset1:33
	ds_store_2addr_b64 v108, v[114:115], v[116:117] offset0:34 offset1:35
	;; [unrolled: 1-line block ×4, first 2 shown]
	v_dual_mov_b32 v106, v14 :: v_dual_mov_b32 v107, v15
	v_dual_mov_b32 v114, v10 :: v_dual_mov_b32 v115, v11
	;; [unrolled: 1-line block ×8, first 2 shown]
	v_mov_b32_e32 v127, v17
	ds_store_2addr_b64 v108, v[106:107], v[114:115] offset0:40 offset1:41
	ds_store_2addr_b64 v108, v[116:117], v[118:119] offset0:42 offset1:43
	;; [unrolled: 1-line block ×4, first 2 shown]
	ds_store_b64 v108, v[102:103] offset:384
.LBB96_669:
	s_or_b32 exec_lo, exec_lo, s0
	s_delay_alu instid0(SALU_CYCLE_1)
	s_mov_b32 s0, exec_lo
	s_wait_storecnt_dscnt 0x0
	s_barrier_signal -1
	s_barrier_wait -1
	v_cmpx_lt_i32_e32 31, v112
	s_cbranch_execz .LBB96_671
; %bb.670:
	v_pk_mul_f32 v[114:115], v[104:105], v[38:39] op_sel:[1,1] op_sel_hi:[0,1]
	s_delay_alu instid0(VALU_DEP_1)
	v_pk_fma_f32 v[106:107], v[104:105], v[38:39], v[114:115] op_sel_hi:[1,0,1] neg_lo:[0,0,1] neg_hi:[0,0,1]
	v_pk_fma_f32 v[104:105], v[104:105], v[38:39], v[114:115] op_sel_hi:[1,0,1]
	ds_load_2addr_b64 v[114:117], v108 offset0:32 offset1:33
	v_dual_mov_b32 v38, v106 :: v_dual_mov_b32 v39, v105
	s_wait_dscnt 0x0
	v_pk_mul_f32 v[118:119], v[114:115], v[104:105] op_sel:[0,1]
	s_delay_alu instid0(VALU_DEP_1) | instskip(SKIP_1) | instid1(VALU_DEP_1)
	v_pk_fma_f32 v[120:121], v[114:115], v[106:107], v[118:119] op_sel:[0,0,1] op_sel_hi:[1,1,0] neg_lo:[0,0,1] neg_hi:[0,0,1]
	v_pk_fma_f32 v[114:115], v[114:115], v[106:107], v[118:119] op_sel:[0,0,1] op_sel_hi:[1,0,0]
	v_mov_b32_e32 v121, v115
	v_pk_mul_f32 v[114:115], v[116:117], v[104:105] op_sel:[0,1]
	s_delay_alu instid0(VALU_DEP_1) | instskip(SKIP_1) | instid1(VALU_DEP_1)
	v_pk_fma_f32 v[118:119], v[116:117], v[106:107], v[114:115] op_sel:[0,0,1] op_sel_hi:[1,1,0] neg_lo:[0,0,1] neg_hi:[0,0,1]
	v_pk_fma_f32 v[114:115], v[116:117], v[106:107], v[114:115] op_sel:[0,0,1] op_sel_hi:[1,0,0]
	v_mov_b32_e32 v119, v115
	ds_load_2addr_b64 v[114:117], v108 offset0:34 offset1:35
	v_pk_add_f32 v[36:37], v[36:37], v[120:121] neg_lo:[0,1] neg_hi:[0,1]
	v_pk_add_f32 v[32:33], v[32:33], v[118:119] neg_lo:[0,1] neg_hi:[0,1]
	s_wait_dscnt 0x0
	v_pk_mul_f32 v[118:119], v[114:115], v[104:105] op_sel:[0,1]
	s_delay_alu instid0(VALU_DEP_1) | instskip(SKIP_2) | instid1(VALU_DEP_2)
	v_pk_fma_f32 v[120:121], v[114:115], v[106:107], v[118:119] op_sel:[0,0,1] op_sel_hi:[1,1,0] neg_lo:[0,0,1] neg_hi:[0,0,1]
	v_pk_fma_f32 v[114:115], v[114:115], v[106:107], v[118:119] op_sel:[0,0,1] op_sel_hi:[1,0,0]
	v_dual_mul_f32 v118, v117, v105 :: v_dual_mov_b32 v114, v117
	v_dual_mov_b32 v121, v115 :: v_dual_mov_b32 v115, v116
	s_delay_alu instid0(VALU_DEP_2) | instskip(SKIP_1) | instid1(VALU_DEP_3)
	v_pk_fma_f32 v[118:119], v[116:117], v[38:39], v[118:119] op_sel_hi:[1,1,0] neg_lo:[0,0,1] neg_hi:[0,0,1]
	v_mul_f32_e32 v116, v117, v106
	v_pk_add_f32 v[34:35], v[34:35], v[120:121] neg_lo:[0,1] neg_hi:[0,1]
	s_delay_alu instid0(VALU_DEP_2) | instskip(NEXT) | instid1(VALU_DEP_1)
	v_pk_fma_f32 v[114:115], v[114:115], v[38:39], v[116:117] op_sel_hi:[1,1,0]
	v_mov_b32_e32 v119, v115
	ds_load_2addr_b64 v[114:117], v108 offset0:36 offset1:37
	v_pk_add_f32 v[30:31], v[30:31], v[118:119] neg_lo:[0,1] neg_hi:[0,1]
	s_wait_dscnt 0x0
	v_pk_mul_f32 v[118:119], v[114:115], v[104:105] op_sel:[0,1]
	s_delay_alu instid0(VALU_DEP_1) | instskip(SKIP_1) | instid1(VALU_DEP_1)
	v_pk_fma_f32 v[120:121], v[114:115], v[106:107], v[118:119] op_sel:[0,0,1] op_sel_hi:[1,1,0] neg_lo:[0,0,1] neg_hi:[0,0,1]
	v_pk_fma_f32 v[114:115], v[114:115], v[106:107], v[118:119] op_sel:[0,0,1] op_sel_hi:[1,0,0]
	v_mov_b32_e32 v121, v115
	v_pk_mul_f32 v[114:115], v[116:117], v[104:105] op_sel:[0,1]
	s_delay_alu instid0(VALU_DEP_1) | instskip(SKIP_1) | instid1(VALU_DEP_1)
	v_pk_fma_f32 v[118:119], v[116:117], v[106:107], v[114:115] op_sel:[0,0,1] op_sel_hi:[1,1,0] neg_lo:[0,0,1] neg_hi:[0,0,1]
	v_pk_fma_f32 v[114:115], v[116:117], v[106:107], v[114:115] op_sel:[0,0,1] op_sel_hi:[1,0,0]
	v_mov_b32_e32 v119, v115
	ds_load_2addr_b64 v[114:117], v108 offset0:38 offset1:39
	v_pk_add_f32 v[26:27], v[26:27], v[120:121] neg_lo:[0,1] neg_hi:[0,1]
	v_pk_add_f32 v[22:23], v[22:23], v[118:119] neg_lo:[0,1] neg_hi:[0,1]
	s_wait_dscnt 0x0
	v_pk_mul_f32 v[118:119], v[114:115], v[104:105] op_sel:[0,1]
	s_delay_alu instid0(VALU_DEP_1) | instskip(SKIP_1) | instid1(VALU_DEP_1)
	v_pk_fma_f32 v[120:121], v[114:115], v[106:107], v[118:119] op_sel:[0,0,1] op_sel_hi:[1,1,0] neg_lo:[0,0,1] neg_hi:[0,0,1]
	v_pk_fma_f32 v[114:115], v[114:115], v[106:107], v[118:119] op_sel:[0,0,1] op_sel_hi:[1,0,0]
	v_mov_b32_e32 v121, v115
	v_pk_mul_f32 v[114:115], v[116:117], v[104:105] op_sel:[0,1]
	s_delay_alu instid0(VALU_DEP_1) | instskip(SKIP_1) | instid1(VALU_DEP_1)
	v_pk_fma_f32 v[118:119], v[116:117], v[106:107], v[114:115] op_sel:[0,0,1] op_sel_hi:[1,1,0] neg_lo:[0,0,1] neg_hi:[0,0,1]
	v_pk_fma_f32 v[114:115], v[116:117], v[106:107], v[114:115] op_sel:[0,0,1] op_sel_hi:[1,0,0]
	v_mov_b32_e32 v119, v115
	ds_load_2addr_b64 v[114:117], v108 offset0:40 offset1:41
	v_pk_add_f32 v[24:25], v[24:25], v[120:121] neg_lo:[0,1] neg_hi:[0,1]
	v_pk_add_f32 v[20:21], v[20:21], v[118:119] neg_lo:[0,1] neg_hi:[0,1]
	s_wait_dscnt 0x0
	v_dual_mul_f32 v118, v115, v105 :: v_dual_mul_f32 v120, v115, v106
	s_delay_alu instid0(VALU_DEP_1) | instskip(NEXT) | instid1(VALU_DEP_2)
	v_pk_fma_f32 v[118:119], v[114:115], v[38:39], v[118:119] op_sel_hi:[1,1,0] neg_lo:[0,0,1] neg_hi:[0,0,1]
	v_pk_fma_f32 v[114:115], v[114:115], v[38:39], v[120:121] op_sel:[1,0,0] op_sel_hi:[0,1,0]
	s_delay_alu instid0(VALU_DEP_1) | instskip(SKIP_1) | instid1(VALU_DEP_2)
	v_mov_b32_e32 v119, v115
	v_pk_mul_f32 v[114:115], v[116:117], v[104:105] op_sel:[0,1]
	v_pk_add_f32 v[14:15], v[14:15], v[118:119] neg_lo:[0,1] neg_hi:[0,1]
	s_delay_alu instid0(VALU_DEP_2) | instskip(SKIP_1) | instid1(VALU_DEP_1)
	v_pk_fma_f32 v[118:119], v[116:117], v[106:107], v[114:115] op_sel:[0,0,1] op_sel_hi:[1,1,0] neg_lo:[0,0,1] neg_hi:[0,0,1]
	v_pk_fma_f32 v[114:115], v[116:117], v[106:107], v[114:115] op_sel:[0,0,1] op_sel_hi:[1,0,0]
	v_mov_b32_e32 v119, v115
	ds_load_2addr_b64 v[114:117], v108 offset0:42 offset1:43
	v_pk_add_f32 v[10:11], v[10:11], v[118:119] neg_lo:[0,1] neg_hi:[0,1]
	s_wait_dscnt 0x0
	v_pk_mul_f32 v[118:119], v[114:115], v[104:105] op_sel:[0,1]
	s_delay_alu instid0(VALU_DEP_1) | instskip(SKIP_1) | instid1(VALU_DEP_1)
	v_pk_fma_f32 v[120:121], v[114:115], v[106:107], v[118:119] op_sel:[0,0,1] op_sel_hi:[1,1,0] neg_lo:[0,0,1] neg_hi:[0,0,1]
	v_pk_fma_f32 v[114:115], v[114:115], v[106:107], v[118:119] op_sel:[0,0,1] op_sel_hi:[1,0,0]
	v_mov_b32_e32 v121, v115
	v_pk_mul_f32 v[114:115], v[116:117], v[104:105] op_sel:[0,1]
	s_delay_alu instid0(VALU_DEP_2) | instskip(NEXT) | instid1(VALU_DEP_2)
	v_pk_add_f32 v[12:13], v[12:13], v[120:121] neg_lo:[0,1] neg_hi:[0,1]
	v_pk_fma_f32 v[118:119], v[116:117], v[106:107], v[114:115] op_sel:[0,0,1] op_sel_hi:[1,1,0] neg_lo:[0,0,1] neg_hi:[0,0,1]
	v_pk_fma_f32 v[114:115], v[116:117], v[106:107], v[114:115] op_sel:[0,0,1] op_sel_hi:[1,0,0]
	s_delay_alu instid0(VALU_DEP_1) | instskip(SKIP_4) | instid1(VALU_DEP_1)
	v_mov_b32_e32 v119, v115
	ds_load_2addr_b64 v[114:117], v108 offset0:44 offset1:45
	v_pk_add_f32 v[8:9], v[8:9], v[118:119] neg_lo:[0,1] neg_hi:[0,1]
	s_wait_dscnt 0x0
	v_pk_mul_f32 v[118:119], v[114:115], v[104:105] op_sel:[0,1]
	v_pk_fma_f32 v[120:121], v[114:115], v[106:107], v[118:119] op_sel:[0,0,1] op_sel_hi:[1,1,0] neg_lo:[0,0,1] neg_hi:[0,0,1]
	v_pk_fma_f32 v[114:115], v[114:115], v[106:107], v[118:119] op_sel:[0,0,1] op_sel_hi:[1,0,0]
	v_dual_mul_f32 v118, v117, v105 :: v_dual_mov_b32 v114, v117
	s_delay_alu instid0(VALU_DEP_2) | instskip(NEXT) | instid1(VALU_DEP_2)
	v_dual_mov_b32 v121, v115 :: v_dual_mov_b32 v115, v116
	v_pk_fma_f32 v[118:119], v[116:117], v[38:39], v[118:119] op_sel_hi:[1,1,0] neg_lo:[0,0,1] neg_hi:[0,0,1]
	v_mul_f32_e32 v116, v117, v106
	s_delay_alu instid0(VALU_DEP_3) | instskip(NEXT) | instid1(VALU_DEP_2)
	v_pk_add_f32 v[6:7], v[6:7], v[120:121] neg_lo:[0,1] neg_hi:[0,1]
	v_pk_fma_f32 v[114:115], v[114:115], v[38:39], v[116:117] op_sel_hi:[1,1,0]
	s_delay_alu instid0(VALU_DEP_1) | instskip(SKIP_4) | instid1(VALU_DEP_1)
	v_mov_b32_e32 v119, v115
	ds_load_2addr_b64 v[114:117], v108 offset0:46 offset1:47
	v_pk_add_f32 v[28:29], v[28:29], v[118:119] neg_lo:[0,1] neg_hi:[0,1]
	s_wait_dscnt 0x0
	v_pk_mul_f32 v[118:119], v[114:115], v[104:105] op_sel:[0,1]
	v_pk_fma_f32 v[120:121], v[114:115], v[106:107], v[118:119] op_sel:[0,0,1] op_sel_hi:[1,1,0] neg_lo:[0,0,1] neg_hi:[0,0,1]
	v_pk_fma_f32 v[114:115], v[114:115], v[106:107], v[118:119] op_sel:[0,0,1] op_sel_hi:[1,0,0]
	s_delay_alu instid0(VALU_DEP_1) | instskip(SKIP_1) | instid1(VALU_DEP_1)
	v_mov_b32_e32 v121, v115
	v_pk_mul_f32 v[114:115], v[116:117], v[104:105] op_sel:[0,1]
	v_pk_fma_f32 v[118:119], v[116:117], v[106:107], v[114:115] op_sel:[0,0,1] op_sel_hi:[1,1,0] neg_lo:[0,0,1] neg_hi:[0,0,1]
	v_pk_fma_f32 v[114:115], v[116:117], v[106:107], v[114:115] op_sel:[0,0,1] op_sel_hi:[1,0,0]
	s_delay_alu instid0(VALU_DEP_1)
	v_mov_b32_e32 v119, v115
	ds_load_b64 v[114:115], v108 offset:384
	v_pk_add_f32 v[18:19], v[18:19], v[120:121] neg_lo:[0,1] neg_hi:[0,1]
	v_pk_add_f32 v[16:17], v[16:17], v[118:119] neg_lo:[0,1] neg_hi:[0,1]
	s_wait_dscnt 0x0
	v_pk_mul_f32 v[104:105], v[114:115], v[104:105] op_sel:[0,1]
	s_delay_alu instid0(VALU_DEP_1) | instskip(SKIP_1) | instid1(VALU_DEP_1)
	v_pk_fma_f32 v[116:117], v[114:115], v[106:107], v[104:105] op_sel:[0,0,1] op_sel_hi:[1,1,0] neg_lo:[0,0,1] neg_hi:[0,0,1]
	v_pk_fma_f32 v[104:105], v[114:115], v[106:107], v[104:105] op_sel:[0,0,1] op_sel_hi:[1,0,0]
	v_mov_b32_e32 v117, v105
	s_delay_alu instid0(VALU_DEP_1)
	v_pk_add_f32 v[102:103], v[102:103], v[116:117] neg_lo:[0,1] neg_hi:[0,1]
.LBB96_671:
	s_or_b32 exec_lo, exec_lo, s0
	v_lshl_add_u32 v104, v112, 3, v108
	s_barrier_signal -1
	s_barrier_wait -1
	ds_store_b64 v104, v[36:37]
	s_wait_dscnt 0x0
	s_barrier_signal -1
	s_barrier_wait -1
	ds_load_b64 v[104:105], v108 offset:256
	v_mov_b32_e32 v106, 32
	s_cmp_lt_i32 s18, 34
	s_cbranch_scc1 .LBB96_674
; %bb.672:
	v_add3_u32 v107, v109, 0, 0x108
	v_mov_b32_e32 v106, 32
	s_mov_b32 s0, 33
.LBB96_673:                             ; =>This Inner Loop Header: Depth=1
	ds_load_b64 v[114:115], v107
	s_wait_dscnt 0x1
	v_cmp_gt_f32_e32 vcc_lo, 0, v104
	v_cndmask_b32_e64 v116, v104, -v104, vcc_lo
	v_cmp_gt_f32_e32 vcc_lo, 0, v105
	v_cndmask_b32_e64 v118, v105, -v105, vcc_lo
	s_wait_dscnt 0x0
	v_cmp_gt_f32_e32 vcc_lo, 0, v114
	v_cndmask_b32_e64 v117, v114, -v114, vcc_lo
	v_cmp_gt_f32_e32 vcc_lo, 0, v115
	v_cndmask_b32_e64 v119, v115, -v115, vcc_lo
	s_delay_alu instid0(VALU_DEP_1) | instskip(NEXT) | instid1(VALU_DEP_1)
	v_pk_add_f32 v[116:117], v[116:117], v[118:119]
	v_cmp_lt_f32_e32 vcc_lo, v116, v117
	v_dual_cndmask_b32 v104, v104, v114 :: v_dual_add_nc_u32 v107, 8, v107
	v_cndmask_b32_e32 v105, v105, v115, vcc_lo
	v_cndmask_b32_e64 v106, v106, s0, vcc_lo
	s_add_co_i32 s0, s0, 1
	s_delay_alu instid0(SALU_CYCLE_1)
	s_cmp_lg_u32 s18, s0
	s_cbranch_scc1 .LBB96_673
.LBB96_674:
	s_wait_dscnt 0x0
	v_cmp_eq_f32_e32 vcc_lo, 0, v104
	v_cmp_eq_f32_e64 s0, 0, v105
	s_and_b32 s0, vcc_lo, s0
	s_delay_alu instid0(SALU_CYCLE_1) | instskip(NEXT) | instid1(SALU_CYCLE_1)
	s_and_saveexec_b32 s1, s0
	s_xor_b32 s0, exec_lo, s1
; %bb.675:
	v_cmp_ne_u32_e32 vcc_lo, 0, v110
	v_cndmask_b32_e32 v110, 33, v110, vcc_lo
; %bb.676:
	s_and_not1_saveexec_b32 s0, s0
	s_cbranch_execz .LBB96_682
; %bb.677:
	v_cmp_ngt_f32_e64 s1, |v104|, |v105|
	s_and_saveexec_b32 s12, s1
	s_delay_alu instid0(SALU_CYCLE_1)
	s_xor_b32 s1, exec_lo, s12
	s_cbranch_execz .LBB96_679
; %bb.678:
	v_div_scale_f32 v107, null, v105, v105, v104
	v_div_scale_f32 v115, vcc_lo, v104, v105, v104
	s_delay_alu instid0(VALU_DEP_2) | instskip(SKIP_1) | instid1(TRANS32_DEP_1)
	v_rcp_f32_e32 v113, v107
	v_nop
	v_fma_f32 v114, -v107, v113, 1.0
	s_delay_alu instid0(VALU_DEP_1) | instskip(NEXT) | instid1(VALU_DEP_1)
	v_fmac_f32_e32 v113, v114, v113
	v_mul_f32_e32 v114, v115, v113
	s_delay_alu instid0(VALU_DEP_1) | instskip(NEXT) | instid1(VALU_DEP_1)
	v_fma_f32 v116, -v107, v114, v115
	v_fmac_f32_e32 v114, v116, v113
	s_delay_alu instid0(VALU_DEP_1) | instskip(NEXT) | instid1(VALU_DEP_1)
	v_fma_f32 v107, -v107, v114, v115
	v_div_fmas_f32 v107, v107, v113, v114
	s_delay_alu instid0(VALU_DEP_1) | instskip(NEXT) | instid1(VALU_DEP_1)
	v_div_fixup_f32 v107, v107, v105, v104
	v_fmac_f32_e32 v105, v104, v107
	s_delay_alu instid0(VALU_DEP_1) | instskip(SKIP_1) | instid1(VALU_DEP_2)
	v_div_scale_f32 v104, null, v105, v105, 1.0
	v_div_scale_f32 v115, vcc_lo, 1.0, v105, 1.0
	v_rcp_f32_e32 v113, v104
	v_nop
	s_delay_alu instid0(TRANS32_DEP_1) | instskip(NEXT) | instid1(VALU_DEP_1)
	v_fma_f32 v114, -v104, v113, 1.0
	v_fmac_f32_e32 v113, v114, v113
	s_delay_alu instid0(VALU_DEP_1) | instskip(NEXT) | instid1(VALU_DEP_1)
	v_mul_f32_e32 v114, v115, v113
	v_fma_f32 v116, -v104, v114, v115
	s_delay_alu instid0(VALU_DEP_1) | instskip(NEXT) | instid1(VALU_DEP_1)
	v_fmac_f32_e32 v114, v116, v113
	v_fma_f32 v104, -v104, v114, v115
	s_delay_alu instid0(VALU_DEP_1) | instskip(NEXT) | instid1(VALU_DEP_1)
	v_div_fmas_f32 v104, v104, v113, v114
	v_div_fixup_f32 v105, v104, v105, 1.0
	s_delay_alu instid0(VALU_DEP_1)
	v_mul_f32_e32 v104, v107, v105
	v_xor_b32_e32 v105, 0x80000000, v105
.LBB96_679:
	s_and_not1_saveexec_b32 s1, s1
	s_cbranch_execz .LBB96_681
; %bb.680:
	s_delay_alu instid0(VALU_DEP_1) | instskip(SKIP_1) | instid1(VALU_DEP_2)
	v_div_scale_f32 v107, null, v104, v104, v105
	v_div_scale_f32 v115, vcc_lo, v105, v104, v105
	v_rcp_f32_e32 v113, v107
	v_nop
	s_delay_alu instid0(TRANS32_DEP_1) | instskip(NEXT) | instid1(VALU_DEP_1)
	v_fma_f32 v114, -v107, v113, 1.0
	v_fmac_f32_e32 v113, v114, v113
	s_delay_alu instid0(VALU_DEP_1) | instskip(NEXT) | instid1(VALU_DEP_1)
	v_mul_f32_e32 v114, v115, v113
	v_fma_f32 v116, -v107, v114, v115
	s_delay_alu instid0(VALU_DEP_1) | instskip(NEXT) | instid1(VALU_DEP_1)
	v_fmac_f32_e32 v114, v116, v113
	v_fma_f32 v107, -v107, v114, v115
	s_delay_alu instid0(VALU_DEP_1) | instskip(NEXT) | instid1(VALU_DEP_1)
	v_div_fmas_f32 v107, v107, v113, v114
	v_div_fixup_f32 v107, v107, v104, v105
	s_delay_alu instid0(VALU_DEP_1) | instskip(NEXT) | instid1(VALU_DEP_1)
	v_fmac_f32_e32 v104, v105, v107
	v_div_scale_f32 v105, null, v104, v104, 1.0
	s_delay_alu instid0(VALU_DEP_1) | instskip(SKIP_1) | instid1(TRANS32_DEP_1)
	v_rcp_f32_e32 v113, v105
	v_nop
	v_fma_f32 v114, -v105, v113, 1.0
	s_delay_alu instid0(VALU_DEP_1) | instskip(SKIP_1) | instid1(VALU_DEP_1)
	v_fmac_f32_e32 v113, v114, v113
	v_div_scale_f32 v114, vcc_lo, 1.0, v104, 1.0
	v_mul_f32_e32 v115, v114, v113
	s_delay_alu instid0(VALU_DEP_1) | instskip(NEXT) | instid1(VALU_DEP_1)
	v_fma_f32 v116, -v105, v115, v114
	v_fmac_f32_e32 v115, v116, v113
	s_delay_alu instid0(VALU_DEP_1) | instskip(NEXT) | instid1(VALU_DEP_1)
	v_fma_f32 v105, -v105, v115, v114
	v_div_fmas_f32 v105, v105, v113, v115
	s_delay_alu instid0(VALU_DEP_1) | instskip(NEXT) | instid1(VALU_DEP_1)
	v_div_fixup_f32 v104, v105, v104, 1.0
	v_mul_f32_e64 v105, v107, -v104
.LBB96_681:
	s_or_b32 exec_lo, exec_lo, s1
.LBB96_682:
	s_delay_alu instid0(SALU_CYCLE_1) | instskip(NEXT) | instid1(SALU_CYCLE_1)
	s_or_b32 exec_lo, exec_lo, s0
	s_mov_b32 s0, exec_lo
	v_cmpx_ne_u32_e64 v112, v106
	s_xor_b32 s0, exec_lo, s0
	s_cbranch_execz .LBB96_688
; %bb.683:
	s_mov_b32 s1, exec_lo
	v_cmpx_eq_u32_e32 32, v112
	s_cbranch_execz .LBB96_687
; %bb.684:
	v_cmp_ne_u32_e32 vcc_lo, 32, v106
	s_xor_b32 s12, s16, -1
	s_delay_alu instid0(SALU_CYCLE_1) | instskip(NEXT) | instid1(SALU_CYCLE_1)
	s_and_b32 s13, s12, vcc_lo
	s_and_saveexec_b32 s12, s13
	s_cbranch_execz .LBB96_686
; %bb.685:
	v_ashrrev_i32_e32 v107, 31, v106
	s_delay_alu instid0(VALU_DEP_1)
	v_lshl_add_u64 v[112:113], v[106:107], 2, v[4:5]
	s_clause 0x1
	global_load_b32 v107, v[112:113], off
	global_load_b32 v111, v[4:5], off offset:128
	s_wait_loadcnt 0x1
	global_store_b32 v[4:5], v107, off offset:128
	s_wait_loadcnt 0x0
	global_store_b32 v[112:113], v111, off
.LBB96_686:
	s_wait_xcnt 0x0
	s_or_b32 exec_lo, exec_lo, s12
	v_dual_mov_b32 v112, v106 :: v_dual_mov_b32 v111, v106
.LBB96_687:
	s_or_b32 exec_lo, exec_lo, s1
.LBB96_688:
	s_and_not1_saveexec_b32 s0, s0
	s_cbranch_execz .LBB96_690
; %bb.689:
	v_mov_b32_e32 v112, 32
	ds_store_2addr_b64 v108, v[32:33], v[34:35] offset0:33 offset1:34
	ds_store_2addr_b64 v108, v[30:31], v[26:27] offset0:35 offset1:36
	;; [unrolled: 1-line block ×8, first 2 shown]
.LBB96_690:
	s_or_b32 exec_lo, exec_lo, s0
	s_delay_alu instid0(SALU_CYCLE_1)
	s_mov_b32 s0, exec_lo
	s_wait_storecnt_dscnt 0x0
	s_barrier_signal -1
	s_barrier_wait -1
	v_cmpx_lt_i32_e32 32, v112
	s_cbranch_execz .LBB96_692
; %bb.691:
	v_pk_mul_f32 v[114:115], v[104:105], v[36:37] op_sel:[1,1] op_sel_hi:[0,1]
	s_delay_alu instid0(VALU_DEP_1)
	v_pk_fma_f32 v[106:107], v[104:105], v[36:37], v[114:115] op_sel_hi:[1,0,1] neg_lo:[0,0,1] neg_hi:[0,0,1]
	v_pk_fma_f32 v[104:105], v[104:105], v[36:37], v[114:115] op_sel_hi:[1,0,1]
	ds_load_2addr_b64 v[114:117], v108 offset0:33 offset1:34
	v_dual_mov_b32 v36, v106 :: v_dual_mov_b32 v37, v105
	s_wait_dscnt 0x0
	v_pk_mul_f32 v[118:119], v[114:115], v[104:105] op_sel:[0,1]
	s_delay_alu instid0(VALU_DEP_1) | instskip(SKIP_1) | instid1(VALU_DEP_1)
	v_pk_fma_f32 v[120:121], v[114:115], v[106:107], v[118:119] op_sel:[0,0,1] op_sel_hi:[1,1,0] neg_lo:[0,0,1] neg_hi:[0,0,1]
	v_pk_fma_f32 v[114:115], v[114:115], v[106:107], v[118:119] op_sel:[0,0,1] op_sel_hi:[1,0,0]
	v_mov_b32_e32 v121, v115
	v_pk_mul_f32 v[114:115], v[116:117], v[104:105] op_sel:[0,1]
	s_delay_alu instid0(VALU_DEP_1) | instskip(SKIP_1) | instid1(VALU_DEP_1)
	v_pk_fma_f32 v[118:119], v[116:117], v[106:107], v[114:115] op_sel:[0,0,1] op_sel_hi:[1,1,0] neg_lo:[0,0,1] neg_hi:[0,0,1]
	v_pk_fma_f32 v[114:115], v[116:117], v[106:107], v[114:115] op_sel:[0,0,1] op_sel_hi:[1,0,0]
	v_mov_b32_e32 v119, v115
	ds_load_2addr_b64 v[114:117], v108 offset0:35 offset1:36
	v_pk_add_f32 v[32:33], v[32:33], v[120:121] neg_lo:[0,1] neg_hi:[0,1]
	v_pk_add_f32 v[34:35], v[34:35], v[118:119] neg_lo:[0,1] neg_hi:[0,1]
	s_wait_dscnt 0x0
	v_pk_mul_f32 v[118:119], v[114:115], v[104:105] op_sel:[0,1]
	s_delay_alu instid0(VALU_DEP_1) | instskip(SKIP_2) | instid1(VALU_DEP_2)
	v_pk_fma_f32 v[120:121], v[114:115], v[106:107], v[118:119] op_sel:[0,0,1] op_sel_hi:[1,1,0] neg_lo:[0,0,1] neg_hi:[0,0,1]
	v_pk_fma_f32 v[114:115], v[114:115], v[106:107], v[118:119] op_sel:[0,0,1] op_sel_hi:[1,0,0]
	v_dual_mul_f32 v118, v117, v105 :: v_dual_mov_b32 v114, v117
	v_dual_mov_b32 v121, v115 :: v_dual_mov_b32 v115, v116
	s_delay_alu instid0(VALU_DEP_2) | instskip(SKIP_1) | instid1(VALU_DEP_3)
	v_pk_fma_f32 v[118:119], v[116:117], v[36:37], v[118:119] op_sel_hi:[1,1,0] neg_lo:[0,0,1] neg_hi:[0,0,1]
	v_mul_f32_e32 v116, v117, v106
	v_pk_add_f32 v[30:31], v[30:31], v[120:121] neg_lo:[0,1] neg_hi:[0,1]
	s_delay_alu instid0(VALU_DEP_2) | instskip(NEXT) | instid1(VALU_DEP_1)
	v_pk_fma_f32 v[114:115], v[114:115], v[36:37], v[116:117] op_sel_hi:[1,1,0]
	v_mov_b32_e32 v119, v115
	ds_load_2addr_b64 v[114:117], v108 offset0:37 offset1:38
	v_pk_add_f32 v[26:27], v[26:27], v[118:119] neg_lo:[0,1] neg_hi:[0,1]
	s_wait_dscnt 0x0
	v_pk_mul_f32 v[118:119], v[114:115], v[104:105] op_sel:[0,1]
	s_delay_alu instid0(VALU_DEP_1) | instskip(SKIP_1) | instid1(VALU_DEP_1)
	v_pk_fma_f32 v[120:121], v[114:115], v[106:107], v[118:119] op_sel:[0,0,1] op_sel_hi:[1,1,0] neg_lo:[0,0,1] neg_hi:[0,0,1]
	v_pk_fma_f32 v[114:115], v[114:115], v[106:107], v[118:119] op_sel:[0,0,1] op_sel_hi:[1,0,0]
	v_mov_b32_e32 v121, v115
	v_pk_mul_f32 v[114:115], v[116:117], v[104:105] op_sel:[0,1]
	s_delay_alu instid0(VALU_DEP_1) | instskip(SKIP_1) | instid1(VALU_DEP_1)
	v_pk_fma_f32 v[118:119], v[116:117], v[106:107], v[114:115] op_sel:[0,0,1] op_sel_hi:[1,1,0] neg_lo:[0,0,1] neg_hi:[0,0,1]
	v_pk_fma_f32 v[114:115], v[116:117], v[106:107], v[114:115] op_sel:[0,0,1] op_sel_hi:[1,0,0]
	v_mov_b32_e32 v119, v115
	ds_load_2addr_b64 v[114:117], v108 offset0:39 offset1:40
	v_pk_add_f32 v[22:23], v[22:23], v[120:121] neg_lo:[0,1] neg_hi:[0,1]
	v_pk_add_f32 v[24:25], v[24:25], v[118:119] neg_lo:[0,1] neg_hi:[0,1]
	s_wait_dscnt 0x0
	v_pk_mul_f32 v[118:119], v[114:115], v[104:105] op_sel:[0,1]
	s_delay_alu instid0(VALU_DEP_1) | instskip(SKIP_1) | instid1(VALU_DEP_1)
	v_pk_fma_f32 v[120:121], v[114:115], v[106:107], v[118:119] op_sel:[0,0,1] op_sel_hi:[1,1,0] neg_lo:[0,0,1] neg_hi:[0,0,1]
	v_pk_fma_f32 v[114:115], v[114:115], v[106:107], v[118:119] op_sel:[0,0,1] op_sel_hi:[1,0,0]
	v_mov_b32_e32 v121, v115
	v_pk_mul_f32 v[114:115], v[116:117], v[104:105] op_sel:[0,1]
	s_delay_alu instid0(VALU_DEP_1) | instskip(SKIP_1) | instid1(VALU_DEP_1)
	v_pk_fma_f32 v[118:119], v[116:117], v[106:107], v[114:115] op_sel:[0,0,1] op_sel_hi:[1,1,0] neg_lo:[0,0,1] neg_hi:[0,0,1]
	v_pk_fma_f32 v[114:115], v[116:117], v[106:107], v[114:115] op_sel:[0,0,1] op_sel_hi:[1,0,0]
	v_mov_b32_e32 v119, v115
	ds_load_2addr_b64 v[114:117], v108 offset0:41 offset1:42
	v_pk_add_f32 v[20:21], v[20:21], v[120:121] neg_lo:[0,1] neg_hi:[0,1]
	v_pk_add_f32 v[14:15], v[14:15], v[118:119] neg_lo:[0,1] neg_hi:[0,1]
	s_wait_dscnt 0x0
	v_dual_mul_f32 v118, v115, v105 :: v_dual_mul_f32 v120, v115, v106
	s_delay_alu instid0(VALU_DEP_1) | instskip(NEXT) | instid1(VALU_DEP_2)
	v_pk_fma_f32 v[118:119], v[114:115], v[36:37], v[118:119] op_sel_hi:[1,1,0] neg_lo:[0,0,1] neg_hi:[0,0,1]
	v_pk_fma_f32 v[114:115], v[114:115], v[36:37], v[120:121] op_sel:[1,0,0] op_sel_hi:[0,1,0]
	s_delay_alu instid0(VALU_DEP_1) | instskip(SKIP_1) | instid1(VALU_DEP_2)
	v_mov_b32_e32 v119, v115
	v_pk_mul_f32 v[114:115], v[116:117], v[104:105] op_sel:[0,1]
	v_pk_add_f32 v[10:11], v[10:11], v[118:119] neg_lo:[0,1] neg_hi:[0,1]
	s_delay_alu instid0(VALU_DEP_2) | instskip(SKIP_1) | instid1(VALU_DEP_1)
	v_pk_fma_f32 v[118:119], v[116:117], v[106:107], v[114:115] op_sel:[0,0,1] op_sel_hi:[1,1,0] neg_lo:[0,0,1] neg_hi:[0,0,1]
	v_pk_fma_f32 v[114:115], v[116:117], v[106:107], v[114:115] op_sel:[0,0,1] op_sel_hi:[1,0,0]
	v_mov_b32_e32 v119, v115
	ds_load_2addr_b64 v[114:117], v108 offset0:43 offset1:44
	v_pk_add_f32 v[12:13], v[12:13], v[118:119] neg_lo:[0,1] neg_hi:[0,1]
	s_wait_dscnt 0x0
	v_pk_mul_f32 v[118:119], v[114:115], v[104:105] op_sel:[0,1]
	s_delay_alu instid0(VALU_DEP_1) | instskip(SKIP_1) | instid1(VALU_DEP_1)
	v_pk_fma_f32 v[120:121], v[114:115], v[106:107], v[118:119] op_sel:[0,0,1] op_sel_hi:[1,1,0] neg_lo:[0,0,1] neg_hi:[0,0,1]
	v_pk_fma_f32 v[114:115], v[114:115], v[106:107], v[118:119] op_sel:[0,0,1] op_sel_hi:[1,0,0]
	v_mov_b32_e32 v121, v115
	v_pk_mul_f32 v[114:115], v[116:117], v[104:105] op_sel:[0,1]
	s_delay_alu instid0(VALU_DEP_2) | instskip(NEXT) | instid1(VALU_DEP_2)
	v_pk_add_f32 v[8:9], v[8:9], v[120:121] neg_lo:[0,1] neg_hi:[0,1]
	v_pk_fma_f32 v[118:119], v[116:117], v[106:107], v[114:115] op_sel:[0,0,1] op_sel_hi:[1,1,0] neg_lo:[0,0,1] neg_hi:[0,0,1]
	v_pk_fma_f32 v[114:115], v[116:117], v[106:107], v[114:115] op_sel:[0,0,1] op_sel_hi:[1,0,0]
	s_delay_alu instid0(VALU_DEP_1) | instskip(SKIP_4) | instid1(VALU_DEP_1)
	v_mov_b32_e32 v119, v115
	ds_load_2addr_b64 v[114:117], v108 offset0:45 offset1:46
	v_pk_add_f32 v[6:7], v[6:7], v[118:119] neg_lo:[0,1] neg_hi:[0,1]
	s_wait_dscnt 0x0
	v_pk_mul_f32 v[118:119], v[114:115], v[104:105] op_sel:[0,1]
	v_pk_fma_f32 v[120:121], v[114:115], v[106:107], v[118:119] op_sel:[0,0,1] op_sel_hi:[1,1,0] neg_lo:[0,0,1] neg_hi:[0,0,1]
	v_pk_fma_f32 v[114:115], v[114:115], v[106:107], v[118:119] op_sel:[0,0,1] op_sel_hi:[1,0,0]
	v_dual_mul_f32 v118, v117, v105 :: v_dual_mov_b32 v114, v117
	s_delay_alu instid0(VALU_DEP_2) | instskip(NEXT) | instid1(VALU_DEP_2)
	v_dual_mov_b32 v121, v115 :: v_dual_mov_b32 v115, v116
	v_pk_fma_f32 v[118:119], v[116:117], v[36:37], v[118:119] op_sel_hi:[1,1,0] neg_lo:[0,0,1] neg_hi:[0,0,1]
	v_mul_f32_e32 v116, v117, v106
	s_delay_alu instid0(VALU_DEP_3) | instskip(NEXT) | instid1(VALU_DEP_2)
	v_pk_add_f32 v[28:29], v[28:29], v[120:121] neg_lo:[0,1] neg_hi:[0,1]
	v_pk_fma_f32 v[114:115], v[114:115], v[36:37], v[116:117] op_sel_hi:[1,1,0]
	s_delay_alu instid0(VALU_DEP_1)
	v_mov_b32_e32 v119, v115
	ds_load_2addr_b64 v[114:117], v108 offset0:47 offset1:48
	v_pk_add_f32 v[18:19], v[18:19], v[118:119] neg_lo:[0,1] neg_hi:[0,1]
	s_wait_dscnt 0x0
	v_pk_mul_f32 v[118:119], v[114:115], v[104:105] op_sel:[0,1]
	v_pk_mul_f32 v[104:105], v[116:117], v[104:105] op_sel:[0,1]
	s_delay_alu instid0(VALU_DEP_2) | instskip(SKIP_1) | instid1(VALU_DEP_1)
	v_pk_fma_f32 v[120:121], v[114:115], v[106:107], v[118:119] op_sel:[0,0,1] op_sel_hi:[1,1,0] neg_lo:[0,0,1] neg_hi:[0,0,1]
	v_pk_fma_f32 v[114:115], v[114:115], v[106:107], v[118:119] op_sel:[0,0,1] op_sel_hi:[1,0,0]
	v_mov_b32_e32 v121, v115
	s_delay_alu instid0(VALU_DEP_4) | instskip(SKIP_1) | instid1(VALU_DEP_1)
	v_pk_fma_f32 v[114:115], v[116:117], v[106:107], v[104:105] op_sel:[0,0,1] op_sel_hi:[1,1,0] neg_lo:[0,0,1] neg_hi:[0,0,1]
	v_pk_fma_f32 v[104:105], v[116:117], v[106:107], v[104:105] op_sel:[0,0,1] op_sel_hi:[1,0,0]
	v_mov_b32_e32 v115, v105
	s_delay_alu instid0(VALU_DEP_4) | instskip(NEXT) | instid1(VALU_DEP_2)
	v_pk_add_f32 v[16:17], v[16:17], v[120:121] neg_lo:[0,1] neg_hi:[0,1]
	v_pk_add_f32 v[102:103], v[102:103], v[114:115] neg_lo:[0,1] neg_hi:[0,1]
.LBB96_692:
	s_or_b32 exec_lo, exec_lo, s0
	v_lshl_add_u32 v104, v112, 3, v108
	s_barrier_signal -1
	s_barrier_wait -1
	ds_store_b64 v104, v[32:33]
	s_wait_dscnt 0x0
	s_barrier_signal -1
	s_barrier_wait -1
	ds_load_b64 v[104:105], v108 offset:264
	v_mov_b32_e32 v106, 33
	s_cmp_lt_i32 s18, 35
	s_cbranch_scc1 .LBB96_695
; %bb.693:
	v_add3_u32 v107, v109, 0, 0x110
	v_mov_b32_e32 v106, 33
	s_mov_b32 s0, 34
.LBB96_694:                             ; =>This Inner Loop Header: Depth=1
	ds_load_b64 v[114:115], v107
	s_wait_dscnt 0x1
	v_cmp_gt_f32_e32 vcc_lo, 0, v104
	v_cndmask_b32_e64 v116, v104, -v104, vcc_lo
	v_cmp_gt_f32_e32 vcc_lo, 0, v105
	v_cndmask_b32_e64 v118, v105, -v105, vcc_lo
	s_wait_dscnt 0x0
	v_cmp_gt_f32_e32 vcc_lo, 0, v114
	v_cndmask_b32_e64 v117, v114, -v114, vcc_lo
	v_cmp_gt_f32_e32 vcc_lo, 0, v115
	v_cndmask_b32_e64 v119, v115, -v115, vcc_lo
	s_delay_alu instid0(VALU_DEP_1) | instskip(NEXT) | instid1(VALU_DEP_1)
	v_pk_add_f32 v[116:117], v[116:117], v[118:119]
	v_cmp_lt_f32_e32 vcc_lo, v116, v117
	v_dual_cndmask_b32 v104, v104, v114 :: v_dual_add_nc_u32 v107, 8, v107
	v_cndmask_b32_e32 v105, v105, v115, vcc_lo
	v_cndmask_b32_e64 v106, v106, s0, vcc_lo
	s_add_co_i32 s0, s0, 1
	s_delay_alu instid0(SALU_CYCLE_1)
	s_cmp_lg_u32 s18, s0
	s_cbranch_scc1 .LBB96_694
.LBB96_695:
	s_wait_dscnt 0x0
	v_cmp_eq_f32_e32 vcc_lo, 0, v104
	v_cmp_eq_f32_e64 s0, 0, v105
	s_and_b32 s0, vcc_lo, s0
	s_delay_alu instid0(SALU_CYCLE_1) | instskip(NEXT) | instid1(SALU_CYCLE_1)
	s_and_saveexec_b32 s1, s0
	s_xor_b32 s0, exec_lo, s1
; %bb.696:
	v_cmp_ne_u32_e32 vcc_lo, 0, v110
	v_cndmask_b32_e32 v110, 34, v110, vcc_lo
; %bb.697:
	s_and_not1_saveexec_b32 s0, s0
	s_cbranch_execz .LBB96_703
; %bb.698:
	v_cmp_ngt_f32_e64 s1, |v104|, |v105|
	s_and_saveexec_b32 s12, s1
	s_delay_alu instid0(SALU_CYCLE_1)
	s_xor_b32 s1, exec_lo, s12
	s_cbranch_execz .LBB96_700
; %bb.699:
	v_div_scale_f32 v107, null, v105, v105, v104
	v_div_scale_f32 v115, vcc_lo, v104, v105, v104
	s_delay_alu instid0(VALU_DEP_2) | instskip(SKIP_1) | instid1(TRANS32_DEP_1)
	v_rcp_f32_e32 v113, v107
	v_nop
	v_fma_f32 v114, -v107, v113, 1.0
	s_delay_alu instid0(VALU_DEP_1) | instskip(NEXT) | instid1(VALU_DEP_1)
	v_fmac_f32_e32 v113, v114, v113
	v_mul_f32_e32 v114, v115, v113
	s_delay_alu instid0(VALU_DEP_1) | instskip(NEXT) | instid1(VALU_DEP_1)
	v_fma_f32 v116, -v107, v114, v115
	v_fmac_f32_e32 v114, v116, v113
	s_delay_alu instid0(VALU_DEP_1) | instskip(NEXT) | instid1(VALU_DEP_1)
	v_fma_f32 v107, -v107, v114, v115
	v_div_fmas_f32 v107, v107, v113, v114
	s_delay_alu instid0(VALU_DEP_1) | instskip(NEXT) | instid1(VALU_DEP_1)
	v_div_fixup_f32 v107, v107, v105, v104
	v_fmac_f32_e32 v105, v104, v107
	s_delay_alu instid0(VALU_DEP_1) | instskip(SKIP_1) | instid1(VALU_DEP_2)
	v_div_scale_f32 v104, null, v105, v105, 1.0
	v_div_scale_f32 v115, vcc_lo, 1.0, v105, 1.0
	v_rcp_f32_e32 v113, v104
	v_nop
	s_delay_alu instid0(TRANS32_DEP_1) | instskip(NEXT) | instid1(VALU_DEP_1)
	v_fma_f32 v114, -v104, v113, 1.0
	v_fmac_f32_e32 v113, v114, v113
	s_delay_alu instid0(VALU_DEP_1) | instskip(NEXT) | instid1(VALU_DEP_1)
	v_mul_f32_e32 v114, v115, v113
	v_fma_f32 v116, -v104, v114, v115
	s_delay_alu instid0(VALU_DEP_1) | instskip(NEXT) | instid1(VALU_DEP_1)
	v_fmac_f32_e32 v114, v116, v113
	v_fma_f32 v104, -v104, v114, v115
	s_delay_alu instid0(VALU_DEP_1) | instskip(NEXT) | instid1(VALU_DEP_1)
	v_div_fmas_f32 v104, v104, v113, v114
	v_div_fixup_f32 v105, v104, v105, 1.0
	s_delay_alu instid0(VALU_DEP_1)
	v_mul_f32_e32 v104, v107, v105
	v_xor_b32_e32 v105, 0x80000000, v105
.LBB96_700:
	s_and_not1_saveexec_b32 s1, s1
	s_cbranch_execz .LBB96_702
; %bb.701:
	s_delay_alu instid0(VALU_DEP_1) | instskip(SKIP_1) | instid1(VALU_DEP_2)
	v_div_scale_f32 v107, null, v104, v104, v105
	v_div_scale_f32 v115, vcc_lo, v105, v104, v105
	v_rcp_f32_e32 v113, v107
	v_nop
	s_delay_alu instid0(TRANS32_DEP_1) | instskip(NEXT) | instid1(VALU_DEP_1)
	v_fma_f32 v114, -v107, v113, 1.0
	v_fmac_f32_e32 v113, v114, v113
	s_delay_alu instid0(VALU_DEP_1) | instskip(NEXT) | instid1(VALU_DEP_1)
	v_mul_f32_e32 v114, v115, v113
	v_fma_f32 v116, -v107, v114, v115
	s_delay_alu instid0(VALU_DEP_1) | instskip(NEXT) | instid1(VALU_DEP_1)
	v_fmac_f32_e32 v114, v116, v113
	v_fma_f32 v107, -v107, v114, v115
	s_delay_alu instid0(VALU_DEP_1) | instskip(NEXT) | instid1(VALU_DEP_1)
	v_div_fmas_f32 v107, v107, v113, v114
	v_div_fixup_f32 v107, v107, v104, v105
	s_delay_alu instid0(VALU_DEP_1) | instskip(NEXT) | instid1(VALU_DEP_1)
	v_fmac_f32_e32 v104, v105, v107
	v_div_scale_f32 v105, null, v104, v104, 1.0
	s_delay_alu instid0(VALU_DEP_1) | instskip(SKIP_1) | instid1(TRANS32_DEP_1)
	v_rcp_f32_e32 v113, v105
	v_nop
	v_fma_f32 v114, -v105, v113, 1.0
	s_delay_alu instid0(VALU_DEP_1) | instskip(SKIP_1) | instid1(VALU_DEP_1)
	v_fmac_f32_e32 v113, v114, v113
	v_div_scale_f32 v114, vcc_lo, 1.0, v104, 1.0
	v_mul_f32_e32 v115, v114, v113
	s_delay_alu instid0(VALU_DEP_1) | instskip(NEXT) | instid1(VALU_DEP_1)
	v_fma_f32 v116, -v105, v115, v114
	v_fmac_f32_e32 v115, v116, v113
	s_delay_alu instid0(VALU_DEP_1) | instskip(NEXT) | instid1(VALU_DEP_1)
	v_fma_f32 v105, -v105, v115, v114
	v_div_fmas_f32 v105, v105, v113, v115
	s_delay_alu instid0(VALU_DEP_1) | instskip(NEXT) | instid1(VALU_DEP_1)
	v_div_fixup_f32 v104, v105, v104, 1.0
	v_mul_f32_e64 v105, v107, -v104
.LBB96_702:
	s_or_b32 exec_lo, exec_lo, s1
.LBB96_703:
	s_delay_alu instid0(SALU_CYCLE_1) | instskip(NEXT) | instid1(SALU_CYCLE_1)
	s_or_b32 exec_lo, exec_lo, s0
	s_mov_b32 s0, exec_lo
	v_cmpx_ne_u32_e64 v112, v106
	s_xor_b32 s0, exec_lo, s0
	s_cbranch_execz .LBB96_709
; %bb.704:
	s_mov_b32 s1, exec_lo
	v_cmpx_eq_u32_e32 33, v112
	s_cbranch_execz .LBB96_708
; %bb.705:
	v_cmp_ne_u32_e32 vcc_lo, 33, v106
	s_xor_b32 s12, s16, -1
	s_delay_alu instid0(SALU_CYCLE_1) | instskip(NEXT) | instid1(SALU_CYCLE_1)
	s_and_b32 s13, s12, vcc_lo
	s_and_saveexec_b32 s12, s13
	s_cbranch_execz .LBB96_707
; %bb.706:
	v_ashrrev_i32_e32 v107, 31, v106
	s_delay_alu instid0(VALU_DEP_1)
	v_lshl_add_u64 v[112:113], v[106:107], 2, v[4:5]
	s_clause 0x1
	global_load_b32 v107, v[112:113], off
	global_load_b32 v111, v[4:5], off offset:132
	s_wait_loadcnt 0x1
	global_store_b32 v[4:5], v107, off offset:132
	s_wait_loadcnt 0x0
	global_store_b32 v[112:113], v111, off
.LBB96_707:
	s_wait_xcnt 0x0
	s_or_b32 exec_lo, exec_lo, s12
	v_dual_mov_b32 v112, v106 :: v_dual_mov_b32 v111, v106
.LBB96_708:
	s_or_b32 exec_lo, exec_lo, s1
.LBB96_709:
	s_and_not1_saveexec_b32 s0, s0
	s_cbranch_execz .LBB96_711
; %bb.710:
	v_dual_mov_b32 v106, v34 :: v_dual_mov_b32 v107, v35
	v_dual_mov_b32 v112, v30 :: v_dual_mov_b32 v113, v31
	ds_store_2addr_b64 v108, v[106:107], v[112:113] offset0:34 offset1:35
	v_dual_mov_b32 v106, v26 :: v_dual_mov_b32 v107, v27
	v_dual_mov_b32 v112, v22 :: v_dual_mov_b32 v113, v23
	ds_store_2addr_b64 v108, v[106:107], v[112:113] offset0:36 offset1:37
	;; [unrolled: 3-line block ×7, first 2 shown]
	ds_store_b64 v108, v[102:103] offset:384
	v_mov_b32_e32 v112, 33
.LBB96_711:
	s_or_b32 exec_lo, exec_lo, s0
	s_delay_alu instid0(SALU_CYCLE_1)
	s_mov_b32 s0, exec_lo
	s_wait_storecnt_dscnt 0x0
	s_barrier_signal -1
	s_barrier_wait -1
	v_cmpx_lt_i32_e32 33, v112
	s_cbranch_execz .LBB96_713
; %bb.712:
	v_pk_mul_f32 v[114:115], v[104:105], v[32:33] op_sel:[1,1] op_sel_hi:[0,1]
	s_delay_alu instid0(VALU_DEP_1)
	v_pk_fma_f32 v[106:107], v[104:105], v[32:33], v[114:115] op_sel_hi:[1,0,1] neg_lo:[0,0,1] neg_hi:[0,0,1]
	v_pk_fma_f32 v[104:105], v[104:105], v[32:33], v[114:115] op_sel_hi:[1,0,1]
	ds_load_2addr_b64 v[114:117], v108 offset0:34 offset1:35
	v_dual_mov_b32 v32, v106 :: v_dual_mov_b32 v33, v105
	s_wait_dscnt 0x0
	v_pk_mul_f32 v[118:119], v[114:115], v[104:105] op_sel:[0,1]
	s_delay_alu instid0(VALU_DEP_1) | instskip(SKIP_1) | instid1(VALU_DEP_1)
	v_pk_fma_f32 v[120:121], v[114:115], v[106:107], v[118:119] op_sel:[0,0,1] op_sel_hi:[1,1,0] neg_lo:[0,0,1] neg_hi:[0,0,1]
	v_pk_fma_f32 v[114:115], v[114:115], v[106:107], v[118:119] op_sel:[0,0,1] op_sel_hi:[1,0,0]
	v_mov_b32_e32 v121, v115
	v_pk_mul_f32 v[114:115], v[116:117], v[104:105] op_sel:[0,1]
	s_delay_alu instid0(VALU_DEP_1) | instskip(SKIP_1) | instid1(VALU_DEP_1)
	v_pk_fma_f32 v[118:119], v[116:117], v[106:107], v[114:115] op_sel:[0,0,1] op_sel_hi:[1,1,0] neg_lo:[0,0,1] neg_hi:[0,0,1]
	v_pk_fma_f32 v[114:115], v[116:117], v[106:107], v[114:115] op_sel:[0,0,1] op_sel_hi:[1,0,0]
	v_mov_b32_e32 v119, v115
	ds_load_2addr_b64 v[114:117], v108 offset0:36 offset1:37
	v_pk_add_f32 v[34:35], v[34:35], v[120:121] neg_lo:[0,1] neg_hi:[0,1]
	v_pk_add_f32 v[30:31], v[30:31], v[118:119] neg_lo:[0,1] neg_hi:[0,1]
	s_wait_dscnt 0x0
	v_pk_mul_f32 v[118:119], v[114:115], v[104:105] op_sel:[0,1]
	s_delay_alu instid0(VALU_DEP_1) | instskip(SKIP_2) | instid1(VALU_DEP_2)
	v_pk_fma_f32 v[120:121], v[114:115], v[106:107], v[118:119] op_sel:[0,0,1] op_sel_hi:[1,1,0] neg_lo:[0,0,1] neg_hi:[0,0,1]
	v_pk_fma_f32 v[114:115], v[114:115], v[106:107], v[118:119] op_sel:[0,0,1] op_sel_hi:[1,0,0]
	v_dual_mul_f32 v118, v117, v105 :: v_dual_mov_b32 v114, v117
	v_dual_mov_b32 v121, v115 :: v_dual_mov_b32 v115, v116
	s_delay_alu instid0(VALU_DEP_2) | instskip(SKIP_1) | instid1(VALU_DEP_3)
	v_pk_fma_f32 v[118:119], v[116:117], v[32:33], v[118:119] op_sel_hi:[1,1,0] neg_lo:[0,0,1] neg_hi:[0,0,1]
	v_mul_f32_e32 v116, v117, v106
	v_pk_add_f32 v[26:27], v[26:27], v[120:121] neg_lo:[0,1] neg_hi:[0,1]
	s_delay_alu instid0(VALU_DEP_2) | instskip(NEXT) | instid1(VALU_DEP_1)
	v_pk_fma_f32 v[114:115], v[114:115], v[32:33], v[116:117] op_sel_hi:[1,1,0]
	v_mov_b32_e32 v119, v115
	ds_load_2addr_b64 v[114:117], v108 offset0:38 offset1:39
	v_pk_add_f32 v[22:23], v[22:23], v[118:119] neg_lo:[0,1] neg_hi:[0,1]
	s_wait_dscnt 0x0
	v_pk_mul_f32 v[118:119], v[114:115], v[104:105] op_sel:[0,1]
	s_delay_alu instid0(VALU_DEP_1) | instskip(SKIP_1) | instid1(VALU_DEP_1)
	v_pk_fma_f32 v[120:121], v[114:115], v[106:107], v[118:119] op_sel:[0,0,1] op_sel_hi:[1,1,0] neg_lo:[0,0,1] neg_hi:[0,0,1]
	v_pk_fma_f32 v[114:115], v[114:115], v[106:107], v[118:119] op_sel:[0,0,1] op_sel_hi:[1,0,0]
	v_mov_b32_e32 v121, v115
	v_pk_mul_f32 v[114:115], v[116:117], v[104:105] op_sel:[0,1]
	s_delay_alu instid0(VALU_DEP_1) | instskip(SKIP_1) | instid1(VALU_DEP_1)
	v_pk_fma_f32 v[118:119], v[116:117], v[106:107], v[114:115] op_sel:[0,0,1] op_sel_hi:[1,1,0] neg_lo:[0,0,1] neg_hi:[0,0,1]
	v_pk_fma_f32 v[114:115], v[116:117], v[106:107], v[114:115] op_sel:[0,0,1] op_sel_hi:[1,0,0]
	v_mov_b32_e32 v119, v115
	ds_load_2addr_b64 v[114:117], v108 offset0:40 offset1:41
	v_pk_add_f32 v[24:25], v[24:25], v[120:121] neg_lo:[0,1] neg_hi:[0,1]
	v_pk_add_f32 v[20:21], v[20:21], v[118:119] neg_lo:[0,1] neg_hi:[0,1]
	s_wait_dscnt 0x0
	v_pk_mul_f32 v[118:119], v[114:115], v[104:105] op_sel:[0,1]
	s_delay_alu instid0(VALU_DEP_1) | instskip(SKIP_1) | instid1(VALU_DEP_1)
	v_pk_fma_f32 v[120:121], v[114:115], v[106:107], v[118:119] op_sel:[0,0,1] op_sel_hi:[1,1,0] neg_lo:[0,0,1] neg_hi:[0,0,1]
	v_pk_fma_f32 v[114:115], v[114:115], v[106:107], v[118:119] op_sel:[0,0,1] op_sel_hi:[1,0,0]
	v_mov_b32_e32 v121, v115
	v_pk_mul_f32 v[114:115], v[116:117], v[104:105] op_sel:[0,1]
	s_delay_alu instid0(VALU_DEP_1) | instskip(SKIP_1) | instid1(VALU_DEP_1)
	v_pk_fma_f32 v[118:119], v[116:117], v[106:107], v[114:115] op_sel:[0,0,1] op_sel_hi:[1,1,0] neg_lo:[0,0,1] neg_hi:[0,0,1]
	v_pk_fma_f32 v[114:115], v[116:117], v[106:107], v[114:115] op_sel:[0,0,1] op_sel_hi:[1,0,0]
	v_mov_b32_e32 v119, v115
	ds_load_2addr_b64 v[114:117], v108 offset0:42 offset1:43
	v_pk_add_f32 v[14:15], v[14:15], v[120:121] neg_lo:[0,1] neg_hi:[0,1]
	v_pk_add_f32 v[10:11], v[10:11], v[118:119] neg_lo:[0,1] neg_hi:[0,1]
	s_wait_dscnt 0x0
	v_dual_mul_f32 v118, v115, v105 :: v_dual_mul_f32 v120, v115, v106
	s_delay_alu instid0(VALU_DEP_1) | instskip(NEXT) | instid1(VALU_DEP_2)
	v_pk_fma_f32 v[118:119], v[114:115], v[32:33], v[118:119] op_sel_hi:[1,1,0] neg_lo:[0,0,1] neg_hi:[0,0,1]
	v_pk_fma_f32 v[114:115], v[114:115], v[32:33], v[120:121] op_sel:[1,0,0] op_sel_hi:[0,1,0]
	s_delay_alu instid0(VALU_DEP_1) | instskip(SKIP_1) | instid1(VALU_DEP_2)
	v_mov_b32_e32 v119, v115
	v_pk_mul_f32 v[114:115], v[116:117], v[104:105] op_sel:[0,1]
	v_pk_add_f32 v[12:13], v[12:13], v[118:119] neg_lo:[0,1] neg_hi:[0,1]
	s_delay_alu instid0(VALU_DEP_2) | instskip(SKIP_1) | instid1(VALU_DEP_1)
	v_pk_fma_f32 v[118:119], v[116:117], v[106:107], v[114:115] op_sel:[0,0,1] op_sel_hi:[1,1,0] neg_lo:[0,0,1] neg_hi:[0,0,1]
	v_pk_fma_f32 v[114:115], v[116:117], v[106:107], v[114:115] op_sel:[0,0,1] op_sel_hi:[1,0,0]
	v_mov_b32_e32 v119, v115
	ds_load_2addr_b64 v[114:117], v108 offset0:44 offset1:45
	v_pk_add_f32 v[8:9], v[8:9], v[118:119] neg_lo:[0,1] neg_hi:[0,1]
	s_wait_dscnt 0x0
	v_pk_mul_f32 v[118:119], v[114:115], v[104:105] op_sel:[0,1]
	s_delay_alu instid0(VALU_DEP_1) | instskip(SKIP_1) | instid1(VALU_DEP_1)
	v_pk_fma_f32 v[120:121], v[114:115], v[106:107], v[118:119] op_sel:[0,0,1] op_sel_hi:[1,1,0] neg_lo:[0,0,1] neg_hi:[0,0,1]
	v_pk_fma_f32 v[114:115], v[114:115], v[106:107], v[118:119] op_sel:[0,0,1] op_sel_hi:[1,0,0]
	v_mov_b32_e32 v121, v115
	v_pk_mul_f32 v[114:115], v[116:117], v[104:105] op_sel:[0,1]
	s_delay_alu instid0(VALU_DEP_2) | instskip(NEXT) | instid1(VALU_DEP_2)
	v_pk_add_f32 v[6:7], v[6:7], v[120:121] neg_lo:[0,1] neg_hi:[0,1]
	v_pk_fma_f32 v[118:119], v[116:117], v[106:107], v[114:115] op_sel:[0,0,1] op_sel_hi:[1,1,0] neg_lo:[0,0,1] neg_hi:[0,0,1]
	v_pk_fma_f32 v[114:115], v[116:117], v[106:107], v[114:115] op_sel:[0,0,1] op_sel_hi:[1,0,0]
	s_delay_alu instid0(VALU_DEP_1) | instskip(SKIP_4) | instid1(VALU_DEP_1)
	v_mov_b32_e32 v119, v115
	ds_load_2addr_b64 v[114:117], v108 offset0:46 offset1:47
	v_pk_add_f32 v[28:29], v[28:29], v[118:119] neg_lo:[0,1] neg_hi:[0,1]
	s_wait_dscnt 0x0
	v_pk_mul_f32 v[118:119], v[114:115], v[104:105] op_sel:[0,1]
	v_pk_fma_f32 v[120:121], v[114:115], v[106:107], v[118:119] op_sel:[0,0,1] op_sel_hi:[1,1,0] neg_lo:[0,0,1] neg_hi:[0,0,1]
	v_pk_fma_f32 v[114:115], v[114:115], v[106:107], v[118:119] op_sel:[0,0,1] op_sel_hi:[1,0,0]
	v_dual_mul_f32 v118, v117, v105 :: v_dual_mov_b32 v114, v117
	s_delay_alu instid0(VALU_DEP_2) | instskip(NEXT) | instid1(VALU_DEP_2)
	v_dual_mov_b32 v121, v115 :: v_dual_mov_b32 v115, v116
	v_pk_fma_f32 v[118:119], v[116:117], v[32:33], v[118:119] op_sel_hi:[1,1,0] neg_lo:[0,0,1] neg_hi:[0,0,1]
	v_mul_f32_e32 v116, v117, v106
	s_delay_alu instid0(VALU_DEP_3) | instskip(NEXT) | instid1(VALU_DEP_2)
	v_pk_add_f32 v[18:19], v[18:19], v[120:121] neg_lo:[0,1] neg_hi:[0,1]
	v_pk_fma_f32 v[114:115], v[114:115], v[32:33], v[116:117] op_sel_hi:[1,1,0]
	s_delay_alu instid0(VALU_DEP_1) | instskip(SKIP_4) | instid1(VALU_DEP_1)
	v_mov_b32_e32 v119, v115
	ds_load_b64 v[114:115], v108 offset:384
	v_pk_add_f32 v[16:17], v[16:17], v[118:119] neg_lo:[0,1] neg_hi:[0,1]
	s_wait_dscnt 0x0
	v_pk_mul_f32 v[104:105], v[114:115], v[104:105] op_sel:[0,1]
	v_pk_fma_f32 v[116:117], v[114:115], v[106:107], v[104:105] op_sel:[0,0,1] op_sel_hi:[1,1,0] neg_lo:[0,0,1] neg_hi:[0,0,1]
	v_pk_fma_f32 v[104:105], v[114:115], v[106:107], v[104:105] op_sel:[0,0,1] op_sel_hi:[1,0,0]
	s_delay_alu instid0(VALU_DEP_1) | instskip(NEXT) | instid1(VALU_DEP_1)
	v_mov_b32_e32 v117, v105
	v_pk_add_f32 v[102:103], v[102:103], v[116:117] neg_lo:[0,1] neg_hi:[0,1]
.LBB96_713:
	s_or_b32 exec_lo, exec_lo, s0
	v_lshl_add_u32 v104, v112, 3, v108
	s_barrier_signal -1
	s_barrier_wait -1
	ds_store_b64 v104, v[34:35]
	s_wait_dscnt 0x0
	s_barrier_signal -1
	s_barrier_wait -1
	ds_load_b64 v[104:105], v108 offset:272
	v_mov_b32_e32 v106, 34
	s_cmp_lt_i32 s18, 36
	s_cbranch_scc1 .LBB96_716
; %bb.714:
	v_add3_u32 v107, v109, 0, 0x118
	v_mov_b32_e32 v106, 34
	s_mov_b32 s0, 35
.LBB96_715:                             ; =>This Inner Loop Header: Depth=1
	ds_load_b64 v[114:115], v107
	s_wait_dscnt 0x1
	v_cmp_gt_f32_e32 vcc_lo, 0, v104
	v_cndmask_b32_e64 v116, v104, -v104, vcc_lo
	v_cmp_gt_f32_e32 vcc_lo, 0, v105
	v_cndmask_b32_e64 v118, v105, -v105, vcc_lo
	s_wait_dscnt 0x0
	v_cmp_gt_f32_e32 vcc_lo, 0, v114
	v_cndmask_b32_e64 v117, v114, -v114, vcc_lo
	v_cmp_gt_f32_e32 vcc_lo, 0, v115
	v_cndmask_b32_e64 v119, v115, -v115, vcc_lo
	s_delay_alu instid0(VALU_DEP_1) | instskip(NEXT) | instid1(VALU_DEP_1)
	v_pk_add_f32 v[116:117], v[116:117], v[118:119]
	v_cmp_lt_f32_e32 vcc_lo, v116, v117
	v_dual_cndmask_b32 v104, v104, v114 :: v_dual_add_nc_u32 v107, 8, v107
	v_cndmask_b32_e32 v105, v105, v115, vcc_lo
	v_cndmask_b32_e64 v106, v106, s0, vcc_lo
	s_add_co_i32 s0, s0, 1
	s_delay_alu instid0(SALU_CYCLE_1)
	s_cmp_lg_u32 s18, s0
	s_cbranch_scc1 .LBB96_715
.LBB96_716:
	s_wait_dscnt 0x0
	v_cmp_eq_f32_e32 vcc_lo, 0, v104
	v_cmp_eq_f32_e64 s0, 0, v105
	s_and_b32 s0, vcc_lo, s0
	s_delay_alu instid0(SALU_CYCLE_1) | instskip(NEXT) | instid1(SALU_CYCLE_1)
	s_and_saveexec_b32 s1, s0
	s_xor_b32 s0, exec_lo, s1
; %bb.717:
	v_cmp_ne_u32_e32 vcc_lo, 0, v110
	v_cndmask_b32_e32 v110, 35, v110, vcc_lo
; %bb.718:
	s_and_not1_saveexec_b32 s0, s0
	s_cbranch_execz .LBB96_724
; %bb.719:
	v_cmp_ngt_f32_e64 s1, |v104|, |v105|
	s_and_saveexec_b32 s12, s1
	s_delay_alu instid0(SALU_CYCLE_1)
	s_xor_b32 s1, exec_lo, s12
	s_cbranch_execz .LBB96_721
; %bb.720:
	v_div_scale_f32 v107, null, v105, v105, v104
	v_div_scale_f32 v115, vcc_lo, v104, v105, v104
	s_delay_alu instid0(VALU_DEP_2) | instskip(SKIP_1) | instid1(TRANS32_DEP_1)
	v_rcp_f32_e32 v113, v107
	v_nop
	v_fma_f32 v114, -v107, v113, 1.0
	s_delay_alu instid0(VALU_DEP_1) | instskip(NEXT) | instid1(VALU_DEP_1)
	v_fmac_f32_e32 v113, v114, v113
	v_mul_f32_e32 v114, v115, v113
	s_delay_alu instid0(VALU_DEP_1) | instskip(NEXT) | instid1(VALU_DEP_1)
	v_fma_f32 v116, -v107, v114, v115
	v_fmac_f32_e32 v114, v116, v113
	s_delay_alu instid0(VALU_DEP_1) | instskip(NEXT) | instid1(VALU_DEP_1)
	v_fma_f32 v107, -v107, v114, v115
	v_div_fmas_f32 v107, v107, v113, v114
	s_delay_alu instid0(VALU_DEP_1) | instskip(NEXT) | instid1(VALU_DEP_1)
	v_div_fixup_f32 v107, v107, v105, v104
	v_fmac_f32_e32 v105, v104, v107
	s_delay_alu instid0(VALU_DEP_1) | instskip(SKIP_1) | instid1(VALU_DEP_2)
	v_div_scale_f32 v104, null, v105, v105, 1.0
	v_div_scale_f32 v115, vcc_lo, 1.0, v105, 1.0
	v_rcp_f32_e32 v113, v104
	v_nop
	s_delay_alu instid0(TRANS32_DEP_1) | instskip(NEXT) | instid1(VALU_DEP_1)
	v_fma_f32 v114, -v104, v113, 1.0
	v_fmac_f32_e32 v113, v114, v113
	s_delay_alu instid0(VALU_DEP_1) | instskip(NEXT) | instid1(VALU_DEP_1)
	v_mul_f32_e32 v114, v115, v113
	v_fma_f32 v116, -v104, v114, v115
	s_delay_alu instid0(VALU_DEP_1) | instskip(NEXT) | instid1(VALU_DEP_1)
	v_fmac_f32_e32 v114, v116, v113
	v_fma_f32 v104, -v104, v114, v115
	s_delay_alu instid0(VALU_DEP_1) | instskip(NEXT) | instid1(VALU_DEP_1)
	v_div_fmas_f32 v104, v104, v113, v114
	v_div_fixup_f32 v105, v104, v105, 1.0
	s_delay_alu instid0(VALU_DEP_1)
	v_mul_f32_e32 v104, v107, v105
	v_xor_b32_e32 v105, 0x80000000, v105
.LBB96_721:
	s_and_not1_saveexec_b32 s1, s1
	s_cbranch_execz .LBB96_723
; %bb.722:
	s_delay_alu instid0(VALU_DEP_1) | instskip(SKIP_1) | instid1(VALU_DEP_2)
	v_div_scale_f32 v107, null, v104, v104, v105
	v_div_scale_f32 v115, vcc_lo, v105, v104, v105
	v_rcp_f32_e32 v113, v107
	v_nop
	s_delay_alu instid0(TRANS32_DEP_1) | instskip(NEXT) | instid1(VALU_DEP_1)
	v_fma_f32 v114, -v107, v113, 1.0
	v_fmac_f32_e32 v113, v114, v113
	s_delay_alu instid0(VALU_DEP_1) | instskip(NEXT) | instid1(VALU_DEP_1)
	v_mul_f32_e32 v114, v115, v113
	v_fma_f32 v116, -v107, v114, v115
	s_delay_alu instid0(VALU_DEP_1) | instskip(NEXT) | instid1(VALU_DEP_1)
	v_fmac_f32_e32 v114, v116, v113
	v_fma_f32 v107, -v107, v114, v115
	s_delay_alu instid0(VALU_DEP_1) | instskip(NEXT) | instid1(VALU_DEP_1)
	v_div_fmas_f32 v107, v107, v113, v114
	v_div_fixup_f32 v107, v107, v104, v105
	s_delay_alu instid0(VALU_DEP_1) | instskip(NEXT) | instid1(VALU_DEP_1)
	v_fmac_f32_e32 v104, v105, v107
	v_div_scale_f32 v105, null, v104, v104, 1.0
	s_delay_alu instid0(VALU_DEP_1) | instskip(SKIP_1) | instid1(TRANS32_DEP_1)
	v_rcp_f32_e32 v113, v105
	v_nop
	v_fma_f32 v114, -v105, v113, 1.0
	s_delay_alu instid0(VALU_DEP_1) | instskip(SKIP_1) | instid1(VALU_DEP_1)
	v_fmac_f32_e32 v113, v114, v113
	v_div_scale_f32 v114, vcc_lo, 1.0, v104, 1.0
	v_mul_f32_e32 v115, v114, v113
	s_delay_alu instid0(VALU_DEP_1) | instskip(NEXT) | instid1(VALU_DEP_1)
	v_fma_f32 v116, -v105, v115, v114
	v_fmac_f32_e32 v115, v116, v113
	s_delay_alu instid0(VALU_DEP_1) | instskip(NEXT) | instid1(VALU_DEP_1)
	v_fma_f32 v105, -v105, v115, v114
	v_div_fmas_f32 v105, v105, v113, v115
	s_delay_alu instid0(VALU_DEP_1) | instskip(NEXT) | instid1(VALU_DEP_1)
	v_div_fixup_f32 v104, v105, v104, 1.0
	v_mul_f32_e64 v105, v107, -v104
.LBB96_723:
	s_or_b32 exec_lo, exec_lo, s1
.LBB96_724:
	s_delay_alu instid0(SALU_CYCLE_1) | instskip(NEXT) | instid1(SALU_CYCLE_1)
	s_or_b32 exec_lo, exec_lo, s0
	s_mov_b32 s0, exec_lo
	v_cmpx_ne_u32_e64 v112, v106
	s_xor_b32 s0, exec_lo, s0
	s_cbranch_execz .LBB96_730
; %bb.725:
	s_mov_b32 s1, exec_lo
	v_cmpx_eq_u32_e32 34, v112
	s_cbranch_execz .LBB96_729
; %bb.726:
	v_cmp_ne_u32_e32 vcc_lo, 34, v106
	s_xor_b32 s12, s16, -1
	s_delay_alu instid0(SALU_CYCLE_1) | instskip(NEXT) | instid1(SALU_CYCLE_1)
	s_and_b32 s13, s12, vcc_lo
	s_and_saveexec_b32 s12, s13
	s_cbranch_execz .LBB96_728
; %bb.727:
	v_ashrrev_i32_e32 v107, 31, v106
	s_delay_alu instid0(VALU_DEP_1)
	v_lshl_add_u64 v[112:113], v[106:107], 2, v[4:5]
	s_clause 0x1
	global_load_b32 v107, v[112:113], off
	global_load_b32 v111, v[4:5], off offset:136
	s_wait_loadcnt 0x1
	global_store_b32 v[4:5], v107, off offset:136
	s_wait_loadcnt 0x0
	global_store_b32 v[112:113], v111, off
.LBB96_728:
	s_wait_xcnt 0x0
	s_or_b32 exec_lo, exec_lo, s12
	v_dual_mov_b32 v112, v106 :: v_dual_mov_b32 v111, v106
.LBB96_729:
	s_or_b32 exec_lo, exec_lo, s1
.LBB96_730:
	s_and_not1_saveexec_b32 s0, s0
	s_cbranch_execz .LBB96_732
; %bb.731:
	v_mov_b32_e32 v112, 34
	ds_store_2addr_b64 v108, v[30:31], v[26:27] offset0:35 offset1:36
	ds_store_2addr_b64 v108, v[22:23], v[24:25] offset0:37 offset1:38
	;; [unrolled: 1-line block ×7, first 2 shown]
.LBB96_732:
	s_or_b32 exec_lo, exec_lo, s0
	s_delay_alu instid0(SALU_CYCLE_1)
	s_mov_b32 s0, exec_lo
	s_wait_storecnt_dscnt 0x0
	s_barrier_signal -1
	s_barrier_wait -1
	v_cmpx_lt_i32_e32 34, v112
	s_cbranch_execz .LBB96_734
; %bb.733:
	v_pk_mul_f32 v[106:107], v[104:105], v[34:35] op_sel:[1,1] op_sel_hi:[0,1]
	s_delay_alu instid0(VALU_DEP_1)
	v_pk_fma_f32 v[114:115], v[104:105], v[34:35], v[106:107] op_sel_hi:[1,0,1] neg_lo:[0,0,1] neg_hi:[0,0,1]
	v_pk_fma_f32 v[116:117], v[104:105], v[34:35], v[106:107] op_sel_hi:[1,0,1]
	ds_load_2addr_b64 v[104:107], v108 offset0:35 offset1:36
	v_dual_mov_b32 v34, v114 :: v_dual_mov_b32 v35, v117
	s_wait_dscnt 0x0
	v_pk_mul_f32 v[118:119], v[104:105], v[116:117] op_sel:[0,1]
	s_delay_alu instid0(VALU_DEP_1) | instskip(SKIP_1) | instid1(VALU_DEP_1)
	v_pk_fma_f32 v[120:121], v[104:105], v[114:115], v[118:119] op_sel:[0,0,1] op_sel_hi:[1,1,0] neg_lo:[0,0,1] neg_hi:[0,0,1]
	v_pk_fma_f32 v[104:105], v[104:105], v[114:115], v[118:119] op_sel:[0,0,1] op_sel_hi:[1,0,0]
	v_mov_b32_e32 v121, v105
	v_pk_mul_f32 v[104:105], v[106:107], v[116:117] op_sel:[0,1]
	s_delay_alu instid0(VALU_DEP_1) | instskip(SKIP_1) | instid1(VALU_DEP_1)
	v_pk_fma_f32 v[118:119], v[106:107], v[114:115], v[104:105] op_sel:[0,0,1] op_sel_hi:[1,1,0] neg_lo:[0,0,1] neg_hi:[0,0,1]
	v_pk_fma_f32 v[104:105], v[106:107], v[114:115], v[104:105] op_sel:[0,0,1] op_sel_hi:[1,0,0]
	v_mov_b32_e32 v119, v105
	ds_load_2addr_b64 v[104:107], v108 offset0:37 offset1:38
	v_pk_add_f32 v[30:31], v[30:31], v[120:121] neg_lo:[0,1] neg_hi:[0,1]
	v_pk_add_f32 v[26:27], v[26:27], v[118:119] neg_lo:[0,1] neg_hi:[0,1]
	s_wait_dscnt 0x0
	v_pk_mul_f32 v[118:119], v[104:105], v[116:117] op_sel:[0,1]
	s_delay_alu instid0(VALU_DEP_1) | instskip(SKIP_2) | instid1(VALU_DEP_2)
	v_pk_fma_f32 v[120:121], v[104:105], v[114:115], v[118:119] op_sel:[0,0,1] op_sel_hi:[1,1,0] neg_lo:[0,0,1] neg_hi:[0,0,1]
	v_pk_fma_f32 v[104:105], v[104:105], v[114:115], v[118:119] op_sel:[0,0,1] op_sel_hi:[1,0,0]
	v_dual_mul_f32 v118, v107, v117 :: v_dual_mov_b32 v104, v107
	v_dual_mov_b32 v121, v105 :: v_dual_mov_b32 v105, v106
	s_delay_alu instid0(VALU_DEP_2) | instskip(SKIP_1) | instid1(VALU_DEP_3)
	v_pk_fma_f32 v[118:119], v[106:107], v[34:35], v[118:119] op_sel_hi:[1,1,0] neg_lo:[0,0,1] neg_hi:[0,0,1]
	v_mul_f32_e32 v106, v107, v114
	v_pk_add_f32 v[22:23], v[22:23], v[120:121] neg_lo:[0,1] neg_hi:[0,1]
	s_delay_alu instid0(VALU_DEP_2) | instskip(NEXT) | instid1(VALU_DEP_1)
	v_pk_fma_f32 v[104:105], v[104:105], v[34:35], v[106:107] op_sel_hi:[1,1,0]
	v_mov_b32_e32 v119, v105
	ds_load_2addr_b64 v[104:107], v108 offset0:39 offset1:40
	v_pk_add_f32 v[24:25], v[24:25], v[118:119] neg_lo:[0,1] neg_hi:[0,1]
	s_wait_dscnt 0x0
	v_pk_mul_f32 v[118:119], v[104:105], v[116:117] op_sel:[0,1]
	s_delay_alu instid0(VALU_DEP_1) | instskip(SKIP_1) | instid1(VALU_DEP_1)
	v_pk_fma_f32 v[120:121], v[104:105], v[114:115], v[118:119] op_sel:[0,0,1] op_sel_hi:[1,1,0] neg_lo:[0,0,1] neg_hi:[0,0,1]
	v_pk_fma_f32 v[104:105], v[104:105], v[114:115], v[118:119] op_sel:[0,0,1] op_sel_hi:[1,0,0]
	v_mov_b32_e32 v121, v105
	v_pk_mul_f32 v[104:105], v[106:107], v[116:117] op_sel:[0,1]
	s_delay_alu instid0(VALU_DEP_1) | instskip(SKIP_1) | instid1(VALU_DEP_1)
	v_pk_fma_f32 v[118:119], v[106:107], v[114:115], v[104:105] op_sel:[0,0,1] op_sel_hi:[1,1,0] neg_lo:[0,0,1] neg_hi:[0,0,1]
	v_pk_fma_f32 v[104:105], v[106:107], v[114:115], v[104:105] op_sel:[0,0,1] op_sel_hi:[1,0,0]
	v_mov_b32_e32 v119, v105
	ds_load_2addr_b64 v[104:107], v108 offset0:41 offset1:42
	v_pk_add_f32 v[20:21], v[20:21], v[120:121] neg_lo:[0,1] neg_hi:[0,1]
	v_pk_add_f32 v[14:15], v[14:15], v[118:119] neg_lo:[0,1] neg_hi:[0,1]
	s_wait_dscnt 0x0
	v_pk_mul_f32 v[118:119], v[104:105], v[116:117] op_sel:[0,1]
	s_delay_alu instid0(VALU_DEP_1) | instskip(SKIP_1) | instid1(VALU_DEP_1)
	v_pk_fma_f32 v[120:121], v[104:105], v[114:115], v[118:119] op_sel:[0,0,1] op_sel_hi:[1,1,0] neg_lo:[0,0,1] neg_hi:[0,0,1]
	v_pk_fma_f32 v[104:105], v[104:105], v[114:115], v[118:119] op_sel:[0,0,1] op_sel_hi:[1,0,0]
	v_mov_b32_e32 v121, v105
	v_pk_mul_f32 v[104:105], v[106:107], v[116:117] op_sel:[0,1]
	s_delay_alu instid0(VALU_DEP_1) | instskip(SKIP_1) | instid1(VALU_DEP_1)
	v_pk_fma_f32 v[118:119], v[106:107], v[114:115], v[104:105] op_sel:[0,0,1] op_sel_hi:[1,1,0] neg_lo:[0,0,1] neg_hi:[0,0,1]
	v_pk_fma_f32 v[104:105], v[106:107], v[114:115], v[104:105] op_sel:[0,0,1] op_sel_hi:[1,0,0]
	v_mov_b32_e32 v119, v105
	ds_load_2addr_b64 v[104:107], v108 offset0:43 offset1:44
	v_pk_add_f32 v[10:11], v[10:11], v[120:121] neg_lo:[0,1] neg_hi:[0,1]
	v_pk_add_f32 v[12:13], v[12:13], v[118:119] neg_lo:[0,1] neg_hi:[0,1]
	s_wait_dscnt 0x0
	v_dual_mul_f32 v118, v105, v117 :: v_dual_mul_f32 v120, v105, v114
	s_delay_alu instid0(VALU_DEP_1) | instskip(NEXT) | instid1(VALU_DEP_2)
	v_pk_fma_f32 v[118:119], v[104:105], v[34:35], v[118:119] op_sel_hi:[1,1,0] neg_lo:[0,0,1] neg_hi:[0,0,1]
	v_pk_fma_f32 v[104:105], v[104:105], v[34:35], v[120:121] op_sel:[1,0,0] op_sel_hi:[0,1,0]
	s_delay_alu instid0(VALU_DEP_1) | instskip(SKIP_1) | instid1(VALU_DEP_2)
	v_mov_b32_e32 v119, v105
	v_pk_mul_f32 v[104:105], v[106:107], v[116:117] op_sel:[0,1]
	v_pk_add_f32 v[8:9], v[8:9], v[118:119] neg_lo:[0,1] neg_hi:[0,1]
	s_delay_alu instid0(VALU_DEP_2) | instskip(SKIP_1) | instid1(VALU_DEP_1)
	v_pk_fma_f32 v[118:119], v[106:107], v[114:115], v[104:105] op_sel:[0,0,1] op_sel_hi:[1,1,0] neg_lo:[0,0,1] neg_hi:[0,0,1]
	v_pk_fma_f32 v[104:105], v[106:107], v[114:115], v[104:105] op_sel:[0,0,1] op_sel_hi:[1,0,0]
	v_mov_b32_e32 v119, v105
	ds_load_2addr_b64 v[104:107], v108 offset0:45 offset1:46
	v_pk_add_f32 v[6:7], v[6:7], v[118:119] neg_lo:[0,1] neg_hi:[0,1]
	s_wait_dscnt 0x0
	v_pk_mul_f32 v[118:119], v[104:105], v[116:117] op_sel:[0,1]
	s_delay_alu instid0(VALU_DEP_1) | instskip(SKIP_1) | instid1(VALU_DEP_1)
	v_pk_fma_f32 v[120:121], v[104:105], v[114:115], v[118:119] op_sel:[0,0,1] op_sel_hi:[1,1,0] neg_lo:[0,0,1] neg_hi:[0,0,1]
	v_pk_fma_f32 v[104:105], v[104:105], v[114:115], v[118:119] op_sel:[0,0,1] op_sel_hi:[1,0,0]
	v_mov_b32_e32 v121, v105
	v_pk_mul_f32 v[104:105], v[106:107], v[116:117] op_sel:[0,1]
	s_delay_alu instid0(VALU_DEP_2) | instskip(NEXT) | instid1(VALU_DEP_2)
	v_pk_add_f32 v[28:29], v[28:29], v[120:121] neg_lo:[0,1] neg_hi:[0,1]
	v_pk_fma_f32 v[118:119], v[106:107], v[114:115], v[104:105] op_sel:[0,0,1] op_sel_hi:[1,1,0] neg_lo:[0,0,1] neg_hi:[0,0,1]
	v_pk_fma_f32 v[104:105], v[106:107], v[114:115], v[104:105] op_sel:[0,0,1] op_sel_hi:[1,0,0]
	s_delay_alu instid0(VALU_DEP_1) | instskip(SKIP_4) | instid1(VALU_DEP_1)
	v_mov_b32_e32 v119, v105
	ds_load_2addr_b64 v[104:107], v108 offset0:47 offset1:48
	v_pk_add_f32 v[18:19], v[18:19], v[118:119] neg_lo:[0,1] neg_hi:[0,1]
	s_wait_dscnt 0x0
	v_pk_mul_f32 v[118:119], v[104:105], v[116:117] op_sel:[0,1]
	v_pk_fma_f32 v[120:121], v[104:105], v[114:115], v[118:119] op_sel:[0,0,1] op_sel_hi:[1,1,0] neg_lo:[0,0,1] neg_hi:[0,0,1]
	v_pk_fma_f32 v[104:105], v[104:105], v[114:115], v[118:119] op_sel:[0,0,1] op_sel_hi:[1,0,0]
	s_delay_alu instid0(VALU_DEP_1) | instskip(SKIP_1) | instid1(VALU_DEP_2)
	v_mov_b32_e32 v121, v105
	v_pk_mul_f32 v[104:105], v[106:107], v[116:117] op_sel:[0,1]
	v_pk_add_f32 v[16:17], v[16:17], v[120:121] neg_lo:[0,1] neg_hi:[0,1]
	s_delay_alu instid0(VALU_DEP_2) | instskip(SKIP_1) | instid1(VALU_DEP_1)
	v_pk_fma_f32 v[116:117], v[106:107], v[114:115], v[104:105] op_sel:[0,0,1] op_sel_hi:[1,1,0] neg_lo:[0,0,1] neg_hi:[0,0,1]
	v_pk_fma_f32 v[104:105], v[106:107], v[114:115], v[104:105] op_sel:[0,0,1] op_sel_hi:[1,0,0]
	v_mov_b32_e32 v117, v105
	s_delay_alu instid0(VALU_DEP_1)
	v_pk_add_f32 v[102:103], v[102:103], v[116:117] neg_lo:[0,1] neg_hi:[0,1]
.LBB96_734:
	s_or_b32 exec_lo, exec_lo, s0
	v_lshl_add_u32 v104, v112, 3, v108
	s_barrier_signal -1
	s_barrier_wait -1
	ds_store_b64 v104, v[30:31]
	s_wait_dscnt 0x0
	s_barrier_signal -1
	s_barrier_wait -1
	ds_load_b64 v[104:105], v108 offset:280
	v_mov_b32_e32 v106, 35
	s_cmp_lt_i32 s18, 37
	s_cbranch_scc1 .LBB96_737
; %bb.735:
	v_add3_u32 v107, v109, 0, 0x120
	v_mov_b32_e32 v106, 35
	s_mov_b32 s0, 36
.LBB96_736:                             ; =>This Inner Loop Header: Depth=1
	ds_load_b64 v[114:115], v107
	s_wait_dscnt 0x1
	v_cmp_gt_f32_e32 vcc_lo, 0, v104
	v_cndmask_b32_e64 v116, v104, -v104, vcc_lo
	v_cmp_gt_f32_e32 vcc_lo, 0, v105
	v_cndmask_b32_e64 v118, v105, -v105, vcc_lo
	s_wait_dscnt 0x0
	v_cmp_gt_f32_e32 vcc_lo, 0, v114
	v_cndmask_b32_e64 v117, v114, -v114, vcc_lo
	v_cmp_gt_f32_e32 vcc_lo, 0, v115
	v_cndmask_b32_e64 v119, v115, -v115, vcc_lo
	s_delay_alu instid0(VALU_DEP_1) | instskip(NEXT) | instid1(VALU_DEP_1)
	v_pk_add_f32 v[116:117], v[116:117], v[118:119]
	v_cmp_lt_f32_e32 vcc_lo, v116, v117
	v_dual_cndmask_b32 v104, v104, v114 :: v_dual_add_nc_u32 v107, 8, v107
	v_cndmask_b32_e32 v105, v105, v115, vcc_lo
	v_cndmask_b32_e64 v106, v106, s0, vcc_lo
	s_add_co_i32 s0, s0, 1
	s_delay_alu instid0(SALU_CYCLE_1)
	s_cmp_lg_u32 s18, s0
	s_cbranch_scc1 .LBB96_736
.LBB96_737:
	s_wait_dscnt 0x0
	v_cmp_eq_f32_e32 vcc_lo, 0, v104
	v_cmp_eq_f32_e64 s0, 0, v105
	s_and_b32 s0, vcc_lo, s0
	s_delay_alu instid0(SALU_CYCLE_1) | instskip(NEXT) | instid1(SALU_CYCLE_1)
	s_and_saveexec_b32 s1, s0
	s_xor_b32 s0, exec_lo, s1
; %bb.738:
	v_cmp_ne_u32_e32 vcc_lo, 0, v110
	v_cndmask_b32_e32 v110, 36, v110, vcc_lo
; %bb.739:
	s_and_not1_saveexec_b32 s0, s0
	s_cbranch_execz .LBB96_745
; %bb.740:
	v_cmp_ngt_f32_e64 s1, |v104|, |v105|
	s_and_saveexec_b32 s12, s1
	s_delay_alu instid0(SALU_CYCLE_1)
	s_xor_b32 s1, exec_lo, s12
	s_cbranch_execz .LBB96_742
; %bb.741:
	v_div_scale_f32 v107, null, v105, v105, v104
	v_div_scale_f32 v115, vcc_lo, v104, v105, v104
	s_delay_alu instid0(VALU_DEP_2) | instskip(SKIP_1) | instid1(TRANS32_DEP_1)
	v_rcp_f32_e32 v113, v107
	v_nop
	v_fma_f32 v114, -v107, v113, 1.0
	s_delay_alu instid0(VALU_DEP_1) | instskip(NEXT) | instid1(VALU_DEP_1)
	v_fmac_f32_e32 v113, v114, v113
	v_mul_f32_e32 v114, v115, v113
	s_delay_alu instid0(VALU_DEP_1) | instskip(NEXT) | instid1(VALU_DEP_1)
	v_fma_f32 v116, -v107, v114, v115
	v_fmac_f32_e32 v114, v116, v113
	s_delay_alu instid0(VALU_DEP_1) | instskip(NEXT) | instid1(VALU_DEP_1)
	v_fma_f32 v107, -v107, v114, v115
	v_div_fmas_f32 v107, v107, v113, v114
	s_delay_alu instid0(VALU_DEP_1) | instskip(NEXT) | instid1(VALU_DEP_1)
	v_div_fixup_f32 v107, v107, v105, v104
	v_fmac_f32_e32 v105, v104, v107
	s_delay_alu instid0(VALU_DEP_1) | instskip(SKIP_1) | instid1(VALU_DEP_2)
	v_div_scale_f32 v104, null, v105, v105, 1.0
	v_div_scale_f32 v115, vcc_lo, 1.0, v105, 1.0
	v_rcp_f32_e32 v113, v104
	v_nop
	s_delay_alu instid0(TRANS32_DEP_1) | instskip(NEXT) | instid1(VALU_DEP_1)
	v_fma_f32 v114, -v104, v113, 1.0
	v_fmac_f32_e32 v113, v114, v113
	s_delay_alu instid0(VALU_DEP_1) | instskip(NEXT) | instid1(VALU_DEP_1)
	v_mul_f32_e32 v114, v115, v113
	v_fma_f32 v116, -v104, v114, v115
	s_delay_alu instid0(VALU_DEP_1) | instskip(NEXT) | instid1(VALU_DEP_1)
	v_fmac_f32_e32 v114, v116, v113
	v_fma_f32 v104, -v104, v114, v115
	s_delay_alu instid0(VALU_DEP_1) | instskip(NEXT) | instid1(VALU_DEP_1)
	v_div_fmas_f32 v104, v104, v113, v114
	v_div_fixup_f32 v105, v104, v105, 1.0
	s_delay_alu instid0(VALU_DEP_1)
	v_mul_f32_e32 v104, v107, v105
	v_xor_b32_e32 v105, 0x80000000, v105
.LBB96_742:
	s_and_not1_saveexec_b32 s1, s1
	s_cbranch_execz .LBB96_744
; %bb.743:
	s_delay_alu instid0(VALU_DEP_1) | instskip(SKIP_1) | instid1(VALU_DEP_2)
	v_div_scale_f32 v107, null, v104, v104, v105
	v_div_scale_f32 v115, vcc_lo, v105, v104, v105
	v_rcp_f32_e32 v113, v107
	v_nop
	s_delay_alu instid0(TRANS32_DEP_1) | instskip(NEXT) | instid1(VALU_DEP_1)
	v_fma_f32 v114, -v107, v113, 1.0
	v_fmac_f32_e32 v113, v114, v113
	s_delay_alu instid0(VALU_DEP_1) | instskip(NEXT) | instid1(VALU_DEP_1)
	v_mul_f32_e32 v114, v115, v113
	v_fma_f32 v116, -v107, v114, v115
	s_delay_alu instid0(VALU_DEP_1) | instskip(NEXT) | instid1(VALU_DEP_1)
	v_fmac_f32_e32 v114, v116, v113
	v_fma_f32 v107, -v107, v114, v115
	s_delay_alu instid0(VALU_DEP_1) | instskip(NEXT) | instid1(VALU_DEP_1)
	v_div_fmas_f32 v107, v107, v113, v114
	v_div_fixup_f32 v107, v107, v104, v105
	s_delay_alu instid0(VALU_DEP_1) | instskip(NEXT) | instid1(VALU_DEP_1)
	v_fmac_f32_e32 v104, v105, v107
	v_div_scale_f32 v105, null, v104, v104, 1.0
	s_delay_alu instid0(VALU_DEP_1) | instskip(SKIP_1) | instid1(TRANS32_DEP_1)
	v_rcp_f32_e32 v113, v105
	v_nop
	v_fma_f32 v114, -v105, v113, 1.0
	s_delay_alu instid0(VALU_DEP_1) | instskip(SKIP_1) | instid1(VALU_DEP_1)
	v_fmac_f32_e32 v113, v114, v113
	v_div_scale_f32 v114, vcc_lo, 1.0, v104, 1.0
	v_mul_f32_e32 v115, v114, v113
	s_delay_alu instid0(VALU_DEP_1) | instskip(NEXT) | instid1(VALU_DEP_1)
	v_fma_f32 v116, -v105, v115, v114
	v_fmac_f32_e32 v115, v116, v113
	s_delay_alu instid0(VALU_DEP_1) | instskip(NEXT) | instid1(VALU_DEP_1)
	v_fma_f32 v105, -v105, v115, v114
	v_div_fmas_f32 v105, v105, v113, v115
	s_delay_alu instid0(VALU_DEP_1) | instskip(NEXT) | instid1(VALU_DEP_1)
	v_div_fixup_f32 v104, v105, v104, 1.0
	v_mul_f32_e64 v105, v107, -v104
.LBB96_744:
	s_or_b32 exec_lo, exec_lo, s1
.LBB96_745:
	s_delay_alu instid0(SALU_CYCLE_1) | instskip(NEXT) | instid1(SALU_CYCLE_1)
	s_or_b32 exec_lo, exec_lo, s0
	s_mov_b32 s0, exec_lo
	v_cmpx_ne_u32_e64 v112, v106
	s_xor_b32 s0, exec_lo, s0
	s_cbranch_execz .LBB96_751
; %bb.746:
	s_mov_b32 s1, exec_lo
	v_cmpx_eq_u32_e32 35, v112
	s_cbranch_execz .LBB96_750
; %bb.747:
	v_cmp_ne_u32_e32 vcc_lo, 35, v106
	s_xor_b32 s12, s16, -1
	s_delay_alu instid0(SALU_CYCLE_1) | instskip(NEXT) | instid1(SALU_CYCLE_1)
	s_and_b32 s13, s12, vcc_lo
	s_and_saveexec_b32 s12, s13
	s_cbranch_execz .LBB96_749
; %bb.748:
	v_ashrrev_i32_e32 v107, 31, v106
	s_delay_alu instid0(VALU_DEP_1)
	v_lshl_add_u64 v[112:113], v[106:107], 2, v[4:5]
	s_clause 0x1
	global_load_b32 v107, v[112:113], off
	global_load_b32 v111, v[4:5], off offset:140
	s_wait_loadcnt 0x1
	global_store_b32 v[4:5], v107, off offset:140
	s_wait_loadcnt 0x0
	global_store_b32 v[112:113], v111, off
.LBB96_749:
	s_wait_xcnt 0x0
	s_or_b32 exec_lo, exec_lo, s12
	v_dual_mov_b32 v112, v106 :: v_dual_mov_b32 v111, v106
.LBB96_750:
	s_or_b32 exec_lo, exec_lo, s1
.LBB96_751:
	s_and_not1_saveexec_b32 s0, s0
	s_cbranch_execz .LBB96_753
; %bb.752:
	v_dual_mov_b32 v106, v26 :: v_dual_mov_b32 v107, v27
	v_dual_mov_b32 v112, v22 :: v_dual_mov_b32 v113, v23
	;; [unrolled: 1-line block ×4, first 2 shown]
	ds_store_2addr_b64 v108, v[106:107], v[112:113] offset0:36 offset1:37
	ds_store_2addr_b64 v108, v[114:115], v[116:117] offset0:38 offset1:39
	v_dual_mov_b32 v106, v14 :: v_dual_mov_b32 v107, v15
	v_dual_mov_b32 v114, v10 :: v_dual_mov_b32 v115, v11
	v_dual_mov_b32 v112, 35 :: v_dual_mov_b32 v116, v12
	v_dual_mov_b32 v117, v13 :: v_dual_mov_b32 v118, v8
	v_dual_mov_b32 v119, v9 :: v_dual_mov_b32 v120, v6
	v_dual_mov_b32 v121, v7 :: v_dual_mov_b32 v122, v28
	v_dual_mov_b32 v123, v29 :: v_dual_mov_b32 v124, v18
	v_dual_mov_b32 v125, v19 :: v_dual_mov_b32 v126, v16
	v_mov_b32_e32 v127, v17
	ds_store_2addr_b64 v108, v[106:107], v[114:115] offset0:40 offset1:41
	ds_store_2addr_b64 v108, v[116:117], v[118:119] offset0:42 offset1:43
	;; [unrolled: 1-line block ×4, first 2 shown]
	ds_store_b64 v108, v[102:103] offset:384
.LBB96_753:
	s_or_b32 exec_lo, exec_lo, s0
	s_delay_alu instid0(SALU_CYCLE_1)
	s_mov_b32 s0, exec_lo
	s_wait_storecnt_dscnt 0x0
	s_barrier_signal -1
	s_barrier_wait -1
	v_cmpx_lt_i32_e32 35, v112
	s_cbranch_execz .LBB96_755
; %bb.754:
	v_pk_mul_f32 v[106:107], v[104:105], v[30:31] op_sel:[1,1] op_sel_hi:[0,1]
	s_delay_alu instid0(VALU_DEP_1)
	v_pk_fma_f32 v[114:115], v[104:105], v[30:31], v[106:107] op_sel_hi:[1,0,1] neg_lo:[0,0,1] neg_hi:[0,0,1]
	v_pk_fma_f32 v[116:117], v[104:105], v[30:31], v[106:107] op_sel_hi:[1,0,1]
	ds_load_2addr_b64 v[104:107], v108 offset0:36 offset1:37
	v_dual_mov_b32 v30, v114 :: v_dual_mov_b32 v31, v117
	s_wait_dscnt 0x0
	v_pk_mul_f32 v[118:119], v[104:105], v[116:117] op_sel:[0,1]
	s_delay_alu instid0(VALU_DEP_1) | instskip(SKIP_1) | instid1(VALU_DEP_1)
	v_pk_fma_f32 v[120:121], v[104:105], v[114:115], v[118:119] op_sel:[0,0,1] op_sel_hi:[1,1,0] neg_lo:[0,0,1] neg_hi:[0,0,1]
	v_pk_fma_f32 v[104:105], v[104:105], v[114:115], v[118:119] op_sel:[0,0,1] op_sel_hi:[1,0,0]
	v_mov_b32_e32 v121, v105
	v_pk_mul_f32 v[104:105], v[106:107], v[116:117] op_sel:[0,1]
	s_delay_alu instid0(VALU_DEP_1) | instskip(SKIP_1) | instid1(VALU_DEP_1)
	v_pk_fma_f32 v[118:119], v[106:107], v[114:115], v[104:105] op_sel:[0,0,1] op_sel_hi:[1,1,0] neg_lo:[0,0,1] neg_hi:[0,0,1]
	v_pk_fma_f32 v[104:105], v[106:107], v[114:115], v[104:105] op_sel:[0,0,1] op_sel_hi:[1,0,0]
	v_mov_b32_e32 v119, v105
	ds_load_2addr_b64 v[104:107], v108 offset0:38 offset1:39
	v_pk_add_f32 v[26:27], v[26:27], v[120:121] neg_lo:[0,1] neg_hi:[0,1]
	v_pk_add_f32 v[22:23], v[22:23], v[118:119] neg_lo:[0,1] neg_hi:[0,1]
	s_wait_dscnt 0x0
	v_pk_mul_f32 v[118:119], v[104:105], v[116:117] op_sel:[0,1]
	s_delay_alu instid0(VALU_DEP_1) | instskip(SKIP_2) | instid1(VALU_DEP_2)
	v_pk_fma_f32 v[120:121], v[104:105], v[114:115], v[118:119] op_sel:[0,0,1] op_sel_hi:[1,1,0] neg_lo:[0,0,1] neg_hi:[0,0,1]
	v_pk_fma_f32 v[104:105], v[104:105], v[114:115], v[118:119] op_sel:[0,0,1] op_sel_hi:[1,0,0]
	v_dual_mul_f32 v118, v107, v117 :: v_dual_mov_b32 v104, v107
	v_dual_mov_b32 v121, v105 :: v_dual_mov_b32 v105, v106
	s_delay_alu instid0(VALU_DEP_2) | instskip(SKIP_1) | instid1(VALU_DEP_3)
	v_pk_fma_f32 v[118:119], v[106:107], v[30:31], v[118:119] op_sel_hi:[1,1,0] neg_lo:[0,0,1] neg_hi:[0,0,1]
	v_mul_f32_e32 v106, v107, v114
	v_pk_add_f32 v[24:25], v[24:25], v[120:121] neg_lo:[0,1] neg_hi:[0,1]
	s_delay_alu instid0(VALU_DEP_2) | instskip(NEXT) | instid1(VALU_DEP_1)
	v_pk_fma_f32 v[104:105], v[104:105], v[30:31], v[106:107] op_sel_hi:[1,1,0]
	v_mov_b32_e32 v119, v105
	ds_load_2addr_b64 v[104:107], v108 offset0:40 offset1:41
	v_pk_add_f32 v[20:21], v[20:21], v[118:119] neg_lo:[0,1] neg_hi:[0,1]
	s_wait_dscnt 0x0
	v_pk_mul_f32 v[118:119], v[104:105], v[116:117] op_sel:[0,1]
	s_delay_alu instid0(VALU_DEP_1) | instskip(SKIP_1) | instid1(VALU_DEP_1)
	v_pk_fma_f32 v[120:121], v[104:105], v[114:115], v[118:119] op_sel:[0,0,1] op_sel_hi:[1,1,0] neg_lo:[0,0,1] neg_hi:[0,0,1]
	v_pk_fma_f32 v[104:105], v[104:105], v[114:115], v[118:119] op_sel:[0,0,1] op_sel_hi:[1,0,0]
	v_mov_b32_e32 v121, v105
	v_pk_mul_f32 v[104:105], v[106:107], v[116:117] op_sel:[0,1]
	s_delay_alu instid0(VALU_DEP_1) | instskip(SKIP_1) | instid1(VALU_DEP_1)
	v_pk_fma_f32 v[118:119], v[106:107], v[114:115], v[104:105] op_sel:[0,0,1] op_sel_hi:[1,1,0] neg_lo:[0,0,1] neg_hi:[0,0,1]
	v_pk_fma_f32 v[104:105], v[106:107], v[114:115], v[104:105] op_sel:[0,0,1] op_sel_hi:[1,0,0]
	v_mov_b32_e32 v119, v105
	ds_load_2addr_b64 v[104:107], v108 offset0:42 offset1:43
	v_pk_add_f32 v[14:15], v[14:15], v[120:121] neg_lo:[0,1] neg_hi:[0,1]
	v_pk_add_f32 v[10:11], v[10:11], v[118:119] neg_lo:[0,1] neg_hi:[0,1]
	s_wait_dscnt 0x0
	v_pk_mul_f32 v[118:119], v[104:105], v[116:117] op_sel:[0,1]
	s_delay_alu instid0(VALU_DEP_1) | instskip(SKIP_1) | instid1(VALU_DEP_1)
	v_pk_fma_f32 v[120:121], v[104:105], v[114:115], v[118:119] op_sel:[0,0,1] op_sel_hi:[1,1,0] neg_lo:[0,0,1] neg_hi:[0,0,1]
	v_pk_fma_f32 v[104:105], v[104:105], v[114:115], v[118:119] op_sel:[0,0,1] op_sel_hi:[1,0,0]
	v_mov_b32_e32 v121, v105
	v_pk_mul_f32 v[104:105], v[106:107], v[116:117] op_sel:[0,1]
	s_delay_alu instid0(VALU_DEP_1) | instskip(SKIP_1) | instid1(VALU_DEP_1)
	v_pk_fma_f32 v[118:119], v[106:107], v[114:115], v[104:105] op_sel:[0,0,1] op_sel_hi:[1,1,0] neg_lo:[0,0,1] neg_hi:[0,0,1]
	v_pk_fma_f32 v[104:105], v[106:107], v[114:115], v[104:105] op_sel:[0,0,1] op_sel_hi:[1,0,0]
	v_mov_b32_e32 v119, v105
	ds_load_2addr_b64 v[104:107], v108 offset0:44 offset1:45
	v_pk_add_f32 v[12:13], v[12:13], v[120:121] neg_lo:[0,1] neg_hi:[0,1]
	v_pk_add_f32 v[8:9], v[8:9], v[118:119] neg_lo:[0,1] neg_hi:[0,1]
	s_wait_dscnt 0x0
	v_dual_mul_f32 v118, v105, v117 :: v_dual_mul_f32 v120, v105, v114
	s_delay_alu instid0(VALU_DEP_1) | instskip(NEXT) | instid1(VALU_DEP_2)
	v_pk_fma_f32 v[118:119], v[104:105], v[30:31], v[118:119] op_sel_hi:[1,1,0] neg_lo:[0,0,1] neg_hi:[0,0,1]
	v_pk_fma_f32 v[104:105], v[104:105], v[30:31], v[120:121] op_sel:[1,0,0] op_sel_hi:[0,1,0]
	s_delay_alu instid0(VALU_DEP_1) | instskip(SKIP_1) | instid1(VALU_DEP_2)
	v_mov_b32_e32 v119, v105
	v_pk_mul_f32 v[104:105], v[106:107], v[116:117] op_sel:[0,1]
	v_pk_add_f32 v[6:7], v[6:7], v[118:119] neg_lo:[0,1] neg_hi:[0,1]
	s_delay_alu instid0(VALU_DEP_2) | instskip(SKIP_1) | instid1(VALU_DEP_1)
	v_pk_fma_f32 v[118:119], v[106:107], v[114:115], v[104:105] op_sel:[0,0,1] op_sel_hi:[1,1,0] neg_lo:[0,0,1] neg_hi:[0,0,1]
	v_pk_fma_f32 v[104:105], v[106:107], v[114:115], v[104:105] op_sel:[0,0,1] op_sel_hi:[1,0,0]
	v_mov_b32_e32 v119, v105
	ds_load_2addr_b64 v[104:107], v108 offset0:46 offset1:47
	v_pk_add_f32 v[28:29], v[28:29], v[118:119] neg_lo:[0,1] neg_hi:[0,1]
	s_wait_dscnt 0x0
	v_pk_mul_f32 v[118:119], v[104:105], v[116:117] op_sel:[0,1]
	s_delay_alu instid0(VALU_DEP_1) | instskip(SKIP_1) | instid1(VALU_DEP_1)
	v_pk_fma_f32 v[120:121], v[104:105], v[114:115], v[118:119] op_sel:[0,0,1] op_sel_hi:[1,1,0] neg_lo:[0,0,1] neg_hi:[0,0,1]
	v_pk_fma_f32 v[104:105], v[104:105], v[114:115], v[118:119] op_sel:[0,0,1] op_sel_hi:[1,0,0]
	v_mov_b32_e32 v121, v105
	v_pk_mul_f32 v[104:105], v[106:107], v[116:117] op_sel:[0,1]
	s_delay_alu instid0(VALU_DEP_2) | instskip(NEXT) | instid1(VALU_DEP_2)
	v_pk_add_f32 v[18:19], v[18:19], v[120:121] neg_lo:[0,1] neg_hi:[0,1]
	v_pk_fma_f32 v[118:119], v[106:107], v[114:115], v[104:105] op_sel:[0,0,1] op_sel_hi:[1,1,0] neg_lo:[0,0,1] neg_hi:[0,0,1]
	v_pk_fma_f32 v[104:105], v[106:107], v[114:115], v[104:105] op_sel:[0,0,1] op_sel_hi:[1,0,0]
	s_delay_alu instid0(VALU_DEP_1) | instskip(SKIP_4) | instid1(VALU_DEP_1)
	v_mov_b32_e32 v119, v105
	ds_load_b64 v[104:105], v108 offset:384
	v_pk_add_f32 v[16:17], v[16:17], v[118:119] neg_lo:[0,1] neg_hi:[0,1]
	s_wait_dscnt 0x0
	v_pk_mul_f32 v[106:107], v[104:105], v[116:117] op_sel:[0,1]
	v_pk_fma_f32 v[116:117], v[104:105], v[114:115], v[106:107] op_sel:[0,0,1] op_sel_hi:[1,1,0] neg_lo:[0,0,1] neg_hi:[0,0,1]
	v_pk_fma_f32 v[104:105], v[104:105], v[114:115], v[106:107] op_sel:[0,0,1] op_sel_hi:[1,0,0]
	s_delay_alu instid0(VALU_DEP_1) | instskip(NEXT) | instid1(VALU_DEP_1)
	v_mov_b32_e32 v117, v105
	v_pk_add_f32 v[102:103], v[102:103], v[116:117] neg_lo:[0,1] neg_hi:[0,1]
.LBB96_755:
	s_or_b32 exec_lo, exec_lo, s0
	v_lshl_add_u32 v104, v112, 3, v108
	s_barrier_signal -1
	s_barrier_wait -1
	ds_store_b64 v104, v[26:27]
	s_wait_dscnt 0x0
	s_barrier_signal -1
	s_barrier_wait -1
	ds_load_b64 v[104:105], v108 offset:288
	v_mov_b32_e32 v106, 36
	s_cmp_lt_i32 s18, 38
	s_cbranch_scc1 .LBB96_758
; %bb.756:
	v_add3_u32 v107, v109, 0, 0x128
	v_mov_b32_e32 v106, 36
	s_mov_b32 s0, 37
.LBB96_757:                             ; =>This Inner Loop Header: Depth=1
	ds_load_b64 v[114:115], v107
	s_wait_dscnt 0x1
	v_cmp_gt_f32_e32 vcc_lo, 0, v104
	v_cndmask_b32_e64 v116, v104, -v104, vcc_lo
	v_cmp_gt_f32_e32 vcc_lo, 0, v105
	v_cndmask_b32_e64 v118, v105, -v105, vcc_lo
	s_wait_dscnt 0x0
	v_cmp_gt_f32_e32 vcc_lo, 0, v114
	v_cndmask_b32_e64 v117, v114, -v114, vcc_lo
	v_cmp_gt_f32_e32 vcc_lo, 0, v115
	v_cndmask_b32_e64 v119, v115, -v115, vcc_lo
	s_delay_alu instid0(VALU_DEP_1) | instskip(NEXT) | instid1(VALU_DEP_1)
	v_pk_add_f32 v[116:117], v[116:117], v[118:119]
	v_cmp_lt_f32_e32 vcc_lo, v116, v117
	v_dual_cndmask_b32 v104, v104, v114 :: v_dual_add_nc_u32 v107, 8, v107
	v_cndmask_b32_e32 v105, v105, v115, vcc_lo
	v_cndmask_b32_e64 v106, v106, s0, vcc_lo
	s_add_co_i32 s0, s0, 1
	s_delay_alu instid0(SALU_CYCLE_1)
	s_cmp_lg_u32 s18, s0
	s_cbranch_scc1 .LBB96_757
.LBB96_758:
	s_wait_dscnt 0x0
	v_cmp_eq_f32_e32 vcc_lo, 0, v104
	v_cmp_eq_f32_e64 s0, 0, v105
	s_and_b32 s0, vcc_lo, s0
	s_delay_alu instid0(SALU_CYCLE_1) | instskip(NEXT) | instid1(SALU_CYCLE_1)
	s_and_saveexec_b32 s1, s0
	s_xor_b32 s0, exec_lo, s1
; %bb.759:
	v_cmp_ne_u32_e32 vcc_lo, 0, v110
	v_cndmask_b32_e32 v110, 37, v110, vcc_lo
; %bb.760:
	s_and_not1_saveexec_b32 s0, s0
	s_cbranch_execz .LBB96_766
; %bb.761:
	v_cmp_ngt_f32_e64 s1, |v104|, |v105|
	s_and_saveexec_b32 s12, s1
	s_delay_alu instid0(SALU_CYCLE_1)
	s_xor_b32 s1, exec_lo, s12
	s_cbranch_execz .LBB96_763
; %bb.762:
	v_div_scale_f32 v107, null, v105, v105, v104
	v_div_scale_f32 v115, vcc_lo, v104, v105, v104
	s_delay_alu instid0(VALU_DEP_2) | instskip(SKIP_1) | instid1(TRANS32_DEP_1)
	v_rcp_f32_e32 v113, v107
	v_nop
	v_fma_f32 v114, -v107, v113, 1.0
	s_delay_alu instid0(VALU_DEP_1) | instskip(NEXT) | instid1(VALU_DEP_1)
	v_fmac_f32_e32 v113, v114, v113
	v_mul_f32_e32 v114, v115, v113
	s_delay_alu instid0(VALU_DEP_1) | instskip(NEXT) | instid1(VALU_DEP_1)
	v_fma_f32 v116, -v107, v114, v115
	v_fmac_f32_e32 v114, v116, v113
	s_delay_alu instid0(VALU_DEP_1) | instskip(NEXT) | instid1(VALU_DEP_1)
	v_fma_f32 v107, -v107, v114, v115
	v_div_fmas_f32 v107, v107, v113, v114
	s_delay_alu instid0(VALU_DEP_1) | instskip(NEXT) | instid1(VALU_DEP_1)
	v_div_fixup_f32 v107, v107, v105, v104
	v_fmac_f32_e32 v105, v104, v107
	s_delay_alu instid0(VALU_DEP_1) | instskip(SKIP_1) | instid1(VALU_DEP_2)
	v_div_scale_f32 v104, null, v105, v105, 1.0
	v_div_scale_f32 v115, vcc_lo, 1.0, v105, 1.0
	v_rcp_f32_e32 v113, v104
	v_nop
	s_delay_alu instid0(TRANS32_DEP_1) | instskip(NEXT) | instid1(VALU_DEP_1)
	v_fma_f32 v114, -v104, v113, 1.0
	v_fmac_f32_e32 v113, v114, v113
	s_delay_alu instid0(VALU_DEP_1) | instskip(NEXT) | instid1(VALU_DEP_1)
	v_mul_f32_e32 v114, v115, v113
	v_fma_f32 v116, -v104, v114, v115
	s_delay_alu instid0(VALU_DEP_1) | instskip(NEXT) | instid1(VALU_DEP_1)
	v_fmac_f32_e32 v114, v116, v113
	v_fma_f32 v104, -v104, v114, v115
	s_delay_alu instid0(VALU_DEP_1) | instskip(NEXT) | instid1(VALU_DEP_1)
	v_div_fmas_f32 v104, v104, v113, v114
	v_div_fixup_f32 v105, v104, v105, 1.0
	s_delay_alu instid0(VALU_DEP_1)
	v_mul_f32_e32 v104, v107, v105
	v_xor_b32_e32 v105, 0x80000000, v105
.LBB96_763:
	s_and_not1_saveexec_b32 s1, s1
	s_cbranch_execz .LBB96_765
; %bb.764:
	s_delay_alu instid0(VALU_DEP_1) | instskip(SKIP_1) | instid1(VALU_DEP_2)
	v_div_scale_f32 v107, null, v104, v104, v105
	v_div_scale_f32 v115, vcc_lo, v105, v104, v105
	v_rcp_f32_e32 v113, v107
	v_nop
	s_delay_alu instid0(TRANS32_DEP_1) | instskip(NEXT) | instid1(VALU_DEP_1)
	v_fma_f32 v114, -v107, v113, 1.0
	v_fmac_f32_e32 v113, v114, v113
	s_delay_alu instid0(VALU_DEP_1) | instskip(NEXT) | instid1(VALU_DEP_1)
	v_mul_f32_e32 v114, v115, v113
	v_fma_f32 v116, -v107, v114, v115
	s_delay_alu instid0(VALU_DEP_1) | instskip(NEXT) | instid1(VALU_DEP_1)
	v_fmac_f32_e32 v114, v116, v113
	v_fma_f32 v107, -v107, v114, v115
	s_delay_alu instid0(VALU_DEP_1) | instskip(NEXT) | instid1(VALU_DEP_1)
	v_div_fmas_f32 v107, v107, v113, v114
	v_div_fixup_f32 v107, v107, v104, v105
	s_delay_alu instid0(VALU_DEP_1) | instskip(NEXT) | instid1(VALU_DEP_1)
	v_fmac_f32_e32 v104, v105, v107
	v_div_scale_f32 v105, null, v104, v104, 1.0
	s_delay_alu instid0(VALU_DEP_1) | instskip(SKIP_1) | instid1(TRANS32_DEP_1)
	v_rcp_f32_e32 v113, v105
	v_nop
	v_fma_f32 v114, -v105, v113, 1.0
	s_delay_alu instid0(VALU_DEP_1) | instskip(SKIP_1) | instid1(VALU_DEP_1)
	v_fmac_f32_e32 v113, v114, v113
	v_div_scale_f32 v114, vcc_lo, 1.0, v104, 1.0
	v_mul_f32_e32 v115, v114, v113
	s_delay_alu instid0(VALU_DEP_1) | instskip(NEXT) | instid1(VALU_DEP_1)
	v_fma_f32 v116, -v105, v115, v114
	v_fmac_f32_e32 v115, v116, v113
	s_delay_alu instid0(VALU_DEP_1) | instskip(NEXT) | instid1(VALU_DEP_1)
	v_fma_f32 v105, -v105, v115, v114
	v_div_fmas_f32 v105, v105, v113, v115
	s_delay_alu instid0(VALU_DEP_1) | instskip(NEXT) | instid1(VALU_DEP_1)
	v_div_fixup_f32 v104, v105, v104, 1.0
	v_mul_f32_e64 v105, v107, -v104
.LBB96_765:
	s_or_b32 exec_lo, exec_lo, s1
.LBB96_766:
	s_delay_alu instid0(SALU_CYCLE_1) | instskip(NEXT) | instid1(SALU_CYCLE_1)
	s_or_b32 exec_lo, exec_lo, s0
	s_mov_b32 s0, exec_lo
	v_cmpx_ne_u32_e64 v112, v106
	s_xor_b32 s0, exec_lo, s0
	s_cbranch_execz .LBB96_772
; %bb.767:
	s_mov_b32 s1, exec_lo
	v_cmpx_eq_u32_e32 36, v112
	s_cbranch_execz .LBB96_771
; %bb.768:
	v_cmp_ne_u32_e32 vcc_lo, 36, v106
	s_xor_b32 s12, s16, -1
	s_delay_alu instid0(SALU_CYCLE_1) | instskip(NEXT) | instid1(SALU_CYCLE_1)
	s_and_b32 s13, s12, vcc_lo
	s_and_saveexec_b32 s12, s13
	s_cbranch_execz .LBB96_770
; %bb.769:
	v_ashrrev_i32_e32 v107, 31, v106
	s_delay_alu instid0(VALU_DEP_1)
	v_lshl_add_u64 v[112:113], v[106:107], 2, v[4:5]
	s_clause 0x1
	global_load_b32 v107, v[112:113], off
	global_load_b32 v111, v[4:5], off offset:144
	s_wait_loadcnt 0x1
	global_store_b32 v[4:5], v107, off offset:144
	s_wait_loadcnt 0x0
	global_store_b32 v[112:113], v111, off
.LBB96_770:
	s_wait_xcnt 0x0
	s_or_b32 exec_lo, exec_lo, s12
	v_dual_mov_b32 v112, v106 :: v_dual_mov_b32 v111, v106
.LBB96_771:
	s_or_b32 exec_lo, exec_lo, s1
.LBB96_772:
	s_and_not1_saveexec_b32 s0, s0
	s_cbranch_execz .LBB96_774
; %bb.773:
	v_mov_b32_e32 v112, 36
	ds_store_2addr_b64 v108, v[22:23], v[24:25] offset0:37 offset1:38
	ds_store_2addr_b64 v108, v[20:21], v[14:15] offset0:39 offset1:40
	;; [unrolled: 1-line block ×6, first 2 shown]
.LBB96_774:
	s_or_b32 exec_lo, exec_lo, s0
	s_delay_alu instid0(SALU_CYCLE_1)
	s_mov_b32 s0, exec_lo
	s_wait_storecnt_dscnt 0x0
	s_barrier_signal -1
	s_barrier_wait -1
	v_cmpx_lt_i32_e32 36, v112
	s_cbranch_execz .LBB96_776
; %bb.775:
	v_pk_mul_f32 v[106:107], v[104:105], v[26:27] op_sel:[1,1] op_sel_hi:[0,1]
	s_delay_alu instid0(VALU_DEP_1)
	v_pk_fma_f32 v[114:115], v[104:105], v[26:27], v[106:107] op_sel_hi:[1,0,1] neg_lo:[0,0,1] neg_hi:[0,0,1]
	v_pk_fma_f32 v[116:117], v[104:105], v[26:27], v[106:107] op_sel_hi:[1,0,1]
	ds_load_2addr_b64 v[104:107], v108 offset0:37 offset1:38
	v_dual_mov_b32 v26, v114 :: v_dual_mov_b32 v27, v117
	s_wait_dscnt 0x0
	v_pk_mul_f32 v[118:119], v[104:105], v[116:117] op_sel:[0,1]
	s_delay_alu instid0(VALU_DEP_1) | instskip(SKIP_1) | instid1(VALU_DEP_1)
	v_pk_fma_f32 v[120:121], v[104:105], v[114:115], v[118:119] op_sel:[0,0,1] op_sel_hi:[1,1,0] neg_lo:[0,0,1] neg_hi:[0,0,1]
	v_pk_fma_f32 v[104:105], v[104:105], v[114:115], v[118:119] op_sel:[0,0,1] op_sel_hi:[1,0,0]
	v_mov_b32_e32 v121, v105
	v_pk_mul_f32 v[104:105], v[106:107], v[116:117] op_sel:[0,1]
	s_delay_alu instid0(VALU_DEP_1) | instskip(SKIP_1) | instid1(VALU_DEP_1)
	v_pk_fma_f32 v[118:119], v[106:107], v[114:115], v[104:105] op_sel:[0,0,1] op_sel_hi:[1,1,0] neg_lo:[0,0,1] neg_hi:[0,0,1]
	v_pk_fma_f32 v[104:105], v[106:107], v[114:115], v[104:105] op_sel:[0,0,1] op_sel_hi:[1,0,0]
	v_mov_b32_e32 v119, v105
	ds_load_2addr_b64 v[104:107], v108 offset0:39 offset1:40
	v_pk_add_f32 v[22:23], v[22:23], v[120:121] neg_lo:[0,1] neg_hi:[0,1]
	v_pk_add_f32 v[24:25], v[24:25], v[118:119] neg_lo:[0,1] neg_hi:[0,1]
	s_wait_dscnt 0x0
	v_pk_mul_f32 v[118:119], v[104:105], v[116:117] op_sel:[0,1]
	s_delay_alu instid0(VALU_DEP_1) | instskip(SKIP_2) | instid1(VALU_DEP_2)
	v_pk_fma_f32 v[120:121], v[104:105], v[114:115], v[118:119] op_sel:[0,0,1] op_sel_hi:[1,1,0] neg_lo:[0,0,1] neg_hi:[0,0,1]
	v_pk_fma_f32 v[104:105], v[104:105], v[114:115], v[118:119] op_sel:[0,0,1] op_sel_hi:[1,0,0]
	v_dual_mul_f32 v118, v107, v117 :: v_dual_mov_b32 v104, v107
	v_dual_mov_b32 v121, v105 :: v_dual_mov_b32 v105, v106
	s_delay_alu instid0(VALU_DEP_2) | instskip(SKIP_1) | instid1(VALU_DEP_3)
	v_pk_fma_f32 v[118:119], v[106:107], v[26:27], v[118:119] op_sel_hi:[1,1,0] neg_lo:[0,0,1] neg_hi:[0,0,1]
	v_mul_f32_e32 v106, v107, v114
	v_pk_add_f32 v[20:21], v[20:21], v[120:121] neg_lo:[0,1] neg_hi:[0,1]
	s_delay_alu instid0(VALU_DEP_2) | instskip(NEXT) | instid1(VALU_DEP_1)
	v_pk_fma_f32 v[104:105], v[104:105], v[26:27], v[106:107] op_sel_hi:[1,1,0]
	v_mov_b32_e32 v119, v105
	ds_load_2addr_b64 v[104:107], v108 offset0:41 offset1:42
	v_pk_add_f32 v[14:15], v[14:15], v[118:119] neg_lo:[0,1] neg_hi:[0,1]
	s_wait_dscnt 0x0
	v_pk_mul_f32 v[118:119], v[104:105], v[116:117] op_sel:[0,1]
	s_delay_alu instid0(VALU_DEP_1) | instskip(SKIP_1) | instid1(VALU_DEP_1)
	v_pk_fma_f32 v[120:121], v[104:105], v[114:115], v[118:119] op_sel:[0,0,1] op_sel_hi:[1,1,0] neg_lo:[0,0,1] neg_hi:[0,0,1]
	v_pk_fma_f32 v[104:105], v[104:105], v[114:115], v[118:119] op_sel:[0,0,1] op_sel_hi:[1,0,0]
	v_mov_b32_e32 v121, v105
	v_pk_mul_f32 v[104:105], v[106:107], v[116:117] op_sel:[0,1]
	s_delay_alu instid0(VALU_DEP_1) | instskip(SKIP_1) | instid1(VALU_DEP_1)
	v_pk_fma_f32 v[118:119], v[106:107], v[114:115], v[104:105] op_sel:[0,0,1] op_sel_hi:[1,1,0] neg_lo:[0,0,1] neg_hi:[0,0,1]
	v_pk_fma_f32 v[104:105], v[106:107], v[114:115], v[104:105] op_sel:[0,0,1] op_sel_hi:[1,0,0]
	v_mov_b32_e32 v119, v105
	ds_load_2addr_b64 v[104:107], v108 offset0:43 offset1:44
	v_pk_add_f32 v[10:11], v[10:11], v[120:121] neg_lo:[0,1] neg_hi:[0,1]
	v_pk_add_f32 v[12:13], v[12:13], v[118:119] neg_lo:[0,1] neg_hi:[0,1]
	s_wait_dscnt 0x0
	v_pk_mul_f32 v[118:119], v[104:105], v[116:117] op_sel:[0,1]
	s_delay_alu instid0(VALU_DEP_1) | instskip(SKIP_1) | instid1(VALU_DEP_1)
	v_pk_fma_f32 v[120:121], v[104:105], v[114:115], v[118:119] op_sel:[0,0,1] op_sel_hi:[1,1,0] neg_lo:[0,0,1] neg_hi:[0,0,1]
	v_pk_fma_f32 v[104:105], v[104:105], v[114:115], v[118:119] op_sel:[0,0,1] op_sel_hi:[1,0,0]
	v_mov_b32_e32 v121, v105
	v_pk_mul_f32 v[104:105], v[106:107], v[116:117] op_sel:[0,1]
	s_delay_alu instid0(VALU_DEP_1) | instskip(SKIP_1) | instid1(VALU_DEP_1)
	v_pk_fma_f32 v[118:119], v[106:107], v[114:115], v[104:105] op_sel:[0,0,1] op_sel_hi:[1,1,0] neg_lo:[0,0,1] neg_hi:[0,0,1]
	v_pk_fma_f32 v[104:105], v[106:107], v[114:115], v[104:105] op_sel:[0,0,1] op_sel_hi:[1,0,0]
	v_mov_b32_e32 v119, v105
	ds_load_2addr_b64 v[104:107], v108 offset0:45 offset1:46
	v_pk_add_f32 v[8:9], v[8:9], v[120:121] neg_lo:[0,1] neg_hi:[0,1]
	v_pk_add_f32 v[6:7], v[6:7], v[118:119] neg_lo:[0,1] neg_hi:[0,1]
	s_wait_dscnt 0x0
	v_dual_mul_f32 v118, v105, v117 :: v_dual_mul_f32 v120, v105, v114
	s_delay_alu instid0(VALU_DEP_1) | instskip(NEXT) | instid1(VALU_DEP_2)
	v_pk_fma_f32 v[118:119], v[104:105], v[26:27], v[118:119] op_sel_hi:[1,1,0] neg_lo:[0,0,1] neg_hi:[0,0,1]
	v_pk_fma_f32 v[104:105], v[104:105], v[26:27], v[120:121] op_sel:[1,0,0] op_sel_hi:[0,1,0]
	s_delay_alu instid0(VALU_DEP_1) | instskip(SKIP_1) | instid1(VALU_DEP_2)
	v_mov_b32_e32 v119, v105
	v_pk_mul_f32 v[104:105], v[106:107], v[116:117] op_sel:[0,1]
	v_pk_add_f32 v[28:29], v[28:29], v[118:119] neg_lo:[0,1] neg_hi:[0,1]
	s_delay_alu instid0(VALU_DEP_2) | instskip(SKIP_1) | instid1(VALU_DEP_1)
	v_pk_fma_f32 v[118:119], v[106:107], v[114:115], v[104:105] op_sel:[0,0,1] op_sel_hi:[1,1,0] neg_lo:[0,0,1] neg_hi:[0,0,1]
	v_pk_fma_f32 v[104:105], v[106:107], v[114:115], v[104:105] op_sel:[0,0,1] op_sel_hi:[1,0,0]
	v_mov_b32_e32 v119, v105
	ds_load_2addr_b64 v[104:107], v108 offset0:47 offset1:48
	v_pk_add_f32 v[18:19], v[18:19], v[118:119] neg_lo:[0,1] neg_hi:[0,1]
	s_wait_dscnt 0x0
	v_pk_mul_f32 v[118:119], v[104:105], v[116:117] op_sel:[0,1]
	v_mul_f32_e32 v116, v107, v117
	s_delay_alu instid0(VALU_DEP_2) | instskip(SKIP_2) | instid1(VALU_DEP_4)
	v_pk_fma_f32 v[120:121], v[104:105], v[114:115], v[118:119] op_sel:[0,0,1] op_sel_hi:[1,1,0] neg_lo:[0,0,1] neg_hi:[0,0,1]
	v_pk_fma_f32 v[104:105], v[104:105], v[114:115], v[118:119] op_sel:[0,0,1] op_sel_hi:[1,0,0]
	v_mov_b32_e32 v104, v107
	v_pk_fma_f32 v[116:117], v[106:107], v[26:27], v[116:117] op_sel_hi:[1,1,0] neg_lo:[0,0,1] neg_hi:[0,0,1]
	s_delay_alu instid0(VALU_DEP_3) | instskip(SKIP_1) | instid1(VALU_DEP_2)
	v_dual_mov_b32 v121, v105 :: v_dual_mov_b32 v105, v106
	v_mul_f32_e32 v106, v107, v114
	v_pk_add_f32 v[16:17], v[16:17], v[120:121] neg_lo:[0,1] neg_hi:[0,1]
	s_delay_alu instid0(VALU_DEP_2) | instskip(NEXT) | instid1(VALU_DEP_1)
	v_pk_fma_f32 v[104:105], v[104:105], v[26:27], v[106:107] op_sel_hi:[1,1,0]
	v_mov_b32_e32 v117, v105
	s_delay_alu instid0(VALU_DEP_1)
	v_pk_add_f32 v[102:103], v[102:103], v[116:117] neg_lo:[0,1] neg_hi:[0,1]
.LBB96_776:
	s_or_b32 exec_lo, exec_lo, s0
	v_lshl_add_u32 v104, v112, 3, v108
	s_barrier_signal -1
	s_barrier_wait -1
	ds_store_b64 v104, v[22:23]
	s_wait_dscnt 0x0
	s_barrier_signal -1
	s_barrier_wait -1
	ds_load_b64 v[104:105], v108 offset:296
	v_mov_b32_e32 v106, 37
	s_cmp_lt_i32 s18, 39
	s_cbranch_scc1 .LBB96_779
; %bb.777:
	v_add3_u32 v107, v109, 0, 0x130
	v_mov_b32_e32 v106, 37
	s_mov_b32 s0, 38
.LBB96_778:                             ; =>This Inner Loop Header: Depth=1
	ds_load_b64 v[114:115], v107
	s_wait_dscnt 0x1
	v_cmp_gt_f32_e32 vcc_lo, 0, v104
	v_cndmask_b32_e64 v116, v104, -v104, vcc_lo
	v_cmp_gt_f32_e32 vcc_lo, 0, v105
	v_cndmask_b32_e64 v118, v105, -v105, vcc_lo
	s_wait_dscnt 0x0
	v_cmp_gt_f32_e32 vcc_lo, 0, v114
	v_cndmask_b32_e64 v117, v114, -v114, vcc_lo
	v_cmp_gt_f32_e32 vcc_lo, 0, v115
	v_cndmask_b32_e64 v119, v115, -v115, vcc_lo
	s_delay_alu instid0(VALU_DEP_1) | instskip(NEXT) | instid1(VALU_DEP_1)
	v_pk_add_f32 v[116:117], v[116:117], v[118:119]
	v_cmp_lt_f32_e32 vcc_lo, v116, v117
	v_dual_cndmask_b32 v104, v104, v114 :: v_dual_add_nc_u32 v107, 8, v107
	v_cndmask_b32_e32 v105, v105, v115, vcc_lo
	v_cndmask_b32_e64 v106, v106, s0, vcc_lo
	s_add_co_i32 s0, s0, 1
	s_delay_alu instid0(SALU_CYCLE_1)
	s_cmp_lg_u32 s18, s0
	s_cbranch_scc1 .LBB96_778
.LBB96_779:
	s_wait_dscnt 0x0
	v_cmp_eq_f32_e32 vcc_lo, 0, v104
	v_cmp_eq_f32_e64 s0, 0, v105
	s_and_b32 s0, vcc_lo, s0
	s_delay_alu instid0(SALU_CYCLE_1) | instskip(NEXT) | instid1(SALU_CYCLE_1)
	s_and_saveexec_b32 s1, s0
	s_xor_b32 s0, exec_lo, s1
; %bb.780:
	v_cmp_ne_u32_e32 vcc_lo, 0, v110
	v_cndmask_b32_e32 v110, 38, v110, vcc_lo
; %bb.781:
	s_and_not1_saveexec_b32 s0, s0
	s_cbranch_execz .LBB96_787
; %bb.782:
	v_cmp_ngt_f32_e64 s1, |v104|, |v105|
	s_and_saveexec_b32 s12, s1
	s_delay_alu instid0(SALU_CYCLE_1)
	s_xor_b32 s1, exec_lo, s12
	s_cbranch_execz .LBB96_784
; %bb.783:
	v_div_scale_f32 v107, null, v105, v105, v104
	v_div_scale_f32 v115, vcc_lo, v104, v105, v104
	s_delay_alu instid0(VALU_DEP_2) | instskip(SKIP_1) | instid1(TRANS32_DEP_1)
	v_rcp_f32_e32 v113, v107
	v_nop
	v_fma_f32 v114, -v107, v113, 1.0
	s_delay_alu instid0(VALU_DEP_1) | instskip(NEXT) | instid1(VALU_DEP_1)
	v_fmac_f32_e32 v113, v114, v113
	v_mul_f32_e32 v114, v115, v113
	s_delay_alu instid0(VALU_DEP_1) | instskip(NEXT) | instid1(VALU_DEP_1)
	v_fma_f32 v116, -v107, v114, v115
	v_fmac_f32_e32 v114, v116, v113
	s_delay_alu instid0(VALU_DEP_1) | instskip(NEXT) | instid1(VALU_DEP_1)
	v_fma_f32 v107, -v107, v114, v115
	v_div_fmas_f32 v107, v107, v113, v114
	s_delay_alu instid0(VALU_DEP_1) | instskip(NEXT) | instid1(VALU_DEP_1)
	v_div_fixup_f32 v107, v107, v105, v104
	v_fmac_f32_e32 v105, v104, v107
	s_delay_alu instid0(VALU_DEP_1) | instskip(SKIP_1) | instid1(VALU_DEP_2)
	v_div_scale_f32 v104, null, v105, v105, 1.0
	v_div_scale_f32 v115, vcc_lo, 1.0, v105, 1.0
	v_rcp_f32_e32 v113, v104
	v_nop
	s_delay_alu instid0(TRANS32_DEP_1) | instskip(NEXT) | instid1(VALU_DEP_1)
	v_fma_f32 v114, -v104, v113, 1.0
	v_fmac_f32_e32 v113, v114, v113
	s_delay_alu instid0(VALU_DEP_1) | instskip(NEXT) | instid1(VALU_DEP_1)
	v_mul_f32_e32 v114, v115, v113
	v_fma_f32 v116, -v104, v114, v115
	s_delay_alu instid0(VALU_DEP_1) | instskip(NEXT) | instid1(VALU_DEP_1)
	v_fmac_f32_e32 v114, v116, v113
	v_fma_f32 v104, -v104, v114, v115
	s_delay_alu instid0(VALU_DEP_1) | instskip(NEXT) | instid1(VALU_DEP_1)
	v_div_fmas_f32 v104, v104, v113, v114
	v_div_fixup_f32 v105, v104, v105, 1.0
	s_delay_alu instid0(VALU_DEP_1)
	v_mul_f32_e32 v104, v107, v105
	v_xor_b32_e32 v105, 0x80000000, v105
.LBB96_784:
	s_and_not1_saveexec_b32 s1, s1
	s_cbranch_execz .LBB96_786
; %bb.785:
	s_delay_alu instid0(VALU_DEP_1) | instskip(SKIP_1) | instid1(VALU_DEP_2)
	v_div_scale_f32 v107, null, v104, v104, v105
	v_div_scale_f32 v115, vcc_lo, v105, v104, v105
	v_rcp_f32_e32 v113, v107
	v_nop
	s_delay_alu instid0(TRANS32_DEP_1) | instskip(NEXT) | instid1(VALU_DEP_1)
	v_fma_f32 v114, -v107, v113, 1.0
	v_fmac_f32_e32 v113, v114, v113
	s_delay_alu instid0(VALU_DEP_1) | instskip(NEXT) | instid1(VALU_DEP_1)
	v_mul_f32_e32 v114, v115, v113
	v_fma_f32 v116, -v107, v114, v115
	s_delay_alu instid0(VALU_DEP_1) | instskip(NEXT) | instid1(VALU_DEP_1)
	v_fmac_f32_e32 v114, v116, v113
	v_fma_f32 v107, -v107, v114, v115
	s_delay_alu instid0(VALU_DEP_1) | instskip(NEXT) | instid1(VALU_DEP_1)
	v_div_fmas_f32 v107, v107, v113, v114
	v_div_fixup_f32 v107, v107, v104, v105
	s_delay_alu instid0(VALU_DEP_1) | instskip(NEXT) | instid1(VALU_DEP_1)
	v_fmac_f32_e32 v104, v105, v107
	v_div_scale_f32 v105, null, v104, v104, 1.0
	s_delay_alu instid0(VALU_DEP_1) | instskip(SKIP_1) | instid1(TRANS32_DEP_1)
	v_rcp_f32_e32 v113, v105
	v_nop
	v_fma_f32 v114, -v105, v113, 1.0
	s_delay_alu instid0(VALU_DEP_1) | instskip(SKIP_1) | instid1(VALU_DEP_1)
	v_fmac_f32_e32 v113, v114, v113
	v_div_scale_f32 v114, vcc_lo, 1.0, v104, 1.0
	v_mul_f32_e32 v115, v114, v113
	s_delay_alu instid0(VALU_DEP_1) | instskip(NEXT) | instid1(VALU_DEP_1)
	v_fma_f32 v116, -v105, v115, v114
	v_fmac_f32_e32 v115, v116, v113
	s_delay_alu instid0(VALU_DEP_1) | instskip(NEXT) | instid1(VALU_DEP_1)
	v_fma_f32 v105, -v105, v115, v114
	v_div_fmas_f32 v105, v105, v113, v115
	s_delay_alu instid0(VALU_DEP_1) | instskip(NEXT) | instid1(VALU_DEP_1)
	v_div_fixup_f32 v104, v105, v104, 1.0
	v_mul_f32_e64 v105, v107, -v104
.LBB96_786:
	s_or_b32 exec_lo, exec_lo, s1
.LBB96_787:
	s_delay_alu instid0(SALU_CYCLE_1) | instskip(NEXT) | instid1(SALU_CYCLE_1)
	s_or_b32 exec_lo, exec_lo, s0
	s_mov_b32 s0, exec_lo
	v_cmpx_ne_u32_e64 v112, v106
	s_xor_b32 s0, exec_lo, s0
	s_cbranch_execz .LBB96_793
; %bb.788:
	s_mov_b32 s1, exec_lo
	v_cmpx_eq_u32_e32 37, v112
	s_cbranch_execz .LBB96_792
; %bb.789:
	v_cmp_ne_u32_e32 vcc_lo, 37, v106
	s_xor_b32 s12, s16, -1
	s_delay_alu instid0(SALU_CYCLE_1) | instskip(NEXT) | instid1(SALU_CYCLE_1)
	s_and_b32 s13, s12, vcc_lo
	s_and_saveexec_b32 s12, s13
	s_cbranch_execz .LBB96_791
; %bb.790:
	v_ashrrev_i32_e32 v107, 31, v106
	s_delay_alu instid0(VALU_DEP_1)
	v_lshl_add_u64 v[112:113], v[106:107], 2, v[4:5]
	s_clause 0x1
	global_load_b32 v107, v[112:113], off
	global_load_b32 v111, v[4:5], off offset:148
	s_wait_loadcnt 0x1
	global_store_b32 v[4:5], v107, off offset:148
	s_wait_loadcnt 0x0
	global_store_b32 v[112:113], v111, off
.LBB96_791:
	s_wait_xcnt 0x0
	s_or_b32 exec_lo, exec_lo, s12
	v_dual_mov_b32 v112, v106 :: v_dual_mov_b32 v111, v106
.LBB96_792:
	s_or_b32 exec_lo, exec_lo, s1
.LBB96_793:
	s_and_not1_saveexec_b32 s0, s0
	s_cbranch_execz .LBB96_795
; %bb.794:
	v_dual_mov_b32 v106, v24 :: v_dual_mov_b32 v107, v25
	v_dual_mov_b32 v112, v20 :: v_dual_mov_b32 v113, v21
	ds_store_2addr_b64 v108, v[106:107], v[112:113] offset0:38 offset1:39
	v_dual_mov_b32 v106, v14 :: v_dual_mov_b32 v107, v15
	v_dual_mov_b32 v112, v10 :: v_dual_mov_b32 v113, v11
	ds_store_2addr_b64 v108, v[106:107], v[112:113] offset0:40 offset1:41
	;; [unrolled: 3-line block ×5, first 2 shown]
	ds_store_b64 v108, v[102:103] offset:384
	v_mov_b32_e32 v112, 37
.LBB96_795:
	s_or_b32 exec_lo, exec_lo, s0
	s_delay_alu instid0(SALU_CYCLE_1)
	s_mov_b32 s0, exec_lo
	s_wait_storecnt_dscnt 0x0
	s_barrier_signal -1
	s_barrier_wait -1
	v_cmpx_lt_i32_e32 37, v112
	s_cbranch_execz .LBB96_797
; %bb.796:
	v_pk_mul_f32 v[106:107], v[104:105], v[22:23] op_sel:[1,1] op_sel_hi:[0,1]
	s_delay_alu instid0(VALU_DEP_1)
	v_pk_fma_f32 v[114:115], v[104:105], v[22:23], v[106:107] op_sel_hi:[1,0,1] neg_lo:[0,0,1] neg_hi:[0,0,1]
	v_pk_fma_f32 v[116:117], v[104:105], v[22:23], v[106:107] op_sel_hi:[1,0,1]
	ds_load_2addr_b64 v[104:107], v108 offset0:38 offset1:39
	v_dual_mov_b32 v22, v114 :: v_dual_mov_b32 v23, v117
	s_wait_dscnt 0x0
	v_pk_mul_f32 v[118:119], v[104:105], v[116:117] op_sel:[0,1]
	s_delay_alu instid0(VALU_DEP_1) | instskip(SKIP_1) | instid1(VALU_DEP_1)
	v_pk_fma_f32 v[120:121], v[104:105], v[114:115], v[118:119] op_sel:[0,0,1] op_sel_hi:[1,1,0] neg_lo:[0,0,1] neg_hi:[0,0,1]
	v_pk_fma_f32 v[104:105], v[104:105], v[114:115], v[118:119] op_sel:[0,0,1] op_sel_hi:[1,0,0]
	v_mov_b32_e32 v121, v105
	v_pk_mul_f32 v[104:105], v[106:107], v[116:117] op_sel:[0,1]
	s_delay_alu instid0(VALU_DEP_1) | instskip(SKIP_1) | instid1(VALU_DEP_1)
	v_pk_fma_f32 v[118:119], v[106:107], v[114:115], v[104:105] op_sel:[0,0,1] op_sel_hi:[1,1,0] neg_lo:[0,0,1] neg_hi:[0,0,1]
	v_pk_fma_f32 v[104:105], v[106:107], v[114:115], v[104:105] op_sel:[0,0,1] op_sel_hi:[1,0,0]
	v_mov_b32_e32 v119, v105
	ds_load_2addr_b64 v[104:107], v108 offset0:40 offset1:41
	v_pk_add_f32 v[24:25], v[24:25], v[120:121] neg_lo:[0,1] neg_hi:[0,1]
	v_pk_add_f32 v[20:21], v[20:21], v[118:119] neg_lo:[0,1] neg_hi:[0,1]
	s_wait_dscnt 0x0
	v_pk_mul_f32 v[118:119], v[104:105], v[116:117] op_sel:[0,1]
	s_delay_alu instid0(VALU_DEP_1) | instskip(SKIP_2) | instid1(VALU_DEP_2)
	v_pk_fma_f32 v[120:121], v[104:105], v[114:115], v[118:119] op_sel:[0,0,1] op_sel_hi:[1,1,0] neg_lo:[0,0,1] neg_hi:[0,0,1]
	v_pk_fma_f32 v[104:105], v[104:105], v[114:115], v[118:119] op_sel:[0,0,1] op_sel_hi:[1,0,0]
	v_dual_mul_f32 v118, v107, v117 :: v_dual_mov_b32 v104, v107
	v_dual_mov_b32 v121, v105 :: v_dual_mov_b32 v105, v106
	s_delay_alu instid0(VALU_DEP_2) | instskip(SKIP_1) | instid1(VALU_DEP_3)
	v_pk_fma_f32 v[118:119], v[106:107], v[22:23], v[118:119] op_sel_hi:[1,1,0] neg_lo:[0,0,1] neg_hi:[0,0,1]
	v_mul_f32_e32 v106, v107, v114
	v_pk_add_f32 v[14:15], v[14:15], v[120:121] neg_lo:[0,1] neg_hi:[0,1]
	s_delay_alu instid0(VALU_DEP_2) | instskip(NEXT) | instid1(VALU_DEP_1)
	v_pk_fma_f32 v[104:105], v[104:105], v[22:23], v[106:107] op_sel_hi:[1,1,0]
	v_mov_b32_e32 v119, v105
	ds_load_2addr_b64 v[104:107], v108 offset0:42 offset1:43
	v_pk_add_f32 v[10:11], v[10:11], v[118:119] neg_lo:[0,1] neg_hi:[0,1]
	s_wait_dscnt 0x0
	v_pk_mul_f32 v[118:119], v[104:105], v[116:117] op_sel:[0,1]
	s_delay_alu instid0(VALU_DEP_1) | instskip(SKIP_1) | instid1(VALU_DEP_1)
	v_pk_fma_f32 v[120:121], v[104:105], v[114:115], v[118:119] op_sel:[0,0,1] op_sel_hi:[1,1,0] neg_lo:[0,0,1] neg_hi:[0,0,1]
	v_pk_fma_f32 v[104:105], v[104:105], v[114:115], v[118:119] op_sel:[0,0,1] op_sel_hi:[1,0,0]
	v_mov_b32_e32 v121, v105
	v_pk_mul_f32 v[104:105], v[106:107], v[116:117] op_sel:[0,1]
	s_delay_alu instid0(VALU_DEP_1) | instskip(SKIP_1) | instid1(VALU_DEP_1)
	v_pk_fma_f32 v[118:119], v[106:107], v[114:115], v[104:105] op_sel:[0,0,1] op_sel_hi:[1,1,0] neg_lo:[0,0,1] neg_hi:[0,0,1]
	v_pk_fma_f32 v[104:105], v[106:107], v[114:115], v[104:105] op_sel:[0,0,1] op_sel_hi:[1,0,0]
	v_mov_b32_e32 v119, v105
	ds_load_2addr_b64 v[104:107], v108 offset0:44 offset1:45
	v_pk_add_f32 v[12:13], v[12:13], v[120:121] neg_lo:[0,1] neg_hi:[0,1]
	v_pk_add_f32 v[8:9], v[8:9], v[118:119] neg_lo:[0,1] neg_hi:[0,1]
	s_wait_dscnt 0x0
	v_pk_mul_f32 v[118:119], v[104:105], v[116:117] op_sel:[0,1]
	s_delay_alu instid0(VALU_DEP_1) | instskip(SKIP_1) | instid1(VALU_DEP_1)
	v_pk_fma_f32 v[120:121], v[104:105], v[114:115], v[118:119] op_sel:[0,0,1] op_sel_hi:[1,1,0] neg_lo:[0,0,1] neg_hi:[0,0,1]
	v_pk_fma_f32 v[104:105], v[104:105], v[114:115], v[118:119] op_sel:[0,0,1] op_sel_hi:[1,0,0]
	v_mov_b32_e32 v121, v105
	v_pk_mul_f32 v[104:105], v[106:107], v[116:117] op_sel:[0,1]
	s_delay_alu instid0(VALU_DEP_1) | instskip(SKIP_1) | instid1(VALU_DEP_1)
	v_pk_fma_f32 v[118:119], v[106:107], v[114:115], v[104:105] op_sel:[0,0,1] op_sel_hi:[1,1,0] neg_lo:[0,0,1] neg_hi:[0,0,1]
	v_pk_fma_f32 v[104:105], v[106:107], v[114:115], v[104:105] op_sel:[0,0,1] op_sel_hi:[1,0,0]
	v_mov_b32_e32 v119, v105
	ds_load_2addr_b64 v[104:107], v108 offset0:46 offset1:47
	v_pk_add_f32 v[6:7], v[6:7], v[120:121] neg_lo:[0,1] neg_hi:[0,1]
	v_pk_add_f32 v[28:29], v[28:29], v[118:119] neg_lo:[0,1] neg_hi:[0,1]
	s_wait_dscnt 0x0
	v_dual_mul_f32 v118, v105, v117 :: v_dual_mul_f32 v120, v105, v114
	s_delay_alu instid0(VALU_DEP_1) | instskip(NEXT) | instid1(VALU_DEP_2)
	v_pk_fma_f32 v[118:119], v[104:105], v[22:23], v[118:119] op_sel_hi:[1,1,0] neg_lo:[0,0,1] neg_hi:[0,0,1]
	v_pk_fma_f32 v[104:105], v[104:105], v[22:23], v[120:121] op_sel:[1,0,0] op_sel_hi:[0,1,0]
	s_delay_alu instid0(VALU_DEP_1) | instskip(SKIP_1) | instid1(VALU_DEP_2)
	v_mov_b32_e32 v119, v105
	v_pk_mul_f32 v[104:105], v[106:107], v[116:117] op_sel:[0,1]
	v_pk_add_f32 v[18:19], v[18:19], v[118:119] neg_lo:[0,1] neg_hi:[0,1]
	s_delay_alu instid0(VALU_DEP_2) | instskip(SKIP_1) | instid1(VALU_DEP_1)
	v_pk_fma_f32 v[118:119], v[106:107], v[114:115], v[104:105] op_sel:[0,0,1] op_sel_hi:[1,1,0] neg_lo:[0,0,1] neg_hi:[0,0,1]
	v_pk_fma_f32 v[104:105], v[106:107], v[114:115], v[104:105] op_sel:[0,0,1] op_sel_hi:[1,0,0]
	v_mov_b32_e32 v119, v105
	ds_load_b64 v[104:105], v108 offset:384
	v_pk_add_f32 v[16:17], v[16:17], v[118:119] neg_lo:[0,1] neg_hi:[0,1]
	s_wait_dscnt 0x0
	v_pk_mul_f32 v[106:107], v[104:105], v[116:117] op_sel:[0,1]
	s_delay_alu instid0(VALU_DEP_1) | instskip(SKIP_1) | instid1(VALU_DEP_1)
	v_pk_fma_f32 v[116:117], v[104:105], v[114:115], v[106:107] op_sel:[0,0,1] op_sel_hi:[1,1,0] neg_lo:[0,0,1] neg_hi:[0,0,1]
	v_pk_fma_f32 v[104:105], v[104:105], v[114:115], v[106:107] op_sel:[0,0,1] op_sel_hi:[1,0,0]
	v_mov_b32_e32 v117, v105
	s_delay_alu instid0(VALU_DEP_1)
	v_pk_add_f32 v[102:103], v[102:103], v[116:117] neg_lo:[0,1] neg_hi:[0,1]
.LBB96_797:
	s_or_b32 exec_lo, exec_lo, s0
	v_lshl_add_u32 v104, v112, 3, v108
	s_barrier_signal -1
	s_barrier_wait -1
	ds_store_b64 v104, v[24:25]
	s_wait_dscnt 0x0
	s_barrier_signal -1
	s_barrier_wait -1
	ds_load_b64 v[104:105], v108 offset:304
	v_mov_b32_e32 v106, 38
	s_cmp_lt_i32 s18, 40
	s_cbranch_scc1 .LBB96_800
; %bb.798:
	v_add3_u32 v107, v109, 0, 0x138
	v_mov_b32_e32 v106, 38
	s_mov_b32 s0, 39
.LBB96_799:                             ; =>This Inner Loop Header: Depth=1
	ds_load_b64 v[114:115], v107
	s_wait_dscnt 0x1
	v_cmp_gt_f32_e32 vcc_lo, 0, v104
	v_cndmask_b32_e64 v116, v104, -v104, vcc_lo
	v_cmp_gt_f32_e32 vcc_lo, 0, v105
	v_cndmask_b32_e64 v118, v105, -v105, vcc_lo
	s_wait_dscnt 0x0
	v_cmp_gt_f32_e32 vcc_lo, 0, v114
	v_cndmask_b32_e64 v117, v114, -v114, vcc_lo
	v_cmp_gt_f32_e32 vcc_lo, 0, v115
	v_cndmask_b32_e64 v119, v115, -v115, vcc_lo
	s_delay_alu instid0(VALU_DEP_1) | instskip(NEXT) | instid1(VALU_DEP_1)
	v_pk_add_f32 v[116:117], v[116:117], v[118:119]
	v_cmp_lt_f32_e32 vcc_lo, v116, v117
	v_dual_cndmask_b32 v104, v104, v114 :: v_dual_add_nc_u32 v107, 8, v107
	v_cndmask_b32_e32 v105, v105, v115, vcc_lo
	v_cndmask_b32_e64 v106, v106, s0, vcc_lo
	s_add_co_i32 s0, s0, 1
	s_delay_alu instid0(SALU_CYCLE_1)
	s_cmp_lg_u32 s18, s0
	s_cbranch_scc1 .LBB96_799
.LBB96_800:
	s_wait_dscnt 0x0
	v_cmp_eq_f32_e32 vcc_lo, 0, v104
	v_cmp_eq_f32_e64 s0, 0, v105
	s_and_b32 s0, vcc_lo, s0
	s_delay_alu instid0(SALU_CYCLE_1) | instskip(NEXT) | instid1(SALU_CYCLE_1)
	s_and_saveexec_b32 s1, s0
	s_xor_b32 s0, exec_lo, s1
; %bb.801:
	v_cmp_ne_u32_e32 vcc_lo, 0, v110
	v_cndmask_b32_e32 v110, 39, v110, vcc_lo
; %bb.802:
	s_and_not1_saveexec_b32 s0, s0
	s_cbranch_execz .LBB96_808
; %bb.803:
	v_cmp_ngt_f32_e64 s1, |v104|, |v105|
	s_and_saveexec_b32 s12, s1
	s_delay_alu instid0(SALU_CYCLE_1)
	s_xor_b32 s1, exec_lo, s12
	s_cbranch_execz .LBB96_805
; %bb.804:
	v_div_scale_f32 v107, null, v105, v105, v104
	v_div_scale_f32 v115, vcc_lo, v104, v105, v104
	s_delay_alu instid0(VALU_DEP_2) | instskip(SKIP_1) | instid1(TRANS32_DEP_1)
	v_rcp_f32_e32 v113, v107
	v_nop
	v_fma_f32 v114, -v107, v113, 1.0
	s_delay_alu instid0(VALU_DEP_1) | instskip(NEXT) | instid1(VALU_DEP_1)
	v_fmac_f32_e32 v113, v114, v113
	v_mul_f32_e32 v114, v115, v113
	s_delay_alu instid0(VALU_DEP_1) | instskip(NEXT) | instid1(VALU_DEP_1)
	v_fma_f32 v116, -v107, v114, v115
	v_fmac_f32_e32 v114, v116, v113
	s_delay_alu instid0(VALU_DEP_1) | instskip(NEXT) | instid1(VALU_DEP_1)
	v_fma_f32 v107, -v107, v114, v115
	v_div_fmas_f32 v107, v107, v113, v114
	s_delay_alu instid0(VALU_DEP_1) | instskip(NEXT) | instid1(VALU_DEP_1)
	v_div_fixup_f32 v107, v107, v105, v104
	v_fmac_f32_e32 v105, v104, v107
	s_delay_alu instid0(VALU_DEP_1) | instskip(SKIP_1) | instid1(VALU_DEP_2)
	v_div_scale_f32 v104, null, v105, v105, 1.0
	v_div_scale_f32 v115, vcc_lo, 1.0, v105, 1.0
	v_rcp_f32_e32 v113, v104
	v_nop
	s_delay_alu instid0(TRANS32_DEP_1) | instskip(NEXT) | instid1(VALU_DEP_1)
	v_fma_f32 v114, -v104, v113, 1.0
	v_fmac_f32_e32 v113, v114, v113
	s_delay_alu instid0(VALU_DEP_1) | instskip(NEXT) | instid1(VALU_DEP_1)
	v_mul_f32_e32 v114, v115, v113
	v_fma_f32 v116, -v104, v114, v115
	s_delay_alu instid0(VALU_DEP_1) | instskip(NEXT) | instid1(VALU_DEP_1)
	v_fmac_f32_e32 v114, v116, v113
	v_fma_f32 v104, -v104, v114, v115
	s_delay_alu instid0(VALU_DEP_1) | instskip(NEXT) | instid1(VALU_DEP_1)
	v_div_fmas_f32 v104, v104, v113, v114
	v_div_fixup_f32 v105, v104, v105, 1.0
	s_delay_alu instid0(VALU_DEP_1)
	v_mul_f32_e32 v104, v107, v105
	v_xor_b32_e32 v105, 0x80000000, v105
.LBB96_805:
	s_and_not1_saveexec_b32 s1, s1
	s_cbranch_execz .LBB96_807
; %bb.806:
	s_delay_alu instid0(VALU_DEP_1) | instskip(SKIP_1) | instid1(VALU_DEP_2)
	v_div_scale_f32 v107, null, v104, v104, v105
	v_div_scale_f32 v115, vcc_lo, v105, v104, v105
	v_rcp_f32_e32 v113, v107
	v_nop
	s_delay_alu instid0(TRANS32_DEP_1) | instskip(NEXT) | instid1(VALU_DEP_1)
	v_fma_f32 v114, -v107, v113, 1.0
	v_fmac_f32_e32 v113, v114, v113
	s_delay_alu instid0(VALU_DEP_1) | instskip(NEXT) | instid1(VALU_DEP_1)
	v_mul_f32_e32 v114, v115, v113
	v_fma_f32 v116, -v107, v114, v115
	s_delay_alu instid0(VALU_DEP_1) | instskip(NEXT) | instid1(VALU_DEP_1)
	v_fmac_f32_e32 v114, v116, v113
	v_fma_f32 v107, -v107, v114, v115
	s_delay_alu instid0(VALU_DEP_1) | instskip(NEXT) | instid1(VALU_DEP_1)
	v_div_fmas_f32 v107, v107, v113, v114
	v_div_fixup_f32 v107, v107, v104, v105
	s_delay_alu instid0(VALU_DEP_1) | instskip(NEXT) | instid1(VALU_DEP_1)
	v_fmac_f32_e32 v104, v105, v107
	v_div_scale_f32 v105, null, v104, v104, 1.0
	s_delay_alu instid0(VALU_DEP_1) | instskip(SKIP_1) | instid1(TRANS32_DEP_1)
	v_rcp_f32_e32 v113, v105
	v_nop
	v_fma_f32 v114, -v105, v113, 1.0
	s_delay_alu instid0(VALU_DEP_1) | instskip(SKIP_1) | instid1(VALU_DEP_1)
	v_fmac_f32_e32 v113, v114, v113
	v_div_scale_f32 v114, vcc_lo, 1.0, v104, 1.0
	v_mul_f32_e32 v115, v114, v113
	s_delay_alu instid0(VALU_DEP_1) | instskip(NEXT) | instid1(VALU_DEP_1)
	v_fma_f32 v116, -v105, v115, v114
	v_fmac_f32_e32 v115, v116, v113
	s_delay_alu instid0(VALU_DEP_1) | instskip(NEXT) | instid1(VALU_DEP_1)
	v_fma_f32 v105, -v105, v115, v114
	v_div_fmas_f32 v105, v105, v113, v115
	s_delay_alu instid0(VALU_DEP_1) | instskip(NEXT) | instid1(VALU_DEP_1)
	v_div_fixup_f32 v104, v105, v104, 1.0
	v_mul_f32_e64 v105, v107, -v104
.LBB96_807:
	s_or_b32 exec_lo, exec_lo, s1
.LBB96_808:
	s_delay_alu instid0(SALU_CYCLE_1) | instskip(NEXT) | instid1(SALU_CYCLE_1)
	s_or_b32 exec_lo, exec_lo, s0
	s_mov_b32 s0, exec_lo
	v_cmpx_ne_u32_e64 v112, v106
	s_xor_b32 s0, exec_lo, s0
	s_cbranch_execz .LBB96_814
; %bb.809:
	s_mov_b32 s1, exec_lo
	v_cmpx_eq_u32_e32 38, v112
	s_cbranch_execz .LBB96_813
; %bb.810:
	v_cmp_ne_u32_e32 vcc_lo, 38, v106
	s_xor_b32 s12, s16, -1
	s_delay_alu instid0(SALU_CYCLE_1) | instskip(NEXT) | instid1(SALU_CYCLE_1)
	s_and_b32 s13, s12, vcc_lo
	s_and_saveexec_b32 s12, s13
	s_cbranch_execz .LBB96_812
; %bb.811:
	v_ashrrev_i32_e32 v107, 31, v106
	s_delay_alu instid0(VALU_DEP_1)
	v_lshl_add_u64 v[112:113], v[106:107], 2, v[4:5]
	s_clause 0x1
	global_load_b32 v107, v[112:113], off
	global_load_b32 v111, v[4:5], off offset:152
	s_wait_loadcnt 0x1
	global_store_b32 v[4:5], v107, off offset:152
	s_wait_loadcnt 0x0
	global_store_b32 v[112:113], v111, off
.LBB96_812:
	s_wait_xcnt 0x0
	s_or_b32 exec_lo, exec_lo, s12
	v_dual_mov_b32 v112, v106 :: v_dual_mov_b32 v111, v106
.LBB96_813:
	s_or_b32 exec_lo, exec_lo, s1
.LBB96_814:
	s_and_not1_saveexec_b32 s0, s0
	s_cbranch_execz .LBB96_816
; %bb.815:
	v_mov_b32_e32 v112, 38
	ds_store_2addr_b64 v108, v[20:21], v[14:15] offset0:39 offset1:40
	ds_store_2addr_b64 v108, v[10:11], v[12:13] offset0:41 offset1:42
	;; [unrolled: 1-line block ×5, first 2 shown]
.LBB96_816:
	s_or_b32 exec_lo, exec_lo, s0
	s_delay_alu instid0(SALU_CYCLE_1)
	s_mov_b32 s0, exec_lo
	s_wait_storecnt_dscnt 0x0
	s_barrier_signal -1
	s_barrier_wait -1
	v_cmpx_lt_i32_e32 38, v112
	s_cbranch_execz .LBB96_818
; %bb.817:
	v_pk_mul_f32 v[106:107], v[104:105], v[24:25] op_sel:[1,1] op_sel_hi:[0,1]
	s_delay_alu instid0(VALU_DEP_1)
	v_pk_fma_f32 v[114:115], v[104:105], v[24:25], v[106:107] op_sel_hi:[1,0,1] neg_lo:[0,0,1] neg_hi:[0,0,1]
	v_pk_fma_f32 v[116:117], v[104:105], v[24:25], v[106:107] op_sel_hi:[1,0,1]
	ds_load_2addr_b64 v[104:107], v108 offset0:39 offset1:40
	v_dual_mov_b32 v24, v114 :: v_dual_mov_b32 v25, v117
	s_wait_dscnt 0x0
	v_pk_mul_f32 v[118:119], v[104:105], v[116:117] op_sel:[0,1]
	s_delay_alu instid0(VALU_DEP_1) | instskip(SKIP_1) | instid1(VALU_DEP_1)
	v_pk_fma_f32 v[120:121], v[104:105], v[114:115], v[118:119] op_sel:[0,0,1] op_sel_hi:[1,1,0] neg_lo:[0,0,1] neg_hi:[0,0,1]
	v_pk_fma_f32 v[104:105], v[104:105], v[114:115], v[118:119] op_sel:[0,0,1] op_sel_hi:[1,0,0]
	v_mov_b32_e32 v121, v105
	v_pk_mul_f32 v[104:105], v[106:107], v[116:117] op_sel:[0,1]
	s_delay_alu instid0(VALU_DEP_1) | instskip(SKIP_1) | instid1(VALU_DEP_1)
	v_pk_fma_f32 v[118:119], v[106:107], v[114:115], v[104:105] op_sel:[0,0,1] op_sel_hi:[1,1,0] neg_lo:[0,0,1] neg_hi:[0,0,1]
	v_pk_fma_f32 v[104:105], v[106:107], v[114:115], v[104:105] op_sel:[0,0,1] op_sel_hi:[1,0,0]
	v_mov_b32_e32 v119, v105
	ds_load_2addr_b64 v[104:107], v108 offset0:41 offset1:42
	v_pk_add_f32 v[20:21], v[20:21], v[120:121] neg_lo:[0,1] neg_hi:[0,1]
	v_pk_add_f32 v[14:15], v[14:15], v[118:119] neg_lo:[0,1] neg_hi:[0,1]
	s_wait_dscnt 0x0
	v_pk_mul_f32 v[118:119], v[104:105], v[116:117] op_sel:[0,1]
	s_delay_alu instid0(VALU_DEP_1) | instskip(SKIP_2) | instid1(VALU_DEP_2)
	v_pk_fma_f32 v[120:121], v[104:105], v[114:115], v[118:119] op_sel:[0,0,1] op_sel_hi:[1,1,0] neg_lo:[0,0,1] neg_hi:[0,0,1]
	v_pk_fma_f32 v[104:105], v[104:105], v[114:115], v[118:119] op_sel:[0,0,1] op_sel_hi:[1,0,0]
	v_dual_mul_f32 v118, v107, v117 :: v_dual_mov_b32 v104, v107
	v_dual_mov_b32 v121, v105 :: v_dual_mov_b32 v105, v106
	s_delay_alu instid0(VALU_DEP_2) | instskip(SKIP_1) | instid1(VALU_DEP_3)
	v_pk_fma_f32 v[118:119], v[106:107], v[24:25], v[118:119] op_sel_hi:[1,1,0] neg_lo:[0,0,1] neg_hi:[0,0,1]
	v_mul_f32_e32 v106, v107, v114
	v_pk_add_f32 v[10:11], v[10:11], v[120:121] neg_lo:[0,1] neg_hi:[0,1]
	s_delay_alu instid0(VALU_DEP_2) | instskip(NEXT) | instid1(VALU_DEP_1)
	v_pk_fma_f32 v[104:105], v[104:105], v[24:25], v[106:107] op_sel_hi:[1,1,0]
	v_mov_b32_e32 v119, v105
	ds_load_2addr_b64 v[104:107], v108 offset0:43 offset1:44
	v_pk_add_f32 v[12:13], v[12:13], v[118:119] neg_lo:[0,1] neg_hi:[0,1]
	s_wait_dscnt 0x0
	v_pk_mul_f32 v[118:119], v[104:105], v[116:117] op_sel:[0,1]
	s_delay_alu instid0(VALU_DEP_1) | instskip(SKIP_1) | instid1(VALU_DEP_1)
	v_pk_fma_f32 v[120:121], v[104:105], v[114:115], v[118:119] op_sel:[0,0,1] op_sel_hi:[1,1,0] neg_lo:[0,0,1] neg_hi:[0,0,1]
	v_pk_fma_f32 v[104:105], v[104:105], v[114:115], v[118:119] op_sel:[0,0,1] op_sel_hi:[1,0,0]
	v_mov_b32_e32 v121, v105
	v_pk_mul_f32 v[104:105], v[106:107], v[116:117] op_sel:[0,1]
	s_delay_alu instid0(VALU_DEP_1) | instskip(SKIP_1) | instid1(VALU_DEP_1)
	v_pk_fma_f32 v[118:119], v[106:107], v[114:115], v[104:105] op_sel:[0,0,1] op_sel_hi:[1,1,0] neg_lo:[0,0,1] neg_hi:[0,0,1]
	v_pk_fma_f32 v[104:105], v[106:107], v[114:115], v[104:105] op_sel:[0,0,1] op_sel_hi:[1,0,0]
	v_mov_b32_e32 v119, v105
	ds_load_2addr_b64 v[104:107], v108 offset0:45 offset1:46
	v_pk_add_f32 v[8:9], v[8:9], v[120:121] neg_lo:[0,1] neg_hi:[0,1]
	v_pk_add_f32 v[6:7], v[6:7], v[118:119] neg_lo:[0,1] neg_hi:[0,1]
	s_wait_dscnt 0x0
	v_pk_mul_f32 v[118:119], v[104:105], v[116:117] op_sel:[0,1]
	s_delay_alu instid0(VALU_DEP_1) | instskip(SKIP_1) | instid1(VALU_DEP_1)
	v_pk_fma_f32 v[120:121], v[104:105], v[114:115], v[118:119] op_sel:[0,0,1] op_sel_hi:[1,1,0] neg_lo:[0,0,1] neg_hi:[0,0,1]
	v_pk_fma_f32 v[104:105], v[104:105], v[114:115], v[118:119] op_sel:[0,0,1] op_sel_hi:[1,0,0]
	v_mov_b32_e32 v121, v105
	v_pk_mul_f32 v[104:105], v[106:107], v[116:117] op_sel:[0,1]
	s_delay_alu instid0(VALU_DEP_1) | instskip(SKIP_1) | instid1(VALU_DEP_1)
	v_pk_fma_f32 v[118:119], v[106:107], v[114:115], v[104:105] op_sel:[0,0,1] op_sel_hi:[1,1,0] neg_lo:[0,0,1] neg_hi:[0,0,1]
	v_pk_fma_f32 v[104:105], v[106:107], v[114:115], v[104:105] op_sel:[0,0,1] op_sel_hi:[1,0,0]
	v_mov_b32_e32 v119, v105
	ds_load_2addr_b64 v[104:107], v108 offset0:47 offset1:48
	v_pk_add_f32 v[28:29], v[28:29], v[120:121] neg_lo:[0,1] neg_hi:[0,1]
	v_pk_add_f32 v[18:19], v[18:19], v[118:119] neg_lo:[0,1] neg_hi:[0,1]
	s_wait_dscnt 0x0
	v_dual_mul_f32 v118, v105, v117 :: v_dual_mul_f32 v120, v105, v114
	s_delay_alu instid0(VALU_DEP_1) | instskip(NEXT) | instid1(VALU_DEP_2)
	v_pk_fma_f32 v[118:119], v[104:105], v[24:25], v[118:119] op_sel_hi:[1,1,0] neg_lo:[0,0,1] neg_hi:[0,0,1]
	v_pk_fma_f32 v[104:105], v[104:105], v[24:25], v[120:121] op_sel:[1,0,0] op_sel_hi:[0,1,0]
	s_delay_alu instid0(VALU_DEP_1) | instskip(SKIP_1) | instid1(VALU_DEP_1)
	v_mov_b32_e32 v119, v105
	v_pk_mul_f32 v[104:105], v[106:107], v[116:117] op_sel:[0,1]
	v_pk_fma_f32 v[116:117], v[106:107], v[114:115], v[104:105] op_sel:[0,0,1] op_sel_hi:[1,1,0] neg_lo:[0,0,1] neg_hi:[0,0,1]
	v_pk_fma_f32 v[104:105], v[106:107], v[114:115], v[104:105] op_sel:[0,0,1] op_sel_hi:[1,0,0]
	s_delay_alu instid0(VALU_DEP_1) | instskip(SKIP_1) | instid1(VALU_DEP_2)
	v_mov_b32_e32 v117, v105
	v_pk_add_f32 v[16:17], v[16:17], v[118:119] neg_lo:[0,1] neg_hi:[0,1]
	v_pk_add_f32 v[102:103], v[102:103], v[116:117] neg_lo:[0,1] neg_hi:[0,1]
.LBB96_818:
	s_or_b32 exec_lo, exec_lo, s0
	v_lshl_add_u32 v104, v112, 3, v108
	s_barrier_signal -1
	s_barrier_wait -1
	ds_store_b64 v104, v[20:21]
	s_wait_dscnt 0x0
	s_barrier_signal -1
	s_barrier_wait -1
	ds_load_b64 v[104:105], v108 offset:312
	v_mov_b32_e32 v106, 39
	s_cmp_lt_i32 s18, 41
	s_cbranch_scc1 .LBB96_821
; %bb.819:
	v_add3_u32 v107, v109, 0, 0x140
	v_mov_b32_e32 v106, 39
	s_mov_b32 s0, 40
.LBB96_820:                             ; =>This Inner Loop Header: Depth=1
	ds_load_b64 v[114:115], v107
	s_wait_dscnt 0x1
	v_cmp_gt_f32_e32 vcc_lo, 0, v104
	v_cndmask_b32_e64 v116, v104, -v104, vcc_lo
	v_cmp_gt_f32_e32 vcc_lo, 0, v105
	v_cndmask_b32_e64 v118, v105, -v105, vcc_lo
	s_wait_dscnt 0x0
	v_cmp_gt_f32_e32 vcc_lo, 0, v114
	v_cndmask_b32_e64 v117, v114, -v114, vcc_lo
	v_cmp_gt_f32_e32 vcc_lo, 0, v115
	v_cndmask_b32_e64 v119, v115, -v115, vcc_lo
	s_delay_alu instid0(VALU_DEP_1) | instskip(NEXT) | instid1(VALU_DEP_1)
	v_pk_add_f32 v[116:117], v[116:117], v[118:119]
	v_cmp_lt_f32_e32 vcc_lo, v116, v117
	v_dual_cndmask_b32 v104, v104, v114 :: v_dual_add_nc_u32 v107, 8, v107
	v_cndmask_b32_e32 v105, v105, v115, vcc_lo
	v_cndmask_b32_e64 v106, v106, s0, vcc_lo
	s_add_co_i32 s0, s0, 1
	s_delay_alu instid0(SALU_CYCLE_1)
	s_cmp_lg_u32 s18, s0
	s_cbranch_scc1 .LBB96_820
.LBB96_821:
	s_wait_dscnt 0x0
	v_cmp_eq_f32_e32 vcc_lo, 0, v104
	v_cmp_eq_f32_e64 s0, 0, v105
	s_and_b32 s0, vcc_lo, s0
	s_delay_alu instid0(SALU_CYCLE_1) | instskip(NEXT) | instid1(SALU_CYCLE_1)
	s_and_saveexec_b32 s1, s0
	s_xor_b32 s0, exec_lo, s1
; %bb.822:
	v_cmp_ne_u32_e32 vcc_lo, 0, v110
	v_cndmask_b32_e32 v110, 40, v110, vcc_lo
; %bb.823:
	s_and_not1_saveexec_b32 s0, s0
	s_cbranch_execz .LBB96_829
; %bb.824:
	v_cmp_ngt_f32_e64 s1, |v104|, |v105|
	s_and_saveexec_b32 s12, s1
	s_delay_alu instid0(SALU_CYCLE_1)
	s_xor_b32 s1, exec_lo, s12
	s_cbranch_execz .LBB96_826
; %bb.825:
	v_div_scale_f32 v107, null, v105, v105, v104
	v_div_scale_f32 v115, vcc_lo, v104, v105, v104
	s_delay_alu instid0(VALU_DEP_2) | instskip(SKIP_1) | instid1(TRANS32_DEP_1)
	v_rcp_f32_e32 v113, v107
	v_nop
	v_fma_f32 v114, -v107, v113, 1.0
	s_delay_alu instid0(VALU_DEP_1) | instskip(NEXT) | instid1(VALU_DEP_1)
	v_fmac_f32_e32 v113, v114, v113
	v_mul_f32_e32 v114, v115, v113
	s_delay_alu instid0(VALU_DEP_1) | instskip(NEXT) | instid1(VALU_DEP_1)
	v_fma_f32 v116, -v107, v114, v115
	v_fmac_f32_e32 v114, v116, v113
	s_delay_alu instid0(VALU_DEP_1) | instskip(NEXT) | instid1(VALU_DEP_1)
	v_fma_f32 v107, -v107, v114, v115
	v_div_fmas_f32 v107, v107, v113, v114
	s_delay_alu instid0(VALU_DEP_1) | instskip(NEXT) | instid1(VALU_DEP_1)
	v_div_fixup_f32 v107, v107, v105, v104
	v_fmac_f32_e32 v105, v104, v107
	s_delay_alu instid0(VALU_DEP_1) | instskip(SKIP_1) | instid1(VALU_DEP_2)
	v_div_scale_f32 v104, null, v105, v105, 1.0
	v_div_scale_f32 v115, vcc_lo, 1.0, v105, 1.0
	v_rcp_f32_e32 v113, v104
	v_nop
	s_delay_alu instid0(TRANS32_DEP_1) | instskip(NEXT) | instid1(VALU_DEP_1)
	v_fma_f32 v114, -v104, v113, 1.0
	v_fmac_f32_e32 v113, v114, v113
	s_delay_alu instid0(VALU_DEP_1) | instskip(NEXT) | instid1(VALU_DEP_1)
	v_mul_f32_e32 v114, v115, v113
	v_fma_f32 v116, -v104, v114, v115
	s_delay_alu instid0(VALU_DEP_1) | instskip(NEXT) | instid1(VALU_DEP_1)
	v_fmac_f32_e32 v114, v116, v113
	v_fma_f32 v104, -v104, v114, v115
	s_delay_alu instid0(VALU_DEP_1) | instskip(NEXT) | instid1(VALU_DEP_1)
	v_div_fmas_f32 v104, v104, v113, v114
	v_div_fixup_f32 v105, v104, v105, 1.0
	s_delay_alu instid0(VALU_DEP_1)
	v_mul_f32_e32 v104, v107, v105
	v_xor_b32_e32 v105, 0x80000000, v105
.LBB96_826:
	s_and_not1_saveexec_b32 s1, s1
	s_cbranch_execz .LBB96_828
; %bb.827:
	s_delay_alu instid0(VALU_DEP_1) | instskip(SKIP_1) | instid1(VALU_DEP_2)
	v_div_scale_f32 v107, null, v104, v104, v105
	v_div_scale_f32 v115, vcc_lo, v105, v104, v105
	v_rcp_f32_e32 v113, v107
	v_nop
	s_delay_alu instid0(TRANS32_DEP_1) | instskip(NEXT) | instid1(VALU_DEP_1)
	v_fma_f32 v114, -v107, v113, 1.0
	v_fmac_f32_e32 v113, v114, v113
	s_delay_alu instid0(VALU_DEP_1) | instskip(NEXT) | instid1(VALU_DEP_1)
	v_mul_f32_e32 v114, v115, v113
	v_fma_f32 v116, -v107, v114, v115
	s_delay_alu instid0(VALU_DEP_1) | instskip(NEXT) | instid1(VALU_DEP_1)
	v_fmac_f32_e32 v114, v116, v113
	v_fma_f32 v107, -v107, v114, v115
	s_delay_alu instid0(VALU_DEP_1) | instskip(NEXT) | instid1(VALU_DEP_1)
	v_div_fmas_f32 v107, v107, v113, v114
	v_div_fixup_f32 v107, v107, v104, v105
	s_delay_alu instid0(VALU_DEP_1) | instskip(NEXT) | instid1(VALU_DEP_1)
	v_fmac_f32_e32 v104, v105, v107
	v_div_scale_f32 v105, null, v104, v104, 1.0
	s_delay_alu instid0(VALU_DEP_1) | instskip(SKIP_1) | instid1(TRANS32_DEP_1)
	v_rcp_f32_e32 v113, v105
	v_nop
	v_fma_f32 v114, -v105, v113, 1.0
	s_delay_alu instid0(VALU_DEP_1) | instskip(SKIP_1) | instid1(VALU_DEP_1)
	v_fmac_f32_e32 v113, v114, v113
	v_div_scale_f32 v114, vcc_lo, 1.0, v104, 1.0
	v_mul_f32_e32 v115, v114, v113
	s_delay_alu instid0(VALU_DEP_1) | instskip(NEXT) | instid1(VALU_DEP_1)
	v_fma_f32 v116, -v105, v115, v114
	v_fmac_f32_e32 v115, v116, v113
	s_delay_alu instid0(VALU_DEP_1) | instskip(NEXT) | instid1(VALU_DEP_1)
	v_fma_f32 v105, -v105, v115, v114
	v_div_fmas_f32 v105, v105, v113, v115
	s_delay_alu instid0(VALU_DEP_1) | instskip(NEXT) | instid1(VALU_DEP_1)
	v_div_fixup_f32 v104, v105, v104, 1.0
	v_mul_f32_e64 v105, v107, -v104
.LBB96_828:
	s_or_b32 exec_lo, exec_lo, s1
.LBB96_829:
	s_delay_alu instid0(SALU_CYCLE_1) | instskip(NEXT) | instid1(SALU_CYCLE_1)
	s_or_b32 exec_lo, exec_lo, s0
	s_mov_b32 s0, exec_lo
	v_cmpx_ne_u32_e64 v112, v106
	s_xor_b32 s0, exec_lo, s0
	s_cbranch_execz .LBB96_835
; %bb.830:
	s_mov_b32 s1, exec_lo
	v_cmpx_eq_u32_e32 39, v112
	s_cbranch_execz .LBB96_834
; %bb.831:
	v_cmp_ne_u32_e32 vcc_lo, 39, v106
	s_xor_b32 s12, s16, -1
	s_delay_alu instid0(SALU_CYCLE_1) | instskip(NEXT) | instid1(SALU_CYCLE_1)
	s_and_b32 s13, s12, vcc_lo
	s_and_saveexec_b32 s12, s13
	s_cbranch_execz .LBB96_833
; %bb.832:
	v_ashrrev_i32_e32 v107, 31, v106
	s_delay_alu instid0(VALU_DEP_1)
	v_lshl_add_u64 v[112:113], v[106:107], 2, v[4:5]
	s_clause 0x1
	global_load_b32 v107, v[112:113], off
	global_load_b32 v111, v[4:5], off offset:156
	s_wait_loadcnt 0x1
	global_store_b32 v[4:5], v107, off offset:156
	s_wait_loadcnt 0x0
	global_store_b32 v[112:113], v111, off
.LBB96_833:
	s_wait_xcnt 0x0
	s_or_b32 exec_lo, exec_lo, s12
	v_dual_mov_b32 v112, v106 :: v_dual_mov_b32 v111, v106
.LBB96_834:
	s_or_b32 exec_lo, exec_lo, s1
.LBB96_835:
	s_and_not1_saveexec_b32 s0, s0
	s_cbranch_execz .LBB96_837
; %bb.836:
	v_dual_mov_b32 v106, v14 :: v_dual_mov_b32 v107, v15
	v_dual_mov_b32 v114, v10 :: v_dual_mov_b32 v115, v11
	;; [unrolled: 1-line block ×8, first 2 shown]
	v_mov_b32_e32 v127, v17
	ds_store_2addr_b64 v108, v[106:107], v[114:115] offset0:40 offset1:41
	ds_store_2addr_b64 v108, v[116:117], v[118:119] offset0:42 offset1:43
	;; [unrolled: 1-line block ×4, first 2 shown]
	ds_store_b64 v108, v[102:103] offset:384
.LBB96_837:
	s_or_b32 exec_lo, exec_lo, s0
	s_delay_alu instid0(SALU_CYCLE_1)
	s_mov_b32 s0, exec_lo
	s_wait_storecnt_dscnt 0x0
	s_barrier_signal -1
	s_barrier_wait -1
	v_cmpx_lt_i32_e32 39, v112
	s_cbranch_execz .LBB96_839
; %bb.838:
	v_pk_mul_f32 v[106:107], v[104:105], v[20:21] op_sel:[1,1] op_sel_hi:[0,1]
	s_delay_alu instid0(VALU_DEP_1)
	v_pk_fma_f32 v[114:115], v[104:105], v[20:21], v[106:107] op_sel_hi:[1,0,1] neg_lo:[0,0,1] neg_hi:[0,0,1]
	v_pk_fma_f32 v[116:117], v[104:105], v[20:21], v[106:107] op_sel_hi:[1,0,1]
	ds_load_2addr_b64 v[104:107], v108 offset0:40 offset1:41
	v_dual_mov_b32 v20, v114 :: v_dual_mov_b32 v21, v117
	s_wait_dscnt 0x0
	v_pk_mul_f32 v[118:119], v[104:105], v[116:117] op_sel:[0,1]
	s_delay_alu instid0(VALU_DEP_1) | instskip(SKIP_1) | instid1(VALU_DEP_1)
	v_pk_fma_f32 v[120:121], v[104:105], v[114:115], v[118:119] op_sel:[0,0,1] op_sel_hi:[1,1,0] neg_lo:[0,0,1] neg_hi:[0,0,1]
	v_pk_fma_f32 v[104:105], v[104:105], v[114:115], v[118:119] op_sel:[0,0,1] op_sel_hi:[1,0,0]
	v_mov_b32_e32 v121, v105
	v_pk_mul_f32 v[104:105], v[106:107], v[116:117] op_sel:[0,1]
	s_delay_alu instid0(VALU_DEP_1) | instskip(SKIP_1) | instid1(VALU_DEP_1)
	v_pk_fma_f32 v[118:119], v[106:107], v[114:115], v[104:105] op_sel:[0,0,1] op_sel_hi:[1,1,0] neg_lo:[0,0,1] neg_hi:[0,0,1]
	v_pk_fma_f32 v[104:105], v[106:107], v[114:115], v[104:105] op_sel:[0,0,1] op_sel_hi:[1,0,0]
	v_mov_b32_e32 v119, v105
	ds_load_2addr_b64 v[104:107], v108 offset0:42 offset1:43
	v_pk_add_f32 v[14:15], v[14:15], v[120:121] neg_lo:[0,1] neg_hi:[0,1]
	v_pk_add_f32 v[10:11], v[10:11], v[118:119] neg_lo:[0,1] neg_hi:[0,1]
	s_wait_dscnt 0x0
	v_pk_mul_f32 v[118:119], v[104:105], v[116:117] op_sel:[0,1]
	s_delay_alu instid0(VALU_DEP_1) | instskip(SKIP_2) | instid1(VALU_DEP_2)
	v_pk_fma_f32 v[120:121], v[104:105], v[114:115], v[118:119] op_sel:[0,0,1] op_sel_hi:[1,1,0] neg_lo:[0,0,1] neg_hi:[0,0,1]
	v_pk_fma_f32 v[104:105], v[104:105], v[114:115], v[118:119] op_sel:[0,0,1] op_sel_hi:[1,0,0]
	v_dual_mul_f32 v118, v107, v117 :: v_dual_mov_b32 v104, v107
	v_dual_mov_b32 v121, v105 :: v_dual_mov_b32 v105, v106
	s_delay_alu instid0(VALU_DEP_2) | instskip(SKIP_1) | instid1(VALU_DEP_3)
	v_pk_fma_f32 v[118:119], v[106:107], v[20:21], v[118:119] op_sel_hi:[1,1,0] neg_lo:[0,0,1] neg_hi:[0,0,1]
	v_mul_f32_e32 v106, v107, v114
	v_pk_add_f32 v[12:13], v[12:13], v[120:121] neg_lo:[0,1] neg_hi:[0,1]
	s_delay_alu instid0(VALU_DEP_2) | instskip(NEXT) | instid1(VALU_DEP_1)
	v_pk_fma_f32 v[104:105], v[104:105], v[20:21], v[106:107] op_sel_hi:[1,1,0]
	v_mov_b32_e32 v119, v105
	ds_load_2addr_b64 v[104:107], v108 offset0:44 offset1:45
	v_pk_add_f32 v[8:9], v[8:9], v[118:119] neg_lo:[0,1] neg_hi:[0,1]
	s_wait_dscnt 0x0
	v_pk_mul_f32 v[118:119], v[104:105], v[116:117] op_sel:[0,1]
	s_delay_alu instid0(VALU_DEP_1) | instskip(SKIP_1) | instid1(VALU_DEP_1)
	v_pk_fma_f32 v[120:121], v[104:105], v[114:115], v[118:119] op_sel:[0,0,1] op_sel_hi:[1,1,0] neg_lo:[0,0,1] neg_hi:[0,0,1]
	v_pk_fma_f32 v[104:105], v[104:105], v[114:115], v[118:119] op_sel:[0,0,1] op_sel_hi:[1,0,0]
	v_mov_b32_e32 v121, v105
	v_pk_mul_f32 v[104:105], v[106:107], v[116:117] op_sel:[0,1]
	s_delay_alu instid0(VALU_DEP_1) | instskip(SKIP_1) | instid1(VALU_DEP_1)
	v_pk_fma_f32 v[118:119], v[106:107], v[114:115], v[104:105] op_sel:[0,0,1] op_sel_hi:[1,1,0] neg_lo:[0,0,1] neg_hi:[0,0,1]
	v_pk_fma_f32 v[104:105], v[106:107], v[114:115], v[104:105] op_sel:[0,0,1] op_sel_hi:[1,0,0]
	v_mov_b32_e32 v119, v105
	ds_load_2addr_b64 v[104:107], v108 offset0:46 offset1:47
	v_pk_add_f32 v[6:7], v[6:7], v[120:121] neg_lo:[0,1] neg_hi:[0,1]
	v_pk_add_f32 v[28:29], v[28:29], v[118:119] neg_lo:[0,1] neg_hi:[0,1]
	s_wait_dscnt 0x0
	v_pk_mul_f32 v[118:119], v[104:105], v[116:117] op_sel:[0,1]
	s_delay_alu instid0(VALU_DEP_1) | instskip(SKIP_1) | instid1(VALU_DEP_1)
	v_pk_fma_f32 v[120:121], v[104:105], v[114:115], v[118:119] op_sel:[0,0,1] op_sel_hi:[1,1,0] neg_lo:[0,0,1] neg_hi:[0,0,1]
	v_pk_fma_f32 v[104:105], v[104:105], v[114:115], v[118:119] op_sel:[0,0,1] op_sel_hi:[1,0,0]
	v_mov_b32_e32 v121, v105
	v_pk_mul_f32 v[104:105], v[106:107], v[116:117] op_sel:[0,1]
	s_delay_alu instid0(VALU_DEP_1) | instskip(SKIP_1) | instid1(VALU_DEP_1)
	v_pk_fma_f32 v[118:119], v[106:107], v[114:115], v[104:105] op_sel:[0,0,1] op_sel_hi:[1,1,0] neg_lo:[0,0,1] neg_hi:[0,0,1]
	v_pk_fma_f32 v[104:105], v[106:107], v[114:115], v[104:105] op_sel:[0,0,1] op_sel_hi:[1,0,0]
	v_mov_b32_e32 v119, v105
	ds_load_b64 v[104:105], v108 offset:384
	v_pk_add_f32 v[18:19], v[18:19], v[120:121] neg_lo:[0,1] neg_hi:[0,1]
	v_pk_add_f32 v[16:17], v[16:17], v[118:119] neg_lo:[0,1] neg_hi:[0,1]
	s_wait_dscnt 0x0
	v_pk_mul_f32 v[106:107], v[104:105], v[116:117] op_sel:[0,1]
	s_delay_alu instid0(VALU_DEP_1) | instskip(SKIP_1) | instid1(VALU_DEP_1)
	v_pk_fma_f32 v[116:117], v[104:105], v[114:115], v[106:107] op_sel:[0,0,1] op_sel_hi:[1,1,0] neg_lo:[0,0,1] neg_hi:[0,0,1]
	v_pk_fma_f32 v[104:105], v[104:105], v[114:115], v[106:107] op_sel:[0,0,1] op_sel_hi:[1,0,0]
	v_mov_b32_e32 v117, v105
	s_delay_alu instid0(VALU_DEP_1)
	v_pk_add_f32 v[102:103], v[102:103], v[116:117] neg_lo:[0,1] neg_hi:[0,1]
.LBB96_839:
	s_or_b32 exec_lo, exec_lo, s0
	v_lshl_add_u32 v104, v112, 3, v108
	s_barrier_signal -1
	s_barrier_wait -1
	ds_store_b64 v104, v[14:15]
	s_wait_dscnt 0x0
	s_barrier_signal -1
	s_barrier_wait -1
	ds_load_b64 v[104:105], v108 offset:320
	v_mov_b32_e32 v106, 40
	s_cmp_lt_i32 s18, 42
	s_cbranch_scc1 .LBB96_842
; %bb.840:
	v_add3_u32 v107, v109, 0, 0x148
	v_mov_b32_e32 v106, 40
	s_mov_b32 s0, 41
.LBB96_841:                             ; =>This Inner Loop Header: Depth=1
	ds_load_b64 v[114:115], v107
	s_wait_dscnt 0x1
	v_cmp_gt_f32_e32 vcc_lo, 0, v104
	v_cndmask_b32_e64 v116, v104, -v104, vcc_lo
	v_cmp_gt_f32_e32 vcc_lo, 0, v105
	v_cndmask_b32_e64 v118, v105, -v105, vcc_lo
	s_wait_dscnt 0x0
	v_cmp_gt_f32_e32 vcc_lo, 0, v114
	v_cndmask_b32_e64 v117, v114, -v114, vcc_lo
	v_cmp_gt_f32_e32 vcc_lo, 0, v115
	v_cndmask_b32_e64 v119, v115, -v115, vcc_lo
	s_delay_alu instid0(VALU_DEP_1) | instskip(NEXT) | instid1(VALU_DEP_1)
	v_pk_add_f32 v[116:117], v[116:117], v[118:119]
	v_cmp_lt_f32_e32 vcc_lo, v116, v117
	v_dual_cndmask_b32 v104, v104, v114 :: v_dual_add_nc_u32 v107, 8, v107
	v_cndmask_b32_e32 v105, v105, v115, vcc_lo
	v_cndmask_b32_e64 v106, v106, s0, vcc_lo
	s_add_co_i32 s0, s0, 1
	s_delay_alu instid0(SALU_CYCLE_1)
	s_cmp_lg_u32 s18, s0
	s_cbranch_scc1 .LBB96_841
.LBB96_842:
	s_wait_dscnt 0x0
	v_cmp_eq_f32_e32 vcc_lo, 0, v104
	v_cmp_eq_f32_e64 s0, 0, v105
	s_and_b32 s0, vcc_lo, s0
	s_delay_alu instid0(SALU_CYCLE_1) | instskip(NEXT) | instid1(SALU_CYCLE_1)
	s_and_saveexec_b32 s1, s0
	s_xor_b32 s0, exec_lo, s1
; %bb.843:
	v_cmp_ne_u32_e32 vcc_lo, 0, v110
	v_cndmask_b32_e32 v110, 41, v110, vcc_lo
; %bb.844:
	s_and_not1_saveexec_b32 s0, s0
	s_cbranch_execz .LBB96_850
; %bb.845:
	v_cmp_ngt_f32_e64 s1, |v104|, |v105|
	s_and_saveexec_b32 s12, s1
	s_delay_alu instid0(SALU_CYCLE_1)
	s_xor_b32 s1, exec_lo, s12
	s_cbranch_execz .LBB96_847
; %bb.846:
	v_div_scale_f32 v107, null, v105, v105, v104
	v_div_scale_f32 v115, vcc_lo, v104, v105, v104
	s_delay_alu instid0(VALU_DEP_2) | instskip(SKIP_1) | instid1(TRANS32_DEP_1)
	v_rcp_f32_e32 v113, v107
	v_nop
	v_fma_f32 v114, -v107, v113, 1.0
	s_delay_alu instid0(VALU_DEP_1) | instskip(NEXT) | instid1(VALU_DEP_1)
	v_fmac_f32_e32 v113, v114, v113
	v_mul_f32_e32 v114, v115, v113
	s_delay_alu instid0(VALU_DEP_1) | instskip(NEXT) | instid1(VALU_DEP_1)
	v_fma_f32 v116, -v107, v114, v115
	v_fmac_f32_e32 v114, v116, v113
	s_delay_alu instid0(VALU_DEP_1) | instskip(NEXT) | instid1(VALU_DEP_1)
	v_fma_f32 v107, -v107, v114, v115
	v_div_fmas_f32 v107, v107, v113, v114
	s_delay_alu instid0(VALU_DEP_1) | instskip(NEXT) | instid1(VALU_DEP_1)
	v_div_fixup_f32 v107, v107, v105, v104
	v_fmac_f32_e32 v105, v104, v107
	s_delay_alu instid0(VALU_DEP_1) | instskip(SKIP_1) | instid1(VALU_DEP_2)
	v_div_scale_f32 v104, null, v105, v105, 1.0
	v_div_scale_f32 v115, vcc_lo, 1.0, v105, 1.0
	v_rcp_f32_e32 v113, v104
	v_nop
	s_delay_alu instid0(TRANS32_DEP_1) | instskip(NEXT) | instid1(VALU_DEP_1)
	v_fma_f32 v114, -v104, v113, 1.0
	v_fmac_f32_e32 v113, v114, v113
	s_delay_alu instid0(VALU_DEP_1) | instskip(NEXT) | instid1(VALU_DEP_1)
	v_mul_f32_e32 v114, v115, v113
	v_fma_f32 v116, -v104, v114, v115
	s_delay_alu instid0(VALU_DEP_1) | instskip(NEXT) | instid1(VALU_DEP_1)
	v_fmac_f32_e32 v114, v116, v113
	v_fma_f32 v104, -v104, v114, v115
	s_delay_alu instid0(VALU_DEP_1) | instskip(NEXT) | instid1(VALU_DEP_1)
	v_div_fmas_f32 v104, v104, v113, v114
	v_div_fixup_f32 v105, v104, v105, 1.0
	s_delay_alu instid0(VALU_DEP_1)
	v_mul_f32_e32 v104, v107, v105
	v_xor_b32_e32 v105, 0x80000000, v105
.LBB96_847:
	s_and_not1_saveexec_b32 s1, s1
	s_cbranch_execz .LBB96_849
; %bb.848:
	s_delay_alu instid0(VALU_DEP_1) | instskip(SKIP_1) | instid1(VALU_DEP_2)
	v_div_scale_f32 v107, null, v104, v104, v105
	v_div_scale_f32 v115, vcc_lo, v105, v104, v105
	v_rcp_f32_e32 v113, v107
	v_nop
	s_delay_alu instid0(TRANS32_DEP_1) | instskip(NEXT) | instid1(VALU_DEP_1)
	v_fma_f32 v114, -v107, v113, 1.0
	v_fmac_f32_e32 v113, v114, v113
	s_delay_alu instid0(VALU_DEP_1) | instskip(NEXT) | instid1(VALU_DEP_1)
	v_mul_f32_e32 v114, v115, v113
	v_fma_f32 v116, -v107, v114, v115
	s_delay_alu instid0(VALU_DEP_1) | instskip(NEXT) | instid1(VALU_DEP_1)
	v_fmac_f32_e32 v114, v116, v113
	v_fma_f32 v107, -v107, v114, v115
	s_delay_alu instid0(VALU_DEP_1) | instskip(NEXT) | instid1(VALU_DEP_1)
	v_div_fmas_f32 v107, v107, v113, v114
	v_div_fixup_f32 v107, v107, v104, v105
	s_delay_alu instid0(VALU_DEP_1) | instskip(NEXT) | instid1(VALU_DEP_1)
	v_fmac_f32_e32 v104, v105, v107
	v_div_scale_f32 v105, null, v104, v104, 1.0
	s_delay_alu instid0(VALU_DEP_1) | instskip(SKIP_1) | instid1(TRANS32_DEP_1)
	v_rcp_f32_e32 v113, v105
	v_nop
	v_fma_f32 v114, -v105, v113, 1.0
	s_delay_alu instid0(VALU_DEP_1) | instskip(SKIP_1) | instid1(VALU_DEP_1)
	v_fmac_f32_e32 v113, v114, v113
	v_div_scale_f32 v114, vcc_lo, 1.0, v104, 1.0
	v_mul_f32_e32 v115, v114, v113
	s_delay_alu instid0(VALU_DEP_1) | instskip(NEXT) | instid1(VALU_DEP_1)
	v_fma_f32 v116, -v105, v115, v114
	v_fmac_f32_e32 v115, v116, v113
	s_delay_alu instid0(VALU_DEP_1) | instskip(NEXT) | instid1(VALU_DEP_1)
	v_fma_f32 v105, -v105, v115, v114
	v_div_fmas_f32 v105, v105, v113, v115
	s_delay_alu instid0(VALU_DEP_1) | instskip(NEXT) | instid1(VALU_DEP_1)
	v_div_fixup_f32 v104, v105, v104, 1.0
	v_mul_f32_e64 v105, v107, -v104
.LBB96_849:
	s_or_b32 exec_lo, exec_lo, s1
.LBB96_850:
	s_delay_alu instid0(SALU_CYCLE_1) | instskip(NEXT) | instid1(SALU_CYCLE_1)
	s_or_b32 exec_lo, exec_lo, s0
	s_mov_b32 s0, exec_lo
	v_cmpx_ne_u32_e64 v112, v106
	s_xor_b32 s0, exec_lo, s0
	s_cbranch_execz .LBB96_856
; %bb.851:
	s_mov_b32 s1, exec_lo
	v_cmpx_eq_u32_e32 40, v112
	s_cbranch_execz .LBB96_855
; %bb.852:
	v_cmp_ne_u32_e32 vcc_lo, 40, v106
	s_xor_b32 s12, s16, -1
	s_delay_alu instid0(SALU_CYCLE_1) | instskip(NEXT) | instid1(SALU_CYCLE_1)
	s_and_b32 s13, s12, vcc_lo
	s_and_saveexec_b32 s12, s13
	s_cbranch_execz .LBB96_854
; %bb.853:
	v_ashrrev_i32_e32 v107, 31, v106
	s_delay_alu instid0(VALU_DEP_1)
	v_lshl_add_u64 v[112:113], v[106:107], 2, v[4:5]
	s_clause 0x1
	global_load_b32 v107, v[112:113], off
	global_load_b32 v111, v[4:5], off offset:160
	s_wait_loadcnt 0x1
	global_store_b32 v[4:5], v107, off offset:160
	s_wait_loadcnt 0x0
	global_store_b32 v[112:113], v111, off
.LBB96_854:
	s_wait_xcnt 0x0
	s_or_b32 exec_lo, exec_lo, s12
	v_dual_mov_b32 v112, v106 :: v_dual_mov_b32 v111, v106
.LBB96_855:
	s_or_b32 exec_lo, exec_lo, s1
.LBB96_856:
	s_and_not1_saveexec_b32 s0, s0
	s_cbranch_execz .LBB96_858
; %bb.857:
	v_mov_b32_e32 v112, 40
	ds_store_2addr_b64 v108, v[10:11], v[12:13] offset0:41 offset1:42
	ds_store_2addr_b64 v108, v[8:9], v[6:7] offset0:43 offset1:44
	;; [unrolled: 1-line block ×4, first 2 shown]
.LBB96_858:
	s_or_b32 exec_lo, exec_lo, s0
	s_delay_alu instid0(SALU_CYCLE_1)
	s_mov_b32 s0, exec_lo
	s_wait_storecnt_dscnt 0x0
	s_barrier_signal -1
	s_barrier_wait -1
	v_cmpx_lt_i32_e32 40, v112
	s_cbranch_execz .LBB96_860
; %bb.859:
	v_pk_mul_f32 v[106:107], v[104:105], v[14:15] op_sel:[1,1] op_sel_hi:[0,1]
	s_delay_alu instid0(VALU_DEP_1)
	v_pk_fma_f32 v[114:115], v[104:105], v[14:15], v[106:107] op_sel_hi:[1,0,1] neg_lo:[0,0,1] neg_hi:[0,0,1]
	v_pk_fma_f32 v[116:117], v[104:105], v[14:15], v[106:107] op_sel_hi:[1,0,1]
	ds_load_2addr_b64 v[104:107], v108 offset0:41 offset1:42
	v_dual_mov_b32 v14, v114 :: v_dual_mov_b32 v15, v117
	s_wait_dscnt 0x0
	v_pk_mul_f32 v[118:119], v[104:105], v[116:117] op_sel:[0,1]
	s_delay_alu instid0(VALU_DEP_1) | instskip(SKIP_1) | instid1(VALU_DEP_1)
	v_pk_fma_f32 v[120:121], v[104:105], v[114:115], v[118:119] op_sel:[0,0,1] op_sel_hi:[1,1,0] neg_lo:[0,0,1] neg_hi:[0,0,1]
	v_pk_fma_f32 v[104:105], v[104:105], v[114:115], v[118:119] op_sel:[0,0,1] op_sel_hi:[1,0,0]
	v_mov_b32_e32 v121, v105
	v_pk_mul_f32 v[104:105], v[106:107], v[116:117] op_sel:[0,1]
	s_delay_alu instid0(VALU_DEP_1) | instskip(SKIP_1) | instid1(VALU_DEP_1)
	v_pk_fma_f32 v[118:119], v[106:107], v[114:115], v[104:105] op_sel:[0,0,1] op_sel_hi:[1,1,0] neg_lo:[0,0,1] neg_hi:[0,0,1]
	v_pk_fma_f32 v[104:105], v[106:107], v[114:115], v[104:105] op_sel:[0,0,1] op_sel_hi:[1,0,0]
	v_mov_b32_e32 v119, v105
	ds_load_2addr_b64 v[104:107], v108 offset0:43 offset1:44
	v_pk_add_f32 v[10:11], v[10:11], v[120:121] neg_lo:[0,1] neg_hi:[0,1]
	v_pk_add_f32 v[12:13], v[12:13], v[118:119] neg_lo:[0,1] neg_hi:[0,1]
	s_wait_dscnt 0x0
	v_pk_mul_f32 v[118:119], v[104:105], v[116:117] op_sel:[0,1]
	s_delay_alu instid0(VALU_DEP_1) | instskip(SKIP_2) | instid1(VALU_DEP_2)
	v_pk_fma_f32 v[120:121], v[104:105], v[114:115], v[118:119] op_sel:[0,0,1] op_sel_hi:[1,1,0] neg_lo:[0,0,1] neg_hi:[0,0,1]
	v_pk_fma_f32 v[104:105], v[104:105], v[114:115], v[118:119] op_sel:[0,0,1] op_sel_hi:[1,0,0]
	v_dual_mul_f32 v118, v107, v117 :: v_dual_mov_b32 v104, v107
	v_dual_mov_b32 v121, v105 :: v_dual_mov_b32 v105, v106
	s_delay_alu instid0(VALU_DEP_2) | instskip(SKIP_1) | instid1(VALU_DEP_3)
	v_pk_fma_f32 v[118:119], v[106:107], v[14:15], v[118:119] op_sel_hi:[1,1,0] neg_lo:[0,0,1] neg_hi:[0,0,1]
	v_mul_f32_e32 v106, v107, v114
	v_pk_add_f32 v[8:9], v[8:9], v[120:121] neg_lo:[0,1] neg_hi:[0,1]
	s_delay_alu instid0(VALU_DEP_2) | instskip(NEXT) | instid1(VALU_DEP_1)
	v_pk_fma_f32 v[104:105], v[104:105], v[14:15], v[106:107] op_sel_hi:[1,1,0]
	v_mov_b32_e32 v119, v105
	ds_load_2addr_b64 v[104:107], v108 offset0:45 offset1:46
	v_pk_add_f32 v[6:7], v[6:7], v[118:119] neg_lo:[0,1] neg_hi:[0,1]
	s_wait_dscnt 0x0
	v_pk_mul_f32 v[118:119], v[104:105], v[116:117] op_sel:[0,1]
	s_delay_alu instid0(VALU_DEP_1) | instskip(SKIP_1) | instid1(VALU_DEP_1)
	v_pk_fma_f32 v[120:121], v[104:105], v[114:115], v[118:119] op_sel:[0,0,1] op_sel_hi:[1,1,0] neg_lo:[0,0,1] neg_hi:[0,0,1]
	v_pk_fma_f32 v[104:105], v[104:105], v[114:115], v[118:119] op_sel:[0,0,1] op_sel_hi:[1,0,0]
	v_mov_b32_e32 v121, v105
	v_pk_mul_f32 v[104:105], v[106:107], v[116:117] op_sel:[0,1]
	s_delay_alu instid0(VALU_DEP_1) | instskip(SKIP_1) | instid1(VALU_DEP_1)
	v_pk_fma_f32 v[118:119], v[106:107], v[114:115], v[104:105] op_sel:[0,0,1] op_sel_hi:[1,1,0] neg_lo:[0,0,1] neg_hi:[0,0,1]
	v_pk_fma_f32 v[104:105], v[106:107], v[114:115], v[104:105] op_sel:[0,0,1] op_sel_hi:[1,0,0]
	v_mov_b32_e32 v119, v105
	ds_load_2addr_b64 v[104:107], v108 offset0:47 offset1:48
	v_pk_add_f32 v[28:29], v[28:29], v[120:121] neg_lo:[0,1] neg_hi:[0,1]
	v_pk_add_f32 v[18:19], v[18:19], v[118:119] neg_lo:[0,1] neg_hi:[0,1]
	s_wait_dscnt 0x0
	v_pk_mul_f32 v[118:119], v[104:105], v[116:117] op_sel:[0,1]
	s_delay_alu instid0(VALU_DEP_1) | instskip(SKIP_1) | instid1(VALU_DEP_1)
	v_pk_fma_f32 v[120:121], v[104:105], v[114:115], v[118:119] op_sel:[0,0,1] op_sel_hi:[1,1,0] neg_lo:[0,0,1] neg_hi:[0,0,1]
	v_pk_fma_f32 v[104:105], v[104:105], v[114:115], v[118:119] op_sel:[0,0,1] op_sel_hi:[1,0,0]
	v_mov_b32_e32 v121, v105
	v_pk_mul_f32 v[104:105], v[106:107], v[116:117] op_sel:[0,1]
	s_delay_alu instid0(VALU_DEP_1) | instskip(SKIP_1) | instid1(VALU_DEP_1)
	v_pk_fma_f32 v[116:117], v[106:107], v[114:115], v[104:105] op_sel:[0,0,1] op_sel_hi:[1,1,0] neg_lo:[0,0,1] neg_hi:[0,0,1]
	v_pk_fma_f32 v[104:105], v[106:107], v[114:115], v[104:105] op_sel:[0,0,1] op_sel_hi:[1,0,0]
	v_mov_b32_e32 v117, v105
	v_pk_add_f32 v[16:17], v[16:17], v[120:121] neg_lo:[0,1] neg_hi:[0,1]
	s_delay_alu instid0(VALU_DEP_2)
	v_pk_add_f32 v[102:103], v[102:103], v[116:117] neg_lo:[0,1] neg_hi:[0,1]
.LBB96_860:
	s_or_b32 exec_lo, exec_lo, s0
	v_lshl_add_u32 v104, v112, 3, v108
	s_barrier_signal -1
	s_barrier_wait -1
	ds_store_b64 v104, v[10:11]
	s_wait_dscnt 0x0
	s_barrier_signal -1
	s_barrier_wait -1
	ds_load_b64 v[104:105], v108 offset:328
	v_mov_b32_e32 v106, 41
	s_cmp_lt_i32 s18, 43
	s_cbranch_scc1 .LBB96_863
; %bb.861:
	v_add3_u32 v107, v109, 0, 0x150
	v_mov_b32_e32 v106, 41
	s_mov_b32 s0, 42
.LBB96_862:                             ; =>This Inner Loop Header: Depth=1
	ds_load_b64 v[114:115], v107
	s_wait_dscnt 0x1
	v_cmp_gt_f32_e32 vcc_lo, 0, v104
	v_cndmask_b32_e64 v116, v104, -v104, vcc_lo
	v_cmp_gt_f32_e32 vcc_lo, 0, v105
	v_cndmask_b32_e64 v118, v105, -v105, vcc_lo
	s_wait_dscnt 0x0
	v_cmp_gt_f32_e32 vcc_lo, 0, v114
	v_cndmask_b32_e64 v117, v114, -v114, vcc_lo
	v_cmp_gt_f32_e32 vcc_lo, 0, v115
	v_cndmask_b32_e64 v119, v115, -v115, vcc_lo
	s_delay_alu instid0(VALU_DEP_1) | instskip(NEXT) | instid1(VALU_DEP_1)
	v_pk_add_f32 v[116:117], v[116:117], v[118:119]
	v_cmp_lt_f32_e32 vcc_lo, v116, v117
	v_dual_cndmask_b32 v104, v104, v114 :: v_dual_add_nc_u32 v107, 8, v107
	v_cndmask_b32_e32 v105, v105, v115, vcc_lo
	v_cndmask_b32_e64 v106, v106, s0, vcc_lo
	s_add_co_i32 s0, s0, 1
	s_delay_alu instid0(SALU_CYCLE_1)
	s_cmp_lg_u32 s18, s0
	s_cbranch_scc1 .LBB96_862
.LBB96_863:
	s_wait_dscnt 0x0
	v_cmp_eq_f32_e32 vcc_lo, 0, v104
	v_cmp_eq_f32_e64 s0, 0, v105
	s_and_b32 s0, vcc_lo, s0
	s_delay_alu instid0(SALU_CYCLE_1) | instskip(NEXT) | instid1(SALU_CYCLE_1)
	s_and_saveexec_b32 s1, s0
	s_xor_b32 s0, exec_lo, s1
; %bb.864:
	v_cmp_ne_u32_e32 vcc_lo, 0, v110
	v_cndmask_b32_e32 v110, 42, v110, vcc_lo
; %bb.865:
	s_and_not1_saveexec_b32 s0, s0
	s_cbranch_execz .LBB96_871
; %bb.866:
	v_cmp_ngt_f32_e64 s1, |v104|, |v105|
	s_and_saveexec_b32 s12, s1
	s_delay_alu instid0(SALU_CYCLE_1)
	s_xor_b32 s1, exec_lo, s12
	s_cbranch_execz .LBB96_868
; %bb.867:
	v_div_scale_f32 v107, null, v105, v105, v104
	v_div_scale_f32 v115, vcc_lo, v104, v105, v104
	s_delay_alu instid0(VALU_DEP_2) | instskip(SKIP_1) | instid1(TRANS32_DEP_1)
	v_rcp_f32_e32 v113, v107
	v_nop
	v_fma_f32 v114, -v107, v113, 1.0
	s_delay_alu instid0(VALU_DEP_1) | instskip(NEXT) | instid1(VALU_DEP_1)
	v_fmac_f32_e32 v113, v114, v113
	v_mul_f32_e32 v114, v115, v113
	s_delay_alu instid0(VALU_DEP_1) | instskip(NEXT) | instid1(VALU_DEP_1)
	v_fma_f32 v116, -v107, v114, v115
	v_fmac_f32_e32 v114, v116, v113
	s_delay_alu instid0(VALU_DEP_1) | instskip(NEXT) | instid1(VALU_DEP_1)
	v_fma_f32 v107, -v107, v114, v115
	v_div_fmas_f32 v107, v107, v113, v114
	s_delay_alu instid0(VALU_DEP_1) | instskip(NEXT) | instid1(VALU_DEP_1)
	v_div_fixup_f32 v107, v107, v105, v104
	v_fmac_f32_e32 v105, v104, v107
	s_delay_alu instid0(VALU_DEP_1) | instskip(SKIP_1) | instid1(VALU_DEP_2)
	v_div_scale_f32 v104, null, v105, v105, 1.0
	v_div_scale_f32 v115, vcc_lo, 1.0, v105, 1.0
	v_rcp_f32_e32 v113, v104
	v_nop
	s_delay_alu instid0(TRANS32_DEP_1) | instskip(NEXT) | instid1(VALU_DEP_1)
	v_fma_f32 v114, -v104, v113, 1.0
	v_fmac_f32_e32 v113, v114, v113
	s_delay_alu instid0(VALU_DEP_1) | instskip(NEXT) | instid1(VALU_DEP_1)
	v_mul_f32_e32 v114, v115, v113
	v_fma_f32 v116, -v104, v114, v115
	s_delay_alu instid0(VALU_DEP_1) | instskip(NEXT) | instid1(VALU_DEP_1)
	v_fmac_f32_e32 v114, v116, v113
	v_fma_f32 v104, -v104, v114, v115
	s_delay_alu instid0(VALU_DEP_1) | instskip(NEXT) | instid1(VALU_DEP_1)
	v_div_fmas_f32 v104, v104, v113, v114
	v_div_fixup_f32 v105, v104, v105, 1.0
	s_delay_alu instid0(VALU_DEP_1)
	v_mul_f32_e32 v104, v107, v105
	v_xor_b32_e32 v105, 0x80000000, v105
.LBB96_868:
	s_and_not1_saveexec_b32 s1, s1
	s_cbranch_execz .LBB96_870
; %bb.869:
	s_delay_alu instid0(VALU_DEP_1) | instskip(SKIP_1) | instid1(VALU_DEP_2)
	v_div_scale_f32 v107, null, v104, v104, v105
	v_div_scale_f32 v115, vcc_lo, v105, v104, v105
	v_rcp_f32_e32 v113, v107
	v_nop
	s_delay_alu instid0(TRANS32_DEP_1) | instskip(NEXT) | instid1(VALU_DEP_1)
	v_fma_f32 v114, -v107, v113, 1.0
	v_fmac_f32_e32 v113, v114, v113
	s_delay_alu instid0(VALU_DEP_1) | instskip(NEXT) | instid1(VALU_DEP_1)
	v_mul_f32_e32 v114, v115, v113
	v_fma_f32 v116, -v107, v114, v115
	s_delay_alu instid0(VALU_DEP_1) | instskip(NEXT) | instid1(VALU_DEP_1)
	v_fmac_f32_e32 v114, v116, v113
	v_fma_f32 v107, -v107, v114, v115
	s_delay_alu instid0(VALU_DEP_1) | instskip(NEXT) | instid1(VALU_DEP_1)
	v_div_fmas_f32 v107, v107, v113, v114
	v_div_fixup_f32 v107, v107, v104, v105
	s_delay_alu instid0(VALU_DEP_1) | instskip(NEXT) | instid1(VALU_DEP_1)
	v_fmac_f32_e32 v104, v105, v107
	v_div_scale_f32 v105, null, v104, v104, 1.0
	s_delay_alu instid0(VALU_DEP_1) | instskip(SKIP_1) | instid1(TRANS32_DEP_1)
	v_rcp_f32_e32 v113, v105
	v_nop
	v_fma_f32 v114, -v105, v113, 1.0
	s_delay_alu instid0(VALU_DEP_1) | instskip(SKIP_1) | instid1(VALU_DEP_1)
	v_fmac_f32_e32 v113, v114, v113
	v_div_scale_f32 v114, vcc_lo, 1.0, v104, 1.0
	v_mul_f32_e32 v115, v114, v113
	s_delay_alu instid0(VALU_DEP_1) | instskip(NEXT) | instid1(VALU_DEP_1)
	v_fma_f32 v116, -v105, v115, v114
	v_fmac_f32_e32 v115, v116, v113
	s_delay_alu instid0(VALU_DEP_1) | instskip(NEXT) | instid1(VALU_DEP_1)
	v_fma_f32 v105, -v105, v115, v114
	v_div_fmas_f32 v105, v105, v113, v115
	s_delay_alu instid0(VALU_DEP_1) | instskip(NEXT) | instid1(VALU_DEP_1)
	v_div_fixup_f32 v104, v105, v104, 1.0
	v_mul_f32_e64 v105, v107, -v104
.LBB96_870:
	s_or_b32 exec_lo, exec_lo, s1
.LBB96_871:
	s_delay_alu instid0(SALU_CYCLE_1) | instskip(NEXT) | instid1(SALU_CYCLE_1)
	s_or_b32 exec_lo, exec_lo, s0
	s_mov_b32 s0, exec_lo
	v_cmpx_ne_u32_e64 v112, v106
	s_xor_b32 s0, exec_lo, s0
	s_cbranch_execz .LBB96_877
; %bb.872:
	s_mov_b32 s1, exec_lo
	v_cmpx_eq_u32_e32 41, v112
	s_cbranch_execz .LBB96_876
; %bb.873:
	v_cmp_ne_u32_e32 vcc_lo, 41, v106
	s_xor_b32 s12, s16, -1
	s_delay_alu instid0(SALU_CYCLE_1) | instskip(NEXT) | instid1(SALU_CYCLE_1)
	s_and_b32 s13, s12, vcc_lo
	s_and_saveexec_b32 s12, s13
	s_cbranch_execz .LBB96_875
; %bb.874:
	v_ashrrev_i32_e32 v107, 31, v106
	s_delay_alu instid0(VALU_DEP_1)
	v_lshl_add_u64 v[112:113], v[106:107], 2, v[4:5]
	s_clause 0x1
	global_load_b32 v107, v[112:113], off
	global_load_b32 v111, v[4:5], off offset:164
	s_wait_loadcnt 0x1
	global_store_b32 v[4:5], v107, off offset:164
	s_wait_loadcnt 0x0
	global_store_b32 v[112:113], v111, off
.LBB96_875:
	s_wait_xcnt 0x0
	s_or_b32 exec_lo, exec_lo, s12
	v_dual_mov_b32 v112, v106 :: v_dual_mov_b32 v111, v106
.LBB96_876:
	s_or_b32 exec_lo, exec_lo, s1
.LBB96_877:
	s_and_not1_saveexec_b32 s0, s0
	s_cbranch_execz .LBB96_879
; %bb.878:
	v_dual_mov_b32 v106, v12 :: v_dual_mov_b32 v107, v13
	v_dual_mov_b32 v114, v8 :: v_dual_mov_b32 v115, v9
	;; [unrolled: 1-line block ×6, first 2 shown]
	v_mov_b32_e32 v123, v17
	ds_store_2addr_b64 v108, v[106:107], v[114:115] offset0:42 offset1:43
	ds_store_2addr_b64 v108, v[116:117], v[118:119] offset0:44 offset1:45
	;; [unrolled: 1-line block ×3, first 2 shown]
	ds_store_b64 v108, v[102:103] offset:384
.LBB96_879:
	s_or_b32 exec_lo, exec_lo, s0
	s_delay_alu instid0(SALU_CYCLE_1)
	s_mov_b32 s0, exec_lo
	s_wait_storecnt_dscnt 0x0
	s_barrier_signal -1
	s_barrier_wait -1
	v_cmpx_lt_i32_e32 41, v112
	s_cbranch_execz .LBB96_881
; %bb.880:
	v_pk_mul_f32 v[106:107], v[104:105], v[10:11] op_sel:[1,1] op_sel_hi:[0,1]
	s_delay_alu instid0(VALU_DEP_1)
	v_pk_fma_f32 v[114:115], v[104:105], v[10:11], v[106:107] op_sel_hi:[1,0,1] neg_lo:[0,0,1] neg_hi:[0,0,1]
	v_pk_fma_f32 v[116:117], v[104:105], v[10:11], v[106:107] op_sel_hi:[1,0,1]
	ds_load_2addr_b64 v[104:107], v108 offset0:42 offset1:43
	v_dual_mov_b32 v10, v114 :: v_dual_mov_b32 v11, v117
	s_wait_dscnt 0x0
	v_pk_mul_f32 v[118:119], v[104:105], v[116:117] op_sel:[0,1]
	s_delay_alu instid0(VALU_DEP_1) | instskip(SKIP_1) | instid1(VALU_DEP_1)
	v_pk_fma_f32 v[120:121], v[104:105], v[114:115], v[118:119] op_sel:[0,0,1] op_sel_hi:[1,1,0] neg_lo:[0,0,1] neg_hi:[0,0,1]
	v_pk_fma_f32 v[104:105], v[104:105], v[114:115], v[118:119] op_sel:[0,0,1] op_sel_hi:[1,0,0]
	v_mov_b32_e32 v121, v105
	v_pk_mul_f32 v[104:105], v[106:107], v[116:117] op_sel:[0,1]
	s_delay_alu instid0(VALU_DEP_1) | instskip(SKIP_1) | instid1(VALU_DEP_1)
	v_pk_fma_f32 v[118:119], v[106:107], v[114:115], v[104:105] op_sel:[0,0,1] op_sel_hi:[1,1,0] neg_lo:[0,0,1] neg_hi:[0,0,1]
	v_pk_fma_f32 v[104:105], v[106:107], v[114:115], v[104:105] op_sel:[0,0,1] op_sel_hi:[1,0,0]
	v_mov_b32_e32 v119, v105
	ds_load_2addr_b64 v[104:107], v108 offset0:44 offset1:45
	v_pk_add_f32 v[12:13], v[12:13], v[120:121] neg_lo:[0,1] neg_hi:[0,1]
	v_pk_add_f32 v[8:9], v[8:9], v[118:119] neg_lo:[0,1] neg_hi:[0,1]
	s_wait_dscnt 0x0
	v_pk_mul_f32 v[118:119], v[104:105], v[116:117] op_sel:[0,1]
	s_delay_alu instid0(VALU_DEP_1) | instskip(SKIP_2) | instid1(VALU_DEP_2)
	v_pk_fma_f32 v[120:121], v[104:105], v[114:115], v[118:119] op_sel:[0,0,1] op_sel_hi:[1,1,0] neg_lo:[0,0,1] neg_hi:[0,0,1]
	v_pk_fma_f32 v[104:105], v[104:105], v[114:115], v[118:119] op_sel:[0,0,1] op_sel_hi:[1,0,0]
	v_dual_mul_f32 v118, v107, v117 :: v_dual_mov_b32 v104, v107
	v_dual_mov_b32 v121, v105 :: v_dual_mov_b32 v105, v106
	s_delay_alu instid0(VALU_DEP_2) | instskip(SKIP_1) | instid1(VALU_DEP_3)
	v_pk_fma_f32 v[118:119], v[106:107], v[10:11], v[118:119] op_sel_hi:[1,1,0] neg_lo:[0,0,1] neg_hi:[0,0,1]
	v_mul_f32_e32 v106, v107, v114
	v_pk_add_f32 v[6:7], v[6:7], v[120:121] neg_lo:[0,1] neg_hi:[0,1]
	s_delay_alu instid0(VALU_DEP_2) | instskip(NEXT) | instid1(VALU_DEP_1)
	v_pk_fma_f32 v[104:105], v[104:105], v[10:11], v[106:107] op_sel_hi:[1,1,0]
	v_mov_b32_e32 v119, v105
	ds_load_2addr_b64 v[104:107], v108 offset0:46 offset1:47
	v_pk_add_f32 v[28:29], v[28:29], v[118:119] neg_lo:[0,1] neg_hi:[0,1]
	s_wait_dscnt 0x0
	v_pk_mul_f32 v[118:119], v[104:105], v[116:117] op_sel:[0,1]
	s_delay_alu instid0(VALU_DEP_1) | instskip(SKIP_1) | instid1(VALU_DEP_1)
	v_pk_fma_f32 v[120:121], v[104:105], v[114:115], v[118:119] op_sel:[0,0,1] op_sel_hi:[1,1,0] neg_lo:[0,0,1] neg_hi:[0,0,1]
	v_pk_fma_f32 v[104:105], v[104:105], v[114:115], v[118:119] op_sel:[0,0,1] op_sel_hi:[1,0,0]
	v_mov_b32_e32 v121, v105
	v_pk_mul_f32 v[104:105], v[106:107], v[116:117] op_sel:[0,1]
	s_delay_alu instid0(VALU_DEP_1) | instskip(SKIP_1) | instid1(VALU_DEP_1)
	v_pk_fma_f32 v[118:119], v[106:107], v[114:115], v[104:105] op_sel:[0,0,1] op_sel_hi:[1,1,0] neg_lo:[0,0,1] neg_hi:[0,0,1]
	v_pk_fma_f32 v[104:105], v[106:107], v[114:115], v[104:105] op_sel:[0,0,1] op_sel_hi:[1,0,0]
	v_mov_b32_e32 v119, v105
	ds_load_b64 v[104:105], v108 offset:384
	v_pk_add_f32 v[18:19], v[18:19], v[120:121] neg_lo:[0,1] neg_hi:[0,1]
	v_pk_add_f32 v[16:17], v[16:17], v[118:119] neg_lo:[0,1] neg_hi:[0,1]
	s_wait_dscnt 0x0
	v_pk_mul_f32 v[106:107], v[104:105], v[116:117] op_sel:[0,1]
	s_delay_alu instid0(VALU_DEP_1) | instskip(SKIP_1) | instid1(VALU_DEP_1)
	v_pk_fma_f32 v[116:117], v[104:105], v[114:115], v[106:107] op_sel:[0,0,1] op_sel_hi:[1,1,0] neg_lo:[0,0,1] neg_hi:[0,0,1]
	v_pk_fma_f32 v[104:105], v[104:105], v[114:115], v[106:107] op_sel:[0,0,1] op_sel_hi:[1,0,0]
	v_mov_b32_e32 v117, v105
	s_delay_alu instid0(VALU_DEP_1)
	v_pk_add_f32 v[102:103], v[102:103], v[116:117] neg_lo:[0,1] neg_hi:[0,1]
.LBB96_881:
	s_or_b32 exec_lo, exec_lo, s0
	v_lshl_add_u32 v104, v112, 3, v108
	s_barrier_signal -1
	s_barrier_wait -1
	ds_store_b64 v104, v[12:13]
	s_wait_dscnt 0x0
	s_barrier_signal -1
	s_barrier_wait -1
	ds_load_b64 v[104:105], v108 offset:336
	v_mov_b32_e32 v106, 42
	s_cmp_lt_i32 s18, 44
	s_cbranch_scc1 .LBB96_884
; %bb.882:
	v_add3_u32 v107, v109, 0, 0x158
	v_mov_b32_e32 v106, 42
	s_mov_b32 s0, 43
.LBB96_883:                             ; =>This Inner Loop Header: Depth=1
	ds_load_b64 v[114:115], v107
	s_wait_dscnt 0x1
	v_cmp_gt_f32_e32 vcc_lo, 0, v104
	v_cndmask_b32_e64 v116, v104, -v104, vcc_lo
	v_cmp_gt_f32_e32 vcc_lo, 0, v105
	v_cndmask_b32_e64 v118, v105, -v105, vcc_lo
	s_wait_dscnt 0x0
	v_cmp_gt_f32_e32 vcc_lo, 0, v114
	v_cndmask_b32_e64 v117, v114, -v114, vcc_lo
	v_cmp_gt_f32_e32 vcc_lo, 0, v115
	v_cndmask_b32_e64 v119, v115, -v115, vcc_lo
	s_delay_alu instid0(VALU_DEP_1) | instskip(NEXT) | instid1(VALU_DEP_1)
	v_pk_add_f32 v[116:117], v[116:117], v[118:119]
	v_cmp_lt_f32_e32 vcc_lo, v116, v117
	v_dual_cndmask_b32 v104, v104, v114 :: v_dual_add_nc_u32 v107, 8, v107
	v_cndmask_b32_e32 v105, v105, v115, vcc_lo
	v_cndmask_b32_e64 v106, v106, s0, vcc_lo
	s_add_co_i32 s0, s0, 1
	s_delay_alu instid0(SALU_CYCLE_1)
	s_cmp_lg_u32 s18, s0
	s_cbranch_scc1 .LBB96_883
.LBB96_884:
	s_wait_dscnt 0x0
	v_cmp_eq_f32_e32 vcc_lo, 0, v104
	v_cmp_eq_f32_e64 s0, 0, v105
	s_and_b32 s0, vcc_lo, s0
	s_delay_alu instid0(SALU_CYCLE_1) | instskip(NEXT) | instid1(SALU_CYCLE_1)
	s_and_saveexec_b32 s1, s0
	s_xor_b32 s0, exec_lo, s1
; %bb.885:
	v_cmp_ne_u32_e32 vcc_lo, 0, v110
	v_cndmask_b32_e32 v110, 43, v110, vcc_lo
; %bb.886:
	s_and_not1_saveexec_b32 s0, s0
	s_cbranch_execz .LBB96_892
; %bb.887:
	v_cmp_ngt_f32_e64 s1, |v104|, |v105|
	s_and_saveexec_b32 s12, s1
	s_delay_alu instid0(SALU_CYCLE_1)
	s_xor_b32 s1, exec_lo, s12
	s_cbranch_execz .LBB96_889
; %bb.888:
	v_div_scale_f32 v107, null, v105, v105, v104
	v_div_scale_f32 v115, vcc_lo, v104, v105, v104
	s_delay_alu instid0(VALU_DEP_2) | instskip(SKIP_1) | instid1(TRANS32_DEP_1)
	v_rcp_f32_e32 v113, v107
	v_nop
	v_fma_f32 v114, -v107, v113, 1.0
	s_delay_alu instid0(VALU_DEP_1) | instskip(NEXT) | instid1(VALU_DEP_1)
	v_fmac_f32_e32 v113, v114, v113
	v_mul_f32_e32 v114, v115, v113
	s_delay_alu instid0(VALU_DEP_1) | instskip(NEXT) | instid1(VALU_DEP_1)
	v_fma_f32 v116, -v107, v114, v115
	v_fmac_f32_e32 v114, v116, v113
	s_delay_alu instid0(VALU_DEP_1) | instskip(NEXT) | instid1(VALU_DEP_1)
	v_fma_f32 v107, -v107, v114, v115
	v_div_fmas_f32 v107, v107, v113, v114
	s_delay_alu instid0(VALU_DEP_1) | instskip(NEXT) | instid1(VALU_DEP_1)
	v_div_fixup_f32 v107, v107, v105, v104
	v_fmac_f32_e32 v105, v104, v107
	s_delay_alu instid0(VALU_DEP_1) | instskip(SKIP_1) | instid1(VALU_DEP_2)
	v_div_scale_f32 v104, null, v105, v105, 1.0
	v_div_scale_f32 v115, vcc_lo, 1.0, v105, 1.0
	v_rcp_f32_e32 v113, v104
	v_nop
	s_delay_alu instid0(TRANS32_DEP_1) | instskip(NEXT) | instid1(VALU_DEP_1)
	v_fma_f32 v114, -v104, v113, 1.0
	v_fmac_f32_e32 v113, v114, v113
	s_delay_alu instid0(VALU_DEP_1) | instskip(NEXT) | instid1(VALU_DEP_1)
	v_mul_f32_e32 v114, v115, v113
	v_fma_f32 v116, -v104, v114, v115
	s_delay_alu instid0(VALU_DEP_1) | instskip(NEXT) | instid1(VALU_DEP_1)
	v_fmac_f32_e32 v114, v116, v113
	v_fma_f32 v104, -v104, v114, v115
	s_delay_alu instid0(VALU_DEP_1) | instskip(NEXT) | instid1(VALU_DEP_1)
	v_div_fmas_f32 v104, v104, v113, v114
	v_div_fixup_f32 v105, v104, v105, 1.0
	s_delay_alu instid0(VALU_DEP_1)
	v_mul_f32_e32 v104, v107, v105
	v_xor_b32_e32 v105, 0x80000000, v105
.LBB96_889:
	s_and_not1_saveexec_b32 s1, s1
	s_cbranch_execz .LBB96_891
; %bb.890:
	s_delay_alu instid0(VALU_DEP_1) | instskip(SKIP_1) | instid1(VALU_DEP_2)
	v_div_scale_f32 v107, null, v104, v104, v105
	v_div_scale_f32 v115, vcc_lo, v105, v104, v105
	v_rcp_f32_e32 v113, v107
	v_nop
	s_delay_alu instid0(TRANS32_DEP_1) | instskip(NEXT) | instid1(VALU_DEP_1)
	v_fma_f32 v114, -v107, v113, 1.0
	v_fmac_f32_e32 v113, v114, v113
	s_delay_alu instid0(VALU_DEP_1) | instskip(NEXT) | instid1(VALU_DEP_1)
	v_mul_f32_e32 v114, v115, v113
	v_fma_f32 v116, -v107, v114, v115
	s_delay_alu instid0(VALU_DEP_1) | instskip(NEXT) | instid1(VALU_DEP_1)
	v_fmac_f32_e32 v114, v116, v113
	v_fma_f32 v107, -v107, v114, v115
	s_delay_alu instid0(VALU_DEP_1) | instskip(NEXT) | instid1(VALU_DEP_1)
	v_div_fmas_f32 v107, v107, v113, v114
	v_div_fixup_f32 v107, v107, v104, v105
	s_delay_alu instid0(VALU_DEP_1) | instskip(NEXT) | instid1(VALU_DEP_1)
	v_fmac_f32_e32 v104, v105, v107
	v_div_scale_f32 v105, null, v104, v104, 1.0
	s_delay_alu instid0(VALU_DEP_1) | instskip(SKIP_1) | instid1(TRANS32_DEP_1)
	v_rcp_f32_e32 v113, v105
	v_nop
	v_fma_f32 v114, -v105, v113, 1.0
	s_delay_alu instid0(VALU_DEP_1) | instskip(SKIP_1) | instid1(VALU_DEP_1)
	v_fmac_f32_e32 v113, v114, v113
	v_div_scale_f32 v114, vcc_lo, 1.0, v104, 1.0
	v_mul_f32_e32 v115, v114, v113
	s_delay_alu instid0(VALU_DEP_1) | instskip(NEXT) | instid1(VALU_DEP_1)
	v_fma_f32 v116, -v105, v115, v114
	v_fmac_f32_e32 v115, v116, v113
	s_delay_alu instid0(VALU_DEP_1) | instskip(NEXT) | instid1(VALU_DEP_1)
	v_fma_f32 v105, -v105, v115, v114
	v_div_fmas_f32 v105, v105, v113, v115
	s_delay_alu instid0(VALU_DEP_1) | instskip(NEXT) | instid1(VALU_DEP_1)
	v_div_fixup_f32 v104, v105, v104, 1.0
	v_mul_f32_e64 v105, v107, -v104
.LBB96_891:
	s_or_b32 exec_lo, exec_lo, s1
.LBB96_892:
	s_delay_alu instid0(SALU_CYCLE_1) | instskip(NEXT) | instid1(SALU_CYCLE_1)
	s_or_b32 exec_lo, exec_lo, s0
	s_mov_b32 s0, exec_lo
	v_cmpx_ne_u32_e64 v112, v106
	s_xor_b32 s0, exec_lo, s0
	s_cbranch_execz .LBB96_898
; %bb.893:
	s_mov_b32 s1, exec_lo
	v_cmpx_eq_u32_e32 42, v112
	s_cbranch_execz .LBB96_897
; %bb.894:
	v_cmp_ne_u32_e32 vcc_lo, 42, v106
	s_xor_b32 s12, s16, -1
	s_delay_alu instid0(SALU_CYCLE_1) | instskip(NEXT) | instid1(SALU_CYCLE_1)
	s_and_b32 s13, s12, vcc_lo
	s_and_saveexec_b32 s12, s13
	s_cbranch_execz .LBB96_896
; %bb.895:
	v_ashrrev_i32_e32 v107, 31, v106
	s_delay_alu instid0(VALU_DEP_1)
	v_lshl_add_u64 v[112:113], v[106:107], 2, v[4:5]
	s_clause 0x1
	global_load_b32 v107, v[112:113], off
	global_load_b32 v111, v[4:5], off offset:168
	s_wait_loadcnt 0x1
	global_store_b32 v[4:5], v107, off offset:168
	s_wait_loadcnt 0x0
	global_store_b32 v[112:113], v111, off
.LBB96_896:
	s_wait_xcnt 0x0
	s_or_b32 exec_lo, exec_lo, s12
	v_dual_mov_b32 v112, v106 :: v_dual_mov_b32 v111, v106
.LBB96_897:
	s_or_b32 exec_lo, exec_lo, s1
.LBB96_898:
	s_and_not1_saveexec_b32 s0, s0
	s_cbranch_execz .LBB96_900
; %bb.899:
	v_mov_b32_e32 v112, 42
	ds_store_2addr_b64 v108, v[8:9], v[6:7] offset0:43 offset1:44
	ds_store_2addr_b64 v108, v[28:29], v[18:19] offset0:45 offset1:46
	;; [unrolled: 1-line block ×3, first 2 shown]
.LBB96_900:
	s_or_b32 exec_lo, exec_lo, s0
	s_delay_alu instid0(SALU_CYCLE_1)
	s_mov_b32 s0, exec_lo
	s_wait_storecnt_dscnt 0x0
	s_barrier_signal -1
	s_barrier_wait -1
	v_cmpx_lt_i32_e32 42, v112
	s_cbranch_execz .LBB96_902
; %bb.901:
	v_pk_mul_f32 v[106:107], v[104:105], v[12:13] op_sel:[1,1] op_sel_hi:[0,1]
	s_delay_alu instid0(VALU_DEP_1)
	v_pk_fma_f32 v[114:115], v[104:105], v[12:13], v[106:107] op_sel_hi:[1,0,1] neg_lo:[0,0,1] neg_hi:[0,0,1]
	v_pk_fma_f32 v[116:117], v[104:105], v[12:13], v[106:107] op_sel_hi:[1,0,1]
	ds_load_2addr_b64 v[104:107], v108 offset0:43 offset1:44
	v_dual_mov_b32 v12, v114 :: v_dual_mov_b32 v13, v117
	s_wait_dscnt 0x0
	v_pk_mul_f32 v[118:119], v[104:105], v[116:117] op_sel:[0,1]
	s_delay_alu instid0(VALU_DEP_1) | instskip(SKIP_1) | instid1(VALU_DEP_1)
	v_pk_fma_f32 v[120:121], v[104:105], v[114:115], v[118:119] op_sel:[0,0,1] op_sel_hi:[1,1,0] neg_lo:[0,0,1] neg_hi:[0,0,1]
	v_pk_fma_f32 v[104:105], v[104:105], v[114:115], v[118:119] op_sel:[0,0,1] op_sel_hi:[1,0,0]
	v_mov_b32_e32 v121, v105
	v_pk_mul_f32 v[104:105], v[106:107], v[116:117] op_sel:[0,1]
	s_delay_alu instid0(VALU_DEP_1) | instskip(SKIP_1) | instid1(VALU_DEP_1)
	v_pk_fma_f32 v[118:119], v[106:107], v[114:115], v[104:105] op_sel:[0,0,1] op_sel_hi:[1,1,0] neg_lo:[0,0,1] neg_hi:[0,0,1]
	v_pk_fma_f32 v[104:105], v[106:107], v[114:115], v[104:105] op_sel:[0,0,1] op_sel_hi:[1,0,0]
	v_mov_b32_e32 v119, v105
	ds_load_2addr_b64 v[104:107], v108 offset0:45 offset1:46
	v_pk_add_f32 v[8:9], v[8:9], v[120:121] neg_lo:[0,1] neg_hi:[0,1]
	v_pk_add_f32 v[6:7], v[6:7], v[118:119] neg_lo:[0,1] neg_hi:[0,1]
	s_wait_dscnt 0x0
	v_pk_mul_f32 v[118:119], v[104:105], v[116:117] op_sel:[0,1]
	s_delay_alu instid0(VALU_DEP_1) | instskip(SKIP_2) | instid1(VALU_DEP_2)
	v_pk_fma_f32 v[120:121], v[104:105], v[114:115], v[118:119] op_sel:[0,0,1] op_sel_hi:[1,1,0] neg_lo:[0,0,1] neg_hi:[0,0,1]
	v_pk_fma_f32 v[104:105], v[104:105], v[114:115], v[118:119] op_sel:[0,0,1] op_sel_hi:[1,0,0]
	v_dual_mul_f32 v118, v107, v117 :: v_dual_mov_b32 v104, v107
	v_dual_mov_b32 v121, v105 :: v_dual_mov_b32 v105, v106
	s_delay_alu instid0(VALU_DEP_2) | instskip(SKIP_1) | instid1(VALU_DEP_3)
	v_pk_fma_f32 v[118:119], v[106:107], v[12:13], v[118:119] op_sel_hi:[1,1,0] neg_lo:[0,0,1] neg_hi:[0,0,1]
	v_mul_f32_e32 v106, v107, v114
	v_pk_add_f32 v[28:29], v[28:29], v[120:121] neg_lo:[0,1] neg_hi:[0,1]
	s_delay_alu instid0(VALU_DEP_2) | instskip(NEXT) | instid1(VALU_DEP_1)
	v_pk_fma_f32 v[104:105], v[104:105], v[12:13], v[106:107] op_sel_hi:[1,1,0]
	v_mov_b32_e32 v119, v105
	ds_load_2addr_b64 v[104:107], v108 offset0:47 offset1:48
	v_pk_add_f32 v[18:19], v[18:19], v[118:119] neg_lo:[0,1] neg_hi:[0,1]
	s_wait_dscnt 0x0
	v_pk_mul_f32 v[118:119], v[104:105], v[116:117] op_sel:[0,1]
	v_mul_f32_e32 v116, v107, v117
	s_delay_alu instid0(VALU_DEP_2) | instskip(SKIP_2) | instid1(VALU_DEP_4)
	v_pk_fma_f32 v[120:121], v[104:105], v[114:115], v[118:119] op_sel:[0,0,1] op_sel_hi:[1,1,0] neg_lo:[0,0,1] neg_hi:[0,0,1]
	v_pk_fma_f32 v[104:105], v[104:105], v[114:115], v[118:119] op_sel:[0,0,1] op_sel_hi:[1,0,0]
	v_mov_b32_e32 v104, v107
	v_pk_fma_f32 v[116:117], v[106:107], v[12:13], v[116:117] op_sel_hi:[1,1,0] neg_lo:[0,0,1] neg_hi:[0,0,1]
	s_delay_alu instid0(VALU_DEP_3) | instskip(SKIP_1) | instid1(VALU_DEP_2)
	v_dual_mov_b32 v121, v105 :: v_dual_mov_b32 v105, v106
	v_mul_f32_e32 v106, v107, v114
	v_pk_add_f32 v[16:17], v[16:17], v[120:121] neg_lo:[0,1] neg_hi:[0,1]
	s_delay_alu instid0(VALU_DEP_2) | instskip(NEXT) | instid1(VALU_DEP_1)
	v_pk_fma_f32 v[104:105], v[104:105], v[12:13], v[106:107] op_sel_hi:[1,1,0]
	v_mov_b32_e32 v117, v105
	s_delay_alu instid0(VALU_DEP_1)
	v_pk_add_f32 v[102:103], v[102:103], v[116:117] neg_lo:[0,1] neg_hi:[0,1]
.LBB96_902:
	s_or_b32 exec_lo, exec_lo, s0
	v_lshl_add_u32 v104, v112, 3, v108
	s_barrier_signal -1
	s_barrier_wait -1
	ds_store_b64 v104, v[8:9]
	s_wait_dscnt 0x0
	s_barrier_signal -1
	s_barrier_wait -1
	ds_load_b64 v[104:105], v108 offset:344
	v_mov_b32_e32 v106, 43
	s_cmp_lt_i32 s18, 45
	s_cbranch_scc1 .LBB96_905
; %bb.903:
	v_add3_u32 v107, v109, 0, 0x160
	v_mov_b32_e32 v106, 43
	s_mov_b32 s0, 44
.LBB96_904:                             ; =>This Inner Loop Header: Depth=1
	ds_load_b64 v[114:115], v107
	s_wait_dscnt 0x1
	v_cmp_gt_f32_e32 vcc_lo, 0, v104
	v_cndmask_b32_e64 v116, v104, -v104, vcc_lo
	v_cmp_gt_f32_e32 vcc_lo, 0, v105
	v_cndmask_b32_e64 v118, v105, -v105, vcc_lo
	s_wait_dscnt 0x0
	v_cmp_gt_f32_e32 vcc_lo, 0, v114
	v_cndmask_b32_e64 v117, v114, -v114, vcc_lo
	v_cmp_gt_f32_e32 vcc_lo, 0, v115
	v_cndmask_b32_e64 v119, v115, -v115, vcc_lo
	s_delay_alu instid0(VALU_DEP_1) | instskip(NEXT) | instid1(VALU_DEP_1)
	v_pk_add_f32 v[116:117], v[116:117], v[118:119]
	v_cmp_lt_f32_e32 vcc_lo, v116, v117
	v_dual_cndmask_b32 v104, v104, v114 :: v_dual_add_nc_u32 v107, 8, v107
	v_cndmask_b32_e32 v105, v105, v115, vcc_lo
	v_cndmask_b32_e64 v106, v106, s0, vcc_lo
	s_add_co_i32 s0, s0, 1
	s_delay_alu instid0(SALU_CYCLE_1)
	s_cmp_lg_u32 s18, s0
	s_cbranch_scc1 .LBB96_904
.LBB96_905:
	s_wait_dscnt 0x0
	v_cmp_eq_f32_e32 vcc_lo, 0, v104
	v_cmp_eq_f32_e64 s0, 0, v105
	s_and_b32 s0, vcc_lo, s0
	s_delay_alu instid0(SALU_CYCLE_1) | instskip(NEXT) | instid1(SALU_CYCLE_1)
	s_and_saveexec_b32 s1, s0
	s_xor_b32 s0, exec_lo, s1
; %bb.906:
	v_cmp_ne_u32_e32 vcc_lo, 0, v110
	v_cndmask_b32_e32 v110, 44, v110, vcc_lo
; %bb.907:
	s_and_not1_saveexec_b32 s0, s0
	s_cbranch_execz .LBB96_913
; %bb.908:
	v_cmp_ngt_f32_e64 s1, |v104|, |v105|
	s_and_saveexec_b32 s12, s1
	s_delay_alu instid0(SALU_CYCLE_1)
	s_xor_b32 s1, exec_lo, s12
	s_cbranch_execz .LBB96_910
; %bb.909:
	v_div_scale_f32 v107, null, v105, v105, v104
	v_div_scale_f32 v115, vcc_lo, v104, v105, v104
	s_delay_alu instid0(VALU_DEP_2) | instskip(SKIP_1) | instid1(TRANS32_DEP_1)
	v_rcp_f32_e32 v113, v107
	v_nop
	v_fma_f32 v114, -v107, v113, 1.0
	s_delay_alu instid0(VALU_DEP_1) | instskip(NEXT) | instid1(VALU_DEP_1)
	v_fmac_f32_e32 v113, v114, v113
	v_mul_f32_e32 v114, v115, v113
	s_delay_alu instid0(VALU_DEP_1) | instskip(NEXT) | instid1(VALU_DEP_1)
	v_fma_f32 v116, -v107, v114, v115
	v_fmac_f32_e32 v114, v116, v113
	s_delay_alu instid0(VALU_DEP_1) | instskip(NEXT) | instid1(VALU_DEP_1)
	v_fma_f32 v107, -v107, v114, v115
	v_div_fmas_f32 v107, v107, v113, v114
	s_delay_alu instid0(VALU_DEP_1) | instskip(NEXT) | instid1(VALU_DEP_1)
	v_div_fixup_f32 v107, v107, v105, v104
	v_fmac_f32_e32 v105, v104, v107
	s_delay_alu instid0(VALU_DEP_1) | instskip(SKIP_1) | instid1(VALU_DEP_2)
	v_div_scale_f32 v104, null, v105, v105, 1.0
	v_div_scale_f32 v115, vcc_lo, 1.0, v105, 1.0
	v_rcp_f32_e32 v113, v104
	v_nop
	s_delay_alu instid0(TRANS32_DEP_1) | instskip(NEXT) | instid1(VALU_DEP_1)
	v_fma_f32 v114, -v104, v113, 1.0
	v_fmac_f32_e32 v113, v114, v113
	s_delay_alu instid0(VALU_DEP_1) | instskip(NEXT) | instid1(VALU_DEP_1)
	v_mul_f32_e32 v114, v115, v113
	v_fma_f32 v116, -v104, v114, v115
	s_delay_alu instid0(VALU_DEP_1) | instskip(NEXT) | instid1(VALU_DEP_1)
	v_fmac_f32_e32 v114, v116, v113
	v_fma_f32 v104, -v104, v114, v115
	s_delay_alu instid0(VALU_DEP_1) | instskip(NEXT) | instid1(VALU_DEP_1)
	v_div_fmas_f32 v104, v104, v113, v114
	v_div_fixup_f32 v105, v104, v105, 1.0
	s_delay_alu instid0(VALU_DEP_1)
	v_mul_f32_e32 v104, v107, v105
	v_xor_b32_e32 v105, 0x80000000, v105
.LBB96_910:
	s_and_not1_saveexec_b32 s1, s1
	s_cbranch_execz .LBB96_912
; %bb.911:
	s_delay_alu instid0(VALU_DEP_1) | instskip(SKIP_1) | instid1(VALU_DEP_2)
	v_div_scale_f32 v107, null, v104, v104, v105
	v_div_scale_f32 v115, vcc_lo, v105, v104, v105
	v_rcp_f32_e32 v113, v107
	v_nop
	s_delay_alu instid0(TRANS32_DEP_1) | instskip(NEXT) | instid1(VALU_DEP_1)
	v_fma_f32 v114, -v107, v113, 1.0
	v_fmac_f32_e32 v113, v114, v113
	s_delay_alu instid0(VALU_DEP_1) | instskip(NEXT) | instid1(VALU_DEP_1)
	v_mul_f32_e32 v114, v115, v113
	v_fma_f32 v116, -v107, v114, v115
	s_delay_alu instid0(VALU_DEP_1) | instskip(NEXT) | instid1(VALU_DEP_1)
	v_fmac_f32_e32 v114, v116, v113
	v_fma_f32 v107, -v107, v114, v115
	s_delay_alu instid0(VALU_DEP_1) | instskip(NEXT) | instid1(VALU_DEP_1)
	v_div_fmas_f32 v107, v107, v113, v114
	v_div_fixup_f32 v107, v107, v104, v105
	s_delay_alu instid0(VALU_DEP_1) | instskip(NEXT) | instid1(VALU_DEP_1)
	v_fmac_f32_e32 v104, v105, v107
	v_div_scale_f32 v105, null, v104, v104, 1.0
	s_delay_alu instid0(VALU_DEP_1) | instskip(SKIP_1) | instid1(TRANS32_DEP_1)
	v_rcp_f32_e32 v113, v105
	v_nop
	v_fma_f32 v114, -v105, v113, 1.0
	s_delay_alu instid0(VALU_DEP_1) | instskip(SKIP_1) | instid1(VALU_DEP_1)
	v_fmac_f32_e32 v113, v114, v113
	v_div_scale_f32 v114, vcc_lo, 1.0, v104, 1.0
	v_mul_f32_e32 v115, v114, v113
	s_delay_alu instid0(VALU_DEP_1) | instskip(NEXT) | instid1(VALU_DEP_1)
	v_fma_f32 v116, -v105, v115, v114
	v_fmac_f32_e32 v115, v116, v113
	s_delay_alu instid0(VALU_DEP_1) | instskip(NEXT) | instid1(VALU_DEP_1)
	v_fma_f32 v105, -v105, v115, v114
	v_div_fmas_f32 v105, v105, v113, v115
	s_delay_alu instid0(VALU_DEP_1) | instskip(NEXT) | instid1(VALU_DEP_1)
	v_div_fixup_f32 v104, v105, v104, 1.0
	v_mul_f32_e64 v105, v107, -v104
.LBB96_912:
	s_or_b32 exec_lo, exec_lo, s1
.LBB96_913:
	s_delay_alu instid0(SALU_CYCLE_1) | instskip(NEXT) | instid1(SALU_CYCLE_1)
	s_or_b32 exec_lo, exec_lo, s0
	s_mov_b32 s0, exec_lo
	v_cmpx_ne_u32_e64 v112, v106
	s_xor_b32 s0, exec_lo, s0
	s_cbranch_execz .LBB96_919
; %bb.914:
	s_mov_b32 s1, exec_lo
	v_cmpx_eq_u32_e32 43, v112
	s_cbranch_execz .LBB96_918
; %bb.915:
	v_cmp_ne_u32_e32 vcc_lo, 43, v106
	s_xor_b32 s12, s16, -1
	s_delay_alu instid0(SALU_CYCLE_1) | instskip(NEXT) | instid1(SALU_CYCLE_1)
	s_and_b32 s13, s12, vcc_lo
	s_and_saveexec_b32 s12, s13
	s_cbranch_execz .LBB96_917
; %bb.916:
	v_ashrrev_i32_e32 v107, 31, v106
	s_delay_alu instid0(VALU_DEP_1)
	v_lshl_add_u64 v[112:113], v[106:107], 2, v[4:5]
	s_clause 0x1
	global_load_b32 v107, v[112:113], off
	global_load_b32 v111, v[4:5], off offset:172
	s_wait_loadcnt 0x1
	global_store_b32 v[4:5], v107, off offset:172
	s_wait_loadcnt 0x0
	global_store_b32 v[112:113], v111, off
.LBB96_917:
	s_wait_xcnt 0x0
	s_or_b32 exec_lo, exec_lo, s12
	v_dual_mov_b32 v112, v106 :: v_dual_mov_b32 v111, v106
.LBB96_918:
	s_or_b32 exec_lo, exec_lo, s1
.LBB96_919:
	s_and_not1_saveexec_b32 s0, s0
	s_cbranch_execz .LBB96_921
; %bb.920:
	v_dual_mov_b32 v106, v6 :: v_dual_mov_b32 v107, v7
	v_dual_mov_b32 v114, v28 :: v_dual_mov_b32 v115, v29
	;; [unrolled: 1-line block ×4, first 2 shown]
	v_mov_b32_e32 v119, v17
	ds_store_2addr_b64 v108, v[106:107], v[114:115] offset0:44 offset1:45
	ds_store_2addr_b64 v108, v[116:117], v[118:119] offset0:46 offset1:47
	ds_store_b64 v108, v[102:103] offset:384
.LBB96_921:
	s_or_b32 exec_lo, exec_lo, s0
	s_delay_alu instid0(SALU_CYCLE_1)
	s_mov_b32 s0, exec_lo
	s_wait_storecnt_dscnt 0x0
	s_barrier_signal -1
	s_barrier_wait -1
	v_cmpx_lt_i32_e32 43, v112
	s_cbranch_execz .LBB96_923
; %bb.922:
	v_pk_mul_f32 v[106:107], v[104:105], v[8:9] op_sel:[1,1] op_sel_hi:[0,1]
	s_delay_alu instid0(VALU_DEP_1)
	v_pk_fma_f32 v[114:115], v[104:105], v[8:9], v[106:107] op_sel_hi:[1,0,1] neg_lo:[0,0,1] neg_hi:[0,0,1]
	v_pk_fma_f32 v[116:117], v[104:105], v[8:9], v[106:107] op_sel_hi:[1,0,1]
	ds_load_2addr_b64 v[104:107], v108 offset0:44 offset1:45
	v_dual_mov_b32 v8, v114 :: v_dual_mov_b32 v9, v117
	s_wait_dscnt 0x0
	v_pk_mul_f32 v[118:119], v[104:105], v[116:117] op_sel:[0,1]
	s_delay_alu instid0(VALU_DEP_1) | instskip(SKIP_1) | instid1(VALU_DEP_1)
	v_pk_fma_f32 v[120:121], v[104:105], v[114:115], v[118:119] op_sel:[0,0,1] op_sel_hi:[1,1,0] neg_lo:[0,0,1] neg_hi:[0,0,1]
	v_pk_fma_f32 v[104:105], v[104:105], v[114:115], v[118:119] op_sel:[0,0,1] op_sel_hi:[1,0,0]
	v_mov_b32_e32 v121, v105
	v_pk_mul_f32 v[104:105], v[106:107], v[116:117] op_sel:[0,1]
	s_delay_alu instid0(VALU_DEP_1) | instskip(SKIP_1) | instid1(VALU_DEP_1)
	v_pk_fma_f32 v[118:119], v[106:107], v[114:115], v[104:105] op_sel:[0,0,1] op_sel_hi:[1,1,0] neg_lo:[0,0,1] neg_hi:[0,0,1]
	v_pk_fma_f32 v[104:105], v[106:107], v[114:115], v[104:105] op_sel:[0,0,1] op_sel_hi:[1,0,0]
	v_mov_b32_e32 v119, v105
	ds_load_2addr_b64 v[104:107], v108 offset0:46 offset1:47
	v_pk_add_f32 v[6:7], v[6:7], v[120:121] neg_lo:[0,1] neg_hi:[0,1]
	v_pk_add_f32 v[28:29], v[28:29], v[118:119] neg_lo:[0,1] neg_hi:[0,1]
	s_wait_dscnt 0x0
	v_pk_mul_f32 v[118:119], v[104:105], v[116:117] op_sel:[0,1]
	s_delay_alu instid0(VALU_DEP_1) | instskip(SKIP_2) | instid1(VALU_DEP_2)
	v_pk_fma_f32 v[120:121], v[104:105], v[114:115], v[118:119] op_sel:[0,0,1] op_sel_hi:[1,1,0] neg_lo:[0,0,1] neg_hi:[0,0,1]
	v_pk_fma_f32 v[104:105], v[104:105], v[114:115], v[118:119] op_sel:[0,0,1] op_sel_hi:[1,0,0]
	v_dual_mul_f32 v118, v107, v117 :: v_dual_mov_b32 v104, v107
	v_dual_mov_b32 v121, v105 :: v_dual_mov_b32 v105, v106
	s_delay_alu instid0(VALU_DEP_2) | instskip(SKIP_1) | instid1(VALU_DEP_3)
	v_pk_fma_f32 v[118:119], v[106:107], v[8:9], v[118:119] op_sel_hi:[1,1,0] neg_lo:[0,0,1] neg_hi:[0,0,1]
	v_mul_f32_e32 v106, v107, v114
	v_pk_add_f32 v[18:19], v[18:19], v[120:121] neg_lo:[0,1] neg_hi:[0,1]
	s_delay_alu instid0(VALU_DEP_2) | instskip(NEXT) | instid1(VALU_DEP_1)
	v_pk_fma_f32 v[104:105], v[104:105], v[8:9], v[106:107] op_sel_hi:[1,1,0]
	v_mov_b32_e32 v119, v105
	ds_load_b64 v[104:105], v108 offset:384
	v_pk_add_f32 v[16:17], v[16:17], v[118:119] neg_lo:[0,1] neg_hi:[0,1]
	s_wait_dscnt 0x0
	v_pk_mul_f32 v[106:107], v[104:105], v[116:117] op_sel:[0,1]
	s_delay_alu instid0(VALU_DEP_1) | instskip(SKIP_1) | instid1(VALU_DEP_1)
	v_pk_fma_f32 v[116:117], v[104:105], v[114:115], v[106:107] op_sel:[0,0,1] op_sel_hi:[1,1,0] neg_lo:[0,0,1] neg_hi:[0,0,1]
	v_pk_fma_f32 v[104:105], v[104:105], v[114:115], v[106:107] op_sel:[0,0,1] op_sel_hi:[1,0,0]
	v_mov_b32_e32 v117, v105
	s_delay_alu instid0(VALU_DEP_1)
	v_pk_add_f32 v[102:103], v[102:103], v[116:117] neg_lo:[0,1] neg_hi:[0,1]
.LBB96_923:
	s_or_b32 exec_lo, exec_lo, s0
	v_lshl_add_u32 v104, v112, 3, v108
	s_barrier_signal -1
	s_barrier_wait -1
	ds_store_b64 v104, v[6:7]
	s_wait_dscnt 0x0
	s_barrier_signal -1
	s_barrier_wait -1
	ds_load_b64 v[104:105], v108 offset:352
	v_mov_b32_e32 v106, 44
	s_cmp_lt_i32 s18, 46
	s_cbranch_scc1 .LBB96_926
; %bb.924:
	v_add3_u32 v107, v109, 0, 0x168
	v_mov_b32_e32 v106, 44
	s_mov_b32 s0, 45
.LBB96_925:                             ; =>This Inner Loop Header: Depth=1
	ds_load_b64 v[114:115], v107
	s_wait_dscnt 0x1
	v_cmp_gt_f32_e32 vcc_lo, 0, v104
	v_cndmask_b32_e64 v116, v104, -v104, vcc_lo
	v_cmp_gt_f32_e32 vcc_lo, 0, v105
	v_cndmask_b32_e64 v118, v105, -v105, vcc_lo
	s_wait_dscnt 0x0
	v_cmp_gt_f32_e32 vcc_lo, 0, v114
	v_cndmask_b32_e64 v117, v114, -v114, vcc_lo
	v_cmp_gt_f32_e32 vcc_lo, 0, v115
	v_cndmask_b32_e64 v119, v115, -v115, vcc_lo
	s_delay_alu instid0(VALU_DEP_1) | instskip(NEXT) | instid1(VALU_DEP_1)
	v_pk_add_f32 v[116:117], v[116:117], v[118:119]
	v_cmp_lt_f32_e32 vcc_lo, v116, v117
	v_dual_cndmask_b32 v104, v104, v114 :: v_dual_add_nc_u32 v107, 8, v107
	v_cndmask_b32_e32 v105, v105, v115, vcc_lo
	v_cndmask_b32_e64 v106, v106, s0, vcc_lo
	s_add_co_i32 s0, s0, 1
	s_delay_alu instid0(SALU_CYCLE_1)
	s_cmp_lg_u32 s18, s0
	s_cbranch_scc1 .LBB96_925
.LBB96_926:
	s_wait_dscnt 0x0
	v_cmp_eq_f32_e32 vcc_lo, 0, v104
	v_cmp_eq_f32_e64 s0, 0, v105
	s_and_b32 s0, vcc_lo, s0
	s_delay_alu instid0(SALU_CYCLE_1) | instskip(NEXT) | instid1(SALU_CYCLE_1)
	s_and_saveexec_b32 s1, s0
	s_xor_b32 s0, exec_lo, s1
; %bb.927:
	v_cmp_ne_u32_e32 vcc_lo, 0, v110
	v_cndmask_b32_e32 v110, 45, v110, vcc_lo
; %bb.928:
	s_and_not1_saveexec_b32 s0, s0
	s_cbranch_execz .LBB96_934
; %bb.929:
	v_cmp_ngt_f32_e64 s1, |v104|, |v105|
	s_and_saveexec_b32 s12, s1
	s_delay_alu instid0(SALU_CYCLE_1)
	s_xor_b32 s1, exec_lo, s12
	s_cbranch_execz .LBB96_931
; %bb.930:
	v_div_scale_f32 v107, null, v105, v105, v104
	v_div_scale_f32 v115, vcc_lo, v104, v105, v104
	s_delay_alu instid0(VALU_DEP_2) | instskip(SKIP_1) | instid1(TRANS32_DEP_1)
	v_rcp_f32_e32 v113, v107
	v_nop
	v_fma_f32 v114, -v107, v113, 1.0
	s_delay_alu instid0(VALU_DEP_1) | instskip(NEXT) | instid1(VALU_DEP_1)
	v_fmac_f32_e32 v113, v114, v113
	v_mul_f32_e32 v114, v115, v113
	s_delay_alu instid0(VALU_DEP_1) | instskip(NEXT) | instid1(VALU_DEP_1)
	v_fma_f32 v116, -v107, v114, v115
	v_fmac_f32_e32 v114, v116, v113
	s_delay_alu instid0(VALU_DEP_1) | instskip(NEXT) | instid1(VALU_DEP_1)
	v_fma_f32 v107, -v107, v114, v115
	v_div_fmas_f32 v107, v107, v113, v114
	s_delay_alu instid0(VALU_DEP_1) | instskip(NEXT) | instid1(VALU_DEP_1)
	v_div_fixup_f32 v107, v107, v105, v104
	v_fmac_f32_e32 v105, v104, v107
	s_delay_alu instid0(VALU_DEP_1) | instskip(SKIP_1) | instid1(VALU_DEP_2)
	v_div_scale_f32 v104, null, v105, v105, 1.0
	v_div_scale_f32 v115, vcc_lo, 1.0, v105, 1.0
	v_rcp_f32_e32 v113, v104
	v_nop
	s_delay_alu instid0(TRANS32_DEP_1) | instskip(NEXT) | instid1(VALU_DEP_1)
	v_fma_f32 v114, -v104, v113, 1.0
	v_fmac_f32_e32 v113, v114, v113
	s_delay_alu instid0(VALU_DEP_1) | instskip(NEXT) | instid1(VALU_DEP_1)
	v_mul_f32_e32 v114, v115, v113
	v_fma_f32 v116, -v104, v114, v115
	s_delay_alu instid0(VALU_DEP_1) | instskip(NEXT) | instid1(VALU_DEP_1)
	v_fmac_f32_e32 v114, v116, v113
	v_fma_f32 v104, -v104, v114, v115
	s_delay_alu instid0(VALU_DEP_1) | instskip(NEXT) | instid1(VALU_DEP_1)
	v_div_fmas_f32 v104, v104, v113, v114
	v_div_fixup_f32 v105, v104, v105, 1.0
	s_delay_alu instid0(VALU_DEP_1)
	v_mul_f32_e32 v104, v107, v105
	v_xor_b32_e32 v105, 0x80000000, v105
.LBB96_931:
	s_and_not1_saveexec_b32 s1, s1
	s_cbranch_execz .LBB96_933
; %bb.932:
	s_delay_alu instid0(VALU_DEP_1) | instskip(SKIP_1) | instid1(VALU_DEP_2)
	v_div_scale_f32 v107, null, v104, v104, v105
	v_div_scale_f32 v115, vcc_lo, v105, v104, v105
	v_rcp_f32_e32 v113, v107
	v_nop
	s_delay_alu instid0(TRANS32_DEP_1) | instskip(NEXT) | instid1(VALU_DEP_1)
	v_fma_f32 v114, -v107, v113, 1.0
	v_fmac_f32_e32 v113, v114, v113
	s_delay_alu instid0(VALU_DEP_1) | instskip(NEXT) | instid1(VALU_DEP_1)
	v_mul_f32_e32 v114, v115, v113
	v_fma_f32 v116, -v107, v114, v115
	s_delay_alu instid0(VALU_DEP_1) | instskip(NEXT) | instid1(VALU_DEP_1)
	v_fmac_f32_e32 v114, v116, v113
	v_fma_f32 v107, -v107, v114, v115
	s_delay_alu instid0(VALU_DEP_1) | instskip(NEXT) | instid1(VALU_DEP_1)
	v_div_fmas_f32 v107, v107, v113, v114
	v_div_fixup_f32 v107, v107, v104, v105
	s_delay_alu instid0(VALU_DEP_1) | instskip(NEXT) | instid1(VALU_DEP_1)
	v_fmac_f32_e32 v104, v105, v107
	v_div_scale_f32 v105, null, v104, v104, 1.0
	s_delay_alu instid0(VALU_DEP_1) | instskip(SKIP_1) | instid1(TRANS32_DEP_1)
	v_rcp_f32_e32 v113, v105
	v_nop
	v_fma_f32 v114, -v105, v113, 1.0
	s_delay_alu instid0(VALU_DEP_1) | instskip(SKIP_1) | instid1(VALU_DEP_1)
	v_fmac_f32_e32 v113, v114, v113
	v_div_scale_f32 v114, vcc_lo, 1.0, v104, 1.0
	v_mul_f32_e32 v115, v114, v113
	s_delay_alu instid0(VALU_DEP_1) | instskip(NEXT) | instid1(VALU_DEP_1)
	v_fma_f32 v116, -v105, v115, v114
	v_fmac_f32_e32 v115, v116, v113
	s_delay_alu instid0(VALU_DEP_1) | instskip(NEXT) | instid1(VALU_DEP_1)
	v_fma_f32 v105, -v105, v115, v114
	v_div_fmas_f32 v105, v105, v113, v115
	s_delay_alu instid0(VALU_DEP_1) | instskip(NEXT) | instid1(VALU_DEP_1)
	v_div_fixup_f32 v104, v105, v104, 1.0
	v_mul_f32_e64 v105, v107, -v104
.LBB96_933:
	s_or_b32 exec_lo, exec_lo, s1
.LBB96_934:
	s_delay_alu instid0(SALU_CYCLE_1) | instskip(NEXT) | instid1(SALU_CYCLE_1)
	s_or_b32 exec_lo, exec_lo, s0
	s_mov_b32 s0, exec_lo
	v_cmpx_ne_u32_e64 v112, v106
	s_xor_b32 s0, exec_lo, s0
	s_cbranch_execz .LBB96_940
; %bb.935:
	s_mov_b32 s1, exec_lo
	v_cmpx_eq_u32_e32 44, v112
	s_cbranch_execz .LBB96_939
; %bb.936:
	v_cmp_ne_u32_e32 vcc_lo, 44, v106
	s_xor_b32 s12, s16, -1
	s_delay_alu instid0(SALU_CYCLE_1) | instskip(NEXT) | instid1(SALU_CYCLE_1)
	s_and_b32 s13, s12, vcc_lo
	s_and_saveexec_b32 s12, s13
	s_cbranch_execz .LBB96_938
; %bb.937:
	v_ashrrev_i32_e32 v107, 31, v106
	s_delay_alu instid0(VALU_DEP_1)
	v_lshl_add_u64 v[112:113], v[106:107], 2, v[4:5]
	s_clause 0x1
	global_load_b32 v107, v[112:113], off
	global_load_b32 v111, v[4:5], off offset:176
	s_wait_loadcnt 0x1
	global_store_b32 v[4:5], v107, off offset:176
	s_wait_loadcnt 0x0
	global_store_b32 v[112:113], v111, off
.LBB96_938:
	s_wait_xcnt 0x0
	s_or_b32 exec_lo, exec_lo, s12
	v_dual_mov_b32 v112, v106 :: v_dual_mov_b32 v111, v106
.LBB96_939:
	s_or_b32 exec_lo, exec_lo, s1
.LBB96_940:
	s_and_not1_saveexec_b32 s0, s0
	s_cbranch_execz .LBB96_942
; %bb.941:
	v_mov_b32_e32 v112, 44
	ds_store_2addr_b64 v108, v[28:29], v[18:19] offset0:45 offset1:46
	ds_store_2addr_b64 v108, v[16:17], v[102:103] offset0:47 offset1:48
.LBB96_942:
	s_or_b32 exec_lo, exec_lo, s0
	s_delay_alu instid0(SALU_CYCLE_1)
	s_mov_b32 s0, exec_lo
	s_wait_storecnt_dscnt 0x0
	s_barrier_signal -1
	s_barrier_wait -1
	v_cmpx_lt_i32_e32 44, v112
	s_cbranch_execz .LBB96_944
; %bb.943:
	v_pk_mul_f32 v[106:107], v[104:105], v[6:7] op_sel:[1,1] op_sel_hi:[0,1]
	s_delay_alu instid0(VALU_DEP_1)
	v_pk_fma_f32 v[114:115], v[104:105], v[6:7], v[106:107] op_sel_hi:[1,0,1] neg_lo:[0,0,1] neg_hi:[0,0,1]
	v_pk_fma_f32 v[116:117], v[104:105], v[6:7], v[106:107] op_sel_hi:[1,0,1]
	ds_load_2addr_b64 v[104:107], v108 offset0:45 offset1:46
	v_dual_mov_b32 v6, v114 :: v_dual_mov_b32 v7, v117
	s_wait_dscnt 0x0
	v_pk_mul_f32 v[118:119], v[104:105], v[116:117] op_sel:[0,1]
	s_delay_alu instid0(VALU_DEP_1) | instskip(SKIP_1) | instid1(VALU_DEP_1)
	v_pk_fma_f32 v[120:121], v[104:105], v[114:115], v[118:119] op_sel:[0,0,1] op_sel_hi:[1,1,0] neg_lo:[0,0,1] neg_hi:[0,0,1]
	v_pk_fma_f32 v[104:105], v[104:105], v[114:115], v[118:119] op_sel:[0,0,1] op_sel_hi:[1,0,0]
	v_mov_b32_e32 v121, v105
	v_pk_mul_f32 v[104:105], v[106:107], v[116:117] op_sel:[0,1]
	s_delay_alu instid0(VALU_DEP_1) | instskip(SKIP_1) | instid1(VALU_DEP_1)
	v_pk_fma_f32 v[118:119], v[106:107], v[114:115], v[104:105] op_sel:[0,0,1] op_sel_hi:[1,1,0] neg_lo:[0,0,1] neg_hi:[0,0,1]
	v_pk_fma_f32 v[104:105], v[106:107], v[114:115], v[104:105] op_sel:[0,0,1] op_sel_hi:[1,0,0]
	v_mov_b32_e32 v119, v105
	ds_load_2addr_b64 v[104:107], v108 offset0:47 offset1:48
	v_pk_add_f32 v[28:29], v[28:29], v[120:121] neg_lo:[0,1] neg_hi:[0,1]
	v_pk_add_f32 v[18:19], v[18:19], v[118:119] neg_lo:[0,1] neg_hi:[0,1]
	s_wait_dscnt 0x0
	v_pk_mul_f32 v[118:119], v[104:105], v[116:117] op_sel:[0,1]
	s_delay_alu instid0(VALU_DEP_1) | instskip(SKIP_1) | instid1(VALU_DEP_1)
	v_pk_fma_f32 v[120:121], v[104:105], v[114:115], v[118:119] op_sel:[0,0,1] op_sel_hi:[1,1,0] neg_lo:[0,0,1] neg_hi:[0,0,1]
	v_pk_fma_f32 v[104:105], v[104:105], v[114:115], v[118:119] op_sel:[0,0,1] op_sel_hi:[1,0,0]
	v_dual_mov_b32 v104, v107 :: v_dual_mov_b32 v121, v105
	v_mov_b32_e32 v105, v106
	s_delay_alu instid0(VALU_DEP_2) | instskip(NEXT) | instid1(VALU_DEP_2)
	v_pk_add_f32 v[16:17], v[16:17], v[120:121] neg_lo:[0,1] neg_hi:[0,1]
	v_pk_mul_f32 v[104:105], v[104:105], v[116:117] op_sel:[0,1]
	s_delay_alu instid0(VALU_DEP_1) | instskip(SKIP_1) | instid1(VALU_DEP_1)
	v_pk_fma_f32 v[116:117], v[106:107], v[114:115], v[104:105] neg_lo:[0,0,1] neg_hi:[0,0,1]
	v_pk_fma_f32 v[104:105], v[106:107], v[114:115], v[104:105] op_sel_hi:[1,0,1]
	v_mov_b32_e32 v117, v105
	s_delay_alu instid0(VALU_DEP_1)
	v_pk_add_f32 v[102:103], v[102:103], v[116:117] neg_lo:[0,1] neg_hi:[0,1]
.LBB96_944:
	s_or_b32 exec_lo, exec_lo, s0
	v_lshl_add_u32 v104, v112, 3, v108
	s_barrier_signal -1
	s_barrier_wait -1
	ds_store_b64 v104, v[28:29]
	s_wait_dscnt 0x0
	s_barrier_signal -1
	s_barrier_wait -1
	ds_load_b64 v[104:105], v108 offset:360
	v_mov_b32_e32 v106, 45
	s_cmp_lt_i32 s18, 47
	s_cbranch_scc1 .LBB96_947
; %bb.945:
	v_add3_u32 v107, v109, 0, 0x170
	v_mov_b32_e32 v106, 45
	s_mov_b32 s0, 46
.LBB96_946:                             ; =>This Inner Loop Header: Depth=1
	ds_load_b64 v[114:115], v107
	s_wait_dscnt 0x1
	v_cmp_gt_f32_e32 vcc_lo, 0, v104
	v_cndmask_b32_e64 v116, v104, -v104, vcc_lo
	v_cmp_gt_f32_e32 vcc_lo, 0, v105
	v_cndmask_b32_e64 v118, v105, -v105, vcc_lo
	s_wait_dscnt 0x0
	v_cmp_gt_f32_e32 vcc_lo, 0, v114
	v_cndmask_b32_e64 v117, v114, -v114, vcc_lo
	v_cmp_gt_f32_e32 vcc_lo, 0, v115
	v_cndmask_b32_e64 v119, v115, -v115, vcc_lo
	s_delay_alu instid0(VALU_DEP_1) | instskip(NEXT) | instid1(VALU_DEP_1)
	v_pk_add_f32 v[116:117], v[116:117], v[118:119]
	v_cmp_lt_f32_e32 vcc_lo, v116, v117
	v_dual_cndmask_b32 v104, v104, v114 :: v_dual_add_nc_u32 v107, 8, v107
	v_cndmask_b32_e32 v105, v105, v115, vcc_lo
	v_cndmask_b32_e64 v106, v106, s0, vcc_lo
	s_add_co_i32 s0, s0, 1
	s_delay_alu instid0(SALU_CYCLE_1)
	s_cmp_lg_u32 s18, s0
	s_cbranch_scc1 .LBB96_946
.LBB96_947:
	s_wait_dscnt 0x0
	v_cmp_eq_f32_e32 vcc_lo, 0, v104
	v_cmp_eq_f32_e64 s0, 0, v105
	s_and_b32 s0, vcc_lo, s0
	s_delay_alu instid0(SALU_CYCLE_1) | instskip(NEXT) | instid1(SALU_CYCLE_1)
	s_and_saveexec_b32 s1, s0
	s_xor_b32 s0, exec_lo, s1
; %bb.948:
	v_cmp_ne_u32_e32 vcc_lo, 0, v110
	v_cndmask_b32_e32 v110, 46, v110, vcc_lo
; %bb.949:
	s_and_not1_saveexec_b32 s0, s0
	s_cbranch_execz .LBB96_955
; %bb.950:
	v_cmp_ngt_f32_e64 s1, |v104|, |v105|
	s_and_saveexec_b32 s12, s1
	s_delay_alu instid0(SALU_CYCLE_1)
	s_xor_b32 s1, exec_lo, s12
	s_cbranch_execz .LBB96_952
; %bb.951:
	v_div_scale_f32 v107, null, v105, v105, v104
	v_div_scale_f32 v115, vcc_lo, v104, v105, v104
	s_delay_alu instid0(VALU_DEP_2) | instskip(SKIP_1) | instid1(TRANS32_DEP_1)
	v_rcp_f32_e32 v113, v107
	v_nop
	v_fma_f32 v114, -v107, v113, 1.0
	s_delay_alu instid0(VALU_DEP_1) | instskip(NEXT) | instid1(VALU_DEP_1)
	v_fmac_f32_e32 v113, v114, v113
	v_mul_f32_e32 v114, v115, v113
	s_delay_alu instid0(VALU_DEP_1) | instskip(NEXT) | instid1(VALU_DEP_1)
	v_fma_f32 v116, -v107, v114, v115
	v_fmac_f32_e32 v114, v116, v113
	s_delay_alu instid0(VALU_DEP_1) | instskip(NEXT) | instid1(VALU_DEP_1)
	v_fma_f32 v107, -v107, v114, v115
	v_div_fmas_f32 v107, v107, v113, v114
	s_delay_alu instid0(VALU_DEP_1) | instskip(NEXT) | instid1(VALU_DEP_1)
	v_div_fixup_f32 v107, v107, v105, v104
	v_fmac_f32_e32 v105, v104, v107
	s_delay_alu instid0(VALU_DEP_1) | instskip(SKIP_1) | instid1(VALU_DEP_2)
	v_div_scale_f32 v104, null, v105, v105, 1.0
	v_div_scale_f32 v115, vcc_lo, 1.0, v105, 1.0
	v_rcp_f32_e32 v113, v104
	v_nop
	s_delay_alu instid0(TRANS32_DEP_1) | instskip(NEXT) | instid1(VALU_DEP_1)
	v_fma_f32 v114, -v104, v113, 1.0
	v_fmac_f32_e32 v113, v114, v113
	s_delay_alu instid0(VALU_DEP_1) | instskip(NEXT) | instid1(VALU_DEP_1)
	v_mul_f32_e32 v114, v115, v113
	v_fma_f32 v116, -v104, v114, v115
	s_delay_alu instid0(VALU_DEP_1) | instskip(NEXT) | instid1(VALU_DEP_1)
	v_fmac_f32_e32 v114, v116, v113
	v_fma_f32 v104, -v104, v114, v115
	s_delay_alu instid0(VALU_DEP_1) | instskip(NEXT) | instid1(VALU_DEP_1)
	v_div_fmas_f32 v104, v104, v113, v114
	v_div_fixup_f32 v105, v104, v105, 1.0
	s_delay_alu instid0(VALU_DEP_1)
	v_mul_f32_e32 v104, v107, v105
	v_xor_b32_e32 v105, 0x80000000, v105
.LBB96_952:
	s_and_not1_saveexec_b32 s1, s1
	s_cbranch_execz .LBB96_954
; %bb.953:
	s_delay_alu instid0(VALU_DEP_1) | instskip(SKIP_1) | instid1(VALU_DEP_2)
	v_div_scale_f32 v107, null, v104, v104, v105
	v_div_scale_f32 v115, vcc_lo, v105, v104, v105
	v_rcp_f32_e32 v113, v107
	v_nop
	s_delay_alu instid0(TRANS32_DEP_1) | instskip(NEXT) | instid1(VALU_DEP_1)
	v_fma_f32 v114, -v107, v113, 1.0
	v_fmac_f32_e32 v113, v114, v113
	s_delay_alu instid0(VALU_DEP_1) | instskip(NEXT) | instid1(VALU_DEP_1)
	v_mul_f32_e32 v114, v115, v113
	v_fma_f32 v116, -v107, v114, v115
	s_delay_alu instid0(VALU_DEP_1) | instskip(NEXT) | instid1(VALU_DEP_1)
	v_fmac_f32_e32 v114, v116, v113
	v_fma_f32 v107, -v107, v114, v115
	s_delay_alu instid0(VALU_DEP_1) | instskip(NEXT) | instid1(VALU_DEP_1)
	v_div_fmas_f32 v107, v107, v113, v114
	v_div_fixup_f32 v107, v107, v104, v105
	s_delay_alu instid0(VALU_DEP_1) | instskip(NEXT) | instid1(VALU_DEP_1)
	v_fmac_f32_e32 v104, v105, v107
	v_div_scale_f32 v105, null, v104, v104, 1.0
	s_delay_alu instid0(VALU_DEP_1) | instskip(SKIP_1) | instid1(TRANS32_DEP_1)
	v_rcp_f32_e32 v113, v105
	v_nop
	v_fma_f32 v114, -v105, v113, 1.0
	s_delay_alu instid0(VALU_DEP_1) | instskip(SKIP_1) | instid1(VALU_DEP_1)
	v_fmac_f32_e32 v113, v114, v113
	v_div_scale_f32 v114, vcc_lo, 1.0, v104, 1.0
	v_mul_f32_e32 v115, v114, v113
	s_delay_alu instid0(VALU_DEP_1) | instskip(NEXT) | instid1(VALU_DEP_1)
	v_fma_f32 v116, -v105, v115, v114
	v_fmac_f32_e32 v115, v116, v113
	s_delay_alu instid0(VALU_DEP_1) | instskip(NEXT) | instid1(VALU_DEP_1)
	v_fma_f32 v105, -v105, v115, v114
	v_div_fmas_f32 v105, v105, v113, v115
	s_delay_alu instid0(VALU_DEP_1) | instskip(NEXT) | instid1(VALU_DEP_1)
	v_div_fixup_f32 v104, v105, v104, 1.0
	v_mul_f32_e64 v105, v107, -v104
.LBB96_954:
	s_or_b32 exec_lo, exec_lo, s1
.LBB96_955:
	s_delay_alu instid0(SALU_CYCLE_1) | instskip(NEXT) | instid1(SALU_CYCLE_1)
	s_or_b32 exec_lo, exec_lo, s0
	s_mov_b32 s0, exec_lo
	v_cmpx_ne_u32_e64 v112, v106
	s_xor_b32 s0, exec_lo, s0
	s_cbranch_execz .LBB96_961
; %bb.956:
	s_mov_b32 s1, exec_lo
	v_cmpx_eq_u32_e32 45, v112
	s_cbranch_execz .LBB96_960
; %bb.957:
	v_cmp_ne_u32_e32 vcc_lo, 45, v106
	s_xor_b32 s12, s16, -1
	s_delay_alu instid0(SALU_CYCLE_1) | instskip(NEXT) | instid1(SALU_CYCLE_1)
	s_and_b32 s13, s12, vcc_lo
	s_and_saveexec_b32 s12, s13
	s_cbranch_execz .LBB96_959
; %bb.958:
	v_ashrrev_i32_e32 v107, 31, v106
	s_delay_alu instid0(VALU_DEP_1)
	v_lshl_add_u64 v[112:113], v[106:107], 2, v[4:5]
	s_clause 0x1
	global_load_b32 v107, v[112:113], off
	global_load_b32 v111, v[4:5], off offset:180
	s_wait_loadcnt 0x1
	global_store_b32 v[4:5], v107, off offset:180
	s_wait_loadcnt 0x0
	global_store_b32 v[112:113], v111, off
.LBB96_959:
	s_wait_xcnt 0x0
	s_or_b32 exec_lo, exec_lo, s12
	v_dual_mov_b32 v112, v106 :: v_dual_mov_b32 v111, v106
.LBB96_960:
	s_or_b32 exec_lo, exec_lo, s1
.LBB96_961:
	s_and_not1_saveexec_b32 s0, s0
	s_cbranch_execz .LBB96_963
; %bb.962:
	v_dual_mov_b32 v106, v18 :: v_dual_mov_b32 v107, v19
	v_dual_mov_b32 v114, v16 :: v_dual_mov_b32 v115, v17
	v_mov_b32_e32 v112, 45
	ds_store_2addr_b64 v108, v[106:107], v[114:115] offset0:46 offset1:47
	ds_store_b64 v108, v[102:103] offset:384
.LBB96_963:
	s_or_b32 exec_lo, exec_lo, s0
	s_delay_alu instid0(SALU_CYCLE_1)
	s_mov_b32 s0, exec_lo
	s_wait_storecnt_dscnt 0x0
	s_barrier_signal -1
	s_barrier_wait -1
	v_cmpx_lt_i32_e32 45, v112
	s_cbranch_execz .LBB96_965
; %bb.964:
	ds_load_2addr_b64 v[114:117], v108 offset0:46 offset1:47
	ds_load_b64 v[106:107], v108 offset:384
	v_pk_mul_f32 v[118:119], v[104:105], v[28:29] op_sel:[1,1] op_sel_hi:[0,1]
	s_delay_alu instid0(VALU_DEP_1) | instskip(SKIP_2) | instid1(VALU_DEP_2)
	v_pk_fma_f32 v[120:121], v[104:105], v[28:29], v[118:119] op_sel_hi:[1,0,1]
	v_pk_fma_f32 v[28:29], v[104:105], v[28:29], v[118:119] op_sel_hi:[1,0,1] neg_lo:[0,0,1] neg_hi:[0,0,1]
	s_wait_dscnt 0x1
	v_pk_mul_f32 v[104:105], v[114:115], v[120:121] op_sel:[0,1]
	v_pk_mul_f32 v[118:119], v[116:117], v[120:121] op_sel:[0,1]
	s_wait_dscnt 0x0
	v_pk_mul_f32 v[122:123], v[106:107], v[120:121] op_sel:[1,1] op_sel_hi:[0,1]
	s_delay_alu instid0(VALU_DEP_3) | instskip(SKIP_2) | instid1(VALU_DEP_4)
	v_pk_fma_f32 v[124:125], v[114:115], v[28:29], v[104:105] op_sel:[0,0,1] op_sel_hi:[1,1,0] neg_lo:[0,0,1] neg_hi:[0,0,1]
	v_pk_fma_f32 v[104:105], v[114:115], v[28:29], v[104:105] op_sel:[0,0,1] op_sel_hi:[1,0,0]
	v_pk_fma_f32 v[114:115], v[116:117], v[28:29], v[118:119] op_sel:[0,0,1] op_sel_hi:[1,0,0]
	v_pk_fma_f32 v[126:127], v[106:107], v[28:29], v[122:123] op_sel_hi:[1,0,1]
	v_pk_fma_f32 v[116:117], v[116:117], v[28:29], v[118:119] op_sel:[0,0,1] op_sel_hi:[1,1,0] neg_lo:[0,0,1] neg_hi:[0,0,1]
	v_pk_fma_f32 v[106:107], v[106:107], v[28:29], v[122:123] neg_lo:[0,0,1] neg_hi:[0,0,1]
	s_delay_alu instid0(VALU_DEP_4) | instskip(NEXT) | instid1(VALU_DEP_4)
	v_dual_mov_b32 v125, v105 :: v_dual_mov_b32 v117, v115
	v_dual_mov_b32 v107, v127 :: v_dual_mov_b32 v29, v121
	s_delay_alu instid0(VALU_DEP_2) | instskip(NEXT) | instid1(VALU_DEP_3)
	v_pk_add_f32 v[18:19], v[18:19], v[124:125] neg_lo:[0,1] neg_hi:[0,1]
	v_pk_add_f32 v[16:17], v[16:17], v[116:117] neg_lo:[0,1] neg_hi:[0,1]
	s_delay_alu instid0(VALU_DEP_3)
	v_pk_add_f32 v[102:103], v[102:103], v[106:107] neg_lo:[0,1] neg_hi:[0,1]
.LBB96_965:
	s_or_b32 exec_lo, exec_lo, s0
	v_lshl_add_u32 v104, v112, 3, v108
	s_barrier_signal -1
	s_barrier_wait -1
	ds_store_b64 v104, v[18:19]
	s_wait_dscnt 0x0
	s_barrier_signal -1
	s_barrier_wait -1
	ds_load_b64 v[104:105], v108 offset:368
	v_mov_b32_e32 v106, 46
	s_cmp_lt_i32 s18, 48
	s_cbranch_scc1 .LBB96_968
; %bb.966:
	v_add3_u32 v107, v109, 0, 0x178
	v_mov_b32_e32 v106, 46
	s_mov_b32 s0, 47
.LBB96_967:                             ; =>This Inner Loop Header: Depth=1
	ds_load_b64 v[114:115], v107
	s_wait_dscnt 0x1
	v_cmp_gt_f32_e32 vcc_lo, 0, v104
	v_cndmask_b32_e64 v116, v104, -v104, vcc_lo
	v_cmp_gt_f32_e32 vcc_lo, 0, v105
	v_cndmask_b32_e64 v118, v105, -v105, vcc_lo
	s_wait_dscnt 0x0
	v_cmp_gt_f32_e32 vcc_lo, 0, v114
	v_cndmask_b32_e64 v117, v114, -v114, vcc_lo
	v_cmp_gt_f32_e32 vcc_lo, 0, v115
	v_cndmask_b32_e64 v119, v115, -v115, vcc_lo
	s_delay_alu instid0(VALU_DEP_1) | instskip(NEXT) | instid1(VALU_DEP_1)
	v_pk_add_f32 v[116:117], v[116:117], v[118:119]
	v_cmp_lt_f32_e32 vcc_lo, v116, v117
	v_dual_cndmask_b32 v104, v104, v114 :: v_dual_add_nc_u32 v107, 8, v107
	v_cndmask_b32_e32 v105, v105, v115, vcc_lo
	v_cndmask_b32_e64 v106, v106, s0, vcc_lo
	s_add_co_i32 s0, s0, 1
	s_delay_alu instid0(SALU_CYCLE_1)
	s_cmp_lg_u32 s18, s0
	s_cbranch_scc1 .LBB96_967
.LBB96_968:
	s_wait_dscnt 0x0
	v_cmp_eq_f32_e32 vcc_lo, 0, v104
	v_cmp_eq_f32_e64 s0, 0, v105
	s_and_b32 s0, vcc_lo, s0
	s_delay_alu instid0(SALU_CYCLE_1) | instskip(NEXT) | instid1(SALU_CYCLE_1)
	s_and_saveexec_b32 s1, s0
	s_xor_b32 s0, exec_lo, s1
; %bb.969:
	v_cmp_ne_u32_e32 vcc_lo, 0, v110
	v_cndmask_b32_e32 v110, 47, v110, vcc_lo
; %bb.970:
	s_and_not1_saveexec_b32 s0, s0
	s_cbranch_execz .LBB96_976
; %bb.971:
	v_cmp_ngt_f32_e64 s1, |v104|, |v105|
	s_and_saveexec_b32 s12, s1
	s_delay_alu instid0(SALU_CYCLE_1)
	s_xor_b32 s1, exec_lo, s12
	s_cbranch_execz .LBB96_973
; %bb.972:
	v_div_scale_f32 v107, null, v105, v105, v104
	v_div_scale_f32 v115, vcc_lo, v104, v105, v104
	s_delay_alu instid0(VALU_DEP_2) | instskip(SKIP_1) | instid1(TRANS32_DEP_1)
	v_rcp_f32_e32 v113, v107
	v_nop
	v_fma_f32 v114, -v107, v113, 1.0
	s_delay_alu instid0(VALU_DEP_1) | instskip(NEXT) | instid1(VALU_DEP_1)
	v_fmac_f32_e32 v113, v114, v113
	v_mul_f32_e32 v114, v115, v113
	s_delay_alu instid0(VALU_DEP_1) | instskip(NEXT) | instid1(VALU_DEP_1)
	v_fma_f32 v116, -v107, v114, v115
	v_fmac_f32_e32 v114, v116, v113
	s_delay_alu instid0(VALU_DEP_1) | instskip(NEXT) | instid1(VALU_DEP_1)
	v_fma_f32 v107, -v107, v114, v115
	v_div_fmas_f32 v107, v107, v113, v114
	s_delay_alu instid0(VALU_DEP_1) | instskip(NEXT) | instid1(VALU_DEP_1)
	v_div_fixup_f32 v107, v107, v105, v104
	v_fmac_f32_e32 v105, v104, v107
	s_delay_alu instid0(VALU_DEP_1) | instskip(SKIP_1) | instid1(VALU_DEP_2)
	v_div_scale_f32 v104, null, v105, v105, 1.0
	v_div_scale_f32 v115, vcc_lo, 1.0, v105, 1.0
	v_rcp_f32_e32 v113, v104
	v_nop
	s_delay_alu instid0(TRANS32_DEP_1) | instskip(NEXT) | instid1(VALU_DEP_1)
	v_fma_f32 v114, -v104, v113, 1.0
	v_fmac_f32_e32 v113, v114, v113
	s_delay_alu instid0(VALU_DEP_1) | instskip(NEXT) | instid1(VALU_DEP_1)
	v_mul_f32_e32 v114, v115, v113
	v_fma_f32 v116, -v104, v114, v115
	s_delay_alu instid0(VALU_DEP_1) | instskip(NEXT) | instid1(VALU_DEP_1)
	v_fmac_f32_e32 v114, v116, v113
	v_fma_f32 v104, -v104, v114, v115
	s_delay_alu instid0(VALU_DEP_1) | instskip(NEXT) | instid1(VALU_DEP_1)
	v_div_fmas_f32 v104, v104, v113, v114
	v_div_fixup_f32 v105, v104, v105, 1.0
	s_delay_alu instid0(VALU_DEP_1)
	v_mul_f32_e32 v104, v107, v105
	v_xor_b32_e32 v105, 0x80000000, v105
.LBB96_973:
	s_and_not1_saveexec_b32 s1, s1
	s_cbranch_execz .LBB96_975
; %bb.974:
	s_delay_alu instid0(VALU_DEP_1) | instskip(SKIP_1) | instid1(VALU_DEP_2)
	v_div_scale_f32 v107, null, v104, v104, v105
	v_div_scale_f32 v115, vcc_lo, v105, v104, v105
	v_rcp_f32_e32 v113, v107
	v_nop
	s_delay_alu instid0(TRANS32_DEP_1) | instskip(NEXT) | instid1(VALU_DEP_1)
	v_fma_f32 v114, -v107, v113, 1.0
	v_fmac_f32_e32 v113, v114, v113
	s_delay_alu instid0(VALU_DEP_1) | instskip(NEXT) | instid1(VALU_DEP_1)
	v_mul_f32_e32 v114, v115, v113
	v_fma_f32 v116, -v107, v114, v115
	s_delay_alu instid0(VALU_DEP_1) | instskip(NEXT) | instid1(VALU_DEP_1)
	v_fmac_f32_e32 v114, v116, v113
	v_fma_f32 v107, -v107, v114, v115
	s_delay_alu instid0(VALU_DEP_1) | instskip(NEXT) | instid1(VALU_DEP_1)
	v_div_fmas_f32 v107, v107, v113, v114
	v_div_fixup_f32 v107, v107, v104, v105
	s_delay_alu instid0(VALU_DEP_1) | instskip(NEXT) | instid1(VALU_DEP_1)
	v_fmac_f32_e32 v104, v105, v107
	v_div_scale_f32 v105, null, v104, v104, 1.0
	s_delay_alu instid0(VALU_DEP_1) | instskip(SKIP_1) | instid1(TRANS32_DEP_1)
	v_rcp_f32_e32 v113, v105
	v_nop
	v_fma_f32 v114, -v105, v113, 1.0
	s_delay_alu instid0(VALU_DEP_1) | instskip(SKIP_1) | instid1(VALU_DEP_1)
	v_fmac_f32_e32 v113, v114, v113
	v_div_scale_f32 v114, vcc_lo, 1.0, v104, 1.0
	v_mul_f32_e32 v115, v114, v113
	s_delay_alu instid0(VALU_DEP_1) | instskip(NEXT) | instid1(VALU_DEP_1)
	v_fma_f32 v116, -v105, v115, v114
	v_fmac_f32_e32 v115, v116, v113
	s_delay_alu instid0(VALU_DEP_1) | instskip(NEXT) | instid1(VALU_DEP_1)
	v_fma_f32 v105, -v105, v115, v114
	v_div_fmas_f32 v105, v105, v113, v115
	s_delay_alu instid0(VALU_DEP_1) | instskip(NEXT) | instid1(VALU_DEP_1)
	v_div_fixup_f32 v104, v105, v104, 1.0
	v_mul_f32_e64 v105, v107, -v104
.LBB96_975:
	s_or_b32 exec_lo, exec_lo, s1
.LBB96_976:
	s_delay_alu instid0(SALU_CYCLE_1) | instskip(NEXT) | instid1(SALU_CYCLE_1)
	s_or_b32 exec_lo, exec_lo, s0
	s_mov_b32 s0, exec_lo
	v_cmpx_ne_u32_e64 v112, v106
	s_xor_b32 s0, exec_lo, s0
	s_cbranch_execz .LBB96_982
; %bb.977:
	s_mov_b32 s1, exec_lo
	v_cmpx_eq_u32_e32 46, v112
	s_cbranch_execz .LBB96_981
; %bb.978:
	v_cmp_ne_u32_e32 vcc_lo, 46, v106
	s_xor_b32 s12, s16, -1
	s_delay_alu instid0(SALU_CYCLE_1) | instskip(NEXT) | instid1(SALU_CYCLE_1)
	s_and_b32 s13, s12, vcc_lo
	s_and_saveexec_b32 s12, s13
	s_cbranch_execz .LBB96_980
; %bb.979:
	v_ashrrev_i32_e32 v107, 31, v106
	s_delay_alu instid0(VALU_DEP_1)
	v_lshl_add_u64 v[112:113], v[106:107], 2, v[4:5]
	s_clause 0x1
	global_load_b32 v107, v[112:113], off
	global_load_b32 v111, v[4:5], off offset:184
	s_wait_loadcnt 0x1
	global_store_b32 v[4:5], v107, off offset:184
	s_wait_loadcnt 0x0
	global_store_b32 v[112:113], v111, off
.LBB96_980:
	s_wait_xcnt 0x0
	s_or_b32 exec_lo, exec_lo, s12
	v_dual_mov_b32 v112, v106 :: v_dual_mov_b32 v111, v106
.LBB96_981:
	s_or_b32 exec_lo, exec_lo, s1
.LBB96_982:
	s_and_not1_saveexec_b32 s0, s0
; %bb.983:
	v_mov_b32_e32 v112, 46
	ds_store_2addr_b64 v108, v[16:17], v[102:103] offset0:47 offset1:48
; %bb.984:
	s_or_b32 exec_lo, exec_lo, s0
	s_delay_alu instid0(SALU_CYCLE_1)
	s_mov_b32 s0, exec_lo
	s_wait_storecnt_dscnt 0x0
	s_barrier_signal -1
	s_barrier_wait -1
	v_cmpx_lt_i32_e32 46, v112
	s_cbranch_execz .LBB96_986
; %bb.985:
	ds_load_2addr_b64 v[114:117], v108 offset0:47 offset1:48
	v_pk_mul_f32 v[106:107], v[104:105], v[18:19] op_sel:[1,1] op_sel_hi:[0,1]
	s_delay_alu instid0(VALU_DEP_1) | instskip(SKIP_3) | instid1(VALU_DEP_3)
	v_pk_fma_f32 v[118:119], v[104:105], v[18:19], v[106:107] op_sel_hi:[1,0,1]
	v_pk_fma_f32 v[18:19], v[104:105], v[18:19], v[106:107] op_sel_hi:[1,0,1] neg_lo:[0,0,1] neg_hi:[0,0,1]
	s_wait_dscnt 0x0
	v_dual_mov_b32 v120, v117 :: v_dual_mov_b32 v121, v116
	v_pk_mul_f32 v[104:105], v[114:115], v[118:119] op_sel:[0,1]
	s_delay_alu instid0(VALU_DEP_2) | instskip(NEXT) | instid1(VALU_DEP_2)
	v_pk_mul_f32 v[106:107], v[120:121], v[118:119] op_sel:[0,1]
	v_pk_fma_f32 v[120:121], v[114:115], v[18:19], v[104:105] op_sel:[0,0,1] op_sel_hi:[1,0,0]
	v_pk_fma_f32 v[104:105], v[114:115], v[18:19], v[104:105] op_sel:[0,0,1] op_sel_hi:[1,1,0] neg_lo:[0,0,1] neg_hi:[0,0,1]
	s_delay_alu instid0(VALU_DEP_3) | instskip(SKIP_1) | instid1(VALU_DEP_4)
	v_pk_fma_f32 v[122:123], v[116:117], v[18:19], v[106:107] op_sel_hi:[1,0,1]
	v_pk_fma_f32 v[106:107], v[116:117], v[18:19], v[106:107] neg_lo:[0,0,1] neg_hi:[0,0,1]
	v_dual_mov_b32 v105, v121 :: v_dual_mov_b32 v19, v119
	s_delay_alu instid0(VALU_DEP_3) | instskip(NEXT) | instid1(VALU_DEP_2)
	v_mov_b32_e32 v107, v123
	v_pk_add_f32 v[16:17], v[16:17], v[104:105] neg_lo:[0,1] neg_hi:[0,1]
	s_delay_alu instid0(VALU_DEP_2)
	v_pk_add_f32 v[102:103], v[102:103], v[106:107] neg_lo:[0,1] neg_hi:[0,1]
.LBB96_986:
	s_or_b32 exec_lo, exec_lo, s0
	v_lshl_add_u32 v104, v112, 3, v108
	s_barrier_signal -1
	s_barrier_wait -1
	ds_store_b64 v104, v[16:17]
	s_wait_dscnt 0x0
	s_barrier_signal -1
	s_barrier_wait -1
	ds_load_b64 v[104:105], v108 offset:376
	v_mov_b32_e32 v106, 47
	s_cmp_lt_i32 s18, 49
	s_cbranch_scc1 .LBB96_989
; %bb.987:
	v_add3_u32 v107, v109, 0, 0x180
	v_mov_b32_e32 v106, 47
	s_mov_b32 s0, 48
.LBB96_988:                             ; =>This Inner Loop Header: Depth=1
	ds_load_b64 v[114:115], v107
	s_wait_dscnt 0x1
	v_cmp_gt_f32_e32 vcc_lo, 0, v104
	v_cndmask_b32_e64 v116, v104, -v104, vcc_lo
	v_cmp_gt_f32_e32 vcc_lo, 0, v105
	v_cndmask_b32_e64 v118, v105, -v105, vcc_lo
	s_wait_dscnt 0x0
	v_cmp_gt_f32_e32 vcc_lo, 0, v114
	v_cndmask_b32_e64 v117, v114, -v114, vcc_lo
	v_cmp_gt_f32_e32 vcc_lo, 0, v115
	v_cndmask_b32_e64 v119, v115, -v115, vcc_lo
	s_delay_alu instid0(VALU_DEP_1) | instskip(NEXT) | instid1(VALU_DEP_1)
	v_pk_add_f32 v[116:117], v[116:117], v[118:119]
	v_cmp_lt_f32_e32 vcc_lo, v116, v117
	v_dual_cndmask_b32 v104, v104, v114 :: v_dual_add_nc_u32 v107, 8, v107
	v_cndmask_b32_e32 v105, v105, v115, vcc_lo
	v_cndmask_b32_e64 v106, v106, s0, vcc_lo
	s_add_co_i32 s0, s0, 1
	s_delay_alu instid0(SALU_CYCLE_1)
	s_cmp_lg_u32 s18, s0
	s_cbranch_scc1 .LBB96_988
.LBB96_989:
	s_wait_dscnt 0x0
	v_cmp_eq_f32_e32 vcc_lo, 0, v104
	v_cmp_eq_f32_e64 s0, 0, v105
	s_and_b32 s0, vcc_lo, s0
	s_delay_alu instid0(SALU_CYCLE_1) | instskip(NEXT) | instid1(SALU_CYCLE_1)
	s_and_saveexec_b32 s1, s0
	s_xor_b32 s0, exec_lo, s1
; %bb.990:
	v_cmp_ne_u32_e32 vcc_lo, 0, v110
	v_cndmask_b32_e32 v110, 48, v110, vcc_lo
; %bb.991:
	s_and_not1_saveexec_b32 s0, s0
	s_cbranch_execz .LBB96_997
; %bb.992:
	v_cmp_ngt_f32_e64 s1, |v104|, |v105|
	s_and_saveexec_b32 s12, s1
	s_delay_alu instid0(SALU_CYCLE_1)
	s_xor_b32 s1, exec_lo, s12
	s_cbranch_execz .LBB96_994
; %bb.993:
	v_div_scale_f32 v107, null, v105, v105, v104
	v_div_scale_f32 v115, vcc_lo, v104, v105, v104
	s_delay_alu instid0(VALU_DEP_2) | instskip(SKIP_1) | instid1(TRANS32_DEP_1)
	v_rcp_f32_e32 v113, v107
	v_nop
	v_fma_f32 v114, -v107, v113, 1.0
	s_delay_alu instid0(VALU_DEP_1) | instskip(NEXT) | instid1(VALU_DEP_1)
	v_fmac_f32_e32 v113, v114, v113
	v_mul_f32_e32 v114, v115, v113
	s_delay_alu instid0(VALU_DEP_1) | instskip(NEXT) | instid1(VALU_DEP_1)
	v_fma_f32 v116, -v107, v114, v115
	v_fmac_f32_e32 v114, v116, v113
	s_delay_alu instid0(VALU_DEP_1) | instskip(NEXT) | instid1(VALU_DEP_1)
	v_fma_f32 v107, -v107, v114, v115
	v_div_fmas_f32 v107, v107, v113, v114
	s_delay_alu instid0(VALU_DEP_1) | instskip(NEXT) | instid1(VALU_DEP_1)
	v_div_fixup_f32 v107, v107, v105, v104
	v_fmac_f32_e32 v105, v104, v107
	s_delay_alu instid0(VALU_DEP_1) | instskip(SKIP_1) | instid1(VALU_DEP_2)
	v_div_scale_f32 v104, null, v105, v105, 1.0
	v_div_scale_f32 v115, vcc_lo, 1.0, v105, 1.0
	v_rcp_f32_e32 v113, v104
	v_nop
	s_delay_alu instid0(TRANS32_DEP_1) | instskip(NEXT) | instid1(VALU_DEP_1)
	v_fma_f32 v114, -v104, v113, 1.0
	v_fmac_f32_e32 v113, v114, v113
	s_delay_alu instid0(VALU_DEP_1) | instskip(NEXT) | instid1(VALU_DEP_1)
	v_mul_f32_e32 v114, v115, v113
	v_fma_f32 v116, -v104, v114, v115
	s_delay_alu instid0(VALU_DEP_1) | instskip(NEXT) | instid1(VALU_DEP_1)
	v_fmac_f32_e32 v114, v116, v113
	v_fma_f32 v104, -v104, v114, v115
	s_delay_alu instid0(VALU_DEP_1) | instskip(NEXT) | instid1(VALU_DEP_1)
	v_div_fmas_f32 v104, v104, v113, v114
	v_div_fixup_f32 v105, v104, v105, 1.0
	s_delay_alu instid0(VALU_DEP_1)
	v_mul_f32_e32 v104, v107, v105
	v_xor_b32_e32 v105, 0x80000000, v105
.LBB96_994:
	s_and_not1_saveexec_b32 s1, s1
	s_cbranch_execz .LBB96_996
; %bb.995:
	s_delay_alu instid0(VALU_DEP_1) | instskip(SKIP_1) | instid1(VALU_DEP_2)
	v_div_scale_f32 v107, null, v104, v104, v105
	v_div_scale_f32 v115, vcc_lo, v105, v104, v105
	v_rcp_f32_e32 v113, v107
	v_nop
	s_delay_alu instid0(TRANS32_DEP_1) | instskip(NEXT) | instid1(VALU_DEP_1)
	v_fma_f32 v114, -v107, v113, 1.0
	v_fmac_f32_e32 v113, v114, v113
	s_delay_alu instid0(VALU_DEP_1) | instskip(NEXT) | instid1(VALU_DEP_1)
	v_mul_f32_e32 v114, v115, v113
	v_fma_f32 v116, -v107, v114, v115
	s_delay_alu instid0(VALU_DEP_1) | instskip(NEXT) | instid1(VALU_DEP_1)
	v_fmac_f32_e32 v114, v116, v113
	v_fma_f32 v107, -v107, v114, v115
	s_delay_alu instid0(VALU_DEP_1) | instskip(NEXT) | instid1(VALU_DEP_1)
	v_div_fmas_f32 v107, v107, v113, v114
	v_div_fixup_f32 v107, v107, v104, v105
	s_delay_alu instid0(VALU_DEP_1) | instskip(NEXT) | instid1(VALU_DEP_1)
	v_fmac_f32_e32 v104, v105, v107
	v_div_scale_f32 v105, null, v104, v104, 1.0
	s_delay_alu instid0(VALU_DEP_1) | instskip(SKIP_1) | instid1(TRANS32_DEP_1)
	v_rcp_f32_e32 v113, v105
	v_nop
	v_fma_f32 v114, -v105, v113, 1.0
	s_delay_alu instid0(VALU_DEP_1) | instskip(SKIP_1) | instid1(VALU_DEP_1)
	v_fmac_f32_e32 v113, v114, v113
	v_div_scale_f32 v114, vcc_lo, 1.0, v104, 1.0
	v_mul_f32_e32 v115, v114, v113
	s_delay_alu instid0(VALU_DEP_1) | instskip(NEXT) | instid1(VALU_DEP_1)
	v_fma_f32 v116, -v105, v115, v114
	v_fmac_f32_e32 v115, v116, v113
	s_delay_alu instid0(VALU_DEP_1) | instskip(NEXT) | instid1(VALU_DEP_1)
	v_fma_f32 v105, -v105, v115, v114
	v_div_fmas_f32 v105, v105, v113, v115
	s_delay_alu instid0(VALU_DEP_1) | instskip(NEXT) | instid1(VALU_DEP_1)
	v_div_fixup_f32 v104, v105, v104, 1.0
	v_mul_f32_e64 v105, v107, -v104
.LBB96_996:
	s_or_b32 exec_lo, exec_lo, s1
.LBB96_997:
	s_delay_alu instid0(SALU_CYCLE_1) | instskip(NEXT) | instid1(SALU_CYCLE_1)
	s_or_b32 exec_lo, exec_lo, s0
	s_mov_b32 s0, exec_lo
	v_cmpx_ne_u32_e64 v112, v106
	s_xor_b32 s0, exec_lo, s0
	s_cbranch_execz .LBB96_1003
; %bb.998:
	s_mov_b32 s1, exec_lo
	v_cmpx_eq_u32_e32 47, v112
	s_cbranch_execz .LBB96_1002
; %bb.999:
	v_cmp_ne_u32_e32 vcc_lo, 47, v106
	s_xor_b32 s12, s16, -1
	s_delay_alu instid0(SALU_CYCLE_1) | instskip(NEXT) | instid1(SALU_CYCLE_1)
	s_and_b32 s13, s12, vcc_lo
	s_and_saveexec_b32 s12, s13
	s_cbranch_execz .LBB96_1001
; %bb.1000:
	v_ashrrev_i32_e32 v107, 31, v106
	s_delay_alu instid0(VALU_DEP_1)
	v_lshl_add_u64 v[112:113], v[106:107], 2, v[4:5]
	s_clause 0x1
	global_load_b32 v107, v[112:113], off
	global_load_b32 v111, v[4:5], off offset:188
	s_wait_loadcnt 0x1
	global_store_b32 v[4:5], v107, off offset:188
	s_wait_loadcnt 0x0
	global_store_b32 v[112:113], v111, off
.LBB96_1001:
	s_wait_xcnt 0x0
	s_or_b32 exec_lo, exec_lo, s12
	v_dual_mov_b32 v112, v106 :: v_dual_mov_b32 v111, v106
.LBB96_1002:
	s_or_b32 exec_lo, exec_lo, s1
.LBB96_1003:
	s_and_not1_saveexec_b32 s0, s0
; %bb.1004:
	v_mov_b32_e32 v112, 47
	ds_store_b64 v108, v[102:103] offset:384
; %bb.1005:
	s_or_b32 exec_lo, exec_lo, s0
	s_delay_alu instid0(SALU_CYCLE_1)
	s_mov_b32 s0, exec_lo
	s_wait_storecnt_dscnt 0x0
	s_barrier_signal -1
	s_barrier_wait -1
	v_cmpx_lt_i32_e32 47, v112
	s_cbranch_execz .LBB96_1007
; %bb.1006:
	ds_load_b64 v[106:107], v108 offset:384
	v_pk_mul_f32 v[114:115], v[104:105], v[16:17] op_sel:[1,1] op_sel_hi:[0,1]
	s_delay_alu instid0(VALU_DEP_1) | instskip(SKIP_2) | instid1(VALU_DEP_2)
	v_pk_fma_f32 v[116:117], v[104:105], v[16:17], v[114:115] op_sel_hi:[1,0,1]
	v_pk_fma_f32 v[16:17], v[104:105], v[16:17], v[114:115] op_sel_hi:[1,0,1] neg_lo:[0,0,1] neg_hi:[0,0,1]
	s_wait_dscnt 0x0
	v_pk_mul_f32 v[104:105], v[106:107], v[116:117] op_sel:[1,1] op_sel_hi:[0,1]
	s_delay_alu instid0(VALU_DEP_1) | instskip(SKIP_1) | instid1(VALU_DEP_2)
	v_pk_fma_f32 v[114:115], v[106:107], v[16:17], v[104:105] op_sel_hi:[1,0,1]
	v_pk_fma_f32 v[104:105], v[106:107], v[16:17], v[104:105] neg_lo:[0,0,1] neg_hi:[0,0,1]
	v_dual_mov_b32 v17, v117 :: v_dual_mov_b32 v105, v115
	s_delay_alu instid0(VALU_DEP_1)
	v_pk_add_f32 v[102:103], v[102:103], v[104:105] neg_lo:[0,1] neg_hi:[0,1]
.LBB96_1007:
	s_or_b32 exec_lo, exec_lo, s0
	v_lshl_add_u32 v104, v112, 3, v108
	s_barrier_signal -1
	s_barrier_wait -1
	ds_store_b64 v104, v[102:103]
	s_wait_dscnt 0x0
	s_barrier_signal -1
	s_barrier_wait -1
	ds_load_b64 v[104:105], v108 offset:384
	v_mov_b32_e32 v106, 48
	s_cmp_lt_i32 s18, 50
	s_cbranch_scc1 .LBB96_1010
; %bb.1008:
	v_add3_u32 v107, v109, 0, 0x188
	v_mov_b32_e32 v106, 48
	s_mov_b32 s0, 49
.LBB96_1009:                            ; =>This Inner Loop Header: Depth=1
	ds_load_b64 v[108:109], v107
	s_wait_dscnt 0x1
	v_cmp_gt_f32_e32 vcc_lo, 0, v104
	v_cndmask_b32_e64 v114, v104, -v104, vcc_lo
	v_cmp_gt_f32_e32 vcc_lo, 0, v105
	v_cndmask_b32_e64 v116, v105, -v105, vcc_lo
	s_wait_dscnt 0x0
	v_cmp_gt_f32_e32 vcc_lo, 0, v108
	v_cndmask_b32_e64 v115, v108, -v108, vcc_lo
	v_cmp_gt_f32_e32 vcc_lo, 0, v109
	v_cndmask_b32_e64 v117, v109, -v109, vcc_lo
	s_delay_alu instid0(VALU_DEP_1) | instskip(NEXT) | instid1(VALU_DEP_1)
	v_pk_add_f32 v[114:115], v[114:115], v[116:117]
	v_cmp_lt_f32_e32 vcc_lo, v114, v115
	v_dual_add_nc_u32 v107, 8, v107 :: v_dual_cndmask_b32 v105, v105, v109, vcc_lo
	v_cndmask_b32_e32 v104, v104, v108, vcc_lo
	v_cndmask_b32_e64 v106, v106, s0, vcc_lo
	s_add_co_i32 s0, s0, 1
	s_delay_alu instid0(SALU_CYCLE_1)
	s_cmp_lg_u32 s18, s0
	s_cbranch_scc1 .LBB96_1009
.LBB96_1010:
	s_wait_dscnt 0x0
	v_cmp_eq_f32_e32 vcc_lo, 0, v104
	v_cmp_eq_f32_e64 s0, 0, v105
	s_and_b32 s0, vcc_lo, s0
	s_delay_alu instid0(SALU_CYCLE_1) | instskip(NEXT) | instid1(SALU_CYCLE_1)
	s_and_saveexec_b32 s1, s0
	s_xor_b32 s0, exec_lo, s1
; %bb.1011:
	v_cmp_ne_u32_e32 vcc_lo, 0, v110
	v_cndmask_b32_e32 v110, 49, v110, vcc_lo
; %bb.1012:
	s_and_not1_saveexec_b32 s0, s0
	s_cbranch_execz .LBB96_1018
; %bb.1013:
	v_cmp_ngt_f32_e64 s1, |v104|, |v105|
	s_and_saveexec_b32 s12, s1
	s_delay_alu instid0(SALU_CYCLE_1)
	s_xor_b32 s1, exec_lo, s12
	s_cbranch_execz .LBB96_1015
; %bb.1014:
	v_div_scale_f32 v107, null, v105, v105, v104
	v_div_scale_f32 v113, vcc_lo, v104, v105, v104
	s_delay_alu instid0(VALU_DEP_2) | instskip(SKIP_1) | instid1(TRANS32_DEP_1)
	v_rcp_f32_e32 v108, v107
	v_nop
	v_fma_f32 v109, -v107, v108, 1.0
	s_delay_alu instid0(VALU_DEP_1) | instskip(NEXT) | instid1(VALU_DEP_1)
	v_fmac_f32_e32 v108, v109, v108
	v_mul_f32_e32 v109, v113, v108
	s_delay_alu instid0(VALU_DEP_1) | instskip(NEXT) | instid1(VALU_DEP_1)
	v_fma_f32 v114, -v107, v109, v113
	v_fmac_f32_e32 v109, v114, v108
	s_delay_alu instid0(VALU_DEP_1) | instskip(NEXT) | instid1(VALU_DEP_1)
	v_fma_f32 v107, -v107, v109, v113
	v_div_fmas_f32 v107, v107, v108, v109
	s_delay_alu instid0(VALU_DEP_1) | instskip(NEXT) | instid1(VALU_DEP_1)
	v_div_fixup_f32 v107, v107, v105, v104
	v_fmac_f32_e32 v105, v104, v107
	s_delay_alu instid0(VALU_DEP_1) | instskip(SKIP_1) | instid1(VALU_DEP_2)
	v_div_scale_f32 v104, null, v105, v105, 1.0
	v_div_scale_f32 v113, vcc_lo, 1.0, v105, 1.0
	v_rcp_f32_e32 v108, v104
	v_nop
	s_delay_alu instid0(TRANS32_DEP_1) | instskip(NEXT) | instid1(VALU_DEP_1)
	v_fma_f32 v109, -v104, v108, 1.0
	v_fmac_f32_e32 v108, v109, v108
	s_delay_alu instid0(VALU_DEP_1) | instskip(NEXT) | instid1(VALU_DEP_1)
	v_mul_f32_e32 v109, v113, v108
	v_fma_f32 v114, -v104, v109, v113
	s_delay_alu instid0(VALU_DEP_1) | instskip(NEXT) | instid1(VALU_DEP_1)
	v_fmac_f32_e32 v109, v114, v108
	v_fma_f32 v104, -v104, v109, v113
	s_delay_alu instid0(VALU_DEP_1) | instskip(NEXT) | instid1(VALU_DEP_1)
	v_div_fmas_f32 v104, v104, v108, v109
	v_div_fixup_f32 v105, v104, v105, 1.0
	s_delay_alu instid0(VALU_DEP_1)
	v_mul_f32_e32 v104, v107, v105
	v_xor_b32_e32 v105, 0x80000000, v105
.LBB96_1015:
	s_and_not1_saveexec_b32 s1, s1
	s_cbranch_execz .LBB96_1017
; %bb.1016:
	s_delay_alu instid0(VALU_DEP_1) | instskip(SKIP_1) | instid1(VALU_DEP_2)
	v_div_scale_f32 v107, null, v104, v104, v105
	v_div_scale_f32 v113, vcc_lo, v105, v104, v105
	v_rcp_f32_e32 v108, v107
	v_nop
	s_delay_alu instid0(TRANS32_DEP_1) | instskip(NEXT) | instid1(VALU_DEP_1)
	v_fma_f32 v109, -v107, v108, 1.0
	v_fmac_f32_e32 v108, v109, v108
	s_delay_alu instid0(VALU_DEP_1) | instskip(NEXT) | instid1(VALU_DEP_1)
	v_mul_f32_e32 v109, v113, v108
	v_fma_f32 v114, -v107, v109, v113
	s_delay_alu instid0(VALU_DEP_1) | instskip(NEXT) | instid1(VALU_DEP_1)
	v_fmac_f32_e32 v109, v114, v108
	v_fma_f32 v107, -v107, v109, v113
	s_delay_alu instid0(VALU_DEP_1) | instskip(NEXT) | instid1(VALU_DEP_1)
	v_div_fmas_f32 v107, v107, v108, v109
	v_div_fixup_f32 v107, v107, v104, v105
	s_delay_alu instid0(VALU_DEP_1) | instskip(NEXT) | instid1(VALU_DEP_1)
	v_fmac_f32_e32 v104, v105, v107
	v_div_scale_f32 v105, null, v104, v104, 1.0
	s_delay_alu instid0(VALU_DEP_1) | instskip(SKIP_1) | instid1(TRANS32_DEP_1)
	v_rcp_f32_e32 v108, v105
	v_nop
	v_fma_f32 v109, -v105, v108, 1.0
	s_delay_alu instid0(VALU_DEP_1) | instskip(SKIP_1) | instid1(VALU_DEP_1)
	v_fmac_f32_e32 v108, v109, v108
	v_div_scale_f32 v109, vcc_lo, 1.0, v104, 1.0
	v_mul_f32_e32 v113, v109, v108
	s_delay_alu instid0(VALU_DEP_1) | instskip(NEXT) | instid1(VALU_DEP_1)
	v_fma_f32 v114, -v105, v113, v109
	v_fmac_f32_e32 v113, v114, v108
	s_delay_alu instid0(VALU_DEP_1) | instskip(NEXT) | instid1(VALU_DEP_1)
	v_fma_f32 v105, -v105, v113, v109
	v_div_fmas_f32 v105, v105, v108, v113
	s_delay_alu instid0(VALU_DEP_1) | instskip(NEXT) | instid1(VALU_DEP_1)
	v_div_fixup_f32 v104, v105, v104, 1.0
	v_mul_f32_e64 v105, v107, -v104
.LBB96_1017:
	s_or_b32 exec_lo, exec_lo, s1
.LBB96_1018:
	s_delay_alu instid0(SALU_CYCLE_1)
	s_or_b32 exec_lo, exec_lo, s0
	v_mov_b32_e32 v108, 48
	s_mov_b32 s0, exec_lo
	v_cmpx_ne_u32_e64 v112, v106
	s_cbranch_execz .LBB96_1024
; %bb.1019:
	s_mov_b32 s1, exec_lo
	v_cmpx_eq_u32_e32 48, v112
	s_cbranch_execz .LBB96_1023
; %bb.1020:
	v_cmp_ne_u32_e32 vcc_lo, 48, v106
	s_xor_b32 s12, s16, -1
	s_delay_alu instid0(SALU_CYCLE_1) | instskip(NEXT) | instid1(SALU_CYCLE_1)
	s_and_b32 s13, s12, vcc_lo
	s_and_saveexec_b32 s12, s13
	s_cbranch_execz .LBB96_1022
; %bb.1021:
	v_ashrrev_i32_e32 v107, 31, v106
	s_delay_alu instid0(VALU_DEP_1)
	v_lshl_add_u64 v[108:109], v[106:107], 2, v[4:5]
	s_clause 0x1
	global_load_b32 v107, v[108:109], off
	global_load_b32 v111, v[4:5], off offset:192
	s_wait_loadcnt 0x1
	global_store_b32 v[4:5], v107, off offset:192
	s_wait_loadcnt 0x0
	global_store_b32 v[108:109], v111, off
.LBB96_1022:
	s_wait_xcnt 0x0
	s_or_b32 exec_lo, exec_lo, s12
	v_dual_mov_b32 v112, v106 :: v_dual_mov_b32 v111, v106
.LBB96_1023:
	s_or_b32 exec_lo, exec_lo, s1
	s_delay_alu instid0(VALU_DEP_1)
	v_mov_b32_e32 v108, v112
.LBB96_1024:
	s_or_b32 exec_lo, exec_lo, s0
	s_delay_alu instid0(VALU_DEP_1)
	v_ashrrev_i32_e32 v109, 31, v108
	s_mov_b32 s0, exec_lo
	s_wait_storecnt 0x0
	s_barrier_signal -1
	s_barrier_wait -1
	s_barrier_signal -1
	s_barrier_wait -1
	v_cmpx_gt_i32_e32 49, v108
	s_cbranch_execz .LBB96_1026
; %bb.1025:
	v_mul_u64_e32 v[4:5], s[10:11], v[2:3]
	v_add3_u32 v106, v111, s17, 1
	s_delay_alu instid0(VALU_DEP_2) | instskip(NEXT) | instid1(VALU_DEP_1)
	v_lshl_add_u64 v[4:5], v[4:5], 2, s[6:7]
	v_lshl_add_u64 v[4:5], s[8:9], 2, v[4:5]
	s_delay_alu instid0(VALU_DEP_1)
	v_lshl_add_u64 v[4:5], v[108:109], 2, v[4:5]
	global_store_b32 v[4:5], v106, off
.LBB96_1026:
	s_wait_xcnt 0x0
	s_or_b32 exec_lo, exec_lo, s0
	s_delay_alu instid0(SALU_CYCLE_1)
	s_mov_b32 s1, exec_lo
	v_cmpx_eq_u32_e32 0, v108
	s_cbranch_execz .LBB96_1029
; %bb.1027:
	s_wait_kmcnt 0x0
	v_lshl_add_u64 v[2:3], v[2:3], 2, s[4:5]
	v_cmp_ne_u32_e64 s0, 0, v110
	global_load_b32 v4, v[2:3], off
	s_wait_loadcnt 0x0
	v_cmp_eq_u32_e32 vcc_lo, 0, v4
	s_and_b32 s0, vcc_lo, s0
	s_wait_xcnt 0x0
	s_and_b32 exec_lo, exec_lo, s0
	s_cbranch_execz .LBB96_1029
; %bb.1028:
	v_add_nc_u32_e32 v4, s17, v110
	global_store_b32 v[2:3], v4, off
.LBB96_1029:
	s_wait_xcnt 0x0
	s_or_b32 exec_lo, exec_lo, s1
	v_add3_u32 v4, s2, s2, v108
	v_pk_mul_f32 v[2:3], v[104:105], v[102:103] op_sel:[1,1] op_sel_hi:[0,1]
	v_cmp_lt_i32_e32 vcc_lo, 48, v108
	v_lshl_add_u64 v[108:109], v[108:109], 3, v[0:1]
	s_delay_alu instid0(VALU_DEP_4) | instskip(NEXT) | instid1(VALU_DEP_4)
	v_add_nc_u32_e32 v106, s2, v4
	v_pk_fma_f32 v[122:123], v[104:105], v[102:103], v[2:3] op_sel_hi:[1,0,1]
	v_pk_fma_f32 v[2:3], v[104:105], v[102:103], v[2:3] neg_lo:[0,0,1] neg_hi:[0,0,1]
	global_store_b64 v[108:109], v[100:101], off
	s_wait_xcnt 0x0
	v_lshl_add_u64 v[100:101], s[2:3], 3, v[108:109]
	v_dual_add_nc_u32 v110, s2, v106 :: v_dual_ashrrev_i32 v5, 31, v4
	v_dual_cndmask_b32 v2, v102, v2 :: v_dual_cndmask_b32 v3, v103, v123
	global_store_b64 v[100:101], v[98:99], off
	v_add_nc_u32_e32 v112, s2, v110
	v_lshl_add_u64 v[4:5], v[4:5], 3, v[0:1]
	s_delay_alu instid0(VALU_DEP_2)
	v_dual_ashrrev_i32 v107, 31, v106 :: v_dual_add_nc_u32 v114, s2, v112
	global_store_b64 v[4:5], v[96:97], off
	s_wait_xcnt 0x0
	v_lshl_add_u64 v[96:97], v[106:107], 3, v[0:1]
	v_dual_ashrrev_i32 v111, 31, v110 :: v_dual_ashrrev_i32 v113, 31, v112
	v_add_nc_u32_e32 v116, s2, v114
	global_store_b64 v[96:97], v[94:95], off
	s_wait_xcnt 0x0
	v_lshl_add_u64 v[96:97], v[110:111], 3, v[0:1]
	v_add_nc_u32_e32 v118, s2, v116
	global_store_b64 v[96:97], v[92:93], off
	s_wait_xcnt 0x0
	v_lshl_add_u64 v[92:93], v[112:113], 3, v[0:1]
	v_add_nc_u32_e32 v120, s2, v118
	s_delay_alu instid0(VALU_DEP_1) | instskip(SKIP_1) | instid1(VALU_DEP_2)
	v_dual_add_nc_u32 v104, s2, v120 :: v_dual_ashrrev_i32 v115, 31, v114
	v_ashrrev_i32_e32 v117, 31, v116
	v_add_nc_u32_e32 v102, s2, v104
	s_delay_alu instid0(VALU_DEP_3) | instskip(NEXT) | instid1(VALU_DEP_3)
	v_lshl_add_u64 v[96:97], v[114:115], 3, v[0:1]
	v_lshl_add_u64 v[112:113], v[116:117], 3, v[0:1]
	s_clause 0x2
	global_store_b64 v[92:93], v[52:53], off
	global_store_b64 v[96:97], v[58:59], off
	;; [unrolled: 1-line block ×3, first 2 shown]
	v_dual_add_nc_u32 v122, s2, v102 :: v_dual_ashrrev_i32 v121, 31, v120
	s_delay_alu instid0(VALU_DEP_1) | instskip(SKIP_1) | instid1(VALU_DEP_2)
	v_dual_ashrrev_i32 v105, 31, v104 :: v_dual_add_nc_u32 v108, s2, v122
	s_wait_xcnt 0x2
	v_lshl_add_u64 v[92:93], v[120:121], 3, v[0:1]
	s_wait_xcnt 0x1
	s_delay_alu instid0(VALU_DEP_2) | instskip(SKIP_1) | instid1(VALU_DEP_1)
	v_lshl_add_u64 v[96:97], v[104:105], 3, v[0:1]
	v_add_nc_u32_e32 v98, s2, v108
	v_add_nc_u32_e32 v100, s2, v98
	s_delay_alu instid0(VALU_DEP_1) | instskip(SKIP_1) | instid1(VALU_DEP_2)
	v_dual_add_nc_u32 v4, s2, v100 :: v_dual_ashrrev_i32 v103, 31, v102
	v_ashrrev_i32_e32 v109, 31, v108
	v_add_nc_u32_e32 v106, s2, v4
	s_delay_alu instid0(VALU_DEP_3) | instskip(SKIP_1) | instid1(VALU_DEP_3)
	v_lshl_add_u64 v[102:103], v[102:103], 3, v[0:1]
	v_ashrrev_i32_e32 v101, 31, v100
	v_dual_ashrrev_i32 v5, 31, v4 :: v_dual_add_nc_u32 v94, s2, v106
	s_delay_alu instid0(VALU_DEP_1) | instskip(NEXT) | instid1(VALU_DEP_2)
	v_lshl_add_u64 v[4:5], v[4:5], 3, v[0:1]
	v_add_nc_u32_e32 v110, s2, v94
	s_delay_alu instid0(VALU_DEP_1) | instskip(SKIP_1) | instid1(VALU_DEP_1)
	v_add_nc_u32_e32 v114, s2, v110
	s_wait_xcnt 0x0
	v_add_nc_u32_e32 v50, s2, v114
	s_delay_alu instid0(VALU_DEP_1) | instskip(NEXT) | instid1(VALU_DEP_1)
	v_add_nc_u32_e32 v52, s2, v50
	v_dual_ashrrev_i32 v111, 31, v110 :: v_dual_ashrrev_i32 v53, 31, v52
	v_dual_add_nc_u32 v104, s2, v52 :: v_dual_ashrrev_i32 v119, 31, v118
	s_delay_alu instid0(VALU_DEP_2) | instskip(NEXT) | instid1(VALU_DEP_2)
	v_lshl_add_u64 v[52:53], v[52:53], 3, v[0:1]
	v_ashrrev_i32_e32 v105, 31, v104
	s_delay_alu instid0(VALU_DEP_3)
	v_lshl_add_u64 v[58:59], v[118:119], 3, v[0:1]
	s_clause 0x3
	global_store_b64 v[58:59], v[66:67], off
	global_store_b64 v[92:93], v[62:63], off
	;; [unrolled: 1-line block ×4, first 2 shown]
	s_wait_xcnt 0x3
	v_add_nc_u32_e32 v58, s2, v104
	s_wait_xcnt 0x1
	v_lshl_add_u64 v[64:65], v[108:109], 3, v[0:1]
	v_lshl_add_u64 v[92:93], v[100:101], 3, v[0:1]
	s_wait_xcnt 0x0
	v_add_nc_u32_e32 v60, s2, v58
	s_delay_alu instid0(VALU_DEP_1) | instskip(SKIP_1) | instid1(VALU_DEP_2)
	v_dual_ashrrev_i32 v123, 31, v122 :: v_dual_add_nc_u32 v96, s2, v60
	v_ashrrev_i32_e32 v99, 31, v98
	v_lshl_add_u64 v[62:63], v[122:123], 3, v[0:1]
	v_dual_ashrrev_i32 v59, 31, v58 :: v_dual_ashrrev_i32 v61, 31, v60
	s_delay_alu instid0(VALU_DEP_4) | instskip(NEXT) | instid1(VALU_DEP_4)
	v_ashrrev_i32_e32 v97, 31, v96
	v_lshl_add_u64 v[66:67], v[98:99], 3, v[0:1]
	s_clause 0x3
	global_store_b64 v[62:63], v[90:91], off
	global_store_b64 v[64:65], v[86:87], off
	global_store_b64 v[66:67], v[88:89], off
	global_store_b64 v[92:93], v[84:85], off
	s_wait_xcnt 0x3
	v_add_nc_u32_e32 v62, s2, v96
	s_wait_xcnt 0x2
	v_lshl_add_u64 v[86:87], v[110:111], 3, v[0:1]
	v_lshl_add_u64 v[58:59], v[58:59], 3, v[0:1]
	;; [unrolled: 1-line block ×3, first 2 shown]
	v_add_nc_u32_e32 v64, s2, v62
	s_wait_xcnt 0x1
	s_delay_alu instid0(VALU_DEP_1) | instskip(SKIP_1) | instid1(VALU_DEP_2)
	v_dual_ashrrev_i32 v107, 31, v106 :: v_dual_add_nc_u32 v88, s2, v64
	v_ashrrev_i32_e32 v95, 31, v94
	v_lshl_add_u64 v[66:67], v[106:107], 3, v[0:1]
	v_ashrrev_i32_e32 v65, 31, v64
	s_delay_alu instid0(VALU_DEP_4)
	v_ashrrev_i32_e32 v89, 31, v88
	s_wait_xcnt 0x0
	v_lshl_add_u64 v[84:85], v[94:95], 3, v[0:1]
	s_clause 0x3
	global_store_b64 v[4:5], v[82:83], off
	global_store_b64 v[66:67], v[78:79], off
	;; [unrolled: 1-line block ×4, first 2 shown]
	s_wait_xcnt 0x3
	v_dual_add_nc_u32 v4, s2, v88 :: v_dual_ashrrev_i32 v115, 31, v114
	s_wait_xcnt 0x2
	v_lshl_add_u64 v[78:79], v[104:105], 3, v[0:1]
	s_delay_alu instid0(VALU_DEP_2) | instskip(SKIP_2) | instid1(VALU_DEP_2)
	v_add_nc_u32_e32 v66, s2, v4
	s_wait_xcnt 0x0
	v_lshl_add_u64 v[76:77], v[114:115], 3, v[0:1]
	v_dual_ashrrev_i32 v5, 31, v4 :: v_dual_ashrrev_i32 v67, 31, v66
	v_add_nc_u32_e32 v80, s2, v66
	v_ashrrev_i32_e32 v51, 31, v50
	s_delay_alu instid0(VALU_DEP_3) | instskip(NEXT) | instid1(VALU_DEP_2)
	v_lshl_add_u64 v[4:5], v[4:5], 3, v[0:1]
	v_lshl_add_u64 v[50:51], v[50:51], 3, v[0:1]
	s_clause 0x3
	global_store_b64 v[76:77], v[74:75], off
	global_store_b64 v[50:51], v[70:71], off
	;; [unrolled: 1-line block ×4, first 2 shown]
	s_wait_xcnt 0x2
	v_add_nc_u32_e32 v50, s2, v80
	s_wait_xcnt 0x0
	v_lshl_add_u64 v[68:69], v[96:97], 3, v[0:1]
	s_delay_alu instid0(VALU_DEP_2) | instskip(SKIP_1) | instid1(VALU_DEP_2)
	v_add_nc_u32_e32 v52, s2, v50
	v_ashrrev_i32_e32 v63, 31, v62
	v_dual_ashrrev_i32 v51, 31, v50 :: v_dual_add_nc_u32 v70, s2, v52
	s_delay_alu instid0(VALU_DEP_2)
	v_lshl_add_u64 v[62:63], v[62:63], 3, v[0:1]
	s_clause 0x3
	global_store_b64 v[58:59], v[56:57], off
	global_store_b64 v[60:61], v[48:49], off
	;; [unrolled: 1-line block ×4, first 2 shown]
	s_wait_xcnt 0x1
	v_lshl_add_u64 v[54:55], v[64:65], 3, v[0:1]
	s_wait_xcnt 0x0
	v_add_nc_u32_e32 v46, s2, v70
	v_lshl_add_u64 v[56:57], v[88:89], 3, v[0:1]
	v_lshl_add_u64 v[58:59], v[66:67], 3, v[0:1]
	s_clause 0x3
	global_store_b64 v[54:55], v[44:45], off
	global_store_b64 v[56:57], v[40:41], off
	;; [unrolled: 1-line block ×4, first 2 shown]
	v_dual_add_nc_u32 v48, s2, v46 :: v_dual_ashrrev_i32 v81, 31, v80
	v_ashrrev_i32_e32 v71, 31, v70
	v_ashrrev_i32_e32 v47, 31, v46
	s_wait_xcnt 0x1
	v_lshl_add_u64 v[42:43], v[50:51], 3, v[0:1]
	v_add_nc_u32_e32 v60, s2, v48
	v_lshl_add_u64 v[40:41], v[80:81], 3, v[0:1]
	v_lshl_add_u64 v[50:51], v[70:71], 3, v[0:1]
	s_delay_alu instid0(VALU_DEP_3) | instskip(SKIP_1) | instid1(VALU_DEP_1)
	v_add_nc_u32_e32 v4, s2, v60
	s_wait_xcnt 0x0
	v_add_nc_u32_e32 v38, s2, v4
	v_ashrrev_i32_e32 v53, 31, v52
	s_delay_alu instid0(VALU_DEP_2) | instskip(NEXT) | instid1(VALU_DEP_2)
	v_dual_ashrrev_i32 v61, 31, v60 :: v_dual_ashrrev_i32 v39, 31, v38
	v_lshl_add_u64 v[44:45], v[52:53], 3, v[0:1]
	v_add_nc_u32_e32 v52, s2, v38
	s_clause 0x3
	global_store_b64 v[40:41], v[36:37], off
	global_store_b64 v[42:43], v[32:33], off
	;; [unrolled: 1-line block ×4, first 2 shown]
	s_wait_xcnt 0x1
	v_lshl_add_u64 v[34:35], v[46:47], 3, v[0:1]
	v_lshl_add_u64 v[40:41], v[60:61], 3, v[0:1]
	s_wait_xcnt 0x0
	v_add_nc_u32_e32 v30, s2, v52
	v_ashrrev_i32_e32 v49, 31, v48
	s_delay_alu instid0(VALU_DEP_2) | instskip(NEXT) | instid1(VALU_DEP_2)
	v_dual_ashrrev_i32 v5, 31, v4 :: v_dual_add_nc_u32 v32, s2, v30
	v_lshl_add_u64 v[36:37], v[48:49], 3, v[0:1]
	s_delay_alu instid0(VALU_DEP_2)
	v_lshl_add_u64 v[4:5], v[4:5], 3, v[0:1]
	s_clause 0x3
	global_store_b64 v[34:35], v[26:27], off
	global_store_b64 v[36:37], v[22:23], off
	;; [unrolled: 1-line block ×4, first 2 shown]
	v_dual_add_nc_u32 v42, s2, v32 :: v_dual_ashrrev_i32 v33, 31, v32
	v_ashrrev_i32_e32 v53, 31, v52
	s_wait_xcnt 0x2
	v_lshl_add_u64 v[22:23], v[38:39], 3, v[0:1]
	s_wait_xcnt 0x0
	v_add_nc_u32_e32 v4, s2, v42
	v_ashrrev_i32_e32 v31, 31, v30
	v_ashrrev_i32_e32 v43, 31, v42
	v_lshl_add_u64 v[24:25], v[52:53], 3, v[0:1]
	s_delay_alu instid0(VALU_DEP_4) | instskip(NEXT) | instid1(VALU_DEP_4)
	v_dual_add_nc_u32 v20, s2, v4 :: v_dual_ashrrev_i32 v5, 31, v4
	v_lshl_add_u64 v[26:27], v[30:31], 3, v[0:1]
	v_lshl_add_u64 v[30:31], v[32:33], 3, v[0:1]
	s_clause 0x3
	global_store_b64 v[22:23], v[14:15], off
	global_store_b64 v[24:25], v[10:11], off
	;; [unrolled: 1-line block ×4, first 2 shown]
	v_dual_add_nc_u32 v32, s2, v20 :: v_dual_ashrrev_i32 v21, 31, v20
	s_wait_xcnt 0x2
	v_lshl_add_u64 v[10:11], v[42:43], 3, v[0:1]
	v_lshl_add_u64 v[4:5], v[4:5], 3, v[0:1]
	s_wait_xcnt 0x0
	v_dual_add_nc_u32 v8, s2, v32 :: v_dual_ashrrev_i32 v33, 31, v32
	v_lshl_add_u64 v[12:13], v[20:21], 3, v[0:1]
	s_delay_alu instid0(VALU_DEP_2) | instskip(NEXT) | instid1(VALU_DEP_3)
	v_ashrrev_i32_e32 v9, 31, v8
	v_lshl_add_u64 v[14:15], v[32:33], 3, v[0:1]
	s_delay_alu instid0(VALU_DEP_2)
	v_lshl_add_u64 v[0:1], v[8:9], 3, v[0:1]
	s_clause 0x4
	global_store_b64 v[10:11], v[6:7], off
	global_store_b64 v[4:5], v[28:29], off
	;; [unrolled: 1-line block ×5, first 2 shown]
.LBB96_1030:
	s_sendmsg sendmsg(MSG_DEALLOC_VGPRS)
	s_endpgm
	.section	.rodata,"a",@progbits
	.p2align	6, 0x0
	.amdhsa_kernel _ZN9rocsolver6v33100L18getf2_small_kernelILi49E19rocblas_complex_numIfEiiPS3_EEvT1_T3_lS5_lPS5_llPT2_S5_S5_S7_l
		.amdhsa_group_segment_fixed_size 0
		.amdhsa_private_segment_fixed_size 0
		.amdhsa_kernarg_size 352
		.amdhsa_user_sgpr_count 2
		.amdhsa_user_sgpr_dispatch_ptr 0
		.amdhsa_user_sgpr_queue_ptr 0
		.amdhsa_user_sgpr_kernarg_segment_ptr 1
		.amdhsa_user_sgpr_dispatch_id 0
		.amdhsa_user_sgpr_kernarg_preload_length 0
		.amdhsa_user_sgpr_kernarg_preload_offset 0
		.amdhsa_user_sgpr_private_segment_size 0
		.amdhsa_wavefront_size32 1
		.amdhsa_uses_dynamic_stack 0
		.amdhsa_enable_private_segment 0
		.amdhsa_system_sgpr_workgroup_id_x 1
		.amdhsa_system_sgpr_workgroup_id_y 1
		.amdhsa_system_sgpr_workgroup_id_z 0
		.amdhsa_system_sgpr_workgroup_info 0
		.amdhsa_system_vgpr_workitem_id 1
		.amdhsa_next_free_vgpr 128
		.amdhsa_next_free_sgpr 19
		.amdhsa_named_barrier_count 0
		.amdhsa_reserve_vcc 1
		.amdhsa_float_round_mode_32 0
		.amdhsa_float_round_mode_16_64 0
		.amdhsa_float_denorm_mode_32 3
		.amdhsa_float_denorm_mode_16_64 3
		.amdhsa_fp16_overflow 0
		.amdhsa_memory_ordered 1
		.amdhsa_forward_progress 1
		.amdhsa_inst_pref_size 255
		.amdhsa_round_robin_scheduling 0
		.amdhsa_exception_fp_ieee_invalid_op 0
		.amdhsa_exception_fp_denorm_src 0
		.amdhsa_exception_fp_ieee_div_zero 0
		.amdhsa_exception_fp_ieee_overflow 0
		.amdhsa_exception_fp_ieee_underflow 0
		.amdhsa_exception_fp_ieee_inexact 0
		.amdhsa_exception_int_div_zero 0
	.end_amdhsa_kernel
	.section	.text._ZN9rocsolver6v33100L18getf2_small_kernelILi49E19rocblas_complex_numIfEiiPS3_EEvT1_T3_lS5_lPS5_llPT2_S5_S5_S7_l,"axG",@progbits,_ZN9rocsolver6v33100L18getf2_small_kernelILi49E19rocblas_complex_numIfEiiPS3_EEvT1_T3_lS5_lPS5_llPT2_S5_S5_S7_l,comdat
.Lfunc_end96:
	.size	_ZN9rocsolver6v33100L18getf2_small_kernelILi49E19rocblas_complex_numIfEiiPS3_EEvT1_T3_lS5_lPS5_llPT2_S5_S5_S7_l, .Lfunc_end96-_ZN9rocsolver6v33100L18getf2_small_kernelILi49E19rocblas_complex_numIfEiiPS3_EEvT1_T3_lS5_lPS5_llPT2_S5_S5_S7_l
                                        ; -- End function
	.set _ZN9rocsolver6v33100L18getf2_small_kernelILi49E19rocblas_complex_numIfEiiPS3_EEvT1_T3_lS5_lPS5_llPT2_S5_S5_S7_l.num_vgpr, 128
	.set _ZN9rocsolver6v33100L18getf2_small_kernelILi49E19rocblas_complex_numIfEiiPS3_EEvT1_T3_lS5_lPS5_llPT2_S5_S5_S7_l.num_agpr, 0
	.set _ZN9rocsolver6v33100L18getf2_small_kernelILi49E19rocblas_complex_numIfEiiPS3_EEvT1_T3_lS5_lPS5_llPT2_S5_S5_S7_l.numbered_sgpr, 19
	.set _ZN9rocsolver6v33100L18getf2_small_kernelILi49E19rocblas_complex_numIfEiiPS3_EEvT1_T3_lS5_lPS5_llPT2_S5_S5_S7_l.num_named_barrier, 0
	.set _ZN9rocsolver6v33100L18getf2_small_kernelILi49E19rocblas_complex_numIfEiiPS3_EEvT1_T3_lS5_lPS5_llPT2_S5_S5_S7_l.private_seg_size, 0
	.set _ZN9rocsolver6v33100L18getf2_small_kernelILi49E19rocblas_complex_numIfEiiPS3_EEvT1_T3_lS5_lPS5_llPT2_S5_S5_S7_l.uses_vcc, 1
	.set _ZN9rocsolver6v33100L18getf2_small_kernelILi49E19rocblas_complex_numIfEiiPS3_EEvT1_T3_lS5_lPS5_llPT2_S5_S5_S7_l.uses_flat_scratch, 0
	.set _ZN9rocsolver6v33100L18getf2_small_kernelILi49E19rocblas_complex_numIfEiiPS3_EEvT1_T3_lS5_lPS5_llPT2_S5_S5_S7_l.has_dyn_sized_stack, 0
	.set _ZN9rocsolver6v33100L18getf2_small_kernelILi49E19rocblas_complex_numIfEiiPS3_EEvT1_T3_lS5_lPS5_llPT2_S5_S5_S7_l.has_recursion, 0
	.set _ZN9rocsolver6v33100L18getf2_small_kernelILi49E19rocblas_complex_numIfEiiPS3_EEvT1_T3_lS5_lPS5_llPT2_S5_S5_S7_l.has_indirect_call, 0
	.section	.AMDGPU.csdata,"",@progbits
; Kernel info:
; codeLenInByte = 117304
; TotalNumSgprs: 21
; NumVgprs: 128
; ScratchSize: 0
; MemoryBound: 0
; FloatMode: 240
; IeeeMode: 1
; LDSByteSize: 0 bytes/workgroup (compile time only)
; SGPRBlocks: 0
; VGPRBlocks: 7
; NumSGPRsForWavesPerEU: 21
; NumVGPRsForWavesPerEU: 128
; NamedBarCnt: 0
; Occupancy: 8
; WaveLimiterHint : 0
; COMPUTE_PGM_RSRC2:SCRATCH_EN: 0
; COMPUTE_PGM_RSRC2:USER_SGPR: 2
; COMPUTE_PGM_RSRC2:TRAP_HANDLER: 0
; COMPUTE_PGM_RSRC2:TGID_X_EN: 1
; COMPUTE_PGM_RSRC2:TGID_Y_EN: 1
; COMPUTE_PGM_RSRC2:TGID_Z_EN: 0
; COMPUTE_PGM_RSRC2:TIDIG_COMP_CNT: 1
	.section	.text._ZN9rocsolver6v33100L23getf2_npvt_small_kernelILi49E19rocblas_complex_numIfEiiPS3_EEvT1_T3_lS5_lPT2_S5_S5_,"axG",@progbits,_ZN9rocsolver6v33100L23getf2_npvt_small_kernelILi49E19rocblas_complex_numIfEiiPS3_EEvT1_T3_lS5_lPT2_S5_S5_,comdat
	.globl	_ZN9rocsolver6v33100L23getf2_npvt_small_kernelILi49E19rocblas_complex_numIfEiiPS3_EEvT1_T3_lS5_lPT2_S5_S5_ ; -- Begin function _ZN9rocsolver6v33100L23getf2_npvt_small_kernelILi49E19rocblas_complex_numIfEiiPS3_EEvT1_T3_lS5_lPT2_S5_S5_
	.p2align	8
	.type	_ZN9rocsolver6v33100L23getf2_npvt_small_kernelILi49E19rocblas_complex_numIfEiiPS3_EEvT1_T3_lS5_lPT2_S5_S5_,@function
_ZN9rocsolver6v33100L23getf2_npvt_small_kernelILi49E19rocblas_complex_numIfEiiPS3_EEvT1_T3_lS5_lPT2_S5_S5_: ; @_ZN9rocsolver6v33100L23getf2_npvt_small_kernelILi49E19rocblas_complex_numIfEiiPS3_EEvT1_T3_lS5_lPT2_S5_S5_
; %bb.0:
	s_clause 0x1
	s_load_u16 s14, s[0:1], 0x46
	s_load_b64 s[2:3], s[0:1], 0x30
	s_bfe_u32 s4, ttmp6, 0x40010
	s_bfe_u32 s5, ttmp6, 0x40004
	s_add_co_i32 s4, s4, 1
	s_getreg_b32 s6, hwreg(HW_REG_IB_STS2, 6, 4)
	s_mul_i32 s4, ttmp7, s4
	v_bfe_u32 v42, v0, 10, 10
	s_add_co_i32 s5, s5, s4
	s_cmp_eq_u32 s6, 0
	s_cselect_b32 s4, ttmp7, s5
	s_wait_kmcnt 0x0
	v_mad_u32 v236, s4, s14, v42
	s_delay_alu instid0(VALU_DEP_1)
	v_cmp_gt_i32_e32 vcc_lo, s2, v236
	s_and_saveexec_b32 s2, vcc_lo
	s_cbranch_execz .LBB97_444
; %bb.1:
	s_clause 0x1
	s_load_b32 s12, s[0:1], 0x18
	s_load_b128 s[8:11], s[0:1], 0x8
	v_and_b32_e32 v78, 0x3ff, v0
	s_load_b128 s[4:7], s[0:1], 0x20
	v_mov_b32_e32 v31, 0
	s_mulk_i32 s14, 0x188
	v_mad_u32_u24 v80, 0x188, v42, 0
	v_lshlrev_b32_e32 v30, 3, v78
	s_wait_xcnt 0x0
	v_cmp_ne_u32_e64 s1, 0, v78
	v_cmp_eq_u32_e64 s0, 0, v78
	s_wait_kmcnt 0x0
	v_add3_u32 v28, s12, s12, v78
	s_ashr_i32 s13, s12, 31
	s_delay_alu instid0(VALU_DEP_1) | instskip(NEXT) | instid1(VALU_DEP_1)
	v_add_nc_u32_e32 v20, s12, v28
	v_add_nc_u32_e32 v22, s12, v20
	s_delay_alu instid0(VALU_DEP_1) | instskip(NEXT) | instid1(VALU_DEP_1)
	v_add_nc_u32_e32 v24, s12, v22
	v_add_nc_u32_e32 v26, s12, v24
	s_delay_alu instid0(VALU_DEP_1) | instskip(NEXT) | instid1(VALU_DEP_1)
	v_add_nc_u32_e32 v12, s12, v26
	v_dual_ashrrev_i32 v23, 31, v22 :: v_dual_add_nc_u32 v14, s12, v12
	s_delay_alu instid0(VALU_DEP_1) | instskip(SKIP_1) | instid1(VALU_DEP_2)
	v_dual_add_nc_u32 v18, s12, v14 :: v_dual_ashrrev_i32 v29, 31, v28
	v_dual_ashrrev_i32 v27, 31, v26 :: v_dual_ashrrev_i32 v25, 31, v24
	v_dual_ashrrev_i32 v19, 31, v18 :: v_dual_add_nc_u32 v8, s12, v18
	s_delay_alu instid0(VALU_DEP_1) | instskip(NEXT) | instid1(VALU_DEP_1)
	v_dual_ashrrev_i32 v15, 31, v14 :: v_dual_add_nc_u32 v0, s12, v8
	v_add_nc_u32_e32 v4, s12, v0
	s_delay_alu instid0(VALU_DEP_1) | instskip(NEXT) | instid1(VALU_DEP_1)
	v_add_nc_u32_e32 v2, s12, v4
	v_dual_add_nc_u32 v6, s12, v2 :: v_dual_ashrrev_i32 v237, 31, v236
	s_delay_alu instid0(VALU_DEP_1) | instskip(NEXT) | instid1(VALU_DEP_2)
	v_dual_ashrrev_i32 v1, 31, v0 :: v_dual_add_nc_u32 v10, s12, v6
	v_mul_u64_e32 v[16:17], s[4:5], v[236:237]
	v_ashrrev_i32_e32 v7, 31, v6
	s_delay_alu instid0(VALU_DEP_3) | instskip(SKIP_1) | instid1(VALU_DEP_2)
	v_dual_add_nc_u32 v38, s12, v10 :: v_dual_ashrrev_i32 v5, 31, v4
	v_ashrrev_i32_e32 v11, 31, v10
	v_dual_add_nc_u32 v40, s12, v38 :: v_dual_ashrrev_i32 v9, 31, v8
	v_ashrrev_i32_e32 v3, 31, v2
	s_delay_alu instid0(VALU_DEP_2) | instskip(NEXT) | instid1(VALU_DEP_1)
	v_dual_ashrrev_i32 v39, 31, v38 :: v_dual_add_nc_u32 v44, s12, v40
	v_add_nc_u32_e32 v54, s12, v44
	v_ashrrev_i32_e32 v21, 31, v20
	s_delay_alu instid0(VALU_DEP_2) | instskip(SKIP_1) | instid1(VALU_DEP_1)
	v_dual_ashrrev_i32 v41, 31, v40 :: v_dual_ashrrev_i32 v55, 31, v54
	v_dual_add_nc_u32 v58, s12, v54 :: v_dual_ashrrev_i32 v13, 31, v12
	v_dual_ashrrev_i32 v45, 31, v44 :: v_dual_ashrrev_i32 v59, 31, v58
	v_lshl_add_u64 v[16:17], v[16:17], 3, s[8:9]
	s_delay_alu instid0(VALU_DEP_1) | instskip(NEXT) | instid1(VALU_DEP_1)
	v_lshl_add_u64 v[56:57], s[10:11], 3, v[16:17]
	v_lshl_add_u64 v[104:105], v[28:29], 3, v[56:57]
	v_add_nc_u32_e32 v28, s12, v58
	v_lshl_add_u64 v[100:101], v[24:25], 3, v[56:57]
	v_lshl_add_u64 v[114:115], v[12:13], 3, v[56:57]
	v_lshl_add_u64 v[116:117], v[14:15], 3, v[56:57]
	v_lshl_add_u64 v[132:133], v[8:9], 3, v[56:57]
	v_add_nc_u32_e32 v24, s12, v28
	v_lshl_add_u64 v[134:135], v[0:1], 3, v[56:57]
	v_lshl_add_u64 v[136:137], v[4:5], 3, v[56:57]
	;; [unrolled: 5-line block ×3, first 2 shown]
	v_lshl_add_u64 v[154:155], v[38:39], 3, v[56:57]
	v_add_nc_u64_e32 v[16:17], v[56:57], v[30:31]
	v_add_nc_u32_e32 v14, s12, v12
	v_lshl_add_u64 v[120:121], v[22:23], 3, v[56:57]
	v_lshl_add_u64 v[152:153], v[10:11], 3, v[56:57]
	;; [unrolled: 1-line block ×4, first 2 shown]
	v_dual_add_nc_u32 v8, s12, v14 :: v_dual_ashrrev_i32 v15, 31, v14
	v_lshl_add_u64 v[146:147], s[12:13], 3, v[16:17]
	v_lshl_add_u64 v[158:159], v[44:45], 3, v[56:57]
	;; [unrolled: 1-line block ×3, first 2 shown]
	s_delay_alu instid0(VALU_DEP_4)
	v_dual_add_nc_u32 v0, s12, v8 :: v_dual_ashrrev_i32 v9, 31, v8
	v_lshl_add_u64 v[198:199], v[14:15], 3, v[56:57]
	v_lshl_add_u64 v[170:171], v[54:55], 3, v[56:57]
	s_clause 0x3
	global_load_b64 v[66:67], v[120:121], off
	global_load_b64 v[62:63], v[100:101], off
	;; [unrolled: 1-line block ×4, first 2 shown]
	v_add_nc_u32_e32 v4, s12, v0
	v_lshl_add_u64 v[200:201], v[8:9], 3, v[56:57]
	s_clause 0xb
	global_load_b64 v[98:99], v[16:17], off
	global_load_b64 v[68:69], v[146:147], off
	;; [unrolled: 1-line block ×12, first 2 shown]
	v_add_nc_u32_e32 v2, s12, v4
	s_clause 0x3
	global_load_b64 v[76:77], v[154:155], off
	global_load_b64 v[72:73], v[156:157], off
	;; [unrolled: 1-line block ×4, first 2 shown]
	v_ashrrev_i32_e32 v29, 31, v28
	v_ashrrev_i32_e32 v25, 31, v24
	v_dual_ashrrev_i32 v13, 31, v12 :: v_dual_add_nc_u32 v6, s12, v2
	v_ashrrev_i32_e32 v5, 31, v4
	s_delay_alu instid0(VALU_DEP_4) | instskip(NEXT) | instid1(VALU_DEP_4)
	v_lshl_add_u64 v[174:175], v[28:29], 3, v[56:57]
	v_lshl_add_u64 v[176:177], v[24:25], 3, v[56:57]
	s_delay_alu instid0(VALU_DEP_4)
	v_lshl_add_u64 v[178:179], v[12:13], 3, v[56:57]
	v_dual_add_nc_u32 v10, s12, v6 :: v_dual_ashrrev_i32 v7, 31, v6
	v_lshl_add_u64 v[204:205], v[4:5], 3, v[56:57]
	s_clause 0x3
	global_load_b64 v[94:95], v[172:173], off
	global_load_b64 v[90:91], v[174:175], off
	;; [unrolled: 1-line block ×4, first 2 shown]
	v_ashrrev_i32_e32 v3, 31, v2
	v_add_nc_u32_e32 v18, s12, v10
	v_lshl_add_u64 v[208:209], v[6:7], 3, v[56:57]
	v_ashrrev_i32_e32 v11, 31, v10
	s_delay_alu instid0(VALU_DEP_4) | instskip(NEXT) | instid1(VALU_DEP_4)
	v_lshl_add_u64 v[206:207], v[2:3], 3, v[56:57]
	v_dual_add_nc_u32 v26, s12, v18 :: v_dual_ashrrev_i32 v19, 31, v18
	s_delay_alu instid0(VALU_DEP_3) | instskip(NEXT) | instid1(VALU_DEP_2)
	v_lshl_add_u64 v[210:211], v[10:11], 3, v[56:57]
	v_add_nc_u32_e32 v38, s12, v26
	s_delay_alu instid0(VALU_DEP_3) | instskip(NEXT) | instid1(VALU_DEP_2)
	v_lshl_add_u64 v[212:213], v[18:19], 3, v[56:57]
	v_add_nc_u32_e32 v28, s12, v38
	s_delay_alu instid0(VALU_DEP_1) | instskip(NEXT) | instid1(VALU_DEP_1)
	v_dual_add_nc_u32 v12, s12, v28 :: v_dual_ashrrev_i32 v39, 31, v38
	v_dual_ashrrev_i32 v13, 31, v12 :: v_dual_add_nc_u32 v14, s12, v12
	v_ashrrev_i32_e32 v1, 31, v0
	v_ashrrev_i32_e32 v29, 31, v28
	s_delay_alu instid0(VALU_DEP_4) | instskip(NEXT) | instid1(VALU_DEP_4)
	v_lshl_add_u64 v[216:217], v[38:39], 3, v[56:57]
	v_lshl_add_u64 v[220:221], v[12:13], 3, v[56:57]
	v_add_nc_u32_e32 v8, s12, v14
	v_lshl_add_u64 v[202:203], v[0:1], 3, v[56:57]
	s_clause 0x3
	global_load_b64 v[112:113], v[198:199], off
	global_load_b64 v[108:109], v[200:201], off
	;; [unrolled: 1-line block ×4, first 2 shown]
	v_dual_add_nc_u32 v0, s12, v8 :: v_dual_ashrrev_i32 v15, 31, v14
	s_clause 0x3
	global_load_b64 v[128:129], v[206:207], off
	global_load_b64 v[124:125], v[208:209], off
	;; [unrolled: 1-line block ×4, first 2 shown]
	v_lshl_add_u64 v[218:219], v[28:29], 3, v[56:57]
	v_ashrrev_i32_e32 v9, 31, v8
	v_dual_add_nc_u32 v2, s12, v0 :: v_dual_ashrrev_i32 v1, 31, v0
	v_lshl_add_u64 v[222:223], v[14:15], 3, v[56:57]
	s_delay_alu instid0(VALU_DEP_3) | instskip(NEXT) | instid1(VALU_DEP_3)
	v_lshl_add_u64 v[224:225], v[8:9], 3, v[56:57]
	v_add_nc_u32_e32 v4, s12, v2
	v_ashrrev_i32_e32 v27, 31, v26
	v_lshl_add_u64 v[226:227], v[0:1], 3, v[56:57]
	s_delay_alu instid0(VALU_DEP_3) | instskip(NEXT) | instid1(VALU_DEP_3)
	v_add_nc_u32_e32 v6, s12, v4
	v_lshl_add_u64 v[214:215], v[26:27], 3, v[56:57]
	s_clause 0x3
	global_load_b64 v[144:145], v[214:215], off
	global_load_b64 v[140:141], v[216:217], off
	;; [unrolled: 1-line block ×4, first 2 shown]
	v_dual_add_nc_u32 v10, s12, v6 :: v_dual_ashrrev_i32 v5, 31, v4
	s_delay_alu instid0(VALU_DEP_1) | instskip(NEXT) | instid1(VALU_DEP_2)
	v_add_nc_u32_e32 v18, s12, v10
	v_lshl_add_u64 v[230:231], v[4:5], 3, v[56:57]
	s_delay_alu instid0(VALU_DEP_2) | instskip(NEXT) | instid1(VALU_DEP_1)
	v_add_nc_u32_e32 v12, s12, v18
	v_dual_add_nc_u32 v14, s12, v12 :: v_dual_ashrrev_i32 v13, 31, v12
	v_ashrrev_i32_e32 v19, 31, v18
	s_delay_alu instid0(VALU_DEP_2)
	v_add_nc_u32_e32 v0, s12, v14
	v_ashrrev_i32_e32 v3, 31, v2
	v_ashrrev_i32_e32 v7, 31, v6
	;; [unrolled: 1-line block ×3, first 2 shown]
	v_lshl_add_u64 v[168:169], v[18:19], 3, v[56:57]
	v_ashrrev_i32_e32 v1, 31, v0
	v_lshl_add_u64 v[228:229], v[2:3], 3, v[56:57]
	v_add_nc_u32_e32 v2, s12, v0
	v_lshl_add_u64 v[232:233], v[6:7], 3, v[56:57]
	v_lshl_add_u64 v[240:241], v[12:13], 3, v[56:57]
	s_clause 0x3
	global_load_b64 v[166:167], v[222:223], off
	global_load_b64 v[162:163], v[224:225], off
	;; [unrolled: 1-line block ×4, first 2 shown]
	v_lshl_add_u64 v[242:243], v[14:15], 3, v[56:57]
	v_dual_add_nc_u32 v4, s12, v2 :: v_dual_ashrrev_i32 v3, 31, v2
	v_ashrrev_i32_e32 v11, 31, v10
	v_lshl_add_u64 v[244:245], v[0:1], 3, v[56:57]
	s_delay_alu instid0(VALU_DEP_3) | instskip(NEXT) | instid1(VALU_DEP_4)
	v_dual_lshlrev_b32 v0, 3, v42 :: v_dual_ashrrev_i32 v5, 31, v4
	v_lshl_add_u64 v[246:247], v[2:3], 3, v[56:57]
	s_delay_alu instid0(VALU_DEP_4) | instskip(NEXT) | instid1(VALU_DEP_3)
	v_lshl_add_u64 v[234:235], v[10:11], 3, v[56:57]
	v_add3_u32 v79, 0, s14, v0
	s_delay_alu instid0(VALU_DEP_4)
	v_lshl_add_u64 v[238:239], v[4:5], 3, v[56:57]
	s_clause 0x8
	global_load_b64 v[192:193], v[230:231], off
	global_load_b64 v[184:185], v[232:233], off
	;; [unrolled: 1-line block ×9, first 2 shown]
	s_wait_xcnt 0x0
	s_and_saveexec_b32 s4, s0
	s_cbranch_execz .LBB97_8
; %bb.2:
	s_wait_loadcnt 0x2c
	ds_store_b64 v79, v[98:99]
	s_wait_loadcnt 0x2a
	ds_store_2addr_b64 v80, v[68:69], v[64:65] offset0:1 offset1:2
	s_wait_loadcnt 0x29
	ds_store_2addr_b64 v80, v[86:87], v[66:67] offset0:3 offset1:4
	ds_store_2addr_b64 v80, v[62:63], v[22:23] offset0:5 offset1:6
	s_wait_loadcnt 0x28
	ds_store_2addr_b64 v80, v[20:21], v[36:37] offset0:7 offset1:8
	s_wait_loadcnt 0x26
	;; [unrolled: 2-line block ×21, first 2 shown]
	ds_store_2addr_b64 v80, v[194:195], v[196:197] offset0:47 offset1:48
	ds_load_b64 v[0:1], v79
	s_wait_dscnt 0x0
	v_cmp_neq_f32_e32 vcc_lo, 0, v0
	v_cmp_neq_f32_e64 s2, 0, v1
	s_or_b32 s2, vcc_lo, s2
	s_delay_alu instid0(SALU_CYCLE_1)
	s_and_b32 exec_lo, exec_lo, s2
	s_cbranch_execz .LBB97_8
; %bb.3:
	v_cmp_ngt_f32_e64 s2, |v0|, |v1|
                                        ; implicit-def: $vgpr2_vgpr3
	s_and_saveexec_b32 s5, s2
	s_delay_alu instid0(SALU_CYCLE_1)
	s_xor_b32 s2, exec_lo, s5
	s_cbranch_execz .LBB97_5
; %bb.4:
	v_div_scale_f32 v2, null, v1, v1, v0
	v_div_scale_f32 v5, vcc_lo, v0, v1, v0
	s_delay_alu instid0(VALU_DEP_2) | instskip(SKIP_1) | instid1(TRANS32_DEP_1)
	v_rcp_f32_e32 v3, v2
	v_nop
	v_fma_f32 v4, -v2, v3, 1.0
	s_delay_alu instid0(VALU_DEP_1) | instskip(NEXT) | instid1(VALU_DEP_1)
	v_fmac_f32_e32 v3, v4, v3
	v_mul_f32_e32 v4, v5, v3
	s_delay_alu instid0(VALU_DEP_1) | instskip(NEXT) | instid1(VALU_DEP_1)
	v_fma_f32 v6, -v2, v4, v5
	v_fmac_f32_e32 v4, v6, v3
	s_delay_alu instid0(VALU_DEP_1) | instskip(NEXT) | instid1(VALU_DEP_1)
	v_fma_f32 v2, -v2, v4, v5
	v_div_fmas_f32 v2, v2, v3, v4
	s_delay_alu instid0(VALU_DEP_1) | instskip(NEXT) | instid1(VALU_DEP_1)
	v_div_fixup_f32 v2, v2, v1, v0
	v_fmac_f32_e32 v1, v0, v2
	s_delay_alu instid0(VALU_DEP_1) | instskip(SKIP_1) | instid1(VALU_DEP_2)
	v_div_scale_f32 v0, null, v1, v1, 1.0
	v_div_scale_f32 v5, vcc_lo, 1.0, v1, 1.0
	v_rcp_f32_e32 v3, v0
	v_nop
	s_delay_alu instid0(TRANS32_DEP_1) | instskip(NEXT) | instid1(VALU_DEP_1)
	v_fma_f32 v4, -v0, v3, 1.0
	v_fmac_f32_e32 v3, v4, v3
	s_delay_alu instid0(VALU_DEP_1) | instskip(NEXT) | instid1(VALU_DEP_1)
	v_mul_f32_e32 v4, v5, v3
	v_fma_f32 v6, -v0, v4, v5
	s_delay_alu instid0(VALU_DEP_1) | instskip(NEXT) | instid1(VALU_DEP_1)
	v_fmac_f32_e32 v4, v6, v3
	v_fma_f32 v0, -v0, v4, v5
	s_delay_alu instid0(VALU_DEP_1) | instskip(NEXT) | instid1(VALU_DEP_1)
	v_div_fmas_f32 v0, v0, v3, v4
	v_div_fixup_f32 v0, v0, v1, 1.0
	s_delay_alu instid0(VALU_DEP_1)
	v_mul_f32_e32 v2, v2, v0
	v_xor_b32_e32 v3, 0x80000000, v0
                                        ; implicit-def: $vgpr0_vgpr1
.LBB97_5:
	s_and_not1_saveexec_b32 s2, s2
	s_cbranch_execz .LBB97_7
; %bb.6:
	v_div_scale_f32 v2, null, v0, v0, v1
	v_div_scale_f32 v5, vcc_lo, v1, v0, v1
	s_delay_alu instid0(VALU_DEP_2) | instskip(SKIP_1) | instid1(TRANS32_DEP_1)
	v_rcp_f32_e32 v3, v2
	v_nop
	v_fma_f32 v4, -v2, v3, 1.0
	s_delay_alu instid0(VALU_DEP_1) | instskip(NEXT) | instid1(VALU_DEP_1)
	v_fmac_f32_e32 v3, v4, v3
	v_mul_f32_e32 v4, v5, v3
	s_delay_alu instid0(VALU_DEP_1) | instskip(NEXT) | instid1(VALU_DEP_1)
	v_fma_f32 v6, -v2, v4, v5
	v_fmac_f32_e32 v4, v6, v3
	s_delay_alu instid0(VALU_DEP_1) | instskip(NEXT) | instid1(VALU_DEP_1)
	v_fma_f32 v2, -v2, v4, v5
	v_div_fmas_f32 v2, v2, v3, v4
	s_delay_alu instid0(VALU_DEP_1) | instskip(NEXT) | instid1(VALU_DEP_1)
	v_div_fixup_f32 v3, v2, v0, v1
	v_fmac_f32_e32 v0, v1, v3
	s_delay_alu instid0(VALU_DEP_1) | instskip(NEXT) | instid1(VALU_DEP_1)
	v_div_scale_f32 v1, null, v0, v0, 1.0
	v_rcp_f32_e32 v2, v1
	v_nop
	s_delay_alu instid0(TRANS32_DEP_1) | instskip(NEXT) | instid1(VALU_DEP_1)
	v_fma_f32 v4, -v1, v2, 1.0
	v_fmac_f32_e32 v2, v4, v2
	v_div_scale_f32 v4, vcc_lo, 1.0, v0, 1.0
	s_delay_alu instid0(VALU_DEP_1) | instskip(NEXT) | instid1(VALU_DEP_1)
	v_mul_f32_e32 v5, v4, v2
	v_fma_f32 v6, -v1, v5, v4
	s_delay_alu instid0(VALU_DEP_1) | instskip(NEXT) | instid1(VALU_DEP_1)
	v_fmac_f32_e32 v5, v6, v2
	v_fma_f32 v1, -v1, v5, v4
	s_delay_alu instid0(VALU_DEP_1) | instskip(NEXT) | instid1(VALU_DEP_1)
	v_div_fmas_f32 v1, v1, v2, v5
	v_div_fixup_f32 v2, v1, v0, 1.0
	s_delay_alu instid0(VALU_DEP_1)
	v_mul_f32_e64 v3, v3, -v2
.LBB97_7:
	s_or_b32 exec_lo, exec_lo, s2
	ds_store_b64 v79, v[2:3]
.LBB97_8:
	s_or_b32 exec_lo, exec_lo, s4
	s_wait_loadcnt_dscnt 0x0
	s_barrier_signal -1
	s_barrier_wait -1
	ds_load_b64 v[248:249], v79
	s_and_saveexec_b32 s2, s1
	s_cbranch_execz .LBB97_10
; %bb.9:
	ds_load_2addr_b64 v[4:7], v80 offset0:1 offset1:2
	ds_load_2addr_b64 v[8:11], v80 offset0:3 offset1:4
	ds_load_2addr_b64 v[12:15], v80 offset0:5 offset1:6
	s_wait_dscnt 0x3
	v_pk_mul_f32 v[2:3], v[248:249], v[98:99] op_sel:[1,1] op_sel_hi:[0,1]
	ds_load_2addr_b64 v[24:27], v80 offset0:7 offset1:8
	ds_load_2addr_b64 v[38:41], v80 offset0:9 offset1:10
	v_pk_fma_f32 v[0:1], v[248:249], v[98:99], v[2:3] op_sel_hi:[1,0,1] neg_lo:[0,0,1] neg_hi:[0,0,1]
	v_pk_fma_f32 v[2:3], v[248:249], v[98:99], v[2:3] op_sel_hi:[1,0,1]
	s_delay_alu instid0(VALU_DEP_1) | instskip(SKIP_1) | instid1(VALU_DEP_2)
	v_dual_mov_b32 v98, v0 :: v_dual_mov_b32 v99, v3
	s_wait_dscnt 0x4
	v_pk_mul_f32 v[18:19], v[4:5], v[2:3] op_sel:[0,1]
	v_pk_mul_f32 v[28:29], v[6:7], v[2:3] op_sel:[0,1]
	s_wait_dscnt 0x3
	v_pk_mul_f32 v[42:43], v[8:9], v[2:3] op_sel:[0,1]
	v_dual_mov_b32 v44, v11 :: v_dual_mov_b32 v45, v10
	v_dual_mul_f32 v54, v11, v3 :: v_dual_mul_f32 v56, v11, v0
	s_wait_dscnt 0x2
	v_pk_mul_f32 v[58:59], v[12:13], v[2:3] op_sel:[0,1]
	v_pk_mul_f32 v[60:61], v[14:15], v[2:3] op_sel:[0,1]
	v_pk_fma_f32 v[82:83], v[4:5], v[0:1], v[18:19] op_sel:[0,0,1] op_sel_hi:[1,1,0] neg_lo:[0,0,1] neg_hi:[0,0,1]
	v_pk_fma_f32 v[4:5], v[4:5], v[0:1], v[18:19] op_sel:[0,0,1] op_sel_hi:[1,0,0]
	v_pk_fma_f32 v[18:19], v[6:7], v[0:1], v[28:29] op_sel:[0,0,1] op_sel_hi:[1,1,0] neg_lo:[0,0,1] neg_hi:[0,0,1]
	v_pk_fma_f32 v[6:7], v[6:7], v[0:1], v[28:29] op_sel:[0,0,1] op_sel_hi:[1,0,0]
	;; [unrolled: 2-line block ×3, first 2 shown]
	v_pk_fma_f32 v[42:43], v[44:45], v[98:99], v[56:57] op_sel_hi:[1,1,0]
	v_pk_fma_f32 v[44:45], v[12:13], v[0:1], v[58:59] op_sel:[0,0,1] op_sel_hi:[1,0,0]
	v_dual_mov_b32 v83, v5 :: v_dual_mov_b32 v19, v7
	v_pk_fma_f32 v[4:5], v[14:15], v[0:1], v[60:61] op_sel:[0,0,1] op_sel_hi:[1,0,0]
	v_pk_fma_f32 v[10:11], v[10:11], v[98:99], v[54:55] op_sel_hi:[1,1,0] neg_lo:[0,0,1] neg_hi:[0,0,1]
	v_dual_mov_b32 v29, v9 :: v_dual_mov_b32 v11, v43
	v_pk_fma_f32 v[8:9], v[12:13], v[0:1], v[58:59] op_sel:[0,0,1] op_sel_hi:[1,1,0] neg_lo:[0,0,1] neg_hi:[0,0,1]
	v_pk_fma_f32 v[12:13], v[14:15], v[0:1], v[60:61] op_sel:[0,0,1] op_sel_hi:[1,1,0] neg_lo:[0,0,1] neg_hi:[0,0,1]
	v_dual_mov_b32 v9, v45 :: v_dual_mov_b32 v13, v5
	ds_load_2addr_b64 v[4:7], v80 offset0:11 offset1:12
	v_pk_add_f32 v[64:65], v[64:65], v[18:19] neg_lo:[0,1] neg_hi:[0,1]
	s_wait_dscnt 0x2
	v_pk_mul_f32 v[14:15], v[24:25], v[2:3] op_sel:[0,1]
	v_pk_add_f32 v[66:67], v[66:67], v[10:11] neg_lo:[0,1] neg_hi:[0,1]
	v_pk_add_f32 v[62:63], v[62:63], v[8:9] neg_lo:[0,1] neg_hi:[0,1]
	v_pk_mul_f32 v[18:19], v[26:27], v[2:3] op_sel:[0,1]
	ds_load_2addr_b64 v[8:11], v80 offset0:13 offset1:14
	v_pk_add_f32 v[86:87], v[86:87], v[28:29] neg_lo:[0,1] neg_hi:[0,1]
	v_pk_add_f32 v[22:23], v[22:23], v[12:13] neg_lo:[0,1] neg_hi:[0,1]
	v_pk_fma_f32 v[12:13], v[24:25], v[0:1], v[14:15] op_sel:[0,0,1] op_sel_hi:[1,1,0] neg_lo:[0,0,1] neg_hi:[0,0,1]
	s_wait_dscnt 0x2
	v_mul_f32_e32 v28, v39, v0
	v_pk_fma_f32 v[14:15], v[24:25], v[0:1], v[14:15] op_sel:[0,0,1] op_sel_hi:[1,0,0]
	v_pk_fma_f32 v[24:25], v[26:27], v[0:1], v[18:19] op_sel:[0,0,1] op_sel_hi:[1,0,0]
	v_mul_f32_e32 v14, v39, v3
	v_pk_fma_f32 v[18:19], v[26:27], v[0:1], v[18:19] op_sel:[0,0,1] op_sel_hi:[1,1,0] neg_lo:[0,0,1] neg_hi:[0,0,1]
	v_pk_fma_f32 v[28:29], v[38:39], v[98:99], v[28:29] op_sel:[1,0,0] op_sel_hi:[0,1,0]
	s_delay_alu instid0(VALU_DEP_4)
	v_dual_mov_b32 v13, v15 :: v_dual_mov_b32 v19, v25
	v_pk_mul_f32 v[24:25], v[40:41], v[2:3] op_sel:[0,1]
	v_pk_fma_f32 v[14:15], v[38:39], v[98:99], v[14:15] op_sel_hi:[1,1,0] neg_lo:[0,0,1] neg_hi:[0,0,1]
	s_wait_dscnt 0x1
	v_pk_mul_f32 v[26:27], v[4:5], v[2:3] op_sel:[0,1]
	v_pk_add_f32 v[20:21], v[20:21], v[12:13] neg_lo:[0,1] neg_hi:[0,1]
	v_pk_add_f32 v[36:37], v[36:37], v[18:19] neg_lo:[0,1] neg_hi:[0,1]
	v_pk_fma_f32 v[18:19], v[40:41], v[0:1], v[24:25] op_sel:[0,0,1] op_sel_hi:[1,0,0]
	v_mov_b32_e32 v15, v29
	v_pk_fma_f32 v[28:29], v[40:41], v[0:1], v[24:25] op_sel:[0,0,1] op_sel_hi:[1,1,0] neg_lo:[0,0,1] neg_hi:[0,0,1]
	v_pk_fma_f32 v[24:25], v[4:5], v[0:1], v[26:27] op_sel:[0,0,1] op_sel_hi:[1,0,0]
	v_pk_mul_f32 v[38:39], v[6:7], v[2:3] op_sel:[0,1]
	v_mov_b32_e32 v29, v19
	v_pk_add_f32 v[32:33], v[32:33], v[14:15] neg_lo:[0,1] neg_hi:[0,1]
	ds_load_2addr_b64 v[12:15], v80 offset0:15 offset1:16
	s_wait_dscnt 0x1
	v_pk_mul_f32 v[18:19], v[8:9], v[2:3] op_sel:[0,1]
	v_pk_fma_f32 v[4:5], v[4:5], v[0:1], v[26:27] op_sel:[0,0,1] op_sel_hi:[1,1,0] neg_lo:[0,0,1] neg_hi:[0,0,1]
	v_pk_add_f32 v[34:35], v[34:35], v[28:29] neg_lo:[0,1] neg_hi:[0,1]
	v_pk_fma_f32 v[40:41], v[6:7], v[0:1], v[38:39] op_sel:[0,0,1] op_sel_hi:[1,0,0]
	v_pk_add_f32 v[68:69], v[68:69], v[82:83] neg_lo:[0,1] neg_hi:[0,1]
	v_pk_fma_f32 v[28:29], v[8:9], v[0:1], v[18:19] op_sel:[0,0,1] op_sel_hi:[1,0,0]
	v_mov_b32_e32 v5, v25
	ds_load_2addr_b64 v[24:27], v80 offset0:17 offset1:18
	v_pk_add_f32 v[30:31], v[30:31], v[4:5] neg_lo:[0,1] neg_hi:[0,1]
	v_pk_fma_f32 v[4:5], v[6:7], v[0:1], v[38:39] op_sel:[0,0,1] op_sel_hi:[1,1,0] neg_lo:[0,0,1] neg_hi:[0,0,1]
	v_mov_b32_e32 v5, v41
	v_pk_fma_f32 v[6:7], v[8:9], v[0:1], v[18:19] op_sel:[0,0,1] op_sel_hi:[1,1,0] neg_lo:[0,0,1] neg_hi:[0,0,1]
	v_dual_mov_b32 v8, v11 :: v_dual_mov_b32 v9, v10
	v_dual_mul_f32 v18, v11, v0 :: v_dual_mov_b32 v7, v29
	s_delay_alu instid0(VALU_DEP_4) | instskip(SKIP_2) | instid1(VALU_DEP_3)
	v_pk_add_f32 v[52:53], v[52:53], v[4:5] neg_lo:[0,1] neg_hi:[0,1]
	s_wait_dscnt 0x1
	v_pk_mul_f32 v[38:39], v[12:13], v[2:3] op_sel:[0,1]
	v_pk_fma_f32 v[8:9], v[8:9], v[98:99], v[18:19] op_sel_hi:[1,1,0]
	v_mul_f32_e32 v28, v11, v3
	v_pk_add_f32 v[48:49], v[48:49], v[6:7] neg_lo:[0,1] neg_hi:[0,1]
	ds_load_2addr_b64 v[4:7], v80 offset0:19 offset1:20
	s_wait_dscnt 0x1
	v_pk_mul_f32 v[40:41], v[24:25], v[2:3] op_sel:[0,1]
	v_pk_fma_f32 v[18:19], v[10:11], v[98:99], v[28:29] op_sel_hi:[1,1,0] neg_lo:[0,0,1] neg_hi:[0,0,1]
	v_pk_mul_f32 v[10:11], v[14:15], v[2:3] op_sel:[0,1]
	v_pk_fma_f32 v[28:29], v[12:13], v[0:1], v[38:39] op_sel:[0,0,1] op_sel_hi:[1,0,0]
	v_mov_b32_e32 v19, v9
	v_pk_fma_f32 v[12:13], v[12:13], v[0:1], v[38:39] op_sel:[0,0,1] op_sel_hi:[1,1,0] neg_lo:[0,0,1] neg_hi:[0,0,1]
	s_delay_alu instid0(VALU_DEP_4) | instskip(NEXT) | instid1(VALU_DEP_4)
	v_pk_fma_f32 v[38:39], v[14:15], v[0:1], v[10:11] op_sel:[0,0,1] op_sel_hi:[1,0,0]
	v_mov_b32_e32 v13, v29
	v_pk_fma_f32 v[28:29], v[24:25], v[0:1], v[40:41] op_sel:[0,0,1] op_sel_hi:[1,0,0]
	v_pk_fma_f32 v[14:15], v[14:15], v[0:1], v[10:11] op_sel:[0,0,1] op_sel_hi:[1,1,0] neg_lo:[0,0,1] neg_hi:[0,0,1]
	ds_load_2addr_b64 v[8:11], v80 offset0:21 offset1:22
	v_pk_add_f32 v[50:51], v[50:51], v[18:19] neg_lo:[0,1] neg_hi:[0,1]
	v_pk_mul_f32 v[18:19], v[26:27], v[2:3] op_sel:[0,1]
	v_pk_fma_f32 v[24:25], v[24:25], v[0:1], v[40:41] op_sel:[0,0,1] op_sel_hi:[1,1,0] neg_lo:[0,0,1] neg_hi:[0,0,1]
	v_dual_mov_b32 v25, v29 :: v_dual_mov_b32 v15, v39
	v_pk_add_f32 v[46:47], v[46:47], v[12:13] neg_lo:[0,1] neg_hi:[0,1]
	s_delay_alu instid0(VALU_DEP_4)
	v_pk_fma_f32 v[28:29], v[26:27], v[0:1], v[18:19] op_sel:[0,0,1] op_sel_hi:[1,0,0]
	v_pk_fma_f32 v[18:19], v[26:27], v[0:1], v[18:19] op_sel:[0,0,1] op_sel_hi:[1,1,0] neg_lo:[0,0,1] neg_hi:[0,0,1]
	s_wait_dscnt 0x1
	v_pk_mul_f32 v[38:39], v[6:7], v[2:3] op_sel:[0,1]
	v_pk_add_f32 v[76:77], v[76:77], v[14:15] neg_lo:[0,1] neg_hi:[0,1]
	v_mul_f32_e32 v28, v5, v3
	v_mov_b32_e32 v19, v29
	v_pk_add_f32 v[72:73], v[72:73], v[24:25] neg_lo:[0,1] neg_hi:[0,1]
	v_mul_f32_e32 v24, v5, v0
	ds_load_2addr_b64 v[12:15], v80 offset0:23 offset1:24
	v_pk_fma_f32 v[26:27], v[6:7], v[0:1], v[38:39] op_sel:[0,0,1] op_sel_hi:[1,0,0]
	v_pk_fma_f32 v[6:7], v[6:7], v[0:1], v[38:39] op_sel:[0,0,1] op_sel_hi:[1,1,0] neg_lo:[0,0,1] neg_hi:[0,0,1]
	v_pk_add_f32 v[74:75], v[74:75], v[18:19] neg_lo:[0,1] neg_hi:[0,1]
	v_pk_fma_f32 v[24:25], v[4:5], v[98:99], v[24:25] op_sel:[1,0,0] op_sel_hi:[0,1,0]
	v_pk_fma_f32 v[4:5], v[4:5], v[98:99], v[28:29] op_sel_hi:[1,1,0] neg_lo:[0,0,1] neg_hi:[0,0,1]
	v_mov_b32_e32 v7, v27
	s_wait_dscnt 0x1
	v_pk_mul_f32 v[26:27], v[10:11], v[2:3] op_sel:[0,1]
	v_mov_b32_e32 v5, v25
	v_pk_mul_f32 v[24:25], v[8:9], v[2:3] op_sel:[0,1]
	v_pk_add_f32 v[94:95], v[94:95], v[6:7] neg_lo:[0,1] neg_hi:[0,1]
	s_delay_alu instid0(VALU_DEP_3) | instskip(NEXT) | instid1(VALU_DEP_3)
	v_pk_add_f32 v[70:71], v[70:71], v[4:5] neg_lo:[0,1] neg_hi:[0,1]
	v_pk_fma_f32 v[18:19], v[8:9], v[0:1], v[24:25] op_sel:[0,0,1] op_sel_hi:[1,0,0]
	ds_load_2addr_b64 v[4:7], v80 offset0:25 offset1:26
	v_pk_fma_f32 v[24:25], v[8:9], v[0:1], v[24:25] op_sel:[0,0,1] op_sel_hi:[1,1,0] neg_lo:[0,0,1] neg_hi:[0,0,1]
	s_wait_dscnt 0x1
	v_dual_mov_b32 v25, v19 :: v_dual_mov_b32 v38, v15
	v_pk_fma_f32 v[18:19], v[10:11], v[0:1], v[26:27] op_sel:[0,0,1] op_sel_hi:[1,1,0] neg_lo:[0,0,1] neg_hi:[0,0,1]
	v_pk_fma_f32 v[26:27], v[10:11], v[0:1], v[26:27] op_sel:[0,0,1] op_sel_hi:[1,0,0]
	ds_load_2addr_b64 v[8:11], v80 offset0:27 offset1:28
	v_pk_mul_f32 v[28:29], v[12:13], v[2:3] op_sel:[0,1]
	v_pk_add_f32 v[90:91], v[90:91], v[24:25] neg_lo:[0,1] neg_hi:[0,1]
	v_dual_mov_b32 v39, v14 :: v_dual_mul_f32 v26, v15, v0
	v_mov_b32_e32 v19, v27
	s_delay_alu instid0(VALU_DEP_4) | instskip(SKIP_1) | instid1(VALU_DEP_4)
	v_pk_fma_f32 v[24:25], v[12:13], v[0:1], v[28:29] op_sel:[0,0,1] op_sel_hi:[1,0,0]
	v_mul_f32_e32 v24, v15, v3
	v_pk_fma_f32 v[26:27], v[38:39], v[98:99], v[26:27] op_sel_hi:[1,1,0]
	s_delay_alu instid0(VALU_DEP_4)
	v_pk_add_f32 v[92:93], v[92:93], v[18:19] neg_lo:[0,1] neg_hi:[0,1]
	v_pk_fma_f32 v[18:19], v[12:13], v[0:1], v[28:29] op_sel:[0,0,1] op_sel_hi:[1,1,0] neg_lo:[0,0,1] neg_hi:[0,0,1]
	v_mov_b32_e32 v19, v25
	v_pk_fma_f32 v[24:25], v[14:15], v[98:99], v[24:25] op_sel_hi:[1,1,0] neg_lo:[0,0,1] neg_hi:[0,0,1]
	s_wait_dscnt 0x1
	v_pk_mul_f32 v[28:29], v[4:5], v[2:3] op_sel:[0,1]
	ds_load_2addr_b64 v[12:15], v80 offset0:29 offset1:30
	v_pk_mul_f32 v[38:39], v[6:7], v[2:3] op_sel:[0,1]
	v_pk_add_f32 v[88:89], v[88:89], v[18:19] neg_lo:[0,1] neg_hi:[0,1]
	v_mov_b32_e32 v25, v27
	v_pk_fma_f32 v[18:19], v[4:5], v[0:1], v[28:29] op_sel:[0,0,1] op_sel_hi:[1,0,0]
	s_wait_dscnt 0x1
	v_pk_mul_f32 v[40:41], v[8:9], v[2:3] op_sel:[0,1]
	v_pk_fma_f32 v[4:5], v[4:5], v[0:1], v[28:29] op_sel:[0,0,1] op_sel_hi:[1,1,0] neg_lo:[0,0,1] neg_hi:[0,0,1]
	v_pk_fma_f32 v[42:43], v[6:7], v[0:1], v[38:39] op_sel:[0,0,1] op_sel_hi:[1,0,0]
	v_pk_mul_f32 v[28:29], v[10:11], v[2:3] op_sel:[0,1]
	v_mov_b32_e32 v5, v19
	v_pk_fma_f32 v[18:19], v[8:9], v[0:1], v[40:41] op_sel:[0,0,1] op_sel_hi:[1,0,0]
	v_pk_fma_f32 v[8:9], v[8:9], v[0:1], v[40:41] op_sel:[0,0,1] op_sel_hi:[1,1,0] neg_lo:[0,0,1] neg_hi:[0,0,1]
	v_pk_add_f32 v[112:113], v[112:113], v[24:25] neg_lo:[0,1] neg_hi:[0,1]
	ds_load_2addr_b64 v[24:27], v80 offset0:31 offset1:32
	v_pk_fma_f32 v[6:7], v[6:7], v[0:1], v[38:39] op_sel:[0,0,1] op_sel_hi:[1,1,0] neg_lo:[0,0,1] neg_hi:[0,0,1]
	v_mov_b32_e32 v9, v19
	v_pk_fma_f32 v[18:19], v[10:11], v[0:1], v[28:29] op_sel:[0,0,1] op_sel_hi:[1,0,0]
	v_mov_b32_e32 v7, v43
	v_pk_fma_f32 v[10:11], v[10:11], v[0:1], v[28:29] op_sel:[0,0,1] op_sel_hi:[1,1,0] neg_lo:[0,0,1] neg_hi:[0,0,1]
	v_pk_add_f32 v[108:109], v[108:109], v[4:5] neg_lo:[0,1] neg_hi:[0,1]
	v_pk_add_f32 v[106:107], v[106:107], v[8:9] neg_lo:[0,1] neg_hi:[0,1]
	s_wait_dscnt 0x1
	v_dual_mul_f32 v8, v13, v0 :: v_dual_mov_b32 v11, v19
	v_mul_f32_e32 v18, v13, v3
	v_pk_add_f32 v[110:111], v[110:111], v[6:7] neg_lo:[0,1] neg_hi:[0,1]
	ds_load_2addr_b64 v[4:7], v80 offset0:33 offset1:34
	v_pk_mul_f32 v[28:29], v[14:15], v[2:3] op_sel:[0,1]
	v_pk_fma_f32 v[8:9], v[12:13], v[98:99], v[8:9] op_sel:[1,0,0] op_sel_hi:[0,1,0]
	v_pk_fma_f32 v[12:13], v[12:13], v[98:99], v[18:19] op_sel_hi:[1,1,0] neg_lo:[0,0,1] neg_hi:[0,0,1]
	v_pk_add_f32 v[128:129], v[128:129], v[10:11] neg_lo:[0,1] neg_hi:[0,1]
	s_delay_alu instid0(VALU_DEP_4) | instskip(NEXT) | instid1(VALU_DEP_4)
	v_pk_fma_f32 v[18:19], v[14:15], v[0:1], v[28:29] op_sel:[0,0,1] op_sel_hi:[1,0,0]
	v_mov_b32_e32 v13, v9
	ds_load_2addr_b64 v[8:11], v80 offset0:35 offset1:36
	v_pk_fma_f32 v[14:15], v[14:15], v[0:1], v[28:29] op_sel:[0,0,1] op_sel_hi:[1,1,0] neg_lo:[0,0,1] neg_hi:[0,0,1]
	s_wait_dscnt 0x2
	v_pk_mul_f32 v[38:39], v[24:25], v[2:3] op_sel:[0,1]
	v_mov_b32_e32 v15, v19
	v_pk_add_f32 v[124:125], v[124:125], v[12:13] neg_lo:[0,1] neg_hi:[0,1]
	s_delay_alu instid0(VALU_DEP_3)
	v_pk_fma_f32 v[40:41], v[24:25], v[0:1], v[38:39] op_sel:[0,0,1] op_sel_hi:[1,0,0]
	v_pk_fma_f32 v[18:19], v[24:25], v[0:1], v[38:39] op_sel:[0,0,1] op_sel_hi:[1,1,0] neg_lo:[0,0,1] neg_hi:[0,0,1]
	v_pk_mul_f32 v[24:25], v[26:27], v[2:3] op_sel:[0,1]
	v_pk_add_f32 v[126:127], v[126:127], v[14:15] neg_lo:[0,1] neg_hi:[0,1]
	ds_load_2addr_b64 v[12:15], v80 offset0:37 offset1:38
	s_wait_dscnt 0x2
	v_pk_mul_f32 v[28:29], v[4:5], v[2:3] op_sel:[0,1]
	v_pk_fma_f32 v[38:39], v[26:27], v[0:1], v[24:25] op_sel:[0,0,1] op_sel_hi:[1,0,0]
	v_mov_b32_e32 v19, v41
	v_pk_fma_f32 v[24:25], v[26:27], v[0:1], v[24:25] op_sel:[0,0,1] op_sel_hi:[1,1,0] neg_lo:[0,0,1] neg_hi:[0,0,1]
	v_mul_f32_e32 v26, v7, v0
	s_delay_alu instid0(VALU_DEP_4) | instskip(NEXT) | instid1(VALU_DEP_4)
	v_mov_b32_e32 v25, v39
	v_pk_add_f32 v[122:123], v[122:123], v[18:19] neg_lo:[0,1] neg_hi:[0,1]
	v_pk_fma_f32 v[18:19], v[4:5], v[0:1], v[28:29] op_sel:[0,0,1] op_sel_hi:[1,0,0]
	v_pk_fma_f32 v[4:5], v[4:5], v[0:1], v[28:29] op_sel:[0,0,1] op_sel_hi:[1,1,0] neg_lo:[0,0,1] neg_hi:[0,0,1]
	s_wait_dscnt 0x1
	v_pk_mul_f32 v[28:29], v[8:9], v[2:3] op_sel:[0,1]
	v_mov_b32_e32 v18, v7
	v_pk_add_f32 v[144:145], v[144:145], v[24:25] neg_lo:[0,1] neg_hi:[0,1]
	v_dual_mov_b32 v5, v19 :: v_dual_mov_b32 v19, v6
	s_delay_alu instid0(VALU_DEP_4) | instskip(SKIP_2) | instid1(VALU_DEP_4)
	v_pk_fma_f32 v[38:39], v[8:9], v[0:1], v[28:29] op_sel:[0,0,1] op_sel_hi:[1,0,0]
	v_pk_fma_f32 v[8:9], v[8:9], v[0:1], v[28:29] op_sel:[0,0,1] op_sel_hi:[1,1,0] neg_lo:[0,0,1] neg_hi:[0,0,1]
	v_pk_mul_f32 v[40:41], v[10:11], v[2:3] op_sel:[0,1]
	v_pk_add_f32 v[140:141], v[140:141], v[4:5] neg_lo:[0,1] neg_hi:[0,1]
	v_pk_fma_f32 v[18:19], v[18:19], v[98:99], v[26:27] op_sel_hi:[1,1,0]
	v_mov_b32_e32 v9, v39
	s_wait_dscnt 0x0
	v_pk_mul_f32 v[38:39], v[14:15], v[2:3] op_sel:[0,1]
	ds_load_2addr_b64 v[24:27], v80 offset0:39 offset1:40
	v_pk_mul_f32 v[28:29], v[12:13], v[2:3] op_sel:[0,1]
	v_pk_add_f32 v[138:139], v[138:139], v[8:9] neg_lo:[0,1] neg_hi:[0,1]
	v_pk_fma_f32 v[8:9], v[14:15], v[0:1], v[38:39] op_sel:[0,0,1] op_sel_hi:[1,0,0]
	v_mul_f32_e32 v4, v7, v3
	v_pk_fma_f32 v[14:15], v[14:15], v[0:1], v[38:39] op_sel:[0,0,1] op_sel_hi:[1,1,0] neg_lo:[0,0,1] neg_hi:[0,0,1]
	s_delay_alu instid0(VALU_DEP_3) | instskip(NEXT) | instid1(VALU_DEP_3)
	v_mov_b32_e32 v15, v9
	v_pk_fma_f32 v[42:43], v[6:7], v[98:99], v[4:5] op_sel_hi:[1,1,0] neg_lo:[0,0,1] neg_hi:[0,0,1]
	v_mov_b32_e32 v43, v19
	v_pk_fma_f32 v[18:19], v[10:11], v[0:1], v[40:41] op_sel:[0,0,1] op_sel_hi:[1,0,0]
	ds_load_2addr_b64 v[4:7], v80 offset0:41 offset1:42
	v_pk_fma_f32 v[10:11], v[10:11], v[0:1], v[40:41] op_sel:[0,0,1] op_sel_hi:[1,1,0] neg_lo:[0,0,1] neg_hi:[0,0,1]
	v_pk_add_f32 v[164:165], v[164:165], v[14:15] neg_lo:[0,1] neg_hi:[0,1]
	v_mov_b32_e32 v11, v19
	v_pk_fma_f32 v[18:19], v[12:13], v[0:1], v[28:29] op_sel:[0,0,1] op_sel_hi:[1,0,0]
	v_pk_fma_f32 v[12:13], v[12:13], v[0:1], v[28:29] op_sel:[0,0,1] op_sel_hi:[1,1,0] neg_lo:[0,0,1] neg_hi:[0,0,1]
	s_wait_dscnt 0x1
	v_mul_f32_e32 v18, v25, v0
	v_pk_mul_f32 v[28:29], v[26:27], v[2:3] op_sel:[0,1]
	v_pk_add_f32 v[166:167], v[166:167], v[10:11] neg_lo:[0,1] neg_hi:[0,1]
	v_mov_b32_e32 v13, v19
	ds_load_2addr_b64 v[8:11], v80 offset0:43 offset1:44
	v_pk_add_f32 v[142:143], v[142:143], v[42:43] neg_lo:[0,1] neg_hi:[0,1]
	v_pk_fma_f32 v[40:41], v[26:27], v[0:1], v[28:29] op_sel:[0,0,1] op_sel_hi:[1,0,0]
	v_pk_fma_f32 v[26:27], v[26:27], v[0:1], v[28:29] op_sel:[0,0,1] op_sel_hi:[1,1,0] neg_lo:[0,0,1] neg_hi:[0,0,1]
	v_pk_add_f32 v[162:163], v[162:163], v[12:13] neg_lo:[0,1] neg_hi:[0,1]
	v_mul_f32_e32 v12, v25, v3
	v_pk_fma_f32 v[18:19], v[24:25], v[98:99], v[18:19] op_sel:[1,0,0] op_sel_hi:[0,1,0]
	v_mov_b32_e32 v27, v41
	s_wait_dscnt 0x1
	v_pk_mul_f32 v[38:39], v[4:5], v[2:3] op_sel:[0,1]
	v_pk_fma_f32 v[24:25], v[24:25], v[98:99], v[12:13] op_sel_hi:[1,1,0] neg_lo:[0,0,1] neg_hi:[0,0,1]
	ds_load_2addr_b64 v[12:15], v80 offset0:45 offset1:46
	v_mov_b32_e32 v25, v19
	v_pk_mul_f32 v[28:29], v[6:7], v[2:3] op_sel:[0,1]
	v_pk_fma_f32 v[18:19], v[4:5], v[0:1], v[38:39] op_sel:[0,0,1] op_sel_hi:[1,0,0]
	v_pk_add_f32 v[192:193], v[192:193], v[26:27] neg_lo:[0,1] neg_hi:[0,1]
	v_pk_fma_f32 v[4:5], v[4:5], v[0:1], v[38:39] op_sel:[0,0,1] op_sel_hi:[1,1,0] neg_lo:[0,0,1] neg_hi:[0,0,1]
	v_pk_add_f32 v[160:161], v[160:161], v[24:25] neg_lo:[0,1] neg_hi:[0,1]
	ds_load_2addr_b64 v[24:27], v80 offset0:47 offset1:48
	v_mov_b32_e32 v5, v19
	v_pk_fma_f32 v[18:19], v[6:7], v[0:1], v[28:29] op_sel:[0,0,1] op_sel_hi:[1,0,0]
	s_wait_dscnt 0x2
	v_pk_mul_f32 v[38:39], v[8:9], v[2:3] op_sel:[0,1]
	v_mov_b32_e32 v18, v11
	v_pk_add_f32 v[184:185], v[184:185], v[4:5] neg_lo:[0,1] neg_hi:[0,1]
	v_pk_fma_f32 v[4:5], v[6:7], v[0:1], v[28:29] op_sel:[0,0,1] op_sel_hi:[1,1,0] neg_lo:[0,0,1] neg_hi:[0,0,1]
	v_dual_mov_b32 v5, v19 :: v_dual_mov_b32 v19, v10
	v_pk_fma_f32 v[6:7], v[8:9], v[0:1], v[38:39] op_sel:[0,0,1] op_sel_hi:[1,0,0]
	v_mul_f32_e32 v6, v11, v0
	v_pk_fma_f32 v[8:9], v[8:9], v[0:1], v[38:39] op_sel:[0,0,1] op_sel_hi:[1,1,0] neg_lo:[0,0,1] neg_hi:[0,0,1]
	s_wait_dscnt 0x1
	v_pk_mul_f32 v[28:29], v[12:13], v[2:3] op_sel:[0,1]
	v_mul_f32_e32 v38, v11, v3
	v_pk_add_f32 v[190:191], v[190:191], v[4:5] neg_lo:[0,1] neg_hi:[0,1]
	s_delay_alu instid0(VALU_DEP_3) | instskip(SKIP_2) | instid1(VALU_DEP_2)
	v_pk_fma_f32 v[4:5], v[12:13], v[0:1], v[28:29] op_sel:[0,0,1] op_sel_hi:[1,0,0]
	v_mov_b32_e32 v9, v7
	v_pk_fma_f32 v[6:7], v[18:19], v[98:99], v[6:7] op_sel_hi:[1,1,0]
	v_pk_add_f32 v[182:183], v[182:183], v[8:9] neg_lo:[0,1] neg_hi:[0,1]
	v_pk_fma_f32 v[8:9], v[10:11], v[98:99], v[38:39] op_sel_hi:[1,1,0] neg_lo:[0,0,1] neg_hi:[0,0,1]
	s_delay_alu instid0(VALU_DEP_3)
	v_mov_b32_e32 v9, v7
	v_pk_fma_f32 v[6:7], v[12:13], v[0:1], v[28:29] op_sel:[0,0,1] op_sel_hi:[1,1,0] neg_lo:[0,0,1] neg_hi:[0,0,1]
	v_mov_b32_e32 v7, v5
	v_pk_mul_f32 v[4:5], v[14:15], v[2:3] op_sel:[0,1]
	s_wait_dscnt 0x0
	v_pk_mul_f32 v[10:11], v[24:25], v[2:3] op_sel:[0,1]
	v_dual_mov_b32 v12, v27 :: v_dual_mov_b32 v13, v26
	v_mul_f32_e32 v2, v27, v0
	v_pk_fma_f32 v[18:19], v[14:15], v[0:1], v[4:5] op_sel:[0,0,1] op_sel_hi:[1,0,0]
	v_pk_fma_f32 v[4:5], v[14:15], v[0:1], v[4:5] op_sel:[0,0,1] op_sel_hi:[1,1,0] neg_lo:[0,0,1] neg_hi:[0,0,1]
	v_pk_fma_f32 v[14:15], v[24:25], v[0:1], v[10:11] op_sel:[0,0,1] op_sel_hi:[1,0,0]
	v_mul_f32_e32 v14, v27, v3
	v_pk_fma_f32 v[2:3], v[12:13], v[98:99], v[2:3] op_sel_hi:[1,1,0]
	v_pk_fma_f32 v[0:1], v[24:25], v[0:1], v[10:11] op_sel:[0,0,1] op_sel_hi:[1,1,0] neg_lo:[0,0,1] neg_hi:[0,0,1]
	s_delay_alu instid0(VALU_DEP_4) | instskip(NEXT) | instid1(VALU_DEP_4)
	v_dual_mov_b32 v5, v19 :: v_dual_mov_b32 v1, v15
	v_pk_fma_f32 v[10:11], v[26:27], v[98:99], v[14:15] op_sel_hi:[1,1,0] neg_lo:[0,0,1] neg_hi:[0,0,1]
	s_delay_alu instid0(VALU_DEP_4)
	v_mov_b32_e32 v11, v3
	v_pk_add_f32 v[188:189], v[188:189], v[8:9] neg_lo:[0,1] neg_hi:[0,1]
	v_pk_add_f32 v[180:181], v[180:181], v[6:7] neg_lo:[0,1] neg_hi:[0,1]
	;; [unrolled: 1-line block ×5, first 2 shown]
.LBB97_10:
	s_or_b32 exec_lo, exec_lo, s2
	s_delay_alu instid0(SALU_CYCLE_1)
	s_mov_b32 s2, exec_lo
	s_wait_dscnt 0x0
	s_barrier_signal -1
	s_barrier_wait -1
	v_cmpx_eq_u32_e32 1, v78
	s_cbranch_execz .LBB97_17
; %bb.11:
	v_dual_mov_b32 v0, v64 :: v_dual_mov_b32 v1, v65
	v_dual_mov_b32 v2, v86 :: v_dual_mov_b32 v3, v87
	;; [unrolled: 1-line block ×10, first 2 shown]
	ds_store_b64 v79, v[68:69]
	v_dual_mov_b32 v26, v52 :: v_dual_mov_b32 v27, v53
	v_dual_mov_b32 v28, v48 :: v_dual_mov_b32 v29, v49
	ds_store_2addr_b64 v80, v[0:1], v[2:3] offset0:2 offset1:3
	ds_store_2addr_b64 v80, v[4:5], v[6:7] offset0:4 offset1:5
	ds_store_2addr_b64 v80, v[8:9], v[10:11] offset0:6 offset1:7
	ds_store_2addr_b64 v80, v[12:13], v[14:15] offset0:8 offset1:9
	ds_store_2addr_b64 v80, v[18:19], v[24:25] offset0:10 offset1:11
	ds_store_2addr_b64 v80, v[26:27], v[28:29] offset0:12 offset1:13
	v_dual_mov_b32 v0, v50 :: v_dual_mov_b32 v1, v51
	v_dual_mov_b32 v2, v46 :: v_dual_mov_b32 v3, v47
	v_dual_mov_b32 v4, v76 :: v_dual_mov_b32 v5, v77
	v_dual_mov_b32 v6, v72 :: v_dual_mov_b32 v7, v73
	v_dual_mov_b32 v8, v74 :: v_dual_mov_b32 v9, v75
	v_dual_mov_b32 v10, v70 :: v_dual_mov_b32 v11, v71
	v_dual_mov_b32 v12, v94 :: v_dual_mov_b32 v13, v95
	v_dual_mov_b32 v14, v90 :: v_dual_mov_b32 v15, v91
	v_dual_mov_b32 v18, v92 :: v_dual_mov_b32 v19, v93
	v_dual_mov_b32 v24, v88 :: v_dual_mov_b32 v25, v89
	v_dual_mov_b32 v26, v112 :: v_dual_mov_b32 v27, v113
	v_dual_mov_b32 v28, v108 :: v_dual_mov_b32 v29, v109
	ds_store_2addr_b64 v80, v[0:1], v[2:3] offset0:14 offset1:15
	ds_store_2addr_b64 v80, v[4:5], v[6:7] offset0:16 offset1:17
	ds_store_2addr_b64 v80, v[8:9], v[10:11] offset0:18 offset1:19
	ds_store_2addr_b64 v80, v[12:13], v[14:15] offset0:20 offset1:21
	ds_store_2addr_b64 v80, v[18:19], v[24:25] offset0:22 offset1:23
	ds_store_2addr_b64 v80, v[26:27], v[28:29] offset0:24 offset1:25
	v_dual_mov_b32 v0, v110 :: v_dual_mov_b32 v1, v111
	v_dual_mov_b32 v2, v106 :: v_dual_mov_b32 v3, v107
	v_dual_mov_b32 v4, v128 :: v_dual_mov_b32 v5, v129
	v_dual_mov_b32 v6, v124 :: v_dual_mov_b32 v7, v125
	v_dual_mov_b32 v8, v126 :: v_dual_mov_b32 v9, v127
	v_dual_mov_b32 v10, v122 :: v_dual_mov_b32 v11, v123
	v_dual_mov_b32 v12, v144 :: v_dual_mov_b32 v13, v145
	v_dual_mov_b32 v14, v140 :: v_dual_mov_b32 v15, v141
	v_dual_mov_b32 v18, v142 :: v_dual_mov_b32 v19, v143
	v_dual_mov_b32 v24, v138 :: v_dual_mov_b32 v25, v139
	;; [unrolled: 18-line block ×3, first 2 shown]
	ds_store_2addr_b64 v80, v[0:1], v[2:3] offset0:38 offset1:39
	ds_store_2addr_b64 v80, v[4:5], v[6:7] offset0:40 offset1:41
	;; [unrolled: 1-line block ×5, first 2 shown]
	ds_store_b64 v80, v[196:197] offset:384
	ds_load_b64 v[0:1], v79
	s_wait_dscnt 0x0
	v_cmp_neq_f32_e32 vcc_lo, 0, v0
	v_cmp_neq_f32_e64 s1, 0, v1
	s_or_b32 s1, vcc_lo, s1
	s_delay_alu instid0(SALU_CYCLE_1)
	s_and_b32 exec_lo, exec_lo, s1
	s_cbranch_execz .LBB97_17
; %bb.12:
	v_cmp_ngt_f32_e64 s1, |v0|, |v1|
                                        ; implicit-def: $vgpr2_vgpr3
	s_and_saveexec_b32 s4, s1
	s_delay_alu instid0(SALU_CYCLE_1)
	s_xor_b32 s1, exec_lo, s4
	s_cbranch_execz .LBB97_14
; %bb.13:
	v_div_scale_f32 v2, null, v1, v1, v0
	v_div_scale_f32 v5, vcc_lo, v0, v1, v0
	s_delay_alu instid0(VALU_DEP_2) | instskip(SKIP_1) | instid1(TRANS32_DEP_1)
	v_rcp_f32_e32 v3, v2
	v_nop
	v_fma_f32 v4, -v2, v3, 1.0
	s_delay_alu instid0(VALU_DEP_1) | instskip(NEXT) | instid1(VALU_DEP_1)
	v_fmac_f32_e32 v3, v4, v3
	v_mul_f32_e32 v4, v5, v3
	s_delay_alu instid0(VALU_DEP_1) | instskip(NEXT) | instid1(VALU_DEP_1)
	v_fma_f32 v6, -v2, v4, v5
	v_fmac_f32_e32 v4, v6, v3
	s_delay_alu instid0(VALU_DEP_1) | instskip(NEXT) | instid1(VALU_DEP_1)
	v_fma_f32 v2, -v2, v4, v5
	v_div_fmas_f32 v2, v2, v3, v4
	s_delay_alu instid0(VALU_DEP_1) | instskip(NEXT) | instid1(VALU_DEP_1)
	v_div_fixup_f32 v2, v2, v1, v0
	v_fmac_f32_e32 v1, v0, v2
	s_delay_alu instid0(VALU_DEP_1) | instskip(SKIP_1) | instid1(VALU_DEP_2)
	v_div_scale_f32 v0, null, v1, v1, 1.0
	v_div_scale_f32 v5, vcc_lo, 1.0, v1, 1.0
	v_rcp_f32_e32 v3, v0
	v_nop
	s_delay_alu instid0(TRANS32_DEP_1) | instskip(NEXT) | instid1(VALU_DEP_1)
	v_fma_f32 v4, -v0, v3, 1.0
	v_fmac_f32_e32 v3, v4, v3
	s_delay_alu instid0(VALU_DEP_1) | instskip(NEXT) | instid1(VALU_DEP_1)
	v_mul_f32_e32 v4, v5, v3
	v_fma_f32 v6, -v0, v4, v5
	s_delay_alu instid0(VALU_DEP_1) | instskip(NEXT) | instid1(VALU_DEP_1)
	v_fmac_f32_e32 v4, v6, v3
	v_fma_f32 v0, -v0, v4, v5
	s_delay_alu instid0(VALU_DEP_1) | instskip(NEXT) | instid1(VALU_DEP_1)
	v_div_fmas_f32 v0, v0, v3, v4
	v_div_fixup_f32 v0, v0, v1, 1.0
	s_delay_alu instid0(VALU_DEP_1)
	v_mul_f32_e32 v2, v2, v0
	v_xor_b32_e32 v3, 0x80000000, v0
                                        ; implicit-def: $vgpr0_vgpr1
.LBB97_14:
	s_and_not1_saveexec_b32 s1, s1
	s_cbranch_execz .LBB97_16
; %bb.15:
	v_div_scale_f32 v2, null, v0, v0, v1
	v_div_scale_f32 v5, vcc_lo, v1, v0, v1
	s_delay_alu instid0(VALU_DEP_2) | instskip(SKIP_1) | instid1(TRANS32_DEP_1)
	v_rcp_f32_e32 v3, v2
	v_nop
	v_fma_f32 v4, -v2, v3, 1.0
	s_delay_alu instid0(VALU_DEP_1) | instskip(NEXT) | instid1(VALU_DEP_1)
	v_fmac_f32_e32 v3, v4, v3
	v_mul_f32_e32 v4, v5, v3
	s_delay_alu instid0(VALU_DEP_1) | instskip(NEXT) | instid1(VALU_DEP_1)
	v_fma_f32 v6, -v2, v4, v5
	v_fmac_f32_e32 v4, v6, v3
	s_delay_alu instid0(VALU_DEP_1) | instskip(NEXT) | instid1(VALU_DEP_1)
	v_fma_f32 v2, -v2, v4, v5
	v_div_fmas_f32 v2, v2, v3, v4
	s_delay_alu instid0(VALU_DEP_1) | instskip(NEXT) | instid1(VALU_DEP_1)
	v_div_fixup_f32 v3, v2, v0, v1
	v_fmac_f32_e32 v0, v1, v3
	s_delay_alu instid0(VALU_DEP_1) | instskip(NEXT) | instid1(VALU_DEP_1)
	v_div_scale_f32 v1, null, v0, v0, 1.0
	v_rcp_f32_e32 v2, v1
	v_nop
	s_delay_alu instid0(TRANS32_DEP_1) | instskip(NEXT) | instid1(VALU_DEP_1)
	v_fma_f32 v4, -v1, v2, 1.0
	v_fmac_f32_e32 v2, v4, v2
	v_div_scale_f32 v4, vcc_lo, 1.0, v0, 1.0
	s_delay_alu instid0(VALU_DEP_1) | instskip(NEXT) | instid1(VALU_DEP_1)
	v_mul_f32_e32 v5, v4, v2
	v_fma_f32 v6, -v1, v5, v4
	s_delay_alu instid0(VALU_DEP_1) | instskip(NEXT) | instid1(VALU_DEP_1)
	v_fmac_f32_e32 v5, v6, v2
	v_fma_f32 v1, -v1, v5, v4
	s_delay_alu instid0(VALU_DEP_1) | instskip(NEXT) | instid1(VALU_DEP_1)
	v_div_fmas_f32 v1, v1, v2, v5
	v_div_fixup_f32 v2, v1, v0, 1.0
	s_delay_alu instid0(VALU_DEP_1)
	v_mul_f32_e64 v3, v3, -v2
.LBB97_16:
	s_or_b32 exec_lo, exec_lo, s1
	ds_store_b64 v79, v[2:3]
.LBB97_17:
	s_or_b32 exec_lo, exec_lo, s2
	s_wait_dscnt 0x0
	s_barrier_signal -1
	s_barrier_wait -1
	ds_load_b64 v[250:251], v79
	s_mov_b32 s1, exec_lo
	v_cmpx_lt_u32_e32 1, v78
	s_cbranch_execz .LBB97_19
; %bb.18:
	ds_load_2addr_b64 v[4:7], v80 offset0:2 offset1:3
	ds_load_2addr_b64 v[8:11], v80 offset0:4 offset1:5
	;; [unrolled: 1-line block ×3, first 2 shown]
	s_wait_dscnt 0x3
	v_pk_mul_f32 v[2:3], v[250:251], v[68:69] op_sel:[1,1] op_sel_hi:[0,1]
	ds_load_2addr_b64 v[24:27], v80 offset0:8 offset1:9
	ds_load_2addr_b64 v[38:41], v80 offset0:10 offset1:11
	v_pk_fma_f32 v[0:1], v[250:251], v[68:69], v[2:3] op_sel_hi:[1,0,1] neg_lo:[0,0,1] neg_hi:[0,0,1]
	v_pk_fma_f32 v[2:3], v[250:251], v[68:69], v[2:3] op_sel_hi:[1,0,1]
	s_delay_alu instid0(VALU_DEP_1) | instskip(SKIP_1) | instid1(VALU_DEP_2)
	v_dual_mov_b32 v68, v0 :: v_dual_mov_b32 v69, v3
	s_wait_dscnt 0x4
	v_pk_mul_f32 v[18:19], v[4:5], v[2:3] op_sel:[0,1]
	v_pk_mul_f32 v[28:29], v[6:7], v[2:3] op_sel:[0,1]
	s_wait_dscnt 0x3
	v_pk_mul_f32 v[42:43], v[8:9], v[2:3] op_sel:[0,1]
	v_dual_mov_b32 v44, v11 :: v_dual_mov_b32 v45, v10
	v_pk_fma_f32 v[84:85], v[4:5], v[0:1], v[18:19] op_sel:[0,0,1] op_sel_hi:[1,1,0] neg_lo:[0,0,1] neg_hi:[0,0,1]
	v_pk_fma_f32 v[4:5], v[4:5], v[0:1], v[18:19] op_sel:[0,0,1] op_sel_hi:[1,0,0]
	v_pk_fma_f32 v[18:19], v[6:7], v[0:1], v[28:29] op_sel:[0,0,1] op_sel_hi:[1,1,0] neg_lo:[0,0,1] neg_hi:[0,0,1]
	v_pk_fma_f32 v[6:7], v[6:7], v[0:1], v[28:29] op_sel:[0,0,1] op_sel_hi:[1,0,0]
	v_dual_mul_f32 v54, v11, v3 :: v_dual_mul_f32 v56, v11, v0
	s_wait_dscnt 0x2
	v_pk_mul_f32 v[58:59], v[12:13], v[2:3] op_sel:[0,1]
	v_pk_mul_f32 v[60:61], v[14:15], v[2:3] op_sel:[0,1]
	v_pk_fma_f32 v[28:29], v[8:9], v[0:1], v[42:43] op_sel:[0,0,1] op_sel_hi:[1,1,0] neg_lo:[0,0,1] neg_hi:[0,0,1]
	v_pk_fma_f32 v[8:9], v[8:9], v[0:1], v[42:43] op_sel:[0,0,1] op_sel_hi:[1,0,0]
	s_wait_dscnt 0x1
	v_pk_mul_f32 v[82:83], v[24:25], v[2:3] op_sel:[0,1]
	v_dual_mov_b32 v85, v5 :: v_dual_mov_b32 v19, v7
	v_pk_fma_f32 v[42:43], v[44:45], v[68:69], v[56:57] op_sel_hi:[1,1,0]
	v_mov_b32_e32 v29, v9
	v_pk_fma_f32 v[4:5], v[12:13], v[0:1], v[58:59] op_sel:[0,0,1] op_sel_hi:[1,0,0]
	v_pk_fma_f32 v[8:9], v[12:13], v[0:1], v[58:59] op_sel:[0,0,1] op_sel_hi:[1,1,0] neg_lo:[0,0,1] neg_hi:[0,0,1]
	v_pk_fma_f32 v[12:13], v[14:15], v[0:1], v[60:61] op_sel:[0,0,1] op_sel_hi:[1,0,0]
	v_pk_add_f32 v[86:87], v[86:87], v[18:19] neg_lo:[0,1] neg_hi:[0,1]
	v_pk_fma_f32 v[18:19], v[24:25], v[0:1], v[82:83] op_sel:[0,0,1] op_sel_hi:[1,0,0]
	v_pk_fma_f32 v[14:15], v[14:15], v[0:1], v[60:61] op_sel:[0,0,1] op_sel_hi:[1,1,0] neg_lo:[0,0,1] neg_hi:[0,0,1]
	s_delay_alu instid0(VALU_DEP_4) | instskip(SKIP_1) | instid1(VALU_DEP_4)
	v_dual_mov_b32 v9, v5 :: v_dual_mov_b32 v15, v13
	v_pk_fma_f32 v[12:13], v[24:25], v[0:1], v[82:83] op_sel:[0,0,1] op_sel_hi:[1,1,0] neg_lo:[0,0,1] neg_hi:[0,0,1]
	v_mov_b32_e32 v13, v19
	v_pk_mul_f32 v[18:19], v[26:27], v[2:3] op_sel:[0,1]
	ds_load_2addr_b64 v[4:7], v80 offset0:12 offset1:13
	v_pk_add_f32 v[20:21], v[20:21], v[14:15] neg_lo:[0,1] neg_hi:[0,1]
	v_pk_fma_f32 v[10:11], v[10:11], v[68:69], v[54:55] op_sel_hi:[1,1,0] neg_lo:[0,0,1] neg_hi:[0,0,1]
	v_mov_b32_e32 v11, v43
	v_pk_fma_f32 v[14:15], v[26:27], v[0:1], v[18:19] op_sel:[0,0,1] op_sel_hi:[1,0,0]
	v_pk_fma_f32 v[18:19], v[26:27], v[0:1], v[18:19] op_sel:[0,0,1] op_sel_hi:[1,1,0] neg_lo:[0,0,1] neg_hi:[0,0,1]
	s_wait_dscnt 0x1
	v_pk_mul_f32 v[24:25], v[40:41], v[2:3] op_sel:[0,1]
	v_pk_add_f32 v[22:23], v[22:23], v[8:9] neg_lo:[0,1] neg_hi:[0,1]
	v_pk_add_f32 v[62:63], v[62:63], v[10:11] neg_lo:[0,1] neg_hi:[0,1]
	v_mov_b32_e32 v19, v15
	v_pk_add_f32 v[36:37], v[36:37], v[12:13] neg_lo:[0,1] neg_hi:[0,1]
	v_dual_mul_f32 v12, v39, v0 :: v_dual_mul_f32 v14, v39, v3
	ds_load_2addr_b64 v[8:11], v80 offset0:14 offset1:15
	v_pk_fma_f32 v[26:27], v[40:41], v[0:1], v[24:25] op_sel:[0,0,1] op_sel_hi:[1,0,0]
	v_pk_add_f32 v[66:67], v[66:67], v[28:29] neg_lo:[0,1] neg_hi:[0,1]
	v_pk_fma_f32 v[12:13], v[38:39], v[68:69], v[12:13] op_sel:[1,0,0] op_sel_hi:[0,1,0]
	v_pk_fma_f32 v[14:15], v[38:39], v[68:69], v[14:15] op_sel_hi:[1,1,0] neg_lo:[0,0,1] neg_hi:[0,0,1]
	v_pk_add_f32 v[32:33], v[32:33], v[18:19] neg_lo:[0,1] neg_hi:[0,1]
	v_pk_add_f32 v[64:65], v[64:65], v[84:85] neg_lo:[0,1] neg_hi:[0,1]
	s_wait_dscnt 0x1
	v_pk_mul_f32 v[28:29], v[4:5], v[2:3] op_sel:[0,1]
	v_mov_b32_e32 v15, v13
	v_pk_fma_f32 v[12:13], v[40:41], v[0:1], v[24:25] op_sel:[0,0,1] op_sel_hi:[1,1,0] neg_lo:[0,0,1] neg_hi:[0,0,1]
	v_mov_b32_e32 v13, v27
	v_pk_mul_f32 v[24:25], v[6:7], v[2:3] op_sel:[0,1]
	v_pk_fma_f32 v[18:19], v[4:5], v[0:1], v[28:29] op_sel:[0,0,1] op_sel_hi:[1,0,0]
	v_pk_add_f32 v[34:35], v[34:35], v[14:15] neg_lo:[0,1] neg_hi:[0,1]
	v_pk_fma_f32 v[26:27], v[4:5], v[0:1], v[28:29] op_sel:[0,0,1] op_sel_hi:[1,1,0] neg_lo:[0,0,1] neg_hi:[0,0,1]
	v_pk_add_f32 v[30:31], v[30:31], v[12:13] neg_lo:[0,1] neg_hi:[0,1]
	ds_load_2addr_b64 v[12:15], v80 offset0:16 offset1:17
	v_mov_b32_e32 v27, v19
	v_pk_fma_f32 v[18:19], v[6:7], v[0:1], v[24:25] op_sel:[0,0,1] op_sel_hi:[1,1,0] neg_lo:[0,0,1] neg_hi:[0,0,1]
	v_pk_fma_f32 v[24:25], v[6:7], v[0:1], v[24:25] op_sel:[0,0,1] op_sel_hi:[1,0,0]
	ds_load_2addr_b64 v[4:7], v80 offset0:18 offset1:19
	s_wait_dscnt 0x2
	v_pk_mul_f32 v[28:29], v[8:9], v[2:3] op_sel:[0,1]
	v_dual_mov_b32 v38, v11 :: v_dual_mov_b32 v39, v10
	v_dual_mul_f32 v24, v11, v0 :: v_dual_mov_b32 v19, v25
	v_pk_add_f32 v[52:53], v[52:53], v[26:27] neg_lo:[0,1] neg_hi:[0,1]
	s_delay_alu instid0(VALU_DEP_4) | instskip(SKIP_1) | instid1(VALU_DEP_4)
	v_pk_fma_f32 v[26:27], v[8:9], v[0:1], v[28:29] op_sel:[0,0,1] op_sel_hi:[1,0,0]
	v_mul_f32_e32 v26, v11, v3
	v_pk_fma_f32 v[24:25], v[38:39], v[68:69], v[24:25] op_sel_hi:[1,1,0]
	v_pk_add_f32 v[48:49], v[48:49], v[18:19] neg_lo:[0,1] neg_hi:[0,1]
	v_pk_fma_f32 v[18:19], v[8:9], v[0:1], v[28:29] op_sel:[0,0,1] op_sel_hi:[1,1,0] neg_lo:[0,0,1] neg_hi:[0,0,1]
	v_mov_b32_e32 v19, v27
	v_pk_fma_f32 v[26:27], v[10:11], v[68:69], v[26:27] op_sel_hi:[1,1,0] neg_lo:[0,0,1] neg_hi:[0,0,1]
	v_mov_b32_e32 v27, v25
	ds_load_2addr_b64 v[8:11], v80 offset0:20 offset1:21
	s_wait_dscnt 0x2
	v_pk_mul_f32 v[28:29], v[12:13], v[2:3] op_sel:[0,1]
	v_pk_mul_f32 v[38:39], v[14:15], v[2:3] op_sel:[0,1]
	v_pk_add_f32 v[50:51], v[50:51], v[18:19] neg_lo:[0,1] neg_hi:[0,1]
	v_pk_add_f32 v[46:47], v[46:47], v[26:27] neg_lo:[0,1] neg_hi:[0,1]
	s_wait_dscnt 0x1
	v_pk_mul_f32 v[40:41], v[4:5], v[2:3] op_sel:[0,1]
	v_pk_fma_f32 v[18:19], v[12:13], v[0:1], v[28:29] op_sel:[0,0,1] op_sel_hi:[1,0,0]
	v_pk_fma_f32 v[42:43], v[14:15], v[0:1], v[38:39] op_sel:[0,0,1] op_sel_hi:[1,0,0]
	ds_load_2addr_b64 v[24:27], v80 offset0:22 offset1:23
	v_pk_fma_f32 v[12:13], v[12:13], v[0:1], v[28:29] op_sel:[0,0,1] op_sel_hi:[1,1,0] neg_lo:[0,0,1] neg_hi:[0,0,1]
	v_pk_fma_f32 v[14:15], v[14:15], v[0:1], v[38:39] op_sel:[0,0,1] op_sel_hi:[1,1,0] neg_lo:[0,0,1] neg_hi:[0,0,1]
	v_dual_mov_b32 v13, v19 :: v_dual_mov_b32 v15, v43
	v_pk_fma_f32 v[18:19], v[4:5], v[0:1], v[40:41] op_sel:[0,0,1] op_sel_hi:[1,0,0]
	v_pk_mul_f32 v[28:29], v[6:7], v[2:3] op_sel:[0,1]
	v_pk_fma_f32 v[4:5], v[4:5], v[0:1], v[40:41] op_sel:[0,0,1] op_sel_hi:[1,1,0] neg_lo:[0,0,1] neg_hi:[0,0,1]
	s_delay_alu instid0(VALU_DEP_4)
	v_pk_add_f32 v[76:77], v[76:77], v[12:13] neg_lo:[0,1] neg_hi:[0,1]
	v_pk_add_f32 v[72:73], v[72:73], v[14:15] neg_lo:[0,1] neg_hi:[0,1]
	v_mov_b32_e32 v5, v19
	v_pk_fma_f32 v[18:19], v[6:7], v[0:1], v[28:29] op_sel:[0,0,1] op_sel_hi:[1,0,0]
	ds_load_2addr_b64 v[12:15], v80 offset0:24 offset1:25
	v_pk_fma_f32 v[6:7], v[6:7], v[0:1], v[28:29] op_sel:[0,0,1] op_sel_hi:[1,1,0] neg_lo:[0,0,1] neg_hi:[0,0,1]
	s_wait_dscnt 0x2
	v_mul_f32_e32 v18, v9, v3
	v_pk_add_f32 v[74:75], v[74:75], v[4:5] neg_lo:[0,1] neg_hi:[0,1]
	v_dual_mul_f32 v4, v9, v0 :: v_dual_mov_b32 v7, v19
	v_pk_mul_f32 v[28:29], v[10:11], v[2:3] op_sel:[0,1]
	s_wait_dscnt 0x1
	v_pk_mul_f32 v[38:39], v[24:25], v[2:3] op_sel:[0,1]
	s_delay_alu instid0(VALU_DEP_3)
	v_pk_fma_f32 v[4:5], v[8:9], v[68:69], v[4:5] op_sel:[1,0,0] op_sel_hi:[0,1,0]
	v_pk_fma_f32 v[8:9], v[8:9], v[68:69], v[18:19] op_sel_hi:[1,1,0] neg_lo:[0,0,1] neg_hi:[0,0,1]
	v_pk_fma_f32 v[18:19], v[10:11], v[0:1], v[28:29] op_sel:[0,0,1] op_sel_hi:[1,0,0]
	v_pk_fma_f32 v[10:11], v[10:11], v[0:1], v[28:29] op_sel:[0,0,1] op_sel_hi:[1,1,0] neg_lo:[0,0,1] neg_hi:[0,0,1]
	v_pk_fma_f32 v[40:41], v[24:25], v[0:1], v[38:39] op_sel:[0,0,1] op_sel_hi:[1,0,0]
	v_mov_b32_e32 v9, v5
	v_pk_add_f32 v[70:71], v[70:71], v[6:7] neg_lo:[0,1] neg_hi:[0,1]
	v_mov_b32_e32 v11, v19
	v_pk_fma_f32 v[18:19], v[24:25], v[0:1], v[38:39] op_sel:[0,0,1] op_sel_hi:[1,1,0] neg_lo:[0,0,1] neg_hi:[0,0,1]
	v_pk_mul_f32 v[24:25], v[26:27], v[2:3] op_sel:[0,1]
	ds_load_2addr_b64 v[4:7], v80 offset0:26 offset1:27
	s_wait_dscnt 0x1
	v_pk_mul_f32 v[28:29], v[12:13], v[2:3] op_sel:[0,1]
	v_pk_add_f32 v[94:95], v[94:95], v[8:9] neg_lo:[0,1] neg_hi:[0,1]
	v_pk_add_f32 v[90:91], v[90:91], v[10:11] neg_lo:[0,1] neg_hi:[0,1]
	v_pk_fma_f32 v[38:39], v[26:27], v[0:1], v[24:25] op_sel:[0,0,1] op_sel_hi:[1,0,0]
	v_mov_b32_e32 v19, v41
	v_pk_fma_f32 v[24:25], v[26:27], v[0:1], v[24:25] op_sel:[0,0,1] op_sel_hi:[1,1,0] neg_lo:[0,0,1] neg_hi:[0,0,1]
	ds_load_2addr_b64 v[8:11], v80 offset0:28 offset1:29
	v_mul_f32_e32 v26, v15, v0
	v_mov_b32_e32 v25, v39
	v_pk_add_f32 v[92:93], v[92:93], v[18:19] neg_lo:[0,1] neg_hi:[0,1]
	v_pk_fma_f32 v[18:19], v[12:13], v[0:1], v[28:29] op_sel:[0,0,1] op_sel_hi:[1,0,0]
	v_pk_fma_f32 v[12:13], v[12:13], v[0:1], v[28:29] op_sel:[0,0,1] op_sel_hi:[1,1,0] neg_lo:[0,0,1] neg_hi:[0,0,1]
	v_mov_b32_e32 v18, v15
	v_pk_add_f32 v[88:89], v[88:89], v[24:25] neg_lo:[0,1] neg_hi:[0,1]
	s_delay_alu instid0(VALU_DEP_4) | instskip(SKIP_2) | instid1(VALU_DEP_2)
	v_dual_mov_b32 v13, v19 :: v_dual_mov_b32 v19, v14
	s_wait_dscnt 0x1
	v_pk_mul_f32 v[28:29], v[4:5], v[2:3] op_sel:[0,1]
	v_pk_add_f32 v[112:113], v[112:113], v[12:13] neg_lo:[0,1] neg_hi:[0,1]
	s_delay_alu instid0(VALU_DEP_3)
	v_pk_fma_f32 v[18:19], v[18:19], v[68:69], v[26:27] op_sel_hi:[1,1,0]
	ds_load_2addr_b64 v[24:27], v80 offset0:30 offset1:31
	v_mul_f32_e32 v12, v15, v3
	v_pk_mul_f32 v[40:41], v[6:7], v[2:3] op_sel:[0,1]
	v_pk_fma_f32 v[38:39], v[4:5], v[0:1], v[28:29] op_sel:[0,0,1] op_sel_hi:[1,0,0]
	v_pk_fma_f32 v[4:5], v[4:5], v[0:1], v[28:29] op_sel:[0,0,1] op_sel_hi:[1,1,0] neg_lo:[0,0,1] neg_hi:[0,0,1]
	s_wait_dscnt 0x1
	v_pk_mul_f32 v[28:29], v[8:9], v[2:3] op_sel:[0,1]
	v_pk_fma_f32 v[42:43], v[14:15], v[68:69], v[12:13] op_sel_hi:[1,1,0] neg_lo:[0,0,1] neg_hi:[0,0,1]
	v_dual_mov_b32 v43, v19 :: v_dual_mov_b32 v5, v39
	v_pk_fma_f32 v[18:19], v[6:7], v[0:1], v[40:41] op_sel:[0,0,1] op_sel_hi:[1,0,0]
	ds_load_2addr_b64 v[12:15], v80 offset0:32 offset1:33
	v_pk_fma_f32 v[6:7], v[6:7], v[0:1], v[40:41] op_sel:[0,0,1] op_sel_hi:[1,1,0] neg_lo:[0,0,1] neg_hi:[0,0,1]
	v_pk_fma_f32 v[38:39], v[8:9], v[0:1], v[28:29] op_sel:[0,0,1] op_sel_hi:[1,0,0]
	v_pk_fma_f32 v[8:9], v[8:9], v[0:1], v[28:29] op_sel:[0,0,1] op_sel_hi:[1,1,0] neg_lo:[0,0,1] neg_hi:[0,0,1]
	v_mov_b32_e32 v7, v19
	v_pk_mul_f32 v[18:19], v[10:11], v[2:3] op_sel:[0,1]
	v_pk_add_f32 v[110:111], v[110:111], v[4:5] neg_lo:[0,1] neg_hi:[0,1]
	v_mov_b32_e32 v9, v39
	v_pk_add_f32 v[108:109], v[108:109], v[42:43] neg_lo:[0,1] neg_hi:[0,1]
	v_pk_add_f32 v[106:107], v[106:107], v[6:7] neg_lo:[0,1] neg_hi:[0,1]
	v_pk_fma_f32 v[28:29], v[10:11], v[0:1], v[18:19] op_sel:[0,0,1] op_sel_hi:[1,0,0]
	ds_load_2addr_b64 v[4:7], v80 offset0:34 offset1:35
	v_pk_fma_f32 v[10:11], v[10:11], v[0:1], v[18:19] op_sel:[0,0,1] op_sel_hi:[1,1,0] neg_lo:[0,0,1] neg_hi:[0,0,1]
	s_wait_dscnt 0x2
	v_dual_mul_f32 v18, v25, v0 :: v_dual_mul_f32 v28, v25, v3
	v_pk_add_f32 v[128:129], v[128:129], v[8:9] neg_lo:[0,1] neg_hi:[0,1]
	v_pk_mul_f32 v[8:9], v[26:27], v[2:3] op_sel:[0,1]
	s_delay_alu instid0(VALU_DEP_3)
	v_pk_fma_f32 v[18:19], v[24:25], v[68:69], v[18:19] op_sel:[1,0,0] op_sel_hi:[0,1,0]
	v_mov_b32_e32 v11, v29
	v_pk_fma_f32 v[24:25], v[24:25], v[68:69], v[28:29] op_sel_hi:[1,1,0] neg_lo:[0,0,1] neg_hi:[0,0,1]
	s_wait_dscnt 0x1
	v_pk_mul_f32 v[38:39], v[12:13], v[2:3] op_sel:[0,1]
	v_pk_mul_f32 v[28:29], v[14:15], v[2:3] op_sel:[0,1]
	v_mov_b32_e32 v25, v19
	v_pk_add_f32 v[124:125], v[124:125], v[10:11] neg_lo:[0,1] neg_hi:[0,1]
	v_pk_fma_f32 v[10:11], v[26:27], v[0:1], v[8:9] op_sel:[0,0,1] op_sel_hi:[1,0,0]
	v_pk_fma_f32 v[18:19], v[26:27], v[0:1], v[8:9] op_sel:[0,0,1] op_sel_hi:[1,1,0] neg_lo:[0,0,1] neg_hi:[0,0,1]
	v_pk_fma_f32 v[26:27], v[12:13], v[0:1], v[38:39] op_sel:[0,0,1] op_sel_hi:[1,0,0]
	v_pk_fma_f32 v[12:13], v[12:13], v[0:1], v[38:39] op_sel:[0,0,1] op_sel_hi:[1,1,0] neg_lo:[0,0,1] neg_hi:[0,0,1]
	v_pk_add_f32 v[126:127], v[126:127], v[24:25] neg_lo:[0,1] neg_hi:[0,1]
	v_mov_b32_e32 v19, v11
	ds_load_2addr_b64 v[8:11], v80 offset0:36 offset1:37
	v_pk_fma_f32 v[24:25], v[14:15], v[0:1], v[28:29] op_sel:[0,0,1] op_sel_hi:[1,0,0]
	v_mov_b32_e32 v13, v27
	s_wait_dscnt 0x1
	v_pk_mul_f32 v[26:27], v[4:5], v[2:3] op_sel:[0,1]
	v_pk_add_f32 v[122:123], v[122:123], v[18:19] neg_lo:[0,1] neg_hi:[0,1]
	v_pk_fma_f32 v[28:29], v[14:15], v[0:1], v[28:29] op_sel:[0,0,1] op_sel_hi:[1,1,0] neg_lo:[0,0,1] neg_hi:[0,0,1]
	v_mov_b32_e32 v29, v25
	v_pk_add_f32 v[144:145], v[144:145], v[12:13] neg_lo:[0,1] neg_hi:[0,1]
	v_pk_fma_f32 v[18:19], v[4:5], v[0:1], v[26:27] op_sel:[0,0,1] op_sel_hi:[1,0,0]
	v_pk_fma_f32 v[4:5], v[4:5], v[0:1], v[26:27] op_sel:[0,0,1] op_sel_hi:[1,1,0] neg_lo:[0,0,1] neg_hi:[0,0,1]
	ds_load_2addr_b64 v[12:15], v80 offset0:38 offset1:39
	v_dual_mov_b32 v18, v7 :: v_dual_mul_f32 v24, v7, v0
	v_dual_mov_b32 v5, v19 :: v_dual_mov_b32 v19, v6
	v_pk_add_f32 v[140:141], v[140:141], v[28:29] neg_lo:[0,1] neg_hi:[0,1]
	s_delay_alu instid0(VALU_DEP_2) | instskip(NEXT) | instid1(VALU_DEP_3)
	v_pk_add_f32 v[142:143], v[142:143], v[4:5] neg_lo:[0,1] neg_hi:[0,1]
	v_pk_fma_f32 v[18:19], v[18:19], v[68:69], v[24:25] op_sel_hi:[1,1,0]
	s_wait_dscnt 0x1
	v_pk_mul_f32 v[4:5], v[8:9], v[2:3] op_sel:[0,1]
	v_pk_mul_f32 v[38:39], v[10:11], v[2:3] op_sel:[0,1]
	ds_load_2addr_b64 v[24:27], v80 offset0:40 offset1:41
	v_pk_fma_f32 v[40:41], v[8:9], v[0:1], v[4:5] op_sel:[0,0,1] op_sel_hi:[1,0,0]
	v_mul_f32_e32 v28, v7, v3
	v_pk_fma_f32 v[8:9], v[8:9], v[0:1], v[4:5] op_sel:[0,0,1] op_sel_hi:[1,1,0] neg_lo:[0,0,1] neg_hi:[0,0,1]
	s_delay_alu instid0(VALU_DEP_3) | instskip(NEXT) | instid1(VALU_DEP_3)
	v_mov_b32_e32 v9, v41
	v_pk_fma_f32 v[28:29], v[6:7], v[68:69], v[28:29] op_sel_hi:[1,1,0] neg_lo:[0,0,1] neg_hi:[0,0,1]
	v_mov_b32_e32 v29, v19
	v_pk_fma_f32 v[18:19], v[10:11], v[0:1], v[38:39] op_sel:[0,0,1] op_sel_hi:[1,0,0]
	ds_load_2addr_b64 v[4:7], v80 offset0:42 offset1:43
	v_pk_fma_f32 v[10:11], v[10:11], v[0:1], v[38:39] op_sel:[0,0,1] op_sel_hi:[1,1,0] neg_lo:[0,0,1] neg_hi:[0,0,1]
	s_wait_dscnt 0x2
	v_pk_mul_f32 v[38:39], v[12:13], v[2:3] op_sel:[0,1]
	v_pk_add_f32 v[166:167], v[166:167], v[8:9] neg_lo:[0,1] neg_hi:[0,1]
	v_mov_b32_e32 v11, v19
	v_pk_mul_f32 v[18:19], v[14:15], v[2:3] op_sel:[0,1]
	v_pk_add_f32 v[138:139], v[138:139], v[28:29] neg_lo:[0,1] neg_hi:[0,1]
	v_pk_fma_f32 v[28:29], v[12:13], v[0:1], v[38:39] op_sel:[0,0,1] op_sel_hi:[1,0,0]
	v_pk_fma_f32 v[12:13], v[12:13], v[0:1], v[38:39] op_sel:[0,0,1] op_sel_hi:[1,1,0] neg_lo:[0,0,1] neg_hi:[0,0,1]
	v_pk_add_f32 v[162:163], v[162:163], v[10:11] neg_lo:[0,1] neg_hi:[0,1]
	v_pk_fma_f32 v[8:9], v[14:15], v[0:1], v[18:19] op_sel:[0,0,1] op_sel_hi:[1,0,0]
	v_pk_fma_f32 v[14:15], v[14:15], v[0:1], v[18:19] op_sel:[0,0,1] op_sel_hi:[1,1,0] neg_lo:[0,0,1] neg_hi:[0,0,1]
	v_mov_b32_e32 v13, v29
	s_wait_dscnt 0x1
	v_dual_mul_f32 v18, v25, v0 :: v_dual_mul_f32 v28, v25, v3
	v_mov_b32_e32 v15, v9
	ds_load_2addr_b64 v[8:11], v80 offset0:44 offset1:45
	v_pk_add_f32 v[164:165], v[164:165], v[12:13] neg_lo:[0,1] neg_hi:[0,1]
	v_pk_fma_f32 v[12:13], v[24:25], v[68:69], v[18:19] op_sel:[1,0,0] op_sel_hi:[0,1,0]
	v_pk_mul_f32 v[18:19], v[26:27], v[2:3] op_sel:[0,1]
	v_pk_fma_f32 v[24:25], v[24:25], v[68:69], v[28:29] op_sel_hi:[1,1,0] neg_lo:[0,0,1] neg_hi:[0,0,1]
	s_wait_dscnt 0x1
	v_pk_mul_f32 v[28:29], v[4:5], v[2:3] op_sel:[0,1]
	v_pk_add_f32 v[160:161], v[160:161], v[14:15] neg_lo:[0,1] neg_hi:[0,1]
	v_pk_mul_f32 v[40:41], v[6:7], v[2:3] op_sel:[0,1]
	v_pk_fma_f32 v[38:39], v[26:27], v[0:1], v[18:19] op_sel:[0,0,1] op_sel_hi:[1,0,0]
	v_mov_b32_e32 v25, v13
	v_pk_fma_f32 v[18:19], v[26:27], v[0:1], v[18:19] op_sel:[0,0,1] op_sel_hi:[1,1,0] neg_lo:[0,0,1] neg_hi:[0,0,1]
	v_pk_fma_f32 v[26:27], v[4:5], v[0:1], v[28:29] op_sel:[0,0,1] op_sel_hi:[1,0,0]
	ds_load_2addr_b64 v[12:15], v80 offset0:46 offset1:47
	v_pk_fma_f32 v[4:5], v[4:5], v[0:1], v[28:29] op_sel:[0,0,1] op_sel_hi:[1,1,0] neg_lo:[0,0,1] neg_hi:[0,0,1]
	ds_load_b64 v[28:29], v80 offset:384
	v_mov_b32_e32 v19, v39
	v_pk_fma_f32 v[38:39], v[6:7], v[0:1], v[40:41] op_sel:[0,0,1] op_sel_hi:[1,0,0]
	v_mov_b32_e32 v5, v27
	v_pk_fma_f32 v[6:7], v[6:7], v[0:1], v[40:41] op_sel:[0,0,1] op_sel_hi:[1,1,0] neg_lo:[0,0,1] neg_hi:[0,0,1]
	v_pk_add_f32 v[192:193], v[192:193], v[24:25] neg_lo:[0,1] neg_hi:[0,1]
	s_wait_dscnt 0x2
	v_pk_mul_f32 v[26:27], v[8:9], v[2:3] op_sel:[0,1]
	v_mov_b32_e32 v7, v39
	v_pk_add_f32 v[190:191], v[190:191], v[4:5] neg_lo:[0,1] neg_hi:[0,1]
	v_pk_add_f32 v[184:185], v[184:185], v[18:19] neg_lo:[0,1] neg_hi:[0,1]
	v_mul_f32_e32 v18, v11, v3
	v_pk_fma_f32 v[4:5], v[8:9], v[0:1], v[26:27] op_sel:[0,0,1] op_sel_hi:[1,0,0]
	v_pk_add_f32 v[182:183], v[182:183], v[6:7] neg_lo:[0,1] neg_hi:[0,1]
	v_dual_mov_b32 v6, v11 :: v_dual_mov_b32 v7, v10
	v_mul_f32_e32 v4, v11, v0
	v_pk_fma_f32 v[8:9], v[8:9], v[0:1], v[26:27] op_sel:[0,0,1] op_sel_hi:[1,1,0] neg_lo:[0,0,1] neg_hi:[0,0,1]
	v_mov_b32_e32 v9, v5
	s_wait_dscnt 0x1
	v_pk_mul_f32 v[24:25], v[12:13], v[2:3] op_sel:[0,1]
	v_pk_fma_f32 v[10:11], v[10:11], v[68:69], v[18:19] op_sel_hi:[1,1,0] neg_lo:[0,0,1] neg_hi:[0,0,1]
	v_pk_fma_f32 v[4:5], v[6:7], v[68:69], v[4:5] op_sel_hi:[1,1,0]
	v_pk_mul_f32 v[6:7], v[14:15], v[2:3] op_sel:[0,1]
	s_wait_dscnt 0x0
	v_pk_mul_f32 v[2:3], v[28:29], v[2:3] op_sel:[0,1]
	v_pk_fma_f32 v[18:19], v[12:13], v[0:1], v[24:25] op_sel:[0,0,1] op_sel_hi:[1,0,0]
	v_pk_fma_f32 v[12:13], v[12:13], v[0:1], v[24:25] op_sel:[0,0,1] op_sel_hi:[1,1,0] neg_lo:[0,0,1] neg_hi:[0,0,1]
	v_mov_b32_e32 v11, v5
	v_pk_fma_f32 v[4:5], v[14:15], v[0:1], v[6:7] op_sel:[0,0,1] op_sel_hi:[1,0,0]
	v_pk_fma_f32 v[24:25], v[28:29], v[0:1], v[2:3] op_sel:[0,0,1] op_sel_hi:[1,0,0]
	v_pk_fma_f32 v[6:7], v[14:15], v[0:1], v[6:7] op_sel:[0,0,1] op_sel_hi:[1,1,0] neg_lo:[0,0,1] neg_hi:[0,0,1]
	v_pk_fma_f32 v[0:1], v[28:29], v[0:1], v[2:3] op_sel:[0,0,1] op_sel_hi:[1,1,0] neg_lo:[0,0,1] neg_hi:[0,0,1]
	s_delay_alu instid0(VALU_DEP_4) | instskip(NEXT) | instid1(VALU_DEP_4)
	v_dual_mov_b32 v13, v19 :: v_dual_mov_b32 v7, v5
	v_mov_b32_e32 v1, v25
	v_pk_add_f32 v[188:189], v[188:189], v[8:9] neg_lo:[0,1] neg_hi:[0,1]
	v_pk_add_f32 v[180:181], v[180:181], v[10:11] neg_lo:[0,1] neg_hi:[0,1]
	s_delay_alu instid0(VALU_DEP_4)
	v_pk_add_f32 v[186:187], v[186:187], v[12:13] neg_lo:[0,1] neg_hi:[0,1]
	v_pk_add_f32 v[194:195], v[194:195], v[6:7] neg_lo:[0,1] neg_hi:[0,1]
	;; [unrolled: 1-line block ×3, first 2 shown]
.LBB97_19:
	s_or_b32 exec_lo, exec_lo, s1
	s_delay_alu instid0(SALU_CYCLE_1)
	s_mov_b32 s2, exec_lo
	s_wait_dscnt 0x0
	s_barrier_signal -1
	s_barrier_wait -1
	v_cmpx_eq_u32_e32 2, v78
	s_cbranch_execz .LBB97_26
; %bb.20:
	ds_store_b64 v79, v[64:65]
	ds_store_2addr_b64 v80, v[86:87], v[66:67] offset0:3 offset1:4
	ds_store_2addr_b64 v80, v[62:63], v[22:23] offset0:5 offset1:6
	;; [unrolled: 1-line block ×23, first 2 shown]
	ds_load_b64 v[0:1], v79
	s_wait_dscnt 0x0
	v_cmp_neq_f32_e32 vcc_lo, 0, v0
	v_cmp_neq_f32_e64 s1, 0, v1
	s_or_b32 s1, vcc_lo, s1
	s_delay_alu instid0(SALU_CYCLE_1)
	s_and_b32 exec_lo, exec_lo, s1
	s_cbranch_execz .LBB97_26
; %bb.21:
	v_cmp_ngt_f32_e64 s1, |v0|, |v1|
                                        ; implicit-def: $vgpr2_vgpr3
	s_and_saveexec_b32 s4, s1
	s_delay_alu instid0(SALU_CYCLE_1)
	s_xor_b32 s1, exec_lo, s4
	s_cbranch_execz .LBB97_23
; %bb.22:
	v_div_scale_f32 v2, null, v1, v1, v0
	v_div_scale_f32 v5, vcc_lo, v0, v1, v0
	s_delay_alu instid0(VALU_DEP_2) | instskip(SKIP_1) | instid1(TRANS32_DEP_1)
	v_rcp_f32_e32 v3, v2
	v_nop
	v_fma_f32 v4, -v2, v3, 1.0
	s_delay_alu instid0(VALU_DEP_1) | instskip(NEXT) | instid1(VALU_DEP_1)
	v_fmac_f32_e32 v3, v4, v3
	v_mul_f32_e32 v4, v5, v3
	s_delay_alu instid0(VALU_DEP_1) | instskip(NEXT) | instid1(VALU_DEP_1)
	v_fma_f32 v6, -v2, v4, v5
	v_fmac_f32_e32 v4, v6, v3
	s_delay_alu instid0(VALU_DEP_1) | instskip(NEXT) | instid1(VALU_DEP_1)
	v_fma_f32 v2, -v2, v4, v5
	v_div_fmas_f32 v2, v2, v3, v4
	s_delay_alu instid0(VALU_DEP_1) | instskip(NEXT) | instid1(VALU_DEP_1)
	v_div_fixup_f32 v2, v2, v1, v0
	v_fmac_f32_e32 v1, v0, v2
	s_delay_alu instid0(VALU_DEP_1) | instskip(SKIP_1) | instid1(VALU_DEP_2)
	v_div_scale_f32 v0, null, v1, v1, 1.0
	v_div_scale_f32 v5, vcc_lo, 1.0, v1, 1.0
	v_rcp_f32_e32 v3, v0
	v_nop
	s_delay_alu instid0(TRANS32_DEP_1) | instskip(NEXT) | instid1(VALU_DEP_1)
	v_fma_f32 v4, -v0, v3, 1.0
	v_fmac_f32_e32 v3, v4, v3
	s_delay_alu instid0(VALU_DEP_1) | instskip(NEXT) | instid1(VALU_DEP_1)
	v_mul_f32_e32 v4, v5, v3
	v_fma_f32 v6, -v0, v4, v5
	s_delay_alu instid0(VALU_DEP_1) | instskip(NEXT) | instid1(VALU_DEP_1)
	v_fmac_f32_e32 v4, v6, v3
	v_fma_f32 v0, -v0, v4, v5
	s_delay_alu instid0(VALU_DEP_1) | instskip(NEXT) | instid1(VALU_DEP_1)
	v_div_fmas_f32 v0, v0, v3, v4
	v_div_fixup_f32 v0, v0, v1, 1.0
	s_delay_alu instid0(VALU_DEP_1)
	v_mul_f32_e32 v2, v2, v0
	v_xor_b32_e32 v3, 0x80000000, v0
                                        ; implicit-def: $vgpr0_vgpr1
.LBB97_23:
	s_and_not1_saveexec_b32 s1, s1
	s_cbranch_execz .LBB97_25
; %bb.24:
	v_div_scale_f32 v2, null, v0, v0, v1
	v_div_scale_f32 v5, vcc_lo, v1, v0, v1
	s_delay_alu instid0(VALU_DEP_2) | instskip(SKIP_1) | instid1(TRANS32_DEP_1)
	v_rcp_f32_e32 v3, v2
	v_nop
	v_fma_f32 v4, -v2, v3, 1.0
	s_delay_alu instid0(VALU_DEP_1) | instskip(NEXT) | instid1(VALU_DEP_1)
	v_fmac_f32_e32 v3, v4, v3
	v_mul_f32_e32 v4, v5, v3
	s_delay_alu instid0(VALU_DEP_1) | instskip(NEXT) | instid1(VALU_DEP_1)
	v_fma_f32 v6, -v2, v4, v5
	v_fmac_f32_e32 v4, v6, v3
	s_delay_alu instid0(VALU_DEP_1) | instskip(NEXT) | instid1(VALU_DEP_1)
	v_fma_f32 v2, -v2, v4, v5
	v_div_fmas_f32 v2, v2, v3, v4
	s_delay_alu instid0(VALU_DEP_1) | instskip(NEXT) | instid1(VALU_DEP_1)
	v_div_fixup_f32 v3, v2, v0, v1
	v_fmac_f32_e32 v0, v1, v3
	s_delay_alu instid0(VALU_DEP_1) | instskip(NEXT) | instid1(VALU_DEP_1)
	v_div_scale_f32 v1, null, v0, v0, 1.0
	v_rcp_f32_e32 v2, v1
	v_nop
	s_delay_alu instid0(TRANS32_DEP_1) | instskip(NEXT) | instid1(VALU_DEP_1)
	v_fma_f32 v4, -v1, v2, 1.0
	v_fmac_f32_e32 v2, v4, v2
	v_div_scale_f32 v4, vcc_lo, 1.0, v0, 1.0
	s_delay_alu instid0(VALU_DEP_1) | instskip(NEXT) | instid1(VALU_DEP_1)
	v_mul_f32_e32 v5, v4, v2
	v_fma_f32 v6, -v1, v5, v4
	s_delay_alu instid0(VALU_DEP_1) | instskip(NEXT) | instid1(VALU_DEP_1)
	v_fmac_f32_e32 v5, v6, v2
	v_fma_f32 v1, -v1, v5, v4
	s_delay_alu instid0(VALU_DEP_1) | instskip(NEXT) | instid1(VALU_DEP_1)
	v_div_fmas_f32 v1, v1, v2, v5
	v_div_fixup_f32 v2, v1, v0, 1.0
	s_delay_alu instid0(VALU_DEP_1)
	v_mul_f32_e64 v3, v3, -v2
.LBB97_25:
	s_or_b32 exec_lo, exec_lo, s1
	ds_store_b64 v79, v[2:3]
.LBB97_26:
	s_or_b32 exec_lo, exec_lo, s2
	s_wait_dscnt 0x0
	s_barrier_signal -1
	s_barrier_wait -1
	ds_load_b64 v[252:253], v79
	s_mov_b32 s1, exec_lo
	v_cmpx_lt_u32_e32 2, v78
	s_cbranch_execz .LBB97_28
; %bb.27:
	ds_load_2addr_b64 v[4:7], v80 offset0:3 offset1:4
	ds_load_2addr_b64 v[8:11], v80 offset0:5 offset1:6
	;; [unrolled: 1-line block ×3, first 2 shown]
	s_wait_dscnt 0x3
	v_pk_mul_f32 v[2:3], v[252:253], v[64:65] op_sel:[1,1] op_sel_hi:[0,1]
	ds_load_2addr_b64 v[24:27], v80 offset0:9 offset1:10
	ds_load_2addr_b64 v[38:41], v80 offset0:11 offset1:12
	v_pk_fma_f32 v[0:1], v[252:253], v[64:65], v[2:3] op_sel_hi:[1,0,1] neg_lo:[0,0,1] neg_hi:[0,0,1]
	v_pk_fma_f32 v[2:3], v[252:253], v[64:65], v[2:3] op_sel_hi:[1,0,1]
	s_delay_alu instid0(VALU_DEP_1) | instskip(SKIP_1) | instid1(VALU_DEP_2)
	v_dual_mov_b32 v64, v0 :: v_dual_mov_b32 v65, v3
	s_wait_dscnt 0x4
	v_pk_mul_f32 v[18:19], v[4:5], v[2:3] op_sel:[0,1]
	v_pk_mul_f32 v[28:29], v[6:7], v[2:3] op_sel:[0,1]
	s_wait_dscnt 0x3
	v_pk_mul_f32 v[42:43], v[8:9], v[2:3] op_sel:[0,1]
	v_dual_mov_b32 v44, v11 :: v_dual_mov_b32 v45, v10
	v_pk_fma_f32 v[84:85], v[4:5], v[0:1], v[18:19] op_sel:[0,0,1] op_sel_hi:[1,1,0] neg_lo:[0,0,1] neg_hi:[0,0,1]
	v_pk_fma_f32 v[4:5], v[4:5], v[0:1], v[18:19] op_sel:[0,0,1] op_sel_hi:[1,0,0]
	v_pk_fma_f32 v[18:19], v[6:7], v[0:1], v[28:29] op_sel:[0,0,1] op_sel_hi:[1,1,0] neg_lo:[0,0,1] neg_hi:[0,0,1]
	v_pk_fma_f32 v[6:7], v[6:7], v[0:1], v[28:29] op_sel:[0,0,1] op_sel_hi:[1,0,0]
	v_dual_mul_f32 v54, v11, v3 :: v_dual_mul_f32 v56, v11, v0
	s_wait_dscnt 0x2
	v_pk_mul_f32 v[58:59], v[12:13], v[2:3] op_sel:[0,1]
	v_pk_mul_f32 v[60:61], v[14:15], v[2:3] op_sel:[0,1]
	v_pk_fma_f32 v[28:29], v[8:9], v[0:1], v[42:43] op_sel:[0,0,1] op_sel_hi:[1,1,0] neg_lo:[0,0,1] neg_hi:[0,0,1]
	v_pk_fma_f32 v[8:9], v[8:9], v[0:1], v[42:43] op_sel:[0,0,1] op_sel_hi:[1,0,0]
	s_wait_dscnt 0x1
	v_pk_mul_f32 v[82:83], v[24:25], v[2:3] op_sel:[0,1]
	v_dual_mov_b32 v85, v5 :: v_dual_mov_b32 v19, v7
	v_pk_fma_f32 v[42:43], v[44:45], v[64:65], v[56:57] op_sel_hi:[1,1,0]
	v_mov_b32_e32 v29, v9
	v_pk_fma_f32 v[4:5], v[12:13], v[0:1], v[58:59] op_sel:[0,0,1] op_sel_hi:[1,0,0]
	v_pk_fma_f32 v[8:9], v[12:13], v[0:1], v[58:59] op_sel:[0,0,1] op_sel_hi:[1,1,0] neg_lo:[0,0,1] neg_hi:[0,0,1]
	v_pk_fma_f32 v[12:13], v[14:15], v[0:1], v[60:61] op_sel:[0,0,1] op_sel_hi:[1,0,0]
	v_pk_add_f32 v[66:67], v[66:67], v[18:19] neg_lo:[0,1] neg_hi:[0,1]
	v_pk_fma_f32 v[18:19], v[24:25], v[0:1], v[82:83] op_sel:[0,0,1] op_sel_hi:[1,0,0]
	v_pk_fma_f32 v[14:15], v[14:15], v[0:1], v[60:61] op_sel:[0,0,1] op_sel_hi:[1,1,0] neg_lo:[0,0,1] neg_hi:[0,0,1]
	s_delay_alu instid0(VALU_DEP_4) | instskip(SKIP_1) | instid1(VALU_DEP_4)
	v_dual_mov_b32 v9, v5 :: v_dual_mov_b32 v15, v13
	v_pk_fma_f32 v[12:13], v[24:25], v[0:1], v[82:83] op_sel:[0,0,1] op_sel_hi:[1,1,0] neg_lo:[0,0,1] neg_hi:[0,0,1]
	v_mov_b32_e32 v13, v19
	v_pk_mul_f32 v[18:19], v[26:27], v[2:3] op_sel:[0,1]
	ds_load_2addr_b64 v[4:7], v80 offset0:13 offset1:14
	v_pk_add_f32 v[36:37], v[36:37], v[14:15] neg_lo:[0,1] neg_hi:[0,1]
	v_pk_fma_f32 v[10:11], v[10:11], v[64:65], v[54:55] op_sel_hi:[1,1,0] neg_lo:[0,0,1] neg_hi:[0,0,1]
	v_mov_b32_e32 v11, v43
	v_pk_fma_f32 v[14:15], v[26:27], v[0:1], v[18:19] op_sel:[0,0,1] op_sel_hi:[1,0,0]
	v_pk_fma_f32 v[18:19], v[26:27], v[0:1], v[18:19] op_sel:[0,0,1] op_sel_hi:[1,1,0] neg_lo:[0,0,1] neg_hi:[0,0,1]
	s_wait_dscnt 0x1
	v_pk_mul_f32 v[24:25], v[40:41], v[2:3] op_sel:[0,1]
	v_pk_add_f32 v[20:21], v[20:21], v[8:9] neg_lo:[0,1] neg_hi:[0,1]
	v_pk_add_f32 v[22:23], v[22:23], v[10:11] neg_lo:[0,1] neg_hi:[0,1]
	v_mov_b32_e32 v19, v15
	v_pk_add_f32 v[32:33], v[32:33], v[12:13] neg_lo:[0,1] neg_hi:[0,1]
	v_dual_mul_f32 v12, v39, v0 :: v_dual_mul_f32 v14, v39, v3
	ds_load_2addr_b64 v[8:11], v80 offset0:15 offset1:16
	v_pk_fma_f32 v[26:27], v[40:41], v[0:1], v[24:25] op_sel:[0,0,1] op_sel_hi:[1,0,0]
	v_pk_add_f32 v[62:63], v[62:63], v[28:29] neg_lo:[0,1] neg_hi:[0,1]
	v_pk_fma_f32 v[12:13], v[38:39], v[64:65], v[12:13] op_sel:[1,0,0] op_sel_hi:[0,1,0]
	v_pk_fma_f32 v[14:15], v[38:39], v[64:65], v[14:15] op_sel_hi:[1,1,0] neg_lo:[0,0,1] neg_hi:[0,0,1]
	v_pk_add_f32 v[34:35], v[34:35], v[18:19] neg_lo:[0,1] neg_hi:[0,1]
	v_pk_add_f32 v[86:87], v[86:87], v[84:85] neg_lo:[0,1] neg_hi:[0,1]
	s_wait_dscnt 0x1
	v_pk_mul_f32 v[28:29], v[4:5], v[2:3] op_sel:[0,1]
	v_mov_b32_e32 v15, v13
	v_pk_fma_f32 v[12:13], v[40:41], v[0:1], v[24:25] op_sel:[0,0,1] op_sel_hi:[1,1,0] neg_lo:[0,0,1] neg_hi:[0,0,1]
	v_mov_b32_e32 v13, v27
	v_pk_mul_f32 v[24:25], v[6:7], v[2:3] op_sel:[0,1]
	v_pk_fma_f32 v[18:19], v[4:5], v[0:1], v[28:29] op_sel:[0,0,1] op_sel_hi:[1,0,0]
	v_pk_add_f32 v[30:31], v[30:31], v[14:15] neg_lo:[0,1] neg_hi:[0,1]
	v_pk_fma_f32 v[26:27], v[4:5], v[0:1], v[28:29] op_sel:[0,0,1] op_sel_hi:[1,1,0] neg_lo:[0,0,1] neg_hi:[0,0,1]
	v_pk_add_f32 v[52:53], v[52:53], v[12:13] neg_lo:[0,1] neg_hi:[0,1]
	ds_load_2addr_b64 v[12:15], v80 offset0:17 offset1:18
	v_mov_b32_e32 v27, v19
	v_pk_fma_f32 v[18:19], v[6:7], v[0:1], v[24:25] op_sel:[0,0,1] op_sel_hi:[1,1,0] neg_lo:[0,0,1] neg_hi:[0,0,1]
	v_pk_fma_f32 v[24:25], v[6:7], v[0:1], v[24:25] op_sel:[0,0,1] op_sel_hi:[1,0,0]
	ds_load_2addr_b64 v[4:7], v80 offset0:19 offset1:20
	s_wait_dscnt 0x2
	v_pk_mul_f32 v[28:29], v[8:9], v[2:3] op_sel:[0,1]
	v_dual_mov_b32 v38, v11 :: v_dual_mov_b32 v39, v10
	v_dual_mul_f32 v24, v11, v0 :: v_dual_mov_b32 v19, v25
	v_pk_add_f32 v[48:49], v[48:49], v[26:27] neg_lo:[0,1] neg_hi:[0,1]
	s_delay_alu instid0(VALU_DEP_4) | instskip(SKIP_1) | instid1(VALU_DEP_4)
	v_pk_fma_f32 v[26:27], v[8:9], v[0:1], v[28:29] op_sel:[0,0,1] op_sel_hi:[1,0,0]
	v_mul_f32_e32 v26, v11, v3
	v_pk_fma_f32 v[24:25], v[38:39], v[64:65], v[24:25] op_sel_hi:[1,1,0]
	v_pk_add_f32 v[50:51], v[50:51], v[18:19] neg_lo:[0,1] neg_hi:[0,1]
	v_pk_fma_f32 v[18:19], v[8:9], v[0:1], v[28:29] op_sel:[0,0,1] op_sel_hi:[1,1,0] neg_lo:[0,0,1] neg_hi:[0,0,1]
	v_mov_b32_e32 v19, v27
	v_pk_fma_f32 v[26:27], v[10:11], v[64:65], v[26:27] op_sel_hi:[1,1,0] neg_lo:[0,0,1] neg_hi:[0,0,1]
	v_mov_b32_e32 v27, v25
	ds_load_2addr_b64 v[8:11], v80 offset0:21 offset1:22
	s_wait_dscnt 0x2
	v_pk_mul_f32 v[28:29], v[12:13], v[2:3] op_sel:[0,1]
	v_pk_mul_f32 v[38:39], v[14:15], v[2:3] op_sel:[0,1]
	v_pk_add_f32 v[46:47], v[46:47], v[18:19] neg_lo:[0,1] neg_hi:[0,1]
	v_pk_add_f32 v[76:77], v[76:77], v[26:27] neg_lo:[0,1] neg_hi:[0,1]
	s_wait_dscnt 0x1
	v_pk_mul_f32 v[40:41], v[4:5], v[2:3] op_sel:[0,1]
	v_pk_fma_f32 v[18:19], v[12:13], v[0:1], v[28:29] op_sel:[0,0,1] op_sel_hi:[1,0,0]
	v_pk_fma_f32 v[42:43], v[14:15], v[0:1], v[38:39] op_sel:[0,0,1] op_sel_hi:[1,0,0]
	ds_load_2addr_b64 v[24:27], v80 offset0:23 offset1:24
	v_pk_fma_f32 v[12:13], v[12:13], v[0:1], v[28:29] op_sel:[0,0,1] op_sel_hi:[1,1,0] neg_lo:[0,0,1] neg_hi:[0,0,1]
	v_pk_fma_f32 v[14:15], v[14:15], v[0:1], v[38:39] op_sel:[0,0,1] op_sel_hi:[1,1,0] neg_lo:[0,0,1] neg_hi:[0,0,1]
	v_dual_mov_b32 v13, v19 :: v_dual_mov_b32 v15, v43
	v_pk_fma_f32 v[18:19], v[4:5], v[0:1], v[40:41] op_sel:[0,0,1] op_sel_hi:[1,0,0]
	v_pk_mul_f32 v[28:29], v[6:7], v[2:3] op_sel:[0,1]
	v_pk_fma_f32 v[4:5], v[4:5], v[0:1], v[40:41] op_sel:[0,0,1] op_sel_hi:[1,1,0] neg_lo:[0,0,1] neg_hi:[0,0,1]
	s_delay_alu instid0(VALU_DEP_4)
	v_pk_add_f32 v[72:73], v[72:73], v[12:13] neg_lo:[0,1] neg_hi:[0,1]
	v_pk_add_f32 v[74:75], v[74:75], v[14:15] neg_lo:[0,1] neg_hi:[0,1]
	v_mov_b32_e32 v5, v19
	v_pk_fma_f32 v[18:19], v[6:7], v[0:1], v[28:29] op_sel:[0,0,1] op_sel_hi:[1,0,0]
	ds_load_2addr_b64 v[12:15], v80 offset0:25 offset1:26
	v_pk_fma_f32 v[6:7], v[6:7], v[0:1], v[28:29] op_sel:[0,0,1] op_sel_hi:[1,1,0] neg_lo:[0,0,1] neg_hi:[0,0,1]
	s_wait_dscnt 0x2
	v_mul_f32_e32 v18, v9, v3
	v_pk_add_f32 v[70:71], v[70:71], v[4:5] neg_lo:[0,1] neg_hi:[0,1]
	v_dual_mul_f32 v4, v9, v0 :: v_dual_mov_b32 v7, v19
	v_pk_mul_f32 v[28:29], v[10:11], v[2:3] op_sel:[0,1]
	s_wait_dscnt 0x1
	v_pk_mul_f32 v[38:39], v[24:25], v[2:3] op_sel:[0,1]
	s_delay_alu instid0(VALU_DEP_3)
	v_pk_fma_f32 v[4:5], v[8:9], v[64:65], v[4:5] op_sel:[1,0,0] op_sel_hi:[0,1,0]
	v_pk_fma_f32 v[8:9], v[8:9], v[64:65], v[18:19] op_sel_hi:[1,1,0] neg_lo:[0,0,1] neg_hi:[0,0,1]
	v_pk_fma_f32 v[18:19], v[10:11], v[0:1], v[28:29] op_sel:[0,0,1] op_sel_hi:[1,0,0]
	v_pk_fma_f32 v[10:11], v[10:11], v[0:1], v[28:29] op_sel:[0,0,1] op_sel_hi:[1,1,0] neg_lo:[0,0,1] neg_hi:[0,0,1]
	v_pk_fma_f32 v[40:41], v[24:25], v[0:1], v[38:39] op_sel:[0,0,1] op_sel_hi:[1,0,0]
	v_mov_b32_e32 v9, v5
	v_pk_add_f32 v[94:95], v[94:95], v[6:7] neg_lo:[0,1] neg_hi:[0,1]
	v_mov_b32_e32 v11, v19
	v_pk_fma_f32 v[18:19], v[24:25], v[0:1], v[38:39] op_sel:[0,0,1] op_sel_hi:[1,1,0] neg_lo:[0,0,1] neg_hi:[0,0,1]
	v_pk_mul_f32 v[24:25], v[26:27], v[2:3] op_sel:[0,1]
	ds_load_2addr_b64 v[4:7], v80 offset0:27 offset1:28
	s_wait_dscnt 0x1
	v_pk_mul_f32 v[28:29], v[12:13], v[2:3] op_sel:[0,1]
	v_pk_add_f32 v[90:91], v[90:91], v[8:9] neg_lo:[0,1] neg_hi:[0,1]
	v_pk_add_f32 v[92:93], v[92:93], v[10:11] neg_lo:[0,1] neg_hi:[0,1]
	v_pk_fma_f32 v[38:39], v[26:27], v[0:1], v[24:25] op_sel:[0,0,1] op_sel_hi:[1,0,0]
	v_mov_b32_e32 v19, v41
	ds_load_2addr_b64 v[8:11], v80 offset0:29 offset1:30
	v_pk_fma_f32 v[24:25], v[26:27], v[0:1], v[24:25] op_sel:[0,0,1] op_sel_hi:[1,1,0] neg_lo:[0,0,1] neg_hi:[0,0,1]
	v_mul_f32_e32 v26, v15, v0
	v_mov_b32_e32 v25, v39
	v_pk_add_f32 v[88:89], v[88:89], v[18:19] neg_lo:[0,1] neg_hi:[0,1]
	v_pk_fma_f32 v[18:19], v[12:13], v[0:1], v[28:29] op_sel:[0,0,1] op_sel_hi:[1,0,0]
	v_pk_fma_f32 v[12:13], v[12:13], v[0:1], v[28:29] op_sel:[0,0,1] op_sel_hi:[1,1,0] neg_lo:[0,0,1] neg_hi:[0,0,1]
	v_mov_b32_e32 v18, v15
	v_pk_add_f32 v[112:113], v[112:113], v[24:25] neg_lo:[0,1] neg_hi:[0,1]
	s_delay_alu instid0(VALU_DEP_4) | instskip(SKIP_2) | instid1(VALU_DEP_2)
	v_dual_mov_b32 v13, v19 :: v_dual_mov_b32 v19, v14
	s_wait_dscnt 0x1
	v_pk_mul_f32 v[28:29], v[4:5], v[2:3] op_sel:[0,1]
	v_pk_add_f32 v[108:109], v[108:109], v[12:13] neg_lo:[0,1] neg_hi:[0,1]
	s_delay_alu instid0(VALU_DEP_3)
	v_pk_fma_f32 v[18:19], v[18:19], v[64:65], v[26:27] op_sel_hi:[1,1,0]
	ds_load_2addr_b64 v[24:27], v80 offset0:31 offset1:32
	v_mul_f32_e32 v12, v15, v3
	v_pk_mul_f32 v[40:41], v[6:7], v[2:3] op_sel:[0,1]
	v_pk_fma_f32 v[38:39], v[4:5], v[0:1], v[28:29] op_sel:[0,0,1] op_sel_hi:[1,0,0]
	v_pk_fma_f32 v[4:5], v[4:5], v[0:1], v[28:29] op_sel:[0,0,1] op_sel_hi:[1,1,0] neg_lo:[0,0,1] neg_hi:[0,0,1]
	s_wait_dscnt 0x1
	v_pk_mul_f32 v[28:29], v[8:9], v[2:3] op_sel:[0,1]
	v_pk_fma_f32 v[42:43], v[14:15], v[64:65], v[12:13] op_sel_hi:[1,1,0] neg_lo:[0,0,1] neg_hi:[0,0,1]
	v_dual_mov_b32 v43, v19 :: v_dual_mov_b32 v5, v39
	v_pk_fma_f32 v[18:19], v[6:7], v[0:1], v[40:41] op_sel:[0,0,1] op_sel_hi:[1,0,0]
	ds_load_2addr_b64 v[12:15], v80 offset0:33 offset1:34
	v_pk_fma_f32 v[6:7], v[6:7], v[0:1], v[40:41] op_sel:[0,0,1] op_sel_hi:[1,1,0] neg_lo:[0,0,1] neg_hi:[0,0,1]
	v_pk_fma_f32 v[38:39], v[8:9], v[0:1], v[28:29] op_sel:[0,0,1] op_sel_hi:[1,0,0]
	v_pk_fma_f32 v[8:9], v[8:9], v[0:1], v[28:29] op_sel:[0,0,1] op_sel_hi:[1,1,0] neg_lo:[0,0,1] neg_hi:[0,0,1]
	v_mov_b32_e32 v7, v19
	v_pk_mul_f32 v[18:19], v[10:11], v[2:3] op_sel:[0,1]
	v_pk_add_f32 v[106:107], v[106:107], v[4:5] neg_lo:[0,1] neg_hi:[0,1]
	v_mov_b32_e32 v9, v39
	v_pk_add_f32 v[110:111], v[110:111], v[42:43] neg_lo:[0,1] neg_hi:[0,1]
	v_pk_add_f32 v[128:129], v[128:129], v[6:7] neg_lo:[0,1] neg_hi:[0,1]
	ds_load_2addr_b64 v[4:7], v80 offset0:35 offset1:36
	v_pk_fma_f32 v[28:29], v[10:11], v[0:1], v[18:19] op_sel:[0,0,1] op_sel_hi:[1,0,0]
	v_pk_fma_f32 v[10:11], v[10:11], v[0:1], v[18:19] op_sel:[0,0,1] op_sel_hi:[1,1,0] neg_lo:[0,0,1] neg_hi:[0,0,1]
	s_wait_dscnt 0x2
	v_mul_f32_e32 v18, v25, v0
	v_pk_add_f32 v[124:125], v[124:125], v[8:9] neg_lo:[0,1] neg_hi:[0,1]
	v_mul_f32_e32 v8, v25, v3
	s_delay_alu instid0(VALU_DEP_3)
	v_pk_fma_f32 v[18:19], v[24:25], v[64:65], v[18:19] op_sel:[1,0,0] op_sel_hi:[0,1,0]
	v_mov_b32_e32 v11, v29
	v_pk_mul_f32 v[28:29], v[26:27], v[2:3] op_sel:[0,1]
	s_wait_dscnt 0x1
	v_pk_mul_f32 v[38:39], v[12:13], v[2:3] op_sel:[0,1]
	v_pk_fma_f32 v[24:25], v[24:25], v[64:65], v[8:9] op_sel_hi:[1,1,0] neg_lo:[0,0,1] neg_hi:[0,0,1]
	v_mov_b32_e32 v25, v19
	v_pk_add_f32 v[126:127], v[126:127], v[10:11] neg_lo:[0,1] neg_hi:[0,1]
	v_pk_fma_f32 v[40:41], v[26:27], v[0:1], v[28:29] op_sel:[0,0,1] op_sel_hi:[1,0,0]
	v_pk_fma_f32 v[18:19], v[26:27], v[0:1], v[28:29] op_sel:[0,0,1] op_sel_hi:[1,1,0] neg_lo:[0,0,1] neg_hi:[0,0,1]
	v_pk_fma_f32 v[26:27], v[12:13], v[0:1], v[38:39] op_sel:[0,0,1] op_sel_hi:[1,0,0]
	ds_load_2addr_b64 v[8:11], v80 offset0:37 offset1:38
	v_pk_fma_f32 v[12:13], v[12:13], v[0:1], v[38:39] op_sel:[0,0,1] op_sel_hi:[1,1,0] neg_lo:[0,0,1] neg_hi:[0,0,1]
	v_pk_mul_f32 v[28:29], v[14:15], v[2:3] op_sel:[0,1]
	v_pk_add_f32 v[122:123], v[122:123], v[24:25] neg_lo:[0,1] neg_hi:[0,1]
	v_mov_b32_e32 v13, v27
	s_wait_dscnt 0x1
	v_pk_mul_f32 v[26:27], v[4:5], v[2:3] op_sel:[0,1]
	s_delay_alu instid0(VALU_DEP_2) | instskip(NEXT) | instid1(VALU_DEP_2)
	v_pk_add_f32 v[140:141], v[140:141], v[12:13] neg_lo:[0,1] neg_hi:[0,1]
	v_pk_fma_f32 v[24:25], v[4:5], v[0:1], v[26:27] op_sel:[0,0,1] op_sel_hi:[1,0,0]
	v_mov_b32_e32 v19, v41
	v_pk_fma_f32 v[4:5], v[4:5], v[0:1], v[26:27] op_sel:[0,0,1] op_sel_hi:[1,1,0] neg_lo:[0,0,1] neg_hi:[0,0,1]
	s_delay_alu instid0(VALU_DEP_3) | instskip(NEXT) | instid1(VALU_DEP_3)
	v_dual_mul_f32 v24, v7, v0 :: v_dual_mov_b32 v5, v25
	v_pk_add_f32 v[144:145], v[144:145], v[18:19] neg_lo:[0,1] neg_hi:[0,1]
	v_pk_fma_f32 v[18:19], v[14:15], v[0:1], v[28:29] op_sel:[0,0,1] op_sel_hi:[1,0,0]
	v_pk_fma_f32 v[28:29], v[14:15], v[0:1], v[28:29] op_sel:[0,0,1] op_sel_hi:[1,1,0] neg_lo:[0,0,1] neg_hi:[0,0,1]
	ds_load_2addr_b64 v[12:15], v80 offset0:39 offset1:40
	v_mov_b32_e32 v18, v7
	s_wait_dscnt 0x1
	v_pk_mul_f32 v[38:39], v[8:9], v[2:3] op_sel:[0,1]
	v_dual_mov_b32 v29, v19 :: v_dual_mov_b32 v19, v6
	v_pk_add_f32 v[138:139], v[138:139], v[4:5] neg_lo:[0,1] neg_hi:[0,1]
	v_pk_mul_f32 v[40:41], v[10:11], v[2:3] op_sel:[0,1]
	s_delay_alu instid0(VALU_DEP_3) | instskip(NEXT) | instid1(VALU_DEP_4)
	v_pk_add_f32 v[142:143], v[142:143], v[28:29] neg_lo:[0,1] neg_hi:[0,1]
	v_pk_fma_f32 v[18:19], v[18:19], v[64:65], v[24:25] op_sel_hi:[1,1,0]
	v_pk_fma_f32 v[24:25], v[8:9], v[0:1], v[38:39] op_sel:[0,0,1] op_sel_hi:[1,0,0]
	v_mul_f32_e32 v26, v7, v3
	v_pk_fma_f32 v[8:9], v[8:9], v[0:1], v[38:39] op_sel:[0,0,1] op_sel_hi:[1,1,0] neg_lo:[0,0,1] neg_hi:[0,0,1]
	s_delay_alu instid0(VALU_DEP_3) | instskip(NEXT) | instid1(VALU_DEP_3)
	v_mov_b32_e32 v9, v25
	v_pk_fma_f32 v[28:29], v[6:7], v[64:65], v[26:27] op_sel_hi:[1,1,0] neg_lo:[0,0,1] neg_hi:[0,0,1]
	ds_load_2addr_b64 v[4:7], v80 offset0:41 offset1:42
	ds_load_2addr_b64 v[24:27], v80 offset0:43 offset1:44
	v_mov_b32_e32 v29, v19
	v_pk_fma_f32 v[18:19], v[10:11], v[0:1], v[40:41] op_sel:[0,0,1] op_sel_hi:[1,0,0]
	s_wait_dscnt 0x2
	v_pk_mul_f32 v[38:39], v[12:13], v[2:3] op_sel:[0,1]
	v_pk_fma_f32 v[10:11], v[10:11], v[0:1], v[40:41] op_sel:[0,0,1] op_sel_hi:[1,1,0] neg_lo:[0,0,1] neg_hi:[0,0,1]
	v_pk_mul_f32 v[40:41], v[14:15], v[2:3] op_sel:[0,1]
	v_pk_add_f32 v[162:163], v[162:163], v[8:9] neg_lo:[0,1] neg_hi:[0,1]
	v_mov_b32_e32 v11, v19
	v_pk_fma_f32 v[18:19], v[12:13], v[0:1], v[38:39] op_sel:[0,0,1] op_sel_hi:[1,0,0]
	v_pk_fma_f32 v[12:13], v[12:13], v[0:1], v[38:39] op_sel:[0,0,1] op_sel_hi:[1,1,0] neg_lo:[0,0,1] neg_hi:[0,0,1]
	v_pk_fma_f32 v[8:9], v[14:15], v[0:1], v[40:41] op_sel:[0,0,1] op_sel_hi:[1,0,0]
	v_pk_fma_f32 v[14:15], v[14:15], v[0:1], v[40:41] op_sel:[0,0,1] op_sel_hi:[1,1,0] neg_lo:[0,0,1] neg_hi:[0,0,1]
	v_pk_add_f32 v[164:165], v[164:165], v[10:11] neg_lo:[0,1] neg_hi:[0,1]
	v_mov_b32_e32 v13, v19
	v_pk_add_f32 v[166:167], v[166:167], v[28:29] neg_lo:[0,1] neg_hi:[0,1]
	v_mov_b32_e32 v15, v9
	ds_load_2addr_b64 v[8:11], v80 offset0:45 offset1:46
	v_pk_add_f32 v[160:161], v[160:161], v[12:13] neg_lo:[0,1] neg_hi:[0,1]
	s_wait_dscnt 0x2
	v_dual_mul_f32 v18, v5, v0 :: v_dual_mul_f32 v12, v5, v3
	v_pk_add_f32 v[192:193], v[192:193], v[14:15] neg_lo:[0,1] neg_hi:[0,1]
	v_pk_mul_f32 v[28:29], v[6:7], v[2:3] op_sel:[0,1]
	s_wait_dscnt 0x1
	v_pk_mul_f32 v[38:39], v[24:25], v[2:3] op_sel:[0,1]
	v_pk_fma_f32 v[18:19], v[4:5], v[64:65], v[18:19] op_sel:[1,0,0] op_sel_hi:[0,1,0]
	v_pk_fma_f32 v[4:5], v[4:5], v[64:65], v[12:13] op_sel_hi:[1,1,0] neg_lo:[0,0,1] neg_hi:[0,0,1]
	ds_load_2addr_b64 v[12:15], v80 offset0:47 offset1:48
	v_pk_fma_f32 v[40:41], v[6:7], v[0:1], v[28:29] op_sel:[0,0,1] op_sel_hi:[1,0,0]
	v_pk_fma_f32 v[6:7], v[6:7], v[0:1], v[28:29] op_sel:[0,0,1] op_sel_hi:[1,1,0] neg_lo:[0,0,1] neg_hi:[0,0,1]
	v_mov_b32_e32 v5, v19
	v_pk_fma_f32 v[18:19], v[24:25], v[0:1], v[38:39] op_sel:[0,0,1] op_sel_hi:[1,0,0]
	v_pk_mul_f32 v[28:29], v[26:27], v[2:3] op_sel:[0,1]
	v_mov_b32_e32 v7, v41
	v_pk_fma_f32 v[24:25], v[24:25], v[0:1], v[38:39] op_sel:[0,0,1] op_sel_hi:[1,1,0] neg_lo:[0,0,1] neg_hi:[0,0,1]
	v_pk_add_f32 v[184:185], v[184:185], v[4:5] neg_lo:[0,1] neg_hi:[0,1]
	s_delay_alu instid0(VALU_DEP_4)
	v_pk_fma_f32 v[4:5], v[26:27], v[0:1], v[28:29] op_sel:[0,0,1] op_sel_hi:[1,0,0]
	v_mov_b32_e32 v25, v19
	s_wait_dscnt 0x1
	v_pk_mul_f32 v[18:19], v[8:9], v[2:3] op_sel:[0,1]
	v_pk_add_f32 v[190:191], v[190:191], v[6:7] neg_lo:[0,1] neg_hi:[0,1]
	v_pk_fma_f32 v[6:7], v[26:27], v[0:1], v[28:29] op_sel:[0,0,1] op_sel_hi:[1,1,0] neg_lo:[0,0,1] neg_hi:[0,0,1]
	v_mov_b32_e32 v7, v5
	v_pk_add_f32 v[182:183], v[182:183], v[24:25] neg_lo:[0,1] neg_hi:[0,1]
	v_pk_fma_f32 v[4:5], v[8:9], v[0:1], v[18:19] op_sel:[0,0,1] op_sel_hi:[1,1,0] neg_lo:[0,0,1] neg_hi:[0,0,1]
	v_pk_fma_f32 v[8:9], v[8:9], v[0:1], v[18:19] op_sel:[0,0,1] op_sel_hi:[1,0,0]
	v_dual_mov_b32 v24, v11 :: v_dual_mov_b32 v25, v10
	v_dual_mul_f32 v26, v11, v0 :: v_dual_mul_f32 v8, v11, v3
	s_wait_dscnt 0x0
	v_pk_mul_f32 v[18:19], v[12:13], v[2:3] op_sel:[0,1]
	v_pk_mul_f32 v[2:3], v[14:15], v[2:3] op_sel:[0,1]
	v_pk_add_f32 v[188:189], v[188:189], v[6:7] neg_lo:[0,1] neg_hi:[0,1]
	v_pk_fma_f32 v[24:25], v[24:25], v[64:65], v[26:27] op_sel_hi:[1,1,0]
	v_mov_b32_e32 v5, v9
	v_pk_fma_f32 v[26:27], v[12:13], v[0:1], v[18:19] op_sel:[0,0,1] op_sel_hi:[1,0,0]
	v_pk_fma_f32 v[8:9], v[10:11], v[64:65], v[8:9] op_sel_hi:[1,1,0] neg_lo:[0,0,1] neg_hi:[0,0,1]
	v_pk_fma_f32 v[10:11], v[14:15], v[0:1], v[2:3] op_sel:[0,0,1] op_sel_hi:[1,0,0]
	v_pk_fma_f32 v[12:13], v[12:13], v[0:1], v[18:19] op_sel:[0,0,1] op_sel_hi:[1,1,0] neg_lo:[0,0,1] neg_hi:[0,0,1]
	v_pk_fma_f32 v[0:1], v[14:15], v[0:1], v[2:3] op_sel:[0,0,1] op_sel_hi:[1,1,0] neg_lo:[0,0,1] neg_hi:[0,0,1]
	v_dual_mov_b32 v9, v25 :: v_dual_mov_b32 v13, v27
	s_delay_alu instid0(VALU_DEP_4) | instskip(SKIP_1) | instid1(VALU_DEP_3)
	v_mov_b32_e32 v1, v11
	v_pk_add_f32 v[180:181], v[180:181], v[4:5] neg_lo:[0,1] neg_hi:[0,1]
	v_pk_add_f32 v[186:187], v[186:187], v[8:9] neg_lo:[0,1] neg_hi:[0,1]
	s_delay_alu instid0(VALU_DEP_4) | instskip(NEXT) | instid1(VALU_DEP_4)
	v_pk_add_f32 v[194:195], v[194:195], v[12:13] neg_lo:[0,1] neg_hi:[0,1]
	v_pk_add_f32 v[196:197], v[196:197], v[0:1] neg_lo:[0,1] neg_hi:[0,1]
.LBB97_28:
	s_or_b32 exec_lo, exec_lo, s1
	s_delay_alu instid0(SALU_CYCLE_1)
	s_mov_b32 s2, exec_lo
	s_wait_dscnt 0x0
	s_barrier_signal -1
	s_barrier_wait -1
	v_cmpx_eq_u32_e32 3, v78
	s_cbranch_execz .LBB97_35
; %bb.29:
	v_dual_mov_b32 v0, v66 :: v_dual_mov_b32 v1, v67
	v_dual_mov_b32 v2, v62 :: v_dual_mov_b32 v3, v63
	;; [unrolled: 1-line block ×8, first 2 shown]
	ds_store_b64 v79, v[86:87]
	ds_store_2addr_b64 v80, v[0:1], v[2:3] offset0:4 offset1:5
	ds_store_2addr_b64 v80, v[4:5], v[6:7] offset0:6 offset1:7
	ds_store_2addr_b64 v80, v[8:9], v[10:11] offset0:8 offset1:9
	ds_store_2addr_b64 v80, v[12:13], v[14:15] offset0:10 offset1:11
	v_dual_mov_b32 v0, v52 :: v_dual_mov_b32 v1, v53
	v_dual_mov_b32 v2, v48 :: v_dual_mov_b32 v3, v49
	v_dual_mov_b32 v4, v50 :: v_dual_mov_b32 v5, v51
	v_dual_mov_b32 v6, v46 :: v_dual_mov_b32 v7, v47
	v_dual_mov_b32 v8, v76 :: v_dual_mov_b32 v9, v77
	v_dual_mov_b32 v10, v72 :: v_dual_mov_b32 v11, v73
	v_dual_mov_b32 v12, v74 :: v_dual_mov_b32 v13, v75
	v_dual_mov_b32 v14, v70 :: v_dual_mov_b32 v15, v71
	v_dual_mov_b32 v18, v94 :: v_dual_mov_b32 v19, v95
	v_dual_mov_b32 v24, v90 :: v_dual_mov_b32 v25, v91
	v_dual_mov_b32 v26, v92 :: v_dual_mov_b32 v27, v93
	v_dual_mov_b32 v28, v88 :: v_dual_mov_b32 v29, v89
	ds_store_2addr_b64 v80, v[0:1], v[2:3] offset0:12 offset1:13
	ds_store_2addr_b64 v80, v[4:5], v[6:7] offset0:14 offset1:15
	ds_store_2addr_b64 v80, v[8:9], v[10:11] offset0:16 offset1:17
	ds_store_2addr_b64 v80, v[12:13], v[14:15] offset0:18 offset1:19
	ds_store_2addr_b64 v80, v[18:19], v[24:25] offset0:20 offset1:21
	ds_store_2addr_b64 v80, v[26:27], v[28:29] offset0:22 offset1:23
	v_dual_mov_b32 v0, v112 :: v_dual_mov_b32 v1, v113
	v_dual_mov_b32 v2, v108 :: v_dual_mov_b32 v3, v109
	v_dual_mov_b32 v4, v110 :: v_dual_mov_b32 v5, v111
	v_dual_mov_b32 v6, v106 :: v_dual_mov_b32 v7, v107
	v_dual_mov_b32 v8, v128 :: v_dual_mov_b32 v9, v129
	v_dual_mov_b32 v10, v124 :: v_dual_mov_b32 v11, v125
	v_dual_mov_b32 v12, v126 :: v_dual_mov_b32 v13, v127
	v_dual_mov_b32 v14, v122 :: v_dual_mov_b32 v15, v123
	v_dual_mov_b32 v18, v144 :: v_dual_mov_b32 v19, v145
	v_dual_mov_b32 v24, v140 :: v_dual_mov_b32 v25, v141
	v_dual_mov_b32 v26, v142 :: v_dual_mov_b32 v27, v143
	v_dual_mov_b32 v28, v138 :: v_dual_mov_b32 v29, v139
	ds_store_2addr_b64 v80, v[0:1], v[2:3] offset0:24 offset1:25
	ds_store_2addr_b64 v80, v[4:5], v[6:7] offset0:26 offset1:27
	;; [unrolled: 18-line block ×3, first 2 shown]
	ds_store_2addr_b64 v80, v[8:9], v[10:11] offset0:40 offset1:41
	ds_store_2addr_b64 v80, v[12:13], v[14:15] offset0:42 offset1:43
	;; [unrolled: 1-line block ×4, first 2 shown]
	ds_store_b64 v80, v[196:197] offset:384
	ds_load_b64 v[0:1], v79
	s_wait_dscnt 0x0
	v_cmp_neq_f32_e32 vcc_lo, 0, v0
	v_cmp_neq_f32_e64 s1, 0, v1
	s_or_b32 s1, vcc_lo, s1
	s_delay_alu instid0(SALU_CYCLE_1)
	s_and_b32 exec_lo, exec_lo, s1
	s_cbranch_execz .LBB97_35
; %bb.30:
	v_cmp_ngt_f32_e64 s1, |v0|, |v1|
                                        ; implicit-def: $vgpr2_vgpr3
	s_and_saveexec_b32 s4, s1
	s_delay_alu instid0(SALU_CYCLE_1)
	s_xor_b32 s1, exec_lo, s4
	s_cbranch_execz .LBB97_32
; %bb.31:
	v_div_scale_f32 v2, null, v1, v1, v0
	v_div_scale_f32 v5, vcc_lo, v0, v1, v0
	s_delay_alu instid0(VALU_DEP_2) | instskip(SKIP_1) | instid1(TRANS32_DEP_1)
	v_rcp_f32_e32 v3, v2
	v_nop
	v_fma_f32 v4, -v2, v3, 1.0
	s_delay_alu instid0(VALU_DEP_1) | instskip(NEXT) | instid1(VALU_DEP_1)
	v_fmac_f32_e32 v3, v4, v3
	v_mul_f32_e32 v4, v5, v3
	s_delay_alu instid0(VALU_DEP_1) | instskip(NEXT) | instid1(VALU_DEP_1)
	v_fma_f32 v6, -v2, v4, v5
	v_fmac_f32_e32 v4, v6, v3
	s_delay_alu instid0(VALU_DEP_1) | instskip(NEXT) | instid1(VALU_DEP_1)
	v_fma_f32 v2, -v2, v4, v5
	v_div_fmas_f32 v2, v2, v3, v4
	s_delay_alu instid0(VALU_DEP_1) | instskip(NEXT) | instid1(VALU_DEP_1)
	v_div_fixup_f32 v2, v2, v1, v0
	v_fmac_f32_e32 v1, v0, v2
	s_delay_alu instid0(VALU_DEP_1) | instskip(SKIP_1) | instid1(VALU_DEP_2)
	v_div_scale_f32 v0, null, v1, v1, 1.0
	v_div_scale_f32 v5, vcc_lo, 1.0, v1, 1.0
	v_rcp_f32_e32 v3, v0
	v_nop
	s_delay_alu instid0(TRANS32_DEP_1) | instskip(NEXT) | instid1(VALU_DEP_1)
	v_fma_f32 v4, -v0, v3, 1.0
	v_fmac_f32_e32 v3, v4, v3
	s_delay_alu instid0(VALU_DEP_1) | instskip(NEXT) | instid1(VALU_DEP_1)
	v_mul_f32_e32 v4, v5, v3
	v_fma_f32 v6, -v0, v4, v5
	s_delay_alu instid0(VALU_DEP_1) | instskip(NEXT) | instid1(VALU_DEP_1)
	v_fmac_f32_e32 v4, v6, v3
	v_fma_f32 v0, -v0, v4, v5
	s_delay_alu instid0(VALU_DEP_1) | instskip(NEXT) | instid1(VALU_DEP_1)
	v_div_fmas_f32 v0, v0, v3, v4
	v_div_fixup_f32 v0, v0, v1, 1.0
	s_delay_alu instid0(VALU_DEP_1)
	v_mul_f32_e32 v2, v2, v0
	v_xor_b32_e32 v3, 0x80000000, v0
                                        ; implicit-def: $vgpr0_vgpr1
.LBB97_32:
	s_and_not1_saveexec_b32 s1, s1
	s_cbranch_execz .LBB97_34
; %bb.33:
	v_div_scale_f32 v2, null, v0, v0, v1
	v_div_scale_f32 v5, vcc_lo, v1, v0, v1
	s_delay_alu instid0(VALU_DEP_2) | instskip(SKIP_1) | instid1(TRANS32_DEP_1)
	v_rcp_f32_e32 v3, v2
	v_nop
	v_fma_f32 v4, -v2, v3, 1.0
	s_delay_alu instid0(VALU_DEP_1) | instskip(NEXT) | instid1(VALU_DEP_1)
	v_fmac_f32_e32 v3, v4, v3
	v_mul_f32_e32 v4, v5, v3
	s_delay_alu instid0(VALU_DEP_1) | instskip(NEXT) | instid1(VALU_DEP_1)
	v_fma_f32 v6, -v2, v4, v5
	v_fmac_f32_e32 v4, v6, v3
	s_delay_alu instid0(VALU_DEP_1) | instskip(NEXT) | instid1(VALU_DEP_1)
	v_fma_f32 v2, -v2, v4, v5
	v_div_fmas_f32 v2, v2, v3, v4
	s_delay_alu instid0(VALU_DEP_1) | instskip(NEXT) | instid1(VALU_DEP_1)
	v_div_fixup_f32 v3, v2, v0, v1
	v_fmac_f32_e32 v0, v1, v3
	s_delay_alu instid0(VALU_DEP_1) | instskip(NEXT) | instid1(VALU_DEP_1)
	v_div_scale_f32 v1, null, v0, v0, 1.0
	v_rcp_f32_e32 v2, v1
	v_nop
	s_delay_alu instid0(TRANS32_DEP_1) | instskip(NEXT) | instid1(VALU_DEP_1)
	v_fma_f32 v4, -v1, v2, 1.0
	v_fmac_f32_e32 v2, v4, v2
	v_div_scale_f32 v4, vcc_lo, 1.0, v0, 1.0
	s_delay_alu instid0(VALU_DEP_1) | instskip(NEXT) | instid1(VALU_DEP_1)
	v_mul_f32_e32 v5, v4, v2
	v_fma_f32 v6, -v1, v5, v4
	s_delay_alu instid0(VALU_DEP_1) | instskip(NEXT) | instid1(VALU_DEP_1)
	v_fmac_f32_e32 v5, v6, v2
	v_fma_f32 v1, -v1, v5, v4
	s_delay_alu instid0(VALU_DEP_1) | instskip(NEXT) | instid1(VALU_DEP_1)
	v_div_fmas_f32 v1, v1, v2, v5
	v_div_fixup_f32 v2, v1, v0, 1.0
	s_delay_alu instid0(VALU_DEP_1)
	v_mul_f32_e64 v3, v3, -v2
.LBB97_34:
	s_or_b32 exec_lo, exec_lo, s1
	ds_store_b64 v79, v[2:3]
.LBB97_35:
	s_or_b32 exec_lo, exec_lo, s2
	s_wait_dscnt 0x0
	s_barrier_signal -1
	s_barrier_wait -1
	ds_load_b64 v[254:255], v79
	s_mov_b32 s1, exec_lo
	v_cmpx_lt_u32_e32 3, v78
	s_cbranch_execz .LBB97_37
; %bb.36:
	ds_load_2addr_b64 v[4:7], v80 offset0:4 offset1:5
	ds_load_2addr_b64 v[8:11], v80 offset0:6 offset1:7
	;; [unrolled: 1-line block ×3, first 2 shown]
	s_wait_dscnt 0x3
	v_pk_mul_f32 v[2:3], v[254:255], v[86:87] op_sel:[1,1] op_sel_hi:[0,1]
	ds_load_2addr_b64 v[24:27], v80 offset0:10 offset1:11
	ds_load_2addr_b64 v[38:41], v80 offset0:12 offset1:13
	v_pk_fma_f32 v[0:1], v[254:255], v[86:87], v[2:3] op_sel_hi:[1,0,1] neg_lo:[0,0,1] neg_hi:[0,0,1]
	v_pk_fma_f32 v[2:3], v[254:255], v[86:87], v[2:3] op_sel_hi:[1,0,1]
	s_delay_alu instid0(VALU_DEP_1) | instskip(SKIP_1) | instid1(VALU_DEP_2)
	v_dual_mov_b32 v86, v0 :: v_dual_mov_b32 v87, v3
	s_wait_dscnt 0x4
	v_pk_mul_f32 v[18:19], v[4:5], v[2:3] op_sel:[0,1]
	v_pk_mul_f32 v[28:29], v[6:7], v[2:3] op_sel:[0,1]
	s_wait_dscnt 0x3
	v_pk_mul_f32 v[42:43], v[8:9], v[2:3] op_sel:[0,1]
	s_wait_dscnt 0x2
	v_pk_mul_f32 v[58:59], v[12:13], v[2:3] op_sel:[0,1]
	v_dual_mov_b32 v44, v11 :: v_dual_mov_b32 v45, v10
	v_pk_fma_f32 v[82:83], v[4:5], v[0:1], v[18:19] op_sel:[0,0,1] op_sel_hi:[1,1,0] neg_lo:[0,0,1] neg_hi:[0,0,1]
	v_pk_fma_f32 v[4:5], v[4:5], v[0:1], v[18:19] op_sel:[0,0,1] op_sel_hi:[1,0,0]
	v_dual_mul_f32 v54, v11, v3 :: v_dual_mul_f32 v56, v11, v0
	v_pk_mul_f32 v[60:61], v[14:15], v[2:3] op_sel:[0,1]
	v_pk_fma_f32 v[18:19], v[6:7], v[0:1], v[28:29] op_sel:[0,0,1] op_sel_hi:[1,1,0] neg_lo:[0,0,1] neg_hi:[0,0,1]
	v_pk_fma_f32 v[6:7], v[6:7], v[0:1], v[28:29] op_sel:[0,0,1] op_sel_hi:[1,0,0]
	v_pk_fma_f32 v[28:29], v[8:9], v[0:1], v[42:43] op_sel:[0,0,1] op_sel_hi:[1,1,0] neg_lo:[0,0,1] neg_hi:[0,0,1]
	v_pk_fma_f32 v[8:9], v[8:9], v[0:1], v[42:43] op_sel:[0,0,1] op_sel_hi:[1,0,0]
	v_mov_b32_e32 v83, v5
	v_pk_fma_f32 v[4:5], v[12:13], v[0:1], v[58:59] op_sel:[0,0,1] op_sel_hi:[1,0,0]
	v_pk_fma_f32 v[42:43], v[44:45], v[86:87], v[56:57] op_sel_hi:[1,1,0]
	v_pk_fma_f32 v[44:45], v[12:13], v[0:1], v[58:59] op_sel:[0,0,1] op_sel_hi:[1,1,0] neg_lo:[0,0,1] neg_hi:[0,0,1]
	v_dual_mov_b32 v19, v7 :: v_dual_mov_b32 v29, v9
	v_pk_fma_f32 v[8:9], v[14:15], v[0:1], v[60:61] op_sel:[0,0,1] op_sel_hi:[1,0,0]
	v_mov_b32_e32 v45, v5
	s_wait_dscnt 0x1
	v_pk_mul_f32 v[12:13], v[24:25], v[2:3] op_sel:[0,1]
	ds_load_2addr_b64 v[4:7], v80 offset0:14 offset1:15
	v_pk_fma_f32 v[14:15], v[14:15], v[0:1], v[60:61] op_sel:[0,0,1] op_sel_hi:[1,1,0] neg_lo:[0,0,1] neg_hi:[0,0,1]
	v_pk_fma_f32 v[10:11], v[10:11], v[86:87], v[54:55] op_sel_hi:[1,1,0] neg_lo:[0,0,1] neg_hi:[0,0,1]
	v_pk_add_f32 v[62:63], v[62:63], v[18:19] neg_lo:[0,1] neg_hi:[0,1]
	v_mov_b32_e32 v15, v9
	v_pk_mul_f32 v[18:19], v[26:27], v[2:3] op_sel:[0,1]
	v_mov_b32_e32 v11, v43
	v_pk_fma_f32 v[8:9], v[24:25], v[0:1], v[12:13] op_sel:[0,0,1] op_sel_hi:[1,0,0]
	v_pk_fma_f32 v[12:13], v[24:25], v[0:1], v[12:13] op_sel:[0,0,1] op_sel_hi:[1,1,0] neg_lo:[0,0,1] neg_hi:[0,0,1]
	v_pk_add_f32 v[32:33], v[32:33], v[14:15] neg_lo:[0,1] neg_hi:[0,1]
	v_pk_fma_f32 v[14:15], v[26:27], v[0:1], v[18:19] op_sel:[0,0,1] op_sel_hi:[1,0,0]
	v_pk_add_f32 v[20:21], v[20:21], v[10:11] neg_lo:[0,1] neg_hi:[0,1]
	s_wait_dscnt 0x1
	v_dual_mov_b32 v13, v9 :: v_dual_mul_f32 v14, v39, v0
	ds_load_2addr_b64 v[8:11], v80 offset0:16 offset1:17
	v_pk_fma_f32 v[18:19], v[26:27], v[0:1], v[18:19] op_sel:[0,0,1] op_sel_hi:[1,1,0] neg_lo:[0,0,1] neg_hi:[0,0,1]
	v_mul_f32_e32 v24, v39, v3
	v_mov_b32_e32 v19, v15
	v_pk_fma_f32 v[14:15], v[38:39], v[86:87], v[14:15] op_sel:[1,0,0] op_sel_hi:[0,1,0]
	v_pk_add_f32 v[34:35], v[34:35], v[12:13] neg_lo:[0,1] neg_hi:[0,1]
	v_pk_mul_f32 v[12:13], v[40:41], v[2:3] op_sel:[0,1]
	v_pk_fma_f32 v[24:25], v[38:39], v[86:87], v[24:25] op_sel_hi:[1,1,0] neg_lo:[0,0,1] neg_hi:[0,0,1]
	v_pk_add_f32 v[22:23], v[22:23], v[28:29] neg_lo:[0,1] neg_hi:[0,1]
	v_mov_b32_e32 v25, v15
	v_pk_add_f32 v[30:31], v[30:31], v[18:19] neg_lo:[0,1] neg_hi:[0,1]
	s_wait_dscnt 0x1
	v_pk_mul_f32 v[18:19], v[4:5], v[2:3] op_sel:[0,1]
	v_pk_fma_f32 v[26:27], v[40:41], v[0:1], v[12:13] op_sel:[0,0,1] op_sel_hi:[1,0,0]
	v_pk_fma_f32 v[28:29], v[40:41], v[0:1], v[12:13] op_sel:[0,0,1] op_sel_hi:[1,1,0] neg_lo:[0,0,1] neg_hi:[0,0,1]
	ds_load_2addr_b64 v[12:15], v80 offset0:18 offset1:19
	v_pk_add_f32 v[52:53], v[52:53], v[24:25] neg_lo:[0,1] neg_hi:[0,1]
	v_pk_fma_f32 v[38:39], v[4:5], v[0:1], v[18:19] op_sel:[0,0,1] op_sel_hi:[1,0,0]
	v_pk_fma_f32 v[4:5], v[4:5], v[0:1], v[18:19] op_sel:[0,0,1] op_sel_hi:[1,1,0] neg_lo:[0,0,1] neg_hi:[0,0,1]
	v_pk_mul_f32 v[18:19], v[6:7], v[2:3] op_sel:[0,1]
	v_pk_add_f32 v[66:67], v[66:67], v[82:83] neg_lo:[0,1] neg_hi:[0,1]
	v_pk_add_f32 v[36:37], v[36:37], v[44:45] neg_lo:[0,1] neg_hi:[0,1]
	v_mov_b32_e32 v5, v39
	s_delay_alu instid0(VALU_DEP_4)
	v_pk_fma_f32 v[24:25], v[6:7], v[0:1], v[18:19] op_sel:[0,0,1] op_sel_hi:[1,0,0]
	v_mov_b32_e32 v29, v27
	s_wait_dscnt 0x1
	v_pk_mul_f32 v[26:27], v[8:9], v[2:3] op_sel:[0,1]
	v_pk_fma_f32 v[18:19], v[6:7], v[0:1], v[18:19] op_sel:[0,0,1] op_sel_hi:[1,1,0] neg_lo:[0,0,1] neg_hi:[0,0,1]
	v_pk_add_f32 v[50:51], v[50:51], v[4:5] neg_lo:[0,1] neg_hi:[0,1]
	ds_load_2addr_b64 v[4:7], v80 offset0:20 offset1:21
	v_mov_b32_e32 v19, v25
	v_pk_add_f32 v[48:49], v[48:49], v[28:29] neg_lo:[0,1] neg_hi:[0,1]
	v_pk_fma_f32 v[28:29], v[8:9], v[0:1], v[26:27] op_sel:[0,0,1] op_sel_hi:[1,0,0]
	v_pk_fma_f32 v[8:9], v[8:9], v[0:1], v[26:27] op_sel:[0,0,1] op_sel_hi:[1,1,0] neg_lo:[0,0,1] neg_hi:[0,0,1]
	v_dual_mov_b32 v24, v11 :: v_dual_mov_b32 v25, v10
	s_delay_alu instid0(VALU_DEP_3) | instskip(SKIP_3) | instid1(VALU_DEP_3)
	v_dual_mul_f32 v26, v11, v0 :: v_dual_mov_b32 v9, v29
	v_pk_add_f32 v[46:47], v[46:47], v[18:19] neg_lo:[0,1] neg_hi:[0,1]
	s_wait_dscnt 0x1
	v_pk_mul_f32 v[38:39], v[14:15], v[2:3] op_sel:[0,1]
	v_pk_fma_f32 v[28:29], v[24:25], v[86:87], v[26:27] op_sel_hi:[1,1,0]
	v_pk_add_f32 v[76:77], v[76:77], v[8:9] neg_lo:[0,1] neg_hi:[0,1]
	v_pk_mul_f32 v[8:9], v[12:13], v[2:3] op_sel:[0,1]
	v_mul_f32_e32 v18, v11, v3
	ds_load_2addr_b64 v[24:27], v80 offset0:22 offset1:23
	v_pk_fma_f32 v[40:41], v[12:13], v[0:1], v[8:9] op_sel:[0,0,1] op_sel_hi:[1,0,0]
	v_pk_fma_f32 v[18:19], v[10:11], v[86:87], v[18:19] op_sel_hi:[1,1,0] neg_lo:[0,0,1] neg_hi:[0,0,1]
	v_pk_fma_f32 v[12:13], v[12:13], v[0:1], v[8:9] op_sel:[0,0,1] op_sel_hi:[1,1,0] neg_lo:[0,0,1] neg_hi:[0,0,1]
	v_mov_b32_e32 v19, v29
	v_pk_fma_f32 v[28:29], v[14:15], v[0:1], v[38:39] op_sel:[0,0,1] op_sel_hi:[1,0,0]
	v_mov_b32_e32 v13, v41
	s_wait_dscnt 0x1
	v_pk_mul_f32 v[40:41], v[4:5], v[2:3] op_sel:[0,1]
	v_pk_fma_f32 v[14:15], v[14:15], v[0:1], v[38:39] op_sel:[0,0,1] op_sel_hi:[1,1,0] neg_lo:[0,0,1] neg_hi:[0,0,1]
	ds_load_2addr_b64 v[8:11], v80 offset0:24 offset1:25
	v_mov_b32_e32 v15, v29
	v_pk_add_f32 v[72:73], v[72:73], v[18:19] neg_lo:[0,1] neg_hi:[0,1]
	v_pk_mul_f32 v[18:19], v[6:7], v[2:3] op_sel:[0,1]
	v_pk_fma_f32 v[28:29], v[4:5], v[0:1], v[40:41] op_sel:[0,0,1] op_sel_hi:[1,0,0]
	v_pk_fma_f32 v[4:5], v[4:5], v[0:1], v[40:41] op_sel:[0,0,1] op_sel_hi:[1,1,0] neg_lo:[0,0,1] neg_hi:[0,0,1]
	v_pk_add_f32 v[74:75], v[74:75], v[12:13] neg_lo:[0,1] neg_hi:[0,1]
	v_pk_add_f32 v[70:71], v[70:71], v[14:15] neg_lo:[0,1] neg_hi:[0,1]
	v_pk_fma_f32 v[38:39], v[6:7], v[0:1], v[18:19] op_sel:[0,0,1] op_sel_hi:[1,0,0]
	v_mov_b32_e32 v5, v29
	ds_load_2addr_b64 v[12:15], v80 offset0:26 offset1:27
	v_pk_fma_f32 v[6:7], v[6:7], v[0:1], v[18:19] op_sel:[0,0,1] op_sel_hi:[1,1,0] neg_lo:[0,0,1] neg_hi:[0,0,1]
	s_wait_dscnt 0x2
	v_dual_mul_f32 v28, v25, v0 :: v_dual_mov_b32 v7, v39
	v_pk_add_f32 v[94:95], v[94:95], v[4:5] neg_lo:[0,1] neg_hi:[0,1]
	v_mul_f32_e32 v4, v25, v3
	s_delay_alu instid0(VALU_DEP_3) | instskip(SKIP_2) | instid1(VALU_DEP_4)
	v_pk_fma_f32 v[18:19], v[24:25], v[86:87], v[28:29] op_sel:[1,0,0] op_sel_hi:[0,1,0]
	v_pk_mul_f32 v[28:29], v[26:27], v[2:3] op_sel:[0,1]
	v_pk_add_f32 v[90:91], v[90:91], v[6:7] neg_lo:[0,1] neg_hi:[0,1]
	v_pk_fma_f32 v[24:25], v[24:25], v[86:87], v[4:5] op_sel_hi:[1,1,0] neg_lo:[0,0,1] neg_hi:[0,0,1]
	ds_load_2addr_b64 v[4:7], v80 offset0:28 offset1:29
	s_wait_dscnt 0x2
	v_pk_mul_f32 v[38:39], v[8:9], v[2:3] op_sel:[0,1]
	v_mov_b32_e32 v25, v19
	v_pk_fma_f32 v[18:19], v[26:27], v[0:1], v[28:29] op_sel:[0,0,1] op_sel_hi:[1,0,0]
	v_pk_mul_f32 v[40:41], v[10:11], v[2:3] op_sel:[0,1]
	v_pk_fma_f32 v[26:27], v[26:27], v[0:1], v[28:29] op_sel:[0,0,1] op_sel_hi:[1,1,0] neg_lo:[0,0,1] neg_hi:[0,0,1]
	v_pk_fma_f32 v[42:43], v[8:9], v[0:1], v[38:39] op_sel:[0,0,1] op_sel_hi:[1,0,0]
	v_pk_fma_f32 v[8:9], v[8:9], v[0:1], v[38:39] op_sel:[0,0,1] op_sel_hi:[1,1,0] neg_lo:[0,0,1] neg_hi:[0,0,1]
	v_mov_b32_e32 v27, v19
	v_pk_fma_f32 v[18:19], v[10:11], v[0:1], v[40:41] op_sel:[0,0,1] op_sel_hi:[1,0,0]
	s_wait_dscnt 0x1
	v_pk_mul_f32 v[28:29], v[12:13], v[2:3] op_sel:[0,1]
	v_pk_fma_f32 v[10:11], v[10:11], v[0:1], v[40:41] op_sel:[0,0,1] op_sel_hi:[1,1,0] neg_lo:[0,0,1] neg_hi:[0,0,1]
	v_mov_b32_e32 v9, v43
	v_pk_add_f32 v[92:93], v[92:93], v[24:25] neg_lo:[0,1] neg_hi:[0,1]
	v_mov_b32_e32 v11, v19
	v_pk_fma_f32 v[18:19], v[12:13], v[0:1], v[28:29] op_sel:[0,0,1] op_sel_hi:[1,0,0]
	v_pk_fma_f32 v[12:13], v[12:13], v[0:1], v[28:29] op_sel:[0,0,1] op_sel_hi:[1,1,0] neg_lo:[0,0,1] neg_hi:[0,0,1]
	v_pk_add_f32 v[112:113], v[112:113], v[8:9] neg_lo:[0,1] neg_hi:[0,1]
	v_mov_b32_e32 v18, v15
	v_pk_add_f32 v[108:109], v[108:109], v[10:11] neg_lo:[0,1] neg_hi:[0,1]
	v_mov_b32_e32 v13, v19
	s_wait_dscnt 0x0
	v_pk_mul_f32 v[38:39], v[4:5], v[2:3] op_sel:[0,1]
	ds_load_2addr_b64 v[8:11], v80 offset0:30 offset1:31
	v_dual_mov_b32 v19, v14 :: v_dual_mul_f32 v28, v15, v0
	v_pk_add_f32 v[88:89], v[88:89], v[26:27] neg_lo:[0,1] neg_hi:[0,1]
	ds_load_2addr_b64 v[24:27], v80 offset0:32 offset1:33
	v_pk_mul_f32 v[42:43], v[6:7], v[2:3] op_sel:[0,1]
	v_pk_add_f32 v[110:111], v[110:111], v[12:13] neg_lo:[0,1] neg_hi:[0,1]
	v_pk_fma_f32 v[12:13], v[4:5], v[0:1], v[38:39] op_sel:[0,0,1] op_sel_hi:[1,0,0]
	v_mul_f32_e32 v40, v15, v3
	v_pk_fma_f32 v[18:19], v[18:19], v[86:87], v[28:29] op_sel_hi:[1,1,0]
	v_pk_fma_f32 v[28:29], v[6:7], v[0:1], v[42:43] op_sel:[0,0,1] op_sel_hi:[1,0,0]
	s_delay_alu instid0(VALU_DEP_3) | instskip(NEXT) | instid1(VALU_DEP_3)
	v_pk_fma_f32 v[14:15], v[14:15], v[86:87], v[40:41] op_sel_hi:[1,1,0] neg_lo:[0,0,1] neg_hi:[0,0,1]
	v_mov_b32_e32 v15, v19
	v_pk_fma_f32 v[18:19], v[4:5], v[0:1], v[38:39] op_sel:[0,0,1] op_sel_hi:[1,1,0] neg_lo:[0,0,1] neg_hi:[0,0,1]
	v_mov_b32_e32 v19, v13
	v_pk_fma_f32 v[12:13], v[6:7], v[0:1], v[42:43] op_sel:[0,0,1] op_sel_hi:[1,1,0] neg_lo:[0,0,1] neg_hi:[0,0,1]
	v_mov_b32_e32 v13, v29
	ds_load_2addr_b64 v[4:7], v80 offset0:34 offset1:35
	v_pk_add_f32 v[106:107], v[106:107], v[14:15] neg_lo:[0,1] neg_hi:[0,1]
	s_wait_dscnt 0x2
	v_pk_mul_f32 v[28:29], v[8:9], v[2:3] op_sel:[0,1]
	v_pk_add_f32 v[128:129], v[128:129], v[18:19] neg_lo:[0,1] neg_hi:[0,1]
	v_pk_add_f32 v[124:125], v[124:125], v[12:13] neg_lo:[0,1] neg_hi:[0,1]
	ds_load_2addr_b64 v[12:15], v80 offset0:36 offset1:37
	v_pk_mul_f32 v[18:19], v[10:11], v[2:3] op_sel:[0,1]
	s_wait_dscnt 0x2
	v_mul_f32_e32 v40, v25, v0
	v_pk_fma_f32 v[38:39], v[8:9], v[0:1], v[28:29] op_sel:[0,0,1] op_sel_hi:[1,1,0] neg_lo:[0,0,1] neg_hi:[0,0,1]
	v_pk_fma_f32 v[8:9], v[8:9], v[0:1], v[28:29] op_sel:[0,0,1] op_sel_hi:[1,0,0]
	v_mul_f32_e32 v8, v25, v3
	v_pk_fma_f32 v[28:29], v[10:11], v[0:1], v[18:19] op_sel:[0,0,1] op_sel_hi:[1,0,0]
	v_pk_fma_f32 v[40:41], v[24:25], v[86:87], v[40:41] op_sel:[1,0,0] op_sel_hi:[0,1,0]
	v_pk_fma_f32 v[10:11], v[10:11], v[0:1], v[18:19] op_sel:[0,0,1] op_sel_hi:[1,1,0] neg_lo:[0,0,1] neg_hi:[0,0,1]
	v_pk_mul_f32 v[18:19], v[26:27], v[2:3] op_sel:[0,1]
	s_delay_alu instid0(VALU_DEP_4) | instskip(SKIP_1) | instid1(VALU_DEP_3)
	v_dual_mov_b32 v39, v9 :: v_dual_mov_b32 v11, v29
	v_pk_fma_f32 v[8:9], v[24:25], v[86:87], v[8:9] op_sel_hi:[1,1,0] neg_lo:[0,0,1] neg_hi:[0,0,1]
	v_pk_fma_f32 v[28:29], v[26:27], v[0:1], v[18:19] op_sel:[0,0,1] op_sel_hi:[1,0,0]
	v_mov_b32_e32 v9, v41
	s_wait_dscnt 0x1
	v_pk_mul_f32 v[24:25], v[4:5], v[2:3] op_sel:[0,1]
	v_pk_fma_f32 v[18:19], v[26:27], v[0:1], v[18:19] op_sel:[0,0,1] op_sel_hi:[1,1,0] neg_lo:[0,0,1] neg_hi:[0,0,1]
	v_pk_add_f32 v[122:123], v[122:123], v[10:11] neg_lo:[0,1] neg_hi:[0,1]
	v_mov_b32_e32 v19, v29
	v_pk_add_f32 v[144:145], v[144:145], v[8:9] neg_lo:[0,1] neg_hi:[0,1]
	v_pk_fma_f32 v[26:27], v[4:5], v[0:1], v[24:25] op_sel:[0,0,1] op_sel_hi:[1,0,0]
	ds_load_2addr_b64 v[8:11], v80 offset0:38 offset1:39
	s_wait_dscnt 0x1
	v_pk_mul_f32 v[28:29], v[12:13], v[2:3] op_sel:[0,1]
	v_pk_fma_f32 v[4:5], v[4:5], v[0:1], v[24:25] op_sel:[0,0,1] op_sel_hi:[1,1,0] neg_lo:[0,0,1] neg_hi:[0,0,1]
	v_pk_add_f32 v[140:141], v[140:141], v[18:19] neg_lo:[0,1] neg_hi:[0,1]
	v_pk_add_f32 v[126:127], v[126:127], v[38:39] neg_lo:[0,1] neg_hi:[0,1]
	v_pk_mul_f32 v[38:39], v[6:7], v[2:3] op_sel:[0,1]
	v_pk_fma_f32 v[18:19], v[12:13], v[0:1], v[28:29] op_sel:[0,0,1] op_sel_hi:[1,0,0]
	v_mov_b32_e32 v5, v27
	ds_load_2addr_b64 v[24:27], v80 offset0:40 offset1:41
	v_mul_f32_e32 v18, v15, v3
	v_pk_fma_f32 v[40:41], v[6:7], v[0:1], v[38:39] op_sel:[0,0,1] op_sel_hi:[1,0,0]
	v_pk_add_f32 v[142:143], v[142:143], v[4:5] neg_lo:[0,1] neg_hi:[0,1]
	v_pk_fma_f32 v[4:5], v[6:7], v[0:1], v[38:39] op_sel:[0,0,1] op_sel_hi:[1,1,0] neg_lo:[0,0,1] neg_hi:[0,0,1]
	v_pk_fma_f32 v[6:7], v[12:13], v[0:1], v[28:29] op_sel:[0,0,1] op_sel_hi:[1,1,0] neg_lo:[0,0,1] neg_hi:[0,0,1]
	s_delay_alu instid0(VALU_DEP_4)
	v_dual_mov_b32 v5, v41 :: v_dual_mov_b32 v12, v15
	v_dual_mov_b32 v7, v19 :: v_dual_mov_b32 v13, v14
	v_mul_f32_e32 v28, v15, v0
	s_wait_dscnt 0x1
	v_pk_mul_f32 v[38:39], v[8:9], v[2:3] op_sel:[0,1]
	v_pk_add_f32 v[138:139], v[138:139], v[4:5] neg_lo:[0,1] neg_hi:[0,1]
	v_pk_add_f32 v[166:167], v[166:167], v[6:7] neg_lo:[0,1] neg_hi:[0,1]
	ds_load_2addr_b64 v[4:7], v80 offset0:42 offset1:43
	v_pk_fma_f32 v[14:15], v[14:15], v[86:87], v[18:19] op_sel_hi:[1,1,0] neg_lo:[0,0,1] neg_hi:[0,0,1]
	v_pk_fma_f32 v[12:13], v[12:13], v[86:87], v[28:29] op_sel_hi:[1,1,0]
	v_pk_mul_f32 v[18:19], v[10:11], v[2:3] op_sel:[0,1]
	v_pk_fma_f32 v[28:29], v[8:9], v[0:1], v[38:39] op_sel:[0,0,1] op_sel_hi:[1,0,0]
	s_wait_dscnt 0x1
	v_pk_mul_f32 v[40:41], v[24:25], v[2:3] op_sel:[0,1]
	v_mov_b32_e32 v15, v13
	v_pk_fma_f32 v[12:13], v[8:9], v[0:1], v[38:39] op_sel:[0,0,1] op_sel_hi:[1,1,0] neg_lo:[0,0,1] neg_hi:[0,0,1]
	v_pk_fma_f32 v[38:39], v[10:11], v[0:1], v[18:19] op_sel:[0,0,1] op_sel_hi:[1,0,0]
	v_pk_fma_f32 v[18:19], v[10:11], v[0:1], v[18:19] op_sel:[0,0,1] op_sel_hi:[1,1,0] neg_lo:[0,0,1] neg_hi:[0,0,1]
	ds_load_2addr_b64 v[8:11], v80 offset0:44 offset1:45
	v_mov_b32_e32 v13, v29
	v_pk_fma_f32 v[28:29], v[24:25], v[0:1], v[40:41] op_sel:[0,0,1] op_sel_hi:[1,0,0]
	v_pk_fma_f32 v[24:25], v[24:25], v[0:1], v[40:41] op_sel:[0,0,1] op_sel_hi:[1,1,0] neg_lo:[0,0,1] neg_hi:[0,0,1]
	v_mov_b32_e32 v19, v39
	v_pk_add_f32 v[162:163], v[162:163], v[14:15] neg_lo:[0,1] neg_hi:[0,1]
	v_pk_add_f32 v[164:165], v[164:165], v[12:13] neg_lo:[0,1] neg_hi:[0,1]
	v_mov_b32_e32 v25, v29
	v_pk_mul_f32 v[28:29], v[26:27], v[2:3] op_sel:[0,1]
	ds_load_2addr_b64 v[12:15], v80 offset0:46 offset1:47
	ds_load_b64 v[40:41], v80 offset:384
	v_pk_add_f32 v[160:161], v[160:161], v[18:19] neg_lo:[0,1] neg_hi:[0,1]
	v_pk_add_f32 v[192:193], v[192:193], v[24:25] neg_lo:[0,1] neg_hi:[0,1]
	v_pk_fma_f32 v[24:25], v[26:27], v[0:1], v[28:29] op_sel:[0,0,1] op_sel_hi:[1,0,0]
	s_wait_dscnt 0x3
	v_mul_f32_e32 v24, v5, v0
	v_pk_fma_f32 v[18:19], v[26:27], v[0:1], v[28:29] op_sel:[0,0,1] op_sel_hi:[1,1,0] neg_lo:[0,0,1] neg_hi:[0,0,1]
	v_pk_mul_f32 v[26:27], v[6:7], v[2:3] op_sel:[0,1]
	v_mul_f32_e32 v28, v5, v3
	v_mov_b32_e32 v19, v25
	v_pk_fma_f32 v[24:25], v[4:5], v[86:87], v[24:25] op_sel:[1,0,0] op_sel_hi:[0,1,0]
	s_delay_alu instid0(VALU_DEP_4) | instskip(NEXT) | instid1(VALU_DEP_4)
	v_pk_fma_f32 v[38:39], v[6:7], v[0:1], v[26:27] op_sel:[0,0,1] op_sel_hi:[1,0,0]
	v_pk_fma_f32 v[4:5], v[4:5], v[86:87], v[28:29] op_sel_hi:[1,1,0] neg_lo:[0,0,1] neg_hi:[0,0,1]
	s_wait_dscnt 0x2
	v_pk_mul_f32 v[28:29], v[8:9], v[2:3] op_sel:[0,1]
	v_mov_b32_e32 v5, v25
	v_pk_fma_f32 v[6:7], v[6:7], v[0:1], v[26:27] op_sel:[0,0,1] op_sel_hi:[1,1,0] neg_lo:[0,0,1] neg_hi:[0,0,1]
	v_pk_mul_f32 v[24:25], v[10:11], v[2:3] op_sel:[0,1]
	v_mov_b32_e32 v7, v39
	v_pk_add_f32 v[184:185], v[184:185], v[18:19] neg_lo:[0,1] neg_hi:[0,1]
	v_pk_fma_f32 v[18:19], v[8:9], v[0:1], v[28:29] op_sel:[0,0,1] op_sel_hi:[1,0,0]
	v_pk_add_f32 v[190:191], v[190:191], v[4:5] neg_lo:[0,1] neg_hi:[0,1]
	v_pk_fma_f32 v[4:5], v[8:9], v[0:1], v[28:29] op_sel:[0,0,1] op_sel_hi:[1,1,0] neg_lo:[0,0,1] neg_hi:[0,0,1]
	v_pk_fma_f32 v[8:9], v[10:11], v[0:1], v[24:25] op_sel:[0,0,1] op_sel_hi:[1,0,0]
	v_pk_add_f32 v[182:183], v[182:183], v[6:7] neg_lo:[0,1] neg_hi:[0,1]
	s_wait_dscnt 0x1
	v_dual_mov_b32 v5, v19 :: v_dual_mov_b32 v18, v15
	v_pk_fma_f32 v[6:7], v[10:11], v[0:1], v[24:25] op_sel:[0,0,1] op_sel_hi:[1,1,0] neg_lo:[0,0,1] neg_hi:[0,0,1]
	v_pk_mul_f32 v[10:11], v[12:13], v[2:3] op_sel:[0,1]
	v_dual_mov_b32 v19, v14 :: v_dual_mul_f32 v8, v15, v0
	s_wait_dscnt 0x0
	v_pk_mul_f32 v[24:25], v[40:41], v[2:3] op_sel:[0,1]
	v_dual_mov_b32 v7, v9 :: v_dual_mul_f32 v2, v15, v3
	v_pk_fma_f32 v[26:27], v[12:13], v[0:1], v[10:11] op_sel:[0,0,1] op_sel_hi:[1,0,0]
	v_pk_fma_f32 v[8:9], v[18:19], v[86:87], v[8:9] op_sel_hi:[1,1,0]
	v_pk_fma_f32 v[10:11], v[12:13], v[0:1], v[10:11] op_sel:[0,0,1] op_sel_hi:[1,1,0] neg_lo:[0,0,1] neg_hi:[0,0,1]
	v_pk_fma_f32 v[12:13], v[40:41], v[0:1], v[24:25] op_sel:[0,0,1] op_sel_hi:[1,0,0]
	v_pk_fma_f32 v[2:3], v[14:15], v[86:87], v[2:3] op_sel_hi:[1,1,0] neg_lo:[0,0,1] neg_hi:[0,0,1]
	v_pk_fma_f32 v[0:1], v[40:41], v[0:1], v[24:25] op_sel:[0,0,1] op_sel_hi:[1,1,0] neg_lo:[0,0,1] neg_hi:[0,0,1]
	v_dual_mov_b32 v11, v27 :: v_dual_mov_b32 v3, v9
	s_delay_alu instid0(VALU_DEP_4) | instskip(SKIP_2) | instid1(VALU_DEP_4)
	v_mov_b32_e32 v1, v13
	v_pk_add_f32 v[188:189], v[188:189], v[4:5] neg_lo:[0,1] neg_hi:[0,1]
	v_pk_add_f32 v[180:181], v[180:181], v[6:7] neg_lo:[0,1] neg_hi:[0,1]
	;; [unrolled: 1-line block ×5, first 2 shown]
.LBB97_37:
	s_or_b32 exec_lo, exec_lo, s1
	s_delay_alu instid0(SALU_CYCLE_1)
	s_mov_b32 s2, exec_lo
	s_wait_dscnt 0x0
	s_barrier_signal -1
	s_barrier_wait -1
	v_cmpx_eq_u32_e32 4, v78
	s_cbranch_execz .LBB97_44
; %bb.38:
	ds_store_b64 v79, v[66:67]
	ds_store_2addr_b64 v80, v[62:63], v[22:23] offset0:5 offset1:6
	ds_store_2addr_b64 v80, v[20:21], v[36:37] offset0:7 offset1:8
	;; [unrolled: 1-line block ×22, first 2 shown]
	ds_load_b64 v[0:1], v79
	s_wait_dscnt 0x0
	v_cmp_neq_f32_e32 vcc_lo, 0, v0
	v_cmp_neq_f32_e64 s1, 0, v1
	s_or_b32 s1, vcc_lo, s1
	s_delay_alu instid0(SALU_CYCLE_1)
	s_and_b32 exec_lo, exec_lo, s1
	s_cbranch_execz .LBB97_44
; %bb.39:
	v_cmp_ngt_f32_e64 s1, |v0|, |v1|
                                        ; implicit-def: $vgpr2_vgpr3
	s_and_saveexec_b32 s4, s1
	s_delay_alu instid0(SALU_CYCLE_1)
	s_xor_b32 s1, exec_lo, s4
	s_cbranch_execz .LBB97_41
; %bb.40:
	v_div_scale_f32 v2, null, v1, v1, v0
	v_div_scale_f32 v5, vcc_lo, v0, v1, v0
	s_delay_alu instid0(VALU_DEP_2) | instskip(SKIP_1) | instid1(TRANS32_DEP_1)
	v_rcp_f32_e32 v3, v2
	v_nop
	v_fma_f32 v4, -v2, v3, 1.0
	s_delay_alu instid0(VALU_DEP_1) | instskip(NEXT) | instid1(VALU_DEP_1)
	v_fmac_f32_e32 v3, v4, v3
	v_mul_f32_e32 v4, v5, v3
	s_delay_alu instid0(VALU_DEP_1) | instskip(NEXT) | instid1(VALU_DEP_1)
	v_fma_f32 v6, -v2, v4, v5
	v_fmac_f32_e32 v4, v6, v3
	s_delay_alu instid0(VALU_DEP_1) | instskip(NEXT) | instid1(VALU_DEP_1)
	v_fma_f32 v2, -v2, v4, v5
	v_div_fmas_f32 v2, v2, v3, v4
	s_delay_alu instid0(VALU_DEP_1) | instskip(NEXT) | instid1(VALU_DEP_1)
	v_div_fixup_f32 v2, v2, v1, v0
	v_fmac_f32_e32 v1, v0, v2
	s_delay_alu instid0(VALU_DEP_1) | instskip(SKIP_1) | instid1(VALU_DEP_2)
	v_div_scale_f32 v0, null, v1, v1, 1.0
	v_div_scale_f32 v5, vcc_lo, 1.0, v1, 1.0
	v_rcp_f32_e32 v3, v0
	v_nop
	s_delay_alu instid0(TRANS32_DEP_1) | instskip(NEXT) | instid1(VALU_DEP_1)
	v_fma_f32 v4, -v0, v3, 1.0
	v_fmac_f32_e32 v3, v4, v3
	s_delay_alu instid0(VALU_DEP_1) | instskip(NEXT) | instid1(VALU_DEP_1)
	v_mul_f32_e32 v4, v5, v3
	v_fma_f32 v6, -v0, v4, v5
	s_delay_alu instid0(VALU_DEP_1) | instskip(NEXT) | instid1(VALU_DEP_1)
	v_fmac_f32_e32 v4, v6, v3
	v_fma_f32 v0, -v0, v4, v5
	s_delay_alu instid0(VALU_DEP_1) | instskip(NEXT) | instid1(VALU_DEP_1)
	v_div_fmas_f32 v0, v0, v3, v4
	v_div_fixup_f32 v0, v0, v1, 1.0
	s_delay_alu instid0(VALU_DEP_1)
	v_mul_f32_e32 v2, v2, v0
	v_xor_b32_e32 v3, 0x80000000, v0
                                        ; implicit-def: $vgpr0_vgpr1
.LBB97_41:
	s_and_not1_saveexec_b32 s1, s1
	s_cbranch_execz .LBB97_43
; %bb.42:
	v_div_scale_f32 v2, null, v0, v0, v1
	v_div_scale_f32 v5, vcc_lo, v1, v0, v1
	s_delay_alu instid0(VALU_DEP_2) | instskip(SKIP_1) | instid1(TRANS32_DEP_1)
	v_rcp_f32_e32 v3, v2
	v_nop
	v_fma_f32 v4, -v2, v3, 1.0
	s_delay_alu instid0(VALU_DEP_1) | instskip(NEXT) | instid1(VALU_DEP_1)
	v_fmac_f32_e32 v3, v4, v3
	v_mul_f32_e32 v4, v5, v3
	s_delay_alu instid0(VALU_DEP_1) | instskip(NEXT) | instid1(VALU_DEP_1)
	v_fma_f32 v6, -v2, v4, v5
	v_fmac_f32_e32 v4, v6, v3
	s_delay_alu instid0(VALU_DEP_1) | instskip(NEXT) | instid1(VALU_DEP_1)
	v_fma_f32 v2, -v2, v4, v5
	v_div_fmas_f32 v2, v2, v3, v4
	s_delay_alu instid0(VALU_DEP_1) | instskip(NEXT) | instid1(VALU_DEP_1)
	v_div_fixup_f32 v3, v2, v0, v1
	v_fmac_f32_e32 v0, v1, v3
	s_delay_alu instid0(VALU_DEP_1) | instskip(NEXT) | instid1(VALU_DEP_1)
	v_div_scale_f32 v1, null, v0, v0, 1.0
	v_rcp_f32_e32 v2, v1
	v_nop
	s_delay_alu instid0(TRANS32_DEP_1) | instskip(NEXT) | instid1(VALU_DEP_1)
	v_fma_f32 v4, -v1, v2, 1.0
	v_fmac_f32_e32 v2, v4, v2
	v_div_scale_f32 v4, vcc_lo, 1.0, v0, 1.0
	s_delay_alu instid0(VALU_DEP_1) | instskip(NEXT) | instid1(VALU_DEP_1)
	v_mul_f32_e32 v5, v4, v2
	v_fma_f32 v6, -v1, v5, v4
	s_delay_alu instid0(VALU_DEP_1) | instskip(NEXT) | instid1(VALU_DEP_1)
	v_fmac_f32_e32 v5, v6, v2
	v_fma_f32 v1, -v1, v5, v4
	s_delay_alu instid0(VALU_DEP_1) | instskip(NEXT) | instid1(VALU_DEP_1)
	v_div_fmas_f32 v1, v1, v2, v5
	v_div_fixup_f32 v2, v1, v0, 1.0
	s_delay_alu instid0(VALU_DEP_1)
	v_mul_f32_e64 v3, v3, -v2
.LBB97_43:
	s_or_b32 exec_lo, exec_lo, s1
	ds_store_b64 v79, v[2:3]
.LBB97_44:
	s_or_b32 exec_lo, exec_lo, s2
	s_wait_dscnt 0x0
	s_barrier_signal -1
	s_barrier_wait -1
	ds_load_b64 v[0:1], v79
	s_mov_b32 s1, exec_lo
	s_wait_dscnt 0x0
	scratch_store_b64 off, v[0:1], off      ; 8-byte Folded Spill
	s_wait_xcnt 0x0
	v_cmpx_lt_u32_e32 4, v78
	s_cbranch_execz .LBB97_46
; %bb.45:
	ds_load_2addr_b64 v[4:7], v80 offset0:5 offset1:6
	ds_load_2addr_b64 v[8:11], v80 offset0:7 offset1:8
	;; [unrolled: 1-line block ×3, first 2 shown]
	scratch_load_b64 v[18:19], off, off     ; 8-byte Folded Reload
	ds_load_2addr_b64 v[24:27], v80 offset0:11 offset1:12
	ds_load_2addr_b64 v[38:41], v80 offset0:13 offset1:14
	s_wait_dscnt 0x3
	v_dual_mov_b32 v44, v11 :: v_dual_mov_b32 v45, v10
	s_wait_loadcnt 0x0
	v_pk_mul_f32 v[2:3], v[18:19], v[66:67] op_sel:[1,1] op_sel_hi:[0,1]
	s_delay_alu instid0(VALU_DEP_1) | instskip(SKIP_1) | instid1(VALU_DEP_1)
	v_pk_fma_f32 v[0:1], v[18:19], v[66:67], v[2:3] op_sel_hi:[1,0,1] neg_lo:[0,0,1] neg_hi:[0,0,1]
	v_pk_fma_f32 v[2:3], v[18:19], v[66:67], v[2:3] op_sel_hi:[1,0,1]
	v_dual_mov_b32 v66, v0 :: v_dual_mov_b32 v67, v3
	s_delay_alu instid0(VALU_DEP_2) | instskip(SKIP_3) | instid1(VALU_DEP_4)
	v_pk_mul_f32 v[18:19], v[4:5], v[2:3] op_sel:[0,1]
	v_pk_mul_f32 v[28:29], v[6:7], v[2:3] op_sel:[0,1]
	;; [unrolled: 1-line block ×3, first 2 shown]
	v_dual_mul_f32 v54, v11, v3 :: v_dual_mul_f32 v56, v11, v0
	v_pk_fma_f32 v[82:83], v[4:5], v[0:1], v[18:19] op_sel:[0,0,1] op_sel_hi:[1,1,0] neg_lo:[0,0,1] neg_hi:[0,0,1]
	v_pk_fma_f32 v[4:5], v[4:5], v[0:1], v[18:19] op_sel:[0,0,1] op_sel_hi:[1,0,0]
	v_pk_fma_f32 v[18:19], v[6:7], v[0:1], v[28:29] op_sel:[0,0,1] op_sel_hi:[1,1,0] neg_lo:[0,0,1] neg_hi:[0,0,1]
	v_pk_fma_f32 v[6:7], v[6:7], v[0:1], v[28:29] op_sel:[0,0,1] op_sel_hi:[1,0,0]
	;; [unrolled: 2-line block ×3, first 2 shown]
	v_pk_fma_f32 v[42:43], v[44:45], v[66:67], v[56:57] op_sel_hi:[1,1,0]
	v_pk_fma_f32 v[10:11], v[10:11], v[66:67], v[54:55] op_sel_hi:[1,1,0] neg_lo:[0,0,1] neg_hi:[0,0,1]
	s_wait_dscnt 0x2
	v_pk_mul_f32 v[58:59], v[12:13], v[2:3] op_sel:[0,1]
	v_pk_mul_f32 v[60:61], v[14:15], v[2:3] op_sel:[0,1]
	v_dual_mov_b32 v29, v9 :: v_dual_mov_b32 v11, v43
	v_dual_mov_b32 v83, v5 :: v_dual_mov_b32 v19, v7
	s_delay_alu instid0(VALU_DEP_4)
	v_pk_fma_f32 v[8:9], v[12:13], v[0:1], v[58:59] op_sel:[0,0,1] op_sel_hi:[1,0,0]
	ds_load_2addr_b64 v[4:7], v80 offset0:15 offset1:16
	v_pk_add_f32 v[36:37], v[36:37], v[10:11] neg_lo:[0,1] neg_hi:[0,1]
	s_wait_dscnt 0x2
	v_pk_mul_f32 v[10:11], v[24:25], v[2:3] op_sel:[0,1]
	v_pk_add_f32 v[22:23], v[22:23], v[18:19] neg_lo:[0,1] neg_hi:[0,1]
	v_pk_fma_f32 v[18:19], v[14:15], v[0:1], v[60:61] op_sel:[0,0,1] op_sel_hi:[1,0,0]
	v_pk_fma_f32 v[12:13], v[12:13], v[0:1], v[58:59] op_sel:[0,0,1] op_sel_hi:[1,1,0] neg_lo:[0,0,1] neg_hi:[0,0,1]
	v_mov_b32_e32 v13, v9
	v_pk_fma_f32 v[8:9], v[24:25], v[0:1], v[10:11] op_sel:[0,0,1] op_sel_hi:[1,0,0]
	v_pk_fma_f32 v[14:15], v[14:15], v[0:1], v[60:61] op_sel:[0,0,1] op_sel_hi:[1,1,0] neg_lo:[0,0,1] neg_hi:[0,0,1]
	v_mov_b32_e32 v15, v19
	v_pk_mul_f32 v[18:19], v[26:27], v[2:3] op_sel:[0,1]
	v_pk_fma_f32 v[24:25], v[24:25], v[0:1], v[10:11] op_sel:[0,0,1] op_sel_hi:[1,1,0] neg_lo:[0,0,1] neg_hi:[0,0,1]
	v_mov_b32_e32 v25, v9
	ds_load_2addr_b64 v[8:11], v80 offset0:17 offset1:18
	v_pk_add_f32 v[32:33], v[32:33], v[12:13] neg_lo:[0,1] neg_hi:[0,1]
	v_pk_fma_f32 v[12:13], v[26:27], v[0:1], v[18:19] op_sel:[0,0,1] op_sel_hi:[1,0,0]
	s_wait_dscnt 0x2
	v_mul_f32_e32 v12, v39, v0
	v_pk_add_f32 v[34:35], v[34:35], v[14:15] neg_lo:[0,1] neg_hi:[0,1]
	v_pk_fma_f32 v[14:15], v[26:27], v[0:1], v[18:19] op_sel:[0,0,1] op_sel_hi:[1,1,0] neg_lo:[0,0,1] neg_hi:[0,0,1]
	v_dual_mul_f32 v18, v39, v3 :: v_dual_mov_b32 v15, v13
	v_pk_add_f32 v[30:31], v[30:31], v[24:25] neg_lo:[0,1] neg_hi:[0,1]
	v_pk_mul_f32 v[24:25], v[40:41], v[2:3] op_sel:[0,1]
	v_pk_fma_f32 v[12:13], v[38:39], v[66:67], v[12:13] op_sel:[1,0,0] op_sel_hi:[0,1,0]
	s_wait_dscnt 0x1
	v_pk_mul_f32 v[26:27], v[4:5], v[2:3] op_sel:[0,1]
	v_pk_fma_f32 v[18:19], v[38:39], v[66:67], v[18:19] op_sel_hi:[1,1,0] neg_lo:[0,0,1] neg_hi:[0,0,1]
	v_pk_add_f32 v[20:21], v[20:21], v[28:29] neg_lo:[0,1] neg_hi:[0,1]
	v_pk_fma_f32 v[28:29], v[40:41], v[0:1], v[24:25] op_sel:[0,0,1] op_sel_hi:[1,0,0]
	v_mov_b32_e32 v19, v13
	v_pk_fma_f32 v[38:39], v[4:5], v[0:1], v[26:27] op_sel:[0,0,1] op_sel_hi:[1,0,0]
	v_pk_fma_f32 v[4:5], v[4:5], v[0:1], v[26:27] op_sel:[0,0,1] op_sel_hi:[1,1,0] neg_lo:[0,0,1] neg_hi:[0,0,1]
	v_pk_mul_f32 v[26:27], v[6:7], v[2:3] op_sel:[0,1]
	v_pk_fma_f32 v[24:25], v[40:41], v[0:1], v[24:25] op_sel:[0,0,1] op_sel_hi:[1,1,0] neg_lo:[0,0,1] neg_hi:[0,0,1]
	v_pk_add_f32 v[52:53], v[52:53], v[14:15] neg_lo:[0,1] neg_hi:[0,1]
	ds_load_2addr_b64 v[12:15], v80 offset0:19 offset1:20
	v_mov_b32_e32 v25, v29
	s_wait_dscnt 0x1
	v_pk_mul_f32 v[28:29], v[8:9], v[2:3] op_sel:[0,1]
	v_pk_add_f32 v[48:49], v[48:49], v[18:19] neg_lo:[0,1] neg_hi:[0,1]
	v_pk_fma_f32 v[18:19], v[6:7], v[0:1], v[26:27] op_sel:[0,0,1] op_sel_hi:[1,0,0]
	v_mov_b32_e32 v5, v39
	v_pk_fma_f32 v[26:27], v[6:7], v[0:1], v[26:27] op_sel:[0,0,1] op_sel_hi:[1,1,0] neg_lo:[0,0,1] neg_hi:[0,0,1]
	v_pk_add_f32 v[50:51], v[50:51], v[24:25] neg_lo:[0,1] neg_hi:[0,1]
	v_pk_fma_f32 v[24:25], v[8:9], v[0:1], v[28:29] op_sel:[0,0,1] op_sel_hi:[1,0,0]
	v_mov_b32_e32 v27, v19
	v_pk_add_f32 v[46:47], v[46:47], v[4:5] neg_lo:[0,1] neg_hi:[0,1]
	ds_load_2addr_b64 v[4:7], v80 offset0:21 offset1:22
	v_pk_fma_f32 v[8:9], v[8:9], v[0:1], v[28:29] op_sel:[0,0,1] op_sel_hi:[1,1,0] neg_lo:[0,0,1] neg_hi:[0,0,1]
	v_dual_mov_b32 v9, v25 :: v_dual_mov_b32 v18, v11
	v_dual_mov_b32 v19, v10 :: v_dual_mul_f32 v24, v11, v0
	v_pk_add_f32 v[76:77], v[76:77], v[26:27] neg_lo:[0,1] neg_hi:[0,1]
	s_delay_alu instid0(VALU_DEP_3)
	v_pk_add_f32 v[72:73], v[72:73], v[8:9] neg_lo:[0,1] neg_hi:[0,1]
	v_pk_add_f32 v[62:63], v[62:63], v[82:83] neg_lo:[0,1] neg_hi:[0,1]
	s_wait_dscnt 0x1
	v_pk_mul_f32 v[28:29], v[12:13], v[2:3] op_sel:[0,1]
	v_pk_fma_f32 v[18:19], v[18:19], v[66:67], v[24:25] op_sel_hi:[1,1,0]
	ds_load_2addr_b64 v[24:27], v80 offset0:23 offset1:24
	v_mul_f32_e32 v8, v11, v3
	v_pk_mul_f32 v[40:41], v[14:15], v[2:3] op_sel:[0,1]
	v_pk_fma_f32 v[38:39], v[12:13], v[0:1], v[28:29] op_sel:[0,0,1] op_sel_hi:[1,0,0]
	v_pk_fma_f32 v[12:13], v[12:13], v[0:1], v[28:29] op_sel:[0,0,1] op_sel_hi:[1,1,0] neg_lo:[0,0,1] neg_hi:[0,0,1]
	s_delay_alu instid0(VALU_DEP_4) | instskip(NEXT) | instid1(VALU_DEP_3)
	v_pk_fma_f32 v[42:43], v[10:11], v[66:67], v[8:9] op_sel_hi:[1,1,0] neg_lo:[0,0,1] neg_hi:[0,0,1]
	v_dual_mov_b32 v43, v19 :: v_dual_mov_b32 v13, v39
	v_pk_fma_f32 v[18:19], v[14:15], v[0:1], v[40:41] op_sel:[0,0,1] op_sel_hi:[1,0,0]
	s_wait_dscnt 0x1
	v_pk_mul_f32 v[28:29], v[4:5], v[2:3] op_sel:[0,1]
	ds_load_2addr_b64 v[8:11], v80 offset0:25 offset1:26
	v_pk_fma_f32 v[14:15], v[14:15], v[0:1], v[40:41] op_sel:[0,0,1] op_sel_hi:[1,1,0] neg_lo:[0,0,1] neg_hi:[0,0,1]
	v_pk_add_f32 v[70:71], v[70:71], v[12:13] neg_lo:[0,1] neg_hi:[0,1]
	v_pk_add_f32 v[74:75], v[74:75], v[42:43] neg_lo:[0,1] neg_hi:[0,1]
	v_pk_fma_f32 v[38:39], v[4:5], v[0:1], v[28:29] op_sel:[0,0,1] op_sel_hi:[1,0,0]
	v_mov_b32_e32 v15, v19
	v_pk_mul_f32 v[18:19], v[6:7], v[2:3] op_sel:[0,1]
	v_pk_fma_f32 v[4:5], v[4:5], v[0:1], v[28:29] op_sel:[0,0,1] op_sel_hi:[1,1,0] neg_lo:[0,0,1] neg_hi:[0,0,1]
	s_delay_alu instid0(VALU_DEP_4) | instskip(NEXT) | instid1(VALU_DEP_4)
	v_mov_b32_e32 v5, v39
	v_pk_add_f32 v[94:95], v[94:95], v[14:15] neg_lo:[0,1] neg_hi:[0,1]
	s_delay_alu instid0(VALU_DEP_4)
	v_pk_fma_f32 v[28:29], v[6:7], v[0:1], v[18:19] op_sel:[0,0,1] op_sel_hi:[1,0,0]
	ds_load_2addr_b64 v[12:15], v80 offset0:27 offset1:28
	v_pk_fma_f32 v[6:7], v[6:7], v[0:1], v[18:19] op_sel:[0,0,1] op_sel_hi:[1,1,0] neg_lo:[0,0,1] neg_hi:[0,0,1]
	s_wait_dscnt 0x2
	v_dual_mul_f32 v18, v25, v0 :: v_dual_mul_f32 v28, v25, v3
	v_pk_add_f32 v[90:91], v[90:91], v[4:5] neg_lo:[0,1] neg_hi:[0,1]
	v_pk_mul_f32 v[4:5], v[26:27], v[2:3] op_sel:[0,1]
	s_delay_alu instid0(VALU_DEP_3)
	v_pk_fma_f32 v[18:19], v[24:25], v[66:67], v[18:19] op_sel:[1,0,0] op_sel_hi:[0,1,0]
	v_mov_b32_e32 v7, v29
	v_pk_fma_f32 v[24:25], v[24:25], v[66:67], v[28:29] op_sel_hi:[1,1,0] neg_lo:[0,0,1] neg_hi:[0,0,1]
	s_wait_dscnt 0x1
	v_pk_mul_f32 v[38:39], v[8:9], v[2:3] op_sel:[0,1]
	v_pk_mul_f32 v[28:29], v[10:11], v[2:3] op_sel:[0,1]
	v_mov_b32_e32 v25, v19
	v_pk_add_f32 v[92:93], v[92:93], v[6:7] neg_lo:[0,1] neg_hi:[0,1]
	v_pk_fma_f32 v[6:7], v[26:27], v[0:1], v[4:5] op_sel:[0,0,1] op_sel_hi:[1,0,0]
	v_pk_fma_f32 v[18:19], v[26:27], v[0:1], v[4:5] op_sel:[0,0,1] op_sel_hi:[1,1,0] neg_lo:[0,0,1] neg_hi:[0,0,1]
	v_pk_fma_f32 v[26:27], v[8:9], v[0:1], v[38:39] op_sel:[0,0,1] op_sel_hi:[1,0,0]
	v_pk_fma_f32 v[8:9], v[8:9], v[0:1], v[38:39] op_sel:[0,0,1] op_sel_hi:[1,1,0] neg_lo:[0,0,1] neg_hi:[0,0,1]
	v_pk_add_f32 v[88:89], v[88:89], v[24:25] neg_lo:[0,1] neg_hi:[0,1]
	v_mov_b32_e32 v19, v7
	ds_load_2addr_b64 v[4:7], v80 offset0:29 offset1:30
	v_pk_add_f32 v[112:113], v[112:113], v[18:19] neg_lo:[0,1] neg_hi:[0,1]
	v_pk_fma_f32 v[18:19], v[10:11], v[0:1], v[28:29] op_sel:[0,0,1] op_sel_hi:[1,0,0]
	v_mov_b32_e32 v9, v27
	s_wait_dscnt 0x1
	v_pk_mul_f32 v[26:27], v[12:13], v[2:3] op_sel:[0,1]
	v_pk_fma_f32 v[28:29], v[10:11], v[0:1], v[28:29] op_sel:[0,0,1] op_sel_hi:[1,1,0] neg_lo:[0,0,1] neg_hi:[0,0,1]
	v_dual_mov_b32 v18, v15 :: v_dual_mov_b32 v29, v19
	v_pk_add_f32 v[108:109], v[108:109], v[8:9] neg_lo:[0,1] neg_hi:[0,1]
	s_delay_alu instid0(VALU_DEP_4)
	v_pk_fma_f32 v[24:25], v[12:13], v[0:1], v[26:27] op_sel:[0,0,1] op_sel_hi:[1,0,0]
	ds_load_2addr_b64 v[8:11], v80 offset0:31 offset1:32
	v_pk_fma_f32 v[12:13], v[12:13], v[0:1], v[26:27] op_sel:[0,0,1] op_sel_hi:[1,1,0] neg_lo:[0,0,1] neg_hi:[0,0,1]
	v_dual_mov_b32 v19, v14 :: v_dual_mul_f32 v24, v15, v0
	v_mov_b32_e32 v13, v25
	v_pk_add_f32 v[110:111], v[110:111], v[28:29] neg_lo:[0,1] neg_hi:[0,1]
	s_wait_dscnt 0x1
	v_pk_mul_f32 v[38:39], v[6:7], v[2:3] op_sel:[0,1]
	v_pk_fma_f32 v[18:19], v[18:19], v[66:67], v[24:25] op_sel_hi:[1,1,0]
	v_pk_add_f32 v[106:107], v[106:107], v[12:13] neg_lo:[0,1] neg_hi:[0,1]
	v_pk_mul_f32 v[12:13], v[4:5], v[2:3] op_sel:[0,1]
	ds_load_2addr_b64 v[24:27], v80 offset0:33 offset1:34
	v_pk_fma_f32 v[40:41], v[4:5], v[0:1], v[12:13] op_sel:[0,0,1] op_sel_hi:[1,0,0]
	v_mul_f32_e32 v28, v15, v3
	v_pk_fma_f32 v[4:5], v[4:5], v[0:1], v[12:13] op_sel:[0,0,1] op_sel_hi:[1,1,0] neg_lo:[0,0,1] neg_hi:[0,0,1]
	s_delay_alu instid0(VALU_DEP_3) | instskip(NEXT) | instid1(VALU_DEP_3)
	v_mov_b32_e32 v5, v41
	v_pk_fma_f32 v[28:29], v[14:15], v[66:67], v[28:29] op_sel_hi:[1,1,0] neg_lo:[0,0,1] neg_hi:[0,0,1]
	v_mov_b32_e32 v29, v19
	v_pk_fma_f32 v[18:19], v[6:7], v[0:1], v[38:39] op_sel:[0,0,1] op_sel_hi:[1,0,0]
	s_wait_dscnt 0x1
	v_pk_mul_f32 v[40:41], v[8:9], v[2:3] op_sel:[0,1]
	v_pk_fma_f32 v[6:7], v[6:7], v[0:1], v[38:39] op_sel:[0,0,1] op_sel_hi:[1,1,0] neg_lo:[0,0,1] neg_hi:[0,0,1]
	ds_load_2addr_b64 v[12:15], v80 offset0:35 offset1:36
	v_pk_add_f32 v[124:125], v[124:125], v[4:5] neg_lo:[0,1] neg_hi:[0,1]
	v_mov_b32_e32 v7, v19
	v_pk_add_f32 v[128:129], v[128:129], v[28:29] neg_lo:[0,1] neg_hi:[0,1]
	v_pk_mul_f32 v[18:19], v[10:11], v[2:3] op_sel:[0,1]
	v_pk_fma_f32 v[28:29], v[8:9], v[0:1], v[40:41] op_sel:[0,0,1] op_sel_hi:[1,0,0]
	v_pk_fma_f32 v[8:9], v[8:9], v[0:1], v[40:41] op_sel:[0,0,1] op_sel_hi:[1,1,0] neg_lo:[0,0,1] neg_hi:[0,0,1]
	v_pk_add_f32 v[126:127], v[126:127], v[6:7] neg_lo:[0,1] neg_hi:[0,1]
	ds_load_2addr_b64 v[4:7], v80 offset0:37 offset1:38
	v_pk_fma_f32 v[38:39], v[10:11], v[0:1], v[18:19] op_sel:[0,0,1] op_sel_hi:[1,0,0]
	v_mov_b32_e32 v9, v29
	v_pk_fma_f32 v[10:11], v[10:11], v[0:1], v[18:19] op_sel:[0,0,1] op_sel_hi:[1,1,0] neg_lo:[0,0,1] neg_hi:[0,0,1]
	s_wait_dscnt 0x2
	s_delay_alu instid0(VALU_DEP_3) | instskip(NEXT) | instid1(VALU_DEP_3)
	v_dual_mul_f32 v28, v25, v0 :: v_dual_mov_b32 v11, v39
	v_pk_add_f32 v[122:123], v[122:123], v[8:9] neg_lo:[0,1] neg_hi:[0,1]
	v_mul_f32_e32 v8, v25, v3
	s_delay_alu instid0(VALU_DEP_3)
	v_pk_fma_f32 v[18:19], v[24:25], v[66:67], v[28:29] op_sel:[1,0,0] op_sel_hi:[0,1,0]
	v_pk_mul_f32 v[28:29], v[26:27], v[2:3] op_sel:[0,1]
	v_pk_add_f32 v[144:145], v[144:145], v[10:11] neg_lo:[0,1] neg_hi:[0,1]
	s_wait_dscnt 0x1
	v_pk_mul_f32 v[38:39], v[12:13], v[2:3] op_sel:[0,1]
	v_pk_fma_f32 v[24:25], v[24:25], v[66:67], v[8:9] op_sel_hi:[1,1,0] neg_lo:[0,0,1] neg_hi:[0,0,1]
	ds_load_2addr_b64 v[8:11], v80 offset0:39 offset1:40
	v_mov_b32_e32 v25, v19
	v_pk_fma_f32 v[18:19], v[26:27], v[0:1], v[28:29] op_sel:[0,0,1] op_sel_hi:[1,0,0]
	v_pk_mul_f32 v[40:41], v[14:15], v[2:3] op_sel:[0,1]
	v_pk_fma_f32 v[26:27], v[26:27], v[0:1], v[28:29] op_sel:[0,0,1] op_sel_hi:[1,1,0] neg_lo:[0,0,1] neg_hi:[0,0,1]
	v_pk_fma_f32 v[42:43], v[12:13], v[0:1], v[38:39] op_sel:[0,0,1] op_sel_hi:[1,0,0]
	s_wait_dscnt 0x1
	v_pk_mul_f32 v[28:29], v[4:5], v[2:3] op_sel:[0,1]
	v_mov_b32_e32 v27, v19
	v_pk_fma_f32 v[18:19], v[14:15], v[0:1], v[40:41] op_sel:[0,0,1] op_sel_hi:[1,0,0]
	v_pk_fma_f32 v[12:13], v[12:13], v[0:1], v[38:39] op_sel:[0,0,1] op_sel_hi:[1,1,0] neg_lo:[0,0,1] neg_hi:[0,0,1]
	v_pk_fma_f32 v[14:15], v[14:15], v[0:1], v[40:41] op_sel:[0,0,1] op_sel_hi:[1,1,0] neg_lo:[0,0,1] neg_hi:[0,0,1]
	v_mov_b32_e32 v13, v43
	v_pk_add_f32 v[140:141], v[140:141], v[24:25] neg_lo:[0,1] neg_hi:[0,1]
	v_mov_b32_e32 v15, v19
	v_pk_fma_f32 v[18:19], v[4:5], v[0:1], v[28:29] op_sel:[0,0,1] op_sel_hi:[1,0,0]
	v_pk_fma_f32 v[4:5], v[4:5], v[0:1], v[28:29] op_sel:[0,0,1] op_sel_hi:[1,1,0] neg_lo:[0,0,1] neg_hi:[0,0,1]
	v_pk_add_f32 v[138:139], v[138:139], v[12:13] neg_lo:[0,1] neg_hi:[0,1]
	v_mov_b32_e32 v18, v7
	v_pk_add_f32 v[166:167], v[166:167], v[14:15] neg_lo:[0,1] neg_hi:[0,1]
	ds_load_2addr_b64 v[12:15], v80 offset0:41 offset1:42
	v_mov_b32_e32 v5, v19
	s_wait_dscnt 0x1
	v_pk_mul_f32 v[38:39], v[8:9], v[2:3] op_sel:[0,1]
	v_dual_mov_b32 v19, v6 :: v_dual_mul_f32 v28, v7, v0
	v_pk_mul_f32 v[42:43], v[10:11], v[2:3] op_sel:[0,1]
	v_pk_add_f32 v[162:163], v[162:163], v[4:5] neg_lo:[0,1] neg_hi:[0,1]
	s_delay_alu instid0(VALU_DEP_4)
	v_pk_fma_f32 v[4:5], v[8:9], v[0:1], v[38:39] op_sel:[0,0,1] op_sel_hi:[1,0,0]
	v_mul_f32_e32 v40, v7, v3
	v_pk_fma_f32 v[18:19], v[18:19], v[66:67], v[28:29] op_sel_hi:[1,1,0]
	v_pk_fma_f32 v[8:9], v[8:9], v[0:1], v[38:39] op_sel:[0,0,1] op_sel_hi:[1,1,0] neg_lo:[0,0,1] neg_hi:[0,0,1]
	v_pk_add_f32 v[142:143], v[142:143], v[26:27] neg_lo:[0,1] neg_hi:[0,1]
	v_mov_b32_e32 v9, v5
	v_pk_fma_f32 v[6:7], v[6:7], v[66:67], v[40:41] op_sel_hi:[1,1,0] neg_lo:[0,0,1] neg_hi:[0,0,1]
	ds_load_2addr_b64 v[24:27], v80 offset0:43 offset1:44
	v_pk_fma_f32 v[28:29], v[10:11], v[0:1], v[42:43] op_sel:[0,0,1] op_sel_hi:[1,0,0]
	v_mov_b32_e32 v7, v19
	v_pk_fma_f32 v[10:11], v[10:11], v[0:1], v[42:43] op_sel:[0,0,1] op_sel_hi:[1,1,0] neg_lo:[0,0,1] neg_hi:[0,0,1]
	v_pk_add_f32 v[160:161], v[160:161], v[8:9] neg_lo:[0,1] neg_hi:[0,1]
	s_delay_alu instid0(VALU_DEP_4) | instskip(NEXT) | instid1(VALU_DEP_4)
	v_mov_b32_e32 v11, v29
	v_pk_add_f32 v[164:165], v[164:165], v[6:7] neg_lo:[0,1] neg_hi:[0,1]
	ds_load_2addr_b64 v[4:7], v80 offset0:45 offset1:46
	s_wait_dscnt 0x2
	v_pk_mul_f32 v[18:19], v[12:13], v[2:3] op_sel:[0,1]
	v_pk_mul_f32 v[38:39], v[14:15], v[2:3] op_sel:[0,1]
	v_pk_add_f32 v[192:193], v[192:193], v[10:11] neg_lo:[0,1] neg_hi:[0,1]
	ds_load_2addr_b64 v[8:11], v80 offset0:47 offset1:48
	v_pk_fma_f32 v[28:29], v[12:13], v[0:1], v[18:19] op_sel:[0,0,1] op_sel_hi:[1,0,0]
	v_pk_fma_f32 v[12:13], v[12:13], v[0:1], v[18:19] op_sel:[0,0,1] op_sel_hi:[1,1,0] neg_lo:[0,0,1] neg_hi:[0,0,1]
	v_pk_fma_f32 v[18:19], v[14:15], v[0:1], v[38:39] op_sel:[0,0,1] op_sel_hi:[1,0,0]
	v_pk_fma_f32 v[14:15], v[14:15], v[0:1], v[38:39] op_sel:[0,0,1] op_sel_hi:[1,1,0] neg_lo:[0,0,1] neg_hi:[0,0,1]
	s_delay_alu instid0(VALU_DEP_4)
	v_mov_b32_e32 v13, v29
	s_wait_dscnt 0x2
	v_dual_mul_f32 v28, v25, v0 :: v_dual_mul_f32 v18, v25, v3
	v_mov_b32_e32 v15, v19
	v_pk_mul_f32 v[38:39], v[26:27], v[2:3] op_sel:[0,1]
	v_pk_add_f32 v[184:185], v[184:185], v[12:13] neg_lo:[0,1] neg_hi:[0,1]
	s_delay_alu instid0(VALU_DEP_4)
	v_pk_fma_f32 v[28:29], v[24:25], v[66:67], v[28:29] op_sel:[1,0,0] op_sel_hi:[0,1,0]
	v_pk_fma_f32 v[18:19], v[24:25], v[66:67], v[18:19] op_sel_hi:[1,1,0] neg_lo:[0,0,1] neg_hi:[0,0,1]
	v_pk_add_f32 v[190:191], v[190:191], v[14:15] neg_lo:[0,1] neg_hi:[0,1]
	s_wait_dscnt 0x1
	v_pk_mul_f32 v[14:15], v[4:5], v[2:3] op_sel:[0,1]
	v_pk_fma_f32 v[12:13], v[26:27], v[0:1], v[38:39] op_sel:[0,0,1] op_sel_hi:[1,0,0]
	s_delay_alu instid0(VALU_DEP_2) | instskip(SKIP_2) | instid1(VALU_DEP_3)
	v_pk_fma_f32 v[24:25], v[4:5], v[0:1], v[14:15] op_sel:[0,0,1] op_sel_hi:[1,0,0]
	v_mov_b32_e32 v19, v29
	v_pk_fma_f32 v[4:5], v[4:5], v[0:1], v[14:15] op_sel:[0,0,1] op_sel_hi:[1,1,0] neg_lo:[0,0,1] neg_hi:[0,0,1]
	v_mov_b32_e32 v5, v25
	s_delay_alu instid0(VALU_DEP_3)
	v_pk_add_f32 v[182:183], v[182:183], v[18:19] neg_lo:[0,1] neg_hi:[0,1]
	v_pk_fma_f32 v[18:19], v[26:27], v[0:1], v[38:39] op_sel:[0,0,1] op_sel_hi:[1,1,0] neg_lo:[0,0,1] neg_hi:[0,0,1]
	v_mov_b32_e32 v19, v13
	v_pk_mul_f32 v[12:13], v[6:7], v[2:3] op_sel:[0,1]
	s_wait_dscnt 0x0
	v_pk_mul_f32 v[26:27], v[8:9], v[2:3] op_sel:[0,1]
	v_pk_mul_f32 v[2:3], v[10:11], v[2:3] op_sel:[0,1]
	v_pk_add_f32 v[180:181], v[180:181], v[4:5] neg_lo:[0,1] neg_hi:[0,1]
	v_pk_fma_f32 v[14:15], v[6:7], v[0:1], v[12:13] op_sel:[0,0,1] op_sel_hi:[1,0,0]
	s_delay_alu instid0(VALU_DEP_4)
	v_pk_fma_f32 v[24:25], v[8:9], v[0:1], v[26:27] op_sel:[0,0,1] op_sel_hi:[1,0,0]
	v_pk_fma_f32 v[6:7], v[6:7], v[0:1], v[12:13] op_sel:[0,0,1] op_sel_hi:[1,1,0] neg_lo:[0,0,1] neg_hi:[0,0,1]
	v_pk_fma_f32 v[12:13], v[10:11], v[0:1], v[2:3] op_sel:[0,0,1] op_sel_hi:[1,0,0]
	v_pk_fma_f32 v[8:9], v[8:9], v[0:1], v[26:27] op_sel:[0,0,1] op_sel_hi:[1,1,0] neg_lo:[0,0,1] neg_hi:[0,0,1]
	v_pk_fma_f32 v[0:1], v[10:11], v[0:1], v[2:3] op_sel:[0,0,1] op_sel_hi:[1,1,0] neg_lo:[0,0,1] neg_hi:[0,0,1]
	v_dual_mov_b32 v7, v15 :: v_dual_mov_b32 v9, v25
	s_delay_alu instid0(VALU_DEP_4) | instskip(SKIP_1) | instid1(VALU_DEP_3)
	v_mov_b32_e32 v1, v13
	v_pk_add_f32 v[188:189], v[188:189], v[18:19] neg_lo:[0,1] neg_hi:[0,1]
	v_pk_add_f32 v[186:187], v[186:187], v[6:7] neg_lo:[0,1] neg_hi:[0,1]
	s_delay_alu instid0(VALU_DEP_4) | instskip(NEXT) | instid1(VALU_DEP_4)
	v_pk_add_f32 v[194:195], v[194:195], v[8:9] neg_lo:[0,1] neg_hi:[0,1]
	v_pk_add_f32 v[196:197], v[196:197], v[0:1] neg_lo:[0,1] neg_hi:[0,1]
.LBB97_46:
	s_wait_xcnt 0x0
	s_or_b32 exec_lo, exec_lo, s1
	s_delay_alu instid0(SALU_CYCLE_1)
	s_mov_b32 s2, exec_lo
	s_wait_storecnt 0x0
	s_barrier_signal -1
	s_barrier_wait -1
	v_cmpx_eq_u32_e32 5, v78
	s_cbranch_execz .LBB97_53
; %bb.47:
	v_dual_mov_b32 v0, v22 :: v_dual_mov_b32 v1, v23
	v_dual_mov_b32 v2, v20 :: v_dual_mov_b32 v3, v21
	;; [unrolled: 1-line block ×8, first 2 shown]
	ds_store_b64 v79, v[62:63]
	ds_store_2addr_b64 v80, v[0:1], v[2:3] offset0:6 offset1:7
	ds_store_2addr_b64 v80, v[4:5], v[6:7] offset0:8 offset1:9
	;; [unrolled: 1-line block ×4, first 2 shown]
	v_dual_mov_b32 v0, v50 :: v_dual_mov_b32 v1, v51
	v_dual_mov_b32 v2, v46 :: v_dual_mov_b32 v3, v47
	;; [unrolled: 1-line block ×12, first 2 shown]
	ds_store_2addr_b64 v80, v[0:1], v[2:3] offset0:14 offset1:15
	ds_store_2addr_b64 v80, v[4:5], v[6:7] offset0:16 offset1:17
	;; [unrolled: 1-line block ×6, first 2 shown]
	v_dual_mov_b32 v0, v110 :: v_dual_mov_b32 v1, v111
	v_dual_mov_b32 v2, v106 :: v_dual_mov_b32 v3, v107
	;; [unrolled: 1-line block ×12, first 2 shown]
	ds_store_2addr_b64 v80, v[0:1], v[2:3] offset0:26 offset1:27
	ds_store_2addr_b64 v80, v[4:5], v[6:7] offset0:28 offset1:29
	;; [unrolled: 1-line block ×6, first 2 shown]
	v_dual_mov_b32 v0, v164 :: v_dual_mov_b32 v1, v165
	v_dual_mov_b32 v2, v160 :: v_dual_mov_b32 v3, v161
	;; [unrolled: 1-line block ×10, first 2 shown]
	ds_store_2addr_b64 v80, v[0:1], v[2:3] offset0:38 offset1:39
	ds_store_2addr_b64 v80, v[4:5], v[6:7] offset0:40 offset1:41
	;; [unrolled: 1-line block ×5, first 2 shown]
	ds_store_b64 v80, v[196:197] offset:384
	ds_load_b64 v[0:1], v79
	s_wait_dscnt 0x0
	v_cmp_neq_f32_e32 vcc_lo, 0, v0
	v_cmp_neq_f32_e64 s1, 0, v1
	s_or_b32 s1, vcc_lo, s1
	s_delay_alu instid0(SALU_CYCLE_1)
	s_and_b32 exec_lo, exec_lo, s1
	s_cbranch_execz .LBB97_53
; %bb.48:
	v_cmp_ngt_f32_e64 s1, |v0|, |v1|
                                        ; implicit-def: $vgpr2_vgpr3
	s_and_saveexec_b32 s4, s1
	s_delay_alu instid0(SALU_CYCLE_1)
	s_xor_b32 s1, exec_lo, s4
	s_cbranch_execz .LBB97_50
; %bb.49:
	v_div_scale_f32 v2, null, v1, v1, v0
	v_div_scale_f32 v5, vcc_lo, v0, v1, v0
	s_delay_alu instid0(VALU_DEP_2) | instskip(SKIP_1) | instid1(TRANS32_DEP_1)
	v_rcp_f32_e32 v3, v2
	v_nop
	v_fma_f32 v4, -v2, v3, 1.0
	s_delay_alu instid0(VALU_DEP_1) | instskip(NEXT) | instid1(VALU_DEP_1)
	v_fmac_f32_e32 v3, v4, v3
	v_mul_f32_e32 v4, v5, v3
	s_delay_alu instid0(VALU_DEP_1) | instskip(NEXT) | instid1(VALU_DEP_1)
	v_fma_f32 v6, -v2, v4, v5
	v_fmac_f32_e32 v4, v6, v3
	s_delay_alu instid0(VALU_DEP_1) | instskip(NEXT) | instid1(VALU_DEP_1)
	v_fma_f32 v2, -v2, v4, v5
	v_div_fmas_f32 v2, v2, v3, v4
	s_delay_alu instid0(VALU_DEP_1) | instskip(NEXT) | instid1(VALU_DEP_1)
	v_div_fixup_f32 v2, v2, v1, v0
	v_fmac_f32_e32 v1, v0, v2
	s_delay_alu instid0(VALU_DEP_1) | instskip(SKIP_1) | instid1(VALU_DEP_2)
	v_div_scale_f32 v0, null, v1, v1, 1.0
	v_div_scale_f32 v5, vcc_lo, 1.0, v1, 1.0
	v_rcp_f32_e32 v3, v0
	v_nop
	s_delay_alu instid0(TRANS32_DEP_1) | instskip(NEXT) | instid1(VALU_DEP_1)
	v_fma_f32 v4, -v0, v3, 1.0
	v_fmac_f32_e32 v3, v4, v3
	s_delay_alu instid0(VALU_DEP_1) | instskip(NEXT) | instid1(VALU_DEP_1)
	v_mul_f32_e32 v4, v5, v3
	v_fma_f32 v6, -v0, v4, v5
	s_delay_alu instid0(VALU_DEP_1) | instskip(NEXT) | instid1(VALU_DEP_1)
	v_fmac_f32_e32 v4, v6, v3
	v_fma_f32 v0, -v0, v4, v5
	s_delay_alu instid0(VALU_DEP_1) | instskip(NEXT) | instid1(VALU_DEP_1)
	v_div_fmas_f32 v0, v0, v3, v4
	v_div_fixup_f32 v0, v0, v1, 1.0
	s_delay_alu instid0(VALU_DEP_1)
	v_mul_f32_e32 v2, v2, v0
	v_xor_b32_e32 v3, 0x80000000, v0
                                        ; implicit-def: $vgpr0_vgpr1
.LBB97_50:
	s_and_not1_saveexec_b32 s1, s1
	s_cbranch_execz .LBB97_52
; %bb.51:
	v_div_scale_f32 v2, null, v0, v0, v1
	v_div_scale_f32 v5, vcc_lo, v1, v0, v1
	s_delay_alu instid0(VALU_DEP_2) | instskip(SKIP_1) | instid1(TRANS32_DEP_1)
	v_rcp_f32_e32 v3, v2
	v_nop
	v_fma_f32 v4, -v2, v3, 1.0
	s_delay_alu instid0(VALU_DEP_1) | instskip(NEXT) | instid1(VALU_DEP_1)
	v_fmac_f32_e32 v3, v4, v3
	v_mul_f32_e32 v4, v5, v3
	s_delay_alu instid0(VALU_DEP_1) | instskip(NEXT) | instid1(VALU_DEP_1)
	v_fma_f32 v6, -v2, v4, v5
	v_fmac_f32_e32 v4, v6, v3
	s_delay_alu instid0(VALU_DEP_1) | instskip(NEXT) | instid1(VALU_DEP_1)
	v_fma_f32 v2, -v2, v4, v5
	v_div_fmas_f32 v2, v2, v3, v4
	s_delay_alu instid0(VALU_DEP_1) | instskip(NEXT) | instid1(VALU_DEP_1)
	v_div_fixup_f32 v3, v2, v0, v1
	v_fmac_f32_e32 v0, v1, v3
	s_delay_alu instid0(VALU_DEP_1) | instskip(NEXT) | instid1(VALU_DEP_1)
	v_div_scale_f32 v1, null, v0, v0, 1.0
	v_rcp_f32_e32 v2, v1
	v_nop
	s_delay_alu instid0(TRANS32_DEP_1) | instskip(NEXT) | instid1(VALU_DEP_1)
	v_fma_f32 v4, -v1, v2, 1.0
	v_fmac_f32_e32 v2, v4, v2
	v_div_scale_f32 v4, vcc_lo, 1.0, v0, 1.0
	s_delay_alu instid0(VALU_DEP_1) | instskip(NEXT) | instid1(VALU_DEP_1)
	v_mul_f32_e32 v5, v4, v2
	v_fma_f32 v6, -v1, v5, v4
	s_delay_alu instid0(VALU_DEP_1) | instskip(NEXT) | instid1(VALU_DEP_1)
	v_fmac_f32_e32 v5, v6, v2
	v_fma_f32 v1, -v1, v5, v4
	s_delay_alu instid0(VALU_DEP_1) | instskip(NEXT) | instid1(VALU_DEP_1)
	v_div_fmas_f32 v1, v1, v2, v5
	v_div_fixup_f32 v2, v1, v0, 1.0
	s_delay_alu instid0(VALU_DEP_1)
	v_mul_f32_e64 v3, v3, -v2
.LBB97_52:
	s_or_b32 exec_lo, exec_lo, s1
	ds_store_b64 v79, v[2:3]
.LBB97_53:
	s_or_b32 exec_lo, exec_lo, s2
	s_wait_dscnt 0x0
	s_barrier_signal -1
	s_barrier_wait -1
	ds_load_b64 v[0:1], v79
	s_mov_b32 s1, exec_lo
	s_wait_dscnt 0x0
	scratch_store_b64 off, v[0:1], off offset:8 ; 8-byte Folded Spill
	s_wait_xcnt 0x0
	v_cmpx_lt_u32_e32 5, v78
	s_cbranch_execz .LBB97_55
; %bb.54:
	ds_load_2addr_b64 v[4:7], v80 offset0:6 offset1:7
	ds_load_2addr_b64 v[8:11], v80 offset0:8 offset1:9
	;; [unrolled: 1-line block ×3, first 2 shown]
	scratch_load_b64 v[18:19], off, off offset:8 ; 8-byte Folded Reload
	ds_load_2addr_b64 v[24:27], v80 offset0:12 offset1:13
	ds_load_2addr_b64 v[38:41], v80 offset0:14 offset1:15
	s_wait_dscnt 0x3
	v_dual_mov_b32 v44, v11 :: v_dual_mov_b32 v45, v10
	s_wait_loadcnt 0x0
	v_pk_mul_f32 v[2:3], v[18:19], v[62:63] op_sel:[1,1] op_sel_hi:[0,1]
	s_delay_alu instid0(VALU_DEP_1) | instskip(SKIP_1) | instid1(VALU_DEP_1)
	v_pk_fma_f32 v[0:1], v[18:19], v[62:63], v[2:3] op_sel_hi:[1,0,1] neg_lo:[0,0,1] neg_hi:[0,0,1]
	v_pk_fma_f32 v[2:3], v[18:19], v[62:63], v[2:3] op_sel_hi:[1,0,1]
	v_dual_mov_b32 v62, v0 :: v_dual_mov_b32 v63, v3
	s_delay_alu instid0(VALU_DEP_2) | instskip(SKIP_3) | instid1(VALU_DEP_4)
	v_pk_mul_f32 v[18:19], v[4:5], v[2:3] op_sel:[0,1]
	v_pk_mul_f32 v[28:29], v[6:7], v[2:3] op_sel:[0,1]
	;; [unrolled: 1-line block ×3, first 2 shown]
	v_dual_mul_f32 v54, v11, v3 :: v_dual_mul_f32 v56, v11, v0
	v_pk_fma_f32 v[82:83], v[4:5], v[0:1], v[18:19] op_sel:[0,0,1] op_sel_hi:[1,1,0] neg_lo:[0,0,1] neg_hi:[0,0,1]
	v_pk_fma_f32 v[4:5], v[4:5], v[0:1], v[18:19] op_sel:[0,0,1] op_sel_hi:[1,0,0]
	v_pk_fma_f32 v[18:19], v[6:7], v[0:1], v[28:29] op_sel:[0,0,1] op_sel_hi:[1,1,0] neg_lo:[0,0,1] neg_hi:[0,0,1]
	v_pk_fma_f32 v[6:7], v[6:7], v[0:1], v[28:29] op_sel:[0,0,1] op_sel_hi:[1,0,0]
	;; [unrolled: 2-line block ×3, first 2 shown]
	v_pk_fma_f32 v[42:43], v[44:45], v[62:63], v[56:57] op_sel_hi:[1,1,0]
	v_pk_fma_f32 v[10:11], v[10:11], v[62:63], v[54:55] op_sel_hi:[1,1,0] neg_lo:[0,0,1] neg_hi:[0,0,1]
	s_wait_dscnt 0x2
	v_pk_mul_f32 v[58:59], v[12:13], v[2:3] op_sel:[0,1]
	v_pk_mul_f32 v[60:61], v[14:15], v[2:3] op_sel:[0,1]
	v_dual_mov_b32 v83, v5 :: v_dual_mov_b32 v19, v7
	v_dual_mov_b32 v29, v9 :: v_dual_mov_b32 v11, v43
	s_delay_alu instid0(VALU_DEP_4)
	v_pk_fma_f32 v[8:9], v[12:13], v[0:1], v[58:59] op_sel:[0,0,1] op_sel_hi:[1,0,0]
	ds_load_2addr_b64 v[4:7], v80 offset0:16 offset1:17
	v_pk_add_f32 v[20:21], v[20:21], v[18:19] neg_lo:[0,1] neg_hi:[0,1]
	v_pk_fma_f32 v[18:19], v[14:15], v[0:1], v[60:61] op_sel:[0,0,1] op_sel_hi:[1,0,0]
	v_pk_add_f32 v[32:33], v[32:33], v[10:11] neg_lo:[0,1] neg_hi:[0,1]
	s_wait_dscnt 0x2
	v_pk_mul_f32 v[10:11], v[24:25], v[2:3] op_sel:[0,1]
	v_pk_fma_f32 v[12:13], v[12:13], v[0:1], v[58:59] op_sel:[0,0,1] op_sel_hi:[1,1,0] neg_lo:[0,0,1] neg_hi:[0,0,1]
	v_pk_fma_f32 v[14:15], v[14:15], v[0:1], v[60:61] op_sel:[0,0,1] op_sel_hi:[1,1,0] neg_lo:[0,0,1] neg_hi:[0,0,1]
	v_dual_mov_b32 v13, v9 :: v_dual_mov_b32 v15, v19
	s_delay_alu instid0(VALU_DEP_4) | instskip(SKIP_2) | instid1(VALU_DEP_4)
	v_pk_fma_f32 v[8:9], v[24:25], v[0:1], v[10:11] op_sel:[0,0,1] op_sel_hi:[1,0,0]
	v_pk_mul_f32 v[18:19], v[26:27], v[2:3] op_sel:[0,1]
	v_pk_fma_f32 v[10:11], v[24:25], v[0:1], v[10:11] op_sel:[0,0,1] op_sel_hi:[1,1,0] neg_lo:[0,0,1] neg_hi:[0,0,1]
	v_pk_add_f32 v[34:35], v[34:35], v[12:13] neg_lo:[0,1] neg_hi:[0,1]
	v_pk_add_f32 v[30:31], v[30:31], v[14:15] neg_lo:[0,1] neg_hi:[0,1]
	v_mov_b32_e32 v11, v9
	v_pk_fma_f32 v[8:9], v[26:27], v[0:1], v[18:19] op_sel:[0,0,1] op_sel_hi:[1,0,0]
	s_wait_dscnt 0x1
	v_mul_f32_e32 v8, v39, v0
	v_pk_fma_f32 v[18:19], v[26:27], v[0:1], v[18:19] op_sel:[0,0,1] op_sel_hi:[1,1,0] neg_lo:[0,0,1] neg_hi:[0,0,1]
	v_mul_f32_e32 v12, v39, v3
	v_pk_add_f32 v[52:53], v[52:53], v[10:11] neg_lo:[0,1] neg_hi:[0,1]
	v_mov_b32_e32 v19, v9
	v_pk_fma_f32 v[14:15], v[38:39], v[62:63], v[8:9] op_sel:[1,0,0] op_sel_hi:[0,1,0]
	ds_load_2addr_b64 v[8:11], v80 offset0:18 offset1:19
	v_pk_mul_f32 v[24:25], v[40:41], v[2:3] op_sel:[0,1]
	v_pk_fma_f32 v[26:27], v[38:39], v[62:63], v[12:13] op_sel_hi:[1,1,0] neg_lo:[0,0,1] neg_hi:[0,0,1]
	v_pk_add_f32 v[36:37], v[36:37], v[28:29] neg_lo:[0,1] neg_hi:[0,1]
	s_wait_dscnt 0x1
	v_pk_mul_f32 v[28:29], v[4:5], v[2:3] op_sel:[0,1]
	v_pk_mul_f32 v[38:39], v[6:7], v[2:3] op_sel:[0,1]
	v_pk_fma_f32 v[42:43], v[40:41], v[0:1], v[24:25] op_sel:[0,0,1] op_sel_hi:[1,0,0]
	v_mov_b32_e32 v27, v15
	ds_load_2addr_b64 v[12:15], v80 offset0:20 offset1:21
	v_pk_fma_f32 v[24:25], v[40:41], v[0:1], v[24:25] op_sel:[0,0,1] op_sel_hi:[1,1,0] neg_lo:[0,0,1] neg_hi:[0,0,1]
	v_pk_fma_f32 v[40:41], v[4:5], v[0:1], v[28:29] op_sel:[0,0,1] op_sel_hi:[1,0,0]
	v_pk_fma_f32 v[44:45], v[6:7], v[0:1], v[38:39] op_sel:[0,0,1] op_sel_hi:[1,0,0]
	v_pk_fma_f32 v[4:5], v[4:5], v[0:1], v[28:29] op_sel:[0,0,1] op_sel_hi:[1,1,0] neg_lo:[0,0,1] neg_hi:[0,0,1]
	v_pk_fma_f32 v[6:7], v[6:7], v[0:1], v[38:39] op_sel:[0,0,1] op_sel_hi:[1,1,0] neg_lo:[0,0,1] neg_hi:[0,0,1]
	v_pk_add_f32 v[48:49], v[48:49], v[18:19] neg_lo:[0,1] neg_hi:[0,1]
	s_delay_alu instid0(VALU_DEP_4)
	v_dual_mov_b32 v5, v41 :: v_dual_mov_b32 v7, v45
	v_mov_b32_e32 v25, v43
	v_pk_add_f32 v[50:51], v[50:51], v[26:27] neg_lo:[0,1] neg_hi:[0,1]
	v_pk_add_f32 v[22:23], v[22:23], v[82:83] neg_lo:[0,1] neg_hi:[0,1]
	s_wait_dscnt 0x1
	v_pk_mul_f32 v[18:19], v[8:9], v[2:3] op_sel:[0,1]
	v_pk_add_f32 v[76:77], v[76:77], v[4:5] neg_lo:[0,1] neg_hi:[0,1]
	v_pk_add_f32 v[72:73], v[72:73], v[6:7] neg_lo:[0,1] neg_hi:[0,1]
	ds_load_2addr_b64 v[4:7], v80 offset0:22 offset1:23
	v_pk_add_f32 v[46:47], v[46:47], v[24:25] neg_lo:[0,1] neg_hi:[0,1]
	v_pk_fma_f32 v[28:29], v[8:9], v[0:1], v[18:19] op_sel:[0,0,1] op_sel_hi:[1,1,0] neg_lo:[0,0,1] neg_hi:[0,0,1]
	v_pk_fma_f32 v[8:9], v[8:9], v[0:1], v[18:19] op_sel:[0,0,1] op_sel_hi:[1,0,0]
	v_dual_mov_b32 v24, v11 :: v_dual_mov_b32 v25, v10
	v_dual_mul_f32 v26, v11, v0 :: v_dual_mul_f32 v8, v11, v3
	s_wait_dscnt 0x1
	v_pk_mul_f32 v[18:19], v[12:13], v[2:3] op_sel:[0,1]
	v_pk_mul_f32 v[40:41], v[14:15], v[2:3] op_sel:[0,1]
	s_delay_alu instid0(VALU_DEP_3)
	v_pk_fma_f32 v[38:39], v[24:25], v[62:63], v[26:27] op_sel_hi:[1,1,0]
	ds_load_2addr_b64 v[24:27], v80 offset0:24 offset1:25
	v_mov_b32_e32 v29, v9
	v_pk_fma_f32 v[42:43], v[12:13], v[0:1], v[18:19] op_sel:[0,0,1] op_sel_hi:[1,0,0]
	v_pk_fma_f32 v[8:9], v[10:11], v[62:63], v[8:9] op_sel_hi:[1,1,0] neg_lo:[0,0,1] neg_hi:[0,0,1]
	v_pk_fma_f32 v[10:11], v[14:15], v[0:1], v[40:41] op_sel:[0,0,1] op_sel_hi:[1,0,0]
	v_pk_fma_f32 v[12:13], v[12:13], v[0:1], v[18:19] op_sel:[0,0,1] op_sel_hi:[1,1,0] neg_lo:[0,0,1] neg_hi:[0,0,1]
	v_pk_fma_f32 v[14:15], v[14:15], v[0:1], v[40:41] op_sel:[0,0,1] op_sel_hi:[1,1,0] neg_lo:[0,0,1] neg_hi:[0,0,1]
	v_dual_mov_b32 v9, v39 :: v_dual_mov_b32 v13, v43
	s_delay_alu instid0(VALU_DEP_4)
	v_mov_b32_e32 v15, v11
	s_wait_dscnt 0x1
	v_pk_mul_f32 v[18:19], v[4:5], v[2:3] op_sel:[0,1]
	v_pk_add_f32 v[74:75], v[74:75], v[28:29] neg_lo:[0,1] neg_hi:[0,1]
	v_pk_add_f32 v[70:71], v[70:71], v[8:9] neg_lo:[0,1] neg_hi:[0,1]
	;; [unrolled: 1-line block ×4, first 2 shown]
	ds_load_2addr_b64 v[8:11], v80 offset0:26 offset1:27
	ds_load_2addr_b64 v[12:15], v80 offset0:28 offset1:29
	v_pk_fma_f32 v[28:29], v[4:5], v[0:1], v[18:19] op_sel:[0,0,1] op_sel_hi:[1,0,0]
	v_pk_fma_f32 v[4:5], v[4:5], v[0:1], v[18:19] op_sel:[0,0,1] op_sel_hi:[1,1,0] neg_lo:[0,0,1] neg_hi:[0,0,1]
	v_pk_mul_f32 v[18:19], v[6:7], v[2:3] op_sel:[0,1]
	s_wait_dscnt 0x2
	v_mul_f32_e32 v28, v25, v0
	v_pk_mul_f32 v[38:39], v[26:27], v[2:3] op_sel:[0,1]
	s_delay_alu instid0(VALU_DEP_3)
	v_pk_fma_f32 v[40:41], v[6:7], v[0:1], v[18:19] op_sel:[0,0,1] op_sel_hi:[1,0,0]
	v_mul_f32_e32 v40, v25, v3
	v_pk_fma_f32 v[6:7], v[6:7], v[0:1], v[18:19] op_sel:[0,0,1] op_sel_hi:[1,1,0] neg_lo:[0,0,1] neg_hi:[0,0,1]
	v_mov_b32_e32 v5, v29
	v_pk_fma_f32 v[28:29], v[24:25], v[62:63], v[28:29] op_sel:[1,0,0] op_sel_hi:[0,1,0]
	v_pk_fma_f32 v[18:19], v[26:27], v[0:1], v[38:39] op_sel:[0,0,1] op_sel_hi:[1,0,0]
	v_mov_b32_e32 v7, v41
	v_pk_fma_f32 v[24:25], v[24:25], v[62:63], v[40:41] op_sel_hi:[1,1,0] neg_lo:[0,0,1] neg_hi:[0,0,1]
	v_pk_fma_f32 v[26:27], v[26:27], v[0:1], v[38:39] op_sel:[0,0,1] op_sel_hi:[1,1,0] neg_lo:[0,0,1] neg_hi:[0,0,1]
	s_delay_alu instid0(VALU_DEP_4)
	v_dual_mov_b32 v25, v29 :: v_dual_mov_b32 v27, v19
	v_pk_add_f32 v[92:93], v[92:93], v[4:5] neg_lo:[0,1] neg_hi:[0,1]
	v_pk_add_f32 v[88:89], v[88:89], v[6:7] neg_lo:[0,1] neg_hi:[0,1]
	s_wait_dscnt 0x1
	v_pk_mul_f32 v[18:19], v[8:9], v[2:3] op_sel:[0,1]
	v_pk_mul_f32 v[28:29], v[10:11], v[2:3] op_sel:[0,1]
	ds_load_2addr_b64 v[4:7], v80 offset0:30 offset1:31
	s_wait_dscnt 0x1
	v_pk_mul_f32 v[38:39], v[12:13], v[2:3] op_sel:[0,1]
	v_pk_add_f32 v[112:113], v[112:113], v[24:25] neg_lo:[0,1] neg_hi:[0,1]
	v_pk_add_f32 v[108:109], v[108:109], v[26:27] neg_lo:[0,1] neg_hi:[0,1]
	v_pk_fma_f32 v[40:41], v[8:9], v[0:1], v[18:19] op_sel:[0,0,1] op_sel_hi:[1,0,0]
	v_pk_fma_f32 v[8:9], v[8:9], v[0:1], v[18:19] op_sel:[0,0,1] op_sel_hi:[1,1,0] neg_lo:[0,0,1] neg_hi:[0,0,1]
	v_pk_fma_f32 v[18:19], v[10:11], v[0:1], v[28:29] op_sel:[0,0,1] op_sel_hi:[1,0,0]
	ds_load_2addr_b64 v[24:27], v80 offset0:32 offset1:33
	v_pk_fma_f32 v[42:43], v[12:13], v[0:1], v[38:39] op_sel:[0,0,1] op_sel_hi:[1,0,0]
	v_pk_fma_f32 v[10:11], v[10:11], v[0:1], v[28:29] op_sel:[0,0,1] op_sel_hi:[1,1,0] neg_lo:[0,0,1] neg_hi:[0,0,1]
	v_pk_fma_f32 v[12:13], v[12:13], v[0:1], v[38:39] op_sel:[0,0,1] op_sel_hi:[1,1,0] neg_lo:[0,0,1] neg_hi:[0,0,1]
	v_dual_mov_b32 v9, v41 :: v_dual_mov_b32 v11, v19
	s_delay_alu instid0(VALU_DEP_4) | instskip(SKIP_1) | instid1(VALU_DEP_3)
	v_dual_mov_b32 v13, v43 :: v_dual_mov_b32 v18, v15
	v_dual_mov_b32 v19, v14 :: v_dual_mul_f32 v28, v15, v0
	v_pk_add_f32 v[110:111], v[110:111], v[8:9] neg_lo:[0,1] neg_hi:[0,1]
	s_delay_alu instid0(VALU_DEP_3)
	v_pk_add_f32 v[128:129], v[128:129], v[12:13] neg_lo:[0,1] neg_hi:[0,1]
	v_pk_add_f32 v[106:107], v[106:107], v[10:11] neg_lo:[0,1] neg_hi:[0,1]
	ds_load_2addr_b64 v[8:11], v80 offset0:34 offset1:35
	v_pk_fma_f32 v[12:13], v[18:19], v[62:63], v[28:29] op_sel_hi:[1,1,0]
	v_mul_f32_e32 v38, v15, v3
	s_wait_dscnt 0x2
	v_pk_mul_f32 v[28:29], v[4:5], v[2:3] op_sel:[0,1]
	s_delay_alu instid0(VALU_DEP_2)
	v_pk_fma_f32 v[18:19], v[14:15], v[62:63], v[38:39] op_sel_hi:[1,1,0] neg_lo:[0,0,1] neg_hi:[0,0,1]
	v_mov_b32_e32 v19, v13
	ds_load_2addr_b64 v[12:15], v80 offset0:36 offset1:37
	v_pk_mul_f32 v[38:39], v[6:7], v[2:3] op_sel:[0,1]
	s_wait_dscnt 0x2
	v_pk_mul_f32 v[40:41], v[24:25], v[2:3] op_sel:[0,1]
	v_pk_fma_f32 v[42:43], v[4:5], v[0:1], v[28:29] op_sel:[0,0,1] op_sel_hi:[1,0,0]
	v_pk_fma_f32 v[4:5], v[4:5], v[0:1], v[28:29] op_sel:[0,0,1] op_sel_hi:[1,1,0] neg_lo:[0,0,1] neg_hi:[0,0,1]
	v_pk_add_f32 v[124:125], v[124:125], v[18:19] neg_lo:[0,1] neg_hi:[0,1]
	v_pk_fma_f32 v[44:45], v[6:7], v[0:1], v[38:39] op_sel:[0,0,1] op_sel_hi:[1,0,0]
	v_pk_fma_f32 v[28:29], v[24:25], v[0:1], v[40:41] op_sel:[0,0,1] op_sel_hi:[1,0,0]
	v_pk_fma_f32 v[6:7], v[6:7], v[0:1], v[38:39] op_sel:[0,0,1] op_sel_hi:[1,1,0] neg_lo:[0,0,1] neg_hi:[0,0,1]
	v_pk_fma_f32 v[24:25], v[24:25], v[0:1], v[40:41] op_sel:[0,0,1] op_sel_hi:[1,1,0] neg_lo:[0,0,1] neg_hi:[0,0,1]
	s_delay_alu instid0(VALU_DEP_4) | instskip(NEXT) | instid1(VALU_DEP_4)
	v_dual_mov_b32 v5, v43 :: v_dual_mov_b32 v7, v45
	v_mov_b32_e32 v25, v29
	v_pk_mul_f32 v[28:29], v[26:27], v[2:3] op_sel:[0,1]
	s_delay_alu instid0(VALU_DEP_3) | instskip(NEXT) | instid1(VALU_DEP_4)
	v_pk_add_f32 v[126:127], v[126:127], v[4:5] neg_lo:[0,1] neg_hi:[0,1]
	v_pk_add_f32 v[122:123], v[122:123], v[6:7] neg_lo:[0,1] neg_hi:[0,1]
	s_delay_alu instid0(VALU_DEP_4) | instskip(NEXT) | instid1(VALU_DEP_4)
	v_pk_add_f32 v[144:145], v[144:145], v[24:25] neg_lo:[0,1] neg_hi:[0,1]
	v_pk_fma_f32 v[24:25], v[26:27], v[0:1], v[28:29] op_sel:[0,0,1] op_sel_hi:[1,0,0]
	ds_load_2addr_b64 v[4:7], v80 offset0:38 offset1:39
	v_pk_fma_f32 v[18:19], v[26:27], v[0:1], v[28:29] op_sel:[0,0,1] op_sel_hi:[1,1,0] neg_lo:[0,0,1] neg_hi:[0,0,1]
	s_wait_dscnt 0x2
	v_dual_mul_f32 v24, v9, v0 :: v_dual_mul_f32 v26, v9, v3
	s_wait_dscnt 0x1
	v_pk_mul_f32 v[38:39], v[12:13], v[2:3] op_sel:[0,1]
	v_pk_mul_f32 v[28:29], v[10:11], v[2:3] op_sel:[0,1]
	v_mov_b32_e32 v19, v25
	v_pk_fma_f32 v[40:41], v[8:9], v[62:63], v[24:25] op_sel:[1,0,0] op_sel_hi:[0,1,0]
	v_pk_fma_f32 v[26:27], v[8:9], v[62:63], v[26:27] op_sel_hi:[1,1,0] neg_lo:[0,0,1] neg_hi:[0,0,1]
	v_pk_fma_f32 v[8:9], v[12:13], v[0:1], v[38:39] op_sel:[0,0,1] op_sel_hi:[1,0,0]
	v_pk_fma_f32 v[12:13], v[12:13], v[0:1], v[38:39] op_sel:[0,0,1] op_sel_hi:[1,1,0] neg_lo:[0,0,1] neg_hi:[0,0,1]
	v_pk_fma_f32 v[24:25], v[10:11], v[0:1], v[28:29] op_sel:[0,0,1] op_sel_hi:[1,0,0]
	v_pk_fma_f32 v[28:29], v[10:11], v[0:1], v[28:29] op_sel:[0,0,1] op_sel_hi:[1,1,0] neg_lo:[0,0,1] neg_hi:[0,0,1]
	s_delay_alu instid0(VALU_DEP_4)
	v_dual_mov_b32 v27, v41 :: v_dual_mov_b32 v13, v9
	ds_load_2addr_b64 v[8:11], v80 offset0:40 offset1:41
	v_mov_b32_e32 v29, v25
	v_pk_mul_f32 v[24:25], v[14:15], v[2:3] op_sel:[0,1]
	v_pk_add_f32 v[142:143], v[142:143], v[26:27] neg_lo:[0,1] neg_hi:[0,1]
	v_pk_add_f32 v[140:141], v[140:141], v[18:19] neg_lo:[0,1] neg_hi:[0,1]
	s_wait_dscnt 0x1
	v_pk_mul_f32 v[26:27], v[4:5], v[2:3] op_sel:[0,1]
	v_pk_add_f32 v[138:139], v[138:139], v[28:29] neg_lo:[0,1] neg_hi:[0,1]
	v_pk_fma_f32 v[18:19], v[14:15], v[0:1], v[24:25] op_sel:[0,0,1] op_sel_hi:[1,1,0] neg_lo:[0,0,1] neg_hi:[0,0,1]
	v_pk_fma_f32 v[24:25], v[14:15], v[0:1], v[24:25] op_sel:[0,0,1] op_sel_hi:[1,0,0]
	v_mov_b32_e32 v28, v7
	v_pk_fma_f32 v[38:39], v[4:5], v[0:1], v[26:27] op_sel:[0,0,1] op_sel_hi:[1,0,0]
	v_pk_add_f32 v[166:167], v[166:167], v[12:13] neg_lo:[0,1] neg_hi:[0,1]
	v_dual_mov_b32 v29, v6 :: v_dual_mul_f32 v24, v7, v0
	ds_load_2addr_b64 v[12:15], v80 offset0:42 offset1:43
	v_dual_mul_f32 v38, v7, v3 :: v_dual_mov_b32 v19, v25
	v_pk_fma_f32 v[26:27], v[4:5], v[0:1], v[26:27] op_sel:[0,0,1] op_sel_hi:[1,1,0] neg_lo:[0,0,1] neg_hi:[0,0,1]
	v_pk_fma_f32 v[24:25], v[28:29], v[62:63], v[24:25] op_sel_hi:[1,1,0]
	v_mov_b32_e32 v27, v39
	s_delay_alu instid0(VALU_DEP_4)
	v_pk_fma_f32 v[28:29], v[6:7], v[62:63], v[38:39] op_sel_hi:[1,1,0] neg_lo:[0,0,1] neg_hi:[0,0,1]
	s_wait_dscnt 0x1
	v_pk_mul_f32 v[38:39], v[8:9], v[2:3] op_sel:[0,1]
	ds_load_2addr_b64 v[4:7], v80 offset0:44 offset1:45
	v_mov_b32_e32 v29, v25
	v_pk_add_f32 v[162:163], v[162:163], v[18:19] neg_lo:[0,1] neg_hi:[0,1]
	v_pk_mul_f32 v[18:19], v[10:11], v[2:3] op_sel:[0,1]
	v_pk_fma_f32 v[24:25], v[8:9], v[0:1], v[38:39] op_sel:[0,0,1] op_sel_hi:[1,0,0]
	v_pk_add_f32 v[164:165], v[164:165], v[26:27] neg_lo:[0,1] neg_hi:[0,1]
	v_pk_fma_f32 v[26:27], v[8:9], v[0:1], v[38:39] op_sel:[0,0,1] op_sel_hi:[1,1,0] neg_lo:[0,0,1] neg_hi:[0,0,1]
	v_pk_add_f32 v[160:161], v[160:161], v[28:29] neg_lo:[0,1] neg_hi:[0,1]
	v_pk_fma_f32 v[28:29], v[10:11], v[0:1], v[18:19] op_sel:[0,0,1] op_sel_hi:[1,0,0]
	v_mov_b32_e32 v27, v25
	v_pk_fma_f32 v[18:19], v[10:11], v[0:1], v[18:19] op_sel:[0,0,1] op_sel_hi:[1,1,0] neg_lo:[0,0,1] neg_hi:[0,0,1]
	ds_load_2addr_b64 v[8:11], v80 offset0:46 offset1:47
	s_wait_dscnt 0x2
	v_pk_mul_f32 v[24:25], v[12:13], v[2:3] op_sel:[0,1]
	v_mov_b32_e32 v19, v29
	v_pk_add_f32 v[192:193], v[192:193], v[26:27] neg_lo:[0,1] neg_hi:[0,1]
	ds_load_b64 v[26:27], v80 offset:384
	v_pk_mul_f32 v[28:29], v[14:15], v[2:3] op_sel:[0,1]
	v_pk_fma_f32 v[38:39], v[12:13], v[0:1], v[24:25] op_sel:[0,0,1] op_sel_hi:[1,0,0]
	v_pk_add_f32 v[184:185], v[184:185], v[18:19] neg_lo:[0,1] neg_hi:[0,1]
	v_pk_fma_f32 v[12:13], v[12:13], v[0:1], v[24:25] op_sel:[0,0,1] op_sel_hi:[1,1,0] neg_lo:[0,0,1] neg_hi:[0,0,1]
	s_wait_dscnt 0x2
	v_mul_f32_e32 v24, v5, v3
	v_pk_fma_f32 v[18:19], v[14:15], v[0:1], v[28:29] op_sel:[0,0,1] op_sel_hi:[1,0,0]
	v_dual_mul_f32 v18, v5, v0 :: v_dual_mov_b32 v13, v39
	v_pk_fma_f32 v[14:15], v[14:15], v[0:1], v[28:29] op_sel:[0,0,1] op_sel_hi:[1,1,0] neg_lo:[0,0,1] neg_hi:[0,0,1]
	s_delay_alu instid0(VALU_DEP_3) | instskip(NEXT) | instid1(VALU_DEP_3)
	v_mov_b32_e32 v15, v19
	v_pk_fma_f32 v[18:19], v[4:5], v[62:63], v[18:19] op_sel:[1,0,0] op_sel_hi:[0,1,0]
	s_delay_alu instid0(VALU_DEP_4)
	v_pk_add_f32 v[190:191], v[190:191], v[12:13] neg_lo:[0,1] neg_hi:[0,1]
	v_pk_mul_f32 v[12:13], v[6:7], v[2:3] op_sel:[0,1]
	v_pk_fma_f32 v[4:5], v[4:5], v[62:63], v[24:25] op_sel_hi:[1,1,0] neg_lo:[0,0,1] neg_hi:[0,0,1]
	v_pk_add_f32 v[182:183], v[182:183], v[14:15] neg_lo:[0,1] neg_hi:[0,1]
	v_mov_b32_e32 v5, v19
	s_wait_dscnt 0x1
	v_pk_mul_f32 v[14:15], v[8:9], v[2:3] op_sel:[0,1]
	v_pk_fma_f32 v[18:19], v[6:7], v[0:1], v[12:13] op_sel:[0,0,1] op_sel_hi:[1,0,0]
	v_pk_mul_f32 v[24:25], v[10:11], v[2:3] op_sel:[0,1]
	s_wait_dscnt 0x0
	v_pk_mul_f32 v[2:3], v[26:27], v[2:3] op_sel:[0,1]
	v_pk_fma_f32 v[6:7], v[6:7], v[0:1], v[12:13] op_sel:[0,0,1] op_sel_hi:[1,1,0] neg_lo:[0,0,1] neg_hi:[0,0,1]
	v_pk_fma_f32 v[12:13], v[8:9], v[0:1], v[14:15] op_sel:[0,0,1] op_sel_hi:[1,0,0]
	v_mov_b32_e32 v7, v19
	v_pk_fma_f32 v[18:19], v[10:11], v[0:1], v[24:25] op_sel:[0,0,1] op_sel_hi:[1,0,0]
	v_pk_fma_f32 v[8:9], v[8:9], v[0:1], v[14:15] op_sel:[0,0,1] op_sel_hi:[1,1,0] neg_lo:[0,0,1] neg_hi:[0,0,1]
	v_pk_fma_f32 v[14:15], v[26:27], v[0:1], v[2:3] op_sel:[0,0,1] op_sel_hi:[1,0,0]
	v_pk_fma_f32 v[10:11], v[10:11], v[0:1], v[24:25] op_sel:[0,0,1] op_sel_hi:[1,1,0] neg_lo:[0,0,1] neg_hi:[0,0,1]
	v_pk_fma_f32 v[0:1], v[26:27], v[0:1], v[2:3] op_sel:[0,0,1] op_sel_hi:[1,1,0] neg_lo:[0,0,1] neg_hi:[0,0,1]
	v_dual_mov_b32 v9, v13 :: v_dual_mov_b32 v11, v19
	s_delay_alu instid0(VALU_DEP_4) | instskip(SKIP_2) | instid1(VALU_DEP_4)
	v_mov_b32_e32 v1, v15
	v_pk_add_f32 v[188:189], v[188:189], v[4:5] neg_lo:[0,1] neg_hi:[0,1]
	v_pk_add_f32 v[180:181], v[180:181], v[6:7] neg_lo:[0,1] neg_hi:[0,1]
	;; [unrolled: 1-line block ×5, first 2 shown]
.LBB97_55:
	s_wait_xcnt 0x0
	s_or_b32 exec_lo, exec_lo, s1
	s_delay_alu instid0(SALU_CYCLE_1)
	s_mov_b32 s2, exec_lo
	s_wait_storecnt 0x0
	s_barrier_signal -1
	s_barrier_wait -1
	v_cmpx_eq_u32_e32 6, v78
	s_cbranch_execz .LBB97_62
; %bb.56:
	ds_store_b64 v79, v[22:23]
	ds_store_2addr_b64 v80, v[20:21], v[36:37] offset0:7 offset1:8
	ds_store_2addr_b64 v80, v[32:33], v[34:35] offset0:9 offset1:10
	;; [unrolled: 1-line block ×21, first 2 shown]
	ds_load_b64 v[0:1], v79
	s_wait_dscnt 0x0
	v_cmp_neq_f32_e32 vcc_lo, 0, v0
	v_cmp_neq_f32_e64 s1, 0, v1
	s_or_b32 s1, vcc_lo, s1
	s_delay_alu instid0(SALU_CYCLE_1)
	s_and_b32 exec_lo, exec_lo, s1
	s_cbranch_execz .LBB97_62
; %bb.57:
	v_cmp_ngt_f32_e64 s1, |v0|, |v1|
                                        ; implicit-def: $vgpr2_vgpr3
	s_and_saveexec_b32 s4, s1
	s_delay_alu instid0(SALU_CYCLE_1)
	s_xor_b32 s1, exec_lo, s4
	s_cbranch_execz .LBB97_59
; %bb.58:
	v_div_scale_f32 v2, null, v1, v1, v0
	v_div_scale_f32 v5, vcc_lo, v0, v1, v0
	s_delay_alu instid0(VALU_DEP_2) | instskip(SKIP_1) | instid1(TRANS32_DEP_1)
	v_rcp_f32_e32 v3, v2
	v_nop
	v_fma_f32 v4, -v2, v3, 1.0
	s_delay_alu instid0(VALU_DEP_1) | instskip(NEXT) | instid1(VALU_DEP_1)
	v_fmac_f32_e32 v3, v4, v3
	v_mul_f32_e32 v4, v5, v3
	s_delay_alu instid0(VALU_DEP_1) | instskip(NEXT) | instid1(VALU_DEP_1)
	v_fma_f32 v6, -v2, v4, v5
	v_fmac_f32_e32 v4, v6, v3
	s_delay_alu instid0(VALU_DEP_1) | instskip(NEXT) | instid1(VALU_DEP_1)
	v_fma_f32 v2, -v2, v4, v5
	v_div_fmas_f32 v2, v2, v3, v4
	s_delay_alu instid0(VALU_DEP_1) | instskip(NEXT) | instid1(VALU_DEP_1)
	v_div_fixup_f32 v2, v2, v1, v0
	v_fmac_f32_e32 v1, v0, v2
	s_delay_alu instid0(VALU_DEP_1) | instskip(SKIP_1) | instid1(VALU_DEP_2)
	v_div_scale_f32 v0, null, v1, v1, 1.0
	v_div_scale_f32 v5, vcc_lo, 1.0, v1, 1.0
	v_rcp_f32_e32 v3, v0
	v_nop
	s_delay_alu instid0(TRANS32_DEP_1) | instskip(NEXT) | instid1(VALU_DEP_1)
	v_fma_f32 v4, -v0, v3, 1.0
	v_fmac_f32_e32 v3, v4, v3
	s_delay_alu instid0(VALU_DEP_1) | instskip(NEXT) | instid1(VALU_DEP_1)
	v_mul_f32_e32 v4, v5, v3
	v_fma_f32 v6, -v0, v4, v5
	s_delay_alu instid0(VALU_DEP_1) | instskip(NEXT) | instid1(VALU_DEP_1)
	v_fmac_f32_e32 v4, v6, v3
	v_fma_f32 v0, -v0, v4, v5
	s_delay_alu instid0(VALU_DEP_1) | instskip(NEXT) | instid1(VALU_DEP_1)
	v_div_fmas_f32 v0, v0, v3, v4
	v_div_fixup_f32 v0, v0, v1, 1.0
	s_delay_alu instid0(VALU_DEP_1)
	v_mul_f32_e32 v2, v2, v0
	v_xor_b32_e32 v3, 0x80000000, v0
                                        ; implicit-def: $vgpr0_vgpr1
.LBB97_59:
	s_and_not1_saveexec_b32 s1, s1
	s_cbranch_execz .LBB97_61
; %bb.60:
	v_div_scale_f32 v2, null, v0, v0, v1
	v_div_scale_f32 v5, vcc_lo, v1, v0, v1
	s_delay_alu instid0(VALU_DEP_2) | instskip(SKIP_1) | instid1(TRANS32_DEP_1)
	v_rcp_f32_e32 v3, v2
	v_nop
	v_fma_f32 v4, -v2, v3, 1.0
	s_delay_alu instid0(VALU_DEP_1) | instskip(NEXT) | instid1(VALU_DEP_1)
	v_fmac_f32_e32 v3, v4, v3
	v_mul_f32_e32 v4, v5, v3
	s_delay_alu instid0(VALU_DEP_1) | instskip(NEXT) | instid1(VALU_DEP_1)
	v_fma_f32 v6, -v2, v4, v5
	v_fmac_f32_e32 v4, v6, v3
	s_delay_alu instid0(VALU_DEP_1) | instskip(NEXT) | instid1(VALU_DEP_1)
	v_fma_f32 v2, -v2, v4, v5
	v_div_fmas_f32 v2, v2, v3, v4
	s_delay_alu instid0(VALU_DEP_1) | instskip(NEXT) | instid1(VALU_DEP_1)
	v_div_fixup_f32 v3, v2, v0, v1
	v_fmac_f32_e32 v0, v1, v3
	s_delay_alu instid0(VALU_DEP_1) | instskip(NEXT) | instid1(VALU_DEP_1)
	v_div_scale_f32 v1, null, v0, v0, 1.0
	v_rcp_f32_e32 v2, v1
	v_nop
	s_delay_alu instid0(TRANS32_DEP_1) | instskip(NEXT) | instid1(VALU_DEP_1)
	v_fma_f32 v4, -v1, v2, 1.0
	v_fmac_f32_e32 v2, v4, v2
	v_div_scale_f32 v4, vcc_lo, 1.0, v0, 1.0
	s_delay_alu instid0(VALU_DEP_1) | instskip(NEXT) | instid1(VALU_DEP_1)
	v_mul_f32_e32 v5, v4, v2
	v_fma_f32 v6, -v1, v5, v4
	s_delay_alu instid0(VALU_DEP_1) | instskip(NEXT) | instid1(VALU_DEP_1)
	v_fmac_f32_e32 v5, v6, v2
	v_fma_f32 v1, -v1, v5, v4
	s_delay_alu instid0(VALU_DEP_1) | instskip(NEXT) | instid1(VALU_DEP_1)
	v_div_fmas_f32 v1, v1, v2, v5
	v_div_fixup_f32 v2, v1, v0, 1.0
	s_delay_alu instid0(VALU_DEP_1)
	v_mul_f32_e64 v3, v3, -v2
.LBB97_61:
	s_or_b32 exec_lo, exec_lo, s1
	ds_store_b64 v79, v[2:3]
.LBB97_62:
	s_or_b32 exec_lo, exec_lo, s2
	s_wait_dscnt 0x0
	s_barrier_signal -1
	s_barrier_wait -1
	ds_load_b64 v[0:1], v79
	s_mov_b32 s1, exec_lo
	s_wait_dscnt 0x0
	scratch_store_b64 off, v[0:1], off offset:16 ; 8-byte Folded Spill
	s_wait_xcnt 0x0
	v_cmpx_lt_u32_e32 6, v78
	s_cbranch_execz .LBB97_64
; %bb.63:
	scratch_load_b64 v[4:5], off, off offset:16 ; 8-byte Folded Reload
	s_wait_loadcnt 0x0
	v_pk_mul_f32 v[2:3], v[4:5], v[22:23] op_sel:[1,1] op_sel_hi:[0,1]
	s_delay_alu instid0(VALU_DEP_1)
	v_pk_fma_f32 v[0:1], v[4:5], v[22:23], v[2:3] op_sel_hi:[1,0,1] neg_lo:[0,0,1] neg_hi:[0,0,1]
	v_pk_fma_f32 v[2:3], v[4:5], v[22:23], v[2:3] op_sel_hi:[1,0,1]
	ds_load_2addr_b64 v[4:7], v80 offset0:7 offset1:8
	v_dual_mov_b32 v22, v0 :: v_dual_mov_b32 v23, v3
	s_wait_dscnt 0x0
	v_pk_mul_f32 v[8:9], v[4:5], v[2:3] op_sel:[0,1]
	s_delay_alu instid0(VALU_DEP_1) | instskip(SKIP_1) | instid1(VALU_DEP_1)
	v_pk_fma_f32 v[10:11], v[4:5], v[0:1], v[8:9] op_sel:[0,0,1] op_sel_hi:[1,1,0] neg_lo:[0,0,1] neg_hi:[0,0,1]
	v_pk_fma_f32 v[4:5], v[4:5], v[0:1], v[8:9] op_sel:[0,0,1] op_sel_hi:[1,0,0]
	v_mov_b32_e32 v11, v5
	v_pk_mul_f32 v[4:5], v[6:7], v[2:3] op_sel:[0,1]
	s_delay_alu instid0(VALU_DEP_1) | instskip(SKIP_1) | instid1(VALU_DEP_1)
	v_pk_fma_f32 v[8:9], v[6:7], v[0:1], v[4:5] op_sel:[0,0,1] op_sel_hi:[1,1,0] neg_lo:[0,0,1] neg_hi:[0,0,1]
	v_pk_fma_f32 v[4:5], v[6:7], v[0:1], v[4:5] op_sel:[0,0,1] op_sel_hi:[1,0,0]
	v_mov_b32_e32 v9, v5
	ds_load_2addr_b64 v[4:7], v80 offset0:9 offset1:10
	v_pk_add_f32 v[20:21], v[20:21], v[10:11] neg_lo:[0,1] neg_hi:[0,1]
	v_pk_add_f32 v[36:37], v[36:37], v[8:9] neg_lo:[0,1] neg_hi:[0,1]
	s_wait_dscnt 0x0
	v_pk_mul_f32 v[8:9], v[4:5], v[2:3] op_sel:[0,1]
	s_delay_alu instid0(VALU_DEP_1) | instskip(SKIP_2) | instid1(VALU_DEP_2)
	v_pk_fma_f32 v[10:11], v[4:5], v[0:1], v[8:9] op_sel:[0,0,1] op_sel_hi:[1,1,0] neg_lo:[0,0,1] neg_hi:[0,0,1]
	v_pk_fma_f32 v[4:5], v[4:5], v[0:1], v[8:9] op_sel:[0,0,1] op_sel_hi:[1,0,0]
	v_dual_mul_f32 v8, v7, v3 :: v_dual_mov_b32 v4, v7
	v_dual_mov_b32 v11, v5 :: v_dual_mov_b32 v5, v6
	s_delay_alu instid0(VALU_DEP_2) | instskip(SKIP_1) | instid1(VALU_DEP_3)
	v_pk_fma_f32 v[8:9], v[6:7], v[22:23], v[8:9] op_sel_hi:[1,1,0] neg_lo:[0,0,1] neg_hi:[0,0,1]
	v_mul_f32_e32 v6, v7, v0
	v_pk_add_f32 v[32:33], v[32:33], v[10:11] neg_lo:[0,1] neg_hi:[0,1]
	s_delay_alu instid0(VALU_DEP_2) | instskip(NEXT) | instid1(VALU_DEP_1)
	v_pk_fma_f32 v[4:5], v[4:5], v[22:23], v[6:7] op_sel_hi:[1,1,0]
	v_mov_b32_e32 v9, v5
	ds_load_2addr_b64 v[4:7], v80 offset0:11 offset1:12
	v_pk_add_f32 v[34:35], v[34:35], v[8:9] neg_lo:[0,1] neg_hi:[0,1]
	s_wait_dscnt 0x0
	v_pk_mul_f32 v[8:9], v[4:5], v[2:3] op_sel:[0,1]
	s_delay_alu instid0(VALU_DEP_1) | instskip(SKIP_1) | instid1(VALU_DEP_1)
	v_pk_fma_f32 v[10:11], v[4:5], v[0:1], v[8:9] op_sel:[0,0,1] op_sel_hi:[1,1,0] neg_lo:[0,0,1] neg_hi:[0,0,1]
	v_pk_fma_f32 v[4:5], v[4:5], v[0:1], v[8:9] op_sel:[0,0,1] op_sel_hi:[1,0,0]
	v_mov_b32_e32 v11, v5
	v_pk_mul_f32 v[4:5], v[6:7], v[2:3] op_sel:[0,1]
	s_delay_alu instid0(VALU_DEP_1) | instskip(SKIP_1) | instid1(VALU_DEP_1)
	v_pk_fma_f32 v[8:9], v[6:7], v[0:1], v[4:5] op_sel:[0,0,1] op_sel_hi:[1,1,0] neg_lo:[0,0,1] neg_hi:[0,0,1]
	v_pk_fma_f32 v[4:5], v[6:7], v[0:1], v[4:5] op_sel:[0,0,1] op_sel_hi:[1,0,0]
	v_mov_b32_e32 v9, v5
	ds_load_2addr_b64 v[4:7], v80 offset0:13 offset1:14
	v_pk_add_f32 v[30:31], v[30:31], v[10:11] neg_lo:[0,1] neg_hi:[0,1]
	v_pk_add_f32 v[52:53], v[52:53], v[8:9] neg_lo:[0,1] neg_hi:[0,1]
	s_wait_dscnt 0x0
	v_pk_mul_f32 v[8:9], v[4:5], v[2:3] op_sel:[0,1]
	s_delay_alu instid0(VALU_DEP_1) | instskip(SKIP_1) | instid1(VALU_DEP_1)
	v_pk_fma_f32 v[10:11], v[4:5], v[0:1], v[8:9] op_sel:[0,0,1] op_sel_hi:[1,1,0] neg_lo:[0,0,1] neg_hi:[0,0,1]
	v_pk_fma_f32 v[4:5], v[4:5], v[0:1], v[8:9] op_sel:[0,0,1] op_sel_hi:[1,0,0]
	v_mov_b32_e32 v11, v5
	v_pk_mul_f32 v[4:5], v[6:7], v[2:3] op_sel:[0,1]
	s_delay_alu instid0(VALU_DEP_1) | instskip(SKIP_1) | instid1(VALU_DEP_1)
	v_pk_fma_f32 v[8:9], v[6:7], v[0:1], v[4:5] op_sel:[0,0,1] op_sel_hi:[1,1,0] neg_lo:[0,0,1] neg_hi:[0,0,1]
	v_pk_fma_f32 v[4:5], v[6:7], v[0:1], v[4:5] op_sel:[0,0,1] op_sel_hi:[1,0,0]
	v_mov_b32_e32 v9, v5
	ds_load_2addr_b64 v[4:7], v80 offset0:15 offset1:16
	v_pk_add_f32 v[48:49], v[48:49], v[10:11] neg_lo:[0,1] neg_hi:[0,1]
	v_pk_add_f32 v[50:51], v[50:51], v[8:9] neg_lo:[0,1] neg_hi:[0,1]
	s_wait_dscnt 0x0
	v_dual_mul_f32 v8, v5, v3 :: v_dual_mul_f32 v10, v5, v0
	s_delay_alu instid0(VALU_DEP_1) | instskip(NEXT) | instid1(VALU_DEP_2)
	v_pk_fma_f32 v[8:9], v[4:5], v[22:23], v[8:9] op_sel_hi:[1,1,0] neg_lo:[0,0,1] neg_hi:[0,0,1]
	v_pk_fma_f32 v[4:5], v[4:5], v[22:23], v[10:11] op_sel:[1,0,0] op_sel_hi:[0,1,0]
	s_delay_alu instid0(VALU_DEP_1) | instskip(SKIP_1) | instid1(VALU_DEP_2)
	v_mov_b32_e32 v9, v5
	v_pk_mul_f32 v[4:5], v[6:7], v[2:3] op_sel:[0,1]
	v_pk_add_f32 v[46:47], v[46:47], v[8:9] neg_lo:[0,1] neg_hi:[0,1]
	s_delay_alu instid0(VALU_DEP_2) | instskip(SKIP_1) | instid1(VALU_DEP_1)
	v_pk_fma_f32 v[8:9], v[6:7], v[0:1], v[4:5] op_sel:[0,0,1] op_sel_hi:[1,1,0] neg_lo:[0,0,1] neg_hi:[0,0,1]
	v_pk_fma_f32 v[4:5], v[6:7], v[0:1], v[4:5] op_sel:[0,0,1] op_sel_hi:[1,0,0]
	v_mov_b32_e32 v9, v5
	ds_load_2addr_b64 v[4:7], v80 offset0:17 offset1:18
	v_pk_add_f32 v[76:77], v[76:77], v[8:9] neg_lo:[0,1] neg_hi:[0,1]
	s_wait_dscnt 0x0
	v_pk_mul_f32 v[8:9], v[4:5], v[2:3] op_sel:[0,1]
	s_delay_alu instid0(VALU_DEP_1) | instskip(SKIP_1) | instid1(VALU_DEP_1)
	v_pk_fma_f32 v[10:11], v[4:5], v[0:1], v[8:9] op_sel:[0,0,1] op_sel_hi:[1,1,0] neg_lo:[0,0,1] neg_hi:[0,0,1]
	v_pk_fma_f32 v[4:5], v[4:5], v[0:1], v[8:9] op_sel:[0,0,1] op_sel_hi:[1,0,0]
	v_mov_b32_e32 v11, v5
	v_pk_mul_f32 v[4:5], v[6:7], v[2:3] op_sel:[0,1]
	s_delay_alu instid0(VALU_DEP_2) | instskip(NEXT) | instid1(VALU_DEP_2)
	v_pk_add_f32 v[72:73], v[72:73], v[10:11] neg_lo:[0,1] neg_hi:[0,1]
	v_pk_fma_f32 v[8:9], v[6:7], v[0:1], v[4:5] op_sel:[0,0,1] op_sel_hi:[1,1,0] neg_lo:[0,0,1] neg_hi:[0,0,1]
	v_pk_fma_f32 v[4:5], v[6:7], v[0:1], v[4:5] op_sel:[0,0,1] op_sel_hi:[1,0,0]
	s_delay_alu instid0(VALU_DEP_1) | instskip(SKIP_4) | instid1(VALU_DEP_1)
	v_mov_b32_e32 v9, v5
	ds_load_2addr_b64 v[4:7], v80 offset0:19 offset1:20
	v_pk_add_f32 v[74:75], v[74:75], v[8:9] neg_lo:[0,1] neg_hi:[0,1]
	s_wait_dscnt 0x0
	v_pk_mul_f32 v[8:9], v[4:5], v[2:3] op_sel:[0,1]
	v_pk_fma_f32 v[10:11], v[4:5], v[0:1], v[8:9] op_sel:[0,0,1] op_sel_hi:[1,1,0] neg_lo:[0,0,1] neg_hi:[0,0,1]
	v_pk_fma_f32 v[4:5], v[4:5], v[0:1], v[8:9] op_sel:[0,0,1] op_sel_hi:[1,0,0]
	v_dual_mul_f32 v8, v7, v3 :: v_dual_mov_b32 v4, v7
	s_delay_alu instid0(VALU_DEP_2) | instskip(NEXT) | instid1(VALU_DEP_2)
	v_dual_mov_b32 v11, v5 :: v_dual_mov_b32 v5, v6
	v_pk_fma_f32 v[8:9], v[6:7], v[22:23], v[8:9] op_sel_hi:[1,1,0] neg_lo:[0,0,1] neg_hi:[0,0,1]
	v_mul_f32_e32 v6, v7, v0
	s_delay_alu instid0(VALU_DEP_3) | instskip(NEXT) | instid1(VALU_DEP_2)
	v_pk_add_f32 v[70:71], v[70:71], v[10:11] neg_lo:[0,1] neg_hi:[0,1]
	v_pk_fma_f32 v[4:5], v[4:5], v[22:23], v[6:7] op_sel_hi:[1,1,0]
	s_delay_alu instid0(VALU_DEP_1) | instskip(SKIP_4) | instid1(VALU_DEP_1)
	v_mov_b32_e32 v9, v5
	ds_load_2addr_b64 v[4:7], v80 offset0:21 offset1:22
	v_pk_add_f32 v[94:95], v[94:95], v[8:9] neg_lo:[0,1] neg_hi:[0,1]
	s_wait_dscnt 0x0
	v_pk_mul_f32 v[8:9], v[4:5], v[2:3] op_sel:[0,1]
	v_pk_fma_f32 v[10:11], v[4:5], v[0:1], v[8:9] op_sel:[0,0,1] op_sel_hi:[1,1,0] neg_lo:[0,0,1] neg_hi:[0,0,1]
	v_pk_fma_f32 v[4:5], v[4:5], v[0:1], v[8:9] op_sel:[0,0,1] op_sel_hi:[1,0,0]
	s_delay_alu instid0(VALU_DEP_1) | instskip(SKIP_1) | instid1(VALU_DEP_1)
	v_mov_b32_e32 v11, v5
	v_pk_mul_f32 v[4:5], v[6:7], v[2:3] op_sel:[0,1]
	v_pk_fma_f32 v[8:9], v[6:7], v[0:1], v[4:5] op_sel:[0,0,1] op_sel_hi:[1,1,0] neg_lo:[0,0,1] neg_hi:[0,0,1]
	v_pk_fma_f32 v[4:5], v[6:7], v[0:1], v[4:5] op_sel:[0,0,1] op_sel_hi:[1,0,0]
	s_delay_alu instid0(VALU_DEP_1)
	v_mov_b32_e32 v9, v5
	ds_load_2addr_b64 v[4:7], v80 offset0:23 offset1:24
	v_pk_add_f32 v[90:91], v[90:91], v[10:11] neg_lo:[0,1] neg_hi:[0,1]
	v_pk_add_f32 v[92:93], v[92:93], v[8:9] neg_lo:[0,1] neg_hi:[0,1]
	s_wait_dscnt 0x0
	v_pk_mul_f32 v[8:9], v[4:5], v[2:3] op_sel:[0,1]
	s_delay_alu instid0(VALU_DEP_1) | instskip(SKIP_1) | instid1(VALU_DEP_1)
	v_pk_fma_f32 v[10:11], v[4:5], v[0:1], v[8:9] op_sel:[0,0,1] op_sel_hi:[1,1,0] neg_lo:[0,0,1] neg_hi:[0,0,1]
	v_pk_fma_f32 v[4:5], v[4:5], v[0:1], v[8:9] op_sel:[0,0,1] op_sel_hi:[1,0,0]
	v_mov_b32_e32 v11, v5
	v_pk_mul_f32 v[4:5], v[6:7], v[2:3] op_sel:[0,1]
	s_delay_alu instid0(VALU_DEP_1) | instskip(SKIP_1) | instid1(VALU_DEP_1)
	v_pk_fma_f32 v[8:9], v[6:7], v[0:1], v[4:5] op_sel:[0,0,1] op_sel_hi:[1,1,0] neg_lo:[0,0,1] neg_hi:[0,0,1]
	v_pk_fma_f32 v[4:5], v[6:7], v[0:1], v[4:5] op_sel:[0,0,1] op_sel_hi:[1,0,0]
	v_mov_b32_e32 v9, v5
	ds_load_2addr_b64 v[4:7], v80 offset0:25 offset1:26
	v_pk_add_f32 v[88:89], v[88:89], v[10:11] neg_lo:[0,1] neg_hi:[0,1]
	v_pk_add_f32 v[112:113], v[112:113], v[8:9] neg_lo:[0,1] neg_hi:[0,1]
	s_wait_dscnt 0x0
	v_dual_mul_f32 v8, v5, v3 :: v_dual_mul_f32 v10, v5, v0
	s_delay_alu instid0(VALU_DEP_1) | instskip(NEXT) | instid1(VALU_DEP_2)
	v_pk_fma_f32 v[8:9], v[4:5], v[22:23], v[8:9] op_sel_hi:[1,1,0] neg_lo:[0,0,1] neg_hi:[0,0,1]
	v_pk_fma_f32 v[4:5], v[4:5], v[22:23], v[10:11] op_sel:[1,0,0] op_sel_hi:[0,1,0]
	s_delay_alu instid0(VALU_DEP_1) | instskip(SKIP_1) | instid1(VALU_DEP_2)
	v_mov_b32_e32 v9, v5
	v_pk_mul_f32 v[4:5], v[6:7], v[2:3] op_sel:[0,1]
	v_pk_add_f32 v[108:109], v[108:109], v[8:9] neg_lo:[0,1] neg_hi:[0,1]
	s_delay_alu instid0(VALU_DEP_2) | instskip(SKIP_1) | instid1(VALU_DEP_1)
	v_pk_fma_f32 v[8:9], v[6:7], v[0:1], v[4:5] op_sel:[0,0,1] op_sel_hi:[1,1,0] neg_lo:[0,0,1] neg_hi:[0,0,1]
	v_pk_fma_f32 v[4:5], v[6:7], v[0:1], v[4:5] op_sel:[0,0,1] op_sel_hi:[1,0,0]
	v_mov_b32_e32 v9, v5
	ds_load_2addr_b64 v[4:7], v80 offset0:27 offset1:28
	v_pk_add_f32 v[110:111], v[110:111], v[8:9] neg_lo:[0,1] neg_hi:[0,1]
	s_wait_dscnt 0x0
	v_pk_mul_f32 v[8:9], v[4:5], v[2:3] op_sel:[0,1]
	s_delay_alu instid0(VALU_DEP_1) | instskip(SKIP_1) | instid1(VALU_DEP_1)
	v_pk_fma_f32 v[10:11], v[4:5], v[0:1], v[8:9] op_sel:[0,0,1] op_sel_hi:[1,1,0] neg_lo:[0,0,1] neg_hi:[0,0,1]
	v_pk_fma_f32 v[4:5], v[4:5], v[0:1], v[8:9] op_sel:[0,0,1] op_sel_hi:[1,0,0]
	v_mov_b32_e32 v11, v5
	v_pk_mul_f32 v[4:5], v[6:7], v[2:3] op_sel:[0,1]
	s_delay_alu instid0(VALU_DEP_2) | instskip(NEXT) | instid1(VALU_DEP_2)
	v_pk_add_f32 v[106:107], v[106:107], v[10:11] neg_lo:[0,1] neg_hi:[0,1]
	v_pk_fma_f32 v[8:9], v[6:7], v[0:1], v[4:5] op_sel:[0,0,1] op_sel_hi:[1,1,0] neg_lo:[0,0,1] neg_hi:[0,0,1]
	v_pk_fma_f32 v[4:5], v[6:7], v[0:1], v[4:5] op_sel:[0,0,1] op_sel_hi:[1,0,0]
	s_delay_alu instid0(VALU_DEP_1) | instskip(SKIP_4) | instid1(VALU_DEP_1)
	v_mov_b32_e32 v9, v5
	ds_load_2addr_b64 v[4:7], v80 offset0:29 offset1:30
	v_pk_add_f32 v[128:129], v[128:129], v[8:9] neg_lo:[0,1] neg_hi:[0,1]
	s_wait_dscnt 0x0
	v_pk_mul_f32 v[8:9], v[4:5], v[2:3] op_sel:[0,1]
	v_pk_fma_f32 v[10:11], v[4:5], v[0:1], v[8:9] op_sel:[0,0,1] op_sel_hi:[1,1,0] neg_lo:[0,0,1] neg_hi:[0,0,1]
	v_pk_fma_f32 v[4:5], v[4:5], v[0:1], v[8:9] op_sel:[0,0,1] op_sel_hi:[1,0,0]
	v_dual_mul_f32 v8, v7, v3 :: v_dual_mov_b32 v4, v7
	s_delay_alu instid0(VALU_DEP_2) | instskip(NEXT) | instid1(VALU_DEP_2)
	v_dual_mov_b32 v11, v5 :: v_dual_mov_b32 v5, v6
	v_pk_fma_f32 v[8:9], v[6:7], v[22:23], v[8:9] op_sel_hi:[1,1,0] neg_lo:[0,0,1] neg_hi:[0,0,1]
	v_mul_f32_e32 v6, v7, v0
	s_delay_alu instid0(VALU_DEP_3) | instskip(NEXT) | instid1(VALU_DEP_2)
	v_pk_add_f32 v[124:125], v[124:125], v[10:11] neg_lo:[0,1] neg_hi:[0,1]
	v_pk_fma_f32 v[4:5], v[4:5], v[22:23], v[6:7] op_sel_hi:[1,1,0]
	s_delay_alu instid0(VALU_DEP_1) | instskip(SKIP_4) | instid1(VALU_DEP_1)
	v_mov_b32_e32 v9, v5
	ds_load_2addr_b64 v[4:7], v80 offset0:31 offset1:32
	v_pk_add_f32 v[126:127], v[126:127], v[8:9] neg_lo:[0,1] neg_hi:[0,1]
	s_wait_dscnt 0x0
	v_pk_mul_f32 v[8:9], v[4:5], v[2:3] op_sel:[0,1]
	v_pk_fma_f32 v[10:11], v[4:5], v[0:1], v[8:9] op_sel:[0,0,1] op_sel_hi:[1,1,0] neg_lo:[0,0,1] neg_hi:[0,0,1]
	v_pk_fma_f32 v[4:5], v[4:5], v[0:1], v[8:9] op_sel:[0,0,1] op_sel_hi:[1,0,0]
	s_delay_alu instid0(VALU_DEP_1) | instskip(SKIP_1) | instid1(VALU_DEP_1)
	v_mov_b32_e32 v11, v5
	v_pk_mul_f32 v[4:5], v[6:7], v[2:3] op_sel:[0,1]
	v_pk_fma_f32 v[8:9], v[6:7], v[0:1], v[4:5] op_sel:[0,0,1] op_sel_hi:[1,1,0] neg_lo:[0,0,1] neg_hi:[0,0,1]
	v_pk_fma_f32 v[4:5], v[6:7], v[0:1], v[4:5] op_sel:[0,0,1] op_sel_hi:[1,0,0]
	s_delay_alu instid0(VALU_DEP_1)
	v_mov_b32_e32 v9, v5
	ds_load_2addr_b64 v[4:7], v80 offset0:33 offset1:34
	v_pk_add_f32 v[122:123], v[122:123], v[10:11] neg_lo:[0,1] neg_hi:[0,1]
	v_pk_add_f32 v[144:145], v[144:145], v[8:9] neg_lo:[0,1] neg_hi:[0,1]
	s_wait_dscnt 0x0
	v_pk_mul_f32 v[8:9], v[4:5], v[2:3] op_sel:[0,1]
	s_delay_alu instid0(VALU_DEP_1) | instskip(SKIP_1) | instid1(VALU_DEP_1)
	v_pk_fma_f32 v[10:11], v[4:5], v[0:1], v[8:9] op_sel:[0,0,1] op_sel_hi:[1,1,0] neg_lo:[0,0,1] neg_hi:[0,0,1]
	v_pk_fma_f32 v[4:5], v[4:5], v[0:1], v[8:9] op_sel:[0,0,1] op_sel_hi:[1,0,0]
	v_mov_b32_e32 v11, v5
	v_pk_mul_f32 v[4:5], v[6:7], v[2:3] op_sel:[0,1]
	s_delay_alu instid0(VALU_DEP_1) | instskip(SKIP_1) | instid1(VALU_DEP_1)
	v_pk_fma_f32 v[8:9], v[6:7], v[0:1], v[4:5] op_sel:[0,0,1] op_sel_hi:[1,1,0] neg_lo:[0,0,1] neg_hi:[0,0,1]
	v_pk_fma_f32 v[4:5], v[6:7], v[0:1], v[4:5] op_sel:[0,0,1] op_sel_hi:[1,0,0]
	v_mov_b32_e32 v9, v5
	ds_load_2addr_b64 v[4:7], v80 offset0:35 offset1:36
	v_pk_add_f32 v[140:141], v[140:141], v[10:11] neg_lo:[0,1] neg_hi:[0,1]
	v_pk_add_f32 v[142:143], v[142:143], v[8:9] neg_lo:[0,1] neg_hi:[0,1]
	s_wait_dscnt 0x0
	v_dual_mul_f32 v8, v5, v3 :: v_dual_mul_f32 v10, v5, v0
	s_delay_alu instid0(VALU_DEP_1) | instskip(NEXT) | instid1(VALU_DEP_2)
	v_pk_fma_f32 v[8:9], v[4:5], v[22:23], v[8:9] op_sel_hi:[1,1,0] neg_lo:[0,0,1] neg_hi:[0,0,1]
	v_pk_fma_f32 v[4:5], v[4:5], v[22:23], v[10:11] op_sel:[1,0,0] op_sel_hi:[0,1,0]
	s_delay_alu instid0(VALU_DEP_1) | instskip(SKIP_1) | instid1(VALU_DEP_2)
	v_mov_b32_e32 v9, v5
	v_pk_mul_f32 v[4:5], v[6:7], v[2:3] op_sel:[0,1]
	v_pk_add_f32 v[138:139], v[138:139], v[8:9] neg_lo:[0,1] neg_hi:[0,1]
	s_delay_alu instid0(VALU_DEP_2) | instskip(SKIP_1) | instid1(VALU_DEP_1)
	v_pk_fma_f32 v[8:9], v[6:7], v[0:1], v[4:5] op_sel:[0,0,1] op_sel_hi:[1,1,0] neg_lo:[0,0,1] neg_hi:[0,0,1]
	v_pk_fma_f32 v[4:5], v[6:7], v[0:1], v[4:5] op_sel:[0,0,1] op_sel_hi:[1,0,0]
	v_mov_b32_e32 v9, v5
	ds_load_2addr_b64 v[4:7], v80 offset0:37 offset1:38
	v_pk_add_f32 v[166:167], v[166:167], v[8:9] neg_lo:[0,1] neg_hi:[0,1]
	s_wait_dscnt 0x0
	v_pk_mul_f32 v[8:9], v[4:5], v[2:3] op_sel:[0,1]
	s_delay_alu instid0(VALU_DEP_1) | instskip(SKIP_1) | instid1(VALU_DEP_1)
	v_pk_fma_f32 v[10:11], v[4:5], v[0:1], v[8:9] op_sel:[0,0,1] op_sel_hi:[1,1,0] neg_lo:[0,0,1] neg_hi:[0,0,1]
	v_pk_fma_f32 v[4:5], v[4:5], v[0:1], v[8:9] op_sel:[0,0,1] op_sel_hi:[1,0,0]
	v_mov_b32_e32 v11, v5
	v_pk_mul_f32 v[4:5], v[6:7], v[2:3] op_sel:[0,1]
	s_delay_alu instid0(VALU_DEP_2) | instskip(NEXT) | instid1(VALU_DEP_2)
	v_pk_add_f32 v[162:163], v[162:163], v[10:11] neg_lo:[0,1] neg_hi:[0,1]
	v_pk_fma_f32 v[8:9], v[6:7], v[0:1], v[4:5] op_sel:[0,0,1] op_sel_hi:[1,1,0] neg_lo:[0,0,1] neg_hi:[0,0,1]
	v_pk_fma_f32 v[4:5], v[6:7], v[0:1], v[4:5] op_sel:[0,0,1] op_sel_hi:[1,0,0]
	s_delay_alu instid0(VALU_DEP_1) | instskip(SKIP_4) | instid1(VALU_DEP_1)
	v_mov_b32_e32 v9, v5
	ds_load_2addr_b64 v[4:7], v80 offset0:39 offset1:40
	v_pk_add_f32 v[164:165], v[164:165], v[8:9] neg_lo:[0,1] neg_hi:[0,1]
	s_wait_dscnt 0x0
	v_pk_mul_f32 v[8:9], v[4:5], v[2:3] op_sel:[0,1]
	v_pk_fma_f32 v[10:11], v[4:5], v[0:1], v[8:9] op_sel:[0,0,1] op_sel_hi:[1,1,0] neg_lo:[0,0,1] neg_hi:[0,0,1]
	v_pk_fma_f32 v[4:5], v[4:5], v[0:1], v[8:9] op_sel:[0,0,1] op_sel_hi:[1,0,0]
	v_dual_mul_f32 v8, v7, v3 :: v_dual_mov_b32 v4, v7
	s_delay_alu instid0(VALU_DEP_2) | instskip(NEXT) | instid1(VALU_DEP_2)
	v_dual_mov_b32 v11, v5 :: v_dual_mov_b32 v5, v6
	v_pk_fma_f32 v[8:9], v[6:7], v[22:23], v[8:9] op_sel_hi:[1,1,0] neg_lo:[0,0,1] neg_hi:[0,0,1]
	v_mul_f32_e32 v6, v7, v0
	s_delay_alu instid0(VALU_DEP_3) | instskip(NEXT) | instid1(VALU_DEP_2)
	v_pk_add_f32 v[160:161], v[160:161], v[10:11] neg_lo:[0,1] neg_hi:[0,1]
	v_pk_fma_f32 v[4:5], v[4:5], v[22:23], v[6:7] op_sel_hi:[1,1,0]
	s_delay_alu instid0(VALU_DEP_1) | instskip(SKIP_4) | instid1(VALU_DEP_1)
	v_mov_b32_e32 v9, v5
	ds_load_2addr_b64 v[4:7], v80 offset0:41 offset1:42
	v_pk_add_f32 v[192:193], v[192:193], v[8:9] neg_lo:[0,1] neg_hi:[0,1]
	s_wait_dscnt 0x0
	v_pk_mul_f32 v[8:9], v[4:5], v[2:3] op_sel:[0,1]
	v_pk_fma_f32 v[10:11], v[4:5], v[0:1], v[8:9] op_sel:[0,0,1] op_sel_hi:[1,1,0] neg_lo:[0,0,1] neg_hi:[0,0,1]
	v_pk_fma_f32 v[4:5], v[4:5], v[0:1], v[8:9] op_sel:[0,0,1] op_sel_hi:[1,0,0]
	s_delay_alu instid0(VALU_DEP_1) | instskip(SKIP_1) | instid1(VALU_DEP_1)
	v_mov_b32_e32 v11, v5
	v_pk_mul_f32 v[4:5], v[6:7], v[2:3] op_sel:[0,1]
	v_pk_fma_f32 v[8:9], v[6:7], v[0:1], v[4:5] op_sel:[0,0,1] op_sel_hi:[1,1,0] neg_lo:[0,0,1] neg_hi:[0,0,1]
	v_pk_fma_f32 v[4:5], v[6:7], v[0:1], v[4:5] op_sel:[0,0,1] op_sel_hi:[1,0,0]
	s_delay_alu instid0(VALU_DEP_1)
	v_mov_b32_e32 v9, v5
	ds_load_2addr_b64 v[4:7], v80 offset0:43 offset1:44
	v_pk_add_f32 v[184:185], v[184:185], v[10:11] neg_lo:[0,1] neg_hi:[0,1]
	v_pk_add_f32 v[190:191], v[190:191], v[8:9] neg_lo:[0,1] neg_hi:[0,1]
	s_wait_dscnt 0x0
	v_pk_mul_f32 v[8:9], v[4:5], v[2:3] op_sel:[0,1]
	s_delay_alu instid0(VALU_DEP_1) | instskip(SKIP_1) | instid1(VALU_DEP_1)
	v_pk_fma_f32 v[10:11], v[4:5], v[0:1], v[8:9] op_sel:[0,0,1] op_sel_hi:[1,1,0] neg_lo:[0,0,1] neg_hi:[0,0,1]
	v_pk_fma_f32 v[4:5], v[4:5], v[0:1], v[8:9] op_sel:[0,0,1] op_sel_hi:[1,0,0]
	v_mov_b32_e32 v11, v5
	v_pk_mul_f32 v[4:5], v[6:7], v[2:3] op_sel:[0,1]
	s_delay_alu instid0(VALU_DEP_1) | instskip(SKIP_1) | instid1(VALU_DEP_1)
	v_pk_fma_f32 v[8:9], v[6:7], v[0:1], v[4:5] op_sel:[0,0,1] op_sel_hi:[1,1,0] neg_lo:[0,0,1] neg_hi:[0,0,1]
	v_pk_fma_f32 v[4:5], v[6:7], v[0:1], v[4:5] op_sel:[0,0,1] op_sel_hi:[1,0,0]
	v_mov_b32_e32 v9, v5
	ds_load_2addr_b64 v[4:7], v80 offset0:45 offset1:46
	v_pk_add_f32 v[182:183], v[182:183], v[10:11] neg_lo:[0,1] neg_hi:[0,1]
	v_pk_add_f32 v[188:189], v[188:189], v[8:9] neg_lo:[0,1] neg_hi:[0,1]
	s_wait_dscnt 0x0
	v_dual_mul_f32 v8, v5, v3 :: v_dual_mul_f32 v10, v5, v0
	s_delay_alu instid0(VALU_DEP_1) | instskip(NEXT) | instid1(VALU_DEP_2)
	v_pk_fma_f32 v[8:9], v[4:5], v[22:23], v[8:9] op_sel_hi:[1,1,0] neg_lo:[0,0,1] neg_hi:[0,0,1]
	v_pk_fma_f32 v[4:5], v[4:5], v[22:23], v[10:11] op_sel:[1,0,0] op_sel_hi:[0,1,0]
	s_delay_alu instid0(VALU_DEP_1) | instskip(SKIP_1) | instid1(VALU_DEP_2)
	v_mov_b32_e32 v9, v5
	v_pk_mul_f32 v[4:5], v[6:7], v[2:3] op_sel:[0,1]
	v_pk_add_f32 v[180:181], v[180:181], v[8:9] neg_lo:[0,1] neg_hi:[0,1]
	s_delay_alu instid0(VALU_DEP_2) | instskip(SKIP_1) | instid1(VALU_DEP_1)
	v_pk_fma_f32 v[8:9], v[6:7], v[0:1], v[4:5] op_sel:[0,0,1] op_sel_hi:[1,1,0] neg_lo:[0,0,1] neg_hi:[0,0,1]
	v_pk_fma_f32 v[4:5], v[6:7], v[0:1], v[4:5] op_sel:[0,0,1] op_sel_hi:[1,0,0]
	v_mov_b32_e32 v9, v5
	ds_load_2addr_b64 v[4:7], v80 offset0:47 offset1:48
	v_pk_add_f32 v[186:187], v[186:187], v[8:9] neg_lo:[0,1] neg_hi:[0,1]
	s_wait_dscnt 0x0
	v_pk_mul_f32 v[8:9], v[4:5], v[2:3] op_sel:[0,1]
	v_mul_f32_e32 v2, v7, v3
	s_delay_alu instid0(VALU_DEP_2) | instskip(SKIP_2) | instid1(VALU_DEP_4)
	v_pk_fma_f32 v[10:11], v[4:5], v[0:1], v[8:9] op_sel:[0,0,1] op_sel_hi:[1,1,0] neg_lo:[0,0,1] neg_hi:[0,0,1]
	v_pk_fma_f32 v[4:5], v[4:5], v[0:1], v[8:9] op_sel:[0,0,1] op_sel_hi:[1,0,0]
	v_dual_mov_b32 v4, v7 :: v_dual_mul_f32 v0, v7, v0
	v_pk_fma_f32 v[2:3], v[6:7], v[22:23], v[2:3] op_sel_hi:[1,1,0] neg_lo:[0,0,1] neg_hi:[0,0,1]
	s_delay_alu instid0(VALU_DEP_3) | instskip(NEXT) | instid1(VALU_DEP_1)
	v_dual_mov_b32 v11, v5 :: v_dual_mov_b32 v5, v6
	v_pk_add_f32 v[194:195], v[194:195], v[10:11] neg_lo:[0,1] neg_hi:[0,1]
	s_delay_alu instid0(VALU_DEP_2) | instskip(NEXT) | instid1(VALU_DEP_1)
	v_pk_fma_f32 v[0:1], v[4:5], v[22:23], v[0:1] op_sel_hi:[1,1,0]
	v_mov_b32_e32 v3, v1
	s_delay_alu instid0(VALU_DEP_1)
	v_pk_add_f32 v[196:197], v[196:197], v[2:3] neg_lo:[0,1] neg_hi:[0,1]
.LBB97_64:
	s_wait_xcnt 0x0
	s_or_b32 exec_lo, exec_lo, s1
	s_delay_alu instid0(SALU_CYCLE_1)
	s_mov_b32 s2, exec_lo
	s_wait_storecnt 0x0
	s_barrier_signal -1
	s_barrier_wait -1
	v_cmpx_eq_u32_e32 7, v78
	s_cbranch_execz .LBB97_71
; %bb.65:
	v_dual_mov_b32 v0, v36 :: v_dual_mov_b32 v1, v37
	v_dual_mov_b32 v2, v32 :: v_dual_mov_b32 v3, v33
	;; [unrolled: 1-line block ×4, first 2 shown]
	ds_store_b64 v79, v[20:21]
	ds_store_2addr_b64 v80, v[0:1], v[2:3] offset0:8 offset1:9
	ds_store_2addr_b64 v80, v[4:5], v[6:7] offset0:10 offset1:11
	v_dual_mov_b32 v0, v52 :: v_dual_mov_b32 v1, v53
	v_dual_mov_b32 v2, v48 :: v_dual_mov_b32 v3, v49
	v_dual_mov_b32 v4, v50 :: v_dual_mov_b32 v5, v51
	v_dual_mov_b32 v6, v46 :: v_dual_mov_b32 v7, v47
	v_dual_mov_b32 v8, v76 :: v_dual_mov_b32 v9, v77
	v_dual_mov_b32 v10, v72 :: v_dual_mov_b32 v11, v73
	v_dual_mov_b32 v12, v74 :: v_dual_mov_b32 v13, v75
	v_dual_mov_b32 v14, v70 :: v_dual_mov_b32 v15, v71
	v_dual_mov_b32 v18, v94 :: v_dual_mov_b32 v19, v95
	v_dual_mov_b32 v24, v90 :: v_dual_mov_b32 v25, v91
	v_dual_mov_b32 v26, v92 :: v_dual_mov_b32 v27, v93
	v_dual_mov_b32 v28, v88 :: v_dual_mov_b32 v29, v89
	ds_store_2addr_b64 v80, v[0:1], v[2:3] offset0:12 offset1:13
	ds_store_2addr_b64 v80, v[4:5], v[6:7] offset0:14 offset1:15
	ds_store_2addr_b64 v80, v[8:9], v[10:11] offset0:16 offset1:17
	ds_store_2addr_b64 v80, v[12:13], v[14:15] offset0:18 offset1:19
	ds_store_2addr_b64 v80, v[18:19], v[24:25] offset0:20 offset1:21
	ds_store_2addr_b64 v80, v[26:27], v[28:29] offset0:22 offset1:23
	v_dual_mov_b32 v0, v112 :: v_dual_mov_b32 v1, v113
	v_dual_mov_b32 v2, v108 :: v_dual_mov_b32 v3, v109
	v_dual_mov_b32 v4, v110 :: v_dual_mov_b32 v5, v111
	v_dual_mov_b32 v6, v106 :: v_dual_mov_b32 v7, v107
	v_dual_mov_b32 v8, v128 :: v_dual_mov_b32 v9, v129
	v_dual_mov_b32 v10, v124 :: v_dual_mov_b32 v11, v125
	v_dual_mov_b32 v12, v126 :: v_dual_mov_b32 v13, v127
	v_dual_mov_b32 v14, v122 :: v_dual_mov_b32 v15, v123
	v_dual_mov_b32 v18, v144 :: v_dual_mov_b32 v19, v145
	v_dual_mov_b32 v24, v140 :: v_dual_mov_b32 v25, v141
	v_dual_mov_b32 v26, v142 :: v_dual_mov_b32 v27, v143
	v_dual_mov_b32 v28, v138 :: v_dual_mov_b32 v29, v139
	ds_store_2addr_b64 v80, v[0:1], v[2:3] offset0:24 offset1:25
	ds_store_2addr_b64 v80, v[4:5], v[6:7] offset0:26 offset1:27
	ds_store_2addr_b64 v80, v[8:9], v[10:11] offset0:28 offset1:29
	ds_store_2addr_b64 v80, v[12:13], v[14:15] offset0:30 offset1:31
	;; [unrolled: 18-line block ×3, first 2 shown]
	ds_store_2addr_b64 v80, v[18:19], v[24:25] offset0:44 offset1:45
	ds_store_2addr_b64 v80, v[26:27], v[28:29] offset0:46 offset1:47
	ds_store_b64 v80, v[196:197] offset:384
	ds_load_b64 v[0:1], v79
	s_wait_dscnt 0x0
	v_cmp_neq_f32_e32 vcc_lo, 0, v0
	v_cmp_neq_f32_e64 s1, 0, v1
	s_or_b32 s1, vcc_lo, s1
	s_delay_alu instid0(SALU_CYCLE_1)
	s_and_b32 exec_lo, exec_lo, s1
	s_cbranch_execz .LBB97_71
; %bb.66:
	v_cmp_ngt_f32_e64 s1, |v0|, |v1|
                                        ; implicit-def: $vgpr2_vgpr3
	s_and_saveexec_b32 s4, s1
	s_delay_alu instid0(SALU_CYCLE_1)
	s_xor_b32 s1, exec_lo, s4
	s_cbranch_execz .LBB97_68
; %bb.67:
	v_div_scale_f32 v2, null, v1, v1, v0
	v_div_scale_f32 v5, vcc_lo, v0, v1, v0
	s_delay_alu instid0(VALU_DEP_2) | instskip(SKIP_1) | instid1(TRANS32_DEP_1)
	v_rcp_f32_e32 v3, v2
	v_nop
	v_fma_f32 v4, -v2, v3, 1.0
	s_delay_alu instid0(VALU_DEP_1) | instskip(NEXT) | instid1(VALU_DEP_1)
	v_fmac_f32_e32 v3, v4, v3
	v_mul_f32_e32 v4, v5, v3
	s_delay_alu instid0(VALU_DEP_1) | instskip(NEXT) | instid1(VALU_DEP_1)
	v_fma_f32 v6, -v2, v4, v5
	v_fmac_f32_e32 v4, v6, v3
	s_delay_alu instid0(VALU_DEP_1) | instskip(NEXT) | instid1(VALU_DEP_1)
	v_fma_f32 v2, -v2, v4, v5
	v_div_fmas_f32 v2, v2, v3, v4
	s_delay_alu instid0(VALU_DEP_1) | instskip(NEXT) | instid1(VALU_DEP_1)
	v_div_fixup_f32 v2, v2, v1, v0
	v_fmac_f32_e32 v1, v0, v2
	s_delay_alu instid0(VALU_DEP_1) | instskip(SKIP_1) | instid1(VALU_DEP_2)
	v_div_scale_f32 v0, null, v1, v1, 1.0
	v_div_scale_f32 v5, vcc_lo, 1.0, v1, 1.0
	v_rcp_f32_e32 v3, v0
	v_nop
	s_delay_alu instid0(TRANS32_DEP_1) | instskip(NEXT) | instid1(VALU_DEP_1)
	v_fma_f32 v4, -v0, v3, 1.0
	v_fmac_f32_e32 v3, v4, v3
	s_delay_alu instid0(VALU_DEP_1) | instskip(NEXT) | instid1(VALU_DEP_1)
	v_mul_f32_e32 v4, v5, v3
	v_fma_f32 v6, -v0, v4, v5
	s_delay_alu instid0(VALU_DEP_1) | instskip(NEXT) | instid1(VALU_DEP_1)
	v_fmac_f32_e32 v4, v6, v3
	v_fma_f32 v0, -v0, v4, v5
	s_delay_alu instid0(VALU_DEP_1) | instskip(NEXT) | instid1(VALU_DEP_1)
	v_div_fmas_f32 v0, v0, v3, v4
	v_div_fixup_f32 v0, v0, v1, 1.0
	s_delay_alu instid0(VALU_DEP_1)
	v_mul_f32_e32 v2, v2, v0
	v_xor_b32_e32 v3, 0x80000000, v0
                                        ; implicit-def: $vgpr0_vgpr1
.LBB97_68:
	s_and_not1_saveexec_b32 s1, s1
	s_cbranch_execz .LBB97_70
; %bb.69:
	v_div_scale_f32 v2, null, v0, v0, v1
	v_div_scale_f32 v5, vcc_lo, v1, v0, v1
	s_delay_alu instid0(VALU_DEP_2) | instskip(SKIP_1) | instid1(TRANS32_DEP_1)
	v_rcp_f32_e32 v3, v2
	v_nop
	v_fma_f32 v4, -v2, v3, 1.0
	s_delay_alu instid0(VALU_DEP_1) | instskip(NEXT) | instid1(VALU_DEP_1)
	v_fmac_f32_e32 v3, v4, v3
	v_mul_f32_e32 v4, v5, v3
	s_delay_alu instid0(VALU_DEP_1) | instskip(NEXT) | instid1(VALU_DEP_1)
	v_fma_f32 v6, -v2, v4, v5
	v_fmac_f32_e32 v4, v6, v3
	s_delay_alu instid0(VALU_DEP_1) | instskip(NEXT) | instid1(VALU_DEP_1)
	v_fma_f32 v2, -v2, v4, v5
	v_div_fmas_f32 v2, v2, v3, v4
	s_delay_alu instid0(VALU_DEP_1) | instskip(NEXT) | instid1(VALU_DEP_1)
	v_div_fixup_f32 v3, v2, v0, v1
	v_fmac_f32_e32 v0, v1, v3
	s_delay_alu instid0(VALU_DEP_1) | instskip(NEXT) | instid1(VALU_DEP_1)
	v_div_scale_f32 v1, null, v0, v0, 1.0
	v_rcp_f32_e32 v2, v1
	v_nop
	s_delay_alu instid0(TRANS32_DEP_1) | instskip(NEXT) | instid1(VALU_DEP_1)
	v_fma_f32 v4, -v1, v2, 1.0
	v_fmac_f32_e32 v2, v4, v2
	v_div_scale_f32 v4, vcc_lo, 1.0, v0, 1.0
	s_delay_alu instid0(VALU_DEP_1) | instskip(NEXT) | instid1(VALU_DEP_1)
	v_mul_f32_e32 v5, v4, v2
	v_fma_f32 v6, -v1, v5, v4
	s_delay_alu instid0(VALU_DEP_1) | instskip(NEXT) | instid1(VALU_DEP_1)
	v_fmac_f32_e32 v5, v6, v2
	v_fma_f32 v1, -v1, v5, v4
	s_delay_alu instid0(VALU_DEP_1) | instskip(NEXT) | instid1(VALU_DEP_1)
	v_div_fmas_f32 v1, v1, v2, v5
	v_div_fixup_f32 v2, v1, v0, 1.0
	s_delay_alu instid0(VALU_DEP_1)
	v_mul_f32_e64 v3, v3, -v2
.LBB97_70:
	s_or_b32 exec_lo, exec_lo, s1
	ds_store_b64 v79, v[2:3]
.LBB97_71:
	s_or_b32 exec_lo, exec_lo, s2
	s_wait_dscnt 0x0
	s_barrier_signal -1
	s_barrier_wait -1
	ds_load_b64 v[0:1], v79
	s_mov_b32 s1, exec_lo
	s_wait_dscnt 0x0
	scratch_store_b64 off, v[0:1], off offset:24 ; 8-byte Folded Spill
	s_wait_xcnt 0x0
	v_cmpx_lt_u32_e32 7, v78
	s_cbranch_execz .LBB97_73
; %bb.72:
	scratch_load_b64 v[4:5], off, off offset:24 ; 8-byte Folded Reload
	s_wait_loadcnt 0x0
	v_pk_mul_f32 v[2:3], v[4:5], v[20:21] op_sel:[1,1] op_sel_hi:[0,1]
	s_delay_alu instid0(VALU_DEP_1)
	v_pk_fma_f32 v[0:1], v[4:5], v[20:21], v[2:3] op_sel_hi:[1,0,1] neg_lo:[0,0,1] neg_hi:[0,0,1]
	v_pk_fma_f32 v[2:3], v[4:5], v[20:21], v[2:3] op_sel_hi:[1,0,1]
	ds_load_2addr_b64 v[4:7], v80 offset0:8 offset1:9
	v_dual_mov_b32 v20, v0 :: v_dual_mov_b32 v21, v3
	s_wait_dscnt 0x0
	v_pk_mul_f32 v[8:9], v[4:5], v[2:3] op_sel:[0,1]
	s_delay_alu instid0(VALU_DEP_1) | instskip(SKIP_1) | instid1(VALU_DEP_1)
	v_pk_fma_f32 v[10:11], v[4:5], v[0:1], v[8:9] op_sel:[0,0,1] op_sel_hi:[1,1,0] neg_lo:[0,0,1] neg_hi:[0,0,1]
	v_pk_fma_f32 v[4:5], v[4:5], v[0:1], v[8:9] op_sel:[0,0,1] op_sel_hi:[1,0,0]
	v_mov_b32_e32 v11, v5
	v_pk_mul_f32 v[4:5], v[6:7], v[2:3] op_sel:[0,1]
	s_delay_alu instid0(VALU_DEP_1) | instskip(SKIP_1) | instid1(VALU_DEP_1)
	v_pk_fma_f32 v[8:9], v[6:7], v[0:1], v[4:5] op_sel:[0,0,1] op_sel_hi:[1,1,0] neg_lo:[0,0,1] neg_hi:[0,0,1]
	v_pk_fma_f32 v[4:5], v[6:7], v[0:1], v[4:5] op_sel:[0,0,1] op_sel_hi:[1,0,0]
	v_mov_b32_e32 v9, v5
	ds_load_2addr_b64 v[4:7], v80 offset0:10 offset1:11
	v_pk_add_f32 v[36:37], v[36:37], v[10:11] neg_lo:[0,1] neg_hi:[0,1]
	v_pk_add_f32 v[32:33], v[32:33], v[8:9] neg_lo:[0,1] neg_hi:[0,1]
	s_wait_dscnt 0x0
	v_pk_mul_f32 v[8:9], v[4:5], v[2:3] op_sel:[0,1]
	s_delay_alu instid0(VALU_DEP_1) | instskip(SKIP_2) | instid1(VALU_DEP_2)
	v_pk_fma_f32 v[10:11], v[4:5], v[0:1], v[8:9] op_sel:[0,0,1] op_sel_hi:[1,1,0] neg_lo:[0,0,1] neg_hi:[0,0,1]
	v_pk_fma_f32 v[4:5], v[4:5], v[0:1], v[8:9] op_sel:[0,0,1] op_sel_hi:[1,0,0]
	v_dual_mul_f32 v8, v7, v3 :: v_dual_mov_b32 v4, v7
	v_dual_mov_b32 v11, v5 :: v_dual_mov_b32 v5, v6
	s_delay_alu instid0(VALU_DEP_2) | instskip(SKIP_1) | instid1(VALU_DEP_3)
	v_pk_fma_f32 v[8:9], v[6:7], v[20:21], v[8:9] op_sel_hi:[1,1,0] neg_lo:[0,0,1] neg_hi:[0,0,1]
	v_mul_f32_e32 v6, v7, v0
	v_pk_add_f32 v[34:35], v[34:35], v[10:11] neg_lo:[0,1] neg_hi:[0,1]
	s_delay_alu instid0(VALU_DEP_2) | instskip(NEXT) | instid1(VALU_DEP_1)
	v_pk_fma_f32 v[4:5], v[4:5], v[20:21], v[6:7] op_sel_hi:[1,1,0]
	v_mov_b32_e32 v9, v5
	ds_load_2addr_b64 v[4:7], v80 offset0:12 offset1:13
	v_pk_add_f32 v[30:31], v[30:31], v[8:9] neg_lo:[0,1] neg_hi:[0,1]
	s_wait_dscnt 0x0
	v_pk_mul_f32 v[8:9], v[4:5], v[2:3] op_sel:[0,1]
	s_delay_alu instid0(VALU_DEP_1) | instskip(SKIP_1) | instid1(VALU_DEP_1)
	v_pk_fma_f32 v[10:11], v[4:5], v[0:1], v[8:9] op_sel:[0,0,1] op_sel_hi:[1,1,0] neg_lo:[0,0,1] neg_hi:[0,0,1]
	v_pk_fma_f32 v[4:5], v[4:5], v[0:1], v[8:9] op_sel:[0,0,1] op_sel_hi:[1,0,0]
	v_mov_b32_e32 v11, v5
	v_pk_mul_f32 v[4:5], v[6:7], v[2:3] op_sel:[0,1]
	s_delay_alu instid0(VALU_DEP_1) | instskip(SKIP_1) | instid1(VALU_DEP_1)
	v_pk_fma_f32 v[8:9], v[6:7], v[0:1], v[4:5] op_sel:[0,0,1] op_sel_hi:[1,1,0] neg_lo:[0,0,1] neg_hi:[0,0,1]
	v_pk_fma_f32 v[4:5], v[6:7], v[0:1], v[4:5] op_sel:[0,0,1] op_sel_hi:[1,0,0]
	v_mov_b32_e32 v9, v5
	ds_load_2addr_b64 v[4:7], v80 offset0:14 offset1:15
	v_pk_add_f32 v[52:53], v[52:53], v[10:11] neg_lo:[0,1] neg_hi:[0,1]
	v_pk_add_f32 v[48:49], v[48:49], v[8:9] neg_lo:[0,1] neg_hi:[0,1]
	s_wait_dscnt 0x0
	v_pk_mul_f32 v[8:9], v[4:5], v[2:3] op_sel:[0,1]
	s_delay_alu instid0(VALU_DEP_1) | instskip(SKIP_1) | instid1(VALU_DEP_1)
	v_pk_fma_f32 v[10:11], v[4:5], v[0:1], v[8:9] op_sel:[0,0,1] op_sel_hi:[1,1,0] neg_lo:[0,0,1] neg_hi:[0,0,1]
	v_pk_fma_f32 v[4:5], v[4:5], v[0:1], v[8:9] op_sel:[0,0,1] op_sel_hi:[1,0,0]
	v_mov_b32_e32 v11, v5
	v_pk_mul_f32 v[4:5], v[6:7], v[2:3] op_sel:[0,1]
	s_delay_alu instid0(VALU_DEP_1) | instskip(SKIP_1) | instid1(VALU_DEP_1)
	v_pk_fma_f32 v[8:9], v[6:7], v[0:1], v[4:5] op_sel:[0,0,1] op_sel_hi:[1,1,0] neg_lo:[0,0,1] neg_hi:[0,0,1]
	v_pk_fma_f32 v[4:5], v[6:7], v[0:1], v[4:5] op_sel:[0,0,1] op_sel_hi:[1,0,0]
	v_mov_b32_e32 v9, v5
	ds_load_2addr_b64 v[4:7], v80 offset0:16 offset1:17
	v_pk_add_f32 v[50:51], v[50:51], v[10:11] neg_lo:[0,1] neg_hi:[0,1]
	v_pk_add_f32 v[46:47], v[46:47], v[8:9] neg_lo:[0,1] neg_hi:[0,1]
	s_wait_dscnt 0x0
	v_dual_mul_f32 v8, v5, v3 :: v_dual_mul_f32 v10, v5, v0
	s_delay_alu instid0(VALU_DEP_1) | instskip(NEXT) | instid1(VALU_DEP_2)
	v_pk_fma_f32 v[8:9], v[4:5], v[20:21], v[8:9] op_sel_hi:[1,1,0] neg_lo:[0,0,1] neg_hi:[0,0,1]
	v_pk_fma_f32 v[4:5], v[4:5], v[20:21], v[10:11] op_sel:[1,0,0] op_sel_hi:[0,1,0]
	s_delay_alu instid0(VALU_DEP_1) | instskip(SKIP_1) | instid1(VALU_DEP_2)
	v_mov_b32_e32 v9, v5
	v_pk_mul_f32 v[4:5], v[6:7], v[2:3] op_sel:[0,1]
	v_pk_add_f32 v[76:77], v[76:77], v[8:9] neg_lo:[0,1] neg_hi:[0,1]
	s_delay_alu instid0(VALU_DEP_2) | instskip(SKIP_1) | instid1(VALU_DEP_1)
	v_pk_fma_f32 v[8:9], v[6:7], v[0:1], v[4:5] op_sel:[0,0,1] op_sel_hi:[1,1,0] neg_lo:[0,0,1] neg_hi:[0,0,1]
	v_pk_fma_f32 v[4:5], v[6:7], v[0:1], v[4:5] op_sel:[0,0,1] op_sel_hi:[1,0,0]
	v_mov_b32_e32 v9, v5
	ds_load_2addr_b64 v[4:7], v80 offset0:18 offset1:19
	v_pk_add_f32 v[72:73], v[72:73], v[8:9] neg_lo:[0,1] neg_hi:[0,1]
	s_wait_dscnt 0x0
	v_pk_mul_f32 v[8:9], v[4:5], v[2:3] op_sel:[0,1]
	s_delay_alu instid0(VALU_DEP_1) | instskip(SKIP_1) | instid1(VALU_DEP_1)
	v_pk_fma_f32 v[10:11], v[4:5], v[0:1], v[8:9] op_sel:[0,0,1] op_sel_hi:[1,1,0] neg_lo:[0,0,1] neg_hi:[0,0,1]
	v_pk_fma_f32 v[4:5], v[4:5], v[0:1], v[8:9] op_sel:[0,0,1] op_sel_hi:[1,0,0]
	v_mov_b32_e32 v11, v5
	v_pk_mul_f32 v[4:5], v[6:7], v[2:3] op_sel:[0,1]
	s_delay_alu instid0(VALU_DEP_2) | instskip(NEXT) | instid1(VALU_DEP_2)
	v_pk_add_f32 v[74:75], v[74:75], v[10:11] neg_lo:[0,1] neg_hi:[0,1]
	v_pk_fma_f32 v[8:9], v[6:7], v[0:1], v[4:5] op_sel:[0,0,1] op_sel_hi:[1,1,0] neg_lo:[0,0,1] neg_hi:[0,0,1]
	v_pk_fma_f32 v[4:5], v[6:7], v[0:1], v[4:5] op_sel:[0,0,1] op_sel_hi:[1,0,0]
	s_delay_alu instid0(VALU_DEP_1) | instskip(SKIP_4) | instid1(VALU_DEP_1)
	v_mov_b32_e32 v9, v5
	ds_load_2addr_b64 v[4:7], v80 offset0:20 offset1:21
	v_pk_add_f32 v[70:71], v[70:71], v[8:9] neg_lo:[0,1] neg_hi:[0,1]
	s_wait_dscnt 0x0
	v_pk_mul_f32 v[8:9], v[4:5], v[2:3] op_sel:[0,1]
	v_pk_fma_f32 v[10:11], v[4:5], v[0:1], v[8:9] op_sel:[0,0,1] op_sel_hi:[1,1,0] neg_lo:[0,0,1] neg_hi:[0,0,1]
	v_pk_fma_f32 v[4:5], v[4:5], v[0:1], v[8:9] op_sel:[0,0,1] op_sel_hi:[1,0,0]
	v_dual_mul_f32 v8, v7, v3 :: v_dual_mov_b32 v4, v7
	s_delay_alu instid0(VALU_DEP_2) | instskip(NEXT) | instid1(VALU_DEP_2)
	v_dual_mov_b32 v11, v5 :: v_dual_mov_b32 v5, v6
	v_pk_fma_f32 v[8:9], v[6:7], v[20:21], v[8:9] op_sel_hi:[1,1,0] neg_lo:[0,0,1] neg_hi:[0,0,1]
	v_mul_f32_e32 v6, v7, v0
	s_delay_alu instid0(VALU_DEP_3) | instskip(NEXT) | instid1(VALU_DEP_2)
	v_pk_add_f32 v[94:95], v[94:95], v[10:11] neg_lo:[0,1] neg_hi:[0,1]
	v_pk_fma_f32 v[4:5], v[4:5], v[20:21], v[6:7] op_sel_hi:[1,1,0]
	s_delay_alu instid0(VALU_DEP_1) | instskip(SKIP_4) | instid1(VALU_DEP_1)
	v_mov_b32_e32 v9, v5
	ds_load_2addr_b64 v[4:7], v80 offset0:22 offset1:23
	v_pk_add_f32 v[90:91], v[90:91], v[8:9] neg_lo:[0,1] neg_hi:[0,1]
	s_wait_dscnt 0x0
	v_pk_mul_f32 v[8:9], v[4:5], v[2:3] op_sel:[0,1]
	v_pk_fma_f32 v[10:11], v[4:5], v[0:1], v[8:9] op_sel:[0,0,1] op_sel_hi:[1,1,0] neg_lo:[0,0,1] neg_hi:[0,0,1]
	v_pk_fma_f32 v[4:5], v[4:5], v[0:1], v[8:9] op_sel:[0,0,1] op_sel_hi:[1,0,0]
	s_delay_alu instid0(VALU_DEP_1) | instskip(SKIP_1) | instid1(VALU_DEP_1)
	v_mov_b32_e32 v11, v5
	v_pk_mul_f32 v[4:5], v[6:7], v[2:3] op_sel:[0,1]
	v_pk_fma_f32 v[8:9], v[6:7], v[0:1], v[4:5] op_sel:[0,0,1] op_sel_hi:[1,1,0] neg_lo:[0,0,1] neg_hi:[0,0,1]
	v_pk_fma_f32 v[4:5], v[6:7], v[0:1], v[4:5] op_sel:[0,0,1] op_sel_hi:[1,0,0]
	s_delay_alu instid0(VALU_DEP_1)
	v_mov_b32_e32 v9, v5
	ds_load_2addr_b64 v[4:7], v80 offset0:24 offset1:25
	v_pk_add_f32 v[92:93], v[92:93], v[10:11] neg_lo:[0,1] neg_hi:[0,1]
	v_pk_add_f32 v[88:89], v[88:89], v[8:9] neg_lo:[0,1] neg_hi:[0,1]
	s_wait_dscnt 0x0
	v_pk_mul_f32 v[8:9], v[4:5], v[2:3] op_sel:[0,1]
	s_delay_alu instid0(VALU_DEP_1) | instskip(SKIP_1) | instid1(VALU_DEP_1)
	v_pk_fma_f32 v[10:11], v[4:5], v[0:1], v[8:9] op_sel:[0,0,1] op_sel_hi:[1,1,0] neg_lo:[0,0,1] neg_hi:[0,0,1]
	v_pk_fma_f32 v[4:5], v[4:5], v[0:1], v[8:9] op_sel:[0,0,1] op_sel_hi:[1,0,0]
	v_mov_b32_e32 v11, v5
	v_pk_mul_f32 v[4:5], v[6:7], v[2:3] op_sel:[0,1]
	s_delay_alu instid0(VALU_DEP_1) | instskip(SKIP_1) | instid1(VALU_DEP_1)
	v_pk_fma_f32 v[8:9], v[6:7], v[0:1], v[4:5] op_sel:[0,0,1] op_sel_hi:[1,1,0] neg_lo:[0,0,1] neg_hi:[0,0,1]
	v_pk_fma_f32 v[4:5], v[6:7], v[0:1], v[4:5] op_sel:[0,0,1] op_sel_hi:[1,0,0]
	v_mov_b32_e32 v9, v5
	ds_load_2addr_b64 v[4:7], v80 offset0:26 offset1:27
	v_pk_add_f32 v[112:113], v[112:113], v[10:11] neg_lo:[0,1] neg_hi:[0,1]
	v_pk_add_f32 v[108:109], v[108:109], v[8:9] neg_lo:[0,1] neg_hi:[0,1]
	s_wait_dscnt 0x0
	v_dual_mul_f32 v8, v5, v3 :: v_dual_mul_f32 v10, v5, v0
	s_delay_alu instid0(VALU_DEP_1) | instskip(NEXT) | instid1(VALU_DEP_2)
	v_pk_fma_f32 v[8:9], v[4:5], v[20:21], v[8:9] op_sel_hi:[1,1,0] neg_lo:[0,0,1] neg_hi:[0,0,1]
	v_pk_fma_f32 v[4:5], v[4:5], v[20:21], v[10:11] op_sel:[1,0,0] op_sel_hi:[0,1,0]
	s_delay_alu instid0(VALU_DEP_1) | instskip(SKIP_1) | instid1(VALU_DEP_2)
	v_mov_b32_e32 v9, v5
	v_pk_mul_f32 v[4:5], v[6:7], v[2:3] op_sel:[0,1]
	v_pk_add_f32 v[110:111], v[110:111], v[8:9] neg_lo:[0,1] neg_hi:[0,1]
	s_delay_alu instid0(VALU_DEP_2) | instskip(SKIP_1) | instid1(VALU_DEP_1)
	v_pk_fma_f32 v[8:9], v[6:7], v[0:1], v[4:5] op_sel:[0,0,1] op_sel_hi:[1,1,0] neg_lo:[0,0,1] neg_hi:[0,0,1]
	v_pk_fma_f32 v[4:5], v[6:7], v[0:1], v[4:5] op_sel:[0,0,1] op_sel_hi:[1,0,0]
	v_mov_b32_e32 v9, v5
	ds_load_2addr_b64 v[4:7], v80 offset0:28 offset1:29
	v_pk_add_f32 v[106:107], v[106:107], v[8:9] neg_lo:[0,1] neg_hi:[0,1]
	s_wait_dscnt 0x0
	v_pk_mul_f32 v[8:9], v[4:5], v[2:3] op_sel:[0,1]
	s_delay_alu instid0(VALU_DEP_1) | instskip(SKIP_1) | instid1(VALU_DEP_1)
	v_pk_fma_f32 v[10:11], v[4:5], v[0:1], v[8:9] op_sel:[0,0,1] op_sel_hi:[1,1,0] neg_lo:[0,0,1] neg_hi:[0,0,1]
	v_pk_fma_f32 v[4:5], v[4:5], v[0:1], v[8:9] op_sel:[0,0,1] op_sel_hi:[1,0,0]
	v_mov_b32_e32 v11, v5
	v_pk_mul_f32 v[4:5], v[6:7], v[2:3] op_sel:[0,1]
	s_delay_alu instid0(VALU_DEP_2) | instskip(NEXT) | instid1(VALU_DEP_2)
	v_pk_add_f32 v[128:129], v[128:129], v[10:11] neg_lo:[0,1] neg_hi:[0,1]
	v_pk_fma_f32 v[8:9], v[6:7], v[0:1], v[4:5] op_sel:[0,0,1] op_sel_hi:[1,1,0] neg_lo:[0,0,1] neg_hi:[0,0,1]
	v_pk_fma_f32 v[4:5], v[6:7], v[0:1], v[4:5] op_sel:[0,0,1] op_sel_hi:[1,0,0]
	s_delay_alu instid0(VALU_DEP_1) | instskip(SKIP_4) | instid1(VALU_DEP_1)
	v_mov_b32_e32 v9, v5
	ds_load_2addr_b64 v[4:7], v80 offset0:30 offset1:31
	v_pk_add_f32 v[124:125], v[124:125], v[8:9] neg_lo:[0,1] neg_hi:[0,1]
	s_wait_dscnt 0x0
	v_pk_mul_f32 v[8:9], v[4:5], v[2:3] op_sel:[0,1]
	v_pk_fma_f32 v[10:11], v[4:5], v[0:1], v[8:9] op_sel:[0,0,1] op_sel_hi:[1,1,0] neg_lo:[0,0,1] neg_hi:[0,0,1]
	v_pk_fma_f32 v[4:5], v[4:5], v[0:1], v[8:9] op_sel:[0,0,1] op_sel_hi:[1,0,0]
	v_dual_mul_f32 v8, v7, v3 :: v_dual_mov_b32 v4, v7
	s_delay_alu instid0(VALU_DEP_2) | instskip(NEXT) | instid1(VALU_DEP_2)
	v_dual_mov_b32 v11, v5 :: v_dual_mov_b32 v5, v6
	v_pk_fma_f32 v[8:9], v[6:7], v[20:21], v[8:9] op_sel_hi:[1,1,0] neg_lo:[0,0,1] neg_hi:[0,0,1]
	v_mul_f32_e32 v6, v7, v0
	s_delay_alu instid0(VALU_DEP_3) | instskip(NEXT) | instid1(VALU_DEP_2)
	v_pk_add_f32 v[126:127], v[126:127], v[10:11] neg_lo:[0,1] neg_hi:[0,1]
	v_pk_fma_f32 v[4:5], v[4:5], v[20:21], v[6:7] op_sel_hi:[1,1,0]
	s_delay_alu instid0(VALU_DEP_1) | instskip(SKIP_4) | instid1(VALU_DEP_1)
	v_mov_b32_e32 v9, v5
	ds_load_2addr_b64 v[4:7], v80 offset0:32 offset1:33
	v_pk_add_f32 v[122:123], v[122:123], v[8:9] neg_lo:[0,1] neg_hi:[0,1]
	s_wait_dscnt 0x0
	v_pk_mul_f32 v[8:9], v[4:5], v[2:3] op_sel:[0,1]
	v_pk_fma_f32 v[10:11], v[4:5], v[0:1], v[8:9] op_sel:[0,0,1] op_sel_hi:[1,1,0] neg_lo:[0,0,1] neg_hi:[0,0,1]
	v_pk_fma_f32 v[4:5], v[4:5], v[0:1], v[8:9] op_sel:[0,0,1] op_sel_hi:[1,0,0]
	s_delay_alu instid0(VALU_DEP_1) | instskip(SKIP_1) | instid1(VALU_DEP_1)
	v_mov_b32_e32 v11, v5
	v_pk_mul_f32 v[4:5], v[6:7], v[2:3] op_sel:[0,1]
	v_pk_fma_f32 v[8:9], v[6:7], v[0:1], v[4:5] op_sel:[0,0,1] op_sel_hi:[1,1,0] neg_lo:[0,0,1] neg_hi:[0,0,1]
	v_pk_fma_f32 v[4:5], v[6:7], v[0:1], v[4:5] op_sel:[0,0,1] op_sel_hi:[1,0,0]
	s_delay_alu instid0(VALU_DEP_1)
	v_mov_b32_e32 v9, v5
	ds_load_2addr_b64 v[4:7], v80 offset0:34 offset1:35
	v_pk_add_f32 v[144:145], v[144:145], v[10:11] neg_lo:[0,1] neg_hi:[0,1]
	v_pk_add_f32 v[140:141], v[140:141], v[8:9] neg_lo:[0,1] neg_hi:[0,1]
	s_wait_dscnt 0x0
	v_pk_mul_f32 v[8:9], v[4:5], v[2:3] op_sel:[0,1]
	s_delay_alu instid0(VALU_DEP_1) | instskip(SKIP_1) | instid1(VALU_DEP_1)
	v_pk_fma_f32 v[10:11], v[4:5], v[0:1], v[8:9] op_sel:[0,0,1] op_sel_hi:[1,1,0] neg_lo:[0,0,1] neg_hi:[0,0,1]
	v_pk_fma_f32 v[4:5], v[4:5], v[0:1], v[8:9] op_sel:[0,0,1] op_sel_hi:[1,0,0]
	v_mov_b32_e32 v11, v5
	v_pk_mul_f32 v[4:5], v[6:7], v[2:3] op_sel:[0,1]
	s_delay_alu instid0(VALU_DEP_1) | instskip(SKIP_1) | instid1(VALU_DEP_1)
	v_pk_fma_f32 v[8:9], v[6:7], v[0:1], v[4:5] op_sel:[0,0,1] op_sel_hi:[1,1,0] neg_lo:[0,0,1] neg_hi:[0,0,1]
	v_pk_fma_f32 v[4:5], v[6:7], v[0:1], v[4:5] op_sel:[0,0,1] op_sel_hi:[1,0,0]
	v_mov_b32_e32 v9, v5
	ds_load_2addr_b64 v[4:7], v80 offset0:36 offset1:37
	v_pk_add_f32 v[142:143], v[142:143], v[10:11] neg_lo:[0,1] neg_hi:[0,1]
	v_pk_add_f32 v[138:139], v[138:139], v[8:9] neg_lo:[0,1] neg_hi:[0,1]
	s_wait_dscnt 0x0
	v_dual_mul_f32 v8, v5, v3 :: v_dual_mul_f32 v10, v5, v0
	s_delay_alu instid0(VALU_DEP_1) | instskip(NEXT) | instid1(VALU_DEP_2)
	v_pk_fma_f32 v[8:9], v[4:5], v[20:21], v[8:9] op_sel_hi:[1,1,0] neg_lo:[0,0,1] neg_hi:[0,0,1]
	v_pk_fma_f32 v[4:5], v[4:5], v[20:21], v[10:11] op_sel:[1,0,0] op_sel_hi:[0,1,0]
	s_delay_alu instid0(VALU_DEP_1) | instskip(SKIP_1) | instid1(VALU_DEP_2)
	v_mov_b32_e32 v9, v5
	v_pk_mul_f32 v[4:5], v[6:7], v[2:3] op_sel:[0,1]
	v_pk_add_f32 v[166:167], v[166:167], v[8:9] neg_lo:[0,1] neg_hi:[0,1]
	s_delay_alu instid0(VALU_DEP_2) | instskip(SKIP_1) | instid1(VALU_DEP_1)
	v_pk_fma_f32 v[8:9], v[6:7], v[0:1], v[4:5] op_sel:[0,0,1] op_sel_hi:[1,1,0] neg_lo:[0,0,1] neg_hi:[0,0,1]
	v_pk_fma_f32 v[4:5], v[6:7], v[0:1], v[4:5] op_sel:[0,0,1] op_sel_hi:[1,0,0]
	v_mov_b32_e32 v9, v5
	ds_load_2addr_b64 v[4:7], v80 offset0:38 offset1:39
	v_pk_add_f32 v[162:163], v[162:163], v[8:9] neg_lo:[0,1] neg_hi:[0,1]
	s_wait_dscnt 0x0
	v_pk_mul_f32 v[8:9], v[4:5], v[2:3] op_sel:[0,1]
	s_delay_alu instid0(VALU_DEP_1) | instskip(SKIP_1) | instid1(VALU_DEP_1)
	v_pk_fma_f32 v[10:11], v[4:5], v[0:1], v[8:9] op_sel:[0,0,1] op_sel_hi:[1,1,0] neg_lo:[0,0,1] neg_hi:[0,0,1]
	v_pk_fma_f32 v[4:5], v[4:5], v[0:1], v[8:9] op_sel:[0,0,1] op_sel_hi:[1,0,0]
	v_mov_b32_e32 v11, v5
	v_pk_mul_f32 v[4:5], v[6:7], v[2:3] op_sel:[0,1]
	s_delay_alu instid0(VALU_DEP_2) | instskip(NEXT) | instid1(VALU_DEP_2)
	v_pk_add_f32 v[164:165], v[164:165], v[10:11] neg_lo:[0,1] neg_hi:[0,1]
	v_pk_fma_f32 v[8:9], v[6:7], v[0:1], v[4:5] op_sel:[0,0,1] op_sel_hi:[1,1,0] neg_lo:[0,0,1] neg_hi:[0,0,1]
	v_pk_fma_f32 v[4:5], v[6:7], v[0:1], v[4:5] op_sel:[0,0,1] op_sel_hi:[1,0,0]
	s_delay_alu instid0(VALU_DEP_1) | instskip(SKIP_4) | instid1(VALU_DEP_1)
	v_mov_b32_e32 v9, v5
	ds_load_2addr_b64 v[4:7], v80 offset0:40 offset1:41
	v_pk_add_f32 v[160:161], v[160:161], v[8:9] neg_lo:[0,1] neg_hi:[0,1]
	s_wait_dscnt 0x0
	v_pk_mul_f32 v[8:9], v[4:5], v[2:3] op_sel:[0,1]
	v_pk_fma_f32 v[10:11], v[4:5], v[0:1], v[8:9] op_sel:[0,0,1] op_sel_hi:[1,1,0] neg_lo:[0,0,1] neg_hi:[0,0,1]
	v_pk_fma_f32 v[4:5], v[4:5], v[0:1], v[8:9] op_sel:[0,0,1] op_sel_hi:[1,0,0]
	v_dual_mul_f32 v8, v7, v3 :: v_dual_mov_b32 v4, v7
	s_delay_alu instid0(VALU_DEP_2) | instskip(NEXT) | instid1(VALU_DEP_2)
	v_dual_mov_b32 v11, v5 :: v_dual_mov_b32 v5, v6
	v_pk_fma_f32 v[8:9], v[6:7], v[20:21], v[8:9] op_sel_hi:[1,1,0] neg_lo:[0,0,1] neg_hi:[0,0,1]
	v_mul_f32_e32 v6, v7, v0
	s_delay_alu instid0(VALU_DEP_3) | instskip(NEXT) | instid1(VALU_DEP_2)
	v_pk_add_f32 v[192:193], v[192:193], v[10:11] neg_lo:[0,1] neg_hi:[0,1]
	v_pk_fma_f32 v[4:5], v[4:5], v[20:21], v[6:7] op_sel_hi:[1,1,0]
	s_delay_alu instid0(VALU_DEP_1) | instskip(SKIP_4) | instid1(VALU_DEP_1)
	v_mov_b32_e32 v9, v5
	ds_load_2addr_b64 v[4:7], v80 offset0:42 offset1:43
	v_pk_add_f32 v[184:185], v[184:185], v[8:9] neg_lo:[0,1] neg_hi:[0,1]
	s_wait_dscnt 0x0
	v_pk_mul_f32 v[8:9], v[4:5], v[2:3] op_sel:[0,1]
	v_pk_fma_f32 v[10:11], v[4:5], v[0:1], v[8:9] op_sel:[0,0,1] op_sel_hi:[1,1,0] neg_lo:[0,0,1] neg_hi:[0,0,1]
	v_pk_fma_f32 v[4:5], v[4:5], v[0:1], v[8:9] op_sel:[0,0,1] op_sel_hi:[1,0,0]
	s_delay_alu instid0(VALU_DEP_1) | instskip(SKIP_1) | instid1(VALU_DEP_1)
	v_mov_b32_e32 v11, v5
	v_pk_mul_f32 v[4:5], v[6:7], v[2:3] op_sel:[0,1]
	v_pk_fma_f32 v[8:9], v[6:7], v[0:1], v[4:5] op_sel:[0,0,1] op_sel_hi:[1,1,0] neg_lo:[0,0,1] neg_hi:[0,0,1]
	v_pk_fma_f32 v[4:5], v[6:7], v[0:1], v[4:5] op_sel:[0,0,1] op_sel_hi:[1,0,0]
	s_delay_alu instid0(VALU_DEP_1)
	v_mov_b32_e32 v9, v5
	ds_load_2addr_b64 v[4:7], v80 offset0:44 offset1:45
	v_pk_add_f32 v[190:191], v[190:191], v[10:11] neg_lo:[0,1] neg_hi:[0,1]
	v_pk_add_f32 v[182:183], v[182:183], v[8:9] neg_lo:[0,1] neg_hi:[0,1]
	s_wait_dscnt 0x0
	v_pk_mul_f32 v[8:9], v[4:5], v[2:3] op_sel:[0,1]
	s_delay_alu instid0(VALU_DEP_1) | instskip(SKIP_1) | instid1(VALU_DEP_1)
	v_pk_fma_f32 v[10:11], v[4:5], v[0:1], v[8:9] op_sel:[0,0,1] op_sel_hi:[1,1,0] neg_lo:[0,0,1] neg_hi:[0,0,1]
	v_pk_fma_f32 v[4:5], v[4:5], v[0:1], v[8:9] op_sel:[0,0,1] op_sel_hi:[1,0,0]
	v_mov_b32_e32 v11, v5
	v_pk_mul_f32 v[4:5], v[6:7], v[2:3] op_sel:[0,1]
	s_delay_alu instid0(VALU_DEP_1) | instskip(SKIP_1) | instid1(VALU_DEP_1)
	v_pk_fma_f32 v[8:9], v[6:7], v[0:1], v[4:5] op_sel:[0,0,1] op_sel_hi:[1,1,0] neg_lo:[0,0,1] neg_hi:[0,0,1]
	v_pk_fma_f32 v[4:5], v[6:7], v[0:1], v[4:5] op_sel:[0,0,1] op_sel_hi:[1,0,0]
	v_mov_b32_e32 v9, v5
	ds_load_2addr_b64 v[4:7], v80 offset0:46 offset1:47
	v_pk_add_f32 v[188:189], v[188:189], v[10:11] neg_lo:[0,1] neg_hi:[0,1]
	v_pk_add_f32 v[180:181], v[180:181], v[8:9] neg_lo:[0,1] neg_hi:[0,1]
	s_wait_dscnt 0x0
	v_dual_mul_f32 v8, v5, v3 :: v_dual_mul_f32 v10, v5, v0
	s_delay_alu instid0(VALU_DEP_1) | instskip(NEXT) | instid1(VALU_DEP_2)
	v_pk_fma_f32 v[8:9], v[4:5], v[20:21], v[8:9] op_sel_hi:[1,1,0] neg_lo:[0,0,1] neg_hi:[0,0,1]
	v_pk_fma_f32 v[4:5], v[4:5], v[20:21], v[10:11] op_sel:[1,0,0] op_sel_hi:[0,1,0]
	s_delay_alu instid0(VALU_DEP_1) | instskip(SKIP_1) | instid1(VALU_DEP_2)
	v_mov_b32_e32 v9, v5
	v_pk_mul_f32 v[4:5], v[6:7], v[2:3] op_sel:[0,1]
	v_pk_add_f32 v[186:187], v[186:187], v[8:9] neg_lo:[0,1] neg_hi:[0,1]
	s_delay_alu instid0(VALU_DEP_2) | instskip(SKIP_1) | instid1(VALU_DEP_1)
	v_pk_fma_f32 v[8:9], v[6:7], v[0:1], v[4:5] op_sel:[0,0,1] op_sel_hi:[1,1,0] neg_lo:[0,0,1] neg_hi:[0,0,1]
	v_pk_fma_f32 v[4:5], v[6:7], v[0:1], v[4:5] op_sel:[0,0,1] op_sel_hi:[1,0,0]
	v_mov_b32_e32 v9, v5
	ds_load_b64 v[4:5], v80 offset:384
	v_pk_add_f32 v[194:195], v[194:195], v[8:9] neg_lo:[0,1] neg_hi:[0,1]
	s_wait_dscnt 0x0
	v_pk_mul_f32 v[2:3], v[4:5], v[2:3] op_sel:[0,1]
	s_delay_alu instid0(VALU_DEP_1) | instskip(SKIP_1) | instid1(VALU_DEP_1)
	v_pk_fma_f32 v[6:7], v[4:5], v[0:1], v[2:3] op_sel:[0,0,1] op_sel_hi:[1,1,0] neg_lo:[0,0,1] neg_hi:[0,0,1]
	v_pk_fma_f32 v[0:1], v[4:5], v[0:1], v[2:3] op_sel:[0,0,1] op_sel_hi:[1,0,0]
	v_mov_b32_e32 v7, v1
	s_delay_alu instid0(VALU_DEP_1)
	v_pk_add_f32 v[196:197], v[196:197], v[6:7] neg_lo:[0,1] neg_hi:[0,1]
.LBB97_73:
	s_wait_xcnt 0x0
	s_or_b32 exec_lo, exec_lo, s1
	s_delay_alu instid0(SALU_CYCLE_1)
	s_mov_b32 s2, exec_lo
	s_wait_storecnt 0x0
	s_barrier_signal -1
	s_barrier_wait -1
	v_cmpx_eq_u32_e32 8, v78
	s_cbranch_execz .LBB97_80
; %bb.74:
	ds_store_b64 v79, v[36:37]
	ds_store_2addr_b64 v80, v[32:33], v[34:35] offset0:9 offset1:10
	ds_store_2addr_b64 v80, v[30:31], v[52:53] offset0:11 offset1:12
	ds_store_2addr_b64 v80, v[48:49], v[50:51] offset0:13 offset1:14
	ds_store_2addr_b64 v80, v[46:47], v[76:77] offset0:15 offset1:16
	ds_store_2addr_b64 v80, v[72:73], v[74:75] offset0:17 offset1:18
	ds_store_2addr_b64 v80, v[70:71], v[94:95] offset0:19 offset1:20
	ds_store_2addr_b64 v80, v[90:91], v[92:93] offset0:21 offset1:22
	ds_store_2addr_b64 v80, v[88:89], v[112:113] offset0:23 offset1:24
	ds_store_2addr_b64 v80, v[108:109], v[110:111] offset0:25 offset1:26
	ds_store_2addr_b64 v80, v[106:107], v[128:129] offset0:27 offset1:28
	ds_store_2addr_b64 v80, v[124:125], v[126:127] offset0:29 offset1:30
	ds_store_2addr_b64 v80, v[122:123], v[144:145] offset0:31 offset1:32
	ds_store_2addr_b64 v80, v[140:141], v[142:143] offset0:33 offset1:34
	ds_store_2addr_b64 v80, v[138:139], v[166:167] offset0:35 offset1:36
	ds_store_2addr_b64 v80, v[162:163], v[164:165] offset0:37 offset1:38
	ds_store_2addr_b64 v80, v[160:161], v[192:193] offset0:39 offset1:40
	ds_store_2addr_b64 v80, v[184:185], v[190:191] offset0:41 offset1:42
	ds_store_2addr_b64 v80, v[182:183], v[188:189] offset0:43 offset1:44
	ds_store_2addr_b64 v80, v[180:181], v[186:187] offset0:45 offset1:46
	ds_store_2addr_b64 v80, v[194:195], v[196:197] offset0:47 offset1:48
	ds_load_b64 v[0:1], v79
	s_wait_dscnt 0x0
	v_cmp_neq_f32_e32 vcc_lo, 0, v0
	v_cmp_neq_f32_e64 s1, 0, v1
	s_or_b32 s1, vcc_lo, s1
	s_delay_alu instid0(SALU_CYCLE_1)
	s_and_b32 exec_lo, exec_lo, s1
	s_cbranch_execz .LBB97_80
; %bb.75:
	v_cmp_ngt_f32_e64 s1, |v0|, |v1|
                                        ; implicit-def: $vgpr2_vgpr3
	s_and_saveexec_b32 s4, s1
	s_delay_alu instid0(SALU_CYCLE_1)
	s_xor_b32 s1, exec_lo, s4
	s_cbranch_execz .LBB97_77
; %bb.76:
	v_div_scale_f32 v2, null, v1, v1, v0
	v_div_scale_f32 v5, vcc_lo, v0, v1, v0
	s_delay_alu instid0(VALU_DEP_2) | instskip(SKIP_1) | instid1(TRANS32_DEP_1)
	v_rcp_f32_e32 v3, v2
	v_nop
	v_fma_f32 v4, -v2, v3, 1.0
	s_delay_alu instid0(VALU_DEP_1) | instskip(NEXT) | instid1(VALU_DEP_1)
	v_fmac_f32_e32 v3, v4, v3
	v_mul_f32_e32 v4, v5, v3
	s_delay_alu instid0(VALU_DEP_1) | instskip(NEXT) | instid1(VALU_DEP_1)
	v_fma_f32 v6, -v2, v4, v5
	v_fmac_f32_e32 v4, v6, v3
	s_delay_alu instid0(VALU_DEP_1) | instskip(NEXT) | instid1(VALU_DEP_1)
	v_fma_f32 v2, -v2, v4, v5
	v_div_fmas_f32 v2, v2, v3, v4
	s_delay_alu instid0(VALU_DEP_1) | instskip(NEXT) | instid1(VALU_DEP_1)
	v_div_fixup_f32 v2, v2, v1, v0
	v_fmac_f32_e32 v1, v0, v2
	s_delay_alu instid0(VALU_DEP_1) | instskip(SKIP_1) | instid1(VALU_DEP_2)
	v_div_scale_f32 v0, null, v1, v1, 1.0
	v_div_scale_f32 v5, vcc_lo, 1.0, v1, 1.0
	v_rcp_f32_e32 v3, v0
	v_nop
	s_delay_alu instid0(TRANS32_DEP_1) | instskip(NEXT) | instid1(VALU_DEP_1)
	v_fma_f32 v4, -v0, v3, 1.0
	v_fmac_f32_e32 v3, v4, v3
	s_delay_alu instid0(VALU_DEP_1) | instskip(NEXT) | instid1(VALU_DEP_1)
	v_mul_f32_e32 v4, v5, v3
	v_fma_f32 v6, -v0, v4, v5
	s_delay_alu instid0(VALU_DEP_1) | instskip(NEXT) | instid1(VALU_DEP_1)
	v_fmac_f32_e32 v4, v6, v3
	v_fma_f32 v0, -v0, v4, v5
	s_delay_alu instid0(VALU_DEP_1) | instskip(NEXT) | instid1(VALU_DEP_1)
	v_div_fmas_f32 v0, v0, v3, v4
	v_div_fixup_f32 v0, v0, v1, 1.0
	s_delay_alu instid0(VALU_DEP_1)
	v_mul_f32_e32 v2, v2, v0
	v_xor_b32_e32 v3, 0x80000000, v0
                                        ; implicit-def: $vgpr0_vgpr1
.LBB97_77:
	s_and_not1_saveexec_b32 s1, s1
	s_cbranch_execz .LBB97_79
; %bb.78:
	v_div_scale_f32 v2, null, v0, v0, v1
	v_div_scale_f32 v5, vcc_lo, v1, v0, v1
	s_delay_alu instid0(VALU_DEP_2) | instskip(SKIP_1) | instid1(TRANS32_DEP_1)
	v_rcp_f32_e32 v3, v2
	v_nop
	v_fma_f32 v4, -v2, v3, 1.0
	s_delay_alu instid0(VALU_DEP_1) | instskip(NEXT) | instid1(VALU_DEP_1)
	v_fmac_f32_e32 v3, v4, v3
	v_mul_f32_e32 v4, v5, v3
	s_delay_alu instid0(VALU_DEP_1) | instskip(NEXT) | instid1(VALU_DEP_1)
	v_fma_f32 v6, -v2, v4, v5
	v_fmac_f32_e32 v4, v6, v3
	s_delay_alu instid0(VALU_DEP_1) | instskip(NEXT) | instid1(VALU_DEP_1)
	v_fma_f32 v2, -v2, v4, v5
	v_div_fmas_f32 v2, v2, v3, v4
	s_delay_alu instid0(VALU_DEP_1) | instskip(NEXT) | instid1(VALU_DEP_1)
	v_div_fixup_f32 v3, v2, v0, v1
	v_fmac_f32_e32 v0, v1, v3
	s_delay_alu instid0(VALU_DEP_1) | instskip(NEXT) | instid1(VALU_DEP_1)
	v_div_scale_f32 v1, null, v0, v0, 1.0
	v_rcp_f32_e32 v2, v1
	v_nop
	s_delay_alu instid0(TRANS32_DEP_1) | instskip(NEXT) | instid1(VALU_DEP_1)
	v_fma_f32 v4, -v1, v2, 1.0
	v_fmac_f32_e32 v2, v4, v2
	v_div_scale_f32 v4, vcc_lo, 1.0, v0, 1.0
	s_delay_alu instid0(VALU_DEP_1) | instskip(NEXT) | instid1(VALU_DEP_1)
	v_mul_f32_e32 v5, v4, v2
	v_fma_f32 v6, -v1, v5, v4
	s_delay_alu instid0(VALU_DEP_1) | instskip(NEXT) | instid1(VALU_DEP_1)
	v_fmac_f32_e32 v5, v6, v2
	v_fma_f32 v1, -v1, v5, v4
	s_delay_alu instid0(VALU_DEP_1) | instskip(NEXT) | instid1(VALU_DEP_1)
	v_div_fmas_f32 v1, v1, v2, v5
	v_div_fixup_f32 v2, v1, v0, 1.0
	s_delay_alu instid0(VALU_DEP_1)
	v_mul_f32_e64 v3, v3, -v2
.LBB97_79:
	s_or_b32 exec_lo, exec_lo, s1
	ds_store_b64 v79, v[2:3]
.LBB97_80:
	s_or_b32 exec_lo, exec_lo, s2
	s_wait_dscnt 0x0
	s_barrier_signal -1
	s_barrier_wait -1
	ds_load_b64 v[0:1], v79
	s_mov_b32 s1, exec_lo
	s_wait_dscnt 0x0
	scratch_store_b64 off, v[0:1], off offset:32 ; 8-byte Folded Spill
	s_wait_xcnt 0x0
	v_cmpx_lt_u32_e32 8, v78
	s_cbranch_execz .LBB97_82
; %bb.81:
	scratch_load_b64 v[4:5], off, off offset:32 ; 8-byte Folded Reload
	s_wait_loadcnt 0x0
	v_pk_mul_f32 v[2:3], v[4:5], v[36:37] op_sel:[1,1] op_sel_hi:[0,1]
	s_delay_alu instid0(VALU_DEP_1)
	v_pk_fma_f32 v[0:1], v[4:5], v[36:37], v[2:3] op_sel_hi:[1,0,1] neg_lo:[0,0,1] neg_hi:[0,0,1]
	v_pk_fma_f32 v[2:3], v[4:5], v[36:37], v[2:3] op_sel_hi:[1,0,1]
	ds_load_2addr_b64 v[4:7], v80 offset0:9 offset1:10
	v_dual_mov_b32 v36, v0 :: v_dual_mov_b32 v37, v3
	s_wait_dscnt 0x0
	v_pk_mul_f32 v[8:9], v[4:5], v[2:3] op_sel:[0,1]
	s_delay_alu instid0(VALU_DEP_1) | instskip(SKIP_1) | instid1(VALU_DEP_1)
	v_pk_fma_f32 v[10:11], v[4:5], v[0:1], v[8:9] op_sel:[0,0,1] op_sel_hi:[1,1,0] neg_lo:[0,0,1] neg_hi:[0,0,1]
	v_pk_fma_f32 v[4:5], v[4:5], v[0:1], v[8:9] op_sel:[0,0,1] op_sel_hi:[1,0,0]
	v_mov_b32_e32 v11, v5
	v_pk_mul_f32 v[4:5], v[6:7], v[2:3] op_sel:[0,1]
	s_delay_alu instid0(VALU_DEP_1) | instskip(SKIP_1) | instid1(VALU_DEP_1)
	v_pk_fma_f32 v[8:9], v[6:7], v[0:1], v[4:5] op_sel:[0,0,1] op_sel_hi:[1,1,0] neg_lo:[0,0,1] neg_hi:[0,0,1]
	v_pk_fma_f32 v[4:5], v[6:7], v[0:1], v[4:5] op_sel:[0,0,1] op_sel_hi:[1,0,0]
	v_mov_b32_e32 v9, v5
	ds_load_2addr_b64 v[4:7], v80 offset0:11 offset1:12
	v_pk_add_f32 v[32:33], v[32:33], v[10:11] neg_lo:[0,1] neg_hi:[0,1]
	v_pk_add_f32 v[34:35], v[34:35], v[8:9] neg_lo:[0,1] neg_hi:[0,1]
	s_wait_dscnt 0x0
	v_pk_mul_f32 v[8:9], v[4:5], v[2:3] op_sel:[0,1]
	s_delay_alu instid0(VALU_DEP_1) | instskip(SKIP_2) | instid1(VALU_DEP_2)
	v_pk_fma_f32 v[10:11], v[4:5], v[0:1], v[8:9] op_sel:[0,0,1] op_sel_hi:[1,1,0] neg_lo:[0,0,1] neg_hi:[0,0,1]
	v_pk_fma_f32 v[4:5], v[4:5], v[0:1], v[8:9] op_sel:[0,0,1] op_sel_hi:[1,0,0]
	v_dual_mul_f32 v8, v7, v3 :: v_dual_mov_b32 v4, v7
	v_dual_mov_b32 v11, v5 :: v_dual_mov_b32 v5, v6
	s_delay_alu instid0(VALU_DEP_2) | instskip(SKIP_1) | instid1(VALU_DEP_3)
	v_pk_fma_f32 v[8:9], v[6:7], v[36:37], v[8:9] op_sel_hi:[1,1,0] neg_lo:[0,0,1] neg_hi:[0,0,1]
	v_mul_f32_e32 v6, v7, v0
	v_pk_add_f32 v[30:31], v[30:31], v[10:11] neg_lo:[0,1] neg_hi:[0,1]
	s_delay_alu instid0(VALU_DEP_2) | instskip(NEXT) | instid1(VALU_DEP_1)
	v_pk_fma_f32 v[4:5], v[4:5], v[36:37], v[6:7] op_sel_hi:[1,1,0]
	v_mov_b32_e32 v9, v5
	ds_load_2addr_b64 v[4:7], v80 offset0:13 offset1:14
	v_pk_add_f32 v[52:53], v[52:53], v[8:9] neg_lo:[0,1] neg_hi:[0,1]
	s_wait_dscnt 0x0
	v_pk_mul_f32 v[8:9], v[4:5], v[2:3] op_sel:[0,1]
	s_delay_alu instid0(VALU_DEP_1) | instskip(SKIP_1) | instid1(VALU_DEP_1)
	v_pk_fma_f32 v[10:11], v[4:5], v[0:1], v[8:9] op_sel:[0,0,1] op_sel_hi:[1,1,0] neg_lo:[0,0,1] neg_hi:[0,0,1]
	v_pk_fma_f32 v[4:5], v[4:5], v[0:1], v[8:9] op_sel:[0,0,1] op_sel_hi:[1,0,0]
	v_mov_b32_e32 v11, v5
	v_pk_mul_f32 v[4:5], v[6:7], v[2:3] op_sel:[0,1]
	s_delay_alu instid0(VALU_DEP_1) | instskip(SKIP_1) | instid1(VALU_DEP_1)
	v_pk_fma_f32 v[8:9], v[6:7], v[0:1], v[4:5] op_sel:[0,0,1] op_sel_hi:[1,1,0] neg_lo:[0,0,1] neg_hi:[0,0,1]
	v_pk_fma_f32 v[4:5], v[6:7], v[0:1], v[4:5] op_sel:[0,0,1] op_sel_hi:[1,0,0]
	v_mov_b32_e32 v9, v5
	ds_load_2addr_b64 v[4:7], v80 offset0:15 offset1:16
	v_pk_add_f32 v[48:49], v[48:49], v[10:11] neg_lo:[0,1] neg_hi:[0,1]
	v_pk_add_f32 v[50:51], v[50:51], v[8:9] neg_lo:[0,1] neg_hi:[0,1]
	s_wait_dscnt 0x0
	v_pk_mul_f32 v[8:9], v[4:5], v[2:3] op_sel:[0,1]
	s_delay_alu instid0(VALU_DEP_1) | instskip(SKIP_1) | instid1(VALU_DEP_1)
	v_pk_fma_f32 v[10:11], v[4:5], v[0:1], v[8:9] op_sel:[0,0,1] op_sel_hi:[1,1,0] neg_lo:[0,0,1] neg_hi:[0,0,1]
	v_pk_fma_f32 v[4:5], v[4:5], v[0:1], v[8:9] op_sel:[0,0,1] op_sel_hi:[1,0,0]
	v_mov_b32_e32 v11, v5
	v_pk_mul_f32 v[4:5], v[6:7], v[2:3] op_sel:[0,1]
	s_delay_alu instid0(VALU_DEP_1) | instskip(SKIP_1) | instid1(VALU_DEP_1)
	v_pk_fma_f32 v[8:9], v[6:7], v[0:1], v[4:5] op_sel:[0,0,1] op_sel_hi:[1,1,0] neg_lo:[0,0,1] neg_hi:[0,0,1]
	v_pk_fma_f32 v[4:5], v[6:7], v[0:1], v[4:5] op_sel:[0,0,1] op_sel_hi:[1,0,0]
	v_mov_b32_e32 v9, v5
	ds_load_2addr_b64 v[4:7], v80 offset0:17 offset1:18
	v_pk_add_f32 v[46:47], v[46:47], v[10:11] neg_lo:[0,1] neg_hi:[0,1]
	v_pk_add_f32 v[76:77], v[76:77], v[8:9] neg_lo:[0,1] neg_hi:[0,1]
	s_wait_dscnt 0x0
	v_dual_mul_f32 v8, v5, v3 :: v_dual_mul_f32 v10, v5, v0
	s_delay_alu instid0(VALU_DEP_1) | instskip(NEXT) | instid1(VALU_DEP_2)
	v_pk_fma_f32 v[8:9], v[4:5], v[36:37], v[8:9] op_sel_hi:[1,1,0] neg_lo:[0,0,1] neg_hi:[0,0,1]
	v_pk_fma_f32 v[4:5], v[4:5], v[36:37], v[10:11] op_sel:[1,0,0] op_sel_hi:[0,1,0]
	s_delay_alu instid0(VALU_DEP_1) | instskip(SKIP_1) | instid1(VALU_DEP_2)
	v_mov_b32_e32 v9, v5
	v_pk_mul_f32 v[4:5], v[6:7], v[2:3] op_sel:[0,1]
	v_pk_add_f32 v[72:73], v[72:73], v[8:9] neg_lo:[0,1] neg_hi:[0,1]
	s_delay_alu instid0(VALU_DEP_2) | instskip(SKIP_1) | instid1(VALU_DEP_1)
	v_pk_fma_f32 v[8:9], v[6:7], v[0:1], v[4:5] op_sel:[0,0,1] op_sel_hi:[1,1,0] neg_lo:[0,0,1] neg_hi:[0,0,1]
	v_pk_fma_f32 v[4:5], v[6:7], v[0:1], v[4:5] op_sel:[0,0,1] op_sel_hi:[1,0,0]
	v_mov_b32_e32 v9, v5
	ds_load_2addr_b64 v[4:7], v80 offset0:19 offset1:20
	v_pk_add_f32 v[74:75], v[74:75], v[8:9] neg_lo:[0,1] neg_hi:[0,1]
	s_wait_dscnt 0x0
	v_pk_mul_f32 v[8:9], v[4:5], v[2:3] op_sel:[0,1]
	s_delay_alu instid0(VALU_DEP_1) | instskip(SKIP_1) | instid1(VALU_DEP_1)
	v_pk_fma_f32 v[10:11], v[4:5], v[0:1], v[8:9] op_sel:[0,0,1] op_sel_hi:[1,1,0] neg_lo:[0,0,1] neg_hi:[0,0,1]
	v_pk_fma_f32 v[4:5], v[4:5], v[0:1], v[8:9] op_sel:[0,0,1] op_sel_hi:[1,0,0]
	v_mov_b32_e32 v11, v5
	v_pk_mul_f32 v[4:5], v[6:7], v[2:3] op_sel:[0,1]
	s_delay_alu instid0(VALU_DEP_2) | instskip(NEXT) | instid1(VALU_DEP_2)
	v_pk_add_f32 v[70:71], v[70:71], v[10:11] neg_lo:[0,1] neg_hi:[0,1]
	v_pk_fma_f32 v[8:9], v[6:7], v[0:1], v[4:5] op_sel:[0,0,1] op_sel_hi:[1,1,0] neg_lo:[0,0,1] neg_hi:[0,0,1]
	v_pk_fma_f32 v[4:5], v[6:7], v[0:1], v[4:5] op_sel:[0,0,1] op_sel_hi:[1,0,0]
	s_delay_alu instid0(VALU_DEP_1) | instskip(SKIP_4) | instid1(VALU_DEP_1)
	v_mov_b32_e32 v9, v5
	ds_load_2addr_b64 v[4:7], v80 offset0:21 offset1:22
	v_pk_add_f32 v[94:95], v[94:95], v[8:9] neg_lo:[0,1] neg_hi:[0,1]
	s_wait_dscnt 0x0
	v_pk_mul_f32 v[8:9], v[4:5], v[2:3] op_sel:[0,1]
	v_pk_fma_f32 v[10:11], v[4:5], v[0:1], v[8:9] op_sel:[0,0,1] op_sel_hi:[1,1,0] neg_lo:[0,0,1] neg_hi:[0,0,1]
	v_pk_fma_f32 v[4:5], v[4:5], v[0:1], v[8:9] op_sel:[0,0,1] op_sel_hi:[1,0,0]
	v_dual_mul_f32 v8, v7, v3 :: v_dual_mov_b32 v4, v7
	s_delay_alu instid0(VALU_DEP_2) | instskip(NEXT) | instid1(VALU_DEP_2)
	v_dual_mov_b32 v11, v5 :: v_dual_mov_b32 v5, v6
	v_pk_fma_f32 v[8:9], v[6:7], v[36:37], v[8:9] op_sel_hi:[1,1,0] neg_lo:[0,0,1] neg_hi:[0,0,1]
	v_mul_f32_e32 v6, v7, v0
	s_delay_alu instid0(VALU_DEP_3) | instskip(NEXT) | instid1(VALU_DEP_2)
	v_pk_add_f32 v[90:91], v[90:91], v[10:11] neg_lo:[0,1] neg_hi:[0,1]
	v_pk_fma_f32 v[4:5], v[4:5], v[36:37], v[6:7] op_sel_hi:[1,1,0]
	s_delay_alu instid0(VALU_DEP_1) | instskip(SKIP_4) | instid1(VALU_DEP_1)
	v_mov_b32_e32 v9, v5
	ds_load_2addr_b64 v[4:7], v80 offset0:23 offset1:24
	v_pk_add_f32 v[92:93], v[92:93], v[8:9] neg_lo:[0,1] neg_hi:[0,1]
	s_wait_dscnt 0x0
	v_pk_mul_f32 v[8:9], v[4:5], v[2:3] op_sel:[0,1]
	v_pk_fma_f32 v[10:11], v[4:5], v[0:1], v[8:9] op_sel:[0,0,1] op_sel_hi:[1,1,0] neg_lo:[0,0,1] neg_hi:[0,0,1]
	v_pk_fma_f32 v[4:5], v[4:5], v[0:1], v[8:9] op_sel:[0,0,1] op_sel_hi:[1,0,0]
	s_delay_alu instid0(VALU_DEP_1) | instskip(SKIP_1) | instid1(VALU_DEP_1)
	v_mov_b32_e32 v11, v5
	v_pk_mul_f32 v[4:5], v[6:7], v[2:3] op_sel:[0,1]
	v_pk_fma_f32 v[8:9], v[6:7], v[0:1], v[4:5] op_sel:[0,0,1] op_sel_hi:[1,1,0] neg_lo:[0,0,1] neg_hi:[0,0,1]
	v_pk_fma_f32 v[4:5], v[6:7], v[0:1], v[4:5] op_sel:[0,0,1] op_sel_hi:[1,0,0]
	s_delay_alu instid0(VALU_DEP_1)
	v_mov_b32_e32 v9, v5
	ds_load_2addr_b64 v[4:7], v80 offset0:25 offset1:26
	v_pk_add_f32 v[88:89], v[88:89], v[10:11] neg_lo:[0,1] neg_hi:[0,1]
	v_pk_add_f32 v[112:113], v[112:113], v[8:9] neg_lo:[0,1] neg_hi:[0,1]
	s_wait_dscnt 0x0
	v_pk_mul_f32 v[8:9], v[4:5], v[2:3] op_sel:[0,1]
	s_delay_alu instid0(VALU_DEP_1) | instskip(SKIP_1) | instid1(VALU_DEP_1)
	v_pk_fma_f32 v[10:11], v[4:5], v[0:1], v[8:9] op_sel:[0,0,1] op_sel_hi:[1,1,0] neg_lo:[0,0,1] neg_hi:[0,0,1]
	v_pk_fma_f32 v[4:5], v[4:5], v[0:1], v[8:9] op_sel:[0,0,1] op_sel_hi:[1,0,0]
	v_mov_b32_e32 v11, v5
	v_pk_mul_f32 v[4:5], v[6:7], v[2:3] op_sel:[0,1]
	s_delay_alu instid0(VALU_DEP_1) | instskip(SKIP_1) | instid1(VALU_DEP_1)
	v_pk_fma_f32 v[8:9], v[6:7], v[0:1], v[4:5] op_sel:[0,0,1] op_sel_hi:[1,1,0] neg_lo:[0,0,1] neg_hi:[0,0,1]
	v_pk_fma_f32 v[4:5], v[6:7], v[0:1], v[4:5] op_sel:[0,0,1] op_sel_hi:[1,0,0]
	v_mov_b32_e32 v9, v5
	ds_load_2addr_b64 v[4:7], v80 offset0:27 offset1:28
	v_pk_add_f32 v[108:109], v[108:109], v[10:11] neg_lo:[0,1] neg_hi:[0,1]
	v_pk_add_f32 v[110:111], v[110:111], v[8:9] neg_lo:[0,1] neg_hi:[0,1]
	s_wait_dscnt 0x0
	v_dual_mul_f32 v8, v5, v3 :: v_dual_mul_f32 v10, v5, v0
	s_delay_alu instid0(VALU_DEP_1) | instskip(NEXT) | instid1(VALU_DEP_2)
	v_pk_fma_f32 v[8:9], v[4:5], v[36:37], v[8:9] op_sel_hi:[1,1,0] neg_lo:[0,0,1] neg_hi:[0,0,1]
	v_pk_fma_f32 v[4:5], v[4:5], v[36:37], v[10:11] op_sel:[1,0,0] op_sel_hi:[0,1,0]
	s_delay_alu instid0(VALU_DEP_1) | instskip(SKIP_1) | instid1(VALU_DEP_2)
	v_mov_b32_e32 v9, v5
	v_pk_mul_f32 v[4:5], v[6:7], v[2:3] op_sel:[0,1]
	v_pk_add_f32 v[106:107], v[106:107], v[8:9] neg_lo:[0,1] neg_hi:[0,1]
	s_delay_alu instid0(VALU_DEP_2) | instskip(SKIP_1) | instid1(VALU_DEP_1)
	v_pk_fma_f32 v[8:9], v[6:7], v[0:1], v[4:5] op_sel:[0,0,1] op_sel_hi:[1,1,0] neg_lo:[0,0,1] neg_hi:[0,0,1]
	v_pk_fma_f32 v[4:5], v[6:7], v[0:1], v[4:5] op_sel:[0,0,1] op_sel_hi:[1,0,0]
	v_mov_b32_e32 v9, v5
	ds_load_2addr_b64 v[4:7], v80 offset0:29 offset1:30
	v_pk_add_f32 v[128:129], v[128:129], v[8:9] neg_lo:[0,1] neg_hi:[0,1]
	s_wait_dscnt 0x0
	v_pk_mul_f32 v[8:9], v[4:5], v[2:3] op_sel:[0,1]
	s_delay_alu instid0(VALU_DEP_1) | instskip(SKIP_1) | instid1(VALU_DEP_1)
	v_pk_fma_f32 v[10:11], v[4:5], v[0:1], v[8:9] op_sel:[0,0,1] op_sel_hi:[1,1,0] neg_lo:[0,0,1] neg_hi:[0,0,1]
	v_pk_fma_f32 v[4:5], v[4:5], v[0:1], v[8:9] op_sel:[0,0,1] op_sel_hi:[1,0,0]
	v_mov_b32_e32 v11, v5
	v_pk_mul_f32 v[4:5], v[6:7], v[2:3] op_sel:[0,1]
	s_delay_alu instid0(VALU_DEP_2) | instskip(NEXT) | instid1(VALU_DEP_2)
	v_pk_add_f32 v[124:125], v[124:125], v[10:11] neg_lo:[0,1] neg_hi:[0,1]
	v_pk_fma_f32 v[8:9], v[6:7], v[0:1], v[4:5] op_sel:[0,0,1] op_sel_hi:[1,1,0] neg_lo:[0,0,1] neg_hi:[0,0,1]
	v_pk_fma_f32 v[4:5], v[6:7], v[0:1], v[4:5] op_sel:[0,0,1] op_sel_hi:[1,0,0]
	s_delay_alu instid0(VALU_DEP_1) | instskip(SKIP_4) | instid1(VALU_DEP_1)
	v_mov_b32_e32 v9, v5
	ds_load_2addr_b64 v[4:7], v80 offset0:31 offset1:32
	v_pk_add_f32 v[126:127], v[126:127], v[8:9] neg_lo:[0,1] neg_hi:[0,1]
	s_wait_dscnt 0x0
	v_pk_mul_f32 v[8:9], v[4:5], v[2:3] op_sel:[0,1]
	v_pk_fma_f32 v[10:11], v[4:5], v[0:1], v[8:9] op_sel:[0,0,1] op_sel_hi:[1,1,0] neg_lo:[0,0,1] neg_hi:[0,0,1]
	v_pk_fma_f32 v[4:5], v[4:5], v[0:1], v[8:9] op_sel:[0,0,1] op_sel_hi:[1,0,0]
	v_dual_mul_f32 v8, v7, v3 :: v_dual_mov_b32 v4, v7
	s_delay_alu instid0(VALU_DEP_2) | instskip(NEXT) | instid1(VALU_DEP_2)
	v_dual_mov_b32 v11, v5 :: v_dual_mov_b32 v5, v6
	v_pk_fma_f32 v[8:9], v[6:7], v[36:37], v[8:9] op_sel_hi:[1,1,0] neg_lo:[0,0,1] neg_hi:[0,0,1]
	v_mul_f32_e32 v6, v7, v0
	s_delay_alu instid0(VALU_DEP_3) | instskip(NEXT) | instid1(VALU_DEP_2)
	v_pk_add_f32 v[122:123], v[122:123], v[10:11] neg_lo:[0,1] neg_hi:[0,1]
	v_pk_fma_f32 v[4:5], v[4:5], v[36:37], v[6:7] op_sel_hi:[1,1,0]
	s_delay_alu instid0(VALU_DEP_1) | instskip(SKIP_4) | instid1(VALU_DEP_1)
	v_mov_b32_e32 v9, v5
	ds_load_2addr_b64 v[4:7], v80 offset0:33 offset1:34
	v_pk_add_f32 v[144:145], v[144:145], v[8:9] neg_lo:[0,1] neg_hi:[0,1]
	s_wait_dscnt 0x0
	v_pk_mul_f32 v[8:9], v[4:5], v[2:3] op_sel:[0,1]
	v_pk_fma_f32 v[10:11], v[4:5], v[0:1], v[8:9] op_sel:[0,0,1] op_sel_hi:[1,1,0] neg_lo:[0,0,1] neg_hi:[0,0,1]
	v_pk_fma_f32 v[4:5], v[4:5], v[0:1], v[8:9] op_sel:[0,0,1] op_sel_hi:[1,0,0]
	s_delay_alu instid0(VALU_DEP_1) | instskip(SKIP_1) | instid1(VALU_DEP_1)
	v_mov_b32_e32 v11, v5
	v_pk_mul_f32 v[4:5], v[6:7], v[2:3] op_sel:[0,1]
	v_pk_fma_f32 v[8:9], v[6:7], v[0:1], v[4:5] op_sel:[0,0,1] op_sel_hi:[1,1,0] neg_lo:[0,0,1] neg_hi:[0,0,1]
	v_pk_fma_f32 v[4:5], v[6:7], v[0:1], v[4:5] op_sel:[0,0,1] op_sel_hi:[1,0,0]
	s_delay_alu instid0(VALU_DEP_1)
	v_mov_b32_e32 v9, v5
	ds_load_2addr_b64 v[4:7], v80 offset0:35 offset1:36
	v_pk_add_f32 v[140:141], v[140:141], v[10:11] neg_lo:[0,1] neg_hi:[0,1]
	v_pk_add_f32 v[142:143], v[142:143], v[8:9] neg_lo:[0,1] neg_hi:[0,1]
	s_wait_dscnt 0x0
	v_pk_mul_f32 v[8:9], v[4:5], v[2:3] op_sel:[0,1]
	s_delay_alu instid0(VALU_DEP_1) | instskip(SKIP_1) | instid1(VALU_DEP_1)
	v_pk_fma_f32 v[10:11], v[4:5], v[0:1], v[8:9] op_sel:[0,0,1] op_sel_hi:[1,1,0] neg_lo:[0,0,1] neg_hi:[0,0,1]
	v_pk_fma_f32 v[4:5], v[4:5], v[0:1], v[8:9] op_sel:[0,0,1] op_sel_hi:[1,0,0]
	v_mov_b32_e32 v11, v5
	v_pk_mul_f32 v[4:5], v[6:7], v[2:3] op_sel:[0,1]
	s_delay_alu instid0(VALU_DEP_1) | instskip(SKIP_1) | instid1(VALU_DEP_1)
	v_pk_fma_f32 v[8:9], v[6:7], v[0:1], v[4:5] op_sel:[0,0,1] op_sel_hi:[1,1,0] neg_lo:[0,0,1] neg_hi:[0,0,1]
	v_pk_fma_f32 v[4:5], v[6:7], v[0:1], v[4:5] op_sel:[0,0,1] op_sel_hi:[1,0,0]
	v_mov_b32_e32 v9, v5
	ds_load_2addr_b64 v[4:7], v80 offset0:37 offset1:38
	v_pk_add_f32 v[138:139], v[138:139], v[10:11] neg_lo:[0,1] neg_hi:[0,1]
	v_pk_add_f32 v[166:167], v[166:167], v[8:9] neg_lo:[0,1] neg_hi:[0,1]
	s_wait_dscnt 0x0
	v_dual_mul_f32 v8, v5, v3 :: v_dual_mul_f32 v10, v5, v0
	s_delay_alu instid0(VALU_DEP_1) | instskip(NEXT) | instid1(VALU_DEP_2)
	v_pk_fma_f32 v[8:9], v[4:5], v[36:37], v[8:9] op_sel_hi:[1,1,0] neg_lo:[0,0,1] neg_hi:[0,0,1]
	v_pk_fma_f32 v[4:5], v[4:5], v[36:37], v[10:11] op_sel:[1,0,0] op_sel_hi:[0,1,0]
	s_delay_alu instid0(VALU_DEP_1) | instskip(SKIP_1) | instid1(VALU_DEP_2)
	v_mov_b32_e32 v9, v5
	v_pk_mul_f32 v[4:5], v[6:7], v[2:3] op_sel:[0,1]
	v_pk_add_f32 v[162:163], v[162:163], v[8:9] neg_lo:[0,1] neg_hi:[0,1]
	s_delay_alu instid0(VALU_DEP_2) | instskip(SKIP_1) | instid1(VALU_DEP_1)
	v_pk_fma_f32 v[8:9], v[6:7], v[0:1], v[4:5] op_sel:[0,0,1] op_sel_hi:[1,1,0] neg_lo:[0,0,1] neg_hi:[0,0,1]
	v_pk_fma_f32 v[4:5], v[6:7], v[0:1], v[4:5] op_sel:[0,0,1] op_sel_hi:[1,0,0]
	v_mov_b32_e32 v9, v5
	ds_load_2addr_b64 v[4:7], v80 offset0:39 offset1:40
	v_pk_add_f32 v[164:165], v[164:165], v[8:9] neg_lo:[0,1] neg_hi:[0,1]
	s_wait_dscnt 0x0
	v_pk_mul_f32 v[8:9], v[4:5], v[2:3] op_sel:[0,1]
	s_delay_alu instid0(VALU_DEP_1) | instskip(SKIP_1) | instid1(VALU_DEP_1)
	v_pk_fma_f32 v[10:11], v[4:5], v[0:1], v[8:9] op_sel:[0,0,1] op_sel_hi:[1,1,0] neg_lo:[0,0,1] neg_hi:[0,0,1]
	v_pk_fma_f32 v[4:5], v[4:5], v[0:1], v[8:9] op_sel:[0,0,1] op_sel_hi:[1,0,0]
	v_mov_b32_e32 v11, v5
	v_pk_mul_f32 v[4:5], v[6:7], v[2:3] op_sel:[0,1]
	s_delay_alu instid0(VALU_DEP_2) | instskip(NEXT) | instid1(VALU_DEP_2)
	v_pk_add_f32 v[160:161], v[160:161], v[10:11] neg_lo:[0,1] neg_hi:[0,1]
	v_pk_fma_f32 v[8:9], v[6:7], v[0:1], v[4:5] op_sel:[0,0,1] op_sel_hi:[1,1,0] neg_lo:[0,0,1] neg_hi:[0,0,1]
	v_pk_fma_f32 v[4:5], v[6:7], v[0:1], v[4:5] op_sel:[0,0,1] op_sel_hi:[1,0,0]
	s_delay_alu instid0(VALU_DEP_1) | instskip(SKIP_4) | instid1(VALU_DEP_1)
	v_mov_b32_e32 v9, v5
	ds_load_2addr_b64 v[4:7], v80 offset0:41 offset1:42
	v_pk_add_f32 v[192:193], v[192:193], v[8:9] neg_lo:[0,1] neg_hi:[0,1]
	s_wait_dscnt 0x0
	v_pk_mul_f32 v[8:9], v[4:5], v[2:3] op_sel:[0,1]
	v_pk_fma_f32 v[10:11], v[4:5], v[0:1], v[8:9] op_sel:[0,0,1] op_sel_hi:[1,1,0] neg_lo:[0,0,1] neg_hi:[0,0,1]
	v_pk_fma_f32 v[4:5], v[4:5], v[0:1], v[8:9] op_sel:[0,0,1] op_sel_hi:[1,0,0]
	v_dual_mul_f32 v8, v7, v3 :: v_dual_mov_b32 v4, v7
	s_delay_alu instid0(VALU_DEP_2) | instskip(NEXT) | instid1(VALU_DEP_2)
	v_dual_mov_b32 v11, v5 :: v_dual_mov_b32 v5, v6
	v_pk_fma_f32 v[8:9], v[6:7], v[36:37], v[8:9] op_sel_hi:[1,1,0] neg_lo:[0,0,1] neg_hi:[0,0,1]
	v_mul_f32_e32 v6, v7, v0
	s_delay_alu instid0(VALU_DEP_3) | instskip(NEXT) | instid1(VALU_DEP_2)
	v_pk_add_f32 v[184:185], v[184:185], v[10:11] neg_lo:[0,1] neg_hi:[0,1]
	v_pk_fma_f32 v[4:5], v[4:5], v[36:37], v[6:7] op_sel_hi:[1,1,0]
	s_delay_alu instid0(VALU_DEP_1) | instskip(SKIP_4) | instid1(VALU_DEP_1)
	v_mov_b32_e32 v9, v5
	ds_load_2addr_b64 v[4:7], v80 offset0:43 offset1:44
	v_pk_add_f32 v[190:191], v[190:191], v[8:9] neg_lo:[0,1] neg_hi:[0,1]
	s_wait_dscnt 0x0
	v_pk_mul_f32 v[8:9], v[4:5], v[2:3] op_sel:[0,1]
	v_pk_fma_f32 v[10:11], v[4:5], v[0:1], v[8:9] op_sel:[0,0,1] op_sel_hi:[1,1,0] neg_lo:[0,0,1] neg_hi:[0,0,1]
	v_pk_fma_f32 v[4:5], v[4:5], v[0:1], v[8:9] op_sel:[0,0,1] op_sel_hi:[1,0,0]
	s_delay_alu instid0(VALU_DEP_1) | instskip(SKIP_1) | instid1(VALU_DEP_1)
	v_mov_b32_e32 v11, v5
	v_pk_mul_f32 v[4:5], v[6:7], v[2:3] op_sel:[0,1]
	v_pk_fma_f32 v[8:9], v[6:7], v[0:1], v[4:5] op_sel:[0,0,1] op_sel_hi:[1,1,0] neg_lo:[0,0,1] neg_hi:[0,0,1]
	v_pk_fma_f32 v[4:5], v[6:7], v[0:1], v[4:5] op_sel:[0,0,1] op_sel_hi:[1,0,0]
	s_delay_alu instid0(VALU_DEP_1)
	v_mov_b32_e32 v9, v5
	ds_load_2addr_b64 v[4:7], v80 offset0:45 offset1:46
	v_pk_add_f32 v[182:183], v[182:183], v[10:11] neg_lo:[0,1] neg_hi:[0,1]
	v_pk_add_f32 v[188:189], v[188:189], v[8:9] neg_lo:[0,1] neg_hi:[0,1]
	s_wait_dscnt 0x0
	v_pk_mul_f32 v[8:9], v[4:5], v[2:3] op_sel:[0,1]
	s_delay_alu instid0(VALU_DEP_1) | instskip(SKIP_1) | instid1(VALU_DEP_1)
	v_pk_fma_f32 v[10:11], v[4:5], v[0:1], v[8:9] op_sel:[0,0,1] op_sel_hi:[1,1,0] neg_lo:[0,0,1] neg_hi:[0,0,1]
	v_pk_fma_f32 v[4:5], v[4:5], v[0:1], v[8:9] op_sel:[0,0,1] op_sel_hi:[1,0,0]
	v_mov_b32_e32 v11, v5
	v_pk_mul_f32 v[4:5], v[6:7], v[2:3] op_sel:[0,1]
	s_delay_alu instid0(VALU_DEP_1) | instskip(SKIP_1) | instid1(VALU_DEP_1)
	v_pk_fma_f32 v[8:9], v[6:7], v[0:1], v[4:5] op_sel:[0,0,1] op_sel_hi:[1,1,0] neg_lo:[0,0,1] neg_hi:[0,0,1]
	v_pk_fma_f32 v[4:5], v[6:7], v[0:1], v[4:5] op_sel:[0,0,1] op_sel_hi:[1,0,0]
	v_mov_b32_e32 v9, v5
	ds_load_2addr_b64 v[4:7], v80 offset0:47 offset1:48
	v_pk_add_f32 v[180:181], v[180:181], v[10:11] neg_lo:[0,1] neg_hi:[0,1]
	v_pk_add_f32 v[186:187], v[186:187], v[8:9] neg_lo:[0,1] neg_hi:[0,1]
	s_wait_dscnt 0x0
	v_dual_mul_f32 v8, v5, v3 :: v_dual_mul_f32 v10, v5, v0
	v_pk_mul_f32 v[2:3], v[6:7], v[2:3] op_sel:[0,1]
	s_delay_alu instid0(VALU_DEP_2) | instskip(NEXT) | instid1(VALU_DEP_3)
	v_pk_fma_f32 v[8:9], v[4:5], v[36:37], v[8:9] op_sel_hi:[1,1,0] neg_lo:[0,0,1] neg_hi:[0,0,1]
	v_pk_fma_f32 v[4:5], v[4:5], v[36:37], v[10:11] op_sel:[1,0,0] op_sel_hi:[0,1,0]
	s_delay_alu instid0(VALU_DEP_1) | instskip(NEXT) | instid1(VALU_DEP_4)
	v_mov_b32_e32 v9, v5
	v_pk_fma_f32 v[4:5], v[6:7], v[0:1], v[2:3] op_sel:[0,0,1] op_sel_hi:[1,1,0] neg_lo:[0,0,1] neg_hi:[0,0,1]
	v_pk_fma_f32 v[0:1], v[6:7], v[0:1], v[2:3] op_sel:[0,0,1] op_sel_hi:[1,0,0]
	s_delay_alu instid0(VALU_DEP_1) | instskip(NEXT) | instid1(VALU_DEP_4)
	v_mov_b32_e32 v5, v1
	v_pk_add_f32 v[194:195], v[194:195], v[8:9] neg_lo:[0,1] neg_hi:[0,1]
	s_delay_alu instid0(VALU_DEP_2)
	v_pk_add_f32 v[196:197], v[196:197], v[4:5] neg_lo:[0,1] neg_hi:[0,1]
.LBB97_82:
	s_wait_xcnt 0x0
	s_or_b32 exec_lo, exec_lo, s1
	s_delay_alu instid0(SALU_CYCLE_1)
	s_mov_b32 s2, exec_lo
	s_wait_storecnt 0x0
	s_barrier_signal -1
	s_barrier_wait -1
	v_cmpx_eq_u32_e32 9, v78
	s_cbranch_execz .LBB97_89
; %bb.83:
	v_dual_mov_b32 v0, v34 :: v_dual_mov_b32 v1, v35
	v_dual_mov_b32 v2, v30 :: v_dual_mov_b32 v3, v31
	v_dual_mov_b32 v4, v52 :: v_dual_mov_b32 v5, v53
	v_dual_mov_b32 v6, v48 :: v_dual_mov_b32 v7, v49
	ds_store_b64 v79, v[32:33]
	ds_store_2addr_b64 v80, v[0:1], v[2:3] offset0:10 offset1:11
	ds_store_2addr_b64 v80, v[4:5], v[6:7] offset0:12 offset1:13
	v_dual_mov_b32 v0, v50 :: v_dual_mov_b32 v1, v51
	v_dual_mov_b32 v2, v46 :: v_dual_mov_b32 v3, v47
	v_dual_mov_b32 v4, v76 :: v_dual_mov_b32 v5, v77
	v_dual_mov_b32 v6, v72 :: v_dual_mov_b32 v7, v73
	v_dual_mov_b32 v8, v74 :: v_dual_mov_b32 v9, v75
	v_dual_mov_b32 v10, v70 :: v_dual_mov_b32 v11, v71
	v_dual_mov_b32 v12, v94 :: v_dual_mov_b32 v13, v95
	v_dual_mov_b32 v14, v90 :: v_dual_mov_b32 v15, v91
	v_dual_mov_b32 v18, v92 :: v_dual_mov_b32 v19, v93
	v_dual_mov_b32 v24, v88 :: v_dual_mov_b32 v25, v89
	v_dual_mov_b32 v26, v112 :: v_dual_mov_b32 v27, v113
	v_dual_mov_b32 v28, v108 :: v_dual_mov_b32 v29, v109
	ds_store_2addr_b64 v80, v[0:1], v[2:3] offset0:14 offset1:15
	ds_store_2addr_b64 v80, v[4:5], v[6:7] offset0:16 offset1:17
	;; [unrolled: 1-line block ×6, first 2 shown]
	v_dual_mov_b32 v0, v110 :: v_dual_mov_b32 v1, v111
	v_dual_mov_b32 v2, v106 :: v_dual_mov_b32 v3, v107
	v_dual_mov_b32 v4, v128 :: v_dual_mov_b32 v5, v129
	v_dual_mov_b32 v6, v124 :: v_dual_mov_b32 v7, v125
	v_dual_mov_b32 v8, v126 :: v_dual_mov_b32 v9, v127
	v_dual_mov_b32 v10, v122 :: v_dual_mov_b32 v11, v123
	v_dual_mov_b32 v12, v144 :: v_dual_mov_b32 v13, v145
	v_dual_mov_b32 v14, v140 :: v_dual_mov_b32 v15, v141
	v_dual_mov_b32 v18, v142 :: v_dual_mov_b32 v19, v143
	v_dual_mov_b32 v24, v138 :: v_dual_mov_b32 v25, v139
	v_dual_mov_b32 v26, v166 :: v_dual_mov_b32 v27, v167
	v_dual_mov_b32 v28, v162 :: v_dual_mov_b32 v29, v163
	ds_store_2addr_b64 v80, v[0:1], v[2:3] offset0:26 offset1:27
	ds_store_2addr_b64 v80, v[4:5], v[6:7] offset0:28 offset1:29
	;; [unrolled: 1-line block ×6, first 2 shown]
	v_dual_mov_b32 v0, v164 :: v_dual_mov_b32 v1, v165
	v_dual_mov_b32 v2, v160 :: v_dual_mov_b32 v3, v161
	;; [unrolled: 1-line block ×10, first 2 shown]
	ds_store_2addr_b64 v80, v[0:1], v[2:3] offset0:38 offset1:39
	ds_store_2addr_b64 v80, v[4:5], v[6:7] offset0:40 offset1:41
	;; [unrolled: 1-line block ×5, first 2 shown]
	ds_store_b64 v80, v[196:197] offset:384
	ds_load_b64 v[0:1], v79
	s_wait_dscnt 0x0
	v_cmp_neq_f32_e32 vcc_lo, 0, v0
	v_cmp_neq_f32_e64 s1, 0, v1
	s_or_b32 s1, vcc_lo, s1
	s_delay_alu instid0(SALU_CYCLE_1)
	s_and_b32 exec_lo, exec_lo, s1
	s_cbranch_execz .LBB97_89
; %bb.84:
	v_cmp_ngt_f32_e64 s1, |v0|, |v1|
                                        ; implicit-def: $vgpr2_vgpr3
	s_and_saveexec_b32 s4, s1
	s_delay_alu instid0(SALU_CYCLE_1)
	s_xor_b32 s1, exec_lo, s4
	s_cbranch_execz .LBB97_86
; %bb.85:
	v_div_scale_f32 v2, null, v1, v1, v0
	v_div_scale_f32 v5, vcc_lo, v0, v1, v0
	s_delay_alu instid0(VALU_DEP_2) | instskip(SKIP_1) | instid1(TRANS32_DEP_1)
	v_rcp_f32_e32 v3, v2
	v_nop
	v_fma_f32 v4, -v2, v3, 1.0
	s_delay_alu instid0(VALU_DEP_1) | instskip(NEXT) | instid1(VALU_DEP_1)
	v_fmac_f32_e32 v3, v4, v3
	v_mul_f32_e32 v4, v5, v3
	s_delay_alu instid0(VALU_DEP_1) | instskip(NEXT) | instid1(VALU_DEP_1)
	v_fma_f32 v6, -v2, v4, v5
	v_fmac_f32_e32 v4, v6, v3
	s_delay_alu instid0(VALU_DEP_1) | instskip(NEXT) | instid1(VALU_DEP_1)
	v_fma_f32 v2, -v2, v4, v5
	v_div_fmas_f32 v2, v2, v3, v4
	s_delay_alu instid0(VALU_DEP_1) | instskip(NEXT) | instid1(VALU_DEP_1)
	v_div_fixup_f32 v2, v2, v1, v0
	v_fmac_f32_e32 v1, v0, v2
	s_delay_alu instid0(VALU_DEP_1) | instskip(SKIP_1) | instid1(VALU_DEP_2)
	v_div_scale_f32 v0, null, v1, v1, 1.0
	v_div_scale_f32 v5, vcc_lo, 1.0, v1, 1.0
	v_rcp_f32_e32 v3, v0
	v_nop
	s_delay_alu instid0(TRANS32_DEP_1) | instskip(NEXT) | instid1(VALU_DEP_1)
	v_fma_f32 v4, -v0, v3, 1.0
	v_fmac_f32_e32 v3, v4, v3
	s_delay_alu instid0(VALU_DEP_1) | instskip(NEXT) | instid1(VALU_DEP_1)
	v_mul_f32_e32 v4, v5, v3
	v_fma_f32 v6, -v0, v4, v5
	s_delay_alu instid0(VALU_DEP_1) | instskip(NEXT) | instid1(VALU_DEP_1)
	v_fmac_f32_e32 v4, v6, v3
	v_fma_f32 v0, -v0, v4, v5
	s_delay_alu instid0(VALU_DEP_1) | instskip(NEXT) | instid1(VALU_DEP_1)
	v_div_fmas_f32 v0, v0, v3, v4
	v_div_fixup_f32 v0, v0, v1, 1.0
	s_delay_alu instid0(VALU_DEP_1)
	v_mul_f32_e32 v2, v2, v0
	v_xor_b32_e32 v3, 0x80000000, v0
                                        ; implicit-def: $vgpr0_vgpr1
.LBB97_86:
	s_and_not1_saveexec_b32 s1, s1
	s_cbranch_execz .LBB97_88
; %bb.87:
	v_div_scale_f32 v2, null, v0, v0, v1
	v_div_scale_f32 v5, vcc_lo, v1, v0, v1
	s_delay_alu instid0(VALU_DEP_2) | instskip(SKIP_1) | instid1(TRANS32_DEP_1)
	v_rcp_f32_e32 v3, v2
	v_nop
	v_fma_f32 v4, -v2, v3, 1.0
	s_delay_alu instid0(VALU_DEP_1) | instskip(NEXT) | instid1(VALU_DEP_1)
	v_fmac_f32_e32 v3, v4, v3
	v_mul_f32_e32 v4, v5, v3
	s_delay_alu instid0(VALU_DEP_1) | instskip(NEXT) | instid1(VALU_DEP_1)
	v_fma_f32 v6, -v2, v4, v5
	v_fmac_f32_e32 v4, v6, v3
	s_delay_alu instid0(VALU_DEP_1) | instskip(NEXT) | instid1(VALU_DEP_1)
	v_fma_f32 v2, -v2, v4, v5
	v_div_fmas_f32 v2, v2, v3, v4
	s_delay_alu instid0(VALU_DEP_1) | instskip(NEXT) | instid1(VALU_DEP_1)
	v_div_fixup_f32 v3, v2, v0, v1
	v_fmac_f32_e32 v0, v1, v3
	s_delay_alu instid0(VALU_DEP_1) | instskip(NEXT) | instid1(VALU_DEP_1)
	v_div_scale_f32 v1, null, v0, v0, 1.0
	v_rcp_f32_e32 v2, v1
	v_nop
	s_delay_alu instid0(TRANS32_DEP_1) | instskip(NEXT) | instid1(VALU_DEP_1)
	v_fma_f32 v4, -v1, v2, 1.0
	v_fmac_f32_e32 v2, v4, v2
	v_div_scale_f32 v4, vcc_lo, 1.0, v0, 1.0
	s_delay_alu instid0(VALU_DEP_1) | instskip(NEXT) | instid1(VALU_DEP_1)
	v_mul_f32_e32 v5, v4, v2
	v_fma_f32 v6, -v1, v5, v4
	s_delay_alu instid0(VALU_DEP_1) | instskip(NEXT) | instid1(VALU_DEP_1)
	v_fmac_f32_e32 v5, v6, v2
	v_fma_f32 v1, -v1, v5, v4
	s_delay_alu instid0(VALU_DEP_1) | instskip(NEXT) | instid1(VALU_DEP_1)
	v_div_fmas_f32 v1, v1, v2, v5
	v_div_fixup_f32 v2, v1, v0, 1.0
	s_delay_alu instid0(VALU_DEP_1)
	v_mul_f32_e64 v3, v3, -v2
.LBB97_88:
	s_or_b32 exec_lo, exec_lo, s1
	ds_store_b64 v79, v[2:3]
.LBB97_89:
	s_or_b32 exec_lo, exec_lo, s2
	s_wait_dscnt 0x0
	s_barrier_signal -1
	s_barrier_wait -1
	ds_load_b64 v[0:1], v79
	s_mov_b32 s1, exec_lo
	s_wait_dscnt 0x0
	scratch_store_b64 off, v[0:1], off offset:40 ; 8-byte Folded Spill
	s_wait_xcnt 0x0
	v_cmpx_lt_u32_e32 9, v78
	s_cbranch_execz .LBB97_91
; %bb.90:
	scratch_load_b64 v[4:5], off, off offset:40 ; 8-byte Folded Reload
	s_wait_loadcnt 0x0
	v_pk_mul_f32 v[2:3], v[4:5], v[32:33] op_sel:[1,1] op_sel_hi:[0,1]
	s_delay_alu instid0(VALU_DEP_1)
	v_pk_fma_f32 v[0:1], v[4:5], v[32:33], v[2:3] op_sel_hi:[1,0,1] neg_lo:[0,0,1] neg_hi:[0,0,1]
	v_pk_fma_f32 v[2:3], v[4:5], v[32:33], v[2:3] op_sel_hi:[1,0,1]
	ds_load_2addr_b64 v[4:7], v80 offset0:10 offset1:11
	v_dual_mov_b32 v32, v0 :: v_dual_mov_b32 v33, v3
	s_wait_dscnt 0x0
	v_pk_mul_f32 v[8:9], v[4:5], v[2:3] op_sel:[0,1]
	s_delay_alu instid0(VALU_DEP_1) | instskip(SKIP_1) | instid1(VALU_DEP_1)
	v_pk_fma_f32 v[10:11], v[4:5], v[0:1], v[8:9] op_sel:[0,0,1] op_sel_hi:[1,1,0] neg_lo:[0,0,1] neg_hi:[0,0,1]
	v_pk_fma_f32 v[4:5], v[4:5], v[0:1], v[8:9] op_sel:[0,0,1] op_sel_hi:[1,0,0]
	v_mov_b32_e32 v11, v5
	v_pk_mul_f32 v[4:5], v[6:7], v[2:3] op_sel:[0,1]
	s_delay_alu instid0(VALU_DEP_1) | instskip(SKIP_1) | instid1(VALU_DEP_1)
	v_pk_fma_f32 v[8:9], v[6:7], v[0:1], v[4:5] op_sel:[0,0,1] op_sel_hi:[1,1,0] neg_lo:[0,0,1] neg_hi:[0,0,1]
	v_pk_fma_f32 v[4:5], v[6:7], v[0:1], v[4:5] op_sel:[0,0,1] op_sel_hi:[1,0,0]
	v_mov_b32_e32 v9, v5
	ds_load_2addr_b64 v[4:7], v80 offset0:12 offset1:13
	v_pk_add_f32 v[34:35], v[34:35], v[10:11] neg_lo:[0,1] neg_hi:[0,1]
	v_pk_add_f32 v[30:31], v[30:31], v[8:9] neg_lo:[0,1] neg_hi:[0,1]
	s_wait_dscnt 0x0
	v_pk_mul_f32 v[8:9], v[4:5], v[2:3] op_sel:[0,1]
	s_delay_alu instid0(VALU_DEP_1) | instskip(SKIP_2) | instid1(VALU_DEP_2)
	v_pk_fma_f32 v[10:11], v[4:5], v[0:1], v[8:9] op_sel:[0,0,1] op_sel_hi:[1,1,0] neg_lo:[0,0,1] neg_hi:[0,0,1]
	v_pk_fma_f32 v[4:5], v[4:5], v[0:1], v[8:9] op_sel:[0,0,1] op_sel_hi:[1,0,0]
	v_dual_mul_f32 v8, v7, v3 :: v_dual_mov_b32 v4, v7
	v_dual_mov_b32 v11, v5 :: v_dual_mov_b32 v5, v6
	s_delay_alu instid0(VALU_DEP_2) | instskip(SKIP_1) | instid1(VALU_DEP_3)
	v_pk_fma_f32 v[8:9], v[6:7], v[32:33], v[8:9] op_sel_hi:[1,1,0] neg_lo:[0,0,1] neg_hi:[0,0,1]
	v_mul_f32_e32 v6, v7, v0
	v_pk_add_f32 v[52:53], v[52:53], v[10:11] neg_lo:[0,1] neg_hi:[0,1]
	s_delay_alu instid0(VALU_DEP_2) | instskip(NEXT) | instid1(VALU_DEP_1)
	v_pk_fma_f32 v[4:5], v[4:5], v[32:33], v[6:7] op_sel_hi:[1,1,0]
	v_mov_b32_e32 v9, v5
	ds_load_2addr_b64 v[4:7], v80 offset0:14 offset1:15
	v_pk_add_f32 v[48:49], v[48:49], v[8:9] neg_lo:[0,1] neg_hi:[0,1]
	s_wait_dscnt 0x0
	v_pk_mul_f32 v[8:9], v[4:5], v[2:3] op_sel:[0,1]
	s_delay_alu instid0(VALU_DEP_1) | instskip(SKIP_1) | instid1(VALU_DEP_1)
	v_pk_fma_f32 v[10:11], v[4:5], v[0:1], v[8:9] op_sel:[0,0,1] op_sel_hi:[1,1,0] neg_lo:[0,0,1] neg_hi:[0,0,1]
	v_pk_fma_f32 v[4:5], v[4:5], v[0:1], v[8:9] op_sel:[0,0,1] op_sel_hi:[1,0,0]
	v_mov_b32_e32 v11, v5
	v_pk_mul_f32 v[4:5], v[6:7], v[2:3] op_sel:[0,1]
	s_delay_alu instid0(VALU_DEP_1) | instskip(SKIP_1) | instid1(VALU_DEP_1)
	v_pk_fma_f32 v[8:9], v[6:7], v[0:1], v[4:5] op_sel:[0,0,1] op_sel_hi:[1,1,0] neg_lo:[0,0,1] neg_hi:[0,0,1]
	v_pk_fma_f32 v[4:5], v[6:7], v[0:1], v[4:5] op_sel:[0,0,1] op_sel_hi:[1,0,0]
	v_mov_b32_e32 v9, v5
	ds_load_2addr_b64 v[4:7], v80 offset0:16 offset1:17
	v_pk_add_f32 v[50:51], v[50:51], v[10:11] neg_lo:[0,1] neg_hi:[0,1]
	v_pk_add_f32 v[46:47], v[46:47], v[8:9] neg_lo:[0,1] neg_hi:[0,1]
	s_wait_dscnt 0x0
	v_pk_mul_f32 v[8:9], v[4:5], v[2:3] op_sel:[0,1]
	s_delay_alu instid0(VALU_DEP_1) | instskip(SKIP_1) | instid1(VALU_DEP_1)
	v_pk_fma_f32 v[10:11], v[4:5], v[0:1], v[8:9] op_sel:[0,0,1] op_sel_hi:[1,1,0] neg_lo:[0,0,1] neg_hi:[0,0,1]
	v_pk_fma_f32 v[4:5], v[4:5], v[0:1], v[8:9] op_sel:[0,0,1] op_sel_hi:[1,0,0]
	v_mov_b32_e32 v11, v5
	v_pk_mul_f32 v[4:5], v[6:7], v[2:3] op_sel:[0,1]
	s_delay_alu instid0(VALU_DEP_1) | instskip(SKIP_1) | instid1(VALU_DEP_1)
	v_pk_fma_f32 v[8:9], v[6:7], v[0:1], v[4:5] op_sel:[0,0,1] op_sel_hi:[1,1,0] neg_lo:[0,0,1] neg_hi:[0,0,1]
	v_pk_fma_f32 v[4:5], v[6:7], v[0:1], v[4:5] op_sel:[0,0,1] op_sel_hi:[1,0,0]
	v_mov_b32_e32 v9, v5
	ds_load_2addr_b64 v[4:7], v80 offset0:18 offset1:19
	v_pk_add_f32 v[76:77], v[76:77], v[10:11] neg_lo:[0,1] neg_hi:[0,1]
	v_pk_add_f32 v[72:73], v[72:73], v[8:9] neg_lo:[0,1] neg_hi:[0,1]
	s_wait_dscnt 0x0
	v_dual_mul_f32 v8, v5, v3 :: v_dual_mul_f32 v10, v5, v0
	s_delay_alu instid0(VALU_DEP_1) | instskip(NEXT) | instid1(VALU_DEP_2)
	v_pk_fma_f32 v[8:9], v[4:5], v[32:33], v[8:9] op_sel_hi:[1,1,0] neg_lo:[0,0,1] neg_hi:[0,0,1]
	v_pk_fma_f32 v[4:5], v[4:5], v[32:33], v[10:11] op_sel:[1,0,0] op_sel_hi:[0,1,0]
	s_delay_alu instid0(VALU_DEP_1) | instskip(SKIP_1) | instid1(VALU_DEP_2)
	v_mov_b32_e32 v9, v5
	v_pk_mul_f32 v[4:5], v[6:7], v[2:3] op_sel:[0,1]
	v_pk_add_f32 v[74:75], v[74:75], v[8:9] neg_lo:[0,1] neg_hi:[0,1]
	s_delay_alu instid0(VALU_DEP_2) | instskip(SKIP_1) | instid1(VALU_DEP_1)
	v_pk_fma_f32 v[8:9], v[6:7], v[0:1], v[4:5] op_sel:[0,0,1] op_sel_hi:[1,1,0] neg_lo:[0,0,1] neg_hi:[0,0,1]
	v_pk_fma_f32 v[4:5], v[6:7], v[0:1], v[4:5] op_sel:[0,0,1] op_sel_hi:[1,0,0]
	v_mov_b32_e32 v9, v5
	ds_load_2addr_b64 v[4:7], v80 offset0:20 offset1:21
	v_pk_add_f32 v[70:71], v[70:71], v[8:9] neg_lo:[0,1] neg_hi:[0,1]
	s_wait_dscnt 0x0
	v_pk_mul_f32 v[8:9], v[4:5], v[2:3] op_sel:[0,1]
	s_delay_alu instid0(VALU_DEP_1) | instskip(SKIP_1) | instid1(VALU_DEP_1)
	v_pk_fma_f32 v[10:11], v[4:5], v[0:1], v[8:9] op_sel:[0,0,1] op_sel_hi:[1,1,0] neg_lo:[0,0,1] neg_hi:[0,0,1]
	v_pk_fma_f32 v[4:5], v[4:5], v[0:1], v[8:9] op_sel:[0,0,1] op_sel_hi:[1,0,0]
	v_mov_b32_e32 v11, v5
	v_pk_mul_f32 v[4:5], v[6:7], v[2:3] op_sel:[0,1]
	s_delay_alu instid0(VALU_DEP_2) | instskip(NEXT) | instid1(VALU_DEP_2)
	v_pk_add_f32 v[94:95], v[94:95], v[10:11] neg_lo:[0,1] neg_hi:[0,1]
	v_pk_fma_f32 v[8:9], v[6:7], v[0:1], v[4:5] op_sel:[0,0,1] op_sel_hi:[1,1,0] neg_lo:[0,0,1] neg_hi:[0,0,1]
	v_pk_fma_f32 v[4:5], v[6:7], v[0:1], v[4:5] op_sel:[0,0,1] op_sel_hi:[1,0,0]
	s_delay_alu instid0(VALU_DEP_1) | instskip(SKIP_4) | instid1(VALU_DEP_1)
	v_mov_b32_e32 v9, v5
	ds_load_2addr_b64 v[4:7], v80 offset0:22 offset1:23
	v_pk_add_f32 v[90:91], v[90:91], v[8:9] neg_lo:[0,1] neg_hi:[0,1]
	s_wait_dscnt 0x0
	v_pk_mul_f32 v[8:9], v[4:5], v[2:3] op_sel:[0,1]
	v_pk_fma_f32 v[10:11], v[4:5], v[0:1], v[8:9] op_sel:[0,0,1] op_sel_hi:[1,1,0] neg_lo:[0,0,1] neg_hi:[0,0,1]
	v_pk_fma_f32 v[4:5], v[4:5], v[0:1], v[8:9] op_sel:[0,0,1] op_sel_hi:[1,0,0]
	v_dual_mul_f32 v8, v7, v3 :: v_dual_mov_b32 v4, v7
	s_delay_alu instid0(VALU_DEP_2) | instskip(NEXT) | instid1(VALU_DEP_2)
	v_dual_mov_b32 v11, v5 :: v_dual_mov_b32 v5, v6
	v_pk_fma_f32 v[8:9], v[6:7], v[32:33], v[8:9] op_sel_hi:[1,1,0] neg_lo:[0,0,1] neg_hi:[0,0,1]
	v_mul_f32_e32 v6, v7, v0
	s_delay_alu instid0(VALU_DEP_3) | instskip(NEXT) | instid1(VALU_DEP_2)
	v_pk_add_f32 v[92:93], v[92:93], v[10:11] neg_lo:[0,1] neg_hi:[0,1]
	v_pk_fma_f32 v[4:5], v[4:5], v[32:33], v[6:7] op_sel_hi:[1,1,0]
	s_delay_alu instid0(VALU_DEP_1) | instskip(SKIP_4) | instid1(VALU_DEP_1)
	v_mov_b32_e32 v9, v5
	ds_load_2addr_b64 v[4:7], v80 offset0:24 offset1:25
	v_pk_add_f32 v[88:89], v[88:89], v[8:9] neg_lo:[0,1] neg_hi:[0,1]
	s_wait_dscnt 0x0
	v_pk_mul_f32 v[8:9], v[4:5], v[2:3] op_sel:[0,1]
	v_pk_fma_f32 v[10:11], v[4:5], v[0:1], v[8:9] op_sel:[0,0,1] op_sel_hi:[1,1,0] neg_lo:[0,0,1] neg_hi:[0,0,1]
	v_pk_fma_f32 v[4:5], v[4:5], v[0:1], v[8:9] op_sel:[0,0,1] op_sel_hi:[1,0,0]
	s_delay_alu instid0(VALU_DEP_1) | instskip(SKIP_1) | instid1(VALU_DEP_1)
	v_mov_b32_e32 v11, v5
	v_pk_mul_f32 v[4:5], v[6:7], v[2:3] op_sel:[0,1]
	v_pk_fma_f32 v[8:9], v[6:7], v[0:1], v[4:5] op_sel:[0,0,1] op_sel_hi:[1,1,0] neg_lo:[0,0,1] neg_hi:[0,0,1]
	v_pk_fma_f32 v[4:5], v[6:7], v[0:1], v[4:5] op_sel:[0,0,1] op_sel_hi:[1,0,0]
	s_delay_alu instid0(VALU_DEP_1)
	v_mov_b32_e32 v9, v5
	ds_load_2addr_b64 v[4:7], v80 offset0:26 offset1:27
	v_pk_add_f32 v[112:113], v[112:113], v[10:11] neg_lo:[0,1] neg_hi:[0,1]
	v_pk_add_f32 v[108:109], v[108:109], v[8:9] neg_lo:[0,1] neg_hi:[0,1]
	s_wait_dscnt 0x0
	v_pk_mul_f32 v[8:9], v[4:5], v[2:3] op_sel:[0,1]
	s_delay_alu instid0(VALU_DEP_1) | instskip(SKIP_1) | instid1(VALU_DEP_1)
	v_pk_fma_f32 v[10:11], v[4:5], v[0:1], v[8:9] op_sel:[0,0,1] op_sel_hi:[1,1,0] neg_lo:[0,0,1] neg_hi:[0,0,1]
	v_pk_fma_f32 v[4:5], v[4:5], v[0:1], v[8:9] op_sel:[0,0,1] op_sel_hi:[1,0,0]
	v_mov_b32_e32 v11, v5
	v_pk_mul_f32 v[4:5], v[6:7], v[2:3] op_sel:[0,1]
	s_delay_alu instid0(VALU_DEP_1) | instskip(SKIP_1) | instid1(VALU_DEP_1)
	v_pk_fma_f32 v[8:9], v[6:7], v[0:1], v[4:5] op_sel:[0,0,1] op_sel_hi:[1,1,0] neg_lo:[0,0,1] neg_hi:[0,0,1]
	v_pk_fma_f32 v[4:5], v[6:7], v[0:1], v[4:5] op_sel:[0,0,1] op_sel_hi:[1,0,0]
	v_mov_b32_e32 v9, v5
	ds_load_2addr_b64 v[4:7], v80 offset0:28 offset1:29
	v_pk_add_f32 v[110:111], v[110:111], v[10:11] neg_lo:[0,1] neg_hi:[0,1]
	v_pk_add_f32 v[106:107], v[106:107], v[8:9] neg_lo:[0,1] neg_hi:[0,1]
	s_wait_dscnt 0x0
	v_dual_mul_f32 v8, v5, v3 :: v_dual_mul_f32 v10, v5, v0
	s_delay_alu instid0(VALU_DEP_1) | instskip(NEXT) | instid1(VALU_DEP_2)
	v_pk_fma_f32 v[8:9], v[4:5], v[32:33], v[8:9] op_sel_hi:[1,1,0] neg_lo:[0,0,1] neg_hi:[0,0,1]
	v_pk_fma_f32 v[4:5], v[4:5], v[32:33], v[10:11] op_sel:[1,0,0] op_sel_hi:[0,1,0]
	s_delay_alu instid0(VALU_DEP_1) | instskip(SKIP_1) | instid1(VALU_DEP_2)
	v_mov_b32_e32 v9, v5
	v_pk_mul_f32 v[4:5], v[6:7], v[2:3] op_sel:[0,1]
	v_pk_add_f32 v[128:129], v[128:129], v[8:9] neg_lo:[0,1] neg_hi:[0,1]
	s_delay_alu instid0(VALU_DEP_2) | instskip(SKIP_1) | instid1(VALU_DEP_1)
	v_pk_fma_f32 v[8:9], v[6:7], v[0:1], v[4:5] op_sel:[0,0,1] op_sel_hi:[1,1,0] neg_lo:[0,0,1] neg_hi:[0,0,1]
	v_pk_fma_f32 v[4:5], v[6:7], v[0:1], v[4:5] op_sel:[0,0,1] op_sel_hi:[1,0,0]
	v_mov_b32_e32 v9, v5
	ds_load_2addr_b64 v[4:7], v80 offset0:30 offset1:31
	v_pk_add_f32 v[124:125], v[124:125], v[8:9] neg_lo:[0,1] neg_hi:[0,1]
	s_wait_dscnt 0x0
	v_pk_mul_f32 v[8:9], v[4:5], v[2:3] op_sel:[0,1]
	s_delay_alu instid0(VALU_DEP_1) | instskip(SKIP_1) | instid1(VALU_DEP_1)
	v_pk_fma_f32 v[10:11], v[4:5], v[0:1], v[8:9] op_sel:[0,0,1] op_sel_hi:[1,1,0] neg_lo:[0,0,1] neg_hi:[0,0,1]
	v_pk_fma_f32 v[4:5], v[4:5], v[0:1], v[8:9] op_sel:[0,0,1] op_sel_hi:[1,0,0]
	v_mov_b32_e32 v11, v5
	v_pk_mul_f32 v[4:5], v[6:7], v[2:3] op_sel:[0,1]
	s_delay_alu instid0(VALU_DEP_2) | instskip(NEXT) | instid1(VALU_DEP_2)
	v_pk_add_f32 v[126:127], v[126:127], v[10:11] neg_lo:[0,1] neg_hi:[0,1]
	v_pk_fma_f32 v[8:9], v[6:7], v[0:1], v[4:5] op_sel:[0,0,1] op_sel_hi:[1,1,0] neg_lo:[0,0,1] neg_hi:[0,0,1]
	v_pk_fma_f32 v[4:5], v[6:7], v[0:1], v[4:5] op_sel:[0,0,1] op_sel_hi:[1,0,0]
	s_delay_alu instid0(VALU_DEP_1) | instskip(SKIP_4) | instid1(VALU_DEP_1)
	v_mov_b32_e32 v9, v5
	ds_load_2addr_b64 v[4:7], v80 offset0:32 offset1:33
	v_pk_add_f32 v[122:123], v[122:123], v[8:9] neg_lo:[0,1] neg_hi:[0,1]
	s_wait_dscnt 0x0
	v_pk_mul_f32 v[8:9], v[4:5], v[2:3] op_sel:[0,1]
	v_pk_fma_f32 v[10:11], v[4:5], v[0:1], v[8:9] op_sel:[0,0,1] op_sel_hi:[1,1,0] neg_lo:[0,0,1] neg_hi:[0,0,1]
	v_pk_fma_f32 v[4:5], v[4:5], v[0:1], v[8:9] op_sel:[0,0,1] op_sel_hi:[1,0,0]
	v_dual_mul_f32 v8, v7, v3 :: v_dual_mov_b32 v4, v7
	s_delay_alu instid0(VALU_DEP_2) | instskip(NEXT) | instid1(VALU_DEP_2)
	v_dual_mov_b32 v11, v5 :: v_dual_mov_b32 v5, v6
	v_pk_fma_f32 v[8:9], v[6:7], v[32:33], v[8:9] op_sel_hi:[1,1,0] neg_lo:[0,0,1] neg_hi:[0,0,1]
	v_mul_f32_e32 v6, v7, v0
	s_delay_alu instid0(VALU_DEP_3) | instskip(NEXT) | instid1(VALU_DEP_2)
	v_pk_add_f32 v[144:145], v[144:145], v[10:11] neg_lo:[0,1] neg_hi:[0,1]
	v_pk_fma_f32 v[4:5], v[4:5], v[32:33], v[6:7] op_sel_hi:[1,1,0]
	s_delay_alu instid0(VALU_DEP_1) | instskip(SKIP_4) | instid1(VALU_DEP_1)
	v_mov_b32_e32 v9, v5
	ds_load_2addr_b64 v[4:7], v80 offset0:34 offset1:35
	v_pk_add_f32 v[140:141], v[140:141], v[8:9] neg_lo:[0,1] neg_hi:[0,1]
	s_wait_dscnt 0x0
	v_pk_mul_f32 v[8:9], v[4:5], v[2:3] op_sel:[0,1]
	v_pk_fma_f32 v[10:11], v[4:5], v[0:1], v[8:9] op_sel:[0,0,1] op_sel_hi:[1,1,0] neg_lo:[0,0,1] neg_hi:[0,0,1]
	v_pk_fma_f32 v[4:5], v[4:5], v[0:1], v[8:9] op_sel:[0,0,1] op_sel_hi:[1,0,0]
	s_delay_alu instid0(VALU_DEP_1) | instskip(SKIP_1) | instid1(VALU_DEP_1)
	v_mov_b32_e32 v11, v5
	v_pk_mul_f32 v[4:5], v[6:7], v[2:3] op_sel:[0,1]
	v_pk_fma_f32 v[8:9], v[6:7], v[0:1], v[4:5] op_sel:[0,0,1] op_sel_hi:[1,1,0] neg_lo:[0,0,1] neg_hi:[0,0,1]
	v_pk_fma_f32 v[4:5], v[6:7], v[0:1], v[4:5] op_sel:[0,0,1] op_sel_hi:[1,0,0]
	s_delay_alu instid0(VALU_DEP_1)
	v_mov_b32_e32 v9, v5
	ds_load_2addr_b64 v[4:7], v80 offset0:36 offset1:37
	v_pk_add_f32 v[142:143], v[142:143], v[10:11] neg_lo:[0,1] neg_hi:[0,1]
	v_pk_add_f32 v[138:139], v[138:139], v[8:9] neg_lo:[0,1] neg_hi:[0,1]
	s_wait_dscnt 0x0
	v_pk_mul_f32 v[8:9], v[4:5], v[2:3] op_sel:[0,1]
	s_delay_alu instid0(VALU_DEP_1) | instskip(SKIP_1) | instid1(VALU_DEP_1)
	v_pk_fma_f32 v[10:11], v[4:5], v[0:1], v[8:9] op_sel:[0,0,1] op_sel_hi:[1,1,0] neg_lo:[0,0,1] neg_hi:[0,0,1]
	v_pk_fma_f32 v[4:5], v[4:5], v[0:1], v[8:9] op_sel:[0,0,1] op_sel_hi:[1,0,0]
	v_mov_b32_e32 v11, v5
	v_pk_mul_f32 v[4:5], v[6:7], v[2:3] op_sel:[0,1]
	s_delay_alu instid0(VALU_DEP_1) | instskip(SKIP_1) | instid1(VALU_DEP_1)
	v_pk_fma_f32 v[8:9], v[6:7], v[0:1], v[4:5] op_sel:[0,0,1] op_sel_hi:[1,1,0] neg_lo:[0,0,1] neg_hi:[0,0,1]
	v_pk_fma_f32 v[4:5], v[6:7], v[0:1], v[4:5] op_sel:[0,0,1] op_sel_hi:[1,0,0]
	v_mov_b32_e32 v9, v5
	ds_load_2addr_b64 v[4:7], v80 offset0:38 offset1:39
	v_pk_add_f32 v[166:167], v[166:167], v[10:11] neg_lo:[0,1] neg_hi:[0,1]
	v_pk_add_f32 v[162:163], v[162:163], v[8:9] neg_lo:[0,1] neg_hi:[0,1]
	s_wait_dscnt 0x0
	v_dual_mul_f32 v8, v5, v3 :: v_dual_mul_f32 v10, v5, v0
	s_delay_alu instid0(VALU_DEP_1) | instskip(NEXT) | instid1(VALU_DEP_2)
	v_pk_fma_f32 v[8:9], v[4:5], v[32:33], v[8:9] op_sel_hi:[1,1,0] neg_lo:[0,0,1] neg_hi:[0,0,1]
	v_pk_fma_f32 v[4:5], v[4:5], v[32:33], v[10:11] op_sel:[1,0,0] op_sel_hi:[0,1,0]
	s_delay_alu instid0(VALU_DEP_1) | instskip(SKIP_1) | instid1(VALU_DEP_2)
	v_mov_b32_e32 v9, v5
	v_pk_mul_f32 v[4:5], v[6:7], v[2:3] op_sel:[0,1]
	v_pk_add_f32 v[164:165], v[164:165], v[8:9] neg_lo:[0,1] neg_hi:[0,1]
	s_delay_alu instid0(VALU_DEP_2) | instskip(SKIP_1) | instid1(VALU_DEP_1)
	v_pk_fma_f32 v[8:9], v[6:7], v[0:1], v[4:5] op_sel:[0,0,1] op_sel_hi:[1,1,0] neg_lo:[0,0,1] neg_hi:[0,0,1]
	v_pk_fma_f32 v[4:5], v[6:7], v[0:1], v[4:5] op_sel:[0,0,1] op_sel_hi:[1,0,0]
	v_mov_b32_e32 v9, v5
	ds_load_2addr_b64 v[4:7], v80 offset0:40 offset1:41
	v_pk_add_f32 v[160:161], v[160:161], v[8:9] neg_lo:[0,1] neg_hi:[0,1]
	s_wait_dscnt 0x0
	v_pk_mul_f32 v[8:9], v[4:5], v[2:3] op_sel:[0,1]
	s_delay_alu instid0(VALU_DEP_1) | instskip(SKIP_1) | instid1(VALU_DEP_1)
	v_pk_fma_f32 v[10:11], v[4:5], v[0:1], v[8:9] op_sel:[0,0,1] op_sel_hi:[1,1,0] neg_lo:[0,0,1] neg_hi:[0,0,1]
	v_pk_fma_f32 v[4:5], v[4:5], v[0:1], v[8:9] op_sel:[0,0,1] op_sel_hi:[1,0,0]
	v_mov_b32_e32 v11, v5
	v_pk_mul_f32 v[4:5], v[6:7], v[2:3] op_sel:[0,1]
	s_delay_alu instid0(VALU_DEP_2) | instskip(NEXT) | instid1(VALU_DEP_2)
	v_pk_add_f32 v[192:193], v[192:193], v[10:11] neg_lo:[0,1] neg_hi:[0,1]
	v_pk_fma_f32 v[8:9], v[6:7], v[0:1], v[4:5] op_sel:[0,0,1] op_sel_hi:[1,1,0] neg_lo:[0,0,1] neg_hi:[0,0,1]
	v_pk_fma_f32 v[4:5], v[6:7], v[0:1], v[4:5] op_sel:[0,0,1] op_sel_hi:[1,0,0]
	s_delay_alu instid0(VALU_DEP_1) | instskip(SKIP_4) | instid1(VALU_DEP_1)
	v_mov_b32_e32 v9, v5
	ds_load_2addr_b64 v[4:7], v80 offset0:42 offset1:43
	v_pk_add_f32 v[184:185], v[184:185], v[8:9] neg_lo:[0,1] neg_hi:[0,1]
	s_wait_dscnt 0x0
	v_pk_mul_f32 v[8:9], v[4:5], v[2:3] op_sel:[0,1]
	v_pk_fma_f32 v[10:11], v[4:5], v[0:1], v[8:9] op_sel:[0,0,1] op_sel_hi:[1,1,0] neg_lo:[0,0,1] neg_hi:[0,0,1]
	v_pk_fma_f32 v[4:5], v[4:5], v[0:1], v[8:9] op_sel:[0,0,1] op_sel_hi:[1,0,0]
	v_dual_mul_f32 v8, v7, v3 :: v_dual_mov_b32 v4, v7
	s_delay_alu instid0(VALU_DEP_2) | instskip(NEXT) | instid1(VALU_DEP_2)
	v_dual_mov_b32 v11, v5 :: v_dual_mov_b32 v5, v6
	v_pk_fma_f32 v[8:9], v[6:7], v[32:33], v[8:9] op_sel_hi:[1,1,0] neg_lo:[0,0,1] neg_hi:[0,0,1]
	v_mul_f32_e32 v6, v7, v0
	s_delay_alu instid0(VALU_DEP_3) | instskip(NEXT) | instid1(VALU_DEP_2)
	v_pk_add_f32 v[190:191], v[190:191], v[10:11] neg_lo:[0,1] neg_hi:[0,1]
	v_pk_fma_f32 v[4:5], v[4:5], v[32:33], v[6:7] op_sel_hi:[1,1,0]
	s_delay_alu instid0(VALU_DEP_1) | instskip(SKIP_4) | instid1(VALU_DEP_1)
	v_mov_b32_e32 v9, v5
	ds_load_2addr_b64 v[4:7], v80 offset0:44 offset1:45
	v_pk_add_f32 v[182:183], v[182:183], v[8:9] neg_lo:[0,1] neg_hi:[0,1]
	s_wait_dscnt 0x0
	v_pk_mul_f32 v[8:9], v[4:5], v[2:3] op_sel:[0,1]
	v_pk_fma_f32 v[10:11], v[4:5], v[0:1], v[8:9] op_sel:[0,0,1] op_sel_hi:[1,1,0] neg_lo:[0,0,1] neg_hi:[0,0,1]
	v_pk_fma_f32 v[4:5], v[4:5], v[0:1], v[8:9] op_sel:[0,0,1] op_sel_hi:[1,0,0]
	s_delay_alu instid0(VALU_DEP_1) | instskip(SKIP_1) | instid1(VALU_DEP_1)
	v_mov_b32_e32 v11, v5
	v_pk_mul_f32 v[4:5], v[6:7], v[2:3] op_sel:[0,1]
	v_pk_fma_f32 v[8:9], v[6:7], v[0:1], v[4:5] op_sel:[0,0,1] op_sel_hi:[1,1,0] neg_lo:[0,0,1] neg_hi:[0,0,1]
	v_pk_fma_f32 v[4:5], v[6:7], v[0:1], v[4:5] op_sel:[0,0,1] op_sel_hi:[1,0,0]
	s_delay_alu instid0(VALU_DEP_1)
	v_mov_b32_e32 v9, v5
	ds_load_2addr_b64 v[4:7], v80 offset0:46 offset1:47
	v_pk_add_f32 v[188:189], v[188:189], v[10:11] neg_lo:[0,1] neg_hi:[0,1]
	v_pk_add_f32 v[180:181], v[180:181], v[8:9] neg_lo:[0,1] neg_hi:[0,1]
	s_wait_dscnt 0x0
	v_pk_mul_f32 v[8:9], v[4:5], v[2:3] op_sel:[0,1]
	s_delay_alu instid0(VALU_DEP_1) | instskip(SKIP_1) | instid1(VALU_DEP_1)
	v_pk_fma_f32 v[10:11], v[4:5], v[0:1], v[8:9] op_sel:[0,0,1] op_sel_hi:[1,1,0] neg_lo:[0,0,1] neg_hi:[0,0,1]
	v_pk_fma_f32 v[4:5], v[4:5], v[0:1], v[8:9] op_sel:[0,0,1] op_sel_hi:[1,0,0]
	v_mov_b32_e32 v11, v5
	v_pk_mul_f32 v[4:5], v[6:7], v[2:3] op_sel:[0,1]
	s_delay_alu instid0(VALU_DEP_1) | instskip(SKIP_1) | instid1(VALU_DEP_1)
	v_pk_fma_f32 v[8:9], v[6:7], v[0:1], v[4:5] op_sel:[0,0,1] op_sel_hi:[1,1,0] neg_lo:[0,0,1] neg_hi:[0,0,1]
	v_pk_fma_f32 v[4:5], v[6:7], v[0:1], v[4:5] op_sel:[0,0,1] op_sel_hi:[1,0,0]
	v_mov_b32_e32 v9, v5
	ds_load_b64 v[4:5], v80 offset:384
	v_pk_add_f32 v[186:187], v[186:187], v[10:11] neg_lo:[0,1] neg_hi:[0,1]
	v_pk_add_f32 v[194:195], v[194:195], v[8:9] neg_lo:[0,1] neg_hi:[0,1]
	s_wait_dscnt 0x0
	v_pk_mul_f32 v[2:3], v[4:5], v[2:3] op_sel:[0,1]
	s_delay_alu instid0(VALU_DEP_1) | instskip(SKIP_1) | instid1(VALU_DEP_1)
	v_pk_fma_f32 v[6:7], v[4:5], v[0:1], v[2:3] op_sel:[0,0,1] op_sel_hi:[1,1,0] neg_lo:[0,0,1] neg_hi:[0,0,1]
	v_pk_fma_f32 v[0:1], v[4:5], v[0:1], v[2:3] op_sel:[0,0,1] op_sel_hi:[1,0,0]
	v_mov_b32_e32 v7, v1
	s_delay_alu instid0(VALU_DEP_1)
	v_pk_add_f32 v[196:197], v[196:197], v[6:7] neg_lo:[0,1] neg_hi:[0,1]
.LBB97_91:
	s_wait_xcnt 0x0
	s_or_b32 exec_lo, exec_lo, s1
	s_delay_alu instid0(SALU_CYCLE_1)
	s_mov_b32 s2, exec_lo
	s_wait_storecnt 0x0
	s_barrier_signal -1
	s_barrier_wait -1
	v_cmpx_eq_u32_e32 10, v78
	s_cbranch_execz .LBB97_98
; %bb.92:
	ds_store_b64 v79, v[34:35]
	ds_store_2addr_b64 v80, v[30:31], v[52:53] offset0:11 offset1:12
	ds_store_2addr_b64 v80, v[48:49], v[50:51] offset0:13 offset1:14
	;; [unrolled: 1-line block ×19, first 2 shown]
	ds_load_b64 v[0:1], v79
	s_wait_dscnt 0x0
	v_cmp_neq_f32_e32 vcc_lo, 0, v0
	v_cmp_neq_f32_e64 s1, 0, v1
	s_or_b32 s1, vcc_lo, s1
	s_delay_alu instid0(SALU_CYCLE_1)
	s_and_b32 exec_lo, exec_lo, s1
	s_cbranch_execz .LBB97_98
; %bb.93:
	v_cmp_ngt_f32_e64 s1, |v0|, |v1|
                                        ; implicit-def: $vgpr2_vgpr3
	s_and_saveexec_b32 s4, s1
	s_delay_alu instid0(SALU_CYCLE_1)
	s_xor_b32 s1, exec_lo, s4
	s_cbranch_execz .LBB97_95
; %bb.94:
	v_div_scale_f32 v2, null, v1, v1, v0
	v_div_scale_f32 v5, vcc_lo, v0, v1, v0
	s_delay_alu instid0(VALU_DEP_2) | instskip(SKIP_1) | instid1(TRANS32_DEP_1)
	v_rcp_f32_e32 v3, v2
	v_nop
	v_fma_f32 v4, -v2, v3, 1.0
	s_delay_alu instid0(VALU_DEP_1) | instskip(NEXT) | instid1(VALU_DEP_1)
	v_fmac_f32_e32 v3, v4, v3
	v_mul_f32_e32 v4, v5, v3
	s_delay_alu instid0(VALU_DEP_1) | instskip(NEXT) | instid1(VALU_DEP_1)
	v_fma_f32 v6, -v2, v4, v5
	v_fmac_f32_e32 v4, v6, v3
	s_delay_alu instid0(VALU_DEP_1) | instskip(NEXT) | instid1(VALU_DEP_1)
	v_fma_f32 v2, -v2, v4, v5
	v_div_fmas_f32 v2, v2, v3, v4
	s_delay_alu instid0(VALU_DEP_1) | instskip(NEXT) | instid1(VALU_DEP_1)
	v_div_fixup_f32 v2, v2, v1, v0
	v_fmac_f32_e32 v1, v0, v2
	s_delay_alu instid0(VALU_DEP_1) | instskip(SKIP_1) | instid1(VALU_DEP_2)
	v_div_scale_f32 v0, null, v1, v1, 1.0
	v_div_scale_f32 v5, vcc_lo, 1.0, v1, 1.0
	v_rcp_f32_e32 v3, v0
	v_nop
	s_delay_alu instid0(TRANS32_DEP_1) | instskip(NEXT) | instid1(VALU_DEP_1)
	v_fma_f32 v4, -v0, v3, 1.0
	v_fmac_f32_e32 v3, v4, v3
	s_delay_alu instid0(VALU_DEP_1) | instskip(NEXT) | instid1(VALU_DEP_1)
	v_mul_f32_e32 v4, v5, v3
	v_fma_f32 v6, -v0, v4, v5
	s_delay_alu instid0(VALU_DEP_1) | instskip(NEXT) | instid1(VALU_DEP_1)
	v_fmac_f32_e32 v4, v6, v3
	v_fma_f32 v0, -v0, v4, v5
	s_delay_alu instid0(VALU_DEP_1) | instskip(NEXT) | instid1(VALU_DEP_1)
	v_div_fmas_f32 v0, v0, v3, v4
	v_div_fixup_f32 v0, v0, v1, 1.0
	s_delay_alu instid0(VALU_DEP_1)
	v_mul_f32_e32 v2, v2, v0
	v_xor_b32_e32 v3, 0x80000000, v0
                                        ; implicit-def: $vgpr0_vgpr1
.LBB97_95:
	s_and_not1_saveexec_b32 s1, s1
	s_cbranch_execz .LBB97_97
; %bb.96:
	v_div_scale_f32 v2, null, v0, v0, v1
	v_div_scale_f32 v5, vcc_lo, v1, v0, v1
	s_delay_alu instid0(VALU_DEP_2) | instskip(SKIP_1) | instid1(TRANS32_DEP_1)
	v_rcp_f32_e32 v3, v2
	v_nop
	v_fma_f32 v4, -v2, v3, 1.0
	s_delay_alu instid0(VALU_DEP_1) | instskip(NEXT) | instid1(VALU_DEP_1)
	v_fmac_f32_e32 v3, v4, v3
	v_mul_f32_e32 v4, v5, v3
	s_delay_alu instid0(VALU_DEP_1) | instskip(NEXT) | instid1(VALU_DEP_1)
	v_fma_f32 v6, -v2, v4, v5
	v_fmac_f32_e32 v4, v6, v3
	s_delay_alu instid0(VALU_DEP_1) | instskip(NEXT) | instid1(VALU_DEP_1)
	v_fma_f32 v2, -v2, v4, v5
	v_div_fmas_f32 v2, v2, v3, v4
	s_delay_alu instid0(VALU_DEP_1) | instskip(NEXT) | instid1(VALU_DEP_1)
	v_div_fixup_f32 v3, v2, v0, v1
	v_fmac_f32_e32 v0, v1, v3
	s_delay_alu instid0(VALU_DEP_1) | instskip(NEXT) | instid1(VALU_DEP_1)
	v_div_scale_f32 v1, null, v0, v0, 1.0
	v_rcp_f32_e32 v2, v1
	v_nop
	s_delay_alu instid0(TRANS32_DEP_1) | instskip(NEXT) | instid1(VALU_DEP_1)
	v_fma_f32 v4, -v1, v2, 1.0
	v_fmac_f32_e32 v2, v4, v2
	v_div_scale_f32 v4, vcc_lo, 1.0, v0, 1.0
	s_delay_alu instid0(VALU_DEP_1) | instskip(NEXT) | instid1(VALU_DEP_1)
	v_mul_f32_e32 v5, v4, v2
	v_fma_f32 v6, -v1, v5, v4
	s_delay_alu instid0(VALU_DEP_1) | instskip(NEXT) | instid1(VALU_DEP_1)
	v_fmac_f32_e32 v5, v6, v2
	v_fma_f32 v1, -v1, v5, v4
	s_delay_alu instid0(VALU_DEP_1) | instskip(NEXT) | instid1(VALU_DEP_1)
	v_div_fmas_f32 v1, v1, v2, v5
	v_div_fixup_f32 v2, v1, v0, 1.0
	s_delay_alu instid0(VALU_DEP_1)
	v_mul_f32_e64 v3, v3, -v2
.LBB97_97:
	s_or_b32 exec_lo, exec_lo, s1
	ds_store_b64 v79, v[2:3]
.LBB97_98:
	s_or_b32 exec_lo, exec_lo, s2
	s_wait_dscnt 0x0
	s_barrier_signal -1
	s_barrier_wait -1
	ds_load_b64 v[0:1], v79
	s_mov_b32 s1, exec_lo
	s_wait_dscnt 0x0
	scratch_store_b64 off, v[0:1], off offset:48 ; 8-byte Folded Spill
	s_wait_xcnt 0x0
	v_cmpx_lt_u32_e32 10, v78
	s_cbranch_execz .LBB97_100
; %bb.99:
	scratch_load_b64 v[4:5], off, off offset:48 ; 8-byte Folded Reload
	s_wait_loadcnt 0x0
	v_pk_mul_f32 v[2:3], v[4:5], v[34:35] op_sel:[1,1] op_sel_hi:[0,1]
	s_delay_alu instid0(VALU_DEP_1)
	v_pk_fma_f32 v[0:1], v[4:5], v[34:35], v[2:3] op_sel_hi:[1,0,1] neg_lo:[0,0,1] neg_hi:[0,0,1]
	v_pk_fma_f32 v[2:3], v[4:5], v[34:35], v[2:3] op_sel_hi:[1,0,1]
	ds_load_2addr_b64 v[4:7], v80 offset0:11 offset1:12
	v_dual_mov_b32 v34, v0 :: v_dual_mov_b32 v35, v3
	s_wait_dscnt 0x0
	v_pk_mul_f32 v[8:9], v[4:5], v[2:3] op_sel:[0,1]
	s_delay_alu instid0(VALU_DEP_1) | instskip(SKIP_1) | instid1(VALU_DEP_1)
	v_pk_fma_f32 v[10:11], v[4:5], v[0:1], v[8:9] op_sel:[0,0,1] op_sel_hi:[1,1,0] neg_lo:[0,0,1] neg_hi:[0,0,1]
	v_pk_fma_f32 v[4:5], v[4:5], v[0:1], v[8:9] op_sel:[0,0,1] op_sel_hi:[1,0,0]
	v_mov_b32_e32 v11, v5
	v_pk_mul_f32 v[4:5], v[6:7], v[2:3] op_sel:[0,1]
	s_delay_alu instid0(VALU_DEP_1) | instskip(SKIP_1) | instid1(VALU_DEP_1)
	v_pk_fma_f32 v[8:9], v[6:7], v[0:1], v[4:5] op_sel:[0,0,1] op_sel_hi:[1,1,0] neg_lo:[0,0,1] neg_hi:[0,0,1]
	v_pk_fma_f32 v[4:5], v[6:7], v[0:1], v[4:5] op_sel:[0,0,1] op_sel_hi:[1,0,0]
	v_mov_b32_e32 v9, v5
	ds_load_2addr_b64 v[4:7], v80 offset0:13 offset1:14
	v_pk_add_f32 v[30:31], v[30:31], v[10:11] neg_lo:[0,1] neg_hi:[0,1]
	v_pk_add_f32 v[52:53], v[52:53], v[8:9] neg_lo:[0,1] neg_hi:[0,1]
	s_wait_dscnt 0x0
	v_pk_mul_f32 v[8:9], v[4:5], v[2:3] op_sel:[0,1]
	s_delay_alu instid0(VALU_DEP_1) | instskip(SKIP_2) | instid1(VALU_DEP_2)
	v_pk_fma_f32 v[10:11], v[4:5], v[0:1], v[8:9] op_sel:[0,0,1] op_sel_hi:[1,1,0] neg_lo:[0,0,1] neg_hi:[0,0,1]
	v_pk_fma_f32 v[4:5], v[4:5], v[0:1], v[8:9] op_sel:[0,0,1] op_sel_hi:[1,0,0]
	v_dual_mul_f32 v8, v7, v3 :: v_dual_mov_b32 v4, v7
	v_dual_mov_b32 v11, v5 :: v_dual_mov_b32 v5, v6
	s_delay_alu instid0(VALU_DEP_2) | instskip(SKIP_1) | instid1(VALU_DEP_3)
	v_pk_fma_f32 v[8:9], v[6:7], v[34:35], v[8:9] op_sel_hi:[1,1,0] neg_lo:[0,0,1] neg_hi:[0,0,1]
	v_mul_f32_e32 v6, v7, v0
	v_pk_add_f32 v[48:49], v[48:49], v[10:11] neg_lo:[0,1] neg_hi:[0,1]
	s_delay_alu instid0(VALU_DEP_2) | instskip(NEXT) | instid1(VALU_DEP_1)
	v_pk_fma_f32 v[4:5], v[4:5], v[34:35], v[6:7] op_sel_hi:[1,1,0]
	v_mov_b32_e32 v9, v5
	ds_load_2addr_b64 v[4:7], v80 offset0:15 offset1:16
	v_pk_add_f32 v[50:51], v[50:51], v[8:9] neg_lo:[0,1] neg_hi:[0,1]
	s_wait_dscnt 0x0
	v_pk_mul_f32 v[8:9], v[4:5], v[2:3] op_sel:[0,1]
	s_delay_alu instid0(VALU_DEP_1) | instskip(SKIP_1) | instid1(VALU_DEP_1)
	v_pk_fma_f32 v[10:11], v[4:5], v[0:1], v[8:9] op_sel:[0,0,1] op_sel_hi:[1,1,0] neg_lo:[0,0,1] neg_hi:[0,0,1]
	v_pk_fma_f32 v[4:5], v[4:5], v[0:1], v[8:9] op_sel:[0,0,1] op_sel_hi:[1,0,0]
	v_mov_b32_e32 v11, v5
	v_pk_mul_f32 v[4:5], v[6:7], v[2:3] op_sel:[0,1]
	s_delay_alu instid0(VALU_DEP_1) | instskip(SKIP_1) | instid1(VALU_DEP_1)
	v_pk_fma_f32 v[8:9], v[6:7], v[0:1], v[4:5] op_sel:[0,0,1] op_sel_hi:[1,1,0] neg_lo:[0,0,1] neg_hi:[0,0,1]
	v_pk_fma_f32 v[4:5], v[6:7], v[0:1], v[4:5] op_sel:[0,0,1] op_sel_hi:[1,0,0]
	v_mov_b32_e32 v9, v5
	ds_load_2addr_b64 v[4:7], v80 offset0:17 offset1:18
	v_pk_add_f32 v[46:47], v[46:47], v[10:11] neg_lo:[0,1] neg_hi:[0,1]
	v_pk_add_f32 v[76:77], v[76:77], v[8:9] neg_lo:[0,1] neg_hi:[0,1]
	s_wait_dscnt 0x0
	v_pk_mul_f32 v[8:9], v[4:5], v[2:3] op_sel:[0,1]
	s_delay_alu instid0(VALU_DEP_1) | instskip(SKIP_1) | instid1(VALU_DEP_1)
	v_pk_fma_f32 v[10:11], v[4:5], v[0:1], v[8:9] op_sel:[0,0,1] op_sel_hi:[1,1,0] neg_lo:[0,0,1] neg_hi:[0,0,1]
	v_pk_fma_f32 v[4:5], v[4:5], v[0:1], v[8:9] op_sel:[0,0,1] op_sel_hi:[1,0,0]
	v_mov_b32_e32 v11, v5
	v_pk_mul_f32 v[4:5], v[6:7], v[2:3] op_sel:[0,1]
	s_delay_alu instid0(VALU_DEP_1) | instskip(SKIP_1) | instid1(VALU_DEP_1)
	v_pk_fma_f32 v[8:9], v[6:7], v[0:1], v[4:5] op_sel:[0,0,1] op_sel_hi:[1,1,0] neg_lo:[0,0,1] neg_hi:[0,0,1]
	v_pk_fma_f32 v[4:5], v[6:7], v[0:1], v[4:5] op_sel:[0,0,1] op_sel_hi:[1,0,0]
	v_mov_b32_e32 v9, v5
	ds_load_2addr_b64 v[4:7], v80 offset0:19 offset1:20
	v_pk_add_f32 v[72:73], v[72:73], v[10:11] neg_lo:[0,1] neg_hi:[0,1]
	v_pk_add_f32 v[74:75], v[74:75], v[8:9] neg_lo:[0,1] neg_hi:[0,1]
	s_wait_dscnt 0x0
	v_dual_mul_f32 v8, v5, v3 :: v_dual_mul_f32 v10, v5, v0
	s_delay_alu instid0(VALU_DEP_1) | instskip(NEXT) | instid1(VALU_DEP_2)
	v_pk_fma_f32 v[8:9], v[4:5], v[34:35], v[8:9] op_sel_hi:[1,1,0] neg_lo:[0,0,1] neg_hi:[0,0,1]
	v_pk_fma_f32 v[4:5], v[4:5], v[34:35], v[10:11] op_sel:[1,0,0] op_sel_hi:[0,1,0]
	s_delay_alu instid0(VALU_DEP_1) | instskip(SKIP_1) | instid1(VALU_DEP_2)
	v_mov_b32_e32 v9, v5
	v_pk_mul_f32 v[4:5], v[6:7], v[2:3] op_sel:[0,1]
	v_pk_add_f32 v[70:71], v[70:71], v[8:9] neg_lo:[0,1] neg_hi:[0,1]
	s_delay_alu instid0(VALU_DEP_2) | instskip(SKIP_1) | instid1(VALU_DEP_1)
	v_pk_fma_f32 v[8:9], v[6:7], v[0:1], v[4:5] op_sel:[0,0,1] op_sel_hi:[1,1,0] neg_lo:[0,0,1] neg_hi:[0,0,1]
	v_pk_fma_f32 v[4:5], v[6:7], v[0:1], v[4:5] op_sel:[0,0,1] op_sel_hi:[1,0,0]
	v_mov_b32_e32 v9, v5
	ds_load_2addr_b64 v[4:7], v80 offset0:21 offset1:22
	v_pk_add_f32 v[94:95], v[94:95], v[8:9] neg_lo:[0,1] neg_hi:[0,1]
	s_wait_dscnt 0x0
	v_pk_mul_f32 v[8:9], v[4:5], v[2:3] op_sel:[0,1]
	s_delay_alu instid0(VALU_DEP_1) | instskip(SKIP_1) | instid1(VALU_DEP_1)
	v_pk_fma_f32 v[10:11], v[4:5], v[0:1], v[8:9] op_sel:[0,0,1] op_sel_hi:[1,1,0] neg_lo:[0,0,1] neg_hi:[0,0,1]
	v_pk_fma_f32 v[4:5], v[4:5], v[0:1], v[8:9] op_sel:[0,0,1] op_sel_hi:[1,0,0]
	v_mov_b32_e32 v11, v5
	v_pk_mul_f32 v[4:5], v[6:7], v[2:3] op_sel:[0,1]
	s_delay_alu instid0(VALU_DEP_2) | instskip(NEXT) | instid1(VALU_DEP_2)
	v_pk_add_f32 v[90:91], v[90:91], v[10:11] neg_lo:[0,1] neg_hi:[0,1]
	v_pk_fma_f32 v[8:9], v[6:7], v[0:1], v[4:5] op_sel:[0,0,1] op_sel_hi:[1,1,0] neg_lo:[0,0,1] neg_hi:[0,0,1]
	v_pk_fma_f32 v[4:5], v[6:7], v[0:1], v[4:5] op_sel:[0,0,1] op_sel_hi:[1,0,0]
	s_delay_alu instid0(VALU_DEP_1) | instskip(SKIP_4) | instid1(VALU_DEP_1)
	v_mov_b32_e32 v9, v5
	ds_load_2addr_b64 v[4:7], v80 offset0:23 offset1:24
	v_pk_add_f32 v[92:93], v[92:93], v[8:9] neg_lo:[0,1] neg_hi:[0,1]
	s_wait_dscnt 0x0
	v_pk_mul_f32 v[8:9], v[4:5], v[2:3] op_sel:[0,1]
	v_pk_fma_f32 v[10:11], v[4:5], v[0:1], v[8:9] op_sel:[0,0,1] op_sel_hi:[1,1,0] neg_lo:[0,0,1] neg_hi:[0,0,1]
	v_pk_fma_f32 v[4:5], v[4:5], v[0:1], v[8:9] op_sel:[0,0,1] op_sel_hi:[1,0,0]
	v_dual_mul_f32 v8, v7, v3 :: v_dual_mov_b32 v4, v7
	s_delay_alu instid0(VALU_DEP_2) | instskip(NEXT) | instid1(VALU_DEP_2)
	v_dual_mov_b32 v11, v5 :: v_dual_mov_b32 v5, v6
	v_pk_fma_f32 v[8:9], v[6:7], v[34:35], v[8:9] op_sel_hi:[1,1,0] neg_lo:[0,0,1] neg_hi:[0,0,1]
	v_mul_f32_e32 v6, v7, v0
	s_delay_alu instid0(VALU_DEP_3) | instskip(NEXT) | instid1(VALU_DEP_2)
	v_pk_add_f32 v[88:89], v[88:89], v[10:11] neg_lo:[0,1] neg_hi:[0,1]
	v_pk_fma_f32 v[4:5], v[4:5], v[34:35], v[6:7] op_sel_hi:[1,1,0]
	s_delay_alu instid0(VALU_DEP_1) | instskip(SKIP_4) | instid1(VALU_DEP_1)
	v_mov_b32_e32 v9, v5
	ds_load_2addr_b64 v[4:7], v80 offset0:25 offset1:26
	v_pk_add_f32 v[112:113], v[112:113], v[8:9] neg_lo:[0,1] neg_hi:[0,1]
	s_wait_dscnt 0x0
	v_pk_mul_f32 v[8:9], v[4:5], v[2:3] op_sel:[0,1]
	v_pk_fma_f32 v[10:11], v[4:5], v[0:1], v[8:9] op_sel:[0,0,1] op_sel_hi:[1,1,0] neg_lo:[0,0,1] neg_hi:[0,0,1]
	v_pk_fma_f32 v[4:5], v[4:5], v[0:1], v[8:9] op_sel:[0,0,1] op_sel_hi:[1,0,0]
	s_delay_alu instid0(VALU_DEP_1) | instskip(SKIP_1) | instid1(VALU_DEP_1)
	v_mov_b32_e32 v11, v5
	v_pk_mul_f32 v[4:5], v[6:7], v[2:3] op_sel:[0,1]
	v_pk_fma_f32 v[8:9], v[6:7], v[0:1], v[4:5] op_sel:[0,0,1] op_sel_hi:[1,1,0] neg_lo:[0,0,1] neg_hi:[0,0,1]
	v_pk_fma_f32 v[4:5], v[6:7], v[0:1], v[4:5] op_sel:[0,0,1] op_sel_hi:[1,0,0]
	s_delay_alu instid0(VALU_DEP_1)
	v_mov_b32_e32 v9, v5
	ds_load_2addr_b64 v[4:7], v80 offset0:27 offset1:28
	v_pk_add_f32 v[108:109], v[108:109], v[10:11] neg_lo:[0,1] neg_hi:[0,1]
	v_pk_add_f32 v[110:111], v[110:111], v[8:9] neg_lo:[0,1] neg_hi:[0,1]
	s_wait_dscnt 0x0
	v_pk_mul_f32 v[8:9], v[4:5], v[2:3] op_sel:[0,1]
	s_delay_alu instid0(VALU_DEP_1) | instskip(SKIP_1) | instid1(VALU_DEP_1)
	v_pk_fma_f32 v[10:11], v[4:5], v[0:1], v[8:9] op_sel:[0,0,1] op_sel_hi:[1,1,0] neg_lo:[0,0,1] neg_hi:[0,0,1]
	v_pk_fma_f32 v[4:5], v[4:5], v[0:1], v[8:9] op_sel:[0,0,1] op_sel_hi:[1,0,0]
	v_mov_b32_e32 v11, v5
	v_pk_mul_f32 v[4:5], v[6:7], v[2:3] op_sel:[0,1]
	s_delay_alu instid0(VALU_DEP_1) | instskip(SKIP_1) | instid1(VALU_DEP_1)
	v_pk_fma_f32 v[8:9], v[6:7], v[0:1], v[4:5] op_sel:[0,0,1] op_sel_hi:[1,1,0] neg_lo:[0,0,1] neg_hi:[0,0,1]
	v_pk_fma_f32 v[4:5], v[6:7], v[0:1], v[4:5] op_sel:[0,0,1] op_sel_hi:[1,0,0]
	v_mov_b32_e32 v9, v5
	ds_load_2addr_b64 v[4:7], v80 offset0:29 offset1:30
	v_pk_add_f32 v[106:107], v[106:107], v[10:11] neg_lo:[0,1] neg_hi:[0,1]
	v_pk_add_f32 v[128:129], v[128:129], v[8:9] neg_lo:[0,1] neg_hi:[0,1]
	s_wait_dscnt 0x0
	v_dual_mul_f32 v8, v5, v3 :: v_dual_mul_f32 v10, v5, v0
	s_delay_alu instid0(VALU_DEP_1) | instskip(NEXT) | instid1(VALU_DEP_2)
	v_pk_fma_f32 v[8:9], v[4:5], v[34:35], v[8:9] op_sel_hi:[1,1,0] neg_lo:[0,0,1] neg_hi:[0,0,1]
	v_pk_fma_f32 v[4:5], v[4:5], v[34:35], v[10:11] op_sel:[1,0,0] op_sel_hi:[0,1,0]
	s_delay_alu instid0(VALU_DEP_1) | instskip(SKIP_1) | instid1(VALU_DEP_2)
	v_mov_b32_e32 v9, v5
	v_pk_mul_f32 v[4:5], v[6:7], v[2:3] op_sel:[0,1]
	v_pk_add_f32 v[124:125], v[124:125], v[8:9] neg_lo:[0,1] neg_hi:[0,1]
	s_delay_alu instid0(VALU_DEP_2) | instskip(SKIP_1) | instid1(VALU_DEP_1)
	v_pk_fma_f32 v[8:9], v[6:7], v[0:1], v[4:5] op_sel:[0,0,1] op_sel_hi:[1,1,0] neg_lo:[0,0,1] neg_hi:[0,0,1]
	v_pk_fma_f32 v[4:5], v[6:7], v[0:1], v[4:5] op_sel:[0,0,1] op_sel_hi:[1,0,0]
	v_mov_b32_e32 v9, v5
	ds_load_2addr_b64 v[4:7], v80 offset0:31 offset1:32
	v_pk_add_f32 v[126:127], v[126:127], v[8:9] neg_lo:[0,1] neg_hi:[0,1]
	s_wait_dscnt 0x0
	v_pk_mul_f32 v[8:9], v[4:5], v[2:3] op_sel:[0,1]
	s_delay_alu instid0(VALU_DEP_1) | instskip(SKIP_1) | instid1(VALU_DEP_1)
	v_pk_fma_f32 v[10:11], v[4:5], v[0:1], v[8:9] op_sel:[0,0,1] op_sel_hi:[1,1,0] neg_lo:[0,0,1] neg_hi:[0,0,1]
	v_pk_fma_f32 v[4:5], v[4:5], v[0:1], v[8:9] op_sel:[0,0,1] op_sel_hi:[1,0,0]
	v_mov_b32_e32 v11, v5
	v_pk_mul_f32 v[4:5], v[6:7], v[2:3] op_sel:[0,1]
	s_delay_alu instid0(VALU_DEP_2) | instskip(NEXT) | instid1(VALU_DEP_2)
	v_pk_add_f32 v[122:123], v[122:123], v[10:11] neg_lo:[0,1] neg_hi:[0,1]
	v_pk_fma_f32 v[8:9], v[6:7], v[0:1], v[4:5] op_sel:[0,0,1] op_sel_hi:[1,1,0] neg_lo:[0,0,1] neg_hi:[0,0,1]
	v_pk_fma_f32 v[4:5], v[6:7], v[0:1], v[4:5] op_sel:[0,0,1] op_sel_hi:[1,0,0]
	s_delay_alu instid0(VALU_DEP_1) | instskip(SKIP_4) | instid1(VALU_DEP_1)
	v_mov_b32_e32 v9, v5
	ds_load_2addr_b64 v[4:7], v80 offset0:33 offset1:34
	v_pk_add_f32 v[144:145], v[144:145], v[8:9] neg_lo:[0,1] neg_hi:[0,1]
	s_wait_dscnt 0x0
	v_pk_mul_f32 v[8:9], v[4:5], v[2:3] op_sel:[0,1]
	v_pk_fma_f32 v[10:11], v[4:5], v[0:1], v[8:9] op_sel:[0,0,1] op_sel_hi:[1,1,0] neg_lo:[0,0,1] neg_hi:[0,0,1]
	v_pk_fma_f32 v[4:5], v[4:5], v[0:1], v[8:9] op_sel:[0,0,1] op_sel_hi:[1,0,0]
	v_dual_mul_f32 v8, v7, v3 :: v_dual_mov_b32 v4, v7
	s_delay_alu instid0(VALU_DEP_2) | instskip(NEXT) | instid1(VALU_DEP_2)
	v_dual_mov_b32 v11, v5 :: v_dual_mov_b32 v5, v6
	v_pk_fma_f32 v[8:9], v[6:7], v[34:35], v[8:9] op_sel_hi:[1,1,0] neg_lo:[0,0,1] neg_hi:[0,0,1]
	v_mul_f32_e32 v6, v7, v0
	s_delay_alu instid0(VALU_DEP_3) | instskip(NEXT) | instid1(VALU_DEP_2)
	v_pk_add_f32 v[140:141], v[140:141], v[10:11] neg_lo:[0,1] neg_hi:[0,1]
	v_pk_fma_f32 v[4:5], v[4:5], v[34:35], v[6:7] op_sel_hi:[1,1,0]
	s_delay_alu instid0(VALU_DEP_1) | instskip(SKIP_4) | instid1(VALU_DEP_1)
	v_mov_b32_e32 v9, v5
	ds_load_2addr_b64 v[4:7], v80 offset0:35 offset1:36
	v_pk_add_f32 v[142:143], v[142:143], v[8:9] neg_lo:[0,1] neg_hi:[0,1]
	s_wait_dscnt 0x0
	v_pk_mul_f32 v[8:9], v[4:5], v[2:3] op_sel:[0,1]
	v_pk_fma_f32 v[10:11], v[4:5], v[0:1], v[8:9] op_sel:[0,0,1] op_sel_hi:[1,1,0] neg_lo:[0,0,1] neg_hi:[0,0,1]
	v_pk_fma_f32 v[4:5], v[4:5], v[0:1], v[8:9] op_sel:[0,0,1] op_sel_hi:[1,0,0]
	s_delay_alu instid0(VALU_DEP_1) | instskip(SKIP_1) | instid1(VALU_DEP_1)
	v_mov_b32_e32 v11, v5
	v_pk_mul_f32 v[4:5], v[6:7], v[2:3] op_sel:[0,1]
	v_pk_fma_f32 v[8:9], v[6:7], v[0:1], v[4:5] op_sel:[0,0,1] op_sel_hi:[1,1,0] neg_lo:[0,0,1] neg_hi:[0,0,1]
	v_pk_fma_f32 v[4:5], v[6:7], v[0:1], v[4:5] op_sel:[0,0,1] op_sel_hi:[1,0,0]
	s_delay_alu instid0(VALU_DEP_1)
	v_mov_b32_e32 v9, v5
	ds_load_2addr_b64 v[4:7], v80 offset0:37 offset1:38
	v_pk_add_f32 v[138:139], v[138:139], v[10:11] neg_lo:[0,1] neg_hi:[0,1]
	v_pk_add_f32 v[166:167], v[166:167], v[8:9] neg_lo:[0,1] neg_hi:[0,1]
	s_wait_dscnt 0x0
	v_pk_mul_f32 v[8:9], v[4:5], v[2:3] op_sel:[0,1]
	s_delay_alu instid0(VALU_DEP_1) | instskip(SKIP_1) | instid1(VALU_DEP_1)
	v_pk_fma_f32 v[10:11], v[4:5], v[0:1], v[8:9] op_sel:[0,0,1] op_sel_hi:[1,1,0] neg_lo:[0,0,1] neg_hi:[0,0,1]
	v_pk_fma_f32 v[4:5], v[4:5], v[0:1], v[8:9] op_sel:[0,0,1] op_sel_hi:[1,0,0]
	v_mov_b32_e32 v11, v5
	v_pk_mul_f32 v[4:5], v[6:7], v[2:3] op_sel:[0,1]
	s_delay_alu instid0(VALU_DEP_1) | instskip(SKIP_1) | instid1(VALU_DEP_1)
	v_pk_fma_f32 v[8:9], v[6:7], v[0:1], v[4:5] op_sel:[0,0,1] op_sel_hi:[1,1,0] neg_lo:[0,0,1] neg_hi:[0,0,1]
	v_pk_fma_f32 v[4:5], v[6:7], v[0:1], v[4:5] op_sel:[0,0,1] op_sel_hi:[1,0,0]
	v_mov_b32_e32 v9, v5
	ds_load_2addr_b64 v[4:7], v80 offset0:39 offset1:40
	v_pk_add_f32 v[162:163], v[162:163], v[10:11] neg_lo:[0,1] neg_hi:[0,1]
	v_pk_add_f32 v[164:165], v[164:165], v[8:9] neg_lo:[0,1] neg_hi:[0,1]
	s_wait_dscnt 0x0
	v_dual_mul_f32 v8, v5, v3 :: v_dual_mul_f32 v10, v5, v0
	s_delay_alu instid0(VALU_DEP_1) | instskip(NEXT) | instid1(VALU_DEP_2)
	v_pk_fma_f32 v[8:9], v[4:5], v[34:35], v[8:9] op_sel_hi:[1,1,0] neg_lo:[0,0,1] neg_hi:[0,0,1]
	v_pk_fma_f32 v[4:5], v[4:5], v[34:35], v[10:11] op_sel:[1,0,0] op_sel_hi:[0,1,0]
	s_delay_alu instid0(VALU_DEP_1) | instskip(SKIP_1) | instid1(VALU_DEP_2)
	v_mov_b32_e32 v9, v5
	v_pk_mul_f32 v[4:5], v[6:7], v[2:3] op_sel:[0,1]
	v_pk_add_f32 v[160:161], v[160:161], v[8:9] neg_lo:[0,1] neg_hi:[0,1]
	s_delay_alu instid0(VALU_DEP_2) | instskip(SKIP_1) | instid1(VALU_DEP_1)
	v_pk_fma_f32 v[8:9], v[6:7], v[0:1], v[4:5] op_sel:[0,0,1] op_sel_hi:[1,1,0] neg_lo:[0,0,1] neg_hi:[0,0,1]
	v_pk_fma_f32 v[4:5], v[6:7], v[0:1], v[4:5] op_sel:[0,0,1] op_sel_hi:[1,0,0]
	v_mov_b32_e32 v9, v5
	ds_load_2addr_b64 v[4:7], v80 offset0:41 offset1:42
	v_pk_add_f32 v[192:193], v[192:193], v[8:9] neg_lo:[0,1] neg_hi:[0,1]
	s_wait_dscnt 0x0
	v_pk_mul_f32 v[8:9], v[4:5], v[2:3] op_sel:[0,1]
	s_delay_alu instid0(VALU_DEP_1) | instskip(SKIP_1) | instid1(VALU_DEP_1)
	v_pk_fma_f32 v[10:11], v[4:5], v[0:1], v[8:9] op_sel:[0,0,1] op_sel_hi:[1,1,0] neg_lo:[0,0,1] neg_hi:[0,0,1]
	v_pk_fma_f32 v[4:5], v[4:5], v[0:1], v[8:9] op_sel:[0,0,1] op_sel_hi:[1,0,0]
	v_mov_b32_e32 v11, v5
	v_pk_mul_f32 v[4:5], v[6:7], v[2:3] op_sel:[0,1]
	s_delay_alu instid0(VALU_DEP_2) | instskip(NEXT) | instid1(VALU_DEP_2)
	v_pk_add_f32 v[184:185], v[184:185], v[10:11] neg_lo:[0,1] neg_hi:[0,1]
	v_pk_fma_f32 v[8:9], v[6:7], v[0:1], v[4:5] op_sel:[0,0,1] op_sel_hi:[1,1,0] neg_lo:[0,0,1] neg_hi:[0,0,1]
	v_pk_fma_f32 v[4:5], v[6:7], v[0:1], v[4:5] op_sel:[0,0,1] op_sel_hi:[1,0,0]
	s_delay_alu instid0(VALU_DEP_1) | instskip(SKIP_4) | instid1(VALU_DEP_1)
	v_mov_b32_e32 v9, v5
	ds_load_2addr_b64 v[4:7], v80 offset0:43 offset1:44
	v_pk_add_f32 v[190:191], v[190:191], v[8:9] neg_lo:[0,1] neg_hi:[0,1]
	s_wait_dscnt 0x0
	v_pk_mul_f32 v[8:9], v[4:5], v[2:3] op_sel:[0,1]
	v_pk_fma_f32 v[10:11], v[4:5], v[0:1], v[8:9] op_sel:[0,0,1] op_sel_hi:[1,1,0] neg_lo:[0,0,1] neg_hi:[0,0,1]
	v_pk_fma_f32 v[4:5], v[4:5], v[0:1], v[8:9] op_sel:[0,0,1] op_sel_hi:[1,0,0]
	v_dual_mul_f32 v8, v7, v3 :: v_dual_mov_b32 v4, v7
	s_delay_alu instid0(VALU_DEP_2) | instskip(NEXT) | instid1(VALU_DEP_2)
	v_dual_mov_b32 v11, v5 :: v_dual_mov_b32 v5, v6
	v_pk_fma_f32 v[8:9], v[6:7], v[34:35], v[8:9] op_sel_hi:[1,1,0] neg_lo:[0,0,1] neg_hi:[0,0,1]
	v_mul_f32_e32 v6, v7, v0
	s_delay_alu instid0(VALU_DEP_3) | instskip(NEXT) | instid1(VALU_DEP_2)
	v_pk_add_f32 v[182:183], v[182:183], v[10:11] neg_lo:[0,1] neg_hi:[0,1]
	v_pk_fma_f32 v[4:5], v[4:5], v[34:35], v[6:7] op_sel_hi:[1,1,0]
	s_delay_alu instid0(VALU_DEP_1) | instskip(SKIP_4) | instid1(VALU_DEP_1)
	v_mov_b32_e32 v9, v5
	ds_load_2addr_b64 v[4:7], v80 offset0:45 offset1:46
	v_pk_add_f32 v[188:189], v[188:189], v[8:9] neg_lo:[0,1] neg_hi:[0,1]
	s_wait_dscnt 0x0
	v_pk_mul_f32 v[8:9], v[4:5], v[2:3] op_sel:[0,1]
	v_pk_fma_f32 v[10:11], v[4:5], v[0:1], v[8:9] op_sel:[0,0,1] op_sel_hi:[1,1,0] neg_lo:[0,0,1] neg_hi:[0,0,1]
	v_pk_fma_f32 v[4:5], v[4:5], v[0:1], v[8:9] op_sel:[0,0,1] op_sel_hi:[1,0,0]
	s_delay_alu instid0(VALU_DEP_1) | instskip(SKIP_1) | instid1(VALU_DEP_1)
	v_mov_b32_e32 v11, v5
	v_pk_mul_f32 v[4:5], v[6:7], v[2:3] op_sel:[0,1]
	v_pk_fma_f32 v[8:9], v[6:7], v[0:1], v[4:5] op_sel:[0,0,1] op_sel_hi:[1,1,0] neg_lo:[0,0,1] neg_hi:[0,0,1]
	v_pk_fma_f32 v[4:5], v[6:7], v[0:1], v[4:5] op_sel:[0,0,1] op_sel_hi:[1,0,0]
	s_delay_alu instid0(VALU_DEP_1)
	v_mov_b32_e32 v9, v5
	ds_load_2addr_b64 v[4:7], v80 offset0:47 offset1:48
	v_pk_add_f32 v[180:181], v[180:181], v[10:11] neg_lo:[0,1] neg_hi:[0,1]
	v_pk_add_f32 v[186:187], v[186:187], v[8:9] neg_lo:[0,1] neg_hi:[0,1]
	s_wait_dscnt 0x0
	v_pk_mul_f32 v[8:9], v[4:5], v[2:3] op_sel:[0,1]
	v_pk_mul_f32 v[2:3], v[6:7], v[2:3] op_sel:[0,1]
	s_delay_alu instid0(VALU_DEP_2) | instskip(SKIP_1) | instid1(VALU_DEP_1)
	v_pk_fma_f32 v[10:11], v[4:5], v[0:1], v[8:9] op_sel:[0,0,1] op_sel_hi:[1,1,0] neg_lo:[0,0,1] neg_hi:[0,0,1]
	v_pk_fma_f32 v[4:5], v[4:5], v[0:1], v[8:9] op_sel:[0,0,1] op_sel_hi:[1,0,0]
	v_mov_b32_e32 v11, v5
	s_delay_alu instid0(VALU_DEP_4) | instskip(SKIP_1) | instid1(VALU_DEP_1)
	v_pk_fma_f32 v[4:5], v[6:7], v[0:1], v[2:3] op_sel:[0,0,1] op_sel_hi:[1,1,0] neg_lo:[0,0,1] neg_hi:[0,0,1]
	v_pk_fma_f32 v[0:1], v[6:7], v[0:1], v[2:3] op_sel:[0,0,1] op_sel_hi:[1,0,0]
	v_mov_b32_e32 v5, v1
	s_delay_alu instid0(VALU_DEP_4) | instskip(NEXT) | instid1(VALU_DEP_2)
	v_pk_add_f32 v[194:195], v[194:195], v[10:11] neg_lo:[0,1] neg_hi:[0,1]
	v_pk_add_f32 v[196:197], v[196:197], v[4:5] neg_lo:[0,1] neg_hi:[0,1]
.LBB97_100:
	s_wait_xcnt 0x0
	s_or_b32 exec_lo, exec_lo, s1
	s_delay_alu instid0(SALU_CYCLE_1)
	s_mov_b32 s2, exec_lo
	s_wait_storecnt 0x0
	s_barrier_signal -1
	s_barrier_wait -1
	v_cmpx_eq_u32_e32 11, v78
	s_cbranch_execz .LBB97_107
; %bb.101:
	v_dual_mov_b32 v0, v52 :: v_dual_mov_b32 v1, v53
	v_dual_mov_b32 v2, v48 :: v_dual_mov_b32 v3, v49
	;; [unrolled: 1-line block ×10, first 2 shown]
	ds_store_b64 v79, v[30:31]
	v_dual_mov_b32 v26, v92 :: v_dual_mov_b32 v27, v93
	v_dual_mov_b32 v28, v88 :: v_dual_mov_b32 v29, v89
	ds_store_2addr_b64 v80, v[0:1], v[2:3] offset0:12 offset1:13
	ds_store_2addr_b64 v80, v[4:5], v[6:7] offset0:14 offset1:15
	;; [unrolled: 1-line block ×6, first 2 shown]
	v_dual_mov_b32 v0, v112 :: v_dual_mov_b32 v1, v113
	v_dual_mov_b32 v2, v108 :: v_dual_mov_b32 v3, v109
	;; [unrolled: 1-line block ×12, first 2 shown]
	ds_store_2addr_b64 v80, v[0:1], v[2:3] offset0:24 offset1:25
	ds_store_2addr_b64 v80, v[4:5], v[6:7] offset0:26 offset1:27
	;; [unrolled: 1-line block ×6, first 2 shown]
	v_dual_mov_b32 v0, v166 :: v_dual_mov_b32 v1, v167
	v_dual_mov_b32 v2, v162 :: v_dual_mov_b32 v3, v163
	;; [unrolled: 1-line block ×12, first 2 shown]
	ds_store_2addr_b64 v80, v[0:1], v[2:3] offset0:36 offset1:37
	ds_store_2addr_b64 v80, v[4:5], v[6:7] offset0:38 offset1:39
	;; [unrolled: 1-line block ×6, first 2 shown]
	ds_store_b64 v80, v[196:197] offset:384
	ds_load_b64 v[0:1], v79
	s_wait_dscnt 0x0
	v_cmp_neq_f32_e32 vcc_lo, 0, v0
	v_cmp_neq_f32_e64 s1, 0, v1
	s_or_b32 s1, vcc_lo, s1
	s_delay_alu instid0(SALU_CYCLE_1)
	s_and_b32 exec_lo, exec_lo, s1
	s_cbranch_execz .LBB97_107
; %bb.102:
	v_cmp_ngt_f32_e64 s1, |v0|, |v1|
                                        ; implicit-def: $vgpr2_vgpr3
	s_and_saveexec_b32 s4, s1
	s_delay_alu instid0(SALU_CYCLE_1)
	s_xor_b32 s1, exec_lo, s4
	s_cbranch_execz .LBB97_104
; %bb.103:
	v_div_scale_f32 v2, null, v1, v1, v0
	v_div_scale_f32 v5, vcc_lo, v0, v1, v0
	s_delay_alu instid0(VALU_DEP_2) | instskip(SKIP_1) | instid1(TRANS32_DEP_1)
	v_rcp_f32_e32 v3, v2
	v_nop
	v_fma_f32 v4, -v2, v3, 1.0
	s_delay_alu instid0(VALU_DEP_1) | instskip(NEXT) | instid1(VALU_DEP_1)
	v_fmac_f32_e32 v3, v4, v3
	v_mul_f32_e32 v4, v5, v3
	s_delay_alu instid0(VALU_DEP_1) | instskip(NEXT) | instid1(VALU_DEP_1)
	v_fma_f32 v6, -v2, v4, v5
	v_fmac_f32_e32 v4, v6, v3
	s_delay_alu instid0(VALU_DEP_1) | instskip(NEXT) | instid1(VALU_DEP_1)
	v_fma_f32 v2, -v2, v4, v5
	v_div_fmas_f32 v2, v2, v3, v4
	s_delay_alu instid0(VALU_DEP_1) | instskip(NEXT) | instid1(VALU_DEP_1)
	v_div_fixup_f32 v2, v2, v1, v0
	v_fmac_f32_e32 v1, v0, v2
	s_delay_alu instid0(VALU_DEP_1) | instskip(SKIP_1) | instid1(VALU_DEP_2)
	v_div_scale_f32 v0, null, v1, v1, 1.0
	v_div_scale_f32 v5, vcc_lo, 1.0, v1, 1.0
	v_rcp_f32_e32 v3, v0
	v_nop
	s_delay_alu instid0(TRANS32_DEP_1) | instskip(NEXT) | instid1(VALU_DEP_1)
	v_fma_f32 v4, -v0, v3, 1.0
	v_fmac_f32_e32 v3, v4, v3
	s_delay_alu instid0(VALU_DEP_1) | instskip(NEXT) | instid1(VALU_DEP_1)
	v_mul_f32_e32 v4, v5, v3
	v_fma_f32 v6, -v0, v4, v5
	s_delay_alu instid0(VALU_DEP_1) | instskip(NEXT) | instid1(VALU_DEP_1)
	v_fmac_f32_e32 v4, v6, v3
	v_fma_f32 v0, -v0, v4, v5
	s_delay_alu instid0(VALU_DEP_1) | instskip(NEXT) | instid1(VALU_DEP_1)
	v_div_fmas_f32 v0, v0, v3, v4
	v_div_fixup_f32 v0, v0, v1, 1.0
	s_delay_alu instid0(VALU_DEP_1)
	v_mul_f32_e32 v2, v2, v0
	v_xor_b32_e32 v3, 0x80000000, v0
                                        ; implicit-def: $vgpr0_vgpr1
.LBB97_104:
	s_and_not1_saveexec_b32 s1, s1
	s_cbranch_execz .LBB97_106
; %bb.105:
	v_div_scale_f32 v2, null, v0, v0, v1
	v_div_scale_f32 v5, vcc_lo, v1, v0, v1
	s_delay_alu instid0(VALU_DEP_2) | instskip(SKIP_1) | instid1(TRANS32_DEP_1)
	v_rcp_f32_e32 v3, v2
	v_nop
	v_fma_f32 v4, -v2, v3, 1.0
	s_delay_alu instid0(VALU_DEP_1) | instskip(NEXT) | instid1(VALU_DEP_1)
	v_fmac_f32_e32 v3, v4, v3
	v_mul_f32_e32 v4, v5, v3
	s_delay_alu instid0(VALU_DEP_1) | instskip(NEXT) | instid1(VALU_DEP_1)
	v_fma_f32 v6, -v2, v4, v5
	v_fmac_f32_e32 v4, v6, v3
	s_delay_alu instid0(VALU_DEP_1) | instskip(NEXT) | instid1(VALU_DEP_1)
	v_fma_f32 v2, -v2, v4, v5
	v_div_fmas_f32 v2, v2, v3, v4
	s_delay_alu instid0(VALU_DEP_1) | instskip(NEXT) | instid1(VALU_DEP_1)
	v_div_fixup_f32 v3, v2, v0, v1
	v_fmac_f32_e32 v0, v1, v3
	s_delay_alu instid0(VALU_DEP_1) | instskip(NEXT) | instid1(VALU_DEP_1)
	v_div_scale_f32 v1, null, v0, v0, 1.0
	v_rcp_f32_e32 v2, v1
	v_nop
	s_delay_alu instid0(TRANS32_DEP_1) | instskip(NEXT) | instid1(VALU_DEP_1)
	v_fma_f32 v4, -v1, v2, 1.0
	v_fmac_f32_e32 v2, v4, v2
	v_div_scale_f32 v4, vcc_lo, 1.0, v0, 1.0
	s_delay_alu instid0(VALU_DEP_1) | instskip(NEXT) | instid1(VALU_DEP_1)
	v_mul_f32_e32 v5, v4, v2
	v_fma_f32 v6, -v1, v5, v4
	s_delay_alu instid0(VALU_DEP_1) | instskip(NEXT) | instid1(VALU_DEP_1)
	v_fmac_f32_e32 v5, v6, v2
	v_fma_f32 v1, -v1, v5, v4
	s_delay_alu instid0(VALU_DEP_1) | instskip(NEXT) | instid1(VALU_DEP_1)
	v_div_fmas_f32 v1, v1, v2, v5
	v_div_fixup_f32 v2, v1, v0, 1.0
	s_delay_alu instid0(VALU_DEP_1)
	v_mul_f32_e64 v3, v3, -v2
.LBB97_106:
	s_or_b32 exec_lo, exec_lo, s1
	ds_store_b64 v79, v[2:3]
.LBB97_107:
	s_or_b32 exec_lo, exec_lo, s2
	s_wait_dscnt 0x0
	s_barrier_signal -1
	s_barrier_wait -1
	ds_load_b64 v[0:1], v79
	s_mov_b32 s1, exec_lo
	s_wait_dscnt 0x0
	scratch_store_b64 off, v[0:1], off offset:56 ; 8-byte Folded Spill
	s_wait_xcnt 0x0
	v_cmpx_lt_u32_e32 11, v78
	s_cbranch_execz .LBB97_109
; %bb.108:
	scratch_load_b64 v[4:5], off, off offset:56 ; 8-byte Folded Reload
	s_wait_loadcnt 0x0
	v_pk_mul_f32 v[2:3], v[4:5], v[30:31] op_sel:[1,1] op_sel_hi:[0,1]
	s_delay_alu instid0(VALU_DEP_1)
	v_pk_fma_f32 v[0:1], v[4:5], v[30:31], v[2:3] op_sel_hi:[1,0,1] neg_lo:[0,0,1] neg_hi:[0,0,1]
	v_pk_fma_f32 v[2:3], v[4:5], v[30:31], v[2:3] op_sel_hi:[1,0,1]
	ds_load_2addr_b64 v[4:7], v80 offset0:12 offset1:13
	v_dual_mov_b32 v30, v0 :: v_dual_mov_b32 v31, v3
	s_wait_dscnt 0x0
	v_pk_mul_f32 v[8:9], v[4:5], v[2:3] op_sel:[0,1]
	s_delay_alu instid0(VALU_DEP_1) | instskip(SKIP_1) | instid1(VALU_DEP_1)
	v_pk_fma_f32 v[10:11], v[4:5], v[0:1], v[8:9] op_sel:[0,0,1] op_sel_hi:[1,1,0] neg_lo:[0,0,1] neg_hi:[0,0,1]
	v_pk_fma_f32 v[4:5], v[4:5], v[0:1], v[8:9] op_sel:[0,0,1] op_sel_hi:[1,0,0]
	v_mov_b32_e32 v11, v5
	v_pk_mul_f32 v[4:5], v[6:7], v[2:3] op_sel:[0,1]
	s_delay_alu instid0(VALU_DEP_1) | instskip(SKIP_1) | instid1(VALU_DEP_1)
	v_pk_fma_f32 v[8:9], v[6:7], v[0:1], v[4:5] op_sel:[0,0,1] op_sel_hi:[1,1,0] neg_lo:[0,0,1] neg_hi:[0,0,1]
	v_pk_fma_f32 v[4:5], v[6:7], v[0:1], v[4:5] op_sel:[0,0,1] op_sel_hi:[1,0,0]
	v_mov_b32_e32 v9, v5
	ds_load_2addr_b64 v[4:7], v80 offset0:14 offset1:15
	v_pk_add_f32 v[52:53], v[52:53], v[10:11] neg_lo:[0,1] neg_hi:[0,1]
	v_pk_add_f32 v[48:49], v[48:49], v[8:9] neg_lo:[0,1] neg_hi:[0,1]
	s_wait_dscnt 0x0
	v_pk_mul_f32 v[8:9], v[4:5], v[2:3] op_sel:[0,1]
	s_delay_alu instid0(VALU_DEP_1) | instskip(SKIP_2) | instid1(VALU_DEP_2)
	v_pk_fma_f32 v[10:11], v[4:5], v[0:1], v[8:9] op_sel:[0,0,1] op_sel_hi:[1,1,0] neg_lo:[0,0,1] neg_hi:[0,0,1]
	v_pk_fma_f32 v[4:5], v[4:5], v[0:1], v[8:9] op_sel:[0,0,1] op_sel_hi:[1,0,0]
	v_dual_mul_f32 v8, v7, v3 :: v_dual_mov_b32 v4, v7
	v_dual_mov_b32 v11, v5 :: v_dual_mov_b32 v5, v6
	s_delay_alu instid0(VALU_DEP_2) | instskip(SKIP_1) | instid1(VALU_DEP_3)
	v_pk_fma_f32 v[8:9], v[6:7], v[30:31], v[8:9] op_sel_hi:[1,1,0] neg_lo:[0,0,1] neg_hi:[0,0,1]
	v_mul_f32_e32 v6, v7, v0
	v_pk_add_f32 v[50:51], v[50:51], v[10:11] neg_lo:[0,1] neg_hi:[0,1]
	s_delay_alu instid0(VALU_DEP_2) | instskip(NEXT) | instid1(VALU_DEP_1)
	v_pk_fma_f32 v[4:5], v[4:5], v[30:31], v[6:7] op_sel_hi:[1,1,0]
	v_mov_b32_e32 v9, v5
	ds_load_2addr_b64 v[4:7], v80 offset0:16 offset1:17
	v_pk_add_f32 v[46:47], v[46:47], v[8:9] neg_lo:[0,1] neg_hi:[0,1]
	s_wait_dscnt 0x0
	v_pk_mul_f32 v[8:9], v[4:5], v[2:3] op_sel:[0,1]
	s_delay_alu instid0(VALU_DEP_1) | instskip(SKIP_1) | instid1(VALU_DEP_1)
	v_pk_fma_f32 v[10:11], v[4:5], v[0:1], v[8:9] op_sel:[0,0,1] op_sel_hi:[1,1,0] neg_lo:[0,0,1] neg_hi:[0,0,1]
	v_pk_fma_f32 v[4:5], v[4:5], v[0:1], v[8:9] op_sel:[0,0,1] op_sel_hi:[1,0,0]
	v_mov_b32_e32 v11, v5
	v_pk_mul_f32 v[4:5], v[6:7], v[2:3] op_sel:[0,1]
	s_delay_alu instid0(VALU_DEP_1) | instskip(SKIP_1) | instid1(VALU_DEP_1)
	v_pk_fma_f32 v[8:9], v[6:7], v[0:1], v[4:5] op_sel:[0,0,1] op_sel_hi:[1,1,0] neg_lo:[0,0,1] neg_hi:[0,0,1]
	v_pk_fma_f32 v[4:5], v[6:7], v[0:1], v[4:5] op_sel:[0,0,1] op_sel_hi:[1,0,0]
	v_mov_b32_e32 v9, v5
	ds_load_2addr_b64 v[4:7], v80 offset0:18 offset1:19
	v_pk_add_f32 v[76:77], v[76:77], v[10:11] neg_lo:[0,1] neg_hi:[0,1]
	v_pk_add_f32 v[72:73], v[72:73], v[8:9] neg_lo:[0,1] neg_hi:[0,1]
	s_wait_dscnt 0x0
	v_pk_mul_f32 v[8:9], v[4:5], v[2:3] op_sel:[0,1]
	s_delay_alu instid0(VALU_DEP_1) | instskip(SKIP_1) | instid1(VALU_DEP_1)
	v_pk_fma_f32 v[10:11], v[4:5], v[0:1], v[8:9] op_sel:[0,0,1] op_sel_hi:[1,1,0] neg_lo:[0,0,1] neg_hi:[0,0,1]
	v_pk_fma_f32 v[4:5], v[4:5], v[0:1], v[8:9] op_sel:[0,0,1] op_sel_hi:[1,0,0]
	v_mov_b32_e32 v11, v5
	v_pk_mul_f32 v[4:5], v[6:7], v[2:3] op_sel:[0,1]
	s_delay_alu instid0(VALU_DEP_1) | instskip(SKIP_1) | instid1(VALU_DEP_1)
	v_pk_fma_f32 v[8:9], v[6:7], v[0:1], v[4:5] op_sel:[0,0,1] op_sel_hi:[1,1,0] neg_lo:[0,0,1] neg_hi:[0,0,1]
	v_pk_fma_f32 v[4:5], v[6:7], v[0:1], v[4:5] op_sel:[0,0,1] op_sel_hi:[1,0,0]
	v_mov_b32_e32 v9, v5
	ds_load_2addr_b64 v[4:7], v80 offset0:20 offset1:21
	v_pk_add_f32 v[74:75], v[74:75], v[10:11] neg_lo:[0,1] neg_hi:[0,1]
	v_pk_add_f32 v[70:71], v[70:71], v[8:9] neg_lo:[0,1] neg_hi:[0,1]
	s_wait_dscnt 0x0
	v_dual_mul_f32 v8, v5, v3 :: v_dual_mul_f32 v10, v5, v0
	s_delay_alu instid0(VALU_DEP_1) | instskip(NEXT) | instid1(VALU_DEP_2)
	v_pk_fma_f32 v[8:9], v[4:5], v[30:31], v[8:9] op_sel_hi:[1,1,0] neg_lo:[0,0,1] neg_hi:[0,0,1]
	v_pk_fma_f32 v[4:5], v[4:5], v[30:31], v[10:11] op_sel:[1,0,0] op_sel_hi:[0,1,0]
	s_delay_alu instid0(VALU_DEP_1) | instskip(SKIP_1) | instid1(VALU_DEP_2)
	v_mov_b32_e32 v9, v5
	v_pk_mul_f32 v[4:5], v[6:7], v[2:3] op_sel:[0,1]
	v_pk_add_f32 v[94:95], v[94:95], v[8:9] neg_lo:[0,1] neg_hi:[0,1]
	s_delay_alu instid0(VALU_DEP_2) | instskip(SKIP_1) | instid1(VALU_DEP_1)
	v_pk_fma_f32 v[8:9], v[6:7], v[0:1], v[4:5] op_sel:[0,0,1] op_sel_hi:[1,1,0] neg_lo:[0,0,1] neg_hi:[0,0,1]
	v_pk_fma_f32 v[4:5], v[6:7], v[0:1], v[4:5] op_sel:[0,0,1] op_sel_hi:[1,0,0]
	v_mov_b32_e32 v9, v5
	ds_load_2addr_b64 v[4:7], v80 offset0:22 offset1:23
	v_pk_add_f32 v[90:91], v[90:91], v[8:9] neg_lo:[0,1] neg_hi:[0,1]
	s_wait_dscnt 0x0
	v_pk_mul_f32 v[8:9], v[4:5], v[2:3] op_sel:[0,1]
	s_delay_alu instid0(VALU_DEP_1) | instskip(SKIP_1) | instid1(VALU_DEP_1)
	v_pk_fma_f32 v[10:11], v[4:5], v[0:1], v[8:9] op_sel:[0,0,1] op_sel_hi:[1,1,0] neg_lo:[0,0,1] neg_hi:[0,0,1]
	v_pk_fma_f32 v[4:5], v[4:5], v[0:1], v[8:9] op_sel:[0,0,1] op_sel_hi:[1,0,0]
	v_mov_b32_e32 v11, v5
	v_pk_mul_f32 v[4:5], v[6:7], v[2:3] op_sel:[0,1]
	s_delay_alu instid0(VALU_DEP_2) | instskip(NEXT) | instid1(VALU_DEP_2)
	v_pk_add_f32 v[92:93], v[92:93], v[10:11] neg_lo:[0,1] neg_hi:[0,1]
	v_pk_fma_f32 v[8:9], v[6:7], v[0:1], v[4:5] op_sel:[0,0,1] op_sel_hi:[1,1,0] neg_lo:[0,0,1] neg_hi:[0,0,1]
	v_pk_fma_f32 v[4:5], v[6:7], v[0:1], v[4:5] op_sel:[0,0,1] op_sel_hi:[1,0,0]
	s_delay_alu instid0(VALU_DEP_1) | instskip(SKIP_4) | instid1(VALU_DEP_1)
	v_mov_b32_e32 v9, v5
	ds_load_2addr_b64 v[4:7], v80 offset0:24 offset1:25
	v_pk_add_f32 v[88:89], v[88:89], v[8:9] neg_lo:[0,1] neg_hi:[0,1]
	s_wait_dscnt 0x0
	v_pk_mul_f32 v[8:9], v[4:5], v[2:3] op_sel:[0,1]
	v_pk_fma_f32 v[10:11], v[4:5], v[0:1], v[8:9] op_sel:[0,0,1] op_sel_hi:[1,1,0] neg_lo:[0,0,1] neg_hi:[0,0,1]
	v_pk_fma_f32 v[4:5], v[4:5], v[0:1], v[8:9] op_sel:[0,0,1] op_sel_hi:[1,0,0]
	v_dual_mul_f32 v8, v7, v3 :: v_dual_mov_b32 v4, v7
	s_delay_alu instid0(VALU_DEP_2) | instskip(NEXT) | instid1(VALU_DEP_2)
	v_dual_mov_b32 v11, v5 :: v_dual_mov_b32 v5, v6
	v_pk_fma_f32 v[8:9], v[6:7], v[30:31], v[8:9] op_sel_hi:[1,1,0] neg_lo:[0,0,1] neg_hi:[0,0,1]
	v_mul_f32_e32 v6, v7, v0
	s_delay_alu instid0(VALU_DEP_3) | instskip(NEXT) | instid1(VALU_DEP_2)
	v_pk_add_f32 v[112:113], v[112:113], v[10:11] neg_lo:[0,1] neg_hi:[0,1]
	v_pk_fma_f32 v[4:5], v[4:5], v[30:31], v[6:7] op_sel_hi:[1,1,0]
	s_delay_alu instid0(VALU_DEP_1) | instskip(SKIP_4) | instid1(VALU_DEP_1)
	v_mov_b32_e32 v9, v5
	ds_load_2addr_b64 v[4:7], v80 offset0:26 offset1:27
	v_pk_add_f32 v[108:109], v[108:109], v[8:9] neg_lo:[0,1] neg_hi:[0,1]
	s_wait_dscnt 0x0
	v_pk_mul_f32 v[8:9], v[4:5], v[2:3] op_sel:[0,1]
	v_pk_fma_f32 v[10:11], v[4:5], v[0:1], v[8:9] op_sel:[0,0,1] op_sel_hi:[1,1,0] neg_lo:[0,0,1] neg_hi:[0,0,1]
	v_pk_fma_f32 v[4:5], v[4:5], v[0:1], v[8:9] op_sel:[0,0,1] op_sel_hi:[1,0,0]
	s_delay_alu instid0(VALU_DEP_1) | instskip(SKIP_1) | instid1(VALU_DEP_1)
	v_mov_b32_e32 v11, v5
	v_pk_mul_f32 v[4:5], v[6:7], v[2:3] op_sel:[0,1]
	v_pk_fma_f32 v[8:9], v[6:7], v[0:1], v[4:5] op_sel:[0,0,1] op_sel_hi:[1,1,0] neg_lo:[0,0,1] neg_hi:[0,0,1]
	v_pk_fma_f32 v[4:5], v[6:7], v[0:1], v[4:5] op_sel:[0,0,1] op_sel_hi:[1,0,0]
	s_delay_alu instid0(VALU_DEP_1)
	v_mov_b32_e32 v9, v5
	ds_load_2addr_b64 v[4:7], v80 offset0:28 offset1:29
	v_pk_add_f32 v[110:111], v[110:111], v[10:11] neg_lo:[0,1] neg_hi:[0,1]
	v_pk_add_f32 v[106:107], v[106:107], v[8:9] neg_lo:[0,1] neg_hi:[0,1]
	s_wait_dscnt 0x0
	v_pk_mul_f32 v[8:9], v[4:5], v[2:3] op_sel:[0,1]
	s_delay_alu instid0(VALU_DEP_1) | instskip(SKIP_1) | instid1(VALU_DEP_1)
	v_pk_fma_f32 v[10:11], v[4:5], v[0:1], v[8:9] op_sel:[0,0,1] op_sel_hi:[1,1,0] neg_lo:[0,0,1] neg_hi:[0,0,1]
	v_pk_fma_f32 v[4:5], v[4:5], v[0:1], v[8:9] op_sel:[0,0,1] op_sel_hi:[1,0,0]
	v_mov_b32_e32 v11, v5
	v_pk_mul_f32 v[4:5], v[6:7], v[2:3] op_sel:[0,1]
	s_delay_alu instid0(VALU_DEP_1) | instskip(SKIP_1) | instid1(VALU_DEP_1)
	v_pk_fma_f32 v[8:9], v[6:7], v[0:1], v[4:5] op_sel:[0,0,1] op_sel_hi:[1,1,0] neg_lo:[0,0,1] neg_hi:[0,0,1]
	v_pk_fma_f32 v[4:5], v[6:7], v[0:1], v[4:5] op_sel:[0,0,1] op_sel_hi:[1,0,0]
	v_mov_b32_e32 v9, v5
	ds_load_2addr_b64 v[4:7], v80 offset0:30 offset1:31
	v_pk_add_f32 v[128:129], v[128:129], v[10:11] neg_lo:[0,1] neg_hi:[0,1]
	v_pk_add_f32 v[124:125], v[124:125], v[8:9] neg_lo:[0,1] neg_hi:[0,1]
	s_wait_dscnt 0x0
	v_dual_mul_f32 v8, v5, v3 :: v_dual_mul_f32 v10, v5, v0
	s_delay_alu instid0(VALU_DEP_1) | instskip(NEXT) | instid1(VALU_DEP_2)
	v_pk_fma_f32 v[8:9], v[4:5], v[30:31], v[8:9] op_sel_hi:[1,1,0] neg_lo:[0,0,1] neg_hi:[0,0,1]
	v_pk_fma_f32 v[4:5], v[4:5], v[30:31], v[10:11] op_sel:[1,0,0] op_sel_hi:[0,1,0]
	s_delay_alu instid0(VALU_DEP_1) | instskip(SKIP_1) | instid1(VALU_DEP_2)
	v_mov_b32_e32 v9, v5
	v_pk_mul_f32 v[4:5], v[6:7], v[2:3] op_sel:[0,1]
	v_pk_add_f32 v[126:127], v[126:127], v[8:9] neg_lo:[0,1] neg_hi:[0,1]
	s_delay_alu instid0(VALU_DEP_2) | instskip(SKIP_1) | instid1(VALU_DEP_1)
	v_pk_fma_f32 v[8:9], v[6:7], v[0:1], v[4:5] op_sel:[0,0,1] op_sel_hi:[1,1,0] neg_lo:[0,0,1] neg_hi:[0,0,1]
	v_pk_fma_f32 v[4:5], v[6:7], v[0:1], v[4:5] op_sel:[0,0,1] op_sel_hi:[1,0,0]
	v_mov_b32_e32 v9, v5
	ds_load_2addr_b64 v[4:7], v80 offset0:32 offset1:33
	v_pk_add_f32 v[122:123], v[122:123], v[8:9] neg_lo:[0,1] neg_hi:[0,1]
	s_wait_dscnt 0x0
	v_pk_mul_f32 v[8:9], v[4:5], v[2:3] op_sel:[0,1]
	s_delay_alu instid0(VALU_DEP_1) | instskip(SKIP_1) | instid1(VALU_DEP_1)
	v_pk_fma_f32 v[10:11], v[4:5], v[0:1], v[8:9] op_sel:[0,0,1] op_sel_hi:[1,1,0] neg_lo:[0,0,1] neg_hi:[0,0,1]
	v_pk_fma_f32 v[4:5], v[4:5], v[0:1], v[8:9] op_sel:[0,0,1] op_sel_hi:[1,0,0]
	v_mov_b32_e32 v11, v5
	v_pk_mul_f32 v[4:5], v[6:7], v[2:3] op_sel:[0,1]
	s_delay_alu instid0(VALU_DEP_2) | instskip(NEXT) | instid1(VALU_DEP_2)
	v_pk_add_f32 v[144:145], v[144:145], v[10:11] neg_lo:[0,1] neg_hi:[0,1]
	v_pk_fma_f32 v[8:9], v[6:7], v[0:1], v[4:5] op_sel:[0,0,1] op_sel_hi:[1,1,0] neg_lo:[0,0,1] neg_hi:[0,0,1]
	v_pk_fma_f32 v[4:5], v[6:7], v[0:1], v[4:5] op_sel:[0,0,1] op_sel_hi:[1,0,0]
	s_delay_alu instid0(VALU_DEP_1) | instskip(SKIP_4) | instid1(VALU_DEP_1)
	v_mov_b32_e32 v9, v5
	ds_load_2addr_b64 v[4:7], v80 offset0:34 offset1:35
	v_pk_add_f32 v[140:141], v[140:141], v[8:9] neg_lo:[0,1] neg_hi:[0,1]
	s_wait_dscnt 0x0
	v_pk_mul_f32 v[8:9], v[4:5], v[2:3] op_sel:[0,1]
	v_pk_fma_f32 v[10:11], v[4:5], v[0:1], v[8:9] op_sel:[0,0,1] op_sel_hi:[1,1,0] neg_lo:[0,0,1] neg_hi:[0,0,1]
	v_pk_fma_f32 v[4:5], v[4:5], v[0:1], v[8:9] op_sel:[0,0,1] op_sel_hi:[1,0,0]
	v_dual_mul_f32 v8, v7, v3 :: v_dual_mov_b32 v4, v7
	s_delay_alu instid0(VALU_DEP_2) | instskip(NEXT) | instid1(VALU_DEP_2)
	v_dual_mov_b32 v11, v5 :: v_dual_mov_b32 v5, v6
	v_pk_fma_f32 v[8:9], v[6:7], v[30:31], v[8:9] op_sel_hi:[1,1,0] neg_lo:[0,0,1] neg_hi:[0,0,1]
	v_mul_f32_e32 v6, v7, v0
	s_delay_alu instid0(VALU_DEP_3) | instskip(NEXT) | instid1(VALU_DEP_2)
	v_pk_add_f32 v[142:143], v[142:143], v[10:11] neg_lo:[0,1] neg_hi:[0,1]
	v_pk_fma_f32 v[4:5], v[4:5], v[30:31], v[6:7] op_sel_hi:[1,1,0]
	s_delay_alu instid0(VALU_DEP_1) | instskip(SKIP_4) | instid1(VALU_DEP_1)
	v_mov_b32_e32 v9, v5
	ds_load_2addr_b64 v[4:7], v80 offset0:36 offset1:37
	v_pk_add_f32 v[138:139], v[138:139], v[8:9] neg_lo:[0,1] neg_hi:[0,1]
	s_wait_dscnt 0x0
	v_pk_mul_f32 v[8:9], v[4:5], v[2:3] op_sel:[0,1]
	v_pk_fma_f32 v[10:11], v[4:5], v[0:1], v[8:9] op_sel:[0,0,1] op_sel_hi:[1,1,0] neg_lo:[0,0,1] neg_hi:[0,0,1]
	v_pk_fma_f32 v[4:5], v[4:5], v[0:1], v[8:9] op_sel:[0,0,1] op_sel_hi:[1,0,0]
	s_delay_alu instid0(VALU_DEP_1) | instskip(SKIP_1) | instid1(VALU_DEP_1)
	v_mov_b32_e32 v11, v5
	v_pk_mul_f32 v[4:5], v[6:7], v[2:3] op_sel:[0,1]
	v_pk_fma_f32 v[8:9], v[6:7], v[0:1], v[4:5] op_sel:[0,0,1] op_sel_hi:[1,1,0] neg_lo:[0,0,1] neg_hi:[0,0,1]
	v_pk_fma_f32 v[4:5], v[6:7], v[0:1], v[4:5] op_sel:[0,0,1] op_sel_hi:[1,0,0]
	s_delay_alu instid0(VALU_DEP_1)
	v_mov_b32_e32 v9, v5
	ds_load_2addr_b64 v[4:7], v80 offset0:38 offset1:39
	v_pk_add_f32 v[166:167], v[166:167], v[10:11] neg_lo:[0,1] neg_hi:[0,1]
	v_pk_add_f32 v[162:163], v[162:163], v[8:9] neg_lo:[0,1] neg_hi:[0,1]
	s_wait_dscnt 0x0
	v_pk_mul_f32 v[8:9], v[4:5], v[2:3] op_sel:[0,1]
	s_delay_alu instid0(VALU_DEP_1) | instskip(SKIP_1) | instid1(VALU_DEP_1)
	v_pk_fma_f32 v[10:11], v[4:5], v[0:1], v[8:9] op_sel:[0,0,1] op_sel_hi:[1,1,0] neg_lo:[0,0,1] neg_hi:[0,0,1]
	v_pk_fma_f32 v[4:5], v[4:5], v[0:1], v[8:9] op_sel:[0,0,1] op_sel_hi:[1,0,0]
	v_mov_b32_e32 v11, v5
	v_pk_mul_f32 v[4:5], v[6:7], v[2:3] op_sel:[0,1]
	s_delay_alu instid0(VALU_DEP_1) | instskip(SKIP_1) | instid1(VALU_DEP_1)
	v_pk_fma_f32 v[8:9], v[6:7], v[0:1], v[4:5] op_sel:[0,0,1] op_sel_hi:[1,1,0] neg_lo:[0,0,1] neg_hi:[0,0,1]
	v_pk_fma_f32 v[4:5], v[6:7], v[0:1], v[4:5] op_sel:[0,0,1] op_sel_hi:[1,0,0]
	v_mov_b32_e32 v9, v5
	ds_load_2addr_b64 v[4:7], v80 offset0:40 offset1:41
	v_pk_add_f32 v[164:165], v[164:165], v[10:11] neg_lo:[0,1] neg_hi:[0,1]
	v_pk_add_f32 v[160:161], v[160:161], v[8:9] neg_lo:[0,1] neg_hi:[0,1]
	s_wait_dscnt 0x0
	v_dual_mul_f32 v8, v5, v3 :: v_dual_mul_f32 v10, v5, v0
	s_delay_alu instid0(VALU_DEP_1) | instskip(NEXT) | instid1(VALU_DEP_2)
	v_pk_fma_f32 v[8:9], v[4:5], v[30:31], v[8:9] op_sel_hi:[1,1,0] neg_lo:[0,0,1] neg_hi:[0,0,1]
	v_pk_fma_f32 v[4:5], v[4:5], v[30:31], v[10:11] op_sel:[1,0,0] op_sel_hi:[0,1,0]
	s_delay_alu instid0(VALU_DEP_1) | instskip(SKIP_1) | instid1(VALU_DEP_2)
	v_mov_b32_e32 v9, v5
	v_pk_mul_f32 v[4:5], v[6:7], v[2:3] op_sel:[0,1]
	v_pk_add_f32 v[192:193], v[192:193], v[8:9] neg_lo:[0,1] neg_hi:[0,1]
	s_delay_alu instid0(VALU_DEP_2) | instskip(SKIP_1) | instid1(VALU_DEP_1)
	v_pk_fma_f32 v[8:9], v[6:7], v[0:1], v[4:5] op_sel:[0,0,1] op_sel_hi:[1,1,0] neg_lo:[0,0,1] neg_hi:[0,0,1]
	v_pk_fma_f32 v[4:5], v[6:7], v[0:1], v[4:5] op_sel:[0,0,1] op_sel_hi:[1,0,0]
	v_mov_b32_e32 v9, v5
	ds_load_2addr_b64 v[4:7], v80 offset0:42 offset1:43
	v_pk_add_f32 v[184:185], v[184:185], v[8:9] neg_lo:[0,1] neg_hi:[0,1]
	s_wait_dscnt 0x0
	v_pk_mul_f32 v[8:9], v[4:5], v[2:3] op_sel:[0,1]
	s_delay_alu instid0(VALU_DEP_1) | instskip(SKIP_1) | instid1(VALU_DEP_1)
	v_pk_fma_f32 v[10:11], v[4:5], v[0:1], v[8:9] op_sel:[0,0,1] op_sel_hi:[1,1,0] neg_lo:[0,0,1] neg_hi:[0,0,1]
	v_pk_fma_f32 v[4:5], v[4:5], v[0:1], v[8:9] op_sel:[0,0,1] op_sel_hi:[1,0,0]
	v_mov_b32_e32 v11, v5
	v_pk_mul_f32 v[4:5], v[6:7], v[2:3] op_sel:[0,1]
	s_delay_alu instid0(VALU_DEP_2) | instskip(NEXT) | instid1(VALU_DEP_2)
	v_pk_add_f32 v[190:191], v[190:191], v[10:11] neg_lo:[0,1] neg_hi:[0,1]
	v_pk_fma_f32 v[8:9], v[6:7], v[0:1], v[4:5] op_sel:[0,0,1] op_sel_hi:[1,1,0] neg_lo:[0,0,1] neg_hi:[0,0,1]
	v_pk_fma_f32 v[4:5], v[6:7], v[0:1], v[4:5] op_sel:[0,0,1] op_sel_hi:[1,0,0]
	s_delay_alu instid0(VALU_DEP_1) | instskip(SKIP_4) | instid1(VALU_DEP_1)
	v_mov_b32_e32 v9, v5
	ds_load_2addr_b64 v[4:7], v80 offset0:44 offset1:45
	v_pk_add_f32 v[182:183], v[182:183], v[8:9] neg_lo:[0,1] neg_hi:[0,1]
	s_wait_dscnt 0x0
	v_pk_mul_f32 v[8:9], v[4:5], v[2:3] op_sel:[0,1]
	v_pk_fma_f32 v[10:11], v[4:5], v[0:1], v[8:9] op_sel:[0,0,1] op_sel_hi:[1,1,0] neg_lo:[0,0,1] neg_hi:[0,0,1]
	v_pk_fma_f32 v[4:5], v[4:5], v[0:1], v[8:9] op_sel:[0,0,1] op_sel_hi:[1,0,0]
	v_dual_mul_f32 v8, v7, v3 :: v_dual_mov_b32 v4, v7
	s_delay_alu instid0(VALU_DEP_2) | instskip(NEXT) | instid1(VALU_DEP_2)
	v_dual_mov_b32 v11, v5 :: v_dual_mov_b32 v5, v6
	v_pk_fma_f32 v[8:9], v[6:7], v[30:31], v[8:9] op_sel_hi:[1,1,0] neg_lo:[0,0,1] neg_hi:[0,0,1]
	v_mul_f32_e32 v6, v7, v0
	s_delay_alu instid0(VALU_DEP_3) | instskip(NEXT) | instid1(VALU_DEP_2)
	v_pk_add_f32 v[188:189], v[188:189], v[10:11] neg_lo:[0,1] neg_hi:[0,1]
	v_pk_fma_f32 v[4:5], v[4:5], v[30:31], v[6:7] op_sel_hi:[1,1,0]
	s_delay_alu instid0(VALU_DEP_1) | instskip(SKIP_4) | instid1(VALU_DEP_1)
	v_mov_b32_e32 v9, v5
	ds_load_2addr_b64 v[4:7], v80 offset0:46 offset1:47
	v_pk_add_f32 v[180:181], v[180:181], v[8:9] neg_lo:[0,1] neg_hi:[0,1]
	s_wait_dscnt 0x0
	v_pk_mul_f32 v[8:9], v[4:5], v[2:3] op_sel:[0,1]
	v_pk_fma_f32 v[10:11], v[4:5], v[0:1], v[8:9] op_sel:[0,0,1] op_sel_hi:[1,1,0] neg_lo:[0,0,1] neg_hi:[0,0,1]
	v_pk_fma_f32 v[4:5], v[4:5], v[0:1], v[8:9] op_sel:[0,0,1] op_sel_hi:[1,0,0]
	s_delay_alu instid0(VALU_DEP_1) | instskip(SKIP_1) | instid1(VALU_DEP_1)
	v_mov_b32_e32 v11, v5
	v_pk_mul_f32 v[4:5], v[6:7], v[2:3] op_sel:[0,1]
	v_pk_fma_f32 v[8:9], v[6:7], v[0:1], v[4:5] op_sel:[0,0,1] op_sel_hi:[1,1,0] neg_lo:[0,0,1] neg_hi:[0,0,1]
	v_pk_fma_f32 v[4:5], v[6:7], v[0:1], v[4:5] op_sel:[0,0,1] op_sel_hi:[1,0,0]
	s_delay_alu instid0(VALU_DEP_1)
	v_mov_b32_e32 v9, v5
	ds_load_b64 v[4:5], v80 offset:384
	v_pk_add_f32 v[186:187], v[186:187], v[10:11] neg_lo:[0,1] neg_hi:[0,1]
	v_pk_add_f32 v[194:195], v[194:195], v[8:9] neg_lo:[0,1] neg_hi:[0,1]
	s_wait_dscnt 0x0
	v_pk_mul_f32 v[2:3], v[4:5], v[2:3] op_sel:[0,1]
	s_delay_alu instid0(VALU_DEP_1) | instskip(SKIP_1) | instid1(VALU_DEP_1)
	v_pk_fma_f32 v[6:7], v[4:5], v[0:1], v[2:3] op_sel:[0,0,1] op_sel_hi:[1,1,0] neg_lo:[0,0,1] neg_hi:[0,0,1]
	v_pk_fma_f32 v[0:1], v[4:5], v[0:1], v[2:3] op_sel:[0,0,1] op_sel_hi:[1,0,0]
	v_mov_b32_e32 v7, v1
	s_delay_alu instid0(VALU_DEP_1)
	v_pk_add_f32 v[196:197], v[196:197], v[6:7] neg_lo:[0,1] neg_hi:[0,1]
.LBB97_109:
	s_wait_xcnt 0x0
	s_or_b32 exec_lo, exec_lo, s1
	s_delay_alu instid0(SALU_CYCLE_1)
	s_mov_b32 s2, exec_lo
	s_wait_storecnt 0x0
	s_barrier_signal -1
	s_barrier_wait -1
	v_cmpx_eq_u32_e32 12, v78
	s_cbranch_execz .LBB97_116
; %bb.110:
	ds_store_b64 v79, v[52:53]
	ds_store_2addr_b64 v80, v[48:49], v[50:51] offset0:13 offset1:14
	ds_store_2addr_b64 v80, v[46:47], v[76:77] offset0:15 offset1:16
	;; [unrolled: 1-line block ×18, first 2 shown]
	ds_load_b64 v[0:1], v79
	s_wait_dscnt 0x0
	v_cmp_neq_f32_e32 vcc_lo, 0, v0
	v_cmp_neq_f32_e64 s1, 0, v1
	s_or_b32 s1, vcc_lo, s1
	s_delay_alu instid0(SALU_CYCLE_1)
	s_and_b32 exec_lo, exec_lo, s1
	s_cbranch_execz .LBB97_116
; %bb.111:
	v_cmp_ngt_f32_e64 s1, |v0|, |v1|
                                        ; implicit-def: $vgpr2_vgpr3
	s_and_saveexec_b32 s4, s1
	s_delay_alu instid0(SALU_CYCLE_1)
	s_xor_b32 s1, exec_lo, s4
	s_cbranch_execz .LBB97_113
; %bb.112:
	v_div_scale_f32 v2, null, v1, v1, v0
	v_div_scale_f32 v5, vcc_lo, v0, v1, v0
	s_delay_alu instid0(VALU_DEP_2) | instskip(SKIP_1) | instid1(TRANS32_DEP_1)
	v_rcp_f32_e32 v3, v2
	v_nop
	v_fma_f32 v4, -v2, v3, 1.0
	s_delay_alu instid0(VALU_DEP_1) | instskip(NEXT) | instid1(VALU_DEP_1)
	v_fmac_f32_e32 v3, v4, v3
	v_mul_f32_e32 v4, v5, v3
	s_delay_alu instid0(VALU_DEP_1) | instskip(NEXT) | instid1(VALU_DEP_1)
	v_fma_f32 v6, -v2, v4, v5
	v_fmac_f32_e32 v4, v6, v3
	s_delay_alu instid0(VALU_DEP_1) | instskip(NEXT) | instid1(VALU_DEP_1)
	v_fma_f32 v2, -v2, v4, v5
	v_div_fmas_f32 v2, v2, v3, v4
	s_delay_alu instid0(VALU_DEP_1) | instskip(NEXT) | instid1(VALU_DEP_1)
	v_div_fixup_f32 v2, v2, v1, v0
	v_fmac_f32_e32 v1, v0, v2
	s_delay_alu instid0(VALU_DEP_1) | instskip(SKIP_1) | instid1(VALU_DEP_2)
	v_div_scale_f32 v0, null, v1, v1, 1.0
	v_div_scale_f32 v5, vcc_lo, 1.0, v1, 1.0
	v_rcp_f32_e32 v3, v0
	v_nop
	s_delay_alu instid0(TRANS32_DEP_1) | instskip(NEXT) | instid1(VALU_DEP_1)
	v_fma_f32 v4, -v0, v3, 1.0
	v_fmac_f32_e32 v3, v4, v3
	s_delay_alu instid0(VALU_DEP_1) | instskip(NEXT) | instid1(VALU_DEP_1)
	v_mul_f32_e32 v4, v5, v3
	v_fma_f32 v6, -v0, v4, v5
	s_delay_alu instid0(VALU_DEP_1) | instskip(NEXT) | instid1(VALU_DEP_1)
	v_fmac_f32_e32 v4, v6, v3
	v_fma_f32 v0, -v0, v4, v5
	s_delay_alu instid0(VALU_DEP_1) | instskip(NEXT) | instid1(VALU_DEP_1)
	v_div_fmas_f32 v0, v0, v3, v4
	v_div_fixup_f32 v0, v0, v1, 1.0
	s_delay_alu instid0(VALU_DEP_1)
	v_mul_f32_e32 v2, v2, v0
	v_xor_b32_e32 v3, 0x80000000, v0
                                        ; implicit-def: $vgpr0_vgpr1
.LBB97_113:
	s_and_not1_saveexec_b32 s1, s1
	s_cbranch_execz .LBB97_115
; %bb.114:
	v_div_scale_f32 v2, null, v0, v0, v1
	v_div_scale_f32 v5, vcc_lo, v1, v0, v1
	s_delay_alu instid0(VALU_DEP_2) | instskip(SKIP_1) | instid1(TRANS32_DEP_1)
	v_rcp_f32_e32 v3, v2
	v_nop
	v_fma_f32 v4, -v2, v3, 1.0
	s_delay_alu instid0(VALU_DEP_1) | instskip(NEXT) | instid1(VALU_DEP_1)
	v_fmac_f32_e32 v3, v4, v3
	v_mul_f32_e32 v4, v5, v3
	s_delay_alu instid0(VALU_DEP_1) | instskip(NEXT) | instid1(VALU_DEP_1)
	v_fma_f32 v6, -v2, v4, v5
	v_fmac_f32_e32 v4, v6, v3
	s_delay_alu instid0(VALU_DEP_1) | instskip(NEXT) | instid1(VALU_DEP_1)
	v_fma_f32 v2, -v2, v4, v5
	v_div_fmas_f32 v2, v2, v3, v4
	s_delay_alu instid0(VALU_DEP_1) | instskip(NEXT) | instid1(VALU_DEP_1)
	v_div_fixup_f32 v3, v2, v0, v1
	v_fmac_f32_e32 v0, v1, v3
	s_delay_alu instid0(VALU_DEP_1) | instskip(NEXT) | instid1(VALU_DEP_1)
	v_div_scale_f32 v1, null, v0, v0, 1.0
	v_rcp_f32_e32 v2, v1
	v_nop
	s_delay_alu instid0(TRANS32_DEP_1) | instskip(NEXT) | instid1(VALU_DEP_1)
	v_fma_f32 v4, -v1, v2, 1.0
	v_fmac_f32_e32 v2, v4, v2
	v_div_scale_f32 v4, vcc_lo, 1.0, v0, 1.0
	s_delay_alu instid0(VALU_DEP_1) | instskip(NEXT) | instid1(VALU_DEP_1)
	v_mul_f32_e32 v5, v4, v2
	v_fma_f32 v6, -v1, v5, v4
	s_delay_alu instid0(VALU_DEP_1) | instskip(NEXT) | instid1(VALU_DEP_1)
	v_fmac_f32_e32 v5, v6, v2
	v_fma_f32 v1, -v1, v5, v4
	s_delay_alu instid0(VALU_DEP_1) | instskip(NEXT) | instid1(VALU_DEP_1)
	v_div_fmas_f32 v1, v1, v2, v5
	v_div_fixup_f32 v2, v1, v0, 1.0
	s_delay_alu instid0(VALU_DEP_1)
	v_mul_f32_e64 v3, v3, -v2
.LBB97_115:
	s_or_b32 exec_lo, exec_lo, s1
	ds_store_b64 v79, v[2:3]
.LBB97_116:
	s_or_b32 exec_lo, exec_lo, s2
	s_wait_dscnt 0x0
	s_barrier_signal -1
	s_barrier_wait -1
	ds_load_b64 v[0:1], v79
	s_mov_b32 s1, exec_lo
	s_wait_dscnt 0x0
	scratch_store_b64 off, v[0:1], off offset:64 ; 8-byte Folded Spill
	s_wait_xcnt 0x0
	v_cmpx_lt_u32_e32 12, v78
	s_cbranch_execz .LBB97_118
; %bb.117:
	scratch_load_b64 v[4:5], off, off offset:64 ; 8-byte Folded Reload
	s_wait_loadcnt 0x0
	v_pk_mul_f32 v[2:3], v[4:5], v[52:53] op_sel:[1,1] op_sel_hi:[0,1]
	s_delay_alu instid0(VALU_DEP_1)
	v_pk_fma_f32 v[0:1], v[4:5], v[52:53], v[2:3] op_sel_hi:[1,0,1] neg_lo:[0,0,1] neg_hi:[0,0,1]
	v_pk_fma_f32 v[2:3], v[4:5], v[52:53], v[2:3] op_sel_hi:[1,0,1]
	ds_load_2addr_b64 v[4:7], v80 offset0:13 offset1:14
	v_dual_mov_b32 v52, v0 :: v_dual_mov_b32 v53, v3
	s_wait_dscnt 0x0
	v_pk_mul_f32 v[8:9], v[4:5], v[2:3] op_sel:[0,1]
	s_delay_alu instid0(VALU_DEP_1) | instskip(SKIP_1) | instid1(VALU_DEP_1)
	v_pk_fma_f32 v[10:11], v[4:5], v[0:1], v[8:9] op_sel:[0,0,1] op_sel_hi:[1,1,0] neg_lo:[0,0,1] neg_hi:[0,0,1]
	v_pk_fma_f32 v[4:5], v[4:5], v[0:1], v[8:9] op_sel:[0,0,1] op_sel_hi:[1,0,0]
	v_mov_b32_e32 v11, v5
	v_pk_mul_f32 v[4:5], v[6:7], v[2:3] op_sel:[0,1]
	s_delay_alu instid0(VALU_DEP_1) | instskip(SKIP_1) | instid1(VALU_DEP_1)
	v_pk_fma_f32 v[8:9], v[6:7], v[0:1], v[4:5] op_sel:[0,0,1] op_sel_hi:[1,1,0] neg_lo:[0,0,1] neg_hi:[0,0,1]
	v_pk_fma_f32 v[4:5], v[6:7], v[0:1], v[4:5] op_sel:[0,0,1] op_sel_hi:[1,0,0]
	v_mov_b32_e32 v9, v5
	ds_load_2addr_b64 v[4:7], v80 offset0:15 offset1:16
	v_pk_add_f32 v[48:49], v[48:49], v[10:11] neg_lo:[0,1] neg_hi:[0,1]
	v_pk_add_f32 v[50:51], v[50:51], v[8:9] neg_lo:[0,1] neg_hi:[0,1]
	s_wait_dscnt 0x0
	v_pk_mul_f32 v[8:9], v[4:5], v[2:3] op_sel:[0,1]
	s_delay_alu instid0(VALU_DEP_1) | instskip(SKIP_2) | instid1(VALU_DEP_2)
	v_pk_fma_f32 v[10:11], v[4:5], v[0:1], v[8:9] op_sel:[0,0,1] op_sel_hi:[1,1,0] neg_lo:[0,0,1] neg_hi:[0,0,1]
	v_pk_fma_f32 v[4:5], v[4:5], v[0:1], v[8:9] op_sel:[0,0,1] op_sel_hi:[1,0,0]
	v_dual_mul_f32 v8, v7, v3 :: v_dual_mov_b32 v4, v7
	v_dual_mov_b32 v11, v5 :: v_dual_mov_b32 v5, v6
	s_delay_alu instid0(VALU_DEP_2) | instskip(SKIP_1) | instid1(VALU_DEP_3)
	v_pk_fma_f32 v[8:9], v[6:7], v[52:53], v[8:9] op_sel_hi:[1,1,0] neg_lo:[0,0,1] neg_hi:[0,0,1]
	v_mul_f32_e32 v6, v7, v0
	v_pk_add_f32 v[46:47], v[46:47], v[10:11] neg_lo:[0,1] neg_hi:[0,1]
	s_delay_alu instid0(VALU_DEP_2) | instskip(NEXT) | instid1(VALU_DEP_1)
	v_pk_fma_f32 v[4:5], v[4:5], v[52:53], v[6:7] op_sel_hi:[1,1,0]
	v_mov_b32_e32 v9, v5
	ds_load_2addr_b64 v[4:7], v80 offset0:17 offset1:18
	v_pk_add_f32 v[76:77], v[76:77], v[8:9] neg_lo:[0,1] neg_hi:[0,1]
	s_wait_dscnt 0x0
	v_pk_mul_f32 v[8:9], v[4:5], v[2:3] op_sel:[0,1]
	s_delay_alu instid0(VALU_DEP_1) | instskip(SKIP_1) | instid1(VALU_DEP_1)
	v_pk_fma_f32 v[10:11], v[4:5], v[0:1], v[8:9] op_sel:[0,0,1] op_sel_hi:[1,1,0] neg_lo:[0,0,1] neg_hi:[0,0,1]
	v_pk_fma_f32 v[4:5], v[4:5], v[0:1], v[8:9] op_sel:[0,0,1] op_sel_hi:[1,0,0]
	v_mov_b32_e32 v11, v5
	v_pk_mul_f32 v[4:5], v[6:7], v[2:3] op_sel:[0,1]
	s_delay_alu instid0(VALU_DEP_1) | instskip(SKIP_1) | instid1(VALU_DEP_1)
	v_pk_fma_f32 v[8:9], v[6:7], v[0:1], v[4:5] op_sel:[0,0,1] op_sel_hi:[1,1,0] neg_lo:[0,0,1] neg_hi:[0,0,1]
	v_pk_fma_f32 v[4:5], v[6:7], v[0:1], v[4:5] op_sel:[0,0,1] op_sel_hi:[1,0,0]
	v_mov_b32_e32 v9, v5
	ds_load_2addr_b64 v[4:7], v80 offset0:19 offset1:20
	v_pk_add_f32 v[72:73], v[72:73], v[10:11] neg_lo:[0,1] neg_hi:[0,1]
	v_pk_add_f32 v[74:75], v[74:75], v[8:9] neg_lo:[0,1] neg_hi:[0,1]
	s_wait_dscnt 0x0
	v_pk_mul_f32 v[8:9], v[4:5], v[2:3] op_sel:[0,1]
	s_delay_alu instid0(VALU_DEP_1) | instskip(SKIP_1) | instid1(VALU_DEP_1)
	v_pk_fma_f32 v[10:11], v[4:5], v[0:1], v[8:9] op_sel:[0,0,1] op_sel_hi:[1,1,0] neg_lo:[0,0,1] neg_hi:[0,0,1]
	v_pk_fma_f32 v[4:5], v[4:5], v[0:1], v[8:9] op_sel:[0,0,1] op_sel_hi:[1,0,0]
	v_mov_b32_e32 v11, v5
	v_pk_mul_f32 v[4:5], v[6:7], v[2:3] op_sel:[0,1]
	s_delay_alu instid0(VALU_DEP_1) | instskip(SKIP_1) | instid1(VALU_DEP_1)
	v_pk_fma_f32 v[8:9], v[6:7], v[0:1], v[4:5] op_sel:[0,0,1] op_sel_hi:[1,1,0] neg_lo:[0,0,1] neg_hi:[0,0,1]
	v_pk_fma_f32 v[4:5], v[6:7], v[0:1], v[4:5] op_sel:[0,0,1] op_sel_hi:[1,0,0]
	v_mov_b32_e32 v9, v5
	ds_load_2addr_b64 v[4:7], v80 offset0:21 offset1:22
	v_pk_add_f32 v[70:71], v[70:71], v[10:11] neg_lo:[0,1] neg_hi:[0,1]
	v_pk_add_f32 v[94:95], v[94:95], v[8:9] neg_lo:[0,1] neg_hi:[0,1]
	s_wait_dscnt 0x0
	v_dual_mul_f32 v8, v5, v3 :: v_dual_mul_f32 v10, v5, v0
	s_delay_alu instid0(VALU_DEP_1) | instskip(NEXT) | instid1(VALU_DEP_2)
	v_pk_fma_f32 v[8:9], v[4:5], v[52:53], v[8:9] op_sel_hi:[1,1,0] neg_lo:[0,0,1] neg_hi:[0,0,1]
	v_pk_fma_f32 v[4:5], v[4:5], v[52:53], v[10:11] op_sel:[1,0,0] op_sel_hi:[0,1,0]
	s_delay_alu instid0(VALU_DEP_1) | instskip(SKIP_1) | instid1(VALU_DEP_2)
	v_mov_b32_e32 v9, v5
	v_pk_mul_f32 v[4:5], v[6:7], v[2:3] op_sel:[0,1]
	v_pk_add_f32 v[90:91], v[90:91], v[8:9] neg_lo:[0,1] neg_hi:[0,1]
	s_delay_alu instid0(VALU_DEP_2) | instskip(SKIP_1) | instid1(VALU_DEP_1)
	v_pk_fma_f32 v[8:9], v[6:7], v[0:1], v[4:5] op_sel:[0,0,1] op_sel_hi:[1,1,0] neg_lo:[0,0,1] neg_hi:[0,0,1]
	v_pk_fma_f32 v[4:5], v[6:7], v[0:1], v[4:5] op_sel:[0,0,1] op_sel_hi:[1,0,0]
	v_mov_b32_e32 v9, v5
	ds_load_2addr_b64 v[4:7], v80 offset0:23 offset1:24
	v_pk_add_f32 v[92:93], v[92:93], v[8:9] neg_lo:[0,1] neg_hi:[0,1]
	s_wait_dscnt 0x0
	v_pk_mul_f32 v[8:9], v[4:5], v[2:3] op_sel:[0,1]
	s_delay_alu instid0(VALU_DEP_1) | instskip(SKIP_1) | instid1(VALU_DEP_1)
	v_pk_fma_f32 v[10:11], v[4:5], v[0:1], v[8:9] op_sel:[0,0,1] op_sel_hi:[1,1,0] neg_lo:[0,0,1] neg_hi:[0,0,1]
	v_pk_fma_f32 v[4:5], v[4:5], v[0:1], v[8:9] op_sel:[0,0,1] op_sel_hi:[1,0,0]
	v_mov_b32_e32 v11, v5
	v_pk_mul_f32 v[4:5], v[6:7], v[2:3] op_sel:[0,1]
	s_delay_alu instid0(VALU_DEP_2) | instskip(NEXT) | instid1(VALU_DEP_2)
	v_pk_add_f32 v[88:89], v[88:89], v[10:11] neg_lo:[0,1] neg_hi:[0,1]
	v_pk_fma_f32 v[8:9], v[6:7], v[0:1], v[4:5] op_sel:[0,0,1] op_sel_hi:[1,1,0] neg_lo:[0,0,1] neg_hi:[0,0,1]
	v_pk_fma_f32 v[4:5], v[6:7], v[0:1], v[4:5] op_sel:[0,0,1] op_sel_hi:[1,0,0]
	s_delay_alu instid0(VALU_DEP_1) | instskip(SKIP_4) | instid1(VALU_DEP_1)
	v_mov_b32_e32 v9, v5
	ds_load_2addr_b64 v[4:7], v80 offset0:25 offset1:26
	v_pk_add_f32 v[112:113], v[112:113], v[8:9] neg_lo:[0,1] neg_hi:[0,1]
	s_wait_dscnt 0x0
	v_pk_mul_f32 v[8:9], v[4:5], v[2:3] op_sel:[0,1]
	v_pk_fma_f32 v[10:11], v[4:5], v[0:1], v[8:9] op_sel:[0,0,1] op_sel_hi:[1,1,0] neg_lo:[0,0,1] neg_hi:[0,0,1]
	v_pk_fma_f32 v[4:5], v[4:5], v[0:1], v[8:9] op_sel:[0,0,1] op_sel_hi:[1,0,0]
	v_dual_mul_f32 v8, v7, v3 :: v_dual_mov_b32 v4, v7
	s_delay_alu instid0(VALU_DEP_2) | instskip(NEXT) | instid1(VALU_DEP_2)
	v_dual_mov_b32 v11, v5 :: v_dual_mov_b32 v5, v6
	v_pk_fma_f32 v[8:9], v[6:7], v[52:53], v[8:9] op_sel_hi:[1,1,0] neg_lo:[0,0,1] neg_hi:[0,0,1]
	v_mul_f32_e32 v6, v7, v0
	s_delay_alu instid0(VALU_DEP_3) | instskip(NEXT) | instid1(VALU_DEP_2)
	v_pk_add_f32 v[108:109], v[108:109], v[10:11] neg_lo:[0,1] neg_hi:[0,1]
	v_pk_fma_f32 v[4:5], v[4:5], v[52:53], v[6:7] op_sel_hi:[1,1,0]
	s_delay_alu instid0(VALU_DEP_1) | instskip(SKIP_4) | instid1(VALU_DEP_1)
	v_mov_b32_e32 v9, v5
	ds_load_2addr_b64 v[4:7], v80 offset0:27 offset1:28
	v_pk_add_f32 v[110:111], v[110:111], v[8:9] neg_lo:[0,1] neg_hi:[0,1]
	s_wait_dscnt 0x0
	v_pk_mul_f32 v[8:9], v[4:5], v[2:3] op_sel:[0,1]
	v_pk_fma_f32 v[10:11], v[4:5], v[0:1], v[8:9] op_sel:[0,0,1] op_sel_hi:[1,1,0] neg_lo:[0,0,1] neg_hi:[0,0,1]
	v_pk_fma_f32 v[4:5], v[4:5], v[0:1], v[8:9] op_sel:[0,0,1] op_sel_hi:[1,0,0]
	s_delay_alu instid0(VALU_DEP_1) | instskip(SKIP_1) | instid1(VALU_DEP_1)
	v_mov_b32_e32 v11, v5
	v_pk_mul_f32 v[4:5], v[6:7], v[2:3] op_sel:[0,1]
	v_pk_fma_f32 v[8:9], v[6:7], v[0:1], v[4:5] op_sel:[0,0,1] op_sel_hi:[1,1,0] neg_lo:[0,0,1] neg_hi:[0,0,1]
	v_pk_fma_f32 v[4:5], v[6:7], v[0:1], v[4:5] op_sel:[0,0,1] op_sel_hi:[1,0,0]
	s_delay_alu instid0(VALU_DEP_1)
	v_mov_b32_e32 v9, v5
	ds_load_2addr_b64 v[4:7], v80 offset0:29 offset1:30
	v_pk_add_f32 v[106:107], v[106:107], v[10:11] neg_lo:[0,1] neg_hi:[0,1]
	v_pk_add_f32 v[128:129], v[128:129], v[8:9] neg_lo:[0,1] neg_hi:[0,1]
	s_wait_dscnt 0x0
	v_pk_mul_f32 v[8:9], v[4:5], v[2:3] op_sel:[0,1]
	s_delay_alu instid0(VALU_DEP_1) | instskip(SKIP_1) | instid1(VALU_DEP_1)
	v_pk_fma_f32 v[10:11], v[4:5], v[0:1], v[8:9] op_sel:[0,0,1] op_sel_hi:[1,1,0] neg_lo:[0,0,1] neg_hi:[0,0,1]
	v_pk_fma_f32 v[4:5], v[4:5], v[0:1], v[8:9] op_sel:[0,0,1] op_sel_hi:[1,0,0]
	v_mov_b32_e32 v11, v5
	v_pk_mul_f32 v[4:5], v[6:7], v[2:3] op_sel:[0,1]
	s_delay_alu instid0(VALU_DEP_1) | instskip(SKIP_1) | instid1(VALU_DEP_1)
	v_pk_fma_f32 v[8:9], v[6:7], v[0:1], v[4:5] op_sel:[0,0,1] op_sel_hi:[1,1,0] neg_lo:[0,0,1] neg_hi:[0,0,1]
	v_pk_fma_f32 v[4:5], v[6:7], v[0:1], v[4:5] op_sel:[0,0,1] op_sel_hi:[1,0,0]
	v_mov_b32_e32 v9, v5
	ds_load_2addr_b64 v[4:7], v80 offset0:31 offset1:32
	v_pk_add_f32 v[124:125], v[124:125], v[10:11] neg_lo:[0,1] neg_hi:[0,1]
	v_pk_add_f32 v[126:127], v[126:127], v[8:9] neg_lo:[0,1] neg_hi:[0,1]
	s_wait_dscnt 0x0
	v_dual_mul_f32 v8, v5, v3 :: v_dual_mul_f32 v10, v5, v0
	s_delay_alu instid0(VALU_DEP_1) | instskip(NEXT) | instid1(VALU_DEP_2)
	v_pk_fma_f32 v[8:9], v[4:5], v[52:53], v[8:9] op_sel_hi:[1,1,0] neg_lo:[0,0,1] neg_hi:[0,0,1]
	v_pk_fma_f32 v[4:5], v[4:5], v[52:53], v[10:11] op_sel:[1,0,0] op_sel_hi:[0,1,0]
	s_delay_alu instid0(VALU_DEP_1) | instskip(SKIP_1) | instid1(VALU_DEP_2)
	v_mov_b32_e32 v9, v5
	v_pk_mul_f32 v[4:5], v[6:7], v[2:3] op_sel:[0,1]
	v_pk_add_f32 v[122:123], v[122:123], v[8:9] neg_lo:[0,1] neg_hi:[0,1]
	s_delay_alu instid0(VALU_DEP_2) | instskip(SKIP_1) | instid1(VALU_DEP_1)
	v_pk_fma_f32 v[8:9], v[6:7], v[0:1], v[4:5] op_sel:[0,0,1] op_sel_hi:[1,1,0] neg_lo:[0,0,1] neg_hi:[0,0,1]
	v_pk_fma_f32 v[4:5], v[6:7], v[0:1], v[4:5] op_sel:[0,0,1] op_sel_hi:[1,0,0]
	v_mov_b32_e32 v9, v5
	ds_load_2addr_b64 v[4:7], v80 offset0:33 offset1:34
	v_pk_add_f32 v[144:145], v[144:145], v[8:9] neg_lo:[0,1] neg_hi:[0,1]
	s_wait_dscnt 0x0
	v_pk_mul_f32 v[8:9], v[4:5], v[2:3] op_sel:[0,1]
	s_delay_alu instid0(VALU_DEP_1) | instskip(SKIP_1) | instid1(VALU_DEP_1)
	v_pk_fma_f32 v[10:11], v[4:5], v[0:1], v[8:9] op_sel:[0,0,1] op_sel_hi:[1,1,0] neg_lo:[0,0,1] neg_hi:[0,0,1]
	v_pk_fma_f32 v[4:5], v[4:5], v[0:1], v[8:9] op_sel:[0,0,1] op_sel_hi:[1,0,0]
	v_mov_b32_e32 v11, v5
	v_pk_mul_f32 v[4:5], v[6:7], v[2:3] op_sel:[0,1]
	s_delay_alu instid0(VALU_DEP_2) | instskip(NEXT) | instid1(VALU_DEP_2)
	v_pk_add_f32 v[140:141], v[140:141], v[10:11] neg_lo:[0,1] neg_hi:[0,1]
	v_pk_fma_f32 v[8:9], v[6:7], v[0:1], v[4:5] op_sel:[0,0,1] op_sel_hi:[1,1,0] neg_lo:[0,0,1] neg_hi:[0,0,1]
	v_pk_fma_f32 v[4:5], v[6:7], v[0:1], v[4:5] op_sel:[0,0,1] op_sel_hi:[1,0,0]
	s_delay_alu instid0(VALU_DEP_1) | instskip(SKIP_4) | instid1(VALU_DEP_1)
	v_mov_b32_e32 v9, v5
	ds_load_2addr_b64 v[4:7], v80 offset0:35 offset1:36
	v_pk_add_f32 v[142:143], v[142:143], v[8:9] neg_lo:[0,1] neg_hi:[0,1]
	s_wait_dscnt 0x0
	v_pk_mul_f32 v[8:9], v[4:5], v[2:3] op_sel:[0,1]
	v_pk_fma_f32 v[10:11], v[4:5], v[0:1], v[8:9] op_sel:[0,0,1] op_sel_hi:[1,1,0] neg_lo:[0,0,1] neg_hi:[0,0,1]
	v_pk_fma_f32 v[4:5], v[4:5], v[0:1], v[8:9] op_sel:[0,0,1] op_sel_hi:[1,0,0]
	v_dual_mul_f32 v8, v7, v3 :: v_dual_mov_b32 v4, v7
	s_delay_alu instid0(VALU_DEP_2) | instskip(NEXT) | instid1(VALU_DEP_2)
	v_dual_mov_b32 v11, v5 :: v_dual_mov_b32 v5, v6
	v_pk_fma_f32 v[8:9], v[6:7], v[52:53], v[8:9] op_sel_hi:[1,1,0] neg_lo:[0,0,1] neg_hi:[0,0,1]
	v_mul_f32_e32 v6, v7, v0
	s_delay_alu instid0(VALU_DEP_3) | instskip(NEXT) | instid1(VALU_DEP_2)
	v_pk_add_f32 v[138:139], v[138:139], v[10:11] neg_lo:[0,1] neg_hi:[0,1]
	v_pk_fma_f32 v[4:5], v[4:5], v[52:53], v[6:7] op_sel_hi:[1,1,0]
	s_delay_alu instid0(VALU_DEP_1) | instskip(SKIP_4) | instid1(VALU_DEP_1)
	v_mov_b32_e32 v9, v5
	ds_load_2addr_b64 v[4:7], v80 offset0:37 offset1:38
	v_pk_add_f32 v[166:167], v[166:167], v[8:9] neg_lo:[0,1] neg_hi:[0,1]
	s_wait_dscnt 0x0
	v_pk_mul_f32 v[8:9], v[4:5], v[2:3] op_sel:[0,1]
	v_pk_fma_f32 v[10:11], v[4:5], v[0:1], v[8:9] op_sel:[0,0,1] op_sel_hi:[1,1,0] neg_lo:[0,0,1] neg_hi:[0,0,1]
	v_pk_fma_f32 v[4:5], v[4:5], v[0:1], v[8:9] op_sel:[0,0,1] op_sel_hi:[1,0,0]
	s_delay_alu instid0(VALU_DEP_1) | instskip(SKIP_1) | instid1(VALU_DEP_1)
	v_mov_b32_e32 v11, v5
	v_pk_mul_f32 v[4:5], v[6:7], v[2:3] op_sel:[0,1]
	v_pk_fma_f32 v[8:9], v[6:7], v[0:1], v[4:5] op_sel:[0,0,1] op_sel_hi:[1,1,0] neg_lo:[0,0,1] neg_hi:[0,0,1]
	v_pk_fma_f32 v[4:5], v[6:7], v[0:1], v[4:5] op_sel:[0,0,1] op_sel_hi:[1,0,0]
	s_delay_alu instid0(VALU_DEP_1)
	v_mov_b32_e32 v9, v5
	ds_load_2addr_b64 v[4:7], v80 offset0:39 offset1:40
	v_pk_add_f32 v[162:163], v[162:163], v[10:11] neg_lo:[0,1] neg_hi:[0,1]
	v_pk_add_f32 v[164:165], v[164:165], v[8:9] neg_lo:[0,1] neg_hi:[0,1]
	s_wait_dscnt 0x0
	v_pk_mul_f32 v[8:9], v[4:5], v[2:3] op_sel:[0,1]
	s_delay_alu instid0(VALU_DEP_1) | instskip(SKIP_1) | instid1(VALU_DEP_1)
	v_pk_fma_f32 v[10:11], v[4:5], v[0:1], v[8:9] op_sel:[0,0,1] op_sel_hi:[1,1,0] neg_lo:[0,0,1] neg_hi:[0,0,1]
	v_pk_fma_f32 v[4:5], v[4:5], v[0:1], v[8:9] op_sel:[0,0,1] op_sel_hi:[1,0,0]
	v_mov_b32_e32 v11, v5
	v_pk_mul_f32 v[4:5], v[6:7], v[2:3] op_sel:[0,1]
	s_delay_alu instid0(VALU_DEP_1) | instskip(SKIP_1) | instid1(VALU_DEP_1)
	v_pk_fma_f32 v[8:9], v[6:7], v[0:1], v[4:5] op_sel:[0,0,1] op_sel_hi:[1,1,0] neg_lo:[0,0,1] neg_hi:[0,0,1]
	v_pk_fma_f32 v[4:5], v[6:7], v[0:1], v[4:5] op_sel:[0,0,1] op_sel_hi:[1,0,0]
	v_mov_b32_e32 v9, v5
	ds_load_2addr_b64 v[4:7], v80 offset0:41 offset1:42
	v_pk_add_f32 v[160:161], v[160:161], v[10:11] neg_lo:[0,1] neg_hi:[0,1]
	v_pk_add_f32 v[192:193], v[192:193], v[8:9] neg_lo:[0,1] neg_hi:[0,1]
	s_wait_dscnt 0x0
	v_dual_mul_f32 v8, v5, v3 :: v_dual_mul_f32 v10, v5, v0
	s_delay_alu instid0(VALU_DEP_1) | instskip(NEXT) | instid1(VALU_DEP_2)
	v_pk_fma_f32 v[8:9], v[4:5], v[52:53], v[8:9] op_sel_hi:[1,1,0] neg_lo:[0,0,1] neg_hi:[0,0,1]
	v_pk_fma_f32 v[4:5], v[4:5], v[52:53], v[10:11] op_sel:[1,0,0] op_sel_hi:[0,1,0]
	s_delay_alu instid0(VALU_DEP_1) | instskip(SKIP_1) | instid1(VALU_DEP_2)
	v_mov_b32_e32 v9, v5
	v_pk_mul_f32 v[4:5], v[6:7], v[2:3] op_sel:[0,1]
	v_pk_add_f32 v[184:185], v[184:185], v[8:9] neg_lo:[0,1] neg_hi:[0,1]
	s_delay_alu instid0(VALU_DEP_2) | instskip(SKIP_1) | instid1(VALU_DEP_1)
	v_pk_fma_f32 v[8:9], v[6:7], v[0:1], v[4:5] op_sel:[0,0,1] op_sel_hi:[1,1,0] neg_lo:[0,0,1] neg_hi:[0,0,1]
	v_pk_fma_f32 v[4:5], v[6:7], v[0:1], v[4:5] op_sel:[0,0,1] op_sel_hi:[1,0,0]
	v_mov_b32_e32 v9, v5
	ds_load_2addr_b64 v[4:7], v80 offset0:43 offset1:44
	v_pk_add_f32 v[190:191], v[190:191], v[8:9] neg_lo:[0,1] neg_hi:[0,1]
	s_wait_dscnt 0x0
	v_pk_mul_f32 v[8:9], v[4:5], v[2:3] op_sel:[0,1]
	s_delay_alu instid0(VALU_DEP_1) | instskip(SKIP_1) | instid1(VALU_DEP_1)
	v_pk_fma_f32 v[10:11], v[4:5], v[0:1], v[8:9] op_sel:[0,0,1] op_sel_hi:[1,1,0] neg_lo:[0,0,1] neg_hi:[0,0,1]
	v_pk_fma_f32 v[4:5], v[4:5], v[0:1], v[8:9] op_sel:[0,0,1] op_sel_hi:[1,0,0]
	v_mov_b32_e32 v11, v5
	v_pk_mul_f32 v[4:5], v[6:7], v[2:3] op_sel:[0,1]
	s_delay_alu instid0(VALU_DEP_2) | instskip(NEXT) | instid1(VALU_DEP_2)
	v_pk_add_f32 v[182:183], v[182:183], v[10:11] neg_lo:[0,1] neg_hi:[0,1]
	v_pk_fma_f32 v[8:9], v[6:7], v[0:1], v[4:5] op_sel:[0,0,1] op_sel_hi:[1,1,0] neg_lo:[0,0,1] neg_hi:[0,0,1]
	v_pk_fma_f32 v[4:5], v[6:7], v[0:1], v[4:5] op_sel:[0,0,1] op_sel_hi:[1,0,0]
	s_delay_alu instid0(VALU_DEP_1) | instskip(SKIP_4) | instid1(VALU_DEP_1)
	v_mov_b32_e32 v9, v5
	ds_load_2addr_b64 v[4:7], v80 offset0:45 offset1:46
	v_pk_add_f32 v[188:189], v[188:189], v[8:9] neg_lo:[0,1] neg_hi:[0,1]
	s_wait_dscnt 0x0
	v_pk_mul_f32 v[8:9], v[4:5], v[2:3] op_sel:[0,1]
	v_pk_fma_f32 v[10:11], v[4:5], v[0:1], v[8:9] op_sel:[0,0,1] op_sel_hi:[1,1,0] neg_lo:[0,0,1] neg_hi:[0,0,1]
	v_pk_fma_f32 v[4:5], v[4:5], v[0:1], v[8:9] op_sel:[0,0,1] op_sel_hi:[1,0,0]
	v_dual_mul_f32 v8, v7, v3 :: v_dual_mov_b32 v4, v7
	s_delay_alu instid0(VALU_DEP_2) | instskip(NEXT) | instid1(VALU_DEP_2)
	v_dual_mov_b32 v11, v5 :: v_dual_mov_b32 v5, v6
	v_pk_fma_f32 v[8:9], v[6:7], v[52:53], v[8:9] op_sel_hi:[1,1,0] neg_lo:[0,0,1] neg_hi:[0,0,1]
	v_mul_f32_e32 v6, v7, v0
	s_delay_alu instid0(VALU_DEP_3) | instskip(NEXT) | instid1(VALU_DEP_2)
	v_pk_add_f32 v[180:181], v[180:181], v[10:11] neg_lo:[0,1] neg_hi:[0,1]
	v_pk_fma_f32 v[4:5], v[4:5], v[52:53], v[6:7] op_sel_hi:[1,1,0]
	s_delay_alu instid0(VALU_DEP_1)
	v_mov_b32_e32 v9, v5
	ds_load_2addr_b64 v[4:7], v80 offset0:47 offset1:48
	v_pk_add_f32 v[186:187], v[186:187], v[8:9] neg_lo:[0,1] neg_hi:[0,1]
	s_wait_dscnt 0x0
	v_pk_mul_f32 v[8:9], v[4:5], v[2:3] op_sel:[0,1]
	v_mul_f32_e32 v2, v7, v3
	s_delay_alu instid0(VALU_DEP_2) | instskip(SKIP_2) | instid1(VALU_DEP_4)
	v_pk_fma_f32 v[10:11], v[4:5], v[0:1], v[8:9] op_sel:[0,0,1] op_sel_hi:[1,1,0] neg_lo:[0,0,1] neg_hi:[0,0,1]
	v_pk_fma_f32 v[4:5], v[4:5], v[0:1], v[8:9] op_sel:[0,0,1] op_sel_hi:[1,0,0]
	v_dual_mov_b32 v4, v7 :: v_dual_mul_f32 v0, v7, v0
	v_pk_fma_f32 v[2:3], v[6:7], v[52:53], v[2:3] op_sel_hi:[1,1,0] neg_lo:[0,0,1] neg_hi:[0,0,1]
	s_delay_alu instid0(VALU_DEP_3) | instskip(NEXT) | instid1(VALU_DEP_1)
	v_dual_mov_b32 v11, v5 :: v_dual_mov_b32 v5, v6
	v_pk_add_f32 v[194:195], v[194:195], v[10:11] neg_lo:[0,1] neg_hi:[0,1]
	s_delay_alu instid0(VALU_DEP_2) | instskip(NEXT) | instid1(VALU_DEP_1)
	v_pk_fma_f32 v[0:1], v[4:5], v[52:53], v[0:1] op_sel_hi:[1,1,0]
	v_mov_b32_e32 v3, v1
	s_delay_alu instid0(VALU_DEP_1)
	v_pk_add_f32 v[196:197], v[196:197], v[2:3] neg_lo:[0,1] neg_hi:[0,1]
.LBB97_118:
	s_wait_xcnt 0x0
	s_or_b32 exec_lo, exec_lo, s1
	s_delay_alu instid0(SALU_CYCLE_1)
	s_mov_b32 s2, exec_lo
	s_wait_storecnt 0x0
	s_barrier_signal -1
	s_barrier_wait -1
	v_cmpx_eq_u32_e32 13, v78
	s_cbranch_execz .LBB97_125
; %bb.119:
	v_dual_mov_b32 v0, v50 :: v_dual_mov_b32 v1, v51
	v_dual_mov_b32 v2, v46 :: v_dual_mov_b32 v3, v47
	v_dual_mov_b32 v4, v76 :: v_dual_mov_b32 v5, v77
	v_dual_mov_b32 v6, v72 :: v_dual_mov_b32 v7, v73
	v_dual_mov_b32 v8, v74 :: v_dual_mov_b32 v9, v75
	v_dual_mov_b32 v10, v70 :: v_dual_mov_b32 v11, v71
	v_dual_mov_b32 v12, v94 :: v_dual_mov_b32 v13, v95
	v_dual_mov_b32 v14, v90 :: v_dual_mov_b32 v15, v91
	v_dual_mov_b32 v18, v92 :: v_dual_mov_b32 v19, v93
	v_dual_mov_b32 v24, v88 :: v_dual_mov_b32 v25, v89
	ds_store_b64 v79, v[48:49]
	v_dual_mov_b32 v26, v112 :: v_dual_mov_b32 v27, v113
	v_dual_mov_b32 v28, v108 :: v_dual_mov_b32 v29, v109
	ds_store_2addr_b64 v80, v[0:1], v[2:3] offset0:14 offset1:15
	ds_store_2addr_b64 v80, v[4:5], v[6:7] offset0:16 offset1:17
	;; [unrolled: 1-line block ×6, first 2 shown]
	v_dual_mov_b32 v0, v110 :: v_dual_mov_b32 v1, v111
	v_dual_mov_b32 v2, v106 :: v_dual_mov_b32 v3, v107
	;; [unrolled: 1-line block ×12, first 2 shown]
	ds_store_2addr_b64 v80, v[0:1], v[2:3] offset0:26 offset1:27
	ds_store_2addr_b64 v80, v[4:5], v[6:7] offset0:28 offset1:29
	;; [unrolled: 1-line block ×6, first 2 shown]
	v_dual_mov_b32 v0, v164 :: v_dual_mov_b32 v1, v165
	v_dual_mov_b32 v2, v160 :: v_dual_mov_b32 v3, v161
	;; [unrolled: 1-line block ×10, first 2 shown]
	ds_store_2addr_b64 v80, v[0:1], v[2:3] offset0:38 offset1:39
	ds_store_2addr_b64 v80, v[4:5], v[6:7] offset0:40 offset1:41
	;; [unrolled: 1-line block ×5, first 2 shown]
	ds_store_b64 v80, v[196:197] offset:384
	ds_load_b64 v[0:1], v79
	s_wait_dscnt 0x0
	v_cmp_neq_f32_e32 vcc_lo, 0, v0
	v_cmp_neq_f32_e64 s1, 0, v1
	s_or_b32 s1, vcc_lo, s1
	s_delay_alu instid0(SALU_CYCLE_1)
	s_and_b32 exec_lo, exec_lo, s1
	s_cbranch_execz .LBB97_125
; %bb.120:
	v_cmp_ngt_f32_e64 s1, |v0|, |v1|
                                        ; implicit-def: $vgpr2_vgpr3
	s_and_saveexec_b32 s4, s1
	s_delay_alu instid0(SALU_CYCLE_1)
	s_xor_b32 s1, exec_lo, s4
	s_cbranch_execz .LBB97_122
; %bb.121:
	v_div_scale_f32 v2, null, v1, v1, v0
	v_div_scale_f32 v5, vcc_lo, v0, v1, v0
	s_delay_alu instid0(VALU_DEP_2) | instskip(SKIP_1) | instid1(TRANS32_DEP_1)
	v_rcp_f32_e32 v3, v2
	v_nop
	v_fma_f32 v4, -v2, v3, 1.0
	s_delay_alu instid0(VALU_DEP_1) | instskip(NEXT) | instid1(VALU_DEP_1)
	v_fmac_f32_e32 v3, v4, v3
	v_mul_f32_e32 v4, v5, v3
	s_delay_alu instid0(VALU_DEP_1) | instskip(NEXT) | instid1(VALU_DEP_1)
	v_fma_f32 v6, -v2, v4, v5
	v_fmac_f32_e32 v4, v6, v3
	s_delay_alu instid0(VALU_DEP_1) | instskip(NEXT) | instid1(VALU_DEP_1)
	v_fma_f32 v2, -v2, v4, v5
	v_div_fmas_f32 v2, v2, v3, v4
	s_delay_alu instid0(VALU_DEP_1) | instskip(NEXT) | instid1(VALU_DEP_1)
	v_div_fixup_f32 v2, v2, v1, v0
	v_fmac_f32_e32 v1, v0, v2
	s_delay_alu instid0(VALU_DEP_1) | instskip(SKIP_1) | instid1(VALU_DEP_2)
	v_div_scale_f32 v0, null, v1, v1, 1.0
	v_div_scale_f32 v5, vcc_lo, 1.0, v1, 1.0
	v_rcp_f32_e32 v3, v0
	v_nop
	s_delay_alu instid0(TRANS32_DEP_1) | instskip(NEXT) | instid1(VALU_DEP_1)
	v_fma_f32 v4, -v0, v3, 1.0
	v_fmac_f32_e32 v3, v4, v3
	s_delay_alu instid0(VALU_DEP_1) | instskip(NEXT) | instid1(VALU_DEP_1)
	v_mul_f32_e32 v4, v5, v3
	v_fma_f32 v6, -v0, v4, v5
	s_delay_alu instid0(VALU_DEP_1) | instskip(NEXT) | instid1(VALU_DEP_1)
	v_fmac_f32_e32 v4, v6, v3
	v_fma_f32 v0, -v0, v4, v5
	s_delay_alu instid0(VALU_DEP_1) | instskip(NEXT) | instid1(VALU_DEP_1)
	v_div_fmas_f32 v0, v0, v3, v4
	v_div_fixup_f32 v0, v0, v1, 1.0
	s_delay_alu instid0(VALU_DEP_1)
	v_mul_f32_e32 v2, v2, v0
	v_xor_b32_e32 v3, 0x80000000, v0
                                        ; implicit-def: $vgpr0_vgpr1
.LBB97_122:
	s_and_not1_saveexec_b32 s1, s1
	s_cbranch_execz .LBB97_124
; %bb.123:
	v_div_scale_f32 v2, null, v0, v0, v1
	v_div_scale_f32 v5, vcc_lo, v1, v0, v1
	s_delay_alu instid0(VALU_DEP_2) | instskip(SKIP_1) | instid1(TRANS32_DEP_1)
	v_rcp_f32_e32 v3, v2
	v_nop
	v_fma_f32 v4, -v2, v3, 1.0
	s_delay_alu instid0(VALU_DEP_1) | instskip(NEXT) | instid1(VALU_DEP_1)
	v_fmac_f32_e32 v3, v4, v3
	v_mul_f32_e32 v4, v5, v3
	s_delay_alu instid0(VALU_DEP_1) | instskip(NEXT) | instid1(VALU_DEP_1)
	v_fma_f32 v6, -v2, v4, v5
	v_fmac_f32_e32 v4, v6, v3
	s_delay_alu instid0(VALU_DEP_1) | instskip(NEXT) | instid1(VALU_DEP_1)
	v_fma_f32 v2, -v2, v4, v5
	v_div_fmas_f32 v2, v2, v3, v4
	s_delay_alu instid0(VALU_DEP_1) | instskip(NEXT) | instid1(VALU_DEP_1)
	v_div_fixup_f32 v3, v2, v0, v1
	v_fmac_f32_e32 v0, v1, v3
	s_delay_alu instid0(VALU_DEP_1) | instskip(NEXT) | instid1(VALU_DEP_1)
	v_div_scale_f32 v1, null, v0, v0, 1.0
	v_rcp_f32_e32 v2, v1
	v_nop
	s_delay_alu instid0(TRANS32_DEP_1) | instskip(NEXT) | instid1(VALU_DEP_1)
	v_fma_f32 v4, -v1, v2, 1.0
	v_fmac_f32_e32 v2, v4, v2
	v_div_scale_f32 v4, vcc_lo, 1.0, v0, 1.0
	s_delay_alu instid0(VALU_DEP_1) | instskip(NEXT) | instid1(VALU_DEP_1)
	v_mul_f32_e32 v5, v4, v2
	v_fma_f32 v6, -v1, v5, v4
	s_delay_alu instid0(VALU_DEP_1) | instskip(NEXT) | instid1(VALU_DEP_1)
	v_fmac_f32_e32 v5, v6, v2
	v_fma_f32 v1, -v1, v5, v4
	s_delay_alu instid0(VALU_DEP_1) | instskip(NEXT) | instid1(VALU_DEP_1)
	v_div_fmas_f32 v1, v1, v2, v5
	v_div_fixup_f32 v2, v1, v0, 1.0
	s_delay_alu instid0(VALU_DEP_1)
	v_mul_f32_e64 v3, v3, -v2
.LBB97_124:
	s_or_b32 exec_lo, exec_lo, s1
	ds_store_b64 v79, v[2:3]
.LBB97_125:
	s_or_b32 exec_lo, exec_lo, s2
	s_wait_dscnt 0x0
	s_barrier_signal -1
	s_barrier_wait -1
	ds_load_b64 v[0:1], v79
	s_mov_b32 s1, exec_lo
	s_wait_dscnt 0x0
	scratch_store_b64 off, v[0:1], off offset:72 ; 8-byte Folded Spill
	s_wait_xcnt 0x0
	v_cmpx_lt_u32_e32 13, v78
	s_cbranch_execz .LBB97_127
; %bb.126:
	scratch_load_b64 v[4:5], off, off offset:72 ; 8-byte Folded Reload
	s_wait_loadcnt 0x0
	v_pk_mul_f32 v[2:3], v[4:5], v[48:49] op_sel:[1,1] op_sel_hi:[0,1]
	s_delay_alu instid0(VALU_DEP_1)
	v_pk_fma_f32 v[0:1], v[4:5], v[48:49], v[2:3] op_sel_hi:[1,0,1] neg_lo:[0,0,1] neg_hi:[0,0,1]
	v_pk_fma_f32 v[2:3], v[4:5], v[48:49], v[2:3] op_sel_hi:[1,0,1]
	ds_load_2addr_b64 v[4:7], v80 offset0:14 offset1:15
	v_dual_mov_b32 v48, v0 :: v_dual_mov_b32 v49, v3
	s_wait_dscnt 0x0
	v_pk_mul_f32 v[8:9], v[4:5], v[2:3] op_sel:[0,1]
	s_delay_alu instid0(VALU_DEP_1) | instskip(SKIP_1) | instid1(VALU_DEP_1)
	v_pk_fma_f32 v[10:11], v[4:5], v[0:1], v[8:9] op_sel:[0,0,1] op_sel_hi:[1,1,0] neg_lo:[0,0,1] neg_hi:[0,0,1]
	v_pk_fma_f32 v[4:5], v[4:5], v[0:1], v[8:9] op_sel:[0,0,1] op_sel_hi:[1,0,0]
	v_mov_b32_e32 v11, v5
	v_pk_mul_f32 v[4:5], v[6:7], v[2:3] op_sel:[0,1]
	s_delay_alu instid0(VALU_DEP_1) | instskip(SKIP_1) | instid1(VALU_DEP_1)
	v_pk_fma_f32 v[8:9], v[6:7], v[0:1], v[4:5] op_sel:[0,0,1] op_sel_hi:[1,1,0] neg_lo:[0,0,1] neg_hi:[0,0,1]
	v_pk_fma_f32 v[4:5], v[6:7], v[0:1], v[4:5] op_sel:[0,0,1] op_sel_hi:[1,0,0]
	v_mov_b32_e32 v9, v5
	ds_load_2addr_b64 v[4:7], v80 offset0:16 offset1:17
	v_pk_add_f32 v[50:51], v[50:51], v[10:11] neg_lo:[0,1] neg_hi:[0,1]
	v_pk_add_f32 v[46:47], v[46:47], v[8:9] neg_lo:[0,1] neg_hi:[0,1]
	s_wait_dscnt 0x0
	v_pk_mul_f32 v[8:9], v[4:5], v[2:3] op_sel:[0,1]
	s_delay_alu instid0(VALU_DEP_1) | instskip(SKIP_2) | instid1(VALU_DEP_2)
	v_pk_fma_f32 v[10:11], v[4:5], v[0:1], v[8:9] op_sel:[0,0,1] op_sel_hi:[1,1,0] neg_lo:[0,0,1] neg_hi:[0,0,1]
	v_pk_fma_f32 v[4:5], v[4:5], v[0:1], v[8:9] op_sel:[0,0,1] op_sel_hi:[1,0,0]
	v_dual_mul_f32 v8, v7, v3 :: v_dual_mov_b32 v4, v7
	v_dual_mov_b32 v11, v5 :: v_dual_mov_b32 v5, v6
	s_delay_alu instid0(VALU_DEP_2) | instskip(SKIP_1) | instid1(VALU_DEP_3)
	v_pk_fma_f32 v[8:9], v[6:7], v[48:49], v[8:9] op_sel_hi:[1,1,0] neg_lo:[0,0,1] neg_hi:[0,0,1]
	v_mul_f32_e32 v6, v7, v0
	v_pk_add_f32 v[76:77], v[76:77], v[10:11] neg_lo:[0,1] neg_hi:[0,1]
	s_delay_alu instid0(VALU_DEP_2) | instskip(NEXT) | instid1(VALU_DEP_1)
	v_pk_fma_f32 v[4:5], v[4:5], v[48:49], v[6:7] op_sel_hi:[1,1,0]
	v_mov_b32_e32 v9, v5
	ds_load_2addr_b64 v[4:7], v80 offset0:18 offset1:19
	v_pk_add_f32 v[72:73], v[72:73], v[8:9] neg_lo:[0,1] neg_hi:[0,1]
	s_wait_dscnt 0x0
	v_pk_mul_f32 v[8:9], v[4:5], v[2:3] op_sel:[0,1]
	s_delay_alu instid0(VALU_DEP_1) | instskip(SKIP_1) | instid1(VALU_DEP_1)
	v_pk_fma_f32 v[10:11], v[4:5], v[0:1], v[8:9] op_sel:[0,0,1] op_sel_hi:[1,1,0] neg_lo:[0,0,1] neg_hi:[0,0,1]
	v_pk_fma_f32 v[4:5], v[4:5], v[0:1], v[8:9] op_sel:[0,0,1] op_sel_hi:[1,0,0]
	v_mov_b32_e32 v11, v5
	v_pk_mul_f32 v[4:5], v[6:7], v[2:3] op_sel:[0,1]
	s_delay_alu instid0(VALU_DEP_1) | instskip(SKIP_1) | instid1(VALU_DEP_1)
	v_pk_fma_f32 v[8:9], v[6:7], v[0:1], v[4:5] op_sel:[0,0,1] op_sel_hi:[1,1,0] neg_lo:[0,0,1] neg_hi:[0,0,1]
	v_pk_fma_f32 v[4:5], v[6:7], v[0:1], v[4:5] op_sel:[0,0,1] op_sel_hi:[1,0,0]
	v_mov_b32_e32 v9, v5
	ds_load_2addr_b64 v[4:7], v80 offset0:20 offset1:21
	v_pk_add_f32 v[74:75], v[74:75], v[10:11] neg_lo:[0,1] neg_hi:[0,1]
	v_pk_add_f32 v[70:71], v[70:71], v[8:9] neg_lo:[0,1] neg_hi:[0,1]
	s_wait_dscnt 0x0
	v_pk_mul_f32 v[8:9], v[4:5], v[2:3] op_sel:[0,1]
	s_delay_alu instid0(VALU_DEP_1) | instskip(SKIP_1) | instid1(VALU_DEP_1)
	v_pk_fma_f32 v[10:11], v[4:5], v[0:1], v[8:9] op_sel:[0,0,1] op_sel_hi:[1,1,0] neg_lo:[0,0,1] neg_hi:[0,0,1]
	v_pk_fma_f32 v[4:5], v[4:5], v[0:1], v[8:9] op_sel:[0,0,1] op_sel_hi:[1,0,0]
	v_mov_b32_e32 v11, v5
	v_pk_mul_f32 v[4:5], v[6:7], v[2:3] op_sel:[0,1]
	s_delay_alu instid0(VALU_DEP_1) | instskip(SKIP_1) | instid1(VALU_DEP_1)
	v_pk_fma_f32 v[8:9], v[6:7], v[0:1], v[4:5] op_sel:[0,0,1] op_sel_hi:[1,1,0] neg_lo:[0,0,1] neg_hi:[0,0,1]
	v_pk_fma_f32 v[4:5], v[6:7], v[0:1], v[4:5] op_sel:[0,0,1] op_sel_hi:[1,0,0]
	v_mov_b32_e32 v9, v5
	ds_load_2addr_b64 v[4:7], v80 offset0:22 offset1:23
	v_pk_add_f32 v[94:95], v[94:95], v[10:11] neg_lo:[0,1] neg_hi:[0,1]
	v_pk_add_f32 v[90:91], v[90:91], v[8:9] neg_lo:[0,1] neg_hi:[0,1]
	s_wait_dscnt 0x0
	v_dual_mul_f32 v8, v5, v3 :: v_dual_mul_f32 v10, v5, v0
	s_delay_alu instid0(VALU_DEP_1) | instskip(NEXT) | instid1(VALU_DEP_2)
	v_pk_fma_f32 v[8:9], v[4:5], v[48:49], v[8:9] op_sel_hi:[1,1,0] neg_lo:[0,0,1] neg_hi:[0,0,1]
	v_pk_fma_f32 v[4:5], v[4:5], v[48:49], v[10:11] op_sel:[1,0,0] op_sel_hi:[0,1,0]
	s_delay_alu instid0(VALU_DEP_1) | instskip(SKIP_1) | instid1(VALU_DEP_2)
	v_mov_b32_e32 v9, v5
	v_pk_mul_f32 v[4:5], v[6:7], v[2:3] op_sel:[0,1]
	v_pk_add_f32 v[92:93], v[92:93], v[8:9] neg_lo:[0,1] neg_hi:[0,1]
	s_delay_alu instid0(VALU_DEP_2) | instskip(SKIP_1) | instid1(VALU_DEP_1)
	v_pk_fma_f32 v[8:9], v[6:7], v[0:1], v[4:5] op_sel:[0,0,1] op_sel_hi:[1,1,0] neg_lo:[0,0,1] neg_hi:[0,0,1]
	v_pk_fma_f32 v[4:5], v[6:7], v[0:1], v[4:5] op_sel:[0,0,1] op_sel_hi:[1,0,0]
	v_mov_b32_e32 v9, v5
	ds_load_2addr_b64 v[4:7], v80 offset0:24 offset1:25
	v_pk_add_f32 v[88:89], v[88:89], v[8:9] neg_lo:[0,1] neg_hi:[0,1]
	s_wait_dscnt 0x0
	v_pk_mul_f32 v[8:9], v[4:5], v[2:3] op_sel:[0,1]
	s_delay_alu instid0(VALU_DEP_1) | instskip(SKIP_1) | instid1(VALU_DEP_1)
	v_pk_fma_f32 v[10:11], v[4:5], v[0:1], v[8:9] op_sel:[0,0,1] op_sel_hi:[1,1,0] neg_lo:[0,0,1] neg_hi:[0,0,1]
	v_pk_fma_f32 v[4:5], v[4:5], v[0:1], v[8:9] op_sel:[0,0,1] op_sel_hi:[1,0,0]
	v_mov_b32_e32 v11, v5
	v_pk_mul_f32 v[4:5], v[6:7], v[2:3] op_sel:[0,1]
	s_delay_alu instid0(VALU_DEP_2) | instskip(NEXT) | instid1(VALU_DEP_2)
	v_pk_add_f32 v[112:113], v[112:113], v[10:11] neg_lo:[0,1] neg_hi:[0,1]
	v_pk_fma_f32 v[8:9], v[6:7], v[0:1], v[4:5] op_sel:[0,0,1] op_sel_hi:[1,1,0] neg_lo:[0,0,1] neg_hi:[0,0,1]
	v_pk_fma_f32 v[4:5], v[6:7], v[0:1], v[4:5] op_sel:[0,0,1] op_sel_hi:[1,0,0]
	s_delay_alu instid0(VALU_DEP_1) | instskip(SKIP_4) | instid1(VALU_DEP_1)
	v_mov_b32_e32 v9, v5
	ds_load_2addr_b64 v[4:7], v80 offset0:26 offset1:27
	v_pk_add_f32 v[108:109], v[108:109], v[8:9] neg_lo:[0,1] neg_hi:[0,1]
	s_wait_dscnt 0x0
	v_pk_mul_f32 v[8:9], v[4:5], v[2:3] op_sel:[0,1]
	v_pk_fma_f32 v[10:11], v[4:5], v[0:1], v[8:9] op_sel:[0,0,1] op_sel_hi:[1,1,0] neg_lo:[0,0,1] neg_hi:[0,0,1]
	v_pk_fma_f32 v[4:5], v[4:5], v[0:1], v[8:9] op_sel:[0,0,1] op_sel_hi:[1,0,0]
	v_dual_mul_f32 v8, v7, v3 :: v_dual_mov_b32 v4, v7
	s_delay_alu instid0(VALU_DEP_2) | instskip(NEXT) | instid1(VALU_DEP_2)
	v_dual_mov_b32 v11, v5 :: v_dual_mov_b32 v5, v6
	v_pk_fma_f32 v[8:9], v[6:7], v[48:49], v[8:9] op_sel_hi:[1,1,0] neg_lo:[0,0,1] neg_hi:[0,0,1]
	v_mul_f32_e32 v6, v7, v0
	s_delay_alu instid0(VALU_DEP_3) | instskip(NEXT) | instid1(VALU_DEP_2)
	v_pk_add_f32 v[110:111], v[110:111], v[10:11] neg_lo:[0,1] neg_hi:[0,1]
	v_pk_fma_f32 v[4:5], v[4:5], v[48:49], v[6:7] op_sel_hi:[1,1,0]
	s_delay_alu instid0(VALU_DEP_1) | instskip(SKIP_4) | instid1(VALU_DEP_1)
	v_mov_b32_e32 v9, v5
	ds_load_2addr_b64 v[4:7], v80 offset0:28 offset1:29
	v_pk_add_f32 v[106:107], v[106:107], v[8:9] neg_lo:[0,1] neg_hi:[0,1]
	s_wait_dscnt 0x0
	v_pk_mul_f32 v[8:9], v[4:5], v[2:3] op_sel:[0,1]
	v_pk_fma_f32 v[10:11], v[4:5], v[0:1], v[8:9] op_sel:[0,0,1] op_sel_hi:[1,1,0] neg_lo:[0,0,1] neg_hi:[0,0,1]
	v_pk_fma_f32 v[4:5], v[4:5], v[0:1], v[8:9] op_sel:[0,0,1] op_sel_hi:[1,0,0]
	s_delay_alu instid0(VALU_DEP_1) | instskip(SKIP_1) | instid1(VALU_DEP_1)
	v_mov_b32_e32 v11, v5
	v_pk_mul_f32 v[4:5], v[6:7], v[2:3] op_sel:[0,1]
	v_pk_fma_f32 v[8:9], v[6:7], v[0:1], v[4:5] op_sel:[0,0,1] op_sel_hi:[1,1,0] neg_lo:[0,0,1] neg_hi:[0,0,1]
	v_pk_fma_f32 v[4:5], v[6:7], v[0:1], v[4:5] op_sel:[0,0,1] op_sel_hi:[1,0,0]
	s_delay_alu instid0(VALU_DEP_1)
	v_mov_b32_e32 v9, v5
	ds_load_2addr_b64 v[4:7], v80 offset0:30 offset1:31
	v_pk_add_f32 v[128:129], v[128:129], v[10:11] neg_lo:[0,1] neg_hi:[0,1]
	v_pk_add_f32 v[124:125], v[124:125], v[8:9] neg_lo:[0,1] neg_hi:[0,1]
	s_wait_dscnt 0x0
	v_pk_mul_f32 v[8:9], v[4:5], v[2:3] op_sel:[0,1]
	s_delay_alu instid0(VALU_DEP_1) | instskip(SKIP_1) | instid1(VALU_DEP_1)
	v_pk_fma_f32 v[10:11], v[4:5], v[0:1], v[8:9] op_sel:[0,0,1] op_sel_hi:[1,1,0] neg_lo:[0,0,1] neg_hi:[0,0,1]
	v_pk_fma_f32 v[4:5], v[4:5], v[0:1], v[8:9] op_sel:[0,0,1] op_sel_hi:[1,0,0]
	v_mov_b32_e32 v11, v5
	v_pk_mul_f32 v[4:5], v[6:7], v[2:3] op_sel:[0,1]
	s_delay_alu instid0(VALU_DEP_1) | instskip(SKIP_1) | instid1(VALU_DEP_1)
	v_pk_fma_f32 v[8:9], v[6:7], v[0:1], v[4:5] op_sel:[0,0,1] op_sel_hi:[1,1,0] neg_lo:[0,0,1] neg_hi:[0,0,1]
	v_pk_fma_f32 v[4:5], v[6:7], v[0:1], v[4:5] op_sel:[0,0,1] op_sel_hi:[1,0,0]
	v_mov_b32_e32 v9, v5
	ds_load_2addr_b64 v[4:7], v80 offset0:32 offset1:33
	v_pk_add_f32 v[126:127], v[126:127], v[10:11] neg_lo:[0,1] neg_hi:[0,1]
	v_pk_add_f32 v[122:123], v[122:123], v[8:9] neg_lo:[0,1] neg_hi:[0,1]
	s_wait_dscnt 0x0
	v_dual_mul_f32 v8, v5, v3 :: v_dual_mul_f32 v10, v5, v0
	s_delay_alu instid0(VALU_DEP_1) | instskip(NEXT) | instid1(VALU_DEP_2)
	v_pk_fma_f32 v[8:9], v[4:5], v[48:49], v[8:9] op_sel_hi:[1,1,0] neg_lo:[0,0,1] neg_hi:[0,0,1]
	v_pk_fma_f32 v[4:5], v[4:5], v[48:49], v[10:11] op_sel:[1,0,0] op_sel_hi:[0,1,0]
	s_delay_alu instid0(VALU_DEP_1) | instskip(SKIP_1) | instid1(VALU_DEP_2)
	v_mov_b32_e32 v9, v5
	v_pk_mul_f32 v[4:5], v[6:7], v[2:3] op_sel:[0,1]
	v_pk_add_f32 v[144:145], v[144:145], v[8:9] neg_lo:[0,1] neg_hi:[0,1]
	s_delay_alu instid0(VALU_DEP_2) | instskip(SKIP_1) | instid1(VALU_DEP_1)
	v_pk_fma_f32 v[8:9], v[6:7], v[0:1], v[4:5] op_sel:[0,0,1] op_sel_hi:[1,1,0] neg_lo:[0,0,1] neg_hi:[0,0,1]
	v_pk_fma_f32 v[4:5], v[6:7], v[0:1], v[4:5] op_sel:[0,0,1] op_sel_hi:[1,0,0]
	v_mov_b32_e32 v9, v5
	ds_load_2addr_b64 v[4:7], v80 offset0:34 offset1:35
	v_pk_add_f32 v[140:141], v[140:141], v[8:9] neg_lo:[0,1] neg_hi:[0,1]
	s_wait_dscnt 0x0
	v_pk_mul_f32 v[8:9], v[4:5], v[2:3] op_sel:[0,1]
	s_delay_alu instid0(VALU_DEP_1) | instskip(SKIP_1) | instid1(VALU_DEP_1)
	v_pk_fma_f32 v[10:11], v[4:5], v[0:1], v[8:9] op_sel:[0,0,1] op_sel_hi:[1,1,0] neg_lo:[0,0,1] neg_hi:[0,0,1]
	v_pk_fma_f32 v[4:5], v[4:5], v[0:1], v[8:9] op_sel:[0,0,1] op_sel_hi:[1,0,0]
	v_mov_b32_e32 v11, v5
	v_pk_mul_f32 v[4:5], v[6:7], v[2:3] op_sel:[0,1]
	s_delay_alu instid0(VALU_DEP_2) | instskip(NEXT) | instid1(VALU_DEP_2)
	v_pk_add_f32 v[142:143], v[142:143], v[10:11] neg_lo:[0,1] neg_hi:[0,1]
	v_pk_fma_f32 v[8:9], v[6:7], v[0:1], v[4:5] op_sel:[0,0,1] op_sel_hi:[1,1,0] neg_lo:[0,0,1] neg_hi:[0,0,1]
	v_pk_fma_f32 v[4:5], v[6:7], v[0:1], v[4:5] op_sel:[0,0,1] op_sel_hi:[1,0,0]
	s_delay_alu instid0(VALU_DEP_1) | instskip(SKIP_4) | instid1(VALU_DEP_1)
	v_mov_b32_e32 v9, v5
	ds_load_2addr_b64 v[4:7], v80 offset0:36 offset1:37
	v_pk_add_f32 v[138:139], v[138:139], v[8:9] neg_lo:[0,1] neg_hi:[0,1]
	s_wait_dscnt 0x0
	v_pk_mul_f32 v[8:9], v[4:5], v[2:3] op_sel:[0,1]
	v_pk_fma_f32 v[10:11], v[4:5], v[0:1], v[8:9] op_sel:[0,0,1] op_sel_hi:[1,1,0] neg_lo:[0,0,1] neg_hi:[0,0,1]
	v_pk_fma_f32 v[4:5], v[4:5], v[0:1], v[8:9] op_sel:[0,0,1] op_sel_hi:[1,0,0]
	v_dual_mul_f32 v8, v7, v3 :: v_dual_mov_b32 v4, v7
	s_delay_alu instid0(VALU_DEP_2) | instskip(NEXT) | instid1(VALU_DEP_2)
	v_dual_mov_b32 v11, v5 :: v_dual_mov_b32 v5, v6
	v_pk_fma_f32 v[8:9], v[6:7], v[48:49], v[8:9] op_sel_hi:[1,1,0] neg_lo:[0,0,1] neg_hi:[0,0,1]
	v_mul_f32_e32 v6, v7, v0
	s_delay_alu instid0(VALU_DEP_3) | instskip(NEXT) | instid1(VALU_DEP_2)
	v_pk_add_f32 v[166:167], v[166:167], v[10:11] neg_lo:[0,1] neg_hi:[0,1]
	v_pk_fma_f32 v[4:5], v[4:5], v[48:49], v[6:7] op_sel_hi:[1,1,0]
	s_delay_alu instid0(VALU_DEP_1) | instskip(SKIP_4) | instid1(VALU_DEP_1)
	v_mov_b32_e32 v9, v5
	ds_load_2addr_b64 v[4:7], v80 offset0:38 offset1:39
	v_pk_add_f32 v[162:163], v[162:163], v[8:9] neg_lo:[0,1] neg_hi:[0,1]
	s_wait_dscnt 0x0
	v_pk_mul_f32 v[8:9], v[4:5], v[2:3] op_sel:[0,1]
	v_pk_fma_f32 v[10:11], v[4:5], v[0:1], v[8:9] op_sel:[0,0,1] op_sel_hi:[1,1,0] neg_lo:[0,0,1] neg_hi:[0,0,1]
	v_pk_fma_f32 v[4:5], v[4:5], v[0:1], v[8:9] op_sel:[0,0,1] op_sel_hi:[1,0,0]
	s_delay_alu instid0(VALU_DEP_1) | instskip(SKIP_1) | instid1(VALU_DEP_1)
	v_mov_b32_e32 v11, v5
	v_pk_mul_f32 v[4:5], v[6:7], v[2:3] op_sel:[0,1]
	v_pk_fma_f32 v[8:9], v[6:7], v[0:1], v[4:5] op_sel:[0,0,1] op_sel_hi:[1,1,0] neg_lo:[0,0,1] neg_hi:[0,0,1]
	v_pk_fma_f32 v[4:5], v[6:7], v[0:1], v[4:5] op_sel:[0,0,1] op_sel_hi:[1,0,0]
	s_delay_alu instid0(VALU_DEP_1)
	v_mov_b32_e32 v9, v5
	ds_load_2addr_b64 v[4:7], v80 offset0:40 offset1:41
	v_pk_add_f32 v[164:165], v[164:165], v[10:11] neg_lo:[0,1] neg_hi:[0,1]
	v_pk_add_f32 v[160:161], v[160:161], v[8:9] neg_lo:[0,1] neg_hi:[0,1]
	s_wait_dscnt 0x0
	v_pk_mul_f32 v[8:9], v[4:5], v[2:3] op_sel:[0,1]
	s_delay_alu instid0(VALU_DEP_1) | instskip(SKIP_1) | instid1(VALU_DEP_1)
	v_pk_fma_f32 v[10:11], v[4:5], v[0:1], v[8:9] op_sel:[0,0,1] op_sel_hi:[1,1,0] neg_lo:[0,0,1] neg_hi:[0,0,1]
	v_pk_fma_f32 v[4:5], v[4:5], v[0:1], v[8:9] op_sel:[0,0,1] op_sel_hi:[1,0,0]
	v_mov_b32_e32 v11, v5
	v_pk_mul_f32 v[4:5], v[6:7], v[2:3] op_sel:[0,1]
	s_delay_alu instid0(VALU_DEP_1) | instskip(SKIP_1) | instid1(VALU_DEP_1)
	v_pk_fma_f32 v[8:9], v[6:7], v[0:1], v[4:5] op_sel:[0,0,1] op_sel_hi:[1,1,0] neg_lo:[0,0,1] neg_hi:[0,0,1]
	v_pk_fma_f32 v[4:5], v[6:7], v[0:1], v[4:5] op_sel:[0,0,1] op_sel_hi:[1,0,0]
	v_mov_b32_e32 v9, v5
	ds_load_2addr_b64 v[4:7], v80 offset0:42 offset1:43
	v_pk_add_f32 v[192:193], v[192:193], v[10:11] neg_lo:[0,1] neg_hi:[0,1]
	v_pk_add_f32 v[184:185], v[184:185], v[8:9] neg_lo:[0,1] neg_hi:[0,1]
	s_wait_dscnt 0x0
	v_dual_mul_f32 v8, v5, v3 :: v_dual_mul_f32 v10, v5, v0
	s_delay_alu instid0(VALU_DEP_1) | instskip(NEXT) | instid1(VALU_DEP_2)
	v_pk_fma_f32 v[8:9], v[4:5], v[48:49], v[8:9] op_sel_hi:[1,1,0] neg_lo:[0,0,1] neg_hi:[0,0,1]
	v_pk_fma_f32 v[4:5], v[4:5], v[48:49], v[10:11] op_sel:[1,0,0] op_sel_hi:[0,1,0]
	s_delay_alu instid0(VALU_DEP_1) | instskip(SKIP_1) | instid1(VALU_DEP_2)
	v_mov_b32_e32 v9, v5
	v_pk_mul_f32 v[4:5], v[6:7], v[2:3] op_sel:[0,1]
	v_pk_add_f32 v[190:191], v[190:191], v[8:9] neg_lo:[0,1] neg_hi:[0,1]
	s_delay_alu instid0(VALU_DEP_2) | instskip(SKIP_1) | instid1(VALU_DEP_1)
	v_pk_fma_f32 v[8:9], v[6:7], v[0:1], v[4:5] op_sel:[0,0,1] op_sel_hi:[1,1,0] neg_lo:[0,0,1] neg_hi:[0,0,1]
	v_pk_fma_f32 v[4:5], v[6:7], v[0:1], v[4:5] op_sel:[0,0,1] op_sel_hi:[1,0,0]
	v_mov_b32_e32 v9, v5
	ds_load_2addr_b64 v[4:7], v80 offset0:44 offset1:45
	v_pk_add_f32 v[182:183], v[182:183], v[8:9] neg_lo:[0,1] neg_hi:[0,1]
	s_wait_dscnt 0x0
	v_pk_mul_f32 v[8:9], v[4:5], v[2:3] op_sel:[0,1]
	s_delay_alu instid0(VALU_DEP_1) | instskip(SKIP_1) | instid1(VALU_DEP_1)
	v_pk_fma_f32 v[10:11], v[4:5], v[0:1], v[8:9] op_sel:[0,0,1] op_sel_hi:[1,1,0] neg_lo:[0,0,1] neg_hi:[0,0,1]
	v_pk_fma_f32 v[4:5], v[4:5], v[0:1], v[8:9] op_sel:[0,0,1] op_sel_hi:[1,0,0]
	v_mov_b32_e32 v11, v5
	v_pk_mul_f32 v[4:5], v[6:7], v[2:3] op_sel:[0,1]
	s_delay_alu instid0(VALU_DEP_2) | instskip(NEXT) | instid1(VALU_DEP_2)
	v_pk_add_f32 v[188:189], v[188:189], v[10:11] neg_lo:[0,1] neg_hi:[0,1]
	v_pk_fma_f32 v[8:9], v[6:7], v[0:1], v[4:5] op_sel:[0,0,1] op_sel_hi:[1,1,0] neg_lo:[0,0,1] neg_hi:[0,0,1]
	v_pk_fma_f32 v[4:5], v[6:7], v[0:1], v[4:5] op_sel:[0,0,1] op_sel_hi:[1,0,0]
	s_delay_alu instid0(VALU_DEP_1) | instskip(SKIP_4) | instid1(VALU_DEP_1)
	v_mov_b32_e32 v9, v5
	ds_load_2addr_b64 v[4:7], v80 offset0:46 offset1:47
	v_pk_add_f32 v[180:181], v[180:181], v[8:9] neg_lo:[0,1] neg_hi:[0,1]
	s_wait_dscnt 0x0
	v_pk_mul_f32 v[8:9], v[4:5], v[2:3] op_sel:[0,1]
	v_pk_fma_f32 v[10:11], v[4:5], v[0:1], v[8:9] op_sel:[0,0,1] op_sel_hi:[1,1,0] neg_lo:[0,0,1] neg_hi:[0,0,1]
	v_pk_fma_f32 v[4:5], v[4:5], v[0:1], v[8:9] op_sel:[0,0,1] op_sel_hi:[1,0,0]
	v_dual_mul_f32 v8, v7, v3 :: v_dual_mov_b32 v4, v7
	s_delay_alu instid0(VALU_DEP_2) | instskip(NEXT) | instid1(VALU_DEP_2)
	v_dual_mov_b32 v11, v5 :: v_dual_mov_b32 v5, v6
	v_pk_fma_f32 v[8:9], v[6:7], v[48:49], v[8:9] op_sel_hi:[1,1,0] neg_lo:[0,0,1] neg_hi:[0,0,1]
	v_mul_f32_e32 v6, v7, v0
	s_delay_alu instid0(VALU_DEP_3) | instskip(NEXT) | instid1(VALU_DEP_2)
	v_pk_add_f32 v[186:187], v[186:187], v[10:11] neg_lo:[0,1] neg_hi:[0,1]
	v_pk_fma_f32 v[4:5], v[4:5], v[48:49], v[6:7] op_sel_hi:[1,1,0]
	s_delay_alu instid0(VALU_DEP_1) | instskip(SKIP_4) | instid1(VALU_DEP_1)
	v_mov_b32_e32 v9, v5
	ds_load_b64 v[4:5], v80 offset:384
	v_pk_add_f32 v[194:195], v[194:195], v[8:9] neg_lo:[0,1] neg_hi:[0,1]
	s_wait_dscnt 0x0
	v_pk_mul_f32 v[2:3], v[4:5], v[2:3] op_sel:[0,1]
	v_pk_fma_f32 v[6:7], v[4:5], v[0:1], v[2:3] op_sel:[0,0,1] op_sel_hi:[1,1,0] neg_lo:[0,0,1] neg_hi:[0,0,1]
	v_pk_fma_f32 v[0:1], v[4:5], v[0:1], v[2:3] op_sel:[0,0,1] op_sel_hi:[1,0,0]
	s_delay_alu instid0(VALU_DEP_1) | instskip(NEXT) | instid1(VALU_DEP_1)
	v_mov_b32_e32 v7, v1
	v_pk_add_f32 v[196:197], v[196:197], v[6:7] neg_lo:[0,1] neg_hi:[0,1]
.LBB97_127:
	s_wait_xcnt 0x0
	s_or_b32 exec_lo, exec_lo, s1
	s_delay_alu instid0(SALU_CYCLE_1)
	s_mov_b32 s2, exec_lo
	s_wait_storecnt 0x0
	s_barrier_signal -1
	s_barrier_wait -1
	v_cmpx_eq_u32_e32 14, v78
	s_cbranch_execz .LBB97_134
; %bb.128:
	ds_store_b64 v79, v[50:51]
	ds_store_2addr_b64 v80, v[46:47], v[76:77] offset0:15 offset1:16
	ds_store_2addr_b64 v80, v[72:73], v[74:75] offset0:17 offset1:18
	;; [unrolled: 1-line block ×17, first 2 shown]
	ds_load_b64 v[0:1], v79
	s_wait_dscnt 0x0
	v_cmp_neq_f32_e32 vcc_lo, 0, v0
	v_cmp_neq_f32_e64 s1, 0, v1
	s_or_b32 s1, vcc_lo, s1
	s_delay_alu instid0(SALU_CYCLE_1)
	s_and_b32 exec_lo, exec_lo, s1
	s_cbranch_execz .LBB97_134
; %bb.129:
	v_cmp_ngt_f32_e64 s1, |v0|, |v1|
                                        ; implicit-def: $vgpr2_vgpr3
	s_and_saveexec_b32 s4, s1
	s_delay_alu instid0(SALU_CYCLE_1)
	s_xor_b32 s1, exec_lo, s4
	s_cbranch_execz .LBB97_131
; %bb.130:
	v_div_scale_f32 v2, null, v1, v1, v0
	v_div_scale_f32 v5, vcc_lo, v0, v1, v0
	s_delay_alu instid0(VALU_DEP_2) | instskip(SKIP_1) | instid1(TRANS32_DEP_1)
	v_rcp_f32_e32 v3, v2
	v_nop
	v_fma_f32 v4, -v2, v3, 1.0
	s_delay_alu instid0(VALU_DEP_1) | instskip(NEXT) | instid1(VALU_DEP_1)
	v_fmac_f32_e32 v3, v4, v3
	v_mul_f32_e32 v4, v5, v3
	s_delay_alu instid0(VALU_DEP_1) | instskip(NEXT) | instid1(VALU_DEP_1)
	v_fma_f32 v6, -v2, v4, v5
	v_fmac_f32_e32 v4, v6, v3
	s_delay_alu instid0(VALU_DEP_1) | instskip(NEXT) | instid1(VALU_DEP_1)
	v_fma_f32 v2, -v2, v4, v5
	v_div_fmas_f32 v2, v2, v3, v4
	s_delay_alu instid0(VALU_DEP_1) | instskip(NEXT) | instid1(VALU_DEP_1)
	v_div_fixup_f32 v2, v2, v1, v0
	v_fmac_f32_e32 v1, v0, v2
	s_delay_alu instid0(VALU_DEP_1) | instskip(SKIP_1) | instid1(VALU_DEP_2)
	v_div_scale_f32 v0, null, v1, v1, 1.0
	v_div_scale_f32 v5, vcc_lo, 1.0, v1, 1.0
	v_rcp_f32_e32 v3, v0
	v_nop
	s_delay_alu instid0(TRANS32_DEP_1) | instskip(NEXT) | instid1(VALU_DEP_1)
	v_fma_f32 v4, -v0, v3, 1.0
	v_fmac_f32_e32 v3, v4, v3
	s_delay_alu instid0(VALU_DEP_1) | instskip(NEXT) | instid1(VALU_DEP_1)
	v_mul_f32_e32 v4, v5, v3
	v_fma_f32 v6, -v0, v4, v5
	s_delay_alu instid0(VALU_DEP_1) | instskip(NEXT) | instid1(VALU_DEP_1)
	v_fmac_f32_e32 v4, v6, v3
	v_fma_f32 v0, -v0, v4, v5
	s_delay_alu instid0(VALU_DEP_1) | instskip(NEXT) | instid1(VALU_DEP_1)
	v_div_fmas_f32 v0, v0, v3, v4
	v_div_fixup_f32 v0, v0, v1, 1.0
	s_delay_alu instid0(VALU_DEP_1)
	v_mul_f32_e32 v2, v2, v0
	v_xor_b32_e32 v3, 0x80000000, v0
                                        ; implicit-def: $vgpr0_vgpr1
.LBB97_131:
	s_and_not1_saveexec_b32 s1, s1
	s_cbranch_execz .LBB97_133
; %bb.132:
	v_div_scale_f32 v2, null, v0, v0, v1
	v_div_scale_f32 v5, vcc_lo, v1, v0, v1
	s_delay_alu instid0(VALU_DEP_2) | instskip(SKIP_1) | instid1(TRANS32_DEP_1)
	v_rcp_f32_e32 v3, v2
	v_nop
	v_fma_f32 v4, -v2, v3, 1.0
	s_delay_alu instid0(VALU_DEP_1) | instskip(NEXT) | instid1(VALU_DEP_1)
	v_fmac_f32_e32 v3, v4, v3
	v_mul_f32_e32 v4, v5, v3
	s_delay_alu instid0(VALU_DEP_1) | instskip(NEXT) | instid1(VALU_DEP_1)
	v_fma_f32 v6, -v2, v4, v5
	v_fmac_f32_e32 v4, v6, v3
	s_delay_alu instid0(VALU_DEP_1) | instskip(NEXT) | instid1(VALU_DEP_1)
	v_fma_f32 v2, -v2, v4, v5
	v_div_fmas_f32 v2, v2, v3, v4
	s_delay_alu instid0(VALU_DEP_1) | instskip(NEXT) | instid1(VALU_DEP_1)
	v_div_fixup_f32 v3, v2, v0, v1
	v_fmac_f32_e32 v0, v1, v3
	s_delay_alu instid0(VALU_DEP_1) | instskip(NEXT) | instid1(VALU_DEP_1)
	v_div_scale_f32 v1, null, v0, v0, 1.0
	v_rcp_f32_e32 v2, v1
	v_nop
	s_delay_alu instid0(TRANS32_DEP_1) | instskip(NEXT) | instid1(VALU_DEP_1)
	v_fma_f32 v4, -v1, v2, 1.0
	v_fmac_f32_e32 v2, v4, v2
	v_div_scale_f32 v4, vcc_lo, 1.0, v0, 1.0
	s_delay_alu instid0(VALU_DEP_1) | instskip(NEXT) | instid1(VALU_DEP_1)
	v_mul_f32_e32 v5, v4, v2
	v_fma_f32 v6, -v1, v5, v4
	s_delay_alu instid0(VALU_DEP_1) | instskip(NEXT) | instid1(VALU_DEP_1)
	v_fmac_f32_e32 v5, v6, v2
	v_fma_f32 v1, -v1, v5, v4
	s_delay_alu instid0(VALU_DEP_1) | instskip(NEXT) | instid1(VALU_DEP_1)
	v_div_fmas_f32 v1, v1, v2, v5
	v_div_fixup_f32 v2, v1, v0, 1.0
	s_delay_alu instid0(VALU_DEP_1)
	v_mul_f32_e64 v3, v3, -v2
.LBB97_133:
	s_or_b32 exec_lo, exec_lo, s1
	ds_store_b64 v79, v[2:3]
.LBB97_134:
	s_or_b32 exec_lo, exec_lo, s2
	s_wait_dscnt 0x0
	s_barrier_signal -1
	s_barrier_wait -1
	ds_load_b64 v[0:1], v79
	s_mov_b32 s1, exec_lo
	s_wait_dscnt 0x0
	scratch_store_b64 off, v[0:1], off offset:80 ; 8-byte Folded Spill
	s_wait_xcnt 0x0
	v_cmpx_lt_u32_e32 14, v78
	s_cbranch_execz .LBB97_136
; %bb.135:
	scratch_load_b64 v[4:5], off, off offset:80 ; 8-byte Folded Reload
	s_wait_loadcnt 0x0
	v_pk_mul_f32 v[2:3], v[4:5], v[50:51] op_sel:[1,1] op_sel_hi:[0,1]
	s_delay_alu instid0(VALU_DEP_1)
	v_pk_fma_f32 v[0:1], v[4:5], v[50:51], v[2:3] op_sel_hi:[1,0,1] neg_lo:[0,0,1] neg_hi:[0,0,1]
	v_pk_fma_f32 v[2:3], v[4:5], v[50:51], v[2:3] op_sel_hi:[1,0,1]
	ds_load_2addr_b64 v[4:7], v80 offset0:15 offset1:16
	v_dual_mov_b32 v50, v0 :: v_dual_mov_b32 v51, v3
	s_wait_dscnt 0x0
	v_pk_mul_f32 v[8:9], v[4:5], v[2:3] op_sel:[0,1]
	s_delay_alu instid0(VALU_DEP_1) | instskip(SKIP_1) | instid1(VALU_DEP_1)
	v_pk_fma_f32 v[10:11], v[4:5], v[0:1], v[8:9] op_sel:[0,0,1] op_sel_hi:[1,1,0] neg_lo:[0,0,1] neg_hi:[0,0,1]
	v_pk_fma_f32 v[4:5], v[4:5], v[0:1], v[8:9] op_sel:[0,0,1] op_sel_hi:[1,0,0]
	v_mov_b32_e32 v11, v5
	v_pk_mul_f32 v[4:5], v[6:7], v[2:3] op_sel:[0,1]
	s_delay_alu instid0(VALU_DEP_1) | instskip(SKIP_1) | instid1(VALU_DEP_1)
	v_pk_fma_f32 v[8:9], v[6:7], v[0:1], v[4:5] op_sel:[0,0,1] op_sel_hi:[1,1,0] neg_lo:[0,0,1] neg_hi:[0,0,1]
	v_pk_fma_f32 v[4:5], v[6:7], v[0:1], v[4:5] op_sel:[0,0,1] op_sel_hi:[1,0,0]
	v_mov_b32_e32 v9, v5
	ds_load_2addr_b64 v[4:7], v80 offset0:17 offset1:18
	v_pk_add_f32 v[46:47], v[46:47], v[10:11] neg_lo:[0,1] neg_hi:[0,1]
	v_pk_add_f32 v[76:77], v[76:77], v[8:9] neg_lo:[0,1] neg_hi:[0,1]
	s_wait_dscnt 0x0
	v_pk_mul_f32 v[8:9], v[4:5], v[2:3] op_sel:[0,1]
	s_delay_alu instid0(VALU_DEP_1) | instskip(SKIP_2) | instid1(VALU_DEP_2)
	v_pk_fma_f32 v[10:11], v[4:5], v[0:1], v[8:9] op_sel:[0,0,1] op_sel_hi:[1,1,0] neg_lo:[0,0,1] neg_hi:[0,0,1]
	v_pk_fma_f32 v[4:5], v[4:5], v[0:1], v[8:9] op_sel:[0,0,1] op_sel_hi:[1,0,0]
	v_dual_mul_f32 v8, v7, v3 :: v_dual_mov_b32 v4, v7
	v_dual_mov_b32 v11, v5 :: v_dual_mov_b32 v5, v6
	s_delay_alu instid0(VALU_DEP_2) | instskip(SKIP_1) | instid1(VALU_DEP_3)
	v_pk_fma_f32 v[8:9], v[6:7], v[50:51], v[8:9] op_sel_hi:[1,1,0] neg_lo:[0,0,1] neg_hi:[0,0,1]
	v_mul_f32_e32 v6, v7, v0
	v_pk_add_f32 v[72:73], v[72:73], v[10:11] neg_lo:[0,1] neg_hi:[0,1]
	s_delay_alu instid0(VALU_DEP_2) | instskip(NEXT) | instid1(VALU_DEP_1)
	v_pk_fma_f32 v[4:5], v[4:5], v[50:51], v[6:7] op_sel_hi:[1,1,0]
	v_mov_b32_e32 v9, v5
	ds_load_2addr_b64 v[4:7], v80 offset0:19 offset1:20
	v_pk_add_f32 v[74:75], v[74:75], v[8:9] neg_lo:[0,1] neg_hi:[0,1]
	s_wait_dscnt 0x0
	v_pk_mul_f32 v[8:9], v[4:5], v[2:3] op_sel:[0,1]
	s_delay_alu instid0(VALU_DEP_1) | instskip(SKIP_1) | instid1(VALU_DEP_1)
	v_pk_fma_f32 v[10:11], v[4:5], v[0:1], v[8:9] op_sel:[0,0,1] op_sel_hi:[1,1,0] neg_lo:[0,0,1] neg_hi:[0,0,1]
	v_pk_fma_f32 v[4:5], v[4:5], v[0:1], v[8:9] op_sel:[0,0,1] op_sel_hi:[1,0,0]
	v_mov_b32_e32 v11, v5
	v_pk_mul_f32 v[4:5], v[6:7], v[2:3] op_sel:[0,1]
	s_delay_alu instid0(VALU_DEP_1) | instskip(SKIP_1) | instid1(VALU_DEP_1)
	v_pk_fma_f32 v[8:9], v[6:7], v[0:1], v[4:5] op_sel:[0,0,1] op_sel_hi:[1,1,0] neg_lo:[0,0,1] neg_hi:[0,0,1]
	v_pk_fma_f32 v[4:5], v[6:7], v[0:1], v[4:5] op_sel:[0,0,1] op_sel_hi:[1,0,0]
	v_mov_b32_e32 v9, v5
	ds_load_2addr_b64 v[4:7], v80 offset0:21 offset1:22
	v_pk_add_f32 v[70:71], v[70:71], v[10:11] neg_lo:[0,1] neg_hi:[0,1]
	v_pk_add_f32 v[94:95], v[94:95], v[8:9] neg_lo:[0,1] neg_hi:[0,1]
	s_wait_dscnt 0x0
	v_pk_mul_f32 v[8:9], v[4:5], v[2:3] op_sel:[0,1]
	s_delay_alu instid0(VALU_DEP_1) | instskip(SKIP_1) | instid1(VALU_DEP_1)
	v_pk_fma_f32 v[10:11], v[4:5], v[0:1], v[8:9] op_sel:[0,0,1] op_sel_hi:[1,1,0] neg_lo:[0,0,1] neg_hi:[0,0,1]
	v_pk_fma_f32 v[4:5], v[4:5], v[0:1], v[8:9] op_sel:[0,0,1] op_sel_hi:[1,0,0]
	v_mov_b32_e32 v11, v5
	v_pk_mul_f32 v[4:5], v[6:7], v[2:3] op_sel:[0,1]
	s_delay_alu instid0(VALU_DEP_1) | instskip(SKIP_1) | instid1(VALU_DEP_1)
	v_pk_fma_f32 v[8:9], v[6:7], v[0:1], v[4:5] op_sel:[0,0,1] op_sel_hi:[1,1,0] neg_lo:[0,0,1] neg_hi:[0,0,1]
	v_pk_fma_f32 v[4:5], v[6:7], v[0:1], v[4:5] op_sel:[0,0,1] op_sel_hi:[1,0,0]
	v_mov_b32_e32 v9, v5
	ds_load_2addr_b64 v[4:7], v80 offset0:23 offset1:24
	v_pk_add_f32 v[90:91], v[90:91], v[10:11] neg_lo:[0,1] neg_hi:[0,1]
	v_pk_add_f32 v[92:93], v[92:93], v[8:9] neg_lo:[0,1] neg_hi:[0,1]
	s_wait_dscnt 0x0
	v_dual_mul_f32 v8, v5, v3 :: v_dual_mul_f32 v10, v5, v0
	s_delay_alu instid0(VALU_DEP_1) | instskip(NEXT) | instid1(VALU_DEP_2)
	v_pk_fma_f32 v[8:9], v[4:5], v[50:51], v[8:9] op_sel_hi:[1,1,0] neg_lo:[0,0,1] neg_hi:[0,0,1]
	v_pk_fma_f32 v[4:5], v[4:5], v[50:51], v[10:11] op_sel:[1,0,0] op_sel_hi:[0,1,0]
	s_delay_alu instid0(VALU_DEP_1) | instskip(SKIP_1) | instid1(VALU_DEP_2)
	v_mov_b32_e32 v9, v5
	v_pk_mul_f32 v[4:5], v[6:7], v[2:3] op_sel:[0,1]
	v_pk_add_f32 v[88:89], v[88:89], v[8:9] neg_lo:[0,1] neg_hi:[0,1]
	s_delay_alu instid0(VALU_DEP_2) | instskip(SKIP_1) | instid1(VALU_DEP_1)
	v_pk_fma_f32 v[8:9], v[6:7], v[0:1], v[4:5] op_sel:[0,0,1] op_sel_hi:[1,1,0] neg_lo:[0,0,1] neg_hi:[0,0,1]
	v_pk_fma_f32 v[4:5], v[6:7], v[0:1], v[4:5] op_sel:[0,0,1] op_sel_hi:[1,0,0]
	v_mov_b32_e32 v9, v5
	ds_load_2addr_b64 v[4:7], v80 offset0:25 offset1:26
	v_pk_add_f32 v[112:113], v[112:113], v[8:9] neg_lo:[0,1] neg_hi:[0,1]
	s_wait_dscnt 0x0
	v_pk_mul_f32 v[8:9], v[4:5], v[2:3] op_sel:[0,1]
	s_delay_alu instid0(VALU_DEP_1) | instskip(SKIP_1) | instid1(VALU_DEP_1)
	v_pk_fma_f32 v[10:11], v[4:5], v[0:1], v[8:9] op_sel:[0,0,1] op_sel_hi:[1,1,0] neg_lo:[0,0,1] neg_hi:[0,0,1]
	v_pk_fma_f32 v[4:5], v[4:5], v[0:1], v[8:9] op_sel:[0,0,1] op_sel_hi:[1,0,0]
	v_mov_b32_e32 v11, v5
	v_pk_mul_f32 v[4:5], v[6:7], v[2:3] op_sel:[0,1]
	s_delay_alu instid0(VALU_DEP_2) | instskip(NEXT) | instid1(VALU_DEP_2)
	v_pk_add_f32 v[108:109], v[108:109], v[10:11] neg_lo:[0,1] neg_hi:[0,1]
	v_pk_fma_f32 v[8:9], v[6:7], v[0:1], v[4:5] op_sel:[0,0,1] op_sel_hi:[1,1,0] neg_lo:[0,0,1] neg_hi:[0,0,1]
	v_pk_fma_f32 v[4:5], v[6:7], v[0:1], v[4:5] op_sel:[0,0,1] op_sel_hi:[1,0,0]
	s_delay_alu instid0(VALU_DEP_1) | instskip(SKIP_4) | instid1(VALU_DEP_1)
	v_mov_b32_e32 v9, v5
	ds_load_2addr_b64 v[4:7], v80 offset0:27 offset1:28
	v_pk_add_f32 v[110:111], v[110:111], v[8:9] neg_lo:[0,1] neg_hi:[0,1]
	s_wait_dscnt 0x0
	v_pk_mul_f32 v[8:9], v[4:5], v[2:3] op_sel:[0,1]
	v_pk_fma_f32 v[10:11], v[4:5], v[0:1], v[8:9] op_sel:[0,0,1] op_sel_hi:[1,1,0] neg_lo:[0,0,1] neg_hi:[0,0,1]
	v_pk_fma_f32 v[4:5], v[4:5], v[0:1], v[8:9] op_sel:[0,0,1] op_sel_hi:[1,0,0]
	v_dual_mul_f32 v8, v7, v3 :: v_dual_mov_b32 v4, v7
	s_delay_alu instid0(VALU_DEP_2) | instskip(NEXT) | instid1(VALU_DEP_2)
	v_dual_mov_b32 v11, v5 :: v_dual_mov_b32 v5, v6
	v_pk_fma_f32 v[8:9], v[6:7], v[50:51], v[8:9] op_sel_hi:[1,1,0] neg_lo:[0,0,1] neg_hi:[0,0,1]
	v_mul_f32_e32 v6, v7, v0
	s_delay_alu instid0(VALU_DEP_3) | instskip(NEXT) | instid1(VALU_DEP_2)
	v_pk_add_f32 v[106:107], v[106:107], v[10:11] neg_lo:[0,1] neg_hi:[0,1]
	v_pk_fma_f32 v[4:5], v[4:5], v[50:51], v[6:7] op_sel_hi:[1,1,0]
	s_delay_alu instid0(VALU_DEP_1) | instskip(SKIP_4) | instid1(VALU_DEP_1)
	v_mov_b32_e32 v9, v5
	ds_load_2addr_b64 v[4:7], v80 offset0:29 offset1:30
	v_pk_add_f32 v[128:129], v[128:129], v[8:9] neg_lo:[0,1] neg_hi:[0,1]
	s_wait_dscnt 0x0
	v_pk_mul_f32 v[8:9], v[4:5], v[2:3] op_sel:[0,1]
	v_pk_fma_f32 v[10:11], v[4:5], v[0:1], v[8:9] op_sel:[0,0,1] op_sel_hi:[1,1,0] neg_lo:[0,0,1] neg_hi:[0,0,1]
	v_pk_fma_f32 v[4:5], v[4:5], v[0:1], v[8:9] op_sel:[0,0,1] op_sel_hi:[1,0,0]
	s_delay_alu instid0(VALU_DEP_1) | instskip(SKIP_1) | instid1(VALU_DEP_1)
	v_mov_b32_e32 v11, v5
	v_pk_mul_f32 v[4:5], v[6:7], v[2:3] op_sel:[0,1]
	v_pk_fma_f32 v[8:9], v[6:7], v[0:1], v[4:5] op_sel:[0,0,1] op_sel_hi:[1,1,0] neg_lo:[0,0,1] neg_hi:[0,0,1]
	v_pk_fma_f32 v[4:5], v[6:7], v[0:1], v[4:5] op_sel:[0,0,1] op_sel_hi:[1,0,0]
	s_delay_alu instid0(VALU_DEP_1)
	v_mov_b32_e32 v9, v5
	ds_load_2addr_b64 v[4:7], v80 offset0:31 offset1:32
	v_pk_add_f32 v[124:125], v[124:125], v[10:11] neg_lo:[0,1] neg_hi:[0,1]
	v_pk_add_f32 v[126:127], v[126:127], v[8:9] neg_lo:[0,1] neg_hi:[0,1]
	s_wait_dscnt 0x0
	v_pk_mul_f32 v[8:9], v[4:5], v[2:3] op_sel:[0,1]
	s_delay_alu instid0(VALU_DEP_1) | instskip(SKIP_1) | instid1(VALU_DEP_1)
	v_pk_fma_f32 v[10:11], v[4:5], v[0:1], v[8:9] op_sel:[0,0,1] op_sel_hi:[1,1,0] neg_lo:[0,0,1] neg_hi:[0,0,1]
	v_pk_fma_f32 v[4:5], v[4:5], v[0:1], v[8:9] op_sel:[0,0,1] op_sel_hi:[1,0,0]
	v_mov_b32_e32 v11, v5
	v_pk_mul_f32 v[4:5], v[6:7], v[2:3] op_sel:[0,1]
	s_delay_alu instid0(VALU_DEP_1) | instskip(SKIP_1) | instid1(VALU_DEP_1)
	v_pk_fma_f32 v[8:9], v[6:7], v[0:1], v[4:5] op_sel:[0,0,1] op_sel_hi:[1,1,0] neg_lo:[0,0,1] neg_hi:[0,0,1]
	v_pk_fma_f32 v[4:5], v[6:7], v[0:1], v[4:5] op_sel:[0,0,1] op_sel_hi:[1,0,0]
	v_mov_b32_e32 v9, v5
	ds_load_2addr_b64 v[4:7], v80 offset0:33 offset1:34
	v_pk_add_f32 v[122:123], v[122:123], v[10:11] neg_lo:[0,1] neg_hi:[0,1]
	v_pk_add_f32 v[144:145], v[144:145], v[8:9] neg_lo:[0,1] neg_hi:[0,1]
	s_wait_dscnt 0x0
	v_dual_mul_f32 v8, v5, v3 :: v_dual_mul_f32 v10, v5, v0
	s_delay_alu instid0(VALU_DEP_1) | instskip(NEXT) | instid1(VALU_DEP_2)
	v_pk_fma_f32 v[8:9], v[4:5], v[50:51], v[8:9] op_sel_hi:[1,1,0] neg_lo:[0,0,1] neg_hi:[0,0,1]
	v_pk_fma_f32 v[4:5], v[4:5], v[50:51], v[10:11] op_sel:[1,0,0] op_sel_hi:[0,1,0]
	s_delay_alu instid0(VALU_DEP_1) | instskip(SKIP_1) | instid1(VALU_DEP_2)
	v_mov_b32_e32 v9, v5
	v_pk_mul_f32 v[4:5], v[6:7], v[2:3] op_sel:[0,1]
	v_pk_add_f32 v[140:141], v[140:141], v[8:9] neg_lo:[0,1] neg_hi:[0,1]
	s_delay_alu instid0(VALU_DEP_2) | instskip(SKIP_1) | instid1(VALU_DEP_1)
	v_pk_fma_f32 v[8:9], v[6:7], v[0:1], v[4:5] op_sel:[0,0,1] op_sel_hi:[1,1,0] neg_lo:[0,0,1] neg_hi:[0,0,1]
	v_pk_fma_f32 v[4:5], v[6:7], v[0:1], v[4:5] op_sel:[0,0,1] op_sel_hi:[1,0,0]
	v_mov_b32_e32 v9, v5
	ds_load_2addr_b64 v[4:7], v80 offset0:35 offset1:36
	v_pk_add_f32 v[142:143], v[142:143], v[8:9] neg_lo:[0,1] neg_hi:[0,1]
	s_wait_dscnt 0x0
	v_pk_mul_f32 v[8:9], v[4:5], v[2:3] op_sel:[0,1]
	s_delay_alu instid0(VALU_DEP_1) | instskip(SKIP_1) | instid1(VALU_DEP_1)
	v_pk_fma_f32 v[10:11], v[4:5], v[0:1], v[8:9] op_sel:[0,0,1] op_sel_hi:[1,1,0] neg_lo:[0,0,1] neg_hi:[0,0,1]
	v_pk_fma_f32 v[4:5], v[4:5], v[0:1], v[8:9] op_sel:[0,0,1] op_sel_hi:[1,0,0]
	v_mov_b32_e32 v11, v5
	v_pk_mul_f32 v[4:5], v[6:7], v[2:3] op_sel:[0,1]
	s_delay_alu instid0(VALU_DEP_2) | instskip(NEXT) | instid1(VALU_DEP_2)
	v_pk_add_f32 v[138:139], v[138:139], v[10:11] neg_lo:[0,1] neg_hi:[0,1]
	v_pk_fma_f32 v[8:9], v[6:7], v[0:1], v[4:5] op_sel:[0,0,1] op_sel_hi:[1,1,0] neg_lo:[0,0,1] neg_hi:[0,0,1]
	v_pk_fma_f32 v[4:5], v[6:7], v[0:1], v[4:5] op_sel:[0,0,1] op_sel_hi:[1,0,0]
	s_delay_alu instid0(VALU_DEP_1) | instskip(SKIP_4) | instid1(VALU_DEP_1)
	v_mov_b32_e32 v9, v5
	ds_load_2addr_b64 v[4:7], v80 offset0:37 offset1:38
	v_pk_add_f32 v[166:167], v[166:167], v[8:9] neg_lo:[0,1] neg_hi:[0,1]
	s_wait_dscnt 0x0
	v_pk_mul_f32 v[8:9], v[4:5], v[2:3] op_sel:[0,1]
	v_pk_fma_f32 v[10:11], v[4:5], v[0:1], v[8:9] op_sel:[0,0,1] op_sel_hi:[1,1,0] neg_lo:[0,0,1] neg_hi:[0,0,1]
	v_pk_fma_f32 v[4:5], v[4:5], v[0:1], v[8:9] op_sel:[0,0,1] op_sel_hi:[1,0,0]
	v_dual_mul_f32 v8, v7, v3 :: v_dual_mov_b32 v4, v7
	s_delay_alu instid0(VALU_DEP_2) | instskip(NEXT) | instid1(VALU_DEP_2)
	v_dual_mov_b32 v11, v5 :: v_dual_mov_b32 v5, v6
	v_pk_fma_f32 v[8:9], v[6:7], v[50:51], v[8:9] op_sel_hi:[1,1,0] neg_lo:[0,0,1] neg_hi:[0,0,1]
	v_mul_f32_e32 v6, v7, v0
	s_delay_alu instid0(VALU_DEP_3) | instskip(NEXT) | instid1(VALU_DEP_2)
	v_pk_add_f32 v[162:163], v[162:163], v[10:11] neg_lo:[0,1] neg_hi:[0,1]
	v_pk_fma_f32 v[4:5], v[4:5], v[50:51], v[6:7] op_sel_hi:[1,1,0]
	s_delay_alu instid0(VALU_DEP_1) | instskip(SKIP_4) | instid1(VALU_DEP_1)
	v_mov_b32_e32 v9, v5
	ds_load_2addr_b64 v[4:7], v80 offset0:39 offset1:40
	v_pk_add_f32 v[164:165], v[164:165], v[8:9] neg_lo:[0,1] neg_hi:[0,1]
	s_wait_dscnt 0x0
	v_pk_mul_f32 v[8:9], v[4:5], v[2:3] op_sel:[0,1]
	v_pk_fma_f32 v[10:11], v[4:5], v[0:1], v[8:9] op_sel:[0,0,1] op_sel_hi:[1,1,0] neg_lo:[0,0,1] neg_hi:[0,0,1]
	v_pk_fma_f32 v[4:5], v[4:5], v[0:1], v[8:9] op_sel:[0,0,1] op_sel_hi:[1,0,0]
	s_delay_alu instid0(VALU_DEP_1) | instskip(SKIP_1) | instid1(VALU_DEP_1)
	v_mov_b32_e32 v11, v5
	v_pk_mul_f32 v[4:5], v[6:7], v[2:3] op_sel:[0,1]
	v_pk_fma_f32 v[8:9], v[6:7], v[0:1], v[4:5] op_sel:[0,0,1] op_sel_hi:[1,1,0] neg_lo:[0,0,1] neg_hi:[0,0,1]
	v_pk_fma_f32 v[4:5], v[6:7], v[0:1], v[4:5] op_sel:[0,0,1] op_sel_hi:[1,0,0]
	s_delay_alu instid0(VALU_DEP_1)
	v_mov_b32_e32 v9, v5
	ds_load_2addr_b64 v[4:7], v80 offset0:41 offset1:42
	v_pk_add_f32 v[160:161], v[160:161], v[10:11] neg_lo:[0,1] neg_hi:[0,1]
	v_pk_add_f32 v[192:193], v[192:193], v[8:9] neg_lo:[0,1] neg_hi:[0,1]
	s_wait_dscnt 0x0
	v_pk_mul_f32 v[8:9], v[4:5], v[2:3] op_sel:[0,1]
	s_delay_alu instid0(VALU_DEP_1) | instskip(SKIP_1) | instid1(VALU_DEP_1)
	v_pk_fma_f32 v[10:11], v[4:5], v[0:1], v[8:9] op_sel:[0,0,1] op_sel_hi:[1,1,0] neg_lo:[0,0,1] neg_hi:[0,0,1]
	v_pk_fma_f32 v[4:5], v[4:5], v[0:1], v[8:9] op_sel:[0,0,1] op_sel_hi:[1,0,0]
	v_mov_b32_e32 v11, v5
	v_pk_mul_f32 v[4:5], v[6:7], v[2:3] op_sel:[0,1]
	s_delay_alu instid0(VALU_DEP_1) | instskip(SKIP_1) | instid1(VALU_DEP_1)
	v_pk_fma_f32 v[8:9], v[6:7], v[0:1], v[4:5] op_sel:[0,0,1] op_sel_hi:[1,1,0] neg_lo:[0,0,1] neg_hi:[0,0,1]
	v_pk_fma_f32 v[4:5], v[6:7], v[0:1], v[4:5] op_sel:[0,0,1] op_sel_hi:[1,0,0]
	v_mov_b32_e32 v9, v5
	ds_load_2addr_b64 v[4:7], v80 offset0:43 offset1:44
	v_pk_add_f32 v[184:185], v[184:185], v[10:11] neg_lo:[0,1] neg_hi:[0,1]
	v_pk_add_f32 v[190:191], v[190:191], v[8:9] neg_lo:[0,1] neg_hi:[0,1]
	s_wait_dscnt 0x0
	v_dual_mul_f32 v8, v5, v3 :: v_dual_mul_f32 v10, v5, v0
	s_delay_alu instid0(VALU_DEP_1) | instskip(NEXT) | instid1(VALU_DEP_2)
	v_pk_fma_f32 v[8:9], v[4:5], v[50:51], v[8:9] op_sel_hi:[1,1,0] neg_lo:[0,0,1] neg_hi:[0,0,1]
	v_pk_fma_f32 v[4:5], v[4:5], v[50:51], v[10:11] op_sel:[1,0,0] op_sel_hi:[0,1,0]
	s_delay_alu instid0(VALU_DEP_1) | instskip(SKIP_1) | instid1(VALU_DEP_2)
	v_mov_b32_e32 v9, v5
	v_pk_mul_f32 v[4:5], v[6:7], v[2:3] op_sel:[0,1]
	v_pk_add_f32 v[182:183], v[182:183], v[8:9] neg_lo:[0,1] neg_hi:[0,1]
	s_delay_alu instid0(VALU_DEP_2) | instskip(SKIP_1) | instid1(VALU_DEP_1)
	v_pk_fma_f32 v[8:9], v[6:7], v[0:1], v[4:5] op_sel:[0,0,1] op_sel_hi:[1,1,0] neg_lo:[0,0,1] neg_hi:[0,0,1]
	v_pk_fma_f32 v[4:5], v[6:7], v[0:1], v[4:5] op_sel:[0,0,1] op_sel_hi:[1,0,0]
	v_mov_b32_e32 v9, v5
	ds_load_2addr_b64 v[4:7], v80 offset0:45 offset1:46
	v_pk_add_f32 v[188:189], v[188:189], v[8:9] neg_lo:[0,1] neg_hi:[0,1]
	s_wait_dscnt 0x0
	v_pk_mul_f32 v[8:9], v[4:5], v[2:3] op_sel:[0,1]
	s_delay_alu instid0(VALU_DEP_1) | instskip(SKIP_1) | instid1(VALU_DEP_1)
	v_pk_fma_f32 v[10:11], v[4:5], v[0:1], v[8:9] op_sel:[0,0,1] op_sel_hi:[1,1,0] neg_lo:[0,0,1] neg_hi:[0,0,1]
	v_pk_fma_f32 v[4:5], v[4:5], v[0:1], v[8:9] op_sel:[0,0,1] op_sel_hi:[1,0,0]
	v_mov_b32_e32 v11, v5
	v_pk_mul_f32 v[4:5], v[6:7], v[2:3] op_sel:[0,1]
	s_delay_alu instid0(VALU_DEP_2) | instskip(NEXT) | instid1(VALU_DEP_2)
	v_pk_add_f32 v[180:181], v[180:181], v[10:11] neg_lo:[0,1] neg_hi:[0,1]
	v_pk_fma_f32 v[8:9], v[6:7], v[0:1], v[4:5] op_sel:[0,0,1] op_sel_hi:[1,1,0] neg_lo:[0,0,1] neg_hi:[0,0,1]
	v_pk_fma_f32 v[4:5], v[6:7], v[0:1], v[4:5] op_sel:[0,0,1] op_sel_hi:[1,0,0]
	s_delay_alu instid0(VALU_DEP_1)
	v_mov_b32_e32 v9, v5
	ds_load_2addr_b64 v[4:7], v80 offset0:47 offset1:48
	v_pk_add_f32 v[186:187], v[186:187], v[8:9] neg_lo:[0,1] neg_hi:[0,1]
	s_wait_dscnt 0x0
	v_pk_mul_f32 v[8:9], v[4:5], v[2:3] op_sel:[0,1]
	v_pk_mul_f32 v[2:3], v[6:7], v[2:3] op_sel:[0,1]
	s_delay_alu instid0(VALU_DEP_2) | instskip(SKIP_1) | instid1(VALU_DEP_1)
	v_pk_fma_f32 v[10:11], v[4:5], v[0:1], v[8:9] op_sel:[0,0,1] op_sel_hi:[1,1,0] neg_lo:[0,0,1] neg_hi:[0,0,1]
	v_pk_fma_f32 v[4:5], v[4:5], v[0:1], v[8:9] op_sel:[0,0,1] op_sel_hi:[1,0,0]
	v_mov_b32_e32 v11, v5
	s_delay_alu instid0(VALU_DEP_4) | instskip(SKIP_1) | instid1(VALU_DEP_3)
	v_pk_fma_f32 v[4:5], v[6:7], v[0:1], v[2:3] op_sel:[0,0,1] op_sel_hi:[1,1,0] neg_lo:[0,0,1] neg_hi:[0,0,1]
	v_pk_fma_f32 v[0:1], v[6:7], v[0:1], v[2:3] op_sel:[0,0,1] op_sel_hi:[1,0,0]
	v_pk_add_f32 v[194:195], v[194:195], v[10:11] neg_lo:[0,1] neg_hi:[0,1]
	s_delay_alu instid0(VALU_DEP_2) | instskip(NEXT) | instid1(VALU_DEP_1)
	v_mov_b32_e32 v5, v1
	v_pk_add_f32 v[196:197], v[196:197], v[4:5] neg_lo:[0,1] neg_hi:[0,1]
.LBB97_136:
	s_wait_xcnt 0x0
	s_or_b32 exec_lo, exec_lo, s1
	s_delay_alu instid0(SALU_CYCLE_1)
	s_mov_b32 s2, exec_lo
	s_wait_storecnt 0x0
	s_barrier_signal -1
	s_barrier_wait -1
	v_cmpx_eq_u32_e32 15, v78
	s_cbranch_execz .LBB97_143
; %bb.137:
	v_dual_mov_b32 v0, v76 :: v_dual_mov_b32 v1, v77
	v_dual_mov_b32 v2, v72 :: v_dual_mov_b32 v3, v73
	;; [unrolled: 1-line block ×8, first 2 shown]
	ds_store_b64 v79, v[46:47]
	ds_store_2addr_b64 v80, v[0:1], v[2:3] offset0:16 offset1:17
	ds_store_2addr_b64 v80, v[4:5], v[6:7] offset0:18 offset1:19
	;; [unrolled: 1-line block ×4, first 2 shown]
	v_dual_mov_b32 v0, v112 :: v_dual_mov_b32 v1, v113
	v_dual_mov_b32 v2, v108 :: v_dual_mov_b32 v3, v109
	;; [unrolled: 1-line block ×12, first 2 shown]
	ds_store_2addr_b64 v80, v[0:1], v[2:3] offset0:24 offset1:25
	ds_store_2addr_b64 v80, v[4:5], v[6:7] offset0:26 offset1:27
	;; [unrolled: 1-line block ×6, first 2 shown]
	v_dual_mov_b32 v0, v166 :: v_dual_mov_b32 v1, v167
	v_dual_mov_b32 v2, v162 :: v_dual_mov_b32 v3, v163
	;; [unrolled: 1-line block ×12, first 2 shown]
	ds_store_2addr_b64 v80, v[0:1], v[2:3] offset0:36 offset1:37
	ds_store_2addr_b64 v80, v[4:5], v[6:7] offset0:38 offset1:39
	;; [unrolled: 1-line block ×6, first 2 shown]
	ds_store_b64 v80, v[196:197] offset:384
	ds_load_b64 v[0:1], v79
	s_wait_dscnt 0x0
	v_cmp_neq_f32_e32 vcc_lo, 0, v0
	v_cmp_neq_f32_e64 s1, 0, v1
	s_or_b32 s1, vcc_lo, s1
	s_delay_alu instid0(SALU_CYCLE_1)
	s_and_b32 exec_lo, exec_lo, s1
	s_cbranch_execz .LBB97_143
; %bb.138:
	v_cmp_ngt_f32_e64 s1, |v0|, |v1|
                                        ; implicit-def: $vgpr2_vgpr3
	s_and_saveexec_b32 s4, s1
	s_delay_alu instid0(SALU_CYCLE_1)
	s_xor_b32 s1, exec_lo, s4
	s_cbranch_execz .LBB97_140
; %bb.139:
	v_div_scale_f32 v2, null, v1, v1, v0
	v_div_scale_f32 v5, vcc_lo, v0, v1, v0
	s_delay_alu instid0(VALU_DEP_2) | instskip(SKIP_1) | instid1(TRANS32_DEP_1)
	v_rcp_f32_e32 v3, v2
	v_nop
	v_fma_f32 v4, -v2, v3, 1.0
	s_delay_alu instid0(VALU_DEP_1) | instskip(NEXT) | instid1(VALU_DEP_1)
	v_fmac_f32_e32 v3, v4, v3
	v_mul_f32_e32 v4, v5, v3
	s_delay_alu instid0(VALU_DEP_1) | instskip(NEXT) | instid1(VALU_DEP_1)
	v_fma_f32 v6, -v2, v4, v5
	v_fmac_f32_e32 v4, v6, v3
	s_delay_alu instid0(VALU_DEP_1) | instskip(NEXT) | instid1(VALU_DEP_1)
	v_fma_f32 v2, -v2, v4, v5
	v_div_fmas_f32 v2, v2, v3, v4
	s_delay_alu instid0(VALU_DEP_1) | instskip(NEXT) | instid1(VALU_DEP_1)
	v_div_fixup_f32 v2, v2, v1, v0
	v_fmac_f32_e32 v1, v0, v2
	s_delay_alu instid0(VALU_DEP_1) | instskip(SKIP_1) | instid1(VALU_DEP_2)
	v_div_scale_f32 v0, null, v1, v1, 1.0
	v_div_scale_f32 v5, vcc_lo, 1.0, v1, 1.0
	v_rcp_f32_e32 v3, v0
	v_nop
	s_delay_alu instid0(TRANS32_DEP_1) | instskip(NEXT) | instid1(VALU_DEP_1)
	v_fma_f32 v4, -v0, v3, 1.0
	v_fmac_f32_e32 v3, v4, v3
	s_delay_alu instid0(VALU_DEP_1) | instskip(NEXT) | instid1(VALU_DEP_1)
	v_mul_f32_e32 v4, v5, v3
	v_fma_f32 v6, -v0, v4, v5
	s_delay_alu instid0(VALU_DEP_1) | instskip(NEXT) | instid1(VALU_DEP_1)
	v_fmac_f32_e32 v4, v6, v3
	v_fma_f32 v0, -v0, v4, v5
	s_delay_alu instid0(VALU_DEP_1) | instskip(NEXT) | instid1(VALU_DEP_1)
	v_div_fmas_f32 v0, v0, v3, v4
	v_div_fixup_f32 v0, v0, v1, 1.0
	s_delay_alu instid0(VALU_DEP_1)
	v_mul_f32_e32 v2, v2, v0
	v_xor_b32_e32 v3, 0x80000000, v0
                                        ; implicit-def: $vgpr0_vgpr1
.LBB97_140:
	s_and_not1_saveexec_b32 s1, s1
	s_cbranch_execz .LBB97_142
; %bb.141:
	v_div_scale_f32 v2, null, v0, v0, v1
	v_div_scale_f32 v5, vcc_lo, v1, v0, v1
	s_delay_alu instid0(VALU_DEP_2) | instskip(SKIP_1) | instid1(TRANS32_DEP_1)
	v_rcp_f32_e32 v3, v2
	v_nop
	v_fma_f32 v4, -v2, v3, 1.0
	s_delay_alu instid0(VALU_DEP_1) | instskip(NEXT) | instid1(VALU_DEP_1)
	v_fmac_f32_e32 v3, v4, v3
	v_mul_f32_e32 v4, v5, v3
	s_delay_alu instid0(VALU_DEP_1) | instskip(NEXT) | instid1(VALU_DEP_1)
	v_fma_f32 v6, -v2, v4, v5
	v_fmac_f32_e32 v4, v6, v3
	s_delay_alu instid0(VALU_DEP_1) | instskip(NEXT) | instid1(VALU_DEP_1)
	v_fma_f32 v2, -v2, v4, v5
	v_div_fmas_f32 v2, v2, v3, v4
	s_delay_alu instid0(VALU_DEP_1) | instskip(NEXT) | instid1(VALU_DEP_1)
	v_div_fixup_f32 v3, v2, v0, v1
	v_fmac_f32_e32 v0, v1, v3
	s_delay_alu instid0(VALU_DEP_1) | instskip(NEXT) | instid1(VALU_DEP_1)
	v_div_scale_f32 v1, null, v0, v0, 1.0
	v_rcp_f32_e32 v2, v1
	v_nop
	s_delay_alu instid0(TRANS32_DEP_1) | instskip(NEXT) | instid1(VALU_DEP_1)
	v_fma_f32 v4, -v1, v2, 1.0
	v_fmac_f32_e32 v2, v4, v2
	v_div_scale_f32 v4, vcc_lo, 1.0, v0, 1.0
	s_delay_alu instid0(VALU_DEP_1) | instskip(NEXT) | instid1(VALU_DEP_1)
	v_mul_f32_e32 v5, v4, v2
	v_fma_f32 v6, -v1, v5, v4
	s_delay_alu instid0(VALU_DEP_1) | instskip(NEXT) | instid1(VALU_DEP_1)
	v_fmac_f32_e32 v5, v6, v2
	v_fma_f32 v1, -v1, v5, v4
	s_delay_alu instid0(VALU_DEP_1) | instskip(NEXT) | instid1(VALU_DEP_1)
	v_div_fmas_f32 v1, v1, v2, v5
	v_div_fixup_f32 v2, v1, v0, 1.0
	s_delay_alu instid0(VALU_DEP_1)
	v_mul_f32_e64 v3, v3, -v2
.LBB97_142:
	s_or_b32 exec_lo, exec_lo, s1
	ds_store_b64 v79, v[2:3]
.LBB97_143:
	s_or_b32 exec_lo, exec_lo, s2
	s_wait_dscnt 0x0
	s_barrier_signal -1
	s_barrier_wait -1
	ds_load_b64 v[0:1], v79
	s_mov_b32 s1, exec_lo
	s_wait_dscnt 0x0
	scratch_store_b64 off, v[0:1], off offset:88 ; 8-byte Folded Spill
	s_wait_xcnt 0x0
	v_cmpx_lt_u32_e32 15, v78
	s_cbranch_execz .LBB97_145
; %bb.144:
	scratch_load_b64 v[4:5], off, off offset:88 ; 8-byte Folded Reload
	s_wait_loadcnt 0x0
	v_pk_mul_f32 v[2:3], v[4:5], v[46:47] op_sel:[1,1] op_sel_hi:[0,1]
	s_delay_alu instid0(VALU_DEP_1)
	v_pk_fma_f32 v[0:1], v[4:5], v[46:47], v[2:3] op_sel_hi:[1,0,1] neg_lo:[0,0,1] neg_hi:[0,0,1]
	v_pk_fma_f32 v[2:3], v[4:5], v[46:47], v[2:3] op_sel_hi:[1,0,1]
	ds_load_2addr_b64 v[4:7], v80 offset0:16 offset1:17
	v_dual_mov_b32 v46, v0 :: v_dual_mov_b32 v47, v3
	s_wait_dscnt 0x0
	v_pk_mul_f32 v[8:9], v[4:5], v[2:3] op_sel:[0,1]
	s_delay_alu instid0(VALU_DEP_1) | instskip(SKIP_1) | instid1(VALU_DEP_1)
	v_pk_fma_f32 v[10:11], v[4:5], v[0:1], v[8:9] op_sel:[0,0,1] op_sel_hi:[1,1,0] neg_lo:[0,0,1] neg_hi:[0,0,1]
	v_pk_fma_f32 v[4:5], v[4:5], v[0:1], v[8:9] op_sel:[0,0,1] op_sel_hi:[1,0,0]
	v_mov_b32_e32 v11, v5
	v_pk_mul_f32 v[4:5], v[6:7], v[2:3] op_sel:[0,1]
	s_delay_alu instid0(VALU_DEP_1) | instskip(SKIP_1) | instid1(VALU_DEP_1)
	v_pk_fma_f32 v[8:9], v[6:7], v[0:1], v[4:5] op_sel:[0,0,1] op_sel_hi:[1,1,0] neg_lo:[0,0,1] neg_hi:[0,0,1]
	v_pk_fma_f32 v[4:5], v[6:7], v[0:1], v[4:5] op_sel:[0,0,1] op_sel_hi:[1,0,0]
	v_mov_b32_e32 v9, v5
	ds_load_2addr_b64 v[4:7], v80 offset0:18 offset1:19
	v_pk_add_f32 v[76:77], v[76:77], v[10:11] neg_lo:[0,1] neg_hi:[0,1]
	v_pk_add_f32 v[72:73], v[72:73], v[8:9] neg_lo:[0,1] neg_hi:[0,1]
	s_wait_dscnt 0x0
	v_pk_mul_f32 v[8:9], v[4:5], v[2:3] op_sel:[0,1]
	s_delay_alu instid0(VALU_DEP_1) | instskip(SKIP_2) | instid1(VALU_DEP_2)
	v_pk_fma_f32 v[10:11], v[4:5], v[0:1], v[8:9] op_sel:[0,0,1] op_sel_hi:[1,1,0] neg_lo:[0,0,1] neg_hi:[0,0,1]
	v_pk_fma_f32 v[4:5], v[4:5], v[0:1], v[8:9] op_sel:[0,0,1] op_sel_hi:[1,0,0]
	v_dual_mul_f32 v8, v7, v3 :: v_dual_mov_b32 v4, v7
	v_dual_mov_b32 v11, v5 :: v_dual_mov_b32 v5, v6
	s_delay_alu instid0(VALU_DEP_2) | instskip(SKIP_1) | instid1(VALU_DEP_3)
	v_pk_fma_f32 v[8:9], v[6:7], v[46:47], v[8:9] op_sel_hi:[1,1,0] neg_lo:[0,0,1] neg_hi:[0,0,1]
	v_mul_f32_e32 v6, v7, v0
	v_pk_add_f32 v[74:75], v[74:75], v[10:11] neg_lo:[0,1] neg_hi:[0,1]
	s_delay_alu instid0(VALU_DEP_2) | instskip(NEXT) | instid1(VALU_DEP_1)
	v_pk_fma_f32 v[4:5], v[4:5], v[46:47], v[6:7] op_sel_hi:[1,1,0]
	v_mov_b32_e32 v9, v5
	ds_load_2addr_b64 v[4:7], v80 offset0:20 offset1:21
	v_pk_add_f32 v[70:71], v[70:71], v[8:9] neg_lo:[0,1] neg_hi:[0,1]
	s_wait_dscnt 0x0
	v_pk_mul_f32 v[8:9], v[4:5], v[2:3] op_sel:[0,1]
	s_delay_alu instid0(VALU_DEP_1) | instskip(SKIP_1) | instid1(VALU_DEP_1)
	v_pk_fma_f32 v[10:11], v[4:5], v[0:1], v[8:9] op_sel:[0,0,1] op_sel_hi:[1,1,0] neg_lo:[0,0,1] neg_hi:[0,0,1]
	v_pk_fma_f32 v[4:5], v[4:5], v[0:1], v[8:9] op_sel:[0,0,1] op_sel_hi:[1,0,0]
	v_mov_b32_e32 v11, v5
	v_pk_mul_f32 v[4:5], v[6:7], v[2:3] op_sel:[0,1]
	s_delay_alu instid0(VALU_DEP_1) | instskip(SKIP_1) | instid1(VALU_DEP_1)
	v_pk_fma_f32 v[8:9], v[6:7], v[0:1], v[4:5] op_sel:[0,0,1] op_sel_hi:[1,1,0] neg_lo:[0,0,1] neg_hi:[0,0,1]
	v_pk_fma_f32 v[4:5], v[6:7], v[0:1], v[4:5] op_sel:[0,0,1] op_sel_hi:[1,0,0]
	v_mov_b32_e32 v9, v5
	ds_load_2addr_b64 v[4:7], v80 offset0:22 offset1:23
	v_pk_add_f32 v[94:95], v[94:95], v[10:11] neg_lo:[0,1] neg_hi:[0,1]
	v_pk_add_f32 v[90:91], v[90:91], v[8:9] neg_lo:[0,1] neg_hi:[0,1]
	s_wait_dscnt 0x0
	v_pk_mul_f32 v[8:9], v[4:5], v[2:3] op_sel:[0,1]
	s_delay_alu instid0(VALU_DEP_1) | instskip(SKIP_1) | instid1(VALU_DEP_1)
	v_pk_fma_f32 v[10:11], v[4:5], v[0:1], v[8:9] op_sel:[0,0,1] op_sel_hi:[1,1,0] neg_lo:[0,0,1] neg_hi:[0,0,1]
	v_pk_fma_f32 v[4:5], v[4:5], v[0:1], v[8:9] op_sel:[0,0,1] op_sel_hi:[1,0,0]
	v_mov_b32_e32 v11, v5
	v_pk_mul_f32 v[4:5], v[6:7], v[2:3] op_sel:[0,1]
	s_delay_alu instid0(VALU_DEP_1) | instskip(SKIP_1) | instid1(VALU_DEP_1)
	v_pk_fma_f32 v[8:9], v[6:7], v[0:1], v[4:5] op_sel:[0,0,1] op_sel_hi:[1,1,0] neg_lo:[0,0,1] neg_hi:[0,0,1]
	v_pk_fma_f32 v[4:5], v[6:7], v[0:1], v[4:5] op_sel:[0,0,1] op_sel_hi:[1,0,0]
	v_mov_b32_e32 v9, v5
	ds_load_2addr_b64 v[4:7], v80 offset0:24 offset1:25
	v_pk_add_f32 v[92:93], v[92:93], v[10:11] neg_lo:[0,1] neg_hi:[0,1]
	v_pk_add_f32 v[88:89], v[88:89], v[8:9] neg_lo:[0,1] neg_hi:[0,1]
	s_wait_dscnt 0x0
	v_dual_mul_f32 v8, v5, v3 :: v_dual_mul_f32 v10, v5, v0
	s_delay_alu instid0(VALU_DEP_1) | instskip(NEXT) | instid1(VALU_DEP_2)
	v_pk_fma_f32 v[8:9], v[4:5], v[46:47], v[8:9] op_sel_hi:[1,1,0] neg_lo:[0,0,1] neg_hi:[0,0,1]
	v_pk_fma_f32 v[4:5], v[4:5], v[46:47], v[10:11] op_sel:[1,0,0] op_sel_hi:[0,1,0]
	s_delay_alu instid0(VALU_DEP_1) | instskip(SKIP_1) | instid1(VALU_DEP_2)
	v_mov_b32_e32 v9, v5
	v_pk_mul_f32 v[4:5], v[6:7], v[2:3] op_sel:[0,1]
	v_pk_add_f32 v[112:113], v[112:113], v[8:9] neg_lo:[0,1] neg_hi:[0,1]
	s_delay_alu instid0(VALU_DEP_2) | instskip(SKIP_1) | instid1(VALU_DEP_1)
	v_pk_fma_f32 v[8:9], v[6:7], v[0:1], v[4:5] op_sel:[0,0,1] op_sel_hi:[1,1,0] neg_lo:[0,0,1] neg_hi:[0,0,1]
	v_pk_fma_f32 v[4:5], v[6:7], v[0:1], v[4:5] op_sel:[0,0,1] op_sel_hi:[1,0,0]
	v_mov_b32_e32 v9, v5
	ds_load_2addr_b64 v[4:7], v80 offset0:26 offset1:27
	v_pk_add_f32 v[108:109], v[108:109], v[8:9] neg_lo:[0,1] neg_hi:[0,1]
	s_wait_dscnt 0x0
	v_pk_mul_f32 v[8:9], v[4:5], v[2:3] op_sel:[0,1]
	s_delay_alu instid0(VALU_DEP_1) | instskip(SKIP_1) | instid1(VALU_DEP_1)
	v_pk_fma_f32 v[10:11], v[4:5], v[0:1], v[8:9] op_sel:[0,0,1] op_sel_hi:[1,1,0] neg_lo:[0,0,1] neg_hi:[0,0,1]
	v_pk_fma_f32 v[4:5], v[4:5], v[0:1], v[8:9] op_sel:[0,0,1] op_sel_hi:[1,0,0]
	v_mov_b32_e32 v11, v5
	v_pk_mul_f32 v[4:5], v[6:7], v[2:3] op_sel:[0,1]
	s_delay_alu instid0(VALU_DEP_2) | instskip(NEXT) | instid1(VALU_DEP_2)
	v_pk_add_f32 v[110:111], v[110:111], v[10:11] neg_lo:[0,1] neg_hi:[0,1]
	v_pk_fma_f32 v[8:9], v[6:7], v[0:1], v[4:5] op_sel:[0,0,1] op_sel_hi:[1,1,0] neg_lo:[0,0,1] neg_hi:[0,0,1]
	v_pk_fma_f32 v[4:5], v[6:7], v[0:1], v[4:5] op_sel:[0,0,1] op_sel_hi:[1,0,0]
	s_delay_alu instid0(VALU_DEP_1) | instskip(SKIP_4) | instid1(VALU_DEP_1)
	v_mov_b32_e32 v9, v5
	ds_load_2addr_b64 v[4:7], v80 offset0:28 offset1:29
	v_pk_add_f32 v[106:107], v[106:107], v[8:9] neg_lo:[0,1] neg_hi:[0,1]
	s_wait_dscnt 0x0
	v_pk_mul_f32 v[8:9], v[4:5], v[2:3] op_sel:[0,1]
	v_pk_fma_f32 v[10:11], v[4:5], v[0:1], v[8:9] op_sel:[0,0,1] op_sel_hi:[1,1,0] neg_lo:[0,0,1] neg_hi:[0,0,1]
	v_pk_fma_f32 v[4:5], v[4:5], v[0:1], v[8:9] op_sel:[0,0,1] op_sel_hi:[1,0,0]
	v_dual_mul_f32 v8, v7, v3 :: v_dual_mov_b32 v4, v7
	s_delay_alu instid0(VALU_DEP_2) | instskip(NEXT) | instid1(VALU_DEP_2)
	v_dual_mov_b32 v11, v5 :: v_dual_mov_b32 v5, v6
	v_pk_fma_f32 v[8:9], v[6:7], v[46:47], v[8:9] op_sel_hi:[1,1,0] neg_lo:[0,0,1] neg_hi:[0,0,1]
	v_mul_f32_e32 v6, v7, v0
	s_delay_alu instid0(VALU_DEP_3) | instskip(NEXT) | instid1(VALU_DEP_2)
	v_pk_add_f32 v[128:129], v[128:129], v[10:11] neg_lo:[0,1] neg_hi:[0,1]
	v_pk_fma_f32 v[4:5], v[4:5], v[46:47], v[6:7] op_sel_hi:[1,1,0]
	s_delay_alu instid0(VALU_DEP_1) | instskip(SKIP_4) | instid1(VALU_DEP_1)
	v_mov_b32_e32 v9, v5
	ds_load_2addr_b64 v[4:7], v80 offset0:30 offset1:31
	v_pk_add_f32 v[124:125], v[124:125], v[8:9] neg_lo:[0,1] neg_hi:[0,1]
	s_wait_dscnt 0x0
	v_pk_mul_f32 v[8:9], v[4:5], v[2:3] op_sel:[0,1]
	v_pk_fma_f32 v[10:11], v[4:5], v[0:1], v[8:9] op_sel:[0,0,1] op_sel_hi:[1,1,0] neg_lo:[0,0,1] neg_hi:[0,0,1]
	v_pk_fma_f32 v[4:5], v[4:5], v[0:1], v[8:9] op_sel:[0,0,1] op_sel_hi:[1,0,0]
	s_delay_alu instid0(VALU_DEP_1) | instskip(SKIP_1) | instid1(VALU_DEP_1)
	v_mov_b32_e32 v11, v5
	v_pk_mul_f32 v[4:5], v[6:7], v[2:3] op_sel:[0,1]
	v_pk_fma_f32 v[8:9], v[6:7], v[0:1], v[4:5] op_sel:[0,0,1] op_sel_hi:[1,1,0] neg_lo:[0,0,1] neg_hi:[0,0,1]
	v_pk_fma_f32 v[4:5], v[6:7], v[0:1], v[4:5] op_sel:[0,0,1] op_sel_hi:[1,0,0]
	s_delay_alu instid0(VALU_DEP_1)
	v_mov_b32_e32 v9, v5
	ds_load_2addr_b64 v[4:7], v80 offset0:32 offset1:33
	v_pk_add_f32 v[126:127], v[126:127], v[10:11] neg_lo:[0,1] neg_hi:[0,1]
	v_pk_add_f32 v[122:123], v[122:123], v[8:9] neg_lo:[0,1] neg_hi:[0,1]
	s_wait_dscnt 0x0
	v_pk_mul_f32 v[8:9], v[4:5], v[2:3] op_sel:[0,1]
	s_delay_alu instid0(VALU_DEP_1) | instskip(SKIP_1) | instid1(VALU_DEP_1)
	v_pk_fma_f32 v[10:11], v[4:5], v[0:1], v[8:9] op_sel:[0,0,1] op_sel_hi:[1,1,0] neg_lo:[0,0,1] neg_hi:[0,0,1]
	v_pk_fma_f32 v[4:5], v[4:5], v[0:1], v[8:9] op_sel:[0,0,1] op_sel_hi:[1,0,0]
	v_mov_b32_e32 v11, v5
	v_pk_mul_f32 v[4:5], v[6:7], v[2:3] op_sel:[0,1]
	s_delay_alu instid0(VALU_DEP_1) | instskip(SKIP_1) | instid1(VALU_DEP_1)
	v_pk_fma_f32 v[8:9], v[6:7], v[0:1], v[4:5] op_sel:[0,0,1] op_sel_hi:[1,1,0] neg_lo:[0,0,1] neg_hi:[0,0,1]
	v_pk_fma_f32 v[4:5], v[6:7], v[0:1], v[4:5] op_sel:[0,0,1] op_sel_hi:[1,0,0]
	v_mov_b32_e32 v9, v5
	ds_load_2addr_b64 v[4:7], v80 offset0:34 offset1:35
	v_pk_add_f32 v[144:145], v[144:145], v[10:11] neg_lo:[0,1] neg_hi:[0,1]
	v_pk_add_f32 v[140:141], v[140:141], v[8:9] neg_lo:[0,1] neg_hi:[0,1]
	s_wait_dscnt 0x0
	v_dual_mul_f32 v8, v5, v3 :: v_dual_mul_f32 v10, v5, v0
	s_delay_alu instid0(VALU_DEP_1) | instskip(NEXT) | instid1(VALU_DEP_2)
	v_pk_fma_f32 v[8:9], v[4:5], v[46:47], v[8:9] op_sel_hi:[1,1,0] neg_lo:[0,0,1] neg_hi:[0,0,1]
	v_pk_fma_f32 v[4:5], v[4:5], v[46:47], v[10:11] op_sel:[1,0,0] op_sel_hi:[0,1,0]
	s_delay_alu instid0(VALU_DEP_1) | instskip(SKIP_1) | instid1(VALU_DEP_2)
	v_mov_b32_e32 v9, v5
	v_pk_mul_f32 v[4:5], v[6:7], v[2:3] op_sel:[0,1]
	v_pk_add_f32 v[142:143], v[142:143], v[8:9] neg_lo:[0,1] neg_hi:[0,1]
	s_delay_alu instid0(VALU_DEP_2) | instskip(SKIP_1) | instid1(VALU_DEP_1)
	v_pk_fma_f32 v[8:9], v[6:7], v[0:1], v[4:5] op_sel:[0,0,1] op_sel_hi:[1,1,0] neg_lo:[0,0,1] neg_hi:[0,0,1]
	v_pk_fma_f32 v[4:5], v[6:7], v[0:1], v[4:5] op_sel:[0,0,1] op_sel_hi:[1,0,0]
	v_mov_b32_e32 v9, v5
	ds_load_2addr_b64 v[4:7], v80 offset0:36 offset1:37
	v_pk_add_f32 v[138:139], v[138:139], v[8:9] neg_lo:[0,1] neg_hi:[0,1]
	s_wait_dscnt 0x0
	v_pk_mul_f32 v[8:9], v[4:5], v[2:3] op_sel:[0,1]
	s_delay_alu instid0(VALU_DEP_1) | instskip(SKIP_1) | instid1(VALU_DEP_1)
	v_pk_fma_f32 v[10:11], v[4:5], v[0:1], v[8:9] op_sel:[0,0,1] op_sel_hi:[1,1,0] neg_lo:[0,0,1] neg_hi:[0,0,1]
	v_pk_fma_f32 v[4:5], v[4:5], v[0:1], v[8:9] op_sel:[0,0,1] op_sel_hi:[1,0,0]
	v_mov_b32_e32 v11, v5
	v_pk_mul_f32 v[4:5], v[6:7], v[2:3] op_sel:[0,1]
	s_delay_alu instid0(VALU_DEP_2) | instskip(NEXT) | instid1(VALU_DEP_2)
	v_pk_add_f32 v[166:167], v[166:167], v[10:11] neg_lo:[0,1] neg_hi:[0,1]
	v_pk_fma_f32 v[8:9], v[6:7], v[0:1], v[4:5] op_sel:[0,0,1] op_sel_hi:[1,1,0] neg_lo:[0,0,1] neg_hi:[0,0,1]
	v_pk_fma_f32 v[4:5], v[6:7], v[0:1], v[4:5] op_sel:[0,0,1] op_sel_hi:[1,0,0]
	s_delay_alu instid0(VALU_DEP_1) | instskip(SKIP_4) | instid1(VALU_DEP_1)
	v_mov_b32_e32 v9, v5
	ds_load_2addr_b64 v[4:7], v80 offset0:38 offset1:39
	v_pk_add_f32 v[162:163], v[162:163], v[8:9] neg_lo:[0,1] neg_hi:[0,1]
	s_wait_dscnt 0x0
	v_pk_mul_f32 v[8:9], v[4:5], v[2:3] op_sel:[0,1]
	v_pk_fma_f32 v[10:11], v[4:5], v[0:1], v[8:9] op_sel:[0,0,1] op_sel_hi:[1,1,0] neg_lo:[0,0,1] neg_hi:[0,0,1]
	v_pk_fma_f32 v[4:5], v[4:5], v[0:1], v[8:9] op_sel:[0,0,1] op_sel_hi:[1,0,0]
	v_dual_mul_f32 v8, v7, v3 :: v_dual_mov_b32 v4, v7
	s_delay_alu instid0(VALU_DEP_2) | instskip(NEXT) | instid1(VALU_DEP_2)
	v_dual_mov_b32 v11, v5 :: v_dual_mov_b32 v5, v6
	v_pk_fma_f32 v[8:9], v[6:7], v[46:47], v[8:9] op_sel_hi:[1,1,0] neg_lo:[0,0,1] neg_hi:[0,0,1]
	v_mul_f32_e32 v6, v7, v0
	s_delay_alu instid0(VALU_DEP_3) | instskip(NEXT) | instid1(VALU_DEP_2)
	v_pk_add_f32 v[164:165], v[164:165], v[10:11] neg_lo:[0,1] neg_hi:[0,1]
	v_pk_fma_f32 v[4:5], v[4:5], v[46:47], v[6:7] op_sel_hi:[1,1,0]
	s_delay_alu instid0(VALU_DEP_1) | instskip(SKIP_4) | instid1(VALU_DEP_1)
	v_mov_b32_e32 v9, v5
	ds_load_2addr_b64 v[4:7], v80 offset0:40 offset1:41
	v_pk_add_f32 v[160:161], v[160:161], v[8:9] neg_lo:[0,1] neg_hi:[0,1]
	s_wait_dscnt 0x0
	v_pk_mul_f32 v[8:9], v[4:5], v[2:3] op_sel:[0,1]
	v_pk_fma_f32 v[10:11], v[4:5], v[0:1], v[8:9] op_sel:[0,0,1] op_sel_hi:[1,1,0] neg_lo:[0,0,1] neg_hi:[0,0,1]
	v_pk_fma_f32 v[4:5], v[4:5], v[0:1], v[8:9] op_sel:[0,0,1] op_sel_hi:[1,0,0]
	s_delay_alu instid0(VALU_DEP_1) | instskip(SKIP_1) | instid1(VALU_DEP_1)
	v_mov_b32_e32 v11, v5
	v_pk_mul_f32 v[4:5], v[6:7], v[2:3] op_sel:[0,1]
	v_pk_fma_f32 v[8:9], v[6:7], v[0:1], v[4:5] op_sel:[0,0,1] op_sel_hi:[1,1,0] neg_lo:[0,0,1] neg_hi:[0,0,1]
	v_pk_fma_f32 v[4:5], v[6:7], v[0:1], v[4:5] op_sel:[0,0,1] op_sel_hi:[1,0,0]
	s_delay_alu instid0(VALU_DEP_1)
	v_mov_b32_e32 v9, v5
	ds_load_2addr_b64 v[4:7], v80 offset0:42 offset1:43
	v_pk_add_f32 v[192:193], v[192:193], v[10:11] neg_lo:[0,1] neg_hi:[0,1]
	v_pk_add_f32 v[184:185], v[184:185], v[8:9] neg_lo:[0,1] neg_hi:[0,1]
	s_wait_dscnt 0x0
	v_pk_mul_f32 v[8:9], v[4:5], v[2:3] op_sel:[0,1]
	s_delay_alu instid0(VALU_DEP_1) | instskip(SKIP_1) | instid1(VALU_DEP_1)
	v_pk_fma_f32 v[10:11], v[4:5], v[0:1], v[8:9] op_sel:[0,0,1] op_sel_hi:[1,1,0] neg_lo:[0,0,1] neg_hi:[0,0,1]
	v_pk_fma_f32 v[4:5], v[4:5], v[0:1], v[8:9] op_sel:[0,0,1] op_sel_hi:[1,0,0]
	v_mov_b32_e32 v11, v5
	v_pk_mul_f32 v[4:5], v[6:7], v[2:3] op_sel:[0,1]
	s_delay_alu instid0(VALU_DEP_1) | instskip(SKIP_1) | instid1(VALU_DEP_1)
	v_pk_fma_f32 v[8:9], v[6:7], v[0:1], v[4:5] op_sel:[0,0,1] op_sel_hi:[1,1,0] neg_lo:[0,0,1] neg_hi:[0,0,1]
	v_pk_fma_f32 v[4:5], v[6:7], v[0:1], v[4:5] op_sel:[0,0,1] op_sel_hi:[1,0,0]
	v_mov_b32_e32 v9, v5
	ds_load_2addr_b64 v[4:7], v80 offset0:44 offset1:45
	v_pk_add_f32 v[190:191], v[190:191], v[10:11] neg_lo:[0,1] neg_hi:[0,1]
	v_pk_add_f32 v[182:183], v[182:183], v[8:9] neg_lo:[0,1] neg_hi:[0,1]
	s_wait_dscnt 0x0
	v_dual_mul_f32 v8, v5, v3 :: v_dual_mul_f32 v10, v5, v0
	s_delay_alu instid0(VALU_DEP_1) | instskip(NEXT) | instid1(VALU_DEP_2)
	v_pk_fma_f32 v[8:9], v[4:5], v[46:47], v[8:9] op_sel_hi:[1,1,0] neg_lo:[0,0,1] neg_hi:[0,0,1]
	v_pk_fma_f32 v[4:5], v[4:5], v[46:47], v[10:11] op_sel:[1,0,0] op_sel_hi:[0,1,0]
	s_delay_alu instid0(VALU_DEP_1) | instskip(SKIP_1) | instid1(VALU_DEP_2)
	v_mov_b32_e32 v9, v5
	v_pk_mul_f32 v[4:5], v[6:7], v[2:3] op_sel:[0,1]
	v_pk_add_f32 v[188:189], v[188:189], v[8:9] neg_lo:[0,1] neg_hi:[0,1]
	s_delay_alu instid0(VALU_DEP_2) | instskip(SKIP_1) | instid1(VALU_DEP_1)
	v_pk_fma_f32 v[8:9], v[6:7], v[0:1], v[4:5] op_sel:[0,0,1] op_sel_hi:[1,1,0] neg_lo:[0,0,1] neg_hi:[0,0,1]
	v_pk_fma_f32 v[4:5], v[6:7], v[0:1], v[4:5] op_sel:[0,0,1] op_sel_hi:[1,0,0]
	v_mov_b32_e32 v9, v5
	ds_load_2addr_b64 v[4:7], v80 offset0:46 offset1:47
	v_pk_add_f32 v[180:181], v[180:181], v[8:9] neg_lo:[0,1] neg_hi:[0,1]
	s_wait_dscnt 0x0
	v_pk_mul_f32 v[8:9], v[4:5], v[2:3] op_sel:[0,1]
	s_delay_alu instid0(VALU_DEP_1) | instskip(SKIP_1) | instid1(VALU_DEP_1)
	v_pk_fma_f32 v[10:11], v[4:5], v[0:1], v[8:9] op_sel:[0,0,1] op_sel_hi:[1,1,0] neg_lo:[0,0,1] neg_hi:[0,0,1]
	v_pk_fma_f32 v[4:5], v[4:5], v[0:1], v[8:9] op_sel:[0,0,1] op_sel_hi:[1,0,0]
	v_mov_b32_e32 v11, v5
	v_pk_mul_f32 v[4:5], v[6:7], v[2:3] op_sel:[0,1]
	s_delay_alu instid0(VALU_DEP_2) | instskip(NEXT) | instid1(VALU_DEP_2)
	v_pk_add_f32 v[186:187], v[186:187], v[10:11] neg_lo:[0,1] neg_hi:[0,1]
	v_pk_fma_f32 v[8:9], v[6:7], v[0:1], v[4:5] op_sel:[0,0,1] op_sel_hi:[1,1,0] neg_lo:[0,0,1] neg_hi:[0,0,1]
	v_pk_fma_f32 v[4:5], v[6:7], v[0:1], v[4:5] op_sel:[0,0,1] op_sel_hi:[1,0,0]
	s_delay_alu instid0(VALU_DEP_1) | instskip(SKIP_4) | instid1(VALU_DEP_1)
	v_mov_b32_e32 v9, v5
	ds_load_b64 v[4:5], v80 offset:384
	v_pk_add_f32 v[194:195], v[194:195], v[8:9] neg_lo:[0,1] neg_hi:[0,1]
	s_wait_dscnt 0x0
	v_pk_mul_f32 v[2:3], v[4:5], v[2:3] op_sel:[0,1]
	v_pk_fma_f32 v[6:7], v[4:5], v[0:1], v[2:3] op_sel:[0,0,1] op_sel_hi:[1,1,0] neg_lo:[0,0,1] neg_hi:[0,0,1]
	v_pk_fma_f32 v[0:1], v[4:5], v[0:1], v[2:3] op_sel:[0,0,1] op_sel_hi:[1,0,0]
	s_delay_alu instid0(VALU_DEP_1) | instskip(NEXT) | instid1(VALU_DEP_1)
	v_mov_b32_e32 v7, v1
	v_pk_add_f32 v[196:197], v[196:197], v[6:7] neg_lo:[0,1] neg_hi:[0,1]
.LBB97_145:
	s_wait_xcnt 0x0
	s_or_b32 exec_lo, exec_lo, s1
	s_delay_alu instid0(SALU_CYCLE_1)
	s_mov_b32 s2, exec_lo
	s_wait_storecnt 0x0
	s_barrier_signal -1
	s_barrier_wait -1
	v_cmpx_eq_u32_e32 16, v78
	s_cbranch_execz .LBB97_152
; %bb.146:
	ds_store_b64 v79, v[76:77]
	ds_store_2addr_b64 v80, v[72:73], v[74:75] offset0:17 offset1:18
	ds_store_2addr_b64 v80, v[70:71], v[94:95] offset0:19 offset1:20
	;; [unrolled: 1-line block ×16, first 2 shown]
	ds_load_b64 v[0:1], v79
	s_wait_dscnt 0x0
	v_cmp_neq_f32_e32 vcc_lo, 0, v0
	v_cmp_neq_f32_e64 s1, 0, v1
	s_or_b32 s1, vcc_lo, s1
	s_delay_alu instid0(SALU_CYCLE_1)
	s_and_b32 exec_lo, exec_lo, s1
	s_cbranch_execz .LBB97_152
; %bb.147:
	v_cmp_ngt_f32_e64 s1, |v0|, |v1|
                                        ; implicit-def: $vgpr2_vgpr3
	s_and_saveexec_b32 s4, s1
	s_delay_alu instid0(SALU_CYCLE_1)
	s_xor_b32 s1, exec_lo, s4
	s_cbranch_execz .LBB97_149
; %bb.148:
	v_div_scale_f32 v2, null, v1, v1, v0
	v_div_scale_f32 v5, vcc_lo, v0, v1, v0
	s_delay_alu instid0(VALU_DEP_2) | instskip(SKIP_1) | instid1(TRANS32_DEP_1)
	v_rcp_f32_e32 v3, v2
	v_nop
	v_fma_f32 v4, -v2, v3, 1.0
	s_delay_alu instid0(VALU_DEP_1) | instskip(NEXT) | instid1(VALU_DEP_1)
	v_fmac_f32_e32 v3, v4, v3
	v_mul_f32_e32 v4, v5, v3
	s_delay_alu instid0(VALU_DEP_1) | instskip(NEXT) | instid1(VALU_DEP_1)
	v_fma_f32 v6, -v2, v4, v5
	v_fmac_f32_e32 v4, v6, v3
	s_delay_alu instid0(VALU_DEP_1) | instskip(NEXT) | instid1(VALU_DEP_1)
	v_fma_f32 v2, -v2, v4, v5
	v_div_fmas_f32 v2, v2, v3, v4
	s_delay_alu instid0(VALU_DEP_1) | instskip(NEXT) | instid1(VALU_DEP_1)
	v_div_fixup_f32 v2, v2, v1, v0
	v_fmac_f32_e32 v1, v0, v2
	s_delay_alu instid0(VALU_DEP_1) | instskip(SKIP_1) | instid1(VALU_DEP_2)
	v_div_scale_f32 v0, null, v1, v1, 1.0
	v_div_scale_f32 v5, vcc_lo, 1.0, v1, 1.0
	v_rcp_f32_e32 v3, v0
	v_nop
	s_delay_alu instid0(TRANS32_DEP_1) | instskip(NEXT) | instid1(VALU_DEP_1)
	v_fma_f32 v4, -v0, v3, 1.0
	v_fmac_f32_e32 v3, v4, v3
	s_delay_alu instid0(VALU_DEP_1) | instskip(NEXT) | instid1(VALU_DEP_1)
	v_mul_f32_e32 v4, v5, v3
	v_fma_f32 v6, -v0, v4, v5
	s_delay_alu instid0(VALU_DEP_1) | instskip(NEXT) | instid1(VALU_DEP_1)
	v_fmac_f32_e32 v4, v6, v3
	v_fma_f32 v0, -v0, v4, v5
	s_delay_alu instid0(VALU_DEP_1) | instskip(NEXT) | instid1(VALU_DEP_1)
	v_div_fmas_f32 v0, v0, v3, v4
	v_div_fixup_f32 v0, v0, v1, 1.0
	s_delay_alu instid0(VALU_DEP_1)
	v_mul_f32_e32 v2, v2, v0
	v_xor_b32_e32 v3, 0x80000000, v0
                                        ; implicit-def: $vgpr0_vgpr1
.LBB97_149:
	s_and_not1_saveexec_b32 s1, s1
	s_cbranch_execz .LBB97_151
; %bb.150:
	v_div_scale_f32 v2, null, v0, v0, v1
	v_div_scale_f32 v5, vcc_lo, v1, v0, v1
	s_delay_alu instid0(VALU_DEP_2) | instskip(SKIP_1) | instid1(TRANS32_DEP_1)
	v_rcp_f32_e32 v3, v2
	v_nop
	v_fma_f32 v4, -v2, v3, 1.0
	s_delay_alu instid0(VALU_DEP_1) | instskip(NEXT) | instid1(VALU_DEP_1)
	v_fmac_f32_e32 v3, v4, v3
	v_mul_f32_e32 v4, v5, v3
	s_delay_alu instid0(VALU_DEP_1) | instskip(NEXT) | instid1(VALU_DEP_1)
	v_fma_f32 v6, -v2, v4, v5
	v_fmac_f32_e32 v4, v6, v3
	s_delay_alu instid0(VALU_DEP_1) | instskip(NEXT) | instid1(VALU_DEP_1)
	v_fma_f32 v2, -v2, v4, v5
	v_div_fmas_f32 v2, v2, v3, v4
	s_delay_alu instid0(VALU_DEP_1) | instskip(NEXT) | instid1(VALU_DEP_1)
	v_div_fixup_f32 v3, v2, v0, v1
	v_fmac_f32_e32 v0, v1, v3
	s_delay_alu instid0(VALU_DEP_1) | instskip(NEXT) | instid1(VALU_DEP_1)
	v_div_scale_f32 v1, null, v0, v0, 1.0
	v_rcp_f32_e32 v2, v1
	v_nop
	s_delay_alu instid0(TRANS32_DEP_1) | instskip(NEXT) | instid1(VALU_DEP_1)
	v_fma_f32 v4, -v1, v2, 1.0
	v_fmac_f32_e32 v2, v4, v2
	v_div_scale_f32 v4, vcc_lo, 1.0, v0, 1.0
	s_delay_alu instid0(VALU_DEP_1) | instskip(NEXT) | instid1(VALU_DEP_1)
	v_mul_f32_e32 v5, v4, v2
	v_fma_f32 v6, -v1, v5, v4
	s_delay_alu instid0(VALU_DEP_1) | instskip(NEXT) | instid1(VALU_DEP_1)
	v_fmac_f32_e32 v5, v6, v2
	v_fma_f32 v1, -v1, v5, v4
	s_delay_alu instid0(VALU_DEP_1) | instskip(NEXT) | instid1(VALU_DEP_1)
	v_div_fmas_f32 v1, v1, v2, v5
	v_div_fixup_f32 v2, v1, v0, 1.0
	s_delay_alu instid0(VALU_DEP_1)
	v_mul_f32_e64 v3, v3, -v2
.LBB97_151:
	s_or_b32 exec_lo, exec_lo, s1
	ds_store_b64 v79, v[2:3]
.LBB97_152:
	s_or_b32 exec_lo, exec_lo, s2
	s_wait_dscnt 0x0
	s_barrier_signal -1
	s_barrier_wait -1
	ds_load_b64 v[0:1], v79
	s_mov_b32 s1, exec_lo
	s_wait_dscnt 0x0
	scratch_store_b64 off, v[0:1], off offset:96 ; 8-byte Folded Spill
	s_wait_xcnt 0x0
	v_cmpx_lt_u32_e32 16, v78
	s_cbranch_execz .LBB97_154
; %bb.153:
	scratch_load_b64 v[4:5], off, off offset:96 ; 8-byte Folded Reload
	s_wait_loadcnt 0x0
	v_pk_mul_f32 v[2:3], v[4:5], v[76:77] op_sel:[1,1] op_sel_hi:[0,1]
	s_delay_alu instid0(VALU_DEP_1)
	v_pk_fma_f32 v[0:1], v[4:5], v[76:77], v[2:3] op_sel_hi:[1,0,1] neg_lo:[0,0,1] neg_hi:[0,0,1]
	v_pk_fma_f32 v[2:3], v[4:5], v[76:77], v[2:3] op_sel_hi:[1,0,1]
	ds_load_2addr_b64 v[4:7], v80 offset0:17 offset1:18
	v_dual_mov_b32 v76, v0 :: v_dual_mov_b32 v77, v3
	s_wait_dscnt 0x0
	v_pk_mul_f32 v[8:9], v[4:5], v[2:3] op_sel:[0,1]
	s_delay_alu instid0(VALU_DEP_1) | instskip(SKIP_1) | instid1(VALU_DEP_1)
	v_pk_fma_f32 v[10:11], v[4:5], v[0:1], v[8:9] op_sel:[0,0,1] op_sel_hi:[1,1,0] neg_lo:[0,0,1] neg_hi:[0,0,1]
	v_pk_fma_f32 v[4:5], v[4:5], v[0:1], v[8:9] op_sel:[0,0,1] op_sel_hi:[1,0,0]
	v_mov_b32_e32 v11, v5
	v_pk_mul_f32 v[4:5], v[6:7], v[2:3] op_sel:[0,1]
	s_delay_alu instid0(VALU_DEP_1) | instskip(SKIP_1) | instid1(VALU_DEP_1)
	v_pk_fma_f32 v[8:9], v[6:7], v[0:1], v[4:5] op_sel:[0,0,1] op_sel_hi:[1,1,0] neg_lo:[0,0,1] neg_hi:[0,0,1]
	v_pk_fma_f32 v[4:5], v[6:7], v[0:1], v[4:5] op_sel:[0,0,1] op_sel_hi:[1,0,0]
	v_mov_b32_e32 v9, v5
	ds_load_2addr_b64 v[4:7], v80 offset0:19 offset1:20
	v_pk_add_f32 v[72:73], v[72:73], v[10:11] neg_lo:[0,1] neg_hi:[0,1]
	v_pk_add_f32 v[74:75], v[74:75], v[8:9] neg_lo:[0,1] neg_hi:[0,1]
	s_wait_dscnt 0x0
	v_pk_mul_f32 v[8:9], v[4:5], v[2:3] op_sel:[0,1]
	s_delay_alu instid0(VALU_DEP_1) | instskip(SKIP_2) | instid1(VALU_DEP_2)
	v_pk_fma_f32 v[10:11], v[4:5], v[0:1], v[8:9] op_sel:[0,0,1] op_sel_hi:[1,1,0] neg_lo:[0,0,1] neg_hi:[0,0,1]
	v_pk_fma_f32 v[4:5], v[4:5], v[0:1], v[8:9] op_sel:[0,0,1] op_sel_hi:[1,0,0]
	v_dual_mul_f32 v8, v7, v3 :: v_dual_mov_b32 v4, v7
	v_dual_mov_b32 v11, v5 :: v_dual_mov_b32 v5, v6
	s_delay_alu instid0(VALU_DEP_2) | instskip(SKIP_1) | instid1(VALU_DEP_3)
	v_pk_fma_f32 v[8:9], v[6:7], v[76:77], v[8:9] op_sel_hi:[1,1,0] neg_lo:[0,0,1] neg_hi:[0,0,1]
	v_mul_f32_e32 v6, v7, v0
	v_pk_add_f32 v[70:71], v[70:71], v[10:11] neg_lo:[0,1] neg_hi:[0,1]
	s_delay_alu instid0(VALU_DEP_2) | instskip(NEXT) | instid1(VALU_DEP_1)
	v_pk_fma_f32 v[4:5], v[4:5], v[76:77], v[6:7] op_sel_hi:[1,1,0]
	v_mov_b32_e32 v9, v5
	ds_load_2addr_b64 v[4:7], v80 offset0:21 offset1:22
	v_pk_add_f32 v[94:95], v[94:95], v[8:9] neg_lo:[0,1] neg_hi:[0,1]
	s_wait_dscnt 0x0
	v_pk_mul_f32 v[8:9], v[4:5], v[2:3] op_sel:[0,1]
	s_delay_alu instid0(VALU_DEP_1) | instskip(SKIP_1) | instid1(VALU_DEP_1)
	v_pk_fma_f32 v[10:11], v[4:5], v[0:1], v[8:9] op_sel:[0,0,1] op_sel_hi:[1,1,0] neg_lo:[0,0,1] neg_hi:[0,0,1]
	v_pk_fma_f32 v[4:5], v[4:5], v[0:1], v[8:9] op_sel:[0,0,1] op_sel_hi:[1,0,0]
	v_mov_b32_e32 v11, v5
	v_pk_mul_f32 v[4:5], v[6:7], v[2:3] op_sel:[0,1]
	s_delay_alu instid0(VALU_DEP_1) | instskip(SKIP_1) | instid1(VALU_DEP_1)
	v_pk_fma_f32 v[8:9], v[6:7], v[0:1], v[4:5] op_sel:[0,0,1] op_sel_hi:[1,1,0] neg_lo:[0,0,1] neg_hi:[0,0,1]
	v_pk_fma_f32 v[4:5], v[6:7], v[0:1], v[4:5] op_sel:[0,0,1] op_sel_hi:[1,0,0]
	v_mov_b32_e32 v9, v5
	ds_load_2addr_b64 v[4:7], v80 offset0:23 offset1:24
	v_pk_add_f32 v[90:91], v[90:91], v[10:11] neg_lo:[0,1] neg_hi:[0,1]
	v_pk_add_f32 v[92:93], v[92:93], v[8:9] neg_lo:[0,1] neg_hi:[0,1]
	s_wait_dscnt 0x0
	v_pk_mul_f32 v[8:9], v[4:5], v[2:3] op_sel:[0,1]
	s_delay_alu instid0(VALU_DEP_1) | instskip(SKIP_1) | instid1(VALU_DEP_1)
	v_pk_fma_f32 v[10:11], v[4:5], v[0:1], v[8:9] op_sel:[0,0,1] op_sel_hi:[1,1,0] neg_lo:[0,0,1] neg_hi:[0,0,1]
	v_pk_fma_f32 v[4:5], v[4:5], v[0:1], v[8:9] op_sel:[0,0,1] op_sel_hi:[1,0,0]
	v_mov_b32_e32 v11, v5
	v_pk_mul_f32 v[4:5], v[6:7], v[2:3] op_sel:[0,1]
	s_delay_alu instid0(VALU_DEP_1) | instskip(SKIP_1) | instid1(VALU_DEP_1)
	v_pk_fma_f32 v[8:9], v[6:7], v[0:1], v[4:5] op_sel:[0,0,1] op_sel_hi:[1,1,0] neg_lo:[0,0,1] neg_hi:[0,0,1]
	v_pk_fma_f32 v[4:5], v[6:7], v[0:1], v[4:5] op_sel:[0,0,1] op_sel_hi:[1,0,0]
	v_mov_b32_e32 v9, v5
	ds_load_2addr_b64 v[4:7], v80 offset0:25 offset1:26
	v_pk_add_f32 v[88:89], v[88:89], v[10:11] neg_lo:[0,1] neg_hi:[0,1]
	v_pk_add_f32 v[112:113], v[112:113], v[8:9] neg_lo:[0,1] neg_hi:[0,1]
	s_wait_dscnt 0x0
	v_dual_mul_f32 v8, v5, v3 :: v_dual_mul_f32 v10, v5, v0
	s_delay_alu instid0(VALU_DEP_1) | instskip(NEXT) | instid1(VALU_DEP_2)
	v_pk_fma_f32 v[8:9], v[4:5], v[76:77], v[8:9] op_sel_hi:[1,1,0] neg_lo:[0,0,1] neg_hi:[0,0,1]
	v_pk_fma_f32 v[4:5], v[4:5], v[76:77], v[10:11] op_sel:[1,0,0] op_sel_hi:[0,1,0]
	s_delay_alu instid0(VALU_DEP_1) | instskip(SKIP_1) | instid1(VALU_DEP_2)
	v_mov_b32_e32 v9, v5
	v_pk_mul_f32 v[4:5], v[6:7], v[2:3] op_sel:[0,1]
	v_pk_add_f32 v[108:109], v[108:109], v[8:9] neg_lo:[0,1] neg_hi:[0,1]
	s_delay_alu instid0(VALU_DEP_2) | instskip(SKIP_1) | instid1(VALU_DEP_1)
	v_pk_fma_f32 v[8:9], v[6:7], v[0:1], v[4:5] op_sel:[0,0,1] op_sel_hi:[1,1,0] neg_lo:[0,0,1] neg_hi:[0,0,1]
	v_pk_fma_f32 v[4:5], v[6:7], v[0:1], v[4:5] op_sel:[0,0,1] op_sel_hi:[1,0,0]
	v_mov_b32_e32 v9, v5
	ds_load_2addr_b64 v[4:7], v80 offset0:27 offset1:28
	v_pk_add_f32 v[110:111], v[110:111], v[8:9] neg_lo:[0,1] neg_hi:[0,1]
	s_wait_dscnt 0x0
	v_pk_mul_f32 v[8:9], v[4:5], v[2:3] op_sel:[0,1]
	s_delay_alu instid0(VALU_DEP_1) | instskip(SKIP_1) | instid1(VALU_DEP_1)
	v_pk_fma_f32 v[10:11], v[4:5], v[0:1], v[8:9] op_sel:[0,0,1] op_sel_hi:[1,1,0] neg_lo:[0,0,1] neg_hi:[0,0,1]
	v_pk_fma_f32 v[4:5], v[4:5], v[0:1], v[8:9] op_sel:[0,0,1] op_sel_hi:[1,0,0]
	v_mov_b32_e32 v11, v5
	v_pk_mul_f32 v[4:5], v[6:7], v[2:3] op_sel:[0,1]
	s_delay_alu instid0(VALU_DEP_2) | instskip(NEXT) | instid1(VALU_DEP_2)
	v_pk_add_f32 v[106:107], v[106:107], v[10:11] neg_lo:[0,1] neg_hi:[0,1]
	v_pk_fma_f32 v[8:9], v[6:7], v[0:1], v[4:5] op_sel:[0,0,1] op_sel_hi:[1,1,0] neg_lo:[0,0,1] neg_hi:[0,0,1]
	v_pk_fma_f32 v[4:5], v[6:7], v[0:1], v[4:5] op_sel:[0,0,1] op_sel_hi:[1,0,0]
	s_delay_alu instid0(VALU_DEP_1) | instskip(SKIP_4) | instid1(VALU_DEP_1)
	v_mov_b32_e32 v9, v5
	ds_load_2addr_b64 v[4:7], v80 offset0:29 offset1:30
	v_pk_add_f32 v[128:129], v[128:129], v[8:9] neg_lo:[0,1] neg_hi:[0,1]
	s_wait_dscnt 0x0
	v_pk_mul_f32 v[8:9], v[4:5], v[2:3] op_sel:[0,1]
	v_pk_fma_f32 v[10:11], v[4:5], v[0:1], v[8:9] op_sel:[0,0,1] op_sel_hi:[1,1,0] neg_lo:[0,0,1] neg_hi:[0,0,1]
	v_pk_fma_f32 v[4:5], v[4:5], v[0:1], v[8:9] op_sel:[0,0,1] op_sel_hi:[1,0,0]
	v_dual_mul_f32 v8, v7, v3 :: v_dual_mov_b32 v4, v7
	s_delay_alu instid0(VALU_DEP_2) | instskip(NEXT) | instid1(VALU_DEP_2)
	v_dual_mov_b32 v11, v5 :: v_dual_mov_b32 v5, v6
	v_pk_fma_f32 v[8:9], v[6:7], v[76:77], v[8:9] op_sel_hi:[1,1,0] neg_lo:[0,0,1] neg_hi:[0,0,1]
	v_mul_f32_e32 v6, v7, v0
	s_delay_alu instid0(VALU_DEP_3) | instskip(NEXT) | instid1(VALU_DEP_2)
	v_pk_add_f32 v[124:125], v[124:125], v[10:11] neg_lo:[0,1] neg_hi:[0,1]
	v_pk_fma_f32 v[4:5], v[4:5], v[76:77], v[6:7] op_sel_hi:[1,1,0]
	s_delay_alu instid0(VALU_DEP_1) | instskip(SKIP_4) | instid1(VALU_DEP_1)
	v_mov_b32_e32 v9, v5
	ds_load_2addr_b64 v[4:7], v80 offset0:31 offset1:32
	v_pk_add_f32 v[126:127], v[126:127], v[8:9] neg_lo:[0,1] neg_hi:[0,1]
	s_wait_dscnt 0x0
	v_pk_mul_f32 v[8:9], v[4:5], v[2:3] op_sel:[0,1]
	v_pk_fma_f32 v[10:11], v[4:5], v[0:1], v[8:9] op_sel:[0,0,1] op_sel_hi:[1,1,0] neg_lo:[0,0,1] neg_hi:[0,0,1]
	v_pk_fma_f32 v[4:5], v[4:5], v[0:1], v[8:9] op_sel:[0,0,1] op_sel_hi:[1,0,0]
	s_delay_alu instid0(VALU_DEP_1) | instskip(SKIP_1) | instid1(VALU_DEP_1)
	v_mov_b32_e32 v11, v5
	v_pk_mul_f32 v[4:5], v[6:7], v[2:3] op_sel:[0,1]
	v_pk_fma_f32 v[8:9], v[6:7], v[0:1], v[4:5] op_sel:[0,0,1] op_sel_hi:[1,1,0] neg_lo:[0,0,1] neg_hi:[0,0,1]
	v_pk_fma_f32 v[4:5], v[6:7], v[0:1], v[4:5] op_sel:[0,0,1] op_sel_hi:[1,0,0]
	s_delay_alu instid0(VALU_DEP_1)
	v_mov_b32_e32 v9, v5
	ds_load_2addr_b64 v[4:7], v80 offset0:33 offset1:34
	v_pk_add_f32 v[122:123], v[122:123], v[10:11] neg_lo:[0,1] neg_hi:[0,1]
	v_pk_add_f32 v[144:145], v[144:145], v[8:9] neg_lo:[0,1] neg_hi:[0,1]
	s_wait_dscnt 0x0
	v_pk_mul_f32 v[8:9], v[4:5], v[2:3] op_sel:[0,1]
	s_delay_alu instid0(VALU_DEP_1) | instskip(SKIP_1) | instid1(VALU_DEP_1)
	v_pk_fma_f32 v[10:11], v[4:5], v[0:1], v[8:9] op_sel:[0,0,1] op_sel_hi:[1,1,0] neg_lo:[0,0,1] neg_hi:[0,0,1]
	v_pk_fma_f32 v[4:5], v[4:5], v[0:1], v[8:9] op_sel:[0,0,1] op_sel_hi:[1,0,0]
	v_mov_b32_e32 v11, v5
	v_pk_mul_f32 v[4:5], v[6:7], v[2:3] op_sel:[0,1]
	s_delay_alu instid0(VALU_DEP_1) | instskip(SKIP_1) | instid1(VALU_DEP_1)
	v_pk_fma_f32 v[8:9], v[6:7], v[0:1], v[4:5] op_sel:[0,0,1] op_sel_hi:[1,1,0] neg_lo:[0,0,1] neg_hi:[0,0,1]
	v_pk_fma_f32 v[4:5], v[6:7], v[0:1], v[4:5] op_sel:[0,0,1] op_sel_hi:[1,0,0]
	v_mov_b32_e32 v9, v5
	ds_load_2addr_b64 v[4:7], v80 offset0:35 offset1:36
	v_pk_add_f32 v[140:141], v[140:141], v[10:11] neg_lo:[0,1] neg_hi:[0,1]
	v_pk_add_f32 v[142:143], v[142:143], v[8:9] neg_lo:[0,1] neg_hi:[0,1]
	s_wait_dscnt 0x0
	v_dual_mul_f32 v8, v5, v3 :: v_dual_mul_f32 v10, v5, v0
	s_delay_alu instid0(VALU_DEP_1) | instskip(NEXT) | instid1(VALU_DEP_2)
	v_pk_fma_f32 v[8:9], v[4:5], v[76:77], v[8:9] op_sel_hi:[1,1,0] neg_lo:[0,0,1] neg_hi:[0,0,1]
	v_pk_fma_f32 v[4:5], v[4:5], v[76:77], v[10:11] op_sel:[1,0,0] op_sel_hi:[0,1,0]
	s_delay_alu instid0(VALU_DEP_1) | instskip(SKIP_1) | instid1(VALU_DEP_2)
	v_mov_b32_e32 v9, v5
	v_pk_mul_f32 v[4:5], v[6:7], v[2:3] op_sel:[0,1]
	v_pk_add_f32 v[138:139], v[138:139], v[8:9] neg_lo:[0,1] neg_hi:[0,1]
	s_delay_alu instid0(VALU_DEP_2) | instskip(SKIP_1) | instid1(VALU_DEP_1)
	v_pk_fma_f32 v[8:9], v[6:7], v[0:1], v[4:5] op_sel:[0,0,1] op_sel_hi:[1,1,0] neg_lo:[0,0,1] neg_hi:[0,0,1]
	v_pk_fma_f32 v[4:5], v[6:7], v[0:1], v[4:5] op_sel:[0,0,1] op_sel_hi:[1,0,0]
	v_mov_b32_e32 v9, v5
	ds_load_2addr_b64 v[4:7], v80 offset0:37 offset1:38
	v_pk_add_f32 v[166:167], v[166:167], v[8:9] neg_lo:[0,1] neg_hi:[0,1]
	s_wait_dscnt 0x0
	v_pk_mul_f32 v[8:9], v[4:5], v[2:3] op_sel:[0,1]
	s_delay_alu instid0(VALU_DEP_1) | instskip(SKIP_1) | instid1(VALU_DEP_1)
	v_pk_fma_f32 v[10:11], v[4:5], v[0:1], v[8:9] op_sel:[0,0,1] op_sel_hi:[1,1,0] neg_lo:[0,0,1] neg_hi:[0,0,1]
	v_pk_fma_f32 v[4:5], v[4:5], v[0:1], v[8:9] op_sel:[0,0,1] op_sel_hi:[1,0,0]
	v_mov_b32_e32 v11, v5
	v_pk_mul_f32 v[4:5], v[6:7], v[2:3] op_sel:[0,1]
	s_delay_alu instid0(VALU_DEP_2) | instskip(NEXT) | instid1(VALU_DEP_2)
	v_pk_add_f32 v[162:163], v[162:163], v[10:11] neg_lo:[0,1] neg_hi:[0,1]
	v_pk_fma_f32 v[8:9], v[6:7], v[0:1], v[4:5] op_sel:[0,0,1] op_sel_hi:[1,1,0] neg_lo:[0,0,1] neg_hi:[0,0,1]
	v_pk_fma_f32 v[4:5], v[6:7], v[0:1], v[4:5] op_sel:[0,0,1] op_sel_hi:[1,0,0]
	s_delay_alu instid0(VALU_DEP_1) | instskip(SKIP_4) | instid1(VALU_DEP_1)
	v_mov_b32_e32 v9, v5
	ds_load_2addr_b64 v[4:7], v80 offset0:39 offset1:40
	v_pk_add_f32 v[164:165], v[164:165], v[8:9] neg_lo:[0,1] neg_hi:[0,1]
	s_wait_dscnt 0x0
	v_pk_mul_f32 v[8:9], v[4:5], v[2:3] op_sel:[0,1]
	v_pk_fma_f32 v[10:11], v[4:5], v[0:1], v[8:9] op_sel:[0,0,1] op_sel_hi:[1,1,0] neg_lo:[0,0,1] neg_hi:[0,0,1]
	v_pk_fma_f32 v[4:5], v[4:5], v[0:1], v[8:9] op_sel:[0,0,1] op_sel_hi:[1,0,0]
	v_dual_mul_f32 v8, v7, v3 :: v_dual_mov_b32 v4, v7
	s_delay_alu instid0(VALU_DEP_2) | instskip(NEXT) | instid1(VALU_DEP_2)
	v_dual_mov_b32 v11, v5 :: v_dual_mov_b32 v5, v6
	v_pk_fma_f32 v[8:9], v[6:7], v[76:77], v[8:9] op_sel_hi:[1,1,0] neg_lo:[0,0,1] neg_hi:[0,0,1]
	v_mul_f32_e32 v6, v7, v0
	s_delay_alu instid0(VALU_DEP_3) | instskip(NEXT) | instid1(VALU_DEP_2)
	v_pk_add_f32 v[160:161], v[160:161], v[10:11] neg_lo:[0,1] neg_hi:[0,1]
	v_pk_fma_f32 v[4:5], v[4:5], v[76:77], v[6:7] op_sel_hi:[1,1,0]
	s_delay_alu instid0(VALU_DEP_1) | instskip(SKIP_4) | instid1(VALU_DEP_1)
	v_mov_b32_e32 v9, v5
	ds_load_2addr_b64 v[4:7], v80 offset0:41 offset1:42
	v_pk_add_f32 v[192:193], v[192:193], v[8:9] neg_lo:[0,1] neg_hi:[0,1]
	s_wait_dscnt 0x0
	v_pk_mul_f32 v[8:9], v[4:5], v[2:3] op_sel:[0,1]
	v_pk_fma_f32 v[10:11], v[4:5], v[0:1], v[8:9] op_sel:[0,0,1] op_sel_hi:[1,1,0] neg_lo:[0,0,1] neg_hi:[0,0,1]
	v_pk_fma_f32 v[4:5], v[4:5], v[0:1], v[8:9] op_sel:[0,0,1] op_sel_hi:[1,0,0]
	s_delay_alu instid0(VALU_DEP_1) | instskip(SKIP_1) | instid1(VALU_DEP_1)
	v_mov_b32_e32 v11, v5
	v_pk_mul_f32 v[4:5], v[6:7], v[2:3] op_sel:[0,1]
	v_pk_fma_f32 v[8:9], v[6:7], v[0:1], v[4:5] op_sel:[0,0,1] op_sel_hi:[1,1,0] neg_lo:[0,0,1] neg_hi:[0,0,1]
	v_pk_fma_f32 v[4:5], v[6:7], v[0:1], v[4:5] op_sel:[0,0,1] op_sel_hi:[1,0,0]
	s_delay_alu instid0(VALU_DEP_1)
	v_mov_b32_e32 v9, v5
	ds_load_2addr_b64 v[4:7], v80 offset0:43 offset1:44
	v_pk_add_f32 v[184:185], v[184:185], v[10:11] neg_lo:[0,1] neg_hi:[0,1]
	v_pk_add_f32 v[190:191], v[190:191], v[8:9] neg_lo:[0,1] neg_hi:[0,1]
	s_wait_dscnt 0x0
	v_pk_mul_f32 v[8:9], v[4:5], v[2:3] op_sel:[0,1]
	s_delay_alu instid0(VALU_DEP_1) | instskip(SKIP_1) | instid1(VALU_DEP_1)
	v_pk_fma_f32 v[10:11], v[4:5], v[0:1], v[8:9] op_sel:[0,0,1] op_sel_hi:[1,1,0] neg_lo:[0,0,1] neg_hi:[0,0,1]
	v_pk_fma_f32 v[4:5], v[4:5], v[0:1], v[8:9] op_sel:[0,0,1] op_sel_hi:[1,0,0]
	v_mov_b32_e32 v11, v5
	v_pk_mul_f32 v[4:5], v[6:7], v[2:3] op_sel:[0,1]
	s_delay_alu instid0(VALU_DEP_1) | instskip(SKIP_1) | instid1(VALU_DEP_1)
	v_pk_fma_f32 v[8:9], v[6:7], v[0:1], v[4:5] op_sel:[0,0,1] op_sel_hi:[1,1,0] neg_lo:[0,0,1] neg_hi:[0,0,1]
	v_pk_fma_f32 v[4:5], v[6:7], v[0:1], v[4:5] op_sel:[0,0,1] op_sel_hi:[1,0,0]
	v_mov_b32_e32 v9, v5
	ds_load_2addr_b64 v[4:7], v80 offset0:45 offset1:46
	v_pk_add_f32 v[182:183], v[182:183], v[10:11] neg_lo:[0,1] neg_hi:[0,1]
	v_pk_add_f32 v[188:189], v[188:189], v[8:9] neg_lo:[0,1] neg_hi:[0,1]
	s_wait_dscnt 0x0
	v_dual_mul_f32 v8, v5, v3 :: v_dual_mul_f32 v10, v5, v0
	s_delay_alu instid0(VALU_DEP_1) | instskip(NEXT) | instid1(VALU_DEP_2)
	v_pk_fma_f32 v[8:9], v[4:5], v[76:77], v[8:9] op_sel_hi:[1,1,0] neg_lo:[0,0,1] neg_hi:[0,0,1]
	v_pk_fma_f32 v[4:5], v[4:5], v[76:77], v[10:11] op_sel:[1,0,0] op_sel_hi:[0,1,0]
	s_delay_alu instid0(VALU_DEP_1) | instskip(SKIP_1) | instid1(VALU_DEP_2)
	v_mov_b32_e32 v9, v5
	v_pk_mul_f32 v[4:5], v[6:7], v[2:3] op_sel:[0,1]
	v_pk_add_f32 v[180:181], v[180:181], v[8:9] neg_lo:[0,1] neg_hi:[0,1]
	s_delay_alu instid0(VALU_DEP_2) | instskip(SKIP_1) | instid1(VALU_DEP_1)
	v_pk_fma_f32 v[8:9], v[6:7], v[0:1], v[4:5] op_sel:[0,0,1] op_sel_hi:[1,1,0] neg_lo:[0,0,1] neg_hi:[0,0,1]
	v_pk_fma_f32 v[4:5], v[6:7], v[0:1], v[4:5] op_sel:[0,0,1] op_sel_hi:[1,0,0]
	v_mov_b32_e32 v9, v5
	ds_load_2addr_b64 v[4:7], v80 offset0:47 offset1:48
	v_pk_add_f32 v[186:187], v[186:187], v[8:9] neg_lo:[0,1] neg_hi:[0,1]
	s_wait_dscnt 0x0
	v_pk_mul_f32 v[8:9], v[4:5], v[2:3] op_sel:[0,1]
	v_pk_mul_f32 v[2:3], v[6:7], v[2:3] op_sel:[0,1]
	s_delay_alu instid0(VALU_DEP_2) | instskip(SKIP_1) | instid1(VALU_DEP_1)
	v_pk_fma_f32 v[10:11], v[4:5], v[0:1], v[8:9] op_sel:[0,0,1] op_sel_hi:[1,1,0] neg_lo:[0,0,1] neg_hi:[0,0,1]
	v_pk_fma_f32 v[4:5], v[4:5], v[0:1], v[8:9] op_sel:[0,0,1] op_sel_hi:[1,0,0]
	v_mov_b32_e32 v11, v5
	s_delay_alu instid0(VALU_DEP_4) | instskip(SKIP_1) | instid1(VALU_DEP_3)
	v_pk_fma_f32 v[4:5], v[6:7], v[0:1], v[2:3] op_sel:[0,0,1] op_sel_hi:[1,1,0] neg_lo:[0,0,1] neg_hi:[0,0,1]
	v_pk_fma_f32 v[0:1], v[6:7], v[0:1], v[2:3] op_sel:[0,0,1] op_sel_hi:[1,0,0]
	v_pk_add_f32 v[194:195], v[194:195], v[10:11] neg_lo:[0,1] neg_hi:[0,1]
	s_delay_alu instid0(VALU_DEP_2) | instskip(NEXT) | instid1(VALU_DEP_1)
	v_mov_b32_e32 v5, v1
	v_pk_add_f32 v[196:197], v[196:197], v[4:5] neg_lo:[0,1] neg_hi:[0,1]
.LBB97_154:
	s_wait_xcnt 0x0
	s_or_b32 exec_lo, exec_lo, s1
	s_delay_alu instid0(SALU_CYCLE_1)
	s_mov_b32 s2, exec_lo
	s_wait_storecnt 0x0
	s_barrier_signal -1
	s_barrier_wait -1
	v_cmpx_eq_u32_e32 17, v78
	s_cbranch_execz .LBB97_161
; %bb.155:
	v_dual_mov_b32 v0, v74 :: v_dual_mov_b32 v1, v75
	v_dual_mov_b32 v2, v70 :: v_dual_mov_b32 v3, v71
	ds_store_b64 v79, v[72:73]
	ds_store_2addr_b64 v80, v[0:1], v[2:3] offset0:18 offset1:19
	v_dual_mov_b32 v0, v94 :: v_dual_mov_b32 v1, v95
	v_dual_mov_b32 v2, v90 :: v_dual_mov_b32 v3, v91
	ds_store_2addr_b64 v80, v[0:1], v[2:3] offset0:20 offset1:21
	v_dual_mov_b32 v0, v92 :: v_dual_mov_b32 v1, v93
	v_dual_mov_b32 v2, v88 :: v_dual_mov_b32 v3, v89
	;; [unrolled: 3-line block ×14, first 2 shown]
	ds_store_2addr_b64 v80, v[0:1], v[2:3] offset0:46 offset1:47
	ds_store_b64 v80, v[196:197] offset:384
	ds_load_b64 v[0:1], v79
	s_wait_dscnt 0x0
	v_cmp_neq_f32_e32 vcc_lo, 0, v0
	v_cmp_neq_f32_e64 s1, 0, v1
	s_or_b32 s1, vcc_lo, s1
	s_delay_alu instid0(SALU_CYCLE_1)
	s_and_b32 exec_lo, exec_lo, s1
	s_cbranch_execz .LBB97_161
; %bb.156:
	v_cmp_ngt_f32_e64 s1, |v0|, |v1|
                                        ; implicit-def: $vgpr2_vgpr3
	s_and_saveexec_b32 s4, s1
	s_delay_alu instid0(SALU_CYCLE_1)
	s_xor_b32 s1, exec_lo, s4
	s_cbranch_execz .LBB97_158
; %bb.157:
	v_div_scale_f32 v2, null, v1, v1, v0
	v_div_scale_f32 v5, vcc_lo, v0, v1, v0
	s_delay_alu instid0(VALU_DEP_2) | instskip(SKIP_1) | instid1(TRANS32_DEP_1)
	v_rcp_f32_e32 v3, v2
	v_nop
	v_fma_f32 v4, -v2, v3, 1.0
	s_delay_alu instid0(VALU_DEP_1) | instskip(NEXT) | instid1(VALU_DEP_1)
	v_fmac_f32_e32 v3, v4, v3
	v_mul_f32_e32 v4, v5, v3
	s_delay_alu instid0(VALU_DEP_1) | instskip(NEXT) | instid1(VALU_DEP_1)
	v_fma_f32 v6, -v2, v4, v5
	v_fmac_f32_e32 v4, v6, v3
	s_delay_alu instid0(VALU_DEP_1) | instskip(NEXT) | instid1(VALU_DEP_1)
	v_fma_f32 v2, -v2, v4, v5
	v_div_fmas_f32 v2, v2, v3, v4
	s_delay_alu instid0(VALU_DEP_1) | instskip(NEXT) | instid1(VALU_DEP_1)
	v_div_fixup_f32 v2, v2, v1, v0
	v_fmac_f32_e32 v1, v0, v2
	s_delay_alu instid0(VALU_DEP_1) | instskip(SKIP_1) | instid1(VALU_DEP_2)
	v_div_scale_f32 v0, null, v1, v1, 1.0
	v_div_scale_f32 v5, vcc_lo, 1.0, v1, 1.0
	v_rcp_f32_e32 v3, v0
	v_nop
	s_delay_alu instid0(TRANS32_DEP_1) | instskip(NEXT) | instid1(VALU_DEP_1)
	v_fma_f32 v4, -v0, v3, 1.0
	v_fmac_f32_e32 v3, v4, v3
	s_delay_alu instid0(VALU_DEP_1) | instskip(NEXT) | instid1(VALU_DEP_1)
	v_mul_f32_e32 v4, v5, v3
	v_fma_f32 v6, -v0, v4, v5
	s_delay_alu instid0(VALU_DEP_1) | instskip(NEXT) | instid1(VALU_DEP_1)
	v_fmac_f32_e32 v4, v6, v3
	v_fma_f32 v0, -v0, v4, v5
	s_delay_alu instid0(VALU_DEP_1) | instskip(NEXT) | instid1(VALU_DEP_1)
	v_div_fmas_f32 v0, v0, v3, v4
	v_div_fixup_f32 v0, v0, v1, 1.0
	s_delay_alu instid0(VALU_DEP_1)
	v_mul_f32_e32 v2, v2, v0
	v_xor_b32_e32 v3, 0x80000000, v0
                                        ; implicit-def: $vgpr0_vgpr1
.LBB97_158:
	s_and_not1_saveexec_b32 s1, s1
	s_cbranch_execz .LBB97_160
; %bb.159:
	v_div_scale_f32 v2, null, v0, v0, v1
	v_div_scale_f32 v5, vcc_lo, v1, v0, v1
	s_delay_alu instid0(VALU_DEP_2) | instskip(SKIP_1) | instid1(TRANS32_DEP_1)
	v_rcp_f32_e32 v3, v2
	v_nop
	v_fma_f32 v4, -v2, v3, 1.0
	s_delay_alu instid0(VALU_DEP_1) | instskip(NEXT) | instid1(VALU_DEP_1)
	v_fmac_f32_e32 v3, v4, v3
	v_mul_f32_e32 v4, v5, v3
	s_delay_alu instid0(VALU_DEP_1) | instskip(NEXT) | instid1(VALU_DEP_1)
	v_fma_f32 v6, -v2, v4, v5
	v_fmac_f32_e32 v4, v6, v3
	s_delay_alu instid0(VALU_DEP_1) | instskip(NEXT) | instid1(VALU_DEP_1)
	v_fma_f32 v2, -v2, v4, v5
	v_div_fmas_f32 v2, v2, v3, v4
	s_delay_alu instid0(VALU_DEP_1) | instskip(NEXT) | instid1(VALU_DEP_1)
	v_div_fixup_f32 v3, v2, v0, v1
	v_fmac_f32_e32 v0, v1, v3
	s_delay_alu instid0(VALU_DEP_1) | instskip(NEXT) | instid1(VALU_DEP_1)
	v_div_scale_f32 v1, null, v0, v0, 1.0
	v_rcp_f32_e32 v2, v1
	v_nop
	s_delay_alu instid0(TRANS32_DEP_1) | instskip(NEXT) | instid1(VALU_DEP_1)
	v_fma_f32 v4, -v1, v2, 1.0
	v_fmac_f32_e32 v2, v4, v2
	v_div_scale_f32 v4, vcc_lo, 1.0, v0, 1.0
	s_delay_alu instid0(VALU_DEP_1) | instskip(NEXT) | instid1(VALU_DEP_1)
	v_mul_f32_e32 v5, v4, v2
	v_fma_f32 v6, -v1, v5, v4
	s_delay_alu instid0(VALU_DEP_1) | instskip(NEXT) | instid1(VALU_DEP_1)
	v_fmac_f32_e32 v5, v6, v2
	v_fma_f32 v1, -v1, v5, v4
	s_delay_alu instid0(VALU_DEP_1) | instskip(NEXT) | instid1(VALU_DEP_1)
	v_div_fmas_f32 v1, v1, v2, v5
	v_div_fixup_f32 v2, v1, v0, 1.0
	s_delay_alu instid0(VALU_DEP_1)
	v_mul_f32_e64 v3, v3, -v2
.LBB97_160:
	s_or_b32 exec_lo, exec_lo, s1
	ds_store_b64 v79, v[2:3]
.LBB97_161:
	s_or_b32 exec_lo, exec_lo, s2
	s_wait_dscnt 0x0
	s_barrier_signal -1
	s_barrier_wait -1
	ds_load_b64 v[0:1], v79
	s_mov_b32 s1, exec_lo
	s_wait_dscnt 0x0
	scratch_store_b64 off, v[0:1], off offset:104 ; 8-byte Folded Spill
	s_wait_xcnt 0x0
	v_cmpx_lt_u32_e32 17, v78
	s_cbranch_execz .LBB97_163
; %bb.162:
	scratch_load_b64 v[4:5], off, off offset:104 ; 8-byte Folded Reload
	s_wait_loadcnt 0x0
	v_pk_mul_f32 v[2:3], v[4:5], v[72:73] op_sel:[1,1] op_sel_hi:[0,1]
	s_delay_alu instid0(VALU_DEP_1)
	v_pk_fma_f32 v[0:1], v[4:5], v[72:73], v[2:3] op_sel_hi:[1,0,1] neg_lo:[0,0,1] neg_hi:[0,0,1]
	v_pk_fma_f32 v[2:3], v[4:5], v[72:73], v[2:3] op_sel_hi:[1,0,1]
	ds_load_2addr_b64 v[4:7], v80 offset0:18 offset1:19
	v_dual_mov_b32 v72, v0 :: v_dual_mov_b32 v73, v3
	s_wait_dscnt 0x0
	v_pk_mul_f32 v[8:9], v[4:5], v[2:3] op_sel:[0,1]
	s_delay_alu instid0(VALU_DEP_1) | instskip(SKIP_1) | instid1(VALU_DEP_1)
	v_pk_fma_f32 v[10:11], v[4:5], v[0:1], v[8:9] op_sel:[0,0,1] op_sel_hi:[1,1,0] neg_lo:[0,0,1] neg_hi:[0,0,1]
	v_pk_fma_f32 v[4:5], v[4:5], v[0:1], v[8:9] op_sel:[0,0,1] op_sel_hi:[1,0,0]
	v_mov_b32_e32 v11, v5
	v_pk_mul_f32 v[4:5], v[6:7], v[2:3] op_sel:[0,1]
	s_delay_alu instid0(VALU_DEP_1) | instskip(SKIP_1) | instid1(VALU_DEP_1)
	v_pk_fma_f32 v[8:9], v[6:7], v[0:1], v[4:5] op_sel:[0,0,1] op_sel_hi:[1,1,0] neg_lo:[0,0,1] neg_hi:[0,0,1]
	v_pk_fma_f32 v[4:5], v[6:7], v[0:1], v[4:5] op_sel:[0,0,1] op_sel_hi:[1,0,0]
	v_mov_b32_e32 v9, v5
	ds_load_2addr_b64 v[4:7], v80 offset0:20 offset1:21
	v_pk_add_f32 v[74:75], v[74:75], v[10:11] neg_lo:[0,1] neg_hi:[0,1]
	v_pk_add_f32 v[70:71], v[70:71], v[8:9] neg_lo:[0,1] neg_hi:[0,1]
	s_wait_dscnt 0x0
	v_pk_mul_f32 v[8:9], v[4:5], v[2:3] op_sel:[0,1]
	s_delay_alu instid0(VALU_DEP_1) | instskip(SKIP_2) | instid1(VALU_DEP_2)
	v_pk_fma_f32 v[10:11], v[4:5], v[0:1], v[8:9] op_sel:[0,0,1] op_sel_hi:[1,1,0] neg_lo:[0,0,1] neg_hi:[0,0,1]
	v_pk_fma_f32 v[4:5], v[4:5], v[0:1], v[8:9] op_sel:[0,0,1] op_sel_hi:[1,0,0]
	v_dual_mul_f32 v8, v7, v3 :: v_dual_mov_b32 v4, v7
	v_dual_mov_b32 v11, v5 :: v_dual_mov_b32 v5, v6
	s_delay_alu instid0(VALU_DEP_2) | instskip(SKIP_1) | instid1(VALU_DEP_3)
	v_pk_fma_f32 v[8:9], v[6:7], v[72:73], v[8:9] op_sel_hi:[1,1,0] neg_lo:[0,0,1] neg_hi:[0,0,1]
	v_mul_f32_e32 v6, v7, v0
	v_pk_add_f32 v[94:95], v[94:95], v[10:11] neg_lo:[0,1] neg_hi:[0,1]
	s_delay_alu instid0(VALU_DEP_2) | instskip(NEXT) | instid1(VALU_DEP_1)
	v_pk_fma_f32 v[4:5], v[4:5], v[72:73], v[6:7] op_sel_hi:[1,1,0]
	v_mov_b32_e32 v9, v5
	ds_load_2addr_b64 v[4:7], v80 offset0:22 offset1:23
	v_pk_add_f32 v[90:91], v[90:91], v[8:9] neg_lo:[0,1] neg_hi:[0,1]
	s_wait_dscnt 0x0
	v_pk_mul_f32 v[8:9], v[4:5], v[2:3] op_sel:[0,1]
	s_delay_alu instid0(VALU_DEP_1) | instskip(SKIP_1) | instid1(VALU_DEP_1)
	v_pk_fma_f32 v[10:11], v[4:5], v[0:1], v[8:9] op_sel:[0,0,1] op_sel_hi:[1,1,0] neg_lo:[0,0,1] neg_hi:[0,0,1]
	v_pk_fma_f32 v[4:5], v[4:5], v[0:1], v[8:9] op_sel:[0,0,1] op_sel_hi:[1,0,0]
	v_mov_b32_e32 v11, v5
	v_pk_mul_f32 v[4:5], v[6:7], v[2:3] op_sel:[0,1]
	s_delay_alu instid0(VALU_DEP_1) | instskip(SKIP_1) | instid1(VALU_DEP_1)
	v_pk_fma_f32 v[8:9], v[6:7], v[0:1], v[4:5] op_sel:[0,0,1] op_sel_hi:[1,1,0] neg_lo:[0,0,1] neg_hi:[0,0,1]
	v_pk_fma_f32 v[4:5], v[6:7], v[0:1], v[4:5] op_sel:[0,0,1] op_sel_hi:[1,0,0]
	v_mov_b32_e32 v9, v5
	ds_load_2addr_b64 v[4:7], v80 offset0:24 offset1:25
	v_pk_add_f32 v[92:93], v[92:93], v[10:11] neg_lo:[0,1] neg_hi:[0,1]
	v_pk_add_f32 v[88:89], v[88:89], v[8:9] neg_lo:[0,1] neg_hi:[0,1]
	s_wait_dscnt 0x0
	v_pk_mul_f32 v[8:9], v[4:5], v[2:3] op_sel:[0,1]
	s_delay_alu instid0(VALU_DEP_1) | instskip(SKIP_1) | instid1(VALU_DEP_1)
	v_pk_fma_f32 v[10:11], v[4:5], v[0:1], v[8:9] op_sel:[0,0,1] op_sel_hi:[1,1,0] neg_lo:[0,0,1] neg_hi:[0,0,1]
	v_pk_fma_f32 v[4:5], v[4:5], v[0:1], v[8:9] op_sel:[0,0,1] op_sel_hi:[1,0,0]
	v_mov_b32_e32 v11, v5
	v_pk_mul_f32 v[4:5], v[6:7], v[2:3] op_sel:[0,1]
	s_delay_alu instid0(VALU_DEP_1) | instskip(SKIP_1) | instid1(VALU_DEP_1)
	v_pk_fma_f32 v[8:9], v[6:7], v[0:1], v[4:5] op_sel:[0,0,1] op_sel_hi:[1,1,0] neg_lo:[0,0,1] neg_hi:[0,0,1]
	v_pk_fma_f32 v[4:5], v[6:7], v[0:1], v[4:5] op_sel:[0,0,1] op_sel_hi:[1,0,0]
	v_mov_b32_e32 v9, v5
	ds_load_2addr_b64 v[4:7], v80 offset0:26 offset1:27
	v_pk_add_f32 v[112:113], v[112:113], v[10:11] neg_lo:[0,1] neg_hi:[0,1]
	v_pk_add_f32 v[108:109], v[108:109], v[8:9] neg_lo:[0,1] neg_hi:[0,1]
	s_wait_dscnt 0x0
	v_dual_mul_f32 v8, v5, v3 :: v_dual_mul_f32 v10, v5, v0
	s_delay_alu instid0(VALU_DEP_1) | instskip(NEXT) | instid1(VALU_DEP_2)
	v_pk_fma_f32 v[8:9], v[4:5], v[72:73], v[8:9] op_sel_hi:[1,1,0] neg_lo:[0,0,1] neg_hi:[0,0,1]
	v_pk_fma_f32 v[4:5], v[4:5], v[72:73], v[10:11] op_sel:[1,0,0] op_sel_hi:[0,1,0]
	s_delay_alu instid0(VALU_DEP_1) | instskip(SKIP_1) | instid1(VALU_DEP_2)
	v_mov_b32_e32 v9, v5
	v_pk_mul_f32 v[4:5], v[6:7], v[2:3] op_sel:[0,1]
	v_pk_add_f32 v[110:111], v[110:111], v[8:9] neg_lo:[0,1] neg_hi:[0,1]
	s_delay_alu instid0(VALU_DEP_2) | instskip(SKIP_1) | instid1(VALU_DEP_1)
	v_pk_fma_f32 v[8:9], v[6:7], v[0:1], v[4:5] op_sel:[0,0,1] op_sel_hi:[1,1,0] neg_lo:[0,0,1] neg_hi:[0,0,1]
	v_pk_fma_f32 v[4:5], v[6:7], v[0:1], v[4:5] op_sel:[0,0,1] op_sel_hi:[1,0,0]
	v_mov_b32_e32 v9, v5
	ds_load_2addr_b64 v[4:7], v80 offset0:28 offset1:29
	v_pk_add_f32 v[106:107], v[106:107], v[8:9] neg_lo:[0,1] neg_hi:[0,1]
	s_wait_dscnt 0x0
	v_pk_mul_f32 v[8:9], v[4:5], v[2:3] op_sel:[0,1]
	s_delay_alu instid0(VALU_DEP_1) | instskip(SKIP_1) | instid1(VALU_DEP_1)
	v_pk_fma_f32 v[10:11], v[4:5], v[0:1], v[8:9] op_sel:[0,0,1] op_sel_hi:[1,1,0] neg_lo:[0,0,1] neg_hi:[0,0,1]
	v_pk_fma_f32 v[4:5], v[4:5], v[0:1], v[8:9] op_sel:[0,0,1] op_sel_hi:[1,0,0]
	v_mov_b32_e32 v11, v5
	v_pk_mul_f32 v[4:5], v[6:7], v[2:3] op_sel:[0,1]
	s_delay_alu instid0(VALU_DEP_2) | instskip(NEXT) | instid1(VALU_DEP_2)
	v_pk_add_f32 v[128:129], v[128:129], v[10:11] neg_lo:[0,1] neg_hi:[0,1]
	v_pk_fma_f32 v[8:9], v[6:7], v[0:1], v[4:5] op_sel:[0,0,1] op_sel_hi:[1,1,0] neg_lo:[0,0,1] neg_hi:[0,0,1]
	v_pk_fma_f32 v[4:5], v[6:7], v[0:1], v[4:5] op_sel:[0,0,1] op_sel_hi:[1,0,0]
	s_delay_alu instid0(VALU_DEP_1) | instskip(SKIP_4) | instid1(VALU_DEP_1)
	v_mov_b32_e32 v9, v5
	ds_load_2addr_b64 v[4:7], v80 offset0:30 offset1:31
	v_pk_add_f32 v[124:125], v[124:125], v[8:9] neg_lo:[0,1] neg_hi:[0,1]
	s_wait_dscnt 0x0
	v_pk_mul_f32 v[8:9], v[4:5], v[2:3] op_sel:[0,1]
	v_pk_fma_f32 v[10:11], v[4:5], v[0:1], v[8:9] op_sel:[0,0,1] op_sel_hi:[1,1,0] neg_lo:[0,0,1] neg_hi:[0,0,1]
	v_pk_fma_f32 v[4:5], v[4:5], v[0:1], v[8:9] op_sel:[0,0,1] op_sel_hi:[1,0,0]
	v_dual_mul_f32 v8, v7, v3 :: v_dual_mov_b32 v4, v7
	s_delay_alu instid0(VALU_DEP_2) | instskip(NEXT) | instid1(VALU_DEP_2)
	v_dual_mov_b32 v11, v5 :: v_dual_mov_b32 v5, v6
	v_pk_fma_f32 v[8:9], v[6:7], v[72:73], v[8:9] op_sel_hi:[1,1,0] neg_lo:[0,0,1] neg_hi:[0,0,1]
	v_mul_f32_e32 v6, v7, v0
	s_delay_alu instid0(VALU_DEP_3) | instskip(NEXT) | instid1(VALU_DEP_2)
	v_pk_add_f32 v[126:127], v[126:127], v[10:11] neg_lo:[0,1] neg_hi:[0,1]
	v_pk_fma_f32 v[4:5], v[4:5], v[72:73], v[6:7] op_sel_hi:[1,1,0]
	s_delay_alu instid0(VALU_DEP_1) | instskip(SKIP_4) | instid1(VALU_DEP_1)
	v_mov_b32_e32 v9, v5
	ds_load_2addr_b64 v[4:7], v80 offset0:32 offset1:33
	v_pk_add_f32 v[122:123], v[122:123], v[8:9] neg_lo:[0,1] neg_hi:[0,1]
	s_wait_dscnt 0x0
	v_pk_mul_f32 v[8:9], v[4:5], v[2:3] op_sel:[0,1]
	v_pk_fma_f32 v[10:11], v[4:5], v[0:1], v[8:9] op_sel:[0,0,1] op_sel_hi:[1,1,0] neg_lo:[0,0,1] neg_hi:[0,0,1]
	v_pk_fma_f32 v[4:5], v[4:5], v[0:1], v[8:9] op_sel:[0,0,1] op_sel_hi:[1,0,0]
	s_delay_alu instid0(VALU_DEP_1) | instskip(SKIP_1) | instid1(VALU_DEP_1)
	v_mov_b32_e32 v11, v5
	v_pk_mul_f32 v[4:5], v[6:7], v[2:3] op_sel:[0,1]
	v_pk_fma_f32 v[8:9], v[6:7], v[0:1], v[4:5] op_sel:[0,0,1] op_sel_hi:[1,1,0] neg_lo:[0,0,1] neg_hi:[0,0,1]
	v_pk_fma_f32 v[4:5], v[6:7], v[0:1], v[4:5] op_sel:[0,0,1] op_sel_hi:[1,0,0]
	s_delay_alu instid0(VALU_DEP_1)
	v_mov_b32_e32 v9, v5
	ds_load_2addr_b64 v[4:7], v80 offset0:34 offset1:35
	v_pk_add_f32 v[144:145], v[144:145], v[10:11] neg_lo:[0,1] neg_hi:[0,1]
	v_pk_add_f32 v[140:141], v[140:141], v[8:9] neg_lo:[0,1] neg_hi:[0,1]
	s_wait_dscnt 0x0
	v_pk_mul_f32 v[8:9], v[4:5], v[2:3] op_sel:[0,1]
	s_delay_alu instid0(VALU_DEP_1) | instskip(SKIP_1) | instid1(VALU_DEP_1)
	v_pk_fma_f32 v[10:11], v[4:5], v[0:1], v[8:9] op_sel:[0,0,1] op_sel_hi:[1,1,0] neg_lo:[0,0,1] neg_hi:[0,0,1]
	v_pk_fma_f32 v[4:5], v[4:5], v[0:1], v[8:9] op_sel:[0,0,1] op_sel_hi:[1,0,0]
	v_mov_b32_e32 v11, v5
	v_pk_mul_f32 v[4:5], v[6:7], v[2:3] op_sel:[0,1]
	s_delay_alu instid0(VALU_DEP_1) | instskip(SKIP_1) | instid1(VALU_DEP_1)
	v_pk_fma_f32 v[8:9], v[6:7], v[0:1], v[4:5] op_sel:[0,0,1] op_sel_hi:[1,1,0] neg_lo:[0,0,1] neg_hi:[0,0,1]
	v_pk_fma_f32 v[4:5], v[6:7], v[0:1], v[4:5] op_sel:[0,0,1] op_sel_hi:[1,0,0]
	v_mov_b32_e32 v9, v5
	ds_load_2addr_b64 v[4:7], v80 offset0:36 offset1:37
	v_pk_add_f32 v[142:143], v[142:143], v[10:11] neg_lo:[0,1] neg_hi:[0,1]
	v_pk_add_f32 v[138:139], v[138:139], v[8:9] neg_lo:[0,1] neg_hi:[0,1]
	s_wait_dscnt 0x0
	v_dual_mul_f32 v8, v5, v3 :: v_dual_mul_f32 v10, v5, v0
	s_delay_alu instid0(VALU_DEP_1) | instskip(NEXT) | instid1(VALU_DEP_2)
	v_pk_fma_f32 v[8:9], v[4:5], v[72:73], v[8:9] op_sel_hi:[1,1,0] neg_lo:[0,0,1] neg_hi:[0,0,1]
	v_pk_fma_f32 v[4:5], v[4:5], v[72:73], v[10:11] op_sel:[1,0,0] op_sel_hi:[0,1,0]
	s_delay_alu instid0(VALU_DEP_1) | instskip(SKIP_1) | instid1(VALU_DEP_2)
	v_mov_b32_e32 v9, v5
	v_pk_mul_f32 v[4:5], v[6:7], v[2:3] op_sel:[0,1]
	v_pk_add_f32 v[166:167], v[166:167], v[8:9] neg_lo:[0,1] neg_hi:[0,1]
	s_delay_alu instid0(VALU_DEP_2) | instskip(SKIP_1) | instid1(VALU_DEP_1)
	v_pk_fma_f32 v[8:9], v[6:7], v[0:1], v[4:5] op_sel:[0,0,1] op_sel_hi:[1,1,0] neg_lo:[0,0,1] neg_hi:[0,0,1]
	v_pk_fma_f32 v[4:5], v[6:7], v[0:1], v[4:5] op_sel:[0,0,1] op_sel_hi:[1,0,0]
	v_mov_b32_e32 v9, v5
	ds_load_2addr_b64 v[4:7], v80 offset0:38 offset1:39
	v_pk_add_f32 v[162:163], v[162:163], v[8:9] neg_lo:[0,1] neg_hi:[0,1]
	s_wait_dscnt 0x0
	v_pk_mul_f32 v[8:9], v[4:5], v[2:3] op_sel:[0,1]
	s_delay_alu instid0(VALU_DEP_1) | instskip(SKIP_1) | instid1(VALU_DEP_1)
	v_pk_fma_f32 v[10:11], v[4:5], v[0:1], v[8:9] op_sel:[0,0,1] op_sel_hi:[1,1,0] neg_lo:[0,0,1] neg_hi:[0,0,1]
	v_pk_fma_f32 v[4:5], v[4:5], v[0:1], v[8:9] op_sel:[0,0,1] op_sel_hi:[1,0,0]
	v_mov_b32_e32 v11, v5
	v_pk_mul_f32 v[4:5], v[6:7], v[2:3] op_sel:[0,1]
	s_delay_alu instid0(VALU_DEP_2) | instskip(NEXT) | instid1(VALU_DEP_2)
	v_pk_add_f32 v[164:165], v[164:165], v[10:11] neg_lo:[0,1] neg_hi:[0,1]
	v_pk_fma_f32 v[8:9], v[6:7], v[0:1], v[4:5] op_sel:[0,0,1] op_sel_hi:[1,1,0] neg_lo:[0,0,1] neg_hi:[0,0,1]
	v_pk_fma_f32 v[4:5], v[6:7], v[0:1], v[4:5] op_sel:[0,0,1] op_sel_hi:[1,0,0]
	s_delay_alu instid0(VALU_DEP_1) | instskip(SKIP_4) | instid1(VALU_DEP_1)
	v_mov_b32_e32 v9, v5
	ds_load_2addr_b64 v[4:7], v80 offset0:40 offset1:41
	v_pk_add_f32 v[160:161], v[160:161], v[8:9] neg_lo:[0,1] neg_hi:[0,1]
	s_wait_dscnt 0x0
	v_pk_mul_f32 v[8:9], v[4:5], v[2:3] op_sel:[0,1]
	v_pk_fma_f32 v[10:11], v[4:5], v[0:1], v[8:9] op_sel:[0,0,1] op_sel_hi:[1,1,0] neg_lo:[0,0,1] neg_hi:[0,0,1]
	v_pk_fma_f32 v[4:5], v[4:5], v[0:1], v[8:9] op_sel:[0,0,1] op_sel_hi:[1,0,0]
	v_dual_mul_f32 v8, v7, v3 :: v_dual_mov_b32 v4, v7
	s_delay_alu instid0(VALU_DEP_2) | instskip(NEXT) | instid1(VALU_DEP_2)
	v_dual_mov_b32 v11, v5 :: v_dual_mov_b32 v5, v6
	v_pk_fma_f32 v[8:9], v[6:7], v[72:73], v[8:9] op_sel_hi:[1,1,0] neg_lo:[0,0,1] neg_hi:[0,0,1]
	v_mul_f32_e32 v6, v7, v0
	s_delay_alu instid0(VALU_DEP_3) | instskip(NEXT) | instid1(VALU_DEP_2)
	v_pk_add_f32 v[192:193], v[192:193], v[10:11] neg_lo:[0,1] neg_hi:[0,1]
	v_pk_fma_f32 v[4:5], v[4:5], v[72:73], v[6:7] op_sel_hi:[1,1,0]
	s_delay_alu instid0(VALU_DEP_1) | instskip(SKIP_4) | instid1(VALU_DEP_1)
	v_mov_b32_e32 v9, v5
	ds_load_2addr_b64 v[4:7], v80 offset0:42 offset1:43
	v_pk_add_f32 v[184:185], v[184:185], v[8:9] neg_lo:[0,1] neg_hi:[0,1]
	s_wait_dscnt 0x0
	v_pk_mul_f32 v[8:9], v[4:5], v[2:3] op_sel:[0,1]
	v_pk_fma_f32 v[10:11], v[4:5], v[0:1], v[8:9] op_sel:[0,0,1] op_sel_hi:[1,1,0] neg_lo:[0,0,1] neg_hi:[0,0,1]
	v_pk_fma_f32 v[4:5], v[4:5], v[0:1], v[8:9] op_sel:[0,0,1] op_sel_hi:[1,0,0]
	s_delay_alu instid0(VALU_DEP_1) | instskip(SKIP_1) | instid1(VALU_DEP_1)
	v_mov_b32_e32 v11, v5
	v_pk_mul_f32 v[4:5], v[6:7], v[2:3] op_sel:[0,1]
	v_pk_fma_f32 v[8:9], v[6:7], v[0:1], v[4:5] op_sel:[0,0,1] op_sel_hi:[1,1,0] neg_lo:[0,0,1] neg_hi:[0,0,1]
	v_pk_fma_f32 v[4:5], v[6:7], v[0:1], v[4:5] op_sel:[0,0,1] op_sel_hi:[1,0,0]
	s_delay_alu instid0(VALU_DEP_1)
	v_mov_b32_e32 v9, v5
	ds_load_2addr_b64 v[4:7], v80 offset0:44 offset1:45
	v_pk_add_f32 v[190:191], v[190:191], v[10:11] neg_lo:[0,1] neg_hi:[0,1]
	v_pk_add_f32 v[182:183], v[182:183], v[8:9] neg_lo:[0,1] neg_hi:[0,1]
	s_wait_dscnt 0x0
	v_pk_mul_f32 v[8:9], v[4:5], v[2:3] op_sel:[0,1]
	s_delay_alu instid0(VALU_DEP_1) | instskip(SKIP_1) | instid1(VALU_DEP_1)
	v_pk_fma_f32 v[10:11], v[4:5], v[0:1], v[8:9] op_sel:[0,0,1] op_sel_hi:[1,1,0] neg_lo:[0,0,1] neg_hi:[0,0,1]
	v_pk_fma_f32 v[4:5], v[4:5], v[0:1], v[8:9] op_sel:[0,0,1] op_sel_hi:[1,0,0]
	v_mov_b32_e32 v11, v5
	v_pk_mul_f32 v[4:5], v[6:7], v[2:3] op_sel:[0,1]
	s_delay_alu instid0(VALU_DEP_1) | instskip(SKIP_1) | instid1(VALU_DEP_1)
	v_pk_fma_f32 v[8:9], v[6:7], v[0:1], v[4:5] op_sel:[0,0,1] op_sel_hi:[1,1,0] neg_lo:[0,0,1] neg_hi:[0,0,1]
	v_pk_fma_f32 v[4:5], v[6:7], v[0:1], v[4:5] op_sel:[0,0,1] op_sel_hi:[1,0,0]
	v_mov_b32_e32 v9, v5
	ds_load_2addr_b64 v[4:7], v80 offset0:46 offset1:47
	v_pk_add_f32 v[188:189], v[188:189], v[10:11] neg_lo:[0,1] neg_hi:[0,1]
	v_pk_add_f32 v[180:181], v[180:181], v[8:9] neg_lo:[0,1] neg_hi:[0,1]
	s_wait_dscnt 0x0
	v_dual_mul_f32 v8, v5, v3 :: v_dual_mul_f32 v10, v5, v0
	s_delay_alu instid0(VALU_DEP_1) | instskip(NEXT) | instid1(VALU_DEP_2)
	v_pk_fma_f32 v[8:9], v[4:5], v[72:73], v[8:9] op_sel_hi:[1,1,0] neg_lo:[0,0,1] neg_hi:[0,0,1]
	v_pk_fma_f32 v[4:5], v[4:5], v[72:73], v[10:11] op_sel:[1,0,0] op_sel_hi:[0,1,0]
	s_delay_alu instid0(VALU_DEP_1) | instskip(SKIP_1) | instid1(VALU_DEP_2)
	v_mov_b32_e32 v9, v5
	v_pk_mul_f32 v[4:5], v[6:7], v[2:3] op_sel:[0,1]
	v_pk_add_f32 v[186:187], v[186:187], v[8:9] neg_lo:[0,1] neg_hi:[0,1]
	s_delay_alu instid0(VALU_DEP_2) | instskip(SKIP_1) | instid1(VALU_DEP_1)
	v_pk_fma_f32 v[8:9], v[6:7], v[0:1], v[4:5] op_sel:[0,0,1] op_sel_hi:[1,1,0] neg_lo:[0,0,1] neg_hi:[0,0,1]
	v_pk_fma_f32 v[4:5], v[6:7], v[0:1], v[4:5] op_sel:[0,0,1] op_sel_hi:[1,0,0]
	v_mov_b32_e32 v9, v5
	ds_load_b64 v[4:5], v80 offset:384
	v_pk_add_f32 v[194:195], v[194:195], v[8:9] neg_lo:[0,1] neg_hi:[0,1]
	s_wait_dscnt 0x0
	v_pk_mul_f32 v[2:3], v[4:5], v[2:3] op_sel:[0,1]
	s_delay_alu instid0(VALU_DEP_1) | instskip(SKIP_1) | instid1(VALU_DEP_1)
	v_pk_fma_f32 v[6:7], v[4:5], v[0:1], v[2:3] op_sel:[0,0,1] op_sel_hi:[1,1,0] neg_lo:[0,0,1] neg_hi:[0,0,1]
	v_pk_fma_f32 v[0:1], v[4:5], v[0:1], v[2:3] op_sel:[0,0,1] op_sel_hi:[1,0,0]
	v_mov_b32_e32 v7, v1
	s_delay_alu instid0(VALU_DEP_1)
	v_pk_add_f32 v[196:197], v[196:197], v[6:7] neg_lo:[0,1] neg_hi:[0,1]
.LBB97_163:
	s_wait_xcnt 0x0
	s_or_b32 exec_lo, exec_lo, s1
	s_delay_alu instid0(SALU_CYCLE_1)
	s_mov_b32 s2, exec_lo
	s_wait_storecnt 0x0
	s_barrier_signal -1
	s_barrier_wait -1
	v_cmpx_eq_u32_e32 18, v78
	s_cbranch_execz .LBB97_170
; %bb.164:
	ds_store_b64 v79, v[74:75]
	ds_store_2addr_b64 v80, v[70:71], v[94:95] offset0:19 offset1:20
	ds_store_2addr_b64 v80, v[90:91], v[92:93] offset0:21 offset1:22
	;; [unrolled: 1-line block ×15, first 2 shown]
	ds_load_b64 v[0:1], v79
	s_wait_dscnt 0x0
	v_cmp_neq_f32_e32 vcc_lo, 0, v0
	v_cmp_neq_f32_e64 s1, 0, v1
	s_or_b32 s1, vcc_lo, s1
	s_delay_alu instid0(SALU_CYCLE_1)
	s_and_b32 exec_lo, exec_lo, s1
	s_cbranch_execz .LBB97_170
; %bb.165:
	v_cmp_ngt_f32_e64 s1, |v0|, |v1|
                                        ; implicit-def: $vgpr2_vgpr3
	s_and_saveexec_b32 s4, s1
	s_delay_alu instid0(SALU_CYCLE_1)
	s_xor_b32 s1, exec_lo, s4
	s_cbranch_execz .LBB97_167
; %bb.166:
	v_div_scale_f32 v2, null, v1, v1, v0
	v_div_scale_f32 v5, vcc_lo, v0, v1, v0
	s_delay_alu instid0(VALU_DEP_2) | instskip(SKIP_1) | instid1(TRANS32_DEP_1)
	v_rcp_f32_e32 v3, v2
	v_nop
	v_fma_f32 v4, -v2, v3, 1.0
	s_delay_alu instid0(VALU_DEP_1) | instskip(NEXT) | instid1(VALU_DEP_1)
	v_fmac_f32_e32 v3, v4, v3
	v_mul_f32_e32 v4, v5, v3
	s_delay_alu instid0(VALU_DEP_1) | instskip(NEXT) | instid1(VALU_DEP_1)
	v_fma_f32 v6, -v2, v4, v5
	v_fmac_f32_e32 v4, v6, v3
	s_delay_alu instid0(VALU_DEP_1) | instskip(NEXT) | instid1(VALU_DEP_1)
	v_fma_f32 v2, -v2, v4, v5
	v_div_fmas_f32 v2, v2, v3, v4
	s_delay_alu instid0(VALU_DEP_1) | instskip(NEXT) | instid1(VALU_DEP_1)
	v_div_fixup_f32 v2, v2, v1, v0
	v_fmac_f32_e32 v1, v0, v2
	s_delay_alu instid0(VALU_DEP_1) | instskip(SKIP_1) | instid1(VALU_DEP_2)
	v_div_scale_f32 v0, null, v1, v1, 1.0
	v_div_scale_f32 v5, vcc_lo, 1.0, v1, 1.0
	v_rcp_f32_e32 v3, v0
	v_nop
	s_delay_alu instid0(TRANS32_DEP_1) | instskip(NEXT) | instid1(VALU_DEP_1)
	v_fma_f32 v4, -v0, v3, 1.0
	v_fmac_f32_e32 v3, v4, v3
	s_delay_alu instid0(VALU_DEP_1) | instskip(NEXT) | instid1(VALU_DEP_1)
	v_mul_f32_e32 v4, v5, v3
	v_fma_f32 v6, -v0, v4, v5
	s_delay_alu instid0(VALU_DEP_1) | instskip(NEXT) | instid1(VALU_DEP_1)
	v_fmac_f32_e32 v4, v6, v3
	v_fma_f32 v0, -v0, v4, v5
	s_delay_alu instid0(VALU_DEP_1) | instskip(NEXT) | instid1(VALU_DEP_1)
	v_div_fmas_f32 v0, v0, v3, v4
	v_div_fixup_f32 v0, v0, v1, 1.0
	s_delay_alu instid0(VALU_DEP_1)
	v_mul_f32_e32 v2, v2, v0
	v_xor_b32_e32 v3, 0x80000000, v0
                                        ; implicit-def: $vgpr0_vgpr1
.LBB97_167:
	s_and_not1_saveexec_b32 s1, s1
	s_cbranch_execz .LBB97_169
; %bb.168:
	v_div_scale_f32 v2, null, v0, v0, v1
	v_div_scale_f32 v5, vcc_lo, v1, v0, v1
	s_delay_alu instid0(VALU_DEP_2) | instskip(SKIP_1) | instid1(TRANS32_DEP_1)
	v_rcp_f32_e32 v3, v2
	v_nop
	v_fma_f32 v4, -v2, v3, 1.0
	s_delay_alu instid0(VALU_DEP_1) | instskip(NEXT) | instid1(VALU_DEP_1)
	v_fmac_f32_e32 v3, v4, v3
	v_mul_f32_e32 v4, v5, v3
	s_delay_alu instid0(VALU_DEP_1) | instskip(NEXT) | instid1(VALU_DEP_1)
	v_fma_f32 v6, -v2, v4, v5
	v_fmac_f32_e32 v4, v6, v3
	s_delay_alu instid0(VALU_DEP_1) | instskip(NEXT) | instid1(VALU_DEP_1)
	v_fma_f32 v2, -v2, v4, v5
	v_div_fmas_f32 v2, v2, v3, v4
	s_delay_alu instid0(VALU_DEP_1) | instskip(NEXT) | instid1(VALU_DEP_1)
	v_div_fixup_f32 v3, v2, v0, v1
	v_fmac_f32_e32 v0, v1, v3
	s_delay_alu instid0(VALU_DEP_1) | instskip(NEXT) | instid1(VALU_DEP_1)
	v_div_scale_f32 v1, null, v0, v0, 1.0
	v_rcp_f32_e32 v2, v1
	v_nop
	s_delay_alu instid0(TRANS32_DEP_1) | instskip(NEXT) | instid1(VALU_DEP_1)
	v_fma_f32 v4, -v1, v2, 1.0
	v_fmac_f32_e32 v2, v4, v2
	v_div_scale_f32 v4, vcc_lo, 1.0, v0, 1.0
	s_delay_alu instid0(VALU_DEP_1) | instskip(NEXT) | instid1(VALU_DEP_1)
	v_mul_f32_e32 v5, v4, v2
	v_fma_f32 v6, -v1, v5, v4
	s_delay_alu instid0(VALU_DEP_1) | instskip(NEXT) | instid1(VALU_DEP_1)
	v_fmac_f32_e32 v5, v6, v2
	v_fma_f32 v1, -v1, v5, v4
	s_delay_alu instid0(VALU_DEP_1) | instskip(NEXT) | instid1(VALU_DEP_1)
	v_div_fmas_f32 v1, v1, v2, v5
	v_div_fixup_f32 v2, v1, v0, 1.0
	s_delay_alu instid0(VALU_DEP_1)
	v_mul_f32_e64 v3, v3, -v2
.LBB97_169:
	s_or_b32 exec_lo, exec_lo, s1
	ds_store_b64 v79, v[2:3]
.LBB97_170:
	s_or_b32 exec_lo, exec_lo, s2
	s_wait_dscnt 0x0
	s_barrier_signal -1
	s_barrier_wait -1
	ds_load_b64 v[0:1], v79
	s_mov_b32 s1, exec_lo
	s_wait_dscnt 0x0
	scratch_store_b64 off, v[0:1], off offset:112 ; 8-byte Folded Spill
	s_wait_xcnt 0x0
	v_cmpx_lt_u32_e32 18, v78
	s_cbranch_execz .LBB97_172
; %bb.171:
	scratch_load_b64 v[4:5], off, off offset:112 ; 8-byte Folded Reload
	s_wait_loadcnt 0x0
	v_pk_mul_f32 v[2:3], v[4:5], v[74:75] op_sel:[1,1] op_sel_hi:[0,1]
	s_delay_alu instid0(VALU_DEP_1)
	v_pk_fma_f32 v[0:1], v[4:5], v[74:75], v[2:3] op_sel_hi:[1,0,1] neg_lo:[0,0,1] neg_hi:[0,0,1]
	v_pk_fma_f32 v[2:3], v[4:5], v[74:75], v[2:3] op_sel_hi:[1,0,1]
	ds_load_2addr_b64 v[4:7], v80 offset0:19 offset1:20
	v_dual_mov_b32 v74, v0 :: v_dual_mov_b32 v75, v3
	s_wait_dscnt 0x0
	v_pk_mul_f32 v[8:9], v[4:5], v[2:3] op_sel:[0,1]
	s_delay_alu instid0(VALU_DEP_1) | instskip(SKIP_1) | instid1(VALU_DEP_1)
	v_pk_fma_f32 v[10:11], v[4:5], v[0:1], v[8:9] op_sel:[0,0,1] op_sel_hi:[1,1,0] neg_lo:[0,0,1] neg_hi:[0,0,1]
	v_pk_fma_f32 v[4:5], v[4:5], v[0:1], v[8:9] op_sel:[0,0,1] op_sel_hi:[1,0,0]
	v_mov_b32_e32 v11, v5
	v_pk_mul_f32 v[4:5], v[6:7], v[2:3] op_sel:[0,1]
	s_delay_alu instid0(VALU_DEP_1) | instskip(SKIP_1) | instid1(VALU_DEP_1)
	v_pk_fma_f32 v[8:9], v[6:7], v[0:1], v[4:5] op_sel:[0,0,1] op_sel_hi:[1,1,0] neg_lo:[0,0,1] neg_hi:[0,0,1]
	v_pk_fma_f32 v[4:5], v[6:7], v[0:1], v[4:5] op_sel:[0,0,1] op_sel_hi:[1,0,0]
	v_mov_b32_e32 v9, v5
	ds_load_2addr_b64 v[4:7], v80 offset0:21 offset1:22
	v_pk_add_f32 v[70:71], v[70:71], v[10:11] neg_lo:[0,1] neg_hi:[0,1]
	v_pk_add_f32 v[94:95], v[94:95], v[8:9] neg_lo:[0,1] neg_hi:[0,1]
	s_wait_dscnt 0x0
	v_pk_mul_f32 v[8:9], v[4:5], v[2:3] op_sel:[0,1]
	s_delay_alu instid0(VALU_DEP_1) | instskip(SKIP_2) | instid1(VALU_DEP_2)
	v_pk_fma_f32 v[10:11], v[4:5], v[0:1], v[8:9] op_sel:[0,0,1] op_sel_hi:[1,1,0] neg_lo:[0,0,1] neg_hi:[0,0,1]
	v_pk_fma_f32 v[4:5], v[4:5], v[0:1], v[8:9] op_sel:[0,0,1] op_sel_hi:[1,0,0]
	v_dual_mul_f32 v8, v7, v3 :: v_dual_mov_b32 v4, v7
	v_dual_mov_b32 v11, v5 :: v_dual_mov_b32 v5, v6
	s_delay_alu instid0(VALU_DEP_2) | instskip(SKIP_1) | instid1(VALU_DEP_3)
	v_pk_fma_f32 v[8:9], v[6:7], v[74:75], v[8:9] op_sel_hi:[1,1,0] neg_lo:[0,0,1] neg_hi:[0,0,1]
	v_mul_f32_e32 v6, v7, v0
	v_pk_add_f32 v[90:91], v[90:91], v[10:11] neg_lo:[0,1] neg_hi:[0,1]
	s_delay_alu instid0(VALU_DEP_2) | instskip(NEXT) | instid1(VALU_DEP_1)
	v_pk_fma_f32 v[4:5], v[4:5], v[74:75], v[6:7] op_sel_hi:[1,1,0]
	v_mov_b32_e32 v9, v5
	ds_load_2addr_b64 v[4:7], v80 offset0:23 offset1:24
	v_pk_add_f32 v[92:93], v[92:93], v[8:9] neg_lo:[0,1] neg_hi:[0,1]
	s_wait_dscnt 0x0
	v_pk_mul_f32 v[8:9], v[4:5], v[2:3] op_sel:[0,1]
	s_delay_alu instid0(VALU_DEP_1) | instskip(SKIP_1) | instid1(VALU_DEP_1)
	v_pk_fma_f32 v[10:11], v[4:5], v[0:1], v[8:9] op_sel:[0,0,1] op_sel_hi:[1,1,0] neg_lo:[0,0,1] neg_hi:[0,0,1]
	v_pk_fma_f32 v[4:5], v[4:5], v[0:1], v[8:9] op_sel:[0,0,1] op_sel_hi:[1,0,0]
	v_mov_b32_e32 v11, v5
	v_pk_mul_f32 v[4:5], v[6:7], v[2:3] op_sel:[0,1]
	s_delay_alu instid0(VALU_DEP_1) | instskip(SKIP_1) | instid1(VALU_DEP_1)
	v_pk_fma_f32 v[8:9], v[6:7], v[0:1], v[4:5] op_sel:[0,0,1] op_sel_hi:[1,1,0] neg_lo:[0,0,1] neg_hi:[0,0,1]
	v_pk_fma_f32 v[4:5], v[6:7], v[0:1], v[4:5] op_sel:[0,0,1] op_sel_hi:[1,0,0]
	v_mov_b32_e32 v9, v5
	ds_load_2addr_b64 v[4:7], v80 offset0:25 offset1:26
	v_pk_add_f32 v[88:89], v[88:89], v[10:11] neg_lo:[0,1] neg_hi:[0,1]
	v_pk_add_f32 v[112:113], v[112:113], v[8:9] neg_lo:[0,1] neg_hi:[0,1]
	s_wait_dscnt 0x0
	v_pk_mul_f32 v[8:9], v[4:5], v[2:3] op_sel:[0,1]
	s_delay_alu instid0(VALU_DEP_1) | instskip(SKIP_1) | instid1(VALU_DEP_1)
	v_pk_fma_f32 v[10:11], v[4:5], v[0:1], v[8:9] op_sel:[0,0,1] op_sel_hi:[1,1,0] neg_lo:[0,0,1] neg_hi:[0,0,1]
	v_pk_fma_f32 v[4:5], v[4:5], v[0:1], v[8:9] op_sel:[0,0,1] op_sel_hi:[1,0,0]
	v_mov_b32_e32 v11, v5
	v_pk_mul_f32 v[4:5], v[6:7], v[2:3] op_sel:[0,1]
	s_delay_alu instid0(VALU_DEP_1) | instskip(SKIP_1) | instid1(VALU_DEP_1)
	v_pk_fma_f32 v[8:9], v[6:7], v[0:1], v[4:5] op_sel:[0,0,1] op_sel_hi:[1,1,0] neg_lo:[0,0,1] neg_hi:[0,0,1]
	v_pk_fma_f32 v[4:5], v[6:7], v[0:1], v[4:5] op_sel:[0,0,1] op_sel_hi:[1,0,0]
	v_mov_b32_e32 v9, v5
	ds_load_2addr_b64 v[4:7], v80 offset0:27 offset1:28
	v_pk_add_f32 v[108:109], v[108:109], v[10:11] neg_lo:[0,1] neg_hi:[0,1]
	v_pk_add_f32 v[110:111], v[110:111], v[8:9] neg_lo:[0,1] neg_hi:[0,1]
	s_wait_dscnt 0x0
	v_dual_mul_f32 v8, v5, v3 :: v_dual_mul_f32 v10, v5, v0
	s_delay_alu instid0(VALU_DEP_1) | instskip(NEXT) | instid1(VALU_DEP_2)
	v_pk_fma_f32 v[8:9], v[4:5], v[74:75], v[8:9] op_sel_hi:[1,1,0] neg_lo:[0,0,1] neg_hi:[0,0,1]
	v_pk_fma_f32 v[4:5], v[4:5], v[74:75], v[10:11] op_sel:[1,0,0] op_sel_hi:[0,1,0]
	s_delay_alu instid0(VALU_DEP_1) | instskip(SKIP_1) | instid1(VALU_DEP_2)
	v_mov_b32_e32 v9, v5
	v_pk_mul_f32 v[4:5], v[6:7], v[2:3] op_sel:[0,1]
	v_pk_add_f32 v[106:107], v[106:107], v[8:9] neg_lo:[0,1] neg_hi:[0,1]
	s_delay_alu instid0(VALU_DEP_2) | instskip(SKIP_1) | instid1(VALU_DEP_1)
	v_pk_fma_f32 v[8:9], v[6:7], v[0:1], v[4:5] op_sel:[0,0,1] op_sel_hi:[1,1,0] neg_lo:[0,0,1] neg_hi:[0,0,1]
	v_pk_fma_f32 v[4:5], v[6:7], v[0:1], v[4:5] op_sel:[0,0,1] op_sel_hi:[1,0,0]
	v_mov_b32_e32 v9, v5
	ds_load_2addr_b64 v[4:7], v80 offset0:29 offset1:30
	v_pk_add_f32 v[128:129], v[128:129], v[8:9] neg_lo:[0,1] neg_hi:[0,1]
	s_wait_dscnt 0x0
	v_pk_mul_f32 v[8:9], v[4:5], v[2:3] op_sel:[0,1]
	s_delay_alu instid0(VALU_DEP_1) | instskip(SKIP_1) | instid1(VALU_DEP_1)
	v_pk_fma_f32 v[10:11], v[4:5], v[0:1], v[8:9] op_sel:[0,0,1] op_sel_hi:[1,1,0] neg_lo:[0,0,1] neg_hi:[0,0,1]
	v_pk_fma_f32 v[4:5], v[4:5], v[0:1], v[8:9] op_sel:[0,0,1] op_sel_hi:[1,0,0]
	v_mov_b32_e32 v11, v5
	v_pk_mul_f32 v[4:5], v[6:7], v[2:3] op_sel:[0,1]
	s_delay_alu instid0(VALU_DEP_2) | instskip(NEXT) | instid1(VALU_DEP_2)
	v_pk_add_f32 v[124:125], v[124:125], v[10:11] neg_lo:[0,1] neg_hi:[0,1]
	v_pk_fma_f32 v[8:9], v[6:7], v[0:1], v[4:5] op_sel:[0,0,1] op_sel_hi:[1,1,0] neg_lo:[0,0,1] neg_hi:[0,0,1]
	v_pk_fma_f32 v[4:5], v[6:7], v[0:1], v[4:5] op_sel:[0,0,1] op_sel_hi:[1,0,0]
	s_delay_alu instid0(VALU_DEP_1) | instskip(SKIP_4) | instid1(VALU_DEP_1)
	v_mov_b32_e32 v9, v5
	ds_load_2addr_b64 v[4:7], v80 offset0:31 offset1:32
	v_pk_add_f32 v[126:127], v[126:127], v[8:9] neg_lo:[0,1] neg_hi:[0,1]
	s_wait_dscnt 0x0
	v_pk_mul_f32 v[8:9], v[4:5], v[2:3] op_sel:[0,1]
	v_pk_fma_f32 v[10:11], v[4:5], v[0:1], v[8:9] op_sel:[0,0,1] op_sel_hi:[1,1,0] neg_lo:[0,0,1] neg_hi:[0,0,1]
	v_pk_fma_f32 v[4:5], v[4:5], v[0:1], v[8:9] op_sel:[0,0,1] op_sel_hi:[1,0,0]
	v_dual_mul_f32 v8, v7, v3 :: v_dual_mov_b32 v4, v7
	s_delay_alu instid0(VALU_DEP_2) | instskip(NEXT) | instid1(VALU_DEP_2)
	v_dual_mov_b32 v11, v5 :: v_dual_mov_b32 v5, v6
	v_pk_fma_f32 v[8:9], v[6:7], v[74:75], v[8:9] op_sel_hi:[1,1,0] neg_lo:[0,0,1] neg_hi:[0,0,1]
	v_mul_f32_e32 v6, v7, v0
	s_delay_alu instid0(VALU_DEP_3) | instskip(NEXT) | instid1(VALU_DEP_2)
	v_pk_add_f32 v[122:123], v[122:123], v[10:11] neg_lo:[0,1] neg_hi:[0,1]
	v_pk_fma_f32 v[4:5], v[4:5], v[74:75], v[6:7] op_sel_hi:[1,1,0]
	s_delay_alu instid0(VALU_DEP_1) | instskip(SKIP_4) | instid1(VALU_DEP_1)
	v_mov_b32_e32 v9, v5
	ds_load_2addr_b64 v[4:7], v80 offset0:33 offset1:34
	v_pk_add_f32 v[144:145], v[144:145], v[8:9] neg_lo:[0,1] neg_hi:[0,1]
	s_wait_dscnt 0x0
	v_pk_mul_f32 v[8:9], v[4:5], v[2:3] op_sel:[0,1]
	v_pk_fma_f32 v[10:11], v[4:5], v[0:1], v[8:9] op_sel:[0,0,1] op_sel_hi:[1,1,0] neg_lo:[0,0,1] neg_hi:[0,0,1]
	v_pk_fma_f32 v[4:5], v[4:5], v[0:1], v[8:9] op_sel:[0,0,1] op_sel_hi:[1,0,0]
	s_delay_alu instid0(VALU_DEP_1) | instskip(SKIP_1) | instid1(VALU_DEP_1)
	v_mov_b32_e32 v11, v5
	v_pk_mul_f32 v[4:5], v[6:7], v[2:3] op_sel:[0,1]
	v_pk_fma_f32 v[8:9], v[6:7], v[0:1], v[4:5] op_sel:[0,0,1] op_sel_hi:[1,1,0] neg_lo:[0,0,1] neg_hi:[0,0,1]
	v_pk_fma_f32 v[4:5], v[6:7], v[0:1], v[4:5] op_sel:[0,0,1] op_sel_hi:[1,0,0]
	s_delay_alu instid0(VALU_DEP_1)
	v_mov_b32_e32 v9, v5
	ds_load_2addr_b64 v[4:7], v80 offset0:35 offset1:36
	v_pk_add_f32 v[140:141], v[140:141], v[10:11] neg_lo:[0,1] neg_hi:[0,1]
	v_pk_add_f32 v[142:143], v[142:143], v[8:9] neg_lo:[0,1] neg_hi:[0,1]
	s_wait_dscnt 0x0
	v_pk_mul_f32 v[8:9], v[4:5], v[2:3] op_sel:[0,1]
	s_delay_alu instid0(VALU_DEP_1) | instskip(SKIP_1) | instid1(VALU_DEP_1)
	v_pk_fma_f32 v[10:11], v[4:5], v[0:1], v[8:9] op_sel:[0,0,1] op_sel_hi:[1,1,0] neg_lo:[0,0,1] neg_hi:[0,0,1]
	v_pk_fma_f32 v[4:5], v[4:5], v[0:1], v[8:9] op_sel:[0,0,1] op_sel_hi:[1,0,0]
	v_mov_b32_e32 v11, v5
	v_pk_mul_f32 v[4:5], v[6:7], v[2:3] op_sel:[0,1]
	s_delay_alu instid0(VALU_DEP_1) | instskip(SKIP_1) | instid1(VALU_DEP_1)
	v_pk_fma_f32 v[8:9], v[6:7], v[0:1], v[4:5] op_sel:[0,0,1] op_sel_hi:[1,1,0] neg_lo:[0,0,1] neg_hi:[0,0,1]
	v_pk_fma_f32 v[4:5], v[6:7], v[0:1], v[4:5] op_sel:[0,0,1] op_sel_hi:[1,0,0]
	v_mov_b32_e32 v9, v5
	ds_load_2addr_b64 v[4:7], v80 offset0:37 offset1:38
	v_pk_add_f32 v[138:139], v[138:139], v[10:11] neg_lo:[0,1] neg_hi:[0,1]
	v_pk_add_f32 v[166:167], v[166:167], v[8:9] neg_lo:[0,1] neg_hi:[0,1]
	s_wait_dscnt 0x0
	v_dual_mul_f32 v8, v5, v3 :: v_dual_mul_f32 v10, v5, v0
	s_delay_alu instid0(VALU_DEP_1) | instskip(NEXT) | instid1(VALU_DEP_2)
	v_pk_fma_f32 v[8:9], v[4:5], v[74:75], v[8:9] op_sel_hi:[1,1,0] neg_lo:[0,0,1] neg_hi:[0,0,1]
	v_pk_fma_f32 v[4:5], v[4:5], v[74:75], v[10:11] op_sel:[1,0,0] op_sel_hi:[0,1,0]
	s_delay_alu instid0(VALU_DEP_1) | instskip(SKIP_1) | instid1(VALU_DEP_2)
	v_mov_b32_e32 v9, v5
	v_pk_mul_f32 v[4:5], v[6:7], v[2:3] op_sel:[0,1]
	v_pk_add_f32 v[162:163], v[162:163], v[8:9] neg_lo:[0,1] neg_hi:[0,1]
	s_delay_alu instid0(VALU_DEP_2) | instskip(SKIP_1) | instid1(VALU_DEP_1)
	v_pk_fma_f32 v[8:9], v[6:7], v[0:1], v[4:5] op_sel:[0,0,1] op_sel_hi:[1,1,0] neg_lo:[0,0,1] neg_hi:[0,0,1]
	v_pk_fma_f32 v[4:5], v[6:7], v[0:1], v[4:5] op_sel:[0,0,1] op_sel_hi:[1,0,0]
	v_mov_b32_e32 v9, v5
	ds_load_2addr_b64 v[4:7], v80 offset0:39 offset1:40
	v_pk_add_f32 v[164:165], v[164:165], v[8:9] neg_lo:[0,1] neg_hi:[0,1]
	s_wait_dscnt 0x0
	v_pk_mul_f32 v[8:9], v[4:5], v[2:3] op_sel:[0,1]
	s_delay_alu instid0(VALU_DEP_1) | instskip(SKIP_1) | instid1(VALU_DEP_1)
	v_pk_fma_f32 v[10:11], v[4:5], v[0:1], v[8:9] op_sel:[0,0,1] op_sel_hi:[1,1,0] neg_lo:[0,0,1] neg_hi:[0,0,1]
	v_pk_fma_f32 v[4:5], v[4:5], v[0:1], v[8:9] op_sel:[0,0,1] op_sel_hi:[1,0,0]
	v_mov_b32_e32 v11, v5
	v_pk_mul_f32 v[4:5], v[6:7], v[2:3] op_sel:[0,1]
	s_delay_alu instid0(VALU_DEP_2) | instskip(NEXT) | instid1(VALU_DEP_2)
	v_pk_add_f32 v[160:161], v[160:161], v[10:11] neg_lo:[0,1] neg_hi:[0,1]
	v_pk_fma_f32 v[8:9], v[6:7], v[0:1], v[4:5] op_sel:[0,0,1] op_sel_hi:[1,1,0] neg_lo:[0,0,1] neg_hi:[0,0,1]
	v_pk_fma_f32 v[4:5], v[6:7], v[0:1], v[4:5] op_sel:[0,0,1] op_sel_hi:[1,0,0]
	s_delay_alu instid0(VALU_DEP_1) | instskip(SKIP_4) | instid1(VALU_DEP_1)
	v_mov_b32_e32 v9, v5
	ds_load_2addr_b64 v[4:7], v80 offset0:41 offset1:42
	v_pk_add_f32 v[192:193], v[192:193], v[8:9] neg_lo:[0,1] neg_hi:[0,1]
	s_wait_dscnt 0x0
	v_pk_mul_f32 v[8:9], v[4:5], v[2:3] op_sel:[0,1]
	v_pk_fma_f32 v[10:11], v[4:5], v[0:1], v[8:9] op_sel:[0,0,1] op_sel_hi:[1,1,0] neg_lo:[0,0,1] neg_hi:[0,0,1]
	v_pk_fma_f32 v[4:5], v[4:5], v[0:1], v[8:9] op_sel:[0,0,1] op_sel_hi:[1,0,0]
	v_dual_mul_f32 v8, v7, v3 :: v_dual_mov_b32 v4, v7
	s_delay_alu instid0(VALU_DEP_2) | instskip(NEXT) | instid1(VALU_DEP_2)
	v_dual_mov_b32 v11, v5 :: v_dual_mov_b32 v5, v6
	v_pk_fma_f32 v[8:9], v[6:7], v[74:75], v[8:9] op_sel_hi:[1,1,0] neg_lo:[0,0,1] neg_hi:[0,0,1]
	v_mul_f32_e32 v6, v7, v0
	s_delay_alu instid0(VALU_DEP_3) | instskip(NEXT) | instid1(VALU_DEP_2)
	v_pk_add_f32 v[184:185], v[184:185], v[10:11] neg_lo:[0,1] neg_hi:[0,1]
	v_pk_fma_f32 v[4:5], v[4:5], v[74:75], v[6:7] op_sel_hi:[1,1,0]
	s_delay_alu instid0(VALU_DEP_1) | instskip(SKIP_4) | instid1(VALU_DEP_1)
	v_mov_b32_e32 v9, v5
	ds_load_2addr_b64 v[4:7], v80 offset0:43 offset1:44
	v_pk_add_f32 v[190:191], v[190:191], v[8:9] neg_lo:[0,1] neg_hi:[0,1]
	s_wait_dscnt 0x0
	v_pk_mul_f32 v[8:9], v[4:5], v[2:3] op_sel:[0,1]
	v_pk_fma_f32 v[10:11], v[4:5], v[0:1], v[8:9] op_sel:[0,0,1] op_sel_hi:[1,1,0] neg_lo:[0,0,1] neg_hi:[0,0,1]
	v_pk_fma_f32 v[4:5], v[4:5], v[0:1], v[8:9] op_sel:[0,0,1] op_sel_hi:[1,0,0]
	s_delay_alu instid0(VALU_DEP_1) | instskip(SKIP_1) | instid1(VALU_DEP_1)
	v_mov_b32_e32 v11, v5
	v_pk_mul_f32 v[4:5], v[6:7], v[2:3] op_sel:[0,1]
	v_pk_fma_f32 v[8:9], v[6:7], v[0:1], v[4:5] op_sel:[0,0,1] op_sel_hi:[1,1,0] neg_lo:[0,0,1] neg_hi:[0,0,1]
	v_pk_fma_f32 v[4:5], v[6:7], v[0:1], v[4:5] op_sel:[0,0,1] op_sel_hi:[1,0,0]
	s_delay_alu instid0(VALU_DEP_1)
	v_mov_b32_e32 v9, v5
	ds_load_2addr_b64 v[4:7], v80 offset0:45 offset1:46
	v_pk_add_f32 v[182:183], v[182:183], v[10:11] neg_lo:[0,1] neg_hi:[0,1]
	v_pk_add_f32 v[188:189], v[188:189], v[8:9] neg_lo:[0,1] neg_hi:[0,1]
	s_wait_dscnt 0x0
	v_pk_mul_f32 v[8:9], v[4:5], v[2:3] op_sel:[0,1]
	s_delay_alu instid0(VALU_DEP_1) | instskip(SKIP_1) | instid1(VALU_DEP_1)
	v_pk_fma_f32 v[10:11], v[4:5], v[0:1], v[8:9] op_sel:[0,0,1] op_sel_hi:[1,1,0] neg_lo:[0,0,1] neg_hi:[0,0,1]
	v_pk_fma_f32 v[4:5], v[4:5], v[0:1], v[8:9] op_sel:[0,0,1] op_sel_hi:[1,0,0]
	v_mov_b32_e32 v11, v5
	v_pk_mul_f32 v[4:5], v[6:7], v[2:3] op_sel:[0,1]
	s_delay_alu instid0(VALU_DEP_1) | instskip(SKIP_1) | instid1(VALU_DEP_1)
	v_pk_fma_f32 v[8:9], v[6:7], v[0:1], v[4:5] op_sel:[0,0,1] op_sel_hi:[1,1,0] neg_lo:[0,0,1] neg_hi:[0,0,1]
	v_pk_fma_f32 v[4:5], v[6:7], v[0:1], v[4:5] op_sel:[0,0,1] op_sel_hi:[1,0,0]
	v_mov_b32_e32 v9, v5
	ds_load_2addr_b64 v[4:7], v80 offset0:47 offset1:48
	v_pk_add_f32 v[180:181], v[180:181], v[10:11] neg_lo:[0,1] neg_hi:[0,1]
	v_pk_add_f32 v[186:187], v[186:187], v[8:9] neg_lo:[0,1] neg_hi:[0,1]
	s_wait_dscnt 0x0
	v_mul_f32_e32 v2, v5, v3
	s_delay_alu instid0(VALU_DEP_1) | instskip(SKIP_1) | instid1(VALU_DEP_1)
	v_pk_fma_f32 v[8:9], v[4:5], v[74:75], v[2:3] op_sel_hi:[1,1,0] neg_lo:[0,0,1] neg_hi:[0,0,1]
	v_dual_mul_f32 v2, v5, v0 :: v_dual_mul_f32 v0, v7, v0
	v_pk_fma_f32 v[4:5], v[4:5], v[74:75], v[2:3] op_sel:[1,0,0] op_sel_hi:[0,1,0]
	v_dual_mov_b32 v4, v7 :: v_dual_mul_f32 v2, v7, v3
	s_delay_alu instid0(VALU_DEP_2) | instskip(NEXT) | instid1(VALU_DEP_2)
	v_dual_mov_b32 v9, v5 :: v_dual_mov_b32 v5, v6
	v_pk_fma_f32 v[2:3], v[6:7], v[74:75], v[2:3] op_sel_hi:[1,1,0] neg_lo:[0,0,1] neg_hi:[0,0,1]
	s_delay_alu instid0(VALU_DEP_2) | instskip(NEXT) | instid1(VALU_DEP_3)
	v_pk_add_f32 v[194:195], v[194:195], v[8:9] neg_lo:[0,1] neg_hi:[0,1]
	v_pk_fma_f32 v[0:1], v[4:5], v[74:75], v[0:1] op_sel_hi:[1,1,0]
	s_delay_alu instid0(VALU_DEP_1) | instskip(NEXT) | instid1(VALU_DEP_1)
	v_mov_b32_e32 v3, v1
	v_pk_add_f32 v[196:197], v[196:197], v[2:3] neg_lo:[0,1] neg_hi:[0,1]
.LBB97_172:
	s_wait_xcnt 0x0
	s_or_b32 exec_lo, exec_lo, s1
	s_delay_alu instid0(SALU_CYCLE_1)
	s_mov_b32 s2, exec_lo
	s_wait_storecnt 0x0
	s_barrier_signal -1
	s_barrier_wait -1
	v_cmpx_eq_u32_e32 19, v78
	s_cbranch_execz .LBB97_179
; %bb.173:
	v_dual_mov_b32 v0, v94 :: v_dual_mov_b32 v1, v95
	v_dual_mov_b32 v2, v90 :: v_dual_mov_b32 v3, v91
	ds_store_b64 v79, v[70:71]
	ds_store_2addr_b64 v80, v[0:1], v[2:3] offset0:20 offset1:21
	v_dual_mov_b32 v0, v92 :: v_dual_mov_b32 v1, v93
	v_dual_mov_b32 v2, v88 :: v_dual_mov_b32 v3, v89
	ds_store_2addr_b64 v80, v[0:1], v[2:3] offset0:22 offset1:23
	v_dual_mov_b32 v0, v112 :: v_dual_mov_b32 v1, v113
	v_dual_mov_b32 v2, v108 :: v_dual_mov_b32 v3, v109
	;; [unrolled: 3-line block ×13, first 2 shown]
	ds_store_2addr_b64 v80, v[0:1], v[2:3] offset0:46 offset1:47
	ds_store_b64 v80, v[196:197] offset:384
	ds_load_b64 v[0:1], v79
	s_wait_dscnt 0x0
	v_cmp_neq_f32_e32 vcc_lo, 0, v0
	v_cmp_neq_f32_e64 s1, 0, v1
	s_or_b32 s1, vcc_lo, s1
	s_delay_alu instid0(SALU_CYCLE_1)
	s_and_b32 exec_lo, exec_lo, s1
	s_cbranch_execz .LBB97_179
; %bb.174:
	v_cmp_ngt_f32_e64 s1, |v0|, |v1|
                                        ; implicit-def: $vgpr2_vgpr3
	s_and_saveexec_b32 s4, s1
	s_delay_alu instid0(SALU_CYCLE_1)
	s_xor_b32 s1, exec_lo, s4
	s_cbranch_execz .LBB97_176
; %bb.175:
	v_div_scale_f32 v2, null, v1, v1, v0
	v_div_scale_f32 v5, vcc_lo, v0, v1, v0
	s_delay_alu instid0(VALU_DEP_2) | instskip(SKIP_1) | instid1(TRANS32_DEP_1)
	v_rcp_f32_e32 v3, v2
	v_nop
	v_fma_f32 v4, -v2, v3, 1.0
	s_delay_alu instid0(VALU_DEP_1) | instskip(NEXT) | instid1(VALU_DEP_1)
	v_fmac_f32_e32 v3, v4, v3
	v_mul_f32_e32 v4, v5, v3
	s_delay_alu instid0(VALU_DEP_1) | instskip(NEXT) | instid1(VALU_DEP_1)
	v_fma_f32 v6, -v2, v4, v5
	v_fmac_f32_e32 v4, v6, v3
	s_delay_alu instid0(VALU_DEP_1) | instskip(NEXT) | instid1(VALU_DEP_1)
	v_fma_f32 v2, -v2, v4, v5
	v_div_fmas_f32 v2, v2, v3, v4
	s_delay_alu instid0(VALU_DEP_1) | instskip(NEXT) | instid1(VALU_DEP_1)
	v_div_fixup_f32 v2, v2, v1, v0
	v_fmac_f32_e32 v1, v0, v2
	s_delay_alu instid0(VALU_DEP_1) | instskip(SKIP_1) | instid1(VALU_DEP_2)
	v_div_scale_f32 v0, null, v1, v1, 1.0
	v_div_scale_f32 v5, vcc_lo, 1.0, v1, 1.0
	v_rcp_f32_e32 v3, v0
	v_nop
	s_delay_alu instid0(TRANS32_DEP_1) | instskip(NEXT) | instid1(VALU_DEP_1)
	v_fma_f32 v4, -v0, v3, 1.0
	v_fmac_f32_e32 v3, v4, v3
	s_delay_alu instid0(VALU_DEP_1) | instskip(NEXT) | instid1(VALU_DEP_1)
	v_mul_f32_e32 v4, v5, v3
	v_fma_f32 v6, -v0, v4, v5
	s_delay_alu instid0(VALU_DEP_1) | instskip(NEXT) | instid1(VALU_DEP_1)
	v_fmac_f32_e32 v4, v6, v3
	v_fma_f32 v0, -v0, v4, v5
	s_delay_alu instid0(VALU_DEP_1) | instskip(NEXT) | instid1(VALU_DEP_1)
	v_div_fmas_f32 v0, v0, v3, v4
	v_div_fixup_f32 v0, v0, v1, 1.0
	s_delay_alu instid0(VALU_DEP_1)
	v_mul_f32_e32 v2, v2, v0
	v_xor_b32_e32 v3, 0x80000000, v0
                                        ; implicit-def: $vgpr0_vgpr1
.LBB97_176:
	s_and_not1_saveexec_b32 s1, s1
	s_cbranch_execz .LBB97_178
; %bb.177:
	v_div_scale_f32 v2, null, v0, v0, v1
	v_div_scale_f32 v5, vcc_lo, v1, v0, v1
	s_delay_alu instid0(VALU_DEP_2) | instskip(SKIP_1) | instid1(TRANS32_DEP_1)
	v_rcp_f32_e32 v3, v2
	v_nop
	v_fma_f32 v4, -v2, v3, 1.0
	s_delay_alu instid0(VALU_DEP_1) | instskip(NEXT) | instid1(VALU_DEP_1)
	v_fmac_f32_e32 v3, v4, v3
	v_mul_f32_e32 v4, v5, v3
	s_delay_alu instid0(VALU_DEP_1) | instskip(NEXT) | instid1(VALU_DEP_1)
	v_fma_f32 v6, -v2, v4, v5
	v_fmac_f32_e32 v4, v6, v3
	s_delay_alu instid0(VALU_DEP_1) | instskip(NEXT) | instid1(VALU_DEP_1)
	v_fma_f32 v2, -v2, v4, v5
	v_div_fmas_f32 v2, v2, v3, v4
	s_delay_alu instid0(VALU_DEP_1) | instskip(NEXT) | instid1(VALU_DEP_1)
	v_div_fixup_f32 v3, v2, v0, v1
	v_fmac_f32_e32 v0, v1, v3
	s_delay_alu instid0(VALU_DEP_1) | instskip(NEXT) | instid1(VALU_DEP_1)
	v_div_scale_f32 v1, null, v0, v0, 1.0
	v_rcp_f32_e32 v2, v1
	v_nop
	s_delay_alu instid0(TRANS32_DEP_1) | instskip(NEXT) | instid1(VALU_DEP_1)
	v_fma_f32 v4, -v1, v2, 1.0
	v_fmac_f32_e32 v2, v4, v2
	v_div_scale_f32 v4, vcc_lo, 1.0, v0, 1.0
	s_delay_alu instid0(VALU_DEP_1) | instskip(NEXT) | instid1(VALU_DEP_1)
	v_mul_f32_e32 v5, v4, v2
	v_fma_f32 v6, -v1, v5, v4
	s_delay_alu instid0(VALU_DEP_1) | instskip(NEXT) | instid1(VALU_DEP_1)
	v_fmac_f32_e32 v5, v6, v2
	v_fma_f32 v1, -v1, v5, v4
	s_delay_alu instid0(VALU_DEP_1) | instskip(NEXT) | instid1(VALU_DEP_1)
	v_div_fmas_f32 v1, v1, v2, v5
	v_div_fixup_f32 v2, v1, v0, 1.0
	s_delay_alu instid0(VALU_DEP_1)
	v_mul_f32_e64 v3, v3, -v2
.LBB97_178:
	s_or_b32 exec_lo, exec_lo, s1
	ds_store_b64 v79, v[2:3]
.LBB97_179:
	s_or_b32 exec_lo, exec_lo, s2
	s_wait_dscnt 0x0
	s_barrier_signal -1
	s_barrier_wait -1
	ds_load_b64 v[0:1], v79
	s_mov_b32 s1, exec_lo
	s_wait_dscnt 0x0
	scratch_store_b64 off, v[0:1], off offset:120 ; 8-byte Folded Spill
	s_wait_xcnt 0x0
	v_cmpx_lt_u32_e32 19, v78
	s_cbranch_execz .LBB97_181
; %bb.180:
	scratch_load_b64 v[4:5], off, off offset:120 ; 8-byte Folded Reload
	s_wait_loadcnt 0x0
	v_pk_mul_f32 v[2:3], v[4:5], v[70:71] op_sel:[1,1] op_sel_hi:[0,1]
	s_delay_alu instid0(VALU_DEP_1)
	v_pk_fma_f32 v[0:1], v[4:5], v[70:71], v[2:3] op_sel_hi:[1,0,1] neg_lo:[0,0,1] neg_hi:[0,0,1]
	v_pk_fma_f32 v[2:3], v[4:5], v[70:71], v[2:3] op_sel_hi:[1,0,1]
	ds_load_2addr_b64 v[4:7], v80 offset0:20 offset1:21
	v_dual_mov_b32 v70, v0 :: v_dual_mov_b32 v71, v3
	s_wait_dscnt 0x0
	v_pk_mul_f32 v[8:9], v[4:5], v[2:3] op_sel:[0,1]
	s_delay_alu instid0(VALU_DEP_1) | instskip(SKIP_1) | instid1(VALU_DEP_1)
	v_pk_fma_f32 v[10:11], v[4:5], v[0:1], v[8:9] op_sel:[0,0,1] op_sel_hi:[1,1,0] neg_lo:[0,0,1] neg_hi:[0,0,1]
	v_pk_fma_f32 v[4:5], v[4:5], v[0:1], v[8:9] op_sel:[0,0,1] op_sel_hi:[1,0,0]
	v_mov_b32_e32 v11, v5
	v_pk_mul_f32 v[4:5], v[6:7], v[2:3] op_sel:[0,1]
	s_delay_alu instid0(VALU_DEP_1) | instskip(SKIP_1) | instid1(VALU_DEP_1)
	v_pk_fma_f32 v[8:9], v[6:7], v[0:1], v[4:5] op_sel:[0,0,1] op_sel_hi:[1,1,0] neg_lo:[0,0,1] neg_hi:[0,0,1]
	v_pk_fma_f32 v[4:5], v[6:7], v[0:1], v[4:5] op_sel:[0,0,1] op_sel_hi:[1,0,0]
	v_mov_b32_e32 v9, v5
	ds_load_2addr_b64 v[4:7], v80 offset0:22 offset1:23
	v_pk_add_f32 v[94:95], v[94:95], v[10:11] neg_lo:[0,1] neg_hi:[0,1]
	v_pk_add_f32 v[90:91], v[90:91], v[8:9] neg_lo:[0,1] neg_hi:[0,1]
	s_wait_dscnt 0x0
	v_pk_mul_f32 v[8:9], v[4:5], v[2:3] op_sel:[0,1]
	s_delay_alu instid0(VALU_DEP_1) | instskip(SKIP_2) | instid1(VALU_DEP_2)
	v_pk_fma_f32 v[10:11], v[4:5], v[0:1], v[8:9] op_sel:[0,0,1] op_sel_hi:[1,1,0] neg_lo:[0,0,1] neg_hi:[0,0,1]
	v_pk_fma_f32 v[4:5], v[4:5], v[0:1], v[8:9] op_sel:[0,0,1] op_sel_hi:[1,0,0]
	v_dual_mul_f32 v8, v7, v3 :: v_dual_mov_b32 v4, v7
	v_dual_mov_b32 v11, v5 :: v_dual_mov_b32 v5, v6
	s_delay_alu instid0(VALU_DEP_2) | instskip(SKIP_1) | instid1(VALU_DEP_3)
	v_pk_fma_f32 v[8:9], v[6:7], v[70:71], v[8:9] op_sel_hi:[1,1,0] neg_lo:[0,0,1] neg_hi:[0,0,1]
	v_mul_f32_e32 v6, v7, v0
	v_pk_add_f32 v[92:93], v[92:93], v[10:11] neg_lo:[0,1] neg_hi:[0,1]
	s_delay_alu instid0(VALU_DEP_2) | instskip(NEXT) | instid1(VALU_DEP_1)
	v_pk_fma_f32 v[4:5], v[4:5], v[70:71], v[6:7] op_sel_hi:[1,1,0]
	v_mov_b32_e32 v9, v5
	ds_load_2addr_b64 v[4:7], v80 offset0:24 offset1:25
	v_pk_add_f32 v[88:89], v[88:89], v[8:9] neg_lo:[0,1] neg_hi:[0,1]
	s_wait_dscnt 0x0
	v_pk_mul_f32 v[8:9], v[4:5], v[2:3] op_sel:[0,1]
	s_delay_alu instid0(VALU_DEP_1) | instskip(SKIP_1) | instid1(VALU_DEP_1)
	v_pk_fma_f32 v[10:11], v[4:5], v[0:1], v[8:9] op_sel:[0,0,1] op_sel_hi:[1,1,0] neg_lo:[0,0,1] neg_hi:[0,0,1]
	v_pk_fma_f32 v[4:5], v[4:5], v[0:1], v[8:9] op_sel:[0,0,1] op_sel_hi:[1,0,0]
	v_mov_b32_e32 v11, v5
	v_pk_mul_f32 v[4:5], v[6:7], v[2:3] op_sel:[0,1]
	s_delay_alu instid0(VALU_DEP_1) | instskip(SKIP_1) | instid1(VALU_DEP_1)
	v_pk_fma_f32 v[8:9], v[6:7], v[0:1], v[4:5] op_sel:[0,0,1] op_sel_hi:[1,1,0] neg_lo:[0,0,1] neg_hi:[0,0,1]
	v_pk_fma_f32 v[4:5], v[6:7], v[0:1], v[4:5] op_sel:[0,0,1] op_sel_hi:[1,0,0]
	v_mov_b32_e32 v9, v5
	ds_load_2addr_b64 v[4:7], v80 offset0:26 offset1:27
	v_pk_add_f32 v[112:113], v[112:113], v[10:11] neg_lo:[0,1] neg_hi:[0,1]
	v_pk_add_f32 v[108:109], v[108:109], v[8:9] neg_lo:[0,1] neg_hi:[0,1]
	s_wait_dscnt 0x0
	v_pk_mul_f32 v[8:9], v[4:5], v[2:3] op_sel:[0,1]
	s_delay_alu instid0(VALU_DEP_1) | instskip(SKIP_1) | instid1(VALU_DEP_1)
	v_pk_fma_f32 v[10:11], v[4:5], v[0:1], v[8:9] op_sel:[0,0,1] op_sel_hi:[1,1,0] neg_lo:[0,0,1] neg_hi:[0,0,1]
	v_pk_fma_f32 v[4:5], v[4:5], v[0:1], v[8:9] op_sel:[0,0,1] op_sel_hi:[1,0,0]
	v_mov_b32_e32 v11, v5
	v_pk_mul_f32 v[4:5], v[6:7], v[2:3] op_sel:[0,1]
	s_delay_alu instid0(VALU_DEP_1) | instskip(SKIP_1) | instid1(VALU_DEP_1)
	v_pk_fma_f32 v[8:9], v[6:7], v[0:1], v[4:5] op_sel:[0,0,1] op_sel_hi:[1,1,0] neg_lo:[0,0,1] neg_hi:[0,0,1]
	v_pk_fma_f32 v[4:5], v[6:7], v[0:1], v[4:5] op_sel:[0,0,1] op_sel_hi:[1,0,0]
	v_mov_b32_e32 v9, v5
	ds_load_2addr_b64 v[4:7], v80 offset0:28 offset1:29
	v_pk_add_f32 v[110:111], v[110:111], v[10:11] neg_lo:[0,1] neg_hi:[0,1]
	v_pk_add_f32 v[106:107], v[106:107], v[8:9] neg_lo:[0,1] neg_hi:[0,1]
	s_wait_dscnt 0x0
	v_dual_mul_f32 v8, v5, v3 :: v_dual_mul_f32 v10, v5, v0
	s_delay_alu instid0(VALU_DEP_1) | instskip(NEXT) | instid1(VALU_DEP_2)
	v_pk_fma_f32 v[8:9], v[4:5], v[70:71], v[8:9] op_sel_hi:[1,1,0] neg_lo:[0,0,1] neg_hi:[0,0,1]
	v_pk_fma_f32 v[4:5], v[4:5], v[70:71], v[10:11] op_sel:[1,0,0] op_sel_hi:[0,1,0]
	s_delay_alu instid0(VALU_DEP_1) | instskip(SKIP_1) | instid1(VALU_DEP_2)
	v_mov_b32_e32 v9, v5
	v_pk_mul_f32 v[4:5], v[6:7], v[2:3] op_sel:[0,1]
	v_pk_add_f32 v[128:129], v[128:129], v[8:9] neg_lo:[0,1] neg_hi:[0,1]
	s_delay_alu instid0(VALU_DEP_2) | instskip(SKIP_1) | instid1(VALU_DEP_1)
	v_pk_fma_f32 v[8:9], v[6:7], v[0:1], v[4:5] op_sel:[0,0,1] op_sel_hi:[1,1,0] neg_lo:[0,0,1] neg_hi:[0,0,1]
	v_pk_fma_f32 v[4:5], v[6:7], v[0:1], v[4:5] op_sel:[0,0,1] op_sel_hi:[1,0,0]
	v_mov_b32_e32 v9, v5
	ds_load_2addr_b64 v[4:7], v80 offset0:30 offset1:31
	v_pk_add_f32 v[124:125], v[124:125], v[8:9] neg_lo:[0,1] neg_hi:[0,1]
	s_wait_dscnt 0x0
	v_pk_mul_f32 v[8:9], v[4:5], v[2:3] op_sel:[0,1]
	s_delay_alu instid0(VALU_DEP_1) | instskip(SKIP_1) | instid1(VALU_DEP_1)
	v_pk_fma_f32 v[10:11], v[4:5], v[0:1], v[8:9] op_sel:[0,0,1] op_sel_hi:[1,1,0] neg_lo:[0,0,1] neg_hi:[0,0,1]
	v_pk_fma_f32 v[4:5], v[4:5], v[0:1], v[8:9] op_sel:[0,0,1] op_sel_hi:[1,0,0]
	v_mov_b32_e32 v11, v5
	v_pk_mul_f32 v[4:5], v[6:7], v[2:3] op_sel:[0,1]
	s_delay_alu instid0(VALU_DEP_2) | instskip(NEXT) | instid1(VALU_DEP_2)
	v_pk_add_f32 v[126:127], v[126:127], v[10:11] neg_lo:[0,1] neg_hi:[0,1]
	v_pk_fma_f32 v[8:9], v[6:7], v[0:1], v[4:5] op_sel:[0,0,1] op_sel_hi:[1,1,0] neg_lo:[0,0,1] neg_hi:[0,0,1]
	v_pk_fma_f32 v[4:5], v[6:7], v[0:1], v[4:5] op_sel:[0,0,1] op_sel_hi:[1,0,0]
	s_delay_alu instid0(VALU_DEP_1) | instskip(SKIP_4) | instid1(VALU_DEP_1)
	v_mov_b32_e32 v9, v5
	ds_load_2addr_b64 v[4:7], v80 offset0:32 offset1:33
	v_pk_add_f32 v[122:123], v[122:123], v[8:9] neg_lo:[0,1] neg_hi:[0,1]
	s_wait_dscnt 0x0
	v_pk_mul_f32 v[8:9], v[4:5], v[2:3] op_sel:[0,1]
	v_pk_fma_f32 v[10:11], v[4:5], v[0:1], v[8:9] op_sel:[0,0,1] op_sel_hi:[1,1,0] neg_lo:[0,0,1] neg_hi:[0,0,1]
	v_pk_fma_f32 v[4:5], v[4:5], v[0:1], v[8:9] op_sel:[0,0,1] op_sel_hi:[1,0,0]
	v_dual_mul_f32 v8, v7, v3 :: v_dual_mov_b32 v4, v7
	s_delay_alu instid0(VALU_DEP_2) | instskip(NEXT) | instid1(VALU_DEP_2)
	v_dual_mov_b32 v11, v5 :: v_dual_mov_b32 v5, v6
	v_pk_fma_f32 v[8:9], v[6:7], v[70:71], v[8:9] op_sel_hi:[1,1,0] neg_lo:[0,0,1] neg_hi:[0,0,1]
	v_mul_f32_e32 v6, v7, v0
	s_delay_alu instid0(VALU_DEP_3) | instskip(NEXT) | instid1(VALU_DEP_2)
	v_pk_add_f32 v[144:145], v[144:145], v[10:11] neg_lo:[0,1] neg_hi:[0,1]
	v_pk_fma_f32 v[4:5], v[4:5], v[70:71], v[6:7] op_sel_hi:[1,1,0]
	s_delay_alu instid0(VALU_DEP_1) | instskip(SKIP_4) | instid1(VALU_DEP_1)
	v_mov_b32_e32 v9, v5
	ds_load_2addr_b64 v[4:7], v80 offset0:34 offset1:35
	v_pk_add_f32 v[140:141], v[140:141], v[8:9] neg_lo:[0,1] neg_hi:[0,1]
	s_wait_dscnt 0x0
	v_pk_mul_f32 v[8:9], v[4:5], v[2:3] op_sel:[0,1]
	v_pk_fma_f32 v[10:11], v[4:5], v[0:1], v[8:9] op_sel:[0,0,1] op_sel_hi:[1,1,0] neg_lo:[0,0,1] neg_hi:[0,0,1]
	v_pk_fma_f32 v[4:5], v[4:5], v[0:1], v[8:9] op_sel:[0,0,1] op_sel_hi:[1,0,0]
	s_delay_alu instid0(VALU_DEP_1) | instskip(SKIP_1) | instid1(VALU_DEP_1)
	v_mov_b32_e32 v11, v5
	v_pk_mul_f32 v[4:5], v[6:7], v[2:3] op_sel:[0,1]
	v_pk_fma_f32 v[8:9], v[6:7], v[0:1], v[4:5] op_sel:[0,0,1] op_sel_hi:[1,1,0] neg_lo:[0,0,1] neg_hi:[0,0,1]
	v_pk_fma_f32 v[4:5], v[6:7], v[0:1], v[4:5] op_sel:[0,0,1] op_sel_hi:[1,0,0]
	s_delay_alu instid0(VALU_DEP_1)
	v_mov_b32_e32 v9, v5
	ds_load_2addr_b64 v[4:7], v80 offset0:36 offset1:37
	v_pk_add_f32 v[142:143], v[142:143], v[10:11] neg_lo:[0,1] neg_hi:[0,1]
	v_pk_add_f32 v[138:139], v[138:139], v[8:9] neg_lo:[0,1] neg_hi:[0,1]
	s_wait_dscnt 0x0
	v_pk_mul_f32 v[8:9], v[4:5], v[2:3] op_sel:[0,1]
	s_delay_alu instid0(VALU_DEP_1) | instskip(SKIP_1) | instid1(VALU_DEP_1)
	v_pk_fma_f32 v[10:11], v[4:5], v[0:1], v[8:9] op_sel:[0,0,1] op_sel_hi:[1,1,0] neg_lo:[0,0,1] neg_hi:[0,0,1]
	v_pk_fma_f32 v[4:5], v[4:5], v[0:1], v[8:9] op_sel:[0,0,1] op_sel_hi:[1,0,0]
	v_mov_b32_e32 v11, v5
	v_pk_mul_f32 v[4:5], v[6:7], v[2:3] op_sel:[0,1]
	s_delay_alu instid0(VALU_DEP_1) | instskip(SKIP_1) | instid1(VALU_DEP_1)
	v_pk_fma_f32 v[8:9], v[6:7], v[0:1], v[4:5] op_sel:[0,0,1] op_sel_hi:[1,1,0] neg_lo:[0,0,1] neg_hi:[0,0,1]
	v_pk_fma_f32 v[4:5], v[6:7], v[0:1], v[4:5] op_sel:[0,0,1] op_sel_hi:[1,0,0]
	v_mov_b32_e32 v9, v5
	ds_load_2addr_b64 v[4:7], v80 offset0:38 offset1:39
	v_pk_add_f32 v[166:167], v[166:167], v[10:11] neg_lo:[0,1] neg_hi:[0,1]
	v_pk_add_f32 v[162:163], v[162:163], v[8:9] neg_lo:[0,1] neg_hi:[0,1]
	s_wait_dscnt 0x0
	v_dual_mul_f32 v8, v5, v3 :: v_dual_mul_f32 v10, v5, v0
	s_delay_alu instid0(VALU_DEP_1) | instskip(NEXT) | instid1(VALU_DEP_2)
	v_pk_fma_f32 v[8:9], v[4:5], v[70:71], v[8:9] op_sel_hi:[1,1,0] neg_lo:[0,0,1] neg_hi:[0,0,1]
	v_pk_fma_f32 v[4:5], v[4:5], v[70:71], v[10:11] op_sel:[1,0,0] op_sel_hi:[0,1,0]
	s_delay_alu instid0(VALU_DEP_1) | instskip(SKIP_1) | instid1(VALU_DEP_2)
	v_mov_b32_e32 v9, v5
	v_pk_mul_f32 v[4:5], v[6:7], v[2:3] op_sel:[0,1]
	v_pk_add_f32 v[164:165], v[164:165], v[8:9] neg_lo:[0,1] neg_hi:[0,1]
	s_delay_alu instid0(VALU_DEP_2) | instskip(SKIP_1) | instid1(VALU_DEP_1)
	v_pk_fma_f32 v[8:9], v[6:7], v[0:1], v[4:5] op_sel:[0,0,1] op_sel_hi:[1,1,0] neg_lo:[0,0,1] neg_hi:[0,0,1]
	v_pk_fma_f32 v[4:5], v[6:7], v[0:1], v[4:5] op_sel:[0,0,1] op_sel_hi:[1,0,0]
	v_mov_b32_e32 v9, v5
	ds_load_2addr_b64 v[4:7], v80 offset0:40 offset1:41
	v_pk_add_f32 v[160:161], v[160:161], v[8:9] neg_lo:[0,1] neg_hi:[0,1]
	s_wait_dscnt 0x0
	v_pk_mul_f32 v[8:9], v[4:5], v[2:3] op_sel:[0,1]
	s_delay_alu instid0(VALU_DEP_1) | instskip(SKIP_1) | instid1(VALU_DEP_1)
	v_pk_fma_f32 v[10:11], v[4:5], v[0:1], v[8:9] op_sel:[0,0,1] op_sel_hi:[1,1,0] neg_lo:[0,0,1] neg_hi:[0,0,1]
	v_pk_fma_f32 v[4:5], v[4:5], v[0:1], v[8:9] op_sel:[0,0,1] op_sel_hi:[1,0,0]
	v_mov_b32_e32 v11, v5
	v_pk_mul_f32 v[4:5], v[6:7], v[2:3] op_sel:[0,1]
	s_delay_alu instid0(VALU_DEP_2) | instskip(NEXT) | instid1(VALU_DEP_2)
	v_pk_add_f32 v[192:193], v[192:193], v[10:11] neg_lo:[0,1] neg_hi:[0,1]
	v_pk_fma_f32 v[8:9], v[6:7], v[0:1], v[4:5] op_sel:[0,0,1] op_sel_hi:[1,1,0] neg_lo:[0,0,1] neg_hi:[0,0,1]
	v_pk_fma_f32 v[4:5], v[6:7], v[0:1], v[4:5] op_sel:[0,0,1] op_sel_hi:[1,0,0]
	s_delay_alu instid0(VALU_DEP_1) | instskip(SKIP_4) | instid1(VALU_DEP_1)
	v_mov_b32_e32 v9, v5
	ds_load_2addr_b64 v[4:7], v80 offset0:42 offset1:43
	v_pk_add_f32 v[184:185], v[184:185], v[8:9] neg_lo:[0,1] neg_hi:[0,1]
	s_wait_dscnt 0x0
	v_pk_mul_f32 v[8:9], v[4:5], v[2:3] op_sel:[0,1]
	v_pk_fma_f32 v[10:11], v[4:5], v[0:1], v[8:9] op_sel:[0,0,1] op_sel_hi:[1,1,0] neg_lo:[0,0,1] neg_hi:[0,0,1]
	v_pk_fma_f32 v[4:5], v[4:5], v[0:1], v[8:9] op_sel:[0,0,1] op_sel_hi:[1,0,0]
	v_dual_mul_f32 v8, v7, v3 :: v_dual_mov_b32 v4, v7
	s_delay_alu instid0(VALU_DEP_2) | instskip(NEXT) | instid1(VALU_DEP_2)
	v_dual_mov_b32 v11, v5 :: v_dual_mov_b32 v5, v6
	v_pk_fma_f32 v[8:9], v[6:7], v[70:71], v[8:9] op_sel_hi:[1,1,0] neg_lo:[0,0,1] neg_hi:[0,0,1]
	v_mul_f32_e32 v6, v7, v0
	s_delay_alu instid0(VALU_DEP_3) | instskip(NEXT) | instid1(VALU_DEP_2)
	v_pk_add_f32 v[190:191], v[190:191], v[10:11] neg_lo:[0,1] neg_hi:[0,1]
	v_pk_fma_f32 v[4:5], v[4:5], v[70:71], v[6:7] op_sel_hi:[1,1,0]
	s_delay_alu instid0(VALU_DEP_1) | instskip(SKIP_4) | instid1(VALU_DEP_1)
	v_mov_b32_e32 v9, v5
	ds_load_2addr_b64 v[4:7], v80 offset0:44 offset1:45
	v_pk_add_f32 v[182:183], v[182:183], v[8:9] neg_lo:[0,1] neg_hi:[0,1]
	s_wait_dscnt 0x0
	v_pk_mul_f32 v[8:9], v[4:5], v[2:3] op_sel:[0,1]
	v_pk_fma_f32 v[10:11], v[4:5], v[0:1], v[8:9] op_sel:[0,0,1] op_sel_hi:[1,1,0] neg_lo:[0,0,1] neg_hi:[0,0,1]
	v_pk_fma_f32 v[4:5], v[4:5], v[0:1], v[8:9] op_sel:[0,0,1] op_sel_hi:[1,0,0]
	s_delay_alu instid0(VALU_DEP_1) | instskip(SKIP_1) | instid1(VALU_DEP_1)
	v_mov_b32_e32 v11, v5
	v_pk_mul_f32 v[4:5], v[6:7], v[2:3] op_sel:[0,1]
	v_pk_fma_f32 v[8:9], v[6:7], v[0:1], v[4:5] op_sel:[0,0,1] op_sel_hi:[1,1,0] neg_lo:[0,0,1] neg_hi:[0,0,1]
	v_pk_fma_f32 v[4:5], v[6:7], v[0:1], v[4:5] op_sel:[0,0,1] op_sel_hi:[1,0,0]
	s_delay_alu instid0(VALU_DEP_1)
	v_mov_b32_e32 v9, v5
	ds_load_2addr_b64 v[4:7], v80 offset0:46 offset1:47
	v_pk_add_f32 v[188:189], v[188:189], v[10:11] neg_lo:[0,1] neg_hi:[0,1]
	v_pk_add_f32 v[180:181], v[180:181], v[8:9] neg_lo:[0,1] neg_hi:[0,1]
	s_wait_dscnt 0x0
	v_pk_mul_f32 v[8:9], v[4:5], v[2:3] op_sel:[0,1]
	s_delay_alu instid0(VALU_DEP_1) | instskip(SKIP_1) | instid1(VALU_DEP_1)
	v_pk_fma_f32 v[10:11], v[4:5], v[0:1], v[8:9] op_sel:[0,0,1] op_sel_hi:[1,1,0] neg_lo:[0,0,1] neg_hi:[0,0,1]
	v_pk_fma_f32 v[4:5], v[4:5], v[0:1], v[8:9] op_sel:[0,0,1] op_sel_hi:[1,0,0]
	v_mov_b32_e32 v11, v5
	v_pk_mul_f32 v[4:5], v[6:7], v[2:3] op_sel:[0,1]
	s_delay_alu instid0(VALU_DEP_1) | instskip(SKIP_1) | instid1(VALU_DEP_1)
	v_pk_fma_f32 v[8:9], v[6:7], v[0:1], v[4:5] op_sel:[0,0,1] op_sel_hi:[1,1,0] neg_lo:[0,0,1] neg_hi:[0,0,1]
	v_pk_fma_f32 v[4:5], v[6:7], v[0:1], v[4:5] op_sel:[0,0,1] op_sel_hi:[1,0,0]
	v_mov_b32_e32 v9, v5
	ds_load_b64 v[4:5], v80 offset:384
	v_pk_add_f32 v[186:187], v[186:187], v[10:11] neg_lo:[0,1] neg_hi:[0,1]
	v_pk_add_f32 v[194:195], v[194:195], v[8:9] neg_lo:[0,1] neg_hi:[0,1]
	s_wait_dscnt 0x0
	v_pk_mul_f32 v[2:3], v[4:5], v[2:3] op_sel:[0,1]
	s_delay_alu instid0(VALU_DEP_1) | instskip(SKIP_1) | instid1(VALU_DEP_1)
	v_pk_fma_f32 v[6:7], v[4:5], v[0:1], v[2:3] op_sel:[0,0,1] op_sel_hi:[1,1,0] neg_lo:[0,0,1] neg_hi:[0,0,1]
	v_pk_fma_f32 v[0:1], v[4:5], v[0:1], v[2:3] op_sel:[0,0,1] op_sel_hi:[1,0,0]
	v_mov_b32_e32 v7, v1
	s_delay_alu instid0(VALU_DEP_1)
	v_pk_add_f32 v[196:197], v[196:197], v[6:7] neg_lo:[0,1] neg_hi:[0,1]
.LBB97_181:
	s_wait_xcnt 0x0
	s_or_b32 exec_lo, exec_lo, s1
	s_delay_alu instid0(SALU_CYCLE_1)
	s_mov_b32 s2, exec_lo
	s_wait_storecnt 0x0
	s_barrier_signal -1
	s_barrier_wait -1
	v_cmpx_eq_u32_e32 20, v78
	s_cbranch_execz .LBB97_188
; %bb.182:
	ds_store_b64 v79, v[94:95]
	ds_store_2addr_b64 v80, v[90:91], v[92:93] offset0:21 offset1:22
	ds_store_2addr_b64 v80, v[88:89], v[112:113] offset0:23 offset1:24
	;; [unrolled: 1-line block ×14, first 2 shown]
	ds_load_b64 v[0:1], v79
	s_wait_dscnt 0x0
	v_cmp_neq_f32_e32 vcc_lo, 0, v0
	v_cmp_neq_f32_e64 s1, 0, v1
	s_or_b32 s1, vcc_lo, s1
	s_delay_alu instid0(SALU_CYCLE_1)
	s_and_b32 exec_lo, exec_lo, s1
	s_cbranch_execz .LBB97_188
; %bb.183:
	v_cmp_ngt_f32_e64 s1, |v0|, |v1|
                                        ; implicit-def: $vgpr2_vgpr3
	s_and_saveexec_b32 s4, s1
	s_delay_alu instid0(SALU_CYCLE_1)
	s_xor_b32 s1, exec_lo, s4
	s_cbranch_execz .LBB97_185
; %bb.184:
	v_div_scale_f32 v2, null, v1, v1, v0
	v_div_scale_f32 v5, vcc_lo, v0, v1, v0
	s_delay_alu instid0(VALU_DEP_2) | instskip(SKIP_1) | instid1(TRANS32_DEP_1)
	v_rcp_f32_e32 v3, v2
	v_nop
	v_fma_f32 v4, -v2, v3, 1.0
	s_delay_alu instid0(VALU_DEP_1) | instskip(NEXT) | instid1(VALU_DEP_1)
	v_fmac_f32_e32 v3, v4, v3
	v_mul_f32_e32 v4, v5, v3
	s_delay_alu instid0(VALU_DEP_1) | instskip(NEXT) | instid1(VALU_DEP_1)
	v_fma_f32 v6, -v2, v4, v5
	v_fmac_f32_e32 v4, v6, v3
	s_delay_alu instid0(VALU_DEP_1) | instskip(NEXT) | instid1(VALU_DEP_1)
	v_fma_f32 v2, -v2, v4, v5
	v_div_fmas_f32 v2, v2, v3, v4
	s_delay_alu instid0(VALU_DEP_1) | instskip(NEXT) | instid1(VALU_DEP_1)
	v_div_fixup_f32 v2, v2, v1, v0
	v_fmac_f32_e32 v1, v0, v2
	s_delay_alu instid0(VALU_DEP_1) | instskip(SKIP_1) | instid1(VALU_DEP_2)
	v_div_scale_f32 v0, null, v1, v1, 1.0
	v_div_scale_f32 v5, vcc_lo, 1.0, v1, 1.0
	v_rcp_f32_e32 v3, v0
	v_nop
	s_delay_alu instid0(TRANS32_DEP_1) | instskip(NEXT) | instid1(VALU_DEP_1)
	v_fma_f32 v4, -v0, v3, 1.0
	v_fmac_f32_e32 v3, v4, v3
	s_delay_alu instid0(VALU_DEP_1) | instskip(NEXT) | instid1(VALU_DEP_1)
	v_mul_f32_e32 v4, v5, v3
	v_fma_f32 v6, -v0, v4, v5
	s_delay_alu instid0(VALU_DEP_1) | instskip(NEXT) | instid1(VALU_DEP_1)
	v_fmac_f32_e32 v4, v6, v3
	v_fma_f32 v0, -v0, v4, v5
	s_delay_alu instid0(VALU_DEP_1) | instskip(NEXT) | instid1(VALU_DEP_1)
	v_div_fmas_f32 v0, v0, v3, v4
	v_div_fixup_f32 v0, v0, v1, 1.0
	s_delay_alu instid0(VALU_DEP_1)
	v_mul_f32_e32 v2, v2, v0
	v_xor_b32_e32 v3, 0x80000000, v0
                                        ; implicit-def: $vgpr0_vgpr1
.LBB97_185:
	s_and_not1_saveexec_b32 s1, s1
	s_cbranch_execz .LBB97_187
; %bb.186:
	v_div_scale_f32 v2, null, v0, v0, v1
	v_div_scale_f32 v5, vcc_lo, v1, v0, v1
	s_delay_alu instid0(VALU_DEP_2) | instskip(SKIP_1) | instid1(TRANS32_DEP_1)
	v_rcp_f32_e32 v3, v2
	v_nop
	v_fma_f32 v4, -v2, v3, 1.0
	s_delay_alu instid0(VALU_DEP_1) | instskip(NEXT) | instid1(VALU_DEP_1)
	v_fmac_f32_e32 v3, v4, v3
	v_mul_f32_e32 v4, v5, v3
	s_delay_alu instid0(VALU_DEP_1) | instskip(NEXT) | instid1(VALU_DEP_1)
	v_fma_f32 v6, -v2, v4, v5
	v_fmac_f32_e32 v4, v6, v3
	s_delay_alu instid0(VALU_DEP_1) | instskip(NEXT) | instid1(VALU_DEP_1)
	v_fma_f32 v2, -v2, v4, v5
	v_div_fmas_f32 v2, v2, v3, v4
	s_delay_alu instid0(VALU_DEP_1) | instskip(NEXT) | instid1(VALU_DEP_1)
	v_div_fixup_f32 v3, v2, v0, v1
	v_fmac_f32_e32 v0, v1, v3
	s_delay_alu instid0(VALU_DEP_1) | instskip(NEXT) | instid1(VALU_DEP_1)
	v_div_scale_f32 v1, null, v0, v0, 1.0
	v_rcp_f32_e32 v2, v1
	v_nop
	s_delay_alu instid0(TRANS32_DEP_1) | instskip(NEXT) | instid1(VALU_DEP_1)
	v_fma_f32 v4, -v1, v2, 1.0
	v_fmac_f32_e32 v2, v4, v2
	v_div_scale_f32 v4, vcc_lo, 1.0, v0, 1.0
	s_delay_alu instid0(VALU_DEP_1) | instskip(NEXT) | instid1(VALU_DEP_1)
	v_mul_f32_e32 v5, v4, v2
	v_fma_f32 v6, -v1, v5, v4
	s_delay_alu instid0(VALU_DEP_1) | instskip(NEXT) | instid1(VALU_DEP_1)
	v_fmac_f32_e32 v5, v6, v2
	v_fma_f32 v1, -v1, v5, v4
	s_delay_alu instid0(VALU_DEP_1) | instskip(NEXT) | instid1(VALU_DEP_1)
	v_div_fmas_f32 v1, v1, v2, v5
	v_div_fixup_f32 v2, v1, v0, 1.0
	s_delay_alu instid0(VALU_DEP_1)
	v_mul_f32_e64 v3, v3, -v2
.LBB97_187:
	s_or_b32 exec_lo, exec_lo, s1
	ds_store_b64 v79, v[2:3]
.LBB97_188:
	s_or_b32 exec_lo, exec_lo, s2
	s_wait_dscnt 0x0
	s_barrier_signal -1
	s_barrier_wait -1
	ds_load_b64 v[0:1], v79
	s_mov_b32 s1, exec_lo
	s_wait_dscnt 0x0
	scratch_store_b64 off, v[0:1], off offset:128 ; 8-byte Folded Spill
	s_wait_xcnt 0x0
	v_cmpx_lt_u32_e32 20, v78
	s_cbranch_execz .LBB97_190
; %bb.189:
	scratch_load_b64 v[4:5], off, off offset:128 ; 8-byte Folded Reload
	s_wait_loadcnt 0x0
	v_pk_mul_f32 v[2:3], v[4:5], v[94:95] op_sel:[1,1] op_sel_hi:[0,1]
	s_delay_alu instid0(VALU_DEP_1)
	v_pk_fma_f32 v[0:1], v[4:5], v[94:95], v[2:3] op_sel_hi:[1,0,1] neg_lo:[0,0,1] neg_hi:[0,0,1]
	v_pk_fma_f32 v[2:3], v[4:5], v[94:95], v[2:3] op_sel_hi:[1,0,1]
	ds_load_2addr_b64 v[4:7], v80 offset0:21 offset1:22
	v_dual_mov_b32 v94, v0 :: v_dual_mov_b32 v95, v3
	s_wait_dscnt 0x0
	v_pk_mul_f32 v[8:9], v[4:5], v[2:3] op_sel:[0,1]
	s_delay_alu instid0(VALU_DEP_1) | instskip(SKIP_1) | instid1(VALU_DEP_1)
	v_pk_fma_f32 v[10:11], v[4:5], v[0:1], v[8:9] op_sel:[0,0,1] op_sel_hi:[1,1,0] neg_lo:[0,0,1] neg_hi:[0,0,1]
	v_pk_fma_f32 v[4:5], v[4:5], v[0:1], v[8:9] op_sel:[0,0,1] op_sel_hi:[1,0,0]
	v_mov_b32_e32 v11, v5
	v_pk_mul_f32 v[4:5], v[6:7], v[2:3] op_sel:[0,1]
	s_delay_alu instid0(VALU_DEP_1) | instskip(SKIP_1) | instid1(VALU_DEP_1)
	v_pk_fma_f32 v[8:9], v[6:7], v[0:1], v[4:5] op_sel:[0,0,1] op_sel_hi:[1,1,0] neg_lo:[0,0,1] neg_hi:[0,0,1]
	v_pk_fma_f32 v[4:5], v[6:7], v[0:1], v[4:5] op_sel:[0,0,1] op_sel_hi:[1,0,0]
	v_mov_b32_e32 v9, v5
	ds_load_2addr_b64 v[4:7], v80 offset0:23 offset1:24
	v_pk_add_f32 v[90:91], v[90:91], v[10:11] neg_lo:[0,1] neg_hi:[0,1]
	v_pk_add_f32 v[92:93], v[92:93], v[8:9] neg_lo:[0,1] neg_hi:[0,1]
	s_wait_dscnt 0x0
	v_pk_mul_f32 v[8:9], v[4:5], v[2:3] op_sel:[0,1]
	s_delay_alu instid0(VALU_DEP_1) | instskip(SKIP_2) | instid1(VALU_DEP_2)
	v_pk_fma_f32 v[10:11], v[4:5], v[0:1], v[8:9] op_sel:[0,0,1] op_sel_hi:[1,1,0] neg_lo:[0,0,1] neg_hi:[0,0,1]
	v_pk_fma_f32 v[4:5], v[4:5], v[0:1], v[8:9] op_sel:[0,0,1] op_sel_hi:[1,0,0]
	v_dual_mul_f32 v8, v7, v3 :: v_dual_mov_b32 v4, v7
	v_dual_mov_b32 v11, v5 :: v_dual_mov_b32 v5, v6
	s_delay_alu instid0(VALU_DEP_2) | instskip(SKIP_1) | instid1(VALU_DEP_3)
	v_pk_fma_f32 v[8:9], v[6:7], v[94:95], v[8:9] op_sel_hi:[1,1,0] neg_lo:[0,0,1] neg_hi:[0,0,1]
	v_mul_f32_e32 v6, v7, v0
	v_pk_add_f32 v[88:89], v[88:89], v[10:11] neg_lo:[0,1] neg_hi:[0,1]
	s_delay_alu instid0(VALU_DEP_2) | instskip(NEXT) | instid1(VALU_DEP_1)
	v_pk_fma_f32 v[4:5], v[4:5], v[94:95], v[6:7] op_sel_hi:[1,1,0]
	v_mov_b32_e32 v9, v5
	ds_load_2addr_b64 v[4:7], v80 offset0:25 offset1:26
	v_pk_add_f32 v[112:113], v[112:113], v[8:9] neg_lo:[0,1] neg_hi:[0,1]
	s_wait_dscnt 0x0
	v_pk_mul_f32 v[8:9], v[4:5], v[2:3] op_sel:[0,1]
	s_delay_alu instid0(VALU_DEP_1) | instskip(SKIP_1) | instid1(VALU_DEP_1)
	v_pk_fma_f32 v[10:11], v[4:5], v[0:1], v[8:9] op_sel:[0,0,1] op_sel_hi:[1,1,0] neg_lo:[0,0,1] neg_hi:[0,0,1]
	v_pk_fma_f32 v[4:5], v[4:5], v[0:1], v[8:9] op_sel:[0,0,1] op_sel_hi:[1,0,0]
	v_mov_b32_e32 v11, v5
	v_pk_mul_f32 v[4:5], v[6:7], v[2:3] op_sel:[0,1]
	s_delay_alu instid0(VALU_DEP_1) | instskip(SKIP_1) | instid1(VALU_DEP_1)
	v_pk_fma_f32 v[8:9], v[6:7], v[0:1], v[4:5] op_sel:[0,0,1] op_sel_hi:[1,1,0] neg_lo:[0,0,1] neg_hi:[0,0,1]
	v_pk_fma_f32 v[4:5], v[6:7], v[0:1], v[4:5] op_sel:[0,0,1] op_sel_hi:[1,0,0]
	v_mov_b32_e32 v9, v5
	ds_load_2addr_b64 v[4:7], v80 offset0:27 offset1:28
	v_pk_add_f32 v[108:109], v[108:109], v[10:11] neg_lo:[0,1] neg_hi:[0,1]
	v_pk_add_f32 v[110:111], v[110:111], v[8:9] neg_lo:[0,1] neg_hi:[0,1]
	s_wait_dscnt 0x0
	v_pk_mul_f32 v[8:9], v[4:5], v[2:3] op_sel:[0,1]
	s_delay_alu instid0(VALU_DEP_1) | instskip(SKIP_1) | instid1(VALU_DEP_1)
	v_pk_fma_f32 v[10:11], v[4:5], v[0:1], v[8:9] op_sel:[0,0,1] op_sel_hi:[1,1,0] neg_lo:[0,0,1] neg_hi:[0,0,1]
	v_pk_fma_f32 v[4:5], v[4:5], v[0:1], v[8:9] op_sel:[0,0,1] op_sel_hi:[1,0,0]
	v_mov_b32_e32 v11, v5
	v_pk_mul_f32 v[4:5], v[6:7], v[2:3] op_sel:[0,1]
	s_delay_alu instid0(VALU_DEP_1) | instskip(SKIP_1) | instid1(VALU_DEP_1)
	v_pk_fma_f32 v[8:9], v[6:7], v[0:1], v[4:5] op_sel:[0,0,1] op_sel_hi:[1,1,0] neg_lo:[0,0,1] neg_hi:[0,0,1]
	v_pk_fma_f32 v[4:5], v[6:7], v[0:1], v[4:5] op_sel:[0,0,1] op_sel_hi:[1,0,0]
	v_mov_b32_e32 v9, v5
	ds_load_2addr_b64 v[4:7], v80 offset0:29 offset1:30
	v_pk_add_f32 v[106:107], v[106:107], v[10:11] neg_lo:[0,1] neg_hi:[0,1]
	v_pk_add_f32 v[128:129], v[128:129], v[8:9] neg_lo:[0,1] neg_hi:[0,1]
	s_wait_dscnt 0x0
	v_dual_mul_f32 v8, v5, v3 :: v_dual_mul_f32 v10, v5, v0
	s_delay_alu instid0(VALU_DEP_1) | instskip(NEXT) | instid1(VALU_DEP_2)
	v_pk_fma_f32 v[8:9], v[4:5], v[94:95], v[8:9] op_sel_hi:[1,1,0] neg_lo:[0,0,1] neg_hi:[0,0,1]
	v_pk_fma_f32 v[4:5], v[4:5], v[94:95], v[10:11] op_sel:[1,0,0] op_sel_hi:[0,1,0]
	s_delay_alu instid0(VALU_DEP_1) | instskip(SKIP_1) | instid1(VALU_DEP_2)
	v_mov_b32_e32 v9, v5
	v_pk_mul_f32 v[4:5], v[6:7], v[2:3] op_sel:[0,1]
	v_pk_add_f32 v[124:125], v[124:125], v[8:9] neg_lo:[0,1] neg_hi:[0,1]
	s_delay_alu instid0(VALU_DEP_2) | instskip(SKIP_1) | instid1(VALU_DEP_1)
	v_pk_fma_f32 v[8:9], v[6:7], v[0:1], v[4:5] op_sel:[0,0,1] op_sel_hi:[1,1,0] neg_lo:[0,0,1] neg_hi:[0,0,1]
	v_pk_fma_f32 v[4:5], v[6:7], v[0:1], v[4:5] op_sel:[0,0,1] op_sel_hi:[1,0,0]
	v_mov_b32_e32 v9, v5
	ds_load_2addr_b64 v[4:7], v80 offset0:31 offset1:32
	v_pk_add_f32 v[126:127], v[126:127], v[8:9] neg_lo:[0,1] neg_hi:[0,1]
	s_wait_dscnt 0x0
	v_pk_mul_f32 v[8:9], v[4:5], v[2:3] op_sel:[0,1]
	s_delay_alu instid0(VALU_DEP_1) | instskip(SKIP_1) | instid1(VALU_DEP_1)
	v_pk_fma_f32 v[10:11], v[4:5], v[0:1], v[8:9] op_sel:[0,0,1] op_sel_hi:[1,1,0] neg_lo:[0,0,1] neg_hi:[0,0,1]
	v_pk_fma_f32 v[4:5], v[4:5], v[0:1], v[8:9] op_sel:[0,0,1] op_sel_hi:[1,0,0]
	v_mov_b32_e32 v11, v5
	v_pk_mul_f32 v[4:5], v[6:7], v[2:3] op_sel:[0,1]
	s_delay_alu instid0(VALU_DEP_2) | instskip(NEXT) | instid1(VALU_DEP_2)
	v_pk_add_f32 v[122:123], v[122:123], v[10:11] neg_lo:[0,1] neg_hi:[0,1]
	v_pk_fma_f32 v[8:9], v[6:7], v[0:1], v[4:5] op_sel:[0,0,1] op_sel_hi:[1,1,0] neg_lo:[0,0,1] neg_hi:[0,0,1]
	v_pk_fma_f32 v[4:5], v[6:7], v[0:1], v[4:5] op_sel:[0,0,1] op_sel_hi:[1,0,0]
	s_delay_alu instid0(VALU_DEP_1) | instskip(SKIP_4) | instid1(VALU_DEP_1)
	v_mov_b32_e32 v9, v5
	ds_load_2addr_b64 v[4:7], v80 offset0:33 offset1:34
	v_pk_add_f32 v[144:145], v[144:145], v[8:9] neg_lo:[0,1] neg_hi:[0,1]
	s_wait_dscnt 0x0
	v_pk_mul_f32 v[8:9], v[4:5], v[2:3] op_sel:[0,1]
	v_pk_fma_f32 v[10:11], v[4:5], v[0:1], v[8:9] op_sel:[0,0,1] op_sel_hi:[1,1,0] neg_lo:[0,0,1] neg_hi:[0,0,1]
	v_pk_fma_f32 v[4:5], v[4:5], v[0:1], v[8:9] op_sel:[0,0,1] op_sel_hi:[1,0,0]
	v_dual_mul_f32 v8, v7, v3 :: v_dual_mov_b32 v4, v7
	s_delay_alu instid0(VALU_DEP_2) | instskip(NEXT) | instid1(VALU_DEP_2)
	v_dual_mov_b32 v11, v5 :: v_dual_mov_b32 v5, v6
	v_pk_fma_f32 v[8:9], v[6:7], v[94:95], v[8:9] op_sel_hi:[1,1,0] neg_lo:[0,0,1] neg_hi:[0,0,1]
	v_mul_f32_e32 v6, v7, v0
	s_delay_alu instid0(VALU_DEP_3) | instskip(NEXT) | instid1(VALU_DEP_2)
	v_pk_add_f32 v[140:141], v[140:141], v[10:11] neg_lo:[0,1] neg_hi:[0,1]
	v_pk_fma_f32 v[4:5], v[4:5], v[94:95], v[6:7] op_sel_hi:[1,1,0]
	s_delay_alu instid0(VALU_DEP_1) | instskip(SKIP_4) | instid1(VALU_DEP_1)
	v_mov_b32_e32 v9, v5
	ds_load_2addr_b64 v[4:7], v80 offset0:35 offset1:36
	v_pk_add_f32 v[142:143], v[142:143], v[8:9] neg_lo:[0,1] neg_hi:[0,1]
	s_wait_dscnt 0x0
	v_pk_mul_f32 v[8:9], v[4:5], v[2:3] op_sel:[0,1]
	v_pk_fma_f32 v[10:11], v[4:5], v[0:1], v[8:9] op_sel:[0,0,1] op_sel_hi:[1,1,0] neg_lo:[0,0,1] neg_hi:[0,0,1]
	v_pk_fma_f32 v[4:5], v[4:5], v[0:1], v[8:9] op_sel:[0,0,1] op_sel_hi:[1,0,0]
	s_delay_alu instid0(VALU_DEP_1) | instskip(SKIP_1) | instid1(VALU_DEP_1)
	v_mov_b32_e32 v11, v5
	v_pk_mul_f32 v[4:5], v[6:7], v[2:3] op_sel:[0,1]
	v_pk_fma_f32 v[8:9], v[6:7], v[0:1], v[4:5] op_sel:[0,0,1] op_sel_hi:[1,1,0] neg_lo:[0,0,1] neg_hi:[0,0,1]
	v_pk_fma_f32 v[4:5], v[6:7], v[0:1], v[4:5] op_sel:[0,0,1] op_sel_hi:[1,0,0]
	s_delay_alu instid0(VALU_DEP_1)
	v_mov_b32_e32 v9, v5
	ds_load_2addr_b64 v[4:7], v80 offset0:37 offset1:38
	v_pk_add_f32 v[138:139], v[138:139], v[10:11] neg_lo:[0,1] neg_hi:[0,1]
	v_pk_add_f32 v[166:167], v[166:167], v[8:9] neg_lo:[0,1] neg_hi:[0,1]
	s_wait_dscnt 0x0
	v_pk_mul_f32 v[8:9], v[4:5], v[2:3] op_sel:[0,1]
	s_delay_alu instid0(VALU_DEP_1) | instskip(SKIP_1) | instid1(VALU_DEP_1)
	v_pk_fma_f32 v[10:11], v[4:5], v[0:1], v[8:9] op_sel:[0,0,1] op_sel_hi:[1,1,0] neg_lo:[0,0,1] neg_hi:[0,0,1]
	v_pk_fma_f32 v[4:5], v[4:5], v[0:1], v[8:9] op_sel:[0,0,1] op_sel_hi:[1,0,0]
	v_mov_b32_e32 v11, v5
	v_pk_mul_f32 v[4:5], v[6:7], v[2:3] op_sel:[0,1]
	s_delay_alu instid0(VALU_DEP_1) | instskip(SKIP_1) | instid1(VALU_DEP_1)
	v_pk_fma_f32 v[8:9], v[6:7], v[0:1], v[4:5] op_sel:[0,0,1] op_sel_hi:[1,1,0] neg_lo:[0,0,1] neg_hi:[0,0,1]
	v_pk_fma_f32 v[4:5], v[6:7], v[0:1], v[4:5] op_sel:[0,0,1] op_sel_hi:[1,0,0]
	v_mov_b32_e32 v9, v5
	ds_load_2addr_b64 v[4:7], v80 offset0:39 offset1:40
	v_pk_add_f32 v[162:163], v[162:163], v[10:11] neg_lo:[0,1] neg_hi:[0,1]
	v_pk_add_f32 v[164:165], v[164:165], v[8:9] neg_lo:[0,1] neg_hi:[0,1]
	s_wait_dscnt 0x0
	v_dual_mul_f32 v8, v5, v3 :: v_dual_mul_f32 v10, v5, v0
	s_delay_alu instid0(VALU_DEP_1) | instskip(NEXT) | instid1(VALU_DEP_2)
	v_pk_fma_f32 v[8:9], v[4:5], v[94:95], v[8:9] op_sel_hi:[1,1,0] neg_lo:[0,0,1] neg_hi:[0,0,1]
	v_pk_fma_f32 v[4:5], v[4:5], v[94:95], v[10:11] op_sel:[1,0,0] op_sel_hi:[0,1,0]
	s_delay_alu instid0(VALU_DEP_1) | instskip(SKIP_1) | instid1(VALU_DEP_2)
	v_mov_b32_e32 v9, v5
	v_pk_mul_f32 v[4:5], v[6:7], v[2:3] op_sel:[0,1]
	v_pk_add_f32 v[160:161], v[160:161], v[8:9] neg_lo:[0,1] neg_hi:[0,1]
	s_delay_alu instid0(VALU_DEP_2) | instskip(SKIP_1) | instid1(VALU_DEP_1)
	v_pk_fma_f32 v[8:9], v[6:7], v[0:1], v[4:5] op_sel:[0,0,1] op_sel_hi:[1,1,0] neg_lo:[0,0,1] neg_hi:[0,0,1]
	v_pk_fma_f32 v[4:5], v[6:7], v[0:1], v[4:5] op_sel:[0,0,1] op_sel_hi:[1,0,0]
	v_mov_b32_e32 v9, v5
	ds_load_2addr_b64 v[4:7], v80 offset0:41 offset1:42
	v_pk_add_f32 v[192:193], v[192:193], v[8:9] neg_lo:[0,1] neg_hi:[0,1]
	s_wait_dscnt 0x0
	v_pk_mul_f32 v[8:9], v[4:5], v[2:3] op_sel:[0,1]
	s_delay_alu instid0(VALU_DEP_1) | instskip(SKIP_1) | instid1(VALU_DEP_1)
	v_pk_fma_f32 v[10:11], v[4:5], v[0:1], v[8:9] op_sel:[0,0,1] op_sel_hi:[1,1,0] neg_lo:[0,0,1] neg_hi:[0,0,1]
	v_pk_fma_f32 v[4:5], v[4:5], v[0:1], v[8:9] op_sel:[0,0,1] op_sel_hi:[1,0,0]
	v_mov_b32_e32 v11, v5
	v_pk_mul_f32 v[4:5], v[6:7], v[2:3] op_sel:[0,1]
	s_delay_alu instid0(VALU_DEP_2) | instskip(NEXT) | instid1(VALU_DEP_2)
	v_pk_add_f32 v[184:185], v[184:185], v[10:11] neg_lo:[0,1] neg_hi:[0,1]
	v_pk_fma_f32 v[8:9], v[6:7], v[0:1], v[4:5] op_sel:[0,0,1] op_sel_hi:[1,1,0] neg_lo:[0,0,1] neg_hi:[0,0,1]
	v_pk_fma_f32 v[4:5], v[6:7], v[0:1], v[4:5] op_sel:[0,0,1] op_sel_hi:[1,0,0]
	s_delay_alu instid0(VALU_DEP_1) | instskip(SKIP_4) | instid1(VALU_DEP_1)
	v_mov_b32_e32 v9, v5
	ds_load_2addr_b64 v[4:7], v80 offset0:43 offset1:44
	v_pk_add_f32 v[190:191], v[190:191], v[8:9] neg_lo:[0,1] neg_hi:[0,1]
	s_wait_dscnt 0x0
	v_pk_mul_f32 v[8:9], v[4:5], v[2:3] op_sel:[0,1]
	v_pk_fma_f32 v[10:11], v[4:5], v[0:1], v[8:9] op_sel:[0,0,1] op_sel_hi:[1,1,0] neg_lo:[0,0,1] neg_hi:[0,0,1]
	v_pk_fma_f32 v[4:5], v[4:5], v[0:1], v[8:9] op_sel:[0,0,1] op_sel_hi:[1,0,0]
	v_dual_mul_f32 v8, v7, v3 :: v_dual_mov_b32 v4, v7
	s_delay_alu instid0(VALU_DEP_2) | instskip(NEXT) | instid1(VALU_DEP_2)
	v_dual_mov_b32 v11, v5 :: v_dual_mov_b32 v5, v6
	v_pk_fma_f32 v[8:9], v[6:7], v[94:95], v[8:9] op_sel_hi:[1,1,0] neg_lo:[0,0,1] neg_hi:[0,0,1]
	v_mul_f32_e32 v6, v7, v0
	s_delay_alu instid0(VALU_DEP_3) | instskip(NEXT) | instid1(VALU_DEP_2)
	v_pk_add_f32 v[182:183], v[182:183], v[10:11] neg_lo:[0,1] neg_hi:[0,1]
	v_pk_fma_f32 v[4:5], v[4:5], v[94:95], v[6:7] op_sel_hi:[1,1,0]
	s_delay_alu instid0(VALU_DEP_1) | instskip(SKIP_4) | instid1(VALU_DEP_1)
	v_mov_b32_e32 v9, v5
	ds_load_2addr_b64 v[4:7], v80 offset0:45 offset1:46
	v_pk_add_f32 v[188:189], v[188:189], v[8:9] neg_lo:[0,1] neg_hi:[0,1]
	s_wait_dscnt 0x0
	v_pk_mul_f32 v[8:9], v[4:5], v[2:3] op_sel:[0,1]
	v_pk_fma_f32 v[10:11], v[4:5], v[0:1], v[8:9] op_sel:[0,0,1] op_sel_hi:[1,1,0] neg_lo:[0,0,1] neg_hi:[0,0,1]
	v_pk_fma_f32 v[4:5], v[4:5], v[0:1], v[8:9] op_sel:[0,0,1] op_sel_hi:[1,0,0]
	s_delay_alu instid0(VALU_DEP_1) | instskip(SKIP_1) | instid1(VALU_DEP_1)
	v_mov_b32_e32 v11, v5
	v_pk_mul_f32 v[4:5], v[6:7], v[2:3] op_sel:[0,1]
	v_pk_fma_f32 v[8:9], v[6:7], v[0:1], v[4:5] op_sel:[0,0,1] op_sel_hi:[1,1,0] neg_lo:[0,0,1] neg_hi:[0,0,1]
	v_pk_fma_f32 v[4:5], v[6:7], v[0:1], v[4:5] op_sel:[0,0,1] op_sel_hi:[1,0,0]
	s_delay_alu instid0(VALU_DEP_1)
	v_mov_b32_e32 v9, v5
	ds_load_2addr_b64 v[4:7], v80 offset0:47 offset1:48
	v_pk_add_f32 v[180:181], v[180:181], v[10:11] neg_lo:[0,1] neg_hi:[0,1]
	v_pk_add_f32 v[186:187], v[186:187], v[8:9] neg_lo:[0,1] neg_hi:[0,1]
	s_wait_dscnt 0x0
	v_pk_mul_f32 v[8:9], v[4:5], v[2:3] op_sel:[0,1]
	v_pk_mul_f32 v[2:3], v[6:7], v[2:3] op_sel:[0,1]
	s_delay_alu instid0(VALU_DEP_2) | instskip(SKIP_1) | instid1(VALU_DEP_1)
	v_pk_fma_f32 v[10:11], v[4:5], v[0:1], v[8:9] op_sel:[0,0,1] op_sel_hi:[1,1,0] neg_lo:[0,0,1] neg_hi:[0,0,1]
	v_pk_fma_f32 v[4:5], v[4:5], v[0:1], v[8:9] op_sel:[0,0,1] op_sel_hi:[1,0,0]
	v_mov_b32_e32 v11, v5
	s_delay_alu instid0(VALU_DEP_4) | instskip(SKIP_1) | instid1(VALU_DEP_1)
	v_pk_fma_f32 v[4:5], v[6:7], v[0:1], v[2:3] op_sel:[0,0,1] op_sel_hi:[1,1,0] neg_lo:[0,0,1] neg_hi:[0,0,1]
	v_pk_fma_f32 v[0:1], v[6:7], v[0:1], v[2:3] op_sel:[0,0,1] op_sel_hi:[1,0,0]
	v_mov_b32_e32 v5, v1
	s_delay_alu instid0(VALU_DEP_4) | instskip(NEXT) | instid1(VALU_DEP_2)
	v_pk_add_f32 v[194:195], v[194:195], v[10:11] neg_lo:[0,1] neg_hi:[0,1]
	v_pk_add_f32 v[196:197], v[196:197], v[4:5] neg_lo:[0,1] neg_hi:[0,1]
.LBB97_190:
	s_wait_xcnt 0x0
	s_or_b32 exec_lo, exec_lo, s1
	s_delay_alu instid0(SALU_CYCLE_1)
	s_mov_b32 s2, exec_lo
	s_wait_storecnt 0x0
	s_barrier_signal -1
	s_barrier_wait -1
	v_cmpx_eq_u32_e32 21, v78
	s_cbranch_execz .LBB97_197
; %bb.191:
	v_dual_mov_b32 v0, v92 :: v_dual_mov_b32 v1, v93
	v_dual_mov_b32 v2, v88 :: v_dual_mov_b32 v3, v89
	ds_store_b64 v79, v[90:91]
	ds_store_2addr_b64 v80, v[0:1], v[2:3] offset0:22 offset1:23
	v_dual_mov_b32 v0, v112 :: v_dual_mov_b32 v1, v113
	v_dual_mov_b32 v2, v108 :: v_dual_mov_b32 v3, v109
	ds_store_2addr_b64 v80, v[0:1], v[2:3] offset0:24 offset1:25
	v_dual_mov_b32 v0, v110 :: v_dual_mov_b32 v1, v111
	v_dual_mov_b32 v2, v106 :: v_dual_mov_b32 v3, v107
	;; [unrolled: 3-line block ×12, first 2 shown]
	ds_store_2addr_b64 v80, v[0:1], v[2:3] offset0:46 offset1:47
	ds_store_b64 v80, v[196:197] offset:384
	ds_load_b64 v[0:1], v79
	s_wait_dscnt 0x0
	v_cmp_neq_f32_e32 vcc_lo, 0, v0
	v_cmp_neq_f32_e64 s1, 0, v1
	s_or_b32 s1, vcc_lo, s1
	s_delay_alu instid0(SALU_CYCLE_1)
	s_and_b32 exec_lo, exec_lo, s1
	s_cbranch_execz .LBB97_197
; %bb.192:
	v_cmp_ngt_f32_e64 s1, |v0|, |v1|
                                        ; implicit-def: $vgpr2_vgpr3
	s_and_saveexec_b32 s4, s1
	s_delay_alu instid0(SALU_CYCLE_1)
	s_xor_b32 s1, exec_lo, s4
	s_cbranch_execz .LBB97_194
; %bb.193:
	v_div_scale_f32 v2, null, v1, v1, v0
	v_div_scale_f32 v5, vcc_lo, v0, v1, v0
	s_delay_alu instid0(VALU_DEP_2) | instskip(SKIP_1) | instid1(TRANS32_DEP_1)
	v_rcp_f32_e32 v3, v2
	v_nop
	v_fma_f32 v4, -v2, v3, 1.0
	s_delay_alu instid0(VALU_DEP_1) | instskip(NEXT) | instid1(VALU_DEP_1)
	v_fmac_f32_e32 v3, v4, v3
	v_mul_f32_e32 v4, v5, v3
	s_delay_alu instid0(VALU_DEP_1) | instskip(NEXT) | instid1(VALU_DEP_1)
	v_fma_f32 v6, -v2, v4, v5
	v_fmac_f32_e32 v4, v6, v3
	s_delay_alu instid0(VALU_DEP_1) | instskip(NEXT) | instid1(VALU_DEP_1)
	v_fma_f32 v2, -v2, v4, v5
	v_div_fmas_f32 v2, v2, v3, v4
	s_delay_alu instid0(VALU_DEP_1) | instskip(NEXT) | instid1(VALU_DEP_1)
	v_div_fixup_f32 v2, v2, v1, v0
	v_fmac_f32_e32 v1, v0, v2
	s_delay_alu instid0(VALU_DEP_1) | instskip(SKIP_1) | instid1(VALU_DEP_2)
	v_div_scale_f32 v0, null, v1, v1, 1.0
	v_div_scale_f32 v5, vcc_lo, 1.0, v1, 1.0
	v_rcp_f32_e32 v3, v0
	v_nop
	s_delay_alu instid0(TRANS32_DEP_1) | instskip(NEXT) | instid1(VALU_DEP_1)
	v_fma_f32 v4, -v0, v3, 1.0
	v_fmac_f32_e32 v3, v4, v3
	s_delay_alu instid0(VALU_DEP_1) | instskip(NEXT) | instid1(VALU_DEP_1)
	v_mul_f32_e32 v4, v5, v3
	v_fma_f32 v6, -v0, v4, v5
	s_delay_alu instid0(VALU_DEP_1) | instskip(NEXT) | instid1(VALU_DEP_1)
	v_fmac_f32_e32 v4, v6, v3
	v_fma_f32 v0, -v0, v4, v5
	s_delay_alu instid0(VALU_DEP_1) | instskip(NEXT) | instid1(VALU_DEP_1)
	v_div_fmas_f32 v0, v0, v3, v4
	v_div_fixup_f32 v0, v0, v1, 1.0
	s_delay_alu instid0(VALU_DEP_1)
	v_mul_f32_e32 v2, v2, v0
	v_xor_b32_e32 v3, 0x80000000, v0
                                        ; implicit-def: $vgpr0_vgpr1
.LBB97_194:
	s_and_not1_saveexec_b32 s1, s1
	s_cbranch_execz .LBB97_196
; %bb.195:
	v_div_scale_f32 v2, null, v0, v0, v1
	v_div_scale_f32 v5, vcc_lo, v1, v0, v1
	s_delay_alu instid0(VALU_DEP_2) | instskip(SKIP_1) | instid1(TRANS32_DEP_1)
	v_rcp_f32_e32 v3, v2
	v_nop
	v_fma_f32 v4, -v2, v3, 1.0
	s_delay_alu instid0(VALU_DEP_1) | instskip(NEXT) | instid1(VALU_DEP_1)
	v_fmac_f32_e32 v3, v4, v3
	v_mul_f32_e32 v4, v5, v3
	s_delay_alu instid0(VALU_DEP_1) | instskip(NEXT) | instid1(VALU_DEP_1)
	v_fma_f32 v6, -v2, v4, v5
	v_fmac_f32_e32 v4, v6, v3
	s_delay_alu instid0(VALU_DEP_1) | instskip(NEXT) | instid1(VALU_DEP_1)
	v_fma_f32 v2, -v2, v4, v5
	v_div_fmas_f32 v2, v2, v3, v4
	s_delay_alu instid0(VALU_DEP_1) | instskip(NEXT) | instid1(VALU_DEP_1)
	v_div_fixup_f32 v3, v2, v0, v1
	v_fmac_f32_e32 v0, v1, v3
	s_delay_alu instid0(VALU_DEP_1) | instskip(NEXT) | instid1(VALU_DEP_1)
	v_div_scale_f32 v1, null, v0, v0, 1.0
	v_rcp_f32_e32 v2, v1
	v_nop
	s_delay_alu instid0(TRANS32_DEP_1) | instskip(NEXT) | instid1(VALU_DEP_1)
	v_fma_f32 v4, -v1, v2, 1.0
	v_fmac_f32_e32 v2, v4, v2
	v_div_scale_f32 v4, vcc_lo, 1.0, v0, 1.0
	s_delay_alu instid0(VALU_DEP_1) | instskip(NEXT) | instid1(VALU_DEP_1)
	v_mul_f32_e32 v5, v4, v2
	v_fma_f32 v6, -v1, v5, v4
	s_delay_alu instid0(VALU_DEP_1) | instskip(NEXT) | instid1(VALU_DEP_1)
	v_fmac_f32_e32 v5, v6, v2
	v_fma_f32 v1, -v1, v5, v4
	s_delay_alu instid0(VALU_DEP_1) | instskip(NEXT) | instid1(VALU_DEP_1)
	v_div_fmas_f32 v1, v1, v2, v5
	v_div_fixup_f32 v2, v1, v0, 1.0
	s_delay_alu instid0(VALU_DEP_1)
	v_mul_f32_e64 v3, v3, -v2
.LBB97_196:
	s_or_b32 exec_lo, exec_lo, s1
	ds_store_b64 v79, v[2:3]
.LBB97_197:
	s_or_b32 exec_lo, exec_lo, s2
	s_wait_dscnt 0x0
	s_barrier_signal -1
	s_barrier_wait -1
	ds_load_b64 v[0:1], v79
	s_mov_b32 s1, exec_lo
	s_wait_dscnt 0x0
	scratch_store_b64 off, v[0:1], off offset:136 ; 8-byte Folded Spill
	s_wait_xcnt 0x0
	v_cmpx_lt_u32_e32 21, v78
	s_cbranch_execz .LBB97_199
; %bb.198:
	scratch_load_b64 v[4:5], off, off offset:136 ; 8-byte Folded Reload
	s_wait_loadcnt 0x0
	v_pk_mul_f32 v[2:3], v[4:5], v[90:91] op_sel:[1,1] op_sel_hi:[0,1]
	s_delay_alu instid0(VALU_DEP_1)
	v_pk_fma_f32 v[0:1], v[4:5], v[90:91], v[2:3] op_sel_hi:[1,0,1] neg_lo:[0,0,1] neg_hi:[0,0,1]
	v_pk_fma_f32 v[2:3], v[4:5], v[90:91], v[2:3] op_sel_hi:[1,0,1]
	ds_load_2addr_b64 v[4:7], v80 offset0:22 offset1:23
	v_dual_mov_b32 v90, v0 :: v_dual_mov_b32 v91, v3
	s_wait_dscnt 0x0
	v_pk_mul_f32 v[8:9], v[4:5], v[2:3] op_sel:[0,1]
	s_delay_alu instid0(VALU_DEP_1) | instskip(SKIP_1) | instid1(VALU_DEP_1)
	v_pk_fma_f32 v[10:11], v[4:5], v[0:1], v[8:9] op_sel:[0,0,1] op_sel_hi:[1,1,0] neg_lo:[0,0,1] neg_hi:[0,0,1]
	v_pk_fma_f32 v[4:5], v[4:5], v[0:1], v[8:9] op_sel:[0,0,1] op_sel_hi:[1,0,0]
	v_mov_b32_e32 v11, v5
	v_pk_mul_f32 v[4:5], v[6:7], v[2:3] op_sel:[0,1]
	s_delay_alu instid0(VALU_DEP_1) | instskip(SKIP_1) | instid1(VALU_DEP_1)
	v_pk_fma_f32 v[8:9], v[6:7], v[0:1], v[4:5] op_sel:[0,0,1] op_sel_hi:[1,1,0] neg_lo:[0,0,1] neg_hi:[0,0,1]
	v_pk_fma_f32 v[4:5], v[6:7], v[0:1], v[4:5] op_sel:[0,0,1] op_sel_hi:[1,0,0]
	v_mov_b32_e32 v9, v5
	ds_load_2addr_b64 v[4:7], v80 offset0:24 offset1:25
	v_pk_add_f32 v[92:93], v[92:93], v[10:11] neg_lo:[0,1] neg_hi:[0,1]
	v_pk_add_f32 v[88:89], v[88:89], v[8:9] neg_lo:[0,1] neg_hi:[0,1]
	s_wait_dscnt 0x0
	v_pk_mul_f32 v[8:9], v[4:5], v[2:3] op_sel:[0,1]
	s_delay_alu instid0(VALU_DEP_1) | instskip(SKIP_2) | instid1(VALU_DEP_2)
	v_pk_fma_f32 v[10:11], v[4:5], v[0:1], v[8:9] op_sel:[0,0,1] op_sel_hi:[1,1,0] neg_lo:[0,0,1] neg_hi:[0,0,1]
	v_pk_fma_f32 v[4:5], v[4:5], v[0:1], v[8:9] op_sel:[0,0,1] op_sel_hi:[1,0,0]
	v_dual_mul_f32 v8, v7, v3 :: v_dual_mov_b32 v4, v7
	v_dual_mov_b32 v11, v5 :: v_dual_mov_b32 v5, v6
	s_delay_alu instid0(VALU_DEP_2) | instskip(SKIP_1) | instid1(VALU_DEP_3)
	v_pk_fma_f32 v[8:9], v[6:7], v[90:91], v[8:9] op_sel_hi:[1,1,0] neg_lo:[0,0,1] neg_hi:[0,0,1]
	v_mul_f32_e32 v6, v7, v0
	v_pk_add_f32 v[112:113], v[112:113], v[10:11] neg_lo:[0,1] neg_hi:[0,1]
	s_delay_alu instid0(VALU_DEP_2) | instskip(NEXT) | instid1(VALU_DEP_1)
	v_pk_fma_f32 v[4:5], v[4:5], v[90:91], v[6:7] op_sel_hi:[1,1,0]
	v_mov_b32_e32 v9, v5
	ds_load_2addr_b64 v[4:7], v80 offset0:26 offset1:27
	v_pk_add_f32 v[108:109], v[108:109], v[8:9] neg_lo:[0,1] neg_hi:[0,1]
	s_wait_dscnt 0x0
	v_pk_mul_f32 v[8:9], v[4:5], v[2:3] op_sel:[0,1]
	s_delay_alu instid0(VALU_DEP_1) | instskip(SKIP_1) | instid1(VALU_DEP_1)
	v_pk_fma_f32 v[10:11], v[4:5], v[0:1], v[8:9] op_sel:[0,0,1] op_sel_hi:[1,1,0] neg_lo:[0,0,1] neg_hi:[0,0,1]
	v_pk_fma_f32 v[4:5], v[4:5], v[0:1], v[8:9] op_sel:[0,0,1] op_sel_hi:[1,0,0]
	v_mov_b32_e32 v11, v5
	v_pk_mul_f32 v[4:5], v[6:7], v[2:3] op_sel:[0,1]
	s_delay_alu instid0(VALU_DEP_1) | instskip(SKIP_1) | instid1(VALU_DEP_1)
	v_pk_fma_f32 v[8:9], v[6:7], v[0:1], v[4:5] op_sel:[0,0,1] op_sel_hi:[1,1,0] neg_lo:[0,0,1] neg_hi:[0,0,1]
	v_pk_fma_f32 v[4:5], v[6:7], v[0:1], v[4:5] op_sel:[0,0,1] op_sel_hi:[1,0,0]
	v_mov_b32_e32 v9, v5
	ds_load_2addr_b64 v[4:7], v80 offset0:28 offset1:29
	v_pk_add_f32 v[110:111], v[110:111], v[10:11] neg_lo:[0,1] neg_hi:[0,1]
	v_pk_add_f32 v[106:107], v[106:107], v[8:9] neg_lo:[0,1] neg_hi:[0,1]
	s_wait_dscnt 0x0
	v_pk_mul_f32 v[8:9], v[4:5], v[2:3] op_sel:[0,1]
	s_delay_alu instid0(VALU_DEP_1) | instskip(SKIP_1) | instid1(VALU_DEP_1)
	v_pk_fma_f32 v[10:11], v[4:5], v[0:1], v[8:9] op_sel:[0,0,1] op_sel_hi:[1,1,0] neg_lo:[0,0,1] neg_hi:[0,0,1]
	v_pk_fma_f32 v[4:5], v[4:5], v[0:1], v[8:9] op_sel:[0,0,1] op_sel_hi:[1,0,0]
	v_mov_b32_e32 v11, v5
	v_pk_mul_f32 v[4:5], v[6:7], v[2:3] op_sel:[0,1]
	s_delay_alu instid0(VALU_DEP_1) | instskip(SKIP_1) | instid1(VALU_DEP_1)
	v_pk_fma_f32 v[8:9], v[6:7], v[0:1], v[4:5] op_sel:[0,0,1] op_sel_hi:[1,1,0] neg_lo:[0,0,1] neg_hi:[0,0,1]
	v_pk_fma_f32 v[4:5], v[6:7], v[0:1], v[4:5] op_sel:[0,0,1] op_sel_hi:[1,0,0]
	v_mov_b32_e32 v9, v5
	ds_load_2addr_b64 v[4:7], v80 offset0:30 offset1:31
	v_pk_add_f32 v[128:129], v[128:129], v[10:11] neg_lo:[0,1] neg_hi:[0,1]
	v_pk_add_f32 v[124:125], v[124:125], v[8:9] neg_lo:[0,1] neg_hi:[0,1]
	s_wait_dscnt 0x0
	v_dual_mul_f32 v8, v5, v3 :: v_dual_mul_f32 v10, v5, v0
	s_delay_alu instid0(VALU_DEP_1) | instskip(NEXT) | instid1(VALU_DEP_2)
	v_pk_fma_f32 v[8:9], v[4:5], v[90:91], v[8:9] op_sel_hi:[1,1,0] neg_lo:[0,0,1] neg_hi:[0,0,1]
	v_pk_fma_f32 v[4:5], v[4:5], v[90:91], v[10:11] op_sel:[1,0,0] op_sel_hi:[0,1,0]
	s_delay_alu instid0(VALU_DEP_1) | instskip(SKIP_1) | instid1(VALU_DEP_2)
	v_mov_b32_e32 v9, v5
	v_pk_mul_f32 v[4:5], v[6:7], v[2:3] op_sel:[0,1]
	v_pk_add_f32 v[126:127], v[126:127], v[8:9] neg_lo:[0,1] neg_hi:[0,1]
	s_delay_alu instid0(VALU_DEP_2) | instskip(SKIP_1) | instid1(VALU_DEP_1)
	v_pk_fma_f32 v[8:9], v[6:7], v[0:1], v[4:5] op_sel:[0,0,1] op_sel_hi:[1,1,0] neg_lo:[0,0,1] neg_hi:[0,0,1]
	v_pk_fma_f32 v[4:5], v[6:7], v[0:1], v[4:5] op_sel:[0,0,1] op_sel_hi:[1,0,0]
	v_mov_b32_e32 v9, v5
	ds_load_2addr_b64 v[4:7], v80 offset0:32 offset1:33
	v_pk_add_f32 v[122:123], v[122:123], v[8:9] neg_lo:[0,1] neg_hi:[0,1]
	s_wait_dscnt 0x0
	v_pk_mul_f32 v[8:9], v[4:5], v[2:3] op_sel:[0,1]
	s_delay_alu instid0(VALU_DEP_1) | instskip(SKIP_1) | instid1(VALU_DEP_1)
	v_pk_fma_f32 v[10:11], v[4:5], v[0:1], v[8:9] op_sel:[0,0,1] op_sel_hi:[1,1,0] neg_lo:[0,0,1] neg_hi:[0,0,1]
	v_pk_fma_f32 v[4:5], v[4:5], v[0:1], v[8:9] op_sel:[0,0,1] op_sel_hi:[1,0,0]
	v_mov_b32_e32 v11, v5
	v_pk_mul_f32 v[4:5], v[6:7], v[2:3] op_sel:[0,1]
	s_delay_alu instid0(VALU_DEP_2) | instskip(NEXT) | instid1(VALU_DEP_2)
	v_pk_add_f32 v[144:145], v[144:145], v[10:11] neg_lo:[0,1] neg_hi:[0,1]
	v_pk_fma_f32 v[8:9], v[6:7], v[0:1], v[4:5] op_sel:[0,0,1] op_sel_hi:[1,1,0] neg_lo:[0,0,1] neg_hi:[0,0,1]
	v_pk_fma_f32 v[4:5], v[6:7], v[0:1], v[4:5] op_sel:[0,0,1] op_sel_hi:[1,0,0]
	s_delay_alu instid0(VALU_DEP_1) | instskip(SKIP_4) | instid1(VALU_DEP_1)
	v_mov_b32_e32 v9, v5
	ds_load_2addr_b64 v[4:7], v80 offset0:34 offset1:35
	v_pk_add_f32 v[140:141], v[140:141], v[8:9] neg_lo:[0,1] neg_hi:[0,1]
	s_wait_dscnt 0x0
	v_pk_mul_f32 v[8:9], v[4:5], v[2:3] op_sel:[0,1]
	v_pk_fma_f32 v[10:11], v[4:5], v[0:1], v[8:9] op_sel:[0,0,1] op_sel_hi:[1,1,0] neg_lo:[0,0,1] neg_hi:[0,0,1]
	v_pk_fma_f32 v[4:5], v[4:5], v[0:1], v[8:9] op_sel:[0,0,1] op_sel_hi:[1,0,0]
	v_dual_mul_f32 v8, v7, v3 :: v_dual_mov_b32 v4, v7
	s_delay_alu instid0(VALU_DEP_2) | instskip(NEXT) | instid1(VALU_DEP_2)
	v_dual_mov_b32 v11, v5 :: v_dual_mov_b32 v5, v6
	v_pk_fma_f32 v[8:9], v[6:7], v[90:91], v[8:9] op_sel_hi:[1,1,0] neg_lo:[0,0,1] neg_hi:[0,0,1]
	v_mul_f32_e32 v6, v7, v0
	s_delay_alu instid0(VALU_DEP_3) | instskip(NEXT) | instid1(VALU_DEP_2)
	v_pk_add_f32 v[142:143], v[142:143], v[10:11] neg_lo:[0,1] neg_hi:[0,1]
	v_pk_fma_f32 v[4:5], v[4:5], v[90:91], v[6:7] op_sel_hi:[1,1,0]
	s_delay_alu instid0(VALU_DEP_1) | instskip(SKIP_4) | instid1(VALU_DEP_1)
	v_mov_b32_e32 v9, v5
	ds_load_2addr_b64 v[4:7], v80 offset0:36 offset1:37
	v_pk_add_f32 v[138:139], v[138:139], v[8:9] neg_lo:[0,1] neg_hi:[0,1]
	s_wait_dscnt 0x0
	v_pk_mul_f32 v[8:9], v[4:5], v[2:3] op_sel:[0,1]
	v_pk_fma_f32 v[10:11], v[4:5], v[0:1], v[8:9] op_sel:[0,0,1] op_sel_hi:[1,1,0] neg_lo:[0,0,1] neg_hi:[0,0,1]
	v_pk_fma_f32 v[4:5], v[4:5], v[0:1], v[8:9] op_sel:[0,0,1] op_sel_hi:[1,0,0]
	s_delay_alu instid0(VALU_DEP_1) | instskip(SKIP_1) | instid1(VALU_DEP_1)
	v_mov_b32_e32 v11, v5
	v_pk_mul_f32 v[4:5], v[6:7], v[2:3] op_sel:[0,1]
	v_pk_fma_f32 v[8:9], v[6:7], v[0:1], v[4:5] op_sel:[0,0,1] op_sel_hi:[1,1,0] neg_lo:[0,0,1] neg_hi:[0,0,1]
	v_pk_fma_f32 v[4:5], v[6:7], v[0:1], v[4:5] op_sel:[0,0,1] op_sel_hi:[1,0,0]
	s_delay_alu instid0(VALU_DEP_1)
	v_mov_b32_e32 v9, v5
	ds_load_2addr_b64 v[4:7], v80 offset0:38 offset1:39
	v_pk_add_f32 v[166:167], v[166:167], v[10:11] neg_lo:[0,1] neg_hi:[0,1]
	v_pk_add_f32 v[162:163], v[162:163], v[8:9] neg_lo:[0,1] neg_hi:[0,1]
	s_wait_dscnt 0x0
	v_pk_mul_f32 v[8:9], v[4:5], v[2:3] op_sel:[0,1]
	s_delay_alu instid0(VALU_DEP_1) | instskip(SKIP_1) | instid1(VALU_DEP_1)
	v_pk_fma_f32 v[10:11], v[4:5], v[0:1], v[8:9] op_sel:[0,0,1] op_sel_hi:[1,1,0] neg_lo:[0,0,1] neg_hi:[0,0,1]
	v_pk_fma_f32 v[4:5], v[4:5], v[0:1], v[8:9] op_sel:[0,0,1] op_sel_hi:[1,0,0]
	v_mov_b32_e32 v11, v5
	v_pk_mul_f32 v[4:5], v[6:7], v[2:3] op_sel:[0,1]
	s_delay_alu instid0(VALU_DEP_1) | instskip(SKIP_1) | instid1(VALU_DEP_1)
	v_pk_fma_f32 v[8:9], v[6:7], v[0:1], v[4:5] op_sel:[0,0,1] op_sel_hi:[1,1,0] neg_lo:[0,0,1] neg_hi:[0,0,1]
	v_pk_fma_f32 v[4:5], v[6:7], v[0:1], v[4:5] op_sel:[0,0,1] op_sel_hi:[1,0,0]
	v_mov_b32_e32 v9, v5
	ds_load_2addr_b64 v[4:7], v80 offset0:40 offset1:41
	v_pk_add_f32 v[164:165], v[164:165], v[10:11] neg_lo:[0,1] neg_hi:[0,1]
	v_pk_add_f32 v[160:161], v[160:161], v[8:9] neg_lo:[0,1] neg_hi:[0,1]
	s_wait_dscnt 0x0
	v_dual_mul_f32 v8, v5, v3 :: v_dual_mul_f32 v10, v5, v0
	s_delay_alu instid0(VALU_DEP_1) | instskip(NEXT) | instid1(VALU_DEP_2)
	v_pk_fma_f32 v[8:9], v[4:5], v[90:91], v[8:9] op_sel_hi:[1,1,0] neg_lo:[0,0,1] neg_hi:[0,0,1]
	v_pk_fma_f32 v[4:5], v[4:5], v[90:91], v[10:11] op_sel:[1,0,0] op_sel_hi:[0,1,0]
	s_delay_alu instid0(VALU_DEP_1) | instskip(SKIP_1) | instid1(VALU_DEP_2)
	v_mov_b32_e32 v9, v5
	v_pk_mul_f32 v[4:5], v[6:7], v[2:3] op_sel:[0,1]
	v_pk_add_f32 v[192:193], v[192:193], v[8:9] neg_lo:[0,1] neg_hi:[0,1]
	s_delay_alu instid0(VALU_DEP_2) | instskip(SKIP_1) | instid1(VALU_DEP_1)
	v_pk_fma_f32 v[8:9], v[6:7], v[0:1], v[4:5] op_sel:[0,0,1] op_sel_hi:[1,1,0] neg_lo:[0,0,1] neg_hi:[0,0,1]
	v_pk_fma_f32 v[4:5], v[6:7], v[0:1], v[4:5] op_sel:[0,0,1] op_sel_hi:[1,0,0]
	v_mov_b32_e32 v9, v5
	ds_load_2addr_b64 v[4:7], v80 offset0:42 offset1:43
	v_pk_add_f32 v[184:185], v[184:185], v[8:9] neg_lo:[0,1] neg_hi:[0,1]
	s_wait_dscnt 0x0
	v_pk_mul_f32 v[8:9], v[4:5], v[2:3] op_sel:[0,1]
	s_delay_alu instid0(VALU_DEP_1) | instskip(SKIP_1) | instid1(VALU_DEP_1)
	v_pk_fma_f32 v[10:11], v[4:5], v[0:1], v[8:9] op_sel:[0,0,1] op_sel_hi:[1,1,0] neg_lo:[0,0,1] neg_hi:[0,0,1]
	v_pk_fma_f32 v[4:5], v[4:5], v[0:1], v[8:9] op_sel:[0,0,1] op_sel_hi:[1,0,0]
	v_mov_b32_e32 v11, v5
	v_pk_mul_f32 v[4:5], v[6:7], v[2:3] op_sel:[0,1]
	s_delay_alu instid0(VALU_DEP_2) | instskip(NEXT) | instid1(VALU_DEP_2)
	v_pk_add_f32 v[190:191], v[190:191], v[10:11] neg_lo:[0,1] neg_hi:[0,1]
	v_pk_fma_f32 v[8:9], v[6:7], v[0:1], v[4:5] op_sel:[0,0,1] op_sel_hi:[1,1,0] neg_lo:[0,0,1] neg_hi:[0,0,1]
	v_pk_fma_f32 v[4:5], v[6:7], v[0:1], v[4:5] op_sel:[0,0,1] op_sel_hi:[1,0,0]
	s_delay_alu instid0(VALU_DEP_1) | instskip(SKIP_4) | instid1(VALU_DEP_1)
	v_mov_b32_e32 v9, v5
	ds_load_2addr_b64 v[4:7], v80 offset0:44 offset1:45
	v_pk_add_f32 v[182:183], v[182:183], v[8:9] neg_lo:[0,1] neg_hi:[0,1]
	s_wait_dscnt 0x0
	v_pk_mul_f32 v[8:9], v[4:5], v[2:3] op_sel:[0,1]
	v_pk_fma_f32 v[10:11], v[4:5], v[0:1], v[8:9] op_sel:[0,0,1] op_sel_hi:[1,1,0] neg_lo:[0,0,1] neg_hi:[0,0,1]
	v_pk_fma_f32 v[4:5], v[4:5], v[0:1], v[8:9] op_sel:[0,0,1] op_sel_hi:[1,0,0]
	v_dual_mul_f32 v8, v7, v3 :: v_dual_mov_b32 v4, v7
	s_delay_alu instid0(VALU_DEP_2) | instskip(NEXT) | instid1(VALU_DEP_2)
	v_dual_mov_b32 v11, v5 :: v_dual_mov_b32 v5, v6
	v_pk_fma_f32 v[8:9], v[6:7], v[90:91], v[8:9] op_sel_hi:[1,1,0] neg_lo:[0,0,1] neg_hi:[0,0,1]
	v_mul_f32_e32 v6, v7, v0
	s_delay_alu instid0(VALU_DEP_3) | instskip(NEXT) | instid1(VALU_DEP_2)
	v_pk_add_f32 v[188:189], v[188:189], v[10:11] neg_lo:[0,1] neg_hi:[0,1]
	v_pk_fma_f32 v[4:5], v[4:5], v[90:91], v[6:7] op_sel_hi:[1,1,0]
	s_delay_alu instid0(VALU_DEP_1) | instskip(SKIP_4) | instid1(VALU_DEP_1)
	v_mov_b32_e32 v9, v5
	ds_load_2addr_b64 v[4:7], v80 offset0:46 offset1:47
	v_pk_add_f32 v[180:181], v[180:181], v[8:9] neg_lo:[0,1] neg_hi:[0,1]
	s_wait_dscnt 0x0
	v_pk_mul_f32 v[8:9], v[4:5], v[2:3] op_sel:[0,1]
	v_pk_fma_f32 v[10:11], v[4:5], v[0:1], v[8:9] op_sel:[0,0,1] op_sel_hi:[1,1,0] neg_lo:[0,0,1] neg_hi:[0,0,1]
	v_pk_fma_f32 v[4:5], v[4:5], v[0:1], v[8:9] op_sel:[0,0,1] op_sel_hi:[1,0,0]
	s_delay_alu instid0(VALU_DEP_1) | instskip(SKIP_1) | instid1(VALU_DEP_1)
	v_mov_b32_e32 v11, v5
	v_pk_mul_f32 v[4:5], v[6:7], v[2:3] op_sel:[0,1]
	v_pk_fma_f32 v[8:9], v[6:7], v[0:1], v[4:5] op_sel:[0,0,1] op_sel_hi:[1,1,0] neg_lo:[0,0,1] neg_hi:[0,0,1]
	v_pk_fma_f32 v[4:5], v[6:7], v[0:1], v[4:5] op_sel:[0,0,1] op_sel_hi:[1,0,0]
	s_delay_alu instid0(VALU_DEP_1)
	v_mov_b32_e32 v9, v5
	ds_load_b64 v[4:5], v80 offset:384
	v_pk_add_f32 v[186:187], v[186:187], v[10:11] neg_lo:[0,1] neg_hi:[0,1]
	v_pk_add_f32 v[194:195], v[194:195], v[8:9] neg_lo:[0,1] neg_hi:[0,1]
	s_wait_dscnt 0x0
	v_pk_mul_f32 v[2:3], v[4:5], v[2:3] op_sel:[0,1]
	s_delay_alu instid0(VALU_DEP_1) | instskip(SKIP_1) | instid1(VALU_DEP_1)
	v_pk_fma_f32 v[6:7], v[4:5], v[0:1], v[2:3] op_sel:[0,0,1] op_sel_hi:[1,1,0] neg_lo:[0,0,1] neg_hi:[0,0,1]
	v_pk_fma_f32 v[0:1], v[4:5], v[0:1], v[2:3] op_sel:[0,0,1] op_sel_hi:[1,0,0]
	v_mov_b32_e32 v7, v1
	s_delay_alu instid0(VALU_DEP_1)
	v_pk_add_f32 v[196:197], v[196:197], v[6:7] neg_lo:[0,1] neg_hi:[0,1]
.LBB97_199:
	s_wait_xcnt 0x0
	s_or_b32 exec_lo, exec_lo, s1
	s_delay_alu instid0(SALU_CYCLE_1)
	s_mov_b32 s2, exec_lo
	s_wait_storecnt 0x0
	s_barrier_signal -1
	s_barrier_wait -1
	v_cmpx_eq_u32_e32 22, v78
	s_cbranch_execz .LBB97_206
; %bb.200:
	ds_store_b64 v79, v[92:93]
	ds_store_2addr_b64 v80, v[88:89], v[112:113] offset0:23 offset1:24
	ds_store_2addr_b64 v80, v[108:109], v[110:111] offset0:25 offset1:26
	;; [unrolled: 1-line block ×13, first 2 shown]
	ds_load_b64 v[0:1], v79
	s_wait_dscnt 0x0
	v_cmp_neq_f32_e32 vcc_lo, 0, v0
	v_cmp_neq_f32_e64 s1, 0, v1
	s_or_b32 s1, vcc_lo, s1
	s_delay_alu instid0(SALU_CYCLE_1)
	s_and_b32 exec_lo, exec_lo, s1
	s_cbranch_execz .LBB97_206
; %bb.201:
	v_cmp_ngt_f32_e64 s1, |v0|, |v1|
                                        ; implicit-def: $vgpr2_vgpr3
	s_and_saveexec_b32 s4, s1
	s_delay_alu instid0(SALU_CYCLE_1)
	s_xor_b32 s1, exec_lo, s4
	s_cbranch_execz .LBB97_203
; %bb.202:
	v_div_scale_f32 v2, null, v1, v1, v0
	v_div_scale_f32 v5, vcc_lo, v0, v1, v0
	s_delay_alu instid0(VALU_DEP_2) | instskip(SKIP_1) | instid1(TRANS32_DEP_1)
	v_rcp_f32_e32 v3, v2
	v_nop
	v_fma_f32 v4, -v2, v3, 1.0
	s_delay_alu instid0(VALU_DEP_1) | instskip(NEXT) | instid1(VALU_DEP_1)
	v_fmac_f32_e32 v3, v4, v3
	v_mul_f32_e32 v4, v5, v3
	s_delay_alu instid0(VALU_DEP_1) | instskip(NEXT) | instid1(VALU_DEP_1)
	v_fma_f32 v6, -v2, v4, v5
	v_fmac_f32_e32 v4, v6, v3
	s_delay_alu instid0(VALU_DEP_1) | instskip(NEXT) | instid1(VALU_DEP_1)
	v_fma_f32 v2, -v2, v4, v5
	v_div_fmas_f32 v2, v2, v3, v4
	s_delay_alu instid0(VALU_DEP_1) | instskip(NEXT) | instid1(VALU_DEP_1)
	v_div_fixup_f32 v2, v2, v1, v0
	v_fmac_f32_e32 v1, v0, v2
	s_delay_alu instid0(VALU_DEP_1) | instskip(SKIP_1) | instid1(VALU_DEP_2)
	v_div_scale_f32 v0, null, v1, v1, 1.0
	v_div_scale_f32 v5, vcc_lo, 1.0, v1, 1.0
	v_rcp_f32_e32 v3, v0
	v_nop
	s_delay_alu instid0(TRANS32_DEP_1) | instskip(NEXT) | instid1(VALU_DEP_1)
	v_fma_f32 v4, -v0, v3, 1.0
	v_fmac_f32_e32 v3, v4, v3
	s_delay_alu instid0(VALU_DEP_1) | instskip(NEXT) | instid1(VALU_DEP_1)
	v_mul_f32_e32 v4, v5, v3
	v_fma_f32 v6, -v0, v4, v5
	s_delay_alu instid0(VALU_DEP_1) | instskip(NEXT) | instid1(VALU_DEP_1)
	v_fmac_f32_e32 v4, v6, v3
	v_fma_f32 v0, -v0, v4, v5
	s_delay_alu instid0(VALU_DEP_1) | instskip(NEXT) | instid1(VALU_DEP_1)
	v_div_fmas_f32 v0, v0, v3, v4
	v_div_fixup_f32 v0, v0, v1, 1.0
	s_delay_alu instid0(VALU_DEP_1)
	v_mul_f32_e32 v2, v2, v0
	v_xor_b32_e32 v3, 0x80000000, v0
                                        ; implicit-def: $vgpr0_vgpr1
.LBB97_203:
	s_and_not1_saveexec_b32 s1, s1
	s_cbranch_execz .LBB97_205
; %bb.204:
	v_div_scale_f32 v2, null, v0, v0, v1
	v_div_scale_f32 v5, vcc_lo, v1, v0, v1
	s_delay_alu instid0(VALU_DEP_2) | instskip(SKIP_1) | instid1(TRANS32_DEP_1)
	v_rcp_f32_e32 v3, v2
	v_nop
	v_fma_f32 v4, -v2, v3, 1.0
	s_delay_alu instid0(VALU_DEP_1) | instskip(NEXT) | instid1(VALU_DEP_1)
	v_fmac_f32_e32 v3, v4, v3
	v_mul_f32_e32 v4, v5, v3
	s_delay_alu instid0(VALU_DEP_1) | instskip(NEXT) | instid1(VALU_DEP_1)
	v_fma_f32 v6, -v2, v4, v5
	v_fmac_f32_e32 v4, v6, v3
	s_delay_alu instid0(VALU_DEP_1) | instskip(NEXT) | instid1(VALU_DEP_1)
	v_fma_f32 v2, -v2, v4, v5
	v_div_fmas_f32 v2, v2, v3, v4
	s_delay_alu instid0(VALU_DEP_1) | instskip(NEXT) | instid1(VALU_DEP_1)
	v_div_fixup_f32 v3, v2, v0, v1
	v_fmac_f32_e32 v0, v1, v3
	s_delay_alu instid0(VALU_DEP_1) | instskip(NEXT) | instid1(VALU_DEP_1)
	v_div_scale_f32 v1, null, v0, v0, 1.0
	v_rcp_f32_e32 v2, v1
	v_nop
	s_delay_alu instid0(TRANS32_DEP_1) | instskip(NEXT) | instid1(VALU_DEP_1)
	v_fma_f32 v4, -v1, v2, 1.0
	v_fmac_f32_e32 v2, v4, v2
	v_div_scale_f32 v4, vcc_lo, 1.0, v0, 1.0
	s_delay_alu instid0(VALU_DEP_1) | instskip(NEXT) | instid1(VALU_DEP_1)
	v_mul_f32_e32 v5, v4, v2
	v_fma_f32 v6, -v1, v5, v4
	s_delay_alu instid0(VALU_DEP_1) | instskip(NEXT) | instid1(VALU_DEP_1)
	v_fmac_f32_e32 v5, v6, v2
	v_fma_f32 v1, -v1, v5, v4
	s_delay_alu instid0(VALU_DEP_1) | instskip(NEXT) | instid1(VALU_DEP_1)
	v_div_fmas_f32 v1, v1, v2, v5
	v_div_fixup_f32 v2, v1, v0, 1.0
	s_delay_alu instid0(VALU_DEP_1)
	v_mul_f32_e64 v3, v3, -v2
.LBB97_205:
	s_or_b32 exec_lo, exec_lo, s1
	ds_store_b64 v79, v[2:3]
.LBB97_206:
	s_or_b32 exec_lo, exec_lo, s2
	s_wait_dscnt 0x0
	s_barrier_signal -1
	s_barrier_wait -1
	ds_load_b64 v[0:1], v79
	s_mov_b32 s1, exec_lo
	s_wait_dscnt 0x0
	scratch_store_b64 off, v[0:1], off offset:144 ; 8-byte Folded Spill
	s_wait_xcnt 0x0
	v_cmpx_lt_u32_e32 22, v78
	s_cbranch_execz .LBB97_208
; %bb.207:
	scratch_load_b64 v[4:5], off, off offset:144 ; 8-byte Folded Reload
	s_wait_loadcnt 0x0
	v_pk_mul_f32 v[2:3], v[4:5], v[92:93] op_sel:[1,1] op_sel_hi:[0,1]
	s_delay_alu instid0(VALU_DEP_1)
	v_pk_fma_f32 v[0:1], v[4:5], v[92:93], v[2:3] op_sel_hi:[1,0,1] neg_lo:[0,0,1] neg_hi:[0,0,1]
	v_pk_fma_f32 v[2:3], v[4:5], v[92:93], v[2:3] op_sel_hi:[1,0,1]
	ds_load_2addr_b64 v[4:7], v80 offset0:23 offset1:24
	v_dual_mov_b32 v92, v0 :: v_dual_mov_b32 v93, v3
	s_wait_dscnt 0x0
	v_pk_mul_f32 v[8:9], v[4:5], v[2:3] op_sel:[0,1]
	s_delay_alu instid0(VALU_DEP_1) | instskip(SKIP_1) | instid1(VALU_DEP_1)
	v_pk_fma_f32 v[10:11], v[4:5], v[0:1], v[8:9] op_sel:[0,0,1] op_sel_hi:[1,1,0] neg_lo:[0,0,1] neg_hi:[0,0,1]
	v_pk_fma_f32 v[4:5], v[4:5], v[0:1], v[8:9] op_sel:[0,0,1] op_sel_hi:[1,0,0]
	v_mov_b32_e32 v11, v5
	v_pk_mul_f32 v[4:5], v[6:7], v[2:3] op_sel:[0,1]
	s_delay_alu instid0(VALU_DEP_1) | instskip(SKIP_1) | instid1(VALU_DEP_1)
	v_pk_fma_f32 v[8:9], v[6:7], v[0:1], v[4:5] op_sel:[0,0,1] op_sel_hi:[1,1,0] neg_lo:[0,0,1] neg_hi:[0,0,1]
	v_pk_fma_f32 v[4:5], v[6:7], v[0:1], v[4:5] op_sel:[0,0,1] op_sel_hi:[1,0,0]
	v_mov_b32_e32 v9, v5
	ds_load_2addr_b64 v[4:7], v80 offset0:25 offset1:26
	v_pk_add_f32 v[88:89], v[88:89], v[10:11] neg_lo:[0,1] neg_hi:[0,1]
	v_pk_add_f32 v[112:113], v[112:113], v[8:9] neg_lo:[0,1] neg_hi:[0,1]
	s_wait_dscnt 0x0
	v_pk_mul_f32 v[8:9], v[4:5], v[2:3] op_sel:[0,1]
	s_delay_alu instid0(VALU_DEP_1) | instskip(SKIP_2) | instid1(VALU_DEP_2)
	v_pk_fma_f32 v[10:11], v[4:5], v[0:1], v[8:9] op_sel:[0,0,1] op_sel_hi:[1,1,0] neg_lo:[0,0,1] neg_hi:[0,0,1]
	v_pk_fma_f32 v[4:5], v[4:5], v[0:1], v[8:9] op_sel:[0,0,1] op_sel_hi:[1,0,0]
	v_dual_mul_f32 v8, v7, v3 :: v_dual_mov_b32 v4, v7
	v_dual_mov_b32 v11, v5 :: v_dual_mov_b32 v5, v6
	s_delay_alu instid0(VALU_DEP_2) | instskip(SKIP_1) | instid1(VALU_DEP_3)
	v_pk_fma_f32 v[8:9], v[6:7], v[92:93], v[8:9] op_sel_hi:[1,1,0] neg_lo:[0,0,1] neg_hi:[0,0,1]
	v_mul_f32_e32 v6, v7, v0
	v_pk_add_f32 v[108:109], v[108:109], v[10:11] neg_lo:[0,1] neg_hi:[0,1]
	s_delay_alu instid0(VALU_DEP_2) | instskip(NEXT) | instid1(VALU_DEP_1)
	v_pk_fma_f32 v[4:5], v[4:5], v[92:93], v[6:7] op_sel_hi:[1,1,0]
	v_mov_b32_e32 v9, v5
	ds_load_2addr_b64 v[4:7], v80 offset0:27 offset1:28
	v_pk_add_f32 v[110:111], v[110:111], v[8:9] neg_lo:[0,1] neg_hi:[0,1]
	s_wait_dscnt 0x0
	v_pk_mul_f32 v[8:9], v[4:5], v[2:3] op_sel:[0,1]
	s_delay_alu instid0(VALU_DEP_1) | instskip(SKIP_1) | instid1(VALU_DEP_1)
	v_pk_fma_f32 v[10:11], v[4:5], v[0:1], v[8:9] op_sel:[0,0,1] op_sel_hi:[1,1,0] neg_lo:[0,0,1] neg_hi:[0,0,1]
	v_pk_fma_f32 v[4:5], v[4:5], v[0:1], v[8:9] op_sel:[0,0,1] op_sel_hi:[1,0,0]
	v_mov_b32_e32 v11, v5
	v_pk_mul_f32 v[4:5], v[6:7], v[2:3] op_sel:[0,1]
	s_delay_alu instid0(VALU_DEP_1) | instskip(SKIP_1) | instid1(VALU_DEP_1)
	v_pk_fma_f32 v[8:9], v[6:7], v[0:1], v[4:5] op_sel:[0,0,1] op_sel_hi:[1,1,0] neg_lo:[0,0,1] neg_hi:[0,0,1]
	v_pk_fma_f32 v[4:5], v[6:7], v[0:1], v[4:5] op_sel:[0,0,1] op_sel_hi:[1,0,0]
	v_mov_b32_e32 v9, v5
	ds_load_2addr_b64 v[4:7], v80 offset0:29 offset1:30
	v_pk_add_f32 v[106:107], v[106:107], v[10:11] neg_lo:[0,1] neg_hi:[0,1]
	v_pk_add_f32 v[128:129], v[128:129], v[8:9] neg_lo:[0,1] neg_hi:[0,1]
	s_wait_dscnt 0x0
	v_pk_mul_f32 v[8:9], v[4:5], v[2:3] op_sel:[0,1]
	s_delay_alu instid0(VALU_DEP_1) | instskip(SKIP_1) | instid1(VALU_DEP_1)
	v_pk_fma_f32 v[10:11], v[4:5], v[0:1], v[8:9] op_sel:[0,0,1] op_sel_hi:[1,1,0] neg_lo:[0,0,1] neg_hi:[0,0,1]
	v_pk_fma_f32 v[4:5], v[4:5], v[0:1], v[8:9] op_sel:[0,0,1] op_sel_hi:[1,0,0]
	v_mov_b32_e32 v11, v5
	v_pk_mul_f32 v[4:5], v[6:7], v[2:3] op_sel:[0,1]
	s_delay_alu instid0(VALU_DEP_1) | instskip(SKIP_1) | instid1(VALU_DEP_1)
	v_pk_fma_f32 v[8:9], v[6:7], v[0:1], v[4:5] op_sel:[0,0,1] op_sel_hi:[1,1,0] neg_lo:[0,0,1] neg_hi:[0,0,1]
	v_pk_fma_f32 v[4:5], v[6:7], v[0:1], v[4:5] op_sel:[0,0,1] op_sel_hi:[1,0,0]
	v_mov_b32_e32 v9, v5
	ds_load_2addr_b64 v[4:7], v80 offset0:31 offset1:32
	v_pk_add_f32 v[124:125], v[124:125], v[10:11] neg_lo:[0,1] neg_hi:[0,1]
	v_pk_add_f32 v[126:127], v[126:127], v[8:9] neg_lo:[0,1] neg_hi:[0,1]
	s_wait_dscnt 0x0
	v_dual_mul_f32 v8, v5, v3 :: v_dual_mul_f32 v10, v5, v0
	s_delay_alu instid0(VALU_DEP_1) | instskip(NEXT) | instid1(VALU_DEP_2)
	v_pk_fma_f32 v[8:9], v[4:5], v[92:93], v[8:9] op_sel_hi:[1,1,0] neg_lo:[0,0,1] neg_hi:[0,0,1]
	v_pk_fma_f32 v[4:5], v[4:5], v[92:93], v[10:11] op_sel:[1,0,0] op_sel_hi:[0,1,0]
	s_delay_alu instid0(VALU_DEP_1) | instskip(SKIP_1) | instid1(VALU_DEP_2)
	v_mov_b32_e32 v9, v5
	v_pk_mul_f32 v[4:5], v[6:7], v[2:3] op_sel:[0,1]
	v_pk_add_f32 v[122:123], v[122:123], v[8:9] neg_lo:[0,1] neg_hi:[0,1]
	s_delay_alu instid0(VALU_DEP_2) | instskip(SKIP_1) | instid1(VALU_DEP_1)
	v_pk_fma_f32 v[8:9], v[6:7], v[0:1], v[4:5] op_sel:[0,0,1] op_sel_hi:[1,1,0] neg_lo:[0,0,1] neg_hi:[0,0,1]
	v_pk_fma_f32 v[4:5], v[6:7], v[0:1], v[4:5] op_sel:[0,0,1] op_sel_hi:[1,0,0]
	v_mov_b32_e32 v9, v5
	ds_load_2addr_b64 v[4:7], v80 offset0:33 offset1:34
	v_pk_add_f32 v[144:145], v[144:145], v[8:9] neg_lo:[0,1] neg_hi:[0,1]
	s_wait_dscnt 0x0
	v_pk_mul_f32 v[8:9], v[4:5], v[2:3] op_sel:[0,1]
	s_delay_alu instid0(VALU_DEP_1) | instskip(SKIP_1) | instid1(VALU_DEP_1)
	v_pk_fma_f32 v[10:11], v[4:5], v[0:1], v[8:9] op_sel:[0,0,1] op_sel_hi:[1,1,0] neg_lo:[0,0,1] neg_hi:[0,0,1]
	v_pk_fma_f32 v[4:5], v[4:5], v[0:1], v[8:9] op_sel:[0,0,1] op_sel_hi:[1,0,0]
	v_mov_b32_e32 v11, v5
	v_pk_mul_f32 v[4:5], v[6:7], v[2:3] op_sel:[0,1]
	s_delay_alu instid0(VALU_DEP_2) | instskip(NEXT) | instid1(VALU_DEP_2)
	v_pk_add_f32 v[140:141], v[140:141], v[10:11] neg_lo:[0,1] neg_hi:[0,1]
	v_pk_fma_f32 v[8:9], v[6:7], v[0:1], v[4:5] op_sel:[0,0,1] op_sel_hi:[1,1,0] neg_lo:[0,0,1] neg_hi:[0,0,1]
	v_pk_fma_f32 v[4:5], v[6:7], v[0:1], v[4:5] op_sel:[0,0,1] op_sel_hi:[1,0,0]
	s_delay_alu instid0(VALU_DEP_1) | instskip(SKIP_4) | instid1(VALU_DEP_1)
	v_mov_b32_e32 v9, v5
	ds_load_2addr_b64 v[4:7], v80 offset0:35 offset1:36
	v_pk_add_f32 v[142:143], v[142:143], v[8:9] neg_lo:[0,1] neg_hi:[0,1]
	s_wait_dscnt 0x0
	v_pk_mul_f32 v[8:9], v[4:5], v[2:3] op_sel:[0,1]
	v_pk_fma_f32 v[10:11], v[4:5], v[0:1], v[8:9] op_sel:[0,0,1] op_sel_hi:[1,1,0] neg_lo:[0,0,1] neg_hi:[0,0,1]
	v_pk_fma_f32 v[4:5], v[4:5], v[0:1], v[8:9] op_sel:[0,0,1] op_sel_hi:[1,0,0]
	v_dual_mul_f32 v8, v7, v3 :: v_dual_mov_b32 v4, v7
	s_delay_alu instid0(VALU_DEP_2) | instskip(NEXT) | instid1(VALU_DEP_2)
	v_dual_mov_b32 v11, v5 :: v_dual_mov_b32 v5, v6
	v_pk_fma_f32 v[8:9], v[6:7], v[92:93], v[8:9] op_sel_hi:[1,1,0] neg_lo:[0,0,1] neg_hi:[0,0,1]
	v_mul_f32_e32 v6, v7, v0
	s_delay_alu instid0(VALU_DEP_3) | instskip(NEXT) | instid1(VALU_DEP_2)
	v_pk_add_f32 v[138:139], v[138:139], v[10:11] neg_lo:[0,1] neg_hi:[0,1]
	v_pk_fma_f32 v[4:5], v[4:5], v[92:93], v[6:7] op_sel_hi:[1,1,0]
	s_delay_alu instid0(VALU_DEP_1) | instskip(SKIP_4) | instid1(VALU_DEP_1)
	v_mov_b32_e32 v9, v5
	ds_load_2addr_b64 v[4:7], v80 offset0:37 offset1:38
	v_pk_add_f32 v[166:167], v[166:167], v[8:9] neg_lo:[0,1] neg_hi:[0,1]
	s_wait_dscnt 0x0
	v_pk_mul_f32 v[8:9], v[4:5], v[2:3] op_sel:[0,1]
	v_pk_fma_f32 v[10:11], v[4:5], v[0:1], v[8:9] op_sel:[0,0,1] op_sel_hi:[1,1,0] neg_lo:[0,0,1] neg_hi:[0,0,1]
	v_pk_fma_f32 v[4:5], v[4:5], v[0:1], v[8:9] op_sel:[0,0,1] op_sel_hi:[1,0,0]
	s_delay_alu instid0(VALU_DEP_1) | instskip(SKIP_1) | instid1(VALU_DEP_1)
	v_mov_b32_e32 v11, v5
	v_pk_mul_f32 v[4:5], v[6:7], v[2:3] op_sel:[0,1]
	v_pk_fma_f32 v[8:9], v[6:7], v[0:1], v[4:5] op_sel:[0,0,1] op_sel_hi:[1,1,0] neg_lo:[0,0,1] neg_hi:[0,0,1]
	v_pk_fma_f32 v[4:5], v[6:7], v[0:1], v[4:5] op_sel:[0,0,1] op_sel_hi:[1,0,0]
	s_delay_alu instid0(VALU_DEP_1)
	v_mov_b32_e32 v9, v5
	ds_load_2addr_b64 v[4:7], v80 offset0:39 offset1:40
	v_pk_add_f32 v[162:163], v[162:163], v[10:11] neg_lo:[0,1] neg_hi:[0,1]
	v_pk_add_f32 v[164:165], v[164:165], v[8:9] neg_lo:[0,1] neg_hi:[0,1]
	s_wait_dscnt 0x0
	v_pk_mul_f32 v[8:9], v[4:5], v[2:3] op_sel:[0,1]
	s_delay_alu instid0(VALU_DEP_1) | instskip(SKIP_1) | instid1(VALU_DEP_1)
	v_pk_fma_f32 v[10:11], v[4:5], v[0:1], v[8:9] op_sel:[0,0,1] op_sel_hi:[1,1,0] neg_lo:[0,0,1] neg_hi:[0,0,1]
	v_pk_fma_f32 v[4:5], v[4:5], v[0:1], v[8:9] op_sel:[0,0,1] op_sel_hi:[1,0,0]
	v_mov_b32_e32 v11, v5
	v_pk_mul_f32 v[4:5], v[6:7], v[2:3] op_sel:[0,1]
	s_delay_alu instid0(VALU_DEP_1) | instskip(SKIP_1) | instid1(VALU_DEP_1)
	v_pk_fma_f32 v[8:9], v[6:7], v[0:1], v[4:5] op_sel:[0,0,1] op_sel_hi:[1,1,0] neg_lo:[0,0,1] neg_hi:[0,0,1]
	v_pk_fma_f32 v[4:5], v[6:7], v[0:1], v[4:5] op_sel:[0,0,1] op_sel_hi:[1,0,0]
	v_mov_b32_e32 v9, v5
	ds_load_2addr_b64 v[4:7], v80 offset0:41 offset1:42
	v_pk_add_f32 v[160:161], v[160:161], v[10:11] neg_lo:[0,1] neg_hi:[0,1]
	v_pk_add_f32 v[192:193], v[192:193], v[8:9] neg_lo:[0,1] neg_hi:[0,1]
	s_wait_dscnt 0x0
	v_dual_mul_f32 v8, v5, v3 :: v_dual_mul_f32 v10, v5, v0
	s_delay_alu instid0(VALU_DEP_1) | instskip(NEXT) | instid1(VALU_DEP_2)
	v_pk_fma_f32 v[8:9], v[4:5], v[92:93], v[8:9] op_sel_hi:[1,1,0] neg_lo:[0,0,1] neg_hi:[0,0,1]
	v_pk_fma_f32 v[4:5], v[4:5], v[92:93], v[10:11] op_sel:[1,0,0] op_sel_hi:[0,1,0]
	s_delay_alu instid0(VALU_DEP_1) | instskip(SKIP_1) | instid1(VALU_DEP_2)
	v_mov_b32_e32 v9, v5
	v_pk_mul_f32 v[4:5], v[6:7], v[2:3] op_sel:[0,1]
	v_pk_add_f32 v[184:185], v[184:185], v[8:9] neg_lo:[0,1] neg_hi:[0,1]
	s_delay_alu instid0(VALU_DEP_2) | instskip(SKIP_1) | instid1(VALU_DEP_1)
	v_pk_fma_f32 v[8:9], v[6:7], v[0:1], v[4:5] op_sel:[0,0,1] op_sel_hi:[1,1,0] neg_lo:[0,0,1] neg_hi:[0,0,1]
	v_pk_fma_f32 v[4:5], v[6:7], v[0:1], v[4:5] op_sel:[0,0,1] op_sel_hi:[1,0,0]
	v_mov_b32_e32 v9, v5
	ds_load_2addr_b64 v[4:7], v80 offset0:43 offset1:44
	v_pk_add_f32 v[190:191], v[190:191], v[8:9] neg_lo:[0,1] neg_hi:[0,1]
	s_wait_dscnt 0x0
	v_pk_mul_f32 v[8:9], v[4:5], v[2:3] op_sel:[0,1]
	s_delay_alu instid0(VALU_DEP_1) | instskip(SKIP_1) | instid1(VALU_DEP_1)
	v_pk_fma_f32 v[10:11], v[4:5], v[0:1], v[8:9] op_sel:[0,0,1] op_sel_hi:[1,1,0] neg_lo:[0,0,1] neg_hi:[0,0,1]
	v_pk_fma_f32 v[4:5], v[4:5], v[0:1], v[8:9] op_sel:[0,0,1] op_sel_hi:[1,0,0]
	v_mov_b32_e32 v11, v5
	v_pk_mul_f32 v[4:5], v[6:7], v[2:3] op_sel:[0,1]
	s_delay_alu instid0(VALU_DEP_2) | instskip(NEXT) | instid1(VALU_DEP_2)
	v_pk_add_f32 v[182:183], v[182:183], v[10:11] neg_lo:[0,1] neg_hi:[0,1]
	v_pk_fma_f32 v[8:9], v[6:7], v[0:1], v[4:5] op_sel:[0,0,1] op_sel_hi:[1,1,0] neg_lo:[0,0,1] neg_hi:[0,0,1]
	v_pk_fma_f32 v[4:5], v[6:7], v[0:1], v[4:5] op_sel:[0,0,1] op_sel_hi:[1,0,0]
	s_delay_alu instid0(VALU_DEP_1) | instskip(SKIP_4) | instid1(VALU_DEP_1)
	v_mov_b32_e32 v9, v5
	ds_load_2addr_b64 v[4:7], v80 offset0:45 offset1:46
	v_pk_add_f32 v[188:189], v[188:189], v[8:9] neg_lo:[0,1] neg_hi:[0,1]
	s_wait_dscnt 0x0
	v_pk_mul_f32 v[8:9], v[4:5], v[2:3] op_sel:[0,1]
	v_pk_fma_f32 v[10:11], v[4:5], v[0:1], v[8:9] op_sel:[0,0,1] op_sel_hi:[1,1,0] neg_lo:[0,0,1] neg_hi:[0,0,1]
	v_pk_fma_f32 v[4:5], v[4:5], v[0:1], v[8:9] op_sel:[0,0,1] op_sel_hi:[1,0,0]
	v_dual_mul_f32 v8, v7, v3 :: v_dual_mov_b32 v4, v7
	s_delay_alu instid0(VALU_DEP_2) | instskip(NEXT) | instid1(VALU_DEP_2)
	v_dual_mov_b32 v11, v5 :: v_dual_mov_b32 v5, v6
	v_pk_fma_f32 v[8:9], v[6:7], v[92:93], v[8:9] op_sel_hi:[1,1,0] neg_lo:[0,0,1] neg_hi:[0,0,1]
	v_mul_f32_e32 v6, v7, v0
	s_delay_alu instid0(VALU_DEP_3) | instskip(NEXT) | instid1(VALU_DEP_2)
	v_pk_add_f32 v[180:181], v[180:181], v[10:11] neg_lo:[0,1] neg_hi:[0,1]
	v_pk_fma_f32 v[4:5], v[4:5], v[92:93], v[6:7] op_sel_hi:[1,1,0]
	s_delay_alu instid0(VALU_DEP_1)
	v_mov_b32_e32 v9, v5
	ds_load_2addr_b64 v[4:7], v80 offset0:47 offset1:48
	v_pk_add_f32 v[186:187], v[186:187], v[8:9] neg_lo:[0,1] neg_hi:[0,1]
	s_wait_dscnt 0x0
	v_pk_mul_f32 v[8:9], v[4:5], v[2:3] op_sel:[0,1]
	v_pk_mul_f32 v[2:3], v[6:7], v[2:3] op_sel:[0,1]
	s_delay_alu instid0(VALU_DEP_2) | instskip(SKIP_1) | instid1(VALU_DEP_1)
	v_pk_fma_f32 v[10:11], v[4:5], v[0:1], v[8:9] op_sel:[0,0,1] op_sel_hi:[1,1,0] neg_lo:[0,0,1] neg_hi:[0,0,1]
	v_pk_fma_f32 v[4:5], v[4:5], v[0:1], v[8:9] op_sel:[0,0,1] op_sel_hi:[1,0,0]
	v_mov_b32_e32 v11, v5
	s_delay_alu instid0(VALU_DEP_4) | instskip(SKIP_1) | instid1(VALU_DEP_1)
	v_pk_fma_f32 v[4:5], v[6:7], v[0:1], v[2:3] op_sel:[0,0,1] op_sel_hi:[1,1,0] neg_lo:[0,0,1] neg_hi:[0,0,1]
	v_pk_fma_f32 v[0:1], v[6:7], v[0:1], v[2:3] op_sel:[0,0,1] op_sel_hi:[1,0,0]
	v_mov_b32_e32 v5, v1
	s_delay_alu instid0(VALU_DEP_4) | instskip(NEXT) | instid1(VALU_DEP_2)
	v_pk_add_f32 v[194:195], v[194:195], v[10:11] neg_lo:[0,1] neg_hi:[0,1]
	v_pk_add_f32 v[196:197], v[196:197], v[4:5] neg_lo:[0,1] neg_hi:[0,1]
.LBB97_208:
	s_wait_xcnt 0x0
	s_or_b32 exec_lo, exec_lo, s1
	s_delay_alu instid0(SALU_CYCLE_1)
	s_mov_b32 s2, exec_lo
	s_wait_storecnt 0x0
	s_barrier_signal -1
	s_barrier_wait -1
	v_cmpx_eq_u32_e32 23, v78
	s_cbranch_execz .LBB97_215
; %bb.209:
	v_dual_mov_b32 v0, v112 :: v_dual_mov_b32 v1, v113
	v_dual_mov_b32 v2, v108 :: v_dual_mov_b32 v3, v109
	ds_store_b64 v79, v[88:89]
	ds_store_2addr_b64 v80, v[0:1], v[2:3] offset0:24 offset1:25
	v_dual_mov_b32 v0, v110 :: v_dual_mov_b32 v1, v111
	v_dual_mov_b32 v2, v106 :: v_dual_mov_b32 v3, v107
	ds_store_2addr_b64 v80, v[0:1], v[2:3] offset0:26 offset1:27
	v_dual_mov_b32 v0, v128 :: v_dual_mov_b32 v1, v129
	v_dual_mov_b32 v2, v124 :: v_dual_mov_b32 v3, v125
	;; [unrolled: 3-line block ×11, first 2 shown]
	ds_store_2addr_b64 v80, v[0:1], v[2:3] offset0:46 offset1:47
	ds_store_b64 v80, v[196:197] offset:384
	ds_load_b64 v[0:1], v79
	s_wait_dscnt 0x0
	v_cmp_neq_f32_e32 vcc_lo, 0, v0
	v_cmp_neq_f32_e64 s1, 0, v1
	s_or_b32 s1, vcc_lo, s1
	s_delay_alu instid0(SALU_CYCLE_1)
	s_and_b32 exec_lo, exec_lo, s1
	s_cbranch_execz .LBB97_215
; %bb.210:
	v_cmp_ngt_f32_e64 s1, |v0|, |v1|
                                        ; implicit-def: $vgpr2_vgpr3
	s_and_saveexec_b32 s4, s1
	s_delay_alu instid0(SALU_CYCLE_1)
	s_xor_b32 s1, exec_lo, s4
	s_cbranch_execz .LBB97_212
; %bb.211:
	v_div_scale_f32 v2, null, v1, v1, v0
	v_div_scale_f32 v5, vcc_lo, v0, v1, v0
	s_delay_alu instid0(VALU_DEP_2) | instskip(SKIP_1) | instid1(TRANS32_DEP_1)
	v_rcp_f32_e32 v3, v2
	v_nop
	v_fma_f32 v4, -v2, v3, 1.0
	s_delay_alu instid0(VALU_DEP_1) | instskip(NEXT) | instid1(VALU_DEP_1)
	v_fmac_f32_e32 v3, v4, v3
	v_mul_f32_e32 v4, v5, v3
	s_delay_alu instid0(VALU_DEP_1) | instskip(NEXT) | instid1(VALU_DEP_1)
	v_fma_f32 v6, -v2, v4, v5
	v_fmac_f32_e32 v4, v6, v3
	s_delay_alu instid0(VALU_DEP_1) | instskip(NEXT) | instid1(VALU_DEP_1)
	v_fma_f32 v2, -v2, v4, v5
	v_div_fmas_f32 v2, v2, v3, v4
	s_delay_alu instid0(VALU_DEP_1) | instskip(NEXT) | instid1(VALU_DEP_1)
	v_div_fixup_f32 v2, v2, v1, v0
	v_fmac_f32_e32 v1, v0, v2
	s_delay_alu instid0(VALU_DEP_1) | instskip(SKIP_1) | instid1(VALU_DEP_2)
	v_div_scale_f32 v0, null, v1, v1, 1.0
	v_div_scale_f32 v5, vcc_lo, 1.0, v1, 1.0
	v_rcp_f32_e32 v3, v0
	v_nop
	s_delay_alu instid0(TRANS32_DEP_1) | instskip(NEXT) | instid1(VALU_DEP_1)
	v_fma_f32 v4, -v0, v3, 1.0
	v_fmac_f32_e32 v3, v4, v3
	s_delay_alu instid0(VALU_DEP_1) | instskip(NEXT) | instid1(VALU_DEP_1)
	v_mul_f32_e32 v4, v5, v3
	v_fma_f32 v6, -v0, v4, v5
	s_delay_alu instid0(VALU_DEP_1) | instskip(NEXT) | instid1(VALU_DEP_1)
	v_fmac_f32_e32 v4, v6, v3
	v_fma_f32 v0, -v0, v4, v5
	s_delay_alu instid0(VALU_DEP_1) | instskip(NEXT) | instid1(VALU_DEP_1)
	v_div_fmas_f32 v0, v0, v3, v4
	v_div_fixup_f32 v0, v0, v1, 1.0
	s_delay_alu instid0(VALU_DEP_1)
	v_mul_f32_e32 v2, v2, v0
	v_xor_b32_e32 v3, 0x80000000, v0
                                        ; implicit-def: $vgpr0_vgpr1
.LBB97_212:
	s_and_not1_saveexec_b32 s1, s1
	s_cbranch_execz .LBB97_214
; %bb.213:
	v_div_scale_f32 v2, null, v0, v0, v1
	v_div_scale_f32 v5, vcc_lo, v1, v0, v1
	s_delay_alu instid0(VALU_DEP_2) | instskip(SKIP_1) | instid1(TRANS32_DEP_1)
	v_rcp_f32_e32 v3, v2
	v_nop
	v_fma_f32 v4, -v2, v3, 1.0
	s_delay_alu instid0(VALU_DEP_1) | instskip(NEXT) | instid1(VALU_DEP_1)
	v_fmac_f32_e32 v3, v4, v3
	v_mul_f32_e32 v4, v5, v3
	s_delay_alu instid0(VALU_DEP_1) | instskip(NEXT) | instid1(VALU_DEP_1)
	v_fma_f32 v6, -v2, v4, v5
	v_fmac_f32_e32 v4, v6, v3
	s_delay_alu instid0(VALU_DEP_1) | instskip(NEXT) | instid1(VALU_DEP_1)
	v_fma_f32 v2, -v2, v4, v5
	v_div_fmas_f32 v2, v2, v3, v4
	s_delay_alu instid0(VALU_DEP_1) | instskip(NEXT) | instid1(VALU_DEP_1)
	v_div_fixup_f32 v3, v2, v0, v1
	v_fmac_f32_e32 v0, v1, v3
	s_delay_alu instid0(VALU_DEP_1) | instskip(NEXT) | instid1(VALU_DEP_1)
	v_div_scale_f32 v1, null, v0, v0, 1.0
	v_rcp_f32_e32 v2, v1
	v_nop
	s_delay_alu instid0(TRANS32_DEP_1) | instskip(NEXT) | instid1(VALU_DEP_1)
	v_fma_f32 v4, -v1, v2, 1.0
	v_fmac_f32_e32 v2, v4, v2
	v_div_scale_f32 v4, vcc_lo, 1.0, v0, 1.0
	s_delay_alu instid0(VALU_DEP_1) | instskip(NEXT) | instid1(VALU_DEP_1)
	v_mul_f32_e32 v5, v4, v2
	v_fma_f32 v6, -v1, v5, v4
	s_delay_alu instid0(VALU_DEP_1) | instskip(NEXT) | instid1(VALU_DEP_1)
	v_fmac_f32_e32 v5, v6, v2
	v_fma_f32 v1, -v1, v5, v4
	s_delay_alu instid0(VALU_DEP_1) | instskip(NEXT) | instid1(VALU_DEP_1)
	v_div_fmas_f32 v1, v1, v2, v5
	v_div_fixup_f32 v2, v1, v0, 1.0
	s_delay_alu instid0(VALU_DEP_1)
	v_mul_f32_e64 v3, v3, -v2
.LBB97_214:
	s_or_b32 exec_lo, exec_lo, s1
	ds_store_b64 v79, v[2:3]
.LBB97_215:
	s_or_b32 exec_lo, exec_lo, s2
	s_wait_dscnt 0x0
	s_barrier_signal -1
	s_barrier_wait -1
	ds_load_b64 v[0:1], v79
	s_mov_b32 s1, exec_lo
	s_wait_dscnt 0x0
	scratch_store_b64 off, v[0:1], off offset:152 ; 8-byte Folded Spill
	s_wait_xcnt 0x0
	v_cmpx_lt_u32_e32 23, v78
	s_cbranch_execz .LBB97_217
; %bb.216:
	scratch_load_b64 v[4:5], off, off offset:152 ; 8-byte Folded Reload
	s_wait_loadcnt 0x0
	v_pk_mul_f32 v[2:3], v[4:5], v[88:89] op_sel:[1,1] op_sel_hi:[0,1]
	s_delay_alu instid0(VALU_DEP_1)
	v_pk_fma_f32 v[0:1], v[4:5], v[88:89], v[2:3] op_sel_hi:[1,0,1] neg_lo:[0,0,1] neg_hi:[0,0,1]
	v_pk_fma_f32 v[2:3], v[4:5], v[88:89], v[2:3] op_sel_hi:[1,0,1]
	ds_load_2addr_b64 v[4:7], v80 offset0:24 offset1:25
	v_dual_mov_b32 v88, v0 :: v_dual_mov_b32 v89, v3
	s_wait_dscnt 0x0
	v_pk_mul_f32 v[8:9], v[4:5], v[2:3] op_sel:[0,1]
	s_delay_alu instid0(VALU_DEP_1) | instskip(SKIP_1) | instid1(VALU_DEP_1)
	v_pk_fma_f32 v[10:11], v[4:5], v[0:1], v[8:9] op_sel:[0,0,1] op_sel_hi:[1,1,0] neg_lo:[0,0,1] neg_hi:[0,0,1]
	v_pk_fma_f32 v[4:5], v[4:5], v[0:1], v[8:9] op_sel:[0,0,1] op_sel_hi:[1,0,0]
	v_mov_b32_e32 v11, v5
	v_pk_mul_f32 v[4:5], v[6:7], v[2:3] op_sel:[0,1]
	s_delay_alu instid0(VALU_DEP_1) | instskip(SKIP_1) | instid1(VALU_DEP_1)
	v_pk_fma_f32 v[8:9], v[6:7], v[0:1], v[4:5] op_sel:[0,0,1] op_sel_hi:[1,1,0] neg_lo:[0,0,1] neg_hi:[0,0,1]
	v_pk_fma_f32 v[4:5], v[6:7], v[0:1], v[4:5] op_sel:[0,0,1] op_sel_hi:[1,0,0]
	v_mov_b32_e32 v9, v5
	ds_load_2addr_b64 v[4:7], v80 offset0:26 offset1:27
	v_pk_add_f32 v[112:113], v[112:113], v[10:11] neg_lo:[0,1] neg_hi:[0,1]
	v_pk_add_f32 v[108:109], v[108:109], v[8:9] neg_lo:[0,1] neg_hi:[0,1]
	s_wait_dscnt 0x0
	v_pk_mul_f32 v[8:9], v[4:5], v[2:3] op_sel:[0,1]
	s_delay_alu instid0(VALU_DEP_1) | instskip(SKIP_2) | instid1(VALU_DEP_2)
	v_pk_fma_f32 v[10:11], v[4:5], v[0:1], v[8:9] op_sel:[0,0,1] op_sel_hi:[1,1,0] neg_lo:[0,0,1] neg_hi:[0,0,1]
	v_pk_fma_f32 v[4:5], v[4:5], v[0:1], v[8:9] op_sel:[0,0,1] op_sel_hi:[1,0,0]
	v_dual_mul_f32 v8, v7, v3 :: v_dual_mov_b32 v4, v7
	v_dual_mov_b32 v11, v5 :: v_dual_mov_b32 v5, v6
	s_delay_alu instid0(VALU_DEP_2) | instskip(SKIP_1) | instid1(VALU_DEP_3)
	v_pk_fma_f32 v[8:9], v[6:7], v[88:89], v[8:9] op_sel_hi:[1,1,0] neg_lo:[0,0,1] neg_hi:[0,0,1]
	v_mul_f32_e32 v6, v7, v0
	v_pk_add_f32 v[110:111], v[110:111], v[10:11] neg_lo:[0,1] neg_hi:[0,1]
	s_delay_alu instid0(VALU_DEP_2) | instskip(NEXT) | instid1(VALU_DEP_1)
	v_pk_fma_f32 v[4:5], v[4:5], v[88:89], v[6:7] op_sel_hi:[1,1,0]
	v_mov_b32_e32 v9, v5
	ds_load_2addr_b64 v[4:7], v80 offset0:28 offset1:29
	v_pk_add_f32 v[106:107], v[106:107], v[8:9] neg_lo:[0,1] neg_hi:[0,1]
	s_wait_dscnt 0x0
	v_pk_mul_f32 v[8:9], v[4:5], v[2:3] op_sel:[0,1]
	s_delay_alu instid0(VALU_DEP_1) | instskip(SKIP_1) | instid1(VALU_DEP_1)
	v_pk_fma_f32 v[10:11], v[4:5], v[0:1], v[8:9] op_sel:[0,0,1] op_sel_hi:[1,1,0] neg_lo:[0,0,1] neg_hi:[0,0,1]
	v_pk_fma_f32 v[4:5], v[4:5], v[0:1], v[8:9] op_sel:[0,0,1] op_sel_hi:[1,0,0]
	v_mov_b32_e32 v11, v5
	v_pk_mul_f32 v[4:5], v[6:7], v[2:3] op_sel:[0,1]
	s_delay_alu instid0(VALU_DEP_1) | instskip(SKIP_1) | instid1(VALU_DEP_1)
	v_pk_fma_f32 v[8:9], v[6:7], v[0:1], v[4:5] op_sel:[0,0,1] op_sel_hi:[1,1,0] neg_lo:[0,0,1] neg_hi:[0,0,1]
	v_pk_fma_f32 v[4:5], v[6:7], v[0:1], v[4:5] op_sel:[0,0,1] op_sel_hi:[1,0,0]
	v_mov_b32_e32 v9, v5
	ds_load_2addr_b64 v[4:7], v80 offset0:30 offset1:31
	v_pk_add_f32 v[128:129], v[128:129], v[10:11] neg_lo:[0,1] neg_hi:[0,1]
	v_pk_add_f32 v[124:125], v[124:125], v[8:9] neg_lo:[0,1] neg_hi:[0,1]
	s_wait_dscnt 0x0
	v_pk_mul_f32 v[8:9], v[4:5], v[2:3] op_sel:[0,1]
	s_delay_alu instid0(VALU_DEP_1) | instskip(SKIP_1) | instid1(VALU_DEP_1)
	v_pk_fma_f32 v[10:11], v[4:5], v[0:1], v[8:9] op_sel:[0,0,1] op_sel_hi:[1,1,0] neg_lo:[0,0,1] neg_hi:[0,0,1]
	v_pk_fma_f32 v[4:5], v[4:5], v[0:1], v[8:9] op_sel:[0,0,1] op_sel_hi:[1,0,0]
	v_mov_b32_e32 v11, v5
	v_pk_mul_f32 v[4:5], v[6:7], v[2:3] op_sel:[0,1]
	s_delay_alu instid0(VALU_DEP_1) | instskip(SKIP_1) | instid1(VALU_DEP_1)
	v_pk_fma_f32 v[8:9], v[6:7], v[0:1], v[4:5] op_sel:[0,0,1] op_sel_hi:[1,1,0] neg_lo:[0,0,1] neg_hi:[0,0,1]
	v_pk_fma_f32 v[4:5], v[6:7], v[0:1], v[4:5] op_sel:[0,0,1] op_sel_hi:[1,0,0]
	v_mov_b32_e32 v9, v5
	ds_load_2addr_b64 v[4:7], v80 offset0:32 offset1:33
	v_pk_add_f32 v[126:127], v[126:127], v[10:11] neg_lo:[0,1] neg_hi:[0,1]
	v_pk_add_f32 v[122:123], v[122:123], v[8:9] neg_lo:[0,1] neg_hi:[0,1]
	s_wait_dscnt 0x0
	v_dual_mul_f32 v8, v5, v3 :: v_dual_mul_f32 v10, v5, v0
	s_delay_alu instid0(VALU_DEP_1) | instskip(NEXT) | instid1(VALU_DEP_2)
	v_pk_fma_f32 v[8:9], v[4:5], v[88:89], v[8:9] op_sel_hi:[1,1,0] neg_lo:[0,0,1] neg_hi:[0,0,1]
	v_pk_fma_f32 v[4:5], v[4:5], v[88:89], v[10:11] op_sel:[1,0,0] op_sel_hi:[0,1,0]
	s_delay_alu instid0(VALU_DEP_1) | instskip(SKIP_1) | instid1(VALU_DEP_2)
	v_mov_b32_e32 v9, v5
	v_pk_mul_f32 v[4:5], v[6:7], v[2:3] op_sel:[0,1]
	v_pk_add_f32 v[144:145], v[144:145], v[8:9] neg_lo:[0,1] neg_hi:[0,1]
	s_delay_alu instid0(VALU_DEP_2) | instskip(SKIP_1) | instid1(VALU_DEP_1)
	v_pk_fma_f32 v[8:9], v[6:7], v[0:1], v[4:5] op_sel:[0,0,1] op_sel_hi:[1,1,0] neg_lo:[0,0,1] neg_hi:[0,0,1]
	v_pk_fma_f32 v[4:5], v[6:7], v[0:1], v[4:5] op_sel:[0,0,1] op_sel_hi:[1,0,0]
	v_mov_b32_e32 v9, v5
	ds_load_2addr_b64 v[4:7], v80 offset0:34 offset1:35
	v_pk_add_f32 v[140:141], v[140:141], v[8:9] neg_lo:[0,1] neg_hi:[0,1]
	s_wait_dscnt 0x0
	v_pk_mul_f32 v[8:9], v[4:5], v[2:3] op_sel:[0,1]
	s_delay_alu instid0(VALU_DEP_1) | instskip(SKIP_1) | instid1(VALU_DEP_1)
	v_pk_fma_f32 v[10:11], v[4:5], v[0:1], v[8:9] op_sel:[0,0,1] op_sel_hi:[1,1,0] neg_lo:[0,0,1] neg_hi:[0,0,1]
	v_pk_fma_f32 v[4:5], v[4:5], v[0:1], v[8:9] op_sel:[0,0,1] op_sel_hi:[1,0,0]
	v_mov_b32_e32 v11, v5
	v_pk_mul_f32 v[4:5], v[6:7], v[2:3] op_sel:[0,1]
	s_delay_alu instid0(VALU_DEP_2) | instskip(NEXT) | instid1(VALU_DEP_2)
	v_pk_add_f32 v[142:143], v[142:143], v[10:11] neg_lo:[0,1] neg_hi:[0,1]
	v_pk_fma_f32 v[8:9], v[6:7], v[0:1], v[4:5] op_sel:[0,0,1] op_sel_hi:[1,1,0] neg_lo:[0,0,1] neg_hi:[0,0,1]
	v_pk_fma_f32 v[4:5], v[6:7], v[0:1], v[4:5] op_sel:[0,0,1] op_sel_hi:[1,0,0]
	s_delay_alu instid0(VALU_DEP_1) | instskip(SKIP_4) | instid1(VALU_DEP_1)
	v_mov_b32_e32 v9, v5
	ds_load_2addr_b64 v[4:7], v80 offset0:36 offset1:37
	v_pk_add_f32 v[138:139], v[138:139], v[8:9] neg_lo:[0,1] neg_hi:[0,1]
	s_wait_dscnt 0x0
	v_pk_mul_f32 v[8:9], v[4:5], v[2:3] op_sel:[0,1]
	v_pk_fma_f32 v[10:11], v[4:5], v[0:1], v[8:9] op_sel:[0,0,1] op_sel_hi:[1,1,0] neg_lo:[0,0,1] neg_hi:[0,0,1]
	v_pk_fma_f32 v[4:5], v[4:5], v[0:1], v[8:9] op_sel:[0,0,1] op_sel_hi:[1,0,0]
	v_dual_mul_f32 v8, v7, v3 :: v_dual_mov_b32 v4, v7
	s_delay_alu instid0(VALU_DEP_2) | instskip(NEXT) | instid1(VALU_DEP_2)
	v_dual_mov_b32 v11, v5 :: v_dual_mov_b32 v5, v6
	v_pk_fma_f32 v[8:9], v[6:7], v[88:89], v[8:9] op_sel_hi:[1,1,0] neg_lo:[0,0,1] neg_hi:[0,0,1]
	v_mul_f32_e32 v6, v7, v0
	s_delay_alu instid0(VALU_DEP_3) | instskip(NEXT) | instid1(VALU_DEP_2)
	v_pk_add_f32 v[166:167], v[166:167], v[10:11] neg_lo:[0,1] neg_hi:[0,1]
	v_pk_fma_f32 v[4:5], v[4:5], v[88:89], v[6:7] op_sel_hi:[1,1,0]
	s_delay_alu instid0(VALU_DEP_1) | instskip(SKIP_4) | instid1(VALU_DEP_1)
	v_mov_b32_e32 v9, v5
	ds_load_2addr_b64 v[4:7], v80 offset0:38 offset1:39
	v_pk_add_f32 v[162:163], v[162:163], v[8:9] neg_lo:[0,1] neg_hi:[0,1]
	s_wait_dscnt 0x0
	v_pk_mul_f32 v[8:9], v[4:5], v[2:3] op_sel:[0,1]
	v_pk_fma_f32 v[10:11], v[4:5], v[0:1], v[8:9] op_sel:[0,0,1] op_sel_hi:[1,1,0] neg_lo:[0,0,1] neg_hi:[0,0,1]
	v_pk_fma_f32 v[4:5], v[4:5], v[0:1], v[8:9] op_sel:[0,0,1] op_sel_hi:[1,0,0]
	s_delay_alu instid0(VALU_DEP_1) | instskip(SKIP_1) | instid1(VALU_DEP_1)
	v_mov_b32_e32 v11, v5
	v_pk_mul_f32 v[4:5], v[6:7], v[2:3] op_sel:[0,1]
	v_pk_fma_f32 v[8:9], v[6:7], v[0:1], v[4:5] op_sel:[0,0,1] op_sel_hi:[1,1,0] neg_lo:[0,0,1] neg_hi:[0,0,1]
	v_pk_fma_f32 v[4:5], v[6:7], v[0:1], v[4:5] op_sel:[0,0,1] op_sel_hi:[1,0,0]
	s_delay_alu instid0(VALU_DEP_1)
	v_mov_b32_e32 v9, v5
	ds_load_2addr_b64 v[4:7], v80 offset0:40 offset1:41
	v_pk_add_f32 v[164:165], v[164:165], v[10:11] neg_lo:[0,1] neg_hi:[0,1]
	v_pk_add_f32 v[160:161], v[160:161], v[8:9] neg_lo:[0,1] neg_hi:[0,1]
	s_wait_dscnt 0x0
	v_pk_mul_f32 v[8:9], v[4:5], v[2:3] op_sel:[0,1]
	s_delay_alu instid0(VALU_DEP_1) | instskip(SKIP_1) | instid1(VALU_DEP_1)
	v_pk_fma_f32 v[10:11], v[4:5], v[0:1], v[8:9] op_sel:[0,0,1] op_sel_hi:[1,1,0] neg_lo:[0,0,1] neg_hi:[0,0,1]
	v_pk_fma_f32 v[4:5], v[4:5], v[0:1], v[8:9] op_sel:[0,0,1] op_sel_hi:[1,0,0]
	v_mov_b32_e32 v11, v5
	v_pk_mul_f32 v[4:5], v[6:7], v[2:3] op_sel:[0,1]
	s_delay_alu instid0(VALU_DEP_1) | instskip(SKIP_1) | instid1(VALU_DEP_1)
	v_pk_fma_f32 v[8:9], v[6:7], v[0:1], v[4:5] op_sel:[0,0,1] op_sel_hi:[1,1,0] neg_lo:[0,0,1] neg_hi:[0,0,1]
	v_pk_fma_f32 v[4:5], v[6:7], v[0:1], v[4:5] op_sel:[0,0,1] op_sel_hi:[1,0,0]
	v_mov_b32_e32 v9, v5
	ds_load_2addr_b64 v[4:7], v80 offset0:42 offset1:43
	v_pk_add_f32 v[192:193], v[192:193], v[10:11] neg_lo:[0,1] neg_hi:[0,1]
	v_pk_add_f32 v[184:185], v[184:185], v[8:9] neg_lo:[0,1] neg_hi:[0,1]
	s_wait_dscnt 0x0
	v_dual_mul_f32 v8, v5, v3 :: v_dual_mul_f32 v10, v5, v0
	s_delay_alu instid0(VALU_DEP_1) | instskip(NEXT) | instid1(VALU_DEP_2)
	v_pk_fma_f32 v[8:9], v[4:5], v[88:89], v[8:9] op_sel_hi:[1,1,0] neg_lo:[0,0,1] neg_hi:[0,0,1]
	v_pk_fma_f32 v[4:5], v[4:5], v[88:89], v[10:11] op_sel:[1,0,0] op_sel_hi:[0,1,0]
	s_delay_alu instid0(VALU_DEP_1) | instskip(SKIP_1) | instid1(VALU_DEP_2)
	v_mov_b32_e32 v9, v5
	v_pk_mul_f32 v[4:5], v[6:7], v[2:3] op_sel:[0,1]
	v_pk_add_f32 v[190:191], v[190:191], v[8:9] neg_lo:[0,1] neg_hi:[0,1]
	s_delay_alu instid0(VALU_DEP_2) | instskip(SKIP_1) | instid1(VALU_DEP_1)
	v_pk_fma_f32 v[8:9], v[6:7], v[0:1], v[4:5] op_sel:[0,0,1] op_sel_hi:[1,1,0] neg_lo:[0,0,1] neg_hi:[0,0,1]
	v_pk_fma_f32 v[4:5], v[6:7], v[0:1], v[4:5] op_sel:[0,0,1] op_sel_hi:[1,0,0]
	v_mov_b32_e32 v9, v5
	ds_load_2addr_b64 v[4:7], v80 offset0:44 offset1:45
	v_pk_add_f32 v[182:183], v[182:183], v[8:9] neg_lo:[0,1] neg_hi:[0,1]
	s_wait_dscnt 0x0
	v_pk_mul_f32 v[8:9], v[4:5], v[2:3] op_sel:[0,1]
	s_delay_alu instid0(VALU_DEP_1) | instskip(SKIP_1) | instid1(VALU_DEP_1)
	v_pk_fma_f32 v[10:11], v[4:5], v[0:1], v[8:9] op_sel:[0,0,1] op_sel_hi:[1,1,0] neg_lo:[0,0,1] neg_hi:[0,0,1]
	v_pk_fma_f32 v[4:5], v[4:5], v[0:1], v[8:9] op_sel:[0,0,1] op_sel_hi:[1,0,0]
	v_mov_b32_e32 v11, v5
	v_pk_mul_f32 v[4:5], v[6:7], v[2:3] op_sel:[0,1]
	s_delay_alu instid0(VALU_DEP_2) | instskip(NEXT) | instid1(VALU_DEP_2)
	v_pk_add_f32 v[188:189], v[188:189], v[10:11] neg_lo:[0,1] neg_hi:[0,1]
	v_pk_fma_f32 v[8:9], v[6:7], v[0:1], v[4:5] op_sel:[0,0,1] op_sel_hi:[1,1,0] neg_lo:[0,0,1] neg_hi:[0,0,1]
	v_pk_fma_f32 v[4:5], v[6:7], v[0:1], v[4:5] op_sel:[0,0,1] op_sel_hi:[1,0,0]
	s_delay_alu instid0(VALU_DEP_1) | instskip(SKIP_4) | instid1(VALU_DEP_1)
	v_mov_b32_e32 v9, v5
	ds_load_2addr_b64 v[4:7], v80 offset0:46 offset1:47
	v_pk_add_f32 v[180:181], v[180:181], v[8:9] neg_lo:[0,1] neg_hi:[0,1]
	s_wait_dscnt 0x0
	v_pk_mul_f32 v[8:9], v[4:5], v[2:3] op_sel:[0,1]
	v_pk_fma_f32 v[10:11], v[4:5], v[0:1], v[8:9] op_sel:[0,0,1] op_sel_hi:[1,1,0] neg_lo:[0,0,1] neg_hi:[0,0,1]
	v_pk_fma_f32 v[4:5], v[4:5], v[0:1], v[8:9] op_sel:[0,0,1] op_sel_hi:[1,0,0]
	v_dual_mul_f32 v8, v7, v3 :: v_dual_mov_b32 v4, v7
	s_delay_alu instid0(VALU_DEP_2) | instskip(NEXT) | instid1(VALU_DEP_2)
	v_dual_mov_b32 v11, v5 :: v_dual_mov_b32 v5, v6
	v_pk_fma_f32 v[8:9], v[6:7], v[88:89], v[8:9] op_sel_hi:[1,1,0] neg_lo:[0,0,1] neg_hi:[0,0,1]
	v_mul_f32_e32 v6, v7, v0
	s_delay_alu instid0(VALU_DEP_3) | instskip(NEXT) | instid1(VALU_DEP_2)
	v_pk_add_f32 v[186:187], v[186:187], v[10:11] neg_lo:[0,1] neg_hi:[0,1]
	v_pk_fma_f32 v[4:5], v[4:5], v[88:89], v[6:7] op_sel_hi:[1,1,0]
	s_delay_alu instid0(VALU_DEP_1) | instskip(SKIP_4) | instid1(VALU_DEP_1)
	v_mov_b32_e32 v9, v5
	ds_load_b64 v[4:5], v80 offset:384
	v_pk_add_f32 v[194:195], v[194:195], v[8:9] neg_lo:[0,1] neg_hi:[0,1]
	s_wait_dscnt 0x0
	v_pk_mul_f32 v[2:3], v[4:5], v[2:3] op_sel:[0,1]
	v_pk_fma_f32 v[6:7], v[4:5], v[0:1], v[2:3] op_sel:[0,0,1] op_sel_hi:[1,1,0] neg_lo:[0,0,1] neg_hi:[0,0,1]
	v_pk_fma_f32 v[0:1], v[4:5], v[0:1], v[2:3] op_sel:[0,0,1] op_sel_hi:[1,0,0]
	s_delay_alu instid0(VALU_DEP_1) | instskip(NEXT) | instid1(VALU_DEP_1)
	v_mov_b32_e32 v7, v1
	v_pk_add_f32 v[196:197], v[196:197], v[6:7] neg_lo:[0,1] neg_hi:[0,1]
.LBB97_217:
	s_wait_xcnt 0x0
	s_or_b32 exec_lo, exec_lo, s1
	s_delay_alu instid0(SALU_CYCLE_1)
	s_mov_b32 s2, exec_lo
	s_wait_storecnt 0x0
	s_barrier_signal -1
	s_barrier_wait -1
	v_cmpx_eq_u32_e32 24, v78
	s_cbranch_execz .LBB97_224
; %bb.218:
	ds_store_b64 v79, v[112:113]
	ds_store_2addr_b64 v80, v[108:109], v[110:111] offset0:25 offset1:26
	ds_store_2addr_b64 v80, v[106:107], v[128:129] offset0:27 offset1:28
	;; [unrolled: 1-line block ×12, first 2 shown]
	ds_load_b64 v[0:1], v79
	s_wait_dscnt 0x0
	v_cmp_neq_f32_e32 vcc_lo, 0, v0
	v_cmp_neq_f32_e64 s1, 0, v1
	s_or_b32 s1, vcc_lo, s1
	s_delay_alu instid0(SALU_CYCLE_1)
	s_and_b32 exec_lo, exec_lo, s1
	s_cbranch_execz .LBB97_224
; %bb.219:
	v_cmp_ngt_f32_e64 s1, |v0|, |v1|
                                        ; implicit-def: $vgpr2_vgpr3
	s_and_saveexec_b32 s4, s1
	s_delay_alu instid0(SALU_CYCLE_1)
	s_xor_b32 s1, exec_lo, s4
	s_cbranch_execz .LBB97_221
; %bb.220:
	v_div_scale_f32 v2, null, v1, v1, v0
	v_div_scale_f32 v5, vcc_lo, v0, v1, v0
	s_delay_alu instid0(VALU_DEP_2) | instskip(SKIP_1) | instid1(TRANS32_DEP_1)
	v_rcp_f32_e32 v3, v2
	v_nop
	v_fma_f32 v4, -v2, v3, 1.0
	s_delay_alu instid0(VALU_DEP_1) | instskip(NEXT) | instid1(VALU_DEP_1)
	v_fmac_f32_e32 v3, v4, v3
	v_mul_f32_e32 v4, v5, v3
	s_delay_alu instid0(VALU_DEP_1) | instskip(NEXT) | instid1(VALU_DEP_1)
	v_fma_f32 v6, -v2, v4, v5
	v_fmac_f32_e32 v4, v6, v3
	s_delay_alu instid0(VALU_DEP_1) | instskip(NEXT) | instid1(VALU_DEP_1)
	v_fma_f32 v2, -v2, v4, v5
	v_div_fmas_f32 v2, v2, v3, v4
	s_delay_alu instid0(VALU_DEP_1) | instskip(NEXT) | instid1(VALU_DEP_1)
	v_div_fixup_f32 v2, v2, v1, v0
	v_fmac_f32_e32 v1, v0, v2
	s_delay_alu instid0(VALU_DEP_1) | instskip(SKIP_1) | instid1(VALU_DEP_2)
	v_div_scale_f32 v0, null, v1, v1, 1.0
	v_div_scale_f32 v5, vcc_lo, 1.0, v1, 1.0
	v_rcp_f32_e32 v3, v0
	v_nop
	s_delay_alu instid0(TRANS32_DEP_1) | instskip(NEXT) | instid1(VALU_DEP_1)
	v_fma_f32 v4, -v0, v3, 1.0
	v_fmac_f32_e32 v3, v4, v3
	s_delay_alu instid0(VALU_DEP_1) | instskip(NEXT) | instid1(VALU_DEP_1)
	v_mul_f32_e32 v4, v5, v3
	v_fma_f32 v6, -v0, v4, v5
	s_delay_alu instid0(VALU_DEP_1) | instskip(NEXT) | instid1(VALU_DEP_1)
	v_fmac_f32_e32 v4, v6, v3
	v_fma_f32 v0, -v0, v4, v5
	s_delay_alu instid0(VALU_DEP_1) | instskip(NEXT) | instid1(VALU_DEP_1)
	v_div_fmas_f32 v0, v0, v3, v4
	v_div_fixup_f32 v0, v0, v1, 1.0
	s_delay_alu instid0(VALU_DEP_1)
	v_mul_f32_e32 v2, v2, v0
	v_xor_b32_e32 v3, 0x80000000, v0
                                        ; implicit-def: $vgpr0_vgpr1
.LBB97_221:
	s_and_not1_saveexec_b32 s1, s1
	s_cbranch_execz .LBB97_223
; %bb.222:
	v_div_scale_f32 v2, null, v0, v0, v1
	v_div_scale_f32 v5, vcc_lo, v1, v0, v1
	s_delay_alu instid0(VALU_DEP_2) | instskip(SKIP_1) | instid1(TRANS32_DEP_1)
	v_rcp_f32_e32 v3, v2
	v_nop
	v_fma_f32 v4, -v2, v3, 1.0
	s_delay_alu instid0(VALU_DEP_1) | instskip(NEXT) | instid1(VALU_DEP_1)
	v_fmac_f32_e32 v3, v4, v3
	v_mul_f32_e32 v4, v5, v3
	s_delay_alu instid0(VALU_DEP_1) | instskip(NEXT) | instid1(VALU_DEP_1)
	v_fma_f32 v6, -v2, v4, v5
	v_fmac_f32_e32 v4, v6, v3
	s_delay_alu instid0(VALU_DEP_1) | instskip(NEXT) | instid1(VALU_DEP_1)
	v_fma_f32 v2, -v2, v4, v5
	v_div_fmas_f32 v2, v2, v3, v4
	s_delay_alu instid0(VALU_DEP_1) | instskip(NEXT) | instid1(VALU_DEP_1)
	v_div_fixup_f32 v3, v2, v0, v1
	v_fmac_f32_e32 v0, v1, v3
	s_delay_alu instid0(VALU_DEP_1) | instskip(NEXT) | instid1(VALU_DEP_1)
	v_div_scale_f32 v1, null, v0, v0, 1.0
	v_rcp_f32_e32 v2, v1
	v_nop
	s_delay_alu instid0(TRANS32_DEP_1) | instskip(NEXT) | instid1(VALU_DEP_1)
	v_fma_f32 v4, -v1, v2, 1.0
	v_fmac_f32_e32 v2, v4, v2
	v_div_scale_f32 v4, vcc_lo, 1.0, v0, 1.0
	s_delay_alu instid0(VALU_DEP_1) | instskip(NEXT) | instid1(VALU_DEP_1)
	v_mul_f32_e32 v5, v4, v2
	v_fma_f32 v6, -v1, v5, v4
	s_delay_alu instid0(VALU_DEP_1) | instskip(NEXT) | instid1(VALU_DEP_1)
	v_fmac_f32_e32 v5, v6, v2
	v_fma_f32 v1, -v1, v5, v4
	s_delay_alu instid0(VALU_DEP_1) | instskip(NEXT) | instid1(VALU_DEP_1)
	v_div_fmas_f32 v1, v1, v2, v5
	v_div_fixup_f32 v2, v1, v0, 1.0
	s_delay_alu instid0(VALU_DEP_1)
	v_mul_f32_e64 v3, v3, -v2
.LBB97_223:
	s_or_b32 exec_lo, exec_lo, s1
	ds_store_b64 v79, v[2:3]
.LBB97_224:
	s_or_b32 exec_lo, exec_lo, s2
	s_wait_dscnt 0x0
	s_barrier_signal -1
	s_barrier_wait -1
	ds_load_b64 v[0:1], v79
	s_mov_b32 s1, exec_lo
	s_wait_dscnt 0x0
	scratch_store_b64 off, v[0:1], off offset:160 ; 8-byte Folded Spill
	s_wait_xcnt 0x0
	v_cmpx_lt_u32_e32 24, v78
	s_cbranch_execz .LBB97_226
; %bb.225:
	scratch_load_b64 v[4:5], off, off offset:160 ; 8-byte Folded Reload
	s_wait_loadcnt 0x0
	v_pk_mul_f32 v[2:3], v[4:5], v[112:113] op_sel:[1,1] op_sel_hi:[0,1]
	s_delay_alu instid0(VALU_DEP_1)
	v_pk_fma_f32 v[0:1], v[4:5], v[112:113], v[2:3] op_sel_hi:[1,0,1] neg_lo:[0,0,1] neg_hi:[0,0,1]
	v_pk_fma_f32 v[2:3], v[4:5], v[112:113], v[2:3] op_sel_hi:[1,0,1]
	ds_load_2addr_b64 v[4:7], v80 offset0:25 offset1:26
	v_dual_mov_b32 v112, v0 :: v_dual_mov_b32 v113, v3
	s_wait_dscnt 0x0
	v_pk_mul_f32 v[8:9], v[4:5], v[2:3] op_sel:[0,1]
	s_delay_alu instid0(VALU_DEP_1) | instskip(SKIP_1) | instid1(VALU_DEP_1)
	v_pk_fma_f32 v[10:11], v[4:5], v[0:1], v[8:9] op_sel:[0,0,1] op_sel_hi:[1,1,0] neg_lo:[0,0,1] neg_hi:[0,0,1]
	v_pk_fma_f32 v[4:5], v[4:5], v[0:1], v[8:9] op_sel:[0,0,1] op_sel_hi:[1,0,0]
	v_mov_b32_e32 v11, v5
	v_pk_mul_f32 v[4:5], v[6:7], v[2:3] op_sel:[0,1]
	s_delay_alu instid0(VALU_DEP_1) | instskip(SKIP_1) | instid1(VALU_DEP_1)
	v_pk_fma_f32 v[8:9], v[6:7], v[0:1], v[4:5] op_sel:[0,0,1] op_sel_hi:[1,1,0] neg_lo:[0,0,1] neg_hi:[0,0,1]
	v_pk_fma_f32 v[4:5], v[6:7], v[0:1], v[4:5] op_sel:[0,0,1] op_sel_hi:[1,0,0]
	v_mov_b32_e32 v9, v5
	ds_load_2addr_b64 v[4:7], v80 offset0:27 offset1:28
	v_pk_add_f32 v[108:109], v[108:109], v[10:11] neg_lo:[0,1] neg_hi:[0,1]
	v_pk_add_f32 v[110:111], v[110:111], v[8:9] neg_lo:[0,1] neg_hi:[0,1]
	s_wait_dscnt 0x0
	v_pk_mul_f32 v[8:9], v[4:5], v[2:3] op_sel:[0,1]
	s_delay_alu instid0(VALU_DEP_1) | instskip(SKIP_2) | instid1(VALU_DEP_2)
	v_pk_fma_f32 v[10:11], v[4:5], v[0:1], v[8:9] op_sel:[0,0,1] op_sel_hi:[1,1,0] neg_lo:[0,0,1] neg_hi:[0,0,1]
	v_pk_fma_f32 v[4:5], v[4:5], v[0:1], v[8:9] op_sel:[0,0,1] op_sel_hi:[1,0,0]
	v_dual_mul_f32 v8, v7, v3 :: v_dual_mov_b32 v4, v7
	v_dual_mov_b32 v11, v5 :: v_dual_mov_b32 v5, v6
	s_delay_alu instid0(VALU_DEP_2) | instskip(SKIP_1) | instid1(VALU_DEP_3)
	v_pk_fma_f32 v[8:9], v[6:7], v[112:113], v[8:9] op_sel_hi:[1,1,0] neg_lo:[0,0,1] neg_hi:[0,0,1]
	v_mul_f32_e32 v6, v7, v0
	v_pk_add_f32 v[106:107], v[106:107], v[10:11] neg_lo:[0,1] neg_hi:[0,1]
	s_delay_alu instid0(VALU_DEP_2) | instskip(NEXT) | instid1(VALU_DEP_1)
	v_pk_fma_f32 v[4:5], v[4:5], v[112:113], v[6:7] op_sel_hi:[1,1,0]
	v_mov_b32_e32 v9, v5
	ds_load_2addr_b64 v[4:7], v80 offset0:29 offset1:30
	v_pk_add_f32 v[128:129], v[128:129], v[8:9] neg_lo:[0,1] neg_hi:[0,1]
	s_wait_dscnt 0x0
	v_pk_mul_f32 v[8:9], v[4:5], v[2:3] op_sel:[0,1]
	s_delay_alu instid0(VALU_DEP_1) | instskip(SKIP_1) | instid1(VALU_DEP_1)
	v_pk_fma_f32 v[10:11], v[4:5], v[0:1], v[8:9] op_sel:[0,0,1] op_sel_hi:[1,1,0] neg_lo:[0,0,1] neg_hi:[0,0,1]
	v_pk_fma_f32 v[4:5], v[4:5], v[0:1], v[8:9] op_sel:[0,0,1] op_sel_hi:[1,0,0]
	v_mov_b32_e32 v11, v5
	v_pk_mul_f32 v[4:5], v[6:7], v[2:3] op_sel:[0,1]
	s_delay_alu instid0(VALU_DEP_1) | instskip(SKIP_1) | instid1(VALU_DEP_1)
	v_pk_fma_f32 v[8:9], v[6:7], v[0:1], v[4:5] op_sel:[0,0,1] op_sel_hi:[1,1,0] neg_lo:[0,0,1] neg_hi:[0,0,1]
	v_pk_fma_f32 v[4:5], v[6:7], v[0:1], v[4:5] op_sel:[0,0,1] op_sel_hi:[1,0,0]
	v_mov_b32_e32 v9, v5
	ds_load_2addr_b64 v[4:7], v80 offset0:31 offset1:32
	v_pk_add_f32 v[124:125], v[124:125], v[10:11] neg_lo:[0,1] neg_hi:[0,1]
	v_pk_add_f32 v[126:127], v[126:127], v[8:9] neg_lo:[0,1] neg_hi:[0,1]
	s_wait_dscnt 0x0
	v_pk_mul_f32 v[8:9], v[4:5], v[2:3] op_sel:[0,1]
	s_delay_alu instid0(VALU_DEP_1) | instskip(SKIP_1) | instid1(VALU_DEP_1)
	v_pk_fma_f32 v[10:11], v[4:5], v[0:1], v[8:9] op_sel:[0,0,1] op_sel_hi:[1,1,0] neg_lo:[0,0,1] neg_hi:[0,0,1]
	v_pk_fma_f32 v[4:5], v[4:5], v[0:1], v[8:9] op_sel:[0,0,1] op_sel_hi:[1,0,0]
	v_mov_b32_e32 v11, v5
	v_pk_mul_f32 v[4:5], v[6:7], v[2:3] op_sel:[0,1]
	s_delay_alu instid0(VALU_DEP_1) | instskip(SKIP_1) | instid1(VALU_DEP_1)
	v_pk_fma_f32 v[8:9], v[6:7], v[0:1], v[4:5] op_sel:[0,0,1] op_sel_hi:[1,1,0] neg_lo:[0,0,1] neg_hi:[0,0,1]
	v_pk_fma_f32 v[4:5], v[6:7], v[0:1], v[4:5] op_sel:[0,0,1] op_sel_hi:[1,0,0]
	v_mov_b32_e32 v9, v5
	ds_load_2addr_b64 v[4:7], v80 offset0:33 offset1:34
	v_pk_add_f32 v[122:123], v[122:123], v[10:11] neg_lo:[0,1] neg_hi:[0,1]
	v_pk_add_f32 v[144:145], v[144:145], v[8:9] neg_lo:[0,1] neg_hi:[0,1]
	s_wait_dscnt 0x0
	v_dual_mul_f32 v8, v5, v3 :: v_dual_mul_f32 v10, v5, v0
	s_delay_alu instid0(VALU_DEP_1) | instskip(NEXT) | instid1(VALU_DEP_2)
	v_pk_fma_f32 v[8:9], v[4:5], v[112:113], v[8:9] op_sel_hi:[1,1,0] neg_lo:[0,0,1] neg_hi:[0,0,1]
	v_pk_fma_f32 v[4:5], v[4:5], v[112:113], v[10:11] op_sel:[1,0,0] op_sel_hi:[0,1,0]
	s_delay_alu instid0(VALU_DEP_1) | instskip(SKIP_1) | instid1(VALU_DEP_2)
	v_mov_b32_e32 v9, v5
	v_pk_mul_f32 v[4:5], v[6:7], v[2:3] op_sel:[0,1]
	v_pk_add_f32 v[140:141], v[140:141], v[8:9] neg_lo:[0,1] neg_hi:[0,1]
	s_delay_alu instid0(VALU_DEP_2) | instskip(SKIP_1) | instid1(VALU_DEP_1)
	v_pk_fma_f32 v[8:9], v[6:7], v[0:1], v[4:5] op_sel:[0,0,1] op_sel_hi:[1,1,0] neg_lo:[0,0,1] neg_hi:[0,0,1]
	v_pk_fma_f32 v[4:5], v[6:7], v[0:1], v[4:5] op_sel:[0,0,1] op_sel_hi:[1,0,0]
	v_mov_b32_e32 v9, v5
	ds_load_2addr_b64 v[4:7], v80 offset0:35 offset1:36
	v_pk_add_f32 v[142:143], v[142:143], v[8:9] neg_lo:[0,1] neg_hi:[0,1]
	s_wait_dscnt 0x0
	v_pk_mul_f32 v[8:9], v[4:5], v[2:3] op_sel:[0,1]
	s_delay_alu instid0(VALU_DEP_1) | instskip(SKIP_1) | instid1(VALU_DEP_1)
	v_pk_fma_f32 v[10:11], v[4:5], v[0:1], v[8:9] op_sel:[0,0,1] op_sel_hi:[1,1,0] neg_lo:[0,0,1] neg_hi:[0,0,1]
	v_pk_fma_f32 v[4:5], v[4:5], v[0:1], v[8:9] op_sel:[0,0,1] op_sel_hi:[1,0,0]
	v_mov_b32_e32 v11, v5
	v_pk_mul_f32 v[4:5], v[6:7], v[2:3] op_sel:[0,1]
	s_delay_alu instid0(VALU_DEP_2) | instskip(NEXT) | instid1(VALU_DEP_2)
	v_pk_add_f32 v[138:139], v[138:139], v[10:11] neg_lo:[0,1] neg_hi:[0,1]
	v_pk_fma_f32 v[8:9], v[6:7], v[0:1], v[4:5] op_sel:[0,0,1] op_sel_hi:[1,1,0] neg_lo:[0,0,1] neg_hi:[0,0,1]
	v_pk_fma_f32 v[4:5], v[6:7], v[0:1], v[4:5] op_sel:[0,0,1] op_sel_hi:[1,0,0]
	s_delay_alu instid0(VALU_DEP_1) | instskip(SKIP_4) | instid1(VALU_DEP_1)
	v_mov_b32_e32 v9, v5
	ds_load_2addr_b64 v[4:7], v80 offset0:37 offset1:38
	v_pk_add_f32 v[166:167], v[166:167], v[8:9] neg_lo:[0,1] neg_hi:[0,1]
	s_wait_dscnt 0x0
	v_pk_mul_f32 v[8:9], v[4:5], v[2:3] op_sel:[0,1]
	v_pk_fma_f32 v[10:11], v[4:5], v[0:1], v[8:9] op_sel:[0,0,1] op_sel_hi:[1,1,0] neg_lo:[0,0,1] neg_hi:[0,0,1]
	v_pk_fma_f32 v[4:5], v[4:5], v[0:1], v[8:9] op_sel:[0,0,1] op_sel_hi:[1,0,0]
	v_dual_mul_f32 v8, v7, v3 :: v_dual_mov_b32 v4, v7
	s_delay_alu instid0(VALU_DEP_2) | instskip(NEXT) | instid1(VALU_DEP_2)
	v_dual_mov_b32 v11, v5 :: v_dual_mov_b32 v5, v6
	v_pk_fma_f32 v[8:9], v[6:7], v[112:113], v[8:9] op_sel_hi:[1,1,0] neg_lo:[0,0,1] neg_hi:[0,0,1]
	v_mul_f32_e32 v6, v7, v0
	s_delay_alu instid0(VALU_DEP_3) | instskip(NEXT) | instid1(VALU_DEP_2)
	v_pk_add_f32 v[162:163], v[162:163], v[10:11] neg_lo:[0,1] neg_hi:[0,1]
	v_pk_fma_f32 v[4:5], v[4:5], v[112:113], v[6:7] op_sel_hi:[1,1,0]
	s_delay_alu instid0(VALU_DEP_1) | instskip(SKIP_4) | instid1(VALU_DEP_1)
	v_mov_b32_e32 v9, v5
	ds_load_2addr_b64 v[4:7], v80 offset0:39 offset1:40
	v_pk_add_f32 v[164:165], v[164:165], v[8:9] neg_lo:[0,1] neg_hi:[0,1]
	s_wait_dscnt 0x0
	v_pk_mul_f32 v[8:9], v[4:5], v[2:3] op_sel:[0,1]
	v_pk_fma_f32 v[10:11], v[4:5], v[0:1], v[8:9] op_sel:[0,0,1] op_sel_hi:[1,1,0] neg_lo:[0,0,1] neg_hi:[0,0,1]
	v_pk_fma_f32 v[4:5], v[4:5], v[0:1], v[8:9] op_sel:[0,0,1] op_sel_hi:[1,0,0]
	s_delay_alu instid0(VALU_DEP_1) | instskip(SKIP_1) | instid1(VALU_DEP_1)
	v_mov_b32_e32 v11, v5
	v_pk_mul_f32 v[4:5], v[6:7], v[2:3] op_sel:[0,1]
	v_pk_fma_f32 v[8:9], v[6:7], v[0:1], v[4:5] op_sel:[0,0,1] op_sel_hi:[1,1,0] neg_lo:[0,0,1] neg_hi:[0,0,1]
	v_pk_fma_f32 v[4:5], v[6:7], v[0:1], v[4:5] op_sel:[0,0,1] op_sel_hi:[1,0,0]
	s_delay_alu instid0(VALU_DEP_1)
	v_mov_b32_e32 v9, v5
	ds_load_2addr_b64 v[4:7], v80 offset0:41 offset1:42
	v_pk_add_f32 v[160:161], v[160:161], v[10:11] neg_lo:[0,1] neg_hi:[0,1]
	v_pk_add_f32 v[192:193], v[192:193], v[8:9] neg_lo:[0,1] neg_hi:[0,1]
	s_wait_dscnt 0x0
	v_pk_mul_f32 v[8:9], v[4:5], v[2:3] op_sel:[0,1]
	s_delay_alu instid0(VALU_DEP_1) | instskip(SKIP_1) | instid1(VALU_DEP_1)
	v_pk_fma_f32 v[10:11], v[4:5], v[0:1], v[8:9] op_sel:[0,0,1] op_sel_hi:[1,1,0] neg_lo:[0,0,1] neg_hi:[0,0,1]
	v_pk_fma_f32 v[4:5], v[4:5], v[0:1], v[8:9] op_sel:[0,0,1] op_sel_hi:[1,0,0]
	v_mov_b32_e32 v11, v5
	v_pk_mul_f32 v[4:5], v[6:7], v[2:3] op_sel:[0,1]
	s_delay_alu instid0(VALU_DEP_1) | instskip(SKIP_1) | instid1(VALU_DEP_1)
	v_pk_fma_f32 v[8:9], v[6:7], v[0:1], v[4:5] op_sel:[0,0,1] op_sel_hi:[1,1,0] neg_lo:[0,0,1] neg_hi:[0,0,1]
	v_pk_fma_f32 v[4:5], v[6:7], v[0:1], v[4:5] op_sel:[0,0,1] op_sel_hi:[1,0,0]
	v_mov_b32_e32 v9, v5
	ds_load_2addr_b64 v[4:7], v80 offset0:43 offset1:44
	v_pk_add_f32 v[184:185], v[184:185], v[10:11] neg_lo:[0,1] neg_hi:[0,1]
	v_pk_add_f32 v[190:191], v[190:191], v[8:9] neg_lo:[0,1] neg_hi:[0,1]
	s_wait_dscnt 0x0
	v_dual_mul_f32 v8, v5, v3 :: v_dual_mul_f32 v10, v5, v0
	s_delay_alu instid0(VALU_DEP_1) | instskip(NEXT) | instid1(VALU_DEP_2)
	v_pk_fma_f32 v[8:9], v[4:5], v[112:113], v[8:9] op_sel_hi:[1,1,0] neg_lo:[0,0,1] neg_hi:[0,0,1]
	v_pk_fma_f32 v[4:5], v[4:5], v[112:113], v[10:11] op_sel:[1,0,0] op_sel_hi:[0,1,0]
	s_delay_alu instid0(VALU_DEP_1) | instskip(SKIP_1) | instid1(VALU_DEP_2)
	v_mov_b32_e32 v9, v5
	v_pk_mul_f32 v[4:5], v[6:7], v[2:3] op_sel:[0,1]
	v_pk_add_f32 v[182:183], v[182:183], v[8:9] neg_lo:[0,1] neg_hi:[0,1]
	s_delay_alu instid0(VALU_DEP_2) | instskip(SKIP_1) | instid1(VALU_DEP_1)
	v_pk_fma_f32 v[8:9], v[6:7], v[0:1], v[4:5] op_sel:[0,0,1] op_sel_hi:[1,1,0] neg_lo:[0,0,1] neg_hi:[0,0,1]
	v_pk_fma_f32 v[4:5], v[6:7], v[0:1], v[4:5] op_sel:[0,0,1] op_sel_hi:[1,0,0]
	v_mov_b32_e32 v9, v5
	ds_load_2addr_b64 v[4:7], v80 offset0:45 offset1:46
	v_pk_add_f32 v[188:189], v[188:189], v[8:9] neg_lo:[0,1] neg_hi:[0,1]
	s_wait_dscnt 0x0
	v_pk_mul_f32 v[8:9], v[4:5], v[2:3] op_sel:[0,1]
	s_delay_alu instid0(VALU_DEP_1) | instskip(SKIP_1) | instid1(VALU_DEP_1)
	v_pk_fma_f32 v[10:11], v[4:5], v[0:1], v[8:9] op_sel:[0,0,1] op_sel_hi:[1,1,0] neg_lo:[0,0,1] neg_hi:[0,0,1]
	v_pk_fma_f32 v[4:5], v[4:5], v[0:1], v[8:9] op_sel:[0,0,1] op_sel_hi:[1,0,0]
	v_mov_b32_e32 v11, v5
	v_pk_mul_f32 v[4:5], v[6:7], v[2:3] op_sel:[0,1]
	s_delay_alu instid0(VALU_DEP_2) | instskip(NEXT) | instid1(VALU_DEP_2)
	v_pk_add_f32 v[180:181], v[180:181], v[10:11] neg_lo:[0,1] neg_hi:[0,1]
	v_pk_fma_f32 v[8:9], v[6:7], v[0:1], v[4:5] op_sel:[0,0,1] op_sel_hi:[1,1,0] neg_lo:[0,0,1] neg_hi:[0,0,1]
	v_pk_fma_f32 v[4:5], v[6:7], v[0:1], v[4:5] op_sel:[0,0,1] op_sel_hi:[1,0,0]
	s_delay_alu instid0(VALU_DEP_1)
	v_mov_b32_e32 v9, v5
	ds_load_2addr_b64 v[4:7], v80 offset0:47 offset1:48
	v_pk_add_f32 v[186:187], v[186:187], v[8:9] neg_lo:[0,1] neg_hi:[0,1]
	s_wait_dscnt 0x0
	v_pk_mul_f32 v[8:9], v[4:5], v[2:3] op_sel:[0,1]
	v_mul_f32_e32 v2, v7, v3
	s_delay_alu instid0(VALU_DEP_2) | instskip(SKIP_2) | instid1(VALU_DEP_4)
	v_pk_fma_f32 v[10:11], v[4:5], v[0:1], v[8:9] op_sel:[0,0,1] op_sel_hi:[1,1,0] neg_lo:[0,0,1] neg_hi:[0,0,1]
	v_pk_fma_f32 v[4:5], v[4:5], v[0:1], v[8:9] op_sel:[0,0,1] op_sel_hi:[1,0,0]
	v_dual_mov_b32 v4, v7 :: v_dual_mul_f32 v0, v7, v0
	v_pk_fma_f32 v[2:3], v[6:7], v[112:113], v[2:3] op_sel_hi:[1,1,0] neg_lo:[0,0,1] neg_hi:[0,0,1]
	s_delay_alu instid0(VALU_DEP_3) | instskip(NEXT) | instid1(VALU_DEP_1)
	v_dual_mov_b32 v11, v5 :: v_dual_mov_b32 v5, v6
	v_pk_add_f32 v[194:195], v[194:195], v[10:11] neg_lo:[0,1] neg_hi:[0,1]
	s_delay_alu instid0(VALU_DEP_2) | instskip(NEXT) | instid1(VALU_DEP_1)
	v_pk_fma_f32 v[0:1], v[4:5], v[112:113], v[0:1] op_sel_hi:[1,1,0]
	v_mov_b32_e32 v3, v1
	s_delay_alu instid0(VALU_DEP_1)
	v_pk_add_f32 v[196:197], v[196:197], v[2:3] neg_lo:[0,1] neg_hi:[0,1]
.LBB97_226:
	s_wait_xcnt 0x0
	s_or_b32 exec_lo, exec_lo, s1
	s_delay_alu instid0(SALU_CYCLE_1)
	s_mov_b32 s2, exec_lo
	s_wait_storecnt 0x0
	s_barrier_signal -1
	s_barrier_wait -1
	v_cmpx_eq_u32_e32 25, v78
	s_cbranch_execz .LBB97_233
; %bb.227:
	v_dual_mov_b32 v0, v110 :: v_dual_mov_b32 v1, v111
	v_dual_mov_b32 v2, v106 :: v_dual_mov_b32 v3, v107
	ds_store_b64 v79, v[108:109]
	ds_store_2addr_b64 v80, v[0:1], v[2:3] offset0:26 offset1:27
	v_dual_mov_b32 v0, v128 :: v_dual_mov_b32 v1, v129
	v_dual_mov_b32 v2, v124 :: v_dual_mov_b32 v3, v125
	ds_store_2addr_b64 v80, v[0:1], v[2:3] offset0:28 offset1:29
	v_dual_mov_b32 v0, v126 :: v_dual_mov_b32 v1, v127
	v_dual_mov_b32 v2, v122 :: v_dual_mov_b32 v3, v123
	;; [unrolled: 3-line block ×10, first 2 shown]
	ds_store_2addr_b64 v80, v[0:1], v[2:3] offset0:46 offset1:47
	ds_store_b64 v80, v[196:197] offset:384
	ds_load_b64 v[0:1], v79
	s_wait_dscnt 0x0
	v_cmp_neq_f32_e32 vcc_lo, 0, v0
	v_cmp_neq_f32_e64 s1, 0, v1
	s_or_b32 s1, vcc_lo, s1
	s_delay_alu instid0(SALU_CYCLE_1)
	s_and_b32 exec_lo, exec_lo, s1
	s_cbranch_execz .LBB97_233
; %bb.228:
	v_cmp_ngt_f32_e64 s1, |v0|, |v1|
                                        ; implicit-def: $vgpr2_vgpr3
	s_and_saveexec_b32 s4, s1
	s_delay_alu instid0(SALU_CYCLE_1)
	s_xor_b32 s1, exec_lo, s4
	s_cbranch_execz .LBB97_230
; %bb.229:
	v_div_scale_f32 v2, null, v1, v1, v0
	v_div_scale_f32 v5, vcc_lo, v0, v1, v0
	s_delay_alu instid0(VALU_DEP_2) | instskip(SKIP_1) | instid1(TRANS32_DEP_1)
	v_rcp_f32_e32 v3, v2
	v_nop
	v_fma_f32 v4, -v2, v3, 1.0
	s_delay_alu instid0(VALU_DEP_1) | instskip(NEXT) | instid1(VALU_DEP_1)
	v_fmac_f32_e32 v3, v4, v3
	v_mul_f32_e32 v4, v5, v3
	s_delay_alu instid0(VALU_DEP_1) | instskip(NEXT) | instid1(VALU_DEP_1)
	v_fma_f32 v6, -v2, v4, v5
	v_fmac_f32_e32 v4, v6, v3
	s_delay_alu instid0(VALU_DEP_1) | instskip(NEXT) | instid1(VALU_DEP_1)
	v_fma_f32 v2, -v2, v4, v5
	v_div_fmas_f32 v2, v2, v3, v4
	s_delay_alu instid0(VALU_DEP_1) | instskip(NEXT) | instid1(VALU_DEP_1)
	v_div_fixup_f32 v2, v2, v1, v0
	v_fmac_f32_e32 v1, v0, v2
	s_delay_alu instid0(VALU_DEP_1) | instskip(SKIP_1) | instid1(VALU_DEP_2)
	v_div_scale_f32 v0, null, v1, v1, 1.0
	v_div_scale_f32 v5, vcc_lo, 1.0, v1, 1.0
	v_rcp_f32_e32 v3, v0
	v_nop
	s_delay_alu instid0(TRANS32_DEP_1) | instskip(NEXT) | instid1(VALU_DEP_1)
	v_fma_f32 v4, -v0, v3, 1.0
	v_fmac_f32_e32 v3, v4, v3
	s_delay_alu instid0(VALU_DEP_1) | instskip(NEXT) | instid1(VALU_DEP_1)
	v_mul_f32_e32 v4, v5, v3
	v_fma_f32 v6, -v0, v4, v5
	s_delay_alu instid0(VALU_DEP_1) | instskip(NEXT) | instid1(VALU_DEP_1)
	v_fmac_f32_e32 v4, v6, v3
	v_fma_f32 v0, -v0, v4, v5
	s_delay_alu instid0(VALU_DEP_1) | instskip(NEXT) | instid1(VALU_DEP_1)
	v_div_fmas_f32 v0, v0, v3, v4
	v_div_fixup_f32 v0, v0, v1, 1.0
	s_delay_alu instid0(VALU_DEP_1)
	v_mul_f32_e32 v2, v2, v0
	v_xor_b32_e32 v3, 0x80000000, v0
                                        ; implicit-def: $vgpr0_vgpr1
.LBB97_230:
	s_and_not1_saveexec_b32 s1, s1
	s_cbranch_execz .LBB97_232
; %bb.231:
	v_div_scale_f32 v2, null, v0, v0, v1
	v_div_scale_f32 v5, vcc_lo, v1, v0, v1
	s_delay_alu instid0(VALU_DEP_2) | instskip(SKIP_1) | instid1(TRANS32_DEP_1)
	v_rcp_f32_e32 v3, v2
	v_nop
	v_fma_f32 v4, -v2, v3, 1.0
	s_delay_alu instid0(VALU_DEP_1) | instskip(NEXT) | instid1(VALU_DEP_1)
	v_fmac_f32_e32 v3, v4, v3
	v_mul_f32_e32 v4, v5, v3
	s_delay_alu instid0(VALU_DEP_1) | instskip(NEXT) | instid1(VALU_DEP_1)
	v_fma_f32 v6, -v2, v4, v5
	v_fmac_f32_e32 v4, v6, v3
	s_delay_alu instid0(VALU_DEP_1) | instskip(NEXT) | instid1(VALU_DEP_1)
	v_fma_f32 v2, -v2, v4, v5
	v_div_fmas_f32 v2, v2, v3, v4
	s_delay_alu instid0(VALU_DEP_1) | instskip(NEXT) | instid1(VALU_DEP_1)
	v_div_fixup_f32 v3, v2, v0, v1
	v_fmac_f32_e32 v0, v1, v3
	s_delay_alu instid0(VALU_DEP_1) | instskip(NEXT) | instid1(VALU_DEP_1)
	v_div_scale_f32 v1, null, v0, v0, 1.0
	v_rcp_f32_e32 v2, v1
	v_nop
	s_delay_alu instid0(TRANS32_DEP_1) | instskip(NEXT) | instid1(VALU_DEP_1)
	v_fma_f32 v4, -v1, v2, 1.0
	v_fmac_f32_e32 v2, v4, v2
	v_div_scale_f32 v4, vcc_lo, 1.0, v0, 1.0
	s_delay_alu instid0(VALU_DEP_1) | instskip(NEXT) | instid1(VALU_DEP_1)
	v_mul_f32_e32 v5, v4, v2
	v_fma_f32 v6, -v1, v5, v4
	s_delay_alu instid0(VALU_DEP_1) | instskip(NEXT) | instid1(VALU_DEP_1)
	v_fmac_f32_e32 v5, v6, v2
	v_fma_f32 v1, -v1, v5, v4
	s_delay_alu instid0(VALU_DEP_1) | instskip(NEXT) | instid1(VALU_DEP_1)
	v_div_fmas_f32 v1, v1, v2, v5
	v_div_fixup_f32 v2, v1, v0, 1.0
	s_delay_alu instid0(VALU_DEP_1)
	v_mul_f32_e64 v3, v3, -v2
.LBB97_232:
	s_or_b32 exec_lo, exec_lo, s1
	ds_store_b64 v79, v[2:3]
.LBB97_233:
	s_or_b32 exec_lo, exec_lo, s2
	s_wait_dscnt 0x0
	s_barrier_signal -1
	s_barrier_wait -1
	ds_load_b64 v[0:1], v79
	s_mov_b32 s1, exec_lo
	s_wait_dscnt 0x0
	scratch_store_b64 off, v[0:1], off offset:168 ; 8-byte Folded Spill
	s_wait_xcnt 0x0
	v_cmpx_lt_u32_e32 25, v78
	s_cbranch_execz .LBB97_235
; %bb.234:
	scratch_load_b64 v[4:5], off, off offset:168 ; 8-byte Folded Reload
	s_wait_loadcnt 0x0
	v_pk_mul_f32 v[2:3], v[4:5], v[108:109] op_sel:[1,1] op_sel_hi:[0,1]
	s_delay_alu instid0(VALU_DEP_1)
	v_pk_fma_f32 v[0:1], v[4:5], v[108:109], v[2:3] op_sel_hi:[1,0,1] neg_lo:[0,0,1] neg_hi:[0,0,1]
	v_pk_fma_f32 v[2:3], v[4:5], v[108:109], v[2:3] op_sel_hi:[1,0,1]
	ds_load_2addr_b64 v[4:7], v80 offset0:26 offset1:27
	v_dual_mov_b32 v108, v0 :: v_dual_mov_b32 v109, v3
	s_wait_dscnt 0x0
	v_pk_mul_f32 v[8:9], v[4:5], v[2:3] op_sel:[0,1]
	s_delay_alu instid0(VALU_DEP_1) | instskip(SKIP_1) | instid1(VALU_DEP_1)
	v_pk_fma_f32 v[10:11], v[4:5], v[0:1], v[8:9] op_sel:[0,0,1] op_sel_hi:[1,1,0] neg_lo:[0,0,1] neg_hi:[0,0,1]
	v_pk_fma_f32 v[4:5], v[4:5], v[0:1], v[8:9] op_sel:[0,0,1] op_sel_hi:[1,0,0]
	v_mov_b32_e32 v11, v5
	v_pk_mul_f32 v[4:5], v[6:7], v[2:3] op_sel:[0,1]
	s_delay_alu instid0(VALU_DEP_1) | instskip(SKIP_1) | instid1(VALU_DEP_1)
	v_pk_fma_f32 v[8:9], v[6:7], v[0:1], v[4:5] op_sel:[0,0,1] op_sel_hi:[1,1,0] neg_lo:[0,0,1] neg_hi:[0,0,1]
	v_pk_fma_f32 v[4:5], v[6:7], v[0:1], v[4:5] op_sel:[0,0,1] op_sel_hi:[1,0,0]
	v_mov_b32_e32 v9, v5
	ds_load_2addr_b64 v[4:7], v80 offset0:28 offset1:29
	v_pk_add_f32 v[110:111], v[110:111], v[10:11] neg_lo:[0,1] neg_hi:[0,1]
	v_pk_add_f32 v[106:107], v[106:107], v[8:9] neg_lo:[0,1] neg_hi:[0,1]
	s_wait_dscnt 0x0
	v_pk_mul_f32 v[8:9], v[4:5], v[2:3] op_sel:[0,1]
	s_delay_alu instid0(VALU_DEP_1) | instskip(SKIP_2) | instid1(VALU_DEP_2)
	v_pk_fma_f32 v[10:11], v[4:5], v[0:1], v[8:9] op_sel:[0,0,1] op_sel_hi:[1,1,0] neg_lo:[0,0,1] neg_hi:[0,0,1]
	v_pk_fma_f32 v[4:5], v[4:5], v[0:1], v[8:9] op_sel:[0,0,1] op_sel_hi:[1,0,0]
	v_dual_mul_f32 v8, v7, v3 :: v_dual_mov_b32 v4, v7
	v_dual_mov_b32 v11, v5 :: v_dual_mov_b32 v5, v6
	s_delay_alu instid0(VALU_DEP_2) | instskip(SKIP_1) | instid1(VALU_DEP_3)
	v_pk_fma_f32 v[8:9], v[6:7], v[108:109], v[8:9] op_sel_hi:[1,1,0] neg_lo:[0,0,1] neg_hi:[0,0,1]
	v_mul_f32_e32 v6, v7, v0
	v_pk_add_f32 v[128:129], v[128:129], v[10:11] neg_lo:[0,1] neg_hi:[0,1]
	s_delay_alu instid0(VALU_DEP_2) | instskip(NEXT) | instid1(VALU_DEP_1)
	v_pk_fma_f32 v[4:5], v[4:5], v[108:109], v[6:7] op_sel_hi:[1,1,0]
	v_mov_b32_e32 v9, v5
	ds_load_2addr_b64 v[4:7], v80 offset0:30 offset1:31
	v_pk_add_f32 v[124:125], v[124:125], v[8:9] neg_lo:[0,1] neg_hi:[0,1]
	s_wait_dscnt 0x0
	v_pk_mul_f32 v[8:9], v[4:5], v[2:3] op_sel:[0,1]
	s_delay_alu instid0(VALU_DEP_1) | instskip(SKIP_1) | instid1(VALU_DEP_1)
	v_pk_fma_f32 v[10:11], v[4:5], v[0:1], v[8:9] op_sel:[0,0,1] op_sel_hi:[1,1,0] neg_lo:[0,0,1] neg_hi:[0,0,1]
	v_pk_fma_f32 v[4:5], v[4:5], v[0:1], v[8:9] op_sel:[0,0,1] op_sel_hi:[1,0,0]
	v_mov_b32_e32 v11, v5
	v_pk_mul_f32 v[4:5], v[6:7], v[2:3] op_sel:[0,1]
	s_delay_alu instid0(VALU_DEP_1) | instskip(SKIP_1) | instid1(VALU_DEP_1)
	v_pk_fma_f32 v[8:9], v[6:7], v[0:1], v[4:5] op_sel:[0,0,1] op_sel_hi:[1,1,0] neg_lo:[0,0,1] neg_hi:[0,0,1]
	v_pk_fma_f32 v[4:5], v[6:7], v[0:1], v[4:5] op_sel:[0,0,1] op_sel_hi:[1,0,0]
	v_mov_b32_e32 v9, v5
	ds_load_2addr_b64 v[4:7], v80 offset0:32 offset1:33
	v_pk_add_f32 v[126:127], v[126:127], v[10:11] neg_lo:[0,1] neg_hi:[0,1]
	v_pk_add_f32 v[122:123], v[122:123], v[8:9] neg_lo:[0,1] neg_hi:[0,1]
	s_wait_dscnt 0x0
	v_pk_mul_f32 v[8:9], v[4:5], v[2:3] op_sel:[0,1]
	s_delay_alu instid0(VALU_DEP_1) | instskip(SKIP_1) | instid1(VALU_DEP_1)
	v_pk_fma_f32 v[10:11], v[4:5], v[0:1], v[8:9] op_sel:[0,0,1] op_sel_hi:[1,1,0] neg_lo:[0,0,1] neg_hi:[0,0,1]
	v_pk_fma_f32 v[4:5], v[4:5], v[0:1], v[8:9] op_sel:[0,0,1] op_sel_hi:[1,0,0]
	v_mov_b32_e32 v11, v5
	v_pk_mul_f32 v[4:5], v[6:7], v[2:3] op_sel:[0,1]
	s_delay_alu instid0(VALU_DEP_1) | instskip(SKIP_1) | instid1(VALU_DEP_1)
	v_pk_fma_f32 v[8:9], v[6:7], v[0:1], v[4:5] op_sel:[0,0,1] op_sel_hi:[1,1,0] neg_lo:[0,0,1] neg_hi:[0,0,1]
	v_pk_fma_f32 v[4:5], v[6:7], v[0:1], v[4:5] op_sel:[0,0,1] op_sel_hi:[1,0,0]
	v_mov_b32_e32 v9, v5
	ds_load_2addr_b64 v[4:7], v80 offset0:34 offset1:35
	v_pk_add_f32 v[144:145], v[144:145], v[10:11] neg_lo:[0,1] neg_hi:[0,1]
	v_pk_add_f32 v[140:141], v[140:141], v[8:9] neg_lo:[0,1] neg_hi:[0,1]
	s_wait_dscnt 0x0
	v_dual_mul_f32 v8, v5, v3 :: v_dual_mul_f32 v10, v5, v0
	s_delay_alu instid0(VALU_DEP_1) | instskip(NEXT) | instid1(VALU_DEP_2)
	v_pk_fma_f32 v[8:9], v[4:5], v[108:109], v[8:9] op_sel_hi:[1,1,0] neg_lo:[0,0,1] neg_hi:[0,0,1]
	v_pk_fma_f32 v[4:5], v[4:5], v[108:109], v[10:11] op_sel:[1,0,0] op_sel_hi:[0,1,0]
	s_delay_alu instid0(VALU_DEP_1) | instskip(SKIP_1) | instid1(VALU_DEP_2)
	v_mov_b32_e32 v9, v5
	v_pk_mul_f32 v[4:5], v[6:7], v[2:3] op_sel:[0,1]
	v_pk_add_f32 v[142:143], v[142:143], v[8:9] neg_lo:[0,1] neg_hi:[0,1]
	s_delay_alu instid0(VALU_DEP_2) | instskip(SKIP_1) | instid1(VALU_DEP_1)
	v_pk_fma_f32 v[8:9], v[6:7], v[0:1], v[4:5] op_sel:[0,0,1] op_sel_hi:[1,1,0] neg_lo:[0,0,1] neg_hi:[0,0,1]
	v_pk_fma_f32 v[4:5], v[6:7], v[0:1], v[4:5] op_sel:[0,0,1] op_sel_hi:[1,0,0]
	v_mov_b32_e32 v9, v5
	ds_load_2addr_b64 v[4:7], v80 offset0:36 offset1:37
	v_pk_add_f32 v[138:139], v[138:139], v[8:9] neg_lo:[0,1] neg_hi:[0,1]
	s_wait_dscnt 0x0
	v_pk_mul_f32 v[8:9], v[4:5], v[2:3] op_sel:[0,1]
	s_delay_alu instid0(VALU_DEP_1) | instskip(SKIP_1) | instid1(VALU_DEP_1)
	v_pk_fma_f32 v[10:11], v[4:5], v[0:1], v[8:9] op_sel:[0,0,1] op_sel_hi:[1,1,0] neg_lo:[0,0,1] neg_hi:[0,0,1]
	v_pk_fma_f32 v[4:5], v[4:5], v[0:1], v[8:9] op_sel:[0,0,1] op_sel_hi:[1,0,0]
	v_mov_b32_e32 v11, v5
	v_pk_mul_f32 v[4:5], v[6:7], v[2:3] op_sel:[0,1]
	s_delay_alu instid0(VALU_DEP_2) | instskip(NEXT) | instid1(VALU_DEP_2)
	v_pk_add_f32 v[166:167], v[166:167], v[10:11] neg_lo:[0,1] neg_hi:[0,1]
	v_pk_fma_f32 v[8:9], v[6:7], v[0:1], v[4:5] op_sel:[0,0,1] op_sel_hi:[1,1,0] neg_lo:[0,0,1] neg_hi:[0,0,1]
	v_pk_fma_f32 v[4:5], v[6:7], v[0:1], v[4:5] op_sel:[0,0,1] op_sel_hi:[1,0,0]
	s_delay_alu instid0(VALU_DEP_1) | instskip(SKIP_4) | instid1(VALU_DEP_1)
	v_mov_b32_e32 v9, v5
	ds_load_2addr_b64 v[4:7], v80 offset0:38 offset1:39
	v_pk_add_f32 v[162:163], v[162:163], v[8:9] neg_lo:[0,1] neg_hi:[0,1]
	s_wait_dscnt 0x0
	v_pk_mul_f32 v[8:9], v[4:5], v[2:3] op_sel:[0,1]
	v_pk_fma_f32 v[10:11], v[4:5], v[0:1], v[8:9] op_sel:[0,0,1] op_sel_hi:[1,1,0] neg_lo:[0,0,1] neg_hi:[0,0,1]
	v_pk_fma_f32 v[4:5], v[4:5], v[0:1], v[8:9] op_sel:[0,0,1] op_sel_hi:[1,0,0]
	v_dual_mul_f32 v8, v7, v3 :: v_dual_mov_b32 v4, v7
	s_delay_alu instid0(VALU_DEP_2) | instskip(NEXT) | instid1(VALU_DEP_2)
	v_dual_mov_b32 v11, v5 :: v_dual_mov_b32 v5, v6
	v_pk_fma_f32 v[8:9], v[6:7], v[108:109], v[8:9] op_sel_hi:[1,1,0] neg_lo:[0,0,1] neg_hi:[0,0,1]
	v_mul_f32_e32 v6, v7, v0
	s_delay_alu instid0(VALU_DEP_3) | instskip(NEXT) | instid1(VALU_DEP_2)
	v_pk_add_f32 v[164:165], v[164:165], v[10:11] neg_lo:[0,1] neg_hi:[0,1]
	v_pk_fma_f32 v[4:5], v[4:5], v[108:109], v[6:7] op_sel_hi:[1,1,0]
	s_delay_alu instid0(VALU_DEP_1) | instskip(SKIP_4) | instid1(VALU_DEP_1)
	v_mov_b32_e32 v9, v5
	ds_load_2addr_b64 v[4:7], v80 offset0:40 offset1:41
	v_pk_add_f32 v[160:161], v[160:161], v[8:9] neg_lo:[0,1] neg_hi:[0,1]
	s_wait_dscnt 0x0
	v_pk_mul_f32 v[8:9], v[4:5], v[2:3] op_sel:[0,1]
	v_pk_fma_f32 v[10:11], v[4:5], v[0:1], v[8:9] op_sel:[0,0,1] op_sel_hi:[1,1,0] neg_lo:[0,0,1] neg_hi:[0,0,1]
	v_pk_fma_f32 v[4:5], v[4:5], v[0:1], v[8:9] op_sel:[0,0,1] op_sel_hi:[1,0,0]
	s_delay_alu instid0(VALU_DEP_1) | instskip(SKIP_1) | instid1(VALU_DEP_1)
	v_mov_b32_e32 v11, v5
	v_pk_mul_f32 v[4:5], v[6:7], v[2:3] op_sel:[0,1]
	v_pk_fma_f32 v[8:9], v[6:7], v[0:1], v[4:5] op_sel:[0,0,1] op_sel_hi:[1,1,0] neg_lo:[0,0,1] neg_hi:[0,0,1]
	v_pk_fma_f32 v[4:5], v[6:7], v[0:1], v[4:5] op_sel:[0,0,1] op_sel_hi:[1,0,0]
	s_delay_alu instid0(VALU_DEP_1)
	v_mov_b32_e32 v9, v5
	ds_load_2addr_b64 v[4:7], v80 offset0:42 offset1:43
	v_pk_add_f32 v[192:193], v[192:193], v[10:11] neg_lo:[0,1] neg_hi:[0,1]
	v_pk_add_f32 v[184:185], v[184:185], v[8:9] neg_lo:[0,1] neg_hi:[0,1]
	s_wait_dscnt 0x0
	v_pk_mul_f32 v[8:9], v[4:5], v[2:3] op_sel:[0,1]
	s_delay_alu instid0(VALU_DEP_1) | instskip(SKIP_1) | instid1(VALU_DEP_1)
	v_pk_fma_f32 v[10:11], v[4:5], v[0:1], v[8:9] op_sel:[0,0,1] op_sel_hi:[1,1,0] neg_lo:[0,0,1] neg_hi:[0,0,1]
	v_pk_fma_f32 v[4:5], v[4:5], v[0:1], v[8:9] op_sel:[0,0,1] op_sel_hi:[1,0,0]
	v_mov_b32_e32 v11, v5
	v_pk_mul_f32 v[4:5], v[6:7], v[2:3] op_sel:[0,1]
	s_delay_alu instid0(VALU_DEP_1) | instskip(SKIP_1) | instid1(VALU_DEP_1)
	v_pk_fma_f32 v[8:9], v[6:7], v[0:1], v[4:5] op_sel:[0,0,1] op_sel_hi:[1,1,0] neg_lo:[0,0,1] neg_hi:[0,0,1]
	v_pk_fma_f32 v[4:5], v[6:7], v[0:1], v[4:5] op_sel:[0,0,1] op_sel_hi:[1,0,0]
	v_mov_b32_e32 v9, v5
	ds_load_2addr_b64 v[4:7], v80 offset0:44 offset1:45
	v_pk_add_f32 v[190:191], v[190:191], v[10:11] neg_lo:[0,1] neg_hi:[0,1]
	v_pk_add_f32 v[182:183], v[182:183], v[8:9] neg_lo:[0,1] neg_hi:[0,1]
	s_wait_dscnt 0x0
	v_dual_mul_f32 v8, v5, v3 :: v_dual_mul_f32 v10, v5, v0
	s_delay_alu instid0(VALU_DEP_1) | instskip(NEXT) | instid1(VALU_DEP_2)
	v_pk_fma_f32 v[8:9], v[4:5], v[108:109], v[8:9] op_sel_hi:[1,1,0] neg_lo:[0,0,1] neg_hi:[0,0,1]
	v_pk_fma_f32 v[4:5], v[4:5], v[108:109], v[10:11] op_sel:[1,0,0] op_sel_hi:[0,1,0]
	s_delay_alu instid0(VALU_DEP_1) | instskip(SKIP_1) | instid1(VALU_DEP_2)
	v_mov_b32_e32 v9, v5
	v_pk_mul_f32 v[4:5], v[6:7], v[2:3] op_sel:[0,1]
	v_pk_add_f32 v[188:189], v[188:189], v[8:9] neg_lo:[0,1] neg_hi:[0,1]
	s_delay_alu instid0(VALU_DEP_2) | instskip(SKIP_1) | instid1(VALU_DEP_1)
	v_pk_fma_f32 v[8:9], v[6:7], v[0:1], v[4:5] op_sel:[0,0,1] op_sel_hi:[1,1,0] neg_lo:[0,0,1] neg_hi:[0,0,1]
	v_pk_fma_f32 v[4:5], v[6:7], v[0:1], v[4:5] op_sel:[0,0,1] op_sel_hi:[1,0,0]
	v_mov_b32_e32 v9, v5
	ds_load_2addr_b64 v[4:7], v80 offset0:46 offset1:47
	v_pk_add_f32 v[180:181], v[180:181], v[8:9] neg_lo:[0,1] neg_hi:[0,1]
	s_wait_dscnt 0x0
	v_pk_mul_f32 v[8:9], v[4:5], v[2:3] op_sel:[0,1]
	s_delay_alu instid0(VALU_DEP_1) | instskip(SKIP_1) | instid1(VALU_DEP_1)
	v_pk_fma_f32 v[10:11], v[4:5], v[0:1], v[8:9] op_sel:[0,0,1] op_sel_hi:[1,1,0] neg_lo:[0,0,1] neg_hi:[0,0,1]
	v_pk_fma_f32 v[4:5], v[4:5], v[0:1], v[8:9] op_sel:[0,0,1] op_sel_hi:[1,0,0]
	v_mov_b32_e32 v11, v5
	v_pk_mul_f32 v[4:5], v[6:7], v[2:3] op_sel:[0,1]
	s_delay_alu instid0(VALU_DEP_2) | instskip(NEXT) | instid1(VALU_DEP_2)
	v_pk_add_f32 v[186:187], v[186:187], v[10:11] neg_lo:[0,1] neg_hi:[0,1]
	v_pk_fma_f32 v[8:9], v[6:7], v[0:1], v[4:5] op_sel:[0,0,1] op_sel_hi:[1,1,0] neg_lo:[0,0,1] neg_hi:[0,0,1]
	v_pk_fma_f32 v[4:5], v[6:7], v[0:1], v[4:5] op_sel:[0,0,1] op_sel_hi:[1,0,0]
	s_delay_alu instid0(VALU_DEP_1) | instskip(SKIP_4) | instid1(VALU_DEP_1)
	v_mov_b32_e32 v9, v5
	ds_load_b64 v[4:5], v80 offset:384
	v_pk_add_f32 v[194:195], v[194:195], v[8:9] neg_lo:[0,1] neg_hi:[0,1]
	s_wait_dscnt 0x0
	v_pk_mul_f32 v[2:3], v[4:5], v[2:3] op_sel:[0,1]
	v_pk_fma_f32 v[6:7], v[4:5], v[0:1], v[2:3] op_sel:[0,0,1] op_sel_hi:[1,1,0] neg_lo:[0,0,1] neg_hi:[0,0,1]
	v_pk_fma_f32 v[0:1], v[4:5], v[0:1], v[2:3] op_sel:[0,0,1] op_sel_hi:[1,0,0]
	s_delay_alu instid0(VALU_DEP_1) | instskip(NEXT) | instid1(VALU_DEP_1)
	v_mov_b32_e32 v7, v1
	v_pk_add_f32 v[196:197], v[196:197], v[6:7] neg_lo:[0,1] neg_hi:[0,1]
.LBB97_235:
	s_wait_xcnt 0x0
	s_or_b32 exec_lo, exec_lo, s1
	s_delay_alu instid0(SALU_CYCLE_1)
	s_mov_b32 s2, exec_lo
	s_wait_storecnt 0x0
	s_barrier_signal -1
	s_barrier_wait -1
	v_cmpx_eq_u32_e32 26, v78
	s_cbranch_execz .LBB97_242
; %bb.236:
	ds_store_b64 v79, v[110:111]
	ds_store_2addr_b64 v80, v[106:107], v[128:129] offset0:27 offset1:28
	ds_store_2addr_b64 v80, v[124:125], v[126:127] offset0:29 offset1:30
	;; [unrolled: 1-line block ×11, first 2 shown]
	ds_load_b64 v[0:1], v79
	s_wait_dscnt 0x0
	v_cmp_neq_f32_e32 vcc_lo, 0, v0
	v_cmp_neq_f32_e64 s1, 0, v1
	s_or_b32 s1, vcc_lo, s1
	s_delay_alu instid0(SALU_CYCLE_1)
	s_and_b32 exec_lo, exec_lo, s1
	s_cbranch_execz .LBB97_242
; %bb.237:
	v_cmp_ngt_f32_e64 s1, |v0|, |v1|
                                        ; implicit-def: $vgpr2_vgpr3
	s_and_saveexec_b32 s4, s1
	s_delay_alu instid0(SALU_CYCLE_1)
	s_xor_b32 s1, exec_lo, s4
	s_cbranch_execz .LBB97_239
; %bb.238:
	v_div_scale_f32 v2, null, v1, v1, v0
	v_div_scale_f32 v5, vcc_lo, v0, v1, v0
	s_delay_alu instid0(VALU_DEP_2) | instskip(SKIP_1) | instid1(TRANS32_DEP_1)
	v_rcp_f32_e32 v3, v2
	v_nop
	v_fma_f32 v4, -v2, v3, 1.0
	s_delay_alu instid0(VALU_DEP_1) | instskip(NEXT) | instid1(VALU_DEP_1)
	v_fmac_f32_e32 v3, v4, v3
	v_mul_f32_e32 v4, v5, v3
	s_delay_alu instid0(VALU_DEP_1) | instskip(NEXT) | instid1(VALU_DEP_1)
	v_fma_f32 v6, -v2, v4, v5
	v_fmac_f32_e32 v4, v6, v3
	s_delay_alu instid0(VALU_DEP_1) | instskip(NEXT) | instid1(VALU_DEP_1)
	v_fma_f32 v2, -v2, v4, v5
	v_div_fmas_f32 v2, v2, v3, v4
	s_delay_alu instid0(VALU_DEP_1) | instskip(NEXT) | instid1(VALU_DEP_1)
	v_div_fixup_f32 v2, v2, v1, v0
	v_fmac_f32_e32 v1, v0, v2
	s_delay_alu instid0(VALU_DEP_1) | instskip(SKIP_1) | instid1(VALU_DEP_2)
	v_div_scale_f32 v0, null, v1, v1, 1.0
	v_div_scale_f32 v5, vcc_lo, 1.0, v1, 1.0
	v_rcp_f32_e32 v3, v0
	v_nop
	s_delay_alu instid0(TRANS32_DEP_1) | instskip(NEXT) | instid1(VALU_DEP_1)
	v_fma_f32 v4, -v0, v3, 1.0
	v_fmac_f32_e32 v3, v4, v3
	s_delay_alu instid0(VALU_DEP_1) | instskip(NEXT) | instid1(VALU_DEP_1)
	v_mul_f32_e32 v4, v5, v3
	v_fma_f32 v6, -v0, v4, v5
	s_delay_alu instid0(VALU_DEP_1) | instskip(NEXT) | instid1(VALU_DEP_1)
	v_fmac_f32_e32 v4, v6, v3
	v_fma_f32 v0, -v0, v4, v5
	s_delay_alu instid0(VALU_DEP_1) | instskip(NEXT) | instid1(VALU_DEP_1)
	v_div_fmas_f32 v0, v0, v3, v4
	v_div_fixup_f32 v0, v0, v1, 1.0
	s_delay_alu instid0(VALU_DEP_1)
	v_mul_f32_e32 v2, v2, v0
	v_xor_b32_e32 v3, 0x80000000, v0
                                        ; implicit-def: $vgpr0_vgpr1
.LBB97_239:
	s_and_not1_saveexec_b32 s1, s1
	s_cbranch_execz .LBB97_241
; %bb.240:
	v_div_scale_f32 v2, null, v0, v0, v1
	v_div_scale_f32 v5, vcc_lo, v1, v0, v1
	s_delay_alu instid0(VALU_DEP_2) | instskip(SKIP_1) | instid1(TRANS32_DEP_1)
	v_rcp_f32_e32 v3, v2
	v_nop
	v_fma_f32 v4, -v2, v3, 1.0
	s_delay_alu instid0(VALU_DEP_1) | instskip(NEXT) | instid1(VALU_DEP_1)
	v_fmac_f32_e32 v3, v4, v3
	v_mul_f32_e32 v4, v5, v3
	s_delay_alu instid0(VALU_DEP_1) | instskip(NEXT) | instid1(VALU_DEP_1)
	v_fma_f32 v6, -v2, v4, v5
	v_fmac_f32_e32 v4, v6, v3
	s_delay_alu instid0(VALU_DEP_1) | instskip(NEXT) | instid1(VALU_DEP_1)
	v_fma_f32 v2, -v2, v4, v5
	v_div_fmas_f32 v2, v2, v3, v4
	s_delay_alu instid0(VALU_DEP_1) | instskip(NEXT) | instid1(VALU_DEP_1)
	v_div_fixup_f32 v3, v2, v0, v1
	v_fmac_f32_e32 v0, v1, v3
	s_delay_alu instid0(VALU_DEP_1) | instskip(NEXT) | instid1(VALU_DEP_1)
	v_div_scale_f32 v1, null, v0, v0, 1.0
	v_rcp_f32_e32 v2, v1
	v_nop
	s_delay_alu instid0(TRANS32_DEP_1) | instskip(NEXT) | instid1(VALU_DEP_1)
	v_fma_f32 v4, -v1, v2, 1.0
	v_fmac_f32_e32 v2, v4, v2
	v_div_scale_f32 v4, vcc_lo, 1.0, v0, 1.0
	s_delay_alu instid0(VALU_DEP_1) | instskip(NEXT) | instid1(VALU_DEP_1)
	v_mul_f32_e32 v5, v4, v2
	v_fma_f32 v6, -v1, v5, v4
	s_delay_alu instid0(VALU_DEP_1) | instskip(NEXT) | instid1(VALU_DEP_1)
	v_fmac_f32_e32 v5, v6, v2
	v_fma_f32 v1, -v1, v5, v4
	s_delay_alu instid0(VALU_DEP_1) | instskip(NEXT) | instid1(VALU_DEP_1)
	v_div_fmas_f32 v1, v1, v2, v5
	v_div_fixup_f32 v2, v1, v0, 1.0
	s_delay_alu instid0(VALU_DEP_1)
	v_mul_f32_e64 v3, v3, -v2
.LBB97_241:
	s_or_b32 exec_lo, exec_lo, s1
	ds_store_b64 v79, v[2:3]
.LBB97_242:
	s_or_b32 exec_lo, exec_lo, s2
	s_wait_dscnt 0x0
	s_barrier_signal -1
	s_barrier_wait -1
	ds_load_b64 v[0:1], v79
	s_mov_b32 s1, exec_lo
	s_wait_dscnt 0x0
	scratch_store_b64 off, v[0:1], off offset:176 ; 8-byte Folded Spill
	s_wait_xcnt 0x0
	v_cmpx_lt_u32_e32 26, v78
	s_cbranch_execz .LBB97_244
; %bb.243:
	scratch_load_b64 v[4:5], off, off offset:176 ; 8-byte Folded Reload
	s_wait_loadcnt 0x0
	v_pk_mul_f32 v[2:3], v[4:5], v[110:111] op_sel:[1,1] op_sel_hi:[0,1]
	s_delay_alu instid0(VALU_DEP_1)
	v_pk_fma_f32 v[0:1], v[4:5], v[110:111], v[2:3] op_sel_hi:[1,0,1] neg_lo:[0,0,1] neg_hi:[0,0,1]
	v_pk_fma_f32 v[2:3], v[4:5], v[110:111], v[2:3] op_sel_hi:[1,0,1]
	ds_load_2addr_b64 v[4:7], v80 offset0:27 offset1:28
	v_dual_mov_b32 v110, v0 :: v_dual_mov_b32 v111, v3
	s_wait_dscnt 0x0
	v_pk_mul_f32 v[8:9], v[4:5], v[2:3] op_sel:[0,1]
	s_delay_alu instid0(VALU_DEP_1) | instskip(SKIP_1) | instid1(VALU_DEP_1)
	v_pk_fma_f32 v[10:11], v[4:5], v[0:1], v[8:9] op_sel:[0,0,1] op_sel_hi:[1,1,0] neg_lo:[0,0,1] neg_hi:[0,0,1]
	v_pk_fma_f32 v[4:5], v[4:5], v[0:1], v[8:9] op_sel:[0,0,1] op_sel_hi:[1,0,0]
	v_mov_b32_e32 v11, v5
	v_pk_mul_f32 v[4:5], v[6:7], v[2:3] op_sel:[0,1]
	s_delay_alu instid0(VALU_DEP_1) | instskip(SKIP_1) | instid1(VALU_DEP_1)
	v_pk_fma_f32 v[8:9], v[6:7], v[0:1], v[4:5] op_sel:[0,0,1] op_sel_hi:[1,1,0] neg_lo:[0,0,1] neg_hi:[0,0,1]
	v_pk_fma_f32 v[4:5], v[6:7], v[0:1], v[4:5] op_sel:[0,0,1] op_sel_hi:[1,0,0]
	v_mov_b32_e32 v9, v5
	ds_load_2addr_b64 v[4:7], v80 offset0:29 offset1:30
	v_pk_add_f32 v[106:107], v[106:107], v[10:11] neg_lo:[0,1] neg_hi:[0,1]
	v_pk_add_f32 v[128:129], v[128:129], v[8:9] neg_lo:[0,1] neg_hi:[0,1]
	s_wait_dscnt 0x0
	v_pk_mul_f32 v[8:9], v[4:5], v[2:3] op_sel:[0,1]
	s_delay_alu instid0(VALU_DEP_1) | instskip(SKIP_2) | instid1(VALU_DEP_2)
	v_pk_fma_f32 v[10:11], v[4:5], v[0:1], v[8:9] op_sel:[0,0,1] op_sel_hi:[1,1,0] neg_lo:[0,0,1] neg_hi:[0,0,1]
	v_pk_fma_f32 v[4:5], v[4:5], v[0:1], v[8:9] op_sel:[0,0,1] op_sel_hi:[1,0,0]
	v_dual_mul_f32 v8, v7, v3 :: v_dual_mov_b32 v4, v7
	v_dual_mov_b32 v11, v5 :: v_dual_mov_b32 v5, v6
	s_delay_alu instid0(VALU_DEP_2) | instskip(SKIP_1) | instid1(VALU_DEP_3)
	v_pk_fma_f32 v[8:9], v[6:7], v[110:111], v[8:9] op_sel_hi:[1,1,0] neg_lo:[0,0,1] neg_hi:[0,0,1]
	v_mul_f32_e32 v6, v7, v0
	v_pk_add_f32 v[124:125], v[124:125], v[10:11] neg_lo:[0,1] neg_hi:[0,1]
	s_delay_alu instid0(VALU_DEP_2) | instskip(NEXT) | instid1(VALU_DEP_1)
	v_pk_fma_f32 v[4:5], v[4:5], v[110:111], v[6:7] op_sel_hi:[1,1,0]
	v_mov_b32_e32 v9, v5
	ds_load_2addr_b64 v[4:7], v80 offset0:31 offset1:32
	v_pk_add_f32 v[126:127], v[126:127], v[8:9] neg_lo:[0,1] neg_hi:[0,1]
	s_wait_dscnt 0x0
	v_pk_mul_f32 v[8:9], v[4:5], v[2:3] op_sel:[0,1]
	s_delay_alu instid0(VALU_DEP_1) | instskip(SKIP_1) | instid1(VALU_DEP_1)
	v_pk_fma_f32 v[10:11], v[4:5], v[0:1], v[8:9] op_sel:[0,0,1] op_sel_hi:[1,1,0] neg_lo:[0,0,1] neg_hi:[0,0,1]
	v_pk_fma_f32 v[4:5], v[4:5], v[0:1], v[8:9] op_sel:[0,0,1] op_sel_hi:[1,0,0]
	v_mov_b32_e32 v11, v5
	v_pk_mul_f32 v[4:5], v[6:7], v[2:3] op_sel:[0,1]
	s_delay_alu instid0(VALU_DEP_1) | instskip(SKIP_1) | instid1(VALU_DEP_1)
	v_pk_fma_f32 v[8:9], v[6:7], v[0:1], v[4:5] op_sel:[0,0,1] op_sel_hi:[1,1,0] neg_lo:[0,0,1] neg_hi:[0,0,1]
	v_pk_fma_f32 v[4:5], v[6:7], v[0:1], v[4:5] op_sel:[0,0,1] op_sel_hi:[1,0,0]
	v_mov_b32_e32 v9, v5
	ds_load_2addr_b64 v[4:7], v80 offset0:33 offset1:34
	v_pk_add_f32 v[122:123], v[122:123], v[10:11] neg_lo:[0,1] neg_hi:[0,1]
	v_pk_add_f32 v[144:145], v[144:145], v[8:9] neg_lo:[0,1] neg_hi:[0,1]
	s_wait_dscnt 0x0
	v_pk_mul_f32 v[8:9], v[4:5], v[2:3] op_sel:[0,1]
	s_delay_alu instid0(VALU_DEP_1) | instskip(SKIP_1) | instid1(VALU_DEP_1)
	v_pk_fma_f32 v[10:11], v[4:5], v[0:1], v[8:9] op_sel:[0,0,1] op_sel_hi:[1,1,0] neg_lo:[0,0,1] neg_hi:[0,0,1]
	v_pk_fma_f32 v[4:5], v[4:5], v[0:1], v[8:9] op_sel:[0,0,1] op_sel_hi:[1,0,0]
	v_mov_b32_e32 v11, v5
	v_pk_mul_f32 v[4:5], v[6:7], v[2:3] op_sel:[0,1]
	s_delay_alu instid0(VALU_DEP_1) | instskip(SKIP_1) | instid1(VALU_DEP_1)
	v_pk_fma_f32 v[8:9], v[6:7], v[0:1], v[4:5] op_sel:[0,0,1] op_sel_hi:[1,1,0] neg_lo:[0,0,1] neg_hi:[0,0,1]
	v_pk_fma_f32 v[4:5], v[6:7], v[0:1], v[4:5] op_sel:[0,0,1] op_sel_hi:[1,0,0]
	v_mov_b32_e32 v9, v5
	ds_load_2addr_b64 v[4:7], v80 offset0:35 offset1:36
	v_pk_add_f32 v[140:141], v[140:141], v[10:11] neg_lo:[0,1] neg_hi:[0,1]
	v_pk_add_f32 v[142:143], v[142:143], v[8:9] neg_lo:[0,1] neg_hi:[0,1]
	s_wait_dscnt 0x0
	v_dual_mul_f32 v8, v5, v3 :: v_dual_mul_f32 v10, v5, v0
	s_delay_alu instid0(VALU_DEP_1) | instskip(NEXT) | instid1(VALU_DEP_2)
	v_pk_fma_f32 v[8:9], v[4:5], v[110:111], v[8:9] op_sel_hi:[1,1,0] neg_lo:[0,0,1] neg_hi:[0,0,1]
	v_pk_fma_f32 v[4:5], v[4:5], v[110:111], v[10:11] op_sel:[1,0,0] op_sel_hi:[0,1,0]
	s_delay_alu instid0(VALU_DEP_1) | instskip(SKIP_1) | instid1(VALU_DEP_2)
	v_mov_b32_e32 v9, v5
	v_pk_mul_f32 v[4:5], v[6:7], v[2:3] op_sel:[0,1]
	v_pk_add_f32 v[138:139], v[138:139], v[8:9] neg_lo:[0,1] neg_hi:[0,1]
	s_delay_alu instid0(VALU_DEP_2) | instskip(SKIP_1) | instid1(VALU_DEP_1)
	v_pk_fma_f32 v[8:9], v[6:7], v[0:1], v[4:5] op_sel:[0,0,1] op_sel_hi:[1,1,0] neg_lo:[0,0,1] neg_hi:[0,0,1]
	v_pk_fma_f32 v[4:5], v[6:7], v[0:1], v[4:5] op_sel:[0,0,1] op_sel_hi:[1,0,0]
	v_mov_b32_e32 v9, v5
	ds_load_2addr_b64 v[4:7], v80 offset0:37 offset1:38
	v_pk_add_f32 v[166:167], v[166:167], v[8:9] neg_lo:[0,1] neg_hi:[0,1]
	s_wait_dscnt 0x0
	v_pk_mul_f32 v[8:9], v[4:5], v[2:3] op_sel:[0,1]
	s_delay_alu instid0(VALU_DEP_1) | instskip(SKIP_1) | instid1(VALU_DEP_1)
	v_pk_fma_f32 v[10:11], v[4:5], v[0:1], v[8:9] op_sel:[0,0,1] op_sel_hi:[1,1,0] neg_lo:[0,0,1] neg_hi:[0,0,1]
	v_pk_fma_f32 v[4:5], v[4:5], v[0:1], v[8:9] op_sel:[0,0,1] op_sel_hi:[1,0,0]
	v_mov_b32_e32 v11, v5
	v_pk_mul_f32 v[4:5], v[6:7], v[2:3] op_sel:[0,1]
	s_delay_alu instid0(VALU_DEP_2) | instskip(NEXT) | instid1(VALU_DEP_2)
	v_pk_add_f32 v[162:163], v[162:163], v[10:11] neg_lo:[0,1] neg_hi:[0,1]
	v_pk_fma_f32 v[8:9], v[6:7], v[0:1], v[4:5] op_sel:[0,0,1] op_sel_hi:[1,1,0] neg_lo:[0,0,1] neg_hi:[0,0,1]
	v_pk_fma_f32 v[4:5], v[6:7], v[0:1], v[4:5] op_sel:[0,0,1] op_sel_hi:[1,0,0]
	s_delay_alu instid0(VALU_DEP_1) | instskip(SKIP_4) | instid1(VALU_DEP_1)
	v_mov_b32_e32 v9, v5
	ds_load_2addr_b64 v[4:7], v80 offset0:39 offset1:40
	v_pk_add_f32 v[164:165], v[164:165], v[8:9] neg_lo:[0,1] neg_hi:[0,1]
	s_wait_dscnt 0x0
	v_pk_mul_f32 v[8:9], v[4:5], v[2:3] op_sel:[0,1]
	v_pk_fma_f32 v[10:11], v[4:5], v[0:1], v[8:9] op_sel:[0,0,1] op_sel_hi:[1,1,0] neg_lo:[0,0,1] neg_hi:[0,0,1]
	v_pk_fma_f32 v[4:5], v[4:5], v[0:1], v[8:9] op_sel:[0,0,1] op_sel_hi:[1,0,0]
	v_dual_mul_f32 v8, v7, v3 :: v_dual_mov_b32 v4, v7
	s_delay_alu instid0(VALU_DEP_2) | instskip(NEXT) | instid1(VALU_DEP_2)
	v_dual_mov_b32 v11, v5 :: v_dual_mov_b32 v5, v6
	v_pk_fma_f32 v[8:9], v[6:7], v[110:111], v[8:9] op_sel_hi:[1,1,0] neg_lo:[0,0,1] neg_hi:[0,0,1]
	v_mul_f32_e32 v6, v7, v0
	s_delay_alu instid0(VALU_DEP_3) | instskip(NEXT) | instid1(VALU_DEP_2)
	v_pk_add_f32 v[160:161], v[160:161], v[10:11] neg_lo:[0,1] neg_hi:[0,1]
	v_pk_fma_f32 v[4:5], v[4:5], v[110:111], v[6:7] op_sel_hi:[1,1,0]
	s_delay_alu instid0(VALU_DEP_1) | instskip(SKIP_4) | instid1(VALU_DEP_1)
	v_mov_b32_e32 v9, v5
	ds_load_2addr_b64 v[4:7], v80 offset0:41 offset1:42
	v_pk_add_f32 v[192:193], v[192:193], v[8:9] neg_lo:[0,1] neg_hi:[0,1]
	s_wait_dscnt 0x0
	v_pk_mul_f32 v[8:9], v[4:5], v[2:3] op_sel:[0,1]
	v_pk_fma_f32 v[10:11], v[4:5], v[0:1], v[8:9] op_sel:[0,0,1] op_sel_hi:[1,1,0] neg_lo:[0,0,1] neg_hi:[0,0,1]
	v_pk_fma_f32 v[4:5], v[4:5], v[0:1], v[8:9] op_sel:[0,0,1] op_sel_hi:[1,0,0]
	s_delay_alu instid0(VALU_DEP_1) | instskip(SKIP_1) | instid1(VALU_DEP_1)
	v_mov_b32_e32 v11, v5
	v_pk_mul_f32 v[4:5], v[6:7], v[2:3] op_sel:[0,1]
	v_pk_fma_f32 v[8:9], v[6:7], v[0:1], v[4:5] op_sel:[0,0,1] op_sel_hi:[1,1,0] neg_lo:[0,0,1] neg_hi:[0,0,1]
	v_pk_fma_f32 v[4:5], v[6:7], v[0:1], v[4:5] op_sel:[0,0,1] op_sel_hi:[1,0,0]
	s_delay_alu instid0(VALU_DEP_1)
	v_mov_b32_e32 v9, v5
	ds_load_2addr_b64 v[4:7], v80 offset0:43 offset1:44
	v_pk_add_f32 v[184:185], v[184:185], v[10:11] neg_lo:[0,1] neg_hi:[0,1]
	v_pk_add_f32 v[190:191], v[190:191], v[8:9] neg_lo:[0,1] neg_hi:[0,1]
	s_wait_dscnt 0x0
	v_pk_mul_f32 v[8:9], v[4:5], v[2:3] op_sel:[0,1]
	s_delay_alu instid0(VALU_DEP_1) | instskip(SKIP_1) | instid1(VALU_DEP_1)
	v_pk_fma_f32 v[10:11], v[4:5], v[0:1], v[8:9] op_sel:[0,0,1] op_sel_hi:[1,1,0] neg_lo:[0,0,1] neg_hi:[0,0,1]
	v_pk_fma_f32 v[4:5], v[4:5], v[0:1], v[8:9] op_sel:[0,0,1] op_sel_hi:[1,0,0]
	v_mov_b32_e32 v11, v5
	v_pk_mul_f32 v[4:5], v[6:7], v[2:3] op_sel:[0,1]
	s_delay_alu instid0(VALU_DEP_1) | instskip(SKIP_1) | instid1(VALU_DEP_1)
	v_pk_fma_f32 v[8:9], v[6:7], v[0:1], v[4:5] op_sel:[0,0,1] op_sel_hi:[1,1,0] neg_lo:[0,0,1] neg_hi:[0,0,1]
	v_pk_fma_f32 v[4:5], v[6:7], v[0:1], v[4:5] op_sel:[0,0,1] op_sel_hi:[1,0,0]
	v_mov_b32_e32 v9, v5
	ds_load_2addr_b64 v[4:7], v80 offset0:45 offset1:46
	v_pk_add_f32 v[182:183], v[182:183], v[10:11] neg_lo:[0,1] neg_hi:[0,1]
	v_pk_add_f32 v[188:189], v[188:189], v[8:9] neg_lo:[0,1] neg_hi:[0,1]
	s_wait_dscnt 0x0
	v_dual_mul_f32 v8, v5, v3 :: v_dual_mul_f32 v10, v5, v0
	s_delay_alu instid0(VALU_DEP_1) | instskip(NEXT) | instid1(VALU_DEP_2)
	v_pk_fma_f32 v[8:9], v[4:5], v[110:111], v[8:9] op_sel_hi:[1,1,0] neg_lo:[0,0,1] neg_hi:[0,0,1]
	v_pk_fma_f32 v[4:5], v[4:5], v[110:111], v[10:11] op_sel:[1,0,0] op_sel_hi:[0,1,0]
	s_delay_alu instid0(VALU_DEP_1) | instskip(SKIP_1) | instid1(VALU_DEP_2)
	v_mov_b32_e32 v9, v5
	v_pk_mul_f32 v[4:5], v[6:7], v[2:3] op_sel:[0,1]
	v_pk_add_f32 v[180:181], v[180:181], v[8:9] neg_lo:[0,1] neg_hi:[0,1]
	s_delay_alu instid0(VALU_DEP_2) | instskip(SKIP_1) | instid1(VALU_DEP_1)
	v_pk_fma_f32 v[8:9], v[6:7], v[0:1], v[4:5] op_sel:[0,0,1] op_sel_hi:[1,1,0] neg_lo:[0,0,1] neg_hi:[0,0,1]
	v_pk_fma_f32 v[4:5], v[6:7], v[0:1], v[4:5] op_sel:[0,0,1] op_sel_hi:[1,0,0]
	v_mov_b32_e32 v9, v5
	ds_load_2addr_b64 v[4:7], v80 offset0:47 offset1:48
	v_pk_add_f32 v[186:187], v[186:187], v[8:9] neg_lo:[0,1] neg_hi:[0,1]
	s_wait_dscnt 0x0
	v_pk_mul_f32 v[8:9], v[4:5], v[2:3] op_sel:[0,1]
	v_pk_mul_f32 v[2:3], v[6:7], v[2:3] op_sel:[0,1]
	s_delay_alu instid0(VALU_DEP_2) | instskip(SKIP_1) | instid1(VALU_DEP_1)
	v_pk_fma_f32 v[10:11], v[4:5], v[0:1], v[8:9] op_sel:[0,0,1] op_sel_hi:[1,1,0] neg_lo:[0,0,1] neg_hi:[0,0,1]
	v_pk_fma_f32 v[4:5], v[4:5], v[0:1], v[8:9] op_sel:[0,0,1] op_sel_hi:[1,0,0]
	v_mov_b32_e32 v11, v5
	s_delay_alu instid0(VALU_DEP_4) | instskip(SKIP_1) | instid1(VALU_DEP_3)
	v_pk_fma_f32 v[4:5], v[6:7], v[0:1], v[2:3] op_sel:[0,0,1] op_sel_hi:[1,1,0] neg_lo:[0,0,1] neg_hi:[0,0,1]
	v_pk_fma_f32 v[0:1], v[6:7], v[0:1], v[2:3] op_sel:[0,0,1] op_sel_hi:[1,0,0]
	v_pk_add_f32 v[194:195], v[194:195], v[10:11] neg_lo:[0,1] neg_hi:[0,1]
	s_delay_alu instid0(VALU_DEP_2) | instskip(NEXT) | instid1(VALU_DEP_1)
	v_mov_b32_e32 v5, v1
	v_pk_add_f32 v[196:197], v[196:197], v[4:5] neg_lo:[0,1] neg_hi:[0,1]
.LBB97_244:
	s_wait_xcnt 0x0
	s_or_b32 exec_lo, exec_lo, s1
	s_delay_alu instid0(SALU_CYCLE_1)
	s_mov_b32 s2, exec_lo
	s_wait_storecnt 0x0
	s_barrier_signal -1
	s_barrier_wait -1
	v_cmpx_eq_u32_e32 27, v78
	s_cbranch_execz .LBB97_251
; %bb.245:
	v_dual_mov_b32 v0, v128 :: v_dual_mov_b32 v1, v129
	v_dual_mov_b32 v2, v124 :: v_dual_mov_b32 v3, v125
	ds_store_b64 v79, v[106:107]
	ds_store_2addr_b64 v80, v[0:1], v[2:3] offset0:28 offset1:29
	v_dual_mov_b32 v0, v126 :: v_dual_mov_b32 v1, v127
	v_dual_mov_b32 v2, v122 :: v_dual_mov_b32 v3, v123
	ds_store_2addr_b64 v80, v[0:1], v[2:3] offset0:30 offset1:31
	v_dual_mov_b32 v0, v144 :: v_dual_mov_b32 v1, v145
	v_dual_mov_b32 v2, v140 :: v_dual_mov_b32 v3, v141
	;; [unrolled: 3-line block ×9, first 2 shown]
	ds_store_2addr_b64 v80, v[0:1], v[2:3] offset0:46 offset1:47
	ds_store_b64 v80, v[196:197] offset:384
	ds_load_b64 v[0:1], v79
	s_wait_dscnt 0x0
	v_cmp_neq_f32_e32 vcc_lo, 0, v0
	v_cmp_neq_f32_e64 s1, 0, v1
	s_or_b32 s1, vcc_lo, s1
	s_delay_alu instid0(SALU_CYCLE_1)
	s_and_b32 exec_lo, exec_lo, s1
	s_cbranch_execz .LBB97_251
; %bb.246:
	v_cmp_ngt_f32_e64 s1, |v0|, |v1|
                                        ; implicit-def: $vgpr2_vgpr3
	s_and_saveexec_b32 s4, s1
	s_delay_alu instid0(SALU_CYCLE_1)
	s_xor_b32 s1, exec_lo, s4
	s_cbranch_execz .LBB97_248
; %bb.247:
	v_div_scale_f32 v2, null, v1, v1, v0
	v_div_scale_f32 v5, vcc_lo, v0, v1, v0
	s_delay_alu instid0(VALU_DEP_2) | instskip(SKIP_1) | instid1(TRANS32_DEP_1)
	v_rcp_f32_e32 v3, v2
	v_nop
	v_fma_f32 v4, -v2, v3, 1.0
	s_delay_alu instid0(VALU_DEP_1) | instskip(NEXT) | instid1(VALU_DEP_1)
	v_fmac_f32_e32 v3, v4, v3
	v_mul_f32_e32 v4, v5, v3
	s_delay_alu instid0(VALU_DEP_1) | instskip(NEXT) | instid1(VALU_DEP_1)
	v_fma_f32 v6, -v2, v4, v5
	v_fmac_f32_e32 v4, v6, v3
	s_delay_alu instid0(VALU_DEP_1) | instskip(NEXT) | instid1(VALU_DEP_1)
	v_fma_f32 v2, -v2, v4, v5
	v_div_fmas_f32 v2, v2, v3, v4
	s_delay_alu instid0(VALU_DEP_1) | instskip(NEXT) | instid1(VALU_DEP_1)
	v_div_fixup_f32 v2, v2, v1, v0
	v_fmac_f32_e32 v1, v0, v2
	s_delay_alu instid0(VALU_DEP_1) | instskip(SKIP_1) | instid1(VALU_DEP_2)
	v_div_scale_f32 v0, null, v1, v1, 1.0
	v_div_scale_f32 v5, vcc_lo, 1.0, v1, 1.0
	v_rcp_f32_e32 v3, v0
	v_nop
	s_delay_alu instid0(TRANS32_DEP_1) | instskip(NEXT) | instid1(VALU_DEP_1)
	v_fma_f32 v4, -v0, v3, 1.0
	v_fmac_f32_e32 v3, v4, v3
	s_delay_alu instid0(VALU_DEP_1) | instskip(NEXT) | instid1(VALU_DEP_1)
	v_mul_f32_e32 v4, v5, v3
	v_fma_f32 v6, -v0, v4, v5
	s_delay_alu instid0(VALU_DEP_1) | instskip(NEXT) | instid1(VALU_DEP_1)
	v_fmac_f32_e32 v4, v6, v3
	v_fma_f32 v0, -v0, v4, v5
	s_delay_alu instid0(VALU_DEP_1) | instskip(NEXT) | instid1(VALU_DEP_1)
	v_div_fmas_f32 v0, v0, v3, v4
	v_div_fixup_f32 v0, v0, v1, 1.0
	s_delay_alu instid0(VALU_DEP_1)
	v_mul_f32_e32 v2, v2, v0
	v_xor_b32_e32 v3, 0x80000000, v0
                                        ; implicit-def: $vgpr0_vgpr1
.LBB97_248:
	s_and_not1_saveexec_b32 s1, s1
	s_cbranch_execz .LBB97_250
; %bb.249:
	v_div_scale_f32 v2, null, v0, v0, v1
	v_div_scale_f32 v5, vcc_lo, v1, v0, v1
	s_delay_alu instid0(VALU_DEP_2) | instskip(SKIP_1) | instid1(TRANS32_DEP_1)
	v_rcp_f32_e32 v3, v2
	v_nop
	v_fma_f32 v4, -v2, v3, 1.0
	s_delay_alu instid0(VALU_DEP_1) | instskip(NEXT) | instid1(VALU_DEP_1)
	v_fmac_f32_e32 v3, v4, v3
	v_mul_f32_e32 v4, v5, v3
	s_delay_alu instid0(VALU_DEP_1) | instskip(NEXT) | instid1(VALU_DEP_1)
	v_fma_f32 v6, -v2, v4, v5
	v_fmac_f32_e32 v4, v6, v3
	s_delay_alu instid0(VALU_DEP_1) | instskip(NEXT) | instid1(VALU_DEP_1)
	v_fma_f32 v2, -v2, v4, v5
	v_div_fmas_f32 v2, v2, v3, v4
	s_delay_alu instid0(VALU_DEP_1) | instskip(NEXT) | instid1(VALU_DEP_1)
	v_div_fixup_f32 v3, v2, v0, v1
	v_fmac_f32_e32 v0, v1, v3
	s_delay_alu instid0(VALU_DEP_1) | instskip(NEXT) | instid1(VALU_DEP_1)
	v_div_scale_f32 v1, null, v0, v0, 1.0
	v_rcp_f32_e32 v2, v1
	v_nop
	s_delay_alu instid0(TRANS32_DEP_1) | instskip(NEXT) | instid1(VALU_DEP_1)
	v_fma_f32 v4, -v1, v2, 1.0
	v_fmac_f32_e32 v2, v4, v2
	v_div_scale_f32 v4, vcc_lo, 1.0, v0, 1.0
	s_delay_alu instid0(VALU_DEP_1) | instskip(NEXT) | instid1(VALU_DEP_1)
	v_mul_f32_e32 v5, v4, v2
	v_fma_f32 v6, -v1, v5, v4
	s_delay_alu instid0(VALU_DEP_1) | instskip(NEXT) | instid1(VALU_DEP_1)
	v_fmac_f32_e32 v5, v6, v2
	v_fma_f32 v1, -v1, v5, v4
	s_delay_alu instid0(VALU_DEP_1) | instskip(NEXT) | instid1(VALU_DEP_1)
	v_div_fmas_f32 v1, v1, v2, v5
	v_div_fixup_f32 v2, v1, v0, 1.0
	s_delay_alu instid0(VALU_DEP_1)
	v_mul_f32_e64 v3, v3, -v2
.LBB97_250:
	s_or_b32 exec_lo, exec_lo, s1
	ds_store_b64 v79, v[2:3]
.LBB97_251:
	s_or_b32 exec_lo, exec_lo, s2
	s_wait_dscnt 0x0
	s_barrier_signal -1
	s_barrier_wait -1
	ds_load_b64 v[0:1], v79
	s_mov_b32 s1, exec_lo
	s_wait_dscnt 0x0
	scratch_store_b64 off, v[0:1], off offset:184 ; 8-byte Folded Spill
	s_wait_xcnt 0x0
	v_cmpx_lt_u32_e32 27, v78
	s_cbranch_execz .LBB97_253
; %bb.252:
	scratch_load_b64 v[4:5], off, off offset:184 ; 8-byte Folded Reload
	s_wait_loadcnt 0x0
	v_pk_mul_f32 v[2:3], v[4:5], v[106:107] op_sel:[1,1] op_sel_hi:[0,1]
	s_delay_alu instid0(VALU_DEP_1)
	v_pk_fma_f32 v[0:1], v[4:5], v[106:107], v[2:3] op_sel_hi:[1,0,1] neg_lo:[0,0,1] neg_hi:[0,0,1]
	v_pk_fma_f32 v[2:3], v[4:5], v[106:107], v[2:3] op_sel_hi:[1,0,1]
	ds_load_2addr_b64 v[4:7], v80 offset0:28 offset1:29
	v_dual_mov_b32 v106, v0 :: v_dual_mov_b32 v107, v3
	s_wait_dscnt 0x0
	v_pk_mul_f32 v[8:9], v[4:5], v[2:3] op_sel:[0,1]
	s_delay_alu instid0(VALU_DEP_1) | instskip(SKIP_1) | instid1(VALU_DEP_1)
	v_pk_fma_f32 v[10:11], v[4:5], v[0:1], v[8:9] op_sel:[0,0,1] op_sel_hi:[1,1,0] neg_lo:[0,0,1] neg_hi:[0,0,1]
	v_pk_fma_f32 v[4:5], v[4:5], v[0:1], v[8:9] op_sel:[0,0,1] op_sel_hi:[1,0,0]
	v_mov_b32_e32 v11, v5
	v_pk_mul_f32 v[4:5], v[6:7], v[2:3] op_sel:[0,1]
	s_delay_alu instid0(VALU_DEP_1) | instskip(SKIP_1) | instid1(VALU_DEP_1)
	v_pk_fma_f32 v[8:9], v[6:7], v[0:1], v[4:5] op_sel:[0,0,1] op_sel_hi:[1,1,0] neg_lo:[0,0,1] neg_hi:[0,0,1]
	v_pk_fma_f32 v[4:5], v[6:7], v[0:1], v[4:5] op_sel:[0,0,1] op_sel_hi:[1,0,0]
	v_mov_b32_e32 v9, v5
	ds_load_2addr_b64 v[4:7], v80 offset0:30 offset1:31
	v_pk_add_f32 v[128:129], v[128:129], v[10:11] neg_lo:[0,1] neg_hi:[0,1]
	v_pk_add_f32 v[124:125], v[124:125], v[8:9] neg_lo:[0,1] neg_hi:[0,1]
	s_wait_dscnt 0x0
	v_pk_mul_f32 v[8:9], v[4:5], v[2:3] op_sel:[0,1]
	s_delay_alu instid0(VALU_DEP_1) | instskip(SKIP_2) | instid1(VALU_DEP_2)
	v_pk_fma_f32 v[10:11], v[4:5], v[0:1], v[8:9] op_sel:[0,0,1] op_sel_hi:[1,1,0] neg_lo:[0,0,1] neg_hi:[0,0,1]
	v_pk_fma_f32 v[4:5], v[4:5], v[0:1], v[8:9] op_sel:[0,0,1] op_sel_hi:[1,0,0]
	v_dual_mul_f32 v8, v7, v3 :: v_dual_mov_b32 v4, v7
	v_dual_mov_b32 v11, v5 :: v_dual_mov_b32 v5, v6
	s_delay_alu instid0(VALU_DEP_2) | instskip(SKIP_1) | instid1(VALU_DEP_3)
	v_pk_fma_f32 v[8:9], v[6:7], v[106:107], v[8:9] op_sel_hi:[1,1,0] neg_lo:[0,0,1] neg_hi:[0,0,1]
	v_mul_f32_e32 v6, v7, v0
	v_pk_add_f32 v[126:127], v[126:127], v[10:11] neg_lo:[0,1] neg_hi:[0,1]
	s_delay_alu instid0(VALU_DEP_2) | instskip(NEXT) | instid1(VALU_DEP_1)
	v_pk_fma_f32 v[4:5], v[4:5], v[106:107], v[6:7] op_sel_hi:[1,1,0]
	v_mov_b32_e32 v9, v5
	ds_load_2addr_b64 v[4:7], v80 offset0:32 offset1:33
	v_pk_add_f32 v[122:123], v[122:123], v[8:9] neg_lo:[0,1] neg_hi:[0,1]
	s_wait_dscnt 0x0
	v_pk_mul_f32 v[8:9], v[4:5], v[2:3] op_sel:[0,1]
	s_delay_alu instid0(VALU_DEP_1) | instskip(SKIP_1) | instid1(VALU_DEP_1)
	v_pk_fma_f32 v[10:11], v[4:5], v[0:1], v[8:9] op_sel:[0,0,1] op_sel_hi:[1,1,0] neg_lo:[0,0,1] neg_hi:[0,0,1]
	v_pk_fma_f32 v[4:5], v[4:5], v[0:1], v[8:9] op_sel:[0,0,1] op_sel_hi:[1,0,0]
	v_mov_b32_e32 v11, v5
	v_pk_mul_f32 v[4:5], v[6:7], v[2:3] op_sel:[0,1]
	s_delay_alu instid0(VALU_DEP_1) | instskip(SKIP_1) | instid1(VALU_DEP_1)
	v_pk_fma_f32 v[8:9], v[6:7], v[0:1], v[4:5] op_sel:[0,0,1] op_sel_hi:[1,1,0] neg_lo:[0,0,1] neg_hi:[0,0,1]
	v_pk_fma_f32 v[4:5], v[6:7], v[0:1], v[4:5] op_sel:[0,0,1] op_sel_hi:[1,0,0]
	v_mov_b32_e32 v9, v5
	ds_load_2addr_b64 v[4:7], v80 offset0:34 offset1:35
	v_pk_add_f32 v[144:145], v[144:145], v[10:11] neg_lo:[0,1] neg_hi:[0,1]
	v_pk_add_f32 v[140:141], v[140:141], v[8:9] neg_lo:[0,1] neg_hi:[0,1]
	s_wait_dscnt 0x0
	v_pk_mul_f32 v[8:9], v[4:5], v[2:3] op_sel:[0,1]
	s_delay_alu instid0(VALU_DEP_1) | instskip(SKIP_1) | instid1(VALU_DEP_1)
	v_pk_fma_f32 v[10:11], v[4:5], v[0:1], v[8:9] op_sel:[0,0,1] op_sel_hi:[1,1,0] neg_lo:[0,0,1] neg_hi:[0,0,1]
	v_pk_fma_f32 v[4:5], v[4:5], v[0:1], v[8:9] op_sel:[0,0,1] op_sel_hi:[1,0,0]
	v_mov_b32_e32 v11, v5
	v_pk_mul_f32 v[4:5], v[6:7], v[2:3] op_sel:[0,1]
	s_delay_alu instid0(VALU_DEP_1) | instskip(SKIP_1) | instid1(VALU_DEP_1)
	v_pk_fma_f32 v[8:9], v[6:7], v[0:1], v[4:5] op_sel:[0,0,1] op_sel_hi:[1,1,0] neg_lo:[0,0,1] neg_hi:[0,0,1]
	v_pk_fma_f32 v[4:5], v[6:7], v[0:1], v[4:5] op_sel:[0,0,1] op_sel_hi:[1,0,0]
	v_mov_b32_e32 v9, v5
	ds_load_2addr_b64 v[4:7], v80 offset0:36 offset1:37
	v_pk_add_f32 v[142:143], v[142:143], v[10:11] neg_lo:[0,1] neg_hi:[0,1]
	v_pk_add_f32 v[138:139], v[138:139], v[8:9] neg_lo:[0,1] neg_hi:[0,1]
	s_wait_dscnt 0x0
	v_dual_mul_f32 v8, v5, v3 :: v_dual_mul_f32 v10, v5, v0
	s_delay_alu instid0(VALU_DEP_1) | instskip(NEXT) | instid1(VALU_DEP_2)
	v_pk_fma_f32 v[8:9], v[4:5], v[106:107], v[8:9] op_sel_hi:[1,1,0] neg_lo:[0,0,1] neg_hi:[0,0,1]
	v_pk_fma_f32 v[4:5], v[4:5], v[106:107], v[10:11] op_sel:[1,0,0] op_sel_hi:[0,1,0]
	s_delay_alu instid0(VALU_DEP_1) | instskip(SKIP_1) | instid1(VALU_DEP_2)
	v_mov_b32_e32 v9, v5
	v_pk_mul_f32 v[4:5], v[6:7], v[2:3] op_sel:[0,1]
	v_pk_add_f32 v[166:167], v[166:167], v[8:9] neg_lo:[0,1] neg_hi:[0,1]
	s_delay_alu instid0(VALU_DEP_2) | instskip(SKIP_1) | instid1(VALU_DEP_1)
	v_pk_fma_f32 v[8:9], v[6:7], v[0:1], v[4:5] op_sel:[0,0,1] op_sel_hi:[1,1,0] neg_lo:[0,0,1] neg_hi:[0,0,1]
	v_pk_fma_f32 v[4:5], v[6:7], v[0:1], v[4:5] op_sel:[0,0,1] op_sel_hi:[1,0,0]
	v_mov_b32_e32 v9, v5
	ds_load_2addr_b64 v[4:7], v80 offset0:38 offset1:39
	v_pk_add_f32 v[162:163], v[162:163], v[8:9] neg_lo:[0,1] neg_hi:[0,1]
	s_wait_dscnt 0x0
	v_pk_mul_f32 v[8:9], v[4:5], v[2:3] op_sel:[0,1]
	s_delay_alu instid0(VALU_DEP_1) | instskip(SKIP_1) | instid1(VALU_DEP_1)
	v_pk_fma_f32 v[10:11], v[4:5], v[0:1], v[8:9] op_sel:[0,0,1] op_sel_hi:[1,1,0] neg_lo:[0,0,1] neg_hi:[0,0,1]
	v_pk_fma_f32 v[4:5], v[4:5], v[0:1], v[8:9] op_sel:[0,0,1] op_sel_hi:[1,0,0]
	v_mov_b32_e32 v11, v5
	v_pk_mul_f32 v[4:5], v[6:7], v[2:3] op_sel:[0,1]
	s_delay_alu instid0(VALU_DEP_2) | instskip(NEXT) | instid1(VALU_DEP_2)
	v_pk_add_f32 v[164:165], v[164:165], v[10:11] neg_lo:[0,1] neg_hi:[0,1]
	v_pk_fma_f32 v[8:9], v[6:7], v[0:1], v[4:5] op_sel:[0,0,1] op_sel_hi:[1,1,0] neg_lo:[0,0,1] neg_hi:[0,0,1]
	v_pk_fma_f32 v[4:5], v[6:7], v[0:1], v[4:5] op_sel:[0,0,1] op_sel_hi:[1,0,0]
	s_delay_alu instid0(VALU_DEP_1) | instskip(SKIP_4) | instid1(VALU_DEP_1)
	v_mov_b32_e32 v9, v5
	ds_load_2addr_b64 v[4:7], v80 offset0:40 offset1:41
	v_pk_add_f32 v[160:161], v[160:161], v[8:9] neg_lo:[0,1] neg_hi:[0,1]
	s_wait_dscnt 0x0
	v_pk_mul_f32 v[8:9], v[4:5], v[2:3] op_sel:[0,1]
	v_pk_fma_f32 v[10:11], v[4:5], v[0:1], v[8:9] op_sel:[0,0,1] op_sel_hi:[1,1,0] neg_lo:[0,0,1] neg_hi:[0,0,1]
	v_pk_fma_f32 v[4:5], v[4:5], v[0:1], v[8:9] op_sel:[0,0,1] op_sel_hi:[1,0,0]
	v_dual_mul_f32 v8, v7, v3 :: v_dual_mov_b32 v4, v7
	s_delay_alu instid0(VALU_DEP_2) | instskip(NEXT) | instid1(VALU_DEP_2)
	v_dual_mov_b32 v11, v5 :: v_dual_mov_b32 v5, v6
	v_pk_fma_f32 v[8:9], v[6:7], v[106:107], v[8:9] op_sel_hi:[1,1,0] neg_lo:[0,0,1] neg_hi:[0,0,1]
	v_mul_f32_e32 v6, v7, v0
	s_delay_alu instid0(VALU_DEP_3) | instskip(NEXT) | instid1(VALU_DEP_2)
	v_pk_add_f32 v[192:193], v[192:193], v[10:11] neg_lo:[0,1] neg_hi:[0,1]
	v_pk_fma_f32 v[4:5], v[4:5], v[106:107], v[6:7] op_sel_hi:[1,1,0]
	s_delay_alu instid0(VALU_DEP_1) | instskip(SKIP_4) | instid1(VALU_DEP_1)
	v_mov_b32_e32 v9, v5
	ds_load_2addr_b64 v[4:7], v80 offset0:42 offset1:43
	v_pk_add_f32 v[184:185], v[184:185], v[8:9] neg_lo:[0,1] neg_hi:[0,1]
	s_wait_dscnt 0x0
	v_pk_mul_f32 v[8:9], v[4:5], v[2:3] op_sel:[0,1]
	v_pk_fma_f32 v[10:11], v[4:5], v[0:1], v[8:9] op_sel:[0,0,1] op_sel_hi:[1,1,0] neg_lo:[0,0,1] neg_hi:[0,0,1]
	v_pk_fma_f32 v[4:5], v[4:5], v[0:1], v[8:9] op_sel:[0,0,1] op_sel_hi:[1,0,0]
	s_delay_alu instid0(VALU_DEP_1) | instskip(SKIP_1) | instid1(VALU_DEP_1)
	v_mov_b32_e32 v11, v5
	v_pk_mul_f32 v[4:5], v[6:7], v[2:3] op_sel:[0,1]
	v_pk_fma_f32 v[8:9], v[6:7], v[0:1], v[4:5] op_sel:[0,0,1] op_sel_hi:[1,1,0] neg_lo:[0,0,1] neg_hi:[0,0,1]
	v_pk_fma_f32 v[4:5], v[6:7], v[0:1], v[4:5] op_sel:[0,0,1] op_sel_hi:[1,0,0]
	s_delay_alu instid0(VALU_DEP_1)
	v_mov_b32_e32 v9, v5
	ds_load_2addr_b64 v[4:7], v80 offset0:44 offset1:45
	v_pk_add_f32 v[190:191], v[190:191], v[10:11] neg_lo:[0,1] neg_hi:[0,1]
	v_pk_add_f32 v[182:183], v[182:183], v[8:9] neg_lo:[0,1] neg_hi:[0,1]
	s_wait_dscnt 0x0
	v_pk_mul_f32 v[8:9], v[4:5], v[2:3] op_sel:[0,1]
	s_delay_alu instid0(VALU_DEP_1) | instskip(SKIP_1) | instid1(VALU_DEP_1)
	v_pk_fma_f32 v[10:11], v[4:5], v[0:1], v[8:9] op_sel:[0,0,1] op_sel_hi:[1,1,0] neg_lo:[0,0,1] neg_hi:[0,0,1]
	v_pk_fma_f32 v[4:5], v[4:5], v[0:1], v[8:9] op_sel:[0,0,1] op_sel_hi:[1,0,0]
	v_mov_b32_e32 v11, v5
	v_pk_mul_f32 v[4:5], v[6:7], v[2:3] op_sel:[0,1]
	s_delay_alu instid0(VALU_DEP_1) | instskip(SKIP_1) | instid1(VALU_DEP_1)
	v_pk_fma_f32 v[8:9], v[6:7], v[0:1], v[4:5] op_sel:[0,0,1] op_sel_hi:[1,1,0] neg_lo:[0,0,1] neg_hi:[0,0,1]
	v_pk_fma_f32 v[4:5], v[6:7], v[0:1], v[4:5] op_sel:[0,0,1] op_sel_hi:[1,0,0]
	v_mov_b32_e32 v9, v5
	ds_load_2addr_b64 v[4:7], v80 offset0:46 offset1:47
	v_pk_add_f32 v[188:189], v[188:189], v[10:11] neg_lo:[0,1] neg_hi:[0,1]
	v_pk_add_f32 v[180:181], v[180:181], v[8:9] neg_lo:[0,1] neg_hi:[0,1]
	s_wait_dscnt 0x0
	v_dual_mul_f32 v8, v5, v3 :: v_dual_mul_f32 v10, v5, v0
	s_delay_alu instid0(VALU_DEP_1) | instskip(NEXT) | instid1(VALU_DEP_2)
	v_pk_fma_f32 v[8:9], v[4:5], v[106:107], v[8:9] op_sel_hi:[1,1,0] neg_lo:[0,0,1] neg_hi:[0,0,1]
	v_pk_fma_f32 v[4:5], v[4:5], v[106:107], v[10:11] op_sel:[1,0,0] op_sel_hi:[0,1,0]
	s_delay_alu instid0(VALU_DEP_1) | instskip(SKIP_1) | instid1(VALU_DEP_2)
	v_mov_b32_e32 v9, v5
	v_pk_mul_f32 v[4:5], v[6:7], v[2:3] op_sel:[0,1]
	v_pk_add_f32 v[186:187], v[186:187], v[8:9] neg_lo:[0,1] neg_hi:[0,1]
	s_delay_alu instid0(VALU_DEP_2) | instskip(SKIP_1) | instid1(VALU_DEP_1)
	v_pk_fma_f32 v[8:9], v[6:7], v[0:1], v[4:5] op_sel:[0,0,1] op_sel_hi:[1,1,0] neg_lo:[0,0,1] neg_hi:[0,0,1]
	v_pk_fma_f32 v[4:5], v[6:7], v[0:1], v[4:5] op_sel:[0,0,1] op_sel_hi:[1,0,0]
	v_mov_b32_e32 v9, v5
	ds_load_b64 v[4:5], v80 offset:384
	v_pk_add_f32 v[194:195], v[194:195], v[8:9] neg_lo:[0,1] neg_hi:[0,1]
	s_wait_dscnt 0x0
	v_pk_mul_f32 v[2:3], v[4:5], v[2:3] op_sel:[0,1]
	s_delay_alu instid0(VALU_DEP_1) | instskip(SKIP_1) | instid1(VALU_DEP_1)
	v_pk_fma_f32 v[6:7], v[4:5], v[0:1], v[2:3] op_sel:[0,0,1] op_sel_hi:[1,1,0] neg_lo:[0,0,1] neg_hi:[0,0,1]
	v_pk_fma_f32 v[0:1], v[4:5], v[0:1], v[2:3] op_sel:[0,0,1] op_sel_hi:[1,0,0]
	v_mov_b32_e32 v7, v1
	s_delay_alu instid0(VALU_DEP_1)
	v_pk_add_f32 v[196:197], v[196:197], v[6:7] neg_lo:[0,1] neg_hi:[0,1]
.LBB97_253:
	s_wait_xcnt 0x0
	s_or_b32 exec_lo, exec_lo, s1
	s_delay_alu instid0(SALU_CYCLE_1)
	s_mov_b32 s2, exec_lo
	s_wait_storecnt 0x0
	s_barrier_signal -1
	s_barrier_wait -1
	v_cmpx_eq_u32_e32 28, v78
	s_cbranch_execz .LBB97_260
; %bb.254:
	ds_store_b64 v79, v[128:129]
	ds_store_2addr_b64 v80, v[124:125], v[126:127] offset0:29 offset1:30
	ds_store_2addr_b64 v80, v[122:123], v[144:145] offset0:31 offset1:32
	;; [unrolled: 1-line block ×10, first 2 shown]
	ds_load_b64 v[0:1], v79
	s_wait_dscnt 0x0
	v_cmp_neq_f32_e32 vcc_lo, 0, v0
	v_cmp_neq_f32_e64 s1, 0, v1
	s_or_b32 s1, vcc_lo, s1
	s_delay_alu instid0(SALU_CYCLE_1)
	s_and_b32 exec_lo, exec_lo, s1
	s_cbranch_execz .LBB97_260
; %bb.255:
	v_cmp_ngt_f32_e64 s1, |v0|, |v1|
                                        ; implicit-def: $vgpr2_vgpr3
	s_and_saveexec_b32 s4, s1
	s_delay_alu instid0(SALU_CYCLE_1)
	s_xor_b32 s1, exec_lo, s4
	s_cbranch_execz .LBB97_257
; %bb.256:
	v_div_scale_f32 v2, null, v1, v1, v0
	v_div_scale_f32 v5, vcc_lo, v0, v1, v0
	s_delay_alu instid0(VALU_DEP_2) | instskip(SKIP_1) | instid1(TRANS32_DEP_1)
	v_rcp_f32_e32 v3, v2
	v_nop
	v_fma_f32 v4, -v2, v3, 1.0
	s_delay_alu instid0(VALU_DEP_1) | instskip(NEXT) | instid1(VALU_DEP_1)
	v_fmac_f32_e32 v3, v4, v3
	v_mul_f32_e32 v4, v5, v3
	s_delay_alu instid0(VALU_DEP_1) | instskip(NEXT) | instid1(VALU_DEP_1)
	v_fma_f32 v6, -v2, v4, v5
	v_fmac_f32_e32 v4, v6, v3
	s_delay_alu instid0(VALU_DEP_1) | instskip(NEXT) | instid1(VALU_DEP_1)
	v_fma_f32 v2, -v2, v4, v5
	v_div_fmas_f32 v2, v2, v3, v4
	s_delay_alu instid0(VALU_DEP_1) | instskip(NEXT) | instid1(VALU_DEP_1)
	v_div_fixup_f32 v2, v2, v1, v0
	v_fmac_f32_e32 v1, v0, v2
	s_delay_alu instid0(VALU_DEP_1) | instskip(SKIP_1) | instid1(VALU_DEP_2)
	v_div_scale_f32 v0, null, v1, v1, 1.0
	v_div_scale_f32 v5, vcc_lo, 1.0, v1, 1.0
	v_rcp_f32_e32 v3, v0
	v_nop
	s_delay_alu instid0(TRANS32_DEP_1) | instskip(NEXT) | instid1(VALU_DEP_1)
	v_fma_f32 v4, -v0, v3, 1.0
	v_fmac_f32_e32 v3, v4, v3
	s_delay_alu instid0(VALU_DEP_1) | instskip(NEXT) | instid1(VALU_DEP_1)
	v_mul_f32_e32 v4, v5, v3
	v_fma_f32 v6, -v0, v4, v5
	s_delay_alu instid0(VALU_DEP_1) | instskip(NEXT) | instid1(VALU_DEP_1)
	v_fmac_f32_e32 v4, v6, v3
	v_fma_f32 v0, -v0, v4, v5
	s_delay_alu instid0(VALU_DEP_1) | instskip(NEXT) | instid1(VALU_DEP_1)
	v_div_fmas_f32 v0, v0, v3, v4
	v_div_fixup_f32 v0, v0, v1, 1.0
	s_delay_alu instid0(VALU_DEP_1)
	v_mul_f32_e32 v2, v2, v0
	v_xor_b32_e32 v3, 0x80000000, v0
                                        ; implicit-def: $vgpr0_vgpr1
.LBB97_257:
	s_and_not1_saveexec_b32 s1, s1
	s_cbranch_execz .LBB97_259
; %bb.258:
	v_div_scale_f32 v2, null, v0, v0, v1
	v_div_scale_f32 v5, vcc_lo, v1, v0, v1
	s_delay_alu instid0(VALU_DEP_2) | instskip(SKIP_1) | instid1(TRANS32_DEP_1)
	v_rcp_f32_e32 v3, v2
	v_nop
	v_fma_f32 v4, -v2, v3, 1.0
	s_delay_alu instid0(VALU_DEP_1) | instskip(NEXT) | instid1(VALU_DEP_1)
	v_fmac_f32_e32 v3, v4, v3
	v_mul_f32_e32 v4, v5, v3
	s_delay_alu instid0(VALU_DEP_1) | instskip(NEXT) | instid1(VALU_DEP_1)
	v_fma_f32 v6, -v2, v4, v5
	v_fmac_f32_e32 v4, v6, v3
	s_delay_alu instid0(VALU_DEP_1) | instskip(NEXT) | instid1(VALU_DEP_1)
	v_fma_f32 v2, -v2, v4, v5
	v_div_fmas_f32 v2, v2, v3, v4
	s_delay_alu instid0(VALU_DEP_1) | instskip(NEXT) | instid1(VALU_DEP_1)
	v_div_fixup_f32 v3, v2, v0, v1
	v_fmac_f32_e32 v0, v1, v3
	s_delay_alu instid0(VALU_DEP_1) | instskip(NEXT) | instid1(VALU_DEP_1)
	v_div_scale_f32 v1, null, v0, v0, 1.0
	v_rcp_f32_e32 v2, v1
	v_nop
	s_delay_alu instid0(TRANS32_DEP_1) | instskip(NEXT) | instid1(VALU_DEP_1)
	v_fma_f32 v4, -v1, v2, 1.0
	v_fmac_f32_e32 v2, v4, v2
	v_div_scale_f32 v4, vcc_lo, 1.0, v0, 1.0
	s_delay_alu instid0(VALU_DEP_1) | instskip(NEXT) | instid1(VALU_DEP_1)
	v_mul_f32_e32 v5, v4, v2
	v_fma_f32 v6, -v1, v5, v4
	s_delay_alu instid0(VALU_DEP_1) | instskip(NEXT) | instid1(VALU_DEP_1)
	v_fmac_f32_e32 v5, v6, v2
	v_fma_f32 v1, -v1, v5, v4
	s_delay_alu instid0(VALU_DEP_1) | instskip(NEXT) | instid1(VALU_DEP_1)
	v_div_fmas_f32 v1, v1, v2, v5
	v_div_fixup_f32 v2, v1, v0, 1.0
	s_delay_alu instid0(VALU_DEP_1)
	v_mul_f32_e64 v3, v3, -v2
.LBB97_259:
	s_or_b32 exec_lo, exec_lo, s1
	ds_store_b64 v79, v[2:3]
.LBB97_260:
	s_or_b32 exec_lo, exec_lo, s2
	s_wait_dscnt 0x0
	s_barrier_signal -1
	s_barrier_wait -1
	ds_load_b64 v[0:1], v79
	s_mov_b32 s1, exec_lo
	s_wait_dscnt 0x0
	scratch_store_b64 off, v[0:1], off offset:192 ; 8-byte Folded Spill
	s_wait_xcnt 0x0
	v_cmpx_lt_u32_e32 28, v78
	s_cbranch_execz .LBB97_262
; %bb.261:
	scratch_load_b64 v[4:5], off, off offset:192 ; 8-byte Folded Reload
	s_wait_loadcnt 0x0
	v_pk_mul_f32 v[2:3], v[4:5], v[128:129] op_sel:[1,1] op_sel_hi:[0,1]
	s_delay_alu instid0(VALU_DEP_1)
	v_pk_fma_f32 v[0:1], v[4:5], v[128:129], v[2:3] op_sel_hi:[1,0,1] neg_lo:[0,0,1] neg_hi:[0,0,1]
	v_pk_fma_f32 v[2:3], v[4:5], v[128:129], v[2:3] op_sel_hi:[1,0,1]
	ds_load_2addr_b64 v[4:7], v80 offset0:29 offset1:30
	v_dual_mov_b32 v128, v0 :: v_dual_mov_b32 v129, v3
	s_wait_dscnt 0x0
	v_pk_mul_f32 v[8:9], v[4:5], v[2:3] op_sel:[0,1]
	s_delay_alu instid0(VALU_DEP_1) | instskip(SKIP_1) | instid1(VALU_DEP_1)
	v_pk_fma_f32 v[10:11], v[4:5], v[0:1], v[8:9] op_sel:[0,0,1] op_sel_hi:[1,1,0] neg_lo:[0,0,1] neg_hi:[0,0,1]
	v_pk_fma_f32 v[4:5], v[4:5], v[0:1], v[8:9] op_sel:[0,0,1] op_sel_hi:[1,0,0]
	v_mov_b32_e32 v11, v5
	v_pk_mul_f32 v[4:5], v[6:7], v[2:3] op_sel:[0,1]
	s_delay_alu instid0(VALU_DEP_1) | instskip(SKIP_1) | instid1(VALU_DEP_1)
	v_pk_fma_f32 v[8:9], v[6:7], v[0:1], v[4:5] op_sel:[0,0,1] op_sel_hi:[1,1,0] neg_lo:[0,0,1] neg_hi:[0,0,1]
	v_pk_fma_f32 v[4:5], v[6:7], v[0:1], v[4:5] op_sel:[0,0,1] op_sel_hi:[1,0,0]
	v_mov_b32_e32 v9, v5
	ds_load_2addr_b64 v[4:7], v80 offset0:31 offset1:32
	v_pk_add_f32 v[124:125], v[124:125], v[10:11] neg_lo:[0,1] neg_hi:[0,1]
	v_pk_add_f32 v[126:127], v[126:127], v[8:9] neg_lo:[0,1] neg_hi:[0,1]
	s_wait_dscnt 0x0
	v_pk_mul_f32 v[8:9], v[4:5], v[2:3] op_sel:[0,1]
	s_delay_alu instid0(VALU_DEP_1) | instskip(SKIP_2) | instid1(VALU_DEP_2)
	v_pk_fma_f32 v[10:11], v[4:5], v[0:1], v[8:9] op_sel:[0,0,1] op_sel_hi:[1,1,0] neg_lo:[0,0,1] neg_hi:[0,0,1]
	v_pk_fma_f32 v[4:5], v[4:5], v[0:1], v[8:9] op_sel:[0,0,1] op_sel_hi:[1,0,0]
	v_dual_mul_f32 v8, v7, v3 :: v_dual_mov_b32 v4, v7
	v_dual_mov_b32 v11, v5 :: v_dual_mov_b32 v5, v6
	s_delay_alu instid0(VALU_DEP_2) | instskip(SKIP_1) | instid1(VALU_DEP_3)
	v_pk_fma_f32 v[8:9], v[6:7], v[128:129], v[8:9] op_sel_hi:[1,1,0] neg_lo:[0,0,1] neg_hi:[0,0,1]
	v_mul_f32_e32 v6, v7, v0
	v_pk_add_f32 v[122:123], v[122:123], v[10:11] neg_lo:[0,1] neg_hi:[0,1]
	s_delay_alu instid0(VALU_DEP_2) | instskip(NEXT) | instid1(VALU_DEP_1)
	v_pk_fma_f32 v[4:5], v[4:5], v[128:129], v[6:7] op_sel_hi:[1,1,0]
	v_mov_b32_e32 v9, v5
	ds_load_2addr_b64 v[4:7], v80 offset0:33 offset1:34
	v_pk_add_f32 v[144:145], v[144:145], v[8:9] neg_lo:[0,1] neg_hi:[0,1]
	s_wait_dscnt 0x0
	v_pk_mul_f32 v[8:9], v[4:5], v[2:3] op_sel:[0,1]
	s_delay_alu instid0(VALU_DEP_1) | instskip(SKIP_1) | instid1(VALU_DEP_1)
	v_pk_fma_f32 v[10:11], v[4:5], v[0:1], v[8:9] op_sel:[0,0,1] op_sel_hi:[1,1,0] neg_lo:[0,0,1] neg_hi:[0,0,1]
	v_pk_fma_f32 v[4:5], v[4:5], v[0:1], v[8:9] op_sel:[0,0,1] op_sel_hi:[1,0,0]
	v_mov_b32_e32 v11, v5
	v_pk_mul_f32 v[4:5], v[6:7], v[2:3] op_sel:[0,1]
	s_delay_alu instid0(VALU_DEP_1) | instskip(SKIP_1) | instid1(VALU_DEP_1)
	v_pk_fma_f32 v[8:9], v[6:7], v[0:1], v[4:5] op_sel:[0,0,1] op_sel_hi:[1,1,0] neg_lo:[0,0,1] neg_hi:[0,0,1]
	v_pk_fma_f32 v[4:5], v[6:7], v[0:1], v[4:5] op_sel:[0,0,1] op_sel_hi:[1,0,0]
	v_mov_b32_e32 v9, v5
	ds_load_2addr_b64 v[4:7], v80 offset0:35 offset1:36
	v_pk_add_f32 v[140:141], v[140:141], v[10:11] neg_lo:[0,1] neg_hi:[0,1]
	v_pk_add_f32 v[142:143], v[142:143], v[8:9] neg_lo:[0,1] neg_hi:[0,1]
	s_wait_dscnt 0x0
	v_pk_mul_f32 v[8:9], v[4:5], v[2:3] op_sel:[0,1]
	s_delay_alu instid0(VALU_DEP_1) | instskip(SKIP_1) | instid1(VALU_DEP_1)
	v_pk_fma_f32 v[10:11], v[4:5], v[0:1], v[8:9] op_sel:[0,0,1] op_sel_hi:[1,1,0] neg_lo:[0,0,1] neg_hi:[0,0,1]
	v_pk_fma_f32 v[4:5], v[4:5], v[0:1], v[8:9] op_sel:[0,0,1] op_sel_hi:[1,0,0]
	v_mov_b32_e32 v11, v5
	v_pk_mul_f32 v[4:5], v[6:7], v[2:3] op_sel:[0,1]
	s_delay_alu instid0(VALU_DEP_1) | instskip(SKIP_1) | instid1(VALU_DEP_1)
	v_pk_fma_f32 v[8:9], v[6:7], v[0:1], v[4:5] op_sel:[0,0,1] op_sel_hi:[1,1,0] neg_lo:[0,0,1] neg_hi:[0,0,1]
	v_pk_fma_f32 v[4:5], v[6:7], v[0:1], v[4:5] op_sel:[0,0,1] op_sel_hi:[1,0,0]
	v_mov_b32_e32 v9, v5
	ds_load_2addr_b64 v[4:7], v80 offset0:37 offset1:38
	v_pk_add_f32 v[138:139], v[138:139], v[10:11] neg_lo:[0,1] neg_hi:[0,1]
	v_pk_add_f32 v[166:167], v[166:167], v[8:9] neg_lo:[0,1] neg_hi:[0,1]
	s_wait_dscnt 0x0
	v_dual_mul_f32 v8, v5, v3 :: v_dual_mul_f32 v10, v5, v0
	s_delay_alu instid0(VALU_DEP_1) | instskip(NEXT) | instid1(VALU_DEP_2)
	v_pk_fma_f32 v[8:9], v[4:5], v[128:129], v[8:9] op_sel_hi:[1,1,0] neg_lo:[0,0,1] neg_hi:[0,0,1]
	v_pk_fma_f32 v[4:5], v[4:5], v[128:129], v[10:11] op_sel:[1,0,0] op_sel_hi:[0,1,0]
	s_delay_alu instid0(VALU_DEP_1) | instskip(SKIP_1) | instid1(VALU_DEP_2)
	v_mov_b32_e32 v9, v5
	v_pk_mul_f32 v[4:5], v[6:7], v[2:3] op_sel:[0,1]
	v_pk_add_f32 v[162:163], v[162:163], v[8:9] neg_lo:[0,1] neg_hi:[0,1]
	s_delay_alu instid0(VALU_DEP_2) | instskip(SKIP_1) | instid1(VALU_DEP_1)
	v_pk_fma_f32 v[8:9], v[6:7], v[0:1], v[4:5] op_sel:[0,0,1] op_sel_hi:[1,1,0] neg_lo:[0,0,1] neg_hi:[0,0,1]
	v_pk_fma_f32 v[4:5], v[6:7], v[0:1], v[4:5] op_sel:[0,0,1] op_sel_hi:[1,0,0]
	v_mov_b32_e32 v9, v5
	ds_load_2addr_b64 v[4:7], v80 offset0:39 offset1:40
	v_pk_add_f32 v[164:165], v[164:165], v[8:9] neg_lo:[0,1] neg_hi:[0,1]
	s_wait_dscnt 0x0
	v_pk_mul_f32 v[8:9], v[4:5], v[2:3] op_sel:[0,1]
	s_delay_alu instid0(VALU_DEP_1) | instskip(SKIP_1) | instid1(VALU_DEP_1)
	v_pk_fma_f32 v[10:11], v[4:5], v[0:1], v[8:9] op_sel:[0,0,1] op_sel_hi:[1,1,0] neg_lo:[0,0,1] neg_hi:[0,0,1]
	v_pk_fma_f32 v[4:5], v[4:5], v[0:1], v[8:9] op_sel:[0,0,1] op_sel_hi:[1,0,0]
	v_mov_b32_e32 v11, v5
	v_pk_mul_f32 v[4:5], v[6:7], v[2:3] op_sel:[0,1]
	s_delay_alu instid0(VALU_DEP_2) | instskip(NEXT) | instid1(VALU_DEP_2)
	v_pk_add_f32 v[160:161], v[160:161], v[10:11] neg_lo:[0,1] neg_hi:[0,1]
	v_pk_fma_f32 v[8:9], v[6:7], v[0:1], v[4:5] op_sel:[0,0,1] op_sel_hi:[1,1,0] neg_lo:[0,0,1] neg_hi:[0,0,1]
	v_pk_fma_f32 v[4:5], v[6:7], v[0:1], v[4:5] op_sel:[0,0,1] op_sel_hi:[1,0,0]
	s_delay_alu instid0(VALU_DEP_1) | instskip(SKIP_4) | instid1(VALU_DEP_1)
	v_mov_b32_e32 v9, v5
	ds_load_2addr_b64 v[4:7], v80 offset0:41 offset1:42
	v_pk_add_f32 v[192:193], v[192:193], v[8:9] neg_lo:[0,1] neg_hi:[0,1]
	s_wait_dscnt 0x0
	v_pk_mul_f32 v[8:9], v[4:5], v[2:3] op_sel:[0,1]
	v_pk_fma_f32 v[10:11], v[4:5], v[0:1], v[8:9] op_sel:[0,0,1] op_sel_hi:[1,1,0] neg_lo:[0,0,1] neg_hi:[0,0,1]
	v_pk_fma_f32 v[4:5], v[4:5], v[0:1], v[8:9] op_sel:[0,0,1] op_sel_hi:[1,0,0]
	v_dual_mul_f32 v8, v7, v3 :: v_dual_mov_b32 v4, v7
	s_delay_alu instid0(VALU_DEP_2) | instskip(NEXT) | instid1(VALU_DEP_2)
	v_dual_mov_b32 v11, v5 :: v_dual_mov_b32 v5, v6
	v_pk_fma_f32 v[8:9], v[6:7], v[128:129], v[8:9] op_sel_hi:[1,1,0] neg_lo:[0,0,1] neg_hi:[0,0,1]
	v_mul_f32_e32 v6, v7, v0
	s_delay_alu instid0(VALU_DEP_3) | instskip(NEXT) | instid1(VALU_DEP_2)
	v_pk_add_f32 v[184:185], v[184:185], v[10:11] neg_lo:[0,1] neg_hi:[0,1]
	v_pk_fma_f32 v[4:5], v[4:5], v[128:129], v[6:7] op_sel_hi:[1,1,0]
	s_delay_alu instid0(VALU_DEP_1) | instskip(SKIP_4) | instid1(VALU_DEP_1)
	v_mov_b32_e32 v9, v5
	ds_load_2addr_b64 v[4:7], v80 offset0:43 offset1:44
	v_pk_add_f32 v[190:191], v[190:191], v[8:9] neg_lo:[0,1] neg_hi:[0,1]
	s_wait_dscnt 0x0
	v_pk_mul_f32 v[8:9], v[4:5], v[2:3] op_sel:[0,1]
	v_pk_fma_f32 v[10:11], v[4:5], v[0:1], v[8:9] op_sel:[0,0,1] op_sel_hi:[1,1,0] neg_lo:[0,0,1] neg_hi:[0,0,1]
	v_pk_fma_f32 v[4:5], v[4:5], v[0:1], v[8:9] op_sel:[0,0,1] op_sel_hi:[1,0,0]
	s_delay_alu instid0(VALU_DEP_1) | instskip(SKIP_1) | instid1(VALU_DEP_1)
	v_mov_b32_e32 v11, v5
	v_pk_mul_f32 v[4:5], v[6:7], v[2:3] op_sel:[0,1]
	v_pk_fma_f32 v[8:9], v[6:7], v[0:1], v[4:5] op_sel:[0,0,1] op_sel_hi:[1,1,0] neg_lo:[0,0,1] neg_hi:[0,0,1]
	v_pk_fma_f32 v[4:5], v[6:7], v[0:1], v[4:5] op_sel:[0,0,1] op_sel_hi:[1,0,0]
	s_delay_alu instid0(VALU_DEP_1)
	v_mov_b32_e32 v9, v5
	ds_load_2addr_b64 v[4:7], v80 offset0:45 offset1:46
	v_pk_add_f32 v[182:183], v[182:183], v[10:11] neg_lo:[0,1] neg_hi:[0,1]
	v_pk_add_f32 v[188:189], v[188:189], v[8:9] neg_lo:[0,1] neg_hi:[0,1]
	s_wait_dscnt 0x0
	v_pk_mul_f32 v[8:9], v[4:5], v[2:3] op_sel:[0,1]
	s_delay_alu instid0(VALU_DEP_1) | instskip(SKIP_1) | instid1(VALU_DEP_1)
	v_pk_fma_f32 v[10:11], v[4:5], v[0:1], v[8:9] op_sel:[0,0,1] op_sel_hi:[1,1,0] neg_lo:[0,0,1] neg_hi:[0,0,1]
	v_pk_fma_f32 v[4:5], v[4:5], v[0:1], v[8:9] op_sel:[0,0,1] op_sel_hi:[1,0,0]
	v_mov_b32_e32 v11, v5
	v_pk_mul_f32 v[4:5], v[6:7], v[2:3] op_sel:[0,1]
	s_delay_alu instid0(VALU_DEP_1) | instskip(SKIP_1) | instid1(VALU_DEP_1)
	v_pk_fma_f32 v[8:9], v[6:7], v[0:1], v[4:5] op_sel:[0,0,1] op_sel_hi:[1,1,0] neg_lo:[0,0,1] neg_hi:[0,0,1]
	v_pk_fma_f32 v[4:5], v[6:7], v[0:1], v[4:5] op_sel:[0,0,1] op_sel_hi:[1,0,0]
	v_mov_b32_e32 v9, v5
	ds_load_2addr_b64 v[4:7], v80 offset0:47 offset1:48
	v_pk_add_f32 v[180:181], v[180:181], v[10:11] neg_lo:[0,1] neg_hi:[0,1]
	v_pk_add_f32 v[186:187], v[186:187], v[8:9] neg_lo:[0,1] neg_hi:[0,1]
	s_wait_dscnt 0x0
	v_dual_mul_f32 v8, v5, v3 :: v_dual_mul_f32 v10, v5, v0
	v_pk_mul_f32 v[2:3], v[6:7], v[2:3] op_sel:[0,1]
	s_delay_alu instid0(VALU_DEP_2) | instskip(NEXT) | instid1(VALU_DEP_3)
	v_pk_fma_f32 v[8:9], v[4:5], v[128:129], v[8:9] op_sel_hi:[1,1,0] neg_lo:[0,0,1] neg_hi:[0,0,1]
	v_pk_fma_f32 v[4:5], v[4:5], v[128:129], v[10:11] op_sel:[1,0,0] op_sel_hi:[0,1,0]
	s_delay_alu instid0(VALU_DEP_1) | instskip(NEXT) | instid1(VALU_DEP_4)
	v_mov_b32_e32 v9, v5
	v_pk_fma_f32 v[4:5], v[6:7], v[0:1], v[2:3] op_sel:[0,0,1] op_sel_hi:[1,1,0] neg_lo:[0,0,1] neg_hi:[0,0,1]
	v_pk_fma_f32 v[0:1], v[6:7], v[0:1], v[2:3] op_sel:[0,0,1] op_sel_hi:[1,0,0]
	s_delay_alu instid0(VALU_DEP_1) | instskip(NEXT) | instid1(VALU_DEP_4)
	v_mov_b32_e32 v5, v1
	v_pk_add_f32 v[194:195], v[194:195], v[8:9] neg_lo:[0,1] neg_hi:[0,1]
	s_delay_alu instid0(VALU_DEP_2)
	v_pk_add_f32 v[196:197], v[196:197], v[4:5] neg_lo:[0,1] neg_hi:[0,1]
.LBB97_262:
	s_wait_xcnt 0x0
	s_or_b32 exec_lo, exec_lo, s1
	s_delay_alu instid0(SALU_CYCLE_1)
	s_mov_b32 s2, exec_lo
	s_wait_storecnt 0x0
	s_barrier_signal -1
	s_barrier_wait -1
	v_cmpx_eq_u32_e32 29, v78
	s_cbranch_execz .LBB97_269
; %bb.263:
	v_dual_mov_b32 v0, v126 :: v_dual_mov_b32 v1, v127
	v_dual_mov_b32 v2, v122 :: v_dual_mov_b32 v3, v123
	ds_store_b64 v79, v[124:125]
	ds_store_2addr_b64 v80, v[0:1], v[2:3] offset0:30 offset1:31
	v_dual_mov_b32 v0, v144 :: v_dual_mov_b32 v1, v145
	v_dual_mov_b32 v2, v140 :: v_dual_mov_b32 v3, v141
	ds_store_2addr_b64 v80, v[0:1], v[2:3] offset0:32 offset1:33
	v_dual_mov_b32 v0, v142 :: v_dual_mov_b32 v1, v143
	v_dual_mov_b32 v2, v138 :: v_dual_mov_b32 v3, v139
	;; [unrolled: 3-line block ×8, first 2 shown]
	ds_store_2addr_b64 v80, v[0:1], v[2:3] offset0:46 offset1:47
	ds_store_b64 v80, v[196:197] offset:384
	ds_load_b64 v[0:1], v79
	s_wait_dscnt 0x0
	v_cmp_neq_f32_e32 vcc_lo, 0, v0
	v_cmp_neq_f32_e64 s1, 0, v1
	s_or_b32 s1, vcc_lo, s1
	s_delay_alu instid0(SALU_CYCLE_1)
	s_and_b32 exec_lo, exec_lo, s1
	s_cbranch_execz .LBB97_269
; %bb.264:
	v_cmp_ngt_f32_e64 s1, |v0|, |v1|
                                        ; implicit-def: $vgpr2_vgpr3
	s_and_saveexec_b32 s4, s1
	s_delay_alu instid0(SALU_CYCLE_1)
	s_xor_b32 s1, exec_lo, s4
	s_cbranch_execz .LBB97_266
; %bb.265:
	v_div_scale_f32 v2, null, v1, v1, v0
	v_div_scale_f32 v5, vcc_lo, v0, v1, v0
	s_delay_alu instid0(VALU_DEP_2) | instskip(SKIP_1) | instid1(TRANS32_DEP_1)
	v_rcp_f32_e32 v3, v2
	v_nop
	v_fma_f32 v4, -v2, v3, 1.0
	s_delay_alu instid0(VALU_DEP_1) | instskip(NEXT) | instid1(VALU_DEP_1)
	v_fmac_f32_e32 v3, v4, v3
	v_mul_f32_e32 v4, v5, v3
	s_delay_alu instid0(VALU_DEP_1) | instskip(NEXT) | instid1(VALU_DEP_1)
	v_fma_f32 v6, -v2, v4, v5
	v_fmac_f32_e32 v4, v6, v3
	s_delay_alu instid0(VALU_DEP_1) | instskip(NEXT) | instid1(VALU_DEP_1)
	v_fma_f32 v2, -v2, v4, v5
	v_div_fmas_f32 v2, v2, v3, v4
	s_delay_alu instid0(VALU_DEP_1) | instskip(NEXT) | instid1(VALU_DEP_1)
	v_div_fixup_f32 v2, v2, v1, v0
	v_fmac_f32_e32 v1, v0, v2
	s_delay_alu instid0(VALU_DEP_1) | instskip(SKIP_1) | instid1(VALU_DEP_2)
	v_div_scale_f32 v0, null, v1, v1, 1.0
	v_div_scale_f32 v5, vcc_lo, 1.0, v1, 1.0
	v_rcp_f32_e32 v3, v0
	v_nop
	s_delay_alu instid0(TRANS32_DEP_1) | instskip(NEXT) | instid1(VALU_DEP_1)
	v_fma_f32 v4, -v0, v3, 1.0
	v_fmac_f32_e32 v3, v4, v3
	s_delay_alu instid0(VALU_DEP_1) | instskip(NEXT) | instid1(VALU_DEP_1)
	v_mul_f32_e32 v4, v5, v3
	v_fma_f32 v6, -v0, v4, v5
	s_delay_alu instid0(VALU_DEP_1) | instskip(NEXT) | instid1(VALU_DEP_1)
	v_fmac_f32_e32 v4, v6, v3
	v_fma_f32 v0, -v0, v4, v5
	s_delay_alu instid0(VALU_DEP_1) | instskip(NEXT) | instid1(VALU_DEP_1)
	v_div_fmas_f32 v0, v0, v3, v4
	v_div_fixup_f32 v0, v0, v1, 1.0
	s_delay_alu instid0(VALU_DEP_1)
	v_mul_f32_e32 v2, v2, v0
	v_xor_b32_e32 v3, 0x80000000, v0
                                        ; implicit-def: $vgpr0_vgpr1
.LBB97_266:
	s_and_not1_saveexec_b32 s1, s1
	s_cbranch_execz .LBB97_268
; %bb.267:
	v_div_scale_f32 v2, null, v0, v0, v1
	v_div_scale_f32 v5, vcc_lo, v1, v0, v1
	s_delay_alu instid0(VALU_DEP_2) | instskip(SKIP_1) | instid1(TRANS32_DEP_1)
	v_rcp_f32_e32 v3, v2
	v_nop
	v_fma_f32 v4, -v2, v3, 1.0
	s_delay_alu instid0(VALU_DEP_1) | instskip(NEXT) | instid1(VALU_DEP_1)
	v_fmac_f32_e32 v3, v4, v3
	v_mul_f32_e32 v4, v5, v3
	s_delay_alu instid0(VALU_DEP_1) | instskip(NEXT) | instid1(VALU_DEP_1)
	v_fma_f32 v6, -v2, v4, v5
	v_fmac_f32_e32 v4, v6, v3
	s_delay_alu instid0(VALU_DEP_1) | instskip(NEXT) | instid1(VALU_DEP_1)
	v_fma_f32 v2, -v2, v4, v5
	v_div_fmas_f32 v2, v2, v3, v4
	s_delay_alu instid0(VALU_DEP_1) | instskip(NEXT) | instid1(VALU_DEP_1)
	v_div_fixup_f32 v3, v2, v0, v1
	v_fmac_f32_e32 v0, v1, v3
	s_delay_alu instid0(VALU_DEP_1) | instskip(NEXT) | instid1(VALU_DEP_1)
	v_div_scale_f32 v1, null, v0, v0, 1.0
	v_rcp_f32_e32 v2, v1
	v_nop
	s_delay_alu instid0(TRANS32_DEP_1) | instskip(NEXT) | instid1(VALU_DEP_1)
	v_fma_f32 v4, -v1, v2, 1.0
	v_fmac_f32_e32 v2, v4, v2
	v_div_scale_f32 v4, vcc_lo, 1.0, v0, 1.0
	s_delay_alu instid0(VALU_DEP_1) | instskip(NEXT) | instid1(VALU_DEP_1)
	v_mul_f32_e32 v5, v4, v2
	v_fma_f32 v6, -v1, v5, v4
	s_delay_alu instid0(VALU_DEP_1) | instskip(NEXT) | instid1(VALU_DEP_1)
	v_fmac_f32_e32 v5, v6, v2
	v_fma_f32 v1, -v1, v5, v4
	s_delay_alu instid0(VALU_DEP_1) | instskip(NEXT) | instid1(VALU_DEP_1)
	v_div_fmas_f32 v1, v1, v2, v5
	v_div_fixup_f32 v2, v1, v0, 1.0
	s_delay_alu instid0(VALU_DEP_1)
	v_mul_f32_e64 v3, v3, -v2
.LBB97_268:
	s_or_b32 exec_lo, exec_lo, s1
	ds_store_b64 v79, v[2:3]
.LBB97_269:
	s_or_b32 exec_lo, exec_lo, s2
	s_wait_dscnt 0x0
	s_barrier_signal -1
	s_barrier_wait -1
	ds_load_b64 v[0:1], v79
	s_mov_b32 s1, exec_lo
	s_wait_dscnt 0x0
	scratch_store_b64 off, v[0:1], off offset:200 ; 8-byte Folded Spill
	s_wait_xcnt 0x0
	v_cmpx_lt_u32_e32 29, v78
	s_cbranch_execz .LBB97_271
; %bb.270:
	scratch_load_b64 v[0:1], off, off offset:200 ; 8-byte Folded Reload
	ds_load_2addr_b64 v[6:9], v80 offset0:30 offset1:31
	s_wait_loadcnt 0x0
	v_pk_mul_f32 v[4:5], v[0:1], v[124:125] op_sel:[1,1] op_sel_hi:[0,1]
	s_delay_alu instid0(VALU_DEP_1) | instskip(SKIP_1) | instid1(VALU_DEP_1)
	v_pk_fma_f32 v[2:3], v[0:1], v[124:125], v[4:5] op_sel_hi:[1,0,1] neg_lo:[0,0,1] neg_hi:[0,0,1]
	v_pk_fma_f32 v[4:5], v[0:1], v[124:125], v[4:5] op_sel_hi:[1,0,1]
	v_dual_mov_b32 v124, v2 :: v_dual_mov_b32 v125, v5
	s_wait_dscnt 0x0
	s_delay_alu instid0(VALU_DEP_2) | instskip(NEXT) | instid1(VALU_DEP_1)
	v_pk_mul_f32 v[10:11], v[6:7], v[4:5] op_sel:[0,1]
	v_pk_fma_f32 v[12:13], v[6:7], v[2:3], v[10:11] op_sel:[0,0,1] op_sel_hi:[1,1,0] neg_lo:[0,0,1] neg_hi:[0,0,1]
	v_pk_fma_f32 v[6:7], v[6:7], v[2:3], v[10:11] op_sel:[0,0,1] op_sel_hi:[1,0,0]
	s_delay_alu instid0(VALU_DEP_1) | instskip(SKIP_1) | instid1(VALU_DEP_1)
	v_mov_b32_e32 v13, v7
	v_pk_mul_f32 v[6:7], v[8:9], v[4:5] op_sel:[0,1]
	v_pk_fma_f32 v[10:11], v[8:9], v[2:3], v[6:7] op_sel:[0,0,1] op_sel_hi:[1,1,0] neg_lo:[0,0,1] neg_hi:[0,0,1]
	v_pk_fma_f32 v[6:7], v[8:9], v[2:3], v[6:7] op_sel:[0,0,1] op_sel_hi:[1,0,0]
	s_delay_alu instid0(VALU_DEP_1)
	v_mov_b32_e32 v11, v7
	ds_load_2addr_b64 v[6:9], v80 offset0:32 offset1:33
	v_pk_add_f32 v[126:127], v[126:127], v[12:13] neg_lo:[0,1] neg_hi:[0,1]
	v_pk_add_f32 v[122:123], v[122:123], v[10:11] neg_lo:[0,1] neg_hi:[0,1]
	s_wait_dscnt 0x0
	v_pk_mul_f32 v[10:11], v[6:7], v[4:5] op_sel:[0,1]
	s_delay_alu instid0(VALU_DEP_1) | instskip(SKIP_2) | instid1(VALU_DEP_2)
	v_pk_fma_f32 v[12:13], v[6:7], v[2:3], v[10:11] op_sel:[0,0,1] op_sel_hi:[1,1,0] neg_lo:[0,0,1] neg_hi:[0,0,1]
	v_pk_fma_f32 v[6:7], v[6:7], v[2:3], v[10:11] op_sel:[0,0,1] op_sel_hi:[1,0,0]
	v_dual_mul_f32 v10, v9, v5 :: v_dual_mov_b32 v6, v9
	v_dual_mov_b32 v13, v7 :: v_dual_mov_b32 v7, v8
	s_delay_alu instid0(VALU_DEP_2) | instskip(SKIP_1) | instid1(VALU_DEP_3)
	v_pk_fma_f32 v[10:11], v[8:9], v[124:125], v[10:11] op_sel_hi:[1,1,0] neg_lo:[0,0,1] neg_hi:[0,0,1]
	v_mul_f32_e32 v8, v9, v2
	v_pk_add_f32 v[144:145], v[144:145], v[12:13] neg_lo:[0,1] neg_hi:[0,1]
	s_delay_alu instid0(VALU_DEP_2) | instskip(NEXT) | instid1(VALU_DEP_1)
	v_pk_fma_f32 v[6:7], v[6:7], v[124:125], v[8:9] op_sel_hi:[1,1,0]
	v_mov_b32_e32 v11, v7
	ds_load_2addr_b64 v[6:9], v80 offset0:34 offset1:35
	v_pk_add_f32 v[140:141], v[140:141], v[10:11] neg_lo:[0,1] neg_hi:[0,1]
	s_wait_dscnt 0x0
	v_pk_mul_f32 v[10:11], v[6:7], v[4:5] op_sel:[0,1]
	s_delay_alu instid0(VALU_DEP_1) | instskip(SKIP_1) | instid1(VALU_DEP_1)
	v_pk_fma_f32 v[12:13], v[6:7], v[2:3], v[10:11] op_sel:[0,0,1] op_sel_hi:[1,1,0] neg_lo:[0,0,1] neg_hi:[0,0,1]
	v_pk_fma_f32 v[6:7], v[6:7], v[2:3], v[10:11] op_sel:[0,0,1] op_sel_hi:[1,0,0]
	v_mov_b32_e32 v13, v7
	v_pk_mul_f32 v[6:7], v[8:9], v[4:5] op_sel:[0,1]
	s_delay_alu instid0(VALU_DEP_1) | instskip(SKIP_1) | instid1(VALU_DEP_1)
	v_pk_fma_f32 v[10:11], v[8:9], v[2:3], v[6:7] op_sel:[0,0,1] op_sel_hi:[1,1,0] neg_lo:[0,0,1] neg_hi:[0,0,1]
	v_pk_fma_f32 v[6:7], v[8:9], v[2:3], v[6:7] op_sel:[0,0,1] op_sel_hi:[1,0,0]
	v_mov_b32_e32 v11, v7
	ds_load_2addr_b64 v[6:9], v80 offset0:36 offset1:37
	v_pk_add_f32 v[142:143], v[142:143], v[12:13] neg_lo:[0,1] neg_hi:[0,1]
	v_pk_add_f32 v[138:139], v[138:139], v[10:11] neg_lo:[0,1] neg_hi:[0,1]
	s_wait_dscnt 0x0
	v_pk_mul_f32 v[10:11], v[6:7], v[4:5] op_sel:[0,1]
	s_delay_alu instid0(VALU_DEP_1) | instskip(SKIP_1) | instid1(VALU_DEP_1)
	v_pk_fma_f32 v[12:13], v[6:7], v[2:3], v[10:11] op_sel:[0,0,1] op_sel_hi:[1,1,0] neg_lo:[0,0,1] neg_hi:[0,0,1]
	v_pk_fma_f32 v[6:7], v[6:7], v[2:3], v[10:11] op_sel:[0,0,1] op_sel_hi:[1,0,0]
	v_mov_b32_e32 v13, v7
	v_pk_mul_f32 v[6:7], v[8:9], v[4:5] op_sel:[0,1]
	s_delay_alu instid0(VALU_DEP_1) | instskip(SKIP_1) | instid1(VALU_DEP_1)
	v_pk_fma_f32 v[10:11], v[8:9], v[2:3], v[6:7] op_sel:[0,0,1] op_sel_hi:[1,1,0] neg_lo:[0,0,1] neg_hi:[0,0,1]
	v_pk_fma_f32 v[6:7], v[8:9], v[2:3], v[6:7] op_sel:[0,0,1] op_sel_hi:[1,0,0]
	v_mov_b32_e32 v11, v7
	ds_load_2addr_b64 v[6:9], v80 offset0:38 offset1:39
	v_pk_add_f32 v[166:167], v[166:167], v[12:13] neg_lo:[0,1] neg_hi:[0,1]
	v_pk_add_f32 v[162:163], v[162:163], v[10:11] neg_lo:[0,1] neg_hi:[0,1]
	s_wait_dscnt 0x0
	v_dual_mul_f32 v10, v7, v5 :: v_dual_mul_f32 v12, v7, v2
	s_delay_alu instid0(VALU_DEP_1) | instskip(NEXT) | instid1(VALU_DEP_2)
	v_pk_fma_f32 v[10:11], v[6:7], v[124:125], v[10:11] op_sel_hi:[1,1,0] neg_lo:[0,0,1] neg_hi:[0,0,1]
	v_pk_fma_f32 v[6:7], v[6:7], v[124:125], v[12:13] op_sel:[1,0,0] op_sel_hi:[0,1,0]
	s_delay_alu instid0(VALU_DEP_1) | instskip(SKIP_1) | instid1(VALU_DEP_2)
	v_mov_b32_e32 v11, v7
	v_pk_mul_f32 v[6:7], v[8:9], v[4:5] op_sel:[0,1]
	v_pk_add_f32 v[164:165], v[164:165], v[10:11] neg_lo:[0,1] neg_hi:[0,1]
	s_delay_alu instid0(VALU_DEP_2) | instskip(SKIP_1) | instid1(VALU_DEP_1)
	v_pk_fma_f32 v[10:11], v[8:9], v[2:3], v[6:7] op_sel:[0,0,1] op_sel_hi:[1,1,0] neg_lo:[0,0,1] neg_hi:[0,0,1]
	v_pk_fma_f32 v[6:7], v[8:9], v[2:3], v[6:7] op_sel:[0,0,1] op_sel_hi:[1,0,0]
	v_mov_b32_e32 v11, v7
	ds_load_2addr_b64 v[6:9], v80 offset0:40 offset1:41
	v_pk_add_f32 v[160:161], v[160:161], v[10:11] neg_lo:[0,1] neg_hi:[0,1]
	s_wait_dscnt 0x0
	v_pk_mul_f32 v[10:11], v[6:7], v[4:5] op_sel:[0,1]
	s_delay_alu instid0(VALU_DEP_1) | instskip(SKIP_1) | instid1(VALU_DEP_1)
	v_pk_fma_f32 v[12:13], v[6:7], v[2:3], v[10:11] op_sel:[0,0,1] op_sel_hi:[1,1,0] neg_lo:[0,0,1] neg_hi:[0,0,1]
	v_pk_fma_f32 v[6:7], v[6:7], v[2:3], v[10:11] op_sel:[0,0,1] op_sel_hi:[1,0,0]
	v_mov_b32_e32 v13, v7
	v_pk_mul_f32 v[6:7], v[8:9], v[4:5] op_sel:[0,1]
	s_delay_alu instid0(VALU_DEP_2) | instskip(NEXT) | instid1(VALU_DEP_2)
	v_pk_add_f32 v[192:193], v[192:193], v[12:13] neg_lo:[0,1] neg_hi:[0,1]
	v_pk_fma_f32 v[10:11], v[8:9], v[2:3], v[6:7] op_sel:[0,0,1] op_sel_hi:[1,1,0] neg_lo:[0,0,1] neg_hi:[0,0,1]
	v_pk_fma_f32 v[6:7], v[8:9], v[2:3], v[6:7] op_sel:[0,0,1] op_sel_hi:[1,0,0]
	s_delay_alu instid0(VALU_DEP_1) | instskip(SKIP_4) | instid1(VALU_DEP_1)
	v_mov_b32_e32 v11, v7
	ds_load_2addr_b64 v[6:9], v80 offset0:42 offset1:43
	v_pk_add_f32 v[184:185], v[184:185], v[10:11] neg_lo:[0,1] neg_hi:[0,1]
	s_wait_dscnt 0x0
	v_pk_mul_f32 v[10:11], v[6:7], v[4:5] op_sel:[0,1]
	v_pk_fma_f32 v[12:13], v[6:7], v[2:3], v[10:11] op_sel:[0,0,1] op_sel_hi:[1,1,0] neg_lo:[0,0,1] neg_hi:[0,0,1]
	v_pk_fma_f32 v[6:7], v[6:7], v[2:3], v[10:11] op_sel:[0,0,1] op_sel_hi:[1,0,0]
	v_dual_mul_f32 v10, v9, v5 :: v_dual_mov_b32 v6, v9
	s_delay_alu instid0(VALU_DEP_2) | instskip(NEXT) | instid1(VALU_DEP_2)
	v_dual_mov_b32 v13, v7 :: v_dual_mov_b32 v7, v8
	v_pk_fma_f32 v[10:11], v[8:9], v[124:125], v[10:11] op_sel_hi:[1,1,0] neg_lo:[0,0,1] neg_hi:[0,0,1]
	v_mul_f32_e32 v8, v9, v2
	s_delay_alu instid0(VALU_DEP_3) | instskip(NEXT) | instid1(VALU_DEP_2)
	v_pk_add_f32 v[190:191], v[190:191], v[12:13] neg_lo:[0,1] neg_hi:[0,1]
	v_pk_fma_f32 v[6:7], v[6:7], v[124:125], v[8:9] op_sel_hi:[1,1,0]
	s_delay_alu instid0(VALU_DEP_1) | instskip(SKIP_4) | instid1(VALU_DEP_1)
	v_mov_b32_e32 v11, v7
	ds_load_2addr_b64 v[6:9], v80 offset0:44 offset1:45
	v_pk_add_f32 v[182:183], v[182:183], v[10:11] neg_lo:[0,1] neg_hi:[0,1]
	s_wait_dscnt 0x0
	v_pk_mul_f32 v[10:11], v[6:7], v[4:5] op_sel:[0,1]
	v_pk_fma_f32 v[12:13], v[6:7], v[2:3], v[10:11] op_sel:[0,0,1] op_sel_hi:[1,1,0] neg_lo:[0,0,1] neg_hi:[0,0,1]
	v_pk_fma_f32 v[6:7], v[6:7], v[2:3], v[10:11] op_sel:[0,0,1] op_sel_hi:[1,0,0]
	s_delay_alu instid0(VALU_DEP_1) | instskip(SKIP_1) | instid1(VALU_DEP_1)
	v_mov_b32_e32 v13, v7
	v_pk_mul_f32 v[6:7], v[8:9], v[4:5] op_sel:[0,1]
	v_pk_fma_f32 v[10:11], v[8:9], v[2:3], v[6:7] op_sel:[0,0,1] op_sel_hi:[1,1,0] neg_lo:[0,0,1] neg_hi:[0,0,1]
	v_pk_fma_f32 v[6:7], v[8:9], v[2:3], v[6:7] op_sel:[0,0,1] op_sel_hi:[1,0,0]
	s_delay_alu instid0(VALU_DEP_1)
	v_mov_b32_e32 v11, v7
	ds_load_2addr_b64 v[6:9], v80 offset0:46 offset1:47
	v_pk_add_f32 v[188:189], v[188:189], v[12:13] neg_lo:[0,1] neg_hi:[0,1]
	v_pk_add_f32 v[180:181], v[180:181], v[10:11] neg_lo:[0,1] neg_hi:[0,1]
	s_wait_dscnt 0x0
	v_pk_mul_f32 v[10:11], v[6:7], v[4:5] op_sel:[0,1]
	s_delay_alu instid0(VALU_DEP_1) | instskip(SKIP_1) | instid1(VALU_DEP_1)
	v_pk_fma_f32 v[12:13], v[6:7], v[2:3], v[10:11] op_sel:[0,0,1] op_sel_hi:[1,1,0] neg_lo:[0,0,1] neg_hi:[0,0,1]
	v_pk_fma_f32 v[6:7], v[6:7], v[2:3], v[10:11] op_sel:[0,0,1] op_sel_hi:[1,0,0]
	v_mov_b32_e32 v13, v7
	v_pk_mul_f32 v[6:7], v[8:9], v[4:5] op_sel:[0,1]
	s_delay_alu instid0(VALU_DEP_1) | instskip(SKIP_1) | instid1(VALU_DEP_1)
	v_pk_fma_f32 v[10:11], v[8:9], v[2:3], v[6:7] op_sel:[0,0,1] op_sel_hi:[1,1,0] neg_lo:[0,0,1] neg_hi:[0,0,1]
	v_pk_fma_f32 v[6:7], v[8:9], v[2:3], v[6:7] op_sel:[0,0,1] op_sel_hi:[1,0,0]
	v_mov_b32_e32 v11, v7
	ds_load_b64 v[6:7], v80 offset:384
	v_pk_add_f32 v[186:187], v[186:187], v[12:13] neg_lo:[0,1] neg_hi:[0,1]
	v_pk_add_f32 v[194:195], v[194:195], v[10:11] neg_lo:[0,1] neg_hi:[0,1]
	s_wait_dscnt 0x0
	v_pk_mul_f32 v[4:5], v[6:7], v[4:5] op_sel:[0,1]
	s_delay_alu instid0(VALU_DEP_1) | instskip(SKIP_1) | instid1(VALU_DEP_1)
	v_pk_fma_f32 v[8:9], v[6:7], v[2:3], v[4:5] op_sel:[0,0,1] op_sel_hi:[1,1,0] neg_lo:[0,0,1] neg_hi:[0,0,1]
	v_pk_fma_f32 v[2:3], v[6:7], v[2:3], v[4:5] op_sel:[0,0,1] op_sel_hi:[1,0,0]
	v_mov_b32_e32 v9, v3
	s_delay_alu instid0(VALU_DEP_1)
	v_pk_add_f32 v[196:197], v[196:197], v[8:9] neg_lo:[0,1] neg_hi:[0,1]
.LBB97_271:
	s_wait_xcnt 0x0
	s_or_b32 exec_lo, exec_lo, s1
	s_delay_alu instid0(SALU_CYCLE_1)
	s_mov_b32 s2, exec_lo
	s_wait_storecnt 0x0
	s_barrier_signal -1
	s_barrier_wait -1
	v_cmpx_eq_u32_e32 30, v78
	s_cbranch_execz .LBB97_278
; %bb.272:
	ds_store_b64 v79, v[126:127]
	ds_store_2addr_b64 v80, v[122:123], v[144:145] offset0:31 offset1:32
	ds_store_2addr_b64 v80, v[140:141], v[142:143] offset0:33 offset1:34
	;; [unrolled: 1-line block ×9, first 2 shown]
	ds_load_b64 v[2:3], v79
	s_wait_dscnt 0x0
	v_cmp_neq_f32_e32 vcc_lo, 0, v2
	v_cmp_neq_f32_e64 s1, 0, v3
	s_or_b32 s1, vcc_lo, s1
	s_delay_alu instid0(SALU_CYCLE_1)
	s_and_b32 exec_lo, exec_lo, s1
	s_cbranch_execz .LBB97_278
; %bb.273:
	v_cmp_ngt_f32_e64 s1, |v2|, |v3|
                                        ; implicit-def: $vgpr4_vgpr5
	s_and_saveexec_b32 s4, s1
	s_delay_alu instid0(SALU_CYCLE_1)
	s_xor_b32 s1, exec_lo, s4
	s_cbranch_execz .LBB97_275
; %bb.274:
	v_div_scale_f32 v4, null, v3, v3, v2
	v_div_scale_f32 v7, vcc_lo, v2, v3, v2
	s_delay_alu instid0(VALU_DEP_2) | instskip(SKIP_1) | instid1(TRANS32_DEP_1)
	v_rcp_f32_e32 v5, v4
	v_nop
	v_fma_f32 v6, -v4, v5, 1.0
	s_delay_alu instid0(VALU_DEP_1) | instskip(NEXT) | instid1(VALU_DEP_1)
	v_fmac_f32_e32 v5, v6, v5
	v_mul_f32_e32 v6, v7, v5
	s_delay_alu instid0(VALU_DEP_1) | instskip(NEXT) | instid1(VALU_DEP_1)
	v_fma_f32 v8, -v4, v6, v7
	v_fmac_f32_e32 v6, v8, v5
	s_delay_alu instid0(VALU_DEP_1) | instskip(NEXT) | instid1(VALU_DEP_1)
	v_fma_f32 v4, -v4, v6, v7
	v_div_fmas_f32 v4, v4, v5, v6
	s_delay_alu instid0(VALU_DEP_1) | instskip(NEXT) | instid1(VALU_DEP_1)
	v_div_fixup_f32 v4, v4, v3, v2
	v_fmac_f32_e32 v3, v2, v4
	s_delay_alu instid0(VALU_DEP_1) | instskip(SKIP_1) | instid1(VALU_DEP_2)
	v_div_scale_f32 v2, null, v3, v3, 1.0
	v_div_scale_f32 v7, vcc_lo, 1.0, v3, 1.0
	v_rcp_f32_e32 v5, v2
	v_nop
	s_delay_alu instid0(TRANS32_DEP_1) | instskip(NEXT) | instid1(VALU_DEP_1)
	v_fma_f32 v6, -v2, v5, 1.0
	v_fmac_f32_e32 v5, v6, v5
	s_delay_alu instid0(VALU_DEP_1) | instskip(NEXT) | instid1(VALU_DEP_1)
	v_mul_f32_e32 v6, v7, v5
	v_fma_f32 v8, -v2, v6, v7
	s_delay_alu instid0(VALU_DEP_1) | instskip(NEXT) | instid1(VALU_DEP_1)
	v_fmac_f32_e32 v6, v8, v5
	v_fma_f32 v2, -v2, v6, v7
	s_delay_alu instid0(VALU_DEP_1) | instskip(NEXT) | instid1(VALU_DEP_1)
	v_div_fmas_f32 v2, v2, v5, v6
	v_div_fixup_f32 v2, v2, v3, 1.0
	s_delay_alu instid0(VALU_DEP_1)
	v_mul_f32_e32 v4, v4, v2
	v_xor_b32_e32 v5, 0x80000000, v2
                                        ; implicit-def: $vgpr2_vgpr3
.LBB97_275:
	s_and_not1_saveexec_b32 s1, s1
	s_cbranch_execz .LBB97_277
; %bb.276:
	v_div_scale_f32 v4, null, v2, v2, v3
	v_div_scale_f32 v7, vcc_lo, v3, v2, v3
	s_delay_alu instid0(VALU_DEP_2) | instskip(SKIP_1) | instid1(TRANS32_DEP_1)
	v_rcp_f32_e32 v5, v4
	v_nop
	v_fma_f32 v6, -v4, v5, 1.0
	s_delay_alu instid0(VALU_DEP_1) | instskip(NEXT) | instid1(VALU_DEP_1)
	v_fmac_f32_e32 v5, v6, v5
	v_mul_f32_e32 v6, v7, v5
	s_delay_alu instid0(VALU_DEP_1) | instskip(NEXT) | instid1(VALU_DEP_1)
	v_fma_f32 v8, -v4, v6, v7
	v_fmac_f32_e32 v6, v8, v5
	s_delay_alu instid0(VALU_DEP_1) | instskip(NEXT) | instid1(VALU_DEP_1)
	v_fma_f32 v4, -v4, v6, v7
	v_div_fmas_f32 v4, v4, v5, v6
	s_delay_alu instid0(VALU_DEP_1) | instskip(NEXT) | instid1(VALU_DEP_1)
	v_div_fixup_f32 v5, v4, v2, v3
	v_fmac_f32_e32 v2, v3, v5
	s_delay_alu instid0(VALU_DEP_1) | instskip(NEXT) | instid1(VALU_DEP_1)
	v_div_scale_f32 v3, null, v2, v2, 1.0
	v_rcp_f32_e32 v4, v3
	v_nop
	s_delay_alu instid0(TRANS32_DEP_1) | instskip(NEXT) | instid1(VALU_DEP_1)
	v_fma_f32 v6, -v3, v4, 1.0
	v_fmac_f32_e32 v4, v6, v4
	v_div_scale_f32 v6, vcc_lo, 1.0, v2, 1.0
	s_delay_alu instid0(VALU_DEP_1) | instskip(NEXT) | instid1(VALU_DEP_1)
	v_mul_f32_e32 v7, v6, v4
	v_fma_f32 v8, -v3, v7, v6
	s_delay_alu instid0(VALU_DEP_1) | instskip(NEXT) | instid1(VALU_DEP_1)
	v_fmac_f32_e32 v7, v8, v4
	v_fma_f32 v3, -v3, v7, v6
	s_delay_alu instid0(VALU_DEP_1) | instskip(NEXT) | instid1(VALU_DEP_1)
	v_div_fmas_f32 v3, v3, v4, v7
	v_div_fixup_f32 v4, v3, v2, 1.0
	s_delay_alu instid0(VALU_DEP_1)
	v_mul_f32_e64 v5, v5, -v4
.LBB97_277:
	s_or_b32 exec_lo, exec_lo, s1
	ds_store_b64 v79, v[4:5]
.LBB97_278:
	s_or_b32 exec_lo, exec_lo, s2
	s_wait_dscnt 0x0
	s_barrier_signal -1
	s_barrier_wait -1
	ds_load_b64 v[2:3], v79
	s_mov_b32 s1, exec_lo
	v_cmpx_lt_u32_e32 30, v78
	s_cbranch_execz .LBB97_280
; %bb.279:
	ds_load_2addr_b64 v[8:11], v80 offset0:31 offset1:32
	s_wait_dscnt 0x1
	v_pk_mul_f32 v[6:7], v[2:3], v[126:127] op_sel:[1,1] op_sel_hi:[0,1]
	s_delay_alu instid0(VALU_DEP_1) | instskip(SKIP_1) | instid1(VALU_DEP_1)
	v_pk_fma_f32 v[4:5], v[2:3], v[126:127], v[6:7] op_sel_hi:[1,0,1] neg_lo:[0,0,1] neg_hi:[0,0,1]
	v_pk_fma_f32 v[6:7], v[2:3], v[126:127], v[6:7] op_sel_hi:[1,0,1]
	v_dual_mov_b32 v126, v4 :: v_dual_mov_b32 v127, v7
	s_wait_dscnt 0x0
	s_delay_alu instid0(VALU_DEP_2) | instskip(NEXT) | instid1(VALU_DEP_1)
	v_pk_mul_f32 v[12:13], v[8:9], v[6:7] op_sel:[0,1]
	v_pk_fma_f32 v[14:15], v[8:9], v[4:5], v[12:13] op_sel:[0,0,1] op_sel_hi:[1,1,0] neg_lo:[0,0,1] neg_hi:[0,0,1]
	v_pk_fma_f32 v[8:9], v[8:9], v[4:5], v[12:13] op_sel:[0,0,1] op_sel_hi:[1,0,0]
	s_delay_alu instid0(VALU_DEP_1) | instskip(SKIP_1) | instid1(VALU_DEP_1)
	v_mov_b32_e32 v15, v9
	v_pk_mul_f32 v[8:9], v[10:11], v[6:7] op_sel:[0,1]
	v_pk_fma_f32 v[12:13], v[10:11], v[4:5], v[8:9] op_sel:[0,0,1] op_sel_hi:[1,1,0] neg_lo:[0,0,1] neg_hi:[0,0,1]
	v_pk_fma_f32 v[8:9], v[10:11], v[4:5], v[8:9] op_sel:[0,0,1] op_sel_hi:[1,0,0]
	s_delay_alu instid0(VALU_DEP_1)
	v_mov_b32_e32 v13, v9
	ds_load_2addr_b64 v[8:11], v80 offset0:33 offset1:34
	v_pk_add_f32 v[122:123], v[122:123], v[14:15] neg_lo:[0,1] neg_hi:[0,1]
	v_pk_add_f32 v[144:145], v[144:145], v[12:13] neg_lo:[0,1] neg_hi:[0,1]
	s_wait_dscnt 0x0
	v_pk_mul_f32 v[12:13], v[8:9], v[6:7] op_sel:[0,1]
	s_delay_alu instid0(VALU_DEP_1) | instskip(SKIP_2) | instid1(VALU_DEP_2)
	v_pk_fma_f32 v[14:15], v[8:9], v[4:5], v[12:13] op_sel:[0,0,1] op_sel_hi:[1,1,0] neg_lo:[0,0,1] neg_hi:[0,0,1]
	v_pk_fma_f32 v[8:9], v[8:9], v[4:5], v[12:13] op_sel:[0,0,1] op_sel_hi:[1,0,0]
	v_dual_mul_f32 v12, v11, v7 :: v_dual_mov_b32 v8, v11
	v_dual_mov_b32 v15, v9 :: v_dual_mov_b32 v9, v10
	s_delay_alu instid0(VALU_DEP_2) | instskip(SKIP_1) | instid1(VALU_DEP_3)
	v_pk_fma_f32 v[12:13], v[10:11], v[126:127], v[12:13] op_sel_hi:[1,1,0] neg_lo:[0,0,1] neg_hi:[0,0,1]
	v_mul_f32_e32 v10, v11, v4
	v_pk_add_f32 v[140:141], v[140:141], v[14:15] neg_lo:[0,1] neg_hi:[0,1]
	s_delay_alu instid0(VALU_DEP_2) | instskip(NEXT) | instid1(VALU_DEP_1)
	v_pk_fma_f32 v[8:9], v[8:9], v[126:127], v[10:11] op_sel_hi:[1,1,0]
	v_mov_b32_e32 v13, v9
	ds_load_2addr_b64 v[8:11], v80 offset0:35 offset1:36
	v_pk_add_f32 v[142:143], v[142:143], v[12:13] neg_lo:[0,1] neg_hi:[0,1]
	s_wait_dscnt 0x0
	v_pk_mul_f32 v[12:13], v[8:9], v[6:7] op_sel:[0,1]
	s_delay_alu instid0(VALU_DEP_1) | instskip(SKIP_1) | instid1(VALU_DEP_1)
	v_pk_fma_f32 v[14:15], v[8:9], v[4:5], v[12:13] op_sel:[0,0,1] op_sel_hi:[1,1,0] neg_lo:[0,0,1] neg_hi:[0,0,1]
	v_pk_fma_f32 v[8:9], v[8:9], v[4:5], v[12:13] op_sel:[0,0,1] op_sel_hi:[1,0,0]
	v_mov_b32_e32 v15, v9
	v_pk_mul_f32 v[8:9], v[10:11], v[6:7] op_sel:[0,1]
	s_delay_alu instid0(VALU_DEP_1) | instskip(SKIP_1) | instid1(VALU_DEP_1)
	v_pk_fma_f32 v[12:13], v[10:11], v[4:5], v[8:9] op_sel:[0,0,1] op_sel_hi:[1,1,0] neg_lo:[0,0,1] neg_hi:[0,0,1]
	v_pk_fma_f32 v[8:9], v[10:11], v[4:5], v[8:9] op_sel:[0,0,1] op_sel_hi:[1,0,0]
	v_mov_b32_e32 v13, v9
	ds_load_2addr_b64 v[8:11], v80 offset0:37 offset1:38
	v_pk_add_f32 v[138:139], v[138:139], v[14:15] neg_lo:[0,1] neg_hi:[0,1]
	v_pk_add_f32 v[166:167], v[166:167], v[12:13] neg_lo:[0,1] neg_hi:[0,1]
	s_wait_dscnt 0x0
	v_pk_mul_f32 v[12:13], v[8:9], v[6:7] op_sel:[0,1]
	s_delay_alu instid0(VALU_DEP_1) | instskip(SKIP_1) | instid1(VALU_DEP_1)
	v_pk_fma_f32 v[14:15], v[8:9], v[4:5], v[12:13] op_sel:[0,0,1] op_sel_hi:[1,1,0] neg_lo:[0,0,1] neg_hi:[0,0,1]
	v_pk_fma_f32 v[8:9], v[8:9], v[4:5], v[12:13] op_sel:[0,0,1] op_sel_hi:[1,0,0]
	v_mov_b32_e32 v15, v9
	v_pk_mul_f32 v[8:9], v[10:11], v[6:7] op_sel:[0,1]
	s_delay_alu instid0(VALU_DEP_1) | instskip(SKIP_1) | instid1(VALU_DEP_1)
	v_pk_fma_f32 v[12:13], v[10:11], v[4:5], v[8:9] op_sel:[0,0,1] op_sel_hi:[1,1,0] neg_lo:[0,0,1] neg_hi:[0,0,1]
	v_pk_fma_f32 v[8:9], v[10:11], v[4:5], v[8:9] op_sel:[0,0,1] op_sel_hi:[1,0,0]
	v_mov_b32_e32 v13, v9
	ds_load_2addr_b64 v[8:11], v80 offset0:39 offset1:40
	v_pk_add_f32 v[162:163], v[162:163], v[14:15] neg_lo:[0,1] neg_hi:[0,1]
	v_pk_add_f32 v[164:165], v[164:165], v[12:13] neg_lo:[0,1] neg_hi:[0,1]
	s_wait_dscnt 0x0
	v_dual_mul_f32 v12, v9, v7 :: v_dual_mul_f32 v14, v9, v4
	s_delay_alu instid0(VALU_DEP_1) | instskip(NEXT) | instid1(VALU_DEP_2)
	v_pk_fma_f32 v[12:13], v[8:9], v[126:127], v[12:13] op_sel_hi:[1,1,0] neg_lo:[0,0,1] neg_hi:[0,0,1]
	v_pk_fma_f32 v[8:9], v[8:9], v[126:127], v[14:15] op_sel:[1,0,0] op_sel_hi:[0,1,0]
	s_delay_alu instid0(VALU_DEP_1) | instskip(SKIP_1) | instid1(VALU_DEP_2)
	v_mov_b32_e32 v13, v9
	v_pk_mul_f32 v[8:9], v[10:11], v[6:7] op_sel:[0,1]
	v_pk_add_f32 v[160:161], v[160:161], v[12:13] neg_lo:[0,1] neg_hi:[0,1]
	s_delay_alu instid0(VALU_DEP_2) | instskip(SKIP_1) | instid1(VALU_DEP_1)
	v_pk_fma_f32 v[12:13], v[10:11], v[4:5], v[8:9] op_sel:[0,0,1] op_sel_hi:[1,1,0] neg_lo:[0,0,1] neg_hi:[0,0,1]
	v_pk_fma_f32 v[8:9], v[10:11], v[4:5], v[8:9] op_sel:[0,0,1] op_sel_hi:[1,0,0]
	v_mov_b32_e32 v13, v9
	ds_load_2addr_b64 v[8:11], v80 offset0:41 offset1:42
	v_pk_add_f32 v[192:193], v[192:193], v[12:13] neg_lo:[0,1] neg_hi:[0,1]
	s_wait_dscnt 0x0
	v_pk_mul_f32 v[12:13], v[8:9], v[6:7] op_sel:[0,1]
	s_delay_alu instid0(VALU_DEP_1) | instskip(SKIP_1) | instid1(VALU_DEP_1)
	v_pk_fma_f32 v[14:15], v[8:9], v[4:5], v[12:13] op_sel:[0,0,1] op_sel_hi:[1,1,0] neg_lo:[0,0,1] neg_hi:[0,0,1]
	v_pk_fma_f32 v[8:9], v[8:9], v[4:5], v[12:13] op_sel:[0,0,1] op_sel_hi:[1,0,0]
	v_mov_b32_e32 v15, v9
	v_pk_mul_f32 v[8:9], v[10:11], v[6:7] op_sel:[0,1]
	s_delay_alu instid0(VALU_DEP_2) | instskip(NEXT) | instid1(VALU_DEP_2)
	v_pk_add_f32 v[184:185], v[184:185], v[14:15] neg_lo:[0,1] neg_hi:[0,1]
	v_pk_fma_f32 v[12:13], v[10:11], v[4:5], v[8:9] op_sel:[0,0,1] op_sel_hi:[1,1,0] neg_lo:[0,0,1] neg_hi:[0,0,1]
	v_pk_fma_f32 v[8:9], v[10:11], v[4:5], v[8:9] op_sel:[0,0,1] op_sel_hi:[1,0,0]
	s_delay_alu instid0(VALU_DEP_1) | instskip(SKIP_4) | instid1(VALU_DEP_1)
	v_mov_b32_e32 v13, v9
	ds_load_2addr_b64 v[8:11], v80 offset0:43 offset1:44
	v_pk_add_f32 v[190:191], v[190:191], v[12:13] neg_lo:[0,1] neg_hi:[0,1]
	s_wait_dscnt 0x0
	v_pk_mul_f32 v[12:13], v[8:9], v[6:7] op_sel:[0,1]
	v_pk_fma_f32 v[14:15], v[8:9], v[4:5], v[12:13] op_sel:[0,0,1] op_sel_hi:[1,1,0] neg_lo:[0,0,1] neg_hi:[0,0,1]
	v_pk_fma_f32 v[8:9], v[8:9], v[4:5], v[12:13] op_sel:[0,0,1] op_sel_hi:[1,0,0]
	v_dual_mul_f32 v12, v11, v7 :: v_dual_mov_b32 v8, v11
	s_delay_alu instid0(VALU_DEP_2) | instskip(NEXT) | instid1(VALU_DEP_2)
	v_dual_mov_b32 v15, v9 :: v_dual_mov_b32 v9, v10
	v_pk_fma_f32 v[12:13], v[10:11], v[126:127], v[12:13] op_sel_hi:[1,1,0] neg_lo:[0,0,1] neg_hi:[0,0,1]
	v_mul_f32_e32 v10, v11, v4
	s_delay_alu instid0(VALU_DEP_3) | instskip(NEXT) | instid1(VALU_DEP_2)
	v_pk_add_f32 v[182:183], v[182:183], v[14:15] neg_lo:[0,1] neg_hi:[0,1]
	v_pk_fma_f32 v[8:9], v[8:9], v[126:127], v[10:11] op_sel_hi:[1,1,0]
	s_delay_alu instid0(VALU_DEP_1) | instskip(SKIP_4) | instid1(VALU_DEP_1)
	v_mov_b32_e32 v13, v9
	ds_load_2addr_b64 v[8:11], v80 offset0:45 offset1:46
	v_pk_add_f32 v[188:189], v[188:189], v[12:13] neg_lo:[0,1] neg_hi:[0,1]
	s_wait_dscnt 0x0
	v_pk_mul_f32 v[12:13], v[8:9], v[6:7] op_sel:[0,1]
	v_pk_fma_f32 v[14:15], v[8:9], v[4:5], v[12:13] op_sel:[0,0,1] op_sel_hi:[1,1,0] neg_lo:[0,0,1] neg_hi:[0,0,1]
	v_pk_fma_f32 v[8:9], v[8:9], v[4:5], v[12:13] op_sel:[0,0,1] op_sel_hi:[1,0,0]
	s_delay_alu instid0(VALU_DEP_1) | instskip(SKIP_1) | instid1(VALU_DEP_1)
	v_mov_b32_e32 v15, v9
	v_pk_mul_f32 v[8:9], v[10:11], v[6:7] op_sel:[0,1]
	v_pk_fma_f32 v[12:13], v[10:11], v[4:5], v[8:9] op_sel:[0,0,1] op_sel_hi:[1,1,0] neg_lo:[0,0,1] neg_hi:[0,0,1]
	v_pk_fma_f32 v[8:9], v[10:11], v[4:5], v[8:9] op_sel:[0,0,1] op_sel_hi:[1,0,0]
	s_delay_alu instid0(VALU_DEP_1)
	v_mov_b32_e32 v13, v9
	ds_load_2addr_b64 v[8:11], v80 offset0:47 offset1:48
	v_pk_add_f32 v[180:181], v[180:181], v[14:15] neg_lo:[0,1] neg_hi:[0,1]
	v_pk_add_f32 v[186:187], v[186:187], v[12:13] neg_lo:[0,1] neg_hi:[0,1]
	s_wait_dscnt 0x0
	v_pk_mul_f32 v[12:13], v[8:9], v[6:7] op_sel:[0,1]
	v_mul_f32_e32 v6, v11, v7
	s_delay_alu instid0(VALU_DEP_2) | instskip(SKIP_2) | instid1(VALU_DEP_4)
	v_pk_fma_f32 v[14:15], v[8:9], v[4:5], v[12:13] op_sel:[0,0,1] op_sel_hi:[1,1,0] neg_lo:[0,0,1] neg_hi:[0,0,1]
	v_pk_fma_f32 v[8:9], v[8:9], v[4:5], v[12:13] op_sel:[0,0,1] op_sel_hi:[1,0,0]
	v_dual_mov_b32 v8, v11 :: v_dual_mul_f32 v4, v11, v4
	v_pk_fma_f32 v[6:7], v[10:11], v[126:127], v[6:7] op_sel_hi:[1,1,0] neg_lo:[0,0,1] neg_hi:[0,0,1]
	s_delay_alu instid0(VALU_DEP_3) | instskip(NEXT) | instid1(VALU_DEP_1)
	v_dual_mov_b32 v15, v9 :: v_dual_mov_b32 v9, v10
	v_pk_add_f32 v[194:195], v[194:195], v[14:15] neg_lo:[0,1] neg_hi:[0,1]
	s_delay_alu instid0(VALU_DEP_2) | instskip(NEXT) | instid1(VALU_DEP_1)
	v_pk_fma_f32 v[4:5], v[8:9], v[126:127], v[4:5] op_sel_hi:[1,1,0]
	v_mov_b32_e32 v7, v5
	s_delay_alu instid0(VALU_DEP_1)
	v_pk_add_f32 v[196:197], v[196:197], v[6:7] neg_lo:[0,1] neg_hi:[0,1]
.LBB97_280:
	s_or_b32 exec_lo, exec_lo, s1
	s_delay_alu instid0(SALU_CYCLE_1)
	s_mov_b32 s2, exec_lo
	s_wait_dscnt 0x0
	s_barrier_signal -1
	s_barrier_wait -1
	v_cmpx_eq_u32_e32 31, v78
	s_cbranch_execz .LBB97_287
; %bb.281:
	v_dual_mov_b32 v4, v144 :: v_dual_mov_b32 v5, v145
	v_dual_mov_b32 v6, v140 :: v_dual_mov_b32 v7, v141
	ds_store_b64 v79, v[122:123]
	ds_store_2addr_b64 v80, v[4:5], v[6:7] offset0:32 offset1:33
	v_dual_mov_b32 v4, v142 :: v_dual_mov_b32 v5, v143
	v_dual_mov_b32 v6, v138 :: v_dual_mov_b32 v7, v139
	ds_store_2addr_b64 v80, v[4:5], v[6:7] offset0:34 offset1:35
	v_dual_mov_b32 v4, v166 :: v_dual_mov_b32 v5, v167
	v_dual_mov_b32 v6, v162 :: v_dual_mov_b32 v7, v163
	ds_store_2addr_b64 v80, v[4:5], v[6:7] offset0:36 offset1:37
	v_dual_mov_b32 v4, v164 :: v_dual_mov_b32 v5, v165
	v_dual_mov_b32 v6, v160 :: v_dual_mov_b32 v7, v161
	ds_store_2addr_b64 v80, v[4:5], v[6:7] offset0:38 offset1:39
	v_dual_mov_b32 v4, v192 :: v_dual_mov_b32 v5, v193
	v_dual_mov_b32 v6, v184 :: v_dual_mov_b32 v7, v185
	ds_store_2addr_b64 v80, v[4:5], v[6:7] offset0:40 offset1:41
	v_dual_mov_b32 v4, v190 :: v_dual_mov_b32 v5, v191
	v_dual_mov_b32 v6, v182 :: v_dual_mov_b32 v7, v183
	ds_store_2addr_b64 v80, v[4:5], v[6:7] offset0:42 offset1:43
	v_dual_mov_b32 v4, v188 :: v_dual_mov_b32 v5, v189
	v_dual_mov_b32 v6, v180 :: v_dual_mov_b32 v7, v181
	ds_store_2addr_b64 v80, v[4:5], v[6:7] offset0:44 offset1:45
	v_dual_mov_b32 v4, v186 :: v_dual_mov_b32 v5, v187
	v_dual_mov_b32 v6, v194 :: v_dual_mov_b32 v7, v195
	ds_store_2addr_b64 v80, v[4:5], v[6:7] offset0:46 offset1:47
	ds_store_b64 v80, v[196:197] offset:384
	ds_load_b64 v[4:5], v79
	s_wait_dscnt 0x0
	v_cmp_neq_f32_e32 vcc_lo, 0, v4
	v_cmp_neq_f32_e64 s1, 0, v5
	s_or_b32 s1, vcc_lo, s1
	s_delay_alu instid0(SALU_CYCLE_1)
	s_and_b32 exec_lo, exec_lo, s1
	s_cbranch_execz .LBB97_287
; %bb.282:
	v_cmp_ngt_f32_e64 s1, |v4|, |v5|
                                        ; implicit-def: $vgpr6_vgpr7
	s_and_saveexec_b32 s4, s1
	s_delay_alu instid0(SALU_CYCLE_1)
	s_xor_b32 s1, exec_lo, s4
	s_cbranch_execz .LBB97_284
; %bb.283:
	v_div_scale_f32 v6, null, v5, v5, v4
	v_div_scale_f32 v9, vcc_lo, v4, v5, v4
	s_delay_alu instid0(VALU_DEP_2) | instskip(SKIP_1) | instid1(TRANS32_DEP_1)
	v_rcp_f32_e32 v7, v6
	v_nop
	v_fma_f32 v8, -v6, v7, 1.0
	s_delay_alu instid0(VALU_DEP_1) | instskip(NEXT) | instid1(VALU_DEP_1)
	v_fmac_f32_e32 v7, v8, v7
	v_mul_f32_e32 v8, v9, v7
	s_delay_alu instid0(VALU_DEP_1) | instskip(NEXT) | instid1(VALU_DEP_1)
	v_fma_f32 v10, -v6, v8, v9
	v_fmac_f32_e32 v8, v10, v7
	s_delay_alu instid0(VALU_DEP_1) | instskip(NEXT) | instid1(VALU_DEP_1)
	v_fma_f32 v6, -v6, v8, v9
	v_div_fmas_f32 v6, v6, v7, v8
	s_delay_alu instid0(VALU_DEP_1) | instskip(NEXT) | instid1(VALU_DEP_1)
	v_div_fixup_f32 v6, v6, v5, v4
	v_fmac_f32_e32 v5, v4, v6
	s_delay_alu instid0(VALU_DEP_1) | instskip(SKIP_1) | instid1(VALU_DEP_2)
	v_div_scale_f32 v4, null, v5, v5, 1.0
	v_div_scale_f32 v9, vcc_lo, 1.0, v5, 1.0
	v_rcp_f32_e32 v7, v4
	v_nop
	s_delay_alu instid0(TRANS32_DEP_1) | instskip(NEXT) | instid1(VALU_DEP_1)
	v_fma_f32 v8, -v4, v7, 1.0
	v_fmac_f32_e32 v7, v8, v7
	s_delay_alu instid0(VALU_DEP_1) | instskip(NEXT) | instid1(VALU_DEP_1)
	v_mul_f32_e32 v8, v9, v7
	v_fma_f32 v10, -v4, v8, v9
	s_delay_alu instid0(VALU_DEP_1) | instskip(NEXT) | instid1(VALU_DEP_1)
	v_fmac_f32_e32 v8, v10, v7
	v_fma_f32 v4, -v4, v8, v9
	s_delay_alu instid0(VALU_DEP_1) | instskip(NEXT) | instid1(VALU_DEP_1)
	v_div_fmas_f32 v4, v4, v7, v8
	v_div_fixup_f32 v4, v4, v5, 1.0
	s_delay_alu instid0(VALU_DEP_1)
	v_mul_f32_e32 v6, v6, v4
	v_xor_b32_e32 v7, 0x80000000, v4
                                        ; implicit-def: $vgpr4_vgpr5
.LBB97_284:
	s_and_not1_saveexec_b32 s1, s1
	s_cbranch_execz .LBB97_286
; %bb.285:
	v_div_scale_f32 v6, null, v4, v4, v5
	v_div_scale_f32 v9, vcc_lo, v5, v4, v5
	s_delay_alu instid0(VALU_DEP_2) | instskip(SKIP_1) | instid1(TRANS32_DEP_1)
	v_rcp_f32_e32 v7, v6
	v_nop
	v_fma_f32 v8, -v6, v7, 1.0
	s_delay_alu instid0(VALU_DEP_1) | instskip(NEXT) | instid1(VALU_DEP_1)
	v_fmac_f32_e32 v7, v8, v7
	v_mul_f32_e32 v8, v9, v7
	s_delay_alu instid0(VALU_DEP_1) | instskip(NEXT) | instid1(VALU_DEP_1)
	v_fma_f32 v10, -v6, v8, v9
	v_fmac_f32_e32 v8, v10, v7
	s_delay_alu instid0(VALU_DEP_1) | instskip(NEXT) | instid1(VALU_DEP_1)
	v_fma_f32 v6, -v6, v8, v9
	v_div_fmas_f32 v6, v6, v7, v8
	s_delay_alu instid0(VALU_DEP_1) | instskip(NEXT) | instid1(VALU_DEP_1)
	v_div_fixup_f32 v7, v6, v4, v5
	v_fmac_f32_e32 v4, v5, v7
	s_delay_alu instid0(VALU_DEP_1) | instskip(NEXT) | instid1(VALU_DEP_1)
	v_div_scale_f32 v5, null, v4, v4, 1.0
	v_rcp_f32_e32 v6, v5
	v_nop
	s_delay_alu instid0(TRANS32_DEP_1) | instskip(NEXT) | instid1(VALU_DEP_1)
	v_fma_f32 v8, -v5, v6, 1.0
	v_fmac_f32_e32 v6, v8, v6
	v_div_scale_f32 v8, vcc_lo, 1.0, v4, 1.0
	s_delay_alu instid0(VALU_DEP_1) | instskip(NEXT) | instid1(VALU_DEP_1)
	v_mul_f32_e32 v9, v8, v6
	v_fma_f32 v10, -v5, v9, v8
	s_delay_alu instid0(VALU_DEP_1) | instskip(NEXT) | instid1(VALU_DEP_1)
	v_fmac_f32_e32 v9, v10, v6
	v_fma_f32 v5, -v5, v9, v8
	s_delay_alu instid0(VALU_DEP_1) | instskip(NEXT) | instid1(VALU_DEP_1)
	v_div_fmas_f32 v5, v5, v6, v9
	v_div_fixup_f32 v6, v5, v4, 1.0
	s_delay_alu instid0(VALU_DEP_1)
	v_mul_f32_e64 v7, v7, -v6
.LBB97_286:
	s_or_b32 exec_lo, exec_lo, s1
	ds_store_b64 v79, v[6:7]
.LBB97_287:
	s_or_b32 exec_lo, exec_lo, s2
	s_wait_dscnt 0x0
	s_barrier_signal -1
	s_barrier_wait -1
	ds_load_b64 v[4:5], v79
	s_mov_b32 s1, exec_lo
	v_cmpx_lt_u32_e32 31, v78
	s_cbranch_execz .LBB97_289
; %bb.288:
	ds_load_2addr_b64 v[10:13], v80 offset0:32 offset1:33
	s_wait_dscnt 0x1
	v_pk_mul_f32 v[8:9], v[4:5], v[122:123] op_sel:[1,1] op_sel_hi:[0,1]
	s_delay_alu instid0(VALU_DEP_1) | instskip(SKIP_1) | instid1(VALU_DEP_1)
	v_pk_fma_f32 v[6:7], v[4:5], v[122:123], v[8:9] op_sel_hi:[1,0,1] neg_lo:[0,0,1] neg_hi:[0,0,1]
	v_pk_fma_f32 v[8:9], v[4:5], v[122:123], v[8:9] op_sel_hi:[1,0,1]
	v_dual_mov_b32 v122, v6 :: v_dual_mov_b32 v123, v9
	s_wait_dscnt 0x0
	s_delay_alu instid0(VALU_DEP_2) | instskip(NEXT) | instid1(VALU_DEP_1)
	v_pk_mul_f32 v[14:15], v[10:11], v[8:9] op_sel:[0,1]
	v_pk_fma_f32 v[18:19], v[10:11], v[6:7], v[14:15] op_sel:[0,0,1] op_sel_hi:[1,1,0] neg_lo:[0,0,1] neg_hi:[0,0,1]
	v_pk_fma_f32 v[10:11], v[10:11], v[6:7], v[14:15] op_sel:[0,0,1] op_sel_hi:[1,0,0]
	s_delay_alu instid0(VALU_DEP_1) | instskip(SKIP_1) | instid1(VALU_DEP_1)
	v_mov_b32_e32 v19, v11
	v_pk_mul_f32 v[10:11], v[12:13], v[8:9] op_sel:[0,1]
	v_pk_fma_f32 v[14:15], v[12:13], v[6:7], v[10:11] op_sel:[0,0,1] op_sel_hi:[1,1,0] neg_lo:[0,0,1] neg_hi:[0,0,1]
	v_pk_fma_f32 v[10:11], v[12:13], v[6:7], v[10:11] op_sel:[0,0,1] op_sel_hi:[1,0,0]
	s_delay_alu instid0(VALU_DEP_1)
	v_mov_b32_e32 v15, v11
	ds_load_2addr_b64 v[10:13], v80 offset0:34 offset1:35
	v_pk_add_f32 v[144:145], v[144:145], v[18:19] neg_lo:[0,1] neg_hi:[0,1]
	v_pk_add_f32 v[140:141], v[140:141], v[14:15] neg_lo:[0,1] neg_hi:[0,1]
	s_wait_dscnt 0x0
	v_pk_mul_f32 v[14:15], v[10:11], v[8:9] op_sel:[0,1]
	s_delay_alu instid0(VALU_DEP_1) | instskip(SKIP_2) | instid1(VALU_DEP_2)
	v_pk_fma_f32 v[18:19], v[10:11], v[6:7], v[14:15] op_sel:[0,0,1] op_sel_hi:[1,1,0] neg_lo:[0,0,1] neg_hi:[0,0,1]
	v_pk_fma_f32 v[10:11], v[10:11], v[6:7], v[14:15] op_sel:[0,0,1] op_sel_hi:[1,0,0]
	v_dual_mul_f32 v14, v13, v9 :: v_dual_mov_b32 v10, v13
	v_dual_mov_b32 v19, v11 :: v_dual_mov_b32 v11, v12
	s_delay_alu instid0(VALU_DEP_2) | instskip(SKIP_1) | instid1(VALU_DEP_3)
	v_pk_fma_f32 v[14:15], v[12:13], v[122:123], v[14:15] op_sel_hi:[1,1,0] neg_lo:[0,0,1] neg_hi:[0,0,1]
	v_mul_f32_e32 v12, v13, v6
	v_pk_add_f32 v[142:143], v[142:143], v[18:19] neg_lo:[0,1] neg_hi:[0,1]
	s_delay_alu instid0(VALU_DEP_2) | instskip(NEXT) | instid1(VALU_DEP_1)
	v_pk_fma_f32 v[10:11], v[10:11], v[122:123], v[12:13] op_sel_hi:[1,1,0]
	v_mov_b32_e32 v15, v11
	ds_load_2addr_b64 v[10:13], v80 offset0:36 offset1:37
	v_pk_add_f32 v[138:139], v[138:139], v[14:15] neg_lo:[0,1] neg_hi:[0,1]
	s_wait_dscnt 0x0
	v_pk_mul_f32 v[14:15], v[10:11], v[8:9] op_sel:[0,1]
	s_delay_alu instid0(VALU_DEP_1) | instskip(SKIP_1) | instid1(VALU_DEP_1)
	v_pk_fma_f32 v[18:19], v[10:11], v[6:7], v[14:15] op_sel:[0,0,1] op_sel_hi:[1,1,0] neg_lo:[0,0,1] neg_hi:[0,0,1]
	v_pk_fma_f32 v[10:11], v[10:11], v[6:7], v[14:15] op_sel:[0,0,1] op_sel_hi:[1,0,0]
	v_mov_b32_e32 v19, v11
	v_pk_mul_f32 v[10:11], v[12:13], v[8:9] op_sel:[0,1]
	s_delay_alu instid0(VALU_DEP_1) | instskip(SKIP_1) | instid1(VALU_DEP_1)
	v_pk_fma_f32 v[14:15], v[12:13], v[6:7], v[10:11] op_sel:[0,0,1] op_sel_hi:[1,1,0] neg_lo:[0,0,1] neg_hi:[0,0,1]
	v_pk_fma_f32 v[10:11], v[12:13], v[6:7], v[10:11] op_sel:[0,0,1] op_sel_hi:[1,0,0]
	v_mov_b32_e32 v15, v11
	ds_load_2addr_b64 v[10:13], v80 offset0:38 offset1:39
	v_pk_add_f32 v[166:167], v[166:167], v[18:19] neg_lo:[0,1] neg_hi:[0,1]
	v_pk_add_f32 v[162:163], v[162:163], v[14:15] neg_lo:[0,1] neg_hi:[0,1]
	s_wait_dscnt 0x0
	v_pk_mul_f32 v[14:15], v[10:11], v[8:9] op_sel:[0,1]
	s_delay_alu instid0(VALU_DEP_1) | instskip(SKIP_1) | instid1(VALU_DEP_1)
	v_pk_fma_f32 v[18:19], v[10:11], v[6:7], v[14:15] op_sel:[0,0,1] op_sel_hi:[1,1,0] neg_lo:[0,0,1] neg_hi:[0,0,1]
	v_pk_fma_f32 v[10:11], v[10:11], v[6:7], v[14:15] op_sel:[0,0,1] op_sel_hi:[1,0,0]
	v_mov_b32_e32 v19, v11
	v_pk_mul_f32 v[10:11], v[12:13], v[8:9] op_sel:[0,1]
	s_delay_alu instid0(VALU_DEP_1) | instskip(SKIP_1) | instid1(VALU_DEP_1)
	v_pk_fma_f32 v[14:15], v[12:13], v[6:7], v[10:11] op_sel:[0,0,1] op_sel_hi:[1,1,0] neg_lo:[0,0,1] neg_hi:[0,0,1]
	v_pk_fma_f32 v[10:11], v[12:13], v[6:7], v[10:11] op_sel:[0,0,1] op_sel_hi:[1,0,0]
	v_mov_b32_e32 v15, v11
	ds_load_2addr_b64 v[10:13], v80 offset0:40 offset1:41
	v_pk_add_f32 v[164:165], v[164:165], v[18:19] neg_lo:[0,1] neg_hi:[0,1]
	v_pk_add_f32 v[160:161], v[160:161], v[14:15] neg_lo:[0,1] neg_hi:[0,1]
	s_wait_dscnt 0x0
	v_dual_mul_f32 v14, v11, v9 :: v_dual_mul_f32 v18, v11, v6
	s_delay_alu instid0(VALU_DEP_1) | instskip(NEXT) | instid1(VALU_DEP_2)
	v_pk_fma_f32 v[14:15], v[10:11], v[122:123], v[14:15] op_sel_hi:[1,1,0] neg_lo:[0,0,1] neg_hi:[0,0,1]
	v_pk_fma_f32 v[10:11], v[10:11], v[122:123], v[18:19] op_sel:[1,0,0] op_sel_hi:[0,1,0]
	s_delay_alu instid0(VALU_DEP_1) | instskip(SKIP_1) | instid1(VALU_DEP_2)
	v_mov_b32_e32 v15, v11
	v_pk_mul_f32 v[10:11], v[12:13], v[8:9] op_sel:[0,1]
	v_pk_add_f32 v[192:193], v[192:193], v[14:15] neg_lo:[0,1] neg_hi:[0,1]
	s_delay_alu instid0(VALU_DEP_2) | instskip(SKIP_1) | instid1(VALU_DEP_1)
	v_pk_fma_f32 v[14:15], v[12:13], v[6:7], v[10:11] op_sel:[0,0,1] op_sel_hi:[1,1,0] neg_lo:[0,0,1] neg_hi:[0,0,1]
	v_pk_fma_f32 v[10:11], v[12:13], v[6:7], v[10:11] op_sel:[0,0,1] op_sel_hi:[1,0,0]
	v_mov_b32_e32 v15, v11
	ds_load_2addr_b64 v[10:13], v80 offset0:42 offset1:43
	v_pk_add_f32 v[184:185], v[184:185], v[14:15] neg_lo:[0,1] neg_hi:[0,1]
	s_wait_dscnt 0x0
	v_pk_mul_f32 v[14:15], v[10:11], v[8:9] op_sel:[0,1]
	s_delay_alu instid0(VALU_DEP_1) | instskip(SKIP_1) | instid1(VALU_DEP_1)
	v_pk_fma_f32 v[18:19], v[10:11], v[6:7], v[14:15] op_sel:[0,0,1] op_sel_hi:[1,1,0] neg_lo:[0,0,1] neg_hi:[0,0,1]
	v_pk_fma_f32 v[10:11], v[10:11], v[6:7], v[14:15] op_sel:[0,0,1] op_sel_hi:[1,0,0]
	v_mov_b32_e32 v19, v11
	v_pk_mul_f32 v[10:11], v[12:13], v[8:9] op_sel:[0,1]
	s_delay_alu instid0(VALU_DEP_2) | instskip(NEXT) | instid1(VALU_DEP_2)
	v_pk_add_f32 v[190:191], v[190:191], v[18:19] neg_lo:[0,1] neg_hi:[0,1]
	v_pk_fma_f32 v[14:15], v[12:13], v[6:7], v[10:11] op_sel:[0,0,1] op_sel_hi:[1,1,0] neg_lo:[0,0,1] neg_hi:[0,0,1]
	v_pk_fma_f32 v[10:11], v[12:13], v[6:7], v[10:11] op_sel:[0,0,1] op_sel_hi:[1,0,0]
	s_delay_alu instid0(VALU_DEP_1) | instskip(SKIP_4) | instid1(VALU_DEP_1)
	v_mov_b32_e32 v15, v11
	ds_load_2addr_b64 v[10:13], v80 offset0:44 offset1:45
	v_pk_add_f32 v[182:183], v[182:183], v[14:15] neg_lo:[0,1] neg_hi:[0,1]
	s_wait_dscnt 0x0
	v_pk_mul_f32 v[14:15], v[10:11], v[8:9] op_sel:[0,1]
	v_pk_fma_f32 v[18:19], v[10:11], v[6:7], v[14:15] op_sel:[0,0,1] op_sel_hi:[1,1,0] neg_lo:[0,0,1] neg_hi:[0,0,1]
	v_pk_fma_f32 v[10:11], v[10:11], v[6:7], v[14:15] op_sel:[0,0,1] op_sel_hi:[1,0,0]
	v_dual_mul_f32 v14, v13, v9 :: v_dual_mov_b32 v10, v13
	s_delay_alu instid0(VALU_DEP_2) | instskip(NEXT) | instid1(VALU_DEP_2)
	v_dual_mov_b32 v19, v11 :: v_dual_mov_b32 v11, v12
	v_pk_fma_f32 v[14:15], v[12:13], v[122:123], v[14:15] op_sel_hi:[1,1,0] neg_lo:[0,0,1] neg_hi:[0,0,1]
	v_mul_f32_e32 v12, v13, v6
	s_delay_alu instid0(VALU_DEP_3) | instskip(NEXT) | instid1(VALU_DEP_2)
	v_pk_add_f32 v[188:189], v[188:189], v[18:19] neg_lo:[0,1] neg_hi:[0,1]
	v_pk_fma_f32 v[10:11], v[10:11], v[122:123], v[12:13] op_sel_hi:[1,1,0]
	s_delay_alu instid0(VALU_DEP_1) | instskip(SKIP_4) | instid1(VALU_DEP_1)
	v_mov_b32_e32 v15, v11
	ds_load_2addr_b64 v[10:13], v80 offset0:46 offset1:47
	v_pk_add_f32 v[180:181], v[180:181], v[14:15] neg_lo:[0,1] neg_hi:[0,1]
	s_wait_dscnt 0x0
	v_pk_mul_f32 v[14:15], v[10:11], v[8:9] op_sel:[0,1]
	v_pk_fma_f32 v[18:19], v[10:11], v[6:7], v[14:15] op_sel:[0,0,1] op_sel_hi:[1,1,0] neg_lo:[0,0,1] neg_hi:[0,0,1]
	v_pk_fma_f32 v[10:11], v[10:11], v[6:7], v[14:15] op_sel:[0,0,1] op_sel_hi:[1,0,0]
	s_delay_alu instid0(VALU_DEP_1) | instskip(SKIP_1) | instid1(VALU_DEP_1)
	v_mov_b32_e32 v19, v11
	v_pk_mul_f32 v[10:11], v[12:13], v[8:9] op_sel:[0,1]
	v_pk_fma_f32 v[14:15], v[12:13], v[6:7], v[10:11] op_sel:[0,0,1] op_sel_hi:[1,1,0] neg_lo:[0,0,1] neg_hi:[0,0,1]
	v_pk_fma_f32 v[10:11], v[12:13], v[6:7], v[10:11] op_sel:[0,0,1] op_sel_hi:[1,0,0]
	s_delay_alu instid0(VALU_DEP_1)
	v_mov_b32_e32 v15, v11
	ds_load_b64 v[10:11], v80 offset:384
	v_pk_add_f32 v[186:187], v[186:187], v[18:19] neg_lo:[0,1] neg_hi:[0,1]
	v_pk_add_f32 v[194:195], v[194:195], v[14:15] neg_lo:[0,1] neg_hi:[0,1]
	s_wait_dscnt 0x0
	v_pk_mul_f32 v[8:9], v[10:11], v[8:9] op_sel:[0,1]
	s_delay_alu instid0(VALU_DEP_1) | instskip(SKIP_1) | instid1(VALU_DEP_1)
	v_pk_fma_f32 v[12:13], v[10:11], v[6:7], v[8:9] op_sel:[0,0,1] op_sel_hi:[1,1,0] neg_lo:[0,0,1] neg_hi:[0,0,1]
	v_pk_fma_f32 v[6:7], v[10:11], v[6:7], v[8:9] op_sel:[0,0,1] op_sel_hi:[1,0,0]
	v_mov_b32_e32 v13, v7
	s_delay_alu instid0(VALU_DEP_1)
	v_pk_add_f32 v[196:197], v[196:197], v[12:13] neg_lo:[0,1] neg_hi:[0,1]
.LBB97_289:
	s_or_b32 exec_lo, exec_lo, s1
	s_delay_alu instid0(SALU_CYCLE_1)
	s_mov_b32 s2, exec_lo
	s_wait_dscnt 0x0
	s_barrier_signal -1
	s_barrier_wait -1
	v_cmpx_eq_u32_e32 32, v78
	s_cbranch_execz .LBB97_296
; %bb.290:
	ds_store_b64 v79, v[144:145]
	ds_store_2addr_b64 v80, v[140:141], v[142:143] offset0:33 offset1:34
	ds_store_2addr_b64 v80, v[138:139], v[166:167] offset0:35 offset1:36
	;; [unrolled: 1-line block ×8, first 2 shown]
	ds_load_b64 v[6:7], v79
	s_wait_dscnt 0x0
	v_cmp_neq_f32_e32 vcc_lo, 0, v6
	v_cmp_neq_f32_e64 s1, 0, v7
	s_or_b32 s1, vcc_lo, s1
	s_delay_alu instid0(SALU_CYCLE_1)
	s_and_b32 exec_lo, exec_lo, s1
	s_cbranch_execz .LBB97_296
; %bb.291:
	v_cmp_ngt_f32_e64 s1, |v6|, |v7|
                                        ; implicit-def: $vgpr8_vgpr9
	s_and_saveexec_b32 s4, s1
	s_delay_alu instid0(SALU_CYCLE_1)
	s_xor_b32 s1, exec_lo, s4
	s_cbranch_execz .LBB97_293
; %bb.292:
	v_div_scale_f32 v8, null, v7, v7, v6
	v_div_scale_f32 v11, vcc_lo, v6, v7, v6
	s_delay_alu instid0(VALU_DEP_2) | instskip(SKIP_1) | instid1(TRANS32_DEP_1)
	v_rcp_f32_e32 v9, v8
	v_nop
	v_fma_f32 v10, -v8, v9, 1.0
	s_delay_alu instid0(VALU_DEP_1) | instskip(NEXT) | instid1(VALU_DEP_1)
	v_fmac_f32_e32 v9, v10, v9
	v_mul_f32_e32 v10, v11, v9
	s_delay_alu instid0(VALU_DEP_1) | instskip(NEXT) | instid1(VALU_DEP_1)
	v_fma_f32 v12, -v8, v10, v11
	v_fmac_f32_e32 v10, v12, v9
	s_delay_alu instid0(VALU_DEP_1) | instskip(NEXT) | instid1(VALU_DEP_1)
	v_fma_f32 v8, -v8, v10, v11
	v_div_fmas_f32 v8, v8, v9, v10
	s_delay_alu instid0(VALU_DEP_1) | instskip(NEXT) | instid1(VALU_DEP_1)
	v_div_fixup_f32 v8, v8, v7, v6
	v_fmac_f32_e32 v7, v6, v8
	s_delay_alu instid0(VALU_DEP_1) | instskip(SKIP_1) | instid1(VALU_DEP_2)
	v_div_scale_f32 v6, null, v7, v7, 1.0
	v_div_scale_f32 v11, vcc_lo, 1.0, v7, 1.0
	v_rcp_f32_e32 v9, v6
	v_nop
	s_delay_alu instid0(TRANS32_DEP_1) | instskip(NEXT) | instid1(VALU_DEP_1)
	v_fma_f32 v10, -v6, v9, 1.0
	v_fmac_f32_e32 v9, v10, v9
	s_delay_alu instid0(VALU_DEP_1) | instskip(NEXT) | instid1(VALU_DEP_1)
	v_mul_f32_e32 v10, v11, v9
	v_fma_f32 v12, -v6, v10, v11
	s_delay_alu instid0(VALU_DEP_1) | instskip(NEXT) | instid1(VALU_DEP_1)
	v_fmac_f32_e32 v10, v12, v9
	v_fma_f32 v6, -v6, v10, v11
	s_delay_alu instid0(VALU_DEP_1) | instskip(NEXT) | instid1(VALU_DEP_1)
	v_div_fmas_f32 v6, v6, v9, v10
	v_div_fixup_f32 v6, v6, v7, 1.0
	s_delay_alu instid0(VALU_DEP_1)
	v_mul_f32_e32 v8, v8, v6
	v_xor_b32_e32 v9, 0x80000000, v6
                                        ; implicit-def: $vgpr6_vgpr7
.LBB97_293:
	s_and_not1_saveexec_b32 s1, s1
	s_cbranch_execz .LBB97_295
; %bb.294:
	v_div_scale_f32 v8, null, v6, v6, v7
	v_div_scale_f32 v11, vcc_lo, v7, v6, v7
	s_delay_alu instid0(VALU_DEP_2) | instskip(SKIP_1) | instid1(TRANS32_DEP_1)
	v_rcp_f32_e32 v9, v8
	v_nop
	v_fma_f32 v10, -v8, v9, 1.0
	s_delay_alu instid0(VALU_DEP_1) | instskip(NEXT) | instid1(VALU_DEP_1)
	v_fmac_f32_e32 v9, v10, v9
	v_mul_f32_e32 v10, v11, v9
	s_delay_alu instid0(VALU_DEP_1) | instskip(NEXT) | instid1(VALU_DEP_1)
	v_fma_f32 v12, -v8, v10, v11
	v_fmac_f32_e32 v10, v12, v9
	s_delay_alu instid0(VALU_DEP_1) | instskip(NEXT) | instid1(VALU_DEP_1)
	v_fma_f32 v8, -v8, v10, v11
	v_div_fmas_f32 v8, v8, v9, v10
	s_delay_alu instid0(VALU_DEP_1) | instskip(NEXT) | instid1(VALU_DEP_1)
	v_div_fixup_f32 v9, v8, v6, v7
	v_fmac_f32_e32 v6, v7, v9
	s_delay_alu instid0(VALU_DEP_1) | instskip(NEXT) | instid1(VALU_DEP_1)
	v_div_scale_f32 v7, null, v6, v6, 1.0
	v_rcp_f32_e32 v8, v7
	v_nop
	s_delay_alu instid0(TRANS32_DEP_1) | instskip(NEXT) | instid1(VALU_DEP_1)
	v_fma_f32 v10, -v7, v8, 1.0
	v_fmac_f32_e32 v8, v10, v8
	v_div_scale_f32 v10, vcc_lo, 1.0, v6, 1.0
	s_delay_alu instid0(VALU_DEP_1) | instskip(NEXT) | instid1(VALU_DEP_1)
	v_mul_f32_e32 v11, v10, v8
	v_fma_f32 v12, -v7, v11, v10
	s_delay_alu instid0(VALU_DEP_1) | instskip(NEXT) | instid1(VALU_DEP_1)
	v_fmac_f32_e32 v11, v12, v8
	v_fma_f32 v7, -v7, v11, v10
	s_delay_alu instid0(VALU_DEP_1) | instskip(NEXT) | instid1(VALU_DEP_1)
	v_div_fmas_f32 v7, v7, v8, v11
	v_div_fixup_f32 v8, v7, v6, 1.0
	s_delay_alu instid0(VALU_DEP_1)
	v_mul_f32_e64 v9, v9, -v8
.LBB97_295:
	s_or_b32 exec_lo, exec_lo, s1
	ds_store_b64 v79, v[8:9]
.LBB97_296:
	s_or_b32 exec_lo, exec_lo, s2
	s_wait_dscnt 0x0
	s_barrier_signal -1
	s_barrier_wait -1
	ds_load_b64 v[6:7], v79
	s_mov_b32 s1, exec_lo
	v_cmpx_lt_u32_e32 32, v78
	s_cbranch_execz .LBB97_298
; %bb.297:
	ds_load_2addr_b64 v[12:15], v80 offset0:33 offset1:34
	s_wait_dscnt 0x1
	v_pk_mul_f32 v[10:11], v[6:7], v[144:145] op_sel:[1,1] op_sel_hi:[0,1]
	s_delay_alu instid0(VALU_DEP_1) | instskip(SKIP_1) | instid1(VALU_DEP_1)
	v_pk_fma_f32 v[8:9], v[6:7], v[144:145], v[10:11] op_sel_hi:[1,0,1] neg_lo:[0,0,1] neg_hi:[0,0,1]
	v_pk_fma_f32 v[10:11], v[6:7], v[144:145], v[10:11] op_sel_hi:[1,0,1]
	v_dual_mov_b32 v144, v8 :: v_dual_mov_b32 v145, v11
	s_wait_dscnt 0x0
	s_delay_alu instid0(VALU_DEP_2) | instskip(NEXT) | instid1(VALU_DEP_1)
	v_pk_mul_f32 v[18:19], v[12:13], v[10:11] op_sel:[0,1]
	v_pk_fma_f32 v[24:25], v[12:13], v[8:9], v[18:19] op_sel:[0,0,1] op_sel_hi:[1,1,0] neg_lo:[0,0,1] neg_hi:[0,0,1]
	v_pk_fma_f32 v[12:13], v[12:13], v[8:9], v[18:19] op_sel:[0,0,1] op_sel_hi:[1,0,0]
	s_delay_alu instid0(VALU_DEP_1) | instskip(SKIP_1) | instid1(VALU_DEP_1)
	v_mov_b32_e32 v25, v13
	v_pk_mul_f32 v[12:13], v[14:15], v[10:11] op_sel:[0,1]
	v_pk_fma_f32 v[18:19], v[14:15], v[8:9], v[12:13] op_sel:[0,0,1] op_sel_hi:[1,1,0] neg_lo:[0,0,1] neg_hi:[0,0,1]
	v_pk_fma_f32 v[12:13], v[14:15], v[8:9], v[12:13] op_sel:[0,0,1] op_sel_hi:[1,0,0]
	s_delay_alu instid0(VALU_DEP_1)
	v_mov_b32_e32 v19, v13
	ds_load_2addr_b64 v[12:15], v80 offset0:35 offset1:36
	v_pk_add_f32 v[140:141], v[140:141], v[24:25] neg_lo:[0,1] neg_hi:[0,1]
	v_pk_add_f32 v[142:143], v[142:143], v[18:19] neg_lo:[0,1] neg_hi:[0,1]
	s_wait_dscnt 0x0
	v_pk_mul_f32 v[18:19], v[12:13], v[10:11] op_sel:[0,1]
	s_delay_alu instid0(VALU_DEP_1) | instskip(SKIP_2) | instid1(VALU_DEP_2)
	v_pk_fma_f32 v[24:25], v[12:13], v[8:9], v[18:19] op_sel:[0,0,1] op_sel_hi:[1,1,0] neg_lo:[0,0,1] neg_hi:[0,0,1]
	v_pk_fma_f32 v[12:13], v[12:13], v[8:9], v[18:19] op_sel:[0,0,1] op_sel_hi:[1,0,0]
	v_dual_mul_f32 v18, v15, v11 :: v_dual_mov_b32 v12, v15
	v_dual_mov_b32 v25, v13 :: v_dual_mov_b32 v13, v14
	s_delay_alu instid0(VALU_DEP_2) | instskip(SKIP_1) | instid1(VALU_DEP_3)
	v_pk_fma_f32 v[18:19], v[14:15], v[144:145], v[18:19] op_sel_hi:[1,1,0] neg_lo:[0,0,1] neg_hi:[0,0,1]
	v_mul_f32_e32 v14, v15, v8
	v_pk_add_f32 v[138:139], v[138:139], v[24:25] neg_lo:[0,1] neg_hi:[0,1]
	s_delay_alu instid0(VALU_DEP_2) | instskip(NEXT) | instid1(VALU_DEP_1)
	v_pk_fma_f32 v[12:13], v[12:13], v[144:145], v[14:15] op_sel_hi:[1,1,0]
	v_mov_b32_e32 v19, v13
	ds_load_2addr_b64 v[12:15], v80 offset0:37 offset1:38
	v_pk_add_f32 v[166:167], v[166:167], v[18:19] neg_lo:[0,1] neg_hi:[0,1]
	s_wait_dscnt 0x0
	v_pk_mul_f32 v[18:19], v[12:13], v[10:11] op_sel:[0,1]
	s_delay_alu instid0(VALU_DEP_1) | instskip(SKIP_1) | instid1(VALU_DEP_1)
	v_pk_fma_f32 v[24:25], v[12:13], v[8:9], v[18:19] op_sel:[0,0,1] op_sel_hi:[1,1,0] neg_lo:[0,0,1] neg_hi:[0,0,1]
	v_pk_fma_f32 v[12:13], v[12:13], v[8:9], v[18:19] op_sel:[0,0,1] op_sel_hi:[1,0,0]
	v_mov_b32_e32 v25, v13
	v_pk_mul_f32 v[12:13], v[14:15], v[10:11] op_sel:[0,1]
	s_delay_alu instid0(VALU_DEP_1) | instskip(SKIP_1) | instid1(VALU_DEP_1)
	v_pk_fma_f32 v[18:19], v[14:15], v[8:9], v[12:13] op_sel:[0,0,1] op_sel_hi:[1,1,0] neg_lo:[0,0,1] neg_hi:[0,0,1]
	v_pk_fma_f32 v[12:13], v[14:15], v[8:9], v[12:13] op_sel:[0,0,1] op_sel_hi:[1,0,0]
	v_mov_b32_e32 v19, v13
	ds_load_2addr_b64 v[12:15], v80 offset0:39 offset1:40
	v_pk_add_f32 v[162:163], v[162:163], v[24:25] neg_lo:[0,1] neg_hi:[0,1]
	v_pk_add_f32 v[164:165], v[164:165], v[18:19] neg_lo:[0,1] neg_hi:[0,1]
	s_wait_dscnt 0x0
	v_pk_mul_f32 v[18:19], v[12:13], v[10:11] op_sel:[0,1]
	s_delay_alu instid0(VALU_DEP_1) | instskip(SKIP_1) | instid1(VALU_DEP_1)
	v_pk_fma_f32 v[24:25], v[12:13], v[8:9], v[18:19] op_sel:[0,0,1] op_sel_hi:[1,1,0] neg_lo:[0,0,1] neg_hi:[0,0,1]
	v_pk_fma_f32 v[12:13], v[12:13], v[8:9], v[18:19] op_sel:[0,0,1] op_sel_hi:[1,0,0]
	v_mov_b32_e32 v25, v13
	v_pk_mul_f32 v[12:13], v[14:15], v[10:11] op_sel:[0,1]
	s_delay_alu instid0(VALU_DEP_1) | instskip(SKIP_1) | instid1(VALU_DEP_1)
	v_pk_fma_f32 v[18:19], v[14:15], v[8:9], v[12:13] op_sel:[0,0,1] op_sel_hi:[1,1,0] neg_lo:[0,0,1] neg_hi:[0,0,1]
	v_pk_fma_f32 v[12:13], v[14:15], v[8:9], v[12:13] op_sel:[0,0,1] op_sel_hi:[1,0,0]
	v_mov_b32_e32 v19, v13
	ds_load_2addr_b64 v[12:15], v80 offset0:41 offset1:42
	v_pk_add_f32 v[160:161], v[160:161], v[24:25] neg_lo:[0,1] neg_hi:[0,1]
	v_pk_add_f32 v[192:193], v[192:193], v[18:19] neg_lo:[0,1] neg_hi:[0,1]
	s_wait_dscnt 0x0
	v_dual_mul_f32 v18, v13, v11 :: v_dual_mul_f32 v24, v13, v8
	s_delay_alu instid0(VALU_DEP_1) | instskip(NEXT) | instid1(VALU_DEP_2)
	v_pk_fma_f32 v[18:19], v[12:13], v[144:145], v[18:19] op_sel_hi:[1,1,0] neg_lo:[0,0,1] neg_hi:[0,0,1]
	v_pk_fma_f32 v[12:13], v[12:13], v[144:145], v[24:25] op_sel:[1,0,0] op_sel_hi:[0,1,0]
	s_delay_alu instid0(VALU_DEP_1) | instskip(SKIP_1) | instid1(VALU_DEP_2)
	v_mov_b32_e32 v19, v13
	v_pk_mul_f32 v[12:13], v[14:15], v[10:11] op_sel:[0,1]
	v_pk_add_f32 v[184:185], v[184:185], v[18:19] neg_lo:[0,1] neg_hi:[0,1]
	s_delay_alu instid0(VALU_DEP_2) | instskip(SKIP_1) | instid1(VALU_DEP_1)
	v_pk_fma_f32 v[18:19], v[14:15], v[8:9], v[12:13] op_sel:[0,0,1] op_sel_hi:[1,1,0] neg_lo:[0,0,1] neg_hi:[0,0,1]
	v_pk_fma_f32 v[12:13], v[14:15], v[8:9], v[12:13] op_sel:[0,0,1] op_sel_hi:[1,0,0]
	v_mov_b32_e32 v19, v13
	ds_load_2addr_b64 v[12:15], v80 offset0:43 offset1:44
	v_pk_add_f32 v[190:191], v[190:191], v[18:19] neg_lo:[0,1] neg_hi:[0,1]
	s_wait_dscnt 0x0
	v_pk_mul_f32 v[18:19], v[12:13], v[10:11] op_sel:[0,1]
	s_delay_alu instid0(VALU_DEP_1) | instskip(SKIP_1) | instid1(VALU_DEP_1)
	v_pk_fma_f32 v[24:25], v[12:13], v[8:9], v[18:19] op_sel:[0,0,1] op_sel_hi:[1,1,0] neg_lo:[0,0,1] neg_hi:[0,0,1]
	v_pk_fma_f32 v[12:13], v[12:13], v[8:9], v[18:19] op_sel:[0,0,1] op_sel_hi:[1,0,0]
	v_mov_b32_e32 v25, v13
	v_pk_mul_f32 v[12:13], v[14:15], v[10:11] op_sel:[0,1]
	s_delay_alu instid0(VALU_DEP_2) | instskip(NEXT) | instid1(VALU_DEP_2)
	v_pk_add_f32 v[182:183], v[182:183], v[24:25] neg_lo:[0,1] neg_hi:[0,1]
	v_pk_fma_f32 v[18:19], v[14:15], v[8:9], v[12:13] op_sel:[0,0,1] op_sel_hi:[1,1,0] neg_lo:[0,0,1] neg_hi:[0,0,1]
	v_pk_fma_f32 v[12:13], v[14:15], v[8:9], v[12:13] op_sel:[0,0,1] op_sel_hi:[1,0,0]
	s_delay_alu instid0(VALU_DEP_1) | instskip(SKIP_4) | instid1(VALU_DEP_1)
	v_mov_b32_e32 v19, v13
	ds_load_2addr_b64 v[12:15], v80 offset0:45 offset1:46
	v_pk_add_f32 v[188:189], v[188:189], v[18:19] neg_lo:[0,1] neg_hi:[0,1]
	s_wait_dscnt 0x0
	v_pk_mul_f32 v[18:19], v[12:13], v[10:11] op_sel:[0,1]
	v_pk_fma_f32 v[24:25], v[12:13], v[8:9], v[18:19] op_sel:[0,0,1] op_sel_hi:[1,1,0] neg_lo:[0,0,1] neg_hi:[0,0,1]
	v_pk_fma_f32 v[12:13], v[12:13], v[8:9], v[18:19] op_sel:[0,0,1] op_sel_hi:[1,0,0]
	v_dual_mul_f32 v18, v15, v11 :: v_dual_mov_b32 v12, v15
	s_delay_alu instid0(VALU_DEP_2) | instskip(NEXT) | instid1(VALU_DEP_2)
	v_dual_mov_b32 v25, v13 :: v_dual_mov_b32 v13, v14
	v_pk_fma_f32 v[18:19], v[14:15], v[144:145], v[18:19] op_sel_hi:[1,1,0] neg_lo:[0,0,1] neg_hi:[0,0,1]
	v_mul_f32_e32 v14, v15, v8
	s_delay_alu instid0(VALU_DEP_3) | instskip(NEXT) | instid1(VALU_DEP_2)
	v_pk_add_f32 v[180:181], v[180:181], v[24:25] neg_lo:[0,1] neg_hi:[0,1]
	v_pk_fma_f32 v[12:13], v[12:13], v[144:145], v[14:15] op_sel_hi:[1,1,0]
	s_delay_alu instid0(VALU_DEP_1)
	v_mov_b32_e32 v19, v13
	ds_load_2addr_b64 v[12:15], v80 offset0:47 offset1:48
	v_pk_add_f32 v[186:187], v[186:187], v[18:19] neg_lo:[0,1] neg_hi:[0,1]
	s_wait_dscnt 0x0
	v_pk_mul_f32 v[18:19], v[12:13], v[10:11] op_sel:[0,1]
	v_pk_mul_f32 v[10:11], v[14:15], v[10:11] op_sel:[0,1]
	s_delay_alu instid0(VALU_DEP_2) | instskip(SKIP_1) | instid1(VALU_DEP_1)
	v_pk_fma_f32 v[24:25], v[12:13], v[8:9], v[18:19] op_sel:[0,0,1] op_sel_hi:[1,1,0] neg_lo:[0,0,1] neg_hi:[0,0,1]
	v_pk_fma_f32 v[12:13], v[12:13], v[8:9], v[18:19] op_sel:[0,0,1] op_sel_hi:[1,0,0]
	v_mov_b32_e32 v25, v13
	s_delay_alu instid0(VALU_DEP_4) | instskip(SKIP_1) | instid1(VALU_DEP_1)
	v_pk_fma_f32 v[12:13], v[14:15], v[8:9], v[10:11] op_sel:[0,0,1] op_sel_hi:[1,1,0] neg_lo:[0,0,1] neg_hi:[0,0,1]
	v_pk_fma_f32 v[8:9], v[14:15], v[8:9], v[10:11] op_sel:[0,0,1] op_sel_hi:[1,0,0]
	v_mov_b32_e32 v13, v9
	s_delay_alu instid0(VALU_DEP_4) | instskip(NEXT) | instid1(VALU_DEP_2)
	v_pk_add_f32 v[194:195], v[194:195], v[24:25] neg_lo:[0,1] neg_hi:[0,1]
	v_pk_add_f32 v[196:197], v[196:197], v[12:13] neg_lo:[0,1] neg_hi:[0,1]
.LBB97_298:
	s_or_b32 exec_lo, exec_lo, s1
	s_delay_alu instid0(SALU_CYCLE_1)
	s_mov_b32 s2, exec_lo
	s_wait_dscnt 0x0
	s_barrier_signal -1
	s_barrier_wait -1
	v_cmpx_eq_u32_e32 33, v78
	s_cbranch_execz .LBB97_305
; %bb.299:
	v_dual_mov_b32 v8, v142 :: v_dual_mov_b32 v9, v143
	v_dual_mov_b32 v10, v138 :: v_dual_mov_b32 v11, v139
	ds_store_b64 v79, v[140:141]
	ds_store_2addr_b64 v80, v[8:9], v[10:11] offset0:34 offset1:35
	v_dual_mov_b32 v8, v166 :: v_dual_mov_b32 v9, v167
	v_dual_mov_b32 v10, v162 :: v_dual_mov_b32 v11, v163
	ds_store_2addr_b64 v80, v[8:9], v[10:11] offset0:36 offset1:37
	v_dual_mov_b32 v8, v164 :: v_dual_mov_b32 v9, v165
	v_dual_mov_b32 v10, v160 :: v_dual_mov_b32 v11, v161
	;; [unrolled: 3-line block ×6, first 2 shown]
	ds_store_2addr_b64 v80, v[8:9], v[10:11] offset0:46 offset1:47
	ds_store_b64 v80, v[196:197] offset:384
	ds_load_b64 v[8:9], v79
	s_wait_dscnt 0x0
	v_cmp_neq_f32_e32 vcc_lo, 0, v8
	v_cmp_neq_f32_e64 s1, 0, v9
	s_or_b32 s1, vcc_lo, s1
	s_delay_alu instid0(SALU_CYCLE_1)
	s_and_b32 exec_lo, exec_lo, s1
	s_cbranch_execz .LBB97_305
; %bb.300:
	v_cmp_ngt_f32_e64 s1, |v8|, |v9|
                                        ; implicit-def: $vgpr10_vgpr11
	s_and_saveexec_b32 s4, s1
	s_delay_alu instid0(SALU_CYCLE_1)
	s_xor_b32 s1, exec_lo, s4
	s_cbranch_execz .LBB97_302
; %bb.301:
	v_div_scale_f32 v10, null, v9, v9, v8
	v_div_scale_f32 v13, vcc_lo, v8, v9, v8
	s_delay_alu instid0(VALU_DEP_2) | instskip(SKIP_1) | instid1(TRANS32_DEP_1)
	v_rcp_f32_e32 v11, v10
	v_nop
	v_fma_f32 v12, -v10, v11, 1.0
	s_delay_alu instid0(VALU_DEP_1) | instskip(NEXT) | instid1(VALU_DEP_1)
	v_fmac_f32_e32 v11, v12, v11
	v_mul_f32_e32 v12, v13, v11
	s_delay_alu instid0(VALU_DEP_1) | instskip(NEXT) | instid1(VALU_DEP_1)
	v_fma_f32 v14, -v10, v12, v13
	v_fmac_f32_e32 v12, v14, v11
	s_delay_alu instid0(VALU_DEP_1) | instskip(NEXT) | instid1(VALU_DEP_1)
	v_fma_f32 v10, -v10, v12, v13
	v_div_fmas_f32 v10, v10, v11, v12
	s_delay_alu instid0(VALU_DEP_1) | instskip(NEXT) | instid1(VALU_DEP_1)
	v_div_fixup_f32 v10, v10, v9, v8
	v_fmac_f32_e32 v9, v8, v10
	s_delay_alu instid0(VALU_DEP_1) | instskip(SKIP_1) | instid1(VALU_DEP_2)
	v_div_scale_f32 v8, null, v9, v9, 1.0
	v_div_scale_f32 v13, vcc_lo, 1.0, v9, 1.0
	v_rcp_f32_e32 v11, v8
	v_nop
	s_delay_alu instid0(TRANS32_DEP_1) | instskip(NEXT) | instid1(VALU_DEP_1)
	v_fma_f32 v12, -v8, v11, 1.0
	v_fmac_f32_e32 v11, v12, v11
	s_delay_alu instid0(VALU_DEP_1) | instskip(NEXT) | instid1(VALU_DEP_1)
	v_mul_f32_e32 v12, v13, v11
	v_fma_f32 v14, -v8, v12, v13
	s_delay_alu instid0(VALU_DEP_1) | instskip(NEXT) | instid1(VALU_DEP_1)
	v_fmac_f32_e32 v12, v14, v11
	v_fma_f32 v8, -v8, v12, v13
	s_delay_alu instid0(VALU_DEP_1) | instskip(NEXT) | instid1(VALU_DEP_1)
	v_div_fmas_f32 v8, v8, v11, v12
	v_div_fixup_f32 v8, v8, v9, 1.0
	s_delay_alu instid0(VALU_DEP_1)
	v_mul_f32_e32 v10, v10, v8
	v_xor_b32_e32 v11, 0x80000000, v8
                                        ; implicit-def: $vgpr8_vgpr9
.LBB97_302:
	s_and_not1_saveexec_b32 s1, s1
	s_cbranch_execz .LBB97_304
; %bb.303:
	v_div_scale_f32 v10, null, v8, v8, v9
	v_div_scale_f32 v13, vcc_lo, v9, v8, v9
	s_delay_alu instid0(VALU_DEP_2) | instskip(SKIP_1) | instid1(TRANS32_DEP_1)
	v_rcp_f32_e32 v11, v10
	v_nop
	v_fma_f32 v12, -v10, v11, 1.0
	s_delay_alu instid0(VALU_DEP_1) | instskip(NEXT) | instid1(VALU_DEP_1)
	v_fmac_f32_e32 v11, v12, v11
	v_mul_f32_e32 v12, v13, v11
	s_delay_alu instid0(VALU_DEP_1) | instskip(NEXT) | instid1(VALU_DEP_1)
	v_fma_f32 v14, -v10, v12, v13
	v_fmac_f32_e32 v12, v14, v11
	s_delay_alu instid0(VALU_DEP_1) | instskip(NEXT) | instid1(VALU_DEP_1)
	v_fma_f32 v10, -v10, v12, v13
	v_div_fmas_f32 v10, v10, v11, v12
	s_delay_alu instid0(VALU_DEP_1) | instskip(NEXT) | instid1(VALU_DEP_1)
	v_div_fixup_f32 v11, v10, v8, v9
	v_fmac_f32_e32 v8, v9, v11
	s_delay_alu instid0(VALU_DEP_1) | instskip(NEXT) | instid1(VALU_DEP_1)
	v_div_scale_f32 v9, null, v8, v8, 1.0
	v_rcp_f32_e32 v10, v9
	v_nop
	s_delay_alu instid0(TRANS32_DEP_1) | instskip(NEXT) | instid1(VALU_DEP_1)
	v_fma_f32 v12, -v9, v10, 1.0
	v_fmac_f32_e32 v10, v12, v10
	v_div_scale_f32 v12, vcc_lo, 1.0, v8, 1.0
	s_delay_alu instid0(VALU_DEP_1) | instskip(NEXT) | instid1(VALU_DEP_1)
	v_mul_f32_e32 v13, v12, v10
	v_fma_f32 v14, -v9, v13, v12
	s_delay_alu instid0(VALU_DEP_1) | instskip(NEXT) | instid1(VALU_DEP_1)
	v_fmac_f32_e32 v13, v14, v10
	v_fma_f32 v9, -v9, v13, v12
	s_delay_alu instid0(VALU_DEP_1) | instskip(NEXT) | instid1(VALU_DEP_1)
	v_div_fmas_f32 v9, v9, v10, v13
	v_div_fixup_f32 v10, v9, v8, 1.0
	s_delay_alu instid0(VALU_DEP_1)
	v_mul_f32_e64 v11, v11, -v10
.LBB97_304:
	s_or_b32 exec_lo, exec_lo, s1
	ds_store_b64 v79, v[10:11]
.LBB97_305:
	s_or_b32 exec_lo, exec_lo, s2
	s_wait_dscnt 0x0
	s_barrier_signal -1
	s_barrier_wait -1
	ds_load_b64 v[8:9], v79
	s_mov_b32 s1, exec_lo
	v_cmpx_lt_u32_e32 33, v78
	s_cbranch_execz .LBB97_307
; %bb.306:
	ds_load_2addr_b64 v[24:27], v80 offset0:34 offset1:35
	s_wait_dscnt 0x1
	v_pk_mul_f32 v[12:13], v[8:9], v[140:141] op_sel:[1,1] op_sel_hi:[0,1]
	s_delay_alu instid0(VALU_DEP_1) | instskip(SKIP_1) | instid1(VALU_DEP_1)
	v_pk_fma_f32 v[10:11], v[8:9], v[140:141], v[12:13] op_sel_hi:[1,0,1] neg_lo:[0,0,1] neg_hi:[0,0,1]
	v_pk_fma_f32 v[12:13], v[8:9], v[140:141], v[12:13] op_sel_hi:[1,0,1]
	v_dual_mov_b32 v140, v10 :: v_dual_mov_b32 v141, v13
	s_wait_dscnt 0x0
	s_delay_alu instid0(VALU_DEP_2) | instskip(NEXT) | instid1(VALU_DEP_1)
	v_pk_mul_f32 v[14:15], v[24:25], v[12:13] op_sel:[0,1]
	v_pk_fma_f32 v[18:19], v[24:25], v[10:11], v[14:15] op_sel:[0,0,1] op_sel_hi:[1,1,0] neg_lo:[0,0,1] neg_hi:[0,0,1]
	v_pk_fma_f32 v[14:15], v[24:25], v[10:11], v[14:15] op_sel:[0,0,1] op_sel_hi:[1,0,0]
	s_delay_alu instid0(VALU_DEP_1) | instskip(SKIP_1) | instid1(VALU_DEP_2)
	v_mov_b32_e32 v19, v15
	v_pk_mul_f32 v[14:15], v[26:27], v[12:13] op_sel:[0,1]
	v_pk_add_f32 v[142:143], v[142:143], v[18:19] neg_lo:[0,1] neg_hi:[0,1]
	s_delay_alu instid0(VALU_DEP_2) | instskip(SKIP_3) | instid1(VALU_DEP_1)
	v_pk_fma_f32 v[18:19], v[26:27], v[10:11], v[14:15] op_sel:[0,0,1] op_sel_hi:[1,1,0] neg_lo:[0,0,1] neg_hi:[0,0,1]
	v_pk_fma_f32 v[14:15], v[26:27], v[10:11], v[14:15] op_sel:[0,0,1] op_sel_hi:[1,0,0]
	ds_load_2addr_b64 v[24:27], v80 offset0:36 offset1:37
	v_mov_b32_e32 v19, v15
	v_pk_add_f32 v[138:139], v[138:139], v[18:19] neg_lo:[0,1] neg_hi:[0,1]
	s_wait_dscnt 0x0
	v_pk_mul_f32 v[14:15], v[24:25], v[12:13] op_sel:[0,1]
	s_delay_alu instid0(VALU_DEP_1) | instskip(SKIP_2) | instid1(VALU_DEP_2)
	v_pk_fma_f32 v[18:19], v[24:25], v[10:11], v[14:15] op_sel:[0,0,1] op_sel_hi:[1,1,0] neg_lo:[0,0,1] neg_hi:[0,0,1]
	v_pk_fma_f32 v[14:15], v[24:25], v[10:11], v[14:15] op_sel:[0,0,1] op_sel_hi:[1,0,0]
	v_dual_mov_b32 v14, v27 :: v_dual_mul_f32 v24, v27, v10
	v_dual_mov_b32 v19, v15 :: v_dual_mov_b32 v15, v26
	s_delay_alu instid0(VALU_DEP_1) | instskip(SKIP_1) | instid1(VALU_DEP_3)
	v_pk_add_f32 v[166:167], v[166:167], v[18:19] neg_lo:[0,1] neg_hi:[0,1]
	v_mul_f32_e32 v18, v27, v13
	v_pk_fma_f32 v[14:15], v[14:15], v[140:141], v[24:25] op_sel_hi:[1,1,0]
	s_delay_alu instid0(VALU_DEP_2) | instskip(SKIP_2) | instid1(VALU_DEP_1)
	v_pk_fma_f32 v[18:19], v[26:27], v[140:141], v[18:19] op_sel_hi:[1,1,0] neg_lo:[0,0,1] neg_hi:[0,0,1]
	ds_load_2addr_b64 v[24:27], v80 offset0:38 offset1:39
	v_mov_b32_e32 v19, v15
	v_pk_add_f32 v[162:163], v[162:163], v[18:19] neg_lo:[0,1] neg_hi:[0,1]
	s_wait_dscnt 0x0
	v_pk_mul_f32 v[14:15], v[24:25], v[12:13] op_sel:[0,1]
	s_delay_alu instid0(VALU_DEP_1) | instskip(SKIP_1) | instid1(VALU_DEP_1)
	v_pk_fma_f32 v[18:19], v[24:25], v[10:11], v[14:15] op_sel:[0,0,1] op_sel_hi:[1,1,0] neg_lo:[0,0,1] neg_hi:[0,0,1]
	v_pk_fma_f32 v[14:15], v[24:25], v[10:11], v[14:15] op_sel:[0,0,1] op_sel_hi:[1,0,0]
	v_mov_b32_e32 v19, v15
	v_pk_mul_f32 v[14:15], v[26:27], v[12:13] op_sel:[0,1]
	s_delay_alu instid0(VALU_DEP_2) | instskip(NEXT) | instid1(VALU_DEP_2)
	v_pk_add_f32 v[164:165], v[164:165], v[18:19] neg_lo:[0,1] neg_hi:[0,1]
	v_pk_fma_f32 v[18:19], v[26:27], v[10:11], v[14:15] op_sel:[0,0,1] op_sel_hi:[1,1,0] neg_lo:[0,0,1] neg_hi:[0,0,1]
	v_pk_fma_f32 v[14:15], v[26:27], v[10:11], v[14:15] op_sel:[0,0,1] op_sel_hi:[1,0,0]
	ds_load_2addr_b64 v[24:27], v80 offset0:40 offset1:41
	v_mov_b32_e32 v19, v15
	s_delay_alu instid0(VALU_DEP_1) | instskip(SKIP_2) | instid1(VALU_DEP_1)
	v_pk_add_f32 v[160:161], v[160:161], v[18:19] neg_lo:[0,1] neg_hi:[0,1]
	s_wait_dscnt 0x0
	v_pk_mul_f32 v[14:15], v[24:25], v[12:13] op_sel:[0,1]
	v_pk_fma_f32 v[18:19], v[24:25], v[10:11], v[14:15] op_sel:[0,0,1] op_sel_hi:[1,1,0] neg_lo:[0,0,1] neg_hi:[0,0,1]
	v_pk_fma_f32 v[14:15], v[24:25], v[10:11], v[14:15] op_sel:[0,0,1] op_sel_hi:[1,0,0]
	s_delay_alu instid0(VALU_DEP_1) | instskip(SKIP_1) | instid1(VALU_DEP_2)
	v_mov_b32_e32 v19, v15
	v_pk_mul_f32 v[14:15], v[26:27], v[12:13] op_sel:[0,1]
	v_pk_add_f32 v[192:193], v[192:193], v[18:19] neg_lo:[0,1] neg_hi:[0,1]
	s_delay_alu instid0(VALU_DEP_2) | instskip(SKIP_3) | instid1(VALU_DEP_1)
	v_pk_fma_f32 v[18:19], v[26:27], v[10:11], v[14:15] op_sel:[0,0,1] op_sel_hi:[1,1,0] neg_lo:[0,0,1] neg_hi:[0,0,1]
	v_pk_fma_f32 v[14:15], v[26:27], v[10:11], v[14:15] op_sel:[0,0,1] op_sel_hi:[1,0,0]
	ds_load_2addr_b64 v[24:27], v80 offset0:42 offset1:43
	v_mov_b32_e32 v19, v15
	v_pk_add_f32 v[184:185], v[184:185], v[18:19] neg_lo:[0,1] neg_hi:[0,1]
	s_wait_dscnt 0x0
	v_dual_mul_f32 v18, v25, v10 :: v_dual_mul_f32 v14, v25, v13
	s_delay_alu instid0(VALU_DEP_1) | instskip(NEXT) | instid1(VALU_DEP_2)
	v_pk_fma_f32 v[18:19], v[24:25], v[140:141], v[18:19] op_sel:[1,0,0] op_sel_hi:[0,1,0]
	v_pk_fma_f32 v[14:15], v[24:25], v[140:141], v[14:15] op_sel_hi:[1,1,0] neg_lo:[0,0,1] neg_hi:[0,0,1]
	s_delay_alu instid0(VALU_DEP_2) | instskip(NEXT) | instid1(VALU_DEP_1)
	v_mov_b32_e32 v15, v19
	v_pk_add_f32 v[190:191], v[190:191], v[14:15] neg_lo:[0,1] neg_hi:[0,1]
	v_pk_mul_f32 v[14:15], v[26:27], v[12:13] op_sel:[0,1]
	s_delay_alu instid0(VALU_DEP_1) | instskip(SKIP_3) | instid1(VALU_DEP_1)
	v_pk_fma_f32 v[18:19], v[26:27], v[10:11], v[14:15] op_sel:[0,0,1] op_sel_hi:[1,1,0] neg_lo:[0,0,1] neg_hi:[0,0,1]
	v_pk_fma_f32 v[14:15], v[26:27], v[10:11], v[14:15] op_sel:[0,0,1] op_sel_hi:[1,0,0]
	ds_load_2addr_b64 v[24:27], v80 offset0:44 offset1:45
	v_mov_b32_e32 v19, v15
	v_pk_add_f32 v[182:183], v[182:183], v[18:19] neg_lo:[0,1] neg_hi:[0,1]
	s_wait_dscnt 0x0
	v_pk_mul_f32 v[14:15], v[24:25], v[12:13] op_sel:[0,1]
	s_delay_alu instid0(VALU_DEP_1) | instskip(SKIP_1) | instid1(VALU_DEP_1)
	v_pk_fma_f32 v[18:19], v[24:25], v[10:11], v[14:15] op_sel:[0,0,1] op_sel_hi:[1,1,0] neg_lo:[0,0,1] neg_hi:[0,0,1]
	v_pk_fma_f32 v[14:15], v[24:25], v[10:11], v[14:15] op_sel:[0,0,1] op_sel_hi:[1,0,0]
	v_mov_b32_e32 v19, v15
	v_pk_mul_f32 v[14:15], v[26:27], v[12:13] op_sel:[0,1]
	s_delay_alu instid0(VALU_DEP_2) | instskip(NEXT) | instid1(VALU_DEP_2)
	v_pk_add_f32 v[188:189], v[188:189], v[18:19] neg_lo:[0,1] neg_hi:[0,1]
	v_pk_fma_f32 v[18:19], v[26:27], v[10:11], v[14:15] op_sel:[0,0,1] op_sel_hi:[1,1,0] neg_lo:[0,0,1] neg_hi:[0,0,1]
	v_pk_fma_f32 v[14:15], v[26:27], v[10:11], v[14:15] op_sel:[0,0,1] op_sel_hi:[1,0,0]
	ds_load_2addr_b64 v[24:27], v80 offset0:46 offset1:47
	v_mov_b32_e32 v19, v15
	s_delay_alu instid0(VALU_DEP_1) | instskip(SKIP_2) | instid1(VALU_DEP_1)
	v_pk_add_f32 v[180:181], v[180:181], v[18:19] neg_lo:[0,1] neg_hi:[0,1]
	s_wait_dscnt 0x0
	v_pk_mul_f32 v[14:15], v[24:25], v[12:13] op_sel:[0,1]
	v_pk_fma_f32 v[18:19], v[24:25], v[10:11], v[14:15] op_sel:[0,0,1] op_sel_hi:[1,1,0] neg_lo:[0,0,1] neg_hi:[0,0,1]
	v_pk_fma_f32 v[14:15], v[24:25], v[10:11], v[14:15] op_sel:[0,0,1] op_sel_hi:[1,0,0]
	v_dual_mov_b32 v14, v27 :: v_dual_mul_f32 v24, v27, v10
	s_delay_alu instid0(VALU_DEP_2) | instskip(NEXT) | instid1(VALU_DEP_1)
	v_dual_mov_b32 v19, v15 :: v_dual_mov_b32 v15, v26
	v_pk_add_f32 v[186:187], v[186:187], v[18:19] neg_lo:[0,1] neg_hi:[0,1]
	v_mul_f32_e32 v18, v27, v13
	s_delay_alu instid0(VALU_DEP_3) | instskip(NEXT) | instid1(VALU_DEP_2)
	v_pk_fma_f32 v[14:15], v[14:15], v[140:141], v[24:25] op_sel_hi:[1,1,0]
	v_pk_fma_f32 v[18:19], v[26:27], v[140:141], v[18:19] op_sel_hi:[1,1,0] neg_lo:[0,0,1] neg_hi:[0,0,1]
	s_delay_alu instid0(VALU_DEP_2) | instskip(SKIP_4) | instid1(VALU_DEP_1)
	v_mov_b32_e32 v19, v15
	ds_load_b64 v[14:15], v80 offset:384
	v_pk_add_f32 v[194:195], v[194:195], v[18:19] neg_lo:[0,1] neg_hi:[0,1]
	s_wait_dscnt 0x0
	v_pk_mul_f32 v[12:13], v[14:15], v[12:13] op_sel:[0,1]
	v_pk_fma_f32 v[18:19], v[14:15], v[10:11], v[12:13] op_sel:[0,0,1] op_sel_hi:[1,1,0] neg_lo:[0,0,1] neg_hi:[0,0,1]
	v_pk_fma_f32 v[10:11], v[14:15], v[10:11], v[12:13] op_sel:[0,0,1] op_sel_hi:[1,0,0]
	s_delay_alu instid0(VALU_DEP_1) | instskip(NEXT) | instid1(VALU_DEP_1)
	v_mov_b32_e32 v19, v11
	v_pk_add_f32 v[196:197], v[196:197], v[18:19] neg_lo:[0,1] neg_hi:[0,1]
.LBB97_307:
	s_or_b32 exec_lo, exec_lo, s1
	s_delay_alu instid0(SALU_CYCLE_1)
	s_mov_b32 s2, exec_lo
	s_wait_dscnt 0x0
	s_barrier_signal -1
	s_barrier_wait -1
	v_cmpx_eq_u32_e32 34, v78
	s_cbranch_execz .LBB97_314
; %bb.308:
	ds_store_b64 v79, v[142:143]
	ds_store_2addr_b64 v80, v[138:139], v[166:167] offset0:35 offset1:36
	ds_store_2addr_b64 v80, v[162:163], v[164:165] offset0:37 offset1:38
	;; [unrolled: 1-line block ×7, first 2 shown]
	ds_load_b64 v[10:11], v79
	s_wait_dscnt 0x0
	v_cmp_neq_f32_e32 vcc_lo, 0, v10
	v_cmp_neq_f32_e64 s1, 0, v11
	s_or_b32 s1, vcc_lo, s1
	s_delay_alu instid0(SALU_CYCLE_1)
	s_and_b32 exec_lo, exec_lo, s1
	s_cbranch_execz .LBB97_314
; %bb.309:
	v_cmp_ngt_f32_e64 s1, |v10|, |v11|
                                        ; implicit-def: $vgpr12_vgpr13
	s_and_saveexec_b32 s4, s1
	s_delay_alu instid0(SALU_CYCLE_1)
	s_xor_b32 s1, exec_lo, s4
	s_cbranch_execz .LBB97_311
; %bb.310:
	v_div_scale_f32 v12, null, v11, v11, v10
	v_div_scale_f32 v15, vcc_lo, v10, v11, v10
	s_delay_alu instid0(VALU_DEP_2) | instskip(SKIP_1) | instid1(TRANS32_DEP_1)
	v_rcp_f32_e32 v13, v12
	v_nop
	v_fma_f32 v14, -v12, v13, 1.0
	s_delay_alu instid0(VALU_DEP_1) | instskip(NEXT) | instid1(VALU_DEP_1)
	v_fmac_f32_e32 v13, v14, v13
	v_mul_f32_e32 v14, v15, v13
	s_delay_alu instid0(VALU_DEP_1) | instskip(NEXT) | instid1(VALU_DEP_1)
	v_fma_f32 v18, -v12, v14, v15
	v_fmac_f32_e32 v14, v18, v13
	s_delay_alu instid0(VALU_DEP_1) | instskip(NEXT) | instid1(VALU_DEP_1)
	v_fma_f32 v12, -v12, v14, v15
	v_div_fmas_f32 v12, v12, v13, v14
	s_delay_alu instid0(VALU_DEP_1) | instskip(NEXT) | instid1(VALU_DEP_1)
	v_div_fixup_f32 v12, v12, v11, v10
	v_fmac_f32_e32 v11, v10, v12
	s_delay_alu instid0(VALU_DEP_1) | instskip(SKIP_1) | instid1(VALU_DEP_2)
	v_div_scale_f32 v10, null, v11, v11, 1.0
	v_div_scale_f32 v15, vcc_lo, 1.0, v11, 1.0
	v_rcp_f32_e32 v13, v10
	v_nop
	s_delay_alu instid0(TRANS32_DEP_1) | instskip(NEXT) | instid1(VALU_DEP_1)
	v_fma_f32 v14, -v10, v13, 1.0
	v_fmac_f32_e32 v13, v14, v13
	s_delay_alu instid0(VALU_DEP_1) | instskip(NEXT) | instid1(VALU_DEP_1)
	v_mul_f32_e32 v14, v15, v13
	v_fma_f32 v18, -v10, v14, v15
	s_delay_alu instid0(VALU_DEP_1) | instskip(NEXT) | instid1(VALU_DEP_1)
	v_fmac_f32_e32 v14, v18, v13
	v_fma_f32 v10, -v10, v14, v15
	s_delay_alu instid0(VALU_DEP_1) | instskip(NEXT) | instid1(VALU_DEP_1)
	v_div_fmas_f32 v10, v10, v13, v14
	v_div_fixup_f32 v10, v10, v11, 1.0
	s_delay_alu instid0(VALU_DEP_1)
	v_mul_f32_e32 v12, v12, v10
	v_xor_b32_e32 v13, 0x80000000, v10
                                        ; implicit-def: $vgpr10_vgpr11
.LBB97_311:
	s_and_not1_saveexec_b32 s1, s1
	s_cbranch_execz .LBB97_313
; %bb.312:
	v_div_scale_f32 v12, null, v10, v10, v11
	v_div_scale_f32 v15, vcc_lo, v11, v10, v11
	s_delay_alu instid0(VALU_DEP_2) | instskip(SKIP_1) | instid1(TRANS32_DEP_1)
	v_rcp_f32_e32 v13, v12
	v_nop
	v_fma_f32 v14, -v12, v13, 1.0
	s_delay_alu instid0(VALU_DEP_1) | instskip(NEXT) | instid1(VALU_DEP_1)
	v_fmac_f32_e32 v13, v14, v13
	v_mul_f32_e32 v14, v15, v13
	s_delay_alu instid0(VALU_DEP_1) | instskip(NEXT) | instid1(VALU_DEP_1)
	v_fma_f32 v18, -v12, v14, v15
	v_fmac_f32_e32 v14, v18, v13
	s_delay_alu instid0(VALU_DEP_1) | instskip(NEXT) | instid1(VALU_DEP_1)
	v_fma_f32 v12, -v12, v14, v15
	v_div_fmas_f32 v12, v12, v13, v14
	s_delay_alu instid0(VALU_DEP_1) | instskip(NEXT) | instid1(VALU_DEP_1)
	v_div_fixup_f32 v13, v12, v10, v11
	v_fmac_f32_e32 v10, v11, v13
	s_delay_alu instid0(VALU_DEP_1) | instskip(NEXT) | instid1(VALU_DEP_1)
	v_div_scale_f32 v11, null, v10, v10, 1.0
	v_rcp_f32_e32 v12, v11
	v_nop
	s_delay_alu instid0(TRANS32_DEP_1) | instskip(NEXT) | instid1(VALU_DEP_1)
	v_fma_f32 v14, -v11, v12, 1.0
	v_fmac_f32_e32 v12, v14, v12
	v_div_scale_f32 v14, vcc_lo, 1.0, v10, 1.0
	s_delay_alu instid0(VALU_DEP_1) | instskip(NEXT) | instid1(VALU_DEP_1)
	v_mul_f32_e32 v15, v14, v12
	v_fma_f32 v18, -v11, v15, v14
	s_delay_alu instid0(VALU_DEP_1) | instskip(NEXT) | instid1(VALU_DEP_1)
	v_fmac_f32_e32 v15, v18, v12
	v_fma_f32 v11, -v11, v15, v14
	s_delay_alu instid0(VALU_DEP_1) | instskip(NEXT) | instid1(VALU_DEP_1)
	v_div_fmas_f32 v11, v11, v12, v15
	v_div_fixup_f32 v12, v11, v10, 1.0
	s_delay_alu instid0(VALU_DEP_1)
	v_mul_f32_e64 v13, v13, -v12
.LBB97_313:
	s_or_b32 exec_lo, exec_lo, s1
	ds_store_b64 v79, v[12:13]
.LBB97_314:
	s_or_b32 exec_lo, exec_lo, s2
	s_wait_dscnt 0x0
	s_barrier_signal -1
	s_barrier_wait -1
	ds_load_b64 v[10:11], v79
	s_mov_b32 s1, exec_lo
	v_cmpx_lt_u32_e32 34, v78
	s_cbranch_execz .LBB97_316
; %bb.315:
	ds_load_2addr_b64 v[24:27], v80 offset0:35 offset1:36
	s_wait_dscnt 0x1
	v_pk_mul_f32 v[14:15], v[10:11], v[142:143] op_sel:[1,1] op_sel_hi:[0,1]
	s_delay_alu instid0(VALU_DEP_1) | instskip(SKIP_1) | instid1(VALU_DEP_1)
	v_pk_fma_f32 v[12:13], v[10:11], v[142:143], v[14:15] op_sel_hi:[1,0,1] neg_lo:[0,0,1] neg_hi:[0,0,1]
	v_pk_fma_f32 v[14:15], v[10:11], v[142:143], v[14:15] op_sel_hi:[1,0,1]
	v_dual_mov_b32 v142, v12 :: v_dual_mov_b32 v143, v15
	s_wait_dscnt 0x0
	s_delay_alu instid0(VALU_DEP_2) | instskip(NEXT) | instid1(VALU_DEP_1)
	v_pk_mul_f32 v[18:19], v[24:25], v[14:15] op_sel:[0,1]
	v_pk_fma_f32 v[28:29], v[24:25], v[12:13], v[18:19] op_sel:[0,0,1] op_sel_hi:[1,1,0] neg_lo:[0,0,1] neg_hi:[0,0,1]
	v_pk_fma_f32 v[18:19], v[24:25], v[12:13], v[18:19] op_sel:[0,0,1] op_sel_hi:[1,0,0]
	s_delay_alu instid0(VALU_DEP_1) | instskip(SKIP_1) | instid1(VALU_DEP_1)
	v_mov_b32_e32 v29, v19
	v_pk_mul_f32 v[18:19], v[26:27], v[14:15] op_sel:[0,1]
	v_pk_fma_f32 v[24:25], v[26:27], v[12:13], v[18:19] op_sel:[0,0,1] op_sel_hi:[1,1,0] neg_lo:[0,0,1] neg_hi:[0,0,1]
	v_pk_fma_f32 v[18:19], v[26:27], v[12:13], v[18:19] op_sel:[0,0,1] op_sel_hi:[1,0,0]
	s_delay_alu instid0(VALU_DEP_1) | instskip(SKIP_1) | instid1(VALU_DEP_2)
	v_mov_b32_e32 v25, v19
	v_pk_add_f32 v[138:139], v[138:139], v[28:29] neg_lo:[0,1] neg_hi:[0,1]
	v_pk_add_f32 v[166:167], v[166:167], v[24:25] neg_lo:[0,1] neg_hi:[0,1]
	ds_load_2addr_b64 v[24:27], v80 offset0:37 offset1:38
	s_wait_dscnt 0x0
	v_pk_mul_f32 v[18:19], v[24:25], v[14:15] op_sel:[0,1]
	s_delay_alu instid0(VALU_DEP_1) | instskip(SKIP_2) | instid1(VALU_DEP_2)
	v_pk_fma_f32 v[28:29], v[24:25], v[12:13], v[18:19] op_sel:[0,0,1] op_sel_hi:[1,1,0] neg_lo:[0,0,1] neg_hi:[0,0,1]
	v_pk_fma_f32 v[18:19], v[24:25], v[12:13], v[18:19] op_sel:[0,0,1] op_sel_hi:[1,0,0]
	v_dual_mul_f32 v24, v27, v15 :: v_dual_mov_b32 v18, v27
	v_dual_mov_b32 v29, v19 :: v_dual_mov_b32 v19, v26
	s_delay_alu instid0(VALU_DEP_2) | instskip(SKIP_1) | instid1(VALU_DEP_3)
	v_pk_fma_f32 v[24:25], v[26:27], v[142:143], v[24:25] op_sel_hi:[1,1,0] neg_lo:[0,0,1] neg_hi:[0,0,1]
	v_mul_f32_e32 v26, v27, v12
	v_pk_add_f32 v[162:163], v[162:163], v[28:29] neg_lo:[0,1] neg_hi:[0,1]
	s_delay_alu instid0(VALU_DEP_2) | instskip(NEXT) | instid1(VALU_DEP_1)
	v_pk_fma_f32 v[18:19], v[18:19], v[142:143], v[26:27] op_sel_hi:[1,1,0]
	v_mov_b32_e32 v25, v19
	s_delay_alu instid0(VALU_DEP_1) | instskip(SKIP_3) | instid1(VALU_DEP_1)
	v_pk_add_f32 v[164:165], v[164:165], v[24:25] neg_lo:[0,1] neg_hi:[0,1]
	ds_load_2addr_b64 v[24:27], v80 offset0:39 offset1:40
	s_wait_dscnt 0x0
	v_pk_mul_f32 v[18:19], v[24:25], v[14:15] op_sel:[0,1]
	v_pk_fma_f32 v[28:29], v[24:25], v[12:13], v[18:19] op_sel:[0,0,1] op_sel_hi:[1,1,0] neg_lo:[0,0,1] neg_hi:[0,0,1]
	v_pk_fma_f32 v[18:19], v[24:25], v[12:13], v[18:19] op_sel:[0,0,1] op_sel_hi:[1,0,0]
	s_delay_alu instid0(VALU_DEP_1) | instskip(SKIP_1) | instid1(VALU_DEP_2)
	v_mov_b32_e32 v29, v19
	v_pk_mul_f32 v[18:19], v[26:27], v[14:15] op_sel:[0,1]
	v_pk_add_f32 v[160:161], v[160:161], v[28:29] neg_lo:[0,1] neg_hi:[0,1]
	s_delay_alu instid0(VALU_DEP_2) | instskip(SKIP_1) | instid1(VALU_DEP_1)
	v_pk_fma_f32 v[24:25], v[26:27], v[12:13], v[18:19] op_sel:[0,0,1] op_sel_hi:[1,1,0] neg_lo:[0,0,1] neg_hi:[0,0,1]
	v_pk_fma_f32 v[18:19], v[26:27], v[12:13], v[18:19] op_sel:[0,0,1] op_sel_hi:[1,0,0]
	v_mov_b32_e32 v25, v19
	s_delay_alu instid0(VALU_DEP_1) | instskip(SKIP_3) | instid1(VALU_DEP_1)
	v_pk_add_f32 v[192:193], v[192:193], v[24:25] neg_lo:[0,1] neg_hi:[0,1]
	ds_load_2addr_b64 v[24:27], v80 offset0:41 offset1:42
	s_wait_dscnt 0x0
	v_pk_mul_f32 v[18:19], v[24:25], v[14:15] op_sel:[0,1]
	v_pk_fma_f32 v[28:29], v[24:25], v[12:13], v[18:19] op_sel:[0,0,1] op_sel_hi:[1,1,0] neg_lo:[0,0,1] neg_hi:[0,0,1]
	v_pk_fma_f32 v[18:19], v[24:25], v[12:13], v[18:19] op_sel:[0,0,1] op_sel_hi:[1,0,0]
	s_delay_alu instid0(VALU_DEP_1) | instskip(SKIP_1) | instid1(VALU_DEP_2)
	v_mov_b32_e32 v29, v19
	v_pk_mul_f32 v[18:19], v[26:27], v[14:15] op_sel:[0,1]
	v_pk_add_f32 v[184:185], v[184:185], v[28:29] neg_lo:[0,1] neg_hi:[0,1]
	s_delay_alu instid0(VALU_DEP_2) | instskip(SKIP_1) | instid1(VALU_DEP_1)
	v_pk_fma_f32 v[24:25], v[26:27], v[12:13], v[18:19] op_sel:[0,0,1] op_sel_hi:[1,1,0] neg_lo:[0,0,1] neg_hi:[0,0,1]
	v_pk_fma_f32 v[18:19], v[26:27], v[12:13], v[18:19] op_sel:[0,0,1] op_sel_hi:[1,0,0]
	v_mov_b32_e32 v25, v19
	s_delay_alu instid0(VALU_DEP_1) | instskip(SKIP_3) | instid1(VALU_DEP_1)
	v_pk_add_f32 v[190:191], v[190:191], v[24:25] neg_lo:[0,1] neg_hi:[0,1]
	ds_load_2addr_b64 v[24:27], v80 offset0:43 offset1:44
	s_wait_dscnt 0x0
	v_dual_mul_f32 v18, v25, v15 :: v_dual_mul_f32 v28, v25, v12
	v_pk_fma_f32 v[18:19], v[24:25], v[142:143], v[18:19] op_sel_hi:[1,1,0] neg_lo:[0,0,1] neg_hi:[0,0,1]
	s_delay_alu instid0(VALU_DEP_2) | instskip(NEXT) | instid1(VALU_DEP_1)
	v_pk_fma_f32 v[24:25], v[24:25], v[142:143], v[28:29] op_sel:[1,0,0] op_sel_hi:[0,1,0]
	v_mov_b32_e32 v19, v25
	s_delay_alu instid0(VALU_DEP_1) | instskip(SKIP_1) | instid1(VALU_DEP_1)
	v_pk_add_f32 v[182:183], v[182:183], v[18:19] neg_lo:[0,1] neg_hi:[0,1]
	v_pk_mul_f32 v[18:19], v[26:27], v[14:15] op_sel:[0,1]
	v_pk_fma_f32 v[24:25], v[26:27], v[12:13], v[18:19] op_sel:[0,0,1] op_sel_hi:[1,1,0] neg_lo:[0,0,1] neg_hi:[0,0,1]
	v_pk_fma_f32 v[18:19], v[26:27], v[12:13], v[18:19] op_sel:[0,0,1] op_sel_hi:[1,0,0]
	s_delay_alu instid0(VALU_DEP_1) | instskip(NEXT) | instid1(VALU_DEP_1)
	v_mov_b32_e32 v25, v19
	v_pk_add_f32 v[188:189], v[188:189], v[24:25] neg_lo:[0,1] neg_hi:[0,1]
	ds_load_2addr_b64 v[24:27], v80 offset0:45 offset1:46
	s_wait_dscnt 0x0
	v_pk_mul_f32 v[18:19], v[24:25], v[14:15] op_sel:[0,1]
	s_delay_alu instid0(VALU_DEP_1) | instskip(SKIP_1) | instid1(VALU_DEP_1)
	v_pk_fma_f32 v[28:29], v[24:25], v[12:13], v[18:19] op_sel:[0,0,1] op_sel_hi:[1,1,0] neg_lo:[0,0,1] neg_hi:[0,0,1]
	v_pk_fma_f32 v[18:19], v[24:25], v[12:13], v[18:19] op_sel:[0,0,1] op_sel_hi:[1,0,0]
	v_mov_b32_e32 v29, v19
	v_pk_mul_f32 v[18:19], v[26:27], v[14:15] op_sel:[0,1]
	s_delay_alu instid0(VALU_DEP_2) | instskip(NEXT) | instid1(VALU_DEP_2)
	v_pk_add_f32 v[180:181], v[180:181], v[28:29] neg_lo:[0,1] neg_hi:[0,1]
	v_pk_fma_f32 v[24:25], v[26:27], v[12:13], v[18:19] op_sel:[0,0,1] op_sel_hi:[1,1,0] neg_lo:[0,0,1] neg_hi:[0,0,1]
	v_pk_fma_f32 v[18:19], v[26:27], v[12:13], v[18:19] op_sel:[0,0,1] op_sel_hi:[1,0,0]
	s_delay_alu instid0(VALU_DEP_1) | instskip(NEXT) | instid1(VALU_DEP_1)
	v_mov_b32_e32 v25, v19
	v_pk_add_f32 v[186:187], v[186:187], v[24:25] neg_lo:[0,1] neg_hi:[0,1]
	ds_load_2addr_b64 v[24:27], v80 offset0:47 offset1:48
	s_wait_dscnt 0x0
	v_pk_mul_f32 v[18:19], v[24:25], v[14:15] op_sel:[0,1]
	v_pk_mul_f32 v[14:15], v[26:27], v[14:15] op_sel:[0,1]
	s_delay_alu instid0(VALU_DEP_2) | instskip(SKIP_1) | instid1(VALU_DEP_1)
	v_pk_fma_f32 v[28:29], v[24:25], v[12:13], v[18:19] op_sel:[0,0,1] op_sel_hi:[1,1,0] neg_lo:[0,0,1] neg_hi:[0,0,1]
	v_pk_fma_f32 v[18:19], v[24:25], v[12:13], v[18:19] op_sel:[0,0,1] op_sel_hi:[1,0,0]
	v_mov_b32_e32 v29, v19
	s_delay_alu instid0(VALU_DEP_4) | instskip(SKIP_1) | instid1(VALU_DEP_3)
	v_pk_fma_f32 v[18:19], v[26:27], v[12:13], v[14:15] op_sel:[0,0,1] op_sel_hi:[1,1,0] neg_lo:[0,0,1] neg_hi:[0,0,1]
	v_pk_fma_f32 v[12:13], v[26:27], v[12:13], v[14:15] op_sel:[0,0,1] op_sel_hi:[1,0,0]
	v_pk_add_f32 v[194:195], v[194:195], v[28:29] neg_lo:[0,1] neg_hi:[0,1]
	s_delay_alu instid0(VALU_DEP_2) | instskip(NEXT) | instid1(VALU_DEP_1)
	v_mov_b32_e32 v19, v13
	v_pk_add_f32 v[196:197], v[196:197], v[18:19] neg_lo:[0,1] neg_hi:[0,1]
.LBB97_316:
	s_or_b32 exec_lo, exec_lo, s1
	s_delay_alu instid0(SALU_CYCLE_1)
	s_mov_b32 s2, exec_lo
	s_wait_dscnt 0x0
	s_barrier_signal -1
	s_barrier_wait -1
	v_cmpx_eq_u32_e32 35, v78
	s_cbranch_execz .LBB97_323
; %bb.317:
	v_dual_mov_b32 v12, v166 :: v_dual_mov_b32 v13, v167
	v_dual_mov_b32 v14, v162 :: v_dual_mov_b32 v15, v163
	ds_store_b64 v79, v[138:139]
	ds_store_2addr_b64 v80, v[12:13], v[14:15] offset0:36 offset1:37
	v_dual_mov_b32 v12, v164 :: v_dual_mov_b32 v13, v165
	v_dual_mov_b32 v14, v160 :: v_dual_mov_b32 v15, v161
	ds_store_2addr_b64 v80, v[12:13], v[14:15] offset0:38 offset1:39
	v_dual_mov_b32 v12, v192 :: v_dual_mov_b32 v13, v193
	v_dual_mov_b32 v14, v184 :: v_dual_mov_b32 v15, v185
	;; [unrolled: 3-line block ×5, first 2 shown]
	ds_store_2addr_b64 v80, v[12:13], v[14:15] offset0:46 offset1:47
	ds_store_b64 v80, v[196:197] offset:384
	ds_load_b64 v[12:13], v79
	s_wait_dscnt 0x0
	v_cmp_neq_f32_e32 vcc_lo, 0, v12
	v_cmp_neq_f32_e64 s1, 0, v13
	s_or_b32 s1, vcc_lo, s1
	s_delay_alu instid0(SALU_CYCLE_1)
	s_and_b32 exec_lo, exec_lo, s1
	s_cbranch_execz .LBB97_323
; %bb.318:
	v_cmp_ngt_f32_e64 s1, |v12|, |v13|
                                        ; implicit-def: $vgpr14_vgpr15
	s_and_saveexec_b32 s4, s1
	s_delay_alu instid0(SALU_CYCLE_1)
	s_xor_b32 s1, exec_lo, s4
	s_cbranch_execz .LBB97_320
; %bb.319:
	v_div_scale_f32 v14, null, v13, v13, v12
	v_div_scale_f32 v19, vcc_lo, v12, v13, v12
	s_delay_alu instid0(VALU_DEP_2) | instskip(SKIP_1) | instid1(TRANS32_DEP_1)
	v_rcp_f32_e32 v15, v14
	v_nop
	v_fma_f32 v18, -v14, v15, 1.0
	s_delay_alu instid0(VALU_DEP_1) | instskip(NEXT) | instid1(VALU_DEP_1)
	v_fmac_f32_e32 v15, v18, v15
	v_mul_f32_e32 v18, v19, v15
	s_delay_alu instid0(VALU_DEP_1) | instskip(NEXT) | instid1(VALU_DEP_1)
	v_fma_f32 v24, -v14, v18, v19
	v_fmac_f32_e32 v18, v24, v15
	s_delay_alu instid0(VALU_DEP_1) | instskip(NEXT) | instid1(VALU_DEP_1)
	v_fma_f32 v14, -v14, v18, v19
	v_div_fmas_f32 v14, v14, v15, v18
	s_delay_alu instid0(VALU_DEP_1) | instskip(NEXT) | instid1(VALU_DEP_1)
	v_div_fixup_f32 v14, v14, v13, v12
	v_fmac_f32_e32 v13, v12, v14
	s_delay_alu instid0(VALU_DEP_1) | instskip(SKIP_1) | instid1(VALU_DEP_2)
	v_div_scale_f32 v12, null, v13, v13, 1.0
	v_div_scale_f32 v19, vcc_lo, 1.0, v13, 1.0
	v_rcp_f32_e32 v15, v12
	v_nop
	s_delay_alu instid0(TRANS32_DEP_1) | instskip(NEXT) | instid1(VALU_DEP_1)
	v_fma_f32 v18, -v12, v15, 1.0
	v_fmac_f32_e32 v15, v18, v15
	s_delay_alu instid0(VALU_DEP_1) | instskip(NEXT) | instid1(VALU_DEP_1)
	v_mul_f32_e32 v18, v19, v15
	v_fma_f32 v24, -v12, v18, v19
	s_delay_alu instid0(VALU_DEP_1) | instskip(NEXT) | instid1(VALU_DEP_1)
	v_fmac_f32_e32 v18, v24, v15
	v_fma_f32 v12, -v12, v18, v19
	s_delay_alu instid0(VALU_DEP_1) | instskip(NEXT) | instid1(VALU_DEP_1)
	v_div_fmas_f32 v12, v12, v15, v18
	v_div_fixup_f32 v12, v12, v13, 1.0
	s_delay_alu instid0(VALU_DEP_1)
	v_mul_f32_e32 v14, v14, v12
	v_xor_b32_e32 v15, 0x80000000, v12
                                        ; implicit-def: $vgpr12_vgpr13
.LBB97_320:
	s_and_not1_saveexec_b32 s1, s1
	s_cbranch_execz .LBB97_322
; %bb.321:
	v_div_scale_f32 v14, null, v12, v12, v13
	v_div_scale_f32 v19, vcc_lo, v13, v12, v13
	s_delay_alu instid0(VALU_DEP_2) | instskip(SKIP_1) | instid1(TRANS32_DEP_1)
	v_rcp_f32_e32 v15, v14
	v_nop
	v_fma_f32 v18, -v14, v15, 1.0
	s_delay_alu instid0(VALU_DEP_1) | instskip(NEXT) | instid1(VALU_DEP_1)
	v_fmac_f32_e32 v15, v18, v15
	v_mul_f32_e32 v18, v19, v15
	s_delay_alu instid0(VALU_DEP_1) | instskip(NEXT) | instid1(VALU_DEP_1)
	v_fma_f32 v24, -v14, v18, v19
	v_fmac_f32_e32 v18, v24, v15
	s_delay_alu instid0(VALU_DEP_1) | instskip(NEXT) | instid1(VALU_DEP_1)
	v_fma_f32 v14, -v14, v18, v19
	v_div_fmas_f32 v14, v14, v15, v18
	s_delay_alu instid0(VALU_DEP_1) | instskip(NEXT) | instid1(VALU_DEP_1)
	v_div_fixup_f32 v15, v14, v12, v13
	v_fmac_f32_e32 v12, v13, v15
	s_delay_alu instid0(VALU_DEP_1) | instskip(NEXT) | instid1(VALU_DEP_1)
	v_div_scale_f32 v13, null, v12, v12, 1.0
	v_rcp_f32_e32 v14, v13
	v_nop
	s_delay_alu instid0(TRANS32_DEP_1) | instskip(NEXT) | instid1(VALU_DEP_1)
	v_fma_f32 v18, -v13, v14, 1.0
	v_fmac_f32_e32 v14, v18, v14
	v_div_scale_f32 v18, vcc_lo, 1.0, v12, 1.0
	s_delay_alu instid0(VALU_DEP_1) | instskip(NEXT) | instid1(VALU_DEP_1)
	v_mul_f32_e32 v19, v18, v14
	v_fma_f32 v24, -v13, v19, v18
	s_delay_alu instid0(VALU_DEP_1) | instskip(NEXT) | instid1(VALU_DEP_1)
	v_fmac_f32_e32 v19, v24, v14
	v_fma_f32 v13, -v13, v19, v18
	s_delay_alu instid0(VALU_DEP_1) | instskip(NEXT) | instid1(VALU_DEP_1)
	v_div_fmas_f32 v13, v13, v14, v19
	v_div_fixup_f32 v14, v13, v12, 1.0
	s_delay_alu instid0(VALU_DEP_1)
	v_mul_f32_e64 v15, v15, -v14
.LBB97_322:
	s_or_b32 exec_lo, exec_lo, s1
	ds_store_b64 v79, v[14:15]
.LBB97_323:
	s_or_b32 exec_lo, exec_lo, s2
	s_wait_dscnt 0x0
	s_barrier_signal -1
	s_barrier_wait -1
	ds_load_b64 v[12:13], v79
	s_mov_b32 s1, exec_lo
	v_cmpx_lt_u32_e32 35, v78
	s_cbranch_execz .LBB97_325
; %bb.324:
	ds_load_2addr_b64 v[24:27], v80 offset0:36 offset1:37
	s_wait_dscnt 0x1
	v_pk_mul_f32 v[18:19], v[12:13], v[138:139] op_sel:[1,1] op_sel_hi:[0,1]
	s_delay_alu instid0(VALU_DEP_1) | instskip(SKIP_1) | instid1(VALU_DEP_1)
	v_pk_fma_f32 v[14:15], v[12:13], v[138:139], v[18:19] op_sel_hi:[1,0,1] neg_lo:[0,0,1] neg_hi:[0,0,1]
	v_pk_fma_f32 v[18:19], v[12:13], v[138:139], v[18:19] op_sel_hi:[1,0,1]
	v_dual_mov_b32 v138, v14 :: v_dual_mov_b32 v139, v19
	s_wait_dscnt 0x0
	s_delay_alu instid0(VALU_DEP_2) | instskip(NEXT) | instid1(VALU_DEP_1)
	v_pk_mul_f32 v[28:29], v[24:25], v[18:19] op_sel:[0,1]
	v_pk_fma_f32 v[38:39], v[24:25], v[14:15], v[28:29] op_sel:[0,0,1] op_sel_hi:[1,1,0] neg_lo:[0,0,1] neg_hi:[0,0,1]
	v_pk_fma_f32 v[24:25], v[24:25], v[14:15], v[28:29] op_sel:[0,0,1] op_sel_hi:[1,0,0]
	s_delay_alu instid0(VALU_DEP_1) | instskip(SKIP_1) | instid1(VALU_DEP_1)
	v_mov_b32_e32 v39, v25
	v_pk_mul_f32 v[24:25], v[26:27], v[18:19] op_sel:[0,1]
	v_pk_fma_f32 v[28:29], v[26:27], v[14:15], v[24:25] op_sel:[0,0,1] op_sel_hi:[1,1,0] neg_lo:[0,0,1] neg_hi:[0,0,1]
	v_pk_fma_f32 v[24:25], v[26:27], v[14:15], v[24:25] op_sel:[0,0,1] op_sel_hi:[1,0,0]
	s_delay_alu instid0(VALU_DEP_1)
	v_mov_b32_e32 v29, v25
	ds_load_2addr_b64 v[24:27], v80 offset0:38 offset1:39
	v_pk_add_f32 v[166:167], v[166:167], v[38:39] neg_lo:[0,1] neg_hi:[0,1]
	v_pk_add_f32 v[162:163], v[162:163], v[28:29] neg_lo:[0,1] neg_hi:[0,1]
	s_wait_dscnt 0x0
	v_pk_mul_f32 v[28:29], v[24:25], v[18:19] op_sel:[0,1]
	s_delay_alu instid0(VALU_DEP_1) | instskip(SKIP_2) | instid1(VALU_DEP_2)
	v_pk_fma_f32 v[38:39], v[24:25], v[14:15], v[28:29] op_sel:[0,0,1] op_sel_hi:[1,1,0] neg_lo:[0,0,1] neg_hi:[0,0,1]
	v_pk_fma_f32 v[24:25], v[24:25], v[14:15], v[28:29] op_sel:[0,0,1] op_sel_hi:[1,0,0]
	v_dual_mul_f32 v28, v27, v19 :: v_dual_mov_b32 v24, v27
	v_dual_mov_b32 v39, v25 :: v_dual_mov_b32 v25, v26
	s_delay_alu instid0(VALU_DEP_2) | instskip(SKIP_1) | instid1(VALU_DEP_3)
	v_pk_fma_f32 v[28:29], v[26:27], v[138:139], v[28:29] op_sel_hi:[1,1,0] neg_lo:[0,0,1] neg_hi:[0,0,1]
	v_mul_f32_e32 v26, v27, v14
	v_pk_add_f32 v[164:165], v[164:165], v[38:39] neg_lo:[0,1] neg_hi:[0,1]
	s_delay_alu instid0(VALU_DEP_2) | instskip(NEXT) | instid1(VALU_DEP_1)
	v_pk_fma_f32 v[24:25], v[24:25], v[138:139], v[26:27] op_sel_hi:[1,1,0]
	v_mov_b32_e32 v29, v25
	ds_load_2addr_b64 v[24:27], v80 offset0:40 offset1:41
	v_pk_add_f32 v[160:161], v[160:161], v[28:29] neg_lo:[0,1] neg_hi:[0,1]
	s_wait_dscnt 0x0
	v_pk_mul_f32 v[28:29], v[24:25], v[18:19] op_sel:[0,1]
	s_delay_alu instid0(VALU_DEP_1) | instskip(SKIP_1) | instid1(VALU_DEP_1)
	v_pk_fma_f32 v[38:39], v[24:25], v[14:15], v[28:29] op_sel:[0,0,1] op_sel_hi:[1,1,0] neg_lo:[0,0,1] neg_hi:[0,0,1]
	v_pk_fma_f32 v[24:25], v[24:25], v[14:15], v[28:29] op_sel:[0,0,1] op_sel_hi:[1,0,0]
	v_mov_b32_e32 v39, v25
	v_pk_mul_f32 v[24:25], v[26:27], v[18:19] op_sel:[0,1]
	s_delay_alu instid0(VALU_DEP_1) | instskip(SKIP_1) | instid1(VALU_DEP_1)
	v_pk_fma_f32 v[28:29], v[26:27], v[14:15], v[24:25] op_sel:[0,0,1] op_sel_hi:[1,1,0] neg_lo:[0,0,1] neg_hi:[0,0,1]
	v_pk_fma_f32 v[24:25], v[26:27], v[14:15], v[24:25] op_sel:[0,0,1] op_sel_hi:[1,0,0]
	v_mov_b32_e32 v29, v25
	ds_load_2addr_b64 v[24:27], v80 offset0:42 offset1:43
	v_pk_add_f32 v[192:193], v[192:193], v[38:39] neg_lo:[0,1] neg_hi:[0,1]
	v_pk_add_f32 v[184:185], v[184:185], v[28:29] neg_lo:[0,1] neg_hi:[0,1]
	s_wait_dscnt 0x0
	v_pk_mul_f32 v[28:29], v[24:25], v[18:19] op_sel:[0,1]
	s_delay_alu instid0(VALU_DEP_1) | instskip(SKIP_1) | instid1(VALU_DEP_1)
	v_pk_fma_f32 v[38:39], v[24:25], v[14:15], v[28:29] op_sel:[0,0,1] op_sel_hi:[1,1,0] neg_lo:[0,0,1] neg_hi:[0,0,1]
	v_pk_fma_f32 v[24:25], v[24:25], v[14:15], v[28:29] op_sel:[0,0,1] op_sel_hi:[1,0,0]
	v_mov_b32_e32 v39, v25
	v_pk_mul_f32 v[24:25], v[26:27], v[18:19] op_sel:[0,1]
	s_delay_alu instid0(VALU_DEP_1) | instskip(SKIP_1) | instid1(VALU_DEP_1)
	v_pk_fma_f32 v[28:29], v[26:27], v[14:15], v[24:25] op_sel:[0,0,1] op_sel_hi:[1,1,0] neg_lo:[0,0,1] neg_hi:[0,0,1]
	v_pk_fma_f32 v[24:25], v[26:27], v[14:15], v[24:25] op_sel:[0,0,1] op_sel_hi:[1,0,0]
	v_mov_b32_e32 v29, v25
	ds_load_2addr_b64 v[24:27], v80 offset0:44 offset1:45
	v_pk_add_f32 v[190:191], v[190:191], v[38:39] neg_lo:[0,1] neg_hi:[0,1]
	v_pk_add_f32 v[182:183], v[182:183], v[28:29] neg_lo:[0,1] neg_hi:[0,1]
	s_wait_dscnt 0x0
	v_dual_mul_f32 v28, v25, v19 :: v_dual_mul_f32 v38, v25, v14
	s_delay_alu instid0(VALU_DEP_1) | instskip(NEXT) | instid1(VALU_DEP_2)
	v_pk_fma_f32 v[28:29], v[24:25], v[138:139], v[28:29] op_sel_hi:[1,1,0] neg_lo:[0,0,1] neg_hi:[0,0,1]
	v_pk_fma_f32 v[24:25], v[24:25], v[138:139], v[38:39] op_sel:[1,0,0] op_sel_hi:[0,1,0]
	s_delay_alu instid0(VALU_DEP_1) | instskip(SKIP_1) | instid1(VALU_DEP_2)
	v_mov_b32_e32 v29, v25
	v_pk_mul_f32 v[24:25], v[26:27], v[18:19] op_sel:[0,1]
	v_pk_add_f32 v[188:189], v[188:189], v[28:29] neg_lo:[0,1] neg_hi:[0,1]
	s_delay_alu instid0(VALU_DEP_2) | instskip(SKIP_1) | instid1(VALU_DEP_1)
	v_pk_fma_f32 v[28:29], v[26:27], v[14:15], v[24:25] op_sel:[0,0,1] op_sel_hi:[1,1,0] neg_lo:[0,0,1] neg_hi:[0,0,1]
	v_pk_fma_f32 v[24:25], v[26:27], v[14:15], v[24:25] op_sel:[0,0,1] op_sel_hi:[1,0,0]
	v_mov_b32_e32 v29, v25
	ds_load_2addr_b64 v[24:27], v80 offset0:46 offset1:47
	v_pk_add_f32 v[180:181], v[180:181], v[28:29] neg_lo:[0,1] neg_hi:[0,1]
	s_wait_dscnt 0x0
	v_pk_mul_f32 v[28:29], v[24:25], v[18:19] op_sel:[0,1]
	s_delay_alu instid0(VALU_DEP_1) | instskip(SKIP_1) | instid1(VALU_DEP_1)
	v_pk_fma_f32 v[38:39], v[24:25], v[14:15], v[28:29] op_sel:[0,0,1] op_sel_hi:[1,1,0] neg_lo:[0,0,1] neg_hi:[0,0,1]
	v_pk_fma_f32 v[24:25], v[24:25], v[14:15], v[28:29] op_sel:[0,0,1] op_sel_hi:[1,0,0]
	v_mov_b32_e32 v39, v25
	v_pk_mul_f32 v[24:25], v[26:27], v[18:19] op_sel:[0,1]
	s_delay_alu instid0(VALU_DEP_2) | instskip(NEXT) | instid1(VALU_DEP_2)
	v_pk_add_f32 v[186:187], v[186:187], v[38:39] neg_lo:[0,1] neg_hi:[0,1]
	v_pk_fma_f32 v[28:29], v[26:27], v[14:15], v[24:25] op_sel:[0,0,1] op_sel_hi:[1,1,0] neg_lo:[0,0,1] neg_hi:[0,0,1]
	v_pk_fma_f32 v[24:25], v[26:27], v[14:15], v[24:25] op_sel:[0,0,1] op_sel_hi:[1,0,0]
	s_delay_alu instid0(VALU_DEP_1) | instskip(SKIP_4) | instid1(VALU_DEP_1)
	v_mov_b32_e32 v29, v25
	ds_load_b64 v[24:25], v80 offset:384
	v_pk_add_f32 v[194:195], v[194:195], v[28:29] neg_lo:[0,1] neg_hi:[0,1]
	s_wait_dscnt 0x0
	v_pk_mul_f32 v[18:19], v[24:25], v[18:19] op_sel:[0,1]
	v_pk_fma_f32 v[26:27], v[24:25], v[14:15], v[18:19] op_sel:[0,0,1] op_sel_hi:[1,1,0] neg_lo:[0,0,1] neg_hi:[0,0,1]
	v_pk_fma_f32 v[14:15], v[24:25], v[14:15], v[18:19] op_sel:[0,0,1] op_sel_hi:[1,0,0]
	s_delay_alu instid0(VALU_DEP_1) | instskip(NEXT) | instid1(VALU_DEP_1)
	v_mov_b32_e32 v27, v15
	v_pk_add_f32 v[196:197], v[196:197], v[26:27] neg_lo:[0,1] neg_hi:[0,1]
.LBB97_325:
	s_or_b32 exec_lo, exec_lo, s1
	s_delay_alu instid0(SALU_CYCLE_1)
	s_mov_b32 s2, exec_lo
	s_wait_dscnt 0x0
	s_barrier_signal -1
	s_barrier_wait -1
	v_cmpx_eq_u32_e32 36, v78
	s_cbranch_execz .LBB97_332
; %bb.326:
	ds_store_b64 v79, v[166:167]
	ds_store_2addr_b64 v80, v[162:163], v[164:165] offset0:37 offset1:38
	ds_store_2addr_b64 v80, v[160:161], v[192:193] offset0:39 offset1:40
	;; [unrolled: 1-line block ×6, first 2 shown]
	ds_load_b64 v[14:15], v79
	s_wait_dscnt 0x0
	v_cmp_neq_f32_e32 vcc_lo, 0, v14
	v_cmp_neq_f32_e64 s1, 0, v15
	s_or_b32 s1, vcc_lo, s1
	s_delay_alu instid0(SALU_CYCLE_1)
	s_and_b32 exec_lo, exec_lo, s1
	s_cbranch_execz .LBB97_332
; %bb.327:
	v_cmp_ngt_f32_e64 s1, |v14|, |v15|
                                        ; implicit-def: $vgpr18_vgpr19
	s_and_saveexec_b32 s4, s1
	s_delay_alu instid0(SALU_CYCLE_1)
	s_xor_b32 s1, exec_lo, s4
	s_cbranch_execz .LBB97_329
; %bb.328:
	v_div_scale_f32 v18, null, v15, v15, v14
	v_div_scale_f32 v25, vcc_lo, v14, v15, v14
	s_delay_alu instid0(VALU_DEP_2) | instskip(SKIP_1) | instid1(TRANS32_DEP_1)
	v_rcp_f32_e32 v19, v18
	v_nop
	v_fma_f32 v24, -v18, v19, 1.0
	s_delay_alu instid0(VALU_DEP_1) | instskip(NEXT) | instid1(VALU_DEP_1)
	v_fmac_f32_e32 v19, v24, v19
	v_mul_f32_e32 v24, v25, v19
	s_delay_alu instid0(VALU_DEP_1) | instskip(NEXT) | instid1(VALU_DEP_1)
	v_fma_f32 v26, -v18, v24, v25
	v_fmac_f32_e32 v24, v26, v19
	s_delay_alu instid0(VALU_DEP_1) | instskip(NEXT) | instid1(VALU_DEP_1)
	v_fma_f32 v18, -v18, v24, v25
	v_div_fmas_f32 v18, v18, v19, v24
	s_delay_alu instid0(VALU_DEP_1) | instskip(NEXT) | instid1(VALU_DEP_1)
	v_div_fixup_f32 v18, v18, v15, v14
	v_fmac_f32_e32 v15, v14, v18
	s_delay_alu instid0(VALU_DEP_1) | instskip(SKIP_1) | instid1(VALU_DEP_2)
	v_div_scale_f32 v14, null, v15, v15, 1.0
	v_div_scale_f32 v25, vcc_lo, 1.0, v15, 1.0
	v_rcp_f32_e32 v19, v14
	v_nop
	s_delay_alu instid0(TRANS32_DEP_1) | instskip(NEXT) | instid1(VALU_DEP_1)
	v_fma_f32 v24, -v14, v19, 1.0
	v_fmac_f32_e32 v19, v24, v19
	s_delay_alu instid0(VALU_DEP_1) | instskip(NEXT) | instid1(VALU_DEP_1)
	v_mul_f32_e32 v24, v25, v19
	v_fma_f32 v26, -v14, v24, v25
	s_delay_alu instid0(VALU_DEP_1) | instskip(NEXT) | instid1(VALU_DEP_1)
	v_fmac_f32_e32 v24, v26, v19
	v_fma_f32 v14, -v14, v24, v25
	s_delay_alu instid0(VALU_DEP_1) | instskip(NEXT) | instid1(VALU_DEP_1)
	v_div_fmas_f32 v14, v14, v19, v24
	v_div_fixup_f32 v14, v14, v15, 1.0
	s_delay_alu instid0(VALU_DEP_1)
	v_mul_f32_e32 v18, v18, v14
	v_xor_b32_e32 v19, 0x80000000, v14
                                        ; implicit-def: $vgpr14_vgpr15
.LBB97_329:
	s_and_not1_saveexec_b32 s1, s1
	s_cbranch_execz .LBB97_331
; %bb.330:
	v_div_scale_f32 v18, null, v14, v14, v15
	v_div_scale_f32 v25, vcc_lo, v15, v14, v15
	s_delay_alu instid0(VALU_DEP_2) | instskip(SKIP_1) | instid1(TRANS32_DEP_1)
	v_rcp_f32_e32 v19, v18
	v_nop
	v_fma_f32 v24, -v18, v19, 1.0
	s_delay_alu instid0(VALU_DEP_1) | instskip(NEXT) | instid1(VALU_DEP_1)
	v_fmac_f32_e32 v19, v24, v19
	v_mul_f32_e32 v24, v25, v19
	s_delay_alu instid0(VALU_DEP_1) | instskip(NEXT) | instid1(VALU_DEP_1)
	v_fma_f32 v26, -v18, v24, v25
	v_fmac_f32_e32 v24, v26, v19
	s_delay_alu instid0(VALU_DEP_1) | instskip(NEXT) | instid1(VALU_DEP_1)
	v_fma_f32 v18, -v18, v24, v25
	v_div_fmas_f32 v18, v18, v19, v24
	s_delay_alu instid0(VALU_DEP_1) | instskip(NEXT) | instid1(VALU_DEP_1)
	v_div_fixup_f32 v19, v18, v14, v15
	v_fmac_f32_e32 v14, v15, v19
	s_delay_alu instid0(VALU_DEP_1) | instskip(NEXT) | instid1(VALU_DEP_1)
	v_div_scale_f32 v15, null, v14, v14, 1.0
	v_rcp_f32_e32 v18, v15
	v_nop
	s_delay_alu instid0(TRANS32_DEP_1) | instskip(NEXT) | instid1(VALU_DEP_1)
	v_fma_f32 v24, -v15, v18, 1.0
	v_fmac_f32_e32 v18, v24, v18
	v_div_scale_f32 v24, vcc_lo, 1.0, v14, 1.0
	s_delay_alu instid0(VALU_DEP_1) | instskip(NEXT) | instid1(VALU_DEP_1)
	v_mul_f32_e32 v25, v24, v18
	v_fma_f32 v26, -v15, v25, v24
	s_delay_alu instid0(VALU_DEP_1) | instskip(NEXT) | instid1(VALU_DEP_1)
	v_fmac_f32_e32 v25, v26, v18
	v_fma_f32 v15, -v15, v25, v24
	s_delay_alu instid0(VALU_DEP_1) | instskip(NEXT) | instid1(VALU_DEP_1)
	v_div_fmas_f32 v15, v15, v18, v25
	v_div_fixup_f32 v18, v15, v14, 1.0
	s_delay_alu instid0(VALU_DEP_1)
	v_mul_f32_e64 v19, v19, -v18
.LBB97_331:
	s_or_b32 exec_lo, exec_lo, s1
	ds_store_b64 v79, v[18:19]
.LBB97_332:
	s_or_b32 exec_lo, exec_lo, s2
	s_wait_dscnt 0x0
	s_barrier_signal -1
	s_barrier_wait -1
	ds_load_b64 v[14:15], v79
	s_mov_b32 s1, exec_lo
	v_cmpx_lt_u32_e32 36, v78
	s_cbranch_execz .LBB97_334
; %bb.333:
	ds_load_2addr_b64 v[26:29], v80 offset0:37 offset1:38
	s_wait_dscnt 0x1
	v_pk_mul_f32 v[24:25], v[14:15], v[166:167] op_sel:[1,1] op_sel_hi:[0,1]
	s_delay_alu instid0(VALU_DEP_1) | instskip(SKIP_1) | instid1(VALU_DEP_1)
	v_pk_fma_f32 v[18:19], v[14:15], v[166:167], v[24:25] op_sel_hi:[1,0,1] neg_lo:[0,0,1] neg_hi:[0,0,1]
	v_pk_fma_f32 v[24:25], v[14:15], v[166:167], v[24:25] op_sel_hi:[1,0,1]
	v_dual_mov_b32 v166, v18 :: v_dual_mov_b32 v167, v25
	s_wait_dscnt 0x0
	s_delay_alu instid0(VALU_DEP_2) | instskip(NEXT) | instid1(VALU_DEP_1)
	v_pk_mul_f32 v[38:39], v[26:27], v[24:25] op_sel:[0,1]
	v_pk_fma_f32 v[40:41], v[26:27], v[18:19], v[38:39] op_sel:[0,0,1] op_sel_hi:[1,1,0] neg_lo:[0,0,1] neg_hi:[0,0,1]
	v_pk_fma_f32 v[26:27], v[26:27], v[18:19], v[38:39] op_sel:[0,0,1] op_sel_hi:[1,0,0]
	s_delay_alu instid0(VALU_DEP_1) | instskip(SKIP_1) | instid1(VALU_DEP_1)
	v_mov_b32_e32 v41, v27
	v_pk_mul_f32 v[26:27], v[28:29], v[24:25] op_sel:[0,1]
	v_pk_fma_f32 v[38:39], v[28:29], v[18:19], v[26:27] op_sel:[0,0,1] op_sel_hi:[1,1,0] neg_lo:[0,0,1] neg_hi:[0,0,1]
	v_pk_fma_f32 v[26:27], v[28:29], v[18:19], v[26:27] op_sel:[0,0,1] op_sel_hi:[1,0,0]
	s_delay_alu instid0(VALU_DEP_1)
	v_mov_b32_e32 v39, v27
	ds_load_2addr_b64 v[26:29], v80 offset0:39 offset1:40
	v_pk_add_f32 v[162:163], v[162:163], v[40:41] neg_lo:[0,1] neg_hi:[0,1]
	v_pk_add_f32 v[164:165], v[164:165], v[38:39] neg_lo:[0,1] neg_hi:[0,1]
	s_wait_dscnt 0x0
	v_pk_mul_f32 v[38:39], v[26:27], v[24:25] op_sel:[0,1]
	s_delay_alu instid0(VALU_DEP_1) | instskip(SKIP_2) | instid1(VALU_DEP_2)
	v_pk_fma_f32 v[40:41], v[26:27], v[18:19], v[38:39] op_sel:[0,0,1] op_sel_hi:[1,1,0] neg_lo:[0,0,1] neg_hi:[0,0,1]
	v_pk_fma_f32 v[26:27], v[26:27], v[18:19], v[38:39] op_sel:[0,0,1] op_sel_hi:[1,0,0]
	v_dual_mul_f32 v38, v29, v25 :: v_dual_mov_b32 v26, v29
	v_dual_mov_b32 v41, v27 :: v_dual_mov_b32 v27, v28
	s_delay_alu instid0(VALU_DEP_2) | instskip(SKIP_1) | instid1(VALU_DEP_3)
	v_pk_fma_f32 v[38:39], v[28:29], v[166:167], v[38:39] op_sel_hi:[1,1,0] neg_lo:[0,0,1] neg_hi:[0,0,1]
	v_mul_f32_e32 v28, v29, v18
	v_pk_add_f32 v[160:161], v[160:161], v[40:41] neg_lo:[0,1] neg_hi:[0,1]
	s_delay_alu instid0(VALU_DEP_2) | instskip(NEXT) | instid1(VALU_DEP_1)
	v_pk_fma_f32 v[26:27], v[26:27], v[166:167], v[28:29] op_sel_hi:[1,1,0]
	v_mov_b32_e32 v39, v27
	ds_load_2addr_b64 v[26:29], v80 offset0:41 offset1:42
	v_pk_add_f32 v[192:193], v[192:193], v[38:39] neg_lo:[0,1] neg_hi:[0,1]
	s_wait_dscnt 0x0
	v_pk_mul_f32 v[38:39], v[26:27], v[24:25] op_sel:[0,1]
	s_delay_alu instid0(VALU_DEP_1) | instskip(SKIP_1) | instid1(VALU_DEP_1)
	v_pk_fma_f32 v[40:41], v[26:27], v[18:19], v[38:39] op_sel:[0,0,1] op_sel_hi:[1,1,0] neg_lo:[0,0,1] neg_hi:[0,0,1]
	v_pk_fma_f32 v[26:27], v[26:27], v[18:19], v[38:39] op_sel:[0,0,1] op_sel_hi:[1,0,0]
	v_mov_b32_e32 v41, v27
	v_pk_mul_f32 v[26:27], v[28:29], v[24:25] op_sel:[0,1]
	s_delay_alu instid0(VALU_DEP_1) | instskip(SKIP_1) | instid1(VALU_DEP_1)
	v_pk_fma_f32 v[38:39], v[28:29], v[18:19], v[26:27] op_sel:[0,0,1] op_sel_hi:[1,1,0] neg_lo:[0,0,1] neg_hi:[0,0,1]
	v_pk_fma_f32 v[26:27], v[28:29], v[18:19], v[26:27] op_sel:[0,0,1] op_sel_hi:[1,0,0]
	v_mov_b32_e32 v39, v27
	ds_load_2addr_b64 v[26:29], v80 offset0:43 offset1:44
	v_pk_add_f32 v[184:185], v[184:185], v[40:41] neg_lo:[0,1] neg_hi:[0,1]
	v_pk_add_f32 v[190:191], v[190:191], v[38:39] neg_lo:[0,1] neg_hi:[0,1]
	s_wait_dscnt 0x0
	v_pk_mul_f32 v[38:39], v[26:27], v[24:25] op_sel:[0,1]
	s_delay_alu instid0(VALU_DEP_1) | instskip(SKIP_1) | instid1(VALU_DEP_1)
	v_pk_fma_f32 v[40:41], v[26:27], v[18:19], v[38:39] op_sel:[0,0,1] op_sel_hi:[1,1,0] neg_lo:[0,0,1] neg_hi:[0,0,1]
	v_pk_fma_f32 v[26:27], v[26:27], v[18:19], v[38:39] op_sel:[0,0,1] op_sel_hi:[1,0,0]
	v_mov_b32_e32 v41, v27
	v_pk_mul_f32 v[26:27], v[28:29], v[24:25] op_sel:[0,1]
	s_delay_alu instid0(VALU_DEP_1) | instskip(SKIP_1) | instid1(VALU_DEP_1)
	v_pk_fma_f32 v[38:39], v[28:29], v[18:19], v[26:27] op_sel:[0,0,1] op_sel_hi:[1,1,0] neg_lo:[0,0,1] neg_hi:[0,0,1]
	v_pk_fma_f32 v[26:27], v[28:29], v[18:19], v[26:27] op_sel:[0,0,1] op_sel_hi:[1,0,0]
	v_mov_b32_e32 v39, v27
	ds_load_2addr_b64 v[26:29], v80 offset0:45 offset1:46
	v_pk_add_f32 v[182:183], v[182:183], v[40:41] neg_lo:[0,1] neg_hi:[0,1]
	v_pk_add_f32 v[188:189], v[188:189], v[38:39] neg_lo:[0,1] neg_hi:[0,1]
	s_wait_dscnt 0x0
	v_dual_mul_f32 v38, v27, v25 :: v_dual_mul_f32 v40, v27, v18
	s_delay_alu instid0(VALU_DEP_1) | instskip(NEXT) | instid1(VALU_DEP_2)
	v_pk_fma_f32 v[38:39], v[26:27], v[166:167], v[38:39] op_sel_hi:[1,1,0] neg_lo:[0,0,1] neg_hi:[0,0,1]
	v_pk_fma_f32 v[26:27], v[26:27], v[166:167], v[40:41] op_sel:[1,0,0] op_sel_hi:[0,1,0]
	s_delay_alu instid0(VALU_DEP_1) | instskip(SKIP_1) | instid1(VALU_DEP_2)
	v_mov_b32_e32 v39, v27
	v_pk_mul_f32 v[26:27], v[28:29], v[24:25] op_sel:[0,1]
	v_pk_add_f32 v[180:181], v[180:181], v[38:39] neg_lo:[0,1] neg_hi:[0,1]
	s_delay_alu instid0(VALU_DEP_2) | instskip(SKIP_1) | instid1(VALU_DEP_1)
	v_pk_fma_f32 v[38:39], v[28:29], v[18:19], v[26:27] op_sel:[0,0,1] op_sel_hi:[1,1,0] neg_lo:[0,0,1] neg_hi:[0,0,1]
	v_pk_fma_f32 v[26:27], v[28:29], v[18:19], v[26:27] op_sel:[0,0,1] op_sel_hi:[1,0,0]
	v_mov_b32_e32 v39, v27
	ds_load_2addr_b64 v[26:29], v80 offset0:47 offset1:48
	v_pk_add_f32 v[186:187], v[186:187], v[38:39] neg_lo:[0,1] neg_hi:[0,1]
	s_wait_dscnt 0x0
	v_pk_mul_f32 v[38:39], v[26:27], v[24:25] op_sel:[0,1]
	v_mul_f32_e32 v24, v29, v25
	s_delay_alu instid0(VALU_DEP_2) | instskip(SKIP_2) | instid1(VALU_DEP_4)
	v_pk_fma_f32 v[40:41], v[26:27], v[18:19], v[38:39] op_sel:[0,0,1] op_sel_hi:[1,1,0] neg_lo:[0,0,1] neg_hi:[0,0,1]
	v_pk_fma_f32 v[26:27], v[26:27], v[18:19], v[38:39] op_sel:[0,0,1] op_sel_hi:[1,0,0]
	v_dual_mov_b32 v26, v29 :: v_dual_mul_f32 v18, v29, v18
	v_pk_fma_f32 v[24:25], v[28:29], v[166:167], v[24:25] op_sel_hi:[1,1,0] neg_lo:[0,0,1] neg_hi:[0,0,1]
	s_delay_alu instid0(VALU_DEP_3) | instskip(NEXT) | instid1(VALU_DEP_1)
	v_dual_mov_b32 v41, v27 :: v_dual_mov_b32 v27, v28
	v_pk_add_f32 v[194:195], v[194:195], v[40:41] neg_lo:[0,1] neg_hi:[0,1]
	s_delay_alu instid0(VALU_DEP_2) | instskip(NEXT) | instid1(VALU_DEP_1)
	v_pk_fma_f32 v[18:19], v[26:27], v[166:167], v[18:19] op_sel_hi:[1,1,0]
	v_mov_b32_e32 v25, v19
	s_delay_alu instid0(VALU_DEP_1)
	v_pk_add_f32 v[196:197], v[196:197], v[24:25] neg_lo:[0,1] neg_hi:[0,1]
.LBB97_334:
	s_or_b32 exec_lo, exec_lo, s1
	s_delay_alu instid0(SALU_CYCLE_1)
	s_mov_b32 s2, exec_lo
	s_wait_dscnt 0x0
	s_barrier_signal -1
	s_barrier_wait -1
	v_cmpx_eq_u32_e32 37, v78
	s_cbranch_execz .LBB97_341
; %bb.335:
	v_dual_mov_b32 v18, v164 :: v_dual_mov_b32 v19, v165
	v_dual_mov_b32 v24, v160 :: v_dual_mov_b32 v25, v161
	ds_store_b64 v79, v[162:163]
	ds_store_2addr_b64 v80, v[18:19], v[24:25] offset0:38 offset1:39
	v_dual_mov_b32 v18, v192 :: v_dual_mov_b32 v19, v193
	v_dual_mov_b32 v24, v184 :: v_dual_mov_b32 v25, v185
	ds_store_2addr_b64 v80, v[18:19], v[24:25] offset0:40 offset1:41
	v_dual_mov_b32 v18, v190 :: v_dual_mov_b32 v19, v191
	v_dual_mov_b32 v24, v182 :: v_dual_mov_b32 v25, v183
	;; [unrolled: 3-line block ×4, first 2 shown]
	ds_store_2addr_b64 v80, v[18:19], v[24:25] offset0:46 offset1:47
	ds_store_b64 v80, v[196:197] offset:384
	ds_load_b64 v[18:19], v79
	s_wait_dscnt 0x0
	v_cmp_neq_f32_e32 vcc_lo, 0, v18
	v_cmp_neq_f32_e64 s1, 0, v19
	s_or_b32 s1, vcc_lo, s1
	s_delay_alu instid0(SALU_CYCLE_1)
	s_and_b32 exec_lo, exec_lo, s1
	s_cbranch_execz .LBB97_341
; %bb.336:
	v_cmp_ngt_f32_e64 s1, |v18|, |v19|
                                        ; implicit-def: $vgpr24_vgpr25
	s_and_saveexec_b32 s4, s1
	s_delay_alu instid0(SALU_CYCLE_1)
	s_xor_b32 s1, exec_lo, s4
	s_cbranch_execz .LBB97_338
; %bb.337:
	v_div_scale_f32 v24, null, v19, v19, v18
	v_div_scale_f32 v27, vcc_lo, v18, v19, v18
	s_delay_alu instid0(VALU_DEP_2) | instskip(SKIP_1) | instid1(TRANS32_DEP_1)
	v_rcp_f32_e32 v25, v24
	v_nop
	v_fma_f32 v26, -v24, v25, 1.0
	s_delay_alu instid0(VALU_DEP_1) | instskip(NEXT) | instid1(VALU_DEP_1)
	v_fmac_f32_e32 v25, v26, v25
	v_mul_f32_e32 v26, v27, v25
	s_delay_alu instid0(VALU_DEP_1) | instskip(NEXT) | instid1(VALU_DEP_1)
	v_fma_f32 v28, -v24, v26, v27
	v_fmac_f32_e32 v26, v28, v25
	s_delay_alu instid0(VALU_DEP_1) | instskip(NEXT) | instid1(VALU_DEP_1)
	v_fma_f32 v24, -v24, v26, v27
	v_div_fmas_f32 v24, v24, v25, v26
	s_delay_alu instid0(VALU_DEP_1) | instskip(NEXT) | instid1(VALU_DEP_1)
	v_div_fixup_f32 v24, v24, v19, v18
	v_fmac_f32_e32 v19, v18, v24
	s_delay_alu instid0(VALU_DEP_1) | instskip(SKIP_1) | instid1(VALU_DEP_2)
	v_div_scale_f32 v18, null, v19, v19, 1.0
	v_div_scale_f32 v27, vcc_lo, 1.0, v19, 1.0
	v_rcp_f32_e32 v25, v18
	v_nop
	s_delay_alu instid0(TRANS32_DEP_1) | instskip(NEXT) | instid1(VALU_DEP_1)
	v_fma_f32 v26, -v18, v25, 1.0
	v_fmac_f32_e32 v25, v26, v25
	s_delay_alu instid0(VALU_DEP_1) | instskip(NEXT) | instid1(VALU_DEP_1)
	v_mul_f32_e32 v26, v27, v25
	v_fma_f32 v28, -v18, v26, v27
	s_delay_alu instid0(VALU_DEP_1) | instskip(NEXT) | instid1(VALU_DEP_1)
	v_fmac_f32_e32 v26, v28, v25
	v_fma_f32 v18, -v18, v26, v27
	s_delay_alu instid0(VALU_DEP_1) | instskip(NEXT) | instid1(VALU_DEP_1)
	v_div_fmas_f32 v18, v18, v25, v26
	v_div_fixup_f32 v18, v18, v19, 1.0
	s_delay_alu instid0(VALU_DEP_1)
	v_mul_f32_e32 v24, v24, v18
	v_xor_b32_e32 v25, 0x80000000, v18
                                        ; implicit-def: $vgpr18_vgpr19
.LBB97_338:
	s_and_not1_saveexec_b32 s1, s1
	s_cbranch_execz .LBB97_340
; %bb.339:
	v_div_scale_f32 v24, null, v18, v18, v19
	v_div_scale_f32 v27, vcc_lo, v19, v18, v19
	s_delay_alu instid0(VALU_DEP_2) | instskip(SKIP_1) | instid1(TRANS32_DEP_1)
	v_rcp_f32_e32 v25, v24
	v_nop
	v_fma_f32 v26, -v24, v25, 1.0
	s_delay_alu instid0(VALU_DEP_1) | instskip(NEXT) | instid1(VALU_DEP_1)
	v_fmac_f32_e32 v25, v26, v25
	v_mul_f32_e32 v26, v27, v25
	s_delay_alu instid0(VALU_DEP_1) | instskip(NEXT) | instid1(VALU_DEP_1)
	v_fma_f32 v28, -v24, v26, v27
	v_fmac_f32_e32 v26, v28, v25
	s_delay_alu instid0(VALU_DEP_1) | instskip(NEXT) | instid1(VALU_DEP_1)
	v_fma_f32 v24, -v24, v26, v27
	v_div_fmas_f32 v24, v24, v25, v26
	s_delay_alu instid0(VALU_DEP_1) | instskip(NEXT) | instid1(VALU_DEP_1)
	v_div_fixup_f32 v25, v24, v18, v19
	v_fmac_f32_e32 v18, v19, v25
	s_delay_alu instid0(VALU_DEP_1) | instskip(NEXT) | instid1(VALU_DEP_1)
	v_div_scale_f32 v19, null, v18, v18, 1.0
	v_rcp_f32_e32 v24, v19
	v_nop
	s_delay_alu instid0(TRANS32_DEP_1) | instskip(NEXT) | instid1(VALU_DEP_1)
	v_fma_f32 v26, -v19, v24, 1.0
	v_fmac_f32_e32 v24, v26, v24
	v_div_scale_f32 v26, vcc_lo, 1.0, v18, 1.0
	s_delay_alu instid0(VALU_DEP_1) | instskip(NEXT) | instid1(VALU_DEP_1)
	v_mul_f32_e32 v27, v26, v24
	v_fma_f32 v28, -v19, v27, v26
	s_delay_alu instid0(VALU_DEP_1) | instskip(NEXT) | instid1(VALU_DEP_1)
	v_fmac_f32_e32 v27, v28, v24
	v_fma_f32 v19, -v19, v27, v26
	s_delay_alu instid0(VALU_DEP_1) | instskip(NEXT) | instid1(VALU_DEP_1)
	v_div_fmas_f32 v19, v19, v24, v27
	v_div_fixup_f32 v24, v19, v18, 1.0
	s_delay_alu instid0(VALU_DEP_1)
	v_mul_f32_e64 v25, v25, -v24
.LBB97_340:
	s_or_b32 exec_lo, exec_lo, s1
	ds_store_b64 v79, v[24:25]
.LBB97_341:
	s_or_b32 exec_lo, exec_lo, s2
	s_wait_dscnt 0x0
	s_barrier_signal -1
	s_barrier_wait -1
	ds_load_b64 v[18:19], v79
	s_mov_b32 s1, exec_lo
	v_cmpx_lt_u32_e32 37, v78
	s_cbranch_execz .LBB97_343
; %bb.342:
	ds_load_2addr_b64 v[38:41], v80 offset0:38 offset1:39
	s_wait_dscnt 0x1
	v_pk_mul_f32 v[26:27], v[18:19], v[162:163] op_sel:[1,1] op_sel_hi:[0,1]
	s_delay_alu instid0(VALU_DEP_1) | instskip(SKIP_1) | instid1(VALU_DEP_1)
	v_pk_fma_f32 v[24:25], v[18:19], v[162:163], v[26:27] op_sel_hi:[1,0,1] neg_lo:[0,0,1] neg_hi:[0,0,1]
	v_pk_fma_f32 v[26:27], v[18:19], v[162:163], v[26:27] op_sel_hi:[1,0,1]
	v_dual_mov_b32 v162, v24 :: v_dual_mov_b32 v163, v27
	s_wait_dscnt 0x0
	s_delay_alu instid0(VALU_DEP_2) | instskip(NEXT) | instid1(VALU_DEP_1)
	v_pk_mul_f32 v[28:29], v[38:39], v[26:27] op_sel:[0,1]
	v_pk_fma_f32 v[42:43], v[38:39], v[24:25], v[28:29] op_sel:[0,0,1] op_sel_hi:[1,1,0] neg_lo:[0,0,1] neg_hi:[0,0,1]
	v_pk_fma_f32 v[28:29], v[38:39], v[24:25], v[28:29] op_sel:[0,0,1] op_sel_hi:[1,0,0]
	s_delay_alu instid0(VALU_DEP_1) | instskip(SKIP_1) | instid1(VALU_DEP_1)
	v_mov_b32_e32 v43, v29
	v_pk_mul_f32 v[28:29], v[40:41], v[26:27] op_sel:[0,1]
	v_pk_fma_f32 v[38:39], v[40:41], v[24:25], v[28:29] op_sel:[0,0,1] op_sel_hi:[1,1,0] neg_lo:[0,0,1] neg_hi:[0,0,1]
	v_pk_fma_f32 v[28:29], v[40:41], v[24:25], v[28:29] op_sel:[0,0,1] op_sel_hi:[1,0,0]
	s_delay_alu instid0(VALU_DEP_1) | instskip(SKIP_1) | instid1(VALU_DEP_2)
	v_mov_b32_e32 v39, v29
	v_pk_add_f32 v[164:165], v[164:165], v[42:43] neg_lo:[0,1] neg_hi:[0,1]
	v_pk_add_f32 v[160:161], v[160:161], v[38:39] neg_lo:[0,1] neg_hi:[0,1]
	ds_load_2addr_b64 v[38:41], v80 offset0:40 offset1:41
	s_wait_dscnt 0x0
	v_pk_mul_f32 v[28:29], v[38:39], v[26:27] op_sel:[0,1]
	s_delay_alu instid0(VALU_DEP_1) | instskip(SKIP_2) | instid1(VALU_DEP_2)
	v_pk_fma_f32 v[42:43], v[38:39], v[24:25], v[28:29] op_sel:[0,0,1] op_sel_hi:[1,1,0] neg_lo:[0,0,1] neg_hi:[0,0,1]
	v_pk_fma_f32 v[28:29], v[38:39], v[24:25], v[28:29] op_sel:[0,0,1] op_sel_hi:[1,0,0]
	v_dual_mul_f32 v38, v41, v27 :: v_dual_mov_b32 v28, v41
	v_dual_mov_b32 v43, v29 :: v_dual_mov_b32 v29, v40
	s_delay_alu instid0(VALU_DEP_2) | instskip(SKIP_1) | instid1(VALU_DEP_3)
	v_pk_fma_f32 v[38:39], v[40:41], v[162:163], v[38:39] op_sel_hi:[1,1,0] neg_lo:[0,0,1] neg_hi:[0,0,1]
	v_mul_f32_e32 v40, v41, v24
	v_pk_add_f32 v[192:193], v[192:193], v[42:43] neg_lo:[0,1] neg_hi:[0,1]
	s_delay_alu instid0(VALU_DEP_2) | instskip(NEXT) | instid1(VALU_DEP_1)
	v_pk_fma_f32 v[28:29], v[28:29], v[162:163], v[40:41] op_sel_hi:[1,1,0]
	v_mov_b32_e32 v39, v29
	s_delay_alu instid0(VALU_DEP_1) | instskip(SKIP_3) | instid1(VALU_DEP_1)
	v_pk_add_f32 v[184:185], v[184:185], v[38:39] neg_lo:[0,1] neg_hi:[0,1]
	ds_load_2addr_b64 v[38:41], v80 offset0:42 offset1:43
	s_wait_dscnt 0x0
	v_pk_mul_f32 v[28:29], v[38:39], v[26:27] op_sel:[0,1]
	v_pk_fma_f32 v[42:43], v[38:39], v[24:25], v[28:29] op_sel:[0,0,1] op_sel_hi:[1,1,0] neg_lo:[0,0,1] neg_hi:[0,0,1]
	v_pk_fma_f32 v[28:29], v[38:39], v[24:25], v[28:29] op_sel:[0,0,1] op_sel_hi:[1,0,0]
	s_delay_alu instid0(VALU_DEP_1) | instskip(SKIP_1) | instid1(VALU_DEP_2)
	v_mov_b32_e32 v43, v29
	v_pk_mul_f32 v[28:29], v[40:41], v[26:27] op_sel:[0,1]
	v_pk_add_f32 v[190:191], v[190:191], v[42:43] neg_lo:[0,1] neg_hi:[0,1]
	s_delay_alu instid0(VALU_DEP_2) | instskip(SKIP_1) | instid1(VALU_DEP_1)
	v_pk_fma_f32 v[38:39], v[40:41], v[24:25], v[28:29] op_sel:[0,0,1] op_sel_hi:[1,1,0] neg_lo:[0,0,1] neg_hi:[0,0,1]
	v_pk_fma_f32 v[28:29], v[40:41], v[24:25], v[28:29] op_sel:[0,0,1] op_sel_hi:[1,0,0]
	v_mov_b32_e32 v39, v29
	s_delay_alu instid0(VALU_DEP_1) | instskip(SKIP_3) | instid1(VALU_DEP_1)
	v_pk_add_f32 v[182:183], v[182:183], v[38:39] neg_lo:[0,1] neg_hi:[0,1]
	ds_load_2addr_b64 v[38:41], v80 offset0:44 offset1:45
	s_wait_dscnt 0x0
	v_pk_mul_f32 v[28:29], v[38:39], v[26:27] op_sel:[0,1]
	v_pk_fma_f32 v[42:43], v[38:39], v[24:25], v[28:29] op_sel:[0,0,1] op_sel_hi:[1,1,0] neg_lo:[0,0,1] neg_hi:[0,0,1]
	v_pk_fma_f32 v[28:29], v[38:39], v[24:25], v[28:29] op_sel:[0,0,1] op_sel_hi:[1,0,0]
	s_delay_alu instid0(VALU_DEP_1) | instskip(SKIP_1) | instid1(VALU_DEP_2)
	v_mov_b32_e32 v43, v29
	v_pk_mul_f32 v[28:29], v[40:41], v[26:27] op_sel:[0,1]
	v_pk_add_f32 v[188:189], v[188:189], v[42:43] neg_lo:[0,1] neg_hi:[0,1]
	s_delay_alu instid0(VALU_DEP_2) | instskip(SKIP_1) | instid1(VALU_DEP_1)
	v_pk_fma_f32 v[38:39], v[40:41], v[24:25], v[28:29] op_sel:[0,0,1] op_sel_hi:[1,1,0] neg_lo:[0,0,1] neg_hi:[0,0,1]
	v_pk_fma_f32 v[28:29], v[40:41], v[24:25], v[28:29] op_sel:[0,0,1] op_sel_hi:[1,0,0]
	v_mov_b32_e32 v39, v29
	s_delay_alu instid0(VALU_DEP_1) | instskip(SKIP_3) | instid1(VALU_DEP_1)
	v_pk_add_f32 v[180:181], v[180:181], v[38:39] neg_lo:[0,1] neg_hi:[0,1]
	ds_load_2addr_b64 v[38:41], v80 offset0:46 offset1:47
	s_wait_dscnt 0x0
	v_dual_mul_f32 v28, v39, v27 :: v_dual_mul_f32 v42, v39, v24
	v_pk_fma_f32 v[28:29], v[38:39], v[162:163], v[28:29] op_sel_hi:[1,1,0] neg_lo:[0,0,1] neg_hi:[0,0,1]
	s_delay_alu instid0(VALU_DEP_2) | instskip(NEXT) | instid1(VALU_DEP_1)
	v_pk_fma_f32 v[38:39], v[38:39], v[162:163], v[42:43] op_sel:[1,0,0] op_sel_hi:[0,1,0]
	v_mov_b32_e32 v29, v39
	s_delay_alu instid0(VALU_DEP_1) | instskip(SKIP_1) | instid1(VALU_DEP_1)
	v_pk_add_f32 v[186:187], v[186:187], v[28:29] neg_lo:[0,1] neg_hi:[0,1]
	v_pk_mul_f32 v[28:29], v[40:41], v[26:27] op_sel:[0,1]
	v_pk_fma_f32 v[38:39], v[40:41], v[24:25], v[28:29] op_sel:[0,0,1] op_sel_hi:[1,1,0] neg_lo:[0,0,1] neg_hi:[0,0,1]
	v_pk_fma_f32 v[28:29], v[40:41], v[24:25], v[28:29] op_sel:[0,0,1] op_sel_hi:[1,0,0]
	s_delay_alu instid0(VALU_DEP_1) | instskip(SKIP_4) | instid1(VALU_DEP_1)
	v_mov_b32_e32 v39, v29
	ds_load_b64 v[28:29], v80 offset:384
	v_pk_add_f32 v[194:195], v[194:195], v[38:39] neg_lo:[0,1] neg_hi:[0,1]
	s_wait_dscnt 0x0
	v_pk_mul_f32 v[26:27], v[28:29], v[26:27] op_sel:[0,1]
	v_pk_fma_f32 v[38:39], v[28:29], v[24:25], v[26:27] op_sel:[0,0,1] op_sel_hi:[1,1,0] neg_lo:[0,0,1] neg_hi:[0,0,1]
	v_pk_fma_f32 v[24:25], v[28:29], v[24:25], v[26:27] op_sel:[0,0,1] op_sel_hi:[1,0,0]
	s_delay_alu instid0(VALU_DEP_1) | instskip(NEXT) | instid1(VALU_DEP_1)
	v_mov_b32_e32 v39, v25
	v_pk_add_f32 v[196:197], v[196:197], v[38:39] neg_lo:[0,1] neg_hi:[0,1]
.LBB97_343:
	s_or_b32 exec_lo, exec_lo, s1
	s_delay_alu instid0(SALU_CYCLE_1)
	s_mov_b32 s2, exec_lo
	s_wait_dscnt 0x0
	s_barrier_signal -1
	s_barrier_wait -1
	v_cmpx_eq_u32_e32 38, v78
	s_cbranch_execz .LBB97_350
; %bb.344:
	ds_store_b64 v79, v[164:165]
	ds_store_2addr_b64 v80, v[160:161], v[192:193] offset0:39 offset1:40
	ds_store_2addr_b64 v80, v[184:185], v[190:191] offset0:41 offset1:42
	;; [unrolled: 1-line block ×5, first 2 shown]
	ds_load_b64 v[24:25], v79
	s_wait_dscnt 0x0
	v_cmp_neq_f32_e32 vcc_lo, 0, v24
	v_cmp_neq_f32_e64 s1, 0, v25
	s_or_b32 s1, vcc_lo, s1
	s_delay_alu instid0(SALU_CYCLE_1)
	s_and_b32 exec_lo, exec_lo, s1
	s_cbranch_execz .LBB97_350
; %bb.345:
	v_cmp_ngt_f32_e64 s1, |v24|, |v25|
                                        ; implicit-def: $vgpr26_vgpr27
	s_and_saveexec_b32 s4, s1
	s_delay_alu instid0(SALU_CYCLE_1)
	s_xor_b32 s1, exec_lo, s4
	s_cbranch_execz .LBB97_347
; %bb.346:
	v_div_scale_f32 v26, null, v25, v25, v24
	v_div_scale_f32 v29, vcc_lo, v24, v25, v24
	s_delay_alu instid0(VALU_DEP_2) | instskip(SKIP_1) | instid1(TRANS32_DEP_1)
	v_rcp_f32_e32 v27, v26
	v_nop
	v_fma_f32 v28, -v26, v27, 1.0
	s_delay_alu instid0(VALU_DEP_1) | instskip(NEXT) | instid1(VALU_DEP_1)
	v_fmac_f32_e32 v27, v28, v27
	v_mul_f32_e32 v28, v29, v27
	s_delay_alu instid0(VALU_DEP_1) | instskip(NEXT) | instid1(VALU_DEP_1)
	v_fma_f32 v38, -v26, v28, v29
	v_fmac_f32_e32 v28, v38, v27
	s_delay_alu instid0(VALU_DEP_1) | instskip(NEXT) | instid1(VALU_DEP_1)
	v_fma_f32 v26, -v26, v28, v29
	v_div_fmas_f32 v26, v26, v27, v28
	s_delay_alu instid0(VALU_DEP_1) | instskip(NEXT) | instid1(VALU_DEP_1)
	v_div_fixup_f32 v26, v26, v25, v24
	v_fmac_f32_e32 v25, v24, v26
	s_delay_alu instid0(VALU_DEP_1) | instskip(SKIP_1) | instid1(VALU_DEP_2)
	v_div_scale_f32 v24, null, v25, v25, 1.0
	v_div_scale_f32 v29, vcc_lo, 1.0, v25, 1.0
	v_rcp_f32_e32 v27, v24
	v_nop
	s_delay_alu instid0(TRANS32_DEP_1) | instskip(NEXT) | instid1(VALU_DEP_1)
	v_fma_f32 v28, -v24, v27, 1.0
	v_fmac_f32_e32 v27, v28, v27
	s_delay_alu instid0(VALU_DEP_1) | instskip(NEXT) | instid1(VALU_DEP_1)
	v_mul_f32_e32 v28, v29, v27
	v_fma_f32 v38, -v24, v28, v29
	s_delay_alu instid0(VALU_DEP_1) | instskip(NEXT) | instid1(VALU_DEP_1)
	v_fmac_f32_e32 v28, v38, v27
	v_fma_f32 v24, -v24, v28, v29
	s_delay_alu instid0(VALU_DEP_1) | instskip(NEXT) | instid1(VALU_DEP_1)
	v_div_fmas_f32 v24, v24, v27, v28
	v_div_fixup_f32 v24, v24, v25, 1.0
	s_delay_alu instid0(VALU_DEP_1)
	v_mul_f32_e32 v26, v26, v24
	v_xor_b32_e32 v27, 0x80000000, v24
                                        ; implicit-def: $vgpr24_vgpr25
.LBB97_347:
	s_and_not1_saveexec_b32 s1, s1
	s_cbranch_execz .LBB97_349
; %bb.348:
	v_div_scale_f32 v26, null, v24, v24, v25
	v_div_scale_f32 v29, vcc_lo, v25, v24, v25
	s_delay_alu instid0(VALU_DEP_2) | instskip(SKIP_1) | instid1(TRANS32_DEP_1)
	v_rcp_f32_e32 v27, v26
	v_nop
	v_fma_f32 v28, -v26, v27, 1.0
	s_delay_alu instid0(VALU_DEP_1) | instskip(NEXT) | instid1(VALU_DEP_1)
	v_fmac_f32_e32 v27, v28, v27
	v_mul_f32_e32 v28, v29, v27
	s_delay_alu instid0(VALU_DEP_1) | instskip(NEXT) | instid1(VALU_DEP_1)
	v_fma_f32 v38, -v26, v28, v29
	v_fmac_f32_e32 v28, v38, v27
	s_delay_alu instid0(VALU_DEP_1) | instskip(NEXT) | instid1(VALU_DEP_1)
	v_fma_f32 v26, -v26, v28, v29
	v_div_fmas_f32 v26, v26, v27, v28
	s_delay_alu instid0(VALU_DEP_1) | instskip(NEXT) | instid1(VALU_DEP_1)
	v_div_fixup_f32 v27, v26, v24, v25
	v_fmac_f32_e32 v24, v25, v27
	s_delay_alu instid0(VALU_DEP_1) | instskip(NEXT) | instid1(VALU_DEP_1)
	v_div_scale_f32 v25, null, v24, v24, 1.0
	v_rcp_f32_e32 v26, v25
	v_nop
	s_delay_alu instid0(TRANS32_DEP_1) | instskip(NEXT) | instid1(VALU_DEP_1)
	v_fma_f32 v28, -v25, v26, 1.0
	v_fmac_f32_e32 v26, v28, v26
	v_div_scale_f32 v28, vcc_lo, 1.0, v24, 1.0
	s_delay_alu instid0(VALU_DEP_1) | instskip(NEXT) | instid1(VALU_DEP_1)
	v_mul_f32_e32 v29, v28, v26
	v_fma_f32 v38, -v25, v29, v28
	s_delay_alu instid0(VALU_DEP_1) | instskip(NEXT) | instid1(VALU_DEP_1)
	v_fmac_f32_e32 v29, v38, v26
	v_fma_f32 v25, -v25, v29, v28
	s_delay_alu instid0(VALU_DEP_1) | instskip(NEXT) | instid1(VALU_DEP_1)
	v_div_fmas_f32 v25, v25, v26, v29
	v_div_fixup_f32 v26, v25, v24, 1.0
	s_delay_alu instid0(VALU_DEP_1)
	v_mul_f32_e64 v27, v27, -v26
.LBB97_349:
	s_or_b32 exec_lo, exec_lo, s1
	ds_store_b64 v79, v[26:27]
.LBB97_350:
	s_or_b32 exec_lo, exec_lo, s2
	s_wait_dscnt 0x0
	s_barrier_signal -1
	s_barrier_wait -1
	ds_load_b64 v[24:25], v79
	s_mov_b32 s1, exec_lo
	v_cmpx_lt_u32_e32 38, v78
	s_cbranch_execz .LBB97_352
; %bb.351:
	ds_load_2addr_b64 v[38:41], v80 offset0:39 offset1:40
	s_wait_dscnt 0x1
	v_pk_mul_f32 v[28:29], v[24:25], v[164:165] op_sel:[1,1] op_sel_hi:[0,1]
	s_delay_alu instid0(VALU_DEP_1) | instskip(SKIP_1) | instid1(VALU_DEP_1)
	v_pk_fma_f32 v[26:27], v[24:25], v[164:165], v[28:29] op_sel_hi:[1,0,1] neg_lo:[0,0,1] neg_hi:[0,0,1]
	v_pk_fma_f32 v[28:29], v[24:25], v[164:165], v[28:29] op_sel_hi:[1,0,1]
	v_dual_mov_b32 v164, v26 :: v_dual_mov_b32 v165, v29
	s_wait_dscnt 0x0
	s_delay_alu instid0(VALU_DEP_2) | instskip(NEXT) | instid1(VALU_DEP_1)
	v_pk_mul_f32 v[42:43], v[38:39], v[28:29] op_sel:[0,1]
	v_pk_fma_f32 v[44:45], v[38:39], v[26:27], v[42:43] op_sel:[0,0,1] op_sel_hi:[1,1,0] neg_lo:[0,0,1] neg_hi:[0,0,1]
	v_pk_fma_f32 v[38:39], v[38:39], v[26:27], v[42:43] op_sel:[0,0,1] op_sel_hi:[1,0,0]
	s_delay_alu instid0(VALU_DEP_1) | instskip(SKIP_1) | instid1(VALU_DEP_1)
	v_mov_b32_e32 v45, v39
	v_pk_mul_f32 v[38:39], v[40:41], v[28:29] op_sel:[0,1]
	v_pk_fma_f32 v[42:43], v[40:41], v[26:27], v[38:39] op_sel:[0,0,1] op_sel_hi:[1,1,0] neg_lo:[0,0,1] neg_hi:[0,0,1]
	v_pk_fma_f32 v[38:39], v[40:41], v[26:27], v[38:39] op_sel:[0,0,1] op_sel_hi:[1,0,0]
	s_delay_alu instid0(VALU_DEP_1)
	v_mov_b32_e32 v43, v39
	ds_load_2addr_b64 v[38:41], v80 offset0:41 offset1:42
	v_pk_add_f32 v[160:161], v[160:161], v[44:45] neg_lo:[0,1] neg_hi:[0,1]
	v_pk_add_f32 v[192:193], v[192:193], v[42:43] neg_lo:[0,1] neg_hi:[0,1]
	s_wait_dscnt 0x0
	v_pk_mul_f32 v[42:43], v[38:39], v[28:29] op_sel:[0,1]
	s_delay_alu instid0(VALU_DEP_1) | instskip(SKIP_2) | instid1(VALU_DEP_2)
	v_pk_fma_f32 v[44:45], v[38:39], v[26:27], v[42:43] op_sel:[0,0,1] op_sel_hi:[1,1,0] neg_lo:[0,0,1] neg_hi:[0,0,1]
	v_pk_fma_f32 v[38:39], v[38:39], v[26:27], v[42:43] op_sel:[0,0,1] op_sel_hi:[1,0,0]
	v_dual_mul_f32 v42, v41, v29 :: v_dual_mov_b32 v38, v41
	v_dual_mov_b32 v45, v39 :: v_dual_mov_b32 v39, v40
	s_delay_alu instid0(VALU_DEP_2) | instskip(SKIP_1) | instid1(VALU_DEP_3)
	v_pk_fma_f32 v[42:43], v[40:41], v[164:165], v[42:43] op_sel_hi:[1,1,0] neg_lo:[0,0,1] neg_hi:[0,0,1]
	v_mul_f32_e32 v40, v41, v26
	v_pk_add_f32 v[184:185], v[184:185], v[44:45] neg_lo:[0,1] neg_hi:[0,1]
	s_delay_alu instid0(VALU_DEP_2) | instskip(NEXT) | instid1(VALU_DEP_1)
	v_pk_fma_f32 v[38:39], v[38:39], v[164:165], v[40:41] op_sel_hi:[1,1,0]
	v_mov_b32_e32 v43, v39
	ds_load_2addr_b64 v[38:41], v80 offset0:43 offset1:44
	v_pk_add_f32 v[190:191], v[190:191], v[42:43] neg_lo:[0,1] neg_hi:[0,1]
	s_wait_dscnt 0x0
	v_pk_mul_f32 v[42:43], v[38:39], v[28:29] op_sel:[0,1]
	s_delay_alu instid0(VALU_DEP_1) | instskip(SKIP_1) | instid1(VALU_DEP_1)
	v_pk_fma_f32 v[44:45], v[38:39], v[26:27], v[42:43] op_sel:[0,0,1] op_sel_hi:[1,1,0] neg_lo:[0,0,1] neg_hi:[0,0,1]
	v_pk_fma_f32 v[38:39], v[38:39], v[26:27], v[42:43] op_sel:[0,0,1] op_sel_hi:[1,0,0]
	v_mov_b32_e32 v45, v39
	v_pk_mul_f32 v[38:39], v[40:41], v[28:29] op_sel:[0,1]
	s_delay_alu instid0(VALU_DEP_1) | instskip(SKIP_1) | instid1(VALU_DEP_1)
	v_pk_fma_f32 v[42:43], v[40:41], v[26:27], v[38:39] op_sel:[0,0,1] op_sel_hi:[1,1,0] neg_lo:[0,0,1] neg_hi:[0,0,1]
	v_pk_fma_f32 v[38:39], v[40:41], v[26:27], v[38:39] op_sel:[0,0,1] op_sel_hi:[1,0,0]
	v_mov_b32_e32 v43, v39
	ds_load_2addr_b64 v[38:41], v80 offset0:45 offset1:46
	v_pk_add_f32 v[182:183], v[182:183], v[44:45] neg_lo:[0,1] neg_hi:[0,1]
	v_pk_add_f32 v[188:189], v[188:189], v[42:43] neg_lo:[0,1] neg_hi:[0,1]
	s_wait_dscnt 0x0
	v_pk_mul_f32 v[42:43], v[38:39], v[28:29] op_sel:[0,1]
	s_delay_alu instid0(VALU_DEP_1) | instskip(SKIP_1) | instid1(VALU_DEP_1)
	v_pk_fma_f32 v[44:45], v[38:39], v[26:27], v[42:43] op_sel:[0,0,1] op_sel_hi:[1,1,0] neg_lo:[0,0,1] neg_hi:[0,0,1]
	v_pk_fma_f32 v[38:39], v[38:39], v[26:27], v[42:43] op_sel:[0,0,1] op_sel_hi:[1,0,0]
	v_mov_b32_e32 v45, v39
	v_pk_mul_f32 v[38:39], v[40:41], v[28:29] op_sel:[0,1]
	s_delay_alu instid0(VALU_DEP_1) | instskip(SKIP_1) | instid1(VALU_DEP_1)
	v_pk_fma_f32 v[42:43], v[40:41], v[26:27], v[38:39] op_sel:[0,0,1] op_sel_hi:[1,1,0] neg_lo:[0,0,1] neg_hi:[0,0,1]
	v_pk_fma_f32 v[38:39], v[40:41], v[26:27], v[38:39] op_sel:[0,0,1] op_sel_hi:[1,0,0]
	v_mov_b32_e32 v43, v39
	ds_load_2addr_b64 v[38:41], v80 offset0:47 offset1:48
	v_pk_add_f32 v[180:181], v[180:181], v[44:45] neg_lo:[0,1] neg_hi:[0,1]
	v_pk_add_f32 v[186:187], v[186:187], v[42:43] neg_lo:[0,1] neg_hi:[0,1]
	s_wait_dscnt 0x0
	v_dual_mul_f32 v42, v39, v29 :: v_dual_mul_f32 v44, v39, v26
	v_pk_mul_f32 v[28:29], v[40:41], v[28:29] op_sel:[0,1]
	s_delay_alu instid0(VALU_DEP_2) | instskip(NEXT) | instid1(VALU_DEP_3)
	v_pk_fma_f32 v[42:43], v[38:39], v[164:165], v[42:43] op_sel_hi:[1,1,0] neg_lo:[0,0,1] neg_hi:[0,0,1]
	v_pk_fma_f32 v[38:39], v[38:39], v[164:165], v[44:45] op_sel:[1,0,0] op_sel_hi:[0,1,0]
	s_delay_alu instid0(VALU_DEP_1) | instskip(NEXT) | instid1(VALU_DEP_4)
	v_mov_b32_e32 v43, v39
	v_pk_fma_f32 v[38:39], v[40:41], v[26:27], v[28:29] op_sel:[0,0,1] op_sel_hi:[1,1,0] neg_lo:[0,0,1] neg_hi:[0,0,1]
	v_pk_fma_f32 v[26:27], v[40:41], v[26:27], v[28:29] op_sel:[0,0,1] op_sel_hi:[1,0,0]
	s_delay_alu instid0(VALU_DEP_1) | instskip(NEXT) | instid1(VALU_DEP_4)
	v_mov_b32_e32 v39, v27
	v_pk_add_f32 v[194:195], v[194:195], v[42:43] neg_lo:[0,1] neg_hi:[0,1]
	s_delay_alu instid0(VALU_DEP_2)
	v_pk_add_f32 v[196:197], v[196:197], v[38:39] neg_lo:[0,1] neg_hi:[0,1]
.LBB97_352:
	s_or_b32 exec_lo, exec_lo, s1
	s_delay_alu instid0(SALU_CYCLE_1)
	s_mov_b32 s2, exec_lo
	s_wait_dscnt 0x0
	s_barrier_signal -1
	s_barrier_wait -1
	v_cmpx_eq_u32_e32 39, v78
	s_cbranch_execz .LBB97_359
; %bb.353:
	v_dual_mov_b32 v26, v192 :: v_dual_mov_b32 v27, v193
	v_dual_mov_b32 v28, v184 :: v_dual_mov_b32 v29, v185
	ds_store_b64 v79, v[160:161]
	ds_store_2addr_b64 v80, v[26:27], v[28:29] offset0:40 offset1:41
	v_dual_mov_b32 v26, v190 :: v_dual_mov_b32 v27, v191
	v_dual_mov_b32 v28, v182 :: v_dual_mov_b32 v29, v183
	ds_store_2addr_b64 v80, v[26:27], v[28:29] offset0:42 offset1:43
	v_dual_mov_b32 v26, v188 :: v_dual_mov_b32 v27, v189
	v_dual_mov_b32 v28, v180 :: v_dual_mov_b32 v29, v181
	;; [unrolled: 3-line block ×3, first 2 shown]
	ds_store_2addr_b64 v80, v[26:27], v[28:29] offset0:46 offset1:47
	ds_store_b64 v80, v[196:197] offset:384
	ds_load_b64 v[26:27], v79
	s_wait_dscnt 0x0
	v_cmp_neq_f32_e32 vcc_lo, 0, v26
	v_cmp_neq_f32_e64 s1, 0, v27
	s_or_b32 s1, vcc_lo, s1
	s_delay_alu instid0(SALU_CYCLE_1)
	s_and_b32 exec_lo, exec_lo, s1
	s_cbranch_execz .LBB97_359
; %bb.354:
	v_cmp_ngt_f32_e64 s1, |v26|, |v27|
                                        ; implicit-def: $vgpr28_vgpr29
	s_and_saveexec_b32 s4, s1
	s_delay_alu instid0(SALU_CYCLE_1)
	s_xor_b32 s1, exec_lo, s4
	s_cbranch_execz .LBB97_356
; %bb.355:
	v_div_scale_f32 v28, null, v27, v27, v26
	v_div_scale_f32 v39, vcc_lo, v26, v27, v26
	s_delay_alu instid0(VALU_DEP_2) | instskip(SKIP_1) | instid1(TRANS32_DEP_1)
	v_rcp_f32_e32 v29, v28
	v_nop
	v_fma_f32 v38, -v28, v29, 1.0
	s_delay_alu instid0(VALU_DEP_1) | instskip(NEXT) | instid1(VALU_DEP_1)
	v_fmac_f32_e32 v29, v38, v29
	v_mul_f32_e32 v38, v39, v29
	s_delay_alu instid0(VALU_DEP_1) | instskip(NEXT) | instid1(VALU_DEP_1)
	v_fma_f32 v40, -v28, v38, v39
	v_fmac_f32_e32 v38, v40, v29
	s_delay_alu instid0(VALU_DEP_1) | instskip(NEXT) | instid1(VALU_DEP_1)
	v_fma_f32 v28, -v28, v38, v39
	v_div_fmas_f32 v28, v28, v29, v38
	s_delay_alu instid0(VALU_DEP_1) | instskip(NEXT) | instid1(VALU_DEP_1)
	v_div_fixup_f32 v28, v28, v27, v26
	v_fmac_f32_e32 v27, v26, v28
	s_delay_alu instid0(VALU_DEP_1) | instskip(SKIP_1) | instid1(VALU_DEP_2)
	v_div_scale_f32 v26, null, v27, v27, 1.0
	v_div_scale_f32 v39, vcc_lo, 1.0, v27, 1.0
	v_rcp_f32_e32 v29, v26
	v_nop
	s_delay_alu instid0(TRANS32_DEP_1) | instskip(NEXT) | instid1(VALU_DEP_1)
	v_fma_f32 v38, -v26, v29, 1.0
	v_fmac_f32_e32 v29, v38, v29
	s_delay_alu instid0(VALU_DEP_1) | instskip(NEXT) | instid1(VALU_DEP_1)
	v_mul_f32_e32 v38, v39, v29
	v_fma_f32 v40, -v26, v38, v39
	s_delay_alu instid0(VALU_DEP_1) | instskip(NEXT) | instid1(VALU_DEP_1)
	v_fmac_f32_e32 v38, v40, v29
	v_fma_f32 v26, -v26, v38, v39
	s_delay_alu instid0(VALU_DEP_1) | instskip(NEXT) | instid1(VALU_DEP_1)
	v_div_fmas_f32 v26, v26, v29, v38
	v_div_fixup_f32 v26, v26, v27, 1.0
	s_delay_alu instid0(VALU_DEP_1)
	v_mul_f32_e32 v28, v28, v26
	v_xor_b32_e32 v29, 0x80000000, v26
                                        ; implicit-def: $vgpr26_vgpr27
.LBB97_356:
	s_and_not1_saveexec_b32 s1, s1
	s_cbranch_execz .LBB97_358
; %bb.357:
	v_div_scale_f32 v28, null, v26, v26, v27
	v_div_scale_f32 v39, vcc_lo, v27, v26, v27
	s_delay_alu instid0(VALU_DEP_2) | instskip(SKIP_1) | instid1(TRANS32_DEP_1)
	v_rcp_f32_e32 v29, v28
	v_nop
	v_fma_f32 v38, -v28, v29, 1.0
	s_delay_alu instid0(VALU_DEP_1) | instskip(NEXT) | instid1(VALU_DEP_1)
	v_fmac_f32_e32 v29, v38, v29
	v_mul_f32_e32 v38, v39, v29
	s_delay_alu instid0(VALU_DEP_1) | instskip(NEXT) | instid1(VALU_DEP_1)
	v_fma_f32 v40, -v28, v38, v39
	v_fmac_f32_e32 v38, v40, v29
	s_delay_alu instid0(VALU_DEP_1) | instskip(NEXT) | instid1(VALU_DEP_1)
	v_fma_f32 v28, -v28, v38, v39
	v_div_fmas_f32 v28, v28, v29, v38
	s_delay_alu instid0(VALU_DEP_1) | instskip(NEXT) | instid1(VALU_DEP_1)
	v_div_fixup_f32 v29, v28, v26, v27
	v_fmac_f32_e32 v26, v27, v29
	s_delay_alu instid0(VALU_DEP_1) | instskip(NEXT) | instid1(VALU_DEP_1)
	v_div_scale_f32 v27, null, v26, v26, 1.0
	v_rcp_f32_e32 v28, v27
	v_nop
	s_delay_alu instid0(TRANS32_DEP_1) | instskip(NEXT) | instid1(VALU_DEP_1)
	v_fma_f32 v38, -v27, v28, 1.0
	v_fmac_f32_e32 v28, v38, v28
	v_div_scale_f32 v38, vcc_lo, 1.0, v26, 1.0
	s_delay_alu instid0(VALU_DEP_1) | instskip(NEXT) | instid1(VALU_DEP_1)
	v_mul_f32_e32 v39, v38, v28
	v_fma_f32 v40, -v27, v39, v38
	s_delay_alu instid0(VALU_DEP_1) | instskip(NEXT) | instid1(VALU_DEP_1)
	v_fmac_f32_e32 v39, v40, v28
	v_fma_f32 v27, -v27, v39, v38
	s_delay_alu instid0(VALU_DEP_1) | instskip(NEXT) | instid1(VALU_DEP_1)
	v_div_fmas_f32 v27, v27, v28, v39
	v_div_fixup_f32 v28, v27, v26, 1.0
	s_delay_alu instid0(VALU_DEP_1)
	v_mul_f32_e64 v29, v29, -v28
.LBB97_358:
	s_or_b32 exec_lo, exec_lo, s1
	ds_store_b64 v79, v[28:29]
.LBB97_359:
	s_or_b32 exec_lo, exec_lo, s2
	s_wait_dscnt 0x0
	s_barrier_signal -1
	s_barrier_wait -1
	ds_load_b64 v[26:27], v79
	s_mov_b32 s1, exec_lo
	v_cmpx_lt_u32_e32 39, v78
	s_cbranch_execz .LBB97_361
; %bb.360:
	ds_load_2addr_b64 v[40:43], v80 offset0:40 offset1:41
	s_wait_dscnt 0x1
	v_pk_mul_f32 v[38:39], v[26:27], v[160:161] op_sel:[1,1] op_sel_hi:[0,1]
	s_delay_alu instid0(VALU_DEP_1) | instskip(SKIP_1) | instid1(VALU_DEP_1)
	v_pk_fma_f32 v[28:29], v[26:27], v[160:161], v[38:39] op_sel_hi:[1,0,1] neg_lo:[0,0,1] neg_hi:[0,0,1]
	v_pk_fma_f32 v[38:39], v[26:27], v[160:161], v[38:39] op_sel_hi:[1,0,1]
	v_dual_mov_b32 v160, v28 :: v_dual_mov_b32 v161, v39
	s_wait_dscnt 0x0
	s_delay_alu instid0(VALU_DEP_2) | instskip(NEXT) | instid1(VALU_DEP_1)
	v_pk_mul_f32 v[44:45], v[40:41], v[38:39] op_sel:[0,1]
	v_pk_fma_f32 v[54:55], v[40:41], v[28:29], v[44:45] op_sel:[0,0,1] op_sel_hi:[1,1,0] neg_lo:[0,0,1] neg_hi:[0,0,1]
	v_pk_fma_f32 v[40:41], v[40:41], v[28:29], v[44:45] op_sel:[0,0,1] op_sel_hi:[1,0,0]
	s_delay_alu instid0(VALU_DEP_1) | instskip(SKIP_1) | instid1(VALU_DEP_1)
	v_mov_b32_e32 v55, v41
	v_pk_mul_f32 v[40:41], v[42:43], v[38:39] op_sel:[0,1]
	v_pk_fma_f32 v[44:45], v[42:43], v[28:29], v[40:41] op_sel:[0,0,1] op_sel_hi:[1,1,0] neg_lo:[0,0,1] neg_hi:[0,0,1]
	v_pk_fma_f32 v[40:41], v[42:43], v[28:29], v[40:41] op_sel:[0,0,1] op_sel_hi:[1,0,0]
	s_delay_alu instid0(VALU_DEP_1)
	v_mov_b32_e32 v45, v41
	ds_load_2addr_b64 v[40:43], v80 offset0:42 offset1:43
	v_pk_add_f32 v[192:193], v[192:193], v[54:55] neg_lo:[0,1] neg_hi:[0,1]
	v_pk_add_f32 v[184:185], v[184:185], v[44:45] neg_lo:[0,1] neg_hi:[0,1]
	s_wait_dscnt 0x0
	v_pk_mul_f32 v[44:45], v[40:41], v[38:39] op_sel:[0,1]
	s_delay_alu instid0(VALU_DEP_1) | instskip(SKIP_2) | instid1(VALU_DEP_2)
	v_pk_fma_f32 v[54:55], v[40:41], v[28:29], v[44:45] op_sel:[0,0,1] op_sel_hi:[1,1,0] neg_lo:[0,0,1] neg_hi:[0,0,1]
	v_pk_fma_f32 v[40:41], v[40:41], v[28:29], v[44:45] op_sel:[0,0,1] op_sel_hi:[1,0,0]
	v_dual_mul_f32 v44, v43, v39 :: v_dual_mov_b32 v40, v43
	v_dual_mov_b32 v55, v41 :: v_dual_mov_b32 v41, v42
	s_delay_alu instid0(VALU_DEP_2) | instskip(SKIP_1) | instid1(VALU_DEP_3)
	v_pk_fma_f32 v[44:45], v[42:43], v[160:161], v[44:45] op_sel_hi:[1,1,0] neg_lo:[0,0,1] neg_hi:[0,0,1]
	v_mul_f32_e32 v42, v43, v28
	v_pk_add_f32 v[190:191], v[190:191], v[54:55] neg_lo:[0,1] neg_hi:[0,1]
	s_delay_alu instid0(VALU_DEP_2) | instskip(NEXT) | instid1(VALU_DEP_1)
	v_pk_fma_f32 v[40:41], v[40:41], v[160:161], v[42:43] op_sel_hi:[1,1,0]
	v_mov_b32_e32 v45, v41
	ds_load_2addr_b64 v[40:43], v80 offset0:44 offset1:45
	v_pk_add_f32 v[182:183], v[182:183], v[44:45] neg_lo:[0,1] neg_hi:[0,1]
	s_wait_dscnt 0x0
	v_pk_mul_f32 v[44:45], v[40:41], v[38:39] op_sel:[0,1]
	s_delay_alu instid0(VALU_DEP_1) | instskip(SKIP_1) | instid1(VALU_DEP_1)
	v_pk_fma_f32 v[54:55], v[40:41], v[28:29], v[44:45] op_sel:[0,0,1] op_sel_hi:[1,1,0] neg_lo:[0,0,1] neg_hi:[0,0,1]
	v_pk_fma_f32 v[40:41], v[40:41], v[28:29], v[44:45] op_sel:[0,0,1] op_sel_hi:[1,0,0]
	v_mov_b32_e32 v55, v41
	v_pk_mul_f32 v[40:41], v[42:43], v[38:39] op_sel:[0,1]
	s_delay_alu instid0(VALU_DEP_1) | instskip(SKIP_1) | instid1(VALU_DEP_1)
	v_pk_fma_f32 v[44:45], v[42:43], v[28:29], v[40:41] op_sel:[0,0,1] op_sel_hi:[1,1,0] neg_lo:[0,0,1] neg_hi:[0,0,1]
	v_pk_fma_f32 v[40:41], v[42:43], v[28:29], v[40:41] op_sel:[0,0,1] op_sel_hi:[1,0,0]
	v_mov_b32_e32 v45, v41
	ds_load_2addr_b64 v[40:43], v80 offset0:46 offset1:47
	v_pk_add_f32 v[188:189], v[188:189], v[54:55] neg_lo:[0,1] neg_hi:[0,1]
	v_pk_add_f32 v[180:181], v[180:181], v[44:45] neg_lo:[0,1] neg_hi:[0,1]
	s_wait_dscnt 0x0
	v_pk_mul_f32 v[44:45], v[40:41], v[38:39] op_sel:[0,1]
	s_delay_alu instid0(VALU_DEP_1) | instskip(SKIP_1) | instid1(VALU_DEP_1)
	v_pk_fma_f32 v[54:55], v[40:41], v[28:29], v[44:45] op_sel:[0,0,1] op_sel_hi:[1,1,0] neg_lo:[0,0,1] neg_hi:[0,0,1]
	v_pk_fma_f32 v[40:41], v[40:41], v[28:29], v[44:45] op_sel:[0,0,1] op_sel_hi:[1,0,0]
	v_mov_b32_e32 v55, v41
	v_pk_mul_f32 v[40:41], v[42:43], v[38:39] op_sel:[0,1]
	s_delay_alu instid0(VALU_DEP_1) | instskip(SKIP_1) | instid1(VALU_DEP_1)
	v_pk_fma_f32 v[44:45], v[42:43], v[28:29], v[40:41] op_sel:[0,0,1] op_sel_hi:[1,1,0] neg_lo:[0,0,1] neg_hi:[0,0,1]
	v_pk_fma_f32 v[40:41], v[42:43], v[28:29], v[40:41] op_sel:[0,0,1] op_sel_hi:[1,0,0]
	v_mov_b32_e32 v45, v41
	ds_load_b64 v[40:41], v80 offset:384
	v_pk_add_f32 v[186:187], v[186:187], v[54:55] neg_lo:[0,1] neg_hi:[0,1]
	v_pk_add_f32 v[194:195], v[194:195], v[44:45] neg_lo:[0,1] neg_hi:[0,1]
	s_wait_dscnt 0x0
	v_pk_mul_f32 v[38:39], v[40:41], v[38:39] op_sel:[0,1]
	s_delay_alu instid0(VALU_DEP_1) | instskip(SKIP_1) | instid1(VALU_DEP_1)
	v_pk_fma_f32 v[42:43], v[40:41], v[28:29], v[38:39] op_sel:[0,0,1] op_sel_hi:[1,1,0] neg_lo:[0,0,1] neg_hi:[0,0,1]
	v_pk_fma_f32 v[28:29], v[40:41], v[28:29], v[38:39] op_sel:[0,0,1] op_sel_hi:[1,0,0]
	v_mov_b32_e32 v43, v29
	s_delay_alu instid0(VALU_DEP_1)
	v_pk_add_f32 v[196:197], v[196:197], v[42:43] neg_lo:[0,1] neg_hi:[0,1]
.LBB97_361:
	s_or_b32 exec_lo, exec_lo, s1
	s_delay_alu instid0(SALU_CYCLE_1)
	s_mov_b32 s2, exec_lo
	s_wait_dscnt 0x0
	s_barrier_signal -1
	s_barrier_wait -1
	v_cmpx_eq_u32_e32 40, v78
	s_cbranch_execz .LBB97_368
; %bb.362:
	ds_store_b64 v79, v[192:193]
	ds_store_2addr_b64 v80, v[184:185], v[190:191] offset0:41 offset1:42
	ds_store_2addr_b64 v80, v[182:183], v[188:189] offset0:43 offset1:44
	ds_store_2addr_b64 v80, v[180:181], v[186:187] offset0:45 offset1:46
	ds_store_2addr_b64 v80, v[194:195], v[196:197] offset0:47 offset1:48
	ds_load_b64 v[28:29], v79
	s_wait_dscnt 0x0
	v_cmp_neq_f32_e32 vcc_lo, 0, v28
	v_cmp_neq_f32_e64 s1, 0, v29
	s_or_b32 s1, vcc_lo, s1
	s_delay_alu instid0(SALU_CYCLE_1)
	s_and_b32 exec_lo, exec_lo, s1
	s_cbranch_execz .LBB97_368
; %bb.363:
	v_cmp_ngt_f32_e64 s1, |v28|, |v29|
                                        ; implicit-def: $vgpr38_vgpr39
	s_and_saveexec_b32 s4, s1
	s_delay_alu instid0(SALU_CYCLE_1)
	s_xor_b32 s1, exec_lo, s4
	s_cbranch_execz .LBB97_365
; %bb.364:
	v_div_scale_f32 v38, null, v29, v29, v28
	v_div_scale_f32 v41, vcc_lo, v28, v29, v28
	s_delay_alu instid0(VALU_DEP_2) | instskip(SKIP_1) | instid1(TRANS32_DEP_1)
	v_rcp_f32_e32 v39, v38
	v_nop
	v_fma_f32 v40, -v38, v39, 1.0
	s_delay_alu instid0(VALU_DEP_1) | instskip(NEXT) | instid1(VALU_DEP_1)
	v_fmac_f32_e32 v39, v40, v39
	v_mul_f32_e32 v40, v41, v39
	s_delay_alu instid0(VALU_DEP_1) | instskip(NEXT) | instid1(VALU_DEP_1)
	v_fma_f32 v42, -v38, v40, v41
	v_fmac_f32_e32 v40, v42, v39
	s_delay_alu instid0(VALU_DEP_1) | instskip(NEXT) | instid1(VALU_DEP_1)
	v_fma_f32 v38, -v38, v40, v41
	v_div_fmas_f32 v38, v38, v39, v40
	s_delay_alu instid0(VALU_DEP_1) | instskip(NEXT) | instid1(VALU_DEP_1)
	v_div_fixup_f32 v38, v38, v29, v28
	v_fmac_f32_e32 v29, v28, v38
	s_delay_alu instid0(VALU_DEP_1) | instskip(SKIP_1) | instid1(VALU_DEP_2)
	v_div_scale_f32 v28, null, v29, v29, 1.0
	v_div_scale_f32 v41, vcc_lo, 1.0, v29, 1.0
	v_rcp_f32_e32 v39, v28
	v_nop
	s_delay_alu instid0(TRANS32_DEP_1) | instskip(NEXT) | instid1(VALU_DEP_1)
	v_fma_f32 v40, -v28, v39, 1.0
	v_fmac_f32_e32 v39, v40, v39
	s_delay_alu instid0(VALU_DEP_1) | instskip(NEXT) | instid1(VALU_DEP_1)
	v_mul_f32_e32 v40, v41, v39
	v_fma_f32 v42, -v28, v40, v41
	s_delay_alu instid0(VALU_DEP_1) | instskip(NEXT) | instid1(VALU_DEP_1)
	v_fmac_f32_e32 v40, v42, v39
	v_fma_f32 v28, -v28, v40, v41
	s_delay_alu instid0(VALU_DEP_1) | instskip(NEXT) | instid1(VALU_DEP_1)
	v_div_fmas_f32 v28, v28, v39, v40
	v_div_fixup_f32 v28, v28, v29, 1.0
	s_delay_alu instid0(VALU_DEP_1)
	v_mul_f32_e32 v38, v38, v28
	v_xor_b32_e32 v39, 0x80000000, v28
                                        ; implicit-def: $vgpr28_vgpr29
.LBB97_365:
	s_and_not1_saveexec_b32 s1, s1
	s_cbranch_execz .LBB97_367
; %bb.366:
	v_div_scale_f32 v38, null, v28, v28, v29
	v_div_scale_f32 v41, vcc_lo, v29, v28, v29
	s_delay_alu instid0(VALU_DEP_2) | instskip(SKIP_1) | instid1(TRANS32_DEP_1)
	v_rcp_f32_e32 v39, v38
	v_nop
	v_fma_f32 v40, -v38, v39, 1.0
	s_delay_alu instid0(VALU_DEP_1) | instskip(NEXT) | instid1(VALU_DEP_1)
	v_fmac_f32_e32 v39, v40, v39
	v_mul_f32_e32 v40, v41, v39
	s_delay_alu instid0(VALU_DEP_1) | instskip(NEXT) | instid1(VALU_DEP_1)
	v_fma_f32 v42, -v38, v40, v41
	v_fmac_f32_e32 v40, v42, v39
	s_delay_alu instid0(VALU_DEP_1) | instskip(NEXT) | instid1(VALU_DEP_1)
	v_fma_f32 v38, -v38, v40, v41
	v_div_fmas_f32 v38, v38, v39, v40
	s_delay_alu instid0(VALU_DEP_1) | instskip(NEXT) | instid1(VALU_DEP_1)
	v_div_fixup_f32 v39, v38, v28, v29
	v_fmac_f32_e32 v28, v29, v39
	s_delay_alu instid0(VALU_DEP_1) | instskip(NEXT) | instid1(VALU_DEP_1)
	v_div_scale_f32 v29, null, v28, v28, 1.0
	v_rcp_f32_e32 v38, v29
	v_nop
	s_delay_alu instid0(TRANS32_DEP_1) | instskip(NEXT) | instid1(VALU_DEP_1)
	v_fma_f32 v40, -v29, v38, 1.0
	v_fmac_f32_e32 v38, v40, v38
	v_div_scale_f32 v40, vcc_lo, 1.0, v28, 1.0
	s_delay_alu instid0(VALU_DEP_1) | instskip(NEXT) | instid1(VALU_DEP_1)
	v_mul_f32_e32 v41, v40, v38
	v_fma_f32 v42, -v29, v41, v40
	s_delay_alu instid0(VALU_DEP_1) | instskip(NEXT) | instid1(VALU_DEP_1)
	v_fmac_f32_e32 v41, v42, v38
	v_fma_f32 v29, -v29, v41, v40
	s_delay_alu instid0(VALU_DEP_1) | instskip(NEXT) | instid1(VALU_DEP_1)
	v_div_fmas_f32 v29, v29, v38, v41
	v_div_fixup_f32 v38, v29, v28, 1.0
	s_delay_alu instid0(VALU_DEP_1)
	v_mul_f32_e64 v39, v39, -v38
.LBB97_367:
	s_or_b32 exec_lo, exec_lo, s1
	ds_store_b64 v79, v[38:39]
.LBB97_368:
	s_or_b32 exec_lo, exec_lo, s2
	s_wait_dscnt 0x0
	s_barrier_signal -1
	s_barrier_wait -1
	ds_load_b64 v[28:29], v79
	s_mov_b32 s1, exec_lo
	v_cmpx_lt_u32_e32 40, v78
	s_cbranch_execz .LBB97_370
; %bb.369:
	ds_load_2addr_b64 v[42:45], v80 offset0:41 offset1:42
	s_wait_dscnt 0x1
	v_pk_mul_f32 v[40:41], v[28:29], v[192:193] op_sel:[1,1] op_sel_hi:[0,1]
	s_delay_alu instid0(VALU_DEP_1) | instskip(SKIP_1) | instid1(VALU_DEP_1)
	v_pk_fma_f32 v[38:39], v[28:29], v[192:193], v[40:41] op_sel_hi:[1,0,1] neg_lo:[0,0,1] neg_hi:[0,0,1]
	v_pk_fma_f32 v[40:41], v[28:29], v[192:193], v[40:41] op_sel_hi:[1,0,1]
	v_dual_mov_b32 v192, v38 :: v_dual_mov_b32 v193, v41
	s_wait_dscnt 0x0
	s_delay_alu instid0(VALU_DEP_2) | instskip(NEXT) | instid1(VALU_DEP_1)
	v_pk_mul_f32 v[54:55], v[42:43], v[40:41] op_sel:[0,1]
	v_pk_fma_f32 v[56:57], v[42:43], v[38:39], v[54:55] op_sel:[0,0,1] op_sel_hi:[1,1,0] neg_lo:[0,0,1] neg_hi:[0,0,1]
	v_pk_fma_f32 v[42:43], v[42:43], v[38:39], v[54:55] op_sel:[0,0,1] op_sel_hi:[1,0,0]
	s_delay_alu instid0(VALU_DEP_1) | instskip(SKIP_1) | instid1(VALU_DEP_1)
	v_mov_b32_e32 v57, v43
	v_pk_mul_f32 v[42:43], v[44:45], v[40:41] op_sel:[0,1]
	v_pk_fma_f32 v[54:55], v[44:45], v[38:39], v[42:43] op_sel:[0,0,1] op_sel_hi:[1,1,0] neg_lo:[0,0,1] neg_hi:[0,0,1]
	v_pk_fma_f32 v[42:43], v[44:45], v[38:39], v[42:43] op_sel:[0,0,1] op_sel_hi:[1,0,0]
	s_delay_alu instid0(VALU_DEP_1)
	v_mov_b32_e32 v55, v43
	ds_load_2addr_b64 v[42:45], v80 offset0:43 offset1:44
	v_pk_add_f32 v[184:185], v[184:185], v[56:57] neg_lo:[0,1] neg_hi:[0,1]
	v_pk_add_f32 v[190:191], v[190:191], v[54:55] neg_lo:[0,1] neg_hi:[0,1]
	s_wait_dscnt 0x0
	v_pk_mul_f32 v[54:55], v[42:43], v[40:41] op_sel:[0,1]
	s_delay_alu instid0(VALU_DEP_1) | instskip(SKIP_2) | instid1(VALU_DEP_2)
	v_pk_fma_f32 v[56:57], v[42:43], v[38:39], v[54:55] op_sel:[0,0,1] op_sel_hi:[1,1,0] neg_lo:[0,0,1] neg_hi:[0,0,1]
	v_pk_fma_f32 v[42:43], v[42:43], v[38:39], v[54:55] op_sel:[0,0,1] op_sel_hi:[1,0,0]
	v_dual_mul_f32 v54, v45, v41 :: v_dual_mov_b32 v42, v45
	v_dual_mov_b32 v57, v43 :: v_dual_mov_b32 v43, v44
	s_delay_alu instid0(VALU_DEP_2) | instskip(SKIP_1) | instid1(VALU_DEP_3)
	v_pk_fma_f32 v[54:55], v[44:45], v[192:193], v[54:55] op_sel_hi:[1,1,0] neg_lo:[0,0,1] neg_hi:[0,0,1]
	v_mul_f32_e32 v44, v45, v38
	v_pk_add_f32 v[182:183], v[182:183], v[56:57] neg_lo:[0,1] neg_hi:[0,1]
	s_delay_alu instid0(VALU_DEP_2) | instskip(NEXT) | instid1(VALU_DEP_1)
	v_pk_fma_f32 v[42:43], v[42:43], v[192:193], v[44:45] op_sel_hi:[1,1,0]
	v_mov_b32_e32 v55, v43
	ds_load_2addr_b64 v[42:45], v80 offset0:45 offset1:46
	v_pk_add_f32 v[188:189], v[188:189], v[54:55] neg_lo:[0,1] neg_hi:[0,1]
	s_wait_dscnt 0x0
	v_pk_mul_f32 v[54:55], v[42:43], v[40:41] op_sel:[0,1]
	s_delay_alu instid0(VALU_DEP_1) | instskip(SKIP_1) | instid1(VALU_DEP_1)
	v_pk_fma_f32 v[56:57], v[42:43], v[38:39], v[54:55] op_sel:[0,0,1] op_sel_hi:[1,1,0] neg_lo:[0,0,1] neg_hi:[0,0,1]
	v_pk_fma_f32 v[42:43], v[42:43], v[38:39], v[54:55] op_sel:[0,0,1] op_sel_hi:[1,0,0]
	v_mov_b32_e32 v57, v43
	v_pk_mul_f32 v[42:43], v[44:45], v[40:41] op_sel:[0,1]
	s_delay_alu instid0(VALU_DEP_1) | instskip(SKIP_1) | instid1(VALU_DEP_1)
	v_pk_fma_f32 v[54:55], v[44:45], v[38:39], v[42:43] op_sel:[0,0,1] op_sel_hi:[1,1,0] neg_lo:[0,0,1] neg_hi:[0,0,1]
	v_pk_fma_f32 v[42:43], v[44:45], v[38:39], v[42:43] op_sel:[0,0,1] op_sel_hi:[1,0,0]
	v_mov_b32_e32 v55, v43
	ds_load_2addr_b64 v[42:45], v80 offset0:47 offset1:48
	v_pk_add_f32 v[180:181], v[180:181], v[56:57] neg_lo:[0,1] neg_hi:[0,1]
	v_pk_add_f32 v[186:187], v[186:187], v[54:55] neg_lo:[0,1] neg_hi:[0,1]
	s_wait_dscnt 0x0
	v_pk_mul_f32 v[54:55], v[42:43], v[40:41] op_sel:[0,1]
	v_pk_mul_f32 v[40:41], v[44:45], v[40:41] op_sel:[0,1]
	s_delay_alu instid0(VALU_DEP_2) | instskip(SKIP_1) | instid1(VALU_DEP_1)
	v_pk_fma_f32 v[56:57], v[42:43], v[38:39], v[54:55] op_sel:[0,0,1] op_sel_hi:[1,1,0] neg_lo:[0,0,1] neg_hi:[0,0,1]
	v_pk_fma_f32 v[42:43], v[42:43], v[38:39], v[54:55] op_sel:[0,0,1] op_sel_hi:[1,0,0]
	v_mov_b32_e32 v57, v43
	s_delay_alu instid0(VALU_DEP_4) | instskip(SKIP_1) | instid1(VALU_DEP_1)
	v_pk_fma_f32 v[42:43], v[44:45], v[38:39], v[40:41] op_sel:[0,0,1] op_sel_hi:[1,1,0] neg_lo:[0,0,1] neg_hi:[0,0,1]
	v_pk_fma_f32 v[38:39], v[44:45], v[38:39], v[40:41] op_sel:[0,0,1] op_sel_hi:[1,0,0]
	v_mov_b32_e32 v43, v39
	s_delay_alu instid0(VALU_DEP_4) | instskip(NEXT) | instid1(VALU_DEP_2)
	v_pk_add_f32 v[194:195], v[194:195], v[56:57] neg_lo:[0,1] neg_hi:[0,1]
	v_pk_add_f32 v[196:197], v[196:197], v[42:43] neg_lo:[0,1] neg_hi:[0,1]
.LBB97_370:
	s_or_b32 exec_lo, exec_lo, s1
	s_delay_alu instid0(SALU_CYCLE_1)
	s_mov_b32 s2, exec_lo
	s_wait_dscnt 0x0
	s_barrier_signal -1
	s_barrier_wait -1
	v_cmpx_eq_u32_e32 41, v78
	s_cbranch_execz .LBB97_377
; %bb.371:
	v_dual_mov_b32 v38, v190 :: v_dual_mov_b32 v39, v191
	v_dual_mov_b32 v40, v182 :: v_dual_mov_b32 v41, v183
	ds_store_b64 v79, v[184:185]
	ds_store_2addr_b64 v80, v[38:39], v[40:41] offset0:42 offset1:43
	v_dual_mov_b32 v38, v188 :: v_dual_mov_b32 v39, v189
	v_dual_mov_b32 v40, v180 :: v_dual_mov_b32 v41, v181
	ds_store_2addr_b64 v80, v[38:39], v[40:41] offset0:44 offset1:45
	v_dual_mov_b32 v38, v186 :: v_dual_mov_b32 v39, v187
	v_dual_mov_b32 v40, v194 :: v_dual_mov_b32 v41, v195
	ds_store_2addr_b64 v80, v[38:39], v[40:41] offset0:46 offset1:47
	ds_store_b64 v80, v[196:197] offset:384
	ds_load_b64 v[38:39], v79
	s_wait_dscnt 0x0
	v_cmp_neq_f32_e32 vcc_lo, 0, v38
	v_cmp_neq_f32_e64 s1, 0, v39
	s_or_b32 s1, vcc_lo, s1
	s_delay_alu instid0(SALU_CYCLE_1)
	s_and_b32 exec_lo, exec_lo, s1
	s_cbranch_execz .LBB97_377
; %bb.372:
	v_cmp_ngt_f32_e64 s1, |v38|, |v39|
                                        ; implicit-def: $vgpr40_vgpr41
	s_and_saveexec_b32 s4, s1
	s_delay_alu instid0(SALU_CYCLE_1)
	s_xor_b32 s1, exec_lo, s4
	s_cbranch_execz .LBB97_374
; %bb.373:
	v_div_scale_f32 v40, null, v39, v39, v38
	v_div_scale_f32 v43, vcc_lo, v38, v39, v38
	s_delay_alu instid0(VALU_DEP_2) | instskip(SKIP_1) | instid1(TRANS32_DEP_1)
	v_rcp_f32_e32 v41, v40
	v_nop
	v_fma_f32 v42, -v40, v41, 1.0
	s_delay_alu instid0(VALU_DEP_1) | instskip(NEXT) | instid1(VALU_DEP_1)
	v_fmac_f32_e32 v41, v42, v41
	v_mul_f32_e32 v42, v43, v41
	s_delay_alu instid0(VALU_DEP_1) | instskip(NEXT) | instid1(VALU_DEP_1)
	v_fma_f32 v44, -v40, v42, v43
	v_fmac_f32_e32 v42, v44, v41
	s_delay_alu instid0(VALU_DEP_1) | instskip(NEXT) | instid1(VALU_DEP_1)
	v_fma_f32 v40, -v40, v42, v43
	v_div_fmas_f32 v40, v40, v41, v42
	s_delay_alu instid0(VALU_DEP_1) | instskip(NEXT) | instid1(VALU_DEP_1)
	v_div_fixup_f32 v40, v40, v39, v38
	v_fmac_f32_e32 v39, v38, v40
	s_delay_alu instid0(VALU_DEP_1) | instskip(SKIP_1) | instid1(VALU_DEP_2)
	v_div_scale_f32 v38, null, v39, v39, 1.0
	v_div_scale_f32 v43, vcc_lo, 1.0, v39, 1.0
	v_rcp_f32_e32 v41, v38
	v_nop
	s_delay_alu instid0(TRANS32_DEP_1) | instskip(NEXT) | instid1(VALU_DEP_1)
	v_fma_f32 v42, -v38, v41, 1.0
	v_fmac_f32_e32 v41, v42, v41
	s_delay_alu instid0(VALU_DEP_1) | instskip(NEXT) | instid1(VALU_DEP_1)
	v_mul_f32_e32 v42, v43, v41
	v_fma_f32 v44, -v38, v42, v43
	s_delay_alu instid0(VALU_DEP_1) | instskip(NEXT) | instid1(VALU_DEP_1)
	v_fmac_f32_e32 v42, v44, v41
	v_fma_f32 v38, -v38, v42, v43
	s_delay_alu instid0(VALU_DEP_1) | instskip(NEXT) | instid1(VALU_DEP_1)
	v_div_fmas_f32 v38, v38, v41, v42
	v_div_fixup_f32 v38, v38, v39, 1.0
	s_delay_alu instid0(VALU_DEP_1)
	v_mul_f32_e32 v40, v40, v38
	v_xor_b32_e32 v41, 0x80000000, v38
                                        ; implicit-def: $vgpr38_vgpr39
.LBB97_374:
	s_and_not1_saveexec_b32 s1, s1
	s_cbranch_execz .LBB97_376
; %bb.375:
	v_div_scale_f32 v40, null, v38, v38, v39
	v_div_scale_f32 v43, vcc_lo, v39, v38, v39
	s_delay_alu instid0(VALU_DEP_2) | instskip(SKIP_1) | instid1(TRANS32_DEP_1)
	v_rcp_f32_e32 v41, v40
	v_nop
	v_fma_f32 v42, -v40, v41, 1.0
	s_delay_alu instid0(VALU_DEP_1) | instskip(NEXT) | instid1(VALU_DEP_1)
	v_fmac_f32_e32 v41, v42, v41
	v_mul_f32_e32 v42, v43, v41
	s_delay_alu instid0(VALU_DEP_1) | instskip(NEXT) | instid1(VALU_DEP_1)
	v_fma_f32 v44, -v40, v42, v43
	v_fmac_f32_e32 v42, v44, v41
	s_delay_alu instid0(VALU_DEP_1) | instskip(NEXT) | instid1(VALU_DEP_1)
	v_fma_f32 v40, -v40, v42, v43
	v_div_fmas_f32 v40, v40, v41, v42
	s_delay_alu instid0(VALU_DEP_1) | instskip(NEXT) | instid1(VALU_DEP_1)
	v_div_fixup_f32 v41, v40, v38, v39
	v_fmac_f32_e32 v38, v39, v41
	s_delay_alu instid0(VALU_DEP_1) | instskip(NEXT) | instid1(VALU_DEP_1)
	v_div_scale_f32 v39, null, v38, v38, 1.0
	v_rcp_f32_e32 v40, v39
	v_nop
	s_delay_alu instid0(TRANS32_DEP_1) | instskip(NEXT) | instid1(VALU_DEP_1)
	v_fma_f32 v42, -v39, v40, 1.0
	v_fmac_f32_e32 v40, v42, v40
	v_div_scale_f32 v42, vcc_lo, 1.0, v38, 1.0
	s_delay_alu instid0(VALU_DEP_1) | instskip(NEXT) | instid1(VALU_DEP_1)
	v_mul_f32_e32 v43, v42, v40
	v_fma_f32 v44, -v39, v43, v42
	s_delay_alu instid0(VALU_DEP_1) | instskip(NEXT) | instid1(VALU_DEP_1)
	v_fmac_f32_e32 v43, v44, v40
	v_fma_f32 v39, -v39, v43, v42
	s_delay_alu instid0(VALU_DEP_1) | instskip(NEXT) | instid1(VALU_DEP_1)
	v_div_fmas_f32 v39, v39, v40, v43
	v_div_fixup_f32 v40, v39, v38, 1.0
	s_delay_alu instid0(VALU_DEP_1)
	v_mul_f32_e64 v41, v41, -v40
.LBB97_376:
	s_or_b32 exec_lo, exec_lo, s1
	ds_store_b64 v79, v[40:41]
.LBB97_377:
	s_or_b32 exec_lo, exec_lo, s2
	s_wait_dscnt 0x0
	s_barrier_signal -1
	s_barrier_wait -1
	ds_load_b64 v[38:39], v79
	s_mov_b32 s1, exec_lo
	v_cmpx_lt_u32_e32 41, v78
	s_cbranch_execz .LBB97_379
; %bb.378:
	s_wait_dscnt 0x0
	v_pk_mul_f32 v[42:43], v[38:39], v[184:185] op_sel:[1,1] op_sel_hi:[0,1]
	s_delay_alu instid0(VALU_DEP_1)
	v_pk_fma_f32 v[40:41], v[38:39], v[184:185], v[42:43] op_sel_hi:[1,0,1] neg_lo:[0,0,1] neg_hi:[0,0,1]
	v_pk_fma_f32 v[54:55], v[38:39], v[184:185], v[42:43] op_sel_hi:[1,0,1]
	ds_load_2addr_b64 v[42:45], v80 offset0:42 offset1:43
	v_dual_mov_b32 v184, v40 :: v_dual_mov_b32 v185, v55
	s_wait_dscnt 0x0
	v_pk_mul_f32 v[56:57], v[42:43], v[54:55] op_sel:[0,1]
	s_delay_alu instid0(VALU_DEP_1) | instskip(SKIP_1) | instid1(VALU_DEP_1)
	v_pk_fma_f32 v[58:59], v[42:43], v[40:41], v[56:57] op_sel:[0,0,1] op_sel_hi:[1,1,0] neg_lo:[0,0,1] neg_hi:[0,0,1]
	v_pk_fma_f32 v[42:43], v[42:43], v[40:41], v[56:57] op_sel:[0,0,1] op_sel_hi:[1,0,0]
	v_mov_b32_e32 v59, v43
	v_pk_mul_f32 v[42:43], v[44:45], v[54:55] op_sel:[0,1]
	s_delay_alu instid0(VALU_DEP_1) | instskip(SKIP_1) | instid1(VALU_DEP_1)
	v_pk_fma_f32 v[56:57], v[44:45], v[40:41], v[42:43] op_sel:[0,0,1] op_sel_hi:[1,1,0] neg_lo:[0,0,1] neg_hi:[0,0,1]
	v_pk_fma_f32 v[42:43], v[44:45], v[40:41], v[42:43] op_sel:[0,0,1] op_sel_hi:[1,0,0]
	v_mov_b32_e32 v57, v43
	ds_load_2addr_b64 v[42:45], v80 offset0:44 offset1:45
	v_pk_add_f32 v[190:191], v[190:191], v[58:59] neg_lo:[0,1] neg_hi:[0,1]
	v_pk_add_f32 v[182:183], v[182:183], v[56:57] neg_lo:[0,1] neg_hi:[0,1]
	s_wait_dscnt 0x0
	v_pk_mul_f32 v[56:57], v[42:43], v[54:55] op_sel:[0,1]
	s_delay_alu instid0(VALU_DEP_1) | instskip(SKIP_2) | instid1(VALU_DEP_2)
	v_pk_fma_f32 v[58:59], v[42:43], v[40:41], v[56:57] op_sel:[0,0,1] op_sel_hi:[1,1,0] neg_lo:[0,0,1] neg_hi:[0,0,1]
	v_pk_fma_f32 v[42:43], v[42:43], v[40:41], v[56:57] op_sel:[0,0,1] op_sel_hi:[1,0,0]
	v_dual_mul_f32 v56, v45, v55 :: v_dual_mov_b32 v42, v45
	v_dual_mov_b32 v59, v43 :: v_dual_mov_b32 v43, v44
	s_delay_alu instid0(VALU_DEP_2) | instskip(SKIP_1) | instid1(VALU_DEP_3)
	v_pk_fma_f32 v[56:57], v[44:45], v[184:185], v[56:57] op_sel_hi:[1,1,0] neg_lo:[0,0,1] neg_hi:[0,0,1]
	v_mul_f32_e32 v44, v45, v40
	v_pk_add_f32 v[188:189], v[188:189], v[58:59] neg_lo:[0,1] neg_hi:[0,1]
	s_delay_alu instid0(VALU_DEP_2) | instskip(NEXT) | instid1(VALU_DEP_1)
	v_pk_fma_f32 v[42:43], v[42:43], v[184:185], v[44:45] op_sel_hi:[1,1,0]
	v_mov_b32_e32 v57, v43
	ds_load_2addr_b64 v[42:45], v80 offset0:46 offset1:47
	v_pk_add_f32 v[180:181], v[180:181], v[56:57] neg_lo:[0,1] neg_hi:[0,1]
	s_wait_dscnt 0x0
	v_pk_mul_f32 v[56:57], v[42:43], v[54:55] op_sel:[0,1]
	s_delay_alu instid0(VALU_DEP_1) | instskip(SKIP_1) | instid1(VALU_DEP_1)
	v_pk_fma_f32 v[58:59], v[42:43], v[40:41], v[56:57] op_sel:[0,0,1] op_sel_hi:[1,1,0] neg_lo:[0,0,1] neg_hi:[0,0,1]
	v_pk_fma_f32 v[42:43], v[42:43], v[40:41], v[56:57] op_sel:[0,0,1] op_sel_hi:[1,0,0]
	v_mov_b32_e32 v59, v43
	v_pk_mul_f32 v[42:43], v[44:45], v[54:55] op_sel:[0,1]
	s_delay_alu instid0(VALU_DEP_1) | instskip(SKIP_1) | instid1(VALU_DEP_1)
	v_pk_fma_f32 v[56:57], v[44:45], v[40:41], v[42:43] op_sel:[0,0,1] op_sel_hi:[1,1,0] neg_lo:[0,0,1] neg_hi:[0,0,1]
	v_pk_fma_f32 v[42:43], v[44:45], v[40:41], v[42:43] op_sel:[0,0,1] op_sel_hi:[1,0,0]
	v_mov_b32_e32 v57, v43
	ds_load_b64 v[42:43], v80 offset:384
	v_pk_add_f32 v[186:187], v[186:187], v[58:59] neg_lo:[0,1] neg_hi:[0,1]
	v_pk_add_f32 v[194:195], v[194:195], v[56:57] neg_lo:[0,1] neg_hi:[0,1]
	s_wait_dscnt 0x0
	v_pk_mul_f32 v[44:45], v[42:43], v[54:55] op_sel:[0,1]
	s_delay_alu instid0(VALU_DEP_1) | instskip(SKIP_1) | instid1(VALU_DEP_1)
	v_pk_fma_f32 v[54:55], v[42:43], v[40:41], v[44:45] op_sel:[0,0,1] op_sel_hi:[1,1,0] neg_lo:[0,0,1] neg_hi:[0,0,1]
	v_pk_fma_f32 v[40:41], v[42:43], v[40:41], v[44:45] op_sel:[0,0,1] op_sel_hi:[1,0,0]
	v_mov_b32_e32 v55, v41
	s_delay_alu instid0(VALU_DEP_1)
	v_pk_add_f32 v[196:197], v[196:197], v[54:55] neg_lo:[0,1] neg_hi:[0,1]
.LBB97_379:
	s_or_b32 exec_lo, exec_lo, s1
	s_delay_alu instid0(SALU_CYCLE_1)
	s_mov_b32 s2, exec_lo
	s_wait_dscnt 0x0
	s_barrier_signal -1
	s_barrier_wait -1
	v_cmpx_eq_u32_e32 42, v78
	s_cbranch_execz .LBB97_386
; %bb.380:
	ds_store_b64 v79, v[190:191]
	ds_store_2addr_b64 v80, v[182:183], v[188:189] offset0:43 offset1:44
	ds_store_2addr_b64 v80, v[180:181], v[186:187] offset0:45 offset1:46
	;; [unrolled: 1-line block ×3, first 2 shown]
	ds_load_b64 v[40:41], v79
	s_wait_dscnt 0x0
	v_cmp_neq_f32_e32 vcc_lo, 0, v40
	v_cmp_neq_f32_e64 s1, 0, v41
	s_or_b32 s1, vcc_lo, s1
	s_delay_alu instid0(SALU_CYCLE_1)
	s_and_b32 exec_lo, exec_lo, s1
	s_cbranch_execz .LBB97_386
; %bb.381:
	v_cmp_ngt_f32_e64 s1, |v40|, |v41|
                                        ; implicit-def: $vgpr42_vgpr43
	s_and_saveexec_b32 s4, s1
	s_delay_alu instid0(SALU_CYCLE_1)
	s_xor_b32 s1, exec_lo, s4
	s_cbranch_execz .LBB97_383
; %bb.382:
	v_div_scale_f32 v42, null, v41, v41, v40
	v_div_scale_f32 v45, vcc_lo, v40, v41, v40
	s_delay_alu instid0(VALU_DEP_2) | instskip(SKIP_1) | instid1(TRANS32_DEP_1)
	v_rcp_f32_e32 v43, v42
	v_nop
	v_fma_f32 v44, -v42, v43, 1.0
	s_delay_alu instid0(VALU_DEP_1) | instskip(NEXT) | instid1(VALU_DEP_1)
	v_fmac_f32_e32 v43, v44, v43
	v_mul_f32_e32 v44, v45, v43
	s_delay_alu instid0(VALU_DEP_1) | instskip(NEXT) | instid1(VALU_DEP_1)
	v_fma_f32 v54, -v42, v44, v45
	v_fmac_f32_e32 v44, v54, v43
	s_delay_alu instid0(VALU_DEP_1) | instskip(NEXT) | instid1(VALU_DEP_1)
	v_fma_f32 v42, -v42, v44, v45
	v_div_fmas_f32 v42, v42, v43, v44
	s_delay_alu instid0(VALU_DEP_1) | instskip(NEXT) | instid1(VALU_DEP_1)
	v_div_fixup_f32 v42, v42, v41, v40
	v_fmac_f32_e32 v41, v40, v42
	s_delay_alu instid0(VALU_DEP_1) | instskip(SKIP_1) | instid1(VALU_DEP_2)
	v_div_scale_f32 v40, null, v41, v41, 1.0
	v_div_scale_f32 v45, vcc_lo, 1.0, v41, 1.0
	v_rcp_f32_e32 v43, v40
	v_nop
	s_delay_alu instid0(TRANS32_DEP_1) | instskip(NEXT) | instid1(VALU_DEP_1)
	v_fma_f32 v44, -v40, v43, 1.0
	v_fmac_f32_e32 v43, v44, v43
	s_delay_alu instid0(VALU_DEP_1) | instskip(NEXT) | instid1(VALU_DEP_1)
	v_mul_f32_e32 v44, v45, v43
	v_fma_f32 v54, -v40, v44, v45
	s_delay_alu instid0(VALU_DEP_1) | instskip(NEXT) | instid1(VALU_DEP_1)
	v_fmac_f32_e32 v44, v54, v43
	v_fma_f32 v40, -v40, v44, v45
	s_delay_alu instid0(VALU_DEP_1) | instskip(NEXT) | instid1(VALU_DEP_1)
	v_div_fmas_f32 v40, v40, v43, v44
	v_div_fixup_f32 v40, v40, v41, 1.0
	s_delay_alu instid0(VALU_DEP_1)
	v_mul_f32_e32 v42, v42, v40
	v_xor_b32_e32 v43, 0x80000000, v40
                                        ; implicit-def: $vgpr40_vgpr41
.LBB97_383:
	s_and_not1_saveexec_b32 s1, s1
	s_cbranch_execz .LBB97_385
; %bb.384:
	v_div_scale_f32 v42, null, v40, v40, v41
	v_div_scale_f32 v45, vcc_lo, v41, v40, v41
	s_delay_alu instid0(VALU_DEP_2) | instskip(SKIP_1) | instid1(TRANS32_DEP_1)
	v_rcp_f32_e32 v43, v42
	v_nop
	v_fma_f32 v44, -v42, v43, 1.0
	s_delay_alu instid0(VALU_DEP_1) | instskip(NEXT) | instid1(VALU_DEP_1)
	v_fmac_f32_e32 v43, v44, v43
	v_mul_f32_e32 v44, v45, v43
	s_delay_alu instid0(VALU_DEP_1) | instskip(NEXT) | instid1(VALU_DEP_1)
	v_fma_f32 v54, -v42, v44, v45
	v_fmac_f32_e32 v44, v54, v43
	s_delay_alu instid0(VALU_DEP_1) | instskip(NEXT) | instid1(VALU_DEP_1)
	v_fma_f32 v42, -v42, v44, v45
	v_div_fmas_f32 v42, v42, v43, v44
	s_delay_alu instid0(VALU_DEP_1) | instskip(NEXT) | instid1(VALU_DEP_1)
	v_div_fixup_f32 v43, v42, v40, v41
	v_fmac_f32_e32 v40, v41, v43
	s_delay_alu instid0(VALU_DEP_1) | instskip(NEXT) | instid1(VALU_DEP_1)
	v_div_scale_f32 v41, null, v40, v40, 1.0
	v_rcp_f32_e32 v42, v41
	v_nop
	s_delay_alu instid0(TRANS32_DEP_1) | instskip(NEXT) | instid1(VALU_DEP_1)
	v_fma_f32 v44, -v41, v42, 1.0
	v_fmac_f32_e32 v42, v44, v42
	v_div_scale_f32 v44, vcc_lo, 1.0, v40, 1.0
	s_delay_alu instid0(VALU_DEP_1) | instskip(NEXT) | instid1(VALU_DEP_1)
	v_mul_f32_e32 v45, v44, v42
	v_fma_f32 v54, -v41, v45, v44
	s_delay_alu instid0(VALU_DEP_1) | instskip(NEXT) | instid1(VALU_DEP_1)
	v_fmac_f32_e32 v45, v54, v42
	v_fma_f32 v41, -v41, v45, v44
	s_delay_alu instid0(VALU_DEP_1) | instskip(NEXT) | instid1(VALU_DEP_1)
	v_div_fmas_f32 v41, v41, v42, v45
	v_div_fixup_f32 v42, v41, v40, 1.0
	s_delay_alu instid0(VALU_DEP_1)
	v_mul_f32_e64 v43, v43, -v42
.LBB97_385:
	s_or_b32 exec_lo, exec_lo, s1
	ds_store_b64 v79, v[42:43]
.LBB97_386:
	s_or_b32 exec_lo, exec_lo, s2
	s_wait_dscnt 0x0
	s_barrier_signal -1
	s_barrier_wait -1
	ds_load_b64 v[40:41], v79
	s_mov_b32 s1, exec_lo
	v_cmpx_lt_u32_e32 42, v78
	s_cbranch_execz .LBB97_388
; %bb.387:
	s_wait_dscnt 0x0
	v_pk_mul_f32 v[42:43], v[40:41], v[190:191] op_sel:[1,1] op_sel_hi:[0,1]
	s_delay_alu instid0(VALU_DEP_1)
	v_pk_fma_f32 v[54:55], v[40:41], v[190:191], v[42:43] op_sel_hi:[1,0,1] neg_lo:[0,0,1] neg_hi:[0,0,1]
	v_pk_fma_f32 v[56:57], v[40:41], v[190:191], v[42:43] op_sel_hi:[1,0,1]
	ds_load_2addr_b64 v[42:45], v80 offset0:43 offset1:44
	v_dual_mov_b32 v190, v54 :: v_dual_mov_b32 v191, v57
	s_wait_dscnt 0x0
	v_pk_mul_f32 v[58:59], v[42:43], v[56:57] op_sel:[0,1]
	s_delay_alu instid0(VALU_DEP_1) | instskip(SKIP_1) | instid1(VALU_DEP_1)
	v_pk_fma_f32 v[60:61], v[42:43], v[54:55], v[58:59] op_sel:[0,0,1] op_sel_hi:[1,1,0] neg_lo:[0,0,1] neg_hi:[0,0,1]
	v_pk_fma_f32 v[42:43], v[42:43], v[54:55], v[58:59] op_sel:[0,0,1] op_sel_hi:[1,0,0]
	v_mov_b32_e32 v61, v43
	v_pk_mul_f32 v[42:43], v[44:45], v[56:57] op_sel:[0,1]
	s_delay_alu instid0(VALU_DEP_1) | instskip(SKIP_1) | instid1(VALU_DEP_1)
	v_pk_fma_f32 v[58:59], v[44:45], v[54:55], v[42:43] op_sel:[0,0,1] op_sel_hi:[1,1,0] neg_lo:[0,0,1] neg_hi:[0,0,1]
	v_pk_fma_f32 v[42:43], v[44:45], v[54:55], v[42:43] op_sel:[0,0,1] op_sel_hi:[1,0,0]
	v_mov_b32_e32 v59, v43
	ds_load_2addr_b64 v[42:45], v80 offset0:45 offset1:46
	v_pk_add_f32 v[182:183], v[182:183], v[60:61] neg_lo:[0,1] neg_hi:[0,1]
	v_pk_add_f32 v[188:189], v[188:189], v[58:59] neg_lo:[0,1] neg_hi:[0,1]
	s_wait_dscnt 0x0
	v_pk_mul_f32 v[58:59], v[42:43], v[56:57] op_sel:[0,1]
	s_delay_alu instid0(VALU_DEP_1) | instskip(SKIP_2) | instid1(VALU_DEP_2)
	v_pk_fma_f32 v[60:61], v[42:43], v[54:55], v[58:59] op_sel:[0,0,1] op_sel_hi:[1,1,0] neg_lo:[0,0,1] neg_hi:[0,0,1]
	v_pk_fma_f32 v[42:43], v[42:43], v[54:55], v[58:59] op_sel:[0,0,1] op_sel_hi:[1,0,0]
	v_dual_mul_f32 v58, v45, v57 :: v_dual_mov_b32 v42, v45
	v_dual_mov_b32 v61, v43 :: v_dual_mov_b32 v43, v44
	s_delay_alu instid0(VALU_DEP_2) | instskip(SKIP_1) | instid1(VALU_DEP_3)
	v_pk_fma_f32 v[58:59], v[44:45], v[190:191], v[58:59] op_sel_hi:[1,1,0] neg_lo:[0,0,1] neg_hi:[0,0,1]
	v_mul_f32_e32 v44, v45, v54
	v_pk_add_f32 v[180:181], v[180:181], v[60:61] neg_lo:[0,1] neg_hi:[0,1]
	s_delay_alu instid0(VALU_DEP_2) | instskip(NEXT) | instid1(VALU_DEP_1)
	v_pk_fma_f32 v[42:43], v[42:43], v[190:191], v[44:45] op_sel_hi:[1,1,0]
	v_mov_b32_e32 v59, v43
	ds_load_2addr_b64 v[42:45], v80 offset0:47 offset1:48
	v_pk_add_f32 v[186:187], v[186:187], v[58:59] neg_lo:[0,1] neg_hi:[0,1]
	s_wait_dscnt 0x0
	v_pk_mul_f32 v[58:59], v[42:43], v[56:57] op_sel:[0,1]
	v_mul_f32_e32 v56, v45, v57
	s_delay_alu instid0(VALU_DEP_2) | instskip(SKIP_2) | instid1(VALU_DEP_4)
	v_pk_fma_f32 v[60:61], v[42:43], v[54:55], v[58:59] op_sel:[0,0,1] op_sel_hi:[1,1,0] neg_lo:[0,0,1] neg_hi:[0,0,1]
	v_pk_fma_f32 v[42:43], v[42:43], v[54:55], v[58:59] op_sel:[0,0,1] op_sel_hi:[1,0,0]
	v_mov_b32_e32 v42, v45
	v_pk_fma_f32 v[56:57], v[44:45], v[190:191], v[56:57] op_sel_hi:[1,1,0] neg_lo:[0,0,1] neg_hi:[0,0,1]
	s_delay_alu instid0(VALU_DEP_3) | instskip(SKIP_1) | instid1(VALU_DEP_2)
	v_dual_mov_b32 v61, v43 :: v_dual_mov_b32 v43, v44
	v_mul_f32_e32 v44, v45, v54
	v_pk_add_f32 v[194:195], v[194:195], v[60:61] neg_lo:[0,1] neg_hi:[0,1]
	s_delay_alu instid0(VALU_DEP_2) | instskip(NEXT) | instid1(VALU_DEP_1)
	v_pk_fma_f32 v[42:43], v[42:43], v[190:191], v[44:45] op_sel_hi:[1,1,0]
	v_mov_b32_e32 v57, v43
	s_delay_alu instid0(VALU_DEP_1)
	v_pk_add_f32 v[196:197], v[196:197], v[56:57] neg_lo:[0,1] neg_hi:[0,1]
.LBB97_388:
	s_or_b32 exec_lo, exec_lo, s1
	s_delay_alu instid0(SALU_CYCLE_1)
	s_mov_b32 s2, exec_lo
	s_wait_dscnt 0x0
	s_barrier_signal -1
	s_barrier_wait -1
	v_cmpx_eq_u32_e32 43, v78
	s_cbranch_execz .LBB97_395
; %bb.389:
	v_dual_mov_b32 v42, v188 :: v_dual_mov_b32 v43, v189
	v_dual_mov_b32 v44, v180 :: v_dual_mov_b32 v45, v181
	ds_store_b64 v79, v[182:183]
	ds_store_2addr_b64 v80, v[42:43], v[44:45] offset0:44 offset1:45
	v_dual_mov_b32 v42, v186 :: v_dual_mov_b32 v43, v187
	v_dual_mov_b32 v44, v194 :: v_dual_mov_b32 v45, v195
	ds_store_2addr_b64 v80, v[42:43], v[44:45] offset0:46 offset1:47
	ds_store_b64 v80, v[196:197] offset:384
	ds_load_b64 v[42:43], v79
	s_wait_dscnt 0x0
	v_cmp_neq_f32_e32 vcc_lo, 0, v42
	v_cmp_neq_f32_e64 s1, 0, v43
	s_or_b32 s1, vcc_lo, s1
	s_delay_alu instid0(SALU_CYCLE_1)
	s_and_b32 exec_lo, exec_lo, s1
	s_cbranch_execz .LBB97_395
; %bb.390:
	v_cmp_ngt_f32_e64 s1, |v42|, |v43|
                                        ; implicit-def: $vgpr44_vgpr45
	s_and_saveexec_b32 s4, s1
	s_delay_alu instid0(SALU_CYCLE_1)
	s_xor_b32 s1, exec_lo, s4
	s_cbranch_execz .LBB97_392
; %bb.391:
	v_div_scale_f32 v44, null, v43, v43, v42
	v_div_scale_f32 v55, vcc_lo, v42, v43, v42
	s_delay_alu instid0(VALU_DEP_2) | instskip(SKIP_1) | instid1(TRANS32_DEP_1)
	v_rcp_f32_e32 v45, v44
	v_nop
	v_fma_f32 v54, -v44, v45, 1.0
	s_delay_alu instid0(VALU_DEP_1) | instskip(NEXT) | instid1(VALU_DEP_1)
	v_fmac_f32_e32 v45, v54, v45
	v_mul_f32_e32 v54, v55, v45
	s_delay_alu instid0(VALU_DEP_1) | instskip(NEXT) | instid1(VALU_DEP_1)
	v_fma_f32 v56, -v44, v54, v55
	v_fmac_f32_e32 v54, v56, v45
	s_delay_alu instid0(VALU_DEP_1) | instskip(NEXT) | instid1(VALU_DEP_1)
	v_fma_f32 v44, -v44, v54, v55
	v_div_fmas_f32 v44, v44, v45, v54
	s_delay_alu instid0(VALU_DEP_1) | instskip(NEXT) | instid1(VALU_DEP_1)
	v_div_fixup_f32 v44, v44, v43, v42
	v_fmac_f32_e32 v43, v42, v44
	s_delay_alu instid0(VALU_DEP_1) | instskip(SKIP_1) | instid1(VALU_DEP_2)
	v_div_scale_f32 v42, null, v43, v43, 1.0
	v_div_scale_f32 v55, vcc_lo, 1.0, v43, 1.0
	v_rcp_f32_e32 v45, v42
	v_nop
	s_delay_alu instid0(TRANS32_DEP_1) | instskip(NEXT) | instid1(VALU_DEP_1)
	v_fma_f32 v54, -v42, v45, 1.0
	v_fmac_f32_e32 v45, v54, v45
	s_delay_alu instid0(VALU_DEP_1) | instskip(NEXT) | instid1(VALU_DEP_1)
	v_mul_f32_e32 v54, v55, v45
	v_fma_f32 v56, -v42, v54, v55
	s_delay_alu instid0(VALU_DEP_1) | instskip(NEXT) | instid1(VALU_DEP_1)
	v_fmac_f32_e32 v54, v56, v45
	v_fma_f32 v42, -v42, v54, v55
	s_delay_alu instid0(VALU_DEP_1) | instskip(NEXT) | instid1(VALU_DEP_1)
	v_div_fmas_f32 v42, v42, v45, v54
	v_div_fixup_f32 v42, v42, v43, 1.0
	s_delay_alu instid0(VALU_DEP_1)
	v_mul_f32_e32 v44, v44, v42
	v_xor_b32_e32 v45, 0x80000000, v42
                                        ; implicit-def: $vgpr42_vgpr43
.LBB97_392:
	s_and_not1_saveexec_b32 s1, s1
	s_cbranch_execz .LBB97_394
; %bb.393:
	v_div_scale_f32 v44, null, v42, v42, v43
	v_div_scale_f32 v55, vcc_lo, v43, v42, v43
	s_delay_alu instid0(VALU_DEP_2) | instskip(SKIP_1) | instid1(TRANS32_DEP_1)
	v_rcp_f32_e32 v45, v44
	v_nop
	v_fma_f32 v54, -v44, v45, 1.0
	s_delay_alu instid0(VALU_DEP_1) | instskip(NEXT) | instid1(VALU_DEP_1)
	v_fmac_f32_e32 v45, v54, v45
	v_mul_f32_e32 v54, v55, v45
	s_delay_alu instid0(VALU_DEP_1) | instskip(NEXT) | instid1(VALU_DEP_1)
	v_fma_f32 v56, -v44, v54, v55
	v_fmac_f32_e32 v54, v56, v45
	s_delay_alu instid0(VALU_DEP_1) | instskip(NEXT) | instid1(VALU_DEP_1)
	v_fma_f32 v44, -v44, v54, v55
	v_div_fmas_f32 v44, v44, v45, v54
	s_delay_alu instid0(VALU_DEP_1) | instskip(NEXT) | instid1(VALU_DEP_1)
	v_div_fixup_f32 v45, v44, v42, v43
	v_fmac_f32_e32 v42, v43, v45
	s_delay_alu instid0(VALU_DEP_1) | instskip(NEXT) | instid1(VALU_DEP_1)
	v_div_scale_f32 v43, null, v42, v42, 1.0
	v_rcp_f32_e32 v44, v43
	v_nop
	s_delay_alu instid0(TRANS32_DEP_1) | instskip(NEXT) | instid1(VALU_DEP_1)
	v_fma_f32 v54, -v43, v44, 1.0
	v_fmac_f32_e32 v44, v54, v44
	v_div_scale_f32 v54, vcc_lo, 1.0, v42, 1.0
	s_delay_alu instid0(VALU_DEP_1) | instskip(NEXT) | instid1(VALU_DEP_1)
	v_mul_f32_e32 v55, v54, v44
	v_fma_f32 v56, -v43, v55, v54
	s_delay_alu instid0(VALU_DEP_1) | instskip(NEXT) | instid1(VALU_DEP_1)
	v_fmac_f32_e32 v55, v56, v44
	v_fma_f32 v43, -v43, v55, v54
	s_delay_alu instid0(VALU_DEP_1) | instskip(NEXT) | instid1(VALU_DEP_1)
	v_div_fmas_f32 v43, v43, v44, v55
	v_div_fixup_f32 v44, v43, v42, 1.0
	s_delay_alu instid0(VALU_DEP_1)
	v_mul_f32_e64 v45, v45, -v44
.LBB97_394:
	s_or_b32 exec_lo, exec_lo, s1
	ds_store_b64 v79, v[44:45]
.LBB97_395:
	s_or_b32 exec_lo, exec_lo, s2
	s_wait_dscnt 0x0
	s_barrier_signal -1
	s_barrier_wait -1
	ds_load_b64 v[42:43], v79
	s_mov_b32 s1, exec_lo
	v_cmpx_lt_u32_e32 43, v78
	s_cbranch_execz .LBB97_397
; %bb.396:
	ds_load_2addr_b64 v[54:57], v80 offset0:44 offset1:45
	s_wait_dscnt 0x1
	v_pk_mul_f32 v[44:45], v[42:43], v[182:183] op_sel:[1,1] op_sel_hi:[0,1]
	s_delay_alu instid0(VALU_DEP_1) | instskip(SKIP_1) | instid1(VALU_DEP_1)
	v_pk_fma_f32 v[58:59], v[42:43], v[182:183], v[44:45] op_sel_hi:[1,0,1] neg_lo:[0,0,1] neg_hi:[0,0,1]
	v_pk_fma_f32 v[44:45], v[42:43], v[182:183], v[44:45] op_sel_hi:[1,0,1]
	v_dual_mov_b32 v182, v58 :: v_dual_mov_b32 v183, v45
	s_wait_dscnt 0x0
	s_delay_alu instid0(VALU_DEP_2) | instskip(NEXT) | instid1(VALU_DEP_1)
	v_pk_mul_f32 v[60:61], v[54:55], v[44:45] op_sel:[0,1]
	v_pk_fma_f32 v[82:83], v[54:55], v[58:59], v[60:61] op_sel:[0,0,1] op_sel_hi:[1,1,0] neg_lo:[0,0,1] neg_hi:[0,0,1]
	v_pk_fma_f32 v[54:55], v[54:55], v[58:59], v[60:61] op_sel:[0,0,1] op_sel_hi:[1,0,0]
	s_delay_alu instid0(VALU_DEP_1) | instskip(SKIP_1) | instid1(VALU_DEP_1)
	v_mov_b32_e32 v83, v55
	v_pk_mul_f32 v[54:55], v[56:57], v[44:45] op_sel:[0,1]
	v_pk_fma_f32 v[60:61], v[56:57], v[58:59], v[54:55] op_sel:[0,0,1] op_sel_hi:[1,1,0] neg_lo:[0,0,1] neg_hi:[0,0,1]
	v_pk_fma_f32 v[54:55], v[56:57], v[58:59], v[54:55] op_sel:[0,0,1] op_sel_hi:[1,0,0]
	s_delay_alu instid0(VALU_DEP_1)
	v_mov_b32_e32 v61, v55
	ds_load_2addr_b64 v[54:57], v80 offset0:46 offset1:47
	v_pk_add_f32 v[188:189], v[188:189], v[82:83] neg_lo:[0,1] neg_hi:[0,1]
	v_pk_add_f32 v[180:181], v[180:181], v[60:61] neg_lo:[0,1] neg_hi:[0,1]
	s_wait_dscnt 0x0
	v_pk_mul_f32 v[60:61], v[54:55], v[44:45] op_sel:[0,1]
	s_delay_alu instid0(VALU_DEP_1) | instskip(SKIP_2) | instid1(VALU_DEP_2)
	v_pk_fma_f32 v[82:83], v[54:55], v[58:59], v[60:61] op_sel:[0,0,1] op_sel_hi:[1,1,0] neg_lo:[0,0,1] neg_hi:[0,0,1]
	v_pk_fma_f32 v[54:55], v[54:55], v[58:59], v[60:61] op_sel:[0,0,1] op_sel_hi:[1,0,0]
	v_dual_mul_f32 v60, v57, v45 :: v_dual_mov_b32 v54, v57
	v_dual_mov_b32 v83, v55 :: v_dual_mov_b32 v55, v56
	s_delay_alu instid0(VALU_DEP_2) | instskip(SKIP_1) | instid1(VALU_DEP_3)
	v_pk_fma_f32 v[60:61], v[56:57], v[182:183], v[60:61] op_sel_hi:[1,1,0] neg_lo:[0,0,1] neg_hi:[0,0,1]
	v_mul_f32_e32 v56, v57, v58
	v_pk_add_f32 v[186:187], v[186:187], v[82:83] neg_lo:[0,1] neg_hi:[0,1]
	s_delay_alu instid0(VALU_DEP_2) | instskip(NEXT) | instid1(VALU_DEP_1)
	v_pk_fma_f32 v[54:55], v[54:55], v[182:183], v[56:57] op_sel_hi:[1,1,0]
	v_mov_b32_e32 v61, v55
	ds_load_b64 v[54:55], v80 offset:384
	v_pk_add_f32 v[194:195], v[194:195], v[60:61] neg_lo:[0,1] neg_hi:[0,1]
	s_wait_dscnt 0x0
	v_pk_mul_f32 v[44:45], v[54:55], v[44:45] op_sel:[0,1]
	s_delay_alu instid0(VALU_DEP_1) | instskip(SKIP_1) | instid1(VALU_DEP_1)
	v_pk_fma_f32 v[56:57], v[54:55], v[58:59], v[44:45] op_sel:[0,0,1] op_sel_hi:[1,1,0] neg_lo:[0,0,1] neg_hi:[0,0,1]
	v_pk_fma_f32 v[44:45], v[54:55], v[58:59], v[44:45] op_sel:[0,0,1] op_sel_hi:[1,0,0]
	v_mov_b32_e32 v57, v45
	s_delay_alu instid0(VALU_DEP_1)
	v_pk_add_f32 v[196:197], v[196:197], v[56:57] neg_lo:[0,1] neg_hi:[0,1]
.LBB97_397:
	s_or_b32 exec_lo, exec_lo, s1
	s_delay_alu instid0(SALU_CYCLE_1)
	s_mov_b32 s2, exec_lo
	s_wait_dscnt 0x0
	s_barrier_signal -1
	s_barrier_wait -1
	v_cmpx_eq_u32_e32 44, v78
	s_cbranch_execz .LBB97_404
; %bb.398:
	ds_store_b64 v79, v[188:189]
	ds_store_2addr_b64 v80, v[180:181], v[186:187] offset0:45 offset1:46
	ds_store_2addr_b64 v80, v[194:195], v[196:197] offset0:47 offset1:48
	ds_load_b64 v[44:45], v79
	s_wait_dscnt 0x0
	v_cmp_neq_f32_e32 vcc_lo, 0, v44
	v_cmp_neq_f32_e64 s1, 0, v45
	s_or_b32 s1, vcc_lo, s1
	s_delay_alu instid0(SALU_CYCLE_1)
	s_and_b32 exec_lo, exec_lo, s1
	s_cbranch_execz .LBB97_404
; %bb.399:
	v_cmp_ngt_f32_e64 s1, |v44|, |v45|
                                        ; implicit-def: $vgpr54_vgpr55
	s_and_saveexec_b32 s4, s1
	s_delay_alu instid0(SALU_CYCLE_1)
	s_xor_b32 s1, exec_lo, s4
	s_cbranch_execz .LBB97_401
; %bb.400:
	v_div_scale_f32 v54, null, v45, v45, v44
	v_div_scale_f32 v57, vcc_lo, v44, v45, v44
	s_delay_alu instid0(VALU_DEP_2) | instskip(SKIP_1) | instid1(TRANS32_DEP_1)
	v_rcp_f32_e32 v55, v54
	v_nop
	v_fma_f32 v56, -v54, v55, 1.0
	s_delay_alu instid0(VALU_DEP_1) | instskip(NEXT) | instid1(VALU_DEP_1)
	v_fmac_f32_e32 v55, v56, v55
	v_mul_f32_e32 v56, v57, v55
	s_delay_alu instid0(VALU_DEP_1) | instskip(NEXT) | instid1(VALU_DEP_1)
	v_fma_f32 v58, -v54, v56, v57
	v_fmac_f32_e32 v56, v58, v55
	s_delay_alu instid0(VALU_DEP_1) | instskip(NEXT) | instid1(VALU_DEP_1)
	v_fma_f32 v54, -v54, v56, v57
	v_div_fmas_f32 v54, v54, v55, v56
	s_delay_alu instid0(VALU_DEP_1) | instskip(NEXT) | instid1(VALU_DEP_1)
	v_div_fixup_f32 v54, v54, v45, v44
	v_fmac_f32_e32 v45, v44, v54
	s_delay_alu instid0(VALU_DEP_1) | instskip(SKIP_1) | instid1(VALU_DEP_2)
	v_div_scale_f32 v44, null, v45, v45, 1.0
	v_div_scale_f32 v57, vcc_lo, 1.0, v45, 1.0
	v_rcp_f32_e32 v55, v44
	v_nop
	s_delay_alu instid0(TRANS32_DEP_1) | instskip(NEXT) | instid1(VALU_DEP_1)
	v_fma_f32 v56, -v44, v55, 1.0
	v_fmac_f32_e32 v55, v56, v55
	s_delay_alu instid0(VALU_DEP_1) | instskip(NEXT) | instid1(VALU_DEP_1)
	v_mul_f32_e32 v56, v57, v55
	v_fma_f32 v58, -v44, v56, v57
	s_delay_alu instid0(VALU_DEP_1) | instskip(NEXT) | instid1(VALU_DEP_1)
	v_fmac_f32_e32 v56, v58, v55
	v_fma_f32 v44, -v44, v56, v57
	s_delay_alu instid0(VALU_DEP_1) | instskip(NEXT) | instid1(VALU_DEP_1)
	v_div_fmas_f32 v44, v44, v55, v56
	v_div_fixup_f32 v44, v44, v45, 1.0
	s_delay_alu instid0(VALU_DEP_1)
	v_mul_f32_e32 v54, v54, v44
	v_xor_b32_e32 v55, 0x80000000, v44
                                        ; implicit-def: $vgpr44_vgpr45
.LBB97_401:
	s_and_not1_saveexec_b32 s1, s1
	s_cbranch_execz .LBB97_403
; %bb.402:
	v_div_scale_f32 v54, null, v44, v44, v45
	v_div_scale_f32 v57, vcc_lo, v45, v44, v45
	s_delay_alu instid0(VALU_DEP_2) | instskip(SKIP_1) | instid1(TRANS32_DEP_1)
	v_rcp_f32_e32 v55, v54
	v_nop
	v_fma_f32 v56, -v54, v55, 1.0
	s_delay_alu instid0(VALU_DEP_1) | instskip(NEXT) | instid1(VALU_DEP_1)
	v_fmac_f32_e32 v55, v56, v55
	v_mul_f32_e32 v56, v57, v55
	s_delay_alu instid0(VALU_DEP_1) | instskip(NEXT) | instid1(VALU_DEP_1)
	v_fma_f32 v58, -v54, v56, v57
	v_fmac_f32_e32 v56, v58, v55
	s_delay_alu instid0(VALU_DEP_1) | instskip(NEXT) | instid1(VALU_DEP_1)
	v_fma_f32 v54, -v54, v56, v57
	v_div_fmas_f32 v54, v54, v55, v56
	s_delay_alu instid0(VALU_DEP_1) | instskip(NEXT) | instid1(VALU_DEP_1)
	v_div_fixup_f32 v55, v54, v44, v45
	v_fmac_f32_e32 v44, v45, v55
	s_delay_alu instid0(VALU_DEP_1) | instskip(NEXT) | instid1(VALU_DEP_1)
	v_div_scale_f32 v45, null, v44, v44, 1.0
	v_rcp_f32_e32 v54, v45
	v_nop
	s_delay_alu instid0(TRANS32_DEP_1) | instskip(NEXT) | instid1(VALU_DEP_1)
	v_fma_f32 v56, -v45, v54, 1.0
	v_fmac_f32_e32 v54, v56, v54
	v_div_scale_f32 v56, vcc_lo, 1.0, v44, 1.0
	s_delay_alu instid0(VALU_DEP_1) | instskip(NEXT) | instid1(VALU_DEP_1)
	v_mul_f32_e32 v57, v56, v54
	v_fma_f32 v58, -v45, v57, v56
	s_delay_alu instid0(VALU_DEP_1) | instskip(NEXT) | instid1(VALU_DEP_1)
	v_fmac_f32_e32 v57, v58, v54
	v_fma_f32 v45, -v45, v57, v56
	s_delay_alu instid0(VALU_DEP_1) | instskip(NEXT) | instid1(VALU_DEP_1)
	v_div_fmas_f32 v45, v45, v54, v57
	v_div_fixup_f32 v54, v45, v44, 1.0
	s_delay_alu instid0(VALU_DEP_1)
	v_mul_f32_e64 v55, v55, -v54
.LBB97_403:
	s_or_b32 exec_lo, exec_lo, s1
	ds_store_b64 v79, v[54:55]
.LBB97_404:
	s_or_b32 exec_lo, exec_lo, s2
	s_wait_dscnt 0x0
	s_barrier_signal -1
	s_barrier_wait -1
	ds_load_b64 v[54:55], v79
	s_mov_b32 s1, exec_lo
	v_cmpx_lt_u32_e32 44, v78
	s_cbranch_execz .LBB97_406
; %bb.405:
	ds_load_2addr_b64 v[56:59], v80 offset0:45 offset1:46
	s_wait_dscnt 0x1
	v_pk_mul_f32 v[44:45], v[54:55], v[188:189] op_sel:[1,1] op_sel_hi:[0,1]
	s_delay_alu instid0(VALU_DEP_1) | instskip(SKIP_1) | instid1(VALU_DEP_1)
	v_pk_fma_f32 v[60:61], v[54:55], v[188:189], v[44:45] op_sel_hi:[1,0,1] neg_lo:[0,0,1] neg_hi:[0,0,1]
	v_pk_fma_f32 v[44:45], v[54:55], v[188:189], v[44:45] op_sel_hi:[1,0,1]
	v_dual_mov_b32 v188, v60 :: v_dual_mov_b32 v189, v45
	s_wait_dscnt 0x0
	s_delay_alu instid0(VALU_DEP_2) | instskip(NEXT) | instid1(VALU_DEP_1)
	v_pk_mul_f32 v[82:83], v[56:57], v[44:45] op_sel:[0,1]
	v_pk_fma_f32 v[84:85], v[56:57], v[60:61], v[82:83] op_sel:[0,0,1] op_sel_hi:[1,1,0] neg_lo:[0,0,1] neg_hi:[0,0,1]
	v_pk_fma_f32 v[56:57], v[56:57], v[60:61], v[82:83] op_sel:[0,0,1] op_sel_hi:[1,0,0]
	s_delay_alu instid0(VALU_DEP_1) | instskip(SKIP_1) | instid1(VALU_DEP_1)
	v_mov_b32_e32 v85, v57
	v_pk_mul_f32 v[56:57], v[58:59], v[44:45] op_sel:[0,1]
	v_pk_fma_f32 v[82:83], v[58:59], v[60:61], v[56:57] op_sel:[0,0,1] op_sel_hi:[1,1,0] neg_lo:[0,0,1] neg_hi:[0,0,1]
	v_pk_fma_f32 v[56:57], v[58:59], v[60:61], v[56:57] op_sel:[0,0,1] op_sel_hi:[1,0,0]
	s_delay_alu instid0(VALU_DEP_1)
	v_mov_b32_e32 v83, v57
	ds_load_2addr_b64 v[56:59], v80 offset0:47 offset1:48
	v_pk_add_f32 v[180:181], v[180:181], v[84:85] neg_lo:[0,1] neg_hi:[0,1]
	v_pk_add_f32 v[186:187], v[186:187], v[82:83] neg_lo:[0,1] neg_hi:[0,1]
	s_wait_dscnt 0x0
	v_pk_mul_f32 v[82:83], v[56:57], v[44:45] op_sel:[0,1]
	s_delay_alu instid0(VALU_DEP_1) | instskip(SKIP_1) | instid1(VALU_DEP_1)
	v_pk_fma_f32 v[84:85], v[56:57], v[60:61], v[82:83] op_sel:[0,0,1] op_sel_hi:[1,1,0] neg_lo:[0,0,1] neg_hi:[0,0,1]
	v_pk_fma_f32 v[56:57], v[56:57], v[60:61], v[82:83] op_sel:[0,0,1] op_sel_hi:[1,0,0]
	v_dual_mov_b32 v56, v59 :: v_dual_mov_b32 v85, v57
	v_mov_b32_e32 v57, v58
	s_delay_alu instid0(VALU_DEP_2) | instskip(NEXT) | instid1(VALU_DEP_2)
	v_pk_add_f32 v[194:195], v[194:195], v[84:85] neg_lo:[0,1] neg_hi:[0,1]
	v_pk_mul_f32 v[44:45], v[56:57], v[44:45] op_sel:[0,1]
	s_delay_alu instid0(VALU_DEP_1) | instskip(SKIP_1) | instid1(VALU_DEP_1)
	v_pk_fma_f32 v[56:57], v[58:59], v[60:61], v[44:45] neg_lo:[0,0,1] neg_hi:[0,0,1]
	v_pk_fma_f32 v[44:45], v[58:59], v[60:61], v[44:45] op_sel_hi:[1,0,1]
	v_mov_b32_e32 v57, v45
	s_delay_alu instid0(VALU_DEP_1)
	v_pk_add_f32 v[196:197], v[196:197], v[56:57] neg_lo:[0,1] neg_hi:[0,1]
.LBB97_406:
	s_or_b32 exec_lo, exec_lo, s1
	s_delay_alu instid0(SALU_CYCLE_1)
	s_mov_b32 s2, exec_lo
	s_wait_dscnt 0x0
	s_barrier_signal -1
	s_barrier_wait -1
	v_cmpx_eq_u32_e32 45, v78
	s_cbranch_execz .LBB97_413
; %bb.407:
	v_dual_mov_b32 v44, v186 :: v_dual_mov_b32 v45, v187
	v_dual_mov_b32 v56, v194 :: v_dual_mov_b32 v57, v195
	ds_store_b64 v79, v[180:181]
	ds_store_2addr_b64 v80, v[44:45], v[56:57] offset0:46 offset1:47
	ds_store_b64 v80, v[196:197] offset:384
	ds_load_b64 v[44:45], v79
	s_wait_dscnt 0x0
	v_cmp_neq_f32_e32 vcc_lo, 0, v44
	v_cmp_neq_f32_e64 s1, 0, v45
	s_or_b32 s1, vcc_lo, s1
	s_delay_alu instid0(SALU_CYCLE_1)
	s_and_b32 exec_lo, exec_lo, s1
	s_cbranch_execz .LBB97_413
; %bb.408:
	v_cmp_ngt_f32_e64 s1, |v44|, |v45|
                                        ; implicit-def: $vgpr56_vgpr57
	s_and_saveexec_b32 s4, s1
	s_delay_alu instid0(SALU_CYCLE_1)
	s_xor_b32 s1, exec_lo, s4
	s_cbranch_execz .LBB97_410
; %bb.409:
	v_div_scale_f32 v56, null, v45, v45, v44
	v_div_scale_f32 v59, vcc_lo, v44, v45, v44
	s_delay_alu instid0(VALU_DEP_2) | instskip(SKIP_1) | instid1(TRANS32_DEP_1)
	v_rcp_f32_e32 v57, v56
	v_nop
	v_fma_f32 v58, -v56, v57, 1.0
	s_delay_alu instid0(VALU_DEP_1) | instskip(NEXT) | instid1(VALU_DEP_1)
	v_fmac_f32_e32 v57, v58, v57
	v_mul_f32_e32 v58, v59, v57
	s_delay_alu instid0(VALU_DEP_1) | instskip(NEXT) | instid1(VALU_DEP_1)
	v_fma_f32 v60, -v56, v58, v59
	v_fmac_f32_e32 v58, v60, v57
	s_delay_alu instid0(VALU_DEP_1) | instskip(NEXT) | instid1(VALU_DEP_1)
	v_fma_f32 v56, -v56, v58, v59
	v_div_fmas_f32 v56, v56, v57, v58
	s_delay_alu instid0(VALU_DEP_1) | instskip(NEXT) | instid1(VALU_DEP_1)
	v_div_fixup_f32 v56, v56, v45, v44
	v_fmac_f32_e32 v45, v44, v56
	s_delay_alu instid0(VALU_DEP_1) | instskip(SKIP_1) | instid1(VALU_DEP_2)
	v_div_scale_f32 v44, null, v45, v45, 1.0
	v_div_scale_f32 v59, vcc_lo, 1.0, v45, 1.0
	v_rcp_f32_e32 v57, v44
	v_nop
	s_delay_alu instid0(TRANS32_DEP_1) | instskip(NEXT) | instid1(VALU_DEP_1)
	v_fma_f32 v58, -v44, v57, 1.0
	v_fmac_f32_e32 v57, v58, v57
	s_delay_alu instid0(VALU_DEP_1) | instskip(NEXT) | instid1(VALU_DEP_1)
	v_mul_f32_e32 v58, v59, v57
	v_fma_f32 v60, -v44, v58, v59
	s_delay_alu instid0(VALU_DEP_1) | instskip(NEXT) | instid1(VALU_DEP_1)
	v_fmac_f32_e32 v58, v60, v57
	v_fma_f32 v44, -v44, v58, v59
	s_delay_alu instid0(VALU_DEP_1) | instskip(NEXT) | instid1(VALU_DEP_1)
	v_div_fmas_f32 v44, v44, v57, v58
	v_div_fixup_f32 v44, v44, v45, 1.0
	s_delay_alu instid0(VALU_DEP_1)
	v_mul_f32_e32 v56, v56, v44
	v_xor_b32_e32 v57, 0x80000000, v44
                                        ; implicit-def: $vgpr44_vgpr45
.LBB97_410:
	s_and_not1_saveexec_b32 s1, s1
	s_cbranch_execz .LBB97_412
; %bb.411:
	v_div_scale_f32 v56, null, v44, v44, v45
	v_div_scale_f32 v59, vcc_lo, v45, v44, v45
	s_delay_alu instid0(VALU_DEP_2) | instskip(SKIP_1) | instid1(TRANS32_DEP_1)
	v_rcp_f32_e32 v57, v56
	v_nop
	v_fma_f32 v58, -v56, v57, 1.0
	s_delay_alu instid0(VALU_DEP_1) | instskip(NEXT) | instid1(VALU_DEP_1)
	v_fmac_f32_e32 v57, v58, v57
	v_mul_f32_e32 v58, v59, v57
	s_delay_alu instid0(VALU_DEP_1) | instskip(NEXT) | instid1(VALU_DEP_1)
	v_fma_f32 v60, -v56, v58, v59
	v_fmac_f32_e32 v58, v60, v57
	s_delay_alu instid0(VALU_DEP_1) | instskip(NEXT) | instid1(VALU_DEP_1)
	v_fma_f32 v56, -v56, v58, v59
	v_div_fmas_f32 v56, v56, v57, v58
	s_delay_alu instid0(VALU_DEP_1) | instskip(NEXT) | instid1(VALU_DEP_1)
	v_div_fixup_f32 v57, v56, v44, v45
	v_fmac_f32_e32 v44, v45, v57
	s_delay_alu instid0(VALU_DEP_1) | instskip(NEXT) | instid1(VALU_DEP_1)
	v_div_scale_f32 v45, null, v44, v44, 1.0
	v_rcp_f32_e32 v56, v45
	v_nop
	s_delay_alu instid0(TRANS32_DEP_1) | instskip(NEXT) | instid1(VALU_DEP_1)
	v_fma_f32 v58, -v45, v56, 1.0
	v_fmac_f32_e32 v56, v58, v56
	v_div_scale_f32 v58, vcc_lo, 1.0, v44, 1.0
	s_delay_alu instid0(VALU_DEP_1) | instskip(NEXT) | instid1(VALU_DEP_1)
	v_mul_f32_e32 v59, v58, v56
	v_fma_f32 v60, -v45, v59, v58
	s_delay_alu instid0(VALU_DEP_1) | instskip(NEXT) | instid1(VALU_DEP_1)
	v_fmac_f32_e32 v59, v60, v56
	v_fma_f32 v45, -v45, v59, v58
	s_delay_alu instid0(VALU_DEP_1) | instskip(NEXT) | instid1(VALU_DEP_1)
	v_div_fmas_f32 v45, v45, v56, v59
	v_div_fixup_f32 v56, v45, v44, 1.0
	s_delay_alu instid0(VALU_DEP_1)
	v_mul_f32_e64 v57, v57, -v56
.LBB97_412:
	s_or_b32 exec_lo, exec_lo, s1
	ds_store_b64 v79, v[56:57]
.LBB97_413:
	s_or_b32 exec_lo, exec_lo, s2
	s_wait_dscnt 0x0
	s_barrier_signal -1
	s_barrier_wait -1
	ds_load_b64 v[56:57], v79
	s_mov_b32 s1, exec_lo
	v_cmpx_lt_u32_e32 45, v78
	s_cbranch_execz .LBB97_415
; %bb.414:
	ds_load_2addr_b64 v[58:61], v80 offset0:46 offset1:47
	s_wait_dscnt 0x1
	v_pk_mul_f32 v[44:45], v[56:57], v[180:181] op_sel:[1,1] op_sel_hi:[0,1]
	s_delay_alu instid0(VALU_DEP_1) | instskip(SKIP_1) | instid1(VALU_DEP_1)
	v_pk_fma_f32 v[82:83], v[56:57], v[180:181], v[44:45] op_sel_hi:[1,0,1] neg_lo:[0,0,1] neg_hi:[0,0,1]
	v_pk_fma_f32 v[44:45], v[56:57], v[180:181], v[44:45] op_sel_hi:[1,0,1]
	v_dual_mov_b32 v180, v82 :: v_dual_mov_b32 v181, v45
	s_wait_dscnt 0x0
	s_delay_alu instid0(VALU_DEP_2) | instskip(NEXT) | instid1(VALU_DEP_1)
	v_pk_mul_f32 v[84:85], v[58:59], v[44:45] op_sel:[0,1]
	v_pk_fma_f32 v[96:97], v[58:59], v[82:83], v[84:85] op_sel:[0,0,1] op_sel_hi:[1,1,0] neg_lo:[0,0,1] neg_hi:[0,0,1]
	v_pk_fma_f32 v[58:59], v[58:59], v[82:83], v[84:85] op_sel:[0,0,1] op_sel_hi:[1,0,0]
	s_delay_alu instid0(VALU_DEP_1) | instskip(SKIP_1) | instid1(VALU_DEP_1)
	v_mov_b32_e32 v97, v59
	v_pk_mul_f32 v[58:59], v[60:61], v[44:45] op_sel:[0,1]
	v_pk_fma_f32 v[84:85], v[60:61], v[82:83], v[58:59] op_sel:[0,0,1] op_sel_hi:[1,1,0] neg_lo:[0,0,1] neg_hi:[0,0,1]
	v_pk_fma_f32 v[58:59], v[60:61], v[82:83], v[58:59] op_sel:[0,0,1] op_sel_hi:[1,0,0]
	s_delay_alu instid0(VALU_DEP_1)
	v_mov_b32_e32 v85, v59
	ds_load_b64 v[58:59], v80 offset:384
	v_pk_add_f32 v[186:187], v[186:187], v[96:97] neg_lo:[0,1] neg_hi:[0,1]
	v_pk_add_f32 v[194:195], v[194:195], v[84:85] neg_lo:[0,1] neg_hi:[0,1]
	s_wait_dscnt 0x0
	v_pk_mul_f32 v[44:45], v[58:59], v[44:45] op_sel:[1,1] op_sel_hi:[0,1]
	s_delay_alu instid0(VALU_DEP_1) | instskip(SKIP_1) | instid1(VALU_DEP_1)
	v_pk_fma_f32 v[60:61], v[58:59], v[82:83], v[44:45] neg_lo:[0,0,1] neg_hi:[0,0,1]
	v_pk_fma_f32 v[44:45], v[58:59], v[82:83], v[44:45] op_sel_hi:[1,0,1]
	v_mov_b32_e32 v61, v45
	s_delay_alu instid0(VALU_DEP_1)
	v_pk_add_f32 v[196:197], v[196:197], v[60:61] neg_lo:[0,1] neg_hi:[0,1]
.LBB97_415:
	s_or_b32 exec_lo, exec_lo, s1
	s_delay_alu instid0(SALU_CYCLE_1)
	s_mov_b32 s2, exec_lo
	s_wait_dscnt 0x0
	s_barrier_signal -1
	s_barrier_wait -1
	v_cmpx_eq_u32_e32 46, v78
	s_cbranch_execz .LBB97_422
; %bb.416:
	ds_store_b64 v79, v[186:187]
	ds_store_2addr_b64 v80, v[194:195], v[196:197] offset0:47 offset1:48
	ds_load_b64 v[44:45], v79
	s_wait_dscnt 0x0
	v_cmp_neq_f32_e32 vcc_lo, 0, v44
	v_cmp_neq_f32_e64 s1, 0, v45
	s_or_b32 s1, vcc_lo, s1
	s_delay_alu instid0(SALU_CYCLE_1)
	s_and_b32 exec_lo, exec_lo, s1
	s_cbranch_execz .LBB97_422
; %bb.417:
	v_cmp_ngt_f32_e64 s1, |v44|, |v45|
                                        ; implicit-def: $vgpr58_vgpr59
	s_and_saveexec_b32 s4, s1
	s_delay_alu instid0(SALU_CYCLE_1)
	s_xor_b32 s1, exec_lo, s4
	s_cbranch_execz .LBB97_419
; %bb.418:
	v_div_scale_f32 v58, null, v45, v45, v44
	v_div_scale_f32 v61, vcc_lo, v44, v45, v44
	s_delay_alu instid0(VALU_DEP_2) | instskip(SKIP_1) | instid1(TRANS32_DEP_1)
	v_rcp_f32_e32 v59, v58
	v_nop
	v_fma_f32 v60, -v58, v59, 1.0
	s_delay_alu instid0(VALU_DEP_1) | instskip(NEXT) | instid1(VALU_DEP_1)
	v_fmac_f32_e32 v59, v60, v59
	v_mul_f32_e32 v60, v61, v59
	s_delay_alu instid0(VALU_DEP_1) | instskip(NEXT) | instid1(VALU_DEP_1)
	v_fma_f32 v81, -v58, v60, v61
	v_fmac_f32_e32 v60, v81, v59
	s_delay_alu instid0(VALU_DEP_1) | instskip(NEXT) | instid1(VALU_DEP_1)
	v_fma_f32 v58, -v58, v60, v61
	v_div_fmas_f32 v58, v58, v59, v60
	s_delay_alu instid0(VALU_DEP_1) | instskip(NEXT) | instid1(VALU_DEP_1)
	v_div_fixup_f32 v58, v58, v45, v44
	v_fmac_f32_e32 v45, v44, v58
	s_delay_alu instid0(VALU_DEP_1) | instskip(SKIP_1) | instid1(VALU_DEP_2)
	v_div_scale_f32 v44, null, v45, v45, 1.0
	v_div_scale_f32 v61, vcc_lo, 1.0, v45, 1.0
	v_rcp_f32_e32 v59, v44
	v_nop
	s_delay_alu instid0(TRANS32_DEP_1) | instskip(NEXT) | instid1(VALU_DEP_1)
	v_fma_f32 v60, -v44, v59, 1.0
	v_fmac_f32_e32 v59, v60, v59
	s_delay_alu instid0(VALU_DEP_1) | instskip(NEXT) | instid1(VALU_DEP_1)
	v_mul_f32_e32 v60, v61, v59
	v_fma_f32 v81, -v44, v60, v61
	s_delay_alu instid0(VALU_DEP_1) | instskip(NEXT) | instid1(VALU_DEP_1)
	v_fmac_f32_e32 v60, v81, v59
	v_fma_f32 v44, -v44, v60, v61
	s_delay_alu instid0(VALU_DEP_1) | instskip(NEXT) | instid1(VALU_DEP_1)
	v_div_fmas_f32 v44, v44, v59, v60
	v_div_fixup_f32 v44, v44, v45, 1.0
	s_delay_alu instid0(VALU_DEP_1)
	v_mul_f32_e32 v58, v58, v44
	v_xor_b32_e32 v59, 0x80000000, v44
                                        ; implicit-def: $vgpr44_vgpr45
.LBB97_419:
	s_and_not1_saveexec_b32 s1, s1
	s_cbranch_execz .LBB97_421
; %bb.420:
	v_div_scale_f32 v58, null, v44, v44, v45
	v_div_scale_f32 v61, vcc_lo, v45, v44, v45
	s_delay_alu instid0(VALU_DEP_2) | instskip(SKIP_1) | instid1(TRANS32_DEP_1)
	v_rcp_f32_e32 v59, v58
	v_nop
	v_fma_f32 v60, -v58, v59, 1.0
	s_delay_alu instid0(VALU_DEP_1) | instskip(NEXT) | instid1(VALU_DEP_1)
	v_fmac_f32_e32 v59, v60, v59
	v_mul_f32_e32 v60, v61, v59
	s_delay_alu instid0(VALU_DEP_1) | instskip(NEXT) | instid1(VALU_DEP_1)
	v_fma_f32 v81, -v58, v60, v61
	v_fmac_f32_e32 v60, v81, v59
	s_delay_alu instid0(VALU_DEP_1) | instskip(NEXT) | instid1(VALU_DEP_1)
	v_fma_f32 v58, -v58, v60, v61
	v_div_fmas_f32 v58, v58, v59, v60
	s_delay_alu instid0(VALU_DEP_1) | instskip(NEXT) | instid1(VALU_DEP_1)
	v_div_fixup_f32 v59, v58, v44, v45
	v_fmac_f32_e32 v44, v45, v59
	s_delay_alu instid0(VALU_DEP_1) | instskip(NEXT) | instid1(VALU_DEP_1)
	v_div_scale_f32 v45, null, v44, v44, 1.0
	v_rcp_f32_e32 v58, v45
	v_nop
	s_delay_alu instid0(TRANS32_DEP_1) | instskip(NEXT) | instid1(VALU_DEP_1)
	v_fma_f32 v60, -v45, v58, 1.0
	v_fmac_f32_e32 v58, v60, v58
	v_div_scale_f32 v60, vcc_lo, 1.0, v44, 1.0
	s_delay_alu instid0(VALU_DEP_1) | instskip(NEXT) | instid1(VALU_DEP_1)
	v_mul_f32_e32 v61, v60, v58
	v_fma_f32 v81, -v45, v61, v60
	s_delay_alu instid0(VALU_DEP_1) | instskip(NEXT) | instid1(VALU_DEP_1)
	v_fmac_f32_e32 v61, v81, v58
	v_fma_f32 v45, -v45, v61, v60
	s_delay_alu instid0(VALU_DEP_1) | instskip(NEXT) | instid1(VALU_DEP_1)
	v_div_fmas_f32 v45, v45, v58, v61
	v_div_fixup_f32 v58, v45, v44, 1.0
	s_delay_alu instid0(VALU_DEP_1)
	v_mul_f32_e64 v59, v59, -v58
.LBB97_421:
	s_or_b32 exec_lo, exec_lo, s1
	ds_store_b64 v79, v[58:59]
.LBB97_422:
	s_or_b32 exec_lo, exec_lo, s2
	s_wait_dscnt 0x0
	s_barrier_signal -1
	s_barrier_wait -1
	ds_load_b64 v[58:59], v79
	s_mov_b32 s1, exec_lo
	v_cmpx_lt_u32_e32 46, v78
	s_cbranch_execz .LBB97_424
; %bb.423:
	ds_load_2addr_b64 v[82:85], v80 offset0:47 offset1:48
	s_wait_dscnt 0x1
	v_pk_mul_f32 v[44:45], v[58:59], v[186:187] op_sel:[1,1] op_sel_hi:[0,1]
	v_mov_b64_e32 v[0:1], v[68:69]
	v_mov_b64_e32 v[68:69], v[98:99]
	;; [unrolled: 1-line block ×4, first 2 shown]
	v_pk_fma_f32 v[60:61], v[58:59], v[186:187], v[44:45] op_sel_hi:[1,0,1] neg_lo:[0,0,1] neg_hi:[0,0,1]
	v_pk_fma_f32 v[44:45], v[58:59], v[186:187], v[44:45] op_sel_hi:[1,0,1]
	v_mov_b64_e32 v[252:253], v[250:251]
	v_mov_b64_e32 v[250:251], v[248:249]
	;; [unrolled: 1-line block ×12, first 2 shown]
	s_wait_dscnt 0x0
	v_pk_mul_f32 v[96:97], v[82:83], v[44:45] op_sel:[0,1]
	v_mov_b64_e32 v[230:231], v[228:229]
	v_mov_b64_e32 v[228:229], v[226:227]
	;; [unrolled: 1-line block ×40, first 2 shown]
	v_pk_fma_f32 v[100:101], v[82:83], v[60:61], v[96:97] op_sel:[0,0,1] op_sel_hi:[1,1,0] neg_lo:[0,0,1] neg_hi:[0,0,1]
	v_pk_fma_f32 v[82:83], v[82:83], v[60:61], v[96:97] op_sel:[0,0,1] op_sel_hi:[1,0,0]
	v_dual_mov_b32 v82, v85 :: v_dual_mov_b32 v186, v60
	s_delay_alu instid0(VALU_DEP_2) | instskip(SKIP_1) | instid1(VALU_DEP_2)
	v_dual_mov_b32 v187, v45 :: v_dual_mov_b32 v101, v83
	v_mov_b32_e32 v83, v84
	v_pk_add_f32 v[194:195], v[194:195], v[100:101] neg_lo:[0,1] neg_hi:[0,1]
	s_delay_alu instid0(VALU_DEP_2)
	v_pk_mul_f32 v[44:45], v[82:83], v[44:45] op_sel:[0,1]
	v_mov_b64_e32 v[100:101], v[102:103]
	v_mov_b64_e32 v[102:103], v[104:105]
	;; [unrolled: 1-line block ×4, first 2 shown]
	v_pk_fma_f32 v[82:83], v[84:85], v[60:61], v[44:45] neg_lo:[0,0,1] neg_hi:[0,0,1]
	v_pk_fma_f32 v[44:45], v[84:85], v[60:61], v[44:45] op_sel_hi:[1,0,1]
	v_mov_b64_e32 v[116:117], v[118:119]
	v_mov_b64_e32 v[118:119], v[120:121]
	;; [unrolled: 1-line block ×4, first 2 shown]
	v_mov_b32_e32 v83, v45
	v_mov_b64_e32 v[132:133], v[134:135]
	v_mov_b64_e32 v[134:135], v[136:137]
	v_mov_b64_e32 v[136:137], v[146:147]
	v_mov_b64_e32 v[146:147], v[148:149]
	v_mov_b64_e32 v[148:149], v[150:151]
	v_mov_b64_e32 v[150:151], v[152:153]
	v_mov_b64_e32 v[152:153], v[154:155]
	v_mov_b64_e32 v[154:155], v[156:157]
	v_mov_b64_e32 v[156:157], v[158:159]
	v_mov_b64_e32 v[158:159], v[170:171]
	v_mov_b64_e32 v[170:171], v[172:173]
	v_mov_b64_e32 v[172:173], v[174:175]
	v_mov_b64_e32 v[174:175], v[176:177]
	v_mov_b64_e32 v[176:177], v[178:179]
	v_mov_b64_e32 v[178:179], v[198:199]
	v_mov_b64_e32 v[198:199], v[200:201]
	v_mov_b64_e32 v[200:201], v[202:203]
	v_mov_b64_e32 v[202:203], v[204:205]
	v_mov_b64_e32 v[204:205], v[206:207]
	v_mov_b64_e32 v[206:207], v[208:209]
	v_mov_b64_e32 v[208:209], v[16:17]
	v_mov_b64_e32 v[16:17], v[210:211]
	v_mov_b64_e32 v[210:211], v[212:213]
	v_mov_b64_e32 v[212:213], v[214:215]
	v_mov_b64_e32 v[214:215], v[216:217]
	v_mov_b64_e32 v[216:217], v[218:219]
	v_mov_b64_e32 v[218:219], v[220:221]
	v_mov_b64_e32 v[220:221], v[222:223]
	v_mov_b64_e32 v[222:223], v[224:225]
	v_mov_b64_e32 v[224:225], v[226:227]
	v_mov_b64_e32 v[226:227], v[228:229]
	v_mov_b64_e32 v[228:229], v[230:231]
	v_mov_b64_e32 v[230:231], v[232:233]
	v_mov_b64_e32 v[232:233], v[234:235]
	v_mov_b64_e32 v[234:235], v[168:169]
	v_mov_b64_e32 v[168:169], v[236:237]
	v_mov_b64_e32 v[236:237], v[238:239]
	v_mov_b64_e32 v[238:239], v[240:241]
	v_mov_b64_e32 v[240:241], v[242:243]
	v_mov_b64_e32 v[242:243], v[244:245]
	v_mov_b64_e32 v[244:245], v[246:247]
	v_mov_b64_e32 v[246:247], v[248:249]
	v_mov_b64_e32 v[248:249], v[250:251]
	v_mov_b64_e32 v[250:251], v[252:253]
	v_mov_b64_e32 v[252:253], v[254:255]
	v_mov_b64_e32 v[254:255], v[98:99]
	v_mov_b64_e32 v[98:99], v[68:69]
	v_mov_b64_e32 v[68:69], v[0:1]
	v_pk_add_f32 v[196:197], v[196:197], v[82:83] neg_lo:[0,1] neg_hi:[0,1]
.LBB97_424:
	s_or_b32 exec_lo, exec_lo, s1
	s_delay_alu instid0(SALU_CYCLE_1)
	s_mov_b32 s2, exec_lo
	s_wait_dscnt 0x0
	s_barrier_signal -1
	s_barrier_wait -1
	v_cmpx_eq_u32_e32 47, v78
	s_cbranch_execz .LBB97_431
; %bb.425:
	ds_store_b64 v79, v[194:195]
	ds_store_b64 v80, v[196:197] offset:384
	ds_load_b64 v[44:45], v79
	s_wait_dscnt 0x0
	v_cmp_neq_f32_e32 vcc_lo, 0, v44
	v_cmp_neq_f32_e64 s1, 0, v45
	s_or_b32 s1, vcc_lo, s1
	s_delay_alu instid0(SALU_CYCLE_1)
	s_and_b32 exec_lo, exec_lo, s1
	s_cbranch_execz .LBB97_431
; %bb.426:
	v_cmp_ngt_f32_e64 s1, |v44|, |v45|
                                        ; implicit-def: $vgpr60_vgpr61
	s_and_saveexec_b32 s4, s1
	s_delay_alu instid0(SALU_CYCLE_1)
	s_xor_b32 s1, exec_lo, s4
	s_cbranch_execz .LBB97_428
; %bb.427:
	v_div_scale_f32 v60, null, v45, v45, v44
	v_div_scale_f32 v82, vcc_lo, v44, v45, v44
	s_delay_alu instid0(VALU_DEP_2) | instskip(SKIP_1) | instid1(TRANS32_DEP_1)
	v_rcp_f32_e32 v61, v60
	v_nop
	v_fma_f32 v81, -v60, v61, 1.0
	s_delay_alu instid0(VALU_DEP_1) | instskip(NEXT) | instid1(VALU_DEP_1)
	v_fmac_f32_e32 v61, v81, v61
	v_mul_f32_e32 v81, v82, v61
	s_delay_alu instid0(VALU_DEP_1) | instskip(NEXT) | instid1(VALU_DEP_1)
	v_fma_f32 v83, -v60, v81, v82
	v_fmac_f32_e32 v81, v83, v61
	s_delay_alu instid0(VALU_DEP_1) | instskip(NEXT) | instid1(VALU_DEP_1)
	v_fma_f32 v60, -v60, v81, v82
	v_div_fmas_f32 v60, v60, v61, v81
	s_delay_alu instid0(VALU_DEP_1) | instskip(NEXT) | instid1(VALU_DEP_1)
	v_div_fixup_f32 v60, v60, v45, v44
	v_fmac_f32_e32 v45, v44, v60
	s_delay_alu instid0(VALU_DEP_1) | instskip(SKIP_1) | instid1(VALU_DEP_2)
	v_div_scale_f32 v44, null, v45, v45, 1.0
	v_div_scale_f32 v82, vcc_lo, 1.0, v45, 1.0
	v_rcp_f32_e32 v61, v44
	v_nop
	s_delay_alu instid0(TRANS32_DEP_1) | instskip(NEXT) | instid1(VALU_DEP_1)
	v_fma_f32 v81, -v44, v61, 1.0
	v_fmac_f32_e32 v61, v81, v61
	s_delay_alu instid0(VALU_DEP_1) | instskip(NEXT) | instid1(VALU_DEP_1)
	v_mul_f32_e32 v81, v82, v61
	v_fma_f32 v83, -v44, v81, v82
	s_delay_alu instid0(VALU_DEP_1) | instskip(NEXT) | instid1(VALU_DEP_1)
	v_fmac_f32_e32 v81, v83, v61
	v_fma_f32 v44, -v44, v81, v82
	s_delay_alu instid0(VALU_DEP_1) | instskip(NEXT) | instid1(VALU_DEP_1)
	v_div_fmas_f32 v44, v44, v61, v81
	v_div_fixup_f32 v44, v44, v45, 1.0
	s_delay_alu instid0(VALU_DEP_1)
	v_mul_f32_e32 v60, v60, v44
	v_xor_b32_e32 v61, 0x80000000, v44
                                        ; implicit-def: $vgpr44_vgpr45
.LBB97_428:
	s_and_not1_saveexec_b32 s1, s1
	s_cbranch_execz .LBB97_430
; %bb.429:
	v_div_scale_f32 v60, null, v44, v44, v45
	v_div_scale_f32 v82, vcc_lo, v45, v44, v45
	s_delay_alu instid0(VALU_DEP_2) | instskip(SKIP_1) | instid1(TRANS32_DEP_1)
	v_rcp_f32_e32 v61, v60
	v_nop
	v_fma_f32 v81, -v60, v61, 1.0
	s_delay_alu instid0(VALU_DEP_1) | instskip(NEXT) | instid1(VALU_DEP_1)
	v_fmac_f32_e32 v61, v81, v61
	v_mul_f32_e32 v81, v82, v61
	s_delay_alu instid0(VALU_DEP_1) | instskip(NEXT) | instid1(VALU_DEP_1)
	v_fma_f32 v83, -v60, v81, v82
	v_fmac_f32_e32 v81, v83, v61
	s_delay_alu instid0(VALU_DEP_1) | instskip(NEXT) | instid1(VALU_DEP_1)
	v_fma_f32 v60, -v60, v81, v82
	v_div_fmas_f32 v60, v60, v61, v81
	s_delay_alu instid0(VALU_DEP_1) | instskip(NEXT) | instid1(VALU_DEP_1)
	v_div_fixup_f32 v61, v60, v44, v45
	v_fmac_f32_e32 v44, v45, v61
	s_delay_alu instid0(VALU_DEP_1) | instskip(NEXT) | instid1(VALU_DEP_1)
	v_div_scale_f32 v45, null, v44, v44, 1.0
	v_rcp_f32_e32 v60, v45
	v_nop
	s_delay_alu instid0(TRANS32_DEP_1) | instskip(NEXT) | instid1(VALU_DEP_1)
	v_fma_f32 v81, -v45, v60, 1.0
	v_fmac_f32_e32 v60, v81, v60
	v_div_scale_f32 v81, vcc_lo, 1.0, v44, 1.0
	s_delay_alu instid0(VALU_DEP_1) | instskip(NEXT) | instid1(VALU_DEP_1)
	v_mul_f32_e32 v82, v81, v60
	v_fma_f32 v83, -v45, v82, v81
	s_delay_alu instid0(VALU_DEP_1) | instskip(NEXT) | instid1(VALU_DEP_1)
	v_fmac_f32_e32 v82, v83, v60
	v_fma_f32 v45, -v45, v82, v81
	s_delay_alu instid0(VALU_DEP_1) | instskip(NEXT) | instid1(VALU_DEP_1)
	v_div_fmas_f32 v45, v45, v60, v82
	v_div_fixup_f32 v60, v45, v44, 1.0
	s_delay_alu instid0(VALU_DEP_1)
	v_mul_f32_e64 v61, v61, -v60
.LBB97_430:
	s_or_b32 exec_lo, exec_lo, s1
	ds_store_b64 v79, v[60:61]
.LBB97_431:
	s_or_b32 exec_lo, exec_lo, s2
	s_wait_dscnt 0x0
	s_barrier_signal -1
	s_barrier_wait -1
	ds_load_b64 v[60:61], v79
	s_mov_b32 s1, exec_lo
	v_cmpx_lt_u32_e32 47, v78
	s_cbranch_execz .LBB97_433
; %bb.432:
	ds_load_b64 v[44:45], v80 offset:384
	s_wait_dscnt 0x1
	v_pk_mul_f32 v[80:81], v[60:61], v[194:195] op_sel:[1,1] op_sel_hi:[0,1]
	s_delay_alu instid0(VALU_DEP_1) | instskip(SKIP_2) | instid1(VALU_DEP_2)
	v_pk_fma_f32 v[82:83], v[60:61], v[194:195], v[80:81] op_sel_hi:[1,0,1]
	v_pk_fma_f32 v[194:195], v[60:61], v[194:195], v[80:81] op_sel_hi:[1,0,1] neg_lo:[0,0,1] neg_hi:[0,0,1]
	s_wait_dscnt 0x0
	v_pk_mul_f32 v[80:81], v[44:45], v[82:83] op_sel:[1,1] op_sel_hi:[0,1]
	s_delay_alu instid0(VALU_DEP_1) | instskip(SKIP_1) | instid1(VALU_DEP_2)
	v_pk_fma_f32 v[84:85], v[44:45], v[194:195], v[80:81] op_sel_hi:[1,0,1]
	v_pk_fma_f32 v[44:45], v[44:45], v[194:195], v[80:81] neg_lo:[0,0,1] neg_hi:[0,0,1]
	v_dual_mov_b32 v195, v83 :: v_dual_mov_b32 v45, v85
	s_delay_alu instid0(VALU_DEP_1)
	v_pk_add_f32 v[196:197], v[196:197], v[44:45] neg_lo:[0,1] neg_hi:[0,1]
.LBB97_433:
	s_or_b32 exec_lo, exec_lo, s1
	s_delay_alu instid0(SALU_CYCLE_1)
	s_mov_b32 s2, exec_lo
	s_wait_dscnt 0x0
	s_barrier_signal -1
	s_barrier_wait -1
	v_cmpx_eq_u32_e32 48, v78
	s_cbranch_execz .LBB97_440
; %bb.434:
	v_cmp_neq_f32_e32 vcc_lo, 0, v196
	v_cmp_neq_f32_e64 s1, 0, v197
	ds_store_b64 v79, v[196:197]
	s_or_b32 s1, vcc_lo, s1
	s_delay_alu instid0(SALU_CYCLE_1)
	s_and_b32 exec_lo, exec_lo, s1
	s_cbranch_execz .LBB97_440
; %bb.435:
	v_cmp_ngt_f32_e64 s1, |v196|, |v197|
                                        ; implicit-def: $vgpr44_vgpr45
	s_and_saveexec_b32 s4, s1
	s_delay_alu instid0(SALU_CYCLE_1)
	s_xor_b32 s1, exec_lo, s4
	s_cbranch_execz .LBB97_437
; %bb.436:
	v_div_scale_f32 v44, null, v197, v197, v196
	v_div_scale_f32 v81, vcc_lo, v196, v197, v196
	s_delay_alu instid0(VALU_DEP_2) | instskip(SKIP_1) | instid1(TRANS32_DEP_1)
	v_rcp_f32_e32 v45, v44
	v_nop
	v_fma_f32 v80, -v44, v45, 1.0
	s_delay_alu instid0(VALU_DEP_1) | instskip(NEXT) | instid1(VALU_DEP_1)
	v_fmac_f32_e32 v45, v80, v45
	v_mul_f32_e32 v80, v81, v45
	s_delay_alu instid0(VALU_DEP_1) | instskip(NEXT) | instid1(VALU_DEP_1)
	v_fma_f32 v82, -v44, v80, v81
	v_fmac_f32_e32 v80, v82, v45
	s_delay_alu instid0(VALU_DEP_1) | instskip(NEXT) | instid1(VALU_DEP_1)
	v_fma_f32 v44, -v44, v80, v81
	v_div_fmas_f32 v44, v44, v45, v80
	s_delay_alu instid0(VALU_DEP_1) | instskip(NEXT) | instid1(VALU_DEP_1)
	v_div_fixup_f32 v44, v44, v197, v196
	v_fma_f32 v45, v196, v44, v197
	s_delay_alu instid0(VALU_DEP_1) | instskip(SKIP_1) | instid1(VALU_DEP_2)
	v_div_scale_f32 v80, null, v45, v45, 1.0
	v_div_scale_f32 v83, vcc_lo, 1.0, v45, 1.0
	v_rcp_f32_e32 v81, v80
	v_nop
	s_delay_alu instid0(TRANS32_DEP_1) | instskip(NEXT) | instid1(VALU_DEP_1)
	v_fma_f32 v82, -v80, v81, 1.0
	v_fmac_f32_e32 v81, v82, v81
	s_delay_alu instid0(VALU_DEP_1) | instskip(NEXT) | instid1(VALU_DEP_1)
	v_mul_f32_e32 v82, v83, v81
	v_fma_f32 v84, -v80, v82, v83
	s_delay_alu instid0(VALU_DEP_1) | instskip(NEXT) | instid1(VALU_DEP_1)
	v_fmac_f32_e32 v82, v84, v81
	v_fma_f32 v80, -v80, v82, v83
	s_delay_alu instid0(VALU_DEP_1) | instskip(NEXT) | instid1(VALU_DEP_1)
	v_div_fmas_f32 v80, v80, v81, v82
	v_div_fixup_f32 v45, v80, v45, 1.0
	s_delay_alu instid0(VALU_DEP_1)
	v_mul_f32_e32 v44, v44, v45
	v_xor_b32_e32 v45, 0x80000000, v45
.LBB97_437:
	s_and_not1_saveexec_b32 s1, s1
	s_cbranch_execz .LBB97_439
; %bb.438:
	v_div_scale_f32 v44, null, v196, v196, v197
	v_div_scale_f32 v81, vcc_lo, v197, v196, v197
	s_delay_alu instid0(VALU_DEP_2) | instskip(SKIP_1) | instid1(TRANS32_DEP_1)
	v_rcp_f32_e32 v45, v44
	v_nop
	v_fma_f32 v80, -v44, v45, 1.0
	s_delay_alu instid0(VALU_DEP_1) | instskip(NEXT) | instid1(VALU_DEP_1)
	v_fmac_f32_e32 v45, v80, v45
	v_mul_f32_e32 v80, v81, v45
	s_delay_alu instid0(VALU_DEP_1) | instskip(NEXT) | instid1(VALU_DEP_1)
	v_fma_f32 v82, -v44, v80, v81
	v_fmac_f32_e32 v80, v82, v45
	s_delay_alu instid0(VALU_DEP_1) | instskip(NEXT) | instid1(VALU_DEP_1)
	v_fma_f32 v44, -v44, v80, v81
	v_div_fmas_f32 v44, v44, v45, v80
	s_delay_alu instid0(VALU_DEP_1) | instskip(NEXT) | instid1(VALU_DEP_1)
	v_div_fixup_f32 v45, v44, v196, v197
	v_fma_f32 v44, v197, v45, v196
	s_delay_alu instid0(VALU_DEP_1) | instskip(NEXT) | instid1(VALU_DEP_1)
	v_div_scale_f32 v80, null, v44, v44, 1.0
	v_rcp_f32_e32 v81, v80
	v_nop
	s_delay_alu instid0(TRANS32_DEP_1) | instskip(NEXT) | instid1(VALU_DEP_1)
	v_fma_f32 v82, -v80, v81, 1.0
	v_fmac_f32_e32 v81, v82, v81
	v_div_scale_f32 v82, vcc_lo, 1.0, v44, 1.0
	s_delay_alu instid0(VALU_DEP_1) | instskip(NEXT) | instid1(VALU_DEP_1)
	v_mul_f32_e32 v83, v82, v81
	v_fma_f32 v84, -v80, v83, v82
	s_delay_alu instid0(VALU_DEP_1) | instskip(NEXT) | instid1(VALU_DEP_1)
	v_fmac_f32_e32 v83, v84, v81
	v_fma_f32 v80, -v80, v83, v82
	s_delay_alu instid0(VALU_DEP_1) | instskip(NEXT) | instid1(VALU_DEP_1)
	v_div_fmas_f32 v80, v80, v81, v83
	v_div_fixup_f32 v44, v80, v44, 1.0
	s_delay_alu instid0(VALU_DEP_1)
	v_mul_f32_e64 v45, v45, -v44
.LBB97_439:
	s_or_b32 exec_lo, exec_lo, s1
	ds_store_b64 v79, v[44:45]
.LBB97_440:
	s_or_b32 exec_lo, exec_lo, s2
	s_wait_dscnt 0x0
	s_barrier_signal -1
	s_barrier_wait -1
	ds_load_b64 v[44:45], v79
	s_wait_dscnt 0x0
	s_barrier_signal -1
	s_barrier_wait -1
	s_and_saveexec_b32 s2, s0
	s_cbranch_execz .LBB97_443
; %bb.441:
	scratch_load_b64 v[0:1], off, off th:TH_LOAD_LU ; 8-byte Folded Reload
	v_cmp_eq_f32_e32 vcc_lo, 0, v248
	v_cmp_eq_f32_e64 s0, 0, v249
	s_and_b32 s1, vcc_lo, s0
	v_cmp_neq_f32_e32 vcc_lo, 0, v250
	v_cmp_neq_f32_e64 s0, 0, v251
	v_cndmask_b32_e64 v79, 0, 1, s1
	s_or_b32 s0, vcc_lo, s0
	s_delay_alu instid0(SALU_CYCLE_1) | instskip(SKIP_1) | instid1(VALU_DEP_2)
	s_or_b32 vcc_lo, s0, s1
	v_cmp_eq_f32_e64 s0, 0, v253
	v_cndmask_b32_e32 v79, 2, v79, vcc_lo
	v_cmp_eq_f32_e32 vcc_lo, 0, v252
	v_cmp_eq_f32_e64 s1, 0, v45
	s_and_b32 s0, vcc_lo, s0
	v_cmp_eq_u32_e32 vcc_lo, 0, v79
	s_and_b32 s0, s0, vcc_lo
	v_cmp_eq_f32_e32 vcc_lo, 0, v254
	v_cndmask_b32_e64 v79, v79, 3, s0
	v_cmp_eq_f32_e64 s0, 0, v255
	s_and_b32 s0, vcc_lo, s0
	v_cmp_eq_u32_e32 vcc_lo, 0, v79
	s_and_b32 s0, s0, vcc_lo
	s_delay_alu instid0(SALU_CYCLE_1)
	v_cndmask_b32_e64 v79, v79, 4, s0
	s_wait_loadcnt 0x0
	v_cmp_eq_f32_e32 vcc_lo, 0, v0
	v_cmp_eq_f32_e64 s0, 0, v1
	scratch_load_b64 v[0:1], off, off offset:8 th:TH_LOAD_LU ; 8-byte Folded Reload
	s_and_b32 s0, vcc_lo, s0
	v_cmp_eq_u32_e32 vcc_lo, 0, v79
	s_and_b32 s0, s0, vcc_lo
	s_delay_alu instid0(SALU_CYCLE_1)
	v_cndmask_b32_e64 v79, v79, 5, s0
	s_wait_loadcnt 0x0
	v_cmp_eq_f32_e32 vcc_lo, 0, v0
	v_cmp_eq_f32_e64 s0, 0, v1
	scratch_load_b64 v[0:1], off, off offset:16 th:TH_LOAD_LU ; 8-byte Folded Reload
	;; [unrolled: 9-line block ×25, first 2 shown]
	s_and_b32 s0, vcc_lo, s0
	v_cmp_eq_u32_e32 vcc_lo, 0, v79
	s_and_b32 s0, s0, vcc_lo
	s_delay_alu instid0(SALU_CYCLE_1)
	v_cndmask_b32_e64 v79, v79, 29, s0
	s_wait_loadcnt 0x0
	v_cmp_eq_f32_e32 vcc_lo, 0, v0
	v_cmp_eq_f32_e64 s0, 0, v1
	s_and_b32 s0, vcc_lo, s0
	v_cmp_eq_u32_e32 vcc_lo, 0, v79
	s_and_b32 s0, s0, vcc_lo
	v_cmp_eq_f32_e32 vcc_lo, 0, v2
	v_cndmask_b32_e64 v0, v79, 30, s0
	v_cmp_eq_f32_e64 s0, 0, v3
	s_and_b32 s0, vcc_lo, s0
	v_cmp_eq_u32_e32 vcc_lo, 0, v0
	s_and_b32 s0, s0, vcc_lo
	v_cmp_eq_f32_e32 vcc_lo, 0, v4
	v_cndmask_b32_e64 v0, v0, 31, s0
	;; [unrolled: 6-line block ×18, first 2 shown]
	v_cmp_eq_f32_e64 s0, 0, v61
	s_and_b32 s0, vcc_lo, s0
	v_cmp_eq_u32_e32 vcc_lo, 0, v0
	s_and_b32 s0, s0, vcc_lo
	s_delay_alu instid0(SALU_CYCLE_1) | instskip(SKIP_1) | instid1(VALU_DEP_2)
	v_cndmask_b32_e64 v0, v0, 48, s0
	v_cmp_eq_f32_e64 s0, 0, v44
	v_cmp_eq_u32_e32 vcc_lo, 0, v0
	s_and_b32 s0, s0, s1
	s_delay_alu instid0(SALU_CYCLE_1) | instskip(NEXT) | instid1(SALU_CYCLE_1)
	s_and_b32 s0, s0, vcc_lo
	v_cndmask_b32_e64 v2, v0, 49, s0
	v_lshl_add_u64 v[0:1], v[236:237], 2, s[6:7]
	s_delay_alu instid0(VALU_DEP_2) | instskip(SKIP_4) | instid1(SALU_CYCLE_1)
	v_cmp_ne_u32_e64 s0, 0, v2
	global_load_b32 v3, v[0:1], off
	s_wait_loadcnt 0x0
	v_cmp_eq_u32_e32 vcc_lo, 0, v3
	s_and_b32 s0, vcc_lo, s0
	s_and_b32 exec_lo, exec_lo, s0
	s_cbranch_execz .LBB97_443
; %bb.442:
	v_add_nc_u32_e32 v2, s3, v2
	global_store_b32 v[0:1], v2, off
.LBB97_443:
	s_wait_xcnt 0x0
	s_or_b32 exec_lo, exec_lo, s2
	v_pk_mul_f32 v[0:1], v[44:45], v[196:197] op_sel:[1,1] op_sel_hi:[0,1]
	v_cmp_lt_u32_e32 vcc_lo, 48, v78
	s_clause 0x4
	global_store_b64 v[16:17], v[98:99], off
	global_store_b64 v[146:147], v[68:69], off
	;; [unrolled: 1-line block ×5, first 2 shown]
	v_pk_fma_f32 v[2:3], v[44:45], v[196:197], v[0:1] op_sel_hi:[1,0,1]
	v_pk_fma_f32 v[0:1], v[44:45], v[196:197], v[0:1] neg_lo:[0,0,1] neg_hi:[0,0,1]
	s_delay_alu instid0(VALU_DEP_1)
	v_dual_cndmask_b32 v1, v197, v3 :: v_dual_cndmask_b32 v0, v196, v0
	s_clause 0x2b
	global_store_b64 v[100:101], v[62:63], off
	global_store_b64 v[102:103], v[22:23], off
	;; [unrolled: 1-line block ×44, first 2 shown]
.LBB97_444:
	s_sendmsg sendmsg(MSG_DEALLOC_VGPRS)
	s_endpgm
	.section	.rodata,"a",@progbits
	.p2align	6, 0x0
	.amdhsa_kernel _ZN9rocsolver6v33100L23getf2_npvt_small_kernelILi49E19rocblas_complex_numIfEiiPS3_EEvT1_T3_lS5_lPT2_S5_S5_
		.amdhsa_group_segment_fixed_size 0
		.amdhsa_private_segment_fixed_size 212
		.amdhsa_kernarg_size 312
		.amdhsa_user_sgpr_count 2
		.amdhsa_user_sgpr_dispatch_ptr 0
		.amdhsa_user_sgpr_queue_ptr 0
		.amdhsa_user_sgpr_kernarg_segment_ptr 1
		.amdhsa_user_sgpr_dispatch_id 0
		.amdhsa_user_sgpr_kernarg_preload_length 0
		.amdhsa_user_sgpr_kernarg_preload_offset 0
		.amdhsa_user_sgpr_private_segment_size 0
		.amdhsa_wavefront_size32 1
		.amdhsa_uses_dynamic_stack 0
		.amdhsa_enable_private_segment 1
		.amdhsa_system_sgpr_workgroup_id_x 1
		.amdhsa_system_sgpr_workgroup_id_y 1
		.amdhsa_system_sgpr_workgroup_id_z 0
		.amdhsa_system_sgpr_workgroup_info 0
		.amdhsa_system_vgpr_workitem_id 1
		.amdhsa_next_free_vgpr 256
		.amdhsa_next_free_sgpr 15
		.amdhsa_named_barrier_count 0
		.amdhsa_reserve_vcc 1
		.amdhsa_float_round_mode_32 0
		.amdhsa_float_round_mode_16_64 0
		.amdhsa_float_denorm_mode_32 3
		.amdhsa_float_denorm_mode_16_64 3
		.amdhsa_fp16_overflow 0
		.amdhsa_memory_ordered 1
		.amdhsa_forward_progress 1
		.amdhsa_inst_pref_size 255
		.amdhsa_round_robin_scheduling 0
		.amdhsa_exception_fp_ieee_invalid_op 0
		.amdhsa_exception_fp_denorm_src 0
		.amdhsa_exception_fp_ieee_div_zero 0
		.amdhsa_exception_fp_ieee_overflow 0
		.amdhsa_exception_fp_ieee_underflow 0
		.amdhsa_exception_fp_ieee_inexact 0
		.amdhsa_exception_int_div_zero 0
	.end_amdhsa_kernel
	.section	.text._ZN9rocsolver6v33100L23getf2_npvt_small_kernelILi49E19rocblas_complex_numIfEiiPS3_EEvT1_T3_lS5_lPT2_S5_S5_,"axG",@progbits,_ZN9rocsolver6v33100L23getf2_npvt_small_kernelILi49E19rocblas_complex_numIfEiiPS3_EEvT1_T3_lS5_lPT2_S5_S5_,comdat
.Lfunc_end97:
	.size	_ZN9rocsolver6v33100L23getf2_npvt_small_kernelILi49E19rocblas_complex_numIfEiiPS3_EEvT1_T3_lS5_lPT2_S5_S5_, .Lfunc_end97-_ZN9rocsolver6v33100L23getf2_npvt_small_kernelILi49E19rocblas_complex_numIfEiiPS3_EEvT1_T3_lS5_lPT2_S5_S5_
                                        ; -- End function
	.set _ZN9rocsolver6v33100L23getf2_npvt_small_kernelILi49E19rocblas_complex_numIfEiiPS3_EEvT1_T3_lS5_lPT2_S5_S5_.num_vgpr, 256
	.set _ZN9rocsolver6v33100L23getf2_npvt_small_kernelILi49E19rocblas_complex_numIfEiiPS3_EEvT1_T3_lS5_lPT2_S5_S5_.num_agpr, 0
	.set _ZN9rocsolver6v33100L23getf2_npvt_small_kernelILi49E19rocblas_complex_numIfEiiPS3_EEvT1_T3_lS5_lPT2_S5_S5_.numbered_sgpr, 15
	.set _ZN9rocsolver6v33100L23getf2_npvt_small_kernelILi49E19rocblas_complex_numIfEiiPS3_EEvT1_T3_lS5_lPT2_S5_S5_.num_named_barrier, 0
	.set _ZN9rocsolver6v33100L23getf2_npvt_small_kernelILi49E19rocblas_complex_numIfEiiPS3_EEvT1_T3_lS5_lPT2_S5_S5_.private_seg_size, 212
	.set _ZN9rocsolver6v33100L23getf2_npvt_small_kernelILi49E19rocblas_complex_numIfEiiPS3_EEvT1_T3_lS5_lPT2_S5_S5_.uses_vcc, 1
	.set _ZN9rocsolver6v33100L23getf2_npvt_small_kernelILi49E19rocblas_complex_numIfEiiPS3_EEvT1_T3_lS5_lPT2_S5_S5_.uses_flat_scratch, 0
	.set _ZN9rocsolver6v33100L23getf2_npvt_small_kernelILi49E19rocblas_complex_numIfEiiPS3_EEvT1_T3_lS5_lPT2_S5_S5_.has_dyn_sized_stack, 0
	.set _ZN9rocsolver6v33100L23getf2_npvt_small_kernelILi49E19rocblas_complex_numIfEiiPS3_EEvT1_T3_lS5_lPT2_S5_S5_.has_recursion, 0
	.set _ZN9rocsolver6v33100L23getf2_npvt_small_kernelILi49E19rocblas_complex_numIfEiiPS3_EEvT1_T3_lS5_lPT2_S5_S5_.has_indirect_call, 0
	.section	.AMDGPU.csdata,"",@progbits
; Kernel info:
; codeLenInByte = 102636
; TotalNumSgprs: 17
; NumVgprs: 256
; ScratchSize: 212
; MemoryBound: 0
; FloatMode: 240
; IeeeMode: 1
; LDSByteSize: 0 bytes/workgroup (compile time only)
; SGPRBlocks: 0
; VGPRBlocks: 15
; NumSGPRsForWavesPerEU: 17
; NumVGPRsForWavesPerEU: 256
; NamedBarCnt: 0
; Occupancy: 4
; WaveLimiterHint : 0
; COMPUTE_PGM_RSRC2:SCRATCH_EN: 1
; COMPUTE_PGM_RSRC2:USER_SGPR: 2
; COMPUTE_PGM_RSRC2:TRAP_HANDLER: 0
; COMPUTE_PGM_RSRC2:TGID_X_EN: 1
; COMPUTE_PGM_RSRC2:TGID_Y_EN: 1
; COMPUTE_PGM_RSRC2:TGID_Z_EN: 0
; COMPUTE_PGM_RSRC2:TIDIG_COMP_CNT: 1
	.section	.text._ZN9rocsolver6v33100L18getf2_small_kernelILi50E19rocblas_complex_numIfEiiPS3_EEvT1_T3_lS5_lPS5_llPT2_S5_S5_S7_l,"axG",@progbits,_ZN9rocsolver6v33100L18getf2_small_kernelILi50E19rocblas_complex_numIfEiiPS3_EEvT1_T3_lS5_lPS5_llPT2_S5_S5_S7_l,comdat
	.globl	_ZN9rocsolver6v33100L18getf2_small_kernelILi50E19rocblas_complex_numIfEiiPS3_EEvT1_T3_lS5_lPS5_llPT2_S5_S5_S7_l ; -- Begin function _ZN9rocsolver6v33100L18getf2_small_kernelILi50E19rocblas_complex_numIfEiiPS3_EEvT1_T3_lS5_lPS5_llPT2_S5_S5_S7_l
	.p2align	8
	.type	_ZN9rocsolver6v33100L18getf2_small_kernelILi50E19rocblas_complex_numIfEiiPS3_EEvT1_T3_lS5_lPS5_llPT2_S5_S5_S7_l,@function
_ZN9rocsolver6v33100L18getf2_small_kernelILi50E19rocblas_complex_numIfEiiPS3_EEvT1_T3_lS5_lPS5_llPT2_S5_S5_S7_l: ; @_ZN9rocsolver6v33100L18getf2_small_kernelILi50E19rocblas_complex_numIfEiiPS3_EEvT1_T3_lS5_lPS5_llPT2_S5_S5_S7_l
; %bb.0:
	s_clause 0x1
	s_load_u16 s2, s[0:1], 0x6e
	s_load_b64 s[16:17], s[0:1], 0x48
	s_bfe_u32 s3, ttmp6, 0x40010
	s_bfe_u32 s4, ttmp6, 0x40004
	s_add_co_i32 s3, s3, 1
	s_getreg_b32 s5, hwreg(HW_REG_IB_STS2, 6, 4)
	s_mul_i32 s3, ttmp7, s3
	v_bfe_u32 v108, v0, 10, 10
	s_add_co_i32 s4, s4, s3
	s_cmp_eq_u32 s5, 0
	s_cselect_b32 s3, ttmp7, s4
	s_wait_kmcnt 0x0
	v_mad_u32 v2, s3, s2, v108
	s_mov_b32 s2, exec_lo
	s_delay_alu instid0(VALU_DEP_1)
	v_cmpx_gt_i32_e64 s16, v2
	s_cbranch_execz .LBB98_1051
; %bb.1:
	s_load_b128 s[4:7], s[0:1], 0x50
	v_mov_b64_e32 v[4:5], 0
	v_ashrrev_i32_e32 v3, 31, v2
	s_wait_kmcnt 0x0
	s_cmp_eq_u64 s[4:5], 0
	s_cselect_b32 s16, -1, 0
	s_delay_alu instid0(SALU_CYCLE_1)
	s_and_b32 vcc_lo, exec_lo, s16
	s_cbranch_vccnz .LBB98_3
; %bb.2:
	v_mul_u64_e32 v[4:5], s[6:7], v[2:3]
	s_delay_alu instid0(VALU_DEP_1)
	v_lshl_add_u64 v[4:5], v[4:5], 2, s[4:5]
.LBB98_3:
	s_clause 0x2
	s_load_b32 s2, s[0:1], 0x18
	s_load_b128 s[12:15], s[0:1], 0x8
	s_load_b32 s18, s[0:1], 0x0
	v_and_b32_e32 v113, 0x3ff, v0
	s_load_b256 s[4:11], s[0:1], 0x20
	s_delay_alu instid0(VALU_DEP_1) | instskip(SKIP_4) | instid1(VALU_DEP_2)
	v_dual_mov_b32 v107, 0 :: v_dual_lshlrev_b32 v106, 3, v113
	s_wait_kmcnt 0x0
	v_add3_u32 v6, s2, s2, v113
	s_ashr_i32 s3, s2, 31
	v_mul_u64_e32 v[0:1], s[4:5], v[2:3]
	v_add_nc_u32_e32 v8, s2, v6
	s_max_i32 s4, s18, 50
	s_cmp_lt_i32 s18, 2
	s_delay_alu instid0(VALU_DEP_1) | instskip(NEXT) | instid1(VALU_DEP_1)
	v_add_nc_u32_e32 v10, s2, v8
	v_add_nc_u32_e32 v12, s2, v10
	s_delay_alu instid0(VALU_DEP_1) | instskip(NEXT) | instid1(VALU_DEP_1)
	v_add_nc_u32_e32 v14, s2, v12
	v_dual_ashrrev_i32 v9, 31, v8 :: v_dual_add_nc_u32 v16, s2, v14
	s_delay_alu instid0(VALU_DEP_1) | instskip(SKIP_1) | instid1(VALU_DEP_1)
	v_dual_ashrrev_i32 v15, 31, v14 :: v_dual_ashrrev_i32 v17, 31, v16
	v_dual_add_nc_u32 v18, s2, v16 :: v_dual_ashrrev_i32 v11, 31, v10
	v_dual_ashrrev_i32 v13, 31, v12 :: v_dual_add_nc_u32 v20, s2, v18
	v_lshl_add_u64 v[0:1], v[0:1], 3, s[12:13]
	s_delay_alu instid0(VALU_DEP_2) | instskip(NEXT) | instid1(VALU_DEP_2)
	v_add_nc_u32_e32 v22, s2, v20
	v_lshl_add_u64 v[0:1], s[14:15], 3, v[0:1]
	s_delay_alu instid0(VALU_DEP_2) | instskip(NEXT) | instid1(VALU_DEP_2)
	v_add_nc_u32_e32 v24, s2, v22
	v_lshl_add_u64 v[10:11], v[10:11], 3, v[0:1]
	v_add_nc_u64_e32 v[46:47], v[0:1], v[106:107]
	v_lshl_add_u64 v[12:13], v[12:13], 3, v[0:1]
	v_lshl_add_u64 v[14:15], v[14:15], 3, v[0:1]
	v_add_nc_u32_e32 v26, s2, v24
	v_lshl_add_u64 v[16:17], v[16:17], 3, v[0:1]
	s_clause 0x3
	global_load_b64 v[84:85], v[10:11], off
	global_load_b64 v[74:75], v[12:13], off
	global_load_b64 v[44:45], v[14:15], off
	global_load_b64 v[40:41], v[16:17], off
	v_lshl_add_u64 v[8:9], v[8:9], 3, v[0:1]
	v_add_nc_u32_e32 v28, s2, v26
	v_ashrrev_i32_e32 v23, 31, v22
	s_wait_xcnt 0x3
	v_lshl_add_u64 v[10:11], s[2:3], 3, v[46:47]
	v_ashrrev_i32_e32 v21, 31, v20
	v_dual_add_nc_u32 v30, s2, v28 :: v_dual_ashrrev_i32 v29, 31, v28
	s_wait_xcnt 0x2
	v_lshl_add_u64 v[12:13], v[22:23], 3, v[0:1]
	v_ashrrev_i32_e32 v25, 31, v24
	v_lshl_add_u64 v[20:21], v[20:21], 3, v[0:1]
	v_dual_add_nc_u32 v32, s2, v30 :: v_dual_ashrrev_i32 v31, 31, v30
	s_wait_xcnt 0x0
	v_lshl_add_u64 v[16:17], v[28:29], 3, v[0:1]
	s_delay_alu instid0(VALU_DEP_2) | instskip(NEXT) | instid1(VALU_DEP_1)
	v_dual_add_nc_u32 v34, s2, v32 :: v_dual_ashrrev_i32 v33, 31, v32
	v_add_nc_u32_e32 v36, s2, v34
	v_ashrrev_i32_e32 v7, 31, v6
	s_delay_alu instid0(VALU_DEP_2) | instskip(NEXT) | instid1(VALU_DEP_2)
	v_dual_ashrrev_i32 v35, 31, v34 :: v_dual_add_nc_u32 v38, s2, v36
	v_lshl_add_u64 v[6:7], v[6:7], 3, v[0:1]
	s_clause 0x3
	global_load_b64 v[98:99], v[6:7], off
	global_load_b64 v[96:97], v[8:9], off
	global_load_b64 v[102:103], v[46:47], off
	global_load_b64 v[100:101], v[10:11], off
	v_add_nc_u32_e32 v42, s2, v38
	s_wait_xcnt 0x3
	v_lshl_add_u64 v[6:7], v[24:25], 3, v[0:1]
	v_dual_ashrrev_i32 v39, 31, v38 :: v_dual_ashrrev_i32 v37, 31, v36
	s_delay_alu instid0(VALU_DEP_3) | instskip(NEXT) | instid1(VALU_DEP_2)
	v_add_nc_u32_e32 v54, s2, v42
	v_lshl_add_u64 v[24:25], v[38:39], 3, v[0:1]
	s_delay_alu instid0(VALU_DEP_2) | instskip(SKIP_1) | instid1(VALU_DEP_2)
	v_add_nc_u32_e32 v56, s2, v54
	v_ashrrev_i32_e32 v19, 31, v18
	v_dual_ashrrev_i32 v55, 31, v54 :: v_dual_add_nc_u32 v58, s2, v56
	s_delay_alu instid0(VALU_DEP_2)
	v_lshl_add_u64 v[18:19], v[18:19], 3, v[0:1]
	s_clause 0x3
	global_load_b64 v[88:89], v[18:19], off
	global_load_b64 v[50:51], v[20:21], off
	;; [unrolled: 1-line block ×4, first 2 shown]
	v_add_nc_u32_e32 v14, s2, v58
	s_wait_xcnt 0x3
	v_lshl_add_u64 v[18:19], v[30:31], 3, v[0:1]
	s_wait_xcnt 0x2
	v_lshl_add_u64 v[20:21], v[32:33], 3, v[0:1]
	v_dual_add_nc_u32 v8, s2, v14 :: v_dual_ashrrev_i32 v15, 31, v14
	s_wait_xcnt 0x0
	s_delay_alu instid0(VALU_DEP_1) | instskip(SKIP_1) | instid1(VALU_DEP_3)
	v_add_nc_u32_e32 v6, s2, v8
	v_ashrrev_i32_e32 v57, 31, v56
	v_lshl_add_u64 v[14:15], v[14:15], 3, v[0:1]
	s_delay_alu instid0(VALU_DEP_3) | instskip(SKIP_3) | instid1(VALU_DEP_4)
	v_dual_ashrrev_i32 v9, 31, v8 :: v_dual_add_nc_u32 v12, s2, v6
	v_ashrrev_i32_e32 v27, 31, v26
	v_ashrrev_i32_e32 v43, 31, v42
	;; [unrolled: 1-line block ×3, first 2 shown]
	v_lshl_add_u64 v[8:9], v[8:9], 3, v[0:1]
	v_add_nc_u32_e32 v22, s2, v12
	v_lshl_add_u64 v[10:11], v[26:27], 3, v[0:1]
	s_clause 0x3
	global_load_b64 v[94:95], v[10:11], off
	global_load_b64 v[68:69], v[16:17], off
	;; [unrolled: 1-line block ×4, first 2 shown]
	s_wait_xcnt 0x3
	v_add_nc_u32_e32 v10, s2, v22
	s_wait_xcnt 0x2
	v_lshl_add_u64 v[16:17], v[34:35], 3, v[0:1]
	s_wait_xcnt 0x0
	v_lshl_add_u64 v[20:21], v[36:37], 3, v[0:1]
	v_ashrrev_i32_e32 v13, 31, v12
	v_lshl_add_u64 v[26:27], v[42:43], 3, v[0:1]
	v_dual_add_nc_u32 v18, s2, v10 :: v_dual_ashrrev_i32 v11, 31, v10
	s_clause 0x3
	global_load_b64 v[92:93], v[16:17], off
	global_load_b64 v[62:63], v[20:21], off
	;; [unrolled: 1-line block ×4, first 2 shown]
	s_wait_xcnt 0x2
	v_lshl_add_u64 v[20:21], v[54:55], 3, v[0:1]
	s_wait_xcnt 0x0
	v_lshl_add_u64 v[26:27], v[56:57], 3, v[0:1]
	v_dual_add_nc_u32 v28, s2, v18 :: v_dual_ashrrev_i32 v19, 31, v18
	v_ashrrev_i32_e32 v59, 31, v58
	v_lshl_add_u64 v[6:7], v[6:7], 3, v[0:1]
	v_lshl_add_u64 v[12:13], v[12:13], 3, v[0:1]
	s_delay_alu instid0(VALU_DEP_4) | instskip(NEXT) | instid1(VALU_DEP_4)
	v_dual_add_nc_u32 v16, s2, v28 :: v_dual_ashrrev_i32 v29, 31, v28
	v_lshl_add_u64 v[30:31], v[58:59], 3, v[0:1]
	s_clause 0x3
	global_load_b64 v[90:91], v[20:21], off
	global_load_b64 v[56:57], v[26:27], off
	;; [unrolled: 1-line block ×4, first 2 shown]
	v_dual_add_nc_u32 v24, s2, v16 :: v_dual_ashrrev_i32 v23, 31, v22
	v_ashrrev_i32_e32 v17, 31, v16
	s_delay_alu instid0(VALU_DEP_2) | instskip(NEXT) | instid1(VALU_DEP_3)
	v_dual_add_nc_u32 v46, s2, v24 :: v_dual_ashrrev_i32 v25, 31, v24
	v_lshl_add_u64 v[22:23], v[22:23], 3, v[0:1]
	s_clause 0x3
	global_load_b64 v[86:87], v[8:9], off
	global_load_b64 v[38:39], v[6:7], off
	;; [unrolled: 1-line block ×4, first 2 shown]
	s_wait_xcnt 0x4
	v_add_nc_u32_e32 v14, s2, v46
	s_wait_xcnt 0x3
	v_lshl_add_u64 v[8:9], v[10:11], 3, v[0:1]
	s_wait_xcnt 0x1
	v_lshl_add_u64 v[12:13], v[18:19], 3, v[0:1]
	v_lshl_add_u64 v[18:19], v[28:29], 3, v[0:1]
	;; [unrolled: 1-line block ×3, first 2 shown]
	v_add_nc_u32_e32 v20, s2, v14
	s_clause 0x3
	global_load_b64 v[82:83], v[8:9], off
	global_load_b64 v[32:33], v[12:13], off
	;; [unrolled: 1-line block ×4, first 2 shown]
	s_wait_xcnt 0x2
	v_lshl_add_u64 v[12:13], v[24:25], 3, v[0:1]
	v_dual_add_nc_u32 v70, s2, v20 :: v_dual_ashrrev_i32 v21, 31, v20
	s_delay_alu instid0(VALU_DEP_1) | instskip(SKIP_1) | instid1(VALU_DEP_2)
	v_add_nc_u32_e32 v6, s2, v70
	s_wait_xcnt 0x1
	v_lshl_add_u64 v[18:19], v[20:21], 3, v[0:1]
	s_delay_alu instid0(VALU_DEP_2) | instskip(NEXT) | instid1(VALU_DEP_1)
	v_add_nc_u32_e32 v10, s2, v6
	v_add_nc_u32_e32 v28, s2, v10
	s_delay_alu instid0(VALU_DEP_1) | instskip(SKIP_1) | instid1(VALU_DEP_2)
	v_dual_ashrrev_i32 v71, 31, v70 :: v_dual_ashrrev_i32 v29, 31, v28
	v_dual_add_nc_u32 v8, s2, v28 :: v_dual_ashrrev_i32 v47, 31, v46
	v_lshl_add_u64 v[28:29], v[28:29], 3, v[0:1]
	s_delay_alu instid0(VALU_DEP_2) | instskip(SKIP_1) | instid1(VALU_DEP_3)
	v_dual_add_nc_u32 v76, s2, v8 :: v_dual_ashrrev_i32 v15, 31, v14
	s_wait_xcnt 0x0
	v_lshl_add_u64 v[16:17], v[46:47], 3, v[0:1]
	v_ashrrev_i32_e32 v9, 31, v8
	s_delay_alu instid0(VALU_DEP_3)
	v_add_nc_u32_e32 v46, s2, v76
	v_lshl_add_u64 v[14:15], v[14:15], 3, v[0:1]
	s_clause 0x3
	global_load_b64 v[80:81], v[12:13], off
	global_load_b64 v[24:25], v[16:17], off
	;; [unrolled: 1-line block ×4, first 2 shown]
	s_wait_xcnt 0x3
	v_add_nc_u32_e32 v12, s2, v46
	v_ashrrev_i32_e32 v7, 31, v6
	s_wait_xcnt 0x1
	v_lshl_add_u64 v[14:15], v[70:71], 3, v[0:1]
	v_dual_ashrrev_i32 v77, 31, v76 :: v_dual_ashrrev_i32 v47, 31, v46
	v_dual_ashrrev_i32 v13, 31, v12 :: v_dual_add_nc_u32 v70, s2, v12
	v_lshl_add_u64 v[6:7], v[6:7], 3, v[0:1]
	s_delay_alu instid0(VALU_DEP_3) | instskip(NEXT) | instid1(VALU_DEP_4)
	v_lshl_add_u64 v[110:111], v[76:77], 3, v[0:1]
	v_lshl_add_u64 v[46:47], v[46:47], 3, v[0:1]
	s_delay_alu instid0(VALU_DEP_4) | instskip(SKIP_2) | instid1(VALU_DEP_1)
	v_lshl_add_u64 v[114:115], v[12:13], 3, v[0:1]
	v_add_nc_u32_e32 v104, s2, v70
	v_ashrrev_i32_e32 v11, 31, v10
	v_lshl_add_u64 v[10:11], v[10:11], 3, v[0:1]
	s_clause 0x3
	global_load_b64 v[78:79], v[14:15], off
	global_load_b64 v[18:19], v[6:7], off
	;; [unrolled: 1-line block ×4, first 2 shown]
	s_wait_xcnt 0x2
	v_add_nc_u32_e32 v6, s2, v104
	v_lshl_add_u64 v[14:15], v[8:9], 3, v[0:1]
	s_clause 0x3
	global_load_b64 v[76:77], v[14:15], off
	global_load_b64 v[10:11], v[110:111], off
	;; [unrolled: 1-line block ×4, first 2 shown]
	s_wait_xcnt 0x4
	v_add_nc_u32_e32 v28, s2, v6
	v_dual_ashrrev_i32 v71, 31, v70 :: v_dual_ashrrev_i32 v105, 31, v104
	s_delay_alu instid0(VALU_DEP_2) | instskip(SKIP_1) | instid1(VALU_DEP_2)
	v_dual_ashrrev_i32 v7, 31, v6 :: v_dual_add_nc_u32 v116, s2, v28
	s_wait_xcnt 0x2
	v_lshl_add_u64 v[110:111], v[70:71], 3, v[0:1]
	s_wait_xcnt 0x0
	v_lshl_add_u64 v[114:115], v[104:105], 3, v[0:1]
	v_lshl_add_u64 v[118:119], v[6:7], 3, v[0:1]
	v_add_nc_u32_e32 v14, s2, v116
	v_ashrrev_i32_e32 v29, 31, v28
	s_delay_alu instid0(VALU_DEP_2) | instskip(NEXT) | instid1(VALU_DEP_2)
	v_dual_ashrrev_i32 v117, 31, v116 :: v_dual_ashrrev_i32 v15, 31, v14
	v_lshl_add_u64 v[120:121], v[28:29], 3, v[0:1]
	s_delay_alu instid0(VALU_DEP_2) | instskip(NEXT) | instid1(VALU_DEP_3)
	v_lshl_add_u64 v[116:117], v[116:117], 3, v[0:1]
	v_lshl_add_u64 v[122:123], v[14:15], 3, v[0:1]
	s_clause 0x5
	global_load_b64 v[70:71], v[110:111], off
	global_load_b64 v[6:7], v[114:115], off
	global_load_b64 v[46:47], v[118:119], off
	global_load_b64 v[28:29], v[120:121], off
	global_load_b64 v[14:15], v[116:117], off
	global_load_b64 v[104:105], v[122:123], off
	s_wait_xcnt 0x5
	v_mul_lo_u32 v111, s4, v108
	s_load_b64 s[4:5], s[0:1], 0x40
	s_delay_alu instid0(VALU_DEP_1) | instskip(NEXT) | instid1(VALU_DEP_1)
	v_lshl_add_u32 v110, v111, 3, 0
	v_dual_lshlrev_b32 v111, 3, v111 :: v_dual_add_nc_u32 v106, v110, v106
	s_wait_loadcnt 0x2b
	ds_store_b64 v106, v[102:103]
	s_wait_loadcnt_dscnt 0x0
	s_barrier_signal -1
	s_barrier_wait -1
	ds_load_b64 v[108:109], v110
	s_cbranch_scc1 .LBB98_6
; %bb.4:
	v_add3_u32 v106, v111, 0, 8
	v_mov_b32_e32 v107, 0
	s_wait_xcnt 0x0
	s_mov_b32 s0, 1
.LBB98_5:                               ; =>This Inner Loop Header: Depth=1
	ds_load_b64 v[114:115], v106
	s_wait_dscnt 0x1
	v_cmp_gt_f32_e32 vcc_lo, 0, v108
	v_cndmask_b32_e64 v116, v108, -v108, vcc_lo
	v_cmp_gt_f32_e32 vcc_lo, 0, v109
	v_cndmask_b32_e64 v118, v109, -v109, vcc_lo
	s_wait_dscnt 0x0
	v_cmp_gt_f32_e32 vcc_lo, 0, v114
	v_cndmask_b32_e64 v117, v114, -v114, vcc_lo
	v_cmp_gt_f32_e32 vcc_lo, 0, v115
	v_cndmask_b32_e64 v119, v115, -v115, vcc_lo
	s_delay_alu instid0(VALU_DEP_1) | instskip(NEXT) | instid1(VALU_DEP_1)
	v_pk_add_f32 v[116:117], v[116:117], v[118:119]
	v_cmp_lt_f32_e32 vcc_lo, v116, v117
	v_dual_cndmask_b32 v109, v109, v115 :: v_dual_add_nc_u32 v106, 8, v106
	v_cndmask_b32_e32 v108, v108, v114, vcc_lo
	v_cndmask_b32_e64 v107, v107, s0, vcc_lo
	s_add_co_i32 s0, s0, 1
	s_delay_alu instid0(SALU_CYCLE_1)
	s_cmp_eq_u32 s18, s0
	s_cbranch_scc0 .LBB98_5
.LBB98_6:
	s_wait_dscnt 0x0
	v_cmp_neq_f32_e32 vcc_lo, 0, v108
	s_wait_xcnt 0x0
	v_cmp_neq_f32_e64 s0, 0, v109
	v_dual_mov_b32 v112, 1 :: v_dual_mov_b32 v115, 1
	s_or_b32 s1, vcc_lo, s0
	s_delay_alu instid0(SALU_CYCLE_1)
	s_and_saveexec_b32 s0, s1
	s_cbranch_execz .LBB98_12
; %bb.7:
	v_cmp_ngt_f32_e64 s1, |v108|, |v109|
	s_and_saveexec_b32 s12, s1
	s_delay_alu instid0(SALU_CYCLE_1)
	s_xor_b32 s1, exec_lo, s12
	s_cbranch_execz .LBB98_9
; %bb.8:
	v_div_scale_f32 v106, null, v109, v109, v108
	v_div_scale_f32 v115, vcc_lo, v108, v109, v108
	s_delay_alu instid0(VALU_DEP_2) | instskip(SKIP_1) | instid1(TRANS32_DEP_1)
	v_rcp_f32_e32 v112, v106
	v_nop
	v_fma_f32 v114, -v106, v112, 1.0
	s_delay_alu instid0(VALU_DEP_1) | instskip(NEXT) | instid1(VALU_DEP_1)
	v_fmac_f32_e32 v112, v114, v112
	v_mul_f32_e32 v114, v115, v112
	s_delay_alu instid0(VALU_DEP_1) | instskip(NEXT) | instid1(VALU_DEP_1)
	v_fma_f32 v116, -v106, v114, v115
	v_fmac_f32_e32 v114, v116, v112
	s_delay_alu instid0(VALU_DEP_1) | instskip(NEXT) | instid1(VALU_DEP_1)
	v_fma_f32 v106, -v106, v114, v115
	v_div_fmas_f32 v106, v106, v112, v114
	s_delay_alu instid0(VALU_DEP_1) | instskip(NEXT) | instid1(VALU_DEP_1)
	v_div_fixup_f32 v106, v106, v109, v108
	v_fmac_f32_e32 v109, v108, v106
	s_delay_alu instid0(VALU_DEP_1) | instskip(SKIP_1) | instid1(VALU_DEP_2)
	v_div_scale_f32 v108, null, v109, v109, 1.0
	v_div_scale_f32 v115, vcc_lo, 1.0, v109, 1.0
	v_rcp_f32_e32 v112, v108
	v_nop
	s_delay_alu instid0(TRANS32_DEP_1) | instskip(NEXT) | instid1(VALU_DEP_1)
	v_fma_f32 v114, -v108, v112, 1.0
	v_fmac_f32_e32 v112, v114, v112
	s_delay_alu instid0(VALU_DEP_1) | instskip(NEXT) | instid1(VALU_DEP_1)
	v_mul_f32_e32 v114, v115, v112
	v_fma_f32 v116, -v108, v114, v115
	s_delay_alu instid0(VALU_DEP_1) | instskip(NEXT) | instid1(VALU_DEP_1)
	v_fmac_f32_e32 v114, v116, v112
	v_fma_f32 v108, -v108, v114, v115
	s_delay_alu instid0(VALU_DEP_1) | instskip(NEXT) | instid1(VALU_DEP_1)
	v_div_fmas_f32 v108, v108, v112, v114
	v_div_fixup_f32 v109, v108, v109, 1.0
	s_delay_alu instid0(VALU_DEP_1)
	v_mul_f32_e32 v108, v106, v109
	v_xor_b32_e32 v109, 0x80000000, v109
.LBB98_9:
	s_and_not1_saveexec_b32 s1, s1
	s_cbranch_execz .LBB98_11
; %bb.10:
	s_delay_alu instid0(VALU_DEP_1) | instskip(SKIP_1) | instid1(VALU_DEP_2)
	v_div_scale_f32 v106, null, v108, v108, v109
	v_div_scale_f32 v115, vcc_lo, v109, v108, v109
	v_rcp_f32_e32 v112, v106
	v_nop
	s_delay_alu instid0(TRANS32_DEP_1) | instskip(NEXT) | instid1(VALU_DEP_1)
	v_fma_f32 v114, -v106, v112, 1.0
	v_fmac_f32_e32 v112, v114, v112
	s_delay_alu instid0(VALU_DEP_1) | instskip(NEXT) | instid1(VALU_DEP_1)
	v_mul_f32_e32 v114, v115, v112
	v_fma_f32 v116, -v106, v114, v115
	s_delay_alu instid0(VALU_DEP_1) | instskip(NEXT) | instid1(VALU_DEP_1)
	v_fmac_f32_e32 v114, v116, v112
	v_fma_f32 v106, -v106, v114, v115
	s_delay_alu instid0(VALU_DEP_1) | instskip(NEXT) | instid1(VALU_DEP_1)
	v_div_fmas_f32 v106, v106, v112, v114
	v_div_fixup_f32 v106, v106, v108, v109
	s_delay_alu instid0(VALU_DEP_1) | instskip(NEXT) | instid1(VALU_DEP_1)
	v_fmac_f32_e32 v108, v109, v106
	v_div_scale_f32 v109, null, v108, v108, 1.0
	s_delay_alu instid0(VALU_DEP_1) | instskip(SKIP_1) | instid1(TRANS32_DEP_1)
	v_rcp_f32_e32 v112, v109
	v_nop
	v_fma_f32 v114, -v109, v112, 1.0
	s_delay_alu instid0(VALU_DEP_1) | instskip(SKIP_1) | instid1(VALU_DEP_1)
	v_fmac_f32_e32 v112, v114, v112
	v_div_scale_f32 v114, vcc_lo, 1.0, v108, 1.0
	v_mul_f32_e32 v115, v114, v112
	s_delay_alu instid0(VALU_DEP_1) | instskip(NEXT) | instid1(VALU_DEP_1)
	v_fma_f32 v116, -v109, v115, v114
	v_fmac_f32_e32 v115, v116, v112
	s_delay_alu instid0(VALU_DEP_1) | instskip(NEXT) | instid1(VALU_DEP_1)
	v_fma_f32 v109, -v109, v115, v114
	v_div_fmas_f32 v109, v109, v112, v115
	s_delay_alu instid0(VALU_DEP_1) | instskip(NEXT) | instid1(VALU_DEP_1)
	v_div_fixup_f32 v108, v109, v108, 1.0
	v_mul_f32_e64 v109, v106, -v108
.LBB98_11:
	s_or_b32 exec_lo, exec_lo, s1
	v_dual_mov_b32 v115, 0 :: v_dual_mov_b32 v112, 2
.LBB98_12:
	s_or_b32 exec_lo, exec_lo, s0
	s_delay_alu instid0(SALU_CYCLE_1)
	s_mov_b32 s0, exec_lo
	v_cmpx_ne_u32_e64 v113, v107
	s_xor_b32 s0, exec_lo, s0
	s_cbranch_execz .LBB98_18
; %bb.13:
	s_mov_b32 s1, exec_lo
	v_cmpx_eq_u32_e32 0, v113
	s_cbranch_execz .LBB98_17
; %bb.14:
	v_cmp_ne_u32_e32 vcc_lo, 0, v107
	s_xor_b32 s12, s16, -1
	s_delay_alu instid0(SALU_CYCLE_1) | instskip(NEXT) | instid1(SALU_CYCLE_1)
	s_and_b32 s13, s12, vcc_lo
	s_and_saveexec_b32 s12, s13
	s_cbranch_execz .LBB98_16
; %bb.15:
	v_dual_mov_b32 v116, v107 :: v_dual_ashrrev_i32 v117, 31, v107
	s_delay_alu instid0(VALU_DEP_1)
	v_lshl_add_u64 v[116:117], v[116:117], 2, v[4:5]
	s_clause 0x1
	global_load_b32 v106, v[116:117], off
	global_load_b32 v113, v[4:5], off
	s_wait_loadcnt 0x1
	global_store_b32 v[4:5], v106, off
	s_wait_loadcnt 0x0
	global_store_b32 v[116:117], v113, off
.LBB98_16:
	s_wait_xcnt 0x0
	s_or_b32 exec_lo, exec_lo, s12
	v_mov_b32_e32 v113, v107
.LBB98_17:
	s_or_b32 exec_lo, exec_lo, s1
.LBB98_18:
	s_or_saveexec_b32 s0, s0
	s_delay_alu instid0(VALU_DEP_1)
	v_mov_b32_e32 v114, v113
	s_xor_b32 exec_lo, exec_lo, s0
	s_cbranch_execz .LBB98_20
; %bb.19:
	v_mov_b32_e32 v114, 0
	ds_store_2addr_b64 v110, v[100:101], v[98:99] offset0:1 offset1:2
	ds_store_2addr_b64 v110, v[96:97], v[84:85] offset0:3 offset1:4
	;; [unrolled: 1-line block ×24, first 2 shown]
	ds_store_b64 v110, v[104:105] offset:392
.LBB98_20:
	s_or_b32 exec_lo, exec_lo, s0
	s_delay_alu instid0(SALU_CYCLE_1)
	s_mov_b32 s0, exec_lo
	s_wait_storecnt_dscnt 0x0
	s_barrier_signal -1
	s_barrier_wait -1
	v_cmpx_lt_i32_e32 0, v114
	s_cbranch_execz .LBB98_22
; %bb.21:
	v_pk_mul_f32 v[116:117], v[108:109], v[102:103] op_sel:[1,1] op_sel_hi:[0,1]
	s_delay_alu instid0(VALU_DEP_1)
	v_pk_fma_f32 v[106:107], v[108:109], v[102:103], v[116:117] op_sel_hi:[1,0,1] neg_lo:[0,0,1] neg_hi:[0,0,1]
	v_pk_fma_f32 v[108:109], v[108:109], v[102:103], v[116:117] op_sel_hi:[1,0,1]
	ds_load_2addr_b64 v[116:119], v110 offset0:1 offset1:2
	v_dual_mov_b32 v102, v106 :: v_dual_mov_b32 v103, v109
	s_wait_dscnt 0x0
	v_pk_mul_f32 v[120:121], v[116:117], v[108:109] op_sel:[0,1]
	s_delay_alu instid0(VALU_DEP_1) | instskip(SKIP_1) | instid1(VALU_DEP_1)
	v_pk_fma_f32 v[122:123], v[116:117], v[106:107], v[120:121] op_sel:[0,0,1] op_sel_hi:[1,1,0] neg_lo:[0,0,1] neg_hi:[0,0,1]
	v_pk_fma_f32 v[116:117], v[116:117], v[106:107], v[120:121] op_sel:[0,0,1] op_sel_hi:[1,0,0]
	v_mov_b32_e32 v123, v117
	v_pk_mul_f32 v[116:117], v[118:119], v[108:109] op_sel:[0,1]
	s_delay_alu instid0(VALU_DEP_1) | instskip(SKIP_1) | instid1(VALU_DEP_1)
	v_pk_fma_f32 v[120:121], v[118:119], v[106:107], v[116:117] op_sel:[0,0,1] op_sel_hi:[1,1,0] neg_lo:[0,0,1] neg_hi:[0,0,1]
	v_pk_fma_f32 v[116:117], v[118:119], v[106:107], v[116:117] op_sel:[0,0,1] op_sel_hi:[1,0,0]
	v_mov_b32_e32 v121, v117
	ds_load_2addr_b64 v[116:119], v110 offset0:3 offset1:4
	v_pk_add_f32 v[100:101], v[100:101], v[122:123] neg_lo:[0,1] neg_hi:[0,1]
	v_pk_add_f32 v[98:99], v[98:99], v[120:121] neg_lo:[0,1] neg_hi:[0,1]
	s_wait_dscnt 0x0
	v_pk_mul_f32 v[120:121], v[116:117], v[108:109] op_sel:[0,1]
	s_delay_alu instid0(VALU_DEP_1) | instskip(SKIP_2) | instid1(VALU_DEP_2)
	v_pk_fma_f32 v[122:123], v[116:117], v[106:107], v[120:121] op_sel:[0,0,1] op_sel_hi:[1,1,0] neg_lo:[0,0,1] neg_hi:[0,0,1]
	v_pk_fma_f32 v[116:117], v[116:117], v[106:107], v[120:121] op_sel:[0,0,1] op_sel_hi:[1,0,0]
	v_dual_mul_f32 v120, v119, v109 :: v_dual_mov_b32 v116, v119
	v_dual_mov_b32 v123, v117 :: v_dual_mov_b32 v117, v118
	s_delay_alu instid0(VALU_DEP_2) | instskip(SKIP_1) | instid1(VALU_DEP_3)
	v_pk_fma_f32 v[120:121], v[118:119], v[102:103], v[120:121] op_sel_hi:[1,1,0] neg_lo:[0,0,1] neg_hi:[0,0,1]
	v_mul_f32_e32 v118, v119, v106
	v_pk_add_f32 v[96:97], v[96:97], v[122:123] neg_lo:[0,1] neg_hi:[0,1]
	s_delay_alu instid0(VALU_DEP_2) | instskip(NEXT) | instid1(VALU_DEP_1)
	v_pk_fma_f32 v[116:117], v[116:117], v[102:103], v[118:119] op_sel_hi:[1,1,0]
	v_mov_b32_e32 v121, v117
	ds_load_2addr_b64 v[116:119], v110 offset0:5 offset1:6
	v_pk_add_f32 v[84:85], v[84:85], v[120:121] neg_lo:[0,1] neg_hi:[0,1]
	s_wait_dscnt 0x0
	v_pk_mul_f32 v[120:121], v[116:117], v[108:109] op_sel:[0,1]
	s_delay_alu instid0(VALU_DEP_1) | instskip(SKIP_1) | instid1(VALU_DEP_1)
	v_pk_fma_f32 v[122:123], v[116:117], v[106:107], v[120:121] op_sel:[0,0,1] op_sel_hi:[1,1,0] neg_lo:[0,0,1] neg_hi:[0,0,1]
	v_pk_fma_f32 v[116:117], v[116:117], v[106:107], v[120:121] op_sel:[0,0,1] op_sel_hi:[1,0,0]
	v_mov_b32_e32 v123, v117
	v_pk_mul_f32 v[116:117], v[118:119], v[108:109] op_sel:[0,1]
	s_delay_alu instid0(VALU_DEP_1) | instskip(SKIP_1) | instid1(VALU_DEP_1)
	v_pk_fma_f32 v[120:121], v[118:119], v[106:107], v[116:117] op_sel:[0,0,1] op_sel_hi:[1,1,0] neg_lo:[0,0,1] neg_hi:[0,0,1]
	v_pk_fma_f32 v[116:117], v[118:119], v[106:107], v[116:117] op_sel:[0,0,1] op_sel_hi:[1,0,0]
	v_mov_b32_e32 v121, v117
	ds_load_2addr_b64 v[116:119], v110 offset0:7 offset1:8
	v_pk_add_f32 v[74:75], v[74:75], v[122:123] neg_lo:[0,1] neg_hi:[0,1]
	v_pk_add_f32 v[44:45], v[44:45], v[120:121] neg_lo:[0,1] neg_hi:[0,1]
	s_wait_dscnt 0x0
	v_pk_mul_f32 v[120:121], v[116:117], v[108:109] op_sel:[0,1]
	s_delay_alu instid0(VALU_DEP_1) | instskip(SKIP_1) | instid1(VALU_DEP_1)
	v_pk_fma_f32 v[122:123], v[116:117], v[106:107], v[120:121] op_sel:[0,0,1] op_sel_hi:[1,1,0] neg_lo:[0,0,1] neg_hi:[0,0,1]
	v_pk_fma_f32 v[116:117], v[116:117], v[106:107], v[120:121] op_sel:[0,0,1] op_sel_hi:[1,0,0]
	v_mov_b32_e32 v123, v117
	v_pk_mul_f32 v[116:117], v[118:119], v[108:109] op_sel:[0,1]
	s_delay_alu instid0(VALU_DEP_1) | instskip(SKIP_1) | instid1(VALU_DEP_1)
	v_pk_fma_f32 v[120:121], v[118:119], v[106:107], v[116:117] op_sel:[0,0,1] op_sel_hi:[1,1,0] neg_lo:[0,0,1] neg_hi:[0,0,1]
	v_pk_fma_f32 v[116:117], v[118:119], v[106:107], v[116:117] op_sel:[0,0,1] op_sel_hi:[1,0,0]
	v_mov_b32_e32 v121, v117
	ds_load_2addr_b64 v[116:119], v110 offset0:9 offset1:10
	v_pk_add_f32 v[40:41], v[40:41], v[122:123] neg_lo:[0,1] neg_hi:[0,1]
	v_pk_add_f32 v[88:89], v[88:89], v[120:121] neg_lo:[0,1] neg_hi:[0,1]
	s_wait_dscnt 0x0
	v_dual_mul_f32 v120, v117, v109 :: v_dual_mul_f32 v122, v117, v106
	s_delay_alu instid0(VALU_DEP_1) | instskip(NEXT) | instid1(VALU_DEP_2)
	v_pk_fma_f32 v[120:121], v[116:117], v[102:103], v[120:121] op_sel_hi:[1,1,0] neg_lo:[0,0,1] neg_hi:[0,0,1]
	v_pk_fma_f32 v[116:117], v[116:117], v[102:103], v[122:123] op_sel:[1,0,0] op_sel_hi:[0,1,0]
	s_delay_alu instid0(VALU_DEP_1) | instskip(SKIP_1) | instid1(VALU_DEP_2)
	v_mov_b32_e32 v121, v117
	v_pk_mul_f32 v[116:117], v[118:119], v[108:109] op_sel:[0,1]
	v_pk_add_f32 v[50:51], v[50:51], v[120:121] neg_lo:[0,1] neg_hi:[0,1]
	s_delay_alu instid0(VALU_DEP_2) | instskip(SKIP_1) | instid1(VALU_DEP_1)
	v_pk_fma_f32 v[120:121], v[118:119], v[106:107], v[116:117] op_sel:[0,0,1] op_sel_hi:[1,1,0] neg_lo:[0,0,1] neg_hi:[0,0,1]
	v_pk_fma_f32 v[116:117], v[118:119], v[106:107], v[116:117] op_sel:[0,0,1] op_sel_hi:[1,0,0]
	v_mov_b32_e32 v121, v117
	ds_load_2addr_b64 v[116:119], v110 offset0:11 offset1:12
	v_pk_add_f32 v[52:53], v[52:53], v[120:121] neg_lo:[0,1] neg_hi:[0,1]
	s_wait_dscnt 0x0
	v_pk_mul_f32 v[120:121], v[116:117], v[108:109] op_sel:[0,1]
	s_delay_alu instid0(VALU_DEP_1) | instskip(SKIP_1) | instid1(VALU_DEP_1)
	v_pk_fma_f32 v[122:123], v[116:117], v[106:107], v[120:121] op_sel:[0,0,1] op_sel_hi:[1,1,0] neg_lo:[0,0,1] neg_hi:[0,0,1]
	v_pk_fma_f32 v[116:117], v[116:117], v[106:107], v[120:121] op_sel:[0,0,1] op_sel_hi:[1,0,0]
	v_mov_b32_e32 v123, v117
	v_pk_mul_f32 v[116:117], v[118:119], v[108:109] op_sel:[0,1]
	s_delay_alu instid0(VALU_DEP_2) | instskip(NEXT) | instid1(VALU_DEP_2)
	v_pk_add_f32 v[48:49], v[48:49], v[122:123] neg_lo:[0,1] neg_hi:[0,1]
	v_pk_fma_f32 v[120:121], v[118:119], v[106:107], v[116:117] op_sel:[0,0,1] op_sel_hi:[1,1,0] neg_lo:[0,0,1] neg_hi:[0,0,1]
	v_pk_fma_f32 v[116:117], v[118:119], v[106:107], v[116:117] op_sel:[0,0,1] op_sel_hi:[1,0,0]
	s_delay_alu instid0(VALU_DEP_1) | instskip(SKIP_4) | instid1(VALU_DEP_1)
	v_mov_b32_e32 v121, v117
	ds_load_2addr_b64 v[116:119], v110 offset0:13 offset1:14
	v_pk_add_f32 v[94:95], v[94:95], v[120:121] neg_lo:[0,1] neg_hi:[0,1]
	s_wait_dscnt 0x0
	v_pk_mul_f32 v[120:121], v[116:117], v[108:109] op_sel:[0,1]
	v_pk_fma_f32 v[122:123], v[116:117], v[106:107], v[120:121] op_sel:[0,0,1] op_sel_hi:[1,1,0] neg_lo:[0,0,1] neg_hi:[0,0,1]
	v_pk_fma_f32 v[116:117], v[116:117], v[106:107], v[120:121] op_sel:[0,0,1] op_sel_hi:[1,0,0]
	v_dual_mul_f32 v120, v119, v109 :: v_dual_mov_b32 v116, v119
	s_delay_alu instid0(VALU_DEP_2) | instskip(NEXT) | instid1(VALU_DEP_2)
	v_dual_mov_b32 v123, v117 :: v_dual_mov_b32 v117, v118
	v_pk_fma_f32 v[120:121], v[118:119], v[102:103], v[120:121] op_sel_hi:[1,1,0] neg_lo:[0,0,1] neg_hi:[0,0,1]
	v_mul_f32_e32 v118, v119, v106
	s_delay_alu instid0(VALU_DEP_3) | instskip(NEXT) | instid1(VALU_DEP_2)
	v_pk_add_f32 v[68:69], v[68:69], v[122:123] neg_lo:[0,1] neg_hi:[0,1]
	v_pk_fma_f32 v[116:117], v[116:117], v[102:103], v[118:119] op_sel_hi:[1,1,0]
	s_delay_alu instid0(VALU_DEP_1) | instskip(SKIP_4) | instid1(VALU_DEP_1)
	v_mov_b32_e32 v121, v117
	ds_load_2addr_b64 v[116:119], v110 offset0:15 offset1:16
	v_pk_add_f32 v[72:73], v[72:73], v[120:121] neg_lo:[0,1] neg_hi:[0,1]
	s_wait_dscnt 0x0
	v_pk_mul_f32 v[120:121], v[116:117], v[108:109] op_sel:[0,1]
	v_pk_fma_f32 v[122:123], v[116:117], v[106:107], v[120:121] op_sel:[0,0,1] op_sel_hi:[1,1,0] neg_lo:[0,0,1] neg_hi:[0,0,1]
	v_pk_fma_f32 v[116:117], v[116:117], v[106:107], v[120:121] op_sel:[0,0,1] op_sel_hi:[1,0,0]
	s_delay_alu instid0(VALU_DEP_1) | instskip(SKIP_1) | instid1(VALU_DEP_1)
	v_mov_b32_e32 v123, v117
	v_pk_mul_f32 v[116:117], v[118:119], v[108:109] op_sel:[0,1]
	v_pk_fma_f32 v[120:121], v[118:119], v[106:107], v[116:117] op_sel:[0,0,1] op_sel_hi:[1,1,0] neg_lo:[0,0,1] neg_hi:[0,0,1]
	v_pk_fma_f32 v[116:117], v[118:119], v[106:107], v[116:117] op_sel:[0,0,1] op_sel_hi:[1,0,0]
	s_delay_alu instid0(VALU_DEP_1)
	v_mov_b32_e32 v121, v117
	ds_load_2addr_b64 v[116:119], v110 offset0:17 offset1:18
	v_pk_add_f32 v[66:67], v[66:67], v[122:123] neg_lo:[0,1] neg_hi:[0,1]
	v_pk_add_f32 v[92:93], v[92:93], v[120:121] neg_lo:[0,1] neg_hi:[0,1]
	s_wait_dscnt 0x0
	v_pk_mul_f32 v[120:121], v[116:117], v[108:109] op_sel:[0,1]
	s_delay_alu instid0(VALU_DEP_1) | instskip(SKIP_1) | instid1(VALU_DEP_1)
	v_pk_fma_f32 v[122:123], v[116:117], v[106:107], v[120:121] op_sel:[0,0,1] op_sel_hi:[1,1,0] neg_lo:[0,0,1] neg_hi:[0,0,1]
	v_pk_fma_f32 v[116:117], v[116:117], v[106:107], v[120:121] op_sel:[0,0,1] op_sel_hi:[1,0,0]
	v_mov_b32_e32 v123, v117
	v_pk_mul_f32 v[116:117], v[118:119], v[108:109] op_sel:[0,1]
	s_delay_alu instid0(VALU_DEP_1) | instskip(SKIP_1) | instid1(VALU_DEP_1)
	v_pk_fma_f32 v[120:121], v[118:119], v[106:107], v[116:117] op_sel:[0,0,1] op_sel_hi:[1,1,0] neg_lo:[0,0,1] neg_hi:[0,0,1]
	v_pk_fma_f32 v[116:117], v[118:119], v[106:107], v[116:117] op_sel:[0,0,1] op_sel_hi:[1,0,0]
	v_mov_b32_e32 v121, v117
	ds_load_2addr_b64 v[116:119], v110 offset0:19 offset1:20
	v_pk_add_f32 v[62:63], v[62:63], v[122:123] neg_lo:[0,1] neg_hi:[0,1]
	v_pk_add_f32 v[64:65], v[64:65], v[120:121] neg_lo:[0,1] neg_hi:[0,1]
	s_wait_dscnt 0x0
	v_dual_mul_f32 v120, v117, v109 :: v_dual_mul_f32 v122, v117, v106
	s_delay_alu instid0(VALU_DEP_1) | instskip(NEXT) | instid1(VALU_DEP_2)
	v_pk_fma_f32 v[120:121], v[116:117], v[102:103], v[120:121] op_sel_hi:[1,1,0] neg_lo:[0,0,1] neg_hi:[0,0,1]
	v_pk_fma_f32 v[116:117], v[116:117], v[102:103], v[122:123] op_sel:[1,0,0] op_sel_hi:[0,1,0]
	s_delay_alu instid0(VALU_DEP_1) | instskip(SKIP_1) | instid1(VALU_DEP_2)
	v_mov_b32_e32 v121, v117
	v_pk_mul_f32 v[116:117], v[118:119], v[108:109] op_sel:[0,1]
	v_pk_add_f32 v[60:61], v[60:61], v[120:121] neg_lo:[0,1] neg_hi:[0,1]
	s_delay_alu instid0(VALU_DEP_2) | instskip(SKIP_1) | instid1(VALU_DEP_1)
	v_pk_fma_f32 v[120:121], v[118:119], v[106:107], v[116:117] op_sel:[0,0,1] op_sel_hi:[1,1,0] neg_lo:[0,0,1] neg_hi:[0,0,1]
	v_pk_fma_f32 v[116:117], v[118:119], v[106:107], v[116:117] op_sel:[0,0,1] op_sel_hi:[1,0,0]
	v_mov_b32_e32 v121, v117
	ds_load_2addr_b64 v[116:119], v110 offset0:21 offset1:22
	v_pk_add_f32 v[90:91], v[90:91], v[120:121] neg_lo:[0,1] neg_hi:[0,1]
	s_wait_dscnt 0x0
	v_pk_mul_f32 v[120:121], v[116:117], v[108:109] op_sel:[0,1]
	s_delay_alu instid0(VALU_DEP_1) | instskip(SKIP_1) | instid1(VALU_DEP_1)
	v_pk_fma_f32 v[122:123], v[116:117], v[106:107], v[120:121] op_sel:[0,0,1] op_sel_hi:[1,1,0] neg_lo:[0,0,1] neg_hi:[0,0,1]
	v_pk_fma_f32 v[116:117], v[116:117], v[106:107], v[120:121] op_sel:[0,0,1] op_sel_hi:[1,0,0]
	v_mov_b32_e32 v123, v117
	v_pk_mul_f32 v[116:117], v[118:119], v[108:109] op_sel:[0,1]
	s_delay_alu instid0(VALU_DEP_2) | instskip(NEXT) | instid1(VALU_DEP_2)
	v_pk_add_f32 v[56:57], v[56:57], v[122:123] neg_lo:[0,1] neg_hi:[0,1]
	v_pk_fma_f32 v[120:121], v[118:119], v[106:107], v[116:117] op_sel:[0,0,1] op_sel_hi:[1,1,0] neg_lo:[0,0,1] neg_hi:[0,0,1]
	v_pk_fma_f32 v[116:117], v[118:119], v[106:107], v[116:117] op_sel:[0,0,1] op_sel_hi:[1,0,0]
	s_delay_alu instid0(VALU_DEP_1) | instskip(SKIP_4) | instid1(VALU_DEP_1)
	v_mov_b32_e32 v121, v117
	ds_load_2addr_b64 v[116:119], v110 offset0:23 offset1:24
	v_pk_add_f32 v[58:59], v[58:59], v[120:121] neg_lo:[0,1] neg_hi:[0,1]
	s_wait_dscnt 0x0
	v_pk_mul_f32 v[120:121], v[116:117], v[108:109] op_sel:[0,1]
	v_pk_fma_f32 v[122:123], v[116:117], v[106:107], v[120:121] op_sel:[0,0,1] op_sel_hi:[1,1,0] neg_lo:[0,0,1] neg_hi:[0,0,1]
	v_pk_fma_f32 v[116:117], v[116:117], v[106:107], v[120:121] op_sel:[0,0,1] op_sel_hi:[1,0,0]
	v_dual_mul_f32 v120, v119, v109 :: v_dual_mov_b32 v116, v119
	s_delay_alu instid0(VALU_DEP_2) | instskip(NEXT) | instid1(VALU_DEP_2)
	v_dual_mov_b32 v123, v117 :: v_dual_mov_b32 v117, v118
	v_pk_fma_f32 v[120:121], v[118:119], v[102:103], v[120:121] op_sel_hi:[1,1,0] neg_lo:[0,0,1] neg_hi:[0,0,1]
	v_mul_f32_e32 v118, v119, v106
	s_delay_alu instid0(VALU_DEP_3) | instskip(NEXT) | instid1(VALU_DEP_2)
	v_pk_add_f32 v[54:55], v[54:55], v[122:123] neg_lo:[0,1] neg_hi:[0,1]
	v_pk_fma_f32 v[116:117], v[116:117], v[102:103], v[118:119] op_sel_hi:[1,1,0]
	s_delay_alu instid0(VALU_DEP_1) | instskip(SKIP_4) | instid1(VALU_DEP_1)
	v_mov_b32_e32 v121, v117
	ds_load_2addr_b64 v[116:119], v110 offset0:25 offset1:26
	v_pk_add_f32 v[86:87], v[86:87], v[120:121] neg_lo:[0,1] neg_hi:[0,1]
	s_wait_dscnt 0x0
	v_pk_mul_f32 v[120:121], v[116:117], v[108:109] op_sel:[0,1]
	v_pk_fma_f32 v[122:123], v[116:117], v[106:107], v[120:121] op_sel:[0,0,1] op_sel_hi:[1,1,0] neg_lo:[0,0,1] neg_hi:[0,0,1]
	v_pk_fma_f32 v[116:117], v[116:117], v[106:107], v[120:121] op_sel:[0,0,1] op_sel_hi:[1,0,0]
	s_delay_alu instid0(VALU_DEP_1) | instskip(SKIP_1) | instid1(VALU_DEP_1)
	v_mov_b32_e32 v123, v117
	v_pk_mul_f32 v[116:117], v[118:119], v[108:109] op_sel:[0,1]
	v_pk_fma_f32 v[120:121], v[118:119], v[106:107], v[116:117] op_sel:[0,0,1] op_sel_hi:[1,1,0] neg_lo:[0,0,1] neg_hi:[0,0,1]
	v_pk_fma_f32 v[116:117], v[118:119], v[106:107], v[116:117] op_sel:[0,0,1] op_sel_hi:[1,0,0]
	s_delay_alu instid0(VALU_DEP_1)
	v_mov_b32_e32 v121, v117
	ds_load_2addr_b64 v[116:119], v110 offset0:27 offset1:28
	v_pk_add_f32 v[38:39], v[38:39], v[122:123] neg_lo:[0,1] neg_hi:[0,1]
	v_pk_add_f32 v[42:43], v[42:43], v[120:121] neg_lo:[0,1] neg_hi:[0,1]
	s_wait_dscnt 0x0
	v_pk_mul_f32 v[120:121], v[116:117], v[108:109] op_sel:[0,1]
	s_delay_alu instid0(VALU_DEP_1) | instskip(SKIP_1) | instid1(VALU_DEP_1)
	v_pk_fma_f32 v[122:123], v[116:117], v[106:107], v[120:121] op_sel:[0,0,1] op_sel_hi:[1,1,0] neg_lo:[0,0,1] neg_hi:[0,0,1]
	v_pk_fma_f32 v[116:117], v[116:117], v[106:107], v[120:121] op_sel:[0,0,1] op_sel_hi:[1,0,0]
	v_mov_b32_e32 v123, v117
	v_pk_mul_f32 v[116:117], v[118:119], v[108:109] op_sel:[0,1]
	s_delay_alu instid0(VALU_DEP_1) | instskip(SKIP_1) | instid1(VALU_DEP_1)
	v_pk_fma_f32 v[120:121], v[118:119], v[106:107], v[116:117] op_sel:[0,0,1] op_sel_hi:[1,1,0] neg_lo:[0,0,1] neg_hi:[0,0,1]
	v_pk_fma_f32 v[116:117], v[118:119], v[106:107], v[116:117] op_sel:[0,0,1] op_sel_hi:[1,0,0]
	v_mov_b32_e32 v121, v117
	ds_load_2addr_b64 v[116:119], v110 offset0:29 offset1:30
	v_pk_add_f32 v[36:37], v[36:37], v[122:123] neg_lo:[0,1] neg_hi:[0,1]
	v_pk_add_f32 v[82:83], v[82:83], v[120:121] neg_lo:[0,1] neg_hi:[0,1]
	s_wait_dscnt 0x0
	v_dual_mul_f32 v120, v117, v109 :: v_dual_mul_f32 v122, v117, v106
	s_delay_alu instid0(VALU_DEP_1) | instskip(NEXT) | instid1(VALU_DEP_2)
	v_pk_fma_f32 v[120:121], v[116:117], v[102:103], v[120:121] op_sel_hi:[1,1,0] neg_lo:[0,0,1] neg_hi:[0,0,1]
	v_pk_fma_f32 v[116:117], v[116:117], v[102:103], v[122:123] op_sel:[1,0,0] op_sel_hi:[0,1,0]
	s_delay_alu instid0(VALU_DEP_1) | instskip(SKIP_1) | instid1(VALU_DEP_2)
	v_mov_b32_e32 v121, v117
	v_pk_mul_f32 v[116:117], v[118:119], v[108:109] op_sel:[0,1]
	v_pk_add_f32 v[32:33], v[32:33], v[120:121] neg_lo:[0,1] neg_hi:[0,1]
	s_delay_alu instid0(VALU_DEP_2) | instskip(SKIP_1) | instid1(VALU_DEP_1)
	v_pk_fma_f32 v[120:121], v[118:119], v[106:107], v[116:117] op_sel:[0,0,1] op_sel_hi:[1,1,0] neg_lo:[0,0,1] neg_hi:[0,0,1]
	v_pk_fma_f32 v[116:117], v[118:119], v[106:107], v[116:117] op_sel:[0,0,1] op_sel_hi:[1,0,0]
	v_mov_b32_e32 v121, v117
	ds_load_2addr_b64 v[116:119], v110 offset0:31 offset1:32
	v_pk_add_f32 v[34:35], v[34:35], v[120:121] neg_lo:[0,1] neg_hi:[0,1]
	s_wait_dscnt 0x0
	v_pk_mul_f32 v[120:121], v[116:117], v[108:109] op_sel:[0,1]
	s_delay_alu instid0(VALU_DEP_1) | instskip(SKIP_1) | instid1(VALU_DEP_1)
	v_pk_fma_f32 v[122:123], v[116:117], v[106:107], v[120:121] op_sel:[0,0,1] op_sel_hi:[1,1,0] neg_lo:[0,0,1] neg_hi:[0,0,1]
	v_pk_fma_f32 v[116:117], v[116:117], v[106:107], v[120:121] op_sel:[0,0,1] op_sel_hi:[1,0,0]
	v_mov_b32_e32 v123, v117
	v_pk_mul_f32 v[116:117], v[118:119], v[108:109] op_sel:[0,1]
	s_delay_alu instid0(VALU_DEP_2) | instskip(NEXT) | instid1(VALU_DEP_2)
	v_pk_add_f32 v[30:31], v[30:31], v[122:123] neg_lo:[0,1] neg_hi:[0,1]
	v_pk_fma_f32 v[120:121], v[118:119], v[106:107], v[116:117] op_sel:[0,0,1] op_sel_hi:[1,1,0] neg_lo:[0,0,1] neg_hi:[0,0,1]
	v_pk_fma_f32 v[116:117], v[118:119], v[106:107], v[116:117] op_sel:[0,0,1] op_sel_hi:[1,0,0]
	s_delay_alu instid0(VALU_DEP_1) | instskip(SKIP_4) | instid1(VALU_DEP_1)
	v_mov_b32_e32 v121, v117
	ds_load_2addr_b64 v[116:119], v110 offset0:33 offset1:34
	v_pk_add_f32 v[80:81], v[80:81], v[120:121] neg_lo:[0,1] neg_hi:[0,1]
	s_wait_dscnt 0x0
	v_pk_mul_f32 v[120:121], v[116:117], v[108:109] op_sel:[0,1]
	v_pk_fma_f32 v[122:123], v[116:117], v[106:107], v[120:121] op_sel:[0,0,1] op_sel_hi:[1,1,0] neg_lo:[0,0,1] neg_hi:[0,0,1]
	v_pk_fma_f32 v[116:117], v[116:117], v[106:107], v[120:121] op_sel:[0,0,1] op_sel_hi:[1,0,0]
	v_dual_mul_f32 v120, v119, v109 :: v_dual_mov_b32 v116, v119
	s_delay_alu instid0(VALU_DEP_2) | instskip(NEXT) | instid1(VALU_DEP_2)
	v_dual_mov_b32 v123, v117 :: v_dual_mov_b32 v117, v118
	v_pk_fma_f32 v[120:121], v[118:119], v[102:103], v[120:121] op_sel_hi:[1,1,0] neg_lo:[0,0,1] neg_hi:[0,0,1]
	v_mul_f32_e32 v118, v119, v106
	s_delay_alu instid0(VALU_DEP_3) | instskip(NEXT) | instid1(VALU_DEP_2)
	v_pk_add_f32 v[24:25], v[24:25], v[122:123] neg_lo:[0,1] neg_hi:[0,1]
	v_pk_fma_f32 v[116:117], v[116:117], v[102:103], v[118:119] op_sel_hi:[1,1,0]
	s_delay_alu instid0(VALU_DEP_1) | instskip(SKIP_4) | instid1(VALU_DEP_1)
	v_mov_b32_e32 v121, v117
	ds_load_2addr_b64 v[116:119], v110 offset0:35 offset1:36
	v_pk_add_f32 v[26:27], v[26:27], v[120:121] neg_lo:[0,1] neg_hi:[0,1]
	s_wait_dscnt 0x0
	v_pk_mul_f32 v[120:121], v[116:117], v[108:109] op_sel:[0,1]
	v_pk_fma_f32 v[122:123], v[116:117], v[106:107], v[120:121] op_sel:[0,0,1] op_sel_hi:[1,1,0] neg_lo:[0,0,1] neg_hi:[0,0,1]
	v_pk_fma_f32 v[116:117], v[116:117], v[106:107], v[120:121] op_sel:[0,0,1] op_sel_hi:[1,0,0]
	s_delay_alu instid0(VALU_DEP_1) | instskip(SKIP_1) | instid1(VALU_DEP_1)
	v_mov_b32_e32 v123, v117
	v_pk_mul_f32 v[116:117], v[118:119], v[108:109] op_sel:[0,1]
	v_pk_fma_f32 v[120:121], v[118:119], v[106:107], v[116:117] op_sel:[0,0,1] op_sel_hi:[1,1,0] neg_lo:[0,0,1] neg_hi:[0,0,1]
	v_pk_fma_f32 v[116:117], v[118:119], v[106:107], v[116:117] op_sel:[0,0,1] op_sel_hi:[1,0,0]
	s_delay_alu instid0(VALU_DEP_1)
	v_mov_b32_e32 v121, v117
	ds_load_2addr_b64 v[116:119], v110 offset0:37 offset1:38
	v_pk_add_f32 v[22:23], v[22:23], v[122:123] neg_lo:[0,1] neg_hi:[0,1]
	v_pk_add_f32 v[78:79], v[78:79], v[120:121] neg_lo:[0,1] neg_hi:[0,1]
	s_wait_dscnt 0x0
	v_pk_mul_f32 v[120:121], v[116:117], v[108:109] op_sel:[0,1]
	s_delay_alu instid0(VALU_DEP_1) | instskip(SKIP_1) | instid1(VALU_DEP_1)
	v_pk_fma_f32 v[122:123], v[116:117], v[106:107], v[120:121] op_sel:[0,0,1] op_sel_hi:[1,1,0] neg_lo:[0,0,1] neg_hi:[0,0,1]
	v_pk_fma_f32 v[116:117], v[116:117], v[106:107], v[120:121] op_sel:[0,0,1] op_sel_hi:[1,0,0]
	v_mov_b32_e32 v123, v117
	v_pk_mul_f32 v[116:117], v[118:119], v[108:109] op_sel:[0,1]
	s_delay_alu instid0(VALU_DEP_1) | instskip(SKIP_1) | instid1(VALU_DEP_1)
	v_pk_fma_f32 v[120:121], v[118:119], v[106:107], v[116:117] op_sel:[0,0,1] op_sel_hi:[1,1,0] neg_lo:[0,0,1] neg_hi:[0,0,1]
	v_pk_fma_f32 v[116:117], v[118:119], v[106:107], v[116:117] op_sel:[0,0,1] op_sel_hi:[1,0,0]
	v_mov_b32_e32 v121, v117
	ds_load_2addr_b64 v[116:119], v110 offset0:39 offset1:40
	v_pk_add_f32 v[18:19], v[18:19], v[122:123] neg_lo:[0,1] neg_hi:[0,1]
	v_pk_add_f32 v[20:21], v[20:21], v[120:121] neg_lo:[0,1] neg_hi:[0,1]
	s_wait_dscnt 0x0
	v_dual_mul_f32 v120, v117, v109 :: v_dual_mul_f32 v122, v117, v106
	s_delay_alu instid0(VALU_DEP_1) | instskip(NEXT) | instid1(VALU_DEP_2)
	v_pk_fma_f32 v[120:121], v[116:117], v[102:103], v[120:121] op_sel_hi:[1,1,0] neg_lo:[0,0,1] neg_hi:[0,0,1]
	v_pk_fma_f32 v[116:117], v[116:117], v[102:103], v[122:123] op_sel:[1,0,0] op_sel_hi:[0,1,0]
	s_delay_alu instid0(VALU_DEP_1) | instskip(SKIP_1) | instid1(VALU_DEP_2)
	v_mov_b32_e32 v121, v117
	v_pk_mul_f32 v[116:117], v[118:119], v[108:109] op_sel:[0,1]
	v_pk_add_f32 v[16:17], v[16:17], v[120:121] neg_lo:[0,1] neg_hi:[0,1]
	s_delay_alu instid0(VALU_DEP_2) | instskip(SKIP_1) | instid1(VALU_DEP_1)
	v_pk_fma_f32 v[120:121], v[118:119], v[106:107], v[116:117] op_sel:[0,0,1] op_sel_hi:[1,1,0] neg_lo:[0,0,1] neg_hi:[0,0,1]
	v_pk_fma_f32 v[116:117], v[118:119], v[106:107], v[116:117] op_sel:[0,0,1] op_sel_hi:[1,0,0]
	v_mov_b32_e32 v121, v117
	ds_load_2addr_b64 v[116:119], v110 offset0:41 offset1:42
	v_pk_add_f32 v[76:77], v[76:77], v[120:121] neg_lo:[0,1] neg_hi:[0,1]
	s_wait_dscnt 0x0
	v_pk_mul_f32 v[120:121], v[116:117], v[108:109] op_sel:[0,1]
	s_delay_alu instid0(VALU_DEP_1) | instskip(SKIP_1) | instid1(VALU_DEP_1)
	v_pk_fma_f32 v[122:123], v[116:117], v[106:107], v[120:121] op_sel:[0,0,1] op_sel_hi:[1,1,0] neg_lo:[0,0,1] neg_hi:[0,0,1]
	v_pk_fma_f32 v[116:117], v[116:117], v[106:107], v[120:121] op_sel:[0,0,1] op_sel_hi:[1,0,0]
	v_mov_b32_e32 v123, v117
	v_pk_mul_f32 v[116:117], v[118:119], v[108:109] op_sel:[0,1]
	s_delay_alu instid0(VALU_DEP_2) | instskip(NEXT) | instid1(VALU_DEP_2)
	v_pk_add_f32 v[10:11], v[10:11], v[122:123] neg_lo:[0,1] neg_hi:[0,1]
	v_pk_fma_f32 v[120:121], v[118:119], v[106:107], v[116:117] op_sel:[0,0,1] op_sel_hi:[1,1,0] neg_lo:[0,0,1] neg_hi:[0,0,1]
	v_pk_fma_f32 v[116:117], v[118:119], v[106:107], v[116:117] op_sel:[0,0,1] op_sel_hi:[1,0,0]
	s_delay_alu instid0(VALU_DEP_1) | instskip(SKIP_4) | instid1(VALU_DEP_1)
	v_mov_b32_e32 v121, v117
	ds_load_2addr_b64 v[116:119], v110 offset0:43 offset1:44
	v_pk_add_f32 v[12:13], v[12:13], v[120:121] neg_lo:[0,1] neg_hi:[0,1]
	s_wait_dscnt 0x0
	v_pk_mul_f32 v[120:121], v[116:117], v[108:109] op_sel:[0,1]
	v_pk_fma_f32 v[122:123], v[116:117], v[106:107], v[120:121] op_sel:[0,0,1] op_sel_hi:[1,1,0] neg_lo:[0,0,1] neg_hi:[0,0,1]
	v_pk_fma_f32 v[116:117], v[116:117], v[106:107], v[120:121] op_sel:[0,0,1] op_sel_hi:[1,0,0]
	v_dual_mul_f32 v120, v119, v109 :: v_dual_mov_b32 v116, v119
	s_delay_alu instid0(VALU_DEP_2) | instskip(NEXT) | instid1(VALU_DEP_2)
	v_dual_mov_b32 v123, v117 :: v_dual_mov_b32 v117, v118
	v_pk_fma_f32 v[120:121], v[118:119], v[102:103], v[120:121] op_sel_hi:[1,1,0] neg_lo:[0,0,1] neg_hi:[0,0,1]
	v_mul_f32_e32 v118, v119, v106
	s_delay_alu instid0(VALU_DEP_3) | instskip(NEXT) | instid1(VALU_DEP_2)
	v_pk_add_f32 v[8:9], v[8:9], v[122:123] neg_lo:[0,1] neg_hi:[0,1]
	v_pk_fma_f32 v[116:117], v[116:117], v[102:103], v[118:119] op_sel_hi:[1,1,0]
	s_delay_alu instid0(VALU_DEP_1) | instskip(SKIP_4) | instid1(VALU_DEP_1)
	v_mov_b32_e32 v121, v117
	ds_load_2addr_b64 v[116:119], v110 offset0:45 offset1:46
	v_pk_add_f32 v[70:71], v[70:71], v[120:121] neg_lo:[0,1] neg_hi:[0,1]
	s_wait_dscnt 0x0
	v_pk_mul_f32 v[120:121], v[116:117], v[108:109] op_sel:[0,1]
	v_pk_fma_f32 v[122:123], v[116:117], v[106:107], v[120:121] op_sel:[0,0,1] op_sel_hi:[1,1,0] neg_lo:[0,0,1] neg_hi:[0,0,1]
	v_pk_fma_f32 v[116:117], v[116:117], v[106:107], v[120:121] op_sel:[0,0,1] op_sel_hi:[1,0,0]
	s_delay_alu instid0(VALU_DEP_1) | instskip(SKIP_1) | instid1(VALU_DEP_1)
	v_mov_b32_e32 v123, v117
	v_pk_mul_f32 v[116:117], v[118:119], v[108:109] op_sel:[0,1]
	v_pk_fma_f32 v[120:121], v[118:119], v[106:107], v[116:117] op_sel:[0,0,1] op_sel_hi:[1,1,0] neg_lo:[0,0,1] neg_hi:[0,0,1]
	v_pk_fma_f32 v[116:117], v[118:119], v[106:107], v[116:117] op_sel:[0,0,1] op_sel_hi:[1,0,0]
	s_delay_alu instid0(VALU_DEP_1)
	v_mov_b32_e32 v121, v117
	ds_load_2addr_b64 v[116:119], v110 offset0:47 offset1:48
	v_pk_add_f32 v[6:7], v[6:7], v[122:123] neg_lo:[0,1] neg_hi:[0,1]
	v_pk_add_f32 v[46:47], v[46:47], v[120:121] neg_lo:[0,1] neg_hi:[0,1]
	s_wait_dscnt 0x0
	v_pk_mul_f32 v[120:121], v[116:117], v[108:109] op_sel:[0,1]
	s_delay_alu instid0(VALU_DEP_1) | instskip(SKIP_1) | instid1(VALU_DEP_1)
	v_pk_fma_f32 v[122:123], v[116:117], v[106:107], v[120:121] op_sel:[0,0,1] op_sel_hi:[1,1,0] neg_lo:[0,0,1] neg_hi:[0,0,1]
	v_pk_fma_f32 v[116:117], v[116:117], v[106:107], v[120:121] op_sel:[0,0,1] op_sel_hi:[1,0,0]
	v_mov_b32_e32 v123, v117
	v_pk_mul_f32 v[116:117], v[118:119], v[108:109] op_sel:[0,1]
	s_delay_alu instid0(VALU_DEP_1) | instskip(SKIP_1) | instid1(VALU_DEP_1)
	v_pk_fma_f32 v[120:121], v[118:119], v[106:107], v[116:117] op_sel:[0,0,1] op_sel_hi:[1,1,0] neg_lo:[0,0,1] neg_hi:[0,0,1]
	v_pk_fma_f32 v[116:117], v[118:119], v[106:107], v[116:117] op_sel:[0,0,1] op_sel_hi:[1,0,0]
	v_mov_b32_e32 v121, v117
	ds_load_b64 v[116:117], v110 offset:392
	v_pk_add_f32 v[28:29], v[28:29], v[122:123] neg_lo:[0,1] neg_hi:[0,1]
	v_pk_add_f32 v[14:15], v[14:15], v[120:121] neg_lo:[0,1] neg_hi:[0,1]
	s_wait_dscnt 0x0
	v_pk_mul_f32 v[108:109], v[116:117], v[108:109] op_sel:[0,1]
	s_delay_alu instid0(VALU_DEP_1) | instskip(SKIP_1) | instid1(VALU_DEP_1)
	v_pk_fma_f32 v[118:119], v[116:117], v[106:107], v[108:109] op_sel:[0,0,1] op_sel_hi:[1,1,0] neg_lo:[0,0,1] neg_hi:[0,0,1]
	v_pk_fma_f32 v[106:107], v[116:117], v[106:107], v[108:109] op_sel:[0,0,1] op_sel_hi:[1,0,0]
	v_mov_b32_e32 v119, v107
	s_delay_alu instid0(VALU_DEP_1)
	v_pk_add_f32 v[104:105], v[104:105], v[118:119] neg_lo:[0,1] neg_hi:[0,1]
.LBB98_22:
	s_or_b32 exec_lo, exec_lo, s0
	v_lshl_add_u32 v106, v114, 3, v110
	s_barrier_signal -1
	s_barrier_wait -1
	ds_store_b64 v106, v[100:101]
	s_wait_dscnt 0x0
	s_barrier_signal -1
	s_barrier_wait -1
	ds_load_b64 v[108:109], v110 offset:8
	v_mov_b32_e32 v106, 1
	s_cmp_lt_i32 s18, 3
	s_cbranch_scc1 .LBB98_25
; %bb.23:
	v_add3_u32 v107, v111, 0, 16
	v_mov_b32_e32 v106, 1
	s_mov_b32 s0, 2
.LBB98_24:                              ; =>This Inner Loop Header: Depth=1
	ds_load_b64 v[116:117], v107
	s_wait_dscnt 0x1
	v_cmp_gt_f32_e32 vcc_lo, 0, v108
	v_cndmask_b32_e64 v118, v108, -v108, vcc_lo
	v_cmp_gt_f32_e32 vcc_lo, 0, v109
	v_cndmask_b32_e64 v120, v109, -v109, vcc_lo
	s_wait_dscnt 0x0
	v_cmp_gt_f32_e32 vcc_lo, 0, v116
	v_cndmask_b32_e64 v119, v116, -v116, vcc_lo
	v_cmp_gt_f32_e32 vcc_lo, 0, v117
	v_cndmask_b32_e64 v121, v117, -v117, vcc_lo
	s_delay_alu instid0(VALU_DEP_1) | instskip(NEXT) | instid1(VALU_DEP_1)
	v_pk_add_f32 v[118:119], v[118:119], v[120:121]
	v_cmp_lt_f32_e32 vcc_lo, v118, v119
	v_dual_add_nc_u32 v107, 8, v107 :: v_dual_cndmask_b32 v109, v109, v117, vcc_lo
	v_cndmask_b32_e32 v108, v108, v116, vcc_lo
	v_cndmask_b32_e64 v106, v106, s0, vcc_lo
	s_add_co_i32 s0, s0, 1
	s_delay_alu instid0(SALU_CYCLE_1)
	s_cmp_lg_u32 s18, s0
	s_cbranch_scc1 .LBB98_24
.LBB98_25:
	s_wait_dscnt 0x0
	v_cmp_neq_f32_e32 vcc_lo, 0, v108
	v_cmp_neq_f32_e64 s0, 0, v109
	s_or_b32 s1, vcc_lo, s0
	s_delay_alu instid0(SALU_CYCLE_1)
	s_and_saveexec_b32 s0, s1
	s_cbranch_execz .LBB98_31
; %bb.26:
	v_cmp_ngt_f32_e64 s1, |v108|, |v109|
	s_and_saveexec_b32 s12, s1
	s_delay_alu instid0(SALU_CYCLE_1)
	s_xor_b32 s1, exec_lo, s12
	s_cbranch_execz .LBB98_28
; %bb.27:
	v_div_scale_f32 v107, null, v109, v109, v108
	v_div_scale_f32 v117, vcc_lo, v108, v109, v108
	s_delay_alu instid0(VALU_DEP_2) | instskip(SKIP_1) | instid1(TRANS32_DEP_1)
	v_rcp_f32_e32 v112, v107
	v_nop
	v_fma_f32 v116, -v107, v112, 1.0
	s_delay_alu instid0(VALU_DEP_1) | instskip(NEXT) | instid1(VALU_DEP_1)
	v_fmac_f32_e32 v112, v116, v112
	v_mul_f32_e32 v116, v117, v112
	s_delay_alu instid0(VALU_DEP_1) | instskip(NEXT) | instid1(VALU_DEP_1)
	v_fma_f32 v118, -v107, v116, v117
	v_fmac_f32_e32 v116, v118, v112
	s_delay_alu instid0(VALU_DEP_1) | instskip(NEXT) | instid1(VALU_DEP_1)
	v_fma_f32 v107, -v107, v116, v117
	v_div_fmas_f32 v107, v107, v112, v116
	s_delay_alu instid0(VALU_DEP_1) | instskip(NEXT) | instid1(VALU_DEP_1)
	v_div_fixup_f32 v107, v107, v109, v108
	v_fmac_f32_e32 v109, v108, v107
	s_delay_alu instid0(VALU_DEP_1) | instskip(SKIP_1) | instid1(VALU_DEP_2)
	v_div_scale_f32 v108, null, v109, v109, 1.0
	v_div_scale_f32 v117, vcc_lo, 1.0, v109, 1.0
	v_rcp_f32_e32 v112, v108
	v_nop
	s_delay_alu instid0(TRANS32_DEP_1) | instskip(NEXT) | instid1(VALU_DEP_1)
	v_fma_f32 v116, -v108, v112, 1.0
	v_fmac_f32_e32 v112, v116, v112
	s_delay_alu instid0(VALU_DEP_1) | instskip(NEXT) | instid1(VALU_DEP_1)
	v_mul_f32_e32 v116, v117, v112
	v_fma_f32 v118, -v108, v116, v117
	s_delay_alu instid0(VALU_DEP_1) | instskip(NEXT) | instid1(VALU_DEP_1)
	v_fmac_f32_e32 v116, v118, v112
	v_fma_f32 v108, -v108, v116, v117
	s_delay_alu instid0(VALU_DEP_1) | instskip(NEXT) | instid1(VALU_DEP_1)
	v_div_fmas_f32 v108, v108, v112, v116
	v_div_fixup_f32 v109, v108, v109, 1.0
	s_delay_alu instid0(VALU_DEP_1)
	v_mul_f32_e32 v108, v107, v109
	v_xor_b32_e32 v109, 0x80000000, v109
.LBB98_28:
	s_and_not1_saveexec_b32 s1, s1
	s_cbranch_execz .LBB98_30
; %bb.29:
	s_delay_alu instid0(VALU_DEP_1) | instskip(SKIP_1) | instid1(VALU_DEP_2)
	v_div_scale_f32 v107, null, v108, v108, v109
	v_div_scale_f32 v117, vcc_lo, v109, v108, v109
	v_rcp_f32_e32 v112, v107
	v_nop
	s_delay_alu instid0(TRANS32_DEP_1) | instskip(NEXT) | instid1(VALU_DEP_1)
	v_fma_f32 v116, -v107, v112, 1.0
	v_fmac_f32_e32 v112, v116, v112
	s_delay_alu instid0(VALU_DEP_1) | instskip(NEXT) | instid1(VALU_DEP_1)
	v_mul_f32_e32 v116, v117, v112
	v_fma_f32 v118, -v107, v116, v117
	s_delay_alu instid0(VALU_DEP_1) | instskip(NEXT) | instid1(VALU_DEP_1)
	v_fmac_f32_e32 v116, v118, v112
	v_fma_f32 v107, -v107, v116, v117
	s_delay_alu instid0(VALU_DEP_1) | instskip(NEXT) | instid1(VALU_DEP_1)
	v_div_fmas_f32 v107, v107, v112, v116
	v_div_fixup_f32 v107, v107, v108, v109
	s_delay_alu instid0(VALU_DEP_1) | instskip(NEXT) | instid1(VALU_DEP_1)
	v_fmac_f32_e32 v108, v109, v107
	v_div_scale_f32 v109, null, v108, v108, 1.0
	s_delay_alu instid0(VALU_DEP_1) | instskip(SKIP_1) | instid1(TRANS32_DEP_1)
	v_rcp_f32_e32 v112, v109
	v_nop
	v_fma_f32 v116, -v109, v112, 1.0
	s_delay_alu instid0(VALU_DEP_1) | instskip(SKIP_1) | instid1(VALU_DEP_1)
	v_fmac_f32_e32 v112, v116, v112
	v_div_scale_f32 v116, vcc_lo, 1.0, v108, 1.0
	v_mul_f32_e32 v117, v116, v112
	s_delay_alu instid0(VALU_DEP_1) | instskip(NEXT) | instid1(VALU_DEP_1)
	v_fma_f32 v118, -v109, v117, v116
	v_fmac_f32_e32 v117, v118, v112
	s_delay_alu instid0(VALU_DEP_1) | instskip(NEXT) | instid1(VALU_DEP_1)
	v_fma_f32 v109, -v109, v117, v116
	v_div_fmas_f32 v109, v109, v112, v117
	s_delay_alu instid0(VALU_DEP_1) | instskip(NEXT) | instid1(VALU_DEP_1)
	v_div_fixup_f32 v108, v109, v108, 1.0
	v_mul_f32_e64 v109, v107, -v108
.LBB98_30:
	s_or_b32 exec_lo, exec_lo, s1
	v_mov_b32_e32 v112, v115
.LBB98_31:
	s_or_b32 exec_lo, exec_lo, s0
	s_delay_alu instid0(SALU_CYCLE_1)
	s_mov_b32 s0, exec_lo
	v_cmpx_ne_u32_e64 v114, v106
	s_xor_b32 s0, exec_lo, s0
	s_cbranch_execz .LBB98_37
; %bb.32:
	s_mov_b32 s1, exec_lo
	v_cmpx_eq_u32_e32 1, v114
	s_cbranch_execz .LBB98_36
; %bb.33:
	v_cmp_ne_u32_e32 vcc_lo, 1, v106
	s_xor_b32 s12, s16, -1
	s_delay_alu instid0(SALU_CYCLE_1) | instskip(NEXT) | instid1(SALU_CYCLE_1)
	s_and_b32 s13, s12, vcc_lo
	s_and_saveexec_b32 s12, s13
	s_cbranch_execz .LBB98_35
; %bb.34:
	v_ashrrev_i32_e32 v107, 31, v106
	s_delay_alu instid0(VALU_DEP_1)
	v_lshl_add_u64 v[114:115], v[106:107], 2, v[4:5]
	s_clause 0x1
	global_load_b32 v107, v[114:115], off
	global_load_b32 v113, v[4:5], off offset:4
	s_wait_loadcnt 0x1
	global_store_b32 v[4:5], v107, off offset:4
	s_wait_loadcnt 0x0
	global_store_b32 v[114:115], v113, off
.LBB98_35:
	s_wait_xcnt 0x0
	s_or_b32 exec_lo, exec_lo, s12
	v_dual_mov_b32 v114, v106 :: v_dual_mov_b32 v113, v106
.LBB98_36:
	s_or_b32 exec_lo, exec_lo, s1
.LBB98_37:
	s_and_not1_saveexec_b32 s0, s0
	s_cbranch_execz .LBB98_39
; %bb.38:
	v_dual_mov_b32 v106, v98 :: v_dual_mov_b32 v107, v99
	v_dual_mov_b32 v114, v96 :: v_dual_mov_b32 v115, v97
	ds_store_2addr_b64 v110, v[106:107], v[114:115] offset0:2 offset1:3
	v_dual_mov_b32 v106, v84 :: v_dual_mov_b32 v107, v85
	v_dual_mov_b32 v114, v74 :: v_dual_mov_b32 v115, v75
	ds_store_2addr_b64 v110, v[106:107], v[114:115] offset0:4 offset1:5
	;; [unrolled: 3-line block ×23, first 2 shown]
	v_dual_mov_b32 v106, v14 :: v_dual_mov_b32 v107, v15
	v_mov_b32_e32 v114, 1
	ds_store_2addr_b64 v110, v[106:107], v[104:105] offset0:48 offset1:49
.LBB98_39:
	s_or_b32 exec_lo, exec_lo, s0
	s_delay_alu instid0(SALU_CYCLE_1)
	s_mov_b32 s0, exec_lo
	s_wait_storecnt_dscnt 0x0
	s_barrier_signal -1
	s_barrier_wait -1
	v_cmpx_lt_i32_e32 1, v114
	s_cbranch_execz .LBB98_41
; %bb.40:
	v_pk_mul_f32 v[116:117], v[108:109], v[100:101] op_sel:[1,1] op_sel_hi:[0,1]
	s_delay_alu instid0(VALU_DEP_1)
	v_pk_fma_f32 v[106:107], v[108:109], v[100:101], v[116:117] op_sel_hi:[1,0,1] neg_lo:[0,0,1] neg_hi:[0,0,1]
	v_pk_fma_f32 v[108:109], v[108:109], v[100:101], v[116:117] op_sel_hi:[1,0,1]
	ds_load_2addr_b64 v[116:119], v110 offset0:2 offset1:3
	v_dual_mov_b32 v100, v106 :: v_dual_mov_b32 v101, v109
	s_wait_dscnt 0x0
	v_pk_mul_f32 v[120:121], v[116:117], v[108:109] op_sel:[0,1]
	s_delay_alu instid0(VALU_DEP_1) | instskip(SKIP_1) | instid1(VALU_DEP_1)
	v_pk_fma_f32 v[122:123], v[116:117], v[106:107], v[120:121] op_sel:[0,0,1] op_sel_hi:[1,1,0] neg_lo:[0,0,1] neg_hi:[0,0,1]
	v_pk_fma_f32 v[116:117], v[116:117], v[106:107], v[120:121] op_sel:[0,0,1] op_sel_hi:[1,0,0]
	v_mov_b32_e32 v123, v117
	v_pk_mul_f32 v[116:117], v[118:119], v[108:109] op_sel:[0,1]
	s_delay_alu instid0(VALU_DEP_1) | instskip(SKIP_1) | instid1(VALU_DEP_1)
	v_pk_fma_f32 v[120:121], v[118:119], v[106:107], v[116:117] op_sel:[0,0,1] op_sel_hi:[1,1,0] neg_lo:[0,0,1] neg_hi:[0,0,1]
	v_pk_fma_f32 v[116:117], v[118:119], v[106:107], v[116:117] op_sel:[0,0,1] op_sel_hi:[1,0,0]
	v_mov_b32_e32 v121, v117
	ds_load_2addr_b64 v[116:119], v110 offset0:4 offset1:5
	v_pk_add_f32 v[98:99], v[98:99], v[122:123] neg_lo:[0,1] neg_hi:[0,1]
	v_pk_add_f32 v[96:97], v[96:97], v[120:121] neg_lo:[0,1] neg_hi:[0,1]
	s_wait_dscnt 0x0
	v_pk_mul_f32 v[120:121], v[116:117], v[108:109] op_sel:[0,1]
	s_delay_alu instid0(VALU_DEP_1) | instskip(SKIP_2) | instid1(VALU_DEP_2)
	v_pk_fma_f32 v[122:123], v[116:117], v[106:107], v[120:121] op_sel:[0,0,1] op_sel_hi:[1,1,0] neg_lo:[0,0,1] neg_hi:[0,0,1]
	v_pk_fma_f32 v[116:117], v[116:117], v[106:107], v[120:121] op_sel:[0,0,1] op_sel_hi:[1,0,0]
	v_dual_mul_f32 v120, v119, v109 :: v_dual_mov_b32 v116, v119
	v_dual_mov_b32 v123, v117 :: v_dual_mov_b32 v117, v118
	s_delay_alu instid0(VALU_DEP_2) | instskip(SKIP_1) | instid1(VALU_DEP_3)
	v_pk_fma_f32 v[120:121], v[118:119], v[100:101], v[120:121] op_sel_hi:[1,1,0] neg_lo:[0,0,1] neg_hi:[0,0,1]
	v_mul_f32_e32 v118, v119, v106
	v_pk_add_f32 v[84:85], v[84:85], v[122:123] neg_lo:[0,1] neg_hi:[0,1]
	s_delay_alu instid0(VALU_DEP_2) | instskip(NEXT) | instid1(VALU_DEP_1)
	v_pk_fma_f32 v[116:117], v[116:117], v[100:101], v[118:119] op_sel_hi:[1,1,0]
	v_mov_b32_e32 v121, v117
	ds_load_2addr_b64 v[116:119], v110 offset0:6 offset1:7
	v_pk_add_f32 v[74:75], v[74:75], v[120:121] neg_lo:[0,1] neg_hi:[0,1]
	s_wait_dscnt 0x0
	v_pk_mul_f32 v[120:121], v[116:117], v[108:109] op_sel:[0,1]
	s_delay_alu instid0(VALU_DEP_1) | instskip(SKIP_1) | instid1(VALU_DEP_1)
	v_pk_fma_f32 v[122:123], v[116:117], v[106:107], v[120:121] op_sel:[0,0,1] op_sel_hi:[1,1,0] neg_lo:[0,0,1] neg_hi:[0,0,1]
	v_pk_fma_f32 v[116:117], v[116:117], v[106:107], v[120:121] op_sel:[0,0,1] op_sel_hi:[1,0,0]
	v_mov_b32_e32 v123, v117
	v_pk_mul_f32 v[116:117], v[118:119], v[108:109] op_sel:[0,1]
	s_delay_alu instid0(VALU_DEP_1) | instskip(SKIP_1) | instid1(VALU_DEP_1)
	v_pk_fma_f32 v[120:121], v[118:119], v[106:107], v[116:117] op_sel:[0,0,1] op_sel_hi:[1,1,0] neg_lo:[0,0,1] neg_hi:[0,0,1]
	v_pk_fma_f32 v[116:117], v[118:119], v[106:107], v[116:117] op_sel:[0,0,1] op_sel_hi:[1,0,0]
	v_mov_b32_e32 v121, v117
	ds_load_2addr_b64 v[116:119], v110 offset0:8 offset1:9
	v_pk_add_f32 v[44:45], v[44:45], v[122:123] neg_lo:[0,1] neg_hi:[0,1]
	v_pk_add_f32 v[40:41], v[40:41], v[120:121] neg_lo:[0,1] neg_hi:[0,1]
	s_wait_dscnt 0x0
	v_pk_mul_f32 v[120:121], v[116:117], v[108:109] op_sel:[0,1]
	s_delay_alu instid0(VALU_DEP_1) | instskip(SKIP_1) | instid1(VALU_DEP_1)
	v_pk_fma_f32 v[122:123], v[116:117], v[106:107], v[120:121] op_sel:[0,0,1] op_sel_hi:[1,1,0] neg_lo:[0,0,1] neg_hi:[0,0,1]
	v_pk_fma_f32 v[116:117], v[116:117], v[106:107], v[120:121] op_sel:[0,0,1] op_sel_hi:[1,0,0]
	v_mov_b32_e32 v123, v117
	v_pk_mul_f32 v[116:117], v[118:119], v[108:109] op_sel:[0,1]
	s_delay_alu instid0(VALU_DEP_1) | instskip(SKIP_1) | instid1(VALU_DEP_1)
	v_pk_fma_f32 v[120:121], v[118:119], v[106:107], v[116:117] op_sel:[0,0,1] op_sel_hi:[1,1,0] neg_lo:[0,0,1] neg_hi:[0,0,1]
	v_pk_fma_f32 v[116:117], v[118:119], v[106:107], v[116:117] op_sel:[0,0,1] op_sel_hi:[1,0,0]
	v_mov_b32_e32 v121, v117
	ds_load_2addr_b64 v[116:119], v110 offset0:10 offset1:11
	v_pk_add_f32 v[88:89], v[88:89], v[122:123] neg_lo:[0,1] neg_hi:[0,1]
	v_pk_add_f32 v[50:51], v[50:51], v[120:121] neg_lo:[0,1] neg_hi:[0,1]
	s_wait_dscnt 0x0
	v_dual_mul_f32 v120, v117, v109 :: v_dual_mul_f32 v122, v117, v106
	s_delay_alu instid0(VALU_DEP_1) | instskip(NEXT) | instid1(VALU_DEP_2)
	v_pk_fma_f32 v[120:121], v[116:117], v[100:101], v[120:121] op_sel_hi:[1,1,0] neg_lo:[0,0,1] neg_hi:[0,0,1]
	v_pk_fma_f32 v[116:117], v[116:117], v[100:101], v[122:123] op_sel:[1,0,0] op_sel_hi:[0,1,0]
	s_delay_alu instid0(VALU_DEP_1) | instskip(SKIP_1) | instid1(VALU_DEP_2)
	v_mov_b32_e32 v121, v117
	v_pk_mul_f32 v[116:117], v[118:119], v[108:109] op_sel:[0,1]
	v_pk_add_f32 v[52:53], v[52:53], v[120:121] neg_lo:[0,1] neg_hi:[0,1]
	s_delay_alu instid0(VALU_DEP_2) | instskip(SKIP_1) | instid1(VALU_DEP_1)
	v_pk_fma_f32 v[120:121], v[118:119], v[106:107], v[116:117] op_sel:[0,0,1] op_sel_hi:[1,1,0] neg_lo:[0,0,1] neg_hi:[0,0,1]
	v_pk_fma_f32 v[116:117], v[118:119], v[106:107], v[116:117] op_sel:[0,0,1] op_sel_hi:[1,0,0]
	v_mov_b32_e32 v121, v117
	ds_load_2addr_b64 v[116:119], v110 offset0:12 offset1:13
	v_pk_add_f32 v[48:49], v[48:49], v[120:121] neg_lo:[0,1] neg_hi:[0,1]
	s_wait_dscnt 0x0
	v_pk_mul_f32 v[120:121], v[116:117], v[108:109] op_sel:[0,1]
	s_delay_alu instid0(VALU_DEP_1) | instskip(SKIP_1) | instid1(VALU_DEP_1)
	v_pk_fma_f32 v[122:123], v[116:117], v[106:107], v[120:121] op_sel:[0,0,1] op_sel_hi:[1,1,0] neg_lo:[0,0,1] neg_hi:[0,0,1]
	v_pk_fma_f32 v[116:117], v[116:117], v[106:107], v[120:121] op_sel:[0,0,1] op_sel_hi:[1,0,0]
	v_mov_b32_e32 v123, v117
	v_pk_mul_f32 v[116:117], v[118:119], v[108:109] op_sel:[0,1]
	s_delay_alu instid0(VALU_DEP_2) | instskip(NEXT) | instid1(VALU_DEP_2)
	v_pk_add_f32 v[94:95], v[94:95], v[122:123] neg_lo:[0,1] neg_hi:[0,1]
	v_pk_fma_f32 v[120:121], v[118:119], v[106:107], v[116:117] op_sel:[0,0,1] op_sel_hi:[1,1,0] neg_lo:[0,0,1] neg_hi:[0,0,1]
	v_pk_fma_f32 v[116:117], v[118:119], v[106:107], v[116:117] op_sel:[0,0,1] op_sel_hi:[1,0,0]
	s_delay_alu instid0(VALU_DEP_1) | instskip(SKIP_4) | instid1(VALU_DEP_1)
	v_mov_b32_e32 v121, v117
	ds_load_2addr_b64 v[116:119], v110 offset0:14 offset1:15
	v_pk_add_f32 v[68:69], v[68:69], v[120:121] neg_lo:[0,1] neg_hi:[0,1]
	s_wait_dscnt 0x0
	v_pk_mul_f32 v[120:121], v[116:117], v[108:109] op_sel:[0,1]
	v_pk_fma_f32 v[122:123], v[116:117], v[106:107], v[120:121] op_sel:[0,0,1] op_sel_hi:[1,1,0] neg_lo:[0,0,1] neg_hi:[0,0,1]
	v_pk_fma_f32 v[116:117], v[116:117], v[106:107], v[120:121] op_sel:[0,0,1] op_sel_hi:[1,0,0]
	v_dual_mul_f32 v120, v119, v109 :: v_dual_mov_b32 v116, v119
	s_delay_alu instid0(VALU_DEP_2) | instskip(NEXT) | instid1(VALU_DEP_2)
	v_dual_mov_b32 v123, v117 :: v_dual_mov_b32 v117, v118
	v_pk_fma_f32 v[120:121], v[118:119], v[100:101], v[120:121] op_sel_hi:[1,1,0] neg_lo:[0,0,1] neg_hi:[0,0,1]
	v_mul_f32_e32 v118, v119, v106
	s_delay_alu instid0(VALU_DEP_3) | instskip(NEXT) | instid1(VALU_DEP_2)
	v_pk_add_f32 v[72:73], v[72:73], v[122:123] neg_lo:[0,1] neg_hi:[0,1]
	v_pk_fma_f32 v[116:117], v[116:117], v[100:101], v[118:119] op_sel_hi:[1,1,0]
	s_delay_alu instid0(VALU_DEP_1) | instskip(SKIP_4) | instid1(VALU_DEP_1)
	v_mov_b32_e32 v121, v117
	ds_load_2addr_b64 v[116:119], v110 offset0:16 offset1:17
	v_pk_add_f32 v[66:67], v[66:67], v[120:121] neg_lo:[0,1] neg_hi:[0,1]
	s_wait_dscnt 0x0
	v_pk_mul_f32 v[120:121], v[116:117], v[108:109] op_sel:[0,1]
	v_pk_fma_f32 v[122:123], v[116:117], v[106:107], v[120:121] op_sel:[0,0,1] op_sel_hi:[1,1,0] neg_lo:[0,0,1] neg_hi:[0,0,1]
	v_pk_fma_f32 v[116:117], v[116:117], v[106:107], v[120:121] op_sel:[0,0,1] op_sel_hi:[1,0,0]
	s_delay_alu instid0(VALU_DEP_1) | instskip(SKIP_1) | instid1(VALU_DEP_1)
	v_mov_b32_e32 v123, v117
	v_pk_mul_f32 v[116:117], v[118:119], v[108:109] op_sel:[0,1]
	v_pk_fma_f32 v[120:121], v[118:119], v[106:107], v[116:117] op_sel:[0,0,1] op_sel_hi:[1,1,0] neg_lo:[0,0,1] neg_hi:[0,0,1]
	v_pk_fma_f32 v[116:117], v[118:119], v[106:107], v[116:117] op_sel:[0,0,1] op_sel_hi:[1,0,0]
	s_delay_alu instid0(VALU_DEP_1)
	v_mov_b32_e32 v121, v117
	ds_load_2addr_b64 v[116:119], v110 offset0:18 offset1:19
	v_pk_add_f32 v[92:93], v[92:93], v[122:123] neg_lo:[0,1] neg_hi:[0,1]
	v_pk_add_f32 v[62:63], v[62:63], v[120:121] neg_lo:[0,1] neg_hi:[0,1]
	s_wait_dscnt 0x0
	v_pk_mul_f32 v[120:121], v[116:117], v[108:109] op_sel:[0,1]
	s_delay_alu instid0(VALU_DEP_1) | instskip(SKIP_1) | instid1(VALU_DEP_1)
	v_pk_fma_f32 v[122:123], v[116:117], v[106:107], v[120:121] op_sel:[0,0,1] op_sel_hi:[1,1,0] neg_lo:[0,0,1] neg_hi:[0,0,1]
	v_pk_fma_f32 v[116:117], v[116:117], v[106:107], v[120:121] op_sel:[0,0,1] op_sel_hi:[1,0,0]
	v_mov_b32_e32 v123, v117
	v_pk_mul_f32 v[116:117], v[118:119], v[108:109] op_sel:[0,1]
	s_delay_alu instid0(VALU_DEP_1) | instskip(SKIP_1) | instid1(VALU_DEP_1)
	v_pk_fma_f32 v[120:121], v[118:119], v[106:107], v[116:117] op_sel:[0,0,1] op_sel_hi:[1,1,0] neg_lo:[0,0,1] neg_hi:[0,0,1]
	v_pk_fma_f32 v[116:117], v[118:119], v[106:107], v[116:117] op_sel:[0,0,1] op_sel_hi:[1,0,0]
	v_mov_b32_e32 v121, v117
	ds_load_2addr_b64 v[116:119], v110 offset0:20 offset1:21
	v_pk_add_f32 v[64:65], v[64:65], v[122:123] neg_lo:[0,1] neg_hi:[0,1]
	v_pk_add_f32 v[60:61], v[60:61], v[120:121] neg_lo:[0,1] neg_hi:[0,1]
	s_wait_dscnt 0x0
	v_dual_mul_f32 v120, v117, v109 :: v_dual_mul_f32 v122, v117, v106
	s_delay_alu instid0(VALU_DEP_1) | instskip(NEXT) | instid1(VALU_DEP_2)
	v_pk_fma_f32 v[120:121], v[116:117], v[100:101], v[120:121] op_sel_hi:[1,1,0] neg_lo:[0,0,1] neg_hi:[0,0,1]
	v_pk_fma_f32 v[116:117], v[116:117], v[100:101], v[122:123] op_sel:[1,0,0] op_sel_hi:[0,1,0]
	s_delay_alu instid0(VALU_DEP_1) | instskip(SKIP_1) | instid1(VALU_DEP_2)
	v_mov_b32_e32 v121, v117
	v_pk_mul_f32 v[116:117], v[118:119], v[108:109] op_sel:[0,1]
	v_pk_add_f32 v[90:91], v[90:91], v[120:121] neg_lo:[0,1] neg_hi:[0,1]
	s_delay_alu instid0(VALU_DEP_2) | instskip(SKIP_1) | instid1(VALU_DEP_1)
	v_pk_fma_f32 v[120:121], v[118:119], v[106:107], v[116:117] op_sel:[0,0,1] op_sel_hi:[1,1,0] neg_lo:[0,0,1] neg_hi:[0,0,1]
	v_pk_fma_f32 v[116:117], v[118:119], v[106:107], v[116:117] op_sel:[0,0,1] op_sel_hi:[1,0,0]
	v_mov_b32_e32 v121, v117
	ds_load_2addr_b64 v[116:119], v110 offset0:22 offset1:23
	v_pk_add_f32 v[56:57], v[56:57], v[120:121] neg_lo:[0,1] neg_hi:[0,1]
	s_wait_dscnt 0x0
	v_pk_mul_f32 v[120:121], v[116:117], v[108:109] op_sel:[0,1]
	s_delay_alu instid0(VALU_DEP_1) | instskip(SKIP_1) | instid1(VALU_DEP_1)
	v_pk_fma_f32 v[122:123], v[116:117], v[106:107], v[120:121] op_sel:[0,0,1] op_sel_hi:[1,1,0] neg_lo:[0,0,1] neg_hi:[0,0,1]
	v_pk_fma_f32 v[116:117], v[116:117], v[106:107], v[120:121] op_sel:[0,0,1] op_sel_hi:[1,0,0]
	v_mov_b32_e32 v123, v117
	v_pk_mul_f32 v[116:117], v[118:119], v[108:109] op_sel:[0,1]
	s_delay_alu instid0(VALU_DEP_2) | instskip(NEXT) | instid1(VALU_DEP_2)
	v_pk_add_f32 v[58:59], v[58:59], v[122:123] neg_lo:[0,1] neg_hi:[0,1]
	v_pk_fma_f32 v[120:121], v[118:119], v[106:107], v[116:117] op_sel:[0,0,1] op_sel_hi:[1,1,0] neg_lo:[0,0,1] neg_hi:[0,0,1]
	v_pk_fma_f32 v[116:117], v[118:119], v[106:107], v[116:117] op_sel:[0,0,1] op_sel_hi:[1,0,0]
	s_delay_alu instid0(VALU_DEP_1) | instskip(SKIP_4) | instid1(VALU_DEP_1)
	v_mov_b32_e32 v121, v117
	ds_load_2addr_b64 v[116:119], v110 offset0:24 offset1:25
	v_pk_add_f32 v[54:55], v[54:55], v[120:121] neg_lo:[0,1] neg_hi:[0,1]
	s_wait_dscnt 0x0
	v_pk_mul_f32 v[120:121], v[116:117], v[108:109] op_sel:[0,1]
	v_pk_fma_f32 v[122:123], v[116:117], v[106:107], v[120:121] op_sel:[0,0,1] op_sel_hi:[1,1,0] neg_lo:[0,0,1] neg_hi:[0,0,1]
	v_pk_fma_f32 v[116:117], v[116:117], v[106:107], v[120:121] op_sel:[0,0,1] op_sel_hi:[1,0,0]
	v_dual_mul_f32 v120, v119, v109 :: v_dual_mov_b32 v116, v119
	s_delay_alu instid0(VALU_DEP_2) | instskip(NEXT) | instid1(VALU_DEP_2)
	v_dual_mov_b32 v123, v117 :: v_dual_mov_b32 v117, v118
	v_pk_fma_f32 v[120:121], v[118:119], v[100:101], v[120:121] op_sel_hi:[1,1,0] neg_lo:[0,0,1] neg_hi:[0,0,1]
	v_mul_f32_e32 v118, v119, v106
	s_delay_alu instid0(VALU_DEP_3) | instskip(NEXT) | instid1(VALU_DEP_2)
	v_pk_add_f32 v[86:87], v[86:87], v[122:123] neg_lo:[0,1] neg_hi:[0,1]
	v_pk_fma_f32 v[116:117], v[116:117], v[100:101], v[118:119] op_sel_hi:[1,1,0]
	s_delay_alu instid0(VALU_DEP_1) | instskip(SKIP_4) | instid1(VALU_DEP_1)
	v_mov_b32_e32 v121, v117
	ds_load_2addr_b64 v[116:119], v110 offset0:26 offset1:27
	v_pk_add_f32 v[38:39], v[38:39], v[120:121] neg_lo:[0,1] neg_hi:[0,1]
	s_wait_dscnt 0x0
	v_pk_mul_f32 v[120:121], v[116:117], v[108:109] op_sel:[0,1]
	v_pk_fma_f32 v[122:123], v[116:117], v[106:107], v[120:121] op_sel:[0,0,1] op_sel_hi:[1,1,0] neg_lo:[0,0,1] neg_hi:[0,0,1]
	v_pk_fma_f32 v[116:117], v[116:117], v[106:107], v[120:121] op_sel:[0,0,1] op_sel_hi:[1,0,0]
	s_delay_alu instid0(VALU_DEP_1) | instskip(SKIP_1) | instid1(VALU_DEP_1)
	v_mov_b32_e32 v123, v117
	v_pk_mul_f32 v[116:117], v[118:119], v[108:109] op_sel:[0,1]
	v_pk_fma_f32 v[120:121], v[118:119], v[106:107], v[116:117] op_sel:[0,0,1] op_sel_hi:[1,1,0] neg_lo:[0,0,1] neg_hi:[0,0,1]
	v_pk_fma_f32 v[116:117], v[118:119], v[106:107], v[116:117] op_sel:[0,0,1] op_sel_hi:[1,0,0]
	s_delay_alu instid0(VALU_DEP_1)
	v_mov_b32_e32 v121, v117
	ds_load_2addr_b64 v[116:119], v110 offset0:28 offset1:29
	v_pk_add_f32 v[42:43], v[42:43], v[122:123] neg_lo:[0,1] neg_hi:[0,1]
	v_pk_add_f32 v[36:37], v[36:37], v[120:121] neg_lo:[0,1] neg_hi:[0,1]
	s_wait_dscnt 0x0
	v_pk_mul_f32 v[120:121], v[116:117], v[108:109] op_sel:[0,1]
	s_delay_alu instid0(VALU_DEP_1) | instskip(SKIP_1) | instid1(VALU_DEP_1)
	v_pk_fma_f32 v[122:123], v[116:117], v[106:107], v[120:121] op_sel:[0,0,1] op_sel_hi:[1,1,0] neg_lo:[0,0,1] neg_hi:[0,0,1]
	v_pk_fma_f32 v[116:117], v[116:117], v[106:107], v[120:121] op_sel:[0,0,1] op_sel_hi:[1,0,0]
	v_mov_b32_e32 v123, v117
	v_pk_mul_f32 v[116:117], v[118:119], v[108:109] op_sel:[0,1]
	s_delay_alu instid0(VALU_DEP_1) | instskip(SKIP_1) | instid1(VALU_DEP_1)
	v_pk_fma_f32 v[120:121], v[118:119], v[106:107], v[116:117] op_sel:[0,0,1] op_sel_hi:[1,1,0] neg_lo:[0,0,1] neg_hi:[0,0,1]
	v_pk_fma_f32 v[116:117], v[118:119], v[106:107], v[116:117] op_sel:[0,0,1] op_sel_hi:[1,0,0]
	v_mov_b32_e32 v121, v117
	ds_load_2addr_b64 v[116:119], v110 offset0:30 offset1:31
	v_pk_add_f32 v[82:83], v[82:83], v[122:123] neg_lo:[0,1] neg_hi:[0,1]
	v_pk_add_f32 v[32:33], v[32:33], v[120:121] neg_lo:[0,1] neg_hi:[0,1]
	s_wait_dscnt 0x0
	v_dual_mul_f32 v120, v117, v109 :: v_dual_mul_f32 v122, v117, v106
	s_delay_alu instid0(VALU_DEP_1) | instskip(NEXT) | instid1(VALU_DEP_2)
	v_pk_fma_f32 v[120:121], v[116:117], v[100:101], v[120:121] op_sel_hi:[1,1,0] neg_lo:[0,0,1] neg_hi:[0,0,1]
	v_pk_fma_f32 v[116:117], v[116:117], v[100:101], v[122:123] op_sel:[1,0,0] op_sel_hi:[0,1,0]
	s_delay_alu instid0(VALU_DEP_1) | instskip(SKIP_1) | instid1(VALU_DEP_2)
	v_mov_b32_e32 v121, v117
	v_pk_mul_f32 v[116:117], v[118:119], v[108:109] op_sel:[0,1]
	v_pk_add_f32 v[34:35], v[34:35], v[120:121] neg_lo:[0,1] neg_hi:[0,1]
	s_delay_alu instid0(VALU_DEP_2) | instskip(SKIP_1) | instid1(VALU_DEP_1)
	v_pk_fma_f32 v[120:121], v[118:119], v[106:107], v[116:117] op_sel:[0,0,1] op_sel_hi:[1,1,0] neg_lo:[0,0,1] neg_hi:[0,0,1]
	v_pk_fma_f32 v[116:117], v[118:119], v[106:107], v[116:117] op_sel:[0,0,1] op_sel_hi:[1,0,0]
	v_mov_b32_e32 v121, v117
	ds_load_2addr_b64 v[116:119], v110 offset0:32 offset1:33
	v_pk_add_f32 v[30:31], v[30:31], v[120:121] neg_lo:[0,1] neg_hi:[0,1]
	s_wait_dscnt 0x0
	v_pk_mul_f32 v[120:121], v[116:117], v[108:109] op_sel:[0,1]
	s_delay_alu instid0(VALU_DEP_1) | instskip(SKIP_1) | instid1(VALU_DEP_1)
	v_pk_fma_f32 v[122:123], v[116:117], v[106:107], v[120:121] op_sel:[0,0,1] op_sel_hi:[1,1,0] neg_lo:[0,0,1] neg_hi:[0,0,1]
	v_pk_fma_f32 v[116:117], v[116:117], v[106:107], v[120:121] op_sel:[0,0,1] op_sel_hi:[1,0,0]
	v_mov_b32_e32 v123, v117
	v_pk_mul_f32 v[116:117], v[118:119], v[108:109] op_sel:[0,1]
	s_delay_alu instid0(VALU_DEP_2) | instskip(NEXT) | instid1(VALU_DEP_2)
	v_pk_add_f32 v[80:81], v[80:81], v[122:123] neg_lo:[0,1] neg_hi:[0,1]
	v_pk_fma_f32 v[120:121], v[118:119], v[106:107], v[116:117] op_sel:[0,0,1] op_sel_hi:[1,1,0] neg_lo:[0,0,1] neg_hi:[0,0,1]
	v_pk_fma_f32 v[116:117], v[118:119], v[106:107], v[116:117] op_sel:[0,0,1] op_sel_hi:[1,0,0]
	s_delay_alu instid0(VALU_DEP_1) | instskip(SKIP_4) | instid1(VALU_DEP_1)
	v_mov_b32_e32 v121, v117
	ds_load_2addr_b64 v[116:119], v110 offset0:34 offset1:35
	v_pk_add_f32 v[24:25], v[24:25], v[120:121] neg_lo:[0,1] neg_hi:[0,1]
	s_wait_dscnt 0x0
	v_pk_mul_f32 v[120:121], v[116:117], v[108:109] op_sel:[0,1]
	v_pk_fma_f32 v[122:123], v[116:117], v[106:107], v[120:121] op_sel:[0,0,1] op_sel_hi:[1,1,0] neg_lo:[0,0,1] neg_hi:[0,0,1]
	v_pk_fma_f32 v[116:117], v[116:117], v[106:107], v[120:121] op_sel:[0,0,1] op_sel_hi:[1,0,0]
	v_dual_mul_f32 v120, v119, v109 :: v_dual_mov_b32 v116, v119
	s_delay_alu instid0(VALU_DEP_2) | instskip(NEXT) | instid1(VALU_DEP_2)
	v_dual_mov_b32 v123, v117 :: v_dual_mov_b32 v117, v118
	v_pk_fma_f32 v[120:121], v[118:119], v[100:101], v[120:121] op_sel_hi:[1,1,0] neg_lo:[0,0,1] neg_hi:[0,0,1]
	v_mul_f32_e32 v118, v119, v106
	s_delay_alu instid0(VALU_DEP_3) | instskip(NEXT) | instid1(VALU_DEP_2)
	v_pk_add_f32 v[26:27], v[26:27], v[122:123] neg_lo:[0,1] neg_hi:[0,1]
	v_pk_fma_f32 v[116:117], v[116:117], v[100:101], v[118:119] op_sel_hi:[1,1,0]
	s_delay_alu instid0(VALU_DEP_1) | instskip(SKIP_4) | instid1(VALU_DEP_1)
	v_mov_b32_e32 v121, v117
	ds_load_2addr_b64 v[116:119], v110 offset0:36 offset1:37
	v_pk_add_f32 v[22:23], v[22:23], v[120:121] neg_lo:[0,1] neg_hi:[0,1]
	s_wait_dscnt 0x0
	v_pk_mul_f32 v[120:121], v[116:117], v[108:109] op_sel:[0,1]
	v_pk_fma_f32 v[122:123], v[116:117], v[106:107], v[120:121] op_sel:[0,0,1] op_sel_hi:[1,1,0] neg_lo:[0,0,1] neg_hi:[0,0,1]
	v_pk_fma_f32 v[116:117], v[116:117], v[106:107], v[120:121] op_sel:[0,0,1] op_sel_hi:[1,0,0]
	s_delay_alu instid0(VALU_DEP_1) | instskip(SKIP_1) | instid1(VALU_DEP_1)
	v_mov_b32_e32 v123, v117
	v_pk_mul_f32 v[116:117], v[118:119], v[108:109] op_sel:[0,1]
	v_pk_fma_f32 v[120:121], v[118:119], v[106:107], v[116:117] op_sel:[0,0,1] op_sel_hi:[1,1,0] neg_lo:[0,0,1] neg_hi:[0,0,1]
	v_pk_fma_f32 v[116:117], v[118:119], v[106:107], v[116:117] op_sel:[0,0,1] op_sel_hi:[1,0,0]
	s_delay_alu instid0(VALU_DEP_1)
	v_mov_b32_e32 v121, v117
	ds_load_2addr_b64 v[116:119], v110 offset0:38 offset1:39
	v_pk_add_f32 v[78:79], v[78:79], v[122:123] neg_lo:[0,1] neg_hi:[0,1]
	v_pk_add_f32 v[18:19], v[18:19], v[120:121] neg_lo:[0,1] neg_hi:[0,1]
	s_wait_dscnt 0x0
	v_pk_mul_f32 v[120:121], v[116:117], v[108:109] op_sel:[0,1]
	s_delay_alu instid0(VALU_DEP_1) | instskip(SKIP_1) | instid1(VALU_DEP_1)
	v_pk_fma_f32 v[122:123], v[116:117], v[106:107], v[120:121] op_sel:[0,0,1] op_sel_hi:[1,1,0] neg_lo:[0,0,1] neg_hi:[0,0,1]
	v_pk_fma_f32 v[116:117], v[116:117], v[106:107], v[120:121] op_sel:[0,0,1] op_sel_hi:[1,0,0]
	v_mov_b32_e32 v123, v117
	v_pk_mul_f32 v[116:117], v[118:119], v[108:109] op_sel:[0,1]
	s_delay_alu instid0(VALU_DEP_1) | instskip(SKIP_1) | instid1(VALU_DEP_1)
	v_pk_fma_f32 v[120:121], v[118:119], v[106:107], v[116:117] op_sel:[0,0,1] op_sel_hi:[1,1,0] neg_lo:[0,0,1] neg_hi:[0,0,1]
	v_pk_fma_f32 v[116:117], v[118:119], v[106:107], v[116:117] op_sel:[0,0,1] op_sel_hi:[1,0,0]
	v_mov_b32_e32 v121, v117
	ds_load_2addr_b64 v[116:119], v110 offset0:40 offset1:41
	v_pk_add_f32 v[20:21], v[20:21], v[122:123] neg_lo:[0,1] neg_hi:[0,1]
	v_pk_add_f32 v[16:17], v[16:17], v[120:121] neg_lo:[0,1] neg_hi:[0,1]
	s_wait_dscnt 0x0
	v_dual_mul_f32 v120, v117, v109 :: v_dual_mul_f32 v122, v117, v106
	s_delay_alu instid0(VALU_DEP_1) | instskip(NEXT) | instid1(VALU_DEP_2)
	v_pk_fma_f32 v[120:121], v[116:117], v[100:101], v[120:121] op_sel_hi:[1,1,0] neg_lo:[0,0,1] neg_hi:[0,0,1]
	v_pk_fma_f32 v[116:117], v[116:117], v[100:101], v[122:123] op_sel:[1,0,0] op_sel_hi:[0,1,0]
	s_delay_alu instid0(VALU_DEP_1) | instskip(SKIP_1) | instid1(VALU_DEP_2)
	v_mov_b32_e32 v121, v117
	v_pk_mul_f32 v[116:117], v[118:119], v[108:109] op_sel:[0,1]
	v_pk_add_f32 v[76:77], v[76:77], v[120:121] neg_lo:[0,1] neg_hi:[0,1]
	s_delay_alu instid0(VALU_DEP_2) | instskip(SKIP_1) | instid1(VALU_DEP_1)
	v_pk_fma_f32 v[120:121], v[118:119], v[106:107], v[116:117] op_sel:[0,0,1] op_sel_hi:[1,1,0] neg_lo:[0,0,1] neg_hi:[0,0,1]
	v_pk_fma_f32 v[116:117], v[118:119], v[106:107], v[116:117] op_sel:[0,0,1] op_sel_hi:[1,0,0]
	v_mov_b32_e32 v121, v117
	ds_load_2addr_b64 v[116:119], v110 offset0:42 offset1:43
	v_pk_add_f32 v[10:11], v[10:11], v[120:121] neg_lo:[0,1] neg_hi:[0,1]
	s_wait_dscnt 0x0
	v_pk_mul_f32 v[120:121], v[116:117], v[108:109] op_sel:[0,1]
	s_delay_alu instid0(VALU_DEP_1) | instskip(SKIP_1) | instid1(VALU_DEP_1)
	v_pk_fma_f32 v[122:123], v[116:117], v[106:107], v[120:121] op_sel:[0,0,1] op_sel_hi:[1,1,0] neg_lo:[0,0,1] neg_hi:[0,0,1]
	v_pk_fma_f32 v[116:117], v[116:117], v[106:107], v[120:121] op_sel:[0,0,1] op_sel_hi:[1,0,0]
	v_mov_b32_e32 v123, v117
	v_pk_mul_f32 v[116:117], v[118:119], v[108:109] op_sel:[0,1]
	s_delay_alu instid0(VALU_DEP_2) | instskip(NEXT) | instid1(VALU_DEP_2)
	v_pk_add_f32 v[12:13], v[12:13], v[122:123] neg_lo:[0,1] neg_hi:[0,1]
	v_pk_fma_f32 v[120:121], v[118:119], v[106:107], v[116:117] op_sel:[0,0,1] op_sel_hi:[1,1,0] neg_lo:[0,0,1] neg_hi:[0,0,1]
	v_pk_fma_f32 v[116:117], v[118:119], v[106:107], v[116:117] op_sel:[0,0,1] op_sel_hi:[1,0,0]
	s_delay_alu instid0(VALU_DEP_1) | instskip(SKIP_4) | instid1(VALU_DEP_1)
	v_mov_b32_e32 v121, v117
	ds_load_2addr_b64 v[116:119], v110 offset0:44 offset1:45
	v_pk_add_f32 v[8:9], v[8:9], v[120:121] neg_lo:[0,1] neg_hi:[0,1]
	s_wait_dscnt 0x0
	v_pk_mul_f32 v[120:121], v[116:117], v[108:109] op_sel:[0,1]
	v_pk_fma_f32 v[122:123], v[116:117], v[106:107], v[120:121] op_sel:[0,0,1] op_sel_hi:[1,1,0] neg_lo:[0,0,1] neg_hi:[0,0,1]
	v_pk_fma_f32 v[116:117], v[116:117], v[106:107], v[120:121] op_sel:[0,0,1] op_sel_hi:[1,0,0]
	v_dual_mul_f32 v120, v119, v109 :: v_dual_mov_b32 v116, v119
	s_delay_alu instid0(VALU_DEP_2) | instskip(NEXT) | instid1(VALU_DEP_2)
	v_dual_mov_b32 v123, v117 :: v_dual_mov_b32 v117, v118
	v_pk_fma_f32 v[120:121], v[118:119], v[100:101], v[120:121] op_sel_hi:[1,1,0] neg_lo:[0,0,1] neg_hi:[0,0,1]
	v_mul_f32_e32 v118, v119, v106
	s_delay_alu instid0(VALU_DEP_3) | instskip(NEXT) | instid1(VALU_DEP_2)
	v_pk_add_f32 v[70:71], v[70:71], v[122:123] neg_lo:[0,1] neg_hi:[0,1]
	v_pk_fma_f32 v[116:117], v[116:117], v[100:101], v[118:119] op_sel_hi:[1,1,0]
	s_delay_alu instid0(VALU_DEP_1) | instskip(SKIP_4) | instid1(VALU_DEP_1)
	v_mov_b32_e32 v121, v117
	ds_load_2addr_b64 v[116:119], v110 offset0:46 offset1:47
	v_pk_add_f32 v[6:7], v[6:7], v[120:121] neg_lo:[0,1] neg_hi:[0,1]
	s_wait_dscnt 0x0
	v_pk_mul_f32 v[120:121], v[116:117], v[108:109] op_sel:[0,1]
	v_pk_fma_f32 v[122:123], v[116:117], v[106:107], v[120:121] op_sel:[0,0,1] op_sel_hi:[1,1,0] neg_lo:[0,0,1] neg_hi:[0,0,1]
	v_pk_fma_f32 v[116:117], v[116:117], v[106:107], v[120:121] op_sel:[0,0,1] op_sel_hi:[1,0,0]
	s_delay_alu instid0(VALU_DEP_1) | instskip(SKIP_1) | instid1(VALU_DEP_1)
	v_mov_b32_e32 v123, v117
	v_pk_mul_f32 v[116:117], v[118:119], v[108:109] op_sel:[0,1]
	v_pk_fma_f32 v[120:121], v[118:119], v[106:107], v[116:117] op_sel:[0,0,1] op_sel_hi:[1,1,0] neg_lo:[0,0,1] neg_hi:[0,0,1]
	v_pk_fma_f32 v[116:117], v[118:119], v[106:107], v[116:117] op_sel:[0,0,1] op_sel_hi:[1,0,0]
	s_delay_alu instid0(VALU_DEP_1)
	v_mov_b32_e32 v121, v117
	ds_load_2addr_b64 v[116:119], v110 offset0:48 offset1:49
	v_pk_add_f32 v[46:47], v[46:47], v[122:123] neg_lo:[0,1] neg_hi:[0,1]
	v_pk_add_f32 v[28:29], v[28:29], v[120:121] neg_lo:[0,1] neg_hi:[0,1]
	s_wait_dscnt 0x0
	v_pk_mul_f32 v[120:121], v[116:117], v[108:109] op_sel:[0,1]
	v_mul_f32_e32 v108, v119, v109
	s_delay_alu instid0(VALU_DEP_2) | instskip(SKIP_2) | instid1(VALU_DEP_4)
	v_pk_fma_f32 v[122:123], v[116:117], v[106:107], v[120:121] op_sel:[0,0,1] op_sel_hi:[1,1,0] neg_lo:[0,0,1] neg_hi:[0,0,1]
	v_pk_fma_f32 v[116:117], v[116:117], v[106:107], v[120:121] op_sel:[0,0,1] op_sel_hi:[1,0,0]
	v_dual_mov_b32 v116, v119 :: v_dual_mul_f32 v106, v119, v106
	v_pk_fma_f32 v[108:109], v[118:119], v[100:101], v[108:109] op_sel_hi:[1,1,0] neg_lo:[0,0,1] neg_hi:[0,0,1]
	s_delay_alu instid0(VALU_DEP_3) | instskip(NEXT) | instid1(VALU_DEP_1)
	v_dual_mov_b32 v123, v117 :: v_dual_mov_b32 v117, v118
	v_pk_add_f32 v[14:15], v[14:15], v[122:123] neg_lo:[0,1] neg_hi:[0,1]
	s_delay_alu instid0(VALU_DEP_2) | instskip(NEXT) | instid1(VALU_DEP_1)
	v_pk_fma_f32 v[106:107], v[116:117], v[100:101], v[106:107] op_sel_hi:[1,1,0]
	v_mov_b32_e32 v109, v107
	s_delay_alu instid0(VALU_DEP_1)
	v_pk_add_f32 v[104:105], v[104:105], v[108:109] neg_lo:[0,1] neg_hi:[0,1]
.LBB98_41:
	s_or_b32 exec_lo, exec_lo, s0
	v_lshl_add_u32 v106, v114, 3, v110
	s_barrier_signal -1
	s_barrier_wait -1
	ds_store_b64 v106, v[98:99]
	s_wait_dscnt 0x0
	s_barrier_signal -1
	s_barrier_wait -1
	ds_load_b64 v[108:109], v110 offset:16
	v_mov_b32_e32 v106, 2
	s_cmp_lt_i32 s18, 4
	s_mov_b32 s0, 3
	s_cbranch_scc1 .LBB98_44
; %bb.42:
	v_add3_u32 v107, v111, 0, 24
	v_mov_b32_e32 v106, 2
.LBB98_43:                              ; =>This Inner Loop Header: Depth=1
	ds_load_b64 v[116:117], v107
	s_wait_dscnt 0x1
	v_cmp_gt_f32_e32 vcc_lo, 0, v108
	v_cndmask_b32_e64 v118, v108, -v108, vcc_lo
	v_cmp_gt_f32_e32 vcc_lo, 0, v109
	v_cndmask_b32_e64 v120, v109, -v109, vcc_lo
	s_wait_dscnt 0x0
	v_cmp_gt_f32_e32 vcc_lo, 0, v116
	v_cndmask_b32_e64 v119, v116, -v116, vcc_lo
	v_cmp_gt_f32_e32 vcc_lo, 0, v117
	v_cndmask_b32_e64 v121, v117, -v117, vcc_lo
	s_delay_alu instid0(VALU_DEP_1) | instskip(NEXT) | instid1(VALU_DEP_1)
	v_pk_add_f32 v[118:119], v[118:119], v[120:121]
	v_cmp_lt_f32_e32 vcc_lo, v118, v119
	v_dual_add_nc_u32 v107, 8, v107 :: v_dual_cndmask_b32 v109, v109, v117, vcc_lo
	v_cndmask_b32_e32 v108, v108, v116, vcc_lo
	v_cndmask_b32_e64 v106, v106, s0, vcc_lo
	s_add_co_i32 s0, s0, 1
	s_delay_alu instid0(SALU_CYCLE_1)
	s_cmp_lg_u32 s18, s0
	s_cbranch_scc1 .LBB98_43
.LBB98_44:
	s_wait_dscnt 0x0
	v_cmp_eq_f32_e32 vcc_lo, 0, v108
	v_cmp_eq_f32_e64 s0, 0, v109
	s_and_b32 s0, vcc_lo, s0
	s_delay_alu instid0(SALU_CYCLE_1) | instskip(NEXT) | instid1(SALU_CYCLE_1)
	s_and_saveexec_b32 s1, s0
	s_xor_b32 s0, exec_lo, s1
; %bb.45:
	v_cmp_ne_u32_e32 vcc_lo, 0, v112
	v_cndmask_b32_e32 v112, 3, v112, vcc_lo
; %bb.46:
	s_and_not1_saveexec_b32 s0, s0
	s_cbranch_execz .LBB98_52
; %bb.47:
	v_cmp_ngt_f32_e64 s1, |v108|, |v109|
	s_and_saveexec_b32 s12, s1
	s_delay_alu instid0(SALU_CYCLE_1)
	s_xor_b32 s1, exec_lo, s12
	s_cbranch_execz .LBB98_49
; %bb.48:
	v_div_scale_f32 v107, null, v109, v109, v108
	v_div_scale_f32 v117, vcc_lo, v108, v109, v108
	s_delay_alu instid0(VALU_DEP_2) | instskip(SKIP_1) | instid1(TRANS32_DEP_1)
	v_rcp_f32_e32 v115, v107
	v_nop
	v_fma_f32 v116, -v107, v115, 1.0
	s_delay_alu instid0(VALU_DEP_1) | instskip(NEXT) | instid1(VALU_DEP_1)
	v_fmac_f32_e32 v115, v116, v115
	v_mul_f32_e32 v116, v117, v115
	s_delay_alu instid0(VALU_DEP_1) | instskip(NEXT) | instid1(VALU_DEP_1)
	v_fma_f32 v118, -v107, v116, v117
	v_fmac_f32_e32 v116, v118, v115
	s_delay_alu instid0(VALU_DEP_1) | instskip(NEXT) | instid1(VALU_DEP_1)
	v_fma_f32 v107, -v107, v116, v117
	v_div_fmas_f32 v107, v107, v115, v116
	s_delay_alu instid0(VALU_DEP_1) | instskip(NEXT) | instid1(VALU_DEP_1)
	v_div_fixup_f32 v107, v107, v109, v108
	v_fmac_f32_e32 v109, v108, v107
	s_delay_alu instid0(VALU_DEP_1) | instskip(SKIP_1) | instid1(VALU_DEP_2)
	v_div_scale_f32 v108, null, v109, v109, 1.0
	v_div_scale_f32 v117, vcc_lo, 1.0, v109, 1.0
	v_rcp_f32_e32 v115, v108
	v_nop
	s_delay_alu instid0(TRANS32_DEP_1) | instskip(NEXT) | instid1(VALU_DEP_1)
	v_fma_f32 v116, -v108, v115, 1.0
	v_fmac_f32_e32 v115, v116, v115
	s_delay_alu instid0(VALU_DEP_1) | instskip(NEXT) | instid1(VALU_DEP_1)
	v_mul_f32_e32 v116, v117, v115
	v_fma_f32 v118, -v108, v116, v117
	s_delay_alu instid0(VALU_DEP_1) | instskip(NEXT) | instid1(VALU_DEP_1)
	v_fmac_f32_e32 v116, v118, v115
	v_fma_f32 v108, -v108, v116, v117
	s_delay_alu instid0(VALU_DEP_1) | instskip(NEXT) | instid1(VALU_DEP_1)
	v_div_fmas_f32 v108, v108, v115, v116
	v_div_fixup_f32 v109, v108, v109, 1.0
	s_delay_alu instid0(VALU_DEP_1)
	v_mul_f32_e32 v108, v107, v109
	v_xor_b32_e32 v109, 0x80000000, v109
.LBB98_49:
	s_and_not1_saveexec_b32 s1, s1
	s_cbranch_execz .LBB98_51
; %bb.50:
	s_delay_alu instid0(VALU_DEP_1) | instskip(SKIP_1) | instid1(VALU_DEP_2)
	v_div_scale_f32 v107, null, v108, v108, v109
	v_div_scale_f32 v117, vcc_lo, v109, v108, v109
	v_rcp_f32_e32 v115, v107
	v_nop
	s_delay_alu instid0(TRANS32_DEP_1) | instskip(NEXT) | instid1(VALU_DEP_1)
	v_fma_f32 v116, -v107, v115, 1.0
	v_fmac_f32_e32 v115, v116, v115
	s_delay_alu instid0(VALU_DEP_1) | instskip(NEXT) | instid1(VALU_DEP_1)
	v_mul_f32_e32 v116, v117, v115
	v_fma_f32 v118, -v107, v116, v117
	s_delay_alu instid0(VALU_DEP_1) | instskip(NEXT) | instid1(VALU_DEP_1)
	v_fmac_f32_e32 v116, v118, v115
	v_fma_f32 v107, -v107, v116, v117
	s_delay_alu instid0(VALU_DEP_1) | instskip(NEXT) | instid1(VALU_DEP_1)
	v_div_fmas_f32 v107, v107, v115, v116
	v_div_fixup_f32 v107, v107, v108, v109
	s_delay_alu instid0(VALU_DEP_1) | instskip(NEXT) | instid1(VALU_DEP_1)
	v_fmac_f32_e32 v108, v109, v107
	v_div_scale_f32 v109, null, v108, v108, 1.0
	s_delay_alu instid0(VALU_DEP_1) | instskip(SKIP_1) | instid1(TRANS32_DEP_1)
	v_rcp_f32_e32 v115, v109
	v_nop
	v_fma_f32 v116, -v109, v115, 1.0
	s_delay_alu instid0(VALU_DEP_1) | instskip(SKIP_1) | instid1(VALU_DEP_1)
	v_fmac_f32_e32 v115, v116, v115
	v_div_scale_f32 v116, vcc_lo, 1.0, v108, 1.0
	v_mul_f32_e32 v117, v116, v115
	s_delay_alu instid0(VALU_DEP_1) | instskip(NEXT) | instid1(VALU_DEP_1)
	v_fma_f32 v118, -v109, v117, v116
	v_fmac_f32_e32 v117, v118, v115
	s_delay_alu instid0(VALU_DEP_1) | instskip(NEXT) | instid1(VALU_DEP_1)
	v_fma_f32 v109, -v109, v117, v116
	v_div_fmas_f32 v109, v109, v115, v117
	s_delay_alu instid0(VALU_DEP_1) | instskip(NEXT) | instid1(VALU_DEP_1)
	v_div_fixup_f32 v108, v109, v108, 1.0
	v_mul_f32_e64 v109, v107, -v108
.LBB98_51:
	s_or_b32 exec_lo, exec_lo, s1
.LBB98_52:
	s_delay_alu instid0(SALU_CYCLE_1) | instskip(NEXT) | instid1(SALU_CYCLE_1)
	s_or_b32 exec_lo, exec_lo, s0
	s_mov_b32 s0, exec_lo
	v_cmpx_ne_u32_e64 v114, v106
	s_xor_b32 s0, exec_lo, s0
	s_cbranch_execz .LBB98_58
; %bb.53:
	s_mov_b32 s1, exec_lo
	v_cmpx_eq_u32_e32 2, v114
	s_cbranch_execz .LBB98_57
; %bb.54:
	v_cmp_ne_u32_e32 vcc_lo, 2, v106
	s_xor_b32 s12, s16, -1
	s_delay_alu instid0(SALU_CYCLE_1) | instskip(NEXT) | instid1(SALU_CYCLE_1)
	s_and_b32 s13, s12, vcc_lo
	s_and_saveexec_b32 s12, s13
	s_cbranch_execz .LBB98_56
; %bb.55:
	v_ashrrev_i32_e32 v107, 31, v106
	s_delay_alu instid0(VALU_DEP_1)
	v_lshl_add_u64 v[114:115], v[106:107], 2, v[4:5]
	s_clause 0x1
	global_load_b32 v107, v[114:115], off
	global_load_b32 v113, v[4:5], off offset:8
	s_wait_loadcnt 0x1
	global_store_b32 v[4:5], v107, off offset:8
	s_wait_loadcnt 0x0
	global_store_b32 v[114:115], v113, off
.LBB98_56:
	s_wait_xcnt 0x0
	s_or_b32 exec_lo, exec_lo, s12
	v_dual_mov_b32 v114, v106 :: v_dual_mov_b32 v113, v106
.LBB98_57:
	s_or_b32 exec_lo, exec_lo, s1
.LBB98_58:
	s_and_not1_saveexec_b32 s0, s0
	s_cbranch_execz .LBB98_60
; %bb.59:
	v_mov_b32_e32 v114, 2
	ds_store_2addr_b64 v110, v[96:97], v[84:85] offset0:3 offset1:4
	ds_store_2addr_b64 v110, v[74:75], v[44:45] offset0:5 offset1:6
	;; [unrolled: 1-line block ×23, first 2 shown]
	ds_store_b64 v110, v[104:105] offset:392
.LBB98_60:
	s_or_b32 exec_lo, exec_lo, s0
	s_delay_alu instid0(SALU_CYCLE_1)
	s_mov_b32 s0, exec_lo
	s_wait_storecnt_dscnt 0x0
	s_barrier_signal -1
	s_barrier_wait -1
	v_cmpx_lt_i32_e32 2, v114
	s_cbranch_execz .LBB98_62
; %bb.61:
	v_pk_mul_f32 v[116:117], v[108:109], v[98:99] op_sel:[1,1] op_sel_hi:[0,1]
	s_delay_alu instid0(VALU_DEP_1)
	v_pk_fma_f32 v[106:107], v[108:109], v[98:99], v[116:117] op_sel_hi:[1,0,1] neg_lo:[0,0,1] neg_hi:[0,0,1]
	v_pk_fma_f32 v[108:109], v[108:109], v[98:99], v[116:117] op_sel_hi:[1,0,1]
	ds_load_2addr_b64 v[116:119], v110 offset0:3 offset1:4
	v_dual_mov_b32 v98, v106 :: v_dual_mov_b32 v99, v109
	s_wait_dscnt 0x0
	v_pk_mul_f32 v[120:121], v[116:117], v[108:109] op_sel:[0,1]
	s_delay_alu instid0(VALU_DEP_1) | instskip(SKIP_1) | instid1(VALU_DEP_1)
	v_pk_fma_f32 v[122:123], v[116:117], v[106:107], v[120:121] op_sel:[0,0,1] op_sel_hi:[1,1,0] neg_lo:[0,0,1] neg_hi:[0,0,1]
	v_pk_fma_f32 v[116:117], v[116:117], v[106:107], v[120:121] op_sel:[0,0,1] op_sel_hi:[1,0,0]
	v_mov_b32_e32 v123, v117
	v_pk_mul_f32 v[116:117], v[118:119], v[108:109] op_sel:[0,1]
	s_delay_alu instid0(VALU_DEP_1) | instskip(SKIP_1) | instid1(VALU_DEP_1)
	v_pk_fma_f32 v[120:121], v[118:119], v[106:107], v[116:117] op_sel:[0,0,1] op_sel_hi:[1,1,0] neg_lo:[0,0,1] neg_hi:[0,0,1]
	v_pk_fma_f32 v[116:117], v[118:119], v[106:107], v[116:117] op_sel:[0,0,1] op_sel_hi:[1,0,0]
	v_mov_b32_e32 v121, v117
	ds_load_2addr_b64 v[116:119], v110 offset0:5 offset1:6
	v_pk_add_f32 v[96:97], v[96:97], v[122:123] neg_lo:[0,1] neg_hi:[0,1]
	v_pk_add_f32 v[84:85], v[84:85], v[120:121] neg_lo:[0,1] neg_hi:[0,1]
	s_wait_dscnt 0x0
	v_pk_mul_f32 v[120:121], v[116:117], v[108:109] op_sel:[0,1]
	s_delay_alu instid0(VALU_DEP_1) | instskip(SKIP_2) | instid1(VALU_DEP_2)
	v_pk_fma_f32 v[122:123], v[116:117], v[106:107], v[120:121] op_sel:[0,0,1] op_sel_hi:[1,1,0] neg_lo:[0,0,1] neg_hi:[0,0,1]
	v_pk_fma_f32 v[116:117], v[116:117], v[106:107], v[120:121] op_sel:[0,0,1] op_sel_hi:[1,0,0]
	v_dual_mul_f32 v120, v119, v109 :: v_dual_mov_b32 v116, v119
	v_dual_mov_b32 v123, v117 :: v_dual_mov_b32 v117, v118
	s_delay_alu instid0(VALU_DEP_2) | instskip(SKIP_1) | instid1(VALU_DEP_3)
	v_pk_fma_f32 v[120:121], v[118:119], v[98:99], v[120:121] op_sel_hi:[1,1,0] neg_lo:[0,0,1] neg_hi:[0,0,1]
	v_mul_f32_e32 v118, v119, v106
	v_pk_add_f32 v[74:75], v[74:75], v[122:123] neg_lo:[0,1] neg_hi:[0,1]
	s_delay_alu instid0(VALU_DEP_2) | instskip(NEXT) | instid1(VALU_DEP_1)
	v_pk_fma_f32 v[116:117], v[116:117], v[98:99], v[118:119] op_sel_hi:[1,1,0]
	v_mov_b32_e32 v121, v117
	ds_load_2addr_b64 v[116:119], v110 offset0:7 offset1:8
	v_pk_add_f32 v[44:45], v[44:45], v[120:121] neg_lo:[0,1] neg_hi:[0,1]
	s_wait_dscnt 0x0
	v_pk_mul_f32 v[120:121], v[116:117], v[108:109] op_sel:[0,1]
	s_delay_alu instid0(VALU_DEP_1) | instskip(SKIP_1) | instid1(VALU_DEP_1)
	v_pk_fma_f32 v[122:123], v[116:117], v[106:107], v[120:121] op_sel:[0,0,1] op_sel_hi:[1,1,0] neg_lo:[0,0,1] neg_hi:[0,0,1]
	v_pk_fma_f32 v[116:117], v[116:117], v[106:107], v[120:121] op_sel:[0,0,1] op_sel_hi:[1,0,0]
	v_mov_b32_e32 v123, v117
	v_pk_mul_f32 v[116:117], v[118:119], v[108:109] op_sel:[0,1]
	s_delay_alu instid0(VALU_DEP_1) | instskip(SKIP_1) | instid1(VALU_DEP_1)
	v_pk_fma_f32 v[120:121], v[118:119], v[106:107], v[116:117] op_sel:[0,0,1] op_sel_hi:[1,1,0] neg_lo:[0,0,1] neg_hi:[0,0,1]
	v_pk_fma_f32 v[116:117], v[118:119], v[106:107], v[116:117] op_sel:[0,0,1] op_sel_hi:[1,0,0]
	v_mov_b32_e32 v121, v117
	ds_load_2addr_b64 v[116:119], v110 offset0:9 offset1:10
	v_pk_add_f32 v[40:41], v[40:41], v[122:123] neg_lo:[0,1] neg_hi:[0,1]
	v_pk_add_f32 v[88:89], v[88:89], v[120:121] neg_lo:[0,1] neg_hi:[0,1]
	s_wait_dscnt 0x0
	v_pk_mul_f32 v[120:121], v[116:117], v[108:109] op_sel:[0,1]
	s_delay_alu instid0(VALU_DEP_1) | instskip(SKIP_1) | instid1(VALU_DEP_1)
	v_pk_fma_f32 v[122:123], v[116:117], v[106:107], v[120:121] op_sel:[0,0,1] op_sel_hi:[1,1,0] neg_lo:[0,0,1] neg_hi:[0,0,1]
	v_pk_fma_f32 v[116:117], v[116:117], v[106:107], v[120:121] op_sel:[0,0,1] op_sel_hi:[1,0,0]
	v_mov_b32_e32 v123, v117
	v_pk_mul_f32 v[116:117], v[118:119], v[108:109] op_sel:[0,1]
	s_delay_alu instid0(VALU_DEP_1) | instskip(SKIP_1) | instid1(VALU_DEP_1)
	v_pk_fma_f32 v[120:121], v[118:119], v[106:107], v[116:117] op_sel:[0,0,1] op_sel_hi:[1,1,0] neg_lo:[0,0,1] neg_hi:[0,0,1]
	v_pk_fma_f32 v[116:117], v[118:119], v[106:107], v[116:117] op_sel:[0,0,1] op_sel_hi:[1,0,0]
	v_mov_b32_e32 v121, v117
	ds_load_2addr_b64 v[116:119], v110 offset0:11 offset1:12
	v_pk_add_f32 v[50:51], v[50:51], v[122:123] neg_lo:[0,1] neg_hi:[0,1]
	v_pk_add_f32 v[52:53], v[52:53], v[120:121] neg_lo:[0,1] neg_hi:[0,1]
	s_wait_dscnt 0x0
	v_dual_mul_f32 v120, v117, v109 :: v_dual_mul_f32 v122, v117, v106
	s_delay_alu instid0(VALU_DEP_1) | instskip(NEXT) | instid1(VALU_DEP_2)
	v_pk_fma_f32 v[120:121], v[116:117], v[98:99], v[120:121] op_sel_hi:[1,1,0] neg_lo:[0,0,1] neg_hi:[0,0,1]
	v_pk_fma_f32 v[116:117], v[116:117], v[98:99], v[122:123] op_sel:[1,0,0] op_sel_hi:[0,1,0]
	s_delay_alu instid0(VALU_DEP_1) | instskip(SKIP_1) | instid1(VALU_DEP_2)
	v_mov_b32_e32 v121, v117
	v_pk_mul_f32 v[116:117], v[118:119], v[108:109] op_sel:[0,1]
	v_pk_add_f32 v[48:49], v[48:49], v[120:121] neg_lo:[0,1] neg_hi:[0,1]
	s_delay_alu instid0(VALU_DEP_2) | instskip(SKIP_1) | instid1(VALU_DEP_1)
	v_pk_fma_f32 v[120:121], v[118:119], v[106:107], v[116:117] op_sel:[0,0,1] op_sel_hi:[1,1,0] neg_lo:[0,0,1] neg_hi:[0,0,1]
	v_pk_fma_f32 v[116:117], v[118:119], v[106:107], v[116:117] op_sel:[0,0,1] op_sel_hi:[1,0,0]
	v_mov_b32_e32 v121, v117
	ds_load_2addr_b64 v[116:119], v110 offset0:13 offset1:14
	v_pk_add_f32 v[94:95], v[94:95], v[120:121] neg_lo:[0,1] neg_hi:[0,1]
	s_wait_dscnt 0x0
	v_pk_mul_f32 v[120:121], v[116:117], v[108:109] op_sel:[0,1]
	s_delay_alu instid0(VALU_DEP_1) | instskip(SKIP_1) | instid1(VALU_DEP_1)
	v_pk_fma_f32 v[122:123], v[116:117], v[106:107], v[120:121] op_sel:[0,0,1] op_sel_hi:[1,1,0] neg_lo:[0,0,1] neg_hi:[0,0,1]
	v_pk_fma_f32 v[116:117], v[116:117], v[106:107], v[120:121] op_sel:[0,0,1] op_sel_hi:[1,0,0]
	v_mov_b32_e32 v123, v117
	v_pk_mul_f32 v[116:117], v[118:119], v[108:109] op_sel:[0,1]
	s_delay_alu instid0(VALU_DEP_2) | instskip(NEXT) | instid1(VALU_DEP_2)
	v_pk_add_f32 v[68:69], v[68:69], v[122:123] neg_lo:[0,1] neg_hi:[0,1]
	v_pk_fma_f32 v[120:121], v[118:119], v[106:107], v[116:117] op_sel:[0,0,1] op_sel_hi:[1,1,0] neg_lo:[0,0,1] neg_hi:[0,0,1]
	v_pk_fma_f32 v[116:117], v[118:119], v[106:107], v[116:117] op_sel:[0,0,1] op_sel_hi:[1,0,0]
	s_delay_alu instid0(VALU_DEP_1) | instskip(SKIP_4) | instid1(VALU_DEP_1)
	v_mov_b32_e32 v121, v117
	ds_load_2addr_b64 v[116:119], v110 offset0:15 offset1:16
	v_pk_add_f32 v[72:73], v[72:73], v[120:121] neg_lo:[0,1] neg_hi:[0,1]
	s_wait_dscnt 0x0
	v_pk_mul_f32 v[120:121], v[116:117], v[108:109] op_sel:[0,1]
	v_pk_fma_f32 v[122:123], v[116:117], v[106:107], v[120:121] op_sel:[0,0,1] op_sel_hi:[1,1,0] neg_lo:[0,0,1] neg_hi:[0,0,1]
	v_pk_fma_f32 v[116:117], v[116:117], v[106:107], v[120:121] op_sel:[0,0,1] op_sel_hi:[1,0,0]
	v_dual_mul_f32 v120, v119, v109 :: v_dual_mov_b32 v116, v119
	s_delay_alu instid0(VALU_DEP_2) | instskip(NEXT) | instid1(VALU_DEP_2)
	v_dual_mov_b32 v123, v117 :: v_dual_mov_b32 v117, v118
	v_pk_fma_f32 v[120:121], v[118:119], v[98:99], v[120:121] op_sel_hi:[1,1,0] neg_lo:[0,0,1] neg_hi:[0,0,1]
	v_mul_f32_e32 v118, v119, v106
	s_delay_alu instid0(VALU_DEP_3) | instskip(NEXT) | instid1(VALU_DEP_2)
	v_pk_add_f32 v[66:67], v[66:67], v[122:123] neg_lo:[0,1] neg_hi:[0,1]
	v_pk_fma_f32 v[116:117], v[116:117], v[98:99], v[118:119] op_sel_hi:[1,1,0]
	s_delay_alu instid0(VALU_DEP_1) | instskip(SKIP_4) | instid1(VALU_DEP_1)
	v_mov_b32_e32 v121, v117
	ds_load_2addr_b64 v[116:119], v110 offset0:17 offset1:18
	v_pk_add_f32 v[92:93], v[92:93], v[120:121] neg_lo:[0,1] neg_hi:[0,1]
	s_wait_dscnt 0x0
	v_pk_mul_f32 v[120:121], v[116:117], v[108:109] op_sel:[0,1]
	v_pk_fma_f32 v[122:123], v[116:117], v[106:107], v[120:121] op_sel:[0,0,1] op_sel_hi:[1,1,0] neg_lo:[0,0,1] neg_hi:[0,0,1]
	v_pk_fma_f32 v[116:117], v[116:117], v[106:107], v[120:121] op_sel:[0,0,1] op_sel_hi:[1,0,0]
	s_delay_alu instid0(VALU_DEP_1) | instskip(SKIP_1) | instid1(VALU_DEP_1)
	v_mov_b32_e32 v123, v117
	v_pk_mul_f32 v[116:117], v[118:119], v[108:109] op_sel:[0,1]
	v_pk_fma_f32 v[120:121], v[118:119], v[106:107], v[116:117] op_sel:[0,0,1] op_sel_hi:[1,1,0] neg_lo:[0,0,1] neg_hi:[0,0,1]
	v_pk_fma_f32 v[116:117], v[118:119], v[106:107], v[116:117] op_sel:[0,0,1] op_sel_hi:[1,0,0]
	s_delay_alu instid0(VALU_DEP_1)
	v_mov_b32_e32 v121, v117
	ds_load_2addr_b64 v[116:119], v110 offset0:19 offset1:20
	v_pk_add_f32 v[62:63], v[62:63], v[122:123] neg_lo:[0,1] neg_hi:[0,1]
	v_pk_add_f32 v[64:65], v[64:65], v[120:121] neg_lo:[0,1] neg_hi:[0,1]
	s_wait_dscnt 0x0
	v_pk_mul_f32 v[120:121], v[116:117], v[108:109] op_sel:[0,1]
	s_delay_alu instid0(VALU_DEP_1) | instskip(SKIP_1) | instid1(VALU_DEP_1)
	v_pk_fma_f32 v[122:123], v[116:117], v[106:107], v[120:121] op_sel:[0,0,1] op_sel_hi:[1,1,0] neg_lo:[0,0,1] neg_hi:[0,0,1]
	v_pk_fma_f32 v[116:117], v[116:117], v[106:107], v[120:121] op_sel:[0,0,1] op_sel_hi:[1,0,0]
	v_mov_b32_e32 v123, v117
	v_pk_mul_f32 v[116:117], v[118:119], v[108:109] op_sel:[0,1]
	s_delay_alu instid0(VALU_DEP_1) | instskip(SKIP_1) | instid1(VALU_DEP_1)
	v_pk_fma_f32 v[120:121], v[118:119], v[106:107], v[116:117] op_sel:[0,0,1] op_sel_hi:[1,1,0] neg_lo:[0,0,1] neg_hi:[0,0,1]
	v_pk_fma_f32 v[116:117], v[118:119], v[106:107], v[116:117] op_sel:[0,0,1] op_sel_hi:[1,0,0]
	v_mov_b32_e32 v121, v117
	ds_load_2addr_b64 v[116:119], v110 offset0:21 offset1:22
	v_pk_add_f32 v[60:61], v[60:61], v[122:123] neg_lo:[0,1] neg_hi:[0,1]
	v_pk_add_f32 v[90:91], v[90:91], v[120:121] neg_lo:[0,1] neg_hi:[0,1]
	s_wait_dscnt 0x0
	v_dual_mul_f32 v120, v117, v109 :: v_dual_mul_f32 v122, v117, v106
	s_delay_alu instid0(VALU_DEP_1) | instskip(NEXT) | instid1(VALU_DEP_2)
	v_pk_fma_f32 v[120:121], v[116:117], v[98:99], v[120:121] op_sel_hi:[1,1,0] neg_lo:[0,0,1] neg_hi:[0,0,1]
	v_pk_fma_f32 v[116:117], v[116:117], v[98:99], v[122:123] op_sel:[1,0,0] op_sel_hi:[0,1,0]
	s_delay_alu instid0(VALU_DEP_1) | instskip(SKIP_1) | instid1(VALU_DEP_2)
	v_mov_b32_e32 v121, v117
	v_pk_mul_f32 v[116:117], v[118:119], v[108:109] op_sel:[0,1]
	v_pk_add_f32 v[56:57], v[56:57], v[120:121] neg_lo:[0,1] neg_hi:[0,1]
	s_delay_alu instid0(VALU_DEP_2) | instskip(SKIP_1) | instid1(VALU_DEP_1)
	v_pk_fma_f32 v[120:121], v[118:119], v[106:107], v[116:117] op_sel:[0,0,1] op_sel_hi:[1,1,0] neg_lo:[0,0,1] neg_hi:[0,0,1]
	v_pk_fma_f32 v[116:117], v[118:119], v[106:107], v[116:117] op_sel:[0,0,1] op_sel_hi:[1,0,0]
	v_mov_b32_e32 v121, v117
	ds_load_2addr_b64 v[116:119], v110 offset0:23 offset1:24
	v_pk_add_f32 v[58:59], v[58:59], v[120:121] neg_lo:[0,1] neg_hi:[0,1]
	s_wait_dscnt 0x0
	v_pk_mul_f32 v[120:121], v[116:117], v[108:109] op_sel:[0,1]
	s_delay_alu instid0(VALU_DEP_1) | instskip(SKIP_1) | instid1(VALU_DEP_1)
	v_pk_fma_f32 v[122:123], v[116:117], v[106:107], v[120:121] op_sel:[0,0,1] op_sel_hi:[1,1,0] neg_lo:[0,0,1] neg_hi:[0,0,1]
	v_pk_fma_f32 v[116:117], v[116:117], v[106:107], v[120:121] op_sel:[0,0,1] op_sel_hi:[1,0,0]
	v_mov_b32_e32 v123, v117
	v_pk_mul_f32 v[116:117], v[118:119], v[108:109] op_sel:[0,1]
	s_delay_alu instid0(VALU_DEP_2) | instskip(NEXT) | instid1(VALU_DEP_2)
	v_pk_add_f32 v[54:55], v[54:55], v[122:123] neg_lo:[0,1] neg_hi:[0,1]
	v_pk_fma_f32 v[120:121], v[118:119], v[106:107], v[116:117] op_sel:[0,0,1] op_sel_hi:[1,1,0] neg_lo:[0,0,1] neg_hi:[0,0,1]
	v_pk_fma_f32 v[116:117], v[118:119], v[106:107], v[116:117] op_sel:[0,0,1] op_sel_hi:[1,0,0]
	s_delay_alu instid0(VALU_DEP_1) | instskip(SKIP_4) | instid1(VALU_DEP_1)
	v_mov_b32_e32 v121, v117
	ds_load_2addr_b64 v[116:119], v110 offset0:25 offset1:26
	v_pk_add_f32 v[86:87], v[86:87], v[120:121] neg_lo:[0,1] neg_hi:[0,1]
	s_wait_dscnt 0x0
	v_pk_mul_f32 v[120:121], v[116:117], v[108:109] op_sel:[0,1]
	v_pk_fma_f32 v[122:123], v[116:117], v[106:107], v[120:121] op_sel:[0,0,1] op_sel_hi:[1,1,0] neg_lo:[0,0,1] neg_hi:[0,0,1]
	v_pk_fma_f32 v[116:117], v[116:117], v[106:107], v[120:121] op_sel:[0,0,1] op_sel_hi:[1,0,0]
	v_dual_mul_f32 v120, v119, v109 :: v_dual_mov_b32 v116, v119
	s_delay_alu instid0(VALU_DEP_2) | instskip(NEXT) | instid1(VALU_DEP_2)
	v_dual_mov_b32 v123, v117 :: v_dual_mov_b32 v117, v118
	v_pk_fma_f32 v[120:121], v[118:119], v[98:99], v[120:121] op_sel_hi:[1,1,0] neg_lo:[0,0,1] neg_hi:[0,0,1]
	v_mul_f32_e32 v118, v119, v106
	s_delay_alu instid0(VALU_DEP_3) | instskip(NEXT) | instid1(VALU_DEP_2)
	v_pk_add_f32 v[38:39], v[38:39], v[122:123] neg_lo:[0,1] neg_hi:[0,1]
	v_pk_fma_f32 v[116:117], v[116:117], v[98:99], v[118:119] op_sel_hi:[1,1,0]
	s_delay_alu instid0(VALU_DEP_1) | instskip(SKIP_4) | instid1(VALU_DEP_1)
	v_mov_b32_e32 v121, v117
	ds_load_2addr_b64 v[116:119], v110 offset0:27 offset1:28
	v_pk_add_f32 v[42:43], v[42:43], v[120:121] neg_lo:[0,1] neg_hi:[0,1]
	s_wait_dscnt 0x0
	v_pk_mul_f32 v[120:121], v[116:117], v[108:109] op_sel:[0,1]
	v_pk_fma_f32 v[122:123], v[116:117], v[106:107], v[120:121] op_sel:[0,0,1] op_sel_hi:[1,1,0] neg_lo:[0,0,1] neg_hi:[0,0,1]
	v_pk_fma_f32 v[116:117], v[116:117], v[106:107], v[120:121] op_sel:[0,0,1] op_sel_hi:[1,0,0]
	s_delay_alu instid0(VALU_DEP_1) | instskip(SKIP_1) | instid1(VALU_DEP_1)
	v_mov_b32_e32 v123, v117
	v_pk_mul_f32 v[116:117], v[118:119], v[108:109] op_sel:[0,1]
	v_pk_fma_f32 v[120:121], v[118:119], v[106:107], v[116:117] op_sel:[0,0,1] op_sel_hi:[1,1,0] neg_lo:[0,0,1] neg_hi:[0,0,1]
	v_pk_fma_f32 v[116:117], v[118:119], v[106:107], v[116:117] op_sel:[0,0,1] op_sel_hi:[1,0,0]
	s_delay_alu instid0(VALU_DEP_1)
	v_mov_b32_e32 v121, v117
	ds_load_2addr_b64 v[116:119], v110 offset0:29 offset1:30
	v_pk_add_f32 v[36:37], v[36:37], v[122:123] neg_lo:[0,1] neg_hi:[0,1]
	v_pk_add_f32 v[82:83], v[82:83], v[120:121] neg_lo:[0,1] neg_hi:[0,1]
	s_wait_dscnt 0x0
	v_pk_mul_f32 v[120:121], v[116:117], v[108:109] op_sel:[0,1]
	s_delay_alu instid0(VALU_DEP_1) | instskip(SKIP_1) | instid1(VALU_DEP_1)
	v_pk_fma_f32 v[122:123], v[116:117], v[106:107], v[120:121] op_sel:[0,0,1] op_sel_hi:[1,1,0] neg_lo:[0,0,1] neg_hi:[0,0,1]
	v_pk_fma_f32 v[116:117], v[116:117], v[106:107], v[120:121] op_sel:[0,0,1] op_sel_hi:[1,0,0]
	v_mov_b32_e32 v123, v117
	v_pk_mul_f32 v[116:117], v[118:119], v[108:109] op_sel:[0,1]
	s_delay_alu instid0(VALU_DEP_1) | instskip(SKIP_1) | instid1(VALU_DEP_1)
	v_pk_fma_f32 v[120:121], v[118:119], v[106:107], v[116:117] op_sel:[0,0,1] op_sel_hi:[1,1,0] neg_lo:[0,0,1] neg_hi:[0,0,1]
	v_pk_fma_f32 v[116:117], v[118:119], v[106:107], v[116:117] op_sel:[0,0,1] op_sel_hi:[1,0,0]
	v_mov_b32_e32 v121, v117
	ds_load_2addr_b64 v[116:119], v110 offset0:31 offset1:32
	v_pk_add_f32 v[32:33], v[32:33], v[122:123] neg_lo:[0,1] neg_hi:[0,1]
	v_pk_add_f32 v[34:35], v[34:35], v[120:121] neg_lo:[0,1] neg_hi:[0,1]
	s_wait_dscnt 0x0
	v_dual_mul_f32 v120, v117, v109 :: v_dual_mul_f32 v122, v117, v106
	s_delay_alu instid0(VALU_DEP_1) | instskip(NEXT) | instid1(VALU_DEP_2)
	v_pk_fma_f32 v[120:121], v[116:117], v[98:99], v[120:121] op_sel_hi:[1,1,0] neg_lo:[0,0,1] neg_hi:[0,0,1]
	v_pk_fma_f32 v[116:117], v[116:117], v[98:99], v[122:123] op_sel:[1,0,0] op_sel_hi:[0,1,0]
	s_delay_alu instid0(VALU_DEP_1) | instskip(SKIP_1) | instid1(VALU_DEP_2)
	v_mov_b32_e32 v121, v117
	v_pk_mul_f32 v[116:117], v[118:119], v[108:109] op_sel:[0,1]
	v_pk_add_f32 v[30:31], v[30:31], v[120:121] neg_lo:[0,1] neg_hi:[0,1]
	s_delay_alu instid0(VALU_DEP_2) | instskip(SKIP_1) | instid1(VALU_DEP_1)
	v_pk_fma_f32 v[120:121], v[118:119], v[106:107], v[116:117] op_sel:[0,0,1] op_sel_hi:[1,1,0] neg_lo:[0,0,1] neg_hi:[0,0,1]
	v_pk_fma_f32 v[116:117], v[118:119], v[106:107], v[116:117] op_sel:[0,0,1] op_sel_hi:[1,0,0]
	v_mov_b32_e32 v121, v117
	ds_load_2addr_b64 v[116:119], v110 offset0:33 offset1:34
	v_pk_add_f32 v[80:81], v[80:81], v[120:121] neg_lo:[0,1] neg_hi:[0,1]
	s_wait_dscnt 0x0
	v_pk_mul_f32 v[120:121], v[116:117], v[108:109] op_sel:[0,1]
	s_delay_alu instid0(VALU_DEP_1) | instskip(SKIP_1) | instid1(VALU_DEP_1)
	v_pk_fma_f32 v[122:123], v[116:117], v[106:107], v[120:121] op_sel:[0,0,1] op_sel_hi:[1,1,0] neg_lo:[0,0,1] neg_hi:[0,0,1]
	v_pk_fma_f32 v[116:117], v[116:117], v[106:107], v[120:121] op_sel:[0,0,1] op_sel_hi:[1,0,0]
	v_mov_b32_e32 v123, v117
	v_pk_mul_f32 v[116:117], v[118:119], v[108:109] op_sel:[0,1]
	s_delay_alu instid0(VALU_DEP_2) | instskip(NEXT) | instid1(VALU_DEP_2)
	v_pk_add_f32 v[24:25], v[24:25], v[122:123] neg_lo:[0,1] neg_hi:[0,1]
	v_pk_fma_f32 v[120:121], v[118:119], v[106:107], v[116:117] op_sel:[0,0,1] op_sel_hi:[1,1,0] neg_lo:[0,0,1] neg_hi:[0,0,1]
	v_pk_fma_f32 v[116:117], v[118:119], v[106:107], v[116:117] op_sel:[0,0,1] op_sel_hi:[1,0,0]
	s_delay_alu instid0(VALU_DEP_1) | instskip(SKIP_4) | instid1(VALU_DEP_1)
	v_mov_b32_e32 v121, v117
	ds_load_2addr_b64 v[116:119], v110 offset0:35 offset1:36
	v_pk_add_f32 v[26:27], v[26:27], v[120:121] neg_lo:[0,1] neg_hi:[0,1]
	s_wait_dscnt 0x0
	v_pk_mul_f32 v[120:121], v[116:117], v[108:109] op_sel:[0,1]
	v_pk_fma_f32 v[122:123], v[116:117], v[106:107], v[120:121] op_sel:[0,0,1] op_sel_hi:[1,1,0] neg_lo:[0,0,1] neg_hi:[0,0,1]
	v_pk_fma_f32 v[116:117], v[116:117], v[106:107], v[120:121] op_sel:[0,0,1] op_sel_hi:[1,0,0]
	v_dual_mul_f32 v120, v119, v109 :: v_dual_mov_b32 v116, v119
	s_delay_alu instid0(VALU_DEP_2) | instskip(NEXT) | instid1(VALU_DEP_2)
	v_dual_mov_b32 v123, v117 :: v_dual_mov_b32 v117, v118
	v_pk_fma_f32 v[120:121], v[118:119], v[98:99], v[120:121] op_sel_hi:[1,1,0] neg_lo:[0,0,1] neg_hi:[0,0,1]
	v_mul_f32_e32 v118, v119, v106
	s_delay_alu instid0(VALU_DEP_3) | instskip(NEXT) | instid1(VALU_DEP_2)
	v_pk_add_f32 v[22:23], v[22:23], v[122:123] neg_lo:[0,1] neg_hi:[0,1]
	v_pk_fma_f32 v[116:117], v[116:117], v[98:99], v[118:119] op_sel_hi:[1,1,0]
	s_delay_alu instid0(VALU_DEP_1) | instskip(SKIP_4) | instid1(VALU_DEP_1)
	v_mov_b32_e32 v121, v117
	ds_load_2addr_b64 v[116:119], v110 offset0:37 offset1:38
	v_pk_add_f32 v[78:79], v[78:79], v[120:121] neg_lo:[0,1] neg_hi:[0,1]
	s_wait_dscnt 0x0
	v_pk_mul_f32 v[120:121], v[116:117], v[108:109] op_sel:[0,1]
	v_pk_fma_f32 v[122:123], v[116:117], v[106:107], v[120:121] op_sel:[0,0,1] op_sel_hi:[1,1,0] neg_lo:[0,0,1] neg_hi:[0,0,1]
	v_pk_fma_f32 v[116:117], v[116:117], v[106:107], v[120:121] op_sel:[0,0,1] op_sel_hi:[1,0,0]
	s_delay_alu instid0(VALU_DEP_1) | instskip(SKIP_1) | instid1(VALU_DEP_1)
	v_mov_b32_e32 v123, v117
	v_pk_mul_f32 v[116:117], v[118:119], v[108:109] op_sel:[0,1]
	v_pk_fma_f32 v[120:121], v[118:119], v[106:107], v[116:117] op_sel:[0,0,1] op_sel_hi:[1,1,0] neg_lo:[0,0,1] neg_hi:[0,0,1]
	v_pk_fma_f32 v[116:117], v[118:119], v[106:107], v[116:117] op_sel:[0,0,1] op_sel_hi:[1,0,0]
	s_delay_alu instid0(VALU_DEP_1)
	v_mov_b32_e32 v121, v117
	ds_load_2addr_b64 v[116:119], v110 offset0:39 offset1:40
	v_pk_add_f32 v[18:19], v[18:19], v[122:123] neg_lo:[0,1] neg_hi:[0,1]
	v_pk_add_f32 v[20:21], v[20:21], v[120:121] neg_lo:[0,1] neg_hi:[0,1]
	s_wait_dscnt 0x0
	v_pk_mul_f32 v[120:121], v[116:117], v[108:109] op_sel:[0,1]
	s_delay_alu instid0(VALU_DEP_1) | instskip(SKIP_1) | instid1(VALU_DEP_1)
	v_pk_fma_f32 v[122:123], v[116:117], v[106:107], v[120:121] op_sel:[0,0,1] op_sel_hi:[1,1,0] neg_lo:[0,0,1] neg_hi:[0,0,1]
	v_pk_fma_f32 v[116:117], v[116:117], v[106:107], v[120:121] op_sel:[0,0,1] op_sel_hi:[1,0,0]
	v_mov_b32_e32 v123, v117
	v_pk_mul_f32 v[116:117], v[118:119], v[108:109] op_sel:[0,1]
	s_delay_alu instid0(VALU_DEP_1) | instskip(SKIP_1) | instid1(VALU_DEP_1)
	v_pk_fma_f32 v[120:121], v[118:119], v[106:107], v[116:117] op_sel:[0,0,1] op_sel_hi:[1,1,0] neg_lo:[0,0,1] neg_hi:[0,0,1]
	v_pk_fma_f32 v[116:117], v[118:119], v[106:107], v[116:117] op_sel:[0,0,1] op_sel_hi:[1,0,0]
	v_mov_b32_e32 v121, v117
	ds_load_2addr_b64 v[116:119], v110 offset0:41 offset1:42
	v_pk_add_f32 v[16:17], v[16:17], v[122:123] neg_lo:[0,1] neg_hi:[0,1]
	v_pk_add_f32 v[76:77], v[76:77], v[120:121] neg_lo:[0,1] neg_hi:[0,1]
	s_wait_dscnt 0x0
	v_dual_mul_f32 v120, v117, v109 :: v_dual_mul_f32 v122, v117, v106
	s_delay_alu instid0(VALU_DEP_1) | instskip(NEXT) | instid1(VALU_DEP_2)
	v_pk_fma_f32 v[120:121], v[116:117], v[98:99], v[120:121] op_sel_hi:[1,1,0] neg_lo:[0,0,1] neg_hi:[0,0,1]
	v_pk_fma_f32 v[116:117], v[116:117], v[98:99], v[122:123] op_sel:[1,0,0] op_sel_hi:[0,1,0]
	s_delay_alu instid0(VALU_DEP_1) | instskip(SKIP_1) | instid1(VALU_DEP_2)
	v_mov_b32_e32 v121, v117
	v_pk_mul_f32 v[116:117], v[118:119], v[108:109] op_sel:[0,1]
	v_pk_add_f32 v[10:11], v[10:11], v[120:121] neg_lo:[0,1] neg_hi:[0,1]
	s_delay_alu instid0(VALU_DEP_2) | instskip(SKIP_1) | instid1(VALU_DEP_1)
	v_pk_fma_f32 v[120:121], v[118:119], v[106:107], v[116:117] op_sel:[0,0,1] op_sel_hi:[1,1,0] neg_lo:[0,0,1] neg_hi:[0,0,1]
	v_pk_fma_f32 v[116:117], v[118:119], v[106:107], v[116:117] op_sel:[0,0,1] op_sel_hi:[1,0,0]
	v_mov_b32_e32 v121, v117
	ds_load_2addr_b64 v[116:119], v110 offset0:43 offset1:44
	v_pk_add_f32 v[12:13], v[12:13], v[120:121] neg_lo:[0,1] neg_hi:[0,1]
	s_wait_dscnt 0x0
	v_pk_mul_f32 v[120:121], v[116:117], v[108:109] op_sel:[0,1]
	s_delay_alu instid0(VALU_DEP_1) | instskip(SKIP_1) | instid1(VALU_DEP_1)
	v_pk_fma_f32 v[122:123], v[116:117], v[106:107], v[120:121] op_sel:[0,0,1] op_sel_hi:[1,1,0] neg_lo:[0,0,1] neg_hi:[0,0,1]
	v_pk_fma_f32 v[116:117], v[116:117], v[106:107], v[120:121] op_sel:[0,0,1] op_sel_hi:[1,0,0]
	v_mov_b32_e32 v123, v117
	v_pk_mul_f32 v[116:117], v[118:119], v[108:109] op_sel:[0,1]
	s_delay_alu instid0(VALU_DEP_2) | instskip(NEXT) | instid1(VALU_DEP_2)
	v_pk_add_f32 v[8:9], v[8:9], v[122:123] neg_lo:[0,1] neg_hi:[0,1]
	v_pk_fma_f32 v[120:121], v[118:119], v[106:107], v[116:117] op_sel:[0,0,1] op_sel_hi:[1,1,0] neg_lo:[0,0,1] neg_hi:[0,0,1]
	v_pk_fma_f32 v[116:117], v[118:119], v[106:107], v[116:117] op_sel:[0,0,1] op_sel_hi:[1,0,0]
	s_delay_alu instid0(VALU_DEP_1) | instskip(SKIP_4) | instid1(VALU_DEP_1)
	v_mov_b32_e32 v121, v117
	ds_load_2addr_b64 v[116:119], v110 offset0:45 offset1:46
	v_pk_add_f32 v[70:71], v[70:71], v[120:121] neg_lo:[0,1] neg_hi:[0,1]
	s_wait_dscnt 0x0
	v_pk_mul_f32 v[120:121], v[116:117], v[108:109] op_sel:[0,1]
	v_pk_fma_f32 v[122:123], v[116:117], v[106:107], v[120:121] op_sel:[0,0,1] op_sel_hi:[1,1,0] neg_lo:[0,0,1] neg_hi:[0,0,1]
	v_pk_fma_f32 v[116:117], v[116:117], v[106:107], v[120:121] op_sel:[0,0,1] op_sel_hi:[1,0,0]
	v_dual_mul_f32 v120, v119, v109 :: v_dual_mov_b32 v116, v119
	s_delay_alu instid0(VALU_DEP_2) | instskip(NEXT) | instid1(VALU_DEP_2)
	v_dual_mov_b32 v123, v117 :: v_dual_mov_b32 v117, v118
	v_pk_fma_f32 v[120:121], v[118:119], v[98:99], v[120:121] op_sel_hi:[1,1,0] neg_lo:[0,0,1] neg_hi:[0,0,1]
	v_mul_f32_e32 v118, v119, v106
	s_delay_alu instid0(VALU_DEP_3) | instskip(NEXT) | instid1(VALU_DEP_2)
	v_pk_add_f32 v[6:7], v[6:7], v[122:123] neg_lo:[0,1] neg_hi:[0,1]
	v_pk_fma_f32 v[116:117], v[116:117], v[98:99], v[118:119] op_sel_hi:[1,1,0]
	s_delay_alu instid0(VALU_DEP_1) | instskip(SKIP_4) | instid1(VALU_DEP_1)
	v_mov_b32_e32 v121, v117
	ds_load_2addr_b64 v[116:119], v110 offset0:47 offset1:48
	v_pk_add_f32 v[46:47], v[46:47], v[120:121] neg_lo:[0,1] neg_hi:[0,1]
	s_wait_dscnt 0x0
	v_pk_mul_f32 v[120:121], v[116:117], v[108:109] op_sel:[0,1]
	v_pk_fma_f32 v[122:123], v[116:117], v[106:107], v[120:121] op_sel:[0,0,1] op_sel_hi:[1,1,0] neg_lo:[0,0,1] neg_hi:[0,0,1]
	v_pk_fma_f32 v[116:117], v[116:117], v[106:107], v[120:121] op_sel:[0,0,1] op_sel_hi:[1,0,0]
	s_delay_alu instid0(VALU_DEP_1) | instskip(SKIP_1) | instid1(VALU_DEP_1)
	v_mov_b32_e32 v123, v117
	v_pk_mul_f32 v[116:117], v[118:119], v[108:109] op_sel:[0,1]
	v_pk_fma_f32 v[120:121], v[118:119], v[106:107], v[116:117] op_sel:[0,0,1] op_sel_hi:[1,1,0] neg_lo:[0,0,1] neg_hi:[0,0,1]
	v_pk_fma_f32 v[116:117], v[118:119], v[106:107], v[116:117] op_sel:[0,0,1] op_sel_hi:[1,0,0]
	s_delay_alu instid0(VALU_DEP_1)
	v_mov_b32_e32 v121, v117
	ds_load_b64 v[116:117], v110 offset:392
	v_pk_add_f32 v[28:29], v[28:29], v[122:123] neg_lo:[0,1] neg_hi:[0,1]
	v_pk_add_f32 v[14:15], v[14:15], v[120:121] neg_lo:[0,1] neg_hi:[0,1]
	s_wait_dscnt 0x0
	v_pk_mul_f32 v[108:109], v[116:117], v[108:109] op_sel:[0,1]
	s_delay_alu instid0(VALU_DEP_1) | instskip(SKIP_1) | instid1(VALU_DEP_1)
	v_pk_fma_f32 v[118:119], v[116:117], v[106:107], v[108:109] op_sel:[0,0,1] op_sel_hi:[1,1,0] neg_lo:[0,0,1] neg_hi:[0,0,1]
	v_pk_fma_f32 v[106:107], v[116:117], v[106:107], v[108:109] op_sel:[0,0,1] op_sel_hi:[1,0,0]
	v_mov_b32_e32 v119, v107
	s_delay_alu instid0(VALU_DEP_1)
	v_pk_add_f32 v[104:105], v[104:105], v[118:119] neg_lo:[0,1] neg_hi:[0,1]
.LBB98_62:
	s_or_b32 exec_lo, exec_lo, s0
	v_lshl_add_u32 v106, v114, 3, v110
	s_barrier_signal -1
	s_barrier_wait -1
	ds_store_b64 v106, v[96:97]
	s_wait_dscnt 0x0
	s_barrier_signal -1
	s_barrier_wait -1
	ds_load_b64 v[108:109], v110 offset:24
	v_mov_b32_e32 v106, 3
	s_cmp_lt_i32 s18, 5
	s_cbranch_scc1 .LBB98_65
; %bb.63:
	v_mov_b32_e32 v106, 3
	v_add3_u32 v107, v111, 0, 32
	s_mov_b32 s0, 4
.LBB98_64:                              ; =>This Inner Loop Header: Depth=1
	ds_load_b64 v[116:117], v107
	s_wait_dscnt 0x1
	v_cmp_gt_f32_e32 vcc_lo, 0, v108
	v_cndmask_b32_e64 v118, v108, -v108, vcc_lo
	v_cmp_gt_f32_e32 vcc_lo, 0, v109
	v_cndmask_b32_e64 v120, v109, -v109, vcc_lo
	s_wait_dscnt 0x0
	v_cmp_gt_f32_e32 vcc_lo, 0, v116
	v_cndmask_b32_e64 v119, v116, -v116, vcc_lo
	v_cmp_gt_f32_e32 vcc_lo, 0, v117
	v_cndmask_b32_e64 v121, v117, -v117, vcc_lo
	s_delay_alu instid0(VALU_DEP_1) | instskip(NEXT) | instid1(VALU_DEP_1)
	v_pk_add_f32 v[118:119], v[118:119], v[120:121]
	v_cmp_lt_f32_e32 vcc_lo, v118, v119
	v_dual_add_nc_u32 v107, 8, v107 :: v_dual_cndmask_b32 v109, v109, v117, vcc_lo
	v_cndmask_b32_e32 v108, v108, v116, vcc_lo
	v_cndmask_b32_e64 v106, v106, s0, vcc_lo
	s_add_co_i32 s0, s0, 1
	s_delay_alu instid0(SALU_CYCLE_1)
	s_cmp_lg_u32 s18, s0
	s_cbranch_scc1 .LBB98_64
.LBB98_65:
	s_wait_dscnt 0x0
	v_cmp_eq_f32_e32 vcc_lo, 0, v108
	v_cmp_eq_f32_e64 s0, 0, v109
	s_and_b32 s0, vcc_lo, s0
	s_delay_alu instid0(SALU_CYCLE_1) | instskip(NEXT) | instid1(SALU_CYCLE_1)
	s_and_saveexec_b32 s1, s0
	s_xor_b32 s0, exec_lo, s1
; %bb.66:
	v_cmp_ne_u32_e32 vcc_lo, 0, v112
	v_cndmask_b32_e32 v112, 4, v112, vcc_lo
; %bb.67:
	s_and_not1_saveexec_b32 s0, s0
	s_cbranch_execz .LBB98_73
; %bb.68:
	v_cmp_ngt_f32_e64 s1, |v108|, |v109|
	s_and_saveexec_b32 s12, s1
	s_delay_alu instid0(SALU_CYCLE_1)
	s_xor_b32 s1, exec_lo, s12
	s_cbranch_execz .LBB98_70
; %bb.69:
	v_div_scale_f32 v107, null, v109, v109, v108
	v_div_scale_f32 v117, vcc_lo, v108, v109, v108
	s_delay_alu instid0(VALU_DEP_2) | instskip(SKIP_1) | instid1(TRANS32_DEP_1)
	v_rcp_f32_e32 v115, v107
	v_nop
	v_fma_f32 v116, -v107, v115, 1.0
	s_delay_alu instid0(VALU_DEP_1) | instskip(NEXT) | instid1(VALU_DEP_1)
	v_fmac_f32_e32 v115, v116, v115
	v_mul_f32_e32 v116, v117, v115
	s_delay_alu instid0(VALU_DEP_1) | instskip(NEXT) | instid1(VALU_DEP_1)
	v_fma_f32 v118, -v107, v116, v117
	v_fmac_f32_e32 v116, v118, v115
	s_delay_alu instid0(VALU_DEP_1) | instskip(NEXT) | instid1(VALU_DEP_1)
	v_fma_f32 v107, -v107, v116, v117
	v_div_fmas_f32 v107, v107, v115, v116
	s_delay_alu instid0(VALU_DEP_1) | instskip(NEXT) | instid1(VALU_DEP_1)
	v_div_fixup_f32 v107, v107, v109, v108
	v_fmac_f32_e32 v109, v108, v107
	s_delay_alu instid0(VALU_DEP_1) | instskip(SKIP_1) | instid1(VALU_DEP_2)
	v_div_scale_f32 v108, null, v109, v109, 1.0
	v_div_scale_f32 v117, vcc_lo, 1.0, v109, 1.0
	v_rcp_f32_e32 v115, v108
	v_nop
	s_delay_alu instid0(TRANS32_DEP_1) | instskip(NEXT) | instid1(VALU_DEP_1)
	v_fma_f32 v116, -v108, v115, 1.0
	v_fmac_f32_e32 v115, v116, v115
	s_delay_alu instid0(VALU_DEP_1) | instskip(NEXT) | instid1(VALU_DEP_1)
	v_mul_f32_e32 v116, v117, v115
	v_fma_f32 v118, -v108, v116, v117
	s_delay_alu instid0(VALU_DEP_1) | instskip(NEXT) | instid1(VALU_DEP_1)
	v_fmac_f32_e32 v116, v118, v115
	v_fma_f32 v108, -v108, v116, v117
	s_delay_alu instid0(VALU_DEP_1) | instskip(NEXT) | instid1(VALU_DEP_1)
	v_div_fmas_f32 v108, v108, v115, v116
	v_div_fixup_f32 v109, v108, v109, 1.0
	s_delay_alu instid0(VALU_DEP_1)
	v_mul_f32_e32 v108, v107, v109
	v_xor_b32_e32 v109, 0x80000000, v109
.LBB98_70:
	s_and_not1_saveexec_b32 s1, s1
	s_cbranch_execz .LBB98_72
; %bb.71:
	s_delay_alu instid0(VALU_DEP_1) | instskip(SKIP_1) | instid1(VALU_DEP_2)
	v_div_scale_f32 v107, null, v108, v108, v109
	v_div_scale_f32 v117, vcc_lo, v109, v108, v109
	v_rcp_f32_e32 v115, v107
	v_nop
	s_delay_alu instid0(TRANS32_DEP_1) | instskip(NEXT) | instid1(VALU_DEP_1)
	v_fma_f32 v116, -v107, v115, 1.0
	v_fmac_f32_e32 v115, v116, v115
	s_delay_alu instid0(VALU_DEP_1) | instskip(NEXT) | instid1(VALU_DEP_1)
	v_mul_f32_e32 v116, v117, v115
	v_fma_f32 v118, -v107, v116, v117
	s_delay_alu instid0(VALU_DEP_1) | instskip(NEXT) | instid1(VALU_DEP_1)
	v_fmac_f32_e32 v116, v118, v115
	v_fma_f32 v107, -v107, v116, v117
	s_delay_alu instid0(VALU_DEP_1) | instskip(NEXT) | instid1(VALU_DEP_1)
	v_div_fmas_f32 v107, v107, v115, v116
	v_div_fixup_f32 v107, v107, v108, v109
	s_delay_alu instid0(VALU_DEP_1) | instskip(NEXT) | instid1(VALU_DEP_1)
	v_fmac_f32_e32 v108, v109, v107
	v_div_scale_f32 v109, null, v108, v108, 1.0
	s_delay_alu instid0(VALU_DEP_1) | instskip(SKIP_1) | instid1(TRANS32_DEP_1)
	v_rcp_f32_e32 v115, v109
	v_nop
	v_fma_f32 v116, -v109, v115, 1.0
	s_delay_alu instid0(VALU_DEP_1) | instskip(SKIP_1) | instid1(VALU_DEP_1)
	v_fmac_f32_e32 v115, v116, v115
	v_div_scale_f32 v116, vcc_lo, 1.0, v108, 1.0
	v_mul_f32_e32 v117, v116, v115
	s_delay_alu instid0(VALU_DEP_1) | instskip(NEXT) | instid1(VALU_DEP_1)
	v_fma_f32 v118, -v109, v117, v116
	v_fmac_f32_e32 v117, v118, v115
	s_delay_alu instid0(VALU_DEP_1) | instskip(NEXT) | instid1(VALU_DEP_1)
	v_fma_f32 v109, -v109, v117, v116
	v_div_fmas_f32 v109, v109, v115, v117
	s_delay_alu instid0(VALU_DEP_1) | instskip(NEXT) | instid1(VALU_DEP_1)
	v_div_fixup_f32 v108, v109, v108, 1.0
	v_mul_f32_e64 v109, v107, -v108
.LBB98_72:
	s_or_b32 exec_lo, exec_lo, s1
.LBB98_73:
	s_delay_alu instid0(SALU_CYCLE_1) | instskip(NEXT) | instid1(SALU_CYCLE_1)
	s_or_b32 exec_lo, exec_lo, s0
	s_mov_b32 s0, exec_lo
	v_cmpx_ne_u32_e64 v114, v106
	s_xor_b32 s0, exec_lo, s0
	s_cbranch_execz .LBB98_79
; %bb.74:
	s_mov_b32 s1, exec_lo
	v_cmpx_eq_u32_e32 3, v114
	s_cbranch_execz .LBB98_78
; %bb.75:
	v_cmp_ne_u32_e32 vcc_lo, 3, v106
	s_xor_b32 s12, s16, -1
	s_delay_alu instid0(SALU_CYCLE_1) | instskip(NEXT) | instid1(SALU_CYCLE_1)
	s_and_b32 s13, s12, vcc_lo
	s_and_saveexec_b32 s12, s13
	s_cbranch_execz .LBB98_77
; %bb.76:
	v_ashrrev_i32_e32 v107, 31, v106
	s_delay_alu instid0(VALU_DEP_1)
	v_lshl_add_u64 v[114:115], v[106:107], 2, v[4:5]
	s_clause 0x1
	global_load_b32 v107, v[114:115], off
	global_load_b32 v113, v[4:5], off offset:12
	s_wait_loadcnt 0x1
	global_store_b32 v[4:5], v107, off offset:12
	s_wait_loadcnt 0x0
	global_store_b32 v[114:115], v113, off
.LBB98_77:
	s_wait_xcnt 0x0
	s_or_b32 exec_lo, exec_lo, s12
	v_dual_mov_b32 v114, v106 :: v_dual_mov_b32 v113, v106
.LBB98_78:
	s_or_b32 exec_lo, exec_lo, s1
.LBB98_79:
	s_and_not1_saveexec_b32 s0, s0
	s_cbranch_execz .LBB98_81
; %bb.80:
	v_dual_mov_b32 v106, v84 :: v_dual_mov_b32 v107, v85
	v_dual_mov_b32 v114, v74 :: v_dual_mov_b32 v115, v75
	ds_store_2addr_b64 v110, v[106:107], v[114:115] offset0:4 offset1:5
	v_dual_mov_b32 v106, v44 :: v_dual_mov_b32 v107, v45
	v_dual_mov_b32 v114, v40 :: v_dual_mov_b32 v115, v41
	ds_store_2addr_b64 v110, v[106:107], v[114:115] offset0:6 offset1:7
	;; [unrolled: 3-line block ×22, first 2 shown]
	v_dual_mov_b32 v106, v14 :: v_dual_mov_b32 v107, v15
	v_mov_b32_e32 v114, 3
	ds_store_2addr_b64 v110, v[106:107], v[104:105] offset0:48 offset1:49
.LBB98_81:
	s_or_b32 exec_lo, exec_lo, s0
	s_delay_alu instid0(SALU_CYCLE_1)
	s_mov_b32 s0, exec_lo
	s_wait_storecnt_dscnt 0x0
	s_barrier_signal -1
	s_barrier_wait -1
	v_cmpx_lt_i32_e32 3, v114
	s_cbranch_execz .LBB98_83
; %bb.82:
	v_pk_mul_f32 v[116:117], v[108:109], v[96:97] op_sel:[1,1] op_sel_hi:[0,1]
	s_delay_alu instid0(VALU_DEP_1)
	v_pk_fma_f32 v[106:107], v[108:109], v[96:97], v[116:117] op_sel_hi:[1,0,1] neg_lo:[0,0,1] neg_hi:[0,0,1]
	v_pk_fma_f32 v[108:109], v[108:109], v[96:97], v[116:117] op_sel_hi:[1,0,1]
	ds_load_2addr_b64 v[116:119], v110 offset0:4 offset1:5
	v_dual_mov_b32 v96, v106 :: v_dual_mov_b32 v97, v109
	s_wait_dscnt 0x0
	v_pk_mul_f32 v[120:121], v[116:117], v[108:109] op_sel:[0,1]
	s_delay_alu instid0(VALU_DEP_1) | instskip(SKIP_1) | instid1(VALU_DEP_1)
	v_pk_fma_f32 v[122:123], v[116:117], v[106:107], v[120:121] op_sel:[0,0,1] op_sel_hi:[1,1,0] neg_lo:[0,0,1] neg_hi:[0,0,1]
	v_pk_fma_f32 v[116:117], v[116:117], v[106:107], v[120:121] op_sel:[0,0,1] op_sel_hi:[1,0,0]
	v_mov_b32_e32 v123, v117
	v_pk_mul_f32 v[116:117], v[118:119], v[108:109] op_sel:[0,1]
	s_delay_alu instid0(VALU_DEP_1) | instskip(SKIP_1) | instid1(VALU_DEP_1)
	v_pk_fma_f32 v[120:121], v[118:119], v[106:107], v[116:117] op_sel:[0,0,1] op_sel_hi:[1,1,0] neg_lo:[0,0,1] neg_hi:[0,0,1]
	v_pk_fma_f32 v[116:117], v[118:119], v[106:107], v[116:117] op_sel:[0,0,1] op_sel_hi:[1,0,0]
	v_mov_b32_e32 v121, v117
	ds_load_2addr_b64 v[116:119], v110 offset0:6 offset1:7
	v_pk_add_f32 v[84:85], v[84:85], v[122:123] neg_lo:[0,1] neg_hi:[0,1]
	v_pk_add_f32 v[74:75], v[74:75], v[120:121] neg_lo:[0,1] neg_hi:[0,1]
	s_wait_dscnt 0x0
	v_pk_mul_f32 v[120:121], v[116:117], v[108:109] op_sel:[0,1]
	s_delay_alu instid0(VALU_DEP_1) | instskip(SKIP_2) | instid1(VALU_DEP_2)
	v_pk_fma_f32 v[122:123], v[116:117], v[106:107], v[120:121] op_sel:[0,0,1] op_sel_hi:[1,1,0] neg_lo:[0,0,1] neg_hi:[0,0,1]
	v_pk_fma_f32 v[116:117], v[116:117], v[106:107], v[120:121] op_sel:[0,0,1] op_sel_hi:[1,0,0]
	v_dual_mul_f32 v120, v119, v109 :: v_dual_mov_b32 v116, v119
	v_dual_mov_b32 v123, v117 :: v_dual_mov_b32 v117, v118
	s_delay_alu instid0(VALU_DEP_2) | instskip(SKIP_1) | instid1(VALU_DEP_3)
	v_pk_fma_f32 v[120:121], v[118:119], v[96:97], v[120:121] op_sel_hi:[1,1,0] neg_lo:[0,0,1] neg_hi:[0,0,1]
	v_mul_f32_e32 v118, v119, v106
	v_pk_add_f32 v[44:45], v[44:45], v[122:123] neg_lo:[0,1] neg_hi:[0,1]
	s_delay_alu instid0(VALU_DEP_2) | instskip(NEXT) | instid1(VALU_DEP_1)
	v_pk_fma_f32 v[116:117], v[116:117], v[96:97], v[118:119] op_sel_hi:[1,1,0]
	v_mov_b32_e32 v121, v117
	ds_load_2addr_b64 v[116:119], v110 offset0:8 offset1:9
	v_pk_add_f32 v[40:41], v[40:41], v[120:121] neg_lo:[0,1] neg_hi:[0,1]
	s_wait_dscnt 0x0
	v_pk_mul_f32 v[120:121], v[116:117], v[108:109] op_sel:[0,1]
	s_delay_alu instid0(VALU_DEP_1) | instskip(SKIP_1) | instid1(VALU_DEP_1)
	v_pk_fma_f32 v[122:123], v[116:117], v[106:107], v[120:121] op_sel:[0,0,1] op_sel_hi:[1,1,0] neg_lo:[0,0,1] neg_hi:[0,0,1]
	v_pk_fma_f32 v[116:117], v[116:117], v[106:107], v[120:121] op_sel:[0,0,1] op_sel_hi:[1,0,0]
	v_mov_b32_e32 v123, v117
	v_pk_mul_f32 v[116:117], v[118:119], v[108:109] op_sel:[0,1]
	s_delay_alu instid0(VALU_DEP_1) | instskip(SKIP_1) | instid1(VALU_DEP_1)
	v_pk_fma_f32 v[120:121], v[118:119], v[106:107], v[116:117] op_sel:[0,0,1] op_sel_hi:[1,1,0] neg_lo:[0,0,1] neg_hi:[0,0,1]
	v_pk_fma_f32 v[116:117], v[118:119], v[106:107], v[116:117] op_sel:[0,0,1] op_sel_hi:[1,0,0]
	v_mov_b32_e32 v121, v117
	ds_load_2addr_b64 v[116:119], v110 offset0:10 offset1:11
	v_pk_add_f32 v[88:89], v[88:89], v[122:123] neg_lo:[0,1] neg_hi:[0,1]
	v_pk_add_f32 v[50:51], v[50:51], v[120:121] neg_lo:[0,1] neg_hi:[0,1]
	s_wait_dscnt 0x0
	v_pk_mul_f32 v[120:121], v[116:117], v[108:109] op_sel:[0,1]
	s_delay_alu instid0(VALU_DEP_1) | instskip(SKIP_1) | instid1(VALU_DEP_1)
	v_pk_fma_f32 v[122:123], v[116:117], v[106:107], v[120:121] op_sel:[0,0,1] op_sel_hi:[1,1,0] neg_lo:[0,0,1] neg_hi:[0,0,1]
	v_pk_fma_f32 v[116:117], v[116:117], v[106:107], v[120:121] op_sel:[0,0,1] op_sel_hi:[1,0,0]
	v_mov_b32_e32 v123, v117
	v_pk_mul_f32 v[116:117], v[118:119], v[108:109] op_sel:[0,1]
	s_delay_alu instid0(VALU_DEP_1) | instskip(SKIP_1) | instid1(VALU_DEP_1)
	v_pk_fma_f32 v[120:121], v[118:119], v[106:107], v[116:117] op_sel:[0,0,1] op_sel_hi:[1,1,0] neg_lo:[0,0,1] neg_hi:[0,0,1]
	v_pk_fma_f32 v[116:117], v[118:119], v[106:107], v[116:117] op_sel:[0,0,1] op_sel_hi:[1,0,0]
	v_mov_b32_e32 v121, v117
	ds_load_2addr_b64 v[116:119], v110 offset0:12 offset1:13
	v_pk_add_f32 v[52:53], v[52:53], v[122:123] neg_lo:[0,1] neg_hi:[0,1]
	v_pk_add_f32 v[48:49], v[48:49], v[120:121] neg_lo:[0,1] neg_hi:[0,1]
	s_wait_dscnt 0x0
	v_dual_mul_f32 v120, v117, v109 :: v_dual_mul_f32 v122, v117, v106
	s_delay_alu instid0(VALU_DEP_1) | instskip(NEXT) | instid1(VALU_DEP_2)
	v_pk_fma_f32 v[120:121], v[116:117], v[96:97], v[120:121] op_sel_hi:[1,1,0] neg_lo:[0,0,1] neg_hi:[0,0,1]
	v_pk_fma_f32 v[116:117], v[116:117], v[96:97], v[122:123] op_sel:[1,0,0] op_sel_hi:[0,1,0]
	s_delay_alu instid0(VALU_DEP_1) | instskip(SKIP_1) | instid1(VALU_DEP_2)
	v_mov_b32_e32 v121, v117
	v_pk_mul_f32 v[116:117], v[118:119], v[108:109] op_sel:[0,1]
	v_pk_add_f32 v[94:95], v[94:95], v[120:121] neg_lo:[0,1] neg_hi:[0,1]
	s_delay_alu instid0(VALU_DEP_2) | instskip(SKIP_1) | instid1(VALU_DEP_1)
	v_pk_fma_f32 v[120:121], v[118:119], v[106:107], v[116:117] op_sel:[0,0,1] op_sel_hi:[1,1,0] neg_lo:[0,0,1] neg_hi:[0,0,1]
	v_pk_fma_f32 v[116:117], v[118:119], v[106:107], v[116:117] op_sel:[0,0,1] op_sel_hi:[1,0,0]
	v_mov_b32_e32 v121, v117
	ds_load_2addr_b64 v[116:119], v110 offset0:14 offset1:15
	v_pk_add_f32 v[68:69], v[68:69], v[120:121] neg_lo:[0,1] neg_hi:[0,1]
	s_wait_dscnt 0x0
	v_pk_mul_f32 v[120:121], v[116:117], v[108:109] op_sel:[0,1]
	s_delay_alu instid0(VALU_DEP_1) | instskip(SKIP_1) | instid1(VALU_DEP_1)
	v_pk_fma_f32 v[122:123], v[116:117], v[106:107], v[120:121] op_sel:[0,0,1] op_sel_hi:[1,1,0] neg_lo:[0,0,1] neg_hi:[0,0,1]
	v_pk_fma_f32 v[116:117], v[116:117], v[106:107], v[120:121] op_sel:[0,0,1] op_sel_hi:[1,0,0]
	v_mov_b32_e32 v123, v117
	v_pk_mul_f32 v[116:117], v[118:119], v[108:109] op_sel:[0,1]
	s_delay_alu instid0(VALU_DEP_2) | instskip(NEXT) | instid1(VALU_DEP_2)
	v_pk_add_f32 v[72:73], v[72:73], v[122:123] neg_lo:[0,1] neg_hi:[0,1]
	v_pk_fma_f32 v[120:121], v[118:119], v[106:107], v[116:117] op_sel:[0,0,1] op_sel_hi:[1,1,0] neg_lo:[0,0,1] neg_hi:[0,0,1]
	v_pk_fma_f32 v[116:117], v[118:119], v[106:107], v[116:117] op_sel:[0,0,1] op_sel_hi:[1,0,0]
	s_delay_alu instid0(VALU_DEP_1) | instskip(SKIP_4) | instid1(VALU_DEP_1)
	v_mov_b32_e32 v121, v117
	ds_load_2addr_b64 v[116:119], v110 offset0:16 offset1:17
	v_pk_add_f32 v[66:67], v[66:67], v[120:121] neg_lo:[0,1] neg_hi:[0,1]
	s_wait_dscnt 0x0
	v_pk_mul_f32 v[120:121], v[116:117], v[108:109] op_sel:[0,1]
	v_pk_fma_f32 v[122:123], v[116:117], v[106:107], v[120:121] op_sel:[0,0,1] op_sel_hi:[1,1,0] neg_lo:[0,0,1] neg_hi:[0,0,1]
	v_pk_fma_f32 v[116:117], v[116:117], v[106:107], v[120:121] op_sel:[0,0,1] op_sel_hi:[1,0,0]
	v_dual_mul_f32 v120, v119, v109 :: v_dual_mov_b32 v116, v119
	s_delay_alu instid0(VALU_DEP_2) | instskip(NEXT) | instid1(VALU_DEP_2)
	v_dual_mov_b32 v123, v117 :: v_dual_mov_b32 v117, v118
	v_pk_fma_f32 v[120:121], v[118:119], v[96:97], v[120:121] op_sel_hi:[1,1,0] neg_lo:[0,0,1] neg_hi:[0,0,1]
	v_mul_f32_e32 v118, v119, v106
	s_delay_alu instid0(VALU_DEP_3) | instskip(NEXT) | instid1(VALU_DEP_2)
	v_pk_add_f32 v[92:93], v[92:93], v[122:123] neg_lo:[0,1] neg_hi:[0,1]
	v_pk_fma_f32 v[116:117], v[116:117], v[96:97], v[118:119] op_sel_hi:[1,1,0]
	s_delay_alu instid0(VALU_DEP_1) | instskip(SKIP_4) | instid1(VALU_DEP_1)
	v_mov_b32_e32 v121, v117
	ds_load_2addr_b64 v[116:119], v110 offset0:18 offset1:19
	v_pk_add_f32 v[62:63], v[62:63], v[120:121] neg_lo:[0,1] neg_hi:[0,1]
	s_wait_dscnt 0x0
	v_pk_mul_f32 v[120:121], v[116:117], v[108:109] op_sel:[0,1]
	v_pk_fma_f32 v[122:123], v[116:117], v[106:107], v[120:121] op_sel:[0,0,1] op_sel_hi:[1,1,0] neg_lo:[0,0,1] neg_hi:[0,0,1]
	v_pk_fma_f32 v[116:117], v[116:117], v[106:107], v[120:121] op_sel:[0,0,1] op_sel_hi:[1,0,0]
	s_delay_alu instid0(VALU_DEP_1) | instskip(SKIP_1) | instid1(VALU_DEP_1)
	v_mov_b32_e32 v123, v117
	v_pk_mul_f32 v[116:117], v[118:119], v[108:109] op_sel:[0,1]
	v_pk_fma_f32 v[120:121], v[118:119], v[106:107], v[116:117] op_sel:[0,0,1] op_sel_hi:[1,1,0] neg_lo:[0,0,1] neg_hi:[0,0,1]
	v_pk_fma_f32 v[116:117], v[118:119], v[106:107], v[116:117] op_sel:[0,0,1] op_sel_hi:[1,0,0]
	s_delay_alu instid0(VALU_DEP_1)
	v_mov_b32_e32 v121, v117
	ds_load_2addr_b64 v[116:119], v110 offset0:20 offset1:21
	v_pk_add_f32 v[64:65], v[64:65], v[122:123] neg_lo:[0,1] neg_hi:[0,1]
	v_pk_add_f32 v[60:61], v[60:61], v[120:121] neg_lo:[0,1] neg_hi:[0,1]
	s_wait_dscnt 0x0
	v_pk_mul_f32 v[120:121], v[116:117], v[108:109] op_sel:[0,1]
	s_delay_alu instid0(VALU_DEP_1) | instskip(SKIP_1) | instid1(VALU_DEP_1)
	v_pk_fma_f32 v[122:123], v[116:117], v[106:107], v[120:121] op_sel:[0,0,1] op_sel_hi:[1,1,0] neg_lo:[0,0,1] neg_hi:[0,0,1]
	v_pk_fma_f32 v[116:117], v[116:117], v[106:107], v[120:121] op_sel:[0,0,1] op_sel_hi:[1,0,0]
	v_mov_b32_e32 v123, v117
	v_pk_mul_f32 v[116:117], v[118:119], v[108:109] op_sel:[0,1]
	s_delay_alu instid0(VALU_DEP_1) | instskip(SKIP_1) | instid1(VALU_DEP_1)
	v_pk_fma_f32 v[120:121], v[118:119], v[106:107], v[116:117] op_sel:[0,0,1] op_sel_hi:[1,1,0] neg_lo:[0,0,1] neg_hi:[0,0,1]
	v_pk_fma_f32 v[116:117], v[118:119], v[106:107], v[116:117] op_sel:[0,0,1] op_sel_hi:[1,0,0]
	v_mov_b32_e32 v121, v117
	ds_load_2addr_b64 v[116:119], v110 offset0:22 offset1:23
	v_pk_add_f32 v[90:91], v[90:91], v[122:123] neg_lo:[0,1] neg_hi:[0,1]
	v_pk_add_f32 v[56:57], v[56:57], v[120:121] neg_lo:[0,1] neg_hi:[0,1]
	s_wait_dscnt 0x0
	v_dual_mul_f32 v120, v117, v109 :: v_dual_mul_f32 v122, v117, v106
	s_delay_alu instid0(VALU_DEP_1) | instskip(NEXT) | instid1(VALU_DEP_2)
	v_pk_fma_f32 v[120:121], v[116:117], v[96:97], v[120:121] op_sel_hi:[1,1,0] neg_lo:[0,0,1] neg_hi:[0,0,1]
	v_pk_fma_f32 v[116:117], v[116:117], v[96:97], v[122:123] op_sel:[1,0,0] op_sel_hi:[0,1,0]
	s_delay_alu instid0(VALU_DEP_1) | instskip(SKIP_1) | instid1(VALU_DEP_2)
	v_mov_b32_e32 v121, v117
	v_pk_mul_f32 v[116:117], v[118:119], v[108:109] op_sel:[0,1]
	v_pk_add_f32 v[58:59], v[58:59], v[120:121] neg_lo:[0,1] neg_hi:[0,1]
	s_delay_alu instid0(VALU_DEP_2) | instskip(SKIP_1) | instid1(VALU_DEP_1)
	v_pk_fma_f32 v[120:121], v[118:119], v[106:107], v[116:117] op_sel:[0,0,1] op_sel_hi:[1,1,0] neg_lo:[0,0,1] neg_hi:[0,0,1]
	v_pk_fma_f32 v[116:117], v[118:119], v[106:107], v[116:117] op_sel:[0,0,1] op_sel_hi:[1,0,0]
	v_mov_b32_e32 v121, v117
	ds_load_2addr_b64 v[116:119], v110 offset0:24 offset1:25
	v_pk_add_f32 v[54:55], v[54:55], v[120:121] neg_lo:[0,1] neg_hi:[0,1]
	s_wait_dscnt 0x0
	v_pk_mul_f32 v[120:121], v[116:117], v[108:109] op_sel:[0,1]
	s_delay_alu instid0(VALU_DEP_1) | instskip(SKIP_1) | instid1(VALU_DEP_1)
	v_pk_fma_f32 v[122:123], v[116:117], v[106:107], v[120:121] op_sel:[0,0,1] op_sel_hi:[1,1,0] neg_lo:[0,0,1] neg_hi:[0,0,1]
	v_pk_fma_f32 v[116:117], v[116:117], v[106:107], v[120:121] op_sel:[0,0,1] op_sel_hi:[1,0,0]
	v_mov_b32_e32 v123, v117
	v_pk_mul_f32 v[116:117], v[118:119], v[108:109] op_sel:[0,1]
	s_delay_alu instid0(VALU_DEP_2) | instskip(NEXT) | instid1(VALU_DEP_2)
	v_pk_add_f32 v[86:87], v[86:87], v[122:123] neg_lo:[0,1] neg_hi:[0,1]
	v_pk_fma_f32 v[120:121], v[118:119], v[106:107], v[116:117] op_sel:[0,0,1] op_sel_hi:[1,1,0] neg_lo:[0,0,1] neg_hi:[0,0,1]
	v_pk_fma_f32 v[116:117], v[118:119], v[106:107], v[116:117] op_sel:[0,0,1] op_sel_hi:[1,0,0]
	s_delay_alu instid0(VALU_DEP_1) | instskip(SKIP_4) | instid1(VALU_DEP_1)
	v_mov_b32_e32 v121, v117
	ds_load_2addr_b64 v[116:119], v110 offset0:26 offset1:27
	v_pk_add_f32 v[38:39], v[38:39], v[120:121] neg_lo:[0,1] neg_hi:[0,1]
	s_wait_dscnt 0x0
	v_pk_mul_f32 v[120:121], v[116:117], v[108:109] op_sel:[0,1]
	v_pk_fma_f32 v[122:123], v[116:117], v[106:107], v[120:121] op_sel:[0,0,1] op_sel_hi:[1,1,0] neg_lo:[0,0,1] neg_hi:[0,0,1]
	v_pk_fma_f32 v[116:117], v[116:117], v[106:107], v[120:121] op_sel:[0,0,1] op_sel_hi:[1,0,0]
	v_dual_mul_f32 v120, v119, v109 :: v_dual_mov_b32 v116, v119
	s_delay_alu instid0(VALU_DEP_2) | instskip(NEXT) | instid1(VALU_DEP_2)
	v_dual_mov_b32 v123, v117 :: v_dual_mov_b32 v117, v118
	v_pk_fma_f32 v[120:121], v[118:119], v[96:97], v[120:121] op_sel_hi:[1,1,0] neg_lo:[0,0,1] neg_hi:[0,0,1]
	v_mul_f32_e32 v118, v119, v106
	s_delay_alu instid0(VALU_DEP_3) | instskip(NEXT) | instid1(VALU_DEP_2)
	v_pk_add_f32 v[42:43], v[42:43], v[122:123] neg_lo:[0,1] neg_hi:[0,1]
	v_pk_fma_f32 v[116:117], v[116:117], v[96:97], v[118:119] op_sel_hi:[1,1,0]
	s_delay_alu instid0(VALU_DEP_1) | instskip(SKIP_4) | instid1(VALU_DEP_1)
	v_mov_b32_e32 v121, v117
	ds_load_2addr_b64 v[116:119], v110 offset0:28 offset1:29
	v_pk_add_f32 v[36:37], v[36:37], v[120:121] neg_lo:[0,1] neg_hi:[0,1]
	s_wait_dscnt 0x0
	v_pk_mul_f32 v[120:121], v[116:117], v[108:109] op_sel:[0,1]
	v_pk_fma_f32 v[122:123], v[116:117], v[106:107], v[120:121] op_sel:[0,0,1] op_sel_hi:[1,1,0] neg_lo:[0,0,1] neg_hi:[0,0,1]
	v_pk_fma_f32 v[116:117], v[116:117], v[106:107], v[120:121] op_sel:[0,0,1] op_sel_hi:[1,0,0]
	s_delay_alu instid0(VALU_DEP_1) | instskip(SKIP_1) | instid1(VALU_DEP_1)
	v_mov_b32_e32 v123, v117
	v_pk_mul_f32 v[116:117], v[118:119], v[108:109] op_sel:[0,1]
	v_pk_fma_f32 v[120:121], v[118:119], v[106:107], v[116:117] op_sel:[0,0,1] op_sel_hi:[1,1,0] neg_lo:[0,0,1] neg_hi:[0,0,1]
	v_pk_fma_f32 v[116:117], v[118:119], v[106:107], v[116:117] op_sel:[0,0,1] op_sel_hi:[1,0,0]
	s_delay_alu instid0(VALU_DEP_1)
	v_mov_b32_e32 v121, v117
	ds_load_2addr_b64 v[116:119], v110 offset0:30 offset1:31
	v_pk_add_f32 v[82:83], v[82:83], v[122:123] neg_lo:[0,1] neg_hi:[0,1]
	v_pk_add_f32 v[32:33], v[32:33], v[120:121] neg_lo:[0,1] neg_hi:[0,1]
	s_wait_dscnt 0x0
	v_pk_mul_f32 v[120:121], v[116:117], v[108:109] op_sel:[0,1]
	s_delay_alu instid0(VALU_DEP_1) | instskip(SKIP_1) | instid1(VALU_DEP_1)
	v_pk_fma_f32 v[122:123], v[116:117], v[106:107], v[120:121] op_sel:[0,0,1] op_sel_hi:[1,1,0] neg_lo:[0,0,1] neg_hi:[0,0,1]
	v_pk_fma_f32 v[116:117], v[116:117], v[106:107], v[120:121] op_sel:[0,0,1] op_sel_hi:[1,0,0]
	v_mov_b32_e32 v123, v117
	v_pk_mul_f32 v[116:117], v[118:119], v[108:109] op_sel:[0,1]
	s_delay_alu instid0(VALU_DEP_1) | instskip(SKIP_1) | instid1(VALU_DEP_1)
	v_pk_fma_f32 v[120:121], v[118:119], v[106:107], v[116:117] op_sel:[0,0,1] op_sel_hi:[1,1,0] neg_lo:[0,0,1] neg_hi:[0,0,1]
	v_pk_fma_f32 v[116:117], v[118:119], v[106:107], v[116:117] op_sel:[0,0,1] op_sel_hi:[1,0,0]
	v_mov_b32_e32 v121, v117
	ds_load_2addr_b64 v[116:119], v110 offset0:32 offset1:33
	v_pk_add_f32 v[34:35], v[34:35], v[122:123] neg_lo:[0,1] neg_hi:[0,1]
	v_pk_add_f32 v[30:31], v[30:31], v[120:121] neg_lo:[0,1] neg_hi:[0,1]
	s_wait_dscnt 0x0
	v_dual_mul_f32 v120, v117, v109 :: v_dual_mul_f32 v122, v117, v106
	s_delay_alu instid0(VALU_DEP_1) | instskip(NEXT) | instid1(VALU_DEP_2)
	v_pk_fma_f32 v[120:121], v[116:117], v[96:97], v[120:121] op_sel_hi:[1,1,0] neg_lo:[0,0,1] neg_hi:[0,0,1]
	v_pk_fma_f32 v[116:117], v[116:117], v[96:97], v[122:123] op_sel:[1,0,0] op_sel_hi:[0,1,0]
	s_delay_alu instid0(VALU_DEP_1) | instskip(SKIP_1) | instid1(VALU_DEP_2)
	v_mov_b32_e32 v121, v117
	v_pk_mul_f32 v[116:117], v[118:119], v[108:109] op_sel:[0,1]
	v_pk_add_f32 v[80:81], v[80:81], v[120:121] neg_lo:[0,1] neg_hi:[0,1]
	s_delay_alu instid0(VALU_DEP_2) | instskip(SKIP_1) | instid1(VALU_DEP_1)
	v_pk_fma_f32 v[120:121], v[118:119], v[106:107], v[116:117] op_sel:[0,0,1] op_sel_hi:[1,1,0] neg_lo:[0,0,1] neg_hi:[0,0,1]
	v_pk_fma_f32 v[116:117], v[118:119], v[106:107], v[116:117] op_sel:[0,0,1] op_sel_hi:[1,0,0]
	v_mov_b32_e32 v121, v117
	ds_load_2addr_b64 v[116:119], v110 offset0:34 offset1:35
	v_pk_add_f32 v[24:25], v[24:25], v[120:121] neg_lo:[0,1] neg_hi:[0,1]
	s_wait_dscnt 0x0
	v_pk_mul_f32 v[120:121], v[116:117], v[108:109] op_sel:[0,1]
	s_delay_alu instid0(VALU_DEP_1) | instskip(SKIP_1) | instid1(VALU_DEP_1)
	v_pk_fma_f32 v[122:123], v[116:117], v[106:107], v[120:121] op_sel:[0,0,1] op_sel_hi:[1,1,0] neg_lo:[0,0,1] neg_hi:[0,0,1]
	v_pk_fma_f32 v[116:117], v[116:117], v[106:107], v[120:121] op_sel:[0,0,1] op_sel_hi:[1,0,0]
	v_mov_b32_e32 v123, v117
	v_pk_mul_f32 v[116:117], v[118:119], v[108:109] op_sel:[0,1]
	s_delay_alu instid0(VALU_DEP_2) | instskip(NEXT) | instid1(VALU_DEP_2)
	v_pk_add_f32 v[26:27], v[26:27], v[122:123] neg_lo:[0,1] neg_hi:[0,1]
	v_pk_fma_f32 v[120:121], v[118:119], v[106:107], v[116:117] op_sel:[0,0,1] op_sel_hi:[1,1,0] neg_lo:[0,0,1] neg_hi:[0,0,1]
	v_pk_fma_f32 v[116:117], v[118:119], v[106:107], v[116:117] op_sel:[0,0,1] op_sel_hi:[1,0,0]
	s_delay_alu instid0(VALU_DEP_1) | instskip(SKIP_4) | instid1(VALU_DEP_1)
	v_mov_b32_e32 v121, v117
	ds_load_2addr_b64 v[116:119], v110 offset0:36 offset1:37
	v_pk_add_f32 v[22:23], v[22:23], v[120:121] neg_lo:[0,1] neg_hi:[0,1]
	s_wait_dscnt 0x0
	v_pk_mul_f32 v[120:121], v[116:117], v[108:109] op_sel:[0,1]
	v_pk_fma_f32 v[122:123], v[116:117], v[106:107], v[120:121] op_sel:[0,0,1] op_sel_hi:[1,1,0] neg_lo:[0,0,1] neg_hi:[0,0,1]
	v_pk_fma_f32 v[116:117], v[116:117], v[106:107], v[120:121] op_sel:[0,0,1] op_sel_hi:[1,0,0]
	v_dual_mul_f32 v120, v119, v109 :: v_dual_mov_b32 v116, v119
	s_delay_alu instid0(VALU_DEP_2) | instskip(NEXT) | instid1(VALU_DEP_2)
	v_dual_mov_b32 v123, v117 :: v_dual_mov_b32 v117, v118
	v_pk_fma_f32 v[120:121], v[118:119], v[96:97], v[120:121] op_sel_hi:[1,1,0] neg_lo:[0,0,1] neg_hi:[0,0,1]
	v_mul_f32_e32 v118, v119, v106
	s_delay_alu instid0(VALU_DEP_3) | instskip(NEXT) | instid1(VALU_DEP_2)
	v_pk_add_f32 v[78:79], v[78:79], v[122:123] neg_lo:[0,1] neg_hi:[0,1]
	v_pk_fma_f32 v[116:117], v[116:117], v[96:97], v[118:119] op_sel_hi:[1,1,0]
	s_delay_alu instid0(VALU_DEP_1) | instskip(SKIP_4) | instid1(VALU_DEP_1)
	v_mov_b32_e32 v121, v117
	ds_load_2addr_b64 v[116:119], v110 offset0:38 offset1:39
	v_pk_add_f32 v[18:19], v[18:19], v[120:121] neg_lo:[0,1] neg_hi:[0,1]
	s_wait_dscnt 0x0
	v_pk_mul_f32 v[120:121], v[116:117], v[108:109] op_sel:[0,1]
	v_pk_fma_f32 v[122:123], v[116:117], v[106:107], v[120:121] op_sel:[0,0,1] op_sel_hi:[1,1,0] neg_lo:[0,0,1] neg_hi:[0,0,1]
	v_pk_fma_f32 v[116:117], v[116:117], v[106:107], v[120:121] op_sel:[0,0,1] op_sel_hi:[1,0,0]
	s_delay_alu instid0(VALU_DEP_1) | instskip(SKIP_1) | instid1(VALU_DEP_1)
	v_mov_b32_e32 v123, v117
	v_pk_mul_f32 v[116:117], v[118:119], v[108:109] op_sel:[0,1]
	v_pk_fma_f32 v[120:121], v[118:119], v[106:107], v[116:117] op_sel:[0,0,1] op_sel_hi:[1,1,0] neg_lo:[0,0,1] neg_hi:[0,0,1]
	v_pk_fma_f32 v[116:117], v[118:119], v[106:107], v[116:117] op_sel:[0,0,1] op_sel_hi:[1,0,0]
	s_delay_alu instid0(VALU_DEP_1)
	v_mov_b32_e32 v121, v117
	ds_load_2addr_b64 v[116:119], v110 offset0:40 offset1:41
	v_pk_add_f32 v[20:21], v[20:21], v[122:123] neg_lo:[0,1] neg_hi:[0,1]
	v_pk_add_f32 v[16:17], v[16:17], v[120:121] neg_lo:[0,1] neg_hi:[0,1]
	s_wait_dscnt 0x0
	v_pk_mul_f32 v[120:121], v[116:117], v[108:109] op_sel:[0,1]
	s_delay_alu instid0(VALU_DEP_1) | instskip(SKIP_1) | instid1(VALU_DEP_1)
	v_pk_fma_f32 v[122:123], v[116:117], v[106:107], v[120:121] op_sel:[0,0,1] op_sel_hi:[1,1,0] neg_lo:[0,0,1] neg_hi:[0,0,1]
	v_pk_fma_f32 v[116:117], v[116:117], v[106:107], v[120:121] op_sel:[0,0,1] op_sel_hi:[1,0,0]
	v_mov_b32_e32 v123, v117
	v_pk_mul_f32 v[116:117], v[118:119], v[108:109] op_sel:[0,1]
	s_delay_alu instid0(VALU_DEP_1) | instskip(SKIP_1) | instid1(VALU_DEP_1)
	v_pk_fma_f32 v[120:121], v[118:119], v[106:107], v[116:117] op_sel:[0,0,1] op_sel_hi:[1,1,0] neg_lo:[0,0,1] neg_hi:[0,0,1]
	v_pk_fma_f32 v[116:117], v[118:119], v[106:107], v[116:117] op_sel:[0,0,1] op_sel_hi:[1,0,0]
	v_mov_b32_e32 v121, v117
	ds_load_2addr_b64 v[116:119], v110 offset0:42 offset1:43
	v_pk_add_f32 v[76:77], v[76:77], v[122:123] neg_lo:[0,1] neg_hi:[0,1]
	v_pk_add_f32 v[10:11], v[10:11], v[120:121] neg_lo:[0,1] neg_hi:[0,1]
	s_wait_dscnt 0x0
	v_dual_mul_f32 v120, v117, v109 :: v_dual_mul_f32 v122, v117, v106
	s_delay_alu instid0(VALU_DEP_1) | instskip(NEXT) | instid1(VALU_DEP_2)
	v_pk_fma_f32 v[120:121], v[116:117], v[96:97], v[120:121] op_sel_hi:[1,1,0] neg_lo:[0,0,1] neg_hi:[0,0,1]
	v_pk_fma_f32 v[116:117], v[116:117], v[96:97], v[122:123] op_sel:[1,0,0] op_sel_hi:[0,1,0]
	s_delay_alu instid0(VALU_DEP_1) | instskip(SKIP_1) | instid1(VALU_DEP_2)
	v_mov_b32_e32 v121, v117
	v_pk_mul_f32 v[116:117], v[118:119], v[108:109] op_sel:[0,1]
	v_pk_add_f32 v[12:13], v[12:13], v[120:121] neg_lo:[0,1] neg_hi:[0,1]
	s_delay_alu instid0(VALU_DEP_2) | instskip(SKIP_1) | instid1(VALU_DEP_1)
	v_pk_fma_f32 v[120:121], v[118:119], v[106:107], v[116:117] op_sel:[0,0,1] op_sel_hi:[1,1,0] neg_lo:[0,0,1] neg_hi:[0,0,1]
	v_pk_fma_f32 v[116:117], v[118:119], v[106:107], v[116:117] op_sel:[0,0,1] op_sel_hi:[1,0,0]
	v_mov_b32_e32 v121, v117
	ds_load_2addr_b64 v[116:119], v110 offset0:44 offset1:45
	v_pk_add_f32 v[8:9], v[8:9], v[120:121] neg_lo:[0,1] neg_hi:[0,1]
	s_wait_dscnt 0x0
	v_pk_mul_f32 v[120:121], v[116:117], v[108:109] op_sel:[0,1]
	s_delay_alu instid0(VALU_DEP_1) | instskip(SKIP_1) | instid1(VALU_DEP_1)
	v_pk_fma_f32 v[122:123], v[116:117], v[106:107], v[120:121] op_sel:[0,0,1] op_sel_hi:[1,1,0] neg_lo:[0,0,1] neg_hi:[0,0,1]
	v_pk_fma_f32 v[116:117], v[116:117], v[106:107], v[120:121] op_sel:[0,0,1] op_sel_hi:[1,0,0]
	v_mov_b32_e32 v123, v117
	v_pk_mul_f32 v[116:117], v[118:119], v[108:109] op_sel:[0,1]
	s_delay_alu instid0(VALU_DEP_2) | instskip(NEXT) | instid1(VALU_DEP_2)
	v_pk_add_f32 v[70:71], v[70:71], v[122:123] neg_lo:[0,1] neg_hi:[0,1]
	v_pk_fma_f32 v[120:121], v[118:119], v[106:107], v[116:117] op_sel:[0,0,1] op_sel_hi:[1,1,0] neg_lo:[0,0,1] neg_hi:[0,0,1]
	v_pk_fma_f32 v[116:117], v[118:119], v[106:107], v[116:117] op_sel:[0,0,1] op_sel_hi:[1,0,0]
	s_delay_alu instid0(VALU_DEP_1) | instskip(SKIP_4) | instid1(VALU_DEP_1)
	v_mov_b32_e32 v121, v117
	ds_load_2addr_b64 v[116:119], v110 offset0:46 offset1:47
	v_pk_add_f32 v[6:7], v[6:7], v[120:121] neg_lo:[0,1] neg_hi:[0,1]
	s_wait_dscnt 0x0
	v_pk_mul_f32 v[120:121], v[116:117], v[108:109] op_sel:[0,1]
	v_pk_fma_f32 v[122:123], v[116:117], v[106:107], v[120:121] op_sel:[0,0,1] op_sel_hi:[1,1,0] neg_lo:[0,0,1] neg_hi:[0,0,1]
	v_pk_fma_f32 v[116:117], v[116:117], v[106:107], v[120:121] op_sel:[0,0,1] op_sel_hi:[1,0,0]
	v_dual_mul_f32 v120, v119, v109 :: v_dual_mov_b32 v116, v119
	s_delay_alu instid0(VALU_DEP_2) | instskip(NEXT) | instid1(VALU_DEP_2)
	v_dual_mov_b32 v123, v117 :: v_dual_mov_b32 v117, v118
	v_pk_fma_f32 v[120:121], v[118:119], v[96:97], v[120:121] op_sel_hi:[1,1,0] neg_lo:[0,0,1] neg_hi:[0,0,1]
	v_mul_f32_e32 v118, v119, v106
	s_delay_alu instid0(VALU_DEP_3) | instskip(NEXT) | instid1(VALU_DEP_2)
	v_pk_add_f32 v[46:47], v[46:47], v[122:123] neg_lo:[0,1] neg_hi:[0,1]
	v_pk_fma_f32 v[116:117], v[116:117], v[96:97], v[118:119] op_sel_hi:[1,1,0]
	s_delay_alu instid0(VALU_DEP_1)
	v_mov_b32_e32 v121, v117
	ds_load_2addr_b64 v[116:119], v110 offset0:48 offset1:49
	v_pk_add_f32 v[28:29], v[28:29], v[120:121] neg_lo:[0,1] neg_hi:[0,1]
	s_wait_dscnt 0x0
	v_pk_mul_f32 v[120:121], v[116:117], v[108:109] op_sel:[0,1]
	v_pk_mul_f32 v[108:109], v[118:119], v[108:109] op_sel:[0,1]
	s_delay_alu instid0(VALU_DEP_2) | instskip(SKIP_1) | instid1(VALU_DEP_1)
	v_pk_fma_f32 v[122:123], v[116:117], v[106:107], v[120:121] op_sel:[0,0,1] op_sel_hi:[1,1,0] neg_lo:[0,0,1] neg_hi:[0,0,1]
	v_pk_fma_f32 v[116:117], v[116:117], v[106:107], v[120:121] op_sel:[0,0,1] op_sel_hi:[1,0,0]
	v_mov_b32_e32 v123, v117
	s_delay_alu instid0(VALU_DEP_4) | instskip(SKIP_1) | instid1(VALU_DEP_1)
	v_pk_fma_f32 v[116:117], v[118:119], v[106:107], v[108:109] op_sel:[0,0,1] op_sel_hi:[1,1,0] neg_lo:[0,0,1] neg_hi:[0,0,1]
	v_pk_fma_f32 v[106:107], v[118:119], v[106:107], v[108:109] op_sel:[0,0,1] op_sel_hi:[1,0,0]
	v_mov_b32_e32 v117, v107
	s_delay_alu instid0(VALU_DEP_4) | instskip(NEXT) | instid1(VALU_DEP_2)
	v_pk_add_f32 v[14:15], v[14:15], v[122:123] neg_lo:[0,1] neg_hi:[0,1]
	v_pk_add_f32 v[104:105], v[104:105], v[116:117] neg_lo:[0,1] neg_hi:[0,1]
.LBB98_83:
	s_or_b32 exec_lo, exec_lo, s0
	v_lshl_add_u32 v106, v114, 3, v110
	s_barrier_signal -1
	s_barrier_wait -1
	ds_store_b64 v106, v[84:85]
	s_wait_dscnt 0x0
	s_barrier_signal -1
	s_barrier_wait -1
	ds_load_b64 v[108:109], v110 offset:32
	v_mov_b32_e32 v106, 4
	s_cmp_lt_i32 s18, 6
	s_cbranch_scc1 .LBB98_86
; %bb.84:
	v_add3_u32 v107, v111, 0, 40
	v_mov_b32_e32 v106, 4
	s_mov_b32 s0, 5
.LBB98_85:                              ; =>This Inner Loop Header: Depth=1
	ds_load_b64 v[116:117], v107
	s_wait_dscnt 0x1
	v_cmp_gt_f32_e32 vcc_lo, 0, v108
	v_cndmask_b32_e64 v118, v108, -v108, vcc_lo
	v_cmp_gt_f32_e32 vcc_lo, 0, v109
	v_cndmask_b32_e64 v120, v109, -v109, vcc_lo
	s_wait_dscnt 0x0
	v_cmp_gt_f32_e32 vcc_lo, 0, v116
	v_cndmask_b32_e64 v119, v116, -v116, vcc_lo
	v_cmp_gt_f32_e32 vcc_lo, 0, v117
	v_cndmask_b32_e64 v121, v117, -v117, vcc_lo
	s_delay_alu instid0(VALU_DEP_1) | instskip(NEXT) | instid1(VALU_DEP_1)
	v_pk_add_f32 v[118:119], v[118:119], v[120:121]
	v_cmp_lt_f32_e32 vcc_lo, v118, v119
	v_dual_add_nc_u32 v107, 8, v107 :: v_dual_cndmask_b32 v109, v109, v117, vcc_lo
	v_cndmask_b32_e32 v108, v108, v116, vcc_lo
	v_cndmask_b32_e64 v106, v106, s0, vcc_lo
	s_add_co_i32 s0, s0, 1
	s_delay_alu instid0(SALU_CYCLE_1)
	s_cmp_lg_u32 s18, s0
	s_cbranch_scc1 .LBB98_85
.LBB98_86:
	s_wait_dscnt 0x0
	v_cmp_eq_f32_e32 vcc_lo, 0, v108
	v_cmp_eq_f32_e64 s0, 0, v109
	s_and_b32 s0, vcc_lo, s0
	s_delay_alu instid0(SALU_CYCLE_1) | instskip(NEXT) | instid1(SALU_CYCLE_1)
	s_and_saveexec_b32 s1, s0
	s_xor_b32 s0, exec_lo, s1
; %bb.87:
	v_cmp_ne_u32_e32 vcc_lo, 0, v112
	v_cndmask_b32_e32 v112, 5, v112, vcc_lo
; %bb.88:
	s_and_not1_saveexec_b32 s0, s0
	s_cbranch_execz .LBB98_94
; %bb.89:
	v_cmp_ngt_f32_e64 s1, |v108|, |v109|
	s_and_saveexec_b32 s12, s1
	s_delay_alu instid0(SALU_CYCLE_1)
	s_xor_b32 s1, exec_lo, s12
	s_cbranch_execz .LBB98_91
; %bb.90:
	v_div_scale_f32 v107, null, v109, v109, v108
	v_div_scale_f32 v117, vcc_lo, v108, v109, v108
	s_delay_alu instid0(VALU_DEP_2) | instskip(SKIP_1) | instid1(TRANS32_DEP_1)
	v_rcp_f32_e32 v115, v107
	v_nop
	v_fma_f32 v116, -v107, v115, 1.0
	s_delay_alu instid0(VALU_DEP_1) | instskip(NEXT) | instid1(VALU_DEP_1)
	v_fmac_f32_e32 v115, v116, v115
	v_mul_f32_e32 v116, v117, v115
	s_delay_alu instid0(VALU_DEP_1) | instskip(NEXT) | instid1(VALU_DEP_1)
	v_fma_f32 v118, -v107, v116, v117
	v_fmac_f32_e32 v116, v118, v115
	s_delay_alu instid0(VALU_DEP_1) | instskip(NEXT) | instid1(VALU_DEP_1)
	v_fma_f32 v107, -v107, v116, v117
	v_div_fmas_f32 v107, v107, v115, v116
	s_delay_alu instid0(VALU_DEP_1) | instskip(NEXT) | instid1(VALU_DEP_1)
	v_div_fixup_f32 v107, v107, v109, v108
	v_fmac_f32_e32 v109, v108, v107
	s_delay_alu instid0(VALU_DEP_1) | instskip(SKIP_1) | instid1(VALU_DEP_2)
	v_div_scale_f32 v108, null, v109, v109, 1.0
	v_div_scale_f32 v117, vcc_lo, 1.0, v109, 1.0
	v_rcp_f32_e32 v115, v108
	v_nop
	s_delay_alu instid0(TRANS32_DEP_1) | instskip(NEXT) | instid1(VALU_DEP_1)
	v_fma_f32 v116, -v108, v115, 1.0
	v_fmac_f32_e32 v115, v116, v115
	s_delay_alu instid0(VALU_DEP_1) | instskip(NEXT) | instid1(VALU_DEP_1)
	v_mul_f32_e32 v116, v117, v115
	v_fma_f32 v118, -v108, v116, v117
	s_delay_alu instid0(VALU_DEP_1) | instskip(NEXT) | instid1(VALU_DEP_1)
	v_fmac_f32_e32 v116, v118, v115
	v_fma_f32 v108, -v108, v116, v117
	s_delay_alu instid0(VALU_DEP_1) | instskip(NEXT) | instid1(VALU_DEP_1)
	v_div_fmas_f32 v108, v108, v115, v116
	v_div_fixup_f32 v109, v108, v109, 1.0
	s_delay_alu instid0(VALU_DEP_1)
	v_mul_f32_e32 v108, v107, v109
	v_xor_b32_e32 v109, 0x80000000, v109
.LBB98_91:
	s_and_not1_saveexec_b32 s1, s1
	s_cbranch_execz .LBB98_93
; %bb.92:
	s_delay_alu instid0(VALU_DEP_1) | instskip(SKIP_1) | instid1(VALU_DEP_2)
	v_div_scale_f32 v107, null, v108, v108, v109
	v_div_scale_f32 v117, vcc_lo, v109, v108, v109
	v_rcp_f32_e32 v115, v107
	v_nop
	s_delay_alu instid0(TRANS32_DEP_1) | instskip(NEXT) | instid1(VALU_DEP_1)
	v_fma_f32 v116, -v107, v115, 1.0
	v_fmac_f32_e32 v115, v116, v115
	s_delay_alu instid0(VALU_DEP_1) | instskip(NEXT) | instid1(VALU_DEP_1)
	v_mul_f32_e32 v116, v117, v115
	v_fma_f32 v118, -v107, v116, v117
	s_delay_alu instid0(VALU_DEP_1) | instskip(NEXT) | instid1(VALU_DEP_1)
	v_fmac_f32_e32 v116, v118, v115
	v_fma_f32 v107, -v107, v116, v117
	s_delay_alu instid0(VALU_DEP_1) | instskip(NEXT) | instid1(VALU_DEP_1)
	v_div_fmas_f32 v107, v107, v115, v116
	v_div_fixup_f32 v107, v107, v108, v109
	s_delay_alu instid0(VALU_DEP_1) | instskip(NEXT) | instid1(VALU_DEP_1)
	v_fmac_f32_e32 v108, v109, v107
	v_div_scale_f32 v109, null, v108, v108, 1.0
	s_delay_alu instid0(VALU_DEP_1) | instskip(SKIP_1) | instid1(TRANS32_DEP_1)
	v_rcp_f32_e32 v115, v109
	v_nop
	v_fma_f32 v116, -v109, v115, 1.0
	s_delay_alu instid0(VALU_DEP_1) | instskip(SKIP_1) | instid1(VALU_DEP_1)
	v_fmac_f32_e32 v115, v116, v115
	v_div_scale_f32 v116, vcc_lo, 1.0, v108, 1.0
	v_mul_f32_e32 v117, v116, v115
	s_delay_alu instid0(VALU_DEP_1) | instskip(NEXT) | instid1(VALU_DEP_1)
	v_fma_f32 v118, -v109, v117, v116
	v_fmac_f32_e32 v117, v118, v115
	s_delay_alu instid0(VALU_DEP_1) | instskip(NEXT) | instid1(VALU_DEP_1)
	v_fma_f32 v109, -v109, v117, v116
	v_div_fmas_f32 v109, v109, v115, v117
	s_delay_alu instid0(VALU_DEP_1) | instskip(NEXT) | instid1(VALU_DEP_1)
	v_div_fixup_f32 v108, v109, v108, 1.0
	v_mul_f32_e64 v109, v107, -v108
.LBB98_93:
	s_or_b32 exec_lo, exec_lo, s1
.LBB98_94:
	s_delay_alu instid0(SALU_CYCLE_1) | instskip(NEXT) | instid1(SALU_CYCLE_1)
	s_or_b32 exec_lo, exec_lo, s0
	s_mov_b32 s0, exec_lo
	v_cmpx_ne_u32_e64 v114, v106
	s_xor_b32 s0, exec_lo, s0
	s_cbranch_execz .LBB98_100
; %bb.95:
	s_mov_b32 s1, exec_lo
	v_cmpx_eq_u32_e32 4, v114
	s_cbranch_execz .LBB98_99
; %bb.96:
	v_cmp_ne_u32_e32 vcc_lo, 4, v106
	s_xor_b32 s12, s16, -1
	s_delay_alu instid0(SALU_CYCLE_1) | instskip(NEXT) | instid1(SALU_CYCLE_1)
	s_and_b32 s13, s12, vcc_lo
	s_and_saveexec_b32 s12, s13
	s_cbranch_execz .LBB98_98
; %bb.97:
	v_ashrrev_i32_e32 v107, 31, v106
	s_delay_alu instid0(VALU_DEP_1)
	v_lshl_add_u64 v[114:115], v[106:107], 2, v[4:5]
	s_clause 0x1
	global_load_b32 v107, v[114:115], off
	global_load_b32 v113, v[4:5], off offset:16
	s_wait_loadcnt 0x1
	global_store_b32 v[4:5], v107, off offset:16
	s_wait_loadcnt 0x0
	global_store_b32 v[114:115], v113, off
.LBB98_98:
	s_wait_xcnt 0x0
	s_or_b32 exec_lo, exec_lo, s12
	v_dual_mov_b32 v114, v106 :: v_dual_mov_b32 v113, v106
.LBB98_99:
	s_or_b32 exec_lo, exec_lo, s1
.LBB98_100:
	s_and_not1_saveexec_b32 s0, s0
	s_cbranch_execz .LBB98_102
; %bb.101:
	v_mov_b32_e32 v114, 4
	ds_store_2addr_b64 v110, v[74:75], v[44:45] offset0:5 offset1:6
	ds_store_2addr_b64 v110, v[40:41], v[88:89] offset0:7 offset1:8
	;; [unrolled: 1-line block ×22, first 2 shown]
	ds_store_b64 v110, v[104:105] offset:392
.LBB98_102:
	s_or_b32 exec_lo, exec_lo, s0
	s_delay_alu instid0(SALU_CYCLE_1)
	s_mov_b32 s0, exec_lo
	s_wait_storecnt_dscnt 0x0
	s_barrier_signal -1
	s_barrier_wait -1
	v_cmpx_lt_i32_e32 4, v114
	s_cbranch_execz .LBB98_104
; %bb.103:
	v_pk_mul_f32 v[116:117], v[108:109], v[84:85] op_sel:[1,1] op_sel_hi:[0,1]
	s_delay_alu instid0(VALU_DEP_1)
	v_pk_fma_f32 v[106:107], v[108:109], v[84:85], v[116:117] op_sel_hi:[1,0,1] neg_lo:[0,0,1] neg_hi:[0,0,1]
	v_pk_fma_f32 v[108:109], v[108:109], v[84:85], v[116:117] op_sel_hi:[1,0,1]
	ds_load_2addr_b64 v[116:119], v110 offset0:5 offset1:6
	v_dual_mov_b32 v84, v106 :: v_dual_mov_b32 v85, v109
	s_wait_dscnt 0x0
	v_pk_mul_f32 v[120:121], v[116:117], v[108:109] op_sel:[0,1]
	s_delay_alu instid0(VALU_DEP_1) | instskip(SKIP_1) | instid1(VALU_DEP_1)
	v_pk_fma_f32 v[122:123], v[116:117], v[106:107], v[120:121] op_sel:[0,0,1] op_sel_hi:[1,1,0] neg_lo:[0,0,1] neg_hi:[0,0,1]
	v_pk_fma_f32 v[116:117], v[116:117], v[106:107], v[120:121] op_sel:[0,0,1] op_sel_hi:[1,0,0]
	v_mov_b32_e32 v123, v117
	v_pk_mul_f32 v[116:117], v[118:119], v[108:109] op_sel:[0,1]
	s_delay_alu instid0(VALU_DEP_1) | instskip(SKIP_1) | instid1(VALU_DEP_1)
	v_pk_fma_f32 v[120:121], v[118:119], v[106:107], v[116:117] op_sel:[0,0,1] op_sel_hi:[1,1,0] neg_lo:[0,0,1] neg_hi:[0,0,1]
	v_pk_fma_f32 v[116:117], v[118:119], v[106:107], v[116:117] op_sel:[0,0,1] op_sel_hi:[1,0,0]
	v_mov_b32_e32 v121, v117
	ds_load_2addr_b64 v[116:119], v110 offset0:7 offset1:8
	v_pk_add_f32 v[74:75], v[74:75], v[122:123] neg_lo:[0,1] neg_hi:[0,1]
	v_pk_add_f32 v[44:45], v[44:45], v[120:121] neg_lo:[0,1] neg_hi:[0,1]
	s_wait_dscnt 0x0
	v_pk_mul_f32 v[120:121], v[116:117], v[108:109] op_sel:[0,1]
	s_delay_alu instid0(VALU_DEP_1) | instskip(SKIP_2) | instid1(VALU_DEP_2)
	v_pk_fma_f32 v[122:123], v[116:117], v[106:107], v[120:121] op_sel:[0,0,1] op_sel_hi:[1,1,0] neg_lo:[0,0,1] neg_hi:[0,0,1]
	v_pk_fma_f32 v[116:117], v[116:117], v[106:107], v[120:121] op_sel:[0,0,1] op_sel_hi:[1,0,0]
	v_dual_mul_f32 v120, v119, v109 :: v_dual_mov_b32 v116, v119
	v_dual_mov_b32 v123, v117 :: v_dual_mov_b32 v117, v118
	s_delay_alu instid0(VALU_DEP_2) | instskip(SKIP_1) | instid1(VALU_DEP_3)
	v_pk_fma_f32 v[120:121], v[118:119], v[84:85], v[120:121] op_sel_hi:[1,1,0] neg_lo:[0,0,1] neg_hi:[0,0,1]
	v_mul_f32_e32 v118, v119, v106
	v_pk_add_f32 v[40:41], v[40:41], v[122:123] neg_lo:[0,1] neg_hi:[0,1]
	s_delay_alu instid0(VALU_DEP_2) | instskip(NEXT) | instid1(VALU_DEP_1)
	v_pk_fma_f32 v[116:117], v[116:117], v[84:85], v[118:119] op_sel_hi:[1,1,0]
	v_mov_b32_e32 v121, v117
	ds_load_2addr_b64 v[116:119], v110 offset0:9 offset1:10
	v_pk_add_f32 v[88:89], v[88:89], v[120:121] neg_lo:[0,1] neg_hi:[0,1]
	s_wait_dscnt 0x0
	v_pk_mul_f32 v[120:121], v[116:117], v[108:109] op_sel:[0,1]
	s_delay_alu instid0(VALU_DEP_1) | instskip(SKIP_1) | instid1(VALU_DEP_1)
	v_pk_fma_f32 v[122:123], v[116:117], v[106:107], v[120:121] op_sel:[0,0,1] op_sel_hi:[1,1,0] neg_lo:[0,0,1] neg_hi:[0,0,1]
	v_pk_fma_f32 v[116:117], v[116:117], v[106:107], v[120:121] op_sel:[0,0,1] op_sel_hi:[1,0,0]
	v_mov_b32_e32 v123, v117
	v_pk_mul_f32 v[116:117], v[118:119], v[108:109] op_sel:[0,1]
	s_delay_alu instid0(VALU_DEP_1) | instskip(SKIP_1) | instid1(VALU_DEP_1)
	v_pk_fma_f32 v[120:121], v[118:119], v[106:107], v[116:117] op_sel:[0,0,1] op_sel_hi:[1,1,0] neg_lo:[0,0,1] neg_hi:[0,0,1]
	v_pk_fma_f32 v[116:117], v[118:119], v[106:107], v[116:117] op_sel:[0,0,1] op_sel_hi:[1,0,0]
	v_mov_b32_e32 v121, v117
	ds_load_2addr_b64 v[116:119], v110 offset0:11 offset1:12
	v_pk_add_f32 v[50:51], v[50:51], v[122:123] neg_lo:[0,1] neg_hi:[0,1]
	v_pk_add_f32 v[52:53], v[52:53], v[120:121] neg_lo:[0,1] neg_hi:[0,1]
	s_wait_dscnt 0x0
	v_pk_mul_f32 v[120:121], v[116:117], v[108:109] op_sel:[0,1]
	s_delay_alu instid0(VALU_DEP_1) | instskip(SKIP_1) | instid1(VALU_DEP_1)
	v_pk_fma_f32 v[122:123], v[116:117], v[106:107], v[120:121] op_sel:[0,0,1] op_sel_hi:[1,1,0] neg_lo:[0,0,1] neg_hi:[0,0,1]
	v_pk_fma_f32 v[116:117], v[116:117], v[106:107], v[120:121] op_sel:[0,0,1] op_sel_hi:[1,0,0]
	v_mov_b32_e32 v123, v117
	v_pk_mul_f32 v[116:117], v[118:119], v[108:109] op_sel:[0,1]
	s_delay_alu instid0(VALU_DEP_1) | instskip(SKIP_1) | instid1(VALU_DEP_1)
	v_pk_fma_f32 v[120:121], v[118:119], v[106:107], v[116:117] op_sel:[0,0,1] op_sel_hi:[1,1,0] neg_lo:[0,0,1] neg_hi:[0,0,1]
	v_pk_fma_f32 v[116:117], v[118:119], v[106:107], v[116:117] op_sel:[0,0,1] op_sel_hi:[1,0,0]
	v_mov_b32_e32 v121, v117
	ds_load_2addr_b64 v[116:119], v110 offset0:13 offset1:14
	v_pk_add_f32 v[48:49], v[48:49], v[122:123] neg_lo:[0,1] neg_hi:[0,1]
	v_pk_add_f32 v[94:95], v[94:95], v[120:121] neg_lo:[0,1] neg_hi:[0,1]
	s_wait_dscnt 0x0
	v_dual_mul_f32 v120, v117, v109 :: v_dual_mul_f32 v122, v117, v106
	s_delay_alu instid0(VALU_DEP_1) | instskip(NEXT) | instid1(VALU_DEP_2)
	v_pk_fma_f32 v[120:121], v[116:117], v[84:85], v[120:121] op_sel_hi:[1,1,0] neg_lo:[0,0,1] neg_hi:[0,0,1]
	v_pk_fma_f32 v[116:117], v[116:117], v[84:85], v[122:123] op_sel:[1,0,0] op_sel_hi:[0,1,0]
	s_delay_alu instid0(VALU_DEP_1) | instskip(SKIP_1) | instid1(VALU_DEP_2)
	v_mov_b32_e32 v121, v117
	v_pk_mul_f32 v[116:117], v[118:119], v[108:109] op_sel:[0,1]
	v_pk_add_f32 v[68:69], v[68:69], v[120:121] neg_lo:[0,1] neg_hi:[0,1]
	s_delay_alu instid0(VALU_DEP_2) | instskip(SKIP_1) | instid1(VALU_DEP_1)
	v_pk_fma_f32 v[120:121], v[118:119], v[106:107], v[116:117] op_sel:[0,0,1] op_sel_hi:[1,1,0] neg_lo:[0,0,1] neg_hi:[0,0,1]
	v_pk_fma_f32 v[116:117], v[118:119], v[106:107], v[116:117] op_sel:[0,0,1] op_sel_hi:[1,0,0]
	v_mov_b32_e32 v121, v117
	ds_load_2addr_b64 v[116:119], v110 offset0:15 offset1:16
	v_pk_add_f32 v[72:73], v[72:73], v[120:121] neg_lo:[0,1] neg_hi:[0,1]
	s_wait_dscnt 0x0
	v_pk_mul_f32 v[120:121], v[116:117], v[108:109] op_sel:[0,1]
	s_delay_alu instid0(VALU_DEP_1) | instskip(SKIP_1) | instid1(VALU_DEP_1)
	v_pk_fma_f32 v[122:123], v[116:117], v[106:107], v[120:121] op_sel:[0,0,1] op_sel_hi:[1,1,0] neg_lo:[0,0,1] neg_hi:[0,0,1]
	v_pk_fma_f32 v[116:117], v[116:117], v[106:107], v[120:121] op_sel:[0,0,1] op_sel_hi:[1,0,0]
	v_mov_b32_e32 v123, v117
	v_pk_mul_f32 v[116:117], v[118:119], v[108:109] op_sel:[0,1]
	s_delay_alu instid0(VALU_DEP_2) | instskip(NEXT) | instid1(VALU_DEP_2)
	v_pk_add_f32 v[66:67], v[66:67], v[122:123] neg_lo:[0,1] neg_hi:[0,1]
	v_pk_fma_f32 v[120:121], v[118:119], v[106:107], v[116:117] op_sel:[0,0,1] op_sel_hi:[1,1,0] neg_lo:[0,0,1] neg_hi:[0,0,1]
	v_pk_fma_f32 v[116:117], v[118:119], v[106:107], v[116:117] op_sel:[0,0,1] op_sel_hi:[1,0,0]
	s_delay_alu instid0(VALU_DEP_1) | instskip(SKIP_4) | instid1(VALU_DEP_1)
	v_mov_b32_e32 v121, v117
	ds_load_2addr_b64 v[116:119], v110 offset0:17 offset1:18
	v_pk_add_f32 v[92:93], v[92:93], v[120:121] neg_lo:[0,1] neg_hi:[0,1]
	s_wait_dscnt 0x0
	v_pk_mul_f32 v[120:121], v[116:117], v[108:109] op_sel:[0,1]
	v_pk_fma_f32 v[122:123], v[116:117], v[106:107], v[120:121] op_sel:[0,0,1] op_sel_hi:[1,1,0] neg_lo:[0,0,1] neg_hi:[0,0,1]
	v_pk_fma_f32 v[116:117], v[116:117], v[106:107], v[120:121] op_sel:[0,0,1] op_sel_hi:[1,0,0]
	v_dual_mul_f32 v120, v119, v109 :: v_dual_mov_b32 v116, v119
	s_delay_alu instid0(VALU_DEP_2) | instskip(NEXT) | instid1(VALU_DEP_2)
	v_dual_mov_b32 v123, v117 :: v_dual_mov_b32 v117, v118
	v_pk_fma_f32 v[120:121], v[118:119], v[84:85], v[120:121] op_sel_hi:[1,1,0] neg_lo:[0,0,1] neg_hi:[0,0,1]
	v_mul_f32_e32 v118, v119, v106
	s_delay_alu instid0(VALU_DEP_3) | instskip(NEXT) | instid1(VALU_DEP_2)
	v_pk_add_f32 v[62:63], v[62:63], v[122:123] neg_lo:[0,1] neg_hi:[0,1]
	v_pk_fma_f32 v[116:117], v[116:117], v[84:85], v[118:119] op_sel_hi:[1,1,0]
	s_delay_alu instid0(VALU_DEP_1) | instskip(SKIP_4) | instid1(VALU_DEP_1)
	v_mov_b32_e32 v121, v117
	ds_load_2addr_b64 v[116:119], v110 offset0:19 offset1:20
	v_pk_add_f32 v[64:65], v[64:65], v[120:121] neg_lo:[0,1] neg_hi:[0,1]
	s_wait_dscnt 0x0
	v_pk_mul_f32 v[120:121], v[116:117], v[108:109] op_sel:[0,1]
	v_pk_fma_f32 v[122:123], v[116:117], v[106:107], v[120:121] op_sel:[0,0,1] op_sel_hi:[1,1,0] neg_lo:[0,0,1] neg_hi:[0,0,1]
	v_pk_fma_f32 v[116:117], v[116:117], v[106:107], v[120:121] op_sel:[0,0,1] op_sel_hi:[1,0,0]
	s_delay_alu instid0(VALU_DEP_1) | instskip(SKIP_1) | instid1(VALU_DEP_1)
	v_mov_b32_e32 v123, v117
	v_pk_mul_f32 v[116:117], v[118:119], v[108:109] op_sel:[0,1]
	v_pk_fma_f32 v[120:121], v[118:119], v[106:107], v[116:117] op_sel:[0,0,1] op_sel_hi:[1,1,0] neg_lo:[0,0,1] neg_hi:[0,0,1]
	v_pk_fma_f32 v[116:117], v[118:119], v[106:107], v[116:117] op_sel:[0,0,1] op_sel_hi:[1,0,0]
	s_delay_alu instid0(VALU_DEP_1)
	v_mov_b32_e32 v121, v117
	ds_load_2addr_b64 v[116:119], v110 offset0:21 offset1:22
	v_pk_add_f32 v[60:61], v[60:61], v[122:123] neg_lo:[0,1] neg_hi:[0,1]
	v_pk_add_f32 v[90:91], v[90:91], v[120:121] neg_lo:[0,1] neg_hi:[0,1]
	s_wait_dscnt 0x0
	v_pk_mul_f32 v[120:121], v[116:117], v[108:109] op_sel:[0,1]
	s_delay_alu instid0(VALU_DEP_1) | instskip(SKIP_1) | instid1(VALU_DEP_1)
	v_pk_fma_f32 v[122:123], v[116:117], v[106:107], v[120:121] op_sel:[0,0,1] op_sel_hi:[1,1,0] neg_lo:[0,0,1] neg_hi:[0,0,1]
	v_pk_fma_f32 v[116:117], v[116:117], v[106:107], v[120:121] op_sel:[0,0,1] op_sel_hi:[1,0,0]
	v_mov_b32_e32 v123, v117
	v_pk_mul_f32 v[116:117], v[118:119], v[108:109] op_sel:[0,1]
	s_delay_alu instid0(VALU_DEP_1) | instskip(SKIP_1) | instid1(VALU_DEP_1)
	v_pk_fma_f32 v[120:121], v[118:119], v[106:107], v[116:117] op_sel:[0,0,1] op_sel_hi:[1,1,0] neg_lo:[0,0,1] neg_hi:[0,0,1]
	v_pk_fma_f32 v[116:117], v[118:119], v[106:107], v[116:117] op_sel:[0,0,1] op_sel_hi:[1,0,0]
	v_mov_b32_e32 v121, v117
	ds_load_2addr_b64 v[116:119], v110 offset0:23 offset1:24
	v_pk_add_f32 v[56:57], v[56:57], v[122:123] neg_lo:[0,1] neg_hi:[0,1]
	v_pk_add_f32 v[58:59], v[58:59], v[120:121] neg_lo:[0,1] neg_hi:[0,1]
	s_wait_dscnt 0x0
	v_dual_mul_f32 v120, v117, v109 :: v_dual_mul_f32 v122, v117, v106
	s_delay_alu instid0(VALU_DEP_1) | instskip(NEXT) | instid1(VALU_DEP_2)
	v_pk_fma_f32 v[120:121], v[116:117], v[84:85], v[120:121] op_sel_hi:[1,1,0] neg_lo:[0,0,1] neg_hi:[0,0,1]
	v_pk_fma_f32 v[116:117], v[116:117], v[84:85], v[122:123] op_sel:[1,0,0] op_sel_hi:[0,1,0]
	s_delay_alu instid0(VALU_DEP_1) | instskip(SKIP_1) | instid1(VALU_DEP_2)
	v_mov_b32_e32 v121, v117
	v_pk_mul_f32 v[116:117], v[118:119], v[108:109] op_sel:[0,1]
	v_pk_add_f32 v[54:55], v[54:55], v[120:121] neg_lo:[0,1] neg_hi:[0,1]
	s_delay_alu instid0(VALU_DEP_2) | instskip(SKIP_1) | instid1(VALU_DEP_1)
	v_pk_fma_f32 v[120:121], v[118:119], v[106:107], v[116:117] op_sel:[0,0,1] op_sel_hi:[1,1,0] neg_lo:[0,0,1] neg_hi:[0,0,1]
	v_pk_fma_f32 v[116:117], v[118:119], v[106:107], v[116:117] op_sel:[0,0,1] op_sel_hi:[1,0,0]
	v_mov_b32_e32 v121, v117
	ds_load_2addr_b64 v[116:119], v110 offset0:25 offset1:26
	v_pk_add_f32 v[86:87], v[86:87], v[120:121] neg_lo:[0,1] neg_hi:[0,1]
	s_wait_dscnt 0x0
	v_pk_mul_f32 v[120:121], v[116:117], v[108:109] op_sel:[0,1]
	s_delay_alu instid0(VALU_DEP_1) | instskip(SKIP_1) | instid1(VALU_DEP_1)
	v_pk_fma_f32 v[122:123], v[116:117], v[106:107], v[120:121] op_sel:[0,0,1] op_sel_hi:[1,1,0] neg_lo:[0,0,1] neg_hi:[0,0,1]
	v_pk_fma_f32 v[116:117], v[116:117], v[106:107], v[120:121] op_sel:[0,0,1] op_sel_hi:[1,0,0]
	v_mov_b32_e32 v123, v117
	v_pk_mul_f32 v[116:117], v[118:119], v[108:109] op_sel:[0,1]
	s_delay_alu instid0(VALU_DEP_2) | instskip(NEXT) | instid1(VALU_DEP_2)
	v_pk_add_f32 v[38:39], v[38:39], v[122:123] neg_lo:[0,1] neg_hi:[0,1]
	v_pk_fma_f32 v[120:121], v[118:119], v[106:107], v[116:117] op_sel:[0,0,1] op_sel_hi:[1,1,0] neg_lo:[0,0,1] neg_hi:[0,0,1]
	v_pk_fma_f32 v[116:117], v[118:119], v[106:107], v[116:117] op_sel:[0,0,1] op_sel_hi:[1,0,0]
	s_delay_alu instid0(VALU_DEP_1) | instskip(SKIP_4) | instid1(VALU_DEP_1)
	v_mov_b32_e32 v121, v117
	ds_load_2addr_b64 v[116:119], v110 offset0:27 offset1:28
	v_pk_add_f32 v[42:43], v[42:43], v[120:121] neg_lo:[0,1] neg_hi:[0,1]
	s_wait_dscnt 0x0
	v_pk_mul_f32 v[120:121], v[116:117], v[108:109] op_sel:[0,1]
	v_pk_fma_f32 v[122:123], v[116:117], v[106:107], v[120:121] op_sel:[0,0,1] op_sel_hi:[1,1,0] neg_lo:[0,0,1] neg_hi:[0,0,1]
	v_pk_fma_f32 v[116:117], v[116:117], v[106:107], v[120:121] op_sel:[0,0,1] op_sel_hi:[1,0,0]
	v_dual_mul_f32 v120, v119, v109 :: v_dual_mov_b32 v116, v119
	s_delay_alu instid0(VALU_DEP_2) | instskip(NEXT) | instid1(VALU_DEP_2)
	v_dual_mov_b32 v123, v117 :: v_dual_mov_b32 v117, v118
	v_pk_fma_f32 v[120:121], v[118:119], v[84:85], v[120:121] op_sel_hi:[1,1,0] neg_lo:[0,0,1] neg_hi:[0,0,1]
	v_mul_f32_e32 v118, v119, v106
	s_delay_alu instid0(VALU_DEP_3) | instskip(NEXT) | instid1(VALU_DEP_2)
	v_pk_add_f32 v[36:37], v[36:37], v[122:123] neg_lo:[0,1] neg_hi:[0,1]
	v_pk_fma_f32 v[116:117], v[116:117], v[84:85], v[118:119] op_sel_hi:[1,1,0]
	s_delay_alu instid0(VALU_DEP_1) | instskip(SKIP_4) | instid1(VALU_DEP_1)
	v_mov_b32_e32 v121, v117
	ds_load_2addr_b64 v[116:119], v110 offset0:29 offset1:30
	v_pk_add_f32 v[82:83], v[82:83], v[120:121] neg_lo:[0,1] neg_hi:[0,1]
	s_wait_dscnt 0x0
	v_pk_mul_f32 v[120:121], v[116:117], v[108:109] op_sel:[0,1]
	v_pk_fma_f32 v[122:123], v[116:117], v[106:107], v[120:121] op_sel:[0,0,1] op_sel_hi:[1,1,0] neg_lo:[0,0,1] neg_hi:[0,0,1]
	v_pk_fma_f32 v[116:117], v[116:117], v[106:107], v[120:121] op_sel:[0,0,1] op_sel_hi:[1,0,0]
	s_delay_alu instid0(VALU_DEP_1) | instskip(SKIP_1) | instid1(VALU_DEP_1)
	v_mov_b32_e32 v123, v117
	v_pk_mul_f32 v[116:117], v[118:119], v[108:109] op_sel:[0,1]
	v_pk_fma_f32 v[120:121], v[118:119], v[106:107], v[116:117] op_sel:[0,0,1] op_sel_hi:[1,1,0] neg_lo:[0,0,1] neg_hi:[0,0,1]
	v_pk_fma_f32 v[116:117], v[118:119], v[106:107], v[116:117] op_sel:[0,0,1] op_sel_hi:[1,0,0]
	s_delay_alu instid0(VALU_DEP_1)
	v_mov_b32_e32 v121, v117
	ds_load_2addr_b64 v[116:119], v110 offset0:31 offset1:32
	v_pk_add_f32 v[32:33], v[32:33], v[122:123] neg_lo:[0,1] neg_hi:[0,1]
	v_pk_add_f32 v[34:35], v[34:35], v[120:121] neg_lo:[0,1] neg_hi:[0,1]
	s_wait_dscnt 0x0
	v_pk_mul_f32 v[120:121], v[116:117], v[108:109] op_sel:[0,1]
	s_delay_alu instid0(VALU_DEP_1) | instskip(SKIP_1) | instid1(VALU_DEP_1)
	v_pk_fma_f32 v[122:123], v[116:117], v[106:107], v[120:121] op_sel:[0,0,1] op_sel_hi:[1,1,0] neg_lo:[0,0,1] neg_hi:[0,0,1]
	v_pk_fma_f32 v[116:117], v[116:117], v[106:107], v[120:121] op_sel:[0,0,1] op_sel_hi:[1,0,0]
	v_mov_b32_e32 v123, v117
	v_pk_mul_f32 v[116:117], v[118:119], v[108:109] op_sel:[0,1]
	s_delay_alu instid0(VALU_DEP_1) | instskip(SKIP_1) | instid1(VALU_DEP_1)
	v_pk_fma_f32 v[120:121], v[118:119], v[106:107], v[116:117] op_sel:[0,0,1] op_sel_hi:[1,1,0] neg_lo:[0,0,1] neg_hi:[0,0,1]
	v_pk_fma_f32 v[116:117], v[118:119], v[106:107], v[116:117] op_sel:[0,0,1] op_sel_hi:[1,0,0]
	v_mov_b32_e32 v121, v117
	ds_load_2addr_b64 v[116:119], v110 offset0:33 offset1:34
	v_pk_add_f32 v[30:31], v[30:31], v[122:123] neg_lo:[0,1] neg_hi:[0,1]
	v_pk_add_f32 v[80:81], v[80:81], v[120:121] neg_lo:[0,1] neg_hi:[0,1]
	s_wait_dscnt 0x0
	v_dual_mul_f32 v120, v117, v109 :: v_dual_mul_f32 v122, v117, v106
	s_delay_alu instid0(VALU_DEP_1) | instskip(NEXT) | instid1(VALU_DEP_2)
	v_pk_fma_f32 v[120:121], v[116:117], v[84:85], v[120:121] op_sel_hi:[1,1,0] neg_lo:[0,0,1] neg_hi:[0,0,1]
	v_pk_fma_f32 v[116:117], v[116:117], v[84:85], v[122:123] op_sel:[1,0,0] op_sel_hi:[0,1,0]
	s_delay_alu instid0(VALU_DEP_1) | instskip(SKIP_1) | instid1(VALU_DEP_2)
	v_mov_b32_e32 v121, v117
	v_pk_mul_f32 v[116:117], v[118:119], v[108:109] op_sel:[0,1]
	v_pk_add_f32 v[24:25], v[24:25], v[120:121] neg_lo:[0,1] neg_hi:[0,1]
	s_delay_alu instid0(VALU_DEP_2) | instskip(SKIP_1) | instid1(VALU_DEP_1)
	v_pk_fma_f32 v[120:121], v[118:119], v[106:107], v[116:117] op_sel:[0,0,1] op_sel_hi:[1,1,0] neg_lo:[0,0,1] neg_hi:[0,0,1]
	v_pk_fma_f32 v[116:117], v[118:119], v[106:107], v[116:117] op_sel:[0,0,1] op_sel_hi:[1,0,0]
	v_mov_b32_e32 v121, v117
	ds_load_2addr_b64 v[116:119], v110 offset0:35 offset1:36
	v_pk_add_f32 v[26:27], v[26:27], v[120:121] neg_lo:[0,1] neg_hi:[0,1]
	s_wait_dscnt 0x0
	v_pk_mul_f32 v[120:121], v[116:117], v[108:109] op_sel:[0,1]
	s_delay_alu instid0(VALU_DEP_1) | instskip(SKIP_1) | instid1(VALU_DEP_1)
	v_pk_fma_f32 v[122:123], v[116:117], v[106:107], v[120:121] op_sel:[0,0,1] op_sel_hi:[1,1,0] neg_lo:[0,0,1] neg_hi:[0,0,1]
	v_pk_fma_f32 v[116:117], v[116:117], v[106:107], v[120:121] op_sel:[0,0,1] op_sel_hi:[1,0,0]
	v_mov_b32_e32 v123, v117
	v_pk_mul_f32 v[116:117], v[118:119], v[108:109] op_sel:[0,1]
	s_delay_alu instid0(VALU_DEP_2) | instskip(NEXT) | instid1(VALU_DEP_2)
	v_pk_add_f32 v[22:23], v[22:23], v[122:123] neg_lo:[0,1] neg_hi:[0,1]
	v_pk_fma_f32 v[120:121], v[118:119], v[106:107], v[116:117] op_sel:[0,0,1] op_sel_hi:[1,1,0] neg_lo:[0,0,1] neg_hi:[0,0,1]
	v_pk_fma_f32 v[116:117], v[118:119], v[106:107], v[116:117] op_sel:[0,0,1] op_sel_hi:[1,0,0]
	s_delay_alu instid0(VALU_DEP_1) | instskip(SKIP_4) | instid1(VALU_DEP_1)
	v_mov_b32_e32 v121, v117
	ds_load_2addr_b64 v[116:119], v110 offset0:37 offset1:38
	v_pk_add_f32 v[78:79], v[78:79], v[120:121] neg_lo:[0,1] neg_hi:[0,1]
	s_wait_dscnt 0x0
	v_pk_mul_f32 v[120:121], v[116:117], v[108:109] op_sel:[0,1]
	v_pk_fma_f32 v[122:123], v[116:117], v[106:107], v[120:121] op_sel:[0,0,1] op_sel_hi:[1,1,0] neg_lo:[0,0,1] neg_hi:[0,0,1]
	v_pk_fma_f32 v[116:117], v[116:117], v[106:107], v[120:121] op_sel:[0,0,1] op_sel_hi:[1,0,0]
	v_dual_mul_f32 v120, v119, v109 :: v_dual_mov_b32 v116, v119
	s_delay_alu instid0(VALU_DEP_2) | instskip(NEXT) | instid1(VALU_DEP_2)
	v_dual_mov_b32 v123, v117 :: v_dual_mov_b32 v117, v118
	v_pk_fma_f32 v[120:121], v[118:119], v[84:85], v[120:121] op_sel_hi:[1,1,0] neg_lo:[0,0,1] neg_hi:[0,0,1]
	v_mul_f32_e32 v118, v119, v106
	s_delay_alu instid0(VALU_DEP_3) | instskip(NEXT) | instid1(VALU_DEP_2)
	v_pk_add_f32 v[18:19], v[18:19], v[122:123] neg_lo:[0,1] neg_hi:[0,1]
	v_pk_fma_f32 v[116:117], v[116:117], v[84:85], v[118:119] op_sel_hi:[1,1,0]
	s_delay_alu instid0(VALU_DEP_1) | instskip(SKIP_4) | instid1(VALU_DEP_1)
	v_mov_b32_e32 v121, v117
	ds_load_2addr_b64 v[116:119], v110 offset0:39 offset1:40
	v_pk_add_f32 v[20:21], v[20:21], v[120:121] neg_lo:[0,1] neg_hi:[0,1]
	s_wait_dscnt 0x0
	v_pk_mul_f32 v[120:121], v[116:117], v[108:109] op_sel:[0,1]
	v_pk_fma_f32 v[122:123], v[116:117], v[106:107], v[120:121] op_sel:[0,0,1] op_sel_hi:[1,1,0] neg_lo:[0,0,1] neg_hi:[0,0,1]
	v_pk_fma_f32 v[116:117], v[116:117], v[106:107], v[120:121] op_sel:[0,0,1] op_sel_hi:[1,0,0]
	s_delay_alu instid0(VALU_DEP_1) | instskip(SKIP_1) | instid1(VALU_DEP_1)
	v_mov_b32_e32 v123, v117
	v_pk_mul_f32 v[116:117], v[118:119], v[108:109] op_sel:[0,1]
	v_pk_fma_f32 v[120:121], v[118:119], v[106:107], v[116:117] op_sel:[0,0,1] op_sel_hi:[1,1,0] neg_lo:[0,0,1] neg_hi:[0,0,1]
	v_pk_fma_f32 v[116:117], v[118:119], v[106:107], v[116:117] op_sel:[0,0,1] op_sel_hi:[1,0,0]
	s_delay_alu instid0(VALU_DEP_1)
	v_mov_b32_e32 v121, v117
	ds_load_2addr_b64 v[116:119], v110 offset0:41 offset1:42
	v_pk_add_f32 v[16:17], v[16:17], v[122:123] neg_lo:[0,1] neg_hi:[0,1]
	v_pk_add_f32 v[76:77], v[76:77], v[120:121] neg_lo:[0,1] neg_hi:[0,1]
	s_wait_dscnt 0x0
	v_pk_mul_f32 v[120:121], v[116:117], v[108:109] op_sel:[0,1]
	s_delay_alu instid0(VALU_DEP_1) | instskip(SKIP_1) | instid1(VALU_DEP_1)
	v_pk_fma_f32 v[122:123], v[116:117], v[106:107], v[120:121] op_sel:[0,0,1] op_sel_hi:[1,1,0] neg_lo:[0,0,1] neg_hi:[0,0,1]
	v_pk_fma_f32 v[116:117], v[116:117], v[106:107], v[120:121] op_sel:[0,0,1] op_sel_hi:[1,0,0]
	v_mov_b32_e32 v123, v117
	v_pk_mul_f32 v[116:117], v[118:119], v[108:109] op_sel:[0,1]
	s_delay_alu instid0(VALU_DEP_1) | instskip(SKIP_1) | instid1(VALU_DEP_1)
	v_pk_fma_f32 v[120:121], v[118:119], v[106:107], v[116:117] op_sel:[0,0,1] op_sel_hi:[1,1,0] neg_lo:[0,0,1] neg_hi:[0,0,1]
	v_pk_fma_f32 v[116:117], v[118:119], v[106:107], v[116:117] op_sel:[0,0,1] op_sel_hi:[1,0,0]
	v_mov_b32_e32 v121, v117
	ds_load_2addr_b64 v[116:119], v110 offset0:43 offset1:44
	v_pk_add_f32 v[10:11], v[10:11], v[122:123] neg_lo:[0,1] neg_hi:[0,1]
	v_pk_add_f32 v[12:13], v[12:13], v[120:121] neg_lo:[0,1] neg_hi:[0,1]
	s_wait_dscnt 0x0
	v_dual_mul_f32 v120, v117, v109 :: v_dual_mul_f32 v122, v117, v106
	s_delay_alu instid0(VALU_DEP_1) | instskip(NEXT) | instid1(VALU_DEP_2)
	v_pk_fma_f32 v[120:121], v[116:117], v[84:85], v[120:121] op_sel_hi:[1,1,0] neg_lo:[0,0,1] neg_hi:[0,0,1]
	v_pk_fma_f32 v[116:117], v[116:117], v[84:85], v[122:123] op_sel:[1,0,0] op_sel_hi:[0,1,0]
	s_delay_alu instid0(VALU_DEP_1) | instskip(SKIP_1) | instid1(VALU_DEP_2)
	v_mov_b32_e32 v121, v117
	v_pk_mul_f32 v[116:117], v[118:119], v[108:109] op_sel:[0,1]
	v_pk_add_f32 v[8:9], v[8:9], v[120:121] neg_lo:[0,1] neg_hi:[0,1]
	s_delay_alu instid0(VALU_DEP_2) | instskip(SKIP_1) | instid1(VALU_DEP_1)
	v_pk_fma_f32 v[120:121], v[118:119], v[106:107], v[116:117] op_sel:[0,0,1] op_sel_hi:[1,1,0] neg_lo:[0,0,1] neg_hi:[0,0,1]
	v_pk_fma_f32 v[116:117], v[118:119], v[106:107], v[116:117] op_sel:[0,0,1] op_sel_hi:[1,0,0]
	v_mov_b32_e32 v121, v117
	ds_load_2addr_b64 v[116:119], v110 offset0:45 offset1:46
	v_pk_add_f32 v[70:71], v[70:71], v[120:121] neg_lo:[0,1] neg_hi:[0,1]
	s_wait_dscnt 0x0
	v_pk_mul_f32 v[120:121], v[116:117], v[108:109] op_sel:[0,1]
	s_delay_alu instid0(VALU_DEP_1) | instskip(SKIP_1) | instid1(VALU_DEP_1)
	v_pk_fma_f32 v[122:123], v[116:117], v[106:107], v[120:121] op_sel:[0,0,1] op_sel_hi:[1,1,0] neg_lo:[0,0,1] neg_hi:[0,0,1]
	v_pk_fma_f32 v[116:117], v[116:117], v[106:107], v[120:121] op_sel:[0,0,1] op_sel_hi:[1,0,0]
	v_mov_b32_e32 v123, v117
	v_pk_mul_f32 v[116:117], v[118:119], v[108:109] op_sel:[0,1]
	s_delay_alu instid0(VALU_DEP_2) | instskip(NEXT) | instid1(VALU_DEP_2)
	v_pk_add_f32 v[6:7], v[6:7], v[122:123] neg_lo:[0,1] neg_hi:[0,1]
	v_pk_fma_f32 v[120:121], v[118:119], v[106:107], v[116:117] op_sel:[0,0,1] op_sel_hi:[1,1,0] neg_lo:[0,0,1] neg_hi:[0,0,1]
	v_pk_fma_f32 v[116:117], v[118:119], v[106:107], v[116:117] op_sel:[0,0,1] op_sel_hi:[1,0,0]
	s_delay_alu instid0(VALU_DEP_1) | instskip(SKIP_4) | instid1(VALU_DEP_1)
	v_mov_b32_e32 v121, v117
	ds_load_2addr_b64 v[116:119], v110 offset0:47 offset1:48
	v_pk_add_f32 v[46:47], v[46:47], v[120:121] neg_lo:[0,1] neg_hi:[0,1]
	s_wait_dscnt 0x0
	v_pk_mul_f32 v[120:121], v[116:117], v[108:109] op_sel:[0,1]
	v_pk_fma_f32 v[122:123], v[116:117], v[106:107], v[120:121] op_sel:[0,0,1] op_sel_hi:[1,1,0] neg_lo:[0,0,1] neg_hi:[0,0,1]
	v_pk_fma_f32 v[116:117], v[116:117], v[106:107], v[120:121] op_sel:[0,0,1] op_sel_hi:[1,0,0]
	v_dual_mul_f32 v120, v119, v109 :: v_dual_mov_b32 v116, v119
	s_delay_alu instid0(VALU_DEP_2) | instskip(NEXT) | instid1(VALU_DEP_2)
	v_dual_mov_b32 v123, v117 :: v_dual_mov_b32 v117, v118
	v_pk_fma_f32 v[120:121], v[118:119], v[84:85], v[120:121] op_sel_hi:[1,1,0] neg_lo:[0,0,1] neg_hi:[0,0,1]
	v_mul_f32_e32 v118, v119, v106
	s_delay_alu instid0(VALU_DEP_3) | instskip(NEXT) | instid1(VALU_DEP_2)
	v_pk_add_f32 v[28:29], v[28:29], v[122:123] neg_lo:[0,1] neg_hi:[0,1]
	v_pk_fma_f32 v[116:117], v[116:117], v[84:85], v[118:119] op_sel_hi:[1,1,0]
	s_delay_alu instid0(VALU_DEP_1) | instskip(SKIP_4) | instid1(VALU_DEP_1)
	v_mov_b32_e32 v121, v117
	ds_load_b64 v[116:117], v110 offset:392
	v_pk_add_f32 v[14:15], v[14:15], v[120:121] neg_lo:[0,1] neg_hi:[0,1]
	s_wait_dscnt 0x0
	v_pk_mul_f32 v[108:109], v[116:117], v[108:109] op_sel:[0,1]
	v_pk_fma_f32 v[118:119], v[116:117], v[106:107], v[108:109] op_sel:[0,0,1] op_sel_hi:[1,1,0] neg_lo:[0,0,1] neg_hi:[0,0,1]
	v_pk_fma_f32 v[106:107], v[116:117], v[106:107], v[108:109] op_sel:[0,0,1] op_sel_hi:[1,0,0]
	s_delay_alu instid0(VALU_DEP_1) | instskip(NEXT) | instid1(VALU_DEP_1)
	v_mov_b32_e32 v119, v107
	v_pk_add_f32 v[104:105], v[104:105], v[118:119] neg_lo:[0,1] neg_hi:[0,1]
.LBB98_104:
	s_or_b32 exec_lo, exec_lo, s0
	v_lshl_add_u32 v106, v114, 3, v110
	s_barrier_signal -1
	s_barrier_wait -1
	ds_store_b64 v106, v[74:75]
	s_wait_dscnt 0x0
	s_barrier_signal -1
	s_barrier_wait -1
	ds_load_b64 v[108:109], v110 offset:40
	v_mov_b32_e32 v106, 5
	s_cmp_lt_i32 s18, 7
	s_cbranch_scc1 .LBB98_107
; %bb.105:
	v_add3_u32 v107, v111, 0, 48
	v_mov_b32_e32 v106, 5
	s_mov_b32 s0, 6
.LBB98_106:                             ; =>This Inner Loop Header: Depth=1
	ds_load_b64 v[116:117], v107
	s_wait_dscnt 0x1
	v_cmp_gt_f32_e32 vcc_lo, 0, v108
	v_cndmask_b32_e64 v118, v108, -v108, vcc_lo
	v_cmp_gt_f32_e32 vcc_lo, 0, v109
	v_cndmask_b32_e64 v120, v109, -v109, vcc_lo
	s_wait_dscnt 0x0
	v_cmp_gt_f32_e32 vcc_lo, 0, v116
	v_cndmask_b32_e64 v119, v116, -v116, vcc_lo
	v_cmp_gt_f32_e32 vcc_lo, 0, v117
	v_cndmask_b32_e64 v121, v117, -v117, vcc_lo
	s_delay_alu instid0(VALU_DEP_1) | instskip(NEXT) | instid1(VALU_DEP_1)
	v_pk_add_f32 v[118:119], v[118:119], v[120:121]
	v_cmp_lt_f32_e32 vcc_lo, v118, v119
	v_dual_add_nc_u32 v107, 8, v107 :: v_dual_cndmask_b32 v109, v109, v117, vcc_lo
	v_cndmask_b32_e32 v108, v108, v116, vcc_lo
	v_cndmask_b32_e64 v106, v106, s0, vcc_lo
	s_add_co_i32 s0, s0, 1
	s_delay_alu instid0(SALU_CYCLE_1)
	s_cmp_lg_u32 s18, s0
	s_cbranch_scc1 .LBB98_106
.LBB98_107:
	s_wait_dscnt 0x0
	v_cmp_eq_f32_e32 vcc_lo, 0, v108
	v_cmp_eq_f32_e64 s0, 0, v109
	s_and_b32 s0, vcc_lo, s0
	s_delay_alu instid0(SALU_CYCLE_1) | instskip(NEXT) | instid1(SALU_CYCLE_1)
	s_and_saveexec_b32 s1, s0
	s_xor_b32 s0, exec_lo, s1
; %bb.108:
	v_cmp_ne_u32_e32 vcc_lo, 0, v112
	v_cndmask_b32_e32 v112, 6, v112, vcc_lo
; %bb.109:
	s_and_not1_saveexec_b32 s0, s0
	s_cbranch_execz .LBB98_115
; %bb.110:
	v_cmp_ngt_f32_e64 s1, |v108|, |v109|
	s_and_saveexec_b32 s12, s1
	s_delay_alu instid0(SALU_CYCLE_1)
	s_xor_b32 s1, exec_lo, s12
	s_cbranch_execz .LBB98_112
; %bb.111:
	v_div_scale_f32 v107, null, v109, v109, v108
	v_div_scale_f32 v117, vcc_lo, v108, v109, v108
	s_delay_alu instid0(VALU_DEP_2) | instskip(SKIP_1) | instid1(TRANS32_DEP_1)
	v_rcp_f32_e32 v115, v107
	v_nop
	v_fma_f32 v116, -v107, v115, 1.0
	s_delay_alu instid0(VALU_DEP_1) | instskip(NEXT) | instid1(VALU_DEP_1)
	v_fmac_f32_e32 v115, v116, v115
	v_mul_f32_e32 v116, v117, v115
	s_delay_alu instid0(VALU_DEP_1) | instskip(NEXT) | instid1(VALU_DEP_1)
	v_fma_f32 v118, -v107, v116, v117
	v_fmac_f32_e32 v116, v118, v115
	s_delay_alu instid0(VALU_DEP_1) | instskip(NEXT) | instid1(VALU_DEP_1)
	v_fma_f32 v107, -v107, v116, v117
	v_div_fmas_f32 v107, v107, v115, v116
	s_delay_alu instid0(VALU_DEP_1) | instskip(NEXT) | instid1(VALU_DEP_1)
	v_div_fixup_f32 v107, v107, v109, v108
	v_fmac_f32_e32 v109, v108, v107
	s_delay_alu instid0(VALU_DEP_1) | instskip(SKIP_1) | instid1(VALU_DEP_2)
	v_div_scale_f32 v108, null, v109, v109, 1.0
	v_div_scale_f32 v117, vcc_lo, 1.0, v109, 1.0
	v_rcp_f32_e32 v115, v108
	v_nop
	s_delay_alu instid0(TRANS32_DEP_1) | instskip(NEXT) | instid1(VALU_DEP_1)
	v_fma_f32 v116, -v108, v115, 1.0
	v_fmac_f32_e32 v115, v116, v115
	s_delay_alu instid0(VALU_DEP_1) | instskip(NEXT) | instid1(VALU_DEP_1)
	v_mul_f32_e32 v116, v117, v115
	v_fma_f32 v118, -v108, v116, v117
	s_delay_alu instid0(VALU_DEP_1) | instskip(NEXT) | instid1(VALU_DEP_1)
	v_fmac_f32_e32 v116, v118, v115
	v_fma_f32 v108, -v108, v116, v117
	s_delay_alu instid0(VALU_DEP_1) | instskip(NEXT) | instid1(VALU_DEP_1)
	v_div_fmas_f32 v108, v108, v115, v116
	v_div_fixup_f32 v109, v108, v109, 1.0
	s_delay_alu instid0(VALU_DEP_1)
	v_mul_f32_e32 v108, v107, v109
	v_xor_b32_e32 v109, 0x80000000, v109
.LBB98_112:
	s_and_not1_saveexec_b32 s1, s1
	s_cbranch_execz .LBB98_114
; %bb.113:
	s_delay_alu instid0(VALU_DEP_1) | instskip(SKIP_1) | instid1(VALU_DEP_2)
	v_div_scale_f32 v107, null, v108, v108, v109
	v_div_scale_f32 v117, vcc_lo, v109, v108, v109
	v_rcp_f32_e32 v115, v107
	v_nop
	s_delay_alu instid0(TRANS32_DEP_1) | instskip(NEXT) | instid1(VALU_DEP_1)
	v_fma_f32 v116, -v107, v115, 1.0
	v_fmac_f32_e32 v115, v116, v115
	s_delay_alu instid0(VALU_DEP_1) | instskip(NEXT) | instid1(VALU_DEP_1)
	v_mul_f32_e32 v116, v117, v115
	v_fma_f32 v118, -v107, v116, v117
	s_delay_alu instid0(VALU_DEP_1) | instskip(NEXT) | instid1(VALU_DEP_1)
	v_fmac_f32_e32 v116, v118, v115
	v_fma_f32 v107, -v107, v116, v117
	s_delay_alu instid0(VALU_DEP_1) | instskip(NEXT) | instid1(VALU_DEP_1)
	v_div_fmas_f32 v107, v107, v115, v116
	v_div_fixup_f32 v107, v107, v108, v109
	s_delay_alu instid0(VALU_DEP_1) | instskip(NEXT) | instid1(VALU_DEP_1)
	v_fmac_f32_e32 v108, v109, v107
	v_div_scale_f32 v109, null, v108, v108, 1.0
	s_delay_alu instid0(VALU_DEP_1) | instskip(SKIP_1) | instid1(TRANS32_DEP_1)
	v_rcp_f32_e32 v115, v109
	v_nop
	v_fma_f32 v116, -v109, v115, 1.0
	s_delay_alu instid0(VALU_DEP_1) | instskip(SKIP_1) | instid1(VALU_DEP_1)
	v_fmac_f32_e32 v115, v116, v115
	v_div_scale_f32 v116, vcc_lo, 1.0, v108, 1.0
	v_mul_f32_e32 v117, v116, v115
	s_delay_alu instid0(VALU_DEP_1) | instskip(NEXT) | instid1(VALU_DEP_1)
	v_fma_f32 v118, -v109, v117, v116
	v_fmac_f32_e32 v117, v118, v115
	s_delay_alu instid0(VALU_DEP_1) | instskip(NEXT) | instid1(VALU_DEP_1)
	v_fma_f32 v109, -v109, v117, v116
	v_div_fmas_f32 v109, v109, v115, v117
	s_delay_alu instid0(VALU_DEP_1) | instskip(NEXT) | instid1(VALU_DEP_1)
	v_div_fixup_f32 v108, v109, v108, 1.0
	v_mul_f32_e64 v109, v107, -v108
.LBB98_114:
	s_or_b32 exec_lo, exec_lo, s1
.LBB98_115:
	s_delay_alu instid0(SALU_CYCLE_1) | instskip(NEXT) | instid1(SALU_CYCLE_1)
	s_or_b32 exec_lo, exec_lo, s0
	s_mov_b32 s0, exec_lo
	v_cmpx_ne_u32_e64 v114, v106
	s_xor_b32 s0, exec_lo, s0
	s_cbranch_execz .LBB98_121
; %bb.116:
	s_mov_b32 s1, exec_lo
	v_cmpx_eq_u32_e32 5, v114
	s_cbranch_execz .LBB98_120
; %bb.117:
	v_cmp_ne_u32_e32 vcc_lo, 5, v106
	s_xor_b32 s12, s16, -1
	s_delay_alu instid0(SALU_CYCLE_1) | instskip(NEXT) | instid1(SALU_CYCLE_1)
	s_and_b32 s13, s12, vcc_lo
	s_and_saveexec_b32 s12, s13
	s_cbranch_execz .LBB98_119
; %bb.118:
	v_ashrrev_i32_e32 v107, 31, v106
	s_delay_alu instid0(VALU_DEP_1)
	v_lshl_add_u64 v[114:115], v[106:107], 2, v[4:5]
	s_clause 0x1
	global_load_b32 v107, v[114:115], off
	global_load_b32 v113, v[4:5], off offset:20
	s_wait_loadcnt 0x1
	global_store_b32 v[4:5], v107, off offset:20
	s_wait_loadcnt 0x0
	global_store_b32 v[114:115], v113, off
.LBB98_119:
	s_wait_xcnt 0x0
	s_or_b32 exec_lo, exec_lo, s12
	v_dual_mov_b32 v114, v106 :: v_dual_mov_b32 v113, v106
.LBB98_120:
	s_or_b32 exec_lo, exec_lo, s1
.LBB98_121:
	s_and_not1_saveexec_b32 s0, s0
	s_cbranch_execz .LBB98_123
; %bb.122:
	v_dual_mov_b32 v106, v44 :: v_dual_mov_b32 v107, v45
	v_dual_mov_b32 v114, v40 :: v_dual_mov_b32 v115, v41
	ds_store_2addr_b64 v110, v[106:107], v[114:115] offset0:6 offset1:7
	v_dual_mov_b32 v106, v88 :: v_dual_mov_b32 v107, v89
	v_dual_mov_b32 v114, v50 :: v_dual_mov_b32 v115, v51
	ds_store_2addr_b64 v110, v[106:107], v[114:115] offset0:8 offset1:9
	;; [unrolled: 3-line block ×21, first 2 shown]
	v_dual_mov_b32 v106, v14 :: v_dual_mov_b32 v107, v15
	v_mov_b32_e32 v114, 5
	ds_store_2addr_b64 v110, v[106:107], v[104:105] offset0:48 offset1:49
.LBB98_123:
	s_or_b32 exec_lo, exec_lo, s0
	s_delay_alu instid0(SALU_CYCLE_1)
	s_mov_b32 s0, exec_lo
	s_wait_storecnt_dscnt 0x0
	s_barrier_signal -1
	s_barrier_wait -1
	v_cmpx_lt_i32_e32 5, v114
	s_cbranch_execz .LBB98_125
; %bb.124:
	v_pk_mul_f32 v[116:117], v[108:109], v[74:75] op_sel:[1,1] op_sel_hi:[0,1]
	s_delay_alu instid0(VALU_DEP_1)
	v_pk_fma_f32 v[106:107], v[108:109], v[74:75], v[116:117] op_sel_hi:[1,0,1] neg_lo:[0,0,1] neg_hi:[0,0,1]
	v_pk_fma_f32 v[108:109], v[108:109], v[74:75], v[116:117] op_sel_hi:[1,0,1]
	ds_load_2addr_b64 v[116:119], v110 offset0:6 offset1:7
	v_dual_mov_b32 v74, v106 :: v_dual_mov_b32 v75, v109
	s_wait_dscnt 0x0
	v_pk_mul_f32 v[120:121], v[116:117], v[108:109] op_sel:[0,1]
	s_delay_alu instid0(VALU_DEP_1) | instskip(SKIP_1) | instid1(VALU_DEP_1)
	v_pk_fma_f32 v[122:123], v[116:117], v[106:107], v[120:121] op_sel:[0,0,1] op_sel_hi:[1,1,0] neg_lo:[0,0,1] neg_hi:[0,0,1]
	v_pk_fma_f32 v[116:117], v[116:117], v[106:107], v[120:121] op_sel:[0,0,1] op_sel_hi:[1,0,0]
	v_mov_b32_e32 v123, v117
	v_pk_mul_f32 v[116:117], v[118:119], v[108:109] op_sel:[0,1]
	s_delay_alu instid0(VALU_DEP_1) | instskip(SKIP_1) | instid1(VALU_DEP_1)
	v_pk_fma_f32 v[120:121], v[118:119], v[106:107], v[116:117] op_sel:[0,0,1] op_sel_hi:[1,1,0] neg_lo:[0,0,1] neg_hi:[0,0,1]
	v_pk_fma_f32 v[116:117], v[118:119], v[106:107], v[116:117] op_sel:[0,0,1] op_sel_hi:[1,0,0]
	v_mov_b32_e32 v121, v117
	ds_load_2addr_b64 v[116:119], v110 offset0:8 offset1:9
	v_pk_add_f32 v[44:45], v[44:45], v[122:123] neg_lo:[0,1] neg_hi:[0,1]
	v_pk_add_f32 v[40:41], v[40:41], v[120:121] neg_lo:[0,1] neg_hi:[0,1]
	s_wait_dscnt 0x0
	v_pk_mul_f32 v[120:121], v[116:117], v[108:109] op_sel:[0,1]
	s_delay_alu instid0(VALU_DEP_1) | instskip(SKIP_2) | instid1(VALU_DEP_2)
	v_pk_fma_f32 v[122:123], v[116:117], v[106:107], v[120:121] op_sel:[0,0,1] op_sel_hi:[1,1,0] neg_lo:[0,0,1] neg_hi:[0,0,1]
	v_pk_fma_f32 v[116:117], v[116:117], v[106:107], v[120:121] op_sel:[0,0,1] op_sel_hi:[1,0,0]
	v_dual_mul_f32 v120, v119, v109 :: v_dual_mov_b32 v116, v119
	v_dual_mov_b32 v123, v117 :: v_dual_mov_b32 v117, v118
	s_delay_alu instid0(VALU_DEP_2) | instskip(SKIP_1) | instid1(VALU_DEP_3)
	v_pk_fma_f32 v[120:121], v[118:119], v[74:75], v[120:121] op_sel_hi:[1,1,0] neg_lo:[0,0,1] neg_hi:[0,0,1]
	v_mul_f32_e32 v118, v119, v106
	v_pk_add_f32 v[88:89], v[88:89], v[122:123] neg_lo:[0,1] neg_hi:[0,1]
	s_delay_alu instid0(VALU_DEP_2) | instskip(NEXT) | instid1(VALU_DEP_1)
	v_pk_fma_f32 v[116:117], v[116:117], v[74:75], v[118:119] op_sel_hi:[1,1,0]
	v_mov_b32_e32 v121, v117
	ds_load_2addr_b64 v[116:119], v110 offset0:10 offset1:11
	v_pk_add_f32 v[50:51], v[50:51], v[120:121] neg_lo:[0,1] neg_hi:[0,1]
	s_wait_dscnt 0x0
	v_pk_mul_f32 v[120:121], v[116:117], v[108:109] op_sel:[0,1]
	s_delay_alu instid0(VALU_DEP_1) | instskip(SKIP_1) | instid1(VALU_DEP_1)
	v_pk_fma_f32 v[122:123], v[116:117], v[106:107], v[120:121] op_sel:[0,0,1] op_sel_hi:[1,1,0] neg_lo:[0,0,1] neg_hi:[0,0,1]
	v_pk_fma_f32 v[116:117], v[116:117], v[106:107], v[120:121] op_sel:[0,0,1] op_sel_hi:[1,0,0]
	v_mov_b32_e32 v123, v117
	v_pk_mul_f32 v[116:117], v[118:119], v[108:109] op_sel:[0,1]
	s_delay_alu instid0(VALU_DEP_1) | instskip(SKIP_1) | instid1(VALU_DEP_1)
	v_pk_fma_f32 v[120:121], v[118:119], v[106:107], v[116:117] op_sel:[0,0,1] op_sel_hi:[1,1,0] neg_lo:[0,0,1] neg_hi:[0,0,1]
	v_pk_fma_f32 v[116:117], v[118:119], v[106:107], v[116:117] op_sel:[0,0,1] op_sel_hi:[1,0,0]
	v_mov_b32_e32 v121, v117
	ds_load_2addr_b64 v[116:119], v110 offset0:12 offset1:13
	v_pk_add_f32 v[52:53], v[52:53], v[122:123] neg_lo:[0,1] neg_hi:[0,1]
	v_pk_add_f32 v[48:49], v[48:49], v[120:121] neg_lo:[0,1] neg_hi:[0,1]
	s_wait_dscnt 0x0
	v_pk_mul_f32 v[120:121], v[116:117], v[108:109] op_sel:[0,1]
	s_delay_alu instid0(VALU_DEP_1) | instskip(SKIP_1) | instid1(VALU_DEP_1)
	v_pk_fma_f32 v[122:123], v[116:117], v[106:107], v[120:121] op_sel:[0,0,1] op_sel_hi:[1,1,0] neg_lo:[0,0,1] neg_hi:[0,0,1]
	v_pk_fma_f32 v[116:117], v[116:117], v[106:107], v[120:121] op_sel:[0,0,1] op_sel_hi:[1,0,0]
	v_mov_b32_e32 v123, v117
	v_pk_mul_f32 v[116:117], v[118:119], v[108:109] op_sel:[0,1]
	s_delay_alu instid0(VALU_DEP_1) | instskip(SKIP_1) | instid1(VALU_DEP_1)
	v_pk_fma_f32 v[120:121], v[118:119], v[106:107], v[116:117] op_sel:[0,0,1] op_sel_hi:[1,1,0] neg_lo:[0,0,1] neg_hi:[0,0,1]
	v_pk_fma_f32 v[116:117], v[118:119], v[106:107], v[116:117] op_sel:[0,0,1] op_sel_hi:[1,0,0]
	v_mov_b32_e32 v121, v117
	ds_load_2addr_b64 v[116:119], v110 offset0:14 offset1:15
	v_pk_add_f32 v[94:95], v[94:95], v[122:123] neg_lo:[0,1] neg_hi:[0,1]
	v_pk_add_f32 v[68:69], v[68:69], v[120:121] neg_lo:[0,1] neg_hi:[0,1]
	s_wait_dscnt 0x0
	v_dual_mul_f32 v120, v117, v109 :: v_dual_mul_f32 v122, v117, v106
	s_delay_alu instid0(VALU_DEP_1) | instskip(NEXT) | instid1(VALU_DEP_2)
	v_pk_fma_f32 v[120:121], v[116:117], v[74:75], v[120:121] op_sel_hi:[1,1,0] neg_lo:[0,0,1] neg_hi:[0,0,1]
	v_pk_fma_f32 v[116:117], v[116:117], v[74:75], v[122:123] op_sel:[1,0,0] op_sel_hi:[0,1,0]
	s_delay_alu instid0(VALU_DEP_1) | instskip(SKIP_1) | instid1(VALU_DEP_2)
	v_mov_b32_e32 v121, v117
	v_pk_mul_f32 v[116:117], v[118:119], v[108:109] op_sel:[0,1]
	v_pk_add_f32 v[72:73], v[72:73], v[120:121] neg_lo:[0,1] neg_hi:[0,1]
	s_delay_alu instid0(VALU_DEP_2) | instskip(SKIP_1) | instid1(VALU_DEP_1)
	v_pk_fma_f32 v[120:121], v[118:119], v[106:107], v[116:117] op_sel:[0,0,1] op_sel_hi:[1,1,0] neg_lo:[0,0,1] neg_hi:[0,0,1]
	v_pk_fma_f32 v[116:117], v[118:119], v[106:107], v[116:117] op_sel:[0,0,1] op_sel_hi:[1,0,0]
	v_mov_b32_e32 v121, v117
	ds_load_2addr_b64 v[116:119], v110 offset0:16 offset1:17
	v_pk_add_f32 v[66:67], v[66:67], v[120:121] neg_lo:[0,1] neg_hi:[0,1]
	s_wait_dscnt 0x0
	v_pk_mul_f32 v[120:121], v[116:117], v[108:109] op_sel:[0,1]
	s_delay_alu instid0(VALU_DEP_1) | instskip(SKIP_1) | instid1(VALU_DEP_1)
	v_pk_fma_f32 v[122:123], v[116:117], v[106:107], v[120:121] op_sel:[0,0,1] op_sel_hi:[1,1,0] neg_lo:[0,0,1] neg_hi:[0,0,1]
	v_pk_fma_f32 v[116:117], v[116:117], v[106:107], v[120:121] op_sel:[0,0,1] op_sel_hi:[1,0,0]
	v_mov_b32_e32 v123, v117
	v_pk_mul_f32 v[116:117], v[118:119], v[108:109] op_sel:[0,1]
	s_delay_alu instid0(VALU_DEP_2) | instskip(NEXT) | instid1(VALU_DEP_2)
	v_pk_add_f32 v[92:93], v[92:93], v[122:123] neg_lo:[0,1] neg_hi:[0,1]
	v_pk_fma_f32 v[120:121], v[118:119], v[106:107], v[116:117] op_sel:[0,0,1] op_sel_hi:[1,1,0] neg_lo:[0,0,1] neg_hi:[0,0,1]
	v_pk_fma_f32 v[116:117], v[118:119], v[106:107], v[116:117] op_sel:[0,0,1] op_sel_hi:[1,0,0]
	s_delay_alu instid0(VALU_DEP_1) | instskip(SKIP_4) | instid1(VALU_DEP_1)
	v_mov_b32_e32 v121, v117
	ds_load_2addr_b64 v[116:119], v110 offset0:18 offset1:19
	v_pk_add_f32 v[62:63], v[62:63], v[120:121] neg_lo:[0,1] neg_hi:[0,1]
	s_wait_dscnt 0x0
	v_pk_mul_f32 v[120:121], v[116:117], v[108:109] op_sel:[0,1]
	v_pk_fma_f32 v[122:123], v[116:117], v[106:107], v[120:121] op_sel:[0,0,1] op_sel_hi:[1,1,0] neg_lo:[0,0,1] neg_hi:[0,0,1]
	v_pk_fma_f32 v[116:117], v[116:117], v[106:107], v[120:121] op_sel:[0,0,1] op_sel_hi:[1,0,0]
	v_dual_mul_f32 v120, v119, v109 :: v_dual_mov_b32 v116, v119
	s_delay_alu instid0(VALU_DEP_2) | instskip(NEXT) | instid1(VALU_DEP_2)
	v_dual_mov_b32 v123, v117 :: v_dual_mov_b32 v117, v118
	v_pk_fma_f32 v[120:121], v[118:119], v[74:75], v[120:121] op_sel_hi:[1,1,0] neg_lo:[0,0,1] neg_hi:[0,0,1]
	v_mul_f32_e32 v118, v119, v106
	s_delay_alu instid0(VALU_DEP_3) | instskip(NEXT) | instid1(VALU_DEP_2)
	v_pk_add_f32 v[64:65], v[64:65], v[122:123] neg_lo:[0,1] neg_hi:[0,1]
	v_pk_fma_f32 v[116:117], v[116:117], v[74:75], v[118:119] op_sel_hi:[1,1,0]
	s_delay_alu instid0(VALU_DEP_1) | instskip(SKIP_4) | instid1(VALU_DEP_1)
	v_mov_b32_e32 v121, v117
	ds_load_2addr_b64 v[116:119], v110 offset0:20 offset1:21
	v_pk_add_f32 v[60:61], v[60:61], v[120:121] neg_lo:[0,1] neg_hi:[0,1]
	s_wait_dscnt 0x0
	v_pk_mul_f32 v[120:121], v[116:117], v[108:109] op_sel:[0,1]
	v_pk_fma_f32 v[122:123], v[116:117], v[106:107], v[120:121] op_sel:[0,0,1] op_sel_hi:[1,1,0] neg_lo:[0,0,1] neg_hi:[0,0,1]
	v_pk_fma_f32 v[116:117], v[116:117], v[106:107], v[120:121] op_sel:[0,0,1] op_sel_hi:[1,0,0]
	s_delay_alu instid0(VALU_DEP_1) | instskip(SKIP_1) | instid1(VALU_DEP_1)
	v_mov_b32_e32 v123, v117
	v_pk_mul_f32 v[116:117], v[118:119], v[108:109] op_sel:[0,1]
	v_pk_fma_f32 v[120:121], v[118:119], v[106:107], v[116:117] op_sel:[0,0,1] op_sel_hi:[1,1,0] neg_lo:[0,0,1] neg_hi:[0,0,1]
	v_pk_fma_f32 v[116:117], v[118:119], v[106:107], v[116:117] op_sel:[0,0,1] op_sel_hi:[1,0,0]
	s_delay_alu instid0(VALU_DEP_1)
	v_mov_b32_e32 v121, v117
	ds_load_2addr_b64 v[116:119], v110 offset0:22 offset1:23
	v_pk_add_f32 v[90:91], v[90:91], v[122:123] neg_lo:[0,1] neg_hi:[0,1]
	v_pk_add_f32 v[56:57], v[56:57], v[120:121] neg_lo:[0,1] neg_hi:[0,1]
	s_wait_dscnt 0x0
	v_pk_mul_f32 v[120:121], v[116:117], v[108:109] op_sel:[0,1]
	s_delay_alu instid0(VALU_DEP_1) | instskip(SKIP_1) | instid1(VALU_DEP_1)
	v_pk_fma_f32 v[122:123], v[116:117], v[106:107], v[120:121] op_sel:[0,0,1] op_sel_hi:[1,1,0] neg_lo:[0,0,1] neg_hi:[0,0,1]
	v_pk_fma_f32 v[116:117], v[116:117], v[106:107], v[120:121] op_sel:[0,0,1] op_sel_hi:[1,0,0]
	v_mov_b32_e32 v123, v117
	v_pk_mul_f32 v[116:117], v[118:119], v[108:109] op_sel:[0,1]
	s_delay_alu instid0(VALU_DEP_1) | instskip(SKIP_1) | instid1(VALU_DEP_1)
	v_pk_fma_f32 v[120:121], v[118:119], v[106:107], v[116:117] op_sel:[0,0,1] op_sel_hi:[1,1,0] neg_lo:[0,0,1] neg_hi:[0,0,1]
	v_pk_fma_f32 v[116:117], v[118:119], v[106:107], v[116:117] op_sel:[0,0,1] op_sel_hi:[1,0,0]
	v_mov_b32_e32 v121, v117
	ds_load_2addr_b64 v[116:119], v110 offset0:24 offset1:25
	v_pk_add_f32 v[58:59], v[58:59], v[122:123] neg_lo:[0,1] neg_hi:[0,1]
	v_pk_add_f32 v[54:55], v[54:55], v[120:121] neg_lo:[0,1] neg_hi:[0,1]
	s_wait_dscnt 0x0
	v_dual_mul_f32 v120, v117, v109 :: v_dual_mul_f32 v122, v117, v106
	s_delay_alu instid0(VALU_DEP_1) | instskip(NEXT) | instid1(VALU_DEP_2)
	v_pk_fma_f32 v[120:121], v[116:117], v[74:75], v[120:121] op_sel_hi:[1,1,0] neg_lo:[0,0,1] neg_hi:[0,0,1]
	v_pk_fma_f32 v[116:117], v[116:117], v[74:75], v[122:123] op_sel:[1,0,0] op_sel_hi:[0,1,0]
	s_delay_alu instid0(VALU_DEP_1) | instskip(SKIP_1) | instid1(VALU_DEP_2)
	v_mov_b32_e32 v121, v117
	v_pk_mul_f32 v[116:117], v[118:119], v[108:109] op_sel:[0,1]
	v_pk_add_f32 v[86:87], v[86:87], v[120:121] neg_lo:[0,1] neg_hi:[0,1]
	s_delay_alu instid0(VALU_DEP_2) | instskip(SKIP_1) | instid1(VALU_DEP_1)
	v_pk_fma_f32 v[120:121], v[118:119], v[106:107], v[116:117] op_sel:[0,0,1] op_sel_hi:[1,1,0] neg_lo:[0,0,1] neg_hi:[0,0,1]
	v_pk_fma_f32 v[116:117], v[118:119], v[106:107], v[116:117] op_sel:[0,0,1] op_sel_hi:[1,0,0]
	v_mov_b32_e32 v121, v117
	ds_load_2addr_b64 v[116:119], v110 offset0:26 offset1:27
	v_pk_add_f32 v[38:39], v[38:39], v[120:121] neg_lo:[0,1] neg_hi:[0,1]
	s_wait_dscnt 0x0
	v_pk_mul_f32 v[120:121], v[116:117], v[108:109] op_sel:[0,1]
	s_delay_alu instid0(VALU_DEP_1) | instskip(SKIP_1) | instid1(VALU_DEP_1)
	v_pk_fma_f32 v[122:123], v[116:117], v[106:107], v[120:121] op_sel:[0,0,1] op_sel_hi:[1,1,0] neg_lo:[0,0,1] neg_hi:[0,0,1]
	v_pk_fma_f32 v[116:117], v[116:117], v[106:107], v[120:121] op_sel:[0,0,1] op_sel_hi:[1,0,0]
	v_mov_b32_e32 v123, v117
	v_pk_mul_f32 v[116:117], v[118:119], v[108:109] op_sel:[0,1]
	s_delay_alu instid0(VALU_DEP_2) | instskip(NEXT) | instid1(VALU_DEP_2)
	v_pk_add_f32 v[42:43], v[42:43], v[122:123] neg_lo:[0,1] neg_hi:[0,1]
	v_pk_fma_f32 v[120:121], v[118:119], v[106:107], v[116:117] op_sel:[0,0,1] op_sel_hi:[1,1,0] neg_lo:[0,0,1] neg_hi:[0,0,1]
	v_pk_fma_f32 v[116:117], v[118:119], v[106:107], v[116:117] op_sel:[0,0,1] op_sel_hi:[1,0,0]
	s_delay_alu instid0(VALU_DEP_1) | instskip(SKIP_4) | instid1(VALU_DEP_1)
	v_mov_b32_e32 v121, v117
	ds_load_2addr_b64 v[116:119], v110 offset0:28 offset1:29
	v_pk_add_f32 v[36:37], v[36:37], v[120:121] neg_lo:[0,1] neg_hi:[0,1]
	s_wait_dscnt 0x0
	v_pk_mul_f32 v[120:121], v[116:117], v[108:109] op_sel:[0,1]
	v_pk_fma_f32 v[122:123], v[116:117], v[106:107], v[120:121] op_sel:[0,0,1] op_sel_hi:[1,1,0] neg_lo:[0,0,1] neg_hi:[0,0,1]
	v_pk_fma_f32 v[116:117], v[116:117], v[106:107], v[120:121] op_sel:[0,0,1] op_sel_hi:[1,0,0]
	v_dual_mul_f32 v120, v119, v109 :: v_dual_mov_b32 v116, v119
	s_delay_alu instid0(VALU_DEP_2) | instskip(NEXT) | instid1(VALU_DEP_2)
	v_dual_mov_b32 v123, v117 :: v_dual_mov_b32 v117, v118
	v_pk_fma_f32 v[120:121], v[118:119], v[74:75], v[120:121] op_sel_hi:[1,1,0] neg_lo:[0,0,1] neg_hi:[0,0,1]
	v_mul_f32_e32 v118, v119, v106
	s_delay_alu instid0(VALU_DEP_3) | instskip(NEXT) | instid1(VALU_DEP_2)
	v_pk_add_f32 v[82:83], v[82:83], v[122:123] neg_lo:[0,1] neg_hi:[0,1]
	v_pk_fma_f32 v[116:117], v[116:117], v[74:75], v[118:119] op_sel_hi:[1,1,0]
	s_delay_alu instid0(VALU_DEP_1) | instskip(SKIP_4) | instid1(VALU_DEP_1)
	v_mov_b32_e32 v121, v117
	ds_load_2addr_b64 v[116:119], v110 offset0:30 offset1:31
	v_pk_add_f32 v[32:33], v[32:33], v[120:121] neg_lo:[0,1] neg_hi:[0,1]
	s_wait_dscnt 0x0
	v_pk_mul_f32 v[120:121], v[116:117], v[108:109] op_sel:[0,1]
	v_pk_fma_f32 v[122:123], v[116:117], v[106:107], v[120:121] op_sel:[0,0,1] op_sel_hi:[1,1,0] neg_lo:[0,0,1] neg_hi:[0,0,1]
	v_pk_fma_f32 v[116:117], v[116:117], v[106:107], v[120:121] op_sel:[0,0,1] op_sel_hi:[1,0,0]
	s_delay_alu instid0(VALU_DEP_1) | instskip(SKIP_1) | instid1(VALU_DEP_1)
	v_mov_b32_e32 v123, v117
	v_pk_mul_f32 v[116:117], v[118:119], v[108:109] op_sel:[0,1]
	v_pk_fma_f32 v[120:121], v[118:119], v[106:107], v[116:117] op_sel:[0,0,1] op_sel_hi:[1,1,0] neg_lo:[0,0,1] neg_hi:[0,0,1]
	v_pk_fma_f32 v[116:117], v[118:119], v[106:107], v[116:117] op_sel:[0,0,1] op_sel_hi:[1,0,0]
	s_delay_alu instid0(VALU_DEP_1)
	v_mov_b32_e32 v121, v117
	ds_load_2addr_b64 v[116:119], v110 offset0:32 offset1:33
	v_pk_add_f32 v[34:35], v[34:35], v[122:123] neg_lo:[0,1] neg_hi:[0,1]
	v_pk_add_f32 v[30:31], v[30:31], v[120:121] neg_lo:[0,1] neg_hi:[0,1]
	s_wait_dscnt 0x0
	v_pk_mul_f32 v[120:121], v[116:117], v[108:109] op_sel:[0,1]
	s_delay_alu instid0(VALU_DEP_1) | instskip(SKIP_1) | instid1(VALU_DEP_1)
	v_pk_fma_f32 v[122:123], v[116:117], v[106:107], v[120:121] op_sel:[0,0,1] op_sel_hi:[1,1,0] neg_lo:[0,0,1] neg_hi:[0,0,1]
	v_pk_fma_f32 v[116:117], v[116:117], v[106:107], v[120:121] op_sel:[0,0,1] op_sel_hi:[1,0,0]
	v_mov_b32_e32 v123, v117
	v_pk_mul_f32 v[116:117], v[118:119], v[108:109] op_sel:[0,1]
	s_delay_alu instid0(VALU_DEP_1) | instskip(SKIP_1) | instid1(VALU_DEP_1)
	v_pk_fma_f32 v[120:121], v[118:119], v[106:107], v[116:117] op_sel:[0,0,1] op_sel_hi:[1,1,0] neg_lo:[0,0,1] neg_hi:[0,0,1]
	v_pk_fma_f32 v[116:117], v[118:119], v[106:107], v[116:117] op_sel:[0,0,1] op_sel_hi:[1,0,0]
	v_mov_b32_e32 v121, v117
	ds_load_2addr_b64 v[116:119], v110 offset0:34 offset1:35
	v_pk_add_f32 v[80:81], v[80:81], v[122:123] neg_lo:[0,1] neg_hi:[0,1]
	v_pk_add_f32 v[24:25], v[24:25], v[120:121] neg_lo:[0,1] neg_hi:[0,1]
	s_wait_dscnt 0x0
	v_dual_mul_f32 v120, v117, v109 :: v_dual_mul_f32 v122, v117, v106
	s_delay_alu instid0(VALU_DEP_1) | instskip(NEXT) | instid1(VALU_DEP_2)
	v_pk_fma_f32 v[120:121], v[116:117], v[74:75], v[120:121] op_sel_hi:[1,1,0] neg_lo:[0,0,1] neg_hi:[0,0,1]
	v_pk_fma_f32 v[116:117], v[116:117], v[74:75], v[122:123] op_sel:[1,0,0] op_sel_hi:[0,1,0]
	s_delay_alu instid0(VALU_DEP_1) | instskip(SKIP_1) | instid1(VALU_DEP_2)
	v_mov_b32_e32 v121, v117
	v_pk_mul_f32 v[116:117], v[118:119], v[108:109] op_sel:[0,1]
	v_pk_add_f32 v[26:27], v[26:27], v[120:121] neg_lo:[0,1] neg_hi:[0,1]
	s_delay_alu instid0(VALU_DEP_2) | instskip(SKIP_1) | instid1(VALU_DEP_1)
	v_pk_fma_f32 v[120:121], v[118:119], v[106:107], v[116:117] op_sel:[0,0,1] op_sel_hi:[1,1,0] neg_lo:[0,0,1] neg_hi:[0,0,1]
	v_pk_fma_f32 v[116:117], v[118:119], v[106:107], v[116:117] op_sel:[0,0,1] op_sel_hi:[1,0,0]
	v_mov_b32_e32 v121, v117
	ds_load_2addr_b64 v[116:119], v110 offset0:36 offset1:37
	v_pk_add_f32 v[22:23], v[22:23], v[120:121] neg_lo:[0,1] neg_hi:[0,1]
	s_wait_dscnt 0x0
	v_pk_mul_f32 v[120:121], v[116:117], v[108:109] op_sel:[0,1]
	s_delay_alu instid0(VALU_DEP_1) | instskip(SKIP_1) | instid1(VALU_DEP_1)
	v_pk_fma_f32 v[122:123], v[116:117], v[106:107], v[120:121] op_sel:[0,0,1] op_sel_hi:[1,1,0] neg_lo:[0,0,1] neg_hi:[0,0,1]
	v_pk_fma_f32 v[116:117], v[116:117], v[106:107], v[120:121] op_sel:[0,0,1] op_sel_hi:[1,0,0]
	v_mov_b32_e32 v123, v117
	v_pk_mul_f32 v[116:117], v[118:119], v[108:109] op_sel:[0,1]
	s_delay_alu instid0(VALU_DEP_2) | instskip(NEXT) | instid1(VALU_DEP_2)
	v_pk_add_f32 v[78:79], v[78:79], v[122:123] neg_lo:[0,1] neg_hi:[0,1]
	v_pk_fma_f32 v[120:121], v[118:119], v[106:107], v[116:117] op_sel:[0,0,1] op_sel_hi:[1,1,0] neg_lo:[0,0,1] neg_hi:[0,0,1]
	v_pk_fma_f32 v[116:117], v[118:119], v[106:107], v[116:117] op_sel:[0,0,1] op_sel_hi:[1,0,0]
	s_delay_alu instid0(VALU_DEP_1) | instskip(SKIP_4) | instid1(VALU_DEP_1)
	v_mov_b32_e32 v121, v117
	ds_load_2addr_b64 v[116:119], v110 offset0:38 offset1:39
	v_pk_add_f32 v[18:19], v[18:19], v[120:121] neg_lo:[0,1] neg_hi:[0,1]
	s_wait_dscnt 0x0
	v_pk_mul_f32 v[120:121], v[116:117], v[108:109] op_sel:[0,1]
	v_pk_fma_f32 v[122:123], v[116:117], v[106:107], v[120:121] op_sel:[0,0,1] op_sel_hi:[1,1,0] neg_lo:[0,0,1] neg_hi:[0,0,1]
	v_pk_fma_f32 v[116:117], v[116:117], v[106:107], v[120:121] op_sel:[0,0,1] op_sel_hi:[1,0,0]
	v_dual_mul_f32 v120, v119, v109 :: v_dual_mov_b32 v116, v119
	s_delay_alu instid0(VALU_DEP_2) | instskip(NEXT) | instid1(VALU_DEP_2)
	v_dual_mov_b32 v123, v117 :: v_dual_mov_b32 v117, v118
	v_pk_fma_f32 v[120:121], v[118:119], v[74:75], v[120:121] op_sel_hi:[1,1,0] neg_lo:[0,0,1] neg_hi:[0,0,1]
	v_mul_f32_e32 v118, v119, v106
	s_delay_alu instid0(VALU_DEP_3) | instskip(NEXT) | instid1(VALU_DEP_2)
	v_pk_add_f32 v[20:21], v[20:21], v[122:123] neg_lo:[0,1] neg_hi:[0,1]
	v_pk_fma_f32 v[116:117], v[116:117], v[74:75], v[118:119] op_sel_hi:[1,1,0]
	s_delay_alu instid0(VALU_DEP_1) | instskip(SKIP_4) | instid1(VALU_DEP_1)
	v_mov_b32_e32 v121, v117
	ds_load_2addr_b64 v[116:119], v110 offset0:40 offset1:41
	v_pk_add_f32 v[16:17], v[16:17], v[120:121] neg_lo:[0,1] neg_hi:[0,1]
	s_wait_dscnt 0x0
	v_pk_mul_f32 v[120:121], v[116:117], v[108:109] op_sel:[0,1]
	v_pk_fma_f32 v[122:123], v[116:117], v[106:107], v[120:121] op_sel:[0,0,1] op_sel_hi:[1,1,0] neg_lo:[0,0,1] neg_hi:[0,0,1]
	v_pk_fma_f32 v[116:117], v[116:117], v[106:107], v[120:121] op_sel:[0,0,1] op_sel_hi:[1,0,0]
	s_delay_alu instid0(VALU_DEP_1) | instskip(SKIP_1) | instid1(VALU_DEP_1)
	v_mov_b32_e32 v123, v117
	v_pk_mul_f32 v[116:117], v[118:119], v[108:109] op_sel:[0,1]
	v_pk_fma_f32 v[120:121], v[118:119], v[106:107], v[116:117] op_sel:[0,0,1] op_sel_hi:[1,1,0] neg_lo:[0,0,1] neg_hi:[0,0,1]
	v_pk_fma_f32 v[116:117], v[118:119], v[106:107], v[116:117] op_sel:[0,0,1] op_sel_hi:[1,0,0]
	s_delay_alu instid0(VALU_DEP_1)
	v_mov_b32_e32 v121, v117
	ds_load_2addr_b64 v[116:119], v110 offset0:42 offset1:43
	v_pk_add_f32 v[76:77], v[76:77], v[122:123] neg_lo:[0,1] neg_hi:[0,1]
	v_pk_add_f32 v[10:11], v[10:11], v[120:121] neg_lo:[0,1] neg_hi:[0,1]
	s_wait_dscnt 0x0
	v_pk_mul_f32 v[120:121], v[116:117], v[108:109] op_sel:[0,1]
	s_delay_alu instid0(VALU_DEP_1) | instskip(SKIP_1) | instid1(VALU_DEP_1)
	v_pk_fma_f32 v[122:123], v[116:117], v[106:107], v[120:121] op_sel:[0,0,1] op_sel_hi:[1,1,0] neg_lo:[0,0,1] neg_hi:[0,0,1]
	v_pk_fma_f32 v[116:117], v[116:117], v[106:107], v[120:121] op_sel:[0,0,1] op_sel_hi:[1,0,0]
	v_mov_b32_e32 v123, v117
	v_pk_mul_f32 v[116:117], v[118:119], v[108:109] op_sel:[0,1]
	s_delay_alu instid0(VALU_DEP_1) | instskip(SKIP_1) | instid1(VALU_DEP_1)
	v_pk_fma_f32 v[120:121], v[118:119], v[106:107], v[116:117] op_sel:[0,0,1] op_sel_hi:[1,1,0] neg_lo:[0,0,1] neg_hi:[0,0,1]
	v_pk_fma_f32 v[116:117], v[118:119], v[106:107], v[116:117] op_sel:[0,0,1] op_sel_hi:[1,0,0]
	v_mov_b32_e32 v121, v117
	ds_load_2addr_b64 v[116:119], v110 offset0:44 offset1:45
	v_pk_add_f32 v[12:13], v[12:13], v[122:123] neg_lo:[0,1] neg_hi:[0,1]
	v_pk_add_f32 v[8:9], v[8:9], v[120:121] neg_lo:[0,1] neg_hi:[0,1]
	s_wait_dscnt 0x0
	v_dual_mul_f32 v120, v117, v109 :: v_dual_mul_f32 v122, v117, v106
	s_delay_alu instid0(VALU_DEP_1) | instskip(NEXT) | instid1(VALU_DEP_2)
	v_pk_fma_f32 v[120:121], v[116:117], v[74:75], v[120:121] op_sel_hi:[1,1,0] neg_lo:[0,0,1] neg_hi:[0,0,1]
	v_pk_fma_f32 v[116:117], v[116:117], v[74:75], v[122:123] op_sel:[1,0,0] op_sel_hi:[0,1,0]
	s_delay_alu instid0(VALU_DEP_1) | instskip(SKIP_1) | instid1(VALU_DEP_2)
	v_mov_b32_e32 v121, v117
	v_pk_mul_f32 v[116:117], v[118:119], v[108:109] op_sel:[0,1]
	v_pk_add_f32 v[70:71], v[70:71], v[120:121] neg_lo:[0,1] neg_hi:[0,1]
	s_delay_alu instid0(VALU_DEP_2) | instskip(SKIP_1) | instid1(VALU_DEP_1)
	v_pk_fma_f32 v[120:121], v[118:119], v[106:107], v[116:117] op_sel:[0,0,1] op_sel_hi:[1,1,0] neg_lo:[0,0,1] neg_hi:[0,0,1]
	v_pk_fma_f32 v[116:117], v[118:119], v[106:107], v[116:117] op_sel:[0,0,1] op_sel_hi:[1,0,0]
	v_mov_b32_e32 v121, v117
	ds_load_2addr_b64 v[116:119], v110 offset0:46 offset1:47
	v_pk_add_f32 v[6:7], v[6:7], v[120:121] neg_lo:[0,1] neg_hi:[0,1]
	s_wait_dscnt 0x0
	v_pk_mul_f32 v[120:121], v[116:117], v[108:109] op_sel:[0,1]
	s_delay_alu instid0(VALU_DEP_1) | instskip(SKIP_1) | instid1(VALU_DEP_1)
	v_pk_fma_f32 v[122:123], v[116:117], v[106:107], v[120:121] op_sel:[0,0,1] op_sel_hi:[1,1,0] neg_lo:[0,0,1] neg_hi:[0,0,1]
	v_pk_fma_f32 v[116:117], v[116:117], v[106:107], v[120:121] op_sel:[0,0,1] op_sel_hi:[1,0,0]
	v_mov_b32_e32 v123, v117
	v_pk_mul_f32 v[116:117], v[118:119], v[108:109] op_sel:[0,1]
	s_delay_alu instid0(VALU_DEP_2) | instskip(NEXT) | instid1(VALU_DEP_2)
	v_pk_add_f32 v[46:47], v[46:47], v[122:123] neg_lo:[0,1] neg_hi:[0,1]
	v_pk_fma_f32 v[120:121], v[118:119], v[106:107], v[116:117] op_sel:[0,0,1] op_sel_hi:[1,1,0] neg_lo:[0,0,1] neg_hi:[0,0,1]
	v_pk_fma_f32 v[116:117], v[118:119], v[106:107], v[116:117] op_sel:[0,0,1] op_sel_hi:[1,0,0]
	s_delay_alu instid0(VALU_DEP_1)
	v_mov_b32_e32 v121, v117
	ds_load_2addr_b64 v[116:119], v110 offset0:48 offset1:49
	v_pk_add_f32 v[28:29], v[28:29], v[120:121] neg_lo:[0,1] neg_hi:[0,1]
	s_wait_dscnt 0x0
	v_pk_mul_f32 v[120:121], v[116:117], v[108:109] op_sel:[0,1]
	v_pk_mul_f32 v[108:109], v[118:119], v[108:109] op_sel:[0,1]
	s_delay_alu instid0(VALU_DEP_2) | instskip(SKIP_1) | instid1(VALU_DEP_1)
	v_pk_fma_f32 v[122:123], v[116:117], v[106:107], v[120:121] op_sel:[0,0,1] op_sel_hi:[1,1,0] neg_lo:[0,0,1] neg_hi:[0,0,1]
	v_pk_fma_f32 v[116:117], v[116:117], v[106:107], v[120:121] op_sel:[0,0,1] op_sel_hi:[1,0,0]
	v_mov_b32_e32 v123, v117
	s_delay_alu instid0(VALU_DEP_4) | instskip(SKIP_1) | instid1(VALU_DEP_3)
	v_pk_fma_f32 v[116:117], v[118:119], v[106:107], v[108:109] op_sel:[0,0,1] op_sel_hi:[1,1,0] neg_lo:[0,0,1] neg_hi:[0,0,1]
	v_pk_fma_f32 v[106:107], v[118:119], v[106:107], v[108:109] op_sel:[0,0,1] op_sel_hi:[1,0,0]
	v_pk_add_f32 v[14:15], v[14:15], v[122:123] neg_lo:[0,1] neg_hi:[0,1]
	s_delay_alu instid0(VALU_DEP_2) | instskip(NEXT) | instid1(VALU_DEP_1)
	v_mov_b32_e32 v117, v107
	v_pk_add_f32 v[104:105], v[104:105], v[116:117] neg_lo:[0,1] neg_hi:[0,1]
.LBB98_125:
	s_or_b32 exec_lo, exec_lo, s0
	v_lshl_add_u32 v106, v114, 3, v110
	s_barrier_signal -1
	s_barrier_wait -1
	ds_store_b64 v106, v[44:45]
	s_wait_dscnt 0x0
	s_barrier_signal -1
	s_barrier_wait -1
	ds_load_b64 v[108:109], v110 offset:48
	v_mov_b32_e32 v106, 6
	s_cmp_lt_i32 s18, 8
	s_cbranch_scc1 .LBB98_128
; %bb.126:
	v_add3_u32 v107, v111, 0, 56
	v_mov_b32_e32 v106, 6
	s_mov_b32 s0, 7
.LBB98_127:                             ; =>This Inner Loop Header: Depth=1
	ds_load_b64 v[116:117], v107
	s_wait_dscnt 0x1
	v_cmp_gt_f32_e32 vcc_lo, 0, v108
	v_cndmask_b32_e64 v118, v108, -v108, vcc_lo
	v_cmp_gt_f32_e32 vcc_lo, 0, v109
	v_cndmask_b32_e64 v120, v109, -v109, vcc_lo
	s_wait_dscnt 0x0
	v_cmp_gt_f32_e32 vcc_lo, 0, v116
	v_cndmask_b32_e64 v119, v116, -v116, vcc_lo
	v_cmp_gt_f32_e32 vcc_lo, 0, v117
	v_cndmask_b32_e64 v121, v117, -v117, vcc_lo
	s_delay_alu instid0(VALU_DEP_1) | instskip(NEXT) | instid1(VALU_DEP_1)
	v_pk_add_f32 v[118:119], v[118:119], v[120:121]
	v_cmp_lt_f32_e32 vcc_lo, v118, v119
	v_dual_add_nc_u32 v107, 8, v107 :: v_dual_cndmask_b32 v109, v109, v117, vcc_lo
	v_cndmask_b32_e32 v108, v108, v116, vcc_lo
	v_cndmask_b32_e64 v106, v106, s0, vcc_lo
	s_add_co_i32 s0, s0, 1
	s_delay_alu instid0(SALU_CYCLE_1)
	s_cmp_lg_u32 s18, s0
	s_cbranch_scc1 .LBB98_127
.LBB98_128:
	s_wait_dscnt 0x0
	v_cmp_eq_f32_e32 vcc_lo, 0, v108
	v_cmp_eq_f32_e64 s0, 0, v109
	s_and_b32 s0, vcc_lo, s0
	s_delay_alu instid0(SALU_CYCLE_1) | instskip(NEXT) | instid1(SALU_CYCLE_1)
	s_and_saveexec_b32 s1, s0
	s_xor_b32 s0, exec_lo, s1
; %bb.129:
	v_cmp_ne_u32_e32 vcc_lo, 0, v112
	v_cndmask_b32_e32 v112, 7, v112, vcc_lo
; %bb.130:
	s_and_not1_saveexec_b32 s0, s0
	s_cbranch_execz .LBB98_136
; %bb.131:
	v_cmp_ngt_f32_e64 s1, |v108|, |v109|
	s_and_saveexec_b32 s12, s1
	s_delay_alu instid0(SALU_CYCLE_1)
	s_xor_b32 s1, exec_lo, s12
	s_cbranch_execz .LBB98_133
; %bb.132:
	v_div_scale_f32 v107, null, v109, v109, v108
	v_div_scale_f32 v117, vcc_lo, v108, v109, v108
	s_delay_alu instid0(VALU_DEP_2) | instskip(SKIP_1) | instid1(TRANS32_DEP_1)
	v_rcp_f32_e32 v115, v107
	v_nop
	v_fma_f32 v116, -v107, v115, 1.0
	s_delay_alu instid0(VALU_DEP_1) | instskip(NEXT) | instid1(VALU_DEP_1)
	v_fmac_f32_e32 v115, v116, v115
	v_mul_f32_e32 v116, v117, v115
	s_delay_alu instid0(VALU_DEP_1) | instskip(NEXT) | instid1(VALU_DEP_1)
	v_fma_f32 v118, -v107, v116, v117
	v_fmac_f32_e32 v116, v118, v115
	s_delay_alu instid0(VALU_DEP_1) | instskip(NEXT) | instid1(VALU_DEP_1)
	v_fma_f32 v107, -v107, v116, v117
	v_div_fmas_f32 v107, v107, v115, v116
	s_delay_alu instid0(VALU_DEP_1) | instskip(NEXT) | instid1(VALU_DEP_1)
	v_div_fixup_f32 v107, v107, v109, v108
	v_fmac_f32_e32 v109, v108, v107
	s_delay_alu instid0(VALU_DEP_1) | instskip(SKIP_1) | instid1(VALU_DEP_2)
	v_div_scale_f32 v108, null, v109, v109, 1.0
	v_div_scale_f32 v117, vcc_lo, 1.0, v109, 1.0
	v_rcp_f32_e32 v115, v108
	v_nop
	s_delay_alu instid0(TRANS32_DEP_1) | instskip(NEXT) | instid1(VALU_DEP_1)
	v_fma_f32 v116, -v108, v115, 1.0
	v_fmac_f32_e32 v115, v116, v115
	s_delay_alu instid0(VALU_DEP_1) | instskip(NEXT) | instid1(VALU_DEP_1)
	v_mul_f32_e32 v116, v117, v115
	v_fma_f32 v118, -v108, v116, v117
	s_delay_alu instid0(VALU_DEP_1) | instskip(NEXT) | instid1(VALU_DEP_1)
	v_fmac_f32_e32 v116, v118, v115
	v_fma_f32 v108, -v108, v116, v117
	s_delay_alu instid0(VALU_DEP_1) | instskip(NEXT) | instid1(VALU_DEP_1)
	v_div_fmas_f32 v108, v108, v115, v116
	v_div_fixup_f32 v109, v108, v109, 1.0
	s_delay_alu instid0(VALU_DEP_1)
	v_mul_f32_e32 v108, v107, v109
	v_xor_b32_e32 v109, 0x80000000, v109
.LBB98_133:
	s_and_not1_saveexec_b32 s1, s1
	s_cbranch_execz .LBB98_135
; %bb.134:
	s_delay_alu instid0(VALU_DEP_1) | instskip(SKIP_1) | instid1(VALU_DEP_2)
	v_div_scale_f32 v107, null, v108, v108, v109
	v_div_scale_f32 v117, vcc_lo, v109, v108, v109
	v_rcp_f32_e32 v115, v107
	v_nop
	s_delay_alu instid0(TRANS32_DEP_1) | instskip(NEXT) | instid1(VALU_DEP_1)
	v_fma_f32 v116, -v107, v115, 1.0
	v_fmac_f32_e32 v115, v116, v115
	s_delay_alu instid0(VALU_DEP_1) | instskip(NEXT) | instid1(VALU_DEP_1)
	v_mul_f32_e32 v116, v117, v115
	v_fma_f32 v118, -v107, v116, v117
	s_delay_alu instid0(VALU_DEP_1) | instskip(NEXT) | instid1(VALU_DEP_1)
	v_fmac_f32_e32 v116, v118, v115
	v_fma_f32 v107, -v107, v116, v117
	s_delay_alu instid0(VALU_DEP_1) | instskip(NEXT) | instid1(VALU_DEP_1)
	v_div_fmas_f32 v107, v107, v115, v116
	v_div_fixup_f32 v107, v107, v108, v109
	s_delay_alu instid0(VALU_DEP_1) | instskip(NEXT) | instid1(VALU_DEP_1)
	v_fmac_f32_e32 v108, v109, v107
	v_div_scale_f32 v109, null, v108, v108, 1.0
	s_delay_alu instid0(VALU_DEP_1) | instskip(SKIP_1) | instid1(TRANS32_DEP_1)
	v_rcp_f32_e32 v115, v109
	v_nop
	v_fma_f32 v116, -v109, v115, 1.0
	s_delay_alu instid0(VALU_DEP_1) | instskip(SKIP_1) | instid1(VALU_DEP_1)
	v_fmac_f32_e32 v115, v116, v115
	v_div_scale_f32 v116, vcc_lo, 1.0, v108, 1.0
	v_mul_f32_e32 v117, v116, v115
	s_delay_alu instid0(VALU_DEP_1) | instskip(NEXT) | instid1(VALU_DEP_1)
	v_fma_f32 v118, -v109, v117, v116
	v_fmac_f32_e32 v117, v118, v115
	s_delay_alu instid0(VALU_DEP_1) | instskip(NEXT) | instid1(VALU_DEP_1)
	v_fma_f32 v109, -v109, v117, v116
	v_div_fmas_f32 v109, v109, v115, v117
	s_delay_alu instid0(VALU_DEP_1) | instskip(NEXT) | instid1(VALU_DEP_1)
	v_div_fixup_f32 v108, v109, v108, 1.0
	v_mul_f32_e64 v109, v107, -v108
.LBB98_135:
	s_or_b32 exec_lo, exec_lo, s1
.LBB98_136:
	s_delay_alu instid0(SALU_CYCLE_1) | instskip(NEXT) | instid1(SALU_CYCLE_1)
	s_or_b32 exec_lo, exec_lo, s0
	s_mov_b32 s0, exec_lo
	v_cmpx_ne_u32_e64 v114, v106
	s_xor_b32 s0, exec_lo, s0
	s_cbranch_execz .LBB98_142
; %bb.137:
	s_mov_b32 s1, exec_lo
	v_cmpx_eq_u32_e32 6, v114
	s_cbranch_execz .LBB98_141
; %bb.138:
	v_cmp_ne_u32_e32 vcc_lo, 6, v106
	s_xor_b32 s12, s16, -1
	s_delay_alu instid0(SALU_CYCLE_1) | instskip(NEXT) | instid1(SALU_CYCLE_1)
	s_and_b32 s13, s12, vcc_lo
	s_and_saveexec_b32 s12, s13
	s_cbranch_execz .LBB98_140
; %bb.139:
	v_ashrrev_i32_e32 v107, 31, v106
	s_delay_alu instid0(VALU_DEP_1)
	v_lshl_add_u64 v[114:115], v[106:107], 2, v[4:5]
	s_clause 0x1
	global_load_b32 v107, v[114:115], off
	global_load_b32 v113, v[4:5], off offset:24
	s_wait_loadcnt 0x1
	global_store_b32 v[4:5], v107, off offset:24
	s_wait_loadcnt 0x0
	global_store_b32 v[114:115], v113, off
.LBB98_140:
	s_wait_xcnt 0x0
	s_or_b32 exec_lo, exec_lo, s12
	v_dual_mov_b32 v114, v106 :: v_dual_mov_b32 v113, v106
.LBB98_141:
	s_or_b32 exec_lo, exec_lo, s1
.LBB98_142:
	s_and_not1_saveexec_b32 s0, s0
	s_cbranch_execz .LBB98_144
; %bb.143:
	v_mov_b32_e32 v114, 6
	ds_store_2addr_b64 v110, v[40:41], v[88:89] offset0:7 offset1:8
	ds_store_2addr_b64 v110, v[50:51], v[52:53] offset0:9 offset1:10
	;; [unrolled: 1-line block ×21, first 2 shown]
	ds_store_b64 v110, v[104:105] offset:392
.LBB98_144:
	s_or_b32 exec_lo, exec_lo, s0
	s_delay_alu instid0(SALU_CYCLE_1)
	s_mov_b32 s0, exec_lo
	s_wait_storecnt_dscnt 0x0
	s_barrier_signal -1
	s_barrier_wait -1
	v_cmpx_lt_i32_e32 6, v114
	s_cbranch_execz .LBB98_146
; %bb.145:
	v_pk_mul_f32 v[116:117], v[108:109], v[44:45] op_sel:[1,1] op_sel_hi:[0,1]
	s_delay_alu instid0(VALU_DEP_1)
	v_pk_fma_f32 v[106:107], v[108:109], v[44:45], v[116:117] op_sel_hi:[1,0,1] neg_lo:[0,0,1] neg_hi:[0,0,1]
	v_pk_fma_f32 v[108:109], v[108:109], v[44:45], v[116:117] op_sel_hi:[1,0,1]
	ds_load_2addr_b64 v[116:119], v110 offset0:7 offset1:8
	v_dual_mov_b32 v44, v106 :: v_dual_mov_b32 v45, v109
	s_wait_dscnt 0x0
	v_pk_mul_f32 v[120:121], v[116:117], v[108:109] op_sel:[0,1]
	s_delay_alu instid0(VALU_DEP_1) | instskip(SKIP_1) | instid1(VALU_DEP_1)
	v_pk_fma_f32 v[122:123], v[116:117], v[106:107], v[120:121] op_sel:[0,0,1] op_sel_hi:[1,1,0] neg_lo:[0,0,1] neg_hi:[0,0,1]
	v_pk_fma_f32 v[116:117], v[116:117], v[106:107], v[120:121] op_sel:[0,0,1] op_sel_hi:[1,0,0]
	v_mov_b32_e32 v123, v117
	v_pk_mul_f32 v[116:117], v[118:119], v[108:109] op_sel:[0,1]
	s_delay_alu instid0(VALU_DEP_1) | instskip(SKIP_1) | instid1(VALU_DEP_1)
	v_pk_fma_f32 v[120:121], v[118:119], v[106:107], v[116:117] op_sel:[0,0,1] op_sel_hi:[1,1,0] neg_lo:[0,0,1] neg_hi:[0,0,1]
	v_pk_fma_f32 v[116:117], v[118:119], v[106:107], v[116:117] op_sel:[0,0,1] op_sel_hi:[1,0,0]
	v_mov_b32_e32 v121, v117
	ds_load_2addr_b64 v[116:119], v110 offset0:9 offset1:10
	v_pk_add_f32 v[40:41], v[40:41], v[122:123] neg_lo:[0,1] neg_hi:[0,1]
	v_pk_add_f32 v[88:89], v[88:89], v[120:121] neg_lo:[0,1] neg_hi:[0,1]
	s_wait_dscnt 0x0
	v_pk_mul_f32 v[120:121], v[116:117], v[108:109] op_sel:[0,1]
	s_delay_alu instid0(VALU_DEP_1) | instskip(SKIP_2) | instid1(VALU_DEP_2)
	v_pk_fma_f32 v[122:123], v[116:117], v[106:107], v[120:121] op_sel:[0,0,1] op_sel_hi:[1,1,0] neg_lo:[0,0,1] neg_hi:[0,0,1]
	v_pk_fma_f32 v[116:117], v[116:117], v[106:107], v[120:121] op_sel:[0,0,1] op_sel_hi:[1,0,0]
	v_dual_mul_f32 v120, v119, v109 :: v_dual_mov_b32 v116, v119
	v_dual_mov_b32 v123, v117 :: v_dual_mov_b32 v117, v118
	s_delay_alu instid0(VALU_DEP_2) | instskip(SKIP_1) | instid1(VALU_DEP_3)
	v_pk_fma_f32 v[120:121], v[118:119], v[44:45], v[120:121] op_sel_hi:[1,1,0] neg_lo:[0,0,1] neg_hi:[0,0,1]
	v_mul_f32_e32 v118, v119, v106
	v_pk_add_f32 v[50:51], v[50:51], v[122:123] neg_lo:[0,1] neg_hi:[0,1]
	s_delay_alu instid0(VALU_DEP_2) | instskip(NEXT) | instid1(VALU_DEP_1)
	v_pk_fma_f32 v[116:117], v[116:117], v[44:45], v[118:119] op_sel_hi:[1,1,0]
	v_mov_b32_e32 v121, v117
	ds_load_2addr_b64 v[116:119], v110 offset0:11 offset1:12
	v_pk_add_f32 v[52:53], v[52:53], v[120:121] neg_lo:[0,1] neg_hi:[0,1]
	s_wait_dscnt 0x0
	v_pk_mul_f32 v[120:121], v[116:117], v[108:109] op_sel:[0,1]
	s_delay_alu instid0(VALU_DEP_1) | instskip(SKIP_1) | instid1(VALU_DEP_1)
	v_pk_fma_f32 v[122:123], v[116:117], v[106:107], v[120:121] op_sel:[0,0,1] op_sel_hi:[1,1,0] neg_lo:[0,0,1] neg_hi:[0,0,1]
	v_pk_fma_f32 v[116:117], v[116:117], v[106:107], v[120:121] op_sel:[0,0,1] op_sel_hi:[1,0,0]
	v_mov_b32_e32 v123, v117
	v_pk_mul_f32 v[116:117], v[118:119], v[108:109] op_sel:[0,1]
	s_delay_alu instid0(VALU_DEP_1) | instskip(SKIP_1) | instid1(VALU_DEP_1)
	v_pk_fma_f32 v[120:121], v[118:119], v[106:107], v[116:117] op_sel:[0,0,1] op_sel_hi:[1,1,0] neg_lo:[0,0,1] neg_hi:[0,0,1]
	v_pk_fma_f32 v[116:117], v[118:119], v[106:107], v[116:117] op_sel:[0,0,1] op_sel_hi:[1,0,0]
	v_mov_b32_e32 v121, v117
	ds_load_2addr_b64 v[116:119], v110 offset0:13 offset1:14
	v_pk_add_f32 v[48:49], v[48:49], v[122:123] neg_lo:[0,1] neg_hi:[0,1]
	v_pk_add_f32 v[94:95], v[94:95], v[120:121] neg_lo:[0,1] neg_hi:[0,1]
	s_wait_dscnt 0x0
	v_pk_mul_f32 v[120:121], v[116:117], v[108:109] op_sel:[0,1]
	s_delay_alu instid0(VALU_DEP_1) | instskip(SKIP_1) | instid1(VALU_DEP_1)
	v_pk_fma_f32 v[122:123], v[116:117], v[106:107], v[120:121] op_sel:[0,0,1] op_sel_hi:[1,1,0] neg_lo:[0,0,1] neg_hi:[0,0,1]
	v_pk_fma_f32 v[116:117], v[116:117], v[106:107], v[120:121] op_sel:[0,0,1] op_sel_hi:[1,0,0]
	v_mov_b32_e32 v123, v117
	v_pk_mul_f32 v[116:117], v[118:119], v[108:109] op_sel:[0,1]
	s_delay_alu instid0(VALU_DEP_1) | instskip(SKIP_1) | instid1(VALU_DEP_1)
	v_pk_fma_f32 v[120:121], v[118:119], v[106:107], v[116:117] op_sel:[0,0,1] op_sel_hi:[1,1,0] neg_lo:[0,0,1] neg_hi:[0,0,1]
	v_pk_fma_f32 v[116:117], v[118:119], v[106:107], v[116:117] op_sel:[0,0,1] op_sel_hi:[1,0,0]
	v_mov_b32_e32 v121, v117
	ds_load_2addr_b64 v[116:119], v110 offset0:15 offset1:16
	v_pk_add_f32 v[68:69], v[68:69], v[122:123] neg_lo:[0,1] neg_hi:[0,1]
	v_pk_add_f32 v[72:73], v[72:73], v[120:121] neg_lo:[0,1] neg_hi:[0,1]
	s_wait_dscnt 0x0
	v_dual_mul_f32 v120, v117, v109 :: v_dual_mul_f32 v122, v117, v106
	s_delay_alu instid0(VALU_DEP_1) | instskip(NEXT) | instid1(VALU_DEP_2)
	v_pk_fma_f32 v[120:121], v[116:117], v[44:45], v[120:121] op_sel_hi:[1,1,0] neg_lo:[0,0,1] neg_hi:[0,0,1]
	v_pk_fma_f32 v[116:117], v[116:117], v[44:45], v[122:123] op_sel:[1,0,0] op_sel_hi:[0,1,0]
	s_delay_alu instid0(VALU_DEP_1) | instskip(SKIP_1) | instid1(VALU_DEP_2)
	v_mov_b32_e32 v121, v117
	v_pk_mul_f32 v[116:117], v[118:119], v[108:109] op_sel:[0,1]
	v_pk_add_f32 v[66:67], v[66:67], v[120:121] neg_lo:[0,1] neg_hi:[0,1]
	s_delay_alu instid0(VALU_DEP_2) | instskip(SKIP_1) | instid1(VALU_DEP_1)
	v_pk_fma_f32 v[120:121], v[118:119], v[106:107], v[116:117] op_sel:[0,0,1] op_sel_hi:[1,1,0] neg_lo:[0,0,1] neg_hi:[0,0,1]
	v_pk_fma_f32 v[116:117], v[118:119], v[106:107], v[116:117] op_sel:[0,0,1] op_sel_hi:[1,0,0]
	v_mov_b32_e32 v121, v117
	ds_load_2addr_b64 v[116:119], v110 offset0:17 offset1:18
	v_pk_add_f32 v[92:93], v[92:93], v[120:121] neg_lo:[0,1] neg_hi:[0,1]
	s_wait_dscnt 0x0
	v_pk_mul_f32 v[120:121], v[116:117], v[108:109] op_sel:[0,1]
	s_delay_alu instid0(VALU_DEP_1) | instskip(SKIP_1) | instid1(VALU_DEP_1)
	v_pk_fma_f32 v[122:123], v[116:117], v[106:107], v[120:121] op_sel:[0,0,1] op_sel_hi:[1,1,0] neg_lo:[0,0,1] neg_hi:[0,0,1]
	v_pk_fma_f32 v[116:117], v[116:117], v[106:107], v[120:121] op_sel:[0,0,1] op_sel_hi:[1,0,0]
	v_mov_b32_e32 v123, v117
	v_pk_mul_f32 v[116:117], v[118:119], v[108:109] op_sel:[0,1]
	s_delay_alu instid0(VALU_DEP_2) | instskip(NEXT) | instid1(VALU_DEP_2)
	v_pk_add_f32 v[62:63], v[62:63], v[122:123] neg_lo:[0,1] neg_hi:[0,1]
	v_pk_fma_f32 v[120:121], v[118:119], v[106:107], v[116:117] op_sel:[0,0,1] op_sel_hi:[1,1,0] neg_lo:[0,0,1] neg_hi:[0,0,1]
	v_pk_fma_f32 v[116:117], v[118:119], v[106:107], v[116:117] op_sel:[0,0,1] op_sel_hi:[1,0,0]
	s_delay_alu instid0(VALU_DEP_1) | instskip(SKIP_4) | instid1(VALU_DEP_1)
	v_mov_b32_e32 v121, v117
	ds_load_2addr_b64 v[116:119], v110 offset0:19 offset1:20
	v_pk_add_f32 v[64:65], v[64:65], v[120:121] neg_lo:[0,1] neg_hi:[0,1]
	s_wait_dscnt 0x0
	v_pk_mul_f32 v[120:121], v[116:117], v[108:109] op_sel:[0,1]
	v_pk_fma_f32 v[122:123], v[116:117], v[106:107], v[120:121] op_sel:[0,0,1] op_sel_hi:[1,1,0] neg_lo:[0,0,1] neg_hi:[0,0,1]
	v_pk_fma_f32 v[116:117], v[116:117], v[106:107], v[120:121] op_sel:[0,0,1] op_sel_hi:[1,0,0]
	v_dual_mul_f32 v120, v119, v109 :: v_dual_mov_b32 v116, v119
	s_delay_alu instid0(VALU_DEP_2) | instskip(NEXT) | instid1(VALU_DEP_2)
	v_dual_mov_b32 v123, v117 :: v_dual_mov_b32 v117, v118
	v_pk_fma_f32 v[120:121], v[118:119], v[44:45], v[120:121] op_sel_hi:[1,1,0] neg_lo:[0,0,1] neg_hi:[0,0,1]
	v_mul_f32_e32 v118, v119, v106
	s_delay_alu instid0(VALU_DEP_3) | instskip(NEXT) | instid1(VALU_DEP_2)
	v_pk_add_f32 v[60:61], v[60:61], v[122:123] neg_lo:[0,1] neg_hi:[0,1]
	v_pk_fma_f32 v[116:117], v[116:117], v[44:45], v[118:119] op_sel_hi:[1,1,0]
	s_delay_alu instid0(VALU_DEP_1) | instskip(SKIP_4) | instid1(VALU_DEP_1)
	v_mov_b32_e32 v121, v117
	ds_load_2addr_b64 v[116:119], v110 offset0:21 offset1:22
	v_pk_add_f32 v[90:91], v[90:91], v[120:121] neg_lo:[0,1] neg_hi:[0,1]
	s_wait_dscnt 0x0
	v_pk_mul_f32 v[120:121], v[116:117], v[108:109] op_sel:[0,1]
	v_pk_fma_f32 v[122:123], v[116:117], v[106:107], v[120:121] op_sel:[0,0,1] op_sel_hi:[1,1,0] neg_lo:[0,0,1] neg_hi:[0,0,1]
	v_pk_fma_f32 v[116:117], v[116:117], v[106:107], v[120:121] op_sel:[0,0,1] op_sel_hi:[1,0,0]
	s_delay_alu instid0(VALU_DEP_1) | instskip(SKIP_1) | instid1(VALU_DEP_1)
	v_mov_b32_e32 v123, v117
	v_pk_mul_f32 v[116:117], v[118:119], v[108:109] op_sel:[0,1]
	v_pk_fma_f32 v[120:121], v[118:119], v[106:107], v[116:117] op_sel:[0,0,1] op_sel_hi:[1,1,0] neg_lo:[0,0,1] neg_hi:[0,0,1]
	v_pk_fma_f32 v[116:117], v[118:119], v[106:107], v[116:117] op_sel:[0,0,1] op_sel_hi:[1,0,0]
	s_delay_alu instid0(VALU_DEP_1)
	v_mov_b32_e32 v121, v117
	ds_load_2addr_b64 v[116:119], v110 offset0:23 offset1:24
	v_pk_add_f32 v[56:57], v[56:57], v[122:123] neg_lo:[0,1] neg_hi:[0,1]
	v_pk_add_f32 v[58:59], v[58:59], v[120:121] neg_lo:[0,1] neg_hi:[0,1]
	s_wait_dscnt 0x0
	v_pk_mul_f32 v[120:121], v[116:117], v[108:109] op_sel:[0,1]
	s_delay_alu instid0(VALU_DEP_1) | instskip(SKIP_1) | instid1(VALU_DEP_1)
	v_pk_fma_f32 v[122:123], v[116:117], v[106:107], v[120:121] op_sel:[0,0,1] op_sel_hi:[1,1,0] neg_lo:[0,0,1] neg_hi:[0,0,1]
	v_pk_fma_f32 v[116:117], v[116:117], v[106:107], v[120:121] op_sel:[0,0,1] op_sel_hi:[1,0,0]
	v_mov_b32_e32 v123, v117
	v_pk_mul_f32 v[116:117], v[118:119], v[108:109] op_sel:[0,1]
	s_delay_alu instid0(VALU_DEP_1) | instskip(SKIP_1) | instid1(VALU_DEP_1)
	v_pk_fma_f32 v[120:121], v[118:119], v[106:107], v[116:117] op_sel:[0,0,1] op_sel_hi:[1,1,0] neg_lo:[0,0,1] neg_hi:[0,0,1]
	v_pk_fma_f32 v[116:117], v[118:119], v[106:107], v[116:117] op_sel:[0,0,1] op_sel_hi:[1,0,0]
	v_mov_b32_e32 v121, v117
	ds_load_2addr_b64 v[116:119], v110 offset0:25 offset1:26
	v_pk_add_f32 v[54:55], v[54:55], v[122:123] neg_lo:[0,1] neg_hi:[0,1]
	v_pk_add_f32 v[86:87], v[86:87], v[120:121] neg_lo:[0,1] neg_hi:[0,1]
	s_wait_dscnt 0x0
	v_dual_mul_f32 v120, v117, v109 :: v_dual_mul_f32 v122, v117, v106
	s_delay_alu instid0(VALU_DEP_1) | instskip(NEXT) | instid1(VALU_DEP_2)
	v_pk_fma_f32 v[120:121], v[116:117], v[44:45], v[120:121] op_sel_hi:[1,1,0] neg_lo:[0,0,1] neg_hi:[0,0,1]
	v_pk_fma_f32 v[116:117], v[116:117], v[44:45], v[122:123] op_sel:[1,0,0] op_sel_hi:[0,1,0]
	s_delay_alu instid0(VALU_DEP_1) | instskip(SKIP_1) | instid1(VALU_DEP_2)
	v_mov_b32_e32 v121, v117
	v_pk_mul_f32 v[116:117], v[118:119], v[108:109] op_sel:[0,1]
	v_pk_add_f32 v[38:39], v[38:39], v[120:121] neg_lo:[0,1] neg_hi:[0,1]
	s_delay_alu instid0(VALU_DEP_2) | instskip(SKIP_1) | instid1(VALU_DEP_1)
	v_pk_fma_f32 v[120:121], v[118:119], v[106:107], v[116:117] op_sel:[0,0,1] op_sel_hi:[1,1,0] neg_lo:[0,0,1] neg_hi:[0,0,1]
	v_pk_fma_f32 v[116:117], v[118:119], v[106:107], v[116:117] op_sel:[0,0,1] op_sel_hi:[1,0,0]
	v_mov_b32_e32 v121, v117
	ds_load_2addr_b64 v[116:119], v110 offset0:27 offset1:28
	v_pk_add_f32 v[42:43], v[42:43], v[120:121] neg_lo:[0,1] neg_hi:[0,1]
	s_wait_dscnt 0x0
	v_pk_mul_f32 v[120:121], v[116:117], v[108:109] op_sel:[0,1]
	s_delay_alu instid0(VALU_DEP_1) | instskip(SKIP_1) | instid1(VALU_DEP_1)
	v_pk_fma_f32 v[122:123], v[116:117], v[106:107], v[120:121] op_sel:[0,0,1] op_sel_hi:[1,1,0] neg_lo:[0,0,1] neg_hi:[0,0,1]
	v_pk_fma_f32 v[116:117], v[116:117], v[106:107], v[120:121] op_sel:[0,0,1] op_sel_hi:[1,0,0]
	v_mov_b32_e32 v123, v117
	v_pk_mul_f32 v[116:117], v[118:119], v[108:109] op_sel:[0,1]
	s_delay_alu instid0(VALU_DEP_2) | instskip(NEXT) | instid1(VALU_DEP_2)
	v_pk_add_f32 v[36:37], v[36:37], v[122:123] neg_lo:[0,1] neg_hi:[0,1]
	v_pk_fma_f32 v[120:121], v[118:119], v[106:107], v[116:117] op_sel:[0,0,1] op_sel_hi:[1,1,0] neg_lo:[0,0,1] neg_hi:[0,0,1]
	v_pk_fma_f32 v[116:117], v[118:119], v[106:107], v[116:117] op_sel:[0,0,1] op_sel_hi:[1,0,0]
	s_delay_alu instid0(VALU_DEP_1) | instskip(SKIP_4) | instid1(VALU_DEP_1)
	v_mov_b32_e32 v121, v117
	ds_load_2addr_b64 v[116:119], v110 offset0:29 offset1:30
	v_pk_add_f32 v[82:83], v[82:83], v[120:121] neg_lo:[0,1] neg_hi:[0,1]
	s_wait_dscnt 0x0
	v_pk_mul_f32 v[120:121], v[116:117], v[108:109] op_sel:[0,1]
	v_pk_fma_f32 v[122:123], v[116:117], v[106:107], v[120:121] op_sel:[0,0,1] op_sel_hi:[1,1,0] neg_lo:[0,0,1] neg_hi:[0,0,1]
	v_pk_fma_f32 v[116:117], v[116:117], v[106:107], v[120:121] op_sel:[0,0,1] op_sel_hi:[1,0,0]
	v_dual_mul_f32 v120, v119, v109 :: v_dual_mov_b32 v116, v119
	s_delay_alu instid0(VALU_DEP_2) | instskip(NEXT) | instid1(VALU_DEP_2)
	v_dual_mov_b32 v123, v117 :: v_dual_mov_b32 v117, v118
	v_pk_fma_f32 v[120:121], v[118:119], v[44:45], v[120:121] op_sel_hi:[1,1,0] neg_lo:[0,0,1] neg_hi:[0,0,1]
	v_mul_f32_e32 v118, v119, v106
	s_delay_alu instid0(VALU_DEP_3) | instskip(NEXT) | instid1(VALU_DEP_2)
	v_pk_add_f32 v[32:33], v[32:33], v[122:123] neg_lo:[0,1] neg_hi:[0,1]
	v_pk_fma_f32 v[116:117], v[116:117], v[44:45], v[118:119] op_sel_hi:[1,1,0]
	s_delay_alu instid0(VALU_DEP_1) | instskip(SKIP_4) | instid1(VALU_DEP_1)
	v_mov_b32_e32 v121, v117
	ds_load_2addr_b64 v[116:119], v110 offset0:31 offset1:32
	v_pk_add_f32 v[34:35], v[34:35], v[120:121] neg_lo:[0,1] neg_hi:[0,1]
	s_wait_dscnt 0x0
	v_pk_mul_f32 v[120:121], v[116:117], v[108:109] op_sel:[0,1]
	v_pk_fma_f32 v[122:123], v[116:117], v[106:107], v[120:121] op_sel:[0,0,1] op_sel_hi:[1,1,0] neg_lo:[0,0,1] neg_hi:[0,0,1]
	v_pk_fma_f32 v[116:117], v[116:117], v[106:107], v[120:121] op_sel:[0,0,1] op_sel_hi:[1,0,0]
	s_delay_alu instid0(VALU_DEP_1) | instskip(SKIP_1) | instid1(VALU_DEP_1)
	v_mov_b32_e32 v123, v117
	v_pk_mul_f32 v[116:117], v[118:119], v[108:109] op_sel:[0,1]
	v_pk_fma_f32 v[120:121], v[118:119], v[106:107], v[116:117] op_sel:[0,0,1] op_sel_hi:[1,1,0] neg_lo:[0,0,1] neg_hi:[0,0,1]
	v_pk_fma_f32 v[116:117], v[118:119], v[106:107], v[116:117] op_sel:[0,0,1] op_sel_hi:[1,0,0]
	s_delay_alu instid0(VALU_DEP_1)
	v_mov_b32_e32 v121, v117
	ds_load_2addr_b64 v[116:119], v110 offset0:33 offset1:34
	v_pk_add_f32 v[30:31], v[30:31], v[122:123] neg_lo:[0,1] neg_hi:[0,1]
	v_pk_add_f32 v[80:81], v[80:81], v[120:121] neg_lo:[0,1] neg_hi:[0,1]
	s_wait_dscnt 0x0
	v_pk_mul_f32 v[120:121], v[116:117], v[108:109] op_sel:[0,1]
	s_delay_alu instid0(VALU_DEP_1) | instskip(SKIP_1) | instid1(VALU_DEP_1)
	v_pk_fma_f32 v[122:123], v[116:117], v[106:107], v[120:121] op_sel:[0,0,1] op_sel_hi:[1,1,0] neg_lo:[0,0,1] neg_hi:[0,0,1]
	v_pk_fma_f32 v[116:117], v[116:117], v[106:107], v[120:121] op_sel:[0,0,1] op_sel_hi:[1,0,0]
	v_mov_b32_e32 v123, v117
	v_pk_mul_f32 v[116:117], v[118:119], v[108:109] op_sel:[0,1]
	s_delay_alu instid0(VALU_DEP_1) | instskip(SKIP_1) | instid1(VALU_DEP_1)
	v_pk_fma_f32 v[120:121], v[118:119], v[106:107], v[116:117] op_sel:[0,0,1] op_sel_hi:[1,1,0] neg_lo:[0,0,1] neg_hi:[0,0,1]
	v_pk_fma_f32 v[116:117], v[118:119], v[106:107], v[116:117] op_sel:[0,0,1] op_sel_hi:[1,0,0]
	v_mov_b32_e32 v121, v117
	ds_load_2addr_b64 v[116:119], v110 offset0:35 offset1:36
	v_pk_add_f32 v[24:25], v[24:25], v[122:123] neg_lo:[0,1] neg_hi:[0,1]
	v_pk_add_f32 v[26:27], v[26:27], v[120:121] neg_lo:[0,1] neg_hi:[0,1]
	s_wait_dscnt 0x0
	v_dual_mul_f32 v120, v117, v109 :: v_dual_mul_f32 v122, v117, v106
	s_delay_alu instid0(VALU_DEP_1) | instskip(NEXT) | instid1(VALU_DEP_2)
	v_pk_fma_f32 v[120:121], v[116:117], v[44:45], v[120:121] op_sel_hi:[1,1,0] neg_lo:[0,0,1] neg_hi:[0,0,1]
	v_pk_fma_f32 v[116:117], v[116:117], v[44:45], v[122:123] op_sel:[1,0,0] op_sel_hi:[0,1,0]
	s_delay_alu instid0(VALU_DEP_1) | instskip(SKIP_1) | instid1(VALU_DEP_2)
	v_mov_b32_e32 v121, v117
	v_pk_mul_f32 v[116:117], v[118:119], v[108:109] op_sel:[0,1]
	v_pk_add_f32 v[22:23], v[22:23], v[120:121] neg_lo:[0,1] neg_hi:[0,1]
	s_delay_alu instid0(VALU_DEP_2) | instskip(SKIP_1) | instid1(VALU_DEP_1)
	v_pk_fma_f32 v[120:121], v[118:119], v[106:107], v[116:117] op_sel:[0,0,1] op_sel_hi:[1,1,0] neg_lo:[0,0,1] neg_hi:[0,0,1]
	v_pk_fma_f32 v[116:117], v[118:119], v[106:107], v[116:117] op_sel:[0,0,1] op_sel_hi:[1,0,0]
	v_mov_b32_e32 v121, v117
	ds_load_2addr_b64 v[116:119], v110 offset0:37 offset1:38
	v_pk_add_f32 v[78:79], v[78:79], v[120:121] neg_lo:[0,1] neg_hi:[0,1]
	s_wait_dscnt 0x0
	v_pk_mul_f32 v[120:121], v[116:117], v[108:109] op_sel:[0,1]
	s_delay_alu instid0(VALU_DEP_1) | instskip(SKIP_1) | instid1(VALU_DEP_1)
	v_pk_fma_f32 v[122:123], v[116:117], v[106:107], v[120:121] op_sel:[0,0,1] op_sel_hi:[1,1,0] neg_lo:[0,0,1] neg_hi:[0,0,1]
	v_pk_fma_f32 v[116:117], v[116:117], v[106:107], v[120:121] op_sel:[0,0,1] op_sel_hi:[1,0,0]
	v_mov_b32_e32 v123, v117
	v_pk_mul_f32 v[116:117], v[118:119], v[108:109] op_sel:[0,1]
	s_delay_alu instid0(VALU_DEP_2) | instskip(NEXT) | instid1(VALU_DEP_2)
	v_pk_add_f32 v[18:19], v[18:19], v[122:123] neg_lo:[0,1] neg_hi:[0,1]
	v_pk_fma_f32 v[120:121], v[118:119], v[106:107], v[116:117] op_sel:[0,0,1] op_sel_hi:[1,1,0] neg_lo:[0,0,1] neg_hi:[0,0,1]
	v_pk_fma_f32 v[116:117], v[118:119], v[106:107], v[116:117] op_sel:[0,0,1] op_sel_hi:[1,0,0]
	s_delay_alu instid0(VALU_DEP_1) | instskip(SKIP_4) | instid1(VALU_DEP_1)
	v_mov_b32_e32 v121, v117
	ds_load_2addr_b64 v[116:119], v110 offset0:39 offset1:40
	v_pk_add_f32 v[20:21], v[20:21], v[120:121] neg_lo:[0,1] neg_hi:[0,1]
	s_wait_dscnt 0x0
	v_pk_mul_f32 v[120:121], v[116:117], v[108:109] op_sel:[0,1]
	v_pk_fma_f32 v[122:123], v[116:117], v[106:107], v[120:121] op_sel:[0,0,1] op_sel_hi:[1,1,0] neg_lo:[0,0,1] neg_hi:[0,0,1]
	v_pk_fma_f32 v[116:117], v[116:117], v[106:107], v[120:121] op_sel:[0,0,1] op_sel_hi:[1,0,0]
	v_dual_mul_f32 v120, v119, v109 :: v_dual_mov_b32 v116, v119
	s_delay_alu instid0(VALU_DEP_2) | instskip(NEXT) | instid1(VALU_DEP_2)
	v_dual_mov_b32 v123, v117 :: v_dual_mov_b32 v117, v118
	v_pk_fma_f32 v[120:121], v[118:119], v[44:45], v[120:121] op_sel_hi:[1,1,0] neg_lo:[0,0,1] neg_hi:[0,0,1]
	v_mul_f32_e32 v118, v119, v106
	s_delay_alu instid0(VALU_DEP_3) | instskip(NEXT) | instid1(VALU_DEP_2)
	v_pk_add_f32 v[16:17], v[16:17], v[122:123] neg_lo:[0,1] neg_hi:[0,1]
	v_pk_fma_f32 v[116:117], v[116:117], v[44:45], v[118:119] op_sel_hi:[1,1,0]
	s_delay_alu instid0(VALU_DEP_1) | instskip(SKIP_4) | instid1(VALU_DEP_1)
	v_mov_b32_e32 v121, v117
	ds_load_2addr_b64 v[116:119], v110 offset0:41 offset1:42
	v_pk_add_f32 v[76:77], v[76:77], v[120:121] neg_lo:[0,1] neg_hi:[0,1]
	s_wait_dscnt 0x0
	v_pk_mul_f32 v[120:121], v[116:117], v[108:109] op_sel:[0,1]
	v_pk_fma_f32 v[122:123], v[116:117], v[106:107], v[120:121] op_sel:[0,0,1] op_sel_hi:[1,1,0] neg_lo:[0,0,1] neg_hi:[0,0,1]
	v_pk_fma_f32 v[116:117], v[116:117], v[106:107], v[120:121] op_sel:[0,0,1] op_sel_hi:[1,0,0]
	s_delay_alu instid0(VALU_DEP_1) | instskip(SKIP_1) | instid1(VALU_DEP_1)
	v_mov_b32_e32 v123, v117
	v_pk_mul_f32 v[116:117], v[118:119], v[108:109] op_sel:[0,1]
	v_pk_fma_f32 v[120:121], v[118:119], v[106:107], v[116:117] op_sel:[0,0,1] op_sel_hi:[1,1,0] neg_lo:[0,0,1] neg_hi:[0,0,1]
	v_pk_fma_f32 v[116:117], v[118:119], v[106:107], v[116:117] op_sel:[0,0,1] op_sel_hi:[1,0,0]
	s_delay_alu instid0(VALU_DEP_1)
	v_mov_b32_e32 v121, v117
	ds_load_2addr_b64 v[116:119], v110 offset0:43 offset1:44
	v_pk_add_f32 v[10:11], v[10:11], v[122:123] neg_lo:[0,1] neg_hi:[0,1]
	v_pk_add_f32 v[12:13], v[12:13], v[120:121] neg_lo:[0,1] neg_hi:[0,1]
	s_wait_dscnt 0x0
	v_pk_mul_f32 v[120:121], v[116:117], v[108:109] op_sel:[0,1]
	s_delay_alu instid0(VALU_DEP_1) | instskip(SKIP_1) | instid1(VALU_DEP_1)
	v_pk_fma_f32 v[122:123], v[116:117], v[106:107], v[120:121] op_sel:[0,0,1] op_sel_hi:[1,1,0] neg_lo:[0,0,1] neg_hi:[0,0,1]
	v_pk_fma_f32 v[116:117], v[116:117], v[106:107], v[120:121] op_sel:[0,0,1] op_sel_hi:[1,0,0]
	v_mov_b32_e32 v123, v117
	v_pk_mul_f32 v[116:117], v[118:119], v[108:109] op_sel:[0,1]
	s_delay_alu instid0(VALU_DEP_1) | instskip(SKIP_1) | instid1(VALU_DEP_1)
	v_pk_fma_f32 v[120:121], v[118:119], v[106:107], v[116:117] op_sel:[0,0,1] op_sel_hi:[1,1,0] neg_lo:[0,0,1] neg_hi:[0,0,1]
	v_pk_fma_f32 v[116:117], v[118:119], v[106:107], v[116:117] op_sel:[0,0,1] op_sel_hi:[1,0,0]
	v_mov_b32_e32 v121, v117
	ds_load_2addr_b64 v[116:119], v110 offset0:45 offset1:46
	v_pk_add_f32 v[8:9], v[8:9], v[122:123] neg_lo:[0,1] neg_hi:[0,1]
	v_pk_add_f32 v[70:71], v[70:71], v[120:121] neg_lo:[0,1] neg_hi:[0,1]
	s_wait_dscnt 0x0
	v_dual_mul_f32 v120, v117, v109 :: v_dual_mul_f32 v122, v117, v106
	s_delay_alu instid0(VALU_DEP_1) | instskip(NEXT) | instid1(VALU_DEP_2)
	v_pk_fma_f32 v[120:121], v[116:117], v[44:45], v[120:121] op_sel_hi:[1,1,0] neg_lo:[0,0,1] neg_hi:[0,0,1]
	v_pk_fma_f32 v[116:117], v[116:117], v[44:45], v[122:123] op_sel:[1,0,0] op_sel_hi:[0,1,0]
	s_delay_alu instid0(VALU_DEP_1) | instskip(SKIP_1) | instid1(VALU_DEP_2)
	v_mov_b32_e32 v121, v117
	v_pk_mul_f32 v[116:117], v[118:119], v[108:109] op_sel:[0,1]
	v_pk_add_f32 v[6:7], v[6:7], v[120:121] neg_lo:[0,1] neg_hi:[0,1]
	s_delay_alu instid0(VALU_DEP_2) | instskip(SKIP_1) | instid1(VALU_DEP_1)
	v_pk_fma_f32 v[120:121], v[118:119], v[106:107], v[116:117] op_sel:[0,0,1] op_sel_hi:[1,1,0] neg_lo:[0,0,1] neg_hi:[0,0,1]
	v_pk_fma_f32 v[116:117], v[118:119], v[106:107], v[116:117] op_sel:[0,0,1] op_sel_hi:[1,0,0]
	v_mov_b32_e32 v121, v117
	ds_load_2addr_b64 v[116:119], v110 offset0:47 offset1:48
	v_pk_add_f32 v[46:47], v[46:47], v[120:121] neg_lo:[0,1] neg_hi:[0,1]
	s_wait_dscnt 0x0
	v_pk_mul_f32 v[120:121], v[116:117], v[108:109] op_sel:[0,1]
	s_delay_alu instid0(VALU_DEP_1) | instskip(SKIP_1) | instid1(VALU_DEP_1)
	v_pk_fma_f32 v[122:123], v[116:117], v[106:107], v[120:121] op_sel:[0,0,1] op_sel_hi:[1,1,0] neg_lo:[0,0,1] neg_hi:[0,0,1]
	v_pk_fma_f32 v[116:117], v[116:117], v[106:107], v[120:121] op_sel:[0,0,1] op_sel_hi:[1,0,0]
	v_mov_b32_e32 v123, v117
	v_pk_mul_f32 v[116:117], v[118:119], v[108:109] op_sel:[0,1]
	s_delay_alu instid0(VALU_DEP_2) | instskip(NEXT) | instid1(VALU_DEP_2)
	v_pk_add_f32 v[28:29], v[28:29], v[122:123] neg_lo:[0,1] neg_hi:[0,1]
	v_pk_fma_f32 v[120:121], v[118:119], v[106:107], v[116:117] op_sel:[0,0,1] op_sel_hi:[1,1,0] neg_lo:[0,0,1] neg_hi:[0,0,1]
	v_pk_fma_f32 v[116:117], v[118:119], v[106:107], v[116:117] op_sel:[0,0,1] op_sel_hi:[1,0,0]
	s_delay_alu instid0(VALU_DEP_1) | instskip(SKIP_4) | instid1(VALU_DEP_1)
	v_mov_b32_e32 v121, v117
	ds_load_b64 v[116:117], v110 offset:392
	v_pk_add_f32 v[14:15], v[14:15], v[120:121] neg_lo:[0,1] neg_hi:[0,1]
	s_wait_dscnt 0x0
	v_pk_mul_f32 v[108:109], v[116:117], v[108:109] op_sel:[0,1]
	v_pk_fma_f32 v[118:119], v[116:117], v[106:107], v[108:109] op_sel:[0,0,1] op_sel_hi:[1,1,0] neg_lo:[0,0,1] neg_hi:[0,0,1]
	v_pk_fma_f32 v[106:107], v[116:117], v[106:107], v[108:109] op_sel:[0,0,1] op_sel_hi:[1,0,0]
	s_delay_alu instid0(VALU_DEP_1) | instskip(NEXT) | instid1(VALU_DEP_1)
	v_mov_b32_e32 v119, v107
	v_pk_add_f32 v[104:105], v[104:105], v[118:119] neg_lo:[0,1] neg_hi:[0,1]
.LBB98_146:
	s_or_b32 exec_lo, exec_lo, s0
	v_lshl_add_u32 v106, v114, 3, v110
	s_barrier_signal -1
	s_barrier_wait -1
	ds_store_b64 v106, v[40:41]
	s_wait_dscnt 0x0
	s_barrier_signal -1
	s_barrier_wait -1
	ds_load_b64 v[108:109], v110 offset:56
	v_mov_b32_e32 v106, 7
	s_cmp_lt_i32 s18, 9
	s_cbranch_scc1 .LBB98_149
; %bb.147:
	v_add3_u32 v107, v111, 0, 64
	v_mov_b32_e32 v106, 7
	s_mov_b32 s0, 8
.LBB98_148:                             ; =>This Inner Loop Header: Depth=1
	ds_load_b64 v[116:117], v107
	s_wait_dscnt 0x1
	v_cmp_gt_f32_e32 vcc_lo, 0, v108
	v_cndmask_b32_e64 v118, v108, -v108, vcc_lo
	v_cmp_gt_f32_e32 vcc_lo, 0, v109
	v_cndmask_b32_e64 v120, v109, -v109, vcc_lo
	s_wait_dscnt 0x0
	v_cmp_gt_f32_e32 vcc_lo, 0, v116
	v_cndmask_b32_e64 v119, v116, -v116, vcc_lo
	v_cmp_gt_f32_e32 vcc_lo, 0, v117
	v_cndmask_b32_e64 v121, v117, -v117, vcc_lo
	s_delay_alu instid0(VALU_DEP_1) | instskip(NEXT) | instid1(VALU_DEP_1)
	v_pk_add_f32 v[118:119], v[118:119], v[120:121]
	v_cmp_lt_f32_e32 vcc_lo, v118, v119
	v_dual_add_nc_u32 v107, 8, v107 :: v_dual_cndmask_b32 v109, v109, v117, vcc_lo
	v_cndmask_b32_e32 v108, v108, v116, vcc_lo
	v_cndmask_b32_e64 v106, v106, s0, vcc_lo
	s_add_co_i32 s0, s0, 1
	s_delay_alu instid0(SALU_CYCLE_1)
	s_cmp_lg_u32 s18, s0
	s_cbranch_scc1 .LBB98_148
.LBB98_149:
	s_wait_dscnt 0x0
	v_cmp_eq_f32_e32 vcc_lo, 0, v108
	v_cmp_eq_f32_e64 s0, 0, v109
	s_and_b32 s0, vcc_lo, s0
	s_delay_alu instid0(SALU_CYCLE_1) | instskip(NEXT) | instid1(SALU_CYCLE_1)
	s_and_saveexec_b32 s1, s0
	s_xor_b32 s0, exec_lo, s1
; %bb.150:
	v_cmp_ne_u32_e32 vcc_lo, 0, v112
	v_cndmask_b32_e32 v112, 8, v112, vcc_lo
; %bb.151:
	s_and_not1_saveexec_b32 s0, s0
	s_cbranch_execz .LBB98_157
; %bb.152:
	v_cmp_ngt_f32_e64 s1, |v108|, |v109|
	s_and_saveexec_b32 s12, s1
	s_delay_alu instid0(SALU_CYCLE_1)
	s_xor_b32 s1, exec_lo, s12
	s_cbranch_execz .LBB98_154
; %bb.153:
	v_div_scale_f32 v107, null, v109, v109, v108
	v_div_scale_f32 v117, vcc_lo, v108, v109, v108
	s_delay_alu instid0(VALU_DEP_2) | instskip(SKIP_1) | instid1(TRANS32_DEP_1)
	v_rcp_f32_e32 v115, v107
	v_nop
	v_fma_f32 v116, -v107, v115, 1.0
	s_delay_alu instid0(VALU_DEP_1) | instskip(NEXT) | instid1(VALU_DEP_1)
	v_fmac_f32_e32 v115, v116, v115
	v_mul_f32_e32 v116, v117, v115
	s_delay_alu instid0(VALU_DEP_1) | instskip(NEXT) | instid1(VALU_DEP_1)
	v_fma_f32 v118, -v107, v116, v117
	v_fmac_f32_e32 v116, v118, v115
	s_delay_alu instid0(VALU_DEP_1) | instskip(NEXT) | instid1(VALU_DEP_1)
	v_fma_f32 v107, -v107, v116, v117
	v_div_fmas_f32 v107, v107, v115, v116
	s_delay_alu instid0(VALU_DEP_1) | instskip(NEXT) | instid1(VALU_DEP_1)
	v_div_fixup_f32 v107, v107, v109, v108
	v_fmac_f32_e32 v109, v108, v107
	s_delay_alu instid0(VALU_DEP_1) | instskip(SKIP_1) | instid1(VALU_DEP_2)
	v_div_scale_f32 v108, null, v109, v109, 1.0
	v_div_scale_f32 v117, vcc_lo, 1.0, v109, 1.0
	v_rcp_f32_e32 v115, v108
	v_nop
	s_delay_alu instid0(TRANS32_DEP_1) | instskip(NEXT) | instid1(VALU_DEP_1)
	v_fma_f32 v116, -v108, v115, 1.0
	v_fmac_f32_e32 v115, v116, v115
	s_delay_alu instid0(VALU_DEP_1) | instskip(NEXT) | instid1(VALU_DEP_1)
	v_mul_f32_e32 v116, v117, v115
	v_fma_f32 v118, -v108, v116, v117
	s_delay_alu instid0(VALU_DEP_1) | instskip(NEXT) | instid1(VALU_DEP_1)
	v_fmac_f32_e32 v116, v118, v115
	v_fma_f32 v108, -v108, v116, v117
	s_delay_alu instid0(VALU_DEP_1) | instskip(NEXT) | instid1(VALU_DEP_1)
	v_div_fmas_f32 v108, v108, v115, v116
	v_div_fixup_f32 v109, v108, v109, 1.0
	s_delay_alu instid0(VALU_DEP_1)
	v_mul_f32_e32 v108, v107, v109
	v_xor_b32_e32 v109, 0x80000000, v109
.LBB98_154:
	s_and_not1_saveexec_b32 s1, s1
	s_cbranch_execz .LBB98_156
; %bb.155:
	s_delay_alu instid0(VALU_DEP_1) | instskip(SKIP_1) | instid1(VALU_DEP_2)
	v_div_scale_f32 v107, null, v108, v108, v109
	v_div_scale_f32 v117, vcc_lo, v109, v108, v109
	v_rcp_f32_e32 v115, v107
	v_nop
	s_delay_alu instid0(TRANS32_DEP_1) | instskip(NEXT) | instid1(VALU_DEP_1)
	v_fma_f32 v116, -v107, v115, 1.0
	v_fmac_f32_e32 v115, v116, v115
	s_delay_alu instid0(VALU_DEP_1) | instskip(NEXT) | instid1(VALU_DEP_1)
	v_mul_f32_e32 v116, v117, v115
	v_fma_f32 v118, -v107, v116, v117
	s_delay_alu instid0(VALU_DEP_1) | instskip(NEXT) | instid1(VALU_DEP_1)
	v_fmac_f32_e32 v116, v118, v115
	v_fma_f32 v107, -v107, v116, v117
	s_delay_alu instid0(VALU_DEP_1) | instskip(NEXT) | instid1(VALU_DEP_1)
	v_div_fmas_f32 v107, v107, v115, v116
	v_div_fixup_f32 v107, v107, v108, v109
	s_delay_alu instid0(VALU_DEP_1) | instskip(NEXT) | instid1(VALU_DEP_1)
	v_fmac_f32_e32 v108, v109, v107
	v_div_scale_f32 v109, null, v108, v108, 1.0
	s_delay_alu instid0(VALU_DEP_1) | instskip(SKIP_1) | instid1(TRANS32_DEP_1)
	v_rcp_f32_e32 v115, v109
	v_nop
	v_fma_f32 v116, -v109, v115, 1.0
	s_delay_alu instid0(VALU_DEP_1) | instskip(SKIP_1) | instid1(VALU_DEP_1)
	v_fmac_f32_e32 v115, v116, v115
	v_div_scale_f32 v116, vcc_lo, 1.0, v108, 1.0
	v_mul_f32_e32 v117, v116, v115
	s_delay_alu instid0(VALU_DEP_1) | instskip(NEXT) | instid1(VALU_DEP_1)
	v_fma_f32 v118, -v109, v117, v116
	v_fmac_f32_e32 v117, v118, v115
	s_delay_alu instid0(VALU_DEP_1) | instskip(NEXT) | instid1(VALU_DEP_1)
	v_fma_f32 v109, -v109, v117, v116
	v_div_fmas_f32 v109, v109, v115, v117
	s_delay_alu instid0(VALU_DEP_1) | instskip(NEXT) | instid1(VALU_DEP_1)
	v_div_fixup_f32 v108, v109, v108, 1.0
	v_mul_f32_e64 v109, v107, -v108
.LBB98_156:
	s_or_b32 exec_lo, exec_lo, s1
.LBB98_157:
	s_delay_alu instid0(SALU_CYCLE_1) | instskip(NEXT) | instid1(SALU_CYCLE_1)
	s_or_b32 exec_lo, exec_lo, s0
	s_mov_b32 s0, exec_lo
	v_cmpx_ne_u32_e64 v114, v106
	s_xor_b32 s0, exec_lo, s0
	s_cbranch_execz .LBB98_163
; %bb.158:
	s_mov_b32 s1, exec_lo
	v_cmpx_eq_u32_e32 7, v114
	s_cbranch_execz .LBB98_162
; %bb.159:
	v_cmp_ne_u32_e32 vcc_lo, 7, v106
	s_xor_b32 s12, s16, -1
	s_delay_alu instid0(SALU_CYCLE_1) | instskip(NEXT) | instid1(SALU_CYCLE_1)
	s_and_b32 s13, s12, vcc_lo
	s_and_saveexec_b32 s12, s13
	s_cbranch_execz .LBB98_161
; %bb.160:
	v_ashrrev_i32_e32 v107, 31, v106
	s_delay_alu instid0(VALU_DEP_1)
	v_lshl_add_u64 v[114:115], v[106:107], 2, v[4:5]
	s_clause 0x1
	global_load_b32 v107, v[114:115], off
	global_load_b32 v113, v[4:5], off offset:28
	s_wait_loadcnt 0x1
	global_store_b32 v[4:5], v107, off offset:28
	s_wait_loadcnt 0x0
	global_store_b32 v[114:115], v113, off
.LBB98_161:
	s_wait_xcnt 0x0
	s_or_b32 exec_lo, exec_lo, s12
	v_dual_mov_b32 v114, v106 :: v_dual_mov_b32 v113, v106
.LBB98_162:
	s_or_b32 exec_lo, exec_lo, s1
.LBB98_163:
	s_and_not1_saveexec_b32 s0, s0
	s_cbranch_execz .LBB98_165
; %bb.164:
	v_dual_mov_b32 v106, v88 :: v_dual_mov_b32 v107, v89
	v_dual_mov_b32 v114, v50 :: v_dual_mov_b32 v115, v51
	ds_store_2addr_b64 v110, v[106:107], v[114:115] offset0:8 offset1:9
	v_dual_mov_b32 v106, v52 :: v_dual_mov_b32 v107, v53
	v_dual_mov_b32 v114, v48 :: v_dual_mov_b32 v115, v49
	ds_store_2addr_b64 v110, v[106:107], v[114:115] offset0:10 offset1:11
	;; [unrolled: 3-line block ×20, first 2 shown]
	v_dual_mov_b32 v106, v14 :: v_dual_mov_b32 v107, v15
	v_mov_b32_e32 v114, 7
	ds_store_2addr_b64 v110, v[106:107], v[104:105] offset0:48 offset1:49
.LBB98_165:
	s_or_b32 exec_lo, exec_lo, s0
	s_delay_alu instid0(SALU_CYCLE_1)
	s_mov_b32 s0, exec_lo
	s_wait_storecnt_dscnt 0x0
	s_barrier_signal -1
	s_barrier_wait -1
	v_cmpx_lt_i32_e32 7, v114
	s_cbranch_execz .LBB98_167
; %bb.166:
	v_pk_mul_f32 v[116:117], v[108:109], v[40:41] op_sel:[1,1] op_sel_hi:[0,1]
	s_delay_alu instid0(VALU_DEP_1)
	v_pk_fma_f32 v[106:107], v[108:109], v[40:41], v[116:117] op_sel_hi:[1,0,1] neg_lo:[0,0,1] neg_hi:[0,0,1]
	v_pk_fma_f32 v[108:109], v[108:109], v[40:41], v[116:117] op_sel_hi:[1,0,1]
	ds_load_2addr_b64 v[116:119], v110 offset0:8 offset1:9
	v_dual_mov_b32 v40, v106 :: v_dual_mov_b32 v41, v109
	s_wait_dscnt 0x0
	v_pk_mul_f32 v[120:121], v[116:117], v[108:109] op_sel:[0,1]
	s_delay_alu instid0(VALU_DEP_1) | instskip(SKIP_1) | instid1(VALU_DEP_1)
	v_pk_fma_f32 v[122:123], v[116:117], v[106:107], v[120:121] op_sel:[0,0,1] op_sel_hi:[1,1,0] neg_lo:[0,0,1] neg_hi:[0,0,1]
	v_pk_fma_f32 v[116:117], v[116:117], v[106:107], v[120:121] op_sel:[0,0,1] op_sel_hi:[1,0,0]
	v_mov_b32_e32 v123, v117
	v_pk_mul_f32 v[116:117], v[118:119], v[108:109] op_sel:[0,1]
	s_delay_alu instid0(VALU_DEP_1) | instskip(SKIP_1) | instid1(VALU_DEP_1)
	v_pk_fma_f32 v[120:121], v[118:119], v[106:107], v[116:117] op_sel:[0,0,1] op_sel_hi:[1,1,0] neg_lo:[0,0,1] neg_hi:[0,0,1]
	v_pk_fma_f32 v[116:117], v[118:119], v[106:107], v[116:117] op_sel:[0,0,1] op_sel_hi:[1,0,0]
	v_mov_b32_e32 v121, v117
	ds_load_2addr_b64 v[116:119], v110 offset0:10 offset1:11
	v_pk_add_f32 v[88:89], v[88:89], v[122:123] neg_lo:[0,1] neg_hi:[0,1]
	v_pk_add_f32 v[50:51], v[50:51], v[120:121] neg_lo:[0,1] neg_hi:[0,1]
	s_wait_dscnt 0x0
	v_pk_mul_f32 v[120:121], v[116:117], v[108:109] op_sel:[0,1]
	s_delay_alu instid0(VALU_DEP_1) | instskip(SKIP_2) | instid1(VALU_DEP_2)
	v_pk_fma_f32 v[122:123], v[116:117], v[106:107], v[120:121] op_sel:[0,0,1] op_sel_hi:[1,1,0] neg_lo:[0,0,1] neg_hi:[0,0,1]
	v_pk_fma_f32 v[116:117], v[116:117], v[106:107], v[120:121] op_sel:[0,0,1] op_sel_hi:[1,0,0]
	v_dual_mul_f32 v120, v119, v109 :: v_dual_mov_b32 v116, v119
	v_dual_mov_b32 v123, v117 :: v_dual_mov_b32 v117, v118
	s_delay_alu instid0(VALU_DEP_2) | instskip(SKIP_1) | instid1(VALU_DEP_3)
	v_pk_fma_f32 v[120:121], v[118:119], v[40:41], v[120:121] op_sel_hi:[1,1,0] neg_lo:[0,0,1] neg_hi:[0,0,1]
	v_mul_f32_e32 v118, v119, v106
	v_pk_add_f32 v[52:53], v[52:53], v[122:123] neg_lo:[0,1] neg_hi:[0,1]
	s_delay_alu instid0(VALU_DEP_2) | instskip(NEXT) | instid1(VALU_DEP_1)
	v_pk_fma_f32 v[116:117], v[116:117], v[40:41], v[118:119] op_sel_hi:[1,1,0]
	v_mov_b32_e32 v121, v117
	ds_load_2addr_b64 v[116:119], v110 offset0:12 offset1:13
	v_pk_add_f32 v[48:49], v[48:49], v[120:121] neg_lo:[0,1] neg_hi:[0,1]
	s_wait_dscnt 0x0
	v_pk_mul_f32 v[120:121], v[116:117], v[108:109] op_sel:[0,1]
	s_delay_alu instid0(VALU_DEP_1) | instskip(SKIP_1) | instid1(VALU_DEP_1)
	v_pk_fma_f32 v[122:123], v[116:117], v[106:107], v[120:121] op_sel:[0,0,1] op_sel_hi:[1,1,0] neg_lo:[0,0,1] neg_hi:[0,0,1]
	v_pk_fma_f32 v[116:117], v[116:117], v[106:107], v[120:121] op_sel:[0,0,1] op_sel_hi:[1,0,0]
	v_mov_b32_e32 v123, v117
	v_pk_mul_f32 v[116:117], v[118:119], v[108:109] op_sel:[0,1]
	s_delay_alu instid0(VALU_DEP_1) | instskip(SKIP_1) | instid1(VALU_DEP_1)
	v_pk_fma_f32 v[120:121], v[118:119], v[106:107], v[116:117] op_sel:[0,0,1] op_sel_hi:[1,1,0] neg_lo:[0,0,1] neg_hi:[0,0,1]
	v_pk_fma_f32 v[116:117], v[118:119], v[106:107], v[116:117] op_sel:[0,0,1] op_sel_hi:[1,0,0]
	v_mov_b32_e32 v121, v117
	ds_load_2addr_b64 v[116:119], v110 offset0:14 offset1:15
	v_pk_add_f32 v[94:95], v[94:95], v[122:123] neg_lo:[0,1] neg_hi:[0,1]
	v_pk_add_f32 v[68:69], v[68:69], v[120:121] neg_lo:[0,1] neg_hi:[0,1]
	s_wait_dscnt 0x0
	v_pk_mul_f32 v[120:121], v[116:117], v[108:109] op_sel:[0,1]
	s_delay_alu instid0(VALU_DEP_1) | instskip(SKIP_1) | instid1(VALU_DEP_1)
	v_pk_fma_f32 v[122:123], v[116:117], v[106:107], v[120:121] op_sel:[0,0,1] op_sel_hi:[1,1,0] neg_lo:[0,0,1] neg_hi:[0,0,1]
	v_pk_fma_f32 v[116:117], v[116:117], v[106:107], v[120:121] op_sel:[0,0,1] op_sel_hi:[1,0,0]
	v_mov_b32_e32 v123, v117
	v_pk_mul_f32 v[116:117], v[118:119], v[108:109] op_sel:[0,1]
	s_delay_alu instid0(VALU_DEP_1) | instskip(SKIP_1) | instid1(VALU_DEP_1)
	v_pk_fma_f32 v[120:121], v[118:119], v[106:107], v[116:117] op_sel:[0,0,1] op_sel_hi:[1,1,0] neg_lo:[0,0,1] neg_hi:[0,0,1]
	v_pk_fma_f32 v[116:117], v[118:119], v[106:107], v[116:117] op_sel:[0,0,1] op_sel_hi:[1,0,0]
	v_mov_b32_e32 v121, v117
	ds_load_2addr_b64 v[116:119], v110 offset0:16 offset1:17
	v_pk_add_f32 v[72:73], v[72:73], v[122:123] neg_lo:[0,1] neg_hi:[0,1]
	v_pk_add_f32 v[66:67], v[66:67], v[120:121] neg_lo:[0,1] neg_hi:[0,1]
	s_wait_dscnt 0x0
	v_dual_mul_f32 v120, v117, v109 :: v_dual_mul_f32 v122, v117, v106
	s_delay_alu instid0(VALU_DEP_1) | instskip(NEXT) | instid1(VALU_DEP_2)
	v_pk_fma_f32 v[120:121], v[116:117], v[40:41], v[120:121] op_sel_hi:[1,1,0] neg_lo:[0,0,1] neg_hi:[0,0,1]
	v_pk_fma_f32 v[116:117], v[116:117], v[40:41], v[122:123] op_sel:[1,0,0] op_sel_hi:[0,1,0]
	s_delay_alu instid0(VALU_DEP_1) | instskip(SKIP_1) | instid1(VALU_DEP_2)
	v_mov_b32_e32 v121, v117
	v_pk_mul_f32 v[116:117], v[118:119], v[108:109] op_sel:[0,1]
	v_pk_add_f32 v[92:93], v[92:93], v[120:121] neg_lo:[0,1] neg_hi:[0,1]
	s_delay_alu instid0(VALU_DEP_2) | instskip(SKIP_1) | instid1(VALU_DEP_1)
	v_pk_fma_f32 v[120:121], v[118:119], v[106:107], v[116:117] op_sel:[0,0,1] op_sel_hi:[1,1,0] neg_lo:[0,0,1] neg_hi:[0,0,1]
	v_pk_fma_f32 v[116:117], v[118:119], v[106:107], v[116:117] op_sel:[0,0,1] op_sel_hi:[1,0,0]
	v_mov_b32_e32 v121, v117
	ds_load_2addr_b64 v[116:119], v110 offset0:18 offset1:19
	v_pk_add_f32 v[62:63], v[62:63], v[120:121] neg_lo:[0,1] neg_hi:[0,1]
	s_wait_dscnt 0x0
	v_pk_mul_f32 v[120:121], v[116:117], v[108:109] op_sel:[0,1]
	s_delay_alu instid0(VALU_DEP_1) | instskip(SKIP_1) | instid1(VALU_DEP_1)
	v_pk_fma_f32 v[122:123], v[116:117], v[106:107], v[120:121] op_sel:[0,0,1] op_sel_hi:[1,1,0] neg_lo:[0,0,1] neg_hi:[0,0,1]
	v_pk_fma_f32 v[116:117], v[116:117], v[106:107], v[120:121] op_sel:[0,0,1] op_sel_hi:[1,0,0]
	v_mov_b32_e32 v123, v117
	v_pk_mul_f32 v[116:117], v[118:119], v[108:109] op_sel:[0,1]
	s_delay_alu instid0(VALU_DEP_2) | instskip(NEXT) | instid1(VALU_DEP_2)
	v_pk_add_f32 v[64:65], v[64:65], v[122:123] neg_lo:[0,1] neg_hi:[0,1]
	v_pk_fma_f32 v[120:121], v[118:119], v[106:107], v[116:117] op_sel:[0,0,1] op_sel_hi:[1,1,0] neg_lo:[0,0,1] neg_hi:[0,0,1]
	v_pk_fma_f32 v[116:117], v[118:119], v[106:107], v[116:117] op_sel:[0,0,1] op_sel_hi:[1,0,0]
	s_delay_alu instid0(VALU_DEP_1) | instskip(SKIP_4) | instid1(VALU_DEP_1)
	v_mov_b32_e32 v121, v117
	ds_load_2addr_b64 v[116:119], v110 offset0:20 offset1:21
	v_pk_add_f32 v[60:61], v[60:61], v[120:121] neg_lo:[0,1] neg_hi:[0,1]
	s_wait_dscnt 0x0
	v_pk_mul_f32 v[120:121], v[116:117], v[108:109] op_sel:[0,1]
	v_pk_fma_f32 v[122:123], v[116:117], v[106:107], v[120:121] op_sel:[0,0,1] op_sel_hi:[1,1,0] neg_lo:[0,0,1] neg_hi:[0,0,1]
	v_pk_fma_f32 v[116:117], v[116:117], v[106:107], v[120:121] op_sel:[0,0,1] op_sel_hi:[1,0,0]
	v_dual_mul_f32 v120, v119, v109 :: v_dual_mov_b32 v116, v119
	s_delay_alu instid0(VALU_DEP_2) | instskip(NEXT) | instid1(VALU_DEP_2)
	v_dual_mov_b32 v123, v117 :: v_dual_mov_b32 v117, v118
	v_pk_fma_f32 v[120:121], v[118:119], v[40:41], v[120:121] op_sel_hi:[1,1,0] neg_lo:[0,0,1] neg_hi:[0,0,1]
	v_mul_f32_e32 v118, v119, v106
	s_delay_alu instid0(VALU_DEP_3) | instskip(NEXT) | instid1(VALU_DEP_2)
	v_pk_add_f32 v[90:91], v[90:91], v[122:123] neg_lo:[0,1] neg_hi:[0,1]
	v_pk_fma_f32 v[116:117], v[116:117], v[40:41], v[118:119] op_sel_hi:[1,1,0]
	s_delay_alu instid0(VALU_DEP_1) | instskip(SKIP_4) | instid1(VALU_DEP_1)
	v_mov_b32_e32 v121, v117
	ds_load_2addr_b64 v[116:119], v110 offset0:22 offset1:23
	v_pk_add_f32 v[56:57], v[56:57], v[120:121] neg_lo:[0,1] neg_hi:[0,1]
	s_wait_dscnt 0x0
	v_pk_mul_f32 v[120:121], v[116:117], v[108:109] op_sel:[0,1]
	v_pk_fma_f32 v[122:123], v[116:117], v[106:107], v[120:121] op_sel:[0,0,1] op_sel_hi:[1,1,0] neg_lo:[0,0,1] neg_hi:[0,0,1]
	v_pk_fma_f32 v[116:117], v[116:117], v[106:107], v[120:121] op_sel:[0,0,1] op_sel_hi:[1,0,0]
	s_delay_alu instid0(VALU_DEP_1) | instskip(SKIP_1) | instid1(VALU_DEP_1)
	v_mov_b32_e32 v123, v117
	v_pk_mul_f32 v[116:117], v[118:119], v[108:109] op_sel:[0,1]
	v_pk_fma_f32 v[120:121], v[118:119], v[106:107], v[116:117] op_sel:[0,0,1] op_sel_hi:[1,1,0] neg_lo:[0,0,1] neg_hi:[0,0,1]
	v_pk_fma_f32 v[116:117], v[118:119], v[106:107], v[116:117] op_sel:[0,0,1] op_sel_hi:[1,0,0]
	s_delay_alu instid0(VALU_DEP_1)
	v_mov_b32_e32 v121, v117
	ds_load_2addr_b64 v[116:119], v110 offset0:24 offset1:25
	v_pk_add_f32 v[58:59], v[58:59], v[122:123] neg_lo:[0,1] neg_hi:[0,1]
	v_pk_add_f32 v[54:55], v[54:55], v[120:121] neg_lo:[0,1] neg_hi:[0,1]
	s_wait_dscnt 0x0
	v_pk_mul_f32 v[120:121], v[116:117], v[108:109] op_sel:[0,1]
	s_delay_alu instid0(VALU_DEP_1) | instskip(SKIP_1) | instid1(VALU_DEP_1)
	v_pk_fma_f32 v[122:123], v[116:117], v[106:107], v[120:121] op_sel:[0,0,1] op_sel_hi:[1,1,0] neg_lo:[0,0,1] neg_hi:[0,0,1]
	v_pk_fma_f32 v[116:117], v[116:117], v[106:107], v[120:121] op_sel:[0,0,1] op_sel_hi:[1,0,0]
	v_mov_b32_e32 v123, v117
	v_pk_mul_f32 v[116:117], v[118:119], v[108:109] op_sel:[0,1]
	s_delay_alu instid0(VALU_DEP_1) | instskip(SKIP_1) | instid1(VALU_DEP_1)
	v_pk_fma_f32 v[120:121], v[118:119], v[106:107], v[116:117] op_sel:[0,0,1] op_sel_hi:[1,1,0] neg_lo:[0,0,1] neg_hi:[0,0,1]
	v_pk_fma_f32 v[116:117], v[118:119], v[106:107], v[116:117] op_sel:[0,0,1] op_sel_hi:[1,0,0]
	v_mov_b32_e32 v121, v117
	ds_load_2addr_b64 v[116:119], v110 offset0:26 offset1:27
	v_pk_add_f32 v[86:87], v[86:87], v[122:123] neg_lo:[0,1] neg_hi:[0,1]
	v_pk_add_f32 v[38:39], v[38:39], v[120:121] neg_lo:[0,1] neg_hi:[0,1]
	s_wait_dscnt 0x0
	v_dual_mul_f32 v120, v117, v109 :: v_dual_mul_f32 v122, v117, v106
	s_delay_alu instid0(VALU_DEP_1) | instskip(NEXT) | instid1(VALU_DEP_2)
	v_pk_fma_f32 v[120:121], v[116:117], v[40:41], v[120:121] op_sel_hi:[1,1,0] neg_lo:[0,0,1] neg_hi:[0,0,1]
	v_pk_fma_f32 v[116:117], v[116:117], v[40:41], v[122:123] op_sel:[1,0,0] op_sel_hi:[0,1,0]
	s_delay_alu instid0(VALU_DEP_1) | instskip(SKIP_1) | instid1(VALU_DEP_2)
	v_mov_b32_e32 v121, v117
	v_pk_mul_f32 v[116:117], v[118:119], v[108:109] op_sel:[0,1]
	v_pk_add_f32 v[42:43], v[42:43], v[120:121] neg_lo:[0,1] neg_hi:[0,1]
	s_delay_alu instid0(VALU_DEP_2) | instskip(SKIP_1) | instid1(VALU_DEP_1)
	v_pk_fma_f32 v[120:121], v[118:119], v[106:107], v[116:117] op_sel:[0,0,1] op_sel_hi:[1,1,0] neg_lo:[0,0,1] neg_hi:[0,0,1]
	v_pk_fma_f32 v[116:117], v[118:119], v[106:107], v[116:117] op_sel:[0,0,1] op_sel_hi:[1,0,0]
	v_mov_b32_e32 v121, v117
	ds_load_2addr_b64 v[116:119], v110 offset0:28 offset1:29
	v_pk_add_f32 v[36:37], v[36:37], v[120:121] neg_lo:[0,1] neg_hi:[0,1]
	s_wait_dscnt 0x0
	v_pk_mul_f32 v[120:121], v[116:117], v[108:109] op_sel:[0,1]
	s_delay_alu instid0(VALU_DEP_1) | instskip(SKIP_1) | instid1(VALU_DEP_1)
	v_pk_fma_f32 v[122:123], v[116:117], v[106:107], v[120:121] op_sel:[0,0,1] op_sel_hi:[1,1,0] neg_lo:[0,0,1] neg_hi:[0,0,1]
	v_pk_fma_f32 v[116:117], v[116:117], v[106:107], v[120:121] op_sel:[0,0,1] op_sel_hi:[1,0,0]
	v_mov_b32_e32 v123, v117
	v_pk_mul_f32 v[116:117], v[118:119], v[108:109] op_sel:[0,1]
	s_delay_alu instid0(VALU_DEP_2) | instskip(NEXT) | instid1(VALU_DEP_2)
	v_pk_add_f32 v[82:83], v[82:83], v[122:123] neg_lo:[0,1] neg_hi:[0,1]
	v_pk_fma_f32 v[120:121], v[118:119], v[106:107], v[116:117] op_sel:[0,0,1] op_sel_hi:[1,1,0] neg_lo:[0,0,1] neg_hi:[0,0,1]
	v_pk_fma_f32 v[116:117], v[118:119], v[106:107], v[116:117] op_sel:[0,0,1] op_sel_hi:[1,0,0]
	s_delay_alu instid0(VALU_DEP_1) | instskip(SKIP_4) | instid1(VALU_DEP_1)
	v_mov_b32_e32 v121, v117
	ds_load_2addr_b64 v[116:119], v110 offset0:30 offset1:31
	v_pk_add_f32 v[32:33], v[32:33], v[120:121] neg_lo:[0,1] neg_hi:[0,1]
	s_wait_dscnt 0x0
	v_pk_mul_f32 v[120:121], v[116:117], v[108:109] op_sel:[0,1]
	v_pk_fma_f32 v[122:123], v[116:117], v[106:107], v[120:121] op_sel:[0,0,1] op_sel_hi:[1,1,0] neg_lo:[0,0,1] neg_hi:[0,0,1]
	v_pk_fma_f32 v[116:117], v[116:117], v[106:107], v[120:121] op_sel:[0,0,1] op_sel_hi:[1,0,0]
	v_dual_mul_f32 v120, v119, v109 :: v_dual_mov_b32 v116, v119
	s_delay_alu instid0(VALU_DEP_2) | instskip(NEXT) | instid1(VALU_DEP_2)
	v_dual_mov_b32 v123, v117 :: v_dual_mov_b32 v117, v118
	v_pk_fma_f32 v[120:121], v[118:119], v[40:41], v[120:121] op_sel_hi:[1,1,0] neg_lo:[0,0,1] neg_hi:[0,0,1]
	v_mul_f32_e32 v118, v119, v106
	s_delay_alu instid0(VALU_DEP_3) | instskip(NEXT) | instid1(VALU_DEP_2)
	v_pk_add_f32 v[34:35], v[34:35], v[122:123] neg_lo:[0,1] neg_hi:[0,1]
	v_pk_fma_f32 v[116:117], v[116:117], v[40:41], v[118:119] op_sel_hi:[1,1,0]
	s_delay_alu instid0(VALU_DEP_1) | instskip(SKIP_4) | instid1(VALU_DEP_1)
	v_mov_b32_e32 v121, v117
	ds_load_2addr_b64 v[116:119], v110 offset0:32 offset1:33
	v_pk_add_f32 v[30:31], v[30:31], v[120:121] neg_lo:[0,1] neg_hi:[0,1]
	s_wait_dscnt 0x0
	v_pk_mul_f32 v[120:121], v[116:117], v[108:109] op_sel:[0,1]
	v_pk_fma_f32 v[122:123], v[116:117], v[106:107], v[120:121] op_sel:[0,0,1] op_sel_hi:[1,1,0] neg_lo:[0,0,1] neg_hi:[0,0,1]
	v_pk_fma_f32 v[116:117], v[116:117], v[106:107], v[120:121] op_sel:[0,0,1] op_sel_hi:[1,0,0]
	s_delay_alu instid0(VALU_DEP_1) | instskip(SKIP_1) | instid1(VALU_DEP_1)
	v_mov_b32_e32 v123, v117
	v_pk_mul_f32 v[116:117], v[118:119], v[108:109] op_sel:[0,1]
	v_pk_fma_f32 v[120:121], v[118:119], v[106:107], v[116:117] op_sel:[0,0,1] op_sel_hi:[1,1,0] neg_lo:[0,0,1] neg_hi:[0,0,1]
	v_pk_fma_f32 v[116:117], v[118:119], v[106:107], v[116:117] op_sel:[0,0,1] op_sel_hi:[1,0,0]
	s_delay_alu instid0(VALU_DEP_1)
	v_mov_b32_e32 v121, v117
	ds_load_2addr_b64 v[116:119], v110 offset0:34 offset1:35
	v_pk_add_f32 v[80:81], v[80:81], v[122:123] neg_lo:[0,1] neg_hi:[0,1]
	v_pk_add_f32 v[24:25], v[24:25], v[120:121] neg_lo:[0,1] neg_hi:[0,1]
	s_wait_dscnt 0x0
	v_pk_mul_f32 v[120:121], v[116:117], v[108:109] op_sel:[0,1]
	s_delay_alu instid0(VALU_DEP_1) | instskip(SKIP_1) | instid1(VALU_DEP_1)
	v_pk_fma_f32 v[122:123], v[116:117], v[106:107], v[120:121] op_sel:[0,0,1] op_sel_hi:[1,1,0] neg_lo:[0,0,1] neg_hi:[0,0,1]
	v_pk_fma_f32 v[116:117], v[116:117], v[106:107], v[120:121] op_sel:[0,0,1] op_sel_hi:[1,0,0]
	v_mov_b32_e32 v123, v117
	v_pk_mul_f32 v[116:117], v[118:119], v[108:109] op_sel:[0,1]
	s_delay_alu instid0(VALU_DEP_1) | instskip(SKIP_1) | instid1(VALU_DEP_1)
	v_pk_fma_f32 v[120:121], v[118:119], v[106:107], v[116:117] op_sel:[0,0,1] op_sel_hi:[1,1,0] neg_lo:[0,0,1] neg_hi:[0,0,1]
	v_pk_fma_f32 v[116:117], v[118:119], v[106:107], v[116:117] op_sel:[0,0,1] op_sel_hi:[1,0,0]
	v_mov_b32_e32 v121, v117
	ds_load_2addr_b64 v[116:119], v110 offset0:36 offset1:37
	v_pk_add_f32 v[26:27], v[26:27], v[122:123] neg_lo:[0,1] neg_hi:[0,1]
	v_pk_add_f32 v[22:23], v[22:23], v[120:121] neg_lo:[0,1] neg_hi:[0,1]
	s_wait_dscnt 0x0
	v_dual_mul_f32 v120, v117, v109 :: v_dual_mul_f32 v122, v117, v106
	s_delay_alu instid0(VALU_DEP_1) | instskip(NEXT) | instid1(VALU_DEP_2)
	v_pk_fma_f32 v[120:121], v[116:117], v[40:41], v[120:121] op_sel_hi:[1,1,0] neg_lo:[0,0,1] neg_hi:[0,0,1]
	v_pk_fma_f32 v[116:117], v[116:117], v[40:41], v[122:123] op_sel:[1,0,0] op_sel_hi:[0,1,0]
	s_delay_alu instid0(VALU_DEP_1) | instskip(SKIP_1) | instid1(VALU_DEP_2)
	v_mov_b32_e32 v121, v117
	v_pk_mul_f32 v[116:117], v[118:119], v[108:109] op_sel:[0,1]
	v_pk_add_f32 v[78:79], v[78:79], v[120:121] neg_lo:[0,1] neg_hi:[0,1]
	s_delay_alu instid0(VALU_DEP_2) | instskip(SKIP_1) | instid1(VALU_DEP_1)
	v_pk_fma_f32 v[120:121], v[118:119], v[106:107], v[116:117] op_sel:[0,0,1] op_sel_hi:[1,1,0] neg_lo:[0,0,1] neg_hi:[0,0,1]
	v_pk_fma_f32 v[116:117], v[118:119], v[106:107], v[116:117] op_sel:[0,0,1] op_sel_hi:[1,0,0]
	v_mov_b32_e32 v121, v117
	ds_load_2addr_b64 v[116:119], v110 offset0:38 offset1:39
	v_pk_add_f32 v[18:19], v[18:19], v[120:121] neg_lo:[0,1] neg_hi:[0,1]
	s_wait_dscnt 0x0
	v_pk_mul_f32 v[120:121], v[116:117], v[108:109] op_sel:[0,1]
	s_delay_alu instid0(VALU_DEP_1) | instskip(SKIP_1) | instid1(VALU_DEP_1)
	v_pk_fma_f32 v[122:123], v[116:117], v[106:107], v[120:121] op_sel:[0,0,1] op_sel_hi:[1,1,0] neg_lo:[0,0,1] neg_hi:[0,0,1]
	v_pk_fma_f32 v[116:117], v[116:117], v[106:107], v[120:121] op_sel:[0,0,1] op_sel_hi:[1,0,0]
	v_mov_b32_e32 v123, v117
	v_pk_mul_f32 v[116:117], v[118:119], v[108:109] op_sel:[0,1]
	s_delay_alu instid0(VALU_DEP_2) | instskip(NEXT) | instid1(VALU_DEP_2)
	v_pk_add_f32 v[20:21], v[20:21], v[122:123] neg_lo:[0,1] neg_hi:[0,1]
	v_pk_fma_f32 v[120:121], v[118:119], v[106:107], v[116:117] op_sel:[0,0,1] op_sel_hi:[1,1,0] neg_lo:[0,0,1] neg_hi:[0,0,1]
	v_pk_fma_f32 v[116:117], v[118:119], v[106:107], v[116:117] op_sel:[0,0,1] op_sel_hi:[1,0,0]
	s_delay_alu instid0(VALU_DEP_1) | instskip(SKIP_4) | instid1(VALU_DEP_1)
	v_mov_b32_e32 v121, v117
	ds_load_2addr_b64 v[116:119], v110 offset0:40 offset1:41
	v_pk_add_f32 v[16:17], v[16:17], v[120:121] neg_lo:[0,1] neg_hi:[0,1]
	s_wait_dscnt 0x0
	v_pk_mul_f32 v[120:121], v[116:117], v[108:109] op_sel:[0,1]
	v_pk_fma_f32 v[122:123], v[116:117], v[106:107], v[120:121] op_sel:[0,0,1] op_sel_hi:[1,1,0] neg_lo:[0,0,1] neg_hi:[0,0,1]
	v_pk_fma_f32 v[116:117], v[116:117], v[106:107], v[120:121] op_sel:[0,0,1] op_sel_hi:[1,0,0]
	v_dual_mul_f32 v120, v119, v109 :: v_dual_mov_b32 v116, v119
	s_delay_alu instid0(VALU_DEP_2) | instskip(NEXT) | instid1(VALU_DEP_2)
	v_dual_mov_b32 v123, v117 :: v_dual_mov_b32 v117, v118
	v_pk_fma_f32 v[120:121], v[118:119], v[40:41], v[120:121] op_sel_hi:[1,1,0] neg_lo:[0,0,1] neg_hi:[0,0,1]
	v_mul_f32_e32 v118, v119, v106
	s_delay_alu instid0(VALU_DEP_3) | instskip(NEXT) | instid1(VALU_DEP_2)
	v_pk_add_f32 v[76:77], v[76:77], v[122:123] neg_lo:[0,1] neg_hi:[0,1]
	v_pk_fma_f32 v[116:117], v[116:117], v[40:41], v[118:119] op_sel_hi:[1,1,0]
	s_delay_alu instid0(VALU_DEP_1) | instskip(SKIP_4) | instid1(VALU_DEP_1)
	v_mov_b32_e32 v121, v117
	ds_load_2addr_b64 v[116:119], v110 offset0:42 offset1:43
	v_pk_add_f32 v[10:11], v[10:11], v[120:121] neg_lo:[0,1] neg_hi:[0,1]
	s_wait_dscnt 0x0
	v_pk_mul_f32 v[120:121], v[116:117], v[108:109] op_sel:[0,1]
	v_pk_fma_f32 v[122:123], v[116:117], v[106:107], v[120:121] op_sel:[0,0,1] op_sel_hi:[1,1,0] neg_lo:[0,0,1] neg_hi:[0,0,1]
	v_pk_fma_f32 v[116:117], v[116:117], v[106:107], v[120:121] op_sel:[0,0,1] op_sel_hi:[1,0,0]
	s_delay_alu instid0(VALU_DEP_1) | instskip(SKIP_1) | instid1(VALU_DEP_1)
	v_mov_b32_e32 v123, v117
	v_pk_mul_f32 v[116:117], v[118:119], v[108:109] op_sel:[0,1]
	v_pk_fma_f32 v[120:121], v[118:119], v[106:107], v[116:117] op_sel:[0,0,1] op_sel_hi:[1,1,0] neg_lo:[0,0,1] neg_hi:[0,0,1]
	v_pk_fma_f32 v[116:117], v[118:119], v[106:107], v[116:117] op_sel:[0,0,1] op_sel_hi:[1,0,0]
	s_delay_alu instid0(VALU_DEP_1)
	v_mov_b32_e32 v121, v117
	ds_load_2addr_b64 v[116:119], v110 offset0:44 offset1:45
	v_pk_add_f32 v[12:13], v[12:13], v[122:123] neg_lo:[0,1] neg_hi:[0,1]
	v_pk_add_f32 v[8:9], v[8:9], v[120:121] neg_lo:[0,1] neg_hi:[0,1]
	s_wait_dscnt 0x0
	v_pk_mul_f32 v[120:121], v[116:117], v[108:109] op_sel:[0,1]
	s_delay_alu instid0(VALU_DEP_1) | instskip(SKIP_1) | instid1(VALU_DEP_1)
	v_pk_fma_f32 v[122:123], v[116:117], v[106:107], v[120:121] op_sel:[0,0,1] op_sel_hi:[1,1,0] neg_lo:[0,0,1] neg_hi:[0,0,1]
	v_pk_fma_f32 v[116:117], v[116:117], v[106:107], v[120:121] op_sel:[0,0,1] op_sel_hi:[1,0,0]
	v_mov_b32_e32 v123, v117
	v_pk_mul_f32 v[116:117], v[118:119], v[108:109] op_sel:[0,1]
	s_delay_alu instid0(VALU_DEP_1) | instskip(SKIP_1) | instid1(VALU_DEP_1)
	v_pk_fma_f32 v[120:121], v[118:119], v[106:107], v[116:117] op_sel:[0,0,1] op_sel_hi:[1,1,0] neg_lo:[0,0,1] neg_hi:[0,0,1]
	v_pk_fma_f32 v[116:117], v[118:119], v[106:107], v[116:117] op_sel:[0,0,1] op_sel_hi:[1,0,0]
	v_mov_b32_e32 v121, v117
	ds_load_2addr_b64 v[116:119], v110 offset0:46 offset1:47
	v_pk_add_f32 v[70:71], v[70:71], v[122:123] neg_lo:[0,1] neg_hi:[0,1]
	v_pk_add_f32 v[6:7], v[6:7], v[120:121] neg_lo:[0,1] neg_hi:[0,1]
	s_wait_dscnt 0x0
	v_dual_mul_f32 v120, v117, v109 :: v_dual_mul_f32 v122, v117, v106
	s_delay_alu instid0(VALU_DEP_1) | instskip(NEXT) | instid1(VALU_DEP_2)
	v_pk_fma_f32 v[120:121], v[116:117], v[40:41], v[120:121] op_sel_hi:[1,1,0] neg_lo:[0,0,1] neg_hi:[0,0,1]
	v_pk_fma_f32 v[116:117], v[116:117], v[40:41], v[122:123] op_sel:[1,0,0] op_sel_hi:[0,1,0]
	s_delay_alu instid0(VALU_DEP_1) | instskip(SKIP_1) | instid1(VALU_DEP_2)
	v_mov_b32_e32 v121, v117
	v_pk_mul_f32 v[116:117], v[118:119], v[108:109] op_sel:[0,1]
	v_pk_add_f32 v[46:47], v[46:47], v[120:121] neg_lo:[0,1] neg_hi:[0,1]
	s_delay_alu instid0(VALU_DEP_2) | instskip(SKIP_1) | instid1(VALU_DEP_1)
	v_pk_fma_f32 v[120:121], v[118:119], v[106:107], v[116:117] op_sel:[0,0,1] op_sel_hi:[1,1,0] neg_lo:[0,0,1] neg_hi:[0,0,1]
	v_pk_fma_f32 v[116:117], v[118:119], v[106:107], v[116:117] op_sel:[0,0,1] op_sel_hi:[1,0,0]
	v_mov_b32_e32 v121, v117
	ds_load_2addr_b64 v[116:119], v110 offset0:48 offset1:49
	v_pk_add_f32 v[28:29], v[28:29], v[120:121] neg_lo:[0,1] neg_hi:[0,1]
	s_wait_dscnt 0x0
	v_pk_mul_f32 v[120:121], v[116:117], v[108:109] op_sel:[0,1]
	v_mul_f32_e32 v108, v119, v109
	s_delay_alu instid0(VALU_DEP_2) | instskip(SKIP_2) | instid1(VALU_DEP_4)
	v_pk_fma_f32 v[122:123], v[116:117], v[106:107], v[120:121] op_sel:[0,0,1] op_sel_hi:[1,1,0] neg_lo:[0,0,1] neg_hi:[0,0,1]
	v_pk_fma_f32 v[116:117], v[116:117], v[106:107], v[120:121] op_sel:[0,0,1] op_sel_hi:[1,0,0]
	v_dual_mov_b32 v116, v119 :: v_dual_mul_f32 v106, v119, v106
	v_pk_fma_f32 v[108:109], v[118:119], v[40:41], v[108:109] op_sel_hi:[1,1,0] neg_lo:[0,0,1] neg_hi:[0,0,1]
	s_delay_alu instid0(VALU_DEP_3) | instskip(NEXT) | instid1(VALU_DEP_1)
	v_dual_mov_b32 v123, v117 :: v_dual_mov_b32 v117, v118
	v_pk_add_f32 v[14:15], v[14:15], v[122:123] neg_lo:[0,1] neg_hi:[0,1]
	s_delay_alu instid0(VALU_DEP_2) | instskip(NEXT) | instid1(VALU_DEP_1)
	v_pk_fma_f32 v[106:107], v[116:117], v[40:41], v[106:107] op_sel_hi:[1,1,0]
	v_mov_b32_e32 v109, v107
	s_delay_alu instid0(VALU_DEP_1)
	v_pk_add_f32 v[104:105], v[104:105], v[108:109] neg_lo:[0,1] neg_hi:[0,1]
.LBB98_167:
	s_or_b32 exec_lo, exec_lo, s0
	v_lshl_add_u32 v106, v114, 3, v110
	s_barrier_signal -1
	s_barrier_wait -1
	ds_store_b64 v106, v[88:89]
	s_wait_dscnt 0x0
	s_barrier_signal -1
	s_barrier_wait -1
	ds_load_b64 v[108:109], v110 offset:64
	v_mov_b32_e32 v106, 8
	s_cmp_lt_i32 s18, 10
	s_cbranch_scc1 .LBB98_170
; %bb.168:
	v_add3_u32 v107, v111, 0, 0x48
	v_mov_b32_e32 v106, 8
	s_mov_b32 s0, 9
.LBB98_169:                             ; =>This Inner Loop Header: Depth=1
	ds_load_b64 v[116:117], v107
	s_wait_dscnt 0x1
	v_cmp_gt_f32_e32 vcc_lo, 0, v108
	v_cndmask_b32_e64 v118, v108, -v108, vcc_lo
	v_cmp_gt_f32_e32 vcc_lo, 0, v109
	v_cndmask_b32_e64 v120, v109, -v109, vcc_lo
	s_wait_dscnt 0x0
	v_cmp_gt_f32_e32 vcc_lo, 0, v116
	v_cndmask_b32_e64 v119, v116, -v116, vcc_lo
	v_cmp_gt_f32_e32 vcc_lo, 0, v117
	v_cndmask_b32_e64 v121, v117, -v117, vcc_lo
	s_delay_alu instid0(VALU_DEP_1) | instskip(NEXT) | instid1(VALU_DEP_1)
	v_pk_add_f32 v[118:119], v[118:119], v[120:121]
	v_cmp_lt_f32_e32 vcc_lo, v118, v119
	v_dual_add_nc_u32 v107, 8, v107 :: v_dual_cndmask_b32 v109, v109, v117, vcc_lo
	v_cndmask_b32_e32 v108, v108, v116, vcc_lo
	v_cndmask_b32_e64 v106, v106, s0, vcc_lo
	s_add_co_i32 s0, s0, 1
	s_delay_alu instid0(SALU_CYCLE_1)
	s_cmp_lg_u32 s18, s0
	s_cbranch_scc1 .LBB98_169
.LBB98_170:
	s_wait_dscnt 0x0
	v_cmp_eq_f32_e32 vcc_lo, 0, v108
	v_cmp_eq_f32_e64 s0, 0, v109
	s_and_b32 s0, vcc_lo, s0
	s_delay_alu instid0(SALU_CYCLE_1) | instskip(NEXT) | instid1(SALU_CYCLE_1)
	s_and_saveexec_b32 s1, s0
	s_xor_b32 s0, exec_lo, s1
; %bb.171:
	v_cmp_ne_u32_e32 vcc_lo, 0, v112
	v_cndmask_b32_e32 v112, 9, v112, vcc_lo
; %bb.172:
	s_and_not1_saveexec_b32 s0, s0
	s_cbranch_execz .LBB98_178
; %bb.173:
	v_cmp_ngt_f32_e64 s1, |v108|, |v109|
	s_and_saveexec_b32 s12, s1
	s_delay_alu instid0(SALU_CYCLE_1)
	s_xor_b32 s1, exec_lo, s12
	s_cbranch_execz .LBB98_175
; %bb.174:
	v_div_scale_f32 v107, null, v109, v109, v108
	v_div_scale_f32 v117, vcc_lo, v108, v109, v108
	s_delay_alu instid0(VALU_DEP_2) | instskip(SKIP_1) | instid1(TRANS32_DEP_1)
	v_rcp_f32_e32 v115, v107
	v_nop
	v_fma_f32 v116, -v107, v115, 1.0
	s_delay_alu instid0(VALU_DEP_1) | instskip(NEXT) | instid1(VALU_DEP_1)
	v_fmac_f32_e32 v115, v116, v115
	v_mul_f32_e32 v116, v117, v115
	s_delay_alu instid0(VALU_DEP_1) | instskip(NEXT) | instid1(VALU_DEP_1)
	v_fma_f32 v118, -v107, v116, v117
	v_fmac_f32_e32 v116, v118, v115
	s_delay_alu instid0(VALU_DEP_1) | instskip(NEXT) | instid1(VALU_DEP_1)
	v_fma_f32 v107, -v107, v116, v117
	v_div_fmas_f32 v107, v107, v115, v116
	s_delay_alu instid0(VALU_DEP_1) | instskip(NEXT) | instid1(VALU_DEP_1)
	v_div_fixup_f32 v107, v107, v109, v108
	v_fmac_f32_e32 v109, v108, v107
	s_delay_alu instid0(VALU_DEP_1) | instskip(SKIP_1) | instid1(VALU_DEP_2)
	v_div_scale_f32 v108, null, v109, v109, 1.0
	v_div_scale_f32 v117, vcc_lo, 1.0, v109, 1.0
	v_rcp_f32_e32 v115, v108
	v_nop
	s_delay_alu instid0(TRANS32_DEP_1) | instskip(NEXT) | instid1(VALU_DEP_1)
	v_fma_f32 v116, -v108, v115, 1.0
	v_fmac_f32_e32 v115, v116, v115
	s_delay_alu instid0(VALU_DEP_1) | instskip(NEXT) | instid1(VALU_DEP_1)
	v_mul_f32_e32 v116, v117, v115
	v_fma_f32 v118, -v108, v116, v117
	s_delay_alu instid0(VALU_DEP_1) | instskip(NEXT) | instid1(VALU_DEP_1)
	v_fmac_f32_e32 v116, v118, v115
	v_fma_f32 v108, -v108, v116, v117
	s_delay_alu instid0(VALU_DEP_1) | instskip(NEXT) | instid1(VALU_DEP_1)
	v_div_fmas_f32 v108, v108, v115, v116
	v_div_fixup_f32 v109, v108, v109, 1.0
	s_delay_alu instid0(VALU_DEP_1)
	v_mul_f32_e32 v108, v107, v109
	v_xor_b32_e32 v109, 0x80000000, v109
.LBB98_175:
	s_and_not1_saveexec_b32 s1, s1
	s_cbranch_execz .LBB98_177
; %bb.176:
	s_delay_alu instid0(VALU_DEP_1) | instskip(SKIP_1) | instid1(VALU_DEP_2)
	v_div_scale_f32 v107, null, v108, v108, v109
	v_div_scale_f32 v117, vcc_lo, v109, v108, v109
	v_rcp_f32_e32 v115, v107
	v_nop
	s_delay_alu instid0(TRANS32_DEP_1) | instskip(NEXT) | instid1(VALU_DEP_1)
	v_fma_f32 v116, -v107, v115, 1.0
	v_fmac_f32_e32 v115, v116, v115
	s_delay_alu instid0(VALU_DEP_1) | instskip(NEXT) | instid1(VALU_DEP_1)
	v_mul_f32_e32 v116, v117, v115
	v_fma_f32 v118, -v107, v116, v117
	s_delay_alu instid0(VALU_DEP_1) | instskip(NEXT) | instid1(VALU_DEP_1)
	v_fmac_f32_e32 v116, v118, v115
	v_fma_f32 v107, -v107, v116, v117
	s_delay_alu instid0(VALU_DEP_1) | instskip(NEXT) | instid1(VALU_DEP_1)
	v_div_fmas_f32 v107, v107, v115, v116
	v_div_fixup_f32 v107, v107, v108, v109
	s_delay_alu instid0(VALU_DEP_1) | instskip(NEXT) | instid1(VALU_DEP_1)
	v_fmac_f32_e32 v108, v109, v107
	v_div_scale_f32 v109, null, v108, v108, 1.0
	s_delay_alu instid0(VALU_DEP_1) | instskip(SKIP_1) | instid1(TRANS32_DEP_1)
	v_rcp_f32_e32 v115, v109
	v_nop
	v_fma_f32 v116, -v109, v115, 1.0
	s_delay_alu instid0(VALU_DEP_1) | instskip(SKIP_1) | instid1(VALU_DEP_1)
	v_fmac_f32_e32 v115, v116, v115
	v_div_scale_f32 v116, vcc_lo, 1.0, v108, 1.0
	v_mul_f32_e32 v117, v116, v115
	s_delay_alu instid0(VALU_DEP_1) | instskip(NEXT) | instid1(VALU_DEP_1)
	v_fma_f32 v118, -v109, v117, v116
	v_fmac_f32_e32 v117, v118, v115
	s_delay_alu instid0(VALU_DEP_1) | instskip(NEXT) | instid1(VALU_DEP_1)
	v_fma_f32 v109, -v109, v117, v116
	v_div_fmas_f32 v109, v109, v115, v117
	s_delay_alu instid0(VALU_DEP_1) | instskip(NEXT) | instid1(VALU_DEP_1)
	v_div_fixup_f32 v108, v109, v108, 1.0
	v_mul_f32_e64 v109, v107, -v108
.LBB98_177:
	s_or_b32 exec_lo, exec_lo, s1
.LBB98_178:
	s_delay_alu instid0(SALU_CYCLE_1) | instskip(NEXT) | instid1(SALU_CYCLE_1)
	s_or_b32 exec_lo, exec_lo, s0
	s_mov_b32 s0, exec_lo
	v_cmpx_ne_u32_e64 v114, v106
	s_xor_b32 s0, exec_lo, s0
	s_cbranch_execz .LBB98_184
; %bb.179:
	s_mov_b32 s1, exec_lo
	v_cmpx_eq_u32_e32 8, v114
	s_cbranch_execz .LBB98_183
; %bb.180:
	v_cmp_ne_u32_e32 vcc_lo, 8, v106
	s_xor_b32 s12, s16, -1
	s_delay_alu instid0(SALU_CYCLE_1) | instskip(NEXT) | instid1(SALU_CYCLE_1)
	s_and_b32 s13, s12, vcc_lo
	s_and_saveexec_b32 s12, s13
	s_cbranch_execz .LBB98_182
; %bb.181:
	v_ashrrev_i32_e32 v107, 31, v106
	s_delay_alu instid0(VALU_DEP_1)
	v_lshl_add_u64 v[114:115], v[106:107], 2, v[4:5]
	s_clause 0x1
	global_load_b32 v107, v[114:115], off
	global_load_b32 v113, v[4:5], off offset:32
	s_wait_loadcnt 0x1
	global_store_b32 v[4:5], v107, off offset:32
	s_wait_loadcnt 0x0
	global_store_b32 v[114:115], v113, off
.LBB98_182:
	s_wait_xcnt 0x0
	s_or_b32 exec_lo, exec_lo, s12
	v_dual_mov_b32 v114, v106 :: v_dual_mov_b32 v113, v106
.LBB98_183:
	s_or_b32 exec_lo, exec_lo, s1
.LBB98_184:
	s_and_not1_saveexec_b32 s0, s0
	s_cbranch_execz .LBB98_186
; %bb.185:
	v_mov_b32_e32 v114, 8
	ds_store_2addr_b64 v110, v[50:51], v[52:53] offset0:9 offset1:10
	ds_store_2addr_b64 v110, v[48:49], v[94:95] offset0:11 offset1:12
	;; [unrolled: 1-line block ×20, first 2 shown]
	ds_store_b64 v110, v[104:105] offset:392
.LBB98_186:
	s_or_b32 exec_lo, exec_lo, s0
	s_delay_alu instid0(SALU_CYCLE_1)
	s_mov_b32 s0, exec_lo
	s_wait_storecnt_dscnt 0x0
	s_barrier_signal -1
	s_barrier_wait -1
	v_cmpx_lt_i32_e32 8, v114
	s_cbranch_execz .LBB98_188
; %bb.187:
	v_pk_mul_f32 v[116:117], v[108:109], v[88:89] op_sel:[1,1] op_sel_hi:[0,1]
	s_delay_alu instid0(VALU_DEP_1)
	v_pk_fma_f32 v[106:107], v[108:109], v[88:89], v[116:117] op_sel_hi:[1,0,1] neg_lo:[0,0,1] neg_hi:[0,0,1]
	v_pk_fma_f32 v[108:109], v[108:109], v[88:89], v[116:117] op_sel_hi:[1,0,1]
	ds_load_2addr_b64 v[116:119], v110 offset0:9 offset1:10
	v_dual_mov_b32 v88, v106 :: v_dual_mov_b32 v89, v109
	s_wait_dscnt 0x0
	v_pk_mul_f32 v[120:121], v[116:117], v[108:109] op_sel:[0,1]
	s_delay_alu instid0(VALU_DEP_1) | instskip(SKIP_1) | instid1(VALU_DEP_1)
	v_pk_fma_f32 v[122:123], v[116:117], v[106:107], v[120:121] op_sel:[0,0,1] op_sel_hi:[1,1,0] neg_lo:[0,0,1] neg_hi:[0,0,1]
	v_pk_fma_f32 v[116:117], v[116:117], v[106:107], v[120:121] op_sel:[0,0,1] op_sel_hi:[1,0,0]
	v_mov_b32_e32 v123, v117
	v_pk_mul_f32 v[116:117], v[118:119], v[108:109] op_sel:[0,1]
	s_delay_alu instid0(VALU_DEP_1) | instskip(SKIP_1) | instid1(VALU_DEP_1)
	v_pk_fma_f32 v[120:121], v[118:119], v[106:107], v[116:117] op_sel:[0,0,1] op_sel_hi:[1,1,0] neg_lo:[0,0,1] neg_hi:[0,0,1]
	v_pk_fma_f32 v[116:117], v[118:119], v[106:107], v[116:117] op_sel:[0,0,1] op_sel_hi:[1,0,0]
	v_mov_b32_e32 v121, v117
	ds_load_2addr_b64 v[116:119], v110 offset0:11 offset1:12
	v_pk_add_f32 v[50:51], v[50:51], v[122:123] neg_lo:[0,1] neg_hi:[0,1]
	v_pk_add_f32 v[52:53], v[52:53], v[120:121] neg_lo:[0,1] neg_hi:[0,1]
	s_wait_dscnt 0x0
	v_pk_mul_f32 v[120:121], v[116:117], v[108:109] op_sel:[0,1]
	s_delay_alu instid0(VALU_DEP_1) | instskip(SKIP_2) | instid1(VALU_DEP_2)
	v_pk_fma_f32 v[122:123], v[116:117], v[106:107], v[120:121] op_sel:[0,0,1] op_sel_hi:[1,1,0] neg_lo:[0,0,1] neg_hi:[0,0,1]
	v_pk_fma_f32 v[116:117], v[116:117], v[106:107], v[120:121] op_sel:[0,0,1] op_sel_hi:[1,0,0]
	v_dual_mul_f32 v120, v119, v109 :: v_dual_mov_b32 v116, v119
	v_dual_mov_b32 v123, v117 :: v_dual_mov_b32 v117, v118
	s_delay_alu instid0(VALU_DEP_2) | instskip(SKIP_1) | instid1(VALU_DEP_3)
	v_pk_fma_f32 v[120:121], v[118:119], v[88:89], v[120:121] op_sel_hi:[1,1,0] neg_lo:[0,0,1] neg_hi:[0,0,1]
	v_mul_f32_e32 v118, v119, v106
	v_pk_add_f32 v[48:49], v[48:49], v[122:123] neg_lo:[0,1] neg_hi:[0,1]
	s_delay_alu instid0(VALU_DEP_2) | instskip(NEXT) | instid1(VALU_DEP_1)
	v_pk_fma_f32 v[116:117], v[116:117], v[88:89], v[118:119] op_sel_hi:[1,1,0]
	v_mov_b32_e32 v121, v117
	ds_load_2addr_b64 v[116:119], v110 offset0:13 offset1:14
	v_pk_add_f32 v[94:95], v[94:95], v[120:121] neg_lo:[0,1] neg_hi:[0,1]
	s_wait_dscnt 0x0
	v_pk_mul_f32 v[120:121], v[116:117], v[108:109] op_sel:[0,1]
	s_delay_alu instid0(VALU_DEP_1) | instskip(SKIP_1) | instid1(VALU_DEP_1)
	v_pk_fma_f32 v[122:123], v[116:117], v[106:107], v[120:121] op_sel:[0,0,1] op_sel_hi:[1,1,0] neg_lo:[0,0,1] neg_hi:[0,0,1]
	v_pk_fma_f32 v[116:117], v[116:117], v[106:107], v[120:121] op_sel:[0,0,1] op_sel_hi:[1,0,0]
	v_mov_b32_e32 v123, v117
	v_pk_mul_f32 v[116:117], v[118:119], v[108:109] op_sel:[0,1]
	s_delay_alu instid0(VALU_DEP_1) | instskip(SKIP_1) | instid1(VALU_DEP_1)
	v_pk_fma_f32 v[120:121], v[118:119], v[106:107], v[116:117] op_sel:[0,0,1] op_sel_hi:[1,1,0] neg_lo:[0,0,1] neg_hi:[0,0,1]
	v_pk_fma_f32 v[116:117], v[118:119], v[106:107], v[116:117] op_sel:[0,0,1] op_sel_hi:[1,0,0]
	v_mov_b32_e32 v121, v117
	ds_load_2addr_b64 v[116:119], v110 offset0:15 offset1:16
	v_pk_add_f32 v[68:69], v[68:69], v[122:123] neg_lo:[0,1] neg_hi:[0,1]
	v_pk_add_f32 v[72:73], v[72:73], v[120:121] neg_lo:[0,1] neg_hi:[0,1]
	s_wait_dscnt 0x0
	v_pk_mul_f32 v[120:121], v[116:117], v[108:109] op_sel:[0,1]
	s_delay_alu instid0(VALU_DEP_1) | instskip(SKIP_1) | instid1(VALU_DEP_1)
	v_pk_fma_f32 v[122:123], v[116:117], v[106:107], v[120:121] op_sel:[0,0,1] op_sel_hi:[1,1,0] neg_lo:[0,0,1] neg_hi:[0,0,1]
	v_pk_fma_f32 v[116:117], v[116:117], v[106:107], v[120:121] op_sel:[0,0,1] op_sel_hi:[1,0,0]
	v_mov_b32_e32 v123, v117
	v_pk_mul_f32 v[116:117], v[118:119], v[108:109] op_sel:[0,1]
	s_delay_alu instid0(VALU_DEP_1) | instskip(SKIP_1) | instid1(VALU_DEP_1)
	v_pk_fma_f32 v[120:121], v[118:119], v[106:107], v[116:117] op_sel:[0,0,1] op_sel_hi:[1,1,0] neg_lo:[0,0,1] neg_hi:[0,0,1]
	v_pk_fma_f32 v[116:117], v[118:119], v[106:107], v[116:117] op_sel:[0,0,1] op_sel_hi:[1,0,0]
	v_mov_b32_e32 v121, v117
	ds_load_2addr_b64 v[116:119], v110 offset0:17 offset1:18
	v_pk_add_f32 v[66:67], v[66:67], v[122:123] neg_lo:[0,1] neg_hi:[0,1]
	v_pk_add_f32 v[92:93], v[92:93], v[120:121] neg_lo:[0,1] neg_hi:[0,1]
	s_wait_dscnt 0x0
	v_dual_mul_f32 v120, v117, v109 :: v_dual_mul_f32 v122, v117, v106
	s_delay_alu instid0(VALU_DEP_1) | instskip(NEXT) | instid1(VALU_DEP_2)
	v_pk_fma_f32 v[120:121], v[116:117], v[88:89], v[120:121] op_sel_hi:[1,1,0] neg_lo:[0,0,1] neg_hi:[0,0,1]
	v_pk_fma_f32 v[116:117], v[116:117], v[88:89], v[122:123] op_sel:[1,0,0] op_sel_hi:[0,1,0]
	s_delay_alu instid0(VALU_DEP_1) | instskip(SKIP_1) | instid1(VALU_DEP_2)
	v_mov_b32_e32 v121, v117
	v_pk_mul_f32 v[116:117], v[118:119], v[108:109] op_sel:[0,1]
	v_pk_add_f32 v[62:63], v[62:63], v[120:121] neg_lo:[0,1] neg_hi:[0,1]
	s_delay_alu instid0(VALU_DEP_2) | instskip(SKIP_1) | instid1(VALU_DEP_1)
	v_pk_fma_f32 v[120:121], v[118:119], v[106:107], v[116:117] op_sel:[0,0,1] op_sel_hi:[1,1,0] neg_lo:[0,0,1] neg_hi:[0,0,1]
	v_pk_fma_f32 v[116:117], v[118:119], v[106:107], v[116:117] op_sel:[0,0,1] op_sel_hi:[1,0,0]
	v_mov_b32_e32 v121, v117
	ds_load_2addr_b64 v[116:119], v110 offset0:19 offset1:20
	v_pk_add_f32 v[64:65], v[64:65], v[120:121] neg_lo:[0,1] neg_hi:[0,1]
	s_wait_dscnt 0x0
	v_pk_mul_f32 v[120:121], v[116:117], v[108:109] op_sel:[0,1]
	s_delay_alu instid0(VALU_DEP_1) | instskip(SKIP_1) | instid1(VALU_DEP_1)
	v_pk_fma_f32 v[122:123], v[116:117], v[106:107], v[120:121] op_sel:[0,0,1] op_sel_hi:[1,1,0] neg_lo:[0,0,1] neg_hi:[0,0,1]
	v_pk_fma_f32 v[116:117], v[116:117], v[106:107], v[120:121] op_sel:[0,0,1] op_sel_hi:[1,0,0]
	v_mov_b32_e32 v123, v117
	v_pk_mul_f32 v[116:117], v[118:119], v[108:109] op_sel:[0,1]
	s_delay_alu instid0(VALU_DEP_2) | instskip(NEXT) | instid1(VALU_DEP_2)
	v_pk_add_f32 v[60:61], v[60:61], v[122:123] neg_lo:[0,1] neg_hi:[0,1]
	v_pk_fma_f32 v[120:121], v[118:119], v[106:107], v[116:117] op_sel:[0,0,1] op_sel_hi:[1,1,0] neg_lo:[0,0,1] neg_hi:[0,0,1]
	v_pk_fma_f32 v[116:117], v[118:119], v[106:107], v[116:117] op_sel:[0,0,1] op_sel_hi:[1,0,0]
	s_delay_alu instid0(VALU_DEP_1) | instskip(SKIP_4) | instid1(VALU_DEP_1)
	v_mov_b32_e32 v121, v117
	ds_load_2addr_b64 v[116:119], v110 offset0:21 offset1:22
	v_pk_add_f32 v[90:91], v[90:91], v[120:121] neg_lo:[0,1] neg_hi:[0,1]
	s_wait_dscnt 0x0
	v_pk_mul_f32 v[120:121], v[116:117], v[108:109] op_sel:[0,1]
	v_pk_fma_f32 v[122:123], v[116:117], v[106:107], v[120:121] op_sel:[0,0,1] op_sel_hi:[1,1,0] neg_lo:[0,0,1] neg_hi:[0,0,1]
	v_pk_fma_f32 v[116:117], v[116:117], v[106:107], v[120:121] op_sel:[0,0,1] op_sel_hi:[1,0,0]
	v_dual_mul_f32 v120, v119, v109 :: v_dual_mov_b32 v116, v119
	s_delay_alu instid0(VALU_DEP_2) | instskip(NEXT) | instid1(VALU_DEP_2)
	v_dual_mov_b32 v123, v117 :: v_dual_mov_b32 v117, v118
	v_pk_fma_f32 v[120:121], v[118:119], v[88:89], v[120:121] op_sel_hi:[1,1,0] neg_lo:[0,0,1] neg_hi:[0,0,1]
	v_mul_f32_e32 v118, v119, v106
	s_delay_alu instid0(VALU_DEP_3) | instskip(NEXT) | instid1(VALU_DEP_2)
	v_pk_add_f32 v[56:57], v[56:57], v[122:123] neg_lo:[0,1] neg_hi:[0,1]
	v_pk_fma_f32 v[116:117], v[116:117], v[88:89], v[118:119] op_sel_hi:[1,1,0]
	s_delay_alu instid0(VALU_DEP_1) | instskip(SKIP_4) | instid1(VALU_DEP_1)
	v_mov_b32_e32 v121, v117
	ds_load_2addr_b64 v[116:119], v110 offset0:23 offset1:24
	v_pk_add_f32 v[58:59], v[58:59], v[120:121] neg_lo:[0,1] neg_hi:[0,1]
	s_wait_dscnt 0x0
	v_pk_mul_f32 v[120:121], v[116:117], v[108:109] op_sel:[0,1]
	v_pk_fma_f32 v[122:123], v[116:117], v[106:107], v[120:121] op_sel:[0,0,1] op_sel_hi:[1,1,0] neg_lo:[0,0,1] neg_hi:[0,0,1]
	v_pk_fma_f32 v[116:117], v[116:117], v[106:107], v[120:121] op_sel:[0,0,1] op_sel_hi:[1,0,0]
	s_delay_alu instid0(VALU_DEP_1) | instskip(SKIP_1) | instid1(VALU_DEP_1)
	v_mov_b32_e32 v123, v117
	v_pk_mul_f32 v[116:117], v[118:119], v[108:109] op_sel:[0,1]
	v_pk_fma_f32 v[120:121], v[118:119], v[106:107], v[116:117] op_sel:[0,0,1] op_sel_hi:[1,1,0] neg_lo:[0,0,1] neg_hi:[0,0,1]
	v_pk_fma_f32 v[116:117], v[118:119], v[106:107], v[116:117] op_sel:[0,0,1] op_sel_hi:[1,0,0]
	s_delay_alu instid0(VALU_DEP_1)
	v_mov_b32_e32 v121, v117
	ds_load_2addr_b64 v[116:119], v110 offset0:25 offset1:26
	v_pk_add_f32 v[54:55], v[54:55], v[122:123] neg_lo:[0,1] neg_hi:[0,1]
	v_pk_add_f32 v[86:87], v[86:87], v[120:121] neg_lo:[0,1] neg_hi:[0,1]
	s_wait_dscnt 0x0
	v_pk_mul_f32 v[120:121], v[116:117], v[108:109] op_sel:[0,1]
	s_delay_alu instid0(VALU_DEP_1) | instskip(SKIP_1) | instid1(VALU_DEP_1)
	v_pk_fma_f32 v[122:123], v[116:117], v[106:107], v[120:121] op_sel:[0,0,1] op_sel_hi:[1,1,0] neg_lo:[0,0,1] neg_hi:[0,0,1]
	v_pk_fma_f32 v[116:117], v[116:117], v[106:107], v[120:121] op_sel:[0,0,1] op_sel_hi:[1,0,0]
	v_mov_b32_e32 v123, v117
	v_pk_mul_f32 v[116:117], v[118:119], v[108:109] op_sel:[0,1]
	s_delay_alu instid0(VALU_DEP_1) | instskip(SKIP_1) | instid1(VALU_DEP_1)
	v_pk_fma_f32 v[120:121], v[118:119], v[106:107], v[116:117] op_sel:[0,0,1] op_sel_hi:[1,1,0] neg_lo:[0,0,1] neg_hi:[0,0,1]
	v_pk_fma_f32 v[116:117], v[118:119], v[106:107], v[116:117] op_sel:[0,0,1] op_sel_hi:[1,0,0]
	v_mov_b32_e32 v121, v117
	ds_load_2addr_b64 v[116:119], v110 offset0:27 offset1:28
	v_pk_add_f32 v[38:39], v[38:39], v[122:123] neg_lo:[0,1] neg_hi:[0,1]
	v_pk_add_f32 v[42:43], v[42:43], v[120:121] neg_lo:[0,1] neg_hi:[0,1]
	s_wait_dscnt 0x0
	v_dual_mul_f32 v120, v117, v109 :: v_dual_mul_f32 v122, v117, v106
	s_delay_alu instid0(VALU_DEP_1) | instskip(NEXT) | instid1(VALU_DEP_2)
	v_pk_fma_f32 v[120:121], v[116:117], v[88:89], v[120:121] op_sel_hi:[1,1,0] neg_lo:[0,0,1] neg_hi:[0,0,1]
	v_pk_fma_f32 v[116:117], v[116:117], v[88:89], v[122:123] op_sel:[1,0,0] op_sel_hi:[0,1,0]
	s_delay_alu instid0(VALU_DEP_1) | instskip(SKIP_1) | instid1(VALU_DEP_2)
	v_mov_b32_e32 v121, v117
	v_pk_mul_f32 v[116:117], v[118:119], v[108:109] op_sel:[0,1]
	v_pk_add_f32 v[36:37], v[36:37], v[120:121] neg_lo:[0,1] neg_hi:[0,1]
	s_delay_alu instid0(VALU_DEP_2) | instskip(SKIP_1) | instid1(VALU_DEP_1)
	v_pk_fma_f32 v[120:121], v[118:119], v[106:107], v[116:117] op_sel:[0,0,1] op_sel_hi:[1,1,0] neg_lo:[0,0,1] neg_hi:[0,0,1]
	v_pk_fma_f32 v[116:117], v[118:119], v[106:107], v[116:117] op_sel:[0,0,1] op_sel_hi:[1,0,0]
	v_mov_b32_e32 v121, v117
	ds_load_2addr_b64 v[116:119], v110 offset0:29 offset1:30
	v_pk_add_f32 v[82:83], v[82:83], v[120:121] neg_lo:[0,1] neg_hi:[0,1]
	s_wait_dscnt 0x0
	v_pk_mul_f32 v[120:121], v[116:117], v[108:109] op_sel:[0,1]
	s_delay_alu instid0(VALU_DEP_1) | instskip(SKIP_1) | instid1(VALU_DEP_1)
	v_pk_fma_f32 v[122:123], v[116:117], v[106:107], v[120:121] op_sel:[0,0,1] op_sel_hi:[1,1,0] neg_lo:[0,0,1] neg_hi:[0,0,1]
	v_pk_fma_f32 v[116:117], v[116:117], v[106:107], v[120:121] op_sel:[0,0,1] op_sel_hi:[1,0,0]
	v_mov_b32_e32 v123, v117
	v_pk_mul_f32 v[116:117], v[118:119], v[108:109] op_sel:[0,1]
	s_delay_alu instid0(VALU_DEP_2) | instskip(NEXT) | instid1(VALU_DEP_2)
	v_pk_add_f32 v[32:33], v[32:33], v[122:123] neg_lo:[0,1] neg_hi:[0,1]
	v_pk_fma_f32 v[120:121], v[118:119], v[106:107], v[116:117] op_sel:[0,0,1] op_sel_hi:[1,1,0] neg_lo:[0,0,1] neg_hi:[0,0,1]
	v_pk_fma_f32 v[116:117], v[118:119], v[106:107], v[116:117] op_sel:[0,0,1] op_sel_hi:[1,0,0]
	s_delay_alu instid0(VALU_DEP_1) | instskip(SKIP_4) | instid1(VALU_DEP_1)
	v_mov_b32_e32 v121, v117
	ds_load_2addr_b64 v[116:119], v110 offset0:31 offset1:32
	v_pk_add_f32 v[34:35], v[34:35], v[120:121] neg_lo:[0,1] neg_hi:[0,1]
	s_wait_dscnt 0x0
	v_pk_mul_f32 v[120:121], v[116:117], v[108:109] op_sel:[0,1]
	v_pk_fma_f32 v[122:123], v[116:117], v[106:107], v[120:121] op_sel:[0,0,1] op_sel_hi:[1,1,0] neg_lo:[0,0,1] neg_hi:[0,0,1]
	v_pk_fma_f32 v[116:117], v[116:117], v[106:107], v[120:121] op_sel:[0,0,1] op_sel_hi:[1,0,0]
	v_dual_mul_f32 v120, v119, v109 :: v_dual_mov_b32 v116, v119
	s_delay_alu instid0(VALU_DEP_2) | instskip(NEXT) | instid1(VALU_DEP_2)
	v_dual_mov_b32 v123, v117 :: v_dual_mov_b32 v117, v118
	v_pk_fma_f32 v[120:121], v[118:119], v[88:89], v[120:121] op_sel_hi:[1,1,0] neg_lo:[0,0,1] neg_hi:[0,0,1]
	v_mul_f32_e32 v118, v119, v106
	s_delay_alu instid0(VALU_DEP_3) | instskip(NEXT) | instid1(VALU_DEP_2)
	v_pk_add_f32 v[30:31], v[30:31], v[122:123] neg_lo:[0,1] neg_hi:[0,1]
	v_pk_fma_f32 v[116:117], v[116:117], v[88:89], v[118:119] op_sel_hi:[1,1,0]
	s_delay_alu instid0(VALU_DEP_1) | instskip(SKIP_4) | instid1(VALU_DEP_1)
	v_mov_b32_e32 v121, v117
	ds_load_2addr_b64 v[116:119], v110 offset0:33 offset1:34
	v_pk_add_f32 v[80:81], v[80:81], v[120:121] neg_lo:[0,1] neg_hi:[0,1]
	s_wait_dscnt 0x0
	v_pk_mul_f32 v[120:121], v[116:117], v[108:109] op_sel:[0,1]
	v_pk_fma_f32 v[122:123], v[116:117], v[106:107], v[120:121] op_sel:[0,0,1] op_sel_hi:[1,1,0] neg_lo:[0,0,1] neg_hi:[0,0,1]
	v_pk_fma_f32 v[116:117], v[116:117], v[106:107], v[120:121] op_sel:[0,0,1] op_sel_hi:[1,0,0]
	s_delay_alu instid0(VALU_DEP_1) | instskip(SKIP_1) | instid1(VALU_DEP_1)
	v_mov_b32_e32 v123, v117
	v_pk_mul_f32 v[116:117], v[118:119], v[108:109] op_sel:[0,1]
	v_pk_fma_f32 v[120:121], v[118:119], v[106:107], v[116:117] op_sel:[0,0,1] op_sel_hi:[1,1,0] neg_lo:[0,0,1] neg_hi:[0,0,1]
	v_pk_fma_f32 v[116:117], v[118:119], v[106:107], v[116:117] op_sel:[0,0,1] op_sel_hi:[1,0,0]
	s_delay_alu instid0(VALU_DEP_1)
	v_mov_b32_e32 v121, v117
	ds_load_2addr_b64 v[116:119], v110 offset0:35 offset1:36
	v_pk_add_f32 v[24:25], v[24:25], v[122:123] neg_lo:[0,1] neg_hi:[0,1]
	v_pk_add_f32 v[26:27], v[26:27], v[120:121] neg_lo:[0,1] neg_hi:[0,1]
	s_wait_dscnt 0x0
	v_pk_mul_f32 v[120:121], v[116:117], v[108:109] op_sel:[0,1]
	s_delay_alu instid0(VALU_DEP_1) | instskip(SKIP_1) | instid1(VALU_DEP_1)
	v_pk_fma_f32 v[122:123], v[116:117], v[106:107], v[120:121] op_sel:[0,0,1] op_sel_hi:[1,1,0] neg_lo:[0,0,1] neg_hi:[0,0,1]
	v_pk_fma_f32 v[116:117], v[116:117], v[106:107], v[120:121] op_sel:[0,0,1] op_sel_hi:[1,0,0]
	v_mov_b32_e32 v123, v117
	v_pk_mul_f32 v[116:117], v[118:119], v[108:109] op_sel:[0,1]
	s_delay_alu instid0(VALU_DEP_1) | instskip(SKIP_1) | instid1(VALU_DEP_1)
	v_pk_fma_f32 v[120:121], v[118:119], v[106:107], v[116:117] op_sel:[0,0,1] op_sel_hi:[1,1,0] neg_lo:[0,0,1] neg_hi:[0,0,1]
	v_pk_fma_f32 v[116:117], v[118:119], v[106:107], v[116:117] op_sel:[0,0,1] op_sel_hi:[1,0,0]
	v_mov_b32_e32 v121, v117
	ds_load_2addr_b64 v[116:119], v110 offset0:37 offset1:38
	v_pk_add_f32 v[22:23], v[22:23], v[122:123] neg_lo:[0,1] neg_hi:[0,1]
	v_pk_add_f32 v[78:79], v[78:79], v[120:121] neg_lo:[0,1] neg_hi:[0,1]
	s_wait_dscnt 0x0
	v_dual_mul_f32 v120, v117, v109 :: v_dual_mul_f32 v122, v117, v106
	s_delay_alu instid0(VALU_DEP_1) | instskip(NEXT) | instid1(VALU_DEP_2)
	v_pk_fma_f32 v[120:121], v[116:117], v[88:89], v[120:121] op_sel_hi:[1,1,0] neg_lo:[0,0,1] neg_hi:[0,0,1]
	v_pk_fma_f32 v[116:117], v[116:117], v[88:89], v[122:123] op_sel:[1,0,0] op_sel_hi:[0,1,0]
	s_delay_alu instid0(VALU_DEP_1) | instskip(SKIP_1) | instid1(VALU_DEP_2)
	v_mov_b32_e32 v121, v117
	v_pk_mul_f32 v[116:117], v[118:119], v[108:109] op_sel:[0,1]
	v_pk_add_f32 v[18:19], v[18:19], v[120:121] neg_lo:[0,1] neg_hi:[0,1]
	s_delay_alu instid0(VALU_DEP_2) | instskip(SKIP_1) | instid1(VALU_DEP_1)
	v_pk_fma_f32 v[120:121], v[118:119], v[106:107], v[116:117] op_sel:[0,0,1] op_sel_hi:[1,1,0] neg_lo:[0,0,1] neg_hi:[0,0,1]
	v_pk_fma_f32 v[116:117], v[118:119], v[106:107], v[116:117] op_sel:[0,0,1] op_sel_hi:[1,0,0]
	v_mov_b32_e32 v121, v117
	ds_load_2addr_b64 v[116:119], v110 offset0:39 offset1:40
	v_pk_add_f32 v[20:21], v[20:21], v[120:121] neg_lo:[0,1] neg_hi:[0,1]
	s_wait_dscnt 0x0
	v_pk_mul_f32 v[120:121], v[116:117], v[108:109] op_sel:[0,1]
	s_delay_alu instid0(VALU_DEP_1) | instskip(SKIP_1) | instid1(VALU_DEP_1)
	v_pk_fma_f32 v[122:123], v[116:117], v[106:107], v[120:121] op_sel:[0,0,1] op_sel_hi:[1,1,0] neg_lo:[0,0,1] neg_hi:[0,0,1]
	v_pk_fma_f32 v[116:117], v[116:117], v[106:107], v[120:121] op_sel:[0,0,1] op_sel_hi:[1,0,0]
	v_mov_b32_e32 v123, v117
	v_pk_mul_f32 v[116:117], v[118:119], v[108:109] op_sel:[0,1]
	s_delay_alu instid0(VALU_DEP_2) | instskip(NEXT) | instid1(VALU_DEP_2)
	v_pk_add_f32 v[16:17], v[16:17], v[122:123] neg_lo:[0,1] neg_hi:[0,1]
	v_pk_fma_f32 v[120:121], v[118:119], v[106:107], v[116:117] op_sel:[0,0,1] op_sel_hi:[1,1,0] neg_lo:[0,0,1] neg_hi:[0,0,1]
	v_pk_fma_f32 v[116:117], v[118:119], v[106:107], v[116:117] op_sel:[0,0,1] op_sel_hi:[1,0,0]
	s_delay_alu instid0(VALU_DEP_1) | instskip(SKIP_4) | instid1(VALU_DEP_1)
	v_mov_b32_e32 v121, v117
	ds_load_2addr_b64 v[116:119], v110 offset0:41 offset1:42
	v_pk_add_f32 v[76:77], v[76:77], v[120:121] neg_lo:[0,1] neg_hi:[0,1]
	s_wait_dscnt 0x0
	v_pk_mul_f32 v[120:121], v[116:117], v[108:109] op_sel:[0,1]
	v_pk_fma_f32 v[122:123], v[116:117], v[106:107], v[120:121] op_sel:[0,0,1] op_sel_hi:[1,1,0] neg_lo:[0,0,1] neg_hi:[0,0,1]
	v_pk_fma_f32 v[116:117], v[116:117], v[106:107], v[120:121] op_sel:[0,0,1] op_sel_hi:[1,0,0]
	v_dual_mul_f32 v120, v119, v109 :: v_dual_mov_b32 v116, v119
	s_delay_alu instid0(VALU_DEP_2) | instskip(NEXT) | instid1(VALU_DEP_2)
	v_dual_mov_b32 v123, v117 :: v_dual_mov_b32 v117, v118
	v_pk_fma_f32 v[120:121], v[118:119], v[88:89], v[120:121] op_sel_hi:[1,1,0] neg_lo:[0,0,1] neg_hi:[0,0,1]
	v_mul_f32_e32 v118, v119, v106
	s_delay_alu instid0(VALU_DEP_3) | instskip(NEXT) | instid1(VALU_DEP_2)
	v_pk_add_f32 v[10:11], v[10:11], v[122:123] neg_lo:[0,1] neg_hi:[0,1]
	v_pk_fma_f32 v[116:117], v[116:117], v[88:89], v[118:119] op_sel_hi:[1,1,0]
	s_delay_alu instid0(VALU_DEP_1) | instskip(SKIP_4) | instid1(VALU_DEP_1)
	v_mov_b32_e32 v121, v117
	ds_load_2addr_b64 v[116:119], v110 offset0:43 offset1:44
	v_pk_add_f32 v[12:13], v[12:13], v[120:121] neg_lo:[0,1] neg_hi:[0,1]
	s_wait_dscnt 0x0
	v_pk_mul_f32 v[120:121], v[116:117], v[108:109] op_sel:[0,1]
	v_pk_fma_f32 v[122:123], v[116:117], v[106:107], v[120:121] op_sel:[0,0,1] op_sel_hi:[1,1,0] neg_lo:[0,0,1] neg_hi:[0,0,1]
	v_pk_fma_f32 v[116:117], v[116:117], v[106:107], v[120:121] op_sel:[0,0,1] op_sel_hi:[1,0,0]
	s_delay_alu instid0(VALU_DEP_1) | instskip(SKIP_1) | instid1(VALU_DEP_1)
	v_mov_b32_e32 v123, v117
	v_pk_mul_f32 v[116:117], v[118:119], v[108:109] op_sel:[0,1]
	v_pk_fma_f32 v[120:121], v[118:119], v[106:107], v[116:117] op_sel:[0,0,1] op_sel_hi:[1,1,0] neg_lo:[0,0,1] neg_hi:[0,0,1]
	v_pk_fma_f32 v[116:117], v[118:119], v[106:107], v[116:117] op_sel:[0,0,1] op_sel_hi:[1,0,0]
	s_delay_alu instid0(VALU_DEP_1)
	v_mov_b32_e32 v121, v117
	ds_load_2addr_b64 v[116:119], v110 offset0:45 offset1:46
	v_pk_add_f32 v[8:9], v[8:9], v[122:123] neg_lo:[0,1] neg_hi:[0,1]
	v_pk_add_f32 v[70:71], v[70:71], v[120:121] neg_lo:[0,1] neg_hi:[0,1]
	s_wait_dscnt 0x0
	v_pk_mul_f32 v[120:121], v[116:117], v[108:109] op_sel:[0,1]
	s_delay_alu instid0(VALU_DEP_1) | instskip(SKIP_1) | instid1(VALU_DEP_1)
	v_pk_fma_f32 v[122:123], v[116:117], v[106:107], v[120:121] op_sel:[0,0,1] op_sel_hi:[1,1,0] neg_lo:[0,0,1] neg_hi:[0,0,1]
	v_pk_fma_f32 v[116:117], v[116:117], v[106:107], v[120:121] op_sel:[0,0,1] op_sel_hi:[1,0,0]
	v_mov_b32_e32 v123, v117
	v_pk_mul_f32 v[116:117], v[118:119], v[108:109] op_sel:[0,1]
	s_delay_alu instid0(VALU_DEP_1) | instskip(SKIP_1) | instid1(VALU_DEP_1)
	v_pk_fma_f32 v[120:121], v[118:119], v[106:107], v[116:117] op_sel:[0,0,1] op_sel_hi:[1,1,0] neg_lo:[0,0,1] neg_hi:[0,0,1]
	v_pk_fma_f32 v[116:117], v[118:119], v[106:107], v[116:117] op_sel:[0,0,1] op_sel_hi:[1,0,0]
	v_mov_b32_e32 v121, v117
	ds_load_2addr_b64 v[116:119], v110 offset0:47 offset1:48
	v_pk_add_f32 v[6:7], v[6:7], v[122:123] neg_lo:[0,1] neg_hi:[0,1]
	v_pk_add_f32 v[46:47], v[46:47], v[120:121] neg_lo:[0,1] neg_hi:[0,1]
	s_wait_dscnt 0x0
	v_dual_mul_f32 v120, v117, v109 :: v_dual_mul_f32 v122, v117, v106
	s_delay_alu instid0(VALU_DEP_1) | instskip(NEXT) | instid1(VALU_DEP_2)
	v_pk_fma_f32 v[120:121], v[116:117], v[88:89], v[120:121] op_sel_hi:[1,1,0] neg_lo:[0,0,1] neg_hi:[0,0,1]
	v_pk_fma_f32 v[116:117], v[116:117], v[88:89], v[122:123] op_sel:[1,0,0] op_sel_hi:[0,1,0]
	s_delay_alu instid0(VALU_DEP_1) | instskip(SKIP_1) | instid1(VALU_DEP_2)
	v_mov_b32_e32 v121, v117
	v_pk_mul_f32 v[116:117], v[118:119], v[108:109] op_sel:[0,1]
	v_pk_add_f32 v[28:29], v[28:29], v[120:121] neg_lo:[0,1] neg_hi:[0,1]
	s_delay_alu instid0(VALU_DEP_2) | instskip(SKIP_1) | instid1(VALU_DEP_1)
	v_pk_fma_f32 v[120:121], v[118:119], v[106:107], v[116:117] op_sel:[0,0,1] op_sel_hi:[1,1,0] neg_lo:[0,0,1] neg_hi:[0,0,1]
	v_pk_fma_f32 v[116:117], v[118:119], v[106:107], v[116:117] op_sel:[0,0,1] op_sel_hi:[1,0,0]
	v_mov_b32_e32 v121, v117
	ds_load_b64 v[116:117], v110 offset:392
	v_pk_add_f32 v[14:15], v[14:15], v[120:121] neg_lo:[0,1] neg_hi:[0,1]
	s_wait_dscnt 0x0
	v_pk_mul_f32 v[108:109], v[116:117], v[108:109] op_sel:[0,1]
	s_delay_alu instid0(VALU_DEP_1) | instskip(SKIP_1) | instid1(VALU_DEP_1)
	v_pk_fma_f32 v[118:119], v[116:117], v[106:107], v[108:109] op_sel:[0,0,1] op_sel_hi:[1,1,0] neg_lo:[0,0,1] neg_hi:[0,0,1]
	v_pk_fma_f32 v[106:107], v[116:117], v[106:107], v[108:109] op_sel:[0,0,1] op_sel_hi:[1,0,0]
	v_mov_b32_e32 v119, v107
	s_delay_alu instid0(VALU_DEP_1)
	v_pk_add_f32 v[104:105], v[104:105], v[118:119] neg_lo:[0,1] neg_hi:[0,1]
.LBB98_188:
	s_or_b32 exec_lo, exec_lo, s0
	v_lshl_add_u32 v106, v114, 3, v110
	s_barrier_signal -1
	s_barrier_wait -1
	ds_store_b64 v106, v[50:51]
	s_wait_dscnt 0x0
	s_barrier_signal -1
	s_barrier_wait -1
	ds_load_b64 v[108:109], v110 offset:72
	v_mov_b32_e32 v106, 9
	s_cmp_lt_i32 s18, 11
	s_cbranch_scc1 .LBB98_191
; %bb.189:
	v_add3_u32 v107, v111, 0, 0x50
	v_mov_b32_e32 v106, 9
	s_mov_b32 s0, 10
.LBB98_190:                             ; =>This Inner Loop Header: Depth=1
	ds_load_b64 v[116:117], v107
	s_wait_dscnt 0x1
	v_cmp_gt_f32_e32 vcc_lo, 0, v108
	v_cndmask_b32_e64 v118, v108, -v108, vcc_lo
	v_cmp_gt_f32_e32 vcc_lo, 0, v109
	v_cndmask_b32_e64 v120, v109, -v109, vcc_lo
	s_wait_dscnt 0x0
	v_cmp_gt_f32_e32 vcc_lo, 0, v116
	v_cndmask_b32_e64 v119, v116, -v116, vcc_lo
	v_cmp_gt_f32_e32 vcc_lo, 0, v117
	v_cndmask_b32_e64 v121, v117, -v117, vcc_lo
	s_delay_alu instid0(VALU_DEP_1) | instskip(NEXT) | instid1(VALU_DEP_1)
	v_pk_add_f32 v[118:119], v[118:119], v[120:121]
	v_cmp_lt_f32_e32 vcc_lo, v118, v119
	v_dual_add_nc_u32 v107, 8, v107 :: v_dual_cndmask_b32 v109, v109, v117, vcc_lo
	v_cndmask_b32_e32 v108, v108, v116, vcc_lo
	v_cndmask_b32_e64 v106, v106, s0, vcc_lo
	s_add_co_i32 s0, s0, 1
	s_delay_alu instid0(SALU_CYCLE_1)
	s_cmp_lg_u32 s18, s0
	s_cbranch_scc1 .LBB98_190
.LBB98_191:
	s_wait_dscnt 0x0
	v_cmp_eq_f32_e32 vcc_lo, 0, v108
	v_cmp_eq_f32_e64 s0, 0, v109
	s_and_b32 s0, vcc_lo, s0
	s_delay_alu instid0(SALU_CYCLE_1) | instskip(NEXT) | instid1(SALU_CYCLE_1)
	s_and_saveexec_b32 s1, s0
	s_xor_b32 s0, exec_lo, s1
; %bb.192:
	v_cmp_ne_u32_e32 vcc_lo, 0, v112
	v_cndmask_b32_e32 v112, 10, v112, vcc_lo
; %bb.193:
	s_and_not1_saveexec_b32 s0, s0
	s_cbranch_execz .LBB98_199
; %bb.194:
	v_cmp_ngt_f32_e64 s1, |v108|, |v109|
	s_and_saveexec_b32 s12, s1
	s_delay_alu instid0(SALU_CYCLE_1)
	s_xor_b32 s1, exec_lo, s12
	s_cbranch_execz .LBB98_196
; %bb.195:
	v_div_scale_f32 v107, null, v109, v109, v108
	v_div_scale_f32 v117, vcc_lo, v108, v109, v108
	s_delay_alu instid0(VALU_DEP_2) | instskip(SKIP_1) | instid1(TRANS32_DEP_1)
	v_rcp_f32_e32 v115, v107
	v_nop
	v_fma_f32 v116, -v107, v115, 1.0
	s_delay_alu instid0(VALU_DEP_1) | instskip(NEXT) | instid1(VALU_DEP_1)
	v_fmac_f32_e32 v115, v116, v115
	v_mul_f32_e32 v116, v117, v115
	s_delay_alu instid0(VALU_DEP_1) | instskip(NEXT) | instid1(VALU_DEP_1)
	v_fma_f32 v118, -v107, v116, v117
	v_fmac_f32_e32 v116, v118, v115
	s_delay_alu instid0(VALU_DEP_1) | instskip(NEXT) | instid1(VALU_DEP_1)
	v_fma_f32 v107, -v107, v116, v117
	v_div_fmas_f32 v107, v107, v115, v116
	s_delay_alu instid0(VALU_DEP_1) | instskip(NEXT) | instid1(VALU_DEP_1)
	v_div_fixup_f32 v107, v107, v109, v108
	v_fmac_f32_e32 v109, v108, v107
	s_delay_alu instid0(VALU_DEP_1) | instskip(SKIP_1) | instid1(VALU_DEP_2)
	v_div_scale_f32 v108, null, v109, v109, 1.0
	v_div_scale_f32 v117, vcc_lo, 1.0, v109, 1.0
	v_rcp_f32_e32 v115, v108
	v_nop
	s_delay_alu instid0(TRANS32_DEP_1) | instskip(NEXT) | instid1(VALU_DEP_1)
	v_fma_f32 v116, -v108, v115, 1.0
	v_fmac_f32_e32 v115, v116, v115
	s_delay_alu instid0(VALU_DEP_1) | instskip(NEXT) | instid1(VALU_DEP_1)
	v_mul_f32_e32 v116, v117, v115
	v_fma_f32 v118, -v108, v116, v117
	s_delay_alu instid0(VALU_DEP_1) | instskip(NEXT) | instid1(VALU_DEP_1)
	v_fmac_f32_e32 v116, v118, v115
	v_fma_f32 v108, -v108, v116, v117
	s_delay_alu instid0(VALU_DEP_1) | instskip(NEXT) | instid1(VALU_DEP_1)
	v_div_fmas_f32 v108, v108, v115, v116
	v_div_fixup_f32 v109, v108, v109, 1.0
	s_delay_alu instid0(VALU_DEP_1)
	v_mul_f32_e32 v108, v107, v109
	v_xor_b32_e32 v109, 0x80000000, v109
.LBB98_196:
	s_and_not1_saveexec_b32 s1, s1
	s_cbranch_execz .LBB98_198
; %bb.197:
	s_delay_alu instid0(VALU_DEP_1) | instskip(SKIP_1) | instid1(VALU_DEP_2)
	v_div_scale_f32 v107, null, v108, v108, v109
	v_div_scale_f32 v117, vcc_lo, v109, v108, v109
	v_rcp_f32_e32 v115, v107
	v_nop
	s_delay_alu instid0(TRANS32_DEP_1) | instskip(NEXT) | instid1(VALU_DEP_1)
	v_fma_f32 v116, -v107, v115, 1.0
	v_fmac_f32_e32 v115, v116, v115
	s_delay_alu instid0(VALU_DEP_1) | instskip(NEXT) | instid1(VALU_DEP_1)
	v_mul_f32_e32 v116, v117, v115
	v_fma_f32 v118, -v107, v116, v117
	s_delay_alu instid0(VALU_DEP_1) | instskip(NEXT) | instid1(VALU_DEP_1)
	v_fmac_f32_e32 v116, v118, v115
	v_fma_f32 v107, -v107, v116, v117
	s_delay_alu instid0(VALU_DEP_1) | instskip(NEXT) | instid1(VALU_DEP_1)
	v_div_fmas_f32 v107, v107, v115, v116
	v_div_fixup_f32 v107, v107, v108, v109
	s_delay_alu instid0(VALU_DEP_1) | instskip(NEXT) | instid1(VALU_DEP_1)
	v_fmac_f32_e32 v108, v109, v107
	v_div_scale_f32 v109, null, v108, v108, 1.0
	s_delay_alu instid0(VALU_DEP_1) | instskip(SKIP_1) | instid1(TRANS32_DEP_1)
	v_rcp_f32_e32 v115, v109
	v_nop
	v_fma_f32 v116, -v109, v115, 1.0
	s_delay_alu instid0(VALU_DEP_1) | instskip(SKIP_1) | instid1(VALU_DEP_1)
	v_fmac_f32_e32 v115, v116, v115
	v_div_scale_f32 v116, vcc_lo, 1.0, v108, 1.0
	v_mul_f32_e32 v117, v116, v115
	s_delay_alu instid0(VALU_DEP_1) | instskip(NEXT) | instid1(VALU_DEP_1)
	v_fma_f32 v118, -v109, v117, v116
	v_fmac_f32_e32 v117, v118, v115
	s_delay_alu instid0(VALU_DEP_1) | instskip(NEXT) | instid1(VALU_DEP_1)
	v_fma_f32 v109, -v109, v117, v116
	v_div_fmas_f32 v109, v109, v115, v117
	s_delay_alu instid0(VALU_DEP_1) | instskip(NEXT) | instid1(VALU_DEP_1)
	v_div_fixup_f32 v108, v109, v108, 1.0
	v_mul_f32_e64 v109, v107, -v108
.LBB98_198:
	s_or_b32 exec_lo, exec_lo, s1
.LBB98_199:
	s_delay_alu instid0(SALU_CYCLE_1) | instskip(NEXT) | instid1(SALU_CYCLE_1)
	s_or_b32 exec_lo, exec_lo, s0
	s_mov_b32 s0, exec_lo
	v_cmpx_ne_u32_e64 v114, v106
	s_xor_b32 s0, exec_lo, s0
	s_cbranch_execz .LBB98_205
; %bb.200:
	s_mov_b32 s1, exec_lo
	v_cmpx_eq_u32_e32 9, v114
	s_cbranch_execz .LBB98_204
; %bb.201:
	v_cmp_ne_u32_e32 vcc_lo, 9, v106
	s_xor_b32 s12, s16, -1
	s_delay_alu instid0(SALU_CYCLE_1) | instskip(NEXT) | instid1(SALU_CYCLE_1)
	s_and_b32 s13, s12, vcc_lo
	s_and_saveexec_b32 s12, s13
	s_cbranch_execz .LBB98_203
; %bb.202:
	v_ashrrev_i32_e32 v107, 31, v106
	s_delay_alu instid0(VALU_DEP_1)
	v_lshl_add_u64 v[114:115], v[106:107], 2, v[4:5]
	s_clause 0x1
	global_load_b32 v107, v[114:115], off
	global_load_b32 v113, v[4:5], off offset:36
	s_wait_loadcnt 0x1
	global_store_b32 v[4:5], v107, off offset:36
	s_wait_loadcnt 0x0
	global_store_b32 v[114:115], v113, off
.LBB98_203:
	s_wait_xcnt 0x0
	s_or_b32 exec_lo, exec_lo, s12
	v_dual_mov_b32 v114, v106 :: v_dual_mov_b32 v113, v106
.LBB98_204:
	s_or_b32 exec_lo, exec_lo, s1
.LBB98_205:
	s_and_not1_saveexec_b32 s0, s0
	s_cbranch_execz .LBB98_207
; %bb.206:
	v_dual_mov_b32 v106, v52 :: v_dual_mov_b32 v107, v53
	v_dual_mov_b32 v114, v48 :: v_dual_mov_b32 v115, v49
	ds_store_2addr_b64 v110, v[106:107], v[114:115] offset0:10 offset1:11
	v_dual_mov_b32 v106, v94 :: v_dual_mov_b32 v107, v95
	v_dual_mov_b32 v114, v68 :: v_dual_mov_b32 v115, v69
	ds_store_2addr_b64 v110, v[106:107], v[114:115] offset0:12 offset1:13
	;; [unrolled: 3-line block ×19, first 2 shown]
	v_dual_mov_b32 v106, v14 :: v_dual_mov_b32 v107, v15
	v_mov_b32_e32 v114, 9
	ds_store_2addr_b64 v110, v[106:107], v[104:105] offset0:48 offset1:49
.LBB98_207:
	s_or_b32 exec_lo, exec_lo, s0
	s_delay_alu instid0(SALU_CYCLE_1)
	s_mov_b32 s0, exec_lo
	s_wait_storecnt_dscnt 0x0
	s_barrier_signal -1
	s_barrier_wait -1
	v_cmpx_lt_i32_e32 9, v114
	s_cbranch_execz .LBB98_209
; %bb.208:
	v_pk_mul_f32 v[116:117], v[108:109], v[50:51] op_sel:[1,1] op_sel_hi:[0,1]
	s_delay_alu instid0(VALU_DEP_1)
	v_pk_fma_f32 v[106:107], v[108:109], v[50:51], v[116:117] op_sel_hi:[1,0,1] neg_lo:[0,0,1] neg_hi:[0,0,1]
	v_pk_fma_f32 v[108:109], v[108:109], v[50:51], v[116:117] op_sel_hi:[1,0,1]
	ds_load_2addr_b64 v[116:119], v110 offset0:10 offset1:11
	v_dual_mov_b32 v50, v106 :: v_dual_mov_b32 v51, v109
	s_wait_dscnt 0x0
	v_pk_mul_f32 v[120:121], v[116:117], v[108:109] op_sel:[0,1]
	s_delay_alu instid0(VALU_DEP_1) | instskip(SKIP_1) | instid1(VALU_DEP_1)
	v_pk_fma_f32 v[122:123], v[116:117], v[106:107], v[120:121] op_sel:[0,0,1] op_sel_hi:[1,1,0] neg_lo:[0,0,1] neg_hi:[0,0,1]
	v_pk_fma_f32 v[116:117], v[116:117], v[106:107], v[120:121] op_sel:[0,0,1] op_sel_hi:[1,0,0]
	v_mov_b32_e32 v123, v117
	v_pk_mul_f32 v[116:117], v[118:119], v[108:109] op_sel:[0,1]
	s_delay_alu instid0(VALU_DEP_1) | instskip(SKIP_1) | instid1(VALU_DEP_1)
	v_pk_fma_f32 v[120:121], v[118:119], v[106:107], v[116:117] op_sel:[0,0,1] op_sel_hi:[1,1,0] neg_lo:[0,0,1] neg_hi:[0,0,1]
	v_pk_fma_f32 v[116:117], v[118:119], v[106:107], v[116:117] op_sel:[0,0,1] op_sel_hi:[1,0,0]
	v_mov_b32_e32 v121, v117
	ds_load_2addr_b64 v[116:119], v110 offset0:12 offset1:13
	v_pk_add_f32 v[52:53], v[52:53], v[122:123] neg_lo:[0,1] neg_hi:[0,1]
	v_pk_add_f32 v[48:49], v[48:49], v[120:121] neg_lo:[0,1] neg_hi:[0,1]
	s_wait_dscnt 0x0
	v_pk_mul_f32 v[120:121], v[116:117], v[108:109] op_sel:[0,1]
	s_delay_alu instid0(VALU_DEP_1) | instskip(SKIP_2) | instid1(VALU_DEP_2)
	v_pk_fma_f32 v[122:123], v[116:117], v[106:107], v[120:121] op_sel:[0,0,1] op_sel_hi:[1,1,0] neg_lo:[0,0,1] neg_hi:[0,0,1]
	v_pk_fma_f32 v[116:117], v[116:117], v[106:107], v[120:121] op_sel:[0,0,1] op_sel_hi:[1,0,0]
	v_dual_mul_f32 v120, v119, v109 :: v_dual_mov_b32 v116, v119
	v_dual_mov_b32 v123, v117 :: v_dual_mov_b32 v117, v118
	s_delay_alu instid0(VALU_DEP_2) | instskip(SKIP_1) | instid1(VALU_DEP_3)
	v_pk_fma_f32 v[120:121], v[118:119], v[50:51], v[120:121] op_sel_hi:[1,1,0] neg_lo:[0,0,1] neg_hi:[0,0,1]
	v_mul_f32_e32 v118, v119, v106
	v_pk_add_f32 v[94:95], v[94:95], v[122:123] neg_lo:[0,1] neg_hi:[0,1]
	s_delay_alu instid0(VALU_DEP_2) | instskip(NEXT) | instid1(VALU_DEP_1)
	v_pk_fma_f32 v[116:117], v[116:117], v[50:51], v[118:119] op_sel_hi:[1,1,0]
	v_mov_b32_e32 v121, v117
	ds_load_2addr_b64 v[116:119], v110 offset0:14 offset1:15
	v_pk_add_f32 v[68:69], v[68:69], v[120:121] neg_lo:[0,1] neg_hi:[0,1]
	s_wait_dscnt 0x0
	v_pk_mul_f32 v[120:121], v[116:117], v[108:109] op_sel:[0,1]
	s_delay_alu instid0(VALU_DEP_1) | instskip(SKIP_1) | instid1(VALU_DEP_1)
	v_pk_fma_f32 v[122:123], v[116:117], v[106:107], v[120:121] op_sel:[0,0,1] op_sel_hi:[1,1,0] neg_lo:[0,0,1] neg_hi:[0,0,1]
	v_pk_fma_f32 v[116:117], v[116:117], v[106:107], v[120:121] op_sel:[0,0,1] op_sel_hi:[1,0,0]
	v_mov_b32_e32 v123, v117
	v_pk_mul_f32 v[116:117], v[118:119], v[108:109] op_sel:[0,1]
	s_delay_alu instid0(VALU_DEP_1) | instskip(SKIP_1) | instid1(VALU_DEP_1)
	v_pk_fma_f32 v[120:121], v[118:119], v[106:107], v[116:117] op_sel:[0,0,1] op_sel_hi:[1,1,0] neg_lo:[0,0,1] neg_hi:[0,0,1]
	v_pk_fma_f32 v[116:117], v[118:119], v[106:107], v[116:117] op_sel:[0,0,1] op_sel_hi:[1,0,0]
	v_mov_b32_e32 v121, v117
	ds_load_2addr_b64 v[116:119], v110 offset0:16 offset1:17
	v_pk_add_f32 v[72:73], v[72:73], v[122:123] neg_lo:[0,1] neg_hi:[0,1]
	v_pk_add_f32 v[66:67], v[66:67], v[120:121] neg_lo:[0,1] neg_hi:[0,1]
	s_wait_dscnt 0x0
	v_pk_mul_f32 v[120:121], v[116:117], v[108:109] op_sel:[0,1]
	s_delay_alu instid0(VALU_DEP_1) | instskip(SKIP_1) | instid1(VALU_DEP_1)
	v_pk_fma_f32 v[122:123], v[116:117], v[106:107], v[120:121] op_sel:[0,0,1] op_sel_hi:[1,1,0] neg_lo:[0,0,1] neg_hi:[0,0,1]
	v_pk_fma_f32 v[116:117], v[116:117], v[106:107], v[120:121] op_sel:[0,0,1] op_sel_hi:[1,0,0]
	v_mov_b32_e32 v123, v117
	v_pk_mul_f32 v[116:117], v[118:119], v[108:109] op_sel:[0,1]
	s_delay_alu instid0(VALU_DEP_1) | instskip(SKIP_1) | instid1(VALU_DEP_1)
	v_pk_fma_f32 v[120:121], v[118:119], v[106:107], v[116:117] op_sel:[0,0,1] op_sel_hi:[1,1,0] neg_lo:[0,0,1] neg_hi:[0,0,1]
	v_pk_fma_f32 v[116:117], v[118:119], v[106:107], v[116:117] op_sel:[0,0,1] op_sel_hi:[1,0,0]
	v_mov_b32_e32 v121, v117
	ds_load_2addr_b64 v[116:119], v110 offset0:18 offset1:19
	v_pk_add_f32 v[92:93], v[92:93], v[122:123] neg_lo:[0,1] neg_hi:[0,1]
	v_pk_add_f32 v[62:63], v[62:63], v[120:121] neg_lo:[0,1] neg_hi:[0,1]
	s_wait_dscnt 0x0
	v_dual_mul_f32 v120, v117, v109 :: v_dual_mul_f32 v122, v117, v106
	s_delay_alu instid0(VALU_DEP_1) | instskip(NEXT) | instid1(VALU_DEP_2)
	v_pk_fma_f32 v[120:121], v[116:117], v[50:51], v[120:121] op_sel_hi:[1,1,0] neg_lo:[0,0,1] neg_hi:[0,0,1]
	v_pk_fma_f32 v[116:117], v[116:117], v[50:51], v[122:123] op_sel:[1,0,0] op_sel_hi:[0,1,0]
	s_delay_alu instid0(VALU_DEP_1) | instskip(SKIP_1) | instid1(VALU_DEP_2)
	v_mov_b32_e32 v121, v117
	v_pk_mul_f32 v[116:117], v[118:119], v[108:109] op_sel:[0,1]
	v_pk_add_f32 v[64:65], v[64:65], v[120:121] neg_lo:[0,1] neg_hi:[0,1]
	s_delay_alu instid0(VALU_DEP_2) | instskip(SKIP_1) | instid1(VALU_DEP_1)
	v_pk_fma_f32 v[120:121], v[118:119], v[106:107], v[116:117] op_sel:[0,0,1] op_sel_hi:[1,1,0] neg_lo:[0,0,1] neg_hi:[0,0,1]
	v_pk_fma_f32 v[116:117], v[118:119], v[106:107], v[116:117] op_sel:[0,0,1] op_sel_hi:[1,0,0]
	v_mov_b32_e32 v121, v117
	ds_load_2addr_b64 v[116:119], v110 offset0:20 offset1:21
	v_pk_add_f32 v[60:61], v[60:61], v[120:121] neg_lo:[0,1] neg_hi:[0,1]
	s_wait_dscnt 0x0
	v_pk_mul_f32 v[120:121], v[116:117], v[108:109] op_sel:[0,1]
	s_delay_alu instid0(VALU_DEP_1) | instskip(SKIP_1) | instid1(VALU_DEP_1)
	v_pk_fma_f32 v[122:123], v[116:117], v[106:107], v[120:121] op_sel:[0,0,1] op_sel_hi:[1,1,0] neg_lo:[0,0,1] neg_hi:[0,0,1]
	v_pk_fma_f32 v[116:117], v[116:117], v[106:107], v[120:121] op_sel:[0,0,1] op_sel_hi:[1,0,0]
	v_mov_b32_e32 v123, v117
	v_pk_mul_f32 v[116:117], v[118:119], v[108:109] op_sel:[0,1]
	s_delay_alu instid0(VALU_DEP_2) | instskip(NEXT) | instid1(VALU_DEP_2)
	v_pk_add_f32 v[90:91], v[90:91], v[122:123] neg_lo:[0,1] neg_hi:[0,1]
	v_pk_fma_f32 v[120:121], v[118:119], v[106:107], v[116:117] op_sel:[0,0,1] op_sel_hi:[1,1,0] neg_lo:[0,0,1] neg_hi:[0,0,1]
	v_pk_fma_f32 v[116:117], v[118:119], v[106:107], v[116:117] op_sel:[0,0,1] op_sel_hi:[1,0,0]
	s_delay_alu instid0(VALU_DEP_1) | instskip(SKIP_4) | instid1(VALU_DEP_1)
	v_mov_b32_e32 v121, v117
	ds_load_2addr_b64 v[116:119], v110 offset0:22 offset1:23
	v_pk_add_f32 v[56:57], v[56:57], v[120:121] neg_lo:[0,1] neg_hi:[0,1]
	s_wait_dscnt 0x0
	v_pk_mul_f32 v[120:121], v[116:117], v[108:109] op_sel:[0,1]
	v_pk_fma_f32 v[122:123], v[116:117], v[106:107], v[120:121] op_sel:[0,0,1] op_sel_hi:[1,1,0] neg_lo:[0,0,1] neg_hi:[0,0,1]
	v_pk_fma_f32 v[116:117], v[116:117], v[106:107], v[120:121] op_sel:[0,0,1] op_sel_hi:[1,0,0]
	v_dual_mul_f32 v120, v119, v109 :: v_dual_mov_b32 v116, v119
	s_delay_alu instid0(VALU_DEP_2) | instskip(NEXT) | instid1(VALU_DEP_2)
	v_dual_mov_b32 v123, v117 :: v_dual_mov_b32 v117, v118
	v_pk_fma_f32 v[120:121], v[118:119], v[50:51], v[120:121] op_sel_hi:[1,1,0] neg_lo:[0,0,1] neg_hi:[0,0,1]
	v_mul_f32_e32 v118, v119, v106
	s_delay_alu instid0(VALU_DEP_3) | instskip(NEXT) | instid1(VALU_DEP_2)
	v_pk_add_f32 v[58:59], v[58:59], v[122:123] neg_lo:[0,1] neg_hi:[0,1]
	v_pk_fma_f32 v[116:117], v[116:117], v[50:51], v[118:119] op_sel_hi:[1,1,0]
	s_delay_alu instid0(VALU_DEP_1) | instskip(SKIP_4) | instid1(VALU_DEP_1)
	v_mov_b32_e32 v121, v117
	ds_load_2addr_b64 v[116:119], v110 offset0:24 offset1:25
	v_pk_add_f32 v[54:55], v[54:55], v[120:121] neg_lo:[0,1] neg_hi:[0,1]
	s_wait_dscnt 0x0
	v_pk_mul_f32 v[120:121], v[116:117], v[108:109] op_sel:[0,1]
	v_pk_fma_f32 v[122:123], v[116:117], v[106:107], v[120:121] op_sel:[0,0,1] op_sel_hi:[1,1,0] neg_lo:[0,0,1] neg_hi:[0,0,1]
	v_pk_fma_f32 v[116:117], v[116:117], v[106:107], v[120:121] op_sel:[0,0,1] op_sel_hi:[1,0,0]
	s_delay_alu instid0(VALU_DEP_1) | instskip(SKIP_1) | instid1(VALU_DEP_1)
	v_mov_b32_e32 v123, v117
	v_pk_mul_f32 v[116:117], v[118:119], v[108:109] op_sel:[0,1]
	v_pk_fma_f32 v[120:121], v[118:119], v[106:107], v[116:117] op_sel:[0,0,1] op_sel_hi:[1,1,0] neg_lo:[0,0,1] neg_hi:[0,0,1]
	v_pk_fma_f32 v[116:117], v[118:119], v[106:107], v[116:117] op_sel:[0,0,1] op_sel_hi:[1,0,0]
	s_delay_alu instid0(VALU_DEP_1)
	v_mov_b32_e32 v121, v117
	ds_load_2addr_b64 v[116:119], v110 offset0:26 offset1:27
	v_pk_add_f32 v[86:87], v[86:87], v[122:123] neg_lo:[0,1] neg_hi:[0,1]
	v_pk_add_f32 v[38:39], v[38:39], v[120:121] neg_lo:[0,1] neg_hi:[0,1]
	s_wait_dscnt 0x0
	v_pk_mul_f32 v[120:121], v[116:117], v[108:109] op_sel:[0,1]
	s_delay_alu instid0(VALU_DEP_1) | instskip(SKIP_1) | instid1(VALU_DEP_1)
	v_pk_fma_f32 v[122:123], v[116:117], v[106:107], v[120:121] op_sel:[0,0,1] op_sel_hi:[1,1,0] neg_lo:[0,0,1] neg_hi:[0,0,1]
	v_pk_fma_f32 v[116:117], v[116:117], v[106:107], v[120:121] op_sel:[0,0,1] op_sel_hi:[1,0,0]
	v_mov_b32_e32 v123, v117
	v_pk_mul_f32 v[116:117], v[118:119], v[108:109] op_sel:[0,1]
	s_delay_alu instid0(VALU_DEP_1) | instskip(SKIP_1) | instid1(VALU_DEP_1)
	v_pk_fma_f32 v[120:121], v[118:119], v[106:107], v[116:117] op_sel:[0,0,1] op_sel_hi:[1,1,0] neg_lo:[0,0,1] neg_hi:[0,0,1]
	v_pk_fma_f32 v[116:117], v[118:119], v[106:107], v[116:117] op_sel:[0,0,1] op_sel_hi:[1,0,0]
	v_mov_b32_e32 v121, v117
	ds_load_2addr_b64 v[116:119], v110 offset0:28 offset1:29
	v_pk_add_f32 v[42:43], v[42:43], v[122:123] neg_lo:[0,1] neg_hi:[0,1]
	v_pk_add_f32 v[36:37], v[36:37], v[120:121] neg_lo:[0,1] neg_hi:[0,1]
	s_wait_dscnt 0x0
	v_dual_mul_f32 v120, v117, v109 :: v_dual_mul_f32 v122, v117, v106
	s_delay_alu instid0(VALU_DEP_1) | instskip(NEXT) | instid1(VALU_DEP_2)
	v_pk_fma_f32 v[120:121], v[116:117], v[50:51], v[120:121] op_sel_hi:[1,1,0] neg_lo:[0,0,1] neg_hi:[0,0,1]
	v_pk_fma_f32 v[116:117], v[116:117], v[50:51], v[122:123] op_sel:[1,0,0] op_sel_hi:[0,1,0]
	s_delay_alu instid0(VALU_DEP_1) | instskip(SKIP_1) | instid1(VALU_DEP_2)
	v_mov_b32_e32 v121, v117
	v_pk_mul_f32 v[116:117], v[118:119], v[108:109] op_sel:[0,1]
	v_pk_add_f32 v[82:83], v[82:83], v[120:121] neg_lo:[0,1] neg_hi:[0,1]
	s_delay_alu instid0(VALU_DEP_2) | instskip(SKIP_1) | instid1(VALU_DEP_1)
	v_pk_fma_f32 v[120:121], v[118:119], v[106:107], v[116:117] op_sel:[0,0,1] op_sel_hi:[1,1,0] neg_lo:[0,0,1] neg_hi:[0,0,1]
	v_pk_fma_f32 v[116:117], v[118:119], v[106:107], v[116:117] op_sel:[0,0,1] op_sel_hi:[1,0,0]
	v_mov_b32_e32 v121, v117
	ds_load_2addr_b64 v[116:119], v110 offset0:30 offset1:31
	v_pk_add_f32 v[32:33], v[32:33], v[120:121] neg_lo:[0,1] neg_hi:[0,1]
	s_wait_dscnt 0x0
	v_pk_mul_f32 v[120:121], v[116:117], v[108:109] op_sel:[0,1]
	s_delay_alu instid0(VALU_DEP_1) | instskip(SKIP_1) | instid1(VALU_DEP_1)
	v_pk_fma_f32 v[122:123], v[116:117], v[106:107], v[120:121] op_sel:[0,0,1] op_sel_hi:[1,1,0] neg_lo:[0,0,1] neg_hi:[0,0,1]
	v_pk_fma_f32 v[116:117], v[116:117], v[106:107], v[120:121] op_sel:[0,0,1] op_sel_hi:[1,0,0]
	v_mov_b32_e32 v123, v117
	v_pk_mul_f32 v[116:117], v[118:119], v[108:109] op_sel:[0,1]
	s_delay_alu instid0(VALU_DEP_2) | instskip(NEXT) | instid1(VALU_DEP_2)
	v_pk_add_f32 v[34:35], v[34:35], v[122:123] neg_lo:[0,1] neg_hi:[0,1]
	v_pk_fma_f32 v[120:121], v[118:119], v[106:107], v[116:117] op_sel:[0,0,1] op_sel_hi:[1,1,0] neg_lo:[0,0,1] neg_hi:[0,0,1]
	v_pk_fma_f32 v[116:117], v[118:119], v[106:107], v[116:117] op_sel:[0,0,1] op_sel_hi:[1,0,0]
	s_delay_alu instid0(VALU_DEP_1) | instskip(SKIP_4) | instid1(VALU_DEP_1)
	v_mov_b32_e32 v121, v117
	ds_load_2addr_b64 v[116:119], v110 offset0:32 offset1:33
	v_pk_add_f32 v[30:31], v[30:31], v[120:121] neg_lo:[0,1] neg_hi:[0,1]
	s_wait_dscnt 0x0
	v_pk_mul_f32 v[120:121], v[116:117], v[108:109] op_sel:[0,1]
	v_pk_fma_f32 v[122:123], v[116:117], v[106:107], v[120:121] op_sel:[0,0,1] op_sel_hi:[1,1,0] neg_lo:[0,0,1] neg_hi:[0,0,1]
	v_pk_fma_f32 v[116:117], v[116:117], v[106:107], v[120:121] op_sel:[0,0,1] op_sel_hi:[1,0,0]
	v_dual_mul_f32 v120, v119, v109 :: v_dual_mov_b32 v116, v119
	s_delay_alu instid0(VALU_DEP_2) | instskip(NEXT) | instid1(VALU_DEP_2)
	v_dual_mov_b32 v123, v117 :: v_dual_mov_b32 v117, v118
	v_pk_fma_f32 v[120:121], v[118:119], v[50:51], v[120:121] op_sel_hi:[1,1,0] neg_lo:[0,0,1] neg_hi:[0,0,1]
	v_mul_f32_e32 v118, v119, v106
	s_delay_alu instid0(VALU_DEP_3) | instskip(NEXT) | instid1(VALU_DEP_2)
	v_pk_add_f32 v[80:81], v[80:81], v[122:123] neg_lo:[0,1] neg_hi:[0,1]
	v_pk_fma_f32 v[116:117], v[116:117], v[50:51], v[118:119] op_sel_hi:[1,1,0]
	s_delay_alu instid0(VALU_DEP_1) | instskip(SKIP_4) | instid1(VALU_DEP_1)
	v_mov_b32_e32 v121, v117
	ds_load_2addr_b64 v[116:119], v110 offset0:34 offset1:35
	v_pk_add_f32 v[24:25], v[24:25], v[120:121] neg_lo:[0,1] neg_hi:[0,1]
	s_wait_dscnt 0x0
	v_pk_mul_f32 v[120:121], v[116:117], v[108:109] op_sel:[0,1]
	v_pk_fma_f32 v[122:123], v[116:117], v[106:107], v[120:121] op_sel:[0,0,1] op_sel_hi:[1,1,0] neg_lo:[0,0,1] neg_hi:[0,0,1]
	v_pk_fma_f32 v[116:117], v[116:117], v[106:107], v[120:121] op_sel:[0,0,1] op_sel_hi:[1,0,0]
	s_delay_alu instid0(VALU_DEP_1) | instskip(SKIP_1) | instid1(VALU_DEP_1)
	v_mov_b32_e32 v123, v117
	v_pk_mul_f32 v[116:117], v[118:119], v[108:109] op_sel:[0,1]
	v_pk_fma_f32 v[120:121], v[118:119], v[106:107], v[116:117] op_sel:[0,0,1] op_sel_hi:[1,1,0] neg_lo:[0,0,1] neg_hi:[0,0,1]
	v_pk_fma_f32 v[116:117], v[118:119], v[106:107], v[116:117] op_sel:[0,0,1] op_sel_hi:[1,0,0]
	s_delay_alu instid0(VALU_DEP_1)
	v_mov_b32_e32 v121, v117
	ds_load_2addr_b64 v[116:119], v110 offset0:36 offset1:37
	v_pk_add_f32 v[26:27], v[26:27], v[122:123] neg_lo:[0,1] neg_hi:[0,1]
	v_pk_add_f32 v[22:23], v[22:23], v[120:121] neg_lo:[0,1] neg_hi:[0,1]
	s_wait_dscnt 0x0
	v_pk_mul_f32 v[120:121], v[116:117], v[108:109] op_sel:[0,1]
	s_delay_alu instid0(VALU_DEP_1) | instskip(SKIP_1) | instid1(VALU_DEP_1)
	v_pk_fma_f32 v[122:123], v[116:117], v[106:107], v[120:121] op_sel:[0,0,1] op_sel_hi:[1,1,0] neg_lo:[0,0,1] neg_hi:[0,0,1]
	v_pk_fma_f32 v[116:117], v[116:117], v[106:107], v[120:121] op_sel:[0,0,1] op_sel_hi:[1,0,0]
	v_mov_b32_e32 v123, v117
	v_pk_mul_f32 v[116:117], v[118:119], v[108:109] op_sel:[0,1]
	s_delay_alu instid0(VALU_DEP_1) | instskip(SKIP_1) | instid1(VALU_DEP_1)
	v_pk_fma_f32 v[120:121], v[118:119], v[106:107], v[116:117] op_sel:[0,0,1] op_sel_hi:[1,1,0] neg_lo:[0,0,1] neg_hi:[0,0,1]
	v_pk_fma_f32 v[116:117], v[118:119], v[106:107], v[116:117] op_sel:[0,0,1] op_sel_hi:[1,0,0]
	v_mov_b32_e32 v121, v117
	ds_load_2addr_b64 v[116:119], v110 offset0:38 offset1:39
	v_pk_add_f32 v[78:79], v[78:79], v[122:123] neg_lo:[0,1] neg_hi:[0,1]
	v_pk_add_f32 v[18:19], v[18:19], v[120:121] neg_lo:[0,1] neg_hi:[0,1]
	s_wait_dscnt 0x0
	v_dual_mul_f32 v120, v117, v109 :: v_dual_mul_f32 v122, v117, v106
	s_delay_alu instid0(VALU_DEP_1) | instskip(NEXT) | instid1(VALU_DEP_2)
	v_pk_fma_f32 v[120:121], v[116:117], v[50:51], v[120:121] op_sel_hi:[1,1,0] neg_lo:[0,0,1] neg_hi:[0,0,1]
	v_pk_fma_f32 v[116:117], v[116:117], v[50:51], v[122:123] op_sel:[1,0,0] op_sel_hi:[0,1,0]
	s_delay_alu instid0(VALU_DEP_1) | instskip(SKIP_1) | instid1(VALU_DEP_2)
	v_mov_b32_e32 v121, v117
	v_pk_mul_f32 v[116:117], v[118:119], v[108:109] op_sel:[0,1]
	v_pk_add_f32 v[20:21], v[20:21], v[120:121] neg_lo:[0,1] neg_hi:[0,1]
	s_delay_alu instid0(VALU_DEP_2) | instskip(SKIP_1) | instid1(VALU_DEP_1)
	v_pk_fma_f32 v[120:121], v[118:119], v[106:107], v[116:117] op_sel:[0,0,1] op_sel_hi:[1,1,0] neg_lo:[0,0,1] neg_hi:[0,0,1]
	v_pk_fma_f32 v[116:117], v[118:119], v[106:107], v[116:117] op_sel:[0,0,1] op_sel_hi:[1,0,0]
	v_mov_b32_e32 v121, v117
	ds_load_2addr_b64 v[116:119], v110 offset0:40 offset1:41
	v_pk_add_f32 v[16:17], v[16:17], v[120:121] neg_lo:[0,1] neg_hi:[0,1]
	s_wait_dscnt 0x0
	v_pk_mul_f32 v[120:121], v[116:117], v[108:109] op_sel:[0,1]
	s_delay_alu instid0(VALU_DEP_1) | instskip(SKIP_1) | instid1(VALU_DEP_1)
	v_pk_fma_f32 v[122:123], v[116:117], v[106:107], v[120:121] op_sel:[0,0,1] op_sel_hi:[1,1,0] neg_lo:[0,0,1] neg_hi:[0,0,1]
	v_pk_fma_f32 v[116:117], v[116:117], v[106:107], v[120:121] op_sel:[0,0,1] op_sel_hi:[1,0,0]
	v_mov_b32_e32 v123, v117
	v_pk_mul_f32 v[116:117], v[118:119], v[108:109] op_sel:[0,1]
	s_delay_alu instid0(VALU_DEP_2) | instskip(NEXT) | instid1(VALU_DEP_2)
	v_pk_add_f32 v[76:77], v[76:77], v[122:123] neg_lo:[0,1] neg_hi:[0,1]
	v_pk_fma_f32 v[120:121], v[118:119], v[106:107], v[116:117] op_sel:[0,0,1] op_sel_hi:[1,1,0] neg_lo:[0,0,1] neg_hi:[0,0,1]
	v_pk_fma_f32 v[116:117], v[118:119], v[106:107], v[116:117] op_sel:[0,0,1] op_sel_hi:[1,0,0]
	s_delay_alu instid0(VALU_DEP_1) | instskip(SKIP_4) | instid1(VALU_DEP_1)
	v_mov_b32_e32 v121, v117
	ds_load_2addr_b64 v[116:119], v110 offset0:42 offset1:43
	v_pk_add_f32 v[10:11], v[10:11], v[120:121] neg_lo:[0,1] neg_hi:[0,1]
	s_wait_dscnt 0x0
	v_pk_mul_f32 v[120:121], v[116:117], v[108:109] op_sel:[0,1]
	v_pk_fma_f32 v[122:123], v[116:117], v[106:107], v[120:121] op_sel:[0,0,1] op_sel_hi:[1,1,0] neg_lo:[0,0,1] neg_hi:[0,0,1]
	v_pk_fma_f32 v[116:117], v[116:117], v[106:107], v[120:121] op_sel:[0,0,1] op_sel_hi:[1,0,0]
	v_dual_mul_f32 v120, v119, v109 :: v_dual_mov_b32 v116, v119
	s_delay_alu instid0(VALU_DEP_2) | instskip(NEXT) | instid1(VALU_DEP_2)
	v_dual_mov_b32 v123, v117 :: v_dual_mov_b32 v117, v118
	v_pk_fma_f32 v[120:121], v[118:119], v[50:51], v[120:121] op_sel_hi:[1,1,0] neg_lo:[0,0,1] neg_hi:[0,0,1]
	v_mul_f32_e32 v118, v119, v106
	s_delay_alu instid0(VALU_DEP_3) | instskip(NEXT) | instid1(VALU_DEP_2)
	v_pk_add_f32 v[12:13], v[12:13], v[122:123] neg_lo:[0,1] neg_hi:[0,1]
	v_pk_fma_f32 v[116:117], v[116:117], v[50:51], v[118:119] op_sel_hi:[1,1,0]
	s_delay_alu instid0(VALU_DEP_1) | instskip(SKIP_4) | instid1(VALU_DEP_1)
	v_mov_b32_e32 v121, v117
	ds_load_2addr_b64 v[116:119], v110 offset0:44 offset1:45
	v_pk_add_f32 v[8:9], v[8:9], v[120:121] neg_lo:[0,1] neg_hi:[0,1]
	s_wait_dscnt 0x0
	v_pk_mul_f32 v[120:121], v[116:117], v[108:109] op_sel:[0,1]
	v_pk_fma_f32 v[122:123], v[116:117], v[106:107], v[120:121] op_sel:[0,0,1] op_sel_hi:[1,1,0] neg_lo:[0,0,1] neg_hi:[0,0,1]
	v_pk_fma_f32 v[116:117], v[116:117], v[106:107], v[120:121] op_sel:[0,0,1] op_sel_hi:[1,0,0]
	s_delay_alu instid0(VALU_DEP_1) | instskip(SKIP_1) | instid1(VALU_DEP_1)
	v_mov_b32_e32 v123, v117
	v_pk_mul_f32 v[116:117], v[118:119], v[108:109] op_sel:[0,1]
	v_pk_fma_f32 v[120:121], v[118:119], v[106:107], v[116:117] op_sel:[0,0,1] op_sel_hi:[1,1,0] neg_lo:[0,0,1] neg_hi:[0,0,1]
	v_pk_fma_f32 v[116:117], v[118:119], v[106:107], v[116:117] op_sel:[0,0,1] op_sel_hi:[1,0,0]
	s_delay_alu instid0(VALU_DEP_1)
	v_mov_b32_e32 v121, v117
	ds_load_2addr_b64 v[116:119], v110 offset0:46 offset1:47
	v_pk_add_f32 v[70:71], v[70:71], v[122:123] neg_lo:[0,1] neg_hi:[0,1]
	v_pk_add_f32 v[6:7], v[6:7], v[120:121] neg_lo:[0,1] neg_hi:[0,1]
	s_wait_dscnt 0x0
	v_pk_mul_f32 v[120:121], v[116:117], v[108:109] op_sel:[0,1]
	s_delay_alu instid0(VALU_DEP_1) | instskip(SKIP_1) | instid1(VALU_DEP_1)
	v_pk_fma_f32 v[122:123], v[116:117], v[106:107], v[120:121] op_sel:[0,0,1] op_sel_hi:[1,1,0] neg_lo:[0,0,1] neg_hi:[0,0,1]
	v_pk_fma_f32 v[116:117], v[116:117], v[106:107], v[120:121] op_sel:[0,0,1] op_sel_hi:[1,0,0]
	v_mov_b32_e32 v123, v117
	v_pk_mul_f32 v[116:117], v[118:119], v[108:109] op_sel:[0,1]
	s_delay_alu instid0(VALU_DEP_1) | instskip(SKIP_1) | instid1(VALU_DEP_1)
	v_pk_fma_f32 v[120:121], v[118:119], v[106:107], v[116:117] op_sel:[0,0,1] op_sel_hi:[1,1,0] neg_lo:[0,0,1] neg_hi:[0,0,1]
	v_pk_fma_f32 v[116:117], v[118:119], v[106:107], v[116:117] op_sel:[0,0,1] op_sel_hi:[1,0,0]
	v_mov_b32_e32 v121, v117
	ds_load_2addr_b64 v[116:119], v110 offset0:48 offset1:49
	v_pk_add_f32 v[46:47], v[46:47], v[122:123] neg_lo:[0,1] neg_hi:[0,1]
	v_pk_add_f32 v[28:29], v[28:29], v[120:121] neg_lo:[0,1] neg_hi:[0,1]
	s_wait_dscnt 0x0
	v_dual_mul_f32 v120, v117, v109 :: v_dual_mul_f32 v122, v117, v106
	v_pk_mul_f32 v[108:109], v[118:119], v[108:109] op_sel:[0,1]
	s_delay_alu instid0(VALU_DEP_2) | instskip(NEXT) | instid1(VALU_DEP_3)
	v_pk_fma_f32 v[120:121], v[116:117], v[50:51], v[120:121] op_sel_hi:[1,1,0] neg_lo:[0,0,1] neg_hi:[0,0,1]
	v_pk_fma_f32 v[116:117], v[116:117], v[50:51], v[122:123] op_sel:[1,0,0] op_sel_hi:[0,1,0]
	s_delay_alu instid0(VALU_DEP_1) | instskip(NEXT) | instid1(VALU_DEP_4)
	v_mov_b32_e32 v121, v117
	v_pk_fma_f32 v[116:117], v[118:119], v[106:107], v[108:109] op_sel:[0,0,1] op_sel_hi:[1,1,0] neg_lo:[0,0,1] neg_hi:[0,0,1]
	v_pk_fma_f32 v[106:107], v[118:119], v[106:107], v[108:109] op_sel:[0,0,1] op_sel_hi:[1,0,0]
	s_delay_alu instid0(VALU_DEP_1) | instskip(NEXT) | instid1(VALU_DEP_4)
	v_mov_b32_e32 v117, v107
	v_pk_add_f32 v[14:15], v[14:15], v[120:121] neg_lo:[0,1] neg_hi:[0,1]
	s_delay_alu instid0(VALU_DEP_2)
	v_pk_add_f32 v[104:105], v[104:105], v[116:117] neg_lo:[0,1] neg_hi:[0,1]
.LBB98_209:
	s_or_b32 exec_lo, exec_lo, s0
	v_lshl_add_u32 v106, v114, 3, v110
	s_barrier_signal -1
	s_barrier_wait -1
	ds_store_b64 v106, v[52:53]
	s_wait_dscnt 0x0
	s_barrier_signal -1
	s_barrier_wait -1
	ds_load_b64 v[108:109], v110 offset:80
	v_mov_b32_e32 v106, 10
	s_cmp_lt_i32 s18, 12
	s_cbranch_scc1 .LBB98_212
; %bb.210:
	v_add3_u32 v107, v111, 0, 0x58
	v_mov_b32_e32 v106, 10
	s_mov_b32 s0, 11
.LBB98_211:                             ; =>This Inner Loop Header: Depth=1
	ds_load_b64 v[116:117], v107
	s_wait_dscnt 0x1
	v_cmp_gt_f32_e32 vcc_lo, 0, v108
	v_cndmask_b32_e64 v118, v108, -v108, vcc_lo
	v_cmp_gt_f32_e32 vcc_lo, 0, v109
	v_cndmask_b32_e64 v120, v109, -v109, vcc_lo
	s_wait_dscnt 0x0
	v_cmp_gt_f32_e32 vcc_lo, 0, v116
	v_cndmask_b32_e64 v119, v116, -v116, vcc_lo
	v_cmp_gt_f32_e32 vcc_lo, 0, v117
	v_cndmask_b32_e64 v121, v117, -v117, vcc_lo
	s_delay_alu instid0(VALU_DEP_1) | instskip(NEXT) | instid1(VALU_DEP_1)
	v_pk_add_f32 v[118:119], v[118:119], v[120:121]
	v_cmp_lt_f32_e32 vcc_lo, v118, v119
	v_dual_add_nc_u32 v107, 8, v107 :: v_dual_cndmask_b32 v109, v109, v117, vcc_lo
	v_cndmask_b32_e32 v108, v108, v116, vcc_lo
	v_cndmask_b32_e64 v106, v106, s0, vcc_lo
	s_add_co_i32 s0, s0, 1
	s_delay_alu instid0(SALU_CYCLE_1)
	s_cmp_lg_u32 s18, s0
	s_cbranch_scc1 .LBB98_211
.LBB98_212:
	s_wait_dscnt 0x0
	v_cmp_eq_f32_e32 vcc_lo, 0, v108
	v_cmp_eq_f32_e64 s0, 0, v109
	s_and_b32 s0, vcc_lo, s0
	s_delay_alu instid0(SALU_CYCLE_1) | instskip(NEXT) | instid1(SALU_CYCLE_1)
	s_and_saveexec_b32 s1, s0
	s_xor_b32 s0, exec_lo, s1
; %bb.213:
	v_cmp_ne_u32_e32 vcc_lo, 0, v112
	v_cndmask_b32_e32 v112, 11, v112, vcc_lo
; %bb.214:
	s_and_not1_saveexec_b32 s0, s0
	s_cbranch_execz .LBB98_220
; %bb.215:
	v_cmp_ngt_f32_e64 s1, |v108|, |v109|
	s_and_saveexec_b32 s12, s1
	s_delay_alu instid0(SALU_CYCLE_1)
	s_xor_b32 s1, exec_lo, s12
	s_cbranch_execz .LBB98_217
; %bb.216:
	v_div_scale_f32 v107, null, v109, v109, v108
	v_div_scale_f32 v117, vcc_lo, v108, v109, v108
	s_delay_alu instid0(VALU_DEP_2) | instskip(SKIP_1) | instid1(TRANS32_DEP_1)
	v_rcp_f32_e32 v115, v107
	v_nop
	v_fma_f32 v116, -v107, v115, 1.0
	s_delay_alu instid0(VALU_DEP_1) | instskip(NEXT) | instid1(VALU_DEP_1)
	v_fmac_f32_e32 v115, v116, v115
	v_mul_f32_e32 v116, v117, v115
	s_delay_alu instid0(VALU_DEP_1) | instskip(NEXT) | instid1(VALU_DEP_1)
	v_fma_f32 v118, -v107, v116, v117
	v_fmac_f32_e32 v116, v118, v115
	s_delay_alu instid0(VALU_DEP_1) | instskip(NEXT) | instid1(VALU_DEP_1)
	v_fma_f32 v107, -v107, v116, v117
	v_div_fmas_f32 v107, v107, v115, v116
	s_delay_alu instid0(VALU_DEP_1) | instskip(NEXT) | instid1(VALU_DEP_1)
	v_div_fixup_f32 v107, v107, v109, v108
	v_fmac_f32_e32 v109, v108, v107
	s_delay_alu instid0(VALU_DEP_1) | instskip(SKIP_1) | instid1(VALU_DEP_2)
	v_div_scale_f32 v108, null, v109, v109, 1.0
	v_div_scale_f32 v117, vcc_lo, 1.0, v109, 1.0
	v_rcp_f32_e32 v115, v108
	v_nop
	s_delay_alu instid0(TRANS32_DEP_1) | instskip(NEXT) | instid1(VALU_DEP_1)
	v_fma_f32 v116, -v108, v115, 1.0
	v_fmac_f32_e32 v115, v116, v115
	s_delay_alu instid0(VALU_DEP_1) | instskip(NEXT) | instid1(VALU_DEP_1)
	v_mul_f32_e32 v116, v117, v115
	v_fma_f32 v118, -v108, v116, v117
	s_delay_alu instid0(VALU_DEP_1) | instskip(NEXT) | instid1(VALU_DEP_1)
	v_fmac_f32_e32 v116, v118, v115
	v_fma_f32 v108, -v108, v116, v117
	s_delay_alu instid0(VALU_DEP_1) | instskip(NEXT) | instid1(VALU_DEP_1)
	v_div_fmas_f32 v108, v108, v115, v116
	v_div_fixup_f32 v109, v108, v109, 1.0
	s_delay_alu instid0(VALU_DEP_1)
	v_mul_f32_e32 v108, v107, v109
	v_xor_b32_e32 v109, 0x80000000, v109
.LBB98_217:
	s_and_not1_saveexec_b32 s1, s1
	s_cbranch_execz .LBB98_219
; %bb.218:
	s_delay_alu instid0(VALU_DEP_1) | instskip(SKIP_1) | instid1(VALU_DEP_2)
	v_div_scale_f32 v107, null, v108, v108, v109
	v_div_scale_f32 v117, vcc_lo, v109, v108, v109
	v_rcp_f32_e32 v115, v107
	v_nop
	s_delay_alu instid0(TRANS32_DEP_1) | instskip(NEXT) | instid1(VALU_DEP_1)
	v_fma_f32 v116, -v107, v115, 1.0
	v_fmac_f32_e32 v115, v116, v115
	s_delay_alu instid0(VALU_DEP_1) | instskip(NEXT) | instid1(VALU_DEP_1)
	v_mul_f32_e32 v116, v117, v115
	v_fma_f32 v118, -v107, v116, v117
	s_delay_alu instid0(VALU_DEP_1) | instskip(NEXT) | instid1(VALU_DEP_1)
	v_fmac_f32_e32 v116, v118, v115
	v_fma_f32 v107, -v107, v116, v117
	s_delay_alu instid0(VALU_DEP_1) | instskip(NEXT) | instid1(VALU_DEP_1)
	v_div_fmas_f32 v107, v107, v115, v116
	v_div_fixup_f32 v107, v107, v108, v109
	s_delay_alu instid0(VALU_DEP_1) | instskip(NEXT) | instid1(VALU_DEP_1)
	v_fmac_f32_e32 v108, v109, v107
	v_div_scale_f32 v109, null, v108, v108, 1.0
	s_delay_alu instid0(VALU_DEP_1) | instskip(SKIP_1) | instid1(TRANS32_DEP_1)
	v_rcp_f32_e32 v115, v109
	v_nop
	v_fma_f32 v116, -v109, v115, 1.0
	s_delay_alu instid0(VALU_DEP_1) | instskip(SKIP_1) | instid1(VALU_DEP_1)
	v_fmac_f32_e32 v115, v116, v115
	v_div_scale_f32 v116, vcc_lo, 1.0, v108, 1.0
	v_mul_f32_e32 v117, v116, v115
	s_delay_alu instid0(VALU_DEP_1) | instskip(NEXT) | instid1(VALU_DEP_1)
	v_fma_f32 v118, -v109, v117, v116
	v_fmac_f32_e32 v117, v118, v115
	s_delay_alu instid0(VALU_DEP_1) | instskip(NEXT) | instid1(VALU_DEP_1)
	v_fma_f32 v109, -v109, v117, v116
	v_div_fmas_f32 v109, v109, v115, v117
	s_delay_alu instid0(VALU_DEP_1) | instskip(NEXT) | instid1(VALU_DEP_1)
	v_div_fixup_f32 v108, v109, v108, 1.0
	v_mul_f32_e64 v109, v107, -v108
.LBB98_219:
	s_or_b32 exec_lo, exec_lo, s1
.LBB98_220:
	s_delay_alu instid0(SALU_CYCLE_1) | instskip(NEXT) | instid1(SALU_CYCLE_1)
	s_or_b32 exec_lo, exec_lo, s0
	s_mov_b32 s0, exec_lo
	v_cmpx_ne_u32_e64 v114, v106
	s_xor_b32 s0, exec_lo, s0
	s_cbranch_execz .LBB98_226
; %bb.221:
	s_mov_b32 s1, exec_lo
	v_cmpx_eq_u32_e32 10, v114
	s_cbranch_execz .LBB98_225
; %bb.222:
	v_cmp_ne_u32_e32 vcc_lo, 10, v106
	s_xor_b32 s12, s16, -1
	s_delay_alu instid0(SALU_CYCLE_1) | instskip(NEXT) | instid1(SALU_CYCLE_1)
	s_and_b32 s13, s12, vcc_lo
	s_and_saveexec_b32 s12, s13
	s_cbranch_execz .LBB98_224
; %bb.223:
	v_ashrrev_i32_e32 v107, 31, v106
	s_delay_alu instid0(VALU_DEP_1)
	v_lshl_add_u64 v[114:115], v[106:107], 2, v[4:5]
	s_clause 0x1
	global_load_b32 v107, v[114:115], off
	global_load_b32 v113, v[4:5], off offset:40
	s_wait_loadcnt 0x1
	global_store_b32 v[4:5], v107, off offset:40
	s_wait_loadcnt 0x0
	global_store_b32 v[114:115], v113, off
.LBB98_224:
	s_wait_xcnt 0x0
	s_or_b32 exec_lo, exec_lo, s12
	v_dual_mov_b32 v114, v106 :: v_dual_mov_b32 v113, v106
.LBB98_225:
	s_or_b32 exec_lo, exec_lo, s1
.LBB98_226:
	s_and_not1_saveexec_b32 s0, s0
	s_cbranch_execz .LBB98_228
; %bb.227:
	v_mov_b32_e32 v114, 10
	ds_store_2addr_b64 v110, v[48:49], v[94:95] offset0:11 offset1:12
	ds_store_2addr_b64 v110, v[68:69], v[72:73] offset0:13 offset1:14
	;; [unrolled: 1-line block ×19, first 2 shown]
	ds_store_b64 v110, v[104:105] offset:392
.LBB98_228:
	s_or_b32 exec_lo, exec_lo, s0
	s_delay_alu instid0(SALU_CYCLE_1)
	s_mov_b32 s0, exec_lo
	s_wait_storecnt_dscnt 0x0
	s_barrier_signal -1
	s_barrier_wait -1
	v_cmpx_lt_i32_e32 10, v114
	s_cbranch_execz .LBB98_230
; %bb.229:
	v_pk_mul_f32 v[116:117], v[108:109], v[52:53] op_sel:[1,1] op_sel_hi:[0,1]
	s_delay_alu instid0(VALU_DEP_1)
	v_pk_fma_f32 v[106:107], v[108:109], v[52:53], v[116:117] op_sel_hi:[1,0,1] neg_lo:[0,0,1] neg_hi:[0,0,1]
	v_pk_fma_f32 v[108:109], v[108:109], v[52:53], v[116:117] op_sel_hi:[1,0,1]
	ds_load_2addr_b64 v[116:119], v110 offset0:11 offset1:12
	v_dual_mov_b32 v52, v106 :: v_dual_mov_b32 v53, v109
	s_wait_dscnt 0x0
	v_pk_mul_f32 v[120:121], v[116:117], v[108:109] op_sel:[0,1]
	s_delay_alu instid0(VALU_DEP_1) | instskip(SKIP_1) | instid1(VALU_DEP_1)
	v_pk_fma_f32 v[122:123], v[116:117], v[106:107], v[120:121] op_sel:[0,0,1] op_sel_hi:[1,1,0] neg_lo:[0,0,1] neg_hi:[0,0,1]
	v_pk_fma_f32 v[116:117], v[116:117], v[106:107], v[120:121] op_sel:[0,0,1] op_sel_hi:[1,0,0]
	v_mov_b32_e32 v123, v117
	v_pk_mul_f32 v[116:117], v[118:119], v[108:109] op_sel:[0,1]
	s_delay_alu instid0(VALU_DEP_1) | instskip(SKIP_1) | instid1(VALU_DEP_1)
	v_pk_fma_f32 v[120:121], v[118:119], v[106:107], v[116:117] op_sel:[0,0,1] op_sel_hi:[1,1,0] neg_lo:[0,0,1] neg_hi:[0,0,1]
	v_pk_fma_f32 v[116:117], v[118:119], v[106:107], v[116:117] op_sel:[0,0,1] op_sel_hi:[1,0,0]
	v_mov_b32_e32 v121, v117
	ds_load_2addr_b64 v[116:119], v110 offset0:13 offset1:14
	v_pk_add_f32 v[48:49], v[48:49], v[122:123] neg_lo:[0,1] neg_hi:[0,1]
	v_pk_add_f32 v[94:95], v[94:95], v[120:121] neg_lo:[0,1] neg_hi:[0,1]
	s_wait_dscnt 0x0
	v_pk_mul_f32 v[120:121], v[116:117], v[108:109] op_sel:[0,1]
	s_delay_alu instid0(VALU_DEP_1) | instskip(SKIP_2) | instid1(VALU_DEP_2)
	v_pk_fma_f32 v[122:123], v[116:117], v[106:107], v[120:121] op_sel:[0,0,1] op_sel_hi:[1,1,0] neg_lo:[0,0,1] neg_hi:[0,0,1]
	v_pk_fma_f32 v[116:117], v[116:117], v[106:107], v[120:121] op_sel:[0,0,1] op_sel_hi:[1,0,0]
	v_dual_mul_f32 v120, v119, v109 :: v_dual_mov_b32 v116, v119
	v_dual_mov_b32 v123, v117 :: v_dual_mov_b32 v117, v118
	s_delay_alu instid0(VALU_DEP_2) | instskip(SKIP_1) | instid1(VALU_DEP_3)
	v_pk_fma_f32 v[120:121], v[118:119], v[52:53], v[120:121] op_sel_hi:[1,1,0] neg_lo:[0,0,1] neg_hi:[0,0,1]
	v_mul_f32_e32 v118, v119, v106
	v_pk_add_f32 v[68:69], v[68:69], v[122:123] neg_lo:[0,1] neg_hi:[0,1]
	s_delay_alu instid0(VALU_DEP_2) | instskip(NEXT) | instid1(VALU_DEP_1)
	v_pk_fma_f32 v[116:117], v[116:117], v[52:53], v[118:119] op_sel_hi:[1,1,0]
	v_mov_b32_e32 v121, v117
	ds_load_2addr_b64 v[116:119], v110 offset0:15 offset1:16
	v_pk_add_f32 v[72:73], v[72:73], v[120:121] neg_lo:[0,1] neg_hi:[0,1]
	s_wait_dscnt 0x0
	v_pk_mul_f32 v[120:121], v[116:117], v[108:109] op_sel:[0,1]
	s_delay_alu instid0(VALU_DEP_1) | instskip(SKIP_1) | instid1(VALU_DEP_1)
	v_pk_fma_f32 v[122:123], v[116:117], v[106:107], v[120:121] op_sel:[0,0,1] op_sel_hi:[1,1,0] neg_lo:[0,0,1] neg_hi:[0,0,1]
	v_pk_fma_f32 v[116:117], v[116:117], v[106:107], v[120:121] op_sel:[0,0,1] op_sel_hi:[1,0,0]
	v_mov_b32_e32 v123, v117
	v_pk_mul_f32 v[116:117], v[118:119], v[108:109] op_sel:[0,1]
	s_delay_alu instid0(VALU_DEP_1) | instskip(SKIP_1) | instid1(VALU_DEP_1)
	v_pk_fma_f32 v[120:121], v[118:119], v[106:107], v[116:117] op_sel:[0,0,1] op_sel_hi:[1,1,0] neg_lo:[0,0,1] neg_hi:[0,0,1]
	v_pk_fma_f32 v[116:117], v[118:119], v[106:107], v[116:117] op_sel:[0,0,1] op_sel_hi:[1,0,0]
	v_mov_b32_e32 v121, v117
	ds_load_2addr_b64 v[116:119], v110 offset0:17 offset1:18
	v_pk_add_f32 v[66:67], v[66:67], v[122:123] neg_lo:[0,1] neg_hi:[0,1]
	v_pk_add_f32 v[92:93], v[92:93], v[120:121] neg_lo:[0,1] neg_hi:[0,1]
	s_wait_dscnt 0x0
	v_pk_mul_f32 v[120:121], v[116:117], v[108:109] op_sel:[0,1]
	s_delay_alu instid0(VALU_DEP_1) | instskip(SKIP_1) | instid1(VALU_DEP_1)
	v_pk_fma_f32 v[122:123], v[116:117], v[106:107], v[120:121] op_sel:[0,0,1] op_sel_hi:[1,1,0] neg_lo:[0,0,1] neg_hi:[0,0,1]
	v_pk_fma_f32 v[116:117], v[116:117], v[106:107], v[120:121] op_sel:[0,0,1] op_sel_hi:[1,0,0]
	v_mov_b32_e32 v123, v117
	v_pk_mul_f32 v[116:117], v[118:119], v[108:109] op_sel:[0,1]
	s_delay_alu instid0(VALU_DEP_1) | instskip(SKIP_1) | instid1(VALU_DEP_1)
	v_pk_fma_f32 v[120:121], v[118:119], v[106:107], v[116:117] op_sel:[0,0,1] op_sel_hi:[1,1,0] neg_lo:[0,0,1] neg_hi:[0,0,1]
	v_pk_fma_f32 v[116:117], v[118:119], v[106:107], v[116:117] op_sel:[0,0,1] op_sel_hi:[1,0,0]
	v_mov_b32_e32 v121, v117
	ds_load_2addr_b64 v[116:119], v110 offset0:19 offset1:20
	v_pk_add_f32 v[62:63], v[62:63], v[122:123] neg_lo:[0,1] neg_hi:[0,1]
	v_pk_add_f32 v[64:65], v[64:65], v[120:121] neg_lo:[0,1] neg_hi:[0,1]
	s_wait_dscnt 0x0
	v_dual_mul_f32 v120, v117, v109 :: v_dual_mul_f32 v122, v117, v106
	s_delay_alu instid0(VALU_DEP_1) | instskip(NEXT) | instid1(VALU_DEP_2)
	v_pk_fma_f32 v[120:121], v[116:117], v[52:53], v[120:121] op_sel_hi:[1,1,0] neg_lo:[0,0,1] neg_hi:[0,0,1]
	v_pk_fma_f32 v[116:117], v[116:117], v[52:53], v[122:123] op_sel:[1,0,0] op_sel_hi:[0,1,0]
	s_delay_alu instid0(VALU_DEP_1) | instskip(SKIP_1) | instid1(VALU_DEP_2)
	v_mov_b32_e32 v121, v117
	v_pk_mul_f32 v[116:117], v[118:119], v[108:109] op_sel:[0,1]
	v_pk_add_f32 v[60:61], v[60:61], v[120:121] neg_lo:[0,1] neg_hi:[0,1]
	s_delay_alu instid0(VALU_DEP_2) | instskip(SKIP_1) | instid1(VALU_DEP_1)
	v_pk_fma_f32 v[120:121], v[118:119], v[106:107], v[116:117] op_sel:[0,0,1] op_sel_hi:[1,1,0] neg_lo:[0,0,1] neg_hi:[0,0,1]
	v_pk_fma_f32 v[116:117], v[118:119], v[106:107], v[116:117] op_sel:[0,0,1] op_sel_hi:[1,0,0]
	v_mov_b32_e32 v121, v117
	ds_load_2addr_b64 v[116:119], v110 offset0:21 offset1:22
	v_pk_add_f32 v[90:91], v[90:91], v[120:121] neg_lo:[0,1] neg_hi:[0,1]
	s_wait_dscnt 0x0
	v_pk_mul_f32 v[120:121], v[116:117], v[108:109] op_sel:[0,1]
	s_delay_alu instid0(VALU_DEP_1) | instskip(SKIP_1) | instid1(VALU_DEP_1)
	v_pk_fma_f32 v[122:123], v[116:117], v[106:107], v[120:121] op_sel:[0,0,1] op_sel_hi:[1,1,0] neg_lo:[0,0,1] neg_hi:[0,0,1]
	v_pk_fma_f32 v[116:117], v[116:117], v[106:107], v[120:121] op_sel:[0,0,1] op_sel_hi:[1,0,0]
	v_mov_b32_e32 v123, v117
	v_pk_mul_f32 v[116:117], v[118:119], v[108:109] op_sel:[0,1]
	s_delay_alu instid0(VALU_DEP_2) | instskip(NEXT) | instid1(VALU_DEP_2)
	v_pk_add_f32 v[56:57], v[56:57], v[122:123] neg_lo:[0,1] neg_hi:[0,1]
	v_pk_fma_f32 v[120:121], v[118:119], v[106:107], v[116:117] op_sel:[0,0,1] op_sel_hi:[1,1,0] neg_lo:[0,0,1] neg_hi:[0,0,1]
	v_pk_fma_f32 v[116:117], v[118:119], v[106:107], v[116:117] op_sel:[0,0,1] op_sel_hi:[1,0,0]
	s_delay_alu instid0(VALU_DEP_1) | instskip(SKIP_4) | instid1(VALU_DEP_1)
	v_mov_b32_e32 v121, v117
	ds_load_2addr_b64 v[116:119], v110 offset0:23 offset1:24
	v_pk_add_f32 v[58:59], v[58:59], v[120:121] neg_lo:[0,1] neg_hi:[0,1]
	s_wait_dscnt 0x0
	v_pk_mul_f32 v[120:121], v[116:117], v[108:109] op_sel:[0,1]
	v_pk_fma_f32 v[122:123], v[116:117], v[106:107], v[120:121] op_sel:[0,0,1] op_sel_hi:[1,1,0] neg_lo:[0,0,1] neg_hi:[0,0,1]
	v_pk_fma_f32 v[116:117], v[116:117], v[106:107], v[120:121] op_sel:[0,0,1] op_sel_hi:[1,0,0]
	v_dual_mul_f32 v120, v119, v109 :: v_dual_mov_b32 v116, v119
	s_delay_alu instid0(VALU_DEP_2) | instskip(NEXT) | instid1(VALU_DEP_2)
	v_dual_mov_b32 v123, v117 :: v_dual_mov_b32 v117, v118
	v_pk_fma_f32 v[120:121], v[118:119], v[52:53], v[120:121] op_sel_hi:[1,1,0] neg_lo:[0,0,1] neg_hi:[0,0,1]
	v_mul_f32_e32 v118, v119, v106
	s_delay_alu instid0(VALU_DEP_3) | instskip(NEXT) | instid1(VALU_DEP_2)
	v_pk_add_f32 v[54:55], v[54:55], v[122:123] neg_lo:[0,1] neg_hi:[0,1]
	v_pk_fma_f32 v[116:117], v[116:117], v[52:53], v[118:119] op_sel_hi:[1,1,0]
	s_delay_alu instid0(VALU_DEP_1) | instskip(SKIP_4) | instid1(VALU_DEP_1)
	v_mov_b32_e32 v121, v117
	ds_load_2addr_b64 v[116:119], v110 offset0:25 offset1:26
	v_pk_add_f32 v[86:87], v[86:87], v[120:121] neg_lo:[0,1] neg_hi:[0,1]
	s_wait_dscnt 0x0
	v_pk_mul_f32 v[120:121], v[116:117], v[108:109] op_sel:[0,1]
	v_pk_fma_f32 v[122:123], v[116:117], v[106:107], v[120:121] op_sel:[0,0,1] op_sel_hi:[1,1,0] neg_lo:[0,0,1] neg_hi:[0,0,1]
	v_pk_fma_f32 v[116:117], v[116:117], v[106:107], v[120:121] op_sel:[0,0,1] op_sel_hi:[1,0,0]
	s_delay_alu instid0(VALU_DEP_1) | instskip(SKIP_1) | instid1(VALU_DEP_1)
	v_mov_b32_e32 v123, v117
	v_pk_mul_f32 v[116:117], v[118:119], v[108:109] op_sel:[0,1]
	v_pk_fma_f32 v[120:121], v[118:119], v[106:107], v[116:117] op_sel:[0,0,1] op_sel_hi:[1,1,0] neg_lo:[0,0,1] neg_hi:[0,0,1]
	v_pk_fma_f32 v[116:117], v[118:119], v[106:107], v[116:117] op_sel:[0,0,1] op_sel_hi:[1,0,0]
	s_delay_alu instid0(VALU_DEP_1)
	v_mov_b32_e32 v121, v117
	ds_load_2addr_b64 v[116:119], v110 offset0:27 offset1:28
	v_pk_add_f32 v[38:39], v[38:39], v[122:123] neg_lo:[0,1] neg_hi:[0,1]
	v_pk_add_f32 v[42:43], v[42:43], v[120:121] neg_lo:[0,1] neg_hi:[0,1]
	s_wait_dscnt 0x0
	v_pk_mul_f32 v[120:121], v[116:117], v[108:109] op_sel:[0,1]
	s_delay_alu instid0(VALU_DEP_1) | instskip(SKIP_1) | instid1(VALU_DEP_1)
	v_pk_fma_f32 v[122:123], v[116:117], v[106:107], v[120:121] op_sel:[0,0,1] op_sel_hi:[1,1,0] neg_lo:[0,0,1] neg_hi:[0,0,1]
	v_pk_fma_f32 v[116:117], v[116:117], v[106:107], v[120:121] op_sel:[0,0,1] op_sel_hi:[1,0,0]
	v_mov_b32_e32 v123, v117
	v_pk_mul_f32 v[116:117], v[118:119], v[108:109] op_sel:[0,1]
	s_delay_alu instid0(VALU_DEP_1) | instskip(SKIP_1) | instid1(VALU_DEP_1)
	v_pk_fma_f32 v[120:121], v[118:119], v[106:107], v[116:117] op_sel:[0,0,1] op_sel_hi:[1,1,0] neg_lo:[0,0,1] neg_hi:[0,0,1]
	v_pk_fma_f32 v[116:117], v[118:119], v[106:107], v[116:117] op_sel:[0,0,1] op_sel_hi:[1,0,0]
	v_mov_b32_e32 v121, v117
	ds_load_2addr_b64 v[116:119], v110 offset0:29 offset1:30
	v_pk_add_f32 v[36:37], v[36:37], v[122:123] neg_lo:[0,1] neg_hi:[0,1]
	v_pk_add_f32 v[82:83], v[82:83], v[120:121] neg_lo:[0,1] neg_hi:[0,1]
	s_wait_dscnt 0x0
	v_dual_mul_f32 v120, v117, v109 :: v_dual_mul_f32 v122, v117, v106
	s_delay_alu instid0(VALU_DEP_1) | instskip(NEXT) | instid1(VALU_DEP_2)
	v_pk_fma_f32 v[120:121], v[116:117], v[52:53], v[120:121] op_sel_hi:[1,1,0] neg_lo:[0,0,1] neg_hi:[0,0,1]
	v_pk_fma_f32 v[116:117], v[116:117], v[52:53], v[122:123] op_sel:[1,0,0] op_sel_hi:[0,1,0]
	s_delay_alu instid0(VALU_DEP_1) | instskip(SKIP_1) | instid1(VALU_DEP_2)
	v_mov_b32_e32 v121, v117
	v_pk_mul_f32 v[116:117], v[118:119], v[108:109] op_sel:[0,1]
	v_pk_add_f32 v[32:33], v[32:33], v[120:121] neg_lo:[0,1] neg_hi:[0,1]
	s_delay_alu instid0(VALU_DEP_2) | instskip(SKIP_1) | instid1(VALU_DEP_1)
	v_pk_fma_f32 v[120:121], v[118:119], v[106:107], v[116:117] op_sel:[0,0,1] op_sel_hi:[1,1,0] neg_lo:[0,0,1] neg_hi:[0,0,1]
	v_pk_fma_f32 v[116:117], v[118:119], v[106:107], v[116:117] op_sel:[0,0,1] op_sel_hi:[1,0,0]
	v_mov_b32_e32 v121, v117
	ds_load_2addr_b64 v[116:119], v110 offset0:31 offset1:32
	v_pk_add_f32 v[34:35], v[34:35], v[120:121] neg_lo:[0,1] neg_hi:[0,1]
	s_wait_dscnt 0x0
	v_pk_mul_f32 v[120:121], v[116:117], v[108:109] op_sel:[0,1]
	s_delay_alu instid0(VALU_DEP_1) | instskip(SKIP_1) | instid1(VALU_DEP_1)
	v_pk_fma_f32 v[122:123], v[116:117], v[106:107], v[120:121] op_sel:[0,0,1] op_sel_hi:[1,1,0] neg_lo:[0,0,1] neg_hi:[0,0,1]
	v_pk_fma_f32 v[116:117], v[116:117], v[106:107], v[120:121] op_sel:[0,0,1] op_sel_hi:[1,0,0]
	v_mov_b32_e32 v123, v117
	v_pk_mul_f32 v[116:117], v[118:119], v[108:109] op_sel:[0,1]
	s_delay_alu instid0(VALU_DEP_2) | instskip(NEXT) | instid1(VALU_DEP_2)
	v_pk_add_f32 v[30:31], v[30:31], v[122:123] neg_lo:[0,1] neg_hi:[0,1]
	v_pk_fma_f32 v[120:121], v[118:119], v[106:107], v[116:117] op_sel:[0,0,1] op_sel_hi:[1,1,0] neg_lo:[0,0,1] neg_hi:[0,0,1]
	v_pk_fma_f32 v[116:117], v[118:119], v[106:107], v[116:117] op_sel:[0,0,1] op_sel_hi:[1,0,0]
	s_delay_alu instid0(VALU_DEP_1) | instskip(SKIP_4) | instid1(VALU_DEP_1)
	v_mov_b32_e32 v121, v117
	ds_load_2addr_b64 v[116:119], v110 offset0:33 offset1:34
	v_pk_add_f32 v[80:81], v[80:81], v[120:121] neg_lo:[0,1] neg_hi:[0,1]
	s_wait_dscnt 0x0
	v_pk_mul_f32 v[120:121], v[116:117], v[108:109] op_sel:[0,1]
	v_pk_fma_f32 v[122:123], v[116:117], v[106:107], v[120:121] op_sel:[0,0,1] op_sel_hi:[1,1,0] neg_lo:[0,0,1] neg_hi:[0,0,1]
	v_pk_fma_f32 v[116:117], v[116:117], v[106:107], v[120:121] op_sel:[0,0,1] op_sel_hi:[1,0,0]
	v_dual_mul_f32 v120, v119, v109 :: v_dual_mov_b32 v116, v119
	s_delay_alu instid0(VALU_DEP_2) | instskip(NEXT) | instid1(VALU_DEP_2)
	v_dual_mov_b32 v123, v117 :: v_dual_mov_b32 v117, v118
	v_pk_fma_f32 v[120:121], v[118:119], v[52:53], v[120:121] op_sel_hi:[1,1,0] neg_lo:[0,0,1] neg_hi:[0,0,1]
	v_mul_f32_e32 v118, v119, v106
	s_delay_alu instid0(VALU_DEP_3) | instskip(NEXT) | instid1(VALU_DEP_2)
	v_pk_add_f32 v[24:25], v[24:25], v[122:123] neg_lo:[0,1] neg_hi:[0,1]
	v_pk_fma_f32 v[116:117], v[116:117], v[52:53], v[118:119] op_sel_hi:[1,1,0]
	s_delay_alu instid0(VALU_DEP_1) | instskip(SKIP_4) | instid1(VALU_DEP_1)
	v_mov_b32_e32 v121, v117
	ds_load_2addr_b64 v[116:119], v110 offset0:35 offset1:36
	v_pk_add_f32 v[26:27], v[26:27], v[120:121] neg_lo:[0,1] neg_hi:[0,1]
	s_wait_dscnt 0x0
	v_pk_mul_f32 v[120:121], v[116:117], v[108:109] op_sel:[0,1]
	v_pk_fma_f32 v[122:123], v[116:117], v[106:107], v[120:121] op_sel:[0,0,1] op_sel_hi:[1,1,0] neg_lo:[0,0,1] neg_hi:[0,0,1]
	v_pk_fma_f32 v[116:117], v[116:117], v[106:107], v[120:121] op_sel:[0,0,1] op_sel_hi:[1,0,0]
	s_delay_alu instid0(VALU_DEP_1) | instskip(SKIP_1) | instid1(VALU_DEP_1)
	v_mov_b32_e32 v123, v117
	v_pk_mul_f32 v[116:117], v[118:119], v[108:109] op_sel:[0,1]
	v_pk_fma_f32 v[120:121], v[118:119], v[106:107], v[116:117] op_sel:[0,0,1] op_sel_hi:[1,1,0] neg_lo:[0,0,1] neg_hi:[0,0,1]
	v_pk_fma_f32 v[116:117], v[118:119], v[106:107], v[116:117] op_sel:[0,0,1] op_sel_hi:[1,0,0]
	s_delay_alu instid0(VALU_DEP_1)
	v_mov_b32_e32 v121, v117
	ds_load_2addr_b64 v[116:119], v110 offset0:37 offset1:38
	v_pk_add_f32 v[22:23], v[22:23], v[122:123] neg_lo:[0,1] neg_hi:[0,1]
	v_pk_add_f32 v[78:79], v[78:79], v[120:121] neg_lo:[0,1] neg_hi:[0,1]
	s_wait_dscnt 0x0
	v_pk_mul_f32 v[120:121], v[116:117], v[108:109] op_sel:[0,1]
	s_delay_alu instid0(VALU_DEP_1) | instskip(SKIP_1) | instid1(VALU_DEP_1)
	v_pk_fma_f32 v[122:123], v[116:117], v[106:107], v[120:121] op_sel:[0,0,1] op_sel_hi:[1,1,0] neg_lo:[0,0,1] neg_hi:[0,0,1]
	v_pk_fma_f32 v[116:117], v[116:117], v[106:107], v[120:121] op_sel:[0,0,1] op_sel_hi:[1,0,0]
	v_mov_b32_e32 v123, v117
	v_pk_mul_f32 v[116:117], v[118:119], v[108:109] op_sel:[0,1]
	s_delay_alu instid0(VALU_DEP_1) | instskip(SKIP_1) | instid1(VALU_DEP_1)
	v_pk_fma_f32 v[120:121], v[118:119], v[106:107], v[116:117] op_sel:[0,0,1] op_sel_hi:[1,1,0] neg_lo:[0,0,1] neg_hi:[0,0,1]
	v_pk_fma_f32 v[116:117], v[118:119], v[106:107], v[116:117] op_sel:[0,0,1] op_sel_hi:[1,0,0]
	v_mov_b32_e32 v121, v117
	ds_load_2addr_b64 v[116:119], v110 offset0:39 offset1:40
	v_pk_add_f32 v[18:19], v[18:19], v[122:123] neg_lo:[0,1] neg_hi:[0,1]
	v_pk_add_f32 v[20:21], v[20:21], v[120:121] neg_lo:[0,1] neg_hi:[0,1]
	s_wait_dscnt 0x0
	v_dual_mul_f32 v120, v117, v109 :: v_dual_mul_f32 v122, v117, v106
	s_delay_alu instid0(VALU_DEP_1) | instskip(NEXT) | instid1(VALU_DEP_2)
	v_pk_fma_f32 v[120:121], v[116:117], v[52:53], v[120:121] op_sel_hi:[1,1,0] neg_lo:[0,0,1] neg_hi:[0,0,1]
	v_pk_fma_f32 v[116:117], v[116:117], v[52:53], v[122:123] op_sel:[1,0,0] op_sel_hi:[0,1,0]
	s_delay_alu instid0(VALU_DEP_1) | instskip(SKIP_1) | instid1(VALU_DEP_2)
	v_mov_b32_e32 v121, v117
	v_pk_mul_f32 v[116:117], v[118:119], v[108:109] op_sel:[0,1]
	v_pk_add_f32 v[16:17], v[16:17], v[120:121] neg_lo:[0,1] neg_hi:[0,1]
	s_delay_alu instid0(VALU_DEP_2) | instskip(SKIP_1) | instid1(VALU_DEP_1)
	v_pk_fma_f32 v[120:121], v[118:119], v[106:107], v[116:117] op_sel:[0,0,1] op_sel_hi:[1,1,0] neg_lo:[0,0,1] neg_hi:[0,0,1]
	v_pk_fma_f32 v[116:117], v[118:119], v[106:107], v[116:117] op_sel:[0,0,1] op_sel_hi:[1,0,0]
	v_mov_b32_e32 v121, v117
	ds_load_2addr_b64 v[116:119], v110 offset0:41 offset1:42
	v_pk_add_f32 v[76:77], v[76:77], v[120:121] neg_lo:[0,1] neg_hi:[0,1]
	s_wait_dscnt 0x0
	v_pk_mul_f32 v[120:121], v[116:117], v[108:109] op_sel:[0,1]
	s_delay_alu instid0(VALU_DEP_1) | instskip(SKIP_1) | instid1(VALU_DEP_1)
	v_pk_fma_f32 v[122:123], v[116:117], v[106:107], v[120:121] op_sel:[0,0,1] op_sel_hi:[1,1,0] neg_lo:[0,0,1] neg_hi:[0,0,1]
	v_pk_fma_f32 v[116:117], v[116:117], v[106:107], v[120:121] op_sel:[0,0,1] op_sel_hi:[1,0,0]
	v_mov_b32_e32 v123, v117
	v_pk_mul_f32 v[116:117], v[118:119], v[108:109] op_sel:[0,1]
	s_delay_alu instid0(VALU_DEP_2) | instskip(NEXT) | instid1(VALU_DEP_2)
	v_pk_add_f32 v[10:11], v[10:11], v[122:123] neg_lo:[0,1] neg_hi:[0,1]
	v_pk_fma_f32 v[120:121], v[118:119], v[106:107], v[116:117] op_sel:[0,0,1] op_sel_hi:[1,1,0] neg_lo:[0,0,1] neg_hi:[0,0,1]
	v_pk_fma_f32 v[116:117], v[118:119], v[106:107], v[116:117] op_sel:[0,0,1] op_sel_hi:[1,0,0]
	s_delay_alu instid0(VALU_DEP_1) | instskip(SKIP_4) | instid1(VALU_DEP_1)
	v_mov_b32_e32 v121, v117
	ds_load_2addr_b64 v[116:119], v110 offset0:43 offset1:44
	v_pk_add_f32 v[12:13], v[12:13], v[120:121] neg_lo:[0,1] neg_hi:[0,1]
	s_wait_dscnt 0x0
	v_pk_mul_f32 v[120:121], v[116:117], v[108:109] op_sel:[0,1]
	v_pk_fma_f32 v[122:123], v[116:117], v[106:107], v[120:121] op_sel:[0,0,1] op_sel_hi:[1,1,0] neg_lo:[0,0,1] neg_hi:[0,0,1]
	v_pk_fma_f32 v[116:117], v[116:117], v[106:107], v[120:121] op_sel:[0,0,1] op_sel_hi:[1,0,0]
	v_dual_mul_f32 v120, v119, v109 :: v_dual_mov_b32 v116, v119
	s_delay_alu instid0(VALU_DEP_2) | instskip(NEXT) | instid1(VALU_DEP_2)
	v_dual_mov_b32 v123, v117 :: v_dual_mov_b32 v117, v118
	v_pk_fma_f32 v[120:121], v[118:119], v[52:53], v[120:121] op_sel_hi:[1,1,0] neg_lo:[0,0,1] neg_hi:[0,0,1]
	v_mul_f32_e32 v118, v119, v106
	s_delay_alu instid0(VALU_DEP_3) | instskip(NEXT) | instid1(VALU_DEP_2)
	v_pk_add_f32 v[8:9], v[8:9], v[122:123] neg_lo:[0,1] neg_hi:[0,1]
	v_pk_fma_f32 v[116:117], v[116:117], v[52:53], v[118:119] op_sel_hi:[1,1,0]
	s_delay_alu instid0(VALU_DEP_1) | instskip(SKIP_4) | instid1(VALU_DEP_1)
	v_mov_b32_e32 v121, v117
	ds_load_2addr_b64 v[116:119], v110 offset0:45 offset1:46
	v_pk_add_f32 v[70:71], v[70:71], v[120:121] neg_lo:[0,1] neg_hi:[0,1]
	s_wait_dscnt 0x0
	v_pk_mul_f32 v[120:121], v[116:117], v[108:109] op_sel:[0,1]
	v_pk_fma_f32 v[122:123], v[116:117], v[106:107], v[120:121] op_sel:[0,0,1] op_sel_hi:[1,1,0] neg_lo:[0,0,1] neg_hi:[0,0,1]
	v_pk_fma_f32 v[116:117], v[116:117], v[106:107], v[120:121] op_sel:[0,0,1] op_sel_hi:[1,0,0]
	s_delay_alu instid0(VALU_DEP_1) | instskip(SKIP_1) | instid1(VALU_DEP_1)
	v_mov_b32_e32 v123, v117
	v_pk_mul_f32 v[116:117], v[118:119], v[108:109] op_sel:[0,1]
	v_pk_fma_f32 v[120:121], v[118:119], v[106:107], v[116:117] op_sel:[0,0,1] op_sel_hi:[1,1,0] neg_lo:[0,0,1] neg_hi:[0,0,1]
	v_pk_fma_f32 v[116:117], v[118:119], v[106:107], v[116:117] op_sel:[0,0,1] op_sel_hi:[1,0,0]
	s_delay_alu instid0(VALU_DEP_1)
	v_mov_b32_e32 v121, v117
	ds_load_2addr_b64 v[116:119], v110 offset0:47 offset1:48
	v_pk_add_f32 v[6:7], v[6:7], v[122:123] neg_lo:[0,1] neg_hi:[0,1]
	v_pk_add_f32 v[46:47], v[46:47], v[120:121] neg_lo:[0,1] neg_hi:[0,1]
	s_wait_dscnt 0x0
	v_pk_mul_f32 v[120:121], v[116:117], v[108:109] op_sel:[0,1]
	s_delay_alu instid0(VALU_DEP_1) | instskip(SKIP_1) | instid1(VALU_DEP_1)
	v_pk_fma_f32 v[122:123], v[116:117], v[106:107], v[120:121] op_sel:[0,0,1] op_sel_hi:[1,1,0] neg_lo:[0,0,1] neg_hi:[0,0,1]
	v_pk_fma_f32 v[116:117], v[116:117], v[106:107], v[120:121] op_sel:[0,0,1] op_sel_hi:[1,0,0]
	v_mov_b32_e32 v123, v117
	v_pk_mul_f32 v[116:117], v[118:119], v[108:109] op_sel:[0,1]
	s_delay_alu instid0(VALU_DEP_1) | instskip(SKIP_1) | instid1(VALU_DEP_1)
	v_pk_fma_f32 v[120:121], v[118:119], v[106:107], v[116:117] op_sel:[0,0,1] op_sel_hi:[1,1,0] neg_lo:[0,0,1] neg_hi:[0,0,1]
	v_pk_fma_f32 v[116:117], v[118:119], v[106:107], v[116:117] op_sel:[0,0,1] op_sel_hi:[1,0,0]
	v_mov_b32_e32 v121, v117
	ds_load_b64 v[116:117], v110 offset:392
	v_pk_add_f32 v[28:29], v[28:29], v[122:123] neg_lo:[0,1] neg_hi:[0,1]
	v_pk_add_f32 v[14:15], v[14:15], v[120:121] neg_lo:[0,1] neg_hi:[0,1]
	s_wait_dscnt 0x0
	v_pk_mul_f32 v[108:109], v[116:117], v[108:109] op_sel:[0,1]
	s_delay_alu instid0(VALU_DEP_1) | instskip(SKIP_1) | instid1(VALU_DEP_1)
	v_pk_fma_f32 v[118:119], v[116:117], v[106:107], v[108:109] op_sel:[0,0,1] op_sel_hi:[1,1,0] neg_lo:[0,0,1] neg_hi:[0,0,1]
	v_pk_fma_f32 v[106:107], v[116:117], v[106:107], v[108:109] op_sel:[0,0,1] op_sel_hi:[1,0,0]
	v_mov_b32_e32 v119, v107
	s_delay_alu instid0(VALU_DEP_1)
	v_pk_add_f32 v[104:105], v[104:105], v[118:119] neg_lo:[0,1] neg_hi:[0,1]
.LBB98_230:
	s_or_b32 exec_lo, exec_lo, s0
	v_lshl_add_u32 v106, v114, 3, v110
	s_barrier_signal -1
	s_barrier_wait -1
	ds_store_b64 v106, v[48:49]
	s_wait_dscnt 0x0
	s_barrier_signal -1
	s_barrier_wait -1
	ds_load_b64 v[108:109], v110 offset:88
	v_mov_b32_e32 v106, 11
	s_cmp_lt_i32 s18, 13
	s_cbranch_scc1 .LBB98_233
; %bb.231:
	v_add3_u32 v107, v111, 0, 0x60
	v_mov_b32_e32 v106, 11
	s_mov_b32 s0, 12
.LBB98_232:                             ; =>This Inner Loop Header: Depth=1
	ds_load_b64 v[116:117], v107
	s_wait_dscnt 0x1
	v_cmp_gt_f32_e32 vcc_lo, 0, v108
	v_cndmask_b32_e64 v118, v108, -v108, vcc_lo
	v_cmp_gt_f32_e32 vcc_lo, 0, v109
	v_cndmask_b32_e64 v120, v109, -v109, vcc_lo
	s_wait_dscnt 0x0
	v_cmp_gt_f32_e32 vcc_lo, 0, v116
	v_cndmask_b32_e64 v119, v116, -v116, vcc_lo
	v_cmp_gt_f32_e32 vcc_lo, 0, v117
	v_cndmask_b32_e64 v121, v117, -v117, vcc_lo
	s_delay_alu instid0(VALU_DEP_1) | instskip(NEXT) | instid1(VALU_DEP_1)
	v_pk_add_f32 v[118:119], v[118:119], v[120:121]
	v_cmp_lt_f32_e32 vcc_lo, v118, v119
	v_dual_add_nc_u32 v107, 8, v107 :: v_dual_cndmask_b32 v109, v109, v117, vcc_lo
	v_cndmask_b32_e32 v108, v108, v116, vcc_lo
	v_cndmask_b32_e64 v106, v106, s0, vcc_lo
	s_add_co_i32 s0, s0, 1
	s_delay_alu instid0(SALU_CYCLE_1)
	s_cmp_lg_u32 s18, s0
	s_cbranch_scc1 .LBB98_232
.LBB98_233:
	s_wait_dscnt 0x0
	v_cmp_eq_f32_e32 vcc_lo, 0, v108
	v_cmp_eq_f32_e64 s0, 0, v109
	s_and_b32 s0, vcc_lo, s0
	s_delay_alu instid0(SALU_CYCLE_1) | instskip(NEXT) | instid1(SALU_CYCLE_1)
	s_and_saveexec_b32 s1, s0
	s_xor_b32 s0, exec_lo, s1
; %bb.234:
	v_cmp_ne_u32_e32 vcc_lo, 0, v112
	v_cndmask_b32_e32 v112, 12, v112, vcc_lo
; %bb.235:
	s_and_not1_saveexec_b32 s0, s0
	s_cbranch_execz .LBB98_241
; %bb.236:
	v_cmp_ngt_f32_e64 s1, |v108|, |v109|
	s_and_saveexec_b32 s12, s1
	s_delay_alu instid0(SALU_CYCLE_1)
	s_xor_b32 s1, exec_lo, s12
	s_cbranch_execz .LBB98_238
; %bb.237:
	v_div_scale_f32 v107, null, v109, v109, v108
	v_div_scale_f32 v117, vcc_lo, v108, v109, v108
	s_delay_alu instid0(VALU_DEP_2) | instskip(SKIP_1) | instid1(TRANS32_DEP_1)
	v_rcp_f32_e32 v115, v107
	v_nop
	v_fma_f32 v116, -v107, v115, 1.0
	s_delay_alu instid0(VALU_DEP_1) | instskip(NEXT) | instid1(VALU_DEP_1)
	v_fmac_f32_e32 v115, v116, v115
	v_mul_f32_e32 v116, v117, v115
	s_delay_alu instid0(VALU_DEP_1) | instskip(NEXT) | instid1(VALU_DEP_1)
	v_fma_f32 v118, -v107, v116, v117
	v_fmac_f32_e32 v116, v118, v115
	s_delay_alu instid0(VALU_DEP_1) | instskip(NEXT) | instid1(VALU_DEP_1)
	v_fma_f32 v107, -v107, v116, v117
	v_div_fmas_f32 v107, v107, v115, v116
	s_delay_alu instid0(VALU_DEP_1) | instskip(NEXT) | instid1(VALU_DEP_1)
	v_div_fixup_f32 v107, v107, v109, v108
	v_fmac_f32_e32 v109, v108, v107
	s_delay_alu instid0(VALU_DEP_1) | instskip(SKIP_1) | instid1(VALU_DEP_2)
	v_div_scale_f32 v108, null, v109, v109, 1.0
	v_div_scale_f32 v117, vcc_lo, 1.0, v109, 1.0
	v_rcp_f32_e32 v115, v108
	v_nop
	s_delay_alu instid0(TRANS32_DEP_1) | instskip(NEXT) | instid1(VALU_DEP_1)
	v_fma_f32 v116, -v108, v115, 1.0
	v_fmac_f32_e32 v115, v116, v115
	s_delay_alu instid0(VALU_DEP_1) | instskip(NEXT) | instid1(VALU_DEP_1)
	v_mul_f32_e32 v116, v117, v115
	v_fma_f32 v118, -v108, v116, v117
	s_delay_alu instid0(VALU_DEP_1) | instskip(NEXT) | instid1(VALU_DEP_1)
	v_fmac_f32_e32 v116, v118, v115
	v_fma_f32 v108, -v108, v116, v117
	s_delay_alu instid0(VALU_DEP_1) | instskip(NEXT) | instid1(VALU_DEP_1)
	v_div_fmas_f32 v108, v108, v115, v116
	v_div_fixup_f32 v109, v108, v109, 1.0
	s_delay_alu instid0(VALU_DEP_1)
	v_mul_f32_e32 v108, v107, v109
	v_xor_b32_e32 v109, 0x80000000, v109
.LBB98_238:
	s_and_not1_saveexec_b32 s1, s1
	s_cbranch_execz .LBB98_240
; %bb.239:
	s_delay_alu instid0(VALU_DEP_1) | instskip(SKIP_1) | instid1(VALU_DEP_2)
	v_div_scale_f32 v107, null, v108, v108, v109
	v_div_scale_f32 v117, vcc_lo, v109, v108, v109
	v_rcp_f32_e32 v115, v107
	v_nop
	s_delay_alu instid0(TRANS32_DEP_1) | instskip(NEXT) | instid1(VALU_DEP_1)
	v_fma_f32 v116, -v107, v115, 1.0
	v_fmac_f32_e32 v115, v116, v115
	s_delay_alu instid0(VALU_DEP_1) | instskip(NEXT) | instid1(VALU_DEP_1)
	v_mul_f32_e32 v116, v117, v115
	v_fma_f32 v118, -v107, v116, v117
	s_delay_alu instid0(VALU_DEP_1) | instskip(NEXT) | instid1(VALU_DEP_1)
	v_fmac_f32_e32 v116, v118, v115
	v_fma_f32 v107, -v107, v116, v117
	s_delay_alu instid0(VALU_DEP_1) | instskip(NEXT) | instid1(VALU_DEP_1)
	v_div_fmas_f32 v107, v107, v115, v116
	v_div_fixup_f32 v107, v107, v108, v109
	s_delay_alu instid0(VALU_DEP_1) | instskip(NEXT) | instid1(VALU_DEP_1)
	v_fmac_f32_e32 v108, v109, v107
	v_div_scale_f32 v109, null, v108, v108, 1.0
	s_delay_alu instid0(VALU_DEP_1) | instskip(SKIP_1) | instid1(TRANS32_DEP_1)
	v_rcp_f32_e32 v115, v109
	v_nop
	v_fma_f32 v116, -v109, v115, 1.0
	s_delay_alu instid0(VALU_DEP_1) | instskip(SKIP_1) | instid1(VALU_DEP_1)
	v_fmac_f32_e32 v115, v116, v115
	v_div_scale_f32 v116, vcc_lo, 1.0, v108, 1.0
	v_mul_f32_e32 v117, v116, v115
	s_delay_alu instid0(VALU_DEP_1) | instskip(NEXT) | instid1(VALU_DEP_1)
	v_fma_f32 v118, -v109, v117, v116
	v_fmac_f32_e32 v117, v118, v115
	s_delay_alu instid0(VALU_DEP_1) | instskip(NEXT) | instid1(VALU_DEP_1)
	v_fma_f32 v109, -v109, v117, v116
	v_div_fmas_f32 v109, v109, v115, v117
	s_delay_alu instid0(VALU_DEP_1) | instskip(NEXT) | instid1(VALU_DEP_1)
	v_div_fixup_f32 v108, v109, v108, 1.0
	v_mul_f32_e64 v109, v107, -v108
.LBB98_240:
	s_or_b32 exec_lo, exec_lo, s1
.LBB98_241:
	s_delay_alu instid0(SALU_CYCLE_1) | instskip(NEXT) | instid1(SALU_CYCLE_1)
	s_or_b32 exec_lo, exec_lo, s0
	s_mov_b32 s0, exec_lo
	v_cmpx_ne_u32_e64 v114, v106
	s_xor_b32 s0, exec_lo, s0
	s_cbranch_execz .LBB98_247
; %bb.242:
	s_mov_b32 s1, exec_lo
	v_cmpx_eq_u32_e32 11, v114
	s_cbranch_execz .LBB98_246
; %bb.243:
	v_cmp_ne_u32_e32 vcc_lo, 11, v106
	s_xor_b32 s12, s16, -1
	s_delay_alu instid0(SALU_CYCLE_1) | instskip(NEXT) | instid1(SALU_CYCLE_1)
	s_and_b32 s13, s12, vcc_lo
	s_and_saveexec_b32 s12, s13
	s_cbranch_execz .LBB98_245
; %bb.244:
	v_ashrrev_i32_e32 v107, 31, v106
	s_delay_alu instid0(VALU_DEP_1)
	v_lshl_add_u64 v[114:115], v[106:107], 2, v[4:5]
	s_clause 0x1
	global_load_b32 v107, v[114:115], off
	global_load_b32 v113, v[4:5], off offset:44
	s_wait_loadcnt 0x1
	global_store_b32 v[4:5], v107, off offset:44
	s_wait_loadcnt 0x0
	global_store_b32 v[114:115], v113, off
.LBB98_245:
	s_wait_xcnt 0x0
	s_or_b32 exec_lo, exec_lo, s12
	v_dual_mov_b32 v114, v106 :: v_dual_mov_b32 v113, v106
.LBB98_246:
	s_or_b32 exec_lo, exec_lo, s1
.LBB98_247:
	s_and_not1_saveexec_b32 s0, s0
	s_cbranch_execz .LBB98_249
; %bb.248:
	v_dual_mov_b32 v106, v94 :: v_dual_mov_b32 v107, v95
	v_dual_mov_b32 v114, v68 :: v_dual_mov_b32 v115, v69
	ds_store_2addr_b64 v110, v[106:107], v[114:115] offset0:12 offset1:13
	v_dual_mov_b32 v106, v72 :: v_dual_mov_b32 v107, v73
	v_dual_mov_b32 v114, v66 :: v_dual_mov_b32 v115, v67
	ds_store_2addr_b64 v110, v[106:107], v[114:115] offset0:14 offset1:15
	;; [unrolled: 3-line block ×18, first 2 shown]
	v_dual_mov_b32 v106, v14 :: v_dual_mov_b32 v107, v15
	v_mov_b32_e32 v114, 11
	ds_store_2addr_b64 v110, v[106:107], v[104:105] offset0:48 offset1:49
.LBB98_249:
	s_or_b32 exec_lo, exec_lo, s0
	s_delay_alu instid0(SALU_CYCLE_1)
	s_mov_b32 s0, exec_lo
	s_wait_storecnt_dscnt 0x0
	s_barrier_signal -1
	s_barrier_wait -1
	v_cmpx_lt_i32_e32 11, v114
	s_cbranch_execz .LBB98_251
; %bb.250:
	v_pk_mul_f32 v[116:117], v[108:109], v[48:49] op_sel:[1,1] op_sel_hi:[0,1]
	s_delay_alu instid0(VALU_DEP_1)
	v_pk_fma_f32 v[106:107], v[108:109], v[48:49], v[116:117] op_sel_hi:[1,0,1] neg_lo:[0,0,1] neg_hi:[0,0,1]
	v_pk_fma_f32 v[108:109], v[108:109], v[48:49], v[116:117] op_sel_hi:[1,0,1]
	ds_load_2addr_b64 v[116:119], v110 offset0:12 offset1:13
	v_dual_mov_b32 v48, v106 :: v_dual_mov_b32 v49, v109
	s_wait_dscnt 0x0
	v_pk_mul_f32 v[120:121], v[116:117], v[108:109] op_sel:[0,1]
	s_delay_alu instid0(VALU_DEP_1) | instskip(SKIP_1) | instid1(VALU_DEP_1)
	v_pk_fma_f32 v[122:123], v[116:117], v[106:107], v[120:121] op_sel:[0,0,1] op_sel_hi:[1,1,0] neg_lo:[0,0,1] neg_hi:[0,0,1]
	v_pk_fma_f32 v[116:117], v[116:117], v[106:107], v[120:121] op_sel:[0,0,1] op_sel_hi:[1,0,0]
	v_mov_b32_e32 v123, v117
	v_pk_mul_f32 v[116:117], v[118:119], v[108:109] op_sel:[0,1]
	s_delay_alu instid0(VALU_DEP_1) | instskip(SKIP_1) | instid1(VALU_DEP_1)
	v_pk_fma_f32 v[120:121], v[118:119], v[106:107], v[116:117] op_sel:[0,0,1] op_sel_hi:[1,1,0] neg_lo:[0,0,1] neg_hi:[0,0,1]
	v_pk_fma_f32 v[116:117], v[118:119], v[106:107], v[116:117] op_sel:[0,0,1] op_sel_hi:[1,0,0]
	v_mov_b32_e32 v121, v117
	ds_load_2addr_b64 v[116:119], v110 offset0:14 offset1:15
	v_pk_add_f32 v[94:95], v[94:95], v[122:123] neg_lo:[0,1] neg_hi:[0,1]
	v_pk_add_f32 v[68:69], v[68:69], v[120:121] neg_lo:[0,1] neg_hi:[0,1]
	s_wait_dscnt 0x0
	v_pk_mul_f32 v[120:121], v[116:117], v[108:109] op_sel:[0,1]
	s_delay_alu instid0(VALU_DEP_1) | instskip(SKIP_2) | instid1(VALU_DEP_2)
	v_pk_fma_f32 v[122:123], v[116:117], v[106:107], v[120:121] op_sel:[0,0,1] op_sel_hi:[1,1,0] neg_lo:[0,0,1] neg_hi:[0,0,1]
	v_pk_fma_f32 v[116:117], v[116:117], v[106:107], v[120:121] op_sel:[0,0,1] op_sel_hi:[1,0,0]
	v_dual_mul_f32 v120, v119, v109 :: v_dual_mov_b32 v116, v119
	v_dual_mov_b32 v123, v117 :: v_dual_mov_b32 v117, v118
	s_delay_alu instid0(VALU_DEP_2) | instskip(SKIP_1) | instid1(VALU_DEP_3)
	v_pk_fma_f32 v[120:121], v[118:119], v[48:49], v[120:121] op_sel_hi:[1,1,0] neg_lo:[0,0,1] neg_hi:[0,0,1]
	v_mul_f32_e32 v118, v119, v106
	v_pk_add_f32 v[72:73], v[72:73], v[122:123] neg_lo:[0,1] neg_hi:[0,1]
	s_delay_alu instid0(VALU_DEP_2) | instskip(NEXT) | instid1(VALU_DEP_1)
	v_pk_fma_f32 v[116:117], v[116:117], v[48:49], v[118:119] op_sel_hi:[1,1,0]
	v_mov_b32_e32 v121, v117
	ds_load_2addr_b64 v[116:119], v110 offset0:16 offset1:17
	v_pk_add_f32 v[66:67], v[66:67], v[120:121] neg_lo:[0,1] neg_hi:[0,1]
	s_wait_dscnt 0x0
	v_pk_mul_f32 v[120:121], v[116:117], v[108:109] op_sel:[0,1]
	s_delay_alu instid0(VALU_DEP_1) | instskip(SKIP_1) | instid1(VALU_DEP_1)
	v_pk_fma_f32 v[122:123], v[116:117], v[106:107], v[120:121] op_sel:[0,0,1] op_sel_hi:[1,1,0] neg_lo:[0,0,1] neg_hi:[0,0,1]
	v_pk_fma_f32 v[116:117], v[116:117], v[106:107], v[120:121] op_sel:[0,0,1] op_sel_hi:[1,0,0]
	v_mov_b32_e32 v123, v117
	v_pk_mul_f32 v[116:117], v[118:119], v[108:109] op_sel:[0,1]
	s_delay_alu instid0(VALU_DEP_1) | instskip(SKIP_1) | instid1(VALU_DEP_1)
	v_pk_fma_f32 v[120:121], v[118:119], v[106:107], v[116:117] op_sel:[0,0,1] op_sel_hi:[1,1,0] neg_lo:[0,0,1] neg_hi:[0,0,1]
	v_pk_fma_f32 v[116:117], v[118:119], v[106:107], v[116:117] op_sel:[0,0,1] op_sel_hi:[1,0,0]
	v_mov_b32_e32 v121, v117
	ds_load_2addr_b64 v[116:119], v110 offset0:18 offset1:19
	v_pk_add_f32 v[92:93], v[92:93], v[122:123] neg_lo:[0,1] neg_hi:[0,1]
	v_pk_add_f32 v[62:63], v[62:63], v[120:121] neg_lo:[0,1] neg_hi:[0,1]
	s_wait_dscnt 0x0
	v_pk_mul_f32 v[120:121], v[116:117], v[108:109] op_sel:[0,1]
	s_delay_alu instid0(VALU_DEP_1) | instskip(SKIP_1) | instid1(VALU_DEP_1)
	v_pk_fma_f32 v[122:123], v[116:117], v[106:107], v[120:121] op_sel:[0,0,1] op_sel_hi:[1,1,0] neg_lo:[0,0,1] neg_hi:[0,0,1]
	v_pk_fma_f32 v[116:117], v[116:117], v[106:107], v[120:121] op_sel:[0,0,1] op_sel_hi:[1,0,0]
	v_mov_b32_e32 v123, v117
	v_pk_mul_f32 v[116:117], v[118:119], v[108:109] op_sel:[0,1]
	s_delay_alu instid0(VALU_DEP_1) | instskip(SKIP_1) | instid1(VALU_DEP_1)
	v_pk_fma_f32 v[120:121], v[118:119], v[106:107], v[116:117] op_sel:[0,0,1] op_sel_hi:[1,1,0] neg_lo:[0,0,1] neg_hi:[0,0,1]
	v_pk_fma_f32 v[116:117], v[118:119], v[106:107], v[116:117] op_sel:[0,0,1] op_sel_hi:[1,0,0]
	v_mov_b32_e32 v121, v117
	ds_load_2addr_b64 v[116:119], v110 offset0:20 offset1:21
	v_pk_add_f32 v[64:65], v[64:65], v[122:123] neg_lo:[0,1] neg_hi:[0,1]
	v_pk_add_f32 v[60:61], v[60:61], v[120:121] neg_lo:[0,1] neg_hi:[0,1]
	s_wait_dscnt 0x0
	v_dual_mul_f32 v120, v117, v109 :: v_dual_mul_f32 v122, v117, v106
	s_delay_alu instid0(VALU_DEP_1) | instskip(NEXT) | instid1(VALU_DEP_2)
	v_pk_fma_f32 v[120:121], v[116:117], v[48:49], v[120:121] op_sel_hi:[1,1,0] neg_lo:[0,0,1] neg_hi:[0,0,1]
	v_pk_fma_f32 v[116:117], v[116:117], v[48:49], v[122:123] op_sel:[1,0,0] op_sel_hi:[0,1,0]
	s_delay_alu instid0(VALU_DEP_1) | instskip(SKIP_1) | instid1(VALU_DEP_2)
	v_mov_b32_e32 v121, v117
	v_pk_mul_f32 v[116:117], v[118:119], v[108:109] op_sel:[0,1]
	v_pk_add_f32 v[90:91], v[90:91], v[120:121] neg_lo:[0,1] neg_hi:[0,1]
	s_delay_alu instid0(VALU_DEP_2) | instskip(SKIP_1) | instid1(VALU_DEP_1)
	v_pk_fma_f32 v[120:121], v[118:119], v[106:107], v[116:117] op_sel:[0,0,1] op_sel_hi:[1,1,0] neg_lo:[0,0,1] neg_hi:[0,0,1]
	v_pk_fma_f32 v[116:117], v[118:119], v[106:107], v[116:117] op_sel:[0,0,1] op_sel_hi:[1,0,0]
	v_mov_b32_e32 v121, v117
	ds_load_2addr_b64 v[116:119], v110 offset0:22 offset1:23
	v_pk_add_f32 v[56:57], v[56:57], v[120:121] neg_lo:[0,1] neg_hi:[0,1]
	s_wait_dscnt 0x0
	v_pk_mul_f32 v[120:121], v[116:117], v[108:109] op_sel:[0,1]
	s_delay_alu instid0(VALU_DEP_1) | instskip(SKIP_1) | instid1(VALU_DEP_1)
	v_pk_fma_f32 v[122:123], v[116:117], v[106:107], v[120:121] op_sel:[0,0,1] op_sel_hi:[1,1,0] neg_lo:[0,0,1] neg_hi:[0,0,1]
	v_pk_fma_f32 v[116:117], v[116:117], v[106:107], v[120:121] op_sel:[0,0,1] op_sel_hi:[1,0,0]
	v_mov_b32_e32 v123, v117
	v_pk_mul_f32 v[116:117], v[118:119], v[108:109] op_sel:[0,1]
	s_delay_alu instid0(VALU_DEP_2) | instskip(NEXT) | instid1(VALU_DEP_2)
	v_pk_add_f32 v[58:59], v[58:59], v[122:123] neg_lo:[0,1] neg_hi:[0,1]
	v_pk_fma_f32 v[120:121], v[118:119], v[106:107], v[116:117] op_sel:[0,0,1] op_sel_hi:[1,1,0] neg_lo:[0,0,1] neg_hi:[0,0,1]
	v_pk_fma_f32 v[116:117], v[118:119], v[106:107], v[116:117] op_sel:[0,0,1] op_sel_hi:[1,0,0]
	s_delay_alu instid0(VALU_DEP_1) | instskip(SKIP_4) | instid1(VALU_DEP_1)
	v_mov_b32_e32 v121, v117
	ds_load_2addr_b64 v[116:119], v110 offset0:24 offset1:25
	v_pk_add_f32 v[54:55], v[54:55], v[120:121] neg_lo:[0,1] neg_hi:[0,1]
	s_wait_dscnt 0x0
	v_pk_mul_f32 v[120:121], v[116:117], v[108:109] op_sel:[0,1]
	v_pk_fma_f32 v[122:123], v[116:117], v[106:107], v[120:121] op_sel:[0,0,1] op_sel_hi:[1,1,0] neg_lo:[0,0,1] neg_hi:[0,0,1]
	v_pk_fma_f32 v[116:117], v[116:117], v[106:107], v[120:121] op_sel:[0,0,1] op_sel_hi:[1,0,0]
	v_dual_mul_f32 v120, v119, v109 :: v_dual_mov_b32 v116, v119
	s_delay_alu instid0(VALU_DEP_2) | instskip(NEXT) | instid1(VALU_DEP_2)
	v_dual_mov_b32 v123, v117 :: v_dual_mov_b32 v117, v118
	v_pk_fma_f32 v[120:121], v[118:119], v[48:49], v[120:121] op_sel_hi:[1,1,0] neg_lo:[0,0,1] neg_hi:[0,0,1]
	v_mul_f32_e32 v118, v119, v106
	s_delay_alu instid0(VALU_DEP_3) | instskip(NEXT) | instid1(VALU_DEP_2)
	v_pk_add_f32 v[86:87], v[86:87], v[122:123] neg_lo:[0,1] neg_hi:[0,1]
	v_pk_fma_f32 v[116:117], v[116:117], v[48:49], v[118:119] op_sel_hi:[1,1,0]
	s_delay_alu instid0(VALU_DEP_1) | instskip(SKIP_4) | instid1(VALU_DEP_1)
	v_mov_b32_e32 v121, v117
	ds_load_2addr_b64 v[116:119], v110 offset0:26 offset1:27
	v_pk_add_f32 v[38:39], v[38:39], v[120:121] neg_lo:[0,1] neg_hi:[0,1]
	s_wait_dscnt 0x0
	v_pk_mul_f32 v[120:121], v[116:117], v[108:109] op_sel:[0,1]
	v_pk_fma_f32 v[122:123], v[116:117], v[106:107], v[120:121] op_sel:[0,0,1] op_sel_hi:[1,1,0] neg_lo:[0,0,1] neg_hi:[0,0,1]
	v_pk_fma_f32 v[116:117], v[116:117], v[106:107], v[120:121] op_sel:[0,0,1] op_sel_hi:[1,0,0]
	s_delay_alu instid0(VALU_DEP_1) | instskip(SKIP_1) | instid1(VALU_DEP_1)
	v_mov_b32_e32 v123, v117
	v_pk_mul_f32 v[116:117], v[118:119], v[108:109] op_sel:[0,1]
	v_pk_fma_f32 v[120:121], v[118:119], v[106:107], v[116:117] op_sel:[0,0,1] op_sel_hi:[1,1,0] neg_lo:[0,0,1] neg_hi:[0,0,1]
	v_pk_fma_f32 v[116:117], v[118:119], v[106:107], v[116:117] op_sel:[0,0,1] op_sel_hi:[1,0,0]
	s_delay_alu instid0(VALU_DEP_1)
	v_mov_b32_e32 v121, v117
	ds_load_2addr_b64 v[116:119], v110 offset0:28 offset1:29
	v_pk_add_f32 v[42:43], v[42:43], v[122:123] neg_lo:[0,1] neg_hi:[0,1]
	v_pk_add_f32 v[36:37], v[36:37], v[120:121] neg_lo:[0,1] neg_hi:[0,1]
	s_wait_dscnt 0x0
	v_pk_mul_f32 v[120:121], v[116:117], v[108:109] op_sel:[0,1]
	s_delay_alu instid0(VALU_DEP_1) | instskip(SKIP_1) | instid1(VALU_DEP_1)
	v_pk_fma_f32 v[122:123], v[116:117], v[106:107], v[120:121] op_sel:[0,0,1] op_sel_hi:[1,1,0] neg_lo:[0,0,1] neg_hi:[0,0,1]
	v_pk_fma_f32 v[116:117], v[116:117], v[106:107], v[120:121] op_sel:[0,0,1] op_sel_hi:[1,0,0]
	v_mov_b32_e32 v123, v117
	v_pk_mul_f32 v[116:117], v[118:119], v[108:109] op_sel:[0,1]
	s_delay_alu instid0(VALU_DEP_1) | instskip(SKIP_1) | instid1(VALU_DEP_1)
	v_pk_fma_f32 v[120:121], v[118:119], v[106:107], v[116:117] op_sel:[0,0,1] op_sel_hi:[1,1,0] neg_lo:[0,0,1] neg_hi:[0,0,1]
	v_pk_fma_f32 v[116:117], v[118:119], v[106:107], v[116:117] op_sel:[0,0,1] op_sel_hi:[1,0,0]
	v_mov_b32_e32 v121, v117
	ds_load_2addr_b64 v[116:119], v110 offset0:30 offset1:31
	v_pk_add_f32 v[82:83], v[82:83], v[122:123] neg_lo:[0,1] neg_hi:[0,1]
	v_pk_add_f32 v[32:33], v[32:33], v[120:121] neg_lo:[0,1] neg_hi:[0,1]
	s_wait_dscnt 0x0
	v_dual_mul_f32 v120, v117, v109 :: v_dual_mul_f32 v122, v117, v106
	s_delay_alu instid0(VALU_DEP_1) | instskip(NEXT) | instid1(VALU_DEP_2)
	v_pk_fma_f32 v[120:121], v[116:117], v[48:49], v[120:121] op_sel_hi:[1,1,0] neg_lo:[0,0,1] neg_hi:[0,0,1]
	v_pk_fma_f32 v[116:117], v[116:117], v[48:49], v[122:123] op_sel:[1,0,0] op_sel_hi:[0,1,0]
	s_delay_alu instid0(VALU_DEP_1) | instskip(SKIP_1) | instid1(VALU_DEP_2)
	v_mov_b32_e32 v121, v117
	v_pk_mul_f32 v[116:117], v[118:119], v[108:109] op_sel:[0,1]
	v_pk_add_f32 v[34:35], v[34:35], v[120:121] neg_lo:[0,1] neg_hi:[0,1]
	s_delay_alu instid0(VALU_DEP_2) | instskip(SKIP_1) | instid1(VALU_DEP_1)
	v_pk_fma_f32 v[120:121], v[118:119], v[106:107], v[116:117] op_sel:[0,0,1] op_sel_hi:[1,1,0] neg_lo:[0,0,1] neg_hi:[0,0,1]
	v_pk_fma_f32 v[116:117], v[118:119], v[106:107], v[116:117] op_sel:[0,0,1] op_sel_hi:[1,0,0]
	v_mov_b32_e32 v121, v117
	ds_load_2addr_b64 v[116:119], v110 offset0:32 offset1:33
	v_pk_add_f32 v[30:31], v[30:31], v[120:121] neg_lo:[0,1] neg_hi:[0,1]
	s_wait_dscnt 0x0
	v_pk_mul_f32 v[120:121], v[116:117], v[108:109] op_sel:[0,1]
	s_delay_alu instid0(VALU_DEP_1) | instskip(SKIP_1) | instid1(VALU_DEP_1)
	v_pk_fma_f32 v[122:123], v[116:117], v[106:107], v[120:121] op_sel:[0,0,1] op_sel_hi:[1,1,0] neg_lo:[0,0,1] neg_hi:[0,0,1]
	v_pk_fma_f32 v[116:117], v[116:117], v[106:107], v[120:121] op_sel:[0,0,1] op_sel_hi:[1,0,0]
	v_mov_b32_e32 v123, v117
	v_pk_mul_f32 v[116:117], v[118:119], v[108:109] op_sel:[0,1]
	s_delay_alu instid0(VALU_DEP_2) | instskip(NEXT) | instid1(VALU_DEP_2)
	v_pk_add_f32 v[80:81], v[80:81], v[122:123] neg_lo:[0,1] neg_hi:[0,1]
	v_pk_fma_f32 v[120:121], v[118:119], v[106:107], v[116:117] op_sel:[0,0,1] op_sel_hi:[1,1,0] neg_lo:[0,0,1] neg_hi:[0,0,1]
	v_pk_fma_f32 v[116:117], v[118:119], v[106:107], v[116:117] op_sel:[0,0,1] op_sel_hi:[1,0,0]
	s_delay_alu instid0(VALU_DEP_1) | instskip(SKIP_4) | instid1(VALU_DEP_1)
	v_mov_b32_e32 v121, v117
	ds_load_2addr_b64 v[116:119], v110 offset0:34 offset1:35
	v_pk_add_f32 v[24:25], v[24:25], v[120:121] neg_lo:[0,1] neg_hi:[0,1]
	s_wait_dscnt 0x0
	v_pk_mul_f32 v[120:121], v[116:117], v[108:109] op_sel:[0,1]
	v_pk_fma_f32 v[122:123], v[116:117], v[106:107], v[120:121] op_sel:[0,0,1] op_sel_hi:[1,1,0] neg_lo:[0,0,1] neg_hi:[0,0,1]
	v_pk_fma_f32 v[116:117], v[116:117], v[106:107], v[120:121] op_sel:[0,0,1] op_sel_hi:[1,0,0]
	v_dual_mul_f32 v120, v119, v109 :: v_dual_mov_b32 v116, v119
	s_delay_alu instid0(VALU_DEP_2) | instskip(NEXT) | instid1(VALU_DEP_2)
	v_dual_mov_b32 v123, v117 :: v_dual_mov_b32 v117, v118
	v_pk_fma_f32 v[120:121], v[118:119], v[48:49], v[120:121] op_sel_hi:[1,1,0] neg_lo:[0,0,1] neg_hi:[0,0,1]
	v_mul_f32_e32 v118, v119, v106
	s_delay_alu instid0(VALU_DEP_3) | instskip(NEXT) | instid1(VALU_DEP_2)
	v_pk_add_f32 v[26:27], v[26:27], v[122:123] neg_lo:[0,1] neg_hi:[0,1]
	v_pk_fma_f32 v[116:117], v[116:117], v[48:49], v[118:119] op_sel_hi:[1,1,0]
	s_delay_alu instid0(VALU_DEP_1) | instskip(SKIP_4) | instid1(VALU_DEP_1)
	v_mov_b32_e32 v121, v117
	ds_load_2addr_b64 v[116:119], v110 offset0:36 offset1:37
	v_pk_add_f32 v[22:23], v[22:23], v[120:121] neg_lo:[0,1] neg_hi:[0,1]
	s_wait_dscnt 0x0
	v_pk_mul_f32 v[120:121], v[116:117], v[108:109] op_sel:[0,1]
	v_pk_fma_f32 v[122:123], v[116:117], v[106:107], v[120:121] op_sel:[0,0,1] op_sel_hi:[1,1,0] neg_lo:[0,0,1] neg_hi:[0,0,1]
	v_pk_fma_f32 v[116:117], v[116:117], v[106:107], v[120:121] op_sel:[0,0,1] op_sel_hi:[1,0,0]
	s_delay_alu instid0(VALU_DEP_1) | instskip(SKIP_1) | instid1(VALU_DEP_1)
	v_mov_b32_e32 v123, v117
	v_pk_mul_f32 v[116:117], v[118:119], v[108:109] op_sel:[0,1]
	v_pk_fma_f32 v[120:121], v[118:119], v[106:107], v[116:117] op_sel:[0,0,1] op_sel_hi:[1,1,0] neg_lo:[0,0,1] neg_hi:[0,0,1]
	v_pk_fma_f32 v[116:117], v[118:119], v[106:107], v[116:117] op_sel:[0,0,1] op_sel_hi:[1,0,0]
	s_delay_alu instid0(VALU_DEP_1)
	v_mov_b32_e32 v121, v117
	ds_load_2addr_b64 v[116:119], v110 offset0:38 offset1:39
	v_pk_add_f32 v[78:79], v[78:79], v[122:123] neg_lo:[0,1] neg_hi:[0,1]
	v_pk_add_f32 v[18:19], v[18:19], v[120:121] neg_lo:[0,1] neg_hi:[0,1]
	s_wait_dscnt 0x0
	v_pk_mul_f32 v[120:121], v[116:117], v[108:109] op_sel:[0,1]
	s_delay_alu instid0(VALU_DEP_1) | instskip(SKIP_1) | instid1(VALU_DEP_1)
	v_pk_fma_f32 v[122:123], v[116:117], v[106:107], v[120:121] op_sel:[0,0,1] op_sel_hi:[1,1,0] neg_lo:[0,0,1] neg_hi:[0,0,1]
	v_pk_fma_f32 v[116:117], v[116:117], v[106:107], v[120:121] op_sel:[0,0,1] op_sel_hi:[1,0,0]
	v_mov_b32_e32 v123, v117
	v_pk_mul_f32 v[116:117], v[118:119], v[108:109] op_sel:[0,1]
	s_delay_alu instid0(VALU_DEP_1) | instskip(SKIP_1) | instid1(VALU_DEP_1)
	v_pk_fma_f32 v[120:121], v[118:119], v[106:107], v[116:117] op_sel:[0,0,1] op_sel_hi:[1,1,0] neg_lo:[0,0,1] neg_hi:[0,0,1]
	v_pk_fma_f32 v[116:117], v[118:119], v[106:107], v[116:117] op_sel:[0,0,1] op_sel_hi:[1,0,0]
	v_mov_b32_e32 v121, v117
	ds_load_2addr_b64 v[116:119], v110 offset0:40 offset1:41
	v_pk_add_f32 v[20:21], v[20:21], v[122:123] neg_lo:[0,1] neg_hi:[0,1]
	v_pk_add_f32 v[16:17], v[16:17], v[120:121] neg_lo:[0,1] neg_hi:[0,1]
	s_wait_dscnt 0x0
	v_dual_mul_f32 v120, v117, v109 :: v_dual_mul_f32 v122, v117, v106
	s_delay_alu instid0(VALU_DEP_1) | instskip(NEXT) | instid1(VALU_DEP_2)
	v_pk_fma_f32 v[120:121], v[116:117], v[48:49], v[120:121] op_sel_hi:[1,1,0] neg_lo:[0,0,1] neg_hi:[0,0,1]
	v_pk_fma_f32 v[116:117], v[116:117], v[48:49], v[122:123] op_sel:[1,0,0] op_sel_hi:[0,1,0]
	s_delay_alu instid0(VALU_DEP_1) | instskip(SKIP_1) | instid1(VALU_DEP_2)
	v_mov_b32_e32 v121, v117
	v_pk_mul_f32 v[116:117], v[118:119], v[108:109] op_sel:[0,1]
	v_pk_add_f32 v[76:77], v[76:77], v[120:121] neg_lo:[0,1] neg_hi:[0,1]
	s_delay_alu instid0(VALU_DEP_2) | instskip(SKIP_1) | instid1(VALU_DEP_1)
	v_pk_fma_f32 v[120:121], v[118:119], v[106:107], v[116:117] op_sel:[0,0,1] op_sel_hi:[1,1,0] neg_lo:[0,0,1] neg_hi:[0,0,1]
	v_pk_fma_f32 v[116:117], v[118:119], v[106:107], v[116:117] op_sel:[0,0,1] op_sel_hi:[1,0,0]
	v_mov_b32_e32 v121, v117
	ds_load_2addr_b64 v[116:119], v110 offset0:42 offset1:43
	v_pk_add_f32 v[10:11], v[10:11], v[120:121] neg_lo:[0,1] neg_hi:[0,1]
	s_wait_dscnt 0x0
	v_pk_mul_f32 v[120:121], v[116:117], v[108:109] op_sel:[0,1]
	s_delay_alu instid0(VALU_DEP_1) | instskip(SKIP_1) | instid1(VALU_DEP_1)
	v_pk_fma_f32 v[122:123], v[116:117], v[106:107], v[120:121] op_sel:[0,0,1] op_sel_hi:[1,1,0] neg_lo:[0,0,1] neg_hi:[0,0,1]
	v_pk_fma_f32 v[116:117], v[116:117], v[106:107], v[120:121] op_sel:[0,0,1] op_sel_hi:[1,0,0]
	v_mov_b32_e32 v123, v117
	v_pk_mul_f32 v[116:117], v[118:119], v[108:109] op_sel:[0,1]
	s_delay_alu instid0(VALU_DEP_2) | instskip(NEXT) | instid1(VALU_DEP_2)
	v_pk_add_f32 v[12:13], v[12:13], v[122:123] neg_lo:[0,1] neg_hi:[0,1]
	v_pk_fma_f32 v[120:121], v[118:119], v[106:107], v[116:117] op_sel:[0,0,1] op_sel_hi:[1,1,0] neg_lo:[0,0,1] neg_hi:[0,0,1]
	v_pk_fma_f32 v[116:117], v[118:119], v[106:107], v[116:117] op_sel:[0,0,1] op_sel_hi:[1,0,0]
	s_delay_alu instid0(VALU_DEP_1) | instskip(SKIP_4) | instid1(VALU_DEP_1)
	v_mov_b32_e32 v121, v117
	ds_load_2addr_b64 v[116:119], v110 offset0:44 offset1:45
	v_pk_add_f32 v[8:9], v[8:9], v[120:121] neg_lo:[0,1] neg_hi:[0,1]
	s_wait_dscnt 0x0
	v_pk_mul_f32 v[120:121], v[116:117], v[108:109] op_sel:[0,1]
	v_pk_fma_f32 v[122:123], v[116:117], v[106:107], v[120:121] op_sel:[0,0,1] op_sel_hi:[1,1,0] neg_lo:[0,0,1] neg_hi:[0,0,1]
	v_pk_fma_f32 v[116:117], v[116:117], v[106:107], v[120:121] op_sel:[0,0,1] op_sel_hi:[1,0,0]
	v_dual_mul_f32 v120, v119, v109 :: v_dual_mov_b32 v116, v119
	s_delay_alu instid0(VALU_DEP_2) | instskip(NEXT) | instid1(VALU_DEP_2)
	v_dual_mov_b32 v123, v117 :: v_dual_mov_b32 v117, v118
	v_pk_fma_f32 v[120:121], v[118:119], v[48:49], v[120:121] op_sel_hi:[1,1,0] neg_lo:[0,0,1] neg_hi:[0,0,1]
	v_mul_f32_e32 v118, v119, v106
	s_delay_alu instid0(VALU_DEP_3) | instskip(NEXT) | instid1(VALU_DEP_2)
	v_pk_add_f32 v[70:71], v[70:71], v[122:123] neg_lo:[0,1] neg_hi:[0,1]
	v_pk_fma_f32 v[116:117], v[116:117], v[48:49], v[118:119] op_sel_hi:[1,1,0]
	s_delay_alu instid0(VALU_DEP_1) | instskip(SKIP_4) | instid1(VALU_DEP_1)
	v_mov_b32_e32 v121, v117
	ds_load_2addr_b64 v[116:119], v110 offset0:46 offset1:47
	v_pk_add_f32 v[6:7], v[6:7], v[120:121] neg_lo:[0,1] neg_hi:[0,1]
	s_wait_dscnt 0x0
	v_pk_mul_f32 v[120:121], v[116:117], v[108:109] op_sel:[0,1]
	v_pk_fma_f32 v[122:123], v[116:117], v[106:107], v[120:121] op_sel:[0,0,1] op_sel_hi:[1,1,0] neg_lo:[0,0,1] neg_hi:[0,0,1]
	v_pk_fma_f32 v[116:117], v[116:117], v[106:107], v[120:121] op_sel:[0,0,1] op_sel_hi:[1,0,0]
	s_delay_alu instid0(VALU_DEP_1) | instskip(SKIP_1) | instid1(VALU_DEP_1)
	v_mov_b32_e32 v123, v117
	v_pk_mul_f32 v[116:117], v[118:119], v[108:109] op_sel:[0,1]
	v_pk_fma_f32 v[120:121], v[118:119], v[106:107], v[116:117] op_sel:[0,0,1] op_sel_hi:[1,1,0] neg_lo:[0,0,1] neg_hi:[0,0,1]
	v_pk_fma_f32 v[116:117], v[118:119], v[106:107], v[116:117] op_sel:[0,0,1] op_sel_hi:[1,0,0]
	s_delay_alu instid0(VALU_DEP_1)
	v_mov_b32_e32 v121, v117
	ds_load_2addr_b64 v[116:119], v110 offset0:48 offset1:49
	v_pk_add_f32 v[46:47], v[46:47], v[122:123] neg_lo:[0,1] neg_hi:[0,1]
	v_pk_add_f32 v[28:29], v[28:29], v[120:121] neg_lo:[0,1] neg_hi:[0,1]
	s_wait_dscnt 0x0
	v_pk_mul_f32 v[120:121], v[116:117], v[108:109] op_sel:[0,1]
	v_pk_mul_f32 v[108:109], v[118:119], v[108:109] op_sel:[0,1]
	s_delay_alu instid0(VALU_DEP_2) | instskip(SKIP_1) | instid1(VALU_DEP_1)
	v_pk_fma_f32 v[122:123], v[116:117], v[106:107], v[120:121] op_sel:[0,0,1] op_sel_hi:[1,1,0] neg_lo:[0,0,1] neg_hi:[0,0,1]
	v_pk_fma_f32 v[116:117], v[116:117], v[106:107], v[120:121] op_sel:[0,0,1] op_sel_hi:[1,0,0]
	v_mov_b32_e32 v123, v117
	s_delay_alu instid0(VALU_DEP_4) | instskip(SKIP_1) | instid1(VALU_DEP_1)
	v_pk_fma_f32 v[116:117], v[118:119], v[106:107], v[108:109] op_sel:[0,0,1] op_sel_hi:[1,1,0] neg_lo:[0,0,1] neg_hi:[0,0,1]
	v_pk_fma_f32 v[106:107], v[118:119], v[106:107], v[108:109] op_sel:[0,0,1] op_sel_hi:[1,0,0]
	v_mov_b32_e32 v117, v107
	s_delay_alu instid0(VALU_DEP_4) | instskip(NEXT) | instid1(VALU_DEP_2)
	v_pk_add_f32 v[14:15], v[14:15], v[122:123] neg_lo:[0,1] neg_hi:[0,1]
	v_pk_add_f32 v[104:105], v[104:105], v[116:117] neg_lo:[0,1] neg_hi:[0,1]
.LBB98_251:
	s_or_b32 exec_lo, exec_lo, s0
	v_lshl_add_u32 v106, v114, 3, v110
	s_barrier_signal -1
	s_barrier_wait -1
	ds_store_b64 v106, v[94:95]
	s_wait_dscnt 0x0
	s_barrier_signal -1
	s_barrier_wait -1
	ds_load_b64 v[108:109], v110 offset:96
	v_mov_b32_e32 v106, 12
	s_cmp_lt_i32 s18, 14
	s_cbranch_scc1 .LBB98_254
; %bb.252:
	v_add3_u32 v107, v111, 0, 0x68
	v_mov_b32_e32 v106, 12
	s_mov_b32 s0, 13
.LBB98_253:                             ; =>This Inner Loop Header: Depth=1
	ds_load_b64 v[116:117], v107
	s_wait_dscnt 0x1
	v_cmp_gt_f32_e32 vcc_lo, 0, v108
	v_cndmask_b32_e64 v118, v108, -v108, vcc_lo
	v_cmp_gt_f32_e32 vcc_lo, 0, v109
	v_cndmask_b32_e64 v120, v109, -v109, vcc_lo
	s_wait_dscnt 0x0
	v_cmp_gt_f32_e32 vcc_lo, 0, v116
	v_cndmask_b32_e64 v119, v116, -v116, vcc_lo
	v_cmp_gt_f32_e32 vcc_lo, 0, v117
	v_cndmask_b32_e64 v121, v117, -v117, vcc_lo
	s_delay_alu instid0(VALU_DEP_1) | instskip(NEXT) | instid1(VALU_DEP_1)
	v_pk_add_f32 v[118:119], v[118:119], v[120:121]
	v_cmp_lt_f32_e32 vcc_lo, v118, v119
	v_dual_add_nc_u32 v107, 8, v107 :: v_dual_cndmask_b32 v109, v109, v117, vcc_lo
	v_cndmask_b32_e32 v108, v108, v116, vcc_lo
	v_cndmask_b32_e64 v106, v106, s0, vcc_lo
	s_add_co_i32 s0, s0, 1
	s_delay_alu instid0(SALU_CYCLE_1)
	s_cmp_lg_u32 s18, s0
	s_cbranch_scc1 .LBB98_253
.LBB98_254:
	s_wait_dscnt 0x0
	v_cmp_eq_f32_e32 vcc_lo, 0, v108
	v_cmp_eq_f32_e64 s0, 0, v109
	s_and_b32 s0, vcc_lo, s0
	s_delay_alu instid0(SALU_CYCLE_1) | instskip(NEXT) | instid1(SALU_CYCLE_1)
	s_and_saveexec_b32 s1, s0
	s_xor_b32 s0, exec_lo, s1
; %bb.255:
	v_cmp_ne_u32_e32 vcc_lo, 0, v112
	v_cndmask_b32_e32 v112, 13, v112, vcc_lo
; %bb.256:
	s_and_not1_saveexec_b32 s0, s0
	s_cbranch_execz .LBB98_262
; %bb.257:
	v_cmp_ngt_f32_e64 s1, |v108|, |v109|
	s_and_saveexec_b32 s12, s1
	s_delay_alu instid0(SALU_CYCLE_1)
	s_xor_b32 s1, exec_lo, s12
	s_cbranch_execz .LBB98_259
; %bb.258:
	v_div_scale_f32 v107, null, v109, v109, v108
	v_div_scale_f32 v117, vcc_lo, v108, v109, v108
	s_delay_alu instid0(VALU_DEP_2) | instskip(SKIP_1) | instid1(TRANS32_DEP_1)
	v_rcp_f32_e32 v115, v107
	v_nop
	v_fma_f32 v116, -v107, v115, 1.0
	s_delay_alu instid0(VALU_DEP_1) | instskip(NEXT) | instid1(VALU_DEP_1)
	v_fmac_f32_e32 v115, v116, v115
	v_mul_f32_e32 v116, v117, v115
	s_delay_alu instid0(VALU_DEP_1) | instskip(NEXT) | instid1(VALU_DEP_1)
	v_fma_f32 v118, -v107, v116, v117
	v_fmac_f32_e32 v116, v118, v115
	s_delay_alu instid0(VALU_DEP_1) | instskip(NEXT) | instid1(VALU_DEP_1)
	v_fma_f32 v107, -v107, v116, v117
	v_div_fmas_f32 v107, v107, v115, v116
	s_delay_alu instid0(VALU_DEP_1) | instskip(NEXT) | instid1(VALU_DEP_1)
	v_div_fixup_f32 v107, v107, v109, v108
	v_fmac_f32_e32 v109, v108, v107
	s_delay_alu instid0(VALU_DEP_1) | instskip(SKIP_1) | instid1(VALU_DEP_2)
	v_div_scale_f32 v108, null, v109, v109, 1.0
	v_div_scale_f32 v117, vcc_lo, 1.0, v109, 1.0
	v_rcp_f32_e32 v115, v108
	v_nop
	s_delay_alu instid0(TRANS32_DEP_1) | instskip(NEXT) | instid1(VALU_DEP_1)
	v_fma_f32 v116, -v108, v115, 1.0
	v_fmac_f32_e32 v115, v116, v115
	s_delay_alu instid0(VALU_DEP_1) | instskip(NEXT) | instid1(VALU_DEP_1)
	v_mul_f32_e32 v116, v117, v115
	v_fma_f32 v118, -v108, v116, v117
	s_delay_alu instid0(VALU_DEP_1) | instskip(NEXT) | instid1(VALU_DEP_1)
	v_fmac_f32_e32 v116, v118, v115
	v_fma_f32 v108, -v108, v116, v117
	s_delay_alu instid0(VALU_DEP_1) | instskip(NEXT) | instid1(VALU_DEP_1)
	v_div_fmas_f32 v108, v108, v115, v116
	v_div_fixup_f32 v109, v108, v109, 1.0
	s_delay_alu instid0(VALU_DEP_1)
	v_mul_f32_e32 v108, v107, v109
	v_xor_b32_e32 v109, 0x80000000, v109
.LBB98_259:
	s_and_not1_saveexec_b32 s1, s1
	s_cbranch_execz .LBB98_261
; %bb.260:
	s_delay_alu instid0(VALU_DEP_1) | instskip(SKIP_1) | instid1(VALU_DEP_2)
	v_div_scale_f32 v107, null, v108, v108, v109
	v_div_scale_f32 v117, vcc_lo, v109, v108, v109
	v_rcp_f32_e32 v115, v107
	v_nop
	s_delay_alu instid0(TRANS32_DEP_1) | instskip(NEXT) | instid1(VALU_DEP_1)
	v_fma_f32 v116, -v107, v115, 1.0
	v_fmac_f32_e32 v115, v116, v115
	s_delay_alu instid0(VALU_DEP_1) | instskip(NEXT) | instid1(VALU_DEP_1)
	v_mul_f32_e32 v116, v117, v115
	v_fma_f32 v118, -v107, v116, v117
	s_delay_alu instid0(VALU_DEP_1) | instskip(NEXT) | instid1(VALU_DEP_1)
	v_fmac_f32_e32 v116, v118, v115
	v_fma_f32 v107, -v107, v116, v117
	s_delay_alu instid0(VALU_DEP_1) | instskip(NEXT) | instid1(VALU_DEP_1)
	v_div_fmas_f32 v107, v107, v115, v116
	v_div_fixup_f32 v107, v107, v108, v109
	s_delay_alu instid0(VALU_DEP_1) | instskip(NEXT) | instid1(VALU_DEP_1)
	v_fmac_f32_e32 v108, v109, v107
	v_div_scale_f32 v109, null, v108, v108, 1.0
	s_delay_alu instid0(VALU_DEP_1) | instskip(SKIP_1) | instid1(TRANS32_DEP_1)
	v_rcp_f32_e32 v115, v109
	v_nop
	v_fma_f32 v116, -v109, v115, 1.0
	s_delay_alu instid0(VALU_DEP_1) | instskip(SKIP_1) | instid1(VALU_DEP_1)
	v_fmac_f32_e32 v115, v116, v115
	v_div_scale_f32 v116, vcc_lo, 1.0, v108, 1.0
	v_mul_f32_e32 v117, v116, v115
	s_delay_alu instid0(VALU_DEP_1) | instskip(NEXT) | instid1(VALU_DEP_1)
	v_fma_f32 v118, -v109, v117, v116
	v_fmac_f32_e32 v117, v118, v115
	s_delay_alu instid0(VALU_DEP_1) | instskip(NEXT) | instid1(VALU_DEP_1)
	v_fma_f32 v109, -v109, v117, v116
	v_div_fmas_f32 v109, v109, v115, v117
	s_delay_alu instid0(VALU_DEP_1) | instskip(NEXT) | instid1(VALU_DEP_1)
	v_div_fixup_f32 v108, v109, v108, 1.0
	v_mul_f32_e64 v109, v107, -v108
.LBB98_261:
	s_or_b32 exec_lo, exec_lo, s1
.LBB98_262:
	s_delay_alu instid0(SALU_CYCLE_1) | instskip(NEXT) | instid1(SALU_CYCLE_1)
	s_or_b32 exec_lo, exec_lo, s0
	s_mov_b32 s0, exec_lo
	v_cmpx_ne_u32_e64 v114, v106
	s_xor_b32 s0, exec_lo, s0
	s_cbranch_execz .LBB98_268
; %bb.263:
	s_mov_b32 s1, exec_lo
	v_cmpx_eq_u32_e32 12, v114
	s_cbranch_execz .LBB98_267
; %bb.264:
	v_cmp_ne_u32_e32 vcc_lo, 12, v106
	s_xor_b32 s12, s16, -1
	s_delay_alu instid0(SALU_CYCLE_1) | instskip(NEXT) | instid1(SALU_CYCLE_1)
	s_and_b32 s13, s12, vcc_lo
	s_and_saveexec_b32 s12, s13
	s_cbranch_execz .LBB98_266
; %bb.265:
	v_ashrrev_i32_e32 v107, 31, v106
	s_delay_alu instid0(VALU_DEP_1)
	v_lshl_add_u64 v[114:115], v[106:107], 2, v[4:5]
	s_clause 0x1
	global_load_b32 v107, v[114:115], off
	global_load_b32 v113, v[4:5], off offset:48
	s_wait_loadcnt 0x1
	global_store_b32 v[4:5], v107, off offset:48
	s_wait_loadcnt 0x0
	global_store_b32 v[114:115], v113, off
.LBB98_266:
	s_wait_xcnt 0x0
	s_or_b32 exec_lo, exec_lo, s12
	v_dual_mov_b32 v114, v106 :: v_dual_mov_b32 v113, v106
.LBB98_267:
	s_or_b32 exec_lo, exec_lo, s1
.LBB98_268:
	s_and_not1_saveexec_b32 s0, s0
	s_cbranch_execz .LBB98_270
; %bb.269:
	v_mov_b32_e32 v114, 12
	ds_store_2addr_b64 v110, v[68:69], v[72:73] offset0:13 offset1:14
	ds_store_2addr_b64 v110, v[66:67], v[92:93] offset0:15 offset1:16
	;; [unrolled: 1-line block ×18, first 2 shown]
	ds_store_b64 v110, v[104:105] offset:392
.LBB98_270:
	s_or_b32 exec_lo, exec_lo, s0
	s_delay_alu instid0(SALU_CYCLE_1)
	s_mov_b32 s0, exec_lo
	s_wait_storecnt_dscnt 0x0
	s_barrier_signal -1
	s_barrier_wait -1
	v_cmpx_lt_i32_e32 12, v114
	s_cbranch_execz .LBB98_272
; %bb.271:
	v_pk_mul_f32 v[116:117], v[108:109], v[94:95] op_sel:[1,1] op_sel_hi:[0,1]
	s_delay_alu instid0(VALU_DEP_1)
	v_pk_fma_f32 v[106:107], v[108:109], v[94:95], v[116:117] op_sel_hi:[1,0,1] neg_lo:[0,0,1] neg_hi:[0,0,1]
	v_pk_fma_f32 v[108:109], v[108:109], v[94:95], v[116:117] op_sel_hi:[1,0,1]
	ds_load_2addr_b64 v[116:119], v110 offset0:13 offset1:14
	v_dual_mov_b32 v94, v106 :: v_dual_mov_b32 v95, v109
	s_wait_dscnt 0x0
	v_pk_mul_f32 v[120:121], v[116:117], v[108:109] op_sel:[0,1]
	s_delay_alu instid0(VALU_DEP_1) | instskip(SKIP_1) | instid1(VALU_DEP_1)
	v_pk_fma_f32 v[122:123], v[116:117], v[106:107], v[120:121] op_sel:[0,0,1] op_sel_hi:[1,1,0] neg_lo:[0,0,1] neg_hi:[0,0,1]
	v_pk_fma_f32 v[116:117], v[116:117], v[106:107], v[120:121] op_sel:[0,0,1] op_sel_hi:[1,0,0]
	v_mov_b32_e32 v123, v117
	v_pk_mul_f32 v[116:117], v[118:119], v[108:109] op_sel:[0,1]
	s_delay_alu instid0(VALU_DEP_1) | instskip(SKIP_1) | instid1(VALU_DEP_1)
	v_pk_fma_f32 v[120:121], v[118:119], v[106:107], v[116:117] op_sel:[0,0,1] op_sel_hi:[1,1,0] neg_lo:[0,0,1] neg_hi:[0,0,1]
	v_pk_fma_f32 v[116:117], v[118:119], v[106:107], v[116:117] op_sel:[0,0,1] op_sel_hi:[1,0,0]
	v_mov_b32_e32 v121, v117
	ds_load_2addr_b64 v[116:119], v110 offset0:15 offset1:16
	v_pk_add_f32 v[68:69], v[68:69], v[122:123] neg_lo:[0,1] neg_hi:[0,1]
	v_pk_add_f32 v[72:73], v[72:73], v[120:121] neg_lo:[0,1] neg_hi:[0,1]
	s_wait_dscnt 0x0
	v_pk_mul_f32 v[120:121], v[116:117], v[108:109] op_sel:[0,1]
	s_delay_alu instid0(VALU_DEP_1) | instskip(SKIP_2) | instid1(VALU_DEP_2)
	v_pk_fma_f32 v[122:123], v[116:117], v[106:107], v[120:121] op_sel:[0,0,1] op_sel_hi:[1,1,0] neg_lo:[0,0,1] neg_hi:[0,0,1]
	v_pk_fma_f32 v[116:117], v[116:117], v[106:107], v[120:121] op_sel:[0,0,1] op_sel_hi:[1,0,0]
	v_dual_mul_f32 v120, v119, v109 :: v_dual_mov_b32 v116, v119
	v_dual_mov_b32 v123, v117 :: v_dual_mov_b32 v117, v118
	s_delay_alu instid0(VALU_DEP_2) | instskip(SKIP_1) | instid1(VALU_DEP_3)
	v_pk_fma_f32 v[120:121], v[118:119], v[94:95], v[120:121] op_sel_hi:[1,1,0] neg_lo:[0,0,1] neg_hi:[0,0,1]
	v_mul_f32_e32 v118, v119, v106
	v_pk_add_f32 v[66:67], v[66:67], v[122:123] neg_lo:[0,1] neg_hi:[0,1]
	s_delay_alu instid0(VALU_DEP_2) | instskip(NEXT) | instid1(VALU_DEP_1)
	v_pk_fma_f32 v[116:117], v[116:117], v[94:95], v[118:119] op_sel_hi:[1,1,0]
	v_mov_b32_e32 v121, v117
	ds_load_2addr_b64 v[116:119], v110 offset0:17 offset1:18
	v_pk_add_f32 v[92:93], v[92:93], v[120:121] neg_lo:[0,1] neg_hi:[0,1]
	s_wait_dscnt 0x0
	v_pk_mul_f32 v[120:121], v[116:117], v[108:109] op_sel:[0,1]
	s_delay_alu instid0(VALU_DEP_1) | instskip(SKIP_1) | instid1(VALU_DEP_1)
	v_pk_fma_f32 v[122:123], v[116:117], v[106:107], v[120:121] op_sel:[0,0,1] op_sel_hi:[1,1,0] neg_lo:[0,0,1] neg_hi:[0,0,1]
	v_pk_fma_f32 v[116:117], v[116:117], v[106:107], v[120:121] op_sel:[0,0,1] op_sel_hi:[1,0,0]
	v_mov_b32_e32 v123, v117
	v_pk_mul_f32 v[116:117], v[118:119], v[108:109] op_sel:[0,1]
	s_delay_alu instid0(VALU_DEP_1) | instskip(SKIP_1) | instid1(VALU_DEP_1)
	v_pk_fma_f32 v[120:121], v[118:119], v[106:107], v[116:117] op_sel:[0,0,1] op_sel_hi:[1,1,0] neg_lo:[0,0,1] neg_hi:[0,0,1]
	v_pk_fma_f32 v[116:117], v[118:119], v[106:107], v[116:117] op_sel:[0,0,1] op_sel_hi:[1,0,0]
	v_mov_b32_e32 v121, v117
	ds_load_2addr_b64 v[116:119], v110 offset0:19 offset1:20
	v_pk_add_f32 v[62:63], v[62:63], v[122:123] neg_lo:[0,1] neg_hi:[0,1]
	v_pk_add_f32 v[64:65], v[64:65], v[120:121] neg_lo:[0,1] neg_hi:[0,1]
	s_wait_dscnt 0x0
	v_pk_mul_f32 v[120:121], v[116:117], v[108:109] op_sel:[0,1]
	s_delay_alu instid0(VALU_DEP_1) | instskip(SKIP_1) | instid1(VALU_DEP_1)
	v_pk_fma_f32 v[122:123], v[116:117], v[106:107], v[120:121] op_sel:[0,0,1] op_sel_hi:[1,1,0] neg_lo:[0,0,1] neg_hi:[0,0,1]
	v_pk_fma_f32 v[116:117], v[116:117], v[106:107], v[120:121] op_sel:[0,0,1] op_sel_hi:[1,0,0]
	v_mov_b32_e32 v123, v117
	v_pk_mul_f32 v[116:117], v[118:119], v[108:109] op_sel:[0,1]
	s_delay_alu instid0(VALU_DEP_1) | instskip(SKIP_1) | instid1(VALU_DEP_1)
	v_pk_fma_f32 v[120:121], v[118:119], v[106:107], v[116:117] op_sel:[0,0,1] op_sel_hi:[1,1,0] neg_lo:[0,0,1] neg_hi:[0,0,1]
	v_pk_fma_f32 v[116:117], v[118:119], v[106:107], v[116:117] op_sel:[0,0,1] op_sel_hi:[1,0,0]
	v_mov_b32_e32 v121, v117
	ds_load_2addr_b64 v[116:119], v110 offset0:21 offset1:22
	v_pk_add_f32 v[60:61], v[60:61], v[122:123] neg_lo:[0,1] neg_hi:[0,1]
	v_pk_add_f32 v[90:91], v[90:91], v[120:121] neg_lo:[0,1] neg_hi:[0,1]
	s_wait_dscnt 0x0
	v_dual_mul_f32 v120, v117, v109 :: v_dual_mul_f32 v122, v117, v106
	s_delay_alu instid0(VALU_DEP_1) | instskip(NEXT) | instid1(VALU_DEP_2)
	v_pk_fma_f32 v[120:121], v[116:117], v[94:95], v[120:121] op_sel_hi:[1,1,0] neg_lo:[0,0,1] neg_hi:[0,0,1]
	v_pk_fma_f32 v[116:117], v[116:117], v[94:95], v[122:123] op_sel:[1,0,0] op_sel_hi:[0,1,0]
	s_delay_alu instid0(VALU_DEP_1) | instskip(SKIP_1) | instid1(VALU_DEP_2)
	v_mov_b32_e32 v121, v117
	v_pk_mul_f32 v[116:117], v[118:119], v[108:109] op_sel:[0,1]
	v_pk_add_f32 v[56:57], v[56:57], v[120:121] neg_lo:[0,1] neg_hi:[0,1]
	s_delay_alu instid0(VALU_DEP_2) | instskip(SKIP_1) | instid1(VALU_DEP_1)
	v_pk_fma_f32 v[120:121], v[118:119], v[106:107], v[116:117] op_sel:[0,0,1] op_sel_hi:[1,1,0] neg_lo:[0,0,1] neg_hi:[0,0,1]
	v_pk_fma_f32 v[116:117], v[118:119], v[106:107], v[116:117] op_sel:[0,0,1] op_sel_hi:[1,0,0]
	v_mov_b32_e32 v121, v117
	ds_load_2addr_b64 v[116:119], v110 offset0:23 offset1:24
	v_pk_add_f32 v[58:59], v[58:59], v[120:121] neg_lo:[0,1] neg_hi:[0,1]
	s_wait_dscnt 0x0
	v_pk_mul_f32 v[120:121], v[116:117], v[108:109] op_sel:[0,1]
	s_delay_alu instid0(VALU_DEP_1) | instskip(SKIP_1) | instid1(VALU_DEP_1)
	v_pk_fma_f32 v[122:123], v[116:117], v[106:107], v[120:121] op_sel:[0,0,1] op_sel_hi:[1,1,0] neg_lo:[0,0,1] neg_hi:[0,0,1]
	v_pk_fma_f32 v[116:117], v[116:117], v[106:107], v[120:121] op_sel:[0,0,1] op_sel_hi:[1,0,0]
	v_mov_b32_e32 v123, v117
	v_pk_mul_f32 v[116:117], v[118:119], v[108:109] op_sel:[0,1]
	s_delay_alu instid0(VALU_DEP_2) | instskip(NEXT) | instid1(VALU_DEP_2)
	v_pk_add_f32 v[54:55], v[54:55], v[122:123] neg_lo:[0,1] neg_hi:[0,1]
	v_pk_fma_f32 v[120:121], v[118:119], v[106:107], v[116:117] op_sel:[0,0,1] op_sel_hi:[1,1,0] neg_lo:[0,0,1] neg_hi:[0,0,1]
	v_pk_fma_f32 v[116:117], v[118:119], v[106:107], v[116:117] op_sel:[0,0,1] op_sel_hi:[1,0,0]
	s_delay_alu instid0(VALU_DEP_1) | instskip(SKIP_4) | instid1(VALU_DEP_1)
	v_mov_b32_e32 v121, v117
	ds_load_2addr_b64 v[116:119], v110 offset0:25 offset1:26
	v_pk_add_f32 v[86:87], v[86:87], v[120:121] neg_lo:[0,1] neg_hi:[0,1]
	s_wait_dscnt 0x0
	v_pk_mul_f32 v[120:121], v[116:117], v[108:109] op_sel:[0,1]
	v_pk_fma_f32 v[122:123], v[116:117], v[106:107], v[120:121] op_sel:[0,0,1] op_sel_hi:[1,1,0] neg_lo:[0,0,1] neg_hi:[0,0,1]
	v_pk_fma_f32 v[116:117], v[116:117], v[106:107], v[120:121] op_sel:[0,0,1] op_sel_hi:[1,0,0]
	v_dual_mul_f32 v120, v119, v109 :: v_dual_mov_b32 v116, v119
	s_delay_alu instid0(VALU_DEP_2) | instskip(NEXT) | instid1(VALU_DEP_2)
	v_dual_mov_b32 v123, v117 :: v_dual_mov_b32 v117, v118
	v_pk_fma_f32 v[120:121], v[118:119], v[94:95], v[120:121] op_sel_hi:[1,1,0] neg_lo:[0,0,1] neg_hi:[0,0,1]
	v_mul_f32_e32 v118, v119, v106
	s_delay_alu instid0(VALU_DEP_3) | instskip(NEXT) | instid1(VALU_DEP_2)
	v_pk_add_f32 v[38:39], v[38:39], v[122:123] neg_lo:[0,1] neg_hi:[0,1]
	v_pk_fma_f32 v[116:117], v[116:117], v[94:95], v[118:119] op_sel_hi:[1,1,0]
	s_delay_alu instid0(VALU_DEP_1) | instskip(SKIP_4) | instid1(VALU_DEP_1)
	v_mov_b32_e32 v121, v117
	ds_load_2addr_b64 v[116:119], v110 offset0:27 offset1:28
	v_pk_add_f32 v[42:43], v[42:43], v[120:121] neg_lo:[0,1] neg_hi:[0,1]
	s_wait_dscnt 0x0
	v_pk_mul_f32 v[120:121], v[116:117], v[108:109] op_sel:[0,1]
	v_pk_fma_f32 v[122:123], v[116:117], v[106:107], v[120:121] op_sel:[0,0,1] op_sel_hi:[1,1,0] neg_lo:[0,0,1] neg_hi:[0,0,1]
	v_pk_fma_f32 v[116:117], v[116:117], v[106:107], v[120:121] op_sel:[0,0,1] op_sel_hi:[1,0,0]
	s_delay_alu instid0(VALU_DEP_1) | instskip(SKIP_1) | instid1(VALU_DEP_1)
	v_mov_b32_e32 v123, v117
	v_pk_mul_f32 v[116:117], v[118:119], v[108:109] op_sel:[0,1]
	v_pk_fma_f32 v[120:121], v[118:119], v[106:107], v[116:117] op_sel:[0,0,1] op_sel_hi:[1,1,0] neg_lo:[0,0,1] neg_hi:[0,0,1]
	v_pk_fma_f32 v[116:117], v[118:119], v[106:107], v[116:117] op_sel:[0,0,1] op_sel_hi:[1,0,0]
	s_delay_alu instid0(VALU_DEP_1)
	v_mov_b32_e32 v121, v117
	ds_load_2addr_b64 v[116:119], v110 offset0:29 offset1:30
	v_pk_add_f32 v[36:37], v[36:37], v[122:123] neg_lo:[0,1] neg_hi:[0,1]
	v_pk_add_f32 v[82:83], v[82:83], v[120:121] neg_lo:[0,1] neg_hi:[0,1]
	s_wait_dscnt 0x0
	v_pk_mul_f32 v[120:121], v[116:117], v[108:109] op_sel:[0,1]
	s_delay_alu instid0(VALU_DEP_1) | instskip(SKIP_1) | instid1(VALU_DEP_1)
	v_pk_fma_f32 v[122:123], v[116:117], v[106:107], v[120:121] op_sel:[0,0,1] op_sel_hi:[1,1,0] neg_lo:[0,0,1] neg_hi:[0,0,1]
	v_pk_fma_f32 v[116:117], v[116:117], v[106:107], v[120:121] op_sel:[0,0,1] op_sel_hi:[1,0,0]
	v_mov_b32_e32 v123, v117
	v_pk_mul_f32 v[116:117], v[118:119], v[108:109] op_sel:[0,1]
	s_delay_alu instid0(VALU_DEP_1) | instskip(SKIP_1) | instid1(VALU_DEP_1)
	v_pk_fma_f32 v[120:121], v[118:119], v[106:107], v[116:117] op_sel:[0,0,1] op_sel_hi:[1,1,0] neg_lo:[0,0,1] neg_hi:[0,0,1]
	v_pk_fma_f32 v[116:117], v[118:119], v[106:107], v[116:117] op_sel:[0,0,1] op_sel_hi:[1,0,0]
	v_mov_b32_e32 v121, v117
	ds_load_2addr_b64 v[116:119], v110 offset0:31 offset1:32
	v_pk_add_f32 v[32:33], v[32:33], v[122:123] neg_lo:[0,1] neg_hi:[0,1]
	v_pk_add_f32 v[34:35], v[34:35], v[120:121] neg_lo:[0,1] neg_hi:[0,1]
	s_wait_dscnt 0x0
	v_dual_mul_f32 v120, v117, v109 :: v_dual_mul_f32 v122, v117, v106
	s_delay_alu instid0(VALU_DEP_1) | instskip(NEXT) | instid1(VALU_DEP_2)
	v_pk_fma_f32 v[120:121], v[116:117], v[94:95], v[120:121] op_sel_hi:[1,1,0] neg_lo:[0,0,1] neg_hi:[0,0,1]
	v_pk_fma_f32 v[116:117], v[116:117], v[94:95], v[122:123] op_sel:[1,0,0] op_sel_hi:[0,1,0]
	s_delay_alu instid0(VALU_DEP_1) | instskip(SKIP_1) | instid1(VALU_DEP_2)
	v_mov_b32_e32 v121, v117
	v_pk_mul_f32 v[116:117], v[118:119], v[108:109] op_sel:[0,1]
	v_pk_add_f32 v[30:31], v[30:31], v[120:121] neg_lo:[0,1] neg_hi:[0,1]
	s_delay_alu instid0(VALU_DEP_2) | instskip(SKIP_1) | instid1(VALU_DEP_1)
	v_pk_fma_f32 v[120:121], v[118:119], v[106:107], v[116:117] op_sel:[0,0,1] op_sel_hi:[1,1,0] neg_lo:[0,0,1] neg_hi:[0,0,1]
	v_pk_fma_f32 v[116:117], v[118:119], v[106:107], v[116:117] op_sel:[0,0,1] op_sel_hi:[1,0,0]
	v_mov_b32_e32 v121, v117
	ds_load_2addr_b64 v[116:119], v110 offset0:33 offset1:34
	v_pk_add_f32 v[80:81], v[80:81], v[120:121] neg_lo:[0,1] neg_hi:[0,1]
	s_wait_dscnt 0x0
	v_pk_mul_f32 v[120:121], v[116:117], v[108:109] op_sel:[0,1]
	s_delay_alu instid0(VALU_DEP_1) | instskip(SKIP_1) | instid1(VALU_DEP_1)
	v_pk_fma_f32 v[122:123], v[116:117], v[106:107], v[120:121] op_sel:[0,0,1] op_sel_hi:[1,1,0] neg_lo:[0,0,1] neg_hi:[0,0,1]
	v_pk_fma_f32 v[116:117], v[116:117], v[106:107], v[120:121] op_sel:[0,0,1] op_sel_hi:[1,0,0]
	v_mov_b32_e32 v123, v117
	v_pk_mul_f32 v[116:117], v[118:119], v[108:109] op_sel:[0,1]
	s_delay_alu instid0(VALU_DEP_2) | instskip(NEXT) | instid1(VALU_DEP_2)
	v_pk_add_f32 v[24:25], v[24:25], v[122:123] neg_lo:[0,1] neg_hi:[0,1]
	v_pk_fma_f32 v[120:121], v[118:119], v[106:107], v[116:117] op_sel:[0,0,1] op_sel_hi:[1,1,0] neg_lo:[0,0,1] neg_hi:[0,0,1]
	v_pk_fma_f32 v[116:117], v[118:119], v[106:107], v[116:117] op_sel:[0,0,1] op_sel_hi:[1,0,0]
	s_delay_alu instid0(VALU_DEP_1) | instskip(SKIP_4) | instid1(VALU_DEP_1)
	v_mov_b32_e32 v121, v117
	ds_load_2addr_b64 v[116:119], v110 offset0:35 offset1:36
	v_pk_add_f32 v[26:27], v[26:27], v[120:121] neg_lo:[0,1] neg_hi:[0,1]
	s_wait_dscnt 0x0
	v_pk_mul_f32 v[120:121], v[116:117], v[108:109] op_sel:[0,1]
	v_pk_fma_f32 v[122:123], v[116:117], v[106:107], v[120:121] op_sel:[0,0,1] op_sel_hi:[1,1,0] neg_lo:[0,0,1] neg_hi:[0,0,1]
	v_pk_fma_f32 v[116:117], v[116:117], v[106:107], v[120:121] op_sel:[0,0,1] op_sel_hi:[1,0,0]
	v_dual_mul_f32 v120, v119, v109 :: v_dual_mov_b32 v116, v119
	s_delay_alu instid0(VALU_DEP_2) | instskip(NEXT) | instid1(VALU_DEP_2)
	v_dual_mov_b32 v123, v117 :: v_dual_mov_b32 v117, v118
	v_pk_fma_f32 v[120:121], v[118:119], v[94:95], v[120:121] op_sel_hi:[1,1,0] neg_lo:[0,0,1] neg_hi:[0,0,1]
	v_mul_f32_e32 v118, v119, v106
	s_delay_alu instid0(VALU_DEP_3) | instskip(NEXT) | instid1(VALU_DEP_2)
	v_pk_add_f32 v[22:23], v[22:23], v[122:123] neg_lo:[0,1] neg_hi:[0,1]
	v_pk_fma_f32 v[116:117], v[116:117], v[94:95], v[118:119] op_sel_hi:[1,1,0]
	s_delay_alu instid0(VALU_DEP_1) | instskip(SKIP_4) | instid1(VALU_DEP_1)
	v_mov_b32_e32 v121, v117
	ds_load_2addr_b64 v[116:119], v110 offset0:37 offset1:38
	v_pk_add_f32 v[78:79], v[78:79], v[120:121] neg_lo:[0,1] neg_hi:[0,1]
	s_wait_dscnt 0x0
	v_pk_mul_f32 v[120:121], v[116:117], v[108:109] op_sel:[0,1]
	v_pk_fma_f32 v[122:123], v[116:117], v[106:107], v[120:121] op_sel:[0,0,1] op_sel_hi:[1,1,0] neg_lo:[0,0,1] neg_hi:[0,0,1]
	v_pk_fma_f32 v[116:117], v[116:117], v[106:107], v[120:121] op_sel:[0,0,1] op_sel_hi:[1,0,0]
	s_delay_alu instid0(VALU_DEP_1) | instskip(SKIP_1) | instid1(VALU_DEP_1)
	v_mov_b32_e32 v123, v117
	v_pk_mul_f32 v[116:117], v[118:119], v[108:109] op_sel:[0,1]
	v_pk_fma_f32 v[120:121], v[118:119], v[106:107], v[116:117] op_sel:[0,0,1] op_sel_hi:[1,1,0] neg_lo:[0,0,1] neg_hi:[0,0,1]
	v_pk_fma_f32 v[116:117], v[118:119], v[106:107], v[116:117] op_sel:[0,0,1] op_sel_hi:[1,0,0]
	s_delay_alu instid0(VALU_DEP_1)
	v_mov_b32_e32 v121, v117
	ds_load_2addr_b64 v[116:119], v110 offset0:39 offset1:40
	v_pk_add_f32 v[18:19], v[18:19], v[122:123] neg_lo:[0,1] neg_hi:[0,1]
	v_pk_add_f32 v[20:21], v[20:21], v[120:121] neg_lo:[0,1] neg_hi:[0,1]
	s_wait_dscnt 0x0
	v_pk_mul_f32 v[120:121], v[116:117], v[108:109] op_sel:[0,1]
	s_delay_alu instid0(VALU_DEP_1) | instskip(SKIP_1) | instid1(VALU_DEP_1)
	v_pk_fma_f32 v[122:123], v[116:117], v[106:107], v[120:121] op_sel:[0,0,1] op_sel_hi:[1,1,0] neg_lo:[0,0,1] neg_hi:[0,0,1]
	v_pk_fma_f32 v[116:117], v[116:117], v[106:107], v[120:121] op_sel:[0,0,1] op_sel_hi:[1,0,0]
	v_mov_b32_e32 v123, v117
	v_pk_mul_f32 v[116:117], v[118:119], v[108:109] op_sel:[0,1]
	s_delay_alu instid0(VALU_DEP_1) | instskip(SKIP_1) | instid1(VALU_DEP_1)
	v_pk_fma_f32 v[120:121], v[118:119], v[106:107], v[116:117] op_sel:[0,0,1] op_sel_hi:[1,1,0] neg_lo:[0,0,1] neg_hi:[0,0,1]
	v_pk_fma_f32 v[116:117], v[118:119], v[106:107], v[116:117] op_sel:[0,0,1] op_sel_hi:[1,0,0]
	v_mov_b32_e32 v121, v117
	ds_load_2addr_b64 v[116:119], v110 offset0:41 offset1:42
	v_pk_add_f32 v[16:17], v[16:17], v[122:123] neg_lo:[0,1] neg_hi:[0,1]
	v_pk_add_f32 v[76:77], v[76:77], v[120:121] neg_lo:[0,1] neg_hi:[0,1]
	s_wait_dscnt 0x0
	v_dual_mul_f32 v120, v117, v109 :: v_dual_mul_f32 v122, v117, v106
	s_delay_alu instid0(VALU_DEP_1) | instskip(NEXT) | instid1(VALU_DEP_2)
	v_pk_fma_f32 v[120:121], v[116:117], v[94:95], v[120:121] op_sel_hi:[1,1,0] neg_lo:[0,0,1] neg_hi:[0,0,1]
	v_pk_fma_f32 v[116:117], v[116:117], v[94:95], v[122:123] op_sel:[1,0,0] op_sel_hi:[0,1,0]
	s_delay_alu instid0(VALU_DEP_1) | instskip(SKIP_1) | instid1(VALU_DEP_2)
	v_mov_b32_e32 v121, v117
	v_pk_mul_f32 v[116:117], v[118:119], v[108:109] op_sel:[0,1]
	v_pk_add_f32 v[10:11], v[10:11], v[120:121] neg_lo:[0,1] neg_hi:[0,1]
	s_delay_alu instid0(VALU_DEP_2) | instskip(SKIP_1) | instid1(VALU_DEP_1)
	v_pk_fma_f32 v[120:121], v[118:119], v[106:107], v[116:117] op_sel:[0,0,1] op_sel_hi:[1,1,0] neg_lo:[0,0,1] neg_hi:[0,0,1]
	v_pk_fma_f32 v[116:117], v[118:119], v[106:107], v[116:117] op_sel:[0,0,1] op_sel_hi:[1,0,0]
	v_mov_b32_e32 v121, v117
	ds_load_2addr_b64 v[116:119], v110 offset0:43 offset1:44
	v_pk_add_f32 v[12:13], v[12:13], v[120:121] neg_lo:[0,1] neg_hi:[0,1]
	s_wait_dscnt 0x0
	v_pk_mul_f32 v[120:121], v[116:117], v[108:109] op_sel:[0,1]
	s_delay_alu instid0(VALU_DEP_1) | instskip(SKIP_1) | instid1(VALU_DEP_1)
	v_pk_fma_f32 v[122:123], v[116:117], v[106:107], v[120:121] op_sel:[0,0,1] op_sel_hi:[1,1,0] neg_lo:[0,0,1] neg_hi:[0,0,1]
	v_pk_fma_f32 v[116:117], v[116:117], v[106:107], v[120:121] op_sel:[0,0,1] op_sel_hi:[1,0,0]
	v_mov_b32_e32 v123, v117
	v_pk_mul_f32 v[116:117], v[118:119], v[108:109] op_sel:[0,1]
	s_delay_alu instid0(VALU_DEP_2) | instskip(NEXT) | instid1(VALU_DEP_2)
	v_pk_add_f32 v[8:9], v[8:9], v[122:123] neg_lo:[0,1] neg_hi:[0,1]
	v_pk_fma_f32 v[120:121], v[118:119], v[106:107], v[116:117] op_sel:[0,0,1] op_sel_hi:[1,1,0] neg_lo:[0,0,1] neg_hi:[0,0,1]
	v_pk_fma_f32 v[116:117], v[118:119], v[106:107], v[116:117] op_sel:[0,0,1] op_sel_hi:[1,0,0]
	s_delay_alu instid0(VALU_DEP_1) | instskip(SKIP_4) | instid1(VALU_DEP_1)
	v_mov_b32_e32 v121, v117
	ds_load_2addr_b64 v[116:119], v110 offset0:45 offset1:46
	v_pk_add_f32 v[70:71], v[70:71], v[120:121] neg_lo:[0,1] neg_hi:[0,1]
	s_wait_dscnt 0x0
	v_pk_mul_f32 v[120:121], v[116:117], v[108:109] op_sel:[0,1]
	v_pk_fma_f32 v[122:123], v[116:117], v[106:107], v[120:121] op_sel:[0,0,1] op_sel_hi:[1,1,0] neg_lo:[0,0,1] neg_hi:[0,0,1]
	v_pk_fma_f32 v[116:117], v[116:117], v[106:107], v[120:121] op_sel:[0,0,1] op_sel_hi:[1,0,0]
	v_dual_mul_f32 v120, v119, v109 :: v_dual_mov_b32 v116, v119
	s_delay_alu instid0(VALU_DEP_2) | instskip(NEXT) | instid1(VALU_DEP_2)
	v_dual_mov_b32 v123, v117 :: v_dual_mov_b32 v117, v118
	v_pk_fma_f32 v[120:121], v[118:119], v[94:95], v[120:121] op_sel_hi:[1,1,0] neg_lo:[0,0,1] neg_hi:[0,0,1]
	v_mul_f32_e32 v118, v119, v106
	s_delay_alu instid0(VALU_DEP_3) | instskip(NEXT) | instid1(VALU_DEP_2)
	v_pk_add_f32 v[6:7], v[6:7], v[122:123] neg_lo:[0,1] neg_hi:[0,1]
	v_pk_fma_f32 v[116:117], v[116:117], v[94:95], v[118:119] op_sel_hi:[1,1,0]
	s_delay_alu instid0(VALU_DEP_1) | instskip(SKIP_4) | instid1(VALU_DEP_1)
	v_mov_b32_e32 v121, v117
	ds_load_2addr_b64 v[116:119], v110 offset0:47 offset1:48
	v_pk_add_f32 v[46:47], v[46:47], v[120:121] neg_lo:[0,1] neg_hi:[0,1]
	s_wait_dscnt 0x0
	v_pk_mul_f32 v[120:121], v[116:117], v[108:109] op_sel:[0,1]
	v_pk_fma_f32 v[122:123], v[116:117], v[106:107], v[120:121] op_sel:[0,0,1] op_sel_hi:[1,1,0] neg_lo:[0,0,1] neg_hi:[0,0,1]
	v_pk_fma_f32 v[116:117], v[116:117], v[106:107], v[120:121] op_sel:[0,0,1] op_sel_hi:[1,0,0]
	s_delay_alu instid0(VALU_DEP_1) | instskip(SKIP_1) | instid1(VALU_DEP_1)
	v_mov_b32_e32 v123, v117
	v_pk_mul_f32 v[116:117], v[118:119], v[108:109] op_sel:[0,1]
	v_pk_fma_f32 v[120:121], v[118:119], v[106:107], v[116:117] op_sel:[0,0,1] op_sel_hi:[1,1,0] neg_lo:[0,0,1] neg_hi:[0,0,1]
	v_pk_fma_f32 v[116:117], v[118:119], v[106:107], v[116:117] op_sel:[0,0,1] op_sel_hi:[1,0,0]
	s_delay_alu instid0(VALU_DEP_1)
	v_mov_b32_e32 v121, v117
	ds_load_b64 v[116:117], v110 offset:392
	v_pk_add_f32 v[28:29], v[28:29], v[122:123] neg_lo:[0,1] neg_hi:[0,1]
	v_pk_add_f32 v[14:15], v[14:15], v[120:121] neg_lo:[0,1] neg_hi:[0,1]
	s_wait_dscnt 0x0
	v_pk_mul_f32 v[108:109], v[116:117], v[108:109] op_sel:[0,1]
	s_delay_alu instid0(VALU_DEP_1) | instskip(SKIP_1) | instid1(VALU_DEP_1)
	v_pk_fma_f32 v[118:119], v[116:117], v[106:107], v[108:109] op_sel:[0,0,1] op_sel_hi:[1,1,0] neg_lo:[0,0,1] neg_hi:[0,0,1]
	v_pk_fma_f32 v[106:107], v[116:117], v[106:107], v[108:109] op_sel:[0,0,1] op_sel_hi:[1,0,0]
	v_mov_b32_e32 v119, v107
	s_delay_alu instid0(VALU_DEP_1)
	v_pk_add_f32 v[104:105], v[104:105], v[118:119] neg_lo:[0,1] neg_hi:[0,1]
.LBB98_272:
	s_or_b32 exec_lo, exec_lo, s0
	v_lshl_add_u32 v106, v114, 3, v110
	s_barrier_signal -1
	s_barrier_wait -1
	ds_store_b64 v106, v[68:69]
	s_wait_dscnt 0x0
	s_barrier_signal -1
	s_barrier_wait -1
	ds_load_b64 v[108:109], v110 offset:104
	v_mov_b32_e32 v106, 13
	s_cmp_lt_i32 s18, 15
	s_cbranch_scc1 .LBB98_275
; %bb.273:
	v_add3_u32 v107, v111, 0, 0x70
	v_mov_b32_e32 v106, 13
	s_mov_b32 s0, 14
.LBB98_274:                             ; =>This Inner Loop Header: Depth=1
	ds_load_b64 v[116:117], v107
	s_wait_dscnt 0x1
	v_cmp_gt_f32_e32 vcc_lo, 0, v108
	v_cndmask_b32_e64 v118, v108, -v108, vcc_lo
	v_cmp_gt_f32_e32 vcc_lo, 0, v109
	v_cndmask_b32_e64 v120, v109, -v109, vcc_lo
	s_wait_dscnt 0x0
	v_cmp_gt_f32_e32 vcc_lo, 0, v116
	v_cndmask_b32_e64 v119, v116, -v116, vcc_lo
	v_cmp_gt_f32_e32 vcc_lo, 0, v117
	v_cndmask_b32_e64 v121, v117, -v117, vcc_lo
	s_delay_alu instid0(VALU_DEP_1) | instskip(NEXT) | instid1(VALU_DEP_1)
	v_pk_add_f32 v[118:119], v[118:119], v[120:121]
	v_cmp_lt_f32_e32 vcc_lo, v118, v119
	v_dual_add_nc_u32 v107, 8, v107 :: v_dual_cndmask_b32 v109, v109, v117, vcc_lo
	v_cndmask_b32_e32 v108, v108, v116, vcc_lo
	v_cndmask_b32_e64 v106, v106, s0, vcc_lo
	s_add_co_i32 s0, s0, 1
	s_delay_alu instid0(SALU_CYCLE_1)
	s_cmp_lg_u32 s18, s0
	s_cbranch_scc1 .LBB98_274
.LBB98_275:
	s_wait_dscnt 0x0
	v_cmp_eq_f32_e32 vcc_lo, 0, v108
	v_cmp_eq_f32_e64 s0, 0, v109
	s_and_b32 s0, vcc_lo, s0
	s_delay_alu instid0(SALU_CYCLE_1) | instskip(NEXT) | instid1(SALU_CYCLE_1)
	s_and_saveexec_b32 s1, s0
	s_xor_b32 s0, exec_lo, s1
; %bb.276:
	v_cmp_ne_u32_e32 vcc_lo, 0, v112
	v_cndmask_b32_e32 v112, 14, v112, vcc_lo
; %bb.277:
	s_and_not1_saveexec_b32 s0, s0
	s_cbranch_execz .LBB98_283
; %bb.278:
	v_cmp_ngt_f32_e64 s1, |v108|, |v109|
	s_and_saveexec_b32 s12, s1
	s_delay_alu instid0(SALU_CYCLE_1)
	s_xor_b32 s1, exec_lo, s12
	s_cbranch_execz .LBB98_280
; %bb.279:
	v_div_scale_f32 v107, null, v109, v109, v108
	v_div_scale_f32 v117, vcc_lo, v108, v109, v108
	s_delay_alu instid0(VALU_DEP_2) | instskip(SKIP_1) | instid1(TRANS32_DEP_1)
	v_rcp_f32_e32 v115, v107
	v_nop
	v_fma_f32 v116, -v107, v115, 1.0
	s_delay_alu instid0(VALU_DEP_1) | instskip(NEXT) | instid1(VALU_DEP_1)
	v_fmac_f32_e32 v115, v116, v115
	v_mul_f32_e32 v116, v117, v115
	s_delay_alu instid0(VALU_DEP_1) | instskip(NEXT) | instid1(VALU_DEP_1)
	v_fma_f32 v118, -v107, v116, v117
	v_fmac_f32_e32 v116, v118, v115
	s_delay_alu instid0(VALU_DEP_1) | instskip(NEXT) | instid1(VALU_DEP_1)
	v_fma_f32 v107, -v107, v116, v117
	v_div_fmas_f32 v107, v107, v115, v116
	s_delay_alu instid0(VALU_DEP_1) | instskip(NEXT) | instid1(VALU_DEP_1)
	v_div_fixup_f32 v107, v107, v109, v108
	v_fmac_f32_e32 v109, v108, v107
	s_delay_alu instid0(VALU_DEP_1) | instskip(SKIP_1) | instid1(VALU_DEP_2)
	v_div_scale_f32 v108, null, v109, v109, 1.0
	v_div_scale_f32 v117, vcc_lo, 1.0, v109, 1.0
	v_rcp_f32_e32 v115, v108
	v_nop
	s_delay_alu instid0(TRANS32_DEP_1) | instskip(NEXT) | instid1(VALU_DEP_1)
	v_fma_f32 v116, -v108, v115, 1.0
	v_fmac_f32_e32 v115, v116, v115
	s_delay_alu instid0(VALU_DEP_1) | instskip(NEXT) | instid1(VALU_DEP_1)
	v_mul_f32_e32 v116, v117, v115
	v_fma_f32 v118, -v108, v116, v117
	s_delay_alu instid0(VALU_DEP_1) | instskip(NEXT) | instid1(VALU_DEP_1)
	v_fmac_f32_e32 v116, v118, v115
	v_fma_f32 v108, -v108, v116, v117
	s_delay_alu instid0(VALU_DEP_1) | instskip(NEXT) | instid1(VALU_DEP_1)
	v_div_fmas_f32 v108, v108, v115, v116
	v_div_fixup_f32 v109, v108, v109, 1.0
	s_delay_alu instid0(VALU_DEP_1)
	v_mul_f32_e32 v108, v107, v109
	v_xor_b32_e32 v109, 0x80000000, v109
.LBB98_280:
	s_and_not1_saveexec_b32 s1, s1
	s_cbranch_execz .LBB98_282
; %bb.281:
	s_delay_alu instid0(VALU_DEP_1) | instskip(SKIP_1) | instid1(VALU_DEP_2)
	v_div_scale_f32 v107, null, v108, v108, v109
	v_div_scale_f32 v117, vcc_lo, v109, v108, v109
	v_rcp_f32_e32 v115, v107
	v_nop
	s_delay_alu instid0(TRANS32_DEP_1) | instskip(NEXT) | instid1(VALU_DEP_1)
	v_fma_f32 v116, -v107, v115, 1.0
	v_fmac_f32_e32 v115, v116, v115
	s_delay_alu instid0(VALU_DEP_1) | instskip(NEXT) | instid1(VALU_DEP_1)
	v_mul_f32_e32 v116, v117, v115
	v_fma_f32 v118, -v107, v116, v117
	s_delay_alu instid0(VALU_DEP_1) | instskip(NEXT) | instid1(VALU_DEP_1)
	v_fmac_f32_e32 v116, v118, v115
	v_fma_f32 v107, -v107, v116, v117
	s_delay_alu instid0(VALU_DEP_1) | instskip(NEXT) | instid1(VALU_DEP_1)
	v_div_fmas_f32 v107, v107, v115, v116
	v_div_fixup_f32 v107, v107, v108, v109
	s_delay_alu instid0(VALU_DEP_1) | instskip(NEXT) | instid1(VALU_DEP_1)
	v_fmac_f32_e32 v108, v109, v107
	v_div_scale_f32 v109, null, v108, v108, 1.0
	s_delay_alu instid0(VALU_DEP_1) | instskip(SKIP_1) | instid1(TRANS32_DEP_1)
	v_rcp_f32_e32 v115, v109
	v_nop
	v_fma_f32 v116, -v109, v115, 1.0
	s_delay_alu instid0(VALU_DEP_1) | instskip(SKIP_1) | instid1(VALU_DEP_1)
	v_fmac_f32_e32 v115, v116, v115
	v_div_scale_f32 v116, vcc_lo, 1.0, v108, 1.0
	v_mul_f32_e32 v117, v116, v115
	s_delay_alu instid0(VALU_DEP_1) | instskip(NEXT) | instid1(VALU_DEP_1)
	v_fma_f32 v118, -v109, v117, v116
	v_fmac_f32_e32 v117, v118, v115
	s_delay_alu instid0(VALU_DEP_1) | instskip(NEXT) | instid1(VALU_DEP_1)
	v_fma_f32 v109, -v109, v117, v116
	v_div_fmas_f32 v109, v109, v115, v117
	s_delay_alu instid0(VALU_DEP_1) | instskip(NEXT) | instid1(VALU_DEP_1)
	v_div_fixup_f32 v108, v109, v108, 1.0
	v_mul_f32_e64 v109, v107, -v108
.LBB98_282:
	s_or_b32 exec_lo, exec_lo, s1
.LBB98_283:
	s_delay_alu instid0(SALU_CYCLE_1) | instskip(NEXT) | instid1(SALU_CYCLE_1)
	s_or_b32 exec_lo, exec_lo, s0
	s_mov_b32 s0, exec_lo
	v_cmpx_ne_u32_e64 v114, v106
	s_xor_b32 s0, exec_lo, s0
	s_cbranch_execz .LBB98_289
; %bb.284:
	s_mov_b32 s1, exec_lo
	v_cmpx_eq_u32_e32 13, v114
	s_cbranch_execz .LBB98_288
; %bb.285:
	v_cmp_ne_u32_e32 vcc_lo, 13, v106
	s_xor_b32 s12, s16, -1
	s_delay_alu instid0(SALU_CYCLE_1) | instskip(NEXT) | instid1(SALU_CYCLE_1)
	s_and_b32 s13, s12, vcc_lo
	s_and_saveexec_b32 s12, s13
	s_cbranch_execz .LBB98_287
; %bb.286:
	v_ashrrev_i32_e32 v107, 31, v106
	s_delay_alu instid0(VALU_DEP_1)
	v_lshl_add_u64 v[114:115], v[106:107], 2, v[4:5]
	s_clause 0x1
	global_load_b32 v107, v[114:115], off
	global_load_b32 v113, v[4:5], off offset:52
	s_wait_loadcnt 0x1
	global_store_b32 v[4:5], v107, off offset:52
	s_wait_loadcnt 0x0
	global_store_b32 v[114:115], v113, off
.LBB98_287:
	s_wait_xcnt 0x0
	s_or_b32 exec_lo, exec_lo, s12
	v_dual_mov_b32 v114, v106 :: v_dual_mov_b32 v113, v106
.LBB98_288:
	s_or_b32 exec_lo, exec_lo, s1
.LBB98_289:
	s_and_not1_saveexec_b32 s0, s0
	s_cbranch_execz .LBB98_291
; %bb.290:
	v_dual_mov_b32 v106, v72 :: v_dual_mov_b32 v107, v73
	v_dual_mov_b32 v114, v66 :: v_dual_mov_b32 v115, v67
	ds_store_2addr_b64 v110, v[106:107], v[114:115] offset0:14 offset1:15
	v_dual_mov_b32 v106, v92 :: v_dual_mov_b32 v107, v93
	v_dual_mov_b32 v114, v62 :: v_dual_mov_b32 v115, v63
	ds_store_2addr_b64 v110, v[106:107], v[114:115] offset0:16 offset1:17
	;; [unrolled: 3-line block ×17, first 2 shown]
	v_dual_mov_b32 v106, v14 :: v_dual_mov_b32 v107, v15
	v_mov_b32_e32 v114, 13
	ds_store_2addr_b64 v110, v[106:107], v[104:105] offset0:48 offset1:49
.LBB98_291:
	s_or_b32 exec_lo, exec_lo, s0
	s_delay_alu instid0(SALU_CYCLE_1)
	s_mov_b32 s0, exec_lo
	s_wait_storecnt_dscnt 0x0
	s_barrier_signal -1
	s_barrier_wait -1
	v_cmpx_lt_i32_e32 13, v114
	s_cbranch_execz .LBB98_293
; %bb.292:
	v_pk_mul_f32 v[116:117], v[108:109], v[68:69] op_sel:[1,1] op_sel_hi:[0,1]
	s_delay_alu instid0(VALU_DEP_1)
	v_pk_fma_f32 v[106:107], v[108:109], v[68:69], v[116:117] op_sel_hi:[1,0,1] neg_lo:[0,0,1] neg_hi:[0,0,1]
	v_pk_fma_f32 v[108:109], v[108:109], v[68:69], v[116:117] op_sel_hi:[1,0,1]
	ds_load_2addr_b64 v[116:119], v110 offset0:14 offset1:15
	v_dual_mov_b32 v68, v106 :: v_dual_mov_b32 v69, v109
	s_wait_dscnt 0x0
	v_pk_mul_f32 v[120:121], v[116:117], v[108:109] op_sel:[0,1]
	s_delay_alu instid0(VALU_DEP_1) | instskip(SKIP_1) | instid1(VALU_DEP_1)
	v_pk_fma_f32 v[122:123], v[116:117], v[106:107], v[120:121] op_sel:[0,0,1] op_sel_hi:[1,1,0] neg_lo:[0,0,1] neg_hi:[0,0,1]
	v_pk_fma_f32 v[116:117], v[116:117], v[106:107], v[120:121] op_sel:[0,0,1] op_sel_hi:[1,0,0]
	v_mov_b32_e32 v123, v117
	v_pk_mul_f32 v[116:117], v[118:119], v[108:109] op_sel:[0,1]
	s_delay_alu instid0(VALU_DEP_1) | instskip(SKIP_1) | instid1(VALU_DEP_1)
	v_pk_fma_f32 v[120:121], v[118:119], v[106:107], v[116:117] op_sel:[0,0,1] op_sel_hi:[1,1,0] neg_lo:[0,0,1] neg_hi:[0,0,1]
	v_pk_fma_f32 v[116:117], v[118:119], v[106:107], v[116:117] op_sel:[0,0,1] op_sel_hi:[1,0,0]
	v_mov_b32_e32 v121, v117
	ds_load_2addr_b64 v[116:119], v110 offset0:16 offset1:17
	v_pk_add_f32 v[72:73], v[72:73], v[122:123] neg_lo:[0,1] neg_hi:[0,1]
	v_pk_add_f32 v[66:67], v[66:67], v[120:121] neg_lo:[0,1] neg_hi:[0,1]
	s_wait_dscnt 0x0
	v_pk_mul_f32 v[120:121], v[116:117], v[108:109] op_sel:[0,1]
	s_delay_alu instid0(VALU_DEP_1) | instskip(SKIP_2) | instid1(VALU_DEP_2)
	v_pk_fma_f32 v[122:123], v[116:117], v[106:107], v[120:121] op_sel:[0,0,1] op_sel_hi:[1,1,0] neg_lo:[0,0,1] neg_hi:[0,0,1]
	v_pk_fma_f32 v[116:117], v[116:117], v[106:107], v[120:121] op_sel:[0,0,1] op_sel_hi:[1,0,0]
	v_dual_mul_f32 v120, v119, v109 :: v_dual_mov_b32 v116, v119
	v_dual_mov_b32 v123, v117 :: v_dual_mov_b32 v117, v118
	s_delay_alu instid0(VALU_DEP_2) | instskip(SKIP_1) | instid1(VALU_DEP_3)
	v_pk_fma_f32 v[120:121], v[118:119], v[68:69], v[120:121] op_sel_hi:[1,1,0] neg_lo:[0,0,1] neg_hi:[0,0,1]
	v_mul_f32_e32 v118, v119, v106
	v_pk_add_f32 v[92:93], v[92:93], v[122:123] neg_lo:[0,1] neg_hi:[0,1]
	s_delay_alu instid0(VALU_DEP_2) | instskip(NEXT) | instid1(VALU_DEP_1)
	v_pk_fma_f32 v[116:117], v[116:117], v[68:69], v[118:119] op_sel_hi:[1,1,0]
	v_mov_b32_e32 v121, v117
	ds_load_2addr_b64 v[116:119], v110 offset0:18 offset1:19
	v_pk_add_f32 v[62:63], v[62:63], v[120:121] neg_lo:[0,1] neg_hi:[0,1]
	s_wait_dscnt 0x0
	v_pk_mul_f32 v[120:121], v[116:117], v[108:109] op_sel:[0,1]
	s_delay_alu instid0(VALU_DEP_1) | instskip(SKIP_1) | instid1(VALU_DEP_1)
	v_pk_fma_f32 v[122:123], v[116:117], v[106:107], v[120:121] op_sel:[0,0,1] op_sel_hi:[1,1,0] neg_lo:[0,0,1] neg_hi:[0,0,1]
	v_pk_fma_f32 v[116:117], v[116:117], v[106:107], v[120:121] op_sel:[0,0,1] op_sel_hi:[1,0,0]
	v_mov_b32_e32 v123, v117
	v_pk_mul_f32 v[116:117], v[118:119], v[108:109] op_sel:[0,1]
	s_delay_alu instid0(VALU_DEP_1) | instskip(SKIP_1) | instid1(VALU_DEP_1)
	v_pk_fma_f32 v[120:121], v[118:119], v[106:107], v[116:117] op_sel:[0,0,1] op_sel_hi:[1,1,0] neg_lo:[0,0,1] neg_hi:[0,0,1]
	v_pk_fma_f32 v[116:117], v[118:119], v[106:107], v[116:117] op_sel:[0,0,1] op_sel_hi:[1,0,0]
	v_mov_b32_e32 v121, v117
	ds_load_2addr_b64 v[116:119], v110 offset0:20 offset1:21
	v_pk_add_f32 v[64:65], v[64:65], v[122:123] neg_lo:[0,1] neg_hi:[0,1]
	v_pk_add_f32 v[60:61], v[60:61], v[120:121] neg_lo:[0,1] neg_hi:[0,1]
	s_wait_dscnt 0x0
	v_pk_mul_f32 v[120:121], v[116:117], v[108:109] op_sel:[0,1]
	s_delay_alu instid0(VALU_DEP_1) | instskip(SKIP_1) | instid1(VALU_DEP_1)
	v_pk_fma_f32 v[122:123], v[116:117], v[106:107], v[120:121] op_sel:[0,0,1] op_sel_hi:[1,1,0] neg_lo:[0,0,1] neg_hi:[0,0,1]
	v_pk_fma_f32 v[116:117], v[116:117], v[106:107], v[120:121] op_sel:[0,0,1] op_sel_hi:[1,0,0]
	v_mov_b32_e32 v123, v117
	v_pk_mul_f32 v[116:117], v[118:119], v[108:109] op_sel:[0,1]
	s_delay_alu instid0(VALU_DEP_1) | instskip(SKIP_1) | instid1(VALU_DEP_1)
	v_pk_fma_f32 v[120:121], v[118:119], v[106:107], v[116:117] op_sel:[0,0,1] op_sel_hi:[1,1,0] neg_lo:[0,0,1] neg_hi:[0,0,1]
	v_pk_fma_f32 v[116:117], v[118:119], v[106:107], v[116:117] op_sel:[0,0,1] op_sel_hi:[1,0,0]
	v_mov_b32_e32 v121, v117
	ds_load_2addr_b64 v[116:119], v110 offset0:22 offset1:23
	v_pk_add_f32 v[90:91], v[90:91], v[122:123] neg_lo:[0,1] neg_hi:[0,1]
	v_pk_add_f32 v[56:57], v[56:57], v[120:121] neg_lo:[0,1] neg_hi:[0,1]
	s_wait_dscnt 0x0
	v_dual_mul_f32 v120, v117, v109 :: v_dual_mul_f32 v122, v117, v106
	s_delay_alu instid0(VALU_DEP_1) | instskip(NEXT) | instid1(VALU_DEP_2)
	v_pk_fma_f32 v[120:121], v[116:117], v[68:69], v[120:121] op_sel_hi:[1,1,0] neg_lo:[0,0,1] neg_hi:[0,0,1]
	v_pk_fma_f32 v[116:117], v[116:117], v[68:69], v[122:123] op_sel:[1,0,0] op_sel_hi:[0,1,0]
	s_delay_alu instid0(VALU_DEP_1) | instskip(SKIP_1) | instid1(VALU_DEP_2)
	v_mov_b32_e32 v121, v117
	v_pk_mul_f32 v[116:117], v[118:119], v[108:109] op_sel:[0,1]
	v_pk_add_f32 v[58:59], v[58:59], v[120:121] neg_lo:[0,1] neg_hi:[0,1]
	s_delay_alu instid0(VALU_DEP_2) | instskip(SKIP_1) | instid1(VALU_DEP_1)
	v_pk_fma_f32 v[120:121], v[118:119], v[106:107], v[116:117] op_sel:[0,0,1] op_sel_hi:[1,1,0] neg_lo:[0,0,1] neg_hi:[0,0,1]
	v_pk_fma_f32 v[116:117], v[118:119], v[106:107], v[116:117] op_sel:[0,0,1] op_sel_hi:[1,0,0]
	v_mov_b32_e32 v121, v117
	ds_load_2addr_b64 v[116:119], v110 offset0:24 offset1:25
	v_pk_add_f32 v[54:55], v[54:55], v[120:121] neg_lo:[0,1] neg_hi:[0,1]
	s_wait_dscnt 0x0
	v_pk_mul_f32 v[120:121], v[116:117], v[108:109] op_sel:[0,1]
	s_delay_alu instid0(VALU_DEP_1) | instskip(SKIP_1) | instid1(VALU_DEP_1)
	v_pk_fma_f32 v[122:123], v[116:117], v[106:107], v[120:121] op_sel:[0,0,1] op_sel_hi:[1,1,0] neg_lo:[0,0,1] neg_hi:[0,0,1]
	v_pk_fma_f32 v[116:117], v[116:117], v[106:107], v[120:121] op_sel:[0,0,1] op_sel_hi:[1,0,0]
	v_mov_b32_e32 v123, v117
	v_pk_mul_f32 v[116:117], v[118:119], v[108:109] op_sel:[0,1]
	s_delay_alu instid0(VALU_DEP_2) | instskip(NEXT) | instid1(VALU_DEP_2)
	v_pk_add_f32 v[86:87], v[86:87], v[122:123] neg_lo:[0,1] neg_hi:[0,1]
	v_pk_fma_f32 v[120:121], v[118:119], v[106:107], v[116:117] op_sel:[0,0,1] op_sel_hi:[1,1,0] neg_lo:[0,0,1] neg_hi:[0,0,1]
	v_pk_fma_f32 v[116:117], v[118:119], v[106:107], v[116:117] op_sel:[0,0,1] op_sel_hi:[1,0,0]
	s_delay_alu instid0(VALU_DEP_1) | instskip(SKIP_4) | instid1(VALU_DEP_1)
	v_mov_b32_e32 v121, v117
	ds_load_2addr_b64 v[116:119], v110 offset0:26 offset1:27
	v_pk_add_f32 v[38:39], v[38:39], v[120:121] neg_lo:[0,1] neg_hi:[0,1]
	s_wait_dscnt 0x0
	v_pk_mul_f32 v[120:121], v[116:117], v[108:109] op_sel:[0,1]
	v_pk_fma_f32 v[122:123], v[116:117], v[106:107], v[120:121] op_sel:[0,0,1] op_sel_hi:[1,1,0] neg_lo:[0,0,1] neg_hi:[0,0,1]
	v_pk_fma_f32 v[116:117], v[116:117], v[106:107], v[120:121] op_sel:[0,0,1] op_sel_hi:[1,0,0]
	v_dual_mul_f32 v120, v119, v109 :: v_dual_mov_b32 v116, v119
	s_delay_alu instid0(VALU_DEP_2) | instskip(NEXT) | instid1(VALU_DEP_2)
	v_dual_mov_b32 v123, v117 :: v_dual_mov_b32 v117, v118
	v_pk_fma_f32 v[120:121], v[118:119], v[68:69], v[120:121] op_sel_hi:[1,1,0] neg_lo:[0,0,1] neg_hi:[0,0,1]
	v_mul_f32_e32 v118, v119, v106
	s_delay_alu instid0(VALU_DEP_3) | instskip(NEXT) | instid1(VALU_DEP_2)
	v_pk_add_f32 v[42:43], v[42:43], v[122:123] neg_lo:[0,1] neg_hi:[0,1]
	v_pk_fma_f32 v[116:117], v[116:117], v[68:69], v[118:119] op_sel_hi:[1,1,0]
	s_delay_alu instid0(VALU_DEP_1) | instskip(SKIP_4) | instid1(VALU_DEP_1)
	v_mov_b32_e32 v121, v117
	ds_load_2addr_b64 v[116:119], v110 offset0:28 offset1:29
	v_pk_add_f32 v[36:37], v[36:37], v[120:121] neg_lo:[0,1] neg_hi:[0,1]
	s_wait_dscnt 0x0
	v_pk_mul_f32 v[120:121], v[116:117], v[108:109] op_sel:[0,1]
	v_pk_fma_f32 v[122:123], v[116:117], v[106:107], v[120:121] op_sel:[0,0,1] op_sel_hi:[1,1,0] neg_lo:[0,0,1] neg_hi:[0,0,1]
	v_pk_fma_f32 v[116:117], v[116:117], v[106:107], v[120:121] op_sel:[0,0,1] op_sel_hi:[1,0,0]
	s_delay_alu instid0(VALU_DEP_1) | instskip(SKIP_1) | instid1(VALU_DEP_1)
	v_mov_b32_e32 v123, v117
	v_pk_mul_f32 v[116:117], v[118:119], v[108:109] op_sel:[0,1]
	v_pk_fma_f32 v[120:121], v[118:119], v[106:107], v[116:117] op_sel:[0,0,1] op_sel_hi:[1,1,0] neg_lo:[0,0,1] neg_hi:[0,0,1]
	v_pk_fma_f32 v[116:117], v[118:119], v[106:107], v[116:117] op_sel:[0,0,1] op_sel_hi:[1,0,0]
	s_delay_alu instid0(VALU_DEP_1)
	v_mov_b32_e32 v121, v117
	ds_load_2addr_b64 v[116:119], v110 offset0:30 offset1:31
	v_pk_add_f32 v[82:83], v[82:83], v[122:123] neg_lo:[0,1] neg_hi:[0,1]
	v_pk_add_f32 v[32:33], v[32:33], v[120:121] neg_lo:[0,1] neg_hi:[0,1]
	s_wait_dscnt 0x0
	v_pk_mul_f32 v[120:121], v[116:117], v[108:109] op_sel:[0,1]
	s_delay_alu instid0(VALU_DEP_1) | instskip(SKIP_1) | instid1(VALU_DEP_1)
	v_pk_fma_f32 v[122:123], v[116:117], v[106:107], v[120:121] op_sel:[0,0,1] op_sel_hi:[1,1,0] neg_lo:[0,0,1] neg_hi:[0,0,1]
	v_pk_fma_f32 v[116:117], v[116:117], v[106:107], v[120:121] op_sel:[0,0,1] op_sel_hi:[1,0,0]
	v_mov_b32_e32 v123, v117
	v_pk_mul_f32 v[116:117], v[118:119], v[108:109] op_sel:[0,1]
	s_delay_alu instid0(VALU_DEP_1) | instskip(SKIP_1) | instid1(VALU_DEP_1)
	v_pk_fma_f32 v[120:121], v[118:119], v[106:107], v[116:117] op_sel:[0,0,1] op_sel_hi:[1,1,0] neg_lo:[0,0,1] neg_hi:[0,0,1]
	v_pk_fma_f32 v[116:117], v[118:119], v[106:107], v[116:117] op_sel:[0,0,1] op_sel_hi:[1,0,0]
	v_mov_b32_e32 v121, v117
	ds_load_2addr_b64 v[116:119], v110 offset0:32 offset1:33
	v_pk_add_f32 v[34:35], v[34:35], v[122:123] neg_lo:[0,1] neg_hi:[0,1]
	v_pk_add_f32 v[30:31], v[30:31], v[120:121] neg_lo:[0,1] neg_hi:[0,1]
	s_wait_dscnt 0x0
	v_dual_mul_f32 v120, v117, v109 :: v_dual_mul_f32 v122, v117, v106
	s_delay_alu instid0(VALU_DEP_1) | instskip(NEXT) | instid1(VALU_DEP_2)
	v_pk_fma_f32 v[120:121], v[116:117], v[68:69], v[120:121] op_sel_hi:[1,1,0] neg_lo:[0,0,1] neg_hi:[0,0,1]
	v_pk_fma_f32 v[116:117], v[116:117], v[68:69], v[122:123] op_sel:[1,0,0] op_sel_hi:[0,1,0]
	s_delay_alu instid0(VALU_DEP_1) | instskip(SKIP_1) | instid1(VALU_DEP_2)
	v_mov_b32_e32 v121, v117
	v_pk_mul_f32 v[116:117], v[118:119], v[108:109] op_sel:[0,1]
	v_pk_add_f32 v[80:81], v[80:81], v[120:121] neg_lo:[0,1] neg_hi:[0,1]
	s_delay_alu instid0(VALU_DEP_2) | instskip(SKIP_1) | instid1(VALU_DEP_1)
	v_pk_fma_f32 v[120:121], v[118:119], v[106:107], v[116:117] op_sel:[0,0,1] op_sel_hi:[1,1,0] neg_lo:[0,0,1] neg_hi:[0,0,1]
	v_pk_fma_f32 v[116:117], v[118:119], v[106:107], v[116:117] op_sel:[0,0,1] op_sel_hi:[1,0,0]
	v_mov_b32_e32 v121, v117
	ds_load_2addr_b64 v[116:119], v110 offset0:34 offset1:35
	v_pk_add_f32 v[24:25], v[24:25], v[120:121] neg_lo:[0,1] neg_hi:[0,1]
	s_wait_dscnt 0x0
	v_pk_mul_f32 v[120:121], v[116:117], v[108:109] op_sel:[0,1]
	s_delay_alu instid0(VALU_DEP_1) | instskip(SKIP_1) | instid1(VALU_DEP_1)
	v_pk_fma_f32 v[122:123], v[116:117], v[106:107], v[120:121] op_sel:[0,0,1] op_sel_hi:[1,1,0] neg_lo:[0,0,1] neg_hi:[0,0,1]
	v_pk_fma_f32 v[116:117], v[116:117], v[106:107], v[120:121] op_sel:[0,0,1] op_sel_hi:[1,0,0]
	v_mov_b32_e32 v123, v117
	v_pk_mul_f32 v[116:117], v[118:119], v[108:109] op_sel:[0,1]
	s_delay_alu instid0(VALU_DEP_2) | instskip(NEXT) | instid1(VALU_DEP_2)
	v_pk_add_f32 v[26:27], v[26:27], v[122:123] neg_lo:[0,1] neg_hi:[0,1]
	v_pk_fma_f32 v[120:121], v[118:119], v[106:107], v[116:117] op_sel:[0,0,1] op_sel_hi:[1,1,0] neg_lo:[0,0,1] neg_hi:[0,0,1]
	v_pk_fma_f32 v[116:117], v[118:119], v[106:107], v[116:117] op_sel:[0,0,1] op_sel_hi:[1,0,0]
	s_delay_alu instid0(VALU_DEP_1) | instskip(SKIP_4) | instid1(VALU_DEP_1)
	v_mov_b32_e32 v121, v117
	ds_load_2addr_b64 v[116:119], v110 offset0:36 offset1:37
	v_pk_add_f32 v[22:23], v[22:23], v[120:121] neg_lo:[0,1] neg_hi:[0,1]
	s_wait_dscnt 0x0
	v_pk_mul_f32 v[120:121], v[116:117], v[108:109] op_sel:[0,1]
	v_pk_fma_f32 v[122:123], v[116:117], v[106:107], v[120:121] op_sel:[0,0,1] op_sel_hi:[1,1,0] neg_lo:[0,0,1] neg_hi:[0,0,1]
	v_pk_fma_f32 v[116:117], v[116:117], v[106:107], v[120:121] op_sel:[0,0,1] op_sel_hi:[1,0,0]
	v_dual_mul_f32 v120, v119, v109 :: v_dual_mov_b32 v116, v119
	s_delay_alu instid0(VALU_DEP_2) | instskip(NEXT) | instid1(VALU_DEP_2)
	v_dual_mov_b32 v123, v117 :: v_dual_mov_b32 v117, v118
	v_pk_fma_f32 v[120:121], v[118:119], v[68:69], v[120:121] op_sel_hi:[1,1,0] neg_lo:[0,0,1] neg_hi:[0,0,1]
	v_mul_f32_e32 v118, v119, v106
	s_delay_alu instid0(VALU_DEP_3) | instskip(NEXT) | instid1(VALU_DEP_2)
	v_pk_add_f32 v[78:79], v[78:79], v[122:123] neg_lo:[0,1] neg_hi:[0,1]
	v_pk_fma_f32 v[116:117], v[116:117], v[68:69], v[118:119] op_sel_hi:[1,1,0]
	s_delay_alu instid0(VALU_DEP_1) | instskip(SKIP_4) | instid1(VALU_DEP_1)
	v_mov_b32_e32 v121, v117
	ds_load_2addr_b64 v[116:119], v110 offset0:38 offset1:39
	v_pk_add_f32 v[18:19], v[18:19], v[120:121] neg_lo:[0,1] neg_hi:[0,1]
	s_wait_dscnt 0x0
	v_pk_mul_f32 v[120:121], v[116:117], v[108:109] op_sel:[0,1]
	v_pk_fma_f32 v[122:123], v[116:117], v[106:107], v[120:121] op_sel:[0,0,1] op_sel_hi:[1,1,0] neg_lo:[0,0,1] neg_hi:[0,0,1]
	v_pk_fma_f32 v[116:117], v[116:117], v[106:107], v[120:121] op_sel:[0,0,1] op_sel_hi:[1,0,0]
	s_delay_alu instid0(VALU_DEP_1) | instskip(SKIP_1) | instid1(VALU_DEP_1)
	v_mov_b32_e32 v123, v117
	v_pk_mul_f32 v[116:117], v[118:119], v[108:109] op_sel:[0,1]
	v_pk_fma_f32 v[120:121], v[118:119], v[106:107], v[116:117] op_sel:[0,0,1] op_sel_hi:[1,1,0] neg_lo:[0,0,1] neg_hi:[0,0,1]
	v_pk_fma_f32 v[116:117], v[118:119], v[106:107], v[116:117] op_sel:[0,0,1] op_sel_hi:[1,0,0]
	s_delay_alu instid0(VALU_DEP_1)
	v_mov_b32_e32 v121, v117
	ds_load_2addr_b64 v[116:119], v110 offset0:40 offset1:41
	v_pk_add_f32 v[20:21], v[20:21], v[122:123] neg_lo:[0,1] neg_hi:[0,1]
	v_pk_add_f32 v[16:17], v[16:17], v[120:121] neg_lo:[0,1] neg_hi:[0,1]
	s_wait_dscnt 0x0
	v_pk_mul_f32 v[120:121], v[116:117], v[108:109] op_sel:[0,1]
	s_delay_alu instid0(VALU_DEP_1) | instskip(SKIP_1) | instid1(VALU_DEP_1)
	v_pk_fma_f32 v[122:123], v[116:117], v[106:107], v[120:121] op_sel:[0,0,1] op_sel_hi:[1,1,0] neg_lo:[0,0,1] neg_hi:[0,0,1]
	v_pk_fma_f32 v[116:117], v[116:117], v[106:107], v[120:121] op_sel:[0,0,1] op_sel_hi:[1,0,0]
	v_mov_b32_e32 v123, v117
	v_pk_mul_f32 v[116:117], v[118:119], v[108:109] op_sel:[0,1]
	s_delay_alu instid0(VALU_DEP_1) | instskip(SKIP_1) | instid1(VALU_DEP_1)
	v_pk_fma_f32 v[120:121], v[118:119], v[106:107], v[116:117] op_sel:[0,0,1] op_sel_hi:[1,1,0] neg_lo:[0,0,1] neg_hi:[0,0,1]
	v_pk_fma_f32 v[116:117], v[118:119], v[106:107], v[116:117] op_sel:[0,0,1] op_sel_hi:[1,0,0]
	v_mov_b32_e32 v121, v117
	ds_load_2addr_b64 v[116:119], v110 offset0:42 offset1:43
	v_pk_add_f32 v[76:77], v[76:77], v[122:123] neg_lo:[0,1] neg_hi:[0,1]
	v_pk_add_f32 v[10:11], v[10:11], v[120:121] neg_lo:[0,1] neg_hi:[0,1]
	s_wait_dscnt 0x0
	v_dual_mul_f32 v120, v117, v109 :: v_dual_mul_f32 v122, v117, v106
	s_delay_alu instid0(VALU_DEP_1) | instskip(NEXT) | instid1(VALU_DEP_2)
	v_pk_fma_f32 v[120:121], v[116:117], v[68:69], v[120:121] op_sel_hi:[1,1,0] neg_lo:[0,0,1] neg_hi:[0,0,1]
	v_pk_fma_f32 v[116:117], v[116:117], v[68:69], v[122:123] op_sel:[1,0,0] op_sel_hi:[0,1,0]
	s_delay_alu instid0(VALU_DEP_1) | instskip(SKIP_1) | instid1(VALU_DEP_2)
	v_mov_b32_e32 v121, v117
	v_pk_mul_f32 v[116:117], v[118:119], v[108:109] op_sel:[0,1]
	v_pk_add_f32 v[12:13], v[12:13], v[120:121] neg_lo:[0,1] neg_hi:[0,1]
	s_delay_alu instid0(VALU_DEP_2) | instskip(SKIP_1) | instid1(VALU_DEP_1)
	v_pk_fma_f32 v[120:121], v[118:119], v[106:107], v[116:117] op_sel:[0,0,1] op_sel_hi:[1,1,0] neg_lo:[0,0,1] neg_hi:[0,0,1]
	v_pk_fma_f32 v[116:117], v[118:119], v[106:107], v[116:117] op_sel:[0,0,1] op_sel_hi:[1,0,0]
	v_mov_b32_e32 v121, v117
	ds_load_2addr_b64 v[116:119], v110 offset0:44 offset1:45
	v_pk_add_f32 v[8:9], v[8:9], v[120:121] neg_lo:[0,1] neg_hi:[0,1]
	s_wait_dscnt 0x0
	v_pk_mul_f32 v[120:121], v[116:117], v[108:109] op_sel:[0,1]
	s_delay_alu instid0(VALU_DEP_1) | instskip(SKIP_1) | instid1(VALU_DEP_1)
	v_pk_fma_f32 v[122:123], v[116:117], v[106:107], v[120:121] op_sel:[0,0,1] op_sel_hi:[1,1,0] neg_lo:[0,0,1] neg_hi:[0,0,1]
	v_pk_fma_f32 v[116:117], v[116:117], v[106:107], v[120:121] op_sel:[0,0,1] op_sel_hi:[1,0,0]
	v_mov_b32_e32 v123, v117
	v_pk_mul_f32 v[116:117], v[118:119], v[108:109] op_sel:[0,1]
	s_delay_alu instid0(VALU_DEP_2) | instskip(NEXT) | instid1(VALU_DEP_2)
	v_pk_add_f32 v[70:71], v[70:71], v[122:123] neg_lo:[0,1] neg_hi:[0,1]
	v_pk_fma_f32 v[120:121], v[118:119], v[106:107], v[116:117] op_sel:[0,0,1] op_sel_hi:[1,1,0] neg_lo:[0,0,1] neg_hi:[0,0,1]
	v_pk_fma_f32 v[116:117], v[118:119], v[106:107], v[116:117] op_sel:[0,0,1] op_sel_hi:[1,0,0]
	s_delay_alu instid0(VALU_DEP_1) | instskip(SKIP_4) | instid1(VALU_DEP_1)
	v_mov_b32_e32 v121, v117
	ds_load_2addr_b64 v[116:119], v110 offset0:46 offset1:47
	v_pk_add_f32 v[6:7], v[6:7], v[120:121] neg_lo:[0,1] neg_hi:[0,1]
	s_wait_dscnt 0x0
	v_pk_mul_f32 v[120:121], v[116:117], v[108:109] op_sel:[0,1]
	v_pk_fma_f32 v[122:123], v[116:117], v[106:107], v[120:121] op_sel:[0,0,1] op_sel_hi:[1,1,0] neg_lo:[0,0,1] neg_hi:[0,0,1]
	v_pk_fma_f32 v[116:117], v[116:117], v[106:107], v[120:121] op_sel:[0,0,1] op_sel_hi:[1,0,0]
	v_dual_mul_f32 v120, v119, v109 :: v_dual_mov_b32 v116, v119
	s_delay_alu instid0(VALU_DEP_2) | instskip(NEXT) | instid1(VALU_DEP_2)
	v_dual_mov_b32 v123, v117 :: v_dual_mov_b32 v117, v118
	v_pk_fma_f32 v[120:121], v[118:119], v[68:69], v[120:121] op_sel_hi:[1,1,0] neg_lo:[0,0,1] neg_hi:[0,0,1]
	v_mul_f32_e32 v118, v119, v106
	s_delay_alu instid0(VALU_DEP_3) | instskip(NEXT) | instid1(VALU_DEP_2)
	v_pk_add_f32 v[46:47], v[46:47], v[122:123] neg_lo:[0,1] neg_hi:[0,1]
	v_pk_fma_f32 v[116:117], v[116:117], v[68:69], v[118:119] op_sel_hi:[1,1,0]
	s_delay_alu instid0(VALU_DEP_1)
	v_mov_b32_e32 v121, v117
	ds_load_2addr_b64 v[116:119], v110 offset0:48 offset1:49
	v_pk_add_f32 v[28:29], v[28:29], v[120:121] neg_lo:[0,1] neg_hi:[0,1]
	s_wait_dscnt 0x0
	v_pk_mul_f32 v[120:121], v[116:117], v[108:109] op_sel:[0,1]
	v_mul_f32_e32 v108, v119, v109
	s_delay_alu instid0(VALU_DEP_2) | instskip(SKIP_2) | instid1(VALU_DEP_4)
	v_pk_fma_f32 v[122:123], v[116:117], v[106:107], v[120:121] op_sel:[0,0,1] op_sel_hi:[1,1,0] neg_lo:[0,0,1] neg_hi:[0,0,1]
	v_pk_fma_f32 v[116:117], v[116:117], v[106:107], v[120:121] op_sel:[0,0,1] op_sel_hi:[1,0,0]
	v_dual_mov_b32 v116, v119 :: v_dual_mul_f32 v106, v119, v106
	v_pk_fma_f32 v[108:109], v[118:119], v[68:69], v[108:109] op_sel_hi:[1,1,0] neg_lo:[0,0,1] neg_hi:[0,0,1]
	s_delay_alu instid0(VALU_DEP_3) | instskip(NEXT) | instid1(VALU_DEP_1)
	v_dual_mov_b32 v123, v117 :: v_dual_mov_b32 v117, v118
	v_pk_add_f32 v[14:15], v[14:15], v[122:123] neg_lo:[0,1] neg_hi:[0,1]
	s_delay_alu instid0(VALU_DEP_2) | instskip(NEXT) | instid1(VALU_DEP_1)
	v_pk_fma_f32 v[106:107], v[116:117], v[68:69], v[106:107] op_sel_hi:[1,1,0]
	v_mov_b32_e32 v109, v107
	s_delay_alu instid0(VALU_DEP_1)
	v_pk_add_f32 v[104:105], v[104:105], v[108:109] neg_lo:[0,1] neg_hi:[0,1]
.LBB98_293:
	s_or_b32 exec_lo, exec_lo, s0
	v_lshl_add_u32 v106, v114, 3, v110
	s_barrier_signal -1
	s_barrier_wait -1
	ds_store_b64 v106, v[72:73]
	s_wait_dscnt 0x0
	s_barrier_signal -1
	s_barrier_wait -1
	ds_load_b64 v[108:109], v110 offset:112
	v_mov_b32_e32 v106, 14
	s_cmp_lt_i32 s18, 16
	s_cbranch_scc1 .LBB98_296
; %bb.294:
	v_add3_u32 v107, v111, 0, 0x78
	v_mov_b32_e32 v106, 14
	s_mov_b32 s0, 15
.LBB98_295:                             ; =>This Inner Loop Header: Depth=1
	ds_load_b64 v[116:117], v107
	s_wait_dscnt 0x1
	v_cmp_gt_f32_e32 vcc_lo, 0, v108
	v_cndmask_b32_e64 v118, v108, -v108, vcc_lo
	v_cmp_gt_f32_e32 vcc_lo, 0, v109
	v_cndmask_b32_e64 v120, v109, -v109, vcc_lo
	s_wait_dscnt 0x0
	v_cmp_gt_f32_e32 vcc_lo, 0, v116
	v_cndmask_b32_e64 v119, v116, -v116, vcc_lo
	v_cmp_gt_f32_e32 vcc_lo, 0, v117
	v_cndmask_b32_e64 v121, v117, -v117, vcc_lo
	s_delay_alu instid0(VALU_DEP_1) | instskip(NEXT) | instid1(VALU_DEP_1)
	v_pk_add_f32 v[118:119], v[118:119], v[120:121]
	v_cmp_lt_f32_e32 vcc_lo, v118, v119
	v_dual_add_nc_u32 v107, 8, v107 :: v_dual_cndmask_b32 v109, v109, v117, vcc_lo
	v_cndmask_b32_e32 v108, v108, v116, vcc_lo
	v_cndmask_b32_e64 v106, v106, s0, vcc_lo
	s_add_co_i32 s0, s0, 1
	s_delay_alu instid0(SALU_CYCLE_1)
	s_cmp_lg_u32 s18, s0
	s_cbranch_scc1 .LBB98_295
.LBB98_296:
	s_wait_dscnt 0x0
	v_cmp_eq_f32_e32 vcc_lo, 0, v108
	v_cmp_eq_f32_e64 s0, 0, v109
	s_and_b32 s0, vcc_lo, s0
	s_delay_alu instid0(SALU_CYCLE_1) | instskip(NEXT) | instid1(SALU_CYCLE_1)
	s_and_saveexec_b32 s1, s0
	s_xor_b32 s0, exec_lo, s1
; %bb.297:
	v_cmp_ne_u32_e32 vcc_lo, 0, v112
	v_cndmask_b32_e32 v112, 15, v112, vcc_lo
; %bb.298:
	s_and_not1_saveexec_b32 s0, s0
	s_cbranch_execz .LBB98_304
; %bb.299:
	v_cmp_ngt_f32_e64 s1, |v108|, |v109|
	s_and_saveexec_b32 s12, s1
	s_delay_alu instid0(SALU_CYCLE_1)
	s_xor_b32 s1, exec_lo, s12
	s_cbranch_execz .LBB98_301
; %bb.300:
	v_div_scale_f32 v107, null, v109, v109, v108
	v_div_scale_f32 v117, vcc_lo, v108, v109, v108
	s_delay_alu instid0(VALU_DEP_2) | instskip(SKIP_1) | instid1(TRANS32_DEP_1)
	v_rcp_f32_e32 v115, v107
	v_nop
	v_fma_f32 v116, -v107, v115, 1.0
	s_delay_alu instid0(VALU_DEP_1) | instskip(NEXT) | instid1(VALU_DEP_1)
	v_fmac_f32_e32 v115, v116, v115
	v_mul_f32_e32 v116, v117, v115
	s_delay_alu instid0(VALU_DEP_1) | instskip(NEXT) | instid1(VALU_DEP_1)
	v_fma_f32 v118, -v107, v116, v117
	v_fmac_f32_e32 v116, v118, v115
	s_delay_alu instid0(VALU_DEP_1) | instskip(NEXT) | instid1(VALU_DEP_1)
	v_fma_f32 v107, -v107, v116, v117
	v_div_fmas_f32 v107, v107, v115, v116
	s_delay_alu instid0(VALU_DEP_1) | instskip(NEXT) | instid1(VALU_DEP_1)
	v_div_fixup_f32 v107, v107, v109, v108
	v_fmac_f32_e32 v109, v108, v107
	s_delay_alu instid0(VALU_DEP_1) | instskip(SKIP_1) | instid1(VALU_DEP_2)
	v_div_scale_f32 v108, null, v109, v109, 1.0
	v_div_scale_f32 v117, vcc_lo, 1.0, v109, 1.0
	v_rcp_f32_e32 v115, v108
	v_nop
	s_delay_alu instid0(TRANS32_DEP_1) | instskip(NEXT) | instid1(VALU_DEP_1)
	v_fma_f32 v116, -v108, v115, 1.0
	v_fmac_f32_e32 v115, v116, v115
	s_delay_alu instid0(VALU_DEP_1) | instskip(NEXT) | instid1(VALU_DEP_1)
	v_mul_f32_e32 v116, v117, v115
	v_fma_f32 v118, -v108, v116, v117
	s_delay_alu instid0(VALU_DEP_1) | instskip(NEXT) | instid1(VALU_DEP_1)
	v_fmac_f32_e32 v116, v118, v115
	v_fma_f32 v108, -v108, v116, v117
	s_delay_alu instid0(VALU_DEP_1) | instskip(NEXT) | instid1(VALU_DEP_1)
	v_div_fmas_f32 v108, v108, v115, v116
	v_div_fixup_f32 v109, v108, v109, 1.0
	s_delay_alu instid0(VALU_DEP_1)
	v_mul_f32_e32 v108, v107, v109
	v_xor_b32_e32 v109, 0x80000000, v109
.LBB98_301:
	s_and_not1_saveexec_b32 s1, s1
	s_cbranch_execz .LBB98_303
; %bb.302:
	s_delay_alu instid0(VALU_DEP_1) | instskip(SKIP_1) | instid1(VALU_DEP_2)
	v_div_scale_f32 v107, null, v108, v108, v109
	v_div_scale_f32 v117, vcc_lo, v109, v108, v109
	v_rcp_f32_e32 v115, v107
	v_nop
	s_delay_alu instid0(TRANS32_DEP_1) | instskip(NEXT) | instid1(VALU_DEP_1)
	v_fma_f32 v116, -v107, v115, 1.0
	v_fmac_f32_e32 v115, v116, v115
	s_delay_alu instid0(VALU_DEP_1) | instskip(NEXT) | instid1(VALU_DEP_1)
	v_mul_f32_e32 v116, v117, v115
	v_fma_f32 v118, -v107, v116, v117
	s_delay_alu instid0(VALU_DEP_1) | instskip(NEXT) | instid1(VALU_DEP_1)
	v_fmac_f32_e32 v116, v118, v115
	v_fma_f32 v107, -v107, v116, v117
	s_delay_alu instid0(VALU_DEP_1) | instskip(NEXT) | instid1(VALU_DEP_1)
	v_div_fmas_f32 v107, v107, v115, v116
	v_div_fixup_f32 v107, v107, v108, v109
	s_delay_alu instid0(VALU_DEP_1) | instskip(NEXT) | instid1(VALU_DEP_1)
	v_fmac_f32_e32 v108, v109, v107
	v_div_scale_f32 v109, null, v108, v108, 1.0
	s_delay_alu instid0(VALU_DEP_1) | instskip(SKIP_1) | instid1(TRANS32_DEP_1)
	v_rcp_f32_e32 v115, v109
	v_nop
	v_fma_f32 v116, -v109, v115, 1.0
	s_delay_alu instid0(VALU_DEP_1) | instskip(SKIP_1) | instid1(VALU_DEP_1)
	v_fmac_f32_e32 v115, v116, v115
	v_div_scale_f32 v116, vcc_lo, 1.0, v108, 1.0
	v_mul_f32_e32 v117, v116, v115
	s_delay_alu instid0(VALU_DEP_1) | instskip(NEXT) | instid1(VALU_DEP_1)
	v_fma_f32 v118, -v109, v117, v116
	v_fmac_f32_e32 v117, v118, v115
	s_delay_alu instid0(VALU_DEP_1) | instskip(NEXT) | instid1(VALU_DEP_1)
	v_fma_f32 v109, -v109, v117, v116
	v_div_fmas_f32 v109, v109, v115, v117
	s_delay_alu instid0(VALU_DEP_1) | instskip(NEXT) | instid1(VALU_DEP_1)
	v_div_fixup_f32 v108, v109, v108, 1.0
	v_mul_f32_e64 v109, v107, -v108
.LBB98_303:
	s_or_b32 exec_lo, exec_lo, s1
.LBB98_304:
	s_delay_alu instid0(SALU_CYCLE_1) | instskip(NEXT) | instid1(SALU_CYCLE_1)
	s_or_b32 exec_lo, exec_lo, s0
	s_mov_b32 s0, exec_lo
	v_cmpx_ne_u32_e64 v114, v106
	s_xor_b32 s0, exec_lo, s0
	s_cbranch_execz .LBB98_310
; %bb.305:
	s_mov_b32 s1, exec_lo
	v_cmpx_eq_u32_e32 14, v114
	s_cbranch_execz .LBB98_309
; %bb.306:
	v_cmp_ne_u32_e32 vcc_lo, 14, v106
	s_xor_b32 s12, s16, -1
	s_delay_alu instid0(SALU_CYCLE_1) | instskip(NEXT) | instid1(SALU_CYCLE_1)
	s_and_b32 s13, s12, vcc_lo
	s_and_saveexec_b32 s12, s13
	s_cbranch_execz .LBB98_308
; %bb.307:
	v_ashrrev_i32_e32 v107, 31, v106
	s_delay_alu instid0(VALU_DEP_1)
	v_lshl_add_u64 v[114:115], v[106:107], 2, v[4:5]
	s_clause 0x1
	global_load_b32 v107, v[114:115], off
	global_load_b32 v113, v[4:5], off offset:56
	s_wait_loadcnt 0x1
	global_store_b32 v[4:5], v107, off offset:56
	s_wait_loadcnt 0x0
	global_store_b32 v[114:115], v113, off
.LBB98_308:
	s_wait_xcnt 0x0
	s_or_b32 exec_lo, exec_lo, s12
	v_dual_mov_b32 v114, v106 :: v_dual_mov_b32 v113, v106
.LBB98_309:
	s_or_b32 exec_lo, exec_lo, s1
.LBB98_310:
	s_and_not1_saveexec_b32 s0, s0
	s_cbranch_execz .LBB98_312
; %bb.311:
	v_mov_b32_e32 v114, 14
	ds_store_2addr_b64 v110, v[66:67], v[92:93] offset0:15 offset1:16
	ds_store_2addr_b64 v110, v[62:63], v[64:65] offset0:17 offset1:18
	;; [unrolled: 1-line block ×17, first 2 shown]
	ds_store_b64 v110, v[104:105] offset:392
.LBB98_312:
	s_or_b32 exec_lo, exec_lo, s0
	s_delay_alu instid0(SALU_CYCLE_1)
	s_mov_b32 s0, exec_lo
	s_wait_storecnt_dscnt 0x0
	s_barrier_signal -1
	s_barrier_wait -1
	v_cmpx_lt_i32_e32 14, v114
	s_cbranch_execz .LBB98_314
; %bb.313:
	v_pk_mul_f32 v[116:117], v[108:109], v[72:73] op_sel:[1,1] op_sel_hi:[0,1]
	s_delay_alu instid0(VALU_DEP_1)
	v_pk_fma_f32 v[106:107], v[108:109], v[72:73], v[116:117] op_sel_hi:[1,0,1] neg_lo:[0,0,1] neg_hi:[0,0,1]
	v_pk_fma_f32 v[108:109], v[108:109], v[72:73], v[116:117] op_sel_hi:[1,0,1]
	ds_load_2addr_b64 v[116:119], v110 offset0:15 offset1:16
	v_dual_mov_b32 v72, v106 :: v_dual_mov_b32 v73, v109
	s_wait_dscnt 0x0
	v_pk_mul_f32 v[120:121], v[116:117], v[108:109] op_sel:[0,1]
	s_delay_alu instid0(VALU_DEP_1) | instskip(SKIP_1) | instid1(VALU_DEP_1)
	v_pk_fma_f32 v[122:123], v[116:117], v[106:107], v[120:121] op_sel:[0,0,1] op_sel_hi:[1,1,0] neg_lo:[0,0,1] neg_hi:[0,0,1]
	v_pk_fma_f32 v[116:117], v[116:117], v[106:107], v[120:121] op_sel:[0,0,1] op_sel_hi:[1,0,0]
	v_mov_b32_e32 v123, v117
	v_pk_mul_f32 v[116:117], v[118:119], v[108:109] op_sel:[0,1]
	s_delay_alu instid0(VALU_DEP_1) | instskip(SKIP_1) | instid1(VALU_DEP_1)
	v_pk_fma_f32 v[120:121], v[118:119], v[106:107], v[116:117] op_sel:[0,0,1] op_sel_hi:[1,1,0] neg_lo:[0,0,1] neg_hi:[0,0,1]
	v_pk_fma_f32 v[116:117], v[118:119], v[106:107], v[116:117] op_sel:[0,0,1] op_sel_hi:[1,0,0]
	v_mov_b32_e32 v121, v117
	ds_load_2addr_b64 v[116:119], v110 offset0:17 offset1:18
	v_pk_add_f32 v[66:67], v[66:67], v[122:123] neg_lo:[0,1] neg_hi:[0,1]
	v_pk_add_f32 v[92:93], v[92:93], v[120:121] neg_lo:[0,1] neg_hi:[0,1]
	s_wait_dscnt 0x0
	v_pk_mul_f32 v[120:121], v[116:117], v[108:109] op_sel:[0,1]
	s_delay_alu instid0(VALU_DEP_1) | instskip(SKIP_2) | instid1(VALU_DEP_2)
	v_pk_fma_f32 v[122:123], v[116:117], v[106:107], v[120:121] op_sel:[0,0,1] op_sel_hi:[1,1,0] neg_lo:[0,0,1] neg_hi:[0,0,1]
	v_pk_fma_f32 v[116:117], v[116:117], v[106:107], v[120:121] op_sel:[0,0,1] op_sel_hi:[1,0,0]
	v_dual_mul_f32 v120, v119, v109 :: v_dual_mov_b32 v116, v119
	v_dual_mov_b32 v123, v117 :: v_dual_mov_b32 v117, v118
	s_delay_alu instid0(VALU_DEP_2) | instskip(SKIP_1) | instid1(VALU_DEP_3)
	v_pk_fma_f32 v[120:121], v[118:119], v[72:73], v[120:121] op_sel_hi:[1,1,0] neg_lo:[0,0,1] neg_hi:[0,0,1]
	v_mul_f32_e32 v118, v119, v106
	v_pk_add_f32 v[62:63], v[62:63], v[122:123] neg_lo:[0,1] neg_hi:[0,1]
	s_delay_alu instid0(VALU_DEP_2) | instskip(NEXT) | instid1(VALU_DEP_1)
	v_pk_fma_f32 v[116:117], v[116:117], v[72:73], v[118:119] op_sel_hi:[1,1,0]
	v_mov_b32_e32 v121, v117
	ds_load_2addr_b64 v[116:119], v110 offset0:19 offset1:20
	v_pk_add_f32 v[64:65], v[64:65], v[120:121] neg_lo:[0,1] neg_hi:[0,1]
	s_wait_dscnt 0x0
	v_pk_mul_f32 v[120:121], v[116:117], v[108:109] op_sel:[0,1]
	s_delay_alu instid0(VALU_DEP_1) | instskip(SKIP_1) | instid1(VALU_DEP_1)
	v_pk_fma_f32 v[122:123], v[116:117], v[106:107], v[120:121] op_sel:[0,0,1] op_sel_hi:[1,1,0] neg_lo:[0,0,1] neg_hi:[0,0,1]
	v_pk_fma_f32 v[116:117], v[116:117], v[106:107], v[120:121] op_sel:[0,0,1] op_sel_hi:[1,0,0]
	v_mov_b32_e32 v123, v117
	v_pk_mul_f32 v[116:117], v[118:119], v[108:109] op_sel:[0,1]
	s_delay_alu instid0(VALU_DEP_1) | instskip(SKIP_1) | instid1(VALU_DEP_1)
	v_pk_fma_f32 v[120:121], v[118:119], v[106:107], v[116:117] op_sel:[0,0,1] op_sel_hi:[1,1,0] neg_lo:[0,0,1] neg_hi:[0,0,1]
	v_pk_fma_f32 v[116:117], v[118:119], v[106:107], v[116:117] op_sel:[0,0,1] op_sel_hi:[1,0,0]
	v_mov_b32_e32 v121, v117
	ds_load_2addr_b64 v[116:119], v110 offset0:21 offset1:22
	v_pk_add_f32 v[60:61], v[60:61], v[122:123] neg_lo:[0,1] neg_hi:[0,1]
	v_pk_add_f32 v[90:91], v[90:91], v[120:121] neg_lo:[0,1] neg_hi:[0,1]
	s_wait_dscnt 0x0
	v_pk_mul_f32 v[120:121], v[116:117], v[108:109] op_sel:[0,1]
	s_delay_alu instid0(VALU_DEP_1) | instskip(SKIP_1) | instid1(VALU_DEP_1)
	v_pk_fma_f32 v[122:123], v[116:117], v[106:107], v[120:121] op_sel:[0,0,1] op_sel_hi:[1,1,0] neg_lo:[0,0,1] neg_hi:[0,0,1]
	v_pk_fma_f32 v[116:117], v[116:117], v[106:107], v[120:121] op_sel:[0,0,1] op_sel_hi:[1,0,0]
	v_mov_b32_e32 v123, v117
	v_pk_mul_f32 v[116:117], v[118:119], v[108:109] op_sel:[0,1]
	s_delay_alu instid0(VALU_DEP_1) | instskip(SKIP_1) | instid1(VALU_DEP_1)
	v_pk_fma_f32 v[120:121], v[118:119], v[106:107], v[116:117] op_sel:[0,0,1] op_sel_hi:[1,1,0] neg_lo:[0,0,1] neg_hi:[0,0,1]
	v_pk_fma_f32 v[116:117], v[118:119], v[106:107], v[116:117] op_sel:[0,0,1] op_sel_hi:[1,0,0]
	v_mov_b32_e32 v121, v117
	ds_load_2addr_b64 v[116:119], v110 offset0:23 offset1:24
	v_pk_add_f32 v[56:57], v[56:57], v[122:123] neg_lo:[0,1] neg_hi:[0,1]
	v_pk_add_f32 v[58:59], v[58:59], v[120:121] neg_lo:[0,1] neg_hi:[0,1]
	s_wait_dscnt 0x0
	v_dual_mul_f32 v120, v117, v109 :: v_dual_mul_f32 v122, v117, v106
	s_delay_alu instid0(VALU_DEP_1) | instskip(NEXT) | instid1(VALU_DEP_2)
	v_pk_fma_f32 v[120:121], v[116:117], v[72:73], v[120:121] op_sel_hi:[1,1,0] neg_lo:[0,0,1] neg_hi:[0,0,1]
	v_pk_fma_f32 v[116:117], v[116:117], v[72:73], v[122:123] op_sel:[1,0,0] op_sel_hi:[0,1,0]
	s_delay_alu instid0(VALU_DEP_1) | instskip(SKIP_1) | instid1(VALU_DEP_2)
	v_mov_b32_e32 v121, v117
	v_pk_mul_f32 v[116:117], v[118:119], v[108:109] op_sel:[0,1]
	v_pk_add_f32 v[54:55], v[54:55], v[120:121] neg_lo:[0,1] neg_hi:[0,1]
	s_delay_alu instid0(VALU_DEP_2) | instskip(SKIP_1) | instid1(VALU_DEP_1)
	v_pk_fma_f32 v[120:121], v[118:119], v[106:107], v[116:117] op_sel:[0,0,1] op_sel_hi:[1,1,0] neg_lo:[0,0,1] neg_hi:[0,0,1]
	v_pk_fma_f32 v[116:117], v[118:119], v[106:107], v[116:117] op_sel:[0,0,1] op_sel_hi:[1,0,0]
	v_mov_b32_e32 v121, v117
	ds_load_2addr_b64 v[116:119], v110 offset0:25 offset1:26
	v_pk_add_f32 v[86:87], v[86:87], v[120:121] neg_lo:[0,1] neg_hi:[0,1]
	s_wait_dscnt 0x0
	v_pk_mul_f32 v[120:121], v[116:117], v[108:109] op_sel:[0,1]
	s_delay_alu instid0(VALU_DEP_1) | instskip(SKIP_1) | instid1(VALU_DEP_1)
	v_pk_fma_f32 v[122:123], v[116:117], v[106:107], v[120:121] op_sel:[0,0,1] op_sel_hi:[1,1,0] neg_lo:[0,0,1] neg_hi:[0,0,1]
	v_pk_fma_f32 v[116:117], v[116:117], v[106:107], v[120:121] op_sel:[0,0,1] op_sel_hi:[1,0,0]
	v_mov_b32_e32 v123, v117
	v_pk_mul_f32 v[116:117], v[118:119], v[108:109] op_sel:[0,1]
	s_delay_alu instid0(VALU_DEP_2) | instskip(NEXT) | instid1(VALU_DEP_2)
	v_pk_add_f32 v[38:39], v[38:39], v[122:123] neg_lo:[0,1] neg_hi:[0,1]
	v_pk_fma_f32 v[120:121], v[118:119], v[106:107], v[116:117] op_sel:[0,0,1] op_sel_hi:[1,1,0] neg_lo:[0,0,1] neg_hi:[0,0,1]
	v_pk_fma_f32 v[116:117], v[118:119], v[106:107], v[116:117] op_sel:[0,0,1] op_sel_hi:[1,0,0]
	s_delay_alu instid0(VALU_DEP_1) | instskip(SKIP_4) | instid1(VALU_DEP_1)
	v_mov_b32_e32 v121, v117
	ds_load_2addr_b64 v[116:119], v110 offset0:27 offset1:28
	v_pk_add_f32 v[42:43], v[42:43], v[120:121] neg_lo:[0,1] neg_hi:[0,1]
	s_wait_dscnt 0x0
	v_pk_mul_f32 v[120:121], v[116:117], v[108:109] op_sel:[0,1]
	v_pk_fma_f32 v[122:123], v[116:117], v[106:107], v[120:121] op_sel:[0,0,1] op_sel_hi:[1,1,0] neg_lo:[0,0,1] neg_hi:[0,0,1]
	v_pk_fma_f32 v[116:117], v[116:117], v[106:107], v[120:121] op_sel:[0,0,1] op_sel_hi:[1,0,0]
	v_dual_mul_f32 v120, v119, v109 :: v_dual_mov_b32 v116, v119
	s_delay_alu instid0(VALU_DEP_2) | instskip(NEXT) | instid1(VALU_DEP_2)
	v_dual_mov_b32 v123, v117 :: v_dual_mov_b32 v117, v118
	v_pk_fma_f32 v[120:121], v[118:119], v[72:73], v[120:121] op_sel_hi:[1,1,0] neg_lo:[0,0,1] neg_hi:[0,0,1]
	v_mul_f32_e32 v118, v119, v106
	s_delay_alu instid0(VALU_DEP_3) | instskip(NEXT) | instid1(VALU_DEP_2)
	v_pk_add_f32 v[36:37], v[36:37], v[122:123] neg_lo:[0,1] neg_hi:[0,1]
	v_pk_fma_f32 v[116:117], v[116:117], v[72:73], v[118:119] op_sel_hi:[1,1,0]
	s_delay_alu instid0(VALU_DEP_1) | instskip(SKIP_4) | instid1(VALU_DEP_1)
	v_mov_b32_e32 v121, v117
	ds_load_2addr_b64 v[116:119], v110 offset0:29 offset1:30
	v_pk_add_f32 v[82:83], v[82:83], v[120:121] neg_lo:[0,1] neg_hi:[0,1]
	s_wait_dscnt 0x0
	v_pk_mul_f32 v[120:121], v[116:117], v[108:109] op_sel:[0,1]
	v_pk_fma_f32 v[122:123], v[116:117], v[106:107], v[120:121] op_sel:[0,0,1] op_sel_hi:[1,1,0] neg_lo:[0,0,1] neg_hi:[0,0,1]
	v_pk_fma_f32 v[116:117], v[116:117], v[106:107], v[120:121] op_sel:[0,0,1] op_sel_hi:[1,0,0]
	s_delay_alu instid0(VALU_DEP_1) | instskip(SKIP_1) | instid1(VALU_DEP_1)
	v_mov_b32_e32 v123, v117
	v_pk_mul_f32 v[116:117], v[118:119], v[108:109] op_sel:[0,1]
	v_pk_fma_f32 v[120:121], v[118:119], v[106:107], v[116:117] op_sel:[0,0,1] op_sel_hi:[1,1,0] neg_lo:[0,0,1] neg_hi:[0,0,1]
	v_pk_fma_f32 v[116:117], v[118:119], v[106:107], v[116:117] op_sel:[0,0,1] op_sel_hi:[1,0,0]
	s_delay_alu instid0(VALU_DEP_1)
	v_mov_b32_e32 v121, v117
	ds_load_2addr_b64 v[116:119], v110 offset0:31 offset1:32
	v_pk_add_f32 v[32:33], v[32:33], v[122:123] neg_lo:[0,1] neg_hi:[0,1]
	v_pk_add_f32 v[34:35], v[34:35], v[120:121] neg_lo:[0,1] neg_hi:[0,1]
	s_wait_dscnt 0x0
	v_pk_mul_f32 v[120:121], v[116:117], v[108:109] op_sel:[0,1]
	s_delay_alu instid0(VALU_DEP_1) | instskip(SKIP_1) | instid1(VALU_DEP_1)
	v_pk_fma_f32 v[122:123], v[116:117], v[106:107], v[120:121] op_sel:[0,0,1] op_sel_hi:[1,1,0] neg_lo:[0,0,1] neg_hi:[0,0,1]
	v_pk_fma_f32 v[116:117], v[116:117], v[106:107], v[120:121] op_sel:[0,0,1] op_sel_hi:[1,0,0]
	v_mov_b32_e32 v123, v117
	v_pk_mul_f32 v[116:117], v[118:119], v[108:109] op_sel:[0,1]
	s_delay_alu instid0(VALU_DEP_1) | instskip(SKIP_1) | instid1(VALU_DEP_1)
	v_pk_fma_f32 v[120:121], v[118:119], v[106:107], v[116:117] op_sel:[0,0,1] op_sel_hi:[1,1,0] neg_lo:[0,0,1] neg_hi:[0,0,1]
	v_pk_fma_f32 v[116:117], v[118:119], v[106:107], v[116:117] op_sel:[0,0,1] op_sel_hi:[1,0,0]
	v_mov_b32_e32 v121, v117
	ds_load_2addr_b64 v[116:119], v110 offset0:33 offset1:34
	v_pk_add_f32 v[30:31], v[30:31], v[122:123] neg_lo:[0,1] neg_hi:[0,1]
	v_pk_add_f32 v[80:81], v[80:81], v[120:121] neg_lo:[0,1] neg_hi:[0,1]
	s_wait_dscnt 0x0
	v_dual_mul_f32 v120, v117, v109 :: v_dual_mul_f32 v122, v117, v106
	s_delay_alu instid0(VALU_DEP_1) | instskip(NEXT) | instid1(VALU_DEP_2)
	v_pk_fma_f32 v[120:121], v[116:117], v[72:73], v[120:121] op_sel_hi:[1,1,0] neg_lo:[0,0,1] neg_hi:[0,0,1]
	v_pk_fma_f32 v[116:117], v[116:117], v[72:73], v[122:123] op_sel:[1,0,0] op_sel_hi:[0,1,0]
	s_delay_alu instid0(VALU_DEP_1) | instskip(SKIP_1) | instid1(VALU_DEP_2)
	v_mov_b32_e32 v121, v117
	v_pk_mul_f32 v[116:117], v[118:119], v[108:109] op_sel:[0,1]
	v_pk_add_f32 v[24:25], v[24:25], v[120:121] neg_lo:[0,1] neg_hi:[0,1]
	s_delay_alu instid0(VALU_DEP_2) | instskip(SKIP_1) | instid1(VALU_DEP_1)
	v_pk_fma_f32 v[120:121], v[118:119], v[106:107], v[116:117] op_sel:[0,0,1] op_sel_hi:[1,1,0] neg_lo:[0,0,1] neg_hi:[0,0,1]
	v_pk_fma_f32 v[116:117], v[118:119], v[106:107], v[116:117] op_sel:[0,0,1] op_sel_hi:[1,0,0]
	v_mov_b32_e32 v121, v117
	ds_load_2addr_b64 v[116:119], v110 offset0:35 offset1:36
	v_pk_add_f32 v[26:27], v[26:27], v[120:121] neg_lo:[0,1] neg_hi:[0,1]
	s_wait_dscnt 0x0
	v_pk_mul_f32 v[120:121], v[116:117], v[108:109] op_sel:[0,1]
	s_delay_alu instid0(VALU_DEP_1) | instskip(SKIP_1) | instid1(VALU_DEP_1)
	v_pk_fma_f32 v[122:123], v[116:117], v[106:107], v[120:121] op_sel:[0,0,1] op_sel_hi:[1,1,0] neg_lo:[0,0,1] neg_hi:[0,0,1]
	v_pk_fma_f32 v[116:117], v[116:117], v[106:107], v[120:121] op_sel:[0,0,1] op_sel_hi:[1,0,0]
	v_mov_b32_e32 v123, v117
	v_pk_mul_f32 v[116:117], v[118:119], v[108:109] op_sel:[0,1]
	s_delay_alu instid0(VALU_DEP_2) | instskip(NEXT) | instid1(VALU_DEP_2)
	v_pk_add_f32 v[22:23], v[22:23], v[122:123] neg_lo:[0,1] neg_hi:[0,1]
	v_pk_fma_f32 v[120:121], v[118:119], v[106:107], v[116:117] op_sel:[0,0,1] op_sel_hi:[1,1,0] neg_lo:[0,0,1] neg_hi:[0,0,1]
	v_pk_fma_f32 v[116:117], v[118:119], v[106:107], v[116:117] op_sel:[0,0,1] op_sel_hi:[1,0,0]
	s_delay_alu instid0(VALU_DEP_1) | instskip(SKIP_4) | instid1(VALU_DEP_1)
	v_mov_b32_e32 v121, v117
	ds_load_2addr_b64 v[116:119], v110 offset0:37 offset1:38
	v_pk_add_f32 v[78:79], v[78:79], v[120:121] neg_lo:[0,1] neg_hi:[0,1]
	s_wait_dscnt 0x0
	v_pk_mul_f32 v[120:121], v[116:117], v[108:109] op_sel:[0,1]
	v_pk_fma_f32 v[122:123], v[116:117], v[106:107], v[120:121] op_sel:[0,0,1] op_sel_hi:[1,1,0] neg_lo:[0,0,1] neg_hi:[0,0,1]
	v_pk_fma_f32 v[116:117], v[116:117], v[106:107], v[120:121] op_sel:[0,0,1] op_sel_hi:[1,0,0]
	v_dual_mul_f32 v120, v119, v109 :: v_dual_mov_b32 v116, v119
	s_delay_alu instid0(VALU_DEP_2) | instskip(NEXT) | instid1(VALU_DEP_2)
	v_dual_mov_b32 v123, v117 :: v_dual_mov_b32 v117, v118
	v_pk_fma_f32 v[120:121], v[118:119], v[72:73], v[120:121] op_sel_hi:[1,1,0] neg_lo:[0,0,1] neg_hi:[0,0,1]
	v_mul_f32_e32 v118, v119, v106
	s_delay_alu instid0(VALU_DEP_3) | instskip(NEXT) | instid1(VALU_DEP_2)
	v_pk_add_f32 v[18:19], v[18:19], v[122:123] neg_lo:[0,1] neg_hi:[0,1]
	v_pk_fma_f32 v[116:117], v[116:117], v[72:73], v[118:119] op_sel_hi:[1,1,0]
	s_delay_alu instid0(VALU_DEP_1) | instskip(SKIP_4) | instid1(VALU_DEP_1)
	v_mov_b32_e32 v121, v117
	ds_load_2addr_b64 v[116:119], v110 offset0:39 offset1:40
	v_pk_add_f32 v[20:21], v[20:21], v[120:121] neg_lo:[0,1] neg_hi:[0,1]
	s_wait_dscnt 0x0
	v_pk_mul_f32 v[120:121], v[116:117], v[108:109] op_sel:[0,1]
	v_pk_fma_f32 v[122:123], v[116:117], v[106:107], v[120:121] op_sel:[0,0,1] op_sel_hi:[1,1,0] neg_lo:[0,0,1] neg_hi:[0,0,1]
	v_pk_fma_f32 v[116:117], v[116:117], v[106:107], v[120:121] op_sel:[0,0,1] op_sel_hi:[1,0,0]
	s_delay_alu instid0(VALU_DEP_1) | instskip(SKIP_1) | instid1(VALU_DEP_1)
	v_mov_b32_e32 v123, v117
	v_pk_mul_f32 v[116:117], v[118:119], v[108:109] op_sel:[0,1]
	v_pk_fma_f32 v[120:121], v[118:119], v[106:107], v[116:117] op_sel:[0,0,1] op_sel_hi:[1,1,0] neg_lo:[0,0,1] neg_hi:[0,0,1]
	v_pk_fma_f32 v[116:117], v[118:119], v[106:107], v[116:117] op_sel:[0,0,1] op_sel_hi:[1,0,0]
	s_delay_alu instid0(VALU_DEP_1)
	v_mov_b32_e32 v121, v117
	ds_load_2addr_b64 v[116:119], v110 offset0:41 offset1:42
	v_pk_add_f32 v[16:17], v[16:17], v[122:123] neg_lo:[0,1] neg_hi:[0,1]
	v_pk_add_f32 v[76:77], v[76:77], v[120:121] neg_lo:[0,1] neg_hi:[0,1]
	s_wait_dscnt 0x0
	v_pk_mul_f32 v[120:121], v[116:117], v[108:109] op_sel:[0,1]
	s_delay_alu instid0(VALU_DEP_1) | instskip(SKIP_1) | instid1(VALU_DEP_1)
	v_pk_fma_f32 v[122:123], v[116:117], v[106:107], v[120:121] op_sel:[0,0,1] op_sel_hi:[1,1,0] neg_lo:[0,0,1] neg_hi:[0,0,1]
	v_pk_fma_f32 v[116:117], v[116:117], v[106:107], v[120:121] op_sel:[0,0,1] op_sel_hi:[1,0,0]
	v_mov_b32_e32 v123, v117
	v_pk_mul_f32 v[116:117], v[118:119], v[108:109] op_sel:[0,1]
	s_delay_alu instid0(VALU_DEP_1) | instskip(SKIP_1) | instid1(VALU_DEP_1)
	v_pk_fma_f32 v[120:121], v[118:119], v[106:107], v[116:117] op_sel:[0,0,1] op_sel_hi:[1,1,0] neg_lo:[0,0,1] neg_hi:[0,0,1]
	v_pk_fma_f32 v[116:117], v[118:119], v[106:107], v[116:117] op_sel:[0,0,1] op_sel_hi:[1,0,0]
	v_mov_b32_e32 v121, v117
	ds_load_2addr_b64 v[116:119], v110 offset0:43 offset1:44
	v_pk_add_f32 v[10:11], v[10:11], v[122:123] neg_lo:[0,1] neg_hi:[0,1]
	v_pk_add_f32 v[12:13], v[12:13], v[120:121] neg_lo:[0,1] neg_hi:[0,1]
	s_wait_dscnt 0x0
	v_dual_mul_f32 v120, v117, v109 :: v_dual_mul_f32 v122, v117, v106
	s_delay_alu instid0(VALU_DEP_1) | instskip(NEXT) | instid1(VALU_DEP_2)
	v_pk_fma_f32 v[120:121], v[116:117], v[72:73], v[120:121] op_sel_hi:[1,1,0] neg_lo:[0,0,1] neg_hi:[0,0,1]
	v_pk_fma_f32 v[116:117], v[116:117], v[72:73], v[122:123] op_sel:[1,0,0] op_sel_hi:[0,1,0]
	s_delay_alu instid0(VALU_DEP_1) | instskip(SKIP_1) | instid1(VALU_DEP_2)
	v_mov_b32_e32 v121, v117
	v_pk_mul_f32 v[116:117], v[118:119], v[108:109] op_sel:[0,1]
	v_pk_add_f32 v[8:9], v[8:9], v[120:121] neg_lo:[0,1] neg_hi:[0,1]
	s_delay_alu instid0(VALU_DEP_2) | instskip(SKIP_1) | instid1(VALU_DEP_1)
	v_pk_fma_f32 v[120:121], v[118:119], v[106:107], v[116:117] op_sel:[0,0,1] op_sel_hi:[1,1,0] neg_lo:[0,0,1] neg_hi:[0,0,1]
	v_pk_fma_f32 v[116:117], v[118:119], v[106:107], v[116:117] op_sel:[0,0,1] op_sel_hi:[1,0,0]
	v_mov_b32_e32 v121, v117
	ds_load_2addr_b64 v[116:119], v110 offset0:45 offset1:46
	v_pk_add_f32 v[70:71], v[70:71], v[120:121] neg_lo:[0,1] neg_hi:[0,1]
	s_wait_dscnt 0x0
	v_pk_mul_f32 v[120:121], v[116:117], v[108:109] op_sel:[0,1]
	s_delay_alu instid0(VALU_DEP_1) | instskip(SKIP_1) | instid1(VALU_DEP_1)
	v_pk_fma_f32 v[122:123], v[116:117], v[106:107], v[120:121] op_sel:[0,0,1] op_sel_hi:[1,1,0] neg_lo:[0,0,1] neg_hi:[0,0,1]
	v_pk_fma_f32 v[116:117], v[116:117], v[106:107], v[120:121] op_sel:[0,0,1] op_sel_hi:[1,0,0]
	v_mov_b32_e32 v123, v117
	v_pk_mul_f32 v[116:117], v[118:119], v[108:109] op_sel:[0,1]
	s_delay_alu instid0(VALU_DEP_2) | instskip(NEXT) | instid1(VALU_DEP_2)
	v_pk_add_f32 v[6:7], v[6:7], v[122:123] neg_lo:[0,1] neg_hi:[0,1]
	v_pk_fma_f32 v[120:121], v[118:119], v[106:107], v[116:117] op_sel:[0,0,1] op_sel_hi:[1,1,0] neg_lo:[0,0,1] neg_hi:[0,0,1]
	v_pk_fma_f32 v[116:117], v[118:119], v[106:107], v[116:117] op_sel:[0,0,1] op_sel_hi:[1,0,0]
	s_delay_alu instid0(VALU_DEP_1) | instskip(SKIP_4) | instid1(VALU_DEP_1)
	v_mov_b32_e32 v121, v117
	ds_load_2addr_b64 v[116:119], v110 offset0:47 offset1:48
	v_pk_add_f32 v[46:47], v[46:47], v[120:121] neg_lo:[0,1] neg_hi:[0,1]
	s_wait_dscnt 0x0
	v_pk_mul_f32 v[120:121], v[116:117], v[108:109] op_sel:[0,1]
	v_pk_fma_f32 v[122:123], v[116:117], v[106:107], v[120:121] op_sel:[0,0,1] op_sel_hi:[1,1,0] neg_lo:[0,0,1] neg_hi:[0,0,1]
	v_pk_fma_f32 v[116:117], v[116:117], v[106:107], v[120:121] op_sel:[0,0,1] op_sel_hi:[1,0,0]
	v_dual_mul_f32 v120, v119, v109 :: v_dual_mov_b32 v116, v119
	s_delay_alu instid0(VALU_DEP_2) | instskip(NEXT) | instid1(VALU_DEP_2)
	v_dual_mov_b32 v123, v117 :: v_dual_mov_b32 v117, v118
	v_pk_fma_f32 v[120:121], v[118:119], v[72:73], v[120:121] op_sel_hi:[1,1,0] neg_lo:[0,0,1] neg_hi:[0,0,1]
	v_mul_f32_e32 v118, v119, v106
	s_delay_alu instid0(VALU_DEP_3) | instskip(NEXT) | instid1(VALU_DEP_2)
	v_pk_add_f32 v[28:29], v[28:29], v[122:123] neg_lo:[0,1] neg_hi:[0,1]
	v_pk_fma_f32 v[116:117], v[116:117], v[72:73], v[118:119] op_sel_hi:[1,1,0]
	s_delay_alu instid0(VALU_DEP_1) | instskip(SKIP_4) | instid1(VALU_DEP_1)
	v_mov_b32_e32 v121, v117
	ds_load_b64 v[116:117], v110 offset:392
	v_pk_add_f32 v[14:15], v[14:15], v[120:121] neg_lo:[0,1] neg_hi:[0,1]
	s_wait_dscnt 0x0
	v_pk_mul_f32 v[108:109], v[116:117], v[108:109] op_sel:[0,1]
	v_pk_fma_f32 v[118:119], v[116:117], v[106:107], v[108:109] op_sel:[0,0,1] op_sel_hi:[1,1,0] neg_lo:[0,0,1] neg_hi:[0,0,1]
	v_pk_fma_f32 v[106:107], v[116:117], v[106:107], v[108:109] op_sel:[0,0,1] op_sel_hi:[1,0,0]
	s_delay_alu instid0(VALU_DEP_1) | instskip(NEXT) | instid1(VALU_DEP_1)
	v_mov_b32_e32 v119, v107
	v_pk_add_f32 v[104:105], v[104:105], v[118:119] neg_lo:[0,1] neg_hi:[0,1]
.LBB98_314:
	s_or_b32 exec_lo, exec_lo, s0
	v_lshl_add_u32 v106, v114, 3, v110
	s_barrier_signal -1
	s_barrier_wait -1
	ds_store_b64 v106, v[66:67]
	s_wait_dscnt 0x0
	s_barrier_signal -1
	s_barrier_wait -1
	ds_load_b64 v[108:109], v110 offset:120
	v_mov_b32_e32 v106, 15
	s_cmp_lt_i32 s18, 17
	s_cbranch_scc1 .LBB98_317
; %bb.315:
	v_add3_u32 v107, v111, 0, 0x80
	v_mov_b32_e32 v106, 15
	s_mov_b32 s0, 16
.LBB98_316:                             ; =>This Inner Loop Header: Depth=1
	ds_load_b64 v[116:117], v107
	s_wait_dscnt 0x1
	v_cmp_gt_f32_e32 vcc_lo, 0, v108
	v_cndmask_b32_e64 v118, v108, -v108, vcc_lo
	v_cmp_gt_f32_e32 vcc_lo, 0, v109
	v_cndmask_b32_e64 v120, v109, -v109, vcc_lo
	s_wait_dscnt 0x0
	v_cmp_gt_f32_e32 vcc_lo, 0, v116
	v_cndmask_b32_e64 v119, v116, -v116, vcc_lo
	v_cmp_gt_f32_e32 vcc_lo, 0, v117
	v_cndmask_b32_e64 v121, v117, -v117, vcc_lo
	s_delay_alu instid0(VALU_DEP_1) | instskip(NEXT) | instid1(VALU_DEP_1)
	v_pk_add_f32 v[118:119], v[118:119], v[120:121]
	v_cmp_lt_f32_e32 vcc_lo, v118, v119
	v_dual_add_nc_u32 v107, 8, v107 :: v_dual_cndmask_b32 v109, v109, v117, vcc_lo
	v_cndmask_b32_e32 v108, v108, v116, vcc_lo
	v_cndmask_b32_e64 v106, v106, s0, vcc_lo
	s_add_co_i32 s0, s0, 1
	s_delay_alu instid0(SALU_CYCLE_1)
	s_cmp_lg_u32 s18, s0
	s_cbranch_scc1 .LBB98_316
.LBB98_317:
	s_wait_dscnt 0x0
	v_cmp_eq_f32_e32 vcc_lo, 0, v108
	v_cmp_eq_f32_e64 s0, 0, v109
	s_and_b32 s0, vcc_lo, s0
	s_delay_alu instid0(SALU_CYCLE_1) | instskip(NEXT) | instid1(SALU_CYCLE_1)
	s_and_saveexec_b32 s1, s0
	s_xor_b32 s0, exec_lo, s1
; %bb.318:
	v_cmp_ne_u32_e32 vcc_lo, 0, v112
	v_cndmask_b32_e32 v112, 16, v112, vcc_lo
; %bb.319:
	s_and_not1_saveexec_b32 s0, s0
	s_cbranch_execz .LBB98_325
; %bb.320:
	v_cmp_ngt_f32_e64 s1, |v108|, |v109|
	s_and_saveexec_b32 s12, s1
	s_delay_alu instid0(SALU_CYCLE_1)
	s_xor_b32 s1, exec_lo, s12
	s_cbranch_execz .LBB98_322
; %bb.321:
	v_div_scale_f32 v107, null, v109, v109, v108
	v_div_scale_f32 v117, vcc_lo, v108, v109, v108
	s_delay_alu instid0(VALU_DEP_2) | instskip(SKIP_1) | instid1(TRANS32_DEP_1)
	v_rcp_f32_e32 v115, v107
	v_nop
	v_fma_f32 v116, -v107, v115, 1.0
	s_delay_alu instid0(VALU_DEP_1) | instskip(NEXT) | instid1(VALU_DEP_1)
	v_fmac_f32_e32 v115, v116, v115
	v_mul_f32_e32 v116, v117, v115
	s_delay_alu instid0(VALU_DEP_1) | instskip(NEXT) | instid1(VALU_DEP_1)
	v_fma_f32 v118, -v107, v116, v117
	v_fmac_f32_e32 v116, v118, v115
	s_delay_alu instid0(VALU_DEP_1) | instskip(NEXT) | instid1(VALU_DEP_1)
	v_fma_f32 v107, -v107, v116, v117
	v_div_fmas_f32 v107, v107, v115, v116
	s_delay_alu instid0(VALU_DEP_1) | instskip(NEXT) | instid1(VALU_DEP_1)
	v_div_fixup_f32 v107, v107, v109, v108
	v_fmac_f32_e32 v109, v108, v107
	s_delay_alu instid0(VALU_DEP_1) | instskip(SKIP_1) | instid1(VALU_DEP_2)
	v_div_scale_f32 v108, null, v109, v109, 1.0
	v_div_scale_f32 v117, vcc_lo, 1.0, v109, 1.0
	v_rcp_f32_e32 v115, v108
	v_nop
	s_delay_alu instid0(TRANS32_DEP_1) | instskip(NEXT) | instid1(VALU_DEP_1)
	v_fma_f32 v116, -v108, v115, 1.0
	v_fmac_f32_e32 v115, v116, v115
	s_delay_alu instid0(VALU_DEP_1) | instskip(NEXT) | instid1(VALU_DEP_1)
	v_mul_f32_e32 v116, v117, v115
	v_fma_f32 v118, -v108, v116, v117
	s_delay_alu instid0(VALU_DEP_1) | instskip(NEXT) | instid1(VALU_DEP_1)
	v_fmac_f32_e32 v116, v118, v115
	v_fma_f32 v108, -v108, v116, v117
	s_delay_alu instid0(VALU_DEP_1) | instskip(NEXT) | instid1(VALU_DEP_1)
	v_div_fmas_f32 v108, v108, v115, v116
	v_div_fixup_f32 v109, v108, v109, 1.0
	s_delay_alu instid0(VALU_DEP_1)
	v_mul_f32_e32 v108, v107, v109
	v_xor_b32_e32 v109, 0x80000000, v109
.LBB98_322:
	s_and_not1_saveexec_b32 s1, s1
	s_cbranch_execz .LBB98_324
; %bb.323:
	s_delay_alu instid0(VALU_DEP_1) | instskip(SKIP_1) | instid1(VALU_DEP_2)
	v_div_scale_f32 v107, null, v108, v108, v109
	v_div_scale_f32 v117, vcc_lo, v109, v108, v109
	v_rcp_f32_e32 v115, v107
	v_nop
	s_delay_alu instid0(TRANS32_DEP_1) | instskip(NEXT) | instid1(VALU_DEP_1)
	v_fma_f32 v116, -v107, v115, 1.0
	v_fmac_f32_e32 v115, v116, v115
	s_delay_alu instid0(VALU_DEP_1) | instskip(NEXT) | instid1(VALU_DEP_1)
	v_mul_f32_e32 v116, v117, v115
	v_fma_f32 v118, -v107, v116, v117
	s_delay_alu instid0(VALU_DEP_1) | instskip(NEXT) | instid1(VALU_DEP_1)
	v_fmac_f32_e32 v116, v118, v115
	v_fma_f32 v107, -v107, v116, v117
	s_delay_alu instid0(VALU_DEP_1) | instskip(NEXT) | instid1(VALU_DEP_1)
	v_div_fmas_f32 v107, v107, v115, v116
	v_div_fixup_f32 v107, v107, v108, v109
	s_delay_alu instid0(VALU_DEP_1) | instskip(NEXT) | instid1(VALU_DEP_1)
	v_fmac_f32_e32 v108, v109, v107
	v_div_scale_f32 v109, null, v108, v108, 1.0
	s_delay_alu instid0(VALU_DEP_1) | instskip(SKIP_1) | instid1(TRANS32_DEP_1)
	v_rcp_f32_e32 v115, v109
	v_nop
	v_fma_f32 v116, -v109, v115, 1.0
	s_delay_alu instid0(VALU_DEP_1) | instskip(SKIP_1) | instid1(VALU_DEP_1)
	v_fmac_f32_e32 v115, v116, v115
	v_div_scale_f32 v116, vcc_lo, 1.0, v108, 1.0
	v_mul_f32_e32 v117, v116, v115
	s_delay_alu instid0(VALU_DEP_1) | instskip(NEXT) | instid1(VALU_DEP_1)
	v_fma_f32 v118, -v109, v117, v116
	v_fmac_f32_e32 v117, v118, v115
	s_delay_alu instid0(VALU_DEP_1) | instskip(NEXT) | instid1(VALU_DEP_1)
	v_fma_f32 v109, -v109, v117, v116
	v_div_fmas_f32 v109, v109, v115, v117
	s_delay_alu instid0(VALU_DEP_1) | instskip(NEXT) | instid1(VALU_DEP_1)
	v_div_fixup_f32 v108, v109, v108, 1.0
	v_mul_f32_e64 v109, v107, -v108
.LBB98_324:
	s_or_b32 exec_lo, exec_lo, s1
.LBB98_325:
	s_delay_alu instid0(SALU_CYCLE_1) | instskip(NEXT) | instid1(SALU_CYCLE_1)
	s_or_b32 exec_lo, exec_lo, s0
	s_mov_b32 s0, exec_lo
	v_cmpx_ne_u32_e64 v114, v106
	s_xor_b32 s0, exec_lo, s0
	s_cbranch_execz .LBB98_331
; %bb.326:
	s_mov_b32 s1, exec_lo
	v_cmpx_eq_u32_e32 15, v114
	s_cbranch_execz .LBB98_330
; %bb.327:
	v_cmp_ne_u32_e32 vcc_lo, 15, v106
	s_xor_b32 s12, s16, -1
	s_delay_alu instid0(SALU_CYCLE_1) | instskip(NEXT) | instid1(SALU_CYCLE_1)
	s_and_b32 s13, s12, vcc_lo
	s_and_saveexec_b32 s12, s13
	s_cbranch_execz .LBB98_329
; %bb.328:
	v_ashrrev_i32_e32 v107, 31, v106
	s_delay_alu instid0(VALU_DEP_1)
	v_lshl_add_u64 v[114:115], v[106:107], 2, v[4:5]
	s_clause 0x1
	global_load_b32 v107, v[114:115], off
	global_load_b32 v113, v[4:5], off offset:60
	s_wait_loadcnt 0x1
	global_store_b32 v[4:5], v107, off offset:60
	s_wait_loadcnt 0x0
	global_store_b32 v[114:115], v113, off
.LBB98_329:
	s_wait_xcnt 0x0
	s_or_b32 exec_lo, exec_lo, s12
	v_dual_mov_b32 v114, v106 :: v_dual_mov_b32 v113, v106
.LBB98_330:
	s_or_b32 exec_lo, exec_lo, s1
.LBB98_331:
	s_and_not1_saveexec_b32 s0, s0
	s_cbranch_execz .LBB98_333
; %bb.332:
	v_dual_mov_b32 v106, v92 :: v_dual_mov_b32 v107, v93
	v_dual_mov_b32 v114, v62 :: v_dual_mov_b32 v115, v63
	ds_store_2addr_b64 v110, v[106:107], v[114:115] offset0:16 offset1:17
	v_dual_mov_b32 v106, v64 :: v_dual_mov_b32 v107, v65
	v_dual_mov_b32 v114, v60 :: v_dual_mov_b32 v115, v61
	ds_store_2addr_b64 v110, v[106:107], v[114:115] offset0:18 offset1:19
	;; [unrolled: 3-line block ×16, first 2 shown]
	v_dual_mov_b32 v106, v14 :: v_dual_mov_b32 v107, v15
	v_mov_b32_e32 v114, 15
	ds_store_2addr_b64 v110, v[106:107], v[104:105] offset0:48 offset1:49
.LBB98_333:
	s_or_b32 exec_lo, exec_lo, s0
	s_delay_alu instid0(SALU_CYCLE_1)
	s_mov_b32 s0, exec_lo
	s_wait_storecnt_dscnt 0x0
	s_barrier_signal -1
	s_barrier_wait -1
	v_cmpx_lt_i32_e32 15, v114
	s_cbranch_execz .LBB98_335
; %bb.334:
	v_pk_mul_f32 v[116:117], v[108:109], v[66:67] op_sel:[1,1] op_sel_hi:[0,1]
	s_delay_alu instid0(VALU_DEP_1)
	v_pk_fma_f32 v[106:107], v[108:109], v[66:67], v[116:117] op_sel_hi:[1,0,1] neg_lo:[0,0,1] neg_hi:[0,0,1]
	v_pk_fma_f32 v[108:109], v[108:109], v[66:67], v[116:117] op_sel_hi:[1,0,1]
	ds_load_2addr_b64 v[116:119], v110 offset0:16 offset1:17
	v_dual_mov_b32 v66, v106 :: v_dual_mov_b32 v67, v109
	s_wait_dscnt 0x0
	v_pk_mul_f32 v[120:121], v[116:117], v[108:109] op_sel:[0,1]
	s_delay_alu instid0(VALU_DEP_1) | instskip(SKIP_1) | instid1(VALU_DEP_1)
	v_pk_fma_f32 v[122:123], v[116:117], v[106:107], v[120:121] op_sel:[0,0,1] op_sel_hi:[1,1,0] neg_lo:[0,0,1] neg_hi:[0,0,1]
	v_pk_fma_f32 v[116:117], v[116:117], v[106:107], v[120:121] op_sel:[0,0,1] op_sel_hi:[1,0,0]
	v_mov_b32_e32 v123, v117
	v_pk_mul_f32 v[116:117], v[118:119], v[108:109] op_sel:[0,1]
	s_delay_alu instid0(VALU_DEP_1) | instskip(SKIP_1) | instid1(VALU_DEP_1)
	v_pk_fma_f32 v[120:121], v[118:119], v[106:107], v[116:117] op_sel:[0,0,1] op_sel_hi:[1,1,0] neg_lo:[0,0,1] neg_hi:[0,0,1]
	v_pk_fma_f32 v[116:117], v[118:119], v[106:107], v[116:117] op_sel:[0,0,1] op_sel_hi:[1,0,0]
	v_mov_b32_e32 v121, v117
	ds_load_2addr_b64 v[116:119], v110 offset0:18 offset1:19
	v_pk_add_f32 v[92:93], v[92:93], v[122:123] neg_lo:[0,1] neg_hi:[0,1]
	v_pk_add_f32 v[62:63], v[62:63], v[120:121] neg_lo:[0,1] neg_hi:[0,1]
	s_wait_dscnt 0x0
	v_pk_mul_f32 v[120:121], v[116:117], v[108:109] op_sel:[0,1]
	s_delay_alu instid0(VALU_DEP_1) | instskip(SKIP_2) | instid1(VALU_DEP_2)
	v_pk_fma_f32 v[122:123], v[116:117], v[106:107], v[120:121] op_sel:[0,0,1] op_sel_hi:[1,1,0] neg_lo:[0,0,1] neg_hi:[0,0,1]
	v_pk_fma_f32 v[116:117], v[116:117], v[106:107], v[120:121] op_sel:[0,0,1] op_sel_hi:[1,0,0]
	v_dual_mul_f32 v120, v119, v109 :: v_dual_mov_b32 v116, v119
	v_dual_mov_b32 v123, v117 :: v_dual_mov_b32 v117, v118
	s_delay_alu instid0(VALU_DEP_2) | instskip(SKIP_1) | instid1(VALU_DEP_3)
	v_pk_fma_f32 v[120:121], v[118:119], v[66:67], v[120:121] op_sel_hi:[1,1,0] neg_lo:[0,0,1] neg_hi:[0,0,1]
	v_mul_f32_e32 v118, v119, v106
	v_pk_add_f32 v[64:65], v[64:65], v[122:123] neg_lo:[0,1] neg_hi:[0,1]
	s_delay_alu instid0(VALU_DEP_2) | instskip(NEXT) | instid1(VALU_DEP_1)
	v_pk_fma_f32 v[116:117], v[116:117], v[66:67], v[118:119] op_sel_hi:[1,1,0]
	v_mov_b32_e32 v121, v117
	ds_load_2addr_b64 v[116:119], v110 offset0:20 offset1:21
	v_pk_add_f32 v[60:61], v[60:61], v[120:121] neg_lo:[0,1] neg_hi:[0,1]
	s_wait_dscnt 0x0
	v_pk_mul_f32 v[120:121], v[116:117], v[108:109] op_sel:[0,1]
	s_delay_alu instid0(VALU_DEP_1) | instskip(SKIP_1) | instid1(VALU_DEP_1)
	v_pk_fma_f32 v[122:123], v[116:117], v[106:107], v[120:121] op_sel:[0,0,1] op_sel_hi:[1,1,0] neg_lo:[0,0,1] neg_hi:[0,0,1]
	v_pk_fma_f32 v[116:117], v[116:117], v[106:107], v[120:121] op_sel:[0,0,1] op_sel_hi:[1,0,0]
	v_mov_b32_e32 v123, v117
	v_pk_mul_f32 v[116:117], v[118:119], v[108:109] op_sel:[0,1]
	s_delay_alu instid0(VALU_DEP_1) | instskip(SKIP_1) | instid1(VALU_DEP_1)
	v_pk_fma_f32 v[120:121], v[118:119], v[106:107], v[116:117] op_sel:[0,0,1] op_sel_hi:[1,1,0] neg_lo:[0,0,1] neg_hi:[0,0,1]
	v_pk_fma_f32 v[116:117], v[118:119], v[106:107], v[116:117] op_sel:[0,0,1] op_sel_hi:[1,0,0]
	v_mov_b32_e32 v121, v117
	ds_load_2addr_b64 v[116:119], v110 offset0:22 offset1:23
	v_pk_add_f32 v[90:91], v[90:91], v[122:123] neg_lo:[0,1] neg_hi:[0,1]
	v_pk_add_f32 v[56:57], v[56:57], v[120:121] neg_lo:[0,1] neg_hi:[0,1]
	s_wait_dscnt 0x0
	v_pk_mul_f32 v[120:121], v[116:117], v[108:109] op_sel:[0,1]
	s_delay_alu instid0(VALU_DEP_1) | instskip(SKIP_1) | instid1(VALU_DEP_1)
	v_pk_fma_f32 v[122:123], v[116:117], v[106:107], v[120:121] op_sel:[0,0,1] op_sel_hi:[1,1,0] neg_lo:[0,0,1] neg_hi:[0,0,1]
	v_pk_fma_f32 v[116:117], v[116:117], v[106:107], v[120:121] op_sel:[0,0,1] op_sel_hi:[1,0,0]
	v_mov_b32_e32 v123, v117
	v_pk_mul_f32 v[116:117], v[118:119], v[108:109] op_sel:[0,1]
	s_delay_alu instid0(VALU_DEP_1) | instskip(SKIP_1) | instid1(VALU_DEP_1)
	v_pk_fma_f32 v[120:121], v[118:119], v[106:107], v[116:117] op_sel:[0,0,1] op_sel_hi:[1,1,0] neg_lo:[0,0,1] neg_hi:[0,0,1]
	v_pk_fma_f32 v[116:117], v[118:119], v[106:107], v[116:117] op_sel:[0,0,1] op_sel_hi:[1,0,0]
	v_mov_b32_e32 v121, v117
	ds_load_2addr_b64 v[116:119], v110 offset0:24 offset1:25
	v_pk_add_f32 v[58:59], v[58:59], v[122:123] neg_lo:[0,1] neg_hi:[0,1]
	v_pk_add_f32 v[54:55], v[54:55], v[120:121] neg_lo:[0,1] neg_hi:[0,1]
	s_wait_dscnt 0x0
	v_dual_mul_f32 v120, v117, v109 :: v_dual_mul_f32 v122, v117, v106
	s_delay_alu instid0(VALU_DEP_1) | instskip(NEXT) | instid1(VALU_DEP_2)
	v_pk_fma_f32 v[120:121], v[116:117], v[66:67], v[120:121] op_sel_hi:[1,1,0] neg_lo:[0,0,1] neg_hi:[0,0,1]
	v_pk_fma_f32 v[116:117], v[116:117], v[66:67], v[122:123] op_sel:[1,0,0] op_sel_hi:[0,1,0]
	s_delay_alu instid0(VALU_DEP_1) | instskip(SKIP_1) | instid1(VALU_DEP_2)
	v_mov_b32_e32 v121, v117
	v_pk_mul_f32 v[116:117], v[118:119], v[108:109] op_sel:[0,1]
	v_pk_add_f32 v[86:87], v[86:87], v[120:121] neg_lo:[0,1] neg_hi:[0,1]
	s_delay_alu instid0(VALU_DEP_2) | instskip(SKIP_1) | instid1(VALU_DEP_1)
	v_pk_fma_f32 v[120:121], v[118:119], v[106:107], v[116:117] op_sel:[0,0,1] op_sel_hi:[1,1,0] neg_lo:[0,0,1] neg_hi:[0,0,1]
	v_pk_fma_f32 v[116:117], v[118:119], v[106:107], v[116:117] op_sel:[0,0,1] op_sel_hi:[1,0,0]
	v_mov_b32_e32 v121, v117
	ds_load_2addr_b64 v[116:119], v110 offset0:26 offset1:27
	v_pk_add_f32 v[38:39], v[38:39], v[120:121] neg_lo:[0,1] neg_hi:[0,1]
	s_wait_dscnt 0x0
	v_pk_mul_f32 v[120:121], v[116:117], v[108:109] op_sel:[0,1]
	s_delay_alu instid0(VALU_DEP_1) | instskip(SKIP_1) | instid1(VALU_DEP_1)
	v_pk_fma_f32 v[122:123], v[116:117], v[106:107], v[120:121] op_sel:[0,0,1] op_sel_hi:[1,1,0] neg_lo:[0,0,1] neg_hi:[0,0,1]
	v_pk_fma_f32 v[116:117], v[116:117], v[106:107], v[120:121] op_sel:[0,0,1] op_sel_hi:[1,0,0]
	v_mov_b32_e32 v123, v117
	v_pk_mul_f32 v[116:117], v[118:119], v[108:109] op_sel:[0,1]
	s_delay_alu instid0(VALU_DEP_2) | instskip(NEXT) | instid1(VALU_DEP_2)
	v_pk_add_f32 v[42:43], v[42:43], v[122:123] neg_lo:[0,1] neg_hi:[0,1]
	v_pk_fma_f32 v[120:121], v[118:119], v[106:107], v[116:117] op_sel:[0,0,1] op_sel_hi:[1,1,0] neg_lo:[0,0,1] neg_hi:[0,0,1]
	v_pk_fma_f32 v[116:117], v[118:119], v[106:107], v[116:117] op_sel:[0,0,1] op_sel_hi:[1,0,0]
	s_delay_alu instid0(VALU_DEP_1) | instskip(SKIP_4) | instid1(VALU_DEP_1)
	v_mov_b32_e32 v121, v117
	ds_load_2addr_b64 v[116:119], v110 offset0:28 offset1:29
	v_pk_add_f32 v[36:37], v[36:37], v[120:121] neg_lo:[0,1] neg_hi:[0,1]
	s_wait_dscnt 0x0
	v_pk_mul_f32 v[120:121], v[116:117], v[108:109] op_sel:[0,1]
	v_pk_fma_f32 v[122:123], v[116:117], v[106:107], v[120:121] op_sel:[0,0,1] op_sel_hi:[1,1,0] neg_lo:[0,0,1] neg_hi:[0,0,1]
	v_pk_fma_f32 v[116:117], v[116:117], v[106:107], v[120:121] op_sel:[0,0,1] op_sel_hi:[1,0,0]
	v_dual_mul_f32 v120, v119, v109 :: v_dual_mov_b32 v116, v119
	s_delay_alu instid0(VALU_DEP_2) | instskip(NEXT) | instid1(VALU_DEP_2)
	v_dual_mov_b32 v123, v117 :: v_dual_mov_b32 v117, v118
	v_pk_fma_f32 v[120:121], v[118:119], v[66:67], v[120:121] op_sel_hi:[1,1,0] neg_lo:[0,0,1] neg_hi:[0,0,1]
	v_mul_f32_e32 v118, v119, v106
	s_delay_alu instid0(VALU_DEP_3) | instskip(NEXT) | instid1(VALU_DEP_2)
	v_pk_add_f32 v[82:83], v[82:83], v[122:123] neg_lo:[0,1] neg_hi:[0,1]
	v_pk_fma_f32 v[116:117], v[116:117], v[66:67], v[118:119] op_sel_hi:[1,1,0]
	s_delay_alu instid0(VALU_DEP_1) | instskip(SKIP_4) | instid1(VALU_DEP_1)
	v_mov_b32_e32 v121, v117
	ds_load_2addr_b64 v[116:119], v110 offset0:30 offset1:31
	v_pk_add_f32 v[32:33], v[32:33], v[120:121] neg_lo:[0,1] neg_hi:[0,1]
	s_wait_dscnt 0x0
	v_pk_mul_f32 v[120:121], v[116:117], v[108:109] op_sel:[0,1]
	v_pk_fma_f32 v[122:123], v[116:117], v[106:107], v[120:121] op_sel:[0,0,1] op_sel_hi:[1,1,0] neg_lo:[0,0,1] neg_hi:[0,0,1]
	v_pk_fma_f32 v[116:117], v[116:117], v[106:107], v[120:121] op_sel:[0,0,1] op_sel_hi:[1,0,0]
	s_delay_alu instid0(VALU_DEP_1) | instskip(SKIP_1) | instid1(VALU_DEP_1)
	v_mov_b32_e32 v123, v117
	v_pk_mul_f32 v[116:117], v[118:119], v[108:109] op_sel:[0,1]
	v_pk_fma_f32 v[120:121], v[118:119], v[106:107], v[116:117] op_sel:[0,0,1] op_sel_hi:[1,1,0] neg_lo:[0,0,1] neg_hi:[0,0,1]
	v_pk_fma_f32 v[116:117], v[118:119], v[106:107], v[116:117] op_sel:[0,0,1] op_sel_hi:[1,0,0]
	s_delay_alu instid0(VALU_DEP_1)
	v_mov_b32_e32 v121, v117
	ds_load_2addr_b64 v[116:119], v110 offset0:32 offset1:33
	v_pk_add_f32 v[34:35], v[34:35], v[122:123] neg_lo:[0,1] neg_hi:[0,1]
	v_pk_add_f32 v[30:31], v[30:31], v[120:121] neg_lo:[0,1] neg_hi:[0,1]
	s_wait_dscnt 0x0
	v_pk_mul_f32 v[120:121], v[116:117], v[108:109] op_sel:[0,1]
	s_delay_alu instid0(VALU_DEP_1) | instskip(SKIP_1) | instid1(VALU_DEP_1)
	v_pk_fma_f32 v[122:123], v[116:117], v[106:107], v[120:121] op_sel:[0,0,1] op_sel_hi:[1,1,0] neg_lo:[0,0,1] neg_hi:[0,0,1]
	v_pk_fma_f32 v[116:117], v[116:117], v[106:107], v[120:121] op_sel:[0,0,1] op_sel_hi:[1,0,0]
	v_mov_b32_e32 v123, v117
	v_pk_mul_f32 v[116:117], v[118:119], v[108:109] op_sel:[0,1]
	s_delay_alu instid0(VALU_DEP_1) | instskip(SKIP_1) | instid1(VALU_DEP_1)
	v_pk_fma_f32 v[120:121], v[118:119], v[106:107], v[116:117] op_sel:[0,0,1] op_sel_hi:[1,1,0] neg_lo:[0,0,1] neg_hi:[0,0,1]
	v_pk_fma_f32 v[116:117], v[118:119], v[106:107], v[116:117] op_sel:[0,0,1] op_sel_hi:[1,0,0]
	v_mov_b32_e32 v121, v117
	ds_load_2addr_b64 v[116:119], v110 offset0:34 offset1:35
	v_pk_add_f32 v[80:81], v[80:81], v[122:123] neg_lo:[0,1] neg_hi:[0,1]
	v_pk_add_f32 v[24:25], v[24:25], v[120:121] neg_lo:[0,1] neg_hi:[0,1]
	s_wait_dscnt 0x0
	v_dual_mul_f32 v120, v117, v109 :: v_dual_mul_f32 v122, v117, v106
	s_delay_alu instid0(VALU_DEP_1) | instskip(NEXT) | instid1(VALU_DEP_2)
	v_pk_fma_f32 v[120:121], v[116:117], v[66:67], v[120:121] op_sel_hi:[1,1,0] neg_lo:[0,0,1] neg_hi:[0,0,1]
	v_pk_fma_f32 v[116:117], v[116:117], v[66:67], v[122:123] op_sel:[1,0,0] op_sel_hi:[0,1,0]
	s_delay_alu instid0(VALU_DEP_1) | instskip(SKIP_1) | instid1(VALU_DEP_2)
	v_mov_b32_e32 v121, v117
	v_pk_mul_f32 v[116:117], v[118:119], v[108:109] op_sel:[0,1]
	v_pk_add_f32 v[26:27], v[26:27], v[120:121] neg_lo:[0,1] neg_hi:[0,1]
	s_delay_alu instid0(VALU_DEP_2) | instskip(SKIP_1) | instid1(VALU_DEP_1)
	v_pk_fma_f32 v[120:121], v[118:119], v[106:107], v[116:117] op_sel:[0,0,1] op_sel_hi:[1,1,0] neg_lo:[0,0,1] neg_hi:[0,0,1]
	v_pk_fma_f32 v[116:117], v[118:119], v[106:107], v[116:117] op_sel:[0,0,1] op_sel_hi:[1,0,0]
	v_mov_b32_e32 v121, v117
	ds_load_2addr_b64 v[116:119], v110 offset0:36 offset1:37
	v_pk_add_f32 v[22:23], v[22:23], v[120:121] neg_lo:[0,1] neg_hi:[0,1]
	s_wait_dscnt 0x0
	v_pk_mul_f32 v[120:121], v[116:117], v[108:109] op_sel:[0,1]
	s_delay_alu instid0(VALU_DEP_1) | instskip(SKIP_1) | instid1(VALU_DEP_1)
	v_pk_fma_f32 v[122:123], v[116:117], v[106:107], v[120:121] op_sel:[0,0,1] op_sel_hi:[1,1,0] neg_lo:[0,0,1] neg_hi:[0,0,1]
	v_pk_fma_f32 v[116:117], v[116:117], v[106:107], v[120:121] op_sel:[0,0,1] op_sel_hi:[1,0,0]
	v_mov_b32_e32 v123, v117
	v_pk_mul_f32 v[116:117], v[118:119], v[108:109] op_sel:[0,1]
	s_delay_alu instid0(VALU_DEP_2) | instskip(NEXT) | instid1(VALU_DEP_2)
	v_pk_add_f32 v[78:79], v[78:79], v[122:123] neg_lo:[0,1] neg_hi:[0,1]
	v_pk_fma_f32 v[120:121], v[118:119], v[106:107], v[116:117] op_sel:[0,0,1] op_sel_hi:[1,1,0] neg_lo:[0,0,1] neg_hi:[0,0,1]
	v_pk_fma_f32 v[116:117], v[118:119], v[106:107], v[116:117] op_sel:[0,0,1] op_sel_hi:[1,0,0]
	s_delay_alu instid0(VALU_DEP_1) | instskip(SKIP_4) | instid1(VALU_DEP_1)
	v_mov_b32_e32 v121, v117
	ds_load_2addr_b64 v[116:119], v110 offset0:38 offset1:39
	v_pk_add_f32 v[18:19], v[18:19], v[120:121] neg_lo:[0,1] neg_hi:[0,1]
	s_wait_dscnt 0x0
	v_pk_mul_f32 v[120:121], v[116:117], v[108:109] op_sel:[0,1]
	v_pk_fma_f32 v[122:123], v[116:117], v[106:107], v[120:121] op_sel:[0,0,1] op_sel_hi:[1,1,0] neg_lo:[0,0,1] neg_hi:[0,0,1]
	v_pk_fma_f32 v[116:117], v[116:117], v[106:107], v[120:121] op_sel:[0,0,1] op_sel_hi:[1,0,0]
	v_dual_mul_f32 v120, v119, v109 :: v_dual_mov_b32 v116, v119
	s_delay_alu instid0(VALU_DEP_2) | instskip(NEXT) | instid1(VALU_DEP_2)
	v_dual_mov_b32 v123, v117 :: v_dual_mov_b32 v117, v118
	v_pk_fma_f32 v[120:121], v[118:119], v[66:67], v[120:121] op_sel_hi:[1,1,0] neg_lo:[0,0,1] neg_hi:[0,0,1]
	v_mul_f32_e32 v118, v119, v106
	s_delay_alu instid0(VALU_DEP_3) | instskip(NEXT) | instid1(VALU_DEP_2)
	v_pk_add_f32 v[20:21], v[20:21], v[122:123] neg_lo:[0,1] neg_hi:[0,1]
	v_pk_fma_f32 v[116:117], v[116:117], v[66:67], v[118:119] op_sel_hi:[1,1,0]
	s_delay_alu instid0(VALU_DEP_1) | instskip(SKIP_4) | instid1(VALU_DEP_1)
	v_mov_b32_e32 v121, v117
	ds_load_2addr_b64 v[116:119], v110 offset0:40 offset1:41
	v_pk_add_f32 v[16:17], v[16:17], v[120:121] neg_lo:[0,1] neg_hi:[0,1]
	s_wait_dscnt 0x0
	v_pk_mul_f32 v[120:121], v[116:117], v[108:109] op_sel:[0,1]
	v_pk_fma_f32 v[122:123], v[116:117], v[106:107], v[120:121] op_sel:[0,0,1] op_sel_hi:[1,1,0] neg_lo:[0,0,1] neg_hi:[0,0,1]
	v_pk_fma_f32 v[116:117], v[116:117], v[106:107], v[120:121] op_sel:[0,0,1] op_sel_hi:[1,0,0]
	s_delay_alu instid0(VALU_DEP_1) | instskip(SKIP_1) | instid1(VALU_DEP_1)
	v_mov_b32_e32 v123, v117
	v_pk_mul_f32 v[116:117], v[118:119], v[108:109] op_sel:[0,1]
	v_pk_fma_f32 v[120:121], v[118:119], v[106:107], v[116:117] op_sel:[0,0,1] op_sel_hi:[1,1,0] neg_lo:[0,0,1] neg_hi:[0,0,1]
	v_pk_fma_f32 v[116:117], v[118:119], v[106:107], v[116:117] op_sel:[0,0,1] op_sel_hi:[1,0,0]
	s_delay_alu instid0(VALU_DEP_1)
	v_mov_b32_e32 v121, v117
	ds_load_2addr_b64 v[116:119], v110 offset0:42 offset1:43
	v_pk_add_f32 v[76:77], v[76:77], v[122:123] neg_lo:[0,1] neg_hi:[0,1]
	v_pk_add_f32 v[10:11], v[10:11], v[120:121] neg_lo:[0,1] neg_hi:[0,1]
	s_wait_dscnt 0x0
	v_pk_mul_f32 v[120:121], v[116:117], v[108:109] op_sel:[0,1]
	s_delay_alu instid0(VALU_DEP_1) | instskip(SKIP_1) | instid1(VALU_DEP_1)
	v_pk_fma_f32 v[122:123], v[116:117], v[106:107], v[120:121] op_sel:[0,0,1] op_sel_hi:[1,1,0] neg_lo:[0,0,1] neg_hi:[0,0,1]
	v_pk_fma_f32 v[116:117], v[116:117], v[106:107], v[120:121] op_sel:[0,0,1] op_sel_hi:[1,0,0]
	v_mov_b32_e32 v123, v117
	v_pk_mul_f32 v[116:117], v[118:119], v[108:109] op_sel:[0,1]
	s_delay_alu instid0(VALU_DEP_1) | instskip(SKIP_1) | instid1(VALU_DEP_1)
	v_pk_fma_f32 v[120:121], v[118:119], v[106:107], v[116:117] op_sel:[0,0,1] op_sel_hi:[1,1,0] neg_lo:[0,0,1] neg_hi:[0,0,1]
	v_pk_fma_f32 v[116:117], v[118:119], v[106:107], v[116:117] op_sel:[0,0,1] op_sel_hi:[1,0,0]
	v_mov_b32_e32 v121, v117
	ds_load_2addr_b64 v[116:119], v110 offset0:44 offset1:45
	v_pk_add_f32 v[12:13], v[12:13], v[122:123] neg_lo:[0,1] neg_hi:[0,1]
	v_pk_add_f32 v[8:9], v[8:9], v[120:121] neg_lo:[0,1] neg_hi:[0,1]
	s_wait_dscnt 0x0
	v_dual_mul_f32 v120, v117, v109 :: v_dual_mul_f32 v122, v117, v106
	s_delay_alu instid0(VALU_DEP_1) | instskip(NEXT) | instid1(VALU_DEP_2)
	v_pk_fma_f32 v[120:121], v[116:117], v[66:67], v[120:121] op_sel_hi:[1,1,0] neg_lo:[0,0,1] neg_hi:[0,0,1]
	v_pk_fma_f32 v[116:117], v[116:117], v[66:67], v[122:123] op_sel:[1,0,0] op_sel_hi:[0,1,0]
	s_delay_alu instid0(VALU_DEP_1) | instskip(SKIP_1) | instid1(VALU_DEP_2)
	v_mov_b32_e32 v121, v117
	v_pk_mul_f32 v[116:117], v[118:119], v[108:109] op_sel:[0,1]
	v_pk_add_f32 v[70:71], v[70:71], v[120:121] neg_lo:[0,1] neg_hi:[0,1]
	s_delay_alu instid0(VALU_DEP_2) | instskip(SKIP_1) | instid1(VALU_DEP_1)
	v_pk_fma_f32 v[120:121], v[118:119], v[106:107], v[116:117] op_sel:[0,0,1] op_sel_hi:[1,1,0] neg_lo:[0,0,1] neg_hi:[0,0,1]
	v_pk_fma_f32 v[116:117], v[118:119], v[106:107], v[116:117] op_sel:[0,0,1] op_sel_hi:[1,0,0]
	v_mov_b32_e32 v121, v117
	ds_load_2addr_b64 v[116:119], v110 offset0:46 offset1:47
	v_pk_add_f32 v[6:7], v[6:7], v[120:121] neg_lo:[0,1] neg_hi:[0,1]
	s_wait_dscnt 0x0
	v_pk_mul_f32 v[120:121], v[116:117], v[108:109] op_sel:[0,1]
	s_delay_alu instid0(VALU_DEP_1) | instskip(SKIP_1) | instid1(VALU_DEP_1)
	v_pk_fma_f32 v[122:123], v[116:117], v[106:107], v[120:121] op_sel:[0,0,1] op_sel_hi:[1,1,0] neg_lo:[0,0,1] neg_hi:[0,0,1]
	v_pk_fma_f32 v[116:117], v[116:117], v[106:107], v[120:121] op_sel:[0,0,1] op_sel_hi:[1,0,0]
	v_mov_b32_e32 v123, v117
	v_pk_mul_f32 v[116:117], v[118:119], v[108:109] op_sel:[0,1]
	s_delay_alu instid0(VALU_DEP_2) | instskip(NEXT) | instid1(VALU_DEP_2)
	v_pk_add_f32 v[46:47], v[46:47], v[122:123] neg_lo:[0,1] neg_hi:[0,1]
	v_pk_fma_f32 v[120:121], v[118:119], v[106:107], v[116:117] op_sel:[0,0,1] op_sel_hi:[1,1,0] neg_lo:[0,0,1] neg_hi:[0,0,1]
	v_pk_fma_f32 v[116:117], v[118:119], v[106:107], v[116:117] op_sel:[0,0,1] op_sel_hi:[1,0,0]
	s_delay_alu instid0(VALU_DEP_1)
	v_mov_b32_e32 v121, v117
	ds_load_2addr_b64 v[116:119], v110 offset0:48 offset1:49
	v_pk_add_f32 v[28:29], v[28:29], v[120:121] neg_lo:[0,1] neg_hi:[0,1]
	s_wait_dscnt 0x0
	v_pk_mul_f32 v[120:121], v[116:117], v[108:109] op_sel:[0,1]
	v_pk_mul_f32 v[108:109], v[118:119], v[108:109] op_sel:[0,1]
	s_delay_alu instid0(VALU_DEP_2) | instskip(SKIP_1) | instid1(VALU_DEP_1)
	v_pk_fma_f32 v[122:123], v[116:117], v[106:107], v[120:121] op_sel:[0,0,1] op_sel_hi:[1,1,0] neg_lo:[0,0,1] neg_hi:[0,0,1]
	v_pk_fma_f32 v[116:117], v[116:117], v[106:107], v[120:121] op_sel:[0,0,1] op_sel_hi:[1,0,0]
	v_mov_b32_e32 v123, v117
	s_delay_alu instid0(VALU_DEP_4) | instskip(SKIP_1) | instid1(VALU_DEP_3)
	v_pk_fma_f32 v[116:117], v[118:119], v[106:107], v[108:109] op_sel:[0,0,1] op_sel_hi:[1,1,0] neg_lo:[0,0,1] neg_hi:[0,0,1]
	v_pk_fma_f32 v[106:107], v[118:119], v[106:107], v[108:109] op_sel:[0,0,1] op_sel_hi:[1,0,0]
	v_pk_add_f32 v[14:15], v[14:15], v[122:123] neg_lo:[0,1] neg_hi:[0,1]
	s_delay_alu instid0(VALU_DEP_2) | instskip(NEXT) | instid1(VALU_DEP_1)
	v_mov_b32_e32 v117, v107
	v_pk_add_f32 v[104:105], v[104:105], v[116:117] neg_lo:[0,1] neg_hi:[0,1]
.LBB98_335:
	s_or_b32 exec_lo, exec_lo, s0
	v_lshl_add_u32 v106, v114, 3, v110
	s_barrier_signal -1
	s_barrier_wait -1
	ds_store_b64 v106, v[92:93]
	s_wait_dscnt 0x0
	s_barrier_signal -1
	s_barrier_wait -1
	ds_load_b64 v[108:109], v110 offset:128
	v_mov_b32_e32 v106, 16
	s_cmp_lt_i32 s18, 18
	s_cbranch_scc1 .LBB98_338
; %bb.336:
	v_add3_u32 v107, v111, 0, 0x88
	v_mov_b32_e32 v106, 16
	s_mov_b32 s0, 17
.LBB98_337:                             ; =>This Inner Loop Header: Depth=1
	ds_load_b64 v[116:117], v107
	s_wait_dscnt 0x1
	v_cmp_gt_f32_e32 vcc_lo, 0, v108
	v_cndmask_b32_e64 v118, v108, -v108, vcc_lo
	v_cmp_gt_f32_e32 vcc_lo, 0, v109
	v_cndmask_b32_e64 v120, v109, -v109, vcc_lo
	s_wait_dscnt 0x0
	v_cmp_gt_f32_e32 vcc_lo, 0, v116
	v_cndmask_b32_e64 v119, v116, -v116, vcc_lo
	v_cmp_gt_f32_e32 vcc_lo, 0, v117
	v_cndmask_b32_e64 v121, v117, -v117, vcc_lo
	s_delay_alu instid0(VALU_DEP_1) | instskip(NEXT) | instid1(VALU_DEP_1)
	v_pk_add_f32 v[118:119], v[118:119], v[120:121]
	v_cmp_lt_f32_e32 vcc_lo, v118, v119
	v_dual_add_nc_u32 v107, 8, v107 :: v_dual_cndmask_b32 v109, v109, v117, vcc_lo
	v_cndmask_b32_e32 v108, v108, v116, vcc_lo
	v_cndmask_b32_e64 v106, v106, s0, vcc_lo
	s_add_co_i32 s0, s0, 1
	s_delay_alu instid0(SALU_CYCLE_1)
	s_cmp_lg_u32 s18, s0
	s_cbranch_scc1 .LBB98_337
.LBB98_338:
	s_wait_dscnt 0x0
	v_cmp_eq_f32_e32 vcc_lo, 0, v108
	v_cmp_eq_f32_e64 s0, 0, v109
	s_and_b32 s0, vcc_lo, s0
	s_delay_alu instid0(SALU_CYCLE_1) | instskip(NEXT) | instid1(SALU_CYCLE_1)
	s_and_saveexec_b32 s1, s0
	s_xor_b32 s0, exec_lo, s1
; %bb.339:
	v_cmp_ne_u32_e32 vcc_lo, 0, v112
	v_cndmask_b32_e32 v112, 17, v112, vcc_lo
; %bb.340:
	s_and_not1_saveexec_b32 s0, s0
	s_cbranch_execz .LBB98_346
; %bb.341:
	v_cmp_ngt_f32_e64 s1, |v108|, |v109|
	s_and_saveexec_b32 s12, s1
	s_delay_alu instid0(SALU_CYCLE_1)
	s_xor_b32 s1, exec_lo, s12
	s_cbranch_execz .LBB98_343
; %bb.342:
	v_div_scale_f32 v107, null, v109, v109, v108
	v_div_scale_f32 v117, vcc_lo, v108, v109, v108
	s_delay_alu instid0(VALU_DEP_2) | instskip(SKIP_1) | instid1(TRANS32_DEP_1)
	v_rcp_f32_e32 v115, v107
	v_nop
	v_fma_f32 v116, -v107, v115, 1.0
	s_delay_alu instid0(VALU_DEP_1) | instskip(NEXT) | instid1(VALU_DEP_1)
	v_fmac_f32_e32 v115, v116, v115
	v_mul_f32_e32 v116, v117, v115
	s_delay_alu instid0(VALU_DEP_1) | instskip(NEXT) | instid1(VALU_DEP_1)
	v_fma_f32 v118, -v107, v116, v117
	v_fmac_f32_e32 v116, v118, v115
	s_delay_alu instid0(VALU_DEP_1) | instskip(NEXT) | instid1(VALU_DEP_1)
	v_fma_f32 v107, -v107, v116, v117
	v_div_fmas_f32 v107, v107, v115, v116
	s_delay_alu instid0(VALU_DEP_1) | instskip(NEXT) | instid1(VALU_DEP_1)
	v_div_fixup_f32 v107, v107, v109, v108
	v_fmac_f32_e32 v109, v108, v107
	s_delay_alu instid0(VALU_DEP_1) | instskip(SKIP_1) | instid1(VALU_DEP_2)
	v_div_scale_f32 v108, null, v109, v109, 1.0
	v_div_scale_f32 v117, vcc_lo, 1.0, v109, 1.0
	v_rcp_f32_e32 v115, v108
	v_nop
	s_delay_alu instid0(TRANS32_DEP_1) | instskip(NEXT) | instid1(VALU_DEP_1)
	v_fma_f32 v116, -v108, v115, 1.0
	v_fmac_f32_e32 v115, v116, v115
	s_delay_alu instid0(VALU_DEP_1) | instskip(NEXT) | instid1(VALU_DEP_1)
	v_mul_f32_e32 v116, v117, v115
	v_fma_f32 v118, -v108, v116, v117
	s_delay_alu instid0(VALU_DEP_1) | instskip(NEXT) | instid1(VALU_DEP_1)
	v_fmac_f32_e32 v116, v118, v115
	v_fma_f32 v108, -v108, v116, v117
	s_delay_alu instid0(VALU_DEP_1) | instskip(NEXT) | instid1(VALU_DEP_1)
	v_div_fmas_f32 v108, v108, v115, v116
	v_div_fixup_f32 v109, v108, v109, 1.0
	s_delay_alu instid0(VALU_DEP_1)
	v_mul_f32_e32 v108, v107, v109
	v_xor_b32_e32 v109, 0x80000000, v109
.LBB98_343:
	s_and_not1_saveexec_b32 s1, s1
	s_cbranch_execz .LBB98_345
; %bb.344:
	s_delay_alu instid0(VALU_DEP_1) | instskip(SKIP_1) | instid1(VALU_DEP_2)
	v_div_scale_f32 v107, null, v108, v108, v109
	v_div_scale_f32 v117, vcc_lo, v109, v108, v109
	v_rcp_f32_e32 v115, v107
	v_nop
	s_delay_alu instid0(TRANS32_DEP_1) | instskip(NEXT) | instid1(VALU_DEP_1)
	v_fma_f32 v116, -v107, v115, 1.0
	v_fmac_f32_e32 v115, v116, v115
	s_delay_alu instid0(VALU_DEP_1) | instskip(NEXT) | instid1(VALU_DEP_1)
	v_mul_f32_e32 v116, v117, v115
	v_fma_f32 v118, -v107, v116, v117
	s_delay_alu instid0(VALU_DEP_1) | instskip(NEXT) | instid1(VALU_DEP_1)
	v_fmac_f32_e32 v116, v118, v115
	v_fma_f32 v107, -v107, v116, v117
	s_delay_alu instid0(VALU_DEP_1) | instskip(NEXT) | instid1(VALU_DEP_1)
	v_div_fmas_f32 v107, v107, v115, v116
	v_div_fixup_f32 v107, v107, v108, v109
	s_delay_alu instid0(VALU_DEP_1) | instskip(NEXT) | instid1(VALU_DEP_1)
	v_fmac_f32_e32 v108, v109, v107
	v_div_scale_f32 v109, null, v108, v108, 1.0
	s_delay_alu instid0(VALU_DEP_1) | instskip(SKIP_1) | instid1(TRANS32_DEP_1)
	v_rcp_f32_e32 v115, v109
	v_nop
	v_fma_f32 v116, -v109, v115, 1.0
	s_delay_alu instid0(VALU_DEP_1) | instskip(SKIP_1) | instid1(VALU_DEP_1)
	v_fmac_f32_e32 v115, v116, v115
	v_div_scale_f32 v116, vcc_lo, 1.0, v108, 1.0
	v_mul_f32_e32 v117, v116, v115
	s_delay_alu instid0(VALU_DEP_1) | instskip(NEXT) | instid1(VALU_DEP_1)
	v_fma_f32 v118, -v109, v117, v116
	v_fmac_f32_e32 v117, v118, v115
	s_delay_alu instid0(VALU_DEP_1) | instskip(NEXT) | instid1(VALU_DEP_1)
	v_fma_f32 v109, -v109, v117, v116
	v_div_fmas_f32 v109, v109, v115, v117
	s_delay_alu instid0(VALU_DEP_1) | instskip(NEXT) | instid1(VALU_DEP_1)
	v_div_fixup_f32 v108, v109, v108, 1.0
	v_mul_f32_e64 v109, v107, -v108
.LBB98_345:
	s_or_b32 exec_lo, exec_lo, s1
.LBB98_346:
	s_delay_alu instid0(SALU_CYCLE_1) | instskip(NEXT) | instid1(SALU_CYCLE_1)
	s_or_b32 exec_lo, exec_lo, s0
	s_mov_b32 s0, exec_lo
	v_cmpx_ne_u32_e64 v114, v106
	s_xor_b32 s0, exec_lo, s0
	s_cbranch_execz .LBB98_352
; %bb.347:
	s_mov_b32 s1, exec_lo
	v_cmpx_eq_u32_e32 16, v114
	s_cbranch_execz .LBB98_351
; %bb.348:
	v_cmp_ne_u32_e32 vcc_lo, 16, v106
	s_xor_b32 s12, s16, -1
	s_delay_alu instid0(SALU_CYCLE_1) | instskip(NEXT) | instid1(SALU_CYCLE_1)
	s_and_b32 s13, s12, vcc_lo
	s_and_saveexec_b32 s12, s13
	s_cbranch_execz .LBB98_350
; %bb.349:
	v_ashrrev_i32_e32 v107, 31, v106
	s_delay_alu instid0(VALU_DEP_1)
	v_lshl_add_u64 v[114:115], v[106:107], 2, v[4:5]
	s_clause 0x1
	global_load_b32 v107, v[114:115], off
	global_load_b32 v113, v[4:5], off offset:64
	s_wait_loadcnt 0x1
	global_store_b32 v[4:5], v107, off offset:64
	s_wait_loadcnt 0x0
	global_store_b32 v[114:115], v113, off
.LBB98_350:
	s_wait_xcnt 0x0
	s_or_b32 exec_lo, exec_lo, s12
	v_dual_mov_b32 v114, v106 :: v_dual_mov_b32 v113, v106
.LBB98_351:
	s_or_b32 exec_lo, exec_lo, s1
.LBB98_352:
	s_and_not1_saveexec_b32 s0, s0
	s_cbranch_execz .LBB98_354
; %bb.353:
	v_mov_b32_e32 v114, 16
	ds_store_2addr_b64 v110, v[62:63], v[64:65] offset0:17 offset1:18
	ds_store_2addr_b64 v110, v[60:61], v[90:91] offset0:19 offset1:20
	;; [unrolled: 1-line block ×16, first 2 shown]
	ds_store_b64 v110, v[104:105] offset:392
.LBB98_354:
	s_or_b32 exec_lo, exec_lo, s0
	s_delay_alu instid0(SALU_CYCLE_1)
	s_mov_b32 s0, exec_lo
	s_wait_storecnt_dscnt 0x0
	s_barrier_signal -1
	s_barrier_wait -1
	v_cmpx_lt_i32_e32 16, v114
	s_cbranch_execz .LBB98_356
; %bb.355:
	v_pk_mul_f32 v[116:117], v[108:109], v[92:93] op_sel:[1,1] op_sel_hi:[0,1]
	s_delay_alu instid0(VALU_DEP_1)
	v_pk_fma_f32 v[106:107], v[108:109], v[92:93], v[116:117] op_sel_hi:[1,0,1] neg_lo:[0,0,1] neg_hi:[0,0,1]
	v_pk_fma_f32 v[108:109], v[108:109], v[92:93], v[116:117] op_sel_hi:[1,0,1]
	ds_load_2addr_b64 v[116:119], v110 offset0:17 offset1:18
	v_dual_mov_b32 v92, v106 :: v_dual_mov_b32 v93, v109
	s_wait_dscnt 0x0
	v_pk_mul_f32 v[120:121], v[116:117], v[108:109] op_sel:[0,1]
	s_delay_alu instid0(VALU_DEP_1) | instskip(SKIP_1) | instid1(VALU_DEP_1)
	v_pk_fma_f32 v[122:123], v[116:117], v[106:107], v[120:121] op_sel:[0,0,1] op_sel_hi:[1,1,0] neg_lo:[0,0,1] neg_hi:[0,0,1]
	v_pk_fma_f32 v[116:117], v[116:117], v[106:107], v[120:121] op_sel:[0,0,1] op_sel_hi:[1,0,0]
	v_mov_b32_e32 v123, v117
	v_pk_mul_f32 v[116:117], v[118:119], v[108:109] op_sel:[0,1]
	s_delay_alu instid0(VALU_DEP_1) | instskip(SKIP_1) | instid1(VALU_DEP_1)
	v_pk_fma_f32 v[120:121], v[118:119], v[106:107], v[116:117] op_sel:[0,0,1] op_sel_hi:[1,1,0] neg_lo:[0,0,1] neg_hi:[0,0,1]
	v_pk_fma_f32 v[116:117], v[118:119], v[106:107], v[116:117] op_sel:[0,0,1] op_sel_hi:[1,0,0]
	v_mov_b32_e32 v121, v117
	ds_load_2addr_b64 v[116:119], v110 offset0:19 offset1:20
	v_pk_add_f32 v[62:63], v[62:63], v[122:123] neg_lo:[0,1] neg_hi:[0,1]
	v_pk_add_f32 v[64:65], v[64:65], v[120:121] neg_lo:[0,1] neg_hi:[0,1]
	s_wait_dscnt 0x0
	v_pk_mul_f32 v[120:121], v[116:117], v[108:109] op_sel:[0,1]
	s_delay_alu instid0(VALU_DEP_1) | instskip(SKIP_2) | instid1(VALU_DEP_2)
	v_pk_fma_f32 v[122:123], v[116:117], v[106:107], v[120:121] op_sel:[0,0,1] op_sel_hi:[1,1,0] neg_lo:[0,0,1] neg_hi:[0,0,1]
	v_pk_fma_f32 v[116:117], v[116:117], v[106:107], v[120:121] op_sel:[0,0,1] op_sel_hi:[1,0,0]
	v_dual_mul_f32 v120, v119, v109 :: v_dual_mov_b32 v116, v119
	v_dual_mov_b32 v123, v117 :: v_dual_mov_b32 v117, v118
	s_delay_alu instid0(VALU_DEP_2) | instskip(SKIP_1) | instid1(VALU_DEP_3)
	v_pk_fma_f32 v[120:121], v[118:119], v[92:93], v[120:121] op_sel_hi:[1,1,0] neg_lo:[0,0,1] neg_hi:[0,0,1]
	v_mul_f32_e32 v118, v119, v106
	v_pk_add_f32 v[60:61], v[60:61], v[122:123] neg_lo:[0,1] neg_hi:[0,1]
	s_delay_alu instid0(VALU_DEP_2) | instskip(NEXT) | instid1(VALU_DEP_1)
	v_pk_fma_f32 v[116:117], v[116:117], v[92:93], v[118:119] op_sel_hi:[1,1,0]
	v_mov_b32_e32 v121, v117
	ds_load_2addr_b64 v[116:119], v110 offset0:21 offset1:22
	v_pk_add_f32 v[90:91], v[90:91], v[120:121] neg_lo:[0,1] neg_hi:[0,1]
	s_wait_dscnt 0x0
	v_pk_mul_f32 v[120:121], v[116:117], v[108:109] op_sel:[0,1]
	s_delay_alu instid0(VALU_DEP_1) | instskip(SKIP_1) | instid1(VALU_DEP_1)
	v_pk_fma_f32 v[122:123], v[116:117], v[106:107], v[120:121] op_sel:[0,0,1] op_sel_hi:[1,1,0] neg_lo:[0,0,1] neg_hi:[0,0,1]
	v_pk_fma_f32 v[116:117], v[116:117], v[106:107], v[120:121] op_sel:[0,0,1] op_sel_hi:[1,0,0]
	v_mov_b32_e32 v123, v117
	v_pk_mul_f32 v[116:117], v[118:119], v[108:109] op_sel:[0,1]
	s_delay_alu instid0(VALU_DEP_1) | instskip(SKIP_1) | instid1(VALU_DEP_1)
	v_pk_fma_f32 v[120:121], v[118:119], v[106:107], v[116:117] op_sel:[0,0,1] op_sel_hi:[1,1,0] neg_lo:[0,0,1] neg_hi:[0,0,1]
	v_pk_fma_f32 v[116:117], v[118:119], v[106:107], v[116:117] op_sel:[0,0,1] op_sel_hi:[1,0,0]
	v_mov_b32_e32 v121, v117
	ds_load_2addr_b64 v[116:119], v110 offset0:23 offset1:24
	v_pk_add_f32 v[56:57], v[56:57], v[122:123] neg_lo:[0,1] neg_hi:[0,1]
	v_pk_add_f32 v[58:59], v[58:59], v[120:121] neg_lo:[0,1] neg_hi:[0,1]
	s_wait_dscnt 0x0
	v_pk_mul_f32 v[120:121], v[116:117], v[108:109] op_sel:[0,1]
	s_delay_alu instid0(VALU_DEP_1) | instskip(SKIP_1) | instid1(VALU_DEP_1)
	v_pk_fma_f32 v[122:123], v[116:117], v[106:107], v[120:121] op_sel:[0,0,1] op_sel_hi:[1,1,0] neg_lo:[0,0,1] neg_hi:[0,0,1]
	v_pk_fma_f32 v[116:117], v[116:117], v[106:107], v[120:121] op_sel:[0,0,1] op_sel_hi:[1,0,0]
	v_mov_b32_e32 v123, v117
	v_pk_mul_f32 v[116:117], v[118:119], v[108:109] op_sel:[0,1]
	s_delay_alu instid0(VALU_DEP_1) | instskip(SKIP_1) | instid1(VALU_DEP_1)
	v_pk_fma_f32 v[120:121], v[118:119], v[106:107], v[116:117] op_sel:[0,0,1] op_sel_hi:[1,1,0] neg_lo:[0,0,1] neg_hi:[0,0,1]
	v_pk_fma_f32 v[116:117], v[118:119], v[106:107], v[116:117] op_sel:[0,0,1] op_sel_hi:[1,0,0]
	v_mov_b32_e32 v121, v117
	ds_load_2addr_b64 v[116:119], v110 offset0:25 offset1:26
	v_pk_add_f32 v[54:55], v[54:55], v[122:123] neg_lo:[0,1] neg_hi:[0,1]
	v_pk_add_f32 v[86:87], v[86:87], v[120:121] neg_lo:[0,1] neg_hi:[0,1]
	s_wait_dscnt 0x0
	v_dual_mul_f32 v120, v117, v109 :: v_dual_mul_f32 v122, v117, v106
	s_delay_alu instid0(VALU_DEP_1) | instskip(NEXT) | instid1(VALU_DEP_2)
	v_pk_fma_f32 v[120:121], v[116:117], v[92:93], v[120:121] op_sel_hi:[1,1,0] neg_lo:[0,0,1] neg_hi:[0,0,1]
	v_pk_fma_f32 v[116:117], v[116:117], v[92:93], v[122:123] op_sel:[1,0,0] op_sel_hi:[0,1,0]
	s_delay_alu instid0(VALU_DEP_1) | instskip(SKIP_1) | instid1(VALU_DEP_2)
	v_mov_b32_e32 v121, v117
	v_pk_mul_f32 v[116:117], v[118:119], v[108:109] op_sel:[0,1]
	v_pk_add_f32 v[38:39], v[38:39], v[120:121] neg_lo:[0,1] neg_hi:[0,1]
	s_delay_alu instid0(VALU_DEP_2) | instskip(SKIP_1) | instid1(VALU_DEP_1)
	v_pk_fma_f32 v[120:121], v[118:119], v[106:107], v[116:117] op_sel:[0,0,1] op_sel_hi:[1,1,0] neg_lo:[0,0,1] neg_hi:[0,0,1]
	v_pk_fma_f32 v[116:117], v[118:119], v[106:107], v[116:117] op_sel:[0,0,1] op_sel_hi:[1,0,0]
	v_mov_b32_e32 v121, v117
	ds_load_2addr_b64 v[116:119], v110 offset0:27 offset1:28
	v_pk_add_f32 v[42:43], v[42:43], v[120:121] neg_lo:[0,1] neg_hi:[0,1]
	s_wait_dscnt 0x0
	v_pk_mul_f32 v[120:121], v[116:117], v[108:109] op_sel:[0,1]
	s_delay_alu instid0(VALU_DEP_1) | instskip(SKIP_1) | instid1(VALU_DEP_1)
	v_pk_fma_f32 v[122:123], v[116:117], v[106:107], v[120:121] op_sel:[0,0,1] op_sel_hi:[1,1,0] neg_lo:[0,0,1] neg_hi:[0,0,1]
	v_pk_fma_f32 v[116:117], v[116:117], v[106:107], v[120:121] op_sel:[0,0,1] op_sel_hi:[1,0,0]
	v_mov_b32_e32 v123, v117
	v_pk_mul_f32 v[116:117], v[118:119], v[108:109] op_sel:[0,1]
	s_delay_alu instid0(VALU_DEP_2) | instskip(NEXT) | instid1(VALU_DEP_2)
	v_pk_add_f32 v[36:37], v[36:37], v[122:123] neg_lo:[0,1] neg_hi:[0,1]
	v_pk_fma_f32 v[120:121], v[118:119], v[106:107], v[116:117] op_sel:[0,0,1] op_sel_hi:[1,1,0] neg_lo:[0,0,1] neg_hi:[0,0,1]
	v_pk_fma_f32 v[116:117], v[118:119], v[106:107], v[116:117] op_sel:[0,0,1] op_sel_hi:[1,0,0]
	s_delay_alu instid0(VALU_DEP_1) | instskip(SKIP_4) | instid1(VALU_DEP_1)
	v_mov_b32_e32 v121, v117
	ds_load_2addr_b64 v[116:119], v110 offset0:29 offset1:30
	v_pk_add_f32 v[82:83], v[82:83], v[120:121] neg_lo:[0,1] neg_hi:[0,1]
	s_wait_dscnt 0x0
	v_pk_mul_f32 v[120:121], v[116:117], v[108:109] op_sel:[0,1]
	v_pk_fma_f32 v[122:123], v[116:117], v[106:107], v[120:121] op_sel:[0,0,1] op_sel_hi:[1,1,0] neg_lo:[0,0,1] neg_hi:[0,0,1]
	v_pk_fma_f32 v[116:117], v[116:117], v[106:107], v[120:121] op_sel:[0,0,1] op_sel_hi:[1,0,0]
	v_dual_mul_f32 v120, v119, v109 :: v_dual_mov_b32 v116, v119
	s_delay_alu instid0(VALU_DEP_2) | instskip(NEXT) | instid1(VALU_DEP_2)
	v_dual_mov_b32 v123, v117 :: v_dual_mov_b32 v117, v118
	v_pk_fma_f32 v[120:121], v[118:119], v[92:93], v[120:121] op_sel_hi:[1,1,0] neg_lo:[0,0,1] neg_hi:[0,0,1]
	v_mul_f32_e32 v118, v119, v106
	s_delay_alu instid0(VALU_DEP_3) | instskip(NEXT) | instid1(VALU_DEP_2)
	v_pk_add_f32 v[32:33], v[32:33], v[122:123] neg_lo:[0,1] neg_hi:[0,1]
	v_pk_fma_f32 v[116:117], v[116:117], v[92:93], v[118:119] op_sel_hi:[1,1,0]
	s_delay_alu instid0(VALU_DEP_1) | instskip(SKIP_4) | instid1(VALU_DEP_1)
	v_mov_b32_e32 v121, v117
	ds_load_2addr_b64 v[116:119], v110 offset0:31 offset1:32
	v_pk_add_f32 v[34:35], v[34:35], v[120:121] neg_lo:[0,1] neg_hi:[0,1]
	s_wait_dscnt 0x0
	v_pk_mul_f32 v[120:121], v[116:117], v[108:109] op_sel:[0,1]
	v_pk_fma_f32 v[122:123], v[116:117], v[106:107], v[120:121] op_sel:[0,0,1] op_sel_hi:[1,1,0] neg_lo:[0,0,1] neg_hi:[0,0,1]
	v_pk_fma_f32 v[116:117], v[116:117], v[106:107], v[120:121] op_sel:[0,0,1] op_sel_hi:[1,0,0]
	s_delay_alu instid0(VALU_DEP_1) | instskip(SKIP_1) | instid1(VALU_DEP_1)
	v_mov_b32_e32 v123, v117
	v_pk_mul_f32 v[116:117], v[118:119], v[108:109] op_sel:[0,1]
	v_pk_fma_f32 v[120:121], v[118:119], v[106:107], v[116:117] op_sel:[0,0,1] op_sel_hi:[1,1,0] neg_lo:[0,0,1] neg_hi:[0,0,1]
	v_pk_fma_f32 v[116:117], v[118:119], v[106:107], v[116:117] op_sel:[0,0,1] op_sel_hi:[1,0,0]
	s_delay_alu instid0(VALU_DEP_1)
	v_mov_b32_e32 v121, v117
	ds_load_2addr_b64 v[116:119], v110 offset0:33 offset1:34
	v_pk_add_f32 v[30:31], v[30:31], v[122:123] neg_lo:[0,1] neg_hi:[0,1]
	v_pk_add_f32 v[80:81], v[80:81], v[120:121] neg_lo:[0,1] neg_hi:[0,1]
	s_wait_dscnt 0x0
	v_pk_mul_f32 v[120:121], v[116:117], v[108:109] op_sel:[0,1]
	s_delay_alu instid0(VALU_DEP_1) | instskip(SKIP_1) | instid1(VALU_DEP_1)
	v_pk_fma_f32 v[122:123], v[116:117], v[106:107], v[120:121] op_sel:[0,0,1] op_sel_hi:[1,1,0] neg_lo:[0,0,1] neg_hi:[0,0,1]
	v_pk_fma_f32 v[116:117], v[116:117], v[106:107], v[120:121] op_sel:[0,0,1] op_sel_hi:[1,0,0]
	v_mov_b32_e32 v123, v117
	v_pk_mul_f32 v[116:117], v[118:119], v[108:109] op_sel:[0,1]
	s_delay_alu instid0(VALU_DEP_1) | instskip(SKIP_1) | instid1(VALU_DEP_1)
	v_pk_fma_f32 v[120:121], v[118:119], v[106:107], v[116:117] op_sel:[0,0,1] op_sel_hi:[1,1,0] neg_lo:[0,0,1] neg_hi:[0,0,1]
	v_pk_fma_f32 v[116:117], v[118:119], v[106:107], v[116:117] op_sel:[0,0,1] op_sel_hi:[1,0,0]
	v_mov_b32_e32 v121, v117
	ds_load_2addr_b64 v[116:119], v110 offset0:35 offset1:36
	v_pk_add_f32 v[24:25], v[24:25], v[122:123] neg_lo:[0,1] neg_hi:[0,1]
	v_pk_add_f32 v[26:27], v[26:27], v[120:121] neg_lo:[0,1] neg_hi:[0,1]
	s_wait_dscnt 0x0
	v_dual_mul_f32 v120, v117, v109 :: v_dual_mul_f32 v122, v117, v106
	s_delay_alu instid0(VALU_DEP_1) | instskip(NEXT) | instid1(VALU_DEP_2)
	v_pk_fma_f32 v[120:121], v[116:117], v[92:93], v[120:121] op_sel_hi:[1,1,0] neg_lo:[0,0,1] neg_hi:[0,0,1]
	v_pk_fma_f32 v[116:117], v[116:117], v[92:93], v[122:123] op_sel:[1,0,0] op_sel_hi:[0,1,0]
	s_delay_alu instid0(VALU_DEP_1) | instskip(SKIP_1) | instid1(VALU_DEP_2)
	v_mov_b32_e32 v121, v117
	v_pk_mul_f32 v[116:117], v[118:119], v[108:109] op_sel:[0,1]
	v_pk_add_f32 v[22:23], v[22:23], v[120:121] neg_lo:[0,1] neg_hi:[0,1]
	s_delay_alu instid0(VALU_DEP_2) | instskip(SKIP_1) | instid1(VALU_DEP_1)
	v_pk_fma_f32 v[120:121], v[118:119], v[106:107], v[116:117] op_sel:[0,0,1] op_sel_hi:[1,1,0] neg_lo:[0,0,1] neg_hi:[0,0,1]
	v_pk_fma_f32 v[116:117], v[118:119], v[106:107], v[116:117] op_sel:[0,0,1] op_sel_hi:[1,0,0]
	v_mov_b32_e32 v121, v117
	ds_load_2addr_b64 v[116:119], v110 offset0:37 offset1:38
	v_pk_add_f32 v[78:79], v[78:79], v[120:121] neg_lo:[0,1] neg_hi:[0,1]
	s_wait_dscnt 0x0
	v_pk_mul_f32 v[120:121], v[116:117], v[108:109] op_sel:[0,1]
	s_delay_alu instid0(VALU_DEP_1) | instskip(SKIP_1) | instid1(VALU_DEP_1)
	v_pk_fma_f32 v[122:123], v[116:117], v[106:107], v[120:121] op_sel:[0,0,1] op_sel_hi:[1,1,0] neg_lo:[0,0,1] neg_hi:[0,0,1]
	v_pk_fma_f32 v[116:117], v[116:117], v[106:107], v[120:121] op_sel:[0,0,1] op_sel_hi:[1,0,0]
	v_mov_b32_e32 v123, v117
	v_pk_mul_f32 v[116:117], v[118:119], v[108:109] op_sel:[0,1]
	s_delay_alu instid0(VALU_DEP_2) | instskip(NEXT) | instid1(VALU_DEP_2)
	v_pk_add_f32 v[18:19], v[18:19], v[122:123] neg_lo:[0,1] neg_hi:[0,1]
	v_pk_fma_f32 v[120:121], v[118:119], v[106:107], v[116:117] op_sel:[0,0,1] op_sel_hi:[1,1,0] neg_lo:[0,0,1] neg_hi:[0,0,1]
	v_pk_fma_f32 v[116:117], v[118:119], v[106:107], v[116:117] op_sel:[0,0,1] op_sel_hi:[1,0,0]
	s_delay_alu instid0(VALU_DEP_1) | instskip(SKIP_4) | instid1(VALU_DEP_1)
	v_mov_b32_e32 v121, v117
	ds_load_2addr_b64 v[116:119], v110 offset0:39 offset1:40
	v_pk_add_f32 v[20:21], v[20:21], v[120:121] neg_lo:[0,1] neg_hi:[0,1]
	s_wait_dscnt 0x0
	v_pk_mul_f32 v[120:121], v[116:117], v[108:109] op_sel:[0,1]
	v_pk_fma_f32 v[122:123], v[116:117], v[106:107], v[120:121] op_sel:[0,0,1] op_sel_hi:[1,1,0] neg_lo:[0,0,1] neg_hi:[0,0,1]
	v_pk_fma_f32 v[116:117], v[116:117], v[106:107], v[120:121] op_sel:[0,0,1] op_sel_hi:[1,0,0]
	v_dual_mul_f32 v120, v119, v109 :: v_dual_mov_b32 v116, v119
	s_delay_alu instid0(VALU_DEP_2) | instskip(NEXT) | instid1(VALU_DEP_2)
	v_dual_mov_b32 v123, v117 :: v_dual_mov_b32 v117, v118
	v_pk_fma_f32 v[120:121], v[118:119], v[92:93], v[120:121] op_sel_hi:[1,1,0] neg_lo:[0,0,1] neg_hi:[0,0,1]
	v_mul_f32_e32 v118, v119, v106
	s_delay_alu instid0(VALU_DEP_3) | instskip(NEXT) | instid1(VALU_DEP_2)
	v_pk_add_f32 v[16:17], v[16:17], v[122:123] neg_lo:[0,1] neg_hi:[0,1]
	v_pk_fma_f32 v[116:117], v[116:117], v[92:93], v[118:119] op_sel_hi:[1,1,0]
	s_delay_alu instid0(VALU_DEP_1) | instskip(SKIP_4) | instid1(VALU_DEP_1)
	v_mov_b32_e32 v121, v117
	ds_load_2addr_b64 v[116:119], v110 offset0:41 offset1:42
	v_pk_add_f32 v[76:77], v[76:77], v[120:121] neg_lo:[0,1] neg_hi:[0,1]
	s_wait_dscnt 0x0
	v_pk_mul_f32 v[120:121], v[116:117], v[108:109] op_sel:[0,1]
	v_pk_fma_f32 v[122:123], v[116:117], v[106:107], v[120:121] op_sel:[0,0,1] op_sel_hi:[1,1,0] neg_lo:[0,0,1] neg_hi:[0,0,1]
	v_pk_fma_f32 v[116:117], v[116:117], v[106:107], v[120:121] op_sel:[0,0,1] op_sel_hi:[1,0,0]
	s_delay_alu instid0(VALU_DEP_1) | instskip(SKIP_1) | instid1(VALU_DEP_1)
	v_mov_b32_e32 v123, v117
	v_pk_mul_f32 v[116:117], v[118:119], v[108:109] op_sel:[0,1]
	v_pk_fma_f32 v[120:121], v[118:119], v[106:107], v[116:117] op_sel:[0,0,1] op_sel_hi:[1,1,0] neg_lo:[0,0,1] neg_hi:[0,0,1]
	v_pk_fma_f32 v[116:117], v[118:119], v[106:107], v[116:117] op_sel:[0,0,1] op_sel_hi:[1,0,0]
	s_delay_alu instid0(VALU_DEP_1)
	v_mov_b32_e32 v121, v117
	ds_load_2addr_b64 v[116:119], v110 offset0:43 offset1:44
	v_pk_add_f32 v[10:11], v[10:11], v[122:123] neg_lo:[0,1] neg_hi:[0,1]
	v_pk_add_f32 v[12:13], v[12:13], v[120:121] neg_lo:[0,1] neg_hi:[0,1]
	s_wait_dscnt 0x0
	v_pk_mul_f32 v[120:121], v[116:117], v[108:109] op_sel:[0,1]
	s_delay_alu instid0(VALU_DEP_1) | instskip(SKIP_1) | instid1(VALU_DEP_1)
	v_pk_fma_f32 v[122:123], v[116:117], v[106:107], v[120:121] op_sel:[0,0,1] op_sel_hi:[1,1,0] neg_lo:[0,0,1] neg_hi:[0,0,1]
	v_pk_fma_f32 v[116:117], v[116:117], v[106:107], v[120:121] op_sel:[0,0,1] op_sel_hi:[1,0,0]
	v_mov_b32_e32 v123, v117
	v_pk_mul_f32 v[116:117], v[118:119], v[108:109] op_sel:[0,1]
	s_delay_alu instid0(VALU_DEP_1) | instskip(SKIP_1) | instid1(VALU_DEP_1)
	v_pk_fma_f32 v[120:121], v[118:119], v[106:107], v[116:117] op_sel:[0,0,1] op_sel_hi:[1,1,0] neg_lo:[0,0,1] neg_hi:[0,0,1]
	v_pk_fma_f32 v[116:117], v[118:119], v[106:107], v[116:117] op_sel:[0,0,1] op_sel_hi:[1,0,0]
	v_mov_b32_e32 v121, v117
	ds_load_2addr_b64 v[116:119], v110 offset0:45 offset1:46
	v_pk_add_f32 v[8:9], v[8:9], v[122:123] neg_lo:[0,1] neg_hi:[0,1]
	v_pk_add_f32 v[70:71], v[70:71], v[120:121] neg_lo:[0,1] neg_hi:[0,1]
	s_wait_dscnt 0x0
	v_dual_mul_f32 v120, v117, v109 :: v_dual_mul_f32 v122, v117, v106
	s_delay_alu instid0(VALU_DEP_1) | instskip(NEXT) | instid1(VALU_DEP_2)
	v_pk_fma_f32 v[120:121], v[116:117], v[92:93], v[120:121] op_sel_hi:[1,1,0] neg_lo:[0,0,1] neg_hi:[0,0,1]
	v_pk_fma_f32 v[116:117], v[116:117], v[92:93], v[122:123] op_sel:[1,0,0] op_sel_hi:[0,1,0]
	s_delay_alu instid0(VALU_DEP_1) | instskip(SKIP_1) | instid1(VALU_DEP_2)
	v_mov_b32_e32 v121, v117
	v_pk_mul_f32 v[116:117], v[118:119], v[108:109] op_sel:[0,1]
	v_pk_add_f32 v[6:7], v[6:7], v[120:121] neg_lo:[0,1] neg_hi:[0,1]
	s_delay_alu instid0(VALU_DEP_2) | instskip(SKIP_1) | instid1(VALU_DEP_1)
	v_pk_fma_f32 v[120:121], v[118:119], v[106:107], v[116:117] op_sel:[0,0,1] op_sel_hi:[1,1,0] neg_lo:[0,0,1] neg_hi:[0,0,1]
	v_pk_fma_f32 v[116:117], v[118:119], v[106:107], v[116:117] op_sel:[0,0,1] op_sel_hi:[1,0,0]
	v_mov_b32_e32 v121, v117
	ds_load_2addr_b64 v[116:119], v110 offset0:47 offset1:48
	v_pk_add_f32 v[46:47], v[46:47], v[120:121] neg_lo:[0,1] neg_hi:[0,1]
	s_wait_dscnt 0x0
	v_pk_mul_f32 v[120:121], v[116:117], v[108:109] op_sel:[0,1]
	s_delay_alu instid0(VALU_DEP_1) | instskip(SKIP_1) | instid1(VALU_DEP_1)
	v_pk_fma_f32 v[122:123], v[116:117], v[106:107], v[120:121] op_sel:[0,0,1] op_sel_hi:[1,1,0] neg_lo:[0,0,1] neg_hi:[0,0,1]
	v_pk_fma_f32 v[116:117], v[116:117], v[106:107], v[120:121] op_sel:[0,0,1] op_sel_hi:[1,0,0]
	v_mov_b32_e32 v123, v117
	v_pk_mul_f32 v[116:117], v[118:119], v[108:109] op_sel:[0,1]
	s_delay_alu instid0(VALU_DEP_2) | instskip(NEXT) | instid1(VALU_DEP_2)
	v_pk_add_f32 v[28:29], v[28:29], v[122:123] neg_lo:[0,1] neg_hi:[0,1]
	v_pk_fma_f32 v[120:121], v[118:119], v[106:107], v[116:117] op_sel:[0,0,1] op_sel_hi:[1,1,0] neg_lo:[0,0,1] neg_hi:[0,0,1]
	v_pk_fma_f32 v[116:117], v[118:119], v[106:107], v[116:117] op_sel:[0,0,1] op_sel_hi:[1,0,0]
	s_delay_alu instid0(VALU_DEP_1) | instskip(SKIP_4) | instid1(VALU_DEP_1)
	v_mov_b32_e32 v121, v117
	ds_load_b64 v[116:117], v110 offset:392
	v_pk_add_f32 v[14:15], v[14:15], v[120:121] neg_lo:[0,1] neg_hi:[0,1]
	s_wait_dscnt 0x0
	v_pk_mul_f32 v[108:109], v[116:117], v[108:109] op_sel:[0,1]
	v_pk_fma_f32 v[118:119], v[116:117], v[106:107], v[108:109] op_sel:[0,0,1] op_sel_hi:[1,1,0] neg_lo:[0,0,1] neg_hi:[0,0,1]
	v_pk_fma_f32 v[106:107], v[116:117], v[106:107], v[108:109] op_sel:[0,0,1] op_sel_hi:[1,0,0]
	s_delay_alu instid0(VALU_DEP_1) | instskip(NEXT) | instid1(VALU_DEP_1)
	v_mov_b32_e32 v119, v107
	v_pk_add_f32 v[104:105], v[104:105], v[118:119] neg_lo:[0,1] neg_hi:[0,1]
.LBB98_356:
	s_or_b32 exec_lo, exec_lo, s0
	v_lshl_add_u32 v106, v114, 3, v110
	s_barrier_signal -1
	s_barrier_wait -1
	ds_store_b64 v106, v[62:63]
	s_wait_dscnt 0x0
	s_barrier_signal -1
	s_barrier_wait -1
	ds_load_b64 v[108:109], v110 offset:136
	v_mov_b32_e32 v106, 17
	s_cmp_lt_i32 s18, 19
	s_cbranch_scc1 .LBB98_359
; %bb.357:
	v_add3_u32 v107, v111, 0, 0x90
	v_mov_b32_e32 v106, 17
	s_mov_b32 s0, 18
.LBB98_358:                             ; =>This Inner Loop Header: Depth=1
	ds_load_b64 v[116:117], v107
	s_wait_dscnt 0x1
	v_cmp_gt_f32_e32 vcc_lo, 0, v108
	v_cndmask_b32_e64 v118, v108, -v108, vcc_lo
	v_cmp_gt_f32_e32 vcc_lo, 0, v109
	v_cndmask_b32_e64 v120, v109, -v109, vcc_lo
	s_wait_dscnt 0x0
	v_cmp_gt_f32_e32 vcc_lo, 0, v116
	v_cndmask_b32_e64 v119, v116, -v116, vcc_lo
	v_cmp_gt_f32_e32 vcc_lo, 0, v117
	v_cndmask_b32_e64 v121, v117, -v117, vcc_lo
	s_delay_alu instid0(VALU_DEP_1) | instskip(NEXT) | instid1(VALU_DEP_1)
	v_pk_add_f32 v[118:119], v[118:119], v[120:121]
	v_cmp_lt_f32_e32 vcc_lo, v118, v119
	v_dual_add_nc_u32 v107, 8, v107 :: v_dual_cndmask_b32 v109, v109, v117, vcc_lo
	v_cndmask_b32_e32 v108, v108, v116, vcc_lo
	v_cndmask_b32_e64 v106, v106, s0, vcc_lo
	s_add_co_i32 s0, s0, 1
	s_delay_alu instid0(SALU_CYCLE_1)
	s_cmp_lg_u32 s18, s0
	s_cbranch_scc1 .LBB98_358
.LBB98_359:
	s_wait_dscnt 0x0
	v_cmp_eq_f32_e32 vcc_lo, 0, v108
	v_cmp_eq_f32_e64 s0, 0, v109
	s_and_b32 s0, vcc_lo, s0
	s_delay_alu instid0(SALU_CYCLE_1) | instskip(NEXT) | instid1(SALU_CYCLE_1)
	s_and_saveexec_b32 s1, s0
	s_xor_b32 s0, exec_lo, s1
; %bb.360:
	v_cmp_ne_u32_e32 vcc_lo, 0, v112
	v_cndmask_b32_e32 v112, 18, v112, vcc_lo
; %bb.361:
	s_and_not1_saveexec_b32 s0, s0
	s_cbranch_execz .LBB98_367
; %bb.362:
	v_cmp_ngt_f32_e64 s1, |v108|, |v109|
	s_and_saveexec_b32 s12, s1
	s_delay_alu instid0(SALU_CYCLE_1)
	s_xor_b32 s1, exec_lo, s12
	s_cbranch_execz .LBB98_364
; %bb.363:
	v_div_scale_f32 v107, null, v109, v109, v108
	v_div_scale_f32 v117, vcc_lo, v108, v109, v108
	s_delay_alu instid0(VALU_DEP_2) | instskip(SKIP_1) | instid1(TRANS32_DEP_1)
	v_rcp_f32_e32 v115, v107
	v_nop
	v_fma_f32 v116, -v107, v115, 1.0
	s_delay_alu instid0(VALU_DEP_1) | instskip(NEXT) | instid1(VALU_DEP_1)
	v_fmac_f32_e32 v115, v116, v115
	v_mul_f32_e32 v116, v117, v115
	s_delay_alu instid0(VALU_DEP_1) | instskip(NEXT) | instid1(VALU_DEP_1)
	v_fma_f32 v118, -v107, v116, v117
	v_fmac_f32_e32 v116, v118, v115
	s_delay_alu instid0(VALU_DEP_1) | instskip(NEXT) | instid1(VALU_DEP_1)
	v_fma_f32 v107, -v107, v116, v117
	v_div_fmas_f32 v107, v107, v115, v116
	s_delay_alu instid0(VALU_DEP_1) | instskip(NEXT) | instid1(VALU_DEP_1)
	v_div_fixup_f32 v107, v107, v109, v108
	v_fmac_f32_e32 v109, v108, v107
	s_delay_alu instid0(VALU_DEP_1) | instskip(SKIP_1) | instid1(VALU_DEP_2)
	v_div_scale_f32 v108, null, v109, v109, 1.0
	v_div_scale_f32 v117, vcc_lo, 1.0, v109, 1.0
	v_rcp_f32_e32 v115, v108
	v_nop
	s_delay_alu instid0(TRANS32_DEP_1) | instskip(NEXT) | instid1(VALU_DEP_1)
	v_fma_f32 v116, -v108, v115, 1.0
	v_fmac_f32_e32 v115, v116, v115
	s_delay_alu instid0(VALU_DEP_1) | instskip(NEXT) | instid1(VALU_DEP_1)
	v_mul_f32_e32 v116, v117, v115
	v_fma_f32 v118, -v108, v116, v117
	s_delay_alu instid0(VALU_DEP_1) | instskip(NEXT) | instid1(VALU_DEP_1)
	v_fmac_f32_e32 v116, v118, v115
	v_fma_f32 v108, -v108, v116, v117
	s_delay_alu instid0(VALU_DEP_1) | instskip(NEXT) | instid1(VALU_DEP_1)
	v_div_fmas_f32 v108, v108, v115, v116
	v_div_fixup_f32 v109, v108, v109, 1.0
	s_delay_alu instid0(VALU_DEP_1)
	v_mul_f32_e32 v108, v107, v109
	v_xor_b32_e32 v109, 0x80000000, v109
.LBB98_364:
	s_and_not1_saveexec_b32 s1, s1
	s_cbranch_execz .LBB98_366
; %bb.365:
	s_delay_alu instid0(VALU_DEP_1) | instskip(SKIP_1) | instid1(VALU_DEP_2)
	v_div_scale_f32 v107, null, v108, v108, v109
	v_div_scale_f32 v117, vcc_lo, v109, v108, v109
	v_rcp_f32_e32 v115, v107
	v_nop
	s_delay_alu instid0(TRANS32_DEP_1) | instskip(NEXT) | instid1(VALU_DEP_1)
	v_fma_f32 v116, -v107, v115, 1.0
	v_fmac_f32_e32 v115, v116, v115
	s_delay_alu instid0(VALU_DEP_1) | instskip(NEXT) | instid1(VALU_DEP_1)
	v_mul_f32_e32 v116, v117, v115
	v_fma_f32 v118, -v107, v116, v117
	s_delay_alu instid0(VALU_DEP_1) | instskip(NEXT) | instid1(VALU_DEP_1)
	v_fmac_f32_e32 v116, v118, v115
	v_fma_f32 v107, -v107, v116, v117
	s_delay_alu instid0(VALU_DEP_1) | instskip(NEXT) | instid1(VALU_DEP_1)
	v_div_fmas_f32 v107, v107, v115, v116
	v_div_fixup_f32 v107, v107, v108, v109
	s_delay_alu instid0(VALU_DEP_1) | instskip(NEXT) | instid1(VALU_DEP_1)
	v_fmac_f32_e32 v108, v109, v107
	v_div_scale_f32 v109, null, v108, v108, 1.0
	s_delay_alu instid0(VALU_DEP_1) | instskip(SKIP_1) | instid1(TRANS32_DEP_1)
	v_rcp_f32_e32 v115, v109
	v_nop
	v_fma_f32 v116, -v109, v115, 1.0
	s_delay_alu instid0(VALU_DEP_1) | instskip(SKIP_1) | instid1(VALU_DEP_1)
	v_fmac_f32_e32 v115, v116, v115
	v_div_scale_f32 v116, vcc_lo, 1.0, v108, 1.0
	v_mul_f32_e32 v117, v116, v115
	s_delay_alu instid0(VALU_DEP_1) | instskip(NEXT) | instid1(VALU_DEP_1)
	v_fma_f32 v118, -v109, v117, v116
	v_fmac_f32_e32 v117, v118, v115
	s_delay_alu instid0(VALU_DEP_1) | instskip(NEXT) | instid1(VALU_DEP_1)
	v_fma_f32 v109, -v109, v117, v116
	v_div_fmas_f32 v109, v109, v115, v117
	s_delay_alu instid0(VALU_DEP_1) | instskip(NEXT) | instid1(VALU_DEP_1)
	v_div_fixup_f32 v108, v109, v108, 1.0
	v_mul_f32_e64 v109, v107, -v108
.LBB98_366:
	s_or_b32 exec_lo, exec_lo, s1
.LBB98_367:
	s_delay_alu instid0(SALU_CYCLE_1) | instskip(NEXT) | instid1(SALU_CYCLE_1)
	s_or_b32 exec_lo, exec_lo, s0
	s_mov_b32 s0, exec_lo
	v_cmpx_ne_u32_e64 v114, v106
	s_xor_b32 s0, exec_lo, s0
	s_cbranch_execz .LBB98_373
; %bb.368:
	s_mov_b32 s1, exec_lo
	v_cmpx_eq_u32_e32 17, v114
	s_cbranch_execz .LBB98_372
; %bb.369:
	v_cmp_ne_u32_e32 vcc_lo, 17, v106
	s_xor_b32 s12, s16, -1
	s_delay_alu instid0(SALU_CYCLE_1) | instskip(NEXT) | instid1(SALU_CYCLE_1)
	s_and_b32 s13, s12, vcc_lo
	s_and_saveexec_b32 s12, s13
	s_cbranch_execz .LBB98_371
; %bb.370:
	v_ashrrev_i32_e32 v107, 31, v106
	s_delay_alu instid0(VALU_DEP_1)
	v_lshl_add_u64 v[114:115], v[106:107], 2, v[4:5]
	s_clause 0x1
	global_load_b32 v107, v[114:115], off
	global_load_b32 v113, v[4:5], off offset:68
	s_wait_loadcnt 0x1
	global_store_b32 v[4:5], v107, off offset:68
	s_wait_loadcnt 0x0
	global_store_b32 v[114:115], v113, off
.LBB98_371:
	s_wait_xcnt 0x0
	s_or_b32 exec_lo, exec_lo, s12
	v_dual_mov_b32 v114, v106 :: v_dual_mov_b32 v113, v106
.LBB98_372:
	s_or_b32 exec_lo, exec_lo, s1
.LBB98_373:
	s_and_not1_saveexec_b32 s0, s0
	s_cbranch_execz .LBB98_375
; %bb.374:
	v_dual_mov_b32 v106, v64 :: v_dual_mov_b32 v107, v65
	v_dual_mov_b32 v114, v60 :: v_dual_mov_b32 v115, v61
	ds_store_2addr_b64 v110, v[106:107], v[114:115] offset0:18 offset1:19
	v_dual_mov_b32 v106, v90 :: v_dual_mov_b32 v107, v91
	v_dual_mov_b32 v114, v56 :: v_dual_mov_b32 v115, v57
	ds_store_2addr_b64 v110, v[106:107], v[114:115] offset0:20 offset1:21
	;; [unrolled: 3-line block ×15, first 2 shown]
	v_dual_mov_b32 v106, v14 :: v_dual_mov_b32 v107, v15
	v_mov_b32_e32 v114, 17
	ds_store_2addr_b64 v110, v[106:107], v[104:105] offset0:48 offset1:49
.LBB98_375:
	s_or_b32 exec_lo, exec_lo, s0
	s_delay_alu instid0(SALU_CYCLE_1)
	s_mov_b32 s0, exec_lo
	s_wait_storecnt_dscnt 0x0
	s_barrier_signal -1
	s_barrier_wait -1
	v_cmpx_lt_i32_e32 17, v114
	s_cbranch_execz .LBB98_377
; %bb.376:
	v_pk_mul_f32 v[116:117], v[108:109], v[62:63] op_sel:[1,1] op_sel_hi:[0,1]
	s_delay_alu instid0(VALU_DEP_1)
	v_pk_fma_f32 v[106:107], v[108:109], v[62:63], v[116:117] op_sel_hi:[1,0,1] neg_lo:[0,0,1] neg_hi:[0,0,1]
	v_pk_fma_f32 v[108:109], v[108:109], v[62:63], v[116:117] op_sel_hi:[1,0,1]
	ds_load_2addr_b64 v[116:119], v110 offset0:18 offset1:19
	v_dual_mov_b32 v62, v106 :: v_dual_mov_b32 v63, v109
	s_wait_dscnt 0x0
	v_pk_mul_f32 v[120:121], v[116:117], v[108:109] op_sel:[0,1]
	s_delay_alu instid0(VALU_DEP_1) | instskip(SKIP_1) | instid1(VALU_DEP_1)
	v_pk_fma_f32 v[122:123], v[116:117], v[106:107], v[120:121] op_sel:[0,0,1] op_sel_hi:[1,1,0] neg_lo:[0,0,1] neg_hi:[0,0,1]
	v_pk_fma_f32 v[116:117], v[116:117], v[106:107], v[120:121] op_sel:[0,0,1] op_sel_hi:[1,0,0]
	v_mov_b32_e32 v123, v117
	v_pk_mul_f32 v[116:117], v[118:119], v[108:109] op_sel:[0,1]
	s_delay_alu instid0(VALU_DEP_1) | instskip(SKIP_1) | instid1(VALU_DEP_1)
	v_pk_fma_f32 v[120:121], v[118:119], v[106:107], v[116:117] op_sel:[0,0,1] op_sel_hi:[1,1,0] neg_lo:[0,0,1] neg_hi:[0,0,1]
	v_pk_fma_f32 v[116:117], v[118:119], v[106:107], v[116:117] op_sel:[0,0,1] op_sel_hi:[1,0,0]
	v_mov_b32_e32 v121, v117
	ds_load_2addr_b64 v[116:119], v110 offset0:20 offset1:21
	v_pk_add_f32 v[64:65], v[64:65], v[122:123] neg_lo:[0,1] neg_hi:[0,1]
	v_pk_add_f32 v[60:61], v[60:61], v[120:121] neg_lo:[0,1] neg_hi:[0,1]
	s_wait_dscnt 0x0
	v_pk_mul_f32 v[120:121], v[116:117], v[108:109] op_sel:[0,1]
	s_delay_alu instid0(VALU_DEP_1) | instskip(SKIP_2) | instid1(VALU_DEP_2)
	v_pk_fma_f32 v[122:123], v[116:117], v[106:107], v[120:121] op_sel:[0,0,1] op_sel_hi:[1,1,0] neg_lo:[0,0,1] neg_hi:[0,0,1]
	v_pk_fma_f32 v[116:117], v[116:117], v[106:107], v[120:121] op_sel:[0,0,1] op_sel_hi:[1,0,0]
	v_dual_mul_f32 v120, v119, v109 :: v_dual_mov_b32 v116, v119
	v_dual_mov_b32 v123, v117 :: v_dual_mov_b32 v117, v118
	s_delay_alu instid0(VALU_DEP_2) | instskip(SKIP_1) | instid1(VALU_DEP_3)
	v_pk_fma_f32 v[120:121], v[118:119], v[62:63], v[120:121] op_sel_hi:[1,1,0] neg_lo:[0,0,1] neg_hi:[0,0,1]
	v_mul_f32_e32 v118, v119, v106
	v_pk_add_f32 v[90:91], v[90:91], v[122:123] neg_lo:[0,1] neg_hi:[0,1]
	s_delay_alu instid0(VALU_DEP_2) | instskip(NEXT) | instid1(VALU_DEP_1)
	v_pk_fma_f32 v[116:117], v[116:117], v[62:63], v[118:119] op_sel_hi:[1,1,0]
	v_mov_b32_e32 v121, v117
	ds_load_2addr_b64 v[116:119], v110 offset0:22 offset1:23
	v_pk_add_f32 v[56:57], v[56:57], v[120:121] neg_lo:[0,1] neg_hi:[0,1]
	s_wait_dscnt 0x0
	v_pk_mul_f32 v[120:121], v[116:117], v[108:109] op_sel:[0,1]
	s_delay_alu instid0(VALU_DEP_1) | instskip(SKIP_1) | instid1(VALU_DEP_1)
	v_pk_fma_f32 v[122:123], v[116:117], v[106:107], v[120:121] op_sel:[0,0,1] op_sel_hi:[1,1,0] neg_lo:[0,0,1] neg_hi:[0,0,1]
	v_pk_fma_f32 v[116:117], v[116:117], v[106:107], v[120:121] op_sel:[0,0,1] op_sel_hi:[1,0,0]
	v_mov_b32_e32 v123, v117
	v_pk_mul_f32 v[116:117], v[118:119], v[108:109] op_sel:[0,1]
	s_delay_alu instid0(VALU_DEP_1) | instskip(SKIP_1) | instid1(VALU_DEP_1)
	v_pk_fma_f32 v[120:121], v[118:119], v[106:107], v[116:117] op_sel:[0,0,1] op_sel_hi:[1,1,0] neg_lo:[0,0,1] neg_hi:[0,0,1]
	v_pk_fma_f32 v[116:117], v[118:119], v[106:107], v[116:117] op_sel:[0,0,1] op_sel_hi:[1,0,0]
	v_mov_b32_e32 v121, v117
	ds_load_2addr_b64 v[116:119], v110 offset0:24 offset1:25
	v_pk_add_f32 v[58:59], v[58:59], v[122:123] neg_lo:[0,1] neg_hi:[0,1]
	v_pk_add_f32 v[54:55], v[54:55], v[120:121] neg_lo:[0,1] neg_hi:[0,1]
	s_wait_dscnt 0x0
	v_pk_mul_f32 v[120:121], v[116:117], v[108:109] op_sel:[0,1]
	s_delay_alu instid0(VALU_DEP_1) | instskip(SKIP_1) | instid1(VALU_DEP_1)
	v_pk_fma_f32 v[122:123], v[116:117], v[106:107], v[120:121] op_sel:[0,0,1] op_sel_hi:[1,1,0] neg_lo:[0,0,1] neg_hi:[0,0,1]
	v_pk_fma_f32 v[116:117], v[116:117], v[106:107], v[120:121] op_sel:[0,0,1] op_sel_hi:[1,0,0]
	v_mov_b32_e32 v123, v117
	v_pk_mul_f32 v[116:117], v[118:119], v[108:109] op_sel:[0,1]
	s_delay_alu instid0(VALU_DEP_1) | instskip(SKIP_1) | instid1(VALU_DEP_1)
	v_pk_fma_f32 v[120:121], v[118:119], v[106:107], v[116:117] op_sel:[0,0,1] op_sel_hi:[1,1,0] neg_lo:[0,0,1] neg_hi:[0,0,1]
	v_pk_fma_f32 v[116:117], v[118:119], v[106:107], v[116:117] op_sel:[0,0,1] op_sel_hi:[1,0,0]
	v_mov_b32_e32 v121, v117
	ds_load_2addr_b64 v[116:119], v110 offset0:26 offset1:27
	v_pk_add_f32 v[86:87], v[86:87], v[122:123] neg_lo:[0,1] neg_hi:[0,1]
	v_pk_add_f32 v[38:39], v[38:39], v[120:121] neg_lo:[0,1] neg_hi:[0,1]
	s_wait_dscnt 0x0
	v_dual_mul_f32 v120, v117, v109 :: v_dual_mul_f32 v122, v117, v106
	s_delay_alu instid0(VALU_DEP_1) | instskip(NEXT) | instid1(VALU_DEP_2)
	v_pk_fma_f32 v[120:121], v[116:117], v[62:63], v[120:121] op_sel_hi:[1,1,0] neg_lo:[0,0,1] neg_hi:[0,0,1]
	v_pk_fma_f32 v[116:117], v[116:117], v[62:63], v[122:123] op_sel:[1,0,0] op_sel_hi:[0,1,0]
	s_delay_alu instid0(VALU_DEP_1) | instskip(SKIP_1) | instid1(VALU_DEP_2)
	v_mov_b32_e32 v121, v117
	v_pk_mul_f32 v[116:117], v[118:119], v[108:109] op_sel:[0,1]
	v_pk_add_f32 v[42:43], v[42:43], v[120:121] neg_lo:[0,1] neg_hi:[0,1]
	s_delay_alu instid0(VALU_DEP_2) | instskip(SKIP_1) | instid1(VALU_DEP_1)
	v_pk_fma_f32 v[120:121], v[118:119], v[106:107], v[116:117] op_sel:[0,0,1] op_sel_hi:[1,1,0] neg_lo:[0,0,1] neg_hi:[0,0,1]
	v_pk_fma_f32 v[116:117], v[118:119], v[106:107], v[116:117] op_sel:[0,0,1] op_sel_hi:[1,0,0]
	v_mov_b32_e32 v121, v117
	ds_load_2addr_b64 v[116:119], v110 offset0:28 offset1:29
	v_pk_add_f32 v[36:37], v[36:37], v[120:121] neg_lo:[0,1] neg_hi:[0,1]
	s_wait_dscnt 0x0
	v_pk_mul_f32 v[120:121], v[116:117], v[108:109] op_sel:[0,1]
	s_delay_alu instid0(VALU_DEP_1) | instskip(SKIP_1) | instid1(VALU_DEP_1)
	v_pk_fma_f32 v[122:123], v[116:117], v[106:107], v[120:121] op_sel:[0,0,1] op_sel_hi:[1,1,0] neg_lo:[0,0,1] neg_hi:[0,0,1]
	v_pk_fma_f32 v[116:117], v[116:117], v[106:107], v[120:121] op_sel:[0,0,1] op_sel_hi:[1,0,0]
	v_mov_b32_e32 v123, v117
	v_pk_mul_f32 v[116:117], v[118:119], v[108:109] op_sel:[0,1]
	s_delay_alu instid0(VALU_DEP_2) | instskip(NEXT) | instid1(VALU_DEP_2)
	v_pk_add_f32 v[82:83], v[82:83], v[122:123] neg_lo:[0,1] neg_hi:[0,1]
	v_pk_fma_f32 v[120:121], v[118:119], v[106:107], v[116:117] op_sel:[0,0,1] op_sel_hi:[1,1,0] neg_lo:[0,0,1] neg_hi:[0,0,1]
	v_pk_fma_f32 v[116:117], v[118:119], v[106:107], v[116:117] op_sel:[0,0,1] op_sel_hi:[1,0,0]
	s_delay_alu instid0(VALU_DEP_1) | instskip(SKIP_4) | instid1(VALU_DEP_1)
	v_mov_b32_e32 v121, v117
	ds_load_2addr_b64 v[116:119], v110 offset0:30 offset1:31
	v_pk_add_f32 v[32:33], v[32:33], v[120:121] neg_lo:[0,1] neg_hi:[0,1]
	s_wait_dscnt 0x0
	v_pk_mul_f32 v[120:121], v[116:117], v[108:109] op_sel:[0,1]
	v_pk_fma_f32 v[122:123], v[116:117], v[106:107], v[120:121] op_sel:[0,0,1] op_sel_hi:[1,1,0] neg_lo:[0,0,1] neg_hi:[0,0,1]
	v_pk_fma_f32 v[116:117], v[116:117], v[106:107], v[120:121] op_sel:[0,0,1] op_sel_hi:[1,0,0]
	v_dual_mul_f32 v120, v119, v109 :: v_dual_mov_b32 v116, v119
	s_delay_alu instid0(VALU_DEP_2) | instskip(NEXT) | instid1(VALU_DEP_2)
	v_dual_mov_b32 v123, v117 :: v_dual_mov_b32 v117, v118
	v_pk_fma_f32 v[120:121], v[118:119], v[62:63], v[120:121] op_sel_hi:[1,1,0] neg_lo:[0,0,1] neg_hi:[0,0,1]
	v_mul_f32_e32 v118, v119, v106
	s_delay_alu instid0(VALU_DEP_3) | instskip(NEXT) | instid1(VALU_DEP_2)
	v_pk_add_f32 v[34:35], v[34:35], v[122:123] neg_lo:[0,1] neg_hi:[0,1]
	v_pk_fma_f32 v[116:117], v[116:117], v[62:63], v[118:119] op_sel_hi:[1,1,0]
	s_delay_alu instid0(VALU_DEP_1) | instskip(SKIP_4) | instid1(VALU_DEP_1)
	v_mov_b32_e32 v121, v117
	ds_load_2addr_b64 v[116:119], v110 offset0:32 offset1:33
	v_pk_add_f32 v[30:31], v[30:31], v[120:121] neg_lo:[0,1] neg_hi:[0,1]
	s_wait_dscnt 0x0
	v_pk_mul_f32 v[120:121], v[116:117], v[108:109] op_sel:[0,1]
	v_pk_fma_f32 v[122:123], v[116:117], v[106:107], v[120:121] op_sel:[0,0,1] op_sel_hi:[1,1,0] neg_lo:[0,0,1] neg_hi:[0,0,1]
	v_pk_fma_f32 v[116:117], v[116:117], v[106:107], v[120:121] op_sel:[0,0,1] op_sel_hi:[1,0,0]
	s_delay_alu instid0(VALU_DEP_1) | instskip(SKIP_1) | instid1(VALU_DEP_1)
	v_mov_b32_e32 v123, v117
	v_pk_mul_f32 v[116:117], v[118:119], v[108:109] op_sel:[0,1]
	v_pk_fma_f32 v[120:121], v[118:119], v[106:107], v[116:117] op_sel:[0,0,1] op_sel_hi:[1,1,0] neg_lo:[0,0,1] neg_hi:[0,0,1]
	v_pk_fma_f32 v[116:117], v[118:119], v[106:107], v[116:117] op_sel:[0,0,1] op_sel_hi:[1,0,0]
	s_delay_alu instid0(VALU_DEP_1)
	v_mov_b32_e32 v121, v117
	ds_load_2addr_b64 v[116:119], v110 offset0:34 offset1:35
	v_pk_add_f32 v[80:81], v[80:81], v[122:123] neg_lo:[0,1] neg_hi:[0,1]
	v_pk_add_f32 v[24:25], v[24:25], v[120:121] neg_lo:[0,1] neg_hi:[0,1]
	s_wait_dscnt 0x0
	v_pk_mul_f32 v[120:121], v[116:117], v[108:109] op_sel:[0,1]
	s_delay_alu instid0(VALU_DEP_1) | instskip(SKIP_1) | instid1(VALU_DEP_1)
	v_pk_fma_f32 v[122:123], v[116:117], v[106:107], v[120:121] op_sel:[0,0,1] op_sel_hi:[1,1,0] neg_lo:[0,0,1] neg_hi:[0,0,1]
	v_pk_fma_f32 v[116:117], v[116:117], v[106:107], v[120:121] op_sel:[0,0,1] op_sel_hi:[1,0,0]
	v_mov_b32_e32 v123, v117
	v_pk_mul_f32 v[116:117], v[118:119], v[108:109] op_sel:[0,1]
	s_delay_alu instid0(VALU_DEP_1) | instskip(SKIP_1) | instid1(VALU_DEP_1)
	v_pk_fma_f32 v[120:121], v[118:119], v[106:107], v[116:117] op_sel:[0,0,1] op_sel_hi:[1,1,0] neg_lo:[0,0,1] neg_hi:[0,0,1]
	v_pk_fma_f32 v[116:117], v[118:119], v[106:107], v[116:117] op_sel:[0,0,1] op_sel_hi:[1,0,0]
	v_mov_b32_e32 v121, v117
	ds_load_2addr_b64 v[116:119], v110 offset0:36 offset1:37
	v_pk_add_f32 v[26:27], v[26:27], v[122:123] neg_lo:[0,1] neg_hi:[0,1]
	v_pk_add_f32 v[22:23], v[22:23], v[120:121] neg_lo:[0,1] neg_hi:[0,1]
	s_wait_dscnt 0x0
	v_dual_mul_f32 v120, v117, v109 :: v_dual_mul_f32 v122, v117, v106
	s_delay_alu instid0(VALU_DEP_1) | instskip(NEXT) | instid1(VALU_DEP_2)
	v_pk_fma_f32 v[120:121], v[116:117], v[62:63], v[120:121] op_sel_hi:[1,1,0] neg_lo:[0,0,1] neg_hi:[0,0,1]
	v_pk_fma_f32 v[116:117], v[116:117], v[62:63], v[122:123] op_sel:[1,0,0] op_sel_hi:[0,1,0]
	s_delay_alu instid0(VALU_DEP_1) | instskip(SKIP_1) | instid1(VALU_DEP_2)
	v_mov_b32_e32 v121, v117
	v_pk_mul_f32 v[116:117], v[118:119], v[108:109] op_sel:[0,1]
	v_pk_add_f32 v[78:79], v[78:79], v[120:121] neg_lo:[0,1] neg_hi:[0,1]
	s_delay_alu instid0(VALU_DEP_2) | instskip(SKIP_1) | instid1(VALU_DEP_1)
	v_pk_fma_f32 v[120:121], v[118:119], v[106:107], v[116:117] op_sel:[0,0,1] op_sel_hi:[1,1,0] neg_lo:[0,0,1] neg_hi:[0,0,1]
	v_pk_fma_f32 v[116:117], v[118:119], v[106:107], v[116:117] op_sel:[0,0,1] op_sel_hi:[1,0,0]
	v_mov_b32_e32 v121, v117
	ds_load_2addr_b64 v[116:119], v110 offset0:38 offset1:39
	v_pk_add_f32 v[18:19], v[18:19], v[120:121] neg_lo:[0,1] neg_hi:[0,1]
	s_wait_dscnt 0x0
	v_pk_mul_f32 v[120:121], v[116:117], v[108:109] op_sel:[0,1]
	s_delay_alu instid0(VALU_DEP_1) | instskip(SKIP_1) | instid1(VALU_DEP_1)
	v_pk_fma_f32 v[122:123], v[116:117], v[106:107], v[120:121] op_sel:[0,0,1] op_sel_hi:[1,1,0] neg_lo:[0,0,1] neg_hi:[0,0,1]
	v_pk_fma_f32 v[116:117], v[116:117], v[106:107], v[120:121] op_sel:[0,0,1] op_sel_hi:[1,0,0]
	v_mov_b32_e32 v123, v117
	v_pk_mul_f32 v[116:117], v[118:119], v[108:109] op_sel:[0,1]
	s_delay_alu instid0(VALU_DEP_2) | instskip(NEXT) | instid1(VALU_DEP_2)
	v_pk_add_f32 v[20:21], v[20:21], v[122:123] neg_lo:[0,1] neg_hi:[0,1]
	v_pk_fma_f32 v[120:121], v[118:119], v[106:107], v[116:117] op_sel:[0,0,1] op_sel_hi:[1,1,0] neg_lo:[0,0,1] neg_hi:[0,0,1]
	v_pk_fma_f32 v[116:117], v[118:119], v[106:107], v[116:117] op_sel:[0,0,1] op_sel_hi:[1,0,0]
	s_delay_alu instid0(VALU_DEP_1) | instskip(SKIP_4) | instid1(VALU_DEP_1)
	v_mov_b32_e32 v121, v117
	ds_load_2addr_b64 v[116:119], v110 offset0:40 offset1:41
	v_pk_add_f32 v[16:17], v[16:17], v[120:121] neg_lo:[0,1] neg_hi:[0,1]
	s_wait_dscnt 0x0
	v_pk_mul_f32 v[120:121], v[116:117], v[108:109] op_sel:[0,1]
	v_pk_fma_f32 v[122:123], v[116:117], v[106:107], v[120:121] op_sel:[0,0,1] op_sel_hi:[1,1,0] neg_lo:[0,0,1] neg_hi:[0,0,1]
	v_pk_fma_f32 v[116:117], v[116:117], v[106:107], v[120:121] op_sel:[0,0,1] op_sel_hi:[1,0,0]
	v_dual_mul_f32 v120, v119, v109 :: v_dual_mov_b32 v116, v119
	s_delay_alu instid0(VALU_DEP_2) | instskip(NEXT) | instid1(VALU_DEP_2)
	v_dual_mov_b32 v123, v117 :: v_dual_mov_b32 v117, v118
	v_pk_fma_f32 v[120:121], v[118:119], v[62:63], v[120:121] op_sel_hi:[1,1,0] neg_lo:[0,0,1] neg_hi:[0,0,1]
	v_mul_f32_e32 v118, v119, v106
	s_delay_alu instid0(VALU_DEP_3) | instskip(NEXT) | instid1(VALU_DEP_2)
	v_pk_add_f32 v[76:77], v[76:77], v[122:123] neg_lo:[0,1] neg_hi:[0,1]
	v_pk_fma_f32 v[116:117], v[116:117], v[62:63], v[118:119] op_sel_hi:[1,1,0]
	s_delay_alu instid0(VALU_DEP_1) | instskip(SKIP_4) | instid1(VALU_DEP_1)
	v_mov_b32_e32 v121, v117
	ds_load_2addr_b64 v[116:119], v110 offset0:42 offset1:43
	v_pk_add_f32 v[10:11], v[10:11], v[120:121] neg_lo:[0,1] neg_hi:[0,1]
	s_wait_dscnt 0x0
	v_pk_mul_f32 v[120:121], v[116:117], v[108:109] op_sel:[0,1]
	v_pk_fma_f32 v[122:123], v[116:117], v[106:107], v[120:121] op_sel:[0,0,1] op_sel_hi:[1,1,0] neg_lo:[0,0,1] neg_hi:[0,0,1]
	v_pk_fma_f32 v[116:117], v[116:117], v[106:107], v[120:121] op_sel:[0,0,1] op_sel_hi:[1,0,0]
	s_delay_alu instid0(VALU_DEP_1) | instskip(SKIP_1) | instid1(VALU_DEP_1)
	v_mov_b32_e32 v123, v117
	v_pk_mul_f32 v[116:117], v[118:119], v[108:109] op_sel:[0,1]
	v_pk_fma_f32 v[120:121], v[118:119], v[106:107], v[116:117] op_sel:[0,0,1] op_sel_hi:[1,1,0] neg_lo:[0,0,1] neg_hi:[0,0,1]
	v_pk_fma_f32 v[116:117], v[118:119], v[106:107], v[116:117] op_sel:[0,0,1] op_sel_hi:[1,0,0]
	s_delay_alu instid0(VALU_DEP_1)
	v_mov_b32_e32 v121, v117
	ds_load_2addr_b64 v[116:119], v110 offset0:44 offset1:45
	v_pk_add_f32 v[12:13], v[12:13], v[122:123] neg_lo:[0,1] neg_hi:[0,1]
	v_pk_add_f32 v[8:9], v[8:9], v[120:121] neg_lo:[0,1] neg_hi:[0,1]
	s_wait_dscnt 0x0
	v_pk_mul_f32 v[120:121], v[116:117], v[108:109] op_sel:[0,1]
	s_delay_alu instid0(VALU_DEP_1) | instskip(SKIP_1) | instid1(VALU_DEP_1)
	v_pk_fma_f32 v[122:123], v[116:117], v[106:107], v[120:121] op_sel:[0,0,1] op_sel_hi:[1,1,0] neg_lo:[0,0,1] neg_hi:[0,0,1]
	v_pk_fma_f32 v[116:117], v[116:117], v[106:107], v[120:121] op_sel:[0,0,1] op_sel_hi:[1,0,0]
	v_mov_b32_e32 v123, v117
	v_pk_mul_f32 v[116:117], v[118:119], v[108:109] op_sel:[0,1]
	s_delay_alu instid0(VALU_DEP_1) | instskip(SKIP_1) | instid1(VALU_DEP_1)
	v_pk_fma_f32 v[120:121], v[118:119], v[106:107], v[116:117] op_sel:[0,0,1] op_sel_hi:[1,1,0] neg_lo:[0,0,1] neg_hi:[0,0,1]
	v_pk_fma_f32 v[116:117], v[118:119], v[106:107], v[116:117] op_sel:[0,0,1] op_sel_hi:[1,0,0]
	v_mov_b32_e32 v121, v117
	ds_load_2addr_b64 v[116:119], v110 offset0:46 offset1:47
	v_pk_add_f32 v[70:71], v[70:71], v[122:123] neg_lo:[0,1] neg_hi:[0,1]
	v_pk_add_f32 v[6:7], v[6:7], v[120:121] neg_lo:[0,1] neg_hi:[0,1]
	s_wait_dscnt 0x0
	v_dual_mul_f32 v120, v117, v109 :: v_dual_mul_f32 v122, v117, v106
	s_delay_alu instid0(VALU_DEP_1) | instskip(NEXT) | instid1(VALU_DEP_2)
	v_pk_fma_f32 v[120:121], v[116:117], v[62:63], v[120:121] op_sel_hi:[1,1,0] neg_lo:[0,0,1] neg_hi:[0,0,1]
	v_pk_fma_f32 v[116:117], v[116:117], v[62:63], v[122:123] op_sel:[1,0,0] op_sel_hi:[0,1,0]
	s_delay_alu instid0(VALU_DEP_1) | instskip(SKIP_1) | instid1(VALU_DEP_2)
	v_mov_b32_e32 v121, v117
	v_pk_mul_f32 v[116:117], v[118:119], v[108:109] op_sel:[0,1]
	v_pk_add_f32 v[46:47], v[46:47], v[120:121] neg_lo:[0,1] neg_hi:[0,1]
	s_delay_alu instid0(VALU_DEP_2) | instskip(SKIP_1) | instid1(VALU_DEP_1)
	v_pk_fma_f32 v[120:121], v[118:119], v[106:107], v[116:117] op_sel:[0,0,1] op_sel_hi:[1,1,0] neg_lo:[0,0,1] neg_hi:[0,0,1]
	v_pk_fma_f32 v[116:117], v[118:119], v[106:107], v[116:117] op_sel:[0,0,1] op_sel_hi:[1,0,0]
	v_mov_b32_e32 v121, v117
	ds_load_2addr_b64 v[116:119], v110 offset0:48 offset1:49
	v_pk_add_f32 v[28:29], v[28:29], v[120:121] neg_lo:[0,1] neg_hi:[0,1]
	s_wait_dscnt 0x0
	v_pk_mul_f32 v[120:121], v[116:117], v[108:109] op_sel:[0,1]
	v_pk_mul_f32 v[108:109], v[118:119], v[108:109] op_sel:[0,1]
	s_delay_alu instid0(VALU_DEP_2) | instskip(SKIP_1) | instid1(VALU_DEP_1)
	v_pk_fma_f32 v[122:123], v[116:117], v[106:107], v[120:121] op_sel:[0,0,1] op_sel_hi:[1,1,0] neg_lo:[0,0,1] neg_hi:[0,0,1]
	v_pk_fma_f32 v[116:117], v[116:117], v[106:107], v[120:121] op_sel:[0,0,1] op_sel_hi:[1,0,0]
	v_mov_b32_e32 v123, v117
	s_delay_alu instid0(VALU_DEP_4) | instskip(SKIP_1) | instid1(VALU_DEP_3)
	v_pk_fma_f32 v[116:117], v[118:119], v[106:107], v[108:109] op_sel:[0,0,1] op_sel_hi:[1,1,0] neg_lo:[0,0,1] neg_hi:[0,0,1]
	v_pk_fma_f32 v[106:107], v[118:119], v[106:107], v[108:109] op_sel:[0,0,1] op_sel_hi:[1,0,0]
	v_pk_add_f32 v[14:15], v[14:15], v[122:123] neg_lo:[0,1] neg_hi:[0,1]
	s_delay_alu instid0(VALU_DEP_2) | instskip(NEXT) | instid1(VALU_DEP_1)
	v_mov_b32_e32 v117, v107
	v_pk_add_f32 v[104:105], v[104:105], v[116:117] neg_lo:[0,1] neg_hi:[0,1]
.LBB98_377:
	s_or_b32 exec_lo, exec_lo, s0
	v_lshl_add_u32 v106, v114, 3, v110
	s_barrier_signal -1
	s_barrier_wait -1
	ds_store_b64 v106, v[64:65]
	s_wait_dscnt 0x0
	s_barrier_signal -1
	s_barrier_wait -1
	ds_load_b64 v[108:109], v110 offset:144
	v_mov_b32_e32 v106, 18
	s_cmp_lt_i32 s18, 20
	s_cbranch_scc1 .LBB98_380
; %bb.378:
	v_add3_u32 v107, v111, 0, 0x98
	v_mov_b32_e32 v106, 18
	s_mov_b32 s0, 19
.LBB98_379:                             ; =>This Inner Loop Header: Depth=1
	ds_load_b64 v[116:117], v107
	s_wait_dscnt 0x1
	v_cmp_gt_f32_e32 vcc_lo, 0, v108
	v_cndmask_b32_e64 v118, v108, -v108, vcc_lo
	v_cmp_gt_f32_e32 vcc_lo, 0, v109
	v_cndmask_b32_e64 v120, v109, -v109, vcc_lo
	s_wait_dscnt 0x0
	v_cmp_gt_f32_e32 vcc_lo, 0, v116
	v_cndmask_b32_e64 v119, v116, -v116, vcc_lo
	v_cmp_gt_f32_e32 vcc_lo, 0, v117
	v_cndmask_b32_e64 v121, v117, -v117, vcc_lo
	s_delay_alu instid0(VALU_DEP_1) | instskip(NEXT) | instid1(VALU_DEP_1)
	v_pk_add_f32 v[118:119], v[118:119], v[120:121]
	v_cmp_lt_f32_e32 vcc_lo, v118, v119
	v_dual_add_nc_u32 v107, 8, v107 :: v_dual_cndmask_b32 v109, v109, v117, vcc_lo
	v_cndmask_b32_e32 v108, v108, v116, vcc_lo
	v_cndmask_b32_e64 v106, v106, s0, vcc_lo
	s_add_co_i32 s0, s0, 1
	s_delay_alu instid0(SALU_CYCLE_1)
	s_cmp_lg_u32 s18, s0
	s_cbranch_scc1 .LBB98_379
.LBB98_380:
	s_wait_dscnt 0x0
	v_cmp_eq_f32_e32 vcc_lo, 0, v108
	v_cmp_eq_f32_e64 s0, 0, v109
	s_and_b32 s0, vcc_lo, s0
	s_delay_alu instid0(SALU_CYCLE_1) | instskip(NEXT) | instid1(SALU_CYCLE_1)
	s_and_saveexec_b32 s1, s0
	s_xor_b32 s0, exec_lo, s1
; %bb.381:
	v_cmp_ne_u32_e32 vcc_lo, 0, v112
	v_cndmask_b32_e32 v112, 19, v112, vcc_lo
; %bb.382:
	s_and_not1_saveexec_b32 s0, s0
	s_cbranch_execz .LBB98_388
; %bb.383:
	v_cmp_ngt_f32_e64 s1, |v108|, |v109|
	s_and_saveexec_b32 s12, s1
	s_delay_alu instid0(SALU_CYCLE_1)
	s_xor_b32 s1, exec_lo, s12
	s_cbranch_execz .LBB98_385
; %bb.384:
	v_div_scale_f32 v107, null, v109, v109, v108
	v_div_scale_f32 v117, vcc_lo, v108, v109, v108
	s_delay_alu instid0(VALU_DEP_2) | instskip(SKIP_1) | instid1(TRANS32_DEP_1)
	v_rcp_f32_e32 v115, v107
	v_nop
	v_fma_f32 v116, -v107, v115, 1.0
	s_delay_alu instid0(VALU_DEP_1) | instskip(NEXT) | instid1(VALU_DEP_1)
	v_fmac_f32_e32 v115, v116, v115
	v_mul_f32_e32 v116, v117, v115
	s_delay_alu instid0(VALU_DEP_1) | instskip(NEXT) | instid1(VALU_DEP_1)
	v_fma_f32 v118, -v107, v116, v117
	v_fmac_f32_e32 v116, v118, v115
	s_delay_alu instid0(VALU_DEP_1) | instskip(NEXT) | instid1(VALU_DEP_1)
	v_fma_f32 v107, -v107, v116, v117
	v_div_fmas_f32 v107, v107, v115, v116
	s_delay_alu instid0(VALU_DEP_1) | instskip(NEXT) | instid1(VALU_DEP_1)
	v_div_fixup_f32 v107, v107, v109, v108
	v_fmac_f32_e32 v109, v108, v107
	s_delay_alu instid0(VALU_DEP_1) | instskip(SKIP_1) | instid1(VALU_DEP_2)
	v_div_scale_f32 v108, null, v109, v109, 1.0
	v_div_scale_f32 v117, vcc_lo, 1.0, v109, 1.0
	v_rcp_f32_e32 v115, v108
	v_nop
	s_delay_alu instid0(TRANS32_DEP_1) | instskip(NEXT) | instid1(VALU_DEP_1)
	v_fma_f32 v116, -v108, v115, 1.0
	v_fmac_f32_e32 v115, v116, v115
	s_delay_alu instid0(VALU_DEP_1) | instskip(NEXT) | instid1(VALU_DEP_1)
	v_mul_f32_e32 v116, v117, v115
	v_fma_f32 v118, -v108, v116, v117
	s_delay_alu instid0(VALU_DEP_1) | instskip(NEXT) | instid1(VALU_DEP_1)
	v_fmac_f32_e32 v116, v118, v115
	v_fma_f32 v108, -v108, v116, v117
	s_delay_alu instid0(VALU_DEP_1) | instskip(NEXT) | instid1(VALU_DEP_1)
	v_div_fmas_f32 v108, v108, v115, v116
	v_div_fixup_f32 v109, v108, v109, 1.0
	s_delay_alu instid0(VALU_DEP_1)
	v_mul_f32_e32 v108, v107, v109
	v_xor_b32_e32 v109, 0x80000000, v109
.LBB98_385:
	s_and_not1_saveexec_b32 s1, s1
	s_cbranch_execz .LBB98_387
; %bb.386:
	s_delay_alu instid0(VALU_DEP_1) | instskip(SKIP_1) | instid1(VALU_DEP_2)
	v_div_scale_f32 v107, null, v108, v108, v109
	v_div_scale_f32 v117, vcc_lo, v109, v108, v109
	v_rcp_f32_e32 v115, v107
	v_nop
	s_delay_alu instid0(TRANS32_DEP_1) | instskip(NEXT) | instid1(VALU_DEP_1)
	v_fma_f32 v116, -v107, v115, 1.0
	v_fmac_f32_e32 v115, v116, v115
	s_delay_alu instid0(VALU_DEP_1) | instskip(NEXT) | instid1(VALU_DEP_1)
	v_mul_f32_e32 v116, v117, v115
	v_fma_f32 v118, -v107, v116, v117
	s_delay_alu instid0(VALU_DEP_1) | instskip(NEXT) | instid1(VALU_DEP_1)
	v_fmac_f32_e32 v116, v118, v115
	v_fma_f32 v107, -v107, v116, v117
	s_delay_alu instid0(VALU_DEP_1) | instskip(NEXT) | instid1(VALU_DEP_1)
	v_div_fmas_f32 v107, v107, v115, v116
	v_div_fixup_f32 v107, v107, v108, v109
	s_delay_alu instid0(VALU_DEP_1) | instskip(NEXT) | instid1(VALU_DEP_1)
	v_fmac_f32_e32 v108, v109, v107
	v_div_scale_f32 v109, null, v108, v108, 1.0
	s_delay_alu instid0(VALU_DEP_1) | instskip(SKIP_1) | instid1(TRANS32_DEP_1)
	v_rcp_f32_e32 v115, v109
	v_nop
	v_fma_f32 v116, -v109, v115, 1.0
	s_delay_alu instid0(VALU_DEP_1) | instskip(SKIP_1) | instid1(VALU_DEP_1)
	v_fmac_f32_e32 v115, v116, v115
	v_div_scale_f32 v116, vcc_lo, 1.0, v108, 1.0
	v_mul_f32_e32 v117, v116, v115
	s_delay_alu instid0(VALU_DEP_1) | instskip(NEXT) | instid1(VALU_DEP_1)
	v_fma_f32 v118, -v109, v117, v116
	v_fmac_f32_e32 v117, v118, v115
	s_delay_alu instid0(VALU_DEP_1) | instskip(NEXT) | instid1(VALU_DEP_1)
	v_fma_f32 v109, -v109, v117, v116
	v_div_fmas_f32 v109, v109, v115, v117
	s_delay_alu instid0(VALU_DEP_1) | instskip(NEXT) | instid1(VALU_DEP_1)
	v_div_fixup_f32 v108, v109, v108, 1.0
	v_mul_f32_e64 v109, v107, -v108
.LBB98_387:
	s_or_b32 exec_lo, exec_lo, s1
.LBB98_388:
	s_delay_alu instid0(SALU_CYCLE_1) | instskip(NEXT) | instid1(SALU_CYCLE_1)
	s_or_b32 exec_lo, exec_lo, s0
	s_mov_b32 s0, exec_lo
	v_cmpx_ne_u32_e64 v114, v106
	s_xor_b32 s0, exec_lo, s0
	s_cbranch_execz .LBB98_394
; %bb.389:
	s_mov_b32 s1, exec_lo
	v_cmpx_eq_u32_e32 18, v114
	s_cbranch_execz .LBB98_393
; %bb.390:
	v_cmp_ne_u32_e32 vcc_lo, 18, v106
	s_xor_b32 s12, s16, -1
	s_delay_alu instid0(SALU_CYCLE_1) | instskip(NEXT) | instid1(SALU_CYCLE_1)
	s_and_b32 s13, s12, vcc_lo
	s_and_saveexec_b32 s12, s13
	s_cbranch_execz .LBB98_392
; %bb.391:
	v_ashrrev_i32_e32 v107, 31, v106
	s_delay_alu instid0(VALU_DEP_1)
	v_lshl_add_u64 v[114:115], v[106:107], 2, v[4:5]
	s_clause 0x1
	global_load_b32 v107, v[114:115], off
	global_load_b32 v113, v[4:5], off offset:72
	s_wait_loadcnt 0x1
	global_store_b32 v[4:5], v107, off offset:72
	s_wait_loadcnt 0x0
	global_store_b32 v[114:115], v113, off
.LBB98_392:
	s_wait_xcnt 0x0
	s_or_b32 exec_lo, exec_lo, s12
	v_dual_mov_b32 v114, v106 :: v_dual_mov_b32 v113, v106
.LBB98_393:
	s_or_b32 exec_lo, exec_lo, s1
.LBB98_394:
	s_and_not1_saveexec_b32 s0, s0
	s_cbranch_execz .LBB98_396
; %bb.395:
	v_mov_b32_e32 v114, 18
	ds_store_2addr_b64 v110, v[60:61], v[90:91] offset0:19 offset1:20
	ds_store_2addr_b64 v110, v[56:57], v[58:59] offset0:21 offset1:22
	;; [unrolled: 1-line block ×15, first 2 shown]
	ds_store_b64 v110, v[104:105] offset:392
.LBB98_396:
	s_or_b32 exec_lo, exec_lo, s0
	s_delay_alu instid0(SALU_CYCLE_1)
	s_mov_b32 s0, exec_lo
	s_wait_storecnt_dscnt 0x0
	s_barrier_signal -1
	s_barrier_wait -1
	v_cmpx_lt_i32_e32 18, v114
	s_cbranch_execz .LBB98_398
; %bb.397:
	v_pk_mul_f32 v[116:117], v[108:109], v[64:65] op_sel:[1,1] op_sel_hi:[0,1]
	s_delay_alu instid0(VALU_DEP_1)
	v_pk_fma_f32 v[106:107], v[108:109], v[64:65], v[116:117] op_sel_hi:[1,0,1] neg_lo:[0,0,1] neg_hi:[0,0,1]
	v_pk_fma_f32 v[108:109], v[108:109], v[64:65], v[116:117] op_sel_hi:[1,0,1]
	ds_load_2addr_b64 v[116:119], v110 offset0:19 offset1:20
	v_dual_mov_b32 v64, v106 :: v_dual_mov_b32 v65, v109
	s_wait_dscnt 0x0
	v_pk_mul_f32 v[120:121], v[116:117], v[108:109] op_sel:[0,1]
	s_delay_alu instid0(VALU_DEP_1) | instskip(SKIP_1) | instid1(VALU_DEP_1)
	v_pk_fma_f32 v[122:123], v[116:117], v[106:107], v[120:121] op_sel:[0,0,1] op_sel_hi:[1,1,0] neg_lo:[0,0,1] neg_hi:[0,0,1]
	v_pk_fma_f32 v[116:117], v[116:117], v[106:107], v[120:121] op_sel:[0,0,1] op_sel_hi:[1,0,0]
	v_mov_b32_e32 v123, v117
	v_pk_mul_f32 v[116:117], v[118:119], v[108:109] op_sel:[0,1]
	s_delay_alu instid0(VALU_DEP_1) | instskip(SKIP_1) | instid1(VALU_DEP_1)
	v_pk_fma_f32 v[120:121], v[118:119], v[106:107], v[116:117] op_sel:[0,0,1] op_sel_hi:[1,1,0] neg_lo:[0,0,1] neg_hi:[0,0,1]
	v_pk_fma_f32 v[116:117], v[118:119], v[106:107], v[116:117] op_sel:[0,0,1] op_sel_hi:[1,0,0]
	v_mov_b32_e32 v121, v117
	ds_load_2addr_b64 v[116:119], v110 offset0:21 offset1:22
	v_pk_add_f32 v[60:61], v[60:61], v[122:123] neg_lo:[0,1] neg_hi:[0,1]
	v_pk_add_f32 v[90:91], v[90:91], v[120:121] neg_lo:[0,1] neg_hi:[0,1]
	s_wait_dscnt 0x0
	v_pk_mul_f32 v[120:121], v[116:117], v[108:109] op_sel:[0,1]
	s_delay_alu instid0(VALU_DEP_1) | instskip(SKIP_2) | instid1(VALU_DEP_2)
	v_pk_fma_f32 v[122:123], v[116:117], v[106:107], v[120:121] op_sel:[0,0,1] op_sel_hi:[1,1,0] neg_lo:[0,0,1] neg_hi:[0,0,1]
	v_pk_fma_f32 v[116:117], v[116:117], v[106:107], v[120:121] op_sel:[0,0,1] op_sel_hi:[1,0,0]
	v_dual_mul_f32 v120, v119, v109 :: v_dual_mov_b32 v116, v119
	v_dual_mov_b32 v123, v117 :: v_dual_mov_b32 v117, v118
	s_delay_alu instid0(VALU_DEP_2) | instskip(SKIP_1) | instid1(VALU_DEP_3)
	v_pk_fma_f32 v[120:121], v[118:119], v[64:65], v[120:121] op_sel_hi:[1,1,0] neg_lo:[0,0,1] neg_hi:[0,0,1]
	v_mul_f32_e32 v118, v119, v106
	v_pk_add_f32 v[56:57], v[56:57], v[122:123] neg_lo:[0,1] neg_hi:[0,1]
	s_delay_alu instid0(VALU_DEP_2) | instskip(NEXT) | instid1(VALU_DEP_1)
	v_pk_fma_f32 v[116:117], v[116:117], v[64:65], v[118:119] op_sel_hi:[1,1,0]
	v_mov_b32_e32 v121, v117
	ds_load_2addr_b64 v[116:119], v110 offset0:23 offset1:24
	v_pk_add_f32 v[58:59], v[58:59], v[120:121] neg_lo:[0,1] neg_hi:[0,1]
	s_wait_dscnt 0x0
	v_pk_mul_f32 v[120:121], v[116:117], v[108:109] op_sel:[0,1]
	s_delay_alu instid0(VALU_DEP_1) | instskip(SKIP_1) | instid1(VALU_DEP_1)
	v_pk_fma_f32 v[122:123], v[116:117], v[106:107], v[120:121] op_sel:[0,0,1] op_sel_hi:[1,1,0] neg_lo:[0,0,1] neg_hi:[0,0,1]
	v_pk_fma_f32 v[116:117], v[116:117], v[106:107], v[120:121] op_sel:[0,0,1] op_sel_hi:[1,0,0]
	v_mov_b32_e32 v123, v117
	v_pk_mul_f32 v[116:117], v[118:119], v[108:109] op_sel:[0,1]
	s_delay_alu instid0(VALU_DEP_1) | instskip(SKIP_1) | instid1(VALU_DEP_1)
	v_pk_fma_f32 v[120:121], v[118:119], v[106:107], v[116:117] op_sel:[0,0,1] op_sel_hi:[1,1,0] neg_lo:[0,0,1] neg_hi:[0,0,1]
	v_pk_fma_f32 v[116:117], v[118:119], v[106:107], v[116:117] op_sel:[0,0,1] op_sel_hi:[1,0,0]
	v_mov_b32_e32 v121, v117
	ds_load_2addr_b64 v[116:119], v110 offset0:25 offset1:26
	v_pk_add_f32 v[54:55], v[54:55], v[122:123] neg_lo:[0,1] neg_hi:[0,1]
	v_pk_add_f32 v[86:87], v[86:87], v[120:121] neg_lo:[0,1] neg_hi:[0,1]
	s_wait_dscnt 0x0
	v_pk_mul_f32 v[120:121], v[116:117], v[108:109] op_sel:[0,1]
	s_delay_alu instid0(VALU_DEP_1) | instskip(SKIP_1) | instid1(VALU_DEP_1)
	v_pk_fma_f32 v[122:123], v[116:117], v[106:107], v[120:121] op_sel:[0,0,1] op_sel_hi:[1,1,0] neg_lo:[0,0,1] neg_hi:[0,0,1]
	v_pk_fma_f32 v[116:117], v[116:117], v[106:107], v[120:121] op_sel:[0,0,1] op_sel_hi:[1,0,0]
	v_mov_b32_e32 v123, v117
	v_pk_mul_f32 v[116:117], v[118:119], v[108:109] op_sel:[0,1]
	s_delay_alu instid0(VALU_DEP_1) | instskip(SKIP_1) | instid1(VALU_DEP_1)
	v_pk_fma_f32 v[120:121], v[118:119], v[106:107], v[116:117] op_sel:[0,0,1] op_sel_hi:[1,1,0] neg_lo:[0,0,1] neg_hi:[0,0,1]
	v_pk_fma_f32 v[116:117], v[118:119], v[106:107], v[116:117] op_sel:[0,0,1] op_sel_hi:[1,0,0]
	v_mov_b32_e32 v121, v117
	ds_load_2addr_b64 v[116:119], v110 offset0:27 offset1:28
	v_pk_add_f32 v[38:39], v[38:39], v[122:123] neg_lo:[0,1] neg_hi:[0,1]
	v_pk_add_f32 v[42:43], v[42:43], v[120:121] neg_lo:[0,1] neg_hi:[0,1]
	s_wait_dscnt 0x0
	v_dual_mul_f32 v120, v117, v109 :: v_dual_mul_f32 v122, v117, v106
	s_delay_alu instid0(VALU_DEP_1) | instskip(NEXT) | instid1(VALU_DEP_2)
	v_pk_fma_f32 v[120:121], v[116:117], v[64:65], v[120:121] op_sel_hi:[1,1,0] neg_lo:[0,0,1] neg_hi:[0,0,1]
	v_pk_fma_f32 v[116:117], v[116:117], v[64:65], v[122:123] op_sel:[1,0,0] op_sel_hi:[0,1,0]
	s_delay_alu instid0(VALU_DEP_1) | instskip(SKIP_1) | instid1(VALU_DEP_2)
	v_mov_b32_e32 v121, v117
	v_pk_mul_f32 v[116:117], v[118:119], v[108:109] op_sel:[0,1]
	v_pk_add_f32 v[36:37], v[36:37], v[120:121] neg_lo:[0,1] neg_hi:[0,1]
	s_delay_alu instid0(VALU_DEP_2) | instskip(SKIP_1) | instid1(VALU_DEP_1)
	v_pk_fma_f32 v[120:121], v[118:119], v[106:107], v[116:117] op_sel:[0,0,1] op_sel_hi:[1,1,0] neg_lo:[0,0,1] neg_hi:[0,0,1]
	v_pk_fma_f32 v[116:117], v[118:119], v[106:107], v[116:117] op_sel:[0,0,1] op_sel_hi:[1,0,0]
	v_mov_b32_e32 v121, v117
	ds_load_2addr_b64 v[116:119], v110 offset0:29 offset1:30
	v_pk_add_f32 v[82:83], v[82:83], v[120:121] neg_lo:[0,1] neg_hi:[0,1]
	s_wait_dscnt 0x0
	v_pk_mul_f32 v[120:121], v[116:117], v[108:109] op_sel:[0,1]
	s_delay_alu instid0(VALU_DEP_1) | instskip(SKIP_1) | instid1(VALU_DEP_1)
	v_pk_fma_f32 v[122:123], v[116:117], v[106:107], v[120:121] op_sel:[0,0,1] op_sel_hi:[1,1,0] neg_lo:[0,0,1] neg_hi:[0,0,1]
	v_pk_fma_f32 v[116:117], v[116:117], v[106:107], v[120:121] op_sel:[0,0,1] op_sel_hi:[1,0,0]
	v_mov_b32_e32 v123, v117
	v_pk_mul_f32 v[116:117], v[118:119], v[108:109] op_sel:[0,1]
	s_delay_alu instid0(VALU_DEP_2) | instskip(NEXT) | instid1(VALU_DEP_2)
	v_pk_add_f32 v[32:33], v[32:33], v[122:123] neg_lo:[0,1] neg_hi:[0,1]
	v_pk_fma_f32 v[120:121], v[118:119], v[106:107], v[116:117] op_sel:[0,0,1] op_sel_hi:[1,1,0] neg_lo:[0,0,1] neg_hi:[0,0,1]
	v_pk_fma_f32 v[116:117], v[118:119], v[106:107], v[116:117] op_sel:[0,0,1] op_sel_hi:[1,0,0]
	s_delay_alu instid0(VALU_DEP_1) | instskip(SKIP_4) | instid1(VALU_DEP_1)
	v_mov_b32_e32 v121, v117
	ds_load_2addr_b64 v[116:119], v110 offset0:31 offset1:32
	v_pk_add_f32 v[34:35], v[34:35], v[120:121] neg_lo:[0,1] neg_hi:[0,1]
	s_wait_dscnt 0x0
	v_pk_mul_f32 v[120:121], v[116:117], v[108:109] op_sel:[0,1]
	v_pk_fma_f32 v[122:123], v[116:117], v[106:107], v[120:121] op_sel:[0,0,1] op_sel_hi:[1,1,0] neg_lo:[0,0,1] neg_hi:[0,0,1]
	v_pk_fma_f32 v[116:117], v[116:117], v[106:107], v[120:121] op_sel:[0,0,1] op_sel_hi:[1,0,0]
	v_dual_mul_f32 v120, v119, v109 :: v_dual_mov_b32 v116, v119
	s_delay_alu instid0(VALU_DEP_2) | instskip(NEXT) | instid1(VALU_DEP_2)
	v_dual_mov_b32 v123, v117 :: v_dual_mov_b32 v117, v118
	v_pk_fma_f32 v[120:121], v[118:119], v[64:65], v[120:121] op_sel_hi:[1,1,0] neg_lo:[0,0,1] neg_hi:[0,0,1]
	v_mul_f32_e32 v118, v119, v106
	s_delay_alu instid0(VALU_DEP_3) | instskip(NEXT) | instid1(VALU_DEP_2)
	v_pk_add_f32 v[30:31], v[30:31], v[122:123] neg_lo:[0,1] neg_hi:[0,1]
	v_pk_fma_f32 v[116:117], v[116:117], v[64:65], v[118:119] op_sel_hi:[1,1,0]
	s_delay_alu instid0(VALU_DEP_1) | instskip(SKIP_4) | instid1(VALU_DEP_1)
	v_mov_b32_e32 v121, v117
	ds_load_2addr_b64 v[116:119], v110 offset0:33 offset1:34
	v_pk_add_f32 v[80:81], v[80:81], v[120:121] neg_lo:[0,1] neg_hi:[0,1]
	s_wait_dscnt 0x0
	v_pk_mul_f32 v[120:121], v[116:117], v[108:109] op_sel:[0,1]
	v_pk_fma_f32 v[122:123], v[116:117], v[106:107], v[120:121] op_sel:[0,0,1] op_sel_hi:[1,1,0] neg_lo:[0,0,1] neg_hi:[0,0,1]
	v_pk_fma_f32 v[116:117], v[116:117], v[106:107], v[120:121] op_sel:[0,0,1] op_sel_hi:[1,0,0]
	s_delay_alu instid0(VALU_DEP_1) | instskip(SKIP_1) | instid1(VALU_DEP_1)
	v_mov_b32_e32 v123, v117
	v_pk_mul_f32 v[116:117], v[118:119], v[108:109] op_sel:[0,1]
	v_pk_fma_f32 v[120:121], v[118:119], v[106:107], v[116:117] op_sel:[0,0,1] op_sel_hi:[1,1,0] neg_lo:[0,0,1] neg_hi:[0,0,1]
	v_pk_fma_f32 v[116:117], v[118:119], v[106:107], v[116:117] op_sel:[0,0,1] op_sel_hi:[1,0,0]
	s_delay_alu instid0(VALU_DEP_1)
	v_mov_b32_e32 v121, v117
	ds_load_2addr_b64 v[116:119], v110 offset0:35 offset1:36
	v_pk_add_f32 v[24:25], v[24:25], v[122:123] neg_lo:[0,1] neg_hi:[0,1]
	v_pk_add_f32 v[26:27], v[26:27], v[120:121] neg_lo:[0,1] neg_hi:[0,1]
	s_wait_dscnt 0x0
	v_pk_mul_f32 v[120:121], v[116:117], v[108:109] op_sel:[0,1]
	s_delay_alu instid0(VALU_DEP_1) | instskip(SKIP_1) | instid1(VALU_DEP_1)
	v_pk_fma_f32 v[122:123], v[116:117], v[106:107], v[120:121] op_sel:[0,0,1] op_sel_hi:[1,1,0] neg_lo:[0,0,1] neg_hi:[0,0,1]
	v_pk_fma_f32 v[116:117], v[116:117], v[106:107], v[120:121] op_sel:[0,0,1] op_sel_hi:[1,0,0]
	v_mov_b32_e32 v123, v117
	v_pk_mul_f32 v[116:117], v[118:119], v[108:109] op_sel:[0,1]
	s_delay_alu instid0(VALU_DEP_1) | instskip(SKIP_1) | instid1(VALU_DEP_1)
	v_pk_fma_f32 v[120:121], v[118:119], v[106:107], v[116:117] op_sel:[0,0,1] op_sel_hi:[1,1,0] neg_lo:[0,0,1] neg_hi:[0,0,1]
	v_pk_fma_f32 v[116:117], v[118:119], v[106:107], v[116:117] op_sel:[0,0,1] op_sel_hi:[1,0,0]
	v_mov_b32_e32 v121, v117
	ds_load_2addr_b64 v[116:119], v110 offset0:37 offset1:38
	v_pk_add_f32 v[22:23], v[22:23], v[122:123] neg_lo:[0,1] neg_hi:[0,1]
	v_pk_add_f32 v[78:79], v[78:79], v[120:121] neg_lo:[0,1] neg_hi:[0,1]
	s_wait_dscnt 0x0
	v_dual_mul_f32 v120, v117, v109 :: v_dual_mul_f32 v122, v117, v106
	s_delay_alu instid0(VALU_DEP_1) | instskip(NEXT) | instid1(VALU_DEP_2)
	v_pk_fma_f32 v[120:121], v[116:117], v[64:65], v[120:121] op_sel_hi:[1,1,0] neg_lo:[0,0,1] neg_hi:[0,0,1]
	v_pk_fma_f32 v[116:117], v[116:117], v[64:65], v[122:123] op_sel:[1,0,0] op_sel_hi:[0,1,0]
	s_delay_alu instid0(VALU_DEP_1) | instskip(SKIP_1) | instid1(VALU_DEP_2)
	v_mov_b32_e32 v121, v117
	v_pk_mul_f32 v[116:117], v[118:119], v[108:109] op_sel:[0,1]
	v_pk_add_f32 v[18:19], v[18:19], v[120:121] neg_lo:[0,1] neg_hi:[0,1]
	s_delay_alu instid0(VALU_DEP_2) | instskip(SKIP_1) | instid1(VALU_DEP_1)
	v_pk_fma_f32 v[120:121], v[118:119], v[106:107], v[116:117] op_sel:[0,0,1] op_sel_hi:[1,1,0] neg_lo:[0,0,1] neg_hi:[0,0,1]
	v_pk_fma_f32 v[116:117], v[118:119], v[106:107], v[116:117] op_sel:[0,0,1] op_sel_hi:[1,0,0]
	v_mov_b32_e32 v121, v117
	ds_load_2addr_b64 v[116:119], v110 offset0:39 offset1:40
	v_pk_add_f32 v[20:21], v[20:21], v[120:121] neg_lo:[0,1] neg_hi:[0,1]
	s_wait_dscnt 0x0
	v_pk_mul_f32 v[120:121], v[116:117], v[108:109] op_sel:[0,1]
	s_delay_alu instid0(VALU_DEP_1) | instskip(SKIP_1) | instid1(VALU_DEP_1)
	v_pk_fma_f32 v[122:123], v[116:117], v[106:107], v[120:121] op_sel:[0,0,1] op_sel_hi:[1,1,0] neg_lo:[0,0,1] neg_hi:[0,0,1]
	v_pk_fma_f32 v[116:117], v[116:117], v[106:107], v[120:121] op_sel:[0,0,1] op_sel_hi:[1,0,0]
	v_mov_b32_e32 v123, v117
	v_pk_mul_f32 v[116:117], v[118:119], v[108:109] op_sel:[0,1]
	s_delay_alu instid0(VALU_DEP_2) | instskip(NEXT) | instid1(VALU_DEP_2)
	v_pk_add_f32 v[16:17], v[16:17], v[122:123] neg_lo:[0,1] neg_hi:[0,1]
	v_pk_fma_f32 v[120:121], v[118:119], v[106:107], v[116:117] op_sel:[0,0,1] op_sel_hi:[1,1,0] neg_lo:[0,0,1] neg_hi:[0,0,1]
	v_pk_fma_f32 v[116:117], v[118:119], v[106:107], v[116:117] op_sel:[0,0,1] op_sel_hi:[1,0,0]
	s_delay_alu instid0(VALU_DEP_1) | instskip(SKIP_4) | instid1(VALU_DEP_1)
	v_mov_b32_e32 v121, v117
	ds_load_2addr_b64 v[116:119], v110 offset0:41 offset1:42
	v_pk_add_f32 v[76:77], v[76:77], v[120:121] neg_lo:[0,1] neg_hi:[0,1]
	s_wait_dscnt 0x0
	v_pk_mul_f32 v[120:121], v[116:117], v[108:109] op_sel:[0,1]
	v_pk_fma_f32 v[122:123], v[116:117], v[106:107], v[120:121] op_sel:[0,0,1] op_sel_hi:[1,1,0] neg_lo:[0,0,1] neg_hi:[0,0,1]
	v_pk_fma_f32 v[116:117], v[116:117], v[106:107], v[120:121] op_sel:[0,0,1] op_sel_hi:[1,0,0]
	v_dual_mul_f32 v120, v119, v109 :: v_dual_mov_b32 v116, v119
	s_delay_alu instid0(VALU_DEP_2) | instskip(NEXT) | instid1(VALU_DEP_2)
	v_dual_mov_b32 v123, v117 :: v_dual_mov_b32 v117, v118
	v_pk_fma_f32 v[120:121], v[118:119], v[64:65], v[120:121] op_sel_hi:[1,1,0] neg_lo:[0,0,1] neg_hi:[0,0,1]
	v_mul_f32_e32 v118, v119, v106
	s_delay_alu instid0(VALU_DEP_3) | instskip(NEXT) | instid1(VALU_DEP_2)
	v_pk_add_f32 v[10:11], v[10:11], v[122:123] neg_lo:[0,1] neg_hi:[0,1]
	v_pk_fma_f32 v[116:117], v[116:117], v[64:65], v[118:119] op_sel_hi:[1,1,0]
	s_delay_alu instid0(VALU_DEP_1) | instskip(SKIP_4) | instid1(VALU_DEP_1)
	v_mov_b32_e32 v121, v117
	ds_load_2addr_b64 v[116:119], v110 offset0:43 offset1:44
	v_pk_add_f32 v[12:13], v[12:13], v[120:121] neg_lo:[0,1] neg_hi:[0,1]
	s_wait_dscnt 0x0
	v_pk_mul_f32 v[120:121], v[116:117], v[108:109] op_sel:[0,1]
	v_pk_fma_f32 v[122:123], v[116:117], v[106:107], v[120:121] op_sel:[0,0,1] op_sel_hi:[1,1,0] neg_lo:[0,0,1] neg_hi:[0,0,1]
	v_pk_fma_f32 v[116:117], v[116:117], v[106:107], v[120:121] op_sel:[0,0,1] op_sel_hi:[1,0,0]
	s_delay_alu instid0(VALU_DEP_1) | instskip(SKIP_1) | instid1(VALU_DEP_1)
	v_mov_b32_e32 v123, v117
	v_pk_mul_f32 v[116:117], v[118:119], v[108:109] op_sel:[0,1]
	v_pk_fma_f32 v[120:121], v[118:119], v[106:107], v[116:117] op_sel:[0,0,1] op_sel_hi:[1,1,0] neg_lo:[0,0,1] neg_hi:[0,0,1]
	v_pk_fma_f32 v[116:117], v[118:119], v[106:107], v[116:117] op_sel:[0,0,1] op_sel_hi:[1,0,0]
	s_delay_alu instid0(VALU_DEP_1)
	v_mov_b32_e32 v121, v117
	ds_load_2addr_b64 v[116:119], v110 offset0:45 offset1:46
	v_pk_add_f32 v[8:9], v[8:9], v[122:123] neg_lo:[0,1] neg_hi:[0,1]
	v_pk_add_f32 v[70:71], v[70:71], v[120:121] neg_lo:[0,1] neg_hi:[0,1]
	s_wait_dscnt 0x0
	v_pk_mul_f32 v[120:121], v[116:117], v[108:109] op_sel:[0,1]
	s_delay_alu instid0(VALU_DEP_1) | instskip(SKIP_1) | instid1(VALU_DEP_1)
	v_pk_fma_f32 v[122:123], v[116:117], v[106:107], v[120:121] op_sel:[0,0,1] op_sel_hi:[1,1,0] neg_lo:[0,0,1] neg_hi:[0,0,1]
	v_pk_fma_f32 v[116:117], v[116:117], v[106:107], v[120:121] op_sel:[0,0,1] op_sel_hi:[1,0,0]
	v_mov_b32_e32 v123, v117
	v_pk_mul_f32 v[116:117], v[118:119], v[108:109] op_sel:[0,1]
	s_delay_alu instid0(VALU_DEP_1) | instskip(SKIP_1) | instid1(VALU_DEP_1)
	v_pk_fma_f32 v[120:121], v[118:119], v[106:107], v[116:117] op_sel:[0,0,1] op_sel_hi:[1,1,0] neg_lo:[0,0,1] neg_hi:[0,0,1]
	v_pk_fma_f32 v[116:117], v[118:119], v[106:107], v[116:117] op_sel:[0,0,1] op_sel_hi:[1,0,0]
	v_mov_b32_e32 v121, v117
	ds_load_2addr_b64 v[116:119], v110 offset0:47 offset1:48
	v_pk_add_f32 v[6:7], v[6:7], v[122:123] neg_lo:[0,1] neg_hi:[0,1]
	v_pk_add_f32 v[46:47], v[46:47], v[120:121] neg_lo:[0,1] neg_hi:[0,1]
	s_wait_dscnt 0x0
	v_dual_mul_f32 v120, v117, v109 :: v_dual_mul_f32 v122, v117, v106
	s_delay_alu instid0(VALU_DEP_1) | instskip(NEXT) | instid1(VALU_DEP_2)
	v_pk_fma_f32 v[120:121], v[116:117], v[64:65], v[120:121] op_sel_hi:[1,1,0] neg_lo:[0,0,1] neg_hi:[0,0,1]
	v_pk_fma_f32 v[116:117], v[116:117], v[64:65], v[122:123] op_sel:[1,0,0] op_sel_hi:[0,1,0]
	s_delay_alu instid0(VALU_DEP_1) | instskip(SKIP_1) | instid1(VALU_DEP_2)
	v_mov_b32_e32 v121, v117
	v_pk_mul_f32 v[116:117], v[118:119], v[108:109] op_sel:[0,1]
	v_pk_add_f32 v[28:29], v[28:29], v[120:121] neg_lo:[0,1] neg_hi:[0,1]
	s_delay_alu instid0(VALU_DEP_2) | instskip(SKIP_1) | instid1(VALU_DEP_1)
	v_pk_fma_f32 v[120:121], v[118:119], v[106:107], v[116:117] op_sel:[0,0,1] op_sel_hi:[1,1,0] neg_lo:[0,0,1] neg_hi:[0,0,1]
	v_pk_fma_f32 v[116:117], v[118:119], v[106:107], v[116:117] op_sel:[0,0,1] op_sel_hi:[1,0,0]
	v_mov_b32_e32 v121, v117
	ds_load_b64 v[116:117], v110 offset:392
	v_pk_add_f32 v[14:15], v[14:15], v[120:121] neg_lo:[0,1] neg_hi:[0,1]
	s_wait_dscnt 0x0
	v_pk_mul_f32 v[108:109], v[116:117], v[108:109] op_sel:[0,1]
	s_delay_alu instid0(VALU_DEP_1) | instskip(SKIP_1) | instid1(VALU_DEP_1)
	v_pk_fma_f32 v[118:119], v[116:117], v[106:107], v[108:109] op_sel:[0,0,1] op_sel_hi:[1,1,0] neg_lo:[0,0,1] neg_hi:[0,0,1]
	v_pk_fma_f32 v[106:107], v[116:117], v[106:107], v[108:109] op_sel:[0,0,1] op_sel_hi:[1,0,0]
	v_mov_b32_e32 v119, v107
	s_delay_alu instid0(VALU_DEP_1)
	v_pk_add_f32 v[104:105], v[104:105], v[118:119] neg_lo:[0,1] neg_hi:[0,1]
.LBB98_398:
	s_or_b32 exec_lo, exec_lo, s0
	v_lshl_add_u32 v106, v114, 3, v110
	s_barrier_signal -1
	s_barrier_wait -1
	ds_store_b64 v106, v[60:61]
	s_wait_dscnt 0x0
	s_barrier_signal -1
	s_barrier_wait -1
	ds_load_b64 v[108:109], v110 offset:152
	v_mov_b32_e32 v106, 19
	s_cmp_lt_i32 s18, 21
	s_cbranch_scc1 .LBB98_401
; %bb.399:
	v_add3_u32 v107, v111, 0, 0xa0
	v_mov_b32_e32 v106, 19
	s_mov_b32 s0, 20
.LBB98_400:                             ; =>This Inner Loop Header: Depth=1
	ds_load_b64 v[116:117], v107
	s_wait_dscnt 0x1
	v_cmp_gt_f32_e32 vcc_lo, 0, v108
	v_cndmask_b32_e64 v118, v108, -v108, vcc_lo
	v_cmp_gt_f32_e32 vcc_lo, 0, v109
	v_cndmask_b32_e64 v120, v109, -v109, vcc_lo
	s_wait_dscnt 0x0
	v_cmp_gt_f32_e32 vcc_lo, 0, v116
	v_cndmask_b32_e64 v119, v116, -v116, vcc_lo
	v_cmp_gt_f32_e32 vcc_lo, 0, v117
	v_cndmask_b32_e64 v121, v117, -v117, vcc_lo
	s_delay_alu instid0(VALU_DEP_1) | instskip(NEXT) | instid1(VALU_DEP_1)
	v_pk_add_f32 v[118:119], v[118:119], v[120:121]
	v_cmp_lt_f32_e32 vcc_lo, v118, v119
	v_dual_add_nc_u32 v107, 8, v107 :: v_dual_cndmask_b32 v109, v109, v117, vcc_lo
	v_cndmask_b32_e32 v108, v108, v116, vcc_lo
	v_cndmask_b32_e64 v106, v106, s0, vcc_lo
	s_add_co_i32 s0, s0, 1
	s_delay_alu instid0(SALU_CYCLE_1)
	s_cmp_lg_u32 s18, s0
	s_cbranch_scc1 .LBB98_400
.LBB98_401:
	s_wait_dscnt 0x0
	v_cmp_eq_f32_e32 vcc_lo, 0, v108
	v_cmp_eq_f32_e64 s0, 0, v109
	s_and_b32 s0, vcc_lo, s0
	s_delay_alu instid0(SALU_CYCLE_1) | instskip(NEXT) | instid1(SALU_CYCLE_1)
	s_and_saveexec_b32 s1, s0
	s_xor_b32 s0, exec_lo, s1
; %bb.402:
	v_cmp_ne_u32_e32 vcc_lo, 0, v112
	v_cndmask_b32_e32 v112, 20, v112, vcc_lo
; %bb.403:
	s_and_not1_saveexec_b32 s0, s0
	s_cbranch_execz .LBB98_409
; %bb.404:
	v_cmp_ngt_f32_e64 s1, |v108|, |v109|
	s_and_saveexec_b32 s12, s1
	s_delay_alu instid0(SALU_CYCLE_1)
	s_xor_b32 s1, exec_lo, s12
	s_cbranch_execz .LBB98_406
; %bb.405:
	v_div_scale_f32 v107, null, v109, v109, v108
	v_div_scale_f32 v117, vcc_lo, v108, v109, v108
	s_delay_alu instid0(VALU_DEP_2) | instskip(SKIP_1) | instid1(TRANS32_DEP_1)
	v_rcp_f32_e32 v115, v107
	v_nop
	v_fma_f32 v116, -v107, v115, 1.0
	s_delay_alu instid0(VALU_DEP_1) | instskip(NEXT) | instid1(VALU_DEP_1)
	v_fmac_f32_e32 v115, v116, v115
	v_mul_f32_e32 v116, v117, v115
	s_delay_alu instid0(VALU_DEP_1) | instskip(NEXT) | instid1(VALU_DEP_1)
	v_fma_f32 v118, -v107, v116, v117
	v_fmac_f32_e32 v116, v118, v115
	s_delay_alu instid0(VALU_DEP_1) | instskip(NEXT) | instid1(VALU_DEP_1)
	v_fma_f32 v107, -v107, v116, v117
	v_div_fmas_f32 v107, v107, v115, v116
	s_delay_alu instid0(VALU_DEP_1) | instskip(NEXT) | instid1(VALU_DEP_1)
	v_div_fixup_f32 v107, v107, v109, v108
	v_fmac_f32_e32 v109, v108, v107
	s_delay_alu instid0(VALU_DEP_1) | instskip(SKIP_1) | instid1(VALU_DEP_2)
	v_div_scale_f32 v108, null, v109, v109, 1.0
	v_div_scale_f32 v117, vcc_lo, 1.0, v109, 1.0
	v_rcp_f32_e32 v115, v108
	v_nop
	s_delay_alu instid0(TRANS32_DEP_1) | instskip(NEXT) | instid1(VALU_DEP_1)
	v_fma_f32 v116, -v108, v115, 1.0
	v_fmac_f32_e32 v115, v116, v115
	s_delay_alu instid0(VALU_DEP_1) | instskip(NEXT) | instid1(VALU_DEP_1)
	v_mul_f32_e32 v116, v117, v115
	v_fma_f32 v118, -v108, v116, v117
	s_delay_alu instid0(VALU_DEP_1) | instskip(NEXT) | instid1(VALU_DEP_1)
	v_fmac_f32_e32 v116, v118, v115
	v_fma_f32 v108, -v108, v116, v117
	s_delay_alu instid0(VALU_DEP_1) | instskip(NEXT) | instid1(VALU_DEP_1)
	v_div_fmas_f32 v108, v108, v115, v116
	v_div_fixup_f32 v109, v108, v109, 1.0
	s_delay_alu instid0(VALU_DEP_1)
	v_mul_f32_e32 v108, v107, v109
	v_xor_b32_e32 v109, 0x80000000, v109
.LBB98_406:
	s_and_not1_saveexec_b32 s1, s1
	s_cbranch_execz .LBB98_408
; %bb.407:
	s_delay_alu instid0(VALU_DEP_1) | instskip(SKIP_1) | instid1(VALU_DEP_2)
	v_div_scale_f32 v107, null, v108, v108, v109
	v_div_scale_f32 v117, vcc_lo, v109, v108, v109
	v_rcp_f32_e32 v115, v107
	v_nop
	s_delay_alu instid0(TRANS32_DEP_1) | instskip(NEXT) | instid1(VALU_DEP_1)
	v_fma_f32 v116, -v107, v115, 1.0
	v_fmac_f32_e32 v115, v116, v115
	s_delay_alu instid0(VALU_DEP_1) | instskip(NEXT) | instid1(VALU_DEP_1)
	v_mul_f32_e32 v116, v117, v115
	v_fma_f32 v118, -v107, v116, v117
	s_delay_alu instid0(VALU_DEP_1) | instskip(NEXT) | instid1(VALU_DEP_1)
	v_fmac_f32_e32 v116, v118, v115
	v_fma_f32 v107, -v107, v116, v117
	s_delay_alu instid0(VALU_DEP_1) | instskip(NEXT) | instid1(VALU_DEP_1)
	v_div_fmas_f32 v107, v107, v115, v116
	v_div_fixup_f32 v107, v107, v108, v109
	s_delay_alu instid0(VALU_DEP_1) | instskip(NEXT) | instid1(VALU_DEP_1)
	v_fmac_f32_e32 v108, v109, v107
	v_div_scale_f32 v109, null, v108, v108, 1.0
	s_delay_alu instid0(VALU_DEP_1) | instskip(SKIP_1) | instid1(TRANS32_DEP_1)
	v_rcp_f32_e32 v115, v109
	v_nop
	v_fma_f32 v116, -v109, v115, 1.0
	s_delay_alu instid0(VALU_DEP_1) | instskip(SKIP_1) | instid1(VALU_DEP_1)
	v_fmac_f32_e32 v115, v116, v115
	v_div_scale_f32 v116, vcc_lo, 1.0, v108, 1.0
	v_mul_f32_e32 v117, v116, v115
	s_delay_alu instid0(VALU_DEP_1) | instskip(NEXT) | instid1(VALU_DEP_1)
	v_fma_f32 v118, -v109, v117, v116
	v_fmac_f32_e32 v117, v118, v115
	s_delay_alu instid0(VALU_DEP_1) | instskip(NEXT) | instid1(VALU_DEP_1)
	v_fma_f32 v109, -v109, v117, v116
	v_div_fmas_f32 v109, v109, v115, v117
	s_delay_alu instid0(VALU_DEP_1) | instskip(NEXT) | instid1(VALU_DEP_1)
	v_div_fixup_f32 v108, v109, v108, 1.0
	v_mul_f32_e64 v109, v107, -v108
.LBB98_408:
	s_or_b32 exec_lo, exec_lo, s1
.LBB98_409:
	s_delay_alu instid0(SALU_CYCLE_1) | instskip(NEXT) | instid1(SALU_CYCLE_1)
	s_or_b32 exec_lo, exec_lo, s0
	s_mov_b32 s0, exec_lo
	v_cmpx_ne_u32_e64 v114, v106
	s_xor_b32 s0, exec_lo, s0
	s_cbranch_execz .LBB98_415
; %bb.410:
	s_mov_b32 s1, exec_lo
	v_cmpx_eq_u32_e32 19, v114
	s_cbranch_execz .LBB98_414
; %bb.411:
	v_cmp_ne_u32_e32 vcc_lo, 19, v106
	s_xor_b32 s12, s16, -1
	s_delay_alu instid0(SALU_CYCLE_1) | instskip(NEXT) | instid1(SALU_CYCLE_1)
	s_and_b32 s13, s12, vcc_lo
	s_and_saveexec_b32 s12, s13
	s_cbranch_execz .LBB98_413
; %bb.412:
	v_ashrrev_i32_e32 v107, 31, v106
	s_delay_alu instid0(VALU_DEP_1)
	v_lshl_add_u64 v[114:115], v[106:107], 2, v[4:5]
	s_clause 0x1
	global_load_b32 v107, v[114:115], off
	global_load_b32 v113, v[4:5], off offset:76
	s_wait_loadcnt 0x1
	global_store_b32 v[4:5], v107, off offset:76
	s_wait_loadcnt 0x0
	global_store_b32 v[114:115], v113, off
.LBB98_413:
	s_wait_xcnt 0x0
	s_or_b32 exec_lo, exec_lo, s12
	v_dual_mov_b32 v114, v106 :: v_dual_mov_b32 v113, v106
.LBB98_414:
	s_or_b32 exec_lo, exec_lo, s1
.LBB98_415:
	s_and_not1_saveexec_b32 s0, s0
	s_cbranch_execz .LBB98_417
; %bb.416:
	v_dual_mov_b32 v106, v90 :: v_dual_mov_b32 v107, v91
	v_dual_mov_b32 v114, v56 :: v_dual_mov_b32 v115, v57
	ds_store_2addr_b64 v110, v[106:107], v[114:115] offset0:20 offset1:21
	v_dual_mov_b32 v106, v58 :: v_dual_mov_b32 v107, v59
	v_dual_mov_b32 v114, v54 :: v_dual_mov_b32 v115, v55
	ds_store_2addr_b64 v110, v[106:107], v[114:115] offset0:22 offset1:23
	;; [unrolled: 3-line block ×14, first 2 shown]
	v_dual_mov_b32 v106, v14 :: v_dual_mov_b32 v107, v15
	v_mov_b32_e32 v114, 19
	ds_store_2addr_b64 v110, v[106:107], v[104:105] offset0:48 offset1:49
.LBB98_417:
	s_or_b32 exec_lo, exec_lo, s0
	s_delay_alu instid0(SALU_CYCLE_1)
	s_mov_b32 s0, exec_lo
	s_wait_storecnt_dscnt 0x0
	s_barrier_signal -1
	s_barrier_wait -1
	v_cmpx_lt_i32_e32 19, v114
	s_cbranch_execz .LBB98_419
; %bb.418:
	v_pk_mul_f32 v[116:117], v[108:109], v[60:61] op_sel:[1,1] op_sel_hi:[0,1]
	s_delay_alu instid0(VALU_DEP_1)
	v_pk_fma_f32 v[106:107], v[108:109], v[60:61], v[116:117] op_sel_hi:[1,0,1] neg_lo:[0,0,1] neg_hi:[0,0,1]
	v_pk_fma_f32 v[108:109], v[108:109], v[60:61], v[116:117] op_sel_hi:[1,0,1]
	ds_load_2addr_b64 v[116:119], v110 offset0:20 offset1:21
	v_dual_mov_b32 v60, v106 :: v_dual_mov_b32 v61, v109
	s_wait_dscnt 0x0
	v_pk_mul_f32 v[120:121], v[116:117], v[108:109] op_sel:[0,1]
	s_delay_alu instid0(VALU_DEP_1) | instskip(SKIP_1) | instid1(VALU_DEP_1)
	v_pk_fma_f32 v[122:123], v[116:117], v[106:107], v[120:121] op_sel:[0,0,1] op_sel_hi:[1,1,0] neg_lo:[0,0,1] neg_hi:[0,0,1]
	v_pk_fma_f32 v[116:117], v[116:117], v[106:107], v[120:121] op_sel:[0,0,1] op_sel_hi:[1,0,0]
	v_mov_b32_e32 v123, v117
	v_pk_mul_f32 v[116:117], v[118:119], v[108:109] op_sel:[0,1]
	s_delay_alu instid0(VALU_DEP_1) | instskip(SKIP_1) | instid1(VALU_DEP_1)
	v_pk_fma_f32 v[120:121], v[118:119], v[106:107], v[116:117] op_sel:[0,0,1] op_sel_hi:[1,1,0] neg_lo:[0,0,1] neg_hi:[0,0,1]
	v_pk_fma_f32 v[116:117], v[118:119], v[106:107], v[116:117] op_sel:[0,0,1] op_sel_hi:[1,0,0]
	v_mov_b32_e32 v121, v117
	ds_load_2addr_b64 v[116:119], v110 offset0:22 offset1:23
	v_pk_add_f32 v[90:91], v[90:91], v[122:123] neg_lo:[0,1] neg_hi:[0,1]
	v_pk_add_f32 v[56:57], v[56:57], v[120:121] neg_lo:[0,1] neg_hi:[0,1]
	s_wait_dscnt 0x0
	v_pk_mul_f32 v[120:121], v[116:117], v[108:109] op_sel:[0,1]
	s_delay_alu instid0(VALU_DEP_1) | instskip(SKIP_2) | instid1(VALU_DEP_2)
	v_pk_fma_f32 v[122:123], v[116:117], v[106:107], v[120:121] op_sel:[0,0,1] op_sel_hi:[1,1,0] neg_lo:[0,0,1] neg_hi:[0,0,1]
	v_pk_fma_f32 v[116:117], v[116:117], v[106:107], v[120:121] op_sel:[0,0,1] op_sel_hi:[1,0,0]
	v_dual_mul_f32 v120, v119, v109 :: v_dual_mov_b32 v116, v119
	v_dual_mov_b32 v123, v117 :: v_dual_mov_b32 v117, v118
	s_delay_alu instid0(VALU_DEP_2) | instskip(SKIP_1) | instid1(VALU_DEP_3)
	v_pk_fma_f32 v[120:121], v[118:119], v[60:61], v[120:121] op_sel_hi:[1,1,0] neg_lo:[0,0,1] neg_hi:[0,0,1]
	v_mul_f32_e32 v118, v119, v106
	v_pk_add_f32 v[58:59], v[58:59], v[122:123] neg_lo:[0,1] neg_hi:[0,1]
	s_delay_alu instid0(VALU_DEP_2) | instskip(NEXT) | instid1(VALU_DEP_1)
	v_pk_fma_f32 v[116:117], v[116:117], v[60:61], v[118:119] op_sel_hi:[1,1,0]
	v_mov_b32_e32 v121, v117
	ds_load_2addr_b64 v[116:119], v110 offset0:24 offset1:25
	v_pk_add_f32 v[54:55], v[54:55], v[120:121] neg_lo:[0,1] neg_hi:[0,1]
	s_wait_dscnt 0x0
	v_pk_mul_f32 v[120:121], v[116:117], v[108:109] op_sel:[0,1]
	s_delay_alu instid0(VALU_DEP_1) | instskip(SKIP_1) | instid1(VALU_DEP_1)
	v_pk_fma_f32 v[122:123], v[116:117], v[106:107], v[120:121] op_sel:[0,0,1] op_sel_hi:[1,1,0] neg_lo:[0,0,1] neg_hi:[0,0,1]
	v_pk_fma_f32 v[116:117], v[116:117], v[106:107], v[120:121] op_sel:[0,0,1] op_sel_hi:[1,0,0]
	v_mov_b32_e32 v123, v117
	v_pk_mul_f32 v[116:117], v[118:119], v[108:109] op_sel:[0,1]
	s_delay_alu instid0(VALU_DEP_1) | instskip(SKIP_1) | instid1(VALU_DEP_1)
	v_pk_fma_f32 v[120:121], v[118:119], v[106:107], v[116:117] op_sel:[0,0,1] op_sel_hi:[1,1,0] neg_lo:[0,0,1] neg_hi:[0,0,1]
	v_pk_fma_f32 v[116:117], v[118:119], v[106:107], v[116:117] op_sel:[0,0,1] op_sel_hi:[1,0,0]
	v_mov_b32_e32 v121, v117
	ds_load_2addr_b64 v[116:119], v110 offset0:26 offset1:27
	v_pk_add_f32 v[86:87], v[86:87], v[122:123] neg_lo:[0,1] neg_hi:[0,1]
	v_pk_add_f32 v[38:39], v[38:39], v[120:121] neg_lo:[0,1] neg_hi:[0,1]
	s_wait_dscnt 0x0
	v_pk_mul_f32 v[120:121], v[116:117], v[108:109] op_sel:[0,1]
	s_delay_alu instid0(VALU_DEP_1) | instskip(SKIP_1) | instid1(VALU_DEP_1)
	v_pk_fma_f32 v[122:123], v[116:117], v[106:107], v[120:121] op_sel:[0,0,1] op_sel_hi:[1,1,0] neg_lo:[0,0,1] neg_hi:[0,0,1]
	v_pk_fma_f32 v[116:117], v[116:117], v[106:107], v[120:121] op_sel:[0,0,1] op_sel_hi:[1,0,0]
	v_mov_b32_e32 v123, v117
	v_pk_mul_f32 v[116:117], v[118:119], v[108:109] op_sel:[0,1]
	s_delay_alu instid0(VALU_DEP_1) | instskip(SKIP_1) | instid1(VALU_DEP_1)
	v_pk_fma_f32 v[120:121], v[118:119], v[106:107], v[116:117] op_sel:[0,0,1] op_sel_hi:[1,1,0] neg_lo:[0,0,1] neg_hi:[0,0,1]
	v_pk_fma_f32 v[116:117], v[118:119], v[106:107], v[116:117] op_sel:[0,0,1] op_sel_hi:[1,0,0]
	v_mov_b32_e32 v121, v117
	ds_load_2addr_b64 v[116:119], v110 offset0:28 offset1:29
	v_pk_add_f32 v[42:43], v[42:43], v[122:123] neg_lo:[0,1] neg_hi:[0,1]
	v_pk_add_f32 v[36:37], v[36:37], v[120:121] neg_lo:[0,1] neg_hi:[0,1]
	s_wait_dscnt 0x0
	v_dual_mul_f32 v120, v117, v109 :: v_dual_mul_f32 v122, v117, v106
	s_delay_alu instid0(VALU_DEP_1) | instskip(NEXT) | instid1(VALU_DEP_2)
	v_pk_fma_f32 v[120:121], v[116:117], v[60:61], v[120:121] op_sel_hi:[1,1,0] neg_lo:[0,0,1] neg_hi:[0,0,1]
	v_pk_fma_f32 v[116:117], v[116:117], v[60:61], v[122:123] op_sel:[1,0,0] op_sel_hi:[0,1,0]
	s_delay_alu instid0(VALU_DEP_1) | instskip(SKIP_1) | instid1(VALU_DEP_2)
	v_mov_b32_e32 v121, v117
	v_pk_mul_f32 v[116:117], v[118:119], v[108:109] op_sel:[0,1]
	v_pk_add_f32 v[82:83], v[82:83], v[120:121] neg_lo:[0,1] neg_hi:[0,1]
	s_delay_alu instid0(VALU_DEP_2) | instskip(SKIP_1) | instid1(VALU_DEP_1)
	v_pk_fma_f32 v[120:121], v[118:119], v[106:107], v[116:117] op_sel:[0,0,1] op_sel_hi:[1,1,0] neg_lo:[0,0,1] neg_hi:[0,0,1]
	v_pk_fma_f32 v[116:117], v[118:119], v[106:107], v[116:117] op_sel:[0,0,1] op_sel_hi:[1,0,0]
	v_mov_b32_e32 v121, v117
	ds_load_2addr_b64 v[116:119], v110 offset0:30 offset1:31
	v_pk_add_f32 v[32:33], v[32:33], v[120:121] neg_lo:[0,1] neg_hi:[0,1]
	s_wait_dscnt 0x0
	v_pk_mul_f32 v[120:121], v[116:117], v[108:109] op_sel:[0,1]
	s_delay_alu instid0(VALU_DEP_1) | instskip(SKIP_1) | instid1(VALU_DEP_1)
	v_pk_fma_f32 v[122:123], v[116:117], v[106:107], v[120:121] op_sel:[0,0,1] op_sel_hi:[1,1,0] neg_lo:[0,0,1] neg_hi:[0,0,1]
	v_pk_fma_f32 v[116:117], v[116:117], v[106:107], v[120:121] op_sel:[0,0,1] op_sel_hi:[1,0,0]
	v_mov_b32_e32 v123, v117
	v_pk_mul_f32 v[116:117], v[118:119], v[108:109] op_sel:[0,1]
	s_delay_alu instid0(VALU_DEP_2) | instskip(NEXT) | instid1(VALU_DEP_2)
	v_pk_add_f32 v[34:35], v[34:35], v[122:123] neg_lo:[0,1] neg_hi:[0,1]
	v_pk_fma_f32 v[120:121], v[118:119], v[106:107], v[116:117] op_sel:[0,0,1] op_sel_hi:[1,1,0] neg_lo:[0,0,1] neg_hi:[0,0,1]
	v_pk_fma_f32 v[116:117], v[118:119], v[106:107], v[116:117] op_sel:[0,0,1] op_sel_hi:[1,0,0]
	s_delay_alu instid0(VALU_DEP_1) | instskip(SKIP_4) | instid1(VALU_DEP_1)
	v_mov_b32_e32 v121, v117
	ds_load_2addr_b64 v[116:119], v110 offset0:32 offset1:33
	v_pk_add_f32 v[30:31], v[30:31], v[120:121] neg_lo:[0,1] neg_hi:[0,1]
	s_wait_dscnt 0x0
	v_pk_mul_f32 v[120:121], v[116:117], v[108:109] op_sel:[0,1]
	v_pk_fma_f32 v[122:123], v[116:117], v[106:107], v[120:121] op_sel:[0,0,1] op_sel_hi:[1,1,0] neg_lo:[0,0,1] neg_hi:[0,0,1]
	v_pk_fma_f32 v[116:117], v[116:117], v[106:107], v[120:121] op_sel:[0,0,1] op_sel_hi:[1,0,0]
	v_dual_mul_f32 v120, v119, v109 :: v_dual_mov_b32 v116, v119
	s_delay_alu instid0(VALU_DEP_2) | instskip(NEXT) | instid1(VALU_DEP_2)
	v_dual_mov_b32 v123, v117 :: v_dual_mov_b32 v117, v118
	v_pk_fma_f32 v[120:121], v[118:119], v[60:61], v[120:121] op_sel_hi:[1,1,0] neg_lo:[0,0,1] neg_hi:[0,0,1]
	v_mul_f32_e32 v118, v119, v106
	s_delay_alu instid0(VALU_DEP_3) | instskip(NEXT) | instid1(VALU_DEP_2)
	v_pk_add_f32 v[80:81], v[80:81], v[122:123] neg_lo:[0,1] neg_hi:[0,1]
	v_pk_fma_f32 v[116:117], v[116:117], v[60:61], v[118:119] op_sel_hi:[1,1,0]
	s_delay_alu instid0(VALU_DEP_1) | instskip(SKIP_4) | instid1(VALU_DEP_1)
	v_mov_b32_e32 v121, v117
	ds_load_2addr_b64 v[116:119], v110 offset0:34 offset1:35
	v_pk_add_f32 v[24:25], v[24:25], v[120:121] neg_lo:[0,1] neg_hi:[0,1]
	s_wait_dscnt 0x0
	v_pk_mul_f32 v[120:121], v[116:117], v[108:109] op_sel:[0,1]
	v_pk_fma_f32 v[122:123], v[116:117], v[106:107], v[120:121] op_sel:[0,0,1] op_sel_hi:[1,1,0] neg_lo:[0,0,1] neg_hi:[0,0,1]
	v_pk_fma_f32 v[116:117], v[116:117], v[106:107], v[120:121] op_sel:[0,0,1] op_sel_hi:[1,0,0]
	s_delay_alu instid0(VALU_DEP_1) | instskip(SKIP_1) | instid1(VALU_DEP_1)
	v_mov_b32_e32 v123, v117
	v_pk_mul_f32 v[116:117], v[118:119], v[108:109] op_sel:[0,1]
	v_pk_fma_f32 v[120:121], v[118:119], v[106:107], v[116:117] op_sel:[0,0,1] op_sel_hi:[1,1,0] neg_lo:[0,0,1] neg_hi:[0,0,1]
	v_pk_fma_f32 v[116:117], v[118:119], v[106:107], v[116:117] op_sel:[0,0,1] op_sel_hi:[1,0,0]
	s_delay_alu instid0(VALU_DEP_1)
	v_mov_b32_e32 v121, v117
	ds_load_2addr_b64 v[116:119], v110 offset0:36 offset1:37
	v_pk_add_f32 v[26:27], v[26:27], v[122:123] neg_lo:[0,1] neg_hi:[0,1]
	v_pk_add_f32 v[22:23], v[22:23], v[120:121] neg_lo:[0,1] neg_hi:[0,1]
	s_wait_dscnt 0x0
	v_pk_mul_f32 v[120:121], v[116:117], v[108:109] op_sel:[0,1]
	s_delay_alu instid0(VALU_DEP_1) | instskip(SKIP_1) | instid1(VALU_DEP_1)
	v_pk_fma_f32 v[122:123], v[116:117], v[106:107], v[120:121] op_sel:[0,0,1] op_sel_hi:[1,1,0] neg_lo:[0,0,1] neg_hi:[0,0,1]
	v_pk_fma_f32 v[116:117], v[116:117], v[106:107], v[120:121] op_sel:[0,0,1] op_sel_hi:[1,0,0]
	v_mov_b32_e32 v123, v117
	v_pk_mul_f32 v[116:117], v[118:119], v[108:109] op_sel:[0,1]
	s_delay_alu instid0(VALU_DEP_1) | instskip(SKIP_1) | instid1(VALU_DEP_1)
	v_pk_fma_f32 v[120:121], v[118:119], v[106:107], v[116:117] op_sel:[0,0,1] op_sel_hi:[1,1,0] neg_lo:[0,0,1] neg_hi:[0,0,1]
	v_pk_fma_f32 v[116:117], v[118:119], v[106:107], v[116:117] op_sel:[0,0,1] op_sel_hi:[1,0,0]
	v_mov_b32_e32 v121, v117
	ds_load_2addr_b64 v[116:119], v110 offset0:38 offset1:39
	v_pk_add_f32 v[78:79], v[78:79], v[122:123] neg_lo:[0,1] neg_hi:[0,1]
	v_pk_add_f32 v[18:19], v[18:19], v[120:121] neg_lo:[0,1] neg_hi:[0,1]
	s_wait_dscnt 0x0
	v_dual_mul_f32 v120, v117, v109 :: v_dual_mul_f32 v122, v117, v106
	s_delay_alu instid0(VALU_DEP_1) | instskip(NEXT) | instid1(VALU_DEP_2)
	v_pk_fma_f32 v[120:121], v[116:117], v[60:61], v[120:121] op_sel_hi:[1,1,0] neg_lo:[0,0,1] neg_hi:[0,0,1]
	v_pk_fma_f32 v[116:117], v[116:117], v[60:61], v[122:123] op_sel:[1,0,0] op_sel_hi:[0,1,0]
	s_delay_alu instid0(VALU_DEP_1) | instskip(SKIP_1) | instid1(VALU_DEP_2)
	v_mov_b32_e32 v121, v117
	v_pk_mul_f32 v[116:117], v[118:119], v[108:109] op_sel:[0,1]
	v_pk_add_f32 v[20:21], v[20:21], v[120:121] neg_lo:[0,1] neg_hi:[0,1]
	s_delay_alu instid0(VALU_DEP_2) | instskip(SKIP_1) | instid1(VALU_DEP_1)
	v_pk_fma_f32 v[120:121], v[118:119], v[106:107], v[116:117] op_sel:[0,0,1] op_sel_hi:[1,1,0] neg_lo:[0,0,1] neg_hi:[0,0,1]
	v_pk_fma_f32 v[116:117], v[118:119], v[106:107], v[116:117] op_sel:[0,0,1] op_sel_hi:[1,0,0]
	v_mov_b32_e32 v121, v117
	ds_load_2addr_b64 v[116:119], v110 offset0:40 offset1:41
	v_pk_add_f32 v[16:17], v[16:17], v[120:121] neg_lo:[0,1] neg_hi:[0,1]
	s_wait_dscnt 0x0
	v_pk_mul_f32 v[120:121], v[116:117], v[108:109] op_sel:[0,1]
	s_delay_alu instid0(VALU_DEP_1) | instskip(SKIP_1) | instid1(VALU_DEP_1)
	v_pk_fma_f32 v[122:123], v[116:117], v[106:107], v[120:121] op_sel:[0,0,1] op_sel_hi:[1,1,0] neg_lo:[0,0,1] neg_hi:[0,0,1]
	v_pk_fma_f32 v[116:117], v[116:117], v[106:107], v[120:121] op_sel:[0,0,1] op_sel_hi:[1,0,0]
	v_mov_b32_e32 v123, v117
	v_pk_mul_f32 v[116:117], v[118:119], v[108:109] op_sel:[0,1]
	s_delay_alu instid0(VALU_DEP_2) | instskip(NEXT) | instid1(VALU_DEP_2)
	v_pk_add_f32 v[76:77], v[76:77], v[122:123] neg_lo:[0,1] neg_hi:[0,1]
	v_pk_fma_f32 v[120:121], v[118:119], v[106:107], v[116:117] op_sel:[0,0,1] op_sel_hi:[1,1,0] neg_lo:[0,0,1] neg_hi:[0,0,1]
	v_pk_fma_f32 v[116:117], v[118:119], v[106:107], v[116:117] op_sel:[0,0,1] op_sel_hi:[1,0,0]
	s_delay_alu instid0(VALU_DEP_1) | instskip(SKIP_4) | instid1(VALU_DEP_1)
	v_mov_b32_e32 v121, v117
	ds_load_2addr_b64 v[116:119], v110 offset0:42 offset1:43
	v_pk_add_f32 v[10:11], v[10:11], v[120:121] neg_lo:[0,1] neg_hi:[0,1]
	s_wait_dscnt 0x0
	v_pk_mul_f32 v[120:121], v[116:117], v[108:109] op_sel:[0,1]
	v_pk_fma_f32 v[122:123], v[116:117], v[106:107], v[120:121] op_sel:[0,0,1] op_sel_hi:[1,1,0] neg_lo:[0,0,1] neg_hi:[0,0,1]
	v_pk_fma_f32 v[116:117], v[116:117], v[106:107], v[120:121] op_sel:[0,0,1] op_sel_hi:[1,0,0]
	v_dual_mul_f32 v120, v119, v109 :: v_dual_mov_b32 v116, v119
	s_delay_alu instid0(VALU_DEP_2) | instskip(NEXT) | instid1(VALU_DEP_2)
	v_dual_mov_b32 v123, v117 :: v_dual_mov_b32 v117, v118
	v_pk_fma_f32 v[120:121], v[118:119], v[60:61], v[120:121] op_sel_hi:[1,1,0] neg_lo:[0,0,1] neg_hi:[0,0,1]
	v_mul_f32_e32 v118, v119, v106
	s_delay_alu instid0(VALU_DEP_3) | instskip(NEXT) | instid1(VALU_DEP_2)
	v_pk_add_f32 v[12:13], v[12:13], v[122:123] neg_lo:[0,1] neg_hi:[0,1]
	v_pk_fma_f32 v[116:117], v[116:117], v[60:61], v[118:119] op_sel_hi:[1,1,0]
	s_delay_alu instid0(VALU_DEP_1) | instskip(SKIP_4) | instid1(VALU_DEP_1)
	v_mov_b32_e32 v121, v117
	ds_load_2addr_b64 v[116:119], v110 offset0:44 offset1:45
	v_pk_add_f32 v[8:9], v[8:9], v[120:121] neg_lo:[0,1] neg_hi:[0,1]
	s_wait_dscnt 0x0
	v_pk_mul_f32 v[120:121], v[116:117], v[108:109] op_sel:[0,1]
	v_pk_fma_f32 v[122:123], v[116:117], v[106:107], v[120:121] op_sel:[0,0,1] op_sel_hi:[1,1,0] neg_lo:[0,0,1] neg_hi:[0,0,1]
	v_pk_fma_f32 v[116:117], v[116:117], v[106:107], v[120:121] op_sel:[0,0,1] op_sel_hi:[1,0,0]
	s_delay_alu instid0(VALU_DEP_1) | instskip(SKIP_1) | instid1(VALU_DEP_1)
	v_mov_b32_e32 v123, v117
	v_pk_mul_f32 v[116:117], v[118:119], v[108:109] op_sel:[0,1]
	v_pk_fma_f32 v[120:121], v[118:119], v[106:107], v[116:117] op_sel:[0,0,1] op_sel_hi:[1,1,0] neg_lo:[0,0,1] neg_hi:[0,0,1]
	v_pk_fma_f32 v[116:117], v[118:119], v[106:107], v[116:117] op_sel:[0,0,1] op_sel_hi:[1,0,0]
	s_delay_alu instid0(VALU_DEP_1)
	v_mov_b32_e32 v121, v117
	ds_load_2addr_b64 v[116:119], v110 offset0:46 offset1:47
	v_pk_add_f32 v[70:71], v[70:71], v[122:123] neg_lo:[0,1] neg_hi:[0,1]
	v_pk_add_f32 v[6:7], v[6:7], v[120:121] neg_lo:[0,1] neg_hi:[0,1]
	s_wait_dscnt 0x0
	v_pk_mul_f32 v[120:121], v[116:117], v[108:109] op_sel:[0,1]
	s_delay_alu instid0(VALU_DEP_1) | instskip(SKIP_1) | instid1(VALU_DEP_1)
	v_pk_fma_f32 v[122:123], v[116:117], v[106:107], v[120:121] op_sel:[0,0,1] op_sel_hi:[1,1,0] neg_lo:[0,0,1] neg_hi:[0,0,1]
	v_pk_fma_f32 v[116:117], v[116:117], v[106:107], v[120:121] op_sel:[0,0,1] op_sel_hi:[1,0,0]
	v_mov_b32_e32 v123, v117
	v_pk_mul_f32 v[116:117], v[118:119], v[108:109] op_sel:[0,1]
	s_delay_alu instid0(VALU_DEP_1) | instskip(SKIP_1) | instid1(VALU_DEP_1)
	v_pk_fma_f32 v[120:121], v[118:119], v[106:107], v[116:117] op_sel:[0,0,1] op_sel_hi:[1,1,0] neg_lo:[0,0,1] neg_hi:[0,0,1]
	v_pk_fma_f32 v[116:117], v[118:119], v[106:107], v[116:117] op_sel:[0,0,1] op_sel_hi:[1,0,0]
	v_mov_b32_e32 v121, v117
	ds_load_2addr_b64 v[116:119], v110 offset0:48 offset1:49
	v_pk_add_f32 v[46:47], v[46:47], v[122:123] neg_lo:[0,1] neg_hi:[0,1]
	v_pk_add_f32 v[28:29], v[28:29], v[120:121] neg_lo:[0,1] neg_hi:[0,1]
	s_wait_dscnt 0x0
	v_mul_f32_e32 v108, v117, v109
	s_delay_alu instid0(VALU_DEP_1) | instskip(SKIP_1) | instid1(VALU_DEP_1)
	v_pk_fma_f32 v[120:121], v[116:117], v[60:61], v[108:109] op_sel_hi:[1,1,0] neg_lo:[0,0,1] neg_hi:[0,0,1]
	v_dual_mul_f32 v108, v117, v106 :: v_dual_mul_f32 v106, v119, v106
	v_pk_fma_f32 v[116:117], v[116:117], v[60:61], v[108:109] op_sel:[1,0,0] op_sel_hi:[0,1,0]
	v_dual_mov_b32 v116, v119 :: v_dual_mul_f32 v108, v119, v109
	s_delay_alu instid0(VALU_DEP_2) | instskip(NEXT) | instid1(VALU_DEP_2)
	v_dual_mov_b32 v121, v117 :: v_dual_mov_b32 v117, v118
	v_pk_fma_f32 v[108:109], v[118:119], v[60:61], v[108:109] op_sel_hi:[1,1,0] neg_lo:[0,0,1] neg_hi:[0,0,1]
	s_delay_alu instid0(VALU_DEP_2) | instskip(NEXT) | instid1(VALU_DEP_3)
	v_pk_add_f32 v[14:15], v[14:15], v[120:121] neg_lo:[0,1] neg_hi:[0,1]
	v_pk_fma_f32 v[106:107], v[116:117], v[60:61], v[106:107] op_sel_hi:[1,1,0]
	s_delay_alu instid0(VALU_DEP_1) | instskip(NEXT) | instid1(VALU_DEP_1)
	v_mov_b32_e32 v109, v107
	v_pk_add_f32 v[104:105], v[104:105], v[108:109] neg_lo:[0,1] neg_hi:[0,1]
.LBB98_419:
	s_or_b32 exec_lo, exec_lo, s0
	v_lshl_add_u32 v106, v114, 3, v110
	s_barrier_signal -1
	s_barrier_wait -1
	ds_store_b64 v106, v[90:91]
	s_wait_dscnt 0x0
	s_barrier_signal -1
	s_barrier_wait -1
	ds_load_b64 v[108:109], v110 offset:160
	v_mov_b32_e32 v106, 20
	s_cmp_lt_i32 s18, 22
	s_cbranch_scc1 .LBB98_422
; %bb.420:
	v_add3_u32 v107, v111, 0, 0xa8
	v_mov_b32_e32 v106, 20
	s_mov_b32 s0, 21
.LBB98_421:                             ; =>This Inner Loop Header: Depth=1
	ds_load_b64 v[116:117], v107
	s_wait_dscnt 0x1
	v_cmp_gt_f32_e32 vcc_lo, 0, v108
	v_cndmask_b32_e64 v118, v108, -v108, vcc_lo
	v_cmp_gt_f32_e32 vcc_lo, 0, v109
	v_cndmask_b32_e64 v120, v109, -v109, vcc_lo
	s_wait_dscnt 0x0
	v_cmp_gt_f32_e32 vcc_lo, 0, v116
	v_cndmask_b32_e64 v119, v116, -v116, vcc_lo
	v_cmp_gt_f32_e32 vcc_lo, 0, v117
	v_cndmask_b32_e64 v121, v117, -v117, vcc_lo
	s_delay_alu instid0(VALU_DEP_1) | instskip(NEXT) | instid1(VALU_DEP_1)
	v_pk_add_f32 v[118:119], v[118:119], v[120:121]
	v_cmp_lt_f32_e32 vcc_lo, v118, v119
	v_dual_add_nc_u32 v107, 8, v107 :: v_dual_cndmask_b32 v109, v109, v117, vcc_lo
	v_cndmask_b32_e32 v108, v108, v116, vcc_lo
	v_cndmask_b32_e64 v106, v106, s0, vcc_lo
	s_add_co_i32 s0, s0, 1
	s_delay_alu instid0(SALU_CYCLE_1)
	s_cmp_lg_u32 s18, s0
	s_cbranch_scc1 .LBB98_421
.LBB98_422:
	s_wait_dscnt 0x0
	v_cmp_eq_f32_e32 vcc_lo, 0, v108
	v_cmp_eq_f32_e64 s0, 0, v109
	s_and_b32 s0, vcc_lo, s0
	s_delay_alu instid0(SALU_CYCLE_1) | instskip(NEXT) | instid1(SALU_CYCLE_1)
	s_and_saveexec_b32 s1, s0
	s_xor_b32 s0, exec_lo, s1
; %bb.423:
	v_cmp_ne_u32_e32 vcc_lo, 0, v112
	v_cndmask_b32_e32 v112, 21, v112, vcc_lo
; %bb.424:
	s_and_not1_saveexec_b32 s0, s0
	s_cbranch_execz .LBB98_430
; %bb.425:
	v_cmp_ngt_f32_e64 s1, |v108|, |v109|
	s_and_saveexec_b32 s12, s1
	s_delay_alu instid0(SALU_CYCLE_1)
	s_xor_b32 s1, exec_lo, s12
	s_cbranch_execz .LBB98_427
; %bb.426:
	v_div_scale_f32 v107, null, v109, v109, v108
	v_div_scale_f32 v117, vcc_lo, v108, v109, v108
	s_delay_alu instid0(VALU_DEP_2) | instskip(SKIP_1) | instid1(TRANS32_DEP_1)
	v_rcp_f32_e32 v115, v107
	v_nop
	v_fma_f32 v116, -v107, v115, 1.0
	s_delay_alu instid0(VALU_DEP_1) | instskip(NEXT) | instid1(VALU_DEP_1)
	v_fmac_f32_e32 v115, v116, v115
	v_mul_f32_e32 v116, v117, v115
	s_delay_alu instid0(VALU_DEP_1) | instskip(NEXT) | instid1(VALU_DEP_1)
	v_fma_f32 v118, -v107, v116, v117
	v_fmac_f32_e32 v116, v118, v115
	s_delay_alu instid0(VALU_DEP_1) | instskip(NEXT) | instid1(VALU_DEP_1)
	v_fma_f32 v107, -v107, v116, v117
	v_div_fmas_f32 v107, v107, v115, v116
	s_delay_alu instid0(VALU_DEP_1) | instskip(NEXT) | instid1(VALU_DEP_1)
	v_div_fixup_f32 v107, v107, v109, v108
	v_fmac_f32_e32 v109, v108, v107
	s_delay_alu instid0(VALU_DEP_1) | instskip(SKIP_1) | instid1(VALU_DEP_2)
	v_div_scale_f32 v108, null, v109, v109, 1.0
	v_div_scale_f32 v117, vcc_lo, 1.0, v109, 1.0
	v_rcp_f32_e32 v115, v108
	v_nop
	s_delay_alu instid0(TRANS32_DEP_1) | instskip(NEXT) | instid1(VALU_DEP_1)
	v_fma_f32 v116, -v108, v115, 1.0
	v_fmac_f32_e32 v115, v116, v115
	s_delay_alu instid0(VALU_DEP_1) | instskip(NEXT) | instid1(VALU_DEP_1)
	v_mul_f32_e32 v116, v117, v115
	v_fma_f32 v118, -v108, v116, v117
	s_delay_alu instid0(VALU_DEP_1) | instskip(NEXT) | instid1(VALU_DEP_1)
	v_fmac_f32_e32 v116, v118, v115
	v_fma_f32 v108, -v108, v116, v117
	s_delay_alu instid0(VALU_DEP_1) | instskip(NEXT) | instid1(VALU_DEP_1)
	v_div_fmas_f32 v108, v108, v115, v116
	v_div_fixup_f32 v109, v108, v109, 1.0
	s_delay_alu instid0(VALU_DEP_1)
	v_mul_f32_e32 v108, v107, v109
	v_xor_b32_e32 v109, 0x80000000, v109
.LBB98_427:
	s_and_not1_saveexec_b32 s1, s1
	s_cbranch_execz .LBB98_429
; %bb.428:
	s_delay_alu instid0(VALU_DEP_1) | instskip(SKIP_1) | instid1(VALU_DEP_2)
	v_div_scale_f32 v107, null, v108, v108, v109
	v_div_scale_f32 v117, vcc_lo, v109, v108, v109
	v_rcp_f32_e32 v115, v107
	v_nop
	s_delay_alu instid0(TRANS32_DEP_1) | instskip(NEXT) | instid1(VALU_DEP_1)
	v_fma_f32 v116, -v107, v115, 1.0
	v_fmac_f32_e32 v115, v116, v115
	s_delay_alu instid0(VALU_DEP_1) | instskip(NEXT) | instid1(VALU_DEP_1)
	v_mul_f32_e32 v116, v117, v115
	v_fma_f32 v118, -v107, v116, v117
	s_delay_alu instid0(VALU_DEP_1) | instskip(NEXT) | instid1(VALU_DEP_1)
	v_fmac_f32_e32 v116, v118, v115
	v_fma_f32 v107, -v107, v116, v117
	s_delay_alu instid0(VALU_DEP_1) | instskip(NEXT) | instid1(VALU_DEP_1)
	v_div_fmas_f32 v107, v107, v115, v116
	v_div_fixup_f32 v107, v107, v108, v109
	s_delay_alu instid0(VALU_DEP_1) | instskip(NEXT) | instid1(VALU_DEP_1)
	v_fmac_f32_e32 v108, v109, v107
	v_div_scale_f32 v109, null, v108, v108, 1.0
	s_delay_alu instid0(VALU_DEP_1) | instskip(SKIP_1) | instid1(TRANS32_DEP_1)
	v_rcp_f32_e32 v115, v109
	v_nop
	v_fma_f32 v116, -v109, v115, 1.0
	s_delay_alu instid0(VALU_DEP_1) | instskip(SKIP_1) | instid1(VALU_DEP_1)
	v_fmac_f32_e32 v115, v116, v115
	v_div_scale_f32 v116, vcc_lo, 1.0, v108, 1.0
	v_mul_f32_e32 v117, v116, v115
	s_delay_alu instid0(VALU_DEP_1) | instskip(NEXT) | instid1(VALU_DEP_1)
	v_fma_f32 v118, -v109, v117, v116
	v_fmac_f32_e32 v117, v118, v115
	s_delay_alu instid0(VALU_DEP_1) | instskip(NEXT) | instid1(VALU_DEP_1)
	v_fma_f32 v109, -v109, v117, v116
	v_div_fmas_f32 v109, v109, v115, v117
	s_delay_alu instid0(VALU_DEP_1) | instskip(NEXT) | instid1(VALU_DEP_1)
	v_div_fixup_f32 v108, v109, v108, 1.0
	v_mul_f32_e64 v109, v107, -v108
.LBB98_429:
	s_or_b32 exec_lo, exec_lo, s1
.LBB98_430:
	s_delay_alu instid0(SALU_CYCLE_1) | instskip(NEXT) | instid1(SALU_CYCLE_1)
	s_or_b32 exec_lo, exec_lo, s0
	s_mov_b32 s0, exec_lo
	v_cmpx_ne_u32_e64 v114, v106
	s_xor_b32 s0, exec_lo, s0
	s_cbranch_execz .LBB98_436
; %bb.431:
	s_mov_b32 s1, exec_lo
	v_cmpx_eq_u32_e32 20, v114
	s_cbranch_execz .LBB98_435
; %bb.432:
	v_cmp_ne_u32_e32 vcc_lo, 20, v106
	s_xor_b32 s12, s16, -1
	s_delay_alu instid0(SALU_CYCLE_1) | instskip(NEXT) | instid1(SALU_CYCLE_1)
	s_and_b32 s13, s12, vcc_lo
	s_and_saveexec_b32 s12, s13
	s_cbranch_execz .LBB98_434
; %bb.433:
	v_ashrrev_i32_e32 v107, 31, v106
	s_delay_alu instid0(VALU_DEP_1)
	v_lshl_add_u64 v[114:115], v[106:107], 2, v[4:5]
	s_clause 0x1
	global_load_b32 v107, v[114:115], off
	global_load_b32 v113, v[4:5], off offset:80
	s_wait_loadcnt 0x1
	global_store_b32 v[4:5], v107, off offset:80
	s_wait_loadcnt 0x0
	global_store_b32 v[114:115], v113, off
.LBB98_434:
	s_wait_xcnt 0x0
	s_or_b32 exec_lo, exec_lo, s12
	v_dual_mov_b32 v114, v106 :: v_dual_mov_b32 v113, v106
.LBB98_435:
	s_or_b32 exec_lo, exec_lo, s1
.LBB98_436:
	s_and_not1_saveexec_b32 s0, s0
	s_cbranch_execz .LBB98_438
; %bb.437:
	v_mov_b32_e32 v114, 20
	ds_store_2addr_b64 v110, v[56:57], v[58:59] offset0:21 offset1:22
	ds_store_2addr_b64 v110, v[54:55], v[86:87] offset0:23 offset1:24
	;; [unrolled: 1-line block ×14, first 2 shown]
	ds_store_b64 v110, v[104:105] offset:392
.LBB98_438:
	s_or_b32 exec_lo, exec_lo, s0
	s_delay_alu instid0(SALU_CYCLE_1)
	s_mov_b32 s0, exec_lo
	s_wait_storecnt_dscnt 0x0
	s_barrier_signal -1
	s_barrier_wait -1
	v_cmpx_lt_i32_e32 20, v114
	s_cbranch_execz .LBB98_440
; %bb.439:
	v_pk_mul_f32 v[116:117], v[108:109], v[90:91] op_sel:[1,1] op_sel_hi:[0,1]
	s_delay_alu instid0(VALU_DEP_1)
	v_pk_fma_f32 v[106:107], v[108:109], v[90:91], v[116:117] op_sel_hi:[1,0,1] neg_lo:[0,0,1] neg_hi:[0,0,1]
	v_pk_fma_f32 v[108:109], v[108:109], v[90:91], v[116:117] op_sel_hi:[1,0,1]
	ds_load_2addr_b64 v[116:119], v110 offset0:21 offset1:22
	v_dual_mov_b32 v90, v106 :: v_dual_mov_b32 v91, v109
	s_wait_dscnt 0x0
	v_pk_mul_f32 v[120:121], v[116:117], v[108:109] op_sel:[0,1]
	s_delay_alu instid0(VALU_DEP_1) | instskip(SKIP_1) | instid1(VALU_DEP_1)
	v_pk_fma_f32 v[122:123], v[116:117], v[106:107], v[120:121] op_sel:[0,0,1] op_sel_hi:[1,1,0] neg_lo:[0,0,1] neg_hi:[0,0,1]
	v_pk_fma_f32 v[116:117], v[116:117], v[106:107], v[120:121] op_sel:[0,0,1] op_sel_hi:[1,0,0]
	v_mov_b32_e32 v123, v117
	v_pk_mul_f32 v[116:117], v[118:119], v[108:109] op_sel:[0,1]
	s_delay_alu instid0(VALU_DEP_1) | instskip(SKIP_1) | instid1(VALU_DEP_1)
	v_pk_fma_f32 v[120:121], v[118:119], v[106:107], v[116:117] op_sel:[0,0,1] op_sel_hi:[1,1,0] neg_lo:[0,0,1] neg_hi:[0,0,1]
	v_pk_fma_f32 v[116:117], v[118:119], v[106:107], v[116:117] op_sel:[0,0,1] op_sel_hi:[1,0,0]
	v_mov_b32_e32 v121, v117
	ds_load_2addr_b64 v[116:119], v110 offset0:23 offset1:24
	v_pk_add_f32 v[56:57], v[56:57], v[122:123] neg_lo:[0,1] neg_hi:[0,1]
	v_pk_add_f32 v[58:59], v[58:59], v[120:121] neg_lo:[0,1] neg_hi:[0,1]
	s_wait_dscnt 0x0
	v_pk_mul_f32 v[120:121], v[116:117], v[108:109] op_sel:[0,1]
	s_delay_alu instid0(VALU_DEP_1) | instskip(SKIP_2) | instid1(VALU_DEP_2)
	v_pk_fma_f32 v[122:123], v[116:117], v[106:107], v[120:121] op_sel:[0,0,1] op_sel_hi:[1,1,0] neg_lo:[0,0,1] neg_hi:[0,0,1]
	v_pk_fma_f32 v[116:117], v[116:117], v[106:107], v[120:121] op_sel:[0,0,1] op_sel_hi:[1,0,0]
	v_dual_mul_f32 v120, v119, v109 :: v_dual_mov_b32 v116, v119
	v_dual_mov_b32 v123, v117 :: v_dual_mov_b32 v117, v118
	s_delay_alu instid0(VALU_DEP_2) | instskip(SKIP_1) | instid1(VALU_DEP_3)
	v_pk_fma_f32 v[120:121], v[118:119], v[90:91], v[120:121] op_sel_hi:[1,1,0] neg_lo:[0,0,1] neg_hi:[0,0,1]
	v_mul_f32_e32 v118, v119, v106
	v_pk_add_f32 v[54:55], v[54:55], v[122:123] neg_lo:[0,1] neg_hi:[0,1]
	s_delay_alu instid0(VALU_DEP_2) | instskip(NEXT) | instid1(VALU_DEP_1)
	v_pk_fma_f32 v[116:117], v[116:117], v[90:91], v[118:119] op_sel_hi:[1,1,0]
	v_mov_b32_e32 v121, v117
	ds_load_2addr_b64 v[116:119], v110 offset0:25 offset1:26
	v_pk_add_f32 v[86:87], v[86:87], v[120:121] neg_lo:[0,1] neg_hi:[0,1]
	s_wait_dscnt 0x0
	v_pk_mul_f32 v[120:121], v[116:117], v[108:109] op_sel:[0,1]
	s_delay_alu instid0(VALU_DEP_1) | instskip(SKIP_1) | instid1(VALU_DEP_1)
	v_pk_fma_f32 v[122:123], v[116:117], v[106:107], v[120:121] op_sel:[0,0,1] op_sel_hi:[1,1,0] neg_lo:[0,0,1] neg_hi:[0,0,1]
	v_pk_fma_f32 v[116:117], v[116:117], v[106:107], v[120:121] op_sel:[0,0,1] op_sel_hi:[1,0,0]
	v_mov_b32_e32 v123, v117
	v_pk_mul_f32 v[116:117], v[118:119], v[108:109] op_sel:[0,1]
	s_delay_alu instid0(VALU_DEP_1) | instskip(SKIP_1) | instid1(VALU_DEP_1)
	v_pk_fma_f32 v[120:121], v[118:119], v[106:107], v[116:117] op_sel:[0,0,1] op_sel_hi:[1,1,0] neg_lo:[0,0,1] neg_hi:[0,0,1]
	v_pk_fma_f32 v[116:117], v[118:119], v[106:107], v[116:117] op_sel:[0,0,1] op_sel_hi:[1,0,0]
	v_mov_b32_e32 v121, v117
	ds_load_2addr_b64 v[116:119], v110 offset0:27 offset1:28
	v_pk_add_f32 v[38:39], v[38:39], v[122:123] neg_lo:[0,1] neg_hi:[0,1]
	v_pk_add_f32 v[42:43], v[42:43], v[120:121] neg_lo:[0,1] neg_hi:[0,1]
	s_wait_dscnt 0x0
	v_pk_mul_f32 v[120:121], v[116:117], v[108:109] op_sel:[0,1]
	s_delay_alu instid0(VALU_DEP_1) | instskip(SKIP_1) | instid1(VALU_DEP_1)
	v_pk_fma_f32 v[122:123], v[116:117], v[106:107], v[120:121] op_sel:[0,0,1] op_sel_hi:[1,1,0] neg_lo:[0,0,1] neg_hi:[0,0,1]
	v_pk_fma_f32 v[116:117], v[116:117], v[106:107], v[120:121] op_sel:[0,0,1] op_sel_hi:[1,0,0]
	v_mov_b32_e32 v123, v117
	v_pk_mul_f32 v[116:117], v[118:119], v[108:109] op_sel:[0,1]
	s_delay_alu instid0(VALU_DEP_1) | instskip(SKIP_1) | instid1(VALU_DEP_1)
	v_pk_fma_f32 v[120:121], v[118:119], v[106:107], v[116:117] op_sel:[0,0,1] op_sel_hi:[1,1,0] neg_lo:[0,0,1] neg_hi:[0,0,1]
	v_pk_fma_f32 v[116:117], v[118:119], v[106:107], v[116:117] op_sel:[0,0,1] op_sel_hi:[1,0,0]
	v_mov_b32_e32 v121, v117
	ds_load_2addr_b64 v[116:119], v110 offset0:29 offset1:30
	v_pk_add_f32 v[36:37], v[36:37], v[122:123] neg_lo:[0,1] neg_hi:[0,1]
	v_pk_add_f32 v[82:83], v[82:83], v[120:121] neg_lo:[0,1] neg_hi:[0,1]
	s_wait_dscnt 0x0
	v_dual_mul_f32 v120, v117, v109 :: v_dual_mul_f32 v122, v117, v106
	s_delay_alu instid0(VALU_DEP_1) | instskip(NEXT) | instid1(VALU_DEP_2)
	v_pk_fma_f32 v[120:121], v[116:117], v[90:91], v[120:121] op_sel_hi:[1,1,0] neg_lo:[0,0,1] neg_hi:[0,0,1]
	v_pk_fma_f32 v[116:117], v[116:117], v[90:91], v[122:123] op_sel:[1,0,0] op_sel_hi:[0,1,0]
	s_delay_alu instid0(VALU_DEP_1) | instskip(SKIP_1) | instid1(VALU_DEP_2)
	v_mov_b32_e32 v121, v117
	v_pk_mul_f32 v[116:117], v[118:119], v[108:109] op_sel:[0,1]
	v_pk_add_f32 v[32:33], v[32:33], v[120:121] neg_lo:[0,1] neg_hi:[0,1]
	s_delay_alu instid0(VALU_DEP_2) | instskip(SKIP_1) | instid1(VALU_DEP_1)
	v_pk_fma_f32 v[120:121], v[118:119], v[106:107], v[116:117] op_sel:[0,0,1] op_sel_hi:[1,1,0] neg_lo:[0,0,1] neg_hi:[0,0,1]
	v_pk_fma_f32 v[116:117], v[118:119], v[106:107], v[116:117] op_sel:[0,0,1] op_sel_hi:[1,0,0]
	v_mov_b32_e32 v121, v117
	ds_load_2addr_b64 v[116:119], v110 offset0:31 offset1:32
	v_pk_add_f32 v[34:35], v[34:35], v[120:121] neg_lo:[0,1] neg_hi:[0,1]
	s_wait_dscnt 0x0
	v_pk_mul_f32 v[120:121], v[116:117], v[108:109] op_sel:[0,1]
	s_delay_alu instid0(VALU_DEP_1) | instskip(SKIP_1) | instid1(VALU_DEP_1)
	v_pk_fma_f32 v[122:123], v[116:117], v[106:107], v[120:121] op_sel:[0,0,1] op_sel_hi:[1,1,0] neg_lo:[0,0,1] neg_hi:[0,0,1]
	v_pk_fma_f32 v[116:117], v[116:117], v[106:107], v[120:121] op_sel:[0,0,1] op_sel_hi:[1,0,0]
	v_mov_b32_e32 v123, v117
	v_pk_mul_f32 v[116:117], v[118:119], v[108:109] op_sel:[0,1]
	s_delay_alu instid0(VALU_DEP_2) | instskip(NEXT) | instid1(VALU_DEP_2)
	v_pk_add_f32 v[30:31], v[30:31], v[122:123] neg_lo:[0,1] neg_hi:[0,1]
	v_pk_fma_f32 v[120:121], v[118:119], v[106:107], v[116:117] op_sel:[0,0,1] op_sel_hi:[1,1,0] neg_lo:[0,0,1] neg_hi:[0,0,1]
	v_pk_fma_f32 v[116:117], v[118:119], v[106:107], v[116:117] op_sel:[0,0,1] op_sel_hi:[1,0,0]
	s_delay_alu instid0(VALU_DEP_1) | instskip(SKIP_4) | instid1(VALU_DEP_1)
	v_mov_b32_e32 v121, v117
	ds_load_2addr_b64 v[116:119], v110 offset0:33 offset1:34
	v_pk_add_f32 v[80:81], v[80:81], v[120:121] neg_lo:[0,1] neg_hi:[0,1]
	s_wait_dscnt 0x0
	v_pk_mul_f32 v[120:121], v[116:117], v[108:109] op_sel:[0,1]
	v_pk_fma_f32 v[122:123], v[116:117], v[106:107], v[120:121] op_sel:[0,0,1] op_sel_hi:[1,1,0] neg_lo:[0,0,1] neg_hi:[0,0,1]
	v_pk_fma_f32 v[116:117], v[116:117], v[106:107], v[120:121] op_sel:[0,0,1] op_sel_hi:[1,0,0]
	v_dual_mul_f32 v120, v119, v109 :: v_dual_mov_b32 v116, v119
	s_delay_alu instid0(VALU_DEP_2) | instskip(NEXT) | instid1(VALU_DEP_2)
	v_dual_mov_b32 v123, v117 :: v_dual_mov_b32 v117, v118
	v_pk_fma_f32 v[120:121], v[118:119], v[90:91], v[120:121] op_sel_hi:[1,1,0] neg_lo:[0,0,1] neg_hi:[0,0,1]
	v_mul_f32_e32 v118, v119, v106
	s_delay_alu instid0(VALU_DEP_3) | instskip(NEXT) | instid1(VALU_DEP_2)
	v_pk_add_f32 v[24:25], v[24:25], v[122:123] neg_lo:[0,1] neg_hi:[0,1]
	v_pk_fma_f32 v[116:117], v[116:117], v[90:91], v[118:119] op_sel_hi:[1,1,0]
	s_delay_alu instid0(VALU_DEP_1) | instskip(SKIP_4) | instid1(VALU_DEP_1)
	v_mov_b32_e32 v121, v117
	ds_load_2addr_b64 v[116:119], v110 offset0:35 offset1:36
	v_pk_add_f32 v[26:27], v[26:27], v[120:121] neg_lo:[0,1] neg_hi:[0,1]
	s_wait_dscnt 0x0
	v_pk_mul_f32 v[120:121], v[116:117], v[108:109] op_sel:[0,1]
	v_pk_fma_f32 v[122:123], v[116:117], v[106:107], v[120:121] op_sel:[0,0,1] op_sel_hi:[1,1,0] neg_lo:[0,0,1] neg_hi:[0,0,1]
	v_pk_fma_f32 v[116:117], v[116:117], v[106:107], v[120:121] op_sel:[0,0,1] op_sel_hi:[1,0,0]
	s_delay_alu instid0(VALU_DEP_1) | instskip(SKIP_1) | instid1(VALU_DEP_1)
	v_mov_b32_e32 v123, v117
	v_pk_mul_f32 v[116:117], v[118:119], v[108:109] op_sel:[0,1]
	v_pk_fma_f32 v[120:121], v[118:119], v[106:107], v[116:117] op_sel:[0,0,1] op_sel_hi:[1,1,0] neg_lo:[0,0,1] neg_hi:[0,0,1]
	v_pk_fma_f32 v[116:117], v[118:119], v[106:107], v[116:117] op_sel:[0,0,1] op_sel_hi:[1,0,0]
	s_delay_alu instid0(VALU_DEP_1)
	v_mov_b32_e32 v121, v117
	ds_load_2addr_b64 v[116:119], v110 offset0:37 offset1:38
	v_pk_add_f32 v[22:23], v[22:23], v[122:123] neg_lo:[0,1] neg_hi:[0,1]
	v_pk_add_f32 v[78:79], v[78:79], v[120:121] neg_lo:[0,1] neg_hi:[0,1]
	s_wait_dscnt 0x0
	v_pk_mul_f32 v[120:121], v[116:117], v[108:109] op_sel:[0,1]
	s_delay_alu instid0(VALU_DEP_1) | instskip(SKIP_1) | instid1(VALU_DEP_1)
	v_pk_fma_f32 v[122:123], v[116:117], v[106:107], v[120:121] op_sel:[0,0,1] op_sel_hi:[1,1,0] neg_lo:[0,0,1] neg_hi:[0,0,1]
	v_pk_fma_f32 v[116:117], v[116:117], v[106:107], v[120:121] op_sel:[0,0,1] op_sel_hi:[1,0,0]
	v_mov_b32_e32 v123, v117
	v_pk_mul_f32 v[116:117], v[118:119], v[108:109] op_sel:[0,1]
	s_delay_alu instid0(VALU_DEP_1) | instskip(SKIP_1) | instid1(VALU_DEP_1)
	v_pk_fma_f32 v[120:121], v[118:119], v[106:107], v[116:117] op_sel:[0,0,1] op_sel_hi:[1,1,0] neg_lo:[0,0,1] neg_hi:[0,0,1]
	v_pk_fma_f32 v[116:117], v[118:119], v[106:107], v[116:117] op_sel:[0,0,1] op_sel_hi:[1,0,0]
	v_mov_b32_e32 v121, v117
	ds_load_2addr_b64 v[116:119], v110 offset0:39 offset1:40
	v_pk_add_f32 v[18:19], v[18:19], v[122:123] neg_lo:[0,1] neg_hi:[0,1]
	v_pk_add_f32 v[20:21], v[20:21], v[120:121] neg_lo:[0,1] neg_hi:[0,1]
	s_wait_dscnt 0x0
	v_dual_mul_f32 v120, v117, v109 :: v_dual_mul_f32 v122, v117, v106
	s_delay_alu instid0(VALU_DEP_1) | instskip(NEXT) | instid1(VALU_DEP_2)
	v_pk_fma_f32 v[120:121], v[116:117], v[90:91], v[120:121] op_sel_hi:[1,1,0] neg_lo:[0,0,1] neg_hi:[0,0,1]
	v_pk_fma_f32 v[116:117], v[116:117], v[90:91], v[122:123] op_sel:[1,0,0] op_sel_hi:[0,1,0]
	s_delay_alu instid0(VALU_DEP_1) | instskip(SKIP_1) | instid1(VALU_DEP_2)
	v_mov_b32_e32 v121, v117
	v_pk_mul_f32 v[116:117], v[118:119], v[108:109] op_sel:[0,1]
	v_pk_add_f32 v[16:17], v[16:17], v[120:121] neg_lo:[0,1] neg_hi:[0,1]
	s_delay_alu instid0(VALU_DEP_2) | instskip(SKIP_1) | instid1(VALU_DEP_1)
	v_pk_fma_f32 v[120:121], v[118:119], v[106:107], v[116:117] op_sel:[0,0,1] op_sel_hi:[1,1,0] neg_lo:[0,0,1] neg_hi:[0,0,1]
	v_pk_fma_f32 v[116:117], v[118:119], v[106:107], v[116:117] op_sel:[0,0,1] op_sel_hi:[1,0,0]
	v_mov_b32_e32 v121, v117
	ds_load_2addr_b64 v[116:119], v110 offset0:41 offset1:42
	v_pk_add_f32 v[76:77], v[76:77], v[120:121] neg_lo:[0,1] neg_hi:[0,1]
	s_wait_dscnt 0x0
	v_pk_mul_f32 v[120:121], v[116:117], v[108:109] op_sel:[0,1]
	s_delay_alu instid0(VALU_DEP_1) | instskip(SKIP_1) | instid1(VALU_DEP_1)
	v_pk_fma_f32 v[122:123], v[116:117], v[106:107], v[120:121] op_sel:[0,0,1] op_sel_hi:[1,1,0] neg_lo:[0,0,1] neg_hi:[0,0,1]
	v_pk_fma_f32 v[116:117], v[116:117], v[106:107], v[120:121] op_sel:[0,0,1] op_sel_hi:[1,0,0]
	v_mov_b32_e32 v123, v117
	v_pk_mul_f32 v[116:117], v[118:119], v[108:109] op_sel:[0,1]
	s_delay_alu instid0(VALU_DEP_2) | instskip(NEXT) | instid1(VALU_DEP_2)
	v_pk_add_f32 v[10:11], v[10:11], v[122:123] neg_lo:[0,1] neg_hi:[0,1]
	v_pk_fma_f32 v[120:121], v[118:119], v[106:107], v[116:117] op_sel:[0,0,1] op_sel_hi:[1,1,0] neg_lo:[0,0,1] neg_hi:[0,0,1]
	v_pk_fma_f32 v[116:117], v[118:119], v[106:107], v[116:117] op_sel:[0,0,1] op_sel_hi:[1,0,0]
	s_delay_alu instid0(VALU_DEP_1) | instskip(SKIP_4) | instid1(VALU_DEP_1)
	v_mov_b32_e32 v121, v117
	ds_load_2addr_b64 v[116:119], v110 offset0:43 offset1:44
	v_pk_add_f32 v[12:13], v[12:13], v[120:121] neg_lo:[0,1] neg_hi:[0,1]
	s_wait_dscnt 0x0
	v_pk_mul_f32 v[120:121], v[116:117], v[108:109] op_sel:[0,1]
	v_pk_fma_f32 v[122:123], v[116:117], v[106:107], v[120:121] op_sel:[0,0,1] op_sel_hi:[1,1,0] neg_lo:[0,0,1] neg_hi:[0,0,1]
	v_pk_fma_f32 v[116:117], v[116:117], v[106:107], v[120:121] op_sel:[0,0,1] op_sel_hi:[1,0,0]
	v_dual_mul_f32 v120, v119, v109 :: v_dual_mov_b32 v116, v119
	s_delay_alu instid0(VALU_DEP_2) | instskip(NEXT) | instid1(VALU_DEP_2)
	v_dual_mov_b32 v123, v117 :: v_dual_mov_b32 v117, v118
	v_pk_fma_f32 v[120:121], v[118:119], v[90:91], v[120:121] op_sel_hi:[1,1,0] neg_lo:[0,0,1] neg_hi:[0,0,1]
	v_mul_f32_e32 v118, v119, v106
	s_delay_alu instid0(VALU_DEP_3) | instskip(NEXT) | instid1(VALU_DEP_2)
	v_pk_add_f32 v[8:9], v[8:9], v[122:123] neg_lo:[0,1] neg_hi:[0,1]
	v_pk_fma_f32 v[116:117], v[116:117], v[90:91], v[118:119] op_sel_hi:[1,1,0]
	s_delay_alu instid0(VALU_DEP_1) | instskip(SKIP_4) | instid1(VALU_DEP_1)
	v_mov_b32_e32 v121, v117
	ds_load_2addr_b64 v[116:119], v110 offset0:45 offset1:46
	v_pk_add_f32 v[70:71], v[70:71], v[120:121] neg_lo:[0,1] neg_hi:[0,1]
	s_wait_dscnt 0x0
	v_pk_mul_f32 v[120:121], v[116:117], v[108:109] op_sel:[0,1]
	v_pk_fma_f32 v[122:123], v[116:117], v[106:107], v[120:121] op_sel:[0,0,1] op_sel_hi:[1,1,0] neg_lo:[0,0,1] neg_hi:[0,0,1]
	v_pk_fma_f32 v[116:117], v[116:117], v[106:107], v[120:121] op_sel:[0,0,1] op_sel_hi:[1,0,0]
	s_delay_alu instid0(VALU_DEP_1) | instskip(SKIP_1) | instid1(VALU_DEP_1)
	v_mov_b32_e32 v123, v117
	v_pk_mul_f32 v[116:117], v[118:119], v[108:109] op_sel:[0,1]
	v_pk_fma_f32 v[120:121], v[118:119], v[106:107], v[116:117] op_sel:[0,0,1] op_sel_hi:[1,1,0] neg_lo:[0,0,1] neg_hi:[0,0,1]
	v_pk_fma_f32 v[116:117], v[118:119], v[106:107], v[116:117] op_sel:[0,0,1] op_sel_hi:[1,0,0]
	s_delay_alu instid0(VALU_DEP_1)
	v_mov_b32_e32 v121, v117
	ds_load_2addr_b64 v[116:119], v110 offset0:47 offset1:48
	v_pk_add_f32 v[6:7], v[6:7], v[122:123] neg_lo:[0,1] neg_hi:[0,1]
	v_pk_add_f32 v[46:47], v[46:47], v[120:121] neg_lo:[0,1] neg_hi:[0,1]
	s_wait_dscnt 0x0
	v_pk_mul_f32 v[120:121], v[116:117], v[108:109] op_sel:[0,1]
	s_delay_alu instid0(VALU_DEP_1) | instskip(SKIP_1) | instid1(VALU_DEP_1)
	v_pk_fma_f32 v[122:123], v[116:117], v[106:107], v[120:121] op_sel:[0,0,1] op_sel_hi:[1,1,0] neg_lo:[0,0,1] neg_hi:[0,0,1]
	v_pk_fma_f32 v[116:117], v[116:117], v[106:107], v[120:121] op_sel:[0,0,1] op_sel_hi:[1,0,0]
	v_mov_b32_e32 v123, v117
	v_pk_mul_f32 v[116:117], v[118:119], v[108:109] op_sel:[0,1]
	s_delay_alu instid0(VALU_DEP_1) | instskip(SKIP_1) | instid1(VALU_DEP_1)
	v_pk_fma_f32 v[120:121], v[118:119], v[106:107], v[116:117] op_sel:[0,0,1] op_sel_hi:[1,1,0] neg_lo:[0,0,1] neg_hi:[0,0,1]
	v_pk_fma_f32 v[116:117], v[118:119], v[106:107], v[116:117] op_sel:[0,0,1] op_sel_hi:[1,0,0]
	v_mov_b32_e32 v121, v117
	ds_load_b64 v[116:117], v110 offset:392
	v_pk_add_f32 v[28:29], v[28:29], v[122:123] neg_lo:[0,1] neg_hi:[0,1]
	v_pk_add_f32 v[14:15], v[14:15], v[120:121] neg_lo:[0,1] neg_hi:[0,1]
	s_wait_dscnt 0x0
	v_pk_mul_f32 v[108:109], v[116:117], v[108:109] op_sel:[0,1]
	s_delay_alu instid0(VALU_DEP_1) | instskip(SKIP_1) | instid1(VALU_DEP_1)
	v_pk_fma_f32 v[118:119], v[116:117], v[106:107], v[108:109] op_sel:[0,0,1] op_sel_hi:[1,1,0] neg_lo:[0,0,1] neg_hi:[0,0,1]
	v_pk_fma_f32 v[106:107], v[116:117], v[106:107], v[108:109] op_sel:[0,0,1] op_sel_hi:[1,0,0]
	v_mov_b32_e32 v119, v107
	s_delay_alu instid0(VALU_DEP_1)
	v_pk_add_f32 v[104:105], v[104:105], v[118:119] neg_lo:[0,1] neg_hi:[0,1]
.LBB98_440:
	s_or_b32 exec_lo, exec_lo, s0
	v_lshl_add_u32 v106, v114, 3, v110
	s_barrier_signal -1
	s_barrier_wait -1
	ds_store_b64 v106, v[56:57]
	s_wait_dscnt 0x0
	s_barrier_signal -1
	s_barrier_wait -1
	ds_load_b64 v[108:109], v110 offset:168
	v_mov_b32_e32 v106, 21
	s_cmp_lt_i32 s18, 23
	s_cbranch_scc1 .LBB98_443
; %bb.441:
	v_add3_u32 v107, v111, 0, 0xb0
	v_mov_b32_e32 v106, 21
	s_mov_b32 s0, 22
.LBB98_442:                             ; =>This Inner Loop Header: Depth=1
	ds_load_b64 v[116:117], v107
	s_wait_dscnt 0x1
	v_cmp_gt_f32_e32 vcc_lo, 0, v108
	v_cndmask_b32_e64 v118, v108, -v108, vcc_lo
	v_cmp_gt_f32_e32 vcc_lo, 0, v109
	v_cndmask_b32_e64 v120, v109, -v109, vcc_lo
	s_wait_dscnt 0x0
	v_cmp_gt_f32_e32 vcc_lo, 0, v116
	v_cndmask_b32_e64 v119, v116, -v116, vcc_lo
	v_cmp_gt_f32_e32 vcc_lo, 0, v117
	v_cndmask_b32_e64 v121, v117, -v117, vcc_lo
	s_delay_alu instid0(VALU_DEP_1) | instskip(NEXT) | instid1(VALU_DEP_1)
	v_pk_add_f32 v[118:119], v[118:119], v[120:121]
	v_cmp_lt_f32_e32 vcc_lo, v118, v119
	v_dual_add_nc_u32 v107, 8, v107 :: v_dual_cndmask_b32 v109, v109, v117, vcc_lo
	v_cndmask_b32_e32 v108, v108, v116, vcc_lo
	v_cndmask_b32_e64 v106, v106, s0, vcc_lo
	s_add_co_i32 s0, s0, 1
	s_delay_alu instid0(SALU_CYCLE_1)
	s_cmp_lg_u32 s18, s0
	s_cbranch_scc1 .LBB98_442
.LBB98_443:
	s_wait_dscnt 0x0
	v_cmp_eq_f32_e32 vcc_lo, 0, v108
	v_cmp_eq_f32_e64 s0, 0, v109
	s_and_b32 s0, vcc_lo, s0
	s_delay_alu instid0(SALU_CYCLE_1) | instskip(NEXT) | instid1(SALU_CYCLE_1)
	s_and_saveexec_b32 s1, s0
	s_xor_b32 s0, exec_lo, s1
; %bb.444:
	v_cmp_ne_u32_e32 vcc_lo, 0, v112
	v_cndmask_b32_e32 v112, 22, v112, vcc_lo
; %bb.445:
	s_and_not1_saveexec_b32 s0, s0
	s_cbranch_execz .LBB98_451
; %bb.446:
	v_cmp_ngt_f32_e64 s1, |v108|, |v109|
	s_and_saveexec_b32 s12, s1
	s_delay_alu instid0(SALU_CYCLE_1)
	s_xor_b32 s1, exec_lo, s12
	s_cbranch_execz .LBB98_448
; %bb.447:
	v_div_scale_f32 v107, null, v109, v109, v108
	v_div_scale_f32 v117, vcc_lo, v108, v109, v108
	s_delay_alu instid0(VALU_DEP_2) | instskip(SKIP_1) | instid1(TRANS32_DEP_1)
	v_rcp_f32_e32 v115, v107
	v_nop
	v_fma_f32 v116, -v107, v115, 1.0
	s_delay_alu instid0(VALU_DEP_1) | instskip(NEXT) | instid1(VALU_DEP_1)
	v_fmac_f32_e32 v115, v116, v115
	v_mul_f32_e32 v116, v117, v115
	s_delay_alu instid0(VALU_DEP_1) | instskip(NEXT) | instid1(VALU_DEP_1)
	v_fma_f32 v118, -v107, v116, v117
	v_fmac_f32_e32 v116, v118, v115
	s_delay_alu instid0(VALU_DEP_1) | instskip(NEXT) | instid1(VALU_DEP_1)
	v_fma_f32 v107, -v107, v116, v117
	v_div_fmas_f32 v107, v107, v115, v116
	s_delay_alu instid0(VALU_DEP_1) | instskip(NEXT) | instid1(VALU_DEP_1)
	v_div_fixup_f32 v107, v107, v109, v108
	v_fmac_f32_e32 v109, v108, v107
	s_delay_alu instid0(VALU_DEP_1) | instskip(SKIP_1) | instid1(VALU_DEP_2)
	v_div_scale_f32 v108, null, v109, v109, 1.0
	v_div_scale_f32 v117, vcc_lo, 1.0, v109, 1.0
	v_rcp_f32_e32 v115, v108
	v_nop
	s_delay_alu instid0(TRANS32_DEP_1) | instskip(NEXT) | instid1(VALU_DEP_1)
	v_fma_f32 v116, -v108, v115, 1.0
	v_fmac_f32_e32 v115, v116, v115
	s_delay_alu instid0(VALU_DEP_1) | instskip(NEXT) | instid1(VALU_DEP_1)
	v_mul_f32_e32 v116, v117, v115
	v_fma_f32 v118, -v108, v116, v117
	s_delay_alu instid0(VALU_DEP_1) | instskip(NEXT) | instid1(VALU_DEP_1)
	v_fmac_f32_e32 v116, v118, v115
	v_fma_f32 v108, -v108, v116, v117
	s_delay_alu instid0(VALU_DEP_1) | instskip(NEXT) | instid1(VALU_DEP_1)
	v_div_fmas_f32 v108, v108, v115, v116
	v_div_fixup_f32 v109, v108, v109, 1.0
	s_delay_alu instid0(VALU_DEP_1)
	v_mul_f32_e32 v108, v107, v109
	v_xor_b32_e32 v109, 0x80000000, v109
.LBB98_448:
	s_and_not1_saveexec_b32 s1, s1
	s_cbranch_execz .LBB98_450
; %bb.449:
	s_delay_alu instid0(VALU_DEP_1) | instskip(SKIP_1) | instid1(VALU_DEP_2)
	v_div_scale_f32 v107, null, v108, v108, v109
	v_div_scale_f32 v117, vcc_lo, v109, v108, v109
	v_rcp_f32_e32 v115, v107
	v_nop
	s_delay_alu instid0(TRANS32_DEP_1) | instskip(NEXT) | instid1(VALU_DEP_1)
	v_fma_f32 v116, -v107, v115, 1.0
	v_fmac_f32_e32 v115, v116, v115
	s_delay_alu instid0(VALU_DEP_1) | instskip(NEXT) | instid1(VALU_DEP_1)
	v_mul_f32_e32 v116, v117, v115
	v_fma_f32 v118, -v107, v116, v117
	s_delay_alu instid0(VALU_DEP_1) | instskip(NEXT) | instid1(VALU_DEP_1)
	v_fmac_f32_e32 v116, v118, v115
	v_fma_f32 v107, -v107, v116, v117
	s_delay_alu instid0(VALU_DEP_1) | instskip(NEXT) | instid1(VALU_DEP_1)
	v_div_fmas_f32 v107, v107, v115, v116
	v_div_fixup_f32 v107, v107, v108, v109
	s_delay_alu instid0(VALU_DEP_1) | instskip(NEXT) | instid1(VALU_DEP_1)
	v_fmac_f32_e32 v108, v109, v107
	v_div_scale_f32 v109, null, v108, v108, 1.0
	s_delay_alu instid0(VALU_DEP_1) | instskip(SKIP_1) | instid1(TRANS32_DEP_1)
	v_rcp_f32_e32 v115, v109
	v_nop
	v_fma_f32 v116, -v109, v115, 1.0
	s_delay_alu instid0(VALU_DEP_1) | instskip(SKIP_1) | instid1(VALU_DEP_1)
	v_fmac_f32_e32 v115, v116, v115
	v_div_scale_f32 v116, vcc_lo, 1.0, v108, 1.0
	v_mul_f32_e32 v117, v116, v115
	s_delay_alu instid0(VALU_DEP_1) | instskip(NEXT) | instid1(VALU_DEP_1)
	v_fma_f32 v118, -v109, v117, v116
	v_fmac_f32_e32 v117, v118, v115
	s_delay_alu instid0(VALU_DEP_1) | instskip(NEXT) | instid1(VALU_DEP_1)
	v_fma_f32 v109, -v109, v117, v116
	v_div_fmas_f32 v109, v109, v115, v117
	s_delay_alu instid0(VALU_DEP_1) | instskip(NEXT) | instid1(VALU_DEP_1)
	v_div_fixup_f32 v108, v109, v108, 1.0
	v_mul_f32_e64 v109, v107, -v108
.LBB98_450:
	s_or_b32 exec_lo, exec_lo, s1
.LBB98_451:
	s_delay_alu instid0(SALU_CYCLE_1) | instskip(NEXT) | instid1(SALU_CYCLE_1)
	s_or_b32 exec_lo, exec_lo, s0
	s_mov_b32 s0, exec_lo
	v_cmpx_ne_u32_e64 v114, v106
	s_xor_b32 s0, exec_lo, s0
	s_cbranch_execz .LBB98_457
; %bb.452:
	s_mov_b32 s1, exec_lo
	v_cmpx_eq_u32_e32 21, v114
	s_cbranch_execz .LBB98_456
; %bb.453:
	v_cmp_ne_u32_e32 vcc_lo, 21, v106
	s_xor_b32 s12, s16, -1
	s_delay_alu instid0(SALU_CYCLE_1) | instskip(NEXT) | instid1(SALU_CYCLE_1)
	s_and_b32 s13, s12, vcc_lo
	s_and_saveexec_b32 s12, s13
	s_cbranch_execz .LBB98_455
; %bb.454:
	v_ashrrev_i32_e32 v107, 31, v106
	s_delay_alu instid0(VALU_DEP_1)
	v_lshl_add_u64 v[114:115], v[106:107], 2, v[4:5]
	s_clause 0x1
	global_load_b32 v107, v[114:115], off
	global_load_b32 v113, v[4:5], off offset:84
	s_wait_loadcnt 0x1
	global_store_b32 v[4:5], v107, off offset:84
	s_wait_loadcnt 0x0
	global_store_b32 v[114:115], v113, off
.LBB98_455:
	s_wait_xcnt 0x0
	s_or_b32 exec_lo, exec_lo, s12
	v_dual_mov_b32 v114, v106 :: v_dual_mov_b32 v113, v106
.LBB98_456:
	s_or_b32 exec_lo, exec_lo, s1
.LBB98_457:
	s_and_not1_saveexec_b32 s0, s0
	s_cbranch_execz .LBB98_459
; %bb.458:
	v_dual_mov_b32 v106, v58 :: v_dual_mov_b32 v107, v59
	v_dual_mov_b32 v114, v54 :: v_dual_mov_b32 v115, v55
	ds_store_2addr_b64 v110, v[106:107], v[114:115] offset0:22 offset1:23
	v_dual_mov_b32 v106, v86 :: v_dual_mov_b32 v107, v87
	v_dual_mov_b32 v114, v38 :: v_dual_mov_b32 v115, v39
	ds_store_2addr_b64 v110, v[106:107], v[114:115] offset0:24 offset1:25
	;; [unrolled: 3-line block ×13, first 2 shown]
	v_dual_mov_b32 v106, v14 :: v_dual_mov_b32 v107, v15
	v_mov_b32_e32 v114, 21
	ds_store_2addr_b64 v110, v[106:107], v[104:105] offset0:48 offset1:49
.LBB98_459:
	s_or_b32 exec_lo, exec_lo, s0
	s_delay_alu instid0(SALU_CYCLE_1)
	s_mov_b32 s0, exec_lo
	s_wait_storecnt_dscnt 0x0
	s_barrier_signal -1
	s_barrier_wait -1
	v_cmpx_lt_i32_e32 21, v114
	s_cbranch_execz .LBB98_461
; %bb.460:
	v_pk_mul_f32 v[116:117], v[108:109], v[56:57] op_sel:[1,1] op_sel_hi:[0,1]
	s_delay_alu instid0(VALU_DEP_1)
	v_pk_fma_f32 v[106:107], v[108:109], v[56:57], v[116:117] op_sel_hi:[1,0,1] neg_lo:[0,0,1] neg_hi:[0,0,1]
	v_pk_fma_f32 v[108:109], v[108:109], v[56:57], v[116:117] op_sel_hi:[1,0,1]
	ds_load_2addr_b64 v[116:119], v110 offset0:22 offset1:23
	v_dual_mov_b32 v56, v106 :: v_dual_mov_b32 v57, v109
	s_wait_dscnt 0x0
	v_pk_mul_f32 v[120:121], v[116:117], v[108:109] op_sel:[0,1]
	s_delay_alu instid0(VALU_DEP_1) | instskip(SKIP_1) | instid1(VALU_DEP_1)
	v_pk_fma_f32 v[122:123], v[116:117], v[106:107], v[120:121] op_sel:[0,0,1] op_sel_hi:[1,1,0] neg_lo:[0,0,1] neg_hi:[0,0,1]
	v_pk_fma_f32 v[116:117], v[116:117], v[106:107], v[120:121] op_sel:[0,0,1] op_sel_hi:[1,0,0]
	v_mov_b32_e32 v123, v117
	v_pk_mul_f32 v[116:117], v[118:119], v[108:109] op_sel:[0,1]
	s_delay_alu instid0(VALU_DEP_1) | instskip(SKIP_1) | instid1(VALU_DEP_1)
	v_pk_fma_f32 v[120:121], v[118:119], v[106:107], v[116:117] op_sel:[0,0,1] op_sel_hi:[1,1,0] neg_lo:[0,0,1] neg_hi:[0,0,1]
	v_pk_fma_f32 v[116:117], v[118:119], v[106:107], v[116:117] op_sel:[0,0,1] op_sel_hi:[1,0,0]
	v_mov_b32_e32 v121, v117
	ds_load_2addr_b64 v[116:119], v110 offset0:24 offset1:25
	v_pk_add_f32 v[58:59], v[58:59], v[122:123] neg_lo:[0,1] neg_hi:[0,1]
	v_pk_add_f32 v[54:55], v[54:55], v[120:121] neg_lo:[0,1] neg_hi:[0,1]
	s_wait_dscnt 0x0
	v_pk_mul_f32 v[120:121], v[116:117], v[108:109] op_sel:[0,1]
	s_delay_alu instid0(VALU_DEP_1) | instskip(SKIP_2) | instid1(VALU_DEP_2)
	v_pk_fma_f32 v[122:123], v[116:117], v[106:107], v[120:121] op_sel:[0,0,1] op_sel_hi:[1,1,0] neg_lo:[0,0,1] neg_hi:[0,0,1]
	v_pk_fma_f32 v[116:117], v[116:117], v[106:107], v[120:121] op_sel:[0,0,1] op_sel_hi:[1,0,0]
	v_dual_mul_f32 v120, v119, v109 :: v_dual_mov_b32 v116, v119
	v_dual_mov_b32 v123, v117 :: v_dual_mov_b32 v117, v118
	s_delay_alu instid0(VALU_DEP_2) | instskip(SKIP_1) | instid1(VALU_DEP_3)
	v_pk_fma_f32 v[120:121], v[118:119], v[56:57], v[120:121] op_sel_hi:[1,1,0] neg_lo:[0,0,1] neg_hi:[0,0,1]
	v_mul_f32_e32 v118, v119, v106
	v_pk_add_f32 v[86:87], v[86:87], v[122:123] neg_lo:[0,1] neg_hi:[0,1]
	s_delay_alu instid0(VALU_DEP_2) | instskip(NEXT) | instid1(VALU_DEP_1)
	v_pk_fma_f32 v[116:117], v[116:117], v[56:57], v[118:119] op_sel_hi:[1,1,0]
	v_mov_b32_e32 v121, v117
	ds_load_2addr_b64 v[116:119], v110 offset0:26 offset1:27
	v_pk_add_f32 v[38:39], v[38:39], v[120:121] neg_lo:[0,1] neg_hi:[0,1]
	s_wait_dscnt 0x0
	v_pk_mul_f32 v[120:121], v[116:117], v[108:109] op_sel:[0,1]
	s_delay_alu instid0(VALU_DEP_1) | instskip(SKIP_1) | instid1(VALU_DEP_1)
	v_pk_fma_f32 v[122:123], v[116:117], v[106:107], v[120:121] op_sel:[0,0,1] op_sel_hi:[1,1,0] neg_lo:[0,0,1] neg_hi:[0,0,1]
	v_pk_fma_f32 v[116:117], v[116:117], v[106:107], v[120:121] op_sel:[0,0,1] op_sel_hi:[1,0,0]
	v_mov_b32_e32 v123, v117
	v_pk_mul_f32 v[116:117], v[118:119], v[108:109] op_sel:[0,1]
	s_delay_alu instid0(VALU_DEP_1) | instskip(SKIP_1) | instid1(VALU_DEP_1)
	v_pk_fma_f32 v[120:121], v[118:119], v[106:107], v[116:117] op_sel:[0,0,1] op_sel_hi:[1,1,0] neg_lo:[0,0,1] neg_hi:[0,0,1]
	v_pk_fma_f32 v[116:117], v[118:119], v[106:107], v[116:117] op_sel:[0,0,1] op_sel_hi:[1,0,0]
	v_mov_b32_e32 v121, v117
	ds_load_2addr_b64 v[116:119], v110 offset0:28 offset1:29
	v_pk_add_f32 v[42:43], v[42:43], v[122:123] neg_lo:[0,1] neg_hi:[0,1]
	v_pk_add_f32 v[36:37], v[36:37], v[120:121] neg_lo:[0,1] neg_hi:[0,1]
	s_wait_dscnt 0x0
	v_pk_mul_f32 v[120:121], v[116:117], v[108:109] op_sel:[0,1]
	s_delay_alu instid0(VALU_DEP_1) | instskip(SKIP_1) | instid1(VALU_DEP_1)
	v_pk_fma_f32 v[122:123], v[116:117], v[106:107], v[120:121] op_sel:[0,0,1] op_sel_hi:[1,1,0] neg_lo:[0,0,1] neg_hi:[0,0,1]
	v_pk_fma_f32 v[116:117], v[116:117], v[106:107], v[120:121] op_sel:[0,0,1] op_sel_hi:[1,0,0]
	v_mov_b32_e32 v123, v117
	v_pk_mul_f32 v[116:117], v[118:119], v[108:109] op_sel:[0,1]
	s_delay_alu instid0(VALU_DEP_1) | instskip(SKIP_1) | instid1(VALU_DEP_1)
	v_pk_fma_f32 v[120:121], v[118:119], v[106:107], v[116:117] op_sel:[0,0,1] op_sel_hi:[1,1,0] neg_lo:[0,0,1] neg_hi:[0,0,1]
	v_pk_fma_f32 v[116:117], v[118:119], v[106:107], v[116:117] op_sel:[0,0,1] op_sel_hi:[1,0,0]
	v_mov_b32_e32 v121, v117
	ds_load_2addr_b64 v[116:119], v110 offset0:30 offset1:31
	v_pk_add_f32 v[82:83], v[82:83], v[122:123] neg_lo:[0,1] neg_hi:[0,1]
	v_pk_add_f32 v[32:33], v[32:33], v[120:121] neg_lo:[0,1] neg_hi:[0,1]
	s_wait_dscnt 0x0
	v_dual_mul_f32 v120, v117, v109 :: v_dual_mul_f32 v122, v117, v106
	s_delay_alu instid0(VALU_DEP_1) | instskip(NEXT) | instid1(VALU_DEP_2)
	v_pk_fma_f32 v[120:121], v[116:117], v[56:57], v[120:121] op_sel_hi:[1,1,0] neg_lo:[0,0,1] neg_hi:[0,0,1]
	v_pk_fma_f32 v[116:117], v[116:117], v[56:57], v[122:123] op_sel:[1,0,0] op_sel_hi:[0,1,0]
	s_delay_alu instid0(VALU_DEP_1) | instskip(SKIP_1) | instid1(VALU_DEP_2)
	v_mov_b32_e32 v121, v117
	v_pk_mul_f32 v[116:117], v[118:119], v[108:109] op_sel:[0,1]
	v_pk_add_f32 v[34:35], v[34:35], v[120:121] neg_lo:[0,1] neg_hi:[0,1]
	s_delay_alu instid0(VALU_DEP_2) | instskip(SKIP_1) | instid1(VALU_DEP_1)
	v_pk_fma_f32 v[120:121], v[118:119], v[106:107], v[116:117] op_sel:[0,0,1] op_sel_hi:[1,1,0] neg_lo:[0,0,1] neg_hi:[0,0,1]
	v_pk_fma_f32 v[116:117], v[118:119], v[106:107], v[116:117] op_sel:[0,0,1] op_sel_hi:[1,0,0]
	v_mov_b32_e32 v121, v117
	ds_load_2addr_b64 v[116:119], v110 offset0:32 offset1:33
	v_pk_add_f32 v[30:31], v[30:31], v[120:121] neg_lo:[0,1] neg_hi:[0,1]
	s_wait_dscnt 0x0
	v_pk_mul_f32 v[120:121], v[116:117], v[108:109] op_sel:[0,1]
	s_delay_alu instid0(VALU_DEP_1) | instskip(SKIP_1) | instid1(VALU_DEP_1)
	v_pk_fma_f32 v[122:123], v[116:117], v[106:107], v[120:121] op_sel:[0,0,1] op_sel_hi:[1,1,0] neg_lo:[0,0,1] neg_hi:[0,0,1]
	v_pk_fma_f32 v[116:117], v[116:117], v[106:107], v[120:121] op_sel:[0,0,1] op_sel_hi:[1,0,0]
	v_mov_b32_e32 v123, v117
	v_pk_mul_f32 v[116:117], v[118:119], v[108:109] op_sel:[0,1]
	s_delay_alu instid0(VALU_DEP_2) | instskip(NEXT) | instid1(VALU_DEP_2)
	v_pk_add_f32 v[80:81], v[80:81], v[122:123] neg_lo:[0,1] neg_hi:[0,1]
	v_pk_fma_f32 v[120:121], v[118:119], v[106:107], v[116:117] op_sel:[0,0,1] op_sel_hi:[1,1,0] neg_lo:[0,0,1] neg_hi:[0,0,1]
	v_pk_fma_f32 v[116:117], v[118:119], v[106:107], v[116:117] op_sel:[0,0,1] op_sel_hi:[1,0,0]
	s_delay_alu instid0(VALU_DEP_1) | instskip(SKIP_4) | instid1(VALU_DEP_1)
	v_mov_b32_e32 v121, v117
	ds_load_2addr_b64 v[116:119], v110 offset0:34 offset1:35
	v_pk_add_f32 v[24:25], v[24:25], v[120:121] neg_lo:[0,1] neg_hi:[0,1]
	s_wait_dscnt 0x0
	v_pk_mul_f32 v[120:121], v[116:117], v[108:109] op_sel:[0,1]
	v_pk_fma_f32 v[122:123], v[116:117], v[106:107], v[120:121] op_sel:[0,0,1] op_sel_hi:[1,1,0] neg_lo:[0,0,1] neg_hi:[0,0,1]
	v_pk_fma_f32 v[116:117], v[116:117], v[106:107], v[120:121] op_sel:[0,0,1] op_sel_hi:[1,0,0]
	v_dual_mul_f32 v120, v119, v109 :: v_dual_mov_b32 v116, v119
	s_delay_alu instid0(VALU_DEP_2) | instskip(NEXT) | instid1(VALU_DEP_2)
	v_dual_mov_b32 v123, v117 :: v_dual_mov_b32 v117, v118
	v_pk_fma_f32 v[120:121], v[118:119], v[56:57], v[120:121] op_sel_hi:[1,1,0] neg_lo:[0,0,1] neg_hi:[0,0,1]
	v_mul_f32_e32 v118, v119, v106
	s_delay_alu instid0(VALU_DEP_3) | instskip(NEXT) | instid1(VALU_DEP_2)
	v_pk_add_f32 v[26:27], v[26:27], v[122:123] neg_lo:[0,1] neg_hi:[0,1]
	v_pk_fma_f32 v[116:117], v[116:117], v[56:57], v[118:119] op_sel_hi:[1,1,0]
	s_delay_alu instid0(VALU_DEP_1) | instskip(SKIP_4) | instid1(VALU_DEP_1)
	v_mov_b32_e32 v121, v117
	ds_load_2addr_b64 v[116:119], v110 offset0:36 offset1:37
	v_pk_add_f32 v[22:23], v[22:23], v[120:121] neg_lo:[0,1] neg_hi:[0,1]
	s_wait_dscnt 0x0
	v_pk_mul_f32 v[120:121], v[116:117], v[108:109] op_sel:[0,1]
	v_pk_fma_f32 v[122:123], v[116:117], v[106:107], v[120:121] op_sel:[0,0,1] op_sel_hi:[1,1,0] neg_lo:[0,0,1] neg_hi:[0,0,1]
	v_pk_fma_f32 v[116:117], v[116:117], v[106:107], v[120:121] op_sel:[0,0,1] op_sel_hi:[1,0,0]
	s_delay_alu instid0(VALU_DEP_1) | instskip(SKIP_1) | instid1(VALU_DEP_1)
	v_mov_b32_e32 v123, v117
	v_pk_mul_f32 v[116:117], v[118:119], v[108:109] op_sel:[0,1]
	v_pk_fma_f32 v[120:121], v[118:119], v[106:107], v[116:117] op_sel:[0,0,1] op_sel_hi:[1,1,0] neg_lo:[0,0,1] neg_hi:[0,0,1]
	v_pk_fma_f32 v[116:117], v[118:119], v[106:107], v[116:117] op_sel:[0,0,1] op_sel_hi:[1,0,0]
	s_delay_alu instid0(VALU_DEP_1)
	v_mov_b32_e32 v121, v117
	ds_load_2addr_b64 v[116:119], v110 offset0:38 offset1:39
	v_pk_add_f32 v[78:79], v[78:79], v[122:123] neg_lo:[0,1] neg_hi:[0,1]
	v_pk_add_f32 v[18:19], v[18:19], v[120:121] neg_lo:[0,1] neg_hi:[0,1]
	s_wait_dscnt 0x0
	v_pk_mul_f32 v[120:121], v[116:117], v[108:109] op_sel:[0,1]
	s_delay_alu instid0(VALU_DEP_1) | instskip(SKIP_1) | instid1(VALU_DEP_1)
	v_pk_fma_f32 v[122:123], v[116:117], v[106:107], v[120:121] op_sel:[0,0,1] op_sel_hi:[1,1,0] neg_lo:[0,0,1] neg_hi:[0,0,1]
	v_pk_fma_f32 v[116:117], v[116:117], v[106:107], v[120:121] op_sel:[0,0,1] op_sel_hi:[1,0,0]
	v_mov_b32_e32 v123, v117
	v_pk_mul_f32 v[116:117], v[118:119], v[108:109] op_sel:[0,1]
	s_delay_alu instid0(VALU_DEP_1) | instskip(SKIP_1) | instid1(VALU_DEP_1)
	v_pk_fma_f32 v[120:121], v[118:119], v[106:107], v[116:117] op_sel:[0,0,1] op_sel_hi:[1,1,0] neg_lo:[0,0,1] neg_hi:[0,0,1]
	v_pk_fma_f32 v[116:117], v[118:119], v[106:107], v[116:117] op_sel:[0,0,1] op_sel_hi:[1,0,0]
	v_mov_b32_e32 v121, v117
	ds_load_2addr_b64 v[116:119], v110 offset0:40 offset1:41
	v_pk_add_f32 v[20:21], v[20:21], v[122:123] neg_lo:[0,1] neg_hi:[0,1]
	v_pk_add_f32 v[16:17], v[16:17], v[120:121] neg_lo:[0,1] neg_hi:[0,1]
	s_wait_dscnt 0x0
	v_dual_mul_f32 v120, v117, v109 :: v_dual_mul_f32 v122, v117, v106
	s_delay_alu instid0(VALU_DEP_1) | instskip(NEXT) | instid1(VALU_DEP_2)
	v_pk_fma_f32 v[120:121], v[116:117], v[56:57], v[120:121] op_sel_hi:[1,1,0] neg_lo:[0,0,1] neg_hi:[0,0,1]
	v_pk_fma_f32 v[116:117], v[116:117], v[56:57], v[122:123] op_sel:[1,0,0] op_sel_hi:[0,1,0]
	s_delay_alu instid0(VALU_DEP_1) | instskip(SKIP_1) | instid1(VALU_DEP_2)
	v_mov_b32_e32 v121, v117
	v_pk_mul_f32 v[116:117], v[118:119], v[108:109] op_sel:[0,1]
	v_pk_add_f32 v[76:77], v[76:77], v[120:121] neg_lo:[0,1] neg_hi:[0,1]
	s_delay_alu instid0(VALU_DEP_2) | instskip(SKIP_1) | instid1(VALU_DEP_1)
	v_pk_fma_f32 v[120:121], v[118:119], v[106:107], v[116:117] op_sel:[0,0,1] op_sel_hi:[1,1,0] neg_lo:[0,0,1] neg_hi:[0,0,1]
	v_pk_fma_f32 v[116:117], v[118:119], v[106:107], v[116:117] op_sel:[0,0,1] op_sel_hi:[1,0,0]
	v_mov_b32_e32 v121, v117
	ds_load_2addr_b64 v[116:119], v110 offset0:42 offset1:43
	v_pk_add_f32 v[10:11], v[10:11], v[120:121] neg_lo:[0,1] neg_hi:[0,1]
	s_wait_dscnt 0x0
	v_pk_mul_f32 v[120:121], v[116:117], v[108:109] op_sel:[0,1]
	s_delay_alu instid0(VALU_DEP_1) | instskip(SKIP_1) | instid1(VALU_DEP_1)
	v_pk_fma_f32 v[122:123], v[116:117], v[106:107], v[120:121] op_sel:[0,0,1] op_sel_hi:[1,1,0] neg_lo:[0,0,1] neg_hi:[0,0,1]
	v_pk_fma_f32 v[116:117], v[116:117], v[106:107], v[120:121] op_sel:[0,0,1] op_sel_hi:[1,0,0]
	v_mov_b32_e32 v123, v117
	v_pk_mul_f32 v[116:117], v[118:119], v[108:109] op_sel:[0,1]
	s_delay_alu instid0(VALU_DEP_2) | instskip(NEXT) | instid1(VALU_DEP_2)
	v_pk_add_f32 v[12:13], v[12:13], v[122:123] neg_lo:[0,1] neg_hi:[0,1]
	v_pk_fma_f32 v[120:121], v[118:119], v[106:107], v[116:117] op_sel:[0,0,1] op_sel_hi:[1,1,0] neg_lo:[0,0,1] neg_hi:[0,0,1]
	v_pk_fma_f32 v[116:117], v[118:119], v[106:107], v[116:117] op_sel:[0,0,1] op_sel_hi:[1,0,0]
	s_delay_alu instid0(VALU_DEP_1) | instskip(SKIP_4) | instid1(VALU_DEP_1)
	v_mov_b32_e32 v121, v117
	ds_load_2addr_b64 v[116:119], v110 offset0:44 offset1:45
	v_pk_add_f32 v[8:9], v[8:9], v[120:121] neg_lo:[0,1] neg_hi:[0,1]
	s_wait_dscnt 0x0
	v_pk_mul_f32 v[120:121], v[116:117], v[108:109] op_sel:[0,1]
	v_pk_fma_f32 v[122:123], v[116:117], v[106:107], v[120:121] op_sel:[0,0,1] op_sel_hi:[1,1,0] neg_lo:[0,0,1] neg_hi:[0,0,1]
	v_pk_fma_f32 v[116:117], v[116:117], v[106:107], v[120:121] op_sel:[0,0,1] op_sel_hi:[1,0,0]
	v_dual_mul_f32 v120, v119, v109 :: v_dual_mov_b32 v116, v119
	s_delay_alu instid0(VALU_DEP_2) | instskip(NEXT) | instid1(VALU_DEP_2)
	v_dual_mov_b32 v123, v117 :: v_dual_mov_b32 v117, v118
	v_pk_fma_f32 v[120:121], v[118:119], v[56:57], v[120:121] op_sel_hi:[1,1,0] neg_lo:[0,0,1] neg_hi:[0,0,1]
	v_mul_f32_e32 v118, v119, v106
	s_delay_alu instid0(VALU_DEP_3) | instskip(NEXT) | instid1(VALU_DEP_2)
	v_pk_add_f32 v[70:71], v[70:71], v[122:123] neg_lo:[0,1] neg_hi:[0,1]
	v_pk_fma_f32 v[116:117], v[116:117], v[56:57], v[118:119] op_sel_hi:[1,1,0]
	s_delay_alu instid0(VALU_DEP_1) | instskip(SKIP_4) | instid1(VALU_DEP_1)
	v_mov_b32_e32 v121, v117
	ds_load_2addr_b64 v[116:119], v110 offset0:46 offset1:47
	v_pk_add_f32 v[6:7], v[6:7], v[120:121] neg_lo:[0,1] neg_hi:[0,1]
	s_wait_dscnt 0x0
	v_pk_mul_f32 v[120:121], v[116:117], v[108:109] op_sel:[0,1]
	v_pk_fma_f32 v[122:123], v[116:117], v[106:107], v[120:121] op_sel:[0,0,1] op_sel_hi:[1,1,0] neg_lo:[0,0,1] neg_hi:[0,0,1]
	v_pk_fma_f32 v[116:117], v[116:117], v[106:107], v[120:121] op_sel:[0,0,1] op_sel_hi:[1,0,0]
	s_delay_alu instid0(VALU_DEP_1) | instskip(SKIP_1) | instid1(VALU_DEP_1)
	v_mov_b32_e32 v123, v117
	v_pk_mul_f32 v[116:117], v[118:119], v[108:109] op_sel:[0,1]
	v_pk_fma_f32 v[120:121], v[118:119], v[106:107], v[116:117] op_sel:[0,0,1] op_sel_hi:[1,1,0] neg_lo:[0,0,1] neg_hi:[0,0,1]
	v_pk_fma_f32 v[116:117], v[118:119], v[106:107], v[116:117] op_sel:[0,0,1] op_sel_hi:[1,0,0]
	s_delay_alu instid0(VALU_DEP_1)
	v_mov_b32_e32 v121, v117
	ds_load_2addr_b64 v[116:119], v110 offset0:48 offset1:49
	v_pk_add_f32 v[46:47], v[46:47], v[122:123] neg_lo:[0,1] neg_hi:[0,1]
	v_pk_add_f32 v[28:29], v[28:29], v[120:121] neg_lo:[0,1] neg_hi:[0,1]
	s_wait_dscnt 0x0
	v_pk_mul_f32 v[120:121], v[116:117], v[108:109] op_sel:[0,1]
	v_pk_mul_f32 v[108:109], v[118:119], v[108:109] op_sel:[0,1]
	s_delay_alu instid0(VALU_DEP_2) | instskip(SKIP_1) | instid1(VALU_DEP_1)
	v_pk_fma_f32 v[122:123], v[116:117], v[106:107], v[120:121] op_sel:[0,0,1] op_sel_hi:[1,1,0] neg_lo:[0,0,1] neg_hi:[0,0,1]
	v_pk_fma_f32 v[116:117], v[116:117], v[106:107], v[120:121] op_sel:[0,0,1] op_sel_hi:[1,0,0]
	v_mov_b32_e32 v123, v117
	s_delay_alu instid0(VALU_DEP_4) | instskip(SKIP_1) | instid1(VALU_DEP_1)
	v_pk_fma_f32 v[116:117], v[118:119], v[106:107], v[108:109] op_sel:[0,0,1] op_sel_hi:[1,1,0] neg_lo:[0,0,1] neg_hi:[0,0,1]
	v_pk_fma_f32 v[106:107], v[118:119], v[106:107], v[108:109] op_sel:[0,0,1] op_sel_hi:[1,0,0]
	v_mov_b32_e32 v117, v107
	s_delay_alu instid0(VALU_DEP_4) | instskip(NEXT) | instid1(VALU_DEP_2)
	v_pk_add_f32 v[14:15], v[14:15], v[122:123] neg_lo:[0,1] neg_hi:[0,1]
	v_pk_add_f32 v[104:105], v[104:105], v[116:117] neg_lo:[0,1] neg_hi:[0,1]
.LBB98_461:
	s_or_b32 exec_lo, exec_lo, s0
	v_lshl_add_u32 v106, v114, 3, v110
	s_barrier_signal -1
	s_barrier_wait -1
	ds_store_b64 v106, v[58:59]
	s_wait_dscnt 0x0
	s_barrier_signal -1
	s_barrier_wait -1
	ds_load_b64 v[108:109], v110 offset:176
	v_mov_b32_e32 v106, 22
	s_cmp_lt_i32 s18, 24
	s_cbranch_scc1 .LBB98_464
; %bb.462:
	v_add3_u32 v107, v111, 0, 0xb8
	v_mov_b32_e32 v106, 22
	s_mov_b32 s0, 23
.LBB98_463:                             ; =>This Inner Loop Header: Depth=1
	ds_load_b64 v[116:117], v107
	s_wait_dscnt 0x1
	v_cmp_gt_f32_e32 vcc_lo, 0, v108
	v_cndmask_b32_e64 v118, v108, -v108, vcc_lo
	v_cmp_gt_f32_e32 vcc_lo, 0, v109
	v_cndmask_b32_e64 v120, v109, -v109, vcc_lo
	s_wait_dscnt 0x0
	v_cmp_gt_f32_e32 vcc_lo, 0, v116
	v_cndmask_b32_e64 v119, v116, -v116, vcc_lo
	v_cmp_gt_f32_e32 vcc_lo, 0, v117
	v_cndmask_b32_e64 v121, v117, -v117, vcc_lo
	s_delay_alu instid0(VALU_DEP_1) | instskip(NEXT) | instid1(VALU_DEP_1)
	v_pk_add_f32 v[118:119], v[118:119], v[120:121]
	v_cmp_lt_f32_e32 vcc_lo, v118, v119
	v_dual_add_nc_u32 v107, 8, v107 :: v_dual_cndmask_b32 v109, v109, v117, vcc_lo
	v_cndmask_b32_e32 v108, v108, v116, vcc_lo
	v_cndmask_b32_e64 v106, v106, s0, vcc_lo
	s_add_co_i32 s0, s0, 1
	s_delay_alu instid0(SALU_CYCLE_1)
	s_cmp_lg_u32 s18, s0
	s_cbranch_scc1 .LBB98_463
.LBB98_464:
	s_wait_dscnt 0x0
	v_cmp_eq_f32_e32 vcc_lo, 0, v108
	v_cmp_eq_f32_e64 s0, 0, v109
	s_and_b32 s0, vcc_lo, s0
	s_delay_alu instid0(SALU_CYCLE_1) | instskip(NEXT) | instid1(SALU_CYCLE_1)
	s_and_saveexec_b32 s1, s0
	s_xor_b32 s0, exec_lo, s1
; %bb.465:
	v_cmp_ne_u32_e32 vcc_lo, 0, v112
	v_cndmask_b32_e32 v112, 23, v112, vcc_lo
; %bb.466:
	s_and_not1_saveexec_b32 s0, s0
	s_cbranch_execz .LBB98_472
; %bb.467:
	v_cmp_ngt_f32_e64 s1, |v108|, |v109|
	s_and_saveexec_b32 s12, s1
	s_delay_alu instid0(SALU_CYCLE_1)
	s_xor_b32 s1, exec_lo, s12
	s_cbranch_execz .LBB98_469
; %bb.468:
	v_div_scale_f32 v107, null, v109, v109, v108
	v_div_scale_f32 v117, vcc_lo, v108, v109, v108
	s_delay_alu instid0(VALU_DEP_2) | instskip(SKIP_1) | instid1(TRANS32_DEP_1)
	v_rcp_f32_e32 v115, v107
	v_nop
	v_fma_f32 v116, -v107, v115, 1.0
	s_delay_alu instid0(VALU_DEP_1) | instskip(NEXT) | instid1(VALU_DEP_1)
	v_fmac_f32_e32 v115, v116, v115
	v_mul_f32_e32 v116, v117, v115
	s_delay_alu instid0(VALU_DEP_1) | instskip(NEXT) | instid1(VALU_DEP_1)
	v_fma_f32 v118, -v107, v116, v117
	v_fmac_f32_e32 v116, v118, v115
	s_delay_alu instid0(VALU_DEP_1) | instskip(NEXT) | instid1(VALU_DEP_1)
	v_fma_f32 v107, -v107, v116, v117
	v_div_fmas_f32 v107, v107, v115, v116
	s_delay_alu instid0(VALU_DEP_1) | instskip(NEXT) | instid1(VALU_DEP_1)
	v_div_fixup_f32 v107, v107, v109, v108
	v_fmac_f32_e32 v109, v108, v107
	s_delay_alu instid0(VALU_DEP_1) | instskip(SKIP_1) | instid1(VALU_DEP_2)
	v_div_scale_f32 v108, null, v109, v109, 1.0
	v_div_scale_f32 v117, vcc_lo, 1.0, v109, 1.0
	v_rcp_f32_e32 v115, v108
	v_nop
	s_delay_alu instid0(TRANS32_DEP_1) | instskip(NEXT) | instid1(VALU_DEP_1)
	v_fma_f32 v116, -v108, v115, 1.0
	v_fmac_f32_e32 v115, v116, v115
	s_delay_alu instid0(VALU_DEP_1) | instskip(NEXT) | instid1(VALU_DEP_1)
	v_mul_f32_e32 v116, v117, v115
	v_fma_f32 v118, -v108, v116, v117
	s_delay_alu instid0(VALU_DEP_1) | instskip(NEXT) | instid1(VALU_DEP_1)
	v_fmac_f32_e32 v116, v118, v115
	v_fma_f32 v108, -v108, v116, v117
	s_delay_alu instid0(VALU_DEP_1) | instskip(NEXT) | instid1(VALU_DEP_1)
	v_div_fmas_f32 v108, v108, v115, v116
	v_div_fixup_f32 v109, v108, v109, 1.0
	s_delay_alu instid0(VALU_DEP_1)
	v_mul_f32_e32 v108, v107, v109
	v_xor_b32_e32 v109, 0x80000000, v109
.LBB98_469:
	s_and_not1_saveexec_b32 s1, s1
	s_cbranch_execz .LBB98_471
; %bb.470:
	s_delay_alu instid0(VALU_DEP_1) | instskip(SKIP_1) | instid1(VALU_DEP_2)
	v_div_scale_f32 v107, null, v108, v108, v109
	v_div_scale_f32 v117, vcc_lo, v109, v108, v109
	v_rcp_f32_e32 v115, v107
	v_nop
	s_delay_alu instid0(TRANS32_DEP_1) | instskip(NEXT) | instid1(VALU_DEP_1)
	v_fma_f32 v116, -v107, v115, 1.0
	v_fmac_f32_e32 v115, v116, v115
	s_delay_alu instid0(VALU_DEP_1) | instskip(NEXT) | instid1(VALU_DEP_1)
	v_mul_f32_e32 v116, v117, v115
	v_fma_f32 v118, -v107, v116, v117
	s_delay_alu instid0(VALU_DEP_1) | instskip(NEXT) | instid1(VALU_DEP_1)
	v_fmac_f32_e32 v116, v118, v115
	v_fma_f32 v107, -v107, v116, v117
	s_delay_alu instid0(VALU_DEP_1) | instskip(NEXT) | instid1(VALU_DEP_1)
	v_div_fmas_f32 v107, v107, v115, v116
	v_div_fixup_f32 v107, v107, v108, v109
	s_delay_alu instid0(VALU_DEP_1) | instskip(NEXT) | instid1(VALU_DEP_1)
	v_fmac_f32_e32 v108, v109, v107
	v_div_scale_f32 v109, null, v108, v108, 1.0
	s_delay_alu instid0(VALU_DEP_1) | instskip(SKIP_1) | instid1(TRANS32_DEP_1)
	v_rcp_f32_e32 v115, v109
	v_nop
	v_fma_f32 v116, -v109, v115, 1.0
	s_delay_alu instid0(VALU_DEP_1) | instskip(SKIP_1) | instid1(VALU_DEP_1)
	v_fmac_f32_e32 v115, v116, v115
	v_div_scale_f32 v116, vcc_lo, 1.0, v108, 1.0
	v_mul_f32_e32 v117, v116, v115
	s_delay_alu instid0(VALU_DEP_1) | instskip(NEXT) | instid1(VALU_DEP_1)
	v_fma_f32 v118, -v109, v117, v116
	v_fmac_f32_e32 v117, v118, v115
	s_delay_alu instid0(VALU_DEP_1) | instskip(NEXT) | instid1(VALU_DEP_1)
	v_fma_f32 v109, -v109, v117, v116
	v_div_fmas_f32 v109, v109, v115, v117
	s_delay_alu instid0(VALU_DEP_1) | instskip(NEXT) | instid1(VALU_DEP_1)
	v_div_fixup_f32 v108, v109, v108, 1.0
	v_mul_f32_e64 v109, v107, -v108
.LBB98_471:
	s_or_b32 exec_lo, exec_lo, s1
.LBB98_472:
	s_delay_alu instid0(SALU_CYCLE_1) | instskip(NEXT) | instid1(SALU_CYCLE_1)
	s_or_b32 exec_lo, exec_lo, s0
	s_mov_b32 s0, exec_lo
	v_cmpx_ne_u32_e64 v114, v106
	s_xor_b32 s0, exec_lo, s0
	s_cbranch_execz .LBB98_478
; %bb.473:
	s_mov_b32 s1, exec_lo
	v_cmpx_eq_u32_e32 22, v114
	s_cbranch_execz .LBB98_477
; %bb.474:
	v_cmp_ne_u32_e32 vcc_lo, 22, v106
	s_xor_b32 s12, s16, -1
	s_delay_alu instid0(SALU_CYCLE_1) | instskip(NEXT) | instid1(SALU_CYCLE_1)
	s_and_b32 s13, s12, vcc_lo
	s_and_saveexec_b32 s12, s13
	s_cbranch_execz .LBB98_476
; %bb.475:
	v_ashrrev_i32_e32 v107, 31, v106
	s_delay_alu instid0(VALU_DEP_1)
	v_lshl_add_u64 v[114:115], v[106:107], 2, v[4:5]
	s_clause 0x1
	global_load_b32 v107, v[114:115], off
	global_load_b32 v113, v[4:5], off offset:88
	s_wait_loadcnt 0x1
	global_store_b32 v[4:5], v107, off offset:88
	s_wait_loadcnt 0x0
	global_store_b32 v[114:115], v113, off
.LBB98_476:
	s_wait_xcnt 0x0
	s_or_b32 exec_lo, exec_lo, s12
	v_dual_mov_b32 v114, v106 :: v_dual_mov_b32 v113, v106
.LBB98_477:
	s_or_b32 exec_lo, exec_lo, s1
.LBB98_478:
	s_and_not1_saveexec_b32 s0, s0
	s_cbranch_execz .LBB98_480
; %bb.479:
	v_mov_b32_e32 v114, 22
	ds_store_2addr_b64 v110, v[54:55], v[86:87] offset0:23 offset1:24
	ds_store_2addr_b64 v110, v[38:39], v[42:43] offset0:25 offset1:26
	;; [unrolled: 1-line block ×13, first 2 shown]
	ds_store_b64 v110, v[104:105] offset:392
.LBB98_480:
	s_or_b32 exec_lo, exec_lo, s0
	s_delay_alu instid0(SALU_CYCLE_1)
	s_mov_b32 s0, exec_lo
	s_wait_storecnt_dscnt 0x0
	s_barrier_signal -1
	s_barrier_wait -1
	v_cmpx_lt_i32_e32 22, v114
	s_cbranch_execz .LBB98_482
; %bb.481:
	v_pk_mul_f32 v[116:117], v[108:109], v[58:59] op_sel:[1,1] op_sel_hi:[0,1]
	s_delay_alu instid0(VALU_DEP_1)
	v_pk_fma_f32 v[106:107], v[108:109], v[58:59], v[116:117] op_sel_hi:[1,0,1] neg_lo:[0,0,1] neg_hi:[0,0,1]
	v_pk_fma_f32 v[108:109], v[108:109], v[58:59], v[116:117] op_sel_hi:[1,0,1]
	ds_load_2addr_b64 v[116:119], v110 offset0:23 offset1:24
	v_dual_mov_b32 v58, v106 :: v_dual_mov_b32 v59, v109
	s_wait_dscnt 0x0
	v_pk_mul_f32 v[120:121], v[116:117], v[108:109] op_sel:[0,1]
	s_delay_alu instid0(VALU_DEP_1) | instskip(SKIP_1) | instid1(VALU_DEP_1)
	v_pk_fma_f32 v[122:123], v[116:117], v[106:107], v[120:121] op_sel:[0,0,1] op_sel_hi:[1,1,0] neg_lo:[0,0,1] neg_hi:[0,0,1]
	v_pk_fma_f32 v[116:117], v[116:117], v[106:107], v[120:121] op_sel:[0,0,1] op_sel_hi:[1,0,0]
	v_mov_b32_e32 v123, v117
	v_pk_mul_f32 v[116:117], v[118:119], v[108:109] op_sel:[0,1]
	s_delay_alu instid0(VALU_DEP_1) | instskip(SKIP_1) | instid1(VALU_DEP_1)
	v_pk_fma_f32 v[120:121], v[118:119], v[106:107], v[116:117] op_sel:[0,0,1] op_sel_hi:[1,1,0] neg_lo:[0,0,1] neg_hi:[0,0,1]
	v_pk_fma_f32 v[116:117], v[118:119], v[106:107], v[116:117] op_sel:[0,0,1] op_sel_hi:[1,0,0]
	v_mov_b32_e32 v121, v117
	ds_load_2addr_b64 v[116:119], v110 offset0:25 offset1:26
	v_pk_add_f32 v[54:55], v[54:55], v[122:123] neg_lo:[0,1] neg_hi:[0,1]
	v_pk_add_f32 v[86:87], v[86:87], v[120:121] neg_lo:[0,1] neg_hi:[0,1]
	s_wait_dscnt 0x0
	v_pk_mul_f32 v[120:121], v[116:117], v[108:109] op_sel:[0,1]
	s_delay_alu instid0(VALU_DEP_1) | instskip(SKIP_2) | instid1(VALU_DEP_2)
	v_pk_fma_f32 v[122:123], v[116:117], v[106:107], v[120:121] op_sel:[0,0,1] op_sel_hi:[1,1,0] neg_lo:[0,0,1] neg_hi:[0,0,1]
	v_pk_fma_f32 v[116:117], v[116:117], v[106:107], v[120:121] op_sel:[0,0,1] op_sel_hi:[1,0,0]
	v_dual_mul_f32 v120, v119, v109 :: v_dual_mov_b32 v116, v119
	v_dual_mov_b32 v123, v117 :: v_dual_mov_b32 v117, v118
	s_delay_alu instid0(VALU_DEP_2) | instskip(SKIP_1) | instid1(VALU_DEP_3)
	v_pk_fma_f32 v[120:121], v[118:119], v[58:59], v[120:121] op_sel_hi:[1,1,0] neg_lo:[0,0,1] neg_hi:[0,0,1]
	v_mul_f32_e32 v118, v119, v106
	v_pk_add_f32 v[38:39], v[38:39], v[122:123] neg_lo:[0,1] neg_hi:[0,1]
	s_delay_alu instid0(VALU_DEP_2) | instskip(NEXT) | instid1(VALU_DEP_1)
	v_pk_fma_f32 v[116:117], v[116:117], v[58:59], v[118:119] op_sel_hi:[1,1,0]
	v_mov_b32_e32 v121, v117
	ds_load_2addr_b64 v[116:119], v110 offset0:27 offset1:28
	v_pk_add_f32 v[42:43], v[42:43], v[120:121] neg_lo:[0,1] neg_hi:[0,1]
	s_wait_dscnt 0x0
	v_pk_mul_f32 v[120:121], v[116:117], v[108:109] op_sel:[0,1]
	s_delay_alu instid0(VALU_DEP_1) | instskip(SKIP_1) | instid1(VALU_DEP_1)
	v_pk_fma_f32 v[122:123], v[116:117], v[106:107], v[120:121] op_sel:[0,0,1] op_sel_hi:[1,1,0] neg_lo:[0,0,1] neg_hi:[0,0,1]
	v_pk_fma_f32 v[116:117], v[116:117], v[106:107], v[120:121] op_sel:[0,0,1] op_sel_hi:[1,0,0]
	v_mov_b32_e32 v123, v117
	v_pk_mul_f32 v[116:117], v[118:119], v[108:109] op_sel:[0,1]
	s_delay_alu instid0(VALU_DEP_1) | instskip(SKIP_1) | instid1(VALU_DEP_1)
	v_pk_fma_f32 v[120:121], v[118:119], v[106:107], v[116:117] op_sel:[0,0,1] op_sel_hi:[1,1,0] neg_lo:[0,0,1] neg_hi:[0,0,1]
	v_pk_fma_f32 v[116:117], v[118:119], v[106:107], v[116:117] op_sel:[0,0,1] op_sel_hi:[1,0,0]
	v_mov_b32_e32 v121, v117
	ds_load_2addr_b64 v[116:119], v110 offset0:29 offset1:30
	v_pk_add_f32 v[36:37], v[36:37], v[122:123] neg_lo:[0,1] neg_hi:[0,1]
	v_pk_add_f32 v[82:83], v[82:83], v[120:121] neg_lo:[0,1] neg_hi:[0,1]
	s_wait_dscnt 0x0
	v_pk_mul_f32 v[120:121], v[116:117], v[108:109] op_sel:[0,1]
	s_delay_alu instid0(VALU_DEP_1) | instskip(SKIP_1) | instid1(VALU_DEP_1)
	v_pk_fma_f32 v[122:123], v[116:117], v[106:107], v[120:121] op_sel:[0,0,1] op_sel_hi:[1,1,0] neg_lo:[0,0,1] neg_hi:[0,0,1]
	v_pk_fma_f32 v[116:117], v[116:117], v[106:107], v[120:121] op_sel:[0,0,1] op_sel_hi:[1,0,0]
	v_mov_b32_e32 v123, v117
	v_pk_mul_f32 v[116:117], v[118:119], v[108:109] op_sel:[0,1]
	s_delay_alu instid0(VALU_DEP_1) | instskip(SKIP_1) | instid1(VALU_DEP_1)
	v_pk_fma_f32 v[120:121], v[118:119], v[106:107], v[116:117] op_sel:[0,0,1] op_sel_hi:[1,1,0] neg_lo:[0,0,1] neg_hi:[0,0,1]
	v_pk_fma_f32 v[116:117], v[118:119], v[106:107], v[116:117] op_sel:[0,0,1] op_sel_hi:[1,0,0]
	v_mov_b32_e32 v121, v117
	ds_load_2addr_b64 v[116:119], v110 offset0:31 offset1:32
	v_pk_add_f32 v[32:33], v[32:33], v[122:123] neg_lo:[0,1] neg_hi:[0,1]
	v_pk_add_f32 v[34:35], v[34:35], v[120:121] neg_lo:[0,1] neg_hi:[0,1]
	s_wait_dscnt 0x0
	v_dual_mul_f32 v120, v117, v109 :: v_dual_mul_f32 v122, v117, v106
	s_delay_alu instid0(VALU_DEP_1) | instskip(NEXT) | instid1(VALU_DEP_2)
	v_pk_fma_f32 v[120:121], v[116:117], v[58:59], v[120:121] op_sel_hi:[1,1,0] neg_lo:[0,0,1] neg_hi:[0,0,1]
	v_pk_fma_f32 v[116:117], v[116:117], v[58:59], v[122:123] op_sel:[1,0,0] op_sel_hi:[0,1,0]
	s_delay_alu instid0(VALU_DEP_1) | instskip(SKIP_1) | instid1(VALU_DEP_2)
	v_mov_b32_e32 v121, v117
	v_pk_mul_f32 v[116:117], v[118:119], v[108:109] op_sel:[0,1]
	v_pk_add_f32 v[30:31], v[30:31], v[120:121] neg_lo:[0,1] neg_hi:[0,1]
	s_delay_alu instid0(VALU_DEP_2) | instskip(SKIP_1) | instid1(VALU_DEP_1)
	v_pk_fma_f32 v[120:121], v[118:119], v[106:107], v[116:117] op_sel:[0,0,1] op_sel_hi:[1,1,0] neg_lo:[0,0,1] neg_hi:[0,0,1]
	v_pk_fma_f32 v[116:117], v[118:119], v[106:107], v[116:117] op_sel:[0,0,1] op_sel_hi:[1,0,0]
	v_mov_b32_e32 v121, v117
	ds_load_2addr_b64 v[116:119], v110 offset0:33 offset1:34
	v_pk_add_f32 v[80:81], v[80:81], v[120:121] neg_lo:[0,1] neg_hi:[0,1]
	s_wait_dscnt 0x0
	v_pk_mul_f32 v[120:121], v[116:117], v[108:109] op_sel:[0,1]
	s_delay_alu instid0(VALU_DEP_1) | instskip(SKIP_1) | instid1(VALU_DEP_1)
	v_pk_fma_f32 v[122:123], v[116:117], v[106:107], v[120:121] op_sel:[0,0,1] op_sel_hi:[1,1,0] neg_lo:[0,0,1] neg_hi:[0,0,1]
	v_pk_fma_f32 v[116:117], v[116:117], v[106:107], v[120:121] op_sel:[0,0,1] op_sel_hi:[1,0,0]
	v_mov_b32_e32 v123, v117
	v_pk_mul_f32 v[116:117], v[118:119], v[108:109] op_sel:[0,1]
	s_delay_alu instid0(VALU_DEP_2) | instskip(NEXT) | instid1(VALU_DEP_2)
	v_pk_add_f32 v[24:25], v[24:25], v[122:123] neg_lo:[0,1] neg_hi:[0,1]
	v_pk_fma_f32 v[120:121], v[118:119], v[106:107], v[116:117] op_sel:[0,0,1] op_sel_hi:[1,1,0] neg_lo:[0,0,1] neg_hi:[0,0,1]
	v_pk_fma_f32 v[116:117], v[118:119], v[106:107], v[116:117] op_sel:[0,0,1] op_sel_hi:[1,0,0]
	s_delay_alu instid0(VALU_DEP_1) | instskip(SKIP_4) | instid1(VALU_DEP_1)
	v_mov_b32_e32 v121, v117
	ds_load_2addr_b64 v[116:119], v110 offset0:35 offset1:36
	v_pk_add_f32 v[26:27], v[26:27], v[120:121] neg_lo:[0,1] neg_hi:[0,1]
	s_wait_dscnt 0x0
	v_pk_mul_f32 v[120:121], v[116:117], v[108:109] op_sel:[0,1]
	v_pk_fma_f32 v[122:123], v[116:117], v[106:107], v[120:121] op_sel:[0,0,1] op_sel_hi:[1,1,0] neg_lo:[0,0,1] neg_hi:[0,0,1]
	v_pk_fma_f32 v[116:117], v[116:117], v[106:107], v[120:121] op_sel:[0,0,1] op_sel_hi:[1,0,0]
	v_dual_mul_f32 v120, v119, v109 :: v_dual_mov_b32 v116, v119
	s_delay_alu instid0(VALU_DEP_2) | instskip(NEXT) | instid1(VALU_DEP_2)
	v_dual_mov_b32 v123, v117 :: v_dual_mov_b32 v117, v118
	v_pk_fma_f32 v[120:121], v[118:119], v[58:59], v[120:121] op_sel_hi:[1,1,0] neg_lo:[0,0,1] neg_hi:[0,0,1]
	v_mul_f32_e32 v118, v119, v106
	s_delay_alu instid0(VALU_DEP_3) | instskip(NEXT) | instid1(VALU_DEP_2)
	v_pk_add_f32 v[22:23], v[22:23], v[122:123] neg_lo:[0,1] neg_hi:[0,1]
	v_pk_fma_f32 v[116:117], v[116:117], v[58:59], v[118:119] op_sel_hi:[1,1,0]
	s_delay_alu instid0(VALU_DEP_1) | instskip(SKIP_4) | instid1(VALU_DEP_1)
	v_mov_b32_e32 v121, v117
	ds_load_2addr_b64 v[116:119], v110 offset0:37 offset1:38
	v_pk_add_f32 v[78:79], v[78:79], v[120:121] neg_lo:[0,1] neg_hi:[0,1]
	s_wait_dscnt 0x0
	v_pk_mul_f32 v[120:121], v[116:117], v[108:109] op_sel:[0,1]
	v_pk_fma_f32 v[122:123], v[116:117], v[106:107], v[120:121] op_sel:[0,0,1] op_sel_hi:[1,1,0] neg_lo:[0,0,1] neg_hi:[0,0,1]
	v_pk_fma_f32 v[116:117], v[116:117], v[106:107], v[120:121] op_sel:[0,0,1] op_sel_hi:[1,0,0]
	s_delay_alu instid0(VALU_DEP_1) | instskip(SKIP_1) | instid1(VALU_DEP_1)
	v_mov_b32_e32 v123, v117
	v_pk_mul_f32 v[116:117], v[118:119], v[108:109] op_sel:[0,1]
	v_pk_fma_f32 v[120:121], v[118:119], v[106:107], v[116:117] op_sel:[0,0,1] op_sel_hi:[1,1,0] neg_lo:[0,0,1] neg_hi:[0,0,1]
	v_pk_fma_f32 v[116:117], v[118:119], v[106:107], v[116:117] op_sel:[0,0,1] op_sel_hi:[1,0,0]
	s_delay_alu instid0(VALU_DEP_1)
	v_mov_b32_e32 v121, v117
	ds_load_2addr_b64 v[116:119], v110 offset0:39 offset1:40
	v_pk_add_f32 v[18:19], v[18:19], v[122:123] neg_lo:[0,1] neg_hi:[0,1]
	v_pk_add_f32 v[20:21], v[20:21], v[120:121] neg_lo:[0,1] neg_hi:[0,1]
	s_wait_dscnt 0x0
	v_pk_mul_f32 v[120:121], v[116:117], v[108:109] op_sel:[0,1]
	s_delay_alu instid0(VALU_DEP_1) | instskip(SKIP_1) | instid1(VALU_DEP_1)
	v_pk_fma_f32 v[122:123], v[116:117], v[106:107], v[120:121] op_sel:[0,0,1] op_sel_hi:[1,1,0] neg_lo:[0,0,1] neg_hi:[0,0,1]
	v_pk_fma_f32 v[116:117], v[116:117], v[106:107], v[120:121] op_sel:[0,0,1] op_sel_hi:[1,0,0]
	v_mov_b32_e32 v123, v117
	v_pk_mul_f32 v[116:117], v[118:119], v[108:109] op_sel:[0,1]
	s_delay_alu instid0(VALU_DEP_1) | instskip(SKIP_1) | instid1(VALU_DEP_1)
	v_pk_fma_f32 v[120:121], v[118:119], v[106:107], v[116:117] op_sel:[0,0,1] op_sel_hi:[1,1,0] neg_lo:[0,0,1] neg_hi:[0,0,1]
	v_pk_fma_f32 v[116:117], v[118:119], v[106:107], v[116:117] op_sel:[0,0,1] op_sel_hi:[1,0,0]
	v_mov_b32_e32 v121, v117
	ds_load_2addr_b64 v[116:119], v110 offset0:41 offset1:42
	v_pk_add_f32 v[16:17], v[16:17], v[122:123] neg_lo:[0,1] neg_hi:[0,1]
	v_pk_add_f32 v[76:77], v[76:77], v[120:121] neg_lo:[0,1] neg_hi:[0,1]
	s_wait_dscnt 0x0
	v_dual_mul_f32 v120, v117, v109 :: v_dual_mul_f32 v122, v117, v106
	s_delay_alu instid0(VALU_DEP_1) | instskip(NEXT) | instid1(VALU_DEP_2)
	v_pk_fma_f32 v[120:121], v[116:117], v[58:59], v[120:121] op_sel_hi:[1,1,0] neg_lo:[0,0,1] neg_hi:[0,0,1]
	v_pk_fma_f32 v[116:117], v[116:117], v[58:59], v[122:123] op_sel:[1,0,0] op_sel_hi:[0,1,0]
	s_delay_alu instid0(VALU_DEP_1) | instskip(SKIP_1) | instid1(VALU_DEP_2)
	v_mov_b32_e32 v121, v117
	v_pk_mul_f32 v[116:117], v[118:119], v[108:109] op_sel:[0,1]
	v_pk_add_f32 v[10:11], v[10:11], v[120:121] neg_lo:[0,1] neg_hi:[0,1]
	s_delay_alu instid0(VALU_DEP_2) | instskip(SKIP_1) | instid1(VALU_DEP_1)
	v_pk_fma_f32 v[120:121], v[118:119], v[106:107], v[116:117] op_sel:[0,0,1] op_sel_hi:[1,1,0] neg_lo:[0,0,1] neg_hi:[0,0,1]
	v_pk_fma_f32 v[116:117], v[118:119], v[106:107], v[116:117] op_sel:[0,0,1] op_sel_hi:[1,0,0]
	v_mov_b32_e32 v121, v117
	ds_load_2addr_b64 v[116:119], v110 offset0:43 offset1:44
	v_pk_add_f32 v[12:13], v[12:13], v[120:121] neg_lo:[0,1] neg_hi:[0,1]
	s_wait_dscnt 0x0
	v_pk_mul_f32 v[120:121], v[116:117], v[108:109] op_sel:[0,1]
	s_delay_alu instid0(VALU_DEP_1) | instskip(SKIP_1) | instid1(VALU_DEP_1)
	v_pk_fma_f32 v[122:123], v[116:117], v[106:107], v[120:121] op_sel:[0,0,1] op_sel_hi:[1,1,0] neg_lo:[0,0,1] neg_hi:[0,0,1]
	v_pk_fma_f32 v[116:117], v[116:117], v[106:107], v[120:121] op_sel:[0,0,1] op_sel_hi:[1,0,0]
	v_mov_b32_e32 v123, v117
	v_pk_mul_f32 v[116:117], v[118:119], v[108:109] op_sel:[0,1]
	s_delay_alu instid0(VALU_DEP_2) | instskip(NEXT) | instid1(VALU_DEP_2)
	v_pk_add_f32 v[8:9], v[8:9], v[122:123] neg_lo:[0,1] neg_hi:[0,1]
	v_pk_fma_f32 v[120:121], v[118:119], v[106:107], v[116:117] op_sel:[0,0,1] op_sel_hi:[1,1,0] neg_lo:[0,0,1] neg_hi:[0,0,1]
	v_pk_fma_f32 v[116:117], v[118:119], v[106:107], v[116:117] op_sel:[0,0,1] op_sel_hi:[1,0,0]
	s_delay_alu instid0(VALU_DEP_1) | instskip(SKIP_4) | instid1(VALU_DEP_1)
	v_mov_b32_e32 v121, v117
	ds_load_2addr_b64 v[116:119], v110 offset0:45 offset1:46
	v_pk_add_f32 v[70:71], v[70:71], v[120:121] neg_lo:[0,1] neg_hi:[0,1]
	s_wait_dscnt 0x0
	v_pk_mul_f32 v[120:121], v[116:117], v[108:109] op_sel:[0,1]
	v_pk_fma_f32 v[122:123], v[116:117], v[106:107], v[120:121] op_sel:[0,0,1] op_sel_hi:[1,1,0] neg_lo:[0,0,1] neg_hi:[0,0,1]
	v_pk_fma_f32 v[116:117], v[116:117], v[106:107], v[120:121] op_sel:[0,0,1] op_sel_hi:[1,0,0]
	v_dual_mul_f32 v120, v119, v109 :: v_dual_mov_b32 v116, v119
	s_delay_alu instid0(VALU_DEP_2) | instskip(NEXT) | instid1(VALU_DEP_2)
	v_dual_mov_b32 v123, v117 :: v_dual_mov_b32 v117, v118
	v_pk_fma_f32 v[120:121], v[118:119], v[58:59], v[120:121] op_sel_hi:[1,1,0] neg_lo:[0,0,1] neg_hi:[0,0,1]
	v_mul_f32_e32 v118, v119, v106
	s_delay_alu instid0(VALU_DEP_3) | instskip(NEXT) | instid1(VALU_DEP_2)
	v_pk_add_f32 v[6:7], v[6:7], v[122:123] neg_lo:[0,1] neg_hi:[0,1]
	v_pk_fma_f32 v[116:117], v[116:117], v[58:59], v[118:119] op_sel_hi:[1,1,0]
	s_delay_alu instid0(VALU_DEP_1) | instskip(SKIP_4) | instid1(VALU_DEP_1)
	v_mov_b32_e32 v121, v117
	ds_load_2addr_b64 v[116:119], v110 offset0:47 offset1:48
	v_pk_add_f32 v[46:47], v[46:47], v[120:121] neg_lo:[0,1] neg_hi:[0,1]
	s_wait_dscnt 0x0
	v_pk_mul_f32 v[120:121], v[116:117], v[108:109] op_sel:[0,1]
	v_pk_fma_f32 v[122:123], v[116:117], v[106:107], v[120:121] op_sel:[0,0,1] op_sel_hi:[1,1,0] neg_lo:[0,0,1] neg_hi:[0,0,1]
	v_pk_fma_f32 v[116:117], v[116:117], v[106:107], v[120:121] op_sel:[0,0,1] op_sel_hi:[1,0,0]
	s_delay_alu instid0(VALU_DEP_1) | instskip(SKIP_1) | instid1(VALU_DEP_1)
	v_mov_b32_e32 v123, v117
	v_pk_mul_f32 v[116:117], v[118:119], v[108:109] op_sel:[0,1]
	v_pk_fma_f32 v[120:121], v[118:119], v[106:107], v[116:117] op_sel:[0,0,1] op_sel_hi:[1,1,0] neg_lo:[0,0,1] neg_hi:[0,0,1]
	v_pk_fma_f32 v[116:117], v[118:119], v[106:107], v[116:117] op_sel:[0,0,1] op_sel_hi:[1,0,0]
	s_delay_alu instid0(VALU_DEP_1)
	v_mov_b32_e32 v121, v117
	ds_load_b64 v[116:117], v110 offset:392
	v_pk_add_f32 v[28:29], v[28:29], v[122:123] neg_lo:[0,1] neg_hi:[0,1]
	v_pk_add_f32 v[14:15], v[14:15], v[120:121] neg_lo:[0,1] neg_hi:[0,1]
	s_wait_dscnt 0x0
	v_pk_mul_f32 v[108:109], v[116:117], v[108:109] op_sel:[0,1]
	s_delay_alu instid0(VALU_DEP_1) | instskip(SKIP_1) | instid1(VALU_DEP_1)
	v_pk_fma_f32 v[118:119], v[116:117], v[106:107], v[108:109] op_sel:[0,0,1] op_sel_hi:[1,1,0] neg_lo:[0,0,1] neg_hi:[0,0,1]
	v_pk_fma_f32 v[106:107], v[116:117], v[106:107], v[108:109] op_sel:[0,0,1] op_sel_hi:[1,0,0]
	v_mov_b32_e32 v119, v107
	s_delay_alu instid0(VALU_DEP_1)
	v_pk_add_f32 v[104:105], v[104:105], v[118:119] neg_lo:[0,1] neg_hi:[0,1]
.LBB98_482:
	s_or_b32 exec_lo, exec_lo, s0
	v_lshl_add_u32 v106, v114, 3, v110
	s_barrier_signal -1
	s_barrier_wait -1
	ds_store_b64 v106, v[54:55]
	s_wait_dscnt 0x0
	s_barrier_signal -1
	s_barrier_wait -1
	ds_load_b64 v[108:109], v110 offset:184
	v_mov_b32_e32 v106, 23
	s_cmp_lt_i32 s18, 25
	s_cbranch_scc1 .LBB98_485
; %bb.483:
	v_add3_u32 v107, v111, 0, 0xc0
	v_mov_b32_e32 v106, 23
	s_mov_b32 s0, 24
.LBB98_484:                             ; =>This Inner Loop Header: Depth=1
	ds_load_b64 v[116:117], v107
	s_wait_dscnt 0x1
	v_cmp_gt_f32_e32 vcc_lo, 0, v108
	v_cndmask_b32_e64 v118, v108, -v108, vcc_lo
	v_cmp_gt_f32_e32 vcc_lo, 0, v109
	v_cndmask_b32_e64 v120, v109, -v109, vcc_lo
	s_wait_dscnt 0x0
	v_cmp_gt_f32_e32 vcc_lo, 0, v116
	v_cndmask_b32_e64 v119, v116, -v116, vcc_lo
	v_cmp_gt_f32_e32 vcc_lo, 0, v117
	v_cndmask_b32_e64 v121, v117, -v117, vcc_lo
	s_delay_alu instid0(VALU_DEP_1) | instskip(NEXT) | instid1(VALU_DEP_1)
	v_pk_add_f32 v[118:119], v[118:119], v[120:121]
	v_cmp_lt_f32_e32 vcc_lo, v118, v119
	v_dual_add_nc_u32 v107, 8, v107 :: v_dual_cndmask_b32 v109, v109, v117, vcc_lo
	v_cndmask_b32_e32 v108, v108, v116, vcc_lo
	v_cndmask_b32_e64 v106, v106, s0, vcc_lo
	s_add_co_i32 s0, s0, 1
	s_delay_alu instid0(SALU_CYCLE_1)
	s_cmp_lg_u32 s18, s0
	s_cbranch_scc1 .LBB98_484
.LBB98_485:
	s_wait_dscnt 0x0
	v_cmp_eq_f32_e32 vcc_lo, 0, v108
	v_cmp_eq_f32_e64 s0, 0, v109
	s_and_b32 s0, vcc_lo, s0
	s_delay_alu instid0(SALU_CYCLE_1) | instskip(NEXT) | instid1(SALU_CYCLE_1)
	s_and_saveexec_b32 s1, s0
	s_xor_b32 s0, exec_lo, s1
; %bb.486:
	v_cmp_ne_u32_e32 vcc_lo, 0, v112
	v_cndmask_b32_e32 v112, 24, v112, vcc_lo
; %bb.487:
	s_and_not1_saveexec_b32 s0, s0
	s_cbranch_execz .LBB98_493
; %bb.488:
	v_cmp_ngt_f32_e64 s1, |v108|, |v109|
	s_and_saveexec_b32 s12, s1
	s_delay_alu instid0(SALU_CYCLE_1)
	s_xor_b32 s1, exec_lo, s12
	s_cbranch_execz .LBB98_490
; %bb.489:
	v_div_scale_f32 v107, null, v109, v109, v108
	v_div_scale_f32 v117, vcc_lo, v108, v109, v108
	s_delay_alu instid0(VALU_DEP_2) | instskip(SKIP_1) | instid1(TRANS32_DEP_1)
	v_rcp_f32_e32 v115, v107
	v_nop
	v_fma_f32 v116, -v107, v115, 1.0
	s_delay_alu instid0(VALU_DEP_1) | instskip(NEXT) | instid1(VALU_DEP_1)
	v_fmac_f32_e32 v115, v116, v115
	v_mul_f32_e32 v116, v117, v115
	s_delay_alu instid0(VALU_DEP_1) | instskip(NEXT) | instid1(VALU_DEP_1)
	v_fma_f32 v118, -v107, v116, v117
	v_fmac_f32_e32 v116, v118, v115
	s_delay_alu instid0(VALU_DEP_1) | instskip(NEXT) | instid1(VALU_DEP_1)
	v_fma_f32 v107, -v107, v116, v117
	v_div_fmas_f32 v107, v107, v115, v116
	s_delay_alu instid0(VALU_DEP_1) | instskip(NEXT) | instid1(VALU_DEP_1)
	v_div_fixup_f32 v107, v107, v109, v108
	v_fmac_f32_e32 v109, v108, v107
	s_delay_alu instid0(VALU_DEP_1) | instskip(SKIP_1) | instid1(VALU_DEP_2)
	v_div_scale_f32 v108, null, v109, v109, 1.0
	v_div_scale_f32 v117, vcc_lo, 1.0, v109, 1.0
	v_rcp_f32_e32 v115, v108
	v_nop
	s_delay_alu instid0(TRANS32_DEP_1) | instskip(NEXT) | instid1(VALU_DEP_1)
	v_fma_f32 v116, -v108, v115, 1.0
	v_fmac_f32_e32 v115, v116, v115
	s_delay_alu instid0(VALU_DEP_1) | instskip(NEXT) | instid1(VALU_DEP_1)
	v_mul_f32_e32 v116, v117, v115
	v_fma_f32 v118, -v108, v116, v117
	s_delay_alu instid0(VALU_DEP_1) | instskip(NEXT) | instid1(VALU_DEP_1)
	v_fmac_f32_e32 v116, v118, v115
	v_fma_f32 v108, -v108, v116, v117
	s_delay_alu instid0(VALU_DEP_1) | instskip(NEXT) | instid1(VALU_DEP_1)
	v_div_fmas_f32 v108, v108, v115, v116
	v_div_fixup_f32 v109, v108, v109, 1.0
	s_delay_alu instid0(VALU_DEP_1)
	v_mul_f32_e32 v108, v107, v109
	v_xor_b32_e32 v109, 0x80000000, v109
.LBB98_490:
	s_and_not1_saveexec_b32 s1, s1
	s_cbranch_execz .LBB98_492
; %bb.491:
	s_delay_alu instid0(VALU_DEP_1) | instskip(SKIP_1) | instid1(VALU_DEP_2)
	v_div_scale_f32 v107, null, v108, v108, v109
	v_div_scale_f32 v117, vcc_lo, v109, v108, v109
	v_rcp_f32_e32 v115, v107
	v_nop
	s_delay_alu instid0(TRANS32_DEP_1) | instskip(NEXT) | instid1(VALU_DEP_1)
	v_fma_f32 v116, -v107, v115, 1.0
	v_fmac_f32_e32 v115, v116, v115
	s_delay_alu instid0(VALU_DEP_1) | instskip(NEXT) | instid1(VALU_DEP_1)
	v_mul_f32_e32 v116, v117, v115
	v_fma_f32 v118, -v107, v116, v117
	s_delay_alu instid0(VALU_DEP_1) | instskip(NEXT) | instid1(VALU_DEP_1)
	v_fmac_f32_e32 v116, v118, v115
	v_fma_f32 v107, -v107, v116, v117
	s_delay_alu instid0(VALU_DEP_1) | instskip(NEXT) | instid1(VALU_DEP_1)
	v_div_fmas_f32 v107, v107, v115, v116
	v_div_fixup_f32 v107, v107, v108, v109
	s_delay_alu instid0(VALU_DEP_1) | instskip(NEXT) | instid1(VALU_DEP_1)
	v_fmac_f32_e32 v108, v109, v107
	v_div_scale_f32 v109, null, v108, v108, 1.0
	s_delay_alu instid0(VALU_DEP_1) | instskip(SKIP_1) | instid1(TRANS32_DEP_1)
	v_rcp_f32_e32 v115, v109
	v_nop
	v_fma_f32 v116, -v109, v115, 1.0
	s_delay_alu instid0(VALU_DEP_1) | instskip(SKIP_1) | instid1(VALU_DEP_1)
	v_fmac_f32_e32 v115, v116, v115
	v_div_scale_f32 v116, vcc_lo, 1.0, v108, 1.0
	v_mul_f32_e32 v117, v116, v115
	s_delay_alu instid0(VALU_DEP_1) | instskip(NEXT) | instid1(VALU_DEP_1)
	v_fma_f32 v118, -v109, v117, v116
	v_fmac_f32_e32 v117, v118, v115
	s_delay_alu instid0(VALU_DEP_1) | instskip(NEXT) | instid1(VALU_DEP_1)
	v_fma_f32 v109, -v109, v117, v116
	v_div_fmas_f32 v109, v109, v115, v117
	s_delay_alu instid0(VALU_DEP_1) | instskip(NEXT) | instid1(VALU_DEP_1)
	v_div_fixup_f32 v108, v109, v108, 1.0
	v_mul_f32_e64 v109, v107, -v108
.LBB98_492:
	s_or_b32 exec_lo, exec_lo, s1
.LBB98_493:
	s_delay_alu instid0(SALU_CYCLE_1) | instskip(NEXT) | instid1(SALU_CYCLE_1)
	s_or_b32 exec_lo, exec_lo, s0
	s_mov_b32 s0, exec_lo
	v_cmpx_ne_u32_e64 v114, v106
	s_xor_b32 s0, exec_lo, s0
	s_cbranch_execz .LBB98_499
; %bb.494:
	s_mov_b32 s1, exec_lo
	v_cmpx_eq_u32_e32 23, v114
	s_cbranch_execz .LBB98_498
; %bb.495:
	v_cmp_ne_u32_e32 vcc_lo, 23, v106
	s_xor_b32 s12, s16, -1
	s_delay_alu instid0(SALU_CYCLE_1) | instskip(NEXT) | instid1(SALU_CYCLE_1)
	s_and_b32 s13, s12, vcc_lo
	s_and_saveexec_b32 s12, s13
	s_cbranch_execz .LBB98_497
; %bb.496:
	v_ashrrev_i32_e32 v107, 31, v106
	s_delay_alu instid0(VALU_DEP_1)
	v_lshl_add_u64 v[114:115], v[106:107], 2, v[4:5]
	s_clause 0x1
	global_load_b32 v107, v[114:115], off
	global_load_b32 v113, v[4:5], off offset:92
	s_wait_loadcnt 0x1
	global_store_b32 v[4:5], v107, off offset:92
	s_wait_loadcnt 0x0
	global_store_b32 v[114:115], v113, off
.LBB98_497:
	s_wait_xcnt 0x0
	s_or_b32 exec_lo, exec_lo, s12
	v_dual_mov_b32 v114, v106 :: v_dual_mov_b32 v113, v106
.LBB98_498:
	s_or_b32 exec_lo, exec_lo, s1
.LBB98_499:
	s_and_not1_saveexec_b32 s0, s0
	s_cbranch_execz .LBB98_501
; %bb.500:
	v_dual_mov_b32 v106, v86 :: v_dual_mov_b32 v107, v87
	v_dual_mov_b32 v114, v38 :: v_dual_mov_b32 v115, v39
	ds_store_2addr_b64 v110, v[106:107], v[114:115] offset0:24 offset1:25
	v_dual_mov_b32 v106, v42 :: v_dual_mov_b32 v107, v43
	v_dual_mov_b32 v114, v36 :: v_dual_mov_b32 v115, v37
	ds_store_2addr_b64 v110, v[106:107], v[114:115] offset0:26 offset1:27
	;; [unrolled: 3-line block ×12, first 2 shown]
	v_dual_mov_b32 v106, v14 :: v_dual_mov_b32 v107, v15
	v_mov_b32_e32 v114, 23
	ds_store_2addr_b64 v110, v[106:107], v[104:105] offset0:48 offset1:49
.LBB98_501:
	s_or_b32 exec_lo, exec_lo, s0
	s_delay_alu instid0(SALU_CYCLE_1)
	s_mov_b32 s0, exec_lo
	s_wait_storecnt_dscnt 0x0
	s_barrier_signal -1
	s_barrier_wait -1
	v_cmpx_lt_i32_e32 23, v114
	s_cbranch_execz .LBB98_503
; %bb.502:
	v_pk_mul_f32 v[116:117], v[108:109], v[54:55] op_sel:[1,1] op_sel_hi:[0,1]
	s_delay_alu instid0(VALU_DEP_1)
	v_pk_fma_f32 v[106:107], v[108:109], v[54:55], v[116:117] op_sel_hi:[1,0,1] neg_lo:[0,0,1] neg_hi:[0,0,1]
	v_pk_fma_f32 v[108:109], v[108:109], v[54:55], v[116:117] op_sel_hi:[1,0,1]
	ds_load_2addr_b64 v[116:119], v110 offset0:24 offset1:25
	v_dual_mov_b32 v54, v106 :: v_dual_mov_b32 v55, v109
	s_wait_dscnt 0x0
	v_pk_mul_f32 v[120:121], v[116:117], v[108:109] op_sel:[0,1]
	s_delay_alu instid0(VALU_DEP_1) | instskip(SKIP_1) | instid1(VALU_DEP_1)
	v_pk_fma_f32 v[122:123], v[116:117], v[106:107], v[120:121] op_sel:[0,0,1] op_sel_hi:[1,1,0] neg_lo:[0,0,1] neg_hi:[0,0,1]
	v_pk_fma_f32 v[116:117], v[116:117], v[106:107], v[120:121] op_sel:[0,0,1] op_sel_hi:[1,0,0]
	v_mov_b32_e32 v123, v117
	v_pk_mul_f32 v[116:117], v[118:119], v[108:109] op_sel:[0,1]
	s_delay_alu instid0(VALU_DEP_1) | instskip(SKIP_1) | instid1(VALU_DEP_1)
	v_pk_fma_f32 v[120:121], v[118:119], v[106:107], v[116:117] op_sel:[0,0,1] op_sel_hi:[1,1,0] neg_lo:[0,0,1] neg_hi:[0,0,1]
	v_pk_fma_f32 v[116:117], v[118:119], v[106:107], v[116:117] op_sel:[0,0,1] op_sel_hi:[1,0,0]
	v_mov_b32_e32 v121, v117
	ds_load_2addr_b64 v[116:119], v110 offset0:26 offset1:27
	v_pk_add_f32 v[86:87], v[86:87], v[122:123] neg_lo:[0,1] neg_hi:[0,1]
	v_pk_add_f32 v[38:39], v[38:39], v[120:121] neg_lo:[0,1] neg_hi:[0,1]
	s_wait_dscnt 0x0
	v_pk_mul_f32 v[120:121], v[116:117], v[108:109] op_sel:[0,1]
	s_delay_alu instid0(VALU_DEP_1) | instskip(SKIP_2) | instid1(VALU_DEP_2)
	v_pk_fma_f32 v[122:123], v[116:117], v[106:107], v[120:121] op_sel:[0,0,1] op_sel_hi:[1,1,0] neg_lo:[0,0,1] neg_hi:[0,0,1]
	v_pk_fma_f32 v[116:117], v[116:117], v[106:107], v[120:121] op_sel:[0,0,1] op_sel_hi:[1,0,0]
	v_dual_mul_f32 v120, v119, v109 :: v_dual_mov_b32 v116, v119
	v_dual_mov_b32 v123, v117 :: v_dual_mov_b32 v117, v118
	s_delay_alu instid0(VALU_DEP_2) | instskip(SKIP_1) | instid1(VALU_DEP_3)
	v_pk_fma_f32 v[120:121], v[118:119], v[54:55], v[120:121] op_sel_hi:[1,1,0] neg_lo:[0,0,1] neg_hi:[0,0,1]
	v_mul_f32_e32 v118, v119, v106
	v_pk_add_f32 v[42:43], v[42:43], v[122:123] neg_lo:[0,1] neg_hi:[0,1]
	s_delay_alu instid0(VALU_DEP_2) | instskip(NEXT) | instid1(VALU_DEP_1)
	v_pk_fma_f32 v[116:117], v[116:117], v[54:55], v[118:119] op_sel_hi:[1,1,0]
	v_mov_b32_e32 v121, v117
	ds_load_2addr_b64 v[116:119], v110 offset0:28 offset1:29
	v_pk_add_f32 v[36:37], v[36:37], v[120:121] neg_lo:[0,1] neg_hi:[0,1]
	s_wait_dscnt 0x0
	v_pk_mul_f32 v[120:121], v[116:117], v[108:109] op_sel:[0,1]
	s_delay_alu instid0(VALU_DEP_1) | instskip(SKIP_1) | instid1(VALU_DEP_1)
	v_pk_fma_f32 v[122:123], v[116:117], v[106:107], v[120:121] op_sel:[0,0,1] op_sel_hi:[1,1,0] neg_lo:[0,0,1] neg_hi:[0,0,1]
	v_pk_fma_f32 v[116:117], v[116:117], v[106:107], v[120:121] op_sel:[0,0,1] op_sel_hi:[1,0,0]
	v_mov_b32_e32 v123, v117
	v_pk_mul_f32 v[116:117], v[118:119], v[108:109] op_sel:[0,1]
	s_delay_alu instid0(VALU_DEP_1) | instskip(SKIP_1) | instid1(VALU_DEP_1)
	v_pk_fma_f32 v[120:121], v[118:119], v[106:107], v[116:117] op_sel:[0,0,1] op_sel_hi:[1,1,0] neg_lo:[0,0,1] neg_hi:[0,0,1]
	v_pk_fma_f32 v[116:117], v[118:119], v[106:107], v[116:117] op_sel:[0,0,1] op_sel_hi:[1,0,0]
	v_mov_b32_e32 v121, v117
	ds_load_2addr_b64 v[116:119], v110 offset0:30 offset1:31
	v_pk_add_f32 v[82:83], v[82:83], v[122:123] neg_lo:[0,1] neg_hi:[0,1]
	v_pk_add_f32 v[32:33], v[32:33], v[120:121] neg_lo:[0,1] neg_hi:[0,1]
	s_wait_dscnt 0x0
	v_pk_mul_f32 v[120:121], v[116:117], v[108:109] op_sel:[0,1]
	s_delay_alu instid0(VALU_DEP_1) | instskip(SKIP_1) | instid1(VALU_DEP_1)
	v_pk_fma_f32 v[122:123], v[116:117], v[106:107], v[120:121] op_sel:[0,0,1] op_sel_hi:[1,1,0] neg_lo:[0,0,1] neg_hi:[0,0,1]
	v_pk_fma_f32 v[116:117], v[116:117], v[106:107], v[120:121] op_sel:[0,0,1] op_sel_hi:[1,0,0]
	v_mov_b32_e32 v123, v117
	v_pk_mul_f32 v[116:117], v[118:119], v[108:109] op_sel:[0,1]
	s_delay_alu instid0(VALU_DEP_1) | instskip(SKIP_1) | instid1(VALU_DEP_1)
	v_pk_fma_f32 v[120:121], v[118:119], v[106:107], v[116:117] op_sel:[0,0,1] op_sel_hi:[1,1,0] neg_lo:[0,0,1] neg_hi:[0,0,1]
	v_pk_fma_f32 v[116:117], v[118:119], v[106:107], v[116:117] op_sel:[0,0,1] op_sel_hi:[1,0,0]
	v_mov_b32_e32 v121, v117
	ds_load_2addr_b64 v[116:119], v110 offset0:32 offset1:33
	v_pk_add_f32 v[34:35], v[34:35], v[122:123] neg_lo:[0,1] neg_hi:[0,1]
	v_pk_add_f32 v[30:31], v[30:31], v[120:121] neg_lo:[0,1] neg_hi:[0,1]
	s_wait_dscnt 0x0
	v_dual_mul_f32 v120, v117, v109 :: v_dual_mul_f32 v122, v117, v106
	s_delay_alu instid0(VALU_DEP_1) | instskip(NEXT) | instid1(VALU_DEP_2)
	v_pk_fma_f32 v[120:121], v[116:117], v[54:55], v[120:121] op_sel_hi:[1,1,0] neg_lo:[0,0,1] neg_hi:[0,0,1]
	v_pk_fma_f32 v[116:117], v[116:117], v[54:55], v[122:123] op_sel:[1,0,0] op_sel_hi:[0,1,0]
	s_delay_alu instid0(VALU_DEP_1) | instskip(SKIP_1) | instid1(VALU_DEP_2)
	v_mov_b32_e32 v121, v117
	v_pk_mul_f32 v[116:117], v[118:119], v[108:109] op_sel:[0,1]
	v_pk_add_f32 v[80:81], v[80:81], v[120:121] neg_lo:[0,1] neg_hi:[0,1]
	s_delay_alu instid0(VALU_DEP_2) | instskip(SKIP_1) | instid1(VALU_DEP_1)
	v_pk_fma_f32 v[120:121], v[118:119], v[106:107], v[116:117] op_sel:[0,0,1] op_sel_hi:[1,1,0] neg_lo:[0,0,1] neg_hi:[0,0,1]
	v_pk_fma_f32 v[116:117], v[118:119], v[106:107], v[116:117] op_sel:[0,0,1] op_sel_hi:[1,0,0]
	v_mov_b32_e32 v121, v117
	ds_load_2addr_b64 v[116:119], v110 offset0:34 offset1:35
	v_pk_add_f32 v[24:25], v[24:25], v[120:121] neg_lo:[0,1] neg_hi:[0,1]
	s_wait_dscnt 0x0
	v_pk_mul_f32 v[120:121], v[116:117], v[108:109] op_sel:[0,1]
	s_delay_alu instid0(VALU_DEP_1) | instskip(SKIP_1) | instid1(VALU_DEP_1)
	v_pk_fma_f32 v[122:123], v[116:117], v[106:107], v[120:121] op_sel:[0,0,1] op_sel_hi:[1,1,0] neg_lo:[0,0,1] neg_hi:[0,0,1]
	v_pk_fma_f32 v[116:117], v[116:117], v[106:107], v[120:121] op_sel:[0,0,1] op_sel_hi:[1,0,0]
	v_mov_b32_e32 v123, v117
	v_pk_mul_f32 v[116:117], v[118:119], v[108:109] op_sel:[0,1]
	s_delay_alu instid0(VALU_DEP_2) | instskip(NEXT) | instid1(VALU_DEP_2)
	v_pk_add_f32 v[26:27], v[26:27], v[122:123] neg_lo:[0,1] neg_hi:[0,1]
	v_pk_fma_f32 v[120:121], v[118:119], v[106:107], v[116:117] op_sel:[0,0,1] op_sel_hi:[1,1,0] neg_lo:[0,0,1] neg_hi:[0,0,1]
	v_pk_fma_f32 v[116:117], v[118:119], v[106:107], v[116:117] op_sel:[0,0,1] op_sel_hi:[1,0,0]
	s_delay_alu instid0(VALU_DEP_1) | instskip(SKIP_4) | instid1(VALU_DEP_1)
	v_mov_b32_e32 v121, v117
	ds_load_2addr_b64 v[116:119], v110 offset0:36 offset1:37
	v_pk_add_f32 v[22:23], v[22:23], v[120:121] neg_lo:[0,1] neg_hi:[0,1]
	s_wait_dscnt 0x0
	v_pk_mul_f32 v[120:121], v[116:117], v[108:109] op_sel:[0,1]
	v_pk_fma_f32 v[122:123], v[116:117], v[106:107], v[120:121] op_sel:[0,0,1] op_sel_hi:[1,1,0] neg_lo:[0,0,1] neg_hi:[0,0,1]
	v_pk_fma_f32 v[116:117], v[116:117], v[106:107], v[120:121] op_sel:[0,0,1] op_sel_hi:[1,0,0]
	v_dual_mul_f32 v120, v119, v109 :: v_dual_mov_b32 v116, v119
	s_delay_alu instid0(VALU_DEP_2) | instskip(NEXT) | instid1(VALU_DEP_2)
	v_dual_mov_b32 v123, v117 :: v_dual_mov_b32 v117, v118
	v_pk_fma_f32 v[120:121], v[118:119], v[54:55], v[120:121] op_sel_hi:[1,1,0] neg_lo:[0,0,1] neg_hi:[0,0,1]
	v_mul_f32_e32 v118, v119, v106
	s_delay_alu instid0(VALU_DEP_3) | instskip(NEXT) | instid1(VALU_DEP_2)
	v_pk_add_f32 v[78:79], v[78:79], v[122:123] neg_lo:[0,1] neg_hi:[0,1]
	v_pk_fma_f32 v[116:117], v[116:117], v[54:55], v[118:119] op_sel_hi:[1,1,0]
	s_delay_alu instid0(VALU_DEP_1) | instskip(SKIP_4) | instid1(VALU_DEP_1)
	v_mov_b32_e32 v121, v117
	ds_load_2addr_b64 v[116:119], v110 offset0:38 offset1:39
	v_pk_add_f32 v[18:19], v[18:19], v[120:121] neg_lo:[0,1] neg_hi:[0,1]
	s_wait_dscnt 0x0
	v_pk_mul_f32 v[120:121], v[116:117], v[108:109] op_sel:[0,1]
	v_pk_fma_f32 v[122:123], v[116:117], v[106:107], v[120:121] op_sel:[0,0,1] op_sel_hi:[1,1,0] neg_lo:[0,0,1] neg_hi:[0,0,1]
	v_pk_fma_f32 v[116:117], v[116:117], v[106:107], v[120:121] op_sel:[0,0,1] op_sel_hi:[1,0,0]
	s_delay_alu instid0(VALU_DEP_1) | instskip(SKIP_1) | instid1(VALU_DEP_1)
	v_mov_b32_e32 v123, v117
	v_pk_mul_f32 v[116:117], v[118:119], v[108:109] op_sel:[0,1]
	v_pk_fma_f32 v[120:121], v[118:119], v[106:107], v[116:117] op_sel:[0,0,1] op_sel_hi:[1,1,0] neg_lo:[0,0,1] neg_hi:[0,0,1]
	v_pk_fma_f32 v[116:117], v[118:119], v[106:107], v[116:117] op_sel:[0,0,1] op_sel_hi:[1,0,0]
	s_delay_alu instid0(VALU_DEP_1)
	v_mov_b32_e32 v121, v117
	ds_load_2addr_b64 v[116:119], v110 offset0:40 offset1:41
	v_pk_add_f32 v[20:21], v[20:21], v[122:123] neg_lo:[0,1] neg_hi:[0,1]
	v_pk_add_f32 v[16:17], v[16:17], v[120:121] neg_lo:[0,1] neg_hi:[0,1]
	s_wait_dscnt 0x0
	v_pk_mul_f32 v[120:121], v[116:117], v[108:109] op_sel:[0,1]
	s_delay_alu instid0(VALU_DEP_1) | instskip(SKIP_1) | instid1(VALU_DEP_1)
	v_pk_fma_f32 v[122:123], v[116:117], v[106:107], v[120:121] op_sel:[0,0,1] op_sel_hi:[1,1,0] neg_lo:[0,0,1] neg_hi:[0,0,1]
	v_pk_fma_f32 v[116:117], v[116:117], v[106:107], v[120:121] op_sel:[0,0,1] op_sel_hi:[1,0,0]
	v_mov_b32_e32 v123, v117
	v_pk_mul_f32 v[116:117], v[118:119], v[108:109] op_sel:[0,1]
	s_delay_alu instid0(VALU_DEP_1) | instskip(SKIP_1) | instid1(VALU_DEP_1)
	v_pk_fma_f32 v[120:121], v[118:119], v[106:107], v[116:117] op_sel:[0,0,1] op_sel_hi:[1,1,0] neg_lo:[0,0,1] neg_hi:[0,0,1]
	v_pk_fma_f32 v[116:117], v[118:119], v[106:107], v[116:117] op_sel:[0,0,1] op_sel_hi:[1,0,0]
	v_mov_b32_e32 v121, v117
	ds_load_2addr_b64 v[116:119], v110 offset0:42 offset1:43
	v_pk_add_f32 v[76:77], v[76:77], v[122:123] neg_lo:[0,1] neg_hi:[0,1]
	v_pk_add_f32 v[10:11], v[10:11], v[120:121] neg_lo:[0,1] neg_hi:[0,1]
	s_wait_dscnt 0x0
	v_dual_mul_f32 v120, v117, v109 :: v_dual_mul_f32 v122, v117, v106
	s_delay_alu instid0(VALU_DEP_1) | instskip(NEXT) | instid1(VALU_DEP_2)
	v_pk_fma_f32 v[120:121], v[116:117], v[54:55], v[120:121] op_sel_hi:[1,1,0] neg_lo:[0,0,1] neg_hi:[0,0,1]
	v_pk_fma_f32 v[116:117], v[116:117], v[54:55], v[122:123] op_sel:[1,0,0] op_sel_hi:[0,1,0]
	s_delay_alu instid0(VALU_DEP_1) | instskip(SKIP_1) | instid1(VALU_DEP_2)
	v_mov_b32_e32 v121, v117
	v_pk_mul_f32 v[116:117], v[118:119], v[108:109] op_sel:[0,1]
	v_pk_add_f32 v[12:13], v[12:13], v[120:121] neg_lo:[0,1] neg_hi:[0,1]
	s_delay_alu instid0(VALU_DEP_2) | instskip(SKIP_1) | instid1(VALU_DEP_1)
	v_pk_fma_f32 v[120:121], v[118:119], v[106:107], v[116:117] op_sel:[0,0,1] op_sel_hi:[1,1,0] neg_lo:[0,0,1] neg_hi:[0,0,1]
	v_pk_fma_f32 v[116:117], v[118:119], v[106:107], v[116:117] op_sel:[0,0,1] op_sel_hi:[1,0,0]
	v_mov_b32_e32 v121, v117
	ds_load_2addr_b64 v[116:119], v110 offset0:44 offset1:45
	v_pk_add_f32 v[8:9], v[8:9], v[120:121] neg_lo:[0,1] neg_hi:[0,1]
	s_wait_dscnt 0x0
	v_pk_mul_f32 v[120:121], v[116:117], v[108:109] op_sel:[0,1]
	s_delay_alu instid0(VALU_DEP_1) | instskip(SKIP_1) | instid1(VALU_DEP_1)
	v_pk_fma_f32 v[122:123], v[116:117], v[106:107], v[120:121] op_sel:[0,0,1] op_sel_hi:[1,1,0] neg_lo:[0,0,1] neg_hi:[0,0,1]
	v_pk_fma_f32 v[116:117], v[116:117], v[106:107], v[120:121] op_sel:[0,0,1] op_sel_hi:[1,0,0]
	v_mov_b32_e32 v123, v117
	v_pk_mul_f32 v[116:117], v[118:119], v[108:109] op_sel:[0,1]
	s_delay_alu instid0(VALU_DEP_2) | instskip(NEXT) | instid1(VALU_DEP_2)
	v_pk_add_f32 v[70:71], v[70:71], v[122:123] neg_lo:[0,1] neg_hi:[0,1]
	v_pk_fma_f32 v[120:121], v[118:119], v[106:107], v[116:117] op_sel:[0,0,1] op_sel_hi:[1,1,0] neg_lo:[0,0,1] neg_hi:[0,0,1]
	v_pk_fma_f32 v[116:117], v[118:119], v[106:107], v[116:117] op_sel:[0,0,1] op_sel_hi:[1,0,0]
	s_delay_alu instid0(VALU_DEP_1) | instskip(SKIP_4) | instid1(VALU_DEP_1)
	v_mov_b32_e32 v121, v117
	ds_load_2addr_b64 v[116:119], v110 offset0:46 offset1:47
	v_pk_add_f32 v[6:7], v[6:7], v[120:121] neg_lo:[0,1] neg_hi:[0,1]
	s_wait_dscnt 0x0
	v_pk_mul_f32 v[120:121], v[116:117], v[108:109] op_sel:[0,1]
	v_pk_fma_f32 v[122:123], v[116:117], v[106:107], v[120:121] op_sel:[0,0,1] op_sel_hi:[1,1,0] neg_lo:[0,0,1] neg_hi:[0,0,1]
	v_pk_fma_f32 v[116:117], v[116:117], v[106:107], v[120:121] op_sel:[0,0,1] op_sel_hi:[1,0,0]
	v_dual_mul_f32 v120, v119, v109 :: v_dual_mov_b32 v116, v119
	s_delay_alu instid0(VALU_DEP_2) | instskip(NEXT) | instid1(VALU_DEP_2)
	v_dual_mov_b32 v123, v117 :: v_dual_mov_b32 v117, v118
	v_pk_fma_f32 v[120:121], v[118:119], v[54:55], v[120:121] op_sel_hi:[1,1,0] neg_lo:[0,0,1] neg_hi:[0,0,1]
	v_mul_f32_e32 v118, v119, v106
	s_delay_alu instid0(VALU_DEP_3) | instskip(NEXT) | instid1(VALU_DEP_2)
	v_pk_add_f32 v[46:47], v[46:47], v[122:123] neg_lo:[0,1] neg_hi:[0,1]
	v_pk_fma_f32 v[116:117], v[116:117], v[54:55], v[118:119] op_sel_hi:[1,1,0]
	s_delay_alu instid0(VALU_DEP_1)
	v_mov_b32_e32 v121, v117
	ds_load_2addr_b64 v[116:119], v110 offset0:48 offset1:49
	v_pk_add_f32 v[28:29], v[28:29], v[120:121] neg_lo:[0,1] neg_hi:[0,1]
	s_wait_dscnt 0x0
	v_pk_mul_f32 v[120:121], v[116:117], v[108:109] op_sel:[0,1]
	v_pk_mul_f32 v[108:109], v[118:119], v[108:109] op_sel:[0,1]
	s_delay_alu instid0(VALU_DEP_2) | instskip(SKIP_1) | instid1(VALU_DEP_1)
	v_pk_fma_f32 v[122:123], v[116:117], v[106:107], v[120:121] op_sel:[0,0,1] op_sel_hi:[1,1,0] neg_lo:[0,0,1] neg_hi:[0,0,1]
	v_pk_fma_f32 v[116:117], v[116:117], v[106:107], v[120:121] op_sel:[0,0,1] op_sel_hi:[1,0,0]
	v_mov_b32_e32 v123, v117
	s_delay_alu instid0(VALU_DEP_4) | instskip(SKIP_1) | instid1(VALU_DEP_1)
	v_pk_fma_f32 v[116:117], v[118:119], v[106:107], v[108:109] op_sel:[0,0,1] op_sel_hi:[1,1,0] neg_lo:[0,0,1] neg_hi:[0,0,1]
	v_pk_fma_f32 v[106:107], v[118:119], v[106:107], v[108:109] op_sel:[0,0,1] op_sel_hi:[1,0,0]
	v_mov_b32_e32 v117, v107
	s_delay_alu instid0(VALU_DEP_4) | instskip(NEXT) | instid1(VALU_DEP_2)
	v_pk_add_f32 v[14:15], v[14:15], v[122:123] neg_lo:[0,1] neg_hi:[0,1]
	v_pk_add_f32 v[104:105], v[104:105], v[116:117] neg_lo:[0,1] neg_hi:[0,1]
.LBB98_503:
	s_or_b32 exec_lo, exec_lo, s0
	v_lshl_add_u32 v106, v114, 3, v110
	s_barrier_signal -1
	s_barrier_wait -1
	ds_store_b64 v106, v[86:87]
	s_wait_dscnt 0x0
	s_barrier_signal -1
	s_barrier_wait -1
	ds_load_b64 v[108:109], v110 offset:192
	v_mov_b32_e32 v106, 24
	s_cmp_lt_i32 s18, 26
	s_cbranch_scc1 .LBB98_506
; %bb.504:
	v_add3_u32 v107, v111, 0, 0xc8
	v_mov_b32_e32 v106, 24
	s_mov_b32 s0, 25
.LBB98_505:                             ; =>This Inner Loop Header: Depth=1
	ds_load_b64 v[116:117], v107
	s_wait_dscnt 0x1
	v_cmp_gt_f32_e32 vcc_lo, 0, v108
	v_cndmask_b32_e64 v118, v108, -v108, vcc_lo
	v_cmp_gt_f32_e32 vcc_lo, 0, v109
	v_cndmask_b32_e64 v120, v109, -v109, vcc_lo
	s_wait_dscnt 0x0
	v_cmp_gt_f32_e32 vcc_lo, 0, v116
	v_cndmask_b32_e64 v119, v116, -v116, vcc_lo
	v_cmp_gt_f32_e32 vcc_lo, 0, v117
	v_cndmask_b32_e64 v121, v117, -v117, vcc_lo
	s_delay_alu instid0(VALU_DEP_1) | instskip(NEXT) | instid1(VALU_DEP_1)
	v_pk_add_f32 v[118:119], v[118:119], v[120:121]
	v_cmp_lt_f32_e32 vcc_lo, v118, v119
	v_dual_add_nc_u32 v107, 8, v107 :: v_dual_cndmask_b32 v109, v109, v117, vcc_lo
	v_cndmask_b32_e32 v108, v108, v116, vcc_lo
	v_cndmask_b32_e64 v106, v106, s0, vcc_lo
	s_add_co_i32 s0, s0, 1
	s_delay_alu instid0(SALU_CYCLE_1)
	s_cmp_lg_u32 s18, s0
	s_cbranch_scc1 .LBB98_505
.LBB98_506:
	s_wait_dscnt 0x0
	v_cmp_eq_f32_e32 vcc_lo, 0, v108
	v_cmp_eq_f32_e64 s0, 0, v109
	s_and_b32 s0, vcc_lo, s0
	s_delay_alu instid0(SALU_CYCLE_1) | instskip(NEXT) | instid1(SALU_CYCLE_1)
	s_and_saveexec_b32 s1, s0
	s_xor_b32 s0, exec_lo, s1
; %bb.507:
	v_cmp_ne_u32_e32 vcc_lo, 0, v112
	v_cndmask_b32_e32 v112, 25, v112, vcc_lo
; %bb.508:
	s_and_not1_saveexec_b32 s0, s0
	s_cbranch_execz .LBB98_514
; %bb.509:
	v_cmp_ngt_f32_e64 s1, |v108|, |v109|
	s_and_saveexec_b32 s12, s1
	s_delay_alu instid0(SALU_CYCLE_1)
	s_xor_b32 s1, exec_lo, s12
	s_cbranch_execz .LBB98_511
; %bb.510:
	v_div_scale_f32 v107, null, v109, v109, v108
	v_div_scale_f32 v117, vcc_lo, v108, v109, v108
	s_delay_alu instid0(VALU_DEP_2) | instskip(SKIP_1) | instid1(TRANS32_DEP_1)
	v_rcp_f32_e32 v115, v107
	v_nop
	v_fma_f32 v116, -v107, v115, 1.0
	s_delay_alu instid0(VALU_DEP_1) | instskip(NEXT) | instid1(VALU_DEP_1)
	v_fmac_f32_e32 v115, v116, v115
	v_mul_f32_e32 v116, v117, v115
	s_delay_alu instid0(VALU_DEP_1) | instskip(NEXT) | instid1(VALU_DEP_1)
	v_fma_f32 v118, -v107, v116, v117
	v_fmac_f32_e32 v116, v118, v115
	s_delay_alu instid0(VALU_DEP_1) | instskip(NEXT) | instid1(VALU_DEP_1)
	v_fma_f32 v107, -v107, v116, v117
	v_div_fmas_f32 v107, v107, v115, v116
	s_delay_alu instid0(VALU_DEP_1) | instskip(NEXT) | instid1(VALU_DEP_1)
	v_div_fixup_f32 v107, v107, v109, v108
	v_fmac_f32_e32 v109, v108, v107
	s_delay_alu instid0(VALU_DEP_1) | instskip(SKIP_1) | instid1(VALU_DEP_2)
	v_div_scale_f32 v108, null, v109, v109, 1.0
	v_div_scale_f32 v117, vcc_lo, 1.0, v109, 1.0
	v_rcp_f32_e32 v115, v108
	v_nop
	s_delay_alu instid0(TRANS32_DEP_1) | instskip(NEXT) | instid1(VALU_DEP_1)
	v_fma_f32 v116, -v108, v115, 1.0
	v_fmac_f32_e32 v115, v116, v115
	s_delay_alu instid0(VALU_DEP_1) | instskip(NEXT) | instid1(VALU_DEP_1)
	v_mul_f32_e32 v116, v117, v115
	v_fma_f32 v118, -v108, v116, v117
	s_delay_alu instid0(VALU_DEP_1) | instskip(NEXT) | instid1(VALU_DEP_1)
	v_fmac_f32_e32 v116, v118, v115
	v_fma_f32 v108, -v108, v116, v117
	s_delay_alu instid0(VALU_DEP_1) | instskip(NEXT) | instid1(VALU_DEP_1)
	v_div_fmas_f32 v108, v108, v115, v116
	v_div_fixup_f32 v109, v108, v109, 1.0
	s_delay_alu instid0(VALU_DEP_1)
	v_mul_f32_e32 v108, v107, v109
	v_xor_b32_e32 v109, 0x80000000, v109
.LBB98_511:
	s_and_not1_saveexec_b32 s1, s1
	s_cbranch_execz .LBB98_513
; %bb.512:
	s_delay_alu instid0(VALU_DEP_1) | instskip(SKIP_1) | instid1(VALU_DEP_2)
	v_div_scale_f32 v107, null, v108, v108, v109
	v_div_scale_f32 v117, vcc_lo, v109, v108, v109
	v_rcp_f32_e32 v115, v107
	v_nop
	s_delay_alu instid0(TRANS32_DEP_1) | instskip(NEXT) | instid1(VALU_DEP_1)
	v_fma_f32 v116, -v107, v115, 1.0
	v_fmac_f32_e32 v115, v116, v115
	s_delay_alu instid0(VALU_DEP_1) | instskip(NEXT) | instid1(VALU_DEP_1)
	v_mul_f32_e32 v116, v117, v115
	v_fma_f32 v118, -v107, v116, v117
	s_delay_alu instid0(VALU_DEP_1) | instskip(NEXT) | instid1(VALU_DEP_1)
	v_fmac_f32_e32 v116, v118, v115
	v_fma_f32 v107, -v107, v116, v117
	s_delay_alu instid0(VALU_DEP_1) | instskip(NEXT) | instid1(VALU_DEP_1)
	v_div_fmas_f32 v107, v107, v115, v116
	v_div_fixup_f32 v107, v107, v108, v109
	s_delay_alu instid0(VALU_DEP_1) | instskip(NEXT) | instid1(VALU_DEP_1)
	v_fmac_f32_e32 v108, v109, v107
	v_div_scale_f32 v109, null, v108, v108, 1.0
	s_delay_alu instid0(VALU_DEP_1) | instskip(SKIP_1) | instid1(TRANS32_DEP_1)
	v_rcp_f32_e32 v115, v109
	v_nop
	v_fma_f32 v116, -v109, v115, 1.0
	s_delay_alu instid0(VALU_DEP_1) | instskip(SKIP_1) | instid1(VALU_DEP_1)
	v_fmac_f32_e32 v115, v116, v115
	v_div_scale_f32 v116, vcc_lo, 1.0, v108, 1.0
	v_mul_f32_e32 v117, v116, v115
	s_delay_alu instid0(VALU_DEP_1) | instskip(NEXT) | instid1(VALU_DEP_1)
	v_fma_f32 v118, -v109, v117, v116
	v_fmac_f32_e32 v117, v118, v115
	s_delay_alu instid0(VALU_DEP_1) | instskip(NEXT) | instid1(VALU_DEP_1)
	v_fma_f32 v109, -v109, v117, v116
	v_div_fmas_f32 v109, v109, v115, v117
	s_delay_alu instid0(VALU_DEP_1) | instskip(NEXT) | instid1(VALU_DEP_1)
	v_div_fixup_f32 v108, v109, v108, 1.0
	v_mul_f32_e64 v109, v107, -v108
.LBB98_513:
	s_or_b32 exec_lo, exec_lo, s1
.LBB98_514:
	s_delay_alu instid0(SALU_CYCLE_1) | instskip(NEXT) | instid1(SALU_CYCLE_1)
	s_or_b32 exec_lo, exec_lo, s0
	s_mov_b32 s0, exec_lo
	v_cmpx_ne_u32_e64 v114, v106
	s_xor_b32 s0, exec_lo, s0
	s_cbranch_execz .LBB98_520
; %bb.515:
	s_mov_b32 s1, exec_lo
	v_cmpx_eq_u32_e32 24, v114
	s_cbranch_execz .LBB98_519
; %bb.516:
	v_cmp_ne_u32_e32 vcc_lo, 24, v106
	s_xor_b32 s12, s16, -1
	s_delay_alu instid0(SALU_CYCLE_1) | instskip(NEXT) | instid1(SALU_CYCLE_1)
	s_and_b32 s13, s12, vcc_lo
	s_and_saveexec_b32 s12, s13
	s_cbranch_execz .LBB98_518
; %bb.517:
	v_ashrrev_i32_e32 v107, 31, v106
	s_delay_alu instid0(VALU_DEP_1)
	v_lshl_add_u64 v[114:115], v[106:107], 2, v[4:5]
	s_clause 0x1
	global_load_b32 v107, v[114:115], off
	global_load_b32 v113, v[4:5], off offset:96
	s_wait_loadcnt 0x1
	global_store_b32 v[4:5], v107, off offset:96
	s_wait_loadcnt 0x0
	global_store_b32 v[114:115], v113, off
.LBB98_518:
	s_wait_xcnt 0x0
	s_or_b32 exec_lo, exec_lo, s12
	v_dual_mov_b32 v114, v106 :: v_dual_mov_b32 v113, v106
.LBB98_519:
	s_or_b32 exec_lo, exec_lo, s1
.LBB98_520:
	s_and_not1_saveexec_b32 s0, s0
	s_cbranch_execz .LBB98_522
; %bb.521:
	v_mov_b32_e32 v114, 24
	ds_store_2addr_b64 v110, v[38:39], v[42:43] offset0:25 offset1:26
	ds_store_2addr_b64 v110, v[36:37], v[82:83] offset0:27 offset1:28
	;; [unrolled: 1-line block ×12, first 2 shown]
	ds_store_b64 v110, v[104:105] offset:392
.LBB98_522:
	s_or_b32 exec_lo, exec_lo, s0
	s_delay_alu instid0(SALU_CYCLE_1)
	s_mov_b32 s0, exec_lo
	s_wait_storecnt_dscnt 0x0
	s_barrier_signal -1
	s_barrier_wait -1
	v_cmpx_lt_i32_e32 24, v114
	s_cbranch_execz .LBB98_524
; %bb.523:
	v_pk_mul_f32 v[116:117], v[108:109], v[86:87] op_sel:[1,1] op_sel_hi:[0,1]
	s_delay_alu instid0(VALU_DEP_1)
	v_pk_fma_f32 v[106:107], v[108:109], v[86:87], v[116:117] op_sel_hi:[1,0,1] neg_lo:[0,0,1] neg_hi:[0,0,1]
	v_pk_fma_f32 v[108:109], v[108:109], v[86:87], v[116:117] op_sel_hi:[1,0,1]
	ds_load_2addr_b64 v[116:119], v110 offset0:25 offset1:26
	v_dual_mov_b32 v86, v106 :: v_dual_mov_b32 v87, v109
	s_wait_dscnt 0x0
	v_pk_mul_f32 v[120:121], v[116:117], v[108:109] op_sel:[0,1]
	s_delay_alu instid0(VALU_DEP_1) | instskip(SKIP_1) | instid1(VALU_DEP_1)
	v_pk_fma_f32 v[122:123], v[116:117], v[106:107], v[120:121] op_sel:[0,0,1] op_sel_hi:[1,1,0] neg_lo:[0,0,1] neg_hi:[0,0,1]
	v_pk_fma_f32 v[116:117], v[116:117], v[106:107], v[120:121] op_sel:[0,0,1] op_sel_hi:[1,0,0]
	v_mov_b32_e32 v123, v117
	v_pk_mul_f32 v[116:117], v[118:119], v[108:109] op_sel:[0,1]
	s_delay_alu instid0(VALU_DEP_1) | instskip(SKIP_1) | instid1(VALU_DEP_1)
	v_pk_fma_f32 v[120:121], v[118:119], v[106:107], v[116:117] op_sel:[0,0,1] op_sel_hi:[1,1,0] neg_lo:[0,0,1] neg_hi:[0,0,1]
	v_pk_fma_f32 v[116:117], v[118:119], v[106:107], v[116:117] op_sel:[0,0,1] op_sel_hi:[1,0,0]
	v_mov_b32_e32 v121, v117
	ds_load_2addr_b64 v[116:119], v110 offset0:27 offset1:28
	v_pk_add_f32 v[38:39], v[38:39], v[122:123] neg_lo:[0,1] neg_hi:[0,1]
	v_pk_add_f32 v[42:43], v[42:43], v[120:121] neg_lo:[0,1] neg_hi:[0,1]
	s_wait_dscnt 0x0
	v_pk_mul_f32 v[120:121], v[116:117], v[108:109] op_sel:[0,1]
	s_delay_alu instid0(VALU_DEP_1) | instskip(SKIP_2) | instid1(VALU_DEP_2)
	v_pk_fma_f32 v[122:123], v[116:117], v[106:107], v[120:121] op_sel:[0,0,1] op_sel_hi:[1,1,0] neg_lo:[0,0,1] neg_hi:[0,0,1]
	v_pk_fma_f32 v[116:117], v[116:117], v[106:107], v[120:121] op_sel:[0,0,1] op_sel_hi:[1,0,0]
	v_dual_mul_f32 v120, v119, v109 :: v_dual_mov_b32 v116, v119
	v_dual_mov_b32 v123, v117 :: v_dual_mov_b32 v117, v118
	s_delay_alu instid0(VALU_DEP_2) | instskip(SKIP_1) | instid1(VALU_DEP_3)
	v_pk_fma_f32 v[120:121], v[118:119], v[86:87], v[120:121] op_sel_hi:[1,1,0] neg_lo:[0,0,1] neg_hi:[0,0,1]
	v_mul_f32_e32 v118, v119, v106
	v_pk_add_f32 v[36:37], v[36:37], v[122:123] neg_lo:[0,1] neg_hi:[0,1]
	s_delay_alu instid0(VALU_DEP_2) | instskip(NEXT) | instid1(VALU_DEP_1)
	v_pk_fma_f32 v[116:117], v[116:117], v[86:87], v[118:119] op_sel_hi:[1,1,0]
	v_mov_b32_e32 v121, v117
	ds_load_2addr_b64 v[116:119], v110 offset0:29 offset1:30
	v_pk_add_f32 v[82:83], v[82:83], v[120:121] neg_lo:[0,1] neg_hi:[0,1]
	s_wait_dscnt 0x0
	v_pk_mul_f32 v[120:121], v[116:117], v[108:109] op_sel:[0,1]
	s_delay_alu instid0(VALU_DEP_1) | instskip(SKIP_1) | instid1(VALU_DEP_1)
	v_pk_fma_f32 v[122:123], v[116:117], v[106:107], v[120:121] op_sel:[0,0,1] op_sel_hi:[1,1,0] neg_lo:[0,0,1] neg_hi:[0,0,1]
	v_pk_fma_f32 v[116:117], v[116:117], v[106:107], v[120:121] op_sel:[0,0,1] op_sel_hi:[1,0,0]
	v_mov_b32_e32 v123, v117
	v_pk_mul_f32 v[116:117], v[118:119], v[108:109] op_sel:[0,1]
	s_delay_alu instid0(VALU_DEP_1) | instskip(SKIP_1) | instid1(VALU_DEP_1)
	v_pk_fma_f32 v[120:121], v[118:119], v[106:107], v[116:117] op_sel:[0,0,1] op_sel_hi:[1,1,0] neg_lo:[0,0,1] neg_hi:[0,0,1]
	v_pk_fma_f32 v[116:117], v[118:119], v[106:107], v[116:117] op_sel:[0,0,1] op_sel_hi:[1,0,0]
	v_mov_b32_e32 v121, v117
	ds_load_2addr_b64 v[116:119], v110 offset0:31 offset1:32
	v_pk_add_f32 v[32:33], v[32:33], v[122:123] neg_lo:[0,1] neg_hi:[0,1]
	v_pk_add_f32 v[34:35], v[34:35], v[120:121] neg_lo:[0,1] neg_hi:[0,1]
	s_wait_dscnt 0x0
	v_pk_mul_f32 v[120:121], v[116:117], v[108:109] op_sel:[0,1]
	s_delay_alu instid0(VALU_DEP_1) | instskip(SKIP_1) | instid1(VALU_DEP_1)
	v_pk_fma_f32 v[122:123], v[116:117], v[106:107], v[120:121] op_sel:[0,0,1] op_sel_hi:[1,1,0] neg_lo:[0,0,1] neg_hi:[0,0,1]
	v_pk_fma_f32 v[116:117], v[116:117], v[106:107], v[120:121] op_sel:[0,0,1] op_sel_hi:[1,0,0]
	v_mov_b32_e32 v123, v117
	v_pk_mul_f32 v[116:117], v[118:119], v[108:109] op_sel:[0,1]
	s_delay_alu instid0(VALU_DEP_1) | instskip(SKIP_1) | instid1(VALU_DEP_1)
	v_pk_fma_f32 v[120:121], v[118:119], v[106:107], v[116:117] op_sel:[0,0,1] op_sel_hi:[1,1,0] neg_lo:[0,0,1] neg_hi:[0,0,1]
	v_pk_fma_f32 v[116:117], v[118:119], v[106:107], v[116:117] op_sel:[0,0,1] op_sel_hi:[1,0,0]
	v_mov_b32_e32 v121, v117
	ds_load_2addr_b64 v[116:119], v110 offset0:33 offset1:34
	v_pk_add_f32 v[30:31], v[30:31], v[122:123] neg_lo:[0,1] neg_hi:[0,1]
	v_pk_add_f32 v[80:81], v[80:81], v[120:121] neg_lo:[0,1] neg_hi:[0,1]
	s_wait_dscnt 0x0
	v_dual_mul_f32 v120, v117, v109 :: v_dual_mul_f32 v122, v117, v106
	s_delay_alu instid0(VALU_DEP_1) | instskip(NEXT) | instid1(VALU_DEP_2)
	v_pk_fma_f32 v[120:121], v[116:117], v[86:87], v[120:121] op_sel_hi:[1,1,0] neg_lo:[0,0,1] neg_hi:[0,0,1]
	v_pk_fma_f32 v[116:117], v[116:117], v[86:87], v[122:123] op_sel:[1,0,0] op_sel_hi:[0,1,0]
	s_delay_alu instid0(VALU_DEP_1) | instskip(SKIP_1) | instid1(VALU_DEP_2)
	v_mov_b32_e32 v121, v117
	v_pk_mul_f32 v[116:117], v[118:119], v[108:109] op_sel:[0,1]
	v_pk_add_f32 v[24:25], v[24:25], v[120:121] neg_lo:[0,1] neg_hi:[0,1]
	s_delay_alu instid0(VALU_DEP_2) | instskip(SKIP_1) | instid1(VALU_DEP_1)
	v_pk_fma_f32 v[120:121], v[118:119], v[106:107], v[116:117] op_sel:[0,0,1] op_sel_hi:[1,1,0] neg_lo:[0,0,1] neg_hi:[0,0,1]
	v_pk_fma_f32 v[116:117], v[118:119], v[106:107], v[116:117] op_sel:[0,0,1] op_sel_hi:[1,0,0]
	v_mov_b32_e32 v121, v117
	ds_load_2addr_b64 v[116:119], v110 offset0:35 offset1:36
	v_pk_add_f32 v[26:27], v[26:27], v[120:121] neg_lo:[0,1] neg_hi:[0,1]
	s_wait_dscnt 0x0
	v_pk_mul_f32 v[120:121], v[116:117], v[108:109] op_sel:[0,1]
	s_delay_alu instid0(VALU_DEP_1) | instskip(SKIP_1) | instid1(VALU_DEP_1)
	v_pk_fma_f32 v[122:123], v[116:117], v[106:107], v[120:121] op_sel:[0,0,1] op_sel_hi:[1,1,0] neg_lo:[0,0,1] neg_hi:[0,0,1]
	v_pk_fma_f32 v[116:117], v[116:117], v[106:107], v[120:121] op_sel:[0,0,1] op_sel_hi:[1,0,0]
	v_mov_b32_e32 v123, v117
	v_pk_mul_f32 v[116:117], v[118:119], v[108:109] op_sel:[0,1]
	s_delay_alu instid0(VALU_DEP_2) | instskip(NEXT) | instid1(VALU_DEP_2)
	v_pk_add_f32 v[22:23], v[22:23], v[122:123] neg_lo:[0,1] neg_hi:[0,1]
	v_pk_fma_f32 v[120:121], v[118:119], v[106:107], v[116:117] op_sel:[0,0,1] op_sel_hi:[1,1,0] neg_lo:[0,0,1] neg_hi:[0,0,1]
	v_pk_fma_f32 v[116:117], v[118:119], v[106:107], v[116:117] op_sel:[0,0,1] op_sel_hi:[1,0,0]
	s_delay_alu instid0(VALU_DEP_1) | instskip(SKIP_4) | instid1(VALU_DEP_1)
	v_mov_b32_e32 v121, v117
	ds_load_2addr_b64 v[116:119], v110 offset0:37 offset1:38
	v_pk_add_f32 v[78:79], v[78:79], v[120:121] neg_lo:[0,1] neg_hi:[0,1]
	s_wait_dscnt 0x0
	v_pk_mul_f32 v[120:121], v[116:117], v[108:109] op_sel:[0,1]
	v_pk_fma_f32 v[122:123], v[116:117], v[106:107], v[120:121] op_sel:[0,0,1] op_sel_hi:[1,1,0] neg_lo:[0,0,1] neg_hi:[0,0,1]
	v_pk_fma_f32 v[116:117], v[116:117], v[106:107], v[120:121] op_sel:[0,0,1] op_sel_hi:[1,0,0]
	v_dual_mul_f32 v120, v119, v109 :: v_dual_mov_b32 v116, v119
	s_delay_alu instid0(VALU_DEP_2) | instskip(NEXT) | instid1(VALU_DEP_2)
	v_dual_mov_b32 v123, v117 :: v_dual_mov_b32 v117, v118
	v_pk_fma_f32 v[120:121], v[118:119], v[86:87], v[120:121] op_sel_hi:[1,1,0] neg_lo:[0,0,1] neg_hi:[0,0,1]
	v_mul_f32_e32 v118, v119, v106
	s_delay_alu instid0(VALU_DEP_3) | instskip(NEXT) | instid1(VALU_DEP_2)
	v_pk_add_f32 v[18:19], v[18:19], v[122:123] neg_lo:[0,1] neg_hi:[0,1]
	v_pk_fma_f32 v[116:117], v[116:117], v[86:87], v[118:119] op_sel_hi:[1,1,0]
	s_delay_alu instid0(VALU_DEP_1) | instskip(SKIP_4) | instid1(VALU_DEP_1)
	v_mov_b32_e32 v121, v117
	ds_load_2addr_b64 v[116:119], v110 offset0:39 offset1:40
	v_pk_add_f32 v[20:21], v[20:21], v[120:121] neg_lo:[0,1] neg_hi:[0,1]
	s_wait_dscnt 0x0
	v_pk_mul_f32 v[120:121], v[116:117], v[108:109] op_sel:[0,1]
	v_pk_fma_f32 v[122:123], v[116:117], v[106:107], v[120:121] op_sel:[0,0,1] op_sel_hi:[1,1,0] neg_lo:[0,0,1] neg_hi:[0,0,1]
	v_pk_fma_f32 v[116:117], v[116:117], v[106:107], v[120:121] op_sel:[0,0,1] op_sel_hi:[1,0,0]
	s_delay_alu instid0(VALU_DEP_1) | instskip(SKIP_1) | instid1(VALU_DEP_1)
	v_mov_b32_e32 v123, v117
	v_pk_mul_f32 v[116:117], v[118:119], v[108:109] op_sel:[0,1]
	v_pk_fma_f32 v[120:121], v[118:119], v[106:107], v[116:117] op_sel:[0,0,1] op_sel_hi:[1,1,0] neg_lo:[0,0,1] neg_hi:[0,0,1]
	v_pk_fma_f32 v[116:117], v[118:119], v[106:107], v[116:117] op_sel:[0,0,1] op_sel_hi:[1,0,0]
	s_delay_alu instid0(VALU_DEP_1)
	v_mov_b32_e32 v121, v117
	ds_load_2addr_b64 v[116:119], v110 offset0:41 offset1:42
	v_pk_add_f32 v[16:17], v[16:17], v[122:123] neg_lo:[0,1] neg_hi:[0,1]
	v_pk_add_f32 v[76:77], v[76:77], v[120:121] neg_lo:[0,1] neg_hi:[0,1]
	s_wait_dscnt 0x0
	v_pk_mul_f32 v[120:121], v[116:117], v[108:109] op_sel:[0,1]
	s_delay_alu instid0(VALU_DEP_1) | instskip(SKIP_1) | instid1(VALU_DEP_1)
	v_pk_fma_f32 v[122:123], v[116:117], v[106:107], v[120:121] op_sel:[0,0,1] op_sel_hi:[1,1,0] neg_lo:[0,0,1] neg_hi:[0,0,1]
	v_pk_fma_f32 v[116:117], v[116:117], v[106:107], v[120:121] op_sel:[0,0,1] op_sel_hi:[1,0,0]
	v_mov_b32_e32 v123, v117
	v_pk_mul_f32 v[116:117], v[118:119], v[108:109] op_sel:[0,1]
	s_delay_alu instid0(VALU_DEP_1) | instskip(SKIP_1) | instid1(VALU_DEP_1)
	v_pk_fma_f32 v[120:121], v[118:119], v[106:107], v[116:117] op_sel:[0,0,1] op_sel_hi:[1,1,0] neg_lo:[0,0,1] neg_hi:[0,0,1]
	v_pk_fma_f32 v[116:117], v[118:119], v[106:107], v[116:117] op_sel:[0,0,1] op_sel_hi:[1,0,0]
	v_mov_b32_e32 v121, v117
	ds_load_2addr_b64 v[116:119], v110 offset0:43 offset1:44
	v_pk_add_f32 v[10:11], v[10:11], v[122:123] neg_lo:[0,1] neg_hi:[0,1]
	v_pk_add_f32 v[12:13], v[12:13], v[120:121] neg_lo:[0,1] neg_hi:[0,1]
	s_wait_dscnt 0x0
	v_dual_mul_f32 v120, v117, v109 :: v_dual_mul_f32 v122, v117, v106
	s_delay_alu instid0(VALU_DEP_1) | instskip(NEXT) | instid1(VALU_DEP_2)
	v_pk_fma_f32 v[120:121], v[116:117], v[86:87], v[120:121] op_sel_hi:[1,1,0] neg_lo:[0,0,1] neg_hi:[0,0,1]
	v_pk_fma_f32 v[116:117], v[116:117], v[86:87], v[122:123] op_sel:[1,0,0] op_sel_hi:[0,1,0]
	s_delay_alu instid0(VALU_DEP_1) | instskip(SKIP_1) | instid1(VALU_DEP_2)
	v_mov_b32_e32 v121, v117
	v_pk_mul_f32 v[116:117], v[118:119], v[108:109] op_sel:[0,1]
	v_pk_add_f32 v[8:9], v[8:9], v[120:121] neg_lo:[0,1] neg_hi:[0,1]
	s_delay_alu instid0(VALU_DEP_2) | instskip(SKIP_1) | instid1(VALU_DEP_1)
	v_pk_fma_f32 v[120:121], v[118:119], v[106:107], v[116:117] op_sel:[0,0,1] op_sel_hi:[1,1,0] neg_lo:[0,0,1] neg_hi:[0,0,1]
	v_pk_fma_f32 v[116:117], v[118:119], v[106:107], v[116:117] op_sel:[0,0,1] op_sel_hi:[1,0,0]
	v_mov_b32_e32 v121, v117
	ds_load_2addr_b64 v[116:119], v110 offset0:45 offset1:46
	v_pk_add_f32 v[70:71], v[70:71], v[120:121] neg_lo:[0,1] neg_hi:[0,1]
	s_wait_dscnt 0x0
	v_pk_mul_f32 v[120:121], v[116:117], v[108:109] op_sel:[0,1]
	s_delay_alu instid0(VALU_DEP_1) | instskip(SKIP_1) | instid1(VALU_DEP_1)
	v_pk_fma_f32 v[122:123], v[116:117], v[106:107], v[120:121] op_sel:[0,0,1] op_sel_hi:[1,1,0] neg_lo:[0,0,1] neg_hi:[0,0,1]
	v_pk_fma_f32 v[116:117], v[116:117], v[106:107], v[120:121] op_sel:[0,0,1] op_sel_hi:[1,0,0]
	v_mov_b32_e32 v123, v117
	v_pk_mul_f32 v[116:117], v[118:119], v[108:109] op_sel:[0,1]
	s_delay_alu instid0(VALU_DEP_2) | instskip(NEXT) | instid1(VALU_DEP_2)
	v_pk_add_f32 v[6:7], v[6:7], v[122:123] neg_lo:[0,1] neg_hi:[0,1]
	v_pk_fma_f32 v[120:121], v[118:119], v[106:107], v[116:117] op_sel:[0,0,1] op_sel_hi:[1,1,0] neg_lo:[0,0,1] neg_hi:[0,0,1]
	v_pk_fma_f32 v[116:117], v[118:119], v[106:107], v[116:117] op_sel:[0,0,1] op_sel_hi:[1,0,0]
	s_delay_alu instid0(VALU_DEP_1) | instskip(SKIP_4) | instid1(VALU_DEP_1)
	v_mov_b32_e32 v121, v117
	ds_load_2addr_b64 v[116:119], v110 offset0:47 offset1:48
	v_pk_add_f32 v[46:47], v[46:47], v[120:121] neg_lo:[0,1] neg_hi:[0,1]
	s_wait_dscnt 0x0
	v_pk_mul_f32 v[120:121], v[116:117], v[108:109] op_sel:[0,1]
	v_pk_fma_f32 v[122:123], v[116:117], v[106:107], v[120:121] op_sel:[0,0,1] op_sel_hi:[1,1,0] neg_lo:[0,0,1] neg_hi:[0,0,1]
	v_pk_fma_f32 v[116:117], v[116:117], v[106:107], v[120:121] op_sel:[0,0,1] op_sel_hi:[1,0,0]
	v_dual_mul_f32 v120, v119, v109 :: v_dual_mov_b32 v116, v119
	s_delay_alu instid0(VALU_DEP_2) | instskip(NEXT) | instid1(VALU_DEP_2)
	v_dual_mov_b32 v123, v117 :: v_dual_mov_b32 v117, v118
	v_pk_fma_f32 v[120:121], v[118:119], v[86:87], v[120:121] op_sel_hi:[1,1,0] neg_lo:[0,0,1] neg_hi:[0,0,1]
	v_mul_f32_e32 v118, v119, v106
	s_delay_alu instid0(VALU_DEP_3) | instskip(NEXT) | instid1(VALU_DEP_2)
	v_pk_add_f32 v[28:29], v[28:29], v[122:123] neg_lo:[0,1] neg_hi:[0,1]
	v_pk_fma_f32 v[116:117], v[116:117], v[86:87], v[118:119] op_sel_hi:[1,1,0]
	s_delay_alu instid0(VALU_DEP_1) | instskip(SKIP_4) | instid1(VALU_DEP_1)
	v_mov_b32_e32 v121, v117
	ds_load_b64 v[116:117], v110 offset:392
	v_pk_add_f32 v[14:15], v[14:15], v[120:121] neg_lo:[0,1] neg_hi:[0,1]
	s_wait_dscnt 0x0
	v_pk_mul_f32 v[108:109], v[116:117], v[108:109] op_sel:[0,1]
	v_pk_fma_f32 v[118:119], v[116:117], v[106:107], v[108:109] op_sel:[0,0,1] op_sel_hi:[1,1,0] neg_lo:[0,0,1] neg_hi:[0,0,1]
	v_pk_fma_f32 v[106:107], v[116:117], v[106:107], v[108:109] op_sel:[0,0,1] op_sel_hi:[1,0,0]
	s_delay_alu instid0(VALU_DEP_1) | instskip(NEXT) | instid1(VALU_DEP_1)
	v_mov_b32_e32 v119, v107
	v_pk_add_f32 v[104:105], v[104:105], v[118:119] neg_lo:[0,1] neg_hi:[0,1]
.LBB98_524:
	s_or_b32 exec_lo, exec_lo, s0
	v_lshl_add_u32 v106, v114, 3, v110
	s_barrier_signal -1
	s_barrier_wait -1
	ds_store_b64 v106, v[38:39]
	s_wait_dscnt 0x0
	s_barrier_signal -1
	s_barrier_wait -1
	ds_load_b64 v[108:109], v110 offset:200
	v_mov_b32_e32 v106, 25
	s_cmp_lt_i32 s18, 27
	s_cbranch_scc1 .LBB98_527
; %bb.525:
	v_add3_u32 v107, v111, 0, 0xd0
	v_mov_b32_e32 v106, 25
	s_mov_b32 s0, 26
.LBB98_526:                             ; =>This Inner Loop Header: Depth=1
	ds_load_b64 v[116:117], v107
	s_wait_dscnt 0x1
	v_cmp_gt_f32_e32 vcc_lo, 0, v108
	v_cndmask_b32_e64 v118, v108, -v108, vcc_lo
	v_cmp_gt_f32_e32 vcc_lo, 0, v109
	v_cndmask_b32_e64 v120, v109, -v109, vcc_lo
	s_wait_dscnt 0x0
	v_cmp_gt_f32_e32 vcc_lo, 0, v116
	v_cndmask_b32_e64 v119, v116, -v116, vcc_lo
	v_cmp_gt_f32_e32 vcc_lo, 0, v117
	v_cndmask_b32_e64 v121, v117, -v117, vcc_lo
	s_delay_alu instid0(VALU_DEP_1) | instskip(NEXT) | instid1(VALU_DEP_1)
	v_pk_add_f32 v[118:119], v[118:119], v[120:121]
	v_cmp_lt_f32_e32 vcc_lo, v118, v119
	v_dual_add_nc_u32 v107, 8, v107 :: v_dual_cndmask_b32 v109, v109, v117, vcc_lo
	v_cndmask_b32_e32 v108, v108, v116, vcc_lo
	v_cndmask_b32_e64 v106, v106, s0, vcc_lo
	s_add_co_i32 s0, s0, 1
	s_delay_alu instid0(SALU_CYCLE_1)
	s_cmp_lg_u32 s18, s0
	s_cbranch_scc1 .LBB98_526
.LBB98_527:
	s_wait_dscnt 0x0
	v_cmp_eq_f32_e32 vcc_lo, 0, v108
	v_cmp_eq_f32_e64 s0, 0, v109
	s_and_b32 s0, vcc_lo, s0
	s_delay_alu instid0(SALU_CYCLE_1) | instskip(NEXT) | instid1(SALU_CYCLE_1)
	s_and_saveexec_b32 s1, s0
	s_xor_b32 s0, exec_lo, s1
; %bb.528:
	v_cmp_ne_u32_e32 vcc_lo, 0, v112
	v_cndmask_b32_e32 v112, 26, v112, vcc_lo
; %bb.529:
	s_and_not1_saveexec_b32 s0, s0
	s_cbranch_execz .LBB98_535
; %bb.530:
	v_cmp_ngt_f32_e64 s1, |v108|, |v109|
	s_and_saveexec_b32 s12, s1
	s_delay_alu instid0(SALU_CYCLE_1)
	s_xor_b32 s1, exec_lo, s12
	s_cbranch_execz .LBB98_532
; %bb.531:
	v_div_scale_f32 v107, null, v109, v109, v108
	v_div_scale_f32 v117, vcc_lo, v108, v109, v108
	s_delay_alu instid0(VALU_DEP_2) | instskip(SKIP_1) | instid1(TRANS32_DEP_1)
	v_rcp_f32_e32 v115, v107
	v_nop
	v_fma_f32 v116, -v107, v115, 1.0
	s_delay_alu instid0(VALU_DEP_1) | instskip(NEXT) | instid1(VALU_DEP_1)
	v_fmac_f32_e32 v115, v116, v115
	v_mul_f32_e32 v116, v117, v115
	s_delay_alu instid0(VALU_DEP_1) | instskip(NEXT) | instid1(VALU_DEP_1)
	v_fma_f32 v118, -v107, v116, v117
	v_fmac_f32_e32 v116, v118, v115
	s_delay_alu instid0(VALU_DEP_1) | instskip(NEXT) | instid1(VALU_DEP_1)
	v_fma_f32 v107, -v107, v116, v117
	v_div_fmas_f32 v107, v107, v115, v116
	s_delay_alu instid0(VALU_DEP_1) | instskip(NEXT) | instid1(VALU_DEP_1)
	v_div_fixup_f32 v107, v107, v109, v108
	v_fmac_f32_e32 v109, v108, v107
	s_delay_alu instid0(VALU_DEP_1) | instskip(SKIP_1) | instid1(VALU_DEP_2)
	v_div_scale_f32 v108, null, v109, v109, 1.0
	v_div_scale_f32 v117, vcc_lo, 1.0, v109, 1.0
	v_rcp_f32_e32 v115, v108
	v_nop
	s_delay_alu instid0(TRANS32_DEP_1) | instskip(NEXT) | instid1(VALU_DEP_1)
	v_fma_f32 v116, -v108, v115, 1.0
	v_fmac_f32_e32 v115, v116, v115
	s_delay_alu instid0(VALU_DEP_1) | instskip(NEXT) | instid1(VALU_DEP_1)
	v_mul_f32_e32 v116, v117, v115
	v_fma_f32 v118, -v108, v116, v117
	s_delay_alu instid0(VALU_DEP_1) | instskip(NEXT) | instid1(VALU_DEP_1)
	v_fmac_f32_e32 v116, v118, v115
	v_fma_f32 v108, -v108, v116, v117
	s_delay_alu instid0(VALU_DEP_1) | instskip(NEXT) | instid1(VALU_DEP_1)
	v_div_fmas_f32 v108, v108, v115, v116
	v_div_fixup_f32 v109, v108, v109, 1.0
	s_delay_alu instid0(VALU_DEP_1)
	v_mul_f32_e32 v108, v107, v109
	v_xor_b32_e32 v109, 0x80000000, v109
.LBB98_532:
	s_and_not1_saveexec_b32 s1, s1
	s_cbranch_execz .LBB98_534
; %bb.533:
	s_delay_alu instid0(VALU_DEP_1) | instskip(SKIP_1) | instid1(VALU_DEP_2)
	v_div_scale_f32 v107, null, v108, v108, v109
	v_div_scale_f32 v117, vcc_lo, v109, v108, v109
	v_rcp_f32_e32 v115, v107
	v_nop
	s_delay_alu instid0(TRANS32_DEP_1) | instskip(NEXT) | instid1(VALU_DEP_1)
	v_fma_f32 v116, -v107, v115, 1.0
	v_fmac_f32_e32 v115, v116, v115
	s_delay_alu instid0(VALU_DEP_1) | instskip(NEXT) | instid1(VALU_DEP_1)
	v_mul_f32_e32 v116, v117, v115
	v_fma_f32 v118, -v107, v116, v117
	s_delay_alu instid0(VALU_DEP_1) | instskip(NEXT) | instid1(VALU_DEP_1)
	v_fmac_f32_e32 v116, v118, v115
	v_fma_f32 v107, -v107, v116, v117
	s_delay_alu instid0(VALU_DEP_1) | instskip(NEXT) | instid1(VALU_DEP_1)
	v_div_fmas_f32 v107, v107, v115, v116
	v_div_fixup_f32 v107, v107, v108, v109
	s_delay_alu instid0(VALU_DEP_1) | instskip(NEXT) | instid1(VALU_DEP_1)
	v_fmac_f32_e32 v108, v109, v107
	v_div_scale_f32 v109, null, v108, v108, 1.0
	s_delay_alu instid0(VALU_DEP_1) | instskip(SKIP_1) | instid1(TRANS32_DEP_1)
	v_rcp_f32_e32 v115, v109
	v_nop
	v_fma_f32 v116, -v109, v115, 1.0
	s_delay_alu instid0(VALU_DEP_1) | instskip(SKIP_1) | instid1(VALU_DEP_1)
	v_fmac_f32_e32 v115, v116, v115
	v_div_scale_f32 v116, vcc_lo, 1.0, v108, 1.0
	v_mul_f32_e32 v117, v116, v115
	s_delay_alu instid0(VALU_DEP_1) | instskip(NEXT) | instid1(VALU_DEP_1)
	v_fma_f32 v118, -v109, v117, v116
	v_fmac_f32_e32 v117, v118, v115
	s_delay_alu instid0(VALU_DEP_1) | instskip(NEXT) | instid1(VALU_DEP_1)
	v_fma_f32 v109, -v109, v117, v116
	v_div_fmas_f32 v109, v109, v115, v117
	s_delay_alu instid0(VALU_DEP_1) | instskip(NEXT) | instid1(VALU_DEP_1)
	v_div_fixup_f32 v108, v109, v108, 1.0
	v_mul_f32_e64 v109, v107, -v108
.LBB98_534:
	s_or_b32 exec_lo, exec_lo, s1
.LBB98_535:
	s_delay_alu instid0(SALU_CYCLE_1) | instskip(NEXT) | instid1(SALU_CYCLE_1)
	s_or_b32 exec_lo, exec_lo, s0
	s_mov_b32 s0, exec_lo
	v_cmpx_ne_u32_e64 v114, v106
	s_xor_b32 s0, exec_lo, s0
	s_cbranch_execz .LBB98_541
; %bb.536:
	s_mov_b32 s1, exec_lo
	v_cmpx_eq_u32_e32 25, v114
	s_cbranch_execz .LBB98_540
; %bb.537:
	v_cmp_ne_u32_e32 vcc_lo, 25, v106
	s_xor_b32 s12, s16, -1
	s_delay_alu instid0(SALU_CYCLE_1) | instskip(NEXT) | instid1(SALU_CYCLE_1)
	s_and_b32 s13, s12, vcc_lo
	s_and_saveexec_b32 s12, s13
	s_cbranch_execz .LBB98_539
; %bb.538:
	v_ashrrev_i32_e32 v107, 31, v106
	s_delay_alu instid0(VALU_DEP_1)
	v_lshl_add_u64 v[114:115], v[106:107], 2, v[4:5]
	s_clause 0x1
	global_load_b32 v107, v[114:115], off
	global_load_b32 v113, v[4:5], off offset:100
	s_wait_loadcnt 0x1
	global_store_b32 v[4:5], v107, off offset:100
	s_wait_loadcnt 0x0
	global_store_b32 v[114:115], v113, off
.LBB98_539:
	s_wait_xcnt 0x0
	s_or_b32 exec_lo, exec_lo, s12
	v_dual_mov_b32 v114, v106 :: v_dual_mov_b32 v113, v106
.LBB98_540:
	s_or_b32 exec_lo, exec_lo, s1
.LBB98_541:
	s_and_not1_saveexec_b32 s0, s0
	s_cbranch_execz .LBB98_543
; %bb.542:
	v_dual_mov_b32 v106, v42 :: v_dual_mov_b32 v107, v43
	v_dual_mov_b32 v114, v36 :: v_dual_mov_b32 v115, v37
	ds_store_2addr_b64 v110, v[106:107], v[114:115] offset0:26 offset1:27
	v_dual_mov_b32 v106, v82 :: v_dual_mov_b32 v107, v83
	v_dual_mov_b32 v114, v32 :: v_dual_mov_b32 v115, v33
	ds_store_2addr_b64 v110, v[106:107], v[114:115] offset0:28 offset1:29
	;; [unrolled: 3-line block ×11, first 2 shown]
	v_dual_mov_b32 v106, v14 :: v_dual_mov_b32 v107, v15
	v_mov_b32_e32 v114, 25
	ds_store_2addr_b64 v110, v[106:107], v[104:105] offset0:48 offset1:49
.LBB98_543:
	s_or_b32 exec_lo, exec_lo, s0
	s_delay_alu instid0(SALU_CYCLE_1)
	s_mov_b32 s0, exec_lo
	s_wait_storecnt_dscnt 0x0
	s_barrier_signal -1
	s_barrier_wait -1
	v_cmpx_lt_i32_e32 25, v114
	s_cbranch_execz .LBB98_545
; %bb.544:
	v_pk_mul_f32 v[116:117], v[108:109], v[38:39] op_sel:[1,1] op_sel_hi:[0,1]
	s_delay_alu instid0(VALU_DEP_1)
	v_pk_fma_f32 v[106:107], v[108:109], v[38:39], v[116:117] op_sel_hi:[1,0,1] neg_lo:[0,0,1] neg_hi:[0,0,1]
	v_pk_fma_f32 v[108:109], v[108:109], v[38:39], v[116:117] op_sel_hi:[1,0,1]
	ds_load_2addr_b64 v[116:119], v110 offset0:26 offset1:27
	v_dual_mov_b32 v38, v106 :: v_dual_mov_b32 v39, v109
	s_wait_dscnt 0x0
	v_pk_mul_f32 v[120:121], v[116:117], v[108:109] op_sel:[0,1]
	s_delay_alu instid0(VALU_DEP_1) | instskip(SKIP_1) | instid1(VALU_DEP_1)
	v_pk_fma_f32 v[122:123], v[116:117], v[106:107], v[120:121] op_sel:[0,0,1] op_sel_hi:[1,1,0] neg_lo:[0,0,1] neg_hi:[0,0,1]
	v_pk_fma_f32 v[116:117], v[116:117], v[106:107], v[120:121] op_sel:[0,0,1] op_sel_hi:[1,0,0]
	v_mov_b32_e32 v123, v117
	v_pk_mul_f32 v[116:117], v[118:119], v[108:109] op_sel:[0,1]
	s_delay_alu instid0(VALU_DEP_1) | instskip(SKIP_1) | instid1(VALU_DEP_1)
	v_pk_fma_f32 v[120:121], v[118:119], v[106:107], v[116:117] op_sel:[0,0,1] op_sel_hi:[1,1,0] neg_lo:[0,0,1] neg_hi:[0,0,1]
	v_pk_fma_f32 v[116:117], v[118:119], v[106:107], v[116:117] op_sel:[0,0,1] op_sel_hi:[1,0,0]
	v_mov_b32_e32 v121, v117
	ds_load_2addr_b64 v[116:119], v110 offset0:28 offset1:29
	v_pk_add_f32 v[42:43], v[42:43], v[122:123] neg_lo:[0,1] neg_hi:[0,1]
	v_pk_add_f32 v[36:37], v[36:37], v[120:121] neg_lo:[0,1] neg_hi:[0,1]
	s_wait_dscnt 0x0
	v_pk_mul_f32 v[120:121], v[116:117], v[108:109] op_sel:[0,1]
	s_delay_alu instid0(VALU_DEP_1) | instskip(SKIP_2) | instid1(VALU_DEP_2)
	v_pk_fma_f32 v[122:123], v[116:117], v[106:107], v[120:121] op_sel:[0,0,1] op_sel_hi:[1,1,0] neg_lo:[0,0,1] neg_hi:[0,0,1]
	v_pk_fma_f32 v[116:117], v[116:117], v[106:107], v[120:121] op_sel:[0,0,1] op_sel_hi:[1,0,0]
	v_dual_mul_f32 v120, v119, v109 :: v_dual_mov_b32 v116, v119
	v_dual_mov_b32 v123, v117 :: v_dual_mov_b32 v117, v118
	s_delay_alu instid0(VALU_DEP_2) | instskip(SKIP_1) | instid1(VALU_DEP_3)
	v_pk_fma_f32 v[120:121], v[118:119], v[38:39], v[120:121] op_sel_hi:[1,1,0] neg_lo:[0,0,1] neg_hi:[0,0,1]
	v_mul_f32_e32 v118, v119, v106
	v_pk_add_f32 v[82:83], v[82:83], v[122:123] neg_lo:[0,1] neg_hi:[0,1]
	s_delay_alu instid0(VALU_DEP_2) | instskip(NEXT) | instid1(VALU_DEP_1)
	v_pk_fma_f32 v[116:117], v[116:117], v[38:39], v[118:119] op_sel_hi:[1,1,0]
	v_mov_b32_e32 v121, v117
	ds_load_2addr_b64 v[116:119], v110 offset0:30 offset1:31
	v_pk_add_f32 v[32:33], v[32:33], v[120:121] neg_lo:[0,1] neg_hi:[0,1]
	s_wait_dscnt 0x0
	v_pk_mul_f32 v[120:121], v[116:117], v[108:109] op_sel:[0,1]
	s_delay_alu instid0(VALU_DEP_1) | instskip(SKIP_1) | instid1(VALU_DEP_1)
	v_pk_fma_f32 v[122:123], v[116:117], v[106:107], v[120:121] op_sel:[0,0,1] op_sel_hi:[1,1,0] neg_lo:[0,0,1] neg_hi:[0,0,1]
	v_pk_fma_f32 v[116:117], v[116:117], v[106:107], v[120:121] op_sel:[0,0,1] op_sel_hi:[1,0,0]
	v_mov_b32_e32 v123, v117
	v_pk_mul_f32 v[116:117], v[118:119], v[108:109] op_sel:[0,1]
	s_delay_alu instid0(VALU_DEP_1) | instskip(SKIP_1) | instid1(VALU_DEP_1)
	v_pk_fma_f32 v[120:121], v[118:119], v[106:107], v[116:117] op_sel:[0,0,1] op_sel_hi:[1,1,0] neg_lo:[0,0,1] neg_hi:[0,0,1]
	v_pk_fma_f32 v[116:117], v[118:119], v[106:107], v[116:117] op_sel:[0,0,1] op_sel_hi:[1,0,0]
	v_mov_b32_e32 v121, v117
	ds_load_2addr_b64 v[116:119], v110 offset0:32 offset1:33
	v_pk_add_f32 v[34:35], v[34:35], v[122:123] neg_lo:[0,1] neg_hi:[0,1]
	v_pk_add_f32 v[30:31], v[30:31], v[120:121] neg_lo:[0,1] neg_hi:[0,1]
	s_wait_dscnt 0x0
	v_pk_mul_f32 v[120:121], v[116:117], v[108:109] op_sel:[0,1]
	s_delay_alu instid0(VALU_DEP_1) | instskip(SKIP_1) | instid1(VALU_DEP_1)
	v_pk_fma_f32 v[122:123], v[116:117], v[106:107], v[120:121] op_sel:[0,0,1] op_sel_hi:[1,1,0] neg_lo:[0,0,1] neg_hi:[0,0,1]
	v_pk_fma_f32 v[116:117], v[116:117], v[106:107], v[120:121] op_sel:[0,0,1] op_sel_hi:[1,0,0]
	v_mov_b32_e32 v123, v117
	v_pk_mul_f32 v[116:117], v[118:119], v[108:109] op_sel:[0,1]
	s_delay_alu instid0(VALU_DEP_1) | instskip(SKIP_1) | instid1(VALU_DEP_1)
	v_pk_fma_f32 v[120:121], v[118:119], v[106:107], v[116:117] op_sel:[0,0,1] op_sel_hi:[1,1,0] neg_lo:[0,0,1] neg_hi:[0,0,1]
	v_pk_fma_f32 v[116:117], v[118:119], v[106:107], v[116:117] op_sel:[0,0,1] op_sel_hi:[1,0,0]
	v_mov_b32_e32 v121, v117
	ds_load_2addr_b64 v[116:119], v110 offset0:34 offset1:35
	v_pk_add_f32 v[80:81], v[80:81], v[122:123] neg_lo:[0,1] neg_hi:[0,1]
	v_pk_add_f32 v[24:25], v[24:25], v[120:121] neg_lo:[0,1] neg_hi:[0,1]
	s_wait_dscnt 0x0
	v_dual_mul_f32 v120, v117, v109 :: v_dual_mul_f32 v122, v117, v106
	s_delay_alu instid0(VALU_DEP_1) | instskip(NEXT) | instid1(VALU_DEP_2)
	v_pk_fma_f32 v[120:121], v[116:117], v[38:39], v[120:121] op_sel_hi:[1,1,0] neg_lo:[0,0,1] neg_hi:[0,0,1]
	v_pk_fma_f32 v[116:117], v[116:117], v[38:39], v[122:123] op_sel:[1,0,0] op_sel_hi:[0,1,0]
	s_delay_alu instid0(VALU_DEP_1) | instskip(SKIP_1) | instid1(VALU_DEP_2)
	v_mov_b32_e32 v121, v117
	v_pk_mul_f32 v[116:117], v[118:119], v[108:109] op_sel:[0,1]
	v_pk_add_f32 v[26:27], v[26:27], v[120:121] neg_lo:[0,1] neg_hi:[0,1]
	s_delay_alu instid0(VALU_DEP_2) | instskip(SKIP_1) | instid1(VALU_DEP_1)
	v_pk_fma_f32 v[120:121], v[118:119], v[106:107], v[116:117] op_sel:[0,0,1] op_sel_hi:[1,1,0] neg_lo:[0,0,1] neg_hi:[0,0,1]
	v_pk_fma_f32 v[116:117], v[118:119], v[106:107], v[116:117] op_sel:[0,0,1] op_sel_hi:[1,0,0]
	v_mov_b32_e32 v121, v117
	ds_load_2addr_b64 v[116:119], v110 offset0:36 offset1:37
	v_pk_add_f32 v[22:23], v[22:23], v[120:121] neg_lo:[0,1] neg_hi:[0,1]
	s_wait_dscnt 0x0
	v_pk_mul_f32 v[120:121], v[116:117], v[108:109] op_sel:[0,1]
	s_delay_alu instid0(VALU_DEP_1) | instskip(SKIP_1) | instid1(VALU_DEP_1)
	v_pk_fma_f32 v[122:123], v[116:117], v[106:107], v[120:121] op_sel:[0,0,1] op_sel_hi:[1,1,0] neg_lo:[0,0,1] neg_hi:[0,0,1]
	v_pk_fma_f32 v[116:117], v[116:117], v[106:107], v[120:121] op_sel:[0,0,1] op_sel_hi:[1,0,0]
	v_mov_b32_e32 v123, v117
	v_pk_mul_f32 v[116:117], v[118:119], v[108:109] op_sel:[0,1]
	s_delay_alu instid0(VALU_DEP_2) | instskip(NEXT) | instid1(VALU_DEP_2)
	v_pk_add_f32 v[78:79], v[78:79], v[122:123] neg_lo:[0,1] neg_hi:[0,1]
	v_pk_fma_f32 v[120:121], v[118:119], v[106:107], v[116:117] op_sel:[0,0,1] op_sel_hi:[1,1,0] neg_lo:[0,0,1] neg_hi:[0,0,1]
	v_pk_fma_f32 v[116:117], v[118:119], v[106:107], v[116:117] op_sel:[0,0,1] op_sel_hi:[1,0,0]
	s_delay_alu instid0(VALU_DEP_1) | instskip(SKIP_4) | instid1(VALU_DEP_1)
	v_mov_b32_e32 v121, v117
	ds_load_2addr_b64 v[116:119], v110 offset0:38 offset1:39
	v_pk_add_f32 v[18:19], v[18:19], v[120:121] neg_lo:[0,1] neg_hi:[0,1]
	s_wait_dscnt 0x0
	v_pk_mul_f32 v[120:121], v[116:117], v[108:109] op_sel:[0,1]
	v_pk_fma_f32 v[122:123], v[116:117], v[106:107], v[120:121] op_sel:[0,0,1] op_sel_hi:[1,1,0] neg_lo:[0,0,1] neg_hi:[0,0,1]
	v_pk_fma_f32 v[116:117], v[116:117], v[106:107], v[120:121] op_sel:[0,0,1] op_sel_hi:[1,0,0]
	v_dual_mul_f32 v120, v119, v109 :: v_dual_mov_b32 v116, v119
	s_delay_alu instid0(VALU_DEP_2) | instskip(NEXT) | instid1(VALU_DEP_2)
	v_dual_mov_b32 v123, v117 :: v_dual_mov_b32 v117, v118
	v_pk_fma_f32 v[120:121], v[118:119], v[38:39], v[120:121] op_sel_hi:[1,1,0] neg_lo:[0,0,1] neg_hi:[0,0,1]
	v_mul_f32_e32 v118, v119, v106
	s_delay_alu instid0(VALU_DEP_3) | instskip(NEXT) | instid1(VALU_DEP_2)
	v_pk_add_f32 v[20:21], v[20:21], v[122:123] neg_lo:[0,1] neg_hi:[0,1]
	v_pk_fma_f32 v[116:117], v[116:117], v[38:39], v[118:119] op_sel_hi:[1,1,0]
	s_delay_alu instid0(VALU_DEP_1) | instskip(SKIP_4) | instid1(VALU_DEP_1)
	v_mov_b32_e32 v121, v117
	ds_load_2addr_b64 v[116:119], v110 offset0:40 offset1:41
	v_pk_add_f32 v[16:17], v[16:17], v[120:121] neg_lo:[0,1] neg_hi:[0,1]
	s_wait_dscnt 0x0
	v_pk_mul_f32 v[120:121], v[116:117], v[108:109] op_sel:[0,1]
	v_pk_fma_f32 v[122:123], v[116:117], v[106:107], v[120:121] op_sel:[0,0,1] op_sel_hi:[1,1,0] neg_lo:[0,0,1] neg_hi:[0,0,1]
	v_pk_fma_f32 v[116:117], v[116:117], v[106:107], v[120:121] op_sel:[0,0,1] op_sel_hi:[1,0,0]
	s_delay_alu instid0(VALU_DEP_1) | instskip(SKIP_1) | instid1(VALU_DEP_1)
	v_mov_b32_e32 v123, v117
	v_pk_mul_f32 v[116:117], v[118:119], v[108:109] op_sel:[0,1]
	v_pk_fma_f32 v[120:121], v[118:119], v[106:107], v[116:117] op_sel:[0,0,1] op_sel_hi:[1,1,0] neg_lo:[0,0,1] neg_hi:[0,0,1]
	v_pk_fma_f32 v[116:117], v[118:119], v[106:107], v[116:117] op_sel:[0,0,1] op_sel_hi:[1,0,0]
	s_delay_alu instid0(VALU_DEP_1)
	v_mov_b32_e32 v121, v117
	ds_load_2addr_b64 v[116:119], v110 offset0:42 offset1:43
	v_pk_add_f32 v[76:77], v[76:77], v[122:123] neg_lo:[0,1] neg_hi:[0,1]
	v_pk_add_f32 v[10:11], v[10:11], v[120:121] neg_lo:[0,1] neg_hi:[0,1]
	s_wait_dscnt 0x0
	v_pk_mul_f32 v[120:121], v[116:117], v[108:109] op_sel:[0,1]
	s_delay_alu instid0(VALU_DEP_1) | instskip(SKIP_1) | instid1(VALU_DEP_1)
	v_pk_fma_f32 v[122:123], v[116:117], v[106:107], v[120:121] op_sel:[0,0,1] op_sel_hi:[1,1,0] neg_lo:[0,0,1] neg_hi:[0,0,1]
	v_pk_fma_f32 v[116:117], v[116:117], v[106:107], v[120:121] op_sel:[0,0,1] op_sel_hi:[1,0,0]
	v_mov_b32_e32 v123, v117
	v_pk_mul_f32 v[116:117], v[118:119], v[108:109] op_sel:[0,1]
	s_delay_alu instid0(VALU_DEP_1) | instskip(SKIP_1) | instid1(VALU_DEP_1)
	v_pk_fma_f32 v[120:121], v[118:119], v[106:107], v[116:117] op_sel:[0,0,1] op_sel_hi:[1,1,0] neg_lo:[0,0,1] neg_hi:[0,0,1]
	v_pk_fma_f32 v[116:117], v[118:119], v[106:107], v[116:117] op_sel:[0,0,1] op_sel_hi:[1,0,0]
	v_mov_b32_e32 v121, v117
	ds_load_2addr_b64 v[116:119], v110 offset0:44 offset1:45
	v_pk_add_f32 v[12:13], v[12:13], v[122:123] neg_lo:[0,1] neg_hi:[0,1]
	v_pk_add_f32 v[8:9], v[8:9], v[120:121] neg_lo:[0,1] neg_hi:[0,1]
	s_wait_dscnt 0x0
	v_dual_mul_f32 v120, v117, v109 :: v_dual_mul_f32 v122, v117, v106
	s_delay_alu instid0(VALU_DEP_1) | instskip(NEXT) | instid1(VALU_DEP_2)
	v_pk_fma_f32 v[120:121], v[116:117], v[38:39], v[120:121] op_sel_hi:[1,1,0] neg_lo:[0,0,1] neg_hi:[0,0,1]
	v_pk_fma_f32 v[116:117], v[116:117], v[38:39], v[122:123] op_sel:[1,0,0] op_sel_hi:[0,1,0]
	s_delay_alu instid0(VALU_DEP_1) | instskip(SKIP_1) | instid1(VALU_DEP_2)
	v_mov_b32_e32 v121, v117
	v_pk_mul_f32 v[116:117], v[118:119], v[108:109] op_sel:[0,1]
	v_pk_add_f32 v[70:71], v[70:71], v[120:121] neg_lo:[0,1] neg_hi:[0,1]
	s_delay_alu instid0(VALU_DEP_2) | instskip(SKIP_1) | instid1(VALU_DEP_1)
	v_pk_fma_f32 v[120:121], v[118:119], v[106:107], v[116:117] op_sel:[0,0,1] op_sel_hi:[1,1,0] neg_lo:[0,0,1] neg_hi:[0,0,1]
	v_pk_fma_f32 v[116:117], v[118:119], v[106:107], v[116:117] op_sel:[0,0,1] op_sel_hi:[1,0,0]
	v_mov_b32_e32 v121, v117
	ds_load_2addr_b64 v[116:119], v110 offset0:46 offset1:47
	v_pk_add_f32 v[6:7], v[6:7], v[120:121] neg_lo:[0,1] neg_hi:[0,1]
	s_wait_dscnt 0x0
	v_pk_mul_f32 v[120:121], v[116:117], v[108:109] op_sel:[0,1]
	s_delay_alu instid0(VALU_DEP_1) | instskip(SKIP_1) | instid1(VALU_DEP_1)
	v_pk_fma_f32 v[122:123], v[116:117], v[106:107], v[120:121] op_sel:[0,0,1] op_sel_hi:[1,1,0] neg_lo:[0,0,1] neg_hi:[0,0,1]
	v_pk_fma_f32 v[116:117], v[116:117], v[106:107], v[120:121] op_sel:[0,0,1] op_sel_hi:[1,0,0]
	v_mov_b32_e32 v123, v117
	v_pk_mul_f32 v[116:117], v[118:119], v[108:109] op_sel:[0,1]
	s_delay_alu instid0(VALU_DEP_2) | instskip(NEXT) | instid1(VALU_DEP_2)
	v_pk_add_f32 v[46:47], v[46:47], v[122:123] neg_lo:[0,1] neg_hi:[0,1]
	v_pk_fma_f32 v[120:121], v[118:119], v[106:107], v[116:117] op_sel:[0,0,1] op_sel_hi:[1,1,0] neg_lo:[0,0,1] neg_hi:[0,0,1]
	v_pk_fma_f32 v[116:117], v[118:119], v[106:107], v[116:117] op_sel:[0,0,1] op_sel_hi:[1,0,0]
	s_delay_alu instid0(VALU_DEP_1)
	v_mov_b32_e32 v121, v117
	ds_load_2addr_b64 v[116:119], v110 offset0:48 offset1:49
	v_pk_add_f32 v[28:29], v[28:29], v[120:121] neg_lo:[0,1] neg_hi:[0,1]
	s_wait_dscnt 0x0
	v_pk_mul_f32 v[120:121], v[116:117], v[108:109] op_sel:[0,1]
	v_mul_f32_e32 v108, v119, v109
	s_delay_alu instid0(VALU_DEP_2) | instskip(SKIP_2) | instid1(VALU_DEP_4)
	v_pk_fma_f32 v[122:123], v[116:117], v[106:107], v[120:121] op_sel:[0,0,1] op_sel_hi:[1,1,0] neg_lo:[0,0,1] neg_hi:[0,0,1]
	v_pk_fma_f32 v[116:117], v[116:117], v[106:107], v[120:121] op_sel:[0,0,1] op_sel_hi:[1,0,0]
	v_dual_mov_b32 v116, v119 :: v_dual_mul_f32 v106, v119, v106
	v_pk_fma_f32 v[108:109], v[118:119], v[38:39], v[108:109] op_sel_hi:[1,1,0] neg_lo:[0,0,1] neg_hi:[0,0,1]
	s_delay_alu instid0(VALU_DEP_3) | instskip(NEXT) | instid1(VALU_DEP_1)
	v_dual_mov_b32 v123, v117 :: v_dual_mov_b32 v117, v118
	v_pk_add_f32 v[14:15], v[14:15], v[122:123] neg_lo:[0,1] neg_hi:[0,1]
	s_delay_alu instid0(VALU_DEP_2) | instskip(NEXT) | instid1(VALU_DEP_1)
	v_pk_fma_f32 v[106:107], v[116:117], v[38:39], v[106:107] op_sel_hi:[1,1,0]
	v_mov_b32_e32 v109, v107
	s_delay_alu instid0(VALU_DEP_1)
	v_pk_add_f32 v[104:105], v[104:105], v[108:109] neg_lo:[0,1] neg_hi:[0,1]
.LBB98_545:
	s_or_b32 exec_lo, exec_lo, s0
	v_lshl_add_u32 v106, v114, 3, v110
	s_barrier_signal -1
	s_barrier_wait -1
	ds_store_b64 v106, v[42:43]
	s_wait_dscnt 0x0
	s_barrier_signal -1
	s_barrier_wait -1
	ds_load_b64 v[108:109], v110 offset:208
	v_mov_b32_e32 v106, 26
	s_cmp_lt_i32 s18, 28
	s_cbranch_scc1 .LBB98_548
; %bb.546:
	v_add3_u32 v107, v111, 0, 0xd8
	v_mov_b32_e32 v106, 26
	s_mov_b32 s0, 27
.LBB98_547:                             ; =>This Inner Loop Header: Depth=1
	ds_load_b64 v[116:117], v107
	s_wait_dscnt 0x1
	v_cmp_gt_f32_e32 vcc_lo, 0, v108
	v_cndmask_b32_e64 v118, v108, -v108, vcc_lo
	v_cmp_gt_f32_e32 vcc_lo, 0, v109
	v_cndmask_b32_e64 v120, v109, -v109, vcc_lo
	s_wait_dscnt 0x0
	v_cmp_gt_f32_e32 vcc_lo, 0, v116
	v_cndmask_b32_e64 v119, v116, -v116, vcc_lo
	v_cmp_gt_f32_e32 vcc_lo, 0, v117
	v_cndmask_b32_e64 v121, v117, -v117, vcc_lo
	s_delay_alu instid0(VALU_DEP_1) | instskip(NEXT) | instid1(VALU_DEP_1)
	v_pk_add_f32 v[118:119], v[118:119], v[120:121]
	v_cmp_lt_f32_e32 vcc_lo, v118, v119
	v_dual_add_nc_u32 v107, 8, v107 :: v_dual_cndmask_b32 v109, v109, v117, vcc_lo
	v_cndmask_b32_e32 v108, v108, v116, vcc_lo
	v_cndmask_b32_e64 v106, v106, s0, vcc_lo
	s_add_co_i32 s0, s0, 1
	s_delay_alu instid0(SALU_CYCLE_1)
	s_cmp_lg_u32 s18, s0
	s_cbranch_scc1 .LBB98_547
.LBB98_548:
	s_wait_dscnt 0x0
	v_cmp_eq_f32_e32 vcc_lo, 0, v108
	v_cmp_eq_f32_e64 s0, 0, v109
	s_and_b32 s0, vcc_lo, s0
	s_delay_alu instid0(SALU_CYCLE_1) | instskip(NEXT) | instid1(SALU_CYCLE_1)
	s_and_saveexec_b32 s1, s0
	s_xor_b32 s0, exec_lo, s1
; %bb.549:
	v_cmp_ne_u32_e32 vcc_lo, 0, v112
	v_cndmask_b32_e32 v112, 27, v112, vcc_lo
; %bb.550:
	s_and_not1_saveexec_b32 s0, s0
	s_cbranch_execz .LBB98_556
; %bb.551:
	v_cmp_ngt_f32_e64 s1, |v108|, |v109|
	s_and_saveexec_b32 s12, s1
	s_delay_alu instid0(SALU_CYCLE_1)
	s_xor_b32 s1, exec_lo, s12
	s_cbranch_execz .LBB98_553
; %bb.552:
	v_div_scale_f32 v107, null, v109, v109, v108
	v_div_scale_f32 v117, vcc_lo, v108, v109, v108
	s_delay_alu instid0(VALU_DEP_2) | instskip(SKIP_1) | instid1(TRANS32_DEP_1)
	v_rcp_f32_e32 v115, v107
	v_nop
	v_fma_f32 v116, -v107, v115, 1.0
	s_delay_alu instid0(VALU_DEP_1) | instskip(NEXT) | instid1(VALU_DEP_1)
	v_fmac_f32_e32 v115, v116, v115
	v_mul_f32_e32 v116, v117, v115
	s_delay_alu instid0(VALU_DEP_1) | instskip(NEXT) | instid1(VALU_DEP_1)
	v_fma_f32 v118, -v107, v116, v117
	v_fmac_f32_e32 v116, v118, v115
	s_delay_alu instid0(VALU_DEP_1) | instskip(NEXT) | instid1(VALU_DEP_1)
	v_fma_f32 v107, -v107, v116, v117
	v_div_fmas_f32 v107, v107, v115, v116
	s_delay_alu instid0(VALU_DEP_1) | instskip(NEXT) | instid1(VALU_DEP_1)
	v_div_fixup_f32 v107, v107, v109, v108
	v_fmac_f32_e32 v109, v108, v107
	s_delay_alu instid0(VALU_DEP_1) | instskip(SKIP_1) | instid1(VALU_DEP_2)
	v_div_scale_f32 v108, null, v109, v109, 1.0
	v_div_scale_f32 v117, vcc_lo, 1.0, v109, 1.0
	v_rcp_f32_e32 v115, v108
	v_nop
	s_delay_alu instid0(TRANS32_DEP_1) | instskip(NEXT) | instid1(VALU_DEP_1)
	v_fma_f32 v116, -v108, v115, 1.0
	v_fmac_f32_e32 v115, v116, v115
	s_delay_alu instid0(VALU_DEP_1) | instskip(NEXT) | instid1(VALU_DEP_1)
	v_mul_f32_e32 v116, v117, v115
	v_fma_f32 v118, -v108, v116, v117
	s_delay_alu instid0(VALU_DEP_1) | instskip(NEXT) | instid1(VALU_DEP_1)
	v_fmac_f32_e32 v116, v118, v115
	v_fma_f32 v108, -v108, v116, v117
	s_delay_alu instid0(VALU_DEP_1) | instskip(NEXT) | instid1(VALU_DEP_1)
	v_div_fmas_f32 v108, v108, v115, v116
	v_div_fixup_f32 v109, v108, v109, 1.0
	s_delay_alu instid0(VALU_DEP_1)
	v_mul_f32_e32 v108, v107, v109
	v_xor_b32_e32 v109, 0x80000000, v109
.LBB98_553:
	s_and_not1_saveexec_b32 s1, s1
	s_cbranch_execz .LBB98_555
; %bb.554:
	s_delay_alu instid0(VALU_DEP_1) | instskip(SKIP_1) | instid1(VALU_DEP_2)
	v_div_scale_f32 v107, null, v108, v108, v109
	v_div_scale_f32 v117, vcc_lo, v109, v108, v109
	v_rcp_f32_e32 v115, v107
	v_nop
	s_delay_alu instid0(TRANS32_DEP_1) | instskip(NEXT) | instid1(VALU_DEP_1)
	v_fma_f32 v116, -v107, v115, 1.0
	v_fmac_f32_e32 v115, v116, v115
	s_delay_alu instid0(VALU_DEP_1) | instskip(NEXT) | instid1(VALU_DEP_1)
	v_mul_f32_e32 v116, v117, v115
	v_fma_f32 v118, -v107, v116, v117
	s_delay_alu instid0(VALU_DEP_1) | instskip(NEXT) | instid1(VALU_DEP_1)
	v_fmac_f32_e32 v116, v118, v115
	v_fma_f32 v107, -v107, v116, v117
	s_delay_alu instid0(VALU_DEP_1) | instskip(NEXT) | instid1(VALU_DEP_1)
	v_div_fmas_f32 v107, v107, v115, v116
	v_div_fixup_f32 v107, v107, v108, v109
	s_delay_alu instid0(VALU_DEP_1) | instskip(NEXT) | instid1(VALU_DEP_1)
	v_fmac_f32_e32 v108, v109, v107
	v_div_scale_f32 v109, null, v108, v108, 1.0
	s_delay_alu instid0(VALU_DEP_1) | instskip(SKIP_1) | instid1(TRANS32_DEP_1)
	v_rcp_f32_e32 v115, v109
	v_nop
	v_fma_f32 v116, -v109, v115, 1.0
	s_delay_alu instid0(VALU_DEP_1) | instskip(SKIP_1) | instid1(VALU_DEP_1)
	v_fmac_f32_e32 v115, v116, v115
	v_div_scale_f32 v116, vcc_lo, 1.0, v108, 1.0
	v_mul_f32_e32 v117, v116, v115
	s_delay_alu instid0(VALU_DEP_1) | instskip(NEXT) | instid1(VALU_DEP_1)
	v_fma_f32 v118, -v109, v117, v116
	v_fmac_f32_e32 v117, v118, v115
	s_delay_alu instid0(VALU_DEP_1) | instskip(NEXT) | instid1(VALU_DEP_1)
	v_fma_f32 v109, -v109, v117, v116
	v_div_fmas_f32 v109, v109, v115, v117
	s_delay_alu instid0(VALU_DEP_1) | instskip(NEXT) | instid1(VALU_DEP_1)
	v_div_fixup_f32 v108, v109, v108, 1.0
	v_mul_f32_e64 v109, v107, -v108
.LBB98_555:
	s_or_b32 exec_lo, exec_lo, s1
.LBB98_556:
	s_delay_alu instid0(SALU_CYCLE_1) | instskip(NEXT) | instid1(SALU_CYCLE_1)
	s_or_b32 exec_lo, exec_lo, s0
	s_mov_b32 s0, exec_lo
	v_cmpx_ne_u32_e64 v114, v106
	s_xor_b32 s0, exec_lo, s0
	s_cbranch_execz .LBB98_562
; %bb.557:
	s_mov_b32 s1, exec_lo
	v_cmpx_eq_u32_e32 26, v114
	s_cbranch_execz .LBB98_561
; %bb.558:
	v_cmp_ne_u32_e32 vcc_lo, 26, v106
	s_xor_b32 s12, s16, -1
	s_delay_alu instid0(SALU_CYCLE_1) | instskip(NEXT) | instid1(SALU_CYCLE_1)
	s_and_b32 s13, s12, vcc_lo
	s_and_saveexec_b32 s12, s13
	s_cbranch_execz .LBB98_560
; %bb.559:
	v_ashrrev_i32_e32 v107, 31, v106
	s_delay_alu instid0(VALU_DEP_1)
	v_lshl_add_u64 v[114:115], v[106:107], 2, v[4:5]
	s_clause 0x1
	global_load_b32 v107, v[114:115], off
	global_load_b32 v113, v[4:5], off offset:104
	s_wait_loadcnt 0x1
	global_store_b32 v[4:5], v107, off offset:104
	s_wait_loadcnt 0x0
	global_store_b32 v[114:115], v113, off
.LBB98_560:
	s_wait_xcnt 0x0
	s_or_b32 exec_lo, exec_lo, s12
	v_dual_mov_b32 v114, v106 :: v_dual_mov_b32 v113, v106
.LBB98_561:
	s_or_b32 exec_lo, exec_lo, s1
.LBB98_562:
	s_and_not1_saveexec_b32 s0, s0
	s_cbranch_execz .LBB98_564
; %bb.563:
	v_mov_b32_e32 v114, 26
	ds_store_2addr_b64 v110, v[36:37], v[82:83] offset0:27 offset1:28
	ds_store_2addr_b64 v110, v[32:33], v[34:35] offset0:29 offset1:30
	;; [unrolled: 1-line block ×11, first 2 shown]
	ds_store_b64 v110, v[104:105] offset:392
.LBB98_564:
	s_or_b32 exec_lo, exec_lo, s0
	s_delay_alu instid0(SALU_CYCLE_1)
	s_mov_b32 s0, exec_lo
	s_wait_storecnt_dscnt 0x0
	s_barrier_signal -1
	s_barrier_wait -1
	v_cmpx_lt_i32_e32 26, v114
	s_cbranch_execz .LBB98_566
; %bb.565:
	v_pk_mul_f32 v[116:117], v[108:109], v[42:43] op_sel:[1,1] op_sel_hi:[0,1]
	s_delay_alu instid0(VALU_DEP_1)
	v_pk_fma_f32 v[106:107], v[108:109], v[42:43], v[116:117] op_sel_hi:[1,0,1] neg_lo:[0,0,1] neg_hi:[0,0,1]
	v_pk_fma_f32 v[108:109], v[108:109], v[42:43], v[116:117] op_sel_hi:[1,0,1]
	ds_load_2addr_b64 v[116:119], v110 offset0:27 offset1:28
	v_dual_mov_b32 v42, v106 :: v_dual_mov_b32 v43, v109
	s_wait_dscnt 0x0
	v_pk_mul_f32 v[120:121], v[116:117], v[108:109] op_sel:[0,1]
	s_delay_alu instid0(VALU_DEP_1) | instskip(SKIP_1) | instid1(VALU_DEP_1)
	v_pk_fma_f32 v[122:123], v[116:117], v[106:107], v[120:121] op_sel:[0,0,1] op_sel_hi:[1,1,0] neg_lo:[0,0,1] neg_hi:[0,0,1]
	v_pk_fma_f32 v[116:117], v[116:117], v[106:107], v[120:121] op_sel:[0,0,1] op_sel_hi:[1,0,0]
	v_mov_b32_e32 v123, v117
	v_pk_mul_f32 v[116:117], v[118:119], v[108:109] op_sel:[0,1]
	s_delay_alu instid0(VALU_DEP_1) | instskip(SKIP_1) | instid1(VALU_DEP_1)
	v_pk_fma_f32 v[120:121], v[118:119], v[106:107], v[116:117] op_sel:[0,0,1] op_sel_hi:[1,1,0] neg_lo:[0,0,1] neg_hi:[0,0,1]
	v_pk_fma_f32 v[116:117], v[118:119], v[106:107], v[116:117] op_sel:[0,0,1] op_sel_hi:[1,0,0]
	v_mov_b32_e32 v121, v117
	ds_load_2addr_b64 v[116:119], v110 offset0:29 offset1:30
	v_pk_add_f32 v[36:37], v[36:37], v[122:123] neg_lo:[0,1] neg_hi:[0,1]
	v_pk_add_f32 v[82:83], v[82:83], v[120:121] neg_lo:[0,1] neg_hi:[0,1]
	s_wait_dscnt 0x0
	v_pk_mul_f32 v[120:121], v[116:117], v[108:109] op_sel:[0,1]
	s_delay_alu instid0(VALU_DEP_1) | instskip(SKIP_2) | instid1(VALU_DEP_2)
	v_pk_fma_f32 v[122:123], v[116:117], v[106:107], v[120:121] op_sel:[0,0,1] op_sel_hi:[1,1,0] neg_lo:[0,0,1] neg_hi:[0,0,1]
	v_pk_fma_f32 v[116:117], v[116:117], v[106:107], v[120:121] op_sel:[0,0,1] op_sel_hi:[1,0,0]
	v_dual_mul_f32 v120, v119, v109 :: v_dual_mov_b32 v116, v119
	v_dual_mov_b32 v123, v117 :: v_dual_mov_b32 v117, v118
	s_delay_alu instid0(VALU_DEP_2) | instskip(SKIP_1) | instid1(VALU_DEP_3)
	v_pk_fma_f32 v[120:121], v[118:119], v[42:43], v[120:121] op_sel_hi:[1,1,0] neg_lo:[0,0,1] neg_hi:[0,0,1]
	v_mul_f32_e32 v118, v119, v106
	v_pk_add_f32 v[32:33], v[32:33], v[122:123] neg_lo:[0,1] neg_hi:[0,1]
	s_delay_alu instid0(VALU_DEP_2) | instskip(NEXT) | instid1(VALU_DEP_1)
	v_pk_fma_f32 v[116:117], v[116:117], v[42:43], v[118:119] op_sel_hi:[1,1,0]
	v_mov_b32_e32 v121, v117
	ds_load_2addr_b64 v[116:119], v110 offset0:31 offset1:32
	v_pk_add_f32 v[34:35], v[34:35], v[120:121] neg_lo:[0,1] neg_hi:[0,1]
	s_wait_dscnt 0x0
	v_pk_mul_f32 v[120:121], v[116:117], v[108:109] op_sel:[0,1]
	s_delay_alu instid0(VALU_DEP_1) | instskip(SKIP_1) | instid1(VALU_DEP_1)
	v_pk_fma_f32 v[122:123], v[116:117], v[106:107], v[120:121] op_sel:[0,0,1] op_sel_hi:[1,1,0] neg_lo:[0,0,1] neg_hi:[0,0,1]
	v_pk_fma_f32 v[116:117], v[116:117], v[106:107], v[120:121] op_sel:[0,0,1] op_sel_hi:[1,0,0]
	v_mov_b32_e32 v123, v117
	v_pk_mul_f32 v[116:117], v[118:119], v[108:109] op_sel:[0,1]
	s_delay_alu instid0(VALU_DEP_1) | instskip(SKIP_1) | instid1(VALU_DEP_1)
	v_pk_fma_f32 v[120:121], v[118:119], v[106:107], v[116:117] op_sel:[0,0,1] op_sel_hi:[1,1,0] neg_lo:[0,0,1] neg_hi:[0,0,1]
	v_pk_fma_f32 v[116:117], v[118:119], v[106:107], v[116:117] op_sel:[0,0,1] op_sel_hi:[1,0,0]
	v_mov_b32_e32 v121, v117
	ds_load_2addr_b64 v[116:119], v110 offset0:33 offset1:34
	v_pk_add_f32 v[30:31], v[30:31], v[122:123] neg_lo:[0,1] neg_hi:[0,1]
	v_pk_add_f32 v[80:81], v[80:81], v[120:121] neg_lo:[0,1] neg_hi:[0,1]
	s_wait_dscnt 0x0
	v_pk_mul_f32 v[120:121], v[116:117], v[108:109] op_sel:[0,1]
	s_delay_alu instid0(VALU_DEP_1) | instskip(SKIP_1) | instid1(VALU_DEP_1)
	v_pk_fma_f32 v[122:123], v[116:117], v[106:107], v[120:121] op_sel:[0,0,1] op_sel_hi:[1,1,0] neg_lo:[0,0,1] neg_hi:[0,0,1]
	v_pk_fma_f32 v[116:117], v[116:117], v[106:107], v[120:121] op_sel:[0,0,1] op_sel_hi:[1,0,0]
	v_mov_b32_e32 v123, v117
	v_pk_mul_f32 v[116:117], v[118:119], v[108:109] op_sel:[0,1]
	s_delay_alu instid0(VALU_DEP_1) | instskip(SKIP_1) | instid1(VALU_DEP_1)
	v_pk_fma_f32 v[120:121], v[118:119], v[106:107], v[116:117] op_sel:[0,0,1] op_sel_hi:[1,1,0] neg_lo:[0,0,1] neg_hi:[0,0,1]
	v_pk_fma_f32 v[116:117], v[118:119], v[106:107], v[116:117] op_sel:[0,0,1] op_sel_hi:[1,0,0]
	v_mov_b32_e32 v121, v117
	ds_load_2addr_b64 v[116:119], v110 offset0:35 offset1:36
	v_pk_add_f32 v[24:25], v[24:25], v[122:123] neg_lo:[0,1] neg_hi:[0,1]
	v_pk_add_f32 v[26:27], v[26:27], v[120:121] neg_lo:[0,1] neg_hi:[0,1]
	s_wait_dscnt 0x0
	v_dual_mul_f32 v120, v117, v109 :: v_dual_mul_f32 v122, v117, v106
	s_delay_alu instid0(VALU_DEP_1) | instskip(NEXT) | instid1(VALU_DEP_2)
	v_pk_fma_f32 v[120:121], v[116:117], v[42:43], v[120:121] op_sel_hi:[1,1,0] neg_lo:[0,0,1] neg_hi:[0,0,1]
	v_pk_fma_f32 v[116:117], v[116:117], v[42:43], v[122:123] op_sel:[1,0,0] op_sel_hi:[0,1,0]
	s_delay_alu instid0(VALU_DEP_1) | instskip(SKIP_1) | instid1(VALU_DEP_2)
	v_mov_b32_e32 v121, v117
	v_pk_mul_f32 v[116:117], v[118:119], v[108:109] op_sel:[0,1]
	v_pk_add_f32 v[22:23], v[22:23], v[120:121] neg_lo:[0,1] neg_hi:[0,1]
	s_delay_alu instid0(VALU_DEP_2) | instskip(SKIP_1) | instid1(VALU_DEP_1)
	v_pk_fma_f32 v[120:121], v[118:119], v[106:107], v[116:117] op_sel:[0,0,1] op_sel_hi:[1,1,0] neg_lo:[0,0,1] neg_hi:[0,0,1]
	v_pk_fma_f32 v[116:117], v[118:119], v[106:107], v[116:117] op_sel:[0,0,1] op_sel_hi:[1,0,0]
	v_mov_b32_e32 v121, v117
	ds_load_2addr_b64 v[116:119], v110 offset0:37 offset1:38
	v_pk_add_f32 v[78:79], v[78:79], v[120:121] neg_lo:[0,1] neg_hi:[0,1]
	s_wait_dscnt 0x0
	v_pk_mul_f32 v[120:121], v[116:117], v[108:109] op_sel:[0,1]
	s_delay_alu instid0(VALU_DEP_1) | instskip(SKIP_1) | instid1(VALU_DEP_1)
	v_pk_fma_f32 v[122:123], v[116:117], v[106:107], v[120:121] op_sel:[0,0,1] op_sel_hi:[1,1,0] neg_lo:[0,0,1] neg_hi:[0,0,1]
	v_pk_fma_f32 v[116:117], v[116:117], v[106:107], v[120:121] op_sel:[0,0,1] op_sel_hi:[1,0,0]
	v_mov_b32_e32 v123, v117
	v_pk_mul_f32 v[116:117], v[118:119], v[108:109] op_sel:[0,1]
	s_delay_alu instid0(VALU_DEP_2) | instskip(NEXT) | instid1(VALU_DEP_2)
	v_pk_add_f32 v[18:19], v[18:19], v[122:123] neg_lo:[0,1] neg_hi:[0,1]
	v_pk_fma_f32 v[120:121], v[118:119], v[106:107], v[116:117] op_sel:[0,0,1] op_sel_hi:[1,1,0] neg_lo:[0,0,1] neg_hi:[0,0,1]
	v_pk_fma_f32 v[116:117], v[118:119], v[106:107], v[116:117] op_sel:[0,0,1] op_sel_hi:[1,0,0]
	s_delay_alu instid0(VALU_DEP_1) | instskip(SKIP_4) | instid1(VALU_DEP_1)
	v_mov_b32_e32 v121, v117
	ds_load_2addr_b64 v[116:119], v110 offset0:39 offset1:40
	v_pk_add_f32 v[20:21], v[20:21], v[120:121] neg_lo:[0,1] neg_hi:[0,1]
	s_wait_dscnt 0x0
	v_pk_mul_f32 v[120:121], v[116:117], v[108:109] op_sel:[0,1]
	v_pk_fma_f32 v[122:123], v[116:117], v[106:107], v[120:121] op_sel:[0,0,1] op_sel_hi:[1,1,0] neg_lo:[0,0,1] neg_hi:[0,0,1]
	v_pk_fma_f32 v[116:117], v[116:117], v[106:107], v[120:121] op_sel:[0,0,1] op_sel_hi:[1,0,0]
	v_dual_mul_f32 v120, v119, v109 :: v_dual_mov_b32 v116, v119
	s_delay_alu instid0(VALU_DEP_2) | instskip(NEXT) | instid1(VALU_DEP_2)
	v_dual_mov_b32 v123, v117 :: v_dual_mov_b32 v117, v118
	v_pk_fma_f32 v[120:121], v[118:119], v[42:43], v[120:121] op_sel_hi:[1,1,0] neg_lo:[0,0,1] neg_hi:[0,0,1]
	v_mul_f32_e32 v118, v119, v106
	s_delay_alu instid0(VALU_DEP_3) | instskip(NEXT) | instid1(VALU_DEP_2)
	v_pk_add_f32 v[16:17], v[16:17], v[122:123] neg_lo:[0,1] neg_hi:[0,1]
	v_pk_fma_f32 v[116:117], v[116:117], v[42:43], v[118:119] op_sel_hi:[1,1,0]
	s_delay_alu instid0(VALU_DEP_1) | instskip(SKIP_4) | instid1(VALU_DEP_1)
	v_mov_b32_e32 v121, v117
	ds_load_2addr_b64 v[116:119], v110 offset0:41 offset1:42
	v_pk_add_f32 v[76:77], v[76:77], v[120:121] neg_lo:[0,1] neg_hi:[0,1]
	s_wait_dscnt 0x0
	v_pk_mul_f32 v[120:121], v[116:117], v[108:109] op_sel:[0,1]
	v_pk_fma_f32 v[122:123], v[116:117], v[106:107], v[120:121] op_sel:[0,0,1] op_sel_hi:[1,1,0] neg_lo:[0,0,1] neg_hi:[0,0,1]
	v_pk_fma_f32 v[116:117], v[116:117], v[106:107], v[120:121] op_sel:[0,0,1] op_sel_hi:[1,0,0]
	s_delay_alu instid0(VALU_DEP_1) | instskip(SKIP_1) | instid1(VALU_DEP_1)
	v_mov_b32_e32 v123, v117
	v_pk_mul_f32 v[116:117], v[118:119], v[108:109] op_sel:[0,1]
	v_pk_fma_f32 v[120:121], v[118:119], v[106:107], v[116:117] op_sel:[0,0,1] op_sel_hi:[1,1,0] neg_lo:[0,0,1] neg_hi:[0,0,1]
	v_pk_fma_f32 v[116:117], v[118:119], v[106:107], v[116:117] op_sel:[0,0,1] op_sel_hi:[1,0,0]
	s_delay_alu instid0(VALU_DEP_1)
	v_mov_b32_e32 v121, v117
	ds_load_2addr_b64 v[116:119], v110 offset0:43 offset1:44
	v_pk_add_f32 v[10:11], v[10:11], v[122:123] neg_lo:[0,1] neg_hi:[0,1]
	v_pk_add_f32 v[12:13], v[12:13], v[120:121] neg_lo:[0,1] neg_hi:[0,1]
	s_wait_dscnt 0x0
	v_pk_mul_f32 v[120:121], v[116:117], v[108:109] op_sel:[0,1]
	s_delay_alu instid0(VALU_DEP_1) | instskip(SKIP_1) | instid1(VALU_DEP_1)
	v_pk_fma_f32 v[122:123], v[116:117], v[106:107], v[120:121] op_sel:[0,0,1] op_sel_hi:[1,1,0] neg_lo:[0,0,1] neg_hi:[0,0,1]
	v_pk_fma_f32 v[116:117], v[116:117], v[106:107], v[120:121] op_sel:[0,0,1] op_sel_hi:[1,0,0]
	v_mov_b32_e32 v123, v117
	v_pk_mul_f32 v[116:117], v[118:119], v[108:109] op_sel:[0,1]
	s_delay_alu instid0(VALU_DEP_1) | instskip(SKIP_1) | instid1(VALU_DEP_1)
	v_pk_fma_f32 v[120:121], v[118:119], v[106:107], v[116:117] op_sel:[0,0,1] op_sel_hi:[1,1,0] neg_lo:[0,0,1] neg_hi:[0,0,1]
	v_pk_fma_f32 v[116:117], v[118:119], v[106:107], v[116:117] op_sel:[0,0,1] op_sel_hi:[1,0,0]
	v_mov_b32_e32 v121, v117
	ds_load_2addr_b64 v[116:119], v110 offset0:45 offset1:46
	v_pk_add_f32 v[8:9], v[8:9], v[122:123] neg_lo:[0,1] neg_hi:[0,1]
	v_pk_add_f32 v[70:71], v[70:71], v[120:121] neg_lo:[0,1] neg_hi:[0,1]
	s_wait_dscnt 0x0
	v_dual_mul_f32 v120, v117, v109 :: v_dual_mul_f32 v122, v117, v106
	s_delay_alu instid0(VALU_DEP_1) | instskip(NEXT) | instid1(VALU_DEP_2)
	v_pk_fma_f32 v[120:121], v[116:117], v[42:43], v[120:121] op_sel_hi:[1,1,0] neg_lo:[0,0,1] neg_hi:[0,0,1]
	v_pk_fma_f32 v[116:117], v[116:117], v[42:43], v[122:123] op_sel:[1,0,0] op_sel_hi:[0,1,0]
	s_delay_alu instid0(VALU_DEP_1) | instskip(SKIP_1) | instid1(VALU_DEP_2)
	v_mov_b32_e32 v121, v117
	v_pk_mul_f32 v[116:117], v[118:119], v[108:109] op_sel:[0,1]
	v_pk_add_f32 v[6:7], v[6:7], v[120:121] neg_lo:[0,1] neg_hi:[0,1]
	s_delay_alu instid0(VALU_DEP_2) | instskip(SKIP_1) | instid1(VALU_DEP_1)
	v_pk_fma_f32 v[120:121], v[118:119], v[106:107], v[116:117] op_sel:[0,0,1] op_sel_hi:[1,1,0] neg_lo:[0,0,1] neg_hi:[0,0,1]
	v_pk_fma_f32 v[116:117], v[118:119], v[106:107], v[116:117] op_sel:[0,0,1] op_sel_hi:[1,0,0]
	v_mov_b32_e32 v121, v117
	ds_load_2addr_b64 v[116:119], v110 offset0:47 offset1:48
	v_pk_add_f32 v[46:47], v[46:47], v[120:121] neg_lo:[0,1] neg_hi:[0,1]
	s_wait_dscnt 0x0
	v_pk_mul_f32 v[120:121], v[116:117], v[108:109] op_sel:[0,1]
	s_delay_alu instid0(VALU_DEP_1) | instskip(SKIP_1) | instid1(VALU_DEP_1)
	v_pk_fma_f32 v[122:123], v[116:117], v[106:107], v[120:121] op_sel:[0,0,1] op_sel_hi:[1,1,0] neg_lo:[0,0,1] neg_hi:[0,0,1]
	v_pk_fma_f32 v[116:117], v[116:117], v[106:107], v[120:121] op_sel:[0,0,1] op_sel_hi:[1,0,0]
	v_mov_b32_e32 v123, v117
	v_pk_mul_f32 v[116:117], v[118:119], v[108:109] op_sel:[0,1]
	s_delay_alu instid0(VALU_DEP_2) | instskip(NEXT) | instid1(VALU_DEP_2)
	v_pk_add_f32 v[28:29], v[28:29], v[122:123] neg_lo:[0,1] neg_hi:[0,1]
	v_pk_fma_f32 v[120:121], v[118:119], v[106:107], v[116:117] op_sel:[0,0,1] op_sel_hi:[1,1,0] neg_lo:[0,0,1] neg_hi:[0,0,1]
	v_pk_fma_f32 v[116:117], v[118:119], v[106:107], v[116:117] op_sel:[0,0,1] op_sel_hi:[1,0,0]
	s_delay_alu instid0(VALU_DEP_1) | instskip(SKIP_4) | instid1(VALU_DEP_1)
	v_mov_b32_e32 v121, v117
	ds_load_b64 v[116:117], v110 offset:392
	v_pk_add_f32 v[14:15], v[14:15], v[120:121] neg_lo:[0,1] neg_hi:[0,1]
	s_wait_dscnt 0x0
	v_pk_mul_f32 v[108:109], v[116:117], v[108:109] op_sel:[0,1]
	v_pk_fma_f32 v[118:119], v[116:117], v[106:107], v[108:109] op_sel:[0,0,1] op_sel_hi:[1,1,0] neg_lo:[0,0,1] neg_hi:[0,0,1]
	v_pk_fma_f32 v[106:107], v[116:117], v[106:107], v[108:109] op_sel:[0,0,1] op_sel_hi:[1,0,0]
	s_delay_alu instid0(VALU_DEP_1) | instskip(NEXT) | instid1(VALU_DEP_1)
	v_mov_b32_e32 v119, v107
	v_pk_add_f32 v[104:105], v[104:105], v[118:119] neg_lo:[0,1] neg_hi:[0,1]
.LBB98_566:
	s_or_b32 exec_lo, exec_lo, s0
	v_lshl_add_u32 v106, v114, 3, v110
	s_barrier_signal -1
	s_barrier_wait -1
	ds_store_b64 v106, v[36:37]
	s_wait_dscnt 0x0
	s_barrier_signal -1
	s_barrier_wait -1
	ds_load_b64 v[108:109], v110 offset:216
	v_mov_b32_e32 v106, 27
	s_cmp_lt_i32 s18, 29
	s_cbranch_scc1 .LBB98_569
; %bb.567:
	v_add3_u32 v107, v111, 0, 0xe0
	v_mov_b32_e32 v106, 27
	s_mov_b32 s0, 28
.LBB98_568:                             ; =>This Inner Loop Header: Depth=1
	ds_load_b64 v[116:117], v107
	s_wait_dscnt 0x1
	v_cmp_gt_f32_e32 vcc_lo, 0, v108
	v_cndmask_b32_e64 v118, v108, -v108, vcc_lo
	v_cmp_gt_f32_e32 vcc_lo, 0, v109
	v_cndmask_b32_e64 v120, v109, -v109, vcc_lo
	s_wait_dscnt 0x0
	v_cmp_gt_f32_e32 vcc_lo, 0, v116
	v_cndmask_b32_e64 v119, v116, -v116, vcc_lo
	v_cmp_gt_f32_e32 vcc_lo, 0, v117
	v_cndmask_b32_e64 v121, v117, -v117, vcc_lo
	s_delay_alu instid0(VALU_DEP_1) | instskip(NEXT) | instid1(VALU_DEP_1)
	v_pk_add_f32 v[118:119], v[118:119], v[120:121]
	v_cmp_lt_f32_e32 vcc_lo, v118, v119
	v_dual_add_nc_u32 v107, 8, v107 :: v_dual_cndmask_b32 v109, v109, v117, vcc_lo
	v_cndmask_b32_e32 v108, v108, v116, vcc_lo
	v_cndmask_b32_e64 v106, v106, s0, vcc_lo
	s_add_co_i32 s0, s0, 1
	s_delay_alu instid0(SALU_CYCLE_1)
	s_cmp_lg_u32 s18, s0
	s_cbranch_scc1 .LBB98_568
.LBB98_569:
	s_wait_dscnt 0x0
	v_cmp_eq_f32_e32 vcc_lo, 0, v108
	v_cmp_eq_f32_e64 s0, 0, v109
	s_and_b32 s0, vcc_lo, s0
	s_delay_alu instid0(SALU_CYCLE_1) | instskip(NEXT) | instid1(SALU_CYCLE_1)
	s_and_saveexec_b32 s1, s0
	s_xor_b32 s0, exec_lo, s1
; %bb.570:
	v_cmp_ne_u32_e32 vcc_lo, 0, v112
	v_cndmask_b32_e32 v112, 28, v112, vcc_lo
; %bb.571:
	s_and_not1_saveexec_b32 s0, s0
	s_cbranch_execz .LBB98_577
; %bb.572:
	v_cmp_ngt_f32_e64 s1, |v108|, |v109|
	s_and_saveexec_b32 s12, s1
	s_delay_alu instid0(SALU_CYCLE_1)
	s_xor_b32 s1, exec_lo, s12
	s_cbranch_execz .LBB98_574
; %bb.573:
	v_div_scale_f32 v107, null, v109, v109, v108
	v_div_scale_f32 v117, vcc_lo, v108, v109, v108
	s_delay_alu instid0(VALU_DEP_2) | instskip(SKIP_1) | instid1(TRANS32_DEP_1)
	v_rcp_f32_e32 v115, v107
	v_nop
	v_fma_f32 v116, -v107, v115, 1.0
	s_delay_alu instid0(VALU_DEP_1) | instskip(NEXT) | instid1(VALU_DEP_1)
	v_fmac_f32_e32 v115, v116, v115
	v_mul_f32_e32 v116, v117, v115
	s_delay_alu instid0(VALU_DEP_1) | instskip(NEXT) | instid1(VALU_DEP_1)
	v_fma_f32 v118, -v107, v116, v117
	v_fmac_f32_e32 v116, v118, v115
	s_delay_alu instid0(VALU_DEP_1) | instskip(NEXT) | instid1(VALU_DEP_1)
	v_fma_f32 v107, -v107, v116, v117
	v_div_fmas_f32 v107, v107, v115, v116
	s_delay_alu instid0(VALU_DEP_1) | instskip(NEXT) | instid1(VALU_DEP_1)
	v_div_fixup_f32 v107, v107, v109, v108
	v_fmac_f32_e32 v109, v108, v107
	s_delay_alu instid0(VALU_DEP_1) | instskip(SKIP_1) | instid1(VALU_DEP_2)
	v_div_scale_f32 v108, null, v109, v109, 1.0
	v_div_scale_f32 v117, vcc_lo, 1.0, v109, 1.0
	v_rcp_f32_e32 v115, v108
	v_nop
	s_delay_alu instid0(TRANS32_DEP_1) | instskip(NEXT) | instid1(VALU_DEP_1)
	v_fma_f32 v116, -v108, v115, 1.0
	v_fmac_f32_e32 v115, v116, v115
	s_delay_alu instid0(VALU_DEP_1) | instskip(NEXT) | instid1(VALU_DEP_1)
	v_mul_f32_e32 v116, v117, v115
	v_fma_f32 v118, -v108, v116, v117
	s_delay_alu instid0(VALU_DEP_1) | instskip(NEXT) | instid1(VALU_DEP_1)
	v_fmac_f32_e32 v116, v118, v115
	v_fma_f32 v108, -v108, v116, v117
	s_delay_alu instid0(VALU_DEP_1) | instskip(NEXT) | instid1(VALU_DEP_1)
	v_div_fmas_f32 v108, v108, v115, v116
	v_div_fixup_f32 v109, v108, v109, 1.0
	s_delay_alu instid0(VALU_DEP_1)
	v_mul_f32_e32 v108, v107, v109
	v_xor_b32_e32 v109, 0x80000000, v109
.LBB98_574:
	s_and_not1_saveexec_b32 s1, s1
	s_cbranch_execz .LBB98_576
; %bb.575:
	s_delay_alu instid0(VALU_DEP_1) | instskip(SKIP_1) | instid1(VALU_DEP_2)
	v_div_scale_f32 v107, null, v108, v108, v109
	v_div_scale_f32 v117, vcc_lo, v109, v108, v109
	v_rcp_f32_e32 v115, v107
	v_nop
	s_delay_alu instid0(TRANS32_DEP_1) | instskip(NEXT) | instid1(VALU_DEP_1)
	v_fma_f32 v116, -v107, v115, 1.0
	v_fmac_f32_e32 v115, v116, v115
	s_delay_alu instid0(VALU_DEP_1) | instskip(NEXT) | instid1(VALU_DEP_1)
	v_mul_f32_e32 v116, v117, v115
	v_fma_f32 v118, -v107, v116, v117
	s_delay_alu instid0(VALU_DEP_1) | instskip(NEXT) | instid1(VALU_DEP_1)
	v_fmac_f32_e32 v116, v118, v115
	v_fma_f32 v107, -v107, v116, v117
	s_delay_alu instid0(VALU_DEP_1) | instskip(NEXT) | instid1(VALU_DEP_1)
	v_div_fmas_f32 v107, v107, v115, v116
	v_div_fixup_f32 v107, v107, v108, v109
	s_delay_alu instid0(VALU_DEP_1) | instskip(NEXT) | instid1(VALU_DEP_1)
	v_fmac_f32_e32 v108, v109, v107
	v_div_scale_f32 v109, null, v108, v108, 1.0
	s_delay_alu instid0(VALU_DEP_1) | instskip(SKIP_1) | instid1(TRANS32_DEP_1)
	v_rcp_f32_e32 v115, v109
	v_nop
	v_fma_f32 v116, -v109, v115, 1.0
	s_delay_alu instid0(VALU_DEP_1) | instskip(SKIP_1) | instid1(VALU_DEP_1)
	v_fmac_f32_e32 v115, v116, v115
	v_div_scale_f32 v116, vcc_lo, 1.0, v108, 1.0
	v_mul_f32_e32 v117, v116, v115
	s_delay_alu instid0(VALU_DEP_1) | instskip(NEXT) | instid1(VALU_DEP_1)
	v_fma_f32 v118, -v109, v117, v116
	v_fmac_f32_e32 v117, v118, v115
	s_delay_alu instid0(VALU_DEP_1) | instskip(NEXT) | instid1(VALU_DEP_1)
	v_fma_f32 v109, -v109, v117, v116
	v_div_fmas_f32 v109, v109, v115, v117
	s_delay_alu instid0(VALU_DEP_1) | instskip(NEXT) | instid1(VALU_DEP_1)
	v_div_fixup_f32 v108, v109, v108, 1.0
	v_mul_f32_e64 v109, v107, -v108
.LBB98_576:
	s_or_b32 exec_lo, exec_lo, s1
.LBB98_577:
	s_delay_alu instid0(SALU_CYCLE_1) | instskip(NEXT) | instid1(SALU_CYCLE_1)
	s_or_b32 exec_lo, exec_lo, s0
	s_mov_b32 s0, exec_lo
	v_cmpx_ne_u32_e64 v114, v106
	s_xor_b32 s0, exec_lo, s0
	s_cbranch_execz .LBB98_583
; %bb.578:
	s_mov_b32 s1, exec_lo
	v_cmpx_eq_u32_e32 27, v114
	s_cbranch_execz .LBB98_582
; %bb.579:
	v_cmp_ne_u32_e32 vcc_lo, 27, v106
	s_xor_b32 s12, s16, -1
	s_delay_alu instid0(SALU_CYCLE_1) | instskip(NEXT) | instid1(SALU_CYCLE_1)
	s_and_b32 s13, s12, vcc_lo
	s_and_saveexec_b32 s12, s13
	s_cbranch_execz .LBB98_581
; %bb.580:
	v_ashrrev_i32_e32 v107, 31, v106
	s_delay_alu instid0(VALU_DEP_1)
	v_lshl_add_u64 v[114:115], v[106:107], 2, v[4:5]
	s_clause 0x1
	global_load_b32 v107, v[114:115], off
	global_load_b32 v113, v[4:5], off offset:108
	s_wait_loadcnt 0x1
	global_store_b32 v[4:5], v107, off offset:108
	s_wait_loadcnt 0x0
	global_store_b32 v[114:115], v113, off
.LBB98_581:
	s_wait_xcnt 0x0
	s_or_b32 exec_lo, exec_lo, s12
	v_dual_mov_b32 v114, v106 :: v_dual_mov_b32 v113, v106
.LBB98_582:
	s_or_b32 exec_lo, exec_lo, s1
.LBB98_583:
	s_and_not1_saveexec_b32 s0, s0
	s_cbranch_execz .LBB98_585
; %bb.584:
	v_dual_mov_b32 v106, v82 :: v_dual_mov_b32 v107, v83
	v_dual_mov_b32 v114, v32 :: v_dual_mov_b32 v115, v33
	ds_store_2addr_b64 v110, v[106:107], v[114:115] offset0:28 offset1:29
	v_dual_mov_b32 v106, v34 :: v_dual_mov_b32 v107, v35
	v_dual_mov_b32 v114, v30 :: v_dual_mov_b32 v115, v31
	ds_store_2addr_b64 v110, v[106:107], v[114:115] offset0:30 offset1:31
	;; [unrolled: 3-line block ×10, first 2 shown]
	v_dual_mov_b32 v106, v14 :: v_dual_mov_b32 v107, v15
	v_mov_b32_e32 v114, 27
	ds_store_2addr_b64 v110, v[106:107], v[104:105] offset0:48 offset1:49
.LBB98_585:
	s_or_b32 exec_lo, exec_lo, s0
	s_delay_alu instid0(SALU_CYCLE_1)
	s_mov_b32 s0, exec_lo
	s_wait_storecnt_dscnt 0x0
	s_barrier_signal -1
	s_barrier_wait -1
	v_cmpx_lt_i32_e32 27, v114
	s_cbranch_execz .LBB98_587
; %bb.586:
	v_pk_mul_f32 v[116:117], v[108:109], v[36:37] op_sel:[1,1] op_sel_hi:[0,1]
	s_delay_alu instid0(VALU_DEP_1)
	v_pk_fma_f32 v[106:107], v[108:109], v[36:37], v[116:117] op_sel_hi:[1,0,1] neg_lo:[0,0,1] neg_hi:[0,0,1]
	v_pk_fma_f32 v[108:109], v[108:109], v[36:37], v[116:117] op_sel_hi:[1,0,1]
	ds_load_2addr_b64 v[116:119], v110 offset0:28 offset1:29
	v_dual_mov_b32 v36, v106 :: v_dual_mov_b32 v37, v109
	s_wait_dscnt 0x0
	v_pk_mul_f32 v[120:121], v[116:117], v[108:109] op_sel:[0,1]
	s_delay_alu instid0(VALU_DEP_1) | instskip(SKIP_1) | instid1(VALU_DEP_1)
	v_pk_fma_f32 v[122:123], v[116:117], v[106:107], v[120:121] op_sel:[0,0,1] op_sel_hi:[1,1,0] neg_lo:[0,0,1] neg_hi:[0,0,1]
	v_pk_fma_f32 v[116:117], v[116:117], v[106:107], v[120:121] op_sel:[0,0,1] op_sel_hi:[1,0,0]
	v_mov_b32_e32 v123, v117
	v_pk_mul_f32 v[116:117], v[118:119], v[108:109] op_sel:[0,1]
	s_delay_alu instid0(VALU_DEP_1) | instskip(SKIP_1) | instid1(VALU_DEP_1)
	v_pk_fma_f32 v[120:121], v[118:119], v[106:107], v[116:117] op_sel:[0,0,1] op_sel_hi:[1,1,0] neg_lo:[0,0,1] neg_hi:[0,0,1]
	v_pk_fma_f32 v[116:117], v[118:119], v[106:107], v[116:117] op_sel:[0,0,1] op_sel_hi:[1,0,0]
	v_mov_b32_e32 v121, v117
	ds_load_2addr_b64 v[116:119], v110 offset0:30 offset1:31
	v_pk_add_f32 v[82:83], v[82:83], v[122:123] neg_lo:[0,1] neg_hi:[0,1]
	v_pk_add_f32 v[32:33], v[32:33], v[120:121] neg_lo:[0,1] neg_hi:[0,1]
	s_wait_dscnt 0x0
	v_pk_mul_f32 v[120:121], v[116:117], v[108:109] op_sel:[0,1]
	s_delay_alu instid0(VALU_DEP_1) | instskip(SKIP_2) | instid1(VALU_DEP_2)
	v_pk_fma_f32 v[122:123], v[116:117], v[106:107], v[120:121] op_sel:[0,0,1] op_sel_hi:[1,1,0] neg_lo:[0,0,1] neg_hi:[0,0,1]
	v_pk_fma_f32 v[116:117], v[116:117], v[106:107], v[120:121] op_sel:[0,0,1] op_sel_hi:[1,0,0]
	v_dual_mul_f32 v120, v119, v109 :: v_dual_mov_b32 v116, v119
	v_dual_mov_b32 v123, v117 :: v_dual_mov_b32 v117, v118
	s_delay_alu instid0(VALU_DEP_2) | instskip(SKIP_1) | instid1(VALU_DEP_3)
	v_pk_fma_f32 v[120:121], v[118:119], v[36:37], v[120:121] op_sel_hi:[1,1,0] neg_lo:[0,0,1] neg_hi:[0,0,1]
	v_mul_f32_e32 v118, v119, v106
	v_pk_add_f32 v[34:35], v[34:35], v[122:123] neg_lo:[0,1] neg_hi:[0,1]
	s_delay_alu instid0(VALU_DEP_2) | instskip(NEXT) | instid1(VALU_DEP_1)
	v_pk_fma_f32 v[116:117], v[116:117], v[36:37], v[118:119] op_sel_hi:[1,1,0]
	v_mov_b32_e32 v121, v117
	ds_load_2addr_b64 v[116:119], v110 offset0:32 offset1:33
	v_pk_add_f32 v[30:31], v[30:31], v[120:121] neg_lo:[0,1] neg_hi:[0,1]
	s_wait_dscnt 0x0
	v_pk_mul_f32 v[120:121], v[116:117], v[108:109] op_sel:[0,1]
	s_delay_alu instid0(VALU_DEP_1) | instskip(SKIP_1) | instid1(VALU_DEP_1)
	v_pk_fma_f32 v[122:123], v[116:117], v[106:107], v[120:121] op_sel:[0,0,1] op_sel_hi:[1,1,0] neg_lo:[0,0,1] neg_hi:[0,0,1]
	v_pk_fma_f32 v[116:117], v[116:117], v[106:107], v[120:121] op_sel:[0,0,1] op_sel_hi:[1,0,0]
	v_mov_b32_e32 v123, v117
	v_pk_mul_f32 v[116:117], v[118:119], v[108:109] op_sel:[0,1]
	s_delay_alu instid0(VALU_DEP_1) | instskip(SKIP_1) | instid1(VALU_DEP_1)
	v_pk_fma_f32 v[120:121], v[118:119], v[106:107], v[116:117] op_sel:[0,0,1] op_sel_hi:[1,1,0] neg_lo:[0,0,1] neg_hi:[0,0,1]
	v_pk_fma_f32 v[116:117], v[118:119], v[106:107], v[116:117] op_sel:[0,0,1] op_sel_hi:[1,0,0]
	v_mov_b32_e32 v121, v117
	ds_load_2addr_b64 v[116:119], v110 offset0:34 offset1:35
	v_pk_add_f32 v[80:81], v[80:81], v[122:123] neg_lo:[0,1] neg_hi:[0,1]
	v_pk_add_f32 v[24:25], v[24:25], v[120:121] neg_lo:[0,1] neg_hi:[0,1]
	s_wait_dscnt 0x0
	v_pk_mul_f32 v[120:121], v[116:117], v[108:109] op_sel:[0,1]
	s_delay_alu instid0(VALU_DEP_1) | instskip(SKIP_1) | instid1(VALU_DEP_1)
	v_pk_fma_f32 v[122:123], v[116:117], v[106:107], v[120:121] op_sel:[0,0,1] op_sel_hi:[1,1,0] neg_lo:[0,0,1] neg_hi:[0,0,1]
	v_pk_fma_f32 v[116:117], v[116:117], v[106:107], v[120:121] op_sel:[0,0,1] op_sel_hi:[1,0,0]
	v_mov_b32_e32 v123, v117
	v_pk_mul_f32 v[116:117], v[118:119], v[108:109] op_sel:[0,1]
	s_delay_alu instid0(VALU_DEP_1) | instskip(SKIP_1) | instid1(VALU_DEP_1)
	v_pk_fma_f32 v[120:121], v[118:119], v[106:107], v[116:117] op_sel:[0,0,1] op_sel_hi:[1,1,0] neg_lo:[0,0,1] neg_hi:[0,0,1]
	v_pk_fma_f32 v[116:117], v[118:119], v[106:107], v[116:117] op_sel:[0,0,1] op_sel_hi:[1,0,0]
	v_mov_b32_e32 v121, v117
	ds_load_2addr_b64 v[116:119], v110 offset0:36 offset1:37
	v_pk_add_f32 v[26:27], v[26:27], v[122:123] neg_lo:[0,1] neg_hi:[0,1]
	v_pk_add_f32 v[22:23], v[22:23], v[120:121] neg_lo:[0,1] neg_hi:[0,1]
	s_wait_dscnt 0x0
	v_dual_mul_f32 v120, v117, v109 :: v_dual_mul_f32 v122, v117, v106
	s_delay_alu instid0(VALU_DEP_1) | instskip(NEXT) | instid1(VALU_DEP_2)
	v_pk_fma_f32 v[120:121], v[116:117], v[36:37], v[120:121] op_sel_hi:[1,1,0] neg_lo:[0,0,1] neg_hi:[0,0,1]
	v_pk_fma_f32 v[116:117], v[116:117], v[36:37], v[122:123] op_sel:[1,0,0] op_sel_hi:[0,1,0]
	s_delay_alu instid0(VALU_DEP_1) | instskip(SKIP_1) | instid1(VALU_DEP_2)
	v_mov_b32_e32 v121, v117
	v_pk_mul_f32 v[116:117], v[118:119], v[108:109] op_sel:[0,1]
	v_pk_add_f32 v[78:79], v[78:79], v[120:121] neg_lo:[0,1] neg_hi:[0,1]
	s_delay_alu instid0(VALU_DEP_2) | instskip(SKIP_1) | instid1(VALU_DEP_1)
	v_pk_fma_f32 v[120:121], v[118:119], v[106:107], v[116:117] op_sel:[0,0,1] op_sel_hi:[1,1,0] neg_lo:[0,0,1] neg_hi:[0,0,1]
	v_pk_fma_f32 v[116:117], v[118:119], v[106:107], v[116:117] op_sel:[0,0,1] op_sel_hi:[1,0,0]
	v_mov_b32_e32 v121, v117
	ds_load_2addr_b64 v[116:119], v110 offset0:38 offset1:39
	v_pk_add_f32 v[18:19], v[18:19], v[120:121] neg_lo:[0,1] neg_hi:[0,1]
	s_wait_dscnt 0x0
	v_pk_mul_f32 v[120:121], v[116:117], v[108:109] op_sel:[0,1]
	s_delay_alu instid0(VALU_DEP_1) | instskip(SKIP_1) | instid1(VALU_DEP_1)
	v_pk_fma_f32 v[122:123], v[116:117], v[106:107], v[120:121] op_sel:[0,0,1] op_sel_hi:[1,1,0] neg_lo:[0,0,1] neg_hi:[0,0,1]
	v_pk_fma_f32 v[116:117], v[116:117], v[106:107], v[120:121] op_sel:[0,0,1] op_sel_hi:[1,0,0]
	v_mov_b32_e32 v123, v117
	v_pk_mul_f32 v[116:117], v[118:119], v[108:109] op_sel:[0,1]
	s_delay_alu instid0(VALU_DEP_2) | instskip(NEXT) | instid1(VALU_DEP_2)
	v_pk_add_f32 v[20:21], v[20:21], v[122:123] neg_lo:[0,1] neg_hi:[0,1]
	v_pk_fma_f32 v[120:121], v[118:119], v[106:107], v[116:117] op_sel:[0,0,1] op_sel_hi:[1,1,0] neg_lo:[0,0,1] neg_hi:[0,0,1]
	v_pk_fma_f32 v[116:117], v[118:119], v[106:107], v[116:117] op_sel:[0,0,1] op_sel_hi:[1,0,0]
	s_delay_alu instid0(VALU_DEP_1) | instskip(SKIP_4) | instid1(VALU_DEP_1)
	v_mov_b32_e32 v121, v117
	ds_load_2addr_b64 v[116:119], v110 offset0:40 offset1:41
	v_pk_add_f32 v[16:17], v[16:17], v[120:121] neg_lo:[0,1] neg_hi:[0,1]
	s_wait_dscnt 0x0
	v_pk_mul_f32 v[120:121], v[116:117], v[108:109] op_sel:[0,1]
	v_pk_fma_f32 v[122:123], v[116:117], v[106:107], v[120:121] op_sel:[0,0,1] op_sel_hi:[1,1,0] neg_lo:[0,0,1] neg_hi:[0,0,1]
	v_pk_fma_f32 v[116:117], v[116:117], v[106:107], v[120:121] op_sel:[0,0,1] op_sel_hi:[1,0,0]
	v_dual_mul_f32 v120, v119, v109 :: v_dual_mov_b32 v116, v119
	s_delay_alu instid0(VALU_DEP_2) | instskip(NEXT) | instid1(VALU_DEP_2)
	v_dual_mov_b32 v123, v117 :: v_dual_mov_b32 v117, v118
	v_pk_fma_f32 v[120:121], v[118:119], v[36:37], v[120:121] op_sel_hi:[1,1,0] neg_lo:[0,0,1] neg_hi:[0,0,1]
	v_mul_f32_e32 v118, v119, v106
	s_delay_alu instid0(VALU_DEP_3) | instskip(NEXT) | instid1(VALU_DEP_2)
	v_pk_add_f32 v[76:77], v[76:77], v[122:123] neg_lo:[0,1] neg_hi:[0,1]
	v_pk_fma_f32 v[116:117], v[116:117], v[36:37], v[118:119] op_sel_hi:[1,1,0]
	s_delay_alu instid0(VALU_DEP_1) | instskip(SKIP_4) | instid1(VALU_DEP_1)
	v_mov_b32_e32 v121, v117
	ds_load_2addr_b64 v[116:119], v110 offset0:42 offset1:43
	v_pk_add_f32 v[10:11], v[10:11], v[120:121] neg_lo:[0,1] neg_hi:[0,1]
	s_wait_dscnt 0x0
	v_pk_mul_f32 v[120:121], v[116:117], v[108:109] op_sel:[0,1]
	v_pk_fma_f32 v[122:123], v[116:117], v[106:107], v[120:121] op_sel:[0,0,1] op_sel_hi:[1,1,0] neg_lo:[0,0,1] neg_hi:[0,0,1]
	v_pk_fma_f32 v[116:117], v[116:117], v[106:107], v[120:121] op_sel:[0,0,1] op_sel_hi:[1,0,0]
	s_delay_alu instid0(VALU_DEP_1) | instskip(SKIP_1) | instid1(VALU_DEP_1)
	v_mov_b32_e32 v123, v117
	v_pk_mul_f32 v[116:117], v[118:119], v[108:109] op_sel:[0,1]
	v_pk_fma_f32 v[120:121], v[118:119], v[106:107], v[116:117] op_sel:[0,0,1] op_sel_hi:[1,1,0] neg_lo:[0,0,1] neg_hi:[0,0,1]
	v_pk_fma_f32 v[116:117], v[118:119], v[106:107], v[116:117] op_sel:[0,0,1] op_sel_hi:[1,0,0]
	s_delay_alu instid0(VALU_DEP_1)
	v_mov_b32_e32 v121, v117
	ds_load_2addr_b64 v[116:119], v110 offset0:44 offset1:45
	v_pk_add_f32 v[12:13], v[12:13], v[122:123] neg_lo:[0,1] neg_hi:[0,1]
	v_pk_add_f32 v[8:9], v[8:9], v[120:121] neg_lo:[0,1] neg_hi:[0,1]
	s_wait_dscnt 0x0
	v_pk_mul_f32 v[120:121], v[116:117], v[108:109] op_sel:[0,1]
	s_delay_alu instid0(VALU_DEP_1) | instskip(SKIP_1) | instid1(VALU_DEP_1)
	v_pk_fma_f32 v[122:123], v[116:117], v[106:107], v[120:121] op_sel:[0,0,1] op_sel_hi:[1,1,0] neg_lo:[0,0,1] neg_hi:[0,0,1]
	v_pk_fma_f32 v[116:117], v[116:117], v[106:107], v[120:121] op_sel:[0,0,1] op_sel_hi:[1,0,0]
	v_mov_b32_e32 v123, v117
	v_pk_mul_f32 v[116:117], v[118:119], v[108:109] op_sel:[0,1]
	s_delay_alu instid0(VALU_DEP_1) | instskip(SKIP_1) | instid1(VALU_DEP_1)
	v_pk_fma_f32 v[120:121], v[118:119], v[106:107], v[116:117] op_sel:[0,0,1] op_sel_hi:[1,1,0] neg_lo:[0,0,1] neg_hi:[0,0,1]
	v_pk_fma_f32 v[116:117], v[118:119], v[106:107], v[116:117] op_sel:[0,0,1] op_sel_hi:[1,0,0]
	v_mov_b32_e32 v121, v117
	ds_load_2addr_b64 v[116:119], v110 offset0:46 offset1:47
	v_pk_add_f32 v[70:71], v[70:71], v[122:123] neg_lo:[0,1] neg_hi:[0,1]
	v_pk_add_f32 v[6:7], v[6:7], v[120:121] neg_lo:[0,1] neg_hi:[0,1]
	s_wait_dscnt 0x0
	v_dual_mul_f32 v120, v117, v109 :: v_dual_mul_f32 v122, v117, v106
	s_delay_alu instid0(VALU_DEP_1) | instskip(NEXT) | instid1(VALU_DEP_2)
	v_pk_fma_f32 v[120:121], v[116:117], v[36:37], v[120:121] op_sel_hi:[1,1,0] neg_lo:[0,0,1] neg_hi:[0,0,1]
	v_pk_fma_f32 v[116:117], v[116:117], v[36:37], v[122:123] op_sel:[1,0,0] op_sel_hi:[0,1,0]
	s_delay_alu instid0(VALU_DEP_1) | instskip(SKIP_1) | instid1(VALU_DEP_2)
	v_mov_b32_e32 v121, v117
	v_pk_mul_f32 v[116:117], v[118:119], v[108:109] op_sel:[0,1]
	v_pk_add_f32 v[46:47], v[46:47], v[120:121] neg_lo:[0,1] neg_hi:[0,1]
	s_delay_alu instid0(VALU_DEP_2) | instskip(SKIP_1) | instid1(VALU_DEP_1)
	v_pk_fma_f32 v[120:121], v[118:119], v[106:107], v[116:117] op_sel:[0,0,1] op_sel_hi:[1,1,0] neg_lo:[0,0,1] neg_hi:[0,0,1]
	v_pk_fma_f32 v[116:117], v[118:119], v[106:107], v[116:117] op_sel:[0,0,1] op_sel_hi:[1,0,0]
	v_mov_b32_e32 v121, v117
	ds_load_2addr_b64 v[116:119], v110 offset0:48 offset1:49
	v_pk_add_f32 v[28:29], v[28:29], v[120:121] neg_lo:[0,1] neg_hi:[0,1]
	s_wait_dscnt 0x0
	v_pk_mul_f32 v[120:121], v[116:117], v[108:109] op_sel:[0,1]
	v_pk_mul_f32 v[108:109], v[118:119], v[108:109] op_sel:[0,1]
	s_delay_alu instid0(VALU_DEP_2) | instskip(SKIP_1) | instid1(VALU_DEP_1)
	v_pk_fma_f32 v[122:123], v[116:117], v[106:107], v[120:121] op_sel:[0,0,1] op_sel_hi:[1,1,0] neg_lo:[0,0,1] neg_hi:[0,0,1]
	v_pk_fma_f32 v[116:117], v[116:117], v[106:107], v[120:121] op_sel:[0,0,1] op_sel_hi:[1,0,0]
	v_mov_b32_e32 v123, v117
	s_delay_alu instid0(VALU_DEP_4) | instskip(SKIP_1) | instid1(VALU_DEP_3)
	v_pk_fma_f32 v[116:117], v[118:119], v[106:107], v[108:109] op_sel:[0,0,1] op_sel_hi:[1,1,0] neg_lo:[0,0,1] neg_hi:[0,0,1]
	v_pk_fma_f32 v[106:107], v[118:119], v[106:107], v[108:109] op_sel:[0,0,1] op_sel_hi:[1,0,0]
	v_pk_add_f32 v[14:15], v[14:15], v[122:123] neg_lo:[0,1] neg_hi:[0,1]
	s_delay_alu instid0(VALU_DEP_2) | instskip(NEXT) | instid1(VALU_DEP_1)
	v_mov_b32_e32 v117, v107
	v_pk_add_f32 v[104:105], v[104:105], v[116:117] neg_lo:[0,1] neg_hi:[0,1]
.LBB98_587:
	s_or_b32 exec_lo, exec_lo, s0
	v_lshl_add_u32 v106, v114, 3, v110
	s_barrier_signal -1
	s_barrier_wait -1
	ds_store_b64 v106, v[82:83]
	s_wait_dscnt 0x0
	s_barrier_signal -1
	s_barrier_wait -1
	ds_load_b64 v[108:109], v110 offset:224
	v_mov_b32_e32 v106, 28
	s_cmp_lt_i32 s18, 30
	s_cbranch_scc1 .LBB98_590
; %bb.588:
	v_add3_u32 v107, v111, 0, 0xe8
	v_mov_b32_e32 v106, 28
	s_mov_b32 s0, 29
.LBB98_589:                             ; =>This Inner Loop Header: Depth=1
	ds_load_b64 v[116:117], v107
	s_wait_dscnt 0x1
	v_cmp_gt_f32_e32 vcc_lo, 0, v108
	v_cndmask_b32_e64 v118, v108, -v108, vcc_lo
	v_cmp_gt_f32_e32 vcc_lo, 0, v109
	v_cndmask_b32_e64 v120, v109, -v109, vcc_lo
	s_wait_dscnt 0x0
	v_cmp_gt_f32_e32 vcc_lo, 0, v116
	v_cndmask_b32_e64 v119, v116, -v116, vcc_lo
	v_cmp_gt_f32_e32 vcc_lo, 0, v117
	v_cndmask_b32_e64 v121, v117, -v117, vcc_lo
	s_delay_alu instid0(VALU_DEP_1) | instskip(NEXT) | instid1(VALU_DEP_1)
	v_pk_add_f32 v[118:119], v[118:119], v[120:121]
	v_cmp_lt_f32_e32 vcc_lo, v118, v119
	v_dual_add_nc_u32 v107, 8, v107 :: v_dual_cndmask_b32 v109, v109, v117, vcc_lo
	v_cndmask_b32_e32 v108, v108, v116, vcc_lo
	v_cndmask_b32_e64 v106, v106, s0, vcc_lo
	s_add_co_i32 s0, s0, 1
	s_delay_alu instid0(SALU_CYCLE_1)
	s_cmp_lg_u32 s18, s0
	s_cbranch_scc1 .LBB98_589
.LBB98_590:
	s_wait_dscnt 0x0
	v_cmp_eq_f32_e32 vcc_lo, 0, v108
	v_cmp_eq_f32_e64 s0, 0, v109
	s_and_b32 s0, vcc_lo, s0
	s_delay_alu instid0(SALU_CYCLE_1) | instskip(NEXT) | instid1(SALU_CYCLE_1)
	s_and_saveexec_b32 s1, s0
	s_xor_b32 s0, exec_lo, s1
; %bb.591:
	v_cmp_ne_u32_e32 vcc_lo, 0, v112
	v_cndmask_b32_e32 v112, 29, v112, vcc_lo
; %bb.592:
	s_and_not1_saveexec_b32 s0, s0
	s_cbranch_execz .LBB98_598
; %bb.593:
	v_cmp_ngt_f32_e64 s1, |v108|, |v109|
	s_and_saveexec_b32 s12, s1
	s_delay_alu instid0(SALU_CYCLE_1)
	s_xor_b32 s1, exec_lo, s12
	s_cbranch_execz .LBB98_595
; %bb.594:
	v_div_scale_f32 v107, null, v109, v109, v108
	v_div_scale_f32 v117, vcc_lo, v108, v109, v108
	s_delay_alu instid0(VALU_DEP_2) | instskip(SKIP_1) | instid1(TRANS32_DEP_1)
	v_rcp_f32_e32 v115, v107
	v_nop
	v_fma_f32 v116, -v107, v115, 1.0
	s_delay_alu instid0(VALU_DEP_1) | instskip(NEXT) | instid1(VALU_DEP_1)
	v_fmac_f32_e32 v115, v116, v115
	v_mul_f32_e32 v116, v117, v115
	s_delay_alu instid0(VALU_DEP_1) | instskip(NEXT) | instid1(VALU_DEP_1)
	v_fma_f32 v118, -v107, v116, v117
	v_fmac_f32_e32 v116, v118, v115
	s_delay_alu instid0(VALU_DEP_1) | instskip(NEXT) | instid1(VALU_DEP_1)
	v_fma_f32 v107, -v107, v116, v117
	v_div_fmas_f32 v107, v107, v115, v116
	s_delay_alu instid0(VALU_DEP_1) | instskip(NEXT) | instid1(VALU_DEP_1)
	v_div_fixup_f32 v107, v107, v109, v108
	v_fmac_f32_e32 v109, v108, v107
	s_delay_alu instid0(VALU_DEP_1) | instskip(SKIP_1) | instid1(VALU_DEP_2)
	v_div_scale_f32 v108, null, v109, v109, 1.0
	v_div_scale_f32 v117, vcc_lo, 1.0, v109, 1.0
	v_rcp_f32_e32 v115, v108
	v_nop
	s_delay_alu instid0(TRANS32_DEP_1) | instskip(NEXT) | instid1(VALU_DEP_1)
	v_fma_f32 v116, -v108, v115, 1.0
	v_fmac_f32_e32 v115, v116, v115
	s_delay_alu instid0(VALU_DEP_1) | instskip(NEXT) | instid1(VALU_DEP_1)
	v_mul_f32_e32 v116, v117, v115
	v_fma_f32 v118, -v108, v116, v117
	s_delay_alu instid0(VALU_DEP_1) | instskip(NEXT) | instid1(VALU_DEP_1)
	v_fmac_f32_e32 v116, v118, v115
	v_fma_f32 v108, -v108, v116, v117
	s_delay_alu instid0(VALU_DEP_1) | instskip(NEXT) | instid1(VALU_DEP_1)
	v_div_fmas_f32 v108, v108, v115, v116
	v_div_fixup_f32 v109, v108, v109, 1.0
	s_delay_alu instid0(VALU_DEP_1)
	v_mul_f32_e32 v108, v107, v109
	v_xor_b32_e32 v109, 0x80000000, v109
.LBB98_595:
	s_and_not1_saveexec_b32 s1, s1
	s_cbranch_execz .LBB98_597
; %bb.596:
	s_delay_alu instid0(VALU_DEP_1) | instskip(SKIP_1) | instid1(VALU_DEP_2)
	v_div_scale_f32 v107, null, v108, v108, v109
	v_div_scale_f32 v117, vcc_lo, v109, v108, v109
	v_rcp_f32_e32 v115, v107
	v_nop
	s_delay_alu instid0(TRANS32_DEP_1) | instskip(NEXT) | instid1(VALU_DEP_1)
	v_fma_f32 v116, -v107, v115, 1.0
	v_fmac_f32_e32 v115, v116, v115
	s_delay_alu instid0(VALU_DEP_1) | instskip(NEXT) | instid1(VALU_DEP_1)
	v_mul_f32_e32 v116, v117, v115
	v_fma_f32 v118, -v107, v116, v117
	s_delay_alu instid0(VALU_DEP_1) | instskip(NEXT) | instid1(VALU_DEP_1)
	v_fmac_f32_e32 v116, v118, v115
	v_fma_f32 v107, -v107, v116, v117
	s_delay_alu instid0(VALU_DEP_1) | instskip(NEXT) | instid1(VALU_DEP_1)
	v_div_fmas_f32 v107, v107, v115, v116
	v_div_fixup_f32 v107, v107, v108, v109
	s_delay_alu instid0(VALU_DEP_1) | instskip(NEXT) | instid1(VALU_DEP_1)
	v_fmac_f32_e32 v108, v109, v107
	v_div_scale_f32 v109, null, v108, v108, 1.0
	s_delay_alu instid0(VALU_DEP_1) | instskip(SKIP_1) | instid1(TRANS32_DEP_1)
	v_rcp_f32_e32 v115, v109
	v_nop
	v_fma_f32 v116, -v109, v115, 1.0
	s_delay_alu instid0(VALU_DEP_1) | instskip(SKIP_1) | instid1(VALU_DEP_1)
	v_fmac_f32_e32 v115, v116, v115
	v_div_scale_f32 v116, vcc_lo, 1.0, v108, 1.0
	v_mul_f32_e32 v117, v116, v115
	s_delay_alu instid0(VALU_DEP_1) | instskip(NEXT) | instid1(VALU_DEP_1)
	v_fma_f32 v118, -v109, v117, v116
	v_fmac_f32_e32 v117, v118, v115
	s_delay_alu instid0(VALU_DEP_1) | instskip(NEXT) | instid1(VALU_DEP_1)
	v_fma_f32 v109, -v109, v117, v116
	v_div_fmas_f32 v109, v109, v115, v117
	s_delay_alu instid0(VALU_DEP_1) | instskip(NEXT) | instid1(VALU_DEP_1)
	v_div_fixup_f32 v108, v109, v108, 1.0
	v_mul_f32_e64 v109, v107, -v108
.LBB98_597:
	s_or_b32 exec_lo, exec_lo, s1
.LBB98_598:
	s_delay_alu instid0(SALU_CYCLE_1) | instskip(NEXT) | instid1(SALU_CYCLE_1)
	s_or_b32 exec_lo, exec_lo, s0
	s_mov_b32 s0, exec_lo
	v_cmpx_ne_u32_e64 v114, v106
	s_xor_b32 s0, exec_lo, s0
	s_cbranch_execz .LBB98_604
; %bb.599:
	s_mov_b32 s1, exec_lo
	v_cmpx_eq_u32_e32 28, v114
	s_cbranch_execz .LBB98_603
; %bb.600:
	v_cmp_ne_u32_e32 vcc_lo, 28, v106
	s_xor_b32 s12, s16, -1
	s_delay_alu instid0(SALU_CYCLE_1) | instskip(NEXT) | instid1(SALU_CYCLE_1)
	s_and_b32 s13, s12, vcc_lo
	s_and_saveexec_b32 s12, s13
	s_cbranch_execz .LBB98_602
; %bb.601:
	v_ashrrev_i32_e32 v107, 31, v106
	s_delay_alu instid0(VALU_DEP_1)
	v_lshl_add_u64 v[114:115], v[106:107], 2, v[4:5]
	s_clause 0x1
	global_load_b32 v107, v[114:115], off
	global_load_b32 v113, v[4:5], off offset:112
	s_wait_loadcnt 0x1
	global_store_b32 v[4:5], v107, off offset:112
	s_wait_loadcnt 0x0
	global_store_b32 v[114:115], v113, off
.LBB98_602:
	s_wait_xcnt 0x0
	s_or_b32 exec_lo, exec_lo, s12
	v_dual_mov_b32 v114, v106 :: v_dual_mov_b32 v113, v106
.LBB98_603:
	s_or_b32 exec_lo, exec_lo, s1
.LBB98_604:
	s_and_not1_saveexec_b32 s0, s0
	s_cbranch_execz .LBB98_606
; %bb.605:
	v_mov_b32_e32 v114, 28
	ds_store_2addr_b64 v110, v[32:33], v[34:35] offset0:29 offset1:30
	ds_store_2addr_b64 v110, v[30:31], v[80:81] offset0:31 offset1:32
	;; [unrolled: 1-line block ×10, first 2 shown]
	ds_store_b64 v110, v[104:105] offset:392
.LBB98_606:
	s_or_b32 exec_lo, exec_lo, s0
	s_delay_alu instid0(SALU_CYCLE_1)
	s_mov_b32 s0, exec_lo
	s_wait_storecnt_dscnt 0x0
	s_barrier_signal -1
	s_barrier_wait -1
	v_cmpx_lt_i32_e32 28, v114
	s_cbranch_execz .LBB98_608
; %bb.607:
	v_pk_mul_f32 v[116:117], v[108:109], v[82:83] op_sel:[1,1] op_sel_hi:[0,1]
	s_delay_alu instid0(VALU_DEP_1)
	v_pk_fma_f32 v[106:107], v[108:109], v[82:83], v[116:117] op_sel_hi:[1,0,1] neg_lo:[0,0,1] neg_hi:[0,0,1]
	v_pk_fma_f32 v[108:109], v[108:109], v[82:83], v[116:117] op_sel_hi:[1,0,1]
	ds_load_2addr_b64 v[116:119], v110 offset0:29 offset1:30
	v_dual_mov_b32 v82, v106 :: v_dual_mov_b32 v83, v109
	s_wait_dscnt 0x0
	v_pk_mul_f32 v[120:121], v[116:117], v[108:109] op_sel:[0,1]
	s_delay_alu instid0(VALU_DEP_1) | instskip(SKIP_1) | instid1(VALU_DEP_1)
	v_pk_fma_f32 v[122:123], v[116:117], v[106:107], v[120:121] op_sel:[0,0,1] op_sel_hi:[1,1,0] neg_lo:[0,0,1] neg_hi:[0,0,1]
	v_pk_fma_f32 v[116:117], v[116:117], v[106:107], v[120:121] op_sel:[0,0,1] op_sel_hi:[1,0,0]
	v_mov_b32_e32 v123, v117
	v_pk_mul_f32 v[116:117], v[118:119], v[108:109] op_sel:[0,1]
	s_delay_alu instid0(VALU_DEP_1) | instskip(SKIP_1) | instid1(VALU_DEP_1)
	v_pk_fma_f32 v[120:121], v[118:119], v[106:107], v[116:117] op_sel:[0,0,1] op_sel_hi:[1,1,0] neg_lo:[0,0,1] neg_hi:[0,0,1]
	v_pk_fma_f32 v[116:117], v[118:119], v[106:107], v[116:117] op_sel:[0,0,1] op_sel_hi:[1,0,0]
	v_mov_b32_e32 v121, v117
	ds_load_2addr_b64 v[116:119], v110 offset0:31 offset1:32
	v_pk_add_f32 v[32:33], v[32:33], v[122:123] neg_lo:[0,1] neg_hi:[0,1]
	v_pk_add_f32 v[34:35], v[34:35], v[120:121] neg_lo:[0,1] neg_hi:[0,1]
	s_wait_dscnt 0x0
	v_pk_mul_f32 v[120:121], v[116:117], v[108:109] op_sel:[0,1]
	s_delay_alu instid0(VALU_DEP_1) | instskip(SKIP_2) | instid1(VALU_DEP_2)
	v_pk_fma_f32 v[122:123], v[116:117], v[106:107], v[120:121] op_sel:[0,0,1] op_sel_hi:[1,1,0] neg_lo:[0,0,1] neg_hi:[0,0,1]
	v_pk_fma_f32 v[116:117], v[116:117], v[106:107], v[120:121] op_sel:[0,0,1] op_sel_hi:[1,0,0]
	v_dual_mul_f32 v120, v119, v109 :: v_dual_mov_b32 v116, v119
	v_dual_mov_b32 v123, v117 :: v_dual_mov_b32 v117, v118
	s_delay_alu instid0(VALU_DEP_2) | instskip(SKIP_1) | instid1(VALU_DEP_3)
	v_pk_fma_f32 v[120:121], v[118:119], v[82:83], v[120:121] op_sel_hi:[1,1,0] neg_lo:[0,0,1] neg_hi:[0,0,1]
	v_mul_f32_e32 v118, v119, v106
	v_pk_add_f32 v[30:31], v[30:31], v[122:123] neg_lo:[0,1] neg_hi:[0,1]
	s_delay_alu instid0(VALU_DEP_2) | instskip(NEXT) | instid1(VALU_DEP_1)
	v_pk_fma_f32 v[116:117], v[116:117], v[82:83], v[118:119] op_sel_hi:[1,1,0]
	v_mov_b32_e32 v121, v117
	ds_load_2addr_b64 v[116:119], v110 offset0:33 offset1:34
	v_pk_add_f32 v[80:81], v[80:81], v[120:121] neg_lo:[0,1] neg_hi:[0,1]
	s_wait_dscnt 0x0
	v_pk_mul_f32 v[120:121], v[116:117], v[108:109] op_sel:[0,1]
	s_delay_alu instid0(VALU_DEP_1) | instskip(SKIP_1) | instid1(VALU_DEP_1)
	v_pk_fma_f32 v[122:123], v[116:117], v[106:107], v[120:121] op_sel:[0,0,1] op_sel_hi:[1,1,0] neg_lo:[0,0,1] neg_hi:[0,0,1]
	v_pk_fma_f32 v[116:117], v[116:117], v[106:107], v[120:121] op_sel:[0,0,1] op_sel_hi:[1,0,0]
	v_mov_b32_e32 v123, v117
	v_pk_mul_f32 v[116:117], v[118:119], v[108:109] op_sel:[0,1]
	s_delay_alu instid0(VALU_DEP_1) | instskip(SKIP_1) | instid1(VALU_DEP_1)
	v_pk_fma_f32 v[120:121], v[118:119], v[106:107], v[116:117] op_sel:[0,0,1] op_sel_hi:[1,1,0] neg_lo:[0,0,1] neg_hi:[0,0,1]
	v_pk_fma_f32 v[116:117], v[118:119], v[106:107], v[116:117] op_sel:[0,0,1] op_sel_hi:[1,0,0]
	v_mov_b32_e32 v121, v117
	ds_load_2addr_b64 v[116:119], v110 offset0:35 offset1:36
	v_pk_add_f32 v[24:25], v[24:25], v[122:123] neg_lo:[0,1] neg_hi:[0,1]
	v_pk_add_f32 v[26:27], v[26:27], v[120:121] neg_lo:[0,1] neg_hi:[0,1]
	s_wait_dscnt 0x0
	v_pk_mul_f32 v[120:121], v[116:117], v[108:109] op_sel:[0,1]
	s_delay_alu instid0(VALU_DEP_1) | instskip(SKIP_1) | instid1(VALU_DEP_1)
	v_pk_fma_f32 v[122:123], v[116:117], v[106:107], v[120:121] op_sel:[0,0,1] op_sel_hi:[1,1,0] neg_lo:[0,0,1] neg_hi:[0,0,1]
	v_pk_fma_f32 v[116:117], v[116:117], v[106:107], v[120:121] op_sel:[0,0,1] op_sel_hi:[1,0,0]
	v_mov_b32_e32 v123, v117
	v_pk_mul_f32 v[116:117], v[118:119], v[108:109] op_sel:[0,1]
	s_delay_alu instid0(VALU_DEP_1) | instskip(SKIP_1) | instid1(VALU_DEP_1)
	v_pk_fma_f32 v[120:121], v[118:119], v[106:107], v[116:117] op_sel:[0,0,1] op_sel_hi:[1,1,0] neg_lo:[0,0,1] neg_hi:[0,0,1]
	v_pk_fma_f32 v[116:117], v[118:119], v[106:107], v[116:117] op_sel:[0,0,1] op_sel_hi:[1,0,0]
	v_mov_b32_e32 v121, v117
	ds_load_2addr_b64 v[116:119], v110 offset0:37 offset1:38
	v_pk_add_f32 v[22:23], v[22:23], v[122:123] neg_lo:[0,1] neg_hi:[0,1]
	v_pk_add_f32 v[78:79], v[78:79], v[120:121] neg_lo:[0,1] neg_hi:[0,1]
	s_wait_dscnt 0x0
	v_dual_mul_f32 v120, v117, v109 :: v_dual_mul_f32 v122, v117, v106
	s_delay_alu instid0(VALU_DEP_1) | instskip(NEXT) | instid1(VALU_DEP_2)
	v_pk_fma_f32 v[120:121], v[116:117], v[82:83], v[120:121] op_sel_hi:[1,1,0] neg_lo:[0,0,1] neg_hi:[0,0,1]
	v_pk_fma_f32 v[116:117], v[116:117], v[82:83], v[122:123] op_sel:[1,0,0] op_sel_hi:[0,1,0]
	s_delay_alu instid0(VALU_DEP_1) | instskip(SKIP_1) | instid1(VALU_DEP_2)
	v_mov_b32_e32 v121, v117
	v_pk_mul_f32 v[116:117], v[118:119], v[108:109] op_sel:[0,1]
	v_pk_add_f32 v[18:19], v[18:19], v[120:121] neg_lo:[0,1] neg_hi:[0,1]
	s_delay_alu instid0(VALU_DEP_2) | instskip(SKIP_1) | instid1(VALU_DEP_1)
	v_pk_fma_f32 v[120:121], v[118:119], v[106:107], v[116:117] op_sel:[0,0,1] op_sel_hi:[1,1,0] neg_lo:[0,0,1] neg_hi:[0,0,1]
	v_pk_fma_f32 v[116:117], v[118:119], v[106:107], v[116:117] op_sel:[0,0,1] op_sel_hi:[1,0,0]
	v_mov_b32_e32 v121, v117
	ds_load_2addr_b64 v[116:119], v110 offset0:39 offset1:40
	v_pk_add_f32 v[20:21], v[20:21], v[120:121] neg_lo:[0,1] neg_hi:[0,1]
	s_wait_dscnt 0x0
	v_pk_mul_f32 v[120:121], v[116:117], v[108:109] op_sel:[0,1]
	s_delay_alu instid0(VALU_DEP_1) | instskip(SKIP_1) | instid1(VALU_DEP_1)
	v_pk_fma_f32 v[122:123], v[116:117], v[106:107], v[120:121] op_sel:[0,0,1] op_sel_hi:[1,1,0] neg_lo:[0,0,1] neg_hi:[0,0,1]
	v_pk_fma_f32 v[116:117], v[116:117], v[106:107], v[120:121] op_sel:[0,0,1] op_sel_hi:[1,0,0]
	v_mov_b32_e32 v123, v117
	v_pk_mul_f32 v[116:117], v[118:119], v[108:109] op_sel:[0,1]
	s_delay_alu instid0(VALU_DEP_2) | instskip(NEXT) | instid1(VALU_DEP_2)
	v_pk_add_f32 v[16:17], v[16:17], v[122:123] neg_lo:[0,1] neg_hi:[0,1]
	v_pk_fma_f32 v[120:121], v[118:119], v[106:107], v[116:117] op_sel:[0,0,1] op_sel_hi:[1,1,0] neg_lo:[0,0,1] neg_hi:[0,0,1]
	v_pk_fma_f32 v[116:117], v[118:119], v[106:107], v[116:117] op_sel:[0,0,1] op_sel_hi:[1,0,0]
	s_delay_alu instid0(VALU_DEP_1) | instskip(SKIP_4) | instid1(VALU_DEP_1)
	v_mov_b32_e32 v121, v117
	ds_load_2addr_b64 v[116:119], v110 offset0:41 offset1:42
	v_pk_add_f32 v[76:77], v[76:77], v[120:121] neg_lo:[0,1] neg_hi:[0,1]
	s_wait_dscnt 0x0
	v_pk_mul_f32 v[120:121], v[116:117], v[108:109] op_sel:[0,1]
	v_pk_fma_f32 v[122:123], v[116:117], v[106:107], v[120:121] op_sel:[0,0,1] op_sel_hi:[1,1,0] neg_lo:[0,0,1] neg_hi:[0,0,1]
	v_pk_fma_f32 v[116:117], v[116:117], v[106:107], v[120:121] op_sel:[0,0,1] op_sel_hi:[1,0,0]
	v_dual_mul_f32 v120, v119, v109 :: v_dual_mov_b32 v116, v119
	s_delay_alu instid0(VALU_DEP_2) | instskip(NEXT) | instid1(VALU_DEP_2)
	v_dual_mov_b32 v123, v117 :: v_dual_mov_b32 v117, v118
	v_pk_fma_f32 v[120:121], v[118:119], v[82:83], v[120:121] op_sel_hi:[1,1,0] neg_lo:[0,0,1] neg_hi:[0,0,1]
	v_mul_f32_e32 v118, v119, v106
	s_delay_alu instid0(VALU_DEP_3) | instskip(NEXT) | instid1(VALU_DEP_2)
	v_pk_add_f32 v[10:11], v[10:11], v[122:123] neg_lo:[0,1] neg_hi:[0,1]
	v_pk_fma_f32 v[116:117], v[116:117], v[82:83], v[118:119] op_sel_hi:[1,1,0]
	s_delay_alu instid0(VALU_DEP_1) | instskip(SKIP_4) | instid1(VALU_DEP_1)
	v_mov_b32_e32 v121, v117
	ds_load_2addr_b64 v[116:119], v110 offset0:43 offset1:44
	v_pk_add_f32 v[12:13], v[12:13], v[120:121] neg_lo:[0,1] neg_hi:[0,1]
	s_wait_dscnt 0x0
	v_pk_mul_f32 v[120:121], v[116:117], v[108:109] op_sel:[0,1]
	v_pk_fma_f32 v[122:123], v[116:117], v[106:107], v[120:121] op_sel:[0,0,1] op_sel_hi:[1,1,0] neg_lo:[0,0,1] neg_hi:[0,0,1]
	v_pk_fma_f32 v[116:117], v[116:117], v[106:107], v[120:121] op_sel:[0,0,1] op_sel_hi:[1,0,0]
	s_delay_alu instid0(VALU_DEP_1) | instskip(SKIP_1) | instid1(VALU_DEP_1)
	v_mov_b32_e32 v123, v117
	v_pk_mul_f32 v[116:117], v[118:119], v[108:109] op_sel:[0,1]
	v_pk_fma_f32 v[120:121], v[118:119], v[106:107], v[116:117] op_sel:[0,0,1] op_sel_hi:[1,1,0] neg_lo:[0,0,1] neg_hi:[0,0,1]
	v_pk_fma_f32 v[116:117], v[118:119], v[106:107], v[116:117] op_sel:[0,0,1] op_sel_hi:[1,0,0]
	s_delay_alu instid0(VALU_DEP_1)
	v_mov_b32_e32 v121, v117
	ds_load_2addr_b64 v[116:119], v110 offset0:45 offset1:46
	v_pk_add_f32 v[8:9], v[8:9], v[122:123] neg_lo:[0,1] neg_hi:[0,1]
	v_pk_add_f32 v[70:71], v[70:71], v[120:121] neg_lo:[0,1] neg_hi:[0,1]
	s_wait_dscnt 0x0
	v_pk_mul_f32 v[120:121], v[116:117], v[108:109] op_sel:[0,1]
	s_delay_alu instid0(VALU_DEP_1) | instskip(SKIP_1) | instid1(VALU_DEP_1)
	v_pk_fma_f32 v[122:123], v[116:117], v[106:107], v[120:121] op_sel:[0,0,1] op_sel_hi:[1,1,0] neg_lo:[0,0,1] neg_hi:[0,0,1]
	v_pk_fma_f32 v[116:117], v[116:117], v[106:107], v[120:121] op_sel:[0,0,1] op_sel_hi:[1,0,0]
	v_mov_b32_e32 v123, v117
	v_pk_mul_f32 v[116:117], v[118:119], v[108:109] op_sel:[0,1]
	s_delay_alu instid0(VALU_DEP_1) | instskip(SKIP_1) | instid1(VALU_DEP_1)
	v_pk_fma_f32 v[120:121], v[118:119], v[106:107], v[116:117] op_sel:[0,0,1] op_sel_hi:[1,1,0] neg_lo:[0,0,1] neg_hi:[0,0,1]
	v_pk_fma_f32 v[116:117], v[118:119], v[106:107], v[116:117] op_sel:[0,0,1] op_sel_hi:[1,0,0]
	v_mov_b32_e32 v121, v117
	ds_load_2addr_b64 v[116:119], v110 offset0:47 offset1:48
	v_pk_add_f32 v[6:7], v[6:7], v[122:123] neg_lo:[0,1] neg_hi:[0,1]
	v_pk_add_f32 v[46:47], v[46:47], v[120:121] neg_lo:[0,1] neg_hi:[0,1]
	s_wait_dscnt 0x0
	v_dual_mul_f32 v120, v117, v109 :: v_dual_mul_f32 v122, v117, v106
	s_delay_alu instid0(VALU_DEP_1) | instskip(NEXT) | instid1(VALU_DEP_2)
	v_pk_fma_f32 v[120:121], v[116:117], v[82:83], v[120:121] op_sel_hi:[1,1,0] neg_lo:[0,0,1] neg_hi:[0,0,1]
	v_pk_fma_f32 v[116:117], v[116:117], v[82:83], v[122:123] op_sel:[1,0,0] op_sel_hi:[0,1,0]
	s_delay_alu instid0(VALU_DEP_1) | instskip(SKIP_1) | instid1(VALU_DEP_2)
	v_mov_b32_e32 v121, v117
	v_pk_mul_f32 v[116:117], v[118:119], v[108:109] op_sel:[0,1]
	v_pk_add_f32 v[28:29], v[28:29], v[120:121] neg_lo:[0,1] neg_hi:[0,1]
	s_delay_alu instid0(VALU_DEP_2) | instskip(SKIP_1) | instid1(VALU_DEP_1)
	v_pk_fma_f32 v[120:121], v[118:119], v[106:107], v[116:117] op_sel:[0,0,1] op_sel_hi:[1,1,0] neg_lo:[0,0,1] neg_hi:[0,0,1]
	v_pk_fma_f32 v[116:117], v[118:119], v[106:107], v[116:117] op_sel:[0,0,1] op_sel_hi:[1,0,0]
	v_mov_b32_e32 v121, v117
	ds_load_b64 v[116:117], v110 offset:392
	v_pk_add_f32 v[14:15], v[14:15], v[120:121] neg_lo:[0,1] neg_hi:[0,1]
	s_wait_dscnt 0x0
	v_pk_mul_f32 v[108:109], v[116:117], v[108:109] op_sel:[0,1]
	s_delay_alu instid0(VALU_DEP_1) | instskip(SKIP_1) | instid1(VALU_DEP_1)
	v_pk_fma_f32 v[118:119], v[116:117], v[106:107], v[108:109] op_sel:[0,0,1] op_sel_hi:[1,1,0] neg_lo:[0,0,1] neg_hi:[0,0,1]
	v_pk_fma_f32 v[106:107], v[116:117], v[106:107], v[108:109] op_sel:[0,0,1] op_sel_hi:[1,0,0]
	v_mov_b32_e32 v119, v107
	s_delay_alu instid0(VALU_DEP_1)
	v_pk_add_f32 v[104:105], v[104:105], v[118:119] neg_lo:[0,1] neg_hi:[0,1]
.LBB98_608:
	s_or_b32 exec_lo, exec_lo, s0
	v_lshl_add_u32 v106, v114, 3, v110
	s_barrier_signal -1
	s_barrier_wait -1
	ds_store_b64 v106, v[32:33]
	s_wait_dscnt 0x0
	s_barrier_signal -1
	s_barrier_wait -1
	ds_load_b64 v[108:109], v110 offset:232
	v_mov_b32_e32 v106, 29
	s_cmp_lt_i32 s18, 31
	s_cbranch_scc1 .LBB98_611
; %bb.609:
	v_add3_u32 v107, v111, 0, 0xf0
	v_mov_b32_e32 v106, 29
	s_mov_b32 s0, 30
.LBB98_610:                             ; =>This Inner Loop Header: Depth=1
	ds_load_b64 v[116:117], v107
	s_wait_dscnt 0x1
	v_cmp_gt_f32_e32 vcc_lo, 0, v108
	v_cndmask_b32_e64 v118, v108, -v108, vcc_lo
	v_cmp_gt_f32_e32 vcc_lo, 0, v109
	v_cndmask_b32_e64 v120, v109, -v109, vcc_lo
	s_wait_dscnt 0x0
	v_cmp_gt_f32_e32 vcc_lo, 0, v116
	v_cndmask_b32_e64 v119, v116, -v116, vcc_lo
	v_cmp_gt_f32_e32 vcc_lo, 0, v117
	v_cndmask_b32_e64 v121, v117, -v117, vcc_lo
	s_delay_alu instid0(VALU_DEP_1) | instskip(NEXT) | instid1(VALU_DEP_1)
	v_pk_add_f32 v[118:119], v[118:119], v[120:121]
	v_cmp_lt_f32_e32 vcc_lo, v118, v119
	v_dual_add_nc_u32 v107, 8, v107 :: v_dual_cndmask_b32 v109, v109, v117, vcc_lo
	v_cndmask_b32_e32 v108, v108, v116, vcc_lo
	v_cndmask_b32_e64 v106, v106, s0, vcc_lo
	s_add_co_i32 s0, s0, 1
	s_delay_alu instid0(SALU_CYCLE_1)
	s_cmp_lg_u32 s18, s0
	s_cbranch_scc1 .LBB98_610
.LBB98_611:
	s_wait_dscnt 0x0
	v_cmp_eq_f32_e32 vcc_lo, 0, v108
	v_cmp_eq_f32_e64 s0, 0, v109
	s_and_b32 s0, vcc_lo, s0
	s_delay_alu instid0(SALU_CYCLE_1) | instskip(NEXT) | instid1(SALU_CYCLE_1)
	s_and_saveexec_b32 s1, s0
	s_xor_b32 s0, exec_lo, s1
; %bb.612:
	v_cmp_ne_u32_e32 vcc_lo, 0, v112
	v_cndmask_b32_e32 v112, 30, v112, vcc_lo
; %bb.613:
	s_and_not1_saveexec_b32 s0, s0
	s_cbranch_execz .LBB98_619
; %bb.614:
	v_cmp_ngt_f32_e64 s1, |v108|, |v109|
	s_and_saveexec_b32 s12, s1
	s_delay_alu instid0(SALU_CYCLE_1)
	s_xor_b32 s1, exec_lo, s12
	s_cbranch_execz .LBB98_616
; %bb.615:
	v_div_scale_f32 v107, null, v109, v109, v108
	v_div_scale_f32 v117, vcc_lo, v108, v109, v108
	s_delay_alu instid0(VALU_DEP_2) | instskip(SKIP_1) | instid1(TRANS32_DEP_1)
	v_rcp_f32_e32 v115, v107
	v_nop
	v_fma_f32 v116, -v107, v115, 1.0
	s_delay_alu instid0(VALU_DEP_1) | instskip(NEXT) | instid1(VALU_DEP_1)
	v_fmac_f32_e32 v115, v116, v115
	v_mul_f32_e32 v116, v117, v115
	s_delay_alu instid0(VALU_DEP_1) | instskip(NEXT) | instid1(VALU_DEP_1)
	v_fma_f32 v118, -v107, v116, v117
	v_fmac_f32_e32 v116, v118, v115
	s_delay_alu instid0(VALU_DEP_1) | instskip(NEXT) | instid1(VALU_DEP_1)
	v_fma_f32 v107, -v107, v116, v117
	v_div_fmas_f32 v107, v107, v115, v116
	s_delay_alu instid0(VALU_DEP_1) | instskip(NEXT) | instid1(VALU_DEP_1)
	v_div_fixup_f32 v107, v107, v109, v108
	v_fmac_f32_e32 v109, v108, v107
	s_delay_alu instid0(VALU_DEP_1) | instskip(SKIP_1) | instid1(VALU_DEP_2)
	v_div_scale_f32 v108, null, v109, v109, 1.0
	v_div_scale_f32 v117, vcc_lo, 1.0, v109, 1.0
	v_rcp_f32_e32 v115, v108
	v_nop
	s_delay_alu instid0(TRANS32_DEP_1) | instskip(NEXT) | instid1(VALU_DEP_1)
	v_fma_f32 v116, -v108, v115, 1.0
	v_fmac_f32_e32 v115, v116, v115
	s_delay_alu instid0(VALU_DEP_1) | instskip(NEXT) | instid1(VALU_DEP_1)
	v_mul_f32_e32 v116, v117, v115
	v_fma_f32 v118, -v108, v116, v117
	s_delay_alu instid0(VALU_DEP_1) | instskip(NEXT) | instid1(VALU_DEP_1)
	v_fmac_f32_e32 v116, v118, v115
	v_fma_f32 v108, -v108, v116, v117
	s_delay_alu instid0(VALU_DEP_1) | instskip(NEXT) | instid1(VALU_DEP_1)
	v_div_fmas_f32 v108, v108, v115, v116
	v_div_fixup_f32 v109, v108, v109, 1.0
	s_delay_alu instid0(VALU_DEP_1)
	v_mul_f32_e32 v108, v107, v109
	v_xor_b32_e32 v109, 0x80000000, v109
.LBB98_616:
	s_and_not1_saveexec_b32 s1, s1
	s_cbranch_execz .LBB98_618
; %bb.617:
	s_delay_alu instid0(VALU_DEP_1) | instskip(SKIP_1) | instid1(VALU_DEP_2)
	v_div_scale_f32 v107, null, v108, v108, v109
	v_div_scale_f32 v117, vcc_lo, v109, v108, v109
	v_rcp_f32_e32 v115, v107
	v_nop
	s_delay_alu instid0(TRANS32_DEP_1) | instskip(NEXT) | instid1(VALU_DEP_1)
	v_fma_f32 v116, -v107, v115, 1.0
	v_fmac_f32_e32 v115, v116, v115
	s_delay_alu instid0(VALU_DEP_1) | instskip(NEXT) | instid1(VALU_DEP_1)
	v_mul_f32_e32 v116, v117, v115
	v_fma_f32 v118, -v107, v116, v117
	s_delay_alu instid0(VALU_DEP_1) | instskip(NEXT) | instid1(VALU_DEP_1)
	v_fmac_f32_e32 v116, v118, v115
	v_fma_f32 v107, -v107, v116, v117
	s_delay_alu instid0(VALU_DEP_1) | instskip(NEXT) | instid1(VALU_DEP_1)
	v_div_fmas_f32 v107, v107, v115, v116
	v_div_fixup_f32 v107, v107, v108, v109
	s_delay_alu instid0(VALU_DEP_1) | instskip(NEXT) | instid1(VALU_DEP_1)
	v_fmac_f32_e32 v108, v109, v107
	v_div_scale_f32 v109, null, v108, v108, 1.0
	s_delay_alu instid0(VALU_DEP_1) | instskip(SKIP_1) | instid1(TRANS32_DEP_1)
	v_rcp_f32_e32 v115, v109
	v_nop
	v_fma_f32 v116, -v109, v115, 1.0
	s_delay_alu instid0(VALU_DEP_1) | instskip(SKIP_1) | instid1(VALU_DEP_1)
	v_fmac_f32_e32 v115, v116, v115
	v_div_scale_f32 v116, vcc_lo, 1.0, v108, 1.0
	v_mul_f32_e32 v117, v116, v115
	s_delay_alu instid0(VALU_DEP_1) | instskip(NEXT) | instid1(VALU_DEP_1)
	v_fma_f32 v118, -v109, v117, v116
	v_fmac_f32_e32 v117, v118, v115
	s_delay_alu instid0(VALU_DEP_1) | instskip(NEXT) | instid1(VALU_DEP_1)
	v_fma_f32 v109, -v109, v117, v116
	v_div_fmas_f32 v109, v109, v115, v117
	s_delay_alu instid0(VALU_DEP_1) | instskip(NEXT) | instid1(VALU_DEP_1)
	v_div_fixup_f32 v108, v109, v108, 1.0
	v_mul_f32_e64 v109, v107, -v108
.LBB98_618:
	s_or_b32 exec_lo, exec_lo, s1
.LBB98_619:
	s_delay_alu instid0(SALU_CYCLE_1) | instskip(NEXT) | instid1(SALU_CYCLE_1)
	s_or_b32 exec_lo, exec_lo, s0
	s_mov_b32 s0, exec_lo
	v_cmpx_ne_u32_e64 v114, v106
	s_xor_b32 s0, exec_lo, s0
	s_cbranch_execz .LBB98_625
; %bb.620:
	s_mov_b32 s1, exec_lo
	v_cmpx_eq_u32_e32 29, v114
	s_cbranch_execz .LBB98_624
; %bb.621:
	v_cmp_ne_u32_e32 vcc_lo, 29, v106
	s_xor_b32 s12, s16, -1
	s_delay_alu instid0(SALU_CYCLE_1) | instskip(NEXT) | instid1(SALU_CYCLE_1)
	s_and_b32 s13, s12, vcc_lo
	s_and_saveexec_b32 s12, s13
	s_cbranch_execz .LBB98_623
; %bb.622:
	v_ashrrev_i32_e32 v107, 31, v106
	s_delay_alu instid0(VALU_DEP_1)
	v_lshl_add_u64 v[114:115], v[106:107], 2, v[4:5]
	s_clause 0x1
	global_load_b32 v107, v[114:115], off
	global_load_b32 v113, v[4:5], off offset:116
	s_wait_loadcnt 0x1
	global_store_b32 v[4:5], v107, off offset:116
	s_wait_loadcnt 0x0
	global_store_b32 v[114:115], v113, off
.LBB98_623:
	s_wait_xcnt 0x0
	s_or_b32 exec_lo, exec_lo, s12
	v_dual_mov_b32 v114, v106 :: v_dual_mov_b32 v113, v106
.LBB98_624:
	s_or_b32 exec_lo, exec_lo, s1
.LBB98_625:
	s_and_not1_saveexec_b32 s0, s0
	s_cbranch_execz .LBB98_627
; %bb.626:
	v_dual_mov_b32 v106, v34 :: v_dual_mov_b32 v107, v35
	v_dual_mov_b32 v114, v30 :: v_dual_mov_b32 v115, v31
	ds_store_2addr_b64 v110, v[106:107], v[114:115] offset0:30 offset1:31
	v_dual_mov_b32 v106, v80 :: v_dual_mov_b32 v107, v81
	v_dual_mov_b32 v114, v24 :: v_dual_mov_b32 v115, v25
	ds_store_2addr_b64 v110, v[106:107], v[114:115] offset0:32 offset1:33
	;; [unrolled: 3-line block ×9, first 2 shown]
	v_dual_mov_b32 v106, v14 :: v_dual_mov_b32 v107, v15
	v_mov_b32_e32 v114, 29
	ds_store_2addr_b64 v110, v[106:107], v[104:105] offset0:48 offset1:49
.LBB98_627:
	s_or_b32 exec_lo, exec_lo, s0
	s_delay_alu instid0(SALU_CYCLE_1)
	s_mov_b32 s0, exec_lo
	s_wait_storecnt_dscnt 0x0
	s_barrier_signal -1
	s_barrier_wait -1
	v_cmpx_lt_i32_e32 29, v114
	s_cbranch_execz .LBB98_629
; %bb.628:
	v_pk_mul_f32 v[116:117], v[108:109], v[32:33] op_sel:[1,1] op_sel_hi:[0,1]
	s_delay_alu instid0(VALU_DEP_1)
	v_pk_fma_f32 v[106:107], v[108:109], v[32:33], v[116:117] op_sel_hi:[1,0,1] neg_lo:[0,0,1] neg_hi:[0,0,1]
	v_pk_fma_f32 v[108:109], v[108:109], v[32:33], v[116:117] op_sel_hi:[1,0,1]
	ds_load_2addr_b64 v[116:119], v110 offset0:30 offset1:31
	v_dual_mov_b32 v32, v106 :: v_dual_mov_b32 v33, v109
	s_wait_dscnt 0x0
	v_pk_mul_f32 v[120:121], v[116:117], v[108:109] op_sel:[0,1]
	s_delay_alu instid0(VALU_DEP_1) | instskip(SKIP_1) | instid1(VALU_DEP_1)
	v_pk_fma_f32 v[122:123], v[116:117], v[106:107], v[120:121] op_sel:[0,0,1] op_sel_hi:[1,1,0] neg_lo:[0,0,1] neg_hi:[0,0,1]
	v_pk_fma_f32 v[116:117], v[116:117], v[106:107], v[120:121] op_sel:[0,0,1] op_sel_hi:[1,0,0]
	v_mov_b32_e32 v123, v117
	v_pk_mul_f32 v[116:117], v[118:119], v[108:109] op_sel:[0,1]
	s_delay_alu instid0(VALU_DEP_1) | instskip(SKIP_1) | instid1(VALU_DEP_1)
	v_pk_fma_f32 v[120:121], v[118:119], v[106:107], v[116:117] op_sel:[0,0,1] op_sel_hi:[1,1,0] neg_lo:[0,0,1] neg_hi:[0,0,1]
	v_pk_fma_f32 v[116:117], v[118:119], v[106:107], v[116:117] op_sel:[0,0,1] op_sel_hi:[1,0,0]
	v_mov_b32_e32 v121, v117
	ds_load_2addr_b64 v[116:119], v110 offset0:32 offset1:33
	v_pk_add_f32 v[34:35], v[34:35], v[122:123] neg_lo:[0,1] neg_hi:[0,1]
	v_pk_add_f32 v[30:31], v[30:31], v[120:121] neg_lo:[0,1] neg_hi:[0,1]
	s_wait_dscnt 0x0
	v_pk_mul_f32 v[120:121], v[116:117], v[108:109] op_sel:[0,1]
	s_delay_alu instid0(VALU_DEP_1) | instskip(SKIP_2) | instid1(VALU_DEP_2)
	v_pk_fma_f32 v[122:123], v[116:117], v[106:107], v[120:121] op_sel:[0,0,1] op_sel_hi:[1,1,0] neg_lo:[0,0,1] neg_hi:[0,0,1]
	v_pk_fma_f32 v[116:117], v[116:117], v[106:107], v[120:121] op_sel:[0,0,1] op_sel_hi:[1,0,0]
	v_dual_mul_f32 v120, v119, v109 :: v_dual_mov_b32 v116, v119
	v_dual_mov_b32 v123, v117 :: v_dual_mov_b32 v117, v118
	s_delay_alu instid0(VALU_DEP_2) | instskip(SKIP_1) | instid1(VALU_DEP_3)
	v_pk_fma_f32 v[120:121], v[118:119], v[32:33], v[120:121] op_sel_hi:[1,1,0] neg_lo:[0,0,1] neg_hi:[0,0,1]
	v_mul_f32_e32 v118, v119, v106
	v_pk_add_f32 v[80:81], v[80:81], v[122:123] neg_lo:[0,1] neg_hi:[0,1]
	s_delay_alu instid0(VALU_DEP_2) | instskip(NEXT) | instid1(VALU_DEP_1)
	v_pk_fma_f32 v[116:117], v[116:117], v[32:33], v[118:119] op_sel_hi:[1,1,0]
	v_mov_b32_e32 v121, v117
	ds_load_2addr_b64 v[116:119], v110 offset0:34 offset1:35
	v_pk_add_f32 v[24:25], v[24:25], v[120:121] neg_lo:[0,1] neg_hi:[0,1]
	s_wait_dscnt 0x0
	v_pk_mul_f32 v[120:121], v[116:117], v[108:109] op_sel:[0,1]
	s_delay_alu instid0(VALU_DEP_1) | instskip(SKIP_1) | instid1(VALU_DEP_1)
	v_pk_fma_f32 v[122:123], v[116:117], v[106:107], v[120:121] op_sel:[0,0,1] op_sel_hi:[1,1,0] neg_lo:[0,0,1] neg_hi:[0,0,1]
	v_pk_fma_f32 v[116:117], v[116:117], v[106:107], v[120:121] op_sel:[0,0,1] op_sel_hi:[1,0,0]
	v_mov_b32_e32 v123, v117
	v_pk_mul_f32 v[116:117], v[118:119], v[108:109] op_sel:[0,1]
	s_delay_alu instid0(VALU_DEP_1) | instskip(SKIP_1) | instid1(VALU_DEP_1)
	v_pk_fma_f32 v[120:121], v[118:119], v[106:107], v[116:117] op_sel:[0,0,1] op_sel_hi:[1,1,0] neg_lo:[0,0,1] neg_hi:[0,0,1]
	v_pk_fma_f32 v[116:117], v[118:119], v[106:107], v[116:117] op_sel:[0,0,1] op_sel_hi:[1,0,0]
	v_mov_b32_e32 v121, v117
	ds_load_2addr_b64 v[116:119], v110 offset0:36 offset1:37
	v_pk_add_f32 v[26:27], v[26:27], v[122:123] neg_lo:[0,1] neg_hi:[0,1]
	v_pk_add_f32 v[22:23], v[22:23], v[120:121] neg_lo:[0,1] neg_hi:[0,1]
	s_wait_dscnt 0x0
	v_pk_mul_f32 v[120:121], v[116:117], v[108:109] op_sel:[0,1]
	s_delay_alu instid0(VALU_DEP_1) | instskip(SKIP_1) | instid1(VALU_DEP_1)
	v_pk_fma_f32 v[122:123], v[116:117], v[106:107], v[120:121] op_sel:[0,0,1] op_sel_hi:[1,1,0] neg_lo:[0,0,1] neg_hi:[0,0,1]
	v_pk_fma_f32 v[116:117], v[116:117], v[106:107], v[120:121] op_sel:[0,0,1] op_sel_hi:[1,0,0]
	v_mov_b32_e32 v123, v117
	v_pk_mul_f32 v[116:117], v[118:119], v[108:109] op_sel:[0,1]
	s_delay_alu instid0(VALU_DEP_1) | instskip(SKIP_1) | instid1(VALU_DEP_1)
	v_pk_fma_f32 v[120:121], v[118:119], v[106:107], v[116:117] op_sel:[0,0,1] op_sel_hi:[1,1,0] neg_lo:[0,0,1] neg_hi:[0,0,1]
	v_pk_fma_f32 v[116:117], v[118:119], v[106:107], v[116:117] op_sel:[0,0,1] op_sel_hi:[1,0,0]
	v_mov_b32_e32 v121, v117
	ds_load_2addr_b64 v[116:119], v110 offset0:38 offset1:39
	v_pk_add_f32 v[78:79], v[78:79], v[122:123] neg_lo:[0,1] neg_hi:[0,1]
	v_pk_add_f32 v[18:19], v[18:19], v[120:121] neg_lo:[0,1] neg_hi:[0,1]
	s_wait_dscnt 0x0
	v_dual_mul_f32 v120, v117, v109 :: v_dual_mul_f32 v122, v117, v106
	s_delay_alu instid0(VALU_DEP_1) | instskip(NEXT) | instid1(VALU_DEP_2)
	v_pk_fma_f32 v[120:121], v[116:117], v[32:33], v[120:121] op_sel_hi:[1,1,0] neg_lo:[0,0,1] neg_hi:[0,0,1]
	v_pk_fma_f32 v[116:117], v[116:117], v[32:33], v[122:123] op_sel:[1,0,0] op_sel_hi:[0,1,0]
	s_delay_alu instid0(VALU_DEP_1) | instskip(SKIP_1) | instid1(VALU_DEP_2)
	v_mov_b32_e32 v121, v117
	v_pk_mul_f32 v[116:117], v[118:119], v[108:109] op_sel:[0,1]
	v_pk_add_f32 v[20:21], v[20:21], v[120:121] neg_lo:[0,1] neg_hi:[0,1]
	s_delay_alu instid0(VALU_DEP_2) | instskip(SKIP_1) | instid1(VALU_DEP_1)
	v_pk_fma_f32 v[120:121], v[118:119], v[106:107], v[116:117] op_sel:[0,0,1] op_sel_hi:[1,1,0] neg_lo:[0,0,1] neg_hi:[0,0,1]
	v_pk_fma_f32 v[116:117], v[118:119], v[106:107], v[116:117] op_sel:[0,0,1] op_sel_hi:[1,0,0]
	v_mov_b32_e32 v121, v117
	ds_load_2addr_b64 v[116:119], v110 offset0:40 offset1:41
	v_pk_add_f32 v[16:17], v[16:17], v[120:121] neg_lo:[0,1] neg_hi:[0,1]
	s_wait_dscnt 0x0
	v_pk_mul_f32 v[120:121], v[116:117], v[108:109] op_sel:[0,1]
	s_delay_alu instid0(VALU_DEP_1) | instskip(SKIP_1) | instid1(VALU_DEP_1)
	v_pk_fma_f32 v[122:123], v[116:117], v[106:107], v[120:121] op_sel:[0,0,1] op_sel_hi:[1,1,0] neg_lo:[0,0,1] neg_hi:[0,0,1]
	v_pk_fma_f32 v[116:117], v[116:117], v[106:107], v[120:121] op_sel:[0,0,1] op_sel_hi:[1,0,0]
	v_mov_b32_e32 v123, v117
	v_pk_mul_f32 v[116:117], v[118:119], v[108:109] op_sel:[0,1]
	s_delay_alu instid0(VALU_DEP_2) | instskip(NEXT) | instid1(VALU_DEP_2)
	v_pk_add_f32 v[76:77], v[76:77], v[122:123] neg_lo:[0,1] neg_hi:[0,1]
	v_pk_fma_f32 v[120:121], v[118:119], v[106:107], v[116:117] op_sel:[0,0,1] op_sel_hi:[1,1,0] neg_lo:[0,0,1] neg_hi:[0,0,1]
	v_pk_fma_f32 v[116:117], v[118:119], v[106:107], v[116:117] op_sel:[0,0,1] op_sel_hi:[1,0,0]
	s_delay_alu instid0(VALU_DEP_1) | instskip(SKIP_4) | instid1(VALU_DEP_1)
	v_mov_b32_e32 v121, v117
	ds_load_2addr_b64 v[116:119], v110 offset0:42 offset1:43
	v_pk_add_f32 v[10:11], v[10:11], v[120:121] neg_lo:[0,1] neg_hi:[0,1]
	s_wait_dscnt 0x0
	v_pk_mul_f32 v[120:121], v[116:117], v[108:109] op_sel:[0,1]
	v_pk_fma_f32 v[122:123], v[116:117], v[106:107], v[120:121] op_sel:[0,0,1] op_sel_hi:[1,1,0] neg_lo:[0,0,1] neg_hi:[0,0,1]
	v_pk_fma_f32 v[116:117], v[116:117], v[106:107], v[120:121] op_sel:[0,0,1] op_sel_hi:[1,0,0]
	v_dual_mul_f32 v120, v119, v109 :: v_dual_mov_b32 v116, v119
	s_delay_alu instid0(VALU_DEP_2) | instskip(NEXT) | instid1(VALU_DEP_2)
	v_dual_mov_b32 v123, v117 :: v_dual_mov_b32 v117, v118
	v_pk_fma_f32 v[120:121], v[118:119], v[32:33], v[120:121] op_sel_hi:[1,1,0] neg_lo:[0,0,1] neg_hi:[0,0,1]
	v_mul_f32_e32 v118, v119, v106
	s_delay_alu instid0(VALU_DEP_3) | instskip(NEXT) | instid1(VALU_DEP_2)
	v_pk_add_f32 v[12:13], v[12:13], v[122:123] neg_lo:[0,1] neg_hi:[0,1]
	v_pk_fma_f32 v[116:117], v[116:117], v[32:33], v[118:119] op_sel_hi:[1,1,0]
	s_delay_alu instid0(VALU_DEP_1) | instskip(SKIP_4) | instid1(VALU_DEP_1)
	v_mov_b32_e32 v121, v117
	ds_load_2addr_b64 v[116:119], v110 offset0:44 offset1:45
	v_pk_add_f32 v[8:9], v[8:9], v[120:121] neg_lo:[0,1] neg_hi:[0,1]
	s_wait_dscnt 0x0
	v_pk_mul_f32 v[120:121], v[116:117], v[108:109] op_sel:[0,1]
	v_pk_fma_f32 v[122:123], v[116:117], v[106:107], v[120:121] op_sel:[0,0,1] op_sel_hi:[1,1,0] neg_lo:[0,0,1] neg_hi:[0,0,1]
	v_pk_fma_f32 v[116:117], v[116:117], v[106:107], v[120:121] op_sel:[0,0,1] op_sel_hi:[1,0,0]
	s_delay_alu instid0(VALU_DEP_1) | instskip(SKIP_1) | instid1(VALU_DEP_1)
	v_mov_b32_e32 v123, v117
	v_pk_mul_f32 v[116:117], v[118:119], v[108:109] op_sel:[0,1]
	v_pk_fma_f32 v[120:121], v[118:119], v[106:107], v[116:117] op_sel:[0,0,1] op_sel_hi:[1,1,0] neg_lo:[0,0,1] neg_hi:[0,0,1]
	v_pk_fma_f32 v[116:117], v[118:119], v[106:107], v[116:117] op_sel:[0,0,1] op_sel_hi:[1,0,0]
	s_delay_alu instid0(VALU_DEP_1)
	v_mov_b32_e32 v121, v117
	ds_load_2addr_b64 v[116:119], v110 offset0:46 offset1:47
	v_pk_add_f32 v[70:71], v[70:71], v[122:123] neg_lo:[0,1] neg_hi:[0,1]
	v_pk_add_f32 v[6:7], v[6:7], v[120:121] neg_lo:[0,1] neg_hi:[0,1]
	s_wait_dscnt 0x0
	v_pk_mul_f32 v[120:121], v[116:117], v[108:109] op_sel:[0,1]
	s_delay_alu instid0(VALU_DEP_1) | instskip(SKIP_1) | instid1(VALU_DEP_1)
	v_pk_fma_f32 v[122:123], v[116:117], v[106:107], v[120:121] op_sel:[0,0,1] op_sel_hi:[1,1,0] neg_lo:[0,0,1] neg_hi:[0,0,1]
	v_pk_fma_f32 v[116:117], v[116:117], v[106:107], v[120:121] op_sel:[0,0,1] op_sel_hi:[1,0,0]
	v_mov_b32_e32 v123, v117
	v_pk_mul_f32 v[116:117], v[118:119], v[108:109] op_sel:[0,1]
	s_delay_alu instid0(VALU_DEP_1) | instskip(SKIP_1) | instid1(VALU_DEP_1)
	v_pk_fma_f32 v[120:121], v[118:119], v[106:107], v[116:117] op_sel:[0,0,1] op_sel_hi:[1,1,0] neg_lo:[0,0,1] neg_hi:[0,0,1]
	v_pk_fma_f32 v[116:117], v[118:119], v[106:107], v[116:117] op_sel:[0,0,1] op_sel_hi:[1,0,0]
	v_mov_b32_e32 v121, v117
	ds_load_2addr_b64 v[116:119], v110 offset0:48 offset1:49
	v_pk_add_f32 v[46:47], v[46:47], v[122:123] neg_lo:[0,1] neg_hi:[0,1]
	v_pk_add_f32 v[28:29], v[28:29], v[120:121] neg_lo:[0,1] neg_hi:[0,1]
	s_wait_dscnt 0x0
	v_dual_mul_f32 v120, v117, v109 :: v_dual_mul_f32 v122, v117, v106
	v_pk_mul_f32 v[108:109], v[118:119], v[108:109] op_sel:[0,1]
	s_delay_alu instid0(VALU_DEP_2) | instskip(NEXT) | instid1(VALU_DEP_3)
	v_pk_fma_f32 v[120:121], v[116:117], v[32:33], v[120:121] op_sel_hi:[1,1,0] neg_lo:[0,0,1] neg_hi:[0,0,1]
	v_pk_fma_f32 v[116:117], v[116:117], v[32:33], v[122:123] op_sel:[1,0,0] op_sel_hi:[0,1,0]
	s_delay_alu instid0(VALU_DEP_1) | instskip(NEXT) | instid1(VALU_DEP_4)
	v_mov_b32_e32 v121, v117
	v_pk_fma_f32 v[116:117], v[118:119], v[106:107], v[108:109] op_sel:[0,0,1] op_sel_hi:[1,1,0] neg_lo:[0,0,1] neg_hi:[0,0,1]
	v_pk_fma_f32 v[106:107], v[118:119], v[106:107], v[108:109] op_sel:[0,0,1] op_sel_hi:[1,0,0]
	s_delay_alu instid0(VALU_DEP_1) | instskip(NEXT) | instid1(VALU_DEP_4)
	v_mov_b32_e32 v117, v107
	v_pk_add_f32 v[14:15], v[14:15], v[120:121] neg_lo:[0,1] neg_hi:[0,1]
	s_delay_alu instid0(VALU_DEP_2)
	v_pk_add_f32 v[104:105], v[104:105], v[116:117] neg_lo:[0,1] neg_hi:[0,1]
.LBB98_629:
	s_or_b32 exec_lo, exec_lo, s0
	v_lshl_add_u32 v106, v114, 3, v110
	s_barrier_signal -1
	s_barrier_wait -1
	ds_store_b64 v106, v[34:35]
	s_wait_dscnt 0x0
	s_barrier_signal -1
	s_barrier_wait -1
	ds_load_b64 v[108:109], v110 offset:240
	v_mov_b32_e32 v106, 30
	s_cmp_lt_i32 s18, 32
	s_cbranch_scc1 .LBB98_632
; %bb.630:
	v_add3_u32 v107, v111, 0, 0xf8
	v_mov_b32_e32 v106, 30
	s_mov_b32 s0, 31
.LBB98_631:                             ; =>This Inner Loop Header: Depth=1
	ds_load_b64 v[116:117], v107
	s_wait_dscnt 0x1
	v_cmp_gt_f32_e32 vcc_lo, 0, v108
	v_cndmask_b32_e64 v118, v108, -v108, vcc_lo
	v_cmp_gt_f32_e32 vcc_lo, 0, v109
	v_cndmask_b32_e64 v120, v109, -v109, vcc_lo
	s_wait_dscnt 0x0
	v_cmp_gt_f32_e32 vcc_lo, 0, v116
	v_cndmask_b32_e64 v119, v116, -v116, vcc_lo
	v_cmp_gt_f32_e32 vcc_lo, 0, v117
	v_cndmask_b32_e64 v121, v117, -v117, vcc_lo
	s_delay_alu instid0(VALU_DEP_1) | instskip(NEXT) | instid1(VALU_DEP_1)
	v_pk_add_f32 v[118:119], v[118:119], v[120:121]
	v_cmp_lt_f32_e32 vcc_lo, v118, v119
	v_dual_add_nc_u32 v107, 8, v107 :: v_dual_cndmask_b32 v109, v109, v117, vcc_lo
	v_cndmask_b32_e32 v108, v108, v116, vcc_lo
	v_cndmask_b32_e64 v106, v106, s0, vcc_lo
	s_add_co_i32 s0, s0, 1
	s_delay_alu instid0(SALU_CYCLE_1)
	s_cmp_lg_u32 s18, s0
	s_cbranch_scc1 .LBB98_631
.LBB98_632:
	s_wait_dscnt 0x0
	v_cmp_eq_f32_e32 vcc_lo, 0, v108
	v_cmp_eq_f32_e64 s0, 0, v109
	s_and_b32 s0, vcc_lo, s0
	s_delay_alu instid0(SALU_CYCLE_1) | instskip(NEXT) | instid1(SALU_CYCLE_1)
	s_and_saveexec_b32 s1, s0
	s_xor_b32 s0, exec_lo, s1
; %bb.633:
	v_cmp_ne_u32_e32 vcc_lo, 0, v112
	v_cndmask_b32_e32 v112, 31, v112, vcc_lo
; %bb.634:
	s_and_not1_saveexec_b32 s0, s0
	s_cbranch_execz .LBB98_640
; %bb.635:
	v_cmp_ngt_f32_e64 s1, |v108|, |v109|
	s_and_saveexec_b32 s12, s1
	s_delay_alu instid0(SALU_CYCLE_1)
	s_xor_b32 s1, exec_lo, s12
	s_cbranch_execz .LBB98_637
; %bb.636:
	v_div_scale_f32 v107, null, v109, v109, v108
	v_div_scale_f32 v117, vcc_lo, v108, v109, v108
	s_delay_alu instid0(VALU_DEP_2) | instskip(SKIP_1) | instid1(TRANS32_DEP_1)
	v_rcp_f32_e32 v115, v107
	v_nop
	v_fma_f32 v116, -v107, v115, 1.0
	s_delay_alu instid0(VALU_DEP_1) | instskip(NEXT) | instid1(VALU_DEP_1)
	v_fmac_f32_e32 v115, v116, v115
	v_mul_f32_e32 v116, v117, v115
	s_delay_alu instid0(VALU_DEP_1) | instskip(NEXT) | instid1(VALU_DEP_1)
	v_fma_f32 v118, -v107, v116, v117
	v_fmac_f32_e32 v116, v118, v115
	s_delay_alu instid0(VALU_DEP_1) | instskip(NEXT) | instid1(VALU_DEP_1)
	v_fma_f32 v107, -v107, v116, v117
	v_div_fmas_f32 v107, v107, v115, v116
	s_delay_alu instid0(VALU_DEP_1) | instskip(NEXT) | instid1(VALU_DEP_1)
	v_div_fixup_f32 v107, v107, v109, v108
	v_fmac_f32_e32 v109, v108, v107
	s_delay_alu instid0(VALU_DEP_1) | instskip(SKIP_1) | instid1(VALU_DEP_2)
	v_div_scale_f32 v108, null, v109, v109, 1.0
	v_div_scale_f32 v117, vcc_lo, 1.0, v109, 1.0
	v_rcp_f32_e32 v115, v108
	v_nop
	s_delay_alu instid0(TRANS32_DEP_1) | instskip(NEXT) | instid1(VALU_DEP_1)
	v_fma_f32 v116, -v108, v115, 1.0
	v_fmac_f32_e32 v115, v116, v115
	s_delay_alu instid0(VALU_DEP_1) | instskip(NEXT) | instid1(VALU_DEP_1)
	v_mul_f32_e32 v116, v117, v115
	v_fma_f32 v118, -v108, v116, v117
	s_delay_alu instid0(VALU_DEP_1) | instskip(NEXT) | instid1(VALU_DEP_1)
	v_fmac_f32_e32 v116, v118, v115
	v_fma_f32 v108, -v108, v116, v117
	s_delay_alu instid0(VALU_DEP_1) | instskip(NEXT) | instid1(VALU_DEP_1)
	v_div_fmas_f32 v108, v108, v115, v116
	v_div_fixup_f32 v109, v108, v109, 1.0
	s_delay_alu instid0(VALU_DEP_1)
	v_mul_f32_e32 v108, v107, v109
	v_xor_b32_e32 v109, 0x80000000, v109
.LBB98_637:
	s_and_not1_saveexec_b32 s1, s1
	s_cbranch_execz .LBB98_639
; %bb.638:
	s_delay_alu instid0(VALU_DEP_1) | instskip(SKIP_1) | instid1(VALU_DEP_2)
	v_div_scale_f32 v107, null, v108, v108, v109
	v_div_scale_f32 v117, vcc_lo, v109, v108, v109
	v_rcp_f32_e32 v115, v107
	v_nop
	s_delay_alu instid0(TRANS32_DEP_1) | instskip(NEXT) | instid1(VALU_DEP_1)
	v_fma_f32 v116, -v107, v115, 1.0
	v_fmac_f32_e32 v115, v116, v115
	s_delay_alu instid0(VALU_DEP_1) | instskip(NEXT) | instid1(VALU_DEP_1)
	v_mul_f32_e32 v116, v117, v115
	v_fma_f32 v118, -v107, v116, v117
	s_delay_alu instid0(VALU_DEP_1) | instskip(NEXT) | instid1(VALU_DEP_1)
	v_fmac_f32_e32 v116, v118, v115
	v_fma_f32 v107, -v107, v116, v117
	s_delay_alu instid0(VALU_DEP_1) | instskip(NEXT) | instid1(VALU_DEP_1)
	v_div_fmas_f32 v107, v107, v115, v116
	v_div_fixup_f32 v107, v107, v108, v109
	s_delay_alu instid0(VALU_DEP_1) | instskip(NEXT) | instid1(VALU_DEP_1)
	v_fmac_f32_e32 v108, v109, v107
	v_div_scale_f32 v109, null, v108, v108, 1.0
	s_delay_alu instid0(VALU_DEP_1) | instskip(SKIP_1) | instid1(TRANS32_DEP_1)
	v_rcp_f32_e32 v115, v109
	v_nop
	v_fma_f32 v116, -v109, v115, 1.0
	s_delay_alu instid0(VALU_DEP_1) | instskip(SKIP_1) | instid1(VALU_DEP_1)
	v_fmac_f32_e32 v115, v116, v115
	v_div_scale_f32 v116, vcc_lo, 1.0, v108, 1.0
	v_mul_f32_e32 v117, v116, v115
	s_delay_alu instid0(VALU_DEP_1) | instskip(NEXT) | instid1(VALU_DEP_1)
	v_fma_f32 v118, -v109, v117, v116
	v_fmac_f32_e32 v117, v118, v115
	s_delay_alu instid0(VALU_DEP_1) | instskip(NEXT) | instid1(VALU_DEP_1)
	v_fma_f32 v109, -v109, v117, v116
	v_div_fmas_f32 v109, v109, v115, v117
	s_delay_alu instid0(VALU_DEP_1) | instskip(NEXT) | instid1(VALU_DEP_1)
	v_div_fixup_f32 v108, v109, v108, 1.0
	v_mul_f32_e64 v109, v107, -v108
.LBB98_639:
	s_or_b32 exec_lo, exec_lo, s1
.LBB98_640:
	s_delay_alu instid0(SALU_CYCLE_1) | instskip(NEXT) | instid1(SALU_CYCLE_1)
	s_or_b32 exec_lo, exec_lo, s0
	s_mov_b32 s0, exec_lo
	v_cmpx_ne_u32_e64 v114, v106
	s_xor_b32 s0, exec_lo, s0
	s_cbranch_execz .LBB98_646
; %bb.641:
	s_mov_b32 s1, exec_lo
	v_cmpx_eq_u32_e32 30, v114
	s_cbranch_execz .LBB98_645
; %bb.642:
	v_cmp_ne_u32_e32 vcc_lo, 30, v106
	s_xor_b32 s12, s16, -1
	s_delay_alu instid0(SALU_CYCLE_1) | instskip(NEXT) | instid1(SALU_CYCLE_1)
	s_and_b32 s13, s12, vcc_lo
	s_and_saveexec_b32 s12, s13
	s_cbranch_execz .LBB98_644
; %bb.643:
	v_ashrrev_i32_e32 v107, 31, v106
	s_delay_alu instid0(VALU_DEP_1)
	v_lshl_add_u64 v[114:115], v[106:107], 2, v[4:5]
	s_clause 0x1
	global_load_b32 v107, v[114:115], off
	global_load_b32 v113, v[4:5], off offset:120
	s_wait_loadcnt 0x1
	global_store_b32 v[4:5], v107, off offset:120
	s_wait_loadcnt 0x0
	global_store_b32 v[114:115], v113, off
.LBB98_644:
	s_wait_xcnt 0x0
	s_or_b32 exec_lo, exec_lo, s12
	v_dual_mov_b32 v114, v106 :: v_dual_mov_b32 v113, v106
.LBB98_645:
	s_or_b32 exec_lo, exec_lo, s1
.LBB98_646:
	s_and_not1_saveexec_b32 s0, s0
	s_cbranch_execz .LBB98_648
; %bb.647:
	v_mov_b32_e32 v114, 30
	ds_store_2addr_b64 v110, v[30:31], v[80:81] offset0:31 offset1:32
	ds_store_2addr_b64 v110, v[24:25], v[26:27] offset0:33 offset1:34
	;; [unrolled: 1-line block ×9, first 2 shown]
	ds_store_b64 v110, v[104:105] offset:392
.LBB98_648:
	s_or_b32 exec_lo, exec_lo, s0
	s_delay_alu instid0(SALU_CYCLE_1)
	s_mov_b32 s0, exec_lo
	s_wait_storecnt_dscnt 0x0
	s_barrier_signal -1
	s_barrier_wait -1
	v_cmpx_lt_i32_e32 30, v114
	s_cbranch_execz .LBB98_650
; %bb.649:
	v_pk_mul_f32 v[116:117], v[108:109], v[34:35] op_sel:[1,1] op_sel_hi:[0,1]
	s_delay_alu instid0(VALU_DEP_1)
	v_pk_fma_f32 v[106:107], v[108:109], v[34:35], v[116:117] op_sel_hi:[1,0,1] neg_lo:[0,0,1] neg_hi:[0,0,1]
	v_pk_fma_f32 v[108:109], v[108:109], v[34:35], v[116:117] op_sel_hi:[1,0,1]
	ds_load_2addr_b64 v[116:119], v110 offset0:31 offset1:32
	v_dual_mov_b32 v34, v106 :: v_dual_mov_b32 v35, v109
	s_wait_dscnt 0x0
	v_pk_mul_f32 v[120:121], v[116:117], v[108:109] op_sel:[0,1]
	s_delay_alu instid0(VALU_DEP_1) | instskip(SKIP_1) | instid1(VALU_DEP_1)
	v_pk_fma_f32 v[122:123], v[116:117], v[106:107], v[120:121] op_sel:[0,0,1] op_sel_hi:[1,1,0] neg_lo:[0,0,1] neg_hi:[0,0,1]
	v_pk_fma_f32 v[116:117], v[116:117], v[106:107], v[120:121] op_sel:[0,0,1] op_sel_hi:[1,0,0]
	v_mov_b32_e32 v123, v117
	v_pk_mul_f32 v[116:117], v[118:119], v[108:109] op_sel:[0,1]
	s_delay_alu instid0(VALU_DEP_1) | instskip(SKIP_1) | instid1(VALU_DEP_1)
	v_pk_fma_f32 v[120:121], v[118:119], v[106:107], v[116:117] op_sel:[0,0,1] op_sel_hi:[1,1,0] neg_lo:[0,0,1] neg_hi:[0,0,1]
	v_pk_fma_f32 v[116:117], v[118:119], v[106:107], v[116:117] op_sel:[0,0,1] op_sel_hi:[1,0,0]
	v_mov_b32_e32 v121, v117
	ds_load_2addr_b64 v[116:119], v110 offset0:33 offset1:34
	v_pk_add_f32 v[30:31], v[30:31], v[122:123] neg_lo:[0,1] neg_hi:[0,1]
	v_pk_add_f32 v[80:81], v[80:81], v[120:121] neg_lo:[0,1] neg_hi:[0,1]
	s_wait_dscnt 0x0
	v_pk_mul_f32 v[120:121], v[116:117], v[108:109] op_sel:[0,1]
	s_delay_alu instid0(VALU_DEP_1) | instskip(SKIP_2) | instid1(VALU_DEP_2)
	v_pk_fma_f32 v[122:123], v[116:117], v[106:107], v[120:121] op_sel:[0,0,1] op_sel_hi:[1,1,0] neg_lo:[0,0,1] neg_hi:[0,0,1]
	v_pk_fma_f32 v[116:117], v[116:117], v[106:107], v[120:121] op_sel:[0,0,1] op_sel_hi:[1,0,0]
	v_dual_mul_f32 v120, v119, v109 :: v_dual_mov_b32 v116, v119
	v_dual_mov_b32 v123, v117 :: v_dual_mov_b32 v117, v118
	s_delay_alu instid0(VALU_DEP_2) | instskip(SKIP_1) | instid1(VALU_DEP_3)
	v_pk_fma_f32 v[120:121], v[118:119], v[34:35], v[120:121] op_sel_hi:[1,1,0] neg_lo:[0,0,1] neg_hi:[0,0,1]
	v_mul_f32_e32 v118, v119, v106
	v_pk_add_f32 v[24:25], v[24:25], v[122:123] neg_lo:[0,1] neg_hi:[0,1]
	s_delay_alu instid0(VALU_DEP_2) | instskip(NEXT) | instid1(VALU_DEP_1)
	v_pk_fma_f32 v[116:117], v[116:117], v[34:35], v[118:119] op_sel_hi:[1,1,0]
	v_mov_b32_e32 v121, v117
	ds_load_2addr_b64 v[116:119], v110 offset0:35 offset1:36
	v_pk_add_f32 v[26:27], v[26:27], v[120:121] neg_lo:[0,1] neg_hi:[0,1]
	s_wait_dscnt 0x0
	v_pk_mul_f32 v[120:121], v[116:117], v[108:109] op_sel:[0,1]
	s_delay_alu instid0(VALU_DEP_1) | instskip(SKIP_1) | instid1(VALU_DEP_1)
	v_pk_fma_f32 v[122:123], v[116:117], v[106:107], v[120:121] op_sel:[0,0,1] op_sel_hi:[1,1,0] neg_lo:[0,0,1] neg_hi:[0,0,1]
	v_pk_fma_f32 v[116:117], v[116:117], v[106:107], v[120:121] op_sel:[0,0,1] op_sel_hi:[1,0,0]
	v_mov_b32_e32 v123, v117
	v_pk_mul_f32 v[116:117], v[118:119], v[108:109] op_sel:[0,1]
	s_delay_alu instid0(VALU_DEP_1) | instskip(SKIP_1) | instid1(VALU_DEP_1)
	v_pk_fma_f32 v[120:121], v[118:119], v[106:107], v[116:117] op_sel:[0,0,1] op_sel_hi:[1,1,0] neg_lo:[0,0,1] neg_hi:[0,0,1]
	v_pk_fma_f32 v[116:117], v[118:119], v[106:107], v[116:117] op_sel:[0,0,1] op_sel_hi:[1,0,0]
	v_mov_b32_e32 v121, v117
	ds_load_2addr_b64 v[116:119], v110 offset0:37 offset1:38
	v_pk_add_f32 v[22:23], v[22:23], v[122:123] neg_lo:[0,1] neg_hi:[0,1]
	v_pk_add_f32 v[78:79], v[78:79], v[120:121] neg_lo:[0,1] neg_hi:[0,1]
	s_wait_dscnt 0x0
	v_pk_mul_f32 v[120:121], v[116:117], v[108:109] op_sel:[0,1]
	s_delay_alu instid0(VALU_DEP_1) | instskip(SKIP_1) | instid1(VALU_DEP_1)
	v_pk_fma_f32 v[122:123], v[116:117], v[106:107], v[120:121] op_sel:[0,0,1] op_sel_hi:[1,1,0] neg_lo:[0,0,1] neg_hi:[0,0,1]
	v_pk_fma_f32 v[116:117], v[116:117], v[106:107], v[120:121] op_sel:[0,0,1] op_sel_hi:[1,0,0]
	v_mov_b32_e32 v123, v117
	v_pk_mul_f32 v[116:117], v[118:119], v[108:109] op_sel:[0,1]
	s_delay_alu instid0(VALU_DEP_1) | instskip(SKIP_1) | instid1(VALU_DEP_1)
	v_pk_fma_f32 v[120:121], v[118:119], v[106:107], v[116:117] op_sel:[0,0,1] op_sel_hi:[1,1,0] neg_lo:[0,0,1] neg_hi:[0,0,1]
	v_pk_fma_f32 v[116:117], v[118:119], v[106:107], v[116:117] op_sel:[0,0,1] op_sel_hi:[1,0,0]
	v_mov_b32_e32 v121, v117
	ds_load_2addr_b64 v[116:119], v110 offset0:39 offset1:40
	v_pk_add_f32 v[18:19], v[18:19], v[122:123] neg_lo:[0,1] neg_hi:[0,1]
	v_pk_add_f32 v[20:21], v[20:21], v[120:121] neg_lo:[0,1] neg_hi:[0,1]
	s_wait_dscnt 0x0
	v_dual_mul_f32 v120, v117, v109 :: v_dual_mul_f32 v122, v117, v106
	s_delay_alu instid0(VALU_DEP_1) | instskip(NEXT) | instid1(VALU_DEP_2)
	v_pk_fma_f32 v[120:121], v[116:117], v[34:35], v[120:121] op_sel_hi:[1,1,0] neg_lo:[0,0,1] neg_hi:[0,0,1]
	v_pk_fma_f32 v[116:117], v[116:117], v[34:35], v[122:123] op_sel:[1,0,0] op_sel_hi:[0,1,0]
	s_delay_alu instid0(VALU_DEP_1) | instskip(SKIP_1) | instid1(VALU_DEP_2)
	v_mov_b32_e32 v121, v117
	v_pk_mul_f32 v[116:117], v[118:119], v[108:109] op_sel:[0,1]
	v_pk_add_f32 v[16:17], v[16:17], v[120:121] neg_lo:[0,1] neg_hi:[0,1]
	s_delay_alu instid0(VALU_DEP_2) | instskip(SKIP_1) | instid1(VALU_DEP_1)
	v_pk_fma_f32 v[120:121], v[118:119], v[106:107], v[116:117] op_sel:[0,0,1] op_sel_hi:[1,1,0] neg_lo:[0,0,1] neg_hi:[0,0,1]
	v_pk_fma_f32 v[116:117], v[118:119], v[106:107], v[116:117] op_sel:[0,0,1] op_sel_hi:[1,0,0]
	v_mov_b32_e32 v121, v117
	ds_load_2addr_b64 v[116:119], v110 offset0:41 offset1:42
	v_pk_add_f32 v[76:77], v[76:77], v[120:121] neg_lo:[0,1] neg_hi:[0,1]
	s_wait_dscnt 0x0
	v_pk_mul_f32 v[120:121], v[116:117], v[108:109] op_sel:[0,1]
	s_delay_alu instid0(VALU_DEP_1) | instskip(SKIP_1) | instid1(VALU_DEP_1)
	v_pk_fma_f32 v[122:123], v[116:117], v[106:107], v[120:121] op_sel:[0,0,1] op_sel_hi:[1,1,0] neg_lo:[0,0,1] neg_hi:[0,0,1]
	v_pk_fma_f32 v[116:117], v[116:117], v[106:107], v[120:121] op_sel:[0,0,1] op_sel_hi:[1,0,0]
	v_mov_b32_e32 v123, v117
	v_pk_mul_f32 v[116:117], v[118:119], v[108:109] op_sel:[0,1]
	s_delay_alu instid0(VALU_DEP_2) | instskip(NEXT) | instid1(VALU_DEP_2)
	v_pk_add_f32 v[10:11], v[10:11], v[122:123] neg_lo:[0,1] neg_hi:[0,1]
	v_pk_fma_f32 v[120:121], v[118:119], v[106:107], v[116:117] op_sel:[0,0,1] op_sel_hi:[1,1,0] neg_lo:[0,0,1] neg_hi:[0,0,1]
	v_pk_fma_f32 v[116:117], v[118:119], v[106:107], v[116:117] op_sel:[0,0,1] op_sel_hi:[1,0,0]
	s_delay_alu instid0(VALU_DEP_1) | instskip(SKIP_4) | instid1(VALU_DEP_1)
	v_mov_b32_e32 v121, v117
	ds_load_2addr_b64 v[116:119], v110 offset0:43 offset1:44
	v_pk_add_f32 v[12:13], v[12:13], v[120:121] neg_lo:[0,1] neg_hi:[0,1]
	s_wait_dscnt 0x0
	v_pk_mul_f32 v[120:121], v[116:117], v[108:109] op_sel:[0,1]
	v_pk_fma_f32 v[122:123], v[116:117], v[106:107], v[120:121] op_sel:[0,0,1] op_sel_hi:[1,1,0] neg_lo:[0,0,1] neg_hi:[0,0,1]
	v_pk_fma_f32 v[116:117], v[116:117], v[106:107], v[120:121] op_sel:[0,0,1] op_sel_hi:[1,0,0]
	v_dual_mul_f32 v120, v119, v109 :: v_dual_mov_b32 v116, v119
	s_delay_alu instid0(VALU_DEP_2) | instskip(NEXT) | instid1(VALU_DEP_2)
	v_dual_mov_b32 v123, v117 :: v_dual_mov_b32 v117, v118
	v_pk_fma_f32 v[120:121], v[118:119], v[34:35], v[120:121] op_sel_hi:[1,1,0] neg_lo:[0,0,1] neg_hi:[0,0,1]
	v_mul_f32_e32 v118, v119, v106
	s_delay_alu instid0(VALU_DEP_3) | instskip(NEXT) | instid1(VALU_DEP_2)
	v_pk_add_f32 v[8:9], v[8:9], v[122:123] neg_lo:[0,1] neg_hi:[0,1]
	v_pk_fma_f32 v[116:117], v[116:117], v[34:35], v[118:119] op_sel_hi:[1,1,0]
	s_delay_alu instid0(VALU_DEP_1) | instskip(SKIP_4) | instid1(VALU_DEP_1)
	v_mov_b32_e32 v121, v117
	ds_load_2addr_b64 v[116:119], v110 offset0:45 offset1:46
	v_pk_add_f32 v[70:71], v[70:71], v[120:121] neg_lo:[0,1] neg_hi:[0,1]
	s_wait_dscnt 0x0
	v_pk_mul_f32 v[120:121], v[116:117], v[108:109] op_sel:[0,1]
	v_pk_fma_f32 v[122:123], v[116:117], v[106:107], v[120:121] op_sel:[0,0,1] op_sel_hi:[1,1,0] neg_lo:[0,0,1] neg_hi:[0,0,1]
	v_pk_fma_f32 v[116:117], v[116:117], v[106:107], v[120:121] op_sel:[0,0,1] op_sel_hi:[1,0,0]
	s_delay_alu instid0(VALU_DEP_1) | instskip(SKIP_1) | instid1(VALU_DEP_1)
	v_mov_b32_e32 v123, v117
	v_pk_mul_f32 v[116:117], v[118:119], v[108:109] op_sel:[0,1]
	v_pk_fma_f32 v[120:121], v[118:119], v[106:107], v[116:117] op_sel:[0,0,1] op_sel_hi:[1,1,0] neg_lo:[0,0,1] neg_hi:[0,0,1]
	v_pk_fma_f32 v[116:117], v[118:119], v[106:107], v[116:117] op_sel:[0,0,1] op_sel_hi:[1,0,0]
	s_delay_alu instid0(VALU_DEP_1)
	v_mov_b32_e32 v121, v117
	ds_load_2addr_b64 v[116:119], v110 offset0:47 offset1:48
	v_pk_add_f32 v[6:7], v[6:7], v[122:123] neg_lo:[0,1] neg_hi:[0,1]
	v_pk_add_f32 v[46:47], v[46:47], v[120:121] neg_lo:[0,1] neg_hi:[0,1]
	s_wait_dscnt 0x0
	v_pk_mul_f32 v[120:121], v[116:117], v[108:109] op_sel:[0,1]
	s_delay_alu instid0(VALU_DEP_1) | instskip(SKIP_1) | instid1(VALU_DEP_1)
	v_pk_fma_f32 v[122:123], v[116:117], v[106:107], v[120:121] op_sel:[0,0,1] op_sel_hi:[1,1,0] neg_lo:[0,0,1] neg_hi:[0,0,1]
	v_pk_fma_f32 v[116:117], v[116:117], v[106:107], v[120:121] op_sel:[0,0,1] op_sel_hi:[1,0,0]
	v_mov_b32_e32 v123, v117
	v_pk_mul_f32 v[116:117], v[118:119], v[108:109] op_sel:[0,1]
	s_delay_alu instid0(VALU_DEP_1) | instskip(SKIP_1) | instid1(VALU_DEP_1)
	v_pk_fma_f32 v[120:121], v[118:119], v[106:107], v[116:117] op_sel:[0,0,1] op_sel_hi:[1,1,0] neg_lo:[0,0,1] neg_hi:[0,0,1]
	v_pk_fma_f32 v[116:117], v[118:119], v[106:107], v[116:117] op_sel:[0,0,1] op_sel_hi:[1,0,0]
	v_mov_b32_e32 v121, v117
	ds_load_b64 v[116:117], v110 offset:392
	v_pk_add_f32 v[28:29], v[28:29], v[122:123] neg_lo:[0,1] neg_hi:[0,1]
	v_pk_add_f32 v[14:15], v[14:15], v[120:121] neg_lo:[0,1] neg_hi:[0,1]
	s_wait_dscnt 0x0
	v_pk_mul_f32 v[108:109], v[116:117], v[108:109] op_sel:[0,1]
	s_delay_alu instid0(VALU_DEP_1) | instskip(SKIP_1) | instid1(VALU_DEP_1)
	v_pk_fma_f32 v[118:119], v[116:117], v[106:107], v[108:109] op_sel:[0,0,1] op_sel_hi:[1,1,0] neg_lo:[0,0,1] neg_hi:[0,0,1]
	v_pk_fma_f32 v[106:107], v[116:117], v[106:107], v[108:109] op_sel:[0,0,1] op_sel_hi:[1,0,0]
	v_mov_b32_e32 v119, v107
	s_delay_alu instid0(VALU_DEP_1)
	v_pk_add_f32 v[104:105], v[104:105], v[118:119] neg_lo:[0,1] neg_hi:[0,1]
.LBB98_650:
	s_or_b32 exec_lo, exec_lo, s0
	v_lshl_add_u32 v106, v114, 3, v110
	s_barrier_signal -1
	s_barrier_wait -1
	ds_store_b64 v106, v[30:31]
	s_wait_dscnt 0x0
	s_barrier_signal -1
	s_barrier_wait -1
	ds_load_b64 v[106:107], v110 offset:248
	v_mov_b32_e32 v108, 31
	s_cmp_lt_i32 s18, 33
	s_cbranch_scc1 .LBB98_653
; %bb.651:
	v_add3_u32 v109, v111, 0, 0x100
	v_mov_b32_e32 v108, 31
	s_mov_b32 s0, 32
.LBB98_652:                             ; =>This Inner Loop Header: Depth=1
	ds_load_b64 v[116:117], v109
	s_wait_dscnt 0x1
	v_cmp_gt_f32_e32 vcc_lo, 0, v106
	v_cndmask_b32_e64 v118, v106, -v106, vcc_lo
	v_cmp_gt_f32_e32 vcc_lo, 0, v107
	v_cndmask_b32_e64 v120, v107, -v107, vcc_lo
	s_wait_dscnt 0x0
	v_cmp_gt_f32_e32 vcc_lo, 0, v116
	v_cndmask_b32_e64 v119, v116, -v116, vcc_lo
	v_cmp_gt_f32_e32 vcc_lo, 0, v117
	v_cndmask_b32_e64 v121, v117, -v117, vcc_lo
	s_delay_alu instid0(VALU_DEP_1) | instskip(NEXT) | instid1(VALU_DEP_1)
	v_pk_add_f32 v[118:119], v[118:119], v[120:121]
	v_cmp_lt_f32_e32 vcc_lo, v118, v119
	v_dual_cndmask_b32 v106, v106, v116 :: v_dual_add_nc_u32 v109, 8, v109
	v_cndmask_b32_e32 v107, v107, v117, vcc_lo
	v_cndmask_b32_e64 v108, v108, s0, vcc_lo
	s_add_co_i32 s0, s0, 1
	s_delay_alu instid0(SALU_CYCLE_1)
	s_cmp_lg_u32 s18, s0
	s_cbranch_scc1 .LBB98_652
.LBB98_653:
	s_wait_dscnt 0x0
	v_cmp_eq_f32_e32 vcc_lo, 0, v106
	v_cmp_eq_f32_e64 s0, 0, v107
	s_and_b32 s0, vcc_lo, s0
	s_delay_alu instid0(SALU_CYCLE_1) | instskip(NEXT) | instid1(SALU_CYCLE_1)
	s_and_saveexec_b32 s1, s0
	s_xor_b32 s0, exec_lo, s1
; %bb.654:
	v_cmp_ne_u32_e32 vcc_lo, 0, v112
	v_cndmask_b32_e32 v112, 32, v112, vcc_lo
; %bb.655:
	s_and_not1_saveexec_b32 s0, s0
	s_cbranch_execz .LBB98_661
; %bb.656:
	v_cmp_ngt_f32_e64 s1, |v106|, |v107|
	s_and_saveexec_b32 s12, s1
	s_delay_alu instid0(SALU_CYCLE_1)
	s_xor_b32 s1, exec_lo, s12
	s_cbranch_execz .LBB98_658
; %bb.657:
	v_div_scale_f32 v109, null, v107, v107, v106
	v_div_scale_f32 v117, vcc_lo, v106, v107, v106
	s_delay_alu instid0(VALU_DEP_2) | instskip(SKIP_1) | instid1(TRANS32_DEP_1)
	v_rcp_f32_e32 v115, v109
	v_nop
	v_fma_f32 v116, -v109, v115, 1.0
	s_delay_alu instid0(VALU_DEP_1) | instskip(NEXT) | instid1(VALU_DEP_1)
	v_fmac_f32_e32 v115, v116, v115
	v_mul_f32_e32 v116, v117, v115
	s_delay_alu instid0(VALU_DEP_1) | instskip(NEXT) | instid1(VALU_DEP_1)
	v_fma_f32 v118, -v109, v116, v117
	v_fmac_f32_e32 v116, v118, v115
	s_delay_alu instid0(VALU_DEP_1) | instskip(NEXT) | instid1(VALU_DEP_1)
	v_fma_f32 v109, -v109, v116, v117
	v_div_fmas_f32 v109, v109, v115, v116
	s_delay_alu instid0(VALU_DEP_1) | instskip(NEXT) | instid1(VALU_DEP_1)
	v_div_fixup_f32 v109, v109, v107, v106
	v_fmac_f32_e32 v107, v106, v109
	s_delay_alu instid0(VALU_DEP_1) | instskip(SKIP_1) | instid1(VALU_DEP_2)
	v_div_scale_f32 v106, null, v107, v107, 1.0
	v_div_scale_f32 v117, vcc_lo, 1.0, v107, 1.0
	v_rcp_f32_e32 v115, v106
	v_nop
	s_delay_alu instid0(TRANS32_DEP_1) | instskip(NEXT) | instid1(VALU_DEP_1)
	v_fma_f32 v116, -v106, v115, 1.0
	v_fmac_f32_e32 v115, v116, v115
	s_delay_alu instid0(VALU_DEP_1) | instskip(NEXT) | instid1(VALU_DEP_1)
	v_mul_f32_e32 v116, v117, v115
	v_fma_f32 v118, -v106, v116, v117
	s_delay_alu instid0(VALU_DEP_1) | instskip(NEXT) | instid1(VALU_DEP_1)
	v_fmac_f32_e32 v116, v118, v115
	v_fma_f32 v106, -v106, v116, v117
	s_delay_alu instid0(VALU_DEP_1) | instskip(NEXT) | instid1(VALU_DEP_1)
	v_div_fmas_f32 v106, v106, v115, v116
	v_div_fixup_f32 v107, v106, v107, 1.0
	s_delay_alu instid0(VALU_DEP_1)
	v_mul_f32_e32 v106, v109, v107
	v_xor_b32_e32 v107, 0x80000000, v107
.LBB98_658:
	s_and_not1_saveexec_b32 s1, s1
	s_cbranch_execz .LBB98_660
; %bb.659:
	s_delay_alu instid0(VALU_DEP_1) | instskip(SKIP_1) | instid1(VALU_DEP_2)
	v_div_scale_f32 v109, null, v106, v106, v107
	v_div_scale_f32 v117, vcc_lo, v107, v106, v107
	v_rcp_f32_e32 v115, v109
	v_nop
	s_delay_alu instid0(TRANS32_DEP_1) | instskip(NEXT) | instid1(VALU_DEP_1)
	v_fma_f32 v116, -v109, v115, 1.0
	v_fmac_f32_e32 v115, v116, v115
	s_delay_alu instid0(VALU_DEP_1) | instskip(NEXT) | instid1(VALU_DEP_1)
	v_mul_f32_e32 v116, v117, v115
	v_fma_f32 v118, -v109, v116, v117
	s_delay_alu instid0(VALU_DEP_1) | instskip(NEXT) | instid1(VALU_DEP_1)
	v_fmac_f32_e32 v116, v118, v115
	v_fma_f32 v109, -v109, v116, v117
	s_delay_alu instid0(VALU_DEP_1) | instskip(NEXT) | instid1(VALU_DEP_1)
	v_div_fmas_f32 v109, v109, v115, v116
	v_div_fixup_f32 v109, v109, v106, v107
	s_delay_alu instid0(VALU_DEP_1) | instskip(NEXT) | instid1(VALU_DEP_1)
	v_fmac_f32_e32 v106, v107, v109
	v_div_scale_f32 v107, null, v106, v106, 1.0
	s_delay_alu instid0(VALU_DEP_1) | instskip(SKIP_1) | instid1(TRANS32_DEP_1)
	v_rcp_f32_e32 v115, v107
	v_nop
	v_fma_f32 v116, -v107, v115, 1.0
	s_delay_alu instid0(VALU_DEP_1) | instskip(SKIP_1) | instid1(VALU_DEP_1)
	v_fmac_f32_e32 v115, v116, v115
	v_div_scale_f32 v116, vcc_lo, 1.0, v106, 1.0
	v_mul_f32_e32 v117, v116, v115
	s_delay_alu instid0(VALU_DEP_1) | instskip(NEXT) | instid1(VALU_DEP_1)
	v_fma_f32 v118, -v107, v117, v116
	v_fmac_f32_e32 v117, v118, v115
	s_delay_alu instid0(VALU_DEP_1) | instskip(NEXT) | instid1(VALU_DEP_1)
	v_fma_f32 v107, -v107, v117, v116
	v_div_fmas_f32 v107, v107, v115, v117
	s_delay_alu instid0(VALU_DEP_1) | instskip(NEXT) | instid1(VALU_DEP_1)
	v_div_fixup_f32 v106, v107, v106, 1.0
	v_mul_f32_e64 v107, v109, -v106
.LBB98_660:
	s_or_b32 exec_lo, exec_lo, s1
.LBB98_661:
	s_delay_alu instid0(SALU_CYCLE_1) | instskip(NEXT) | instid1(SALU_CYCLE_1)
	s_or_b32 exec_lo, exec_lo, s0
	s_mov_b32 s0, exec_lo
	v_cmpx_ne_u32_e64 v114, v108
	s_xor_b32 s0, exec_lo, s0
	s_cbranch_execz .LBB98_667
; %bb.662:
	s_mov_b32 s1, exec_lo
	v_cmpx_eq_u32_e32 31, v114
	s_cbranch_execz .LBB98_666
; %bb.663:
	v_cmp_ne_u32_e32 vcc_lo, 31, v108
	s_xor_b32 s12, s16, -1
	s_delay_alu instid0(SALU_CYCLE_1) | instskip(NEXT) | instid1(SALU_CYCLE_1)
	s_and_b32 s13, s12, vcc_lo
	s_and_saveexec_b32 s12, s13
	s_cbranch_execz .LBB98_665
; %bb.664:
	v_ashrrev_i32_e32 v109, 31, v108
	s_delay_alu instid0(VALU_DEP_1)
	v_lshl_add_u64 v[114:115], v[108:109], 2, v[4:5]
	s_clause 0x1
	global_load_b32 v109, v[114:115], off
	global_load_b32 v113, v[4:5], off offset:124
	s_wait_loadcnt 0x1
	global_store_b32 v[4:5], v109, off offset:124
	s_wait_loadcnt 0x0
	global_store_b32 v[114:115], v113, off
.LBB98_665:
	s_wait_xcnt 0x0
	s_or_b32 exec_lo, exec_lo, s12
	v_dual_mov_b32 v114, v108 :: v_dual_mov_b32 v113, v108
.LBB98_666:
	s_or_b32 exec_lo, exec_lo, s1
.LBB98_667:
	s_and_not1_saveexec_b32 s0, s0
	s_cbranch_execz .LBB98_669
; %bb.668:
	v_dual_mov_b32 v108, v80 :: v_dual_mov_b32 v109, v81
	v_dual_mov_b32 v114, v24 :: v_dual_mov_b32 v115, v25
	ds_store_2addr_b64 v110, v[108:109], v[114:115] offset0:32 offset1:33
	v_dual_mov_b32 v108, v26 :: v_dual_mov_b32 v109, v27
	v_dual_mov_b32 v114, v22 :: v_dual_mov_b32 v115, v23
	ds_store_2addr_b64 v110, v[108:109], v[114:115] offset0:34 offset1:35
	;; [unrolled: 3-line block ×8, first 2 shown]
	v_dual_mov_b32 v108, v14 :: v_dual_mov_b32 v109, v15
	v_mov_b32_e32 v114, 31
	ds_store_2addr_b64 v110, v[108:109], v[104:105] offset0:48 offset1:49
.LBB98_669:
	s_or_b32 exec_lo, exec_lo, s0
	s_delay_alu instid0(SALU_CYCLE_1)
	s_mov_b32 s0, exec_lo
	s_wait_storecnt_dscnt 0x0
	s_barrier_signal -1
	s_barrier_wait -1
	v_cmpx_lt_i32_e32 31, v114
	s_cbranch_execz .LBB98_671
; %bb.670:
	v_pk_mul_f32 v[116:117], v[106:107], v[30:31] op_sel:[1,1] op_sel_hi:[0,1]
	s_delay_alu instid0(VALU_DEP_1)
	v_pk_fma_f32 v[108:109], v[106:107], v[30:31], v[116:117] op_sel_hi:[1,0,1] neg_lo:[0,0,1] neg_hi:[0,0,1]
	v_pk_fma_f32 v[106:107], v[106:107], v[30:31], v[116:117] op_sel_hi:[1,0,1]
	ds_load_2addr_b64 v[116:119], v110 offset0:32 offset1:33
	v_dual_mov_b32 v30, v108 :: v_dual_mov_b32 v31, v107
	s_wait_dscnt 0x0
	v_pk_mul_f32 v[120:121], v[116:117], v[106:107] op_sel:[0,1]
	s_delay_alu instid0(VALU_DEP_1) | instskip(SKIP_1) | instid1(VALU_DEP_1)
	v_pk_fma_f32 v[122:123], v[116:117], v[108:109], v[120:121] op_sel:[0,0,1] op_sel_hi:[1,1,0] neg_lo:[0,0,1] neg_hi:[0,0,1]
	v_pk_fma_f32 v[116:117], v[116:117], v[108:109], v[120:121] op_sel:[0,0,1] op_sel_hi:[1,0,0]
	v_mov_b32_e32 v123, v117
	v_pk_mul_f32 v[116:117], v[118:119], v[106:107] op_sel:[0,1]
	s_delay_alu instid0(VALU_DEP_1) | instskip(SKIP_1) | instid1(VALU_DEP_1)
	v_pk_fma_f32 v[120:121], v[118:119], v[108:109], v[116:117] op_sel:[0,0,1] op_sel_hi:[1,1,0] neg_lo:[0,0,1] neg_hi:[0,0,1]
	v_pk_fma_f32 v[116:117], v[118:119], v[108:109], v[116:117] op_sel:[0,0,1] op_sel_hi:[1,0,0]
	v_mov_b32_e32 v121, v117
	ds_load_2addr_b64 v[116:119], v110 offset0:34 offset1:35
	v_pk_add_f32 v[80:81], v[80:81], v[122:123] neg_lo:[0,1] neg_hi:[0,1]
	v_pk_add_f32 v[24:25], v[24:25], v[120:121] neg_lo:[0,1] neg_hi:[0,1]
	s_wait_dscnt 0x0
	v_pk_mul_f32 v[120:121], v[116:117], v[106:107] op_sel:[0,1]
	s_delay_alu instid0(VALU_DEP_1) | instskip(SKIP_2) | instid1(VALU_DEP_2)
	v_pk_fma_f32 v[122:123], v[116:117], v[108:109], v[120:121] op_sel:[0,0,1] op_sel_hi:[1,1,0] neg_lo:[0,0,1] neg_hi:[0,0,1]
	v_pk_fma_f32 v[116:117], v[116:117], v[108:109], v[120:121] op_sel:[0,0,1] op_sel_hi:[1,0,0]
	v_dual_mul_f32 v120, v119, v107 :: v_dual_mov_b32 v116, v119
	v_dual_mov_b32 v123, v117 :: v_dual_mov_b32 v117, v118
	s_delay_alu instid0(VALU_DEP_2) | instskip(SKIP_1) | instid1(VALU_DEP_3)
	v_pk_fma_f32 v[120:121], v[118:119], v[30:31], v[120:121] op_sel_hi:[1,1,0] neg_lo:[0,0,1] neg_hi:[0,0,1]
	v_mul_f32_e32 v118, v119, v108
	v_pk_add_f32 v[26:27], v[26:27], v[122:123] neg_lo:[0,1] neg_hi:[0,1]
	s_delay_alu instid0(VALU_DEP_2) | instskip(NEXT) | instid1(VALU_DEP_1)
	v_pk_fma_f32 v[116:117], v[116:117], v[30:31], v[118:119] op_sel_hi:[1,1,0]
	v_mov_b32_e32 v121, v117
	ds_load_2addr_b64 v[116:119], v110 offset0:36 offset1:37
	v_pk_add_f32 v[22:23], v[22:23], v[120:121] neg_lo:[0,1] neg_hi:[0,1]
	s_wait_dscnt 0x0
	v_pk_mul_f32 v[120:121], v[116:117], v[106:107] op_sel:[0,1]
	s_delay_alu instid0(VALU_DEP_1) | instskip(SKIP_1) | instid1(VALU_DEP_1)
	v_pk_fma_f32 v[122:123], v[116:117], v[108:109], v[120:121] op_sel:[0,0,1] op_sel_hi:[1,1,0] neg_lo:[0,0,1] neg_hi:[0,0,1]
	v_pk_fma_f32 v[116:117], v[116:117], v[108:109], v[120:121] op_sel:[0,0,1] op_sel_hi:[1,0,0]
	v_mov_b32_e32 v123, v117
	v_pk_mul_f32 v[116:117], v[118:119], v[106:107] op_sel:[0,1]
	s_delay_alu instid0(VALU_DEP_1) | instskip(SKIP_1) | instid1(VALU_DEP_1)
	v_pk_fma_f32 v[120:121], v[118:119], v[108:109], v[116:117] op_sel:[0,0,1] op_sel_hi:[1,1,0] neg_lo:[0,0,1] neg_hi:[0,0,1]
	v_pk_fma_f32 v[116:117], v[118:119], v[108:109], v[116:117] op_sel:[0,0,1] op_sel_hi:[1,0,0]
	v_mov_b32_e32 v121, v117
	ds_load_2addr_b64 v[116:119], v110 offset0:38 offset1:39
	v_pk_add_f32 v[78:79], v[78:79], v[122:123] neg_lo:[0,1] neg_hi:[0,1]
	v_pk_add_f32 v[18:19], v[18:19], v[120:121] neg_lo:[0,1] neg_hi:[0,1]
	s_wait_dscnt 0x0
	v_pk_mul_f32 v[120:121], v[116:117], v[106:107] op_sel:[0,1]
	s_delay_alu instid0(VALU_DEP_1) | instskip(SKIP_1) | instid1(VALU_DEP_1)
	v_pk_fma_f32 v[122:123], v[116:117], v[108:109], v[120:121] op_sel:[0,0,1] op_sel_hi:[1,1,0] neg_lo:[0,0,1] neg_hi:[0,0,1]
	v_pk_fma_f32 v[116:117], v[116:117], v[108:109], v[120:121] op_sel:[0,0,1] op_sel_hi:[1,0,0]
	v_mov_b32_e32 v123, v117
	v_pk_mul_f32 v[116:117], v[118:119], v[106:107] op_sel:[0,1]
	s_delay_alu instid0(VALU_DEP_1) | instskip(SKIP_1) | instid1(VALU_DEP_1)
	v_pk_fma_f32 v[120:121], v[118:119], v[108:109], v[116:117] op_sel:[0,0,1] op_sel_hi:[1,1,0] neg_lo:[0,0,1] neg_hi:[0,0,1]
	v_pk_fma_f32 v[116:117], v[118:119], v[108:109], v[116:117] op_sel:[0,0,1] op_sel_hi:[1,0,0]
	v_mov_b32_e32 v121, v117
	ds_load_2addr_b64 v[116:119], v110 offset0:40 offset1:41
	v_pk_add_f32 v[20:21], v[20:21], v[122:123] neg_lo:[0,1] neg_hi:[0,1]
	v_pk_add_f32 v[16:17], v[16:17], v[120:121] neg_lo:[0,1] neg_hi:[0,1]
	s_wait_dscnt 0x0
	v_dual_mul_f32 v120, v117, v107 :: v_dual_mul_f32 v122, v117, v108
	s_delay_alu instid0(VALU_DEP_1) | instskip(NEXT) | instid1(VALU_DEP_2)
	v_pk_fma_f32 v[120:121], v[116:117], v[30:31], v[120:121] op_sel_hi:[1,1,0] neg_lo:[0,0,1] neg_hi:[0,0,1]
	v_pk_fma_f32 v[116:117], v[116:117], v[30:31], v[122:123] op_sel:[1,0,0] op_sel_hi:[0,1,0]
	s_delay_alu instid0(VALU_DEP_1) | instskip(SKIP_1) | instid1(VALU_DEP_2)
	v_mov_b32_e32 v121, v117
	v_pk_mul_f32 v[116:117], v[118:119], v[106:107] op_sel:[0,1]
	v_pk_add_f32 v[76:77], v[76:77], v[120:121] neg_lo:[0,1] neg_hi:[0,1]
	s_delay_alu instid0(VALU_DEP_2) | instskip(SKIP_1) | instid1(VALU_DEP_1)
	v_pk_fma_f32 v[120:121], v[118:119], v[108:109], v[116:117] op_sel:[0,0,1] op_sel_hi:[1,1,0] neg_lo:[0,0,1] neg_hi:[0,0,1]
	v_pk_fma_f32 v[116:117], v[118:119], v[108:109], v[116:117] op_sel:[0,0,1] op_sel_hi:[1,0,0]
	v_mov_b32_e32 v121, v117
	ds_load_2addr_b64 v[116:119], v110 offset0:42 offset1:43
	v_pk_add_f32 v[10:11], v[10:11], v[120:121] neg_lo:[0,1] neg_hi:[0,1]
	s_wait_dscnt 0x0
	v_pk_mul_f32 v[120:121], v[116:117], v[106:107] op_sel:[0,1]
	s_delay_alu instid0(VALU_DEP_1) | instskip(SKIP_1) | instid1(VALU_DEP_1)
	v_pk_fma_f32 v[122:123], v[116:117], v[108:109], v[120:121] op_sel:[0,0,1] op_sel_hi:[1,1,0] neg_lo:[0,0,1] neg_hi:[0,0,1]
	v_pk_fma_f32 v[116:117], v[116:117], v[108:109], v[120:121] op_sel:[0,0,1] op_sel_hi:[1,0,0]
	v_mov_b32_e32 v123, v117
	v_pk_mul_f32 v[116:117], v[118:119], v[106:107] op_sel:[0,1]
	s_delay_alu instid0(VALU_DEP_2) | instskip(NEXT) | instid1(VALU_DEP_2)
	v_pk_add_f32 v[12:13], v[12:13], v[122:123] neg_lo:[0,1] neg_hi:[0,1]
	v_pk_fma_f32 v[120:121], v[118:119], v[108:109], v[116:117] op_sel:[0,0,1] op_sel_hi:[1,1,0] neg_lo:[0,0,1] neg_hi:[0,0,1]
	v_pk_fma_f32 v[116:117], v[118:119], v[108:109], v[116:117] op_sel:[0,0,1] op_sel_hi:[1,0,0]
	s_delay_alu instid0(VALU_DEP_1) | instskip(SKIP_4) | instid1(VALU_DEP_1)
	v_mov_b32_e32 v121, v117
	ds_load_2addr_b64 v[116:119], v110 offset0:44 offset1:45
	v_pk_add_f32 v[8:9], v[8:9], v[120:121] neg_lo:[0,1] neg_hi:[0,1]
	s_wait_dscnt 0x0
	v_pk_mul_f32 v[120:121], v[116:117], v[106:107] op_sel:[0,1]
	v_pk_fma_f32 v[122:123], v[116:117], v[108:109], v[120:121] op_sel:[0,0,1] op_sel_hi:[1,1,0] neg_lo:[0,0,1] neg_hi:[0,0,1]
	v_pk_fma_f32 v[116:117], v[116:117], v[108:109], v[120:121] op_sel:[0,0,1] op_sel_hi:[1,0,0]
	v_dual_mul_f32 v120, v119, v107 :: v_dual_mov_b32 v116, v119
	s_delay_alu instid0(VALU_DEP_2) | instskip(NEXT) | instid1(VALU_DEP_2)
	v_dual_mov_b32 v123, v117 :: v_dual_mov_b32 v117, v118
	v_pk_fma_f32 v[120:121], v[118:119], v[30:31], v[120:121] op_sel_hi:[1,1,0] neg_lo:[0,0,1] neg_hi:[0,0,1]
	v_mul_f32_e32 v118, v119, v108
	s_delay_alu instid0(VALU_DEP_3) | instskip(NEXT) | instid1(VALU_DEP_2)
	v_pk_add_f32 v[70:71], v[70:71], v[122:123] neg_lo:[0,1] neg_hi:[0,1]
	v_pk_fma_f32 v[116:117], v[116:117], v[30:31], v[118:119] op_sel_hi:[1,1,0]
	s_delay_alu instid0(VALU_DEP_1) | instskip(SKIP_4) | instid1(VALU_DEP_1)
	v_mov_b32_e32 v121, v117
	ds_load_2addr_b64 v[116:119], v110 offset0:46 offset1:47
	v_pk_add_f32 v[6:7], v[6:7], v[120:121] neg_lo:[0,1] neg_hi:[0,1]
	s_wait_dscnt 0x0
	v_pk_mul_f32 v[120:121], v[116:117], v[106:107] op_sel:[0,1]
	v_pk_fma_f32 v[122:123], v[116:117], v[108:109], v[120:121] op_sel:[0,0,1] op_sel_hi:[1,1,0] neg_lo:[0,0,1] neg_hi:[0,0,1]
	v_pk_fma_f32 v[116:117], v[116:117], v[108:109], v[120:121] op_sel:[0,0,1] op_sel_hi:[1,0,0]
	s_delay_alu instid0(VALU_DEP_1) | instskip(SKIP_1) | instid1(VALU_DEP_1)
	v_mov_b32_e32 v123, v117
	v_pk_mul_f32 v[116:117], v[118:119], v[106:107] op_sel:[0,1]
	v_pk_fma_f32 v[120:121], v[118:119], v[108:109], v[116:117] op_sel:[0,0,1] op_sel_hi:[1,1,0] neg_lo:[0,0,1] neg_hi:[0,0,1]
	v_pk_fma_f32 v[116:117], v[118:119], v[108:109], v[116:117] op_sel:[0,0,1] op_sel_hi:[1,0,0]
	s_delay_alu instid0(VALU_DEP_1)
	v_mov_b32_e32 v121, v117
	ds_load_2addr_b64 v[116:119], v110 offset0:48 offset1:49
	v_pk_add_f32 v[46:47], v[46:47], v[122:123] neg_lo:[0,1] neg_hi:[0,1]
	v_pk_add_f32 v[28:29], v[28:29], v[120:121] neg_lo:[0,1] neg_hi:[0,1]
	s_wait_dscnt 0x0
	v_pk_mul_f32 v[120:121], v[116:117], v[106:107] op_sel:[0,1]
	v_mul_f32_e32 v106, v119, v107
	s_delay_alu instid0(VALU_DEP_2) | instskip(SKIP_2) | instid1(VALU_DEP_4)
	v_pk_fma_f32 v[122:123], v[116:117], v[108:109], v[120:121] op_sel:[0,0,1] op_sel_hi:[1,1,0] neg_lo:[0,0,1] neg_hi:[0,0,1]
	v_pk_fma_f32 v[116:117], v[116:117], v[108:109], v[120:121] op_sel:[0,0,1] op_sel_hi:[1,0,0]
	v_dual_mov_b32 v116, v119 :: v_dual_mul_f32 v108, v119, v108
	v_pk_fma_f32 v[106:107], v[118:119], v[30:31], v[106:107] op_sel_hi:[1,1,0] neg_lo:[0,0,1] neg_hi:[0,0,1]
	s_delay_alu instid0(VALU_DEP_3) | instskip(NEXT) | instid1(VALU_DEP_1)
	v_dual_mov_b32 v123, v117 :: v_dual_mov_b32 v117, v118
	v_pk_add_f32 v[14:15], v[14:15], v[122:123] neg_lo:[0,1] neg_hi:[0,1]
	s_delay_alu instid0(VALU_DEP_2) | instskip(NEXT) | instid1(VALU_DEP_1)
	v_pk_fma_f32 v[108:109], v[116:117], v[30:31], v[108:109] op_sel_hi:[1,1,0]
	v_mov_b32_e32 v107, v109
	s_delay_alu instid0(VALU_DEP_1)
	v_pk_add_f32 v[104:105], v[104:105], v[106:107] neg_lo:[0,1] neg_hi:[0,1]
.LBB98_671:
	s_or_b32 exec_lo, exec_lo, s0
	v_lshl_add_u32 v106, v114, 3, v110
	s_barrier_signal -1
	s_barrier_wait -1
	ds_store_b64 v106, v[80:81]
	s_wait_dscnt 0x0
	s_barrier_signal -1
	s_barrier_wait -1
	ds_load_b64 v[106:107], v110 offset:256
	v_mov_b32_e32 v108, 32
	s_cmp_lt_i32 s18, 34
	s_cbranch_scc1 .LBB98_674
; %bb.672:
	v_add3_u32 v109, v111, 0, 0x108
	v_mov_b32_e32 v108, 32
	s_mov_b32 s0, 33
.LBB98_673:                             ; =>This Inner Loop Header: Depth=1
	ds_load_b64 v[116:117], v109
	s_wait_dscnt 0x1
	v_cmp_gt_f32_e32 vcc_lo, 0, v106
	v_cndmask_b32_e64 v118, v106, -v106, vcc_lo
	v_cmp_gt_f32_e32 vcc_lo, 0, v107
	v_cndmask_b32_e64 v120, v107, -v107, vcc_lo
	s_wait_dscnt 0x0
	v_cmp_gt_f32_e32 vcc_lo, 0, v116
	v_cndmask_b32_e64 v119, v116, -v116, vcc_lo
	v_cmp_gt_f32_e32 vcc_lo, 0, v117
	v_cndmask_b32_e64 v121, v117, -v117, vcc_lo
	s_delay_alu instid0(VALU_DEP_1) | instskip(NEXT) | instid1(VALU_DEP_1)
	v_pk_add_f32 v[118:119], v[118:119], v[120:121]
	v_cmp_lt_f32_e32 vcc_lo, v118, v119
	v_dual_cndmask_b32 v106, v106, v116 :: v_dual_add_nc_u32 v109, 8, v109
	v_cndmask_b32_e32 v107, v107, v117, vcc_lo
	v_cndmask_b32_e64 v108, v108, s0, vcc_lo
	s_add_co_i32 s0, s0, 1
	s_delay_alu instid0(SALU_CYCLE_1)
	s_cmp_lg_u32 s18, s0
	s_cbranch_scc1 .LBB98_673
.LBB98_674:
	s_wait_dscnt 0x0
	v_cmp_eq_f32_e32 vcc_lo, 0, v106
	v_cmp_eq_f32_e64 s0, 0, v107
	s_and_b32 s0, vcc_lo, s0
	s_delay_alu instid0(SALU_CYCLE_1) | instskip(NEXT) | instid1(SALU_CYCLE_1)
	s_and_saveexec_b32 s1, s0
	s_xor_b32 s0, exec_lo, s1
; %bb.675:
	v_cmp_ne_u32_e32 vcc_lo, 0, v112
	v_cndmask_b32_e32 v112, 33, v112, vcc_lo
; %bb.676:
	s_and_not1_saveexec_b32 s0, s0
	s_cbranch_execz .LBB98_682
; %bb.677:
	v_cmp_ngt_f32_e64 s1, |v106|, |v107|
	s_and_saveexec_b32 s12, s1
	s_delay_alu instid0(SALU_CYCLE_1)
	s_xor_b32 s1, exec_lo, s12
	s_cbranch_execz .LBB98_679
; %bb.678:
	v_div_scale_f32 v109, null, v107, v107, v106
	v_div_scale_f32 v117, vcc_lo, v106, v107, v106
	s_delay_alu instid0(VALU_DEP_2) | instskip(SKIP_1) | instid1(TRANS32_DEP_1)
	v_rcp_f32_e32 v115, v109
	v_nop
	v_fma_f32 v116, -v109, v115, 1.0
	s_delay_alu instid0(VALU_DEP_1) | instskip(NEXT) | instid1(VALU_DEP_1)
	v_fmac_f32_e32 v115, v116, v115
	v_mul_f32_e32 v116, v117, v115
	s_delay_alu instid0(VALU_DEP_1) | instskip(NEXT) | instid1(VALU_DEP_1)
	v_fma_f32 v118, -v109, v116, v117
	v_fmac_f32_e32 v116, v118, v115
	s_delay_alu instid0(VALU_DEP_1) | instskip(NEXT) | instid1(VALU_DEP_1)
	v_fma_f32 v109, -v109, v116, v117
	v_div_fmas_f32 v109, v109, v115, v116
	s_delay_alu instid0(VALU_DEP_1) | instskip(NEXT) | instid1(VALU_DEP_1)
	v_div_fixup_f32 v109, v109, v107, v106
	v_fmac_f32_e32 v107, v106, v109
	s_delay_alu instid0(VALU_DEP_1) | instskip(SKIP_1) | instid1(VALU_DEP_2)
	v_div_scale_f32 v106, null, v107, v107, 1.0
	v_div_scale_f32 v117, vcc_lo, 1.0, v107, 1.0
	v_rcp_f32_e32 v115, v106
	v_nop
	s_delay_alu instid0(TRANS32_DEP_1) | instskip(NEXT) | instid1(VALU_DEP_1)
	v_fma_f32 v116, -v106, v115, 1.0
	v_fmac_f32_e32 v115, v116, v115
	s_delay_alu instid0(VALU_DEP_1) | instskip(NEXT) | instid1(VALU_DEP_1)
	v_mul_f32_e32 v116, v117, v115
	v_fma_f32 v118, -v106, v116, v117
	s_delay_alu instid0(VALU_DEP_1) | instskip(NEXT) | instid1(VALU_DEP_1)
	v_fmac_f32_e32 v116, v118, v115
	v_fma_f32 v106, -v106, v116, v117
	s_delay_alu instid0(VALU_DEP_1) | instskip(NEXT) | instid1(VALU_DEP_1)
	v_div_fmas_f32 v106, v106, v115, v116
	v_div_fixup_f32 v107, v106, v107, 1.0
	s_delay_alu instid0(VALU_DEP_1)
	v_mul_f32_e32 v106, v109, v107
	v_xor_b32_e32 v107, 0x80000000, v107
.LBB98_679:
	s_and_not1_saveexec_b32 s1, s1
	s_cbranch_execz .LBB98_681
; %bb.680:
	s_delay_alu instid0(VALU_DEP_1) | instskip(SKIP_1) | instid1(VALU_DEP_2)
	v_div_scale_f32 v109, null, v106, v106, v107
	v_div_scale_f32 v117, vcc_lo, v107, v106, v107
	v_rcp_f32_e32 v115, v109
	v_nop
	s_delay_alu instid0(TRANS32_DEP_1) | instskip(NEXT) | instid1(VALU_DEP_1)
	v_fma_f32 v116, -v109, v115, 1.0
	v_fmac_f32_e32 v115, v116, v115
	s_delay_alu instid0(VALU_DEP_1) | instskip(NEXT) | instid1(VALU_DEP_1)
	v_mul_f32_e32 v116, v117, v115
	v_fma_f32 v118, -v109, v116, v117
	s_delay_alu instid0(VALU_DEP_1) | instskip(NEXT) | instid1(VALU_DEP_1)
	v_fmac_f32_e32 v116, v118, v115
	v_fma_f32 v109, -v109, v116, v117
	s_delay_alu instid0(VALU_DEP_1) | instskip(NEXT) | instid1(VALU_DEP_1)
	v_div_fmas_f32 v109, v109, v115, v116
	v_div_fixup_f32 v109, v109, v106, v107
	s_delay_alu instid0(VALU_DEP_1) | instskip(NEXT) | instid1(VALU_DEP_1)
	v_fmac_f32_e32 v106, v107, v109
	v_div_scale_f32 v107, null, v106, v106, 1.0
	s_delay_alu instid0(VALU_DEP_1) | instskip(SKIP_1) | instid1(TRANS32_DEP_1)
	v_rcp_f32_e32 v115, v107
	v_nop
	v_fma_f32 v116, -v107, v115, 1.0
	s_delay_alu instid0(VALU_DEP_1) | instskip(SKIP_1) | instid1(VALU_DEP_1)
	v_fmac_f32_e32 v115, v116, v115
	v_div_scale_f32 v116, vcc_lo, 1.0, v106, 1.0
	v_mul_f32_e32 v117, v116, v115
	s_delay_alu instid0(VALU_DEP_1) | instskip(NEXT) | instid1(VALU_DEP_1)
	v_fma_f32 v118, -v107, v117, v116
	v_fmac_f32_e32 v117, v118, v115
	s_delay_alu instid0(VALU_DEP_1) | instskip(NEXT) | instid1(VALU_DEP_1)
	v_fma_f32 v107, -v107, v117, v116
	v_div_fmas_f32 v107, v107, v115, v117
	s_delay_alu instid0(VALU_DEP_1) | instskip(NEXT) | instid1(VALU_DEP_1)
	v_div_fixup_f32 v106, v107, v106, 1.0
	v_mul_f32_e64 v107, v109, -v106
.LBB98_681:
	s_or_b32 exec_lo, exec_lo, s1
.LBB98_682:
	s_delay_alu instid0(SALU_CYCLE_1) | instskip(NEXT) | instid1(SALU_CYCLE_1)
	s_or_b32 exec_lo, exec_lo, s0
	s_mov_b32 s0, exec_lo
	v_cmpx_ne_u32_e64 v114, v108
	s_xor_b32 s0, exec_lo, s0
	s_cbranch_execz .LBB98_688
; %bb.683:
	s_mov_b32 s1, exec_lo
	v_cmpx_eq_u32_e32 32, v114
	s_cbranch_execz .LBB98_687
; %bb.684:
	v_cmp_ne_u32_e32 vcc_lo, 32, v108
	s_xor_b32 s12, s16, -1
	s_delay_alu instid0(SALU_CYCLE_1) | instskip(NEXT) | instid1(SALU_CYCLE_1)
	s_and_b32 s13, s12, vcc_lo
	s_and_saveexec_b32 s12, s13
	s_cbranch_execz .LBB98_686
; %bb.685:
	v_ashrrev_i32_e32 v109, 31, v108
	s_delay_alu instid0(VALU_DEP_1)
	v_lshl_add_u64 v[114:115], v[108:109], 2, v[4:5]
	s_clause 0x1
	global_load_b32 v109, v[114:115], off
	global_load_b32 v113, v[4:5], off offset:128
	s_wait_loadcnt 0x1
	global_store_b32 v[4:5], v109, off offset:128
	s_wait_loadcnt 0x0
	global_store_b32 v[114:115], v113, off
.LBB98_686:
	s_wait_xcnt 0x0
	s_or_b32 exec_lo, exec_lo, s12
	v_dual_mov_b32 v114, v108 :: v_dual_mov_b32 v113, v108
.LBB98_687:
	s_or_b32 exec_lo, exec_lo, s1
.LBB98_688:
	s_and_not1_saveexec_b32 s0, s0
	s_cbranch_execz .LBB98_690
; %bb.689:
	v_mov_b32_e32 v114, 32
	ds_store_2addr_b64 v110, v[24:25], v[26:27] offset0:33 offset1:34
	ds_store_2addr_b64 v110, v[22:23], v[78:79] offset0:35 offset1:36
	;; [unrolled: 1-line block ×8, first 2 shown]
	ds_store_b64 v110, v[104:105] offset:392
.LBB98_690:
	s_or_b32 exec_lo, exec_lo, s0
	s_delay_alu instid0(SALU_CYCLE_1)
	s_mov_b32 s0, exec_lo
	s_wait_storecnt_dscnt 0x0
	s_barrier_signal -1
	s_barrier_wait -1
	v_cmpx_lt_i32_e32 32, v114
	s_cbranch_execz .LBB98_692
; %bb.691:
	v_pk_mul_f32 v[116:117], v[106:107], v[80:81] op_sel:[1,1] op_sel_hi:[0,1]
	s_delay_alu instid0(VALU_DEP_1)
	v_pk_fma_f32 v[108:109], v[106:107], v[80:81], v[116:117] op_sel_hi:[1,0,1] neg_lo:[0,0,1] neg_hi:[0,0,1]
	v_pk_fma_f32 v[106:107], v[106:107], v[80:81], v[116:117] op_sel_hi:[1,0,1]
	ds_load_2addr_b64 v[116:119], v110 offset0:33 offset1:34
	v_dual_mov_b32 v80, v108 :: v_dual_mov_b32 v81, v107
	s_wait_dscnt 0x0
	v_pk_mul_f32 v[120:121], v[116:117], v[106:107] op_sel:[0,1]
	s_delay_alu instid0(VALU_DEP_1) | instskip(SKIP_1) | instid1(VALU_DEP_1)
	v_pk_fma_f32 v[122:123], v[116:117], v[108:109], v[120:121] op_sel:[0,0,1] op_sel_hi:[1,1,0] neg_lo:[0,0,1] neg_hi:[0,0,1]
	v_pk_fma_f32 v[116:117], v[116:117], v[108:109], v[120:121] op_sel:[0,0,1] op_sel_hi:[1,0,0]
	v_mov_b32_e32 v123, v117
	v_pk_mul_f32 v[116:117], v[118:119], v[106:107] op_sel:[0,1]
	s_delay_alu instid0(VALU_DEP_1) | instskip(SKIP_1) | instid1(VALU_DEP_1)
	v_pk_fma_f32 v[120:121], v[118:119], v[108:109], v[116:117] op_sel:[0,0,1] op_sel_hi:[1,1,0] neg_lo:[0,0,1] neg_hi:[0,0,1]
	v_pk_fma_f32 v[116:117], v[118:119], v[108:109], v[116:117] op_sel:[0,0,1] op_sel_hi:[1,0,0]
	v_mov_b32_e32 v121, v117
	ds_load_2addr_b64 v[116:119], v110 offset0:35 offset1:36
	v_pk_add_f32 v[24:25], v[24:25], v[122:123] neg_lo:[0,1] neg_hi:[0,1]
	v_pk_add_f32 v[26:27], v[26:27], v[120:121] neg_lo:[0,1] neg_hi:[0,1]
	s_wait_dscnt 0x0
	v_pk_mul_f32 v[120:121], v[116:117], v[106:107] op_sel:[0,1]
	s_delay_alu instid0(VALU_DEP_1) | instskip(SKIP_2) | instid1(VALU_DEP_2)
	v_pk_fma_f32 v[122:123], v[116:117], v[108:109], v[120:121] op_sel:[0,0,1] op_sel_hi:[1,1,0] neg_lo:[0,0,1] neg_hi:[0,0,1]
	v_pk_fma_f32 v[116:117], v[116:117], v[108:109], v[120:121] op_sel:[0,0,1] op_sel_hi:[1,0,0]
	v_dual_mul_f32 v120, v119, v107 :: v_dual_mov_b32 v116, v119
	v_dual_mov_b32 v123, v117 :: v_dual_mov_b32 v117, v118
	s_delay_alu instid0(VALU_DEP_2) | instskip(SKIP_1) | instid1(VALU_DEP_3)
	v_pk_fma_f32 v[120:121], v[118:119], v[80:81], v[120:121] op_sel_hi:[1,1,0] neg_lo:[0,0,1] neg_hi:[0,0,1]
	v_mul_f32_e32 v118, v119, v108
	v_pk_add_f32 v[22:23], v[22:23], v[122:123] neg_lo:[0,1] neg_hi:[0,1]
	s_delay_alu instid0(VALU_DEP_2) | instskip(NEXT) | instid1(VALU_DEP_1)
	v_pk_fma_f32 v[116:117], v[116:117], v[80:81], v[118:119] op_sel_hi:[1,1,0]
	v_mov_b32_e32 v121, v117
	ds_load_2addr_b64 v[116:119], v110 offset0:37 offset1:38
	v_pk_add_f32 v[78:79], v[78:79], v[120:121] neg_lo:[0,1] neg_hi:[0,1]
	s_wait_dscnt 0x0
	v_pk_mul_f32 v[120:121], v[116:117], v[106:107] op_sel:[0,1]
	s_delay_alu instid0(VALU_DEP_1) | instskip(SKIP_1) | instid1(VALU_DEP_1)
	v_pk_fma_f32 v[122:123], v[116:117], v[108:109], v[120:121] op_sel:[0,0,1] op_sel_hi:[1,1,0] neg_lo:[0,0,1] neg_hi:[0,0,1]
	v_pk_fma_f32 v[116:117], v[116:117], v[108:109], v[120:121] op_sel:[0,0,1] op_sel_hi:[1,0,0]
	v_mov_b32_e32 v123, v117
	v_pk_mul_f32 v[116:117], v[118:119], v[106:107] op_sel:[0,1]
	s_delay_alu instid0(VALU_DEP_1) | instskip(SKIP_1) | instid1(VALU_DEP_1)
	v_pk_fma_f32 v[120:121], v[118:119], v[108:109], v[116:117] op_sel:[0,0,1] op_sel_hi:[1,1,0] neg_lo:[0,0,1] neg_hi:[0,0,1]
	v_pk_fma_f32 v[116:117], v[118:119], v[108:109], v[116:117] op_sel:[0,0,1] op_sel_hi:[1,0,0]
	v_mov_b32_e32 v121, v117
	ds_load_2addr_b64 v[116:119], v110 offset0:39 offset1:40
	v_pk_add_f32 v[18:19], v[18:19], v[122:123] neg_lo:[0,1] neg_hi:[0,1]
	v_pk_add_f32 v[20:21], v[20:21], v[120:121] neg_lo:[0,1] neg_hi:[0,1]
	s_wait_dscnt 0x0
	v_pk_mul_f32 v[120:121], v[116:117], v[106:107] op_sel:[0,1]
	s_delay_alu instid0(VALU_DEP_1) | instskip(SKIP_1) | instid1(VALU_DEP_1)
	v_pk_fma_f32 v[122:123], v[116:117], v[108:109], v[120:121] op_sel:[0,0,1] op_sel_hi:[1,1,0] neg_lo:[0,0,1] neg_hi:[0,0,1]
	v_pk_fma_f32 v[116:117], v[116:117], v[108:109], v[120:121] op_sel:[0,0,1] op_sel_hi:[1,0,0]
	v_mov_b32_e32 v123, v117
	v_pk_mul_f32 v[116:117], v[118:119], v[106:107] op_sel:[0,1]
	s_delay_alu instid0(VALU_DEP_1) | instskip(SKIP_1) | instid1(VALU_DEP_1)
	v_pk_fma_f32 v[120:121], v[118:119], v[108:109], v[116:117] op_sel:[0,0,1] op_sel_hi:[1,1,0] neg_lo:[0,0,1] neg_hi:[0,0,1]
	v_pk_fma_f32 v[116:117], v[118:119], v[108:109], v[116:117] op_sel:[0,0,1] op_sel_hi:[1,0,0]
	v_mov_b32_e32 v121, v117
	ds_load_2addr_b64 v[116:119], v110 offset0:41 offset1:42
	v_pk_add_f32 v[16:17], v[16:17], v[122:123] neg_lo:[0,1] neg_hi:[0,1]
	v_pk_add_f32 v[76:77], v[76:77], v[120:121] neg_lo:[0,1] neg_hi:[0,1]
	s_wait_dscnt 0x0
	v_dual_mul_f32 v120, v117, v107 :: v_dual_mul_f32 v122, v117, v108
	s_delay_alu instid0(VALU_DEP_1) | instskip(NEXT) | instid1(VALU_DEP_2)
	v_pk_fma_f32 v[120:121], v[116:117], v[80:81], v[120:121] op_sel_hi:[1,1,0] neg_lo:[0,0,1] neg_hi:[0,0,1]
	v_pk_fma_f32 v[116:117], v[116:117], v[80:81], v[122:123] op_sel:[1,0,0] op_sel_hi:[0,1,0]
	s_delay_alu instid0(VALU_DEP_1) | instskip(SKIP_1) | instid1(VALU_DEP_2)
	v_mov_b32_e32 v121, v117
	v_pk_mul_f32 v[116:117], v[118:119], v[106:107] op_sel:[0,1]
	v_pk_add_f32 v[10:11], v[10:11], v[120:121] neg_lo:[0,1] neg_hi:[0,1]
	s_delay_alu instid0(VALU_DEP_2) | instskip(SKIP_1) | instid1(VALU_DEP_1)
	v_pk_fma_f32 v[120:121], v[118:119], v[108:109], v[116:117] op_sel:[0,0,1] op_sel_hi:[1,1,0] neg_lo:[0,0,1] neg_hi:[0,0,1]
	v_pk_fma_f32 v[116:117], v[118:119], v[108:109], v[116:117] op_sel:[0,0,1] op_sel_hi:[1,0,0]
	v_mov_b32_e32 v121, v117
	ds_load_2addr_b64 v[116:119], v110 offset0:43 offset1:44
	v_pk_add_f32 v[12:13], v[12:13], v[120:121] neg_lo:[0,1] neg_hi:[0,1]
	s_wait_dscnt 0x0
	v_pk_mul_f32 v[120:121], v[116:117], v[106:107] op_sel:[0,1]
	s_delay_alu instid0(VALU_DEP_1) | instskip(SKIP_1) | instid1(VALU_DEP_1)
	v_pk_fma_f32 v[122:123], v[116:117], v[108:109], v[120:121] op_sel:[0,0,1] op_sel_hi:[1,1,0] neg_lo:[0,0,1] neg_hi:[0,0,1]
	v_pk_fma_f32 v[116:117], v[116:117], v[108:109], v[120:121] op_sel:[0,0,1] op_sel_hi:[1,0,0]
	v_mov_b32_e32 v123, v117
	v_pk_mul_f32 v[116:117], v[118:119], v[106:107] op_sel:[0,1]
	s_delay_alu instid0(VALU_DEP_2) | instskip(NEXT) | instid1(VALU_DEP_2)
	v_pk_add_f32 v[8:9], v[8:9], v[122:123] neg_lo:[0,1] neg_hi:[0,1]
	v_pk_fma_f32 v[120:121], v[118:119], v[108:109], v[116:117] op_sel:[0,0,1] op_sel_hi:[1,1,0] neg_lo:[0,0,1] neg_hi:[0,0,1]
	v_pk_fma_f32 v[116:117], v[118:119], v[108:109], v[116:117] op_sel:[0,0,1] op_sel_hi:[1,0,0]
	s_delay_alu instid0(VALU_DEP_1) | instskip(SKIP_4) | instid1(VALU_DEP_1)
	v_mov_b32_e32 v121, v117
	ds_load_2addr_b64 v[116:119], v110 offset0:45 offset1:46
	v_pk_add_f32 v[70:71], v[70:71], v[120:121] neg_lo:[0,1] neg_hi:[0,1]
	s_wait_dscnt 0x0
	v_pk_mul_f32 v[120:121], v[116:117], v[106:107] op_sel:[0,1]
	v_pk_fma_f32 v[122:123], v[116:117], v[108:109], v[120:121] op_sel:[0,0,1] op_sel_hi:[1,1,0] neg_lo:[0,0,1] neg_hi:[0,0,1]
	v_pk_fma_f32 v[116:117], v[116:117], v[108:109], v[120:121] op_sel:[0,0,1] op_sel_hi:[1,0,0]
	v_dual_mul_f32 v120, v119, v107 :: v_dual_mov_b32 v116, v119
	s_delay_alu instid0(VALU_DEP_2) | instskip(NEXT) | instid1(VALU_DEP_2)
	v_dual_mov_b32 v123, v117 :: v_dual_mov_b32 v117, v118
	v_pk_fma_f32 v[120:121], v[118:119], v[80:81], v[120:121] op_sel_hi:[1,1,0] neg_lo:[0,0,1] neg_hi:[0,0,1]
	v_mul_f32_e32 v118, v119, v108
	s_delay_alu instid0(VALU_DEP_3) | instskip(NEXT) | instid1(VALU_DEP_2)
	v_pk_add_f32 v[6:7], v[6:7], v[122:123] neg_lo:[0,1] neg_hi:[0,1]
	v_pk_fma_f32 v[116:117], v[116:117], v[80:81], v[118:119] op_sel_hi:[1,1,0]
	s_delay_alu instid0(VALU_DEP_1) | instskip(SKIP_4) | instid1(VALU_DEP_1)
	v_mov_b32_e32 v121, v117
	ds_load_2addr_b64 v[116:119], v110 offset0:47 offset1:48
	v_pk_add_f32 v[46:47], v[46:47], v[120:121] neg_lo:[0,1] neg_hi:[0,1]
	s_wait_dscnt 0x0
	v_pk_mul_f32 v[120:121], v[116:117], v[106:107] op_sel:[0,1]
	v_pk_fma_f32 v[122:123], v[116:117], v[108:109], v[120:121] op_sel:[0,0,1] op_sel_hi:[1,1,0] neg_lo:[0,0,1] neg_hi:[0,0,1]
	v_pk_fma_f32 v[116:117], v[116:117], v[108:109], v[120:121] op_sel:[0,0,1] op_sel_hi:[1,0,0]
	s_delay_alu instid0(VALU_DEP_1) | instskip(SKIP_1) | instid1(VALU_DEP_1)
	v_mov_b32_e32 v123, v117
	v_pk_mul_f32 v[116:117], v[118:119], v[106:107] op_sel:[0,1]
	v_pk_fma_f32 v[120:121], v[118:119], v[108:109], v[116:117] op_sel:[0,0,1] op_sel_hi:[1,1,0] neg_lo:[0,0,1] neg_hi:[0,0,1]
	v_pk_fma_f32 v[116:117], v[118:119], v[108:109], v[116:117] op_sel:[0,0,1] op_sel_hi:[1,0,0]
	s_delay_alu instid0(VALU_DEP_1)
	v_mov_b32_e32 v121, v117
	ds_load_b64 v[116:117], v110 offset:392
	v_pk_add_f32 v[28:29], v[28:29], v[122:123] neg_lo:[0,1] neg_hi:[0,1]
	v_pk_add_f32 v[14:15], v[14:15], v[120:121] neg_lo:[0,1] neg_hi:[0,1]
	s_wait_dscnt 0x0
	v_pk_mul_f32 v[106:107], v[116:117], v[106:107] op_sel:[0,1]
	s_delay_alu instid0(VALU_DEP_1) | instskip(SKIP_1) | instid1(VALU_DEP_1)
	v_pk_fma_f32 v[118:119], v[116:117], v[108:109], v[106:107] op_sel:[0,0,1] op_sel_hi:[1,1,0] neg_lo:[0,0,1] neg_hi:[0,0,1]
	v_pk_fma_f32 v[106:107], v[116:117], v[108:109], v[106:107] op_sel:[0,0,1] op_sel_hi:[1,0,0]
	v_mov_b32_e32 v119, v107
	s_delay_alu instid0(VALU_DEP_1)
	v_pk_add_f32 v[104:105], v[104:105], v[118:119] neg_lo:[0,1] neg_hi:[0,1]
.LBB98_692:
	s_or_b32 exec_lo, exec_lo, s0
	v_lshl_add_u32 v106, v114, 3, v110
	s_barrier_signal -1
	s_barrier_wait -1
	ds_store_b64 v106, v[24:25]
	s_wait_dscnt 0x0
	s_barrier_signal -1
	s_barrier_wait -1
	ds_load_b64 v[106:107], v110 offset:264
	v_mov_b32_e32 v108, 33
	s_cmp_lt_i32 s18, 35
	s_cbranch_scc1 .LBB98_695
; %bb.693:
	v_add3_u32 v109, v111, 0, 0x110
	v_mov_b32_e32 v108, 33
	s_mov_b32 s0, 34
.LBB98_694:                             ; =>This Inner Loop Header: Depth=1
	ds_load_b64 v[116:117], v109
	s_wait_dscnt 0x1
	v_cmp_gt_f32_e32 vcc_lo, 0, v106
	v_cndmask_b32_e64 v118, v106, -v106, vcc_lo
	v_cmp_gt_f32_e32 vcc_lo, 0, v107
	v_cndmask_b32_e64 v120, v107, -v107, vcc_lo
	s_wait_dscnt 0x0
	v_cmp_gt_f32_e32 vcc_lo, 0, v116
	v_cndmask_b32_e64 v119, v116, -v116, vcc_lo
	v_cmp_gt_f32_e32 vcc_lo, 0, v117
	v_cndmask_b32_e64 v121, v117, -v117, vcc_lo
	s_delay_alu instid0(VALU_DEP_1) | instskip(NEXT) | instid1(VALU_DEP_1)
	v_pk_add_f32 v[118:119], v[118:119], v[120:121]
	v_cmp_lt_f32_e32 vcc_lo, v118, v119
	v_dual_cndmask_b32 v106, v106, v116 :: v_dual_add_nc_u32 v109, 8, v109
	v_cndmask_b32_e32 v107, v107, v117, vcc_lo
	v_cndmask_b32_e64 v108, v108, s0, vcc_lo
	s_add_co_i32 s0, s0, 1
	s_delay_alu instid0(SALU_CYCLE_1)
	s_cmp_lg_u32 s18, s0
	s_cbranch_scc1 .LBB98_694
.LBB98_695:
	s_wait_dscnt 0x0
	v_cmp_eq_f32_e32 vcc_lo, 0, v106
	v_cmp_eq_f32_e64 s0, 0, v107
	s_and_b32 s0, vcc_lo, s0
	s_delay_alu instid0(SALU_CYCLE_1) | instskip(NEXT) | instid1(SALU_CYCLE_1)
	s_and_saveexec_b32 s1, s0
	s_xor_b32 s0, exec_lo, s1
; %bb.696:
	v_cmp_ne_u32_e32 vcc_lo, 0, v112
	v_cndmask_b32_e32 v112, 34, v112, vcc_lo
; %bb.697:
	s_and_not1_saveexec_b32 s0, s0
	s_cbranch_execz .LBB98_703
; %bb.698:
	v_cmp_ngt_f32_e64 s1, |v106|, |v107|
	s_and_saveexec_b32 s12, s1
	s_delay_alu instid0(SALU_CYCLE_1)
	s_xor_b32 s1, exec_lo, s12
	s_cbranch_execz .LBB98_700
; %bb.699:
	v_div_scale_f32 v109, null, v107, v107, v106
	v_div_scale_f32 v117, vcc_lo, v106, v107, v106
	s_delay_alu instid0(VALU_DEP_2) | instskip(SKIP_1) | instid1(TRANS32_DEP_1)
	v_rcp_f32_e32 v115, v109
	v_nop
	v_fma_f32 v116, -v109, v115, 1.0
	s_delay_alu instid0(VALU_DEP_1) | instskip(NEXT) | instid1(VALU_DEP_1)
	v_fmac_f32_e32 v115, v116, v115
	v_mul_f32_e32 v116, v117, v115
	s_delay_alu instid0(VALU_DEP_1) | instskip(NEXT) | instid1(VALU_DEP_1)
	v_fma_f32 v118, -v109, v116, v117
	v_fmac_f32_e32 v116, v118, v115
	s_delay_alu instid0(VALU_DEP_1) | instskip(NEXT) | instid1(VALU_DEP_1)
	v_fma_f32 v109, -v109, v116, v117
	v_div_fmas_f32 v109, v109, v115, v116
	s_delay_alu instid0(VALU_DEP_1) | instskip(NEXT) | instid1(VALU_DEP_1)
	v_div_fixup_f32 v109, v109, v107, v106
	v_fmac_f32_e32 v107, v106, v109
	s_delay_alu instid0(VALU_DEP_1) | instskip(SKIP_1) | instid1(VALU_DEP_2)
	v_div_scale_f32 v106, null, v107, v107, 1.0
	v_div_scale_f32 v117, vcc_lo, 1.0, v107, 1.0
	v_rcp_f32_e32 v115, v106
	v_nop
	s_delay_alu instid0(TRANS32_DEP_1) | instskip(NEXT) | instid1(VALU_DEP_1)
	v_fma_f32 v116, -v106, v115, 1.0
	v_fmac_f32_e32 v115, v116, v115
	s_delay_alu instid0(VALU_DEP_1) | instskip(NEXT) | instid1(VALU_DEP_1)
	v_mul_f32_e32 v116, v117, v115
	v_fma_f32 v118, -v106, v116, v117
	s_delay_alu instid0(VALU_DEP_1) | instskip(NEXT) | instid1(VALU_DEP_1)
	v_fmac_f32_e32 v116, v118, v115
	v_fma_f32 v106, -v106, v116, v117
	s_delay_alu instid0(VALU_DEP_1) | instskip(NEXT) | instid1(VALU_DEP_1)
	v_div_fmas_f32 v106, v106, v115, v116
	v_div_fixup_f32 v107, v106, v107, 1.0
	s_delay_alu instid0(VALU_DEP_1)
	v_mul_f32_e32 v106, v109, v107
	v_xor_b32_e32 v107, 0x80000000, v107
.LBB98_700:
	s_and_not1_saveexec_b32 s1, s1
	s_cbranch_execz .LBB98_702
; %bb.701:
	s_delay_alu instid0(VALU_DEP_1) | instskip(SKIP_1) | instid1(VALU_DEP_2)
	v_div_scale_f32 v109, null, v106, v106, v107
	v_div_scale_f32 v117, vcc_lo, v107, v106, v107
	v_rcp_f32_e32 v115, v109
	v_nop
	s_delay_alu instid0(TRANS32_DEP_1) | instskip(NEXT) | instid1(VALU_DEP_1)
	v_fma_f32 v116, -v109, v115, 1.0
	v_fmac_f32_e32 v115, v116, v115
	s_delay_alu instid0(VALU_DEP_1) | instskip(NEXT) | instid1(VALU_DEP_1)
	v_mul_f32_e32 v116, v117, v115
	v_fma_f32 v118, -v109, v116, v117
	s_delay_alu instid0(VALU_DEP_1) | instskip(NEXT) | instid1(VALU_DEP_1)
	v_fmac_f32_e32 v116, v118, v115
	v_fma_f32 v109, -v109, v116, v117
	s_delay_alu instid0(VALU_DEP_1) | instskip(NEXT) | instid1(VALU_DEP_1)
	v_div_fmas_f32 v109, v109, v115, v116
	v_div_fixup_f32 v109, v109, v106, v107
	s_delay_alu instid0(VALU_DEP_1) | instskip(NEXT) | instid1(VALU_DEP_1)
	v_fmac_f32_e32 v106, v107, v109
	v_div_scale_f32 v107, null, v106, v106, 1.0
	s_delay_alu instid0(VALU_DEP_1) | instskip(SKIP_1) | instid1(TRANS32_DEP_1)
	v_rcp_f32_e32 v115, v107
	v_nop
	v_fma_f32 v116, -v107, v115, 1.0
	s_delay_alu instid0(VALU_DEP_1) | instskip(SKIP_1) | instid1(VALU_DEP_1)
	v_fmac_f32_e32 v115, v116, v115
	v_div_scale_f32 v116, vcc_lo, 1.0, v106, 1.0
	v_mul_f32_e32 v117, v116, v115
	s_delay_alu instid0(VALU_DEP_1) | instskip(NEXT) | instid1(VALU_DEP_1)
	v_fma_f32 v118, -v107, v117, v116
	v_fmac_f32_e32 v117, v118, v115
	s_delay_alu instid0(VALU_DEP_1) | instskip(NEXT) | instid1(VALU_DEP_1)
	v_fma_f32 v107, -v107, v117, v116
	v_div_fmas_f32 v107, v107, v115, v117
	s_delay_alu instid0(VALU_DEP_1) | instskip(NEXT) | instid1(VALU_DEP_1)
	v_div_fixup_f32 v106, v107, v106, 1.0
	v_mul_f32_e64 v107, v109, -v106
.LBB98_702:
	s_or_b32 exec_lo, exec_lo, s1
.LBB98_703:
	s_delay_alu instid0(SALU_CYCLE_1) | instskip(NEXT) | instid1(SALU_CYCLE_1)
	s_or_b32 exec_lo, exec_lo, s0
	s_mov_b32 s0, exec_lo
	v_cmpx_ne_u32_e64 v114, v108
	s_xor_b32 s0, exec_lo, s0
	s_cbranch_execz .LBB98_709
; %bb.704:
	s_mov_b32 s1, exec_lo
	v_cmpx_eq_u32_e32 33, v114
	s_cbranch_execz .LBB98_708
; %bb.705:
	v_cmp_ne_u32_e32 vcc_lo, 33, v108
	s_xor_b32 s12, s16, -1
	s_delay_alu instid0(SALU_CYCLE_1) | instskip(NEXT) | instid1(SALU_CYCLE_1)
	s_and_b32 s13, s12, vcc_lo
	s_and_saveexec_b32 s12, s13
	s_cbranch_execz .LBB98_707
; %bb.706:
	v_ashrrev_i32_e32 v109, 31, v108
	s_delay_alu instid0(VALU_DEP_1)
	v_lshl_add_u64 v[114:115], v[108:109], 2, v[4:5]
	s_clause 0x1
	global_load_b32 v109, v[114:115], off
	global_load_b32 v113, v[4:5], off offset:132
	s_wait_loadcnt 0x1
	global_store_b32 v[4:5], v109, off offset:132
	s_wait_loadcnt 0x0
	global_store_b32 v[114:115], v113, off
.LBB98_707:
	s_wait_xcnt 0x0
	s_or_b32 exec_lo, exec_lo, s12
	v_dual_mov_b32 v114, v108 :: v_dual_mov_b32 v113, v108
.LBB98_708:
	s_or_b32 exec_lo, exec_lo, s1
.LBB98_709:
	s_and_not1_saveexec_b32 s0, s0
	s_cbranch_execz .LBB98_711
; %bb.710:
	v_dual_mov_b32 v108, v26 :: v_dual_mov_b32 v109, v27
	v_dual_mov_b32 v114, v22 :: v_dual_mov_b32 v115, v23
	;; [unrolled: 1-line block ×8, first 2 shown]
	ds_store_2addr_b64 v110, v[108:109], v[114:115] offset0:34 offset1:35
	ds_store_2addr_b64 v110, v[116:117], v[118:119] offset0:36 offset1:37
	;; [unrolled: 1-line block ×4, first 2 shown]
	v_dual_mov_b32 v108, v12 :: v_dual_mov_b32 v109, v13
	v_dual_mov_b32 v116, v8 :: v_dual_mov_b32 v117, v9
	;; [unrolled: 1-line block ×7, first 2 shown]
	v_mov_b32_e32 v127, v15
	ds_store_2addr_b64 v110, v[108:109], v[116:117] offset0:42 offset1:43
	ds_store_2addr_b64 v110, v[118:119], v[120:121] offset0:44 offset1:45
	;; [unrolled: 1-line block ×4, first 2 shown]
.LBB98_711:
	s_or_b32 exec_lo, exec_lo, s0
	s_delay_alu instid0(SALU_CYCLE_1)
	s_mov_b32 s0, exec_lo
	s_wait_storecnt_dscnt 0x0
	s_barrier_signal -1
	s_barrier_wait -1
	v_cmpx_lt_i32_e32 33, v114
	s_cbranch_execz .LBB98_713
; %bb.712:
	v_pk_mul_f32 v[116:117], v[106:107], v[24:25] op_sel:[1,1] op_sel_hi:[0,1]
	s_delay_alu instid0(VALU_DEP_1)
	v_pk_fma_f32 v[108:109], v[106:107], v[24:25], v[116:117] op_sel_hi:[1,0,1] neg_lo:[0,0,1] neg_hi:[0,0,1]
	v_pk_fma_f32 v[106:107], v[106:107], v[24:25], v[116:117] op_sel_hi:[1,0,1]
	ds_load_2addr_b64 v[116:119], v110 offset0:34 offset1:35
	v_dual_mov_b32 v24, v108 :: v_dual_mov_b32 v25, v107
	s_wait_dscnt 0x0
	v_pk_mul_f32 v[120:121], v[116:117], v[106:107] op_sel:[0,1]
	s_delay_alu instid0(VALU_DEP_1) | instskip(SKIP_1) | instid1(VALU_DEP_1)
	v_pk_fma_f32 v[122:123], v[116:117], v[108:109], v[120:121] op_sel:[0,0,1] op_sel_hi:[1,1,0] neg_lo:[0,0,1] neg_hi:[0,0,1]
	v_pk_fma_f32 v[116:117], v[116:117], v[108:109], v[120:121] op_sel:[0,0,1] op_sel_hi:[1,0,0]
	v_mov_b32_e32 v123, v117
	v_pk_mul_f32 v[116:117], v[118:119], v[106:107] op_sel:[0,1]
	s_delay_alu instid0(VALU_DEP_1) | instskip(SKIP_1) | instid1(VALU_DEP_1)
	v_pk_fma_f32 v[120:121], v[118:119], v[108:109], v[116:117] op_sel:[0,0,1] op_sel_hi:[1,1,0] neg_lo:[0,0,1] neg_hi:[0,0,1]
	v_pk_fma_f32 v[116:117], v[118:119], v[108:109], v[116:117] op_sel:[0,0,1] op_sel_hi:[1,0,0]
	v_mov_b32_e32 v121, v117
	ds_load_2addr_b64 v[116:119], v110 offset0:36 offset1:37
	v_pk_add_f32 v[26:27], v[26:27], v[122:123] neg_lo:[0,1] neg_hi:[0,1]
	v_pk_add_f32 v[22:23], v[22:23], v[120:121] neg_lo:[0,1] neg_hi:[0,1]
	s_wait_dscnt 0x0
	v_pk_mul_f32 v[120:121], v[116:117], v[106:107] op_sel:[0,1]
	s_delay_alu instid0(VALU_DEP_1) | instskip(SKIP_2) | instid1(VALU_DEP_2)
	v_pk_fma_f32 v[122:123], v[116:117], v[108:109], v[120:121] op_sel:[0,0,1] op_sel_hi:[1,1,0] neg_lo:[0,0,1] neg_hi:[0,0,1]
	v_pk_fma_f32 v[116:117], v[116:117], v[108:109], v[120:121] op_sel:[0,0,1] op_sel_hi:[1,0,0]
	v_dual_mul_f32 v120, v119, v107 :: v_dual_mov_b32 v116, v119
	v_dual_mov_b32 v123, v117 :: v_dual_mov_b32 v117, v118
	s_delay_alu instid0(VALU_DEP_2) | instskip(SKIP_1) | instid1(VALU_DEP_3)
	v_pk_fma_f32 v[120:121], v[118:119], v[24:25], v[120:121] op_sel_hi:[1,1,0] neg_lo:[0,0,1] neg_hi:[0,0,1]
	v_mul_f32_e32 v118, v119, v108
	v_pk_add_f32 v[78:79], v[78:79], v[122:123] neg_lo:[0,1] neg_hi:[0,1]
	s_delay_alu instid0(VALU_DEP_2) | instskip(NEXT) | instid1(VALU_DEP_1)
	v_pk_fma_f32 v[116:117], v[116:117], v[24:25], v[118:119] op_sel_hi:[1,1,0]
	v_mov_b32_e32 v121, v117
	ds_load_2addr_b64 v[116:119], v110 offset0:38 offset1:39
	v_pk_add_f32 v[18:19], v[18:19], v[120:121] neg_lo:[0,1] neg_hi:[0,1]
	s_wait_dscnt 0x0
	v_pk_mul_f32 v[120:121], v[116:117], v[106:107] op_sel:[0,1]
	s_delay_alu instid0(VALU_DEP_1) | instskip(SKIP_1) | instid1(VALU_DEP_1)
	v_pk_fma_f32 v[122:123], v[116:117], v[108:109], v[120:121] op_sel:[0,0,1] op_sel_hi:[1,1,0] neg_lo:[0,0,1] neg_hi:[0,0,1]
	v_pk_fma_f32 v[116:117], v[116:117], v[108:109], v[120:121] op_sel:[0,0,1] op_sel_hi:[1,0,0]
	v_mov_b32_e32 v123, v117
	v_pk_mul_f32 v[116:117], v[118:119], v[106:107] op_sel:[0,1]
	s_delay_alu instid0(VALU_DEP_1) | instskip(SKIP_1) | instid1(VALU_DEP_1)
	v_pk_fma_f32 v[120:121], v[118:119], v[108:109], v[116:117] op_sel:[0,0,1] op_sel_hi:[1,1,0] neg_lo:[0,0,1] neg_hi:[0,0,1]
	v_pk_fma_f32 v[116:117], v[118:119], v[108:109], v[116:117] op_sel:[0,0,1] op_sel_hi:[1,0,0]
	v_mov_b32_e32 v121, v117
	ds_load_2addr_b64 v[116:119], v110 offset0:40 offset1:41
	v_pk_add_f32 v[20:21], v[20:21], v[122:123] neg_lo:[0,1] neg_hi:[0,1]
	v_pk_add_f32 v[16:17], v[16:17], v[120:121] neg_lo:[0,1] neg_hi:[0,1]
	s_wait_dscnt 0x0
	v_pk_mul_f32 v[120:121], v[116:117], v[106:107] op_sel:[0,1]
	s_delay_alu instid0(VALU_DEP_1) | instskip(SKIP_1) | instid1(VALU_DEP_1)
	v_pk_fma_f32 v[122:123], v[116:117], v[108:109], v[120:121] op_sel:[0,0,1] op_sel_hi:[1,1,0] neg_lo:[0,0,1] neg_hi:[0,0,1]
	v_pk_fma_f32 v[116:117], v[116:117], v[108:109], v[120:121] op_sel:[0,0,1] op_sel_hi:[1,0,0]
	v_mov_b32_e32 v123, v117
	v_pk_mul_f32 v[116:117], v[118:119], v[106:107] op_sel:[0,1]
	s_delay_alu instid0(VALU_DEP_1) | instskip(SKIP_1) | instid1(VALU_DEP_1)
	v_pk_fma_f32 v[120:121], v[118:119], v[108:109], v[116:117] op_sel:[0,0,1] op_sel_hi:[1,1,0] neg_lo:[0,0,1] neg_hi:[0,0,1]
	v_pk_fma_f32 v[116:117], v[118:119], v[108:109], v[116:117] op_sel:[0,0,1] op_sel_hi:[1,0,0]
	v_mov_b32_e32 v121, v117
	ds_load_2addr_b64 v[116:119], v110 offset0:42 offset1:43
	v_pk_add_f32 v[76:77], v[76:77], v[122:123] neg_lo:[0,1] neg_hi:[0,1]
	v_pk_add_f32 v[10:11], v[10:11], v[120:121] neg_lo:[0,1] neg_hi:[0,1]
	s_wait_dscnt 0x0
	v_dual_mul_f32 v120, v117, v107 :: v_dual_mul_f32 v122, v117, v108
	s_delay_alu instid0(VALU_DEP_1) | instskip(NEXT) | instid1(VALU_DEP_2)
	v_pk_fma_f32 v[120:121], v[116:117], v[24:25], v[120:121] op_sel_hi:[1,1,0] neg_lo:[0,0,1] neg_hi:[0,0,1]
	v_pk_fma_f32 v[116:117], v[116:117], v[24:25], v[122:123] op_sel:[1,0,0] op_sel_hi:[0,1,0]
	s_delay_alu instid0(VALU_DEP_1) | instskip(SKIP_1) | instid1(VALU_DEP_2)
	v_mov_b32_e32 v121, v117
	v_pk_mul_f32 v[116:117], v[118:119], v[106:107] op_sel:[0,1]
	v_pk_add_f32 v[12:13], v[12:13], v[120:121] neg_lo:[0,1] neg_hi:[0,1]
	s_delay_alu instid0(VALU_DEP_2) | instskip(SKIP_1) | instid1(VALU_DEP_1)
	v_pk_fma_f32 v[120:121], v[118:119], v[108:109], v[116:117] op_sel:[0,0,1] op_sel_hi:[1,1,0] neg_lo:[0,0,1] neg_hi:[0,0,1]
	v_pk_fma_f32 v[116:117], v[118:119], v[108:109], v[116:117] op_sel:[0,0,1] op_sel_hi:[1,0,0]
	v_mov_b32_e32 v121, v117
	ds_load_2addr_b64 v[116:119], v110 offset0:44 offset1:45
	v_pk_add_f32 v[8:9], v[8:9], v[120:121] neg_lo:[0,1] neg_hi:[0,1]
	s_wait_dscnt 0x0
	v_pk_mul_f32 v[120:121], v[116:117], v[106:107] op_sel:[0,1]
	s_delay_alu instid0(VALU_DEP_1) | instskip(SKIP_1) | instid1(VALU_DEP_1)
	v_pk_fma_f32 v[122:123], v[116:117], v[108:109], v[120:121] op_sel:[0,0,1] op_sel_hi:[1,1,0] neg_lo:[0,0,1] neg_hi:[0,0,1]
	v_pk_fma_f32 v[116:117], v[116:117], v[108:109], v[120:121] op_sel:[0,0,1] op_sel_hi:[1,0,0]
	v_mov_b32_e32 v123, v117
	v_pk_mul_f32 v[116:117], v[118:119], v[106:107] op_sel:[0,1]
	s_delay_alu instid0(VALU_DEP_2) | instskip(NEXT) | instid1(VALU_DEP_2)
	v_pk_add_f32 v[70:71], v[70:71], v[122:123] neg_lo:[0,1] neg_hi:[0,1]
	v_pk_fma_f32 v[120:121], v[118:119], v[108:109], v[116:117] op_sel:[0,0,1] op_sel_hi:[1,1,0] neg_lo:[0,0,1] neg_hi:[0,0,1]
	v_pk_fma_f32 v[116:117], v[118:119], v[108:109], v[116:117] op_sel:[0,0,1] op_sel_hi:[1,0,0]
	s_delay_alu instid0(VALU_DEP_1) | instskip(SKIP_4) | instid1(VALU_DEP_1)
	v_mov_b32_e32 v121, v117
	ds_load_2addr_b64 v[116:119], v110 offset0:46 offset1:47
	v_pk_add_f32 v[6:7], v[6:7], v[120:121] neg_lo:[0,1] neg_hi:[0,1]
	s_wait_dscnt 0x0
	v_pk_mul_f32 v[120:121], v[116:117], v[106:107] op_sel:[0,1]
	v_pk_fma_f32 v[122:123], v[116:117], v[108:109], v[120:121] op_sel:[0,0,1] op_sel_hi:[1,1,0] neg_lo:[0,0,1] neg_hi:[0,0,1]
	v_pk_fma_f32 v[116:117], v[116:117], v[108:109], v[120:121] op_sel:[0,0,1] op_sel_hi:[1,0,0]
	v_dual_mul_f32 v120, v119, v107 :: v_dual_mov_b32 v116, v119
	s_delay_alu instid0(VALU_DEP_2) | instskip(NEXT) | instid1(VALU_DEP_2)
	v_dual_mov_b32 v123, v117 :: v_dual_mov_b32 v117, v118
	v_pk_fma_f32 v[120:121], v[118:119], v[24:25], v[120:121] op_sel_hi:[1,1,0] neg_lo:[0,0,1] neg_hi:[0,0,1]
	v_mul_f32_e32 v118, v119, v108
	s_delay_alu instid0(VALU_DEP_3) | instskip(NEXT) | instid1(VALU_DEP_2)
	v_pk_add_f32 v[46:47], v[46:47], v[122:123] neg_lo:[0,1] neg_hi:[0,1]
	v_pk_fma_f32 v[116:117], v[116:117], v[24:25], v[118:119] op_sel_hi:[1,1,0]
	s_delay_alu instid0(VALU_DEP_1)
	v_mov_b32_e32 v121, v117
	ds_load_2addr_b64 v[116:119], v110 offset0:48 offset1:49
	v_pk_add_f32 v[28:29], v[28:29], v[120:121] neg_lo:[0,1] neg_hi:[0,1]
	s_wait_dscnt 0x0
	v_pk_mul_f32 v[120:121], v[116:117], v[106:107] op_sel:[0,1]
	v_pk_mul_f32 v[106:107], v[118:119], v[106:107] op_sel:[0,1]
	s_delay_alu instid0(VALU_DEP_2) | instskip(SKIP_1) | instid1(VALU_DEP_1)
	v_pk_fma_f32 v[122:123], v[116:117], v[108:109], v[120:121] op_sel:[0,0,1] op_sel_hi:[1,1,0] neg_lo:[0,0,1] neg_hi:[0,0,1]
	v_pk_fma_f32 v[116:117], v[116:117], v[108:109], v[120:121] op_sel:[0,0,1] op_sel_hi:[1,0,0]
	v_mov_b32_e32 v123, v117
	s_delay_alu instid0(VALU_DEP_4) | instskip(SKIP_1) | instid1(VALU_DEP_1)
	v_pk_fma_f32 v[116:117], v[118:119], v[108:109], v[106:107] op_sel:[0,0,1] op_sel_hi:[1,1,0] neg_lo:[0,0,1] neg_hi:[0,0,1]
	v_pk_fma_f32 v[106:107], v[118:119], v[108:109], v[106:107] op_sel:[0,0,1] op_sel_hi:[1,0,0]
	v_mov_b32_e32 v117, v107
	s_delay_alu instid0(VALU_DEP_4) | instskip(NEXT) | instid1(VALU_DEP_2)
	v_pk_add_f32 v[14:15], v[14:15], v[122:123] neg_lo:[0,1] neg_hi:[0,1]
	v_pk_add_f32 v[104:105], v[104:105], v[116:117] neg_lo:[0,1] neg_hi:[0,1]
.LBB98_713:
	s_or_b32 exec_lo, exec_lo, s0
	v_lshl_add_u32 v106, v114, 3, v110
	s_barrier_signal -1
	s_barrier_wait -1
	ds_store_b64 v106, v[26:27]
	s_wait_dscnt 0x0
	s_barrier_signal -1
	s_barrier_wait -1
	ds_load_b64 v[106:107], v110 offset:272
	v_mov_b32_e32 v108, 34
	s_cmp_lt_i32 s18, 36
	s_cbranch_scc1 .LBB98_716
; %bb.714:
	v_add3_u32 v109, v111, 0, 0x118
	v_mov_b32_e32 v108, 34
	s_mov_b32 s0, 35
.LBB98_715:                             ; =>This Inner Loop Header: Depth=1
	ds_load_b64 v[116:117], v109
	s_wait_dscnt 0x1
	v_cmp_gt_f32_e32 vcc_lo, 0, v106
	v_cndmask_b32_e64 v118, v106, -v106, vcc_lo
	v_cmp_gt_f32_e32 vcc_lo, 0, v107
	v_cndmask_b32_e64 v120, v107, -v107, vcc_lo
	s_wait_dscnt 0x0
	v_cmp_gt_f32_e32 vcc_lo, 0, v116
	v_cndmask_b32_e64 v119, v116, -v116, vcc_lo
	v_cmp_gt_f32_e32 vcc_lo, 0, v117
	v_cndmask_b32_e64 v121, v117, -v117, vcc_lo
	s_delay_alu instid0(VALU_DEP_1) | instskip(NEXT) | instid1(VALU_DEP_1)
	v_pk_add_f32 v[118:119], v[118:119], v[120:121]
	v_cmp_lt_f32_e32 vcc_lo, v118, v119
	v_dual_cndmask_b32 v106, v106, v116 :: v_dual_add_nc_u32 v109, 8, v109
	v_cndmask_b32_e32 v107, v107, v117, vcc_lo
	v_cndmask_b32_e64 v108, v108, s0, vcc_lo
	s_add_co_i32 s0, s0, 1
	s_delay_alu instid0(SALU_CYCLE_1)
	s_cmp_lg_u32 s18, s0
	s_cbranch_scc1 .LBB98_715
.LBB98_716:
	s_wait_dscnt 0x0
	v_cmp_eq_f32_e32 vcc_lo, 0, v106
	v_cmp_eq_f32_e64 s0, 0, v107
	s_and_b32 s0, vcc_lo, s0
	s_delay_alu instid0(SALU_CYCLE_1) | instskip(NEXT) | instid1(SALU_CYCLE_1)
	s_and_saveexec_b32 s1, s0
	s_xor_b32 s0, exec_lo, s1
; %bb.717:
	v_cmp_ne_u32_e32 vcc_lo, 0, v112
	v_cndmask_b32_e32 v112, 35, v112, vcc_lo
; %bb.718:
	s_and_not1_saveexec_b32 s0, s0
	s_cbranch_execz .LBB98_724
; %bb.719:
	v_cmp_ngt_f32_e64 s1, |v106|, |v107|
	s_and_saveexec_b32 s12, s1
	s_delay_alu instid0(SALU_CYCLE_1)
	s_xor_b32 s1, exec_lo, s12
	s_cbranch_execz .LBB98_721
; %bb.720:
	v_div_scale_f32 v109, null, v107, v107, v106
	v_div_scale_f32 v117, vcc_lo, v106, v107, v106
	s_delay_alu instid0(VALU_DEP_2) | instskip(SKIP_1) | instid1(TRANS32_DEP_1)
	v_rcp_f32_e32 v115, v109
	v_nop
	v_fma_f32 v116, -v109, v115, 1.0
	s_delay_alu instid0(VALU_DEP_1) | instskip(NEXT) | instid1(VALU_DEP_1)
	v_fmac_f32_e32 v115, v116, v115
	v_mul_f32_e32 v116, v117, v115
	s_delay_alu instid0(VALU_DEP_1) | instskip(NEXT) | instid1(VALU_DEP_1)
	v_fma_f32 v118, -v109, v116, v117
	v_fmac_f32_e32 v116, v118, v115
	s_delay_alu instid0(VALU_DEP_1) | instskip(NEXT) | instid1(VALU_DEP_1)
	v_fma_f32 v109, -v109, v116, v117
	v_div_fmas_f32 v109, v109, v115, v116
	s_delay_alu instid0(VALU_DEP_1) | instskip(NEXT) | instid1(VALU_DEP_1)
	v_div_fixup_f32 v109, v109, v107, v106
	v_fmac_f32_e32 v107, v106, v109
	s_delay_alu instid0(VALU_DEP_1) | instskip(SKIP_1) | instid1(VALU_DEP_2)
	v_div_scale_f32 v106, null, v107, v107, 1.0
	v_div_scale_f32 v117, vcc_lo, 1.0, v107, 1.0
	v_rcp_f32_e32 v115, v106
	v_nop
	s_delay_alu instid0(TRANS32_DEP_1) | instskip(NEXT) | instid1(VALU_DEP_1)
	v_fma_f32 v116, -v106, v115, 1.0
	v_fmac_f32_e32 v115, v116, v115
	s_delay_alu instid0(VALU_DEP_1) | instskip(NEXT) | instid1(VALU_DEP_1)
	v_mul_f32_e32 v116, v117, v115
	v_fma_f32 v118, -v106, v116, v117
	s_delay_alu instid0(VALU_DEP_1) | instskip(NEXT) | instid1(VALU_DEP_1)
	v_fmac_f32_e32 v116, v118, v115
	v_fma_f32 v106, -v106, v116, v117
	s_delay_alu instid0(VALU_DEP_1) | instskip(NEXT) | instid1(VALU_DEP_1)
	v_div_fmas_f32 v106, v106, v115, v116
	v_div_fixup_f32 v107, v106, v107, 1.0
	s_delay_alu instid0(VALU_DEP_1)
	v_mul_f32_e32 v106, v109, v107
	v_xor_b32_e32 v107, 0x80000000, v107
.LBB98_721:
	s_and_not1_saveexec_b32 s1, s1
	s_cbranch_execz .LBB98_723
; %bb.722:
	s_delay_alu instid0(VALU_DEP_1) | instskip(SKIP_1) | instid1(VALU_DEP_2)
	v_div_scale_f32 v109, null, v106, v106, v107
	v_div_scale_f32 v117, vcc_lo, v107, v106, v107
	v_rcp_f32_e32 v115, v109
	v_nop
	s_delay_alu instid0(TRANS32_DEP_1) | instskip(NEXT) | instid1(VALU_DEP_1)
	v_fma_f32 v116, -v109, v115, 1.0
	v_fmac_f32_e32 v115, v116, v115
	s_delay_alu instid0(VALU_DEP_1) | instskip(NEXT) | instid1(VALU_DEP_1)
	v_mul_f32_e32 v116, v117, v115
	v_fma_f32 v118, -v109, v116, v117
	s_delay_alu instid0(VALU_DEP_1) | instskip(NEXT) | instid1(VALU_DEP_1)
	v_fmac_f32_e32 v116, v118, v115
	v_fma_f32 v109, -v109, v116, v117
	s_delay_alu instid0(VALU_DEP_1) | instskip(NEXT) | instid1(VALU_DEP_1)
	v_div_fmas_f32 v109, v109, v115, v116
	v_div_fixup_f32 v109, v109, v106, v107
	s_delay_alu instid0(VALU_DEP_1) | instskip(NEXT) | instid1(VALU_DEP_1)
	v_fmac_f32_e32 v106, v107, v109
	v_div_scale_f32 v107, null, v106, v106, 1.0
	s_delay_alu instid0(VALU_DEP_1) | instskip(SKIP_1) | instid1(TRANS32_DEP_1)
	v_rcp_f32_e32 v115, v107
	v_nop
	v_fma_f32 v116, -v107, v115, 1.0
	s_delay_alu instid0(VALU_DEP_1) | instskip(SKIP_1) | instid1(VALU_DEP_1)
	v_fmac_f32_e32 v115, v116, v115
	v_div_scale_f32 v116, vcc_lo, 1.0, v106, 1.0
	v_mul_f32_e32 v117, v116, v115
	s_delay_alu instid0(VALU_DEP_1) | instskip(NEXT) | instid1(VALU_DEP_1)
	v_fma_f32 v118, -v107, v117, v116
	v_fmac_f32_e32 v117, v118, v115
	s_delay_alu instid0(VALU_DEP_1) | instskip(NEXT) | instid1(VALU_DEP_1)
	v_fma_f32 v107, -v107, v117, v116
	v_div_fmas_f32 v107, v107, v115, v117
	s_delay_alu instid0(VALU_DEP_1) | instskip(NEXT) | instid1(VALU_DEP_1)
	v_div_fixup_f32 v106, v107, v106, 1.0
	v_mul_f32_e64 v107, v109, -v106
.LBB98_723:
	s_or_b32 exec_lo, exec_lo, s1
.LBB98_724:
	s_delay_alu instid0(SALU_CYCLE_1) | instskip(NEXT) | instid1(SALU_CYCLE_1)
	s_or_b32 exec_lo, exec_lo, s0
	s_mov_b32 s0, exec_lo
	v_cmpx_ne_u32_e64 v114, v108
	s_xor_b32 s0, exec_lo, s0
	s_cbranch_execz .LBB98_730
; %bb.725:
	s_mov_b32 s1, exec_lo
	v_cmpx_eq_u32_e32 34, v114
	s_cbranch_execz .LBB98_729
; %bb.726:
	v_cmp_ne_u32_e32 vcc_lo, 34, v108
	s_xor_b32 s12, s16, -1
	s_delay_alu instid0(SALU_CYCLE_1) | instskip(NEXT) | instid1(SALU_CYCLE_1)
	s_and_b32 s13, s12, vcc_lo
	s_and_saveexec_b32 s12, s13
	s_cbranch_execz .LBB98_728
; %bb.727:
	v_ashrrev_i32_e32 v109, 31, v108
	s_delay_alu instid0(VALU_DEP_1)
	v_lshl_add_u64 v[114:115], v[108:109], 2, v[4:5]
	s_clause 0x1
	global_load_b32 v109, v[114:115], off
	global_load_b32 v113, v[4:5], off offset:136
	s_wait_loadcnt 0x1
	global_store_b32 v[4:5], v109, off offset:136
	s_wait_loadcnt 0x0
	global_store_b32 v[114:115], v113, off
.LBB98_728:
	s_wait_xcnt 0x0
	s_or_b32 exec_lo, exec_lo, s12
	v_dual_mov_b32 v114, v108 :: v_dual_mov_b32 v113, v108
.LBB98_729:
	s_or_b32 exec_lo, exec_lo, s1
.LBB98_730:
	s_and_not1_saveexec_b32 s0, s0
	s_cbranch_execz .LBB98_732
; %bb.731:
	v_mov_b32_e32 v114, 34
	ds_store_2addr_b64 v110, v[22:23], v[78:79] offset0:35 offset1:36
	ds_store_2addr_b64 v110, v[18:19], v[20:21] offset0:37 offset1:38
	;; [unrolled: 1-line block ×7, first 2 shown]
	ds_store_b64 v110, v[104:105] offset:392
.LBB98_732:
	s_or_b32 exec_lo, exec_lo, s0
	s_delay_alu instid0(SALU_CYCLE_1)
	s_mov_b32 s0, exec_lo
	s_wait_storecnt_dscnt 0x0
	s_barrier_signal -1
	s_barrier_wait -1
	v_cmpx_lt_i32_e32 34, v114
	s_cbranch_execz .LBB98_734
; %bb.733:
	v_pk_mul_f32 v[116:117], v[106:107], v[26:27] op_sel:[1,1] op_sel_hi:[0,1]
	s_delay_alu instid0(VALU_DEP_1)
	v_pk_fma_f32 v[108:109], v[106:107], v[26:27], v[116:117] op_sel_hi:[1,0,1] neg_lo:[0,0,1] neg_hi:[0,0,1]
	v_pk_fma_f32 v[106:107], v[106:107], v[26:27], v[116:117] op_sel_hi:[1,0,1]
	ds_load_2addr_b64 v[116:119], v110 offset0:35 offset1:36
	v_dual_mov_b32 v26, v108 :: v_dual_mov_b32 v27, v107
	s_wait_dscnt 0x0
	v_pk_mul_f32 v[120:121], v[116:117], v[106:107] op_sel:[0,1]
	s_delay_alu instid0(VALU_DEP_1) | instskip(SKIP_1) | instid1(VALU_DEP_1)
	v_pk_fma_f32 v[122:123], v[116:117], v[108:109], v[120:121] op_sel:[0,0,1] op_sel_hi:[1,1,0] neg_lo:[0,0,1] neg_hi:[0,0,1]
	v_pk_fma_f32 v[116:117], v[116:117], v[108:109], v[120:121] op_sel:[0,0,1] op_sel_hi:[1,0,0]
	v_mov_b32_e32 v123, v117
	v_pk_mul_f32 v[116:117], v[118:119], v[106:107] op_sel:[0,1]
	s_delay_alu instid0(VALU_DEP_1) | instskip(SKIP_1) | instid1(VALU_DEP_1)
	v_pk_fma_f32 v[120:121], v[118:119], v[108:109], v[116:117] op_sel:[0,0,1] op_sel_hi:[1,1,0] neg_lo:[0,0,1] neg_hi:[0,0,1]
	v_pk_fma_f32 v[116:117], v[118:119], v[108:109], v[116:117] op_sel:[0,0,1] op_sel_hi:[1,0,0]
	v_mov_b32_e32 v121, v117
	ds_load_2addr_b64 v[116:119], v110 offset0:37 offset1:38
	v_pk_add_f32 v[22:23], v[22:23], v[122:123] neg_lo:[0,1] neg_hi:[0,1]
	v_pk_add_f32 v[78:79], v[78:79], v[120:121] neg_lo:[0,1] neg_hi:[0,1]
	s_wait_dscnt 0x0
	v_pk_mul_f32 v[120:121], v[116:117], v[106:107] op_sel:[0,1]
	s_delay_alu instid0(VALU_DEP_1) | instskip(SKIP_2) | instid1(VALU_DEP_2)
	v_pk_fma_f32 v[122:123], v[116:117], v[108:109], v[120:121] op_sel:[0,0,1] op_sel_hi:[1,1,0] neg_lo:[0,0,1] neg_hi:[0,0,1]
	v_pk_fma_f32 v[116:117], v[116:117], v[108:109], v[120:121] op_sel:[0,0,1] op_sel_hi:[1,0,0]
	v_dual_mul_f32 v120, v119, v107 :: v_dual_mov_b32 v116, v119
	v_dual_mov_b32 v123, v117 :: v_dual_mov_b32 v117, v118
	s_delay_alu instid0(VALU_DEP_2) | instskip(SKIP_1) | instid1(VALU_DEP_3)
	v_pk_fma_f32 v[120:121], v[118:119], v[26:27], v[120:121] op_sel_hi:[1,1,0] neg_lo:[0,0,1] neg_hi:[0,0,1]
	v_mul_f32_e32 v118, v119, v108
	v_pk_add_f32 v[18:19], v[18:19], v[122:123] neg_lo:[0,1] neg_hi:[0,1]
	s_delay_alu instid0(VALU_DEP_2) | instskip(NEXT) | instid1(VALU_DEP_1)
	v_pk_fma_f32 v[116:117], v[116:117], v[26:27], v[118:119] op_sel_hi:[1,1,0]
	v_mov_b32_e32 v121, v117
	ds_load_2addr_b64 v[116:119], v110 offset0:39 offset1:40
	v_pk_add_f32 v[20:21], v[20:21], v[120:121] neg_lo:[0,1] neg_hi:[0,1]
	s_wait_dscnt 0x0
	v_pk_mul_f32 v[120:121], v[116:117], v[106:107] op_sel:[0,1]
	s_delay_alu instid0(VALU_DEP_1) | instskip(SKIP_1) | instid1(VALU_DEP_1)
	v_pk_fma_f32 v[122:123], v[116:117], v[108:109], v[120:121] op_sel:[0,0,1] op_sel_hi:[1,1,0] neg_lo:[0,0,1] neg_hi:[0,0,1]
	v_pk_fma_f32 v[116:117], v[116:117], v[108:109], v[120:121] op_sel:[0,0,1] op_sel_hi:[1,0,0]
	v_mov_b32_e32 v123, v117
	v_pk_mul_f32 v[116:117], v[118:119], v[106:107] op_sel:[0,1]
	s_delay_alu instid0(VALU_DEP_1) | instskip(SKIP_1) | instid1(VALU_DEP_1)
	v_pk_fma_f32 v[120:121], v[118:119], v[108:109], v[116:117] op_sel:[0,0,1] op_sel_hi:[1,1,0] neg_lo:[0,0,1] neg_hi:[0,0,1]
	v_pk_fma_f32 v[116:117], v[118:119], v[108:109], v[116:117] op_sel:[0,0,1] op_sel_hi:[1,0,0]
	v_mov_b32_e32 v121, v117
	ds_load_2addr_b64 v[116:119], v110 offset0:41 offset1:42
	v_pk_add_f32 v[16:17], v[16:17], v[122:123] neg_lo:[0,1] neg_hi:[0,1]
	v_pk_add_f32 v[76:77], v[76:77], v[120:121] neg_lo:[0,1] neg_hi:[0,1]
	s_wait_dscnt 0x0
	v_pk_mul_f32 v[120:121], v[116:117], v[106:107] op_sel:[0,1]
	s_delay_alu instid0(VALU_DEP_1) | instskip(SKIP_1) | instid1(VALU_DEP_1)
	v_pk_fma_f32 v[122:123], v[116:117], v[108:109], v[120:121] op_sel:[0,0,1] op_sel_hi:[1,1,0] neg_lo:[0,0,1] neg_hi:[0,0,1]
	v_pk_fma_f32 v[116:117], v[116:117], v[108:109], v[120:121] op_sel:[0,0,1] op_sel_hi:[1,0,0]
	v_mov_b32_e32 v123, v117
	v_pk_mul_f32 v[116:117], v[118:119], v[106:107] op_sel:[0,1]
	s_delay_alu instid0(VALU_DEP_1) | instskip(SKIP_1) | instid1(VALU_DEP_1)
	v_pk_fma_f32 v[120:121], v[118:119], v[108:109], v[116:117] op_sel:[0,0,1] op_sel_hi:[1,1,0] neg_lo:[0,0,1] neg_hi:[0,0,1]
	v_pk_fma_f32 v[116:117], v[118:119], v[108:109], v[116:117] op_sel:[0,0,1] op_sel_hi:[1,0,0]
	v_mov_b32_e32 v121, v117
	ds_load_2addr_b64 v[116:119], v110 offset0:43 offset1:44
	v_pk_add_f32 v[10:11], v[10:11], v[122:123] neg_lo:[0,1] neg_hi:[0,1]
	v_pk_add_f32 v[12:13], v[12:13], v[120:121] neg_lo:[0,1] neg_hi:[0,1]
	s_wait_dscnt 0x0
	v_dual_mul_f32 v120, v117, v107 :: v_dual_mul_f32 v122, v117, v108
	s_delay_alu instid0(VALU_DEP_1) | instskip(NEXT) | instid1(VALU_DEP_2)
	v_pk_fma_f32 v[120:121], v[116:117], v[26:27], v[120:121] op_sel_hi:[1,1,0] neg_lo:[0,0,1] neg_hi:[0,0,1]
	v_pk_fma_f32 v[116:117], v[116:117], v[26:27], v[122:123] op_sel:[1,0,0] op_sel_hi:[0,1,0]
	s_delay_alu instid0(VALU_DEP_1) | instskip(SKIP_1) | instid1(VALU_DEP_2)
	v_mov_b32_e32 v121, v117
	v_pk_mul_f32 v[116:117], v[118:119], v[106:107] op_sel:[0,1]
	v_pk_add_f32 v[8:9], v[8:9], v[120:121] neg_lo:[0,1] neg_hi:[0,1]
	s_delay_alu instid0(VALU_DEP_2) | instskip(SKIP_1) | instid1(VALU_DEP_1)
	v_pk_fma_f32 v[120:121], v[118:119], v[108:109], v[116:117] op_sel:[0,0,1] op_sel_hi:[1,1,0] neg_lo:[0,0,1] neg_hi:[0,0,1]
	v_pk_fma_f32 v[116:117], v[118:119], v[108:109], v[116:117] op_sel:[0,0,1] op_sel_hi:[1,0,0]
	v_mov_b32_e32 v121, v117
	ds_load_2addr_b64 v[116:119], v110 offset0:45 offset1:46
	v_pk_add_f32 v[70:71], v[70:71], v[120:121] neg_lo:[0,1] neg_hi:[0,1]
	s_wait_dscnt 0x0
	v_pk_mul_f32 v[120:121], v[116:117], v[106:107] op_sel:[0,1]
	s_delay_alu instid0(VALU_DEP_1) | instskip(SKIP_1) | instid1(VALU_DEP_1)
	v_pk_fma_f32 v[122:123], v[116:117], v[108:109], v[120:121] op_sel:[0,0,1] op_sel_hi:[1,1,0] neg_lo:[0,0,1] neg_hi:[0,0,1]
	v_pk_fma_f32 v[116:117], v[116:117], v[108:109], v[120:121] op_sel:[0,0,1] op_sel_hi:[1,0,0]
	v_mov_b32_e32 v123, v117
	v_pk_mul_f32 v[116:117], v[118:119], v[106:107] op_sel:[0,1]
	s_delay_alu instid0(VALU_DEP_2) | instskip(NEXT) | instid1(VALU_DEP_2)
	v_pk_add_f32 v[6:7], v[6:7], v[122:123] neg_lo:[0,1] neg_hi:[0,1]
	v_pk_fma_f32 v[120:121], v[118:119], v[108:109], v[116:117] op_sel:[0,0,1] op_sel_hi:[1,1,0] neg_lo:[0,0,1] neg_hi:[0,0,1]
	v_pk_fma_f32 v[116:117], v[118:119], v[108:109], v[116:117] op_sel:[0,0,1] op_sel_hi:[1,0,0]
	s_delay_alu instid0(VALU_DEP_1) | instskip(SKIP_4) | instid1(VALU_DEP_1)
	v_mov_b32_e32 v121, v117
	ds_load_2addr_b64 v[116:119], v110 offset0:47 offset1:48
	v_pk_add_f32 v[46:47], v[46:47], v[120:121] neg_lo:[0,1] neg_hi:[0,1]
	s_wait_dscnt 0x0
	v_pk_mul_f32 v[120:121], v[116:117], v[106:107] op_sel:[0,1]
	v_pk_fma_f32 v[122:123], v[116:117], v[108:109], v[120:121] op_sel:[0,0,1] op_sel_hi:[1,1,0] neg_lo:[0,0,1] neg_hi:[0,0,1]
	v_pk_fma_f32 v[116:117], v[116:117], v[108:109], v[120:121] op_sel:[0,0,1] op_sel_hi:[1,0,0]
	v_dual_mul_f32 v120, v119, v107 :: v_dual_mov_b32 v116, v119
	s_delay_alu instid0(VALU_DEP_2) | instskip(NEXT) | instid1(VALU_DEP_2)
	v_dual_mov_b32 v123, v117 :: v_dual_mov_b32 v117, v118
	v_pk_fma_f32 v[120:121], v[118:119], v[26:27], v[120:121] op_sel_hi:[1,1,0] neg_lo:[0,0,1] neg_hi:[0,0,1]
	v_mul_f32_e32 v118, v119, v108
	s_delay_alu instid0(VALU_DEP_3) | instskip(NEXT) | instid1(VALU_DEP_2)
	v_pk_add_f32 v[28:29], v[28:29], v[122:123] neg_lo:[0,1] neg_hi:[0,1]
	v_pk_fma_f32 v[116:117], v[116:117], v[26:27], v[118:119] op_sel_hi:[1,1,0]
	s_delay_alu instid0(VALU_DEP_1) | instskip(SKIP_4) | instid1(VALU_DEP_1)
	v_mov_b32_e32 v121, v117
	ds_load_b64 v[116:117], v110 offset:392
	v_pk_add_f32 v[14:15], v[14:15], v[120:121] neg_lo:[0,1] neg_hi:[0,1]
	s_wait_dscnt 0x0
	v_pk_mul_f32 v[106:107], v[116:117], v[106:107] op_sel:[0,1]
	v_pk_fma_f32 v[118:119], v[116:117], v[108:109], v[106:107] op_sel:[0,0,1] op_sel_hi:[1,1,0] neg_lo:[0,0,1] neg_hi:[0,0,1]
	v_pk_fma_f32 v[106:107], v[116:117], v[108:109], v[106:107] op_sel:[0,0,1] op_sel_hi:[1,0,0]
	s_delay_alu instid0(VALU_DEP_1) | instskip(NEXT) | instid1(VALU_DEP_1)
	v_mov_b32_e32 v119, v107
	v_pk_add_f32 v[104:105], v[104:105], v[118:119] neg_lo:[0,1] neg_hi:[0,1]
.LBB98_734:
	s_or_b32 exec_lo, exec_lo, s0
	v_lshl_add_u32 v106, v114, 3, v110
	s_barrier_signal -1
	s_barrier_wait -1
	ds_store_b64 v106, v[22:23]
	s_wait_dscnt 0x0
	s_barrier_signal -1
	s_barrier_wait -1
	ds_load_b64 v[106:107], v110 offset:280
	v_mov_b32_e32 v108, 35
	s_cmp_lt_i32 s18, 37
	s_cbranch_scc1 .LBB98_737
; %bb.735:
	v_add3_u32 v109, v111, 0, 0x120
	v_mov_b32_e32 v108, 35
	s_mov_b32 s0, 36
.LBB98_736:                             ; =>This Inner Loop Header: Depth=1
	ds_load_b64 v[116:117], v109
	s_wait_dscnt 0x1
	v_cmp_gt_f32_e32 vcc_lo, 0, v106
	v_cndmask_b32_e64 v118, v106, -v106, vcc_lo
	v_cmp_gt_f32_e32 vcc_lo, 0, v107
	v_cndmask_b32_e64 v120, v107, -v107, vcc_lo
	s_wait_dscnt 0x0
	v_cmp_gt_f32_e32 vcc_lo, 0, v116
	v_cndmask_b32_e64 v119, v116, -v116, vcc_lo
	v_cmp_gt_f32_e32 vcc_lo, 0, v117
	v_cndmask_b32_e64 v121, v117, -v117, vcc_lo
	s_delay_alu instid0(VALU_DEP_1) | instskip(NEXT) | instid1(VALU_DEP_1)
	v_pk_add_f32 v[118:119], v[118:119], v[120:121]
	v_cmp_lt_f32_e32 vcc_lo, v118, v119
	v_dual_cndmask_b32 v106, v106, v116 :: v_dual_add_nc_u32 v109, 8, v109
	v_cndmask_b32_e32 v107, v107, v117, vcc_lo
	v_cndmask_b32_e64 v108, v108, s0, vcc_lo
	s_add_co_i32 s0, s0, 1
	s_delay_alu instid0(SALU_CYCLE_1)
	s_cmp_lg_u32 s18, s0
	s_cbranch_scc1 .LBB98_736
.LBB98_737:
	s_wait_dscnt 0x0
	v_cmp_eq_f32_e32 vcc_lo, 0, v106
	v_cmp_eq_f32_e64 s0, 0, v107
	s_and_b32 s0, vcc_lo, s0
	s_delay_alu instid0(SALU_CYCLE_1) | instskip(NEXT) | instid1(SALU_CYCLE_1)
	s_and_saveexec_b32 s1, s0
	s_xor_b32 s0, exec_lo, s1
; %bb.738:
	v_cmp_ne_u32_e32 vcc_lo, 0, v112
	v_cndmask_b32_e32 v112, 36, v112, vcc_lo
; %bb.739:
	s_and_not1_saveexec_b32 s0, s0
	s_cbranch_execz .LBB98_745
; %bb.740:
	v_cmp_ngt_f32_e64 s1, |v106|, |v107|
	s_and_saveexec_b32 s12, s1
	s_delay_alu instid0(SALU_CYCLE_1)
	s_xor_b32 s1, exec_lo, s12
	s_cbranch_execz .LBB98_742
; %bb.741:
	v_div_scale_f32 v109, null, v107, v107, v106
	v_div_scale_f32 v117, vcc_lo, v106, v107, v106
	s_delay_alu instid0(VALU_DEP_2) | instskip(SKIP_1) | instid1(TRANS32_DEP_1)
	v_rcp_f32_e32 v115, v109
	v_nop
	v_fma_f32 v116, -v109, v115, 1.0
	s_delay_alu instid0(VALU_DEP_1) | instskip(NEXT) | instid1(VALU_DEP_1)
	v_fmac_f32_e32 v115, v116, v115
	v_mul_f32_e32 v116, v117, v115
	s_delay_alu instid0(VALU_DEP_1) | instskip(NEXT) | instid1(VALU_DEP_1)
	v_fma_f32 v118, -v109, v116, v117
	v_fmac_f32_e32 v116, v118, v115
	s_delay_alu instid0(VALU_DEP_1) | instskip(NEXT) | instid1(VALU_DEP_1)
	v_fma_f32 v109, -v109, v116, v117
	v_div_fmas_f32 v109, v109, v115, v116
	s_delay_alu instid0(VALU_DEP_1) | instskip(NEXT) | instid1(VALU_DEP_1)
	v_div_fixup_f32 v109, v109, v107, v106
	v_fmac_f32_e32 v107, v106, v109
	s_delay_alu instid0(VALU_DEP_1) | instskip(SKIP_1) | instid1(VALU_DEP_2)
	v_div_scale_f32 v106, null, v107, v107, 1.0
	v_div_scale_f32 v117, vcc_lo, 1.0, v107, 1.0
	v_rcp_f32_e32 v115, v106
	v_nop
	s_delay_alu instid0(TRANS32_DEP_1) | instskip(NEXT) | instid1(VALU_DEP_1)
	v_fma_f32 v116, -v106, v115, 1.0
	v_fmac_f32_e32 v115, v116, v115
	s_delay_alu instid0(VALU_DEP_1) | instskip(NEXT) | instid1(VALU_DEP_1)
	v_mul_f32_e32 v116, v117, v115
	v_fma_f32 v118, -v106, v116, v117
	s_delay_alu instid0(VALU_DEP_1) | instskip(NEXT) | instid1(VALU_DEP_1)
	v_fmac_f32_e32 v116, v118, v115
	v_fma_f32 v106, -v106, v116, v117
	s_delay_alu instid0(VALU_DEP_1) | instskip(NEXT) | instid1(VALU_DEP_1)
	v_div_fmas_f32 v106, v106, v115, v116
	v_div_fixup_f32 v107, v106, v107, 1.0
	s_delay_alu instid0(VALU_DEP_1)
	v_mul_f32_e32 v106, v109, v107
	v_xor_b32_e32 v107, 0x80000000, v107
.LBB98_742:
	s_and_not1_saveexec_b32 s1, s1
	s_cbranch_execz .LBB98_744
; %bb.743:
	s_delay_alu instid0(VALU_DEP_1) | instskip(SKIP_1) | instid1(VALU_DEP_2)
	v_div_scale_f32 v109, null, v106, v106, v107
	v_div_scale_f32 v117, vcc_lo, v107, v106, v107
	v_rcp_f32_e32 v115, v109
	v_nop
	s_delay_alu instid0(TRANS32_DEP_1) | instskip(NEXT) | instid1(VALU_DEP_1)
	v_fma_f32 v116, -v109, v115, 1.0
	v_fmac_f32_e32 v115, v116, v115
	s_delay_alu instid0(VALU_DEP_1) | instskip(NEXT) | instid1(VALU_DEP_1)
	v_mul_f32_e32 v116, v117, v115
	v_fma_f32 v118, -v109, v116, v117
	s_delay_alu instid0(VALU_DEP_1) | instskip(NEXT) | instid1(VALU_DEP_1)
	v_fmac_f32_e32 v116, v118, v115
	v_fma_f32 v109, -v109, v116, v117
	s_delay_alu instid0(VALU_DEP_1) | instskip(NEXT) | instid1(VALU_DEP_1)
	v_div_fmas_f32 v109, v109, v115, v116
	v_div_fixup_f32 v109, v109, v106, v107
	s_delay_alu instid0(VALU_DEP_1) | instskip(NEXT) | instid1(VALU_DEP_1)
	v_fmac_f32_e32 v106, v107, v109
	v_div_scale_f32 v107, null, v106, v106, 1.0
	s_delay_alu instid0(VALU_DEP_1) | instskip(SKIP_1) | instid1(TRANS32_DEP_1)
	v_rcp_f32_e32 v115, v107
	v_nop
	v_fma_f32 v116, -v107, v115, 1.0
	s_delay_alu instid0(VALU_DEP_1) | instskip(SKIP_1) | instid1(VALU_DEP_1)
	v_fmac_f32_e32 v115, v116, v115
	v_div_scale_f32 v116, vcc_lo, 1.0, v106, 1.0
	v_mul_f32_e32 v117, v116, v115
	s_delay_alu instid0(VALU_DEP_1) | instskip(NEXT) | instid1(VALU_DEP_1)
	v_fma_f32 v118, -v107, v117, v116
	v_fmac_f32_e32 v117, v118, v115
	s_delay_alu instid0(VALU_DEP_1) | instskip(NEXT) | instid1(VALU_DEP_1)
	v_fma_f32 v107, -v107, v117, v116
	v_div_fmas_f32 v107, v107, v115, v117
	s_delay_alu instid0(VALU_DEP_1) | instskip(NEXT) | instid1(VALU_DEP_1)
	v_div_fixup_f32 v106, v107, v106, 1.0
	v_mul_f32_e64 v107, v109, -v106
.LBB98_744:
	s_or_b32 exec_lo, exec_lo, s1
.LBB98_745:
	s_delay_alu instid0(SALU_CYCLE_1) | instskip(NEXT) | instid1(SALU_CYCLE_1)
	s_or_b32 exec_lo, exec_lo, s0
	s_mov_b32 s0, exec_lo
	v_cmpx_ne_u32_e64 v114, v108
	s_xor_b32 s0, exec_lo, s0
	s_cbranch_execz .LBB98_751
; %bb.746:
	s_mov_b32 s1, exec_lo
	v_cmpx_eq_u32_e32 35, v114
	s_cbranch_execz .LBB98_750
; %bb.747:
	v_cmp_ne_u32_e32 vcc_lo, 35, v108
	s_xor_b32 s12, s16, -1
	s_delay_alu instid0(SALU_CYCLE_1) | instskip(NEXT) | instid1(SALU_CYCLE_1)
	s_and_b32 s13, s12, vcc_lo
	s_and_saveexec_b32 s12, s13
	s_cbranch_execz .LBB98_749
; %bb.748:
	v_ashrrev_i32_e32 v109, 31, v108
	s_delay_alu instid0(VALU_DEP_1)
	v_lshl_add_u64 v[114:115], v[108:109], 2, v[4:5]
	s_clause 0x1
	global_load_b32 v109, v[114:115], off
	global_load_b32 v113, v[4:5], off offset:140
	s_wait_loadcnt 0x1
	global_store_b32 v[4:5], v109, off offset:140
	s_wait_loadcnt 0x0
	global_store_b32 v[114:115], v113, off
.LBB98_749:
	s_wait_xcnt 0x0
	s_or_b32 exec_lo, exec_lo, s12
	v_dual_mov_b32 v114, v108 :: v_dual_mov_b32 v113, v108
.LBB98_750:
	s_or_b32 exec_lo, exec_lo, s1
.LBB98_751:
	s_and_not1_saveexec_b32 s0, s0
	s_cbranch_execz .LBB98_753
; %bb.752:
	v_dual_mov_b32 v108, v78 :: v_dual_mov_b32 v109, v79
	v_dual_mov_b32 v114, v18 :: v_dual_mov_b32 v115, v19
	ds_store_2addr_b64 v110, v[108:109], v[114:115] offset0:36 offset1:37
	v_dual_mov_b32 v108, v20 :: v_dual_mov_b32 v109, v21
	v_dual_mov_b32 v114, v16 :: v_dual_mov_b32 v115, v17
	ds_store_2addr_b64 v110, v[108:109], v[114:115] offset0:38 offset1:39
	;; [unrolled: 3-line block ×6, first 2 shown]
	v_dual_mov_b32 v108, v14 :: v_dual_mov_b32 v109, v15
	v_mov_b32_e32 v114, 35
	ds_store_2addr_b64 v110, v[108:109], v[104:105] offset0:48 offset1:49
.LBB98_753:
	s_or_b32 exec_lo, exec_lo, s0
	s_delay_alu instid0(SALU_CYCLE_1)
	s_mov_b32 s0, exec_lo
	s_wait_storecnt_dscnt 0x0
	s_barrier_signal -1
	s_barrier_wait -1
	v_cmpx_lt_i32_e32 35, v114
	s_cbranch_execz .LBB98_755
; %bb.754:
	v_pk_mul_f32 v[108:109], v[106:107], v[22:23] op_sel:[1,1] op_sel_hi:[0,1]
	s_delay_alu instid0(VALU_DEP_1)
	v_pk_fma_f32 v[116:117], v[106:107], v[22:23], v[108:109] op_sel_hi:[1,0,1] neg_lo:[0,0,1] neg_hi:[0,0,1]
	v_pk_fma_f32 v[118:119], v[106:107], v[22:23], v[108:109] op_sel_hi:[1,0,1]
	ds_load_2addr_b64 v[106:109], v110 offset0:36 offset1:37
	v_dual_mov_b32 v22, v116 :: v_dual_mov_b32 v23, v119
	s_wait_dscnt 0x0
	v_pk_mul_f32 v[120:121], v[106:107], v[118:119] op_sel:[0,1]
	s_delay_alu instid0(VALU_DEP_1) | instskip(SKIP_1) | instid1(VALU_DEP_1)
	v_pk_fma_f32 v[122:123], v[106:107], v[116:117], v[120:121] op_sel:[0,0,1] op_sel_hi:[1,1,0] neg_lo:[0,0,1] neg_hi:[0,0,1]
	v_pk_fma_f32 v[106:107], v[106:107], v[116:117], v[120:121] op_sel:[0,0,1] op_sel_hi:[1,0,0]
	v_mov_b32_e32 v123, v107
	v_pk_mul_f32 v[106:107], v[108:109], v[118:119] op_sel:[0,1]
	s_delay_alu instid0(VALU_DEP_1) | instskip(SKIP_1) | instid1(VALU_DEP_1)
	v_pk_fma_f32 v[120:121], v[108:109], v[116:117], v[106:107] op_sel:[0,0,1] op_sel_hi:[1,1,0] neg_lo:[0,0,1] neg_hi:[0,0,1]
	v_pk_fma_f32 v[106:107], v[108:109], v[116:117], v[106:107] op_sel:[0,0,1] op_sel_hi:[1,0,0]
	v_mov_b32_e32 v121, v107
	ds_load_2addr_b64 v[106:109], v110 offset0:38 offset1:39
	v_pk_add_f32 v[78:79], v[78:79], v[122:123] neg_lo:[0,1] neg_hi:[0,1]
	v_pk_add_f32 v[18:19], v[18:19], v[120:121] neg_lo:[0,1] neg_hi:[0,1]
	s_wait_dscnt 0x0
	v_pk_mul_f32 v[120:121], v[106:107], v[118:119] op_sel:[0,1]
	s_delay_alu instid0(VALU_DEP_1) | instskip(SKIP_2) | instid1(VALU_DEP_2)
	v_pk_fma_f32 v[122:123], v[106:107], v[116:117], v[120:121] op_sel:[0,0,1] op_sel_hi:[1,1,0] neg_lo:[0,0,1] neg_hi:[0,0,1]
	v_pk_fma_f32 v[106:107], v[106:107], v[116:117], v[120:121] op_sel:[0,0,1] op_sel_hi:[1,0,0]
	v_dual_mul_f32 v120, v109, v119 :: v_dual_mov_b32 v106, v109
	v_dual_mov_b32 v123, v107 :: v_dual_mov_b32 v107, v108
	s_delay_alu instid0(VALU_DEP_2) | instskip(SKIP_1) | instid1(VALU_DEP_3)
	v_pk_fma_f32 v[120:121], v[108:109], v[22:23], v[120:121] op_sel_hi:[1,1,0] neg_lo:[0,0,1] neg_hi:[0,0,1]
	v_mul_f32_e32 v108, v109, v116
	v_pk_add_f32 v[20:21], v[20:21], v[122:123] neg_lo:[0,1] neg_hi:[0,1]
	s_delay_alu instid0(VALU_DEP_2) | instskip(NEXT) | instid1(VALU_DEP_1)
	v_pk_fma_f32 v[106:107], v[106:107], v[22:23], v[108:109] op_sel_hi:[1,1,0]
	v_mov_b32_e32 v121, v107
	ds_load_2addr_b64 v[106:109], v110 offset0:40 offset1:41
	v_pk_add_f32 v[16:17], v[16:17], v[120:121] neg_lo:[0,1] neg_hi:[0,1]
	s_wait_dscnt 0x0
	v_pk_mul_f32 v[120:121], v[106:107], v[118:119] op_sel:[0,1]
	s_delay_alu instid0(VALU_DEP_1) | instskip(SKIP_1) | instid1(VALU_DEP_1)
	v_pk_fma_f32 v[122:123], v[106:107], v[116:117], v[120:121] op_sel:[0,0,1] op_sel_hi:[1,1,0] neg_lo:[0,0,1] neg_hi:[0,0,1]
	v_pk_fma_f32 v[106:107], v[106:107], v[116:117], v[120:121] op_sel:[0,0,1] op_sel_hi:[1,0,0]
	v_mov_b32_e32 v123, v107
	v_pk_mul_f32 v[106:107], v[108:109], v[118:119] op_sel:[0,1]
	s_delay_alu instid0(VALU_DEP_1) | instskip(SKIP_1) | instid1(VALU_DEP_1)
	v_pk_fma_f32 v[120:121], v[108:109], v[116:117], v[106:107] op_sel:[0,0,1] op_sel_hi:[1,1,0] neg_lo:[0,0,1] neg_hi:[0,0,1]
	v_pk_fma_f32 v[106:107], v[108:109], v[116:117], v[106:107] op_sel:[0,0,1] op_sel_hi:[1,0,0]
	v_mov_b32_e32 v121, v107
	ds_load_2addr_b64 v[106:109], v110 offset0:42 offset1:43
	v_pk_add_f32 v[76:77], v[76:77], v[122:123] neg_lo:[0,1] neg_hi:[0,1]
	v_pk_add_f32 v[10:11], v[10:11], v[120:121] neg_lo:[0,1] neg_hi:[0,1]
	s_wait_dscnt 0x0
	v_pk_mul_f32 v[120:121], v[106:107], v[118:119] op_sel:[0,1]
	s_delay_alu instid0(VALU_DEP_1) | instskip(SKIP_1) | instid1(VALU_DEP_1)
	v_pk_fma_f32 v[122:123], v[106:107], v[116:117], v[120:121] op_sel:[0,0,1] op_sel_hi:[1,1,0] neg_lo:[0,0,1] neg_hi:[0,0,1]
	v_pk_fma_f32 v[106:107], v[106:107], v[116:117], v[120:121] op_sel:[0,0,1] op_sel_hi:[1,0,0]
	v_mov_b32_e32 v123, v107
	v_pk_mul_f32 v[106:107], v[108:109], v[118:119] op_sel:[0,1]
	s_delay_alu instid0(VALU_DEP_1) | instskip(SKIP_1) | instid1(VALU_DEP_1)
	v_pk_fma_f32 v[120:121], v[108:109], v[116:117], v[106:107] op_sel:[0,0,1] op_sel_hi:[1,1,0] neg_lo:[0,0,1] neg_hi:[0,0,1]
	v_pk_fma_f32 v[106:107], v[108:109], v[116:117], v[106:107] op_sel:[0,0,1] op_sel_hi:[1,0,0]
	v_mov_b32_e32 v121, v107
	ds_load_2addr_b64 v[106:109], v110 offset0:44 offset1:45
	v_pk_add_f32 v[12:13], v[12:13], v[122:123] neg_lo:[0,1] neg_hi:[0,1]
	v_pk_add_f32 v[8:9], v[8:9], v[120:121] neg_lo:[0,1] neg_hi:[0,1]
	s_wait_dscnt 0x0
	v_dual_mul_f32 v120, v107, v119 :: v_dual_mul_f32 v122, v107, v116
	s_delay_alu instid0(VALU_DEP_1) | instskip(NEXT) | instid1(VALU_DEP_2)
	v_pk_fma_f32 v[120:121], v[106:107], v[22:23], v[120:121] op_sel_hi:[1,1,0] neg_lo:[0,0,1] neg_hi:[0,0,1]
	v_pk_fma_f32 v[106:107], v[106:107], v[22:23], v[122:123] op_sel:[1,0,0] op_sel_hi:[0,1,0]
	s_delay_alu instid0(VALU_DEP_1) | instskip(SKIP_1) | instid1(VALU_DEP_2)
	v_mov_b32_e32 v121, v107
	v_pk_mul_f32 v[106:107], v[108:109], v[118:119] op_sel:[0,1]
	v_pk_add_f32 v[70:71], v[70:71], v[120:121] neg_lo:[0,1] neg_hi:[0,1]
	s_delay_alu instid0(VALU_DEP_2) | instskip(SKIP_1) | instid1(VALU_DEP_1)
	v_pk_fma_f32 v[120:121], v[108:109], v[116:117], v[106:107] op_sel:[0,0,1] op_sel_hi:[1,1,0] neg_lo:[0,0,1] neg_hi:[0,0,1]
	v_pk_fma_f32 v[106:107], v[108:109], v[116:117], v[106:107] op_sel:[0,0,1] op_sel_hi:[1,0,0]
	v_mov_b32_e32 v121, v107
	ds_load_2addr_b64 v[106:109], v110 offset0:46 offset1:47
	v_pk_add_f32 v[6:7], v[6:7], v[120:121] neg_lo:[0,1] neg_hi:[0,1]
	s_wait_dscnt 0x0
	v_pk_mul_f32 v[120:121], v[106:107], v[118:119] op_sel:[0,1]
	s_delay_alu instid0(VALU_DEP_1) | instskip(SKIP_1) | instid1(VALU_DEP_1)
	v_pk_fma_f32 v[122:123], v[106:107], v[116:117], v[120:121] op_sel:[0,0,1] op_sel_hi:[1,1,0] neg_lo:[0,0,1] neg_hi:[0,0,1]
	v_pk_fma_f32 v[106:107], v[106:107], v[116:117], v[120:121] op_sel:[0,0,1] op_sel_hi:[1,0,0]
	v_mov_b32_e32 v123, v107
	v_pk_mul_f32 v[106:107], v[108:109], v[118:119] op_sel:[0,1]
	s_delay_alu instid0(VALU_DEP_2) | instskip(NEXT) | instid1(VALU_DEP_2)
	v_pk_add_f32 v[46:47], v[46:47], v[122:123] neg_lo:[0,1] neg_hi:[0,1]
	v_pk_fma_f32 v[120:121], v[108:109], v[116:117], v[106:107] op_sel:[0,0,1] op_sel_hi:[1,1,0] neg_lo:[0,0,1] neg_hi:[0,0,1]
	v_pk_fma_f32 v[106:107], v[108:109], v[116:117], v[106:107] op_sel:[0,0,1] op_sel_hi:[1,0,0]
	s_delay_alu instid0(VALU_DEP_1) | instskip(SKIP_4) | instid1(VALU_DEP_1)
	v_mov_b32_e32 v121, v107
	ds_load_2addr_b64 v[106:109], v110 offset0:48 offset1:49
	v_pk_add_f32 v[28:29], v[28:29], v[120:121] neg_lo:[0,1] neg_hi:[0,1]
	s_wait_dscnt 0x0
	v_pk_mul_f32 v[120:121], v[106:107], v[118:119] op_sel:[0,1]
	v_pk_fma_f32 v[122:123], v[106:107], v[116:117], v[120:121] op_sel:[0,0,1] op_sel_hi:[1,1,0] neg_lo:[0,0,1] neg_hi:[0,0,1]
	v_pk_fma_f32 v[106:107], v[106:107], v[116:117], v[120:121] op_sel:[0,0,1] op_sel_hi:[1,0,0]
	s_delay_alu instid0(VALU_DEP_1) | instskip(SKIP_1) | instid1(VALU_DEP_2)
	v_mov_b32_e32 v123, v107
	v_pk_mul_f32 v[106:107], v[108:109], v[118:119] op_sel:[0,1]
	v_pk_add_f32 v[14:15], v[14:15], v[122:123] neg_lo:[0,1] neg_hi:[0,1]
	s_delay_alu instid0(VALU_DEP_2) | instskip(SKIP_1) | instid1(VALU_DEP_1)
	v_pk_fma_f32 v[118:119], v[108:109], v[116:117], v[106:107] op_sel:[0,0,1] op_sel_hi:[1,1,0] neg_lo:[0,0,1] neg_hi:[0,0,1]
	v_pk_fma_f32 v[106:107], v[108:109], v[116:117], v[106:107] op_sel:[0,0,1] op_sel_hi:[1,0,0]
	v_mov_b32_e32 v119, v107
	s_delay_alu instid0(VALU_DEP_1)
	v_pk_add_f32 v[104:105], v[104:105], v[118:119] neg_lo:[0,1] neg_hi:[0,1]
.LBB98_755:
	s_or_b32 exec_lo, exec_lo, s0
	v_lshl_add_u32 v106, v114, 3, v110
	s_barrier_signal -1
	s_barrier_wait -1
	ds_store_b64 v106, v[78:79]
	s_wait_dscnt 0x0
	s_barrier_signal -1
	s_barrier_wait -1
	ds_load_b64 v[106:107], v110 offset:288
	v_mov_b32_e32 v108, 36
	s_cmp_lt_i32 s18, 38
	s_cbranch_scc1 .LBB98_758
; %bb.756:
	v_add3_u32 v109, v111, 0, 0x128
	v_mov_b32_e32 v108, 36
	s_mov_b32 s0, 37
.LBB98_757:                             ; =>This Inner Loop Header: Depth=1
	ds_load_b64 v[116:117], v109
	s_wait_dscnt 0x1
	v_cmp_gt_f32_e32 vcc_lo, 0, v106
	v_cndmask_b32_e64 v118, v106, -v106, vcc_lo
	v_cmp_gt_f32_e32 vcc_lo, 0, v107
	v_cndmask_b32_e64 v120, v107, -v107, vcc_lo
	s_wait_dscnt 0x0
	v_cmp_gt_f32_e32 vcc_lo, 0, v116
	v_cndmask_b32_e64 v119, v116, -v116, vcc_lo
	v_cmp_gt_f32_e32 vcc_lo, 0, v117
	v_cndmask_b32_e64 v121, v117, -v117, vcc_lo
	s_delay_alu instid0(VALU_DEP_1) | instskip(NEXT) | instid1(VALU_DEP_1)
	v_pk_add_f32 v[118:119], v[118:119], v[120:121]
	v_cmp_lt_f32_e32 vcc_lo, v118, v119
	v_dual_cndmask_b32 v106, v106, v116 :: v_dual_add_nc_u32 v109, 8, v109
	v_cndmask_b32_e32 v107, v107, v117, vcc_lo
	v_cndmask_b32_e64 v108, v108, s0, vcc_lo
	s_add_co_i32 s0, s0, 1
	s_delay_alu instid0(SALU_CYCLE_1)
	s_cmp_lg_u32 s18, s0
	s_cbranch_scc1 .LBB98_757
.LBB98_758:
	s_wait_dscnt 0x0
	v_cmp_eq_f32_e32 vcc_lo, 0, v106
	v_cmp_eq_f32_e64 s0, 0, v107
	s_and_b32 s0, vcc_lo, s0
	s_delay_alu instid0(SALU_CYCLE_1) | instskip(NEXT) | instid1(SALU_CYCLE_1)
	s_and_saveexec_b32 s1, s0
	s_xor_b32 s0, exec_lo, s1
; %bb.759:
	v_cmp_ne_u32_e32 vcc_lo, 0, v112
	v_cndmask_b32_e32 v112, 37, v112, vcc_lo
; %bb.760:
	s_and_not1_saveexec_b32 s0, s0
	s_cbranch_execz .LBB98_766
; %bb.761:
	v_cmp_ngt_f32_e64 s1, |v106|, |v107|
	s_and_saveexec_b32 s12, s1
	s_delay_alu instid0(SALU_CYCLE_1)
	s_xor_b32 s1, exec_lo, s12
	s_cbranch_execz .LBB98_763
; %bb.762:
	v_div_scale_f32 v109, null, v107, v107, v106
	v_div_scale_f32 v117, vcc_lo, v106, v107, v106
	s_delay_alu instid0(VALU_DEP_2) | instskip(SKIP_1) | instid1(TRANS32_DEP_1)
	v_rcp_f32_e32 v115, v109
	v_nop
	v_fma_f32 v116, -v109, v115, 1.0
	s_delay_alu instid0(VALU_DEP_1) | instskip(NEXT) | instid1(VALU_DEP_1)
	v_fmac_f32_e32 v115, v116, v115
	v_mul_f32_e32 v116, v117, v115
	s_delay_alu instid0(VALU_DEP_1) | instskip(NEXT) | instid1(VALU_DEP_1)
	v_fma_f32 v118, -v109, v116, v117
	v_fmac_f32_e32 v116, v118, v115
	s_delay_alu instid0(VALU_DEP_1) | instskip(NEXT) | instid1(VALU_DEP_1)
	v_fma_f32 v109, -v109, v116, v117
	v_div_fmas_f32 v109, v109, v115, v116
	s_delay_alu instid0(VALU_DEP_1) | instskip(NEXT) | instid1(VALU_DEP_1)
	v_div_fixup_f32 v109, v109, v107, v106
	v_fmac_f32_e32 v107, v106, v109
	s_delay_alu instid0(VALU_DEP_1) | instskip(SKIP_1) | instid1(VALU_DEP_2)
	v_div_scale_f32 v106, null, v107, v107, 1.0
	v_div_scale_f32 v117, vcc_lo, 1.0, v107, 1.0
	v_rcp_f32_e32 v115, v106
	v_nop
	s_delay_alu instid0(TRANS32_DEP_1) | instskip(NEXT) | instid1(VALU_DEP_1)
	v_fma_f32 v116, -v106, v115, 1.0
	v_fmac_f32_e32 v115, v116, v115
	s_delay_alu instid0(VALU_DEP_1) | instskip(NEXT) | instid1(VALU_DEP_1)
	v_mul_f32_e32 v116, v117, v115
	v_fma_f32 v118, -v106, v116, v117
	s_delay_alu instid0(VALU_DEP_1) | instskip(NEXT) | instid1(VALU_DEP_1)
	v_fmac_f32_e32 v116, v118, v115
	v_fma_f32 v106, -v106, v116, v117
	s_delay_alu instid0(VALU_DEP_1) | instskip(NEXT) | instid1(VALU_DEP_1)
	v_div_fmas_f32 v106, v106, v115, v116
	v_div_fixup_f32 v107, v106, v107, 1.0
	s_delay_alu instid0(VALU_DEP_1)
	v_mul_f32_e32 v106, v109, v107
	v_xor_b32_e32 v107, 0x80000000, v107
.LBB98_763:
	s_and_not1_saveexec_b32 s1, s1
	s_cbranch_execz .LBB98_765
; %bb.764:
	s_delay_alu instid0(VALU_DEP_1) | instskip(SKIP_1) | instid1(VALU_DEP_2)
	v_div_scale_f32 v109, null, v106, v106, v107
	v_div_scale_f32 v117, vcc_lo, v107, v106, v107
	v_rcp_f32_e32 v115, v109
	v_nop
	s_delay_alu instid0(TRANS32_DEP_1) | instskip(NEXT) | instid1(VALU_DEP_1)
	v_fma_f32 v116, -v109, v115, 1.0
	v_fmac_f32_e32 v115, v116, v115
	s_delay_alu instid0(VALU_DEP_1) | instskip(NEXT) | instid1(VALU_DEP_1)
	v_mul_f32_e32 v116, v117, v115
	v_fma_f32 v118, -v109, v116, v117
	s_delay_alu instid0(VALU_DEP_1) | instskip(NEXT) | instid1(VALU_DEP_1)
	v_fmac_f32_e32 v116, v118, v115
	v_fma_f32 v109, -v109, v116, v117
	s_delay_alu instid0(VALU_DEP_1) | instskip(NEXT) | instid1(VALU_DEP_1)
	v_div_fmas_f32 v109, v109, v115, v116
	v_div_fixup_f32 v109, v109, v106, v107
	s_delay_alu instid0(VALU_DEP_1) | instskip(NEXT) | instid1(VALU_DEP_1)
	v_fmac_f32_e32 v106, v107, v109
	v_div_scale_f32 v107, null, v106, v106, 1.0
	s_delay_alu instid0(VALU_DEP_1) | instskip(SKIP_1) | instid1(TRANS32_DEP_1)
	v_rcp_f32_e32 v115, v107
	v_nop
	v_fma_f32 v116, -v107, v115, 1.0
	s_delay_alu instid0(VALU_DEP_1) | instskip(SKIP_1) | instid1(VALU_DEP_1)
	v_fmac_f32_e32 v115, v116, v115
	v_div_scale_f32 v116, vcc_lo, 1.0, v106, 1.0
	v_mul_f32_e32 v117, v116, v115
	s_delay_alu instid0(VALU_DEP_1) | instskip(NEXT) | instid1(VALU_DEP_1)
	v_fma_f32 v118, -v107, v117, v116
	v_fmac_f32_e32 v117, v118, v115
	s_delay_alu instid0(VALU_DEP_1) | instskip(NEXT) | instid1(VALU_DEP_1)
	v_fma_f32 v107, -v107, v117, v116
	v_div_fmas_f32 v107, v107, v115, v117
	s_delay_alu instid0(VALU_DEP_1) | instskip(NEXT) | instid1(VALU_DEP_1)
	v_div_fixup_f32 v106, v107, v106, 1.0
	v_mul_f32_e64 v107, v109, -v106
.LBB98_765:
	s_or_b32 exec_lo, exec_lo, s1
.LBB98_766:
	s_delay_alu instid0(SALU_CYCLE_1) | instskip(NEXT) | instid1(SALU_CYCLE_1)
	s_or_b32 exec_lo, exec_lo, s0
	s_mov_b32 s0, exec_lo
	v_cmpx_ne_u32_e64 v114, v108
	s_xor_b32 s0, exec_lo, s0
	s_cbranch_execz .LBB98_772
; %bb.767:
	s_mov_b32 s1, exec_lo
	v_cmpx_eq_u32_e32 36, v114
	s_cbranch_execz .LBB98_771
; %bb.768:
	v_cmp_ne_u32_e32 vcc_lo, 36, v108
	s_xor_b32 s12, s16, -1
	s_delay_alu instid0(SALU_CYCLE_1) | instskip(NEXT) | instid1(SALU_CYCLE_1)
	s_and_b32 s13, s12, vcc_lo
	s_and_saveexec_b32 s12, s13
	s_cbranch_execz .LBB98_770
; %bb.769:
	v_ashrrev_i32_e32 v109, 31, v108
	s_delay_alu instid0(VALU_DEP_1)
	v_lshl_add_u64 v[114:115], v[108:109], 2, v[4:5]
	s_clause 0x1
	global_load_b32 v109, v[114:115], off
	global_load_b32 v113, v[4:5], off offset:144
	s_wait_loadcnt 0x1
	global_store_b32 v[4:5], v109, off offset:144
	s_wait_loadcnt 0x0
	global_store_b32 v[114:115], v113, off
.LBB98_770:
	s_wait_xcnt 0x0
	s_or_b32 exec_lo, exec_lo, s12
	v_dual_mov_b32 v114, v108 :: v_dual_mov_b32 v113, v108
.LBB98_771:
	s_or_b32 exec_lo, exec_lo, s1
.LBB98_772:
	s_and_not1_saveexec_b32 s0, s0
	s_cbranch_execz .LBB98_774
; %bb.773:
	v_mov_b32_e32 v114, 36
	ds_store_2addr_b64 v110, v[18:19], v[20:21] offset0:37 offset1:38
	ds_store_2addr_b64 v110, v[16:17], v[76:77] offset0:39 offset1:40
	;; [unrolled: 1-line block ×6, first 2 shown]
	ds_store_b64 v110, v[104:105] offset:392
.LBB98_774:
	s_or_b32 exec_lo, exec_lo, s0
	s_delay_alu instid0(SALU_CYCLE_1)
	s_mov_b32 s0, exec_lo
	s_wait_storecnt_dscnt 0x0
	s_barrier_signal -1
	s_barrier_wait -1
	v_cmpx_lt_i32_e32 36, v114
	s_cbranch_execz .LBB98_776
; %bb.775:
	v_pk_mul_f32 v[108:109], v[106:107], v[78:79] op_sel:[1,1] op_sel_hi:[0,1]
	s_delay_alu instid0(VALU_DEP_1)
	v_pk_fma_f32 v[116:117], v[106:107], v[78:79], v[108:109] op_sel_hi:[1,0,1] neg_lo:[0,0,1] neg_hi:[0,0,1]
	v_pk_fma_f32 v[118:119], v[106:107], v[78:79], v[108:109] op_sel_hi:[1,0,1]
	ds_load_2addr_b64 v[106:109], v110 offset0:37 offset1:38
	v_dual_mov_b32 v78, v116 :: v_dual_mov_b32 v79, v119
	s_wait_dscnt 0x0
	v_pk_mul_f32 v[120:121], v[106:107], v[118:119] op_sel:[0,1]
	s_delay_alu instid0(VALU_DEP_1) | instskip(SKIP_1) | instid1(VALU_DEP_1)
	v_pk_fma_f32 v[122:123], v[106:107], v[116:117], v[120:121] op_sel:[0,0,1] op_sel_hi:[1,1,0] neg_lo:[0,0,1] neg_hi:[0,0,1]
	v_pk_fma_f32 v[106:107], v[106:107], v[116:117], v[120:121] op_sel:[0,0,1] op_sel_hi:[1,0,0]
	v_mov_b32_e32 v123, v107
	v_pk_mul_f32 v[106:107], v[108:109], v[118:119] op_sel:[0,1]
	s_delay_alu instid0(VALU_DEP_1) | instskip(SKIP_1) | instid1(VALU_DEP_1)
	v_pk_fma_f32 v[120:121], v[108:109], v[116:117], v[106:107] op_sel:[0,0,1] op_sel_hi:[1,1,0] neg_lo:[0,0,1] neg_hi:[0,0,1]
	v_pk_fma_f32 v[106:107], v[108:109], v[116:117], v[106:107] op_sel:[0,0,1] op_sel_hi:[1,0,0]
	v_mov_b32_e32 v121, v107
	ds_load_2addr_b64 v[106:109], v110 offset0:39 offset1:40
	v_pk_add_f32 v[18:19], v[18:19], v[122:123] neg_lo:[0,1] neg_hi:[0,1]
	v_pk_add_f32 v[20:21], v[20:21], v[120:121] neg_lo:[0,1] neg_hi:[0,1]
	s_wait_dscnt 0x0
	v_pk_mul_f32 v[120:121], v[106:107], v[118:119] op_sel:[0,1]
	s_delay_alu instid0(VALU_DEP_1) | instskip(SKIP_2) | instid1(VALU_DEP_2)
	v_pk_fma_f32 v[122:123], v[106:107], v[116:117], v[120:121] op_sel:[0,0,1] op_sel_hi:[1,1,0] neg_lo:[0,0,1] neg_hi:[0,0,1]
	v_pk_fma_f32 v[106:107], v[106:107], v[116:117], v[120:121] op_sel:[0,0,1] op_sel_hi:[1,0,0]
	v_dual_mul_f32 v120, v109, v119 :: v_dual_mov_b32 v106, v109
	v_dual_mov_b32 v123, v107 :: v_dual_mov_b32 v107, v108
	s_delay_alu instid0(VALU_DEP_2) | instskip(SKIP_1) | instid1(VALU_DEP_3)
	v_pk_fma_f32 v[120:121], v[108:109], v[78:79], v[120:121] op_sel_hi:[1,1,0] neg_lo:[0,0,1] neg_hi:[0,0,1]
	v_mul_f32_e32 v108, v109, v116
	v_pk_add_f32 v[16:17], v[16:17], v[122:123] neg_lo:[0,1] neg_hi:[0,1]
	s_delay_alu instid0(VALU_DEP_2) | instskip(NEXT) | instid1(VALU_DEP_1)
	v_pk_fma_f32 v[106:107], v[106:107], v[78:79], v[108:109] op_sel_hi:[1,1,0]
	v_mov_b32_e32 v121, v107
	ds_load_2addr_b64 v[106:109], v110 offset0:41 offset1:42
	v_pk_add_f32 v[76:77], v[76:77], v[120:121] neg_lo:[0,1] neg_hi:[0,1]
	s_wait_dscnt 0x0
	v_pk_mul_f32 v[120:121], v[106:107], v[118:119] op_sel:[0,1]
	s_delay_alu instid0(VALU_DEP_1) | instskip(SKIP_1) | instid1(VALU_DEP_1)
	v_pk_fma_f32 v[122:123], v[106:107], v[116:117], v[120:121] op_sel:[0,0,1] op_sel_hi:[1,1,0] neg_lo:[0,0,1] neg_hi:[0,0,1]
	v_pk_fma_f32 v[106:107], v[106:107], v[116:117], v[120:121] op_sel:[0,0,1] op_sel_hi:[1,0,0]
	v_mov_b32_e32 v123, v107
	v_pk_mul_f32 v[106:107], v[108:109], v[118:119] op_sel:[0,1]
	s_delay_alu instid0(VALU_DEP_1) | instskip(SKIP_1) | instid1(VALU_DEP_1)
	v_pk_fma_f32 v[120:121], v[108:109], v[116:117], v[106:107] op_sel:[0,0,1] op_sel_hi:[1,1,0] neg_lo:[0,0,1] neg_hi:[0,0,1]
	v_pk_fma_f32 v[106:107], v[108:109], v[116:117], v[106:107] op_sel:[0,0,1] op_sel_hi:[1,0,0]
	v_mov_b32_e32 v121, v107
	ds_load_2addr_b64 v[106:109], v110 offset0:43 offset1:44
	v_pk_add_f32 v[10:11], v[10:11], v[122:123] neg_lo:[0,1] neg_hi:[0,1]
	v_pk_add_f32 v[12:13], v[12:13], v[120:121] neg_lo:[0,1] neg_hi:[0,1]
	s_wait_dscnt 0x0
	v_pk_mul_f32 v[120:121], v[106:107], v[118:119] op_sel:[0,1]
	s_delay_alu instid0(VALU_DEP_1) | instskip(SKIP_1) | instid1(VALU_DEP_1)
	v_pk_fma_f32 v[122:123], v[106:107], v[116:117], v[120:121] op_sel:[0,0,1] op_sel_hi:[1,1,0] neg_lo:[0,0,1] neg_hi:[0,0,1]
	v_pk_fma_f32 v[106:107], v[106:107], v[116:117], v[120:121] op_sel:[0,0,1] op_sel_hi:[1,0,0]
	v_mov_b32_e32 v123, v107
	v_pk_mul_f32 v[106:107], v[108:109], v[118:119] op_sel:[0,1]
	s_delay_alu instid0(VALU_DEP_1) | instskip(SKIP_1) | instid1(VALU_DEP_1)
	v_pk_fma_f32 v[120:121], v[108:109], v[116:117], v[106:107] op_sel:[0,0,1] op_sel_hi:[1,1,0] neg_lo:[0,0,1] neg_hi:[0,0,1]
	v_pk_fma_f32 v[106:107], v[108:109], v[116:117], v[106:107] op_sel:[0,0,1] op_sel_hi:[1,0,0]
	v_mov_b32_e32 v121, v107
	ds_load_2addr_b64 v[106:109], v110 offset0:45 offset1:46
	v_pk_add_f32 v[8:9], v[8:9], v[122:123] neg_lo:[0,1] neg_hi:[0,1]
	v_pk_add_f32 v[70:71], v[70:71], v[120:121] neg_lo:[0,1] neg_hi:[0,1]
	s_wait_dscnt 0x0
	v_dual_mul_f32 v120, v107, v119 :: v_dual_mul_f32 v122, v107, v116
	s_delay_alu instid0(VALU_DEP_1) | instskip(NEXT) | instid1(VALU_DEP_2)
	v_pk_fma_f32 v[120:121], v[106:107], v[78:79], v[120:121] op_sel_hi:[1,1,0] neg_lo:[0,0,1] neg_hi:[0,0,1]
	v_pk_fma_f32 v[106:107], v[106:107], v[78:79], v[122:123] op_sel:[1,0,0] op_sel_hi:[0,1,0]
	s_delay_alu instid0(VALU_DEP_1) | instskip(SKIP_1) | instid1(VALU_DEP_2)
	v_mov_b32_e32 v121, v107
	v_pk_mul_f32 v[106:107], v[108:109], v[118:119] op_sel:[0,1]
	v_pk_add_f32 v[6:7], v[6:7], v[120:121] neg_lo:[0,1] neg_hi:[0,1]
	s_delay_alu instid0(VALU_DEP_2) | instskip(SKIP_1) | instid1(VALU_DEP_1)
	v_pk_fma_f32 v[120:121], v[108:109], v[116:117], v[106:107] op_sel:[0,0,1] op_sel_hi:[1,1,0] neg_lo:[0,0,1] neg_hi:[0,0,1]
	v_pk_fma_f32 v[106:107], v[108:109], v[116:117], v[106:107] op_sel:[0,0,1] op_sel_hi:[1,0,0]
	v_mov_b32_e32 v121, v107
	ds_load_2addr_b64 v[106:109], v110 offset0:47 offset1:48
	v_pk_add_f32 v[46:47], v[46:47], v[120:121] neg_lo:[0,1] neg_hi:[0,1]
	s_wait_dscnt 0x0
	v_pk_mul_f32 v[120:121], v[106:107], v[118:119] op_sel:[0,1]
	s_delay_alu instid0(VALU_DEP_1) | instskip(SKIP_1) | instid1(VALU_DEP_1)
	v_pk_fma_f32 v[122:123], v[106:107], v[116:117], v[120:121] op_sel:[0,0,1] op_sel_hi:[1,1,0] neg_lo:[0,0,1] neg_hi:[0,0,1]
	v_pk_fma_f32 v[106:107], v[106:107], v[116:117], v[120:121] op_sel:[0,0,1] op_sel_hi:[1,0,0]
	v_mov_b32_e32 v123, v107
	v_pk_mul_f32 v[106:107], v[108:109], v[118:119] op_sel:[0,1]
	s_delay_alu instid0(VALU_DEP_2) | instskip(NEXT) | instid1(VALU_DEP_2)
	v_pk_add_f32 v[28:29], v[28:29], v[122:123] neg_lo:[0,1] neg_hi:[0,1]
	v_pk_fma_f32 v[120:121], v[108:109], v[116:117], v[106:107] op_sel:[0,0,1] op_sel_hi:[1,1,0] neg_lo:[0,0,1] neg_hi:[0,0,1]
	v_pk_fma_f32 v[106:107], v[108:109], v[116:117], v[106:107] op_sel:[0,0,1] op_sel_hi:[1,0,0]
	s_delay_alu instid0(VALU_DEP_1) | instskip(SKIP_4) | instid1(VALU_DEP_1)
	v_mov_b32_e32 v121, v107
	ds_load_b64 v[106:107], v110 offset:392
	v_pk_add_f32 v[14:15], v[14:15], v[120:121] neg_lo:[0,1] neg_hi:[0,1]
	s_wait_dscnt 0x0
	v_pk_mul_f32 v[108:109], v[106:107], v[118:119] op_sel:[0,1]
	v_pk_fma_f32 v[118:119], v[106:107], v[116:117], v[108:109] op_sel:[0,0,1] op_sel_hi:[1,1,0] neg_lo:[0,0,1] neg_hi:[0,0,1]
	v_pk_fma_f32 v[106:107], v[106:107], v[116:117], v[108:109] op_sel:[0,0,1] op_sel_hi:[1,0,0]
	s_delay_alu instid0(VALU_DEP_1) | instskip(NEXT) | instid1(VALU_DEP_1)
	v_mov_b32_e32 v119, v107
	v_pk_add_f32 v[104:105], v[104:105], v[118:119] neg_lo:[0,1] neg_hi:[0,1]
.LBB98_776:
	s_or_b32 exec_lo, exec_lo, s0
	v_lshl_add_u32 v106, v114, 3, v110
	s_barrier_signal -1
	s_barrier_wait -1
	ds_store_b64 v106, v[18:19]
	s_wait_dscnt 0x0
	s_barrier_signal -1
	s_barrier_wait -1
	ds_load_b64 v[106:107], v110 offset:296
	v_mov_b32_e32 v108, 37
	s_cmp_lt_i32 s18, 39
	s_cbranch_scc1 .LBB98_779
; %bb.777:
	v_add3_u32 v109, v111, 0, 0x130
	v_mov_b32_e32 v108, 37
	s_mov_b32 s0, 38
.LBB98_778:                             ; =>This Inner Loop Header: Depth=1
	ds_load_b64 v[116:117], v109
	s_wait_dscnt 0x1
	v_cmp_gt_f32_e32 vcc_lo, 0, v106
	v_cndmask_b32_e64 v118, v106, -v106, vcc_lo
	v_cmp_gt_f32_e32 vcc_lo, 0, v107
	v_cndmask_b32_e64 v120, v107, -v107, vcc_lo
	s_wait_dscnt 0x0
	v_cmp_gt_f32_e32 vcc_lo, 0, v116
	v_cndmask_b32_e64 v119, v116, -v116, vcc_lo
	v_cmp_gt_f32_e32 vcc_lo, 0, v117
	v_cndmask_b32_e64 v121, v117, -v117, vcc_lo
	s_delay_alu instid0(VALU_DEP_1) | instskip(NEXT) | instid1(VALU_DEP_1)
	v_pk_add_f32 v[118:119], v[118:119], v[120:121]
	v_cmp_lt_f32_e32 vcc_lo, v118, v119
	v_dual_cndmask_b32 v106, v106, v116 :: v_dual_add_nc_u32 v109, 8, v109
	v_cndmask_b32_e32 v107, v107, v117, vcc_lo
	v_cndmask_b32_e64 v108, v108, s0, vcc_lo
	s_add_co_i32 s0, s0, 1
	s_delay_alu instid0(SALU_CYCLE_1)
	s_cmp_lg_u32 s18, s0
	s_cbranch_scc1 .LBB98_778
.LBB98_779:
	s_wait_dscnt 0x0
	v_cmp_eq_f32_e32 vcc_lo, 0, v106
	v_cmp_eq_f32_e64 s0, 0, v107
	s_and_b32 s0, vcc_lo, s0
	s_delay_alu instid0(SALU_CYCLE_1) | instskip(NEXT) | instid1(SALU_CYCLE_1)
	s_and_saveexec_b32 s1, s0
	s_xor_b32 s0, exec_lo, s1
; %bb.780:
	v_cmp_ne_u32_e32 vcc_lo, 0, v112
	v_cndmask_b32_e32 v112, 38, v112, vcc_lo
; %bb.781:
	s_and_not1_saveexec_b32 s0, s0
	s_cbranch_execz .LBB98_787
; %bb.782:
	v_cmp_ngt_f32_e64 s1, |v106|, |v107|
	s_and_saveexec_b32 s12, s1
	s_delay_alu instid0(SALU_CYCLE_1)
	s_xor_b32 s1, exec_lo, s12
	s_cbranch_execz .LBB98_784
; %bb.783:
	v_div_scale_f32 v109, null, v107, v107, v106
	v_div_scale_f32 v117, vcc_lo, v106, v107, v106
	s_delay_alu instid0(VALU_DEP_2) | instskip(SKIP_1) | instid1(TRANS32_DEP_1)
	v_rcp_f32_e32 v115, v109
	v_nop
	v_fma_f32 v116, -v109, v115, 1.0
	s_delay_alu instid0(VALU_DEP_1) | instskip(NEXT) | instid1(VALU_DEP_1)
	v_fmac_f32_e32 v115, v116, v115
	v_mul_f32_e32 v116, v117, v115
	s_delay_alu instid0(VALU_DEP_1) | instskip(NEXT) | instid1(VALU_DEP_1)
	v_fma_f32 v118, -v109, v116, v117
	v_fmac_f32_e32 v116, v118, v115
	s_delay_alu instid0(VALU_DEP_1) | instskip(NEXT) | instid1(VALU_DEP_1)
	v_fma_f32 v109, -v109, v116, v117
	v_div_fmas_f32 v109, v109, v115, v116
	s_delay_alu instid0(VALU_DEP_1) | instskip(NEXT) | instid1(VALU_DEP_1)
	v_div_fixup_f32 v109, v109, v107, v106
	v_fmac_f32_e32 v107, v106, v109
	s_delay_alu instid0(VALU_DEP_1) | instskip(SKIP_1) | instid1(VALU_DEP_2)
	v_div_scale_f32 v106, null, v107, v107, 1.0
	v_div_scale_f32 v117, vcc_lo, 1.0, v107, 1.0
	v_rcp_f32_e32 v115, v106
	v_nop
	s_delay_alu instid0(TRANS32_DEP_1) | instskip(NEXT) | instid1(VALU_DEP_1)
	v_fma_f32 v116, -v106, v115, 1.0
	v_fmac_f32_e32 v115, v116, v115
	s_delay_alu instid0(VALU_DEP_1) | instskip(NEXT) | instid1(VALU_DEP_1)
	v_mul_f32_e32 v116, v117, v115
	v_fma_f32 v118, -v106, v116, v117
	s_delay_alu instid0(VALU_DEP_1) | instskip(NEXT) | instid1(VALU_DEP_1)
	v_fmac_f32_e32 v116, v118, v115
	v_fma_f32 v106, -v106, v116, v117
	s_delay_alu instid0(VALU_DEP_1) | instskip(NEXT) | instid1(VALU_DEP_1)
	v_div_fmas_f32 v106, v106, v115, v116
	v_div_fixup_f32 v107, v106, v107, 1.0
	s_delay_alu instid0(VALU_DEP_1)
	v_mul_f32_e32 v106, v109, v107
	v_xor_b32_e32 v107, 0x80000000, v107
.LBB98_784:
	s_and_not1_saveexec_b32 s1, s1
	s_cbranch_execz .LBB98_786
; %bb.785:
	s_delay_alu instid0(VALU_DEP_1) | instskip(SKIP_1) | instid1(VALU_DEP_2)
	v_div_scale_f32 v109, null, v106, v106, v107
	v_div_scale_f32 v117, vcc_lo, v107, v106, v107
	v_rcp_f32_e32 v115, v109
	v_nop
	s_delay_alu instid0(TRANS32_DEP_1) | instskip(NEXT) | instid1(VALU_DEP_1)
	v_fma_f32 v116, -v109, v115, 1.0
	v_fmac_f32_e32 v115, v116, v115
	s_delay_alu instid0(VALU_DEP_1) | instskip(NEXT) | instid1(VALU_DEP_1)
	v_mul_f32_e32 v116, v117, v115
	v_fma_f32 v118, -v109, v116, v117
	s_delay_alu instid0(VALU_DEP_1) | instskip(NEXT) | instid1(VALU_DEP_1)
	v_fmac_f32_e32 v116, v118, v115
	v_fma_f32 v109, -v109, v116, v117
	s_delay_alu instid0(VALU_DEP_1) | instskip(NEXT) | instid1(VALU_DEP_1)
	v_div_fmas_f32 v109, v109, v115, v116
	v_div_fixup_f32 v109, v109, v106, v107
	s_delay_alu instid0(VALU_DEP_1) | instskip(NEXT) | instid1(VALU_DEP_1)
	v_fmac_f32_e32 v106, v107, v109
	v_div_scale_f32 v107, null, v106, v106, 1.0
	s_delay_alu instid0(VALU_DEP_1) | instskip(SKIP_1) | instid1(TRANS32_DEP_1)
	v_rcp_f32_e32 v115, v107
	v_nop
	v_fma_f32 v116, -v107, v115, 1.0
	s_delay_alu instid0(VALU_DEP_1) | instskip(SKIP_1) | instid1(VALU_DEP_1)
	v_fmac_f32_e32 v115, v116, v115
	v_div_scale_f32 v116, vcc_lo, 1.0, v106, 1.0
	v_mul_f32_e32 v117, v116, v115
	s_delay_alu instid0(VALU_DEP_1) | instskip(NEXT) | instid1(VALU_DEP_1)
	v_fma_f32 v118, -v107, v117, v116
	v_fmac_f32_e32 v117, v118, v115
	s_delay_alu instid0(VALU_DEP_1) | instskip(NEXT) | instid1(VALU_DEP_1)
	v_fma_f32 v107, -v107, v117, v116
	v_div_fmas_f32 v107, v107, v115, v117
	s_delay_alu instid0(VALU_DEP_1) | instskip(NEXT) | instid1(VALU_DEP_1)
	v_div_fixup_f32 v106, v107, v106, 1.0
	v_mul_f32_e64 v107, v109, -v106
.LBB98_786:
	s_or_b32 exec_lo, exec_lo, s1
.LBB98_787:
	s_delay_alu instid0(SALU_CYCLE_1) | instskip(NEXT) | instid1(SALU_CYCLE_1)
	s_or_b32 exec_lo, exec_lo, s0
	s_mov_b32 s0, exec_lo
	v_cmpx_ne_u32_e64 v114, v108
	s_xor_b32 s0, exec_lo, s0
	s_cbranch_execz .LBB98_793
; %bb.788:
	s_mov_b32 s1, exec_lo
	v_cmpx_eq_u32_e32 37, v114
	s_cbranch_execz .LBB98_792
; %bb.789:
	v_cmp_ne_u32_e32 vcc_lo, 37, v108
	s_xor_b32 s12, s16, -1
	s_delay_alu instid0(SALU_CYCLE_1) | instskip(NEXT) | instid1(SALU_CYCLE_1)
	s_and_b32 s13, s12, vcc_lo
	s_and_saveexec_b32 s12, s13
	s_cbranch_execz .LBB98_791
; %bb.790:
	v_ashrrev_i32_e32 v109, 31, v108
	s_delay_alu instid0(VALU_DEP_1)
	v_lshl_add_u64 v[114:115], v[108:109], 2, v[4:5]
	s_clause 0x1
	global_load_b32 v109, v[114:115], off
	global_load_b32 v113, v[4:5], off offset:148
	s_wait_loadcnt 0x1
	global_store_b32 v[4:5], v109, off offset:148
	s_wait_loadcnt 0x0
	global_store_b32 v[114:115], v113, off
.LBB98_791:
	s_wait_xcnt 0x0
	s_or_b32 exec_lo, exec_lo, s12
	v_dual_mov_b32 v114, v108 :: v_dual_mov_b32 v113, v108
.LBB98_792:
	s_or_b32 exec_lo, exec_lo, s1
.LBB98_793:
	s_and_not1_saveexec_b32 s0, s0
	s_cbranch_execz .LBB98_795
; %bb.794:
	v_dual_mov_b32 v108, v20 :: v_dual_mov_b32 v109, v21
	v_dual_mov_b32 v114, v16 :: v_dual_mov_b32 v115, v17
	;; [unrolled: 1-line block ×4, first 2 shown]
	ds_store_2addr_b64 v110, v[108:109], v[114:115] offset0:38 offset1:39
	ds_store_2addr_b64 v110, v[116:117], v[118:119] offset0:40 offset1:41
	v_dual_mov_b32 v108, v12 :: v_dual_mov_b32 v109, v13
	v_dual_mov_b32 v116, v8 :: v_dual_mov_b32 v117, v9
	;; [unrolled: 1-line block ×7, first 2 shown]
	v_mov_b32_e32 v127, v15
	ds_store_2addr_b64 v110, v[108:109], v[116:117] offset0:42 offset1:43
	ds_store_2addr_b64 v110, v[118:119], v[120:121] offset0:44 offset1:45
	;; [unrolled: 1-line block ×4, first 2 shown]
.LBB98_795:
	s_or_b32 exec_lo, exec_lo, s0
	s_delay_alu instid0(SALU_CYCLE_1)
	s_mov_b32 s0, exec_lo
	s_wait_storecnt_dscnt 0x0
	s_barrier_signal -1
	s_barrier_wait -1
	v_cmpx_lt_i32_e32 37, v114
	s_cbranch_execz .LBB98_797
; %bb.796:
	v_pk_mul_f32 v[108:109], v[106:107], v[18:19] op_sel:[1,1] op_sel_hi:[0,1]
	s_delay_alu instid0(VALU_DEP_1)
	v_pk_fma_f32 v[116:117], v[106:107], v[18:19], v[108:109] op_sel_hi:[1,0,1] neg_lo:[0,0,1] neg_hi:[0,0,1]
	v_pk_fma_f32 v[118:119], v[106:107], v[18:19], v[108:109] op_sel_hi:[1,0,1]
	ds_load_2addr_b64 v[106:109], v110 offset0:38 offset1:39
	v_dual_mov_b32 v18, v116 :: v_dual_mov_b32 v19, v119
	s_wait_dscnt 0x0
	v_pk_mul_f32 v[120:121], v[106:107], v[118:119] op_sel:[0,1]
	s_delay_alu instid0(VALU_DEP_1) | instskip(SKIP_1) | instid1(VALU_DEP_1)
	v_pk_fma_f32 v[122:123], v[106:107], v[116:117], v[120:121] op_sel:[0,0,1] op_sel_hi:[1,1,0] neg_lo:[0,0,1] neg_hi:[0,0,1]
	v_pk_fma_f32 v[106:107], v[106:107], v[116:117], v[120:121] op_sel:[0,0,1] op_sel_hi:[1,0,0]
	v_mov_b32_e32 v123, v107
	v_pk_mul_f32 v[106:107], v[108:109], v[118:119] op_sel:[0,1]
	s_delay_alu instid0(VALU_DEP_1) | instskip(SKIP_1) | instid1(VALU_DEP_1)
	v_pk_fma_f32 v[120:121], v[108:109], v[116:117], v[106:107] op_sel:[0,0,1] op_sel_hi:[1,1,0] neg_lo:[0,0,1] neg_hi:[0,0,1]
	v_pk_fma_f32 v[106:107], v[108:109], v[116:117], v[106:107] op_sel:[0,0,1] op_sel_hi:[1,0,0]
	v_mov_b32_e32 v121, v107
	ds_load_2addr_b64 v[106:109], v110 offset0:40 offset1:41
	v_pk_add_f32 v[20:21], v[20:21], v[122:123] neg_lo:[0,1] neg_hi:[0,1]
	v_pk_add_f32 v[16:17], v[16:17], v[120:121] neg_lo:[0,1] neg_hi:[0,1]
	s_wait_dscnt 0x0
	v_pk_mul_f32 v[120:121], v[106:107], v[118:119] op_sel:[0,1]
	s_delay_alu instid0(VALU_DEP_1) | instskip(SKIP_2) | instid1(VALU_DEP_2)
	v_pk_fma_f32 v[122:123], v[106:107], v[116:117], v[120:121] op_sel:[0,0,1] op_sel_hi:[1,1,0] neg_lo:[0,0,1] neg_hi:[0,0,1]
	v_pk_fma_f32 v[106:107], v[106:107], v[116:117], v[120:121] op_sel:[0,0,1] op_sel_hi:[1,0,0]
	v_dual_mul_f32 v120, v109, v119 :: v_dual_mov_b32 v106, v109
	v_dual_mov_b32 v123, v107 :: v_dual_mov_b32 v107, v108
	s_delay_alu instid0(VALU_DEP_2) | instskip(SKIP_1) | instid1(VALU_DEP_3)
	v_pk_fma_f32 v[120:121], v[108:109], v[18:19], v[120:121] op_sel_hi:[1,1,0] neg_lo:[0,0,1] neg_hi:[0,0,1]
	v_mul_f32_e32 v108, v109, v116
	v_pk_add_f32 v[76:77], v[76:77], v[122:123] neg_lo:[0,1] neg_hi:[0,1]
	s_delay_alu instid0(VALU_DEP_2) | instskip(NEXT) | instid1(VALU_DEP_1)
	v_pk_fma_f32 v[106:107], v[106:107], v[18:19], v[108:109] op_sel_hi:[1,1,0]
	v_mov_b32_e32 v121, v107
	ds_load_2addr_b64 v[106:109], v110 offset0:42 offset1:43
	v_pk_add_f32 v[10:11], v[10:11], v[120:121] neg_lo:[0,1] neg_hi:[0,1]
	s_wait_dscnt 0x0
	v_pk_mul_f32 v[120:121], v[106:107], v[118:119] op_sel:[0,1]
	s_delay_alu instid0(VALU_DEP_1) | instskip(SKIP_1) | instid1(VALU_DEP_1)
	v_pk_fma_f32 v[122:123], v[106:107], v[116:117], v[120:121] op_sel:[0,0,1] op_sel_hi:[1,1,0] neg_lo:[0,0,1] neg_hi:[0,0,1]
	v_pk_fma_f32 v[106:107], v[106:107], v[116:117], v[120:121] op_sel:[0,0,1] op_sel_hi:[1,0,0]
	v_mov_b32_e32 v123, v107
	v_pk_mul_f32 v[106:107], v[108:109], v[118:119] op_sel:[0,1]
	s_delay_alu instid0(VALU_DEP_1) | instskip(SKIP_1) | instid1(VALU_DEP_1)
	v_pk_fma_f32 v[120:121], v[108:109], v[116:117], v[106:107] op_sel:[0,0,1] op_sel_hi:[1,1,0] neg_lo:[0,0,1] neg_hi:[0,0,1]
	v_pk_fma_f32 v[106:107], v[108:109], v[116:117], v[106:107] op_sel:[0,0,1] op_sel_hi:[1,0,0]
	v_mov_b32_e32 v121, v107
	ds_load_2addr_b64 v[106:109], v110 offset0:44 offset1:45
	v_pk_add_f32 v[12:13], v[12:13], v[122:123] neg_lo:[0,1] neg_hi:[0,1]
	v_pk_add_f32 v[8:9], v[8:9], v[120:121] neg_lo:[0,1] neg_hi:[0,1]
	s_wait_dscnt 0x0
	v_pk_mul_f32 v[120:121], v[106:107], v[118:119] op_sel:[0,1]
	s_delay_alu instid0(VALU_DEP_1) | instskip(SKIP_1) | instid1(VALU_DEP_1)
	v_pk_fma_f32 v[122:123], v[106:107], v[116:117], v[120:121] op_sel:[0,0,1] op_sel_hi:[1,1,0] neg_lo:[0,0,1] neg_hi:[0,0,1]
	v_pk_fma_f32 v[106:107], v[106:107], v[116:117], v[120:121] op_sel:[0,0,1] op_sel_hi:[1,0,0]
	v_mov_b32_e32 v123, v107
	v_pk_mul_f32 v[106:107], v[108:109], v[118:119] op_sel:[0,1]
	s_delay_alu instid0(VALU_DEP_1) | instskip(SKIP_1) | instid1(VALU_DEP_1)
	v_pk_fma_f32 v[120:121], v[108:109], v[116:117], v[106:107] op_sel:[0,0,1] op_sel_hi:[1,1,0] neg_lo:[0,0,1] neg_hi:[0,0,1]
	v_pk_fma_f32 v[106:107], v[108:109], v[116:117], v[106:107] op_sel:[0,0,1] op_sel_hi:[1,0,0]
	v_mov_b32_e32 v121, v107
	ds_load_2addr_b64 v[106:109], v110 offset0:46 offset1:47
	v_pk_add_f32 v[70:71], v[70:71], v[122:123] neg_lo:[0,1] neg_hi:[0,1]
	v_pk_add_f32 v[6:7], v[6:7], v[120:121] neg_lo:[0,1] neg_hi:[0,1]
	s_wait_dscnt 0x0
	v_dual_mul_f32 v120, v107, v119 :: v_dual_mul_f32 v122, v107, v116
	s_delay_alu instid0(VALU_DEP_1) | instskip(NEXT) | instid1(VALU_DEP_2)
	v_pk_fma_f32 v[120:121], v[106:107], v[18:19], v[120:121] op_sel_hi:[1,1,0] neg_lo:[0,0,1] neg_hi:[0,0,1]
	v_pk_fma_f32 v[106:107], v[106:107], v[18:19], v[122:123] op_sel:[1,0,0] op_sel_hi:[0,1,0]
	s_delay_alu instid0(VALU_DEP_1) | instskip(SKIP_1) | instid1(VALU_DEP_2)
	v_mov_b32_e32 v121, v107
	v_pk_mul_f32 v[106:107], v[108:109], v[118:119] op_sel:[0,1]
	v_pk_add_f32 v[46:47], v[46:47], v[120:121] neg_lo:[0,1] neg_hi:[0,1]
	s_delay_alu instid0(VALU_DEP_2) | instskip(SKIP_1) | instid1(VALU_DEP_1)
	v_pk_fma_f32 v[120:121], v[108:109], v[116:117], v[106:107] op_sel:[0,0,1] op_sel_hi:[1,1,0] neg_lo:[0,0,1] neg_hi:[0,0,1]
	v_pk_fma_f32 v[106:107], v[108:109], v[116:117], v[106:107] op_sel:[0,0,1] op_sel_hi:[1,0,0]
	v_mov_b32_e32 v121, v107
	ds_load_2addr_b64 v[106:109], v110 offset0:48 offset1:49
	v_pk_add_f32 v[28:29], v[28:29], v[120:121] neg_lo:[0,1] neg_hi:[0,1]
	s_wait_dscnt 0x0
	v_pk_mul_f32 v[120:121], v[106:107], v[118:119] op_sel:[0,1]
	v_mul_f32_e32 v118, v109, v119
	s_delay_alu instid0(VALU_DEP_2) | instskip(SKIP_2) | instid1(VALU_DEP_4)
	v_pk_fma_f32 v[122:123], v[106:107], v[116:117], v[120:121] op_sel:[0,0,1] op_sel_hi:[1,1,0] neg_lo:[0,0,1] neg_hi:[0,0,1]
	v_pk_fma_f32 v[106:107], v[106:107], v[116:117], v[120:121] op_sel:[0,0,1] op_sel_hi:[1,0,0]
	v_mov_b32_e32 v106, v109
	v_pk_fma_f32 v[118:119], v[108:109], v[18:19], v[118:119] op_sel_hi:[1,1,0] neg_lo:[0,0,1] neg_hi:[0,0,1]
	s_delay_alu instid0(VALU_DEP_3) | instskip(SKIP_1) | instid1(VALU_DEP_2)
	v_dual_mov_b32 v123, v107 :: v_dual_mov_b32 v107, v108
	v_mul_f32_e32 v108, v109, v116
	v_pk_add_f32 v[14:15], v[14:15], v[122:123] neg_lo:[0,1] neg_hi:[0,1]
	s_delay_alu instid0(VALU_DEP_2) | instskip(NEXT) | instid1(VALU_DEP_1)
	v_pk_fma_f32 v[106:107], v[106:107], v[18:19], v[108:109] op_sel_hi:[1,1,0]
	v_mov_b32_e32 v119, v107
	s_delay_alu instid0(VALU_DEP_1)
	v_pk_add_f32 v[104:105], v[104:105], v[118:119] neg_lo:[0,1] neg_hi:[0,1]
.LBB98_797:
	s_or_b32 exec_lo, exec_lo, s0
	v_lshl_add_u32 v106, v114, 3, v110
	s_barrier_signal -1
	s_barrier_wait -1
	ds_store_b64 v106, v[20:21]
	s_wait_dscnt 0x0
	s_barrier_signal -1
	s_barrier_wait -1
	ds_load_b64 v[106:107], v110 offset:304
	v_mov_b32_e32 v108, 38
	s_cmp_lt_i32 s18, 40
	s_cbranch_scc1 .LBB98_800
; %bb.798:
	v_add3_u32 v109, v111, 0, 0x138
	v_mov_b32_e32 v108, 38
	s_mov_b32 s0, 39
.LBB98_799:                             ; =>This Inner Loop Header: Depth=1
	ds_load_b64 v[116:117], v109
	s_wait_dscnt 0x1
	v_cmp_gt_f32_e32 vcc_lo, 0, v106
	v_cndmask_b32_e64 v118, v106, -v106, vcc_lo
	v_cmp_gt_f32_e32 vcc_lo, 0, v107
	v_cndmask_b32_e64 v120, v107, -v107, vcc_lo
	s_wait_dscnt 0x0
	v_cmp_gt_f32_e32 vcc_lo, 0, v116
	v_cndmask_b32_e64 v119, v116, -v116, vcc_lo
	v_cmp_gt_f32_e32 vcc_lo, 0, v117
	v_cndmask_b32_e64 v121, v117, -v117, vcc_lo
	s_delay_alu instid0(VALU_DEP_1) | instskip(NEXT) | instid1(VALU_DEP_1)
	v_pk_add_f32 v[118:119], v[118:119], v[120:121]
	v_cmp_lt_f32_e32 vcc_lo, v118, v119
	v_dual_cndmask_b32 v106, v106, v116 :: v_dual_add_nc_u32 v109, 8, v109
	v_cndmask_b32_e32 v107, v107, v117, vcc_lo
	v_cndmask_b32_e64 v108, v108, s0, vcc_lo
	s_add_co_i32 s0, s0, 1
	s_delay_alu instid0(SALU_CYCLE_1)
	s_cmp_lg_u32 s18, s0
	s_cbranch_scc1 .LBB98_799
.LBB98_800:
	s_wait_dscnt 0x0
	v_cmp_eq_f32_e32 vcc_lo, 0, v106
	v_cmp_eq_f32_e64 s0, 0, v107
	s_and_b32 s0, vcc_lo, s0
	s_delay_alu instid0(SALU_CYCLE_1) | instskip(NEXT) | instid1(SALU_CYCLE_1)
	s_and_saveexec_b32 s1, s0
	s_xor_b32 s0, exec_lo, s1
; %bb.801:
	v_cmp_ne_u32_e32 vcc_lo, 0, v112
	v_cndmask_b32_e32 v112, 39, v112, vcc_lo
; %bb.802:
	s_and_not1_saveexec_b32 s0, s0
	s_cbranch_execz .LBB98_808
; %bb.803:
	v_cmp_ngt_f32_e64 s1, |v106|, |v107|
	s_and_saveexec_b32 s12, s1
	s_delay_alu instid0(SALU_CYCLE_1)
	s_xor_b32 s1, exec_lo, s12
	s_cbranch_execz .LBB98_805
; %bb.804:
	v_div_scale_f32 v109, null, v107, v107, v106
	v_div_scale_f32 v117, vcc_lo, v106, v107, v106
	s_delay_alu instid0(VALU_DEP_2) | instskip(SKIP_1) | instid1(TRANS32_DEP_1)
	v_rcp_f32_e32 v115, v109
	v_nop
	v_fma_f32 v116, -v109, v115, 1.0
	s_delay_alu instid0(VALU_DEP_1) | instskip(NEXT) | instid1(VALU_DEP_1)
	v_fmac_f32_e32 v115, v116, v115
	v_mul_f32_e32 v116, v117, v115
	s_delay_alu instid0(VALU_DEP_1) | instskip(NEXT) | instid1(VALU_DEP_1)
	v_fma_f32 v118, -v109, v116, v117
	v_fmac_f32_e32 v116, v118, v115
	s_delay_alu instid0(VALU_DEP_1) | instskip(NEXT) | instid1(VALU_DEP_1)
	v_fma_f32 v109, -v109, v116, v117
	v_div_fmas_f32 v109, v109, v115, v116
	s_delay_alu instid0(VALU_DEP_1) | instskip(NEXT) | instid1(VALU_DEP_1)
	v_div_fixup_f32 v109, v109, v107, v106
	v_fmac_f32_e32 v107, v106, v109
	s_delay_alu instid0(VALU_DEP_1) | instskip(SKIP_1) | instid1(VALU_DEP_2)
	v_div_scale_f32 v106, null, v107, v107, 1.0
	v_div_scale_f32 v117, vcc_lo, 1.0, v107, 1.0
	v_rcp_f32_e32 v115, v106
	v_nop
	s_delay_alu instid0(TRANS32_DEP_1) | instskip(NEXT) | instid1(VALU_DEP_1)
	v_fma_f32 v116, -v106, v115, 1.0
	v_fmac_f32_e32 v115, v116, v115
	s_delay_alu instid0(VALU_DEP_1) | instskip(NEXT) | instid1(VALU_DEP_1)
	v_mul_f32_e32 v116, v117, v115
	v_fma_f32 v118, -v106, v116, v117
	s_delay_alu instid0(VALU_DEP_1) | instskip(NEXT) | instid1(VALU_DEP_1)
	v_fmac_f32_e32 v116, v118, v115
	v_fma_f32 v106, -v106, v116, v117
	s_delay_alu instid0(VALU_DEP_1) | instskip(NEXT) | instid1(VALU_DEP_1)
	v_div_fmas_f32 v106, v106, v115, v116
	v_div_fixup_f32 v107, v106, v107, 1.0
	s_delay_alu instid0(VALU_DEP_1)
	v_mul_f32_e32 v106, v109, v107
	v_xor_b32_e32 v107, 0x80000000, v107
.LBB98_805:
	s_and_not1_saveexec_b32 s1, s1
	s_cbranch_execz .LBB98_807
; %bb.806:
	s_delay_alu instid0(VALU_DEP_1) | instskip(SKIP_1) | instid1(VALU_DEP_2)
	v_div_scale_f32 v109, null, v106, v106, v107
	v_div_scale_f32 v117, vcc_lo, v107, v106, v107
	v_rcp_f32_e32 v115, v109
	v_nop
	s_delay_alu instid0(TRANS32_DEP_1) | instskip(NEXT) | instid1(VALU_DEP_1)
	v_fma_f32 v116, -v109, v115, 1.0
	v_fmac_f32_e32 v115, v116, v115
	s_delay_alu instid0(VALU_DEP_1) | instskip(NEXT) | instid1(VALU_DEP_1)
	v_mul_f32_e32 v116, v117, v115
	v_fma_f32 v118, -v109, v116, v117
	s_delay_alu instid0(VALU_DEP_1) | instskip(NEXT) | instid1(VALU_DEP_1)
	v_fmac_f32_e32 v116, v118, v115
	v_fma_f32 v109, -v109, v116, v117
	s_delay_alu instid0(VALU_DEP_1) | instskip(NEXT) | instid1(VALU_DEP_1)
	v_div_fmas_f32 v109, v109, v115, v116
	v_div_fixup_f32 v109, v109, v106, v107
	s_delay_alu instid0(VALU_DEP_1) | instskip(NEXT) | instid1(VALU_DEP_1)
	v_fmac_f32_e32 v106, v107, v109
	v_div_scale_f32 v107, null, v106, v106, 1.0
	s_delay_alu instid0(VALU_DEP_1) | instskip(SKIP_1) | instid1(TRANS32_DEP_1)
	v_rcp_f32_e32 v115, v107
	v_nop
	v_fma_f32 v116, -v107, v115, 1.0
	s_delay_alu instid0(VALU_DEP_1) | instskip(SKIP_1) | instid1(VALU_DEP_1)
	v_fmac_f32_e32 v115, v116, v115
	v_div_scale_f32 v116, vcc_lo, 1.0, v106, 1.0
	v_mul_f32_e32 v117, v116, v115
	s_delay_alu instid0(VALU_DEP_1) | instskip(NEXT) | instid1(VALU_DEP_1)
	v_fma_f32 v118, -v107, v117, v116
	v_fmac_f32_e32 v117, v118, v115
	s_delay_alu instid0(VALU_DEP_1) | instskip(NEXT) | instid1(VALU_DEP_1)
	v_fma_f32 v107, -v107, v117, v116
	v_div_fmas_f32 v107, v107, v115, v117
	s_delay_alu instid0(VALU_DEP_1) | instskip(NEXT) | instid1(VALU_DEP_1)
	v_div_fixup_f32 v106, v107, v106, 1.0
	v_mul_f32_e64 v107, v109, -v106
.LBB98_807:
	s_or_b32 exec_lo, exec_lo, s1
.LBB98_808:
	s_delay_alu instid0(SALU_CYCLE_1) | instskip(NEXT) | instid1(SALU_CYCLE_1)
	s_or_b32 exec_lo, exec_lo, s0
	s_mov_b32 s0, exec_lo
	v_cmpx_ne_u32_e64 v114, v108
	s_xor_b32 s0, exec_lo, s0
	s_cbranch_execz .LBB98_814
; %bb.809:
	s_mov_b32 s1, exec_lo
	v_cmpx_eq_u32_e32 38, v114
	s_cbranch_execz .LBB98_813
; %bb.810:
	v_cmp_ne_u32_e32 vcc_lo, 38, v108
	s_xor_b32 s12, s16, -1
	s_delay_alu instid0(SALU_CYCLE_1) | instskip(NEXT) | instid1(SALU_CYCLE_1)
	s_and_b32 s13, s12, vcc_lo
	s_and_saveexec_b32 s12, s13
	s_cbranch_execz .LBB98_812
; %bb.811:
	v_ashrrev_i32_e32 v109, 31, v108
	s_delay_alu instid0(VALU_DEP_1)
	v_lshl_add_u64 v[114:115], v[108:109], 2, v[4:5]
	s_clause 0x1
	global_load_b32 v109, v[114:115], off
	global_load_b32 v113, v[4:5], off offset:152
	s_wait_loadcnt 0x1
	global_store_b32 v[4:5], v109, off offset:152
	s_wait_loadcnt 0x0
	global_store_b32 v[114:115], v113, off
.LBB98_812:
	s_wait_xcnt 0x0
	s_or_b32 exec_lo, exec_lo, s12
	v_dual_mov_b32 v114, v108 :: v_dual_mov_b32 v113, v108
.LBB98_813:
	s_or_b32 exec_lo, exec_lo, s1
.LBB98_814:
	s_and_not1_saveexec_b32 s0, s0
	s_cbranch_execz .LBB98_816
; %bb.815:
	v_mov_b32_e32 v114, 38
	ds_store_2addr_b64 v110, v[16:17], v[76:77] offset0:39 offset1:40
	ds_store_2addr_b64 v110, v[10:11], v[12:13] offset0:41 offset1:42
	ds_store_2addr_b64 v110, v[8:9], v[70:71] offset0:43 offset1:44
	ds_store_2addr_b64 v110, v[6:7], v[46:47] offset0:45 offset1:46
	ds_store_2addr_b64 v110, v[28:29], v[14:15] offset0:47 offset1:48
	ds_store_b64 v110, v[104:105] offset:392
.LBB98_816:
	s_or_b32 exec_lo, exec_lo, s0
	s_delay_alu instid0(SALU_CYCLE_1)
	s_mov_b32 s0, exec_lo
	s_wait_storecnt_dscnt 0x0
	s_barrier_signal -1
	s_barrier_wait -1
	v_cmpx_lt_i32_e32 38, v114
	s_cbranch_execz .LBB98_818
; %bb.817:
	v_pk_mul_f32 v[108:109], v[106:107], v[20:21] op_sel:[1,1] op_sel_hi:[0,1]
	s_delay_alu instid0(VALU_DEP_1)
	v_pk_fma_f32 v[116:117], v[106:107], v[20:21], v[108:109] op_sel_hi:[1,0,1] neg_lo:[0,0,1] neg_hi:[0,0,1]
	v_pk_fma_f32 v[118:119], v[106:107], v[20:21], v[108:109] op_sel_hi:[1,0,1]
	ds_load_2addr_b64 v[106:109], v110 offset0:39 offset1:40
	v_dual_mov_b32 v20, v116 :: v_dual_mov_b32 v21, v119
	s_wait_dscnt 0x0
	v_pk_mul_f32 v[120:121], v[106:107], v[118:119] op_sel:[0,1]
	s_delay_alu instid0(VALU_DEP_1) | instskip(SKIP_1) | instid1(VALU_DEP_1)
	v_pk_fma_f32 v[122:123], v[106:107], v[116:117], v[120:121] op_sel:[0,0,1] op_sel_hi:[1,1,0] neg_lo:[0,0,1] neg_hi:[0,0,1]
	v_pk_fma_f32 v[106:107], v[106:107], v[116:117], v[120:121] op_sel:[0,0,1] op_sel_hi:[1,0,0]
	v_mov_b32_e32 v123, v107
	v_pk_mul_f32 v[106:107], v[108:109], v[118:119] op_sel:[0,1]
	s_delay_alu instid0(VALU_DEP_1) | instskip(SKIP_1) | instid1(VALU_DEP_1)
	v_pk_fma_f32 v[120:121], v[108:109], v[116:117], v[106:107] op_sel:[0,0,1] op_sel_hi:[1,1,0] neg_lo:[0,0,1] neg_hi:[0,0,1]
	v_pk_fma_f32 v[106:107], v[108:109], v[116:117], v[106:107] op_sel:[0,0,1] op_sel_hi:[1,0,0]
	v_mov_b32_e32 v121, v107
	ds_load_2addr_b64 v[106:109], v110 offset0:41 offset1:42
	v_pk_add_f32 v[16:17], v[16:17], v[122:123] neg_lo:[0,1] neg_hi:[0,1]
	v_pk_add_f32 v[76:77], v[76:77], v[120:121] neg_lo:[0,1] neg_hi:[0,1]
	s_wait_dscnt 0x0
	v_pk_mul_f32 v[120:121], v[106:107], v[118:119] op_sel:[0,1]
	s_delay_alu instid0(VALU_DEP_1) | instskip(SKIP_2) | instid1(VALU_DEP_2)
	v_pk_fma_f32 v[122:123], v[106:107], v[116:117], v[120:121] op_sel:[0,0,1] op_sel_hi:[1,1,0] neg_lo:[0,0,1] neg_hi:[0,0,1]
	v_pk_fma_f32 v[106:107], v[106:107], v[116:117], v[120:121] op_sel:[0,0,1] op_sel_hi:[1,0,0]
	v_dual_mul_f32 v120, v109, v119 :: v_dual_mov_b32 v106, v109
	v_dual_mov_b32 v123, v107 :: v_dual_mov_b32 v107, v108
	s_delay_alu instid0(VALU_DEP_2) | instskip(SKIP_1) | instid1(VALU_DEP_3)
	v_pk_fma_f32 v[120:121], v[108:109], v[20:21], v[120:121] op_sel_hi:[1,1,0] neg_lo:[0,0,1] neg_hi:[0,0,1]
	v_mul_f32_e32 v108, v109, v116
	v_pk_add_f32 v[10:11], v[10:11], v[122:123] neg_lo:[0,1] neg_hi:[0,1]
	s_delay_alu instid0(VALU_DEP_2) | instskip(NEXT) | instid1(VALU_DEP_1)
	v_pk_fma_f32 v[106:107], v[106:107], v[20:21], v[108:109] op_sel_hi:[1,1,0]
	v_mov_b32_e32 v121, v107
	ds_load_2addr_b64 v[106:109], v110 offset0:43 offset1:44
	v_pk_add_f32 v[12:13], v[12:13], v[120:121] neg_lo:[0,1] neg_hi:[0,1]
	s_wait_dscnt 0x0
	v_pk_mul_f32 v[120:121], v[106:107], v[118:119] op_sel:[0,1]
	s_delay_alu instid0(VALU_DEP_1) | instskip(SKIP_1) | instid1(VALU_DEP_1)
	v_pk_fma_f32 v[122:123], v[106:107], v[116:117], v[120:121] op_sel:[0,0,1] op_sel_hi:[1,1,0] neg_lo:[0,0,1] neg_hi:[0,0,1]
	v_pk_fma_f32 v[106:107], v[106:107], v[116:117], v[120:121] op_sel:[0,0,1] op_sel_hi:[1,0,0]
	v_mov_b32_e32 v123, v107
	v_pk_mul_f32 v[106:107], v[108:109], v[118:119] op_sel:[0,1]
	s_delay_alu instid0(VALU_DEP_1) | instskip(SKIP_1) | instid1(VALU_DEP_1)
	v_pk_fma_f32 v[120:121], v[108:109], v[116:117], v[106:107] op_sel:[0,0,1] op_sel_hi:[1,1,0] neg_lo:[0,0,1] neg_hi:[0,0,1]
	v_pk_fma_f32 v[106:107], v[108:109], v[116:117], v[106:107] op_sel:[0,0,1] op_sel_hi:[1,0,0]
	v_mov_b32_e32 v121, v107
	ds_load_2addr_b64 v[106:109], v110 offset0:45 offset1:46
	v_pk_add_f32 v[8:9], v[8:9], v[122:123] neg_lo:[0,1] neg_hi:[0,1]
	v_pk_add_f32 v[70:71], v[70:71], v[120:121] neg_lo:[0,1] neg_hi:[0,1]
	s_wait_dscnt 0x0
	v_pk_mul_f32 v[120:121], v[106:107], v[118:119] op_sel:[0,1]
	s_delay_alu instid0(VALU_DEP_1) | instskip(SKIP_1) | instid1(VALU_DEP_1)
	v_pk_fma_f32 v[122:123], v[106:107], v[116:117], v[120:121] op_sel:[0,0,1] op_sel_hi:[1,1,0] neg_lo:[0,0,1] neg_hi:[0,0,1]
	v_pk_fma_f32 v[106:107], v[106:107], v[116:117], v[120:121] op_sel:[0,0,1] op_sel_hi:[1,0,0]
	v_mov_b32_e32 v123, v107
	v_pk_mul_f32 v[106:107], v[108:109], v[118:119] op_sel:[0,1]
	s_delay_alu instid0(VALU_DEP_1) | instskip(SKIP_1) | instid1(VALU_DEP_1)
	v_pk_fma_f32 v[120:121], v[108:109], v[116:117], v[106:107] op_sel:[0,0,1] op_sel_hi:[1,1,0] neg_lo:[0,0,1] neg_hi:[0,0,1]
	v_pk_fma_f32 v[106:107], v[108:109], v[116:117], v[106:107] op_sel:[0,0,1] op_sel_hi:[1,0,0]
	v_mov_b32_e32 v121, v107
	ds_load_2addr_b64 v[106:109], v110 offset0:47 offset1:48
	v_pk_add_f32 v[6:7], v[6:7], v[122:123] neg_lo:[0,1] neg_hi:[0,1]
	v_pk_add_f32 v[46:47], v[46:47], v[120:121] neg_lo:[0,1] neg_hi:[0,1]
	s_wait_dscnt 0x0
	v_dual_mul_f32 v120, v107, v119 :: v_dual_mul_f32 v122, v107, v116
	s_delay_alu instid0(VALU_DEP_1) | instskip(NEXT) | instid1(VALU_DEP_2)
	v_pk_fma_f32 v[120:121], v[106:107], v[20:21], v[120:121] op_sel_hi:[1,1,0] neg_lo:[0,0,1] neg_hi:[0,0,1]
	v_pk_fma_f32 v[106:107], v[106:107], v[20:21], v[122:123] op_sel:[1,0,0] op_sel_hi:[0,1,0]
	s_delay_alu instid0(VALU_DEP_1) | instskip(SKIP_1) | instid1(VALU_DEP_2)
	v_mov_b32_e32 v121, v107
	v_pk_mul_f32 v[106:107], v[108:109], v[118:119] op_sel:[0,1]
	v_pk_add_f32 v[28:29], v[28:29], v[120:121] neg_lo:[0,1] neg_hi:[0,1]
	s_delay_alu instid0(VALU_DEP_2) | instskip(SKIP_1) | instid1(VALU_DEP_1)
	v_pk_fma_f32 v[120:121], v[108:109], v[116:117], v[106:107] op_sel:[0,0,1] op_sel_hi:[1,1,0] neg_lo:[0,0,1] neg_hi:[0,0,1]
	v_pk_fma_f32 v[106:107], v[108:109], v[116:117], v[106:107] op_sel:[0,0,1] op_sel_hi:[1,0,0]
	v_mov_b32_e32 v121, v107
	ds_load_b64 v[106:107], v110 offset:392
	v_pk_add_f32 v[14:15], v[14:15], v[120:121] neg_lo:[0,1] neg_hi:[0,1]
	s_wait_dscnt 0x0
	v_pk_mul_f32 v[108:109], v[106:107], v[118:119] op_sel:[0,1]
	s_delay_alu instid0(VALU_DEP_1) | instskip(SKIP_1) | instid1(VALU_DEP_1)
	v_pk_fma_f32 v[118:119], v[106:107], v[116:117], v[108:109] op_sel:[0,0,1] op_sel_hi:[1,1,0] neg_lo:[0,0,1] neg_hi:[0,0,1]
	v_pk_fma_f32 v[106:107], v[106:107], v[116:117], v[108:109] op_sel:[0,0,1] op_sel_hi:[1,0,0]
	v_mov_b32_e32 v119, v107
	s_delay_alu instid0(VALU_DEP_1)
	v_pk_add_f32 v[104:105], v[104:105], v[118:119] neg_lo:[0,1] neg_hi:[0,1]
.LBB98_818:
	s_or_b32 exec_lo, exec_lo, s0
	v_lshl_add_u32 v106, v114, 3, v110
	s_barrier_signal -1
	s_barrier_wait -1
	ds_store_b64 v106, v[16:17]
	s_wait_dscnt 0x0
	s_barrier_signal -1
	s_barrier_wait -1
	ds_load_b64 v[106:107], v110 offset:312
	v_mov_b32_e32 v108, 39
	s_cmp_lt_i32 s18, 41
	s_cbranch_scc1 .LBB98_821
; %bb.819:
	v_add3_u32 v109, v111, 0, 0x140
	v_mov_b32_e32 v108, 39
	s_mov_b32 s0, 40
.LBB98_820:                             ; =>This Inner Loop Header: Depth=1
	ds_load_b64 v[116:117], v109
	s_wait_dscnt 0x1
	v_cmp_gt_f32_e32 vcc_lo, 0, v106
	v_cndmask_b32_e64 v118, v106, -v106, vcc_lo
	v_cmp_gt_f32_e32 vcc_lo, 0, v107
	v_cndmask_b32_e64 v120, v107, -v107, vcc_lo
	s_wait_dscnt 0x0
	v_cmp_gt_f32_e32 vcc_lo, 0, v116
	v_cndmask_b32_e64 v119, v116, -v116, vcc_lo
	v_cmp_gt_f32_e32 vcc_lo, 0, v117
	v_cndmask_b32_e64 v121, v117, -v117, vcc_lo
	s_delay_alu instid0(VALU_DEP_1) | instskip(NEXT) | instid1(VALU_DEP_1)
	v_pk_add_f32 v[118:119], v[118:119], v[120:121]
	v_cmp_lt_f32_e32 vcc_lo, v118, v119
	v_dual_cndmask_b32 v106, v106, v116 :: v_dual_add_nc_u32 v109, 8, v109
	v_cndmask_b32_e32 v107, v107, v117, vcc_lo
	v_cndmask_b32_e64 v108, v108, s0, vcc_lo
	s_add_co_i32 s0, s0, 1
	s_delay_alu instid0(SALU_CYCLE_1)
	s_cmp_lg_u32 s18, s0
	s_cbranch_scc1 .LBB98_820
.LBB98_821:
	s_wait_dscnt 0x0
	v_cmp_eq_f32_e32 vcc_lo, 0, v106
	v_cmp_eq_f32_e64 s0, 0, v107
	s_and_b32 s0, vcc_lo, s0
	s_delay_alu instid0(SALU_CYCLE_1) | instskip(NEXT) | instid1(SALU_CYCLE_1)
	s_and_saveexec_b32 s1, s0
	s_xor_b32 s0, exec_lo, s1
; %bb.822:
	v_cmp_ne_u32_e32 vcc_lo, 0, v112
	v_cndmask_b32_e32 v112, 40, v112, vcc_lo
; %bb.823:
	s_and_not1_saveexec_b32 s0, s0
	s_cbranch_execz .LBB98_829
; %bb.824:
	v_cmp_ngt_f32_e64 s1, |v106|, |v107|
	s_and_saveexec_b32 s12, s1
	s_delay_alu instid0(SALU_CYCLE_1)
	s_xor_b32 s1, exec_lo, s12
	s_cbranch_execz .LBB98_826
; %bb.825:
	v_div_scale_f32 v109, null, v107, v107, v106
	v_div_scale_f32 v117, vcc_lo, v106, v107, v106
	s_delay_alu instid0(VALU_DEP_2) | instskip(SKIP_1) | instid1(TRANS32_DEP_1)
	v_rcp_f32_e32 v115, v109
	v_nop
	v_fma_f32 v116, -v109, v115, 1.0
	s_delay_alu instid0(VALU_DEP_1) | instskip(NEXT) | instid1(VALU_DEP_1)
	v_fmac_f32_e32 v115, v116, v115
	v_mul_f32_e32 v116, v117, v115
	s_delay_alu instid0(VALU_DEP_1) | instskip(NEXT) | instid1(VALU_DEP_1)
	v_fma_f32 v118, -v109, v116, v117
	v_fmac_f32_e32 v116, v118, v115
	s_delay_alu instid0(VALU_DEP_1) | instskip(NEXT) | instid1(VALU_DEP_1)
	v_fma_f32 v109, -v109, v116, v117
	v_div_fmas_f32 v109, v109, v115, v116
	s_delay_alu instid0(VALU_DEP_1) | instskip(NEXT) | instid1(VALU_DEP_1)
	v_div_fixup_f32 v109, v109, v107, v106
	v_fmac_f32_e32 v107, v106, v109
	s_delay_alu instid0(VALU_DEP_1) | instskip(SKIP_1) | instid1(VALU_DEP_2)
	v_div_scale_f32 v106, null, v107, v107, 1.0
	v_div_scale_f32 v117, vcc_lo, 1.0, v107, 1.0
	v_rcp_f32_e32 v115, v106
	v_nop
	s_delay_alu instid0(TRANS32_DEP_1) | instskip(NEXT) | instid1(VALU_DEP_1)
	v_fma_f32 v116, -v106, v115, 1.0
	v_fmac_f32_e32 v115, v116, v115
	s_delay_alu instid0(VALU_DEP_1) | instskip(NEXT) | instid1(VALU_DEP_1)
	v_mul_f32_e32 v116, v117, v115
	v_fma_f32 v118, -v106, v116, v117
	s_delay_alu instid0(VALU_DEP_1) | instskip(NEXT) | instid1(VALU_DEP_1)
	v_fmac_f32_e32 v116, v118, v115
	v_fma_f32 v106, -v106, v116, v117
	s_delay_alu instid0(VALU_DEP_1) | instskip(NEXT) | instid1(VALU_DEP_1)
	v_div_fmas_f32 v106, v106, v115, v116
	v_div_fixup_f32 v107, v106, v107, 1.0
	s_delay_alu instid0(VALU_DEP_1)
	v_mul_f32_e32 v106, v109, v107
	v_xor_b32_e32 v107, 0x80000000, v107
.LBB98_826:
	s_and_not1_saveexec_b32 s1, s1
	s_cbranch_execz .LBB98_828
; %bb.827:
	s_delay_alu instid0(VALU_DEP_1) | instskip(SKIP_1) | instid1(VALU_DEP_2)
	v_div_scale_f32 v109, null, v106, v106, v107
	v_div_scale_f32 v117, vcc_lo, v107, v106, v107
	v_rcp_f32_e32 v115, v109
	v_nop
	s_delay_alu instid0(TRANS32_DEP_1) | instskip(NEXT) | instid1(VALU_DEP_1)
	v_fma_f32 v116, -v109, v115, 1.0
	v_fmac_f32_e32 v115, v116, v115
	s_delay_alu instid0(VALU_DEP_1) | instskip(NEXT) | instid1(VALU_DEP_1)
	v_mul_f32_e32 v116, v117, v115
	v_fma_f32 v118, -v109, v116, v117
	s_delay_alu instid0(VALU_DEP_1) | instskip(NEXT) | instid1(VALU_DEP_1)
	v_fmac_f32_e32 v116, v118, v115
	v_fma_f32 v109, -v109, v116, v117
	s_delay_alu instid0(VALU_DEP_1) | instskip(NEXT) | instid1(VALU_DEP_1)
	v_div_fmas_f32 v109, v109, v115, v116
	v_div_fixup_f32 v109, v109, v106, v107
	s_delay_alu instid0(VALU_DEP_1) | instskip(NEXT) | instid1(VALU_DEP_1)
	v_fmac_f32_e32 v106, v107, v109
	v_div_scale_f32 v107, null, v106, v106, 1.0
	s_delay_alu instid0(VALU_DEP_1) | instskip(SKIP_1) | instid1(TRANS32_DEP_1)
	v_rcp_f32_e32 v115, v107
	v_nop
	v_fma_f32 v116, -v107, v115, 1.0
	s_delay_alu instid0(VALU_DEP_1) | instskip(SKIP_1) | instid1(VALU_DEP_1)
	v_fmac_f32_e32 v115, v116, v115
	v_div_scale_f32 v116, vcc_lo, 1.0, v106, 1.0
	v_mul_f32_e32 v117, v116, v115
	s_delay_alu instid0(VALU_DEP_1) | instskip(NEXT) | instid1(VALU_DEP_1)
	v_fma_f32 v118, -v107, v117, v116
	v_fmac_f32_e32 v117, v118, v115
	s_delay_alu instid0(VALU_DEP_1) | instskip(NEXT) | instid1(VALU_DEP_1)
	v_fma_f32 v107, -v107, v117, v116
	v_div_fmas_f32 v107, v107, v115, v117
	s_delay_alu instid0(VALU_DEP_1) | instskip(NEXT) | instid1(VALU_DEP_1)
	v_div_fixup_f32 v106, v107, v106, 1.0
	v_mul_f32_e64 v107, v109, -v106
.LBB98_828:
	s_or_b32 exec_lo, exec_lo, s1
.LBB98_829:
	s_delay_alu instid0(SALU_CYCLE_1) | instskip(NEXT) | instid1(SALU_CYCLE_1)
	s_or_b32 exec_lo, exec_lo, s0
	s_mov_b32 s0, exec_lo
	v_cmpx_ne_u32_e64 v114, v108
	s_xor_b32 s0, exec_lo, s0
	s_cbranch_execz .LBB98_835
; %bb.830:
	s_mov_b32 s1, exec_lo
	v_cmpx_eq_u32_e32 39, v114
	s_cbranch_execz .LBB98_834
; %bb.831:
	v_cmp_ne_u32_e32 vcc_lo, 39, v108
	s_xor_b32 s12, s16, -1
	s_delay_alu instid0(SALU_CYCLE_1) | instskip(NEXT) | instid1(SALU_CYCLE_1)
	s_and_b32 s13, s12, vcc_lo
	s_and_saveexec_b32 s12, s13
	s_cbranch_execz .LBB98_833
; %bb.832:
	v_ashrrev_i32_e32 v109, 31, v108
	s_delay_alu instid0(VALU_DEP_1)
	v_lshl_add_u64 v[114:115], v[108:109], 2, v[4:5]
	s_clause 0x1
	global_load_b32 v109, v[114:115], off
	global_load_b32 v113, v[4:5], off offset:156
	s_wait_loadcnt 0x1
	global_store_b32 v[4:5], v109, off offset:156
	s_wait_loadcnt 0x0
	global_store_b32 v[114:115], v113, off
.LBB98_833:
	s_wait_xcnt 0x0
	s_or_b32 exec_lo, exec_lo, s12
	v_dual_mov_b32 v114, v108 :: v_dual_mov_b32 v113, v108
.LBB98_834:
	s_or_b32 exec_lo, exec_lo, s1
.LBB98_835:
	s_and_not1_saveexec_b32 s0, s0
	s_cbranch_execz .LBB98_837
; %bb.836:
	v_dual_mov_b32 v108, v76 :: v_dual_mov_b32 v109, v77
	v_dual_mov_b32 v114, v10 :: v_dual_mov_b32 v115, v11
	ds_store_2addr_b64 v110, v[108:109], v[114:115] offset0:40 offset1:41
	v_dual_mov_b32 v108, v12 :: v_dual_mov_b32 v109, v13
	v_dual_mov_b32 v114, v8 :: v_dual_mov_b32 v115, v9
	ds_store_2addr_b64 v110, v[108:109], v[114:115] offset0:42 offset1:43
	;; [unrolled: 3-line block ×4, first 2 shown]
	v_dual_mov_b32 v108, v14 :: v_dual_mov_b32 v109, v15
	v_mov_b32_e32 v114, 39
	ds_store_2addr_b64 v110, v[108:109], v[104:105] offset0:48 offset1:49
.LBB98_837:
	s_or_b32 exec_lo, exec_lo, s0
	s_delay_alu instid0(SALU_CYCLE_1)
	s_mov_b32 s0, exec_lo
	s_wait_storecnt_dscnt 0x0
	s_barrier_signal -1
	s_barrier_wait -1
	v_cmpx_lt_i32_e32 39, v114
	s_cbranch_execz .LBB98_839
; %bb.838:
	v_pk_mul_f32 v[108:109], v[106:107], v[16:17] op_sel:[1,1] op_sel_hi:[0,1]
	s_delay_alu instid0(VALU_DEP_1)
	v_pk_fma_f32 v[116:117], v[106:107], v[16:17], v[108:109] op_sel_hi:[1,0,1] neg_lo:[0,0,1] neg_hi:[0,0,1]
	v_pk_fma_f32 v[118:119], v[106:107], v[16:17], v[108:109] op_sel_hi:[1,0,1]
	ds_load_2addr_b64 v[106:109], v110 offset0:40 offset1:41
	v_dual_mov_b32 v16, v116 :: v_dual_mov_b32 v17, v119
	s_wait_dscnt 0x0
	v_pk_mul_f32 v[120:121], v[106:107], v[118:119] op_sel:[0,1]
	s_delay_alu instid0(VALU_DEP_1) | instskip(SKIP_1) | instid1(VALU_DEP_1)
	v_pk_fma_f32 v[122:123], v[106:107], v[116:117], v[120:121] op_sel:[0,0,1] op_sel_hi:[1,1,0] neg_lo:[0,0,1] neg_hi:[0,0,1]
	v_pk_fma_f32 v[106:107], v[106:107], v[116:117], v[120:121] op_sel:[0,0,1] op_sel_hi:[1,0,0]
	v_mov_b32_e32 v123, v107
	v_pk_mul_f32 v[106:107], v[108:109], v[118:119] op_sel:[0,1]
	s_delay_alu instid0(VALU_DEP_1) | instskip(SKIP_1) | instid1(VALU_DEP_1)
	v_pk_fma_f32 v[120:121], v[108:109], v[116:117], v[106:107] op_sel:[0,0,1] op_sel_hi:[1,1,0] neg_lo:[0,0,1] neg_hi:[0,0,1]
	v_pk_fma_f32 v[106:107], v[108:109], v[116:117], v[106:107] op_sel:[0,0,1] op_sel_hi:[1,0,0]
	v_mov_b32_e32 v121, v107
	ds_load_2addr_b64 v[106:109], v110 offset0:42 offset1:43
	v_pk_add_f32 v[76:77], v[76:77], v[122:123] neg_lo:[0,1] neg_hi:[0,1]
	v_pk_add_f32 v[10:11], v[10:11], v[120:121] neg_lo:[0,1] neg_hi:[0,1]
	s_wait_dscnt 0x0
	v_pk_mul_f32 v[120:121], v[106:107], v[118:119] op_sel:[0,1]
	s_delay_alu instid0(VALU_DEP_1) | instskip(SKIP_2) | instid1(VALU_DEP_2)
	v_pk_fma_f32 v[122:123], v[106:107], v[116:117], v[120:121] op_sel:[0,0,1] op_sel_hi:[1,1,0] neg_lo:[0,0,1] neg_hi:[0,0,1]
	v_pk_fma_f32 v[106:107], v[106:107], v[116:117], v[120:121] op_sel:[0,0,1] op_sel_hi:[1,0,0]
	v_dual_mul_f32 v120, v109, v119 :: v_dual_mov_b32 v106, v109
	v_dual_mov_b32 v123, v107 :: v_dual_mov_b32 v107, v108
	s_delay_alu instid0(VALU_DEP_2) | instskip(SKIP_1) | instid1(VALU_DEP_3)
	v_pk_fma_f32 v[120:121], v[108:109], v[16:17], v[120:121] op_sel_hi:[1,1,0] neg_lo:[0,0,1] neg_hi:[0,0,1]
	v_mul_f32_e32 v108, v109, v116
	v_pk_add_f32 v[12:13], v[12:13], v[122:123] neg_lo:[0,1] neg_hi:[0,1]
	s_delay_alu instid0(VALU_DEP_2) | instskip(NEXT) | instid1(VALU_DEP_1)
	v_pk_fma_f32 v[106:107], v[106:107], v[16:17], v[108:109] op_sel_hi:[1,1,0]
	v_mov_b32_e32 v121, v107
	ds_load_2addr_b64 v[106:109], v110 offset0:44 offset1:45
	v_pk_add_f32 v[8:9], v[8:9], v[120:121] neg_lo:[0,1] neg_hi:[0,1]
	s_wait_dscnt 0x0
	v_pk_mul_f32 v[120:121], v[106:107], v[118:119] op_sel:[0,1]
	s_delay_alu instid0(VALU_DEP_1) | instskip(SKIP_1) | instid1(VALU_DEP_1)
	v_pk_fma_f32 v[122:123], v[106:107], v[116:117], v[120:121] op_sel:[0,0,1] op_sel_hi:[1,1,0] neg_lo:[0,0,1] neg_hi:[0,0,1]
	v_pk_fma_f32 v[106:107], v[106:107], v[116:117], v[120:121] op_sel:[0,0,1] op_sel_hi:[1,0,0]
	v_mov_b32_e32 v123, v107
	v_pk_mul_f32 v[106:107], v[108:109], v[118:119] op_sel:[0,1]
	s_delay_alu instid0(VALU_DEP_1) | instskip(SKIP_1) | instid1(VALU_DEP_1)
	v_pk_fma_f32 v[120:121], v[108:109], v[116:117], v[106:107] op_sel:[0,0,1] op_sel_hi:[1,1,0] neg_lo:[0,0,1] neg_hi:[0,0,1]
	v_pk_fma_f32 v[106:107], v[108:109], v[116:117], v[106:107] op_sel:[0,0,1] op_sel_hi:[1,0,0]
	v_mov_b32_e32 v121, v107
	ds_load_2addr_b64 v[106:109], v110 offset0:46 offset1:47
	v_pk_add_f32 v[70:71], v[70:71], v[122:123] neg_lo:[0,1] neg_hi:[0,1]
	v_pk_add_f32 v[6:7], v[6:7], v[120:121] neg_lo:[0,1] neg_hi:[0,1]
	s_wait_dscnt 0x0
	v_pk_mul_f32 v[120:121], v[106:107], v[118:119] op_sel:[0,1]
	s_delay_alu instid0(VALU_DEP_1) | instskip(SKIP_1) | instid1(VALU_DEP_1)
	v_pk_fma_f32 v[122:123], v[106:107], v[116:117], v[120:121] op_sel:[0,0,1] op_sel_hi:[1,1,0] neg_lo:[0,0,1] neg_hi:[0,0,1]
	v_pk_fma_f32 v[106:107], v[106:107], v[116:117], v[120:121] op_sel:[0,0,1] op_sel_hi:[1,0,0]
	v_mov_b32_e32 v123, v107
	v_pk_mul_f32 v[106:107], v[108:109], v[118:119] op_sel:[0,1]
	s_delay_alu instid0(VALU_DEP_1) | instskip(SKIP_1) | instid1(VALU_DEP_1)
	v_pk_fma_f32 v[120:121], v[108:109], v[116:117], v[106:107] op_sel:[0,0,1] op_sel_hi:[1,1,0] neg_lo:[0,0,1] neg_hi:[0,0,1]
	v_pk_fma_f32 v[106:107], v[108:109], v[116:117], v[106:107] op_sel:[0,0,1] op_sel_hi:[1,0,0]
	v_mov_b32_e32 v121, v107
	ds_load_2addr_b64 v[106:109], v110 offset0:48 offset1:49
	v_pk_add_f32 v[46:47], v[46:47], v[122:123] neg_lo:[0,1] neg_hi:[0,1]
	v_pk_add_f32 v[28:29], v[28:29], v[120:121] neg_lo:[0,1] neg_hi:[0,1]
	s_wait_dscnt 0x0
	v_dual_mul_f32 v120, v107, v119 :: v_dual_mul_f32 v122, v107, v116
	s_delay_alu instid0(VALU_DEP_1) | instskip(NEXT) | instid1(VALU_DEP_2)
	v_pk_fma_f32 v[120:121], v[106:107], v[16:17], v[120:121] op_sel_hi:[1,1,0] neg_lo:[0,0,1] neg_hi:[0,0,1]
	v_pk_fma_f32 v[106:107], v[106:107], v[16:17], v[122:123] op_sel:[1,0,0] op_sel_hi:[0,1,0]
	s_delay_alu instid0(VALU_DEP_1) | instskip(SKIP_1) | instid1(VALU_DEP_1)
	v_mov_b32_e32 v121, v107
	v_pk_mul_f32 v[106:107], v[108:109], v[118:119] op_sel:[0,1]
	v_pk_fma_f32 v[118:119], v[108:109], v[116:117], v[106:107] op_sel:[0,0,1] op_sel_hi:[1,1,0] neg_lo:[0,0,1] neg_hi:[0,0,1]
	v_pk_fma_f32 v[106:107], v[108:109], v[116:117], v[106:107] op_sel:[0,0,1] op_sel_hi:[1,0,0]
	s_delay_alu instid0(VALU_DEP_1) | instskip(SKIP_1) | instid1(VALU_DEP_2)
	v_mov_b32_e32 v119, v107
	v_pk_add_f32 v[14:15], v[14:15], v[120:121] neg_lo:[0,1] neg_hi:[0,1]
	v_pk_add_f32 v[104:105], v[104:105], v[118:119] neg_lo:[0,1] neg_hi:[0,1]
.LBB98_839:
	s_or_b32 exec_lo, exec_lo, s0
	v_lshl_add_u32 v106, v114, 3, v110
	s_barrier_signal -1
	s_barrier_wait -1
	ds_store_b64 v106, v[76:77]
	s_wait_dscnt 0x0
	s_barrier_signal -1
	s_barrier_wait -1
	ds_load_b64 v[106:107], v110 offset:320
	v_mov_b32_e32 v108, 40
	s_cmp_lt_i32 s18, 42
	s_cbranch_scc1 .LBB98_842
; %bb.840:
	v_add3_u32 v109, v111, 0, 0x148
	v_mov_b32_e32 v108, 40
	s_mov_b32 s0, 41
.LBB98_841:                             ; =>This Inner Loop Header: Depth=1
	ds_load_b64 v[116:117], v109
	s_wait_dscnt 0x1
	v_cmp_gt_f32_e32 vcc_lo, 0, v106
	v_cndmask_b32_e64 v118, v106, -v106, vcc_lo
	v_cmp_gt_f32_e32 vcc_lo, 0, v107
	v_cndmask_b32_e64 v120, v107, -v107, vcc_lo
	s_wait_dscnt 0x0
	v_cmp_gt_f32_e32 vcc_lo, 0, v116
	v_cndmask_b32_e64 v119, v116, -v116, vcc_lo
	v_cmp_gt_f32_e32 vcc_lo, 0, v117
	v_cndmask_b32_e64 v121, v117, -v117, vcc_lo
	s_delay_alu instid0(VALU_DEP_1) | instskip(NEXT) | instid1(VALU_DEP_1)
	v_pk_add_f32 v[118:119], v[118:119], v[120:121]
	v_cmp_lt_f32_e32 vcc_lo, v118, v119
	v_dual_cndmask_b32 v106, v106, v116 :: v_dual_add_nc_u32 v109, 8, v109
	v_cndmask_b32_e32 v107, v107, v117, vcc_lo
	v_cndmask_b32_e64 v108, v108, s0, vcc_lo
	s_add_co_i32 s0, s0, 1
	s_delay_alu instid0(SALU_CYCLE_1)
	s_cmp_lg_u32 s18, s0
	s_cbranch_scc1 .LBB98_841
.LBB98_842:
	s_wait_dscnt 0x0
	v_cmp_eq_f32_e32 vcc_lo, 0, v106
	v_cmp_eq_f32_e64 s0, 0, v107
	s_and_b32 s0, vcc_lo, s0
	s_delay_alu instid0(SALU_CYCLE_1) | instskip(NEXT) | instid1(SALU_CYCLE_1)
	s_and_saveexec_b32 s1, s0
	s_xor_b32 s0, exec_lo, s1
; %bb.843:
	v_cmp_ne_u32_e32 vcc_lo, 0, v112
	v_cndmask_b32_e32 v112, 41, v112, vcc_lo
; %bb.844:
	s_and_not1_saveexec_b32 s0, s0
	s_cbranch_execz .LBB98_850
; %bb.845:
	v_cmp_ngt_f32_e64 s1, |v106|, |v107|
	s_and_saveexec_b32 s12, s1
	s_delay_alu instid0(SALU_CYCLE_1)
	s_xor_b32 s1, exec_lo, s12
	s_cbranch_execz .LBB98_847
; %bb.846:
	v_div_scale_f32 v109, null, v107, v107, v106
	v_div_scale_f32 v117, vcc_lo, v106, v107, v106
	s_delay_alu instid0(VALU_DEP_2) | instskip(SKIP_1) | instid1(TRANS32_DEP_1)
	v_rcp_f32_e32 v115, v109
	v_nop
	v_fma_f32 v116, -v109, v115, 1.0
	s_delay_alu instid0(VALU_DEP_1) | instskip(NEXT) | instid1(VALU_DEP_1)
	v_fmac_f32_e32 v115, v116, v115
	v_mul_f32_e32 v116, v117, v115
	s_delay_alu instid0(VALU_DEP_1) | instskip(NEXT) | instid1(VALU_DEP_1)
	v_fma_f32 v118, -v109, v116, v117
	v_fmac_f32_e32 v116, v118, v115
	s_delay_alu instid0(VALU_DEP_1) | instskip(NEXT) | instid1(VALU_DEP_1)
	v_fma_f32 v109, -v109, v116, v117
	v_div_fmas_f32 v109, v109, v115, v116
	s_delay_alu instid0(VALU_DEP_1) | instskip(NEXT) | instid1(VALU_DEP_1)
	v_div_fixup_f32 v109, v109, v107, v106
	v_fmac_f32_e32 v107, v106, v109
	s_delay_alu instid0(VALU_DEP_1) | instskip(SKIP_1) | instid1(VALU_DEP_2)
	v_div_scale_f32 v106, null, v107, v107, 1.0
	v_div_scale_f32 v117, vcc_lo, 1.0, v107, 1.0
	v_rcp_f32_e32 v115, v106
	v_nop
	s_delay_alu instid0(TRANS32_DEP_1) | instskip(NEXT) | instid1(VALU_DEP_1)
	v_fma_f32 v116, -v106, v115, 1.0
	v_fmac_f32_e32 v115, v116, v115
	s_delay_alu instid0(VALU_DEP_1) | instskip(NEXT) | instid1(VALU_DEP_1)
	v_mul_f32_e32 v116, v117, v115
	v_fma_f32 v118, -v106, v116, v117
	s_delay_alu instid0(VALU_DEP_1) | instskip(NEXT) | instid1(VALU_DEP_1)
	v_fmac_f32_e32 v116, v118, v115
	v_fma_f32 v106, -v106, v116, v117
	s_delay_alu instid0(VALU_DEP_1) | instskip(NEXT) | instid1(VALU_DEP_1)
	v_div_fmas_f32 v106, v106, v115, v116
	v_div_fixup_f32 v107, v106, v107, 1.0
	s_delay_alu instid0(VALU_DEP_1)
	v_mul_f32_e32 v106, v109, v107
	v_xor_b32_e32 v107, 0x80000000, v107
.LBB98_847:
	s_and_not1_saveexec_b32 s1, s1
	s_cbranch_execz .LBB98_849
; %bb.848:
	s_delay_alu instid0(VALU_DEP_1) | instskip(SKIP_1) | instid1(VALU_DEP_2)
	v_div_scale_f32 v109, null, v106, v106, v107
	v_div_scale_f32 v117, vcc_lo, v107, v106, v107
	v_rcp_f32_e32 v115, v109
	v_nop
	s_delay_alu instid0(TRANS32_DEP_1) | instskip(NEXT) | instid1(VALU_DEP_1)
	v_fma_f32 v116, -v109, v115, 1.0
	v_fmac_f32_e32 v115, v116, v115
	s_delay_alu instid0(VALU_DEP_1) | instskip(NEXT) | instid1(VALU_DEP_1)
	v_mul_f32_e32 v116, v117, v115
	v_fma_f32 v118, -v109, v116, v117
	s_delay_alu instid0(VALU_DEP_1) | instskip(NEXT) | instid1(VALU_DEP_1)
	v_fmac_f32_e32 v116, v118, v115
	v_fma_f32 v109, -v109, v116, v117
	s_delay_alu instid0(VALU_DEP_1) | instskip(NEXT) | instid1(VALU_DEP_1)
	v_div_fmas_f32 v109, v109, v115, v116
	v_div_fixup_f32 v109, v109, v106, v107
	s_delay_alu instid0(VALU_DEP_1) | instskip(NEXT) | instid1(VALU_DEP_1)
	v_fmac_f32_e32 v106, v107, v109
	v_div_scale_f32 v107, null, v106, v106, 1.0
	s_delay_alu instid0(VALU_DEP_1) | instskip(SKIP_1) | instid1(TRANS32_DEP_1)
	v_rcp_f32_e32 v115, v107
	v_nop
	v_fma_f32 v116, -v107, v115, 1.0
	s_delay_alu instid0(VALU_DEP_1) | instskip(SKIP_1) | instid1(VALU_DEP_1)
	v_fmac_f32_e32 v115, v116, v115
	v_div_scale_f32 v116, vcc_lo, 1.0, v106, 1.0
	v_mul_f32_e32 v117, v116, v115
	s_delay_alu instid0(VALU_DEP_1) | instskip(NEXT) | instid1(VALU_DEP_1)
	v_fma_f32 v118, -v107, v117, v116
	v_fmac_f32_e32 v117, v118, v115
	s_delay_alu instid0(VALU_DEP_1) | instskip(NEXT) | instid1(VALU_DEP_1)
	v_fma_f32 v107, -v107, v117, v116
	v_div_fmas_f32 v107, v107, v115, v117
	s_delay_alu instid0(VALU_DEP_1) | instskip(NEXT) | instid1(VALU_DEP_1)
	v_div_fixup_f32 v106, v107, v106, 1.0
	v_mul_f32_e64 v107, v109, -v106
.LBB98_849:
	s_or_b32 exec_lo, exec_lo, s1
.LBB98_850:
	s_delay_alu instid0(SALU_CYCLE_1) | instskip(NEXT) | instid1(SALU_CYCLE_1)
	s_or_b32 exec_lo, exec_lo, s0
	s_mov_b32 s0, exec_lo
	v_cmpx_ne_u32_e64 v114, v108
	s_xor_b32 s0, exec_lo, s0
	s_cbranch_execz .LBB98_856
; %bb.851:
	s_mov_b32 s1, exec_lo
	v_cmpx_eq_u32_e32 40, v114
	s_cbranch_execz .LBB98_855
; %bb.852:
	v_cmp_ne_u32_e32 vcc_lo, 40, v108
	s_xor_b32 s12, s16, -1
	s_delay_alu instid0(SALU_CYCLE_1) | instskip(NEXT) | instid1(SALU_CYCLE_1)
	s_and_b32 s13, s12, vcc_lo
	s_and_saveexec_b32 s12, s13
	s_cbranch_execz .LBB98_854
; %bb.853:
	v_ashrrev_i32_e32 v109, 31, v108
	s_delay_alu instid0(VALU_DEP_1)
	v_lshl_add_u64 v[114:115], v[108:109], 2, v[4:5]
	s_clause 0x1
	global_load_b32 v109, v[114:115], off
	global_load_b32 v113, v[4:5], off offset:160
	s_wait_loadcnt 0x1
	global_store_b32 v[4:5], v109, off offset:160
	s_wait_loadcnt 0x0
	global_store_b32 v[114:115], v113, off
.LBB98_854:
	s_wait_xcnt 0x0
	s_or_b32 exec_lo, exec_lo, s12
	v_dual_mov_b32 v114, v108 :: v_dual_mov_b32 v113, v108
.LBB98_855:
	s_or_b32 exec_lo, exec_lo, s1
.LBB98_856:
	s_and_not1_saveexec_b32 s0, s0
	s_cbranch_execz .LBB98_858
; %bb.857:
	v_mov_b32_e32 v114, 40
	ds_store_2addr_b64 v110, v[10:11], v[12:13] offset0:41 offset1:42
	ds_store_2addr_b64 v110, v[8:9], v[70:71] offset0:43 offset1:44
	;; [unrolled: 1-line block ×4, first 2 shown]
	ds_store_b64 v110, v[104:105] offset:392
.LBB98_858:
	s_or_b32 exec_lo, exec_lo, s0
	s_delay_alu instid0(SALU_CYCLE_1)
	s_mov_b32 s0, exec_lo
	s_wait_storecnt_dscnt 0x0
	s_barrier_signal -1
	s_barrier_wait -1
	v_cmpx_lt_i32_e32 40, v114
	s_cbranch_execz .LBB98_860
; %bb.859:
	v_pk_mul_f32 v[108:109], v[106:107], v[76:77] op_sel:[1,1] op_sel_hi:[0,1]
	s_delay_alu instid0(VALU_DEP_1)
	v_pk_fma_f32 v[116:117], v[106:107], v[76:77], v[108:109] op_sel_hi:[1,0,1] neg_lo:[0,0,1] neg_hi:[0,0,1]
	v_pk_fma_f32 v[118:119], v[106:107], v[76:77], v[108:109] op_sel_hi:[1,0,1]
	ds_load_2addr_b64 v[106:109], v110 offset0:41 offset1:42
	v_dual_mov_b32 v76, v116 :: v_dual_mov_b32 v77, v119
	s_wait_dscnt 0x0
	v_pk_mul_f32 v[120:121], v[106:107], v[118:119] op_sel:[0,1]
	s_delay_alu instid0(VALU_DEP_1) | instskip(SKIP_1) | instid1(VALU_DEP_1)
	v_pk_fma_f32 v[122:123], v[106:107], v[116:117], v[120:121] op_sel:[0,0,1] op_sel_hi:[1,1,0] neg_lo:[0,0,1] neg_hi:[0,0,1]
	v_pk_fma_f32 v[106:107], v[106:107], v[116:117], v[120:121] op_sel:[0,0,1] op_sel_hi:[1,0,0]
	v_mov_b32_e32 v123, v107
	v_pk_mul_f32 v[106:107], v[108:109], v[118:119] op_sel:[0,1]
	s_delay_alu instid0(VALU_DEP_1) | instskip(SKIP_1) | instid1(VALU_DEP_1)
	v_pk_fma_f32 v[120:121], v[108:109], v[116:117], v[106:107] op_sel:[0,0,1] op_sel_hi:[1,1,0] neg_lo:[0,0,1] neg_hi:[0,0,1]
	v_pk_fma_f32 v[106:107], v[108:109], v[116:117], v[106:107] op_sel:[0,0,1] op_sel_hi:[1,0,0]
	v_mov_b32_e32 v121, v107
	ds_load_2addr_b64 v[106:109], v110 offset0:43 offset1:44
	v_pk_add_f32 v[10:11], v[10:11], v[122:123] neg_lo:[0,1] neg_hi:[0,1]
	v_pk_add_f32 v[12:13], v[12:13], v[120:121] neg_lo:[0,1] neg_hi:[0,1]
	s_wait_dscnt 0x0
	v_pk_mul_f32 v[120:121], v[106:107], v[118:119] op_sel:[0,1]
	s_delay_alu instid0(VALU_DEP_1) | instskip(SKIP_2) | instid1(VALU_DEP_2)
	v_pk_fma_f32 v[122:123], v[106:107], v[116:117], v[120:121] op_sel:[0,0,1] op_sel_hi:[1,1,0] neg_lo:[0,0,1] neg_hi:[0,0,1]
	v_pk_fma_f32 v[106:107], v[106:107], v[116:117], v[120:121] op_sel:[0,0,1] op_sel_hi:[1,0,0]
	v_dual_mul_f32 v120, v109, v119 :: v_dual_mov_b32 v106, v109
	v_dual_mov_b32 v123, v107 :: v_dual_mov_b32 v107, v108
	s_delay_alu instid0(VALU_DEP_2) | instskip(SKIP_1) | instid1(VALU_DEP_3)
	v_pk_fma_f32 v[120:121], v[108:109], v[76:77], v[120:121] op_sel_hi:[1,1,0] neg_lo:[0,0,1] neg_hi:[0,0,1]
	v_mul_f32_e32 v108, v109, v116
	v_pk_add_f32 v[8:9], v[8:9], v[122:123] neg_lo:[0,1] neg_hi:[0,1]
	s_delay_alu instid0(VALU_DEP_2) | instskip(NEXT) | instid1(VALU_DEP_1)
	v_pk_fma_f32 v[106:107], v[106:107], v[76:77], v[108:109] op_sel_hi:[1,1,0]
	v_mov_b32_e32 v121, v107
	ds_load_2addr_b64 v[106:109], v110 offset0:45 offset1:46
	v_pk_add_f32 v[70:71], v[70:71], v[120:121] neg_lo:[0,1] neg_hi:[0,1]
	s_wait_dscnt 0x0
	v_pk_mul_f32 v[120:121], v[106:107], v[118:119] op_sel:[0,1]
	s_delay_alu instid0(VALU_DEP_1) | instskip(SKIP_1) | instid1(VALU_DEP_1)
	v_pk_fma_f32 v[122:123], v[106:107], v[116:117], v[120:121] op_sel:[0,0,1] op_sel_hi:[1,1,0] neg_lo:[0,0,1] neg_hi:[0,0,1]
	v_pk_fma_f32 v[106:107], v[106:107], v[116:117], v[120:121] op_sel:[0,0,1] op_sel_hi:[1,0,0]
	v_mov_b32_e32 v123, v107
	v_pk_mul_f32 v[106:107], v[108:109], v[118:119] op_sel:[0,1]
	s_delay_alu instid0(VALU_DEP_1) | instskip(SKIP_1) | instid1(VALU_DEP_1)
	v_pk_fma_f32 v[120:121], v[108:109], v[116:117], v[106:107] op_sel:[0,0,1] op_sel_hi:[1,1,0] neg_lo:[0,0,1] neg_hi:[0,0,1]
	v_pk_fma_f32 v[106:107], v[108:109], v[116:117], v[106:107] op_sel:[0,0,1] op_sel_hi:[1,0,0]
	v_mov_b32_e32 v121, v107
	ds_load_2addr_b64 v[106:109], v110 offset0:47 offset1:48
	v_pk_add_f32 v[6:7], v[6:7], v[122:123] neg_lo:[0,1] neg_hi:[0,1]
	v_pk_add_f32 v[46:47], v[46:47], v[120:121] neg_lo:[0,1] neg_hi:[0,1]
	s_wait_dscnt 0x0
	v_pk_mul_f32 v[120:121], v[106:107], v[118:119] op_sel:[0,1]
	s_delay_alu instid0(VALU_DEP_1) | instskip(SKIP_1) | instid1(VALU_DEP_1)
	v_pk_fma_f32 v[122:123], v[106:107], v[116:117], v[120:121] op_sel:[0,0,1] op_sel_hi:[1,1,0] neg_lo:[0,0,1] neg_hi:[0,0,1]
	v_pk_fma_f32 v[106:107], v[106:107], v[116:117], v[120:121] op_sel:[0,0,1] op_sel_hi:[1,0,0]
	v_mov_b32_e32 v123, v107
	v_pk_mul_f32 v[106:107], v[108:109], v[118:119] op_sel:[0,1]
	s_delay_alu instid0(VALU_DEP_1) | instskip(SKIP_1) | instid1(VALU_DEP_1)
	v_pk_fma_f32 v[120:121], v[108:109], v[116:117], v[106:107] op_sel:[0,0,1] op_sel_hi:[1,1,0] neg_lo:[0,0,1] neg_hi:[0,0,1]
	v_pk_fma_f32 v[106:107], v[108:109], v[116:117], v[106:107] op_sel:[0,0,1] op_sel_hi:[1,0,0]
	v_mov_b32_e32 v121, v107
	ds_load_b64 v[106:107], v110 offset:392
	v_pk_add_f32 v[28:29], v[28:29], v[122:123] neg_lo:[0,1] neg_hi:[0,1]
	v_pk_add_f32 v[14:15], v[14:15], v[120:121] neg_lo:[0,1] neg_hi:[0,1]
	s_wait_dscnt 0x0
	v_pk_mul_f32 v[108:109], v[106:107], v[118:119] op_sel:[0,1]
	s_delay_alu instid0(VALU_DEP_1) | instskip(SKIP_1) | instid1(VALU_DEP_1)
	v_pk_fma_f32 v[118:119], v[106:107], v[116:117], v[108:109] op_sel:[0,0,1] op_sel_hi:[1,1,0] neg_lo:[0,0,1] neg_hi:[0,0,1]
	v_pk_fma_f32 v[106:107], v[106:107], v[116:117], v[108:109] op_sel:[0,0,1] op_sel_hi:[1,0,0]
	v_mov_b32_e32 v119, v107
	s_delay_alu instid0(VALU_DEP_1)
	v_pk_add_f32 v[104:105], v[104:105], v[118:119] neg_lo:[0,1] neg_hi:[0,1]
.LBB98_860:
	s_or_b32 exec_lo, exec_lo, s0
	v_lshl_add_u32 v106, v114, 3, v110
	s_barrier_signal -1
	s_barrier_wait -1
	ds_store_b64 v106, v[10:11]
	s_wait_dscnt 0x0
	s_barrier_signal -1
	s_barrier_wait -1
	ds_load_b64 v[106:107], v110 offset:328
	v_mov_b32_e32 v108, 41
	s_cmp_lt_i32 s18, 43
	s_cbranch_scc1 .LBB98_863
; %bb.861:
	v_add3_u32 v109, v111, 0, 0x150
	v_mov_b32_e32 v108, 41
	s_mov_b32 s0, 42
.LBB98_862:                             ; =>This Inner Loop Header: Depth=1
	ds_load_b64 v[116:117], v109
	s_wait_dscnt 0x1
	v_cmp_gt_f32_e32 vcc_lo, 0, v106
	v_cndmask_b32_e64 v118, v106, -v106, vcc_lo
	v_cmp_gt_f32_e32 vcc_lo, 0, v107
	v_cndmask_b32_e64 v120, v107, -v107, vcc_lo
	s_wait_dscnt 0x0
	v_cmp_gt_f32_e32 vcc_lo, 0, v116
	v_cndmask_b32_e64 v119, v116, -v116, vcc_lo
	v_cmp_gt_f32_e32 vcc_lo, 0, v117
	v_cndmask_b32_e64 v121, v117, -v117, vcc_lo
	s_delay_alu instid0(VALU_DEP_1) | instskip(NEXT) | instid1(VALU_DEP_1)
	v_pk_add_f32 v[118:119], v[118:119], v[120:121]
	v_cmp_lt_f32_e32 vcc_lo, v118, v119
	v_dual_cndmask_b32 v106, v106, v116 :: v_dual_add_nc_u32 v109, 8, v109
	v_cndmask_b32_e32 v107, v107, v117, vcc_lo
	v_cndmask_b32_e64 v108, v108, s0, vcc_lo
	s_add_co_i32 s0, s0, 1
	s_delay_alu instid0(SALU_CYCLE_1)
	s_cmp_lg_u32 s18, s0
	s_cbranch_scc1 .LBB98_862
.LBB98_863:
	s_wait_dscnt 0x0
	v_cmp_eq_f32_e32 vcc_lo, 0, v106
	v_cmp_eq_f32_e64 s0, 0, v107
	s_and_b32 s0, vcc_lo, s0
	s_delay_alu instid0(SALU_CYCLE_1) | instskip(NEXT) | instid1(SALU_CYCLE_1)
	s_and_saveexec_b32 s1, s0
	s_xor_b32 s0, exec_lo, s1
; %bb.864:
	v_cmp_ne_u32_e32 vcc_lo, 0, v112
	v_cndmask_b32_e32 v112, 42, v112, vcc_lo
; %bb.865:
	s_and_not1_saveexec_b32 s0, s0
	s_cbranch_execz .LBB98_871
; %bb.866:
	v_cmp_ngt_f32_e64 s1, |v106|, |v107|
	s_and_saveexec_b32 s12, s1
	s_delay_alu instid0(SALU_CYCLE_1)
	s_xor_b32 s1, exec_lo, s12
	s_cbranch_execz .LBB98_868
; %bb.867:
	v_div_scale_f32 v109, null, v107, v107, v106
	v_div_scale_f32 v117, vcc_lo, v106, v107, v106
	s_delay_alu instid0(VALU_DEP_2) | instskip(SKIP_1) | instid1(TRANS32_DEP_1)
	v_rcp_f32_e32 v115, v109
	v_nop
	v_fma_f32 v116, -v109, v115, 1.0
	s_delay_alu instid0(VALU_DEP_1) | instskip(NEXT) | instid1(VALU_DEP_1)
	v_fmac_f32_e32 v115, v116, v115
	v_mul_f32_e32 v116, v117, v115
	s_delay_alu instid0(VALU_DEP_1) | instskip(NEXT) | instid1(VALU_DEP_1)
	v_fma_f32 v118, -v109, v116, v117
	v_fmac_f32_e32 v116, v118, v115
	s_delay_alu instid0(VALU_DEP_1) | instskip(NEXT) | instid1(VALU_DEP_1)
	v_fma_f32 v109, -v109, v116, v117
	v_div_fmas_f32 v109, v109, v115, v116
	s_delay_alu instid0(VALU_DEP_1) | instskip(NEXT) | instid1(VALU_DEP_1)
	v_div_fixup_f32 v109, v109, v107, v106
	v_fmac_f32_e32 v107, v106, v109
	s_delay_alu instid0(VALU_DEP_1) | instskip(SKIP_1) | instid1(VALU_DEP_2)
	v_div_scale_f32 v106, null, v107, v107, 1.0
	v_div_scale_f32 v117, vcc_lo, 1.0, v107, 1.0
	v_rcp_f32_e32 v115, v106
	v_nop
	s_delay_alu instid0(TRANS32_DEP_1) | instskip(NEXT) | instid1(VALU_DEP_1)
	v_fma_f32 v116, -v106, v115, 1.0
	v_fmac_f32_e32 v115, v116, v115
	s_delay_alu instid0(VALU_DEP_1) | instskip(NEXT) | instid1(VALU_DEP_1)
	v_mul_f32_e32 v116, v117, v115
	v_fma_f32 v118, -v106, v116, v117
	s_delay_alu instid0(VALU_DEP_1) | instskip(NEXT) | instid1(VALU_DEP_1)
	v_fmac_f32_e32 v116, v118, v115
	v_fma_f32 v106, -v106, v116, v117
	s_delay_alu instid0(VALU_DEP_1) | instskip(NEXT) | instid1(VALU_DEP_1)
	v_div_fmas_f32 v106, v106, v115, v116
	v_div_fixup_f32 v107, v106, v107, 1.0
	s_delay_alu instid0(VALU_DEP_1)
	v_mul_f32_e32 v106, v109, v107
	v_xor_b32_e32 v107, 0x80000000, v107
.LBB98_868:
	s_and_not1_saveexec_b32 s1, s1
	s_cbranch_execz .LBB98_870
; %bb.869:
	s_delay_alu instid0(VALU_DEP_1) | instskip(SKIP_1) | instid1(VALU_DEP_2)
	v_div_scale_f32 v109, null, v106, v106, v107
	v_div_scale_f32 v117, vcc_lo, v107, v106, v107
	v_rcp_f32_e32 v115, v109
	v_nop
	s_delay_alu instid0(TRANS32_DEP_1) | instskip(NEXT) | instid1(VALU_DEP_1)
	v_fma_f32 v116, -v109, v115, 1.0
	v_fmac_f32_e32 v115, v116, v115
	s_delay_alu instid0(VALU_DEP_1) | instskip(NEXT) | instid1(VALU_DEP_1)
	v_mul_f32_e32 v116, v117, v115
	v_fma_f32 v118, -v109, v116, v117
	s_delay_alu instid0(VALU_DEP_1) | instskip(NEXT) | instid1(VALU_DEP_1)
	v_fmac_f32_e32 v116, v118, v115
	v_fma_f32 v109, -v109, v116, v117
	s_delay_alu instid0(VALU_DEP_1) | instskip(NEXT) | instid1(VALU_DEP_1)
	v_div_fmas_f32 v109, v109, v115, v116
	v_div_fixup_f32 v109, v109, v106, v107
	s_delay_alu instid0(VALU_DEP_1) | instskip(NEXT) | instid1(VALU_DEP_1)
	v_fmac_f32_e32 v106, v107, v109
	v_div_scale_f32 v107, null, v106, v106, 1.0
	s_delay_alu instid0(VALU_DEP_1) | instskip(SKIP_1) | instid1(TRANS32_DEP_1)
	v_rcp_f32_e32 v115, v107
	v_nop
	v_fma_f32 v116, -v107, v115, 1.0
	s_delay_alu instid0(VALU_DEP_1) | instskip(SKIP_1) | instid1(VALU_DEP_1)
	v_fmac_f32_e32 v115, v116, v115
	v_div_scale_f32 v116, vcc_lo, 1.0, v106, 1.0
	v_mul_f32_e32 v117, v116, v115
	s_delay_alu instid0(VALU_DEP_1) | instskip(NEXT) | instid1(VALU_DEP_1)
	v_fma_f32 v118, -v107, v117, v116
	v_fmac_f32_e32 v117, v118, v115
	s_delay_alu instid0(VALU_DEP_1) | instskip(NEXT) | instid1(VALU_DEP_1)
	v_fma_f32 v107, -v107, v117, v116
	v_div_fmas_f32 v107, v107, v115, v117
	s_delay_alu instid0(VALU_DEP_1) | instskip(NEXT) | instid1(VALU_DEP_1)
	v_div_fixup_f32 v106, v107, v106, 1.0
	v_mul_f32_e64 v107, v109, -v106
.LBB98_870:
	s_or_b32 exec_lo, exec_lo, s1
.LBB98_871:
	s_delay_alu instid0(SALU_CYCLE_1) | instskip(NEXT) | instid1(SALU_CYCLE_1)
	s_or_b32 exec_lo, exec_lo, s0
	s_mov_b32 s0, exec_lo
	v_cmpx_ne_u32_e64 v114, v108
	s_xor_b32 s0, exec_lo, s0
	s_cbranch_execz .LBB98_877
; %bb.872:
	s_mov_b32 s1, exec_lo
	v_cmpx_eq_u32_e32 41, v114
	s_cbranch_execz .LBB98_876
; %bb.873:
	v_cmp_ne_u32_e32 vcc_lo, 41, v108
	s_xor_b32 s12, s16, -1
	s_delay_alu instid0(SALU_CYCLE_1) | instskip(NEXT) | instid1(SALU_CYCLE_1)
	s_and_b32 s13, s12, vcc_lo
	s_and_saveexec_b32 s12, s13
	s_cbranch_execz .LBB98_875
; %bb.874:
	v_ashrrev_i32_e32 v109, 31, v108
	s_delay_alu instid0(VALU_DEP_1)
	v_lshl_add_u64 v[114:115], v[108:109], 2, v[4:5]
	s_clause 0x1
	global_load_b32 v109, v[114:115], off
	global_load_b32 v113, v[4:5], off offset:164
	s_wait_loadcnt 0x1
	global_store_b32 v[4:5], v109, off offset:164
	s_wait_loadcnt 0x0
	global_store_b32 v[114:115], v113, off
.LBB98_875:
	s_wait_xcnt 0x0
	s_or_b32 exec_lo, exec_lo, s12
	v_dual_mov_b32 v114, v108 :: v_dual_mov_b32 v113, v108
.LBB98_876:
	s_or_b32 exec_lo, exec_lo, s1
.LBB98_877:
	s_and_not1_saveexec_b32 s0, s0
	s_cbranch_execz .LBB98_879
; %bb.878:
	v_dual_mov_b32 v108, v12 :: v_dual_mov_b32 v109, v13
	v_dual_mov_b32 v116, v8 :: v_dual_mov_b32 v117, v9
	;; [unrolled: 1-line block ×7, first 2 shown]
	v_mov_b32_e32 v127, v15
	ds_store_2addr_b64 v110, v[108:109], v[116:117] offset0:42 offset1:43
	ds_store_2addr_b64 v110, v[118:119], v[120:121] offset0:44 offset1:45
	;; [unrolled: 1-line block ×4, first 2 shown]
.LBB98_879:
	s_or_b32 exec_lo, exec_lo, s0
	s_delay_alu instid0(SALU_CYCLE_1)
	s_mov_b32 s0, exec_lo
	s_wait_storecnt_dscnt 0x0
	s_barrier_signal -1
	s_barrier_wait -1
	v_cmpx_lt_i32_e32 41, v114
	s_cbranch_execz .LBB98_881
; %bb.880:
	v_pk_mul_f32 v[108:109], v[106:107], v[10:11] op_sel:[1,1] op_sel_hi:[0,1]
	s_delay_alu instid0(VALU_DEP_1)
	v_pk_fma_f32 v[116:117], v[106:107], v[10:11], v[108:109] op_sel_hi:[1,0,1] neg_lo:[0,0,1] neg_hi:[0,0,1]
	v_pk_fma_f32 v[118:119], v[106:107], v[10:11], v[108:109] op_sel_hi:[1,0,1]
	ds_load_2addr_b64 v[106:109], v110 offset0:42 offset1:43
	v_dual_mov_b32 v10, v116 :: v_dual_mov_b32 v11, v119
	s_wait_dscnt 0x0
	v_pk_mul_f32 v[120:121], v[106:107], v[118:119] op_sel:[0,1]
	s_delay_alu instid0(VALU_DEP_1) | instskip(SKIP_1) | instid1(VALU_DEP_1)
	v_pk_fma_f32 v[122:123], v[106:107], v[116:117], v[120:121] op_sel:[0,0,1] op_sel_hi:[1,1,0] neg_lo:[0,0,1] neg_hi:[0,0,1]
	v_pk_fma_f32 v[106:107], v[106:107], v[116:117], v[120:121] op_sel:[0,0,1] op_sel_hi:[1,0,0]
	v_mov_b32_e32 v123, v107
	v_pk_mul_f32 v[106:107], v[108:109], v[118:119] op_sel:[0,1]
	s_delay_alu instid0(VALU_DEP_1) | instskip(SKIP_1) | instid1(VALU_DEP_1)
	v_pk_fma_f32 v[120:121], v[108:109], v[116:117], v[106:107] op_sel:[0,0,1] op_sel_hi:[1,1,0] neg_lo:[0,0,1] neg_hi:[0,0,1]
	v_pk_fma_f32 v[106:107], v[108:109], v[116:117], v[106:107] op_sel:[0,0,1] op_sel_hi:[1,0,0]
	v_mov_b32_e32 v121, v107
	ds_load_2addr_b64 v[106:109], v110 offset0:44 offset1:45
	v_pk_add_f32 v[12:13], v[12:13], v[122:123] neg_lo:[0,1] neg_hi:[0,1]
	v_pk_add_f32 v[8:9], v[8:9], v[120:121] neg_lo:[0,1] neg_hi:[0,1]
	s_wait_dscnt 0x0
	v_pk_mul_f32 v[120:121], v[106:107], v[118:119] op_sel:[0,1]
	s_delay_alu instid0(VALU_DEP_1) | instskip(SKIP_2) | instid1(VALU_DEP_2)
	v_pk_fma_f32 v[122:123], v[106:107], v[116:117], v[120:121] op_sel:[0,0,1] op_sel_hi:[1,1,0] neg_lo:[0,0,1] neg_hi:[0,0,1]
	v_pk_fma_f32 v[106:107], v[106:107], v[116:117], v[120:121] op_sel:[0,0,1] op_sel_hi:[1,0,0]
	v_dual_mul_f32 v120, v109, v119 :: v_dual_mov_b32 v106, v109
	v_dual_mov_b32 v123, v107 :: v_dual_mov_b32 v107, v108
	s_delay_alu instid0(VALU_DEP_2) | instskip(SKIP_1) | instid1(VALU_DEP_3)
	v_pk_fma_f32 v[120:121], v[108:109], v[10:11], v[120:121] op_sel_hi:[1,1,0] neg_lo:[0,0,1] neg_hi:[0,0,1]
	v_mul_f32_e32 v108, v109, v116
	v_pk_add_f32 v[70:71], v[70:71], v[122:123] neg_lo:[0,1] neg_hi:[0,1]
	s_delay_alu instid0(VALU_DEP_2) | instskip(NEXT) | instid1(VALU_DEP_1)
	v_pk_fma_f32 v[106:107], v[106:107], v[10:11], v[108:109] op_sel_hi:[1,1,0]
	v_mov_b32_e32 v121, v107
	ds_load_2addr_b64 v[106:109], v110 offset0:46 offset1:47
	v_pk_add_f32 v[6:7], v[6:7], v[120:121] neg_lo:[0,1] neg_hi:[0,1]
	s_wait_dscnt 0x0
	v_pk_mul_f32 v[120:121], v[106:107], v[118:119] op_sel:[0,1]
	s_delay_alu instid0(VALU_DEP_1) | instskip(SKIP_1) | instid1(VALU_DEP_1)
	v_pk_fma_f32 v[122:123], v[106:107], v[116:117], v[120:121] op_sel:[0,0,1] op_sel_hi:[1,1,0] neg_lo:[0,0,1] neg_hi:[0,0,1]
	v_pk_fma_f32 v[106:107], v[106:107], v[116:117], v[120:121] op_sel:[0,0,1] op_sel_hi:[1,0,0]
	v_mov_b32_e32 v123, v107
	v_pk_mul_f32 v[106:107], v[108:109], v[118:119] op_sel:[0,1]
	s_delay_alu instid0(VALU_DEP_1) | instskip(SKIP_1) | instid1(VALU_DEP_1)
	v_pk_fma_f32 v[120:121], v[108:109], v[116:117], v[106:107] op_sel:[0,0,1] op_sel_hi:[1,1,0] neg_lo:[0,0,1] neg_hi:[0,0,1]
	v_pk_fma_f32 v[106:107], v[108:109], v[116:117], v[106:107] op_sel:[0,0,1] op_sel_hi:[1,0,0]
	v_mov_b32_e32 v121, v107
	ds_load_2addr_b64 v[106:109], v110 offset0:48 offset1:49
	v_pk_add_f32 v[46:47], v[46:47], v[122:123] neg_lo:[0,1] neg_hi:[0,1]
	v_pk_add_f32 v[28:29], v[28:29], v[120:121] neg_lo:[0,1] neg_hi:[0,1]
	s_wait_dscnt 0x0
	v_pk_mul_f32 v[120:121], v[106:107], v[118:119] op_sel:[0,1]
	s_delay_alu instid0(VALU_DEP_1) | instskip(SKIP_1) | instid1(VALU_DEP_1)
	v_pk_fma_f32 v[122:123], v[106:107], v[116:117], v[120:121] op_sel:[0,0,1] op_sel_hi:[1,1,0] neg_lo:[0,0,1] neg_hi:[0,0,1]
	v_pk_fma_f32 v[106:107], v[106:107], v[116:117], v[120:121] op_sel:[0,0,1] op_sel_hi:[1,0,0]
	v_mov_b32_e32 v123, v107
	v_pk_mul_f32 v[106:107], v[108:109], v[118:119] op_sel:[0,1]
	s_delay_alu instid0(VALU_DEP_1) | instskip(SKIP_1) | instid1(VALU_DEP_1)
	v_pk_fma_f32 v[118:119], v[108:109], v[116:117], v[106:107] op_sel:[0,0,1] op_sel_hi:[1,1,0] neg_lo:[0,0,1] neg_hi:[0,0,1]
	v_pk_fma_f32 v[106:107], v[108:109], v[116:117], v[106:107] op_sel:[0,0,1] op_sel_hi:[1,0,0]
	v_mov_b32_e32 v119, v107
	v_pk_add_f32 v[14:15], v[14:15], v[122:123] neg_lo:[0,1] neg_hi:[0,1]
	s_delay_alu instid0(VALU_DEP_2)
	v_pk_add_f32 v[104:105], v[104:105], v[118:119] neg_lo:[0,1] neg_hi:[0,1]
.LBB98_881:
	s_or_b32 exec_lo, exec_lo, s0
	v_lshl_add_u32 v106, v114, 3, v110
	s_barrier_signal -1
	s_barrier_wait -1
	ds_store_b64 v106, v[12:13]
	s_wait_dscnt 0x0
	s_barrier_signal -1
	s_barrier_wait -1
	ds_load_b64 v[106:107], v110 offset:336
	v_mov_b32_e32 v108, 42
	s_cmp_lt_i32 s18, 44
	s_cbranch_scc1 .LBB98_884
; %bb.882:
	v_add3_u32 v109, v111, 0, 0x158
	v_mov_b32_e32 v108, 42
	s_mov_b32 s0, 43
.LBB98_883:                             ; =>This Inner Loop Header: Depth=1
	ds_load_b64 v[116:117], v109
	s_wait_dscnt 0x1
	v_cmp_gt_f32_e32 vcc_lo, 0, v106
	v_cndmask_b32_e64 v118, v106, -v106, vcc_lo
	v_cmp_gt_f32_e32 vcc_lo, 0, v107
	v_cndmask_b32_e64 v120, v107, -v107, vcc_lo
	s_wait_dscnt 0x0
	v_cmp_gt_f32_e32 vcc_lo, 0, v116
	v_cndmask_b32_e64 v119, v116, -v116, vcc_lo
	v_cmp_gt_f32_e32 vcc_lo, 0, v117
	v_cndmask_b32_e64 v121, v117, -v117, vcc_lo
	s_delay_alu instid0(VALU_DEP_1) | instskip(NEXT) | instid1(VALU_DEP_1)
	v_pk_add_f32 v[118:119], v[118:119], v[120:121]
	v_cmp_lt_f32_e32 vcc_lo, v118, v119
	v_dual_cndmask_b32 v106, v106, v116 :: v_dual_add_nc_u32 v109, 8, v109
	v_cndmask_b32_e32 v107, v107, v117, vcc_lo
	v_cndmask_b32_e64 v108, v108, s0, vcc_lo
	s_add_co_i32 s0, s0, 1
	s_delay_alu instid0(SALU_CYCLE_1)
	s_cmp_lg_u32 s18, s0
	s_cbranch_scc1 .LBB98_883
.LBB98_884:
	s_wait_dscnt 0x0
	v_cmp_eq_f32_e32 vcc_lo, 0, v106
	v_cmp_eq_f32_e64 s0, 0, v107
	s_and_b32 s0, vcc_lo, s0
	s_delay_alu instid0(SALU_CYCLE_1) | instskip(NEXT) | instid1(SALU_CYCLE_1)
	s_and_saveexec_b32 s1, s0
	s_xor_b32 s0, exec_lo, s1
; %bb.885:
	v_cmp_ne_u32_e32 vcc_lo, 0, v112
	v_cndmask_b32_e32 v112, 43, v112, vcc_lo
; %bb.886:
	s_and_not1_saveexec_b32 s0, s0
	s_cbranch_execz .LBB98_892
; %bb.887:
	v_cmp_ngt_f32_e64 s1, |v106|, |v107|
	s_and_saveexec_b32 s12, s1
	s_delay_alu instid0(SALU_CYCLE_1)
	s_xor_b32 s1, exec_lo, s12
	s_cbranch_execz .LBB98_889
; %bb.888:
	v_div_scale_f32 v109, null, v107, v107, v106
	v_div_scale_f32 v117, vcc_lo, v106, v107, v106
	s_delay_alu instid0(VALU_DEP_2) | instskip(SKIP_1) | instid1(TRANS32_DEP_1)
	v_rcp_f32_e32 v115, v109
	v_nop
	v_fma_f32 v116, -v109, v115, 1.0
	s_delay_alu instid0(VALU_DEP_1) | instskip(NEXT) | instid1(VALU_DEP_1)
	v_fmac_f32_e32 v115, v116, v115
	v_mul_f32_e32 v116, v117, v115
	s_delay_alu instid0(VALU_DEP_1) | instskip(NEXT) | instid1(VALU_DEP_1)
	v_fma_f32 v118, -v109, v116, v117
	v_fmac_f32_e32 v116, v118, v115
	s_delay_alu instid0(VALU_DEP_1) | instskip(NEXT) | instid1(VALU_DEP_1)
	v_fma_f32 v109, -v109, v116, v117
	v_div_fmas_f32 v109, v109, v115, v116
	s_delay_alu instid0(VALU_DEP_1) | instskip(NEXT) | instid1(VALU_DEP_1)
	v_div_fixup_f32 v109, v109, v107, v106
	v_fmac_f32_e32 v107, v106, v109
	s_delay_alu instid0(VALU_DEP_1) | instskip(SKIP_1) | instid1(VALU_DEP_2)
	v_div_scale_f32 v106, null, v107, v107, 1.0
	v_div_scale_f32 v117, vcc_lo, 1.0, v107, 1.0
	v_rcp_f32_e32 v115, v106
	v_nop
	s_delay_alu instid0(TRANS32_DEP_1) | instskip(NEXT) | instid1(VALU_DEP_1)
	v_fma_f32 v116, -v106, v115, 1.0
	v_fmac_f32_e32 v115, v116, v115
	s_delay_alu instid0(VALU_DEP_1) | instskip(NEXT) | instid1(VALU_DEP_1)
	v_mul_f32_e32 v116, v117, v115
	v_fma_f32 v118, -v106, v116, v117
	s_delay_alu instid0(VALU_DEP_1) | instskip(NEXT) | instid1(VALU_DEP_1)
	v_fmac_f32_e32 v116, v118, v115
	v_fma_f32 v106, -v106, v116, v117
	s_delay_alu instid0(VALU_DEP_1) | instskip(NEXT) | instid1(VALU_DEP_1)
	v_div_fmas_f32 v106, v106, v115, v116
	v_div_fixup_f32 v107, v106, v107, 1.0
	s_delay_alu instid0(VALU_DEP_1)
	v_mul_f32_e32 v106, v109, v107
	v_xor_b32_e32 v107, 0x80000000, v107
.LBB98_889:
	s_and_not1_saveexec_b32 s1, s1
	s_cbranch_execz .LBB98_891
; %bb.890:
	s_delay_alu instid0(VALU_DEP_1) | instskip(SKIP_1) | instid1(VALU_DEP_2)
	v_div_scale_f32 v109, null, v106, v106, v107
	v_div_scale_f32 v117, vcc_lo, v107, v106, v107
	v_rcp_f32_e32 v115, v109
	v_nop
	s_delay_alu instid0(TRANS32_DEP_1) | instskip(NEXT) | instid1(VALU_DEP_1)
	v_fma_f32 v116, -v109, v115, 1.0
	v_fmac_f32_e32 v115, v116, v115
	s_delay_alu instid0(VALU_DEP_1) | instskip(NEXT) | instid1(VALU_DEP_1)
	v_mul_f32_e32 v116, v117, v115
	v_fma_f32 v118, -v109, v116, v117
	s_delay_alu instid0(VALU_DEP_1) | instskip(NEXT) | instid1(VALU_DEP_1)
	v_fmac_f32_e32 v116, v118, v115
	v_fma_f32 v109, -v109, v116, v117
	s_delay_alu instid0(VALU_DEP_1) | instskip(NEXT) | instid1(VALU_DEP_1)
	v_div_fmas_f32 v109, v109, v115, v116
	v_div_fixup_f32 v109, v109, v106, v107
	s_delay_alu instid0(VALU_DEP_1) | instskip(NEXT) | instid1(VALU_DEP_1)
	v_fmac_f32_e32 v106, v107, v109
	v_div_scale_f32 v107, null, v106, v106, 1.0
	s_delay_alu instid0(VALU_DEP_1) | instskip(SKIP_1) | instid1(TRANS32_DEP_1)
	v_rcp_f32_e32 v115, v107
	v_nop
	v_fma_f32 v116, -v107, v115, 1.0
	s_delay_alu instid0(VALU_DEP_1) | instskip(SKIP_1) | instid1(VALU_DEP_1)
	v_fmac_f32_e32 v115, v116, v115
	v_div_scale_f32 v116, vcc_lo, 1.0, v106, 1.0
	v_mul_f32_e32 v117, v116, v115
	s_delay_alu instid0(VALU_DEP_1) | instskip(NEXT) | instid1(VALU_DEP_1)
	v_fma_f32 v118, -v107, v117, v116
	v_fmac_f32_e32 v117, v118, v115
	s_delay_alu instid0(VALU_DEP_1) | instskip(NEXT) | instid1(VALU_DEP_1)
	v_fma_f32 v107, -v107, v117, v116
	v_div_fmas_f32 v107, v107, v115, v117
	s_delay_alu instid0(VALU_DEP_1) | instskip(NEXT) | instid1(VALU_DEP_1)
	v_div_fixup_f32 v106, v107, v106, 1.0
	v_mul_f32_e64 v107, v109, -v106
.LBB98_891:
	s_or_b32 exec_lo, exec_lo, s1
.LBB98_892:
	s_delay_alu instid0(SALU_CYCLE_1) | instskip(NEXT) | instid1(SALU_CYCLE_1)
	s_or_b32 exec_lo, exec_lo, s0
	s_mov_b32 s0, exec_lo
	v_cmpx_ne_u32_e64 v114, v108
	s_xor_b32 s0, exec_lo, s0
	s_cbranch_execz .LBB98_898
; %bb.893:
	s_mov_b32 s1, exec_lo
	v_cmpx_eq_u32_e32 42, v114
	s_cbranch_execz .LBB98_897
; %bb.894:
	v_cmp_ne_u32_e32 vcc_lo, 42, v108
	s_xor_b32 s12, s16, -1
	s_delay_alu instid0(SALU_CYCLE_1) | instskip(NEXT) | instid1(SALU_CYCLE_1)
	s_and_b32 s13, s12, vcc_lo
	s_and_saveexec_b32 s12, s13
	s_cbranch_execz .LBB98_896
; %bb.895:
	v_ashrrev_i32_e32 v109, 31, v108
	s_delay_alu instid0(VALU_DEP_1)
	v_lshl_add_u64 v[114:115], v[108:109], 2, v[4:5]
	s_clause 0x1
	global_load_b32 v109, v[114:115], off
	global_load_b32 v113, v[4:5], off offset:168
	s_wait_loadcnt 0x1
	global_store_b32 v[4:5], v109, off offset:168
	s_wait_loadcnt 0x0
	global_store_b32 v[114:115], v113, off
.LBB98_896:
	s_wait_xcnt 0x0
	s_or_b32 exec_lo, exec_lo, s12
	v_dual_mov_b32 v114, v108 :: v_dual_mov_b32 v113, v108
.LBB98_897:
	s_or_b32 exec_lo, exec_lo, s1
.LBB98_898:
	s_and_not1_saveexec_b32 s0, s0
	s_cbranch_execz .LBB98_900
; %bb.899:
	v_mov_b32_e32 v114, 42
	ds_store_2addr_b64 v110, v[8:9], v[70:71] offset0:43 offset1:44
	ds_store_2addr_b64 v110, v[6:7], v[46:47] offset0:45 offset1:46
	;; [unrolled: 1-line block ×3, first 2 shown]
	ds_store_b64 v110, v[104:105] offset:392
.LBB98_900:
	s_or_b32 exec_lo, exec_lo, s0
	s_delay_alu instid0(SALU_CYCLE_1)
	s_mov_b32 s0, exec_lo
	s_wait_storecnt_dscnt 0x0
	s_barrier_signal -1
	s_barrier_wait -1
	v_cmpx_lt_i32_e32 42, v114
	s_cbranch_execz .LBB98_902
; %bb.901:
	v_pk_mul_f32 v[108:109], v[106:107], v[12:13] op_sel:[1,1] op_sel_hi:[0,1]
	s_delay_alu instid0(VALU_DEP_1)
	v_pk_fma_f32 v[116:117], v[106:107], v[12:13], v[108:109] op_sel_hi:[1,0,1] neg_lo:[0,0,1] neg_hi:[0,0,1]
	v_pk_fma_f32 v[118:119], v[106:107], v[12:13], v[108:109] op_sel_hi:[1,0,1]
	ds_load_2addr_b64 v[106:109], v110 offset0:43 offset1:44
	v_dual_mov_b32 v12, v116 :: v_dual_mov_b32 v13, v119
	s_wait_dscnt 0x0
	v_pk_mul_f32 v[120:121], v[106:107], v[118:119] op_sel:[0,1]
	s_delay_alu instid0(VALU_DEP_1) | instskip(SKIP_1) | instid1(VALU_DEP_1)
	v_pk_fma_f32 v[122:123], v[106:107], v[116:117], v[120:121] op_sel:[0,0,1] op_sel_hi:[1,1,0] neg_lo:[0,0,1] neg_hi:[0,0,1]
	v_pk_fma_f32 v[106:107], v[106:107], v[116:117], v[120:121] op_sel:[0,0,1] op_sel_hi:[1,0,0]
	v_mov_b32_e32 v123, v107
	v_pk_mul_f32 v[106:107], v[108:109], v[118:119] op_sel:[0,1]
	s_delay_alu instid0(VALU_DEP_1) | instskip(SKIP_1) | instid1(VALU_DEP_1)
	v_pk_fma_f32 v[120:121], v[108:109], v[116:117], v[106:107] op_sel:[0,0,1] op_sel_hi:[1,1,0] neg_lo:[0,0,1] neg_hi:[0,0,1]
	v_pk_fma_f32 v[106:107], v[108:109], v[116:117], v[106:107] op_sel:[0,0,1] op_sel_hi:[1,0,0]
	v_mov_b32_e32 v121, v107
	ds_load_2addr_b64 v[106:109], v110 offset0:45 offset1:46
	v_pk_add_f32 v[8:9], v[8:9], v[122:123] neg_lo:[0,1] neg_hi:[0,1]
	v_pk_add_f32 v[70:71], v[70:71], v[120:121] neg_lo:[0,1] neg_hi:[0,1]
	s_wait_dscnt 0x0
	v_pk_mul_f32 v[120:121], v[106:107], v[118:119] op_sel:[0,1]
	s_delay_alu instid0(VALU_DEP_1) | instskip(SKIP_2) | instid1(VALU_DEP_2)
	v_pk_fma_f32 v[122:123], v[106:107], v[116:117], v[120:121] op_sel:[0,0,1] op_sel_hi:[1,1,0] neg_lo:[0,0,1] neg_hi:[0,0,1]
	v_pk_fma_f32 v[106:107], v[106:107], v[116:117], v[120:121] op_sel:[0,0,1] op_sel_hi:[1,0,0]
	v_dual_mul_f32 v120, v109, v119 :: v_dual_mov_b32 v106, v109
	v_dual_mov_b32 v123, v107 :: v_dual_mov_b32 v107, v108
	s_delay_alu instid0(VALU_DEP_2) | instskip(SKIP_1) | instid1(VALU_DEP_3)
	v_pk_fma_f32 v[120:121], v[108:109], v[12:13], v[120:121] op_sel_hi:[1,1,0] neg_lo:[0,0,1] neg_hi:[0,0,1]
	v_mul_f32_e32 v108, v109, v116
	v_pk_add_f32 v[6:7], v[6:7], v[122:123] neg_lo:[0,1] neg_hi:[0,1]
	s_delay_alu instid0(VALU_DEP_2) | instskip(NEXT) | instid1(VALU_DEP_1)
	v_pk_fma_f32 v[106:107], v[106:107], v[12:13], v[108:109] op_sel_hi:[1,1,0]
	v_mov_b32_e32 v121, v107
	ds_load_2addr_b64 v[106:109], v110 offset0:47 offset1:48
	v_pk_add_f32 v[46:47], v[46:47], v[120:121] neg_lo:[0,1] neg_hi:[0,1]
	s_wait_dscnt 0x0
	v_pk_mul_f32 v[120:121], v[106:107], v[118:119] op_sel:[0,1]
	s_delay_alu instid0(VALU_DEP_1) | instskip(SKIP_1) | instid1(VALU_DEP_1)
	v_pk_fma_f32 v[122:123], v[106:107], v[116:117], v[120:121] op_sel:[0,0,1] op_sel_hi:[1,1,0] neg_lo:[0,0,1] neg_hi:[0,0,1]
	v_pk_fma_f32 v[106:107], v[106:107], v[116:117], v[120:121] op_sel:[0,0,1] op_sel_hi:[1,0,0]
	v_mov_b32_e32 v123, v107
	v_pk_mul_f32 v[106:107], v[108:109], v[118:119] op_sel:[0,1]
	s_delay_alu instid0(VALU_DEP_1) | instskip(SKIP_1) | instid1(VALU_DEP_1)
	v_pk_fma_f32 v[120:121], v[108:109], v[116:117], v[106:107] op_sel:[0,0,1] op_sel_hi:[1,1,0] neg_lo:[0,0,1] neg_hi:[0,0,1]
	v_pk_fma_f32 v[106:107], v[108:109], v[116:117], v[106:107] op_sel:[0,0,1] op_sel_hi:[1,0,0]
	v_mov_b32_e32 v121, v107
	ds_load_b64 v[106:107], v110 offset:392
	v_pk_add_f32 v[28:29], v[28:29], v[122:123] neg_lo:[0,1] neg_hi:[0,1]
	v_pk_add_f32 v[14:15], v[14:15], v[120:121] neg_lo:[0,1] neg_hi:[0,1]
	s_wait_dscnt 0x0
	v_pk_mul_f32 v[108:109], v[106:107], v[118:119] op_sel:[0,1]
	s_delay_alu instid0(VALU_DEP_1) | instskip(SKIP_1) | instid1(VALU_DEP_1)
	v_pk_fma_f32 v[118:119], v[106:107], v[116:117], v[108:109] op_sel:[0,0,1] op_sel_hi:[1,1,0] neg_lo:[0,0,1] neg_hi:[0,0,1]
	v_pk_fma_f32 v[106:107], v[106:107], v[116:117], v[108:109] op_sel:[0,0,1] op_sel_hi:[1,0,0]
	v_mov_b32_e32 v119, v107
	s_delay_alu instid0(VALU_DEP_1)
	v_pk_add_f32 v[104:105], v[104:105], v[118:119] neg_lo:[0,1] neg_hi:[0,1]
.LBB98_902:
	s_or_b32 exec_lo, exec_lo, s0
	v_lshl_add_u32 v106, v114, 3, v110
	s_barrier_signal -1
	s_barrier_wait -1
	ds_store_b64 v106, v[8:9]
	s_wait_dscnt 0x0
	s_barrier_signal -1
	s_barrier_wait -1
	ds_load_b64 v[106:107], v110 offset:344
	v_mov_b32_e32 v108, 43
	s_cmp_lt_i32 s18, 45
	s_cbranch_scc1 .LBB98_905
; %bb.903:
	v_add3_u32 v109, v111, 0, 0x160
	v_mov_b32_e32 v108, 43
	s_mov_b32 s0, 44
.LBB98_904:                             ; =>This Inner Loop Header: Depth=1
	ds_load_b64 v[116:117], v109
	s_wait_dscnt 0x1
	v_cmp_gt_f32_e32 vcc_lo, 0, v106
	v_cndmask_b32_e64 v118, v106, -v106, vcc_lo
	v_cmp_gt_f32_e32 vcc_lo, 0, v107
	v_cndmask_b32_e64 v120, v107, -v107, vcc_lo
	s_wait_dscnt 0x0
	v_cmp_gt_f32_e32 vcc_lo, 0, v116
	v_cndmask_b32_e64 v119, v116, -v116, vcc_lo
	v_cmp_gt_f32_e32 vcc_lo, 0, v117
	v_cndmask_b32_e64 v121, v117, -v117, vcc_lo
	s_delay_alu instid0(VALU_DEP_1) | instskip(NEXT) | instid1(VALU_DEP_1)
	v_pk_add_f32 v[118:119], v[118:119], v[120:121]
	v_cmp_lt_f32_e32 vcc_lo, v118, v119
	v_dual_cndmask_b32 v106, v106, v116 :: v_dual_add_nc_u32 v109, 8, v109
	v_cndmask_b32_e32 v107, v107, v117, vcc_lo
	v_cndmask_b32_e64 v108, v108, s0, vcc_lo
	s_add_co_i32 s0, s0, 1
	s_delay_alu instid0(SALU_CYCLE_1)
	s_cmp_lg_u32 s18, s0
	s_cbranch_scc1 .LBB98_904
.LBB98_905:
	s_wait_dscnt 0x0
	v_cmp_eq_f32_e32 vcc_lo, 0, v106
	v_cmp_eq_f32_e64 s0, 0, v107
	s_and_b32 s0, vcc_lo, s0
	s_delay_alu instid0(SALU_CYCLE_1) | instskip(NEXT) | instid1(SALU_CYCLE_1)
	s_and_saveexec_b32 s1, s0
	s_xor_b32 s0, exec_lo, s1
; %bb.906:
	v_cmp_ne_u32_e32 vcc_lo, 0, v112
	v_cndmask_b32_e32 v112, 44, v112, vcc_lo
; %bb.907:
	s_and_not1_saveexec_b32 s0, s0
	s_cbranch_execz .LBB98_913
; %bb.908:
	v_cmp_ngt_f32_e64 s1, |v106|, |v107|
	s_and_saveexec_b32 s12, s1
	s_delay_alu instid0(SALU_CYCLE_1)
	s_xor_b32 s1, exec_lo, s12
	s_cbranch_execz .LBB98_910
; %bb.909:
	v_div_scale_f32 v109, null, v107, v107, v106
	v_div_scale_f32 v117, vcc_lo, v106, v107, v106
	s_delay_alu instid0(VALU_DEP_2) | instskip(SKIP_1) | instid1(TRANS32_DEP_1)
	v_rcp_f32_e32 v115, v109
	v_nop
	v_fma_f32 v116, -v109, v115, 1.0
	s_delay_alu instid0(VALU_DEP_1) | instskip(NEXT) | instid1(VALU_DEP_1)
	v_fmac_f32_e32 v115, v116, v115
	v_mul_f32_e32 v116, v117, v115
	s_delay_alu instid0(VALU_DEP_1) | instskip(NEXT) | instid1(VALU_DEP_1)
	v_fma_f32 v118, -v109, v116, v117
	v_fmac_f32_e32 v116, v118, v115
	s_delay_alu instid0(VALU_DEP_1) | instskip(NEXT) | instid1(VALU_DEP_1)
	v_fma_f32 v109, -v109, v116, v117
	v_div_fmas_f32 v109, v109, v115, v116
	s_delay_alu instid0(VALU_DEP_1) | instskip(NEXT) | instid1(VALU_DEP_1)
	v_div_fixup_f32 v109, v109, v107, v106
	v_fmac_f32_e32 v107, v106, v109
	s_delay_alu instid0(VALU_DEP_1) | instskip(SKIP_1) | instid1(VALU_DEP_2)
	v_div_scale_f32 v106, null, v107, v107, 1.0
	v_div_scale_f32 v117, vcc_lo, 1.0, v107, 1.0
	v_rcp_f32_e32 v115, v106
	v_nop
	s_delay_alu instid0(TRANS32_DEP_1) | instskip(NEXT) | instid1(VALU_DEP_1)
	v_fma_f32 v116, -v106, v115, 1.0
	v_fmac_f32_e32 v115, v116, v115
	s_delay_alu instid0(VALU_DEP_1) | instskip(NEXT) | instid1(VALU_DEP_1)
	v_mul_f32_e32 v116, v117, v115
	v_fma_f32 v118, -v106, v116, v117
	s_delay_alu instid0(VALU_DEP_1) | instskip(NEXT) | instid1(VALU_DEP_1)
	v_fmac_f32_e32 v116, v118, v115
	v_fma_f32 v106, -v106, v116, v117
	s_delay_alu instid0(VALU_DEP_1) | instskip(NEXT) | instid1(VALU_DEP_1)
	v_div_fmas_f32 v106, v106, v115, v116
	v_div_fixup_f32 v107, v106, v107, 1.0
	s_delay_alu instid0(VALU_DEP_1)
	v_mul_f32_e32 v106, v109, v107
	v_xor_b32_e32 v107, 0x80000000, v107
.LBB98_910:
	s_and_not1_saveexec_b32 s1, s1
	s_cbranch_execz .LBB98_912
; %bb.911:
	s_delay_alu instid0(VALU_DEP_1) | instskip(SKIP_1) | instid1(VALU_DEP_2)
	v_div_scale_f32 v109, null, v106, v106, v107
	v_div_scale_f32 v117, vcc_lo, v107, v106, v107
	v_rcp_f32_e32 v115, v109
	v_nop
	s_delay_alu instid0(TRANS32_DEP_1) | instskip(NEXT) | instid1(VALU_DEP_1)
	v_fma_f32 v116, -v109, v115, 1.0
	v_fmac_f32_e32 v115, v116, v115
	s_delay_alu instid0(VALU_DEP_1) | instskip(NEXT) | instid1(VALU_DEP_1)
	v_mul_f32_e32 v116, v117, v115
	v_fma_f32 v118, -v109, v116, v117
	s_delay_alu instid0(VALU_DEP_1) | instskip(NEXT) | instid1(VALU_DEP_1)
	v_fmac_f32_e32 v116, v118, v115
	v_fma_f32 v109, -v109, v116, v117
	s_delay_alu instid0(VALU_DEP_1) | instskip(NEXT) | instid1(VALU_DEP_1)
	v_div_fmas_f32 v109, v109, v115, v116
	v_div_fixup_f32 v109, v109, v106, v107
	s_delay_alu instid0(VALU_DEP_1) | instskip(NEXT) | instid1(VALU_DEP_1)
	v_fmac_f32_e32 v106, v107, v109
	v_div_scale_f32 v107, null, v106, v106, 1.0
	s_delay_alu instid0(VALU_DEP_1) | instskip(SKIP_1) | instid1(TRANS32_DEP_1)
	v_rcp_f32_e32 v115, v107
	v_nop
	v_fma_f32 v116, -v107, v115, 1.0
	s_delay_alu instid0(VALU_DEP_1) | instskip(SKIP_1) | instid1(VALU_DEP_1)
	v_fmac_f32_e32 v115, v116, v115
	v_div_scale_f32 v116, vcc_lo, 1.0, v106, 1.0
	v_mul_f32_e32 v117, v116, v115
	s_delay_alu instid0(VALU_DEP_1) | instskip(NEXT) | instid1(VALU_DEP_1)
	v_fma_f32 v118, -v107, v117, v116
	v_fmac_f32_e32 v117, v118, v115
	s_delay_alu instid0(VALU_DEP_1) | instskip(NEXT) | instid1(VALU_DEP_1)
	v_fma_f32 v107, -v107, v117, v116
	v_div_fmas_f32 v107, v107, v115, v117
	s_delay_alu instid0(VALU_DEP_1) | instskip(NEXT) | instid1(VALU_DEP_1)
	v_div_fixup_f32 v106, v107, v106, 1.0
	v_mul_f32_e64 v107, v109, -v106
.LBB98_912:
	s_or_b32 exec_lo, exec_lo, s1
.LBB98_913:
	s_delay_alu instid0(SALU_CYCLE_1) | instskip(NEXT) | instid1(SALU_CYCLE_1)
	s_or_b32 exec_lo, exec_lo, s0
	s_mov_b32 s0, exec_lo
	v_cmpx_ne_u32_e64 v114, v108
	s_xor_b32 s0, exec_lo, s0
	s_cbranch_execz .LBB98_919
; %bb.914:
	s_mov_b32 s1, exec_lo
	v_cmpx_eq_u32_e32 43, v114
	s_cbranch_execz .LBB98_918
; %bb.915:
	v_cmp_ne_u32_e32 vcc_lo, 43, v108
	s_xor_b32 s12, s16, -1
	s_delay_alu instid0(SALU_CYCLE_1) | instskip(NEXT) | instid1(SALU_CYCLE_1)
	s_and_b32 s13, s12, vcc_lo
	s_and_saveexec_b32 s12, s13
	s_cbranch_execz .LBB98_917
; %bb.916:
	v_ashrrev_i32_e32 v109, 31, v108
	s_delay_alu instid0(VALU_DEP_1)
	v_lshl_add_u64 v[114:115], v[108:109], 2, v[4:5]
	s_clause 0x1
	global_load_b32 v109, v[114:115], off
	global_load_b32 v113, v[4:5], off offset:172
	s_wait_loadcnt 0x1
	global_store_b32 v[4:5], v109, off offset:172
	s_wait_loadcnt 0x0
	global_store_b32 v[114:115], v113, off
.LBB98_917:
	s_wait_xcnt 0x0
	s_or_b32 exec_lo, exec_lo, s12
	v_dual_mov_b32 v114, v108 :: v_dual_mov_b32 v113, v108
.LBB98_918:
	s_or_b32 exec_lo, exec_lo, s1
.LBB98_919:
	s_and_not1_saveexec_b32 s0, s0
	s_cbranch_execz .LBB98_921
; %bb.920:
	v_dual_mov_b32 v108, v70 :: v_dual_mov_b32 v109, v71
	v_dual_mov_b32 v116, v6 :: v_dual_mov_b32 v117, v7
	;; [unrolled: 1-line block ×5, first 2 shown]
	v_mov_b32_e32 v123, v15
	ds_store_2addr_b64 v110, v[108:109], v[116:117] offset0:44 offset1:45
	ds_store_2addr_b64 v110, v[118:119], v[120:121] offset0:46 offset1:47
	ds_store_2addr_b64 v110, v[122:123], v[104:105] offset0:48 offset1:49
.LBB98_921:
	s_or_b32 exec_lo, exec_lo, s0
	s_delay_alu instid0(SALU_CYCLE_1)
	s_mov_b32 s0, exec_lo
	s_wait_storecnt_dscnt 0x0
	s_barrier_signal -1
	s_barrier_wait -1
	v_cmpx_lt_i32_e32 43, v114
	s_cbranch_execz .LBB98_923
; %bb.922:
	v_pk_mul_f32 v[108:109], v[106:107], v[8:9] op_sel:[1,1] op_sel_hi:[0,1]
	s_delay_alu instid0(VALU_DEP_1)
	v_pk_fma_f32 v[116:117], v[106:107], v[8:9], v[108:109] op_sel_hi:[1,0,1] neg_lo:[0,0,1] neg_hi:[0,0,1]
	v_pk_fma_f32 v[118:119], v[106:107], v[8:9], v[108:109] op_sel_hi:[1,0,1]
	ds_load_2addr_b64 v[106:109], v110 offset0:44 offset1:45
	v_dual_mov_b32 v8, v116 :: v_dual_mov_b32 v9, v119
	s_wait_dscnt 0x0
	v_pk_mul_f32 v[120:121], v[106:107], v[118:119] op_sel:[0,1]
	s_delay_alu instid0(VALU_DEP_1) | instskip(SKIP_1) | instid1(VALU_DEP_1)
	v_pk_fma_f32 v[122:123], v[106:107], v[116:117], v[120:121] op_sel:[0,0,1] op_sel_hi:[1,1,0] neg_lo:[0,0,1] neg_hi:[0,0,1]
	v_pk_fma_f32 v[106:107], v[106:107], v[116:117], v[120:121] op_sel:[0,0,1] op_sel_hi:[1,0,0]
	v_mov_b32_e32 v123, v107
	v_pk_mul_f32 v[106:107], v[108:109], v[118:119] op_sel:[0,1]
	s_delay_alu instid0(VALU_DEP_1) | instskip(SKIP_1) | instid1(VALU_DEP_1)
	v_pk_fma_f32 v[120:121], v[108:109], v[116:117], v[106:107] op_sel:[0,0,1] op_sel_hi:[1,1,0] neg_lo:[0,0,1] neg_hi:[0,0,1]
	v_pk_fma_f32 v[106:107], v[108:109], v[116:117], v[106:107] op_sel:[0,0,1] op_sel_hi:[1,0,0]
	v_mov_b32_e32 v121, v107
	ds_load_2addr_b64 v[106:109], v110 offset0:46 offset1:47
	v_pk_add_f32 v[70:71], v[70:71], v[122:123] neg_lo:[0,1] neg_hi:[0,1]
	v_pk_add_f32 v[6:7], v[6:7], v[120:121] neg_lo:[0,1] neg_hi:[0,1]
	s_wait_dscnt 0x0
	v_pk_mul_f32 v[120:121], v[106:107], v[118:119] op_sel:[0,1]
	s_delay_alu instid0(VALU_DEP_1) | instskip(SKIP_2) | instid1(VALU_DEP_2)
	v_pk_fma_f32 v[122:123], v[106:107], v[116:117], v[120:121] op_sel:[0,0,1] op_sel_hi:[1,1,0] neg_lo:[0,0,1] neg_hi:[0,0,1]
	v_pk_fma_f32 v[106:107], v[106:107], v[116:117], v[120:121] op_sel:[0,0,1] op_sel_hi:[1,0,0]
	v_dual_mul_f32 v120, v109, v119 :: v_dual_mov_b32 v106, v109
	v_dual_mov_b32 v123, v107 :: v_dual_mov_b32 v107, v108
	s_delay_alu instid0(VALU_DEP_2) | instskip(SKIP_1) | instid1(VALU_DEP_3)
	v_pk_fma_f32 v[120:121], v[108:109], v[8:9], v[120:121] op_sel_hi:[1,1,0] neg_lo:[0,0,1] neg_hi:[0,0,1]
	v_mul_f32_e32 v108, v109, v116
	v_pk_add_f32 v[46:47], v[46:47], v[122:123] neg_lo:[0,1] neg_hi:[0,1]
	s_delay_alu instid0(VALU_DEP_2) | instskip(NEXT) | instid1(VALU_DEP_1)
	v_pk_fma_f32 v[106:107], v[106:107], v[8:9], v[108:109] op_sel_hi:[1,1,0]
	v_mov_b32_e32 v121, v107
	ds_load_2addr_b64 v[106:109], v110 offset0:48 offset1:49
	v_pk_add_f32 v[28:29], v[28:29], v[120:121] neg_lo:[0,1] neg_hi:[0,1]
	s_wait_dscnt 0x0
	v_pk_mul_f32 v[120:121], v[106:107], v[118:119] op_sel:[0,1]
	v_mul_f32_e32 v118, v109, v119
	s_delay_alu instid0(VALU_DEP_2) | instskip(SKIP_2) | instid1(VALU_DEP_4)
	v_pk_fma_f32 v[122:123], v[106:107], v[116:117], v[120:121] op_sel:[0,0,1] op_sel_hi:[1,1,0] neg_lo:[0,0,1] neg_hi:[0,0,1]
	v_pk_fma_f32 v[106:107], v[106:107], v[116:117], v[120:121] op_sel:[0,0,1] op_sel_hi:[1,0,0]
	v_mov_b32_e32 v106, v109
	v_pk_fma_f32 v[118:119], v[108:109], v[8:9], v[118:119] op_sel_hi:[1,1,0] neg_lo:[0,0,1] neg_hi:[0,0,1]
	s_delay_alu instid0(VALU_DEP_3) | instskip(SKIP_1) | instid1(VALU_DEP_2)
	v_dual_mov_b32 v123, v107 :: v_dual_mov_b32 v107, v108
	v_mul_f32_e32 v108, v109, v116
	v_pk_add_f32 v[14:15], v[14:15], v[122:123] neg_lo:[0,1] neg_hi:[0,1]
	s_delay_alu instid0(VALU_DEP_2) | instskip(NEXT) | instid1(VALU_DEP_1)
	v_pk_fma_f32 v[106:107], v[106:107], v[8:9], v[108:109] op_sel_hi:[1,1,0]
	v_mov_b32_e32 v119, v107
	s_delay_alu instid0(VALU_DEP_1)
	v_pk_add_f32 v[104:105], v[104:105], v[118:119] neg_lo:[0,1] neg_hi:[0,1]
.LBB98_923:
	s_or_b32 exec_lo, exec_lo, s0
	v_lshl_add_u32 v106, v114, 3, v110
	s_barrier_signal -1
	s_barrier_wait -1
	ds_store_b64 v106, v[70:71]
	s_wait_dscnt 0x0
	s_barrier_signal -1
	s_barrier_wait -1
	ds_load_b64 v[106:107], v110 offset:352
	v_mov_b32_e32 v108, 44
	s_cmp_lt_i32 s18, 46
	s_cbranch_scc1 .LBB98_926
; %bb.924:
	v_add3_u32 v109, v111, 0, 0x168
	v_mov_b32_e32 v108, 44
	s_mov_b32 s0, 45
.LBB98_925:                             ; =>This Inner Loop Header: Depth=1
	ds_load_b64 v[116:117], v109
	s_wait_dscnt 0x1
	v_cmp_gt_f32_e32 vcc_lo, 0, v106
	v_cndmask_b32_e64 v118, v106, -v106, vcc_lo
	v_cmp_gt_f32_e32 vcc_lo, 0, v107
	v_cndmask_b32_e64 v120, v107, -v107, vcc_lo
	s_wait_dscnt 0x0
	v_cmp_gt_f32_e32 vcc_lo, 0, v116
	v_cndmask_b32_e64 v119, v116, -v116, vcc_lo
	v_cmp_gt_f32_e32 vcc_lo, 0, v117
	v_cndmask_b32_e64 v121, v117, -v117, vcc_lo
	s_delay_alu instid0(VALU_DEP_1) | instskip(NEXT) | instid1(VALU_DEP_1)
	v_pk_add_f32 v[118:119], v[118:119], v[120:121]
	v_cmp_lt_f32_e32 vcc_lo, v118, v119
	v_dual_cndmask_b32 v106, v106, v116 :: v_dual_add_nc_u32 v109, 8, v109
	v_cndmask_b32_e32 v107, v107, v117, vcc_lo
	v_cndmask_b32_e64 v108, v108, s0, vcc_lo
	s_add_co_i32 s0, s0, 1
	s_delay_alu instid0(SALU_CYCLE_1)
	s_cmp_lg_u32 s18, s0
	s_cbranch_scc1 .LBB98_925
.LBB98_926:
	s_wait_dscnt 0x0
	v_cmp_eq_f32_e32 vcc_lo, 0, v106
	v_cmp_eq_f32_e64 s0, 0, v107
	s_and_b32 s0, vcc_lo, s0
	s_delay_alu instid0(SALU_CYCLE_1) | instskip(NEXT) | instid1(SALU_CYCLE_1)
	s_and_saveexec_b32 s1, s0
	s_xor_b32 s0, exec_lo, s1
; %bb.927:
	v_cmp_ne_u32_e32 vcc_lo, 0, v112
	v_cndmask_b32_e32 v112, 45, v112, vcc_lo
; %bb.928:
	s_and_not1_saveexec_b32 s0, s0
	s_cbranch_execz .LBB98_934
; %bb.929:
	v_cmp_ngt_f32_e64 s1, |v106|, |v107|
	s_and_saveexec_b32 s12, s1
	s_delay_alu instid0(SALU_CYCLE_1)
	s_xor_b32 s1, exec_lo, s12
	s_cbranch_execz .LBB98_931
; %bb.930:
	v_div_scale_f32 v109, null, v107, v107, v106
	v_div_scale_f32 v117, vcc_lo, v106, v107, v106
	s_delay_alu instid0(VALU_DEP_2) | instskip(SKIP_1) | instid1(TRANS32_DEP_1)
	v_rcp_f32_e32 v115, v109
	v_nop
	v_fma_f32 v116, -v109, v115, 1.0
	s_delay_alu instid0(VALU_DEP_1) | instskip(NEXT) | instid1(VALU_DEP_1)
	v_fmac_f32_e32 v115, v116, v115
	v_mul_f32_e32 v116, v117, v115
	s_delay_alu instid0(VALU_DEP_1) | instskip(NEXT) | instid1(VALU_DEP_1)
	v_fma_f32 v118, -v109, v116, v117
	v_fmac_f32_e32 v116, v118, v115
	s_delay_alu instid0(VALU_DEP_1) | instskip(NEXT) | instid1(VALU_DEP_1)
	v_fma_f32 v109, -v109, v116, v117
	v_div_fmas_f32 v109, v109, v115, v116
	s_delay_alu instid0(VALU_DEP_1) | instskip(NEXT) | instid1(VALU_DEP_1)
	v_div_fixup_f32 v109, v109, v107, v106
	v_fmac_f32_e32 v107, v106, v109
	s_delay_alu instid0(VALU_DEP_1) | instskip(SKIP_1) | instid1(VALU_DEP_2)
	v_div_scale_f32 v106, null, v107, v107, 1.0
	v_div_scale_f32 v117, vcc_lo, 1.0, v107, 1.0
	v_rcp_f32_e32 v115, v106
	v_nop
	s_delay_alu instid0(TRANS32_DEP_1) | instskip(NEXT) | instid1(VALU_DEP_1)
	v_fma_f32 v116, -v106, v115, 1.0
	v_fmac_f32_e32 v115, v116, v115
	s_delay_alu instid0(VALU_DEP_1) | instskip(NEXT) | instid1(VALU_DEP_1)
	v_mul_f32_e32 v116, v117, v115
	v_fma_f32 v118, -v106, v116, v117
	s_delay_alu instid0(VALU_DEP_1) | instskip(NEXT) | instid1(VALU_DEP_1)
	v_fmac_f32_e32 v116, v118, v115
	v_fma_f32 v106, -v106, v116, v117
	s_delay_alu instid0(VALU_DEP_1) | instskip(NEXT) | instid1(VALU_DEP_1)
	v_div_fmas_f32 v106, v106, v115, v116
	v_div_fixup_f32 v107, v106, v107, 1.0
	s_delay_alu instid0(VALU_DEP_1)
	v_mul_f32_e32 v106, v109, v107
	v_xor_b32_e32 v107, 0x80000000, v107
.LBB98_931:
	s_and_not1_saveexec_b32 s1, s1
	s_cbranch_execz .LBB98_933
; %bb.932:
	s_delay_alu instid0(VALU_DEP_1) | instskip(SKIP_1) | instid1(VALU_DEP_2)
	v_div_scale_f32 v109, null, v106, v106, v107
	v_div_scale_f32 v117, vcc_lo, v107, v106, v107
	v_rcp_f32_e32 v115, v109
	v_nop
	s_delay_alu instid0(TRANS32_DEP_1) | instskip(NEXT) | instid1(VALU_DEP_1)
	v_fma_f32 v116, -v109, v115, 1.0
	v_fmac_f32_e32 v115, v116, v115
	s_delay_alu instid0(VALU_DEP_1) | instskip(NEXT) | instid1(VALU_DEP_1)
	v_mul_f32_e32 v116, v117, v115
	v_fma_f32 v118, -v109, v116, v117
	s_delay_alu instid0(VALU_DEP_1) | instskip(NEXT) | instid1(VALU_DEP_1)
	v_fmac_f32_e32 v116, v118, v115
	v_fma_f32 v109, -v109, v116, v117
	s_delay_alu instid0(VALU_DEP_1) | instskip(NEXT) | instid1(VALU_DEP_1)
	v_div_fmas_f32 v109, v109, v115, v116
	v_div_fixup_f32 v109, v109, v106, v107
	s_delay_alu instid0(VALU_DEP_1) | instskip(NEXT) | instid1(VALU_DEP_1)
	v_fmac_f32_e32 v106, v107, v109
	v_div_scale_f32 v107, null, v106, v106, 1.0
	s_delay_alu instid0(VALU_DEP_1) | instskip(SKIP_1) | instid1(TRANS32_DEP_1)
	v_rcp_f32_e32 v115, v107
	v_nop
	v_fma_f32 v116, -v107, v115, 1.0
	s_delay_alu instid0(VALU_DEP_1) | instskip(SKIP_1) | instid1(VALU_DEP_1)
	v_fmac_f32_e32 v115, v116, v115
	v_div_scale_f32 v116, vcc_lo, 1.0, v106, 1.0
	v_mul_f32_e32 v117, v116, v115
	s_delay_alu instid0(VALU_DEP_1) | instskip(NEXT) | instid1(VALU_DEP_1)
	v_fma_f32 v118, -v107, v117, v116
	v_fmac_f32_e32 v117, v118, v115
	s_delay_alu instid0(VALU_DEP_1) | instskip(NEXT) | instid1(VALU_DEP_1)
	v_fma_f32 v107, -v107, v117, v116
	v_div_fmas_f32 v107, v107, v115, v117
	s_delay_alu instid0(VALU_DEP_1) | instskip(NEXT) | instid1(VALU_DEP_1)
	v_div_fixup_f32 v106, v107, v106, 1.0
	v_mul_f32_e64 v107, v109, -v106
.LBB98_933:
	s_or_b32 exec_lo, exec_lo, s1
.LBB98_934:
	s_delay_alu instid0(SALU_CYCLE_1) | instskip(NEXT) | instid1(SALU_CYCLE_1)
	s_or_b32 exec_lo, exec_lo, s0
	s_mov_b32 s0, exec_lo
	v_cmpx_ne_u32_e64 v114, v108
	s_xor_b32 s0, exec_lo, s0
	s_cbranch_execz .LBB98_940
; %bb.935:
	s_mov_b32 s1, exec_lo
	v_cmpx_eq_u32_e32 44, v114
	s_cbranch_execz .LBB98_939
; %bb.936:
	v_cmp_ne_u32_e32 vcc_lo, 44, v108
	s_xor_b32 s12, s16, -1
	s_delay_alu instid0(SALU_CYCLE_1) | instskip(NEXT) | instid1(SALU_CYCLE_1)
	s_and_b32 s13, s12, vcc_lo
	s_and_saveexec_b32 s12, s13
	s_cbranch_execz .LBB98_938
; %bb.937:
	v_ashrrev_i32_e32 v109, 31, v108
	s_delay_alu instid0(VALU_DEP_1)
	v_lshl_add_u64 v[114:115], v[108:109], 2, v[4:5]
	s_clause 0x1
	global_load_b32 v109, v[114:115], off
	global_load_b32 v113, v[4:5], off offset:176
	s_wait_loadcnt 0x1
	global_store_b32 v[4:5], v109, off offset:176
	s_wait_loadcnt 0x0
	global_store_b32 v[114:115], v113, off
.LBB98_938:
	s_wait_xcnt 0x0
	s_or_b32 exec_lo, exec_lo, s12
	v_dual_mov_b32 v114, v108 :: v_dual_mov_b32 v113, v108
.LBB98_939:
	s_or_b32 exec_lo, exec_lo, s1
.LBB98_940:
	s_and_not1_saveexec_b32 s0, s0
	s_cbranch_execz .LBB98_942
; %bb.941:
	v_mov_b32_e32 v114, 44
	ds_store_2addr_b64 v110, v[6:7], v[46:47] offset0:45 offset1:46
	ds_store_2addr_b64 v110, v[28:29], v[14:15] offset0:47 offset1:48
	ds_store_b64 v110, v[104:105] offset:392
.LBB98_942:
	s_or_b32 exec_lo, exec_lo, s0
	s_delay_alu instid0(SALU_CYCLE_1)
	s_mov_b32 s0, exec_lo
	s_wait_storecnt_dscnt 0x0
	s_barrier_signal -1
	s_barrier_wait -1
	v_cmpx_lt_i32_e32 44, v114
	s_cbranch_execz .LBB98_944
; %bb.943:
	v_pk_mul_f32 v[108:109], v[106:107], v[70:71] op_sel:[1,1] op_sel_hi:[0,1]
	s_delay_alu instid0(VALU_DEP_1)
	v_pk_fma_f32 v[116:117], v[106:107], v[70:71], v[108:109] op_sel_hi:[1,0,1] neg_lo:[0,0,1] neg_hi:[0,0,1]
	v_pk_fma_f32 v[118:119], v[106:107], v[70:71], v[108:109] op_sel_hi:[1,0,1]
	ds_load_2addr_b64 v[106:109], v110 offset0:45 offset1:46
	v_dual_mov_b32 v70, v116 :: v_dual_mov_b32 v71, v119
	s_wait_dscnt 0x0
	v_pk_mul_f32 v[120:121], v[106:107], v[118:119] op_sel:[0,1]
	s_delay_alu instid0(VALU_DEP_1) | instskip(SKIP_1) | instid1(VALU_DEP_1)
	v_pk_fma_f32 v[122:123], v[106:107], v[116:117], v[120:121] op_sel:[0,0,1] op_sel_hi:[1,1,0] neg_lo:[0,0,1] neg_hi:[0,0,1]
	v_pk_fma_f32 v[106:107], v[106:107], v[116:117], v[120:121] op_sel:[0,0,1] op_sel_hi:[1,0,0]
	v_mov_b32_e32 v123, v107
	v_pk_mul_f32 v[106:107], v[108:109], v[118:119] op_sel:[0,1]
	s_delay_alu instid0(VALU_DEP_1) | instskip(SKIP_1) | instid1(VALU_DEP_1)
	v_pk_fma_f32 v[120:121], v[108:109], v[116:117], v[106:107] op_sel:[0,0,1] op_sel_hi:[1,1,0] neg_lo:[0,0,1] neg_hi:[0,0,1]
	v_pk_fma_f32 v[106:107], v[108:109], v[116:117], v[106:107] op_sel:[0,0,1] op_sel_hi:[1,0,0]
	v_mov_b32_e32 v121, v107
	ds_load_2addr_b64 v[106:109], v110 offset0:47 offset1:48
	v_pk_add_f32 v[6:7], v[6:7], v[122:123] neg_lo:[0,1] neg_hi:[0,1]
	v_pk_add_f32 v[46:47], v[46:47], v[120:121] neg_lo:[0,1] neg_hi:[0,1]
	s_wait_dscnt 0x0
	v_pk_mul_f32 v[120:121], v[106:107], v[118:119] op_sel:[0,1]
	s_delay_alu instid0(VALU_DEP_1) | instskip(SKIP_2) | instid1(VALU_DEP_2)
	v_pk_fma_f32 v[122:123], v[106:107], v[116:117], v[120:121] op_sel:[0,0,1] op_sel_hi:[1,1,0] neg_lo:[0,0,1] neg_hi:[0,0,1]
	v_pk_fma_f32 v[106:107], v[106:107], v[116:117], v[120:121] op_sel:[0,0,1] op_sel_hi:[1,0,0]
	v_dual_mul_f32 v120, v109, v119 :: v_dual_mov_b32 v106, v109
	v_dual_mov_b32 v123, v107 :: v_dual_mov_b32 v107, v108
	s_delay_alu instid0(VALU_DEP_2) | instskip(SKIP_1) | instid1(VALU_DEP_3)
	v_pk_fma_f32 v[120:121], v[108:109], v[70:71], v[120:121] op_sel_hi:[1,1,0] neg_lo:[0,0,1] neg_hi:[0,0,1]
	v_mul_f32_e32 v108, v109, v116
	v_pk_add_f32 v[28:29], v[28:29], v[122:123] neg_lo:[0,1] neg_hi:[0,1]
	s_delay_alu instid0(VALU_DEP_2) | instskip(NEXT) | instid1(VALU_DEP_1)
	v_pk_fma_f32 v[106:107], v[106:107], v[70:71], v[108:109] op_sel_hi:[1,1,0]
	v_mov_b32_e32 v121, v107
	ds_load_b64 v[106:107], v110 offset:392
	v_pk_add_f32 v[14:15], v[14:15], v[120:121] neg_lo:[0,1] neg_hi:[0,1]
	s_wait_dscnt 0x0
	v_pk_mul_f32 v[108:109], v[106:107], v[118:119] op_sel:[0,1]
	s_delay_alu instid0(VALU_DEP_1) | instskip(SKIP_1) | instid1(VALU_DEP_1)
	v_pk_fma_f32 v[118:119], v[106:107], v[116:117], v[108:109] op_sel:[0,0,1] op_sel_hi:[1,1,0] neg_lo:[0,0,1] neg_hi:[0,0,1]
	v_pk_fma_f32 v[106:107], v[106:107], v[116:117], v[108:109] op_sel:[0,0,1] op_sel_hi:[1,0,0]
	v_mov_b32_e32 v119, v107
	s_delay_alu instid0(VALU_DEP_1)
	v_pk_add_f32 v[104:105], v[104:105], v[118:119] neg_lo:[0,1] neg_hi:[0,1]
.LBB98_944:
	s_or_b32 exec_lo, exec_lo, s0
	v_lshl_add_u32 v106, v114, 3, v110
	s_barrier_signal -1
	s_barrier_wait -1
	ds_store_b64 v106, v[6:7]
	s_wait_dscnt 0x0
	s_barrier_signal -1
	s_barrier_wait -1
	ds_load_b64 v[106:107], v110 offset:360
	v_mov_b32_e32 v108, 45
	s_cmp_lt_i32 s18, 47
	s_cbranch_scc1 .LBB98_947
; %bb.945:
	v_add3_u32 v109, v111, 0, 0x170
	v_mov_b32_e32 v108, 45
	s_mov_b32 s0, 46
.LBB98_946:                             ; =>This Inner Loop Header: Depth=1
	ds_load_b64 v[116:117], v109
	s_wait_dscnt 0x1
	v_cmp_gt_f32_e32 vcc_lo, 0, v106
	v_cndmask_b32_e64 v118, v106, -v106, vcc_lo
	v_cmp_gt_f32_e32 vcc_lo, 0, v107
	v_cndmask_b32_e64 v120, v107, -v107, vcc_lo
	s_wait_dscnt 0x0
	v_cmp_gt_f32_e32 vcc_lo, 0, v116
	v_cndmask_b32_e64 v119, v116, -v116, vcc_lo
	v_cmp_gt_f32_e32 vcc_lo, 0, v117
	v_cndmask_b32_e64 v121, v117, -v117, vcc_lo
	s_delay_alu instid0(VALU_DEP_1) | instskip(NEXT) | instid1(VALU_DEP_1)
	v_pk_add_f32 v[118:119], v[118:119], v[120:121]
	v_cmp_lt_f32_e32 vcc_lo, v118, v119
	v_dual_cndmask_b32 v106, v106, v116 :: v_dual_add_nc_u32 v109, 8, v109
	v_cndmask_b32_e32 v107, v107, v117, vcc_lo
	v_cndmask_b32_e64 v108, v108, s0, vcc_lo
	s_add_co_i32 s0, s0, 1
	s_delay_alu instid0(SALU_CYCLE_1)
	s_cmp_lg_u32 s18, s0
	s_cbranch_scc1 .LBB98_946
.LBB98_947:
	s_wait_dscnt 0x0
	v_cmp_eq_f32_e32 vcc_lo, 0, v106
	v_cmp_eq_f32_e64 s0, 0, v107
	s_and_b32 s0, vcc_lo, s0
	s_delay_alu instid0(SALU_CYCLE_1) | instskip(NEXT) | instid1(SALU_CYCLE_1)
	s_and_saveexec_b32 s1, s0
	s_xor_b32 s0, exec_lo, s1
; %bb.948:
	v_cmp_ne_u32_e32 vcc_lo, 0, v112
	v_cndmask_b32_e32 v112, 46, v112, vcc_lo
; %bb.949:
	s_and_not1_saveexec_b32 s0, s0
	s_cbranch_execz .LBB98_955
; %bb.950:
	v_cmp_ngt_f32_e64 s1, |v106|, |v107|
	s_and_saveexec_b32 s12, s1
	s_delay_alu instid0(SALU_CYCLE_1)
	s_xor_b32 s1, exec_lo, s12
	s_cbranch_execz .LBB98_952
; %bb.951:
	v_div_scale_f32 v109, null, v107, v107, v106
	v_div_scale_f32 v117, vcc_lo, v106, v107, v106
	s_delay_alu instid0(VALU_DEP_2) | instskip(SKIP_1) | instid1(TRANS32_DEP_1)
	v_rcp_f32_e32 v115, v109
	v_nop
	v_fma_f32 v116, -v109, v115, 1.0
	s_delay_alu instid0(VALU_DEP_1) | instskip(NEXT) | instid1(VALU_DEP_1)
	v_fmac_f32_e32 v115, v116, v115
	v_mul_f32_e32 v116, v117, v115
	s_delay_alu instid0(VALU_DEP_1) | instskip(NEXT) | instid1(VALU_DEP_1)
	v_fma_f32 v118, -v109, v116, v117
	v_fmac_f32_e32 v116, v118, v115
	s_delay_alu instid0(VALU_DEP_1) | instskip(NEXT) | instid1(VALU_DEP_1)
	v_fma_f32 v109, -v109, v116, v117
	v_div_fmas_f32 v109, v109, v115, v116
	s_delay_alu instid0(VALU_DEP_1) | instskip(NEXT) | instid1(VALU_DEP_1)
	v_div_fixup_f32 v109, v109, v107, v106
	v_fmac_f32_e32 v107, v106, v109
	s_delay_alu instid0(VALU_DEP_1) | instskip(SKIP_1) | instid1(VALU_DEP_2)
	v_div_scale_f32 v106, null, v107, v107, 1.0
	v_div_scale_f32 v117, vcc_lo, 1.0, v107, 1.0
	v_rcp_f32_e32 v115, v106
	v_nop
	s_delay_alu instid0(TRANS32_DEP_1) | instskip(NEXT) | instid1(VALU_DEP_1)
	v_fma_f32 v116, -v106, v115, 1.0
	v_fmac_f32_e32 v115, v116, v115
	s_delay_alu instid0(VALU_DEP_1) | instskip(NEXT) | instid1(VALU_DEP_1)
	v_mul_f32_e32 v116, v117, v115
	v_fma_f32 v118, -v106, v116, v117
	s_delay_alu instid0(VALU_DEP_1) | instskip(NEXT) | instid1(VALU_DEP_1)
	v_fmac_f32_e32 v116, v118, v115
	v_fma_f32 v106, -v106, v116, v117
	s_delay_alu instid0(VALU_DEP_1) | instskip(NEXT) | instid1(VALU_DEP_1)
	v_div_fmas_f32 v106, v106, v115, v116
	v_div_fixup_f32 v107, v106, v107, 1.0
	s_delay_alu instid0(VALU_DEP_1)
	v_mul_f32_e32 v106, v109, v107
	v_xor_b32_e32 v107, 0x80000000, v107
.LBB98_952:
	s_and_not1_saveexec_b32 s1, s1
	s_cbranch_execz .LBB98_954
; %bb.953:
	s_delay_alu instid0(VALU_DEP_1) | instskip(SKIP_1) | instid1(VALU_DEP_2)
	v_div_scale_f32 v109, null, v106, v106, v107
	v_div_scale_f32 v117, vcc_lo, v107, v106, v107
	v_rcp_f32_e32 v115, v109
	v_nop
	s_delay_alu instid0(TRANS32_DEP_1) | instskip(NEXT) | instid1(VALU_DEP_1)
	v_fma_f32 v116, -v109, v115, 1.0
	v_fmac_f32_e32 v115, v116, v115
	s_delay_alu instid0(VALU_DEP_1) | instskip(NEXT) | instid1(VALU_DEP_1)
	v_mul_f32_e32 v116, v117, v115
	v_fma_f32 v118, -v109, v116, v117
	s_delay_alu instid0(VALU_DEP_1) | instskip(NEXT) | instid1(VALU_DEP_1)
	v_fmac_f32_e32 v116, v118, v115
	v_fma_f32 v109, -v109, v116, v117
	s_delay_alu instid0(VALU_DEP_1) | instskip(NEXT) | instid1(VALU_DEP_1)
	v_div_fmas_f32 v109, v109, v115, v116
	v_div_fixup_f32 v109, v109, v106, v107
	s_delay_alu instid0(VALU_DEP_1) | instskip(NEXT) | instid1(VALU_DEP_1)
	v_fmac_f32_e32 v106, v107, v109
	v_div_scale_f32 v107, null, v106, v106, 1.0
	s_delay_alu instid0(VALU_DEP_1) | instskip(SKIP_1) | instid1(TRANS32_DEP_1)
	v_rcp_f32_e32 v115, v107
	v_nop
	v_fma_f32 v116, -v107, v115, 1.0
	s_delay_alu instid0(VALU_DEP_1) | instskip(SKIP_1) | instid1(VALU_DEP_1)
	v_fmac_f32_e32 v115, v116, v115
	v_div_scale_f32 v116, vcc_lo, 1.0, v106, 1.0
	v_mul_f32_e32 v117, v116, v115
	s_delay_alu instid0(VALU_DEP_1) | instskip(NEXT) | instid1(VALU_DEP_1)
	v_fma_f32 v118, -v107, v117, v116
	v_fmac_f32_e32 v117, v118, v115
	s_delay_alu instid0(VALU_DEP_1) | instskip(NEXT) | instid1(VALU_DEP_1)
	v_fma_f32 v107, -v107, v117, v116
	v_div_fmas_f32 v107, v107, v115, v117
	s_delay_alu instid0(VALU_DEP_1) | instskip(NEXT) | instid1(VALU_DEP_1)
	v_div_fixup_f32 v106, v107, v106, 1.0
	v_mul_f32_e64 v107, v109, -v106
.LBB98_954:
	s_or_b32 exec_lo, exec_lo, s1
.LBB98_955:
	s_delay_alu instid0(SALU_CYCLE_1) | instskip(NEXT) | instid1(SALU_CYCLE_1)
	s_or_b32 exec_lo, exec_lo, s0
	s_mov_b32 s0, exec_lo
	v_cmpx_ne_u32_e64 v114, v108
	s_xor_b32 s0, exec_lo, s0
	s_cbranch_execz .LBB98_961
; %bb.956:
	s_mov_b32 s1, exec_lo
	v_cmpx_eq_u32_e32 45, v114
	s_cbranch_execz .LBB98_960
; %bb.957:
	v_cmp_ne_u32_e32 vcc_lo, 45, v108
	s_xor_b32 s12, s16, -1
	s_delay_alu instid0(SALU_CYCLE_1) | instskip(NEXT) | instid1(SALU_CYCLE_1)
	s_and_b32 s13, s12, vcc_lo
	s_and_saveexec_b32 s12, s13
	s_cbranch_execz .LBB98_959
; %bb.958:
	v_ashrrev_i32_e32 v109, 31, v108
	s_delay_alu instid0(VALU_DEP_1)
	v_lshl_add_u64 v[114:115], v[108:109], 2, v[4:5]
	s_clause 0x1
	global_load_b32 v109, v[114:115], off
	global_load_b32 v113, v[4:5], off offset:180
	s_wait_loadcnt 0x1
	global_store_b32 v[4:5], v109, off offset:180
	s_wait_loadcnt 0x0
	global_store_b32 v[114:115], v113, off
.LBB98_959:
	s_wait_xcnt 0x0
	s_or_b32 exec_lo, exec_lo, s12
	v_dual_mov_b32 v114, v108 :: v_dual_mov_b32 v113, v108
.LBB98_960:
	s_or_b32 exec_lo, exec_lo, s1
.LBB98_961:
	s_and_not1_saveexec_b32 s0, s0
	s_cbranch_execz .LBB98_963
; %bb.962:
	v_dual_mov_b32 v108, v46 :: v_dual_mov_b32 v109, v47
	v_dual_mov_b32 v116, v28 :: v_dual_mov_b32 v117, v29
	;; [unrolled: 1-line block ×3, first 2 shown]
	v_mov_b32_e32 v119, v15
	ds_store_2addr_b64 v110, v[108:109], v[116:117] offset0:46 offset1:47
	ds_store_2addr_b64 v110, v[118:119], v[104:105] offset0:48 offset1:49
.LBB98_963:
	s_or_b32 exec_lo, exec_lo, s0
	s_delay_alu instid0(SALU_CYCLE_1)
	s_mov_b32 s0, exec_lo
	s_wait_storecnt_dscnt 0x0
	s_barrier_signal -1
	s_barrier_wait -1
	v_cmpx_lt_i32_e32 45, v114
	s_cbranch_execz .LBB98_965
; %bb.964:
	v_pk_mul_f32 v[108:109], v[106:107], v[6:7] op_sel:[1,1] op_sel_hi:[0,1]
	s_delay_alu instid0(VALU_DEP_1)
	v_pk_fma_f32 v[116:117], v[106:107], v[6:7], v[108:109] op_sel_hi:[1,0,1] neg_lo:[0,0,1] neg_hi:[0,0,1]
	v_pk_fma_f32 v[118:119], v[106:107], v[6:7], v[108:109] op_sel_hi:[1,0,1]
	ds_load_2addr_b64 v[106:109], v110 offset0:46 offset1:47
	v_dual_mov_b32 v6, v116 :: v_dual_mov_b32 v7, v119
	s_wait_dscnt 0x0
	v_pk_mul_f32 v[120:121], v[106:107], v[118:119] op_sel:[0,1]
	s_delay_alu instid0(VALU_DEP_1) | instskip(SKIP_1) | instid1(VALU_DEP_1)
	v_pk_fma_f32 v[122:123], v[106:107], v[116:117], v[120:121] op_sel:[0,0,1] op_sel_hi:[1,1,0] neg_lo:[0,0,1] neg_hi:[0,0,1]
	v_pk_fma_f32 v[106:107], v[106:107], v[116:117], v[120:121] op_sel:[0,0,1] op_sel_hi:[1,0,0]
	v_mov_b32_e32 v123, v107
	v_pk_mul_f32 v[106:107], v[108:109], v[118:119] op_sel:[0,1]
	s_delay_alu instid0(VALU_DEP_1) | instskip(SKIP_1) | instid1(VALU_DEP_1)
	v_pk_fma_f32 v[120:121], v[108:109], v[116:117], v[106:107] op_sel:[0,0,1] op_sel_hi:[1,1,0] neg_lo:[0,0,1] neg_hi:[0,0,1]
	v_pk_fma_f32 v[106:107], v[108:109], v[116:117], v[106:107] op_sel:[0,0,1] op_sel_hi:[1,0,0]
	v_mov_b32_e32 v121, v107
	ds_load_2addr_b64 v[106:109], v110 offset0:48 offset1:49
	v_pk_add_f32 v[46:47], v[46:47], v[122:123] neg_lo:[0,1] neg_hi:[0,1]
	v_pk_add_f32 v[28:29], v[28:29], v[120:121] neg_lo:[0,1] neg_hi:[0,1]
	s_wait_dscnt 0x0
	v_pk_mul_f32 v[120:121], v[106:107], v[118:119] op_sel:[0,1]
	s_delay_alu instid0(VALU_DEP_1) | instskip(SKIP_1) | instid1(VALU_DEP_1)
	v_pk_fma_f32 v[122:123], v[106:107], v[116:117], v[120:121] op_sel:[0,0,1] op_sel_hi:[1,1,0] neg_lo:[0,0,1] neg_hi:[0,0,1]
	v_pk_fma_f32 v[106:107], v[106:107], v[116:117], v[120:121] op_sel:[0,0,1] op_sel_hi:[1,0,0]
	v_dual_mov_b32 v106, v109 :: v_dual_mov_b32 v123, v107
	v_mov_b32_e32 v107, v108
	s_delay_alu instid0(VALU_DEP_2) | instskip(NEXT) | instid1(VALU_DEP_2)
	v_pk_add_f32 v[14:15], v[14:15], v[122:123] neg_lo:[0,1] neg_hi:[0,1]
	v_pk_mul_f32 v[106:107], v[106:107], v[118:119] op_sel:[0,1]
	s_delay_alu instid0(VALU_DEP_1) | instskip(SKIP_1) | instid1(VALU_DEP_1)
	v_pk_fma_f32 v[118:119], v[108:109], v[116:117], v[106:107] neg_lo:[0,0,1] neg_hi:[0,0,1]
	v_pk_fma_f32 v[106:107], v[108:109], v[116:117], v[106:107] op_sel_hi:[1,0,1]
	v_mov_b32_e32 v119, v107
	s_delay_alu instid0(VALU_DEP_1)
	v_pk_add_f32 v[104:105], v[104:105], v[118:119] neg_lo:[0,1] neg_hi:[0,1]
.LBB98_965:
	s_or_b32 exec_lo, exec_lo, s0
	v_lshl_add_u32 v106, v114, 3, v110
	s_barrier_signal -1
	s_barrier_wait -1
	ds_store_b64 v106, v[46:47]
	s_wait_dscnt 0x0
	s_barrier_signal -1
	s_barrier_wait -1
	ds_load_b64 v[106:107], v110 offset:368
	v_mov_b32_e32 v108, 46
	s_cmp_lt_i32 s18, 48
	s_cbranch_scc1 .LBB98_968
; %bb.966:
	v_add3_u32 v109, v111, 0, 0x178
	v_mov_b32_e32 v108, 46
	s_mov_b32 s0, 47
.LBB98_967:                             ; =>This Inner Loop Header: Depth=1
	ds_load_b64 v[116:117], v109
	s_wait_dscnt 0x1
	v_cmp_gt_f32_e32 vcc_lo, 0, v106
	v_cndmask_b32_e64 v118, v106, -v106, vcc_lo
	v_cmp_gt_f32_e32 vcc_lo, 0, v107
	v_cndmask_b32_e64 v120, v107, -v107, vcc_lo
	s_wait_dscnt 0x0
	v_cmp_gt_f32_e32 vcc_lo, 0, v116
	v_cndmask_b32_e64 v119, v116, -v116, vcc_lo
	v_cmp_gt_f32_e32 vcc_lo, 0, v117
	v_cndmask_b32_e64 v121, v117, -v117, vcc_lo
	s_delay_alu instid0(VALU_DEP_1) | instskip(NEXT) | instid1(VALU_DEP_1)
	v_pk_add_f32 v[118:119], v[118:119], v[120:121]
	v_cmp_lt_f32_e32 vcc_lo, v118, v119
	v_dual_cndmask_b32 v106, v106, v116 :: v_dual_add_nc_u32 v109, 8, v109
	v_cndmask_b32_e32 v107, v107, v117, vcc_lo
	v_cndmask_b32_e64 v108, v108, s0, vcc_lo
	s_add_co_i32 s0, s0, 1
	s_delay_alu instid0(SALU_CYCLE_1)
	s_cmp_lg_u32 s18, s0
	s_cbranch_scc1 .LBB98_967
.LBB98_968:
	s_wait_dscnt 0x0
	v_cmp_eq_f32_e32 vcc_lo, 0, v106
	v_cmp_eq_f32_e64 s0, 0, v107
	s_and_b32 s0, vcc_lo, s0
	s_delay_alu instid0(SALU_CYCLE_1) | instskip(NEXT) | instid1(SALU_CYCLE_1)
	s_and_saveexec_b32 s1, s0
	s_xor_b32 s0, exec_lo, s1
; %bb.969:
	v_cmp_ne_u32_e32 vcc_lo, 0, v112
	v_cndmask_b32_e32 v112, 47, v112, vcc_lo
; %bb.970:
	s_and_not1_saveexec_b32 s0, s0
	s_cbranch_execz .LBB98_976
; %bb.971:
	v_cmp_ngt_f32_e64 s1, |v106|, |v107|
	s_and_saveexec_b32 s12, s1
	s_delay_alu instid0(SALU_CYCLE_1)
	s_xor_b32 s1, exec_lo, s12
	s_cbranch_execz .LBB98_973
; %bb.972:
	v_div_scale_f32 v109, null, v107, v107, v106
	v_div_scale_f32 v117, vcc_lo, v106, v107, v106
	s_delay_alu instid0(VALU_DEP_2) | instskip(SKIP_1) | instid1(TRANS32_DEP_1)
	v_rcp_f32_e32 v115, v109
	v_nop
	v_fma_f32 v116, -v109, v115, 1.0
	s_delay_alu instid0(VALU_DEP_1) | instskip(NEXT) | instid1(VALU_DEP_1)
	v_fmac_f32_e32 v115, v116, v115
	v_mul_f32_e32 v116, v117, v115
	s_delay_alu instid0(VALU_DEP_1) | instskip(NEXT) | instid1(VALU_DEP_1)
	v_fma_f32 v118, -v109, v116, v117
	v_fmac_f32_e32 v116, v118, v115
	s_delay_alu instid0(VALU_DEP_1) | instskip(NEXT) | instid1(VALU_DEP_1)
	v_fma_f32 v109, -v109, v116, v117
	v_div_fmas_f32 v109, v109, v115, v116
	s_delay_alu instid0(VALU_DEP_1) | instskip(NEXT) | instid1(VALU_DEP_1)
	v_div_fixup_f32 v109, v109, v107, v106
	v_fmac_f32_e32 v107, v106, v109
	s_delay_alu instid0(VALU_DEP_1) | instskip(SKIP_1) | instid1(VALU_DEP_2)
	v_div_scale_f32 v106, null, v107, v107, 1.0
	v_div_scale_f32 v117, vcc_lo, 1.0, v107, 1.0
	v_rcp_f32_e32 v115, v106
	v_nop
	s_delay_alu instid0(TRANS32_DEP_1) | instskip(NEXT) | instid1(VALU_DEP_1)
	v_fma_f32 v116, -v106, v115, 1.0
	v_fmac_f32_e32 v115, v116, v115
	s_delay_alu instid0(VALU_DEP_1) | instskip(NEXT) | instid1(VALU_DEP_1)
	v_mul_f32_e32 v116, v117, v115
	v_fma_f32 v118, -v106, v116, v117
	s_delay_alu instid0(VALU_DEP_1) | instskip(NEXT) | instid1(VALU_DEP_1)
	v_fmac_f32_e32 v116, v118, v115
	v_fma_f32 v106, -v106, v116, v117
	s_delay_alu instid0(VALU_DEP_1) | instskip(NEXT) | instid1(VALU_DEP_1)
	v_div_fmas_f32 v106, v106, v115, v116
	v_div_fixup_f32 v107, v106, v107, 1.0
	s_delay_alu instid0(VALU_DEP_1)
	v_mul_f32_e32 v106, v109, v107
	v_xor_b32_e32 v107, 0x80000000, v107
.LBB98_973:
	s_and_not1_saveexec_b32 s1, s1
	s_cbranch_execz .LBB98_975
; %bb.974:
	s_delay_alu instid0(VALU_DEP_1) | instskip(SKIP_1) | instid1(VALU_DEP_2)
	v_div_scale_f32 v109, null, v106, v106, v107
	v_div_scale_f32 v117, vcc_lo, v107, v106, v107
	v_rcp_f32_e32 v115, v109
	v_nop
	s_delay_alu instid0(TRANS32_DEP_1) | instskip(NEXT) | instid1(VALU_DEP_1)
	v_fma_f32 v116, -v109, v115, 1.0
	v_fmac_f32_e32 v115, v116, v115
	s_delay_alu instid0(VALU_DEP_1) | instskip(NEXT) | instid1(VALU_DEP_1)
	v_mul_f32_e32 v116, v117, v115
	v_fma_f32 v118, -v109, v116, v117
	s_delay_alu instid0(VALU_DEP_1) | instskip(NEXT) | instid1(VALU_DEP_1)
	v_fmac_f32_e32 v116, v118, v115
	v_fma_f32 v109, -v109, v116, v117
	s_delay_alu instid0(VALU_DEP_1) | instskip(NEXT) | instid1(VALU_DEP_1)
	v_div_fmas_f32 v109, v109, v115, v116
	v_div_fixup_f32 v109, v109, v106, v107
	s_delay_alu instid0(VALU_DEP_1) | instskip(NEXT) | instid1(VALU_DEP_1)
	v_fmac_f32_e32 v106, v107, v109
	v_div_scale_f32 v107, null, v106, v106, 1.0
	s_delay_alu instid0(VALU_DEP_1) | instskip(SKIP_1) | instid1(TRANS32_DEP_1)
	v_rcp_f32_e32 v115, v107
	v_nop
	v_fma_f32 v116, -v107, v115, 1.0
	s_delay_alu instid0(VALU_DEP_1) | instskip(SKIP_1) | instid1(VALU_DEP_1)
	v_fmac_f32_e32 v115, v116, v115
	v_div_scale_f32 v116, vcc_lo, 1.0, v106, 1.0
	v_mul_f32_e32 v117, v116, v115
	s_delay_alu instid0(VALU_DEP_1) | instskip(NEXT) | instid1(VALU_DEP_1)
	v_fma_f32 v118, -v107, v117, v116
	v_fmac_f32_e32 v117, v118, v115
	s_delay_alu instid0(VALU_DEP_1) | instskip(NEXT) | instid1(VALU_DEP_1)
	v_fma_f32 v107, -v107, v117, v116
	v_div_fmas_f32 v107, v107, v115, v117
	s_delay_alu instid0(VALU_DEP_1) | instskip(NEXT) | instid1(VALU_DEP_1)
	v_div_fixup_f32 v106, v107, v106, 1.0
	v_mul_f32_e64 v107, v109, -v106
.LBB98_975:
	s_or_b32 exec_lo, exec_lo, s1
.LBB98_976:
	s_delay_alu instid0(SALU_CYCLE_1) | instskip(NEXT) | instid1(SALU_CYCLE_1)
	s_or_b32 exec_lo, exec_lo, s0
	s_mov_b32 s0, exec_lo
	v_cmpx_ne_u32_e64 v114, v108
	s_xor_b32 s0, exec_lo, s0
	s_cbranch_execz .LBB98_982
; %bb.977:
	s_mov_b32 s1, exec_lo
	v_cmpx_eq_u32_e32 46, v114
	s_cbranch_execz .LBB98_981
; %bb.978:
	v_cmp_ne_u32_e32 vcc_lo, 46, v108
	s_xor_b32 s12, s16, -1
	s_delay_alu instid0(SALU_CYCLE_1) | instskip(NEXT) | instid1(SALU_CYCLE_1)
	s_and_b32 s13, s12, vcc_lo
	s_and_saveexec_b32 s12, s13
	s_cbranch_execz .LBB98_980
; %bb.979:
	v_ashrrev_i32_e32 v109, 31, v108
	s_delay_alu instid0(VALU_DEP_1)
	v_lshl_add_u64 v[114:115], v[108:109], 2, v[4:5]
	s_clause 0x1
	global_load_b32 v109, v[114:115], off
	global_load_b32 v113, v[4:5], off offset:184
	s_wait_loadcnt 0x1
	global_store_b32 v[4:5], v109, off offset:184
	s_wait_loadcnt 0x0
	global_store_b32 v[114:115], v113, off
.LBB98_980:
	s_wait_xcnt 0x0
	s_or_b32 exec_lo, exec_lo, s12
	v_dual_mov_b32 v114, v108 :: v_dual_mov_b32 v113, v108
.LBB98_981:
	s_or_b32 exec_lo, exec_lo, s1
.LBB98_982:
	s_and_not1_saveexec_b32 s0, s0
	s_cbranch_execz .LBB98_984
; %bb.983:
	v_mov_b32_e32 v114, 46
	ds_store_2addr_b64 v110, v[28:29], v[14:15] offset0:47 offset1:48
	ds_store_b64 v110, v[104:105] offset:392
.LBB98_984:
	s_or_b32 exec_lo, exec_lo, s0
	s_delay_alu instid0(SALU_CYCLE_1)
	s_mov_b32 s0, exec_lo
	s_wait_storecnt_dscnt 0x0
	s_barrier_signal -1
	s_barrier_wait -1
	v_cmpx_lt_i32_e32 46, v114
	s_cbranch_execz .LBB98_986
; %bb.985:
	ds_load_2addr_b64 v[116:119], v110 offset0:47 offset1:48
	ds_load_b64 v[108:109], v110 offset:392
	v_pk_mul_f32 v[120:121], v[106:107], v[46:47] op_sel:[1,1] op_sel_hi:[0,1]
	s_delay_alu instid0(VALU_DEP_1) | instskip(SKIP_2) | instid1(VALU_DEP_2)
	v_pk_fma_f32 v[122:123], v[106:107], v[46:47], v[120:121] op_sel_hi:[1,0,1]
	v_pk_fma_f32 v[46:47], v[106:107], v[46:47], v[120:121] op_sel_hi:[1,0,1] neg_lo:[0,0,1] neg_hi:[0,0,1]
	s_wait_dscnt 0x1
	v_pk_mul_f32 v[106:107], v[116:117], v[122:123] op_sel:[0,1]
	v_pk_mul_f32 v[120:121], v[118:119], v[122:123] op_sel:[0,1]
	s_wait_dscnt 0x0
	v_pk_mul_f32 v[124:125], v[108:109], v[122:123] op_sel:[1,1] op_sel_hi:[0,1]
	s_delay_alu instid0(VALU_DEP_3) | instskip(SKIP_2) | instid1(VALU_DEP_4)
	v_pk_fma_f32 v[126:127], v[116:117], v[46:47], v[106:107] op_sel:[0,0,1] op_sel_hi:[1,1,0] neg_lo:[0,0,1] neg_hi:[0,0,1]
	v_pk_fma_f32 v[106:107], v[116:117], v[46:47], v[106:107] op_sel:[0,0,1] op_sel_hi:[1,0,0]
	v_pk_fma_f32 v[116:117], v[118:119], v[46:47], v[120:121] op_sel:[0,0,1] op_sel_hi:[1,0,0]
	v_pk_fma_f32 v[128:129], v[108:109], v[46:47], v[124:125] op_sel_hi:[1,0,1]
	v_pk_fma_f32 v[118:119], v[118:119], v[46:47], v[120:121] op_sel:[0,0,1] op_sel_hi:[1,1,0] neg_lo:[0,0,1] neg_hi:[0,0,1]
	v_pk_fma_f32 v[108:109], v[108:109], v[46:47], v[124:125] neg_lo:[0,0,1] neg_hi:[0,0,1]
	s_delay_alu instid0(VALU_DEP_4) | instskip(NEXT) | instid1(VALU_DEP_4)
	v_dual_mov_b32 v127, v107 :: v_dual_mov_b32 v119, v117
	v_dual_mov_b32 v109, v129 :: v_dual_mov_b32 v47, v123
	s_delay_alu instid0(VALU_DEP_2) | instskip(NEXT) | instid1(VALU_DEP_3)
	v_pk_add_f32 v[28:29], v[28:29], v[126:127] neg_lo:[0,1] neg_hi:[0,1]
	v_pk_add_f32 v[14:15], v[14:15], v[118:119] neg_lo:[0,1] neg_hi:[0,1]
	s_delay_alu instid0(VALU_DEP_3)
	v_pk_add_f32 v[104:105], v[104:105], v[108:109] neg_lo:[0,1] neg_hi:[0,1]
.LBB98_986:
	s_or_b32 exec_lo, exec_lo, s0
	v_lshl_add_u32 v106, v114, 3, v110
	s_barrier_signal -1
	s_barrier_wait -1
	ds_store_b64 v106, v[28:29]
	s_wait_dscnt 0x0
	s_barrier_signal -1
	s_barrier_wait -1
	ds_load_b64 v[106:107], v110 offset:376
	v_mov_b32_e32 v108, 47
	s_cmp_lt_i32 s18, 49
	s_cbranch_scc1 .LBB98_989
; %bb.987:
	v_add3_u32 v109, v111, 0, 0x180
	v_mov_b32_e32 v108, 47
	s_mov_b32 s0, 48
.LBB98_988:                             ; =>This Inner Loop Header: Depth=1
	ds_load_b64 v[116:117], v109
	s_wait_dscnt 0x1
	v_cmp_gt_f32_e32 vcc_lo, 0, v106
	v_cndmask_b32_e64 v118, v106, -v106, vcc_lo
	v_cmp_gt_f32_e32 vcc_lo, 0, v107
	v_cndmask_b32_e64 v120, v107, -v107, vcc_lo
	s_wait_dscnt 0x0
	v_cmp_gt_f32_e32 vcc_lo, 0, v116
	v_cndmask_b32_e64 v119, v116, -v116, vcc_lo
	v_cmp_gt_f32_e32 vcc_lo, 0, v117
	v_cndmask_b32_e64 v121, v117, -v117, vcc_lo
	s_delay_alu instid0(VALU_DEP_1) | instskip(NEXT) | instid1(VALU_DEP_1)
	v_pk_add_f32 v[118:119], v[118:119], v[120:121]
	v_cmp_lt_f32_e32 vcc_lo, v118, v119
	v_dual_cndmask_b32 v106, v106, v116 :: v_dual_add_nc_u32 v109, 8, v109
	v_cndmask_b32_e32 v107, v107, v117, vcc_lo
	v_cndmask_b32_e64 v108, v108, s0, vcc_lo
	s_add_co_i32 s0, s0, 1
	s_delay_alu instid0(SALU_CYCLE_1)
	s_cmp_lg_u32 s18, s0
	s_cbranch_scc1 .LBB98_988
.LBB98_989:
	s_wait_dscnt 0x0
	v_cmp_eq_f32_e32 vcc_lo, 0, v106
	v_cmp_eq_f32_e64 s0, 0, v107
	s_and_b32 s0, vcc_lo, s0
	s_delay_alu instid0(SALU_CYCLE_1) | instskip(NEXT) | instid1(SALU_CYCLE_1)
	s_and_saveexec_b32 s1, s0
	s_xor_b32 s0, exec_lo, s1
; %bb.990:
	v_cmp_ne_u32_e32 vcc_lo, 0, v112
	v_cndmask_b32_e32 v112, 48, v112, vcc_lo
; %bb.991:
	s_and_not1_saveexec_b32 s0, s0
	s_cbranch_execz .LBB98_997
; %bb.992:
	v_cmp_ngt_f32_e64 s1, |v106|, |v107|
	s_and_saveexec_b32 s12, s1
	s_delay_alu instid0(SALU_CYCLE_1)
	s_xor_b32 s1, exec_lo, s12
	s_cbranch_execz .LBB98_994
; %bb.993:
	v_div_scale_f32 v109, null, v107, v107, v106
	v_div_scale_f32 v117, vcc_lo, v106, v107, v106
	s_delay_alu instid0(VALU_DEP_2) | instskip(SKIP_1) | instid1(TRANS32_DEP_1)
	v_rcp_f32_e32 v115, v109
	v_nop
	v_fma_f32 v116, -v109, v115, 1.0
	s_delay_alu instid0(VALU_DEP_1) | instskip(NEXT) | instid1(VALU_DEP_1)
	v_fmac_f32_e32 v115, v116, v115
	v_mul_f32_e32 v116, v117, v115
	s_delay_alu instid0(VALU_DEP_1) | instskip(NEXT) | instid1(VALU_DEP_1)
	v_fma_f32 v118, -v109, v116, v117
	v_fmac_f32_e32 v116, v118, v115
	s_delay_alu instid0(VALU_DEP_1) | instskip(NEXT) | instid1(VALU_DEP_1)
	v_fma_f32 v109, -v109, v116, v117
	v_div_fmas_f32 v109, v109, v115, v116
	s_delay_alu instid0(VALU_DEP_1) | instskip(NEXT) | instid1(VALU_DEP_1)
	v_div_fixup_f32 v109, v109, v107, v106
	v_fmac_f32_e32 v107, v106, v109
	s_delay_alu instid0(VALU_DEP_1) | instskip(SKIP_1) | instid1(VALU_DEP_2)
	v_div_scale_f32 v106, null, v107, v107, 1.0
	v_div_scale_f32 v117, vcc_lo, 1.0, v107, 1.0
	v_rcp_f32_e32 v115, v106
	v_nop
	s_delay_alu instid0(TRANS32_DEP_1) | instskip(NEXT) | instid1(VALU_DEP_1)
	v_fma_f32 v116, -v106, v115, 1.0
	v_fmac_f32_e32 v115, v116, v115
	s_delay_alu instid0(VALU_DEP_1) | instskip(NEXT) | instid1(VALU_DEP_1)
	v_mul_f32_e32 v116, v117, v115
	v_fma_f32 v118, -v106, v116, v117
	s_delay_alu instid0(VALU_DEP_1) | instskip(NEXT) | instid1(VALU_DEP_1)
	v_fmac_f32_e32 v116, v118, v115
	v_fma_f32 v106, -v106, v116, v117
	s_delay_alu instid0(VALU_DEP_1) | instskip(NEXT) | instid1(VALU_DEP_1)
	v_div_fmas_f32 v106, v106, v115, v116
	v_div_fixup_f32 v107, v106, v107, 1.0
	s_delay_alu instid0(VALU_DEP_1)
	v_mul_f32_e32 v106, v109, v107
	v_xor_b32_e32 v107, 0x80000000, v107
.LBB98_994:
	s_and_not1_saveexec_b32 s1, s1
	s_cbranch_execz .LBB98_996
; %bb.995:
	s_delay_alu instid0(VALU_DEP_1) | instskip(SKIP_1) | instid1(VALU_DEP_2)
	v_div_scale_f32 v109, null, v106, v106, v107
	v_div_scale_f32 v117, vcc_lo, v107, v106, v107
	v_rcp_f32_e32 v115, v109
	v_nop
	s_delay_alu instid0(TRANS32_DEP_1) | instskip(NEXT) | instid1(VALU_DEP_1)
	v_fma_f32 v116, -v109, v115, 1.0
	v_fmac_f32_e32 v115, v116, v115
	s_delay_alu instid0(VALU_DEP_1) | instskip(NEXT) | instid1(VALU_DEP_1)
	v_mul_f32_e32 v116, v117, v115
	v_fma_f32 v118, -v109, v116, v117
	s_delay_alu instid0(VALU_DEP_1) | instskip(NEXT) | instid1(VALU_DEP_1)
	v_fmac_f32_e32 v116, v118, v115
	v_fma_f32 v109, -v109, v116, v117
	s_delay_alu instid0(VALU_DEP_1) | instskip(NEXT) | instid1(VALU_DEP_1)
	v_div_fmas_f32 v109, v109, v115, v116
	v_div_fixup_f32 v109, v109, v106, v107
	s_delay_alu instid0(VALU_DEP_1) | instskip(NEXT) | instid1(VALU_DEP_1)
	v_fmac_f32_e32 v106, v107, v109
	v_div_scale_f32 v107, null, v106, v106, 1.0
	s_delay_alu instid0(VALU_DEP_1) | instskip(SKIP_1) | instid1(TRANS32_DEP_1)
	v_rcp_f32_e32 v115, v107
	v_nop
	v_fma_f32 v116, -v107, v115, 1.0
	s_delay_alu instid0(VALU_DEP_1) | instskip(SKIP_1) | instid1(VALU_DEP_1)
	v_fmac_f32_e32 v115, v116, v115
	v_div_scale_f32 v116, vcc_lo, 1.0, v106, 1.0
	v_mul_f32_e32 v117, v116, v115
	s_delay_alu instid0(VALU_DEP_1) | instskip(NEXT) | instid1(VALU_DEP_1)
	v_fma_f32 v118, -v107, v117, v116
	v_fmac_f32_e32 v117, v118, v115
	s_delay_alu instid0(VALU_DEP_1) | instskip(NEXT) | instid1(VALU_DEP_1)
	v_fma_f32 v107, -v107, v117, v116
	v_div_fmas_f32 v107, v107, v115, v117
	s_delay_alu instid0(VALU_DEP_1) | instskip(NEXT) | instid1(VALU_DEP_1)
	v_div_fixup_f32 v106, v107, v106, 1.0
	v_mul_f32_e64 v107, v109, -v106
.LBB98_996:
	s_or_b32 exec_lo, exec_lo, s1
.LBB98_997:
	s_delay_alu instid0(SALU_CYCLE_1) | instskip(NEXT) | instid1(SALU_CYCLE_1)
	s_or_b32 exec_lo, exec_lo, s0
	s_mov_b32 s0, exec_lo
	v_cmpx_ne_u32_e64 v114, v108
	s_xor_b32 s0, exec_lo, s0
	s_cbranch_execz .LBB98_1003
; %bb.998:
	s_mov_b32 s1, exec_lo
	v_cmpx_eq_u32_e32 47, v114
	s_cbranch_execz .LBB98_1002
; %bb.999:
	v_cmp_ne_u32_e32 vcc_lo, 47, v108
	s_xor_b32 s12, s16, -1
	s_delay_alu instid0(SALU_CYCLE_1) | instskip(NEXT) | instid1(SALU_CYCLE_1)
	s_and_b32 s13, s12, vcc_lo
	s_and_saveexec_b32 s12, s13
	s_cbranch_execz .LBB98_1001
; %bb.1000:
	v_ashrrev_i32_e32 v109, 31, v108
	s_delay_alu instid0(VALU_DEP_1)
	v_lshl_add_u64 v[114:115], v[108:109], 2, v[4:5]
	s_clause 0x1
	global_load_b32 v109, v[114:115], off
	global_load_b32 v113, v[4:5], off offset:188
	s_wait_loadcnt 0x1
	global_store_b32 v[4:5], v109, off offset:188
	s_wait_loadcnt 0x0
	global_store_b32 v[114:115], v113, off
.LBB98_1001:
	s_wait_xcnt 0x0
	s_or_b32 exec_lo, exec_lo, s12
	v_dual_mov_b32 v114, v108 :: v_dual_mov_b32 v113, v108
.LBB98_1002:
	s_or_b32 exec_lo, exec_lo, s1
.LBB98_1003:
	s_and_not1_saveexec_b32 s0, s0
; %bb.1004:
	v_dual_mov_b32 v108, v14 :: v_dual_mov_b32 v109, v15
	v_mov_b32_e32 v114, 47
	ds_store_2addr_b64 v110, v[108:109], v[104:105] offset0:48 offset1:49
; %bb.1005:
	s_or_b32 exec_lo, exec_lo, s0
	s_delay_alu instid0(SALU_CYCLE_1)
	s_mov_b32 s0, exec_lo
	s_wait_storecnt_dscnt 0x0
	s_barrier_signal -1
	s_barrier_wait -1
	v_cmpx_lt_i32_e32 47, v114
	s_cbranch_execz .LBB98_1007
; %bb.1006:
	ds_load_2addr_b64 v[116:119], v110 offset0:48 offset1:49
	v_pk_mul_f32 v[108:109], v[106:107], v[28:29] op_sel:[1,1] op_sel_hi:[0,1]
	s_delay_alu instid0(VALU_DEP_1) | instskip(SKIP_3) | instid1(VALU_DEP_3)
	v_pk_fma_f32 v[120:121], v[106:107], v[28:29], v[108:109] op_sel_hi:[1,0,1]
	v_pk_fma_f32 v[28:29], v[106:107], v[28:29], v[108:109] op_sel_hi:[1,0,1] neg_lo:[0,0,1] neg_hi:[0,0,1]
	s_wait_dscnt 0x0
	v_dual_mov_b32 v122, v119 :: v_dual_mov_b32 v123, v118
	v_pk_mul_f32 v[106:107], v[116:117], v[120:121] op_sel:[0,1]
	s_delay_alu instid0(VALU_DEP_2) | instskip(NEXT) | instid1(VALU_DEP_2)
	v_pk_mul_f32 v[108:109], v[122:123], v[120:121] op_sel:[0,1]
	v_pk_fma_f32 v[122:123], v[116:117], v[28:29], v[106:107] op_sel:[0,0,1] op_sel_hi:[1,0,0]
	v_pk_fma_f32 v[106:107], v[116:117], v[28:29], v[106:107] op_sel:[0,0,1] op_sel_hi:[1,1,0] neg_lo:[0,0,1] neg_hi:[0,0,1]
	s_delay_alu instid0(VALU_DEP_3) | instskip(SKIP_1) | instid1(VALU_DEP_4)
	v_pk_fma_f32 v[124:125], v[118:119], v[28:29], v[108:109] op_sel_hi:[1,0,1]
	v_pk_fma_f32 v[108:109], v[118:119], v[28:29], v[108:109] neg_lo:[0,0,1] neg_hi:[0,0,1]
	v_dual_mov_b32 v107, v123 :: v_dual_mov_b32 v29, v121
	s_delay_alu instid0(VALU_DEP_3) | instskip(NEXT) | instid1(VALU_DEP_2)
	v_mov_b32_e32 v109, v125
	v_pk_add_f32 v[14:15], v[14:15], v[106:107] neg_lo:[0,1] neg_hi:[0,1]
	s_delay_alu instid0(VALU_DEP_2)
	v_pk_add_f32 v[104:105], v[104:105], v[108:109] neg_lo:[0,1] neg_hi:[0,1]
.LBB98_1007:
	s_or_b32 exec_lo, exec_lo, s0
	v_lshl_add_u32 v106, v114, 3, v110
	s_barrier_signal -1
	s_barrier_wait -1
	ds_store_b64 v106, v[14:15]
	s_wait_dscnt 0x0
	s_barrier_signal -1
	s_barrier_wait -1
	ds_load_b64 v[106:107], v110 offset:384
	v_mov_b32_e32 v108, 48
	s_cmp_lt_i32 s18, 50
	s_cbranch_scc1 .LBB98_1010
; %bb.1008:
	v_add3_u32 v109, v111, 0, 0x188
	v_mov_b32_e32 v108, 48
	s_mov_b32 s0, 49
.LBB98_1009:                            ; =>This Inner Loop Header: Depth=1
	ds_load_b64 v[116:117], v109
	s_wait_dscnt 0x1
	v_cmp_gt_f32_e32 vcc_lo, 0, v106
	v_cndmask_b32_e64 v118, v106, -v106, vcc_lo
	v_cmp_gt_f32_e32 vcc_lo, 0, v107
	v_cndmask_b32_e64 v120, v107, -v107, vcc_lo
	s_wait_dscnt 0x0
	v_cmp_gt_f32_e32 vcc_lo, 0, v116
	v_cndmask_b32_e64 v119, v116, -v116, vcc_lo
	v_cmp_gt_f32_e32 vcc_lo, 0, v117
	v_cndmask_b32_e64 v121, v117, -v117, vcc_lo
	s_delay_alu instid0(VALU_DEP_1) | instskip(NEXT) | instid1(VALU_DEP_1)
	v_pk_add_f32 v[118:119], v[118:119], v[120:121]
	v_cmp_lt_f32_e32 vcc_lo, v118, v119
	v_dual_cndmask_b32 v106, v106, v116 :: v_dual_add_nc_u32 v109, 8, v109
	v_cndmask_b32_e32 v107, v107, v117, vcc_lo
	v_cndmask_b32_e64 v108, v108, s0, vcc_lo
	s_add_co_i32 s0, s0, 1
	s_delay_alu instid0(SALU_CYCLE_1)
	s_cmp_lg_u32 s18, s0
	s_cbranch_scc1 .LBB98_1009
.LBB98_1010:
	s_wait_dscnt 0x0
	v_cmp_eq_f32_e32 vcc_lo, 0, v106
	v_cmp_eq_f32_e64 s0, 0, v107
	s_and_b32 s0, vcc_lo, s0
	s_delay_alu instid0(SALU_CYCLE_1) | instskip(NEXT) | instid1(SALU_CYCLE_1)
	s_and_saveexec_b32 s1, s0
	s_xor_b32 s0, exec_lo, s1
; %bb.1011:
	v_cmp_ne_u32_e32 vcc_lo, 0, v112
	v_cndmask_b32_e32 v112, 49, v112, vcc_lo
; %bb.1012:
	s_and_not1_saveexec_b32 s0, s0
	s_cbranch_execz .LBB98_1018
; %bb.1013:
	v_cmp_ngt_f32_e64 s1, |v106|, |v107|
	s_and_saveexec_b32 s12, s1
	s_delay_alu instid0(SALU_CYCLE_1)
	s_xor_b32 s1, exec_lo, s12
	s_cbranch_execz .LBB98_1015
; %bb.1014:
	v_div_scale_f32 v109, null, v107, v107, v106
	v_div_scale_f32 v117, vcc_lo, v106, v107, v106
	s_delay_alu instid0(VALU_DEP_2) | instskip(SKIP_1) | instid1(TRANS32_DEP_1)
	v_rcp_f32_e32 v115, v109
	v_nop
	v_fma_f32 v116, -v109, v115, 1.0
	s_delay_alu instid0(VALU_DEP_1) | instskip(NEXT) | instid1(VALU_DEP_1)
	v_fmac_f32_e32 v115, v116, v115
	v_mul_f32_e32 v116, v117, v115
	s_delay_alu instid0(VALU_DEP_1) | instskip(NEXT) | instid1(VALU_DEP_1)
	v_fma_f32 v118, -v109, v116, v117
	v_fmac_f32_e32 v116, v118, v115
	s_delay_alu instid0(VALU_DEP_1) | instskip(NEXT) | instid1(VALU_DEP_1)
	v_fma_f32 v109, -v109, v116, v117
	v_div_fmas_f32 v109, v109, v115, v116
	s_delay_alu instid0(VALU_DEP_1) | instskip(NEXT) | instid1(VALU_DEP_1)
	v_div_fixup_f32 v109, v109, v107, v106
	v_fmac_f32_e32 v107, v106, v109
	s_delay_alu instid0(VALU_DEP_1) | instskip(SKIP_1) | instid1(VALU_DEP_2)
	v_div_scale_f32 v106, null, v107, v107, 1.0
	v_div_scale_f32 v117, vcc_lo, 1.0, v107, 1.0
	v_rcp_f32_e32 v115, v106
	v_nop
	s_delay_alu instid0(TRANS32_DEP_1) | instskip(NEXT) | instid1(VALU_DEP_1)
	v_fma_f32 v116, -v106, v115, 1.0
	v_fmac_f32_e32 v115, v116, v115
	s_delay_alu instid0(VALU_DEP_1) | instskip(NEXT) | instid1(VALU_DEP_1)
	v_mul_f32_e32 v116, v117, v115
	v_fma_f32 v118, -v106, v116, v117
	s_delay_alu instid0(VALU_DEP_1) | instskip(NEXT) | instid1(VALU_DEP_1)
	v_fmac_f32_e32 v116, v118, v115
	v_fma_f32 v106, -v106, v116, v117
	s_delay_alu instid0(VALU_DEP_1) | instskip(NEXT) | instid1(VALU_DEP_1)
	v_div_fmas_f32 v106, v106, v115, v116
	v_div_fixup_f32 v107, v106, v107, 1.0
	s_delay_alu instid0(VALU_DEP_1)
	v_mul_f32_e32 v106, v109, v107
	v_xor_b32_e32 v107, 0x80000000, v107
.LBB98_1015:
	s_and_not1_saveexec_b32 s1, s1
	s_cbranch_execz .LBB98_1017
; %bb.1016:
	s_delay_alu instid0(VALU_DEP_1) | instskip(SKIP_1) | instid1(VALU_DEP_2)
	v_div_scale_f32 v109, null, v106, v106, v107
	v_div_scale_f32 v117, vcc_lo, v107, v106, v107
	v_rcp_f32_e32 v115, v109
	v_nop
	s_delay_alu instid0(TRANS32_DEP_1) | instskip(NEXT) | instid1(VALU_DEP_1)
	v_fma_f32 v116, -v109, v115, 1.0
	v_fmac_f32_e32 v115, v116, v115
	s_delay_alu instid0(VALU_DEP_1) | instskip(NEXT) | instid1(VALU_DEP_1)
	v_mul_f32_e32 v116, v117, v115
	v_fma_f32 v118, -v109, v116, v117
	s_delay_alu instid0(VALU_DEP_1) | instskip(NEXT) | instid1(VALU_DEP_1)
	v_fmac_f32_e32 v116, v118, v115
	v_fma_f32 v109, -v109, v116, v117
	s_delay_alu instid0(VALU_DEP_1) | instskip(NEXT) | instid1(VALU_DEP_1)
	v_div_fmas_f32 v109, v109, v115, v116
	v_div_fixup_f32 v109, v109, v106, v107
	s_delay_alu instid0(VALU_DEP_1) | instskip(NEXT) | instid1(VALU_DEP_1)
	v_fmac_f32_e32 v106, v107, v109
	v_div_scale_f32 v107, null, v106, v106, 1.0
	s_delay_alu instid0(VALU_DEP_1) | instskip(SKIP_1) | instid1(TRANS32_DEP_1)
	v_rcp_f32_e32 v115, v107
	v_nop
	v_fma_f32 v116, -v107, v115, 1.0
	s_delay_alu instid0(VALU_DEP_1) | instskip(SKIP_1) | instid1(VALU_DEP_1)
	v_fmac_f32_e32 v115, v116, v115
	v_div_scale_f32 v116, vcc_lo, 1.0, v106, 1.0
	v_mul_f32_e32 v117, v116, v115
	s_delay_alu instid0(VALU_DEP_1) | instskip(NEXT) | instid1(VALU_DEP_1)
	v_fma_f32 v118, -v107, v117, v116
	v_fmac_f32_e32 v117, v118, v115
	s_delay_alu instid0(VALU_DEP_1) | instskip(NEXT) | instid1(VALU_DEP_1)
	v_fma_f32 v107, -v107, v117, v116
	v_div_fmas_f32 v107, v107, v115, v117
	s_delay_alu instid0(VALU_DEP_1) | instskip(NEXT) | instid1(VALU_DEP_1)
	v_div_fixup_f32 v106, v107, v106, 1.0
	v_mul_f32_e64 v107, v109, -v106
.LBB98_1017:
	s_or_b32 exec_lo, exec_lo, s1
.LBB98_1018:
	s_delay_alu instid0(SALU_CYCLE_1) | instskip(NEXT) | instid1(SALU_CYCLE_1)
	s_or_b32 exec_lo, exec_lo, s0
	s_mov_b32 s0, exec_lo
	v_cmpx_ne_u32_e64 v114, v108
	s_xor_b32 s0, exec_lo, s0
	s_cbranch_execz .LBB98_1024
; %bb.1019:
	s_mov_b32 s1, exec_lo
	v_cmpx_eq_u32_e32 48, v114
	s_cbranch_execz .LBB98_1023
; %bb.1020:
	v_cmp_ne_u32_e32 vcc_lo, 48, v108
	s_xor_b32 s12, s16, -1
	s_delay_alu instid0(SALU_CYCLE_1) | instskip(NEXT) | instid1(SALU_CYCLE_1)
	s_and_b32 s13, s12, vcc_lo
	s_and_saveexec_b32 s12, s13
	s_cbranch_execz .LBB98_1022
; %bb.1021:
	v_ashrrev_i32_e32 v109, 31, v108
	s_delay_alu instid0(VALU_DEP_1)
	v_lshl_add_u64 v[114:115], v[108:109], 2, v[4:5]
	s_clause 0x1
	global_load_b32 v109, v[114:115], off
	global_load_b32 v113, v[4:5], off offset:192
	s_wait_loadcnt 0x1
	global_store_b32 v[4:5], v109, off offset:192
	s_wait_loadcnt 0x0
	global_store_b32 v[114:115], v113, off
.LBB98_1022:
	s_wait_xcnt 0x0
	s_or_b32 exec_lo, exec_lo, s12
	v_dual_mov_b32 v114, v108 :: v_dual_mov_b32 v113, v108
.LBB98_1023:
	s_or_b32 exec_lo, exec_lo, s1
.LBB98_1024:
	s_and_not1_saveexec_b32 s0, s0
; %bb.1025:
	v_mov_b32_e32 v114, 48
	ds_store_b64 v110, v[104:105] offset:392
; %bb.1026:
	s_or_b32 exec_lo, exec_lo, s0
	s_delay_alu instid0(SALU_CYCLE_1)
	s_mov_b32 s0, exec_lo
	s_wait_storecnt_dscnt 0x0
	s_barrier_signal -1
	s_barrier_wait -1
	v_cmpx_lt_i32_e32 48, v114
	s_cbranch_execz .LBB98_1028
; %bb.1027:
	ds_load_b64 v[108:109], v110 offset:392
	v_pk_mul_f32 v[116:117], v[106:107], v[14:15] op_sel:[1,1] op_sel_hi:[0,1]
	s_delay_alu instid0(VALU_DEP_1) | instskip(SKIP_2) | instid1(VALU_DEP_2)
	v_pk_fma_f32 v[118:119], v[106:107], v[14:15], v[116:117] op_sel_hi:[1,0,1]
	v_pk_fma_f32 v[14:15], v[106:107], v[14:15], v[116:117] op_sel_hi:[1,0,1] neg_lo:[0,0,1] neg_hi:[0,0,1]
	s_wait_dscnt 0x0
	v_pk_mul_f32 v[106:107], v[108:109], v[118:119] op_sel:[1,1] op_sel_hi:[0,1]
	s_delay_alu instid0(VALU_DEP_1) | instskip(SKIP_1) | instid1(VALU_DEP_2)
	v_pk_fma_f32 v[116:117], v[108:109], v[14:15], v[106:107] op_sel_hi:[1,0,1]
	v_pk_fma_f32 v[106:107], v[108:109], v[14:15], v[106:107] neg_lo:[0,0,1] neg_hi:[0,0,1]
	v_dual_mov_b32 v15, v119 :: v_dual_mov_b32 v107, v117
	s_delay_alu instid0(VALU_DEP_1)
	v_pk_add_f32 v[104:105], v[104:105], v[106:107] neg_lo:[0,1] neg_hi:[0,1]
.LBB98_1028:
	s_or_b32 exec_lo, exec_lo, s0
	v_lshl_add_u32 v106, v114, 3, v110
	s_barrier_signal -1
	s_barrier_wait -1
	ds_store_b64 v106, v[104:105]
	s_wait_dscnt 0x0
	s_barrier_signal -1
	s_barrier_wait -1
	ds_load_b64 v[106:107], v110 offset:392
	v_mov_b32_e32 v108, 49
	s_cmp_lt_i32 s18, 51
	s_cbranch_scc1 .LBB98_1031
; %bb.1029:
	v_add3_u32 v109, v111, 0, 0x190
	v_mov_b32_e32 v108, 49
	s_mov_b32 s0, 50
.LBB98_1030:                            ; =>This Inner Loop Header: Depth=1
	ds_load_b64 v[110:111], v109
	s_wait_dscnt 0x1
	v_cmp_gt_f32_e32 vcc_lo, 0, v106
	v_cndmask_b32_e64 v116, v106, -v106, vcc_lo
	v_cmp_gt_f32_e32 vcc_lo, 0, v107
	v_cndmask_b32_e64 v118, v107, -v107, vcc_lo
	s_wait_dscnt 0x0
	v_cmp_gt_f32_e32 vcc_lo, 0, v110
	v_cndmask_b32_e64 v117, v110, -v110, vcc_lo
	v_cmp_gt_f32_e32 vcc_lo, 0, v111
	v_cndmask_b32_e64 v119, v111, -v111, vcc_lo
	s_delay_alu instid0(VALU_DEP_1) | instskip(NEXT) | instid1(VALU_DEP_1)
	v_pk_add_f32 v[116:117], v[116:117], v[118:119]
	v_cmp_lt_f32_e32 vcc_lo, v116, v117
	v_dual_add_nc_u32 v109, 8, v109 :: v_dual_cndmask_b32 v107, v107, v111, vcc_lo
	v_cndmask_b32_e32 v106, v106, v110, vcc_lo
	v_cndmask_b32_e64 v108, v108, s0, vcc_lo
	s_add_co_i32 s0, s0, 1
	s_delay_alu instid0(SALU_CYCLE_1)
	s_cmp_lg_u32 s18, s0
	s_cbranch_scc1 .LBB98_1030
.LBB98_1031:
	s_wait_dscnt 0x0
	v_cmp_eq_f32_e32 vcc_lo, 0, v106
	v_cmp_eq_f32_e64 s0, 0, v107
	s_and_b32 s0, vcc_lo, s0
	s_delay_alu instid0(SALU_CYCLE_1) | instskip(NEXT) | instid1(SALU_CYCLE_1)
	s_and_saveexec_b32 s1, s0
	s_xor_b32 s0, exec_lo, s1
; %bb.1032:
	v_cmp_ne_u32_e32 vcc_lo, 0, v112
	v_cndmask_b32_e32 v112, 50, v112, vcc_lo
; %bb.1033:
	s_and_not1_saveexec_b32 s0, s0
	s_cbranch_execz .LBB98_1039
; %bb.1034:
	v_cmp_ngt_f32_e64 s1, |v106|, |v107|
	s_and_saveexec_b32 s12, s1
	s_delay_alu instid0(SALU_CYCLE_1)
	s_xor_b32 s1, exec_lo, s12
	s_cbranch_execz .LBB98_1036
; %bb.1035:
	v_div_scale_f32 v109, null, v107, v107, v106
	v_div_scale_f32 v115, vcc_lo, v106, v107, v106
	s_delay_alu instid0(VALU_DEP_2) | instskip(SKIP_1) | instid1(TRANS32_DEP_1)
	v_rcp_f32_e32 v110, v109
	v_nop
	v_fma_f32 v111, -v109, v110, 1.0
	s_delay_alu instid0(VALU_DEP_1) | instskip(NEXT) | instid1(VALU_DEP_1)
	v_fmac_f32_e32 v110, v111, v110
	v_mul_f32_e32 v111, v115, v110
	s_delay_alu instid0(VALU_DEP_1) | instskip(NEXT) | instid1(VALU_DEP_1)
	v_fma_f32 v116, -v109, v111, v115
	v_fmac_f32_e32 v111, v116, v110
	s_delay_alu instid0(VALU_DEP_1) | instskip(NEXT) | instid1(VALU_DEP_1)
	v_fma_f32 v109, -v109, v111, v115
	v_div_fmas_f32 v109, v109, v110, v111
	s_delay_alu instid0(VALU_DEP_1) | instskip(NEXT) | instid1(VALU_DEP_1)
	v_div_fixup_f32 v109, v109, v107, v106
	v_fmac_f32_e32 v107, v106, v109
	s_delay_alu instid0(VALU_DEP_1) | instskip(SKIP_1) | instid1(VALU_DEP_2)
	v_div_scale_f32 v106, null, v107, v107, 1.0
	v_div_scale_f32 v115, vcc_lo, 1.0, v107, 1.0
	v_rcp_f32_e32 v110, v106
	v_nop
	s_delay_alu instid0(TRANS32_DEP_1) | instskip(NEXT) | instid1(VALU_DEP_1)
	v_fma_f32 v111, -v106, v110, 1.0
	v_fmac_f32_e32 v110, v111, v110
	s_delay_alu instid0(VALU_DEP_1) | instskip(NEXT) | instid1(VALU_DEP_1)
	v_mul_f32_e32 v111, v115, v110
	v_fma_f32 v116, -v106, v111, v115
	s_delay_alu instid0(VALU_DEP_1) | instskip(NEXT) | instid1(VALU_DEP_1)
	v_fmac_f32_e32 v111, v116, v110
	v_fma_f32 v106, -v106, v111, v115
	s_delay_alu instid0(VALU_DEP_1) | instskip(NEXT) | instid1(VALU_DEP_1)
	v_div_fmas_f32 v106, v106, v110, v111
	v_div_fixup_f32 v107, v106, v107, 1.0
	s_delay_alu instid0(VALU_DEP_1)
	v_mul_f32_e32 v106, v109, v107
	v_xor_b32_e32 v107, 0x80000000, v107
.LBB98_1036:
	s_and_not1_saveexec_b32 s1, s1
	s_cbranch_execz .LBB98_1038
; %bb.1037:
	s_delay_alu instid0(VALU_DEP_1) | instskip(SKIP_1) | instid1(VALU_DEP_2)
	v_div_scale_f32 v109, null, v106, v106, v107
	v_div_scale_f32 v115, vcc_lo, v107, v106, v107
	v_rcp_f32_e32 v110, v109
	v_nop
	s_delay_alu instid0(TRANS32_DEP_1) | instskip(NEXT) | instid1(VALU_DEP_1)
	v_fma_f32 v111, -v109, v110, 1.0
	v_fmac_f32_e32 v110, v111, v110
	s_delay_alu instid0(VALU_DEP_1) | instskip(NEXT) | instid1(VALU_DEP_1)
	v_mul_f32_e32 v111, v115, v110
	v_fma_f32 v116, -v109, v111, v115
	s_delay_alu instid0(VALU_DEP_1) | instskip(NEXT) | instid1(VALU_DEP_1)
	v_fmac_f32_e32 v111, v116, v110
	v_fma_f32 v109, -v109, v111, v115
	s_delay_alu instid0(VALU_DEP_1) | instskip(NEXT) | instid1(VALU_DEP_1)
	v_div_fmas_f32 v109, v109, v110, v111
	v_div_fixup_f32 v109, v109, v106, v107
	s_delay_alu instid0(VALU_DEP_1) | instskip(NEXT) | instid1(VALU_DEP_1)
	v_fmac_f32_e32 v106, v107, v109
	v_div_scale_f32 v107, null, v106, v106, 1.0
	s_delay_alu instid0(VALU_DEP_1) | instskip(SKIP_1) | instid1(TRANS32_DEP_1)
	v_rcp_f32_e32 v110, v107
	v_nop
	v_fma_f32 v111, -v107, v110, 1.0
	s_delay_alu instid0(VALU_DEP_1) | instskip(SKIP_1) | instid1(VALU_DEP_1)
	v_fmac_f32_e32 v110, v111, v110
	v_div_scale_f32 v111, vcc_lo, 1.0, v106, 1.0
	v_mul_f32_e32 v115, v111, v110
	s_delay_alu instid0(VALU_DEP_1) | instskip(NEXT) | instid1(VALU_DEP_1)
	v_fma_f32 v116, -v107, v115, v111
	v_fmac_f32_e32 v115, v116, v110
	s_delay_alu instid0(VALU_DEP_1) | instskip(NEXT) | instid1(VALU_DEP_1)
	v_fma_f32 v107, -v107, v115, v111
	v_div_fmas_f32 v107, v107, v110, v115
	s_delay_alu instid0(VALU_DEP_1) | instskip(NEXT) | instid1(VALU_DEP_1)
	v_div_fixup_f32 v106, v107, v106, 1.0
	v_mul_f32_e64 v107, v109, -v106
.LBB98_1038:
	s_or_b32 exec_lo, exec_lo, s1
.LBB98_1039:
	s_delay_alu instid0(SALU_CYCLE_1)
	s_or_b32 exec_lo, exec_lo, s0
	v_mov_b32_e32 v110, 49
	s_mov_b32 s0, exec_lo
	v_cmpx_ne_u32_e64 v114, v108
	s_cbranch_execz .LBB98_1045
; %bb.1040:
	s_mov_b32 s1, exec_lo
	v_cmpx_eq_u32_e32 49, v114
	s_cbranch_execz .LBB98_1044
; %bb.1041:
	v_cmp_ne_u32_e32 vcc_lo, 49, v108
	s_xor_b32 s12, s16, -1
	s_delay_alu instid0(SALU_CYCLE_1) | instskip(NEXT) | instid1(SALU_CYCLE_1)
	s_and_b32 s13, s12, vcc_lo
	s_and_saveexec_b32 s12, s13
	s_cbranch_execz .LBB98_1043
; %bb.1042:
	v_ashrrev_i32_e32 v109, 31, v108
	s_delay_alu instid0(VALU_DEP_1)
	v_lshl_add_u64 v[110:111], v[108:109], 2, v[4:5]
	s_clause 0x1
	global_load_b32 v109, v[110:111], off
	global_load_b32 v113, v[4:5], off offset:196
	s_wait_loadcnt 0x1
	global_store_b32 v[4:5], v109, off offset:196
	s_wait_loadcnt 0x0
	global_store_b32 v[110:111], v113, off
.LBB98_1043:
	s_wait_xcnt 0x0
	s_or_b32 exec_lo, exec_lo, s12
	v_dual_mov_b32 v114, v108 :: v_dual_mov_b32 v113, v108
.LBB98_1044:
	s_or_b32 exec_lo, exec_lo, s1
	s_delay_alu instid0(VALU_DEP_1)
	v_mov_b32_e32 v110, v114
.LBB98_1045:
	s_or_b32 exec_lo, exec_lo, s0
	s_delay_alu instid0(VALU_DEP_1)
	v_ashrrev_i32_e32 v111, 31, v110
	s_mov_b32 s0, exec_lo
	s_wait_storecnt 0x0
	s_barrier_signal -1
	s_barrier_wait -1
	s_barrier_signal -1
	s_barrier_wait -1
	v_cmpx_gt_i32_e32 50, v110
	s_cbranch_execz .LBB98_1047
; %bb.1046:
	v_mul_u64_e32 v[4:5], s[10:11], v[2:3]
	v_add3_u32 v108, v113, s17, 1
	s_delay_alu instid0(VALU_DEP_2) | instskip(NEXT) | instid1(VALU_DEP_1)
	v_lshl_add_u64 v[4:5], v[4:5], 2, s[6:7]
	v_lshl_add_u64 v[4:5], s[8:9], 2, v[4:5]
	s_delay_alu instid0(VALU_DEP_1)
	v_lshl_add_u64 v[4:5], v[110:111], 2, v[4:5]
	global_store_b32 v[4:5], v108, off
.LBB98_1047:
	s_wait_xcnt 0x0
	s_or_b32 exec_lo, exec_lo, s0
	s_delay_alu instid0(SALU_CYCLE_1)
	s_mov_b32 s1, exec_lo
	v_cmpx_eq_u32_e32 0, v110
	s_cbranch_execz .LBB98_1050
; %bb.1048:
	s_wait_kmcnt 0x0
	v_lshl_add_u64 v[2:3], v[2:3], 2, s[4:5]
	v_cmp_ne_u32_e64 s0, 0, v112
	global_load_b32 v4, v[2:3], off
	s_wait_loadcnt 0x0
	v_cmp_eq_u32_e32 vcc_lo, 0, v4
	s_and_b32 s0, vcc_lo, s0
	s_wait_xcnt 0x0
	s_and_b32 exec_lo, exec_lo, s0
	s_cbranch_execz .LBB98_1050
; %bb.1049:
	v_add_nc_u32_e32 v4, s17, v112
	global_store_b32 v[2:3], v4, off
.LBB98_1050:
	s_wait_xcnt 0x0
	s_or_b32 exec_lo, exec_lo, s1
	v_add3_u32 v4, s2, s2, v110
	v_pk_mul_f32 v[2:3], v[106:107], v[104:105] op_sel:[1,1] op_sel_hi:[0,1]
	v_cmp_lt_i32_e32 vcc_lo, 49, v110
	v_lshl_add_u64 v[110:111], v[110:111], 3, v[0:1]
	s_delay_alu instid0(VALU_DEP_4) | instskip(NEXT) | instid1(VALU_DEP_4)
	v_add_nc_u32_e32 v108, s2, v4
	v_pk_fma_f32 v[122:123], v[106:107], v[104:105], v[2:3] op_sel_hi:[1,0,1]
	v_pk_fma_f32 v[2:3], v[106:107], v[104:105], v[2:3] neg_lo:[0,0,1] neg_hi:[0,0,1]
	global_store_b64 v[110:111], v[102:103], off
	s_wait_xcnt 0x0
	v_lshl_add_u64 v[102:103], s[2:3], 3, v[110:111]
	v_dual_cndmask_b32 v3, v105, v123 :: v_dual_add_nc_u32 v112, s2, v108
	v_dual_cndmask_b32 v2, v104, v2 :: v_dual_ashrrev_i32 v5, 31, v4
	global_store_b64 v[102:103], v[100:101], off
	v_add_nc_u32_e32 v114, s2, v112
	v_lshl_add_u64 v[4:5], v[4:5], 3, v[0:1]
	s_delay_alu instid0(VALU_DEP_2) | instskip(SKIP_2) | instid1(VALU_DEP_1)
	v_dual_add_nc_u32 v116, s2, v114 :: v_dual_ashrrev_i32 v115, 31, v114
	global_store_b64 v[4:5], v[98:99], off
	v_add_nc_u32_e32 v118, s2, v116
	v_dual_add_nc_u32 v120, s2, v118 :: v_dual_ashrrev_i32 v113, 31, v112
	s_delay_alu instid0(VALU_DEP_1) | instskip(NEXT) | instid1(VALU_DEP_1)
	v_dual_ashrrev_i32 v119, 31, v118 :: v_dual_add_nc_u32 v106, s2, v120
	v_add_nc_u32_e32 v104, s2, v106
	s_delay_alu instid0(VALU_DEP_1) | instskip(NEXT) | instid1(VALU_DEP_1)
	v_add_nc_u32_e32 v122, s2, v104
	v_dual_add_nc_u32 v110, s2, v122 :: v_dual_ashrrev_i32 v117, 31, v116
	v_ashrrev_i32_e32 v107, 31, v106
	s_wait_xcnt 0x1
	s_delay_alu instid0(VALU_DEP_2) | instskip(SKIP_1) | instid1(VALU_DEP_2)
	v_dual_add_nc_u32 v100, s2, v110 :: v_dual_ashrrev_i32 v121, 31, v120
	v_ashrrev_i32_e32 v123, 31, v122
	v_dual_ashrrev_i32 v111, 31, v110 :: v_dual_add_nc_u32 v102, s2, v100
	s_wait_xcnt 0x0
	s_delay_alu instid0(VALU_DEP_1) | instskip(NEXT) | instid1(VALU_DEP_1)
	v_dual_ashrrev_i32 v109, 31, v108 :: v_dual_add_nc_u32 v4, s2, v102
	v_lshl_add_u64 v[98:99], v[108:109], 3, v[0:1]
	s_delay_alu instid0(VALU_DEP_2)
	v_dual_ashrrev_i32 v103, 31, v102 :: v_dual_add_nc_u32 v108, s2, v4
	global_store_b64 v[98:99], v[96:97], off
	s_wait_xcnt 0x0
	v_lshl_add_u64 v[98:99], v[112:113], 3, v[0:1]
	v_add_nc_u32_e32 v96, s2, v108
	global_store_b64 v[98:99], v[84:85], off
	s_wait_xcnt 0x0
	v_lshl_add_u64 v[98:99], v[114:115], 3, v[0:1]
	v_add_nc_u32_e32 v112, s2, v96
	;; [unrolled: 4-line block ×3, first 2 shown]
	v_lshl_add_u64 v[98:99], v[118:119], 3, v[0:1]
	v_lshl_add_u64 v[116:117], v[120:121], 3, v[0:1]
	s_clause 0x2
	global_store_b64 v[74:75], v[44:45], off
	global_store_b64 v[98:99], v[40:41], off
	;; [unrolled: 1-line block ×3, first 2 shown]
	v_add_nc_u32_e32 v114, s2, v84
	s_wait_xcnt 0x2
	v_lshl_add_u64 v[74:75], v[106:107], 3, v[0:1]
	s_wait_xcnt 0x1
	v_lshl_add_u64 v[98:99], v[122:123], 3, v[0:1]
	v_ashrrev_i32_e32 v5, 31, v4
	v_dual_ashrrev_i32 v85, 31, v84 :: v_dual_add_nc_u32 v118, s2, v114
	v_dual_ashrrev_i32 v109, 31, v108 :: v_dual_ashrrev_i32 v115, 31, v114
	s_delay_alu instid0(VALU_DEP_3) | instskip(NEXT) | instid1(VALU_DEP_3)
	v_lshl_add_u64 v[4:5], v[4:5], 3, v[0:1]
	v_dual_ashrrev_i32 v97, 31, v96 :: v_dual_add_nc_u32 v40, s2, v118
	s_delay_alu instid0(VALU_DEP_1) | instskip(SKIP_1) | instid1(VALU_DEP_2)
	v_dual_ashrrev_i32 v119, 31, v118 :: v_dual_add_nc_u32 v44, s2, v40
	v_ashrrev_i32_e32 v41, 31, v40
	v_add_nc_u32_e32 v106, s2, v44
	v_ashrrev_i32_e32 v105, 31, v104
	v_ashrrev_i32_e32 v45, 31, v44
	s_delay_alu instid0(VALU_DEP_4) | instskip(SKIP_1) | instid1(VALU_DEP_3)
	v_lshl_add_u64 v[40:41], v[40:41], 3, v[0:1]
	s_wait_xcnt 0x0
	v_lshl_add_u64 v[88:89], v[104:105], 3, v[0:1]
	v_lshl_add_u64 v[104:105], v[110:111], 3, v[0:1]
	s_clause 0x3
	global_store_b64 v[74:75], v[50:51], off
	global_store_b64 v[88:89], v[52:53], off
	;; [unrolled: 1-line block ×4, first 2 shown]
	s_wait_xcnt 0x1
	v_add_nc_u32_e32 v48, s2, v106
	v_lshl_add_u64 v[74:75], v[102:103], 3, v[0:1]
	v_lshl_add_u64 v[88:89], v[108:109], 3, v[0:1]
	;; [unrolled: 1-line block ×3, first 2 shown]
	s_delay_alu instid0(VALU_DEP_4) | instskip(SKIP_1) | instid1(VALU_DEP_1)
	v_dual_add_nc_u32 v50, s2, v48 :: v_dual_ashrrev_i32 v49, 31, v48
	s_wait_xcnt 0x0
	v_dual_add_nc_u32 v94, s2, v50 :: v_dual_ashrrev_i32 v101, 31, v100
	v_dual_ashrrev_i32 v107, 31, v106 :: v_dual_ashrrev_i32 v113, 31, v112
	v_ashrrev_i32_e32 v51, 31, v50
	v_lshl_add_u64 v[48:49], v[48:49], 3, v[0:1]
	s_delay_alu instid0(VALU_DEP_4)
	v_lshl_add_u64 v[52:53], v[100:101], 3, v[0:1]
	s_clause 0x3
	global_store_b64 v[52:53], v[68:69], off
	global_store_b64 v[74:75], v[72:73], off
	global_store_b64 v[4:5], v[66:67], off
	global_store_b64 v[88:89], v[92:93], off
	s_wait_xcnt 0x1
	v_add_nc_u32_e32 v4, s2, v94
	v_lshl_add_u64 v[66:67], v[96:97], 3, v[0:1]
	v_lshl_add_u64 v[72:73], v[84:85], 3, v[0:1]
	v_ashrrev_i32_e32 v95, 31, v94
	v_lshl_add_u64 v[68:69], v[112:113], 3, v[0:1]
	v_add_nc_u32_e32 v52, s2, v4
	v_lshl_add_u64 v[74:75], v[114:115], 3, v[0:1]
	s_clause 0x3
	global_store_b64 v[66:67], v[62:63], off
	global_store_b64 v[68:69], v[64:65], off
	;; [unrolled: 1-line block ×4, first 2 shown]
	s_wait_xcnt 0x2
	v_lshl_add_u64 v[64:65], v[118:119], 3, v[0:1]
	v_dual_add_nc_u32 v84, s2, v52 :: v_dual_ashrrev_i32 v53, 31, v52
	v_lshl_add_u64 v[66:67], v[106:107], 3, v[0:1]
	s_clause 0x3
	global_store_b64 v[64:65], v[56:57], off
	global_store_b64 v[40:41], v[58:59], off
	;; [unrolled: 1-line block ×4, first 2 shown]
	s_wait_xcnt 0x5
	v_add_nc_u32_e32 v60, s2, v84
	v_ashrrev_i32_e32 v5, 31, v4
	v_lshl_add_u64 v[50:51], v[50:51], 3, v[0:1]
	s_wait_xcnt 0x1
	v_lshl_add_u64 v[54:55], v[94:95], 3, v[0:1]
	v_ashrrev_i32_e32 v85, 31, v84
	v_dual_add_nc_u32 v62, s2, v60 :: v_dual_ashrrev_i32 v61, 31, v60
	v_lshl_add_u64 v[4:5], v[4:5], 3, v[0:1]
	s_clause 0x3
	global_store_b64 v[48:49], v[38:39], off
	global_store_b64 v[50:51], v[42:43], off
	global_store_b64 v[54:55], v[36:37], off
	global_store_b64 v[4:5], v[82:83], off
	v_dual_add_nc_u32 v68, s2, v62 :: v_dual_ashrrev_i32 v63, 31, v62
	s_wait_xcnt 0x3
	v_lshl_add_u64 v[38:39], v[52:53], 3, v[0:1]
	s_wait_xcnt 0x2
	v_lshl_add_u64 v[42:43], v[84:85], 3, v[0:1]
	v_lshl_add_u64 v[48:49], v[60:61], 3, v[0:1]
	v_add_nc_u32_e32 v40, s2, v68
	v_lshl_add_u64 v[50:51], v[62:63], 3, v[0:1]
	s_clause 0x3
	global_store_b64 v[38:39], v[32:33], off
	global_store_b64 v[42:43], v[34:35], off
	;; [unrolled: 1-line block ×4, first 2 shown]
	v_ashrrev_i32_e32 v69, 31, v68
	v_dual_add_nc_u32 v44, s2, v40 :: v_dual_ashrrev_i32 v41, 31, v40
	s_wait_xcnt 0x2
	s_delay_alu instid0(VALU_DEP_2) | instskip(NEXT) | instid1(VALU_DEP_2)
	v_lshl_add_u64 v[34:35], v[68:69], 3, v[0:1]
	v_dual_add_nc_u32 v56, s2, v44 :: v_dual_ashrrev_i32 v45, 31, v44
	s_delay_alu instid0(VALU_DEP_3) | instskip(NEXT) | instid1(VALU_DEP_2)
	v_lshl_add_u64 v[38:39], v[40:41], 3, v[0:1]
	v_dual_add_nc_u32 v4, s2, v56 :: v_dual_ashrrev_i32 v57, 31, v56
	s_delay_alu instid0(VALU_DEP_3) | instskip(NEXT) | instid1(VALU_DEP_2)
	v_lshl_add_u64 v[40:41], v[44:45], 3, v[0:1]
	v_add_nc_u32_e32 v36, s2, v4
	s_delay_alu instid0(VALU_DEP_3)
	v_lshl_add_u64 v[42:43], v[56:57], 3, v[0:1]
	s_clause 0x3
	global_store_b64 v[34:35], v[24:25], off
	global_store_b64 v[38:39], v[26:27], off
	;; [unrolled: 1-line block ×4, first 2 shown]
	v_ashrrev_i32_e32 v5, 31, v4
	v_dual_add_nc_u32 v52, s2, v36 :: v_dual_ashrrev_i32 v37, 31, v36
	s_delay_alu instid0(VALU_DEP_2) | instskip(SKIP_1) | instid1(VALU_DEP_2)
	v_lshl_add_u64 v[4:5], v[4:5], 3, v[0:1]
	s_wait_xcnt 0x5
	v_dual_add_nc_u32 v30, s2, v52 :: v_dual_ashrrev_i32 v53, 31, v52
	s_wait_xcnt 0x2
	v_lshl_add_u64 v[26:27], v[36:37], 3, v[0:1]
	s_delay_alu instid0(VALU_DEP_2) | instskip(NEXT) | instid1(VALU_DEP_3)
	v_dual_add_nc_u32 v32, s2, v30 :: v_dual_ashrrev_i32 v31, 31, v30
	v_lshl_add_u64 v[34:35], v[52:53], 3, v[0:1]
	s_delay_alu instid0(VALU_DEP_2) | instskip(NEXT) | instid1(VALU_DEP_3)
	v_dual_add_nc_u32 v44, s2, v32 :: v_dual_ashrrev_i32 v33, 31, v32
	v_lshl_add_u64 v[30:31], v[30:31], 3, v[0:1]
	s_clause 0x3
	global_store_b64 v[4:5], v[18:19], off
	global_store_b64 v[26:27], v[20:21], off
	;; [unrolled: 1-line block ×4, first 2 shown]
	s_wait_xcnt 0x5
	v_add_nc_u32_e32 v22, s2, v44
	s_wait_xcnt 0x3
	v_lshl_add_u64 v[18:19], v[32:33], 3, v[0:1]
	s_delay_alu instid0(VALU_DEP_2) | instskip(NEXT) | instid1(VALU_DEP_1)
	v_dual_add_nc_u32 v24, s2, v22 :: v_dual_ashrrev_i32 v23, 31, v22
	v_dual_add_nc_u32 v36, s2, v24 :: v_dual_ashrrev_i32 v25, 31, v24
	s_delay_alu instid0(VALU_DEP_2) | instskip(NEXT) | instid1(VALU_DEP_2)
	v_lshl_add_u64 v[22:23], v[22:23], 3, v[0:1]
	v_add_nc_u32_e32 v4, s2, v36
	s_delay_alu instid0(VALU_DEP_3) | instskip(SKIP_2) | instid1(VALU_DEP_3)
	v_lshl_add_u64 v[24:25], v[24:25], 3, v[0:1]
	v_ashrrev_i32_e32 v37, 31, v36
	s_wait_xcnt 0x1
	v_add_nc_u32_e32 v16, s2, v4
	s_delay_alu instid0(VALU_DEP_1) | instskip(NEXT) | instid1(VALU_DEP_1)
	v_dual_add_nc_u32 v26, s2, v16 :: v_dual_ashrrev_i32 v17, 31, v16
	v_dual_ashrrev_i32 v45, 31, v44 :: v_dual_ashrrev_i32 v27, 31, v26
	s_delay_alu instid0(VALU_DEP_1)
	v_lshl_add_u64 v[20:21], v[44:45], 3, v[0:1]
	s_clause 0x3
	global_store_b64 v[18:19], v[10:11], off
	global_store_b64 v[20:21], v[12:13], off
	global_store_b64 v[22:23], v[8:9], off
	global_store_b64 v[24:25], v[70:71], off
	s_wait_xcnt 0x1
	v_dual_add_nc_u32 v8, s2, v26 :: v_dual_ashrrev_i32 v5, 31, v4
	v_lshl_add_u64 v[10:11], v[36:37], 3, v[0:1]
	v_lshl_add_u64 v[12:13], v[16:17], 3, v[0:1]
	v_lshl_add_u64 v[16:17], v[26:27], 3, v[0:1]
	s_delay_alu instid0(VALU_DEP_4) | instskip(SKIP_1) | instid1(VALU_DEP_2)
	v_ashrrev_i32_e32 v9, 31, v8
	v_lshl_add_u64 v[4:5], v[4:5], 3, v[0:1]
	v_lshl_add_u64 v[0:1], v[8:9], 3, v[0:1]
	s_clause 0x4
	global_store_b64 v[10:11], v[6:7], off
	global_store_b64 v[4:5], v[46:47], off
	;; [unrolled: 1-line block ×5, first 2 shown]
.LBB98_1051:
	s_sendmsg sendmsg(MSG_DEALLOC_VGPRS)
	s_endpgm
	.section	.rodata,"a",@progbits
	.p2align	6, 0x0
	.amdhsa_kernel _ZN9rocsolver6v33100L18getf2_small_kernelILi50E19rocblas_complex_numIfEiiPS3_EEvT1_T3_lS5_lPS5_llPT2_S5_S5_S7_l
		.amdhsa_group_segment_fixed_size 0
		.amdhsa_private_segment_fixed_size 0
		.amdhsa_kernarg_size 352
		.amdhsa_user_sgpr_count 2
		.amdhsa_user_sgpr_dispatch_ptr 0
		.amdhsa_user_sgpr_queue_ptr 0
		.amdhsa_user_sgpr_kernarg_segment_ptr 1
		.amdhsa_user_sgpr_dispatch_id 0
		.amdhsa_user_sgpr_kernarg_preload_length 0
		.amdhsa_user_sgpr_kernarg_preload_offset 0
		.amdhsa_user_sgpr_private_segment_size 0
		.amdhsa_wavefront_size32 1
		.amdhsa_uses_dynamic_stack 0
		.amdhsa_enable_private_segment 0
		.amdhsa_system_sgpr_workgroup_id_x 1
		.amdhsa_system_sgpr_workgroup_id_y 1
		.amdhsa_system_sgpr_workgroup_id_z 0
		.amdhsa_system_sgpr_workgroup_info 0
		.amdhsa_system_vgpr_workitem_id 1
		.amdhsa_next_free_vgpr 130
		.amdhsa_next_free_sgpr 19
		.amdhsa_named_barrier_count 0
		.amdhsa_reserve_vcc 1
		.amdhsa_float_round_mode_32 0
		.amdhsa_float_round_mode_16_64 0
		.amdhsa_float_denorm_mode_32 3
		.amdhsa_float_denorm_mode_16_64 3
		.amdhsa_fp16_overflow 0
		.amdhsa_memory_ordered 1
		.amdhsa_forward_progress 1
		.amdhsa_inst_pref_size 255
		.amdhsa_round_robin_scheduling 0
		.amdhsa_exception_fp_ieee_invalid_op 0
		.amdhsa_exception_fp_denorm_src 0
		.amdhsa_exception_fp_ieee_div_zero 0
		.amdhsa_exception_fp_ieee_overflow 0
		.amdhsa_exception_fp_ieee_underflow 0
		.amdhsa_exception_fp_ieee_inexact 0
		.amdhsa_exception_int_div_zero 0
	.end_amdhsa_kernel
	.section	.text._ZN9rocsolver6v33100L18getf2_small_kernelILi50E19rocblas_complex_numIfEiiPS3_EEvT1_T3_lS5_lPS5_llPT2_S5_S5_S7_l,"axG",@progbits,_ZN9rocsolver6v33100L18getf2_small_kernelILi50E19rocblas_complex_numIfEiiPS3_EEvT1_T3_lS5_lPS5_llPT2_S5_S5_S7_l,comdat
.Lfunc_end98:
	.size	_ZN9rocsolver6v33100L18getf2_small_kernelILi50E19rocblas_complex_numIfEiiPS3_EEvT1_T3_lS5_lPS5_llPT2_S5_S5_S7_l, .Lfunc_end98-_ZN9rocsolver6v33100L18getf2_small_kernelILi50E19rocblas_complex_numIfEiiPS3_EEvT1_T3_lS5_lPS5_llPT2_S5_S5_S7_l
                                        ; -- End function
	.set _ZN9rocsolver6v33100L18getf2_small_kernelILi50E19rocblas_complex_numIfEiiPS3_EEvT1_T3_lS5_lPS5_llPT2_S5_S5_S7_l.num_vgpr, 130
	.set _ZN9rocsolver6v33100L18getf2_small_kernelILi50E19rocblas_complex_numIfEiiPS3_EEvT1_T3_lS5_lPS5_llPT2_S5_S5_S7_l.num_agpr, 0
	.set _ZN9rocsolver6v33100L18getf2_small_kernelILi50E19rocblas_complex_numIfEiiPS3_EEvT1_T3_lS5_lPS5_llPT2_S5_S5_S7_l.numbered_sgpr, 19
	.set _ZN9rocsolver6v33100L18getf2_small_kernelILi50E19rocblas_complex_numIfEiiPS3_EEvT1_T3_lS5_lPS5_llPT2_S5_S5_S7_l.num_named_barrier, 0
	.set _ZN9rocsolver6v33100L18getf2_small_kernelILi50E19rocblas_complex_numIfEiiPS3_EEvT1_T3_lS5_lPS5_llPT2_S5_S5_S7_l.private_seg_size, 0
	.set _ZN9rocsolver6v33100L18getf2_small_kernelILi50E19rocblas_complex_numIfEiiPS3_EEvT1_T3_lS5_lPS5_llPT2_S5_S5_S7_l.uses_vcc, 1
	.set _ZN9rocsolver6v33100L18getf2_small_kernelILi50E19rocblas_complex_numIfEiiPS3_EEvT1_T3_lS5_lPS5_llPT2_S5_S5_S7_l.uses_flat_scratch, 0
	.set _ZN9rocsolver6v33100L18getf2_small_kernelILi50E19rocblas_complex_numIfEiiPS3_EEvT1_T3_lS5_lPS5_llPT2_S5_S5_S7_l.has_dyn_sized_stack, 0
	.set _ZN9rocsolver6v33100L18getf2_small_kernelILi50E19rocblas_complex_numIfEiiPS3_EEvT1_T3_lS5_lPS5_llPT2_S5_S5_S7_l.has_recursion, 0
	.set _ZN9rocsolver6v33100L18getf2_small_kernelILi50E19rocblas_complex_numIfEiiPS3_EEvT1_T3_lS5_lPS5_llPT2_S5_S5_S7_l.has_indirect_call, 0
	.section	.AMDGPU.csdata,"",@progbits
; Kernel info:
; codeLenInByte = 121128
; TotalNumSgprs: 21
; NumVgprs: 130
; ScratchSize: 0
; MemoryBound: 0
; FloatMode: 240
; IeeeMode: 1
; LDSByteSize: 0 bytes/workgroup (compile time only)
; SGPRBlocks: 0
; VGPRBlocks: 8
; NumSGPRsForWavesPerEU: 21
; NumVGPRsForWavesPerEU: 130
; NamedBarCnt: 0
; Occupancy: 7
; WaveLimiterHint : 0
; COMPUTE_PGM_RSRC2:SCRATCH_EN: 0
; COMPUTE_PGM_RSRC2:USER_SGPR: 2
; COMPUTE_PGM_RSRC2:TRAP_HANDLER: 0
; COMPUTE_PGM_RSRC2:TGID_X_EN: 1
; COMPUTE_PGM_RSRC2:TGID_Y_EN: 1
; COMPUTE_PGM_RSRC2:TGID_Z_EN: 0
; COMPUTE_PGM_RSRC2:TIDIG_COMP_CNT: 1
	.section	.text._ZN9rocsolver6v33100L23getf2_npvt_small_kernelILi50E19rocblas_complex_numIfEiiPS3_EEvT1_T3_lS5_lPT2_S5_S5_,"axG",@progbits,_ZN9rocsolver6v33100L23getf2_npvt_small_kernelILi50E19rocblas_complex_numIfEiiPS3_EEvT1_T3_lS5_lPT2_S5_S5_,comdat
	.globl	_ZN9rocsolver6v33100L23getf2_npvt_small_kernelILi50E19rocblas_complex_numIfEiiPS3_EEvT1_T3_lS5_lPT2_S5_S5_ ; -- Begin function _ZN9rocsolver6v33100L23getf2_npvt_small_kernelILi50E19rocblas_complex_numIfEiiPS3_EEvT1_T3_lS5_lPT2_S5_S5_
	.p2align	8
	.type	_ZN9rocsolver6v33100L23getf2_npvt_small_kernelILi50E19rocblas_complex_numIfEiiPS3_EEvT1_T3_lS5_lPT2_S5_S5_,@function
_ZN9rocsolver6v33100L23getf2_npvt_small_kernelILi50E19rocblas_complex_numIfEiiPS3_EEvT1_T3_lS5_lPT2_S5_S5_: ; @_ZN9rocsolver6v33100L23getf2_npvt_small_kernelILi50E19rocblas_complex_numIfEiiPS3_EEvT1_T3_lS5_lPT2_S5_S5_
; %bb.0:
	s_clause 0x1
	s_load_u16 s14, s[0:1], 0x46
	s_load_b64 s[2:3], s[0:1], 0x30
	s_bfe_u32 s4, ttmp6, 0x40010
	s_bfe_u32 s5, ttmp6, 0x40004
	s_add_co_i32 s4, s4, 1
	s_getreg_b32 s6, hwreg(HW_REG_IB_STS2, 6, 4)
	s_mul_i32 s4, ttmp7, s4
	v_bfe_u32 v40, v0, 10, 10
	s_add_co_i32 s5, s5, s4
	s_cmp_eq_u32 s6, 0
	s_cselect_b32 s4, ttmp7, s5
	s_wait_kmcnt 0x0
	v_mad_u32 v154, s4, s14, v40
	s_delay_alu instid0(VALU_DEP_1)
	v_cmp_gt_i32_e32 vcc_lo, s2, v154
	s_and_saveexec_b32 s2, vcc_lo
	s_cbranch_execz .LBB99_453
; %bb.1:
	s_clause 0x1
	s_load_b32 s12, s[0:1], 0x18
	s_load_b128 s[8:11], s[0:1], 0x8
	v_and_b32_e32 v86, 0x3ff, v0
	s_load_b128 s[4:7], s[0:1], 0x20
	s_mulk_i32 s14, 0x190
	v_mad_u32_u24 v96, 0x190, v40, 0
	v_mov_b32_e32 v33, 0
	s_wait_xcnt 0x0
	v_cmp_ne_u32_e64 s1, 0, v86
	v_cmp_eq_u32_e64 s0, 0, v86
	s_wait_kmcnt 0x0
	v_add3_u32 v28, s12, s12, v86
	v_lshlrev_b32_e32 v32, 3, v86
	s_ashr_i32 s13, s12, 31
	s_delay_alu instid0(VALU_DEP_2) | instskip(NEXT) | instid1(VALU_DEP_1)
	v_dual_add_nc_u32 v18, s12, v28 :: v_dual_ashrrev_i32 v29, 31, v28
	v_add_nc_u32_e32 v20, s12, v18
	s_delay_alu instid0(VALU_DEP_1) | instskip(NEXT) | instid1(VALU_DEP_1)
	v_add_nc_u32_e32 v22, s12, v20
	v_add_nc_u32_e32 v24, s12, v22
	s_delay_alu instid0(VALU_DEP_1) | instskip(SKIP_2) | instid1(VALU_DEP_2)
	v_dual_ashrrev_i32 v19, 31, v18 :: v_dual_ashrrev_i32 v25, 31, v24
	v_add_nc_u32_e32 v12, s12, v24
	v_ashrrev_i32_e32 v21, 31, v20
	v_dual_add_nc_u32 v26, s12, v12 :: v_dual_ashrrev_i32 v13, 31, v12
	s_delay_alu instid0(VALU_DEP_1) | instskip(NEXT) | instid1(VALU_DEP_1)
	v_add_nc_u32_e32 v14, s12, v26
	v_add_nc_u32_e32 v8, s12, v14
	s_delay_alu instid0(VALU_DEP_1) | instskip(NEXT) | instid1(VALU_DEP_1)
	v_dual_ashrrev_i32 v155, 31, v154 :: v_dual_add_nc_u32 v0, s12, v8
	v_mul_u64_e32 v[16:17], s[4:5], v[154:155]
	s_delay_alu instid0(VALU_DEP_2) | instskip(NEXT) | instid1(VALU_DEP_1)
	v_add_nc_u32_e32 v4, s12, v0
	v_add_nc_u32_e32 v2, s12, v4
	s_delay_alu instid0(VALU_DEP_1) | instskip(NEXT) | instid1(VALU_DEP_1)
	v_dual_add_nc_u32 v6, s12, v2 :: v_dual_ashrrev_i32 v5, 31, v4
	v_dual_ashrrev_i32 v7, 31, v6 :: v_dual_add_nc_u32 v10, s12, v6
	v_ashrrev_i32_e32 v3, 31, v2
	s_delay_alu instid0(VALU_DEP_2) | instskip(NEXT) | instid1(VALU_DEP_1)
	v_dual_add_nc_u32 v30, s12, v10 :: v_dual_ashrrev_i32 v11, 31, v10
	v_dual_add_nc_u32 v42, s12, v30 :: v_dual_ashrrev_i32 v31, 31, v30
	v_lshl_add_u64 v[16:17], v[16:17], 3, s[8:9]
	s_delay_alu instid0(VALU_DEP_2) | instskip(SKIP_1) | instid1(VALU_DEP_3)
	v_add_nc_u32_e32 v44, s12, v42
	v_ashrrev_i32_e32 v23, 31, v22
	v_lshl_add_u64 v[46:47], s[10:11], 3, v[16:17]
	s_delay_alu instid0(VALU_DEP_3) | instskip(SKIP_1) | instid1(VALU_DEP_3)
	v_dual_ashrrev_i32 v43, 31, v42 :: v_dual_add_nc_u32 v56, s12, v44
	v_ashrrev_i32_e32 v27, 31, v26
	v_lshl_add_u64 v[118:119], v[28:29], 3, v[46:47]
	v_lshl_add_u64 v[132:133], v[18:19], 3, v[46:47]
	;; [unrolled: 1-line block ×3, first 2 shown]
	v_dual_add_nc_u32 v28, s12, v56 :: v_dual_ashrrev_i32 v15, 31, v14
	v_lshl_add_u64 v[150:151], v[4:5], 3, v[46:47]
	v_lshl_add_u64 v[164:165], v[2:3], 3, v[46:47]
	;; [unrolled: 1-line block ×3, first 2 shown]
	s_delay_alu instid0(VALU_DEP_4)
	v_add_nc_u32_e32 v18, s12, v28
	v_ashrrev_i32_e32 v9, 31, v8
	v_lshl_add_u64 v[136:137], v[14:15], 3, v[46:47]
	v_lshl_add_u64 v[168:169], v[10:11], 3, v[46:47]
	;; [unrolled: 1-line block ×3, first 2 shown]
	v_add_nc_u32_e32 v12, s12, v18
	v_lshl_add_u64 v[146:147], v[8:9], 3, v[46:47]
	v_lshl_add_u64 v[170:171], v[30:31], 3, v[46:47]
	v_add_nc_u64_e32 v[16:17], v[46:47], v[32:33]
	v_lshl_add_u64 v[134:135], v[20:21], 3, v[46:47]
	v_add_nc_u32_e32 v14, s12, v12
	v_ashrrev_i32_e32 v1, 31, v0
	v_lshl_add_u64 v[114:115], v[22:23], 3, v[46:47]
	v_lshl_add_u64 v[116:117], v[24:25], 3, v[46:47]
	s_clause 0x3
	global_load_b64 v[68:69], v[134:135], off
	global_load_b64 v[22:23], v[114:115], off
	global_load_b64 v[24:25], v[116:117], off
	global_load_b64 v[20:21], v[120:121], off
	v_add_nc_u32_e32 v8, s12, v14
	v_lshl_add_u64 v[148:149], v[0:1], 3, v[46:47]
	v_ashrrev_i32_e32 v15, 31, v14
	v_lshl_add_u64 v[152:153], s[12:13], 3, v[16:17]
	s_clause 0x3
	global_load_b64 v[70:71], v[16:17], off
	global_load_b64 v[98:99], v[152:153], off
	;; [unrolled: 1-line block ×4, first 2 shown]
	v_dual_add_nc_u32 v0, s12, v8 :: v_dual_ashrrev_i32 v9, 31, v8
	v_lshl_add_u64 v[204:205], v[14:15], 3, v[46:47]
	s_clause 0x7
	global_load_b64 v[38:39], v[130:131], off
	global_load_b64 v[34:35], v[136:137], off
	global_load_b64 v[36:37], v[146:147], off
	global_load_b64 v[32:33], v[148:149], off
	global_load_b64 v[54:55], v[150:151], off
	global_load_b64 v[50:51], v[164:165], off
	global_load_b64 v[52:53], v[166:167], off
	global_load_b64 v[48:49], v[168:169], off
	v_add_nc_u32_e32 v4, s12, v0
	v_lshl_add_u64 v[206:207], v[8:9], 3, v[46:47]
	v_ashrrev_i32_e32 v45, 31, v44
	v_lshl_add_u64 v[172:173], v[42:43], 3, v[46:47]
	v_ashrrev_i32_e32 v57, 31, v56
	v_add_nc_u32_e32 v2, s12, v4
	v_ashrrev_i32_e32 v13, 31, v12
	v_lshl_add_u64 v[182:183], v[44:45], 3, v[46:47]
	v_ashrrev_i32_e32 v1, 31, v0
	v_lshl_add_u64 v[184:185], v[56:57], 3, v[46:47]
	v_add_nc_u32_e32 v6, s12, v2
	v_lshl_add_u64 v[202:203], v[12:13], 3, v[46:47]
	s_clause 0x3
	global_load_b64 v[78:79], v[170:171], off
	global_load_b64 v[74:75], v[172:173], off
	;; [unrolled: 1-line block ×4, first 2 shown]
	v_ashrrev_i32_e32 v5, 31, v4
	v_lshl_add_u64 v[208:209], v[0:1], 3, v[46:47]
	v_dual_add_nc_u32 v10, s12, v6 :: v_dual_ashrrev_i32 v29, 31, v28
	v_ashrrev_i32_e32 v3, 31, v2
	s_delay_alu instid0(VALU_DEP_4) | instskip(NEXT) | instid1(VALU_DEP_3)
	v_lshl_add_u64 v[210:211], v[4:5], 3, v[46:47]
	v_add_nc_u32_e32 v26, s12, v10
	s_delay_alu instid0(VALU_DEP_4) | instskip(NEXT) | instid1(VALU_DEP_4)
	v_lshl_add_u64 v[186:187], v[28:29], 3, v[46:47]
	v_lshl_add_u64 v[212:213], v[2:3], 3, v[46:47]
	s_delay_alu instid0(VALU_DEP_3) | instskip(NEXT) | instid1(VALU_DEP_1)
	v_add_nc_u32_e32 v28, s12, v26
	v_dual_ashrrev_i32 v19, 31, v18 :: v_dual_add_nc_u32 v30, s12, v28
	s_delay_alu instid0(VALU_DEP_1)
	v_lshl_add_u64 v[188:189], v[18:19], 3, v[46:47]
	s_clause 0x3
	global_load_b64 v[94:95], v[186:187], off
	global_load_b64 v[90:91], v[188:189], off
	;; [unrolled: 1-line block ×4, first 2 shown]
	v_add_nc_u32_e32 v18, s12, v30
	s_clause 0x3
	global_load_b64 v[112:113], v[206:207], off
	global_load_b64 v[108:109], v[208:209], off
	;; [unrolled: 1-line block ×4, first 2 shown]
	v_dual_ashrrev_i32 v29, 31, v28 :: v_dual_add_nc_u32 v8, s12, v18
	v_ashrrev_i32_e32 v31, 31, v30
	s_delay_alu instid0(VALU_DEP_2) | instskip(NEXT) | instid1(VALU_DEP_3)
	v_lshl_add_u64 v[220:221], v[28:29], 3, v[46:47]
	v_dual_add_nc_u32 v12, s12, v8 :: v_dual_ashrrev_i32 v7, 31, v6
	v_dual_ashrrev_i32 v19, 31, v18 :: v_dual_ashrrev_i32 v9, 31, v8
	s_delay_alu instid0(VALU_DEP_4) | instskip(NEXT) | instid1(VALU_DEP_3)
	v_lshl_add_u64 v[222:223], v[30:31], 3, v[46:47]
	v_dual_add_nc_u32 v0, s12, v12 :: v_dual_ashrrev_i32 v11, 31, v10
	s_delay_alu instid0(VALU_DEP_4) | instskip(SKIP_2) | instid1(VALU_DEP_4)
	v_lshl_add_u64 v[214:215], v[6:7], 3, v[46:47]
	v_ashrrev_i32_e32 v13, 31, v12
	v_lshl_add_u64 v[224:225], v[18:19], 3, v[46:47]
	v_add_nc_u32_e32 v2, s12, v0
	v_lshl_add_u64 v[216:217], v[10:11], 3, v[46:47]
	v_lshl_add_u64 v[226:227], v[8:9], 3, v[46:47]
	;; [unrolled: 1-line block ×3, first 2 shown]
	s_delay_alu instid0(VALU_DEP_4) | instskip(SKIP_1) | instid1(VALU_DEP_2)
	v_dual_ashrrev_i32 v1, 31, v0 :: v_dual_add_nc_u32 v4, s12, v2
	v_ashrrev_i32_e32 v27, 31, v26
	v_lshl_add_u64 v[230:231], v[0:1], 3, v[46:47]
	s_delay_alu instid0(VALU_DEP_3) | instskip(NEXT) | instid1(VALU_DEP_3)
	v_add_nc_u32_e32 v6, s12, v4
	v_lshl_add_u64 v[218:219], v[26:27], 3, v[46:47]
	s_clause 0x3
	global_load_b64 v[128:129], v[214:215], off
	global_load_b64 v[124:125], v[216:217], off
	;; [unrolled: 1-line block ×4, first 2 shown]
	v_add_nc_u32_e32 v10, s12, v6
	s_clause 0x3
	global_load_b64 v[144:145], v[222:223], off
	global_load_b64 v[140:141], v[224:225], off
	;; [unrolled: 1-line block ×4, first 2 shown]
	v_dual_ashrrev_i32 v5, 31, v4 :: v_dual_add_nc_u32 v14, s12, v10
	s_delay_alu instid0(VALU_DEP_1) | instskip(NEXT) | instid1(VALU_DEP_2)
	v_lshl_add_u64 v[234:235], v[4:5], 3, v[46:47]
	v_add_nc_u32_e32 v18, s12, v14
	s_delay_alu instid0(VALU_DEP_1) | instskip(NEXT) | instid1(VALU_DEP_1)
	v_add_nc_u32_e32 v0, s12, v18
	v_dual_ashrrev_i32 v7, 31, v6 :: v_dual_add_nc_u32 v8, s12, v0
	v_ashrrev_i32_e32 v3, 31, v2
	v_ashrrev_i32_e32 v11, 31, v10
	s_delay_alu instid0(VALU_DEP_3) | instskip(NEXT) | instid1(VALU_DEP_4)
	v_lshl_add_u64 v[236:237], v[6:7], 3, v[46:47]
	v_ashrrev_i32_e32 v9, 31, v8
	s_delay_alu instid0(VALU_DEP_4)
	v_lshl_add_u64 v[232:233], v[2:3], 3, v[46:47]
	v_add_nc_u32_e32 v2, s12, v8
	v_lshl_add_u64 v[238:239], v[10:11], 3, v[46:47]
	s_clause 0x3
	global_load_b64 v[162:163], v[230:231], off
	global_load_b64 v[158:159], v[232:233], off
	;; [unrolled: 1-line block ×4, first 2 shown]
	v_lshl_add_u64 v[246:247], v[8:9], 3, v[46:47]
	v_dual_add_nc_u32 v4, s12, v2 :: v_dual_ashrrev_i32 v3, 31, v2
	s_delay_alu instid0(VALU_DEP_1) | instskip(SKIP_2) | instid1(VALU_DEP_3)
	v_dual_ashrrev_i32 v15, 31, v14 :: v_dual_ashrrev_i32 v5, 31, v4
	v_add_nc_u32_e32 v6, s12, v4
	v_ashrrev_i32_e32 v1, 31, v0
	v_lshl_add_u64 v[240:241], v[14:15], 3, v[46:47]
	v_lshl_add_u64 v[250:251], v[2:3], 3, v[46:47]
	;; [unrolled: 1-line block ×3, first 2 shown]
	v_dual_add_nc_u32 v10, s12, v6 :: v_dual_ashrrev_i32 v7, 31, v6
	v_lshl_add_u64 v[244:245], v[0:1], 3, v[46:47]
	s_delay_alu instid0(VALU_DEP_2) | instskip(SKIP_1) | instid1(VALU_DEP_4)
	v_dual_add_nc_u32 v0, s12, v10 :: v_dual_ashrrev_i32 v11, 31, v10
	v_ashrrev_i32_e32 v19, 31, v18
	v_lshl_add_u64 v[254:255], v[6:7], 3, v[46:47]
	s_delay_alu instid0(VALU_DEP_3) | instskip(NEXT) | instid1(VALU_DEP_4)
	v_ashrrev_i32_e32 v1, 31, v0
	v_lshl_add_u64 v[2:3], v[10:11], 3, v[46:47]
	s_delay_alu instid0(VALU_DEP_4)
	v_lshl_add_u64 v[242:243], v[18:19], 3, v[46:47]
	s_clause 0x3
	global_load_b64 v[180:181], v[238:239], off
	global_load_b64 v[176:177], v[240:241], off
	;; [unrolled: 1-line block ×4, first 2 shown]
	v_lshl_add_u64 v[248:249], v[0:1], 3, v[46:47]
	s_clause 0x3
	global_load_b64 v[196:197], v[246:247], off
	global_load_b64 v[192:193], v[250:251], off
	;; [unrolled: 1-line block ×4, first 2 shown]
	scratch_store_b64 off, v[2:3], off      ; 8-byte Folded Spill
	s_clause 0x1
	global_load_b64 v[198:199], v[2:3], off
	global_load_b64 v[200:201], v[248:249], off
	v_lshlrev_b32_e32 v0, 3, v40
	s_delay_alu instid0(VALU_DEP_1)
	v_add3_u32 v87, 0, s14, v0
	s_wait_xcnt 0x0
	s_and_saveexec_b32 s4, s0
	s_cbranch_execz .LBB99_8
; %bb.2:
	s_wait_loadcnt 0x2d
	ds_store_b64 v87, v[70:71]
	s_wait_loadcnt 0x2b
	ds_store_2addr_b64 v96, v[98:99], v[66:67] offset0:1 offset1:2
	s_wait_loadcnt 0x2a
	ds_store_2addr_b64 v96, v[64:65], v[68:69] offset0:3 offset1:4
	ds_store_2addr_b64 v96, v[22:23], v[24:25] offset0:5 offset1:6
	s_wait_loadcnt 0x29
	ds_store_2addr_b64 v96, v[20:21], v[38:39] offset0:7 offset1:8
	s_wait_loadcnt 0x27
	;; [unrolled: 2-line block ×22, first 2 shown]
	ds_store_b64 v96, v[200:201] offset:392
	ds_load_b64 v[0:1], v87
	s_wait_dscnt 0x0
	v_cmp_neq_f32_e32 vcc_lo, 0, v0
	v_cmp_neq_f32_e64 s2, 0, v1
	s_or_b32 s2, vcc_lo, s2
	s_delay_alu instid0(SALU_CYCLE_1)
	s_and_b32 exec_lo, exec_lo, s2
	s_cbranch_execz .LBB99_8
; %bb.3:
	v_cmp_ngt_f32_e64 s2, |v0|, |v1|
                                        ; implicit-def: $vgpr2_vgpr3
	s_and_saveexec_b32 s5, s2
	s_delay_alu instid0(SALU_CYCLE_1)
	s_xor_b32 s2, exec_lo, s5
	s_cbranch_execz .LBB99_5
; %bb.4:
	v_div_scale_f32 v2, null, v1, v1, v0
	v_div_scale_f32 v5, vcc_lo, v0, v1, v0
	s_delay_alu instid0(VALU_DEP_2) | instskip(SKIP_1) | instid1(TRANS32_DEP_1)
	v_rcp_f32_e32 v3, v2
	v_nop
	v_fma_f32 v4, -v2, v3, 1.0
	s_delay_alu instid0(VALU_DEP_1) | instskip(NEXT) | instid1(VALU_DEP_1)
	v_fmac_f32_e32 v3, v4, v3
	v_mul_f32_e32 v4, v5, v3
	s_delay_alu instid0(VALU_DEP_1) | instskip(NEXT) | instid1(VALU_DEP_1)
	v_fma_f32 v6, -v2, v4, v5
	v_fmac_f32_e32 v4, v6, v3
	s_delay_alu instid0(VALU_DEP_1) | instskip(NEXT) | instid1(VALU_DEP_1)
	v_fma_f32 v2, -v2, v4, v5
	v_div_fmas_f32 v2, v2, v3, v4
	s_delay_alu instid0(VALU_DEP_1) | instskip(NEXT) | instid1(VALU_DEP_1)
	v_div_fixup_f32 v2, v2, v1, v0
	v_fmac_f32_e32 v1, v0, v2
	s_delay_alu instid0(VALU_DEP_1) | instskip(SKIP_1) | instid1(VALU_DEP_2)
	v_div_scale_f32 v0, null, v1, v1, 1.0
	v_div_scale_f32 v5, vcc_lo, 1.0, v1, 1.0
	v_rcp_f32_e32 v3, v0
	v_nop
	s_delay_alu instid0(TRANS32_DEP_1) | instskip(NEXT) | instid1(VALU_DEP_1)
	v_fma_f32 v4, -v0, v3, 1.0
	v_fmac_f32_e32 v3, v4, v3
	s_delay_alu instid0(VALU_DEP_1) | instskip(NEXT) | instid1(VALU_DEP_1)
	v_mul_f32_e32 v4, v5, v3
	v_fma_f32 v6, -v0, v4, v5
	s_delay_alu instid0(VALU_DEP_1) | instskip(NEXT) | instid1(VALU_DEP_1)
	v_fmac_f32_e32 v4, v6, v3
	v_fma_f32 v0, -v0, v4, v5
	s_delay_alu instid0(VALU_DEP_1) | instskip(NEXT) | instid1(VALU_DEP_1)
	v_div_fmas_f32 v0, v0, v3, v4
	v_div_fixup_f32 v0, v0, v1, 1.0
	s_delay_alu instid0(VALU_DEP_1)
	v_mul_f32_e32 v2, v2, v0
	v_xor_b32_e32 v3, 0x80000000, v0
                                        ; implicit-def: $vgpr0_vgpr1
.LBB99_5:
	s_and_not1_saveexec_b32 s2, s2
	s_cbranch_execz .LBB99_7
; %bb.6:
	v_div_scale_f32 v2, null, v0, v0, v1
	v_div_scale_f32 v5, vcc_lo, v1, v0, v1
	s_delay_alu instid0(VALU_DEP_2) | instskip(SKIP_1) | instid1(TRANS32_DEP_1)
	v_rcp_f32_e32 v3, v2
	v_nop
	v_fma_f32 v4, -v2, v3, 1.0
	s_delay_alu instid0(VALU_DEP_1) | instskip(NEXT) | instid1(VALU_DEP_1)
	v_fmac_f32_e32 v3, v4, v3
	v_mul_f32_e32 v4, v5, v3
	s_delay_alu instid0(VALU_DEP_1) | instskip(NEXT) | instid1(VALU_DEP_1)
	v_fma_f32 v6, -v2, v4, v5
	v_fmac_f32_e32 v4, v6, v3
	s_delay_alu instid0(VALU_DEP_1) | instskip(NEXT) | instid1(VALU_DEP_1)
	v_fma_f32 v2, -v2, v4, v5
	v_div_fmas_f32 v2, v2, v3, v4
	s_delay_alu instid0(VALU_DEP_1) | instskip(NEXT) | instid1(VALU_DEP_1)
	v_div_fixup_f32 v3, v2, v0, v1
	v_fmac_f32_e32 v0, v1, v3
	s_delay_alu instid0(VALU_DEP_1) | instskip(NEXT) | instid1(VALU_DEP_1)
	v_div_scale_f32 v1, null, v0, v0, 1.0
	v_rcp_f32_e32 v2, v1
	v_nop
	s_delay_alu instid0(TRANS32_DEP_1) | instskip(NEXT) | instid1(VALU_DEP_1)
	v_fma_f32 v4, -v1, v2, 1.0
	v_fmac_f32_e32 v2, v4, v2
	v_div_scale_f32 v4, vcc_lo, 1.0, v0, 1.0
	s_delay_alu instid0(VALU_DEP_1) | instskip(NEXT) | instid1(VALU_DEP_1)
	v_mul_f32_e32 v5, v4, v2
	v_fma_f32 v6, -v1, v5, v4
	s_delay_alu instid0(VALU_DEP_1) | instskip(NEXT) | instid1(VALU_DEP_1)
	v_fmac_f32_e32 v5, v6, v2
	v_fma_f32 v1, -v1, v5, v4
	s_delay_alu instid0(VALU_DEP_1) | instskip(NEXT) | instid1(VALU_DEP_1)
	v_div_fmas_f32 v1, v1, v2, v5
	v_div_fixup_f32 v2, v1, v0, 1.0
	s_delay_alu instid0(VALU_DEP_1)
	v_mul_f32_e64 v3, v3, -v2
.LBB99_7:
	s_or_b32 exec_lo, exec_lo, s2
	ds_store_b64 v87, v[2:3]
.LBB99_8:
	s_or_b32 exec_lo, exec_lo, s4
	s_wait_storecnt 0x0
	s_wait_loadcnt_dscnt 0x0
	s_barrier_signal -1
	s_barrier_wait -1
	ds_load_b64 v[0:1], v87
	s_wait_dscnt 0x0
	scratch_store_b64 off, v[0:1], off offset:8 ; 8-byte Folded Spill
	s_wait_xcnt 0x0
	s_and_saveexec_b32 s2, s1
	s_cbranch_execz .LBB99_10
; %bb.9:
	ds_load_2addr_b64 v[4:7], v96 offset0:1 offset1:2
	ds_load_2addr_b64 v[8:11], v96 offset0:3 offset1:4
	;; [unrolled: 1-line block ×3, first 2 shown]
	scratch_load_b64 v[18:19], off, off offset:8 ; 8-byte Folded Reload
	ds_load_2addr_b64 v[26:29], v96 offset0:7 offset1:8
	ds_load_2addr_b64 v[40:43], v96 offset0:9 offset1:10
	s_wait_dscnt 0x3
	v_dual_mov_b32 v46, v11 :: v_dual_mov_b32 v47, v10
	s_wait_loadcnt 0x0
	v_pk_mul_f32 v[2:3], v[18:19], v[70:71] op_sel:[1,1] op_sel_hi:[0,1]
	s_delay_alu instid0(VALU_DEP_1) | instskip(SKIP_1) | instid1(VALU_DEP_1)
	v_pk_fma_f32 v[0:1], v[18:19], v[70:71], v[2:3] op_sel_hi:[1,0,1] neg_lo:[0,0,1] neg_hi:[0,0,1]
	v_pk_fma_f32 v[2:3], v[18:19], v[70:71], v[2:3] op_sel_hi:[1,0,1]
	v_dual_mov_b32 v70, v0 :: v_dual_mov_b32 v71, v3
	s_delay_alu instid0(VALU_DEP_2)
	v_pk_mul_f32 v[18:19], v[4:5], v[2:3] op_sel:[0,1]
	v_pk_mul_f32 v[30:31], v[6:7], v[2:3] op_sel:[0,1]
	;; [unrolled: 1-line block ×3, first 2 shown]
	s_wait_dscnt 0x2
	v_pk_mul_f32 v[60:61], v[12:13], v[2:3] op_sel:[0,1]
	v_dual_mul_f32 v56, v11, v3 :: v_dual_mul_f32 v58, v11, v0
	v_pk_fma_f32 v[82:83], v[4:5], v[0:1], v[18:19] op_sel:[0,0,1] op_sel_hi:[1,1,0] neg_lo:[0,0,1] neg_hi:[0,0,1]
	v_pk_fma_f32 v[4:5], v[4:5], v[0:1], v[18:19] op_sel:[0,0,1] op_sel_hi:[1,0,0]
	v_pk_fma_f32 v[18:19], v[6:7], v[0:1], v[30:31] op_sel:[0,0,1] op_sel_hi:[1,1,0] neg_lo:[0,0,1] neg_hi:[0,0,1]
	v_pk_fma_f32 v[6:7], v[6:7], v[0:1], v[30:31] op_sel:[0,0,1] op_sel_hi:[1,0,0]
	v_pk_mul_f32 v[62:63], v[14:15], v[2:3] op_sel:[0,1]
	v_pk_fma_f32 v[30:31], v[8:9], v[0:1], v[44:45] op_sel:[0,0,1] op_sel_hi:[1,1,0] neg_lo:[0,0,1] neg_hi:[0,0,1]
	v_pk_fma_f32 v[8:9], v[8:9], v[0:1], v[44:45] op_sel:[0,0,1] op_sel_hi:[1,0,0]
	s_wait_dscnt 0x1
	v_pk_mul_f32 v[80:81], v[26:27], v[2:3] op_sel:[0,1]
	v_dual_mov_b32 v83, v5 :: v_dual_mov_b32 v19, v7
	v_pk_fma_f32 v[4:5], v[12:13], v[0:1], v[60:61] op_sel:[0,0,1] op_sel_hi:[1,0,0]
	v_pk_fma_f32 v[44:45], v[46:47], v[70:71], v[58:59] op_sel_hi:[1,1,0]
	v_mov_b32_e32 v31, v9
	v_pk_fma_f32 v[8:9], v[12:13], v[0:1], v[60:61] op_sel:[0,0,1] op_sel_hi:[1,1,0] neg_lo:[0,0,1] neg_hi:[0,0,1]
	v_pk_fma_f32 v[12:13], v[14:15], v[0:1], v[62:63] op_sel:[0,0,1] op_sel_hi:[1,0,0]
	v_pk_add_f32 v[66:67], v[66:67], v[18:19] neg_lo:[0,1] neg_hi:[0,1]
	v_mov_b32_e32 v9, v5
	v_pk_fma_f32 v[18:19], v[26:27], v[0:1], v[80:81] op_sel:[0,0,1] op_sel_hi:[1,0,0]
	ds_load_2addr_b64 v[4:7], v96 offset0:11 offset1:12
	v_pk_fma_f32 v[14:15], v[14:15], v[0:1], v[62:63] op_sel:[0,0,1] op_sel_hi:[1,1,0] neg_lo:[0,0,1] neg_hi:[0,0,1]
	v_pk_fma_f32 v[10:11], v[10:11], v[70:71], v[56:57] op_sel_hi:[1,1,0] neg_lo:[0,0,1] neg_hi:[0,0,1]
	v_mov_b32_e32 v15, v13
	v_pk_fma_f32 v[12:13], v[26:27], v[0:1], v[80:81] op_sel:[0,0,1] op_sel_hi:[1,1,0] neg_lo:[0,0,1] neg_hi:[0,0,1]
	v_dual_mov_b32 v11, v45 :: v_dual_mov_b32 v13, v19
	v_pk_mul_f32 v[18:19], v[28:29], v[2:3] op_sel:[0,1]
	v_pk_add_f32 v[22:23], v[22:23], v[8:9] neg_lo:[0,1] neg_hi:[0,1]
	s_wait_dscnt 0x1
	v_pk_mul_f32 v[26:27], v[42:43], v[2:3] op_sel:[0,1]
	v_pk_add_f32 v[68:69], v[68:69], v[10:11] neg_lo:[0,1] neg_hi:[0,1]
	v_pk_add_f32 v[20:21], v[20:21], v[12:13] neg_lo:[0,1] neg_hi:[0,1]
	v_mul_f32_e32 v12, v41, v0
	ds_load_2addr_b64 v[8:11], v96 offset0:13 offset1:14
	v_pk_add_f32 v[24:25], v[24:25], v[14:15] neg_lo:[0,1] neg_hi:[0,1]
	v_pk_fma_f32 v[14:15], v[28:29], v[0:1], v[18:19] op_sel:[0,0,1] op_sel_hi:[1,0,0]
	v_mul_f32_e32 v14, v41, v3
	v_pk_fma_f32 v[12:13], v[40:41], v[70:71], v[12:13] op_sel:[1,0,0] op_sel_hi:[0,1,0]
	v_pk_fma_f32 v[18:19], v[28:29], v[0:1], v[18:19] op_sel:[0,0,1] op_sel_hi:[1,1,0] neg_lo:[0,0,1] neg_hi:[0,0,1]
	v_pk_fma_f32 v[28:29], v[42:43], v[0:1], v[26:27] op_sel:[0,0,1] op_sel_hi:[1,0,0]
	v_mov_b32_e32 v19, v15
	v_pk_fma_f32 v[14:15], v[40:41], v[70:71], v[14:15] op_sel_hi:[1,1,0] neg_lo:[0,0,1] neg_hi:[0,0,1]
	v_pk_add_f32 v[64:65], v[64:65], v[30:31] neg_lo:[0,1] neg_hi:[0,1]
	v_mov_b32_e32 v15, v13
	s_wait_dscnt 0x1
	v_pk_mul_f32 v[30:31], v[4:5], v[2:3] op_sel:[0,1]
	v_pk_fma_f32 v[12:13], v[42:43], v[0:1], v[26:27] op_sel:[0,0,1] op_sel_hi:[1,1,0] neg_lo:[0,0,1] neg_hi:[0,0,1]
	v_mov_b32_e32 v13, v29
	v_pk_add_f32 v[38:39], v[38:39], v[18:19] neg_lo:[0,1] neg_hi:[0,1]
	v_pk_mul_f32 v[26:27], v[6:7], v[2:3] op_sel:[0,1]
	v_pk_fma_f32 v[18:19], v[4:5], v[0:1], v[30:31] op_sel:[0,0,1] op_sel_hi:[1,0,0]
	v_pk_add_f32 v[34:35], v[34:35], v[14:15] neg_lo:[0,1] neg_hi:[0,1]
	v_pk_add_f32 v[36:37], v[36:37], v[12:13] neg_lo:[0,1] neg_hi:[0,1]
	ds_load_2addr_b64 v[12:15], v96 offset0:15 offset1:16
	v_pk_fma_f32 v[28:29], v[4:5], v[0:1], v[30:31] op_sel:[0,0,1] op_sel_hi:[1,1,0] neg_lo:[0,0,1] neg_hi:[0,0,1]
	s_wait_dscnt 0x1
	v_dual_mov_b32 v29, v19 :: v_dual_mov_b32 v40, v11
	v_pk_fma_f32 v[18:19], v[6:7], v[0:1], v[26:27] op_sel:[0,0,1] op_sel_hi:[1,1,0] neg_lo:[0,0,1] neg_hi:[0,0,1]
	v_pk_fma_f32 v[26:27], v[6:7], v[0:1], v[26:27] op_sel:[0,0,1] op_sel_hi:[1,0,0]
	v_pk_mul_f32 v[30:31], v[8:9], v[2:3] op_sel:[0,1]
	ds_load_2addr_b64 v[4:7], v96 offset0:17 offset1:18
	v_pk_add_f32 v[32:33], v[32:33], v[28:29] neg_lo:[0,1] neg_hi:[0,1]
	v_dual_mov_b32 v41, v10 :: v_dual_mul_f32 v26, v11, v0
	v_mov_b32_e32 v19, v27
	v_pk_fma_f32 v[28:29], v[8:9], v[0:1], v[30:31] op_sel:[0,0,1] op_sel_hi:[1,0,0]
	v_mul_f32_e32 v28, v11, v3
	v_pk_add_f32 v[98:99], v[98:99], v[82:83] neg_lo:[0,1] neg_hi:[0,1]
	v_pk_fma_f32 v[26:27], v[40:41], v[70:71], v[26:27] op_sel_hi:[1,1,0]
	v_pk_add_f32 v[54:55], v[54:55], v[18:19] neg_lo:[0,1] neg_hi:[0,1]
	v_pk_fma_f32 v[18:19], v[8:9], v[0:1], v[30:31] op_sel:[0,0,1] op_sel_hi:[1,1,0] neg_lo:[0,0,1] neg_hi:[0,0,1]
	v_mov_b32_e32 v19, v29
	v_pk_fma_f32 v[28:29], v[10:11], v[70:71], v[28:29] op_sel_hi:[1,1,0] neg_lo:[0,0,1] neg_hi:[0,0,1]
	ds_load_2addr_b64 v[8:11], v96 offset0:19 offset1:20
	v_mov_b32_e32 v29, v27
	s_wait_dscnt 0x2
	v_pk_mul_f32 v[26:27], v[12:13], v[2:3] op_sel:[0,1]
	v_pk_mul_f32 v[30:31], v[14:15], v[2:3] op_sel:[0,1]
	v_pk_add_f32 v[50:51], v[50:51], v[18:19] neg_lo:[0,1] neg_hi:[0,1]
	v_pk_add_f32 v[52:53], v[52:53], v[28:29] neg_lo:[0,1] neg_hi:[0,1]
	s_delay_alu instid0(VALU_DEP_4)
	v_pk_fma_f32 v[18:19], v[12:13], v[0:1], v[26:27] op_sel:[0,0,1] op_sel_hi:[1,0,0]
	s_wait_dscnt 0x1
	v_pk_mul_f32 v[42:43], v[4:5], v[2:3] op_sel:[0,1]
	v_pk_fma_f32 v[12:13], v[12:13], v[0:1], v[26:27] op_sel:[0,0,1] op_sel_hi:[1,1,0] neg_lo:[0,0,1] neg_hi:[0,0,1]
	v_pk_fma_f32 v[40:41], v[14:15], v[0:1], v[30:31] op_sel:[0,0,1] op_sel_hi:[1,0,0]
	ds_load_2addr_b64 v[26:29], v96 offset0:21 offset1:22
	v_mov_b32_e32 v13, v19
	v_pk_fma_f32 v[14:15], v[14:15], v[0:1], v[30:31] op_sel:[0,0,1] op_sel_hi:[1,1,0] neg_lo:[0,0,1] neg_hi:[0,0,1]
	v_pk_mul_f32 v[18:19], v[6:7], v[2:3] op_sel:[0,1]
	v_pk_fma_f32 v[30:31], v[4:5], v[0:1], v[42:43] op_sel:[0,0,1] op_sel_hi:[1,0,0]
	v_pk_fma_f32 v[4:5], v[4:5], v[0:1], v[42:43] op_sel:[0,0,1] op_sel_hi:[1,1,0] neg_lo:[0,0,1] neg_hi:[0,0,1]
	v_mov_b32_e32 v15, v41
	v_pk_add_f32 v[48:49], v[48:49], v[12:13] neg_lo:[0,1] neg_hi:[0,1]
	v_pk_fma_f32 v[12:13], v[6:7], v[0:1], v[18:19] op_sel:[0,0,1] op_sel_hi:[1,0,0]
	s_wait_dscnt 0x1
	v_dual_mov_b32 v5, v31 :: v_dual_mul_f32 v12, v9, v0
	v_pk_mul_f32 v[30:31], v[10:11], v[2:3] op_sel:[0,1]
	v_pk_add_f32 v[78:79], v[78:79], v[14:15] neg_lo:[0,1] neg_hi:[0,1]
	v_pk_fma_f32 v[14:15], v[6:7], v[0:1], v[18:19] op_sel:[0,0,1] op_sel_hi:[1,1,0] neg_lo:[0,0,1] neg_hi:[0,0,1]
	s_delay_alu instid0(VALU_DEP_4)
	v_pk_add_f32 v[74:75], v[74:75], v[4:5] neg_lo:[0,1] neg_hi:[0,1]
	ds_load_2addr_b64 v[4:7], v96 offset0:23 offset1:24
	v_pk_fma_f32 v[42:43], v[10:11], v[0:1], v[30:31] op_sel:[0,0,1] op_sel_hi:[1,0,0]
	v_mul_f32_e32 v18, v9, v3
	v_mov_b32_e32 v15, v13
	v_pk_fma_f32 v[12:13], v[8:9], v[70:71], v[12:13] op_sel:[1,0,0] op_sel_hi:[0,1,0]
	v_pk_fma_f32 v[10:11], v[10:11], v[0:1], v[30:31] op_sel:[0,0,1] op_sel_hi:[1,1,0] neg_lo:[0,0,1] neg_hi:[0,0,1]
	v_mov_b32_e32 v11, v43
	v_pk_fma_f32 v[8:9], v[8:9], v[70:71], v[18:19] op_sel_hi:[1,1,0] neg_lo:[0,0,1] neg_hi:[0,0,1]
	s_wait_dscnt 0x1
	v_pk_mul_f32 v[40:41], v[26:27], v[2:3] op_sel:[0,1]
	v_mov_b32_e32 v9, v13
	v_pk_add_f32 v[76:77], v[76:77], v[14:15] neg_lo:[0,1] neg_hi:[0,1]
	ds_load_2addr_b64 v[12:15], v96 offset0:25 offset1:26
	v_pk_mul_f32 v[18:19], v[28:29], v[2:3] op_sel:[0,1]
	v_pk_fma_f32 v[44:45], v[26:27], v[0:1], v[40:41] op_sel:[0,0,1] op_sel_hi:[1,0,0]
	v_pk_add_f32 v[72:73], v[72:73], v[8:9] neg_lo:[0,1] neg_hi:[0,1]
	v_pk_add_f32 v[94:95], v[94:95], v[10:11] neg_lo:[0,1] neg_hi:[0,1]
	ds_load_2addr_b64 v[8:11], v96 offset0:27 offset1:28
	v_pk_fma_f32 v[30:31], v[28:29], v[0:1], v[18:19] op_sel:[0,0,1] op_sel_hi:[1,0,0]
	v_pk_fma_f32 v[26:27], v[26:27], v[0:1], v[40:41] op_sel:[0,0,1] op_sel_hi:[1,1,0] neg_lo:[0,0,1] neg_hi:[0,0,1]
	v_pk_fma_f32 v[18:19], v[28:29], v[0:1], v[18:19] op_sel:[0,0,1] op_sel_hi:[1,1,0] neg_lo:[0,0,1] neg_hi:[0,0,1]
	v_mov_b32_e32 v27, v45
	s_wait_dscnt 0x2
	v_pk_mul_f32 v[28:29], v[4:5], v[2:3] op_sel:[0,1]
	v_dual_mov_b32 v19, v31 :: v_dual_mov_b32 v30, v7
	v_dual_mov_b32 v31, v6 :: v_dual_mul_f32 v40, v7, v3
	v_pk_add_f32 v[90:91], v[90:91], v[26:27] neg_lo:[0,1] neg_hi:[0,1]
	s_delay_alu instid0(VALU_DEP_3)
	v_pk_add_f32 v[92:93], v[92:93], v[18:19] neg_lo:[0,1] neg_hi:[0,1]
	v_pk_fma_f32 v[18:19], v[4:5], v[0:1], v[28:29] op_sel:[0,0,1] op_sel_hi:[1,1,0] neg_lo:[0,0,1] neg_hi:[0,0,1]
	v_pk_fma_f32 v[4:5], v[4:5], v[0:1], v[28:29] op_sel:[0,0,1] op_sel_hi:[1,0,0]
	v_mul_f32_e32 v4, v7, v0
	s_wait_dscnt 0x1
	v_pk_mul_f32 v[42:43], v[12:13], v[2:3] op_sel:[0,1]
	v_pk_mul_f32 v[44:45], v[14:15], v[2:3] op_sel:[0,1]
	ds_load_2addr_b64 v[26:29], v96 offset0:29 offset1:30
	v_pk_fma_f32 v[6:7], v[6:7], v[70:71], v[40:41] op_sel_hi:[1,1,0] neg_lo:[0,0,1] neg_hi:[0,0,1]
	v_pk_fma_f32 v[30:31], v[30:31], v[70:71], v[4:5] op_sel_hi:[1,1,0]
	v_mov_b32_e32 v19, v5
	v_pk_fma_f32 v[4:5], v[12:13], v[0:1], v[42:43] op_sel:[0,0,1] op_sel_hi:[1,0,0]
	v_pk_fma_f32 v[40:41], v[14:15], v[0:1], v[44:45] op_sel:[0,0,1] op_sel_hi:[1,0,0]
	v_pk_fma_f32 v[12:13], v[12:13], v[0:1], v[42:43] op_sel:[0,0,1] op_sel_hi:[1,1,0] neg_lo:[0,0,1] neg_hi:[0,0,1]
	v_mov_b32_e32 v7, v31
	v_pk_add_f32 v[88:89], v[88:89], v[18:19] neg_lo:[0,1] neg_hi:[0,1]
	v_mov_b32_e32 v13, v5
	v_pk_fma_f32 v[4:5], v[14:15], v[0:1], v[44:45] op_sel:[0,0,1] op_sel_hi:[1,1,0] neg_lo:[0,0,1] neg_hi:[0,0,1]
	v_mov_b32_e32 v5, v41
	s_wait_dscnt 0x1
	v_pk_mul_f32 v[14:15], v[8:9], v[2:3] op_sel:[0,1]
	v_pk_add_f32 v[112:113], v[112:113], v[6:7] neg_lo:[0,1] neg_hi:[0,1]
	v_pk_add_f32 v[108:109], v[108:109], v[12:13] neg_lo:[0,1] neg_hi:[0,1]
	v_pk_mul_f32 v[30:31], v[10:11], v[2:3] op_sel:[0,1]
	v_pk_add_f32 v[110:111], v[110:111], v[4:5] neg_lo:[0,1] neg_hi:[0,1]
	v_pk_fma_f32 v[18:19], v[8:9], v[0:1], v[14:15] op_sel:[0,0,1] op_sel_hi:[1,0,0]
	ds_load_2addr_b64 v[4:7], v96 offset0:31 offset1:32
	v_pk_fma_f32 v[8:9], v[8:9], v[0:1], v[14:15] op_sel:[0,0,1] op_sel_hi:[1,1,0] neg_lo:[0,0,1] neg_hi:[0,0,1]
	ds_load_2addr_b64 v[12:15], v96 offset0:33 offset1:34
	v_pk_fma_f32 v[42:43], v[10:11], v[0:1], v[30:31] op_sel:[0,0,1] op_sel_hi:[1,0,0]
	s_wait_dscnt 0x2
	v_dual_mul_f32 v18, v27, v0 :: v_dual_mul_f32 v42, v27, v3
	v_pk_fma_f32 v[10:11], v[10:11], v[0:1], v[30:31] op_sel:[0,0,1] op_sel_hi:[1,1,0] neg_lo:[0,0,1] neg_hi:[0,0,1]
	s_delay_alu instid0(VALU_DEP_3) | instskip(SKIP_1) | instid1(VALU_DEP_4)
	v_dual_mov_b32 v9, v19 :: v_dual_mov_b32 v11, v43
	v_pk_mul_f32 v[40:41], v[28:29], v[2:3] op_sel:[0,1]
	v_pk_fma_f32 v[18:19], v[26:27], v[70:71], v[18:19] op_sel:[1,0,0] op_sel_hi:[0,1,0]
	v_pk_fma_f32 v[26:27], v[26:27], v[70:71], v[42:43] op_sel_hi:[1,1,0] neg_lo:[0,0,1] neg_hi:[0,0,1]
	s_delay_alu instid0(VALU_DEP_4)
	v_pk_add_f32 v[106:107], v[106:107], v[8:9] neg_lo:[0,1] neg_hi:[0,1]
	v_pk_add_f32 v[128:129], v[128:129], v[10:11] neg_lo:[0,1] neg_hi:[0,1]
	v_pk_fma_f32 v[30:31], v[28:29], v[0:1], v[40:41] op_sel:[0,0,1] op_sel_hi:[1,0,0]
	ds_load_2addr_b64 v[8:11], v96 offset0:35 offset1:36
	v_mov_b32_e32 v27, v19
	v_pk_fma_f32 v[18:19], v[28:29], v[0:1], v[40:41] op_sel:[0,0,1] op_sel_hi:[1,1,0] neg_lo:[0,0,1] neg_hi:[0,0,1]
	v_mov_b32_e32 v19, v31
	s_delay_alu instid0(VALU_DEP_3)
	v_pk_add_f32 v[124:125], v[124:125], v[26:27] neg_lo:[0,1] neg_hi:[0,1]
	s_wait_dscnt 0x1
	v_pk_mul_f32 v[30:31], v[12:13], v[2:3] op_sel:[0,1]
	v_pk_mul_f32 v[26:27], v[4:5], v[2:3] op_sel:[0,1]
	v_pk_add_f32 v[126:127], v[126:127], v[18:19] neg_lo:[0,1] neg_hi:[0,1]
	v_pk_mul_f32 v[18:19], v[6:7], v[2:3] op_sel:[0,1]
	s_delay_alu instid0(VALU_DEP_4) | instskip(NEXT) | instid1(VALU_DEP_4)
	v_pk_fma_f32 v[44:45], v[12:13], v[0:1], v[30:31] op_sel:[0,0,1] op_sel_hi:[1,0,0]
	v_pk_fma_f32 v[40:41], v[4:5], v[0:1], v[26:27] op_sel:[0,0,1] op_sel_hi:[1,0,0]
	v_pk_fma_f32 v[4:5], v[4:5], v[0:1], v[26:27] op_sel:[0,0,1] op_sel_hi:[1,1,0] neg_lo:[0,0,1] neg_hi:[0,0,1]
	ds_load_2addr_b64 v[26:29], v96 offset0:37 offset1:38
	v_pk_fma_f32 v[12:13], v[12:13], v[0:1], v[30:31] op_sel:[0,0,1] op_sel_hi:[1,1,0] neg_lo:[0,0,1] neg_hi:[0,0,1]
	v_pk_fma_f32 v[42:43], v[6:7], v[0:1], v[18:19] op_sel:[0,0,1] op_sel_hi:[1,0,0]
	v_pk_fma_f32 v[6:7], v[6:7], v[0:1], v[18:19] op_sel:[0,0,1] op_sel_hi:[1,1,0] neg_lo:[0,0,1] neg_hi:[0,0,1]
	v_dual_mov_b32 v13, v45 :: v_dual_mov_b32 v18, v15
	v_dual_mov_b32 v19, v14 :: v_dual_mul_f32 v30, v15, v0
	s_delay_alu instid0(VALU_DEP_4) | instskip(NEXT) | instid1(VALU_DEP_3)
	v_dual_mov_b32 v5, v41 :: v_dual_mov_b32 v7, v43
	v_pk_add_f32 v[140:141], v[140:141], v[12:13] neg_lo:[0,1] neg_hi:[0,1]
	s_wait_dscnt 0x1
	v_pk_mul_f32 v[40:41], v[10:11], v[2:3] op_sel:[0,1]
	v_pk_fma_f32 v[18:19], v[18:19], v[70:71], v[30:31] op_sel_hi:[1,1,0]
	v_pk_mul_f32 v[30:31], v[8:9], v[2:3] op_sel:[0,1]
	v_pk_add_f32 v[122:123], v[122:123], v[4:5] neg_lo:[0,1] neg_hi:[0,1]
	v_pk_add_f32 v[144:145], v[144:145], v[6:7] neg_lo:[0,1] neg_hi:[0,1]
	ds_load_2addr_b64 v[4:7], v96 offset0:39 offset1:40
	v_pk_fma_f32 v[46:47], v[10:11], v[0:1], v[40:41] op_sel:[0,0,1] op_sel_hi:[1,0,0]
	v_pk_fma_f32 v[44:45], v[8:9], v[0:1], v[30:31] op_sel:[0,0,1] op_sel_hi:[1,0,0]
	v_mul_f32_e32 v12, v15, v3
	v_pk_fma_f32 v[8:9], v[8:9], v[0:1], v[30:31] op_sel:[0,0,1] op_sel_hi:[1,1,0] neg_lo:[0,0,1] neg_hi:[0,0,1]
	v_pk_fma_f32 v[10:11], v[10:11], v[0:1], v[40:41] op_sel:[0,0,1] op_sel_hi:[1,1,0] neg_lo:[0,0,1] neg_hi:[0,0,1]
	s_delay_alu instid0(VALU_DEP_4) | instskip(NEXT) | instid1(VALU_DEP_4)
	v_dual_mov_b32 v11, v47 :: v_dual_mov_b32 v9, v45
	v_pk_fma_f32 v[42:43], v[14:15], v[70:71], v[12:13] op_sel_hi:[1,1,0] neg_lo:[0,0,1] neg_hi:[0,0,1]
	ds_load_2addr_b64 v[12:15], v96 offset0:41 offset1:42
	v_mov_b32_e32 v43, v19
	s_wait_dscnt 0x2
	v_pk_mul_f32 v[18:19], v[26:27], v[2:3] op_sel:[0,1]
	v_pk_add_f32 v[138:139], v[138:139], v[8:9] neg_lo:[0,1] neg_hi:[0,1]
	v_pk_add_f32 v[162:163], v[162:163], v[10:11] neg_lo:[0,1] neg_hi:[0,1]
	ds_load_2addr_b64 v[8:11], v96 offset0:43 offset1:44
	v_pk_add_f32 v[142:143], v[142:143], v[42:43] neg_lo:[0,1] neg_hi:[0,1]
	v_pk_fma_f32 v[30:31], v[26:27], v[0:1], v[18:19] op_sel:[0,0,1] op_sel_hi:[1,0,0]
	v_pk_fma_f32 v[18:19], v[26:27], v[0:1], v[18:19] op_sel:[0,0,1] op_sel_hi:[1,1,0] neg_lo:[0,0,1] neg_hi:[0,0,1]
	v_pk_mul_f32 v[26:27], v[28:29], v[2:3] op_sel:[0,1]
	s_wait_dscnt 0x2
	s_delay_alu instid0(VALU_DEP_3) | instskip(NEXT) | instid1(VALU_DEP_1)
	v_dual_mul_f32 v30, v5, v0 :: v_dual_mov_b32 v19, v31
	v_pk_fma_f32 v[30:31], v[4:5], v[70:71], v[30:31] op_sel:[1,0,0] op_sel_hi:[0,1,0]
	s_delay_alu instid0(VALU_DEP_2)
	v_pk_add_f32 v[158:159], v[158:159], v[18:19] neg_lo:[0,1] neg_hi:[0,1]
	v_pk_fma_f32 v[18:19], v[28:29], v[0:1], v[26:27] op_sel:[0,0,1] op_sel_hi:[1,1,0] neg_lo:[0,0,1] neg_hi:[0,0,1]
	v_pk_fma_f32 v[26:27], v[28:29], v[0:1], v[26:27] op_sel:[0,0,1] op_sel_hi:[1,0,0]
	v_mul_f32_e32 v26, v5, v3
	v_pk_mul_f32 v[28:29], v[6:7], v[2:3] op_sel:[0,1]
	s_wait_dscnt 0x1
	v_pk_mul_f32 v[40:41], v[12:13], v[2:3] op_sel:[0,1]
	v_mov_b32_e32 v19, v27
	v_pk_fma_f32 v[26:27], v[4:5], v[70:71], v[26:27] op_sel_hi:[1,1,0] neg_lo:[0,0,1] neg_hi:[0,0,1]
	v_pk_fma_f32 v[42:43], v[6:7], v[0:1], v[28:29] op_sel:[0,0,1] op_sel_hi:[1,0,0]
	v_mov_b32_e32 v27, v31
	v_pk_fma_f32 v[30:31], v[12:13], v[0:1], v[40:41] op_sel:[0,0,1] op_sel_hi:[1,0,0]
	v_pk_fma_f32 v[28:29], v[6:7], v[0:1], v[28:29] op_sel:[0,0,1] op_sel_hi:[1,1,0] neg_lo:[0,0,1] neg_hi:[0,0,1]
	ds_load_2addr_b64 v[4:7], v96 offset0:45 offset1:46
	v_pk_fma_f32 v[12:13], v[12:13], v[0:1], v[40:41] op_sel:[0,0,1] op_sel_hi:[1,1,0] neg_lo:[0,0,1] neg_hi:[0,0,1]
	v_dual_mov_b32 v29, v43 :: v_dual_mov_b32 v13, v31
	v_pk_mul_f32 v[30:31], v[14:15], v[2:3] op_sel:[0,1]
	v_pk_add_f32 v[160:161], v[160:161], v[18:19] neg_lo:[0,1] neg_hi:[0,1]
	v_pk_add_f32 v[156:157], v[156:157], v[26:27] neg_lo:[0,1] neg_hi:[0,1]
	s_delay_alu instid0(VALU_DEP_4)
	v_pk_add_f32 v[180:181], v[180:181], v[28:29] neg_lo:[0,1] neg_hi:[0,1]
	s_wait_dscnt 0x1
	v_pk_mul_f32 v[28:29], v[8:9], v[2:3] op_sel:[0,1]
	v_pk_fma_f32 v[18:19], v[14:15], v[0:1], v[30:31] op_sel:[0,0,1] op_sel_hi:[1,1,0] neg_lo:[0,0,1] neg_hi:[0,0,1]
	v_pk_fma_f32 v[26:27], v[14:15], v[0:1], v[30:31] op_sel:[0,0,1] op_sel_hi:[1,0,0]
	v_mov_b32_e32 v30, v11
	v_pk_add_f32 v[176:177], v[176:177], v[12:13] neg_lo:[0,1] neg_hi:[0,1]
	ds_load_2addr_b64 v[12:15], v96 offset0:47 offset1:48
	ds_load_b64 v[40:41], v96 offset:392
	v_dual_mov_b32 v31, v10 :: v_dual_mul_f32 v26, v11, v0
	v_pk_fma_f32 v[42:43], v[8:9], v[0:1], v[28:29] op_sel:[0,0,1] op_sel_hi:[1,0,0]
	v_mul_f32_e32 v42, v11, v3
	v_mov_b32_e32 v19, v27
	v_pk_fma_f32 v[8:9], v[8:9], v[0:1], v[28:29] op_sel:[0,0,1] op_sel_hi:[1,1,0] neg_lo:[0,0,1] neg_hi:[0,0,1]
	v_pk_fma_f32 v[26:27], v[30:31], v[70:71], v[26:27] op_sel_hi:[1,1,0]
	s_wait_dscnt 0x2
	v_pk_mul_f32 v[28:29], v[4:5], v[2:3] op_sel:[0,1]
	v_mov_b32_e32 v9, v43
	v_pk_fma_f32 v[10:11], v[10:11], v[70:71], v[42:43] op_sel_hi:[1,1,0] neg_lo:[0,0,1] neg_hi:[0,0,1]
	v_pk_add_f32 v[178:179], v[178:179], v[18:19] neg_lo:[0,1] neg_hi:[0,1]
	s_delay_alu instid0(VALU_DEP_4)
	v_pk_fma_f32 v[18:19], v[4:5], v[0:1], v[28:29] op_sel:[0,0,1] op_sel_hi:[1,0,0]
	v_mov_b32_e32 v11, v27
	v_pk_add_f32 v[174:175], v[174:175], v[8:9] neg_lo:[0,1] neg_hi:[0,1]
	v_pk_mul_f32 v[8:9], v[6:7], v[2:3] op_sel:[0,1]
	v_pk_fma_f32 v[4:5], v[4:5], v[0:1], v[28:29] op_sel:[0,0,1] op_sel_hi:[1,1,0] neg_lo:[0,0,1] neg_hi:[0,0,1]
	v_mov_b32_e32 v5, v19
	v_pk_add_f32 v[196:197], v[196:197], v[10:11] neg_lo:[0,1] neg_hi:[0,1]
	s_wait_dscnt 0x1
	v_pk_mul_f32 v[10:11], v[12:13], v[2:3] op_sel:[0,1]
	v_pk_fma_f32 v[18:19], v[6:7], v[0:1], v[8:9] op_sel:[0,0,1] op_sel_hi:[1,0,0]
	v_pk_mul_f32 v[26:27], v[14:15], v[2:3] op_sel:[0,1]
	s_wait_dscnt 0x0
	v_pk_mul_f32 v[2:3], v[40:41], v[2:3] op_sel:[0,1]
	v_pk_fma_f32 v[6:7], v[6:7], v[0:1], v[8:9] op_sel:[0,0,1] op_sel_hi:[1,1,0] neg_lo:[0,0,1] neg_hi:[0,0,1]
	v_pk_fma_f32 v[8:9], v[12:13], v[0:1], v[10:11] op_sel:[0,0,1] op_sel_hi:[1,0,0]
	v_mov_b32_e32 v7, v19
	v_pk_fma_f32 v[18:19], v[14:15], v[0:1], v[26:27] op_sel:[0,0,1] op_sel_hi:[1,0,0]
	v_pk_fma_f32 v[10:11], v[12:13], v[0:1], v[10:11] op_sel:[0,0,1] op_sel_hi:[1,1,0] neg_lo:[0,0,1] neg_hi:[0,0,1]
	v_pk_fma_f32 v[12:13], v[40:41], v[0:1], v[2:3] op_sel:[0,0,1] op_sel_hi:[1,0,0]
	v_mov_b32_e32 v11, v9
	v_pk_fma_f32 v[8:9], v[14:15], v[0:1], v[26:27] op_sel:[0,0,1] op_sel_hi:[1,1,0] neg_lo:[0,0,1] neg_hi:[0,0,1]
	v_pk_fma_f32 v[0:1], v[40:41], v[0:1], v[2:3] op_sel:[0,0,1] op_sel_hi:[1,1,0] neg_lo:[0,0,1] neg_hi:[0,0,1]
	s_delay_alu instid0(VALU_DEP_4) | instskip(SKIP_3) | instid1(VALU_DEP_4)
	v_dual_mov_b32 v9, v19 :: v_dual_mov_b32 v1, v13
	v_pk_add_f32 v[192:193], v[192:193], v[4:5] neg_lo:[0,1] neg_hi:[0,1]
	v_pk_add_f32 v[194:195], v[194:195], v[6:7] neg_lo:[0,1] neg_hi:[0,1]
	v_pk_add_f32 v[190:191], v[190:191], v[10:11] neg_lo:[0,1] neg_hi:[0,1]
	v_pk_add_f32 v[198:199], v[198:199], v[8:9] neg_lo:[0,1] neg_hi:[0,1]
	v_pk_add_f32 v[200:201], v[200:201], v[0:1] neg_lo:[0,1] neg_hi:[0,1]
.LBB99_10:
	s_wait_xcnt 0x0
	s_or_b32 exec_lo, exec_lo, s2
	s_delay_alu instid0(SALU_CYCLE_1)
	s_mov_b32 s2, exec_lo
	s_wait_storecnt 0x0
	s_barrier_signal -1
	s_barrier_wait -1
	v_cmpx_eq_u32_e32 1, v86
	s_cbranch_execz .LBB99_17
; %bb.11:
	v_dual_mov_b32 v0, v66 :: v_dual_mov_b32 v1, v67
	v_dual_mov_b32 v2, v64 :: v_dual_mov_b32 v3, v65
	;; [unrolled: 1-line block ×10, first 2 shown]
	ds_store_b64 v87, v[98:99]
	v_dual_mov_b32 v28, v54 :: v_dual_mov_b32 v29, v55
	v_dual_mov_b32 v30, v50 :: v_dual_mov_b32 v31, v51
	ds_store_2addr_b64 v96, v[0:1], v[2:3] offset0:2 offset1:3
	ds_store_2addr_b64 v96, v[4:5], v[6:7] offset0:4 offset1:5
	ds_store_2addr_b64 v96, v[8:9], v[10:11] offset0:6 offset1:7
	ds_store_2addr_b64 v96, v[12:13], v[14:15] offset0:8 offset1:9
	ds_store_2addr_b64 v96, v[18:19], v[26:27] offset0:10 offset1:11
	ds_store_2addr_b64 v96, v[28:29], v[30:31] offset0:12 offset1:13
	v_dual_mov_b32 v0, v52 :: v_dual_mov_b32 v1, v53
	v_dual_mov_b32 v2, v48 :: v_dual_mov_b32 v3, v49
	v_dual_mov_b32 v4, v78 :: v_dual_mov_b32 v5, v79
	v_dual_mov_b32 v6, v74 :: v_dual_mov_b32 v7, v75
	v_dual_mov_b32 v8, v76 :: v_dual_mov_b32 v9, v77
	v_dual_mov_b32 v10, v72 :: v_dual_mov_b32 v11, v73
	v_dual_mov_b32 v12, v94 :: v_dual_mov_b32 v13, v95
	v_dual_mov_b32 v14, v90 :: v_dual_mov_b32 v15, v91
	v_dual_mov_b32 v18, v92 :: v_dual_mov_b32 v19, v93
	v_dual_mov_b32 v26, v88 :: v_dual_mov_b32 v27, v89
	v_dual_mov_b32 v28, v112 :: v_dual_mov_b32 v29, v113
	v_dual_mov_b32 v30, v108 :: v_dual_mov_b32 v31, v109
	ds_store_2addr_b64 v96, v[0:1], v[2:3] offset0:14 offset1:15
	ds_store_2addr_b64 v96, v[4:5], v[6:7] offset0:16 offset1:17
	ds_store_2addr_b64 v96, v[8:9], v[10:11] offset0:18 offset1:19
	ds_store_2addr_b64 v96, v[12:13], v[14:15] offset0:20 offset1:21
	ds_store_2addr_b64 v96, v[18:19], v[26:27] offset0:22 offset1:23
	ds_store_2addr_b64 v96, v[28:29], v[30:31] offset0:24 offset1:25
	v_dual_mov_b32 v0, v110 :: v_dual_mov_b32 v1, v111
	v_dual_mov_b32 v2, v106 :: v_dual_mov_b32 v3, v107
	v_dual_mov_b32 v4, v128 :: v_dual_mov_b32 v5, v129
	v_dual_mov_b32 v6, v124 :: v_dual_mov_b32 v7, v125
	v_dual_mov_b32 v8, v126 :: v_dual_mov_b32 v9, v127
	v_dual_mov_b32 v10, v122 :: v_dual_mov_b32 v11, v123
	v_dual_mov_b32 v12, v144 :: v_dual_mov_b32 v13, v145
	v_dual_mov_b32 v14, v140 :: v_dual_mov_b32 v15, v141
	v_dual_mov_b32 v18, v142 :: v_dual_mov_b32 v19, v143
	v_dual_mov_b32 v26, v138 :: v_dual_mov_b32 v27, v139
	;; [unrolled: 18-line block ×3, first 2 shown]
	v_dual_mov_b32 v28, v198 :: v_dual_mov_b32 v29, v199
	ds_store_2addr_b64 v96, v[0:1], v[2:3] offset0:38 offset1:39
	ds_store_2addr_b64 v96, v[4:5], v[6:7] offset0:40 offset1:41
	;; [unrolled: 1-line block ×6, first 2 shown]
	ds_load_b64 v[0:1], v87
	s_wait_dscnt 0x0
	v_cmp_neq_f32_e32 vcc_lo, 0, v0
	v_cmp_neq_f32_e64 s1, 0, v1
	s_or_b32 s1, vcc_lo, s1
	s_delay_alu instid0(SALU_CYCLE_1)
	s_and_b32 exec_lo, exec_lo, s1
	s_cbranch_execz .LBB99_17
; %bb.12:
	v_cmp_ngt_f32_e64 s1, |v0|, |v1|
                                        ; implicit-def: $vgpr2_vgpr3
	s_and_saveexec_b32 s4, s1
	s_delay_alu instid0(SALU_CYCLE_1)
	s_xor_b32 s1, exec_lo, s4
	s_cbranch_execz .LBB99_14
; %bb.13:
	v_div_scale_f32 v2, null, v1, v1, v0
	v_div_scale_f32 v5, vcc_lo, v0, v1, v0
	s_delay_alu instid0(VALU_DEP_2) | instskip(SKIP_1) | instid1(TRANS32_DEP_1)
	v_rcp_f32_e32 v3, v2
	v_nop
	v_fma_f32 v4, -v2, v3, 1.0
	s_delay_alu instid0(VALU_DEP_1) | instskip(NEXT) | instid1(VALU_DEP_1)
	v_fmac_f32_e32 v3, v4, v3
	v_mul_f32_e32 v4, v5, v3
	s_delay_alu instid0(VALU_DEP_1) | instskip(NEXT) | instid1(VALU_DEP_1)
	v_fma_f32 v6, -v2, v4, v5
	v_fmac_f32_e32 v4, v6, v3
	s_delay_alu instid0(VALU_DEP_1) | instskip(NEXT) | instid1(VALU_DEP_1)
	v_fma_f32 v2, -v2, v4, v5
	v_div_fmas_f32 v2, v2, v3, v4
	s_delay_alu instid0(VALU_DEP_1) | instskip(NEXT) | instid1(VALU_DEP_1)
	v_div_fixup_f32 v2, v2, v1, v0
	v_fmac_f32_e32 v1, v0, v2
	s_delay_alu instid0(VALU_DEP_1) | instskip(SKIP_1) | instid1(VALU_DEP_2)
	v_div_scale_f32 v0, null, v1, v1, 1.0
	v_div_scale_f32 v5, vcc_lo, 1.0, v1, 1.0
	v_rcp_f32_e32 v3, v0
	v_nop
	s_delay_alu instid0(TRANS32_DEP_1) | instskip(NEXT) | instid1(VALU_DEP_1)
	v_fma_f32 v4, -v0, v3, 1.0
	v_fmac_f32_e32 v3, v4, v3
	s_delay_alu instid0(VALU_DEP_1) | instskip(NEXT) | instid1(VALU_DEP_1)
	v_mul_f32_e32 v4, v5, v3
	v_fma_f32 v6, -v0, v4, v5
	s_delay_alu instid0(VALU_DEP_1) | instskip(NEXT) | instid1(VALU_DEP_1)
	v_fmac_f32_e32 v4, v6, v3
	v_fma_f32 v0, -v0, v4, v5
	s_delay_alu instid0(VALU_DEP_1) | instskip(NEXT) | instid1(VALU_DEP_1)
	v_div_fmas_f32 v0, v0, v3, v4
	v_div_fixup_f32 v0, v0, v1, 1.0
	s_delay_alu instid0(VALU_DEP_1)
	v_mul_f32_e32 v2, v2, v0
	v_xor_b32_e32 v3, 0x80000000, v0
                                        ; implicit-def: $vgpr0_vgpr1
.LBB99_14:
	s_and_not1_saveexec_b32 s1, s1
	s_cbranch_execz .LBB99_16
; %bb.15:
	v_div_scale_f32 v2, null, v0, v0, v1
	v_div_scale_f32 v5, vcc_lo, v1, v0, v1
	s_delay_alu instid0(VALU_DEP_2) | instskip(SKIP_1) | instid1(TRANS32_DEP_1)
	v_rcp_f32_e32 v3, v2
	v_nop
	v_fma_f32 v4, -v2, v3, 1.0
	s_delay_alu instid0(VALU_DEP_1) | instskip(NEXT) | instid1(VALU_DEP_1)
	v_fmac_f32_e32 v3, v4, v3
	v_mul_f32_e32 v4, v5, v3
	s_delay_alu instid0(VALU_DEP_1) | instskip(NEXT) | instid1(VALU_DEP_1)
	v_fma_f32 v6, -v2, v4, v5
	v_fmac_f32_e32 v4, v6, v3
	s_delay_alu instid0(VALU_DEP_1) | instskip(NEXT) | instid1(VALU_DEP_1)
	v_fma_f32 v2, -v2, v4, v5
	v_div_fmas_f32 v2, v2, v3, v4
	s_delay_alu instid0(VALU_DEP_1) | instskip(NEXT) | instid1(VALU_DEP_1)
	v_div_fixup_f32 v3, v2, v0, v1
	v_fmac_f32_e32 v0, v1, v3
	s_delay_alu instid0(VALU_DEP_1) | instskip(NEXT) | instid1(VALU_DEP_1)
	v_div_scale_f32 v1, null, v0, v0, 1.0
	v_rcp_f32_e32 v2, v1
	v_nop
	s_delay_alu instid0(TRANS32_DEP_1) | instskip(NEXT) | instid1(VALU_DEP_1)
	v_fma_f32 v4, -v1, v2, 1.0
	v_fmac_f32_e32 v2, v4, v2
	v_div_scale_f32 v4, vcc_lo, 1.0, v0, 1.0
	s_delay_alu instid0(VALU_DEP_1) | instskip(NEXT) | instid1(VALU_DEP_1)
	v_mul_f32_e32 v5, v4, v2
	v_fma_f32 v6, -v1, v5, v4
	s_delay_alu instid0(VALU_DEP_1) | instskip(NEXT) | instid1(VALU_DEP_1)
	v_fmac_f32_e32 v5, v6, v2
	v_fma_f32 v1, -v1, v5, v4
	s_delay_alu instid0(VALU_DEP_1) | instskip(NEXT) | instid1(VALU_DEP_1)
	v_div_fmas_f32 v1, v1, v2, v5
	v_div_fixup_f32 v2, v1, v0, 1.0
	s_delay_alu instid0(VALU_DEP_1)
	v_mul_f32_e64 v3, v3, -v2
.LBB99_16:
	s_or_b32 exec_lo, exec_lo, s1
	ds_store_b64 v87, v[2:3]
.LBB99_17:
	s_or_b32 exec_lo, exec_lo, s2
	s_wait_dscnt 0x0
	s_barrier_signal -1
	s_barrier_wait -1
	ds_load_b64 v[0:1], v87
	s_mov_b32 s1, exec_lo
	s_wait_dscnt 0x0
	scratch_store_b64 off, v[0:1], off offset:16 ; 8-byte Folded Spill
	s_wait_xcnt 0x0
	v_cmpx_lt_u32_e32 1, v86
	s_cbranch_execz .LBB99_19
; %bb.18:
	ds_load_2addr_b64 v[4:7], v96 offset0:2 offset1:3
	ds_load_2addr_b64 v[8:11], v96 offset0:4 offset1:5
	;; [unrolled: 1-line block ×3, first 2 shown]
	scratch_load_b64 v[18:19], off, off offset:16 ; 8-byte Folded Reload
	ds_load_2addr_b64 v[26:29], v96 offset0:8 offset1:9
	ds_load_2addr_b64 v[40:43], v96 offset0:10 offset1:11
	s_wait_dscnt 0x3
	v_dual_mov_b32 v46, v11 :: v_dual_mov_b32 v47, v10
	s_wait_loadcnt 0x0
	v_pk_mul_f32 v[2:3], v[18:19], v[98:99] op_sel:[1,1] op_sel_hi:[0,1]
	s_delay_alu instid0(VALU_DEP_1) | instskip(SKIP_1) | instid1(VALU_DEP_1)
	v_pk_fma_f32 v[0:1], v[18:19], v[98:99], v[2:3] op_sel_hi:[1,0,1] neg_lo:[0,0,1] neg_hi:[0,0,1]
	v_pk_fma_f32 v[2:3], v[18:19], v[98:99], v[2:3] op_sel_hi:[1,0,1]
	v_dual_mov_b32 v98, v0 :: v_dual_mov_b32 v99, v3
	s_delay_alu instid0(VALU_DEP_2)
	v_pk_mul_f32 v[18:19], v[4:5], v[2:3] op_sel:[0,1]
	v_pk_mul_f32 v[30:31], v[6:7], v[2:3] op_sel:[0,1]
	;; [unrolled: 1-line block ×3, first 2 shown]
	v_dual_mul_f32 v56, v11, v3 :: v_dual_mul_f32 v58, v11, v0
	s_wait_dscnt 0x2
	v_pk_mul_f32 v[60:61], v[12:13], v[2:3] op_sel:[0,1]
	v_pk_mul_f32 v[62:63], v[14:15], v[2:3] op_sel:[0,1]
	v_pk_fma_f32 v[80:81], v[4:5], v[0:1], v[18:19] op_sel:[0,0,1] op_sel_hi:[1,1,0] neg_lo:[0,0,1] neg_hi:[0,0,1]
	v_pk_fma_f32 v[4:5], v[4:5], v[0:1], v[18:19] op_sel:[0,0,1] op_sel_hi:[1,0,0]
	v_pk_fma_f32 v[18:19], v[6:7], v[0:1], v[30:31] op_sel:[0,0,1] op_sel_hi:[1,1,0] neg_lo:[0,0,1] neg_hi:[0,0,1]
	v_pk_fma_f32 v[6:7], v[6:7], v[0:1], v[30:31] op_sel:[0,0,1] op_sel_hi:[1,0,0]
	v_pk_fma_f32 v[30:31], v[8:9], v[0:1], v[44:45] op_sel:[0,0,1] op_sel_hi:[1,1,0] neg_lo:[0,0,1] neg_hi:[0,0,1]
	v_pk_fma_f32 v[8:9], v[8:9], v[0:1], v[44:45] op_sel:[0,0,1] op_sel_hi:[1,0,0]
	v_pk_fma_f32 v[44:45], v[46:47], v[98:99], v[58:59] op_sel_hi:[1,1,0]
	v_pk_fma_f32 v[46:47], v[12:13], v[0:1], v[60:61] op_sel:[0,0,1] op_sel_hi:[1,0,0]
	v_dual_mov_b32 v81, v5 :: v_dual_mov_b32 v19, v7
	v_pk_fma_f32 v[4:5], v[14:15], v[0:1], v[62:63] op_sel:[0,0,1] op_sel_hi:[1,0,0]
	v_pk_fma_f32 v[10:11], v[10:11], v[98:99], v[56:57] op_sel_hi:[1,1,0] neg_lo:[0,0,1] neg_hi:[0,0,1]
	v_dual_mov_b32 v31, v9 :: v_dual_mov_b32 v11, v45
	v_pk_fma_f32 v[8:9], v[12:13], v[0:1], v[60:61] op_sel:[0,0,1] op_sel_hi:[1,1,0] neg_lo:[0,0,1] neg_hi:[0,0,1]
	v_pk_fma_f32 v[12:13], v[14:15], v[0:1], v[62:63] op_sel:[0,0,1] op_sel_hi:[1,1,0] neg_lo:[0,0,1] neg_hi:[0,0,1]
	v_dual_mov_b32 v9, v47 :: v_dual_mov_b32 v13, v5
	ds_load_2addr_b64 v[4:7], v96 offset0:12 offset1:13
	v_pk_add_f32 v[64:65], v[64:65], v[18:19] neg_lo:[0,1] neg_hi:[0,1]
	s_wait_dscnt 0x2
	v_pk_mul_f32 v[14:15], v[26:27], v[2:3] op_sel:[0,1]
	v_pk_add_f32 v[22:23], v[22:23], v[10:11] neg_lo:[0,1] neg_hi:[0,1]
	v_pk_add_f32 v[24:25], v[24:25], v[8:9] neg_lo:[0,1] neg_hi:[0,1]
	v_pk_mul_f32 v[18:19], v[28:29], v[2:3] op_sel:[0,1]
	ds_load_2addr_b64 v[8:11], v96 offset0:14 offset1:15
	v_pk_add_f32 v[68:69], v[68:69], v[30:31] neg_lo:[0,1] neg_hi:[0,1]
	v_pk_add_f32 v[20:21], v[20:21], v[12:13] neg_lo:[0,1] neg_hi:[0,1]
	v_pk_fma_f32 v[12:13], v[26:27], v[0:1], v[14:15] op_sel:[0,0,1] op_sel_hi:[1,1,0] neg_lo:[0,0,1] neg_hi:[0,0,1]
	s_wait_dscnt 0x2
	v_mul_f32_e32 v30, v41, v0
	v_pk_fma_f32 v[14:15], v[26:27], v[0:1], v[14:15] op_sel:[0,0,1] op_sel_hi:[1,0,0]
	v_pk_fma_f32 v[26:27], v[28:29], v[0:1], v[18:19] op_sel:[0,0,1] op_sel_hi:[1,0,0]
	v_mul_f32_e32 v14, v41, v3
	v_pk_fma_f32 v[18:19], v[28:29], v[0:1], v[18:19] op_sel:[0,0,1] op_sel_hi:[1,1,0] neg_lo:[0,0,1] neg_hi:[0,0,1]
	v_pk_fma_f32 v[30:31], v[40:41], v[98:99], v[30:31] op_sel:[1,0,0] op_sel_hi:[0,1,0]
	s_delay_alu instid0(VALU_DEP_4)
	v_dual_mov_b32 v13, v15 :: v_dual_mov_b32 v19, v27
	v_pk_mul_f32 v[26:27], v[42:43], v[2:3] op_sel:[0,1]
	v_pk_fma_f32 v[14:15], v[40:41], v[98:99], v[14:15] op_sel_hi:[1,1,0] neg_lo:[0,0,1] neg_hi:[0,0,1]
	s_wait_dscnt 0x1
	v_pk_mul_f32 v[28:29], v[4:5], v[2:3] op_sel:[0,1]
	v_pk_add_f32 v[38:39], v[38:39], v[12:13] neg_lo:[0,1] neg_hi:[0,1]
	v_pk_add_f32 v[34:35], v[34:35], v[18:19] neg_lo:[0,1] neg_hi:[0,1]
	v_pk_fma_f32 v[18:19], v[42:43], v[0:1], v[26:27] op_sel:[0,0,1] op_sel_hi:[1,0,0]
	v_mov_b32_e32 v15, v31
	v_pk_fma_f32 v[30:31], v[42:43], v[0:1], v[26:27] op_sel:[0,0,1] op_sel_hi:[1,1,0] neg_lo:[0,0,1] neg_hi:[0,0,1]
	v_pk_fma_f32 v[26:27], v[4:5], v[0:1], v[28:29] op_sel:[0,0,1] op_sel_hi:[1,0,0]
	v_pk_fma_f32 v[4:5], v[4:5], v[0:1], v[28:29] op_sel:[0,0,1] op_sel_hi:[1,1,0] neg_lo:[0,0,1] neg_hi:[0,0,1]
	v_mov_b32_e32 v31, v19
	v_pk_add_f32 v[36:37], v[36:37], v[14:15] neg_lo:[0,1] neg_hi:[0,1]
	ds_load_2addr_b64 v[12:15], v96 offset0:16 offset1:17
	s_wait_dscnt 0x1
	v_pk_mul_f32 v[18:19], v[8:9], v[2:3] op_sel:[0,1]
	v_pk_mul_f32 v[40:41], v[6:7], v[2:3] op_sel:[0,1]
	v_pk_add_f32 v[32:33], v[32:33], v[30:31] neg_lo:[0,1] neg_hi:[0,1]
	v_pk_add_f32 v[66:67], v[66:67], v[80:81] neg_lo:[0,1] neg_hi:[0,1]
	s_delay_alu instid0(VALU_DEP_4)
	v_pk_fma_f32 v[30:31], v[8:9], v[0:1], v[18:19] op_sel:[0,0,1] op_sel_hi:[1,0,0]
	v_mov_b32_e32 v5, v27
	ds_load_2addr_b64 v[26:29], v96 offset0:18 offset1:19
	v_pk_fma_f32 v[42:43], v[6:7], v[0:1], v[40:41] op_sel:[0,0,1] op_sel_hi:[1,0,0]
	v_pk_add_f32 v[54:55], v[54:55], v[4:5] neg_lo:[0,1] neg_hi:[0,1]
	v_pk_fma_f32 v[4:5], v[6:7], v[0:1], v[40:41] op_sel:[0,0,1] op_sel_hi:[1,1,0] neg_lo:[0,0,1] neg_hi:[0,0,1]
	v_pk_fma_f32 v[6:7], v[8:9], v[0:1], v[18:19] op_sel:[0,0,1] op_sel_hi:[1,1,0] neg_lo:[0,0,1] neg_hi:[0,0,1]
	s_delay_alu instid0(VALU_DEP_4) | instskip(SKIP_2) | instid1(VALU_DEP_3)
	v_dual_mov_b32 v5, v43 :: v_dual_mov_b32 v8, v11
	v_dual_mov_b32 v7, v31 :: v_dual_mov_b32 v9, v10
	v_mul_f32_e32 v18, v11, v0
	v_pk_add_f32 v[50:51], v[50:51], v[4:5] neg_lo:[0,1] neg_hi:[0,1]
	s_wait_dscnt 0x1
	v_pk_mul_f32 v[40:41], v[12:13], v[2:3] op_sel:[0,1]
	v_pk_add_f32 v[52:53], v[52:53], v[6:7] neg_lo:[0,1] neg_hi:[0,1]
	ds_load_2addr_b64 v[4:7], v96 offset0:20 offset1:21
	v_pk_fma_f32 v[8:9], v[8:9], v[98:99], v[18:19] op_sel_hi:[1,1,0]
	v_mul_f32_e32 v30, v11, v3
	s_wait_dscnt 0x1
	v_pk_mul_f32 v[42:43], v[26:27], v[2:3] op_sel:[0,1]
	s_delay_alu instid0(VALU_DEP_2) | instskip(SKIP_4) | instid1(VALU_DEP_4)
	v_pk_fma_f32 v[18:19], v[10:11], v[98:99], v[30:31] op_sel_hi:[1,1,0] neg_lo:[0,0,1] neg_hi:[0,0,1]
	v_pk_mul_f32 v[10:11], v[14:15], v[2:3] op_sel:[0,1]
	v_pk_fma_f32 v[30:31], v[12:13], v[0:1], v[40:41] op_sel:[0,0,1] op_sel_hi:[1,0,0]
	v_pk_fma_f32 v[12:13], v[12:13], v[0:1], v[40:41] op_sel:[0,0,1] op_sel_hi:[1,1,0] neg_lo:[0,0,1] neg_hi:[0,0,1]
	v_mov_b32_e32 v19, v9
	v_pk_fma_f32 v[40:41], v[14:15], v[0:1], v[10:11] op_sel:[0,0,1] op_sel_hi:[1,0,0]
	s_delay_alu instid0(VALU_DEP_4)
	v_mov_b32_e32 v13, v31
	v_pk_fma_f32 v[30:31], v[26:27], v[0:1], v[42:43] op_sel:[0,0,1] op_sel_hi:[1,0,0]
	v_pk_fma_f32 v[14:15], v[14:15], v[0:1], v[10:11] op_sel:[0,0,1] op_sel_hi:[1,1,0] neg_lo:[0,0,1] neg_hi:[0,0,1]
	ds_load_2addr_b64 v[8:11], v96 offset0:22 offset1:23
	v_pk_fma_f32 v[26:27], v[26:27], v[0:1], v[42:43] op_sel:[0,0,1] op_sel_hi:[1,1,0] neg_lo:[0,0,1] neg_hi:[0,0,1]
	v_pk_add_f32 v[48:49], v[48:49], v[18:19] neg_lo:[0,1] neg_hi:[0,1]
	v_mov_b32_e32 v27, v31
	v_pk_mul_f32 v[18:19], v[28:29], v[2:3] op_sel:[0,1]
	v_mov_b32_e32 v15, v41
	s_wait_dscnt 0x1
	v_pk_mul_f32 v[40:41], v[6:7], v[2:3] op_sel:[0,1]
	v_pk_add_f32 v[78:79], v[78:79], v[12:13] neg_lo:[0,1] neg_hi:[0,1]
	v_pk_add_f32 v[76:77], v[76:77], v[26:27] neg_lo:[0,1] neg_hi:[0,1]
	v_mul_f32_e32 v26, v5, v0
	v_pk_fma_f32 v[30:31], v[28:29], v[0:1], v[18:19] op_sel:[0,0,1] op_sel_hi:[1,0,0]
	v_pk_add_f32 v[74:75], v[74:75], v[14:15] neg_lo:[0,1] neg_hi:[0,1]
	v_mul_f32_e32 v30, v5, v3
	ds_load_2addr_b64 v[12:15], v96 offset0:24 offset1:25
	v_pk_fma_f32 v[26:27], v[4:5], v[98:99], v[26:27] op_sel:[1,0,0] op_sel_hi:[0,1,0]
	v_pk_fma_f32 v[18:19], v[28:29], v[0:1], v[18:19] op_sel:[0,0,1] op_sel_hi:[1,1,0] neg_lo:[0,0,1] neg_hi:[0,0,1]
	v_pk_fma_f32 v[28:29], v[6:7], v[0:1], v[40:41] op_sel:[0,0,1] op_sel_hi:[1,0,0]
	v_mov_b32_e32 v19, v31
	v_pk_fma_f32 v[4:5], v[4:5], v[98:99], v[30:31] op_sel_hi:[1,1,0] neg_lo:[0,0,1] neg_hi:[0,0,1]
	v_pk_fma_f32 v[6:7], v[6:7], v[0:1], v[40:41] op_sel:[0,0,1] op_sel_hi:[1,1,0] neg_lo:[0,0,1] neg_hi:[0,0,1]
	s_delay_alu instid0(VALU_DEP_4)
	v_dual_mov_b32 v5, v27 :: v_dual_mov_b32 v7, v29
	s_wait_dscnt 0x1
	v_pk_mul_f32 v[26:27], v[8:9], v[2:3] op_sel:[0,1]
	v_pk_add_f32 v[72:73], v[72:73], v[18:19] neg_lo:[0,1] neg_hi:[0,1]
	v_pk_mul_f32 v[28:29], v[10:11], v[2:3] op_sel:[0,1]
	v_pk_add_f32 v[94:95], v[94:95], v[4:5] neg_lo:[0,1] neg_hi:[0,1]
	v_pk_add_f32 v[90:91], v[90:91], v[6:7] neg_lo:[0,1] neg_hi:[0,1]
	v_pk_fma_f32 v[18:19], v[8:9], v[0:1], v[26:27] op_sel:[0,0,1] op_sel_hi:[1,0,0]
	ds_load_2addr_b64 v[4:7], v96 offset0:26 offset1:27
	v_pk_fma_f32 v[26:27], v[8:9], v[0:1], v[26:27] op_sel:[0,0,1] op_sel_hi:[1,1,0] neg_lo:[0,0,1] neg_hi:[0,0,1]
	s_wait_dscnt 0x1
	v_dual_mov_b32 v27, v19 :: v_dual_mov_b32 v40, v15
	v_pk_fma_f32 v[18:19], v[10:11], v[0:1], v[28:29] op_sel:[0,0,1] op_sel_hi:[1,1,0] neg_lo:[0,0,1] neg_hi:[0,0,1]
	v_pk_fma_f32 v[28:29], v[10:11], v[0:1], v[28:29] op_sel:[0,0,1] op_sel_hi:[1,0,0]
	ds_load_2addr_b64 v[8:11], v96 offset0:28 offset1:29
	v_pk_mul_f32 v[30:31], v[12:13], v[2:3] op_sel:[0,1]
	v_pk_add_f32 v[92:93], v[92:93], v[26:27] neg_lo:[0,1] neg_hi:[0,1]
	v_dual_mov_b32 v41, v14 :: v_dual_mul_f32 v28, v15, v0
	v_mov_b32_e32 v19, v29
	s_delay_alu instid0(VALU_DEP_4) | instskip(SKIP_1) | instid1(VALU_DEP_4)
	v_pk_fma_f32 v[26:27], v[12:13], v[0:1], v[30:31] op_sel:[0,0,1] op_sel_hi:[1,0,0]
	v_mul_f32_e32 v26, v15, v3
	v_pk_fma_f32 v[28:29], v[40:41], v[98:99], v[28:29] op_sel_hi:[1,1,0]
	s_delay_alu instid0(VALU_DEP_4)
	v_pk_add_f32 v[88:89], v[88:89], v[18:19] neg_lo:[0,1] neg_hi:[0,1]
	v_pk_fma_f32 v[18:19], v[12:13], v[0:1], v[30:31] op_sel:[0,0,1] op_sel_hi:[1,1,0] neg_lo:[0,0,1] neg_hi:[0,0,1]
	v_mov_b32_e32 v19, v27
	v_pk_fma_f32 v[26:27], v[14:15], v[98:99], v[26:27] op_sel_hi:[1,1,0] neg_lo:[0,0,1] neg_hi:[0,0,1]
	s_wait_dscnt 0x1
	v_pk_mul_f32 v[30:31], v[4:5], v[2:3] op_sel:[0,1]
	ds_load_2addr_b64 v[12:15], v96 offset0:30 offset1:31
	v_mov_b32_e32 v27, v29
	v_pk_mul_f32 v[40:41], v[6:7], v[2:3] op_sel:[0,1]
	v_pk_add_f32 v[112:113], v[112:113], v[18:19] neg_lo:[0,1] neg_hi:[0,1]
	v_pk_fma_f32 v[18:19], v[4:5], v[0:1], v[30:31] op_sel:[0,0,1] op_sel_hi:[1,0,0]
	s_wait_dscnt 0x1
	v_pk_mul_f32 v[42:43], v[8:9], v[2:3] op_sel:[0,1]
	v_pk_fma_f32 v[4:5], v[4:5], v[0:1], v[30:31] op_sel:[0,0,1] op_sel_hi:[1,1,0] neg_lo:[0,0,1] neg_hi:[0,0,1]
	v_pk_add_f32 v[108:109], v[108:109], v[26:27] neg_lo:[0,1] neg_hi:[0,1]
	v_pk_fma_f32 v[44:45], v[6:7], v[0:1], v[40:41] op_sel:[0,0,1] op_sel_hi:[1,0,0]
	ds_load_2addr_b64 v[26:29], v96 offset0:32 offset1:33
	v_mov_b32_e32 v5, v19
	v_pk_fma_f32 v[18:19], v[8:9], v[0:1], v[42:43] op_sel:[0,0,1] op_sel_hi:[1,0,0]
	v_pk_fma_f32 v[6:7], v[6:7], v[0:1], v[40:41] op_sel:[0,0,1] op_sel_hi:[1,1,0] neg_lo:[0,0,1] neg_hi:[0,0,1]
	v_pk_mul_f32 v[30:31], v[10:11], v[2:3] op_sel:[0,1]
	v_pk_fma_f32 v[8:9], v[8:9], v[0:1], v[42:43] op_sel:[0,0,1] op_sel_hi:[1,1,0] neg_lo:[0,0,1] neg_hi:[0,0,1]
	s_delay_alu instid0(VALU_DEP_4) | instskip(SKIP_1) | instid1(VALU_DEP_4)
	v_dual_mov_b32 v7, v45 :: v_dual_mov_b32 v9, v19
	v_pk_add_f32 v[110:111], v[110:111], v[4:5] neg_lo:[0,1] neg_hi:[0,1]
	v_pk_fma_f32 v[18:19], v[10:11], v[0:1], v[30:31] op_sel:[0,0,1] op_sel_hi:[1,0,0]
	v_pk_fma_f32 v[10:11], v[10:11], v[0:1], v[30:31] op_sel:[0,0,1] op_sel_hi:[1,1,0] neg_lo:[0,0,1] neg_hi:[0,0,1]
	s_delay_alu instid0(VALU_DEP_4)
	v_pk_add_f32 v[106:107], v[106:107], v[6:7] neg_lo:[0,1] neg_hi:[0,1]
	ds_load_2addr_b64 v[4:7], v96 offset0:34 offset1:35
	v_pk_add_f32 v[128:129], v[128:129], v[8:9] neg_lo:[0,1] neg_hi:[0,1]
	s_wait_dscnt 0x2
	v_dual_mul_f32 v8, v13, v0 :: v_dual_mov_b32 v11, v19
	v_mul_f32_e32 v18, v13, v3
	v_pk_mul_f32 v[30:31], v[14:15], v[2:3] op_sel:[0,1]
	s_delay_alu instid0(VALU_DEP_3)
	v_pk_fma_f32 v[8:9], v[12:13], v[98:99], v[8:9] op_sel:[1,0,0] op_sel_hi:[0,1,0]
	s_wait_dscnt 0x1
	v_pk_mul_f32 v[40:41], v[26:27], v[2:3] op_sel:[0,1]
	v_pk_fma_f32 v[12:13], v[12:13], v[98:99], v[18:19] op_sel_hi:[1,1,0] neg_lo:[0,0,1] neg_hi:[0,0,1]
	v_pk_add_f32 v[124:125], v[124:125], v[10:11] neg_lo:[0,1] neg_hi:[0,1]
	v_pk_fma_f32 v[18:19], v[14:15], v[0:1], v[30:31] op_sel:[0,0,1] op_sel_hi:[1,0,0]
	v_mov_b32_e32 v13, v9
	ds_load_2addr_b64 v[8:11], v96 offset0:36 offset1:37
	v_pk_fma_f32 v[14:15], v[14:15], v[0:1], v[30:31] op_sel:[0,0,1] op_sel_hi:[1,1,0] neg_lo:[0,0,1] neg_hi:[0,0,1]
	v_pk_fma_f32 v[42:43], v[26:27], v[0:1], v[40:41] op_sel:[0,0,1] op_sel_hi:[1,0,0]
	v_mov_b32_e32 v15, v19
	v_pk_fma_f32 v[18:19], v[26:27], v[0:1], v[40:41] op_sel:[0,0,1] op_sel_hi:[1,1,0] neg_lo:[0,0,1] neg_hi:[0,0,1]
	v_pk_mul_f32 v[26:27], v[28:29], v[2:3] op_sel:[0,1]
	v_pk_add_f32 v[126:127], v[126:127], v[12:13] neg_lo:[0,1] neg_hi:[0,1]
	s_wait_dscnt 0x1
	v_pk_mul_f32 v[30:31], v[4:5], v[2:3] op_sel:[0,1]
	v_pk_add_f32 v[122:123], v[122:123], v[14:15] neg_lo:[0,1] neg_hi:[0,1]
	ds_load_2addr_b64 v[12:15], v96 offset0:38 offset1:39
	v_pk_fma_f32 v[40:41], v[28:29], v[0:1], v[26:27] op_sel:[0,0,1] op_sel_hi:[1,0,0]
	v_mov_b32_e32 v19, v43
	v_pk_fma_f32 v[26:27], v[28:29], v[0:1], v[26:27] op_sel:[0,0,1] op_sel_hi:[1,1,0] neg_lo:[0,0,1] neg_hi:[0,0,1]
	s_delay_alu instid0(VALU_DEP_3) | instskip(NEXT) | instid1(VALU_DEP_3)
	v_dual_mul_f32 v28, v7, v0 :: v_dual_mov_b32 v27, v41
	v_pk_add_f32 v[144:145], v[144:145], v[18:19] neg_lo:[0,1] neg_hi:[0,1]
	v_pk_fma_f32 v[18:19], v[4:5], v[0:1], v[30:31] op_sel:[0,0,1] op_sel_hi:[1,0,0]
	v_pk_fma_f32 v[4:5], v[4:5], v[0:1], v[30:31] op_sel:[0,0,1] op_sel_hi:[1,1,0] neg_lo:[0,0,1] neg_hi:[0,0,1]
	v_mov_b32_e32 v18, v7
	s_wait_dscnt 0x1
	v_pk_mul_f32 v[30:31], v[8:9], v[2:3] op_sel:[0,1]
	v_pk_add_f32 v[140:141], v[140:141], v[26:27] neg_lo:[0,1] neg_hi:[0,1]
	v_dual_mov_b32 v5, v19 :: v_dual_mov_b32 v19, v6
	v_pk_mul_f32 v[42:43], v[10:11], v[2:3] op_sel:[0,1]
	s_delay_alu instid0(VALU_DEP_4) | instskip(SKIP_1) | instid1(VALU_DEP_4)
	v_pk_fma_f32 v[40:41], v[8:9], v[0:1], v[30:31] op_sel:[0,0,1] op_sel_hi:[1,0,0]
	v_pk_fma_f32 v[8:9], v[8:9], v[0:1], v[30:31] op_sel:[0,0,1] op_sel_hi:[1,1,0] neg_lo:[0,0,1] neg_hi:[0,0,1]
	v_pk_add_f32 v[142:143], v[142:143], v[4:5] neg_lo:[0,1] neg_hi:[0,1]
	v_mul_f32_e32 v4, v7, v3
	v_pk_fma_f32 v[18:19], v[18:19], v[98:99], v[28:29] op_sel_hi:[1,1,0]
	ds_load_2addr_b64 v[26:29], v96 offset0:40 offset1:41
	v_mov_b32_e32 v9, v41
	s_wait_dscnt 0x1
	v_pk_mul_f32 v[30:31], v[12:13], v[2:3] op_sel:[0,1]
	v_pk_fma_f32 v[44:45], v[6:7], v[98:99], v[4:5] op_sel_hi:[1,1,0] neg_lo:[0,0,1] neg_hi:[0,0,1]
	v_mov_b32_e32 v45, v19
	v_pk_fma_f32 v[18:19], v[10:11], v[0:1], v[42:43] op_sel:[0,0,1] op_sel_hi:[1,0,0]
	ds_load_2addr_b64 v[4:7], v96 offset0:42 offset1:43
	v_pk_fma_f32 v[10:11], v[10:11], v[0:1], v[42:43] op_sel:[0,0,1] op_sel_hi:[1,1,0] neg_lo:[0,0,1] neg_hi:[0,0,1]
	v_pk_mul_f32 v[40:41], v[14:15], v[2:3] op_sel:[0,1]
	v_pk_add_f32 v[162:163], v[162:163], v[8:9] neg_lo:[0,1] neg_hi:[0,1]
	v_mov_b32_e32 v11, v19
	v_pk_fma_f32 v[18:19], v[12:13], v[0:1], v[30:31] op_sel:[0,0,1] op_sel_hi:[1,0,0]
	v_pk_fma_f32 v[12:13], v[12:13], v[0:1], v[30:31] op_sel:[0,0,1] op_sel_hi:[1,1,0] neg_lo:[0,0,1] neg_hi:[0,0,1]
	v_pk_fma_f32 v[8:9], v[14:15], v[0:1], v[40:41] op_sel:[0,0,1] op_sel_hi:[1,0,0]
	v_pk_fma_f32 v[14:15], v[14:15], v[0:1], v[40:41] op_sel:[0,0,1] op_sel_hi:[1,1,0] neg_lo:[0,0,1] neg_hi:[0,0,1]
	v_pk_add_f32 v[158:159], v[158:159], v[10:11] neg_lo:[0,1] neg_hi:[0,1]
	v_mov_b32_e32 v13, v19
	v_pk_add_f32 v[138:139], v[138:139], v[44:45] neg_lo:[0,1] neg_hi:[0,1]
	v_mov_b32_e32 v15, v9
	ds_load_2addr_b64 v[8:11], v96 offset0:44 offset1:45
	s_wait_dscnt 0x2
	v_mul_f32_e32 v18, v27, v0
	v_pk_add_f32 v[160:161], v[160:161], v[12:13] neg_lo:[0,1] neg_hi:[0,1]
	v_mul_f32_e32 v12, v27, v3
	v_pk_mul_f32 v[30:31], v[28:29], v[2:3] op_sel:[0,1]
	v_pk_add_f32 v[156:157], v[156:157], v[14:15] neg_lo:[0,1] neg_hi:[0,1]
	v_pk_fma_f32 v[18:19], v[26:27], v[98:99], v[18:19] op_sel:[1,0,0] op_sel_hi:[0,1,0]
	s_wait_dscnt 0x1
	v_pk_mul_f32 v[40:41], v[4:5], v[2:3] op_sel:[0,1]
	v_pk_fma_f32 v[26:27], v[26:27], v[98:99], v[12:13] op_sel_hi:[1,1,0] neg_lo:[0,0,1] neg_hi:[0,0,1]
	ds_load_2addr_b64 v[12:15], v96 offset0:46 offset1:47
	v_pk_fma_f32 v[42:43], v[28:29], v[0:1], v[30:31] op_sel:[0,0,1] op_sel_hi:[1,0,0]
	v_pk_fma_f32 v[28:29], v[28:29], v[0:1], v[30:31] op_sel:[0,0,1] op_sel_hi:[1,1,0] neg_lo:[0,0,1] neg_hi:[0,0,1]
	v_mov_b32_e32 v27, v19
	v_pk_fma_f32 v[18:19], v[4:5], v[0:1], v[40:41] op_sel:[0,0,1] op_sel_hi:[1,0,0]
	v_pk_mul_f32 v[30:31], v[6:7], v[2:3] op_sel:[0,1]
	v_mov_b32_e32 v29, v43
	v_pk_fma_f32 v[4:5], v[4:5], v[0:1], v[40:41] op_sel:[0,0,1] op_sel_hi:[1,1,0] neg_lo:[0,0,1] neg_hi:[0,0,1]
	v_pk_add_f32 v[180:181], v[180:181], v[26:27] neg_lo:[0,1] neg_hi:[0,1]
	v_mov_b32_e32 v5, v19
	v_pk_fma_f32 v[18:19], v[6:7], v[0:1], v[30:31] op_sel:[0,0,1] op_sel_hi:[1,0,0]
	v_pk_add_f32 v[176:177], v[176:177], v[28:29] neg_lo:[0,1] neg_hi:[0,1]
	ds_load_2addr_b64 v[26:29], v96 offset0:48 offset1:49
	s_wait_dscnt 0x2
	v_pk_mul_f32 v[40:41], v[8:9], v[2:3] op_sel:[0,1]
	v_mov_b32_e32 v18, v11
	v_pk_add_f32 v[178:179], v[178:179], v[4:5] neg_lo:[0,1] neg_hi:[0,1]
	v_pk_fma_f32 v[4:5], v[6:7], v[0:1], v[30:31] op_sel:[0,0,1] op_sel_hi:[1,1,0] neg_lo:[0,0,1] neg_hi:[0,0,1]
	v_dual_mov_b32 v5, v19 :: v_dual_mov_b32 v19, v10
	v_pk_fma_f32 v[6:7], v[8:9], v[0:1], v[40:41] op_sel:[0,0,1] op_sel_hi:[1,0,0]
	s_wait_dscnt 0x1
	v_pk_mul_f32 v[30:31], v[12:13], v[2:3] op_sel:[0,1]
	v_mul_f32_e32 v6, v11, v0
	v_pk_fma_f32 v[8:9], v[8:9], v[0:1], v[40:41] op_sel:[0,0,1] op_sel_hi:[1,1,0] neg_lo:[0,0,1] neg_hi:[0,0,1]
	v_mul_f32_e32 v40, v11, v3
	v_pk_add_f32 v[174:175], v[174:175], v[4:5] neg_lo:[0,1] neg_hi:[0,1]
	v_pk_fma_f32 v[4:5], v[12:13], v[0:1], v[30:31] op_sel:[0,0,1] op_sel_hi:[1,0,0]
	v_mov_b32_e32 v9, v7
	v_pk_fma_f32 v[6:7], v[18:19], v[98:99], v[6:7] op_sel_hi:[1,1,0]
	s_delay_alu instid0(VALU_DEP_2) | instskip(SKIP_1) | instid1(VALU_DEP_3)
	v_pk_add_f32 v[196:197], v[196:197], v[8:9] neg_lo:[0,1] neg_hi:[0,1]
	v_pk_fma_f32 v[8:9], v[10:11], v[98:99], v[40:41] op_sel_hi:[1,1,0] neg_lo:[0,0,1] neg_hi:[0,0,1]
	v_mov_b32_e32 v9, v7
	v_pk_fma_f32 v[6:7], v[12:13], v[0:1], v[30:31] op_sel:[0,0,1] op_sel_hi:[1,1,0] neg_lo:[0,0,1] neg_hi:[0,0,1]
	v_mov_b32_e32 v7, v5
	v_pk_mul_f32 v[4:5], v[14:15], v[2:3] op_sel:[0,1]
	s_wait_dscnt 0x0
	v_pk_mul_f32 v[10:11], v[26:27], v[2:3] op_sel:[0,1]
	v_dual_mov_b32 v12, v29 :: v_dual_mov_b32 v13, v28
	v_mul_f32_e32 v2, v29, v0
	v_pk_fma_f32 v[18:19], v[14:15], v[0:1], v[4:5] op_sel:[0,0,1] op_sel_hi:[1,0,0]
	v_pk_fma_f32 v[4:5], v[14:15], v[0:1], v[4:5] op_sel:[0,0,1] op_sel_hi:[1,1,0] neg_lo:[0,0,1] neg_hi:[0,0,1]
	v_pk_fma_f32 v[14:15], v[26:27], v[0:1], v[10:11] op_sel:[0,0,1] op_sel_hi:[1,0,0]
	v_mul_f32_e32 v14, v29, v3
	v_pk_fma_f32 v[2:3], v[12:13], v[98:99], v[2:3] op_sel_hi:[1,1,0]
	v_mov_b32_e32 v5, v19
	v_pk_fma_f32 v[0:1], v[26:27], v[0:1], v[10:11] op_sel:[0,0,1] op_sel_hi:[1,1,0] neg_lo:[0,0,1] neg_hi:[0,0,1]
	v_mov_b32_e32 v1, v15
	v_pk_fma_f32 v[10:11], v[28:29], v[98:99], v[14:15] op_sel_hi:[1,1,0] neg_lo:[0,0,1] neg_hi:[0,0,1]
	v_mov_b32_e32 v11, v3
	v_pk_add_f32 v[192:193], v[192:193], v[8:9] neg_lo:[0,1] neg_hi:[0,1]
	v_pk_add_f32 v[194:195], v[194:195], v[6:7] neg_lo:[0,1] neg_hi:[0,1]
	;; [unrolled: 1-line block ×5, first 2 shown]
.LBB99_19:
	s_wait_xcnt 0x0
	s_or_b32 exec_lo, exec_lo, s1
	s_delay_alu instid0(SALU_CYCLE_1)
	s_mov_b32 s2, exec_lo
	s_wait_storecnt 0x0
	s_barrier_signal -1
	s_barrier_wait -1
	v_cmpx_eq_u32_e32 2, v86
	s_cbranch_execz .LBB99_26
; %bb.20:
	ds_store_b64 v87, v[66:67]
	ds_store_2addr_b64 v96, v[64:65], v[68:69] offset0:3 offset1:4
	ds_store_2addr_b64 v96, v[22:23], v[24:25] offset0:5 offset1:6
	;; [unrolled: 1-line block ×23, first 2 shown]
	ds_store_b64 v96, v[200:201] offset:392
	ds_load_b64 v[0:1], v87
	s_wait_dscnt 0x0
	v_cmp_neq_f32_e32 vcc_lo, 0, v0
	v_cmp_neq_f32_e64 s1, 0, v1
	s_or_b32 s1, vcc_lo, s1
	s_delay_alu instid0(SALU_CYCLE_1)
	s_and_b32 exec_lo, exec_lo, s1
	s_cbranch_execz .LBB99_26
; %bb.21:
	v_cmp_ngt_f32_e64 s1, |v0|, |v1|
                                        ; implicit-def: $vgpr2_vgpr3
	s_and_saveexec_b32 s4, s1
	s_delay_alu instid0(SALU_CYCLE_1)
	s_xor_b32 s1, exec_lo, s4
	s_cbranch_execz .LBB99_23
; %bb.22:
	v_div_scale_f32 v2, null, v1, v1, v0
	v_div_scale_f32 v5, vcc_lo, v0, v1, v0
	s_delay_alu instid0(VALU_DEP_2) | instskip(SKIP_1) | instid1(TRANS32_DEP_1)
	v_rcp_f32_e32 v3, v2
	v_nop
	v_fma_f32 v4, -v2, v3, 1.0
	s_delay_alu instid0(VALU_DEP_1) | instskip(NEXT) | instid1(VALU_DEP_1)
	v_fmac_f32_e32 v3, v4, v3
	v_mul_f32_e32 v4, v5, v3
	s_delay_alu instid0(VALU_DEP_1) | instskip(NEXT) | instid1(VALU_DEP_1)
	v_fma_f32 v6, -v2, v4, v5
	v_fmac_f32_e32 v4, v6, v3
	s_delay_alu instid0(VALU_DEP_1) | instskip(NEXT) | instid1(VALU_DEP_1)
	v_fma_f32 v2, -v2, v4, v5
	v_div_fmas_f32 v2, v2, v3, v4
	s_delay_alu instid0(VALU_DEP_1) | instskip(NEXT) | instid1(VALU_DEP_1)
	v_div_fixup_f32 v2, v2, v1, v0
	v_fmac_f32_e32 v1, v0, v2
	s_delay_alu instid0(VALU_DEP_1) | instskip(SKIP_1) | instid1(VALU_DEP_2)
	v_div_scale_f32 v0, null, v1, v1, 1.0
	v_div_scale_f32 v5, vcc_lo, 1.0, v1, 1.0
	v_rcp_f32_e32 v3, v0
	v_nop
	s_delay_alu instid0(TRANS32_DEP_1) | instskip(NEXT) | instid1(VALU_DEP_1)
	v_fma_f32 v4, -v0, v3, 1.0
	v_fmac_f32_e32 v3, v4, v3
	s_delay_alu instid0(VALU_DEP_1) | instskip(NEXT) | instid1(VALU_DEP_1)
	v_mul_f32_e32 v4, v5, v3
	v_fma_f32 v6, -v0, v4, v5
	s_delay_alu instid0(VALU_DEP_1) | instskip(NEXT) | instid1(VALU_DEP_1)
	v_fmac_f32_e32 v4, v6, v3
	v_fma_f32 v0, -v0, v4, v5
	s_delay_alu instid0(VALU_DEP_1) | instskip(NEXT) | instid1(VALU_DEP_1)
	v_div_fmas_f32 v0, v0, v3, v4
	v_div_fixup_f32 v0, v0, v1, 1.0
	s_delay_alu instid0(VALU_DEP_1)
	v_mul_f32_e32 v2, v2, v0
	v_xor_b32_e32 v3, 0x80000000, v0
                                        ; implicit-def: $vgpr0_vgpr1
.LBB99_23:
	s_and_not1_saveexec_b32 s1, s1
	s_cbranch_execz .LBB99_25
; %bb.24:
	v_div_scale_f32 v2, null, v0, v0, v1
	v_div_scale_f32 v5, vcc_lo, v1, v0, v1
	s_delay_alu instid0(VALU_DEP_2) | instskip(SKIP_1) | instid1(TRANS32_DEP_1)
	v_rcp_f32_e32 v3, v2
	v_nop
	v_fma_f32 v4, -v2, v3, 1.0
	s_delay_alu instid0(VALU_DEP_1) | instskip(NEXT) | instid1(VALU_DEP_1)
	v_fmac_f32_e32 v3, v4, v3
	v_mul_f32_e32 v4, v5, v3
	s_delay_alu instid0(VALU_DEP_1) | instskip(NEXT) | instid1(VALU_DEP_1)
	v_fma_f32 v6, -v2, v4, v5
	v_fmac_f32_e32 v4, v6, v3
	s_delay_alu instid0(VALU_DEP_1) | instskip(NEXT) | instid1(VALU_DEP_1)
	v_fma_f32 v2, -v2, v4, v5
	v_div_fmas_f32 v2, v2, v3, v4
	s_delay_alu instid0(VALU_DEP_1) | instskip(NEXT) | instid1(VALU_DEP_1)
	v_div_fixup_f32 v3, v2, v0, v1
	v_fmac_f32_e32 v0, v1, v3
	s_delay_alu instid0(VALU_DEP_1) | instskip(NEXT) | instid1(VALU_DEP_1)
	v_div_scale_f32 v1, null, v0, v0, 1.0
	v_rcp_f32_e32 v2, v1
	v_nop
	s_delay_alu instid0(TRANS32_DEP_1) | instskip(NEXT) | instid1(VALU_DEP_1)
	v_fma_f32 v4, -v1, v2, 1.0
	v_fmac_f32_e32 v2, v4, v2
	v_div_scale_f32 v4, vcc_lo, 1.0, v0, 1.0
	s_delay_alu instid0(VALU_DEP_1) | instskip(NEXT) | instid1(VALU_DEP_1)
	v_mul_f32_e32 v5, v4, v2
	v_fma_f32 v6, -v1, v5, v4
	s_delay_alu instid0(VALU_DEP_1) | instskip(NEXT) | instid1(VALU_DEP_1)
	v_fmac_f32_e32 v5, v6, v2
	v_fma_f32 v1, -v1, v5, v4
	s_delay_alu instid0(VALU_DEP_1) | instskip(NEXT) | instid1(VALU_DEP_1)
	v_div_fmas_f32 v1, v1, v2, v5
	v_div_fixup_f32 v2, v1, v0, 1.0
	s_delay_alu instid0(VALU_DEP_1)
	v_mul_f32_e64 v3, v3, -v2
.LBB99_25:
	s_or_b32 exec_lo, exec_lo, s1
	ds_store_b64 v87, v[2:3]
.LBB99_26:
	s_or_b32 exec_lo, exec_lo, s2
	s_wait_dscnt 0x0
	s_barrier_signal -1
	s_barrier_wait -1
	ds_load_b64 v[0:1], v87
	s_mov_b32 s1, exec_lo
	s_wait_dscnt 0x0
	scratch_store_b64 off, v[0:1], off offset:24 ; 8-byte Folded Spill
	s_wait_xcnt 0x0
	v_cmpx_lt_u32_e32 2, v86
	s_cbranch_execz .LBB99_28
; %bb.27:
	ds_load_2addr_b64 v[4:7], v96 offset0:3 offset1:4
	ds_load_2addr_b64 v[8:11], v96 offset0:5 offset1:6
	;; [unrolled: 1-line block ×3, first 2 shown]
	scratch_load_b64 v[18:19], off, off offset:24 ; 8-byte Folded Reload
	ds_load_2addr_b64 v[26:29], v96 offset0:9 offset1:10
	ds_load_2addr_b64 v[40:43], v96 offset0:11 offset1:12
	s_wait_dscnt 0x3
	v_dual_mov_b32 v46, v11 :: v_dual_mov_b32 v47, v10
	s_wait_loadcnt 0x0
	v_pk_mul_f32 v[2:3], v[18:19], v[66:67] op_sel:[1,1] op_sel_hi:[0,1]
	s_delay_alu instid0(VALU_DEP_1) | instskip(SKIP_1) | instid1(VALU_DEP_1)
	v_pk_fma_f32 v[0:1], v[18:19], v[66:67], v[2:3] op_sel_hi:[1,0,1] neg_lo:[0,0,1] neg_hi:[0,0,1]
	v_pk_fma_f32 v[2:3], v[18:19], v[66:67], v[2:3] op_sel_hi:[1,0,1]
	v_dual_mov_b32 v66, v0 :: v_dual_mov_b32 v67, v3
	s_delay_alu instid0(VALU_DEP_2)
	v_pk_mul_f32 v[18:19], v[4:5], v[2:3] op_sel:[0,1]
	v_pk_mul_f32 v[30:31], v[6:7], v[2:3] op_sel:[0,1]
	;; [unrolled: 1-line block ×3, first 2 shown]
	s_wait_dscnt 0x2
	v_pk_mul_f32 v[60:61], v[12:13], v[2:3] op_sel:[0,1]
	v_dual_mul_f32 v56, v11, v3 :: v_dual_mul_f32 v58, v11, v0
	v_pk_fma_f32 v[82:83], v[4:5], v[0:1], v[18:19] op_sel:[0,0,1] op_sel_hi:[1,1,0] neg_lo:[0,0,1] neg_hi:[0,0,1]
	v_pk_fma_f32 v[4:5], v[4:5], v[0:1], v[18:19] op_sel:[0,0,1] op_sel_hi:[1,0,0]
	v_pk_fma_f32 v[18:19], v[6:7], v[0:1], v[30:31] op_sel:[0,0,1] op_sel_hi:[1,1,0] neg_lo:[0,0,1] neg_hi:[0,0,1]
	v_pk_fma_f32 v[6:7], v[6:7], v[0:1], v[30:31] op_sel:[0,0,1] op_sel_hi:[1,0,0]
	v_pk_mul_f32 v[62:63], v[14:15], v[2:3] op_sel:[0,1]
	v_pk_fma_f32 v[30:31], v[8:9], v[0:1], v[44:45] op_sel:[0,0,1] op_sel_hi:[1,1,0] neg_lo:[0,0,1] neg_hi:[0,0,1]
	v_pk_fma_f32 v[8:9], v[8:9], v[0:1], v[44:45] op_sel:[0,0,1] op_sel_hi:[1,0,0]
	s_wait_dscnt 0x1
	v_pk_mul_f32 v[80:81], v[26:27], v[2:3] op_sel:[0,1]
	v_dual_mov_b32 v83, v5 :: v_dual_mov_b32 v19, v7
	v_pk_fma_f32 v[4:5], v[12:13], v[0:1], v[60:61] op_sel:[0,0,1] op_sel_hi:[1,0,0]
	v_pk_fma_f32 v[44:45], v[46:47], v[66:67], v[58:59] op_sel_hi:[1,1,0]
	v_mov_b32_e32 v31, v9
	v_pk_fma_f32 v[8:9], v[12:13], v[0:1], v[60:61] op_sel:[0,0,1] op_sel_hi:[1,1,0] neg_lo:[0,0,1] neg_hi:[0,0,1]
	v_pk_fma_f32 v[12:13], v[14:15], v[0:1], v[62:63] op_sel:[0,0,1] op_sel_hi:[1,0,0]
	v_pk_add_f32 v[68:69], v[68:69], v[18:19] neg_lo:[0,1] neg_hi:[0,1]
	v_pk_fma_f32 v[18:19], v[26:27], v[0:1], v[80:81] op_sel:[0,0,1] op_sel_hi:[1,0,0]
	v_mov_b32_e32 v9, v5
	ds_load_2addr_b64 v[4:7], v96 offset0:13 offset1:14
	v_pk_fma_f32 v[14:15], v[14:15], v[0:1], v[62:63] op_sel:[0,0,1] op_sel_hi:[1,1,0] neg_lo:[0,0,1] neg_hi:[0,0,1]
	v_mov_b32_e32 v15, v13
	v_pk_fma_f32 v[12:13], v[26:27], v[0:1], v[80:81] op_sel:[0,0,1] op_sel_hi:[1,1,0] neg_lo:[0,0,1] neg_hi:[0,0,1]
	v_mov_b32_e32 v13, v19
	v_pk_mul_f32 v[18:19], v[28:29], v[2:3] op_sel:[0,1]
	v_pk_fma_f32 v[10:11], v[10:11], v[66:67], v[56:57] op_sel_hi:[1,1,0] neg_lo:[0,0,1] neg_hi:[0,0,1]
	v_mov_b32_e32 v11, v45
	s_wait_dscnt 0x1
	v_pk_mul_f32 v[26:27], v[42:43], v[2:3] op_sel:[0,1]
	v_pk_add_f32 v[34:35], v[34:35], v[12:13] neg_lo:[0,1] neg_hi:[0,1]
	v_mul_f32_e32 v12, v41, v0
	v_pk_add_f32 v[38:39], v[38:39], v[14:15] neg_lo:[0,1] neg_hi:[0,1]
	v_pk_fma_f32 v[14:15], v[28:29], v[0:1], v[18:19] op_sel:[0,0,1] op_sel_hi:[1,0,0]
	v_mul_f32_e32 v14, v41, v3
	v_pk_add_f32 v[24:25], v[24:25], v[10:11] neg_lo:[0,1] neg_hi:[0,1]
	v_pk_add_f32 v[20:21], v[20:21], v[8:9] neg_lo:[0,1] neg_hi:[0,1]
	ds_load_2addr_b64 v[8:11], v96 offset0:15 offset1:16
	v_pk_fma_f32 v[12:13], v[40:41], v[66:67], v[12:13] op_sel:[1,0,0] op_sel_hi:[0,1,0]
	v_pk_fma_f32 v[18:19], v[28:29], v[0:1], v[18:19] op_sel:[0,0,1] op_sel_hi:[1,1,0] neg_lo:[0,0,1] neg_hi:[0,0,1]
	v_pk_fma_f32 v[28:29], v[42:43], v[0:1], v[26:27] op_sel:[0,0,1] op_sel_hi:[1,0,0]
	v_mov_b32_e32 v19, v15
	v_pk_fma_f32 v[14:15], v[40:41], v[66:67], v[14:15] op_sel_hi:[1,1,0] neg_lo:[0,0,1] neg_hi:[0,0,1]
	v_mov_b32_e32 v15, v13
	v_pk_fma_f32 v[12:13], v[42:43], v[0:1], v[26:27] op_sel:[0,0,1] op_sel_hi:[1,1,0] neg_lo:[0,0,1] neg_hi:[0,0,1]
	v_pk_add_f32 v[22:23], v[22:23], v[30:31] neg_lo:[0,1] neg_hi:[0,1]
	s_wait_dscnt 0x1
	v_pk_mul_f32 v[30:31], v[4:5], v[2:3] op_sel:[0,1]
	v_mov_b32_e32 v13, v29
	v_pk_add_f32 v[36:37], v[36:37], v[18:19] neg_lo:[0,1] neg_hi:[0,1]
	v_pk_add_f32 v[32:33], v[32:33], v[14:15] neg_lo:[0,1] neg_hi:[0,1]
	v_pk_mul_f32 v[26:27], v[6:7], v[2:3] op_sel:[0,1]
	v_pk_fma_f32 v[18:19], v[4:5], v[0:1], v[30:31] op_sel:[0,0,1] op_sel_hi:[1,0,0]
	v_pk_add_f32 v[54:55], v[54:55], v[12:13] neg_lo:[0,1] neg_hi:[0,1]
	ds_load_2addr_b64 v[12:15], v96 offset0:17 offset1:18
	v_pk_fma_f32 v[28:29], v[4:5], v[0:1], v[30:31] op_sel:[0,0,1] op_sel_hi:[1,1,0] neg_lo:[0,0,1] neg_hi:[0,0,1]
	v_pk_add_f32 v[64:65], v[64:65], v[82:83] neg_lo:[0,1] neg_hi:[0,1]
	s_wait_dscnt 0x1
	v_dual_mov_b32 v29, v19 :: v_dual_mov_b32 v40, v11
	v_pk_fma_f32 v[18:19], v[6:7], v[0:1], v[26:27] op_sel:[0,0,1] op_sel_hi:[1,1,0] neg_lo:[0,0,1] neg_hi:[0,0,1]
	v_pk_fma_f32 v[26:27], v[6:7], v[0:1], v[26:27] op_sel:[0,0,1] op_sel_hi:[1,0,0]
	ds_load_2addr_b64 v[4:7], v96 offset0:19 offset1:20
	v_pk_mul_f32 v[30:31], v[8:9], v[2:3] op_sel:[0,1]
	v_pk_add_f32 v[50:51], v[50:51], v[28:29] neg_lo:[0,1] neg_hi:[0,1]
	v_dual_mov_b32 v41, v10 :: v_dual_mul_f32 v26, v11, v0
	v_mov_b32_e32 v19, v27
	s_delay_alu instid0(VALU_DEP_4) | instskip(SKIP_1) | instid1(VALU_DEP_4)
	v_pk_fma_f32 v[28:29], v[8:9], v[0:1], v[30:31] op_sel:[0,0,1] op_sel_hi:[1,0,0]
	v_mul_f32_e32 v28, v11, v3
	v_pk_fma_f32 v[26:27], v[40:41], v[66:67], v[26:27] op_sel_hi:[1,1,0]
	s_delay_alu instid0(VALU_DEP_4)
	v_pk_add_f32 v[52:53], v[52:53], v[18:19] neg_lo:[0,1] neg_hi:[0,1]
	v_pk_fma_f32 v[18:19], v[8:9], v[0:1], v[30:31] op_sel:[0,0,1] op_sel_hi:[1,1,0] neg_lo:[0,0,1] neg_hi:[0,0,1]
	v_mov_b32_e32 v19, v29
	v_pk_fma_f32 v[28:29], v[10:11], v[66:67], v[28:29] op_sel_hi:[1,1,0] neg_lo:[0,0,1] neg_hi:[0,0,1]
	s_wait_dscnt 0x1
	v_pk_mul_f32 v[30:31], v[12:13], v[2:3] op_sel:[0,1]
	ds_load_2addr_b64 v[8:11], v96 offset0:21 offset1:22
	v_mov_b32_e32 v29, v27
	v_pk_mul_f32 v[40:41], v[14:15], v[2:3] op_sel:[0,1]
	v_pk_add_f32 v[48:49], v[48:49], v[18:19] neg_lo:[0,1] neg_hi:[0,1]
	v_pk_fma_f32 v[18:19], v[12:13], v[0:1], v[30:31] op_sel:[0,0,1] op_sel_hi:[1,0,0]
	s_wait_dscnt 0x1
	v_pk_mul_f32 v[42:43], v[4:5], v[2:3] op_sel:[0,1]
	v_pk_fma_f32 v[12:13], v[12:13], v[0:1], v[30:31] op_sel:[0,0,1] op_sel_hi:[1,1,0] neg_lo:[0,0,1] neg_hi:[0,0,1]
	v_pk_add_f32 v[78:79], v[78:79], v[28:29] neg_lo:[0,1] neg_hi:[0,1]
	v_pk_fma_f32 v[44:45], v[14:15], v[0:1], v[40:41] op_sel:[0,0,1] op_sel_hi:[1,0,0]
	ds_load_2addr_b64 v[26:29], v96 offset0:23 offset1:24
	v_mov_b32_e32 v13, v19
	v_pk_fma_f32 v[18:19], v[4:5], v[0:1], v[42:43] op_sel:[0,0,1] op_sel_hi:[1,0,0]
	v_pk_fma_f32 v[14:15], v[14:15], v[0:1], v[40:41] op_sel:[0,0,1] op_sel_hi:[1,1,0] neg_lo:[0,0,1] neg_hi:[0,0,1]
	v_pk_mul_f32 v[30:31], v[6:7], v[2:3] op_sel:[0,1]
	v_pk_fma_f32 v[4:5], v[4:5], v[0:1], v[42:43] op_sel:[0,0,1] op_sel_hi:[1,1,0] neg_lo:[0,0,1] neg_hi:[0,0,1]
	s_delay_alu instid0(VALU_DEP_4) | instskip(SKIP_1) | instid1(VALU_DEP_4)
	v_dual_mov_b32 v15, v45 :: v_dual_mov_b32 v5, v19
	v_pk_add_f32 v[74:75], v[74:75], v[12:13] neg_lo:[0,1] neg_hi:[0,1]
	v_pk_fma_f32 v[18:19], v[6:7], v[0:1], v[30:31] op_sel:[0,0,1] op_sel_hi:[1,0,0]
	v_pk_fma_f32 v[6:7], v[6:7], v[0:1], v[30:31] op_sel:[0,0,1] op_sel_hi:[1,1,0] neg_lo:[0,0,1] neg_hi:[0,0,1]
	s_delay_alu instid0(VALU_DEP_4)
	v_pk_add_f32 v[76:77], v[76:77], v[14:15] neg_lo:[0,1] neg_hi:[0,1]
	ds_load_2addr_b64 v[12:15], v96 offset0:25 offset1:26
	v_pk_add_f32 v[72:73], v[72:73], v[4:5] neg_lo:[0,1] neg_hi:[0,1]
	s_wait_dscnt 0x2
	v_dual_mul_f32 v4, v9, v0 :: v_dual_mov_b32 v7, v19
	v_mul_f32_e32 v18, v9, v3
	v_pk_mul_f32 v[30:31], v[10:11], v[2:3] op_sel:[0,1]
	s_delay_alu instid0(VALU_DEP_3)
	v_pk_fma_f32 v[4:5], v[8:9], v[66:67], v[4:5] op_sel:[1,0,0] op_sel_hi:[0,1,0]
	s_wait_dscnt 0x1
	v_pk_mul_f32 v[40:41], v[26:27], v[2:3] op_sel:[0,1]
	v_pk_fma_f32 v[8:9], v[8:9], v[66:67], v[18:19] op_sel_hi:[1,1,0] neg_lo:[0,0,1] neg_hi:[0,0,1]
	v_pk_add_f32 v[94:95], v[94:95], v[6:7] neg_lo:[0,1] neg_hi:[0,1]
	v_pk_fma_f32 v[18:19], v[10:11], v[0:1], v[30:31] op_sel:[0,0,1] op_sel_hi:[1,0,0]
	v_mov_b32_e32 v9, v5
	ds_load_2addr_b64 v[4:7], v96 offset0:27 offset1:28
	v_pk_fma_f32 v[10:11], v[10:11], v[0:1], v[30:31] op_sel:[0,0,1] op_sel_hi:[1,1,0] neg_lo:[0,0,1] neg_hi:[0,0,1]
	v_pk_fma_f32 v[42:43], v[26:27], v[0:1], v[40:41] op_sel:[0,0,1] op_sel_hi:[1,0,0]
	v_mov_b32_e32 v11, v19
	v_pk_fma_f32 v[18:19], v[26:27], v[0:1], v[40:41] op_sel:[0,0,1] op_sel_hi:[1,1,0] neg_lo:[0,0,1] neg_hi:[0,0,1]
	v_pk_mul_f32 v[26:27], v[28:29], v[2:3] op_sel:[0,1]
	v_pk_add_f32 v[90:91], v[90:91], v[8:9] neg_lo:[0,1] neg_hi:[0,1]
	s_wait_dscnt 0x1
	v_pk_mul_f32 v[30:31], v[12:13], v[2:3] op_sel:[0,1]
	v_pk_add_f32 v[92:93], v[92:93], v[10:11] neg_lo:[0,1] neg_hi:[0,1]
	ds_load_2addr_b64 v[8:11], v96 offset0:29 offset1:30
	v_pk_fma_f32 v[40:41], v[28:29], v[0:1], v[26:27] op_sel:[0,0,1] op_sel_hi:[1,0,0]
	v_mov_b32_e32 v19, v43
	v_pk_fma_f32 v[26:27], v[28:29], v[0:1], v[26:27] op_sel:[0,0,1] op_sel_hi:[1,1,0] neg_lo:[0,0,1] neg_hi:[0,0,1]
	s_delay_alu instid0(VALU_DEP_3) | instskip(NEXT) | instid1(VALU_DEP_3)
	v_dual_mul_f32 v28, v15, v0 :: v_dual_mov_b32 v27, v41
	v_pk_add_f32 v[88:89], v[88:89], v[18:19] neg_lo:[0,1] neg_hi:[0,1]
	v_pk_fma_f32 v[18:19], v[12:13], v[0:1], v[30:31] op_sel:[0,0,1] op_sel_hi:[1,0,0]
	v_pk_fma_f32 v[12:13], v[12:13], v[0:1], v[30:31] op_sel:[0,0,1] op_sel_hi:[1,1,0] neg_lo:[0,0,1] neg_hi:[0,0,1]
	v_mov_b32_e32 v18, v15
	s_wait_dscnt 0x1
	v_pk_mul_f32 v[30:31], v[4:5], v[2:3] op_sel:[0,1]
	v_pk_add_f32 v[112:113], v[112:113], v[26:27] neg_lo:[0,1] neg_hi:[0,1]
	v_dual_mov_b32 v13, v19 :: v_dual_mov_b32 v19, v14
	v_pk_mul_f32 v[42:43], v[6:7], v[2:3] op_sel:[0,1]
	s_delay_alu instid0(VALU_DEP_4) | instskip(SKIP_1) | instid1(VALU_DEP_4)
	v_pk_fma_f32 v[40:41], v[4:5], v[0:1], v[30:31] op_sel:[0,0,1] op_sel_hi:[1,0,0]
	v_pk_fma_f32 v[4:5], v[4:5], v[0:1], v[30:31] op_sel:[0,0,1] op_sel_hi:[1,1,0] neg_lo:[0,0,1] neg_hi:[0,0,1]
	v_pk_add_f32 v[108:109], v[108:109], v[12:13] neg_lo:[0,1] neg_hi:[0,1]
	v_mul_f32_e32 v12, v15, v3
	v_pk_fma_f32 v[18:19], v[18:19], v[66:67], v[28:29] op_sel_hi:[1,1,0]
	ds_load_2addr_b64 v[26:29], v96 offset0:31 offset1:32
	v_mov_b32_e32 v5, v41
	s_wait_dscnt 0x1
	v_pk_mul_f32 v[30:31], v[8:9], v[2:3] op_sel:[0,1]
	v_pk_fma_f32 v[44:45], v[14:15], v[66:67], v[12:13] op_sel_hi:[1,1,0] neg_lo:[0,0,1] neg_hi:[0,0,1]
	ds_load_2addr_b64 v[12:15], v96 offset0:33 offset1:34
	v_mov_b32_e32 v45, v19
	v_pk_fma_f32 v[18:19], v[6:7], v[0:1], v[42:43] op_sel:[0,0,1] op_sel_hi:[1,0,0]
	v_pk_fma_f32 v[6:7], v[6:7], v[0:1], v[42:43] op_sel:[0,0,1] op_sel_hi:[1,1,0] neg_lo:[0,0,1] neg_hi:[0,0,1]
	v_pk_fma_f32 v[40:41], v[8:9], v[0:1], v[30:31] op_sel:[0,0,1] op_sel_hi:[1,0,0]
	v_pk_fma_f32 v[8:9], v[8:9], v[0:1], v[30:31] op_sel:[0,0,1] op_sel_hi:[1,1,0] neg_lo:[0,0,1] neg_hi:[0,0,1]
	v_pk_add_f32 v[106:107], v[106:107], v[4:5] neg_lo:[0,1] neg_hi:[0,1]
	v_mov_b32_e32 v7, v19
	v_pk_mul_f32 v[18:19], v[10:11], v[2:3] op_sel:[0,1]
	v_mov_b32_e32 v9, v41
	v_pk_add_f32 v[110:111], v[110:111], v[44:45] neg_lo:[0,1] neg_hi:[0,1]
	s_delay_alu instid0(VALU_DEP_4) | instskip(NEXT) | instid1(VALU_DEP_4)
	v_pk_add_f32 v[128:129], v[128:129], v[6:7] neg_lo:[0,1] neg_hi:[0,1]
	v_pk_fma_f32 v[30:31], v[10:11], v[0:1], v[18:19] op_sel:[0,0,1] op_sel_hi:[1,0,0]
	ds_load_2addr_b64 v[4:7], v96 offset0:35 offset1:36
	v_pk_fma_f32 v[10:11], v[10:11], v[0:1], v[18:19] op_sel:[0,0,1] op_sel_hi:[1,1,0] neg_lo:[0,0,1] neg_hi:[0,0,1]
	s_wait_dscnt 0x2
	v_dual_mul_f32 v18, v27, v0 :: v_dual_mul_f32 v30, v27, v3
	v_pk_add_f32 v[124:125], v[124:125], v[8:9] neg_lo:[0,1] neg_hi:[0,1]
	v_pk_mul_f32 v[8:9], v[28:29], v[2:3] op_sel:[0,1]
	s_wait_dscnt 0x1
	v_pk_mul_f32 v[40:41], v[12:13], v[2:3] op_sel:[0,1]
	v_pk_fma_f32 v[18:19], v[26:27], v[66:67], v[18:19] op_sel:[1,0,0] op_sel_hi:[0,1,0]
	v_mov_b32_e32 v11, v31
	v_pk_fma_f32 v[26:27], v[26:27], v[66:67], v[30:31] op_sel_hi:[1,1,0] neg_lo:[0,0,1] neg_hi:[0,0,1]
	v_pk_mul_f32 v[30:31], v[14:15], v[2:3] op_sel:[0,1]
	s_delay_alu instid0(VALU_DEP_4) | instskip(NEXT) | instid1(VALU_DEP_4)
	v_mov_b32_e32 v27, v19
	v_pk_add_f32 v[126:127], v[126:127], v[10:11] neg_lo:[0,1] neg_hi:[0,1]
	v_pk_fma_f32 v[10:11], v[28:29], v[0:1], v[8:9] op_sel:[0,0,1] op_sel_hi:[1,0,0]
	v_pk_fma_f32 v[18:19], v[28:29], v[0:1], v[8:9] op_sel:[0,0,1] op_sel_hi:[1,1,0] neg_lo:[0,0,1] neg_hi:[0,0,1]
	v_pk_fma_f32 v[28:29], v[12:13], v[0:1], v[40:41] op_sel:[0,0,1] op_sel_hi:[1,0,0]
	v_pk_fma_f32 v[12:13], v[12:13], v[0:1], v[40:41] op_sel:[0,0,1] op_sel_hi:[1,1,0] neg_lo:[0,0,1] neg_hi:[0,0,1]
	v_pk_add_f32 v[122:123], v[122:123], v[26:27] neg_lo:[0,1] neg_hi:[0,1]
	v_pk_fma_f32 v[26:27], v[14:15], v[0:1], v[30:31] op_sel:[0,0,1] op_sel_hi:[1,0,0]
	v_mov_b32_e32 v19, v11
	ds_load_2addr_b64 v[8:11], v96 offset0:37 offset1:38
	v_mov_b32_e32 v13, v29
	s_wait_dscnt 0x1
	v_pk_mul_f32 v[28:29], v[4:5], v[2:3] op_sel:[0,1]
	v_pk_fma_f32 v[30:31], v[14:15], v[0:1], v[30:31] op_sel:[0,0,1] op_sel_hi:[1,1,0] neg_lo:[0,0,1] neg_hi:[0,0,1]
	v_mov_b32_e32 v31, v27
	v_pk_add_f32 v[144:145], v[144:145], v[18:19] neg_lo:[0,1] neg_hi:[0,1]
	v_pk_add_f32 v[140:141], v[140:141], v[12:13] neg_lo:[0,1] neg_hi:[0,1]
	ds_load_2addr_b64 v[12:15], v96 offset0:39 offset1:40
	v_pk_fma_f32 v[18:19], v[4:5], v[0:1], v[28:29] op_sel:[0,0,1] op_sel_hi:[1,0,0]
	v_pk_fma_f32 v[4:5], v[4:5], v[0:1], v[28:29] op_sel:[0,0,1] op_sel_hi:[1,1,0] neg_lo:[0,0,1] neg_hi:[0,0,1]
	v_dual_mov_b32 v18, v7 :: v_dual_mul_f32 v26, v7, v0
	v_pk_add_f32 v[142:143], v[142:143], v[30:31] neg_lo:[0,1] neg_hi:[0,1]
	s_delay_alu instid0(VALU_DEP_4) | instskip(SKIP_1) | instid1(VALU_DEP_2)
	v_dual_mov_b32 v5, v19 :: v_dual_mov_b32 v19, v6
	v_mul_f32_e32 v30, v7, v3
	v_pk_add_f32 v[138:139], v[138:139], v[4:5] neg_lo:[0,1] neg_hi:[0,1]
	s_delay_alu instid0(VALU_DEP_3)
	v_pk_fma_f32 v[18:19], v[18:19], v[66:67], v[26:27] op_sel_hi:[1,1,0]
	s_wait_dscnt 0x1
	v_pk_mul_f32 v[4:5], v[8:9], v[2:3] op_sel:[0,1]
	v_pk_mul_f32 v[40:41], v[10:11], v[2:3] op_sel:[0,1]
	ds_load_2addr_b64 v[26:29], v96 offset0:41 offset1:42
	v_pk_fma_f32 v[30:31], v[6:7], v[66:67], v[30:31] op_sel_hi:[1,1,0] neg_lo:[0,0,1] neg_hi:[0,0,1]
	v_pk_fma_f32 v[42:43], v[8:9], v[0:1], v[4:5] op_sel:[0,0,1] op_sel_hi:[1,0,0]
	v_mov_b32_e32 v31, v19
	v_pk_fma_f32 v[18:19], v[10:11], v[0:1], v[40:41] op_sel:[0,0,1] op_sel_hi:[1,0,0]
	v_pk_fma_f32 v[10:11], v[10:11], v[0:1], v[40:41] op_sel:[0,0,1] op_sel_hi:[1,1,0] neg_lo:[0,0,1] neg_hi:[0,0,1]
	s_wait_dscnt 0x1
	v_pk_mul_f32 v[40:41], v[12:13], v[2:3] op_sel:[0,1]
	v_pk_fma_f32 v[8:9], v[8:9], v[0:1], v[4:5] op_sel:[0,0,1] op_sel_hi:[1,1,0] neg_lo:[0,0,1] neg_hi:[0,0,1]
	ds_load_2addr_b64 v[4:7], v96 offset0:43 offset1:44
	v_mov_b32_e32 v9, v43
	v_pk_add_f32 v[162:163], v[162:163], v[30:31] neg_lo:[0,1] neg_hi:[0,1]
	v_pk_fma_f32 v[30:31], v[12:13], v[0:1], v[40:41] op_sel:[0,0,1] op_sel_hi:[1,0,0]
	v_mov_b32_e32 v11, v19
	v_pk_mul_f32 v[18:19], v[14:15], v[2:3] op_sel:[0,1]
	v_pk_add_f32 v[158:159], v[158:159], v[8:9] neg_lo:[0,1] neg_hi:[0,1]
	v_pk_fma_f32 v[12:13], v[12:13], v[0:1], v[40:41] op_sel:[0,0,1] op_sel_hi:[1,1,0] neg_lo:[0,0,1] neg_hi:[0,0,1]
	v_mov_b32_e32 v13, v31
	v_pk_add_f32 v[160:161], v[160:161], v[10:11] neg_lo:[0,1] neg_hi:[0,1]
	v_pk_fma_f32 v[8:9], v[14:15], v[0:1], v[18:19] op_sel:[0,0,1] op_sel_hi:[1,0,0]
	v_pk_fma_f32 v[14:15], v[14:15], v[0:1], v[18:19] op_sel:[0,0,1] op_sel_hi:[1,1,0] neg_lo:[0,0,1] neg_hi:[0,0,1]
	s_wait_dscnt 0x1
	v_dual_mul_f32 v18, v27, v0 :: v_dual_mul_f32 v30, v27, v3
	v_pk_add_f32 v[156:157], v[156:157], v[12:13] neg_lo:[0,1] neg_hi:[0,1]
	v_mov_b32_e32 v15, v9
	ds_load_2addr_b64 v[8:11], v96 offset0:45 offset1:46
	v_pk_fma_f32 v[12:13], v[26:27], v[66:67], v[18:19] op_sel:[1,0,0] op_sel_hi:[0,1,0]
	v_pk_mul_f32 v[18:19], v[28:29], v[2:3] op_sel:[0,1]
	v_pk_fma_f32 v[26:27], v[26:27], v[66:67], v[30:31] op_sel_hi:[1,1,0] neg_lo:[0,0,1] neg_hi:[0,0,1]
	s_wait_dscnt 0x1
	v_pk_mul_f32 v[30:31], v[4:5], v[2:3] op_sel:[0,1]
	v_pk_add_f32 v[180:181], v[180:181], v[14:15] neg_lo:[0,1] neg_hi:[0,1]
	v_pk_mul_f32 v[42:43], v[6:7], v[2:3] op_sel:[0,1]
	v_pk_fma_f32 v[40:41], v[28:29], v[0:1], v[18:19] op_sel:[0,0,1] op_sel_hi:[1,0,0]
	v_mov_b32_e32 v27, v13
	v_pk_fma_f32 v[18:19], v[28:29], v[0:1], v[18:19] op_sel:[0,0,1] op_sel_hi:[1,1,0] neg_lo:[0,0,1] neg_hi:[0,0,1]
	v_pk_fma_f32 v[28:29], v[4:5], v[0:1], v[30:31] op_sel:[0,0,1] op_sel_hi:[1,0,0]
	ds_load_2addr_b64 v[12:15], v96 offset0:47 offset1:48
	v_pk_fma_f32 v[4:5], v[4:5], v[0:1], v[30:31] op_sel:[0,0,1] op_sel_hi:[1,1,0] neg_lo:[0,0,1] neg_hi:[0,0,1]
	ds_load_b64 v[30:31], v96 offset:392
	v_mov_b32_e32 v19, v41
	v_pk_fma_f32 v[40:41], v[6:7], v[0:1], v[42:43] op_sel:[0,0,1] op_sel_hi:[1,0,0]
	v_mov_b32_e32 v5, v29
	v_pk_fma_f32 v[6:7], v[6:7], v[0:1], v[42:43] op_sel:[0,0,1] op_sel_hi:[1,1,0] neg_lo:[0,0,1] neg_hi:[0,0,1]
	v_pk_add_f32 v[176:177], v[176:177], v[26:27] neg_lo:[0,1] neg_hi:[0,1]
	v_pk_add_f32 v[178:179], v[178:179], v[18:19] neg_lo:[0,1] neg_hi:[0,1]
	s_wait_dscnt 0x2
	v_pk_mul_f32 v[28:29], v[8:9], v[2:3] op_sel:[0,1]
	v_mov_b32_e32 v7, v41
	v_pk_add_f32 v[174:175], v[174:175], v[4:5] neg_lo:[0,1] neg_hi:[0,1]
	v_mul_f32_e32 v18, v11, v3
	s_delay_alu instid0(VALU_DEP_4) | instskip(NEXT) | instid1(VALU_DEP_4)
	v_pk_fma_f32 v[4:5], v[8:9], v[0:1], v[28:29] op_sel:[0,0,1] op_sel_hi:[1,0,0]
	v_pk_add_f32 v[196:197], v[196:197], v[6:7] neg_lo:[0,1] neg_hi:[0,1]
	v_dual_mov_b32 v6, v11 :: v_dual_mov_b32 v7, v10
	v_mul_f32_e32 v4, v11, v0
	v_pk_fma_f32 v[8:9], v[8:9], v[0:1], v[28:29] op_sel:[0,0,1] op_sel_hi:[1,1,0] neg_lo:[0,0,1] neg_hi:[0,0,1]
	v_mov_b32_e32 v9, v5
	s_wait_dscnt 0x1
	v_pk_mul_f32 v[26:27], v[12:13], v[2:3] op_sel:[0,1]
	v_pk_fma_f32 v[10:11], v[10:11], v[66:67], v[18:19] op_sel_hi:[1,1,0] neg_lo:[0,0,1] neg_hi:[0,0,1]
	v_pk_fma_f32 v[4:5], v[6:7], v[66:67], v[4:5] op_sel_hi:[1,1,0]
	v_pk_mul_f32 v[6:7], v[14:15], v[2:3] op_sel:[0,1]
	s_wait_dscnt 0x0
	v_pk_mul_f32 v[2:3], v[30:31], v[2:3] op_sel:[0,1]
	v_pk_fma_f32 v[18:19], v[12:13], v[0:1], v[26:27] op_sel:[0,0,1] op_sel_hi:[1,0,0]
	v_pk_fma_f32 v[12:13], v[12:13], v[0:1], v[26:27] op_sel:[0,0,1] op_sel_hi:[1,1,0] neg_lo:[0,0,1] neg_hi:[0,0,1]
	v_mov_b32_e32 v11, v5
	v_pk_fma_f32 v[4:5], v[14:15], v[0:1], v[6:7] op_sel:[0,0,1] op_sel_hi:[1,0,0]
	v_pk_fma_f32 v[26:27], v[30:31], v[0:1], v[2:3] op_sel:[0,0,1] op_sel_hi:[1,0,0]
	v_pk_fma_f32 v[6:7], v[14:15], v[0:1], v[6:7] op_sel:[0,0,1] op_sel_hi:[1,1,0] neg_lo:[0,0,1] neg_hi:[0,0,1]
	v_pk_fma_f32 v[0:1], v[30:31], v[0:1], v[2:3] op_sel:[0,0,1] op_sel_hi:[1,1,0] neg_lo:[0,0,1] neg_hi:[0,0,1]
	s_delay_alu instid0(VALU_DEP_4) | instskip(NEXT) | instid1(VALU_DEP_4)
	v_dual_mov_b32 v13, v19 :: v_dual_mov_b32 v7, v5
	v_mov_b32_e32 v1, v27
	v_pk_add_f32 v[192:193], v[192:193], v[8:9] neg_lo:[0,1] neg_hi:[0,1]
	v_pk_add_f32 v[194:195], v[194:195], v[10:11] neg_lo:[0,1] neg_hi:[0,1]
	s_delay_alu instid0(VALU_DEP_4)
	v_pk_add_f32 v[190:191], v[190:191], v[12:13] neg_lo:[0,1] neg_hi:[0,1]
	v_pk_add_f32 v[198:199], v[198:199], v[6:7] neg_lo:[0,1] neg_hi:[0,1]
	;; [unrolled: 1-line block ×3, first 2 shown]
.LBB99_28:
	s_wait_xcnt 0x0
	s_or_b32 exec_lo, exec_lo, s1
	s_delay_alu instid0(SALU_CYCLE_1)
	s_mov_b32 s2, exec_lo
	s_wait_storecnt 0x0
	s_barrier_signal -1
	s_barrier_wait -1
	v_cmpx_eq_u32_e32 3, v86
	s_cbranch_execz .LBB99_35
; %bb.29:
	v_dual_mov_b32 v0, v68 :: v_dual_mov_b32 v1, v69
	v_dual_mov_b32 v2, v22 :: v_dual_mov_b32 v3, v23
	v_dual_mov_b32 v4, v24 :: v_dual_mov_b32 v5, v25
	v_dual_mov_b32 v6, v20 :: v_dual_mov_b32 v7, v21
	v_dual_mov_b32 v8, v38 :: v_dual_mov_b32 v9, v39
	v_dual_mov_b32 v10, v34 :: v_dual_mov_b32 v11, v35
	v_dual_mov_b32 v12, v36 :: v_dual_mov_b32 v13, v37
	v_dual_mov_b32 v14, v32 :: v_dual_mov_b32 v15, v33
	v_dual_mov_b32 v18, v54 :: v_dual_mov_b32 v19, v55
	v_dual_mov_b32 v26, v50 :: v_dual_mov_b32 v27, v51
	ds_store_b64 v87, v[64:65]
	v_dual_mov_b32 v28, v52 :: v_dual_mov_b32 v29, v53
	v_dual_mov_b32 v30, v48 :: v_dual_mov_b32 v31, v49
	ds_store_2addr_b64 v96, v[0:1], v[2:3] offset0:4 offset1:5
	ds_store_2addr_b64 v96, v[4:5], v[6:7] offset0:6 offset1:7
	;; [unrolled: 1-line block ×6, first 2 shown]
	v_dual_mov_b32 v0, v78 :: v_dual_mov_b32 v1, v79
	v_dual_mov_b32 v2, v74 :: v_dual_mov_b32 v3, v75
	;; [unrolled: 1-line block ×12, first 2 shown]
	ds_store_2addr_b64 v96, v[0:1], v[2:3] offset0:16 offset1:17
	ds_store_2addr_b64 v96, v[4:5], v[6:7] offset0:18 offset1:19
	;; [unrolled: 1-line block ×6, first 2 shown]
	v_dual_mov_b32 v0, v128 :: v_dual_mov_b32 v1, v129
	v_dual_mov_b32 v2, v124 :: v_dual_mov_b32 v3, v125
	;; [unrolled: 1-line block ×12, first 2 shown]
	ds_store_2addr_b64 v96, v[0:1], v[2:3] offset0:28 offset1:29
	ds_store_2addr_b64 v96, v[4:5], v[6:7] offset0:30 offset1:31
	;; [unrolled: 1-line block ×6, first 2 shown]
	v_dual_mov_b32 v0, v180 :: v_dual_mov_b32 v1, v181
	v_dual_mov_b32 v2, v176 :: v_dual_mov_b32 v3, v177
	;; [unrolled: 1-line block ×9, first 2 shown]
	ds_store_2addr_b64 v96, v[0:1], v[2:3] offset0:40 offset1:41
	ds_store_2addr_b64 v96, v[4:5], v[6:7] offset0:42 offset1:43
	;; [unrolled: 1-line block ×5, first 2 shown]
	ds_load_b64 v[0:1], v87
	s_wait_dscnt 0x0
	v_cmp_neq_f32_e32 vcc_lo, 0, v0
	v_cmp_neq_f32_e64 s1, 0, v1
	s_or_b32 s1, vcc_lo, s1
	s_delay_alu instid0(SALU_CYCLE_1)
	s_and_b32 exec_lo, exec_lo, s1
	s_cbranch_execz .LBB99_35
; %bb.30:
	v_cmp_ngt_f32_e64 s1, |v0|, |v1|
                                        ; implicit-def: $vgpr2_vgpr3
	s_and_saveexec_b32 s4, s1
	s_delay_alu instid0(SALU_CYCLE_1)
	s_xor_b32 s1, exec_lo, s4
	s_cbranch_execz .LBB99_32
; %bb.31:
	v_div_scale_f32 v2, null, v1, v1, v0
	v_div_scale_f32 v5, vcc_lo, v0, v1, v0
	s_delay_alu instid0(VALU_DEP_2) | instskip(SKIP_1) | instid1(TRANS32_DEP_1)
	v_rcp_f32_e32 v3, v2
	v_nop
	v_fma_f32 v4, -v2, v3, 1.0
	s_delay_alu instid0(VALU_DEP_1) | instskip(NEXT) | instid1(VALU_DEP_1)
	v_fmac_f32_e32 v3, v4, v3
	v_mul_f32_e32 v4, v5, v3
	s_delay_alu instid0(VALU_DEP_1) | instskip(NEXT) | instid1(VALU_DEP_1)
	v_fma_f32 v6, -v2, v4, v5
	v_fmac_f32_e32 v4, v6, v3
	s_delay_alu instid0(VALU_DEP_1) | instskip(NEXT) | instid1(VALU_DEP_1)
	v_fma_f32 v2, -v2, v4, v5
	v_div_fmas_f32 v2, v2, v3, v4
	s_delay_alu instid0(VALU_DEP_1) | instskip(NEXT) | instid1(VALU_DEP_1)
	v_div_fixup_f32 v2, v2, v1, v0
	v_fmac_f32_e32 v1, v0, v2
	s_delay_alu instid0(VALU_DEP_1) | instskip(SKIP_1) | instid1(VALU_DEP_2)
	v_div_scale_f32 v0, null, v1, v1, 1.0
	v_div_scale_f32 v5, vcc_lo, 1.0, v1, 1.0
	v_rcp_f32_e32 v3, v0
	v_nop
	s_delay_alu instid0(TRANS32_DEP_1) | instskip(NEXT) | instid1(VALU_DEP_1)
	v_fma_f32 v4, -v0, v3, 1.0
	v_fmac_f32_e32 v3, v4, v3
	s_delay_alu instid0(VALU_DEP_1) | instskip(NEXT) | instid1(VALU_DEP_1)
	v_mul_f32_e32 v4, v5, v3
	v_fma_f32 v6, -v0, v4, v5
	s_delay_alu instid0(VALU_DEP_1) | instskip(NEXT) | instid1(VALU_DEP_1)
	v_fmac_f32_e32 v4, v6, v3
	v_fma_f32 v0, -v0, v4, v5
	s_delay_alu instid0(VALU_DEP_1) | instskip(NEXT) | instid1(VALU_DEP_1)
	v_div_fmas_f32 v0, v0, v3, v4
	v_div_fixup_f32 v0, v0, v1, 1.0
	s_delay_alu instid0(VALU_DEP_1)
	v_mul_f32_e32 v2, v2, v0
	v_xor_b32_e32 v3, 0x80000000, v0
                                        ; implicit-def: $vgpr0_vgpr1
.LBB99_32:
	s_and_not1_saveexec_b32 s1, s1
	s_cbranch_execz .LBB99_34
; %bb.33:
	v_div_scale_f32 v2, null, v0, v0, v1
	v_div_scale_f32 v5, vcc_lo, v1, v0, v1
	s_delay_alu instid0(VALU_DEP_2) | instskip(SKIP_1) | instid1(TRANS32_DEP_1)
	v_rcp_f32_e32 v3, v2
	v_nop
	v_fma_f32 v4, -v2, v3, 1.0
	s_delay_alu instid0(VALU_DEP_1) | instskip(NEXT) | instid1(VALU_DEP_1)
	v_fmac_f32_e32 v3, v4, v3
	v_mul_f32_e32 v4, v5, v3
	s_delay_alu instid0(VALU_DEP_1) | instskip(NEXT) | instid1(VALU_DEP_1)
	v_fma_f32 v6, -v2, v4, v5
	v_fmac_f32_e32 v4, v6, v3
	s_delay_alu instid0(VALU_DEP_1) | instskip(NEXT) | instid1(VALU_DEP_1)
	v_fma_f32 v2, -v2, v4, v5
	v_div_fmas_f32 v2, v2, v3, v4
	s_delay_alu instid0(VALU_DEP_1) | instskip(NEXT) | instid1(VALU_DEP_1)
	v_div_fixup_f32 v3, v2, v0, v1
	v_fmac_f32_e32 v0, v1, v3
	s_delay_alu instid0(VALU_DEP_1) | instskip(NEXT) | instid1(VALU_DEP_1)
	v_div_scale_f32 v1, null, v0, v0, 1.0
	v_rcp_f32_e32 v2, v1
	v_nop
	s_delay_alu instid0(TRANS32_DEP_1) | instskip(NEXT) | instid1(VALU_DEP_1)
	v_fma_f32 v4, -v1, v2, 1.0
	v_fmac_f32_e32 v2, v4, v2
	v_div_scale_f32 v4, vcc_lo, 1.0, v0, 1.0
	s_delay_alu instid0(VALU_DEP_1) | instskip(NEXT) | instid1(VALU_DEP_1)
	v_mul_f32_e32 v5, v4, v2
	v_fma_f32 v6, -v1, v5, v4
	s_delay_alu instid0(VALU_DEP_1) | instskip(NEXT) | instid1(VALU_DEP_1)
	v_fmac_f32_e32 v5, v6, v2
	v_fma_f32 v1, -v1, v5, v4
	s_delay_alu instid0(VALU_DEP_1) | instskip(NEXT) | instid1(VALU_DEP_1)
	v_div_fmas_f32 v1, v1, v2, v5
	v_div_fixup_f32 v2, v1, v0, 1.0
	s_delay_alu instid0(VALU_DEP_1)
	v_mul_f32_e64 v3, v3, -v2
.LBB99_34:
	s_or_b32 exec_lo, exec_lo, s1
	ds_store_b64 v87, v[2:3]
.LBB99_35:
	s_or_b32 exec_lo, exec_lo, s2
	s_wait_dscnt 0x0
	s_barrier_signal -1
	s_barrier_wait -1
	ds_load_b64 v[0:1], v87
	s_mov_b32 s1, exec_lo
	s_wait_dscnt 0x0
	scratch_store_b64 off, v[0:1], off offset:32 ; 8-byte Folded Spill
	s_wait_xcnt 0x0
	v_cmpx_lt_u32_e32 3, v86
	s_cbranch_execz .LBB99_37
; %bb.36:
	ds_load_2addr_b64 v[4:7], v96 offset0:4 offset1:5
	ds_load_2addr_b64 v[8:11], v96 offset0:6 offset1:7
	;; [unrolled: 1-line block ×3, first 2 shown]
	scratch_load_b64 v[18:19], off, off offset:32 ; 8-byte Folded Reload
	ds_load_2addr_b64 v[26:29], v96 offset0:10 offset1:11
	ds_load_2addr_b64 v[40:43], v96 offset0:12 offset1:13
	s_wait_dscnt 0x3
	v_dual_mov_b32 v46, v11 :: v_dual_mov_b32 v47, v10
	s_wait_loadcnt 0x0
	v_pk_mul_f32 v[2:3], v[18:19], v[64:65] op_sel:[1,1] op_sel_hi:[0,1]
	s_delay_alu instid0(VALU_DEP_1) | instskip(SKIP_1) | instid1(VALU_DEP_1)
	v_pk_fma_f32 v[0:1], v[18:19], v[64:65], v[2:3] op_sel_hi:[1,0,1] neg_lo:[0,0,1] neg_hi:[0,0,1]
	v_pk_fma_f32 v[2:3], v[18:19], v[64:65], v[2:3] op_sel_hi:[1,0,1]
	v_dual_mov_b32 v64, v0 :: v_dual_mov_b32 v65, v3
	s_delay_alu instid0(VALU_DEP_2)
	v_pk_mul_f32 v[18:19], v[4:5], v[2:3] op_sel:[0,1]
	v_pk_mul_f32 v[30:31], v[6:7], v[2:3] op_sel:[0,1]
	;; [unrolled: 1-line block ×3, first 2 shown]
	s_wait_dscnt 0x2
	v_pk_mul_f32 v[60:61], v[12:13], v[2:3] op_sel:[0,1]
	v_dual_mul_f32 v56, v11, v3 :: v_dual_mul_f32 v58, v11, v0
	v_pk_fma_f32 v[82:83], v[4:5], v[0:1], v[18:19] op_sel:[0,0,1] op_sel_hi:[1,1,0] neg_lo:[0,0,1] neg_hi:[0,0,1]
	v_pk_fma_f32 v[4:5], v[4:5], v[0:1], v[18:19] op_sel:[0,0,1] op_sel_hi:[1,0,0]
	v_pk_fma_f32 v[18:19], v[6:7], v[0:1], v[30:31] op_sel:[0,0,1] op_sel_hi:[1,1,0] neg_lo:[0,0,1] neg_hi:[0,0,1]
	v_pk_fma_f32 v[6:7], v[6:7], v[0:1], v[30:31] op_sel:[0,0,1] op_sel_hi:[1,0,0]
	v_pk_mul_f32 v[62:63], v[14:15], v[2:3] op_sel:[0,1]
	v_pk_fma_f32 v[30:31], v[8:9], v[0:1], v[44:45] op_sel:[0,0,1] op_sel_hi:[1,1,0] neg_lo:[0,0,1] neg_hi:[0,0,1]
	v_pk_fma_f32 v[8:9], v[8:9], v[0:1], v[44:45] op_sel:[0,0,1] op_sel_hi:[1,0,0]
	s_wait_dscnt 0x1
	v_pk_mul_f32 v[80:81], v[26:27], v[2:3] op_sel:[0,1]
	v_dual_mov_b32 v83, v5 :: v_dual_mov_b32 v19, v7
	v_pk_fma_f32 v[4:5], v[12:13], v[0:1], v[60:61] op_sel:[0,0,1] op_sel_hi:[1,0,0]
	v_pk_fma_f32 v[44:45], v[46:47], v[64:65], v[58:59] op_sel_hi:[1,1,0]
	v_mov_b32_e32 v31, v9
	v_pk_fma_f32 v[8:9], v[12:13], v[0:1], v[60:61] op_sel:[0,0,1] op_sel_hi:[1,1,0] neg_lo:[0,0,1] neg_hi:[0,0,1]
	v_pk_fma_f32 v[12:13], v[14:15], v[0:1], v[62:63] op_sel:[0,0,1] op_sel_hi:[1,0,0]
	v_pk_add_f32 v[22:23], v[22:23], v[18:19] neg_lo:[0,1] neg_hi:[0,1]
	v_pk_fma_f32 v[18:19], v[26:27], v[0:1], v[80:81] op_sel:[0,0,1] op_sel_hi:[1,0,0]
	v_mov_b32_e32 v9, v5
	ds_load_2addr_b64 v[4:7], v96 offset0:14 offset1:15
	v_pk_fma_f32 v[14:15], v[14:15], v[0:1], v[62:63] op_sel:[0,0,1] op_sel_hi:[1,1,0] neg_lo:[0,0,1] neg_hi:[0,0,1]
	v_mov_b32_e32 v15, v13
	v_pk_fma_f32 v[12:13], v[26:27], v[0:1], v[80:81] op_sel:[0,0,1] op_sel_hi:[1,1,0] neg_lo:[0,0,1] neg_hi:[0,0,1]
	v_mov_b32_e32 v13, v19
	v_pk_mul_f32 v[18:19], v[28:29], v[2:3] op_sel:[0,1]
	v_pk_fma_f32 v[10:11], v[10:11], v[64:65], v[56:57] op_sel_hi:[1,1,0] neg_lo:[0,0,1] neg_hi:[0,0,1]
	v_mov_b32_e32 v11, v45
	s_wait_dscnt 0x1
	v_pk_mul_f32 v[26:27], v[42:43], v[2:3] op_sel:[0,1]
	v_pk_add_f32 v[36:37], v[36:37], v[12:13] neg_lo:[0,1] neg_hi:[0,1]
	v_mul_f32_e32 v12, v41, v0
	v_pk_add_f32 v[34:35], v[34:35], v[14:15] neg_lo:[0,1] neg_hi:[0,1]
	v_pk_fma_f32 v[14:15], v[28:29], v[0:1], v[18:19] op_sel:[0,0,1] op_sel_hi:[1,0,0]
	v_mul_f32_e32 v14, v41, v3
	v_pk_add_f32 v[20:21], v[20:21], v[10:11] neg_lo:[0,1] neg_hi:[0,1]
	v_pk_add_f32 v[38:39], v[38:39], v[8:9] neg_lo:[0,1] neg_hi:[0,1]
	ds_load_2addr_b64 v[8:11], v96 offset0:16 offset1:17
	v_pk_fma_f32 v[12:13], v[40:41], v[64:65], v[12:13] op_sel:[1,0,0] op_sel_hi:[0,1,0]
	v_pk_fma_f32 v[18:19], v[28:29], v[0:1], v[18:19] op_sel:[0,0,1] op_sel_hi:[1,1,0] neg_lo:[0,0,1] neg_hi:[0,0,1]
	v_pk_fma_f32 v[28:29], v[42:43], v[0:1], v[26:27] op_sel:[0,0,1] op_sel_hi:[1,0,0]
	v_mov_b32_e32 v19, v15
	v_pk_fma_f32 v[14:15], v[40:41], v[64:65], v[14:15] op_sel_hi:[1,1,0] neg_lo:[0,0,1] neg_hi:[0,0,1]
	v_mov_b32_e32 v15, v13
	v_pk_fma_f32 v[12:13], v[42:43], v[0:1], v[26:27] op_sel:[0,0,1] op_sel_hi:[1,1,0] neg_lo:[0,0,1] neg_hi:[0,0,1]
	v_pk_add_f32 v[24:25], v[24:25], v[30:31] neg_lo:[0,1] neg_hi:[0,1]
	s_wait_dscnt 0x1
	v_pk_mul_f32 v[30:31], v[4:5], v[2:3] op_sel:[0,1]
	v_mov_b32_e32 v13, v29
	v_pk_add_f32 v[32:33], v[32:33], v[18:19] neg_lo:[0,1] neg_hi:[0,1]
	v_pk_add_f32 v[54:55], v[54:55], v[14:15] neg_lo:[0,1] neg_hi:[0,1]
	v_pk_mul_f32 v[26:27], v[6:7], v[2:3] op_sel:[0,1]
	v_pk_fma_f32 v[18:19], v[4:5], v[0:1], v[30:31] op_sel:[0,0,1] op_sel_hi:[1,0,0]
	v_pk_add_f32 v[50:51], v[50:51], v[12:13] neg_lo:[0,1] neg_hi:[0,1]
	ds_load_2addr_b64 v[12:15], v96 offset0:18 offset1:19
	v_pk_fma_f32 v[28:29], v[4:5], v[0:1], v[30:31] op_sel:[0,0,1] op_sel_hi:[1,1,0] neg_lo:[0,0,1] neg_hi:[0,0,1]
	v_pk_add_f32 v[68:69], v[68:69], v[82:83] neg_lo:[0,1] neg_hi:[0,1]
	s_wait_dscnt 0x1
	v_dual_mov_b32 v29, v19 :: v_dual_mov_b32 v40, v11
	v_pk_fma_f32 v[18:19], v[6:7], v[0:1], v[26:27] op_sel:[0,0,1] op_sel_hi:[1,1,0] neg_lo:[0,0,1] neg_hi:[0,0,1]
	v_pk_fma_f32 v[26:27], v[6:7], v[0:1], v[26:27] op_sel:[0,0,1] op_sel_hi:[1,0,0]
	ds_load_2addr_b64 v[4:7], v96 offset0:20 offset1:21
	v_pk_mul_f32 v[30:31], v[8:9], v[2:3] op_sel:[0,1]
	v_pk_add_f32 v[52:53], v[52:53], v[28:29] neg_lo:[0,1] neg_hi:[0,1]
	v_dual_mov_b32 v41, v10 :: v_dual_mul_f32 v26, v11, v0
	v_mov_b32_e32 v19, v27
	s_delay_alu instid0(VALU_DEP_4) | instskip(SKIP_1) | instid1(VALU_DEP_4)
	v_pk_fma_f32 v[28:29], v[8:9], v[0:1], v[30:31] op_sel:[0,0,1] op_sel_hi:[1,0,0]
	v_mul_f32_e32 v28, v11, v3
	v_pk_fma_f32 v[26:27], v[40:41], v[64:65], v[26:27] op_sel_hi:[1,1,0]
	s_delay_alu instid0(VALU_DEP_4)
	v_pk_add_f32 v[48:49], v[48:49], v[18:19] neg_lo:[0,1] neg_hi:[0,1]
	v_pk_fma_f32 v[18:19], v[8:9], v[0:1], v[30:31] op_sel:[0,0,1] op_sel_hi:[1,1,0] neg_lo:[0,0,1] neg_hi:[0,0,1]
	v_mov_b32_e32 v19, v29
	v_pk_fma_f32 v[28:29], v[10:11], v[64:65], v[28:29] op_sel_hi:[1,1,0] neg_lo:[0,0,1] neg_hi:[0,0,1]
	s_wait_dscnt 0x1
	v_pk_mul_f32 v[30:31], v[12:13], v[2:3] op_sel:[0,1]
	ds_load_2addr_b64 v[8:11], v96 offset0:22 offset1:23
	v_mov_b32_e32 v29, v27
	v_pk_mul_f32 v[40:41], v[14:15], v[2:3] op_sel:[0,1]
	v_pk_add_f32 v[78:79], v[78:79], v[18:19] neg_lo:[0,1] neg_hi:[0,1]
	v_pk_fma_f32 v[18:19], v[12:13], v[0:1], v[30:31] op_sel:[0,0,1] op_sel_hi:[1,0,0]
	s_wait_dscnt 0x1
	v_pk_mul_f32 v[42:43], v[4:5], v[2:3] op_sel:[0,1]
	v_pk_fma_f32 v[12:13], v[12:13], v[0:1], v[30:31] op_sel:[0,0,1] op_sel_hi:[1,1,0] neg_lo:[0,0,1] neg_hi:[0,0,1]
	v_pk_add_f32 v[74:75], v[74:75], v[28:29] neg_lo:[0,1] neg_hi:[0,1]
	v_pk_fma_f32 v[44:45], v[14:15], v[0:1], v[40:41] op_sel:[0,0,1] op_sel_hi:[1,0,0]
	ds_load_2addr_b64 v[26:29], v96 offset0:24 offset1:25
	v_mov_b32_e32 v13, v19
	v_pk_fma_f32 v[18:19], v[4:5], v[0:1], v[42:43] op_sel:[0,0,1] op_sel_hi:[1,0,0]
	v_pk_fma_f32 v[14:15], v[14:15], v[0:1], v[40:41] op_sel:[0,0,1] op_sel_hi:[1,1,0] neg_lo:[0,0,1] neg_hi:[0,0,1]
	v_pk_mul_f32 v[30:31], v[6:7], v[2:3] op_sel:[0,1]
	v_pk_fma_f32 v[4:5], v[4:5], v[0:1], v[42:43] op_sel:[0,0,1] op_sel_hi:[1,1,0] neg_lo:[0,0,1] neg_hi:[0,0,1]
	s_delay_alu instid0(VALU_DEP_4) | instskip(SKIP_1) | instid1(VALU_DEP_4)
	v_dual_mov_b32 v15, v45 :: v_dual_mov_b32 v5, v19
	v_pk_add_f32 v[76:77], v[76:77], v[12:13] neg_lo:[0,1] neg_hi:[0,1]
	v_pk_fma_f32 v[18:19], v[6:7], v[0:1], v[30:31] op_sel:[0,0,1] op_sel_hi:[1,0,0]
	v_pk_fma_f32 v[6:7], v[6:7], v[0:1], v[30:31] op_sel:[0,0,1] op_sel_hi:[1,1,0] neg_lo:[0,0,1] neg_hi:[0,0,1]
	s_delay_alu instid0(VALU_DEP_4)
	v_pk_add_f32 v[72:73], v[72:73], v[14:15] neg_lo:[0,1] neg_hi:[0,1]
	ds_load_2addr_b64 v[12:15], v96 offset0:26 offset1:27
	v_pk_add_f32 v[94:95], v[94:95], v[4:5] neg_lo:[0,1] neg_hi:[0,1]
	s_wait_dscnt 0x2
	v_dual_mul_f32 v4, v9, v0 :: v_dual_mov_b32 v7, v19
	v_mul_f32_e32 v18, v9, v3
	v_pk_mul_f32 v[30:31], v[10:11], v[2:3] op_sel:[0,1]
	s_delay_alu instid0(VALU_DEP_3)
	v_pk_fma_f32 v[4:5], v[8:9], v[64:65], v[4:5] op_sel:[1,0,0] op_sel_hi:[0,1,0]
	s_wait_dscnt 0x1
	v_pk_mul_f32 v[40:41], v[26:27], v[2:3] op_sel:[0,1]
	v_pk_fma_f32 v[8:9], v[8:9], v[64:65], v[18:19] op_sel_hi:[1,1,0] neg_lo:[0,0,1] neg_hi:[0,0,1]
	v_pk_add_f32 v[90:91], v[90:91], v[6:7] neg_lo:[0,1] neg_hi:[0,1]
	v_pk_fma_f32 v[18:19], v[10:11], v[0:1], v[30:31] op_sel:[0,0,1] op_sel_hi:[1,0,0]
	v_mov_b32_e32 v9, v5
	ds_load_2addr_b64 v[4:7], v96 offset0:28 offset1:29
	v_pk_fma_f32 v[10:11], v[10:11], v[0:1], v[30:31] op_sel:[0,0,1] op_sel_hi:[1,1,0] neg_lo:[0,0,1] neg_hi:[0,0,1]
	v_pk_fma_f32 v[42:43], v[26:27], v[0:1], v[40:41] op_sel:[0,0,1] op_sel_hi:[1,0,0]
	v_mov_b32_e32 v11, v19
	v_pk_fma_f32 v[18:19], v[26:27], v[0:1], v[40:41] op_sel:[0,0,1] op_sel_hi:[1,1,0] neg_lo:[0,0,1] neg_hi:[0,0,1]
	v_pk_mul_f32 v[26:27], v[28:29], v[2:3] op_sel:[0,1]
	v_pk_add_f32 v[92:93], v[92:93], v[8:9] neg_lo:[0,1] neg_hi:[0,1]
	s_wait_dscnt 0x1
	v_pk_mul_f32 v[30:31], v[12:13], v[2:3] op_sel:[0,1]
	v_pk_add_f32 v[88:89], v[88:89], v[10:11] neg_lo:[0,1] neg_hi:[0,1]
	ds_load_2addr_b64 v[8:11], v96 offset0:30 offset1:31
	v_pk_fma_f32 v[40:41], v[28:29], v[0:1], v[26:27] op_sel:[0,0,1] op_sel_hi:[1,0,0]
	v_mov_b32_e32 v19, v43
	v_pk_fma_f32 v[26:27], v[28:29], v[0:1], v[26:27] op_sel:[0,0,1] op_sel_hi:[1,1,0] neg_lo:[0,0,1] neg_hi:[0,0,1]
	s_delay_alu instid0(VALU_DEP_3) | instskip(NEXT) | instid1(VALU_DEP_3)
	v_dual_mul_f32 v28, v15, v0 :: v_dual_mov_b32 v27, v41
	v_pk_add_f32 v[112:113], v[112:113], v[18:19] neg_lo:[0,1] neg_hi:[0,1]
	v_pk_fma_f32 v[18:19], v[12:13], v[0:1], v[30:31] op_sel:[0,0,1] op_sel_hi:[1,0,0]
	v_pk_fma_f32 v[12:13], v[12:13], v[0:1], v[30:31] op_sel:[0,0,1] op_sel_hi:[1,1,0] neg_lo:[0,0,1] neg_hi:[0,0,1]
	v_mov_b32_e32 v18, v15
	s_wait_dscnt 0x1
	v_pk_mul_f32 v[30:31], v[4:5], v[2:3] op_sel:[0,1]
	v_pk_add_f32 v[108:109], v[108:109], v[26:27] neg_lo:[0,1] neg_hi:[0,1]
	v_dual_mov_b32 v13, v19 :: v_dual_mov_b32 v19, v14
	v_pk_mul_f32 v[42:43], v[6:7], v[2:3] op_sel:[0,1]
	s_delay_alu instid0(VALU_DEP_4) | instskip(SKIP_1) | instid1(VALU_DEP_4)
	v_pk_fma_f32 v[40:41], v[4:5], v[0:1], v[30:31] op_sel:[0,0,1] op_sel_hi:[1,0,0]
	v_pk_fma_f32 v[4:5], v[4:5], v[0:1], v[30:31] op_sel:[0,0,1] op_sel_hi:[1,1,0] neg_lo:[0,0,1] neg_hi:[0,0,1]
	v_pk_add_f32 v[110:111], v[110:111], v[12:13] neg_lo:[0,1] neg_hi:[0,1]
	v_mul_f32_e32 v12, v15, v3
	v_pk_fma_f32 v[18:19], v[18:19], v[64:65], v[28:29] op_sel_hi:[1,1,0]
	ds_load_2addr_b64 v[26:29], v96 offset0:32 offset1:33
	v_mov_b32_e32 v5, v41
	s_wait_dscnt 0x1
	v_pk_mul_f32 v[30:31], v[8:9], v[2:3] op_sel:[0,1]
	v_pk_fma_f32 v[44:45], v[14:15], v[64:65], v[12:13] op_sel_hi:[1,1,0] neg_lo:[0,0,1] neg_hi:[0,0,1]
	v_mov_b32_e32 v45, v19
	v_pk_fma_f32 v[18:19], v[6:7], v[0:1], v[42:43] op_sel:[0,0,1] op_sel_hi:[1,0,0]
	ds_load_2addr_b64 v[12:15], v96 offset0:34 offset1:35
	v_pk_fma_f32 v[6:7], v[6:7], v[0:1], v[42:43] op_sel:[0,0,1] op_sel_hi:[1,1,0] neg_lo:[0,0,1] neg_hi:[0,0,1]
	v_pk_fma_f32 v[40:41], v[8:9], v[0:1], v[30:31] op_sel:[0,0,1] op_sel_hi:[1,0,0]
	v_pk_add_f32 v[128:129], v[128:129], v[4:5] neg_lo:[0,1] neg_hi:[0,1]
	v_mov_b32_e32 v7, v19
	v_pk_mul_f32 v[18:19], v[10:11], v[2:3] op_sel:[0,1]
	v_pk_fma_f32 v[8:9], v[8:9], v[0:1], v[30:31] op_sel:[0,0,1] op_sel_hi:[1,1,0] neg_lo:[0,0,1] neg_hi:[0,0,1]
	v_mov_b32_e32 v9, v41
	v_pk_add_f32 v[106:107], v[106:107], v[44:45] neg_lo:[0,1] neg_hi:[0,1]
	v_pk_add_f32 v[124:125], v[124:125], v[6:7] neg_lo:[0,1] neg_hi:[0,1]
	ds_load_2addr_b64 v[4:7], v96 offset0:36 offset1:37
	v_pk_fma_f32 v[30:31], v[10:11], v[0:1], v[18:19] op_sel:[0,0,1] op_sel_hi:[1,0,0]
	v_pk_fma_f32 v[10:11], v[10:11], v[0:1], v[18:19] op_sel:[0,0,1] op_sel_hi:[1,1,0] neg_lo:[0,0,1] neg_hi:[0,0,1]
	s_wait_dscnt 0x2
	v_mul_f32_e32 v18, v27, v0
	v_pk_add_f32 v[126:127], v[126:127], v[8:9] neg_lo:[0,1] neg_hi:[0,1]
	v_mul_f32_e32 v8, v27, v3
	s_delay_alu instid0(VALU_DEP_3)
	v_pk_fma_f32 v[18:19], v[26:27], v[64:65], v[18:19] op_sel:[1,0,0] op_sel_hi:[0,1,0]
	v_mov_b32_e32 v11, v31
	v_pk_mul_f32 v[30:31], v[28:29], v[2:3] op_sel:[0,1]
	s_wait_dscnt 0x1
	v_pk_mul_f32 v[40:41], v[12:13], v[2:3] op_sel:[0,1]
	v_pk_fma_f32 v[26:27], v[26:27], v[64:65], v[8:9] op_sel_hi:[1,1,0] neg_lo:[0,0,1] neg_hi:[0,0,1]
	v_mov_b32_e32 v27, v19
	v_pk_add_f32 v[122:123], v[122:123], v[10:11] neg_lo:[0,1] neg_hi:[0,1]
	v_pk_fma_f32 v[42:43], v[28:29], v[0:1], v[30:31] op_sel:[0,0,1] op_sel_hi:[1,0,0]
	v_pk_fma_f32 v[18:19], v[28:29], v[0:1], v[30:31] op_sel:[0,0,1] op_sel_hi:[1,1,0] neg_lo:[0,0,1] neg_hi:[0,0,1]
	v_pk_fma_f32 v[28:29], v[12:13], v[0:1], v[40:41] op_sel:[0,0,1] op_sel_hi:[1,0,0]
	v_pk_fma_f32 v[12:13], v[12:13], v[0:1], v[40:41] op_sel:[0,0,1] op_sel_hi:[1,1,0] neg_lo:[0,0,1] neg_hi:[0,0,1]
	ds_load_2addr_b64 v[8:11], v96 offset0:38 offset1:39
	v_pk_mul_f32 v[30:31], v[14:15], v[2:3] op_sel:[0,1]
	v_pk_add_f32 v[144:145], v[144:145], v[26:27] neg_lo:[0,1] neg_hi:[0,1]
	v_mov_b32_e32 v13, v29
	s_wait_dscnt 0x1
	v_pk_mul_f32 v[28:29], v[4:5], v[2:3] op_sel:[0,1]
	s_delay_alu instid0(VALU_DEP_2) | instskip(NEXT) | instid1(VALU_DEP_2)
	v_pk_add_f32 v[142:143], v[142:143], v[12:13] neg_lo:[0,1] neg_hi:[0,1]
	v_pk_fma_f32 v[26:27], v[4:5], v[0:1], v[28:29] op_sel:[0,0,1] op_sel_hi:[1,0,0]
	v_mov_b32_e32 v19, v43
	v_pk_fma_f32 v[4:5], v[4:5], v[0:1], v[28:29] op_sel:[0,0,1] op_sel_hi:[1,1,0] neg_lo:[0,0,1] neg_hi:[0,0,1]
	v_dual_mul_f32 v26, v7, v0 :: v_dual_mul_f32 v28, v7, v3
	s_delay_alu instid0(VALU_DEP_4) | instskip(NEXT) | instid1(VALU_DEP_4)
	v_mov_b32_e32 v5, v27
	v_pk_add_f32 v[140:141], v[140:141], v[18:19] neg_lo:[0,1] neg_hi:[0,1]
	v_pk_fma_f32 v[18:19], v[14:15], v[0:1], v[30:31] op_sel:[0,0,1] op_sel_hi:[1,0,0]
	v_pk_fma_f32 v[30:31], v[14:15], v[0:1], v[30:31] op_sel:[0,0,1] op_sel_hi:[1,1,0] neg_lo:[0,0,1] neg_hi:[0,0,1]
	ds_load_2addr_b64 v[12:15], v96 offset0:40 offset1:41
	v_mov_b32_e32 v18, v7
	s_wait_dscnt 0x1
	v_pk_mul_f32 v[40:41], v[8:9], v[2:3] op_sel:[0,1]
	v_dual_mov_b32 v31, v19 :: v_dual_mov_b32 v19, v6
	v_pk_add_f32 v[162:163], v[162:163], v[4:5] neg_lo:[0,1] neg_hi:[0,1]
	v_pk_mul_f32 v[42:43], v[10:11], v[2:3] op_sel:[0,1]
	s_delay_alu instid0(VALU_DEP_3) | instskip(NEXT) | instid1(VALU_DEP_4)
	v_pk_add_f32 v[138:139], v[138:139], v[30:31] neg_lo:[0,1] neg_hi:[0,1]
	v_pk_fma_f32 v[18:19], v[18:19], v[64:65], v[26:27] op_sel_hi:[1,1,0]
	v_pk_fma_f32 v[30:31], v[6:7], v[64:65], v[28:29] op_sel_hi:[1,1,0] neg_lo:[0,0,1] neg_hi:[0,0,1]
	ds_load_2addr_b64 v[4:7], v96 offset0:42 offset1:43
	v_pk_fma_f32 v[26:27], v[8:9], v[0:1], v[40:41] op_sel:[0,0,1] op_sel_hi:[1,0,0]
	v_pk_fma_f32 v[8:9], v[8:9], v[0:1], v[40:41] op_sel:[0,0,1] op_sel_hi:[1,1,0] neg_lo:[0,0,1] neg_hi:[0,0,1]
	v_mov_b32_e32 v31, v19
	v_pk_fma_f32 v[18:19], v[10:11], v[0:1], v[42:43] op_sel:[0,0,1] op_sel_hi:[1,0,0]
	v_pk_fma_f32 v[10:11], v[10:11], v[0:1], v[42:43] op_sel:[0,0,1] op_sel_hi:[1,1,0] neg_lo:[0,0,1] neg_hi:[0,0,1]
	v_mov_b32_e32 v9, v27
	ds_load_2addr_b64 v[26:29], v96 offset0:44 offset1:45
	v_pk_add_f32 v[158:159], v[158:159], v[30:31] neg_lo:[0,1] neg_hi:[0,1]
	s_wait_dscnt 0x2
	v_pk_mul_f32 v[40:41], v[12:13], v[2:3] op_sel:[0,1]
	v_pk_mul_f32 v[42:43], v[14:15], v[2:3] op_sel:[0,1]
	v_mov_b32_e32 v11, v19
	v_pk_add_f32 v[160:161], v[160:161], v[8:9] neg_lo:[0,1] neg_hi:[0,1]
	s_delay_alu instid0(VALU_DEP_4) | instskip(NEXT) | instid1(VALU_DEP_4)
	v_pk_fma_f32 v[18:19], v[12:13], v[0:1], v[40:41] op_sel:[0,0,1] op_sel_hi:[1,0,0]
	v_pk_fma_f32 v[8:9], v[14:15], v[0:1], v[42:43] op_sel:[0,0,1] op_sel_hi:[1,0,0]
	v_pk_fma_f32 v[12:13], v[12:13], v[0:1], v[40:41] op_sel:[0,0,1] op_sel_hi:[1,1,0] neg_lo:[0,0,1] neg_hi:[0,0,1]
	v_pk_fma_f32 v[14:15], v[14:15], v[0:1], v[42:43] op_sel:[0,0,1] op_sel_hi:[1,1,0] neg_lo:[0,0,1] neg_hi:[0,0,1]
	s_delay_alu instid0(VALU_DEP_4)
	v_mov_b32_e32 v13, v19
	v_pk_add_f32 v[156:157], v[156:157], v[10:11] neg_lo:[0,1] neg_hi:[0,1]
	v_mov_b32_e32 v15, v9
	ds_load_2addr_b64 v[8:11], v96 offset0:46 offset1:47
	s_wait_dscnt 0x2
	v_mul_f32_e32 v18, v5, v0
	v_pk_add_f32 v[180:181], v[180:181], v[12:13] neg_lo:[0,1] neg_hi:[0,1]
	v_mul_f32_e32 v12, v5, v3
	v_pk_add_f32 v[176:177], v[176:177], v[14:15] neg_lo:[0,1] neg_hi:[0,1]
	v_pk_mul_f32 v[30:31], v[6:7], v[2:3] op_sel:[0,1]
	v_pk_fma_f32 v[18:19], v[4:5], v[64:65], v[18:19] op_sel:[1,0,0] op_sel_hi:[0,1,0]
	s_wait_dscnt 0x1
	v_pk_mul_f32 v[40:41], v[26:27], v[2:3] op_sel:[0,1]
	v_pk_fma_f32 v[4:5], v[4:5], v[64:65], v[12:13] op_sel_hi:[1,1,0] neg_lo:[0,0,1] neg_hi:[0,0,1]
	ds_load_2addr_b64 v[12:15], v96 offset0:48 offset1:49
	v_pk_fma_f32 v[42:43], v[6:7], v[0:1], v[30:31] op_sel:[0,0,1] op_sel_hi:[1,0,0]
	v_mov_b32_e32 v5, v19
	v_pk_fma_f32 v[18:19], v[26:27], v[0:1], v[40:41] op_sel:[0,0,1] op_sel_hi:[1,0,0]
	v_pk_fma_f32 v[6:7], v[6:7], v[0:1], v[30:31] op_sel:[0,0,1] op_sel_hi:[1,1,0] neg_lo:[0,0,1] neg_hi:[0,0,1]
	v_pk_mul_f32 v[30:31], v[28:29], v[2:3] op_sel:[0,1]
	v_mov_b32_e32 v7, v43
	v_pk_fma_f32 v[26:27], v[26:27], v[0:1], v[40:41] op_sel:[0,0,1] op_sel_hi:[1,1,0] neg_lo:[0,0,1] neg_hi:[0,0,1]
	v_pk_add_f32 v[178:179], v[178:179], v[4:5] neg_lo:[0,1] neg_hi:[0,1]
	s_delay_alu instid0(VALU_DEP_4)
	v_pk_fma_f32 v[4:5], v[28:29], v[0:1], v[30:31] op_sel:[0,0,1] op_sel_hi:[1,0,0]
	v_mov_b32_e32 v27, v19
	s_wait_dscnt 0x1
	v_pk_mul_f32 v[18:19], v[8:9], v[2:3] op_sel:[0,1]
	v_pk_add_f32 v[174:175], v[174:175], v[6:7] neg_lo:[0,1] neg_hi:[0,1]
	v_pk_fma_f32 v[6:7], v[28:29], v[0:1], v[30:31] op_sel:[0,0,1] op_sel_hi:[1,1,0] neg_lo:[0,0,1] neg_hi:[0,0,1]
	v_mov_b32_e32 v7, v5
	v_pk_add_f32 v[196:197], v[196:197], v[26:27] neg_lo:[0,1] neg_hi:[0,1]
	v_pk_fma_f32 v[4:5], v[8:9], v[0:1], v[18:19] op_sel:[0,0,1] op_sel_hi:[1,1,0] neg_lo:[0,0,1] neg_hi:[0,0,1]
	v_pk_fma_f32 v[8:9], v[8:9], v[0:1], v[18:19] op_sel:[0,0,1] op_sel_hi:[1,0,0]
	v_dual_mov_b32 v26, v11 :: v_dual_mov_b32 v27, v10
	v_dual_mul_f32 v28, v11, v0 :: v_dual_mul_f32 v8, v11, v3
	s_wait_dscnt 0x0
	v_pk_mul_f32 v[18:19], v[12:13], v[2:3] op_sel:[0,1]
	v_pk_mul_f32 v[2:3], v[14:15], v[2:3] op_sel:[0,1]
	v_pk_add_f32 v[192:193], v[192:193], v[6:7] neg_lo:[0,1] neg_hi:[0,1]
	v_pk_fma_f32 v[26:27], v[26:27], v[64:65], v[28:29] op_sel_hi:[1,1,0]
	v_mov_b32_e32 v5, v9
	v_pk_fma_f32 v[28:29], v[12:13], v[0:1], v[18:19] op_sel:[0,0,1] op_sel_hi:[1,0,0]
	v_pk_fma_f32 v[8:9], v[10:11], v[64:65], v[8:9] op_sel_hi:[1,1,0] neg_lo:[0,0,1] neg_hi:[0,0,1]
	v_pk_fma_f32 v[10:11], v[14:15], v[0:1], v[2:3] op_sel:[0,0,1] op_sel_hi:[1,0,0]
	v_pk_fma_f32 v[12:13], v[12:13], v[0:1], v[18:19] op_sel:[0,0,1] op_sel_hi:[1,1,0] neg_lo:[0,0,1] neg_hi:[0,0,1]
	v_pk_fma_f32 v[0:1], v[14:15], v[0:1], v[2:3] op_sel:[0,0,1] op_sel_hi:[1,1,0] neg_lo:[0,0,1] neg_hi:[0,0,1]
	v_dual_mov_b32 v9, v27 :: v_dual_mov_b32 v13, v29
	s_delay_alu instid0(VALU_DEP_4) | instskip(SKIP_1) | instid1(VALU_DEP_3)
	v_mov_b32_e32 v1, v11
	v_pk_add_f32 v[194:195], v[194:195], v[4:5] neg_lo:[0,1] neg_hi:[0,1]
	v_pk_add_f32 v[190:191], v[190:191], v[8:9] neg_lo:[0,1] neg_hi:[0,1]
	s_delay_alu instid0(VALU_DEP_4) | instskip(NEXT) | instid1(VALU_DEP_4)
	v_pk_add_f32 v[198:199], v[198:199], v[12:13] neg_lo:[0,1] neg_hi:[0,1]
	v_pk_add_f32 v[200:201], v[200:201], v[0:1] neg_lo:[0,1] neg_hi:[0,1]
.LBB99_37:
	s_wait_xcnt 0x0
	s_or_b32 exec_lo, exec_lo, s1
	s_delay_alu instid0(SALU_CYCLE_1)
	s_mov_b32 s2, exec_lo
	s_wait_storecnt 0x0
	s_barrier_signal -1
	s_barrier_wait -1
	v_cmpx_eq_u32_e32 4, v86
	s_cbranch_execz .LBB99_44
; %bb.38:
	ds_store_b64 v87, v[68:69]
	ds_store_2addr_b64 v96, v[22:23], v[24:25] offset0:5 offset1:6
	ds_store_2addr_b64 v96, v[20:21], v[38:39] offset0:7 offset1:8
	;; [unrolled: 1-line block ×22, first 2 shown]
	ds_store_b64 v96, v[200:201] offset:392
	ds_load_b64 v[0:1], v87
	s_wait_dscnt 0x0
	v_cmp_neq_f32_e32 vcc_lo, 0, v0
	v_cmp_neq_f32_e64 s1, 0, v1
	s_or_b32 s1, vcc_lo, s1
	s_delay_alu instid0(SALU_CYCLE_1)
	s_and_b32 exec_lo, exec_lo, s1
	s_cbranch_execz .LBB99_44
; %bb.39:
	v_cmp_ngt_f32_e64 s1, |v0|, |v1|
                                        ; implicit-def: $vgpr2_vgpr3
	s_and_saveexec_b32 s4, s1
	s_delay_alu instid0(SALU_CYCLE_1)
	s_xor_b32 s1, exec_lo, s4
	s_cbranch_execz .LBB99_41
; %bb.40:
	v_div_scale_f32 v2, null, v1, v1, v0
	v_div_scale_f32 v5, vcc_lo, v0, v1, v0
	s_delay_alu instid0(VALU_DEP_2) | instskip(SKIP_1) | instid1(TRANS32_DEP_1)
	v_rcp_f32_e32 v3, v2
	v_nop
	v_fma_f32 v4, -v2, v3, 1.0
	s_delay_alu instid0(VALU_DEP_1) | instskip(NEXT) | instid1(VALU_DEP_1)
	v_fmac_f32_e32 v3, v4, v3
	v_mul_f32_e32 v4, v5, v3
	s_delay_alu instid0(VALU_DEP_1) | instskip(NEXT) | instid1(VALU_DEP_1)
	v_fma_f32 v6, -v2, v4, v5
	v_fmac_f32_e32 v4, v6, v3
	s_delay_alu instid0(VALU_DEP_1) | instskip(NEXT) | instid1(VALU_DEP_1)
	v_fma_f32 v2, -v2, v4, v5
	v_div_fmas_f32 v2, v2, v3, v4
	s_delay_alu instid0(VALU_DEP_1) | instskip(NEXT) | instid1(VALU_DEP_1)
	v_div_fixup_f32 v2, v2, v1, v0
	v_fmac_f32_e32 v1, v0, v2
	s_delay_alu instid0(VALU_DEP_1) | instskip(SKIP_1) | instid1(VALU_DEP_2)
	v_div_scale_f32 v0, null, v1, v1, 1.0
	v_div_scale_f32 v5, vcc_lo, 1.0, v1, 1.0
	v_rcp_f32_e32 v3, v0
	v_nop
	s_delay_alu instid0(TRANS32_DEP_1) | instskip(NEXT) | instid1(VALU_DEP_1)
	v_fma_f32 v4, -v0, v3, 1.0
	v_fmac_f32_e32 v3, v4, v3
	s_delay_alu instid0(VALU_DEP_1) | instskip(NEXT) | instid1(VALU_DEP_1)
	v_mul_f32_e32 v4, v5, v3
	v_fma_f32 v6, -v0, v4, v5
	s_delay_alu instid0(VALU_DEP_1) | instskip(NEXT) | instid1(VALU_DEP_1)
	v_fmac_f32_e32 v4, v6, v3
	v_fma_f32 v0, -v0, v4, v5
	s_delay_alu instid0(VALU_DEP_1) | instskip(NEXT) | instid1(VALU_DEP_1)
	v_div_fmas_f32 v0, v0, v3, v4
	v_div_fixup_f32 v0, v0, v1, 1.0
	s_delay_alu instid0(VALU_DEP_1)
	v_mul_f32_e32 v2, v2, v0
	v_xor_b32_e32 v3, 0x80000000, v0
                                        ; implicit-def: $vgpr0_vgpr1
.LBB99_41:
	s_and_not1_saveexec_b32 s1, s1
	s_cbranch_execz .LBB99_43
; %bb.42:
	v_div_scale_f32 v2, null, v0, v0, v1
	v_div_scale_f32 v5, vcc_lo, v1, v0, v1
	s_delay_alu instid0(VALU_DEP_2) | instskip(SKIP_1) | instid1(TRANS32_DEP_1)
	v_rcp_f32_e32 v3, v2
	v_nop
	v_fma_f32 v4, -v2, v3, 1.0
	s_delay_alu instid0(VALU_DEP_1) | instskip(NEXT) | instid1(VALU_DEP_1)
	v_fmac_f32_e32 v3, v4, v3
	v_mul_f32_e32 v4, v5, v3
	s_delay_alu instid0(VALU_DEP_1) | instskip(NEXT) | instid1(VALU_DEP_1)
	v_fma_f32 v6, -v2, v4, v5
	v_fmac_f32_e32 v4, v6, v3
	s_delay_alu instid0(VALU_DEP_1) | instskip(NEXT) | instid1(VALU_DEP_1)
	v_fma_f32 v2, -v2, v4, v5
	v_div_fmas_f32 v2, v2, v3, v4
	s_delay_alu instid0(VALU_DEP_1) | instskip(NEXT) | instid1(VALU_DEP_1)
	v_div_fixup_f32 v3, v2, v0, v1
	v_fmac_f32_e32 v0, v1, v3
	s_delay_alu instid0(VALU_DEP_1) | instskip(NEXT) | instid1(VALU_DEP_1)
	v_div_scale_f32 v1, null, v0, v0, 1.0
	v_rcp_f32_e32 v2, v1
	v_nop
	s_delay_alu instid0(TRANS32_DEP_1) | instskip(NEXT) | instid1(VALU_DEP_1)
	v_fma_f32 v4, -v1, v2, 1.0
	v_fmac_f32_e32 v2, v4, v2
	v_div_scale_f32 v4, vcc_lo, 1.0, v0, 1.0
	s_delay_alu instid0(VALU_DEP_1) | instskip(NEXT) | instid1(VALU_DEP_1)
	v_mul_f32_e32 v5, v4, v2
	v_fma_f32 v6, -v1, v5, v4
	s_delay_alu instid0(VALU_DEP_1) | instskip(NEXT) | instid1(VALU_DEP_1)
	v_fmac_f32_e32 v5, v6, v2
	v_fma_f32 v1, -v1, v5, v4
	s_delay_alu instid0(VALU_DEP_1) | instskip(NEXT) | instid1(VALU_DEP_1)
	v_div_fmas_f32 v1, v1, v2, v5
	v_div_fixup_f32 v2, v1, v0, 1.0
	s_delay_alu instid0(VALU_DEP_1)
	v_mul_f32_e64 v3, v3, -v2
.LBB99_43:
	s_or_b32 exec_lo, exec_lo, s1
	ds_store_b64 v87, v[2:3]
.LBB99_44:
	s_or_b32 exec_lo, exec_lo, s2
	s_wait_dscnt 0x0
	s_barrier_signal -1
	s_barrier_wait -1
	ds_load_b64 v[0:1], v87
	s_mov_b32 s1, exec_lo
	s_wait_dscnt 0x0
	scratch_store_b64 off, v[0:1], off offset:40 ; 8-byte Folded Spill
	s_wait_xcnt 0x0
	v_cmpx_lt_u32_e32 4, v86
	s_cbranch_execz .LBB99_46
; %bb.45:
	ds_load_2addr_b64 v[4:7], v96 offset0:5 offset1:6
	ds_load_2addr_b64 v[8:11], v96 offset0:7 offset1:8
	;; [unrolled: 1-line block ×3, first 2 shown]
	scratch_load_b64 v[18:19], off, off offset:40 ; 8-byte Folded Reload
	ds_load_2addr_b64 v[26:29], v96 offset0:11 offset1:12
	ds_load_2addr_b64 v[40:43], v96 offset0:13 offset1:14
	s_wait_dscnt 0x3
	v_dual_mov_b32 v46, v11 :: v_dual_mov_b32 v47, v10
	s_wait_loadcnt 0x0
	v_pk_mul_f32 v[2:3], v[18:19], v[68:69] op_sel:[1,1] op_sel_hi:[0,1]
	s_delay_alu instid0(VALU_DEP_1) | instskip(SKIP_1) | instid1(VALU_DEP_1)
	v_pk_fma_f32 v[0:1], v[18:19], v[68:69], v[2:3] op_sel_hi:[1,0,1] neg_lo:[0,0,1] neg_hi:[0,0,1]
	v_pk_fma_f32 v[2:3], v[18:19], v[68:69], v[2:3] op_sel_hi:[1,0,1]
	v_dual_mov_b32 v68, v0 :: v_dual_mov_b32 v69, v3
	s_delay_alu instid0(VALU_DEP_2)
	v_pk_mul_f32 v[18:19], v[4:5], v[2:3] op_sel:[0,1]
	v_pk_mul_f32 v[30:31], v[6:7], v[2:3] op_sel:[0,1]
	;; [unrolled: 1-line block ×3, first 2 shown]
	s_wait_dscnt 0x2
	v_pk_mul_f32 v[60:61], v[12:13], v[2:3] op_sel:[0,1]
	v_dual_mul_f32 v56, v11, v3 :: v_dual_mul_f32 v58, v11, v0
	v_pk_fma_f32 v[80:81], v[4:5], v[0:1], v[18:19] op_sel:[0,0,1] op_sel_hi:[1,1,0] neg_lo:[0,0,1] neg_hi:[0,0,1]
	v_pk_fma_f32 v[4:5], v[4:5], v[0:1], v[18:19] op_sel:[0,0,1] op_sel_hi:[1,0,0]
	v_pk_mul_f32 v[62:63], v[14:15], v[2:3] op_sel:[0,1]
	v_pk_fma_f32 v[18:19], v[6:7], v[0:1], v[30:31] op_sel:[0,0,1] op_sel_hi:[1,1,0] neg_lo:[0,0,1] neg_hi:[0,0,1]
	v_pk_fma_f32 v[6:7], v[6:7], v[0:1], v[30:31] op_sel:[0,0,1] op_sel_hi:[1,0,0]
	v_pk_fma_f32 v[30:31], v[8:9], v[0:1], v[44:45] op_sel:[0,0,1] op_sel_hi:[1,1,0] neg_lo:[0,0,1] neg_hi:[0,0,1]
	v_pk_fma_f32 v[8:9], v[8:9], v[0:1], v[44:45] op_sel:[0,0,1] op_sel_hi:[1,0,0]
	v_mov_b32_e32 v81, v5
	v_pk_fma_f32 v[4:5], v[12:13], v[0:1], v[60:61] op_sel:[0,0,1] op_sel_hi:[1,0,0]
	v_pk_fma_f32 v[44:45], v[46:47], v[68:69], v[58:59] op_sel_hi:[1,1,0]
	v_pk_fma_f32 v[46:47], v[12:13], v[0:1], v[60:61] op_sel:[0,0,1] op_sel_hi:[1,1,0] neg_lo:[0,0,1] neg_hi:[0,0,1]
	v_dual_mov_b32 v19, v7 :: v_dual_mov_b32 v31, v9
	v_pk_fma_f32 v[8:9], v[14:15], v[0:1], v[62:63] op_sel:[0,0,1] op_sel_hi:[1,0,0]
	v_mov_b32_e32 v47, v5
	s_wait_dscnt 0x1
	v_pk_mul_f32 v[12:13], v[26:27], v[2:3] op_sel:[0,1]
	ds_load_2addr_b64 v[4:7], v96 offset0:15 offset1:16
	v_pk_fma_f32 v[10:11], v[10:11], v[68:69], v[56:57] op_sel_hi:[1,1,0] neg_lo:[0,0,1] neg_hi:[0,0,1]
	v_pk_fma_f32 v[14:15], v[14:15], v[0:1], v[62:63] op_sel:[0,0,1] op_sel_hi:[1,1,0] neg_lo:[0,0,1] neg_hi:[0,0,1]
	v_mov_b32_e32 v11, v45
	v_pk_add_f32 v[24:25], v[24:25], v[18:19] neg_lo:[0,1] neg_hi:[0,1]
	v_mov_b32_e32 v15, v9
	v_pk_mul_f32 v[18:19], v[28:29], v[2:3] op_sel:[0,1]
	v_pk_fma_f32 v[8:9], v[26:27], v[0:1], v[12:13] op_sel:[0,0,1] op_sel_hi:[1,0,0]
	v_pk_fma_f32 v[12:13], v[26:27], v[0:1], v[12:13] op_sel:[0,0,1] op_sel_hi:[1,1,0] neg_lo:[0,0,1] neg_hi:[0,0,1]
	v_pk_add_f32 v[38:39], v[38:39], v[10:11] neg_lo:[0,1] neg_hi:[0,1]
	v_pk_add_f32 v[36:37], v[36:37], v[14:15] neg_lo:[0,1] neg_hi:[0,1]
	v_pk_fma_f32 v[14:15], v[28:29], v[0:1], v[18:19] op_sel:[0,0,1] op_sel_hi:[1,0,0]
	v_mov_b32_e32 v13, v9
	ds_load_2addr_b64 v[8:11], v96 offset0:17 offset1:18
	v_pk_fma_f32 v[18:19], v[28:29], v[0:1], v[18:19] op_sel:[0,0,1] op_sel_hi:[1,1,0] neg_lo:[0,0,1] neg_hi:[0,0,1]
	s_wait_dscnt 0x2
	v_dual_mul_f32 v14, v41, v0 :: v_dual_mul_f32 v26, v41, v3
	v_mov_b32_e32 v19, v15
	v_pk_add_f32 v[32:33], v[32:33], v[12:13] neg_lo:[0,1] neg_hi:[0,1]
	v_pk_mul_f32 v[12:13], v[42:43], v[2:3] op_sel:[0,1]
	s_delay_alu instid0(VALU_DEP_4)
	v_pk_fma_f32 v[14:15], v[40:41], v[68:69], v[14:15] op_sel:[1,0,0] op_sel_hi:[0,1,0]
	v_pk_fma_f32 v[26:27], v[40:41], v[68:69], v[26:27] op_sel_hi:[1,1,0] neg_lo:[0,0,1] neg_hi:[0,0,1]
	v_pk_add_f32 v[54:55], v[54:55], v[18:19] neg_lo:[0,1] neg_hi:[0,1]
	s_wait_dscnt 0x1
	v_pk_mul_f32 v[18:19], v[4:5], v[2:3] op_sel:[0,1]
	v_pk_add_f32 v[20:21], v[20:21], v[30:31] neg_lo:[0,1] neg_hi:[0,1]
	v_pk_fma_f32 v[28:29], v[42:43], v[0:1], v[12:13] op_sel:[0,0,1] op_sel_hi:[1,0,0]
	v_mov_b32_e32 v27, v15
	v_pk_fma_f32 v[30:31], v[42:43], v[0:1], v[12:13] op_sel:[0,0,1] op_sel_hi:[1,1,0] neg_lo:[0,0,1] neg_hi:[0,0,1]
	v_pk_fma_f32 v[40:41], v[4:5], v[0:1], v[18:19] op_sel:[0,0,1] op_sel_hi:[1,0,0]
	ds_load_2addr_b64 v[12:15], v96 offset0:19 offset1:20
	v_pk_fma_f32 v[4:5], v[4:5], v[0:1], v[18:19] op_sel:[0,0,1] op_sel_hi:[1,1,0] neg_lo:[0,0,1] neg_hi:[0,0,1]
	v_pk_mul_f32 v[18:19], v[6:7], v[2:3] op_sel:[0,1]
	v_mov_b32_e32 v31, v29
	s_wait_dscnt 0x1
	v_pk_mul_f32 v[28:29], v[8:9], v[2:3] op_sel:[0,1]
	v_pk_add_f32 v[50:51], v[50:51], v[26:27] neg_lo:[0,1] neg_hi:[0,1]
	v_pk_add_f32 v[22:23], v[22:23], v[80:81] neg_lo:[0,1] neg_hi:[0,1]
	v_pk_fma_f32 v[26:27], v[6:7], v[0:1], v[18:19] op_sel:[0,0,1] op_sel_hi:[1,0,0]
	v_mov_b32_e32 v5, v41
	v_pk_fma_f32 v[18:19], v[6:7], v[0:1], v[18:19] op_sel:[0,0,1] op_sel_hi:[1,1,0] neg_lo:[0,0,1] neg_hi:[0,0,1]
	v_pk_add_f32 v[52:53], v[52:53], v[30:31] neg_lo:[0,1] neg_hi:[0,1]
	v_pk_fma_f32 v[30:31], v[8:9], v[0:1], v[28:29] op_sel:[0,0,1] op_sel_hi:[1,0,0]
	v_mov_b32_e32 v19, v27
	v_pk_add_f32 v[48:49], v[48:49], v[4:5] neg_lo:[0,1] neg_hi:[0,1]
	ds_load_2addr_b64 v[4:7], v96 offset0:21 offset1:22
	v_pk_fma_f32 v[8:9], v[8:9], v[0:1], v[28:29] op_sel:[0,0,1] op_sel_hi:[1,1,0] neg_lo:[0,0,1] neg_hi:[0,0,1]
	v_dual_mov_b32 v9, v31 :: v_dual_mov_b32 v26, v11
	v_dual_mov_b32 v27, v10 :: v_dual_mul_f32 v28, v11, v0
	v_pk_add_f32 v[78:79], v[78:79], v[18:19] neg_lo:[0,1] neg_hi:[0,1]
	s_delay_alu instid0(VALU_DEP_3)
	v_pk_add_f32 v[74:75], v[74:75], v[8:9] neg_lo:[0,1] neg_hi:[0,1]
	s_wait_dscnt 0x1
	v_pk_mul_f32 v[8:9], v[12:13], v[2:3] op_sel:[0,1]
	v_mul_f32_e32 v18, v11, v3
	v_pk_fma_f32 v[30:31], v[26:27], v[68:69], v[28:29] op_sel_hi:[1,1,0]
	ds_load_2addr_b64 v[26:29], v96 offset0:23 offset1:24
	v_pk_mul_f32 v[40:41], v[14:15], v[2:3] op_sel:[0,1]
	v_pk_fma_f32 v[42:43], v[12:13], v[0:1], v[8:9] op_sel:[0,0,1] op_sel_hi:[1,0,0]
	v_pk_fma_f32 v[18:19], v[10:11], v[68:69], v[18:19] op_sel_hi:[1,1,0] neg_lo:[0,0,1] neg_hi:[0,0,1]
	v_pk_fma_f32 v[12:13], v[12:13], v[0:1], v[8:9] op_sel:[0,0,1] op_sel_hi:[1,1,0] neg_lo:[0,0,1] neg_hi:[0,0,1]
	v_mov_b32_e32 v19, v31
	v_pk_fma_f32 v[30:31], v[14:15], v[0:1], v[40:41] op_sel:[0,0,1] op_sel_hi:[1,0,0]
	v_mov_b32_e32 v13, v43
	v_pk_fma_f32 v[14:15], v[14:15], v[0:1], v[40:41] op_sel:[0,0,1] op_sel_hi:[1,1,0] neg_lo:[0,0,1] neg_hi:[0,0,1]
	s_wait_dscnt 0x1
	v_pk_mul_f32 v[42:43], v[4:5], v[2:3] op_sel:[0,1]
	ds_load_2addr_b64 v[8:11], v96 offset0:25 offset1:26
	v_mov_b32_e32 v15, v31
	v_pk_add_f32 v[76:77], v[76:77], v[18:19] neg_lo:[0,1] neg_hi:[0,1]
	v_pk_mul_f32 v[18:19], v[6:7], v[2:3] op_sel:[0,1]
	v_pk_fma_f32 v[30:31], v[4:5], v[0:1], v[42:43] op_sel:[0,0,1] op_sel_hi:[1,0,0]
	v_pk_fma_f32 v[4:5], v[4:5], v[0:1], v[42:43] op_sel:[0,0,1] op_sel_hi:[1,1,0] neg_lo:[0,0,1] neg_hi:[0,0,1]
	v_pk_add_f32 v[72:73], v[72:73], v[12:13] neg_lo:[0,1] neg_hi:[0,1]
	v_pk_add_f32 v[34:35], v[34:35], v[46:47] neg_lo:[0,1] neg_hi:[0,1]
	v_pk_fma_f32 v[40:41], v[6:7], v[0:1], v[18:19] op_sel:[0,0,1] op_sel_hi:[1,0,0]
	v_mov_b32_e32 v5, v31
	v_pk_add_f32 v[94:95], v[94:95], v[14:15] neg_lo:[0,1] neg_hi:[0,1]
	ds_load_2addr_b64 v[12:15], v96 offset0:27 offset1:28
	v_pk_fma_f32 v[6:7], v[6:7], v[0:1], v[18:19] op_sel:[0,0,1] op_sel_hi:[1,1,0] neg_lo:[0,0,1] neg_hi:[0,0,1]
	s_wait_dscnt 0x2
	v_dual_mul_f32 v30, v27, v0 :: v_dual_mov_b32 v7, v41
	v_pk_add_f32 v[90:91], v[90:91], v[4:5] neg_lo:[0,1] neg_hi:[0,1]
	v_mul_f32_e32 v4, v27, v3
	s_delay_alu instid0(VALU_DEP_3) | instskip(SKIP_2) | instid1(VALU_DEP_4)
	v_pk_fma_f32 v[18:19], v[26:27], v[68:69], v[30:31] op_sel:[1,0,0] op_sel_hi:[0,1,0]
	v_pk_mul_f32 v[30:31], v[28:29], v[2:3] op_sel:[0,1]
	v_pk_add_f32 v[92:93], v[92:93], v[6:7] neg_lo:[0,1] neg_hi:[0,1]
	v_pk_fma_f32 v[26:27], v[26:27], v[68:69], v[4:5] op_sel_hi:[1,1,0] neg_lo:[0,0,1] neg_hi:[0,0,1]
	ds_load_2addr_b64 v[4:7], v96 offset0:29 offset1:30
	s_wait_dscnt 0x2
	v_pk_mul_f32 v[40:41], v[8:9], v[2:3] op_sel:[0,1]
	v_mov_b32_e32 v27, v19
	v_pk_fma_f32 v[18:19], v[28:29], v[0:1], v[30:31] op_sel:[0,0,1] op_sel_hi:[1,0,0]
	v_pk_mul_f32 v[42:43], v[10:11], v[2:3] op_sel:[0,1]
	v_pk_fma_f32 v[28:29], v[28:29], v[0:1], v[30:31] op_sel:[0,0,1] op_sel_hi:[1,1,0] neg_lo:[0,0,1] neg_hi:[0,0,1]
	v_pk_fma_f32 v[44:45], v[8:9], v[0:1], v[40:41] op_sel:[0,0,1] op_sel_hi:[1,0,0]
	v_pk_fma_f32 v[8:9], v[8:9], v[0:1], v[40:41] op_sel:[0,0,1] op_sel_hi:[1,1,0] neg_lo:[0,0,1] neg_hi:[0,0,1]
	v_mov_b32_e32 v29, v19
	v_pk_fma_f32 v[18:19], v[10:11], v[0:1], v[42:43] op_sel:[0,0,1] op_sel_hi:[1,0,0]
	s_wait_dscnt 0x1
	v_pk_mul_f32 v[30:31], v[12:13], v[2:3] op_sel:[0,1]
	v_pk_fma_f32 v[10:11], v[10:11], v[0:1], v[42:43] op_sel:[0,0,1] op_sel_hi:[1,1,0] neg_lo:[0,0,1] neg_hi:[0,0,1]
	v_mov_b32_e32 v9, v45
	v_pk_add_f32 v[88:89], v[88:89], v[26:27] neg_lo:[0,1] neg_hi:[0,1]
	v_mov_b32_e32 v11, v19
	v_pk_fma_f32 v[18:19], v[12:13], v[0:1], v[30:31] op_sel:[0,0,1] op_sel_hi:[1,0,0]
	v_pk_fma_f32 v[12:13], v[12:13], v[0:1], v[30:31] op_sel:[0,0,1] op_sel_hi:[1,1,0] neg_lo:[0,0,1] neg_hi:[0,0,1]
	v_pk_add_f32 v[108:109], v[108:109], v[8:9] neg_lo:[0,1] neg_hi:[0,1]
	v_mov_b32_e32 v18, v15
	v_pk_add_f32 v[110:111], v[110:111], v[10:11] neg_lo:[0,1] neg_hi:[0,1]
	v_mov_b32_e32 v13, v19
	s_wait_dscnt 0x0
	v_pk_mul_f32 v[40:41], v[4:5], v[2:3] op_sel:[0,1]
	ds_load_2addr_b64 v[8:11], v96 offset0:31 offset1:32
	v_dual_mov_b32 v19, v14 :: v_dual_mul_f32 v30, v15, v0
	v_pk_add_f32 v[112:113], v[112:113], v[28:29] neg_lo:[0,1] neg_hi:[0,1]
	ds_load_2addr_b64 v[26:29], v96 offset0:33 offset1:34
	v_pk_mul_f32 v[44:45], v[6:7], v[2:3] op_sel:[0,1]
	v_pk_add_f32 v[106:107], v[106:107], v[12:13] neg_lo:[0,1] neg_hi:[0,1]
	v_pk_fma_f32 v[12:13], v[4:5], v[0:1], v[40:41] op_sel:[0,0,1] op_sel_hi:[1,0,0]
	v_mul_f32_e32 v42, v15, v3
	v_pk_fma_f32 v[18:19], v[18:19], v[68:69], v[30:31] op_sel_hi:[1,1,0]
	v_pk_fma_f32 v[30:31], v[6:7], v[0:1], v[44:45] op_sel:[0,0,1] op_sel_hi:[1,0,0]
	s_delay_alu instid0(VALU_DEP_3) | instskip(NEXT) | instid1(VALU_DEP_3)
	v_pk_fma_f32 v[14:15], v[14:15], v[68:69], v[42:43] op_sel_hi:[1,1,0] neg_lo:[0,0,1] neg_hi:[0,0,1]
	v_mov_b32_e32 v15, v19
	v_pk_fma_f32 v[18:19], v[4:5], v[0:1], v[40:41] op_sel:[0,0,1] op_sel_hi:[1,1,0] neg_lo:[0,0,1] neg_hi:[0,0,1]
	v_mov_b32_e32 v19, v13
	v_pk_fma_f32 v[12:13], v[6:7], v[0:1], v[44:45] op_sel:[0,0,1] op_sel_hi:[1,1,0] neg_lo:[0,0,1] neg_hi:[0,0,1]
	v_mov_b32_e32 v13, v31
	ds_load_2addr_b64 v[4:7], v96 offset0:35 offset1:36
	v_pk_add_f32 v[128:129], v[128:129], v[14:15] neg_lo:[0,1] neg_hi:[0,1]
	s_wait_dscnt 0x2
	v_pk_mul_f32 v[30:31], v[8:9], v[2:3] op_sel:[0,1]
	v_pk_add_f32 v[124:125], v[124:125], v[18:19] neg_lo:[0,1] neg_hi:[0,1]
	v_pk_add_f32 v[126:127], v[126:127], v[12:13] neg_lo:[0,1] neg_hi:[0,1]
	ds_load_2addr_b64 v[12:15], v96 offset0:37 offset1:38
	v_pk_mul_f32 v[18:19], v[10:11], v[2:3] op_sel:[0,1]
	s_wait_dscnt 0x2
	v_mul_f32_e32 v42, v27, v0
	v_pk_fma_f32 v[40:41], v[8:9], v[0:1], v[30:31] op_sel:[0,0,1] op_sel_hi:[1,1,0] neg_lo:[0,0,1] neg_hi:[0,0,1]
	v_pk_fma_f32 v[8:9], v[8:9], v[0:1], v[30:31] op_sel:[0,0,1] op_sel_hi:[1,0,0]
	v_mul_f32_e32 v8, v27, v3
	v_pk_fma_f32 v[30:31], v[10:11], v[0:1], v[18:19] op_sel:[0,0,1] op_sel_hi:[1,0,0]
	v_pk_fma_f32 v[42:43], v[26:27], v[68:69], v[42:43] op_sel:[1,0,0] op_sel_hi:[0,1,0]
	v_pk_fma_f32 v[10:11], v[10:11], v[0:1], v[18:19] op_sel:[0,0,1] op_sel_hi:[1,1,0] neg_lo:[0,0,1] neg_hi:[0,0,1]
	v_pk_mul_f32 v[18:19], v[28:29], v[2:3] op_sel:[0,1]
	s_delay_alu instid0(VALU_DEP_4) | instskip(SKIP_1) | instid1(VALU_DEP_3)
	v_dual_mov_b32 v41, v9 :: v_dual_mov_b32 v11, v31
	v_pk_fma_f32 v[8:9], v[26:27], v[68:69], v[8:9] op_sel_hi:[1,1,0] neg_lo:[0,0,1] neg_hi:[0,0,1]
	v_pk_fma_f32 v[30:31], v[28:29], v[0:1], v[18:19] op_sel:[0,0,1] op_sel_hi:[1,0,0]
	v_mov_b32_e32 v9, v43
	s_wait_dscnt 0x1
	v_pk_mul_f32 v[26:27], v[4:5], v[2:3] op_sel:[0,1]
	v_pk_fma_f32 v[18:19], v[28:29], v[0:1], v[18:19] op_sel:[0,0,1] op_sel_hi:[1,1,0] neg_lo:[0,0,1] neg_hi:[0,0,1]
	v_pk_add_f32 v[144:145], v[144:145], v[10:11] neg_lo:[0,1] neg_hi:[0,1]
	v_mov_b32_e32 v19, v31
	v_pk_add_f32 v[140:141], v[140:141], v[8:9] neg_lo:[0,1] neg_hi:[0,1]
	v_pk_fma_f32 v[28:29], v[4:5], v[0:1], v[26:27] op_sel:[0,0,1] op_sel_hi:[1,0,0]
	ds_load_2addr_b64 v[8:11], v96 offset0:39 offset1:40
	s_wait_dscnt 0x1
	v_pk_mul_f32 v[30:31], v[12:13], v[2:3] op_sel:[0,1]
	v_pk_fma_f32 v[4:5], v[4:5], v[0:1], v[26:27] op_sel:[0,0,1] op_sel_hi:[1,1,0] neg_lo:[0,0,1] neg_hi:[0,0,1]
	v_pk_add_f32 v[142:143], v[142:143], v[18:19] neg_lo:[0,1] neg_hi:[0,1]
	v_pk_add_f32 v[122:123], v[122:123], v[40:41] neg_lo:[0,1] neg_hi:[0,1]
	v_pk_mul_f32 v[40:41], v[6:7], v[2:3] op_sel:[0,1]
	v_pk_fma_f32 v[18:19], v[12:13], v[0:1], v[30:31] op_sel:[0,0,1] op_sel_hi:[1,0,0]
	v_mov_b32_e32 v5, v29
	ds_load_2addr_b64 v[26:29], v96 offset0:41 offset1:42
	v_mul_f32_e32 v18, v15, v3
	v_pk_fma_f32 v[42:43], v[6:7], v[0:1], v[40:41] op_sel:[0,0,1] op_sel_hi:[1,0,0]
	v_pk_add_f32 v[138:139], v[138:139], v[4:5] neg_lo:[0,1] neg_hi:[0,1]
	v_pk_fma_f32 v[4:5], v[6:7], v[0:1], v[40:41] op_sel:[0,0,1] op_sel_hi:[1,1,0] neg_lo:[0,0,1] neg_hi:[0,0,1]
	v_pk_fma_f32 v[6:7], v[12:13], v[0:1], v[30:31] op_sel:[0,0,1] op_sel_hi:[1,1,0] neg_lo:[0,0,1] neg_hi:[0,0,1]
	s_delay_alu instid0(VALU_DEP_4)
	v_dual_mov_b32 v5, v43 :: v_dual_mov_b32 v12, v15
	v_dual_mov_b32 v7, v19 :: v_dual_mov_b32 v13, v14
	v_mul_f32_e32 v30, v15, v0
	s_wait_dscnt 0x1
	v_pk_mul_f32 v[40:41], v[8:9], v[2:3] op_sel:[0,1]
	v_pk_add_f32 v[162:163], v[162:163], v[4:5] neg_lo:[0,1] neg_hi:[0,1]
	v_pk_add_f32 v[158:159], v[158:159], v[6:7] neg_lo:[0,1] neg_hi:[0,1]
	ds_load_2addr_b64 v[4:7], v96 offset0:43 offset1:44
	v_pk_fma_f32 v[14:15], v[14:15], v[68:69], v[18:19] op_sel_hi:[1,1,0] neg_lo:[0,0,1] neg_hi:[0,0,1]
	v_pk_fma_f32 v[12:13], v[12:13], v[68:69], v[30:31] op_sel_hi:[1,1,0]
	v_pk_mul_f32 v[18:19], v[10:11], v[2:3] op_sel:[0,1]
	v_pk_fma_f32 v[30:31], v[8:9], v[0:1], v[40:41] op_sel:[0,0,1] op_sel_hi:[1,0,0]
	s_wait_dscnt 0x1
	v_pk_mul_f32 v[42:43], v[26:27], v[2:3] op_sel:[0,1]
	v_mov_b32_e32 v15, v13
	v_pk_fma_f32 v[12:13], v[8:9], v[0:1], v[40:41] op_sel:[0,0,1] op_sel_hi:[1,1,0] neg_lo:[0,0,1] neg_hi:[0,0,1]
	v_pk_fma_f32 v[40:41], v[10:11], v[0:1], v[18:19] op_sel:[0,0,1] op_sel_hi:[1,0,0]
	v_pk_fma_f32 v[18:19], v[10:11], v[0:1], v[18:19] op_sel:[0,0,1] op_sel_hi:[1,1,0] neg_lo:[0,0,1] neg_hi:[0,0,1]
	ds_load_2addr_b64 v[8:11], v96 offset0:45 offset1:46
	v_mov_b32_e32 v13, v31
	v_pk_fma_f32 v[30:31], v[26:27], v[0:1], v[42:43] op_sel:[0,0,1] op_sel_hi:[1,0,0]
	v_pk_fma_f32 v[26:27], v[26:27], v[0:1], v[42:43] op_sel:[0,0,1] op_sel_hi:[1,1,0] neg_lo:[0,0,1] neg_hi:[0,0,1]
	v_mov_b32_e32 v19, v41
	v_pk_add_f32 v[160:161], v[160:161], v[14:15] neg_lo:[0,1] neg_hi:[0,1]
	v_pk_add_f32 v[156:157], v[156:157], v[12:13] neg_lo:[0,1] neg_hi:[0,1]
	v_mov_b32_e32 v27, v31
	v_pk_mul_f32 v[30:31], v[28:29], v[2:3] op_sel:[0,1]
	ds_load_2addr_b64 v[12:15], v96 offset0:47 offset1:48
	ds_load_b64 v[42:43], v96 offset:392
	v_pk_add_f32 v[180:181], v[180:181], v[18:19] neg_lo:[0,1] neg_hi:[0,1]
	v_pk_add_f32 v[176:177], v[176:177], v[26:27] neg_lo:[0,1] neg_hi:[0,1]
	v_pk_fma_f32 v[26:27], v[28:29], v[0:1], v[30:31] op_sel:[0,0,1] op_sel_hi:[1,0,0]
	s_wait_dscnt 0x3
	v_mul_f32_e32 v26, v5, v0
	v_pk_fma_f32 v[18:19], v[28:29], v[0:1], v[30:31] op_sel:[0,0,1] op_sel_hi:[1,1,0] neg_lo:[0,0,1] neg_hi:[0,0,1]
	v_pk_mul_f32 v[28:29], v[6:7], v[2:3] op_sel:[0,1]
	v_dual_mul_f32 v30, v5, v3 :: v_dual_mov_b32 v19, v27
	s_delay_alu instid0(VALU_DEP_4) | instskip(NEXT) | instid1(VALU_DEP_3)
	v_pk_fma_f32 v[26:27], v[4:5], v[68:69], v[26:27] op_sel:[1,0,0] op_sel_hi:[0,1,0]
	v_pk_fma_f32 v[40:41], v[6:7], v[0:1], v[28:29] op_sel:[0,0,1] op_sel_hi:[1,0,0]
	s_delay_alu instid0(VALU_DEP_3)
	v_pk_fma_f32 v[4:5], v[4:5], v[68:69], v[30:31] op_sel_hi:[1,1,0] neg_lo:[0,0,1] neg_hi:[0,0,1]
	s_wait_dscnt 0x2
	v_pk_mul_f32 v[30:31], v[8:9], v[2:3] op_sel:[0,1]
	v_mov_b32_e32 v5, v27
	v_pk_fma_f32 v[6:7], v[6:7], v[0:1], v[28:29] op_sel:[0,0,1] op_sel_hi:[1,1,0] neg_lo:[0,0,1] neg_hi:[0,0,1]
	v_pk_mul_f32 v[26:27], v[10:11], v[2:3] op_sel:[0,1]
	v_mov_b32_e32 v7, v41
	v_pk_add_f32 v[178:179], v[178:179], v[18:19] neg_lo:[0,1] neg_hi:[0,1]
	v_pk_fma_f32 v[18:19], v[8:9], v[0:1], v[30:31] op_sel:[0,0,1] op_sel_hi:[1,0,0]
	v_pk_add_f32 v[174:175], v[174:175], v[4:5] neg_lo:[0,1] neg_hi:[0,1]
	v_pk_fma_f32 v[4:5], v[8:9], v[0:1], v[30:31] op_sel:[0,0,1] op_sel_hi:[1,1,0] neg_lo:[0,0,1] neg_hi:[0,0,1]
	v_pk_fma_f32 v[8:9], v[10:11], v[0:1], v[26:27] op_sel:[0,0,1] op_sel_hi:[1,0,0]
	v_pk_add_f32 v[196:197], v[196:197], v[6:7] neg_lo:[0,1] neg_hi:[0,1]
	s_wait_dscnt 0x1
	v_dual_mov_b32 v5, v19 :: v_dual_mov_b32 v18, v15
	v_pk_fma_f32 v[6:7], v[10:11], v[0:1], v[26:27] op_sel:[0,0,1] op_sel_hi:[1,1,0] neg_lo:[0,0,1] neg_hi:[0,0,1]
	v_pk_mul_f32 v[10:11], v[12:13], v[2:3] op_sel:[0,1]
	v_dual_mov_b32 v19, v14 :: v_dual_mul_f32 v8, v15, v0
	s_wait_dscnt 0x0
	v_pk_mul_f32 v[26:27], v[42:43], v[2:3] op_sel:[0,1]
	v_dual_mov_b32 v7, v9 :: v_dual_mul_f32 v2, v15, v3
	v_pk_fma_f32 v[28:29], v[12:13], v[0:1], v[10:11] op_sel:[0,0,1] op_sel_hi:[1,0,0]
	v_pk_fma_f32 v[8:9], v[18:19], v[68:69], v[8:9] op_sel_hi:[1,1,0]
	v_pk_fma_f32 v[10:11], v[12:13], v[0:1], v[10:11] op_sel:[0,0,1] op_sel_hi:[1,1,0] neg_lo:[0,0,1] neg_hi:[0,0,1]
	v_pk_fma_f32 v[12:13], v[42:43], v[0:1], v[26:27] op_sel:[0,0,1] op_sel_hi:[1,0,0]
	v_pk_fma_f32 v[2:3], v[14:15], v[68:69], v[2:3] op_sel_hi:[1,1,0] neg_lo:[0,0,1] neg_hi:[0,0,1]
	v_pk_fma_f32 v[0:1], v[42:43], v[0:1], v[26:27] op_sel:[0,0,1] op_sel_hi:[1,1,0] neg_lo:[0,0,1] neg_hi:[0,0,1]
	v_dual_mov_b32 v11, v29 :: v_dual_mov_b32 v3, v9
	s_delay_alu instid0(VALU_DEP_4) | instskip(SKIP_2) | instid1(VALU_DEP_4)
	v_mov_b32_e32 v1, v13
	v_pk_add_f32 v[192:193], v[192:193], v[4:5] neg_lo:[0,1] neg_hi:[0,1]
	v_pk_add_f32 v[194:195], v[194:195], v[6:7] neg_lo:[0,1] neg_hi:[0,1]
	;; [unrolled: 1-line block ×5, first 2 shown]
.LBB99_46:
	s_wait_xcnt 0x0
	s_or_b32 exec_lo, exec_lo, s1
	s_delay_alu instid0(SALU_CYCLE_1)
	s_mov_b32 s2, exec_lo
	s_wait_storecnt 0x0
	s_barrier_signal -1
	s_barrier_wait -1
	v_cmpx_eq_u32_e32 5, v86
	s_cbranch_execz .LBB99_53
; %bb.47:
	v_dual_mov_b32 v0, v24 :: v_dual_mov_b32 v1, v25
	v_dual_mov_b32 v2, v20 :: v_dual_mov_b32 v3, v21
	;; [unrolled: 1-line block ×8, first 2 shown]
	ds_store_b64 v87, v[22:23]
	ds_store_2addr_b64 v96, v[0:1], v[2:3] offset0:6 offset1:7
	ds_store_2addr_b64 v96, v[4:5], v[6:7] offset0:8 offset1:9
	;; [unrolled: 1-line block ×4, first 2 shown]
	v_dual_mov_b32 v0, v52 :: v_dual_mov_b32 v1, v53
	v_dual_mov_b32 v2, v48 :: v_dual_mov_b32 v3, v49
	;; [unrolled: 1-line block ×12, first 2 shown]
	ds_store_2addr_b64 v96, v[0:1], v[2:3] offset0:14 offset1:15
	ds_store_2addr_b64 v96, v[4:5], v[6:7] offset0:16 offset1:17
	;; [unrolled: 1-line block ×6, first 2 shown]
	v_dual_mov_b32 v0, v110 :: v_dual_mov_b32 v1, v111
	v_dual_mov_b32 v2, v106 :: v_dual_mov_b32 v3, v107
	;; [unrolled: 1-line block ×12, first 2 shown]
	ds_store_2addr_b64 v96, v[0:1], v[2:3] offset0:26 offset1:27
	ds_store_2addr_b64 v96, v[4:5], v[6:7] offset0:28 offset1:29
	;; [unrolled: 1-line block ×6, first 2 shown]
	v_dual_mov_b32 v0, v160 :: v_dual_mov_b32 v1, v161
	v_dual_mov_b32 v2, v156 :: v_dual_mov_b32 v3, v157
	;; [unrolled: 1-line block ×11, first 2 shown]
	ds_store_2addr_b64 v96, v[0:1], v[2:3] offset0:38 offset1:39
	ds_store_2addr_b64 v96, v[4:5], v[6:7] offset0:40 offset1:41
	;; [unrolled: 1-line block ×6, first 2 shown]
	ds_load_b64 v[0:1], v87
	s_wait_dscnt 0x0
	v_cmp_neq_f32_e32 vcc_lo, 0, v0
	v_cmp_neq_f32_e64 s1, 0, v1
	s_or_b32 s1, vcc_lo, s1
	s_delay_alu instid0(SALU_CYCLE_1)
	s_and_b32 exec_lo, exec_lo, s1
	s_cbranch_execz .LBB99_53
; %bb.48:
	v_cmp_ngt_f32_e64 s1, |v0|, |v1|
                                        ; implicit-def: $vgpr2_vgpr3
	s_and_saveexec_b32 s4, s1
	s_delay_alu instid0(SALU_CYCLE_1)
	s_xor_b32 s1, exec_lo, s4
	s_cbranch_execz .LBB99_50
; %bb.49:
	v_div_scale_f32 v2, null, v1, v1, v0
	v_div_scale_f32 v5, vcc_lo, v0, v1, v0
	s_delay_alu instid0(VALU_DEP_2) | instskip(SKIP_1) | instid1(TRANS32_DEP_1)
	v_rcp_f32_e32 v3, v2
	v_nop
	v_fma_f32 v4, -v2, v3, 1.0
	s_delay_alu instid0(VALU_DEP_1) | instskip(NEXT) | instid1(VALU_DEP_1)
	v_fmac_f32_e32 v3, v4, v3
	v_mul_f32_e32 v4, v5, v3
	s_delay_alu instid0(VALU_DEP_1) | instskip(NEXT) | instid1(VALU_DEP_1)
	v_fma_f32 v6, -v2, v4, v5
	v_fmac_f32_e32 v4, v6, v3
	s_delay_alu instid0(VALU_DEP_1) | instskip(NEXT) | instid1(VALU_DEP_1)
	v_fma_f32 v2, -v2, v4, v5
	v_div_fmas_f32 v2, v2, v3, v4
	s_delay_alu instid0(VALU_DEP_1) | instskip(NEXT) | instid1(VALU_DEP_1)
	v_div_fixup_f32 v2, v2, v1, v0
	v_fmac_f32_e32 v1, v0, v2
	s_delay_alu instid0(VALU_DEP_1) | instskip(SKIP_1) | instid1(VALU_DEP_2)
	v_div_scale_f32 v0, null, v1, v1, 1.0
	v_div_scale_f32 v5, vcc_lo, 1.0, v1, 1.0
	v_rcp_f32_e32 v3, v0
	v_nop
	s_delay_alu instid0(TRANS32_DEP_1) | instskip(NEXT) | instid1(VALU_DEP_1)
	v_fma_f32 v4, -v0, v3, 1.0
	v_fmac_f32_e32 v3, v4, v3
	s_delay_alu instid0(VALU_DEP_1) | instskip(NEXT) | instid1(VALU_DEP_1)
	v_mul_f32_e32 v4, v5, v3
	v_fma_f32 v6, -v0, v4, v5
	s_delay_alu instid0(VALU_DEP_1) | instskip(NEXT) | instid1(VALU_DEP_1)
	v_fmac_f32_e32 v4, v6, v3
	v_fma_f32 v0, -v0, v4, v5
	s_delay_alu instid0(VALU_DEP_1) | instskip(NEXT) | instid1(VALU_DEP_1)
	v_div_fmas_f32 v0, v0, v3, v4
	v_div_fixup_f32 v0, v0, v1, 1.0
	s_delay_alu instid0(VALU_DEP_1)
	v_mul_f32_e32 v2, v2, v0
	v_xor_b32_e32 v3, 0x80000000, v0
                                        ; implicit-def: $vgpr0_vgpr1
.LBB99_50:
	s_and_not1_saveexec_b32 s1, s1
	s_cbranch_execz .LBB99_52
; %bb.51:
	v_div_scale_f32 v2, null, v0, v0, v1
	v_div_scale_f32 v5, vcc_lo, v1, v0, v1
	s_delay_alu instid0(VALU_DEP_2) | instskip(SKIP_1) | instid1(TRANS32_DEP_1)
	v_rcp_f32_e32 v3, v2
	v_nop
	v_fma_f32 v4, -v2, v3, 1.0
	s_delay_alu instid0(VALU_DEP_1) | instskip(NEXT) | instid1(VALU_DEP_1)
	v_fmac_f32_e32 v3, v4, v3
	v_mul_f32_e32 v4, v5, v3
	s_delay_alu instid0(VALU_DEP_1) | instskip(NEXT) | instid1(VALU_DEP_1)
	v_fma_f32 v6, -v2, v4, v5
	v_fmac_f32_e32 v4, v6, v3
	s_delay_alu instid0(VALU_DEP_1) | instskip(NEXT) | instid1(VALU_DEP_1)
	v_fma_f32 v2, -v2, v4, v5
	v_div_fmas_f32 v2, v2, v3, v4
	s_delay_alu instid0(VALU_DEP_1) | instskip(NEXT) | instid1(VALU_DEP_1)
	v_div_fixup_f32 v3, v2, v0, v1
	v_fmac_f32_e32 v0, v1, v3
	s_delay_alu instid0(VALU_DEP_1) | instskip(NEXT) | instid1(VALU_DEP_1)
	v_div_scale_f32 v1, null, v0, v0, 1.0
	v_rcp_f32_e32 v2, v1
	v_nop
	s_delay_alu instid0(TRANS32_DEP_1) | instskip(NEXT) | instid1(VALU_DEP_1)
	v_fma_f32 v4, -v1, v2, 1.0
	v_fmac_f32_e32 v2, v4, v2
	v_div_scale_f32 v4, vcc_lo, 1.0, v0, 1.0
	s_delay_alu instid0(VALU_DEP_1) | instskip(NEXT) | instid1(VALU_DEP_1)
	v_mul_f32_e32 v5, v4, v2
	v_fma_f32 v6, -v1, v5, v4
	s_delay_alu instid0(VALU_DEP_1) | instskip(NEXT) | instid1(VALU_DEP_1)
	v_fmac_f32_e32 v5, v6, v2
	v_fma_f32 v1, -v1, v5, v4
	s_delay_alu instid0(VALU_DEP_1) | instskip(NEXT) | instid1(VALU_DEP_1)
	v_div_fmas_f32 v1, v1, v2, v5
	v_div_fixup_f32 v2, v1, v0, 1.0
	s_delay_alu instid0(VALU_DEP_1)
	v_mul_f32_e64 v3, v3, -v2
.LBB99_52:
	s_or_b32 exec_lo, exec_lo, s1
	ds_store_b64 v87, v[2:3]
.LBB99_53:
	s_or_b32 exec_lo, exec_lo, s2
	s_wait_dscnt 0x0
	s_barrier_signal -1
	s_barrier_wait -1
	ds_load_b64 v[0:1], v87
	s_mov_b32 s1, exec_lo
	s_wait_dscnt 0x0
	scratch_store_b64 off, v[0:1], off offset:48 ; 8-byte Folded Spill
	s_wait_xcnt 0x0
	v_cmpx_lt_u32_e32 5, v86
	s_cbranch_execz .LBB99_55
; %bb.54:
	scratch_load_b64 v[4:5], off, off offset:48 ; 8-byte Folded Reload
	s_wait_loadcnt 0x0
	v_pk_mul_f32 v[2:3], v[4:5], v[22:23] op_sel:[1,1] op_sel_hi:[0,1]
	s_delay_alu instid0(VALU_DEP_1)
	v_pk_fma_f32 v[0:1], v[4:5], v[22:23], v[2:3] op_sel_hi:[1,0,1] neg_lo:[0,0,1] neg_hi:[0,0,1]
	v_pk_fma_f32 v[2:3], v[4:5], v[22:23], v[2:3] op_sel_hi:[1,0,1]
	ds_load_2addr_b64 v[4:7], v96 offset0:6 offset1:7
	v_dual_mov_b32 v22, v0 :: v_dual_mov_b32 v23, v3
	s_wait_dscnt 0x0
	v_pk_mul_f32 v[8:9], v[4:5], v[2:3] op_sel:[0,1]
	s_delay_alu instid0(VALU_DEP_1) | instskip(SKIP_1) | instid1(VALU_DEP_1)
	v_pk_fma_f32 v[10:11], v[4:5], v[0:1], v[8:9] op_sel:[0,0,1] op_sel_hi:[1,1,0] neg_lo:[0,0,1] neg_hi:[0,0,1]
	v_pk_fma_f32 v[4:5], v[4:5], v[0:1], v[8:9] op_sel:[0,0,1] op_sel_hi:[1,0,0]
	v_mov_b32_e32 v11, v5
	v_pk_mul_f32 v[4:5], v[6:7], v[2:3] op_sel:[0,1]
	s_delay_alu instid0(VALU_DEP_1) | instskip(SKIP_1) | instid1(VALU_DEP_1)
	v_pk_fma_f32 v[8:9], v[6:7], v[0:1], v[4:5] op_sel:[0,0,1] op_sel_hi:[1,1,0] neg_lo:[0,0,1] neg_hi:[0,0,1]
	v_pk_fma_f32 v[4:5], v[6:7], v[0:1], v[4:5] op_sel:[0,0,1] op_sel_hi:[1,0,0]
	v_mov_b32_e32 v9, v5
	ds_load_2addr_b64 v[4:7], v96 offset0:8 offset1:9
	v_pk_add_f32 v[24:25], v[24:25], v[10:11] neg_lo:[0,1] neg_hi:[0,1]
	v_pk_add_f32 v[20:21], v[20:21], v[8:9] neg_lo:[0,1] neg_hi:[0,1]
	s_wait_dscnt 0x0
	v_pk_mul_f32 v[8:9], v[4:5], v[2:3] op_sel:[0,1]
	s_delay_alu instid0(VALU_DEP_1) | instskip(SKIP_2) | instid1(VALU_DEP_2)
	v_pk_fma_f32 v[10:11], v[4:5], v[0:1], v[8:9] op_sel:[0,0,1] op_sel_hi:[1,1,0] neg_lo:[0,0,1] neg_hi:[0,0,1]
	v_pk_fma_f32 v[4:5], v[4:5], v[0:1], v[8:9] op_sel:[0,0,1] op_sel_hi:[1,0,0]
	v_dual_mul_f32 v8, v7, v3 :: v_dual_mov_b32 v4, v7
	v_dual_mov_b32 v11, v5 :: v_dual_mov_b32 v5, v6
	s_delay_alu instid0(VALU_DEP_2) | instskip(SKIP_1) | instid1(VALU_DEP_3)
	v_pk_fma_f32 v[8:9], v[6:7], v[22:23], v[8:9] op_sel_hi:[1,1,0] neg_lo:[0,0,1] neg_hi:[0,0,1]
	v_mul_f32_e32 v6, v7, v0
	v_pk_add_f32 v[38:39], v[38:39], v[10:11] neg_lo:[0,1] neg_hi:[0,1]
	s_delay_alu instid0(VALU_DEP_2) | instskip(NEXT) | instid1(VALU_DEP_1)
	v_pk_fma_f32 v[4:5], v[4:5], v[22:23], v[6:7] op_sel_hi:[1,1,0]
	v_mov_b32_e32 v9, v5
	ds_load_2addr_b64 v[4:7], v96 offset0:10 offset1:11
	v_pk_add_f32 v[34:35], v[34:35], v[8:9] neg_lo:[0,1] neg_hi:[0,1]
	s_wait_dscnt 0x0
	v_pk_mul_f32 v[8:9], v[4:5], v[2:3] op_sel:[0,1]
	s_delay_alu instid0(VALU_DEP_1) | instskip(SKIP_1) | instid1(VALU_DEP_1)
	v_pk_fma_f32 v[10:11], v[4:5], v[0:1], v[8:9] op_sel:[0,0,1] op_sel_hi:[1,1,0] neg_lo:[0,0,1] neg_hi:[0,0,1]
	v_pk_fma_f32 v[4:5], v[4:5], v[0:1], v[8:9] op_sel:[0,0,1] op_sel_hi:[1,0,0]
	v_mov_b32_e32 v11, v5
	v_pk_mul_f32 v[4:5], v[6:7], v[2:3] op_sel:[0,1]
	s_delay_alu instid0(VALU_DEP_1) | instskip(SKIP_1) | instid1(VALU_DEP_1)
	v_pk_fma_f32 v[8:9], v[6:7], v[0:1], v[4:5] op_sel:[0,0,1] op_sel_hi:[1,1,0] neg_lo:[0,0,1] neg_hi:[0,0,1]
	v_pk_fma_f32 v[4:5], v[6:7], v[0:1], v[4:5] op_sel:[0,0,1] op_sel_hi:[1,0,0]
	v_mov_b32_e32 v9, v5
	ds_load_2addr_b64 v[4:7], v96 offset0:12 offset1:13
	v_pk_add_f32 v[36:37], v[36:37], v[10:11] neg_lo:[0,1] neg_hi:[0,1]
	v_pk_add_f32 v[32:33], v[32:33], v[8:9] neg_lo:[0,1] neg_hi:[0,1]
	s_wait_dscnt 0x0
	v_pk_mul_f32 v[8:9], v[4:5], v[2:3] op_sel:[0,1]
	s_delay_alu instid0(VALU_DEP_1) | instskip(SKIP_1) | instid1(VALU_DEP_1)
	v_pk_fma_f32 v[10:11], v[4:5], v[0:1], v[8:9] op_sel:[0,0,1] op_sel_hi:[1,1,0] neg_lo:[0,0,1] neg_hi:[0,0,1]
	v_pk_fma_f32 v[4:5], v[4:5], v[0:1], v[8:9] op_sel:[0,0,1] op_sel_hi:[1,0,0]
	v_mov_b32_e32 v11, v5
	v_pk_mul_f32 v[4:5], v[6:7], v[2:3] op_sel:[0,1]
	s_delay_alu instid0(VALU_DEP_1) | instskip(SKIP_1) | instid1(VALU_DEP_1)
	v_pk_fma_f32 v[8:9], v[6:7], v[0:1], v[4:5] op_sel:[0,0,1] op_sel_hi:[1,1,0] neg_lo:[0,0,1] neg_hi:[0,0,1]
	v_pk_fma_f32 v[4:5], v[6:7], v[0:1], v[4:5] op_sel:[0,0,1] op_sel_hi:[1,0,0]
	v_mov_b32_e32 v9, v5
	ds_load_2addr_b64 v[4:7], v96 offset0:14 offset1:15
	v_pk_add_f32 v[54:55], v[54:55], v[10:11] neg_lo:[0,1] neg_hi:[0,1]
	v_pk_add_f32 v[50:51], v[50:51], v[8:9] neg_lo:[0,1] neg_hi:[0,1]
	s_wait_dscnt 0x0
	v_dual_mul_f32 v8, v5, v3 :: v_dual_mul_f32 v10, v5, v0
	s_delay_alu instid0(VALU_DEP_1) | instskip(NEXT) | instid1(VALU_DEP_2)
	v_pk_fma_f32 v[8:9], v[4:5], v[22:23], v[8:9] op_sel_hi:[1,1,0] neg_lo:[0,0,1] neg_hi:[0,0,1]
	v_pk_fma_f32 v[4:5], v[4:5], v[22:23], v[10:11] op_sel:[1,0,0] op_sel_hi:[0,1,0]
	s_delay_alu instid0(VALU_DEP_1) | instskip(SKIP_1) | instid1(VALU_DEP_2)
	v_mov_b32_e32 v9, v5
	v_pk_mul_f32 v[4:5], v[6:7], v[2:3] op_sel:[0,1]
	v_pk_add_f32 v[52:53], v[52:53], v[8:9] neg_lo:[0,1] neg_hi:[0,1]
	s_delay_alu instid0(VALU_DEP_2) | instskip(SKIP_1) | instid1(VALU_DEP_1)
	v_pk_fma_f32 v[8:9], v[6:7], v[0:1], v[4:5] op_sel:[0,0,1] op_sel_hi:[1,1,0] neg_lo:[0,0,1] neg_hi:[0,0,1]
	v_pk_fma_f32 v[4:5], v[6:7], v[0:1], v[4:5] op_sel:[0,0,1] op_sel_hi:[1,0,0]
	v_mov_b32_e32 v9, v5
	ds_load_2addr_b64 v[4:7], v96 offset0:16 offset1:17
	v_pk_add_f32 v[48:49], v[48:49], v[8:9] neg_lo:[0,1] neg_hi:[0,1]
	s_wait_dscnt 0x0
	v_pk_mul_f32 v[8:9], v[4:5], v[2:3] op_sel:[0,1]
	s_delay_alu instid0(VALU_DEP_1) | instskip(SKIP_1) | instid1(VALU_DEP_1)
	v_pk_fma_f32 v[10:11], v[4:5], v[0:1], v[8:9] op_sel:[0,0,1] op_sel_hi:[1,1,0] neg_lo:[0,0,1] neg_hi:[0,0,1]
	v_pk_fma_f32 v[4:5], v[4:5], v[0:1], v[8:9] op_sel:[0,0,1] op_sel_hi:[1,0,0]
	v_mov_b32_e32 v11, v5
	v_pk_mul_f32 v[4:5], v[6:7], v[2:3] op_sel:[0,1]
	s_delay_alu instid0(VALU_DEP_2) | instskip(NEXT) | instid1(VALU_DEP_2)
	v_pk_add_f32 v[78:79], v[78:79], v[10:11] neg_lo:[0,1] neg_hi:[0,1]
	v_pk_fma_f32 v[8:9], v[6:7], v[0:1], v[4:5] op_sel:[0,0,1] op_sel_hi:[1,1,0] neg_lo:[0,0,1] neg_hi:[0,0,1]
	v_pk_fma_f32 v[4:5], v[6:7], v[0:1], v[4:5] op_sel:[0,0,1] op_sel_hi:[1,0,0]
	s_delay_alu instid0(VALU_DEP_1) | instskip(SKIP_4) | instid1(VALU_DEP_1)
	v_mov_b32_e32 v9, v5
	ds_load_2addr_b64 v[4:7], v96 offset0:18 offset1:19
	v_pk_add_f32 v[74:75], v[74:75], v[8:9] neg_lo:[0,1] neg_hi:[0,1]
	s_wait_dscnt 0x0
	v_pk_mul_f32 v[8:9], v[4:5], v[2:3] op_sel:[0,1]
	v_pk_fma_f32 v[10:11], v[4:5], v[0:1], v[8:9] op_sel:[0,0,1] op_sel_hi:[1,1,0] neg_lo:[0,0,1] neg_hi:[0,0,1]
	v_pk_fma_f32 v[4:5], v[4:5], v[0:1], v[8:9] op_sel:[0,0,1] op_sel_hi:[1,0,0]
	v_dual_mul_f32 v8, v7, v3 :: v_dual_mov_b32 v4, v7
	s_delay_alu instid0(VALU_DEP_2) | instskip(NEXT) | instid1(VALU_DEP_2)
	v_dual_mov_b32 v11, v5 :: v_dual_mov_b32 v5, v6
	v_pk_fma_f32 v[8:9], v[6:7], v[22:23], v[8:9] op_sel_hi:[1,1,0] neg_lo:[0,0,1] neg_hi:[0,0,1]
	v_mul_f32_e32 v6, v7, v0
	s_delay_alu instid0(VALU_DEP_3) | instskip(NEXT) | instid1(VALU_DEP_2)
	v_pk_add_f32 v[76:77], v[76:77], v[10:11] neg_lo:[0,1] neg_hi:[0,1]
	v_pk_fma_f32 v[4:5], v[4:5], v[22:23], v[6:7] op_sel_hi:[1,1,0]
	s_delay_alu instid0(VALU_DEP_1) | instskip(SKIP_4) | instid1(VALU_DEP_1)
	v_mov_b32_e32 v9, v5
	ds_load_2addr_b64 v[4:7], v96 offset0:20 offset1:21
	v_pk_add_f32 v[72:73], v[72:73], v[8:9] neg_lo:[0,1] neg_hi:[0,1]
	s_wait_dscnt 0x0
	v_pk_mul_f32 v[8:9], v[4:5], v[2:3] op_sel:[0,1]
	v_pk_fma_f32 v[10:11], v[4:5], v[0:1], v[8:9] op_sel:[0,0,1] op_sel_hi:[1,1,0] neg_lo:[0,0,1] neg_hi:[0,0,1]
	v_pk_fma_f32 v[4:5], v[4:5], v[0:1], v[8:9] op_sel:[0,0,1] op_sel_hi:[1,0,0]
	s_delay_alu instid0(VALU_DEP_1) | instskip(SKIP_1) | instid1(VALU_DEP_1)
	v_mov_b32_e32 v11, v5
	v_pk_mul_f32 v[4:5], v[6:7], v[2:3] op_sel:[0,1]
	v_pk_fma_f32 v[8:9], v[6:7], v[0:1], v[4:5] op_sel:[0,0,1] op_sel_hi:[1,1,0] neg_lo:[0,0,1] neg_hi:[0,0,1]
	v_pk_fma_f32 v[4:5], v[6:7], v[0:1], v[4:5] op_sel:[0,0,1] op_sel_hi:[1,0,0]
	s_delay_alu instid0(VALU_DEP_1)
	v_mov_b32_e32 v9, v5
	ds_load_2addr_b64 v[4:7], v96 offset0:22 offset1:23
	v_pk_add_f32 v[94:95], v[94:95], v[10:11] neg_lo:[0,1] neg_hi:[0,1]
	v_pk_add_f32 v[90:91], v[90:91], v[8:9] neg_lo:[0,1] neg_hi:[0,1]
	s_wait_dscnt 0x0
	v_pk_mul_f32 v[8:9], v[4:5], v[2:3] op_sel:[0,1]
	s_delay_alu instid0(VALU_DEP_1) | instskip(SKIP_1) | instid1(VALU_DEP_1)
	v_pk_fma_f32 v[10:11], v[4:5], v[0:1], v[8:9] op_sel:[0,0,1] op_sel_hi:[1,1,0] neg_lo:[0,0,1] neg_hi:[0,0,1]
	v_pk_fma_f32 v[4:5], v[4:5], v[0:1], v[8:9] op_sel:[0,0,1] op_sel_hi:[1,0,0]
	v_mov_b32_e32 v11, v5
	v_pk_mul_f32 v[4:5], v[6:7], v[2:3] op_sel:[0,1]
	s_delay_alu instid0(VALU_DEP_1) | instskip(SKIP_1) | instid1(VALU_DEP_1)
	v_pk_fma_f32 v[8:9], v[6:7], v[0:1], v[4:5] op_sel:[0,0,1] op_sel_hi:[1,1,0] neg_lo:[0,0,1] neg_hi:[0,0,1]
	v_pk_fma_f32 v[4:5], v[6:7], v[0:1], v[4:5] op_sel:[0,0,1] op_sel_hi:[1,0,0]
	v_mov_b32_e32 v9, v5
	ds_load_2addr_b64 v[4:7], v96 offset0:24 offset1:25
	v_pk_add_f32 v[92:93], v[92:93], v[10:11] neg_lo:[0,1] neg_hi:[0,1]
	v_pk_add_f32 v[88:89], v[88:89], v[8:9] neg_lo:[0,1] neg_hi:[0,1]
	s_wait_dscnt 0x0
	v_dual_mul_f32 v8, v5, v3 :: v_dual_mul_f32 v10, v5, v0
	s_delay_alu instid0(VALU_DEP_1) | instskip(NEXT) | instid1(VALU_DEP_2)
	v_pk_fma_f32 v[8:9], v[4:5], v[22:23], v[8:9] op_sel_hi:[1,1,0] neg_lo:[0,0,1] neg_hi:[0,0,1]
	v_pk_fma_f32 v[4:5], v[4:5], v[22:23], v[10:11] op_sel:[1,0,0] op_sel_hi:[0,1,0]
	s_delay_alu instid0(VALU_DEP_1) | instskip(SKIP_1) | instid1(VALU_DEP_2)
	v_mov_b32_e32 v9, v5
	v_pk_mul_f32 v[4:5], v[6:7], v[2:3] op_sel:[0,1]
	v_pk_add_f32 v[112:113], v[112:113], v[8:9] neg_lo:[0,1] neg_hi:[0,1]
	s_delay_alu instid0(VALU_DEP_2) | instskip(SKIP_1) | instid1(VALU_DEP_1)
	v_pk_fma_f32 v[8:9], v[6:7], v[0:1], v[4:5] op_sel:[0,0,1] op_sel_hi:[1,1,0] neg_lo:[0,0,1] neg_hi:[0,0,1]
	v_pk_fma_f32 v[4:5], v[6:7], v[0:1], v[4:5] op_sel:[0,0,1] op_sel_hi:[1,0,0]
	v_mov_b32_e32 v9, v5
	ds_load_2addr_b64 v[4:7], v96 offset0:26 offset1:27
	v_pk_add_f32 v[108:109], v[108:109], v[8:9] neg_lo:[0,1] neg_hi:[0,1]
	s_wait_dscnt 0x0
	v_pk_mul_f32 v[8:9], v[4:5], v[2:3] op_sel:[0,1]
	s_delay_alu instid0(VALU_DEP_1) | instskip(SKIP_1) | instid1(VALU_DEP_1)
	v_pk_fma_f32 v[10:11], v[4:5], v[0:1], v[8:9] op_sel:[0,0,1] op_sel_hi:[1,1,0] neg_lo:[0,0,1] neg_hi:[0,0,1]
	v_pk_fma_f32 v[4:5], v[4:5], v[0:1], v[8:9] op_sel:[0,0,1] op_sel_hi:[1,0,0]
	v_mov_b32_e32 v11, v5
	v_pk_mul_f32 v[4:5], v[6:7], v[2:3] op_sel:[0,1]
	s_delay_alu instid0(VALU_DEP_2) | instskip(NEXT) | instid1(VALU_DEP_2)
	v_pk_add_f32 v[110:111], v[110:111], v[10:11] neg_lo:[0,1] neg_hi:[0,1]
	v_pk_fma_f32 v[8:9], v[6:7], v[0:1], v[4:5] op_sel:[0,0,1] op_sel_hi:[1,1,0] neg_lo:[0,0,1] neg_hi:[0,0,1]
	v_pk_fma_f32 v[4:5], v[6:7], v[0:1], v[4:5] op_sel:[0,0,1] op_sel_hi:[1,0,0]
	s_delay_alu instid0(VALU_DEP_1) | instskip(SKIP_4) | instid1(VALU_DEP_1)
	v_mov_b32_e32 v9, v5
	ds_load_2addr_b64 v[4:7], v96 offset0:28 offset1:29
	v_pk_add_f32 v[106:107], v[106:107], v[8:9] neg_lo:[0,1] neg_hi:[0,1]
	s_wait_dscnt 0x0
	v_pk_mul_f32 v[8:9], v[4:5], v[2:3] op_sel:[0,1]
	v_pk_fma_f32 v[10:11], v[4:5], v[0:1], v[8:9] op_sel:[0,0,1] op_sel_hi:[1,1,0] neg_lo:[0,0,1] neg_hi:[0,0,1]
	v_pk_fma_f32 v[4:5], v[4:5], v[0:1], v[8:9] op_sel:[0,0,1] op_sel_hi:[1,0,0]
	v_dual_mul_f32 v8, v7, v3 :: v_dual_mov_b32 v4, v7
	s_delay_alu instid0(VALU_DEP_2) | instskip(NEXT) | instid1(VALU_DEP_2)
	v_dual_mov_b32 v11, v5 :: v_dual_mov_b32 v5, v6
	v_pk_fma_f32 v[8:9], v[6:7], v[22:23], v[8:9] op_sel_hi:[1,1,0] neg_lo:[0,0,1] neg_hi:[0,0,1]
	v_mul_f32_e32 v6, v7, v0
	s_delay_alu instid0(VALU_DEP_3) | instskip(NEXT) | instid1(VALU_DEP_2)
	v_pk_add_f32 v[128:129], v[128:129], v[10:11] neg_lo:[0,1] neg_hi:[0,1]
	v_pk_fma_f32 v[4:5], v[4:5], v[22:23], v[6:7] op_sel_hi:[1,1,0]
	s_delay_alu instid0(VALU_DEP_1) | instskip(SKIP_4) | instid1(VALU_DEP_1)
	v_mov_b32_e32 v9, v5
	ds_load_2addr_b64 v[4:7], v96 offset0:30 offset1:31
	v_pk_add_f32 v[124:125], v[124:125], v[8:9] neg_lo:[0,1] neg_hi:[0,1]
	s_wait_dscnt 0x0
	v_pk_mul_f32 v[8:9], v[4:5], v[2:3] op_sel:[0,1]
	v_pk_fma_f32 v[10:11], v[4:5], v[0:1], v[8:9] op_sel:[0,0,1] op_sel_hi:[1,1,0] neg_lo:[0,0,1] neg_hi:[0,0,1]
	v_pk_fma_f32 v[4:5], v[4:5], v[0:1], v[8:9] op_sel:[0,0,1] op_sel_hi:[1,0,0]
	s_delay_alu instid0(VALU_DEP_1) | instskip(SKIP_1) | instid1(VALU_DEP_1)
	v_mov_b32_e32 v11, v5
	v_pk_mul_f32 v[4:5], v[6:7], v[2:3] op_sel:[0,1]
	v_pk_fma_f32 v[8:9], v[6:7], v[0:1], v[4:5] op_sel:[0,0,1] op_sel_hi:[1,1,0] neg_lo:[0,0,1] neg_hi:[0,0,1]
	v_pk_fma_f32 v[4:5], v[6:7], v[0:1], v[4:5] op_sel:[0,0,1] op_sel_hi:[1,0,0]
	s_delay_alu instid0(VALU_DEP_1)
	v_mov_b32_e32 v9, v5
	ds_load_2addr_b64 v[4:7], v96 offset0:32 offset1:33
	v_pk_add_f32 v[126:127], v[126:127], v[10:11] neg_lo:[0,1] neg_hi:[0,1]
	v_pk_add_f32 v[122:123], v[122:123], v[8:9] neg_lo:[0,1] neg_hi:[0,1]
	s_wait_dscnt 0x0
	v_pk_mul_f32 v[8:9], v[4:5], v[2:3] op_sel:[0,1]
	s_delay_alu instid0(VALU_DEP_1) | instskip(SKIP_1) | instid1(VALU_DEP_1)
	v_pk_fma_f32 v[10:11], v[4:5], v[0:1], v[8:9] op_sel:[0,0,1] op_sel_hi:[1,1,0] neg_lo:[0,0,1] neg_hi:[0,0,1]
	v_pk_fma_f32 v[4:5], v[4:5], v[0:1], v[8:9] op_sel:[0,0,1] op_sel_hi:[1,0,0]
	v_mov_b32_e32 v11, v5
	v_pk_mul_f32 v[4:5], v[6:7], v[2:3] op_sel:[0,1]
	s_delay_alu instid0(VALU_DEP_1) | instskip(SKIP_1) | instid1(VALU_DEP_1)
	v_pk_fma_f32 v[8:9], v[6:7], v[0:1], v[4:5] op_sel:[0,0,1] op_sel_hi:[1,1,0] neg_lo:[0,0,1] neg_hi:[0,0,1]
	v_pk_fma_f32 v[4:5], v[6:7], v[0:1], v[4:5] op_sel:[0,0,1] op_sel_hi:[1,0,0]
	v_mov_b32_e32 v9, v5
	ds_load_2addr_b64 v[4:7], v96 offset0:34 offset1:35
	v_pk_add_f32 v[144:145], v[144:145], v[10:11] neg_lo:[0,1] neg_hi:[0,1]
	v_pk_add_f32 v[140:141], v[140:141], v[8:9] neg_lo:[0,1] neg_hi:[0,1]
	s_wait_dscnt 0x0
	v_dual_mul_f32 v8, v5, v3 :: v_dual_mul_f32 v10, v5, v0
	s_delay_alu instid0(VALU_DEP_1) | instskip(NEXT) | instid1(VALU_DEP_2)
	v_pk_fma_f32 v[8:9], v[4:5], v[22:23], v[8:9] op_sel_hi:[1,1,0] neg_lo:[0,0,1] neg_hi:[0,0,1]
	v_pk_fma_f32 v[4:5], v[4:5], v[22:23], v[10:11] op_sel:[1,0,0] op_sel_hi:[0,1,0]
	s_delay_alu instid0(VALU_DEP_1) | instskip(SKIP_1) | instid1(VALU_DEP_2)
	v_mov_b32_e32 v9, v5
	v_pk_mul_f32 v[4:5], v[6:7], v[2:3] op_sel:[0,1]
	v_pk_add_f32 v[142:143], v[142:143], v[8:9] neg_lo:[0,1] neg_hi:[0,1]
	s_delay_alu instid0(VALU_DEP_2) | instskip(SKIP_1) | instid1(VALU_DEP_1)
	v_pk_fma_f32 v[8:9], v[6:7], v[0:1], v[4:5] op_sel:[0,0,1] op_sel_hi:[1,1,0] neg_lo:[0,0,1] neg_hi:[0,0,1]
	v_pk_fma_f32 v[4:5], v[6:7], v[0:1], v[4:5] op_sel:[0,0,1] op_sel_hi:[1,0,0]
	v_mov_b32_e32 v9, v5
	ds_load_2addr_b64 v[4:7], v96 offset0:36 offset1:37
	v_pk_add_f32 v[138:139], v[138:139], v[8:9] neg_lo:[0,1] neg_hi:[0,1]
	s_wait_dscnt 0x0
	v_pk_mul_f32 v[8:9], v[4:5], v[2:3] op_sel:[0,1]
	s_delay_alu instid0(VALU_DEP_1) | instskip(SKIP_1) | instid1(VALU_DEP_1)
	v_pk_fma_f32 v[10:11], v[4:5], v[0:1], v[8:9] op_sel:[0,0,1] op_sel_hi:[1,1,0] neg_lo:[0,0,1] neg_hi:[0,0,1]
	v_pk_fma_f32 v[4:5], v[4:5], v[0:1], v[8:9] op_sel:[0,0,1] op_sel_hi:[1,0,0]
	v_mov_b32_e32 v11, v5
	v_pk_mul_f32 v[4:5], v[6:7], v[2:3] op_sel:[0,1]
	s_delay_alu instid0(VALU_DEP_2) | instskip(NEXT) | instid1(VALU_DEP_2)
	v_pk_add_f32 v[162:163], v[162:163], v[10:11] neg_lo:[0,1] neg_hi:[0,1]
	v_pk_fma_f32 v[8:9], v[6:7], v[0:1], v[4:5] op_sel:[0,0,1] op_sel_hi:[1,1,0] neg_lo:[0,0,1] neg_hi:[0,0,1]
	v_pk_fma_f32 v[4:5], v[6:7], v[0:1], v[4:5] op_sel:[0,0,1] op_sel_hi:[1,0,0]
	s_delay_alu instid0(VALU_DEP_1) | instskip(SKIP_4) | instid1(VALU_DEP_1)
	v_mov_b32_e32 v9, v5
	ds_load_2addr_b64 v[4:7], v96 offset0:38 offset1:39
	v_pk_add_f32 v[158:159], v[158:159], v[8:9] neg_lo:[0,1] neg_hi:[0,1]
	s_wait_dscnt 0x0
	v_pk_mul_f32 v[8:9], v[4:5], v[2:3] op_sel:[0,1]
	v_pk_fma_f32 v[10:11], v[4:5], v[0:1], v[8:9] op_sel:[0,0,1] op_sel_hi:[1,1,0] neg_lo:[0,0,1] neg_hi:[0,0,1]
	v_pk_fma_f32 v[4:5], v[4:5], v[0:1], v[8:9] op_sel:[0,0,1] op_sel_hi:[1,0,0]
	v_dual_mul_f32 v8, v7, v3 :: v_dual_mov_b32 v4, v7
	s_delay_alu instid0(VALU_DEP_2) | instskip(NEXT) | instid1(VALU_DEP_2)
	v_dual_mov_b32 v11, v5 :: v_dual_mov_b32 v5, v6
	v_pk_fma_f32 v[8:9], v[6:7], v[22:23], v[8:9] op_sel_hi:[1,1,0] neg_lo:[0,0,1] neg_hi:[0,0,1]
	v_mul_f32_e32 v6, v7, v0
	s_delay_alu instid0(VALU_DEP_3) | instskip(NEXT) | instid1(VALU_DEP_2)
	v_pk_add_f32 v[160:161], v[160:161], v[10:11] neg_lo:[0,1] neg_hi:[0,1]
	v_pk_fma_f32 v[4:5], v[4:5], v[22:23], v[6:7] op_sel_hi:[1,1,0]
	s_delay_alu instid0(VALU_DEP_1) | instskip(SKIP_4) | instid1(VALU_DEP_1)
	v_mov_b32_e32 v9, v5
	ds_load_2addr_b64 v[4:7], v96 offset0:40 offset1:41
	v_pk_add_f32 v[156:157], v[156:157], v[8:9] neg_lo:[0,1] neg_hi:[0,1]
	s_wait_dscnt 0x0
	v_pk_mul_f32 v[8:9], v[4:5], v[2:3] op_sel:[0,1]
	v_pk_fma_f32 v[10:11], v[4:5], v[0:1], v[8:9] op_sel:[0,0,1] op_sel_hi:[1,1,0] neg_lo:[0,0,1] neg_hi:[0,0,1]
	v_pk_fma_f32 v[4:5], v[4:5], v[0:1], v[8:9] op_sel:[0,0,1] op_sel_hi:[1,0,0]
	s_delay_alu instid0(VALU_DEP_1) | instskip(SKIP_1) | instid1(VALU_DEP_1)
	v_mov_b32_e32 v11, v5
	v_pk_mul_f32 v[4:5], v[6:7], v[2:3] op_sel:[0,1]
	v_pk_fma_f32 v[8:9], v[6:7], v[0:1], v[4:5] op_sel:[0,0,1] op_sel_hi:[1,1,0] neg_lo:[0,0,1] neg_hi:[0,0,1]
	v_pk_fma_f32 v[4:5], v[6:7], v[0:1], v[4:5] op_sel:[0,0,1] op_sel_hi:[1,0,0]
	s_delay_alu instid0(VALU_DEP_1)
	v_mov_b32_e32 v9, v5
	ds_load_2addr_b64 v[4:7], v96 offset0:42 offset1:43
	v_pk_add_f32 v[180:181], v[180:181], v[10:11] neg_lo:[0,1] neg_hi:[0,1]
	v_pk_add_f32 v[176:177], v[176:177], v[8:9] neg_lo:[0,1] neg_hi:[0,1]
	s_wait_dscnt 0x0
	v_pk_mul_f32 v[8:9], v[4:5], v[2:3] op_sel:[0,1]
	s_delay_alu instid0(VALU_DEP_1) | instskip(SKIP_1) | instid1(VALU_DEP_1)
	v_pk_fma_f32 v[10:11], v[4:5], v[0:1], v[8:9] op_sel:[0,0,1] op_sel_hi:[1,1,0] neg_lo:[0,0,1] neg_hi:[0,0,1]
	v_pk_fma_f32 v[4:5], v[4:5], v[0:1], v[8:9] op_sel:[0,0,1] op_sel_hi:[1,0,0]
	v_mov_b32_e32 v11, v5
	v_pk_mul_f32 v[4:5], v[6:7], v[2:3] op_sel:[0,1]
	s_delay_alu instid0(VALU_DEP_1) | instskip(SKIP_1) | instid1(VALU_DEP_1)
	v_pk_fma_f32 v[8:9], v[6:7], v[0:1], v[4:5] op_sel:[0,0,1] op_sel_hi:[1,1,0] neg_lo:[0,0,1] neg_hi:[0,0,1]
	v_pk_fma_f32 v[4:5], v[6:7], v[0:1], v[4:5] op_sel:[0,0,1] op_sel_hi:[1,0,0]
	v_mov_b32_e32 v9, v5
	ds_load_2addr_b64 v[4:7], v96 offset0:44 offset1:45
	v_pk_add_f32 v[178:179], v[178:179], v[10:11] neg_lo:[0,1] neg_hi:[0,1]
	v_pk_add_f32 v[174:175], v[174:175], v[8:9] neg_lo:[0,1] neg_hi:[0,1]
	s_wait_dscnt 0x0
	v_dual_mul_f32 v8, v5, v3 :: v_dual_mul_f32 v10, v5, v0
	s_delay_alu instid0(VALU_DEP_1) | instskip(NEXT) | instid1(VALU_DEP_2)
	v_pk_fma_f32 v[8:9], v[4:5], v[22:23], v[8:9] op_sel_hi:[1,1,0] neg_lo:[0,0,1] neg_hi:[0,0,1]
	v_pk_fma_f32 v[4:5], v[4:5], v[22:23], v[10:11] op_sel:[1,0,0] op_sel_hi:[0,1,0]
	s_delay_alu instid0(VALU_DEP_1) | instskip(SKIP_1) | instid1(VALU_DEP_2)
	v_mov_b32_e32 v9, v5
	v_pk_mul_f32 v[4:5], v[6:7], v[2:3] op_sel:[0,1]
	v_pk_add_f32 v[196:197], v[196:197], v[8:9] neg_lo:[0,1] neg_hi:[0,1]
	s_delay_alu instid0(VALU_DEP_2) | instskip(SKIP_1) | instid1(VALU_DEP_1)
	v_pk_fma_f32 v[8:9], v[6:7], v[0:1], v[4:5] op_sel:[0,0,1] op_sel_hi:[1,1,0] neg_lo:[0,0,1] neg_hi:[0,0,1]
	v_pk_fma_f32 v[4:5], v[6:7], v[0:1], v[4:5] op_sel:[0,0,1] op_sel_hi:[1,0,0]
	v_mov_b32_e32 v9, v5
	ds_load_2addr_b64 v[4:7], v96 offset0:46 offset1:47
	v_pk_add_f32 v[192:193], v[192:193], v[8:9] neg_lo:[0,1] neg_hi:[0,1]
	s_wait_dscnt 0x0
	v_pk_mul_f32 v[8:9], v[4:5], v[2:3] op_sel:[0,1]
	s_delay_alu instid0(VALU_DEP_1) | instskip(SKIP_1) | instid1(VALU_DEP_1)
	v_pk_fma_f32 v[10:11], v[4:5], v[0:1], v[8:9] op_sel:[0,0,1] op_sel_hi:[1,1,0] neg_lo:[0,0,1] neg_hi:[0,0,1]
	v_pk_fma_f32 v[4:5], v[4:5], v[0:1], v[8:9] op_sel:[0,0,1] op_sel_hi:[1,0,0]
	v_mov_b32_e32 v11, v5
	v_pk_mul_f32 v[4:5], v[6:7], v[2:3] op_sel:[0,1]
	s_delay_alu instid0(VALU_DEP_2) | instskip(NEXT) | instid1(VALU_DEP_2)
	v_pk_add_f32 v[194:195], v[194:195], v[10:11] neg_lo:[0,1] neg_hi:[0,1]
	v_pk_fma_f32 v[8:9], v[6:7], v[0:1], v[4:5] op_sel:[0,0,1] op_sel_hi:[1,1,0] neg_lo:[0,0,1] neg_hi:[0,0,1]
	v_pk_fma_f32 v[4:5], v[6:7], v[0:1], v[4:5] op_sel:[0,0,1] op_sel_hi:[1,0,0]
	s_delay_alu instid0(VALU_DEP_1)
	v_mov_b32_e32 v9, v5
	ds_load_2addr_b64 v[4:7], v96 offset0:48 offset1:49
	v_pk_add_f32 v[190:191], v[190:191], v[8:9] neg_lo:[0,1] neg_hi:[0,1]
	s_wait_dscnt 0x0
	v_pk_mul_f32 v[8:9], v[4:5], v[2:3] op_sel:[0,1]
	v_pk_mul_f32 v[2:3], v[6:7], v[2:3] op_sel:[0,1]
	s_delay_alu instid0(VALU_DEP_2) | instskip(SKIP_1) | instid1(VALU_DEP_1)
	v_pk_fma_f32 v[10:11], v[4:5], v[0:1], v[8:9] op_sel:[0,0,1] op_sel_hi:[1,1,0] neg_lo:[0,0,1] neg_hi:[0,0,1]
	v_pk_fma_f32 v[4:5], v[4:5], v[0:1], v[8:9] op_sel:[0,0,1] op_sel_hi:[1,0,0]
	v_mov_b32_e32 v11, v5
	s_delay_alu instid0(VALU_DEP_4) | instskip(SKIP_1) | instid1(VALU_DEP_3)
	v_pk_fma_f32 v[4:5], v[6:7], v[0:1], v[2:3] op_sel:[0,0,1] op_sel_hi:[1,1,0] neg_lo:[0,0,1] neg_hi:[0,0,1]
	v_pk_fma_f32 v[0:1], v[6:7], v[0:1], v[2:3] op_sel:[0,0,1] op_sel_hi:[1,0,0]
	v_pk_add_f32 v[198:199], v[198:199], v[10:11] neg_lo:[0,1] neg_hi:[0,1]
	s_delay_alu instid0(VALU_DEP_2) | instskip(NEXT) | instid1(VALU_DEP_1)
	v_mov_b32_e32 v5, v1
	v_pk_add_f32 v[200:201], v[200:201], v[4:5] neg_lo:[0,1] neg_hi:[0,1]
.LBB99_55:
	s_wait_xcnt 0x0
	s_or_b32 exec_lo, exec_lo, s1
	s_delay_alu instid0(SALU_CYCLE_1)
	s_mov_b32 s2, exec_lo
	s_wait_storecnt 0x0
	s_barrier_signal -1
	s_barrier_wait -1
	v_cmpx_eq_u32_e32 6, v86
	s_cbranch_execz .LBB99_62
; %bb.56:
	ds_store_b64 v87, v[24:25]
	ds_store_2addr_b64 v96, v[20:21], v[38:39] offset0:7 offset1:8
	ds_store_2addr_b64 v96, v[34:35], v[36:37] offset0:9 offset1:10
	;; [unrolled: 1-line block ×21, first 2 shown]
	ds_store_b64 v96, v[200:201] offset:392
	ds_load_b64 v[0:1], v87
	s_wait_dscnt 0x0
	v_cmp_neq_f32_e32 vcc_lo, 0, v0
	v_cmp_neq_f32_e64 s1, 0, v1
	s_or_b32 s1, vcc_lo, s1
	s_delay_alu instid0(SALU_CYCLE_1)
	s_and_b32 exec_lo, exec_lo, s1
	s_cbranch_execz .LBB99_62
; %bb.57:
	v_cmp_ngt_f32_e64 s1, |v0|, |v1|
                                        ; implicit-def: $vgpr2_vgpr3
	s_and_saveexec_b32 s4, s1
	s_delay_alu instid0(SALU_CYCLE_1)
	s_xor_b32 s1, exec_lo, s4
	s_cbranch_execz .LBB99_59
; %bb.58:
	v_div_scale_f32 v2, null, v1, v1, v0
	v_div_scale_f32 v5, vcc_lo, v0, v1, v0
	s_delay_alu instid0(VALU_DEP_2) | instskip(SKIP_1) | instid1(TRANS32_DEP_1)
	v_rcp_f32_e32 v3, v2
	v_nop
	v_fma_f32 v4, -v2, v3, 1.0
	s_delay_alu instid0(VALU_DEP_1) | instskip(NEXT) | instid1(VALU_DEP_1)
	v_fmac_f32_e32 v3, v4, v3
	v_mul_f32_e32 v4, v5, v3
	s_delay_alu instid0(VALU_DEP_1) | instskip(NEXT) | instid1(VALU_DEP_1)
	v_fma_f32 v6, -v2, v4, v5
	v_fmac_f32_e32 v4, v6, v3
	s_delay_alu instid0(VALU_DEP_1) | instskip(NEXT) | instid1(VALU_DEP_1)
	v_fma_f32 v2, -v2, v4, v5
	v_div_fmas_f32 v2, v2, v3, v4
	s_delay_alu instid0(VALU_DEP_1) | instskip(NEXT) | instid1(VALU_DEP_1)
	v_div_fixup_f32 v2, v2, v1, v0
	v_fmac_f32_e32 v1, v0, v2
	s_delay_alu instid0(VALU_DEP_1) | instskip(SKIP_1) | instid1(VALU_DEP_2)
	v_div_scale_f32 v0, null, v1, v1, 1.0
	v_div_scale_f32 v5, vcc_lo, 1.0, v1, 1.0
	v_rcp_f32_e32 v3, v0
	v_nop
	s_delay_alu instid0(TRANS32_DEP_1) | instskip(NEXT) | instid1(VALU_DEP_1)
	v_fma_f32 v4, -v0, v3, 1.0
	v_fmac_f32_e32 v3, v4, v3
	s_delay_alu instid0(VALU_DEP_1) | instskip(NEXT) | instid1(VALU_DEP_1)
	v_mul_f32_e32 v4, v5, v3
	v_fma_f32 v6, -v0, v4, v5
	s_delay_alu instid0(VALU_DEP_1) | instskip(NEXT) | instid1(VALU_DEP_1)
	v_fmac_f32_e32 v4, v6, v3
	v_fma_f32 v0, -v0, v4, v5
	s_delay_alu instid0(VALU_DEP_1) | instskip(NEXT) | instid1(VALU_DEP_1)
	v_div_fmas_f32 v0, v0, v3, v4
	v_div_fixup_f32 v0, v0, v1, 1.0
	s_delay_alu instid0(VALU_DEP_1)
	v_mul_f32_e32 v2, v2, v0
	v_xor_b32_e32 v3, 0x80000000, v0
                                        ; implicit-def: $vgpr0_vgpr1
.LBB99_59:
	s_and_not1_saveexec_b32 s1, s1
	s_cbranch_execz .LBB99_61
; %bb.60:
	v_div_scale_f32 v2, null, v0, v0, v1
	v_div_scale_f32 v5, vcc_lo, v1, v0, v1
	s_delay_alu instid0(VALU_DEP_2) | instskip(SKIP_1) | instid1(TRANS32_DEP_1)
	v_rcp_f32_e32 v3, v2
	v_nop
	v_fma_f32 v4, -v2, v3, 1.0
	s_delay_alu instid0(VALU_DEP_1) | instskip(NEXT) | instid1(VALU_DEP_1)
	v_fmac_f32_e32 v3, v4, v3
	v_mul_f32_e32 v4, v5, v3
	s_delay_alu instid0(VALU_DEP_1) | instskip(NEXT) | instid1(VALU_DEP_1)
	v_fma_f32 v6, -v2, v4, v5
	v_fmac_f32_e32 v4, v6, v3
	s_delay_alu instid0(VALU_DEP_1) | instskip(NEXT) | instid1(VALU_DEP_1)
	v_fma_f32 v2, -v2, v4, v5
	v_div_fmas_f32 v2, v2, v3, v4
	s_delay_alu instid0(VALU_DEP_1) | instskip(NEXT) | instid1(VALU_DEP_1)
	v_div_fixup_f32 v3, v2, v0, v1
	v_fmac_f32_e32 v0, v1, v3
	s_delay_alu instid0(VALU_DEP_1) | instskip(NEXT) | instid1(VALU_DEP_1)
	v_div_scale_f32 v1, null, v0, v0, 1.0
	v_rcp_f32_e32 v2, v1
	v_nop
	s_delay_alu instid0(TRANS32_DEP_1) | instskip(NEXT) | instid1(VALU_DEP_1)
	v_fma_f32 v4, -v1, v2, 1.0
	v_fmac_f32_e32 v2, v4, v2
	v_div_scale_f32 v4, vcc_lo, 1.0, v0, 1.0
	s_delay_alu instid0(VALU_DEP_1) | instskip(NEXT) | instid1(VALU_DEP_1)
	v_mul_f32_e32 v5, v4, v2
	v_fma_f32 v6, -v1, v5, v4
	s_delay_alu instid0(VALU_DEP_1) | instskip(NEXT) | instid1(VALU_DEP_1)
	v_fmac_f32_e32 v5, v6, v2
	v_fma_f32 v1, -v1, v5, v4
	s_delay_alu instid0(VALU_DEP_1) | instskip(NEXT) | instid1(VALU_DEP_1)
	v_div_fmas_f32 v1, v1, v2, v5
	v_div_fixup_f32 v2, v1, v0, 1.0
	s_delay_alu instid0(VALU_DEP_1)
	v_mul_f32_e64 v3, v3, -v2
.LBB99_61:
	s_or_b32 exec_lo, exec_lo, s1
	ds_store_b64 v87, v[2:3]
.LBB99_62:
	s_or_b32 exec_lo, exec_lo, s2
	s_wait_dscnt 0x0
	s_barrier_signal -1
	s_barrier_wait -1
	ds_load_b64 v[0:1], v87
	s_mov_b32 s1, exec_lo
	s_wait_dscnt 0x0
	scratch_store_b64 off, v[0:1], off offset:56 ; 8-byte Folded Spill
	s_wait_xcnt 0x0
	v_cmpx_lt_u32_e32 6, v86
	s_cbranch_execz .LBB99_64
; %bb.63:
	scratch_load_b64 v[4:5], off, off offset:56 ; 8-byte Folded Reload
	s_wait_loadcnt 0x0
	v_pk_mul_f32 v[2:3], v[4:5], v[24:25] op_sel:[1,1] op_sel_hi:[0,1]
	s_delay_alu instid0(VALU_DEP_1)
	v_pk_fma_f32 v[0:1], v[4:5], v[24:25], v[2:3] op_sel_hi:[1,0,1] neg_lo:[0,0,1] neg_hi:[0,0,1]
	v_pk_fma_f32 v[2:3], v[4:5], v[24:25], v[2:3] op_sel_hi:[1,0,1]
	ds_load_2addr_b64 v[4:7], v96 offset0:7 offset1:8
	v_dual_mov_b32 v24, v0 :: v_dual_mov_b32 v25, v3
	s_wait_dscnt 0x0
	v_pk_mul_f32 v[8:9], v[4:5], v[2:3] op_sel:[0,1]
	s_delay_alu instid0(VALU_DEP_1) | instskip(SKIP_1) | instid1(VALU_DEP_1)
	v_pk_fma_f32 v[10:11], v[4:5], v[0:1], v[8:9] op_sel:[0,0,1] op_sel_hi:[1,1,0] neg_lo:[0,0,1] neg_hi:[0,0,1]
	v_pk_fma_f32 v[4:5], v[4:5], v[0:1], v[8:9] op_sel:[0,0,1] op_sel_hi:[1,0,0]
	v_mov_b32_e32 v11, v5
	v_pk_mul_f32 v[4:5], v[6:7], v[2:3] op_sel:[0,1]
	s_delay_alu instid0(VALU_DEP_1) | instskip(SKIP_1) | instid1(VALU_DEP_1)
	v_pk_fma_f32 v[8:9], v[6:7], v[0:1], v[4:5] op_sel:[0,0,1] op_sel_hi:[1,1,0] neg_lo:[0,0,1] neg_hi:[0,0,1]
	v_pk_fma_f32 v[4:5], v[6:7], v[0:1], v[4:5] op_sel:[0,0,1] op_sel_hi:[1,0,0]
	v_mov_b32_e32 v9, v5
	ds_load_2addr_b64 v[4:7], v96 offset0:9 offset1:10
	v_pk_add_f32 v[20:21], v[20:21], v[10:11] neg_lo:[0,1] neg_hi:[0,1]
	v_pk_add_f32 v[38:39], v[38:39], v[8:9] neg_lo:[0,1] neg_hi:[0,1]
	s_wait_dscnt 0x0
	v_pk_mul_f32 v[8:9], v[4:5], v[2:3] op_sel:[0,1]
	s_delay_alu instid0(VALU_DEP_1) | instskip(SKIP_2) | instid1(VALU_DEP_2)
	v_pk_fma_f32 v[10:11], v[4:5], v[0:1], v[8:9] op_sel:[0,0,1] op_sel_hi:[1,1,0] neg_lo:[0,0,1] neg_hi:[0,0,1]
	v_pk_fma_f32 v[4:5], v[4:5], v[0:1], v[8:9] op_sel:[0,0,1] op_sel_hi:[1,0,0]
	v_dual_mul_f32 v8, v7, v3 :: v_dual_mov_b32 v4, v7
	v_dual_mov_b32 v11, v5 :: v_dual_mov_b32 v5, v6
	s_delay_alu instid0(VALU_DEP_2) | instskip(SKIP_1) | instid1(VALU_DEP_3)
	v_pk_fma_f32 v[8:9], v[6:7], v[24:25], v[8:9] op_sel_hi:[1,1,0] neg_lo:[0,0,1] neg_hi:[0,0,1]
	v_mul_f32_e32 v6, v7, v0
	v_pk_add_f32 v[34:35], v[34:35], v[10:11] neg_lo:[0,1] neg_hi:[0,1]
	s_delay_alu instid0(VALU_DEP_2) | instskip(NEXT) | instid1(VALU_DEP_1)
	v_pk_fma_f32 v[4:5], v[4:5], v[24:25], v[6:7] op_sel_hi:[1,1,0]
	v_mov_b32_e32 v9, v5
	ds_load_2addr_b64 v[4:7], v96 offset0:11 offset1:12
	v_pk_add_f32 v[36:37], v[36:37], v[8:9] neg_lo:[0,1] neg_hi:[0,1]
	s_wait_dscnt 0x0
	v_pk_mul_f32 v[8:9], v[4:5], v[2:3] op_sel:[0,1]
	s_delay_alu instid0(VALU_DEP_1) | instskip(SKIP_1) | instid1(VALU_DEP_1)
	v_pk_fma_f32 v[10:11], v[4:5], v[0:1], v[8:9] op_sel:[0,0,1] op_sel_hi:[1,1,0] neg_lo:[0,0,1] neg_hi:[0,0,1]
	v_pk_fma_f32 v[4:5], v[4:5], v[0:1], v[8:9] op_sel:[0,0,1] op_sel_hi:[1,0,0]
	v_mov_b32_e32 v11, v5
	v_pk_mul_f32 v[4:5], v[6:7], v[2:3] op_sel:[0,1]
	s_delay_alu instid0(VALU_DEP_1) | instskip(SKIP_1) | instid1(VALU_DEP_1)
	v_pk_fma_f32 v[8:9], v[6:7], v[0:1], v[4:5] op_sel:[0,0,1] op_sel_hi:[1,1,0] neg_lo:[0,0,1] neg_hi:[0,0,1]
	v_pk_fma_f32 v[4:5], v[6:7], v[0:1], v[4:5] op_sel:[0,0,1] op_sel_hi:[1,0,0]
	v_mov_b32_e32 v9, v5
	ds_load_2addr_b64 v[4:7], v96 offset0:13 offset1:14
	v_pk_add_f32 v[32:33], v[32:33], v[10:11] neg_lo:[0,1] neg_hi:[0,1]
	v_pk_add_f32 v[54:55], v[54:55], v[8:9] neg_lo:[0,1] neg_hi:[0,1]
	s_wait_dscnt 0x0
	v_pk_mul_f32 v[8:9], v[4:5], v[2:3] op_sel:[0,1]
	s_delay_alu instid0(VALU_DEP_1) | instskip(SKIP_1) | instid1(VALU_DEP_1)
	v_pk_fma_f32 v[10:11], v[4:5], v[0:1], v[8:9] op_sel:[0,0,1] op_sel_hi:[1,1,0] neg_lo:[0,0,1] neg_hi:[0,0,1]
	v_pk_fma_f32 v[4:5], v[4:5], v[0:1], v[8:9] op_sel:[0,0,1] op_sel_hi:[1,0,0]
	v_mov_b32_e32 v11, v5
	v_pk_mul_f32 v[4:5], v[6:7], v[2:3] op_sel:[0,1]
	s_delay_alu instid0(VALU_DEP_1) | instskip(SKIP_1) | instid1(VALU_DEP_1)
	v_pk_fma_f32 v[8:9], v[6:7], v[0:1], v[4:5] op_sel:[0,0,1] op_sel_hi:[1,1,0] neg_lo:[0,0,1] neg_hi:[0,0,1]
	v_pk_fma_f32 v[4:5], v[6:7], v[0:1], v[4:5] op_sel:[0,0,1] op_sel_hi:[1,0,0]
	v_mov_b32_e32 v9, v5
	ds_load_2addr_b64 v[4:7], v96 offset0:15 offset1:16
	v_pk_add_f32 v[50:51], v[50:51], v[10:11] neg_lo:[0,1] neg_hi:[0,1]
	v_pk_add_f32 v[52:53], v[52:53], v[8:9] neg_lo:[0,1] neg_hi:[0,1]
	s_wait_dscnt 0x0
	v_dual_mul_f32 v8, v5, v3 :: v_dual_mul_f32 v10, v5, v0
	s_delay_alu instid0(VALU_DEP_1) | instskip(NEXT) | instid1(VALU_DEP_2)
	v_pk_fma_f32 v[8:9], v[4:5], v[24:25], v[8:9] op_sel_hi:[1,1,0] neg_lo:[0,0,1] neg_hi:[0,0,1]
	v_pk_fma_f32 v[4:5], v[4:5], v[24:25], v[10:11] op_sel:[1,0,0] op_sel_hi:[0,1,0]
	s_delay_alu instid0(VALU_DEP_1) | instskip(SKIP_1) | instid1(VALU_DEP_2)
	v_mov_b32_e32 v9, v5
	v_pk_mul_f32 v[4:5], v[6:7], v[2:3] op_sel:[0,1]
	v_pk_add_f32 v[48:49], v[48:49], v[8:9] neg_lo:[0,1] neg_hi:[0,1]
	s_delay_alu instid0(VALU_DEP_2) | instskip(SKIP_1) | instid1(VALU_DEP_1)
	v_pk_fma_f32 v[8:9], v[6:7], v[0:1], v[4:5] op_sel:[0,0,1] op_sel_hi:[1,1,0] neg_lo:[0,0,1] neg_hi:[0,0,1]
	v_pk_fma_f32 v[4:5], v[6:7], v[0:1], v[4:5] op_sel:[0,0,1] op_sel_hi:[1,0,0]
	v_mov_b32_e32 v9, v5
	ds_load_2addr_b64 v[4:7], v96 offset0:17 offset1:18
	v_pk_add_f32 v[78:79], v[78:79], v[8:9] neg_lo:[0,1] neg_hi:[0,1]
	s_wait_dscnt 0x0
	v_pk_mul_f32 v[8:9], v[4:5], v[2:3] op_sel:[0,1]
	s_delay_alu instid0(VALU_DEP_1) | instskip(SKIP_1) | instid1(VALU_DEP_1)
	v_pk_fma_f32 v[10:11], v[4:5], v[0:1], v[8:9] op_sel:[0,0,1] op_sel_hi:[1,1,0] neg_lo:[0,0,1] neg_hi:[0,0,1]
	v_pk_fma_f32 v[4:5], v[4:5], v[0:1], v[8:9] op_sel:[0,0,1] op_sel_hi:[1,0,0]
	v_mov_b32_e32 v11, v5
	v_pk_mul_f32 v[4:5], v[6:7], v[2:3] op_sel:[0,1]
	s_delay_alu instid0(VALU_DEP_2) | instskip(NEXT) | instid1(VALU_DEP_2)
	v_pk_add_f32 v[74:75], v[74:75], v[10:11] neg_lo:[0,1] neg_hi:[0,1]
	v_pk_fma_f32 v[8:9], v[6:7], v[0:1], v[4:5] op_sel:[0,0,1] op_sel_hi:[1,1,0] neg_lo:[0,0,1] neg_hi:[0,0,1]
	v_pk_fma_f32 v[4:5], v[6:7], v[0:1], v[4:5] op_sel:[0,0,1] op_sel_hi:[1,0,0]
	s_delay_alu instid0(VALU_DEP_1) | instskip(SKIP_4) | instid1(VALU_DEP_1)
	v_mov_b32_e32 v9, v5
	ds_load_2addr_b64 v[4:7], v96 offset0:19 offset1:20
	v_pk_add_f32 v[76:77], v[76:77], v[8:9] neg_lo:[0,1] neg_hi:[0,1]
	s_wait_dscnt 0x0
	v_pk_mul_f32 v[8:9], v[4:5], v[2:3] op_sel:[0,1]
	v_pk_fma_f32 v[10:11], v[4:5], v[0:1], v[8:9] op_sel:[0,0,1] op_sel_hi:[1,1,0] neg_lo:[0,0,1] neg_hi:[0,0,1]
	v_pk_fma_f32 v[4:5], v[4:5], v[0:1], v[8:9] op_sel:[0,0,1] op_sel_hi:[1,0,0]
	v_dual_mul_f32 v8, v7, v3 :: v_dual_mov_b32 v4, v7
	s_delay_alu instid0(VALU_DEP_2) | instskip(NEXT) | instid1(VALU_DEP_2)
	v_dual_mov_b32 v11, v5 :: v_dual_mov_b32 v5, v6
	v_pk_fma_f32 v[8:9], v[6:7], v[24:25], v[8:9] op_sel_hi:[1,1,0] neg_lo:[0,0,1] neg_hi:[0,0,1]
	v_mul_f32_e32 v6, v7, v0
	s_delay_alu instid0(VALU_DEP_3) | instskip(NEXT) | instid1(VALU_DEP_2)
	v_pk_add_f32 v[72:73], v[72:73], v[10:11] neg_lo:[0,1] neg_hi:[0,1]
	v_pk_fma_f32 v[4:5], v[4:5], v[24:25], v[6:7] op_sel_hi:[1,1,0]
	s_delay_alu instid0(VALU_DEP_1) | instskip(SKIP_4) | instid1(VALU_DEP_1)
	v_mov_b32_e32 v9, v5
	ds_load_2addr_b64 v[4:7], v96 offset0:21 offset1:22
	v_pk_add_f32 v[94:95], v[94:95], v[8:9] neg_lo:[0,1] neg_hi:[0,1]
	s_wait_dscnt 0x0
	v_pk_mul_f32 v[8:9], v[4:5], v[2:3] op_sel:[0,1]
	v_pk_fma_f32 v[10:11], v[4:5], v[0:1], v[8:9] op_sel:[0,0,1] op_sel_hi:[1,1,0] neg_lo:[0,0,1] neg_hi:[0,0,1]
	v_pk_fma_f32 v[4:5], v[4:5], v[0:1], v[8:9] op_sel:[0,0,1] op_sel_hi:[1,0,0]
	s_delay_alu instid0(VALU_DEP_1) | instskip(SKIP_1) | instid1(VALU_DEP_1)
	v_mov_b32_e32 v11, v5
	v_pk_mul_f32 v[4:5], v[6:7], v[2:3] op_sel:[0,1]
	v_pk_fma_f32 v[8:9], v[6:7], v[0:1], v[4:5] op_sel:[0,0,1] op_sel_hi:[1,1,0] neg_lo:[0,0,1] neg_hi:[0,0,1]
	v_pk_fma_f32 v[4:5], v[6:7], v[0:1], v[4:5] op_sel:[0,0,1] op_sel_hi:[1,0,0]
	s_delay_alu instid0(VALU_DEP_1)
	v_mov_b32_e32 v9, v5
	ds_load_2addr_b64 v[4:7], v96 offset0:23 offset1:24
	v_pk_add_f32 v[90:91], v[90:91], v[10:11] neg_lo:[0,1] neg_hi:[0,1]
	v_pk_add_f32 v[92:93], v[92:93], v[8:9] neg_lo:[0,1] neg_hi:[0,1]
	s_wait_dscnt 0x0
	v_pk_mul_f32 v[8:9], v[4:5], v[2:3] op_sel:[0,1]
	s_delay_alu instid0(VALU_DEP_1) | instskip(SKIP_1) | instid1(VALU_DEP_1)
	v_pk_fma_f32 v[10:11], v[4:5], v[0:1], v[8:9] op_sel:[0,0,1] op_sel_hi:[1,1,0] neg_lo:[0,0,1] neg_hi:[0,0,1]
	v_pk_fma_f32 v[4:5], v[4:5], v[0:1], v[8:9] op_sel:[0,0,1] op_sel_hi:[1,0,0]
	v_mov_b32_e32 v11, v5
	v_pk_mul_f32 v[4:5], v[6:7], v[2:3] op_sel:[0,1]
	s_delay_alu instid0(VALU_DEP_1) | instskip(SKIP_1) | instid1(VALU_DEP_1)
	v_pk_fma_f32 v[8:9], v[6:7], v[0:1], v[4:5] op_sel:[0,0,1] op_sel_hi:[1,1,0] neg_lo:[0,0,1] neg_hi:[0,0,1]
	v_pk_fma_f32 v[4:5], v[6:7], v[0:1], v[4:5] op_sel:[0,0,1] op_sel_hi:[1,0,0]
	v_mov_b32_e32 v9, v5
	ds_load_2addr_b64 v[4:7], v96 offset0:25 offset1:26
	v_pk_add_f32 v[88:89], v[88:89], v[10:11] neg_lo:[0,1] neg_hi:[0,1]
	v_pk_add_f32 v[112:113], v[112:113], v[8:9] neg_lo:[0,1] neg_hi:[0,1]
	s_wait_dscnt 0x0
	v_dual_mul_f32 v8, v5, v3 :: v_dual_mul_f32 v10, v5, v0
	s_delay_alu instid0(VALU_DEP_1) | instskip(NEXT) | instid1(VALU_DEP_2)
	v_pk_fma_f32 v[8:9], v[4:5], v[24:25], v[8:9] op_sel_hi:[1,1,0] neg_lo:[0,0,1] neg_hi:[0,0,1]
	v_pk_fma_f32 v[4:5], v[4:5], v[24:25], v[10:11] op_sel:[1,0,0] op_sel_hi:[0,1,0]
	s_delay_alu instid0(VALU_DEP_1) | instskip(SKIP_1) | instid1(VALU_DEP_2)
	v_mov_b32_e32 v9, v5
	v_pk_mul_f32 v[4:5], v[6:7], v[2:3] op_sel:[0,1]
	v_pk_add_f32 v[108:109], v[108:109], v[8:9] neg_lo:[0,1] neg_hi:[0,1]
	s_delay_alu instid0(VALU_DEP_2) | instskip(SKIP_1) | instid1(VALU_DEP_1)
	v_pk_fma_f32 v[8:9], v[6:7], v[0:1], v[4:5] op_sel:[0,0,1] op_sel_hi:[1,1,0] neg_lo:[0,0,1] neg_hi:[0,0,1]
	v_pk_fma_f32 v[4:5], v[6:7], v[0:1], v[4:5] op_sel:[0,0,1] op_sel_hi:[1,0,0]
	v_mov_b32_e32 v9, v5
	ds_load_2addr_b64 v[4:7], v96 offset0:27 offset1:28
	v_pk_add_f32 v[110:111], v[110:111], v[8:9] neg_lo:[0,1] neg_hi:[0,1]
	s_wait_dscnt 0x0
	v_pk_mul_f32 v[8:9], v[4:5], v[2:3] op_sel:[0,1]
	s_delay_alu instid0(VALU_DEP_1) | instskip(SKIP_1) | instid1(VALU_DEP_1)
	v_pk_fma_f32 v[10:11], v[4:5], v[0:1], v[8:9] op_sel:[0,0,1] op_sel_hi:[1,1,0] neg_lo:[0,0,1] neg_hi:[0,0,1]
	v_pk_fma_f32 v[4:5], v[4:5], v[0:1], v[8:9] op_sel:[0,0,1] op_sel_hi:[1,0,0]
	v_mov_b32_e32 v11, v5
	v_pk_mul_f32 v[4:5], v[6:7], v[2:3] op_sel:[0,1]
	s_delay_alu instid0(VALU_DEP_2) | instskip(NEXT) | instid1(VALU_DEP_2)
	v_pk_add_f32 v[106:107], v[106:107], v[10:11] neg_lo:[0,1] neg_hi:[0,1]
	v_pk_fma_f32 v[8:9], v[6:7], v[0:1], v[4:5] op_sel:[0,0,1] op_sel_hi:[1,1,0] neg_lo:[0,0,1] neg_hi:[0,0,1]
	v_pk_fma_f32 v[4:5], v[6:7], v[0:1], v[4:5] op_sel:[0,0,1] op_sel_hi:[1,0,0]
	s_delay_alu instid0(VALU_DEP_1) | instskip(SKIP_4) | instid1(VALU_DEP_1)
	v_mov_b32_e32 v9, v5
	ds_load_2addr_b64 v[4:7], v96 offset0:29 offset1:30
	v_pk_add_f32 v[128:129], v[128:129], v[8:9] neg_lo:[0,1] neg_hi:[0,1]
	s_wait_dscnt 0x0
	v_pk_mul_f32 v[8:9], v[4:5], v[2:3] op_sel:[0,1]
	v_pk_fma_f32 v[10:11], v[4:5], v[0:1], v[8:9] op_sel:[0,0,1] op_sel_hi:[1,1,0] neg_lo:[0,0,1] neg_hi:[0,0,1]
	v_pk_fma_f32 v[4:5], v[4:5], v[0:1], v[8:9] op_sel:[0,0,1] op_sel_hi:[1,0,0]
	v_dual_mul_f32 v8, v7, v3 :: v_dual_mov_b32 v4, v7
	s_delay_alu instid0(VALU_DEP_2) | instskip(NEXT) | instid1(VALU_DEP_2)
	v_dual_mov_b32 v11, v5 :: v_dual_mov_b32 v5, v6
	v_pk_fma_f32 v[8:9], v[6:7], v[24:25], v[8:9] op_sel_hi:[1,1,0] neg_lo:[0,0,1] neg_hi:[0,0,1]
	v_mul_f32_e32 v6, v7, v0
	s_delay_alu instid0(VALU_DEP_3) | instskip(NEXT) | instid1(VALU_DEP_2)
	v_pk_add_f32 v[124:125], v[124:125], v[10:11] neg_lo:[0,1] neg_hi:[0,1]
	v_pk_fma_f32 v[4:5], v[4:5], v[24:25], v[6:7] op_sel_hi:[1,1,0]
	s_delay_alu instid0(VALU_DEP_1) | instskip(SKIP_4) | instid1(VALU_DEP_1)
	v_mov_b32_e32 v9, v5
	ds_load_2addr_b64 v[4:7], v96 offset0:31 offset1:32
	v_pk_add_f32 v[126:127], v[126:127], v[8:9] neg_lo:[0,1] neg_hi:[0,1]
	s_wait_dscnt 0x0
	v_pk_mul_f32 v[8:9], v[4:5], v[2:3] op_sel:[0,1]
	v_pk_fma_f32 v[10:11], v[4:5], v[0:1], v[8:9] op_sel:[0,0,1] op_sel_hi:[1,1,0] neg_lo:[0,0,1] neg_hi:[0,0,1]
	v_pk_fma_f32 v[4:5], v[4:5], v[0:1], v[8:9] op_sel:[0,0,1] op_sel_hi:[1,0,0]
	s_delay_alu instid0(VALU_DEP_1) | instskip(SKIP_1) | instid1(VALU_DEP_1)
	v_mov_b32_e32 v11, v5
	v_pk_mul_f32 v[4:5], v[6:7], v[2:3] op_sel:[0,1]
	v_pk_fma_f32 v[8:9], v[6:7], v[0:1], v[4:5] op_sel:[0,0,1] op_sel_hi:[1,1,0] neg_lo:[0,0,1] neg_hi:[0,0,1]
	v_pk_fma_f32 v[4:5], v[6:7], v[0:1], v[4:5] op_sel:[0,0,1] op_sel_hi:[1,0,0]
	s_delay_alu instid0(VALU_DEP_1)
	v_mov_b32_e32 v9, v5
	ds_load_2addr_b64 v[4:7], v96 offset0:33 offset1:34
	v_pk_add_f32 v[122:123], v[122:123], v[10:11] neg_lo:[0,1] neg_hi:[0,1]
	v_pk_add_f32 v[144:145], v[144:145], v[8:9] neg_lo:[0,1] neg_hi:[0,1]
	s_wait_dscnt 0x0
	v_pk_mul_f32 v[8:9], v[4:5], v[2:3] op_sel:[0,1]
	s_delay_alu instid0(VALU_DEP_1) | instskip(SKIP_1) | instid1(VALU_DEP_1)
	v_pk_fma_f32 v[10:11], v[4:5], v[0:1], v[8:9] op_sel:[0,0,1] op_sel_hi:[1,1,0] neg_lo:[0,0,1] neg_hi:[0,0,1]
	v_pk_fma_f32 v[4:5], v[4:5], v[0:1], v[8:9] op_sel:[0,0,1] op_sel_hi:[1,0,0]
	v_mov_b32_e32 v11, v5
	v_pk_mul_f32 v[4:5], v[6:7], v[2:3] op_sel:[0,1]
	s_delay_alu instid0(VALU_DEP_1) | instskip(SKIP_1) | instid1(VALU_DEP_1)
	v_pk_fma_f32 v[8:9], v[6:7], v[0:1], v[4:5] op_sel:[0,0,1] op_sel_hi:[1,1,0] neg_lo:[0,0,1] neg_hi:[0,0,1]
	v_pk_fma_f32 v[4:5], v[6:7], v[0:1], v[4:5] op_sel:[0,0,1] op_sel_hi:[1,0,0]
	v_mov_b32_e32 v9, v5
	ds_load_2addr_b64 v[4:7], v96 offset0:35 offset1:36
	v_pk_add_f32 v[140:141], v[140:141], v[10:11] neg_lo:[0,1] neg_hi:[0,1]
	v_pk_add_f32 v[142:143], v[142:143], v[8:9] neg_lo:[0,1] neg_hi:[0,1]
	s_wait_dscnt 0x0
	v_dual_mul_f32 v8, v5, v3 :: v_dual_mul_f32 v10, v5, v0
	s_delay_alu instid0(VALU_DEP_1) | instskip(NEXT) | instid1(VALU_DEP_2)
	v_pk_fma_f32 v[8:9], v[4:5], v[24:25], v[8:9] op_sel_hi:[1,1,0] neg_lo:[0,0,1] neg_hi:[0,0,1]
	v_pk_fma_f32 v[4:5], v[4:5], v[24:25], v[10:11] op_sel:[1,0,0] op_sel_hi:[0,1,0]
	s_delay_alu instid0(VALU_DEP_1) | instskip(SKIP_1) | instid1(VALU_DEP_2)
	v_mov_b32_e32 v9, v5
	v_pk_mul_f32 v[4:5], v[6:7], v[2:3] op_sel:[0,1]
	v_pk_add_f32 v[138:139], v[138:139], v[8:9] neg_lo:[0,1] neg_hi:[0,1]
	s_delay_alu instid0(VALU_DEP_2) | instskip(SKIP_1) | instid1(VALU_DEP_1)
	v_pk_fma_f32 v[8:9], v[6:7], v[0:1], v[4:5] op_sel:[0,0,1] op_sel_hi:[1,1,0] neg_lo:[0,0,1] neg_hi:[0,0,1]
	v_pk_fma_f32 v[4:5], v[6:7], v[0:1], v[4:5] op_sel:[0,0,1] op_sel_hi:[1,0,0]
	v_mov_b32_e32 v9, v5
	ds_load_2addr_b64 v[4:7], v96 offset0:37 offset1:38
	v_pk_add_f32 v[162:163], v[162:163], v[8:9] neg_lo:[0,1] neg_hi:[0,1]
	s_wait_dscnt 0x0
	v_pk_mul_f32 v[8:9], v[4:5], v[2:3] op_sel:[0,1]
	s_delay_alu instid0(VALU_DEP_1) | instskip(SKIP_1) | instid1(VALU_DEP_1)
	v_pk_fma_f32 v[10:11], v[4:5], v[0:1], v[8:9] op_sel:[0,0,1] op_sel_hi:[1,1,0] neg_lo:[0,0,1] neg_hi:[0,0,1]
	v_pk_fma_f32 v[4:5], v[4:5], v[0:1], v[8:9] op_sel:[0,0,1] op_sel_hi:[1,0,0]
	v_mov_b32_e32 v11, v5
	v_pk_mul_f32 v[4:5], v[6:7], v[2:3] op_sel:[0,1]
	s_delay_alu instid0(VALU_DEP_2) | instskip(NEXT) | instid1(VALU_DEP_2)
	v_pk_add_f32 v[158:159], v[158:159], v[10:11] neg_lo:[0,1] neg_hi:[0,1]
	v_pk_fma_f32 v[8:9], v[6:7], v[0:1], v[4:5] op_sel:[0,0,1] op_sel_hi:[1,1,0] neg_lo:[0,0,1] neg_hi:[0,0,1]
	v_pk_fma_f32 v[4:5], v[6:7], v[0:1], v[4:5] op_sel:[0,0,1] op_sel_hi:[1,0,0]
	s_delay_alu instid0(VALU_DEP_1) | instskip(SKIP_4) | instid1(VALU_DEP_1)
	v_mov_b32_e32 v9, v5
	ds_load_2addr_b64 v[4:7], v96 offset0:39 offset1:40
	v_pk_add_f32 v[160:161], v[160:161], v[8:9] neg_lo:[0,1] neg_hi:[0,1]
	s_wait_dscnt 0x0
	v_pk_mul_f32 v[8:9], v[4:5], v[2:3] op_sel:[0,1]
	v_pk_fma_f32 v[10:11], v[4:5], v[0:1], v[8:9] op_sel:[0,0,1] op_sel_hi:[1,1,0] neg_lo:[0,0,1] neg_hi:[0,0,1]
	v_pk_fma_f32 v[4:5], v[4:5], v[0:1], v[8:9] op_sel:[0,0,1] op_sel_hi:[1,0,0]
	v_dual_mul_f32 v8, v7, v3 :: v_dual_mov_b32 v4, v7
	s_delay_alu instid0(VALU_DEP_2) | instskip(NEXT) | instid1(VALU_DEP_2)
	v_dual_mov_b32 v11, v5 :: v_dual_mov_b32 v5, v6
	v_pk_fma_f32 v[8:9], v[6:7], v[24:25], v[8:9] op_sel_hi:[1,1,0] neg_lo:[0,0,1] neg_hi:[0,0,1]
	v_mul_f32_e32 v6, v7, v0
	s_delay_alu instid0(VALU_DEP_3) | instskip(NEXT) | instid1(VALU_DEP_2)
	v_pk_add_f32 v[156:157], v[156:157], v[10:11] neg_lo:[0,1] neg_hi:[0,1]
	v_pk_fma_f32 v[4:5], v[4:5], v[24:25], v[6:7] op_sel_hi:[1,1,0]
	s_delay_alu instid0(VALU_DEP_1) | instskip(SKIP_4) | instid1(VALU_DEP_1)
	v_mov_b32_e32 v9, v5
	ds_load_2addr_b64 v[4:7], v96 offset0:41 offset1:42
	v_pk_add_f32 v[180:181], v[180:181], v[8:9] neg_lo:[0,1] neg_hi:[0,1]
	s_wait_dscnt 0x0
	v_pk_mul_f32 v[8:9], v[4:5], v[2:3] op_sel:[0,1]
	v_pk_fma_f32 v[10:11], v[4:5], v[0:1], v[8:9] op_sel:[0,0,1] op_sel_hi:[1,1,0] neg_lo:[0,0,1] neg_hi:[0,0,1]
	v_pk_fma_f32 v[4:5], v[4:5], v[0:1], v[8:9] op_sel:[0,0,1] op_sel_hi:[1,0,0]
	s_delay_alu instid0(VALU_DEP_1) | instskip(SKIP_1) | instid1(VALU_DEP_1)
	v_mov_b32_e32 v11, v5
	v_pk_mul_f32 v[4:5], v[6:7], v[2:3] op_sel:[0,1]
	v_pk_fma_f32 v[8:9], v[6:7], v[0:1], v[4:5] op_sel:[0,0,1] op_sel_hi:[1,1,0] neg_lo:[0,0,1] neg_hi:[0,0,1]
	v_pk_fma_f32 v[4:5], v[6:7], v[0:1], v[4:5] op_sel:[0,0,1] op_sel_hi:[1,0,0]
	s_delay_alu instid0(VALU_DEP_1)
	v_mov_b32_e32 v9, v5
	ds_load_2addr_b64 v[4:7], v96 offset0:43 offset1:44
	v_pk_add_f32 v[176:177], v[176:177], v[10:11] neg_lo:[0,1] neg_hi:[0,1]
	v_pk_add_f32 v[178:179], v[178:179], v[8:9] neg_lo:[0,1] neg_hi:[0,1]
	s_wait_dscnt 0x0
	v_pk_mul_f32 v[8:9], v[4:5], v[2:3] op_sel:[0,1]
	s_delay_alu instid0(VALU_DEP_1) | instskip(SKIP_1) | instid1(VALU_DEP_1)
	v_pk_fma_f32 v[10:11], v[4:5], v[0:1], v[8:9] op_sel:[0,0,1] op_sel_hi:[1,1,0] neg_lo:[0,0,1] neg_hi:[0,0,1]
	v_pk_fma_f32 v[4:5], v[4:5], v[0:1], v[8:9] op_sel:[0,0,1] op_sel_hi:[1,0,0]
	v_mov_b32_e32 v11, v5
	v_pk_mul_f32 v[4:5], v[6:7], v[2:3] op_sel:[0,1]
	s_delay_alu instid0(VALU_DEP_1) | instskip(SKIP_1) | instid1(VALU_DEP_1)
	v_pk_fma_f32 v[8:9], v[6:7], v[0:1], v[4:5] op_sel:[0,0,1] op_sel_hi:[1,1,0] neg_lo:[0,0,1] neg_hi:[0,0,1]
	v_pk_fma_f32 v[4:5], v[6:7], v[0:1], v[4:5] op_sel:[0,0,1] op_sel_hi:[1,0,0]
	v_mov_b32_e32 v9, v5
	ds_load_2addr_b64 v[4:7], v96 offset0:45 offset1:46
	v_pk_add_f32 v[174:175], v[174:175], v[10:11] neg_lo:[0,1] neg_hi:[0,1]
	v_pk_add_f32 v[196:197], v[196:197], v[8:9] neg_lo:[0,1] neg_hi:[0,1]
	s_wait_dscnt 0x0
	v_dual_mul_f32 v8, v5, v3 :: v_dual_mul_f32 v10, v5, v0
	s_delay_alu instid0(VALU_DEP_1) | instskip(NEXT) | instid1(VALU_DEP_2)
	v_pk_fma_f32 v[8:9], v[4:5], v[24:25], v[8:9] op_sel_hi:[1,1,0] neg_lo:[0,0,1] neg_hi:[0,0,1]
	v_pk_fma_f32 v[4:5], v[4:5], v[24:25], v[10:11] op_sel:[1,0,0] op_sel_hi:[0,1,0]
	s_delay_alu instid0(VALU_DEP_1) | instskip(SKIP_1) | instid1(VALU_DEP_2)
	v_mov_b32_e32 v9, v5
	v_pk_mul_f32 v[4:5], v[6:7], v[2:3] op_sel:[0,1]
	v_pk_add_f32 v[192:193], v[192:193], v[8:9] neg_lo:[0,1] neg_hi:[0,1]
	s_delay_alu instid0(VALU_DEP_2) | instskip(SKIP_1) | instid1(VALU_DEP_1)
	v_pk_fma_f32 v[8:9], v[6:7], v[0:1], v[4:5] op_sel:[0,0,1] op_sel_hi:[1,1,0] neg_lo:[0,0,1] neg_hi:[0,0,1]
	v_pk_fma_f32 v[4:5], v[6:7], v[0:1], v[4:5] op_sel:[0,0,1] op_sel_hi:[1,0,0]
	v_mov_b32_e32 v9, v5
	ds_load_2addr_b64 v[4:7], v96 offset0:47 offset1:48
	v_pk_add_f32 v[194:195], v[194:195], v[8:9] neg_lo:[0,1] neg_hi:[0,1]
	s_wait_dscnt 0x0
	v_pk_mul_f32 v[8:9], v[4:5], v[2:3] op_sel:[0,1]
	s_delay_alu instid0(VALU_DEP_1) | instskip(SKIP_1) | instid1(VALU_DEP_1)
	v_pk_fma_f32 v[10:11], v[4:5], v[0:1], v[8:9] op_sel:[0,0,1] op_sel_hi:[1,1,0] neg_lo:[0,0,1] neg_hi:[0,0,1]
	v_pk_fma_f32 v[4:5], v[4:5], v[0:1], v[8:9] op_sel:[0,0,1] op_sel_hi:[1,0,0]
	v_mov_b32_e32 v11, v5
	v_pk_mul_f32 v[4:5], v[6:7], v[2:3] op_sel:[0,1]
	s_delay_alu instid0(VALU_DEP_2) | instskip(NEXT) | instid1(VALU_DEP_2)
	v_pk_add_f32 v[190:191], v[190:191], v[10:11] neg_lo:[0,1] neg_hi:[0,1]
	v_pk_fma_f32 v[8:9], v[6:7], v[0:1], v[4:5] op_sel:[0,0,1] op_sel_hi:[1,1,0] neg_lo:[0,0,1] neg_hi:[0,0,1]
	v_pk_fma_f32 v[4:5], v[6:7], v[0:1], v[4:5] op_sel:[0,0,1] op_sel_hi:[1,0,0]
	s_delay_alu instid0(VALU_DEP_1) | instskip(SKIP_4) | instid1(VALU_DEP_1)
	v_mov_b32_e32 v9, v5
	ds_load_b64 v[4:5], v96 offset:392
	v_pk_add_f32 v[198:199], v[198:199], v[8:9] neg_lo:[0,1] neg_hi:[0,1]
	s_wait_dscnt 0x0
	v_pk_mul_f32 v[2:3], v[4:5], v[2:3] op_sel:[0,1]
	v_pk_fma_f32 v[6:7], v[4:5], v[0:1], v[2:3] op_sel:[0,0,1] op_sel_hi:[1,1,0] neg_lo:[0,0,1] neg_hi:[0,0,1]
	v_pk_fma_f32 v[0:1], v[4:5], v[0:1], v[2:3] op_sel:[0,0,1] op_sel_hi:[1,0,0]
	s_delay_alu instid0(VALU_DEP_1) | instskip(NEXT) | instid1(VALU_DEP_1)
	v_mov_b32_e32 v7, v1
	v_pk_add_f32 v[200:201], v[200:201], v[6:7] neg_lo:[0,1] neg_hi:[0,1]
.LBB99_64:
	s_wait_xcnt 0x0
	s_or_b32 exec_lo, exec_lo, s1
	s_delay_alu instid0(SALU_CYCLE_1)
	s_mov_b32 s2, exec_lo
	s_wait_storecnt 0x0
	s_barrier_signal -1
	s_barrier_wait -1
	v_cmpx_eq_u32_e32 7, v86
	s_cbranch_execz .LBB99_71
; %bb.65:
	v_dual_mov_b32 v0, v38 :: v_dual_mov_b32 v1, v39
	v_dual_mov_b32 v2, v34 :: v_dual_mov_b32 v3, v35
	;; [unrolled: 1-line block ×8, first 2 shown]
	ds_store_b64 v87, v[20:21]
	ds_store_2addr_b64 v96, v[0:1], v[2:3] offset0:8 offset1:9
	ds_store_2addr_b64 v96, v[4:5], v[6:7] offset0:10 offset1:11
	;; [unrolled: 1-line block ×4, first 2 shown]
	v_dual_mov_b32 v0, v78 :: v_dual_mov_b32 v1, v79
	v_dual_mov_b32 v2, v74 :: v_dual_mov_b32 v3, v75
	;; [unrolled: 1-line block ×12, first 2 shown]
	ds_store_2addr_b64 v96, v[0:1], v[2:3] offset0:16 offset1:17
	ds_store_2addr_b64 v96, v[4:5], v[6:7] offset0:18 offset1:19
	;; [unrolled: 1-line block ×6, first 2 shown]
	v_dual_mov_b32 v0, v128 :: v_dual_mov_b32 v1, v129
	v_dual_mov_b32 v2, v124 :: v_dual_mov_b32 v3, v125
	;; [unrolled: 1-line block ×12, first 2 shown]
	ds_store_2addr_b64 v96, v[0:1], v[2:3] offset0:28 offset1:29
	ds_store_2addr_b64 v96, v[4:5], v[6:7] offset0:30 offset1:31
	;; [unrolled: 1-line block ×6, first 2 shown]
	v_dual_mov_b32 v0, v180 :: v_dual_mov_b32 v1, v181
	v_dual_mov_b32 v2, v176 :: v_dual_mov_b32 v3, v177
	;; [unrolled: 1-line block ×9, first 2 shown]
	ds_store_2addr_b64 v96, v[0:1], v[2:3] offset0:40 offset1:41
	ds_store_2addr_b64 v96, v[4:5], v[6:7] offset0:42 offset1:43
	;; [unrolled: 1-line block ×5, first 2 shown]
	ds_load_b64 v[0:1], v87
	s_wait_dscnt 0x0
	v_cmp_neq_f32_e32 vcc_lo, 0, v0
	v_cmp_neq_f32_e64 s1, 0, v1
	s_or_b32 s1, vcc_lo, s1
	s_delay_alu instid0(SALU_CYCLE_1)
	s_and_b32 exec_lo, exec_lo, s1
	s_cbranch_execz .LBB99_71
; %bb.66:
	v_cmp_ngt_f32_e64 s1, |v0|, |v1|
                                        ; implicit-def: $vgpr2_vgpr3
	s_and_saveexec_b32 s4, s1
	s_delay_alu instid0(SALU_CYCLE_1)
	s_xor_b32 s1, exec_lo, s4
	s_cbranch_execz .LBB99_68
; %bb.67:
	v_div_scale_f32 v2, null, v1, v1, v0
	v_div_scale_f32 v5, vcc_lo, v0, v1, v0
	s_delay_alu instid0(VALU_DEP_2) | instskip(SKIP_1) | instid1(TRANS32_DEP_1)
	v_rcp_f32_e32 v3, v2
	v_nop
	v_fma_f32 v4, -v2, v3, 1.0
	s_delay_alu instid0(VALU_DEP_1) | instskip(NEXT) | instid1(VALU_DEP_1)
	v_fmac_f32_e32 v3, v4, v3
	v_mul_f32_e32 v4, v5, v3
	s_delay_alu instid0(VALU_DEP_1) | instskip(NEXT) | instid1(VALU_DEP_1)
	v_fma_f32 v6, -v2, v4, v5
	v_fmac_f32_e32 v4, v6, v3
	s_delay_alu instid0(VALU_DEP_1) | instskip(NEXT) | instid1(VALU_DEP_1)
	v_fma_f32 v2, -v2, v4, v5
	v_div_fmas_f32 v2, v2, v3, v4
	s_delay_alu instid0(VALU_DEP_1) | instskip(NEXT) | instid1(VALU_DEP_1)
	v_div_fixup_f32 v2, v2, v1, v0
	v_fmac_f32_e32 v1, v0, v2
	s_delay_alu instid0(VALU_DEP_1) | instskip(SKIP_1) | instid1(VALU_DEP_2)
	v_div_scale_f32 v0, null, v1, v1, 1.0
	v_div_scale_f32 v5, vcc_lo, 1.0, v1, 1.0
	v_rcp_f32_e32 v3, v0
	v_nop
	s_delay_alu instid0(TRANS32_DEP_1) | instskip(NEXT) | instid1(VALU_DEP_1)
	v_fma_f32 v4, -v0, v3, 1.0
	v_fmac_f32_e32 v3, v4, v3
	s_delay_alu instid0(VALU_DEP_1) | instskip(NEXT) | instid1(VALU_DEP_1)
	v_mul_f32_e32 v4, v5, v3
	v_fma_f32 v6, -v0, v4, v5
	s_delay_alu instid0(VALU_DEP_1) | instskip(NEXT) | instid1(VALU_DEP_1)
	v_fmac_f32_e32 v4, v6, v3
	v_fma_f32 v0, -v0, v4, v5
	s_delay_alu instid0(VALU_DEP_1) | instskip(NEXT) | instid1(VALU_DEP_1)
	v_div_fmas_f32 v0, v0, v3, v4
	v_div_fixup_f32 v0, v0, v1, 1.0
	s_delay_alu instid0(VALU_DEP_1)
	v_mul_f32_e32 v2, v2, v0
	v_xor_b32_e32 v3, 0x80000000, v0
                                        ; implicit-def: $vgpr0_vgpr1
.LBB99_68:
	s_and_not1_saveexec_b32 s1, s1
	s_cbranch_execz .LBB99_70
; %bb.69:
	v_div_scale_f32 v2, null, v0, v0, v1
	v_div_scale_f32 v5, vcc_lo, v1, v0, v1
	s_delay_alu instid0(VALU_DEP_2) | instskip(SKIP_1) | instid1(TRANS32_DEP_1)
	v_rcp_f32_e32 v3, v2
	v_nop
	v_fma_f32 v4, -v2, v3, 1.0
	s_delay_alu instid0(VALU_DEP_1) | instskip(NEXT) | instid1(VALU_DEP_1)
	v_fmac_f32_e32 v3, v4, v3
	v_mul_f32_e32 v4, v5, v3
	s_delay_alu instid0(VALU_DEP_1) | instskip(NEXT) | instid1(VALU_DEP_1)
	v_fma_f32 v6, -v2, v4, v5
	v_fmac_f32_e32 v4, v6, v3
	s_delay_alu instid0(VALU_DEP_1) | instskip(NEXT) | instid1(VALU_DEP_1)
	v_fma_f32 v2, -v2, v4, v5
	v_div_fmas_f32 v2, v2, v3, v4
	s_delay_alu instid0(VALU_DEP_1) | instskip(NEXT) | instid1(VALU_DEP_1)
	v_div_fixup_f32 v3, v2, v0, v1
	v_fmac_f32_e32 v0, v1, v3
	s_delay_alu instid0(VALU_DEP_1) | instskip(NEXT) | instid1(VALU_DEP_1)
	v_div_scale_f32 v1, null, v0, v0, 1.0
	v_rcp_f32_e32 v2, v1
	v_nop
	s_delay_alu instid0(TRANS32_DEP_1) | instskip(NEXT) | instid1(VALU_DEP_1)
	v_fma_f32 v4, -v1, v2, 1.0
	v_fmac_f32_e32 v2, v4, v2
	v_div_scale_f32 v4, vcc_lo, 1.0, v0, 1.0
	s_delay_alu instid0(VALU_DEP_1) | instskip(NEXT) | instid1(VALU_DEP_1)
	v_mul_f32_e32 v5, v4, v2
	v_fma_f32 v6, -v1, v5, v4
	s_delay_alu instid0(VALU_DEP_1) | instskip(NEXT) | instid1(VALU_DEP_1)
	v_fmac_f32_e32 v5, v6, v2
	v_fma_f32 v1, -v1, v5, v4
	s_delay_alu instid0(VALU_DEP_1) | instskip(NEXT) | instid1(VALU_DEP_1)
	v_div_fmas_f32 v1, v1, v2, v5
	v_div_fixup_f32 v2, v1, v0, 1.0
	s_delay_alu instid0(VALU_DEP_1)
	v_mul_f32_e64 v3, v3, -v2
.LBB99_70:
	s_or_b32 exec_lo, exec_lo, s1
	ds_store_b64 v87, v[2:3]
.LBB99_71:
	s_or_b32 exec_lo, exec_lo, s2
	s_wait_dscnt 0x0
	s_barrier_signal -1
	s_barrier_wait -1
	ds_load_b64 v[0:1], v87
	s_mov_b32 s1, exec_lo
	s_wait_dscnt 0x0
	scratch_store_b64 off, v[0:1], off offset:64 ; 8-byte Folded Spill
	s_wait_xcnt 0x0
	v_cmpx_lt_u32_e32 7, v86
	s_cbranch_execz .LBB99_73
; %bb.72:
	scratch_load_b64 v[4:5], off, off offset:64 ; 8-byte Folded Reload
	s_wait_loadcnt 0x0
	v_pk_mul_f32 v[2:3], v[4:5], v[20:21] op_sel:[1,1] op_sel_hi:[0,1]
	s_delay_alu instid0(VALU_DEP_1)
	v_pk_fma_f32 v[0:1], v[4:5], v[20:21], v[2:3] op_sel_hi:[1,0,1] neg_lo:[0,0,1] neg_hi:[0,0,1]
	v_pk_fma_f32 v[2:3], v[4:5], v[20:21], v[2:3] op_sel_hi:[1,0,1]
	ds_load_2addr_b64 v[4:7], v96 offset0:8 offset1:9
	v_dual_mov_b32 v20, v0 :: v_dual_mov_b32 v21, v3
	s_wait_dscnt 0x0
	v_pk_mul_f32 v[8:9], v[4:5], v[2:3] op_sel:[0,1]
	s_delay_alu instid0(VALU_DEP_1) | instskip(SKIP_1) | instid1(VALU_DEP_1)
	v_pk_fma_f32 v[10:11], v[4:5], v[0:1], v[8:9] op_sel:[0,0,1] op_sel_hi:[1,1,0] neg_lo:[0,0,1] neg_hi:[0,0,1]
	v_pk_fma_f32 v[4:5], v[4:5], v[0:1], v[8:9] op_sel:[0,0,1] op_sel_hi:[1,0,0]
	v_mov_b32_e32 v11, v5
	v_pk_mul_f32 v[4:5], v[6:7], v[2:3] op_sel:[0,1]
	s_delay_alu instid0(VALU_DEP_1) | instskip(SKIP_1) | instid1(VALU_DEP_1)
	v_pk_fma_f32 v[8:9], v[6:7], v[0:1], v[4:5] op_sel:[0,0,1] op_sel_hi:[1,1,0] neg_lo:[0,0,1] neg_hi:[0,0,1]
	v_pk_fma_f32 v[4:5], v[6:7], v[0:1], v[4:5] op_sel:[0,0,1] op_sel_hi:[1,0,0]
	v_mov_b32_e32 v9, v5
	ds_load_2addr_b64 v[4:7], v96 offset0:10 offset1:11
	v_pk_add_f32 v[38:39], v[38:39], v[10:11] neg_lo:[0,1] neg_hi:[0,1]
	v_pk_add_f32 v[34:35], v[34:35], v[8:9] neg_lo:[0,1] neg_hi:[0,1]
	s_wait_dscnt 0x0
	v_pk_mul_f32 v[8:9], v[4:5], v[2:3] op_sel:[0,1]
	s_delay_alu instid0(VALU_DEP_1) | instskip(SKIP_2) | instid1(VALU_DEP_2)
	v_pk_fma_f32 v[10:11], v[4:5], v[0:1], v[8:9] op_sel:[0,0,1] op_sel_hi:[1,1,0] neg_lo:[0,0,1] neg_hi:[0,0,1]
	v_pk_fma_f32 v[4:5], v[4:5], v[0:1], v[8:9] op_sel:[0,0,1] op_sel_hi:[1,0,0]
	v_dual_mul_f32 v8, v7, v3 :: v_dual_mov_b32 v4, v7
	v_dual_mov_b32 v11, v5 :: v_dual_mov_b32 v5, v6
	s_delay_alu instid0(VALU_DEP_2) | instskip(SKIP_1) | instid1(VALU_DEP_3)
	v_pk_fma_f32 v[8:9], v[6:7], v[20:21], v[8:9] op_sel_hi:[1,1,0] neg_lo:[0,0,1] neg_hi:[0,0,1]
	v_mul_f32_e32 v6, v7, v0
	v_pk_add_f32 v[36:37], v[36:37], v[10:11] neg_lo:[0,1] neg_hi:[0,1]
	s_delay_alu instid0(VALU_DEP_2) | instskip(NEXT) | instid1(VALU_DEP_1)
	v_pk_fma_f32 v[4:5], v[4:5], v[20:21], v[6:7] op_sel_hi:[1,1,0]
	v_mov_b32_e32 v9, v5
	ds_load_2addr_b64 v[4:7], v96 offset0:12 offset1:13
	v_pk_add_f32 v[32:33], v[32:33], v[8:9] neg_lo:[0,1] neg_hi:[0,1]
	s_wait_dscnt 0x0
	v_pk_mul_f32 v[8:9], v[4:5], v[2:3] op_sel:[0,1]
	s_delay_alu instid0(VALU_DEP_1) | instskip(SKIP_1) | instid1(VALU_DEP_1)
	v_pk_fma_f32 v[10:11], v[4:5], v[0:1], v[8:9] op_sel:[0,0,1] op_sel_hi:[1,1,0] neg_lo:[0,0,1] neg_hi:[0,0,1]
	v_pk_fma_f32 v[4:5], v[4:5], v[0:1], v[8:9] op_sel:[0,0,1] op_sel_hi:[1,0,0]
	v_mov_b32_e32 v11, v5
	v_pk_mul_f32 v[4:5], v[6:7], v[2:3] op_sel:[0,1]
	s_delay_alu instid0(VALU_DEP_1) | instskip(SKIP_1) | instid1(VALU_DEP_1)
	v_pk_fma_f32 v[8:9], v[6:7], v[0:1], v[4:5] op_sel:[0,0,1] op_sel_hi:[1,1,0] neg_lo:[0,0,1] neg_hi:[0,0,1]
	v_pk_fma_f32 v[4:5], v[6:7], v[0:1], v[4:5] op_sel:[0,0,1] op_sel_hi:[1,0,0]
	v_mov_b32_e32 v9, v5
	ds_load_2addr_b64 v[4:7], v96 offset0:14 offset1:15
	v_pk_add_f32 v[54:55], v[54:55], v[10:11] neg_lo:[0,1] neg_hi:[0,1]
	v_pk_add_f32 v[50:51], v[50:51], v[8:9] neg_lo:[0,1] neg_hi:[0,1]
	s_wait_dscnt 0x0
	v_pk_mul_f32 v[8:9], v[4:5], v[2:3] op_sel:[0,1]
	s_delay_alu instid0(VALU_DEP_1) | instskip(SKIP_1) | instid1(VALU_DEP_1)
	v_pk_fma_f32 v[10:11], v[4:5], v[0:1], v[8:9] op_sel:[0,0,1] op_sel_hi:[1,1,0] neg_lo:[0,0,1] neg_hi:[0,0,1]
	v_pk_fma_f32 v[4:5], v[4:5], v[0:1], v[8:9] op_sel:[0,0,1] op_sel_hi:[1,0,0]
	v_mov_b32_e32 v11, v5
	v_pk_mul_f32 v[4:5], v[6:7], v[2:3] op_sel:[0,1]
	s_delay_alu instid0(VALU_DEP_1) | instskip(SKIP_1) | instid1(VALU_DEP_1)
	v_pk_fma_f32 v[8:9], v[6:7], v[0:1], v[4:5] op_sel:[0,0,1] op_sel_hi:[1,1,0] neg_lo:[0,0,1] neg_hi:[0,0,1]
	v_pk_fma_f32 v[4:5], v[6:7], v[0:1], v[4:5] op_sel:[0,0,1] op_sel_hi:[1,0,0]
	v_mov_b32_e32 v9, v5
	ds_load_2addr_b64 v[4:7], v96 offset0:16 offset1:17
	v_pk_add_f32 v[52:53], v[52:53], v[10:11] neg_lo:[0,1] neg_hi:[0,1]
	v_pk_add_f32 v[48:49], v[48:49], v[8:9] neg_lo:[0,1] neg_hi:[0,1]
	s_wait_dscnt 0x0
	v_dual_mul_f32 v8, v5, v3 :: v_dual_mul_f32 v10, v5, v0
	s_delay_alu instid0(VALU_DEP_1) | instskip(NEXT) | instid1(VALU_DEP_2)
	v_pk_fma_f32 v[8:9], v[4:5], v[20:21], v[8:9] op_sel_hi:[1,1,0] neg_lo:[0,0,1] neg_hi:[0,0,1]
	v_pk_fma_f32 v[4:5], v[4:5], v[20:21], v[10:11] op_sel:[1,0,0] op_sel_hi:[0,1,0]
	s_delay_alu instid0(VALU_DEP_1) | instskip(SKIP_1) | instid1(VALU_DEP_2)
	v_mov_b32_e32 v9, v5
	v_pk_mul_f32 v[4:5], v[6:7], v[2:3] op_sel:[0,1]
	v_pk_add_f32 v[78:79], v[78:79], v[8:9] neg_lo:[0,1] neg_hi:[0,1]
	s_delay_alu instid0(VALU_DEP_2) | instskip(SKIP_1) | instid1(VALU_DEP_1)
	v_pk_fma_f32 v[8:9], v[6:7], v[0:1], v[4:5] op_sel:[0,0,1] op_sel_hi:[1,1,0] neg_lo:[0,0,1] neg_hi:[0,0,1]
	v_pk_fma_f32 v[4:5], v[6:7], v[0:1], v[4:5] op_sel:[0,0,1] op_sel_hi:[1,0,0]
	v_mov_b32_e32 v9, v5
	ds_load_2addr_b64 v[4:7], v96 offset0:18 offset1:19
	v_pk_add_f32 v[74:75], v[74:75], v[8:9] neg_lo:[0,1] neg_hi:[0,1]
	s_wait_dscnt 0x0
	v_pk_mul_f32 v[8:9], v[4:5], v[2:3] op_sel:[0,1]
	s_delay_alu instid0(VALU_DEP_1) | instskip(SKIP_1) | instid1(VALU_DEP_1)
	v_pk_fma_f32 v[10:11], v[4:5], v[0:1], v[8:9] op_sel:[0,0,1] op_sel_hi:[1,1,0] neg_lo:[0,0,1] neg_hi:[0,0,1]
	v_pk_fma_f32 v[4:5], v[4:5], v[0:1], v[8:9] op_sel:[0,0,1] op_sel_hi:[1,0,0]
	v_mov_b32_e32 v11, v5
	v_pk_mul_f32 v[4:5], v[6:7], v[2:3] op_sel:[0,1]
	s_delay_alu instid0(VALU_DEP_2) | instskip(NEXT) | instid1(VALU_DEP_2)
	v_pk_add_f32 v[76:77], v[76:77], v[10:11] neg_lo:[0,1] neg_hi:[0,1]
	v_pk_fma_f32 v[8:9], v[6:7], v[0:1], v[4:5] op_sel:[0,0,1] op_sel_hi:[1,1,0] neg_lo:[0,0,1] neg_hi:[0,0,1]
	v_pk_fma_f32 v[4:5], v[6:7], v[0:1], v[4:5] op_sel:[0,0,1] op_sel_hi:[1,0,0]
	s_delay_alu instid0(VALU_DEP_1) | instskip(SKIP_4) | instid1(VALU_DEP_1)
	v_mov_b32_e32 v9, v5
	ds_load_2addr_b64 v[4:7], v96 offset0:20 offset1:21
	v_pk_add_f32 v[72:73], v[72:73], v[8:9] neg_lo:[0,1] neg_hi:[0,1]
	s_wait_dscnt 0x0
	v_pk_mul_f32 v[8:9], v[4:5], v[2:3] op_sel:[0,1]
	v_pk_fma_f32 v[10:11], v[4:5], v[0:1], v[8:9] op_sel:[0,0,1] op_sel_hi:[1,1,0] neg_lo:[0,0,1] neg_hi:[0,0,1]
	v_pk_fma_f32 v[4:5], v[4:5], v[0:1], v[8:9] op_sel:[0,0,1] op_sel_hi:[1,0,0]
	v_dual_mul_f32 v8, v7, v3 :: v_dual_mov_b32 v4, v7
	s_delay_alu instid0(VALU_DEP_2) | instskip(NEXT) | instid1(VALU_DEP_2)
	v_dual_mov_b32 v11, v5 :: v_dual_mov_b32 v5, v6
	v_pk_fma_f32 v[8:9], v[6:7], v[20:21], v[8:9] op_sel_hi:[1,1,0] neg_lo:[0,0,1] neg_hi:[0,0,1]
	v_mul_f32_e32 v6, v7, v0
	s_delay_alu instid0(VALU_DEP_3) | instskip(NEXT) | instid1(VALU_DEP_2)
	v_pk_add_f32 v[94:95], v[94:95], v[10:11] neg_lo:[0,1] neg_hi:[0,1]
	v_pk_fma_f32 v[4:5], v[4:5], v[20:21], v[6:7] op_sel_hi:[1,1,0]
	s_delay_alu instid0(VALU_DEP_1) | instskip(SKIP_4) | instid1(VALU_DEP_1)
	v_mov_b32_e32 v9, v5
	ds_load_2addr_b64 v[4:7], v96 offset0:22 offset1:23
	v_pk_add_f32 v[90:91], v[90:91], v[8:9] neg_lo:[0,1] neg_hi:[0,1]
	s_wait_dscnt 0x0
	v_pk_mul_f32 v[8:9], v[4:5], v[2:3] op_sel:[0,1]
	v_pk_fma_f32 v[10:11], v[4:5], v[0:1], v[8:9] op_sel:[0,0,1] op_sel_hi:[1,1,0] neg_lo:[0,0,1] neg_hi:[0,0,1]
	v_pk_fma_f32 v[4:5], v[4:5], v[0:1], v[8:9] op_sel:[0,0,1] op_sel_hi:[1,0,0]
	s_delay_alu instid0(VALU_DEP_1) | instskip(SKIP_1) | instid1(VALU_DEP_1)
	v_mov_b32_e32 v11, v5
	v_pk_mul_f32 v[4:5], v[6:7], v[2:3] op_sel:[0,1]
	v_pk_fma_f32 v[8:9], v[6:7], v[0:1], v[4:5] op_sel:[0,0,1] op_sel_hi:[1,1,0] neg_lo:[0,0,1] neg_hi:[0,0,1]
	v_pk_fma_f32 v[4:5], v[6:7], v[0:1], v[4:5] op_sel:[0,0,1] op_sel_hi:[1,0,0]
	s_delay_alu instid0(VALU_DEP_1)
	v_mov_b32_e32 v9, v5
	ds_load_2addr_b64 v[4:7], v96 offset0:24 offset1:25
	v_pk_add_f32 v[92:93], v[92:93], v[10:11] neg_lo:[0,1] neg_hi:[0,1]
	v_pk_add_f32 v[88:89], v[88:89], v[8:9] neg_lo:[0,1] neg_hi:[0,1]
	s_wait_dscnt 0x0
	v_pk_mul_f32 v[8:9], v[4:5], v[2:3] op_sel:[0,1]
	s_delay_alu instid0(VALU_DEP_1) | instskip(SKIP_1) | instid1(VALU_DEP_1)
	v_pk_fma_f32 v[10:11], v[4:5], v[0:1], v[8:9] op_sel:[0,0,1] op_sel_hi:[1,1,0] neg_lo:[0,0,1] neg_hi:[0,0,1]
	v_pk_fma_f32 v[4:5], v[4:5], v[0:1], v[8:9] op_sel:[0,0,1] op_sel_hi:[1,0,0]
	v_mov_b32_e32 v11, v5
	v_pk_mul_f32 v[4:5], v[6:7], v[2:3] op_sel:[0,1]
	s_delay_alu instid0(VALU_DEP_1) | instskip(SKIP_1) | instid1(VALU_DEP_1)
	v_pk_fma_f32 v[8:9], v[6:7], v[0:1], v[4:5] op_sel:[0,0,1] op_sel_hi:[1,1,0] neg_lo:[0,0,1] neg_hi:[0,0,1]
	v_pk_fma_f32 v[4:5], v[6:7], v[0:1], v[4:5] op_sel:[0,0,1] op_sel_hi:[1,0,0]
	v_mov_b32_e32 v9, v5
	ds_load_2addr_b64 v[4:7], v96 offset0:26 offset1:27
	v_pk_add_f32 v[112:113], v[112:113], v[10:11] neg_lo:[0,1] neg_hi:[0,1]
	v_pk_add_f32 v[108:109], v[108:109], v[8:9] neg_lo:[0,1] neg_hi:[0,1]
	s_wait_dscnt 0x0
	v_dual_mul_f32 v8, v5, v3 :: v_dual_mul_f32 v10, v5, v0
	s_delay_alu instid0(VALU_DEP_1) | instskip(NEXT) | instid1(VALU_DEP_2)
	v_pk_fma_f32 v[8:9], v[4:5], v[20:21], v[8:9] op_sel_hi:[1,1,0] neg_lo:[0,0,1] neg_hi:[0,0,1]
	v_pk_fma_f32 v[4:5], v[4:5], v[20:21], v[10:11] op_sel:[1,0,0] op_sel_hi:[0,1,0]
	s_delay_alu instid0(VALU_DEP_1) | instskip(SKIP_1) | instid1(VALU_DEP_2)
	v_mov_b32_e32 v9, v5
	v_pk_mul_f32 v[4:5], v[6:7], v[2:3] op_sel:[0,1]
	v_pk_add_f32 v[110:111], v[110:111], v[8:9] neg_lo:[0,1] neg_hi:[0,1]
	s_delay_alu instid0(VALU_DEP_2) | instskip(SKIP_1) | instid1(VALU_DEP_1)
	v_pk_fma_f32 v[8:9], v[6:7], v[0:1], v[4:5] op_sel:[0,0,1] op_sel_hi:[1,1,0] neg_lo:[0,0,1] neg_hi:[0,0,1]
	v_pk_fma_f32 v[4:5], v[6:7], v[0:1], v[4:5] op_sel:[0,0,1] op_sel_hi:[1,0,0]
	v_mov_b32_e32 v9, v5
	ds_load_2addr_b64 v[4:7], v96 offset0:28 offset1:29
	v_pk_add_f32 v[106:107], v[106:107], v[8:9] neg_lo:[0,1] neg_hi:[0,1]
	s_wait_dscnt 0x0
	v_pk_mul_f32 v[8:9], v[4:5], v[2:3] op_sel:[0,1]
	s_delay_alu instid0(VALU_DEP_1) | instskip(SKIP_1) | instid1(VALU_DEP_1)
	v_pk_fma_f32 v[10:11], v[4:5], v[0:1], v[8:9] op_sel:[0,0,1] op_sel_hi:[1,1,0] neg_lo:[0,0,1] neg_hi:[0,0,1]
	v_pk_fma_f32 v[4:5], v[4:5], v[0:1], v[8:9] op_sel:[0,0,1] op_sel_hi:[1,0,0]
	v_mov_b32_e32 v11, v5
	v_pk_mul_f32 v[4:5], v[6:7], v[2:3] op_sel:[0,1]
	s_delay_alu instid0(VALU_DEP_2) | instskip(NEXT) | instid1(VALU_DEP_2)
	v_pk_add_f32 v[128:129], v[128:129], v[10:11] neg_lo:[0,1] neg_hi:[0,1]
	v_pk_fma_f32 v[8:9], v[6:7], v[0:1], v[4:5] op_sel:[0,0,1] op_sel_hi:[1,1,0] neg_lo:[0,0,1] neg_hi:[0,0,1]
	v_pk_fma_f32 v[4:5], v[6:7], v[0:1], v[4:5] op_sel:[0,0,1] op_sel_hi:[1,0,0]
	s_delay_alu instid0(VALU_DEP_1) | instskip(SKIP_4) | instid1(VALU_DEP_1)
	v_mov_b32_e32 v9, v5
	ds_load_2addr_b64 v[4:7], v96 offset0:30 offset1:31
	v_pk_add_f32 v[124:125], v[124:125], v[8:9] neg_lo:[0,1] neg_hi:[0,1]
	s_wait_dscnt 0x0
	v_pk_mul_f32 v[8:9], v[4:5], v[2:3] op_sel:[0,1]
	v_pk_fma_f32 v[10:11], v[4:5], v[0:1], v[8:9] op_sel:[0,0,1] op_sel_hi:[1,1,0] neg_lo:[0,0,1] neg_hi:[0,0,1]
	v_pk_fma_f32 v[4:5], v[4:5], v[0:1], v[8:9] op_sel:[0,0,1] op_sel_hi:[1,0,0]
	v_dual_mul_f32 v8, v7, v3 :: v_dual_mov_b32 v4, v7
	s_delay_alu instid0(VALU_DEP_2) | instskip(NEXT) | instid1(VALU_DEP_2)
	v_dual_mov_b32 v11, v5 :: v_dual_mov_b32 v5, v6
	v_pk_fma_f32 v[8:9], v[6:7], v[20:21], v[8:9] op_sel_hi:[1,1,0] neg_lo:[0,0,1] neg_hi:[0,0,1]
	v_mul_f32_e32 v6, v7, v0
	s_delay_alu instid0(VALU_DEP_3) | instskip(NEXT) | instid1(VALU_DEP_2)
	v_pk_add_f32 v[126:127], v[126:127], v[10:11] neg_lo:[0,1] neg_hi:[0,1]
	v_pk_fma_f32 v[4:5], v[4:5], v[20:21], v[6:7] op_sel_hi:[1,1,0]
	s_delay_alu instid0(VALU_DEP_1) | instskip(SKIP_4) | instid1(VALU_DEP_1)
	v_mov_b32_e32 v9, v5
	ds_load_2addr_b64 v[4:7], v96 offset0:32 offset1:33
	v_pk_add_f32 v[122:123], v[122:123], v[8:9] neg_lo:[0,1] neg_hi:[0,1]
	s_wait_dscnt 0x0
	v_pk_mul_f32 v[8:9], v[4:5], v[2:3] op_sel:[0,1]
	v_pk_fma_f32 v[10:11], v[4:5], v[0:1], v[8:9] op_sel:[0,0,1] op_sel_hi:[1,1,0] neg_lo:[0,0,1] neg_hi:[0,0,1]
	v_pk_fma_f32 v[4:5], v[4:5], v[0:1], v[8:9] op_sel:[0,0,1] op_sel_hi:[1,0,0]
	s_delay_alu instid0(VALU_DEP_1) | instskip(SKIP_1) | instid1(VALU_DEP_1)
	v_mov_b32_e32 v11, v5
	v_pk_mul_f32 v[4:5], v[6:7], v[2:3] op_sel:[0,1]
	v_pk_fma_f32 v[8:9], v[6:7], v[0:1], v[4:5] op_sel:[0,0,1] op_sel_hi:[1,1,0] neg_lo:[0,0,1] neg_hi:[0,0,1]
	v_pk_fma_f32 v[4:5], v[6:7], v[0:1], v[4:5] op_sel:[0,0,1] op_sel_hi:[1,0,0]
	s_delay_alu instid0(VALU_DEP_1)
	v_mov_b32_e32 v9, v5
	ds_load_2addr_b64 v[4:7], v96 offset0:34 offset1:35
	v_pk_add_f32 v[144:145], v[144:145], v[10:11] neg_lo:[0,1] neg_hi:[0,1]
	v_pk_add_f32 v[140:141], v[140:141], v[8:9] neg_lo:[0,1] neg_hi:[0,1]
	s_wait_dscnt 0x0
	v_pk_mul_f32 v[8:9], v[4:5], v[2:3] op_sel:[0,1]
	s_delay_alu instid0(VALU_DEP_1) | instskip(SKIP_1) | instid1(VALU_DEP_1)
	v_pk_fma_f32 v[10:11], v[4:5], v[0:1], v[8:9] op_sel:[0,0,1] op_sel_hi:[1,1,0] neg_lo:[0,0,1] neg_hi:[0,0,1]
	v_pk_fma_f32 v[4:5], v[4:5], v[0:1], v[8:9] op_sel:[0,0,1] op_sel_hi:[1,0,0]
	v_mov_b32_e32 v11, v5
	v_pk_mul_f32 v[4:5], v[6:7], v[2:3] op_sel:[0,1]
	s_delay_alu instid0(VALU_DEP_1) | instskip(SKIP_1) | instid1(VALU_DEP_1)
	v_pk_fma_f32 v[8:9], v[6:7], v[0:1], v[4:5] op_sel:[0,0,1] op_sel_hi:[1,1,0] neg_lo:[0,0,1] neg_hi:[0,0,1]
	v_pk_fma_f32 v[4:5], v[6:7], v[0:1], v[4:5] op_sel:[0,0,1] op_sel_hi:[1,0,0]
	v_mov_b32_e32 v9, v5
	ds_load_2addr_b64 v[4:7], v96 offset0:36 offset1:37
	v_pk_add_f32 v[142:143], v[142:143], v[10:11] neg_lo:[0,1] neg_hi:[0,1]
	v_pk_add_f32 v[138:139], v[138:139], v[8:9] neg_lo:[0,1] neg_hi:[0,1]
	s_wait_dscnt 0x0
	v_dual_mul_f32 v8, v5, v3 :: v_dual_mul_f32 v10, v5, v0
	s_delay_alu instid0(VALU_DEP_1) | instskip(NEXT) | instid1(VALU_DEP_2)
	v_pk_fma_f32 v[8:9], v[4:5], v[20:21], v[8:9] op_sel_hi:[1,1,0] neg_lo:[0,0,1] neg_hi:[0,0,1]
	v_pk_fma_f32 v[4:5], v[4:5], v[20:21], v[10:11] op_sel:[1,0,0] op_sel_hi:[0,1,0]
	s_delay_alu instid0(VALU_DEP_1) | instskip(SKIP_1) | instid1(VALU_DEP_2)
	v_mov_b32_e32 v9, v5
	v_pk_mul_f32 v[4:5], v[6:7], v[2:3] op_sel:[0,1]
	v_pk_add_f32 v[162:163], v[162:163], v[8:9] neg_lo:[0,1] neg_hi:[0,1]
	s_delay_alu instid0(VALU_DEP_2) | instskip(SKIP_1) | instid1(VALU_DEP_1)
	v_pk_fma_f32 v[8:9], v[6:7], v[0:1], v[4:5] op_sel:[0,0,1] op_sel_hi:[1,1,0] neg_lo:[0,0,1] neg_hi:[0,0,1]
	v_pk_fma_f32 v[4:5], v[6:7], v[0:1], v[4:5] op_sel:[0,0,1] op_sel_hi:[1,0,0]
	v_mov_b32_e32 v9, v5
	ds_load_2addr_b64 v[4:7], v96 offset0:38 offset1:39
	v_pk_add_f32 v[158:159], v[158:159], v[8:9] neg_lo:[0,1] neg_hi:[0,1]
	s_wait_dscnt 0x0
	v_pk_mul_f32 v[8:9], v[4:5], v[2:3] op_sel:[0,1]
	s_delay_alu instid0(VALU_DEP_1) | instskip(SKIP_1) | instid1(VALU_DEP_1)
	v_pk_fma_f32 v[10:11], v[4:5], v[0:1], v[8:9] op_sel:[0,0,1] op_sel_hi:[1,1,0] neg_lo:[0,0,1] neg_hi:[0,0,1]
	v_pk_fma_f32 v[4:5], v[4:5], v[0:1], v[8:9] op_sel:[0,0,1] op_sel_hi:[1,0,0]
	v_mov_b32_e32 v11, v5
	v_pk_mul_f32 v[4:5], v[6:7], v[2:3] op_sel:[0,1]
	s_delay_alu instid0(VALU_DEP_2) | instskip(NEXT) | instid1(VALU_DEP_2)
	v_pk_add_f32 v[160:161], v[160:161], v[10:11] neg_lo:[0,1] neg_hi:[0,1]
	v_pk_fma_f32 v[8:9], v[6:7], v[0:1], v[4:5] op_sel:[0,0,1] op_sel_hi:[1,1,0] neg_lo:[0,0,1] neg_hi:[0,0,1]
	v_pk_fma_f32 v[4:5], v[6:7], v[0:1], v[4:5] op_sel:[0,0,1] op_sel_hi:[1,0,0]
	s_delay_alu instid0(VALU_DEP_1) | instskip(SKIP_4) | instid1(VALU_DEP_1)
	v_mov_b32_e32 v9, v5
	ds_load_2addr_b64 v[4:7], v96 offset0:40 offset1:41
	v_pk_add_f32 v[156:157], v[156:157], v[8:9] neg_lo:[0,1] neg_hi:[0,1]
	s_wait_dscnt 0x0
	v_pk_mul_f32 v[8:9], v[4:5], v[2:3] op_sel:[0,1]
	v_pk_fma_f32 v[10:11], v[4:5], v[0:1], v[8:9] op_sel:[0,0,1] op_sel_hi:[1,1,0] neg_lo:[0,0,1] neg_hi:[0,0,1]
	v_pk_fma_f32 v[4:5], v[4:5], v[0:1], v[8:9] op_sel:[0,0,1] op_sel_hi:[1,0,0]
	v_dual_mul_f32 v8, v7, v3 :: v_dual_mov_b32 v4, v7
	s_delay_alu instid0(VALU_DEP_2) | instskip(NEXT) | instid1(VALU_DEP_2)
	v_dual_mov_b32 v11, v5 :: v_dual_mov_b32 v5, v6
	v_pk_fma_f32 v[8:9], v[6:7], v[20:21], v[8:9] op_sel_hi:[1,1,0] neg_lo:[0,0,1] neg_hi:[0,0,1]
	v_mul_f32_e32 v6, v7, v0
	s_delay_alu instid0(VALU_DEP_3) | instskip(NEXT) | instid1(VALU_DEP_2)
	v_pk_add_f32 v[180:181], v[180:181], v[10:11] neg_lo:[0,1] neg_hi:[0,1]
	v_pk_fma_f32 v[4:5], v[4:5], v[20:21], v[6:7] op_sel_hi:[1,1,0]
	s_delay_alu instid0(VALU_DEP_1) | instskip(SKIP_4) | instid1(VALU_DEP_1)
	v_mov_b32_e32 v9, v5
	ds_load_2addr_b64 v[4:7], v96 offset0:42 offset1:43
	v_pk_add_f32 v[176:177], v[176:177], v[8:9] neg_lo:[0,1] neg_hi:[0,1]
	s_wait_dscnt 0x0
	v_pk_mul_f32 v[8:9], v[4:5], v[2:3] op_sel:[0,1]
	v_pk_fma_f32 v[10:11], v[4:5], v[0:1], v[8:9] op_sel:[0,0,1] op_sel_hi:[1,1,0] neg_lo:[0,0,1] neg_hi:[0,0,1]
	v_pk_fma_f32 v[4:5], v[4:5], v[0:1], v[8:9] op_sel:[0,0,1] op_sel_hi:[1,0,0]
	s_delay_alu instid0(VALU_DEP_1) | instskip(SKIP_1) | instid1(VALU_DEP_1)
	v_mov_b32_e32 v11, v5
	v_pk_mul_f32 v[4:5], v[6:7], v[2:3] op_sel:[0,1]
	v_pk_fma_f32 v[8:9], v[6:7], v[0:1], v[4:5] op_sel:[0,0,1] op_sel_hi:[1,1,0] neg_lo:[0,0,1] neg_hi:[0,0,1]
	v_pk_fma_f32 v[4:5], v[6:7], v[0:1], v[4:5] op_sel:[0,0,1] op_sel_hi:[1,0,0]
	s_delay_alu instid0(VALU_DEP_1)
	v_mov_b32_e32 v9, v5
	ds_load_2addr_b64 v[4:7], v96 offset0:44 offset1:45
	v_pk_add_f32 v[178:179], v[178:179], v[10:11] neg_lo:[0,1] neg_hi:[0,1]
	v_pk_add_f32 v[174:175], v[174:175], v[8:9] neg_lo:[0,1] neg_hi:[0,1]
	s_wait_dscnt 0x0
	v_pk_mul_f32 v[8:9], v[4:5], v[2:3] op_sel:[0,1]
	s_delay_alu instid0(VALU_DEP_1) | instskip(SKIP_1) | instid1(VALU_DEP_1)
	v_pk_fma_f32 v[10:11], v[4:5], v[0:1], v[8:9] op_sel:[0,0,1] op_sel_hi:[1,1,0] neg_lo:[0,0,1] neg_hi:[0,0,1]
	v_pk_fma_f32 v[4:5], v[4:5], v[0:1], v[8:9] op_sel:[0,0,1] op_sel_hi:[1,0,0]
	v_mov_b32_e32 v11, v5
	v_pk_mul_f32 v[4:5], v[6:7], v[2:3] op_sel:[0,1]
	s_delay_alu instid0(VALU_DEP_1) | instskip(SKIP_1) | instid1(VALU_DEP_1)
	v_pk_fma_f32 v[8:9], v[6:7], v[0:1], v[4:5] op_sel:[0,0,1] op_sel_hi:[1,1,0] neg_lo:[0,0,1] neg_hi:[0,0,1]
	v_pk_fma_f32 v[4:5], v[6:7], v[0:1], v[4:5] op_sel:[0,0,1] op_sel_hi:[1,0,0]
	v_mov_b32_e32 v9, v5
	ds_load_2addr_b64 v[4:7], v96 offset0:46 offset1:47
	v_pk_add_f32 v[196:197], v[196:197], v[10:11] neg_lo:[0,1] neg_hi:[0,1]
	v_pk_add_f32 v[192:193], v[192:193], v[8:9] neg_lo:[0,1] neg_hi:[0,1]
	s_wait_dscnt 0x0
	v_dual_mul_f32 v8, v5, v3 :: v_dual_mul_f32 v10, v5, v0
	s_delay_alu instid0(VALU_DEP_1) | instskip(NEXT) | instid1(VALU_DEP_2)
	v_pk_fma_f32 v[8:9], v[4:5], v[20:21], v[8:9] op_sel_hi:[1,1,0] neg_lo:[0,0,1] neg_hi:[0,0,1]
	v_pk_fma_f32 v[4:5], v[4:5], v[20:21], v[10:11] op_sel:[1,0,0] op_sel_hi:[0,1,0]
	s_delay_alu instid0(VALU_DEP_1) | instskip(SKIP_1) | instid1(VALU_DEP_2)
	v_mov_b32_e32 v9, v5
	v_pk_mul_f32 v[4:5], v[6:7], v[2:3] op_sel:[0,1]
	v_pk_add_f32 v[194:195], v[194:195], v[8:9] neg_lo:[0,1] neg_hi:[0,1]
	s_delay_alu instid0(VALU_DEP_2) | instskip(SKIP_1) | instid1(VALU_DEP_1)
	v_pk_fma_f32 v[8:9], v[6:7], v[0:1], v[4:5] op_sel:[0,0,1] op_sel_hi:[1,1,0] neg_lo:[0,0,1] neg_hi:[0,0,1]
	v_pk_fma_f32 v[4:5], v[6:7], v[0:1], v[4:5] op_sel:[0,0,1] op_sel_hi:[1,0,0]
	v_mov_b32_e32 v9, v5
	ds_load_2addr_b64 v[4:7], v96 offset0:48 offset1:49
	v_pk_add_f32 v[190:191], v[190:191], v[8:9] neg_lo:[0,1] neg_hi:[0,1]
	s_wait_dscnt 0x0
	v_pk_mul_f32 v[8:9], v[4:5], v[2:3] op_sel:[0,1]
	v_mul_f32_e32 v2, v7, v3
	s_delay_alu instid0(VALU_DEP_2) | instskip(SKIP_2) | instid1(VALU_DEP_4)
	v_pk_fma_f32 v[10:11], v[4:5], v[0:1], v[8:9] op_sel:[0,0,1] op_sel_hi:[1,1,0] neg_lo:[0,0,1] neg_hi:[0,0,1]
	v_pk_fma_f32 v[4:5], v[4:5], v[0:1], v[8:9] op_sel:[0,0,1] op_sel_hi:[1,0,0]
	v_dual_mov_b32 v4, v7 :: v_dual_mul_f32 v0, v7, v0
	v_pk_fma_f32 v[2:3], v[6:7], v[20:21], v[2:3] op_sel_hi:[1,1,0] neg_lo:[0,0,1] neg_hi:[0,0,1]
	s_delay_alu instid0(VALU_DEP_3) | instskip(NEXT) | instid1(VALU_DEP_1)
	v_dual_mov_b32 v11, v5 :: v_dual_mov_b32 v5, v6
	v_pk_add_f32 v[198:199], v[198:199], v[10:11] neg_lo:[0,1] neg_hi:[0,1]
	s_delay_alu instid0(VALU_DEP_2) | instskip(NEXT) | instid1(VALU_DEP_1)
	v_pk_fma_f32 v[0:1], v[4:5], v[20:21], v[0:1] op_sel_hi:[1,1,0]
	v_mov_b32_e32 v3, v1
	s_delay_alu instid0(VALU_DEP_1)
	v_pk_add_f32 v[200:201], v[200:201], v[2:3] neg_lo:[0,1] neg_hi:[0,1]
.LBB99_73:
	s_wait_xcnt 0x0
	s_or_b32 exec_lo, exec_lo, s1
	s_delay_alu instid0(SALU_CYCLE_1)
	s_mov_b32 s2, exec_lo
	s_wait_storecnt 0x0
	s_barrier_signal -1
	s_barrier_wait -1
	v_cmpx_eq_u32_e32 8, v86
	s_cbranch_execz .LBB99_80
; %bb.74:
	ds_store_b64 v87, v[38:39]
	ds_store_2addr_b64 v96, v[34:35], v[36:37] offset0:9 offset1:10
	ds_store_2addr_b64 v96, v[32:33], v[54:55] offset0:11 offset1:12
	ds_store_2addr_b64 v96, v[50:51], v[52:53] offset0:13 offset1:14
	ds_store_2addr_b64 v96, v[48:49], v[78:79] offset0:15 offset1:16
	ds_store_2addr_b64 v96, v[74:75], v[76:77] offset0:17 offset1:18
	ds_store_2addr_b64 v96, v[72:73], v[94:95] offset0:19 offset1:20
	ds_store_2addr_b64 v96, v[90:91], v[92:93] offset0:21 offset1:22
	ds_store_2addr_b64 v96, v[88:89], v[112:113] offset0:23 offset1:24
	ds_store_2addr_b64 v96, v[108:109], v[110:111] offset0:25 offset1:26
	ds_store_2addr_b64 v96, v[106:107], v[128:129] offset0:27 offset1:28
	ds_store_2addr_b64 v96, v[124:125], v[126:127] offset0:29 offset1:30
	ds_store_2addr_b64 v96, v[122:123], v[144:145] offset0:31 offset1:32
	ds_store_2addr_b64 v96, v[140:141], v[142:143] offset0:33 offset1:34
	ds_store_2addr_b64 v96, v[138:139], v[162:163] offset0:35 offset1:36
	ds_store_2addr_b64 v96, v[158:159], v[160:161] offset0:37 offset1:38
	ds_store_2addr_b64 v96, v[156:157], v[180:181] offset0:39 offset1:40
	ds_store_2addr_b64 v96, v[176:177], v[178:179] offset0:41 offset1:42
	ds_store_2addr_b64 v96, v[174:175], v[196:197] offset0:43 offset1:44
	ds_store_2addr_b64 v96, v[192:193], v[194:195] offset0:45 offset1:46
	ds_store_2addr_b64 v96, v[190:191], v[198:199] offset0:47 offset1:48
	ds_store_b64 v96, v[200:201] offset:392
	ds_load_b64 v[0:1], v87
	s_wait_dscnt 0x0
	v_cmp_neq_f32_e32 vcc_lo, 0, v0
	v_cmp_neq_f32_e64 s1, 0, v1
	s_or_b32 s1, vcc_lo, s1
	s_delay_alu instid0(SALU_CYCLE_1)
	s_and_b32 exec_lo, exec_lo, s1
	s_cbranch_execz .LBB99_80
; %bb.75:
	v_cmp_ngt_f32_e64 s1, |v0|, |v1|
                                        ; implicit-def: $vgpr2_vgpr3
	s_and_saveexec_b32 s4, s1
	s_delay_alu instid0(SALU_CYCLE_1)
	s_xor_b32 s1, exec_lo, s4
	s_cbranch_execz .LBB99_77
; %bb.76:
	v_div_scale_f32 v2, null, v1, v1, v0
	v_div_scale_f32 v5, vcc_lo, v0, v1, v0
	s_delay_alu instid0(VALU_DEP_2) | instskip(SKIP_1) | instid1(TRANS32_DEP_1)
	v_rcp_f32_e32 v3, v2
	v_nop
	v_fma_f32 v4, -v2, v3, 1.0
	s_delay_alu instid0(VALU_DEP_1) | instskip(NEXT) | instid1(VALU_DEP_1)
	v_fmac_f32_e32 v3, v4, v3
	v_mul_f32_e32 v4, v5, v3
	s_delay_alu instid0(VALU_DEP_1) | instskip(NEXT) | instid1(VALU_DEP_1)
	v_fma_f32 v6, -v2, v4, v5
	v_fmac_f32_e32 v4, v6, v3
	s_delay_alu instid0(VALU_DEP_1) | instskip(NEXT) | instid1(VALU_DEP_1)
	v_fma_f32 v2, -v2, v4, v5
	v_div_fmas_f32 v2, v2, v3, v4
	s_delay_alu instid0(VALU_DEP_1) | instskip(NEXT) | instid1(VALU_DEP_1)
	v_div_fixup_f32 v2, v2, v1, v0
	v_fmac_f32_e32 v1, v0, v2
	s_delay_alu instid0(VALU_DEP_1) | instskip(SKIP_1) | instid1(VALU_DEP_2)
	v_div_scale_f32 v0, null, v1, v1, 1.0
	v_div_scale_f32 v5, vcc_lo, 1.0, v1, 1.0
	v_rcp_f32_e32 v3, v0
	v_nop
	s_delay_alu instid0(TRANS32_DEP_1) | instskip(NEXT) | instid1(VALU_DEP_1)
	v_fma_f32 v4, -v0, v3, 1.0
	v_fmac_f32_e32 v3, v4, v3
	s_delay_alu instid0(VALU_DEP_1) | instskip(NEXT) | instid1(VALU_DEP_1)
	v_mul_f32_e32 v4, v5, v3
	v_fma_f32 v6, -v0, v4, v5
	s_delay_alu instid0(VALU_DEP_1) | instskip(NEXT) | instid1(VALU_DEP_1)
	v_fmac_f32_e32 v4, v6, v3
	v_fma_f32 v0, -v0, v4, v5
	s_delay_alu instid0(VALU_DEP_1) | instskip(NEXT) | instid1(VALU_DEP_1)
	v_div_fmas_f32 v0, v0, v3, v4
	v_div_fixup_f32 v0, v0, v1, 1.0
	s_delay_alu instid0(VALU_DEP_1)
	v_mul_f32_e32 v2, v2, v0
	v_xor_b32_e32 v3, 0x80000000, v0
                                        ; implicit-def: $vgpr0_vgpr1
.LBB99_77:
	s_and_not1_saveexec_b32 s1, s1
	s_cbranch_execz .LBB99_79
; %bb.78:
	v_div_scale_f32 v2, null, v0, v0, v1
	v_div_scale_f32 v5, vcc_lo, v1, v0, v1
	s_delay_alu instid0(VALU_DEP_2) | instskip(SKIP_1) | instid1(TRANS32_DEP_1)
	v_rcp_f32_e32 v3, v2
	v_nop
	v_fma_f32 v4, -v2, v3, 1.0
	s_delay_alu instid0(VALU_DEP_1) | instskip(NEXT) | instid1(VALU_DEP_1)
	v_fmac_f32_e32 v3, v4, v3
	v_mul_f32_e32 v4, v5, v3
	s_delay_alu instid0(VALU_DEP_1) | instskip(NEXT) | instid1(VALU_DEP_1)
	v_fma_f32 v6, -v2, v4, v5
	v_fmac_f32_e32 v4, v6, v3
	s_delay_alu instid0(VALU_DEP_1) | instskip(NEXT) | instid1(VALU_DEP_1)
	v_fma_f32 v2, -v2, v4, v5
	v_div_fmas_f32 v2, v2, v3, v4
	s_delay_alu instid0(VALU_DEP_1) | instskip(NEXT) | instid1(VALU_DEP_1)
	v_div_fixup_f32 v3, v2, v0, v1
	v_fmac_f32_e32 v0, v1, v3
	s_delay_alu instid0(VALU_DEP_1) | instskip(NEXT) | instid1(VALU_DEP_1)
	v_div_scale_f32 v1, null, v0, v0, 1.0
	v_rcp_f32_e32 v2, v1
	v_nop
	s_delay_alu instid0(TRANS32_DEP_1) | instskip(NEXT) | instid1(VALU_DEP_1)
	v_fma_f32 v4, -v1, v2, 1.0
	v_fmac_f32_e32 v2, v4, v2
	v_div_scale_f32 v4, vcc_lo, 1.0, v0, 1.0
	s_delay_alu instid0(VALU_DEP_1) | instskip(NEXT) | instid1(VALU_DEP_1)
	v_mul_f32_e32 v5, v4, v2
	v_fma_f32 v6, -v1, v5, v4
	s_delay_alu instid0(VALU_DEP_1) | instskip(NEXT) | instid1(VALU_DEP_1)
	v_fmac_f32_e32 v5, v6, v2
	v_fma_f32 v1, -v1, v5, v4
	s_delay_alu instid0(VALU_DEP_1) | instskip(NEXT) | instid1(VALU_DEP_1)
	v_div_fmas_f32 v1, v1, v2, v5
	v_div_fixup_f32 v2, v1, v0, 1.0
	s_delay_alu instid0(VALU_DEP_1)
	v_mul_f32_e64 v3, v3, -v2
.LBB99_79:
	s_or_b32 exec_lo, exec_lo, s1
	ds_store_b64 v87, v[2:3]
.LBB99_80:
	s_or_b32 exec_lo, exec_lo, s2
	s_wait_dscnt 0x0
	s_barrier_signal -1
	s_barrier_wait -1
	ds_load_b64 v[0:1], v87
	s_mov_b32 s1, exec_lo
	s_wait_dscnt 0x0
	scratch_store_b64 off, v[0:1], off offset:72 ; 8-byte Folded Spill
	s_wait_xcnt 0x0
	v_cmpx_lt_u32_e32 8, v86
	s_cbranch_execz .LBB99_82
; %bb.81:
	scratch_load_b64 v[4:5], off, off offset:72 ; 8-byte Folded Reload
	s_wait_loadcnt 0x0
	v_pk_mul_f32 v[2:3], v[4:5], v[38:39] op_sel:[1,1] op_sel_hi:[0,1]
	s_delay_alu instid0(VALU_DEP_1)
	v_pk_fma_f32 v[0:1], v[4:5], v[38:39], v[2:3] op_sel_hi:[1,0,1] neg_lo:[0,0,1] neg_hi:[0,0,1]
	v_pk_fma_f32 v[2:3], v[4:5], v[38:39], v[2:3] op_sel_hi:[1,0,1]
	ds_load_2addr_b64 v[4:7], v96 offset0:9 offset1:10
	v_dual_mov_b32 v38, v0 :: v_dual_mov_b32 v39, v3
	s_wait_dscnt 0x0
	v_pk_mul_f32 v[8:9], v[4:5], v[2:3] op_sel:[0,1]
	s_delay_alu instid0(VALU_DEP_1) | instskip(SKIP_1) | instid1(VALU_DEP_1)
	v_pk_fma_f32 v[10:11], v[4:5], v[0:1], v[8:9] op_sel:[0,0,1] op_sel_hi:[1,1,0] neg_lo:[0,0,1] neg_hi:[0,0,1]
	v_pk_fma_f32 v[4:5], v[4:5], v[0:1], v[8:9] op_sel:[0,0,1] op_sel_hi:[1,0,0]
	v_mov_b32_e32 v11, v5
	v_pk_mul_f32 v[4:5], v[6:7], v[2:3] op_sel:[0,1]
	s_delay_alu instid0(VALU_DEP_1) | instskip(SKIP_1) | instid1(VALU_DEP_1)
	v_pk_fma_f32 v[8:9], v[6:7], v[0:1], v[4:5] op_sel:[0,0,1] op_sel_hi:[1,1,0] neg_lo:[0,0,1] neg_hi:[0,0,1]
	v_pk_fma_f32 v[4:5], v[6:7], v[0:1], v[4:5] op_sel:[0,0,1] op_sel_hi:[1,0,0]
	v_mov_b32_e32 v9, v5
	ds_load_2addr_b64 v[4:7], v96 offset0:11 offset1:12
	v_pk_add_f32 v[34:35], v[34:35], v[10:11] neg_lo:[0,1] neg_hi:[0,1]
	v_pk_add_f32 v[36:37], v[36:37], v[8:9] neg_lo:[0,1] neg_hi:[0,1]
	s_wait_dscnt 0x0
	v_pk_mul_f32 v[8:9], v[4:5], v[2:3] op_sel:[0,1]
	s_delay_alu instid0(VALU_DEP_1) | instskip(SKIP_2) | instid1(VALU_DEP_2)
	v_pk_fma_f32 v[10:11], v[4:5], v[0:1], v[8:9] op_sel:[0,0,1] op_sel_hi:[1,1,0] neg_lo:[0,0,1] neg_hi:[0,0,1]
	v_pk_fma_f32 v[4:5], v[4:5], v[0:1], v[8:9] op_sel:[0,0,1] op_sel_hi:[1,0,0]
	v_dual_mul_f32 v8, v7, v3 :: v_dual_mov_b32 v4, v7
	v_dual_mov_b32 v11, v5 :: v_dual_mov_b32 v5, v6
	s_delay_alu instid0(VALU_DEP_2) | instskip(SKIP_1) | instid1(VALU_DEP_3)
	v_pk_fma_f32 v[8:9], v[6:7], v[38:39], v[8:9] op_sel_hi:[1,1,0] neg_lo:[0,0,1] neg_hi:[0,0,1]
	v_mul_f32_e32 v6, v7, v0
	v_pk_add_f32 v[32:33], v[32:33], v[10:11] neg_lo:[0,1] neg_hi:[0,1]
	s_delay_alu instid0(VALU_DEP_2) | instskip(NEXT) | instid1(VALU_DEP_1)
	v_pk_fma_f32 v[4:5], v[4:5], v[38:39], v[6:7] op_sel_hi:[1,1,0]
	v_mov_b32_e32 v9, v5
	ds_load_2addr_b64 v[4:7], v96 offset0:13 offset1:14
	v_pk_add_f32 v[54:55], v[54:55], v[8:9] neg_lo:[0,1] neg_hi:[0,1]
	s_wait_dscnt 0x0
	v_pk_mul_f32 v[8:9], v[4:5], v[2:3] op_sel:[0,1]
	s_delay_alu instid0(VALU_DEP_1) | instskip(SKIP_1) | instid1(VALU_DEP_1)
	v_pk_fma_f32 v[10:11], v[4:5], v[0:1], v[8:9] op_sel:[0,0,1] op_sel_hi:[1,1,0] neg_lo:[0,0,1] neg_hi:[0,0,1]
	v_pk_fma_f32 v[4:5], v[4:5], v[0:1], v[8:9] op_sel:[0,0,1] op_sel_hi:[1,0,0]
	v_mov_b32_e32 v11, v5
	v_pk_mul_f32 v[4:5], v[6:7], v[2:3] op_sel:[0,1]
	s_delay_alu instid0(VALU_DEP_1) | instskip(SKIP_1) | instid1(VALU_DEP_1)
	v_pk_fma_f32 v[8:9], v[6:7], v[0:1], v[4:5] op_sel:[0,0,1] op_sel_hi:[1,1,0] neg_lo:[0,0,1] neg_hi:[0,0,1]
	v_pk_fma_f32 v[4:5], v[6:7], v[0:1], v[4:5] op_sel:[0,0,1] op_sel_hi:[1,0,0]
	v_mov_b32_e32 v9, v5
	ds_load_2addr_b64 v[4:7], v96 offset0:15 offset1:16
	v_pk_add_f32 v[50:51], v[50:51], v[10:11] neg_lo:[0,1] neg_hi:[0,1]
	v_pk_add_f32 v[52:53], v[52:53], v[8:9] neg_lo:[0,1] neg_hi:[0,1]
	s_wait_dscnt 0x0
	v_pk_mul_f32 v[8:9], v[4:5], v[2:3] op_sel:[0,1]
	s_delay_alu instid0(VALU_DEP_1) | instskip(SKIP_1) | instid1(VALU_DEP_1)
	v_pk_fma_f32 v[10:11], v[4:5], v[0:1], v[8:9] op_sel:[0,0,1] op_sel_hi:[1,1,0] neg_lo:[0,0,1] neg_hi:[0,0,1]
	v_pk_fma_f32 v[4:5], v[4:5], v[0:1], v[8:9] op_sel:[0,0,1] op_sel_hi:[1,0,0]
	v_mov_b32_e32 v11, v5
	v_pk_mul_f32 v[4:5], v[6:7], v[2:3] op_sel:[0,1]
	s_delay_alu instid0(VALU_DEP_1) | instskip(SKIP_1) | instid1(VALU_DEP_1)
	v_pk_fma_f32 v[8:9], v[6:7], v[0:1], v[4:5] op_sel:[0,0,1] op_sel_hi:[1,1,0] neg_lo:[0,0,1] neg_hi:[0,0,1]
	v_pk_fma_f32 v[4:5], v[6:7], v[0:1], v[4:5] op_sel:[0,0,1] op_sel_hi:[1,0,0]
	v_mov_b32_e32 v9, v5
	ds_load_2addr_b64 v[4:7], v96 offset0:17 offset1:18
	v_pk_add_f32 v[48:49], v[48:49], v[10:11] neg_lo:[0,1] neg_hi:[0,1]
	v_pk_add_f32 v[78:79], v[78:79], v[8:9] neg_lo:[0,1] neg_hi:[0,1]
	s_wait_dscnt 0x0
	v_dual_mul_f32 v8, v5, v3 :: v_dual_mul_f32 v10, v5, v0
	s_delay_alu instid0(VALU_DEP_1) | instskip(NEXT) | instid1(VALU_DEP_2)
	v_pk_fma_f32 v[8:9], v[4:5], v[38:39], v[8:9] op_sel_hi:[1,1,0] neg_lo:[0,0,1] neg_hi:[0,0,1]
	v_pk_fma_f32 v[4:5], v[4:5], v[38:39], v[10:11] op_sel:[1,0,0] op_sel_hi:[0,1,0]
	s_delay_alu instid0(VALU_DEP_1) | instskip(SKIP_1) | instid1(VALU_DEP_2)
	v_mov_b32_e32 v9, v5
	v_pk_mul_f32 v[4:5], v[6:7], v[2:3] op_sel:[0,1]
	v_pk_add_f32 v[74:75], v[74:75], v[8:9] neg_lo:[0,1] neg_hi:[0,1]
	s_delay_alu instid0(VALU_DEP_2) | instskip(SKIP_1) | instid1(VALU_DEP_1)
	v_pk_fma_f32 v[8:9], v[6:7], v[0:1], v[4:5] op_sel:[0,0,1] op_sel_hi:[1,1,0] neg_lo:[0,0,1] neg_hi:[0,0,1]
	v_pk_fma_f32 v[4:5], v[6:7], v[0:1], v[4:5] op_sel:[0,0,1] op_sel_hi:[1,0,0]
	v_mov_b32_e32 v9, v5
	ds_load_2addr_b64 v[4:7], v96 offset0:19 offset1:20
	v_pk_add_f32 v[76:77], v[76:77], v[8:9] neg_lo:[0,1] neg_hi:[0,1]
	s_wait_dscnt 0x0
	v_pk_mul_f32 v[8:9], v[4:5], v[2:3] op_sel:[0,1]
	s_delay_alu instid0(VALU_DEP_1) | instskip(SKIP_1) | instid1(VALU_DEP_1)
	v_pk_fma_f32 v[10:11], v[4:5], v[0:1], v[8:9] op_sel:[0,0,1] op_sel_hi:[1,1,0] neg_lo:[0,0,1] neg_hi:[0,0,1]
	v_pk_fma_f32 v[4:5], v[4:5], v[0:1], v[8:9] op_sel:[0,0,1] op_sel_hi:[1,0,0]
	v_mov_b32_e32 v11, v5
	v_pk_mul_f32 v[4:5], v[6:7], v[2:3] op_sel:[0,1]
	s_delay_alu instid0(VALU_DEP_2) | instskip(NEXT) | instid1(VALU_DEP_2)
	v_pk_add_f32 v[72:73], v[72:73], v[10:11] neg_lo:[0,1] neg_hi:[0,1]
	v_pk_fma_f32 v[8:9], v[6:7], v[0:1], v[4:5] op_sel:[0,0,1] op_sel_hi:[1,1,0] neg_lo:[0,0,1] neg_hi:[0,0,1]
	v_pk_fma_f32 v[4:5], v[6:7], v[0:1], v[4:5] op_sel:[0,0,1] op_sel_hi:[1,0,0]
	s_delay_alu instid0(VALU_DEP_1) | instskip(SKIP_4) | instid1(VALU_DEP_1)
	v_mov_b32_e32 v9, v5
	ds_load_2addr_b64 v[4:7], v96 offset0:21 offset1:22
	v_pk_add_f32 v[94:95], v[94:95], v[8:9] neg_lo:[0,1] neg_hi:[0,1]
	s_wait_dscnt 0x0
	v_pk_mul_f32 v[8:9], v[4:5], v[2:3] op_sel:[0,1]
	v_pk_fma_f32 v[10:11], v[4:5], v[0:1], v[8:9] op_sel:[0,0,1] op_sel_hi:[1,1,0] neg_lo:[0,0,1] neg_hi:[0,0,1]
	v_pk_fma_f32 v[4:5], v[4:5], v[0:1], v[8:9] op_sel:[0,0,1] op_sel_hi:[1,0,0]
	v_dual_mul_f32 v8, v7, v3 :: v_dual_mov_b32 v4, v7
	s_delay_alu instid0(VALU_DEP_2) | instskip(NEXT) | instid1(VALU_DEP_2)
	v_dual_mov_b32 v11, v5 :: v_dual_mov_b32 v5, v6
	v_pk_fma_f32 v[8:9], v[6:7], v[38:39], v[8:9] op_sel_hi:[1,1,0] neg_lo:[0,0,1] neg_hi:[0,0,1]
	v_mul_f32_e32 v6, v7, v0
	s_delay_alu instid0(VALU_DEP_3) | instskip(NEXT) | instid1(VALU_DEP_2)
	v_pk_add_f32 v[90:91], v[90:91], v[10:11] neg_lo:[0,1] neg_hi:[0,1]
	v_pk_fma_f32 v[4:5], v[4:5], v[38:39], v[6:7] op_sel_hi:[1,1,0]
	s_delay_alu instid0(VALU_DEP_1) | instskip(SKIP_4) | instid1(VALU_DEP_1)
	v_mov_b32_e32 v9, v5
	ds_load_2addr_b64 v[4:7], v96 offset0:23 offset1:24
	v_pk_add_f32 v[92:93], v[92:93], v[8:9] neg_lo:[0,1] neg_hi:[0,1]
	s_wait_dscnt 0x0
	v_pk_mul_f32 v[8:9], v[4:5], v[2:3] op_sel:[0,1]
	v_pk_fma_f32 v[10:11], v[4:5], v[0:1], v[8:9] op_sel:[0,0,1] op_sel_hi:[1,1,0] neg_lo:[0,0,1] neg_hi:[0,0,1]
	v_pk_fma_f32 v[4:5], v[4:5], v[0:1], v[8:9] op_sel:[0,0,1] op_sel_hi:[1,0,0]
	s_delay_alu instid0(VALU_DEP_1) | instskip(SKIP_1) | instid1(VALU_DEP_1)
	v_mov_b32_e32 v11, v5
	v_pk_mul_f32 v[4:5], v[6:7], v[2:3] op_sel:[0,1]
	v_pk_fma_f32 v[8:9], v[6:7], v[0:1], v[4:5] op_sel:[0,0,1] op_sel_hi:[1,1,0] neg_lo:[0,0,1] neg_hi:[0,0,1]
	v_pk_fma_f32 v[4:5], v[6:7], v[0:1], v[4:5] op_sel:[0,0,1] op_sel_hi:[1,0,0]
	s_delay_alu instid0(VALU_DEP_1)
	v_mov_b32_e32 v9, v5
	ds_load_2addr_b64 v[4:7], v96 offset0:25 offset1:26
	v_pk_add_f32 v[88:89], v[88:89], v[10:11] neg_lo:[0,1] neg_hi:[0,1]
	v_pk_add_f32 v[112:113], v[112:113], v[8:9] neg_lo:[0,1] neg_hi:[0,1]
	s_wait_dscnt 0x0
	v_pk_mul_f32 v[8:9], v[4:5], v[2:3] op_sel:[0,1]
	s_delay_alu instid0(VALU_DEP_1) | instskip(SKIP_1) | instid1(VALU_DEP_1)
	v_pk_fma_f32 v[10:11], v[4:5], v[0:1], v[8:9] op_sel:[0,0,1] op_sel_hi:[1,1,0] neg_lo:[0,0,1] neg_hi:[0,0,1]
	v_pk_fma_f32 v[4:5], v[4:5], v[0:1], v[8:9] op_sel:[0,0,1] op_sel_hi:[1,0,0]
	v_mov_b32_e32 v11, v5
	v_pk_mul_f32 v[4:5], v[6:7], v[2:3] op_sel:[0,1]
	s_delay_alu instid0(VALU_DEP_1) | instskip(SKIP_1) | instid1(VALU_DEP_1)
	v_pk_fma_f32 v[8:9], v[6:7], v[0:1], v[4:5] op_sel:[0,0,1] op_sel_hi:[1,1,0] neg_lo:[0,0,1] neg_hi:[0,0,1]
	v_pk_fma_f32 v[4:5], v[6:7], v[0:1], v[4:5] op_sel:[0,0,1] op_sel_hi:[1,0,0]
	v_mov_b32_e32 v9, v5
	ds_load_2addr_b64 v[4:7], v96 offset0:27 offset1:28
	v_pk_add_f32 v[108:109], v[108:109], v[10:11] neg_lo:[0,1] neg_hi:[0,1]
	v_pk_add_f32 v[110:111], v[110:111], v[8:9] neg_lo:[0,1] neg_hi:[0,1]
	s_wait_dscnt 0x0
	v_dual_mul_f32 v8, v5, v3 :: v_dual_mul_f32 v10, v5, v0
	s_delay_alu instid0(VALU_DEP_1) | instskip(NEXT) | instid1(VALU_DEP_2)
	v_pk_fma_f32 v[8:9], v[4:5], v[38:39], v[8:9] op_sel_hi:[1,1,0] neg_lo:[0,0,1] neg_hi:[0,0,1]
	v_pk_fma_f32 v[4:5], v[4:5], v[38:39], v[10:11] op_sel:[1,0,0] op_sel_hi:[0,1,0]
	s_delay_alu instid0(VALU_DEP_1) | instskip(SKIP_1) | instid1(VALU_DEP_2)
	v_mov_b32_e32 v9, v5
	v_pk_mul_f32 v[4:5], v[6:7], v[2:3] op_sel:[0,1]
	v_pk_add_f32 v[106:107], v[106:107], v[8:9] neg_lo:[0,1] neg_hi:[0,1]
	s_delay_alu instid0(VALU_DEP_2) | instskip(SKIP_1) | instid1(VALU_DEP_1)
	v_pk_fma_f32 v[8:9], v[6:7], v[0:1], v[4:5] op_sel:[0,0,1] op_sel_hi:[1,1,0] neg_lo:[0,0,1] neg_hi:[0,0,1]
	v_pk_fma_f32 v[4:5], v[6:7], v[0:1], v[4:5] op_sel:[0,0,1] op_sel_hi:[1,0,0]
	v_mov_b32_e32 v9, v5
	ds_load_2addr_b64 v[4:7], v96 offset0:29 offset1:30
	v_pk_add_f32 v[128:129], v[128:129], v[8:9] neg_lo:[0,1] neg_hi:[0,1]
	s_wait_dscnt 0x0
	v_pk_mul_f32 v[8:9], v[4:5], v[2:3] op_sel:[0,1]
	s_delay_alu instid0(VALU_DEP_1) | instskip(SKIP_1) | instid1(VALU_DEP_1)
	v_pk_fma_f32 v[10:11], v[4:5], v[0:1], v[8:9] op_sel:[0,0,1] op_sel_hi:[1,1,0] neg_lo:[0,0,1] neg_hi:[0,0,1]
	v_pk_fma_f32 v[4:5], v[4:5], v[0:1], v[8:9] op_sel:[0,0,1] op_sel_hi:[1,0,0]
	v_mov_b32_e32 v11, v5
	v_pk_mul_f32 v[4:5], v[6:7], v[2:3] op_sel:[0,1]
	s_delay_alu instid0(VALU_DEP_2) | instskip(NEXT) | instid1(VALU_DEP_2)
	v_pk_add_f32 v[124:125], v[124:125], v[10:11] neg_lo:[0,1] neg_hi:[0,1]
	v_pk_fma_f32 v[8:9], v[6:7], v[0:1], v[4:5] op_sel:[0,0,1] op_sel_hi:[1,1,0] neg_lo:[0,0,1] neg_hi:[0,0,1]
	v_pk_fma_f32 v[4:5], v[6:7], v[0:1], v[4:5] op_sel:[0,0,1] op_sel_hi:[1,0,0]
	s_delay_alu instid0(VALU_DEP_1) | instskip(SKIP_4) | instid1(VALU_DEP_1)
	v_mov_b32_e32 v9, v5
	ds_load_2addr_b64 v[4:7], v96 offset0:31 offset1:32
	v_pk_add_f32 v[126:127], v[126:127], v[8:9] neg_lo:[0,1] neg_hi:[0,1]
	s_wait_dscnt 0x0
	v_pk_mul_f32 v[8:9], v[4:5], v[2:3] op_sel:[0,1]
	v_pk_fma_f32 v[10:11], v[4:5], v[0:1], v[8:9] op_sel:[0,0,1] op_sel_hi:[1,1,0] neg_lo:[0,0,1] neg_hi:[0,0,1]
	v_pk_fma_f32 v[4:5], v[4:5], v[0:1], v[8:9] op_sel:[0,0,1] op_sel_hi:[1,0,0]
	v_dual_mul_f32 v8, v7, v3 :: v_dual_mov_b32 v4, v7
	s_delay_alu instid0(VALU_DEP_2) | instskip(NEXT) | instid1(VALU_DEP_2)
	v_dual_mov_b32 v11, v5 :: v_dual_mov_b32 v5, v6
	v_pk_fma_f32 v[8:9], v[6:7], v[38:39], v[8:9] op_sel_hi:[1,1,0] neg_lo:[0,0,1] neg_hi:[0,0,1]
	v_mul_f32_e32 v6, v7, v0
	s_delay_alu instid0(VALU_DEP_3) | instskip(NEXT) | instid1(VALU_DEP_2)
	v_pk_add_f32 v[122:123], v[122:123], v[10:11] neg_lo:[0,1] neg_hi:[0,1]
	v_pk_fma_f32 v[4:5], v[4:5], v[38:39], v[6:7] op_sel_hi:[1,1,0]
	s_delay_alu instid0(VALU_DEP_1) | instskip(SKIP_4) | instid1(VALU_DEP_1)
	v_mov_b32_e32 v9, v5
	ds_load_2addr_b64 v[4:7], v96 offset0:33 offset1:34
	v_pk_add_f32 v[144:145], v[144:145], v[8:9] neg_lo:[0,1] neg_hi:[0,1]
	s_wait_dscnt 0x0
	v_pk_mul_f32 v[8:9], v[4:5], v[2:3] op_sel:[0,1]
	v_pk_fma_f32 v[10:11], v[4:5], v[0:1], v[8:9] op_sel:[0,0,1] op_sel_hi:[1,1,0] neg_lo:[0,0,1] neg_hi:[0,0,1]
	v_pk_fma_f32 v[4:5], v[4:5], v[0:1], v[8:9] op_sel:[0,0,1] op_sel_hi:[1,0,0]
	s_delay_alu instid0(VALU_DEP_1) | instskip(SKIP_1) | instid1(VALU_DEP_1)
	v_mov_b32_e32 v11, v5
	v_pk_mul_f32 v[4:5], v[6:7], v[2:3] op_sel:[0,1]
	v_pk_fma_f32 v[8:9], v[6:7], v[0:1], v[4:5] op_sel:[0,0,1] op_sel_hi:[1,1,0] neg_lo:[0,0,1] neg_hi:[0,0,1]
	v_pk_fma_f32 v[4:5], v[6:7], v[0:1], v[4:5] op_sel:[0,0,1] op_sel_hi:[1,0,0]
	s_delay_alu instid0(VALU_DEP_1)
	v_mov_b32_e32 v9, v5
	ds_load_2addr_b64 v[4:7], v96 offset0:35 offset1:36
	v_pk_add_f32 v[140:141], v[140:141], v[10:11] neg_lo:[0,1] neg_hi:[0,1]
	v_pk_add_f32 v[142:143], v[142:143], v[8:9] neg_lo:[0,1] neg_hi:[0,1]
	s_wait_dscnt 0x0
	v_pk_mul_f32 v[8:9], v[4:5], v[2:3] op_sel:[0,1]
	s_delay_alu instid0(VALU_DEP_1) | instskip(SKIP_1) | instid1(VALU_DEP_1)
	v_pk_fma_f32 v[10:11], v[4:5], v[0:1], v[8:9] op_sel:[0,0,1] op_sel_hi:[1,1,0] neg_lo:[0,0,1] neg_hi:[0,0,1]
	v_pk_fma_f32 v[4:5], v[4:5], v[0:1], v[8:9] op_sel:[0,0,1] op_sel_hi:[1,0,0]
	v_mov_b32_e32 v11, v5
	v_pk_mul_f32 v[4:5], v[6:7], v[2:3] op_sel:[0,1]
	s_delay_alu instid0(VALU_DEP_1) | instskip(SKIP_1) | instid1(VALU_DEP_1)
	v_pk_fma_f32 v[8:9], v[6:7], v[0:1], v[4:5] op_sel:[0,0,1] op_sel_hi:[1,1,0] neg_lo:[0,0,1] neg_hi:[0,0,1]
	v_pk_fma_f32 v[4:5], v[6:7], v[0:1], v[4:5] op_sel:[0,0,1] op_sel_hi:[1,0,0]
	v_mov_b32_e32 v9, v5
	ds_load_2addr_b64 v[4:7], v96 offset0:37 offset1:38
	v_pk_add_f32 v[138:139], v[138:139], v[10:11] neg_lo:[0,1] neg_hi:[0,1]
	v_pk_add_f32 v[162:163], v[162:163], v[8:9] neg_lo:[0,1] neg_hi:[0,1]
	s_wait_dscnt 0x0
	v_dual_mul_f32 v8, v5, v3 :: v_dual_mul_f32 v10, v5, v0
	s_delay_alu instid0(VALU_DEP_1) | instskip(NEXT) | instid1(VALU_DEP_2)
	v_pk_fma_f32 v[8:9], v[4:5], v[38:39], v[8:9] op_sel_hi:[1,1,0] neg_lo:[0,0,1] neg_hi:[0,0,1]
	v_pk_fma_f32 v[4:5], v[4:5], v[38:39], v[10:11] op_sel:[1,0,0] op_sel_hi:[0,1,0]
	s_delay_alu instid0(VALU_DEP_1) | instskip(SKIP_1) | instid1(VALU_DEP_2)
	v_mov_b32_e32 v9, v5
	v_pk_mul_f32 v[4:5], v[6:7], v[2:3] op_sel:[0,1]
	v_pk_add_f32 v[158:159], v[158:159], v[8:9] neg_lo:[0,1] neg_hi:[0,1]
	s_delay_alu instid0(VALU_DEP_2) | instskip(SKIP_1) | instid1(VALU_DEP_1)
	v_pk_fma_f32 v[8:9], v[6:7], v[0:1], v[4:5] op_sel:[0,0,1] op_sel_hi:[1,1,0] neg_lo:[0,0,1] neg_hi:[0,0,1]
	v_pk_fma_f32 v[4:5], v[6:7], v[0:1], v[4:5] op_sel:[0,0,1] op_sel_hi:[1,0,0]
	v_mov_b32_e32 v9, v5
	ds_load_2addr_b64 v[4:7], v96 offset0:39 offset1:40
	v_pk_add_f32 v[160:161], v[160:161], v[8:9] neg_lo:[0,1] neg_hi:[0,1]
	s_wait_dscnt 0x0
	v_pk_mul_f32 v[8:9], v[4:5], v[2:3] op_sel:[0,1]
	s_delay_alu instid0(VALU_DEP_1) | instskip(SKIP_1) | instid1(VALU_DEP_1)
	v_pk_fma_f32 v[10:11], v[4:5], v[0:1], v[8:9] op_sel:[0,0,1] op_sel_hi:[1,1,0] neg_lo:[0,0,1] neg_hi:[0,0,1]
	v_pk_fma_f32 v[4:5], v[4:5], v[0:1], v[8:9] op_sel:[0,0,1] op_sel_hi:[1,0,0]
	v_mov_b32_e32 v11, v5
	v_pk_mul_f32 v[4:5], v[6:7], v[2:3] op_sel:[0,1]
	s_delay_alu instid0(VALU_DEP_2) | instskip(NEXT) | instid1(VALU_DEP_2)
	v_pk_add_f32 v[156:157], v[156:157], v[10:11] neg_lo:[0,1] neg_hi:[0,1]
	v_pk_fma_f32 v[8:9], v[6:7], v[0:1], v[4:5] op_sel:[0,0,1] op_sel_hi:[1,1,0] neg_lo:[0,0,1] neg_hi:[0,0,1]
	v_pk_fma_f32 v[4:5], v[6:7], v[0:1], v[4:5] op_sel:[0,0,1] op_sel_hi:[1,0,0]
	s_delay_alu instid0(VALU_DEP_1) | instskip(SKIP_4) | instid1(VALU_DEP_1)
	v_mov_b32_e32 v9, v5
	ds_load_2addr_b64 v[4:7], v96 offset0:41 offset1:42
	v_pk_add_f32 v[180:181], v[180:181], v[8:9] neg_lo:[0,1] neg_hi:[0,1]
	s_wait_dscnt 0x0
	v_pk_mul_f32 v[8:9], v[4:5], v[2:3] op_sel:[0,1]
	v_pk_fma_f32 v[10:11], v[4:5], v[0:1], v[8:9] op_sel:[0,0,1] op_sel_hi:[1,1,0] neg_lo:[0,0,1] neg_hi:[0,0,1]
	v_pk_fma_f32 v[4:5], v[4:5], v[0:1], v[8:9] op_sel:[0,0,1] op_sel_hi:[1,0,0]
	v_dual_mul_f32 v8, v7, v3 :: v_dual_mov_b32 v4, v7
	s_delay_alu instid0(VALU_DEP_2) | instskip(NEXT) | instid1(VALU_DEP_2)
	v_dual_mov_b32 v11, v5 :: v_dual_mov_b32 v5, v6
	v_pk_fma_f32 v[8:9], v[6:7], v[38:39], v[8:9] op_sel_hi:[1,1,0] neg_lo:[0,0,1] neg_hi:[0,0,1]
	v_mul_f32_e32 v6, v7, v0
	s_delay_alu instid0(VALU_DEP_3) | instskip(NEXT) | instid1(VALU_DEP_2)
	v_pk_add_f32 v[176:177], v[176:177], v[10:11] neg_lo:[0,1] neg_hi:[0,1]
	v_pk_fma_f32 v[4:5], v[4:5], v[38:39], v[6:7] op_sel_hi:[1,1,0]
	s_delay_alu instid0(VALU_DEP_1) | instskip(SKIP_4) | instid1(VALU_DEP_1)
	v_mov_b32_e32 v9, v5
	ds_load_2addr_b64 v[4:7], v96 offset0:43 offset1:44
	v_pk_add_f32 v[178:179], v[178:179], v[8:9] neg_lo:[0,1] neg_hi:[0,1]
	s_wait_dscnt 0x0
	v_pk_mul_f32 v[8:9], v[4:5], v[2:3] op_sel:[0,1]
	v_pk_fma_f32 v[10:11], v[4:5], v[0:1], v[8:9] op_sel:[0,0,1] op_sel_hi:[1,1,0] neg_lo:[0,0,1] neg_hi:[0,0,1]
	v_pk_fma_f32 v[4:5], v[4:5], v[0:1], v[8:9] op_sel:[0,0,1] op_sel_hi:[1,0,0]
	s_delay_alu instid0(VALU_DEP_1) | instskip(SKIP_1) | instid1(VALU_DEP_1)
	v_mov_b32_e32 v11, v5
	v_pk_mul_f32 v[4:5], v[6:7], v[2:3] op_sel:[0,1]
	v_pk_fma_f32 v[8:9], v[6:7], v[0:1], v[4:5] op_sel:[0,0,1] op_sel_hi:[1,1,0] neg_lo:[0,0,1] neg_hi:[0,0,1]
	v_pk_fma_f32 v[4:5], v[6:7], v[0:1], v[4:5] op_sel:[0,0,1] op_sel_hi:[1,0,0]
	s_delay_alu instid0(VALU_DEP_1)
	v_mov_b32_e32 v9, v5
	ds_load_2addr_b64 v[4:7], v96 offset0:45 offset1:46
	v_pk_add_f32 v[174:175], v[174:175], v[10:11] neg_lo:[0,1] neg_hi:[0,1]
	v_pk_add_f32 v[196:197], v[196:197], v[8:9] neg_lo:[0,1] neg_hi:[0,1]
	s_wait_dscnt 0x0
	v_pk_mul_f32 v[8:9], v[4:5], v[2:3] op_sel:[0,1]
	s_delay_alu instid0(VALU_DEP_1) | instskip(SKIP_1) | instid1(VALU_DEP_1)
	v_pk_fma_f32 v[10:11], v[4:5], v[0:1], v[8:9] op_sel:[0,0,1] op_sel_hi:[1,1,0] neg_lo:[0,0,1] neg_hi:[0,0,1]
	v_pk_fma_f32 v[4:5], v[4:5], v[0:1], v[8:9] op_sel:[0,0,1] op_sel_hi:[1,0,0]
	v_mov_b32_e32 v11, v5
	v_pk_mul_f32 v[4:5], v[6:7], v[2:3] op_sel:[0,1]
	s_delay_alu instid0(VALU_DEP_1) | instskip(SKIP_1) | instid1(VALU_DEP_1)
	v_pk_fma_f32 v[8:9], v[6:7], v[0:1], v[4:5] op_sel:[0,0,1] op_sel_hi:[1,1,0] neg_lo:[0,0,1] neg_hi:[0,0,1]
	v_pk_fma_f32 v[4:5], v[6:7], v[0:1], v[4:5] op_sel:[0,0,1] op_sel_hi:[1,0,0]
	v_mov_b32_e32 v9, v5
	ds_load_2addr_b64 v[4:7], v96 offset0:47 offset1:48
	v_pk_add_f32 v[192:193], v[192:193], v[10:11] neg_lo:[0,1] neg_hi:[0,1]
	v_pk_add_f32 v[194:195], v[194:195], v[8:9] neg_lo:[0,1] neg_hi:[0,1]
	s_wait_dscnt 0x0
	v_dual_mul_f32 v8, v5, v3 :: v_dual_mul_f32 v10, v5, v0
	s_delay_alu instid0(VALU_DEP_1) | instskip(NEXT) | instid1(VALU_DEP_2)
	v_pk_fma_f32 v[8:9], v[4:5], v[38:39], v[8:9] op_sel_hi:[1,1,0] neg_lo:[0,0,1] neg_hi:[0,0,1]
	v_pk_fma_f32 v[4:5], v[4:5], v[38:39], v[10:11] op_sel:[1,0,0] op_sel_hi:[0,1,0]
	s_delay_alu instid0(VALU_DEP_1) | instskip(SKIP_1) | instid1(VALU_DEP_2)
	v_mov_b32_e32 v9, v5
	v_pk_mul_f32 v[4:5], v[6:7], v[2:3] op_sel:[0,1]
	v_pk_add_f32 v[190:191], v[190:191], v[8:9] neg_lo:[0,1] neg_hi:[0,1]
	s_delay_alu instid0(VALU_DEP_2) | instskip(SKIP_1) | instid1(VALU_DEP_1)
	v_pk_fma_f32 v[8:9], v[6:7], v[0:1], v[4:5] op_sel:[0,0,1] op_sel_hi:[1,1,0] neg_lo:[0,0,1] neg_hi:[0,0,1]
	v_pk_fma_f32 v[4:5], v[6:7], v[0:1], v[4:5] op_sel:[0,0,1] op_sel_hi:[1,0,0]
	v_mov_b32_e32 v9, v5
	ds_load_b64 v[4:5], v96 offset:392
	v_pk_add_f32 v[198:199], v[198:199], v[8:9] neg_lo:[0,1] neg_hi:[0,1]
	s_wait_dscnt 0x0
	v_pk_mul_f32 v[2:3], v[4:5], v[2:3] op_sel:[0,1]
	s_delay_alu instid0(VALU_DEP_1) | instskip(SKIP_1) | instid1(VALU_DEP_1)
	v_pk_fma_f32 v[6:7], v[4:5], v[0:1], v[2:3] op_sel:[0,0,1] op_sel_hi:[1,1,0] neg_lo:[0,0,1] neg_hi:[0,0,1]
	v_pk_fma_f32 v[0:1], v[4:5], v[0:1], v[2:3] op_sel:[0,0,1] op_sel_hi:[1,0,0]
	v_mov_b32_e32 v7, v1
	s_delay_alu instid0(VALU_DEP_1)
	v_pk_add_f32 v[200:201], v[200:201], v[6:7] neg_lo:[0,1] neg_hi:[0,1]
.LBB99_82:
	s_wait_xcnt 0x0
	s_or_b32 exec_lo, exec_lo, s1
	s_delay_alu instid0(SALU_CYCLE_1)
	s_mov_b32 s2, exec_lo
	s_wait_storecnt 0x0
	s_barrier_signal -1
	s_barrier_wait -1
	v_cmpx_eq_u32_e32 9, v86
	s_cbranch_execz .LBB99_89
; %bb.83:
	v_dual_mov_b32 v0, v36 :: v_dual_mov_b32 v1, v37
	v_dual_mov_b32 v2, v32 :: v_dual_mov_b32 v3, v33
	;; [unrolled: 1-line block ×4, first 2 shown]
	ds_store_b64 v87, v[34:35]
	ds_store_2addr_b64 v96, v[0:1], v[2:3] offset0:10 offset1:11
	ds_store_2addr_b64 v96, v[4:5], v[6:7] offset0:12 offset1:13
	v_dual_mov_b32 v0, v52 :: v_dual_mov_b32 v1, v53
	v_dual_mov_b32 v2, v48 :: v_dual_mov_b32 v3, v49
	;; [unrolled: 1-line block ×12, first 2 shown]
	ds_store_2addr_b64 v96, v[0:1], v[2:3] offset0:14 offset1:15
	ds_store_2addr_b64 v96, v[4:5], v[6:7] offset0:16 offset1:17
	;; [unrolled: 1-line block ×6, first 2 shown]
	v_dual_mov_b32 v0, v110 :: v_dual_mov_b32 v1, v111
	v_dual_mov_b32 v2, v106 :: v_dual_mov_b32 v3, v107
	;; [unrolled: 1-line block ×12, first 2 shown]
	ds_store_2addr_b64 v96, v[0:1], v[2:3] offset0:26 offset1:27
	ds_store_2addr_b64 v96, v[4:5], v[6:7] offset0:28 offset1:29
	;; [unrolled: 1-line block ×6, first 2 shown]
	v_dual_mov_b32 v0, v160 :: v_dual_mov_b32 v1, v161
	v_dual_mov_b32 v2, v156 :: v_dual_mov_b32 v3, v157
	;; [unrolled: 1-line block ×11, first 2 shown]
	ds_store_2addr_b64 v96, v[0:1], v[2:3] offset0:38 offset1:39
	ds_store_2addr_b64 v96, v[4:5], v[6:7] offset0:40 offset1:41
	ds_store_2addr_b64 v96, v[8:9], v[10:11] offset0:42 offset1:43
	ds_store_2addr_b64 v96, v[12:13], v[14:15] offset0:44 offset1:45
	ds_store_2addr_b64 v96, v[18:19], v[26:27] offset0:46 offset1:47
	ds_store_2addr_b64 v96, v[28:29], v[200:201] offset0:48 offset1:49
	ds_load_b64 v[0:1], v87
	s_wait_dscnt 0x0
	v_cmp_neq_f32_e32 vcc_lo, 0, v0
	v_cmp_neq_f32_e64 s1, 0, v1
	s_or_b32 s1, vcc_lo, s1
	s_delay_alu instid0(SALU_CYCLE_1)
	s_and_b32 exec_lo, exec_lo, s1
	s_cbranch_execz .LBB99_89
; %bb.84:
	v_cmp_ngt_f32_e64 s1, |v0|, |v1|
                                        ; implicit-def: $vgpr2_vgpr3
	s_and_saveexec_b32 s4, s1
	s_delay_alu instid0(SALU_CYCLE_1)
	s_xor_b32 s1, exec_lo, s4
	s_cbranch_execz .LBB99_86
; %bb.85:
	v_div_scale_f32 v2, null, v1, v1, v0
	v_div_scale_f32 v5, vcc_lo, v0, v1, v0
	s_delay_alu instid0(VALU_DEP_2) | instskip(SKIP_1) | instid1(TRANS32_DEP_1)
	v_rcp_f32_e32 v3, v2
	v_nop
	v_fma_f32 v4, -v2, v3, 1.0
	s_delay_alu instid0(VALU_DEP_1) | instskip(NEXT) | instid1(VALU_DEP_1)
	v_fmac_f32_e32 v3, v4, v3
	v_mul_f32_e32 v4, v5, v3
	s_delay_alu instid0(VALU_DEP_1) | instskip(NEXT) | instid1(VALU_DEP_1)
	v_fma_f32 v6, -v2, v4, v5
	v_fmac_f32_e32 v4, v6, v3
	s_delay_alu instid0(VALU_DEP_1) | instskip(NEXT) | instid1(VALU_DEP_1)
	v_fma_f32 v2, -v2, v4, v5
	v_div_fmas_f32 v2, v2, v3, v4
	s_delay_alu instid0(VALU_DEP_1) | instskip(NEXT) | instid1(VALU_DEP_1)
	v_div_fixup_f32 v2, v2, v1, v0
	v_fmac_f32_e32 v1, v0, v2
	s_delay_alu instid0(VALU_DEP_1) | instskip(SKIP_1) | instid1(VALU_DEP_2)
	v_div_scale_f32 v0, null, v1, v1, 1.0
	v_div_scale_f32 v5, vcc_lo, 1.0, v1, 1.0
	v_rcp_f32_e32 v3, v0
	v_nop
	s_delay_alu instid0(TRANS32_DEP_1) | instskip(NEXT) | instid1(VALU_DEP_1)
	v_fma_f32 v4, -v0, v3, 1.0
	v_fmac_f32_e32 v3, v4, v3
	s_delay_alu instid0(VALU_DEP_1) | instskip(NEXT) | instid1(VALU_DEP_1)
	v_mul_f32_e32 v4, v5, v3
	v_fma_f32 v6, -v0, v4, v5
	s_delay_alu instid0(VALU_DEP_1) | instskip(NEXT) | instid1(VALU_DEP_1)
	v_fmac_f32_e32 v4, v6, v3
	v_fma_f32 v0, -v0, v4, v5
	s_delay_alu instid0(VALU_DEP_1) | instskip(NEXT) | instid1(VALU_DEP_1)
	v_div_fmas_f32 v0, v0, v3, v4
	v_div_fixup_f32 v0, v0, v1, 1.0
	s_delay_alu instid0(VALU_DEP_1)
	v_mul_f32_e32 v2, v2, v0
	v_xor_b32_e32 v3, 0x80000000, v0
                                        ; implicit-def: $vgpr0_vgpr1
.LBB99_86:
	s_and_not1_saveexec_b32 s1, s1
	s_cbranch_execz .LBB99_88
; %bb.87:
	v_div_scale_f32 v2, null, v0, v0, v1
	v_div_scale_f32 v5, vcc_lo, v1, v0, v1
	s_delay_alu instid0(VALU_DEP_2) | instskip(SKIP_1) | instid1(TRANS32_DEP_1)
	v_rcp_f32_e32 v3, v2
	v_nop
	v_fma_f32 v4, -v2, v3, 1.0
	s_delay_alu instid0(VALU_DEP_1) | instskip(NEXT) | instid1(VALU_DEP_1)
	v_fmac_f32_e32 v3, v4, v3
	v_mul_f32_e32 v4, v5, v3
	s_delay_alu instid0(VALU_DEP_1) | instskip(NEXT) | instid1(VALU_DEP_1)
	v_fma_f32 v6, -v2, v4, v5
	v_fmac_f32_e32 v4, v6, v3
	s_delay_alu instid0(VALU_DEP_1) | instskip(NEXT) | instid1(VALU_DEP_1)
	v_fma_f32 v2, -v2, v4, v5
	v_div_fmas_f32 v2, v2, v3, v4
	s_delay_alu instid0(VALU_DEP_1) | instskip(NEXT) | instid1(VALU_DEP_1)
	v_div_fixup_f32 v3, v2, v0, v1
	v_fmac_f32_e32 v0, v1, v3
	s_delay_alu instid0(VALU_DEP_1) | instskip(NEXT) | instid1(VALU_DEP_1)
	v_div_scale_f32 v1, null, v0, v0, 1.0
	v_rcp_f32_e32 v2, v1
	v_nop
	s_delay_alu instid0(TRANS32_DEP_1) | instskip(NEXT) | instid1(VALU_DEP_1)
	v_fma_f32 v4, -v1, v2, 1.0
	v_fmac_f32_e32 v2, v4, v2
	v_div_scale_f32 v4, vcc_lo, 1.0, v0, 1.0
	s_delay_alu instid0(VALU_DEP_1) | instskip(NEXT) | instid1(VALU_DEP_1)
	v_mul_f32_e32 v5, v4, v2
	v_fma_f32 v6, -v1, v5, v4
	s_delay_alu instid0(VALU_DEP_1) | instskip(NEXT) | instid1(VALU_DEP_1)
	v_fmac_f32_e32 v5, v6, v2
	v_fma_f32 v1, -v1, v5, v4
	s_delay_alu instid0(VALU_DEP_1) | instskip(NEXT) | instid1(VALU_DEP_1)
	v_div_fmas_f32 v1, v1, v2, v5
	v_div_fixup_f32 v2, v1, v0, 1.0
	s_delay_alu instid0(VALU_DEP_1)
	v_mul_f32_e64 v3, v3, -v2
.LBB99_88:
	s_or_b32 exec_lo, exec_lo, s1
	ds_store_b64 v87, v[2:3]
.LBB99_89:
	s_or_b32 exec_lo, exec_lo, s2
	s_wait_dscnt 0x0
	s_barrier_signal -1
	s_barrier_wait -1
	ds_load_b64 v[0:1], v87
	s_mov_b32 s1, exec_lo
	s_wait_dscnt 0x0
	scratch_store_b64 off, v[0:1], off offset:80 ; 8-byte Folded Spill
	s_wait_xcnt 0x0
	v_cmpx_lt_u32_e32 9, v86
	s_cbranch_execz .LBB99_91
; %bb.90:
	scratch_load_b64 v[4:5], off, off offset:80 ; 8-byte Folded Reload
	s_wait_loadcnt 0x0
	v_pk_mul_f32 v[2:3], v[4:5], v[34:35] op_sel:[1,1] op_sel_hi:[0,1]
	s_delay_alu instid0(VALU_DEP_1)
	v_pk_fma_f32 v[0:1], v[4:5], v[34:35], v[2:3] op_sel_hi:[1,0,1] neg_lo:[0,0,1] neg_hi:[0,0,1]
	v_pk_fma_f32 v[2:3], v[4:5], v[34:35], v[2:3] op_sel_hi:[1,0,1]
	ds_load_2addr_b64 v[4:7], v96 offset0:10 offset1:11
	v_dual_mov_b32 v34, v0 :: v_dual_mov_b32 v35, v3
	s_wait_dscnt 0x0
	v_pk_mul_f32 v[8:9], v[4:5], v[2:3] op_sel:[0,1]
	s_delay_alu instid0(VALU_DEP_1) | instskip(SKIP_1) | instid1(VALU_DEP_1)
	v_pk_fma_f32 v[10:11], v[4:5], v[0:1], v[8:9] op_sel:[0,0,1] op_sel_hi:[1,1,0] neg_lo:[0,0,1] neg_hi:[0,0,1]
	v_pk_fma_f32 v[4:5], v[4:5], v[0:1], v[8:9] op_sel:[0,0,1] op_sel_hi:[1,0,0]
	v_mov_b32_e32 v11, v5
	v_pk_mul_f32 v[4:5], v[6:7], v[2:3] op_sel:[0,1]
	s_delay_alu instid0(VALU_DEP_1) | instskip(SKIP_1) | instid1(VALU_DEP_1)
	v_pk_fma_f32 v[8:9], v[6:7], v[0:1], v[4:5] op_sel:[0,0,1] op_sel_hi:[1,1,0] neg_lo:[0,0,1] neg_hi:[0,0,1]
	v_pk_fma_f32 v[4:5], v[6:7], v[0:1], v[4:5] op_sel:[0,0,1] op_sel_hi:[1,0,0]
	v_mov_b32_e32 v9, v5
	ds_load_2addr_b64 v[4:7], v96 offset0:12 offset1:13
	v_pk_add_f32 v[36:37], v[36:37], v[10:11] neg_lo:[0,1] neg_hi:[0,1]
	v_pk_add_f32 v[32:33], v[32:33], v[8:9] neg_lo:[0,1] neg_hi:[0,1]
	s_wait_dscnt 0x0
	v_pk_mul_f32 v[8:9], v[4:5], v[2:3] op_sel:[0,1]
	s_delay_alu instid0(VALU_DEP_1) | instskip(SKIP_2) | instid1(VALU_DEP_2)
	v_pk_fma_f32 v[10:11], v[4:5], v[0:1], v[8:9] op_sel:[0,0,1] op_sel_hi:[1,1,0] neg_lo:[0,0,1] neg_hi:[0,0,1]
	v_pk_fma_f32 v[4:5], v[4:5], v[0:1], v[8:9] op_sel:[0,0,1] op_sel_hi:[1,0,0]
	v_dual_mul_f32 v8, v7, v3 :: v_dual_mov_b32 v4, v7
	v_dual_mov_b32 v11, v5 :: v_dual_mov_b32 v5, v6
	s_delay_alu instid0(VALU_DEP_2) | instskip(SKIP_1) | instid1(VALU_DEP_3)
	v_pk_fma_f32 v[8:9], v[6:7], v[34:35], v[8:9] op_sel_hi:[1,1,0] neg_lo:[0,0,1] neg_hi:[0,0,1]
	v_mul_f32_e32 v6, v7, v0
	v_pk_add_f32 v[54:55], v[54:55], v[10:11] neg_lo:[0,1] neg_hi:[0,1]
	s_delay_alu instid0(VALU_DEP_2) | instskip(NEXT) | instid1(VALU_DEP_1)
	v_pk_fma_f32 v[4:5], v[4:5], v[34:35], v[6:7] op_sel_hi:[1,1,0]
	v_mov_b32_e32 v9, v5
	ds_load_2addr_b64 v[4:7], v96 offset0:14 offset1:15
	v_pk_add_f32 v[50:51], v[50:51], v[8:9] neg_lo:[0,1] neg_hi:[0,1]
	s_wait_dscnt 0x0
	v_pk_mul_f32 v[8:9], v[4:5], v[2:3] op_sel:[0,1]
	s_delay_alu instid0(VALU_DEP_1) | instskip(SKIP_1) | instid1(VALU_DEP_1)
	v_pk_fma_f32 v[10:11], v[4:5], v[0:1], v[8:9] op_sel:[0,0,1] op_sel_hi:[1,1,0] neg_lo:[0,0,1] neg_hi:[0,0,1]
	v_pk_fma_f32 v[4:5], v[4:5], v[0:1], v[8:9] op_sel:[0,0,1] op_sel_hi:[1,0,0]
	v_mov_b32_e32 v11, v5
	v_pk_mul_f32 v[4:5], v[6:7], v[2:3] op_sel:[0,1]
	s_delay_alu instid0(VALU_DEP_1) | instskip(SKIP_1) | instid1(VALU_DEP_1)
	v_pk_fma_f32 v[8:9], v[6:7], v[0:1], v[4:5] op_sel:[0,0,1] op_sel_hi:[1,1,0] neg_lo:[0,0,1] neg_hi:[0,0,1]
	v_pk_fma_f32 v[4:5], v[6:7], v[0:1], v[4:5] op_sel:[0,0,1] op_sel_hi:[1,0,0]
	v_mov_b32_e32 v9, v5
	ds_load_2addr_b64 v[4:7], v96 offset0:16 offset1:17
	v_pk_add_f32 v[52:53], v[52:53], v[10:11] neg_lo:[0,1] neg_hi:[0,1]
	v_pk_add_f32 v[48:49], v[48:49], v[8:9] neg_lo:[0,1] neg_hi:[0,1]
	s_wait_dscnt 0x0
	v_pk_mul_f32 v[8:9], v[4:5], v[2:3] op_sel:[0,1]
	s_delay_alu instid0(VALU_DEP_1) | instskip(SKIP_1) | instid1(VALU_DEP_1)
	v_pk_fma_f32 v[10:11], v[4:5], v[0:1], v[8:9] op_sel:[0,0,1] op_sel_hi:[1,1,0] neg_lo:[0,0,1] neg_hi:[0,0,1]
	v_pk_fma_f32 v[4:5], v[4:5], v[0:1], v[8:9] op_sel:[0,0,1] op_sel_hi:[1,0,0]
	v_mov_b32_e32 v11, v5
	v_pk_mul_f32 v[4:5], v[6:7], v[2:3] op_sel:[0,1]
	s_delay_alu instid0(VALU_DEP_1) | instskip(SKIP_1) | instid1(VALU_DEP_1)
	v_pk_fma_f32 v[8:9], v[6:7], v[0:1], v[4:5] op_sel:[0,0,1] op_sel_hi:[1,1,0] neg_lo:[0,0,1] neg_hi:[0,0,1]
	v_pk_fma_f32 v[4:5], v[6:7], v[0:1], v[4:5] op_sel:[0,0,1] op_sel_hi:[1,0,0]
	v_mov_b32_e32 v9, v5
	ds_load_2addr_b64 v[4:7], v96 offset0:18 offset1:19
	v_pk_add_f32 v[78:79], v[78:79], v[10:11] neg_lo:[0,1] neg_hi:[0,1]
	v_pk_add_f32 v[74:75], v[74:75], v[8:9] neg_lo:[0,1] neg_hi:[0,1]
	s_wait_dscnt 0x0
	v_dual_mul_f32 v8, v5, v3 :: v_dual_mul_f32 v10, v5, v0
	s_delay_alu instid0(VALU_DEP_1) | instskip(NEXT) | instid1(VALU_DEP_2)
	v_pk_fma_f32 v[8:9], v[4:5], v[34:35], v[8:9] op_sel_hi:[1,1,0] neg_lo:[0,0,1] neg_hi:[0,0,1]
	v_pk_fma_f32 v[4:5], v[4:5], v[34:35], v[10:11] op_sel:[1,0,0] op_sel_hi:[0,1,0]
	s_delay_alu instid0(VALU_DEP_1) | instskip(SKIP_1) | instid1(VALU_DEP_2)
	v_mov_b32_e32 v9, v5
	v_pk_mul_f32 v[4:5], v[6:7], v[2:3] op_sel:[0,1]
	v_pk_add_f32 v[76:77], v[76:77], v[8:9] neg_lo:[0,1] neg_hi:[0,1]
	s_delay_alu instid0(VALU_DEP_2) | instskip(SKIP_1) | instid1(VALU_DEP_1)
	v_pk_fma_f32 v[8:9], v[6:7], v[0:1], v[4:5] op_sel:[0,0,1] op_sel_hi:[1,1,0] neg_lo:[0,0,1] neg_hi:[0,0,1]
	v_pk_fma_f32 v[4:5], v[6:7], v[0:1], v[4:5] op_sel:[0,0,1] op_sel_hi:[1,0,0]
	v_mov_b32_e32 v9, v5
	ds_load_2addr_b64 v[4:7], v96 offset0:20 offset1:21
	v_pk_add_f32 v[72:73], v[72:73], v[8:9] neg_lo:[0,1] neg_hi:[0,1]
	s_wait_dscnt 0x0
	v_pk_mul_f32 v[8:9], v[4:5], v[2:3] op_sel:[0,1]
	s_delay_alu instid0(VALU_DEP_1) | instskip(SKIP_1) | instid1(VALU_DEP_1)
	v_pk_fma_f32 v[10:11], v[4:5], v[0:1], v[8:9] op_sel:[0,0,1] op_sel_hi:[1,1,0] neg_lo:[0,0,1] neg_hi:[0,0,1]
	v_pk_fma_f32 v[4:5], v[4:5], v[0:1], v[8:9] op_sel:[0,0,1] op_sel_hi:[1,0,0]
	v_mov_b32_e32 v11, v5
	v_pk_mul_f32 v[4:5], v[6:7], v[2:3] op_sel:[0,1]
	s_delay_alu instid0(VALU_DEP_2) | instskip(NEXT) | instid1(VALU_DEP_2)
	v_pk_add_f32 v[94:95], v[94:95], v[10:11] neg_lo:[0,1] neg_hi:[0,1]
	v_pk_fma_f32 v[8:9], v[6:7], v[0:1], v[4:5] op_sel:[0,0,1] op_sel_hi:[1,1,0] neg_lo:[0,0,1] neg_hi:[0,0,1]
	v_pk_fma_f32 v[4:5], v[6:7], v[0:1], v[4:5] op_sel:[0,0,1] op_sel_hi:[1,0,0]
	s_delay_alu instid0(VALU_DEP_1) | instskip(SKIP_4) | instid1(VALU_DEP_1)
	v_mov_b32_e32 v9, v5
	ds_load_2addr_b64 v[4:7], v96 offset0:22 offset1:23
	v_pk_add_f32 v[90:91], v[90:91], v[8:9] neg_lo:[0,1] neg_hi:[0,1]
	s_wait_dscnt 0x0
	v_pk_mul_f32 v[8:9], v[4:5], v[2:3] op_sel:[0,1]
	v_pk_fma_f32 v[10:11], v[4:5], v[0:1], v[8:9] op_sel:[0,0,1] op_sel_hi:[1,1,0] neg_lo:[0,0,1] neg_hi:[0,0,1]
	v_pk_fma_f32 v[4:5], v[4:5], v[0:1], v[8:9] op_sel:[0,0,1] op_sel_hi:[1,0,0]
	v_dual_mul_f32 v8, v7, v3 :: v_dual_mov_b32 v4, v7
	s_delay_alu instid0(VALU_DEP_2) | instskip(NEXT) | instid1(VALU_DEP_2)
	v_dual_mov_b32 v11, v5 :: v_dual_mov_b32 v5, v6
	v_pk_fma_f32 v[8:9], v[6:7], v[34:35], v[8:9] op_sel_hi:[1,1,0] neg_lo:[0,0,1] neg_hi:[0,0,1]
	v_mul_f32_e32 v6, v7, v0
	s_delay_alu instid0(VALU_DEP_3) | instskip(NEXT) | instid1(VALU_DEP_2)
	v_pk_add_f32 v[92:93], v[92:93], v[10:11] neg_lo:[0,1] neg_hi:[0,1]
	v_pk_fma_f32 v[4:5], v[4:5], v[34:35], v[6:7] op_sel_hi:[1,1,0]
	s_delay_alu instid0(VALU_DEP_1) | instskip(SKIP_4) | instid1(VALU_DEP_1)
	v_mov_b32_e32 v9, v5
	ds_load_2addr_b64 v[4:7], v96 offset0:24 offset1:25
	v_pk_add_f32 v[88:89], v[88:89], v[8:9] neg_lo:[0,1] neg_hi:[0,1]
	s_wait_dscnt 0x0
	v_pk_mul_f32 v[8:9], v[4:5], v[2:3] op_sel:[0,1]
	v_pk_fma_f32 v[10:11], v[4:5], v[0:1], v[8:9] op_sel:[0,0,1] op_sel_hi:[1,1,0] neg_lo:[0,0,1] neg_hi:[0,0,1]
	v_pk_fma_f32 v[4:5], v[4:5], v[0:1], v[8:9] op_sel:[0,0,1] op_sel_hi:[1,0,0]
	s_delay_alu instid0(VALU_DEP_1) | instskip(SKIP_1) | instid1(VALU_DEP_1)
	v_mov_b32_e32 v11, v5
	v_pk_mul_f32 v[4:5], v[6:7], v[2:3] op_sel:[0,1]
	v_pk_fma_f32 v[8:9], v[6:7], v[0:1], v[4:5] op_sel:[0,0,1] op_sel_hi:[1,1,0] neg_lo:[0,0,1] neg_hi:[0,0,1]
	v_pk_fma_f32 v[4:5], v[6:7], v[0:1], v[4:5] op_sel:[0,0,1] op_sel_hi:[1,0,0]
	s_delay_alu instid0(VALU_DEP_1)
	v_mov_b32_e32 v9, v5
	ds_load_2addr_b64 v[4:7], v96 offset0:26 offset1:27
	v_pk_add_f32 v[112:113], v[112:113], v[10:11] neg_lo:[0,1] neg_hi:[0,1]
	v_pk_add_f32 v[108:109], v[108:109], v[8:9] neg_lo:[0,1] neg_hi:[0,1]
	s_wait_dscnt 0x0
	v_pk_mul_f32 v[8:9], v[4:5], v[2:3] op_sel:[0,1]
	s_delay_alu instid0(VALU_DEP_1) | instskip(SKIP_1) | instid1(VALU_DEP_1)
	v_pk_fma_f32 v[10:11], v[4:5], v[0:1], v[8:9] op_sel:[0,0,1] op_sel_hi:[1,1,0] neg_lo:[0,0,1] neg_hi:[0,0,1]
	v_pk_fma_f32 v[4:5], v[4:5], v[0:1], v[8:9] op_sel:[0,0,1] op_sel_hi:[1,0,0]
	v_mov_b32_e32 v11, v5
	v_pk_mul_f32 v[4:5], v[6:7], v[2:3] op_sel:[0,1]
	s_delay_alu instid0(VALU_DEP_1) | instskip(SKIP_1) | instid1(VALU_DEP_1)
	v_pk_fma_f32 v[8:9], v[6:7], v[0:1], v[4:5] op_sel:[0,0,1] op_sel_hi:[1,1,0] neg_lo:[0,0,1] neg_hi:[0,0,1]
	v_pk_fma_f32 v[4:5], v[6:7], v[0:1], v[4:5] op_sel:[0,0,1] op_sel_hi:[1,0,0]
	v_mov_b32_e32 v9, v5
	ds_load_2addr_b64 v[4:7], v96 offset0:28 offset1:29
	v_pk_add_f32 v[110:111], v[110:111], v[10:11] neg_lo:[0,1] neg_hi:[0,1]
	v_pk_add_f32 v[106:107], v[106:107], v[8:9] neg_lo:[0,1] neg_hi:[0,1]
	s_wait_dscnt 0x0
	v_dual_mul_f32 v8, v5, v3 :: v_dual_mul_f32 v10, v5, v0
	s_delay_alu instid0(VALU_DEP_1) | instskip(NEXT) | instid1(VALU_DEP_2)
	v_pk_fma_f32 v[8:9], v[4:5], v[34:35], v[8:9] op_sel_hi:[1,1,0] neg_lo:[0,0,1] neg_hi:[0,0,1]
	v_pk_fma_f32 v[4:5], v[4:5], v[34:35], v[10:11] op_sel:[1,0,0] op_sel_hi:[0,1,0]
	s_delay_alu instid0(VALU_DEP_1) | instskip(SKIP_1) | instid1(VALU_DEP_2)
	v_mov_b32_e32 v9, v5
	v_pk_mul_f32 v[4:5], v[6:7], v[2:3] op_sel:[0,1]
	v_pk_add_f32 v[128:129], v[128:129], v[8:9] neg_lo:[0,1] neg_hi:[0,1]
	s_delay_alu instid0(VALU_DEP_2) | instskip(SKIP_1) | instid1(VALU_DEP_1)
	v_pk_fma_f32 v[8:9], v[6:7], v[0:1], v[4:5] op_sel:[0,0,1] op_sel_hi:[1,1,0] neg_lo:[0,0,1] neg_hi:[0,0,1]
	v_pk_fma_f32 v[4:5], v[6:7], v[0:1], v[4:5] op_sel:[0,0,1] op_sel_hi:[1,0,0]
	v_mov_b32_e32 v9, v5
	ds_load_2addr_b64 v[4:7], v96 offset0:30 offset1:31
	v_pk_add_f32 v[124:125], v[124:125], v[8:9] neg_lo:[0,1] neg_hi:[0,1]
	s_wait_dscnt 0x0
	v_pk_mul_f32 v[8:9], v[4:5], v[2:3] op_sel:[0,1]
	s_delay_alu instid0(VALU_DEP_1) | instskip(SKIP_1) | instid1(VALU_DEP_1)
	v_pk_fma_f32 v[10:11], v[4:5], v[0:1], v[8:9] op_sel:[0,0,1] op_sel_hi:[1,1,0] neg_lo:[0,0,1] neg_hi:[0,0,1]
	v_pk_fma_f32 v[4:5], v[4:5], v[0:1], v[8:9] op_sel:[0,0,1] op_sel_hi:[1,0,0]
	v_mov_b32_e32 v11, v5
	v_pk_mul_f32 v[4:5], v[6:7], v[2:3] op_sel:[0,1]
	s_delay_alu instid0(VALU_DEP_2) | instskip(NEXT) | instid1(VALU_DEP_2)
	v_pk_add_f32 v[126:127], v[126:127], v[10:11] neg_lo:[0,1] neg_hi:[0,1]
	v_pk_fma_f32 v[8:9], v[6:7], v[0:1], v[4:5] op_sel:[0,0,1] op_sel_hi:[1,1,0] neg_lo:[0,0,1] neg_hi:[0,0,1]
	v_pk_fma_f32 v[4:5], v[6:7], v[0:1], v[4:5] op_sel:[0,0,1] op_sel_hi:[1,0,0]
	s_delay_alu instid0(VALU_DEP_1) | instskip(SKIP_4) | instid1(VALU_DEP_1)
	v_mov_b32_e32 v9, v5
	ds_load_2addr_b64 v[4:7], v96 offset0:32 offset1:33
	v_pk_add_f32 v[122:123], v[122:123], v[8:9] neg_lo:[0,1] neg_hi:[0,1]
	s_wait_dscnt 0x0
	v_pk_mul_f32 v[8:9], v[4:5], v[2:3] op_sel:[0,1]
	v_pk_fma_f32 v[10:11], v[4:5], v[0:1], v[8:9] op_sel:[0,0,1] op_sel_hi:[1,1,0] neg_lo:[0,0,1] neg_hi:[0,0,1]
	v_pk_fma_f32 v[4:5], v[4:5], v[0:1], v[8:9] op_sel:[0,0,1] op_sel_hi:[1,0,0]
	v_dual_mul_f32 v8, v7, v3 :: v_dual_mov_b32 v4, v7
	s_delay_alu instid0(VALU_DEP_2) | instskip(NEXT) | instid1(VALU_DEP_2)
	v_dual_mov_b32 v11, v5 :: v_dual_mov_b32 v5, v6
	v_pk_fma_f32 v[8:9], v[6:7], v[34:35], v[8:9] op_sel_hi:[1,1,0] neg_lo:[0,0,1] neg_hi:[0,0,1]
	v_mul_f32_e32 v6, v7, v0
	s_delay_alu instid0(VALU_DEP_3) | instskip(NEXT) | instid1(VALU_DEP_2)
	v_pk_add_f32 v[144:145], v[144:145], v[10:11] neg_lo:[0,1] neg_hi:[0,1]
	v_pk_fma_f32 v[4:5], v[4:5], v[34:35], v[6:7] op_sel_hi:[1,1,0]
	s_delay_alu instid0(VALU_DEP_1) | instskip(SKIP_4) | instid1(VALU_DEP_1)
	v_mov_b32_e32 v9, v5
	ds_load_2addr_b64 v[4:7], v96 offset0:34 offset1:35
	v_pk_add_f32 v[140:141], v[140:141], v[8:9] neg_lo:[0,1] neg_hi:[0,1]
	s_wait_dscnt 0x0
	v_pk_mul_f32 v[8:9], v[4:5], v[2:3] op_sel:[0,1]
	v_pk_fma_f32 v[10:11], v[4:5], v[0:1], v[8:9] op_sel:[0,0,1] op_sel_hi:[1,1,0] neg_lo:[0,0,1] neg_hi:[0,0,1]
	v_pk_fma_f32 v[4:5], v[4:5], v[0:1], v[8:9] op_sel:[0,0,1] op_sel_hi:[1,0,0]
	s_delay_alu instid0(VALU_DEP_1) | instskip(SKIP_1) | instid1(VALU_DEP_1)
	v_mov_b32_e32 v11, v5
	v_pk_mul_f32 v[4:5], v[6:7], v[2:3] op_sel:[0,1]
	v_pk_fma_f32 v[8:9], v[6:7], v[0:1], v[4:5] op_sel:[0,0,1] op_sel_hi:[1,1,0] neg_lo:[0,0,1] neg_hi:[0,0,1]
	v_pk_fma_f32 v[4:5], v[6:7], v[0:1], v[4:5] op_sel:[0,0,1] op_sel_hi:[1,0,0]
	s_delay_alu instid0(VALU_DEP_1)
	v_mov_b32_e32 v9, v5
	ds_load_2addr_b64 v[4:7], v96 offset0:36 offset1:37
	v_pk_add_f32 v[142:143], v[142:143], v[10:11] neg_lo:[0,1] neg_hi:[0,1]
	v_pk_add_f32 v[138:139], v[138:139], v[8:9] neg_lo:[0,1] neg_hi:[0,1]
	s_wait_dscnt 0x0
	v_pk_mul_f32 v[8:9], v[4:5], v[2:3] op_sel:[0,1]
	s_delay_alu instid0(VALU_DEP_1) | instskip(SKIP_1) | instid1(VALU_DEP_1)
	v_pk_fma_f32 v[10:11], v[4:5], v[0:1], v[8:9] op_sel:[0,0,1] op_sel_hi:[1,1,0] neg_lo:[0,0,1] neg_hi:[0,0,1]
	v_pk_fma_f32 v[4:5], v[4:5], v[0:1], v[8:9] op_sel:[0,0,1] op_sel_hi:[1,0,0]
	v_mov_b32_e32 v11, v5
	v_pk_mul_f32 v[4:5], v[6:7], v[2:3] op_sel:[0,1]
	s_delay_alu instid0(VALU_DEP_1) | instskip(SKIP_1) | instid1(VALU_DEP_1)
	v_pk_fma_f32 v[8:9], v[6:7], v[0:1], v[4:5] op_sel:[0,0,1] op_sel_hi:[1,1,0] neg_lo:[0,0,1] neg_hi:[0,0,1]
	v_pk_fma_f32 v[4:5], v[6:7], v[0:1], v[4:5] op_sel:[0,0,1] op_sel_hi:[1,0,0]
	v_mov_b32_e32 v9, v5
	ds_load_2addr_b64 v[4:7], v96 offset0:38 offset1:39
	v_pk_add_f32 v[162:163], v[162:163], v[10:11] neg_lo:[0,1] neg_hi:[0,1]
	v_pk_add_f32 v[158:159], v[158:159], v[8:9] neg_lo:[0,1] neg_hi:[0,1]
	s_wait_dscnt 0x0
	v_dual_mul_f32 v8, v5, v3 :: v_dual_mul_f32 v10, v5, v0
	s_delay_alu instid0(VALU_DEP_1) | instskip(NEXT) | instid1(VALU_DEP_2)
	v_pk_fma_f32 v[8:9], v[4:5], v[34:35], v[8:9] op_sel_hi:[1,1,0] neg_lo:[0,0,1] neg_hi:[0,0,1]
	v_pk_fma_f32 v[4:5], v[4:5], v[34:35], v[10:11] op_sel:[1,0,0] op_sel_hi:[0,1,0]
	s_delay_alu instid0(VALU_DEP_1) | instskip(SKIP_1) | instid1(VALU_DEP_2)
	v_mov_b32_e32 v9, v5
	v_pk_mul_f32 v[4:5], v[6:7], v[2:3] op_sel:[0,1]
	v_pk_add_f32 v[160:161], v[160:161], v[8:9] neg_lo:[0,1] neg_hi:[0,1]
	s_delay_alu instid0(VALU_DEP_2) | instskip(SKIP_1) | instid1(VALU_DEP_1)
	v_pk_fma_f32 v[8:9], v[6:7], v[0:1], v[4:5] op_sel:[0,0,1] op_sel_hi:[1,1,0] neg_lo:[0,0,1] neg_hi:[0,0,1]
	v_pk_fma_f32 v[4:5], v[6:7], v[0:1], v[4:5] op_sel:[0,0,1] op_sel_hi:[1,0,0]
	v_mov_b32_e32 v9, v5
	ds_load_2addr_b64 v[4:7], v96 offset0:40 offset1:41
	v_pk_add_f32 v[156:157], v[156:157], v[8:9] neg_lo:[0,1] neg_hi:[0,1]
	s_wait_dscnt 0x0
	v_pk_mul_f32 v[8:9], v[4:5], v[2:3] op_sel:[0,1]
	s_delay_alu instid0(VALU_DEP_1) | instskip(SKIP_1) | instid1(VALU_DEP_1)
	v_pk_fma_f32 v[10:11], v[4:5], v[0:1], v[8:9] op_sel:[0,0,1] op_sel_hi:[1,1,0] neg_lo:[0,0,1] neg_hi:[0,0,1]
	v_pk_fma_f32 v[4:5], v[4:5], v[0:1], v[8:9] op_sel:[0,0,1] op_sel_hi:[1,0,0]
	v_mov_b32_e32 v11, v5
	v_pk_mul_f32 v[4:5], v[6:7], v[2:3] op_sel:[0,1]
	s_delay_alu instid0(VALU_DEP_2) | instskip(NEXT) | instid1(VALU_DEP_2)
	v_pk_add_f32 v[180:181], v[180:181], v[10:11] neg_lo:[0,1] neg_hi:[0,1]
	v_pk_fma_f32 v[8:9], v[6:7], v[0:1], v[4:5] op_sel:[0,0,1] op_sel_hi:[1,1,0] neg_lo:[0,0,1] neg_hi:[0,0,1]
	v_pk_fma_f32 v[4:5], v[6:7], v[0:1], v[4:5] op_sel:[0,0,1] op_sel_hi:[1,0,0]
	s_delay_alu instid0(VALU_DEP_1) | instskip(SKIP_4) | instid1(VALU_DEP_1)
	v_mov_b32_e32 v9, v5
	ds_load_2addr_b64 v[4:7], v96 offset0:42 offset1:43
	v_pk_add_f32 v[176:177], v[176:177], v[8:9] neg_lo:[0,1] neg_hi:[0,1]
	s_wait_dscnt 0x0
	v_pk_mul_f32 v[8:9], v[4:5], v[2:3] op_sel:[0,1]
	v_pk_fma_f32 v[10:11], v[4:5], v[0:1], v[8:9] op_sel:[0,0,1] op_sel_hi:[1,1,0] neg_lo:[0,0,1] neg_hi:[0,0,1]
	v_pk_fma_f32 v[4:5], v[4:5], v[0:1], v[8:9] op_sel:[0,0,1] op_sel_hi:[1,0,0]
	v_dual_mul_f32 v8, v7, v3 :: v_dual_mov_b32 v4, v7
	s_delay_alu instid0(VALU_DEP_2) | instskip(NEXT) | instid1(VALU_DEP_2)
	v_dual_mov_b32 v11, v5 :: v_dual_mov_b32 v5, v6
	v_pk_fma_f32 v[8:9], v[6:7], v[34:35], v[8:9] op_sel_hi:[1,1,0] neg_lo:[0,0,1] neg_hi:[0,0,1]
	v_mul_f32_e32 v6, v7, v0
	s_delay_alu instid0(VALU_DEP_3) | instskip(NEXT) | instid1(VALU_DEP_2)
	v_pk_add_f32 v[178:179], v[178:179], v[10:11] neg_lo:[0,1] neg_hi:[0,1]
	v_pk_fma_f32 v[4:5], v[4:5], v[34:35], v[6:7] op_sel_hi:[1,1,0]
	s_delay_alu instid0(VALU_DEP_1) | instskip(SKIP_4) | instid1(VALU_DEP_1)
	v_mov_b32_e32 v9, v5
	ds_load_2addr_b64 v[4:7], v96 offset0:44 offset1:45
	v_pk_add_f32 v[174:175], v[174:175], v[8:9] neg_lo:[0,1] neg_hi:[0,1]
	s_wait_dscnt 0x0
	v_pk_mul_f32 v[8:9], v[4:5], v[2:3] op_sel:[0,1]
	v_pk_fma_f32 v[10:11], v[4:5], v[0:1], v[8:9] op_sel:[0,0,1] op_sel_hi:[1,1,0] neg_lo:[0,0,1] neg_hi:[0,0,1]
	v_pk_fma_f32 v[4:5], v[4:5], v[0:1], v[8:9] op_sel:[0,0,1] op_sel_hi:[1,0,0]
	s_delay_alu instid0(VALU_DEP_1) | instskip(SKIP_1) | instid1(VALU_DEP_1)
	v_mov_b32_e32 v11, v5
	v_pk_mul_f32 v[4:5], v[6:7], v[2:3] op_sel:[0,1]
	v_pk_fma_f32 v[8:9], v[6:7], v[0:1], v[4:5] op_sel:[0,0,1] op_sel_hi:[1,1,0] neg_lo:[0,0,1] neg_hi:[0,0,1]
	v_pk_fma_f32 v[4:5], v[6:7], v[0:1], v[4:5] op_sel:[0,0,1] op_sel_hi:[1,0,0]
	s_delay_alu instid0(VALU_DEP_1)
	v_mov_b32_e32 v9, v5
	ds_load_2addr_b64 v[4:7], v96 offset0:46 offset1:47
	v_pk_add_f32 v[196:197], v[196:197], v[10:11] neg_lo:[0,1] neg_hi:[0,1]
	v_pk_add_f32 v[192:193], v[192:193], v[8:9] neg_lo:[0,1] neg_hi:[0,1]
	s_wait_dscnt 0x0
	v_pk_mul_f32 v[8:9], v[4:5], v[2:3] op_sel:[0,1]
	s_delay_alu instid0(VALU_DEP_1) | instskip(SKIP_1) | instid1(VALU_DEP_1)
	v_pk_fma_f32 v[10:11], v[4:5], v[0:1], v[8:9] op_sel:[0,0,1] op_sel_hi:[1,1,0] neg_lo:[0,0,1] neg_hi:[0,0,1]
	v_pk_fma_f32 v[4:5], v[4:5], v[0:1], v[8:9] op_sel:[0,0,1] op_sel_hi:[1,0,0]
	v_mov_b32_e32 v11, v5
	v_pk_mul_f32 v[4:5], v[6:7], v[2:3] op_sel:[0,1]
	s_delay_alu instid0(VALU_DEP_1) | instskip(SKIP_1) | instid1(VALU_DEP_1)
	v_pk_fma_f32 v[8:9], v[6:7], v[0:1], v[4:5] op_sel:[0,0,1] op_sel_hi:[1,1,0] neg_lo:[0,0,1] neg_hi:[0,0,1]
	v_pk_fma_f32 v[4:5], v[6:7], v[0:1], v[4:5] op_sel:[0,0,1] op_sel_hi:[1,0,0]
	v_mov_b32_e32 v9, v5
	ds_load_2addr_b64 v[4:7], v96 offset0:48 offset1:49
	v_pk_add_f32 v[194:195], v[194:195], v[10:11] neg_lo:[0,1] neg_hi:[0,1]
	v_pk_add_f32 v[190:191], v[190:191], v[8:9] neg_lo:[0,1] neg_hi:[0,1]
	s_wait_dscnt 0x0
	v_dual_mul_f32 v8, v5, v3 :: v_dual_mul_f32 v10, v5, v0
	v_pk_mul_f32 v[2:3], v[6:7], v[2:3] op_sel:[0,1]
	s_delay_alu instid0(VALU_DEP_2) | instskip(NEXT) | instid1(VALU_DEP_3)
	v_pk_fma_f32 v[8:9], v[4:5], v[34:35], v[8:9] op_sel_hi:[1,1,0] neg_lo:[0,0,1] neg_hi:[0,0,1]
	v_pk_fma_f32 v[4:5], v[4:5], v[34:35], v[10:11] op_sel:[1,0,0] op_sel_hi:[0,1,0]
	s_delay_alu instid0(VALU_DEP_1) | instskip(NEXT) | instid1(VALU_DEP_4)
	v_mov_b32_e32 v9, v5
	v_pk_fma_f32 v[4:5], v[6:7], v[0:1], v[2:3] op_sel:[0,0,1] op_sel_hi:[1,1,0] neg_lo:[0,0,1] neg_hi:[0,0,1]
	v_pk_fma_f32 v[0:1], v[6:7], v[0:1], v[2:3] op_sel:[0,0,1] op_sel_hi:[1,0,0]
	s_delay_alu instid0(VALU_DEP_1) | instskip(NEXT) | instid1(VALU_DEP_4)
	v_mov_b32_e32 v5, v1
	v_pk_add_f32 v[198:199], v[198:199], v[8:9] neg_lo:[0,1] neg_hi:[0,1]
	s_delay_alu instid0(VALU_DEP_2)
	v_pk_add_f32 v[200:201], v[200:201], v[4:5] neg_lo:[0,1] neg_hi:[0,1]
.LBB99_91:
	s_wait_xcnt 0x0
	s_or_b32 exec_lo, exec_lo, s1
	s_delay_alu instid0(SALU_CYCLE_1)
	s_mov_b32 s2, exec_lo
	s_wait_storecnt 0x0
	s_barrier_signal -1
	s_barrier_wait -1
	v_cmpx_eq_u32_e32 10, v86
	s_cbranch_execz .LBB99_98
; %bb.92:
	ds_store_b64 v87, v[36:37]
	ds_store_2addr_b64 v96, v[32:33], v[54:55] offset0:11 offset1:12
	ds_store_2addr_b64 v96, v[50:51], v[52:53] offset0:13 offset1:14
	;; [unrolled: 1-line block ×19, first 2 shown]
	ds_store_b64 v96, v[200:201] offset:392
	ds_load_b64 v[0:1], v87
	s_wait_dscnt 0x0
	v_cmp_neq_f32_e32 vcc_lo, 0, v0
	v_cmp_neq_f32_e64 s1, 0, v1
	s_or_b32 s1, vcc_lo, s1
	s_delay_alu instid0(SALU_CYCLE_1)
	s_and_b32 exec_lo, exec_lo, s1
	s_cbranch_execz .LBB99_98
; %bb.93:
	v_cmp_ngt_f32_e64 s1, |v0|, |v1|
                                        ; implicit-def: $vgpr2_vgpr3
	s_and_saveexec_b32 s4, s1
	s_delay_alu instid0(SALU_CYCLE_1)
	s_xor_b32 s1, exec_lo, s4
	s_cbranch_execz .LBB99_95
; %bb.94:
	v_div_scale_f32 v2, null, v1, v1, v0
	v_div_scale_f32 v5, vcc_lo, v0, v1, v0
	s_delay_alu instid0(VALU_DEP_2) | instskip(SKIP_1) | instid1(TRANS32_DEP_1)
	v_rcp_f32_e32 v3, v2
	v_nop
	v_fma_f32 v4, -v2, v3, 1.0
	s_delay_alu instid0(VALU_DEP_1) | instskip(NEXT) | instid1(VALU_DEP_1)
	v_fmac_f32_e32 v3, v4, v3
	v_mul_f32_e32 v4, v5, v3
	s_delay_alu instid0(VALU_DEP_1) | instskip(NEXT) | instid1(VALU_DEP_1)
	v_fma_f32 v6, -v2, v4, v5
	v_fmac_f32_e32 v4, v6, v3
	s_delay_alu instid0(VALU_DEP_1) | instskip(NEXT) | instid1(VALU_DEP_1)
	v_fma_f32 v2, -v2, v4, v5
	v_div_fmas_f32 v2, v2, v3, v4
	s_delay_alu instid0(VALU_DEP_1) | instskip(NEXT) | instid1(VALU_DEP_1)
	v_div_fixup_f32 v2, v2, v1, v0
	v_fmac_f32_e32 v1, v0, v2
	s_delay_alu instid0(VALU_DEP_1) | instskip(SKIP_1) | instid1(VALU_DEP_2)
	v_div_scale_f32 v0, null, v1, v1, 1.0
	v_div_scale_f32 v5, vcc_lo, 1.0, v1, 1.0
	v_rcp_f32_e32 v3, v0
	v_nop
	s_delay_alu instid0(TRANS32_DEP_1) | instskip(NEXT) | instid1(VALU_DEP_1)
	v_fma_f32 v4, -v0, v3, 1.0
	v_fmac_f32_e32 v3, v4, v3
	s_delay_alu instid0(VALU_DEP_1) | instskip(NEXT) | instid1(VALU_DEP_1)
	v_mul_f32_e32 v4, v5, v3
	v_fma_f32 v6, -v0, v4, v5
	s_delay_alu instid0(VALU_DEP_1) | instskip(NEXT) | instid1(VALU_DEP_1)
	v_fmac_f32_e32 v4, v6, v3
	v_fma_f32 v0, -v0, v4, v5
	s_delay_alu instid0(VALU_DEP_1) | instskip(NEXT) | instid1(VALU_DEP_1)
	v_div_fmas_f32 v0, v0, v3, v4
	v_div_fixup_f32 v0, v0, v1, 1.0
	s_delay_alu instid0(VALU_DEP_1)
	v_mul_f32_e32 v2, v2, v0
	v_xor_b32_e32 v3, 0x80000000, v0
                                        ; implicit-def: $vgpr0_vgpr1
.LBB99_95:
	s_and_not1_saveexec_b32 s1, s1
	s_cbranch_execz .LBB99_97
; %bb.96:
	v_div_scale_f32 v2, null, v0, v0, v1
	v_div_scale_f32 v5, vcc_lo, v1, v0, v1
	s_delay_alu instid0(VALU_DEP_2) | instskip(SKIP_1) | instid1(TRANS32_DEP_1)
	v_rcp_f32_e32 v3, v2
	v_nop
	v_fma_f32 v4, -v2, v3, 1.0
	s_delay_alu instid0(VALU_DEP_1) | instskip(NEXT) | instid1(VALU_DEP_1)
	v_fmac_f32_e32 v3, v4, v3
	v_mul_f32_e32 v4, v5, v3
	s_delay_alu instid0(VALU_DEP_1) | instskip(NEXT) | instid1(VALU_DEP_1)
	v_fma_f32 v6, -v2, v4, v5
	v_fmac_f32_e32 v4, v6, v3
	s_delay_alu instid0(VALU_DEP_1) | instskip(NEXT) | instid1(VALU_DEP_1)
	v_fma_f32 v2, -v2, v4, v5
	v_div_fmas_f32 v2, v2, v3, v4
	s_delay_alu instid0(VALU_DEP_1) | instskip(NEXT) | instid1(VALU_DEP_1)
	v_div_fixup_f32 v3, v2, v0, v1
	v_fmac_f32_e32 v0, v1, v3
	s_delay_alu instid0(VALU_DEP_1) | instskip(NEXT) | instid1(VALU_DEP_1)
	v_div_scale_f32 v1, null, v0, v0, 1.0
	v_rcp_f32_e32 v2, v1
	v_nop
	s_delay_alu instid0(TRANS32_DEP_1) | instskip(NEXT) | instid1(VALU_DEP_1)
	v_fma_f32 v4, -v1, v2, 1.0
	v_fmac_f32_e32 v2, v4, v2
	v_div_scale_f32 v4, vcc_lo, 1.0, v0, 1.0
	s_delay_alu instid0(VALU_DEP_1) | instskip(NEXT) | instid1(VALU_DEP_1)
	v_mul_f32_e32 v5, v4, v2
	v_fma_f32 v6, -v1, v5, v4
	s_delay_alu instid0(VALU_DEP_1) | instskip(NEXT) | instid1(VALU_DEP_1)
	v_fmac_f32_e32 v5, v6, v2
	v_fma_f32 v1, -v1, v5, v4
	s_delay_alu instid0(VALU_DEP_1) | instskip(NEXT) | instid1(VALU_DEP_1)
	v_div_fmas_f32 v1, v1, v2, v5
	v_div_fixup_f32 v2, v1, v0, 1.0
	s_delay_alu instid0(VALU_DEP_1)
	v_mul_f32_e64 v3, v3, -v2
.LBB99_97:
	s_or_b32 exec_lo, exec_lo, s1
	ds_store_b64 v87, v[2:3]
.LBB99_98:
	s_or_b32 exec_lo, exec_lo, s2
	s_wait_dscnt 0x0
	s_barrier_signal -1
	s_barrier_wait -1
	ds_load_b64 v[0:1], v87
	s_mov_b32 s1, exec_lo
	s_wait_dscnt 0x0
	scratch_store_b64 off, v[0:1], off offset:88 ; 8-byte Folded Spill
	s_wait_xcnt 0x0
	v_cmpx_lt_u32_e32 10, v86
	s_cbranch_execz .LBB99_100
; %bb.99:
	scratch_load_b64 v[4:5], off, off offset:88 ; 8-byte Folded Reload
	s_wait_loadcnt 0x0
	v_pk_mul_f32 v[2:3], v[4:5], v[36:37] op_sel:[1,1] op_sel_hi:[0,1]
	s_delay_alu instid0(VALU_DEP_1)
	v_pk_fma_f32 v[0:1], v[4:5], v[36:37], v[2:3] op_sel_hi:[1,0,1] neg_lo:[0,0,1] neg_hi:[0,0,1]
	v_pk_fma_f32 v[2:3], v[4:5], v[36:37], v[2:3] op_sel_hi:[1,0,1]
	ds_load_2addr_b64 v[4:7], v96 offset0:11 offset1:12
	v_dual_mov_b32 v36, v0 :: v_dual_mov_b32 v37, v3
	s_wait_dscnt 0x0
	v_pk_mul_f32 v[8:9], v[4:5], v[2:3] op_sel:[0,1]
	s_delay_alu instid0(VALU_DEP_1) | instskip(SKIP_1) | instid1(VALU_DEP_1)
	v_pk_fma_f32 v[10:11], v[4:5], v[0:1], v[8:9] op_sel:[0,0,1] op_sel_hi:[1,1,0] neg_lo:[0,0,1] neg_hi:[0,0,1]
	v_pk_fma_f32 v[4:5], v[4:5], v[0:1], v[8:9] op_sel:[0,0,1] op_sel_hi:[1,0,0]
	v_mov_b32_e32 v11, v5
	v_pk_mul_f32 v[4:5], v[6:7], v[2:3] op_sel:[0,1]
	s_delay_alu instid0(VALU_DEP_1) | instskip(SKIP_1) | instid1(VALU_DEP_1)
	v_pk_fma_f32 v[8:9], v[6:7], v[0:1], v[4:5] op_sel:[0,0,1] op_sel_hi:[1,1,0] neg_lo:[0,0,1] neg_hi:[0,0,1]
	v_pk_fma_f32 v[4:5], v[6:7], v[0:1], v[4:5] op_sel:[0,0,1] op_sel_hi:[1,0,0]
	v_mov_b32_e32 v9, v5
	ds_load_2addr_b64 v[4:7], v96 offset0:13 offset1:14
	v_pk_add_f32 v[32:33], v[32:33], v[10:11] neg_lo:[0,1] neg_hi:[0,1]
	v_pk_add_f32 v[54:55], v[54:55], v[8:9] neg_lo:[0,1] neg_hi:[0,1]
	s_wait_dscnt 0x0
	v_pk_mul_f32 v[8:9], v[4:5], v[2:3] op_sel:[0,1]
	s_delay_alu instid0(VALU_DEP_1) | instskip(SKIP_2) | instid1(VALU_DEP_2)
	v_pk_fma_f32 v[10:11], v[4:5], v[0:1], v[8:9] op_sel:[0,0,1] op_sel_hi:[1,1,0] neg_lo:[0,0,1] neg_hi:[0,0,1]
	v_pk_fma_f32 v[4:5], v[4:5], v[0:1], v[8:9] op_sel:[0,0,1] op_sel_hi:[1,0,0]
	v_dual_mul_f32 v8, v7, v3 :: v_dual_mov_b32 v4, v7
	v_dual_mov_b32 v11, v5 :: v_dual_mov_b32 v5, v6
	s_delay_alu instid0(VALU_DEP_2) | instskip(SKIP_1) | instid1(VALU_DEP_3)
	v_pk_fma_f32 v[8:9], v[6:7], v[36:37], v[8:9] op_sel_hi:[1,1,0] neg_lo:[0,0,1] neg_hi:[0,0,1]
	v_mul_f32_e32 v6, v7, v0
	v_pk_add_f32 v[50:51], v[50:51], v[10:11] neg_lo:[0,1] neg_hi:[0,1]
	s_delay_alu instid0(VALU_DEP_2) | instskip(NEXT) | instid1(VALU_DEP_1)
	v_pk_fma_f32 v[4:5], v[4:5], v[36:37], v[6:7] op_sel_hi:[1,1,0]
	v_mov_b32_e32 v9, v5
	ds_load_2addr_b64 v[4:7], v96 offset0:15 offset1:16
	v_pk_add_f32 v[52:53], v[52:53], v[8:9] neg_lo:[0,1] neg_hi:[0,1]
	s_wait_dscnt 0x0
	v_pk_mul_f32 v[8:9], v[4:5], v[2:3] op_sel:[0,1]
	s_delay_alu instid0(VALU_DEP_1) | instskip(SKIP_1) | instid1(VALU_DEP_1)
	v_pk_fma_f32 v[10:11], v[4:5], v[0:1], v[8:9] op_sel:[0,0,1] op_sel_hi:[1,1,0] neg_lo:[0,0,1] neg_hi:[0,0,1]
	v_pk_fma_f32 v[4:5], v[4:5], v[0:1], v[8:9] op_sel:[0,0,1] op_sel_hi:[1,0,0]
	v_mov_b32_e32 v11, v5
	v_pk_mul_f32 v[4:5], v[6:7], v[2:3] op_sel:[0,1]
	s_delay_alu instid0(VALU_DEP_1) | instskip(SKIP_1) | instid1(VALU_DEP_1)
	v_pk_fma_f32 v[8:9], v[6:7], v[0:1], v[4:5] op_sel:[0,0,1] op_sel_hi:[1,1,0] neg_lo:[0,0,1] neg_hi:[0,0,1]
	v_pk_fma_f32 v[4:5], v[6:7], v[0:1], v[4:5] op_sel:[0,0,1] op_sel_hi:[1,0,0]
	v_mov_b32_e32 v9, v5
	ds_load_2addr_b64 v[4:7], v96 offset0:17 offset1:18
	v_pk_add_f32 v[48:49], v[48:49], v[10:11] neg_lo:[0,1] neg_hi:[0,1]
	v_pk_add_f32 v[78:79], v[78:79], v[8:9] neg_lo:[0,1] neg_hi:[0,1]
	s_wait_dscnt 0x0
	v_pk_mul_f32 v[8:9], v[4:5], v[2:3] op_sel:[0,1]
	s_delay_alu instid0(VALU_DEP_1) | instskip(SKIP_1) | instid1(VALU_DEP_1)
	v_pk_fma_f32 v[10:11], v[4:5], v[0:1], v[8:9] op_sel:[0,0,1] op_sel_hi:[1,1,0] neg_lo:[0,0,1] neg_hi:[0,0,1]
	v_pk_fma_f32 v[4:5], v[4:5], v[0:1], v[8:9] op_sel:[0,0,1] op_sel_hi:[1,0,0]
	v_mov_b32_e32 v11, v5
	v_pk_mul_f32 v[4:5], v[6:7], v[2:3] op_sel:[0,1]
	s_delay_alu instid0(VALU_DEP_1) | instskip(SKIP_1) | instid1(VALU_DEP_1)
	v_pk_fma_f32 v[8:9], v[6:7], v[0:1], v[4:5] op_sel:[0,0,1] op_sel_hi:[1,1,0] neg_lo:[0,0,1] neg_hi:[0,0,1]
	v_pk_fma_f32 v[4:5], v[6:7], v[0:1], v[4:5] op_sel:[0,0,1] op_sel_hi:[1,0,0]
	v_mov_b32_e32 v9, v5
	ds_load_2addr_b64 v[4:7], v96 offset0:19 offset1:20
	v_pk_add_f32 v[74:75], v[74:75], v[10:11] neg_lo:[0,1] neg_hi:[0,1]
	v_pk_add_f32 v[76:77], v[76:77], v[8:9] neg_lo:[0,1] neg_hi:[0,1]
	s_wait_dscnt 0x0
	v_dual_mul_f32 v8, v5, v3 :: v_dual_mul_f32 v10, v5, v0
	s_delay_alu instid0(VALU_DEP_1) | instskip(NEXT) | instid1(VALU_DEP_2)
	v_pk_fma_f32 v[8:9], v[4:5], v[36:37], v[8:9] op_sel_hi:[1,1,0] neg_lo:[0,0,1] neg_hi:[0,0,1]
	v_pk_fma_f32 v[4:5], v[4:5], v[36:37], v[10:11] op_sel:[1,0,0] op_sel_hi:[0,1,0]
	s_delay_alu instid0(VALU_DEP_1) | instskip(SKIP_1) | instid1(VALU_DEP_2)
	v_mov_b32_e32 v9, v5
	v_pk_mul_f32 v[4:5], v[6:7], v[2:3] op_sel:[0,1]
	v_pk_add_f32 v[72:73], v[72:73], v[8:9] neg_lo:[0,1] neg_hi:[0,1]
	s_delay_alu instid0(VALU_DEP_2) | instskip(SKIP_1) | instid1(VALU_DEP_1)
	v_pk_fma_f32 v[8:9], v[6:7], v[0:1], v[4:5] op_sel:[0,0,1] op_sel_hi:[1,1,0] neg_lo:[0,0,1] neg_hi:[0,0,1]
	v_pk_fma_f32 v[4:5], v[6:7], v[0:1], v[4:5] op_sel:[0,0,1] op_sel_hi:[1,0,0]
	v_mov_b32_e32 v9, v5
	ds_load_2addr_b64 v[4:7], v96 offset0:21 offset1:22
	v_pk_add_f32 v[94:95], v[94:95], v[8:9] neg_lo:[0,1] neg_hi:[0,1]
	s_wait_dscnt 0x0
	v_pk_mul_f32 v[8:9], v[4:5], v[2:3] op_sel:[0,1]
	s_delay_alu instid0(VALU_DEP_1) | instskip(SKIP_1) | instid1(VALU_DEP_1)
	v_pk_fma_f32 v[10:11], v[4:5], v[0:1], v[8:9] op_sel:[0,0,1] op_sel_hi:[1,1,0] neg_lo:[0,0,1] neg_hi:[0,0,1]
	v_pk_fma_f32 v[4:5], v[4:5], v[0:1], v[8:9] op_sel:[0,0,1] op_sel_hi:[1,0,0]
	v_mov_b32_e32 v11, v5
	v_pk_mul_f32 v[4:5], v[6:7], v[2:3] op_sel:[0,1]
	s_delay_alu instid0(VALU_DEP_2) | instskip(NEXT) | instid1(VALU_DEP_2)
	v_pk_add_f32 v[90:91], v[90:91], v[10:11] neg_lo:[0,1] neg_hi:[0,1]
	v_pk_fma_f32 v[8:9], v[6:7], v[0:1], v[4:5] op_sel:[0,0,1] op_sel_hi:[1,1,0] neg_lo:[0,0,1] neg_hi:[0,0,1]
	v_pk_fma_f32 v[4:5], v[6:7], v[0:1], v[4:5] op_sel:[0,0,1] op_sel_hi:[1,0,0]
	s_delay_alu instid0(VALU_DEP_1) | instskip(SKIP_4) | instid1(VALU_DEP_1)
	v_mov_b32_e32 v9, v5
	ds_load_2addr_b64 v[4:7], v96 offset0:23 offset1:24
	v_pk_add_f32 v[92:93], v[92:93], v[8:9] neg_lo:[0,1] neg_hi:[0,1]
	s_wait_dscnt 0x0
	v_pk_mul_f32 v[8:9], v[4:5], v[2:3] op_sel:[0,1]
	v_pk_fma_f32 v[10:11], v[4:5], v[0:1], v[8:9] op_sel:[0,0,1] op_sel_hi:[1,1,0] neg_lo:[0,0,1] neg_hi:[0,0,1]
	v_pk_fma_f32 v[4:5], v[4:5], v[0:1], v[8:9] op_sel:[0,0,1] op_sel_hi:[1,0,0]
	v_dual_mul_f32 v8, v7, v3 :: v_dual_mov_b32 v4, v7
	s_delay_alu instid0(VALU_DEP_2) | instskip(NEXT) | instid1(VALU_DEP_2)
	v_dual_mov_b32 v11, v5 :: v_dual_mov_b32 v5, v6
	v_pk_fma_f32 v[8:9], v[6:7], v[36:37], v[8:9] op_sel_hi:[1,1,0] neg_lo:[0,0,1] neg_hi:[0,0,1]
	v_mul_f32_e32 v6, v7, v0
	s_delay_alu instid0(VALU_DEP_3) | instskip(NEXT) | instid1(VALU_DEP_2)
	v_pk_add_f32 v[88:89], v[88:89], v[10:11] neg_lo:[0,1] neg_hi:[0,1]
	v_pk_fma_f32 v[4:5], v[4:5], v[36:37], v[6:7] op_sel_hi:[1,1,0]
	s_delay_alu instid0(VALU_DEP_1) | instskip(SKIP_4) | instid1(VALU_DEP_1)
	v_mov_b32_e32 v9, v5
	ds_load_2addr_b64 v[4:7], v96 offset0:25 offset1:26
	v_pk_add_f32 v[112:113], v[112:113], v[8:9] neg_lo:[0,1] neg_hi:[0,1]
	s_wait_dscnt 0x0
	v_pk_mul_f32 v[8:9], v[4:5], v[2:3] op_sel:[0,1]
	v_pk_fma_f32 v[10:11], v[4:5], v[0:1], v[8:9] op_sel:[0,0,1] op_sel_hi:[1,1,0] neg_lo:[0,0,1] neg_hi:[0,0,1]
	v_pk_fma_f32 v[4:5], v[4:5], v[0:1], v[8:9] op_sel:[0,0,1] op_sel_hi:[1,0,0]
	s_delay_alu instid0(VALU_DEP_1) | instskip(SKIP_1) | instid1(VALU_DEP_1)
	v_mov_b32_e32 v11, v5
	v_pk_mul_f32 v[4:5], v[6:7], v[2:3] op_sel:[0,1]
	v_pk_fma_f32 v[8:9], v[6:7], v[0:1], v[4:5] op_sel:[0,0,1] op_sel_hi:[1,1,0] neg_lo:[0,0,1] neg_hi:[0,0,1]
	v_pk_fma_f32 v[4:5], v[6:7], v[0:1], v[4:5] op_sel:[0,0,1] op_sel_hi:[1,0,0]
	s_delay_alu instid0(VALU_DEP_1)
	v_mov_b32_e32 v9, v5
	ds_load_2addr_b64 v[4:7], v96 offset0:27 offset1:28
	v_pk_add_f32 v[108:109], v[108:109], v[10:11] neg_lo:[0,1] neg_hi:[0,1]
	v_pk_add_f32 v[110:111], v[110:111], v[8:9] neg_lo:[0,1] neg_hi:[0,1]
	s_wait_dscnt 0x0
	v_pk_mul_f32 v[8:9], v[4:5], v[2:3] op_sel:[0,1]
	s_delay_alu instid0(VALU_DEP_1) | instskip(SKIP_1) | instid1(VALU_DEP_1)
	v_pk_fma_f32 v[10:11], v[4:5], v[0:1], v[8:9] op_sel:[0,0,1] op_sel_hi:[1,1,0] neg_lo:[0,0,1] neg_hi:[0,0,1]
	v_pk_fma_f32 v[4:5], v[4:5], v[0:1], v[8:9] op_sel:[0,0,1] op_sel_hi:[1,0,0]
	v_mov_b32_e32 v11, v5
	v_pk_mul_f32 v[4:5], v[6:7], v[2:3] op_sel:[0,1]
	s_delay_alu instid0(VALU_DEP_1) | instskip(SKIP_1) | instid1(VALU_DEP_1)
	v_pk_fma_f32 v[8:9], v[6:7], v[0:1], v[4:5] op_sel:[0,0,1] op_sel_hi:[1,1,0] neg_lo:[0,0,1] neg_hi:[0,0,1]
	v_pk_fma_f32 v[4:5], v[6:7], v[0:1], v[4:5] op_sel:[0,0,1] op_sel_hi:[1,0,0]
	v_mov_b32_e32 v9, v5
	ds_load_2addr_b64 v[4:7], v96 offset0:29 offset1:30
	v_pk_add_f32 v[106:107], v[106:107], v[10:11] neg_lo:[0,1] neg_hi:[0,1]
	v_pk_add_f32 v[128:129], v[128:129], v[8:9] neg_lo:[0,1] neg_hi:[0,1]
	s_wait_dscnt 0x0
	v_dual_mul_f32 v8, v5, v3 :: v_dual_mul_f32 v10, v5, v0
	s_delay_alu instid0(VALU_DEP_1) | instskip(NEXT) | instid1(VALU_DEP_2)
	v_pk_fma_f32 v[8:9], v[4:5], v[36:37], v[8:9] op_sel_hi:[1,1,0] neg_lo:[0,0,1] neg_hi:[0,0,1]
	v_pk_fma_f32 v[4:5], v[4:5], v[36:37], v[10:11] op_sel:[1,0,0] op_sel_hi:[0,1,0]
	s_delay_alu instid0(VALU_DEP_1) | instskip(SKIP_1) | instid1(VALU_DEP_2)
	v_mov_b32_e32 v9, v5
	v_pk_mul_f32 v[4:5], v[6:7], v[2:3] op_sel:[0,1]
	v_pk_add_f32 v[124:125], v[124:125], v[8:9] neg_lo:[0,1] neg_hi:[0,1]
	s_delay_alu instid0(VALU_DEP_2) | instskip(SKIP_1) | instid1(VALU_DEP_1)
	v_pk_fma_f32 v[8:9], v[6:7], v[0:1], v[4:5] op_sel:[0,0,1] op_sel_hi:[1,1,0] neg_lo:[0,0,1] neg_hi:[0,0,1]
	v_pk_fma_f32 v[4:5], v[6:7], v[0:1], v[4:5] op_sel:[0,0,1] op_sel_hi:[1,0,0]
	v_mov_b32_e32 v9, v5
	ds_load_2addr_b64 v[4:7], v96 offset0:31 offset1:32
	v_pk_add_f32 v[126:127], v[126:127], v[8:9] neg_lo:[0,1] neg_hi:[0,1]
	s_wait_dscnt 0x0
	v_pk_mul_f32 v[8:9], v[4:5], v[2:3] op_sel:[0,1]
	s_delay_alu instid0(VALU_DEP_1) | instskip(SKIP_1) | instid1(VALU_DEP_1)
	v_pk_fma_f32 v[10:11], v[4:5], v[0:1], v[8:9] op_sel:[0,0,1] op_sel_hi:[1,1,0] neg_lo:[0,0,1] neg_hi:[0,0,1]
	v_pk_fma_f32 v[4:5], v[4:5], v[0:1], v[8:9] op_sel:[0,0,1] op_sel_hi:[1,0,0]
	v_mov_b32_e32 v11, v5
	v_pk_mul_f32 v[4:5], v[6:7], v[2:3] op_sel:[0,1]
	s_delay_alu instid0(VALU_DEP_2) | instskip(NEXT) | instid1(VALU_DEP_2)
	v_pk_add_f32 v[122:123], v[122:123], v[10:11] neg_lo:[0,1] neg_hi:[0,1]
	v_pk_fma_f32 v[8:9], v[6:7], v[0:1], v[4:5] op_sel:[0,0,1] op_sel_hi:[1,1,0] neg_lo:[0,0,1] neg_hi:[0,0,1]
	v_pk_fma_f32 v[4:5], v[6:7], v[0:1], v[4:5] op_sel:[0,0,1] op_sel_hi:[1,0,0]
	s_delay_alu instid0(VALU_DEP_1) | instskip(SKIP_4) | instid1(VALU_DEP_1)
	v_mov_b32_e32 v9, v5
	ds_load_2addr_b64 v[4:7], v96 offset0:33 offset1:34
	v_pk_add_f32 v[144:145], v[144:145], v[8:9] neg_lo:[0,1] neg_hi:[0,1]
	s_wait_dscnt 0x0
	v_pk_mul_f32 v[8:9], v[4:5], v[2:3] op_sel:[0,1]
	v_pk_fma_f32 v[10:11], v[4:5], v[0:1], v[8:9] op_sel:[0,0,1] op_sel_hi:[1,1,0] neg_lo:[0,0,1] neg_hi:[0,0,1]
	v_pk_fma_f32 v[4:5], v[4:5], v[0:1], v[8:9] op_sel:[0,0,1] op_sel_hi:[1,0,0]
	v_dual_mul_f32 v8, v7, v3 :: v_dual_mov_b32 v4, v7
	s_delay_alu instid0(VALU_DEP_2) | instskip(NEXT) | instid1(VALU_DEP_2)
	v_dual_mov_b32 v11, v5 :: v_dual_mov_b32 v5, v6
	v_pk_fma_f32 v[8:9], v[6:7], v[36:37], v[8:9] op_sel_hi:[1,1,0] neg_lo:[0,0,1] neg_hi:[0,0,1]
	v_mul_f32_e32 v6, v7, v0
	s_delay_alu instid0(VALU_DEP_3) | instskip(NEXT) | instid1(VALU_DEP_2)
	v_pk_add_f32 v[140:141], v[140:141], v[10:11] neg_lo:[0,1] neg_hi:[0,1]
	v_pk_fma_f32 v[4:5], v[4:5], v[36:37], v[6:7] op_sel_hi:[1,1,0]
	s_delay_alu instid0(VALU_DEP_1) | instskip(SKIP_4) | instid1(VALU_DEP_1)
	v_mov_b32_e32 v9, v5
	ds_load_2addr_b64 v[4:7], v96 offset0:35 offset1:36
	v_pk_add_f32 v[142:143], v[142:143], v[8:9] neg_lo:[0,1] neg_hi:[0,1]
	s_wait_dscnt 0x0
	v_pk_mul_f32 v[8:9], v[4:5], v[2:3] op_sel:[0,1]
	v_pk_fma_f32 v[10:11], v[4:5], v[0:1], v[8:9] op_sel:[0,0,1] op_sel_hi:[1,1,0] neg_lo:[0,0,1] neg_hi:[0,0,1]
	v_pk_fma_f32 v[4:5], v[4:5], v[0:1], v[8:9] op_sel:[0,0,1] op_sel_hi:[1,0,0]
	s_delay_alu instid0(VALU_DEP_1) | instskip(SKIP_1) | instid1(VALU_DEP_1)
	v_mov_b32_e32 v11, v5
	v_pk_mul_f32 v[4:5], v[6:7], v[2:3] op_sel:[0,1]
	v_pk_fma_f32 v[8:9], v[6:7], v[0:1], v[4:5] op_sel:[0,0,1] op_sel_hi:[1,1,0] neg_lo:[0,0,1] neg_hi:[0,0,1]
	v_pk_fma_f32 v[4:5], v[6:7], v[0:1], v[4:5] op_sel:[0,0,1] op_sel_hi:[1,0,0]
	s_delay_alu instid0(VALU_DEP_1)
	v_mov_b32_e32 v9, v5
	ds_load_2addr_b64 v[4:7], v96 offset0:37 offset1:38
	v_pk_add_f32 v[138:139], v[138:139], v[10:11] neg_lo:[0,1] neg_hi:[0,1]
	v_pk_add_f32 v[162:163], v[162:163], v[8:9] neg_lo:[0,1] neg_hi:[0,1]
	s_wait_dscnt 0x0
	v_pk_mul_f32 v[8:9], v[4:5], v[2:3] op_sel:[0,1]
	s_delay_alu instid0(VALU_DEP_1) | instskip(SKIP_1) | instid1(VALU_DEP_1)
	v_pk_fma_f32 v[10:11], v[4:5], v[0:1], v[8:9] op_sel:[0,0,1] op_sel_hi:[1,1,0] neg_lo:[0,0,1] neg_hi:[0,0,1]
	v_pk_fma_f32 v[4:5], v[4:5], v[0:1], v[8:9] op_sel:[0,0,1] op_sel_hi:[1,0,0]
	v_mov_b32_e32 v11, v5
	v_pk_mul_f32 v[4:5], v[6:7], v[2:3] op_sel:[0,1]
	s_delay_alu instid0(VALU_DEP_1) | instskip(SKIP_1) | instid1(VALU_DEP_1)
	v_pk_fma_f32 v[8:9], v[6:7], v[0:1], v[4:5] op_sel:[0,0,1] op_sel_hi:[1,1,0] neg_lo:[0,0,1] neg_hi:[0,0,1]
	v_pk_fma_f32 v[4:5], v[6:7], v[0:1], v[4:5] op_sel:[0,0,1] op_sel_hi:[1,0,0]
	v_mov_b32_e32 v9, v5
	ds_load_2addr_b64 v[4:7], v96 offset0:39 offset1:40
	v_pk_add_f32 v[158:159], v[158:159], v[10:11] neg_lo:[0,1] neg_hi:[0,1]
	v_pk_add_f32 v[160:161], v[160:161], v[8:9] neg_lo:[0,1] neg_hi:[0,1]
	s_wait_dscnt 0x0
	v_dual_mul_f32 v8, v5, v3 :: v_dual_mul_f32 v10, v5, v0
	s_delay_alu instid0(VALU_DEP_1) | instskip(NEXT) | instid1(VALU_DEP_2)
	v_pk_fma_f32 v[8:9], v[4:5], v[36:37], v[8:9] op_sel_hi:[1,1,0] neg_lo:[0,0,1] neg_hi:[0,0,1]
	v_pk_fma_f32 v[4:5], v[4:5], v[36:37], v[10:11] op_sel:[1,0,0] op_sel_hi:[0,1,0]
	s_delay_alu instid0(VALU_DEP_1) | instskip(SKIP_1) | instid1(VALU_DEP_2)
	v_mov_b32_e32 v9, v5
	v_pk_mul_f32 v[4:5], v[6:7], v[2:3] op_sel:[0,1]
	v_pk_add_f32 v[156:157], v[156:157], v[8:9] neg_lo:[0,1] neg_hi:[0,1]
	s_delay_alu instid0(VALU_DEP_2) | instskip(SKIP_1) | instid1(VALU_DEP_1)
	v_pk_fma_f32 v[8:9], v[6:7], v[0:1], v[4:5] op_sel:[0,0,1] op_sel_hi:[1,1,0] neg_lo:[0,0,1] neg_hi:[0,0,1]
	v_pk_fma_f32 v[4:5], v[6:7], v[0:1], v[4:5] op_sel:[0,0,1] op_sel_hi:[1,0,0]
	v_mov_b32_e32 v9, v5
	ds_load_2addr_b64 v[4:7], v96 offset0:41 offset1:42
	v_pk_add_f32 v[180:181], v[180:181], v[8:9] neg_lo:[0,1] neg_hi:[0,1]
	s_wait_dscnt 0x0
	v_pk_mul_f32 v[8:9], v[4:5], v[2:3] op_sel:[0,1]
	s_delay_alu instid0(VALU_DEP_1) | instskip(SKIP_1) | instid1(VALU_DEP_1)
	v_pk_fma_f32 v[10:11], v[4:5], v[0:1], v[8:9] op_sel:[0,0,1] op_sel_hi:[1,1,0] neg_lo:[0,0,1] neg_hi:[0,0,1]
	v_pk_fma_f32 v[4:5], v[4:5], v[0:1], v[8:9] op_sel:[0,0,1] op_sel_hi:[1,0,0]
	v_mov_b32_e32 v11, v5
	v_pk_mul_f32 v[4:5], v[6:7], v[2:3] op_sel:[0,1]
	s_delay_alu instid0(VALU_DEP_2) | instskip(NEXT) | instid1(VALU_DEP_2)
	v_pk_add_f32 v[176:177], v[176:177], v[10:11] neg_lo:[0,1] neg_hi:[0,1]
	v_pk_fma_f32 v[8:9], v[6:7], v[0:1], v[4:5] op_sel:[0,0,1] op_sel_hi:[1,1,0] neg_lo:[0,0,1] neg_hi:[0,0,1]
	v_pk_fma_f32 v[4:5], v[6:7], v[0:1], v[4:5] op_sel:[0,0,1] op_sel_hi:[1,0,0]
	s_delay_alu instid0(VALU_DEP_1) | instskip(SKIP_4) | instid1(VALU_DEP_1)
	v_mov_b32_e32 v9, v5
	ds_load_2addr_b64 v[4:7], v96 offset0:43 offset1:44
	v_pk_add_f32 v[178:179], v[178:179], v[8:9] neg_lo:[0,1] neg_hi:[0,1]
	s_wait_dscnt 0x0
	v_pk_mul_f32 v[8:9], v[4:5], v[2:3] op_sel:[0,1]
	v_pk_fma_f32 v[10:11], v[4:5], v[0:1], v[8:9] op_sel:[0,0,1] op_sel_hi:[1,1,0] neg_lo:[0,0,1] neg_hi:[0,0,1]
	v_pk_fma_f32 v[4:5], v[4:5], v[0:1], v[8:9] op_sel:[0,0,1] op_sel_hi:[1,0,0]
	v_dual_mul_f32 v8, v7, v3 :: v_dual_mov_b32 v4, v7
	s_delay_alu instid0(VALU_DEP_2) | instskip(NEXT) | instid1(VALU_DEP_2)
	v_dual_mov_b32 v11, v5 :: v_dual_mov_b32 v5, v6
	v_pk_fma_f32 v[8:9], v[6:7], v[36:37], v[8:9] op_sel_hi:[1,1,0] neg_lo:[0,0,1] neg_hi:[0,0,1]
	v_mul_f32_e32 v6, v7, v0
	s_delay_alu instid0(VALU_DEP_3) | instskip(NEXT) | instid1(VALU_DEP_2)
	v_pk_add_f32 v[174:175], v[174:175], v[10:11] neg_lo:[0,1] neg_hi:[0,1]
	v_pk_fma_f32 v[4:5], v[4:5], v[36:37], v[6:7] op_sel_hi:[1,1,0]
	s_delay_alu instid0(VALU_DEP_1) | instskip(SKIP_4) | instid1(VALU_DEP_1)
	v_mov_b32_e32 v9, v5
	ds_load_2addr_b64 v[4:7], v96 offset0:45 offset1:46
	v_pk_add_f32 v[196:197], v[196:197], v[8:9] neg_lo:[0,1] neg_hi:[0,1]
	s_wait_dscnt 0x0
	v_pk_mul_f32 v[8:9], v[4:5], v[2:3] op_sel:[0,1]
	v_pk_fma_f32 v[10:11], v[4:5], v[0:1], v[8:9] op_sel:[0,0,1] op_sel_hi:[1,1,0] neg_lo:[0,0,1] neg_hi:[0,0,1]
	v_pk_fma_f32 v[4:5], v[4:5], v[0:1], v[8:9] op_sel:[0,0,1] op_sel_hi:[1,0,0]
	s_delay_alu instid0(VALU_DEP_1) | instskip(SKIP_1) | instid1(VALU_DEP_1)
	v_mov_b32_e32 v11, v5
	v_pk_mul_f32 v[4:5], v[6:7], v[2:3] op_sel:[0,1]
	v_pk_fma_f32 v[8:9], v[6:7], v[0:1], v[4:5] op_sel:[0,0,1] op_sel_hi:[1,1,0] neg_lo:[0,0,1] neg_hi:[0,0,1]
	v_pk_fma_f32 v[4:5], v[6:7], v[0:1], v[4:5] op_sel:[0,0,1] op_sel_hi:[1,0,0]
	s_delay_alu instid0(VALU_DEP_1)
	v_mov_b32_e32 v9, v5
	ds_load_2addr_b64 v[4:7], v96 offset0:47 offset1:48
	v_pk_add_f32 v[192:193], v[192:193], v[10:11] neg_lo:[0,1] neg_hi:[0,1]
	v_pk_add_f32 v[194:195], v[194:195], v[8:9] neg_lo:[0,1] neg_hi:[0,1]
	s_wait_dscnt 0x0
	v_pk_mul_f32 v[8:9], v[4:5], v[2:3] op_sel:[0,1]
	s_delay_alu instid0(VALU_DEP_1) | instskip(SKIP_1) | instid1(VALU_DEP_1)
	v_pk_fma_f32 v[10:11], v[4:5], v[0:1], v[8:9] op_sel:[0,0,1] op_sel_hi:[1,1,0] neg_lo:[0,0,1] neg_hi:[0,0,1]
	v_pk_fma_f32 v[4:5], v[4:5], v[0:1], v[8:9] op_sel:[0,0,1] op_sel_hi:[1,0,0]
	v_mov_b32_e32 v11, v5
	v_pk_mul_f32 v[4:5], v[6:7], v[2:3] op_sel:[0,1]
	s_delay_alu instid0(VALU_DEP_1) | instskip(SKIP_1) | instid1(VALU_DEP_1)
	v_pk_fma_f32 v[8:9], v[6:7], v[0:1], v[4:5] op_sel:[0,0,1] op_sel_hi:[1,1,0] neg_lo:[0,0,1] neg_hi:[0,0,1]
	v_pk_fma_f32 v[4:5], v[6:7], v[0:1], v[4:5] op_sel:[0,0,1] op_sel_hi:[1,0,0]
	v_mov_b32_e32 v9, v5
	ds_load_b64 v[4:5], v96 offset:392
	v_pk_add_f32 v[190:191], v[190:191], v[10:11] neg_lo:[0,1] neg_hi:[0,1]
	v_pk_add_f32 v[198:199], v[198:199], v[8:9] neg_lo:[0,1] neg_hi:[0,1]
	s_wait_dscnt 0x0
	v_pk_mul_f32 v[2:3], v[4:5], v[2:3] op_sel:[0,1]
	s_delay_alu instid0(VALU_DEP_1) | instskip(SKIP_1) | instid1(VALU_DEP_1)
	v_pk_fma_f32 v[6:7], v[4:5], v[0:1], v[2:3] op_sel:[0,0,1] op_sel_hi:[1,1,0] neg_lo:[0,0,1] neg_hi:[0,0,1]
	v_pk_fma_f32 v[0:1], v[4:5], v[0:1], v[2:3] op_sel:[0,0,1] op_sel_hi:[1,0,0]
	v_mov_b32_e32 v7, v1
	s_delay_alu instid0(VALU_DEP_1)
	v_pk_add_f32 v[200:201], v[200:201], v[6:7] neg_lo:[0,1] neg_hi:[0,1]
.LBB99_100:
	s_wait_xcnt 0x0
	s_or_b32 exec_lo, exec_lo, s1
	s_delay_alu instid0(SALU_CYCLE_1)
	s_mov_b32 s2, exec_lo
	s_wait_storecnt 0x0
	s_barrier_signal -1
	s_barrier_wait -1
	v_cmpx_eq_u32_e32 11, v86
	s_cbranch_execz .LBB99_107
; %bb.101:
	v_dual_mov_b32 v0, v54 :: v_dual_mov_b32 v1, v55
	v_dual_mov_b32 v2, v50 :: v_dual_mov_b32 v3, v51
	v_dual_mov_b32 v4, v52 :: v_dual_mov_b32 v5, v53
	v_dual_mov_b32 v6, v48 :: v_dual_mov_b32 v7, v49
	ds_store_b64 v87, v[32:33]
	ds_store_2addr_b64 v96, v[0:1], v[2:3] offset0:12 offset1:13
	ds_store_2addr_b64 v96, v[4:5], v[6:7] offset0:14 offset1:15
	v_dual_mov_b32 v0, v78 :: v_dual_mov_b32 v1, v79
	v_dual_mov_b32 v2, v74 :: v_dual_mov_b32 v3, v75
	;; [unrolled: 1-line block ×12, first 2 shown]
	ds_store_2addr_b64 v96, v[0:1], v[2:3] offset0:16 offset1:17
	ds_store_2addr_b64 v96, v[4:5], v[6:7] offset0:18 offset1:19
	;; [unrolled: 1-line block ×6, first 2 shown]
	v_dual_mov_b32 v0, v128 :: v_dual_mov_b32 v1, v129
	v_dual_mov_b32 v2, v124 :: v_dual_mov_b32 v3, v125
	;; [unrolled: 1-line block ×12, first 2 shown]
	ds_store_2addr_b64 v96, v[0:1], v[2:3] offset0:28 offset1:29
	ds_store_2addr_b64 v96, v[4:5], v[6:7] offset0:30 offset1:31
	;; [unrolled: 1-line block ×6, first 2 shown]
	v_dual_mov_b32 v0, v180 :: v_dual_mov_b32 v1, v181
	v_dual_mov_b32 v2, v176 :: v_dual_mov_b32 v3, v177
	;; [unrolled: 1-line block ×9, first 2 shown]
	ds_store_2addr_b64 v96, v[0:1], v[2:3] offset0:40 offset1:41
	ds_store_2addr_b64 v96, v[4:5], v[6:7] offset0:42 offset1:43
	;; [unrolled: 1-line block ×5, first 2 shown]
	ds_load_b64 v[0:1], v87
	s_wait_dscnt 0x0
	v_cmp_neq_f32_e32 vcc_lo, 0, v0
	v_cmp_neq_f32_e64 s1, 0, v1
	s_or_b32 s1, vcc_lo, s1
	s_delay_alu instid0(SALU_CYCLE_1)
	s_and_b32 exec_lo, exec_lo, s1
	s_cbranch_execz .LBB99_107
; %bb.102:
	v_cmp_ngt_f32_e64 s1, |v0|, |v1|
                                        ; implicit-def: $vgpr2_vgpr3
	s_and_saveexec_b32 s4, s1
	s_delay_alu instid0(SALU_CYCLE_1)
	s_xor_b32 s1, exec_lo, s4
	s_cbranch_execz .LBB99_104
; %bb.103:
	v_div_scale_f32 v2, null, v1, v1, v0
	v_div_scale_f32 v5, vcc_lo, v0, v1, v0
	s_delay_alu instid0(VALU_DEP_2) | instskip(SKIP_1) | instid1(TRANS32_DEP_1)
	v_rcp_f32_e32 v3, v2
	v_nop
	v_fma_f32 v4, -v2, v3, 1.0
	s_delay_alu instid0(VALU_DEP_1) | instskip(NEXT) | instid1(VALU_DEP_1)
	v_fmac_f32_e32 v3, v4, v3
	v_mul_f32_e32 v4, v5, v3
	s_delay_alu instid0(VALU_DEP_1) | instskip(NEXT) | instid1(VALU_DEP_1)
	v_fma_f32 v6, -v2, v4, v5
	v_fmac_f32_e32 v4, v6, v3
	s_delay_alu instid0(VALU_DEP_1) | instskip(NEXT) | instid1(VALU_DEP_1)
	v_fma_f32 v2, -v2, v4, v5
	v_div_fmas_f32 v2, v2, v3, v4
	s_delay_alu instid0(VALU_DEP_1) | instskip(NEXT) | instid1(VALU_DEP_1)
	v_div_fixup_f32 v2, v2, v1, v0
	v_fmac_f32_e32 v1, v0, v2
	s_delay_alu instid0(VALU_DEP_1) | instskip(SKIP_1) | instid1(VALU_DEP_2)
	v_div_scale_f32 v0, null, v1, v1, 1.0
	v_div_scale_f32 v5, vcc_lo, 1.0, v1, 1.0
	v_rcp_f32_e32 v3, v0
	v_nop
	s_delay_alu instid0(TRANS32_DEP_1) | instskip(NEXT) | instid1(VALU_DEP_1)
	v_fma_f32 v4, -v0, v3, 1.0
	v_fmac_f32_e32 v3, v4, v3
	s_delay_alu instid0(VALU_DEP_1) | instskip(NEXT) | instid1(VALU_DEP_1)
	v_mul_f32_e32 v4, v5, v3
	v_fma_f32 v6, -v0, v4, v5
	s_delay_alu instid0(VALU_DEP_1) | instskip(NEXT) | instid1(VALU_DEP_1)
	v_fmac_f32_e32 v4, v6, v3
	v_fma_f32 v0, -v0, v4, v5
	s_delay_alu instid0(VALU_DEP_1) | instskip(NEXT) | instid1(VALU_DEP_1)
	v_div_fmas_f32 v0, v0, v3, v4
	v_div_fixup_f32 v0, v0, v1, 1.0
	s_delay_alu instid0(VALU_DEP_1)
	v_mul_f32_e32 v2, v2, v0
	v_xor_b32_e32 v3, 0x80000000, v0
                                        ; implicit-def: $vgpr0_vgpr1
.LBB99_104:
	s_and_not1_saveexec_b32 s1, s1
	s_cbranch_execz .LBB99_106
; %bb.105:
	v_div_scale_f32 v2, null, v0, v0, v1
	v_div_scale_f32 v5, vcc_lo, v1, v0, v1
	s_delay_alu instid0(VALU_DEP_2) | instskip(SKIP_1) | instid1(TRANS32_DEP_1)
	v_rcp_f32_e32 v3, v2
	v_nop
	v_fma_f32 v4, -v2, v3, 1.0
	s_delay_alu instid0(VALU_DEP_1) | instskip(NEXT) | instid1(VALU_DEP_1)
	v_fmac_f32_e32 v3, v4, v3
	v_mul_f32_e32 v4, v5, v3
	s_delay_alu instid0(VALU_DEP_1) | instskip(NEXT) | instid1(VALU_DEP_1)
	v_fma_f32 v6, -v2, v4, v5
	v_fmac_f32_e32 v4, v6, v3
	s_delay_alu instid0(VALU_DEP_1) | instskip(NEXT) | instid1(VALU_DEP_1)
	v_fma_f32 v2, -v2, v4, v5
	v_div_fmas_f32 v2, v2, v3, v4
	s_delay_alu instid0(VALU_DEP_1) | instskip(NEXT) | instid1(VALU_DEP_1)
	v_div_fixup_f32 v3, v2, v0, v1
	v_fmac_f32_e32 v0, v1, v3
	s_delay_alu instid0(VALU_DEP_1) | instskip(NEXT) | instid1(VALU_DEP_1)
	v_div_scale_f32 v1, null, v0, v0, 1.0
	v_rcp_f32_e32 v2, v1
	v_nop
	s_delay_alu instid0(TRANS32_DEP_1) | instskip(NEXT) | instid1(VALU_DEP_1)
	v_fma_f32 v4, -v1, v2, 1.0
	v_fmac_f32_e32 v2, v4, v2
	v_div_scale_f32 v4, vcc_lo, 1.0, v0, 1.0
	s_delay_alu instid0(VALU_DEP_1) | instskip(NEXT) | instid1(VALU_DEP_1)
	v_mul_f32_e32 v5, v4, v2
	v_fma_f32 v6, -v1, v5, v4
	s_delay_alu instid0(VALU_DEP_1) | instskip(NEXT) | instid1(VALU_DEP_1)
	v_fmac_f32_e32 v5, v6, v2
	v_fma_f32 v1, -v1, v5, v4
	s_delay_alu instid0(VALU_DEP_1) | instskip(NEXT) | instid1(VALU_DEP_1)
	v_div_fmas_f32 v1, v1, v2, v5
	v_div_fixup_f32 v2, v1, v0, 1.0
	s_delay_alu instid0(VALU_DEP_1)
	v_mul_f32_e64 v3, v3, -v2
.LBB99_106:
	s_or_b32 exec_lo, exec_lo, s1
	ds_store_b64 v87, v[2:3]
.LBB99_107:
	s_or_b32 exec_lo, exec_lo, s2
	s_wait_dscnt 0x0
	s_barrier_signal -1
	s_barrier_wait -1
	ds_load_b64 v[0:1], v87
	s_mov_b32 s1, exec_lo
	s_wait_dscnt 0x0
	scratch_store_b64 off, v[0:1], off offset:96 ; 8-byte Folded Spill
	s_wait_xcnt 0x0
	v_cmpx_lt_u32_e32 11, v86
	s_cbranch_execz .LBB99_109
; %bb.108:
	scratch_load_b64 v[4:5], off, off offset:96 ; 8-byte Folded Reload
	s_wait_loadcnt 0x0
	v_pk_mul_f32 v[2:3], v[4:5], v[32:33] op_sel:[1,1] op_sel_hi:[0,1]
	s_delay_alu instid0(VALU_DEP_1)
	v_pk_fma_f32 v[0:1], v[4:5], v[32:33], v[2:3] op_sel_hi:[1,0,1] neg_lo:[0,0,1] neg_hi:[0,0,1]
	v_pk_fma_f32 v[2:3], v[4:5], v[32:33], v[2:3] op_sel_hi:[1,0,1]
	ds_load_2addr_b64 v[4:7], v96 offset0:12 offset1:13
	v_dual_mov_b32 v32, v0 :: v_dual_mov_b32 v33, v3
	s_wait_dscnt 0x0
	v_pk_mul_f32 v[8:9], v[4:5], v[2:3] op_sel:[0,1]
	s_delay_alu instid0(VALU_DEP_1) | instskip(SKIP_1) | instid1(VALU_DEP_1)
	v_pk_fma_f32 v[10:11], v[4:5], v[0:1], v[8:9] op_sel:[0,0,1] op_sel_hi:[1,1,0] neg_lo:[0,0,1] neg_hi:[0,0,1]
	v_pk_fma_f32 v[4:5], v[4:5], v[0:1], v[8:9] op_sel:[0,0,1] op_sel_hi:[1,0,0]
	v_mov_b32_e32 v11, v5
	v_pk_mul_f32 v[4:5], v[6:7], v[2:3] op_sel:[0,1]
	s_delay_alu instid0(VALU_DEP_1) | instskip(SKIP_1) | instid1(VALU_DEP_1)
	v_pk_fma_f32 v[8:9], v[6:7], v[0:1], v[4:5] op_sel:[0,0,1] op_sel_hi:[1,1,0] neg_lo:[0,0,1] neg_hi:[0,0,1]
	v_pk_fma_f32 v[4:5], v[6:7], v[0:1], v[4:5] op_sel:[0,0,1] op_sel_hi:[1,0,0]
	v_mov_b32_e32 v9, v5
	ds_load_2addr_b64 v[4:7], v96 offset0:14 offset1:15
	v_pk_add_f32 v[54:55], v[54:55], v[10:11] neg_lo:[0,1] neg_hi:[0,1]
	v_pk_add_f32 v[50:51], v[50:51], v[8:9] neg_lo:[0,1] neg_hi:[0,1]
	s_wait_dscnt 0x0
	v_pk_mul_f32 v[8:9], v[4:5], v[2:3] op_sel:[0,1]
	s_delay_alu instid0(VALU_DEP_1) | instskip(SKIP_2) | instid1(VALU_DEP_2)
	v_pk_fma_f32 v[10:11], v[4:5], v[0:1], v[8:9] op_sel:[0,0,1] op_sel_hi:[1,1,0] neg_lo:[0,0,1] neg_hi:[0,0,1]
	v_pk_fma_f32 v[4:5], v[4:5], v[0:1], v[8:9] op_sel:[0,0,1] op_sel_hi:[1,0,0]
	v_dual_mul_f32 v8, v7, v3 :: v_dual_mov_b32 v4, v7
	v_dual_mov_b32 v11, v5 :: v_dual_mov_b32 v5, v6
	s_delay_alu instid0(VALU_DEP_2) | instskip(SKIP_1) | instid1(VALU_DEP_3)
	v_pk_fma_f32 v[8:9], v[6:7], v[32:33], v[8:9] op_sel_hi:[1,1,0] neg_lo:[0,0,1] neg_hi:[0,0,1]
	v_mul_f32_e32 v6, v7, v0
	v_pk_add_f32 v[52:53], v[52:53], v[10:11] neg_lo:[0,1] neg_hi:[0,1]
	s_delay_alu instid0(VALU_DEP_2) | instskip(NEXT) | instid1(VALU_DEP_1)
	v_pk_fma_f32 v[4:5], v[4:5], v[32:33], v[6:7] op_sel_hi:[1,1,0]
	v_mov_b32_e32 v9, v5
	ds_load_2addr_b64 v[4:7], v96 offset0:16 offset1:17
	v_pk_add_f32 v[48:49], v[48:49], v[8:9] neg_lo:[0,1] neg_hi:[0,1]
	s_wait_dscnt 0x0
	v_pk_mul_f32 v[8:9], v[4:5], v[2:3] op_sel:[0,1]
	s_delay_alu instid0(VALU_DEP_1) | instskip(SKIP_1) | instid1(VALU_DEP_1)
	v_pk_fma_f32 v[10:11], v[4:5], v[0:1], v[8:9] op_sel:[0,0,1] op_sel_hi:[1,1,0] neg_lo:[0,0,1] neg_hi:[0,0,1]
	v_pk_fma_f32 v[4:5], v[4:5], v[0:1], v[8:9] op_sel:[0,0,1] op_sel_hi:[1,0,0]
	v_mov_b32_e32 v11, v5
	v_pk_mul_f32 v[4:5], v[6:7], v[2:3] op_sel:[0,1]
	s_delay_alu instid0(VALU_DEP_1) | instskip(SKIP_1) | instid1(VALU_DEP_1)
	v_pk_fma_f32 v[8:9], v[6:7], v[0:1], v[4:5] op_sel:[0,0,1] op_sel_hi:[1,1,0] neg_lo:[0,0,1] neg_hi:[0,0,1]
	v_pk_fma_f32 v[4:5], v[6:7], v[0:1], v[4:5] op_sel:[0,0,1] op_sel_hi:[1,0,0]
	v_mov_b32_e32 v9, v5
	ds_load_2addr_b64 v[4:7], v96 offset0:18 offset1:19
	v_pk_add_f32 v[78:79], v[78:79], v[10:11] neg_lo:[0,1] neg_hi:[0,1]
	v_pk_add_f32 v[74:75], v[74:75], v[8:9] neg_lo:[0,1] neg_hi:[0,1]
	s_wait_dscnt 0x0
	v_pk_mul_f32 v[8:9], v[4:5], v[2:3] op_sel:[0,1]
	s_delay_alu instid0(VALU_DEP_1) | instskip(SKIP_1) | instid1(VALU_DEP_1)
	v_pk_fma_f32 v[10:11], v[4:5], v[0:1], v[8:9] op_sel:[0,0,1] op_sel_hi:[1,1,0] neg_lo:[0,0,1] neg_hi:[0,0,1]
	v_pk_fma_f32 v[4:5], v[4:5], v[0:1], v[8:9] op_sel:[0,0,1] op_sel_hi:[1,0,0]
	v_mov_b32_e32 v11, v5
	v_pk_mul_f32 v[4:5], v[6:7], v[2:3] op_sel:[0,1]
	s_delay_alu instid0(VALU_DEP_1) | instskip(SKIP_1) | instid1(VALU_DEP_1)
	v_pk_fma_f32 v[8:9], v[6:7], v[0:1], v[4:5] op_sel:[0,0,1] op_sel_hi:[1,1,0] neg_lo:[0,0,1] neg_hi:[0,0,1]
	v_pk_fma_f32 v[4:5], v[6:7], v[0:1], v[4:5] op_sel:[0,0,1] op_sel_hi:[1,0,0]
	v_mov_b32_e32 v9, v5
	ds_load_2addr_b64 v[4:7], v96 offset0:20 offset1:21
	v_pk_add_f32 v[76:77], v[76:77], v[10:11] neg_lo:[0,1] neg_hi:[0,1]
	v_pk_add_f32 v[72:73], v[72:73], v[8:9] neg_lo:[0,1] neg_hi:[0,1]
	s_wait_dscnt 0x0
	v_dual_mul_f32 v8, v5, v3 :: v_dual_mul_f32 v10, v5, v0
	s_delay_alu instid0(VALU_DEP_1) | instskip(NEXT) | instid1(VALU_DEP_2)
	v_pk_fma_f32 v[8:9], v[4:5], v[32:33], v[8:9] op_sel_hi:[1,1,0] neg_lo:[0,0,1] neg_hi:[0,0,1]
	v_pk_fma_f32 v[4:5], v[4:5], v[32:33], v[10:11] op_sel:[1,0,0] op_sel_hi:[0,1,0]
	s_delay_alu instid0(VALU_DEP_1) | instskip(SKIP_1) | instid1(VALU_DEP_2)
	v_mov_b32_e32 v9, v5
	v_pk_mul_f32 v[4:5], v[6:7], v[2:3] op_sel:[0,1]
	v_pk_add_f32 v[94:95], v[94:95], v[8:9] neg_lo:[0,1] neg_hi:[0,1]
	s_delay_alu instid0(VALU_DEP_2) | instskip(SKIP_1) | instid1(VALU_DEP_1)
	v_pk_fma_f32 v[8:9], v[6:7], v[0:1], v[4:5] op_sel:[0,0,1] op_sel_hi:[1,1,0] neg_lo:[0,0,1] neg_hi:[0,0,1]
	v_pk_fma_f32 v[4:5], v[6:7], v[0:1], v[4:5] op_sel:[0,0,1] op_sel_hi:[1,0,0]
	v_mov_b32_e32 v9, v5
	ds_load_2addr_b64 v[4:7], v96 offset0:22 offset1:23
	v_pk_add_f32 v[90:91], v[90:91], v[8:9] neg_lo:[0,1] neg_hi:[0,1]
	s_wait_dscnt 0x0
	v_pk_mul_f32 v[8:9], v[4:5], v[2:3] op_sel:[0,1]
	s_delay_alu instid0(VALU_DEP_1) | instskip(SKIP_1) | instid1(VALU_DEP_1)
	v_pk_fma_f32 v[10:11], v[4:5], v[0:1], v[8:9] op_sel:[0,0,1] op_sel_hi:[1,1,0] neg_lo:[0,0,1] neg_hi:[0,0,1]
	v_pk_fma_f32 v[4:5], v[4:5], v[0:1], v[8:9] op_sel:[0,0,1] op_sel_hi:[1,0,0]
	v_mov_b32_e32 v11, v5
	v_pk_mul_f32 v[4:5], v[6:7], v[2:3] op_sel:[0,1]
	s_delay_alu instid0(VALU_DEP_2) | instskip(NEXT) | instid1(VALU_DEP_2)
	v_pk_add_f32 v[92:93], v[92:93], v[10:11] neg_lo:[0,1] neg_hi:[0,1]
	v_pk_fma_f32 v[8:9], v[6:7], v[0:1], v[4:5] op_sel:[0,0,1] op_sel_hi:[1,1,0] neg_lo:[0,0,1] neg_hi:[0,0,1]
	v_pk_fma_f32 v[4:5], v[6:7], v[0:1], v[4:5] op_sel:[0,0,1] op_sel_hi:[1,0,0]
	s_delay_alu instid0(VALU_DEP_1) | instskip(SKIP_4) | instid1(VALU_DEP_1)
	v_mov_b32_e32 v9, v5
	ds_load_2addr_b64 v[4:7], v96 offset0:24 offset1:25
	v_pk_add_f32 v[88:89], v[88:89], v[8:9] neg_lo:[0,1] neg_hi:[0,1]
	s_wait_dscnt 0x0
	v_pk_mul_f32 v[8:9], v[4:5], v[2:3] op_sel:[0,1]
	v_pk_fma_f32 v[10:11], v[4:5], v[0:1], v[8:9] op_sel:[0,0,1] op_sel_hi:[1,1,0] neg_lo:[0,0,1] neg_hi:[0,0,1]
	v_pk_fma_f32 v[4:5], v[4:5], v[0:1], v[8:9] op_sel:[0,0,1] op_sel_hi:[1,0,0]
	v_dual_mul_f32 v8, v7, v3 :: v_dual_mov_b32 v4, v7
	s_delay_alu instid0(VALU_DEP_2) | instskip(NEXT) | instid1(VALU_DEP_2)
	v_dual_mov_b32 v11, v5 :: v_dual_mov_b32 v5, v6
	v_pk_fma_f32 v[8:9], v[6:7], v[32:33], v[8:9] op_sel_hi:[1,1,0] neg_lo:[0,0,1] neg_hi:[0,0,1]
	v_mul_f32_e32 v6, v7, v0
	s_delay_alu instid0(VALU_DEP_3) | instskip(NEXT) | instid1(VALU_DEP_2)
	v_pk_add_f32 v[112:113], v[112:113], v[10:11] neg_lo:[0,1] neg_hi:[0,1]
	v_pk_fma_f32 v[4:5], v[4:5], v[32:33], v[6:7] op_sel_hi:[1,1,0]
	s_delay_alu instid0(VALU_DEP_1) | instskip(SKIP_4) | instid1(VALU_DEP_1)
	v_mov_b32_e32 v9, v5
	ds_load_2addr_b64 v[4:7], v96 offset0:26 offset1:27
	v_pk_add_f32 v[108:109], v[108:109], v[8:9] neg_lo:[0,1] neg_hi:[0,1]
	s_wait_dscnt 0x0
	v_pk_mul_f32 v[8:9], v[4:5], v[2:3] op_sel:[0,1]
	v_pk_fma_f32 v[10:11], v[4:5], v[0:1], v[8:9] op_sel:[0,0,1] op_sel_hi:[1,1,0] neg_lo:[0,0,1] neg_hi:[0,0,1]
	v_pk_fma_f32 v[4:5], v[4:5], v[0:1], v[8:9] op_sel:[0,0,1] op_sel_hi:[1,0,0]
	s_delay_alu instid0(VALU_DEP_1) | instskip(SKIP_1) | instid1(VALU_DEP_1)
	v_mov_b32_e32 v11, v5
	v_pk_mul_f32 v[4:5], v[6:7], v[2:3] op_sel:[0,1]
	v_pk_fma_f32 v[8:9], v[6:7], v[0:1], v[4:5] op_sel:[0,0,1] op_sel_hi:[1,1,0] neg_lo:[0,0,1] neg_hi:[0,0,1]
	v_pk_fma_f32 v[4:5], v[6:7], v[0:1], v[4:5] op_sel:[0,0,1] op_sel_hi:[1,0,0]
	s_delay_alu instid0(VALU_DEP_1)
	v_mov_b32_e32 v9, v5
	ds_load_2addr_b64 v[4:7], v96 offset0:28 offset1:29
	v_pk_add_f32 v[110:111], v[110:111], v[10:11] neg_lo:[0,1] neg_hi:[0,1]
	v_pk_add_f32 v[106:107], v[106:107], v[8:9] neg_lo:[0,1] neg_hi:[0,1]
	s_wait_dscnt 0x0
	v_pk_mul_f32 v[8:9], v[4:5], v[2:3] op_sel:[0,1]
	s_delay_alu instid0(VALU_DEP_1) | instskip(SKIP_1) | instid1(VALU_DEP_1)
	v_pk_fma_f32 v[10:11], v[4:5], v[0:1], v[8:9] op_sel:[0,0,1] op_sel_hi:[1,1,0] neg_lo:[0,0,1] neg_hi:[0,0,1]
	v_pk_fma_f32 v[4:5], v[4:5], v[0:1], v[8:9] op_sel:[0,0,1] op_sel_hi:[1,0,0]
	v_mov_b32_e32 v11, v5
	v_pk_mul_f32 v[4:5], v[6:7], v[2:3] op_sel:[0,1]
	s_delay_alu instid0(VALU_DEP_1) | instskip(SKIP_1) | instid1(VALU_DEP_1)
	v_pk_fma_f32 v[8:9], v[6:7], v[0:1], v[4:5] op_sel:[0,0,1] op_sel_hi:[1,1,0] neg_lo:[0,0,1] neg_hi:[0,0,1]
	v_pk_fma_f32 v[4:5], v[6:7], v[0:1], v[4:5] op_sel:[0,0,1] op_sel_hi:[1,0,0]
	v_mov_b32_e32 v9, v5
	ds_load_2addr_b64 v[4:7], v96 offset0:30 offset1:31
	v_pk_add_f32 v[128:129], v[128:129], v[10:11] neg_lo:[0,1] neg_hi:[0,1]
	v_pk_add_f32 v[124:125], v[124:125], v[8:9] neg_lo:[0,1] neg_hi:[0,1]
	s_wait_dscnt 0x0
	v_dual_mul_f32 v8, v5, v3 :: v_dual_mul_f32 v10, v5, v0
	s_delay_alu instid0(VALU_DEP_1) | instskip(NEXT) | instid1(VALU_DEP_2)
	v_pk_fma_f32 v[8:9], v[4:5], v[32:33], v[8:9] op_sel_hi:[1,1,0] neg_lo:[0,0,1] neg_hi:[0,0,1]
	v_pk_fma_f32 v[4:5], v[4:5], v[32:33], v[10:11] op_sel:[1,0,0] op_sel_hi:[0,1,0]
	s_delay_alu instid0(VALU_DEP_1) | instskip(SKIP_1) | instid1(VALU_DEP_2)
	v_mov_b32_e32 v9, v5
	v_pk_mul_f32 v[4:5], v[6:7], v[2:3] op_sel:[0,1]
	v_pk_add_f32 v[126:127], v[126:127], v[8:9] neg_lo:[0,1] neg_hi:[0,1]
	s_delay_alu instid0(VALU_DEP_2) | instskip(SKIP_1) | instid1(VALU_DEP_1)
	v_pk_fma_f32 v[8:9], v[6:7], v[0:1], v[4:5] op_sel:[0,0,1] op_sel_hi:[1,1,0] neg_lo:[0,0,1] neg_hi:[0,0,1]
	v_pk_fma_f32 v[4:5], v[6:7], v[0:1], v[4:5] op_sel:[0,0,1] op_sel_hi:[1,0,0]
	v_mov_b32_e32 v9, v5
	ds_load_2addr_b64 v[4:7], v96 offset0:32 offset1:33
	v_pk_add_f32 v[122:123], v[122:123], v[8:9] neg_lo:[0,1] neg_hi:[0,1]
	s_wait_dscnt 0x0
	v_pk_mul_f32 v[8:9], v[4:5], v[2:3] op_sel:[0,1]
	s_delay_alu instid0(VALU_DEP_1) | instskip(SKIP_1) | instid1(VALU_DEP_1)
	v_pk_fma_f32 v[10:11], v[4:5], v[0:1], v[8:9] op_sel:[0,0,1] op_sel_hi:[1,1,0] neg_lo:[0,0,1] neg_hi:[0,0,1]
	v_pk_fma_f32 v[4:5], v[4:5], v[0:1], v[8:9] op_sel:[0,0,1] op_sel_hi:[1,0,0]
	v_mov_b32_e32 v11, v5
	v_pk_mul_f32 v[4:5], v[6:7], v[2:3] op_sel:[0,1]
	s_delay_alu instid0(VALU_DEP_2) | instskip(NEXT) | instid1(VALU_DEP_2)
	v_pk_add_f32 v[144:145], v[144:145], v[10:11] neg_lo:[0,1] neg_hi:[0,1]
	v_pk_fma_f32 v[8:9], v[6:7], v[0:1], v[4:5] op_sel:[0,0,1] op_sel_hi:[1,1,0] neg_lo:[0,0,1] neg_hi:[0,0,1]
	v_pk_fma_f32 v[4:5], v[6:7], v[0:1], v[4:5] op_sel:[0,0,1] op_sel_hi:[1,0,0]
	s_delay_alu instid0(VALU_DEP_1) | instskip(SKIP_4) | instid1(VALU_DEP_1)
	v_mov_b32_e32 v9, v5
	ds_load_2addr_b64 v[4:7], v96 offset0:34 offset1:35
	v_pk_add_f32 v[140:141], v[140:141], v[8:9] neg_lo:[0,1] neg_hi:[0,1]
	s_wait_dscnt 0x0
	v_pk_mul_f32 v[8:9], v[4:5], v[2:3] op_sel:[0,1]
	v_pk_fma_f32 v[10:11], v[4:5], v[0:1], v[8:9] op_sel:[0,0,1] op_sel_hi:[1,1,0] neg_lo:[0,0,1] neg_hi:[0,0,1]
	v_pk_fma_f32 v[4:5], v[4:5], v[0:1], v[8:9] op_sel:[0,0,1] op_sel_hi:[1,0,0]
	v_dual_mul_f32 v8, v7, v3 :: v_dual_mov_b32 v4, v7
	s_delay_alu instid0(VALU_DEP_2) | instskip(NEXT) | instid1(VALU_DEP_2)
	v_dual_mov_b32 v11, v5 :: v_dual_mov_b32 v5, v6
	v_pk_fma_f32 v[8:9], v[6:7], v[32:33], v[8:9] op_sel_hi:[1,1,0] neg_lo:[0,0,1] neg_hi:[0,0,1]
	v_mul_f32_e32 v6, v7, v0
	s_delay_alu instid0(VALU_DEP_3) | instskip(NEXT) | instid1(VALU_DEP_2)
	v_pk_add_f32 v[142:143], v[142:143], v[10:11] neg_lo:[0,1] neg_hi:[0,1]
	v_pk_fma_f32 v[4:5], v[4:5], v[32:33], v[6:7] op_sel_hi:[1,1,0]
	s_delay_alu instid0(VALU_DEP_1) | instskip(SKIP_4) | instid1(VALU_DEP_1)
	v_mov_b32_e32 v9, v5
	ds_load_2addr_b64 v[4:7], v96 offset0:36 offset1:37
	v_pk_add_f32 v[138:139], v[138:139], v[8:9] neg_lo:[0,1] neg_hi:[0,1]
	s_wait_dscnt 0x0
	v_pk_mul_f32 v[8:9], v[4:5], v[2:3] op_sel:[0,1]
	v_pk_fma_f32 v[10:11], v[4:5], v[0:1], v[8:9] op_sel:[0,0,1] op_sel_hi:[1,1,0] neg_lo:[0,0,1] neg_hi:[0,0,1]
	v_pk_fma_f32 v[4:5], v[4:5], v[0:1], v[8:9] op_sel:[0,0,1] op_sel_hi:[1,0,0]
	s_delay_alu instid0(VALU_DEP_1) | instskip(SKIP_1) | instid1(VALU_DEP_1)
	v_mov_b32_e32 v11, v5
	v_pk_mul_f32 v[4:5], v[6:7], v[2:3] op_sel:[0,1]
	v_pk_fma_f32 v[8:9], v[6:7], v[0:1], v[4:5] op_sel:[0,0,1] op_sel_hi:[1,1,0] neg_lo:[0,0,1] neg_hi:[0,0,1]
	v_pk_fma_f32 v[4:5], v[6:7], v[0:1], v[4:5] op_sel:[0,0,1] op_sel_hi:[1,0,0]
	s_delay_alu instid0(VALU_DEP_1)
	v_mov_b32_e32 v9, v5
	ds_load_2addr_b64 v[4:7], v96 offset0:38 offset1:39
	v_pk_add_f32 v[162:163], v[162:163], v[10:11] neg_lo:[0,1] neg_hi:[0,1]
	v_pk_add_f32 v[158:159], v[158:159], v[8:9] neg_lo:[0,1] neg_hi:[0,1]
	s_wait_dscnt 0x0
	v_pk_mul_f32 v[8:9], v[4:5], v[2:3] op_sel:[0,1]
	s_delay_alu instid0(VALU_DEP_1) | instskip(SKIP_1) | instid1(VALU_DEP_1)
	v_pk_fma_f32 v[10:11], v[4:5], v[0:1], v[8:9] op_sel:[0,0,1] op_sel_hi:[1,1,0] neg_lo:[0,0,1] neg_hi:[0,0,1]
	v_pk_fma_f32 v[4:5], v[4:5], v[0:1], v[8:9] op_sel:[0,0,1] op_sel_hi:[1,0,0]
	v_mov_b32_e32 v11, v5
	v_pk_mul_f32 v[4:5], v[6:7], v[2:3] op_sel:[0,1]
	s_delay_alu instid0(VALU_DEP_1) | instskip(SKIP_1) | instid1(VALU_DEP_1)
	v_pk_fma_f32 v[8:9], v[6:7], v[0:1], v[4:5] op_sel:[0,0,1] op_sel_hi:[1,1,0] neg_lo:[0,0,1] neg_hi:[0,0,1]
	v_pk_fma_f32 v[4:5], v[6:7], v[0:1], v[4:5] op_sel:[0,0,1] op_sel_hi:[1,0,0]
	v_mov_b32_e32 v9, v5
	ds_load_2addr_b64 v[4:7], v96 offset0:40 offset1:41
	v_pk_add_f32 v[160:161], v[160:161], v[10:11] neg_lo:[0,1] neg_hi:[0,1]
	v_pk_add_f32 v[156:157], v[156:157], v[8:9] neg_lo:[0,1] neg_hi:[0,1]
	s_wait_dscnt 0x0
	v_dual_mul_f32 v8, v5, v3 :: v_dual_mul_f32 v10, v5, v0
	s_delay_alu instid0(VALU_DEP_1) | instskip(NEXT) | instid1(VALU_DEP_2)
	v_pk_fma_f32 v[8:9], v[4:5], v[32:33], v[8:9] op_sel_hi:[1,1,0] neg_lo:[0,0,1] neg_hi:[0,0,1]
	v_pk_fma_f32 v[4:5], v[4:5], v[32:33], v[10:11] op_sel:[1,0,0] op_sel_hi:[0,1,0]
	s_delay_alu instid0(VALU_DEP_1) | instskip(SKIP_1) | instid1(VALU_DEP_2)
	v_mov_b32_e32 v9, v5
	v_pk_mul_f32 v[4:5], v[6:7], v[2:3] op_sel:[0,1]
	v_pk_add_f32 v[180:181], v[180:181], v[8:9] neg_lo:[0,1] neg_hi:[0,1]
	s_delay_alu instid0(VALU_DEP_2) | instskip(SKIP_1) | instid1(VALU_DEP_1)
	v_pk_fma_f32 v[8:9], v[6:7], v[0:1], v[4:5] op_sel:[0,0,1] op_sel_hi:[1,1,0] neg_lo:[0,0,1] neg_hi:[0,0,1]
	v_pk_fma_f32 v[4:5], v[6:7], v[0:1], v[4:5] op_sel:[0,0,1] op_sel_hi:[1,0,0]
	v_mov_b32_e32 v9, v5
	ds_load_2addr_b64 v[4:7], v96 offset0:42 offset1:43
	v_pk_add_f32 v[176:177], v[176:177], v[8:9] neg_lo:[0,1] neg_hi:[0,1]
	s_wait_dscnt 0x0
	v_pk_mul_f32 v[8:9], v[4:5], v[2:3] op_sel:[0,1]
	s_delay_alu instid0(VALU_DEP_1) | instskip(SKIP_1) | instid1(VALU_DEP_1)
	v_pk_fma_f32 v[10:11], v[4:5], v[0:1], v[8:9] op_sel:[0,0,1] op_sel_hi:[1,1,0] neg_lo:[0,0,1] neg_hi:[0,0,1]
	v_pk_fma_f32 v[4:5], v[4:5], v[0:1], v[8:9] op_sel:[0,0,1] op_sel_hi:[1,0,0]
	v_mov_b32_e32 v11, v5
	v_pk_mul_f32 v[4:5], v[6:7], v[2:3] op_sel:[0,1]
	s_delay_alu instid0(VALU_DEP_2) | instskip(NEXT) | instid1(VALU_DEP_2)
	v_pk_add_f32 v[178:179], v[178:179], v[10:11] neg_lo:[0,1] neg_hi:[0,1]
	v_pk_fma_f32 v[8:9], v[6:7], v[0:1], v[4:5] op_sel:[0,0,1] op_sel_hi:[1,1,0] neg_lo:[0,0,1] neg_hi:[0,0,1]
	v_pk_fma_f32 v[4:5], v[6:7], v[0:1], v[4:5] op_sel:[0,0,1] op_sel_hi:[1,0,0]
	s_delay_alu instid0(VALU_DEP_1) | instskip(SKIP_4) | instid1(VALU_DEP_1)
	v_mov_b32_e32 v9, v5
	ds_load_2addr_b64 v[4:7], v96 offset0:44 offset1:45
	v_pk_add_f32 v[174:175], v[174:175], v[8:9] neg_lo:[0,1] neg_hi:[0,1]
	s_wait_dscnt 0x0
	v_pk_mul_f32 v[8:9], v[4:5], v[2:3] op_sel:[0,1]
	v_pk_fma_f32 v[10:11], v[4:5], v[0:1], v[8:9] op_sel:[0,0,1] op_sel_hi:[1,1,0] neg_lo:[0,0,1] neg_hi:[0,0,1]
	v_pk_fma_f32 v[4:5], v[4:5], v[0:1], v[8:9] op_sel:[0,0,1] op_sel_hi:[1,0,0]
	v_dual_mul_f32 v8, v7, v3 :: v_dual_mov_b32 v4, v7
	s_delay_alu instid0(VALU_DEP_2) | instskip(NEXT) | instid1(VALU_DEP_2)
	v_dual_mov_b32 v11, v5 :: v_dual_mov_b32 v5, v6
	v_pk_fma_f32 v[8:9], v[6:7], v[32:33], v[8:9] op_sel_hi:[1,1,0] neg_lo:[0,0,1] neg_hi:[0,0,1]
	v_mul_f32_e32 v6, v7, v0
	s_delay_alu instid0(VALU_DEP_3) | instskip(NEXT) | instid1(VALU_DEP_2)
	v_pk_add_f32 v[196:197], v[196:197], v[10:11] neg_lo:[0,1] neg_hi:[0,1]
	v_pk_fma_f32 v[4:5], v[4:5], v[32:33], v[6:7] op_sel_hi:[1,1,0]
	s_delay_alu instid0(VALU_DEP_1) | instskip(SKIP_4) | instid1(VALU_DEP_1)
	v_mov_b32_e32 v9, v5
	ds_load_2addr_b64 v[4:7], v96 offset0:46 offset1:47
	v_pk_add_f32 v[192:193], v[192:193], v[8:9] neg_lo:[0,1] neg_hi:[0,1]
	s_wait_dscnt 0x0
	v_pk_mul_f32 v[8:9], v[4:5], v[2:3] op_sel:[0,1]
	v_pk_fma_f32 v[10:11], v[4:5], v[0:1], v[8:9] op_sel:[0,0,1] op_sel_hi:[1,1,0] neg_lo:[0,0,1] neg_hi:[0,0,1]
	v_pk_fma_f32 v[4:5], v[4:5], v[0:1], v[8:9] op_sel:[0,0,1] op_sel_hi:[1,0,0]
	s_delay_alu instid0(VALU_DEP_1) | instskip(SKIP_1) | instid1(VALU_DEP_1)
	v_mov_b32_e32 v11, v5
	v_pk_mul_f32 v[4:5], v[6:7], v[2:3] op_sel:[0,1]
	v_pk_fma_f32 v[8:9], v[6:7], v[0:1], v[4:5] op_sel:[0,0,1] op_sel_hi:[1,1,0] neg_lo:[0,0,1] neg_hi:[0,0,1]
	v_pk_fma_f32 v[4:5], v[6:7], v[0:1], v[4:5] op_sel:[0,0,1] op_sel_hi:[1,0,0]
	s_delay_alu instid0(VALU_DEP_1)
	v_mov_b32_e32 v9, v5
	ds_load_2addr_b64 v[4:7], v96 offset0:48 offset1:49
	v_pk_add_f32 v[194:195], v[194:195], v[10:11] neg_lo:[0,1] neg_hi:[0,1]
	v_pk_add_f32 v[190:191], v[190:191], v[8:9] neg_lo:[0,1] neg_hi:[0,1]
	s_wait_dscnt 0x0
	v_pk_mul_f32 v[8:9], v[4:5], v[2:3] op_sel:[0,1]
	v_pk_mul_f32 v[2:3], v[6:7], v[2:3] op_sel:[0,1]
	s_delay_alu instid0(VALU_DEP_2) | instskip(SKIP_1) | instid1(VALU_DEP_1)
	v_pk_fma_f32 v[10:11], v[4:5], v[0:1], v[8:9] op_sel:[0,0,1] op_sel_hi:[1,1,0] neg_lo:[0,0,1] neg_hi:[0,0,1]
	v_pk_fma_f32 v[4:5], v[4:5], v[0:1], v[8:9] op_sel:[0,0,1] op_sel_hi:[1,0,0]
	v_mov_b32_e32 v11, v5
	s_delay_alu instid0(VALU_DEP_4) | instskip(SKIP_1) | instid1(VALU_DEP_1)
	v_pk_fma_f32 v[4:5], v[6:7], v[0:1], v[2:3] op_sel:[0,0,1] op_sel_hi:[1,1,0] neg_lo:[0,0,1] neg_hi:[0,0,1]
	v_pk_fma_f32 v[0:1], v[6:7], v[0:1], v[2:3] op_sel:[0,0,1] op_sel_hi:[1,0,0]
	v_mov_b32_e32 v5, v1
	s_delay_alu instid0(VALU_DEP_4) | instskip(NEXT) | instid1(VALU_DEP_2)
	v_pk_add_f32 v[198:199], v[198:199], v[10:11] neg_lo:[0,1] neg_hi:[0,1]
	v_pk_add_f32 v[200:201], v[200:201], v[4:5] neg_lo:[0,1] neg_hi:[0,1]
.LBB99_109:
	s_wait_xcnt 0x0
	s_or_b32 exec_lo, exec_lo, s1
	s_delay_alu instid0(SALU_CYCLE_1)
	s_mov_b32 s2, exec_lo
	s_wait_storecnt 0x0
	s_barrier_signal -1
	s_barrier_wait -1
	v_cmpx_eq_u32_e32 12, v86
	s_cbranch_execz .LBB99_116
; %bb.110:
	ds_store_b64 v87, v[54:55]
	ds_store_2addr_b64 v96, v[50:51], v[52:53] offset0:13 offset1:14
	ds_store_2addr_b64 v96, v[48:49], v[78:79] offset0:15 offset1:16
	;; [unrolled: 1-line block ×18, first 2 shown]
	ds_store_b64 v96, v[200:201] offset:392
	ds_load_b64 v[0:1], v87
	s_wait_dscnt 0x0
	v_cmp_neq_f32_e32 vcc_lo, 0, v0
	v_cmp_neq_f32_e64 s1, 0, v1
	s_or_b32 s1, vcc_lo, s1
	s_delay_alu instid0(SALU_CYCLE_1)
	s_and_b32 exec_lo, exec_lo, s1
	s_cbranch_execz .LBB99_116
; %bb.111:
	v_cmp_ngt_f32_e64 s1, |v0|, |v1|
                                        ; implicit-def: $vgpr2_vgpr3
	s_and_saveexec_b32 s4, s1
	s_delay_alu instid0(SALU_CYCLE_1)
	s_xor_b32 s1, exec_lo, s4
	s_cbranch_execz .LBB99_113
; %bb.112:
	v_div_scale_f32 v2, null, v1, v1, v0
	v_div_scale_f32 v5, vcc_lo, v0, v1, v0
	s_delay_alu instid0(VALU_DEP_2) | instskip(SKIP_1) | instid1(TRANS32_DEP_1)
	v_rcp_f32_e32 v3, v2
	v_nop
	v_fma_f32 v4, -v2, v3, 1.0
	s_delay_alu instid0(VALU_DEP_1) | instskip(NEXT) | instid1(VALU_DEP_1)
	v_fmac_f32_e32 v3, v4, v3
	v_mul_f32_e32 v4, v5, v3
	s_delay_alu instid0(VALU_DEP_1) | instskip(NEXT) | instid1(VALU_DEP_1)
	v_fma_f32 v6, -v2, v4, v5
	v_fmac_f32_e32 v4, v6, v3
	s_delay_alu instid0(VALU_DEP_1) | instskip(NEXT) | instid1(VALU_DEP_1)
	v_fma_f32 v2, -v2, v4, v5
	v_div_fmas_f32 v2, v2, v3, v4
	s_delay_alu instid0(VALU_DEP_1) | instskip(NEXT) | instid1(VALU_DEP_1)
	v_div_fixup_f32 v2, v2, v1, v0
	v_fmac_f32_e32 v1, v0, v2
	s_delay_alu instid0(VALU_DEP_1) | instskip(SKIP_1) | instid1(VALU_DEP_2)
	v_div_scale_f32 v0, null, v1, v1, 1.0
	v_div_scale_f32 v5, vcc_lo, 1.0, v1, 1.0
	v_rcp_f32_e32 v3, v0
	v_nop
	s_delay_alu instid0(TRANS32_DEP_1) | instskip(NEXT) | instid1(VALU_DEP_1)
	v_fma_f32 v4, -v0, v3, 1.0
	v_fmac_f32_e32 v3, v4, v3
	s_delay_alu instid0(VALU_DEP_1) | instskip(NEXT) | instid1(VALU_DEP_1)
	v_mul_f32_e32 v4, v5, v3
	v_fma_f32 v6, -v0, v4, v5
	s_delay_alu instid0(VALU_DEP_1) | instskip(NEXT) | instid1(VALU_DEP_1)
	v_fmac_f32_e32 v4, v6, v3
	v_fma_f32 v0, -v0, v4, v5
	s_delay_alu instid0(VALU_DEP_1) | instskip(NEXT) | instid1(VALU_DEP_1)
	v_div_fmas_f32 v0, v0, v3, v4
	v_div_fixup_f32 v0, v0, v1, 1.0
	s_delay_alu instid0(VALU_DEP_1)
	v_mul_f32_e32 v2, v2, v0
	v_xor_b32_e32 v3, 0x80000000, v0
                                        ; implicit-def: $vgpr0_vgpr1
.LBB99_113:
	s_and_not1_saveexec_b32 s1, s1
	s_cbranch_execz .LBB99_115
; %bb.114:
	v_div_scale_f32 v2, null, v0, v0, v1
	v_div_scale_f32 v5, vcc_lo, v1, v0, v1
	s_delay_alu instid0(VALU_DEP_2) | instskip(SKIP_1) | instid1(TRANS32_DEP_1)
	v_rcp_f32_e32 v3, v2
	v_nop
	v_fma_f32 v4, -v2, v3, 1.0
	s_delay_alu instid0(VALU_DEP_1) | instskip(NEXT) | instid1(VALU_DEP_1)
	v_fmac_f32_e32 v3, v4, v3
	v_mul_f32_e32 v4, v5, v3
	s_delay_alu instid0(VALU_DEP_1) | instskip(NEXT) | instid1(VALU_DEP_1)
	v_fma_f32 v6, -v2, v4, v5
	v_fmac_f32_e32 v4, v6, v3
	s_delay_alu instid0(VALU_DEP_1) | instskip(NEXT) | instid1(VALU_DEP_1)
	v_fma_f32 v2, -v2, v4, v5
	v_div_fmas_f32 v2, v2, v3, v4
	s_delay_alu instid0(VALU_DEP_1) | instskip(NEXT) | instid1(VALU_DEP_1)
	v_div_fixup_f32 v3, v2, v0, v1
	v_fmac_f32_e32 v0, v1, v3
	s_delay_alu instid0(VALU_DEP_1) | instskip(NEXT) | instid1(VALU_DEP_1)
	v_div_scale_f32 v1, null, v0, v0, 1.0
	v_rcp_f32_e32 v2, v1
	v_nop
	s_delay_alu instid0(TRANS32_DEP_1) | instskip(NEXT) | instid1(VALU_DEP_1)
	v_fma_f32 v4, -v1, v2, 1.0
	v_fmac_f32_e32 v2, v4, v2
	v_div_scale_f32 v4, vcc_lo, 1.0, v0, 1.0
	s_delay_alu instid0(VALU_DEP_1) | instskip(NEXT) | instid1(VALU_DEP_1)
	v_mul_f32_e32 v5, v4, v2
	v_fma_f32 v6, -v1, v5, v4
	s_delay_alu instid0(VALU_DEP_1) | instskip(NEXT) | instid1(VALU_DEP_1)
	v_fmac_f32_e32 v5, v6, v2
	v_fma_f32 v1, -v1, v5, v4
	s_delay_alu instid0(VALU_DEP_1) | instskip(NEXT) | instid1(VALU_DEP_1)
	v_div_fmas_f32 v1, v1, v2, v5
	v_div_fixup_f32 v2, v1, v0, 1.0
	s_delay_alu instid0(VALU_DEP_1)
	v_mul_f32_e64 v3, v3, -v2
.LBB99_115:
	s_or_b32 exec_lo, exec_lo, s1
	ds_store_b64 v87, v[2:3]
.LBB99_116:
	s_or_b32 exec_lo, exec_lo, s2
	s_wait_dscnt 0x0
	s_barrier_signal -1
	s_barrier_wait -1
	ds_load_b64 v[0:1], v87
	s_mov_b32 s1, exec_lo
	s_wait_dscnt 0x0
	scratch_store_b64 off, v[0:1], off offset:104 ; 8-byte Folded Spill
	s_wait_xcnt 0x0
	v_cmpx_lt_u32_e32 12, v86
	s_cbranch_execz .LBB99_118
; %bb.117:
	scratch_load_b64 v[4:5], off, off offset:104 ; 8-byte Folded Reload
	s_wait_loadcnt 0x0
	v_pk_mul_f32 v[2:3], v[4:5], v[54:55] op_sel:[1,1] op_sel_hi:[0,1]
	s_delay_alu instid0(VALU_DEP_1)
	v_pk_fma_f32 v[0:1], v[4:5], v[54:55], v[2:3] op_sel_hi:[1,0,1] neg_lo:[0,0,1] neg_hi:[0,0,1]
	v_pk_fma_f32 v[2:3], v[4:5], v[54:55], v[2:3] op_sel_hi:[1,0,1]
	ds_load_2addr_b64 v[4:7], v96 offset0:13 offset1:14
	v_dual_mov_b32 v54, v0 :: v_dual_mov_b32 v55, v3
	s_wait_dscnt 0x0
	v_pk_mul_f32 v[8:9], v[4:5], v[2:3] op_sel:[0,1]
	s_delay_alu instid0(VALU_DEP_1) | instskip(SKIP_1) | instid1(VALU_DEP_1)
	v_pk_fma_f32 v[10:11], v[4:5], v[0:1], v[8:9] op_sel:[0,0,1] op_sel_hi:[1,1,0] neg_lo:[0,0,1] neg_hi:[0,0,1]
	v_pk_fma_f32 v[4:5], v[4:5], v[0:1], v[8:9] op_sel:[0,0,1] op_sel_hi:[1,0,0]
	v_mov_b32_e32 v11, v5
	v_pk_mul_f32 v[4:5], v[6:7], v[2:3] op_sel:[0,1]
	s_delay_alu instid0(VALU_DEP_1) | instskip(SKIP_1) | instid1(VALU_DEP_1)
	v_pk_fma_f32 v[8:9], v[6:7], v[0:1], v[4:5] op_sel:[0,0,1] op_sel_hi:[1,1,0] neg_lo:[0,0,1] neg_hi:[0,0,1]
	v_pk_fma_f32 v[4:5], v[6:7], v[0:1], v[4:5] op_sel:[0,0,1] op_sel_hi:[1,0,0]
	v_mov_b32_e32 v9, v5
	ds_load_2addr_b64 v[4:7], v96 offset0:15 offset1:16
	v_pk_add_f32 v[50:51], v[50:51], v[10:11] neg_lo:[0,1] neg_hi:[0,1]
	v_pk_add_f32 v[52:53], v[52:53], v[8:9] neg_lo:[0,1] neg_hi:[0,1]
	s_wait_dscnt 0x0
	v_pk_mul_f32 v[8:9], v[4:5], v[2:3] op_sel:[0,1]
	s_delay_alu instid0(VALU_DEP_1) | instskip(SKIP_2) | instid1(VALU_DEP_2)
	v_pk_fma_f32 v[10:11], v[4:5], v[0:1], v[8:9] op_sel:[0,0,1] op_sel_hi:[1,1,0] neg_lo:[0,0,1] neg_hi:[0,0,1]
	v_pk_fma_f32 v[4:5], v[4:5], v[0:1], v[8:9] op_sel:[0,0,1] op_sel_hi:[1,0,0]
	v_dual_mul_f32 v8, v7, v3 :: v_dual_mov_b32 v4, v7
	v_dual_mov_b32 v11, v5 :: v_dual_mov_b32 v5, v6
	s_delay_alu instid0(VALU_DEP_2) | instskip(SKIP_1) | instid1(VALU_DEP_3)
	v_pk_fma_f32 v[8:9], v[6:7], v[54:55], v[8:9] op_sel_hi:[1,1,0] neg_lo:[0,0,1] neg_hi:[0,0,1]
	v_mul_f32_e32 v6, v7, v0
	v_pk_add_f32 v[48:49], v[48:49], v[10:11] neg_lo:[0,1] neg_hi:[0,1]
	s_delay_alu instid0(VALU_DEP_2) | instskip(NEXT) | instid1(VALU_DEP_1)
	v_pk_fma_f32 v[4:5], v[4:5], v[54:55], v[6:7] op_sel_hi:[1,1,0]
	v_mov_b32_e32 v9, v5
	ds_load_2addr_b64 v[4:7], v96 offset0:17 offset1:18
	v_pk_add_f32 v[78:79], v[78:79], v[8:9] neg_lo:[0,1] neg_hi:[0,1]
	s_wait_dscnt 0x0
	v_pk_mul_f32 v[8:9], v[4:5], v[2:3] op_sel:[0,1]
	s_delay_alu instid0(VALU_DEP_1) | instskip(SKIP_1) | instid1(VALU_DEP_1)
	v_pk_fma_f32 v[10:11], v[4:5], v[0:1], v[8:9] op_sel:[0,0,1] op_sel_hi:[1,1,0] neg_lo:[0,0,1] neg_hi:[0,0,1]
	v_pk_fma_f32 v[4:5], v[4:5], v[0:1], v[8:9] op_sel:[0,0,1] op_sel_hi:[1,0,0]
	v_mov_b32_e32 v11, v5
	v_pk_mul_f32 v[4:5], v[6:7], v[2:3] op_sel:[0,1]
	s_delay_alu instid0(VALU_DEP_1) | instskip(SKIP_1) | instid1(VALU_DEP_1)
	v_pk_fma_f32 v[8:9], v[6:7], v[0:1], v[4:5] op_sel:[0,0,1] op_sel_hi:[1,1,0] neg_lo:[0,0,1] neg_hi:[0,0,1]
	v_pk_fma_f32 v[4:5], v[6:7], v[0:1], v[4:5] op_sel:[0,0,1] op_sel_hi:[1,0,0]
	v_mov_b32_e32 v9, v5
	ds_load_2addr_b64 v[4:7], v96 offset0:19 offset1:20
	v_pk_add_f32 v[74:75], v[74:75], v[10:11] neg_lo:[0,1] neg_hi:[0,1]
	v_pk_add_f32 v[76:77], v[76:77], v[8:9] neg_lo:[0,1] neg_hi:[0,1]
	s_wait_dscnt 0x0
	v_pk_mul_f32 v[8:9], v[4:5], v[2:3] op_sel:[0,1]
	s_delay_alu instid0(VALU_DEP_1) | instskip(SKIP_1) | instid1(VALU_DEP_1)
	v_pk_fma_f32 v[10:11], v[4:5], v[0:1], v[8:9] op_sel:[0,0,1] op_sel_hi:[1,1,0] neg_lo:[0,0,1] neg_hi:[0,0,1]
	v_pk_fma_f32 v[4:5], v[4:5], v[0:1], v[8:9] op_sel:[0,0,1] op_sel_hi:[1,0,0]
	v_mov_b32_e32 v11, v5
	v_pk_mul_f32 v[4:5], v[6:7], v[2:3] op_sel:[0,1]
	s_delay_alu instid0(VALU_DEP_1) | instskip(SKIP_1) | instid1(VALU_DEP_1)
	v_pk_fma_f32 v[8:9], v[6:7], v[0:1], v[4:5] op_sel:[0,0,1] op_sel_hi:[1,1,0] neg_lo:[0,0,1] neg_hi:[0,0,1]
	v_pk_fma_f32 v[4:5], v[6:7], v[0:1], v[4:5] op_sel:[0,0,1] op_sel_hi:[1,0,0]
	v_mov_b32_e32 v9, v5
	ds_load_2addr_b64 v[4:7], v96 offset0:21 offset1:22
	v_pk_add_f32 v[72:73], v[72:73], v[10:11] neg_lo:[0,1] neg_hi:[0,1]
	v_pk_add_f32 v[94:95], v[94:95], v[8:9] neg_lo:[0,1] neg_hi:[0,1]
	s_wait_dscnt 0x0
	v_dual_mul_f32 v8, v5, v3 :: v_dual_mul_f32 v10, v5, v0
	s_delay_alu instid0(VALU_DEP_1) | instskip(NEXT) | instid1(VALU_DEP_2)
	v_pk_fma_f32 v[8:9], v[4:5], v[54:55], v[8:9] op_sel_hi:[1,1,0] neg_lo:[0,0,1] neg_hi:[0,0,1]
	v_pk_fma_f32 v[4:5], v[4:5], v[54:55], v[10:11] op_sel:[1,0,0] op_sel_hi:[0,1,0]
	s_delay_alu instid0(VALU_DEP_1) | instskip(SKIP_1) | instid1(VALU_DEP_2)
	v_mov_b32_e32 v9, v5
	v_pk_mul_f32 v[4:5], v[6:7], v[2:3] op_sel:[0,1]
	v_pk_add_f32 v[90:91], v[90:91], v[8:9] neg_lo:[0,1] neg_hi:[0,1]
	s_delay_alu instid0(VALU_DEP_2) | instskip(SKIP_1) | instid1(VALU_DEP_1)
	v_pk_fma_f32 v[8:9], v[6:7], v[0:1], v[4:5] op_sel:[0,0,1] op_sel_hi:[1,1,0] neg_lo:[0,0,1] neg_hi:[0,0,1]
	v_pk_fma_f32 v[4:5], v[6:7], v[0:1], v[4:5] op_sel:[0,0,1] op_sel_hi:[1,0,0]
	v_mov_b32_e32 v9, v5
	ds_load_2addr_b64 v[4:7], v96 offset0:23 offset1:24
	v_pk_add_f32 v[92:93], v[92:93], v[8:9] neg_lo:[0,1] neg_hi:[0,1]
	s_wait_dscnt 0x0
	v_pk_mul_f32 v[8:9], v[4:5], v[2:3] op_sel:[0,1]
	s_delay_alu instid0(VALU_DEP_1) | instskip(SKIP_1) | instid1(VALU_DEP_1)
	v_pk_fma_f32 v[10:11], v[4:5], v[0:1], v[8:9] op_sel:[0,0,1] op_sel_hi:[1,1,0] neg_lo:[0,0,1] neg_hi:[0,0,1]
	v_pk_fma_f32 v[4:5], v[4:5], v[0:1], v[8:9] op_sel:[0,0,1] op_sel_hi:[1,0,0]
	v_mov_b32_e32 v11, v5
	v_pk_mul_f32 v[4:5], v[6:7], v[2:3] op_sel:[0,1]
	s_delay_alu instid0(VALU_DEP_2) | instskip(NEXT) | instid1(VALU_DEP_2)
	v_pk_add_f32 v[88:89], v[88:89], v[10:11] neg_lo:[0,1] neg_hi:[0,1]
	v_pk_fma_f32 v[8:9], v[6:7], v[0:1], v[4:5] op_sel:[0,0,1] op_sel_hi:[1,1,0] neg_lo:[0,0,1] neg_hi:[0,0,1]
	v_pk_fma_f32 v[4:5], v[6:7], v[0:1], v[4:5] op_sel:[0,0,1] op_sel_hi:[1,0,0]
	s_delay_alu instid0(VALU_DEP_1) | instskip(SKIP_4) | instid1(VALU_DEP_1)
	v_mov_b32_e32 v9, v5
	ds_load_2addr_b64 v[4:7], v96 offset0:25 offset1:26
	v_pk_add_f32 v[112:113], v[112:113], v[8:9] neg_lo:[0,1] neg_hi:[0,1]
	s_wait_dscnt 0x0
	v_pk_mul_f32 v[8:9], v[4:5], v[2:3] op_sel:[0,1]
	v_pk_fma_f32 v[10:11], v[4:5], v[0:1], v[8:9] op_sel:[0,0,1] op_sel_hi:[1,1,0] neg_lo:[0,0,1] neg_hi:[0,0,1]
	v_pk_fma_f32 v[4:5], v[4:5], v[0:1], v[8:9] op_sel:[0,0,1] op_sel_hi:[1,0,0]
	v_dual_mul_f32 v8, v7, v3 :: v_dual_mov_b32 v4, v7
	s_delay_alu instid0(VALU_DEP_2) | instskip(NEXT) | instid1(VALU_DEP_2)
	v_dual_mov_b32 v11, v5 :: v_dual_mov_b32 v5, v6
	v_pk_fma_f32 v[8:9], v[6:7], v[54:55], v[8:9] op_sel_hi:[1,1,0] neg_lo:[0,0,1] neg_hi:[0,0,1]
	v_mul_f32_e32 v6, v7, v0
	s_delay_alu instid0(VALU_DEP_3) | instskip(NEXT) | instid1(VALU_DEP_2)
	v_pk_add_f32 v[108:109], v[108:109], v[10:11] neg_lo:[0,1] neg_hi:[0,1]
	v_pk_fma_f32 v[4:5], v[4:5], v[54:55], v[6:7] op_sel_hi:[1,1,0]
	s_delay_alu instid0(VALU_DEP_1) | instskip(SKIP_4) | instid1(VALU_DEP_1)
	v_mov_b32_e32 v9, v5
	ds_load_2addr_b64 v[4:7], v96 offset0:27 offset1:28
	v_pk_add_f32 v[110:111], v[110:111], v[8:9] neg_lo:[0,1] neg_hi:[0,1]
	s_wait_dscnt 0x0
	v_pk_mul_f32 v[8:9], v[4:5], v[2:3] op_sel:[0,1]
	v_pk_fma_f32 v[10:11], v[4:5], v[0:1], v[8:9] op_sel:[0,0,1] op_sel_hi:[1,1,0] neg_lo:[0,0,1] neg_hi:[0,0,1]
	v_pk_fma_f32 v[4:5], v[4:5], v[0:1], v[8:9] op_sel:[0,0,1] op_sel_hi:[1,0,0]
	s_delay_alu instid0(VALU_DEP_1) | instskip(SKIP_1) | instid1(VALU_DEP_1)
	v_mov_b32_e32 v11, v5
	v_pk_mul_f32 v[4:5], v[6:7], v[2:3] op_sel:[0,1]
	v_pk_fma_f32 v[8:9], v[6:7], v[0:1], v[4:5] op_sel:[0,0,1] op_sel_hi:[1,1,0] neg_lo:[0,0,1] neg_hi:[0,0,1]
	v_pk_fma_f32 v[4:5], v[6:7], v[0:1], v[4:5] op_sel:[0,0,1] op_sel_hi:[1,0,0]
	s_delay_alu instid0(VALU_DEP_1)
	v_mov_b32_e32 v9, v5
	ds_load_2addr_b64 v[4:7], v96 offset0:29 offset1:30
	v_pk_add_f32 v[106:107], v[106:107], v[10:11] neg_lo:[0,1] neg_hi:[0,1]
	v_pk_add_f32 v[128:129], v[128:129], v[8:9] neg_lo:[0,1] neg_hi:[0,1]
	s_wait_dscnt 0x0
	v_pk_mul_f32 v[8:9], v[4:5], v[2:3] op_sel:[0,1]
	s_delay_alu instid0(VALU_DEP_1) | instskip(SKIP_1) | instid1(VALU_DEP_1)
	v_pk_fma_f32 v[10:11], v[4:5], v[0:1], v[8:9] op_sel:[0,0,1] op_sel_hi:[1,1,0] neg_lo:[0,0,1] neg_hi:[0,0,1]
	v_pk_fma_f32 v[4:5], v[4:5], v[0:1], v[8:9] op_sel:[0,0,1] op_sel_hi:[1,0,0]
	v_mov_b32_e32 v11, v5
	v_pk_mul_f32 v[4:5], v[6:7], v[2:3] op_sel:[0,1]
	s_delay_alu instid0(VALU_DEP_1) | instskip(SKIP_1) | instid1(VALU_DEP_1)
	v_pk_fma_f32 v[8:9], v[6:7], v[0:1], v[4:5] op_sel:[0,0,1] op_sel_hi:[1,1,0] neg_lo:[0,0,1] neg_hi:[0,0,1]
	v_pk_fma_f32 v[4:5], v[6:7], v[0:1], v[4:5] op_sel:[0,0,1] op_sel_hi:[1,0,0]
	v_mov_b32_e32 v9, v5
	ds_load_2addr_b64 v[4:7], v96 offset0:31 offset1:32
	v_pk_add_f32 v[124:125], v[124:125], v[10:11] neg_lo:[0,1] neg_hi:[0,1]
	v_pk_add_f32 v[126:127], v[126:127], v[8:9] neg_lo:[0,1] neg_hi:[0,1]
	s_wait_dscnt 0x0
	v_dual_mul_f32 v8, v5, v3 :: v_dual_mul_f32 v10, v5, v0
	s_delay_alu instid0(VALU_DEP_1) | instskip(NEXT) | instid1(VALU_DEP_2)
	v_pk_fma_f32 v[8:9], v[4:5], v[54:55], v[8:9] op_sel_hi:[1,1,0] neg_lo:[0,0,1] neg_hi:[0,0,1]
	v_pk_fma_f32 v[4:5], v[4:5], v[54:55], v[10:11] op_sel:[1,0,0] op_sel_hi:[0,1,0]
	s_delay_alu instid0(VALU_DEP_1) | instskip(SKIP_1) | instid1(VALU_DEP_2)
	v_mov_b32_e32 v9, v5
	v_pk_mul_f32 v[4:5], v[6:7], v[2:3] op_sel:[0,1]
	v_pk_add_f32 v[122:123], v[122:123], v[8:9] neg_lo:[0,1] neg_hi:[0,1]
	s_delay_alu instid0(VALU_DEP_2) | instskip(SKIP_1) | instid1(VALU_DEP_1)
	v_pk_fma_f32 v[8:9], v[6:7], v[0:1], v[4:5] op_sel:[0,0,1] op_sel_hi:[1,1,0] neg_lo:[0,0,1] neg_hi:[0,0,1]
	v_pk_fma_f32 v[4:5], v[6:7], v[0:1], v[4:5] op_sel:[0,0,1] op_sel_hi:[1,0,0]
	v_mov_b32_e32 v9, v5
	ds_load_2addr_b64 v[4:7], v96 offset0:33 offset1:34
	v_pk_add_f32 v[144:145], v[144:145], v[8:9] neg_lo:[0,1] neg_hi:[0,1]
	s_wait_dscnt 0x0
	v_pk_mul_f32 v[8:9], v[4:5], v[2:3] op_sel:[0,1]
	s_delay_alu instid0(VALU_DEP_1) | instskip(SKIP_1) | instid1(VALU_DEP_1)
	v_pk_fma_f32 v[10:11], v[4:5], v[0:1], v[8:9] op_sel:[0,0,1] op_sel_hi:[1,1,0] neg_lo:[0,0,1] neg_hi:[0,0,1]
	v_pk_fma_f32 v[4:5], v[4:5], v[0:1], v[8:9] op_sel:[0,0,1] op_sel_hi:[1,0,0]
	v_mov_b32_e32 v11, v5
	v_pk_mul_f32 v[4:5], v[6:7], v[2:3] op_sel:[0,1]
	s_delay_alu instid0(VALU_DEP_2) | instskip(NEXT) | instid1(VALU_DEP_2)
	v_pk_add_f32 v[140:141], v[140:141], v[10:11] neg_lo:[0,1] neg_hi:[0,1]
	v_pk_fma_f32 v[8:9], v[6:7], v[0:1], v[4:5] op_sel:[0,0,1] op_sel_hi:[1,1,0] neg_lo:[0,0,1] neg_hi:[0,0,1]
	v_pk_fma_f32 v[4:5], v[6:7], v[0:1], v[4:5] op_sel:[0,0,1] op_sel_hi:[1,0,0]
	s_delay_alu instid0(VALU_DEP_1) | instskip(SKIP_4) | instid1(VALU_DEP_1)
	v_mov_b32_e32 v9, v5
	ds_load_2addr_b64 v[4:7], v96 offset0:35 offset1:36
	v_pk_add_f32 v[142:143], v[142:143], v[8:9] neg_lo:[0,1] neg_hi:[0,1]
	s_wait_dscnt 0x0
	v_pk_mul_f32 v[8:9], v[4:5], v[2:3] op_sel:[0,1]
	v_pk_fma_f32 v[10:11], v[4:5], v[0:1], v[8:9] op_sel:[0,0,1] op_sel_hi:[1,1,0] neg_lo:[0,0,1] neg_hi:[0,0,1]
	v_pk_fma_f32 v[4:5], v[4:5], v[0:1], v[8:9] op_sel:[0,0,1] op_sel_hi:[1,0,0]
	v_dual_mul_f32 v8, v7, v3 :: v_dual_mov_b32 v4, v7
	s_delay_alu instid0(VALU_DEP_2) | instskip(NEXT) | instid1(VALU_DEP_2)
	v_dual_mov_b32 v11, v5 :: v_dual_mov_b32 v5, v6
	v_pk_fma_f32 v[8:9], v[6:7], v[54:55], v[8:9] op_sel_hi:[1,1,0] neg_lo:[0,0,1] neg_hi:[0,0,1]
	v_mul_f32_e32 v6, v7, v0
	s_delay_alu instid0(VALU_DEP_3) | instskip(NEXT) | instid1(VALU_DEP_2)
	v_pk_add_f32 v[138:139], v[138:139], v[10:11] neg_lo:[0,1] neg_hi:[0,1]
	v_pk_fma_f32 v[4:5], v[4:5], v[54:55], v[6:7] op_sel_hi:[1,1,0]
	s_delay_alu instid0(VALU_DEP_1) | instskip(SKIP_4) | instid1(VALU_DEP_1)
	v_mov_b32_e32 v9, v5
	ds_load_2addr_b64 v[4:7], v96 offset0:37 offset1:38
	v_pk_add_f32 v[162:163], v[162:163], v[8:9] neg_lo:[0,1] neg_hi:[0,1]
	s_wait_dscnt 0x0
	v_pk_mul_f32 v[8:9], v[4:5], v[2:3] op_sel:[0,1]
	v_pk_fma_f32 v[10:11], v[4:5], v[0:1], v[8:9] op_sel:[0,0,1] op_sel_hi:[1,1,0] neg_lo:[0,0,1] neg_hi:[0,0,1]
	v_pk_fma_f32 v[4:5], v[4:5], v[0:1], v[8:9] op_sel:[0,0,1] op_sel_hi:[1,0,0]
	s_delay_alu instid0(VALU_DEP_1) | instskip(SKIP_1) | instid1(VALU_DEP_1)
	v_mov_b32_e32 v11, v5
	v_pk_mul_f32 v[4:5], v[6:7], v[2:3] op_sel:[0,1]
	v_pk_fma_f32 v[8:9], v[6:7], v[0:1], v[4:5] op_sel:[0,0,1] op_sel_hi:[1,1,0] neg_lo:[0,0,1] neg_hi:[0,0,1]
	v_pk_fma_f32 v[4:5], v[6:7], v[0:1], v[4:5] op_sel:[0,0,1] op_sel_hi:[1,0,0]
	s_delay_alu instid0(VALU_DEP_1)
	v_mov_b32_e32 v9, v5
	ds_load_2addr_b64 v[4:7], v96 offset0:39 offset1:40
	v_pk_add_f32 v[158:159], v[158:159], v[10:11] neg_lo:[0,1] neg_hi:[0,1]
	v_pk_add_f32 v[160:161], v[160:161], v[8:9] neg_lo:[0,1] neg_hi:[0,1]
	s_wait_dscnt 0x0
	v_pk_mul_f32 v[8:9], v[4:5], v[2:3] op_sel:[0,1]
	s_delay_alu instid0(VALU_DEP_1) | instskip(SKIP_1) | instid1(VALU_DEP_1)
	v_pk_fma_f32 v[10:11], v[4:5], v[0:1], v[8:9] op_sel:[0,0,1] op_sel_hi:[1,1,0] neg_lo:[0,0,1] neg_hi:[0,0,1]
	v_pk_fma_f32 v[4:5], v[4:5], v[0:1], v[8:9] op_sel:[0,0,1] op_sel_hi:[1,0,0]
	v_mov_b32_e32 v11, v5
	v_pk_mul_f32 v[4:5], v[6:7], v[2:3] op_sel:[0,1]
	s_delay_alu instid0(VALU_DEP_1) | instskip(SKIP_1) | instid1(VALU_DEP_1)
	v_pk_fma_f32 v[8:9], v[6:7], v[0:1], v[4:5] op_sel:[0,0,1] op_sel_hi:[1,1,0] neg_lo:[0,0,1] neg_hi:[0,0,1]
	v_pk_fma_f32 v[4:5], v[6:7], v[0:1], v[4:5] op_sel:[0,0,1] op_sel_hi:[1,0,0]
	v_mov_b32_e32 v9, v5
	ds_load_2addr_b64 v[4:7], v96 offset0:41 offset1:42
	v_pk_add_f32 v[156:157], v[156:157], v[10:11] neg_lo:[0,1] neg_hi:[0,1]
	v_pk_add_f32 v[180:181], v[180:181], v[8:9] neg_lo:[0,1] neg_hi:[0,1]
	s_wait_dscnt 0x0
	v_dual_mul_f32 v8, v5, v3 :: v_dual_mul_f32 v10, v5, v0
	s_delay_alu instid0(VALU_DEP_1) | instskip(NEXT) | instid1(VALU_DEP_2)
	v_pk_fma_f32 v[8:9], v[4:5], v[54:55], v[8:9] op_sel_hi:[1,1,0] neg_lo:[0,0,1] neg_hi:[0,0,1]
	v_pk_fma_f32 v[4:5], v[4:5], v[54:55], v[10:11] op_sel:[1,0,0] op_sel_hi:[0,1,0]
	s_delay_alu instid0(VALU_DEP_1) | instskip(SKIP_1) | instid1(VALU_DEP_2)
	v_mov_b32_e32 v9, v5
	v_pk_mul_f32 v[4:5], v[6:7], v[2:3] op_sel:[0,1]
	v_pk_add_f32 v[176:177], v[176:177], v[8:9] neg_lo:[0,1] neg_hi:[0,1]
	s_delay_alu instid0(VALU_DEP_2) | instskip(SKIP_1) | instid1(VALU_DEP_1)
	v_pk_fma_f32 v[8:9], v[6:7], v[0:1], v[4:5] op_sel:[0,0,1] op_sel_hi:[1,1,0] neg_lo:[0,0,1] neg_hi:[0,0,1]
	v_pk_fma_f32 v[4:5], v[6:7], v[0:1], v[4:5] op_sel:[0,0,1] op_sel_hi:[1,0,0]
	v_mov_b32_e32 v9, v5
	ds_load_2addr_b64 v[4:7], v96 offset0:43 offset1:44
	v_pk_add_f32 v[178:179], v[178:179], v[8:9] neg_lo:[0,1] neg_hi:[0,1]
	s_wait_dscnt 0x0
	v_pk_mul_f32 v[8:9], v[4:5], v[2:3] op_sel:[0,1]
	s_delay_alu instid0(VALU_DEP_1) | instskip(SKIP_1) | instid1(VALU_DEP_1)
	v_pk_fma_f32 v[10:11], v[4:5], v[0:1], v[8:9] op_sel:[0,0,1] op_sel_hi:[1,1,0] neg_lo:[0,0,1] neg_hi:[0,0,1]
	v_pk_fma_f32 v[4:5], v[4:5], v[0:1], v[8:9] op_sel:[0,0,1] op_sel_hi:[1,0,0]
	v_mov_b32_e32 v11, v5
	v_pk_mul_f32 v[4:5], v[6:7], v[2:3] op_sel:[0,1]
	s_delay_alu instid0(VALU_DEP_2) | instskip(NEXT) | instid1(VALU_DEP_2)
	v_pk_add_f32 v[174:175], v[174:175], v[10:11] neg_lo:[0,1] neg_hi:[0,1]
	v_pk_fma_f32 v[8:9], v[6:7], v[0:1], v[4:5] op_sel:[0,0,1] op_sel_hi:[1,1,0] neg_lo:[0,0,1] neg_hi:[0,0,1]
	v_pk_fma_f32 v[4:5], v[6:7], v[0:1], v[4:5] op_sel:[0,0,1] op_sel_hi:[1,0,0]
	s_delay_alu instid0(VALU_DEP_1) | instskip(SKIP_4) | instid1(VALU_DEP_1)
	v_mov_b32_e32 v9, v5
	ds_load_2addr_b64 v[4:7], v96 offset0:45 offset1:46
	v_pk_add_f32 v[196:197], v[196:197], v[8:9] neg_lo:[0,1] neg_hi:[0,1]
	s_wait_dscnt 0x0
	v_pk_mul_f32 v[8:9], v[4:5], v[2:3] op_sel:[0,1]
	v_pk_fma_f32 v[10:11], v[4:5], v[0:1], v[8:9] op_sel:[0,0,1] op_sel_hi:[1,1,0] neg_lo:[0,0,1] neg_hi:[0,0,1]
	v_pk_fma_f32 v[4:5], v[4:5], v[0:1], v[8:9] op_sel:[0,0,1] op_sel_hi:[1,0,0]
	v_dual_mul_f32 v8, v7, v3 :: v_dual_mov_b32 v4, v7
	s_delay_alu instid0(VALU_DEP_2) | instskip(NEXT) | instid1(VALU_DEP_2)
	v_dual_mov_b32 v11, v5 :: v_dual_mov_b32 v5, v6
	v_pk_fma_f32 v[8:9], v[6:7], v[54:55], v[8:9] op_sel_hi:[1,1,0] neg_lo:[0,0,1] neg_hi:[0,0,1]
	v_mul_f32_e32 v6, v7, v0
	s_delay_alu instid0(VALU_DEP_3) | instskip(NEXT) | instid1(VALU_DEP_2)
	v_pk_add_f32 v[192:193], v[192:193], v[10:11] neg_lo:[0,1] neg_hi:[0,1]
	v_pk_fma_f32 v[4:5], v[4:5], v[54:55], v[6:7] op_sel_hi:[1,1,0]
	s_delay_alu instid0(VALU_DEP_1) | instskip(SKIP_4) | instid1(VALU_DEP_1)
	v_mov_b32_e32 v9, v5
	ds_load_2addr_b64 v[4:7], v96 offset0:47 offset1:48
	v_pk_add_f32 v[194:195], v[194:195], v[8:9] neg_lo:[0,1] neg_hi:[0,1]
	s_wait_dscnt 0x0
	v_pk_mul_f32 v[8:9], v[4:5], v[2:3] op_sel:[0,1]
	v_pk_fma_f32 v[10:11], v[4:5], v[0:1], v[8:9] op_sel:[0,0,1] op_sel_hi:[1,1,0] neg_lo:[0,0,1] neg_hi:[0,0,1]
	v_pk_fma_f32 v[4:5], v[4:5], v[0:1], v[8:9] op_sel:[0,0,1] op_sel_hi:[1,0,0]
	s_delay_alu instid0(VALU_DEP_1) | instskip(SKIP_1) | instid1(VALU_DEP_1)
	v_mov_b32_e32 v11, v5
	v_pk_mul_f32 v[4:5], v[6:7], v[2:3] op_sel:[0,1]
	v_pk_fma_f32 v[8:9], v[6:7], v[0:1], v[4:5] op_sel:[0,0,1] op_sel_hi:[1,1,0] neg_lo:[0,0,1] neg_hi:[0,0,1]
	v_pk_fma_f32 v[4:5], v[6:7], v[0:1], v[4:5] op_sel:[0,0,1] op_sel_hi:[1,0,0]
	s_delay_alu instid0(VALU_DEP_1)
	v_mov_b32_e32 v9, v5
	ds_load_b64 v[4:5], v96 offset:392
	v_pk_add_f32 v[190:191], v[190:191], v[10:11] neg_lo:[0,1] neg_hi:[0,1]
	v_pk_add_f32 v[198:199], v[198:199], v[8:9] neg_lo:[0,1] neg_hi:[0,1]
	s_wait_dscnt 0x0
	v_pk_mul_f32 v[2:3], v[4:5], v[2:3] op_sel:[0,1]
	s_delay_alu instid0(VALU_DEP_1) | instskip(SKIP_1) | instid1(VALU_DEP_1)
	v_pk_fma_f32 v[6:7], v[4:5], v[0:1], v[2:3] op_sel:[0,0,1] op_sel_hi:[1,1,0] neg_lo:[0,0,1] neg_hi:[0,0,1]
	v_pk_fma_f32 v[0:1], v[4:5], v[0:1], v[2:3] op_sel:[0,0,1] op_sel_hi:[1,0,0]
	v_mov_b32_e32 v7, v1
	s_delay_alu instid0(VALU_DEP_1)
	v_pk_add_f32 v[200:201], v[200:201], v[6:7] neg_lo:[0,1] neg_hi:[0,1]
.LBB99_118:
	s_wait_xcnt 0x0
	s_or_b32 exec_lo, exec_lo, s1
	s_delay_alu instid0(SALU_CYCLE_1)
	s_mov_b32 s2, exec_lo
	s_wait_storecnt 0x0
	s_barrier_signal -1
	s_barrier_wait -1
	v_cmpx_eq_u32_e32 13, v86
	s_cbranch_execz .LBB99_125
; %bb.119:
	v_dual_mov_b32 v0, v52 :: v_dual_mov_b32 v1, v53
	v_dual_mov_b32 v2, v48 :: v_dual_mov_b32 v3, v49
	;; [unrolled: 1-line block ×10, first 2 shown]
	ds_store_b64 v87, v[50:51]
	v_dual_mov_b32 v28, v112 :: v_dual_mov_b32 v29, v113
	v_dual_mov_b32 v30, v108 :: v_dual_mov_b32 v31, v109
	ds_store_2addr_b64 v96, v[0:1], v[2:3] offset0:14 offset1:15
	ds_store_2addr_b64 v96, v[4:5], v[6:7] offset0:16 offset1:17
	ds_store_2addr_b64 v96, v[8:9], v[10:11] offset0:18 offset1:19
	ds_store_2addr_b64 v96, v[12:13], v[14:15] offset0:20 offset1:21
	ds_store_2addr_b64 v96, v[18:19], v[26:27] offset0:22 offset1:23
	ds_store_2addr_b64 v96, v[28:29], v[30:31] offset0:24 offset1:25
	v_dual_mov_b32 v0, v110 :: v_dual_mov_b32 v1, v111
	v_dual_mov_b32 v2, v106 :: v_dual_mov_b32 v3, v107
	;; [unrolled: 1-line block ×12, first 2 shown]
	ds_store_2addr_b64 v96, v[0:1], v[2:3] offset0:26 offset1:27
	ds_store_2addr_b64 v96, v[4:5], v[6:7] offset0:28 offset1:29
	;; [unrolled: 1-line block ×6, first 2 shown]
	v_dual_mov_b32 v0, v160 :: v_dual_mov_b32 v1, v161
	v_dual_mov_b32 v2, v156 :: v_dual_mov_b32 v3, v157
	;; [unrolled: 1-line block ×11, first 2 shown]
	ds_store_2addr_b64 v96, v[0:1], v[2:3] offset0:38 offset1:39
	ds_store_2addr_b64 v96, v[4:5], v[6:7] offset0:40 offset1:41
	;; [unrolled: 1-line block ×6, first 2 shown]
	ds_load_b64 v[0:1], v87
	s_wait_dscnt 0x0
	v_cmp_neq_f32_e32 vcc_lo, 0, v0
	v_cmp_neq_f32_e64 s1, 0, v1
	s_or_b32 s1, vcc_lo, s1
	s_delay_alu instid0(SALU_CYCLE_1)
	s_and_b32 exec_lo, exec_lo, s1
	s_cbranch_execz .LBB99_125
; %bb.120:
	v_cmp_ngt_f32_e64 s1, |v0|, |v1|
                                        ; implicit-def: $vgpr2_vgpr3
	s_and_saveexec_b32 s4, s1
	s_delay_alu instid0(SALU_CYCLE_1)
	s_xor_b32 s1, exec_lo, s4
	s_cbranch_execz .LBB99_122
; %bb.121:
	v_div_scale_f32 v2, null, v1, v1, v0
	v_div_scale_f32 v5, vcc_lo, v0, v1, v0
	s_delay_alu instid0(VALU_DEP_2) | instskip(SKIP_1) | instid1(TRANS32_DEP_1)
	v_rcp_f32_e32 v3, v2
	v_nop
	v_fma_f32 v4, -v2, v3, 1.0
	s_delay_alu instid0(VALU_DEP_1) | instskip(NEXT) | instid1(VALU_DEP_1)
	v_fmac_f32_e32 v3, v4, v3
	v_mul_f32_e32 v4, v5, v3
	s_delay_alu instid0(VALU_DEP_1) | instskip(NEXT) | instid1(VALU_DEP_1)
	v_fma_f32 v6, -v2, v4, v5
	v_fmac_f32_e32 v4, v6, v3
	s_delay_alu instid0(VALU_DEP_1) | instskip(NEXT) | instid1(VALU_DEP_1)
	v_fma_f32 v2, -v2, v4, v5
	v_div_fmas_f32 v2, v2, v3, v4
	s_delay_alu instid0(VALU_DEP_1) | instskip(NEXT) | instid1(VALU_DEP_1)
	v_div_fixup_f32 v2, v2, v1, v0
	v_fmac_f32_e32 v1, v0, v2
	s_delay_alu instid0(VALU_DEP_1) | instskip(SKIP_1) | instid1(VALU_DEP_2)
	v_div_scale_f32 v0, null, v1, v1, 1.0
	v_div_scale_f32 v5, vcc_lo, 1.0, v1, 1.0
	v_rcp_f32_e32 v3, v0
	v_nop
	s_delay_alu instid0(TRANS32_DEP_1) | instskip(NEXT) | instid1(VALU_DEP_1)
	v_fma_f32 v4, -v0, v3, 1.0
	v_fmac_f32_e32 v3, v4, v3
	s_delay_alu instid0(VALU_DEP_1) | instskip(NEXT) | instid1(VALU_DEP_1)
	v_mul_f32_e32 v4, v5, v3
	v_fma_f32 v6, -v0, v4, v5
	s_delay_alu instid0(VALU_DEP_1) | instskip(NEXT) | instid1(VALU_DEP_1)
	v_fmac_f32_e32 v4, v6, v3
	v_fma_f32 v0, -v0, v4, v5
	s_delay_alu instid0(VALU_DEP_1) | instskip(NEXT) | instid1(VALU_DEP_1)
	v_div_fmas_f32 v0, v0, v3, v4
	v_div_fixup_f32 v0, v0, v1, 1.0
	s_delay_alu instid0(VALU_DEP_1)
	v_mul_f32_e32 v2, v2, v0
	v_xor_b32_e32 v3, 0x80000000, v0
                                        ; implicit-def: $vgpr0_vgpr1
.LBB99_122:
	s_and_not1_saveexec_b32 s1, s1
	s_cbranch_execz .LBB99_124
; %bb.123:
	v_div_scale_f32 v2, null, v0, v0, v1
	v_div_scale_f32 v5, vcc_lo, v1, v0, v1
	s_delay_alu instid0(VALU_DEP_2) | instskip(SKIP_1) | instid1(TRANS32_DEP_1)
	v_rcp_f32_e32 v3, v2
	v_nop
	v_fma_f32 v4, -v2, v3, 1.0
	s_delay_alu instid0(VALU_DEP_1) | instskip(NEXT) | instid1(VALU_DEP_1)
	v_fmac_f32_e32 v3, v4, v3
	v_mul_f32_e32 v4, v5, v3
	s_delay_alu instid0(VALU_DEP_1) | instskip(NEXT) | instid1(VALU_DEP_1)
	v_fma_f32 v6, -v2, v4, v5
	v_fmac_f32_e32 v4, v6, v3
	s_delay_alu instid0(VALU_DEP_1) | instskip(NEXT) | instid1(VALU_DEP_1)
	v_fma_f32 v2, -v2, v4, v5
	v_div_fmas_f32 v2, v2, v3, v4
	s_delay_alu instid0(VALU_DEP_1) | instskip(NEXT) | instid1(VALU_DEP_1)
	v_div_fixup_f32 v3, v2, v0, v1
	v_fmac_f32_e32 v0, v1, v3
	s_delay_alu instid0(VALU_DEP_1) | instskip(NEXT) | instid1(VALU_DEP_1)
	v_div_scale_f32 v1, null, v0, v0, 1.0
	v_rcp_f32_e32 v2, v1
	v_nop
	s_delay_alu instid0(TRANS32_DEP_1) | instskip(NEXT) | instid1(VALU_DEP_1)
	v_fma_f32 v4, -v1, v2, 1.0
	v_fmac_f32_e32 v2, v4, v2
	v_div_scale_f32 v4, vcc_lo, 1.0, v0, 1.0
	s_delay_alu instid0(VALU_DEP_1) | instskip(NEXT) | instid1(VALU_DEP_1)
	v_mul_f32_e32 v5, v4, v2
	v_fma_f32 v6, -v1, v5, v4
	s_delay_alu instid0(VALU_DEP_1) | instskip(NEXT) | instid1(VALU_DEP_1)
	v_fmac_f32_e32 v5, v6, v2
	v_fma_f32 v1, -v1, v5, v4
	s_delay_alu instid0(VALU_DEP_1) | instskip(NEXT) | instid1(VALU_DEP_1)
	v_div_fmas_f32 v1, v1, v2, v5
	v_div_fixup_f32 v2, v1, v0, 1.0
	s_delay_alu instid0(VALU_DEP_1)
	v_mul_f32_e64 v3, v3, -v2
.LBB99_124:
	s_or_b32 exec_lo, exec_lo, s1
	ds_store_b64 v87, v[2:3]
.LBB99_125:
	s_or_b32 exec_lo, exec_lo, s2
	s_wait_dscnt 0x0
	s_barrier_signal -1
	s_barrier_wait -1
	ds_load_b64 v[0:1], v87
	s_mov_b32 s1, exec_lo
	s_wait_dscnt 0x0
	scratch_store_b64 off, v[0:1], off offset:112 ; 8-byte Folded Spill
	s_wait_xcnt 0x0
	v_cmpx_lt_u32_e32 13, v86
	s_cbranch_execz .LBB99_127
; %bb.126:
	scratch_load_b64 v[4:5], off, off offset:112 ; 8-byte Folded Reload
	s_wait_loadcnt 0x0
	v_pk_mul_f32 v[2:3], v[4:5], v[50:51] op_sel:[1,1] op_sel_hi:[0,1]
	s_delay_alu instid0(VALU_DEP_1)
	v_pk_fma_f32 v[0:1], v[4:5], v[50:51], v[2:3] op_sel_hi:[1,0,1] neg_lo:[0,0,1] neg_hi:[0,0,1]
	v_pk_fma_f32 v[2:3], v[4:5], v[50:51], v[2:3] op_sel_hi:[1,0,1]
	ds_load_2addr_b64 v[4:7], v96 offset0:14 offset1:15
	v_dual_mov_b32 v50, v0 :: v_dual_mov_b32 v51, v3
	s_wait_dscnt 0x0
	v_pk_mul_f32 v[8:9], v[4:5], v[2:3] op_sel:[0,1]
	s_delay_alu instid0(VALU_DEP_1) | instskip(SKIP_1) | instid1(VALU_DEP_1)
	v_pk_fma_f32 v[10:11], v[4:5], v[0:1], v[8:9] op_sel:[0,0,1] op_sel_hi:[1,1,0] neg_lo:[0,0,1] neg_hi:[0,0,1]
	v_pk_fma_f32 v[4:5], v[4:5], v[0:1], v[8:9] op_sel:[0,0,1] op_sel_hi:[1,0,0]
	v_mov_b32_e32 v11, v5
	v_pk_mul_f32 v[4:5], v[6:7], v[2:3] op_sel:[0,1]
	s_delay_alu instid0(VALU_DEP_1) | instskip(SKIP_1) | instid1(VALU_DEP_1)
	v_pk_fma_f32 v[8:9], v[6:7], v[0:1], v[4:5] op_sel:[0,0,1] op_sel_hi:[1,1,0] neg_lo:[0,0,1] neg_hi:[0,0,1]
	v_pk_fma_f32 v[4:5], v[6:7], v[0:1], v[4:5] op_sel:[0,0,1] op_sel_hi:[1,0,0]
	v_mov_b32_e32 v9, v5
	ds_load_2addr_b64 v[4:7], v96 offset0:16 offset1:17
	v_pk_add_f32 v[52:53], v[52:53], v[10:11] neg_lo:[0,1] neg_hi:[0,1]
	v_pk_add_f32 v[48:49], v[48:49], v[8:9] neg_lo:[0,1] neg_hi:[0,1]
	s_wait_dscnt 0x0
	v_pk_mul_f32 v[8:9], v[4:5], v[2:3] op_sel:[0,1]
	s_delay_alu instid0(VALU_DEP_1) | instskip(SKIP_2) | instid1(VALU_DEP_2)
	v_pk_fma_f32 v[10:11], v[4:5], v[0:1], v[8:9] op_sel:[0,0,1] op_sel_hi:[1,1,0] neg_lo:[0,0,1] neg_hi:[0,0,1]
	v_pk_fma_f32 v[4:5], v[4:5], v[0:1], v[8:9] op_sel:[0,0,1] op_sel_hi:[1,0,0]
	v_dual_mul_f32 v8, v7, v3 :: v_dual_mov_b32 v4, v7
	v_dual_mov_b32 v11, v5 :: v_dual_mov_b32 v5, v6
	s_delay_alu instid0(VALU_DEP_2) | instskip(SKIP_1) | instid1(VALU_DEP_3)
	v_pk_fma_f32 v[8:9], v[6:7], v[50:51], v[8:9] op_sel_hi:[1,1,0] neg_lo:[0,0,1] neg_hi:[0,0,1]
	v_mul_f32_e32 v6, v7, v0
	v_pk_add_f32 v[78:79], v[78:79], v[10:11] neg_lo:[0,1] neg_hi:[0,1]
	s_delay_alu instid0(VALU_DEP_2) | instskip(NEXT) | instid1(VALU_DEP_1)
	v_pk_fma_f32 v[4:5], v[4:5], v[50:51], v[6:7] op_sel_hi:[1,1,0]
	v_mov_b32_e32 v9, v5
	ds_load_2addr_b64 v[4:7], v96 offset0:18 offset1:19
	v_pk_add_f32 v[74:75], v[74:75], v[8:9] neg_lo:[0,1] neg_hi:[0,1]
	s_wait_dscnt 0x0
	v_pk_mul_f32 v[8:9], v[4:5], v[2:3] op_sel:[0,1]
	s_delay_alu instid0(VALU_DEP_1) | instskip(SKIP_1) | instid1(VALU_DEP_1)
	v_pk_fma_f32 v[10:11], v[4:5], v[0:1], v[8:9] op_sel:[0,0,1] op_sel_hi:[1,1,0] neg_lo:[0,0,1] neg_hi:[0,0,1]
	v_pk_fma_f32 v[4:5], v[4:5], v[0:1], v[8:9] op_sel:[0,0,1] op_sel_hi:[1,0,0]
	v_mov_b32_e32 v11, v5
	v_pk_mul_f32 v[4:5], v[6:7], v[2:3] op_sel:[0,1]
	s_delay_alu instid0(VALU_DEP_1) | instskip(SKIP_1) | instid1(VALU_DEP_1)
	v_pk_fma_f32 v[8:9], v[6:7], v[0:1], v[4:5] op_sel:[0,0,1] op_sel_hi:[1,1,0] neg_lo:[0,0,1] neg_hi:[0,0,1]
	v_pk_fma_f32 v[4:5], v[6:7], v[0:1], v[4:5] op_sel:[0,0,1] op_sel_hi:[1,0,0]
	v_mov_b32_e32 v9, v5
	ds_load_2addr_b64 v[4:7], v96 offset0:20 offset1:21
	v_pk_add_f32 v[76:77], v[76:77], v[10:11] neg_lo:[0,1] neg_hi:[0,1]
	v_pk_add_f32 v[72:73], v[72:73], v[8:9] neg_lo:[0,1] neg_hi:[0,1]
	s_wait_dscnt 0x0
	v_pk_mul_f32 v[8:9], v[4:5], v[2:3] op_sel:[0,1]
	s_delay_alu instid0(VALU_DEP_1) | instskip(SKIP_1) | instid1(VALU_DEP_1)
	v_pk_fma_f32 v[10:11], v[4:5], v[0:1], v[8:9] op_sel:[0,0,1] op_sel_hi:[1,1,0] neg_lo:[0,0,1] neg_hi:[0,0,1]
	v_pk_fma_f32 v[4:5], v[4:5], v[0:1], v[8:9] op_sel:[0,0,1] op_sel_hi:[1,0,0]
	v_mov_b32_e32 v11, v5
	v_pk_mul_f32 v[4:5], v[6:7], v[2:3] op_sel:[0,1]
	s_delay_alu instid0(VALU_DEP_1) | instskip(SKIP_1) | instid1(VALU_DEP_1)
	v_pk_fma_f32 v[8:9], v[6:7], v[0:1], v[4:5] op_sel:[0,0,1] op_sel_hi:[1,1,0] neg_lo:[0,0,1] neg_hi:[0,0,1]
	v_pk_fma_f32 v[4:5], v[6:7], v[0:1], v[4:5] op_sel:[0,0,1] op_sel_hi:[1,0,0]
	v_mov_b32_e32 v9, v5
	ds_load_2addr_b64 v[4:7], v96 offset0:22 offset1:23
	v_pk_add_f32 v[94:95], v[94:95], v[10:11] neg_lo:[0,1] neg_hi:[0,1]
	v_pk_add_f32 v[90:91], v[90:91], v[8:9] neg_lo:[0,1] neg_hi:[0,1]
	s_wait_dscnt 0x0
	v_dual_mul_f32 v8, v5, v3 :: v_dual_mul_f32 v10, v5, v0
	s_delay_alu instid0(VALU_DEP_1) | instskip(NEXT) | instid1(VALU_DEP_2)
	v_pk_fma_f32 v[8:9], v[4:5], v[50:51], v[8:9] op_sel_hi:[1,1,0] neg_lo:[0,0,1] neg_hi:[0,0,1]
	v_pk_fma_f32 v[4:5], v[4:5], v[50:51], v[10:11] op_sel:[1,0,0] op_sel_hi:[0,1,0]
	s_delay_alu instid0(VALU_DEP_1) | instskip(SKIP_1) | instid1(VALU_DEP_2)
	v_mov_b32_e32 v9, v5
	v_pk_mul_f32 v[4:5], v[6:7], v[2:3] op_sel:[0,1]
	v_pk_add_f32 v[92:93], v[92:93], v[8:9] neg_lo:[0,1] neg_hi:[0,1]
	s_delay_alu instid0(VALU_DEP_2) | instskip(SKIP_1) | instid1(VALU_DEP_1)
	v_pk_fma_f32 v[8:9], v[6:7], v[0:1], v[4:5] op_sel:[0,0,1] op_sel_hi:[1,1,0] neg_lo:[0,0,1] neg_hi:[0,0,1]
	v_pk_fma_f32 v[4:5], v[6:7], v[0:1], v[4:5] op_sel:[0,0,1] op_sel_hi:[1,0,0]
	v_mov_b32_e32 v9, v5
	ds_load_2addr_b64 v[4:7], v96 offset0:24 offset1:25
	v_pk_add_f32 v[88:89], v[88:89], v[8:9] neg_lo:[0,1] neg_hi:[0,1]
	s_wait_dscnt 0x0
	v_pk_mul_f32 v[8:9], v[4:5], v[2:3] op_sel:[0,1]
	s_delay_alu instid0(VALU_DEP_1) | instskip(SKIP_1) | instid1(VALU_DEP_1)
	v_pk_fma_f32 v[10:11], v[4:5], v[0:1], v[8:9] op_sel:[0,0,1] op_sel_hi:[1,1,0] neg_lo:[0,0,1] neg_hi:[0,0,1]
	v_pk_fma_f32 v[4:5], v[4:5], v[0:1], v[8:9] op_sel:[0,0,1] op_sel_hi:[1,0,0]
	v_mov_b32_e32 v11, v5
	v_pk_mul_f32 v[4:5], v[6:7], v[2:3] op_sel:[0,1]
	s_delay_alu instid0(VALU_DEP_2) | instskip(NEXT) | instid1(VALU_DEP_2)
	v_pk_add_f32 v[112:113], v[112:113], v[10:11] neg_lo:[0,1] neg_hi:[0,1]
	v_pk_fma_f32 v[8:9], v[6:7], v[0:1], v[4:5] op_sel:[0,0,1] op_sel_hi:[1,1,0] neg_lo:[0,0,1] neg_hi:[0,0,1]
	v_pk_fma_f32 v[4:5], v[6:7], v[0:1], v[4:5] op_sel:[0,0,1] op_sel_hi:[1,0,0]
	s_delay_alu instid0(VALU_DEP_1) | instskip(SKIP_4) | instid1(VALU_DEP_1)
	v_mov_b32_e32 v9, v5
	ds_load_2addr_b64 v[4:7], v96 offset0:26 offset1:27
	v_pk_add_f32 v[108:109], v[108:109], v[8:9] neg_lo:[0,1] neg_hi:[0,1]
	s_wait_dscnt 0x0
	v_pk_mul_f32 v[8:9], v[4:5], v[2:3] op_sel:[0,1]
	v_pk_fma_f32 v[10:11], v[4:5], v[0:1], v[8:9] op_sel:[0,0,1] op_sel_hi:[1,1,0] neg_lo:[0,0,1] neg_hi:[0,0,1]
	v_pk_fma_f32 v[4:5], v[4:5], v[0:1], v[8:9] op_sel:[0,0,1] op_sel_hi:[1,0,0]
	v_dual_mul_f32 v8, v7, v3 :: v_dual_mov_b32 v4, v7
	s_delay_alu instid0(VALU_DEP_2) | instskip(NEXT) | instid1(VALU_DEP_2)
	v_dual_mov_b32 v11, v5 :: v_dual_mov_b32 v5, v6
	v_pk_fma_f32 v[8:9], v[6:7], v[50:51], v[8:9] op_sel_hi:[1,1,0] neg_lo:[0,0,1] neg_hi:[0,0,1]
	v_mul_f32_e32 v6, v7, v0
	s_delay_alu instid0(VALU_DEP_3) | instskip(NEXT) | instid1(VALU_DEP_2)
	v_pk_add_f32 v[110:111], v[110:111], v[10:11] neg_lo:[0,1] neg_hi:[0,1]
	v_pk_fma_f32 v[4:5], v[4:5], v[50:51], v[6:7] op_sel_hi:[1,1,0]
	s_delay_alu instid0(VALU_DEP_1) | instskip(SKIP_4) | instid1(VALU_DEP_1)
	v_mov_b32_e32 v9, v5
	ds_load_2addr_b64 v[4:7], v96 offset0:28 offset1:29
	v_pk_add_f32 v[106:107], v[106:107], v[8:9] neg_lo:[0,1] neg_hi:[0,1]
	s_wait_dscnt 0x0
	v_pk_mul_f32 v[8:9], v[4:5], v[2:3] op_sel:[0,1]
	v_pk_fma_f32 v[10:11], v[4:5], v[0:1], v[8:9] op_sel:[0,0,1] op_sel_hi:[1,1,0] neg_lo:[0,0,1] neg_hi:[0,0,1]
	v_pk_fma_f32 v[4:5], v[4:5], v[0:1], v[8:9] op_sel:[0,0,1] op_sel_hi:[1,0,0]
	s_delay_alu instid0(VALU_DEP_1) | instskip(SKIP_1) | instid1(VALU_DEP_1)
	v_mov_b32_e32 v11, v5
	v_pk_mul_f32 v[4:5], v[6:7], v[2:3] op_sel:[0,1]
	v_pk_fma_f32 v[8:9], v[6:7], v[0:1], v[4:5] op_sel:[0,0,1] op_sel_hi:[1,1,0] neg_lo:[0,0,1] neg_hi:[0,0,1]
	v_pk_fma_f32 v[4:5], v[6:7], v[0:1], v[4:5] op_sel:[0,0,1] op_sel_hi:[1,0,0]
	s_delay_alu instid0(VALU_DEP_1)
	v_mov_b32_e32 v9, v5
	ds_load_2addr_b64 v[4:7], v96 offset0:30 offset1:31
	v_pk_add_f32 v[128:129], v[128:129], v[10:11] neg_lo:[0,1] neg_hi:[0,1]
	v_pk_add_f32 v[124:125], v[124:125], v[8:9] neg_lo:[0,1] neg_hi:[0,1]
	s_wait_dscnt 0x0
	v_pk_mul_f32 v[8:9], v[4:5], v[2:3] op_sel:[0,1]
	s_delay_alu instid0(VALU_DEP_1) | instskip(SKIP_1) | instid1(VALU_DEP_1)
	v_pk_fma_f32 v[10:11], v[4:5], v[0:1], v[8:9] op_sel:[0,0,1] op_sel_hi:[1,1,0] neg_lo:[0,0,1] neg_hi:[0,0,1]
	v_pk_fma_f32 v[4:5], v[4:5], v[0:1], v[8:9] op_sel:[0,0,1] op_sel_hi:[1,0,0]
	v_mov_b32_e32 v11, v5
	v_pk_mul_f32 v[4:5], v[6:7], v[2:3] op_sel:[0,1]
	s_delay_alu instid0(VALU_DEP_1) | instskip(SKIP_1) | instid1(VALU_DEP_1)
	v_pk_fma_f32 v[8:9], v[6:7], v[0:1], v[4:5] op_sel:[0,0,1] op_sel_hi:[1,1,0] neg_lo:[0,0,1] neg_hi:[0,0,1]
	v_pk_fma_f32 v[4:5], v[6:7], v[0:1], v[4:5] op_sel:[0,0,1] op_sel_hi:[1,0,0]
	v_mov_b32_e32 v9, v5
	ds_load_2addr_b64 v[4:7], v96 offset0:32 offset1:33
	v_pk_add_f32 v[126:127], v[126:127], v[10:11] neg_lo:[0,1] neg_hi:[0,1]
	v_pk_add_f32 v[122:123], v[122:123], v[8:9] neg_lo:[0,1] neg_hi:[0,1]
	s_wait_dscnt 0x0
	v_dual_mul_f32 v8, v5, v3 :: v_dual_mul_f32 v10, v5, v0
	s_delay_alu instid0(VALU_DEP_1) | instskip(NEXT) | instid1(VALU_DEP_2)
	v_pk_fma_f32 v[8:9], v[4:5], v[50:51], v[8:9] op_sel_hi:[1,1,0] neg_lo:[0,0,1] neg_hi:[0,0,1]
	v_pk_fma_f32 v[4:5], v[4:5], v[50:51], v[10:11] op_sel:[1,0,0] op_sel_hi:[0,1,0]
	s_delay_alu instid0(VALU_DEP_1) | instskip(SKIP_1) | instid1(VALU_DEP_2)
	v_mov_b32_e32 v9, v5
	v_pk_mul_f32 v[4:5], v[6:7], v[2:3] op_sel:[0,1]
	v_pk_add_f32 v[144:145], v[144:145], v[8:9] neg_lo:[0,1] neg_hi:[0,1]
	s_delay_alu instid0(VALU_DEP_2) | instskip(SKIP_1) | instid1(VALU_DEP_1)
	v_pk_fma_f32 v[8:9], v[6:7], v[0:1], v[4:5] op_sel:[0,0,1] op_sel_hi:[1,1,0] neg_lo:[0,0,1] neg_hi:[0,0,1]
	v_pk_fma_f32 v[4:5], v[6:7], v[0:1], v[4:5] op_sel:[0,0,1] op_sel_hi:[1,0,0]
	v_mov_b32_e32 v9, v5
	ds_load_2addr_b64 v[4:7], v96 offset0:34 offset1:35
	v_pk_add_f32 v[140:141], v[140:141], v[8:9] neg_lo:[0,1] neg_hi:[0,1]
	s_wait_dscnt 0x0
	v_pk_mul_f32 v[8:9], v[4:5], v[2:3] op_sel:[0,1]
	s_delay_alu instid0(VALU_DEP_1) | instskip(SKIP_1) | instid1(VALU_DEP_1)
	v_pk_fma_f32 v[10:11], v[4:5], v[0:1], v[8:9] op_sel:[0,0,1] op_sel_hi:[1,1,0] neg_lo:[0,0,1] neg_hi:[0,0,1]
	v_pk_fma_f32 v[4:5], v[4:5], v[0:1], v[8:9] op_sel:[0,0,1] op_sel_hi:[1,0,0]
	v_mov_b32_e32 v11, v5
	v_pk_mul_f32 v[4:5], v[6:7], v[2:3] op_sel:[0,1]
	s_delay_alu instid0(VALU_DEP_2) | instskip(NEXT) | instid1(VALU_DEP_2)
	v_pk_add_f32 v[142:143], v[142:143], v[10:11] neg_lo:[0,1] neg_hi:[0,1]
	v_pk_fma_f32 v[8:9], v[6:7], v[0:1], v[4:5] op_sel:[0,0,1] op_sel_hi:[1,1,0] neg_lo:[0,0,1] neg_hi:[0,0,1]
	v_pk_fma_f32 v[4:5], v[6:7], v[0:1], v[4:5] op_sel:[0,0,1] op_sel_hi:[1,0,0]
	s_delay_alu instid0(VALU_DEP_1) | instskip(SKIP_4) | instid1(VALU_DEP_1)
	v_mov_b32_e32 v9, v5
	ds_load_2addr_b64 v[4:7], v96 offset0:36 offset1:37
	v_pk_add_f32 v[138:139], v[138:139], v[8:9] neg_lo:[0,1] neg_hi:[0,1]
	s_wait_dscnt 0x0
	v_pk_mul_f32 v[8:9], v[4:5], v[2:3] op_sel:[0,1]
	v_pk_fma_f32 v[10:11], v[4:5], v[0:1], v[8:9] op_sel:[0,0,1] op_sel_hi:[1,1,0] neg_lo:[0,0,1] neg_hi:[0,0,1]
	v_pk_fma_f32 v[4:5], v[4:5], v[0:1], v[8:9] op_sel:[0,0,1] op_sel_hi:[1,0,0]
	v_dual_mul_f32 v8, v7, v3 :: v_dual_mov_b32 v4, v7
	s_delay_alu instid0(VALU_DEP_2) | instskip(NEXT) | instid1(VALU_DEP_2)
	v_dual_mov_b32 v11, v5 :: v_dual_mov_b32 v5, v6
	v_pk_fma_f32 v[8:9], v[6:7], v[50:51], v[8:9] op_sel_hi:[1,1,0] neg_lo:[0,0,1] neg_hi:[0,0,1]
	v_mul_f32_e32 v6, v7, v0
	s_delay_alu instid0(VALU_DEP_3) | instskip(NEXT) | instid1(VALU_DEP_2)
	v_pk_add_f32 v[162:163], v[162:163], v[10:11] neg_lo:[0,1] neg_hi:[0,1]
	v_pk_fma_f32 v[4:5], v[4:5], v[50:51], v[6:7] op_sel_hi:[1,1,0]
	s_delay_alu instid0(VALU_DEP_1) | instskip(SKIP_4) | instid1(VALU_DEP_1)
	v_mov_b32_e32 v9, v5
	ds_load_2addr_b64 v[4:7], v96 offset0:38 offset1:39
	v_pk_add_f32 v[158:159], v[158:159], v[8:9] neg_lo:[0,1] neg_hi:[0,1]
	s_wait_dscnt 0x0
	v_pk_mul_f32 v[8:9], v[4:5], v[2:3] op_sel:[0,1]
	v_pk_fma_f32 v[10:11], v[4:5], v[0:1], v[8:9] op_sel:[0,0,1] op_sel_hi:[1,1,0] neg_lo:[0,0,1] neg_hi:[0,0,1]
	v_pk_fma_f32 v[4:5], v[4:5], v[0:1], v[8:9] op_sel:[0,0,1] op_sel_hi:[1,0,0]
	s_delay_alu instid0(VALU_DEP_1) | instskip(SKIP_1) | instid1(VALU_DEP_1)
	v_mov_b32_e32 v11, v5
	v_pk_mul_f32 v[4:5], v[6:7], v[2:3] op_sel:[0,1]
	v_pk_fma_f32 v[8:9], v[6:7], v[0:1], v[4:5] op_sel:[0,0,1] op_sel_hi:[1,1,0] neg_lo:[0,0,1] neg_hi:[0,0,1]
	v_pk_fma_f32 v[4:5], v[6:7], v[0:1], v[4:5] op_sel:[0,0,1] op_sel_hi:[1,0,0]
	s_delay_alu instid0(VALU_DEP_1)
	v_mov_b32_e32 v9, v5
	ds_load_2addr_b64 v[4:7], v96 offset0:40 offset1:41
	v_pk_add_f32 v[160:161], v[160:161], v[10:11] neg_lo:[0,1] neg_hi:[0,1]
	v_pk_add_f32 v[156:157], v[156:157], v[8:9] neg_lo:[0,1] neg_hi:[0,1]
	s_wait_dscnt 0x0
	v_pk_mul_f32 v[8:9], v[4:5], v[2:3] op_sel:[0,1]
	s_delay_alu instid0(VALU_DEP_1) | instskip(SKIP_1) | instid1(VALU_DEP_1)
	v_pk_fma_f32 v[10:11], v[4:5], v[0:1], v[8:9] op_sel:[0,0,1] op_sel_hi:[1,1,0] neg_lo:[0,0,1] neg_hi:[0,0,1]
	v_pk_fma_f32 v[4:5], v[4:5], v[0:1], v[8:9] op_sel:[0,0,1] op_sel_hi:[1,0,0]
	v_mov_b32_e32 v11, v5
	v_pk_mul_f32 v[4:5], v[6:7], v[2:3] op_sel:[0,1]
	s_delay_alu instid0(VALU_DEP_1) | instskip(SKIP_1) | instid1(VALU_DEP_1)
	v_pk_fma_f32 v[8:9], v[6:7], v[0:1], v[4:5] op_sel:[0,0,1] op_sel_hi:[1,1,0] neg_lo:[0,0,1] neg_hi:[0,0,1]
	v_pk_fma_f32 v[4:5], v[6:7], v[0:1], v[4:5] op_sel:[0,0,1] op_sel_hi:[1,0,0]
	v_mov_b32_e32 v9, v5
	ds_load_2addr_b64 v[4:7], v96 offset0:42 offset1:43
	v_pk_add_f32 v[180:181], v[180:181], v[10:11] neg_lo:[0,1] neg_hi:[0,1]
	v_pk_add_f32 v[176:177], v[176:177], v[8:9] neg_lo:[0,1] neg_hi:[0,1]
	s_wait_dscnt 0x0
	v_dual_mul_f32 v8, v5, v3 :: v_dual_mul_f32 v10, v5, v0
	s_delay_alu instid0(VALU_DEP_1) | instskip(NEXT) | instid1(VALU_DEP_2)
	v_pk_fma_f32 v[8:9], v[4:5], v[50:51], v[8:9] op_sel_hi:[1,1,0] neg_lo:[0,0,1] neg_hi:[0,0,1]
	v_pk_fma_f32 v[4:5], v[4:5], v[50:51], v[10:11] op_sel:[1,0,0] op_sel_hi:[0,1,0]
	s_delay_alu instid0(VALU_DEP_1) | instskip(SKIP_1) | instid1(VALU_DEP_2)
	v_mov_b32_e32 v9, v5
	v_pk_mul_f32 v[4:5], v[6:7], v[2:3] op_sel:[0,1]
	v_pk_add_f32 v[178:179], v[178:179], v[8:9] neg_lo:[0,1] neg_hi:[0,1]
	s_delay_alu instid0(VALU_DEP_2) | instskip(SKIP_1) | instid1(VALU_DEP_1)
	v_pk_fma_f32 v[8:9], v[6:7], v[0:1], v[4:5] op_sel:[0,0,1] op_sel_hi:[1,1,0] neg_lo:[0,0,1] neg_hi:[0,0,1]
	v_pk_fma_f32 v[4:5], v[6:7], v[0:1], v[4:5] op_sel:[0,0,1] op_sel_hi:[1,0,0]
	v_mov_b32_e32 v9, v5
	ds_load_2addr_b64 v[4:7], v96 offset0:44 offset1:45
	v_pk_add_f32 v[174:175], v[174:175], v[8:9] neg_lo:[0,1] neg_hi:[0,1]
	s_wait_dscnt 0x0
	v_pk_mul_f32 v[8:9], v[4:5], v[2:3] op_sel:[0,1]
	s_delay_alu instid0(VALU_DEP_1) | instskip(SKIP_1) | instid1(VALU_DEP_1)
	v_pk_fma_f32 v[10:11], v[4:5], v[0:1], v[8:9] op_sel:[0,0,1] op_sel_hi:[1,1,0] neg_lo:[0,0,1] neg_hi:[0,0,1]
	v_pk_fma_f32 v[4:5], v[4:5], v[0:1], v[8:9] op_sel:[0,0,1] op_sel_hi:[1,0,0]
	v_mov_b32_e32 v11, v5
	v_pk_mul_f32 v[4:5], v[6:7], v[2:3] op_sel:[0,1]
	s_delay_alu instid0(VALU_DEP_2) | instskip(NEXT) | instid1(VALU_DEP_2)
	v_pk_add_f32 v[196:197], v[196:197], v[10:11] neg_lo:[0,1] neg_hi:[0,1]
	v_pk_fma_f32 v[8:9], v[6:7], v[0:1], v[4:5] op_sel:[0,0,1] op_sel_hi:[1,1,0] neg_lo:[0,0,1] neg_hi:[0,0,1]
	v_pk_fma_f32 v[4:5], v[6:7], v[0:1], v[4:5] op_sel:[0,0,1] op_sel_hi:[1,0,0]
	s_delay_alu instid0(VALU_DEP_1) | instskip(SKIP_4) | instid1(VALU_DEP_1)
	v_mov_b32_e32 v9, v5
	ds_load_2addr_b64 v[4:7], v96 offset0:46 offset1:47
	v_pk_add_f32 v[192:193], v[192:193], v[8:9] neg_lo:[0,1] neg_hi:[0,1]
	s_wait_dscnt 0x0
	v_pk_mul_f32 v[8:9], v[4:5], v[2:3] op_sel:[0,1]
	v_pk_fma_f32 v[10:11], v[4:5], v[0:1], v[8:9] op_sel:[0,0,1] op_sel_hi:[1,1,0] neg_lo:[0,0,1] neg_hi:[0,0,1]
	v_pk_fma_f32 v[4:5], v[4:5], v[0:1], v[8:9] op_sel:[0,0,1] op_sel_hi:[1,0,0]
	v_dual_mul_f32 v8, v7, v3 :: v_dual_mov_b32 v4, v7
	s_delay_alu instid0(VALU_DEP_2) | instskip(NEXT) | instid1(VALU_DEP_2)
	v_dual_mov_b32 v11, v5 :: v_dual_mov_b32 v5, v6
	v_pk_fma_f32 v[8:9], v[6:7], v[50:51], v[8:9] op_sel_hi:[1,1,0] neg_lo:[0,0,1] neg_hi:[0,0,1]
	v_mul_f32_e32 v6, v7, v0
	s_delay_alu instid0(VALU_DEP_3) | instskip(NEXT) | instid1(VALU_DEP_2)
	v_pk_add_f32 v[194:195], v[194:195], v[10:11] neg_lo:[0,1] neg_hi:[0,1]
	v_pk_fma_f32 v[4:5], v[4:5], v[50:51], v[6:7] op_sel_hi:[1,1,0]
	s_delay_alu instid0(VALU_DEP_1)
	v_mov_b32_e32 v9, v5
	ds_load_2addr_b64 v[4:7], v96 offset0:48 offset1:49
	v_pk_add_f32 v[190:191], v[190:191], v[8:9] neg_lo:[0,1] neg_hi:[0,1]
	s_wait_dscnt 0x0
	v_pk_mul_f32 v[8:9], v[4:5], v[2:3] op_sel:[0,1]
	v_mul_f32_e32 v2, v7, v3
	s_delay_alu instid0(VALU_DEP_2) | instskip(SKIP_2) | instid1(VALU_DEP_4)
	v_pk_fma_f32 v[10:11], v[4:5], v[0:1], v[8:9] op_sel:[0,0,1] op_sel_hi:[1,1,0] neg_lo:[0,0,1] neg_hi:[0,0,1]
	v_pk_fma_f32 v[4:5], v[4:5], v[0:1], v[8:9] op_sel:[0,0,1] op_sel_hi:[1,0,0]
	v_dual_mov_b32 v4, v7 :: v_dual_mul_f32 v0, v7, v0
	v_pk_fma_f32 v[2:3], v[6:7], v[50:51], v[2:3] op_sel_hi:[1,1,0] neg_lo:[0,0,1] neg_hi:[0,0,1]
	s_delay_alu instid0(VALU_DEP_3) | instskip(NEXT) | instid1(VALU_DEP_1)
	v_dual_mov_b32 v11, v5 :: v_dual_mov_b32 v5, v6
	v_pk_add_f32 v[198:199], v[198:199], v[10:11] neg_lo:[0,1] neg_hi:[0,1]
	s_delay_alu instid0(VALU_DEP_2) | instskip(NEXT) | instid1(VALU_DEP_1)
	v_pk_fma_f32 v[0:1], v[4:5], v[50:51], v[0:1] op_sel_hi:[1,1,0]
	v_mov_b32_e32 v3, v1
	s_delay_alu instid0(VALU_DEP_1)
	v_pk_add_f32 v[200:201], v[200:201], v[2:3] neg_lo:[0,1] neg_hi:[0,1]
.LBB99_127:
	s_wait_xcnt 0x0
	s_or_b32 exec_lo, exec_lo, s1
	s_delay_alu instid0(SALU_CYCLE_1)
	s_mov_b32 s2, exec_lo
	s_wait_storecnt 0x0
	s_barrier_signal -1
	s_barrier_wait -1
	v_cmpx_eq_u32_e32 14, v86
	s_cbranch_execz .LBB99_134
; %bb.128:
	ds_store_b64 v87, v[52:53]
	ds_store_2addr_b64 v96, v[48:49], v[78:79] offset0:15 offset1:16
	ds_store_2addr_b64 v96, v[74:75], v[76:77] offset0:17 offset1:18
	;; [unrolled: 1-line block ×17, first 2 shown]
	ds_store_b64 v96, v[200:201] offset:392
	ds_load_b64 v[0:1], v87
	s_wait_dscnt 0x0
	v_cmp_neq_f32_e32 vcc_lo, 0, v0
	v_cmp_neq_f32_e64 s1, 0, v1
	s_or_b32 s1, vcc_lo, s1
	s_delay_alu instid0(SALU_CYCLE_1)
	s_and_b32 exec_lo, exec_lo, s1
	s_cbranch_execz .LBB99_134
; %bb.129:
	v_cmp_ngt_f32_e64 s1, |v0|, |v1|
                                        ; implicit-def: $vgpr2_vgpr3
	s_and_saveexec_b32 s4, s1
	s_delay_alu instid0(SALU_CYCLE_1)
	s_xor_b32 s1, exec_lo, s4
	s_cbranch_execz .LBB99_131
; %bb.130:
	v_div_scale_f32 v2, null, v1, v1, v0
	v_div_scale_f32 v5, vcc_lo, v0, v1, v0
	s_delay_alu instid0(VALU_DEP_2) | instskip(SKIP_1) | instid1(TRANS32_DEP_1)
	v_rcp_f32_e32 v3, v2
	v_nop
	v_fma_f32 v4, -v2, v3, 1.0
	s_delay_alu instid0(VALU_DEP_1) | instskip(NEXT) | instid1(VALU_DEP_1)
	v_fmac_f32_e32 v3, v4, v3
	v_mul_f32_e32 v4, v5, v3
	s_delay_alu instid0(VALU_DEP_1) | instskip(NEXT) | instid1(VALU_DEP_1)
	v_fma_f32 v6, -v2, v4, v5
	v_fmac_f32_e32 v4, v6, v3
	s_delay_alu instid0(VALU_DEP_1) | instskip(NEXT) | instid1(VALU_DEP_1)
	v_fma_f32 v2, -v2, v4, v5
	v_div_fmas_f32 v2, v2, v3, v4
	s_delay_alu instid0(VALU_DEP_1) | instskip(NEXT) | instid1(VALU_DEP_1)
	v_div_fixup_f32 v2, v2, v1, v0
	v_fmac_f32_e32 v1, v0, v2
	s_delay_alu instid0(VALU_DEP_1) | instskip(SKIP_1) | instid1(VALU_DEP_2)
	v_div_scale_f32 v0, null, v1, v1, 1.0
	v_div_scale_f32 v5, vcc_lo, 1.0, v1, 1.0
	v_rcp_f32_e32 v3, v0
	v_nop
	s_delay_alu instid0(TRANS32_DEP_1) | instskip(NEXT) | instid1(VALU_DEP_1)
	v_fma_f32 v4, -v0, v3, 1.0
	v_fmac_f32_e32 v3, v4, v3
	s_delay_alu instid0(VALU_DEP_1) | instskip(NEXT) | instid1(VALU_DEP_1)
	v_mul_f32_e32 v4, v5, v3
	v_fma_f32 v6, -v0, v4, v5
	s_delay_alu instid0(VALU_DEP_1) | instskip(NEXT) | instid1(VALU_DEP_1)
	v_fmac_f32_e32 v4, v6, v3
	v_fma_f32 v0, -v0, v4, v5
	s_delay_alu instid0(VALU_DEP_1) | instskip(NEXT) | instid1(VALU_DEP_1)
	v_div_fmas_f32 v0, v0, v3, v4
	v_div_fixup_f32 v0, v0, v1, 1.0
	s_delay_alu instid0(VALU_DEP_1)
	v_mul_f32_e32 v2, v2, v0
	v_xor_b32_e32 v3, 0x80000000, v0
                                        ; implicit-def: $vgpr0_vgpr1
.LBB99_131:
	s_and_not1_saveexec_b32 s1, s1
	s_cbranch_execz .LBB99_133
; %bb.132:
	v_div_scale_f32 v2, null, v0, v0, v1
	v_div_scale_f32 v5, vcc_lo, v1, v0, v1
	s_delay_alu instid0(VALU_DEP_2) | instskip(SKIP_1) | instid1(TRANS32_DEP_1)
	v_rcp_f32_e32 v3, v2
	v_nop
	v_fma_f32 v4, -v2, v3, 1.0
	s_delay_alu instid0(VALU_DEP_1) | instskip(NEXT) | instid1(VALU_DEP_1)
	v_fmac_f32_e32 v3, v4, v3
	v_mul_f32_e32 v4, v5, v3
	s_delay_alu instid0(VALU_DEP_1) | instskip(NEXT) | instid1(VALU_DEP_1)
	v_fma_f32 v6, -v2, v4, v5
	v_fmac_f32_e32 v4, v6, v3
	s_delay_alu instid0(VALU_DEP_1) | instskip(NEXT) | instid1(VALU_DEP_1)
	v_fma_f32 v2, -v2, v4, v5
	v_div_fmas_f32 v2, v2, v3, v4
	s_delay_alu instid0(VALU_DEP_1) | instskip(NEXT) | instid1(VALU_DEP_1)
	v_div_fixup_f32 v3, v2, v0, v1
	v_fmac_f32_e32 v0, v1, v3
	s_delay_alu instid0(VALU_DEP_1) | instskip(NEXT) | instid1(VALU_DEP_1)
	v_div_scale_f32 v1, null, v0, v0, 1.0
	v_rcp_f32_e32 v2, v1
	v_nop
	s_delay_alu instid0(TRANS32_DEP_1) | instskip(NEXT) | instid1(VALU_DEP_1)
	v_fma_f32 v4, -v1, v2, 1.0
	v_fmac_f32_e32 v2, v4, v2
	v_div_scale_f32 v4, vcc_lo, 1.0, v0, 1.0
	s_delay_alu instid0(VALU_DEP_1) | instskip(NEXT) | instid1(VALU_DEP_1)
	v_mul_f32_e32 v5, v4, v2
	v_fma_f32 v6, -v1, v5, v4
	s_delay_alu instid0(VALU_DEP_1) | instskip(NEXT) | instid1(VALU_DEP_1)
	v_fmac_f32_e32 v5, v6, v2
	v_fma_f32 v1, -v1, v5, v4
	s_delay_alu instid0(VALU_DEP_1) | instskip(NEXT) | instid1(VALU_DEP_1)
	v_div_fmas_f32 v1, v1, v2, v5
	v_div_fixup_f32 v2, v1, v0, 1.0
	s_delay_alu instid0(VALU_DEP_1)
	v_mul_f32_e64 v3, v3, -v2
.LBB99_133:
	s_or_b32 exec_lo, exec_lo, s1
	ds_store_b64 v87, v[2:3]
.LBB99_134:
	s_or_b32 exec_lo, exec_lo, s2
	s_wait_dscnt 0x0
	s_barrier_signal -1
	s_barrier_wait -1
	ds_load_b64 v[0:1], v87
	s_mov_b32 s1, exec_lo
	s_wait_dscnt 0x0
	scratch_store_b64 off, v[0:1], off offset:120 ; 8-byte Folded Spill
	s_wait_xcnt 0x0
	v_cmpx_lt_u32_e32 14, v86
	s_cbranch_execz .LBB99_136
; %bb.135:
	scratch_load_b64 v[4:5], off, off offset:120 ; 8-byte Folded Reload
	s_wait_loadcnt 0x0
	v_pk_mul_f32 v[2:3], v[4:5], v[52:53] op_sel:[1,1] op_sel_hi:[0,1]
	s_delay_alu instid0(VALU_DEP_1)
	v_pk_fma_f32 v[0:1], v[4:5], v[52:53], v[2:3] op_sel_hi:[1,0,1] neg_lo:[0,0,1] neg_hi:[0,0,1]
	v_pk_fma_f32 v[2:3], v[4:5], v[52:53], v[2:3] op_sel_hi:[1,0,1]
	ds_load_2addr_b64 v[4:7], v96 offset0:15 offset1:16
	v_dual_mov_b32 v52, v0 :: v_dual_mov_b32 v53, v3
	s_wait_dscnt 0x0
	v_pk_mul_f32 v[8:9], v[4:5], v[2:3] op_sel:[0,1]
	s_delay_alu instid0(VALU_DEP_1) | instskip(SKIP_1) | instid1(VALU_DEP_1)
	v_pk_fma_f32 v[10:11], v[4:5], v[0:1], v[8:9] op_sel:[0,0,1] op_sel_hi:[1,1,0] neg_lo:[0,0,1] neg_hi:[0,0,1]
	v_pk_fma_f32 v[4:5], v[4:5], v[0:1], v[8:9] op_sel:[0,0,1] op_sel_hi:[1,0,0]
	v_mov_b32_e32 v11, v5
	v_pk_mul_f32 v[4:5], v[6:7], v[2:3] op_sel:[0,1]
	s_delay_alu instid0(VALU_DEP_1) | instskip(SKIP_1) | instid1(VALU_DEP_1)
	v_pk_fma_f32 v[8:9], v[6:7], v[0:1], v[4:5] op_sel:[0,0,1] op_sel_hi:[1,1,0] neg_lo:[0,0,1] neg_hi:[0,0,1]
	v_pk_fma_f32 v[4:5], v[6:7], v[0:1], v[4:5] op_sel:[0,0,1] op_sel_hi:[1,0,0]
	v_mov_b32_e32 v9, v5
	ds_load_2addr_b64 v[4:7], v96 offset0:17 offset1:18
	v_pk_add_f32 v[48:49], v[48:49], v[10:11] neg_lo:[0,1] neg_hi:[0,1]
	v_pk_add_f32 v[78:79], v[78:79], v[8:9] neg_lo:[0,1] neg_hi:[0,1]
	s_wait_dscnt 0x0
	v_pk_mul_f32 v[8:9], v[4:5], v[2:3] op_sel:[0,1]
	s_delay_alu instid0(VALU_DEP_1) | instskip(SKIP_2) | instid1(VALU_DEP_2)
	v_pk_fma_f32 v[10:11], v[4:5], v[0:1], v[8:9] op_sel:[0,0,1] op_sel_hi:[1,1,0] neg_lo:[0,0,1] neg_hi:[0,0,1]
	v_pk_fma_f32 v[4:5], v[4:5], v[0:1], v[8:9] op_sel:[0,0,1] op_sel_hi:[1,0,0]
	v_dual_mul_f32 v8, v7, v3 :: v_dual_mov_b32 v4, v7
	v_dual_mov_b32 v11, v5 :: v_dual_mov_b32 v5, v6
	s_delay_alu instid0(VALU_DEP_2) | instskip(SKIP_1) | instid1(VALU_DEP_3)
	v_pk_fma_f32 v[8:9], v[6:7], v[52:53], v[8:9] op_sel_hi:[1,1,0] neg_lo:[0,0,1] neg_hi:[0,0,1]
	v_mul_f32_e32 v6, v7, v0
	v_pk_add_f32 v[74:75], v[74:75], v[10:11] neg_lo:[0,1] neg_hi:[0,1]
	s_delay_alu instid0(VALU_DEP_2) | instskip(NEXT) | instid1(VALU_DEP_1)
	v_pk_fma_f32 v[4:5], v[4:5], v[52:53], v[6:7] op_sel_hi:[1,1,0]
	v_mov_b32_e32 v9, v5
	ds_load_2addr_b64 v[4:7], v96 offset0:19 offset1:20
	v_pk_add_f32 v[76:77], v[76:77], v[8:9] neg_lo:[0,1] neg_hi:[0,1]
	s_wait_dscnt 0x0
	v_pk_mul_f32 v[8:9], v[4:5], v[2:3] op_sel:[0,1]
	s_delay_alu instid0(VALU_DEP_1) | instskip(SKIP_1) | instid1(VALU_DEP_1)
	v_pk_fma_f32 v[10:11], v[4:5], v[0:1], v[8:9] op_sel:[0,0,1] op_sel_hi:[1,1,0] neg_lo:[0,0,1] neg_hi:[0,0,1]
	v_pk_fma_f32 v[4:5], v[4:5], v[0:1], v[8:9] op_sel:[0,0,1] op_sel_hi:[1,0,0]
	v_mov_b32_e32 v11, v5
	v_pk_mul_f32 v[4:5], v[6:7], v[2:3] op_sel:[0,1]
	s_delay_alu instid0(VALU_DEP_1) | instskip(SKIP_1) | instid1(VALU_DEP_1)
	v_pk_fma_f32 v[8:9], v[6:7], v[0:1], v[4:5] op_sel:[0,0,1] op_sel_hi:[1,1,0] neg_lo:[0,0,1] neg_hi:[0,0,1]
	v_pk_fma_f32 v[4:5], v[6:7], v[0:1], v[4:5] op_sel:[0,0,1] op_sel_hi:[1,0,0]
	v_mov_b32_e32 v9, v5
	ds_load_2addr_b64 v[4:7], v96 offset0:21 offset1:22
	v_pk_add_f32 v[72:73], v[72:73], v[10:11] neg_lo:[0,1] neg_hi:[0,1]
	v_pk_add_f32 v[94:95], v[94:95], v[8:9] neg_lo:[0,1] neg_hi:[0,1]
	s_wait_dscnt 0x0
	v_pk_mul_f32 v[8:9], v[4:5], v[2:3] op_sel:[0,1]
	s_delay_alu instid0(VALU_DEP_1) | instskip(SKIP_1) | instid1(VALU_DEP_1)
	v_pk_fma_f32 v[10:11], v[4:5], v[0:1], v[8:9] op_sel:[0,0,1] op_sel_hi:[1,1,0] neg_lo:[0,0,1] neg_hi:[0,0,1]
	v_pk_fma_f32 v[4:5], v[4:5], v[0:1], v[8:9] op_sel:[0,0,1] op_sel_hi:[1,0,0]
	v_mov_b32_e32 v11, v5
	v_pk_mul_f32 v[4:5], v[6:7], v[2:3] op_sel:[0,1]
	s_delay_alu instid0(VALU_DEP_1) | instskip(SKIP_1) | instid1(VALU_DEP_1)
	v_pk_fma_f32 v[8:9], v[6:7], v[0:1], v[4:5] op_sel:[0,0,1] op_sel_hi:[1,1,0] neg_lo:[0,0,1] neg_hi:[0,0,1]
	v_pk_fma_f32 v[4:5], v[6:7], v[0:1], v[4:5] op_sel:[0,0,1] op_sel_hi:[1,0,0]
	v_mov_b32_e32 v9, v5
	ds_load_2addr_b64 v[4:7], v96 offset0:23 offset1:24
	v_pk_add_f32 v[90:91], v[90:91], v[10:11] neg_lo:[0,1] neg_hi:[0,1]
	v_pk_add_f32 v[92:93], v[92:93], v[8:9] neg_lo:[0,1] neg_hi:[0,1]
	s_wait_dscnt 0x0
	v_dual_mul_f32 v8, v5, v3 :: v_dual_mul_f32 v10, v5, v0
	s_delay_alu instid0(VALU_DEP_1) | instskip(NEXT) | instid1(VALU_DEP_2)
	v_pk_fma_f32 v[8:9], v[4:5], v[52:53], v[8:9] op_sel_hi:[1,1,0] neg_lo:[0,0,1] neg_hi:[0,0,1]
	v_pk_fma_f32 v[4:5], v[4:5], v[52:53], v[10:11] op_sel:[1,0,0] op_sel_hi:[0,1,0]
	s_delay_alu instid0(VALU_DEP_1) | instskip(SKIP_1) | instid1(VALU_DEP_2)
	v_mov_b32_e32 v9, v5
	v_pk_mul_f32 v[4:5], v[6:7], v[2:3] op_sel:[0,1]
	v_pk_add_f32 v[88:89], v[88:89], v[8:9] neg_lo:[0,1] neg_hi:[0,1]
	s_delay_alu instid0(VALU_DEP_2) | instskip(SKIP_1) | instid1(VALU_DEP_1)
	v_pk_fma_f32 v[8:9], v[6:7], v[0:1], v[4:5] op_sel:[0,0,1] op_sel_hi:[1,1,0] neg_lo:[0,0,1] neg_hi:[0,0,1]
	v_pk_fma_f32 v[4:5], v[6:7], v[0:1], v[4:5] op_sel:[0,0,1] op_sel_hi:[1,0,0]
	v_mov_b32_e32 v9, v5
	ds_load_2addr_b64 v[4:7], v96 offset0:25 offset1:26
	v_pk_add_f32 v[112:113], v[112:113], v[8:9] neg_lo:[0,1] neg_hi:[0,1]
	s_wait_dscnt 0x0
	v_pk_mul_f32 v[8:9], v[4:5], v[2:3] op_sel:[0,1]
	s_delay_alu instid0(VALU_DEP_1) | instskip(SKIP_1) | instid1(VALU_DEP_1)
	v_pk_fma_f32 v[10:11], v[4:5], v[0:1], v[8:9] op_sel:[0,0,1] op_sel_hi:[1,1,0] neg_lo:[0,0,1] neg_hi:[0,0,1]
	v_pk_fma_f32 v[4:5], v[4:5], v[0:1], v[8:9] op_sel:[0,0,1] op_sel_hi:[1,0,0]
	v_mov_b32_e32 v11, v5
	v_pk_mul_f32 v[4:5], v[6:7], v[2:3] op_sel:[0,1]
	s_delay_alu instid0(VALU_DEP_2) | instskip(NEXT) | instid1(VALU_DEP_2)
	v_pk_add_f32 v[108:109], v[108:109], v[10:11] neg_lo:[0,1] neg_hi:[0,1]
	v_pk_fma_f32 v[8:9], v[6:7], v[0:1], v[4:5] op_sel:[0,0,1] op_sel_hi:[1,1,0] neg_lo:[0,0,1] neg_hi:[0,0,1]
	v_pk_fma_f32 v[4:5], v[6:7], v[0:1], v[4:5] op_sel:[0,0,1] op_sel_hi:[1,0,0]
	s_delay_alu instid0(VALU_DEP_1) | instskip(SKIP_4) | instid1(VALU_DEP_1)
	v_mov_b32_e32 v9, v5
	ds_load_2addr_b64 v[4:7], v96 offset0:27 offset1:28
	v_pk_add_f32 v[110:111], v[110:111], v[8:9] neg_lo:[0,1] neg_hi:[0,1]
	s_wait_dscnt 0x0
	v_pk_mul_f32 v[8:9], v[4:5], v[2:3] op_sel:[0,1]
	v_pk_fma_f32 v[10:11], v[4:5], v[0:1], v[8:9] op_sel:[0,0,1] op_sel_hi:[1,1,0] neg_lo:[0,0,1] neg_hi:[0,0,1]
	v_pk_fma_f32 v[4:5], v[4:5], v[0:1], v[8:9] op_sel:[0,0,1] op_sel_hi:[1,0,0]
	v_dual_mul_f32 v8, v7, v3 :: v_dual_mov_b32 v4, v7
	s_delay_alu instid0(VALU_DEP_2) | instskip(NEXT) | instid1(VALU_DEP_2)
	v_dual_mov_b32 v11, v5 :: v_dual_mov_b32 v5, v6
	v_pk_fma_f32 v[8:9], v[6:7], v[52:53], v[8:9] op_sel_hi:[1,1,0] neg_lo:[0,0,1] neg_hi:[0,0,1]
	v_mul_f32_e32 v6, v7, v0
	s_delay_alu instid0(VALU_DEP_3) | instskip(NEXT) | instid1(VALU_DEP_2)
	v_pk_add_f32 v[106:107], v[106:107], v[10:11] neg_lo:[0,1] neg_hi:[0,1]
	v_pk_fma_f32 v[4:5], v[4:5], v[52:53], v[6:7] op_sel_hi:[1,1,0]
	s_delay_alu instid0(VALU_DEP_1) | instskip(SKIP_4) | instid1(VALU_DEP_1)
	v_mov_b32_e32 v9, v5
	ds_load_2addr_b64 v[4:7], v96 offset0:29 offset1:30
	v_pk_add_f32 v[128:129], v[128:129], v[8:9] neg_lo:[0,1] neg_hi:[0,1]
	s_wait_dscnt 0x0
	v_pk_mul_f32 v[8:9], v[4:5], v[2:3] op_sel:[0,1]
	v_pk_fma_f32 v[10:11], v[4:5], v[0:1], v[8:9] op_sel:[0,0,1] op_sel_hi:[1,1,0] neg_lo:[0,0,1] neg_hi:[0,0,1]
	v_pk_fma_f32 v[4:5], v[4:5], v[0:1], v[8:9] op_sel:[0,0,1] op_sel_hi:[1,0,0]
	s_delay_alu instid0(VALU_DEP_1) | instskip(SKIP_1) | instid1(VALU_DEP_1)
	v_mov_b32_e32 v11, v5
	v_pk_mul_f32 v[4:5], v[6:7], v[2:3] op_sel:[0,1]
	v_pk_fma_f32 v[8:9], v[6:7], v[0:1], v[4:5] op_sel:[0,0,1] op_sel_hi:[1,1,0] neg_lo:[0,0,1] neg_hi:[0,0,1]
	v_pk_fma_f32 v[4:5], v[6:7], v[0:1], v[4:5] op_sel:[0,0,1] op_sel_hi:[1,0,0]
	s_delay_alu instid0(VALU_DEP_1)
	v_mov_b32_e32 v9, v5
	ds_load_2addr_b64 v[4:7], v96 offset0:31 offset1:32
	v_pk_add_f32 v[124:125], v[124:125], v[10:11] neg_lo:[0,1] neg_hi:[0,1]
	v_pk_add_f32 v[126:127], v[126:127], v[8:9] neg_lo:[0,1] neg_hi:[0,1]
	s_wait_dscnt 0x0
	v_pk_mul_f32 v[8:9], v[4:5], v[2:3] op_sel:[0,1]
	s_delay_alu instid0(VALU_DEP_1) | instskip(SKIP_1) | instid1(VALU_DEP_1)
	v_pk_fma_f32 v[10:11], v[4:5], v[0:1], v[8:9] op_sel:[0,0,1] op_sel_hi:[1,1,0] neg_lo:[0,0,1] neg_hi:[0,0,1]
	v_pk_fma_f32 v[4:5], v[4:5], v[0:1], v[8:9] op_sel:[0,0,1] op_sel_hi:[1,0,0]
	v_mov_b32_e32 v11, v5
	v_pk_mul_f32 v[4:5], v[6:7], v[2:3] op_sel:[0,1]
	s_delay_alu instid0(VALU_DEP_1) | instskip(SKIP_1) | instid1(VALU_DEP_1)
	v_pk_fma_f32 v[8:9], v[6:7], v[0:1], v[4:5] op_sel:[0,0,1] op_sel_hi:[1,1,0] neg_lo:[0,0,1] neg_hi:[0,0,1]
	v_pk_fma_f32 v[4:5], v[6:7], v[0:1], v[4:5] op_sel:[0,0,1] op_sel_hi:[1,0,0]
	v_mov_b32_e32 v9, v5
	ds_load_2addr_b64 v[4:7], v96 offset0:33 offset1:34
	v_pk_add_f32 v[122:123], v[122:123], v[10:11] neg_lo:[0,1] neg_hi:[0,1]
	v_pk_add_f32 v[144:145], v[144:145], v[8:9] neg_lo:[0,1] neg_hi:[0,1]
	s_wait_dscnt 0x0
	v_dual_mul_f32 v8, v5, v3 :: v_dual_mul_f32 v10, v5, v0
	s_delay_alu instid0(VALU_DEP_1) | instskip(NEXT) | instid1(VALU_DEP_2)
	v_pk_fma_f32 v[8:9], v[4:5], v[52:53], v[8:9] op_sel_hi:[1,1,0] neg_lo:[0,0,1] neg_hi:[0,0,1]
	v_pk_fma_f32 v[4:5], v[4:5], v[52:53], v[10:11] op_sel:[1,0,0] op_sel_hi:[0,1,0]
	s_delay_alu instid0(VALU_DEP_1) | instskip(SKIP_1) | instid1(VALU_DEP_2)
	v_mov_b32_e32 v9, v5
	v_pk_mul_f32 v[4:5], v[6:7], v[2:3] op_sel:[0,1]
	v_pk_add_f32 v[140:141], v[140:141], v[8:9] neg_lo:[0,1] neg_hi:[0,1]
	s_delay_alu instid0(VALU_DEP_2) | instskip(SKIP_1) | instid1(VALU_DEP_1)
	v_pk_fma_f32 v[8:9], v[6:7], v[0:1], v[4:5] op_sel:[0,0,1] op_sel_hi:[1,1,0] neg_lo:[0,0,1] neg_hi:[0,0,1]
	v_pk_fma_f32 v[4:5], v[6:7], v[0:1], v[4:5] op_sel:[0,0,1] op_sel_hi:[1,0,0]
	v_mov_b32_e32 v9, v5
	ds_load_2addr_b64 v[4:7], v96 offset0:35 offset1:36
	v_pk_add_f32 v[142:143], v[142:143], v[8:9] neg_lo:[0,1] neg_hi:[0,1]
	s_wait_dscnt 0x0
	v_pk_mul_f32 v[8:9], v[4:5], v[2:3] op_sel:[0,1]
	s_delay_alu instid0(VALU_DEP_1) | instskip(SKIP_1) | instid1(VALU_DEP_1)
	v_pk_fma_f32 v[10:11], v[4:5], v[0:1], v[8:9] op_sel:[0,0,1] op_sel_hi:[1,1,0] neg_lo:[0,0,1] neg_hi:[0,0,1]
	v_pk_fma_f32 v[4:5], v[4:5], v[0:1], v[8:9] op_sel:[0,0,1] op_sel_hi:[1,0,0]
	v_mov_b32_e32 v11, v5
	v_pk_mul_f32 v[4:5], v[6:7], v[2:3] op_sel:[0,1]
	s_delay_alu instid0(VALU_DEP_2) | instskip(NEXT) | instid1(VALU_DEP_2)
	v_pk_add_f32 v[138:139], v[138:139], v[10:11] neg_lo:[0,1] neg_hi:[0,1]
	v_pk_fma_f32 v[8:9], v[6:7], v[0:1], v[4:5] op_sel:[0,0,1] op_sel_hi:[1,1,0] neg_lo:[0,0,1] neg_hi:[0,0,1]
	v_pk_fma_f32 v[4:5], v[6:7], v[0:1], v[4:5] op_sel:[0,0,1] op_sel_hi:[1,0,0]
	s_delay_alu instid0(VALU_DEP_1) | instskip(SKIP_4) | instid1(VALU_DEP_1)
	v_mov_b32_e32 v9, v5
	ds_load_2addr_b64 v[4:7], v96 offset0:37 offset1:38
	v_pk_add_f32 v[162:163], v[162:163], v[8:9] neg_lo:[0,1] neg_hi:[0,1]
	s_wait_dscnt 0x0
	v_pk_mul_f32 v[8:9], v[4:5], v[2:3] op_sel:[0,1]
	v_pk_fma_f32 v[10:11], v[4:5], v[0:1], v[8:9] op_sel:[0,0,1] op_sel_hi:[1,1,0] neg_lo:[0,0,1] neg_hi:[0,0,1]
	v_pk_fma_f32 v[4:5], v[4:5], v[0:1], v[8:9] op_sel:[0,0,1] op_sel_hi:[1,0,0]
	v_dual_mul_f32 v8, v7, v3 :: v_dual_mov_b32 v4, v7
	s_delay_alu instid0(VALU_DEP_2) | instskip(NEXT) | instid1(VALU_DEP_2)
	v_dual_mov_b32 v11, v5 :: v_dual_mov_b32 v5, v6
	v_pk_fma_f32 v[8:9], v[6:7], v[52:53], v[8:9] op_sel_hi:[1,1,0] neg_lo:[0,0,1] neg_hi:[0,0,1]
	v_mul_f32_e32 v6, v7, v0
	s_delay_alu instid0(VALU_DEP_3) | instskip(NEXT) | instid1(VALU_DEP_2)
	v_pk_add_f32 v[158:159], v[158:159], v[10:11] neg_lo:[0,1] neg_hi:[0,1]
	v_pk_fma_f32 v[4:5], v[4:5], v[52:53], v[6:7] op_sel_hi:[1,1,0]
	s_delay_alu instid0(VALU_DEP_1) | instskip(SKIP_4) | instid1(VALU_DEP_1)
	v_mov_b32_e32 v9, v5
	ds_load_2addr_b64 v[4:7], v96 offset0:39 offset1:40
	v_pk_add_f32 v[160:161], v[160:161], v[8:9] neg_lo:[0,1] neg_hi:[0,1]
	s_wait_dscnt 0x0
	v_pk_mul_f32 v[8:9], v[4:5], v[2:3] op_sel:[0,1]
	v_pk_fma_f32 v[10:11], v[4:5], v[0:1], v[8:9] op_sel:[0,0,1] op_sel_hi:[1,1,0] neg_lo:[0,0,1] neg_hi:[0,0,1]
	v_pk_fma_f32 v[4:5], v[4:5], v[0:1], v[8:9] op_sel:[0,0,1] op_sel_hi:[1,0,0]
	s_delay_alu instid0(VALU_DEP_1) | instskip(SKIP_1) | instid1(VALU_DEP_1)
	v_mov_b32_e32 v11, v5
	v_pk_mul_f32 v[4:5], v[6:7], v[2:3] op_sel:[0,1]
	v_pk_fma_f32 v[8:9], v[6:7], v[0:1], v[4:5] op_sel:[0,0,1] op_sel_hi:[1,1,0] neg_lo:[0,0,1] neg_hi:[0,0,1]
	v_pk_fma_f32 v[4:5], v[6:7], v[0:1], v[4:5] op_sel:[0,0,1] op_sel_hi:[1,0,0]
	s_delay_alu instid0(VALU_DEP_1)
	v_mov_b32_e32 v9, v5
	ds_load_2addr_b64 v[4:7], v96 offset0:41 offset1:42
	v_pk_add_f32 v[156:157], v[156:157], v[10:11] neg_lo:[0,1] neg_hi:[0,1]
	v_pk_add_f32 v[180:181], v[180:181], v[8:9] neg_lo:[0,1] neg_hi:[0,1]
	s_wait_dscnt 0x0
	v_pk_mul_f32 v[8:9], v[4:5], v[2:3] op_sel:[0,1]
	s_delay_alu instid0(VALU_DEP_1) | instskip(SKIP_1) | instid1(VALU_DEP_1)
	v_pk_fma_f32 v[10:11], v[4:5], v[0:1], v[8:9] op_sel:[0,0,1] op_sel_hi:[1,1,0] neg_lo:[0,0,1] neg_hi:[0,0,1]
	v_pk_fma_f32 v[4:5], v[4:5], v[0:1], v[8:9] op_sel:[0,0,1] op_sel_hi:[1,0,0]
	v_mov_b32_e32 v11, v5
	v_pk_mul_f32 v[4:5], v[6:7], v[2:3] op_sel:[0,1]
	s_delay_alu instid0(VALU_DEP_1) | instskip(SKIP_1) | instid1(VALU_DEP_1)
	v_pk_fma_f32 v[8:9], v[6:7], v[0:1], v[4:5] op_sel:[0,0,1] op_sel_hi:[1,1,0] neg_lo:[0,0,1] neg_hi:[0,0,1]
	v_pk_fma_f32 v[4:5], v[6:7], v[0:1], v[4:5] op_sel:[0,0,1] op_sel_hi:[1,0,0]
	v_mov_b32_e32 v9, v5
	ds_load_2addr_b64 v[4:7], v96 offset0:43 offset1:44
	v_pk_add_f32 v[176:177], v[176:177], v[10:11] neg_lo:[0,1] neg_hi:[0,1]
	v_pk_add_f32 v[178:179], v[178:179], v[8:9] neg_lo:[0,1] neg_hi:[0,1]
	s_wait_dscnt 0x0
	v_dual_mul_f32 v8, v5, v3 :: v_dual_mul_f32 v10, v5, v0
	s_delay_alu instid0(VALU_DEP_1) | instskip(NEXT) | instid1(VALU_DEP_2)
	v_pk_fma_f32 v[8:9], v[4:5], v[52:53], v[8:9] op_sel_hi:[1,1,0] neg_lo:[0,0,1] neg_hi:[0,0,1]
	v_pk_fma_f32 v[4:5], v[4:5], v[52:53], v[10:11] op_sel:[1,0,0] op_sel_hi:[0,1,0]
	s_delay_alu instid0(VALU_DEP_1) | instskip(SKIP_1) | instid1(VALU_DEP_2)
	v_mov_b32_e32 v9, v5
	v_pk_mul_f32 v[4:5], v[6:7], v[2:3] op_sel:[0,1]
	v_pk_add_f32 v[174:175], v[174:175], v[8:9] neg_lo:[0,1] neg_hi:[0,1]
	s_delay_alu instid0(VALU_DEP_2) | instskip(SKIP_1) | instid1(VALU_DEP_1)
	v_pk_fma_f32 v[8:9], v[6:7], v[0:1], v[4:5] op_sel:[0,0,1] op_sel_hi:[1,1,0] neg_lo:[0,0,1] neg_hi:[0,0,1]
	v_pk_fma_f32 v[4:5], v[6:7], v[0:1], v[4:5] op_sel:[0,0,1] op_sel_hi:[1,0,0]
	v_mov_b32_e32 v9, v5
	ds_load_2addr_b64 v[4:7], v96 offset0:45 offset1:46
	v_pk_add_f32 v[196:197], v[196:197], v[8:9] neg_lo:[0,1] neg_hi:[0,1]
	s_wait_dscnt 0x0
	v_pk_mul_f32 v[8:9], v[4:5], v[2:3] op_sel:[0,1]
	s_delay_alu instid0(VALU_DEP_1) | instskip(SKIP_1) | instid1(VALU_DEP_1)
	v_pk_fma_f32 v[10:11], v[4:5], v[0:1], v[8:9] op_sel:[0,0,1] op_sel_hi:[1,1,0] neg_lo:[0,0,1] neg_hi:[0,0,1]
	v_pk_fma_f32 v[4:5], v[4:5], v[0:1], v[8:9] op_sel:[0,0,1] op_sel_hi:[1,0,0]
	v_mov_b32_e32 v11, v5
	v_pk_mul_f32 v[4:5], v[6:7], v[2:3] op_sel:[0,1]
	s_delay_alu instid0(VALU_DEP_2) | instskip(NEXT) | instid1(VALU_DEP_2)
	v_pk_add_f32 v[192:193], v[192:193], v[10:11] neg_lo:[0,1] neg_hi:[0,1]
	v_pk_fma_f32 v[8:9], v[6:7], v[0:1], v[4:5] op_sel:[0,0,1] op_sel_hi:[1,1,0] neg_lo:[0,0,1] neg_hi:[0,0,1]
	v_pk_fma_f32 v[4:5], v[6:7], v[0:1], v[4:5] op_sel:[0,0,1] op_sel_hi:[1,0,0]
	s_delay_alu instid0(VALU_DEP_1) | instskip(SKIP_4) | instid1(VALU_DEP_1)
	v_mov_b32_e32 v9, v5
	ds_load_2addr_b64 v[4:7], v96 offset0:47 offset1:48
	v_pk_add_f32 v[194:195], v[194:195], v[8:9] neg_lo:[0,1] neg_hi:[0,1]
	s_wait_dscnt 0x0
	v_pk_mul_f32 v[8:9], v[4:5], v[2:3] op_sel:[0,1]
	v_pk_fma_f32 v[10:11], v[4:5], v[0:1], v[8:9] op_sel:[0,0,1] op_sel_hi:[1,1,0] neg_lo:[0,0,1] neg_hi:[0,0,1]
	v_pk_fma_f32 v[4:5], v[4:5], v[0:1], v[8:9] op_sel:[0,0,1] op_sel_hi:[1,0,0]
	v_dual_mul_f32 v8, v7, v3 :: v_dual_mov_b32 v4, v7
	s_delay_alu instid0(VALU_DEP_2) | instskip(NEXT) | instid1(VALU_DEP_2)
	v_dual_mov_b32 v11, v5 :: v_dual_mov_b32 v5, v6
	v_pk_fma_f32 v[8:9], v[6:7], v[52:53], v[8:9] op_sel_hi:[1,1,0] neg_lo:[0,0,1] neg_hi:[0,0,1]
	v_mul_f32_e32 v6, v7, v0
	s_delay_alu instid0(VALU_DEP_3) | instskip(NEXT) | instid1(VALU_DEP_2)
	v_pk_add_f32 v[190:191], v[190:191], v[10:11] neg_lo:[0,1] neg_hi:[0,1]
	v_pk_fma_f32 v[4:5], v[4:5], v[52:53], v[6:7] op_sel_hi:[1,1,0]
	s_delay_alu instid0(VALU_DEP_1) | instskip(SKIP_4) | instid1(VALU_DEP_1)
	v_mov_b32_e32 v9, v5
	ds_load_b64 v[4:5], v96 offset:392
	v_pk_add_f32 v[198:199], v[198:199], v[8:9] neg_lo:[0,1] neg_hi:[0,1]
	s_wait_dscnt 0x0
	v_pk_mul_f32 v[2:3], v[4:5], v[2:3] op_sel:[0,1]
	v_pk_fma_f32 v[6:7], v[4:5], v[0:1], v[2:3] op_sel:[0,0,1] op_sel_hi:[1,1,0] neg_lo:[0,0,1] neg_hi:[0,0,1]
	v_pk_fma_f32 v[0:1], v[4:5], v[0:1], v[2:3] op_sel:[0,0,1] op_sel_hi:[1,0,0]
	s_delay_alu instid0(VALU_DEP_1) | instskip(NEXT) | instid1(VALU_DEP_1)
	v_mov_b32_e32 v7, v1
	v_pk_add_f32 v[200:201], v[200:201], v[6:7] neg_lo:[0,1] neg_hi:[0,1]
.LBB99_136:
	s_wait_xcnt 0x0
	s_or_b32 exec_lo, exec_lo, s1
	s_delay_alu instid0(SALU_CYCLE_1)
	s_mov_b32 s2, exec_lo
	s_wait_storecnt 0x0
	s_barrier_signal -1
	s_barrier_wait -1
	v_cmpx_eq_u32_e32 15, v86
	s_cbranch_execz .LBB99_143
; %bb.137:
	v_dual_mov_b32 v0, v78 :: v_dual_mov_b32 v1, v79
	v_dual_mov_b32 v2, v74 :: v_dual_mov_b32 v3, v75
	ds_store_b64 v87, v[48:49]
	ds_store_2addr_b64 v96, v[0:1], v[2:3] offset0:16 offset1:17
	v_dual_mov_b32 v0, v76 :: v_dual_mov_b32 v1, v77
	v_dual_mov_b32 v2, v72 :: v_dual_mov_b32 v3, v73
	ds_store_2addr_b64 v96, v[0:1], v[2:3] offset0:18 offset1:19
	v_dual_mov_b32 v0, v94 :: v_dual_mov_b32 v1, v95
	v_dual_mov_b32 v2, v90 :: v_dual_mov_b32 v3, v91
	;; [unrolled: 3-line block ×15, first 2 shown]
	ds_store_2addr_b64 v96, v[0:1], v[2:3] offset0:46 offset1:47
	v_dual_mov_b32 v0, v198 :: v_dual_mov_b32 v1, v199
	ds_store_2addr_b64 v96, v[0:1], v[200:201] offset0:48 offset1:49
	ds_load_b64 v[0:1], v87
	s_wait_dscnt 0x0
	v_cmp_neq_f32_e32 vcc_lo, 0, v0
	v_cmp_neq_f32_e64 s1, 0, v1
	s_or_b32 s1, vcc_lo, s1
	s_delay_alu instid0(SALU_CYCLE_1)
	s_and_b32 exec_lo, exec_lo, s1
	s_cbranch_execz .LBB99_143
; %bb.138:
	v_cmp_ngt_f32_e64 s1, |v0|, |v1|
                                        ; implicit-def: $vgpr2_vgpr3
	s_and_saveexec_b32 s4, s1
	s_delay_alu instid0(SALU_CYCLE_1)
	s_xor_b32 s1, exec_lo, s4
	s_cbranch_execz .LBB99_140
; %bb.139:
	v_div_scale_f32 v2, null, v1, v1, v0
	v_div_scale_f32 v5, vcc_lo, v0, v1, v0
	s_delay_alu instid0(VALU_DEP_2) | instskip(SKIP_1) | instid1(TRANS32_DEP_1)
	v_rcp_f32_e32 v3, v2
	v_nop
	v_fma_f32 v4, -v2, v3, 1.0
	s_delay_alu instid0(VALU_DEP_1) | instskip(NEXT) | instid1(VALU_DEP_1)
	v_fmac_f32_e32 v3, v4, v3
	v_mul_f32_e32 v4, v5, v3
	s_delay_alu instid0(VALU_DEP_1) | instskip(NEXT) | instid1(VALU_DEP_1)
	v_fma_f32 v6, -v2, v4, v5
	v_fmac_f32_e32 v4, v6, v3
	s_delay_alu instid0(VALU_DEP_1) | instskip(NEXT) | instid1(VALU_DEP_1)
	v_fma_f32 v2, -v2, v4, v5
	v_div_fmas_f32 v2, v2, v3, v4
	s_delay_alu instid0(VALU_DEP_1) | instskip(NEXT) | instid1(VALU_DEP_1)
	v_div_fixup_f32 v2, v2, v1, v0
	v_fmac_f32_e32 v1, v0, v2
	s_delay_alu instid0(VALU_DEP_1) | instskip(SKIP_1) | instid1(VALU_DEP_2)
	v_div_scale_f32 v0, null, v1, v1, 1.0
	v_div_scale_f32 v5, vcc_lo, 1.0, v1, 1.0
	v_rcp_f32_e32 v3, v0
	v_nop
	s_delay_alu instid0(TRANS32_DEP_1) | instskip(NEXT) | instid1(VALU_DEP_1)
	v_fma_f32 v4, -v0, v3, 1.0
	v_fmac_f32_e32 v3, v4, v3
	s_delay_alu instid0(VALU_DEP_1) | instskip(NEXT) | instid1(VALU_DEP_1)
	v_mul_f32_e32 v4, v5, v3
	v_fma_f32 v6, -v0, v4, v5
	s_delay_alu instid0(VALU_DEP_1) | instskip(NEXT) | instid1(VALU_DEP_1)
	v_fmac_f32_e32 v4, v6, v3
	v_fma_f32 v0, -v0, v4, v5
	s_delay_alu instid0(VALU_DEP_1) | instskip(NEXT) | instid1(VALU_DEP_1)
	v_div_fmas_f32 v0, v0, v3, v4
	v_div_fixup_f32 v0, v0, v1, 1.0
	s_delay_alu instid0(VALU_DEP_1)
	v_mul_f32_e32 v2, v2, v0
	v_xor_b32_e32 v3, 0x80000000, v0
                                        ; implicit-def: $vgpr0_vgpr1
.LBB99_140:
	s_and_not1_saveexec_b32 s1, s1
	s_cbranch_execz .LBB99_142
; %bb.141:
	v_div_scale_f32 v2, null, v0, v0, v1
	v_div_scale_f32 v5, vcc_lo, v1, v0, v1
	s_delay_alu instid0(VALU_DEP_2) | instskip(SKIP_1) | instid1(TRANS32_DEP_1)
	v_rcp_f32_e32 v3, v2
	v_nop
	v_fma_f32 v4, -v2, v3, 1.0
	s_delay_alu instid0(VALU_DEP_1) | instskip(NEXT) | instid1(VALU_DEP_1)
	v_fmac_f32_e32 v3, v4, v3
	v_mul_f32_e32 v4, v5, v3
	s_delay_alu instid0(VALU_DEP_1) | instskip(NEXT) | instid1(VALU_DEP_1)
	v_fma_f32 v6, -v2, v4, v5
	v_fmac_f32_e32 v4, v6, v3
	s_delay_alu instid0(VALU_DEP_1) | instskip(NEXT) | instid1(VALU_DEP_1)
	v_fma_f32 v2, -v2, v4, v5
	v_div_fmas_f32 v2, v2, v3, v4
	s_delay_alu instid0(VALU_DEP_1) | instskip(NEXT) | instid1(VALU_DEP_1)
	v_div_fixup_f32 v3, v2, v0, v1
	v_fmac_f32_e32 v0, v1, v3
	s_delay_alu instid0(VALU_DEP_1) | instskip(NEXT) | instid1(VALU_DEP_1)
	v_div_scale_f32 v1, null, v0, v0, 1.0
	v_rcp_f32_e32 v2, v1
	v_nop
	s_delay_alu instid0(TRANS32_DEP_1) | instskip(NEXT) | instid1(VALU_DEP_1)
	v_fma_f32 v4, -v1, v2, 1.0
	v_fmac_f32_e32 v2, v4, v2
	v_div_scale_f32 v4, vcc_lo, 1.0, v0, 1.0
	s_delay_alu instid0(VALU_DEP_1) | instskip(NEXT) | instid1(VALU_DEP_1)
	v_mul_f32_e32 v5, v4, v2
	v_fma_f32 v6, -v1, v5, v4
	s_delay_alu instid0(VALU_DEP_1) | instskip(NEXT) | instid1(VALU_DEP_1)
	v_fmac_f32_e32 v5, v6, v2
	v_fma_f32 v1, -v1, v5, v4
	s_delay_alu instid0(VALU_DEP_1) | instskip(NEXT) | instid1(VALU_DEP_1)
	v_div_fmas_f32 v1, v1, v2, v5
	v_div_fixup_f32 v2, v1, v0, 1.0
	s_delay_alu instid0(VALU_DEP_1)
	v_mul_f32_e64 v3, v3, -v2
.LBB99_142:
	s_or_b32 exec_lo, exec_lo, s1
	ds_store_b64 v87, v[2:3]
.LBB99_143:
	s_or_b32 exec_lo, exec_lo, s2
	s_wait_dscnt 0x0
	s_barrier_signal -1
	s_barrier_wait -1
	ds_load_b64 v[0:1], v87
	s_mov_b32 s1, exec_lo
	s_wait_dscnt 0x0
	scratch_store_b64 off, v[0:1], off offset:128 ; 8-byte Folded Spill
	s_wait_xcnt 0x0
	v_cmpx_lt_u32_e32 15, v86
	s_cbranch_execz .LBB99_145
; %bb.144:
	scratch_load_b64 v[4:5], off, off offset:128 ; 8-byte Folded Reload
	s_wait_loadcnt 0x0
	v_pk_mul_f32 v[2:3], v[4:5], v[48:49] op_sel:[1,1] op_sel_hi:[0,1]
	s_delay_alu instid0(VALU_DEP_1)
	v_pk_fma_f32 v[0:1], v[4:5], v[48:49], v[2:3] op_sel_hi:[1,0,1] neg_lo:[0,0,1] neg_hi:[0,0,1]
	v_pk_fma_f32 v[2:3], v[4:5], v[48:49], v[2:3] op_sel_hi:[1,0,1]
	ds_load_2addr_b64 v[4:7], v96 offset0:16 offset1:17
	v_dual_mov_b32 v48, v0 :: v_dual_mov_b32 v49, v3
	s_wait_dscnt 0x0
	v_pk_mul_f32 v[8:9], v[4:5], v[2:3] op_sel:[0,1]
	s_delay_alu instid0(VALU_DEP_1) | instskip(SKIP_1) | instid1(VALU_DEP_1)
	v_pk_fma_f32 v[10:11], v[4:5], v[0:1], v[8:9] op_sel:[0,0,1] op_sel_hi:[1,1,0] neg_lo:[0,0,1] neg_hi:[0,0,1]
	v_pk_fma_f32 v[4:5], v[4:5], v[0:1], v[8:9] op_sel:[0,0,1] op_sel_hi:[1,0,0]
	v_mov_b32_e32 v11, v5
	v_pk_mul_f32 v[4:5], v[6:7], v[2:3] op_sel:[0,1]
	s_delay_alu instid0(VALU_DEP_1) | instskip(SKIP_1) | instid1(VALU_DEP_1)
	v_pk_fma_f32 v[8:9], v[6:7], v[0:1], v[4:5] op_sel:[0,0,1] op_sel_hi:[1,1,0] neg_lo:[0,0,1] neg_hi:[0,0,1]
	v_pk_fma_f32 v[4:5], v[6:7], v[0:1], v[4:5] op_sel:[0,0,1] op_sel_hi:[1,0,0]
	v_mov_b32_e32 v9, v5
	ds_load_2addr_b64 v[4:7], v96 offset0:18 offset1:19
	v_pk_add_f32 v[78:79], v[78:79], v[10:11] neg_lo:[0,1] neg_hi:[0,1]
	v_pk_add_f32 v[74:75], v[74:75], v[8:9] neg_lo:[0,1] neg_hi:[0,1]
	s_wait_dscnt 0x0
	v_pk_mul_f32 v[8:9], v[4:5], v[2:3] op_sel:[0,1]
	s_delay_alu instid0(VALU_DEP_1) | instskip(SKIP_2) | instid1(VALU_DEP_2)
	v_pk_fma_f32 v[10:11], v[4:5], v[0:1], v[8:9] op_sel:[0,0,1] op_sel_hi:[1,1,0] neg_lo:[0,0,1] neg_hi:[0,0,1]
	v_pk_fma_f32 v[4:5], v[4:5], v[0:1], v[8:9] op_sel:[0,0,1] op_sel_hi:[1,0,0]
	v_dual_mul_f32 v8, v7, v3 :: v_dual_mov_b32 v4, v7
	v_dual_mov_b32 v11, v5 :: v_dual_mov_b32 v5, v6
	s_delay_alu instid0(VALU_DEP_2) | instskip(SKIP_1) | instid1(VALU_DEP_3)
	v_pk_fma_f32 v[8:9], v[6:7], v[48:49], v[8:9] op_sel_hi:[1,1,0] neg_lo:[0,0,1] neg_hi:[0,0,1]
	v_mul_f32_e32 v6, v7, v0
	v_pk_add_f32 v[76:77], v[76:77], v[10:11] neg_lo:[0,1] neg_hi:[0,1]
	s_delay_alu instid0(VALU_DEP_2) | instskip(NEXT) | instid1(VALU_DEP_1)
	v_pk_fma_f32 v[4:5], v[4:5], v[48:49], v[6:7] op_sel_hi:[1,1,0]
	v_mov_b32_e32 v9, v5
	ds_load_2addr_b64 v[4:7], v96 offset0:20 offset1:21
	v_pk_add_f32 v[72:73], v[72:73], v[8:9] neg_lo:[0,1] neg_hi:[0,1]
	s_wait_dscnt 0x0
	v_pk_mul_f32 v[8:9], v[4:5], v[2:3] op_sel:[0,1]
	s_delay_alu instid0(VALU_DEP_1) | instskip(SKIP_1) | instid1(VALU_DEP_1)
	v_pk_fma_f32 v[10:11], v[4:5], v[0:1], v[8:9] op_sel:[0,0,1] op_sel_hi:[1,1,0] neg_lo:[0,0,1] neg_hi:[0,0,1]
	v_pk_fma_f32 v[4:5], v[4:5], v[0:1], v[8:9] op_sel:[0,0,1] op_sel_hi:[1,0,0]
	v_mov_b32_e32 v11, v5
	v_pk_mul_f32 v[4:5], v[6:7], v[2:3] op_sel:[0,1]
	s_delay_alu instid0(VALU_DEP_1) | instskip(SKIP_1) | instid1(VALU_DEP_1)
	v_pk_fma_f32 v[8:9], v[6:7], v[0:1], v[4:5] op_sel:[0,0,1] op_sel_hi:[1,1,0] neg_lo:[0,0,1] neg_hi:[0,0,1]
	v_pk_fma_f32 v[4:5], v[6:7], v[0:1], v[4:5] op_sel:[0,0,1] op_sel_hi:[1,0,0]
	v_mov_b32_e32 v9, v5
	ds_load_2addr_b64 v[4:7], v96 offset0:22 offset1:23
	v_pk_add_f32 v[94:95], v[94:95], v[10:11] neg_lo:[0,1] neg_hi:[0,1]
	v_pk_add_f32 v[90:91], v[90:91], v[8:9] neg_lo:[0,1] neg_hi:[0,1]
	s_wait_dscnt 0x0
	v_pk_mul_f32 v[8:9], v[4:5], v[2:3] op_sel:[0,1]
	s_delay_alu instid0(VALU_DEP_1) | instskip(SKIP_1) | instid1(VALU_DEP_1)
	v_pk_fma_f32 v[10:11], v[4:5], v[0:1], v[8:9] op_sel:[0,0,1] op_sel_hi:[1,1,0] neg_lo:[0,0,1] neg_hi:[0,0,1]
	v_pk_fma_f32 v[4:5], v[4:5], v[0:1], v[8:9] op_sel:[0,0,1] op_sel_hi:[1,0,0]
	v_mov_b32_e32 v11, v5
	v_pk_mul_f32 v[4:5], v[6:7], v[2:3] op_sel:[0,1]
	s_delay_alu instid0(VALU_DEP_1) | instskip(SKIP_1) | instid1(VALU_DEP_1)
	v_pk_fma_f32 v[8:9], v[6:7], v[0:1], v[4:5] op_sel:[0,0,1] op_sel_hi:[1,1,0] neg_lo:[0,0,1] neg_hi:[0,0,1]
	v_pk_fma_f32 v[4:5], v[6:7], v[0:1], v[4:5] op_sel:[0,0,1] op_sel_hi:[1,0,0]
	v_mov_b32_e32 v9, v5
	ds_load_2addr_b64 v[4:7], v96 offset0:24 offset1:25
	v_pk_add_f32 v[92:93], v[92:93], v[10:11] neg_lo:[0,1] neg_hi:[0,1]
	v_pk_add_f32 v[88:89], v[88:89], v[8:9] neg_lo:[0,1] neg_hi:[0,1]
	s_wait_dscnt 0x0
	v_dual_mul_f32 v8, v5, v3 :: v_dual_mul_f32 v10, v5, v0
	s_delay_alu instid0(VALU_DEP_1) | instskip(NEXT) | instid1(VALU_DEP_2)
	v_pk_fma_f32 v[8:9], v[4:5], v[48:49], v[8:9] op_sel_hi:[1,1,0] neg_lo:[0,0,1] neg_hi:[0,0,1]
	v_pk_fma_f32 v[4:5], v[4:5], v[48:49], v[10:11] op_sel:[1,0,0] op_sel_hi:[0,1,0]
	s_delay_alu instid0(VALU_DEP_1) | instskip(SKIP_1) | instid1(VALU_DEP_2)
	v_mov_b32_e32 v9, v5
	v_pk_mul_f32 v[4:5], v[6:7], v[2:3] op_sel:[0,1]
	v_pk_add_f32 v[112:113], v[112:113], v[8:9] neg_lo:[0,1] neg_hi:[0,1]
	s_delay_alu instid0(VALU_DEP_2) | instskip(SKIP_1) | instid1(VALU_DEP_1)
	v_pk_fma_f32 v[8:9], v[6:7], v[0:1], v[4:5] op_sel:[0,0,1] op_sel_hi:[1,1,0] neg_lo:[0,0,1] neg_hi:[0,0,1]
	v_pk_fma_f32 v[4:5], v[6:7], v[0:1], v[4:5] op_sel:[0,0,1] op_sel_hi:[1,0,0]
	v_mov_b32_e32 v9, v5
	ds_load_2addr_b64 v[4:7], v96 offset0:26 offset1:27
	v_pk_add_f32 v[108:109], v[108:109], v[8:9] neg_lo:[0,1] neg_hi:[0,1]
	s_wait_dscnt 0x0
	v_pk_mul_f32 v[8:9], v[4:5], v[2:3] op_sel:[0,1]
	s_delay_alu instid0(VALU_DEP_1) | instskip(SKIP_1) | instid1(VALU_DEP_1)
	v_pk_fma_f32 v[10:11], v[4:5], v[0:1], v[8:9] op_sel:[0,0,1] op_sel_hi:[1,1,0] neg_lo:[0,0,1] neg_hi:[0,0,1]
	v_pk_fma_f32 v[4:5], v[4:5], v[0:1], v[8:9] op_sel:[0,0,1] op_sel_hi:[1,0,0]
	v_mov_b32_e32 v11, v5
	v_pk_mul_f32 v[4:5], v[6:7], v[2:3] op_sel:[0,1]
	s_delay_alu instid0(VALU_DEP_2) | instskip(NEXT) | instid1(VALU_DEP_2)
	v_pk_add_f32 v[110:111], v[110:111], v[10:11] neg_lo:[0,1] neg_hi:[0,1]
	v_pk_fma_f32 v[8:9], v[6:7], v[0:1], v[4:5] op_sel:[0,0,1] op_sel_hi:[1,1,0] neg_lo:[0,0,1] neg_hi:[0,0,1]
	v_pk_fma_f32 v[4:5], v[6:7], v[0:1], v[4:5] op_sel:[0,0,1] op_sel_hi:[1,0,0]
	s_delay_alu instid0(VALU_DEP_1) | instskip(SKIP_4) | instid1(VALU_DEP_1)
	v_mov_b32_e32 v9, v5
	ds_load_2addr_b64 v[4:7], v96 offset0:28 offset1:29
	v_pk_add_f32 v[106:107], v[106:107], v[8:9] neg_lo:[0,1] neg_hi:[0,1]
	s_wait_dscnt 0x0
	v_pk_mul_f32 v[8:9], v[4:5], v[2:3] op_sel:[0,1]
	v_pk_fma_f32 v[10:11], v[4:5], v[0:1], v[8:9] op_sel:[0,0,1] op_sel_hi:[1,1,0] neg_lo:[0,0,1] neg_hi:[0,0,1]
	v_pk_fma_f32 v[4:5], v[4:5], v[0:1], v[8:9] op_sel:[0,0,1] op_sel_hi:[1,0,0]
	v_dual_mul_f32 v8, v7, v3 :: v_dual_mov_b32 v4, v7
	s_delay_alu instid0(VALU_DEP_2) | instskip(NEXT) | instid1(VALU_DEP_2)
	v_dual_mov_b32 v11, v5 :: v_dual_mov_b32 v5, v6
	v_pk_fma_f32 v[8:9], v[6:7], v[48:49], v[8:9] op_sel_hi:[1,1,0] neg_lo:[0,0,1] neg_hi:[0,0,1]
	v_mul_f32_e32 v6, v7, v0
	s_delay_alu instid0(VALU_DEP_3) | instskip(NEXT) | instid1(VALU_DEP_2)
	v_pk_add_f32 v[128:129], v[128:129], v[10:11] neg_lo:[0,1] neg_hi:[0,1]
	v_pk_fma_f32 v[4:5], v[4:5], v[48:49], v[6:7] op_sel_hi:[1,1,0]
	s_delay_alu instid0(VALU_DEP_1) | instskip(SKIP_4) | instid1(VALU_DEP_1)
	v_mov_b32_e32 v9, v5
	ds_load_2addr_b64 v[4:7], v96 offset0:30 offset1:31
	v_pk_add_f32 v[124:125], v[124:125], v[8:9] neg_lo:[0,1] neg_hi:[0,1]
	s_wait_dscnt 0x0
	v_pk_mul_f32 v[8:9], v[4:5], v[2:3] op_sel:[0,1]
	v_pk_fma_f32 v[10:11], v[4:5], v[0:1], v[8:9] op_sel:[0,0,1] op_sel_hi:[1,1,0] neg_lo:[0,0,1] neg_hi:[0,0,1]
	v_pk_fma_f32 v[4:5], v[4:5], v[0:1], v[8:9] op_sel:[0,0,1] op_sel_hi:[1,0,0]
	s_delay_alu instid0(VALU_DEP_1) | instskip(SKIP_1) | instid1(VALU_DEP_1)
	v_mov_b32_e32 v11, v5
	v_pk_mul_f32 v[4:5], v[6:7], v[2:3] op_sel:[0,1]
	v_pk_fma_f32 v[8:9], v[6:7], v[0:1], v[4:5] op_sel:[0,0,1] op_sel_hi:[1,1,0] neg_lo:[0,0,1] neg_hi:[0,0,1]
	v_pk_fma_f32 v[4:5], v[6:7], v[0:1], v[4:5] op_sel:[0,0,1] op_sel_hi:[1,0,0]
	s_delay_alu instid0(VALU_DEP_1)
	v_mov_b32_e32 v9, v5
	ds_load_2addr_b64 v[4:7], v96 offset0:32 offset1:33
	v_pk_add_f32 v[126:127], v[126:127], v[10:11] neg_lo:[0,1] neg_hi:[0,1]
	v_pk_add_f32 v[122:123], v[122:123], v[8:9] neg_lo:[0,1] neg_hi:[0,1]
	s_wait_dscnt 0x0
	v_pk_mul_f32 v[8:9], v[4:5], v[2:3] op_sel:[0,1]
	s_delay_alu instid0(VALU_DEP_1) | instskip(SKIP_1) | instid1(VALU_DEP_1)
	v_pk_fma_f32 v[10:11], v[4:5], v[0:1], v[8:9] op_sel:[0,0,1] op_sel_hi:[1,1,0] neg_lo:[0,0,1] neg_hi:[0,0,1]
	v_pk_fma_f32 v[4:5], v[4:5], v[0:1], v[8:9] op_sel:[0,0,1] op_sel_hi:[1,0,0]
	v_mov_b32_e32 v11, v5
	v_pk_mul_f32 v[4:5], v[6:7], v[2:3] op_sel:[0,1]
	s_delay_alu instid0(VALU_DEP_1) | instskip(SKIP_1) | instid1(VALU_DEP_1)
	v_pk_fma_f32 v[8:9], v[6:7], v[0:1], v[4:5] op_sel:[0,0,1] op_sel_hi:[1,1,0] neg_lo:[0,0,1] neg_hi:[0,0,1]
	v_pk_fma_f32 v[4:5], v[6:7], v[0:1], v[4:5] op_sel:[0,0,1] op_sel_hi:[1,0,0]
	v_mov_b32_e32 v9, v5
	ds_load_2addr_b64 v[4:7], v96 offset0:34 offset1:35
	v_pk_add_f32 v[144:145], v[144:145], v[10:11] neg_lo:[0,1] neg_hi:[0,1]
	v_pk_add_f32 v[140:141], v[140:141], v[8:9] neg_lo:[0,1] neg_hi:[0,1]
	s_wait_dscnt 0x0
	v_dual_mul_f32 v8, v5, v3 :: v_dual_mul_f32 v10, v5, v0
	s_delay_alu instid0(VALU_DEP_1) | instskip(NEXT) | instid1(VALU_DEP_2)
	v_pk_fma_f32 v[8:9], v[4:5], v[48:49], v[8:9] op_sel_hi:[1,1,0] neg_lo:[0,0,1] neg_hi:[0,0,1]
	v_pk_fma_f32 v[4:5], v[4:5], v[48:49], v[10:11] op_sel:[1,0,0] op_sel_hi:[0,1,0]
	s_delay_alu instid0(VALU_DEP_1) | instskip(SKIP_1) | instid1(VALU_DEP_2)
	v_mov_b32_e32 v9, v5
	v_pk_mul_f32 v[4:5], v[6:7], v[2:3] op_sel:[0,1]
	v_pk_add_f32 v[142:143], v[142:143], v[8:9] neg_lo:[0,1] neg_hi:[0,1]
	s_delay_alu instid0(VALU_DEP_2) | instskip(SKIP_1) | instid1(VALU_DEP_1)
	v_pk_fma_f32 v[8:9], v[6:7], v[0:1], v[4:5] op_sel:[0,0,1] op_sel_hi:[1,1,0] neg_lo:[0,0,1] neg_hi:[0,0,1]
	v_pk_fma_f32 v[4:5], v[6:7], v[0:1], v[4:5] op_sel:[0,0,1] op_sel_hi:[1,0,0]
	v_mov_b32_e32 v9, v5
	ds_load_2addr_b64 v[4:7], v96 offset0:36 offset1:37
	v_pk_add_f32 v[138:139], v[138:139], v[8:9] neg_lo:[0,1] neg_hi:[0,1]
	s_wait_dscnt 0x0
	v_pk_mul_f32 v[8:9], v[4:5], v[2:3] op_sel:[0,1]
	s_delay_alu instid0(VALU_DEP_1) | instskip(SKIP_1) | instid1(VALU_DEP_1)
	v_pk_fma_f32 v[10:11], v[4:5], v[0:1], v[8:9] op_sel:[0,0,1] op_sel_hi:[1,1,0] neg_lo:[0,0,1] neg_hi:[0,0,1]
	v_pk_fma_f32 v[4:5], v[4:5], v[0:1], v[8:9] op_sel:[0,0,1] op_sel_hi:[1,0,0]
	v_mov_b32_e32 v11, v5
	v_pk_mul_f32 v[4:5], v[6:7], v[2:3] op_sel:[0,1]
	s_delay_alu instid0(VALU_DEP_2) | instskip(NEXT) | instid1(VALU_DEP_2)
	v_pk_add_f32 v[162:163], v[162:163], v[10:11] neg_lo:[0,1] neg_hi:[0,1]
	v_pk_fma_f32 v[8:9], v[6:7], v[0:1], v[4:5] op_sel:[0,0,1] op_sel_hi:[1,1,0] neg_lo:[0,0,1] neg_hi:[0,0,1]
	v_pk_fma_f32 v[4:5], v[6:7], v[0:1], v[4:5] op_sel:[0,0,1] op_sel_hi:[1,0,0]
	s_delay_alu instid0(VALU_DEP_1) | instskip(SKIP_4) | instid1(VALU_DEP_1)
	v_mov_b32_e32 v9, v5
	ds_load_2addr_b64 v[4:7], v96 offset0:38 offset1:39
	v_pk_add_f32 v[158:159], v[158:159], v[8:9] neg_lo:[0,1] neg_hi:[0,1]
	s_wait_dscnt 0x0
	v_pk_mul_f32 v[8:9], v[4:5], v[2:3] op_sel:[0,1]
	v_pk_fma_f32 v[10:11], v[4:5], v[0:1], v[8:9] op_sel:[0,0,1] op_sel_hi:[1,1,0] neg_lo:[0,0,1] neg_hi:[0,0,1]
	v_pk_fma_f32 v[4:5], v[4:5], v[0:1], v[8:9] op_sel:[0,0,1] op_sel_hi:[1,0,0]
	v_dual_mul_f32 v8, v7, v3 :: v_dual_mov_b32 v4, v7
	s_delay_alu instid0(VALU_DEP_2) | instskip(NEXT) | instid1(VALU_DEP_2)
	v_dual_mov_b32 v11, v5 :: v_dual_mov_b32 v5, v6
	v_pk_fma_f32 v[8:9], v[6:7], v[48:49], v[8:9] op_sel_hi:[1,1,0] neg_lo:[0,0,1] neg_hi:[0,0,1]
	v_mul_f32_e32 v6, v7, v0
	s_delay_alu instid0(VALU_DEP_3) | instskip(NEXT) | instid1(VALU_DEP_2)
	v_pk_add_f32 v[160:161], v[160:161], v[10:11] neg_lo:[0,1] neg_hi:[0,1]
	v_pk_fma_f32 v[4:5], v[4:5], v[48:49], v[6:7] op_sel_hi:[1,1,0]
	s_delay_alu instid0(VALU_DEP_1) | instskip(SKIP_4) | instid1(VALU_DEP_1)
	v_mov_b32_e32 v9, v5
	ds_load_2addr_b64 v[4:7], v96 offset0:40 offset1:41
	v_pk_add_f32 v[156:157], v[156:157], v[8:9] neg_lo:[0,1] neg_hi:[0,1]
	s_wait_dscnt 0x0
	v_pk_mul_f32 v[8:9], v[4:5], v[2:3] op_sel:[0,1]
	v_pk_fma_f32 v[10:11], v[4:5], v[0:1], v[8:9] op_sel:[0,0,1] op_sel_hi:[1,1,0] neg_lo:[0,0,1] neg_hi:[0,0,1]
	v_pk_fma_f32 v[4:5], v[4:5], v[0:1], v[8:9] op_sel:[0,0,1] op_sel_hi:[1,0,0]
	s_delay_alu instid0(VALU_DEP_1) | instskip(SKIP_1) | instid1(VALU_DEP_1)
	v_mov_b32_e32 v11, v5
	v_pk_mul_f32 v[4:5], v[6:7], v[2:3] op_sel:[0,1]
	v_pk_fma_f32 v[8:9], v[6:7], v[0:1], v[4:5] op_sel:[0,0,1] op_sel_hi:[1,1,0] neg_lo:[0,0,1] neg_hi:[0,0,1]
	v_pk_fma_f32 v[4:5], v[6:7], v[0:1], v[4:5] op_sel:[0,0,1] op_sel_hi:[1,0,0]
	s_delay_alu instid0(VALU_DEP_1)
	v_mov_b32_e32 v9, v5
	ds_load_2addr_b64 v[4:7], v96 offset0:42 offset1:43
	v_pk_add_f32 v[180:181], v[180:181], v[10:11] neg_lo:[0,1] neg_hi:[0,1]
	v_pk_add_f32 v[176:177], v[176:177], v[8:9] neg_lo:[0,1] neg_hi:[0,1]
	s_wait_dscnt 0x0
	v_pk_mul_f32 v[8:9], v[4:5], v[2:3] op_sel:[0,1]
	s_delay_alu instid0(VALU_DEP_1) | instskip(SKIP_1) | instid1(VALU_DEP_1)
	v_pk_fma_f32 v[10:11], v[4:5], v[0:1], v[8:9] op_sel:[0,0,1] op_sel_hi:[1,1,0] neg_lo:[0,0,1] neg_hi:[0,0,1]
	v_pk_fma_f32 v[4:5], v[4:5], v[0:1], v[8:9] op_sel:[0,0,1] op_sel_hi:[1,0,0]
	v_mov_b32_e32 v11, v5
	v_pk_mul_f32 v[4:5], v[6:7], v[2:3] op_sel:[0,1]
	s_delay_alu instid0(VALU_DEP_1) | instskip(SKIP_1) | instid1(VALU_DEP_1)
	v_pk_fma_f32 v[8:9], v[6:7], v[0:1], v[4:5] op_sel:[0,0,1] op_sel_hi:[1,1,0] neg_lo:[0,0,1] neg_hi:[0,0,1]
	v_pk_fma_f32 v[4:5], v[6:7], v[0:1], v[4:5] op_sel:[0,0,1] op_sel_hi:[1,0,0]
	v_mov_b32_e32 v9, v5
	ds_load_2addr_b64 v[4:7], v96 offset0:44 offset1:45
	v_pk_add_f32 v[178:179], v[178:179], v[10:11] neg_lo:[0,1] neg_hi:[0,1]
	v_pk_add_f32 v[174:175], v[174:175], v[8:9] neg_lo:[0,1] neg_hi:[0,1]
	s_wait_dscnt 0x0
	v_dual_mul_f32 v8, v5, v3 :: v_dual_mul_f32 v10, v5, v0
	s_delay_alu instid0(VALU_DEP_1) | instskip(NEXT) | instid1(VALU_DEP_2)
	v_pk_fma_f32 v[8:9], v[4:5], v[48:49], v[8:9] op_sel_hi:[1,1,0] neg_lo:[0,0,1] neg_hi:[0,0,1]
	v_pk_fma_f32 v[4:5], v[4:5], v[48:49], v[10:11] op_sel:[1,0,0] op_sel_hi:[0,1,0]
	s_delay_alu instid0(VALU_DEP_1) | instskip(SKIP_1) | instid1(VALU_DEP_2)
	v_mov_b32_e32 v9, v5
	v_pk_mul_f32 v[4:5], v[6:7], v[2:3] op_sel:[0,1]
	v_pk_add_f32 v[196:197], v[196:197], v[8:9] neg_lo:[0,1] neg_hi:[0,1]
	s_delay_alu instid0(VALU_DEP_2) | instskip(SKIP_1) | instid1(VALU_DEP_1)
	v_pk_fma_f32 v[8:9], v[6:7], v[0:1], v[4:5] op_sel:[0,0,1] op_sel_hi:[1,1,0] neg_lo:[0,0,1] neg_hi:[0,0,1]
	v_pk_fma_f32 v[4:5], v[6:7], v[0:1], v[4:5] op_sel:[0,0,1] op_sel_hi:[1,0,0]
	v_mov_b32_e32 v9, v5
	ds_load_2addr_b64 v[4:7], v96 offset0:46 offset1:47
	v_pk_add_f32 v[192:193], v[192:193], v[8:9] neg_lo:[0,1] neg_hi:[0,1]
	s_wait_dscnt 0x0
	v_pk_mul_f32 v[8:9], v[4:5], v[2:3] op_sel:[0,1]
	s_delay_alu instid0(VALU_DEP_1) | instskip(SKIP_1) | instid1(VALU_DEP_1)
	v_pk_fma_f32 v[10:11], v[4:5], v[0:1], v[8:9] op_sel:[0,0,1] op_sel_hi:[1,1,0] neg_lo:[0,0,1] neg_hi:[0,0,1]
	v_pk_fma_f32 v[4:5], v[4:5], v[0:1], v[8:9] op_sel:[0,0,1] op_sel_hi:[1,0,0]
	v_mov_b32_e32 v11, v5
	v_pk_mul_f32 v[4:5], v[6:7], v[2:3] op_sel:[0,1]
	s_delay_alu instid0(VALU_DEP_2) | instskip(NEXT) | instid1(VALU_DEP_2)
	v_pk_add_f32 v[194:195], v[194:195], v[10:11] neg_lo:[0,1] neg_hi:[0,1]
	v_pk_fma_f32 v[8:9], v[6:7], v[0:1], v[4:5] op_sel:[0,0,1] op_sel_hi:[1,1,0] neg_lo:[0,0,1] neg_hi:[0,0,1]
	v_pk_fma_f32 v[4:5], v[6:7], v[0:1], v[4:5] op_sel:[0,0,1] op_sel_hi:[1,0,0]
	s_delay_alu instid0(VALU_DEP_1)
	v_mov_b32_e32 v9, v5
	ds_load_2addr_b64 v[4:7], v96 offset0:48 offset1:49
	v_pk_add_f32 v[190:191], v[190:191], v[8:9] neg_lo:[0,1] neg_hi:[0,1]
	s_wait_dscnt 0x0
	v_pk_mul_f32 v[8:9], v[4:5], v[2:3] op_sel:[0,1]
	v_pk_mul_f32 v[2:3], v[6:7], v[2:3] op_sel:[0,1]
	s_delay_alu instid0(VALU_DEP_2) | instskip(SKIP_1) | instid1(VALU_DEP_1)
	v_pk_fma_f32 v[10:11], v[4:5], v[0:1], v[8:9] op_sel:[0,0,1] op_sel_hi:[1,1,0] neg_lo:[0,0,1] neg_hi:[0,0,1]
	v_pk_fma_f32 v[4:5], v[4:5], v[0:1], v[8:9] op_sel:[0,0,1] op_sel_hi:[1,0,0]
	v_mov_b32_e32 v11, v5
	s_delay_alu instid0(VALU_DEP_4) | instskip(SKIP_1) | instid1(VALU_DEP_3)
	v_pk_fma_f32 v[4:5], v[6:7], v[0:1], v[2:3] op_sel:[0,0,1] op_sel_hi:[1,1,0] neg_lo:[0,0,1] neg_hi:[0,0,1]
	v_pk_fma_f32 v[0:1], v[6:7], v[0:1], v[2:3] op_sel:[0,0,1] op_sel_hi:[1,0,0]
	v_pk_add_f32 v[198:199], v[198:199], v[10:11] neg_lo:[0,1] neg_hi:[0,1]
	s_delay_alu instid0(VALU_DEP_2) | instskip(NEXT) | instid1(VALU_DEP_1)
	v_mov_b32_e32 v5, v1
	v_pk_add_f32 v[200:201], v[200:201], v[4:5] neg_lo:[0,1] neg_hi:[0,1]
.LBB99_145:
	s_wait_xcnt 0x0
	s_or_b32 exec_lo, exec_lo, s1
	s_delay_alu instid0(SALU_CYCLE_1)
	s_mov_b32 s2, exec_lo
	s_wait_storecnt 0x0
	s_barrier_signal -1
	s_barrier_wait -1
	v_cmpx_eq_u32_e32 16, v86
	s_cbranch_execz .LBB99_152
; %bb.146:
	ds_store_b64 v87, v[78:79]
	ds_store_2addr_b64 v96, v[74:75], v[76:77] offset0:17 offset1:18
	ds_store_2addr_b64 v96, v[72:73], v[94:95] offset0:19 offset1:20
	;; [unrolled: 1-line block ×16, first 2 shown]
	ds_store_b64 v96, v[200:201] offset:392
	ds_load_b64 v[0:1], v87
	s_wait_dscnt 0x0
	v_cmp_neq_f32_e32 vcc_lo, 0, v0
	v_cmp_neq_f32_e64 s1, 0, v1
	s_or_b32 s1, vcc_lo, s1
	s_delay_alu instid0(SALU_CYCLE_1)
	s_and_b32 exec_lo, exec_lo, s1
	s_cbranch_execz .LBB99_152
; %bb.147:
	v_cmp_ngt_f32_e64 s1, |v0|, |v1|
                                        ; implicit-def: $vgpr2_vgpr3
	s_and_saveexec_b32 s4, s1
	s_delay_alu instid0(SALU_CYCLE_1)
	s_xor_b32 s1, exec_lo, s4
	s_cbranch_execz .LBB99_149
; %bb.148:
	v_div_scale_f32 v2, null, v1, v1, v0
	v_div_scale_f32 v5, vcc_lo, v0, v1, v0
	s_delay_alu instid0(VALU_DEP_2) | instskip(SKIP_1) | instid1(TRANS32_DEP_1)
	v_rcp_f32_e32 v3, v2
	v_nop
	v_fma_f32 v4, -v2, v3, 1.0
	s_delay_alu instid0(VALU_DEP_1) | instskip(NEXT) | instid1(VALU_DEP_1)
	v_fmac_f32_e32 v3, v4, v3
	v_mul_f32_e32 v4, v5, v3
	s_delay_alu instid0(VALU_DEP_1) | instskip(NEXT) | instid1(VALU_DEP_1)
	v_fma_f32 v6, -v2, v4, v5
	v_fmac_f32_e32 v4, v6, v3
	s_delay_alu instid0(VALU_DEP_1) | instskip(NEXT) | instid1(VALU_DEP_1)
	v_fma_f32 v2, -v2, v4, v5
	v_div_fmas_f32 v2, v2, v3, v4
	s_delay_alu instid0(VALU_DEP_1) | instskip(NEXT) | instid1(VALU_DEP_1)
	v_div_fixup_f32 v2, v2, v1, v0
	v_fmac_f32_e32 v1, v0, v2
	s_delay_alu instid0(VALU_DEP_1) | instskip(SKIP_1) | instid1(VALU_DEP_2)
	v_div_scale_f32 v0, null, v1, v1, 1.0
	v_div_scale_f32 v5, vcc_lo, 1.0, v1, 1.0
	v_rcp_f32_e32 v3, v0
	v_nop
	s_delay_alu instid0(TRANS32_DEP_1) | instskip(NEXT) | instid1(VALU_DEP_1)
	v_fma_f32 v4, -v0, v3, 1.0
	v_fmac_f32_e32 v3, v4, v3
	s_delay_alu instid0(VALU_DEP_1) | instskip(NEXT) | instid1(VALU_DEP_1)
	v_mul_f32_e32 v4, v5, v3
	v_fma_f32 v6, -v0, v4, v5
	s_delay_alu instid0(VALU_DEP_1) | instskip(NEXT) | instid1(VALU_DEP_1)
	v_fmac_f32_e32 v4, v6, v3
	v_fma_f32 v0, -v0, v4, v5
	s_delay_alu instid0(VALU_DEP_1) | instskip(NEXT) | instid1(VALU_DEP_1)
	v_div_fmas_f32 v0, v0, v3, v4
	v_div_fixup_f32 v0, v0, v1, 1.0
	s_delay_alu instid0(VALU_DEP_1)
	v_mul_f32_e32 v2, v2, v0
	v_xor_b32_e32 v3, 0x80000000, v0
                                        ; implicit-def: $vgpr0_vgpr1
.LBB99_149:
	s_and_not1_saveexec_b32 s1, s1
	s_cbranch_execz .LBB99_151
; %bb.150:
	v_div_scale_f32 v2, null, v0, v0, v1
	v_div_scale_f32 v5, vcc_lo, v1, v0, v1
	s_delay_alu instid0(VALU_DEP_2) | instskip(SKIP_1) | instid1(TRANS32_DEP_1)
	v_rcp_f32_e32 v3, v2
	v_nop
	v_fma_f32 v4, -v2, v3, 1.0
	s_delay_alu instid0(VALU_DEP_1) | instskip(NEXT) | instid1(VALU_DEP_1)
	v_fmac_f32_e32 v3, v4, v3
	v_mul_f32_e32 v4, v5, v3
	s_delay_alu instid0(VALU_DEP_1) | instskip(NEXT) | instid1(VALU_DEP_1)
	v_fma_f32 v6, -v2, v4, v5
	v_fmac_f32_e32 v4, v6, v3
	s_delay_alu instid0(VALU_DEP_1) | instskip(NEXT) | instid1(VALU_DEP_1)
	v_fma_f32 v2, -v2, v4, v5
	v_div_fmas_f32 v2, v2, v3, v4
	s_delay_alu instid0(VALU_DEP_1) | instskip(NEXT) | instid1(VALU_DEP_1)
	v_div_fixup_f32 v3, v2, v0, v1
	v_fmac_f32_e32 v0, v1, v3
	s_delay_alu instid0(VALU_DEP_1) | instskip(NEXT) | instid1(VALU_DEP_1)
	v_div_scale_f32 v1, null, v0, v0, 1.0
	v_rcp_f32_e32 v2, v1
	v_nop
	s_delay_alu instid0(TRANS32_DEP_1) | instskip(NEXT) | instid1(VALU_DEP_1)
	v_fma_f32 v4, -v1, v2, 1.0
	v_fmac_f32_e32 v2, v4, v2
	v_div_scale_f32 v4, vcc_lo, 1.0, v0, 1.0
	s_delay_alu instid0(VALU_DEP_1) | instskip(NEXT) | instid1(VALU_DEP_1)
	v_mul_f32_e32 v5, v4, v2
	v_fma_f32 v6, -v1, v5, v4
	s_delay_alu instid0(VALU_DEP_1) | instskip(NEXT) | instid1(VALU_DEP_1)
	v_fmac_f32_e32 v5, v6, v2
	v_fma_f32 v1, -v1, v5, v4
	s_delay_alu instid0(VALU_DEP_1) | instskip(NEXT) | instid1(VALU_DEP_1)
	v_div_fmas_f32 v1, v1, v2, v5
	v_div_fixup_f32 v2, v1, v0, 1.0
	s_delay_alu instid0(VALU_DEP_1)
	v_mul_f32_e64 v3, v3, -v2
.LBB99_151:
	s_or_b32 exec_lo, exec_lo, s1
	ds_store_b64 v87, v[2:3]
.LBB99_152:
	s_or_b32 exec_lo, exec_lo, s2
	s_wait_dscnt 0x0
	s_barrier_signal -1
	s_barrier_wait -1
	ds_load_b64 v[0:1], v87
	s_mov_b32 s1, exec_lo
	s_wait_dscnt 0x0
	scratch_store_b64 off, v[0:1], off offset:136 ; 8-byte Folded Spill
	s_wait_xcnt 0x0
	v_cmpx_lt_u32_e32 16, v86
	s_cbranch_execz .LBB99_154
; %bb.153:
	scratch_load_b64 v[4:5], off, off offset:136 ; 8-byte Folded Reload
	s_wait_loadcnt 0x0
	v_pk_mul_f32 v[2:3], v[4:5], v[78:79] op_sel:[1,1] op_sel_hi:[0,1]
	s_delay_alu instid0(VALU_DEP_1)
	v_pk_fma_f32 v[0:1], v[4:5], v[78:79], v[2:3] op_sel_hi:[1,0,1] neg_lo:[0,0,1] neg_hi:[0,0,1]
	v_pk_fma_f32 v[2:3], v[4:5], v[78:79], v[2:3] op_sel_hi:[1,0,1]
	ds_load_2addr_b64 v[4:7], v96 offset0:17 offset1:18
	v_dual_mov_b32 v78, v0 :: v_dual_mov_b32 v79, v3
	s_wait_dscnt 0x0
	v_pk_mul_f32 v[8:9], v[4:5], v[2:3] op_sel:[0,1]
	s_delay_alu instid0(VALU_DEP_1) | instskip(SKIP_1) | instid1(VALU_DEP_1)
	v_pk_fma_f32 v[10:11], v[4:5], v[0:1], v[8:9] op_sel:[0,0,1] op_sel_hi:[1,1,0] neg_lo:[0,0,1] neg_hi:[0,0,1]
	v_pk_fma_f32 v[4:5], v[4:5], v[0:1], v[8:9] op_sel:[0,0,1] op_sel_hi:[1,0,0]
	v_mov_b32_e32 v11, v5
	v_pk_mul_f32 v[4:5], v[6:7], v[2:3] op_sel:[0,1]
	s_delay_alu instid0(VALU_DEP_1) | instskip(SKIP_1) | instid1(VALU_DEP_1)
	v_pk_fma_f32 v[8:9], v[6:7], v[0:1], v[4:5] op_sel:[0,0,1] op_sel_hi:[1,1,0] neg_lo:[0,0,1] neg_hi:[0,0,1]
	v_pk_fma_f32 v[4:5], v[6:7], v[0:1], v[4:5] op_sel:[0,0,1] op_sel_hi:[1,0,0]
	v_mov_b32_e32 v9, v5
	ds_load_2addr_b64 v[4:7], v96 offset0:19 offset1:20
	v_pk_add_f32 v[74:75], v[74:75], v[10:11] neg_lo:[0,1] neg_hi:[0,1]
	v_pk_add_f32 v[76:77], v[76:77], v[8:9] neg_lo:[0,1] neg_hi:[0,1]
	s_wait_dscnt 0x0
	v_pk_mul_f32 v[8:9], v[4:5], v[2:3] op_sel:[0,1]
	s_delay_alu instid0(VALU_DEP_1) | instskip(SKIP_2) | instid1(VALU_DEP_2)
	v_pk_fma_f32 v[10:11], v[4:5], v[0:1], v[8:9] op_sel:[0,0,1] op_sel_hi:[1,1,0] neg_lo:[0,0,1] neg_hi:[0,0,1]
	v_pk_fma_f32 v[4:5], v[4:5], v[0:1], v[8:9] op_sel:[0,0,1] op_sel_hi:[1,0,0]
	v_dual_mul_f32 v8, v7, v3 :: v_dual_mov_b32 v4, v7
	v_dual_mov_b32 v11, v5 :: v_dual_mov_b32 v5, v6
	s_delay_alu instid0(VALU_DEP_2) | instskip(SKIP_1) | instid1(VALU_DEP_3)
	v_pk_fma_f32 v[8:9], v[6:7], v[78:79], v[8:9] op_sel_hi:[1,1,0] neg_lo:[0,0,1] neg_hi:[0,0,1]
	v_mul_f32_e32 v6, v7, v0
	v_pk_add_f32 v[72:73], v[72:73], v[10:11] neg_lo:[0,1] neg_hi:[0,1]
	s_delay_alu instid0(VALU_DEP_2) | instskip(NEXT) | instid1(VALU_DEP_1)
	v_pk_fma_f32 v[4:5], v[4:5], v[78:79], v[6:7] op_sel_hi:[1,1,0]
	v_mov_b32_e32 v9, v5
	ds_load_2addr_b64 v[4:7], v96 offset0:21 offset1:22
	v_pk_add_f32 v[94:95], v[94:95], v[8:9] neg_lo:[0,1] neg_hi:[0,1]
	s_wait_dscnt 0x0
	v_pk_mul_f32 v[8:9], v[4:5], v[2:3] op_sel:[0,1]
	s_delay_alu instid0(VALU_DEP_1) | instskip(SKIP_1) | instid1(VALU_DEP_1)
	v_pk_fma_f32 v[10:11], v[4:5], v[0:1], v[8:9] op_sel:[0,0,1] op_sel_hi:[1,1,0] neg_lo:[0,0,1] neg_hi:[0,0,1]
	v_pk_fma_f32 v[4:5], v[4:5], v[0:1], v[8:9] op_sel:[0,0,1] op_sel_hi:[1,0,0]
	v_mov_b32_e32 v11, v5
	v_pk_mul_f32 v[4:5], v[6:7], v[2:3] op_sel:[0,1]
	s_delay_alu instid0(VALU_DEP_1) | instskip(SKIP_1) | instid1(VALU_DEP_1)
	v_pk_fma_f32 v[8:9], v[6:7], v[0:1], v[4:5] op_sel:[0,0,1] op_sel_hi:[1,1,0] neg_lo:[0,0,1] neg_hi:[0,0,1]
	v_pk_fma_f32 v[4:5], v[6:7], v[0:1], v[4:5] op_sel:[0,0,1] op_sel_hi:[1,0,0]
	v_mov_b32_e32 v9, v5
	ds_load_2addr_b64 v[4:7], v96 offset0:23 offset1:24
	v_pk_add_f32 v[90:91], v[90:91], v[10:11] neg_lo:[0,1] neg_hi:[0,1]
	v_pk_add_f32 v[92:93], v[92:93], v[8:9] neg_lo:[0,1] neg_hi:[0,1]
	s_wait_dscnt 0x0
	v_pk_mul_f32 v[8:9], v[4:5], v[2:3] op_sel:[0,1]
	s_delay_alu instid0(VALU_DEP_1) | instskip(SKIP_1) | instid1(VALU_DEP_1)
	v_pk_fma_f32 v[10:11], v[4:5], v[0:1], v[8:9] op_sel:[0,0,1] op_sel_hi:[1,1,0] neg_lo:[0,0,1] neg_hi:[0,0,1]
	v_pk_fma_f32 v[4:5], v[4:5], v[0:1], v[8:9] op_sel:[0,0,1] op_sel_hi:[1,0,0]
	v_mov_b32_e32 v11, v5
	v_pk_mul_f32 v[4:5], v[6:7], v[2:3] op_sel:[0,1]
	s_delay_alu instid0(VALU_DEP_1) | instskip(SKIP_1) | instid1(VALU_DEP_1)
	v_pk_fma_f32 v[8:9], v[6:7], v[0:1], v[4:5] op_sel:[0,0,1] op_sel_hi:[1,1,0] neg_lo:[0,0,1] neg_hi:[0,0,1]
	v_pk_fma_f32 v[4:5], v[6:7], v[0:1], v[4:5] op_sel:[0,0,1] op_sel_hi:[1,0,0]
	v_mov_b32_e32 v9, v5
	ds_load_2addr_b64 v[4:7], v96 offset0:25 offset1:26
	v_pk_add_f32 v[88:89], v[88:89], v[10:11] neg_lo:[0,1] neg_hi:[0,1]
	v_pk_add_f32 v[112:113], v[112:113], v[8:9] neg_lo:[0,1] neg_hi:[0,1]
	s_wait_dscnt 0x0
	v_dual_mul_f32 v8, v5, v3 :: v_dual_mul_f32 v10, v5, v0
	s_delay_alu instid0(VALU_DEP_1) | instskip(NEXT) | instid1(VALU_DEP_2)
	v_pk_fma_f32 v[8:9], v[4:5], v[78:79], v[8:9] op_sel_hi:[1,1,0] neg_lo:[0,0,1] neg_hi:[0,0,1]
	v_pk_fma_f32 v[4:5], v[4:5], v[78:79], v[10:11] op_sel:[1,0,0] op_sel_hi:[0,1,0]
	s_delay_alu instid0(VALU_DEP_1) | instskip(SKIP_1) | instid1(VALU_DEP_2)
	v_mov_b32_e32 v9, v5
	v_pk_mul_f32 v[4:5], v[6:7], v[2:3] op_sel:[0,1]
	v_pk_add_f32 v[108:109], v[108:109], v[8:9] neg_lo:[0,1] neg_hi:[0,1]
	s_delay_alu instid0(VALU_DEP_2) | instskip(SKIP_1) | instid1(VALU_DEP_1)
	v_pk_fma_f32 v[8:9], v[6:7], v[0:1], v[4:5] op_sel:[0,0,1] op_sel_hi:[1,1,0] neg_lo:[0,0,1] neg_hi:[0,0,1]
	v_pk_fma_f32 v[4:5], v[6:7], v[0:1], v[4:5] op_sel:[0,0,1] op_sel_hi:[1,0,0]
	v_mov_b32_e32 v9, v5
	ds_load_2addr_b64 v[4:7], v96 offset0:27 offset1:28
	v_pk_add_f32 v[110:111], v[110:111], v[8:9] neg_lo:[0,1] neg_hi:[0,1]
	s_wait_dscnt 0x0
	v_pk_mul_f32 v[8:9], v[4:5], v[2:3] op_sel:[0,1]
	s_delay_alu instid0(VALU_DEP_1) | instskip(SKIP_1) | instid1(VALU_DEP_1)
	v_pk_fma_f32 v[10:11], v[4:5], v[0:1], v[8:9] op_sel:[0,0,1] op_sel_hi:[1,1,0] neg_lo:[0,0,1] neg_hi:[0,0,1]
	v_pk_fma_f32 v[4:5], v[4:5], v[0:1], v[8:9] op_sel:[0,0,1] op_sel_hi:[1,0,0]
	v_mov_b32_e32 v11, v5
	v_pk_mul_f32 v[4:5], v[6:7], v[2:3] op_sel:[0,1]
	s_delay_alu instid0(VALU_DEP_2) | instskip(NEXT) | instid1(VALU_DEP_2)
	v_pk_add_f32 v[106:107], v[106:107], v[10:11] neg_lo:[0,1] neg_hi:[0,1]
	v_pk_fma_f32 v[8:9], v[6:7], v[0:1], v[4:5] op_sel:[0,0,1] op_sel_hi:[1,1,0] neg_lo:[0,0,1] neg_hi:[0,0,1]
	v_pk_fma_f32 v[4:5], v[6:7], v[0:1], v[4:5] op_sel:[0,0,1] op_sel_hi:[1,0,0]
	s_delay_alu instid0(VALU_DEP_1) | instskip(SKIP_4) | instid1(VALU_DEP_1)
	v_mov_b32_e32 v9, v5
	ds_load_2addr_b64 v[4:7], v96 offset0:29 offset1:30
	v_pk_add_f32 v[128:129], v[128:129], v[8:9] neg_lo:[0,1] neg_hi:[0,1]
	s_wait_dscnt 0x0
	v_pk_mul_f32 v[8:9], v[4:5], v[2:3] op_sel:[0,1]
	v_pk_fma_f32 v[10:11], v[4:5], v[0:1], v[8:9] op_sel:[0,0,1] op_sel_hi:[1,1,0] neg_lo:[0,0,1] neg_hi:[0,0,1]
	v_pk_fma_f32 v[4:5], v[4:5], v[0:1], v[8:9] op_sel:[0,0,1] op_sel_hi:[1,0,0]
	v_dual_mul_f32 v8, v7, v3 :: v_dual_mov_b32 v4, v7
	s_delay_alu instid0(VALU_DEP_2) | instskip(NEXT) | instid1(VALU_DEP_2)
	v_dual_mov_b32 v11, v5 :: v_dual_mov_b32 v5, v6
	v_pk_fma_f32 v[8:9], v[6:7], v[78:79], v[8:9] op_sel_hi:[1,1,0] neg_lo:[0,0,1] neg_hi:[0,0,1]
	v_mul_f32_e32 v6, v7, v0
	s_delay_alu instid0(VALU_DEP_3) | instskip(NEXT) | instid1(VALU_DEP_2)
	v_pk_add_f32 v[124:125], v[124:125], v[10:11] neg_lo:[0,1] neg_hi:[0,1]
	v_pk_fma_f32 v[4:5], v[4:5], v[78:79], v[6:7] op_sel_hi:[1,1,0]
	s_delay_alu instid0(VALU_DEP_1) | instskip(SKIP_4) | instid1(VALU_DEP_1)
	v_mov_b32_e32 v9, v5
	ds_load_2addr_b64 v[4:7], v96 offset0:31 offset1:32
	v_pk_add_f32 v[126:127], v[126:127], v[8:9] neg_lo:[0,1] neg_hi:[0,1]
	s_wait_dscnt 0x0
	v_pk_mul_f32 v[8:9], v[4:5], v[2:3] op_sel:[0,1]
	v_pk_fma_f32 v[10:11], v[4:5], v[0:1], v[8:9] op_sel:[0,0,1] op_sel_hi:[1,1,0] neg_lo:[0,0,1] neg_hi:[0,0,1]
	v_pk_fma_f32 v[4:5], v[4:5], v[0:1], v[8:9] op_sel:[0,0,1] op_sel_hi:[1,0,0]
	s_delay_alu instid0(VALU_DEP_1) | instskip(SKIP_1) | instid1(VALU_DEP_1)
	v_mov_b32_e32 v11, v5
	v_pk_mul_f32 v[4:5], v[6:7], v[2:3] op_sel:[0,1]
	v_pk_fma_f32 v[8:9], v[6:7], v[0:1], v[4:5] op_sel:[0,0,1] op_sel_hi:[1,1,0] neg_lo:[0,0,1] neg_hi:[0,0,1]
	v_pk_fma_f32 v[4:5], v[6:7], v[0:1], v[4:5] op_sel:[0,0,1] op_sel_hi:[1,0,0]
	s_delay_alu instid0(VALU_DEP_1)
	v_mov_b32_e32 v9, v5
	ds_load_2addr_b64 v[4:7], v96 offset0:33 offset1:34
	v_pk_add_f32 v[122:123], v[122:123], v[10:11] neg_lo:[0,1] neg_hi:[0,1]
	v_pk_add_f32 v[144:145], v[144:145], v[8:9] neg_lo:[0,1] neg_hi:[0,1]
	s_wait_dscnt 0x0
	v_pk_mul_f32 v[8:9], v[4:5], v[2:3] op_sel:[0,1]
	s_delay_alu instid0(VALU_DEP_1) | instskip(SKIP_1) | instid1(VALU_DEP_1)
	v_pk_fma_f32 v[10:11], v[4:5], v[0:1], v[8:9] op_sel:[0,0,1] op_sel_hi:[1,1,0] neg_lo:[0,0,1] neg_hi:[0,0,1]
	v_pk_fma_f32 v[4:5], v[4:5], v[0:1], v[8:9] op_sel:[0,0,1] op_sel_hi:[1,0,0]
	v_mov_b32_e32 v11, v5
	v_pk_mul_f32 v[4:5], v[6:7], v[2:3] op_sel:[0,1]
	s_delay_alu instid0(VALU_DEP_1) | instskip(SKIP_1) | instid1(VALU_DEP_1)
	v_pk_fma_f32 v[8:9], v[6:7], v[0:1], v[4:5] op_sel:[0,0,1] op_sel_hi:[1,1,0] neg_lo:[0,0,1] neg_hi:[0,0,1]
	v_pk_fma_f32 v[4:5], v[6:7], v[0:1], v[4:5] op_sel:[0,0,1] op_sel_hi:[1,0,0]
	v_mov_b32_e32 v9, v5
	ds_load_2addr_b64 v[4:7], v96 offset0:35 offset1:36
	v_pk_add_f32 v[140:141], v[140:141], v[10:11] neg_lo:[0,1] neg_hi:[0,1]
	v_pk_add_f32 v[142:143], v[142:143], v[8:9] neg_lo:[0,1] neg_hi:[0,1]
	s_wait_dscnt 0x0
	v_dual_mul_f32 v8, v5, v3 :: v_dual_mul_f32 v10, v5, v0
	s_delay_alu instid0(VALU_DEP_1) | instskip(NEXT) | instid1(VALU_DEP_2)
	v_pk_fma_f32 v[8:9], v[4:5], v[78:79], v[8:9] op_sel_hi:[1,1,0] neg_lo:[0,0,1] neg_hi:[0,0,1]
	v_pk_fma_f32 v[4:5], v[4:5], v[78:79], v[10:11] op_sel:[1,0,0] op_sel_hi:[0,1,0]
	s_delay_alu instid0(VALU_DEP_1) | instskip(SKIP_1) | instid1(VALU_DEP_2)
	v_mov_b32_e32 v9, v5
	v_pk_mul_f32 v[4:5], v[6:7], v[2:3] op_sel:[0,1]
	v_pk_add_f32 v[138:139], v[138:139], v[8:9] neg_lo:[0,1] neg_hi:[0,1]
	s_delay_alu instid0(VALU_DEP_2) | instskip(SKIP_1) | instid1(VALU_DEP_1)
	v_pk_fma_f32 v[8:9], v[6:7], v[0:1], v[4:5] op_sel:[0,0,1] op_sel_hi:[1,1,0] neg_lo:[0,0,1] neg_hi:[0,0,1]
	v_pk_fma_f32 v[4:5], v[6:7], v[0:1], v[4:5] op_sel:[0,0,1] op_sel_hi:[1,0,0]
	v_mov_b32_e32 v9, v5
	ds_load_2addr_b64 v[4:7], v96 offset0:37 offset1:38
	v_pk_add_f32 v[162:163], v[162:163], v[8:9] neg_lo:[0,1] neg_hi:[0,1]
	s_wait_dscnt 0x0
	v_pk_mul_f32 v[8:9], v[4:5], v[2:3] op_sel:[0,1]
	s_delay_alu instid0(VALU_DEP_1) | instskip(SKIP_1) | instid1(VALU_DEP_1)
	v_pk_fma_f32 v[10:11], v[4:5], v[0:1], v[8:9] op_sel:[0,0,1] op_sel_hi:[1,1,0] neg_lo:[0,0,1] neg_hi:[0,0,1]
	v_pk_fma_f32 v[4:5], v[4:5], v[0:1], v[8:9] op_sel:[0,0,1] op_sel_hi:[1,0,0]
	v_mov_b32_e32 v11, v5
	v_pk_mul_f32 v[4:5], v[6:7], v[2:3] op_sel:[0,1]
	s_delay_alu instid0(VALU_DEP_2) | instskip(NEXT) | instid1(VALU_DEP_2)
	v_pk_add_f32 v[158:159], v[158:159], v[10:11] neg_lo:[0,1] neg_hi:[0,1]
	v_pk_fma_f32 v[8:9], v[6:7], v[0:1], v[4:5] op_sel:[0,0,1] op_sel_hi:[1,1,0] neg_lo:[0,0,1] neg_hi:[0,0,1]
	v_pk_fma_f32 v[4:5], v[6:7], v[0:1], v[4:5] op_sel:[0,0,1] op_sel_hi:[1,0,0]
	s_delay_alu instid0(VALU_DEP_1) | instskip(SKIP_4) | instid1(VALU_DEP_1)
	v_mov_b32_e32 v9, v5
	ds_load_2addr_b64 v[4:7], v96 offset0:39 offset1:40
	v_pk_add_f32 v[160:161], v[160:161], v[8:9] neg_lo:[0,1] neg_hi:[0,1]
	s_wait_dscnt 0x0
	v_pk_mul_f32 v[8:9], v[4:5], v[2:3] op_sel:[0,1]
	v_pk_fma_f32 v[10:11], v[4:5], v[0:1], v[8:9] op_sel:[0,0,1] op_sel_hi:[1,1,0] neg_lo:[0,0,1] neg_hi:[0,0,1]
	v_pk_fma_f32 v[4:5], v[4:5], v[0:1], v[8:9] op_sel:[0,0,1] op_sel_hi:[1,0,0]
	v_dual_mul_f32 v8, v7, v3 :: v_dual_mov_b32 v4, v7
	s_delay_alu instid0(VALU_DEP_2) | instskip(NEXT) | instid1(VALU_DEP_2)
	v_dual_mov_b32 v11, v5 :: v_dual_mov_b32 v5, v6
	v_pk_fma_f32 v[8:9], v[6:7], v[78:79], v[8:9] op_sel_hi:[1,1,0] neg_lo:[0,0,1] neg_hi:[0,0,1]
	v_mul_f32_e32 v6, v7, v0
	s_delay_alu instid0(VALU_DEP_3) | instskip(NEXT) | instid1(VALU_DEP_2)
	v_pk_add_f32 v[156:157], v[156:157], v[10:11] neg_lo:[0,1] neg_hi:[0,1]
	v_pk_fma_f32 v[4:5], v[4:5], v[78:79], v[6:7] op_sel_hi:[1,1,0]
	s_delay_alu instid0(VALU_DEP_1) | instskip(SKIP_4) | instid1(VALU_DEP_1)
	v_mov_b32_e32 v9, v5
	ds_load_2addr_b64 v[4:7], v96 offset0:41 offset1:42
	v_pk_add_f32 v[180:181], v[180:181], v[8:9] neg_lo:[0,1] neg_hi:[0,1]
	s_wait_dscnt 0x0
	v_pk_mul_f32 v[8:9], v[4:5], v[2:3] op_sel:[0,1]
	v_pk_fma_f32 v[10:11], v[4:5], v[0:1], v[8:9] op_sel:[0,0,1] op_sel_hi:[1,1,0] neg_lo:[0,0,1] neg_hi:[0,0,1]
	v_pk_fma_f32 v[4:5], v[4:5], v[0:1], v[8:9] op_sel:[0,0,1] op_sel_hi:[1,0,0]
	s_delay_alu instid0(VALU_DEP_1) | instskip(SKIP_1) | instid1(VALU_DEP_1)
	v_mov_b32_e32 v11, v5
	v_pk_mul_f32 v[4:5], v[6:7], v[2:3] op_sel:[0,1]
	v_pk_fma_f32 v[8:9], v[6:7], v[0:1], v[4:5] op_sel:[0,0,1] op_sel_hi:[1,1,0] neg_lo:[0,0,1] neg_hi:[0,0,1]
	v_pk_fma_f32 v[4:5], v[6:7], v[0:1], v[4:5] op_sel:[0,0,1] op_sel_hi:[1,0,0]
	s_delay_alu instid0(VALU_DEP_1)
	v_mov_b32_e32 v9, v5
	ds_load_2addr_b64 v[4:7], v96 offset0:43 offset1:44
	v_pk_add_f32 v[176:177], v[176:177], v[10:11] neg_lo:[0,1] neg_hi:[0,1]
	v_pk_add_f32 v[178:179], v[178:179], v[8:9] neg_lo:[0,1] neg_hi:[0,1]
	s_wait_dscnt 0x0
	v_pk_mul_f32 v[8:9], v[4:5], v[2:3] op_sel:[0,1]
	s_delay_alu instid0(VALU_DEP_1) | instskip(SKIP_1) | instid1(VALU_DEP_1)
	v_pk_fma_f32 v[10:11], v[4:5], v[0:1], v[8:9] op_sel:[0,0,1] op_sel_hi:[1,1,0] neg_lo:[0,0,1] neg_hi:[0,0,1]
	v_pk_fma_f32 v[4:5], v[4:5], v[0:1], v[8:9] op_sel:[0,0,1] op_sel_hi:[1,0,0]
	v_mov_b32_e32 v11, v5
	v_pk_mul_f32 v[4:5], v[6:7], v[2:3] op_sel:[0,1]
	s_delay_alu instid0(VALU_DEP_1) | instskip(SKIP_1) | instid1(VALU_DEP_1)
	v_pk_fma_f32 v[8:9], v[6:7], v[0:1], v[4:5] op_sel:[0,0,1] op_sel_hi:[1,1,0] neg_lo:[0,0,1] neg_hi:[0,0,1]
	v_pk_fma_f32 v[4:5], v[6:7], v[0:1], v[4:5] op_sel:[0,0,1] op_sel_hi:[1,0,0]
	v_mov_b32_e32 v9, v5
	ds_load_2addr_b64 v[4:7], v96 offset0:45 offset1:46
	v_pk_add_f32 v[174:175], v[174:175], v[10:11] neg_lo:[0,1] neg_hi:[0,1]
	v_pk_add_f32 v[196:197], v[196:197], v[8:9] neg_lo:[0,1] neg_hi:[0,1]
	s_wait_dscnt 0x0
	v_dual_mul_f32 v8, v5, v3 :: v_dual_mul_f32 v10, v5, v0
	s_delay_alu instid0(VALU_DEP_1) | instskip(NEXT) | instid1(VALU_DEP_2)
	v_pk_fma_f32 v[8:9], v[4:5], v[78:79], v[8:9] op_sel_hi:[1,1,0] neg_lo:[0,0,1] neg_hi:[0,0,1]
	v_pk_fma_f32 v[4:5], v[4:5], v[78:79], v[10:11] op_sel:[1,0,0] op_sel_hi:[0,1,0]
	s_delay_alu instid0(VALU_DEP_1) | instskip(SKIP_1) | instid1(VALU_DEP_2)
	v_mov_b32_e32 v9, v5
	v_pk_mul_f32 v[4:5], v[6:7], v[2:3] op_sel:[0,1]
	v_pk_add_f32 v[192:193], v[192:193], v[8:9] neg_lo:[0,1] neg_hi:[0,1]
	s_delay_alu instid0(VALU_DEP_2) | instskip(SKIP_1) | instid1(VALU_DEP_1)
	v_pk_fma_f32 v[8:9], v[6:7], v[0:1], v[4:5] op_sel:[0,0,1] op_sel_hi:[1,1,0] neg_lo:[0,0,1] neg_hi:[0,0,1]
	v_pk_fma_f32 v[4:5], v[6:7], v[0:1], v[4:5] op_sel:[0,0,1] op_sel_hi:[1,0,0]
	v_mov_b32_e32 v9, v5
	ds_load_2addr_b64 v[4:7], v96 offset0:47 offset1:48
	v_pk_add_f32 v[194:195], v[194:195], v[8:9] neg_lo:[0,1] neg_hi:[0,1]
	s_wait_dscnt 0x0
	v_pk_mul_f32 v[8:9], v[4:5], v[2:3] op_sel:[0,1]
	s_delay_alu instid0(VALU_DEP_1) | instskip(SKIP_1) | instid1(VALU_DEP_1)
	v_pk_fma_f32 v[10:11], v[4:5], v[0:1], v[8:9] op_sel:[0,0,1] op_sel_hi:[1,1,0] neg_lo:[0,0,1] neg_hi:[0,0,1]
	v_pk_fma_f32 v[4:5], v[4:5], v[0:1], v[8:9] op_sel:[0,0,1] op_sel_hi:[1,0,0]
	v_mov_b32_e32 v11, v5
	v_pk_mul_f32 v[4:5], v[6:7], v[2:3] op_sel:[0,1]
	s_delay_alu instid0(VALU_DEP_2) | instskip(NEXT) | instid1(VALU_DEP_2)
	v_pk_add_f32 v[190:191], v[190:191], v[10:11] neg_lo:[0,1] neg_hi:[0,1]
	v_pk_fma_f32 v[8:9], v[6:7], v[0:1], v[4:5] op_sel:[0,0,1] op_sel_hi:[1,1,0] neg_lo:[0,0,1] neg_hi:[0,0,1]
	v_pk_fma_f32 v[4:5], v[6:7], v[0:1], v[4:5] op_sel:[0,0,1] op_sel_hi:[1,0,0]
	s_delay_alu instid0(VALU_DEP_1) | instskip(SKIP_4) | instid1(VALU_DEP_1)
	v_mov_b32_e32 v9, v5
	ds_load_b64 v[4:5], v96 offset:392
	v_pk_add_f32 v[198:199], v[198:199], v[8:9] neg_lo:[0,1] neg_hi:[0,1]
	s_wait_dscnt 0x0
	v_pk_mul_f32 v[2:3], v[4:5], v[2:3] op_sel:[0,1]
	v_pk_fma_f32 v[6:7], v[4:5], v[0:1], v[2:3] op_sel:[0,0,1] op_sel_hi:[1,1,0] neg_lo:[0,0,1] neg_hi:[0,0,1]
	v_pk_fma_f32 v[0:1], v[4:5], v[0:1], v[2:3] op_sel:[0,0,1] op_sel_hi:[1,0,0]
	s_delay_alu instid0(VALU_DEP_1) | instskip(NEXT) | instid1(VALU_DEP_1)
	v_mov_b32_e32 v7, v1
	v_pk_add_f32 v[200:201], v[200:201], v[6:7] neg_lo:[0,1] neg_hi:[0,1]
.LBB99_154:
	s_wait_xcnt 0x0
	s_or_b32 exec_lo, exec_lo, s1
	s_delay_alu instid0(SALU_CYCLE_1)
	s_mov_b32 s2, exec_lo
	s_wait_storecnt 0x0
	s_barrier_signal -1
	s_barrier_wait -1
	v_cmpx_eq_u32_e32 17, v86
	s_cbranch_execz .LBB99_161
; %bb.155:
	v_dual_mov_b32 v0, v76 :: v_dual_mov_b32 v1, v77
	v_dual_mov_b32 v2, v72 :: v_dual_mov_b32 v3, v73
	ds_store_b64 v87, v[74:75]
	ds_store_2addr_b64 v96, v[0:1], v[2:3] offset0:18 offset1:19
	v_dual_mov_b32 v0, v94 :: v_dual_mov_b32 v1, v95
	v_dual_mov_b32 v2, v90 :: v_dual_mov_b32 v3, v91
	ds_store_2addr_b64 v96, v[0:1], v[2:3] offset0:20 offset1:21
	v_dual_mov_b32 v0, v92 :: v_dual_mov_b32 v1, v93
	v_dual_mov_b32 v2, v88 :: v_dual_mov_b32 v3, v89
	;; [unrolled: 3-line block ×14, first 2 shown]
	ds_store_2addr_b64 v96, v[0:1], v[2:3] offset0:46 offset1:47
	v_dual_mov_b32 v0, v198 :: v_dual_mov_b32 v1, v199
	ds_store_2addr_b64 v96, v[0:1], v[200:201] offset0:48 offset1:49
	ds_load_b64 v[0:1], v87
	s_wait_dscnt 0x0
	v_cmp_neq_f32_e32 vcc_lo, 0, v0
	v_cmp_neq_f32_e64 s1, 0, v1
	s_or_b32 s1, vcc_lo, s1
	s_delay_alu instid0(SALU_CYCLE_1)
	s_and_b32 exec_lo, exec_lo, s1
	s_cbranch_execz .LBB99_161
; %bb.156:
	v_cmp_ngt_f32_e64 s1, |v0|, |v1|
                                        ; implicit-def: $vgpr2_vgpr3
	s_and_saveexec_b32 s4, s1
	s_delay_alu instid0(SALU_CYCLE_1)
	s_xor_b32 s1, exec_lo, s4
	s_cbranch_execz .LBB99_158
; %bb.157:
	v_div_scale_f32 v2, null, v1, v1, v0
	v_div_scale_f32 v5, vcc_lo, v0, v1, v0
	s_delay_alu instid0(VALU_DEP_2) | instskip(SKIP_1) | instid1(TRANS32_DEP_1)
	v_rcp_f32_e32 v3, v2
	v_nop
	v_fma_f32 v4, -v2, v3, 1.0
	s_delay_alu instid0(VALU_DEP_1) | instskip(NEXT) | instid1(VALU_DEP_1)
	v_fmac_f32_e32 v3, v4, v3
	v_mul_f32_e32 v4, v5, v3
	s_delay_alu instid0(VALU_DEP_1) | instskip(NEXT) | instid1(VALU_DEP_1)
	v_fma_f32 v6, -v2, v4, v5
	v_fmac_f32_e32 v4, v6, v3
	s_delay_alu instid0(VALU_DEP_1) | instskip(NEXT) | instid1(VALU_DEP_1)
	v_fma_f32 v2, -v2, v4, v5
	v_div_fmas_f32 v2, v2, v3, v4
	s_delay_alu instid0(VALU_DEP_1) | instskip(NEXT) | instid1(VALU_DEP_1)
	v_div_fixup_f32 v2, v2, v1, v0
	v_fmac_f32_e32 v1, v0, v2
	s_delay_alu instid0(VALU_DEP_1) | instskip(SKIP_1) | instid1(VALU_DEP_2)
	v_div_scale_f32 v0, null, v1, v1, 1.0
	v_div_scale_f32 v5, vcc_lo, 1.0, v1, 1.0
	v_rcp_f32_e32 v3, v0
	v_nop
	s_delay_alu instid0(TRANS32_DEP_1) | instskip(NEXT) | instid1(VALU_DEP_1)
	v_fma_f32 v4, -v0, v3, 1.0
	v_fmac_f32_e32 v3, v4, v3
	s_delay_alu instid0(VALU_DEP_1) | instskip(NEXT) | instid1(VALU_DEP_1)
	v_mul_f32_e32 v4, v5, v3
	v_fma_f32 v6, -v0, v4, v5
	s_delay_alu instid0(VALU_DEP_1) | instskip(NEXT) | instid1(VALU_DEP_1)
	v_fmac_f32_e32 v4, v6, v3
	v_fma_f32 v0, -v0, v4, v5
	s_delay_alu instid0(VALU_DEP_1) | instskip(NEXT) | instid1(VALU_DEP_1)
	v_div_fmas_f32 v0, v0, v3, v4
	v_div_fixup_f32 v0, v0, v1, 1.0
	s_delay_alu instid0(VALU_DEP_1)
	v_mul_f32_e32 v2, v2, v0
	v_xor_b32_e32 v3, 0x80000000, v0
                                        ; implicit-def: $vgpr0_vgpr1
.LBB99_158:
	s_and_not1_saveexec_b32 s1, s1
	s_cbranch_execz .LBB99_160
; %bb.159:
	v_div_scale_f32 v2, null, v0, v0, v1
	v_div_scale_f32 v5, vcc_lo, v1, v0, v1
	s_delay_alu instid0(VALU_DEP_2) | instskip(SKIP_1) | instid1(TRANS32_DEP_1)
	v_rcp_f32_e32 v3, v2
	v_nop
	v_fma_f32 v4, -v2, v3, 1.0
	s_delay_alu instid0(VALU_DEP_1) | instskip(NEXT) | instid1(VALU_DEP_1)
	v_fmac_f32_e32 v3, v4, v3
	v_mul_f32_e32 v4, v5, v3
	s_delay_alu instid0(VALU_DEP_1) | instskip(NEXT) | instid1(VALU_DEP_1)
	v_fma_f32 v6, -v2, v4, v5
	v_fmac_f32_e32 v4, v6, v3
	s_delay_alu instid0(VALU_DEP_1) | instskip(NEXT) | instid1(VALU_DEP_1)
	v_fma_f32 v2, -v2, v4, v5
	v_div_fmas_f32 v2, v2, v3, v4
	s_delay_alu instid0(VALU_DEP_1) | instskip(NEXT) | instid1(VALU_DEP_1)
	v_div_fixup_f32 v3, v2, v0, v1
	v_fmac_f32_e32 v0, v1, v3
	s_delay_alu instid0(VALU_DEP_1) | instskip(NEXT) | instid1(VALU_DEP_1)
	v_div_scale_f32 v1, null, v0, v0, 1.0
	v_rcp_f32_e32 v2, v1
	v_nop
	s_delay_alu instid0(TRANS32_DEP_1) | instskip(NEXT) | instid1(VALU_DEP_1)
	v_fma_f32 v4, -v1, v2, 1.0
	v_fmac_f32_e32 v2, v4, v2
	v_div_scale_f32 v4, vcc_lo, 1.0, v0, 1.0
	s_delay_alu instid0(VALU_DEP_1) | instskip(NEXT) | instid1(VALU_DEP_1)
	v_mul_f32_e32 v5, v4, v2
	v_fma_f32 v6, -v1, v5, v4
	s_delay_alu instid0(VALU_DEP_1) | instskip(NEXT) | instid1(VALU_DEP_1)
	v_fmac_f32_e32 v5, v6, v2
	v_fma_f32 v1, -v1, v5, v4
	s_delay_alu instid0(VALU_DEP_1) | instskip(NEXT) | instid1(VALU_DEP_1)
	v_div_fmas_f32 v1, v1, v2, v5
	v_div_fixup_f32 v2, v1, v0, 1.0
	s_delay_alu instid0(VALU_DEP_1)
	v_mul_f32_e64 v3, v3, -v2
.LBB99_160:
	s_or_b32 exec_lo, exec_lo, s1
	ds_store_b64 v87, v[2:3]
.LBB99_161:
	s_or_b32 exec_lo, exec_lo, s2
	s_wait_dscnt 0x0
	s_barrier_signal -1
	s_barrier_wait -1
	ds_load_b64 v[0:1], v87
	s_mov_b32 s1, exec_lo
	s_wait_dscnt 0x0
	scratch_store_b64 off, v[0:1], off offset:144 ; 8-byte Folded Spill
	s_wait_xcnt 0x0
	v_cmpx_lt_u32_e32 17, v86
	s_cbranch_execz .LBB99_163
; %bb.162:
	scratch_load_b64 v[4:5], off, off offset:144 ; 8-byte Folded Reload
	s_wait_loadcnt 0x0
	v_pk_mul_f32 v[2:3], v[4:5], v[74:75] op_sel:[1,1] op_sel_hi:[0,1]
	s_delay_alu instid0(VALU_DEP_1)
	v_pk_fma_f32 v[0:1], v[4:5], v[74:75], v[2:3] op_sel_hi:[1,0,1] neg_lo:[0,0,1] neg_hi:[0,0,1]
	v_pk_fma_f32 v[2:3], v[4:5], v[74:75], v[2:3] op_sel_hi:[1,0,1]
	ds_load_2addr_b64 v[4:7], v96 offset0:18 offset1:19
	v_dual_mov_b32 v74, v0 :: v_dual_mov_b32 v75, v3
	s_wait_dscnt 0x0
	v_pk_mul_f32 v[8:9], v[4:5], v[2:3] op_sel:[0,1]
	s_delay_alu instid0(VALU_DEP_1) | instskip(SKIP_1) | instid1(VALU_DEP_1)
	v_pk_fma_f32 v[10:11], v[4:5], v[0:1], v[8:9] op_sel:[0,0,1] op_sel_hi:[1,1,0] neg_lo:[0,0,1] neg_hi:[0,0,1]
	v_pk_fma_f32 v[4:5], v[4:5], v[0:1], v[8:9] op_sel:[0,0,1] op_sel_hi:[1,0,0]
	v_mov_b32_e32 v11, v5
	v_pk_mul_f32 v[4:5], v[6:7], v[2:3] op_sel:[0,1]
	s_delay_alu instid0(VALU_DEP_1) | instskip(SKIP_1) | instid1(VALU_DEP_1)
	v_pk_fma_f32 v[8:9], v[6:7], v[0:1], v[4:5] op_sel:[0,0,1] op_sel_hi:[1,1,0] neg_lo:[0,0,1] neg_hi:[0,0,1]
	v_pk_fma_f32 v[4:5], v[6:7], v[0:1], v[4:5] op_sel:[0,0,1] op_sel_hi:[1,0,0]
	v_mov_b32_e32 v9, v5
	ds_load_2addr_b64 v[4:7], v96 offset0:20 offset1:21
	v_pk_add_f32 v[76:77], v[76:77], v[10:11] neg_lo:[0,1] neg_hi:[0,1]
	v_pk_add_f32 v[72:73], v[72:73], v[8:9] neg_lo:[0,1] neg_hi:[0,1]
	s_wait_dscnt 0x0
	v_pk_mul_f32 v[8:9], v[4:5], v[2:3] op_sel:[0,1]
	s_delay_alu instid0(VALU_DEP_1) | instskip(SKIP_2) | instid1(VALU_DEP_2)
	v_pk_fma_f32 v[10:11], v[4:5], v[0:1], v[8:9] op_sel:[0,0,1] op_sel_hi:[1,1,0] neg_lo:[0,0,1] neg_hi:[0,0,1]
	v_pk_fma_f32 v[4:5], v[4:5], v[0:1], v[8:9] op_sel:[0,0,1] op_sel_hi:[1,0,0]
	v_dual_mul_f32 v8, v7, v3 :: v_dual_mov_b32 v4, v7
	v_dual_mov_b32 v11, v5 :: v_dual_mov_b32 v5, v6
	s_delay_alu instid0(VALU_DEP_2) | instskip(SKIP_1) | instid1(VALU_DEP_3)
	v_pk_fma_f32 v[8:9], v[6:7], v[74:75], v[8:9] op_sel_hi:[1,1,0] neg_lo:[0,0,1] neg_hi:[0,0,1]
	v_mul_f32_e32 v6, v7, v0
	v_pk_add_f32 v[94:95], v[94:95], v[10:11] neg_lo:[0,1] neg_hi:[0,1]
	s_delay_alu instid0(VALU_DEP_2) | instskip(NEXT) | instid1(VALU_DEP_1)
	v_pk_fma_f32 v[4:5], v[4:5], v[74:75], v[6:7] op_sel_hi:[1,1,0]
	v_mov_b32_e32 v9, v5
	ds_load_2addr_b64 v[4:7], v96 offset0:22 offset1:23
	v_pk_add_f32 v[90:91], v[90:91], v[8:9] neg_lo:[0,1] neg_hi:[0,1]
	s_wait_dscnt 0x0
	v_pk_mul_f32 v[8:9], v[4:5], v[2:3] op_sel:[0,1]
	s_delay_alu instid0(VALU_DEP_1) | instskip(SKIP_1) | instid1(VALU_DEP_1)
	v_pk_fma_f32 v[10:11], v[4:5], v[0:1], v[8:9] op_sel:[0,0,1] op_sel_hi:[1,1,0] neg_lo:[0,0,1] neg_hi:[0,0,1]
	v_pk_fma_f32 v[4:5], v[4:5], v[0:1], v[8:9] op_sel:[0,0,1] op_sel_hi:[1,0,0]
	v_mov_b32_e32 v11, v5
	v_pk_mul_f32 v[4:5], v[6:7], v[2:3] op_sel:[0,1]
	s_delay_alu instid0(VALU_DEP_1) | instskip(SKIP_1) | instid1(VALU_DEP_1)
	v_pk_fma_f32 v[8:9], v[6:7], v[0:1], v[4:5] op_sel:[0,0,1] op_sel_hi:[1,1,0] neg_lo:[0,0,1] neg_hi:[0,0,1]
	v_pk_fma_f32 v[4:5], v[6:7], v[0:1], v[4:5] op_sel:[0,0,1] op_sel_hi:[1,0,0]
	v_mov_b32_e32 v9, v5
	ds_load_2addr_b64 v[4:7], v96 offset0:24 offset1:25
	v_pk_add_f32 v[92:93], v[92:93], v[10:11] neg_lo:[0,1] neg_hi:[0,1]
	v_pk_add_f32 v[88:89], v[88:89], v[8:9] neg_lo:[0,1] neg_hi:[0,1]
	s_wait_dscnt 0x0
	v_pk_mul_f32 v[8:9], v[4:5], v[2:3] op_sel:[0,1]
	s_delay_alu instid0(VALU_DEP_1) | instskip(SKIP_1) | instid1(VALU_DEP_1)
	v_pk_fma_f32 v[10:11], v[4:5], v[0:1], v[8:9] op_sel:[0,0,1] op_sel_hi:[1,1,0] neg_lo:[0,0,1] neg_hi:[0,0,1]
	v_pk_fma_f32 v[4:5], v[4:5], v[0:1], v[8:9] op_sel:[0,0,1] op_sel_hi:[1,0,0]
	v_mov_b32_e32 v11, v5
	v_pk_mul_f32 v[4:5], v[6:7], v[2:3] op_sel:[0,1]
	s_delay_alu instid0(VALU_DEP_1) | instskip(SKIP_1) | instid1(VALU_DEP_1)
	v_pk_fma_f32 v[8:9], v[6:7], v[0:1], v[4:5] op_sel:[0,0,1] op_sel_hi:[1,1,0] neg_lo:[0,0,1] neg_hi:[0,0,1]
	v_pk_fma_f32 v[4:5], v[6:7], v[0:1], v[4:5] op_sel:[0,0,1] op_sel_hi:[1,0,0]
	v_mov_b32_e32 v9, v5
	ds_load_2addr_b64 v[4:7], v96 offset0:26 offset1:27
	v_pk_add_f32 v[112:113], v[112:113], v[10:11] neg_lo:[0,1] neg_hi:[0,1]
	v_pk_add_f32 v[108:109], v[108:109], v[8:9] neg_lo:[0,1] neg_hi:[0,1]
	s_wait_dscnt 0x0
	v_dual_mul_f32 v8, v5, v3 :: v_dual_mul_f32 v10, v5, v0
	s_delay_alu instid0(VALU_DEP_1) | instskip(NEXT) | instid1(VALU_DEP_2)
	v_pk_fma_f32 v[8:9], v[4:5], v[74:75], v[8:9] op_sel_hi:[1,1,0] neg_lo:[0,0,1] neg_hi:[0,0,1]
	v_pk_fma_f32 v[4:5], v[4:5], v[74:75], v[10:11] op_sel:[1,0,0] op_sel_hi:[0,1,0]
	s_delay_alu instid0(VALU_DEP_1) | instskip(SKIP_1) | instid1(VALU_DEP_2)
	v_mov_b32_e32 v9, v5
	v_pk_mul_f32 v[4:5], v[6:7], v[2:3] op_sel:[0,1]
	v_pk_add_f32 v[110:111], v[110:111], v[8:9] neg_lo:[0,1] neg_hi:[0,1]
	s_delay_alu instid0(VALU_DEP_2) | instskip(SKIP_1) | instid1(VALU_DEP_1)
	v_pk_fma_f32 v[8:9], v[6:7], v[0:1], v[4:5] op_sel:[0,0,1] op_sel_hi:[1,1,0] neg_lo:[0,0,1] neg_hi:[0,0,1]
	v_pk_fma_f32 v[4:5], v[6:7], v[0:1], v[4:5] op_sel:[0,0,1] op_sel_hi:[1,0,0]
	v_mov_b32_e32 v9, v5
	ds_load_2addr_b64 v[4:7], v96 offset0:28 offset1:29
	v_pk_add_f32 v[106:107], v[106:107], v[8:9] neg_lo:[0,1] neg_hi:[0,1]
	s_wait_dscnt 0x0
	v_pk_mul_f32 v[8:9], v[4:5], v[2:3] op_sel:[0,1]
	s_delay_alu instid0(VALU_DEP_1) | instskip(SKIP_1) | instid1(VALU_DEP_1)
	v_pk_fma_f32 v[10:11], v[4:5], v[0:1], v[8:9] op_sel:[0,0,1] op_sel_hi:[1,1,0] neg_lo:[0,0,1] neg_hi:[0,0,1]
	v_pk_fma_f32 v[4:5], v[4:5], v[0:1], v[8:9] op_sel:[0,0,1] op_sel_hi:[1,0,0]
	v_mov_b32_e32 v11, v5
	v_pk_mul_f32 v[4:5], v[6:7], v[2:3] op_sel:[0,1]
	s_delay_alu instid0(VALU_DEP_2) | instskip(NEXT) | instid1(VALU_DEP_2)
	v_pk_add_f32 v[128:129], v[128:129], v[10:11] neg_lo:[0,1] neg_hi:[0,1]
	v_pk_fma_f32 v[8:9], v[6:7], v[0:1], v[4:5] op_sel:[0,0,1] op_sel_hi:[1,1,0] neg_lo:[0,0,1] neg_hi:[0,0,1]
	v_pk_fma_f32 v[4:5], v[6:7], v[0:1], v[4:5] op_sel:[0,0,1] op_sel_hi:[1,0,0]
	s_delay_alu instid0(VALU_DEP_1) | instskip(SKIP_4) | instid1(VALU_DEP_1)
	v_mov_b32_e32 v9, v5
	ds_load_2addr_b64 v[4:7], v96 offset0:30 offset1:31
	v_pk_add_f32 v[124:125], v[124:125], v[8:9] neg_lo:[0,1] neg_hi:[0,1]
	s_wait_dscnt 0x0
	v_pk_mul_f32 v[8:9], v[4:5], v[2:3] op_sel:[0,1]
	v_pk_fma_f32 v[10:11], v[4:5], v[0:1], v[8:9] op_sel:[0,0,1] op_sel_hi:[1,1,0] neg_lo:[0,0,1] neg_hi:[0,0,1]
	v_pk_fma_f32 v[4:5], v[4:5], v[0:1], v[8:9] op_sel:[0,0,1] op_sel_hi:[1,0,0]
	v_dual_mul_f32 v8, v7, v3 :: v_dual_mov_b32 v4, v7
	s_delay_alu instid0(VALU_DEP_2) | instskip(NEXT) | instid1(VALU_DEP_2)
	v_dual_mov_b32 v11, v5 :: v_dual_mov_b32 v5, v6
	v_pk_fma_f32 v[8:9], v[6:7], v[74:75], v[8:9] op_sel_hi:[1,1,0] neg_lo:[0,0,1] neg_hi:[0,0,1]
	v_mul_f32_e32 v6, v7, v0
	s_delay_alu instid0(VALU_DEP_3) | instskip(NEXT) | instid1(VALU_DEP_2)
	v_pk_add_f32 v[126:127], v[126:127], v[10:11] neg_lo:[0,1] neg_hi:[0,1]
	v_pk_fma_f32 v[4:5], v[4:5], v[74:75], v[6:7] op_sel_hi:[1,1,0]
	s_delay_alu instid0(VALU_DEP_1) | instskip(SKIP_4) | instid1(VALU_DEP_1)
	v_mov_b32_e32 v9, v5
	ds_load_2addr_b64 v[4:7], v96 offset0:32 offset1:33
	v_pk_add_f32 v[122:123], v[122:123], v[8:9] neg_lo:[0,1] neg_hi:[0,1]
	s_wait_dscnt 0x0
	v_pk_mul_f32 v[8:9], v[4:5], v[2:3] op_sel:[0,1]
	v_pk_fma_f32 v[10:11], v[4:5], v[0:1], v[8:9] op_sel:[0,0,1] op_sel_hi:[1,1,0] neg_lo:[0,0,1] neg_hi:[0,0,1]
	v_pk_fma_f32 v[4:5], v[4:5], v[0:1], v[8:9] op_sel:[0,0,1] op_sel_hi:[1,0,0]
	s_delay_alu instid0(VALU_DEP_1) | instskip(SKIP_1) | instid1(VALU_DEP_1)
	v_mov_b32_e32 v11, v5
	v_pk_mul_f32 v[4:5], v[6:7], v[2:3] op_sel:[0,1]
	v_pk_fma_f32 v[8:9], v[6:7], v[0:1], v[4:5] op_sel:[0,0,1] op_sel_hi:[1,1,0] neg_lo:[0,0,1] neg_hi:[0,0,1]
	v_pk_fma_f32 v[4:5], v[6:7], v[0:1], v[4:5] op_sel:[0,0,1] op_sel_hi:[1,0,0]
	s_delay_alu instid0(VALU_DEP_1)
	v_mov_b32_e32 v9, v5
	ds_load_2addr_b64 v[4:7], v96 offset0:34 offset1:35
	v_pk_add_f32 v[144:145], v[144:145], v[10:11] neg_lo:[0,1] neg_hi:[0,1]
	v_pk_add_f32 v[140:141], v[140:141], v[8:9] neg_lo:[0,1] neg_hi:[0,1]
	s_wait_dscnt 0x0
	v_pk_mul_f32 v[8:9], v[4:5], v[2:3] op_sel:[0,1]
	s_delay_alu instid0(VALU_DEP_1) | instskip(SKIP_1) | instid1(VALU_DEP_1)
	v_pk_fma_f32 v[10:11], v[4:5], v[0:1], v[8:9] op_sel:[0,0,1] op_sel_hi:[1,1,0] neg_lo:[0,0,1] neg_hi:[0,0,1]
	v_pk_fma_f32 v[4:5], v[4:5], v[0:1], v[8:9] op_sel:[0,0,1] op_sel_hi:[1,0,0]
	v_mov_b32_e32 v11, v5
	v_pk_mul_f32 v[4:5], v[6:7], v[2:3] op_sel:[0,1]
	s_delay_alu instid0(VALU_DEP_1) | instskip(SKIP_1) | instid1(VALU_DEP_1)
	v_pk_fma_f32 v[8:9], v[6:7], v[0:1], v[4:5] op_sel:[0,0,1] op_sel_hi:[1,1,0] neg_lo:[0,0,1] neg_hi:[0,0,1]
	v_pk_fma_f32 v[4:5], v[6:7], v[0:1], v[4:5] op_sel:[0,0,1] op_sel_hi:[1,0,0]
	v_mov_b32_e32 v9, v5
	ds_load_2addr_b64 v[4:7], v96 offset0:36 offset1:37
	v_pk_add_f32 v[142:143], v[142:143], v[10:11] neg_lo:[0,1] neg_hi:[0,1]
	v_pk_add_f32 v[138:139], v[138:139], v[8:9] neg_lo:[0,1] neg_hi:[0,1]
	s_wait_dscnt 0x0
	v_dual_mul_f32 v8, v5, v3 :: v_dual_mul_f32 v10, v5, v0
	s_delay_alu instid0(VALU_DEP_1) | instskip(NEXT) | instid1(VALU_DEP_2)
	v_pk_fma_f32 v[8:9], v[4:5], v[74:75], v[8:9] op_sel_hi:[1,1,0] neg_lo:[0,0,1] neg_hi:[0,0,1]
	v_pk_fma_f32 v[4:5], v[4:5], v[74:75], v[10:11] op_sel:[1,0,0] op_sel_hi:[0,1,0]
	s_delay_alu instid0(VALU_DEP_1) | instskip(SKIP_1) | instid1(VALU_DEP_2)
	v_mov_b32_e32 v9, v5
	v_pk_mul_f32 v[4:5], v[6:7], v[2:3] op_sel:[0,1]
	v_pk_add_f32 v[162:163], v[162:163], v[8:9] neg_lo:[0,1] neg_hi:[0,1]
	s_delay_alu instid0(VALU_DEP_2) | instskip(SKIP_1) | instid1(VALU_DEP_1)
	v_pk_fma_f32 v[8:9], v[6:7], v[0:1], v[4:5] op_sel:[0,0,1] op_sel_hi:[1,1,0] neg_lo:[0,0,1] neg_hi:[0,0,1]
	v_pk_fma_f32 v[4:5], v[6:7], v[0:1], v[4:5] op_sel:[0,0,1] op_sel_hi:[1,0,0]
	v_mov_b32_e32 v9, v5
	ds_load_2addr_b64 v[4:7], v96 offset0:38 offset1:39
	v_pk_add_f32 v[158:159], v[158:159], v[8:9] neg_lo:[0,1] neg_hi:[0,1]
	s_wait_dscnt 0x0
	v_pk_mul_f32 v[8:9], v[4:5], v[2:3] op_sel:[0,1]
	s_delay_alu instid0(VALU_DEP_1) | instskip(SKIP_1) | instid1(VALU_DEP_1)
	v_pk_fma_f32 v[10:11], v[4:5], v[0:1], v[8:9] op_sel:[0,0,1] op_sel_hi:[1,1,0] neg_lo:[0,0,1] neg_hi:[0,0,1]
	v_pk_fma_f32 v[4:5], v[4:5], v[0:1], v[8:9] op_sel:[0,0,1] op_sel_hi:[1,0,0]
	v_mov_b32_e32 v11, v5
	v_pk_mul_f32 v[4:5], v[6:7], v[2:3] op_sel:[0,1]
	s_delay_alu instid0(VALU_DEP_2) | instskip(NEXT) | instid1(VALU_DEP_2)
	v_pk_add_f32 v[160:161], v[160:161], v[10:11] neg_lo:[0,1] neg_hi:[0,1]
	v_pk_fma_f32 v[8:9], v[6:7], v[0:1], v[4:5] op_sel:[0,0,1] op_sel_hi:[1,1,0] neg_lo:[0,0,1] neg_hi:[0,0,1]
	v_pk_fma_f32 v[4:5], v[6:7], v[0:1], v[4:5] op_sel:[0,0,1] op_sel_hi:[1,0,0]
	s_delay_alu instid0(VALU_DEP_1) | instskip(SKIP_4) | instid1(VALU_DEP_1)
	v_mov_b32_e32 v9, v5
	ds_load_2addr_b64 v[4:7], v96 offset0:40 offset1:41
	v_pk_add_f32 v[156:157], v[156:157], v[8:9] neg_lo:[0,1] neg_hi:[0,1]
	s_wait_dscnt 0x0
	v_pk_mul_f32 v[8:9], v[4:5], v[2:3] op_sel:[0,1]
	v_pk_fma_f32 v[10:11], v[4:5], v[0:1], v[8:9] op_sel:[0,0,1] op_sel_hi:[1,1,0] neg_lo:[0,0,1] neg_hi:[0,0,1]
	v_pk_fma_f32 v[4:5], v[4:5], v[0:1], v[8:9] op_sel:[0,0,1] op_sel_hi:[1,0,0]
	v_dual_mul_f32 v8, v7, v3 :: v_dual_mov_b32 v4, v7
	s_delay_alu instid0(VALU_DEP_2) | instskip(NEXT) | instid1(VALU_DEP_2)
	v_dual_mov_b32 v11, v5 :: v_dual_mov_b32 v5, v6
	v_pk_fma_f32 v[8:9], v[6:7], v[74:75], v[8:9] op_sel_hi:[1,1,0] neg_lo:[0,0,1] neg_hi:[0,0,1]
	v_mul_f32_e32 v6, v7, v0
	s_delay_alu instid0(VALU_DEP_3) | instskip(NEXT) | instid1(VALU_DEP_2)
	v_pk_add_f32 v[180:181], v[180:181], v[10:11] neg_lo:[0,1] neg_hi:[0,1]
	v_pk_fma_f32 v[4:5], v[4:5], v[74:75], v[6:7] op_sel_hi:[1,1,0]
	s_delay_alu instid0(VALU_DEP_1) | instskip(SKIP_4) | instid1(VALU_DEP_1)
	v_mov_b32_e32 v9, v5
	ds_load_2addr_b64 v[4:7], v96 offset0:42 offset1:43
	v_pk_add_f32 v[176:177], v[176:177], v[8:9] neg_lo:[0,1] neg_hi:[0,1]
	s_wait_dscnt 0x0
	v_pk_mul_f32 v[8:9], v[4:5], v[2:3] op_sel:[0,1]
	v_pk_fma_f32 v[10:11], v[4:5], v[0:1], v[8:9] op_sel:[0,0,1] op_sel_hi:[1,1,0] neg_lo:[0,0,1] neg_hi:[0,0,1]
	v_pk_fma_f32 v[4:5], v[4:5], v[0:1], v[8:9] op_sel:[0,0,1] op_sel_hi:[1,0,0]
	s_delay_alu instid0(VALU_DEP_1) | instskip(SKIP_1) | instid1(VALU_DEP_1)
	v_mov_b32_e32 v11, v5
	v_pk_mul_f32 v[4:5], v[6:7], v[2:3] op_sel:[0,1]
	v_pk_fma_f32 v[8:9], v[6:7], v[0:1], v[4:5] op_sel:[0,0,1] op_sel_hi:[1,1,0] neg_lo:[0,0,1] neg_hi:[0,0,1]
	v_pk_fma_f32 v[4:5], v[6:7], v[0:1], v[4:5] op_sel:[0,0,1] op_sel_hi:[1,0,0]
	s_delay_alu instid0(VALU_DEP_1)
	v_mov_b32_e32 v9, v5
	ds_load_2addr_b64 v[4:7], v96 offset0:44 offset1:45
	v_pk_add_f32 v[178:179], v[178:179], v[10:11] neg_lo:[0,1] neg_hi:[0,1]
	v_pk_add_f32 v[174:175], v[174:175], v[8:9] neg_lo:[0,1] neg_hi:[0,1]
	s_wait_dscnt 0x0
	v_pk_mul_f32 v[8:9], v[4:5], v[2:3] op_sel:[0,1]
	s_delay_alu instid0(VALU_DEP_1) | instskip(SKIP_1) | instid1(VALU_DEP_1)
	v_pk_fma_f32 v[10:11], v[4:5], v[0:1], v[8:9] op_sel:[0,0,1] op_sel_hi:[1,1,0] neg_lo:[0,0,1] neg_hi:[0,0,1]
	v_pk_fma_f32 v[4:5], v[4:5], v[0:1], v[8:9] op_sel:[0,0,1] op_sel_hi:[1,0,0]
	v_mov_b32_e32 v11, v5
	v_pk_mul_f32 v[4:5], v[6:7], v[2:3] op_sel:[0,1]
	s_delay_alu instid0(VALU_DEP_1) | instskip(SKIP_1) | instid1(VALU_DEP_1)
	v_pk_fma_f32 v[8:9], v[6:7], v[0:1], v[4:5] op_sel:[0,0,1] op_sel_hi:[1,1,0] neg_lo:[0,0,1] neg_hi:[0,0,1]
	v_pk_fma_f32 v[4:5], v[6:7], v[0:1], v[4:5] op_sel:[0,0,1] op_sel_hi:[1,0,0]
	v_mov_b32_e32 v9, v5
	ds_load_2addr_b64 v[4:7], v96 offset0:46 offset1:47
	v_pk_add_f32 v[196:197], v[196:197], v[10:11] neg_lo:[0,1] neg_hi:[0,1]
	v_pk_add_f32 v[192:193], v[192:193], v[8:9] neg_lo:[0,1] neg_hi:[0,1]
	s_wait_dscnt 0x0
	v_dual_mul_f32 v8, v5, v3 :: v_dual_mul_f32 v10, v5, v0
	s_delay_alu instid0(VALU_DEP_1) | instskip(NEXT) | instid1(VALU_DEP_2)
	v_pk_fma_f32 v[8:9], v[4:5], v[74:75], v[8:9] op_sel_hi:[1,1,0] neg_lo:[0,0,1] neg_hi:[0,0,1]
	v_pk_fma_f32 v[4:5], v[4:5], v[74:75], v[10:11] op_sel:[1,0,0] op_sel_hi:[0,1,0]
	s_delay_alu instid0(VALU_DEP_1) | instskip(SKIP_1) | instid1(VALU_DEP_2)
	v_mov_b32_e32 v9, v5
	v_pk_mul_f32 v[4:5], v[6:7], v[2:3] op_sel:[0,1]
	v_pk_add_f32 v[194:195], v[194:195], v[8:9] neg_lo:[0,1] neg_hi:[0,1]
	s_delay_alu instid0(VALU_DEP_2) | instskip(SKIP_1) | instid1(VALU_DEP_1)
	v_pk_fma_f32 v[8:9], v[6:7], v[0:1], v[4:5] op_sel:[0,0,1] op_sel_hi:[1,1,0] neg_lo:[0,0,1] neg_hi:[0,0,1]
	v_pk_fma_f32 v[4:5], v[6:7], v[0:1], v[4:5] op_sel:[0,0,1] op_sel_hi:[1,0,0]
	v_mov_b32_e32 v9, v5
	ds_load_2addr_b64 v[4:7], v96 offset0:48 offset1:49
	v_pk_add_f32 v[190:191], v[190:191], v[8:9] neg_lo:[0,1] neg_hi:[0,1]
	s_wait_dscnt 0x0
	v_pk_mul_f32 v[8:9], v[4:5], v[2:3] op_sel:[0,1]
	v_pk_mul_f32 v[2:3], v[6:7], v[2:3] op_sel:[0,1]
	s_delay_alu instid0(VALU_DEP_2) | instskip(SKIP_1) | instid1(VALU_DEP_1)
	v_pk_fma_f32 v[10:11], v[4:5], v[0:1], v[8:9] op_sel:[0,0,1] op_sel_hi:[1,1,0] neg_lo:[0,0,1] neg_hi:[0,0,1]
	v_pk_fma_f32 v[4:5], v[4:5], v[0:1], v[8:9] op_sel:[0,0,1] op_sel_hi:[1,0,0]
	v_mov_b32_e32 v11, v5
	s_delay_alu instid0(VALU_DEP_4) | instskip(SKIP_1) | instid1(VALU_DEP_3)
	v_pk_fma_f32 v[4:5], v[6:7], v[0:1], v[2:3] op_sel:[0,0,1] op_sel_hi:[1,1,0] neg_lo:[0,0,1] neg_hi:[0,0,1]
	v_pk_fma_f32 v[0:1], v[6:7], v[0:1], v[2:3] op_sel:[0,0,1] op_sel_hi:[1,0,0]
	v_pk_add_f32 v[198:199], v[198:199], v[10:11] neg_lo:[0,1] neg_hi:[0,1]
	s_delay_alu instid0(VALU_DEP_2) | instskip(NEXT) | instid1(VALU_DEP_1)
	v_mov_b32_e32 v5, v1
	v_pk_add_f32 v[200:201], v[200:201], v[4:5] neg_lo:[0,1] neg_hi:[0,1]
.LBB99_163:
	s_wait_xcnt 0x0
	s_or_b32 exec_lo, exec_lo, s1
	s_delay_alu instid0(SALU_CYCLE_1)
	s_mov_b32 s2, exec_lo
	s_wait_storecnt 0x0
	s_barrier_signal -1
	s_barrier_wait -1
	v_cmpx_eq_u32_e32 18, v86
	s_cbranch_execz .LBB99_170
; %bb.164:
	ds_store_b64 v87, v[76:77]
	ds_store_2addr_b64 v96, v[72:73], v[94:95] offset0:19 offset1:20
	ds_store_2addr_b64 v96, v[90:91], v[92:93] offset0:21 offset1:22
	;; [unrolled: 1-line block ×15, first 2 shown]
	ds_store_b64 v96, v[200:201] offset:392
	ds_load_b64 v[0:1], v87
	s_wait_dscnt 0x0
	v_cmp_neq_f32_e32 vcc_lo, 0, v0
	v_cmp_neq_f32_e64 s1, 0, v1
	s_or_b32 s1, vcc_lo, s1
	s_delay_alu instid0(SALU_CYCLE_1)
	s_and_b32 exec_lo, exec_lo, s1
	s_cbranch_execz .LBB99_170
; %bb.165:
	v_cmp_ngt_f32_e64 s1, |v0|, |v1|
                                        ; implicit-def: $vgpr2_vgpr3
	s_and_saveexec_b32 s4, s1
	s_delay_alu instid0(SALU_CYCLE_1)
	s_xor_b32 s1, exec_lo, s4
	s_cbranch_execz .LBB99_167
; %bb.166:
	v_div_scale_f32 v2, null, v1, v1, v0
	v_div_scale_f32 v5, vcc_lo, v0, v1, v0
	s_delay_alu instid0(VALU_DEP_2) | instskip(SKIP_1) | instid1(TRANS32_DEP_1)
	v_rcp_f32_e32 v3, v2
	v_nop
	v_fma_f32 v4, -v2, v3, 1.0
	s_delay_alu instid0(VALU_DEP_1) | instskip(NEXT) | instid1(VALU_DEP_1)
	v_fmac_f32_e32 v3, v4, v3
	v_mul_f32_e32 v4, v5, v3
	s_delay_alu instid0(VALU_DEP_1) | instskip(NEXT) | instid1(VALU_DEP_1)
	v_fma_f32 v6, -v2, v4, v5
	v_fmac_f32_e32 v4, v6, v3
	s_delay_alu instid0(VALU_DEP_1) | instskip(NEXT) | instid1(VALU_DEP_1)
	v_fma_f32 v2, -v2, v4, v5
	v_div_fmas_f32 v2, v2, v3, v4
	s_delay_alu instid0(VALU_DEP_1) | instskip(NEXT) | instid1(VALU_DEP_1)
	v_div_fixup_f32 v2, v2, v1, v0
	v_fmac_f32_e32 v1, v0, v2
	s_delay_alu instid0(VALU_DEP_1) | instskip(SKIP_1) | instid1(VALU_DEP_2)
	v_div_scale_f32 v0, null, v1, v1, 1.0
	v_div_scale_f32 v5, vcc_lo, 1.0, v1, 1.0
	v_rcp_f32_e32 v3, v0
	v_nop
	s_delay_alu instid0(TRANS32_DEP_1) | instskip(NEXT) | instid1(VALU_DEP_1)
	v_fma_f32 v4, -v0, v3, 1.0
	v_fmac_f32_e32 v3, v4, v3
	s_delay_alu instid0(VALU_DEP_1) | instskip(NEXT) | instid1(VALU_DEP_1)
	v_mul_f32_e32 v4, v5, v3
	v_fma_f32 v6, -v0, v4, v5
	s_delay_alu instid0(VALU_DEP_1) | instskip(NEXT) | instid1(VALU_DEP_1)
	v_fmac_f32_e32 v4, v6, v3
	v_fma_f32 v0, -v0, v4, v5
	s_delay_alu instid0(VALU_DEP_1) | instskip(NEXT) | instid1(VALU_DEP_1)
	v_div_fmas_f32 v0, v0, v3, v4
	v_div_fixup_f32 v0, v0, v1, 1.0
	s_delay_alu instid0(VALU_DEP_1)
	v_mul_f32_e32 v2, v2, v0
	v_xor_b32_e32 v3, 0x80000000, v0
                                        ; implicit-def: $vgpr0_vgpr1
.LBB99_167:
	s_and_not1_saveexec_b32 s1, s1
	s_cbranch_execz .LBB99_169
; %bb.168:
	v_div_scale_f32 v2, null, v0, v0, v1
	v_div_scale_f32 v5, vcc_lo, v1, v0, v1
	s_delay_alu instid0(VALU_DEP_2) | instskip(SKIP_1) | instid1(TRANS32_DEP_1)
	v_rcp_f32_e32 v3, v2
	v_nop
	v_fma_f32 v4, -v2, v3, 1.0
	s_delay_alu instid0(VALU_DEP_1) | instskip(NEXT) | instid1(VALU_DEP_1)
	v_fmac_f32_e32 v3, v4, v3
	v_mul_f32_e32 v4, v5, v3
	s_delay_alu instid0(VALU_DEP_1) | instskip(NEXT) | instid1(VALU_DEP_1)
	v_fma_f32 v6, -v2, v4, v5
	v_fmac_f32_e32 v4, v6, v3
	s_delay_alu instid0(VALU_DEP_1) | instskip(NEXT) | instid1(VALU_DEP_1)
	v_fma_f32 v2, -v2, v4, v5
	v_div_fmas_f32 v2, v2, v3, v4
	s_delay_alu instid0(VALU_DEP_1) | instskip(NEXT) | instid1(VALU_DEP_1)
	v_div_fixup_f32 v3, v2, v0, v1
	v_fmac_f32_e32 v0, v1, v3
	s_delay_alu instid0(VALU_DEP_1) | instskip(NEXT) | instid1(VALU_DEP_1)
	v_div_scale_f32 v1, null, v0, v0, 1.0
	v_rcp_f32_e32 v2, v1
	v_nop
	s_delay_alu instid0(TRANS32_DEP_1) | instskip(NEXT) | instid1(VALU_DEP_1)
	v_fma_f32 v4, -v1, v2, 1.0
	v_fmac_f32_e32 v2, v4, v2
	v_div_scale_f32 v4, vcc_lo, 1.0, v0, 1.0
	s_delay_alu instid0(VALU_DEP_1) | instskip(NEXT) | instid1(VALU_DEP_1)
	v_mul_f32_e32 v5, v4, v2
	v_fma_f32 v6, -v1, v5, v4
	s_delay_alu instid0(VALU_DEP_1) | instskip(NEXT) | instid1(VALU_DEP_1)
	v_fmac_f32_e32 v5, v6, v2
	v_fma_f32 v1, -v1, v5, v4
	s_delay_alu instid0(VALU_DEP_1) | instskip(NEXT) | instid1(VALU_DEP_1)
	v_div_fmas_f32 v1, v1, v2, v5
	v_div_fixup_f32 v2, v1, v0, 1.0
	s_delay_alu instid0(VALU_DEP_1)
	v_mul_f32_e64 v3, v3, -v2
.LBB99_169:
	s_or_b32 exec_lo, exec_lo, s1
	ds_store_b64 v87, v[2:3]
.LBB99_170:
	s_or_b32 exec_lo, exec_lo, s2
	s_wait_dscnt 0x0
	s_barrier_signal -1
	s_barrier_wait -1
	ds_load_b64 v[0:1], v87
	s_mov_b32 s1, exec_lo
	s_wait_dscnt 0x0
	scratch_store_b64 off, v[0:1], off offset:152 ; 8-byte Folded Spill
	s_wait_xcnt 0x0
	v_cmpx_lt_u32_e32 18, v86
	s_cbranch_execz .LBB99_172
; %bb.171:
	scratch_load_b64 v[4:5], off, off offset:152 ; 8-byte Folded Reload
	s_wait_loadcnt 0x0
	v_pk_mul_f32 v[2:3], v[4:5], v[76:77] op_sel:[1,1] op_sel_hi:[0,1]
	s_delay_alu instid0(VALU_DEP_1)
	v_pk_fma_f32 v[0:1], v[4:5], v[76:77], v[2:3] op_sel_hi:[1,0,1] neg_lo:[0,0,1] neg_hi:[0,0,1]
	v_pk_fma_f32 v[2:3], v[4:5], v[76:77], v[2:3] op_sel_hi:[1,0,1]
	ds_load_2addr_b64 v[4:7], v96 offset0:19 offset1:20
	v_dual_mov_b32 v76, v0 :: v_dual_mov_b32 v77, v3
	s_wait_dscnt 0x0
	v_pk_mul_f32 v[8:9], v[4:5], v[2:3] op_sel:[0,1]
	s_delay_alu instid0(VALU_DEP_1) | instskip(SKIP_1) | instid1(VALU_DEP_1)
	v_pk_fma_f32 v[10:11], v[4:5], v[0:1], v[8:9] op_sel:[0,0,1] op_sel_hi:[1,1,0] neg_lo:[0,0,1] neg_hi:[0,0,1]
	v_pk_fma_f32 v[4:5], v[4:5], v[0:1], v[8:9] op_sel:[0,0,1] op_sel_hi:[1,0,0]
	v_mov_b32_e32 v11, v5
	v_pk_mul_f32 v[4:5], v[6:7], v[2:3] op_sel:[0,1]
	s_delay_alu instid0(VALU_DEP_1) | instskip(SKIP_1) | instid1(VALU_DEP_1)
	v_pk_fma_f32 v[8:9], v[6:7], v[0:1], v[4:5] op_sel:[0,0,1] op_sel_hi:[1,1,0] neg_lo:[0,0,1] neg_hi:[0,0,1]
	v_pk_fma_f32 v[4:5], v[6:7], v[0:1], v[4:5] op_sel:[0,0,1] op_sel_hi:[1,0,0]
	v_mov_b32_e32 v9, v5
	ds_load_2addr_b64 v[4:7], v96 offset0:21 offset1:22
	v_pk_add_f32 v[72:73], v[72:73], v[10:11] neg_lo:[0,1] neg_hi:[0,1]
	v_pk_add_f32 v[94:95], v[94:95], v[8:9] neg_lo:[0,1] neg_hi:[0,1]
	s_wait_dscnt 0x0
	v_pk_mul_f32 v[8:9], v[4:5], v[2:3] op_sel:[0,1]
	s_delay_alu instid0(VALU_DEP_1) | instskip(SKIP_2) | instid1(VALU_DEP_2)
	v_pk_fma_f32 v[10:11], v[4:5], v[0:1], v[8:9] op_sel:[0,0,1] op_sel_hi:[1,1,0] neg_lo:[0,0,1] neg_hi:[0,0,1]
	v_pk_fma_f32 v[4:5], v[4:5], v[0:1], v[8:9] op_sel:[0,0,1] op_sel_hi:[1,0,0]
	v_dual_mul_f32 v8, v7, v3 :: v_dual_mov_b32 v4, v7
	v_dual_mov_b32 v11, v5 :: v_dual_mov_b32 v5, v6
	s_delay_alu instid0(VALU_DEP_2) | instskip(SKIP_1) | instid1(VALU_DEP_3)
	v_pk_fma_f32 v[8:9], v[6:7], v[76:77], v[8:9] op_sel_hi:[1,1,0] neg_lo:[0,0,1] neg_hi:[0,0,1]
	v_mul_f32_e32 v6, v7, v0
	v_pk_add_f32 v[90:91], v[90:91], v[10:11] neg_lo:[0,1] neg_hi:[0,1]
	s_delay_alu instid0(VALU_DEP_2) | instskip(NEXT) | instid1(VALU_DEP_1)
	v_pk_fma_f32 v[4:5], v[4:5], v[76:77], v[6:7] op_sel_hi:[1,1,0]
	v_mov_b32_e32 v9, v5
	ds_load_2addr_b64 v[4:7], v96 offset0:23 offset1:24
	v_pk_add_f32 v[92:93], v[92:93], v[8:9] neg_lo:[0,1] neg_hi:[0,1]
	s_wait_dscnt 0x0
	v_pk_mul_f32 v[8:9], v[4:5], v[2:3] op_sel:[0,1]
	s_delay_alu instid0(VALU_DEP_1) | instskip(SKIP_1) | instid1(VALU_DEP_1)
	v_pk_fma_f32 v[10:11], v[4:5], v[0:1], v[8:9] op_sel:[0,0,1] op_sel_hi:[1,1,0] neg_lo:[0,0,1] neg_hi:[0,0,1]
	v_pk_fma_f32 v[4:5], v[4:5], v[0:1], v[8:9] op_sel:[0,0,1] op_sel_hi:[1,0,0]
	v_mov_b32_e32 v11, v5
	v_pk_mul_f32 v[4:5], v[6:7], v[2:3] op_sel:[0,1]
	s_delay_alu instid0(VALU_DEP_1) | instskip(SKIP_1) | instid1(VALU_DEP_1)
	v_pk_fma_f32 v[8:9], v[6:7], v[0:1], v[4:5] op_sel:[0,0,1] op_sel_hi:[1,1,0] neg_lo:[0,0,1] neg_hi:[0,0,1]
	v_pk_fma_f32 v[4:5], v[6:7], v[0:1], v[4:5] op_sel:[0,0,1] op_sel_hi:[1,0,0]
	v_mov_b32_e32 v9, v5
	ds_load_2addr_b64 v[4:7], v96 offset0:25 offset1:26
	v_pk_add_f32 v[88:89], v[88:89], v[10:11] neg_lo:[0,1] neg_hi:[0,1]
	v_pk_add_f32 v[112:113], v[112:113], v[8:9] neg_lo:[0,1] neg_hi:[0,1]
	s_wait_dscnt 0x0
	v_pk_mul_f32 v[8:9], v[4:5], v[2:3] op_sel:[0,1]
	s_delay_alu instid0(VALU_DEP_1) | instskip(SKIP_1) | instid1(VALU_DEP_1)
	v_pk_fma_f32 v[10:11], v[4:5], v[0:1], v[8:9] op_sel:[0,0,1] op_sel_hi:[1,1,0] neg_lo:[0,0,1] neg_hi:[0,0,1]
	v_pk_fma_f32 v[4:5], v[4:5], v[0:1], v[8:9] op_sel:[0,0,1] op_sel_hi:[1,0,0]
	v_mov_b32_e32 v11, v5
	v_pk_mul_f32 v[4:5], v[6:7], v[2:3] op_sel:[0,1]
	s_delay_alu instid0(VALU_DEP_1) | instskip(SKIP_1) | instid1(VALU_DEP_1)
	v_pk_fma_f32 v[8:9], v[6:7], v[0:1], v[4:5] op_sel:[0,0,1] op_sel_hi:[1,1,0] neg_lo:[0,0,1] neg_hi:[0,0,1]
	v_pk_fma_f32 v[4:5], v[6:7], v[0:1], v[4:5] op_sel:[0,0,1] op_sel_hi:[1,0,0]
	v_mov_b32_e32 v9, v5
	ds_load_2addr_b64 v[4:7], v96 offset0:27 offset1:28
	v_pk_add_f32 v[108:109], v[108:109], v[10:11] neg_lo:[0,1] neg_hi:[0,1]
	v_pk_add_f32 v[110:111], v[110:111], v[8:9] neg_lo:[0,1] neg_hi:[0,1]
	s_wait_dscnt 0x0
	v_dual_mul_f32 v8, v5, v3 :: v_dual_mul_f32 v10, v5, v0
	s_delay_alu instid0(VALU_DEP_1) | instskip(NEXT) | instid1(VALU_DEP_2)
	v_pk_fma_f32 v[8:9], v[4:5], v[76:77], v[8:9] op_sel_hi:[1,1,0] neg_lo:[0,0,1] neg_hi:[0,0,1]
	v_pk_fma_f32 v[4:5], v[4:5], v[76:77], v[10:11] op_sel:[1,0,0] op_sel_hi:[0,1,0]
	s_delay_alu instid0(VALU_DEP_1) | instskip(SKIP_1) | instid1(VALU_DEP_2)
	v_mov_b32_e32 v9, v5
	v_pk_mul_f32 v[4:5], v[6:7], v[2:3] op_sel:[0,1]
	v_pk_add_f32 v[106:107], v[106:107], v[8:9] neg_lo:[0,1] neg_hi:[0,1]
	s_delay_alu instid0(VALU_DEP_2) | instskip(SKIP_1) | instid1(VALU_DEP_1)
	v_pk_fma_f32 v[8:9], v[6:7], v[0:1], v[4:5] op_sel:[0,0,1] op_sel_hi:[1,1,0] neg_lo:[0,0,1] neg_hi:[0,0,1]
	v_pk_fma_f32 v[4:5], v[6:7], v[0:1], v[4:5] op_sel:[0,0,1] op_sel_hi:[1,0,0]
	v_mov_b32_e32 v9, v5
	ds_load_2addr_b64 v[4:7], v96 offset0:29 offset1:30
	v_pk_add_f32 v[128:129], v[128:129], v[8:9] neg_lo:[0,1] neg_hi:[0,1]
	s_wait_dscnt 0x0
	v_pk_mul_f32 v[8:9], v[4:5], v[2:3] op_sel:[0,1]
	s_delay_alu instid0(VALU_DEP_1) | instskip(SKIP_1) | instid1(VALU_DEP_1)
	v_pk_fma_f32 v[10:11], v[4:5], v[0:1], v[8:9] op_sel:[0,0,1] op_sel_hi:[1,1,0] neg_lo:[0,0,1] neg_hi:[0,0,1]
	v_pk_fma_f32 v[4:5], v[4:5], v[0:1], v[8:9] op_sel:[0,0,1] op_sel_hi:[1,0,0]
	v_mov_b32_e32 v11, v5
	v_pk_mul_f32 v[4:5], v[6:7], v[2:3] op_sel:[0,1]
	s_delay_alu instid0(VALU_DEP_2) | instskip(NEXT) | instid1(VALU_DEP_2)
	v_pk_add_f32 v[124:125], v[124:125], v[10:11] neg_lo:[0,1] neg_hi:[0,1]
	v_pk_fma_f32 v[8:9], v[6:7], v[0:1], v[4:5] op_sel:[0,0,1] op_sel_hi:[1,1,0] neg_lo:[0,0,1] neg_hi:[0,0,1]
	v_pk_fma_f32 v[4:5], v[6:7], v[0:1], v[4:5] op_sel:[0,0,1] op_sel_hi:[1,0,0]
	s_delay_alu instid0(VALU_DEP_1) | instskip(SKIP_4) | instid1(VALU_DEP_1)
	v_mov_b32_e32 v9, v5
	ds_load_2addr_b64 v[4:7], v96 offset0:31 offset1:32
	v_pk_add_f32 v[126:127], v[126:127], v[8:9] neg_lo:[0,1] neg_hi:[0,1]
	s_wait_dscnt 0x0
	v_pk_mul_f32 v[8:9], v[4:5], v[2:3] op_sel:[0,1]
	v_pk_fma_f32 v[10:11], v[4:5], v[0:1], v[8:9] op_sel:[0,0,1] op_sel_hi:[1,1,0] neg_lo:[0,0,1] neg_hi:[0,0,1]
	v_pk_fma_f32 v[4:5], v[4:5], v[0:1], v[8:9] op_sel:[0,0,1] op_sel_hi:[1,0,0]
	v_dual_mul_f32 v8, v7, v3 :: v_dual_mov_b32 v4, v7
	s_delay_alu instid0(VALU_DEP_2) | instskip(NEXT) | instid1(VALU_DEP_2)
	v_dual_mov_b32 v11, v5 :: v_dual_mov_b32 v5, v6
	v_pk_fma_f32 v[8:9], v[6:7], v[76:77], v[8:9] op_sel_hi:[1,1,0] neg_lo:[0,0,1] neg_hi:[0,0,1]
	v_mul_f32_e32 v6, v7, v0
	s_delay_alu instid0(VALU_DEP_3) | instskip(NEXT) | instid1(VALU_DEP_2)
	v_pk_add_f32 v[122:123], v[122:123], v[10:11] neg_lo:[0,1] neg_hi:[0,1]
	v_pk_fma_f32 v[4:5], v[4:5], v[76:77], v[6:7] op_sel_hi:[1,1,0]
	s_delay_alu instid0(VALU_DEP_1) | instskip(SKIP_4) | instid1(VALU_DEP_1)
	v_mov_b32_e32 v9, v5
	ds_load_2addr_b64 v[4:7], v96 offset0:33 offset1:34
	v_pk_add_f32 v[144:145], v[144:145], v[8:9] neg_lo:[0,1] neg_hi:[0,1]
	s_wait_dscnt 0x0
	v_pk_mul_f32 v[8:9], v[4:5], v[2:3] op_sel:[0,1]
	v_pk_fma_f32 v[10:11], v[4:5], v[0:1], v[8:9] op_sel:[0,0,1] op_sel_hi:[1,1,0] neg_lo:[0,0,1] neg_hi:[0,0,1]
	v_pk_fma_f32 v[4:5], v[4:5], v[0:1], v[8:9] op_sel:[0,0,1] op_sel_hi:[1,0,0]
	s_delay_alu instid0(VALU_DEP_1) | instskip(SKIP_1) | instid1(VALU_DEP_1)
	v_mov_b32_e32 v11, v5
	v_pk_mul_f32 v[4:5], v[6:7], v[2:3] op_sel:[0,1]
	v_pk_fma_f32 v[8:9], v[6:7], v[0:1], v[4:5] op_sel:[0,0,1] op_sel_hi:[1,1,0] neg_lo:[0,0,1] neg_hi:[0,0,1]
	v_pk_fma_f32 v[4:5], v[6:7], v[0:1], v[4:5] op_sel:[0,0,1] op_sel_hi:[1,0,0]
	s_delay_alu instid0(VALU_DEP_1)
	v_mov_b32_e32 v9, v5
	ds_load_2addr_b64 v[4:7], v96 offset0:35 offset1:36
	v_pk_add_f32 v[140:141], v[140:141], v[10:11] neg_lo:[0,1] neg_hi:[0,1]
	v_pk_add_f32 v[142:143], v[142:143], v[8:9] neg_lo:[0,1] neg_hi:[0,1]
	s_wait_dscnt 0x0
	v_pk_mul_f32 v[8:9], v[4:5], v[2:3] op_sel:[0,1]
	s_delay_alu instid0(VALU_DEP_1) | instskip(SKIP_1) | instid1(VALU_DEP_1)
	v_pk_fma_f32 v[10:11], v[4:5], v[0:1], v[8:9] op_sel:[0,0,1] op_sel_hi:[1,1,0] neg_lo:[0,0,1] neg_hi:[0,0,1]
	v_pk_fma_f32 v[4:5], v[4:5], v[0:1], v[8:9] op_sel:[0,0,1] op_sel_hi:[1,0,0]
	v_mov_b32_e32 v11, v5
	v_pk_mul_f32 v[4:5], v[6:7], v[2:3] op_sel:[0,1]
	s_delay_alu instid0(VALU_DEP_1) | instskip(SKIP_1) | instid1(VALU_DEP_1)
	v_pk_fma_f32 v[8:9], v[6:7], v[0:1], v[4:5] op_sel:[0,0,1] op_sel_hi:[1,1,0] neg_lo:[0,0,1] neg_hi:[0,0,1]
	v_pk_fma_f32 v[4:5], v[6:7], v[0:1], v[4:5] op_sel:[0,0,1] op_sel_hi:[1,0,0]
	v_mov_b32_e32 v9, v5
	ds_load_2addr_b64 v[4:7], v96 offset0:37 offset1:38
	v_pk_add_f32 v[138:139], v[138:139], v[10:11] neg_lo:[0,1] neg_hi:[0,1]
	v_pk_add_f32 v[162:163], v[162:163], v[8:9] neg_lo:[0,1] neg_hi:[0,1]
	s_wait_dscnt 0x0
	v_dual_mul_f32 v8, v5, v3 :: v_dual_mul_f32 v10, v5, v0
	s_delay_alu instid0(VALU_DEP_1) | instskip(NEXT) | instid1(VALU_DEP_2)
	v_pk_fma_f32 v[8:9], v[4:5], v[76:77], v[8:9] op_sel_hi:[1,1,0] neg_lo:[0,0,1] neg_hi:[0,0,1]
	v_pk_fma_f32 v[4:5], v[4:5], v[76:77], v[10:11] op_sel:[1,0,0] op_sel_hi:[0,1,0]
	s_delay_alu instid0(VALU_DEP_1) | instskip(SKIP_1) | instid1(VALU_DEP_2)
	v_mov_b32_e32 v9, v5
	v_pk_mul_f32 v[4:5], v[6:7], v[2:3] op_sel:[0,1]
	v_pk_add_f32 v[158:159], v[158:159], v[8:9] neg_lo:[0,1] neg_hi:[0,1]
	s_delay_alu instid0(VALU_DEP_2) | instskip(SKIP_1) | instid1(VALU_DEP_1)
	v_pk_fma_f32 v[8:9], v[6:7], v[0:1], v[4:5] op_sel:[0,0,1] op_sel_hi:[1,1,0] neg_lo:[0,0,1] neg_hi:[0,0,1]
	v_pk_fma_f32 v[4:5], v[6:7], v[0:1], v[4:5] op_sel:[0,0,1] op_sel_hi:[1,0,0]
	v_mov_b32_e32 v9, v5
	ds_load_2addr_b64 v[4:7], v96 offset0:39 offset1:40
	v_pk_add_f32 v[160:161], v[160:161], v[8:9] neg_lo:[0,1] neg_hi:[0,1]
	s_wait_dscnt 0x0
	v_pk_mul_f32 v[8:9], v[4:5], v[2:3] op_sel:[0,1]
	s_delay_alu instid0(VALU_DEP_1) | instskip(SKIP_1) | instid1(VALU_DEP_1)
	v_pk_fma_f32 v[10:11], v[4:5], v[0:1], v[8:9] op_sel:[0,0,1] op_sel_hi:[1,1,0] neg_lo:[0,0,1] neg_hi:[0,0,1]
	v_pk_fma_f32 v[4:5], v[4:5], v[0:1], v[8:9] op_sel:[0,0,1] op_sel_hi:[1,0,0]
	v_mov_b32_e32 v11, v5
	v_pk_mul_f32 v[4:5], v[6:7], v[2:3] op_sel:[0,1]
	s_delay_alu instid0(VALU_DEP_2) | instskip(NEXT) | instid1(VALU_DEP_2)
	v_pk_add_f32 v[156:157], v[156:157], v[10:11] neg_lo:[0,1] neg_hi:[0,1]
	v_pk_fma_f32 v[8:9], v[6:7], v[0:1], v[4:5] op_sel:[0,0,1] op_sel_hi:[1,1,0] neg_lo:[0,0,1] neg_hi:[0,0,1]
	v_pk_fma_f32 v[4:5], v[6:7], v[0:1], v[4:5] op_sel:[0,0,1] op_sel_hi:[1,0,0]
	s_delay_alu instid0(VALU_DEP_1) | instskip(SKIP_4) | instid1(VALU_DEP_1)
	v_mov_b32_e32 v9, v5
	ds_load_2addr_b64 v[4:7], v96 offset0:41 offset1:42
	v_pk_add_f32 v[180:181], v[180:181], v[8:9] neg_lo:[0,1] neg_hi:[0,1]
	s_wait_dscnt 0x0
	v_pk_mul_f32 v[8:9], v[4:5], v[2:3] op_sel:[0,1]
	v_pk_fma_f32 v[10:11], v[4:5], v[0:1], v[8:9] op_sel:[0,0,1] op_sel_hi:[1,1,0] neg_lo:[0,0,1] neg_hi:[0,0,1]
	v_pk_fma_f32 v[4:5], v[4:5], v[0:1], v[8:9] op_sel:[0,0,1] op_sel_hi:[1,0,0]
	v_dual_mul_f32 v8, v7, v3 :: v_dual_mov_b32 v4, v7
	s_delay_alu instid0(VALU_DEP_2) | instskip(NEXT) | instid1(VALU_DEP_2)
	v_dual_mov_b32 v11, v5 :: v_dual_mov_b32 v5, v6
	v_pk_fma_f32 v[8:9], v[6:7], v[76:77], v[8:9] op_sel_hi:[1,1,0] neg_lo:[0,0,1] neg_hi:[0,0,1]
	v_mul_f32_e32 v6, v7, v0
	s_delay_alu instid0(VALU_DEP_3) | instskip(NEXT) | instid1(VALU_DEP_2)
	v_pk_add_f32 v[176:177], v[176:177], v[10:11] neg_lo:[0,1] neg_hi:[0,1]
	v_pk_fma_f32 v[4:5], v[4:5], v[76:77], v[6:7] op_sel_hi:[1,1,0]
	s_delay_alu instid0(VALU_DEP_1) | instskip(SKIP_4) | instid1(VALU_DEP_1)
	v_mov_b32_e32 v9, v5
	ds_load_2addr_b64 v[4:7], v96 offset0:43 offset1:44
	v_pk_add_f32 v[178:179], v[178:179], v[8:9] neg_lo:[0,1] neg_hi:[0,1]
	s_wait_dscnt 0x0
	v_pk_mul_f32 v[8:9], v[4:5], v[2:3] op_sel:[0,1]
	v_pk_fma_f32 v[10:11], v[4:5], v[0:1], v[8:9] op_sel:[0,0,1] op_sel_hi:[1,1,0] neg_lo:[0,0,1] neg_hi:[0,0,1]
	v_pk_fma_f32 v[4:5], v[4:5], v[0:1], v[8:9] op_sel:[0,0,1] op_sel_hi:[1,0,0]
	s_delay_alu instid0(VALU_DEP_1) | instskip(SKIP_1) | instid1(VALU_DEP_1)
	v_mov_b32_e32 v11, v5
	v_pk_mul_f32 v[4:5], v[6:7], v[2:3] op_sel:[0,1]
	v_pk_fma_f32 v[8:9], v[6:7], v[0:1], v[4:5] op_sel:[0,0,1] op_sel_hi:[1,1,0] neg_lo:[0,0,1] neg_hi:[0,0,1]
	v_pk_fma_f32 v[4:5], v[6:7], v[0:1], v[4:5] op_sel:[0,0,1] op_sel_hi:[1,0,0]
	s_delay_alu instid0(VALU_DEP_1)
	v_mov_b32_e32 v9, v5
	ds_load_2addr_b64 v[4:7], v96 offset0:45 offset1:46
	v_pk_add_f32 v[174:175], v[174:175], v[10:11] neg_lo:[0,1] neg_hi:[0,1]
	v_pk_add_f32 v[196:197], v[196:197], v[8:9] neg_lo:[0,1] neg_hi:[0,1]
	s_wait_dscnt 0x0
	v_pk_mul_f32 v[8:9], v[4:5], v[2:3] op_sel:[0,1]
	s_delay_alu instid0(VALU_DEP_1) | instskip(SKIP_1) | instid1(VALU_DEP_1)
	v_pk_fma_f32 v[10:11], v[4:5], v[0:1], v[8:9] op_sel:[0,0,1] op_sel_hi:[1,1,0] neg_lo:[0,0,1] neg_hi:[0,0,1]
	v_pk_fma_f32 v[4:5], v[4:5], v[0:1], v[8:9] op_sel:[0,0,1] op_sel_hi:[1,0,0]
	v_mov_b32_e32 v11, v5
	v_pk_mul_f32 v[4:5], v[6:7], v[2:3] op_sel:[0,1]
	s_delay_alu instid0(VALU_DEP_1) | instskip(SKIP_1) | instid1(VALU_DEP_1)
	v_pk_fma_f32 v[8:9], v[6:7], v[0:1], v[4:5] op_sel:[0,0,1] op_sel_hi:[1,1,0] neg_lo:[0,0,1] neg_hi:[0,0,1]
	v_pk_fma_f32 v[4:5], v[6:7], v[0:1], v[4:5] op_sel:[0,0,1] op_sel_hi:[1,0,0]
	v_mov_b32_e32 v9, v5
	ds_load_2addr_b64 v[4:7], v96 offset0:47 offset1:48
	v_pk_add_f32 v[192:193], v[192:193], v[10:11] neg_lo:[0,1] neg_hi:[0,1]
	v_pk_add_f32 v[194:195], v[194:195], v[8:9] neg_lo:[0,1] neg_hi:[0,1]
	s_wait_dscnt 0x0
	v_dual_mul_f32 v8, v5, v3 :: v_dual_mul_f32 v10, v5, v0
	s_delay_alu instid0(VALU_DEP_1) | instskip(NEXT) | instid1(VALU_DEP_2)
	v_pk_fma_f32 v[8:9], v[4:5], v[76:77], v[8:9] op_sel_hi:[1,1,0] neg_lo:[0,0,1] neg_hi:[0,0,1]
	v_pk_fma_f32 v[4:5], v[4:5], v[76:77], v[10:11] op_sel:[1,0,0] op_sel_hi:[0,1,0]
	s_delay_alu instid0(VALU_DEP_1) | instskip(SKIP_1) | instid1(VALU_DEP_2)
	v_mov_b32_e32 v9, v5
	v_pk_mul_f32 v[4:5], v[6:7], v[2:3] op_sel:[0,1]
	v_pk_add_f32 v[190:191], v[190:191], v[8:9] neg_lo:[0,1] neg_hi:[0,1]
	s_delay_alu instid0(VALU_DEP_2) | instskip(SKIP_1) | instid1(VALU_DEP_1)
	v_pk_fma_f32 v[8:9], v[6:7], v[0:1], v[4:5] op_sel:[0,0,1] op_sel_hi:[1,1,0] neg_lo:[0,0,1] neg_hi:[0,0,1]
	v_pk_fma_f32 v[4:5], v[6:7], v[0:1], v[4:5] op_sel:[0,0,1] op_sel_hi:[1,0,0]
	v_mov_b32_e32 v9, v5
	ds_load_b64 v[4:5], v96 offset:392
	v_pk_add_f32 v[198:199], v[198:199], v[8:9] neg_lo:[0,1] neg_hi:[0,1]
	s_wait_dscnt 0x0
	v_pk_mul_f32 v[2:3], v[4:5], v[2:3] op_sel:[0,1]
	s_delay_alu instid0(VALU_DEP_1) | instskip(SKIP_1) | instid1(VALU_DEP_1)
	v_pk_fma_f32 v[6:7], v[4:5], v[0:1], v[2:3] op_sel:[0,0,1] op_sel_hi:[1,1,0] neg_lo:[0,0,1] neg_hi:[0,0,1]
	v_pk_fma_f32 v[0:1], v[4:5], v[0:1], v[2:3] op_sel:[0,0,1] op_sel_hi:[1,0,0]
	v_mov_b32_e32 v7, v1
	s_delay_alu instid0(VALU_DEP_1)
	v_pk_add_f32 v[200:201], v[200:201], v[6:7] neg_lo:[0,1] neg_hi:[0,1]
.LBB99_172:
	s_wait_xcnt 0x0
	s_or_b32 exec_lo, exec_lo, s1
	s_delay_alu instid0(SALU_CYCLE_1)
	s_mov_b32 s2, exec_lo
	s_wait_storecnt 0x0
	s_barrier_signal -1
	s_barrier_wait -1
	v_cmpx_eq_u32_e32 19, v86
	s_cbranch_execz .LBB99_179
; %bb.173:
	v_dual_mov_b32 v0, v94 :: v_dual_mov_b32 v1, v95
	v_dual_mov_b32 v2, v90 :: v_dual_mov_b32 v3, v91
	ds_store_b64 v87, v[72:73]
	ds_store_2addr_b64 v96, v[0:1], v[2:3] offset0:20 offset1:21
	v_dual_mov_b32 v0, v92 :: v_dual_mov_b32 v1, v93
	v_dual_mov_b32 v2, v88 :: v_dual_mov_b32 v3, v89
	ds_store_2addr_b64 v96, v[0:1], v[2:3] offset0:22 offset1:23
	v_dual_mov_b32 v0, v112 :: v_dual_mov_b32 v1, v113
	v_dual_mov_b32 v2, v108 :: v_dual_mov_b32 v3, v109
	;; [unrolled: 3-line block ×13, first 2 shown]
	ds_store_2addr_b64 v96, v[0:1], v[2:3] offset0:46 offset1:47
	v_dual_mov_b32 v0, v198 :: v_dual_mov_b32 v1, v199
	ds_store_2addr_b64 v96, v[0:1], v[200:201] offset0:48 offset1:49
	ds_load_b64 v[0:1], v87
	s_wait_dscnt 0x0
	v_cmp_neq_f32_e32 vcc_lo, 0, v0
	v_cmp_neq_f32_e64 s1, 0, v1
	s_or_b32 s1, vcc_lo, s1
	s_delay_alu instid0(SALU_CYCLE_1)
	s_and_b32 exec_lo, exec_lo, s1
	s_cbranch_execz .LBB99_179
; %bb.174:
	v_cmp_ngt_f32_e64 s1, |v0|, |v1|
                                        ; implicit-def: $vgpr2_vgpr3
	s_and_saveexec_b32 s4, s1
	s_delay_alu instid0(SALU_CYCLE_1)
	s_xor_b32 s1, exec_lo, s4
	s_cbranch_execz .LBB99_176
; %bb.175:
	v_div_scale_f32 v2, null, v1, v1, v0
	v_div_scale_f32 v5, vcc_lo, v0, v1, v0
	s_delay_alu instid0(VALU_DEP_2) | instskip(SKIP_1) | instid1(TRANS32_DEP_1)
	v_rcp_f32_e32 v3, v2
	v_nop
	v_fma_f32 v4, -v2, v3, 1.0
	s_delay_alu instid0(VALU_DEP_1) | instskip(NEXT) | instid1(VALU_DEP_1)
	v_fmac_f32_e32 v3, v4, v3
	v_mul_f32_e32 v4, v5, v3
	s_delay_alu instid0(VALU_DEP_1) | instskip(NEXT) | instid1(VALU_DEP_1)
	v_fma_f32 v6, -v2, v4, v5
	v_fmac_f32_e32 v4, v6, v3
	s_delay_alu instid0(VALU_DEP_1) | instskip(NEXT) | instid1(VALU_DEP_1)
	v_fma_f32 v2, -v2, v4, v5
	v_div_fmas_f32 v2, v2, v3, v4
	s_delay_alu instid0(VALU_DEP_1) | instskip(NEXT) | instid1(VALU_DEP_1)
	v_div_fixup_f32 v2, v2, v1, v0
	v_fmac_f32_e32 v1, v0, v2
	s_delay_alu instid0(VALU_DEP_1) | instskip(SKIP_1) | instid1(VALU_DEP_2)
	v_div_scale_f32 v0, null, v1, v1, 1.0
	v_div_scale_f32 v5, vcc_lo, 1.0, v1, 1.0
	v_rcp_f32_e32 v3, v0
	v_nop
	s_delay_alu instid0(TRANS32_DEP_1) | instskip(NEXT) | instid1(VALU_DEP_1)
	v_fma_f32 v4, -v0, v3, 1.0
	v_fmac_f32_e32 v3, v4, v3
	s_delay_alu instid0(VALU_DEP_1) | instskip(NEXT) | instid1(VALU_DEP_1)
	v_mul_f32_e32 v4, v5, v3
	v_fma_f32 v6, -v0, v4, v5
	s_delay_alu instid0(VALU_DEP_1) | instskip(NEXT) | instid1(VALU_DEP_1)
	v_fmac_f32_e32 v4, v6, v3
	v_fma_f32 v0, -v0, v4, v5
	s_delay_alu instid0(VALU_DEP_1) | instskip(NEXT) | instid1(VALU_DEP_1)
	v_div_fmas_f32 v0, v0, v3, v4
	v_div_fixup_f32 v0, v0, v1, 1.0
	s_delay_alu instid0(VALU_DEP_1)
	v_mul_f32_e32 v2, v2, v0
	v_xor_b32_e32 v3, 0x80000000, v0
                                        ; implicit-def: $vgpr0_vgpr1
.LBB99_176:
	s_and_not1_saveexec_b32 s1, s1
	s_cbranch_execz .LBB99_178
; %bb.177:
	v_div_scale_f32 v2, null, v0, v0, v1
	v_div_scale_f32 v5, vcc_lo, v1, v0, v1
	s_delay_alu instid0(VALU_DEP_2) | instskip(SKIP_1) | instid1(TRANS32_DEP_1)
	v_rcp_f32_e32 v3, v2
	v_nop
	v_fma_f32 v4, -v2, v3, 1.0
	s_delay_alu instid0(VALU_DEP_1) | instskip(NEXT) | instid1(VALU_DEP_1)
	v_fmac_f32_e32 v3, v4, v3
	v_mul_f32_e32 v4, v5, v3
	s_delay_alu instid0(VALU_DEP_1) | instskip(NEXT) | instid1(VALU_DEP_1)
	v_fma_f32 v6, -v2, v4, v5
	v_fmac_f32_e32 v4, v6, v3
	s_delay_alu instid0(VALU_DEP_1) | instskip(NEXT) | instid1(VALU_DEP_1)
	v_fma_f32 v2, -v2, v4, v5
	v_div_fmas_f32 v2, v2, v3, v4
	s_delay_alu instid0(VALU_DEP_1) | instskip(NEXT) | instid1(VALU_DEP_1)
	v_div_fixup_f32 v3, v2, v0, v1
	v_fmac_f32_e32 v0, v1, v3
	s_delay_alu instid0(VALU_DEP_1) | instskip(NEXT) | instid1(VALU_DEP_1)
	v_div_scale_f32 v1, null, v0, v0, 1.0
	v_rcp_f32_e32 v2, v1
	v_nop
	s_delay_alu instid0(TRANS32_DEP_1) | instskip(NEXT) | instid1(VALU_DEP_1)
	v_fma_f32 v4, -v1, v2, 1.0
	v_fmac_f32_e32 v2, v4, v2
	v_div_scale_f32 v4, vcc_lo, 1.0, v0, 1.0
	s_delay_alu instid0(VALU_DEP_1) | instskip(NEXT) | instid1(VALU_DEP_1)
	v_mul_f32_e32 v5, v4, v2
	v_fma_f32 v6, -v1, v5, v4
	s_delay_alu instid0(VALU_DEP_1) | instskip(NEXT) | instid1(VALU_DEP_1)
	v_fmac_f32_e32 v5, v6, v2
	v_fma_f32 v1, -v1, v5, v4
	s_delay_alu instid0(VALU_DEP_1) | instskip(NEXT) | instid1(VALU_DEP_1)
	v_div_fmas_f32 v1, v1, v2, v5
	v_div_fixup_f32 v2, v1, v0, 1.0
	s_delay_alu instid0(VALU_DEP_1)
	v_mul_f32_e64 v3, v3, -v2
.LBB99_178:
	s_or_b32 exec_lo, exec_lo, s1
	ds_store_b64 v87, v[2:3]
.LBB99_179:
	s_or_b32 exec_lo, exec_lo, s2
	s_wait_dscnt 0x0
	s_barrier_signal -1
	s_barrier_wait -1
	ds_load_b64 v[0:1], v87
	s_mov_b32 s1, exec_lo
	s_wait_dscnt 0x0
	scratch_store_b64 off, v[0:1], off offset:160 ; 8-byte Folded Spill
	s_wait_xcnt 0x0
	v_cmpx_lt_u32_e32 19, v86
	s_cbranch_execz .LBB99_181
; %bb.180:
	scratch_load_b64 v[4:5], off, off offset:160 ; 8-byte Folded Reload
	s_wait_loadcnt 0x0
	v_pk_mul_f32 v[2:3], v[4:5], v[72:73] op_sel:[1,1] op_sel_hi:[0,1]
	s_delay_alu instid0(VALU_DEP_1)
	v_pk_fma_f32 v[0:1], v[4:5], v[72:73], v[2:3] op_sel_hi:[1,0,1] neg_lo:[0,0,1] neg_hi:[0,0,1]
	v_pk_fma_f32 v[2:3], v[4:5], v[72:73], v[2:3] op_sel_hi:[1,0,1]
	ds_load_2addr_b64 v[4:7], v96 offset0:20 offset1:21
	v_dual_mov_b32 v72, v0 :: v_dual_mov_b32 v73, v3
	s_wait_dscnt 0x0
	v_pk_mul_f32 v[8:9], v[4:5], v[2:3] op_sel:[0,1]
	s_delay_alu instid0(VALU_DEP_1) | instskip(SKIP_1) | instid1(VALU_DEP_1)
	v_pk_fma_f32 v[10:11], v[4:5], v[0:1], v[8:9] op_sel:[0,0,1] op_sel_hi:[1,1,0] neg_lo:[0,0,1] neg_hi:[0,0,1]
	v_pk_fma_f32 v[4:5], v[4:5], v[0:1], v[8:9] op_sel:[0,0,1] op_sel_hi:[1,0,0]
	v_mov_b32_e32 v11, v5
	v_pk_mul_f32 v[4:5], v[6:7], v[2:3] op_sel:[0,1]
	s_delay_alu instid0(VALU_DEP_1) | instskip(SKIP_1) | instid1(VALU_DEP_1)
	v_pk_fma_f32 v[8:9], v[6:7], v[0:1], v[4:5] op_sel:[0,0,1] op_sel_hi:[1,1,0] neg_lo:[0,0,1] neg_hi:[0,0,1]
	v_pk_fma_f32 v[4:5], v[6:7], v[0:1], v[4:5] op_sel:[0,0,1] op_sel_hi:[1,0,0]
	v_mov_b32_e32 v9, v5
	ds_load_2addr_b64 v[4:7], v96 offset0:22 offset1:23
	v_pk_add_f32 v[94:95], v[94:95], v[10:11] neg_lo:[0,1] neg_hi:[0,1]
	v_pk_add_f32 v[90:91], v[90:91], v[8:9] neg_lo:[0,1] neg_hi:[0,1]
	s_wait_dscnt 0x0
	v_pk_mul_f32 v[8:9], v[4:5], v[2:3] op_sel:[0,1]
	s_delay_alu instid0(VALU_DEP_1) | instskip(SKIP_2) | instid1(VALU_DEP_2)
	v_pk_fma_f32 v[10:11], v[4:5], v[0:1], v[8:9] op_sel:[0,0,1] op_sel_hi:[1,1,0] neg_lo:[0,0,1] neg_hi:[0,0,1]
	v_pk_fma_f32 v[4:5], v[4:5], v[0:1], v[8:9] op_sel:[0,0,1] op_sel_hi:[1,0,0]
	v_dual_mul_f32 v8, v7, v3 :: v_dual_mov_b32 v4, v7
	v_dual_mov_b32 v11, v5 :: v_dual_mov_b32 v5, v6
	s_delay_alu instid0(VALU_DEP_2) | instskip(SKIP_1) | instid1(VALU_DEP_3)
	v_pk_fma_f32 v[8:9], v[6:7], v[72:73], v[8:9] op_sel_hi:[1,1,0] neg_lo:[0,0,1] neg_hi:[0,0,1]
	v_mul_f32_e32 v6, v7, v0
	v_pk_add_f32 v[92:93], v[92:93], v[10:11] neg_lo:[0,1] neg_hi:[0,1]
	s_delay_alu instid0(VALU_DEP_2) | instskip(NEXT) | instid1(VALU_DEP_1)
	v_pk_fma_f32 v[4:5], v[4:5], v[72:73], v[6:7] op_sel_hi:[1,1,0]
	v_mov_b32_e32 v9, v5
	ds_load_2addr_b64 v[4:7], v96 offset0:24 offset1:25
	v_pk_add_f32 v[88:89], v[88:89], v[8:9] neg_lo:[0,1] neg_hi:[0,1]
	s_wait_dscnt 0x0
	v_pk_mul_f32 v[8:9], v[4:5], v[2:3] op_sel:[0,1]
	s_delay_alu instid0(VALU_DEP_1) | instskip(SKIP_1) | instid1(VALU_DEP_1)
	v_pk_fma_f32 v[10:11], v[4:5], v[0:1], v[8:9] op_sel:[0,0,1] op_sel_hi:[1,1,0] neg_lo:[0,0,1] neg_hi:[0,0,1]
	v_pk_fma_f32 v[4:5], v[4:5], v[0:1], v[8:9] op_sel:[0,0,1] op_sel_hi:[1,0,0]
	v_mov_b32_e32 v11, v5
	v_pk_mul_f32 v[4:5], v[6:7], v[2:3] op_sel:[0,1]
	s_delay_alu instid0(VALU_DEP_1) | instskip(SKIP_1) | instid1(VALU_DEP_1)
	v_pk_fma_f32 v[8:9], v[6:7], v[0:1], v[4:5] op_sel:[0,0,1] op_sel_hi:[1,1,0] neg_lo:[0,0,1] neg_hi:[0,0,1]
	v_pk_fma_f32 v[4:5], v[6:7], v[0:1], v[4:5] op_sel:[0,0,1] op_sel_hi:[1,0,0]
	v_mov_b32_e32 v9, v5
	ds_load_2addr_b64 v[4:7], v96 offset0:26 offset1:27
	v_pk_add_f32 v[112:113], v[112:113], v[10:11] neg_lo:[0,1] neg_hi:[0,1]
	v_pk_add_f32 v[108:109], v[108:109], v[8:9] neg_lo:[0,1] neg_hi:[0,1]
	s_wait_dscnt 0x0
	v_pk_mul_f32 v[8:9], v[4:5], v[2:3] op_sel:[0,1]
	s_delay_alu instid0(VALU_DEP_1) | instskip(SKIP_1) | instid1(VALU_DEP_1)
	v_pk_fma_f32 v[10:11], v[4:5], v[0:1], v[8:9] op_sel:[0,0,1] op_sel_hi:[1,1,0] neg_lo:[0,0,1] neg_hi:[0,0,1]
	v_pk_fma_f32 v[4:5], v[4:5], v[0:1], v[8:9] op_sel:[0,0,1] op_sel_hi:[1,0,0]
	v_mov_b32_e32 v11, v5
	v_pk_mul_f32 v[4:5], v[6:7], v[2:3] op_sel:[0,1]
	s_delay_alu instid0(VALU_DEP_1) | instskip(SKIP_1) | instid1(VALU_DEP_1)
	v_pk_fma_f32 v[8:9], v[6:7], v[0:1], v[4:5] op_sel:[0,0,1] op_sel_hi:[1,1,0] neg_lo:[0,0,1] neg_hi:[0,0,1]
	v_pk_fma_f32 v[4:5], v[6:7], v[0:1], v[4:5] op_sel:[0,0,1] op_sel_hi:[1,0,0]
	v_mov_b32_e32 v9, v5
	ds_load_2addr_b64 v[4:7], v96 offset0:28 offset1:29
	v_pk_add_f32 v[110:111], v[110:111], v[10:11] neg_lo:[0,1] neg_hi:[0,1]
	v_pk_add_f32 v[106:107], v[106:107], v[8:9] neg_lo:[0,1] neg_hi:[0,1]
	s_wait_dscnt 0x0
	v_dual_mul_f32 v8, v5, v3 :: v_dual_mul_f32 v10, v5, v0
	s_delay_alu instid0(VALU_DEP_1) | instskip(NEXT) | instid1(VALU_DEP_2)
	v_pk_fma_f32 v[8:9], v[4:5], v[72:73], v[8:9] op_sel_hi:[1,1,0] neg_lo:[0,0,1] neg_hi:[0,0,1]
	v_pk_fma_f32 v[4:5], v[4:5], v[72:73], v[10:11] op_sel:[1,0,0] op_sel_hi:[0,1,0]
	s_delay_alu instid0(VALU_DEP_1) | instskip(SKIP_1) | instid1(VALU_DEP_2)
	v_mov_b32_e32 v9, v5
	v_pk_mul_f32 v[4:5], v[6:7], v[2:3] op_sel:[0,1]
	v_pk_add_f32 v[128:129], v[128:129], v[8:9] neg_lo:[0,1] neg_hi:[0,1]
	s_delay_alu instid0(VALU_DEP_2) | instskip(SKIP_1) | instid1(VALU_DEP_1)
	v_pk_fma_f32 v[8:9], v[6:7], v[0:1], v[4:5] op_sel:[0,0,1] op_sel_hi:[1,1,0] neg_lo:[0,0,1] neg_hi:[0,0,1]
	v_pk_fma_f32 v[4:5], v[6:7], v[0:1], v[4:5] op_sel:[0,0,1] op_sel_hi:[1,0,0]
	v_mov_b32_e32 v9, v5
	ds_load_2addr_b64 v[4:7], v96 offset0:30 offset1:31
	v_pk_add_f32 v[124:125], v[124:125], v[8:9] neg_lo:[0,1] neg_hi:[0,1]
	s_wait_dscnt 0x0
	v_pk_mul_f32 v[8:9], v[4:5], v[2:3] op_sel:[0,1]
	s_delay_alu instid0(VALU_DEP_1) | instskip(SKIP_1) | instid1(VALU_DEP_1)
	v_pk_fma_f32 v[10:11], v[4:5], v[0:1], v[8:9] op_sel:[0,0,1] op_sel_hi:[1,1,0] neg_lo:[0,0,1] neg_hi:[0,0,1]
	v_pk_fma_f32 v[4:5], v[4:5], v[0:1], v[8:9] op_sel:[0,0,1] op_sel_hi:[1,0,0]
	v_mov_b32_e32 v11, v5
	v_pk_mul_f32 v[4:5], v[6:7], v[2:3] op_sel:[0,1]
	s_delay_alu instid0(VALU_DEP_2) | instskip(NEXT) | instid1(VALU_DEP_2)
	v_pk_add_f32 v[126:127], v[126:127], v[10:11] neg_lo:[0,1] neg_hi:[0,1]
	v_pk_fma_f32 v[8:9], v[6:7], v[0:1], v[4:5] op_sel:[0,0,1] op_sel_hi:[1,1,0] neg_lo:[0,0,1] neg_hi:[0,0,1]
	v_pk_fma_f32 v[4:5], v[6:7], v[0:1], v[4:5] op_sel:[0,0,1] op_sel_hi:[1,0,0]
	s_delay_alu instid0(VALU_DEP_1) | instskip(SKIP_4) | instid1(VALU_DEP_1)
	v_mov_b32_e32 v9, v5
	ds_load_2addr_b64 v[4:7], v96 offset0:32 offset1:33
	v_pk_add_f32 v[122:123], v[122:123], v[8:9] neg_lo:[0,1] neg_hi:[0,1]
	s_wait_dscnt 0x0
	v_pk_mul_f32 v[8:9], v[4:5], v[2:3] op_sel:[0,1]
	v_pk_fma_f32 v[10:11], v[4:5], v[0:1], v[8:9] op_sel:[0,0,1] op_sel_hi:[1,1,0] neg_lo:[0,0,1] neg_hi:[0,0,1]
	v_pk_fma_f32 v[4:5], v[4:5], v[0:1], v[8:9] op_sel:[0,0,1] op_sel_hi:[1,0,0]
	v_dual_mul_f32 v8, v7, v3 :: v_dual_mov_b32 v4, v7
	s_delay_alu instid0(VALU_DEP_2) | instskip(NEXT) | instid1(VALU_DEP_2)
	v_dual_mov_b32 v11, v5 :: v_dual_mov_b32 v5, v6
	v_pk_fma_f32 v[8:9], v[6:7], v[72:73], v[8:9] op_sel_hi:[1,1,0] neg_lo:[0,0,1] neg_hi:[0,0,1]
	v_mul_f32_e32 v6, v7, v0
	s_delay_alu instid0(VALU_DEP_3) | instskip(NEXT) | instid1(VALU_DEP_2)
	v_pk_add_f32 v[144:145], v[144:145], v[10:11] neg_lo:[0,1] neg_hi:[0,1]
	v_pk_fma_f32 v[4:5], v[4:5], v[72:73], v[6:7] op_sel_hi:[1,1,0]
	s_delay_alu instid0(VALU_DEP_1) | instskip(SKIP_4) | instid1(VALU_DEP_1)
	v_mov_b32_e32 v9, v5
	ds_load_2addr_b64 v[4:7], v96 offset0:34 offset1:35
	v_pk_add_f32 v[140:141], v[140:141], v[8:9] neg_lo:[0,1] neg_hi:[0,1]
	s_wait_dscnt 0x0
	v_pk_mul_f32 v[8:9], v[4:5], v[2:3] op_sel:[0,1]
	v_pk_fma_f32 v[10:11], v[4:5], v[0:1], v[8:9] op_sel:[0,0,1] op_sel_hi:[1,1,0] neg_lo:[0,0,1] neg_hi:[0,0,1]
	v_pk_fma_f32 v[4:5], v[4:5], v[0:1], v[8:9] op_sel:[0,0,1] op_sel_hi:[1,0,0]
	s_delay_alu instid0(VALU_DEP_1) | instskip(SKIP_1) | instid1(VALU_DEP_1)
	v_mov_b32_e32 v11, v5
	v_pk_mul_f32 v[4:5], v[6:7], v[2:3] op_sel:[0,1]
	v_pk_fma_f32 v[8:9], v[6:7], v[0:1], v[4:5] op_sel:[0,0,1] op_sel_hi:[1,1,0] neg_lo:[0,0,1] neg_hi:[0,0,1]
	v_pk_fma_f32 v[4:5], v[6:7], v[0:1], v[4:5] op_sel:[0,0,1] op_sel_hi:[1,0,0]
	s_delay_alu instid0(VALU_DEP_1)
	v_mov_b32_e32 v9, v5
	ds_load_2addr_b64 v[4:7], v96 offset0:36 offset1:37
	v_pk_add_f32 v[142:143], v[142:143], v[10:11] neg_lo:[0,1] neg_hi:[0,1]
	v_pk_add_f32 v[138:139], v[138:139], v[8:9] neg_lo:[0,1] neg_hi:[0,1]
	s_wait_dscnt 0x0
	v_pk_mul_f32 v[8:9], v[4:5], v[2:3] op_sel:[0,1]
	s_delay_alu instid0(VALU_DEP_1) | instskip(SKIP_1) | instid1(VALU_DEP_1)
	v_pk_fma_f32 v[10:11], v[4:5], v[0:1], v[8:9] op_sel:[0,0,1] op_sel_hi:[1,1,0] neg_lo:[0,0,1] neg_hi:[0,0,1]
	v_pk_fma_f32 v[4:5], v[4:5], v[0:1], v[8:9] op_sel:[0,0,1] op_sel_hi:[1,0,0]
	v_mov_b32_e32 v11, v5
	v_pk_mul_f32 v[4:5], v[6:7], v[2:3] op_sel:[0,1]
	s_delay_alu instid0(VALU_DEP_1) | instskip(SKIP_1) | instid1(VALU_DEP_1)
	v_pk_fma_f32 v[8:9], v[6:7], v[0:1], v[4:5] op_sel:[0,0,1] op_sel_hi:[1,1,0] neg_lo:[0,0,1] neg_hi:[0,0,1]
	v_pk_fma_f32 v[4:5], v[6:7], v[0:1], v[4:5] op_sel:[0,0,1] op_sel_hi:[1,0,0]
	v_mov_b32_e32 v9, v5
	ds_load_2addr_b64 v[4:7], v96 offset0:38 offset1:39
	v_pk_add_f32 v[162:163], v[162:163], v[10:11] neg_lo:[0,1] neg_hi:[0,1]
	v_pk_add_f32 v[158:159], v[158:159], v[8:9] neg_lo:[0,1] neg_hi:[0,1]
	s_wait_dscnt 0x0
	v_dual_mul_f32 v8, v5, v3 :: v_dual_mul_f32 v10, v5, v0
	s_delay_alu instid0(VALU_DEP_1) | instskip(NEXT) | instid1(VALU_DEP_2)
	v_pk_fma_f32 v[8:9], v[4:5], v[72:73], v[8:9] op_sel_hi:[1,1,0] neg_lo:[0,0,1] neg_hi:[0,0,1]
	v_pk_fma_f32 v[4:5], v[4:5], v[72:73], v[10:11] op_sel:[1,0,0] op_sel_hi:[0,1,0]
	s_delay_alu instid0(VALU_DEP_1) | instskip(SKIP_1) | instid1(VALU_DEP_2)
	v_mov_b32_e32 v9, v5
	v_pk_mul_f32 v[4:5], v[6:7], v[2:3] op_sel:[0,1]
	v_pk_add_f32 v[160:161], v[160:161], v[8:9] neg_lo:[0,1] neg_hi:[0,1]
	s_delay_alu instid0(VALU_DEP_2) | instskip(SKIP_1) | instid1(VALU_DEP_1)
	v_pk_fma_f32 v[8:9], v[6:7], v[0:1], v[4:5] op_sel:[0,0,1] op_sel_hi:[1,1,0] neg_lo:[0,0,1] neg_hi:[0,0,1]
	v_pk_fma_f32 v[4:5], v[6:7], v[0:1], v[4:5] op_sel:[0,0,1] op_sel_hi:[1,0,0]
	v_mov_b32_e32 v9, v5
	ds_load_2addr_b64 v[4:7], v96 offset0:40 offset1:41
	v_pk_add_f32 v[156:157], v[156:157], v[8:9] neg_lo:[0,1] neg_hi:[0,1]
	s_wait_dscnt 0x0
	v_pk_mul_f32 v[8:9], v[4:5], v[2:3] op_sel:[0,1]
	s_delay_alu instid0(VALU_DEP_1) | instskip(SKIP_1) | instid1(VALU_DEP_1)
	v_pk_fma_f32 v[10:11], v[4:5], v[0:1], v[8:9] op_sel:[0,0,1] op_sel_hi:[1,1,0] neg_lo:[0,0,1] neg_hi:[0,0,1]
	v_pk_fma_f32 v[4:5], v[4:5], v[0:1], v[8:9] op_sel:[0,0,1] op_sel_hi:[1,0,0]
	v_mov_b32_e32 v11, v5
	v_pk_mul_f32 v[4:5], v[6:7], v[2:3] op_sel:[0,1]
	s_delay_alu instid0(VALU_DEP_2) | instskip(NEXT) | instid1(VALU_DEP_2)
	v_pk_add_f32 v[180:181], v[180:181], v[10:11] neg_lo:[0,1] neg_hi:[0,1]
	v_pk_fma_f32 v[8:9], v[6:7], v[0:1], v[4:5] op_sel:[0,0,1] op_sel_hi:[1,1,0] neg_lo:[0,0,1] neg_hi:[0,0,1]
	v_pk_fma_f32 v[4:5], v[6:7], v[0:1], v[4:5] op_sel:[0,0,1] op_sel_hi:[1,0,0]
	s_delay_alu instid0(VALU_DEP_1) | instskip(SKIP_4) | instid1(VALU_DEP_1)
	v_mov_b32_e32 v9, v5
	ds_load_2addr_b64 v[4:7], v96 offset0:42 offset1:43
	v_pk_add_f32 v[176:177], v[176:177], v[8:9] neg_lo:[0,1] neg_hi:[0,1]
	s_wait_dscnt 0x0
	v_pk_mul_f32 v[8:9], v[4:5], v[2:3] op_sel:[0,1]
	v_pk_fma_f32 v[10:11], v[4:5], v[0:1], v[8:9] op_sel:[0,0,1] op_sel_hi:[1,1,0] neg_lo:[0,0,1] neg_hi:[0,0,1]
	v_pk_fma_f32 v[4:5], v[4:5], v[0:1], v[8:9] op_sel:[0,0,1] op_sel_hi:[1,0,0]
	v_dual_mul_f32 v8, v7, v3 :: v_dual_mov_b32 v4, v7
	s_delay_alu instid0(VALU_DEP_2) | instskip(NEXT) | instid1(VALU_DEP_2)
	v_dual_mov_b32 v11, v5 :: v_dual_mov_b32 v5, v6
	v_pk_fma_f32 v[8:9], v[6:7], v[72:73], v[8:9] op_sel_hi:[1,1,0] neg_lo:[0,0,1] neg_hi:[0,0,1]
	v_mul_f32_e32 v6, v7, v0
	s_delay_alu instid0(VALU_DEP_3) | instskip(NEXT) | instid1(VALU_DEP_2)
	v_pk_add_f32 v[178:179], v[178:179], v[10:11] neg_lo:[0,1] neg_hi:[0,1]
	v_pk_fma_f32 v[4:5], v[4:5], v[72:73], v[6:7] op_sel_hi:[1,1,0]
	s_delay_alu instid0(VALU_DEP_1) | instskip(SKIP_4) | instid1(VALU_DEP_1)
	v_mov_b32_e32 v9, v5
	ds_load_2addr_b64 v[4:7], v96 offset0:44 offset1:45
	v_pk_add_f32 v[174:175], v[174:175], v[8:9] neg_lo:[0,1] neg_hi:[0,1]
	s_wait_dscnt 0x0
	v_pk_mul_f32 v[8:9], v[4:5], v[2:3] op_sel:[0,1]
	v_pk_fma_f32 v[10:11], v[4:5], v[0:1], v[8:9] op_sel:[0,0,1] op_sel_hi:[1,1,0] neg_lo:[0,0,1] neg_hi:[0,0,1]
	v_pk_fma_f32 v[4:5], v[4:5], v[0:1], v[8:9] op_sel:[0,0,1] op_sel_hi:[1,0,0]
	s_delay_alu instid0(VALU_DEP_1) | instskip(SKIP_1) | instid1(VALU_DEP_1)
	v_mov_b32_e32 v11, v5
	v_pk_mul_f32 v[4:5], v[6:7], v[2:3] op_sel:[0,1]
	v_pk_fma_f32 v[8:9], v[6:7], v[0:1], v[4:5] op_sel:[0,0,1] op_sel_hi:[1,1,0] neg_lo:[0,0,1] neg_hi:[0,0,1]
	v_pk_fma_f32 v[4:5], v[6:7], v[0:1], v[4:5] op_sel:[0,0,1] op_sel_hi:[1,0,0]
	s_delay_alu instid0(VALU_DEP_1)
	v_mov_b32_e32 v9, v5
	ds_load_2addr_b64 v[4:7], v96 offset0:46 offset1:47
	v_pk_add_f32 v[196:197], v[196:197], v[10:11] neg_lo:[0,1] neg_hi:[0,1]
	v_pk_add_f32 v[192:193], v[192:193], v[8:9] neg_lo:[0,1] neg_hi:[0,1]
	s_wait_dscnt 0x0
	v_pk_mul_f32 v[8:9], v[4:5], v[2:3] op_sel:[0,1]
	s_delay_alu instid0(VALU_DEP_1) | instskip(SKIP_1) | instid1(VALU_DEP_1)
	v_pk_fma_f32 v[10:11], v[4:5], v[0:1], v[8:9] op_sel:[0,0,1] op_sel_hi:[1,1,0] neg_lo:[0,0,1] neg_hi:[0,0,1]
	v_pk_fma_f32 v[4:5], v[4:5], v[0:1], v[8:9] op_sel:[0,0,1] op_sel_hi:[1,0,0]
	v_mov_b32_e32 v11, v5
	v_pk_mul_f32 v[4:5], v[6:7], v[2:3] op_sel:[0,1]
	s_delay_alu instid0(VALU_DEP_1) | instskip(SKIP_1) | instid1(VALU_DEP_1)
	v_pk_fma_f32 v[8:9], v[6:7], v[0:1], v[4:5] op_sel:[0,0,1] op_sel_hi:[1,1,0] neg_lo:[0,0,1] neg_hi:[0,0,1]
	v_pk_fma_f32 v[4:5], v[6:7], v[0:1], v[4:5] op_sel:[0,0,1] op_sel_hi:[1,0,0]
	v_mov_b32_e32 v9, v5
	ds_load_2addr_b64 v[4:7], v96 offset0:48 offset1:49
	v_pk_add_f32 v[194:195], v[194:195], v[10:11] neg_lo:[0,1] neg_hi:[0,1]
	v_pk_add_f32 v[190:191], v[190:191], v[8:9] neg_lo:[0,1] neg_hi:[0,1]
	s_wait_dscnt 0x0
	v_mul_f32_e32 v2, v5, v3
	s_delay_alu instid0(VALU_DEP_1) | instskip(SKIP_1) | instid1(VALU_DEP_1)
	v_pk_fma_f32 v[8:9], v[4:5], v[72:73], v[2:3] op_sel_hi:[1,1,0] neg_lo:[0,0,1] neg_hi:[0,0,1]
	v_dual_mul_f32 v2, v5, v0 :: v_dual_mul_f32 v0, v7, v0
	v_pk_fma_f32 v[4:5], v[4:5], v[72:73], v[2:3] op_sel:[1,0,0] op_sel_hi:[0,1,0]
	v_dual_mov_b32 v4, v7 :: v_dual_mul_f32 v2, v7, v3
	s_delay_alu instid0(VALU_DEP_2) | instskip(NEXT) | instid1(VALU_DEP_2)
	v_dual_mov_b32 v9, v5 :: v_dual_mov_b32 v5, v6
	v_pk_fma_f32 v[2:3], v[6:7], v[72:73], v[2:3] op_sel_hi:[1,1,0] neg_lo:[0,0,1] neg_hi:[0,0,1]
	s_delay_alu instid0(VALU_DEP_2) | instskip(NEXT) | instid1(VALU_DEP_3)
	v_pk_add_f32 v[198:199], v[198:199], v[8:9] neg_lo:[0,1] neg_hi:[0,1]
	v_pk_fma_f32 v[0:1], v[4:5], v[72:73], v[0:1] op_sel_hi:[1,1,0]
	s_delay_alu instid0(VALU_DEP_1) | instskip(NEXT) | instid1(VALU_DEP_1)
	v_mov_b32_e32 v3, v1
	v_pk_add_f32 v[200:201], v[200:201], v[2:3] neg_lo:[0,1] neg_hi:[0,1]
.LBB99_181:
	s_wait_xcnt 0x0
	s_or_b32 exec_lo, exec_lo, s1
	s_delay_alu instid0(SALU_CYCLE_1)
	s_mov_b32 s2, exec_lo
	s_wait_storecnt 0x0
	s_barrier_signal -1
	s_barrier_wait -1
	v_cmpx_eq_u32_e32 20, v86
	s_cbranch_execz .LBB99_188
; %bb.182:
	ds_store_b64 v87, v[94:95]
	ds_store_2addr_b64 v96, v[90:91], v[92:93] offset0:21 offset1:22
	ds_store_2addr_b64 v96, v[88:89], v[112:113] offset0:23 offset1:24
	ds_store_2addr_b64 v96, v[108:109], v[110:111] offset0:25 offset1:26
	ds_store_2addr_b64 v96, v[106:107], v[128:129] offset0:27 offset1:28
	ds_store_2addr_b64 v96, v[124:125], v[126:127] offset0:29 offset1:30
	ds_store_2addr_b64 v96, v[122:123], v[144:145] offset0:31 offset1:32
	ds_store_2addr_b64 v96, v[140:141], v[142:143] offset0:33 offset1:34
	ds_store_2addr_b64 v96, v[138:139], v[162:163] offset0:35 offset1:36
	ds_store_2addr_b64 v96, v[158:159], v[160:161] offset0:37 offset1:38
	ds_store_2addr_b64 v96, v[156:157], v[180:181] offset0:39 offset1:40
	ds_store_2addr_b64 v96, v[176:177], v[178:179] offset0:41 offset1:42
	ds_store_2addr_b64 v96, v[174:175], v[196:197] offset0:43 offset1:44
	ds_store_2addr_b64 v96, v[192:193], v[194:195] offset0:45 offset1:46
	ds_store_2addr_b64 v96, v[190:191], v[198:199] offset0:47 offset1:48
	ds_store_b64 v96, v[200:201] offset:392
	ds_load_b64 v[0:1], v87
	s_wait_dscnt 0x0
	v_cmp_neq_f32_e32 vcc_lo, 0, v0
	v_cmp_neq_f32_e64 s1, 0, v1
	s_or_b32 s1, vcc_lo, s1
	s_delay_alu instid0(SALU_CYCLE_1)
	s_and_b32 exec_lo, exec_lo, s1
	s_cbranch_execz .LBB99_188
; %bb.183:
	v_cmp_ngt_f32_e64 s1, |v0|, |v1|
                                        ; implicit-def: $vgpr2_vgpr3
	s_and_saveexec_b32 s4, s1
	s_delay_alu instid0(SALU_CYCLE_1)
	s_xor_b32 s1, exec_lo, s4
	s_cbranch_execz .LBB99_185
; %bb.184:
	v_div_scale_f32 v2, null, v1, v1, v0
	v_div_scale_f32 v5, vcc_lo, v0, v1, v0
	s_delay_alu instid0(VALU_DEP_2) | instskip(SKIP_1) | instid1(TRANS32_DEP_1)
	v_rcp_f32_e32 v3, v2
	v_nop
	v_fma_f32 v4, -v2, v3, 1.0
	s_delay_alu instid0(VALU_DEP_1) | instskip(NEXT) | instid1(VALU_DEP_1)
	v_fmac_f32_e32 v3, v4, v3
	v_mul_f32_e32 v4, v5, v3
	s_delay_alu instid0(VALU_DEP_1) | instskip(NEXT) | instid1(VALU_DEP_1)
	v_fma_f32 v6, -v2, v4, v5
	v_fmac_f32_e32 v4, v6, v3
	s_delay_alu instid0(VALU_DEP_1) | instskip(NEXT) | instid1(VALU_DEP_1)
	v_fma_f32 v2, -v2, v4, v5
	v_div_fmas_f32 v2, v2, v3, v4
	s_delay_alu instid0(VALU_DEP_1) | instskip(NEXT) | instid1(VALU_DEP_1)
	v_div_fixup_f32 v2, v2, v1, v0
	v_fmac_f32_e32 v1, v0, v2
	s_delay_alu instid0(VALU_DEP_1) | instskip(SKIP_1) | instid1(VALU_DEP_2)
	v_div_scale_f32 v0, null, v1, v1, 1.0
	v_div_scale_f32 v5, vcc_lo, 1.0, v1, 1.0
	v_rcp_f32_e32 v3, v0
	v_nop
	s_delay_alu instid0(TRANS32_DEP_1) | instskip(NEXT) | instid1(VALU_DEP_1)
	v_fma_f32 v4, -v0, v3, 1.0
	v_fmac_f32_e32 v3, v4, v3
	s_delay_alu instid0(VALU_DEP_1) | instskip(NEXT) | instid1(VALU_DEP_1)
	v_mul_f32_e32 v4, v5, v3
	v_fma_f32 v6, -v0, v4, v5
	s_delay_alu instid0(VALU_DEP_1) | instskip(NEXT) | instid1(VALU_DEP_1)
	v_fmac_f32_e32 v4, v6, v3
	v_fma_f32 v0, -v0, v4, v5
	s_delay_alu instid0(VALU_DEP_1) | instskip(NEXT) | instid1(VALU_DEP_1)
	v_div_fmas_f32 v0, v0, v3, v4
	v_div_fixup_f32 v0, v0, v1, 1.0
	s_delay_alu instid0(VALU_DEP_1)
	v_mul_f32_e32 v2, v2, v0
	v_xor_b32_e32 v3, 0x80000000, v0
                                        ; implicit-def: $vgpr0_vgpr1
.LBB99_185:
	s_and_not1_saveexec_b32 s1, s1
	s_cbranch_execz .LBB99_187
; %bb.186:
	v_div_scale_f32 v2, null, v0, v0, v1
	v_div_scale_f32 v5, vcc_lo, v1, v0, v1
	s_delay_alu instid0(VALU_DEP_2) | instskip(SKIP_1) | instid1(TRANS32_DEP_1)
	v_rcp_f32_e32 v3, v2
	v_nop
	v_fma_f32 v4, -v2, v3, 1.0
	s_delay_alu instid0(VALU_DEP_1) | instskip(NEXT) | instid1(VALU_DEP_1)
	v_fmac_f32_e32 v3, v4, v3
	v_mul_f32_e32 v4, v5, v3
	s_delay_alu instid0(VALU_DEP_1) | instskip(NEXT) | instid1(VALU_DEP_1)
	v_fma_f32 v6, -v2, v4, v5
	v_fmac_f32_e32 v4, v6, v3
	s_delay_alu instid0(VALU_DEP_1) | instskip(NEXT) | instid1(VALU_DEP_1)
	v_fma_f32 v2, -v2, v4, v5
	v_div_fmas_f32 v2, v2, v3, v4
	s_delay_alu instid0(VALU_DEP_1) | instskip(NEXT) | instid1(VALU_DEP_1)
	v_div_fixup_f32 v3, v2, v0, v1
	v_fmac_f32_e32 v0, v1, v3
	s_delay_alu instid0(VALU_DEP_1) | instskip(NEXT) | instid1(VALU_DEP_1)
	v_div_scale_f32 v1, null, v0, v0, 1.0
	v_rcp_f32_e32 v2, v1
	v_nop
	s_delay_alu instid0(TRANS32_DEP_1) | instskip(NEXT) | instid1(VALU_DEP_1)
	v_fma_f32 v4, -v1, v2, 1.0
	v_fmac_f32_e32 v2, v4, v2
	v_div_scale_f32 v4, vcc_lo, 1.0, v0, 1.0
	s_delay_alu instid0(VALU_DEP_1) | instskip(NEXT) | instid1(VALU_DEP_1)
	v_mul_f32_e32 v5, v4, v2
	v_fma_f32 v6, -v1, v5, v4
	s_delay_alu instid0(VALU_DEP_1) | instskip(NEXT) | instid1(VALU_DEP_1)
	v_fmac_f32_e32 v5, v6, v2
	v_fma_f32 v1, -v1, v5, v4
	s_delay_alu instid0(VALU_DEP_1) | instskip(NEXT) | instid1(VALU_DEP_1)
	v_div_fmas_f32 v1, v1, v2, v5
	v_div_fixup_f32 v2, v1, v0, 1.0
	s_delay_alu instid0(VALU_DEP_1)
	v_mul_f32_e64 v3, v3, -v2
.LBB99_187:
	s_or_b32 exec_lo, exec_lo, s1
	ds_store_b64 v87, v[2:3]
.LBB99_188:
	s_or_b32 exec_lo, exec_lo, s2
	s_wait_dscnt 0x0
	s_barrier_signal -1
	s_barrier_wait -1
	ds_load_b64 v[0:1], v87
	s_mov_b32 s1, exec_lo
	s_wait_dscnt 0x0
	scratch_store_b64 off, v[0:1], off offset:168 ; 8-byte Folded Spill
	s_wait_xcnt 0x0
	v_cmpx_lt_u32_e32 20, v86
	s_cbranch_execz .LBB99_190
; %bb.189:
	scratch_load_b64 v[4:5], off, off offset:168 ; 8-byte Folded Reload
	s_wait_loadcnt 0x0
	v_pk_mul_f32 v[2:3], v[4:5], v[94:95] op_sel:[1,1] op_sel_hi:[0,1]
	s_delay_alu instid0(VALU_DEP_1)
	v_pk_fma_f32 v[0:1], v[4:5], v[94:95], v[2:3] op_sel_hi:[1,0,1] neg_lo:[0,0,1] neg_hi:[0,0,1]
	v_pk_fma_f32 v[2:3], v[4:5], v[94:95], v[2:3] op_sel_hi:[1,0,1]
	ds_load_2addr_b64 v[4:7], v96 offset0:21 offset1:22
	v_dual_mov_b32 v94, v0 :: v_dual_mov_b32 v95, v3
	s_wait_dscnt 0x0
	v_pk_mul_f32 v[8:9], v[4:5], v[2:3] op_sel:[0,1]
	s_delay_alu instid0(VALU_DEP_1) | instskip(SKIP_1) | instid1(VALU_DEP_1)
	v_pk_fma_f32 v[10:11], v[4:5], v[0:1], v[8:9] op_sel:[0,0,1] op_sel_hi:[1,1,0] neg_lo:[0,0,1] neg_hi:[0,0,1]
	v_pk_fma_f32 v[4:5], v[4:5], v[0:1], v[8:9] op_sel:[0,0,1] op_sel_hi:[1,0,0]
	v_mov_b32_e32 v11, v5
	v_pk_mul_f32 v[4:5], v[6:7], v[2:3] op_sel:[0,1]
	s_delay_alu instid0(VALU_DEP_1) | instskip(SKIP_1) | instid1(VALU_DEP_1)
	v_pk_fma_f32 v[8:9], v[6:7], v[0:1], v[4:5] op_sel:[0,0,1] op_sel_hi:[1,1,0] neg_lo:[0,0,1] neg_hi:[0,0,1]
	v_pk_fma_f32 v[4:5], v[6:7], v[0:1], v[4:5] op_sel:[0,0,1] op_sel_hi:[1,0,0]
	v_mov_b32_e32 v9, v5
	ds_load_2addr_b64 v[4:7], v96 offset0:23 offset1:24
	v_pk_add_f32 v[90:91], v[90:91], v[10:11] neg_lo:[0,1] neg_hi:[0,1]
	v_pk_add_f32 v[92:93], v[92:93], v[8:9] neg_lo:[0,1] neg_hi:[0,1]
	s_wait_dscnt 0x0
	v_pk_mul_f32 v[8:9], v[4:5], v[2:3] op_sel:[0,1]
	s_delay_alu instid0(VALU_DEP_1) | instskip(SKIP_2) | instid1(VALU_DEP_2)
	v_pk_fma_f32 v[10:11], v[4:5], v[0:1], v[8:9] op_sel:[0,0,1] op_sel_hi:[1,1,0] neg_lo:[0,0,1] neg_hi:[0,0,1]
	v_pk_fma_f32 v[4:5], v[4:5], v[0:1], v[8:9] op_sel:[0,0,1] op_sel_hi:[1,0,0]
	v_dual_mul_f32 v8, v7, v3 :: v_dual_mov_b32 v4, v7
	v_dual_mov_b32 v11, v5 :: v_dual_mov_b32 v5, v6
	s_delay_alu instid0(VALU_DEP_2) | instskip(SKIP_1) | instid1(VALU_DEP_3)
	v_pk_fma_f32 v[8:9], v[6:7], v[94:95], v[8:9] op_sel_hi:[1,1,0] neg_lo:[0,0,1] neg_hi:[0,0,1]
	v_mul_f32_e32 v6, v7, v0
	v_pk_add_f32 v[88:89], v[88:89], v[10:11] neg_lo:[0,1] neg_hi:[0,1]
	s_delay_alu instid0(VALU_DEP_2) | instskip(NEXT) | instid1(VALU_DEP_1)
	v_pk_fma_f32 v[4:5], v[4:5], v[94:95], v[6:7] op_sel_hi:[1,1,0]
	v_mov_b32_e32 v9, v5
	ds_load_2addr_b64 v[4:7], v96 offset0:25 offset1:26
	v_pk_add_f32 v[112:113], v[112:113], v[8:9] neg_lo:[0,1] neg_hi:[0,1]
	s_wait_dscnt 0x0
	v_pk_mul_f32 v[8:9], v[4:5], v[2:3] op_sel:[0,1]
	s_delay_alu instid0(VALU_DEP_1) | instskip(SKIP_1) | instid1(VALU_DEP_1)
	v_pk_fma_f32 v[10:11], v[4:5], v[0:1], v[8:9] op_sel:[0,0,1] op_sel_hi:[1,1,0] neg_lo:[0,0,1] neg_hi:[0,0,1]
	v_pk_fma_f32 v[4:5], v[4:5], v[0:1], v[8:9] op_sel:[0,0,1] op_sel_hi:[1,0,0]
	v_mov_b32_e32 v11, v5
	v_pk_mul_f32 v[4:5], v[6:7], v[2:3] op_sel:[0,1]
	s_delay_alu instid0(VALU_DEP_1) | instskip(SKIP_1) | instid1(VALU_DEP_1)
	v_pk_fma_f32 v[8:9], v[6:7], v[0:1], v[4:5] op_sel:[0,0,1] op_sel_hi:[1,1,0] neg_lo:[0,0,1] neg_hi:[0,0,1]
	v_pk_fma_f32 v[4:5], v[6:7], v[0:1], v[4:5] op_sel:[0,0,1] op_sel_hi:[1,0,0]
	v_mov_b32_e32 v9, v5
	ds_load_2addr_b64 v[4:7], v96 offset0:27 offset1:28
	v_pk_add_f32 v[108:109], v[108:109], v[10:11] neg_lo:[0,1] neg_hi:[0,1]
	v_pk_add_f32 v[110:111], v[110:111], v[8:9] neg_lo:[0,1] neg_hi:[0,1]
	s_wait_dscnt 0x0
	v_pk_mul_f32 v[8:9], v[4:5], v[2:3] op_sel:[0,1]
	s_delay_alu instid0(VALU_DEP_1) | instskip(SKIP_1) | instid1(VALU_DEP_1)
	v_pk_fma_f32 v[10:11], v[4:5], v[0:1], v[8:9] op_sel:[0,0,1] op_sel_hi:[1,1,0] neg_lo:[0,0,1] neg_hi:[0,0,1]
	v_pk_fma_f32 v[4:5], v[4:5], v[0:1], v[8:9] op_sel:[0,0,1] op_sel_hi:[1,0,0]
	v_mov_b32_e32 v11, v5
	v_pk_mul_f32 v[4:5], v[6:7], v[2:3] op_sel:[0,1]
	s_delay_alu instid0(VALU_DEP_1) | instskip(SKIP_1) | instid1(VALU_DEP_1)
	v_pk_fma_f32 v[8:9], v[6:7], v[0:1], v[4:5] op_sel:[0,0,1] op_sel_hi:[1,1,0] neg_lo:[0,0,1] neg_hi:[0,0,1]
	v_pk_fma_f32 v[4:5], v[6:7], v[0:1], v[4:5] op_sel:[0,0,1] op_sel_hi:[1,0,0]
	v_mov_b32_e32 v9, v5
	ds_load_2addr_b64 v[4:7], v96 offset0:29 offset1:30
	v_pk_add_f32 v[106:107], v[106:107], v[10:11] neg_lo:[0,1] neg_hi:[0,1]
	v_pk_add_f32 v[128:129], v[128:129], v[8:9] neg_lo:[0,1] neg_hi:[0,1]
	s_wait_dscnt 0x0
	v_dual_mul_f32 v8, v5, v3 :: v_dual_mul_f32 v10, v5, v0
	s_delay_alu instid0(VALU_DEP_1) | instskip(NEXT) | instid1(VALU_DEP_2)
	v_pk_fma_f32 v[8:9], v[4:5], v[94:95], v[8:9] op_sel_hi:[1,1,0] neg_lo:[0,0,1] neg_hi:[0,0,1]
	v_pk_fma_f32 v[4:5], v[4:5], v[94:95], v[10:11] op_sel:[1,0,0] op_sel_hi:[0,1,0]
	s_delay_alu instid0(VALU_DEP_1) | instskip(SKIP_1) | instid1(VALU_DEP_2)
	v_mov_b32_e32 v9, v5
	v_pk_mul_f32 v[4:5], v[6:7], v[2:3] op_sel:[0,1]
	v_pk_add_f32 v[124:125], v[124:125], v[8:9] neg_lo:[0,1] neg_hi:[0,1]
	s_delay_alu instid0(VALU_DEP_2) | instskip(SKIP_1) | instid1(VALU_DEP_1)
	v_pk_fma_f32 v[8:9], v[6:7], v[0:1], v[4:5] op_sel:[0,0,1] op_sel_hi:[1,1,0] neg_lo:[0,0,1] neg_hi:[0,0,1]
	v_pk_fma_f32 v[4:5], v[6:7], v[0:1], v[4:5] op_sel:[0,0,1] op_sel_hi:[1,0,0]
	v_mov_b32_e32 v9, v5
	ds_load_2addr_b64 v[4:7], v96 offset0:31 offset1:32
	v_pk_add_f32 v[126:127], v[126:127], v[8:9] neg_lo:[0,1] neg_hi:[0,1]
	s_wait_dscnt 0x0
	v_pk_mul_f32 v[8:9], v[4:5], v[2:3] op_sel:[0,1]
	s_delay_alu instid0(VALU_DEP_1) | instskip(SKIP_1) | instid1(VALU_DEP_1)
	v_pk_fma_f32 v[10:11], v[4:5], v[0:1], v[8:9] op_sel:[0,0,1] op_sel_hi:[1,1,0] neg_lo:[0,0,1] neg_hi:[0,0,1]
	v_pk_fma_f32 v[4:5], v[4:5], v[0:1], v[8:9] op_sel:[0,0,1] op_sel_hi:[1,0,0]
	v_mov_b32_e32 v11, v5
	v_pk_mul_f32 v[4:5], v[6:7], v[2:3] op_sel:[0,1]
	s_delay_alu instid0(VALU_DEP_2) | instskip(NEXT) | instid1(VALU_DEP_2)
	v_pk_add_f32 v[122:123], v[122:123], v[10:11] neg_lo:[0,1] neg_hi:[0,1]
	v_pk_fma_f32 v[8:9], v[6:7], v[0:1], v[4:5] op_sel:[0,0,1] op_sel_hi:[1,1,0] neg_lo:[0,0,1] neg_hi:[0,0,1]
	v_pk_fma_f32 v[4:5], v[6:7], v[0:1], v[4:5] op_sel:[0,0,1] op_sel_hi:[1,0,0]
	s_delay_alu instid0(VALU_DEP_1) | instskip(SKIP_4) | instid1(VALU_DEP_1)
	v_mov_b32_e32 v9, v5
	ds_load_2addr_b64 v[4:7], v96 offset0:33 offset1:34
	v_pk_add_f32 v[144:145], v[144:145], v[8:9] neg_lo:[0,1] neg_hi:[0,1]
	s_wait_dscnt 0x0
	v_pk_mul_f32 v[8:9], v[4:5], v[2:3] op_sel:[0,1]
	v_pk_fma_f32 v[10:11], v[4:5], v[0:1], v[8:9] op_sel:[0,0,1] op_sel_hi:[1,1,0] neg_lo:[0,0,1] neg_hi:[0,0,1]
	v_pk_fma_f32 v[4:5], v[4:5], v[0:1], v[8:9] op_sel:[0,0,1] op_sel_hi:[1,0,0]
	v_dual_mul_f32 v8, v7, v3 :: v_dual_mov_b32 v4, v7
	s_delay_alu instid0(VALU_DEP_2) | instskip(NEXT) | instid1(VALU_DEP_2)
	v_dual_mov_b32 v11, v5 :: v_dual_mov_b32 v5, v6
	v_pk_fma_f32 v[8:9], v[6:7], v[94:95], v[8:9] op_sel_hi:[1,1,0] neg_lo:[0,0,1] neg_hi:[0,0,1]
	v_mul_f32_e32 v6, v7, v0
	s_delay_alu instid0(VALU_DEP_3) | instskip(NEXT) | instid1(VALU_DEP_2)
	v_pk_add_f32 v[140:141], v[140:141], v[10:11] neg_lo:[0,1] neg_hi:[0,1]
	v_pk_fma_f32 v[4:5], v[4:5], v[94:95], v[6:7] op_sel_hi:[1,1,0]
	s_delay_alu instid0(VALU_DEP_1) | instskip(SKIP_4) | instid1(VALU_DEP_1)
	v_mov_b32_e32 v9, v5
	ds_load_2addr_b64 v[4:7], v96 offset0:35 offset1:36
	v_pk_add_f32 v[142:143], v[142:143], v[8:9] neg_lo:[0,1] neg_hi:[0,1]
	s_wait_dscnt 0x0
	v_pk_mul_f32 v[8:9], v[4:5], v[2:3] op_sel:[0,1]
	v_pk_fma_f32 v[10:11], v[4:5], v[0:1], v[8:9] op_sel:[0,0,1] op_sel_hi:[1,1,0] neg_lo:[0,0,1] neg_hi:[0,0,1]
	v_pk_fma_f32 v[4:5], v[4:5], v[0:1], v[8:9] op_sel:[0,0,1] op_sel_hi:[1,0,0]
	s_delay_alu instid0(VALU_DEP_1) | instskip(SKIP_1) | instid1(VALU_DEP_1)
	v_mov_b32_e32 v11, v5
	v_pk_mul_f32 v[4:5], v[6:7], v[2:3] op_sel:[0,1]
	v_pk_fma_f32 v[8:9], v[6:7], v[0:1], v[4:5] op_sel:[0,0,1] op_sel_hi:[1,1,0] neg_lo:[0,0,1] neg_hi:[0,0,1]
	v_pk_fma_f32 v[4:5], v[6:7], v[0:1], v[4:5] op_sel:[0,0,1] op_sel_hi:[1,0,0]
	s_delay_alu instid0(VALU_DEP_1)
	v_mov_b32_e32 v9, v5
	ds_load_2addr_b64 v[4:7], v96 offset0:37 offset1:38
	v_pk_add_f32 v[138:139], v[138:139], v[10:11] neg_lo:[0,1] neg_hi:[0,1]
	v_pk_add_f32 v[162:163], v[162:163], v[8:9] neg_lo:[0,1] neg_hi:[0,1]
	s_wait_dscnt 0x0
	v_pk_mul_f32 v[8:9], v[4:5], v[2:3] op_sel:[0,1]
	s_delay_alu instid0(VALU_DEP_1) | instskip(SKIP_1) | instid1(VALU_DEP_1)
	v_pk_fma_f32 v[10:11], v[4:5], v[0:1], v[8:9] op_sel:[0,0,1] op_sel_hi:[1,1,0] neg_lo:[0,0,1] neg_hi:[0,0,1]
	v_pk_fma_f32 v[4:5], v[4:5], v[0:1], v[8:9] op_sel:[0,0,1] op_sel_hi:[1,0,0]
	v_mov_b32_e32 v11, v5
	v_pk_mul_f32 v[4:5], v[6:7], v[2:3] op_sel:[0,1]
	s_delay_alu instid0(VALU_DEP_1) | instskip(SKIP_1) | instid1(VALU_DEP_1)
	v_pk_fma_f32 v[8:9], v[6:7], v[0:1], v[4:5] op_sel:[0,0,1] op_sel_hi:[1,1,0] neg_lo:[0,0,1] neg_hi:[0,0,1]
	v_pk_fma_f32 v[4:5], v[6:7], v[0:1], v[4:5] op_sel:[0,0,1] op_sel_hi:[1,0,0]
	v_mov_b32_e32 v9, v5
	ds_load_2addr_b64 v[4:7], v96 offset0:39 offset1:40
	v_pk_add_f32 v[158:159], v[158:159], v[10:11] neg_lo:[0,1] neg_hi:[0,1]
	v_pk_add_f32 v[160:161], v[160:161], v[8:9] neg_lo:[0,1] neg_hi:[0,1]
	s_wait_dscnt 0x0
	v_dual_mul_f32 v8, v5, v3 :: v_dual_mul_f32 v10, v5, v0
	s_delay_alu instid0(VALU_DEP_1) | instskip(NEXT) | instid1(VALU_DEP_2)
	v_pk_fma_f32 v[8:9], v[4:5], v[94:95], v[8:9] op_sel_hi:[1,1,0] neg_lo:[0,0,1] neg_hi:[0,0,1]
	v_pk_fma_f32 v[4:5], v[4:5], v[94:95], v[10:11] op_sel:[1,0,0] op_sel_hi:[0,1,0]
	s_delay_alu instid0(VALU_DEP_1) | instskip(SKIP_1) | instid1(VALU_DEP_2)
	v_mov_b32_e32 v9, v5
	v_pk_mul_f32 v[4:5], v[6:7], v[2:3] op_sel:[0,1]
	v_pk_add_f32 v[156:157], v[156:157], v[8:9] neg_lo:[0,1] neg_hi:[0,1]
	s_delay_alu instid0(VALU_DEP_2) | instskip(SKIP_1) | instid1(VALU_DEP_1)
	v_pk_fma_f32 v[8:9], v[6:7], v[0:1], v[4:5] op_sel:[0,0,1] op_sel_hi:[1,1,0] neg_lo:[0,0,1] neg_hi:[0,0,1]
	v_pk_fma_f32 v[4:5], v[6:7], v[0:1], v[4:5] op_sel:[0,0,1] op_sel_hi:[1,0,0]
	v_mov_b32_e32 v9, v5
	ds_load_2addr_b64 v[4:7], v96 offset0:41 offset1:42
	v_pk_add_f32 v[180:181], v[180:181], v[8:9] neg_lo:[0,1] neg_hi:[0,1]
	s_wait_dscnt 0x0
	v_pk_mul_f32 v[8:9], v[4:5], v[2:3] op_sel:[0,1]
	s_delay_alu instid0(VALU_DEP_1) | instskip(SKIP_1) | instid1(VALU_DEP_1)
	v_pk_fma_f32 v[10:11], v[4:5], v[0:1], v[8:9] op_sel:[0,0,1] op_sel_hi:[1,1,0] neg_lo:[0,0,1] neg_hi:[0,0,1]
	v_pk_fma_f32 v[4:5], v[4:5], v[0:1], v[8:9] op_sel:[0,0,1] op_sel_hi:[1,0,0]
	v_mov_b32_e32 v11, v5
	v_pk_mul_f32 v[4:5], v[6:7], v[2:3] op_sel:[0,1]
	s_delay_alu instid0(VALU_DEP_2) | instskip(NEXT) | instid1(VALU_DEP_2)
	v_pk_add_f32 v[176:177], v[176:177], v[10:11] neg_lo:[0,1] neg_hi:[0,1]
	v_pk_fma_f32 v[8:9], v[6:7], v[0:1], v[4:5] op_sel:[0,0,1] op_sel_hi:[1,1,0] neg_lo:[0,0,1] neg_hi:[0,0,1]
	v_pk_fma_f32 v[4:5], v[6:7], v[0:1], v[4:5] op_sel:[0,0,1] op_sel_hi:[1,0,0]
	s_delay_alu instid0(VALU_DEP_1) | instskip(SKIP_4) | instid1(VALU_DEP_1)
	v_mov_b32_e32 v9, v5
	ds_load_2addr_b64 v[4:7], v96 offset0:43 offset1:44
	v_pk_add_f32 v[178:179], v[178:179], v[8:9] neg_lo:[0,1] neg_hi:[0,1]
	s_wait_dscnt 0x0
	v_pk_mul_f32 v[8:9], v[4:5], v[2:3] op_sel:[0,1]
	v_pk_fma_f32 v[10:11], v[4:5], v[0:1], v[8:9] op_sel:[0,0,1] op_sel_hi:[1,1,0] neg_lo:[0,0,1] neg_hi:[0,0,1]
	v_pk_fma_f32 v[4:5], v[4:5], v[0:1], v[8:9] op_sel:[0,0,1] op_sel_hi:[1,0,0]
	v_dual_mul_f32 v8, v7, v3 :: v_dual_mov_b32 v4, v7
	s_delay_alu instid0(VALU_DEP_2) | instskip(NEXT) | instid1(VALU_DEP_2)
	v_dual_mov_b32 v11, v5 :: v_dual_mov_b32 v5, v6
	v_pk_fma_f32 v[8:9], v[6:7], v[94:95], v[8:9] op_sel_hi:[1,1,0] neg_lo:[0,0,1] neg_hi:[0,0,1]
	v_mul_f32_e32 v6, v7, v0
	s_delay_alu instid0(VALU_DEP_3) | instskip(NEXT) | instid1(VALU_DEP_2)
	v_pk_add_f32 v[174:175], v[174:175], v[10:11] neg_lo:[0,1] neg_hi:[0,1]
	v_pk_fma_f32 v[4:5], v[4:5], v[94:95], v[6:7] op_sel_hi:[1,1,0]
	s_delay_alu instid0(VALU_DEP_1) | instskip(SKIP_4) | instid1(VALU_DEP_1)
	v_mov_b32_e32 v9, v5
	ds_load_2addr_b64 v[4:7], v96 offset0:45 offset1:46
	v_pk_add_f32 v[196:197], v[196:197], v[8:9] neg_lo:[0,1] neg_hi:[0,1]
	s_wait_dscnt 0x0
	v_pk_mul_f32 v[8:9], v[4:5], v[2:3] op_sel:[0,1]
	v_pk_fma_f32 v[10:11], v[4:5], v[0:1], v[8:9] op_sel:[0,0,1] op_sel_hi:[1,1,0] neg_lo:[0,0,1] neg_hi:[0,0,1]
	v_pk_fma_f32 v[4:5], v[4:5], v[0:1], v[8:9] op_sel:[0,0,1] op_sel_hi:[1,0,0]
	s_delay_alu instid0(VALU_DEP_1) | instskip(SKIP_1) | instid1(VALU_DEP_1)
	v_mov_b32_e32 v11, v5
	v_pk_mul_f32 v[4:5], v[6:7], v[2:3] op_sel:[0,1]
	v_pk_fma_f32 v[8:9], v[6:7], v[0:1], v[4:5] op_sel:[0,0,1] op_sel_hi:[1,1,0] neg_lo:[0,0,1] neg_hi:[0,0,1]
	v_pk_fma_f32 v[4:5], v[6:7], v[0:1], v[4:5] op_sel:[0,0,1] op_sel_hi:[1,0,0]
	s_delay_alu instid0(VALU_DEP_1)
	v_mov_b32_e32 v9, v5
	ds_load_2addr_b64 v[4:7], v96 offset0:47 offset1:48
	v_pk_add_f32 v[192:193], v[192:193], v[10:11] neg_lo:[0,1] neg_hi:[0,1]
	v_pk_add_f32 v[194:195], v[194:195], v[8:9] neg_lo:[0,1] neg_hi:[0,1]
	s_wait_dscnt 0x0
	v_pk_mul_f32 v[8:9], v[4:5], v[2:3] op_sel:[0,1]
	s_delay_alu instid0(VALU_DEP_1) | instskip(SKIP_1) | instid1(VALU_DEP_1)
	v_pk_fma_f32 v[10:11], v[4:5], v[0:1], v[8:9] op_sel:[0,0,1] op_sel_hi:[1,1,0] neg_lo:[0,0,1] neg_hi:[0,0,1]
	v_pk_fma_f32 v[4:5], v[4:5], v[0:1], v[8:9] op_sel:[0,0,1] op_sel_hi:[1,0,0]
	v_mov_b32_e32 v11, v5
	v_pk_mul_f32 v[4:5], v[6:7], v[2:3] op_sel:[0,1]
	s_delay_alu instid0(VALU_DEP_1) | instskip(SKIP_1) | instid1(VALU_DEP_1)
	v_pk_fma_f32 v[8:9], v[6:7], v[0:1], v[4:5] op_sel:[0,0,1] op_sel_hi:[1,1,0] neg_lo:[0,0,1] neg_hi:[0,0,1]
	v_pk_fma_f32 v[4:5], v[6:7], v[0:1], v[4:5] op_sel:[0,0,1] op_sel_hi:[1,0,0]
	v_mov_b32_e32 v9, v5
	ds_load_b64 v[4:5], v96 offset:392
	v_pk_add_f32 v[190:191], v[190:191], v[10:11] neg_lo:[0,1] neg_hi:[0,1]
	v_pk_add_f32 v[198:199], v[198:199], v[8:9] neg_lo:[0,1] neg_hi:[0,1]
	s_wait_dscnt 0x0
	v_pk_mul_f32 v[2:3], v[4:5], v[2:3] op_sel:[0,1]
	s_delay_alu instid0(VALU_DEP_1) | instskip(SKIP_1) | instid1(VALU_DEP_1)
	v_pk_fma_f32 v[6:7], v[4:5], v[0:1], v[2:3] op_sel:[0,0,1] op_sel_hi:[1,1,0] neg_lo:[0,0,1] neg_hi:[0,0,1]
	v_pk_fma_f32 v[0:1], v[4:5], v[0:1], v[2:3] op_sel:[0,0,1] op_sel_hi:[1,0,0]
	v_mov_b32_e32 v7, v1
	s_delay_alu instid0(VALU_DEP_1)
	v_pk_add_f32 v[200:201], v[200:201], v[6:7] neg_lo:[0,1] neg_hi:[0,1]
.LBB99_190:
	s_wait_xcnt 0x0
	s_or_b32 exec_lo, exec_lo, s1
	s_delay_alu instid0(SALU_CYCLE_1)
	s_mov_b32 s2, exec_lo
	s_wait_storecnt 0x0
	s_barrier_signal -1
	s_barrier_wait -1
	v_cmpx_eq_u32_e32 21, v86
	s_cbranch_execz .LBB99_197
; %bb.191:
	v_dual_mov_b32 v0, v92 :: v_dual_mov_b32 v1, v93
	v_dual_mov_b32 v2, v88 :: v_dual_mov_b32 v3, v89
	ds_store_b64 v87, v[90:91]
	ds_store_2addr_b64 v96, v[0:1], v[2:3] offset0:22 offset1:23
	v_dual_mov_b32 v0, v112 :: v_dual_mov_b32 v1, v113
	v_dual_mov_b32 v2, v108 :: v_dual_mov_b32 v3, v109
	ds_store_2addr_b64 v96, v[0:1], v[2:3] offset0:24 offset1:25
	v_dual_mov_b32 v0, v110 :: v_dual_mov_b32 v1, v111
	v_dual_mov_b32 v2, v106 :: v_dual_mov_b32 v3, v107
	;; [unrolled: 3-line block ×12, first 2 shown]
	ds_store_2addr_b64 v96, v[0:1], v[2:3] offset0:46 offset1:47
	v_dual_mov_b32 v0, v198 :: v_dual_mov_b32 v1, v199
	ds_store_2addr_b64 v96, v[0:1], v[200:201] offset0:48 offset1:49
	ds_load_b64 v[0:1], v87
	s_wait_dscnt 0x0
	v_cmp_neq_f32_e32 vcc_lo, 0, v0
	v_cmp_neq_f32_e64 s1, 0, v1
	s_or_b32 s1, vcc_lo, s1
	s_delay_alu instid0(SALU_CYCLE_1)
	s_and_b32 exec_lo, exec_lo, s1
	s_cbranch_execz .LBB99_197
; %bb.192:
	v_cmp_ngt_f32_e64 s1, |v0|, |v1|
                                        ; implicit-def: $vgpr2_vgpr3
	s_and_saveexec_b32 s4, s1
	s_delay_alu instid0(SALU_CYCLE_1)
	s_xor_b32 s1, exec_lo, s4
	s_cbranch_execz .LBB99_194
; %bb.193:
	v_div_scale_f32 v2, null, v1, v1, v0
	v_div_scale_f32 v5, vcc_lo, v0, v1, v0
	s_delay_alu instid0(VALU_DEP_2) | instskip(SKIP_1) | instid1(TRANS32_DEP_1)
	v_rcp_f32_e32 v3, v2
	v_nop
	v_fma_f32 v4, -v2, v3, 1.0
	s_delay_alu instid0(VALU_DEP_1) | instskip(NEXT) | instid1(VALU_DEP_1)
	v_fmac_f32_e32 v3, v4, v3
	v_mul_f32_e32 v4, v5, v3
	s_delay_alu instid0(VALU_DEP_1) | instskip(NEXT) | instid1(VALU_DEP_1)
	v_fma_f32 v6, -v2, v4, v5
	v_fmac_f32_e32 v4, v6, v3
	s_delay_alu instid0(VALU_DEP_1) | instskip(NEXT) | instid1(VALU_DEP_1)
	v_fma_f32 v2, -v2, v4, v5
	v_div_fmas_f32 v2, v2, v3, v4
	s_delay_alu instid0(VALU_DEP_1) | instskip(NEXT) | instid1(VALU_DEP_1)
	v_div_fixup_f32 v2, v2, v1, v0
	v_fmac_f32_e32 v1, v0, v2
	s_delay_alu instid0(VALU_DEP_1) | instskip(SKIP_1) | instid1(VALU_DEP_2)
	v_div_scale_f32 v0, null, v1, v1, 1.0
	v_div_scale_f32 v5, vcc_lo, 1.0, v1, 1.0
	v_rcp_f32_e32 v3, v0
	v_nop
	s_delay_alu instid0(TRANS32_DEP_1) | instskip(NEXT) | instid1(VALU_DEP_1)
	v_fma_f32 v4, -v0, v3, 1.0
	v_fmac_f32_e32 v3, v4, v3
	s_delay_alu instid0(VALU_DEP_1) | instskip(NEXT) | instid1(VALU_DEP_1)
	v_mul_f32_e32 v4, v5, v3
	v_fma_f32 v6, -v0, v4, v5
	s_delay_alu instid0(VALU_DEP_1) | instskip(NEXT) | instid1(VALU_DEP_1)
	v_fmac_f32_e32 v4, v6, v3
	v_fma_f32 v0, -v0, v4, v5
	s_delay_alu instid0(VALU_DEP_1) | instskip(NEXT) | instid1(VALU_DEP_1)
	v_div_fmas_f32 v0, v0, v3, v4
	v_div_fixup_f32 v0, v0, v1, 1.0
	s_delay_alu instid0(VALU_DEP_1)
	v_mul_f32_e32 v2, v2, v0
	v_xor_b32_e32 v3, 0x80000000, v0
                                        ; implicit-def: $vgpr0_vgpr1
.LBB99_194:
	s_and_not1_saveexec_b32 s1, s1
	s_cbranch_execz .LBB99_196
; %bb.195:
	v_div_scale_f32 v2, null, v0, v0, v1
	v_div_scale_f32 v5, vcc_lo, v1, v0, v1
	s_delay_alu instid0(VALU_DEP_2) | instskip(SKIP_1) | instid1(TRANS32_DEP_1)
	v_rcp_f32_e32 v3, v2
	v_nop
	v_fma_f32 v4, -v2, v3, 1.0
	s_delay_alu instid0(VALU_DEP_1) | instskip(NEXT) | instid1(VALU_DEP_1)
	v_fmac_f32_e32 v3, v4, v3
	v_mul_f32_e32 v4, v5, v3
	s_delay_alu instid0(VALU_DEP_1) | instskip(NEXT) | instid1(VALU_DEP_1)
	v_fma_f32 v6, -v2, v4, v5
	v_fmac_f32_e32 v4, v6, v3
	s_delay_alu instid0(VALU_DEP_1) | instskip(NEXT) | instid1(VALU_DEP_1)
	v_fma_f32 v2, -v2, v4, v5
	v_div_fmas_f32 v2, v2, v3, v4
	s_delay_alu instid0(VALU_DEP_1) | instskip(NEXT) | instid1(VALU_DEP_1)
	v_div_fixup_f32 v3, v2, v0, v1
	v_fmac_f32_e32 v0, v1, v3
	s_delay_alu instid0(VALU_DEP_1) | instskip(NEXT) | instid1(VALU_DEP_1)
	v_div_scale_f32 v1, null, v0, v0, 1.0
	v_rcp_f32_e32 v2, v1
	v_nop
	s_delay_alu instid0(TRANS32_DEP_1) | instskip(NEXT) | instid1(VALU_DEP_1)
	v_fma_f32 v4, -v1, v2, 1.0
	v_fmac_f32_e32 v2, v4, v2
	v_div_scale_f32 v4, vcc_lo, 1.0, v0, 1.0
	s_delay_alu instid0(VALU_DEP_1) | instskip(NEXT) | instid1(VALU_DEP_1)
	v_mul_f32_e32 v5, v4, v2
	v_fma_f32 v6, -v1, v5, v4
	s_delay_alu instid0(VALU_DEP_1) | instskip(NEXT) | instid1(VALU_DEP_1)
	v_fmac_f32_e32 v5, v6, v2
	v_fma_f32 v1, -v1, v5, v4
	s_delay_alu instid0(VALU_DEP_1) | instskip(NEXT) | instid1(VALU_DEP_1)
	v_div_fmas_f32 v1, v1, v2, v5
	v_div_fixup_f32 v2, v1, v0, 1.0
	s_delay_alu instid0(VALU_DEP_1)
	v_mul_f32_e64 v3, v3, -v2
.LBB99_196:
	s_or_b32 exec_lo, exec_lo, s1
	ds_store_b64 v87, v[2:3]
.LBB99_197:
	s_or_b32 exec_lo, exec_lo, s2
	s_wait_dscnt 0x0
	s_barrier_signal -1
	s_barrier_wait -1
	ds_load_b64 v[0:1], v87
	s_mov_b32 s1, exec_lo
	s_wait_dscnt 0x0
	scratch_store_b64 off, v[0:1], off offset:176 ; 8-byte Folded Spill
	s_wait_xcnt 0x0
	v_cmpx_lt_u32_e32 21, v86
	s_cbranch_execz .LBB99_199
; %bb.198:
	scratch_load_b64 v[4:5], off, off offset:176 ; 8-byte Folded Reload
	s_wait_loadcnt 0x0
	v_pk_mul_f32 v[2:3], v[4:5], v[90:91] op_sel:[1,1] op_sel_hi:[0,1]
	s_delay_alu instid0(VALU_DEP_1)
	v_pk_fma_f32 v[0:1], v[4:5], v[90:91], v[2:3] op_sel_hi:[1,0,1] neg_lo:[0,0,1] neg_hi:[0,0,1]
	v_pk_fma_f32 v[2:3], v[4:5], v[90:91], v[2:3] op_sel_hi:[1,0,1]
	ds_load_2addr_b64 v[4:7], v96 offset0:22 offset1:23
	v_dual_mov_b32 v90, v0 :: v_dual_mov_b32 v91, v3
	s_wait_dscnt 0x0
	v_pk_mul_f32 v[8:9], v[4:5], v[2:3] op_sel:[0,1]
	s_delay_alu instid0(VALU_DEP_1) | instskip(SKIP_1) | instid1(VALU_DEP_1)
	v_pk_fma_f32 v[10:11], v[4:5], v[0:1], v[8:9] op_sel:[0,0,1] op_sel_hi:[1,1,0] neg_lo:[0,0,1] neg_hi:[0,0,1]
	v_pk_fma_f32 v[4:5], v[4:5], v[0:1], v[8:9] op_sel:[0,0,1] op_sel_hi:[1,0,0]
	v_mov_b32_e32 v11, v5
	v_pk_mul_f32 v[4:5], v[6:7], v[2:3] op_sel:[0,1]
	s_delay_alu instid0(VALU_DEP_1) | instskip(SKIP_1) | instid1(VALU_DEP_1)
	v_pk_fma_f32 v[8:9], v[6:7], v[0:1], v[4:5] op_sel:[0,0,1] op_sel_hi:[1,1,0] neg_lo:[0,0,1] neg_hi:[0,0,1]
	v_pk_fma_f32 v[4:5], v[6:7], v[0:1], v[4:5] op_sel:[0,0,1] op_sel_hi:[1,0,0]
	v_mov_b32_e32 v9, v5
	ds_load_2addr_b64 v[4:7], v96 offset0:24 offset1:25
	v_pk_add_f32 v[92:93], v[92:93], v[10:11] neg_lo:[0,1] neg_hi:[0,1]
	v_pk_add_f32 v[88:89], v[88:89], v[8:9] neg_lo:[0,1] neg_hi:[0,1]
	s_wait_dscnt 0x0
	v_pk_mul_f32 v[8:9], v[4:5], v[2:3] op_sel:[0,1]
	s_delay_alu instid0(VALU_DEP_1) | instskip(SKIP_2) | instid1(VALU_DEP_2)
	v_pk_fma_f32 v[10:11], v[4:5], v[0:1], v[8:9] op_sel:[0,0,1] op_sel_hi:[1,1,0] neg_lo:[0,0,1] neg_hi:[0,0,1]
	v_pk_fma_f32 v[4:5], v[4:5], v[0:1], v[8:9] op_sel:[0,0,1] op_sel_hi:[1,0,0]
	v_dual_mul_f32 v8, v7, v3 :: v_dual_mov_b32 v4, v7
	v_dual_mov_b32 v11, v5 :: v_dual_mov_b32 v5, v6
	s_delay_alu instid0(VALU_DEP_2) | instskip(SKIP_1) | instid1(VALU_DEP_3)
	v_pk_fma_f32 v[8:9], v[6:7], v[90:91], v[8:9] op_sel_hi:[1,1,0] neg_lo:[0,0,1] neg_hi:[0,0,1]
	v_mul_f32_e32 v6, v7, v0
	v_pk_add_f32 v[112:113], v[112:113], v[10:11] neg_lo:[0,1] neg_hi:[0,1]
	s_delay_alu instid0(VALU_DEP_2) | instskip(NEXT) | instid1(VALU_DEP_1)
	v_pk_fma_f32 v[4:5], v[4:5], v[90:91], v[6:7] op_sel_hi:[1,1,0]
	v_mov_b32_e32 v9, v5
	ds_load_2addr_b64 v[4:7], v96 offset0:26 offset1:27
	v_pk_add_f32 v[108:109], v[108:109], v[8:9] neg_lo:[0,1] neg_hi:[0,1]
	s_wait_dscnt 0x0
	v_pk_mul_f32 v[8:9], v[4:5], v[2:3] op_sel:[0,1]
	s_delay_alu instid0(VALU_DEP_1) | instskip(SKIP_1) | instid1(VALU_DEP_1)
	v_pk_fma_f32 v[10:11], v[4:5], v[0:1], v[8:9] op_sel:[0,0,1] op_sel_hi:[1,1,0] neg_lo:[0,0,1] neg_hi:[0,0,1]
	v_pk_fma_f32 v[4:5], v[4:5], v[0:1], v[8:9] op_sel:[0,0,1] op_sel_hi:[1,0,0]
	v_mov_b32_e32 v11, v5
	v_pk_mul_f32 v[4:5], v[6:7], v[2:3] op_sel:[0,1]
	s_delay_alu instid0(VALU_DEP_1) | instskip(SKIP_1) | instid1(VALU_DEP_1)
	v_pk_fma_f32 v[8:9], v[6:7], v[0:1], v[4:5] op_sel:[0,0,1] op_sel_hi:[1,1,0] neg_lo:[0,0,1] neg_hi:[0,0,1]
	v_pk_fma_f32 v[4:5], v[6:7], v[0:1], v[4:5] op_sel:[0,0,1] op_sel_hi:[1,0,0]
	v_mov_b32_e32 v9, v5
	ds_load_2addr_b64 v[4:7], v96 offset0:28 offset1:29
	v_pk_add_f32 v[110:111], v[110:111], v[10:11] neg_lo:[0,1] neg_hi:[0,1]
	v_pk_add_f32 v[106:107], v[106:107], v[8:9] neg_lo:[0,1] neg_hi:[0,1]
	s_wait_dscnt 0x0
	v_pk_mul_f32 v[8:9], v[4:5], v[2:3] op_sel:[0,1]
	s_delay_alu instid0(VALU_DEP_1) | instskip(SKIP_1) | instid1(VALU_DEP_1)
	v_pk_fma_f32 v[10:11], v[4:5], v[0:1], v[8:9] op_sel:[0,0,1] op_sel_hi:[1,1,0] neg_lo:[0,0,1] neg_hi:[0,0,1]
	v_pk_fma_f32 v[4:5], v[4:5], v[0:1], v[8:9] op_sel:[0,0,1] op_sel_hi:[1,0,0]
	v_mov_b32_e32 v11, v5
	v_pk_mul_f32 v[4:5], v[6:7], v[2:3] op_sel:[0,1]
	s_delay_alu instid0(VALU_DEP_1) | instskip(SKIP_1) | instid1(VALU_DEP_1)
	v_pk_fma_f32 v[8:9], v[6:7], v[0:1], v[4:5] op_sel:[0,0,1] op_sel_hi:[1,1,0] neg_lo:[0,0,1] neg_hi:[0,0,1]
	v_pk_fma_f32 v[4:5], v[6:7], v[0:1], v[4:5] op_sel:[0,0,1] op_sel_hi:[1,0,0]
	v_mov_b32_e32 v9, v5
	ds_load_2addr_b64 v[4:7], v96 offset0:30 offset1:31
	v_pk_add_f32 v[128:129], v[128:129], v[10:11] neg_lo:[0,1] neg_hi:[0,1]
	v_pk_add_f32 v[124:125], v[124:125], v[8:9] neg_lo:[0,1] neg_hi:[0,1]
	s_wait_dscnt 0x0
	v_dual_mul_f32 v8, v5, v3 :: v_dual_mul_f32 v10, v5, v0
	s_delay_alu instid0(VALU_DEP_1) | instskip(NEXT) | instid1(VALU_DEP_2)
	v_pk_fma_f32 v[8:9], v[4:5], v[90:91], v[8:9] op_sel_hi:[1,1,0] neg_lo:[0,0,1] neg_hi:[0,0,1]
	v_pk_fma_f32 v[4:5], v[4:5], v[90:91], v[10:11] op_sel:[1,0,0] op_sel_hi:[0,1,0]
	s_delay_alu instid0(VALU_DEP_1) | instskip(SKIP_1) | instid1(VALU_DEP_2)
	v_mov_b32_e32 v9, v5
	v_pk_mul_f32 v[4:5], v[6:7], v[2:3] op_sel:[0,1]
	v_pk_add_f32 v[126:127], v[126:127], v[8:9] neg_lo:[0,1] neg_hi:[0,1]
	s_delay_alu instid0(VALU_DEP_2) | instskip(SKIP_1) | instid1(VALU_DEP_1)
	v_pk_fma_f32 v[8:9], v[6:7], v[0:1], v[4:5] op_sel:[0,0,1] op_sel_hi:[1,1,0] neg_lo:[0,0,1] neg_hi:[0,0,1]
	v_pk_fma_f32 v[4:5], v[6:7], v[0:1], v[4:5] op_sel:[0,0,1] op_sel_hi:[1,0,0]
	v_mov_b32_e32 v9, v5
	ds_load_2addr_b64 v[4:7], v96 offset0:32 offset1:33
	v_pk_add_f32 v[122:123], v[122:123], v[8:9] neg_lo:[0,1] neg_hi:[0,1]
	s_wait_dscnt 0x0
	v_pk_mul_f32 v[8:9], v[4:5], v[2:3] op_sel:[0,1]
	s_delay_alu instid0(VALU_DEP_1) | instskip(SKIP_1) | instid1(VALU_DEP_1)
	v_pk_fma_f32 v[10:11], v[4:5], v[0:1], v[8:9] op_sel:[0,0,1] op_sel_hi:[1,1,0] neg_lo:[0,0,1] neg_hi:[0,0,1]
	v_pk_fma_f32 v[4:5], v[4:5], v[0:1], v[8:9] op_sel:[0,0,1] op_sel_hi:[1,0,0]
	v_mov_b32_e32 v11, v5
	v_pk_mul_f32 v[4:5], v[6:7], v[2:3] op_sel:[0,1]
	s_delay_alu instid0(VALU_DEP_2) | instskip(NEXT) | instid1(VALU_DEP_2)
	v_pk_add_f32 v[144:145], v[144:145], v[10:11] neg_lo:[0,1] neg_hi:[0,1]
	v_pk_fma_f32 v[8:9], v[6:7], v[0:1], v[4:5] op_sel:[0,0,1] op_sel_hi:[1,1,0] neg_lo:[0,0,1] neg_hi:[0,0,1]
	v_pk_fma_f32 v[4:5], v[6:7], v[0:1], v[4:5] op_sel:[0,0,1] op_sel_hi:[1,0,0]
	s_delay_alu instid0(VALU_DEP_1) | instskip(SKIP_4) | instid1(VALU_DEP_1)
	v_mov_b32_e32 v9, v5
	ds_load_2addr_b64 v[4:7], v96 offset0:34 offset1:35
	v_pk_add_f32 v[140:141], v[140:141], v[8:9] neg_lo:[0,1] neg_hi:[0,1]
	s_wait_dscnt 0x0
	v_pk_mul_f32 v[8:9], v[4:5], v[2:3] op_sel:[0,1]
	v_pk_fma_f32 v[10:11], v[4:5], v[0:1], v[8:9] op_sel:[0,0,1] op_sel_hi:[1,1,0] neg_lo:[0,0,1] neg_hi:[0,0,1]
	v_pk_fma_f32 v[4:5], v[4:5], v[0:1], v[8:9] op_sel:[0,0,1] op_sel_hi:[1,0,0]
	v_dual_mul_f32 v8, v7, v3 :: v_dual_mov_b32 v4, v7
	s_delay_alu instid0(VALU_DEP_2) | instskip(NEXT) | instid1(VALU_DEP_2)
	v_dual_mov_b32 v11, v5 :: v_dual_mov_b32 v5, v6
	v_pk_fma_f32 v[8:9], v[6:7], v[90:91], v[8:9] op_sel_hi:[1,1,0] neg_lo:[0,0,1] neg_hi:[0,0,1]
	v_mul_f32_e32 v6, v7, v0
	s_delay_alu instid0(VALU_DEP_3) | instskip(NEXT) | instid1(VALU_DEP_2)
	v_pk_add_f32 v[142:143], v[142:143], v[10:11] neg_lo:[0,1] neg_hi:[0,1]
	v_pk_fma_f32 v[4:5], v[4:5], v[90:91], v[6:7] op_sel_hi:[1,1,0]
	s_delay_alu instid0(VALU_DEP_1) | instskip(SKIP_4) | instid1(VALU_DEP_1)
	v_mov_b32_e32 v9, v5
	ds_load_2addr_b64 v[4:7], v96 offset0:36 offset1:37
	v_pk_add_f32 v[138:139], v[138:139], v[8:9] neg_lo:[0,1] neg_hi:[0,1]
	s_wait_dscnt 0x0
	v_pk_mul_f32 v[8:9], v[4:5], v[2:3] op_sel:[0,1]
	v_pk_fma_f32 v[10:11], v[4:5], v[0:1], v[8:9] op_sel:[0,0,1] op_sel_hi:[1,1,0] neg_lo:[0,0,1] neg_hi:[0,0,1]
	v_pk_fma_f32 v[4:5], v[4:5], v[0:1], v[8:9] op_sel:[0,0,1] op_sel_hi:[1,0,0]
	s_delay_alu instid0(VALU_DEP_1) | instskip(SKIP_1) | instid1(VALU_DEP_1)
	v_mov_b32_e32 v11, v5
	v_pk_mul_f32 v[4:5], v[6:7], v[2:3] op_sel:[0,1]
	v_pk_fma_f32 v[8:9], v[6:7], v[0:1], v[4:5] op_sel:[0,0,1] op_sel_hi:[1,1,0] neg_lo:[0,0,1] neg_hi:[0,0,1]
	v_pk_fma_f32 v[4:5], v[6:7], v[0:1], v[4:5] op_sel:[0,0,1] op_sel_hi:[1,0,0]
	s_delay_alu instid0(VALU_DEP_1)
	v_mov_b32_e32 v9, v5
	ds_load_2addr_b64 v[4:7], v96 offset0:38 offset1:39
	v_pk_add_f32 v[162:163], v[162:163], v[10:11] neg_lo:[0,1] neg_hi:[0,1]
	v_pk_add_f32 v[158:159], v[158:159], v[8:9] neg_lo:[0,1] neg_hi:[0,1]
	s_wait_dscnt 0x0
	v_pk_mul_f32 v[8:9], v[4:5], v[2:3] op_sel:[0,1]
	s_delay_alu instid0(VALU_DEP_1) | instskip(SKIP_1) | instid1(VALU_DEP_1)
	v_pk_fma_f32 v[10:11], v[4:5], v[0:1], v[8:9] op_sel:[0,0,1] op_sel_hi:[1,1,0] neg_lo:[0,0,1] neg_hi:[0,0,1]
	v_pk_fma_f32 v[4:5], v[4:5], v[0:1], v[8:9] op_sel:[0,0,1] op_sel_hi:[1,0,0]
	v_mov_b32_e32 v11, v5
	v_pk_mul_f32 v[4:5], v[6:7], v[2:3] op_sel:[0,1]
	s_delay_alu instid0(VALU_DEP_1) | instskip(SKIP_1) | instid1(VALU_DEP_1)
	v_pk_fma_f32 v[8:9], v[6:7], v[0:1], v[4:5] op_sel:[0,0,1] op_sel_hi:[1,1,0] neg_lo:[0,0,1] neg_hi:[0,0,1]
	v_pk_fma_f32 v[4:5], v[6:7], v[0:1], v[4:5] op_sel:[0,0,1] op_sel_hi:[1,0,0]
	v_mov_b32_e32 v9, v5
	ds_load_2addr_b64 v[4:7], v96 offset0:40 offset1:41
	v_pk_add_f32 v[160:161], v[160:161], v[10:11] neg_lo:[0,1] neg_hi:[0,1]
	v_pk_add_f32 v[156:157], v[156:157], v[8:9] neg_lo:[0,1] neg_hi:[0,1]
	s_wait_dscnt 0x0
	v_dual_mul_f32 v8, v5, v3 :: v_dual_mul_f32 v10, v5, v0
	s_delay_alu instid0(VALU_DEP_1) | instskip(NEXT) | instid1(VALU_DEP_2)
	v_pk_fma_f32 v[8:9], v[4:5], v[90:91], v[8:9] op_sel_hi:[1,1,0] neg_lo:[0,0,1] neg_hi:[0,0,1]
	v_pk_fma_f32 v[4:5], v[4:5], v[90:91], v[10:11] op_sel:[1,0,0] op_sel_hi:[0,1,0]
	s_delay_alu instid0(VALU_DEP_1) | instskip(SKIP_1) | instid1(VALU_DEP_2)
	v_mov_b32_e32 v9, v5
	v_pk_mul_f32 v[4:5], v[6:7], v[2:3] op_sel:[0,1]
	v_pk_add_f32 v[180:181], v[180:181], v[8:9] neg_lo:[0,1] neg_hi:[0,1]
	s_delay_alu instid0(VALU_DEP_2) | instskip(SKIP_1) | instid1(VALU_DEP_1)
	v_pk_fma_f32 v[8:9], v[6:7], v[0:1], v[4:5] op_sel:[0,0,1] op_sel_hi:[1,1,0] neg_lo:[0,0,1] neg_hi:[0,0,1]
	v_pk_fma_f32 v[4:5], v[6:7], v[0:1], v[4:5] op_sel:[0,0,1] op_sel_hi:[1,0,0]
	v_mov_b32_e32 v9, v5
	ds_load_2addr_b64 v[4:7], v96 offset0:42 offset1:43
	v_pk_add_f32 v[176:177], v[176:177], v[8:9] neg_lo:[0,1] neg_hi:[0,1]
	s_wait_dscnt 0x0
	v_pk_mul_f32 v[8:9], v[4:5], v[2:3] op_sel:[0,1]
	s_delay_alu instid0(VALU_DEP_1) | instskip(SKIP_1) | instid1(VALU_DEP_1)
	v_pk_fma_f32 v[10:11], v[4:5], v[0:1], v[8:9] op_sel:[0,0,1] op_sel_hi:[1,1,0] neg_lo:[0,0,1] neg_hi:[0,0,1]
	v_pk_fma_f32 v[4:5], v[4:5], v[0:1], v[8:9] op_sel:[0,0,1] op_sel_hi:[1,0,0]
	v_mov_b32_e32 v11, v5
	v_pk_mul_f32 v[4:5], v[6:7], v[2:3] op_sel:[0,1]
	s_delay_alu instid0(VALU_DEP_2) | instskip(NEXT) | instid1(VALU_DEP_2)
	v_pk_add_f32 v[178:179], v[178:179], v[10:11] neg_lo:[0,1] neg_hi:[0,1]
	v_pk_fma_f32 v[8:9], v[6:7], v[0:1], v[4:5] op_sel:[0,0,1] op_sel_hi:[1,1,0] neg_lo:[0,0,1] neg_hi:[0,0,1]
	v_pk_fma_f32 v[4:5], v[6:7], v[0:1], v[4:5] op_sel:[0,0,1] op_sel_hi:[1,0,0]
	s_delay_alu instid0(VALU_DEP_1) | instskip(SKIP_4) | instid1(VALU_DEP_1)
	v_mov_b32_e32 v9, v5
	ds_load_2addr_b64 v[4:7], v96 offset0:44 offset1:45
	v_pk_add_f32 v[174:175], v[174:175], v[8:9] neg_lo:[0,1] neg_hi:[0,1]
	s_wait_dscnt 0x0
	v_pk_mul_f32 v[8:9], v[4:5], v[2:3] op_sel:[0,1]
	v_pk_fma_f32 v[10:11], v[4:5], v[0:1], v[8:9] op_sel:[0,0,1] op_sel_hi:[1,1,0] neg_lo:[0,0,1] neg_hi:[0,0,1]
	v_pk_fma_f32 v[4:5], v[4:5], v[0:1], v[8:9] op_sel:[0,0,1] op_sel_hi:[1,0,0]
	v_dual_mul_f32 v8, v7, v3 :: v_dual_mov_b32 v4, v7
	s_delay_alu instid0(VALU_DEP_2) | instskip(NEXT) | instid1(VALU_DEP_2)
	v_dual_mov_b32 v11, v5 :: v_dual_mov_b32 v5, v6
	v_pk_fma_f32 v[8:9], v[6:7], v[90:91], v[8:9] op_sel_hi:[1,1,0] neg_lo:[0,0,1] neg_hi:[0,0,1]
	v_mul_f32_e32 v6, v7, v0
	s_delay_alu instid0(VALU_DEP_3) | instskip(NEXT) | instid1(VALU_DEP_2)
	v_pk_add_f32 v[196:197], v[196:197], v[10:11] neg_lo:[0,1] neg_hi:[0,1]
	v_pk_fma_f32 v[4:5], v[4:5], v[90:91], v[6:7] op_sel_hi:[1,1,0]
	s_delay_alu instid0(VALU_DEP_1) | instskip(SKIP_4) | instid1(VALU_DEP_1)
	v_mov_b32_e32 v9, v5
	ds_load_2addr_b64 v[4:7], v96 offset0:46 offset1:47
	v_pk_add_f32 v[192:193], v[192:193], v[8:9] neg_lo:[0,1] neg_hi:[0,1]
	s_wait_dscnt 0x0
	v_pk_mul_f32 v[8:9], v[4:5], v[2:3] op_sel:[0,1]
	v_pk_fma_f32 v[10:11], v[4:5], v[0:1], v[8:9] op_sel:[0,0,1] op_sel_hi:[1,1,0] neg_lo:[0,0,1] neg_hi:[0,0,1]
	v_pk_fma_f32 v[4:5], v[4:5], v[0:1], v[8:9] op_sel:[0,0,1] op_sel_hi:[1,0,0]
	s_delay_alu instid0(VALU_DEP_1) | instskip(SKIP_1) | instid1(VALU_DEP_1)
	v_mov_b32_e32 v11, v5
	v_pk_mul_f32 v[4:5], v[6:7], v[2:3] op_sel:[0,1]
	v_pk_fma_f32 v[8:9], v[6:7], v[0:1], v[4:5] op_sel:[0,0,1] op_sel_hi:[1,1,0] neg_lo:[0,0,1] neg_hi:[0,0,1]
	v_pk_fma_f32 v[4:5], v[6:7], v[0:1], v[4:5] op_sel:[0,0,1] op_sel_hi:[1,0,0]
	s_delay_alu instid0(VALU_DEP_1)
	v_mov_b32_e32 v9, v5
	ds_load_2addr_b64 v[4:7], v96 offset0:48 offset1:49
	v_pk_add_f32 v[194:195], v[194:195], v[10:11] neg_lo:[0,1] neg_hi:[0,1]
	v_pk_add_f32 v[190:191], v[190:191], v[8:9] neg_lo:[0,1] neg_hi:[0,1]
	s_wait_dscnt 0x0
	v_pk_mul_f32 v[8:9], v[4:5], v[2:3] op_sel:[0,1]
	v_pk_mul_f32 v[2:3], v[6:7], v[2:3] op_sel:[0,1]
	s_delay_alu instid0(VALU_DEP_2) | instskip(SKIP_1) | instid1(VALU_DEP_1)
	v_pk_fma_f32 v[10:11], v[4:5], v[0:1], v[8:9] op_sel:[0,0,1] op_sel_hi:[1,1,0] neg_lo:[0,0,1] neg_hi:[0,0,1]
	v_pk_fma_f32 v[4:5], v[4:5], v[0:1], v[8:9] op_sel:[0,0,1] op_sel_hi:[1,0,0]
	v_mov_b32_e32 v11, v5
	s_delay_alu instid0(VALU_DEP_4) | instskip(SKIP_1) | instid1(VALU_DEP_1)
	v_pk_fma_f32 v[4:5], v[6:7], v[0:1], v[2:3] op_sel:[0,0,1] op_sel_hi:[1,1,0] neg_lo:[0,0,1] neg_hi:[0,0,1]
	v_pk_fma_f32 v[0:1], v[6:7], v[0:1], v[2:3] op_sel:[0,0,1] op_sel_hi:[1,0,0]
	v_mov_b32_e32 v5, v1
	s_delay_alu instid0(VALU_DEP_4) | instskip(NEXT) | instid1(VALU_DEP_2)
	v_pk_add_f32 v[198:199], v[198:199], v[10:11] neg_lo:[0,1] neg_hi:[0,1]
	v_pk_add_f32 v[200:201], v[200:201], v[4:5] neg_lo:[0,1] neg_hi:[0,1]
.LBB99_199:
	s_wait_xcnt 0x0
	s_or_b32 exec_lo, exec_lo, s1
	s_delay_alu instid0(SALU_CYCLE_1)
	s_mov_b32 s2, exec_lo
	s_wait_storecnt 0x0
	s_barrier_signal -1
	s_barrier_wait -1
	v_cmpx_eq_u32_e32 22, v86
	s_cbranch_execz .LBB99_206
; %bb.200:
	ds_store_b64 v87, v[92:93]
	ds_store_2addr_b64 v96, v[88:89], v[112:113] offset0:23 offset1:24
	ds_store_2addr_b64 v96, v[108:109], v[110:111] offset0:25 offset1:26
	;; [unrolled: 1-line block ×13, first 2 shown]
	ds_store_b64 v96, v[200:201] offset:392
	ds_load_b64 v[0:1], v87
	s_wait_dscnt 0x0
	v_cmp_neq_f32_e32 vcc_lo, 0, v0
	v_cmp_neq_f32_e64 s1, 0, v1
	s_or_b32 s1, vcc_lo, s1
	s_delay_alu instid0(SALU_CYCLE_1)
	s_and_b32 exec_lo, exec_lo, s1
	s_cbranch_execz .LBB99_206
; %bb.201:
	v_cmp_ngt_f32_e64 s1, |v0|, |v1|
                                        ; implicit-def: $vgpr2_vgpr3
	s_and_saveexec_b32 s4, s1
	s_delay_alu instid0(SALU_CYCLE_1)
	s_xor_b32 s1, exec_lo, s4
	s_cbranch_execz .LBB99_203
; %bb.202:
	v_div_scale_f32 v2, null, v1, v1, v0
	v_div_scale_f32 v5, vcc_lo, v0, v1, v0
	s_delay_alu instid0(VALU_DEP_2) | instskip(SKIP_1) | instid1(TRANS32_DEP_1)
	v_rcp_f32_e32 v3, v2
	v_nop
	v_fma_f32 v4, -v2, v3, 1.0
	s_delay_alu instid0(VALU_DEP_1) | instskip(NEXT) | instid1(VALU_DEP_1)
	v_fmac_f32_e32 v3, v4, v3
	v_mul_f32_e32 v4, v5, v3
	s_delay_alu instid0(VALU_DEP_1) | instskip(NEXT) | instid1(VALU_DEP_1)
	v_fma_f32 v6, -v2, v4, v5
	v_fmac_f32_e32 v4, v6, v3
	s_delay_alu instid0(VALU_DEP_1) | instskip(NEXT) | instid1(VALU_DEP_1)
	v_fma_f32 v2, -v2, v4, v5
	v_div_fmas_f32 v2, v2, v3, v4
	s_delay_alu instid0(VALU_DEP_1) | instskip(NEXT) | instid1(VALU_DEP_1)
	v_div_fixup_f32 v2, v2, v1, v0
	v_fmac_f32_e32 v1, v0, v2
	s_delay_alu instid0(VALU_DEP_1) | instskip(SKIP_1) | instid1(VALU_DEP_2)
	v_div_scale_f32 v0, null, v1, v1, 1.0
	v_div_scale_f32 v5, vcc_lo, 1.0, v1, 1.0
	v_rcp_f32_e32 v3, v0
	v_nop
	s_delay_alu instid0(TRANS32_DEP_1) | instskip(NEXT) | instid1(VALU_DEP_1)
	v_fma_f32 v4, -v0, v3, 1.0
	v_fmac_f32_e32 v3, v4, v3
	s_delay_alu instid0(VALU_DEP_1) | instskip(NEXT) | instid1(VALU_DEP_1)
	v_mul_f32_e32 v4, v5, v3
	v_fma_f32 v6, -v0, v4, v5
	s_delay_alu instid0(VALU_DEP_1) | instskip(NEXT) | instid1(VALU_DEP_1)
	v_fmac_f32_e32 v4, v6, v3
	v_fma_f32 v0, -v0, v4, v5
	s_delay_alu instid0(VALU_DEP_1) | instskip(NEXT) | instid1(VALU_DEP_1)
	v_div_fmas_f32 v0, v0, v3, v4
	v_div_fixup_f32 v0, v0, v1, 1.0
	s_delay_alu instid0(VALU_DEP_1)
	v_mul_f32_e32 v2, v2, v0
	v_xor_b32_e32 v3, 0x80000000, v0
                                        ; implicit-def: $vgpr0_vgpr1
.LBB99_203:
	s_and_not1_saveexec_b32 s1, s1
	s_cbranch_execz .LBB99_205
; %bb.204:
	v_div_scale_f32 v2, null, v0, v0, v1
	v_div_scale_f32 v5, vcc_lo, v1, v0, v1
	s_delay_alu instid0(VALU_DEP_2) | instskip(SKIP_1) | instid1(TRANS32_DEP_1)
	v_rcp_f32_e32 v3, v2
	v_nop
	v_fma_f32 v4, -v2, v3, 1.0
	s_delay_alu instid0(VALU_DEP_1) | instskip(NEXT) | instid1(VALU_DEP_1)
	v_fmac_f32_e32 v3, v4, v3
	v_mul_f32_e32 v4, v5, v3
	s_delay_alu instid0(VALU_DEP_1) | instskip(NEXT) | instid1(VALU_DEP_1)
	v_fma_f32 v6, -v2, v4, v5
	v_fmac_f32_e32 v4, v6, v3
	s_delay_alu instid0(VALU_DEP_1) | instskip(NEXT) | instid1(VALU_DEP_1)
	v_fma_f32 v2, -v2, v4, v5
	v_div_fmas_f32 v2, v2, v3, v4
	s_delay_alu instid0(VALU_DEP_1) | instskip(NEXT) | instid1(VALU_DEP_1)
	v_div_fixup_f32 v3, v2, v0, v1
	v_fmac_f32_e32 v0, v1, v3
	s_delay_alu instid0(VALU_DEP_1) | instskip(NEXT) | instid1(VALU_DEP_1)
	v_div_scale_f32 v1, null, v0, v0, 1.0
	v_rcp_f32_e32 v2, v1
	v_nop
	s_delay_alu instid0(TRANS32_DEP_1) | instskip(NEXT) | instid1(VALU_DEP_1)
	v_fma_f32 v4, -v1, v2, 1.0
	v_fmac_f32_e32 v2, v4, v2
	v_div_scale_f32 v4, vcc_lo, 1.0, v0, 1.0
	s_delay_alu instid0(VALU_DEP_1) | instskip(NEXT) | instid1(VALU_DEP_1)
	v_mul_f32_e32 v5, v4, v2
	v_fma_f32 v6, -v1, v5, v4
	s_delay_alu instid0(VALU_DEP_1) | instskip(NEXT) | instid1(VALU_DEP_1)
	v_fmac_f32_e32 v5, v6, v2
	v_fma_f32 v1, -v1, v5, v4
	s_delay_alu instid0(VALU_DEP_1) | instskip(NEXT) | instid1(VALU_DEP_1)
	v_div_fmas_f32 v1, v1, v2, v5
	v_div_fixup_f32 v2, v1, v0, 1.0
	s_delay_alu instid0(VALU_DEP_1)
	v_mul_f32_e64 v3, v3, -v2
.LBB99_205:
	s_or_b32 exec_lo, exec_lo, s1
	ds_store_b64 v87, v[2:3]
.LBB99_206:
	s_or_b32 exec_lo, exec_lo, s2
	s_wait_dscnt 0x0
	s_barrier_signal -1
	s_barrier_wait -1
	ds_load_b64 v[0:1], v87
	s_mov_b32 s1, exec_lo
	s_wait_dscnt 0x0
	scratch_store_b64 off, v[0:1], off offset:184 ; 8-byte Folded Spill
	s_wait_xcnt 0x0
	v_cmpx_lt_u32_e32 22, v86
	s_cbranch_execz .LBB99_208
; %bb.207:
	scratch_load_b64 v[4:5], off, off offset:184 ; 8-byte Folded Reload
	s_wait_loadcnt 0x0
	v_pk_mul_f32 v[2:3], v[4:5], v[92:93] op_sel:[1,1] op_sel_hi:[0,1]
	s_delay_alu instid0(VALU_DEP_1)
	v_pk_fma_f32 v[0:1], v[4:5], v[92:93], v[2:3] op_sel_hi:[1,0,1] neg_lo:[0,0,1] neg_hi:[0,0,1]
	v_pk_fma_f32 v[2:3], v[4:5], v[92:93], v[2:3] op_sel_hi:[1,0,1]
	ds_load_2addr_b64 v[4:7], v96 offset0:23 offset1:24
	v_dual_mov_b32 v92, v0 :: v_dual_mov_b32 v93, v3
	s_wait_dscnt 0x0
	v_pk_mul_f32 v[8:9], v[4:5], v[2:3] op_sel:[0,1]
	s_delay_alu instid0(VALU_DEP_1) | instskip(SKIP_1) | instid1(VALU_DEP_1)
	v_pk_fma_f32 v[10:11], v[4:5], v[0:1], v[8:9] op_sel:[0,0,1] op_sel_hi:[1,1,0] neg_lo:[0,0,1] neg_hi:[0,0,1]
	v_pk_fma_f32 v[4:5], v[4:5], v[0:1], v[8:9] op_sel:[0,0,1] op_sel_hi:[1,0,0]
	v_mov_b32_e32 v11, v5
	v_pk_mul_f32 v[4:5], v[6:7], v[2:3] op_sel:[0,1]
	s_delay_alu instid0(VALU_DEP_1) | instskip(SKIP_1) | instid1(VALU_DEP_1)
	v_pk_fma_f32 v[8:9], v[6:7], v[0:1], v[4:5] op_sel:[0,0,1] op_sel_hi:[1,1,0] neg_lo:[0,0,1] neg_hi:[0,0,1]
	v_pk_fma_f32 v[4:5], v[6:7], v[0:1], v[4:5] op_sel:[0,0,1] op_sel_hi:[1,0,0]
	v_mov_b32_e32 v9, v5
	ds_load_2addr_b64 v[4:7], v96 offset0:25 offset1:26
	v_pk_add_f32 v[88:89], v[88:89], v[10:11] neg_lo:[0,1] neg_hi:[0,1]
	v_pk_add_f32 v[112:113], v[112:113], v[8:9] neg_lo:[0,1] neg_hi:[0,1]
	s_wait_dscnt 0x0
	v_pk_mul_f32 v[8:9], v[4:5], v[2:3] op_sel:[0,1]
	s_delay_alu instid0(VALU_DEP_1) | instskip(SKIP_2) | instid1(VALU_DEP_2)
	v_pk_fma_f32 v[10:11], v[4:5], v[0:1], v[8:9] op_sel:[0,0,1] op_sel_hi:[1,1,0] neg_lo:[0,0,1] neg_hi:[0,0,1]
	v_pk_fma_f32 v[4:5], v[4:5], v[0:1], v[8:9] op_sel:[0,0,1] op_sel_hi:[1,0,0]
	v_dual_mul_f32 v8, v7, v3 :: v_dual_mov_b32 v4, v7
	v_dual_mov_b32 v11, v5 :: v_dual_mov_b32 v5, v6
	s_delay_alu instid0(VALU_DEP_2) | instskip(SKIP_1) | instid1(VALU_DEP_3)
	v_pk_fma_f32 v[8:9], v[6:7], v[92:93], v[8:9] op_sel_hi:[1,1,0] neg_lo:[0,0,1] neg_hi:[0,0,1]
	v_mul_f32_e32 v6, v7, v0
	v_pk_add_f32 v[108:109], v[108:109], v[10:11] neg_lo:[0,1] neg_hi:[0,1]
	s_delay_alu instid0(VALU_DEP_2) | instskip(NEXT) | instid1(VALU_DEP_1)
	v_pk_fma_f32 v[4:5], v[4:5], v[92:93], v[6:7] op_sel_hi:[1,1,0]
	v_mov_b32_e32 v9, v5
	ds_load_2addr_b64 v[4:7], v96 offset0:27 offset1:28
	v_pk_add_f32 v[110:111], v[110:111], v[8:9] neg_lo:[0,1] neg_hi:[0,1]
	s_wait_dscnt 0x0
	v_pk_mul_f32 v[8:9], v[4:5], v[2:3] op_sel:[0,1]
	s_delay_alu instid0(VALU_DEP_1) | instskip(SKIP_1) | instid1(VALU_DEP_1)
	v_pk_fma_f32 v[10:11], v[4:5], v[0:1], v[8:9] op_sel:[0,0,1] op_sel_hi:[1,1,0] neg_lo:[0,0,1] neg_hi:[0,0,1]
	v_pk_fma_f32 v[4:5], v[4:5], v[0:1], v[8:9] op_sel:[0,0,1] op_sel_hi:[1,0,0]
	v_mov_b32_e32 v11, v5
	v_pk_mul_f32 v[4:5], v[6:7], v[2:3] op_sel:[0,1]
	s_delay_alu instid0(VALU_DEP_1) | instskip(SKIP_1) | instid1(VALU_DEP_1)
	v_pk_fma_f32 v[8:9], v[6:7], v[0:1], v[4:5] op_sel:[0,0,1] op_sel_hi:[1,1,0] neg_lo:[0,0,1] neg_hi:[0,0,1]
	v_pk_fma_f32 v[4:5], v[6:7], v[0:1], v[4:5] op_sel:[0,0,1] op_sel_hi:[1,0,0]
	v_mov_b32_e32 v9, v5
	ds_load_2addr_b64 v[4:7], v96 offset0:29 offset1:30
	v_pk_add_f32 v[106:107], v[106:107], v[10:11] neg_lo:[0,1] neg_hi:[0,1]
	v_pk_add_f32 v[128:129], v[128:129], v[8:9] neg_lo:[0,1] neg_hi:[0,1]
	s_wait_dscnt 0x0
	v_pk_mul_f32 v[8:9], v[4:5], v[2:3] op_sel:[0,1]
	s_delay_alu instid0(VALU_DEP_1) | instskip(SKIP_1) | instid1(VALU_DEP_1)
	v_pk_fma_f32 v[10:11], v[4:5], v[0:1], v[8:9] op_sel:[0,0,1] op_sel_hi:[1,1,0] neg_lo:[0,0,1] neg_hi:[0,0,1]
	v_pk_fma_f32 v[4:5], v[4:5], v[0:1], v[8:9] op_sel:[0,0,1] op_sel_hi:[1,0,0]
	v_mov_b32_e32 v11, v5
	v_pk_mul_f32 v[4:5], v[6:7], v[2:3] op_sel:[0,1]
	s_delay_alu instid0(VALU_DEP_1) | instskip(SKIP_1) | instid1(VALU_DEP_1)
	v_pk_fma_f32 v[8:9], v[6:7], v[0:1], v[4:5] op_sel:[0,0,1] op_sel_hi:[1,1,0] neg_lo:[0,0,1] neg_hi:[0,0,1]
	v_pk_fma_f32 v[4:5], v[6:7], v[0:1], v[4:5] op_sel:[0,0,1] op_sel_hi:[1,0,0]
	v_mov_b32_e32 v9, v5
	ds_load_2addr_b64 v[4:7], v96 offset0:31 offset1:32
	v_pk_add_f32 v[124:125], v[124:125], v[10:11] neg_lo:[0,1] neg_hi:[0,1]
	v_pk_add_f32 v[126:127], v[126:127], v[8:9] neg_lo:[0,1] neg_hi:[0,1]
	s_wait_dscnt 0x0
	v_dual_mul_f32 v8, v5, v3 :: v_dual_mul_f32 v10, v5, v0
	s_delay_alu instid0(VALU_DEP_1) | instskip(NEXT) | instid1(VALU_DEP_2)
	v_pk_fma_f32 v[8:9], v[4:5], v[92:93], v[8:9] op_sel_hi:[1,1,0] neg_lo:[0,0,1] neg_hi:[0,0,1]
	v_pk_fma_f32 v[4:5], v[4:5], v[92:93], v[10:11] op_sel:[1,0,0] op_sel_hi:[0,1,0]
	s_delay_alu instid0(VALU_DEP_1) | instskip(SKIP_1) | instid1(VALU_DEP_2)
	v_mov_b32_e32 v9, v5
	v_pk_mul_f32 v[4:5], v[6:7], v[2:3] op_sel:[0,1]
	v_pk_add_f32 v[122:123], v[122:123], v[8:9] neg_lo:[0,1] neg_hi:[0,1]
	s_delay_alu instid0(VALU_DEP_2) | instskip(SKIP_1) | instid1(VALU_DEP_1)
	v_pk_fma_f32 v[8:9], v[6:7], v[0:1], v[4:5] op_sel:[0,0,1] op_sel_hi:[1,1,0] neg_lo:[0,0,1] neg_hi:[0,0,1]
	v_pk_fma_f32 v[4:5], v[6:7], v[0:1], v[4:5] op_sel:[0,0,1] op_sel_hi:[1,0,0]
	v_mov_b32_e32 v9, v5
	ds_load_2addr_b64 v[4:7], v96 offset0:33 offset1:34
	v_pk_add_f32 v[144:145], v[144:145], v[8:9] neg_lo:[0,1] neg_hi:[0,1]
	s_wait_dscnt 0x0
	v_pk_mul_f32 v[8:9], v[4:5], v[2:3] op_sel:[0,1]
	s_delay_alu instid0(VALU_DEP_1) | instskip(SKIP_1) | instid1(VALU_DEP_1)
	v_pk_fma_f32 v[10:11], v[4:5], v[0:1], v[8:9] op_sel:[0,0,1] op_sel_hi:[1,1,0] neg_lo:[0,0,1] neg_hi:[0,0,1]
	v_pk_fma_f32 v[4:5], v[4:5], v[0:1], v[8:9] op_sel:[0,0,1] op_sel_hi:[1,0,0]
	v_mov_b32_e32 v11, v5
	v_pk_mul_f32 v[4:5], v[6:7], v[2:3] op_sel:[0,1]
	s_delay_alu instid0(VALU_DEP_2) | instskip(NEXT) | instid1(VALU_DEP_2)
	v_pk_add_f32 v[140:141], v[140:141], v[10:11] neg_lo:[0,1] neg_hi:[0,1]
	v_pk_fma_f32 v[8:9], v[6:7], v[0:1], v[4:5] op_sel:[0,0,1] op_sel_hi:[1,1,0] neg_lo:[0,0,1] neg_hi:[0,0,1]
	v_pk_fma_f32 v[4:5], v[6:7], v[0:1], v[4:5] op_sel:[0,0,1] op_sel_hi:[1,0,0]
	s_delay_alu instid0(VALU_DEP_1) | instskip(SKIP_4) | instid1(VALU_DEP_1)
	v_mov_b32_e32 v9, v5
	ds_load_2addr_b64 v[4:7], v96 offset0:35 offset1:36
	v_pk_add_f32 v[142:143], v[142:143], v[8:9] neg_lo:[0,1] neg_hi:[0,1]
	s_wait_dscnt 0x0
	v_pk_mul_f32 v[8:9], v[4:5], v[2:3] op_sel:[0,1]
	v_pk_fma_f32 v[10:11], v[4:5], v[0:1], v[8:9] op_sel:[0,0,1] op_sel_hi:[1,1,0] neg_lo:[0,0,1] neg_hi:[0,0,1]
	v_pk_fma_f32 v[4:5], v[4:5], v[0:1], v[8:9] op_sel:[0,0,1] op_sel_hi:[1,0,0]
	v_dual_mul_f32 v8, v7, v3 :: v_dual_mov_b32 v4, v7
	s_delay_alu instid0(VALU_DEP_2) | instskip(NEXT) | instid1(VALU_DEP_2)
	v_dual_mov_b32 v11, v5 :: v_dual_mov_b32 v5, v6
	v_pk_fma_f32 v[8:9], v[6:7], v[92:93], v[8:9] op_sel_hi:[1,1,0] neg_lo:[0,0,1] neg_hi:[0,0,1]
	v_mul_f32_e32 v6, v7, v0
	s_delay_alu instid0(VALU_DEP_3) | instskip(NEXT) | instid1(VALU_DEP_2)
	v_pk_add_f32 v[138:139], v[138:139], v[10:11] neg_lo:[0,1] neg_hi:[0,1]
	v_pk_fma_f32 v[4:5], v[4:5], v[92:93], v[6:7] op_sel_hi:[1,1,0]
	s_delay_alu instid0(VALU_DEP_1) | instskip(SKIP_4) | instid1(VALU_DEP_1)
	v_mov_b32_e32 v9, v5
	ds_load_2addr_b64 v[4:7], v96 offset0:37 offset1:38
	v_pk_add_f32 v[162:163], v[162:163], v[8:9] neg_lo:[0,1] neg_hi:[0,1]
	s_wait_dscnt 0x0
	v_pk_mul_f32 v[8:9], v[4:5], v[2:3] op_sel:[0,1]
	v_pk_fma_f32 v[10:11], v[4:5], v[0:1], v[8:9] op_sel:[0,0,1] op_sel_hi:[1,1,0] neg_lo:[0,0,1] neg_hi:[0,0,1]
	v_pk_fma_f32 v[4:5], v[4:5], v[0:1], v[8:9] op_sel:[0,0,1] op_sel_hi:[1,0,0]
	s_delay_alu instid0(VALU_DEP_1) | instskip(SKIP_1) | instid1(VALU_DEP_1)
	v_mov_b32_e32 v11, v5
	v_pk_mul_f32 v[4:5], v[6:7], v[2:3] op_sel:[0,1]
	v_pk_fma_f32 v[8:9], v[6:7], v[0:1], v[4:5] op_sel:[0,0,1] op_sel_hi:[1,1,0] neg_lo:[0,0,1] neg_hi:[0,0,1]
	v_pk_fma_f32 v[4:5], v[6:7], v[0:1], v[4:5] op_sel:[0,0,1] op_sel_hi:[1,0,0]
	s_delay_alu instid0(VALU_DEP_1)
	v_mov_b32_e32 v9, v5
	ds_load_2addr_b64 v[4:7], v96 offset0:39 offset1:40
	v_pk_add_f32 v[158:159], v[158:159], v[10:11] neg_lo:[0,1] neg_hi:[0,1]
	v_pk_add_f32 v[160:161], v[160:161], v[8:9] neg_lo:[0,1] neg_hi:[0,1]
	s_wait_dscnt 0x0
	v_pk_mul_f32 v[8:9], v[4:5], v[2:3] op_sel:[0,1]
	s_delay_alu instid0(VALU_DEP_1) | instskip(SKIP_1) | instid1(VALU_DEP_1)
	v_pk_fma_f32 v[10:11], v[4:5], v[0:1], v[8:9] op_sel:[0,0,1] op_sel_hi:[1,1,0] neg_lo:[0,0,1] neg_hi:[0,0,1]
	v_pk_fma_f32 v[4:5], v[4:5], v[0:1], v[8:9] op_sel:[0,0,1] op_sel_hi:[1,0,0]
	v_mov_b32_e32 v11, v5
	v_pk_mul_f32 v[4:5], v[6:7], v[2:3] op_sel:[0,1]
	s_delay_alu instid0(VALU_DEP_1) | instskip(SKIP_1) | instid1(VALU_DEP_1)
	v_pk_fma_f32 v[8:9], v[6:7], v[0:1], v[4:5] op_sel:[0,0,1] op_sel_hi:[1,1,0] neg_lo:[0,0,1] neg_hi:[0,0,1]
	v_pk_fma_f32 v[4:5], v[6:7], v[0:1], v[4:5] op_sel:[0,0,1] op_sel_hi:[1,0,0]
	v_mov_b32_e32 v9, v5
	ds_load_2addr_b64 v[4:7], v96 offset0:41 offset1:42
	v_pk_add_f32 v[156:157], v[156:157], v[10:11] neg_lo:[0,1] neg_hi:[0,1]
	v_pk_add_f32 v[180:181], v[180:181], v[8:9] neg_lo:[0,1] neg_hi:[0,1]
	s_wait_dscnt 0x0
	v_dual_mul_f32 v8, v5, v3 :: v_dual_mul_f32 v10, v5, v0
	s_delay_alu instid0(VALU_DEP_1) | instskip(NEXT) | instid1(VALU_DEP_2)
	v_pk_fma_f32 v[8:9], v[4:5], v[92:93], v[8:9] op_sel_hi:[1,1,0] neg_lo:[0,0,1] neg_hi:[0,0,1]
	v_pk_fma_f32 v[4:5], v[4:5], v[92:93], v[10:11] op_sel:[1,0,0] op_sel_hi:[0,1,0]
	s_delay_alu instid0(VALU_DEP_1) | instskip(SKIP_1) | instid1(VALU_DEP_2)
	v_mov_b32_e32 v9, v5
	v_pk_mul_f32 v[4:5], v[6:7], v[2:3] op_sel:[0,1]
	v_pk_add_f32 v[176:177], v[176:177], v[8:9] neg_lo:[0,1] neg_hi:[0,1]
	s_delay_alu instid0(VALU_DEP_2) | instskip(SKIP_1) | instid1(VALU_DEP_1)
	v_pk_fma_f32 v[8:9], v[6:7], v[0:1], v[4:5] op_sel:[0,0,1] op_sel_hi:[1,1,0] neg_lo:[0,0,1] neg_hi:[0,0,1]
	v_pk_fma_f32 v[4:5], v[6:7], v[0:1], v[4:5] op_sel:[0,0,1] op_sel_hi:[1,0,0]
	v_mov_b32_e32 v9, v5
	ds_load_2addr_b64 v[4:7], v96 offset0:43 offset1:44
	v_pk_add_f32 v[178:179], v[178:179], v[8:9] neg_lo:[0,1] neg_hi:[0,1]
	s_wait_dscnt 0x0
	v_pk_mul_f32 v[8:9], v[4:5], v[2:3] op_sel:[0,1]
	s_delay_alu instid0(VALU_DEP_1) | instskip(SKIP_1) | instid1(VALU_DEP_1)
	v_pk_fma_f32 v[10:11], v[4:5], v[0:1], v[8:9] op_sel:[0,0,1] op_sel_hi:[1,1,0] neg_lo:[0,0,1] neg_hi:[0,0,1]
	v_pk_fma_f32 v[4:5], v[4:5], v[0:1], v[8:9] op_sel:[0,0,1] op_sel_hi:[1,0,0]
	v_mov_b32_e32 v11, v5
	v_pk_mul_f32 v[4:5], v[6:7], v[2:3] op_sel:[0,1]
	s_delay_alu instid0(VALU_DEP_2) | instskip(NEXT) | instid1(VALU_DEP_2)
	v_pk_add_f32 v[174:175], v[174:175], v[10:11] neg_lo:[0,1] neg_hi:[0,1]
	v_pk_fma_f32 v[8:9], v[6:7], v[0:1], v[4:5] op_sel:[0,0,1] op_sel_hi:[1,1,0] neg_lo:[0,0,1] neg_hi:[0,0,1]
	v_pk_fma_f32 v[4:5], v[6:7], v[0:1], v[4:5] op_sel:[0,0,1] op_sel_hi:[1,0,0]
	s_delay_alu instid0(VALU_DEP_1) | instskip(SKIP_4) | instid1(VALU_DEP_1)
	v_mov_b32_e32 v9, v5
	ds_load_2addr_b64 v[4:7], v96 offset0:45 offset1:46
	v_pk_add_f32 v[196:197], v[196:197], v[8:9] neg_lo:[0,1] neg_hi:[0,1]
	s_wait_dscnt 0x0
	v_pk_mul_f32 v[8:9], v[4:5], v[2:3] op_sel:[0,1]
	v_pk_fma_f32 v[10:11], v[4:5], v[0:1], v[8:9] op_sel:[0,0,1] op_sel_hi:[1,1,0] neg_lo:[0,0,1] neg_hi:[0,0,1]
	v_pk_fma_f32 v[4:5], v[4:5], v[0:1], v[8:9] op_sel:[0,0,1] op_sel_hi:[1,0,0]
	v_dual_mul_f32 v8, v7, v3 :: v_dual_mov_b32 v4, v7
	s_delay_alu instid0(VALU_DEP_2) | instskip(NEXT) | instid1(VALU_DEP_2)
	v_dual_mov_b32 v11, v5 :: v_dual_mov_b32 v5, v6
	v_pk_fma_f32 v[8:9], v[6:7], v[92:93], v[8:9] op_sel_hi:[1,1,0] neg_lo:[0,0,1] neg_hi:[0,0,1]
	v_mul_f32_e32 v6, v7, v0
	s_delay_alu instid0(VALU_DEP_3) | instskip(NEXT) | instid1(VALU_DEP_2)
	v_pk_add_f32 v[192:193], v[192:193], v[10:11] neg_lo:[0,1] neg_hi:[0,1]
	v_pk_fma_f32 v[4:5], v[4:5], v[92:93], v[6:7] op_sel_hi:[1,1,0]
	s_delay_alu instid0(VALU_DEP_1) | instskip(SKIP_4) | instid1(VALU_DEP_1)
	v_mov_b32_e32 v9, v5
	ds_load_2addr_b64 v[4:7], v96 offset0:47 offset1:48
	v_pk_add_f32 v[194:195], v[194:195], v[8:9] neg_lo:[0,1] neg_hi:[0,1]
	s_wait_dscnt 0x0
	v_pk_mul_f32 v[8:9], v[4:5], v[2:3] op_sel:[0,1]
	v_pk_fma_f32 v[10:11], v[4:5], v[0:1], v[8:9] op_sel:[0,0,1] op_sel_hi:[1,1,0] neg_lo:[0,0,1] neg_hi:[0,0,1]
	v_pk_fma_f32 v[4:5], v[4:5], v[0:1], v[8:9] op_sel:[0,0,1] op_sel_hi:[1,0,0]
	s_delay_alu instid0(VALU_DEP_1) | instskip(SKIP_1) | instid1(VALU_DEP_1)
	v_mov_b32_e32 v11, v5
	v_pk_mul_f32 v[4:5], v[6:7], v[2:3] op_sel:[0,1]
	v_pk_fma_f32 v[8:9], v[6:7], v[0:1], v[4:5] op_sel:[0,0,1] op_sel_hi:[1,1,0] neg_lo:[0,0,1] neg_hi:[0,0,1]
	v_pk_fma_f32 v[4:5], v[6:7], v[0:1], v[4:5] op_sel:[0,0,1] op_sel_hi:[1,0,0]
	s_delay_alu instid0(VALU_DEP_1)
	v_mov_b32_e32 v9, v5
	ds_load_b64 v[4:5], v96 offset:392
	v_pk_add_f32 v[190:191], v[190:191], v[10:11] neg_lo:[0,1] neg_hi:[0,1]
	v_pk_add_f32 v[198:199], v[198:199], v[8:9] neg_lo:[0,1] neg_hi:[0,1]
	s_wait_dscnt 0x0
	v_pk_mul_f32 v[2:3], v[4:5], v[2:3] op_sel:[0,1]
	s_delay_alu instid0(VALU_DEP_1) | instskip(SKIP_1) | instid1(VALU_DEP_1)
	v_pk_fma_f32 v[6:7], v[4:5], v[0:1], v[2:3] op_sel:[0,0,1] op_sel_hi:[1,1,0] neg_lo:[0,0,1] neg_hi:[0,0,1]
	v_pk_fma_f32 v[0:1], v[4:5], v[0:1], v[2:3] op_sel:[0,0,1] op_sel_hi:[1,0,0]
	v_mov_b32_e32 v7, v1
	s_delay_alu instid0(VALU_DEP_1)
	v_pk_add_f32 v[200:201], v[200:201], v[6:7] neg_lo:[0,1] neg_hi:[0,1]
.LBB99_208:
	s_wait_xcnt 0x0
	s_or_b32 exec_lo, exec_lo, s1
	s_delay_alu instid0(SALU_CYCLE_1)
	s_mov_b32 s2, exec_lo
	s_wait_storecnt 0x0
	s_barrier_signal -1
	s_barrier_wait -1
	v_cmpx_eq_u32_e32 23, v86
	s_cbranch_execz .LBB99_215
; %bb.209:
	v_dual_mov_b32 v0, v112 :: v_dual_mov_b32 v1, v113
	v_dual_mov_b32 v2, v108 :: v_dual_mov_b32 v3, v109
	ds_store_b64 v87, v[88:89]
	ds_store_2addr_b64 v96, v[0:1], v[2:3] offset0:24 offset1:25
	v_dual_mov_b32 v0, v110 :: v_dual_mov_b32 v1, v111
	v_dual_mov_b32 v2, v106 :: v_dual_mov_b32 v3, v107
	ds_store_2addr_b64 v96, v[0:1], v[2:3] offset0:26 offset1:27
	v_dual_mov_b32 v0, v128 :: v_dual_mov_b32 v1, v129
	v_dual_mov_b32 v2, v124 :: v_dual_mov_b32 v3, v125
	;; [unrolled: 3-line block ×11, first 2 shown]
	ds_store_2addr_b64 v96, v[0:1], v[2:3] offset0:46 offset1:47
	v_dual_mov_b32 v0, v198 :: v_dual_mov_b32 v1, v199
	ds_store_2addr_b64 v96, v[0:1], v[200:201] offset0:48 offset1:49
	ds_load_b64 v[0:1], v87
	s_wait_dscnt 0x0
	v_cmp_neq_f32_e32 vcc_lo, 0, v0
	v_cmp_neq_f32_e64 s1, 0, v1
	s_or_b32 s1, vcc_lo, s1
	s_delay_alu instid0(SALU_CYCLE_1)
	s_and_b32 exec_lo, exec_lo, s1
	s_cbranch_execz .LBB99_215
; %bb.210:
	v_cmp_ngt_f32_e64 s1, |v0|, |v1|
                                        ; implicit-def: $vgpr2_vgpr3
	s_and_saveexec_b32 s4, s1
	s_delay_alu instid0(SALU_CYCLE_1)
	s_xor_b32 s1, exec_lo, s4
	s_cbranch_execz .LBB99_212
; %bb.211:
	v_div_scale_f32 v2, null, v1, v1, v0
	v_div_scale_f32 v5, vcc_lo, v0, v1, v0
	s_delay_alu instid0(VALU_DEP_2) | instskip(SKIP_1) | instid1(TRANS32_DEP_1)
	v_rcp_f32_e32 v3, v2
	v_nop
	v_fma_f32 v4, -v2, v3, 1.0
	s_delay_alu instid0(VALU_DEP_1) | instskip(NEXT) | instid1(VALU_DEP_1)
	v_fmac_f32_e32 v3, v4, v3
	v_mul_f32_e32 v4, v5, v3
	s_delay_alu instid0(VALU_DEP_1) | instskip(NEXT) | instid1(VALU_DEP_1)
	v_fma_f32 v6, -v2, v4, v5
	v_fmac_f32_e32 v4, v6, v3
	s_delay_alu instid0(VALU_DEP_1) | instskip(NEXT) | instid1(VALU_DEP_1)
	v_fma_f32 v2, -v2, v4, v5
	v_div_fmas_f32 v2, v2, v3, v4
	s_delay_alu instid0(VALU_DEP_1) | instskip(NEXT) | instid1(VALU_DEP_1)
	v_div_fixup_f32 v2, v2, v1, v0
	v_fmac_f32_e32 v1, v0, v2
	s_delay_alu instid0(VALU_DEP_1) | instskip(SKIP_1) | instid1(VALU_DEP_2)
	v_div_scale_f32 v0, null, v1, v1, 1.0
	v_div_scale_f32 v5, vcc_lo, 1.0, v1, 1.0
	v_rcp_f32_e32 v3, v0
	v_nop
	s_delay_alu instid0(TRANS32_DEP_1) | instskip(NEXT) | instid1(VALU_DEP_1)
	v_fma_f32 v4, -v0, v3, 1.0
	v_fmac_f32_e32 v3, v4, v3
	s_delay_alu instid0(VALU_DEP_1) | instskip(NEXT) | instid1(VALU_DEP_1)
	v_mul_f32_e32 v4, v5, v3
	v_fma_f32 v6, -v0, v4, v5
	s_delay_alu instid0(VALU_DEP_1) | instskip(NEXT) | instid1(VALU_DEP_1)
	v_fmac_f32_e32 v4, v6, v3
	v_fma_f32 v0, -v0, v4, v5
	s_delay_alu instid0(VALU_DEP_1) | instskip(NEXT) | instid1(VALU_DEP_1)
	v_div_fmas_f32 v0, v0, v3, v4
	v_div_fixup_f32 v0, v0, v1, 1.0
	s_delay_alu instid0(VALU_DEP_1)
	v_mul_f32_e32 v2, v2, v0
	v_xor_b32_e32 v3, 0x80000000, v0
                                        ; implicit-def: $vgpr0_vgpr1
.LBB99_212:
	s_and_not1_saveexec_b32 s1, s1
	s_cbranch_execz .LBB99_214
; %bb.213:
	v_div_scale_f32 v2, null, v0, v0, v1
	v_div_scale_f32 v5, vcc_lo, v1, v0, v1
	s_delay_alu instid0(VALU_DEP_2) | instskip(SKIP_1) | instid1(TRANS32_DEP_1)
	v_rcp_f32_e32 v3, v2
	v_nop
	v_fma_f32 v4, -v2, v3, 1.0
	s_delay_alu instid0(VALU_DEP_1) | instskip(NEXT) | instid1(VALU_DEP_1)
	v_fmac_f32_e32 v3, v4, v3
	v_mul_f32_e32 v4, v5, v3
	s_delay_alu instid0(VALU_DEP_1) | instskip(NEXT) | instid1(VALU_DEP_1)
	v_fma_f32 v6, -v2, v4, v5
	v_fmac_f32_e32 v4, v6, v3
	s_delay_alu instid0(VALU_DEP_1) | instskip(NEXT) | instid1(VALU_DEP_1)
	v_fma_f32 v2, -v2, v4, v5
	v_div_fmas_f32 v2, v2, v3, v4
	s_delay_alu instid0(VALU_DEP_1) | instskip(NEXT) | instid1(VALU_DEP_1)
	v_div_fixup_f32 v3, v2, v0, v1
	v_fmac_f32_e32 v0, v1, v3
	s_delay_alu instid0(VALU_DEP_1) | instskip(NEXT) | instid1(VALU_DEP_1)
	v_div_scale_f32 v1, null, v0, v0, 1.0
	v_rcp_f32_e32 v2, v1
	v_nop
	s_delay_alu instid0(TRANS32_DEP_1) | instskip(NEXT) | instid1(VALU_DEP_1)
	v_fma_f32 v4, -v1, v2, 1.0
	v_fmac_f32_e32 v2, v4, v2
	v_div_scale_f32 v4, vcc_lo, 1.0, v0, 1.0
	s_delay_alu instid0(VALU_DEP_1) | instskip(NEXT) | instid1(VALU_DEP_1)
	v_mul_f32_e32 v5, v4, v2
	v_fma_f32 v6, -v1, v5, v4
	s_delay_alu instid0(VALU_DEP_1) | instskip(NEXT) | instid1(VALU_DEP_1)
	v_fmac_f32_e32 v5, v6, v2
	v_fma_f32 v1, -v1, v5, v4
	s_delay_alu instid0(VALU_DEP_1) | instskip(NEXT) | instid1(VALU_DEP_1)
	v_div_fmas_f32 v1, v1, v2, v5
	v_div_fixup_f32 v2, v1, v0, 1.0
	s_delay_alu instid0(VALU_DEP_1)
	v_mul_f32_e64 v3, v3, -v2
.LBB99_214:
	s_or_b32 exec_lo, exec_lo, s1
	ds_store_b64 v87, v[2:3]
.LBB99_215:
	s_or_b32 exec_lo, exec_lo, s2
	s_wait_dscnt 0x0
	s_barrier_signal -1
	s_barrier_wait -1
	ds_load_b64 v[0:1], v87
	s_mov_b32 s1, exec_lo
	s_wait_dscnt 0x0
	scratch_store_b64 off, v[0:1], off offset:192 ; 8-byte Folded Spill
	s_wait_xcnt 0x0
	v_cmpx_lt_u32_e32 23, v86
	s_cbranch_execz .LBB99_217
; %bb.216:
	scratch_load_b64 v[4:5], off, off offset:192 ; 8-byte Folded Reload
	s_wait_loadcnt 0x0
	v_pk_mul_f32 v[2:3], v[4:5], v[88:89] op_sel:[1,1] op_sel_hi:[0,1]
	s_delay_alu instid0(VALU_DEP_1)
	v_pk_fma_f32 v[0:1], v[4:5], v[88:89], v[2:3] op_sel_hi:[1,0,1] neg_lo:[0,0,1] neg_hi:[0,0,1]
	v_pk_fma_f32 v[2:3], v[4:5], v[88:89], v[2:3] op_sel_hi:[1,0,1]
	ds_load_2addr_b64 v[4:7], v96 offset0:24 offset1:25
	v_dual_mov_b32 v88, v0 :: v_dual_mov_b32 v89, v3
	s_wait_dscnt 0x0
	v_pk_mul_f32 v[8:9], v[4:5], v[2:3] op_sel:[0,1]
	s_delay_alu instid0(VALU_DEP_1) | instskip(SKIP_1) | instid1(VALU_DEP_1)
	v_pk_fma_f32 v[10:11], v[4:5], v[0:1], v[8:9] op_sel:[0,0,1] op_sel_hi:[1,1,0] neg_lo:[0,0,1] neg_hi:[0,0,1]
	v_pk_fma_f32 v[4:5], v[4:5], v[0:1], v[8:9] op_sel:[0,0,1] op_sel_hi:[1,0,0]
	v_mov_b32_e32 v11, v5
	v_pk_mul_f32 v[4:5], v[6:7], v[2:3] op_sel:[0,1]
	s_delay_alu instid0(VALU_DEP_1) | instskip(SKIP_1) | instid1(VALU_DEP_1)
	v_pk_fma_f32 v[8:9], v[6:7], v[0:1], v[4:5] op_sel:[0,0,1] op_sel_hi:[1,1,0] neg_lo:[0,0,1] neg_hi:[0,0,1]
	v_pk_fma_f32 v[4:5], v[6:7], v[0:1], v[4:5] op_sel:[0,0,1] op_sel_hi:[1,0,0]
	v_mov_b32_e32 v9, v5
	ds_load_2addr_b64 v[4:7], v96 offset0:26 offset1:27
	v_pk_add_f32 v[112:113], v[112:113], v[10:11] neg_lo:[0,1] neg_hi:[0,1]
	v_pk_add_f32 v[108:109], v[108:109], v[8:9] neg_lo:[0,1] neg_hi:[0,1]
	s_wait_dscnt 0x0
	v_pk_mul_f32 v[8:9], v[4:5], v[2:3] op_sel:[0,1]
	s_delay_alu instid0(VALU_DEP_1) | instskip(SKIP_2) | instid1(VALU_DEP_2)
	v_pk_fma_f32 v[10:11], v[4:5], v[0:1], v[8:9] op_sel:[0,0,1] op_sel_hi:[1,1,0] neg_lo:[0,0,1] neg_hi:[0,0,1]
	v_pk_fma_f32 v[4:5], v[4:5], v[0:1], v[8:9] op_sel:[0,0,1] op_sel_hi:[1,0,0]
	v_dual_mul_f32 v8, v7, v3 :: v_dual_mov_b32 v4, v7
	v_dual_mov_b32 v11, v5 :: v_dual_mov_b32 v5, v6
	s_delay_alu instid0(VALU_DEP_2) | instskip(SKIP_1) | instid1(VALU_DEP_3)
	v_pk_fma_f32 v[8:9], v[6:7], v[88:89], v[8:9] op_sel_hi:[1,1,0] neg_lo:[0,0,1] neg_hi:[0,0,1]
	v_mul_f32_e32 v6, v7, v0
	v_pk_add_f32 v[110:111], v[110:111], v[10:11] neg_lo:[0,1] neg_hi:[0,1]
	s_delay_alu instid0(VALU_DEP_2) | instskip(NEXT) | instid1(VALU_DEP_1)
	v_pk_fma_f32 v[4:5], v[4:5], v[88:89], v[6:7] op_sel_hi:[1,1,0]
	v_mov_b32_e32 v9, v5
	ds_load_2addr_b64 v[4:7], v96 offset0:28 offset1:29
	v_pk_add_f32 v[106:107], v[106:107], v[8:9] neg_lo:[0,1] neg_hi:[0,1]
	s_wait_dscnt 0x0
	v_pk_mul_f32 v[8:9], v[4:5], v[2:3] op_sel:[0,1]
	s_delay_alu instid0(VALU_DEP_1) | instskip(SKIP_1) | instid1(VALU_DEP_1)
	v_pk_fma_f32 v[10:11], v[4:5], v[0:1], v[8:9] op_sel:[0,0,1] op_sel_hi:[1,1,0] neg_lo:[0,0,1] neg_hi:[0,0,1]
	v_pk_fma_f32 v[4:5], v[4:5], v[0:1], v[8:9] op_sel:[0,0,1] op_sel_hi:[1,0,0]
	v_mov_b32_e32 v11, v5
	v_pk_mul_f32 v[4:5], v[6:7], v[2:3] op_sel:[0,1]
	s_delay_alu instid0(VALU_DEP_1) | instskip(SKIP_1) | instid1(VALU_DEP_1)
	v_pk_fma_f32 v[8:9], v[6:7], v[0:1], v[4:5] op_sel:[0,0,1] op_sel_hi:[1,1,0] neg_lo:[0,0,1] neg_hi:[0,0,1]
	v_pk_fma_f32 v[4:5], v[6:7], v[0:1], v[4:5] op_sel:[0,0,1] op_sel_hi:[1,0,0]
	v_mov_b32_e32 v9, v5
	ds_load_2addr_b64 v[4:7], v96 offset0:30 offset1:31
	v_pk_add_f32 v[128:129], v[128:129], v[10:11] neg_lo:[0,1] neg_hi:[0,1]
	v_pk_add_f32 v[124:125], v[124:125], v[8:9] neg_lo:[0,1] neg_hi:[0,1]
	s_wait_dscnt 0x0
	v_pk_mul_f32 v[8:9], v[4:5], v[2:3] op_sel:[0,1]
	s_delay_alu instid0(VALU_DEP_1) | instskip(SKIP_1) | instid1(VALU_DEP_1)
	v_pk_fma_f32 v[10:11], v[4:5], v[0:1], v[8:9] op_sel:[0,0,1] op_sel_hi:[1,1,0] neg_lo:[0,0,1] neg_hi:[0,0,1]
	v_pk_fma_f32 v[4:5], v[4:5], v[0:1], v[8:9] op_sel:[0,0,1] op_sel_hi:[1,0,0]
	v_mov_b32_e32 v11, v5
	v_pk_mul_f32 v[4:5], v[6:7], v[2:3] op_sel:[0,1]
	s_delay_alu instid0(VALU_DEP_1) | instskip(SKIP_1) | instid1(VALU_DEP_1)
	v_pk_fma_f32 v[8:9], v[6:7], v[0:1], v[4:5] op_sel:[0,0,1] op_sel_hi:[1,1,0] neg_lo:[0,0,1] neg_hi:[0,0,1]
	v_pk_fma_f32 v[4:5], v[6:7], v[0:1], v[4:5] op_sel:[0,0,1] op_sel_hi:[1,0,0]
	v_mov_b32_e32 v9, v5
	ds_load_2addr_b64 v[4:7], v96 offset0:32 offset1:33
	v_pk_add_f32 v[126:127], v[126:127], v[10:11] neg_lo:[0,1] neg_hi:[0,1]
	v_pk_add_f32 v[122:123], v[122:123], v[8:9] neg_lo:[0,1] neg_hi:[0,1]
	s_wait_dscnt 0x0
	v_dual_mul_f32 v8, v5, v3 :: v_dual_mul_f32 v10, v5, v0
	s_delay_alu instid0(VALU_DEP_1) | instskip(NEXT) | instid1(VALU_DEP_2)
	v_pk_fma_f32 v[8:9], v[4:5], v[88:89], v[8:9] op_sel_hi:[1,1,0] neg_lo:[0,0,1] neg_hi:[0,0,1]
	v_pk_fma_f32 v[4:5], v[4:5], v[88:89], v[10:11] op_sel:[1,0,0] op_sel_hi:[0,1,0]
	s_delay_alu instid0(VALU_DEP_1) | instskip(SKIP_1) | instid1(VALU_DEP_2)
	v_mov_b32_e32 v9, v5
	v_pk_mul_f32 v[4:5], v[6:7], v[2:3] op_sel:[0,1]
	v_pk_add_f32 v[144:145], v[144:145], v[8:9] neg_lo:[0,1] neg_hi:[0,1]
	s_delay_alu instid0(VALU_DEP_2) | instskip(SKIP_1) | instid1(VALU_DEP_1)
	v_pk_fma_f32 v[8:9], v[6:7], v[0:1], v[4:5] op_sel:[0,0,1] op_sel_hi:[1,1,0] neg_lo:[0,0,1] neg_hi:[0,0,1]
	v_pk_fma_f32 v[4:5], v[6:7], v[0:1], v[4:5] op_sel:[0,0,1] op_sel_hi:[1,0,0]
	v_mov_b32_e32 v9, v5
	ds_load_2addr_b64 v[4:7], v96 offset0:34 offset1:35
	v_pk_add_f32 v[140:141], v[140:141], v[8:9] neg_lo:[0,1] neg_hi:[0,1]
	s_wait_dscnt 0x0
	v_pk_mul_f32 v[8:9], v[4:5], v[2:3] op_sel:[0,1]
	s_delay_alu instid0(VALU_DEP_1) | instskip(SKIP_1) | instid1(VALU_DEP_1)
	v_pk_fma_f32 v[10:11], v[4:5], v[0:1], v[8:9] op_sel:[0,0,1] op_sel_hi:[1,1,0] neg_lo:[0,0,1] neg_hi:[0,0,1]
	v_pk_fma_f32 v[4:5], v[4:5], v[0:1], v[8:9] op_sel:[0,0,1] op_sel_hi:[1,0,0]
	v_mov_b32_e32 v11, v5
	v_pk_mul_f32 v[4:5], v[6:7], v[2:3] op_sel:[0,1]
	s_delay_alu instid0(VALU_DEP_2) | instskip(NEXT) | instid1(VALU_DEP_2)
	v_pk_add_f32 v[142:143], v[142:143], v[10:11] neg_lo:[0,1] neg_hi:[0,1]
	v_pk_fma_f32 v[8:9], v[6:7], v[0:1], v[4:5] op_sel:[0,0,1] op_sel_hi:[1,1,0] neg_lo:[0,0,1] neg_hi:[0,0,1]
	v_pk_fma_f32 v[4:5], v[6:7], v[0:1], v[4:5] op_sel:[0,0,1] op_sel_hi:[1,0,0]
	s_delay_alu instid0(VALU_DEP_1) | instskip(SKIP_4) | instid1(VALU_DEP_1)
	v_mov_b32_e32 v9, v5
	ds_load_2addr_b64 v[4:7], v96 offset0:36 offset1:37
	v_pk_add_f32 v[138:139], v[138:139], v[8:9] neg_lo:[0,1] neg_hi:[0,1]
	s_wait_dscnt 0x0
	v_pk_mul_f32 v[8:9], v[4:5], v[2:3] op_sel:[0,1]
	v_pk_fma_f32 v[10:11], v[4:5], v[0:1], v[8:9] op_sel:[0,0,1] op_sel_hi:[1,1,0] neg_lo:[0,0,1] neg_hi:[0,0,1]
	v_pk_fma_f32 v[4:5], v[4:5], v[0:1], v[8:9] op_sel:[0,0,1] op_sel_hi:[1,0,0]
	v_dual_mul_f32 v8, v7, v3 :: v_dual_mov_b32 v4, v7
	s_delay_alu instid0(VALU_DEP_2) | instskip(NEXT) | instid1(VALU_DEP_2)
	v_dual_mov_b32 v11, v5 :: v_dual_mov_b32 v5, v6
	v_pk_fma_f32 v[8:9], v[6:7], v[88:89], v[8:9] op_sel_hi:[1,1,0] neg_lo:[0,0,1] neg_hi:[0,0,1]
	v_mul_f32_e32 v6, v7, v0
	s_delay_alu instid0(VALU_DEP_3) | instskip(NEXT) | instid1(VALU_DEP_2)
	v_pk_add_f32 v[162:163], v[162:163], v[10:11] neg_lo:[0,1] neg_hi:[0,1]
	v_pk_fma_f32 v[4:5], v[4:5], v[88:89], v[6:7] op_sel_hi:[1,1,0]
	s_delay_alu instid0(VALU_DEP_1) | instskip(SKIP_4) | instid1(VALU_DEP_1)
	v_mov_b32_e32 v9, v5
	ds_load_2addr_b64 v[4:7], v96 offset0:38 offset1:39
	v_pk_add_f32 v[158:159], v[158:159], v[8:9] neg_lo:[0,1] neg_hi:[0,1]
	s_wait_dscnt 0x0
	v_pk_mul_f32 v[8:9], v[4:5], v[2:3] op_sel:[0,1]
	v_pk_fma_f32 v[10:11], v[4:5], v[0:1], v[8:9] op_sel:[0,0,1] op_sel_hi:[1,1,0] neg_lo:[0,0,1] neg_hi:[0,0,1]
	v_pk_fma_f32 v[4:5], v[4:5], v[0:1], v[8:9] op_sel:[0,0,1] op_sel_hi:[1,0,0]
	s_delay_alu instid0(VALU_DEP_1) | instskip(SKIP_1) | instid1(VALU_DEP_1)
	v_mov_b32_e32 v11, v5
	v_pk_mul_f32 v[4:5], v[6:7], v[2:3] op_sel:[0,1]
	v_pk_fma_f32 v[8:9], v[6:7], v[0:1], v[4:5] op_sel:[0,0,1] op_sel_hi:[1,1,0] neg_lo:[0,0,1] neg_hi:[0,0,1]
	v_pk_fma_f32 v[4:5], v[6:7], v[0:1], v[4:5] op_sel:[0,0,1] op_sel_hi:[1,0,0]
	s_delay_alu instid0(VALU_DEP_1)
	v_mov_b32_e32 v9, v5
	ds_load_2addr_b64 v[4:7], v96 offset0:40 offset1:41
	v_pk_add_f32 v[160:161], v[160:161], v[10:11] neg_lo:[0,1] neg_hi:[0,1]
	v_pk_add_f32 v[156:157], v[156:157], v[8:9] neg_lo:[0,1] neg_hi:[0,1]
	s_wait_dscnt 0x0
	v_pk_mul_f32 v[8:9], v[4:5], v[2:3] op_sel:[0,1]
	s_delay_alu instid0(VALU_DEP_1) | instskip(SKIP_1) | instid1(VALU_DEP_1)
	v_pk_fma_f32 v[10:11], v[4:5], v[0:1], v[8:9] op_sel:[0,0,1] op_sel_hi:[1,1,0] neg_lo:[0,0,1] neg_hi:[0,0,1]
	v_pk_fma_f32 v[4:5], v[4:5], v[0:1], v[8:9] op_sel:[0,0,1] op_sel_hi:[1,0,0]
	v_mov_b32_e32 v11, v5
	v_pk_mul_f32 v[4:5], v[6:7], v[2:3] op_sel:[0,1]
	s_delay_alu instid0(VALU_DEP_1) | instskip(SKIP_1) | instid1(VALU_DEP_1)
	v_pk_fma_f32 v[8:9], v[6:7], v[0:1], v[4:5] op_sel:[0,0,1] op_sel_hi:[1,1,0] neg_lo:[0,0,1] neg_hi:[0,0,1]
	v_pk_fma_f32 v[4:5], v[6:7], v[0:1], v[4:5] op_sel:[0,0,1] op_sel_hi:[1,0,0]
	v_mov_b32_e32 v9, v5
	ds_load_2addr_b64 v[4:7], v96 offset0:42 offset1:43
	v_pk_add_f32 v[180:181], v[180:181], v[10:11] neg_lo:[0,1] neg_hi:[0,1]
	v_pk_add_f32 v[176:177], v[176:177], v[8:9] neg_lo:[0,1] neg_hi:[0,1]
	s_wait_dscnt 0x0
	v_dual_mul_f32 v8, v5, v3 :: v_dual_mul_f32 v10, v5, v0
	s_delay_alu instid0(VALU_DEP_1) | instskip(NEXT) | instid1(VALU_DEP_2)
	v_pk_fma_f32 v[8:9], v[4:5], v[88:89], v[8:9] op_sel_hi:[1,1,0] neg_lo:[0,0,1] neg_hi:[0,0,1]
	v_pk_fma_f32 v[4:5], v[4:5], v[88:89], v[10:11] op_sel:[1,0,0] op_sel_hi:[0,1,0]
	s_delay_alu instid0(VALU_DEP_1) | instskip(SKIP_1) | instid1(VALU_DEP_2)
	v_mov_b32_e32 v9, v5
	v_pk_mul_f32 v[4:5], v[6:7], v[2:3] op_sel:[0,1]
	v_pk_add_f32 v[178:179], v[178:179], v[8:9] neg_lo:[0,1] neg_hi:[0,1]
	s_delay_alu instid0(VALU_DEP_2) | instskip(SKIP_1) | instid1(VALU_DEP_1)
	v_pk_fma_f32 v[8:9], v[6:7], v[0:1], v[4:5] op_sel:[0,0,1] op_sel_hi:[1,1,0] neg_lo:[0,0,1] neg_hi:[0,0,1]
	v_pk_fma_f32 v[4:5], v[6:7], v[0:1], v[4:5] op_sel:[0,0,1] op_sel_hi:[1,0,0]
	v_mov_b32_e32 v9, v5
	ds_load_2addr_b64 v[4:7], v96 offset0:44 offset1:45
	v_pk_add_f32 v[174:175], v[174:175], v[8:9] neg_lo:[0,1] neg_hi:[0,1]
	s_wait_dscnt 0x0
	v_pk_mul_f32 v[8:9], v[4:5], v[2:3] op_sel:[0,1]
	s_delay_alu instid0(VALU_DEP_1) | instskip(SKIP_1) | instid1(VALU_DEP_1)
	v_pk_fma_f32 v[10:11], v[4:5], v[0:1], v[8:9] op_sel:[0,0,1] op_sel_hi:[1,1,0] neg_lo:[0,0,1] neg_hi:[0,0,1]
	v_pk_fma_f32 v[4:5], v[4:5], v[0:1], v[8:9] op_sel:[0,0,1] op_sel_hi:[1,0,0]
	v_mov_b32_e32 v11, v5
	v_pk_mul_f32 v[4:5], v[6:7], v[2:3] op_sel:[0,1]
	s_delay_alu instid0(VALU_DEP_2) | instskip(NEXT) | instid1(VALU_DEP_2)
	v_pk_add_f32 v[196:197], v[196:197], v[10:11] neg_lo:[0,1] neg_hi:[0,1]
	v_pk_fma_f32 v[8:9], v[6:7], v[0:1], v[4:5] op_sel:[0,0,1] op_sel_hi:[1,1,0] neg_lo:[0,0,1] neg_hi:[0,0,1]
	v_pk_fma_f32 v[4:5], v[6:7], v[0:1], v[4:5] op_sel:[0,0,1] op_sel_hi:[1,0,0]
	s_delay_alu instid0(VALU_DEP_1) | instskip(SKIP_4) | instid1(VALU_DEP_1)
	v_mov_b32_e32 v9, v5
	ds_load_2addr_b64 v[4:7], v96 offset0:46 offset1:47
	v_pk_add_f32 v[192:193], v[192:193], v[8:9] neg_lo:[0,1] neg_hi:[0,1]
	s_wait_dscnt 0x0
	v_pk_mul_f32 v[8:9], v[4:5], v[2:3] op_sel:[0,1]
	v_pk_fma_f32 v[10:11], v[4:5], v[0:1], v[8:9] op_sel:[0,0,1] op_sel_hi:[1,1,0] neg_lo:[0,0,1] neg_hi:[0,0,1]
	v_pk_fma_f32 v[4:5], v[4:5], v[0:1], v[8:9] op_sel:[0,0,1] op_sel_hi:[1,0,0]
	v_dual_mul_f32 v8, v7, v3 :: v_dual_mov_b32 v4, v7
	s_delay_alu instid0(VALU_DEP_2) | instskip(NEXT) | instid1(VALU_DEP_2)
	v_dual_mov_b32 v11, v5 :: v_dual_mov_b32 v5, v6
	v_pk_fma_f32 v[8:9], v[6:7], v[88:89], v[8:9] op_sel_hi:[1,1,0] neg_lo:[0,0,1] neg_hi:[0,0,1]
	v_mul_f32_e32 v6, v7, v0
	s_delay_alu instid0(VALU_DEP_3) | instskip(NEXT) | instid1(VALU_DEP_2)
	v_pk_add_f32 v[194:195], v[194:195], v[10:11] neg_lo:[0,1] neg_hi:[0,1]
	v_pk_fma_f32 v[4:5], v[4:5], v[88:89], v[6:7] op_sel_hi:[1,1,0]
	s_delay_alu instid0(VALU_DEP_1)
	v_mov_b32_e32 v9, v5
	ds_load_2addr_b64 v[4:7], v96 offset0:48 offset1:49
	v_pk_add_f32 v[190:191], v[190:191], v[8:9] neg_lo:[0,1] neg_hi:[0,1]
	s_wait_dscnt 0x0
	v_pk_mul_f32 v[8:9], v[4:5], v[2:3] op_sel:[0,1]
	v_pk_mul_f32 v[2:3], v[6:7], v[2:3] op_sel:[0,1]
	s_delay_alu instid0(VALU_DEP_2) | instskip(SKIP_1) | instid1(VALU_DEP_1)
	v_pk_fma_f32 v[10:11], v[4:5], v[0:1], v[8:9] op_sel:[0,0,1] op_sel_hi:[1,1,0] neg_lo:[0,0,1] neg_hi:[0,0,1]
	v_pk_fma_f32 v[4:5], v[4:5], v[0:1], v[8:9] op_sel:[0,0,1] op_sel_hi:[1,0,0]
	v_mov_b32_e32 v11, v5
	s_delay_alu instid0(VALU_DEP_4) | instskip(SKIP_1) | instid1(VALU_DEP_1)
	v_pk_fma_f32 v[4:5], v[6:7], v[0:1], v[2:3] op_sel:[0,0,1] op_sel_hi:[1,1,0] neg_lo:[0,0,1] neg_hi:[0,0,1]
	v_pk_fma_f32 v[0:1], v[6:7], v[0:1], v[2:3] op_sel:[0,0,1] op_sel_hi:[1,0,0]
	v_mov_b32_e32 v5, v1
	s_delay_alu instid0(VALU_DEP_4) | instskip(NEXT) | instid1(VALU_DEP_2)
	v_pk_add_f32 v[198:199], v[198:199], v[10:11] neg_lo:[0,1] neg_hi:[0,1]
	v_pk_add_f32 v[200:201], v[200:201], v[4:5] neg_lo:[0,1] neg_hi:[0,1]
.LBB99_217:
	s_wait_xcnt 0x0
	s_or_b32 exec_lo, exec_lo, s1
	s_delay_alu instid0(SALU_CYCLE_1)
	s_mov_b32 s2, exec_lo
	s_wait_storecnt 0x0
	s_barrier_signal -1
	s_barrier_wait -1
	v_cmpx_eq_u32_e32 24, v86
	s_cbranch_execz .LBB99_224
; %bb.218:
	ds_store_b64 v87, v[112:113]
	ds_store_2addr_b64 v96, v[108:109], v[110:111] offset0:25 offset1:26
	ds_store_2addr_b64 v96, v[106:107], v[128:129] offset0:27 offset1:28
	;; [unrolled: 1-line block ×12, first 2 shown]
	ds_store_b64 v96, v[200:201] offset:392
	ds_load_b64 v[0:1], v87
	s_wait_dscnt 0x0
	v_cmp_neq_f32_e32 vcc_lo, 0, v0
	v_cmp_neq_f32_e64 s1, 0, v1
	s_or_b32 s1, vcc_lo, s1
	s_delay_alu instid0(SALU_CYCLE_1)
	s_and_b32 exec_lo, exec_lo, s1
	s_cbranch_execz .LBB99_224
; %bb.219:
	v_cmp_ngt_f32_e64 s1, |v0|, |v1|
                                        ; implicit-def: $vgpr2_vgpr3
	s_and_saveexec_b32 s4, s1
	s_delay_alu instid0(SALU_CYCLE_1)
	s_xor_b32 s1, exec_lo, s4
	s_cbranch_execz .LBB99_221
; %bb.220:
	v_div_scale_f32 v2, null, v1, v1, v0
	v_div_scale_f32 v5, vcc_lo, v0, v1, v0
	s_delay_alu instid0(VALU_DEP_2) | instskip(SKIP_1) | instid1(TRANS32_DEP_1)
	v_rcp_f32_e32 v3, v2
	v_nop
	v_fma_f32 v4, -v2, v3, 1.0
	s_delay_alu instid0(VALU_DEP_1) | instskip(NEXT) | instid1(VALU_DEP_1)
	v_fmac_f32_e32 v3, v4, v3
	v_mul_f32_e32 v4, v5, v3
	s_delay_alu instid0(VALU_DEP_1) | instskip(NEXT) | instid1(VALU_DEP_1)
	v_fma_f32 v6, -v2, v4, v5
	v_fmac_f32_e32 v4, v6, v3
	s_delay_alu instid0(VALU_DEP_1) | instskip(NEXT) | instid1(VALU_DEP_1)
	v_fma_f32 v2, -v2, v4, v5
	v_div_fmas_f32 v2, v2, v3, v4
	s_delay_alu instid0(VALU_DEP_1) | instskip(NEXT) | instid1(VALU_DEP_1)
	v_div_fixup_f32 v2, v2, v1, v0
	v_fmac_f32_e32 v1, v0, v2
	s_delay_alu instid0(VALU_DEP_1) | instskip(SKIP_1) | instid1(VALU_DEP_2)
	v_div_scale_f32 v0, null, v1, v1, 1.0
	v_div_scale_f32 v5, vcc_lo, 1.0, v1, 1.0
	v_rcp_f32_e32 v3, v0
	v_nop
	s_delay_alu instid0(TRANS32_DEP_1) | instskip(NEXT) | instid1(VALU_DEP_1)
	v_fma_f32 v4, -v0, v3, 1.0
	v_fmac_f32_e32 v3, v4, v3
	s_delay_alu instid0(VALU_DEP_1) | instskip(NEXT) | instid1(VALU_DEP_1)
	v_mul_f32_e32 v4, v5, v3
	v_fma_f32 v6, -v0, v4, v5
	s_delay_alu instid0(VALU_DEP_1) | instskip(NEXT) | instid1(VALU_DEP_1)
	v_fmac_f32_e32 v4, v6, v3
	v_fma_f32 v0, -v0, v4, v5
	s_delay_alu instid0(VALU_DEP_1) | instskip(NEXT) | instid1(VALU_DEP_1)
	v_div_fmas_f32 v0, v0, v3, v4
	v_div_fixup_f32 v0, v0, v1, 1.0
	s_delay_alu instid0(VALU_DEP_1)
	v_mul_f32_e32 v2, v2, v0
	v_xor_b32_e32 v3, 0x80000000, v0
                                        ; implicit-def: $vgpr0_vgpr1
.LBB99_221:
	s_and_not1_saveexec_b32 s1, s1
	s_cbranch_execz .LBB99_223
; %bb.222:
	v_div_scale_f32 v2, null, v0, v0, v1
	v_div_scale_f32 v5, vcc_lo, v1, v0, v1
	s_delay_alu instid0(VALU_DEP_2) | instskip(SKIP_1) | instid1(TRANS32_DEP_1)
	v_rcp_f32_e32 v3, v2
	v_nop
	v_fma_f32 v4, -v2, v3, 1.0
	s_delay_alu instid0(VALU_DEP_1) | instskip(NEXT) | instid1(VALU_DEP_1)
	v_fmac_f32_e32 v3, v4, v3
	v_mul_f32_e32 v4, v5, v3
	s_delay_alu instid0(VALU_DEP_1) | instskip(NEXT) | instid1(VALU_DEP_1)
	v_fma_f32 v6, -v2, v4, v5
	v_fmac_f32_e32 v4, v6, v3
	s_delay_alu instid0(VALU_DEP_1) | instskip(NEXT) | instid1(VALU_DEP_1)
	v_fma_f32 v2, -v2, v4, v5
	v_div_fmas_f32 v2, v2, v3, v4
	s_delay_alu instid0(VALU_DEP_1) | instskip(NEXT) | instid1(VALU_DEP_1)
	v_div_fixup_f32 v3, v2, v0, v1
	v_fmac_f32_e32 v0, v1, v3
	s_delay_alu instid0(VALU_DEP_1) | instskip(NEXT) | instid1(VALU_DEP_1)
	v_div_scale_f32 v1, null, v0, v0, 1.0
	v_rcp_f32_e32 v2, v1
	v_nop
	s_delay_alu instid0(TRANS32_DEP_1) | instskip(NEXT) | instid1(VALU_DEP_1)
	v_fma_f32 v4, -v1, v2, 1.0
	v_fmac_f32_e32 v2, v4, v2
	v_div_scale_f32 v4, vcc_lo, 1.0, v0, 1.0
	s_delay_alu instid0(VALU_DEP_1) | instskip(NEXT) | instid1(VALU_DEP_1)
	v_mul_f32_e32 v5, v4, v2
	v_fma_f32 v6, -v1, v5, v4
	s_delay_alu instid0(VALU_DEP_1) | instskip(NEXT) | instid1(VALU_DEP_1)
	v_fmac_f32_e32 v5, v6, v2
	v_fma_f32 v1, -v1, v5, v4
	s_delay_alu instid0(VALU_DEP_1) | instskip(NEXT) | instid1(VALU_DEP_1)
	v_div_fmas_f32 v1, v1, v2, v5
	v_div_fixup_f32 v2, v1, v0, 1.0
	s_delay_alu instid0(VALU_DEP_1)
	v_mul_f32_e64 v3, v3, -v2
.LBB99_223:
	s_or_b32 exec_lo, exec_lo, s1
	ds_store_b64 v87, v[2:3]
.LBB99_224:
	s_or_b32 exec_lo, exec_lo, s2
	s_wait_dscnt 0x0
	s_barrier_signal -1
	s_barrier_wait -1
	ds_load_b64 v[0:1], v87
	s_mov_b32 s1, exec_lo
	s_wait_dscnt 0x0
	scratch_store_b64 off, v[0:1], off offset:200 ; 8-byte Folded Spill
	s_wait_xcnt 0x0
	v_cmpx_lt_u32_e32 24, v86
	s_cbranch_execz .LBB99_226
; %bb.225:
	scratch_load_b64 v[4:5], off, off offset:200 ; 8-byte Folded Reload
	s_wait_loadcnt 0x0
	v_pk_mul_f32 v[2:3], v[4:5], v[112:113] op_sel:[1,1] op_sel_hi:[0,1]
	s_delay_alu instid0(VALU_DEP_1)
	v_pk_fma_f32 v[0:1], v[4:5], v[112:113], v[2:3] op_sel_hi:[1,0,1] neg_lo:[0,0,1] neg_hi:[0,0,1]
	v_pk_fma_f32 v[2:3], v[4:5], v[112:113], v[2:3] op_sel_hi:[1,0,1]
	ds_load_2addr_b64 v[4:7], v96 offset0:25 offset1:26
	v_dual_mov_b32 v112, v0 :: v_dual_mov_b32 v113, v3
	s_wait_dscnt 0x0
	v_pk_mul_f32 v[8:9], v[4:5], v[2:3] op_sel:[0,1]
	s_delay_alu instid0(VALU_DEP_1) | instskip(SKIP_1) | instid1(VALU_DEP_1)
	v_pk_fma_f32 v[10:11], v[4:5], v[0:1], v[8:9] op_sel:[0,0,1] op_sel_hi:[1,1,0] neg_lo:[0,0,1] neg_hi:[0,0,1]
	v_pk_fma_f32 v[4:5], v[4:5], v[0:1], v[8:9] op_sel:[0,0,1] op_sel_hi:[1,0,0]
	v_mov_b32_e32 v11, v5
	v_pk_mul_f32 v[4:5], v[6:7], v[2:3] op_sel:[0,1]
	s_delay_alu instid0(VALU_DEP_1) | instskip(SKIP_1) | instid1(VALU_DEP_1)
	v_pk_fma_f32 v[8:9], v[6:7], v[0:1], v[4:5] op_sel:[0,0,1] op_sel_hi:[1,1,0] neg_lo:[0,0,1] neg_hi:[0,0,1]
	v_pk_fma_f32 v[4:5], v[6:7], v[0:1], v[4:5] op_sel:[0,0,1] op_sel_hi:[1,0,0]
	v_mov_b32_e32 v9, v5
	ds_load_2addr_b64 v[4:7], v96 offset0:27 offset1:28
	v_pk_add_f32 v[108:109], v[108:109], v[10:11] neg_lo:[0,1] neg_hi:[0,1]
	v_pk_add_f32 v[110:111], v[110:111], v[8:9] neg_lo:[0,1] neg_hi:[0,1]
	s_wait_dscnt 0x0
	v_pk_mul_f32 v[8:9], v[4:5], v[2:3] op_sel:[0,1]
	s_delay_alu instid0(VALU_DEP_1) | instskip(SKIP_2) | instid1(VALU_DEP_2)
	v_pk_fma_f32 v[10:11], v[4:5], v[0:1], v[8:9] op_sel:[0,0,1] op_sel_hi:[1,1,0] neg_lo:[0,0,1] neg_hi:[0,0,1]
	v_pk_fma_f32 v[4:5], v[4:5], v[0:1], v[8:9] op_sel:[0,0,1] op_sel_hi:[1,0,0]
	v_dual_mul_f32 v8, v7, v3 :: v_dual_mov_b32 v4, v7
	v_dual_mov_b32 v11, v5 :: v_dual_mov_b32 v5, v6
	s_delay_alu instid0(VALU_DEP_2) | instskip(SKIP_1) | instid1(VALU_DEP_3)
	v_pk_fma_f32 v[8:9], v[6:7], v[112:113], v[8:9] op_sel_hi:[1,1,0] neg_lo:[0,0,1] neg_hi:[0,0,1]
	v_mul_f32_e32 v6, v7, v0
	v_pk_add_f32 v[106:107], v[106:107], v[10:11] neg_lo:[0,1] neg_hi:[0,1]
	s_delay_alu instid0(VALU_DEP_2) | instskip(NEXT) | instid1(VALU_DEP_1)
	v_pk_fma_f32 v[4:5], v[4:5], v[112:113], v[6:7] op_sel_hi:[1,1,0]
	v_mov_b32_e32 v9, v5
	ds_load_2addr_b64 v[4:7], v96 offset0:29 offset1:30
	v_pk_add_f32 v[128:129], v[128:129], v[8:9] neg_lo:[0,1] neg_hi:[0,1]
	s_wait_dscnt 0x0
	v_pk_mul_f32 v[8:9], v[4:5], v[2:3] op_sel:[0,1]
	s_delay_alu instid0(VALU_DEP_1) | instskip(SKIP_1) | instid1(VALU_DEP_1)
	v_pk_fma_f32 v[10:11], v[4:5], v[0:1], v[8:9] op_sel:[0,0,1] op_sel_hi:[1,1,0] neg_lo:[0,0,1] neg_hi:[0,0,1]
	v_pk_fma_f32 v[4:5], v[4:5], v[0:1], v[8:9] op_sel:[0,0,1] op_sel_hi:[1,0,0]
	v_mov_b32_e32 v11, v5
	v_pk_mul_f32 v[4:5], v[6:7], v[2:3] op_sel:[0,1]
	s_delay_alu instid0(VALU_DEP_1) | instskip(SKIP_1) | instid1(VALU_DEP_1)
	v_pk_fma_f32 v[8:9], v[6:7], v[0:1], v[4:5] op_sel:[0,0,1] op_sel_hi:[1,1,0] neg_lo:[0,0,1] neg_hi:[0,0,1]
	v_pk_fma_f32 v[4:5], v[6:7], v[0:1], v[4:5] op_sel:[0,0,1] op_sel_hi:[1,0,0]
	v_mov_b32_e32 v9, v5
	ds_load_2addr_b64 v[4:7], v96 offset0:31 offset1:32
	v_pk_add_f32 v[124:125], v[124:125], v[10:11] neg_lo:[0,1] neg_hi:[0,1]
	v_pk_add_f32 v[126:127], v[126:127], v[8:9] neg_lo:[0,1] neg_hi:[0,1]
	s_wait_dscnt 0x0
	v_pk_mul_f32 v[8:9], v[4:5], v[2:3] op_sel:[0,1]
	s_delay_alu instid0(VALU_DEP_1) | instskip(SKIP_1) | instid1(VALU_DEP_1)
	v_pk_fma_f32 v[10:11], v[4:5], v[0:1], v[8:9] op_sel:[0,0,1] op_sel_hi:[1,1,0] neg_lo:[0,0,1] neg_hi:[0,0,1]
	v_pk_fma_f32 v[4:5], v[4:5], v[0:1], v[8:9] op_sel:[0,0,1] op_sel_hi:[1,0,0]
	v_mov_b32_e32 v11, v5
	v_pk_mul_f32 v[4:5], v[6:7], v[2:3] op_sel:[0,1]
	s_delay_alu instid0(VALU_DEP_1) | instskip(SKIP_1) | instid1(VALU_DEP_1)
	v_pk_fma_f32 v[8:9], v[6:7], v[0:1], v[4:5] op_sel:[0,0,1] op_sel_hi:[1,1,0] neg_lo:[0,0,1] neg_hi:[0,0,1]
	v_pk_fma_f32 v[4:5], v[6:7], v[0:1], v[4:5] op_sel:[0,0,1] op_sel_hi:[1,0,0]
	v_mov_b32_e32 v9, v5
	ds_load_2addr_b64 v[4:7], v96 offset0:33 offset1:34
	v_pk_add_f32 v[122:123], v[122:123], v[10:11] neg_lo:[0,1] neg_hi:[0,1]
	v_pk_add_f32 v[144:145], v[144:145], v[8:9] neg_lo:[0,1] neg_hi:[0,1]
	s_wait_dscnt 0x0
	v_dual_mul_f32 v8, v5, v3 :: v_dual_mul_f32 v10, v5, v0
	s_delay_alu instid0(VALU_DEP_1) | instskip(NEXT) | instid1(VALU_DEP_2)
	v_pk_fma_f32 v[8:9], v[4:5], v[112:113], v[8:9] op_sel_hi:[1,1,0] neg_lo:[0,0,1] neg_hi:[0,0,1]
	v_pk_fma_f32 v[4:5], v[4:5], v[112:113], v[10:11] op_sel:[1,0,0] op_sel_hi:[0,1,0]
	s_delay_alu instid0(VALU_DEP_1) | instskip(SKIP_1) | instid1(VALU_DEP_2)
	v_mov_b32_e32 v9, v5
	v_pk_mul_f32 v[4:5], v[6:7], v[2:3] op_sel:[0,1]
	v_pk_add_f32 v[140:141], v[140:141], v[8:9] neg_lo:[0,1] neg_hi:[0,1]
	s_delay_alu instid0(VALU_DEP_2) | instskip(SKIP_1) | instid1(VALU_DEP_1)
	v_pk_fma_f32 v[8:9], v[6:7], v[0:1], v[4:5] op_sel:[0,0,1] op_sel_hi:[1,1,0] neg_lo:[0,0,1] neg_hi:[0,0,1]
	v_pk_fma_f32 v[4:5], v[6:7], v[0:1], v[4:5] op_sel:[0,0,1] op_sel_hi:[1,0,0]
	v_mov_b32_e32 v9, v5
	ds_load_2addr_b64 v[4:7], v96 offset0:35 offset1:36
	v_pk_add_f32 v[142:143], v[142:143], v[8:9] neg_lo:[0,1] neg_hi:[0,1]
	s_wait_dscnt 0x0
	v_pk_mul_f32 v[8:9], v[4:5], v[2:3] op_sel:[0,1]
	s_delay_alu instid0(VALU_DEP_1) | instskip(SKIP_1) | instid1(VALU_DEP_1)
	v_pk_fma_f32 v[10:11], v[4:5], v[0:1], v[8:9] op_sel:[0,0,1] op_sel_hi:[1,1,0] neg_lo:[0,0,1] neg_hi:[0,0,1]
	v_pk_fma_f32 v[4:5], v[4:5], v[0:1], v[8:9] op_sel:[0,0,1] op_sel_hi:[1,0,0]
	v_mov_b32_e32 v11, v5
	v_pk_mul_f32 v[4:5], v[6:7], v[2:3] op_sel:[0,1]
	s_delay_alu instid0(VALU_DEP_2) | instskip(NEXT) | instid1(VALU_DEP_2)
	v_pk_add_f32 v[138:139], v[138:139], v[10:11] neg_lo:[0,1] neg_hi:[0,1]
	v_pk_fma_f32 v[8:9], v[6:7], v[0:1], v[4:5] op_sel:[0,0,1] op_sel_hi:[1,1,0] neg_lo:[0,0,1] neg_hi:[0,0,1]
	v_pk_fma_f32 v[4:5], v[6:7], v[0:1], v[4:5] op_sel:[0,0,1] op_sel_hi:[1,0,0]
	s_delay_alu instid0(VALU_DEP_1) | instskip(SKIP_4) | instid1(VALU_DEP_1)
	v_mov_b32_e32 v9, v5
	ds_load_2addr_b64 v[4:7], v96 offset0:37 offset1:38
	v_pk_add_f32 v[162:163], v[162:163], v[8:9] neg_lo:[0,1] neg_hi:[0,1]
	s_wait_dscnt 0x0
	v_pk_mul_f32 v[8:9], v[4:5], v[2:3] op_sel:[0,1]
	v_pk_fma_f32 v[10:11], v[4:5], v[0:1], v[8:9] op_sel:[0,0,1] op_sel_hi:[1,1,0] neg_lo:[0,0,1] neg_hi:[0,0,1]
	v_pk_fma_f32 v[4:5], v[4:5], v[0:1], v[8:9] op_sel:[0,0,1] op_sel_hi:[1,0,0]
	v_dual_mul_f32 v8, v7, v3 :: v_dual_mov_b32 v4, v7
	s_delay_alu instid0(VALU_DEP_2) | instskip(NEXT) | instid1(VALU_DEP_2)
	v_dual_mov_b32 v11, v5 :: v_dual_mov_b32 v5, v6
	v_pk_fma_f32 v[8:9], v[6:7], v[112:113], v[8:9] op_sel_hi:[1,1,0] neg_lo:[0,0,1] neg_hi:[0,0,1]
	v_mul_f32_e32 v6, v7, v0
	s_delay_alu instid0(VALU_DEP_3) | instskip(NEXT) | instid1(VALU_DEP_2)
	v_pk_add_f32 v[158:159], v[158:159], v[10:11] neg_lo:[0,1] neg_hi:[0,1]
	v_pk_fma_f32 v[4:5], v[4:5], v[112:113], v[6:7] op_sel_hi:[1,1,0]
	s_delay_alu instid0(VALU_DEP_1) | instskip(SKIP_4) | instid1(VALU_DEP_1)
	v_mov_b32_e32 v9, v5
	ds_load_2addr_b64 v[4:7], v96 offset0:39 offset1:40
	v_pk_add_f32 v[160:161], v[160:161], v[8:9] neg_lo:[0,1] neg_hi:[0,1]
	s_wait_dscnt 0x0
	v_pk_mul_f32 v[8:9], v[4:5], v[2:3] op_sel:[0,1]
	v_pk_fma_f32 v[10:11], v[4:5], v[0:1], v[8:9] op_sel:[0,0,1] op_sel_hi:[1,1,0] neg_lo:[0,0,1] neg_hi:[0,0,1]
	v_pk_fma_f32 v[4:5], v[4:5], v[0:1], v[8:9] op_sel:[0,0,1] op_sel_hi:[1,0,0]
	s_delay_alu instid0(VALU_DEP_1) | instskip(SKIP_1) | instid1(VALU_DEP_1)
	v_mov_b32_e32 v11, v5
	v_pk_mul_f32 v[4:5], v[6:7], v[2:3] op_sel:[0,1]
	v_pk_fma_f32 v[8:9], v[6:7], v[0:1], v[4:5] op_sel:[0,0,1] op_sel_hi:[1,1,0] neg_lo:[0,0,1] neg_hi:[0,0,1]
	v_pk_fma_f32 v[4:5], v[6:7], v[0:1], v[4:5] op_sel:[0,0,1] op_sel_hi:[1,0,0]
	s_delay_alu instid0(VALU_DEP_1)
	v_mov_b32_e32 v9, v5
	ds_load_2addr_b64 v[4:7], v96 offset0:41 offset1:42
	v_pk_add_f32 v[156:157], v[156:157], v[10:11] neg_lo:[0,1] neg_hi:[0,1]
	v_pk_add_f32 v[180:181], v[180:181], v[8:9] neg_lo:[0,1] neg_hi:[0,1]
	s_wait_dscnt 0x0
	v_pk_mul_f32 v[8:9], v[4:5], v[2:3] op_sel:[0,1]
	s_delay_alu instid0(VALU_DEP_1) | instskip(SKIP_1) | instid1(VALU_DEP_1)
	v_pk_fma_f32 v[10:11], v[4:5], v[0:1], v[8:9] op_sel:[0,0,1] op_sel_hi:[1,1,0] neg_lo:[0,0,1] neg_hi:[0,0,1]
	v_pk_fma_f32 v[4:5], v[4:5], v[0:1], v[8:9] op_sel:[0,0,1] op_sel_hi:[1,0,0]
	v_mov_b32_e32 v11, v5
	v_pk_mul_f32 v[4:5], v[6:7], v[2:3] op_sel:[0,1]
	s_delay_alu instid0(VALU_DEP_1) | instskip(SKIP_1) | instid1(VALU_DEP_1)
	v_pk_fma_f32 v[8:9], v[6:7], v[0:1], v[4:5] op_sel:[0,0,1] op_sel_hi:[1,1,0] neg_lo:[0,0,1] neg_hi:[0,0,1]
	v_pk_fma_f32 v[4:5], v[6:7], v[0:1], v[4:5] op_sel:[0,0,1] op_sel_hi:[1,0,0]
	v_mov_b32_e32 v9, v5
	ds_load_2addr_b64 v[4:7], v96 offset0:43 offset1:44
	v_pk_add_f32 v[176:177], v[176:177], v[10:11] neg_lo:[0,1] neg_hi:[0,1]
	v_pk_add_f32 v[178:179], v[178:179], v[8:9] neg_lo:[0,1] neg_hi:[0,1]
	s_wait_dscnt 0x0
	v_dual_mul_f32 v8, v5, v3 :: v_dual_mul_f32 v10, v5, v0
	s_delay_alu instid0(VALU_DEP_1) | instskip(NEXT) | instid1(VALU_DEP_2)
	v_pk_fma_f32 v[8:9], v[4:5], v[112:113], v[8:9] op_sel_hi:[1,1,0] neg_lo:[0,0,1] neg_hi:[0,0,1]
	v_pk_fma_f32 v[4:5], v[4:5], v[112:113], v[10:11] op_sel:[1,0,0] op_sel_hi:[0,1,0]
	s_delay_alu instid0(VALU_DEP_1) | instskip(SKIP_1) | instid1(VALU_DEP_2)
	v_mov_b32_e32 v9, v5
	v_pk_mul_f32 v[4:5], v[6:7], v[2:3] op_sel:[0,1]
	v_pk_add_f32 v[174:175], v[174:175], v[8:9] neg_lo:[0,1] neg_hi:[0,1]
	s_delay_alu instid0(VALU_DEP_2) | instskip(SKIP_1) | instid1(VALU_DEP_1)
	v_pk_fma_f32 v[8:9], v[6:7], v[0:1], v[4:5] op_sel:[0,0,1] op_sel_hi:[1,1,0] neg_lo:[0,0,1] neg_hi:[0,0,1]
	v_pk_fma_f32 v[4:5], v[6:7], v[0:1], v[4:5] op_sel:[0,0,1] op_sel_hi:[1,0,0]
	v_mov_b32_e32 v9, v5
	ds_load_2addr_b64 v[4:7], v96 offset0:45 offset1:46
	v_pk_add_f32 v[196:197], v[196:197], v[8:9] neg_lo:[0,1] neg_hi:[0,1]
	s_wait_dscnt 0x0
	v_pk_mul_f32 v[8:9], v[4:5], v[2:3] op_sel:[0,1]
	s_delay_alu instid0(VALU_DEP_1) | instskip(SKIP_1) | instid1(VALU_DEP_1)
	v_pk_fma_f32 v[10:11], v[4:5], v[0:1], v[8:9] op_sel:[0,0,1] op_sel_hi:[1,1,0] neg_lo:[0,0,1] neg_hi:[0,0,1]
	v_pk_fma_f32 v[4:5], v[4:5], v[0:1], v[8:9] op_sel:[0,0,1] op_sel_hi:[1,0,0]
	v_mov_b32_e32 v11, v5
	v_pk_mul_f32 v[4:5], v[6:7], v[2:3] op_sel:[0,1]
	s_delay_alu instid0(VALU_DEP_2) | instskip(NEXT) | instid1(VALU_DEP_2)
	v_pk_add_f32 v[192:193], v[192:193], v[10:11] neg_lo:[0,1] neg_hi:[0,1]
	v_pk_fma_f32 v[8:9], v[6:7], v[0:1], v[4:5] op_sel:[0,0,1] op_sel_hi:[1,1,0] neg_lo:[0,0,1] neg_hi:[0,0,1]
	v_pk_fma_f32 v[4:5], v[6:7], v[0:1], v[4:5] op_sel:[0,0,1] op_sel_hi:[1,0,0]
	s_delay_alu instid0(VALU_DEP_1) | instskip(SKIP_4) | instid1(VALU_DEP_1)
	v_mov_b32_e32 v9, v5
	ds_load_2addr_b64 v[4:7], v96 offset0:47 offset1:48
	v_pk_add_f32 v[194:195], v[194:195], v[8:9] neg_lo:[0,1] neg_hi:[0,1]
	s_wait_dscnt 0x0
	v_pk_mul_f32 v[8:9], v[4:5], v[2:3] op_sel:[0,1]
	v_pk_fma_f32 v[10:11], v[4:5], v[0:1], v[8:9] op_sel:[0,0,1] op_sel_hi:[1,1,0] neg_lo:[0,0,1] neg_hi:[0,0,1]
	v_pk_fma_f32 v[4:5], v[4:5], v[0:1], v[8:9] op_sel:[0,0,1] op_sel_hi:[1,0,0]
	v_dual_mul_f32 v8, v7, v3 :: v_dual_mov_b32 v4, v7
	s_delay_alu instid0(VALU_DEP_2) | instskip(NEXT) | instid1(VALU_DEP_2)
	v_dual_mov_b32 v11, v5 :: v_dual_mov_b32 v5, v6
	v_pk_fma_f32 v[8:9], v[6:7], v[112:113], v[8:9] op_sel_hi:[1,1,0] neg_lo:[0,0,1] neg_hi:[0,0,1]
	v_mul_f32_e32 v6, v7, v0
	s_delay_alu instid0(VALU_DEP_3) | instskip(NEXT) | instid1(VALU_DEP_2)
	v_pk_add_f32 v[190:191], v[190:191], v[10:11] neg_lo:[0,1] neg_hi:[0,1]
	v_pk_fma_f32 v[4:5], v[4:5], v[112:113], v[6:7] op_sel_hi:[1,1,0]
	s_delay_alu instid0(VALU_DEP_1) | instskip(SKIP_4) | instid1(VALU_DEP_1)
	v_mov_b32_e32 v9, v5
	ds_load_b64 v[4:5], v96 offset:392
	v_pk_add_f32 v[198:199], v[198:199], v[8:9] neg_lo:[0,1] neg_hi:[0,1]
	s_wait_dscnt 0x0
	v_pk_mul_f32 v[2:3], v[4:5], v[2:3] op_sel:[0,1]
	v_pk_fma_f32 v[6:7], v[4:5], v[0:1], v[2:3] op_sel:[0,0,1] op_sel_hi:[1,1,0] neg_lo:[0,0,1] neg_hi:[0,0,1]
	v_pk_fma_f32 v[0:1], v[4:5], v[0:1], v[2:3] op_sel:[0,0,1] op_sel_hi:[1,0,0]
	s_delay_alu instid0(VALU_DEP_1) | instskip(NEXT) | instid1(VALU_DEP_1)
	v_mov_b32_e32 v7, v1
	v_pk_add_f32 v[200:201], v[200:201], v[6:7] neg_lo:[0,1] neg_hi:[0,1]
.LBB99_226:
	s_wait_xcnt 0x0
	s_or_b32 exec_lo, exec_lo, s1
	s_delay_alu instid0(SALU_CYCLE_1)
	s_mov_b32 s2, exec_lo
	s_wait_storecnt 0x0
	s_barrier_signal -1
	s_barrier_wait -1
	v_cmpx_eq_u32_e32 25, v86
	s_cbranch_execz .LBB99_233
; %bb.227:
	v_dual_mov_b32 v0, v110 :: v_dual_mov_b32 v1, v111
	v_dual_mov_b32 v2, v106 :: v_dual_mov_b32 v3, v107
	ds_store_b64 v87, v[108:109]
	ds_store_2addr_b64 v96, v[0:1], v[2:3] offset0:26 offset1:27
	v_dual_mov_b32 v0, v128 :: v_dual_mov_b32 v1, v129
	v_dual_mov_b32 v2, v124 :: v_dual_mov_b32 v3, v125
	ds_store_2addr_b64 v96, v[0:1], v[2:3] offset0:28 offset1:29
	v_dual_mov_b32 v0, v126 :: v_dual_mov_b32 v1, v127
	v_dual_mov_b32 v2, v122 :: v_dual_mov_b32 v3, v123
	;; [unrolled: 3-line block ×10, first 2 shown]
	ds_store_2addr_b64 v96, v[0:1], v[2:3] offset0:46 offset1:47
	v_dual_mov_b32 v0, v198 :: v_dual_mov_b32 v1, v199
	ds_store_2addr_b64 v96, v[0:1], v[200:201] offset0:48 offset1:49
	ds_load_b64 v[0:1], v87
	s_wait_dscnt 0x0
	v_cmp_neq_f32_e32 vcc_lo, 0, v0
	v_cmp_neq_f32_e64 s1, 0, v1
	s_or_b32 s1, vcc_lo, s1
	s_delay_alu instid0(SALU_CYCLE_1)
	s_and_b32 exec_lo, exec_lo, s1
	s_cbranch_execz .LBB99_233
; %bb.228:
	v_cmp_ngt_f32_e64 s1, |v0|, |v1|
                                        ; implicit-def: $vgpr2_vgpr3
	s_and_saveexec_b32 s4, s1
	s_delay_alu instid0(SALU_CYCLE_1)
	s_xor_b32 s1, exec_lo, s4
	s_cbranch_execz .LBB99_230
; %bb.229:
	v_div_scale_f32 v2, null, v1, v1, v0
	v_div_scale_f32 v5, vcc_lo, v0, v1, v0
	s_delay_alu instid0(VALU_DEP_2) | instskip(SKIP_1) | instid1(TRANS32_DEP_1)
	v_rcp_f32_e32 v3, v2
	v_nop
	v_fma_f32 v4, -v2, v3, 1.0
	s_delay_alu instid0(VALU_DEP_1) | instskip(NEXT) | instid1(VALU_DEP_1)
	v_fmac_f32_e32 v3, v4, v3
	v_mul_f32_e32 v4, v5, v3
	s_delay_alu instid0(VALU_DEP_1) | instskip(NEXT) | instid1(VALU_DEP_1)
	v_fma_f32 v6, -v2, v4, v5
	v_fmac_f32_e32 v4, v6, v3
	s_delay_alu instid0(VALU_DEP_1) | instskip(NEXT) | instid1(VALU_DEP_1)
	v_fma_f32 v2, -v2, v4, v5
	v_div_fmas_f32 v2, v2, v3, v4
	s_delay_alu instid0(VALU_DEP_1) | instskip(NEXT) | instid1(VALU_DEP_1)
	v_div_fixup_f32 v2, v2, v1, v0
	v_fmac_f32_e32 v1, v0, v2
	s_delay_alu instid0(VALU_DEP_1) | instskip(SKIP_1) | instid1(VALU_DEP_2)
	v_div_scale_f32 v0, null, v1, v1, 1.0
	v_div_scale_f32 v5, vcc_lo, 1.0, v1, 1.0
	v_rcp_f32_e32 v3, v0
	v_nop
	s_delay_alu instid0(TRANS32_DEP_1) | instskip(NEXT) | instid1(VALU_DEP_1)
	v_fma_f32 v4, -v0, v3, 1.0
	v_fmac_f32_e32 v3, v4, v3
	s_delay_alu instid0(VALU_DEP_1) | instskip(NEXT) | instid1(VALU_DEP_1)
	v_mul_f32_e32 v4, v5, v3
	v_fma_f32 v6, -v0, v4, v5
	s_delay_alu instid0(VALU_DEP_1) | instskip(NEXT) | instid1(VALU_DEP_1)
	v_fmac_f32_e32 v4, v6, v3
	v_fma_f32 v0, -v0, v4, v5
	s_delay_alu instid0(VALU_DEP_1) | instskip(NEXT) | instid1(VALU_DEP_1)
	v_div_fmas_f32 v0, v0, v3, v4
	v_div_fixup_f32 v0, v0, v1, 1.0
	s_delay_alu instid0(VALU_DEP_1)
	v_mul_f32_e32 v2, v2, v0
	v_xor_b32_e32 v3, 0x80000000, v0
                                        ; implicit-def: $vgpr0_vgpr1
.LBB99_230:
	s_and_not1_saveexec_b32 s1, s1
	s_cbranch_execz .LBB99_232
; %bb.231:
	v_div_scale_f32 v2, null, v0, v0, v1
	v_div_scale_f32 v5, vcc_lo, v1, v0, v1
	s_delay_alu instid0(VALU_DEP_2) | instskip(SKIP_1) | instid1(TRANS32_DEP_1)
	v_rcp_f32_e32 v3, v2
	v_nop
	v_fma_f32 v4, -v2, v3, 1.0
	s_delay_alu instid0(VALU_DEP_1) | instskip(NEXT) | instid1(VALU_DEP_1)
	v_fmac_f32_e32 v3, v4, v3
	v_mul_f32_e32 v4, v5, v3
	s_delay_alu instid0(VALU_DEP_1) | instskip(NEXT) | instid1(VALU_DEP_1)
	v_fma_f32 v6, -v2, v4, v5
	v_fmac_f32_e32 v4, v6, v3
	s_delay_alu instid0(VALU_DEP_1) | instskip(NEXT) | instid1(VALU_DEP_1)
	v_fma_f32 v2, -v2, v4, v5
	v_div_fmas_f32 v2, v2, v3, v4
	s_delay_alu instid0(VALU_DEP_1) | instskip(NEXT) | instid1(VALU_DEP_1)
	v_div_fixup_f32 v3, v2, v0, v1
	v_fmac_f32_e32 v0, v1, v3
	s_delay_alu instid0(VALU_DEP_1) | instskip(NEXT) | instid1(VALU_DEP_1)
	v_div_scale_f32 v1, null, v0, v0, 1.0
	v_rcp_f32_e32 v2, v1
	v_nop
	s_delay_alu instid0(TRANS32_DEP_1) | instskip(NEXT) | instid1(VALU_DEP_1)
	v_fma_f32 v4, -v1, v2, 1.0
	v_fmac_f32_e32 v2, v4, v2
	v_div_scale_f32 v4, vcc_lo, 1.0, v0, 1.0
	s_delay_alu instid0(VALU_DEP_1) | instskip(NEXT) | instid1(VALU_DEP_1)
	v_mul_f32_e32 v5, v4, v2
	v_fma_f32 v6, -v1, v5, v4
	s_delay_alu instid0(VALU_DEP_1) | instskip(NEXT) | instid1(VALU_DEP_1)
	v_fmac_f32_e32 v5, v6, v2
	v_fma_f32 v1, -v1, v5, v4
	s_delay_alu instid0(VALU_DEP_1) | instskip(NEXT) | instid1(VALU_DEP_1)
	v_div_fmas_f32 v1, v1, v2, v5
	v_div_fixup_f32 v2, v1, v0, 1.0
	s_delay_alu instid0(VALU_DEP_1)
	v_mul_f32_e64 v3, v3, -v2
.LBB99_232:
	s_or_b32 exec_lo, exec_lo, s1
	ds_store_b64 v87, v[2:3]
.LBB99_233:
	s_or_b32 exec_lo, exec_lo, s2
	s_wait_dscnt 0x0
	s_barrier_signal -1
	s_barrier_wait -1
	ds_load_b64 v[0:1], v87
	s_mov_b32 s1, exec_lo
	s_wait_dscnt 0x0
	scratch_store_b64 off, v[0:1], off offset:208 ; 8-byte Folded Spill
	s_wait_xcnt 0x0
	v_cmpx_lt_u32_e32 25, v86
	s_cbranch_execz .LBB99_235
; %bb.234:
	scratch_load_b64 v[4:5], off, off offset:208 ; 8-byte Folded Reload
	s_wait_loadcnt 0x0
	v_pk_mul_f32 v[2:3], v[4:5], v[108:109] op_sel:[1,1] op_sel_hi:[0,1]
	s_delay_alu instid0(VALU_DEP_1)
	v_pk_fma_f32 v[0:1], v[4:5], v[108:109], v[2:3] op_sel_hi:[1,0,1] neg_lo:[0,0,1] neg_hi:[0,0,1]
	v_pk_fma_f32 v[2:3], v[4:5], v[108:109], v[2:3] op_sel_hi:[1,0,1]
	ds_load_2addr_b64 v[4:7], v96 offset0:26 offset1:27
	v_dual_mov_b32 v108, v0 :: v_dual_mov_b32 v109, v3
	s_wait_dscnt 0x0
	v_pk_mul_f32 v[8:9], v[4:5], v[2:3] op_sel:[0,1]
	s_delay_alu instid0(VALU_DEP_1) | instskip(SKIP_1) | instid1(VALU_DEP_1)
	v_pk_fma_f32 v[10:11], v[4:5], v[0:1], v[8:9] op_sel:[0,0,1] op_sel_hi:[1,1,0] neg_lo:[0,0,1] neg_hi:[0,0,1]
	v_pk_fma_f32 v[4:5], v[4:5], v[0:1], v[8:9] op_sel:[0,0,1] op_sel_hi:[1,0,0]
	v_mov_b32_e32 v11, v5
	v_pk_mul_f32 v[4:5], v[6:7], v[2:3] op_sel:[0,1]
	s_delay_alu instid0(VALU_DEP_1) | instskip(SKIP_1) | instid1(VALU_DEP_1)
	v_pk_fma_f32 v[8:9], v[6:7], v[0:1], v[4:5] op_sel:[0,0,1] op_sel_hi:[1,1,0] neg_lo:[0,0,1] neg_hi:[0,0,1]
	v_pk_fma_f32 v[4:5], v[6:7], v[0:1], v[4:5] op_sel:[0,0,1] op_sel_hi:[1,0,0]
	v_mov_b32_e32 v9, v5
	ds_load_2addr_b64 v[4:7], v96 offset0:28 offset1:29
	v_pk_add_f32 v[110:111], v[110:111], v[10:11] neg_lo:[0,1] neg_hi:[0,1]
	v_pk_add_f32 v[106:107], v[106:107], v[8:9] neg_lo:[0,1] neg_hi:[0,1]
	s_wait_dscnt 0x0
	v_pk_mul_f32 v[8:9], v[4:5], v[2:3] op_sel:[0,1]
	s_delay_alu instid0(VALU_DEP_1) | instskip(SKIP_2) | instid1(VALU_DEP_2)
	v_pk_fma_f32 v[10:11], v[4:5], v[0:1], v[8:9] op_sel:[0,0,1] op_sel_hi:[1,1,0] neg_lo:[0,0,1] neg_hi:[0,0,1]
	v_pk_fma_f32 v[4:5], v[4:5], v[0:1], v[8:9] op_sel:[0,0,1] op_sel_hi:[1,0,0]
	v_dual_mul_f32 v8, v7, v3 :: v_dual_mov_b32 v4, v7
	v_dual_mov_b32 v11, v5 :: v_dual_mov_b32 v5, v6
	s_delay_alu instid0(VALU_DEP_2) | instskip(SKIP_1) | instid1(VALU_DEP_3)
	v_pk_fma_f32 v[8:9], v[6:7], v[108:109], v[8:9] op_sel_hi:[1,1,0] neg_lo:[0,0,1] neg_hi:[0,0,1]
	v_mul_f32_e32 v6, v7, v0
	v_pk_add_f32 v[128:129], v[128:129], v[10:11] neg_lo:[0,1] neg_hi:[0,1]
	s_delay_alu instid0(VALU_DEP_2) | instskip(NEXT) | instid1(VALU_DEP_1)
	v_pk_fma_f32 v[4:5], v[4:5], v[108:109], v[6:7] op_sel_hi:[1,1,0]
	v_mov_b32_e32 v9, v5
	ds_load_2addr_b64 v[4:7], v96 offset0:30 offset1:31
	v_pk_add_f32 v[124:125], v[124:125], v[8:9] neg_lo:[0,1] neg_hi:[0,1]
	s_wait_dscnt 0x0
	v_pk_mul_f32 v[8:9], v[4:5], v[2:3] op_sel:[0,1]
	s_delay_alu instid0(VALU_DEP_1) | instskip(SKIP_1) | instid1(VALU_DEP_1)
	v_pk_fma_f32 v[10:11], v[4:5], v[0:1], v[8:9] op_sel:[0,0,1] op_sel_hi:[1,1,0] neg_lo:[0,0,1] neg_hi:[0,0,1]
	v_pk_fma_f32 v[4:5], v[4:5], v[0:1], v[8:9] op_sel:[0,0,1] op_sel_hi:[1,0,0]
	v_mov_b32_e32 v11, v5
	v_pk_mul_f32 v[4:5], v[6:7], v[2:3] op_sel:[0,1]
	s_delay_alu instid0(VALU_DEP_1) | instskip(SKIP_1) | instid1(VALU_DEP_1)
	v_pk_fma_f32 v[8:9], v[6:7], v[0:1], v[4:5] op_sel:[0,0,1] op_sel_hi:[1,1,0] neg_lo:[0,0,1] neg_hi:[0,0,1]
	v_pk_fma_f32 v[4:5], v[6:7], v[0:1], v[4:5] op_sel:[0,0,1] op_sel_hi:[1,0,0]
	v_mov_b32_e32 v9, v5
	ds_load_2addr_b64 v[4:7], v96 offset0:32 offset1:33
	v_pk_add_f32 v[126:127], v[126:127], v[10:11] neg_lo:[0,1] neg_hi:[0,1]
	v_pk_add_f32 v[122:123], v[122:123], v[8:9] neg_lo:[0,1] neg_hi:[0,1]
	s_wait_dscnt 0x0
	v_pk_mul_f32 v[8:9], v[4:5], v[2:3] op_sel:[0,1]
	s_delay_alu instid0(VALU_DEP_1) | instskip(SKIP_1) | instid1(VALU_DEP_1)
	v_pk_fma_f32 v[10:11], v[4:5], v[0:1], v[8:9] op_sel:[0,0,1] op_sel_hi:[1,1,0] neg_lo:[0,0,1] neg_hi:[0,0,1]
	v_pk_fma_f32 v[4:5], v[4:5], v[0:1], v[8:9] op_sel:[0,0,1] op_sel_hi:[1,0,0]
	v_mov_b32_e32 v11, v5
	v_pk_mul_f32 v[4:5], v[6:7], v[2:3] op_sel:[0,1]
	s_delay_alu instid0(VALU_DEP_1) | instskip(SKIP_1) | instid1(VALU_DEP_1)
	v_pk_fma_f32 v[8:9], v[6:7], v[0:1], v[4:5] op_sel:[0,0,1] op_sel_hi:[1,1,0] neg_lo:[0,0,1] neg_hi:[0,0,1]
	v_pk_fma_f32 v[4:5], v[6:7], v[0:1], v[4:5] op_sel:[0,0,1] op_sel_hi:[1,0,0]
	v_mov_b32_e32 v9, v5
	ds_load_2addr_b64 v[4:7], v96 offset0:34 offset1:35
	v_pk_add_f32 v[144:145], v[144:145], v[10:11] neg_lo:[0,1] neg_hi:[0,1]
	v_pk_add_f32 v[140:141], v[140:141], v[8:9] neg_lo:[0,1] neg_hi:[0,1]
	s_wait_dscnt 0x0
	v_dual_mul_f32 v8, v5, v3 :: v_dual_mul_f32 v10, v5, v0
	s_delay_alu instid0(VALU_DEP_1) | instskip(NEXT) | instid1(VALU_DEP_2)
	v_pk_fma_f32 v[8:9], v[4:5], v[108:109], v[8:9] op_sel_hi:[1,1,0] neg_lo:[0,0,1] neg_hi:[0,0,1]
	v_pk_fma_f32 v[4:5], v[4:5], v[108:109], v[10:11] op_sel:[1,0,0] op_sel_hi:[0,1,0]
	s_delay_alu instid0(VALU_DEP_1) | instskip(SKIP_1) | instid1(VALU_DEP_2)
	v_mov_b32_e32 v9, v5
	v_pk_mul_f32 v[4:5], v[6:7], v[2:3] op_sel:[0,1]
	v_pk_add_f32 v[142:143], v[142:143], v[8:9] neg_lo:[0,1] neg_hi:[0,1]
	s_delay_alu instid0(VALU_DEP_2) | instskip(SKIP_1) | instid1(VALU_DEP_1)
	v_pk_fma_f32 v[8:9], v[6:7], v[0:1], v[4:5] op_sel:[0,0,1] op_sel_hi:[1,1,0] neg_lo:[0,0,1] neg_hi:[0,0,1]
	v_pk_fma_f32 v[4:5], v[6:7], v[0:1], v[4:5] op_sel:[0,0,1] op_sel_hi:[1,0,0]
	v_mov_b32_e32 v9, v5
	ds_load_2addr_b64 v[4:7], v96 offset0:36 offset1:37
	v_pk_add_f32 v[138:139], v[138:139], v[8:9] neg_lo:[0,1] neg_hi:[0,1]
	s_wait_dscnt 0x0
	v_pk_mul_f32 v[8:9], v[4:5], v[2:3] op_sel:[0,1]
	s_delay_alu instid0(VALU_DEP_1) | instskip(SKIP_1) | instid1(VALU_DEP_1)
	v_pk_fma_f32 v[10:11], v[4:5], v[0:1], v[8:9] op_sel:[0,0,1] op_sel_hi:[1,1,0] neg_lo:[0,0,1] neg_hi:[0,0,1]
	v_pk_fma_f32 v[4:5], v[4:5], v[0:1], v[8:9] op_sel:[0,0,1] op_sel_hi:[1,0,0]
	v_mov_b32_e32 v11, v5
	v_pk_mul_f32 v[4:5], v[6:7], v[2:3] op_sel:[0,1]
	s_delay_alu instid0(VALU_DEP_2) | instskip(NEXT) | instid1(VALU_DEP_2)
	v_pk_add_f32 v[162:163], v[162:163], v[10:11] neg_lo:[0,1] neg_hi:[0,1]
	v_pk_fma_f32 v[8:9], v[6:7], v[0:1], v[4:5] op_sel:[0,0,1] op_sel_hi:[1,1,0] neg_lo:[0,0,1] neg_hi:[0,0,1]
	v_pk_fma_f32 v[4:5], v[6:7], v[0:1], v[4:5] op_sel:[0,0,1] op_sel_hi:[1,0,0]
	s_delay_alu instid0(VALU_DEP_1) | instskip(SKIP_4) | instid1(VALU_DEP_1)
	v_mov_b32_e32 v9, v5
	ds_load_2addr_b64 v[4:7], v96 offset0:38 offset1:39
	v_pk_add_f32 v[158:159], v[158:159], v[8:9] neg_lo:[0,1] neg_hi:[0,1]
	s_wait_dscnt 0x0
	v_pk_mul_f32 v[8:9], v[4:5], v[2:3] op_sel:[0,1]
	v_pk_fma_f32 v[10:11], v[4:5], v[0:1], v[8:9] op_sel:[0,0,1] op_sel_hi:[1,1,0] neg_lo:[0,0,1] neg_hi:[0,0,1]
	v_pk_fma_f32 v[4:5], v[4:5], v[0:1], v[8:9] op_sel:[0,0,1] op_sel_hi:[1,0,0]
	v_dual_mul_f32 v8, v7, v3 :: v_dual_mov_b32 v4, v7
	s_delay_alu instid0(VALU_DEP_2) | instskip(NEXT) | instid1(VALU_DEP_2)
	v_dual_mov_b32 v11, v5 :: v_dual_mov_b32 v5, v6
	v_pk_fma_f32 v[8:9], v[6:7], v[108:109], v[8:9] op_sel_hi:[1,1,0] neg_lo:[0,0,1] neg_hi:[0,0,1]
	v_mul_f32_e32 v6, v7, v0
	s_delay_alu instid0(VALU_DEP_3) | instskip(NEXT) | instid1(VALU_DEP_2)
	v_pk_add_f32 v[160:161], v[160:161], v[10:11] neg_lo:[0,1] neg_hi:[0,1]
	v_pk_fma_f32 v[4:5], v[4:5], v[108:109], v[6:7] op_sel_hi:[1,1,0]
	s_delay_alu instid0(VALU_DEP_1) | instskip(SKIP_4) | instid1(VALU_DEP_1)
	v_mov_b32_e32 v9, v5
	ds_load_2addr_b64 v[4:7], v96 offset0:40 offset1:41
	v_pk_add_f32 v[156:157], v[156:157], v[8:9] neg_lo:[0,1] neg_hi:[0,1]
	s_wait_dscnt 0x0
	v_pk_mul_f32 v[8:9], v[4:5], v[2:3] op_sel:[0,1]
	v_pk_fma_f32 v[10:11], v[4:5], v[0:1], v[8:9] op_sel:[0,0,1] op_sel_hi:[1,1,0] neg_lo:[0,0,1] neg_hi:[0,0,1]
	v_pk_fma_f32 v[4:5], v[4:5], v[0:1], v[8:9] op_sel:[0,0,1] op_sel_hi:[1,0,0]
	s_delay_alu instid0(VALU_DEP_1) | instskip(SKIP_1) | instid1(VALU_DEP_1)
	v_mov_b32_e32 v11, v5
	v_pk_mul_f32 v[4:5], v[6:7], v[2:3] op_sel:[0,1]
	v_pk_fma_f32 v[8:9], v[6:7], v[0:1], v[4:5] op_sel:[0,0,1] op_sel_hi:[1,1,0] neg_lo:[0,0,1] neg_hi:[0,0,1]
	v_pk_fma_f32 v[4:5], v[6:7], v[0:1], v[4:5] op_sel:[0,0,1] op_sel_hi:[1,0,0]
	s_delay_alu instid0(VALU_DEP_1)
	v_mov_b32_e32 v9, v5
	ds_load_2addr_b64 v[4:7], v96 offset0:42 offset1:43
	v_pk_add_f32 v[180:181], v[180:181], v[10:11] neg_lo:[0,1] neg_hi:[0,1]
	v_pk_add_f32 v[176:177], v[176:177], v[8:9] neg_lo:[0,1] neg_hi:[0,1]
	s_wait_dscnt 0x0
	v_pk_mul_f32 v[8:9], v[4:5], v[2:3] op_sel:[0,1]
	s_delay_alu instid0(VALU_DEP_1) | instskip(SKIP_1) | instid1(VALU_DEP_1)
	v_pk_fma_f32 v[10:11], v[4:5], v[0:1], v[8:9] op_sel:[0,0,1] op_sel_hi:[1,1,0] neg_lo:[0,0,1] neg_hi:[0,0,1]
	v_pk_fma_f32 v[4:5], v[4:5], v[0:1], v[8:9] op_sel:[0,0,1] op_sel_hi:[1,0,0]
	v_mov_b32_e32 v11, v5
	v_pk_mul_f32 v[4:5], v[6:7], v[2:3] op_sel:[0,1]
	s_delay_alu instid0(VALU_DEP_1) | instskip(SKIP_1) | instid1(VALU_DEP_1)
	v_pk_fma_f32 v[8:9], v[6:7], v[0:1], v[4:5] op_sel:[0,0,1] op_sel_hi:[1,1,0] neg_lo:[0,0,1] neg_hi:[0,0,1]
	v_pk_fma_f32 v[4:5], v[6:7], v[0:1], v[4:5] op_sel:[0,0,1] op_sel_hi:[1,0,0]
	v_mov_b32_e32 v9, v5
	ds_load_2addr_b64 v[4:7], v96 offset0:44 offset1:45
	v_pk_add_f32 v[178:179], v[178:179], v[10:11] neg_lo:[0,1] neg_hi:[0,1]
	v_pk_add_f32 v[174:175], v[174:175], v[8:9] neg_lo:[0,1] neg_hi:[0,1]
	s_wait_dscnt 0x0
	v_dual_mul_f32 v8, v5, v3 :: v_dual_mul_f32 v10, v5, v0
	s_delay_alu instid0(VALU_DEP_1) | instskip(NEXT) | instid1(VALU_DEP_2)
	v_pk_fma_f32 v[8:9], v[4:5], v[108:109], v[8:9] op_sel_hi:[1,1,0] neg_lo:[0,0,1] neg_hi:[0,0,1]
	v_pk_fma_f32 v[4:5], v[4:5], v[108:109], v[10:11] op_sel:[1,0,0] op_sel_hi:[0,1,0]
	s_delay_alu instid0(VALU_DEP_1) | instskip(SKIP_1) | instid1(VALU_DEP_2)
	v_mov_b32_e32 v9, v5
	v_pk_mul_f32 v[4:5], v[6:7], v[2:3] op_sel:[0,1]
	v_pk_add_f32 v[196:197], v[196:197], v[8:9] neg_lo:[0,1] neg_hi:[0,1]
	s_delay_alu instid0(VALU_DEP_2) | instskip(SKIP_1) | instid1(VALU_DEP_1)
	v_pk_fma_f32 v[8:9], v[6:7], v[0:1], v[4:5] op_sel:[0,0,1] op_sel_hi:[1,1,0] neg_lo:[0,0,1] neg_hi:[0,0,1]
	v_pk_fma_f32 v[4:5], v[6:7], v[0:1], v[4:5] op_sel:[0,0,1] op_sel_hi:[1,0,0]
	v_mov_b32_e32 v9, v5
	ds_load_2addr_b64 v[4:7], v96 offset0:46 offset1:47
	v_pk_add_f32 v[192:193], v[192:193], v[8:9] neg_lo:[0,1] neg_hi:[0,1]
	s_wait_dscnt 0x0
	v_pk_mul_f32 v[8:9], v[4:5], v[2:3] op_sel:[0,1]
	s_delay_alu instid0(VALU_DEP_1) | instskip(SKIP_1) | instid1(VALU_DEP_1)
	v_pk_fma_f32 v[10:11], v[4:5], v[0:1], v[8:9] op_sel:[0,0,1] op_sel_hi:[1,1,0] neg_lo:[0,0,1] neg_hi:[0,0,1]
	v_pk_fma_f32 v[4:5], v[4:5], v[0:1], v[8:9] op_sel:[0,0,1] op_sel_hi:[1,0,0]
	v_mov_b32_e32 v11, v5
	v_pk_mul_f32 v[4:5], v[6:7], v[2:3] op_sel:[0,1]
	s_delay_alu instid0(VALU_DEP_2) | instskip(NEXT) | instid1(VALU_DEP_2)
	v_pk_add_f32 v[194:195], v[194:195], v[10:11] neg_lo:[0,1] neg_hi:[0,1]
	v_pk_fma_f32 v[8:9], v[6:7], v[0:1], v[4:5] op_sel:[0,0,1] op_sel_hi:[1,1,0] neg_lo:[0,0,1] neg_hi:[0,0,1]
	v_pk_fma_f32 v[4:5], v[6:7], v[0:1], v[4:5] op_sel:[0,0,1] op_sel_hi:[1,0,0]
	s_delay_alu instid0(VALU_DEP_1)
	v_mov_b32_e32 v9, v5
	ds_load_2addr_b64 v[4:7], v96 offset0:48 offset1:49
	v_pk_add_f32 v[190:191], v[190:191], v[8:9] neg_lo:[0,1] neg_hi:[0,1]
	s_wait_dscnt 0x0
	v_pk_mul_f32 v[8:9], v[4:5], v[2:3] op_sel:[0,1]
	v_mul_f32_e32 v2, v7, v3
	s_delay_alu instid0(VALU_DEP_2) | instskip(SKIP_2) | instid1(VALU_DEP_4)
	v_pk_fma_f32 v[10:11], v[4:5], v[0:1], v[8:9] op_sel:[0,0,1] op_sel_hi:[1,1,0] neg_lo:[0,0,1] neg_hi:[0,0,1]
	v_pk_fma_f32 v[4:5], v[4:5], v[0:1], v[8:9] op_sel:[0,0,1] op_sel_hi:[1,0,0]
	v_dual_mov_b32 v4, v7 :: v_dual_mul_f32 v0, v7, v0
	v_pk_fma_f32 v[2:3], v[6:7], v[108:109], v[2:3] op_sel_hi:[1,1,0] neg_lo:[0,0,1] neg_hi:[0,0,1]
	s_delay_alu instid0(VALU_DEP_3) | instskip(NEXT) | instid1(VALU_DEP_1)
	v_dual_mov_b32 v11, v5 :: v_dual_mov_b32 v5, v6
	v_pk_add_f32 v[198:199], v[198:199], v[10:11] neg_lo:[0,1] neg_hi:[0,1]
	s_delay_alu instid0(VALU_DEP_2) | instskip(NEXT) | instid1(VALU_DEP_1)
	v_pk_fma_f32 v[0:1], v[4:5], v[108:109], v[0:1] op_sel_hi:[1,1,0]
	v_mov_b32_e32 v3, v1
	s_delay_alu instid0(VALU_DEP_1)
	v_pk_add_f32 v[200:201], v[200:201], v[2:3] neg_lo:[0,1] neg_hi:[0,1]
.LBB99_235:
	s_wait_xcnt 0x0
	s_or_b32 exec_lo, exec_lo, s1
	s_delay_alu instid0(SALU_CYCLE_1)
	s_mov_b32 s2, exec_lo
	s_wait_storecnt 0x0
	s_barrier_signal -1
	s_barrier_wait -1
	v_cmpx_eq_u32_e32 26, v86
	s_cbranch_execz .LBB99_242
; %bb.236:
	ds_store_b64 v87, v[110:111]
	ds_store_2addr_b64 v96, v[106:107], v[128:129] offset0:27 offset1:28
	ds_store_2addr_b64 v96, v[124:125], v[126:127] offset0:29 offset1:30
	;; [unrolled: 1-line block ×11, first 2 shown]
	ds_store_b64 v96, v[200:201] offset:392
	ds_load_b64 v[0:1], v87
	s_wait_dscnt 0x0
	v_cmp_neq_f32_e32 vcc_lo, 0, v0
	v_cmp_neq_f32_e64 s1, 0, v1
	s_or_b32 s1, vcc_lo, s1
	s_delay_alu instid0(SALU_CYCLE_1)
	s_and_b32 exec_lo, exec_lo, s1
	s_cbranch_execz .LBB99_242
; %bb.237:
	v_cmp_ngt_f32_e64 s1, |v0|, |v1|
                                        ; implicit-def: $vgpr2_vgpr3
	s_and_saveexec_b32 s4, s1
	s_delay_alu instid0(SALU_CYCLE_1)
	s_xor_b32 s1, exec_lo, s4
	s_cbranch_execz .LBB99_239
; %bb.238:
	v_div_scale_f32 v2, null, v1, v1, v0
	v_div_scale_f32 v5, vcc_lo, v0, v1, v0
	s_delay_alu instid0(VALU_DEP_2) | instskip(SKIP_1) | instid1(TRANS32_DEP_1)
	v_rcp_f32_e32 v3, v2
	v_nop
	v_fma_f32 v4, -v2, v3, 1.0
	s_delay_alu instid0(VALU_DEP_1) | instskip(NEXT) | instid1(VALU_DEP_1)
	v_fmac_f32_e32 v3, v4, v3
	v_mul_f32_e32 v4, v5, v3
	s_delay_alu instid0(VALU_DEP_1) | instskip(NEXT) | instid1(VALU_DEP_1)
	v_fma_f32 v6, -v2, v4, v5
	v_fmac_f32_e32 v4, v6, v3
	s_delay_alu instid0(VALU_DEP_1) | instskip(NEXT) | instid1(VALU_DEP_1)
	v_fma_f32 v2, -v2, v4, v5
	v_div_fmas_f32 v2, v2, v3, v4
	s_delay_alu instid0(VALU_DEP_1) | instskip(NEXT) | instid1(VALU_DEP_1)
	v_div_fixup_f32 v2, v2, v1, v0
	v_fmac_f32_e32 v1, v0, v2
	s_delay_alu instid0(VALU_DEP_1) | instskip(SKIP_1) | instid1(VALU_DEP_2)
	v_div_scale_f32 v0, null, v1, v1, 1.0
	v_div_scale_f32 v5, vcc_lo, 1.0, v1, 1.0
	v_rcp_f32_e32 v3, v0
	v_nop
	s_delay_alu instid0(TRANS32_DEP_1) | instskip(NEXT) | instid1(VALU_DEP_1)
	v_fma_f32 v4, -v0, v3, 1.0
	v_fmac_f32_e32 v3, v4, v3
	s_delay_alu instid0(VALU_DEP_1) | instskip(NEXT) | instid1(VALU_DEP_1)
	v_mul_f32_e32 v4, v5, v3
	v_fma_f32 v6, -v0, v4, v5
	s_delay_alu instid0(VALU_DEP_1) | instskip(NEXT) | instid1(VALU_DEP_1)
	v_fmac_f32_e32 v4, v6, v3
	v_fma_f32 v0, -v0, v4, v5
	s_delay_alu instid0(VALU_DEP_1) | instskip(NEXT) | instid1(VALU_DEP_1)
	v_div_fmas_f32 v0, v0, v3, v4
	v_div_fixup_f32 v0, v0, v1, 1.0
	s_delay_alu instid0(VALU_DEP_1)
	v_mul_f32_e32 v2, v2, v0
	v_xor_b32_e32 v3, 0x80000000, v0
                                        ; implicit-def: $vgpr0_vgpr1
.LBB99_239:
	s_and_not1_saveexec_b32 s1, s1
	s_cbranch_execz .LBB99_241
; %bb.240:
	v_div_scale_f32 v2, null, v0, v0, v1
	v_div_scale_f32 v5, vcc_lo, v1, v0, v1
	s_delay_alu instid0(VALU_DEP_2) | instskip(SKIP_1) | instid1(TRANS32_DEP_1)
	v_rcp_f32_e32 v3, v2
	v_nop
	v_fma_f32 v4, -v2, v3, 1.0
	s_delay_alu instid0(VALU_DEP_1) | instskip(NEXT) | instid1(VALU_DEP_1)
	v_fmac_f32_e32 v3, v4, v3
	v_mul_f32_e32 v4, v5, v3
	s_delay_alu instid0(VALU_DEP_1) | instskip(NEXT) | instid1(VALU_DEP_1)
	v_fma_f32 v6, -v2, v4, v5
	v_fmac_f32_e32 v4, v6, v3
	s_delay_alu instid0(VALU_DEP_1) | instskip(NEXT) | instid1(VALU_DEP_1)
	v_fma_f32 v2, -v2, v4, v5
	v_div_fmas_f32 v2, v2, v3, v4
	s_delay_alu instid0(VALU_DEP_1) | instskip(NEXT) | instid1(VALU_DEP_1)
	v_div_fixup_f32 v3, v2, v0, v1
	v_fmac_f32_e32 v0, v1, v3
	s_delay_alu instid0(VALU_DEP_1) | instskip(NEXT) | instid1(VALU_DEP_1)
	v_div_scale_f32 v1, null, v0, v0, 1.0
	v_rcp_f32_e32 v2, v1
	v_nop
	s_delay_alu instid0(TRANS32_DEP_1) | instskip(NEXT) | instid1(VALU_DEP_1)
	v_fma_f32 v4, -v1, v2, 1.0
	v_fmac_f32_e32 v2, v4, v2
	v_div_scale_f32 v4, vcc_lo, 1.0, v0, 1.0
	s_delay_alu instid0(VALU_DEP_1) | instskip(NEXT) | instid1(VALU_DEP_1)
	v_mul_f32_e32 v5, v4, v2
	v_fma_f32 v6, -v1, v5, v4
	s_delay_alu instid0(VALU_DEP_1) | instskip(NEXT) | instid1(VALU_DEP_1)
	v_fmac_f32_e32 v5, v6, v2
	v_fma_f32 v1, -v1, v5, v4
	s_delay_alu instid0(VALU_DEP_1) | instskip(NEXT) | instid1(VALU_DEP_1)
	v_div_fmas_f32 v1, v1, v2, v5
	v_div_fixup_f32 v2, v1, v0, 1.0
	s_delay_alu instid0(VALU_DEP_1)
	v_mul_f32_e64 v3, v3, -v2
.LBB99_241:
	s_or_b32 exec_lo, exec_lo, s1
	ds_store_b64 v87, v[2:3]
.LBB99_242:
	s_or_b32 exec_lo, exec_lo, s2
	s_wait_dscnt 0x0
	s_barrier_signal -1
	s_barrier_wait -1
	ds_load_b64 v[0:1], v87
	s_mov_b32 s1, exec_lo
	s_wait_dscnt 0x0
	scratch_store_b64 off, v[0:1], off offset:216 ; 8-byte Folded Spill
	s_wait_xcnt 0x0
	v_cmpx_lt_u32_e32 26, v86
	s_cbranch_execz .LBB99_244
; %bb.243:
	scratch_load_b64 v[4:5], off, off offset:216 ; 8-byte Folded Reload
	s_wait_loadcnt 0x0
	v_pk_mul_f32 v[2:3], v[4:5], v[110:111] op_sel:[1,1] op_sel_hi:[0,1]
	s_delay_alu instid0(VALU_DEP_1)
	v_pk_fma_f32 v[0:1], v[4:5], v[110:111], v[2:3] op_sel_hi:[1,0,1] neg_lo:[0,0,1] neg_hi:[0,0,1]
	v_pk_fma_f32 v[2:3], v[4:5], v[110:111], v[2:3] op_sel_hi:[1,0,1]
	ds_load_2addr_b64 v[4:7], v96 offset0:27 offset1:28
	v_dual_mov_b32 v110, v0 :: v_dual_mov_b32 v111, v3
	s_wait_dscnt 0x0
	v_pk_mul_f32 v[8:9], v[4:5], v[2:3] op_sel:[0,1]
	s_delay_alu instid0(VALU_DEP_1) | instskip(SKIP_1) | instid1(VALU_DEP_1)
	v_pk_fma_f32 v[10:11], v[4:5], v[0:1], v[8:9] op_sel:[0,0,1] op_sel_hi:[1,1,0] neg_lo:[0,0,1] neg_hi:[0,0,1]
	v_pk_fma_f32 v[4:5], v[4:5], v[0:1], v[8:9] op_sel:[0,0,1] op_sel_hi:[1,0,0]
	v_mov_b32_e32 v11, v5
	v_pk_mul_f32 v[4:5], v[6:7], v[2:3] op_sel:[0,1]
	s_delay_alu instid0(VALU_DEP_1) | instskip(SKIP_1) | instid1(VALU_DEP_1)
	v_pk_fma_f32 v[8:9], v[6:7], v[0:1], v[4:5] op_sel:[0,0,1] op_sel_hi:[1,1,0] neg_lo:[0,0,1] neg_hi:[0,0,1]
	v_pk_fma_f32 v[4:5], v[6:7], v[0:1], v[4:5] op_sel:[0,0,1] op_sel_hi:[1,0,0]
	v_mov_b32_e32 v9, v5
	ds_load_2addr_b64 v[4:7], v96 offset0:29 offset1:30
	v_pk_add_f32 v[106:107], v[106:107], v[10:11] neg_lo:[0,1] neg_hi:[0,1]
	v_pk_add_f32 v[128:129], v[128:129], v[8:9] neg_lo:[0,1] neg_hi:[0,1]
	s_wait_dscnt 0x0
	v_pk_mul_f32 v[8:9], v[4:5], v[2:3] op_sel:[0,1]
	s_delay_alu instid0(VALU_DEP_1) | instskip(SKIP_2) | instid1(VALU_DEP_2)
	v_pk_fma_f32 v[10:11], v[4:5], v[0:1], v[8:9] op_sel:[0,0,1] op_sel_hi:[1,1,0] neg_lo:[0,0,1] neg_hi:[0,0,1]
	v_pk_fma_f32 v[4:5], v[4:5], v[0:1], v[8:9] op_sel:[0,0,1] op_sel_hi:[1,0,0]
	v_dual_mul_f32 v8, v7, v3 :: v_dual_mov_b32 v4, v7
	v_dual_mov_b32 v11, v5 :: v_dual_mov_b32 v5, v6
	s_delay_alu instid0(VALU_DEP_2) | instskip(SKIP_1) | instid1(VALU_DEP_3)
	v_pk_fma_f32 v[8:9], v[6:7], v[110:111], v[8:9] op_sel_hi:[1,1,0] neg_lo:[0,0,1] neg_hi:[0,0,1]
	v_mul_f32_e32 v6, v7, v0
	v_pk_add_f32 v[124:125], v[124:125], v[10:11] neg_lo:[0,1] neg_hi:[0,1]
	s_delay_alu instid0(VALU_DEP_2) | instskip(NEXT) | instid1(VALU_DEP_1)
	v_pk_fma_f32 v[4:5], v[4:5], v[110:111], v[6:7] op_sel_hi:[1,1,0]
	v_mov_b32_e32 v9, v5
	ds_load_2addr_b64 v[4:7], v96 offset0:31 offset1:32
	v_pk_add_f32 v[126:127], v[126:127], v[8:9] neg_lo:[0,1] neg_hi:[0,1]
	s_wait_dscnt 0x0
	v_pk_mul_f32 v[8:9], v[4:5], v[2:3] op_sel:[0,1]
	s_delay_alu instid0(VALU_DEP_1) | instskip(SKIP_1) | instid1(VALU_DEP_1)
	v_pk_fma_f32 v[10:11], v[4:5], v[0:1], v[8:9] op_sel:[0,0,1] op_sel_hi:[1,1,0] neg_lo:[0,0,1] neg_hi:[0,0,1]
	v_pk_fma_f32 v[4:5], v[4:5], v[0:1], v[8:9] op_sel:[0,0,1] op_sel_hi:[1,0,0]
	v_mov_b32_e32 v11, v5
	v_pk_mul_f32 v[4:5], v[6:7], v[2:3] op_sel:[0,1]
	s_delay_alu instid0(VALU_DEP_1) | instskip(SKIP_1) | instid1(VALU_DEP_1)
	v_pk_fma_f32 v[8:9], v[6:7], v[0:1], v[4:5] op_sel:[0,0,1] op_sel_hi:[1,1,0] neg_lo:[0,0,1] neg_hi:[0,0,1]
	v_pk_fma_f32 v[4:5], v[6:7], v[0:1], v[4:5] op_sel:[0,0,1] op_sel_hi:[1,0,0]
	v_mov_b32_e32 v9, v5
	ds_load_2addr_b64 v[4:7], v96 offset0:33 offset1:34
	v_pk_add_f32 v[122:123], v[122:123], v[10:11] neg_lo:[0,1] neg_hi:[0,1]
	v_pk_add_f32 v[144:145], v[144:145], v[8:9] neg_lo:[0,1] neg_hi:[0,1]
	s_wait_dscnt 0x0
	v_pk_mul_f32 v[8:9], v[4:5], v[2:3] op_sel:[0,1]
	s_delay_alu instid0(VALU_DEP_1) | instskip(SKIP_1) | instid1(VALU_DEP_1)
	v_pk_fma_f32 v[10:11], v[4:5], v[0:1], v[8:9] op_sel:[0,0,1] op_sel_hi:[1,1,0] neg_lo:[0,0,1] neg_hi:[0,0,1]
	v_pk_fma_f32 v[4:5], v[4:5], v[0:1], v[8:9] op_sel:[0,0,1] op_sel_hi:[1,0,0]
	v_mov_b32_e32 v11, v5
	v_pk_mul_f32 v[4:5], v[6:7], v[2:3] op_sel:[0,1]
	s_delay_alu instid0(VALU_DEP_1) | instskip(SKIP_1) | instid1(VALU_DEP_1)
	v_pk_fma_f32 v[8:9], v[6:7], v[0:1], v[4:5] op_sel:[0,0,1] op_sel_hi:[1,1,0] neg_lo:[0,0,1] neg_hi:[0,0,1]
	v_pk_fma_f32 v[4:5], v[6:7], v[0:1], v[4:5] op_sel:[0,0,1] op_sel_hi:[1,0,0]
	v_mov_b32_e32 v9, v5
	ds_load_2addr_b64 v[4:7], v96 offset0:35 offset1:36
	v_pk_add_f32 v[140:141], v[140:141], v[10:11] neg_lo:[0,1] neg_hi:[0,1]
	v_pk_add_f32 v[142:143], v[142:143], v[8:9] neg_lo:[0,1] neg_hi:[0,1]
	s_wait_dscnt 0x0
	v_dual_mul_f32 v8, v5, v3 :: v_dual_mul_f32 v10, v5, v0
	s_delay_alu instid0(VALU_DEP_1) | instskip(NEXT) | instid1(VALU_DEP_2)
	v_pk_fma_f32 v[8:9], v[4:5], v[110:111], v[8:9] op_sel_hi:[1,1,0] neg_lo:[0,0,1] neg_hi:[0,0,1]
	v_pk_fma_f32 v[4:5], v[4:5], v[110:111], v[10:11] op_sel:[1,0,0] op_sel_hi:[0,1,0]
	s_delay_alu instid0(VALU_DEP_1) | instskip(SKIP_1) | instid1(VALU_DEP_2)
	v_mov_b32_e32 v9, v5
	v_pk_mul_f32 v[4:5], v[6:7], v[2:3] op_sel:[0,1]
	v_pk_add_f32 v[138:139], v[138:139], v[8:9] neg_lo:[0,1] neg_hi:[0,1]
	s_delay_alu instid0(VALU_DEP_2) | instskip(SKIP_1) | instid1(VALU_DEP_1)
	v_pk_fma_f32 v[8:9], v[6:7], v[0:1], v[4:5] op_sel:[0,0,1] op_sel_hi:[1,1,0] neg_lo:[0,0,1] neg_hi:[0,0,1]
	v_pk_fma_f32 v[4:5], v[6:7], v[0:1], v[4:5] op_sel:[0,0,1] op_sel_hi:[1,0,0]
	v_mov_b32_e32 v9, v5
	ds_load_2addr_b64 v[4:7], v96 offset0:37 offset1:38
	v_pk_add_f32 v[162:163], v[162:163], v[8:9] neg_lo:[0,1] neg_hi:[0,1]
	s_wait_dscnt 0x0
	v_pk_mul_f32 v[8:9], v[4:5], v[2:3] op_sel:[0,1]
	s_delay_alu instid0(VALU_DEP_1) | instskip(SKIP_1) | instid1(VALU_DEP_1)
	v_pk_fma_f32 v[10:11], v[4:5], v[0:1], v[8:9] op_sel:[0,0,1] op_sel_hi:[1,1,0] neg_lo:[0,0,1] neg_hi:[0,0,1]
	v_pk_fma_f32 v[4:5], v[4:5], v[0:1], v[8:9] op_sel:[0,0,1] op_sel_hi:[1,0,0]
	v_mov_b32_e32 v11, v5
	v_pk_mul_f32 v[4:5], v[6:7], v[2:3] op_sel:[0,1]
	s_delay_alu instid0(VALU_DEP_2) | instskip(NEXT) | instid1(VALU_DEP_2)
	v_pk_add_f32 v[158:159], v[158:159], v[10:11] neg_lo:[0,1] neg_hi:[0,1]
	v_pk_fma_f32 v[8:9], v[6:7], v[0:1], v[4:5] op_sel:[0,0,1] op_sel_hi:[1,1,0] neg_lo:[0,0,1] neg_hi:[0,0,1]
	v_pk_fma_f32 v[4:5], v[6:7], v[0:1], v[4:5] op_sel:[0,0,1] op_sel_hi:[1,0,0]
	s_delay_alu instid0(VALU_DEP_1) | instskip(SKIP_4) | instid1(VALU_DEP_1)
	v_mov_b32_e32 v9, v5
	ds_load_2addr_b64 v[4:7], v96 offset0:39 offset1:40
	v_pk_add_f32 v[160:161], v[160:161], v[8:9] neg_lo:[0,1] neg_hi:[0,1]
	s_wait_dscnt 0x0
	v_pk_mul_f32 v[8:9], v[4:5], v[2:3] op_sel:[0,1]
	v_pk_fma_f32 v[10:11], v[4:5], v[0:1], v[8:9] op_sel:[0,0,1] op_sel_hi:[1,1,0] neg_lo:[0,0,1] neg_hi:[0,0,1]
	v_pk_fma_f32 v[4:5], v[4:5], v[0:1], v[8:9] op_sel:[0,0,1] op_sel_hi:[1,0,0]
	v_dual_mul_f32 v8, v7, v3 :: v_dual_mov_b32 v4, v7
	s_delay_alu instid0(VALU_DEP_2) | instskip(NEXT) | instid1(VALU_DEP_2)
	v_dual_mov_b32 v11, v5 :: v_dual_mov_b32 v5, v6
	v_pk_fma_f32 v[8:9], v[6:7], v[110:111], v[8:9] op_sel_hi:[1,1,0] neg_lo:[0,0,1] neg_hi:[0,0,1]
	v_mul_f32_e32 v6, v7, v0
	s_delay_alu instid0(VALU_DEP_3) | instskip(NEXT) | instid1(VALU_DEP_2)
	v_pk_add_f32 v[156:157], v[156:157], v[10:11] neg_lo:[0,1] neg_hi:[0,1]
	v_pk_fma_f32 v[4:5], v[4:5], v[110:111], v[6:7] op_sel_hi:[1,1,0]
	s_delay_alu instid0(VALU_DEP_1) | instskip(SKIP_4) | instid1(VALU_DEP_1)
	v_mov_b32_e32 v9, v5
	ds_load_2addr_b64 v[4:7], v96 offset0:41 offset1:42
	v_pk_add_f32 v[180:181], v[180:181], v[8:9] neg_lo:[0,1] neg_hi:[0,1]
	s_wait_dscnt 0x0
	v_pk_mul_f32 v[8:9], v[4:5], v[2:3] op_sel:[0,1]
	v_pk_fma_f32 v[10:11], v[4:5], v[0:1], v[8:9] op_sel:[0,0,1] op_sel_hi:[1,1,0] neg_lo:[0,0,1] neg_hi:[0,0,1]
	v_pk_fma_f32 v[4:5], v[4:5], v[0:1], v[8:9] op_sel:[0,0,1] op_sel_hi:[1,0,0]
	s_delay_alu instid0(VALU_DEP_1) | instskip(SKIP_1) | instid1(VALU_DEP_1)
	v_mov_b32_e32 v11, v5
	v_pk_mul_f32 v[4:5], v[6:7], v[2:3] op_sel:[0,1]
	v_pk_fma_f32 v[8:9], v[6:7], v[0:1], v[4:5] op_sel:[0,0,1] op_sel_hi:[1,1,0] neg_lo:[0,0,1] neg_hi:[0,0,1]
	v_pk_fma_f32 v[4:5], v[6:7], v[0:1], v[4:5] op_sel:[0,0,1] op_sel_hi:[1,0,0]
	s_delay_alu instid0(VALU_DEP_1)
	v_mov_b32_e32 v9, v5
	ds_load_2addr_b64 v[4:7], v96 offset0:43 offset1:44
	v_pk_add_f32 v[176:177], v[176:177], v[10:11] neg_lo:[0,1] neg_hi:[0,1]
	v_pk_add_f32 v[178:179], v[178:179], v[8:9] neg_lo:[0,1] neg_hi:[0,1]
	s_wait_dscnt 0x0
	v_pk_mul_f32 v[8:9], v[4:5], v[2:3] op_sel:[0,1]
	s_delay_alu instid0(VALU_DEP_1) | instskip(SKIP_1) | instid1(VALU_DEP_1)
	v_pk_fma_f32 v[10:11], v[4:5], v[0:1], v[8:9] op_sel:[0,0,1] op_sel_hi:[1,1,0] neg_lo:[0,0,1] neg_hi:[0,0,1]
	v_pk_fma_f32 v[4:5], v[4:5], v[0:1], v[8:9] op_sel:[0,0,1] op_sel_hi:[1,0,0]
	v_mov_b32_e32 v11, v5
	v_pk_mul_f32 v[4:5], v[6:7], v[2:3] op_sel:[0,1]
	s_delay_alu instid0(VALU_DEP_1) | instskip(SKIP_1) | instid1(VALU_DEP_1)
	v_pk_fma_f32 v[8:9], v[6:7], v[0:1], v[4:5] op_sel:[0,0,1] op_sel_hi:[1,1,0] neg_lo:[0,0,1] neg_hi:[0,0,1]
	v_pk_fma_f32 v[4:5], v[6:7], v[0:1], v[4:5] op_sel:[0,0,1] op_sel_hi:[1,0,0]
	v_mov_b32_e32 v9, v5
	ds_load_2addr_b64 v[4:7], v96 offset0:45 offset1:46
	v_pk_add_f32 v[174:175], v[174:175], v[10:11] neg_lo:[0,1] neg_hi:[0,1]
	v_pk_add_f32 v[196:197], v[196:197], v[8:9] neg_lo:[0,1] neg_hi:[0,1]
	s_wait_dscnt 0x0
	v_dual_mul_f32 v8, v5, v3 :: v_dual_mul_f32 v10, v5, v0
	s_delay_alu instid0(VALU_DEP_1) | instskip(NEXT) | instid1(VALU_DEP_2)
	v_pk_fma_f32 v[8:9], v[4:5], v[110:111], v[8:9] op_sel_hi:[1,1,0] neg_lo:[0,0,1] neg_hi:[0,0,1]
	v_pk_fma_f32 v[4:5], v[4:5], v[110:111], v[10:11] op_sel:[1,0,0] op_sel_hi:[0,1,0]
	s_delay_alu instid0(VALU_DEP_1) | instskip(SKIP_1) | instid1(VALU_DEP_2)
	v_mov_b32_e32 v9, v5
	v_pk_mul_f32 v[4:5], v[6:7], v[2:3] op_sel:[0,1]
	v_pk_add_f32 v[192:193], v[192:193], v[8:9] neg_lo:[0,1] neg_hi:[0,1]
	s_delay_alu instid0(VALU_DEP_2) | instskip(SKIP_1) | instid1(VALU_DEP_1)
	v_pk_fma_f32 v[8:9], v[6:7], v[0:1], v[4:5] op_sel:[0,0,1] op_sel_hi:[1,1,0] neg_lo:[0,0,1] neg_hi:[0,0,1]
	v_pk_fma_f32 v[4:5], v[6:7], v[0:1], v[4:5] op_sel:[0,0,1] op_sel_hi:[1,0,0]
	v_mov_b32_e32 v9, v5
	ds_load_2addr_b64 v[4:7], v96 offset0:47 offset1:48
	v_pk_add_f32 v[194:195], v[194:195], v[8:9] neg_lo:[0,1] neg_hi:[0,1]
	s_wait_dscnt 0x0
	v_pk_mul_f32 v[8:9], v[4:5], v[2:3] op_sel:[0,1]
	s_delay_alu instid0(VALU_DEP_1) | instskip(SKIP_1) | instid1(VALU_DEP_1)
	v_pk_fma_f32 v[10:11], v[4:5], v[0:1], v[8:9] op_sel:[0,0,1] op_sel_hi:[1,1,0] neg_lo:[0,0,1] neg_hi:[0,0,1]
	v_pk_fma_f32 v[4:5], v[4:5], v[0:1], v[8:9] op_sel:[0,0,1] op_sel_hi:[1,0,0]
	v_mov_b32_e32 v11, v5
	v_pk_mul_f32 v[4:5], v[6:7], v[2:3] op_sel:[0,1]
	s_delay_alu instid0(VALU_DEP_2) | instskip(NEXT) | instid1(VALU_DEP_2)
	v_pk_add_f32 v[190:191], v[190:191], v[10:11] neg_lo:[0,1] neg_hi:[0,1]
	v_pk_fma_f32 v[8:9], v[6:7], v[0:1], v[4:5] op_sel:[0,0,1] op_sel_hi:[1,1,0] neg_lo:[0,0,1] neg_hi:[0,0,1]
	v_pk_fma_f32 v[4:5], v[6:7], v[0:1], v[4:5] op_sel:[0,0,1] op_sel_hi:[1,0,0]
	s_delay_alu instid0(VALU_DEP_1) | instskip(SKIP_4) | instid1(VALU_DEP_1)
	v_mov_b32_e32 v9, v5
	ds_load_b64 v[4:5], v96 offset:392
	v_pk_add_f32 v[198:199], v[198:199], v[8:9] neg_lo:[0,1] neg_hi:[0,1]
	s_wait_dscnt 0x0
	v_pk_mul_f32 v[2:3], v[4:5], v[2:3] op_sel:[0,1]
	v_pk_fma_f32 v[6:7], v[4:5], v[0:1], v[2:3] op_sel:[0,0,1] op_sel_hi:[1,1,0] neg_lo:[0,0,1] neg_hi:[0,0,1]
	v_pk_fma_f32 v[0:1], v[4:5], v[0:1], v[2:3] op_sel:[0,0,1] op_sel_hi:[1,0,0]
	s_delay_alu instid0(VALU_DEP_1) | instskip(NEXT) | instid1(VALU_DEP_1)
	v_mov_b32_e32 v7, v1
	v_pk_add_f32 v[200:201], v[200:201], v[6:7] neg_lo:[0,1] neg_hi:[0,1]
.LBB99_244:
	s_wait_xcnt 0x0
	s_or_b32 exec_lo, exec_lo, s1
	s_delay_alu instid0(SALU_CYCLE_1)
	s_mov_b32 s2, exec_lo
	s_wait_storecnt 0x0
	s_barrier_signal -1
	s_barrier_wait -1
	v_cmpx_eq_u32_e32 27, v86
	s_cbranch_execz .LBB99_251
; %bb.245:
	v_dual_mov_b32 v0, v128 :: v_dual_mov_b32 v1, v129
	v_dual_mov_b32 v2, v124 :: v_dual_mov_b32 v3, v125
	ds_store_b64 v87, v[106:107]
	ds_store_2addr_b64 v96, v[0:1], v[2:3] offset0:28 offset1:29
	v_dual_mov_b32 v0, v126 :: v_dual_mov_b32 v1, v127
	v_dual_mov_b32 v2, v122 :: v_dual_mov_b32 v3, v123
	ds_store_2addr_b64 v96, v[0:1], v[2:3] offset0:30 offset1:31
	v_dual_mov_b32 v0, v144 :: v_dual_mov_b32 v1, v145
	v_dual_mov_b32 v2, v140 :: v_dual_mov_b32 v3, v141
	;; [unrolled: 3-line block ×9, first 2 shown]
	ds_store_2addr_b64 v96, v[0:1], v[2:3] offset0:46 offset1:47
	v_dual_mov_b32 v0, v198 :: v_dual_mov_b32 v1, v199
	ds_store_2addr_b64 v96, v[0:1], v[200:201] offset0:48 offset1:49
	ds_load_b64 v[0:1], v87
	s_wait_dscnt 0x0
	v_cmp_neq_f32_e32 vcc_lo, 0, v0
	v_cmp_neq_f32_e64 s1, 0, v1
	s_or_b32 s1, vcc_lo, s1
	s_delay_alu instid0(SALU_CYCLE_1)
	s_and_b32 exec_lo, exec_lo, s1
	s_cbranch_execz .LBB99_251
; %bb.246:
	v_cmp_ngt_f32_e64 s1, |v0|, |v1|
                                        ; implicit-def: $vgpr2_vgpr3
	s_and_saveexec_b32 s4, s1
	s_delay_alu instid0(SALU_CYCLE_1)
	s_xor_b32 s1, exec_lo, s4
	s_cbranch_execz .LBB99_248
; %bb.247:
	v_div_scale_f32 v2, null, v1, v1, v0
	v_div_scale_f32 v5, vcc_lo, v0, v1, v0
	s_delay_alu instid0(VALU_DEP_2) | instskip(SKIP_1) | instid1(TRANS32_DEP_1)
	v_rcp_f32_e32 v3, v2
	v_nop
	v_fma_f32 v4, -v2, v3, 1.0
	s_delay_alu instid0(VALU_DEP_1) | instskip(NEXT) | instid1(VALU_DEP_1)
	v_fmac_f32_e32 v3, v4, v3
	v_mul_f32_e32 v4, v5, v3
	s_delay_alu instid0(VALU_DEP_1) | instskip(NEXT) | instid1(VALU_DEP_1)
	v_fma_f32 v6, -v2, v4, v5
	v_fmac_f32_e32 v4, v6, v3
	s_delay_alu instid0(VALU_DEP_1) | instskip(NEXT) | instid1(VALU_DEP_1)
	v_fma_f32 v2, -v2, v4, v5
	v_div_fmas_f32 v2, v2, v3, v4
	s_delay_alu instid0(VALU_DEP_1) | instskip(NEXT) | instid1(VALU_DEP_1)
	v_div_fixup_f32 v2, v2, v1, v0
	v_fmac_f32_e32 v1, v0, v2
	s_delay_alu instid0(VALU_DEP_1) | instskip(SKIP_1) | instid1(VALU_DEP_2)
	v_div_scale_f32 v0, null, v1, v1, 1.0
	v_div_scale_f32 v5, vcc_lo, 1.0, v1, 1.0
	v_rcp_f32_e32 v3, v0
	v_nop
	s_delay_alu instid0(TRANS32_DEP_1) | instskip(NEXT) | instid1(VALU_DEP_1)
	v_fma_f32 v4, -v0, v3, 1.0
	v_fmac_f32_e32 v3, v4, v3
	s_delay_alu instid0(VALU_DEP_1) | instskip(NEXT) | instid1(VALU_DEP_1)
	v_mul_f32_e32 v4, v5, v3
	v_fma_f32 v6, -v0, v4, v5
	s_delay_alu instid0(VALU_DEP_1) | instskip(NEXT) | instid1(VALU_DEP_1)
	v_fmac_f32_e32 v4, v6, v3
	v_fma_f32 v0, -v0, v4, v5
	s_delay_alu instid0(VALU_DEP_1) | instskip(NEXT) | instid1(VALU_DEP_1)
	v_div_fmas_f32 v0, v0, v3, v4
	v_div_fixup_f32 v0, v0, v1, 1.0
	s_delay_alu instid0(VALU_DEP_1)
	v_mul_f32_e32 v2, v2, v0
	v_xor_b32_e32 v3, 0x80000000, v0
                                        ; implicit-def: $vgpr0_vgpr1
.LBB99_248:
	s_and_not1_saveexec_b32 s1, s1
	s_cbranch_execz .LBB99_250
; %bb.249:
	v_div_scale_f32 v2, null, v0, v0, v1
	v_div_scale_f32 v5, vcc_lo, v1, v0, v1
	s_delay_alu instid0(VALU_DEP_2) | instskip(SKIP_1) | instid1(TRANS32_DEP_1)
	v_rcp_f32_e32 v3, v2
	v_nop
	v_fma_f32 v4, -v2, v3, 1.0
	s_delay_alu instid0(VALU_DEP_1) | instskip(NEXT) | instid1(VALU_DEP_1)
	v_fmac_f32_e32 v3, v4, v3
	v_mul_f32_e32 v4, v5, v3
	s_delay_alu instid0(VALU_DEP_1) | instskip(NEXT) | instid1(VALU_DEP_1)
	v_fma_f32 v6, -v2, v4, v5
	v_fmac_f32_e32 v4, v6, v3
	s_delay_alu instid0(VALU_DEP_1) | instskip(NEXT) | instid1(VALU_DEP_1)
	v_fma_f32 v2, -v2, v4, v5
	v_div_fmas_f32 v2, v2, v3, v4
	s_delay_alu instid0(VALU_DEP_1) | instskip(NEXT) | instid1(VALU_DEP_1)
	v_div_fixup_f32 v3, v2, v0, v1
	v_fmac_f32_e32 v0, v1, v3
	s_delay_alu instid0(VALU_DEP_1) | instskip(NEXT) | instid1(VALU_DEP_1)
	v_div_scale_f32 v1, null, v0, v0, 1.0
	v_rcp_f32_e32 v2, v1
	v_nop
	s_delay_alu instid0(TRANS32_DEP_1) | instskip(NEXT) | instid1(VALU_DEP_1)
	v_fma_f32 v4, -v1, v2, 1.0
	v_fmac_f32_e32 v2, v4, v2
	v_div_scale_f32 v4, vcc_lo, 1.0, v0, 1.0
	s_delay_alu instid0(VALU_DEP_1) | instskip(NEXT) | instid1(VALU_DEP_1)
	v_mul_f32_e32 v5, v4, v2
	v_fma_f32 v6, -v1, v5, v4
	s_delay_alu instid0(VALU_DEP_1) | instskip(NEXT) | instid1(VALU_DEP_1)
	v_fmac_f32_e32 v5, v6, v2
	v_fma_f32 v1, -v1, v5, v4
	s_delay_alu instid0(VALU_DEP_1) | instskip(NEXT) | instid1(VALU_DEP_1)
	v_div_fmas_f32 v1, v1, v2, v5
	v_div_fixup_f32 v2, v1, v0, 1.0
	s_delay_alu instid0(VALU_DEP_1)
	v_mul_f32_e64 v3, v3, -v2
.LBB99_250:
	s_or_b32 exec_lo, exec_lo, s1
	ds_store_b64 v87, v[2:3]
.LBB99_251:
	s_or_b32 exec_lo, exec_lo, s2
	s_wait_dscnt 0x0
	s_barrier_signal -1
	s_barrier_wait -1
	ds_load_b64 v[0:1], v87
	s_mov_b32 s1, exec_lo
	s_wait_dscnt 0x0
	scratch_store_b64 off, v[0:1], off offset:224 ; 8-byte Folded Spill
	s_wait_xcnt 0x0
	v_cmpx_lt_u32_e32 27, v86
	s_cbranch_execz .LBB99_253
; %bb.252:
	scratch_load_b64 v[0:1], off, off offset:224 ; 8-byte Folded Reload
	ds_load_2addr_b64 v[6:9], v96 offset0:28 offset1:29
	s_wait_loadcnt 0x0
	v_pk_mul_f32 v[4:5], v[0:1], v[106:107] op_sel:[1,1] op_sel_hi:[0,1]
	s_delay_alu instid0(VALU_DEP_1) | instskip(SKIP_1) | instid1(VALU_DEP_1)
	v_pk_fma_f32 v[2:3], v[0:1], v[106:107], v[4:5] op_sel_hi:[1,0,1] neg_lo:[0,0,1] neg_hi:[0,0,1]
	v_pk_fma_f32 v[4:5], v[0:1], v[106:107], v[4:5] op_sel_hi:[1,0,1]
	v_dual_mov_b32 v106, v2 :: v_dual_mov_b32 v107, v5
	s_wait_dscnt 0x0
	s_delay_alu instid0(VALU_DEP_2) | instskip(NEXT) | instid1(VALU_DEP_1)
	v_pk_mul_f32 v[10:11], v[6:7], v[4:5] op_sel:[0,1]
	v_pk_fma_f32 v[12:13], v[6:7], v[2:3], v[10:11] op_sel:[0,0,1] op_sel_hi:[1,1,0] neg_lo:[0,0,1] neg_hi:[0,0,1]
	v_pk_fma_f32 v[6:7], v[6:7], v[2:3], v[10:11] op_sel:[0,0,1] op_sel_hi:[1,0,0]
	s_delay_alu instid0(VALU_DEP_1) | instskip(SKIP_1) | instid1(VALU_DEP_1)
	v_mov_b32_e32 v13, v7
	v_pk_mul_f32 v[6:7], v[8:9], v[4:5] op_sel:[0,1]
	v_pk_fma_f32 v[10:11], v[8:9], v[2:3], v[6:7] op_sel:[0,0,1] op_sel_hi:[1,1,0] neg_lo:[0,0,1] neg_hi:[0,0,1]
	v_pk_fma_f32 v[6:7], v[8:9], v[2:3], v[6:7] op_sel:[0,0,1] op_sel_hi:[1,0,0]
	s_delay_alu instid0(VALU_DEP_1)
	v_mov_b32_e32 v11, v7
	ds_load_2addr_b64 v[6:9], v96 offset0:30 offset1:31
	v_pk_add_f32 v[128:129], v[128:129], v[12:13] neg_lo:[0,1] neg_hi:[0,1]
	v_pk_add_f32 v[124:125], v[124:125], v[10:11] neg_lo:[0,1] neg_hi:[0,1]
	s_wait_dscnt 0x0
	v_pk_mul_f32 v[10:11], v[6:7], v[4:5] op_sel:[0,1]
	s_delay_alu instid0(VALU_DEP_1) | instskip(SKIP_2) | instid1(VALU_DEP_2)
	v_pk_fma_f32 v[12:13], v[6:7], v[2:3], v[10:11] op_sel:[0,0,1] op_sel_hi:[1,1,0] neg_lo:[0,0,1] neg_hi:[0,0,1]
	v_pk_fma_f32 v[6:7], v[6:7], v[2:3], v[10:11] op_sel:[0,0,1] op_sel_hi:[1,0,0]
	v_dual_mul_f32 v10, v9, v5 :: v_dual_mov_b32 v6, v9
	v_dual_mov_b32 v13, v7 :: v_dual_mov_b32 v7, v8
	s_delay_alu instid0(VALU_DEP_2) | instskip(SKIP_1) | instid1(VALU_DEP_3)
	v_pk_fma_f32 v[10:11], v[8:9], v[106:107], v[10:11] op_sel_hi:[1,1,0] neg_lo:[0,0,1] neg_hi:[0,0,1]
	v_mul_f32_e32 v8, v9, v2
	v_pk_add_f32 v[126:127], v[126:127], v[12:13] neg_lo:[0,1] neg_hi:[0,1]
	s_delay_alu instid0(VALU_DEP_2) | instskip(NEXT) | instid1(VALU_DEP_1)
	v_pk_fma_f32 v[6:7], v[6:7], v[106:107], v[8:9] op_sel_hi:[1,1,0]
	v_mov_b32_e32 v11, v7
	ds_load_2addr_b64 v[6:9], v96 offset0:32 offset1:33
	v_pk_add_f32 v[122:123], v[122:123], v[10:11] neg_lo:[0,1] neg_hi:[0,1]
	s_wait_dscnt 0x0
	v_pk_mul_f32 v[10:11], v[6:7], v[4:5] op_sel:[0,1]
	s_delay_alu instid0(VALU_DEP_1) | instskip(SKIP_1) | instid1(VALU_DEP_1)
	v_pk_fma_f32 v[12:13], v[6:7], v[2:3], v[10:11] op_sel:[0,0,1] op_sel_hi:[1,1,0] neg_lo:[0,0,1] neg_hi:[0,0,1]
	v_pk_fma_f32 v[6:7], v[6:7], v[2:3], v[10:11] op_sel:[0,0,1] op_sel_hi:[1,0,0]
	v_mov_b32_e32 v13, v7
	v_pk_mul_f32 v[6:7], v[8:9], v[4:5] op_sel:[0,1]
	s_delay_alu instid0(VALU_DEP_1) | instskip(SKIP_1) | instid1(VALU_DEP_1)
	v_pk_fma_f32 v[10:11], v[8:9], v[2:3], v[6:7] op_sel:[0,0,1] op_sel_hi:[1,1,0] neg_lo:[0,0,1] neg_hi:[0,0,1]
	v_pk_fma_f32 v[6:7], v[8:9], v[2:3], v[6:7] op_sel:[0,0,1] op_sel_hi:[1,0,0]
	v_mov_b32_e32 v11, v7
	ds_load_2addr_b64 v[6:9], v96 offset0:34 offset1:35
	v_pk_add_f32 v[144:145], v[144:145], v[12:13] neg_lo:[0,1] neg_hi:[0,1]
	v_pk_add_f32 v[140:141], v[140:141], v[10:11] neg_lo:[0,1] neg_hi:[0,1]
	s_wait_dscnt 0x0
	v_pk_mul_f32 v[10:11], v[6:7], v[4:5] op_sel:[0,1]
	s_delay_alu instid0(VALU_DEP_1) | instskip(SKIP_1) | instid1(VALU_DEP_1)
	v_pk_fma_f32 v[12:13], v[6:7], v[2:3], v[10:11] op_sel:[0,0,1] op_sel_hi:[1,1,0] neg_lo:[0,0,1] neg_hi:[0,0,1]
	v_pk_fma_f32 v[6:7], v[6:7], v[2:3], v[10:11] op_sel:[0,0,1] op_sel_hi:[1,0,0]
	v_mov_b32_e32 v13, v7
	v_pk_mul_f32 v[6:7], v[8:9], v[4:5] op_sel:[0,1]
	s_delay_alu instid0(VALU_DEP_1) | instskip(SKIP_1) | instid1(VALU_DEP_1)
	v_pk_fma_f32 v[10:11], v[8:9], v[2:3], v[6:7] op_sel:[0,0,1] op_sel_hi:[1,1,0] neg_lo:[0,0,1] neg_hi:[0,0,1]
	v_pk_fma_f32 v[6:7], v[8:9], v[2:3], v[6:7] op_sel:[0,0,1] op_sel_hi:[1,0,0]
	v_mov_b32_e32 v11, v7
	ds_load_2addr_b64 v[6:9], v96 offset0:36 offset1:37
	v_pk_add_f32 v[142:143], v[142:143], v[12:13] neg_lo:[0,1] neg_hi:[0,1]
	v_pk_add_f32 v[138:139], v[138:139], v[10:11] neg_lo:[0,1] neg_hi:[0,1]
	s_wait_dscnt 0x0
	v_dual_mul_f32 v10, v7, v5 :: v_dual_mul_f32 v12, v7, v2
	s_delay_alu instid0(VALU_DEP_1) | instskip(NEXT) | instid1(VALU_DEP_2)
	v_pk_fma_f32 v[10:11], v[6:7], v[106:107], v[10:11] op_sel_hi:[1,1,0] neg_lo:[0,0,1] neg_hi:[0,0,1]
	v_pk_fma_f32 v[6:7], v[6:7], v[106:107], v[12:13] op_sel:[1,0,0] op_sel_hi:[0,1,0]
	s_delay_alu instid0(VALU_DEP_1) | instskip(SKIP_1) | instid1(VALU_DEP_2)
	v_mov_b32_e32 v11, v7
	v_pk_mul_f32 v[6:7], v[8:9], v[4:5] op_sel:[0,1]
	v_pk_add_f32 v[162:163], v[162:163], v[10:11] neg_lo:[0,1] neg_hi:[0,1]
	s_delay_alu instid0(VALU_DEP_2) | instskip(SKIP_1) | instid1(VALU_DEP_1)
	v_pk_fma_f32 v[10:11], v[8:9], v[2:3], v[6:7] op_sel:[0,0,1] op_sel_hi:[1,1,0] neg_lo:[0,0,1] neg_hi:[0,0,1]
	v_pk_fma_f32 v[6:7], v[8:9], v[2:3], v[6:7] op_sel:[0,0,1] op_sel_hi:[1,0,0]
	v_mov_b32_e32 v11, v7
	ds_load_2addr_b64 v[6:9], v96 offset0:38 offset1:39
	v_pk_add_f32 v[158:159], v[158:159], v[10:11] neg_lo:[0,1] neg_hi:[0,1]
	s_wait_dscnt 0x0
	v_pk_mul_f32 v[10:11], v[6:7], v[4:5] op_sel:[0,1]
	s_delay_alu instid0(VALU_DEP_1) | instskip(SKIP_1) | instid1(VALU_DEP_1)
	v_pk_fma_f32 v[12:13], v[6:7], v[2:3], v[10:11] op_sel:[0,0,1] op_sel_hi:[1,1,0] neg_lo:[0,0,1] neg_hi:[0,0,1]
	v_pk_fma_f32 v[6:7], v[6:7], v[2:3], v[10:11] op_sel:[0,0,1] op_sel_hi:[1,0,0]
	v_mov_b32_e32 v13, v7
	v_pk_mul_f32 v[6:7], v[8:9], v[4:5] op_sel:[0,1]
	s_delay_alu instid0(VALU_DEP_2) | instskip(NEXT) | instid1(VALU_DEP_2)
	v_pk_add_f32 v[160:161], v[160:161], v[12:13] neg_lo:[0,1] neg_hi:[0,1]
	v_pk_fma_f32 v[10:11], v[8:9], v[2:3], v[6:7] op_sel:[0,0,1] op_sel_hi:[1,1,0] neg_lo:[0,0,1] neg_hi:[0,0,1]
	v_pk_fma_f32 v[6:7], v[8:9], v[2:3], v[6:7] op_sel:[0,0,1] op_sel_hi:[1,0,0]
	s_delay_alu instid0(VALU_DEP_1) | instskip(SKIP_4) | instid1(VALU_DEP_1)
	v_mov_b32_e32 v11, v7
	ds_load_2addr_b64 v[6:9], v96 offset0:40 offset1:41
	v_pk_add_f32 v[156:157], v[156:157], v[10:11] neg_lo:[0,1] neg_hi:[0,1]
	s_wait_dscnt 0x0
	v_pk_mul_f32 v[10:11], v[6:7], v[4:5] op_sel:[0,1]
	v_pk_fma_f32 v[12:13], v[6:7], v[2:3], v[10:11] op_sel:[0,0,1] op_sel_hi:[1,1,0] neg_lo:[0,0,1] neg_hi:[0,0,1]
	v_pk_fma_f32 v[6:7], v[6:7], v[2:3], v[10:11] op_sel:[0,0,1] op_sel_hi:[1,0,0]
	v_dual_mul_f32 v10, v9, v5 :: v_dual_mov_b32 v6, v9
	s_delay_alu instid0(VALU_DEP_2) | instskip(NEXT) | instid1(VALU_DEP_2)
	v_dual_mov_b32 v13, v7 :: v_dual_mov_b32 v7, v8
	v_pk_fma_f32 v[10:11], v[8:9], v[106:107], v[10:11] op_sel_hi:[1,1,0] neg_lo:[0,0,1] neg_hi:[0,0,1]
	v_mul_f32_e32 v8, v9, v2
	s_delay_alu instid0(VALU_DEP_3) | instskip(NEXT) | instid1(VALU_DEP_2)
	v_pk_add_f32 v[180:181], v[180:181], v[12:13] neg_lo:[0,1] neg_hi:[0,1]
	v_pk_fma_f32 v[6:7], v[6:7], v[106:107], v[8:9] op_sel_hi:[1,1,0]
	s_delay_alu instid0(VALU_DEP_1) | instskip(SKIP_4) | instid1(VALU_DEP_1)
	v_mov_b32_e32 v11, v7
	ds_load_2addr_b64 v[6:9], v96 offset0:42 offset1:43
	v_pk_add_f32 v[176:177], v[176:177], v[10:11] neg_lo:[0,1] neg_hi:[0,1]
	s_wait_dscnt 0x0
	v_pk_mul_f32 v[10:11], v[6:7], v[4:5] op_sel:[0,1]
	v_pk_fma_f32 v[12:13], v[6:7], v[2:3], v[10:11] op_sel:[0,0,1] op_sel_hi:[1,1,0] neg_lo:[0,0,1] neg_hi:[0,0,1]
	v_pk_fma_f32 v[6:7], v[6:7], v[2:3], v[10:11] op_sel:[0,0,1] op_sel_hi:[1,0,0]
	s_delay_alu instid0(VALU_DEP_1) | instskip(SKIP_1) | instid1(VALU_DEP_1)
	v_mov_b32_e32 v13, v7
	v_pk_mul_f32 v[6:7], v[8:9], v[4:5] op_sel:[0,1]
	v_pk_fma_f32 v[10:11], v[8:9], v[2:3], v[6:7] op_sel:[0,0,1] op_sel_hi:[1,1,0] neg_lo:[0,0,1] neg_hi:[0,0,1]
	v_pk_fma_f32 v[6:7], v[8:9], v[2:3], v[6:7] op_sel:[0,0,1] op_sel_hi:[1,0,0]
	s_delay_alu instid0(VALU_DEP_1)
	v_mov_b32_e32 v11, v7
	ds_load_2addr_b64 v[6:9], v96 offset0:44 offset1:45
	v_pk_add_f32 v[178:179], v[178:179], v[12:13] neg_lo:[0,1] neg_hi:[0,1]
	v_pk_add_f32 v[174:175], v[174:175], v[10:11] neg_lo:[0,1] neg_hi:[0,1]
	s_wait_dscnt 0x0
	v_pk_mul_f32 v[10:11], v[6:7], v[4:5] op_sel:[0,1]
	s_delay_alu instid0(VALU_DEP_1) | instskip(SKIP_1) | instid1(VALU_DEP_1)
	v_pk_fma_f32 v[12:13], v[6:7], v[2:3], v[10:11] op_sel:[0,0,1] op_sel_hi:[1,1,0] neg_lo:[0,0,1] neg_hi:[0,0,1]
	v_pk_fma_f32 v[6:7], v[6:7], v[2:3], v[10:11] op_sel:[0,0,1] op_sel_hi:[1,0,0]
	v_mov_b32_e32 v13, v7
	v_pk_mul_f32 v[6:7], v[8:9], v[4:5] op_sel:[0,1]
	s_delay_alu instid0(VALU_DEP_1) | instskip(SKIP_1) | instid1(VALU_DEP_1)
	v_pk_fma_f32 v[10:11], v[8:9], v[2:3], v[6:7] op_sel:[0,0,1] op_sel_hi:[1,1,0] neg_lo:[0,0,1] neg_hi:[0,0,1]
	v_pk_fma_f32 v[6:7], v[8:9], v[2:3], v[6:7] op_sel:[0,0,1] op_sel_hi:[1,0,0]
	v_mov_b32_e32 v11, v7
	ds_load_2addr_b64 v[6:9], v96 offset0:46 offset1:47
	v_pk_add_f32 v[196:197], v[196:197], v[12:13] neg_lo:[0,1] neg_hi:[0,1]
	v_pk_add_f32 v[192:193], v[192:193], v[10:11] neg_lo:[0,1] neg_hi:[0,1]
	s_wait_dscnt 0x0
	v_dual_mul_f32 v10, v7, v5 :: v_dual_mul_f32 v12, v7, v2
	s_delay_alu instid0(VALU_DEP_1) | instskip(NEXT) | instid1(VALU_DEP_2)
	v_pk_fma_f32 v[10:11], v[6:7], v[106:107], v[10:11] op_sel_hi:[1,1,0] neg_lo:[0,0,1] neg_hi:[0,0,1]
	v_pk_fma_f32 v[6:7], v[6:7], v[106:107], v[12:13] op_sel:[1,0,0] op_sel_hi:[0,1,0]
	s_delay_alu instid0(VALU_DEP_1) | instskip(SKIP_1) | instid1(VALU_DEP_2)
	v_mov_b32_e32 v11, v7
	v_pk_mul_f32 v[6:7], v[8:9], v[4:5] op_sel:[0,1]
	v_pk_add_f32 v[194:195], v[194:195], v[10:11] neg_lo:[0,1] neg_hi:[0,1]
	s_delay_alu instid0(VALU_DEP_2) | instskip(SKIP_1) | instid1(VALU_DEP_1)
	v_pk_fma_f32 v[10:11], v[8:9], v[2:3], v[6:7] op_sel:[0,0,1] op_sel_hi:[1,1,0] neg_lo:[0,0,1] neg_hi:[0,0,1]
	v_pk_fma_f32 v[6:7], v[8:9], v[2:3], v[6:7] op_sel:[0,0,1] op_sel_hi:[1,0,0]
	v_mov_b32_e32 v11, v7
	ds_load_2addr_b64 v[6:9], v96 offset0:48 offset1:49
	v_pk_add_f32 v[190:191], v[190:191], v[10:11] neg_lo:[0,1] neg_hi:[0,1]
	s_wait_dscnt 0x0
	v_pk_mul_f32 v[10:11], v[6:7], v[4:5] op_sel:[0,1]
	v_pk_mul_f32 v[4:5], v[8:9], v[4:5] op_sel:[0,1]
	s_delay_alu instid0(VALU_DEP_2) | instskip(SKIP_1) | instid1(VALU_DEP_1)
	v_pk_fma_f32 v[12:13], v[6:7], v[2:3], v[10:11] op_sel:[0,0,1] op_sel_hi:[1,1,0] neg_lo:[0,0,1] neg_hi:[0,0,1]
	v_pk_fma_f32 v[6:7], v[6:7], v[2:3], v[10:11] op_sel:[0,0,1] op_sel_hi:[1,0,0]
	v_mov_b32_e32 v13, v7
	s_delay_alu instid0(VALU_DEP_4) | instskip(SKIP_1) | instid1(VALU_DEP_3)
	v_pk_fma_f32 v[6:7], v[8:9], v[2:3], v[4:5] op_sel:[0,0,1] op_sel_hi:[1,1,0] neg_lo:[0,0,1] neg_hi:[0,0,1]
	v_pk_fma_f32 v[2:3], v[8:9], v[2:3], v[4:5] op_sel:[0,0,1] op_sel_hi:[1,0,0]
	v_pk_add_f32 v[198:199], v[198:199], v[12:13] neg_lo:[0,1] neg_hi:[0,1]
	s_delay_alu instid0(VALU_DEP_2) | instskip(NEXT) | instid1(VALU_DEP_1)
	v_mov_b32_e32 v7, v3
	v_pk_add_f32 v[200:201], v[200:201], v[6:7] neg_lo:[0,1] neg_hi:[0,1]
.LBB99_253:
	s_wait_xcnt 0x0
	s_or_b32 exec_lo, exec_lo, s1
	s_delay_alu instid0(SALU_CYCLE_1)
	s_mov_b32 s2, exec_lo
	s_wait_storecnt 0x0
	s_barrier_signal -1
	s_barrier_wait -1
	v_cmpx_eq_u32_e32 28, v86
	s_cbranch_execz .LBB99_260
; %bb.254:
	ds_store_b64 v87, v[128:129]
	ds_store_2addr_b64 v96, v[124:125], v[126:127] offset0:29 offset1:30
	ds_store_2addr_b64 v96, v[122:123], v[144:145] offset0:31 offset1:32
	;; [unrolled: 1-line block ×10, first 2 shown]
	ds_store_b64 v96, v[200:201] offset:392
	ds_load_b64 v[2:3], v87
	s_wait_dscnt 0x0
	v_cmp_neq_f32_e32 vcc_lo, 0, v2
	v_cmp_neq_f32_e64 s1, 0, v3
	s_or_b32 s1, vcc_lo, s1
	s_delay_alu instid0(SALU_CYCLE_1)
	s_and_b32 exec_lo, exec_lo, s1
	s_cbranch_execz .LBB99_260
; %bb.255:
	v_cmp_ngt_f32_e64 s1, |v2|, |v3|
                                        ; implicit-def: $vgpr4_vgpr5
	s_and_saveexec_b32 s4, s1
	s_delay_alu instid0(SALU_CYCLE_1)
	s_xor_b32 s1, exec_lo, s4
	s_cbranch_execz .LBB99_257
; %bb.256:
	v_div_scale_f32 v4, null, v3, v3, v2
	v_div_scale_f32 v7, vcc_lo, v2, v3, v2
	s_delay_alu instid0(VALU_DEP_2) | instskip(SKIP_1) | instid1(TRANS32_DEP_1)
	v_rcp_f32_e32 v5, v4
	v_nop
	v_fma_f32 v6, -v4, v5, 1.0
	s_delay_alu instid0(VALU_DEP_1) | instskip(NEXT) | instid1(VALU_DEP_1)
	v_fmac_f32_e32 v5, v6, v5
	v_mul_f32_e32 v6, v7, v5
	s_delay_alu instid0(VALU_DEP_1) | instskip(NEXT) | instid1(VALU_DEP_1)
	v_fma_f32 v8, -v4, v6, v7
	v_fmac_f32_e32 v6, v8, v5
	s_delay_alu instid0(VALU_DEP_1) | instskip(NEXT) | instid1(VALU_DEP_1)
	v_fma_f32 v4, -v4, v6, v7
	v_div_fmas_f32 v4, v4, v5, v6
	s_delay_alu instid0(VALU_DEP_1) | instskip(NEXT) | instid1(VALU_DEP_1)
	v_div_fixup_f32 v4, v4, v3, v2
	v_fmac_f32_e32 v3, v2, v4
	s_delay_alu instid0(VALU_DEP_1) | instskip(SKIP_1) | instid1(VALU_DEP_2)
	v_div_scale_f32 v2, null, v3, v3, 1.0
	v_div_scale_f32 v7, vcc_lo, 1.0, v3, 1.0
	v_rcp_f32_e32 v5, v2
	v_nop
	s_delay_alu instid0(TRANS32_DEP_1) | instskip(NEXT) | instid1(VALU_DEP_1)
	v_fma_f32 v6, -v2, v5, 1.0
	v_fmac_f32_e32 v5, v6, v5
	s_delay_alu instid0(VALU_DEP_1) | instskip(NEXT) | instid1(VALU_DEP_1)
	v_mul_f32_e32 v6, v7, v5
	v_fma_f32 v8, -v2, v6, v7
	s_delay_alu instid0(VALU_DEP_1) | instskip(NEXT) | instid1(VALU_DEP_1)
	v_fmac_f32_e32 v6, v8, v5
	v_fma_f32 v2, -v2, v6, v7
	s_delay_alu instid0(VALU_DEP_1) | instskip(NEXT) | instid1(VALU_DEP_1)
	v_div_fmas_f32 v2, v2, v5, v6
	v_div_fixup_f32 v2, v2, v3, 1.0
	s_delay_alu instid0(VALU_DEP_1)
	v_mul_f32_e32 v4, v4, v2
	v_xor_b32_e32 v5, 0x80000000, v2
                                        ; implicit-def: $vgpr2_vgpr3
.LBB99_257:
	s_and_not1_saveexec_b32 s1, s1
	s_cbranch_execz .LBB99_259
; %bb.258:
	v_div_scale_f32 v4, null, v2, v2, v3
	v_div_scale_f32 v7, vcc_lo, v3, v2, v3
	s_delay_alu instid0(VALU_DEP_2) | instskip(SKIP_1) | instid1(TRANS32_DEP_1)
	v_rcp_f32_e32 v5, v4
	v_nop
	v_fma_f32 v6, -v4, v5, 1.0
	s_delay_alu instid0(VALU_DEP_1) | instskip(NEXT) | instid1(VALU_DEP_1)
	v_fmac_f32_e32 v5, v6, v5
	v_mul_f32_e32 v6, v7, v5
	s_delay_alu instid0(VALU_DEP_1) | instskip(NEXT) | instid1(VALU_DEP_1)
	v_fma_f32 v8, -v4, v6, v7
	v_fmac_f32_e32 v6, v8, v5
	s_delay_alu instid0(VALU_DEP_1) | instskip(NEXT) | instid1(VALU_DEP_1)
	v_fma_f32 v4, -v4, v6, v7
	v_div_fmas_f32 v4, v4, v5, v6
	s_delay_alu instid0(VALU_DEP_1) | instskip(NEXT) | instid1(VALU_DEP_1)
	v_div_fixup_f32 v5, v4, v2, v3
	v_fmac_f32_e32 v2, v3, v5
	s_delay_alu instid0(VALU_DEP_1) | instskip(NEXT) | instid1(VALU_DEP_1)
	v_div_scale_f32 v3, null, v2, v2, 1.0
	v_rcp_f32_e32 v4, v3
	v_nop
	s_delay_alu instid0(TRANS32_DEP_1) | instskip(NEXT) | instid1(VALU_DEP_1)
	v_fma_f32 v6, -v3, v4, 1.0
	v_fmac_f32_e32 v4, v6, v4
	v_div_scale_f32 v6, vcc_lo, 1.0, v2, 1.0
	s_delay_alu instid0(VALU_DEP_1) | instskip(NEXT) | instid1(VALU_DEP_1)
	v_mul_f32_e32 v7, v6, v4
	v_fma_f32 v8, -v3, v7, v6
	s_delay_alu instid0(VALU_DEP_1) | instskip(NEXT) | instid1(VALU_DEP_1)
	v_fmac_f32_e32 v7, v8, v4
	v_fma_f32 v3, -v3, v7, v6
	s_delay_alu instid0(VALU_DEP_1) | instskip(NEXT) | instid1(VALU_DEP_1)
	v_div_fmas_f32 v3, v3, v4, v7
	v_div_fixup_f32 v4, v3, v2, 1.0
	s_delay_alu instid0(VALU_DEP_1)
	v_mul_f32_e64 v5, v5, -v4
.LBB99_259:
	s_or_b32 exec_lo, exec_lo, s1
	ds_store_b64 v87, v[4:5]
.LBB99_260:
	s_or_b32 exec_lo, exec_lo, s2
	s_wait_dscnt 0x0
	s_barrier_signal -1
	s_barrier_wait -1
	ds_load_b64 v[2:3], v87
	s_mov_b32 s1, exec_lo
	v_cmpx_lt_u32_e32 28, v86
	s_cbranch_execz .LBB99_262
; %bb.261:
	ds_load_2addr_b64 v[8:11], v96 offset0:29 offset1:30
	s_wait_dscnt 0x1
	v_pk_mul_f32 v[6:7], v[2:3], v[128:129] op_sel:[1,1] op_sel_hi:[0,1]
	s_delay_alu instid0(VALU_DEP_1) | instskip(SKIP_1) | instid1(VALU_DEP_1)
	v_pk_fma_f32 v[4:5], v[2:3], v[128:129], v[6:7] op_sel_hi:[1,0,1] neg_lo:[0,0,1] neg_hi:[0,0,1]
	v_pk_fma_f32 v[6:7], v[2:3], v[128:129], v[6:7] op_sel_hi:[1,0,1]
	v_dual_mov_b32 v128, v4 :: v_dual_mov_b32 v129, v7
	s_wait_dscnt 0x0
	s_delay_alu instid0(VALU_DEP_2) | instskip(NEXT) | instid1(VALU_DEP_1)
	v_pk_mul_f32 v[12:13], v[8:9], v[6:7] op_sel:[0,1]
	v_pk_fma_f32 v[14:15], v[8:9], v[4:5], v[12:13] op_sel:[0,0,1] op_sel_hi:[1,1,0] neg_lo:[0,0,1] neg_hi:[0,0,1]
	v_pk_fma_f32 v[8:9], v[8:9], v[4:5], v[12:13] op_sel:[0,0,1] op_sel_hi:[1,0,0]
	s_delay_alu instid0(VALU_DEP_1) | instskip(SKIP_1) | instid1(VALU_DEP_1)
	v_mov_b32_e32 v15, v9
	v_pk_mul_f32 v[8:9], v[10:11], v[6:7] op_sel:[0,1]
	v_pk_fma_f32 v[12:13], v[10:11], v[4:5], v[8:9] op_sel:[0,0,1] op_sel_hi:[1,1,0] neg_lo:[0,0,1] neg_hi:[0,0,1]
	v_pk_fma_f32 v[8:9], v[10:11], v[4:5], v[8:9] op_sel:[0,0,1] op_sel_hi:[1,0,0]
	s_delay_alu instid0(VALU_DEP_1)
	v_mov_b32_e32 v13, v9
	ds_load_2addr_b64 v[8:11], v96 offset0:31 offset1:32
	v_pk_add_f32 v[124:125], v[124:125], v[14:15] neg_lo:[0,1] neg_hi:[0,1]
	v_pk_add_f32 v[126:127], v[126:127], v[12:13] neg_lo:[0,1] neg_hi:[0,1]
	s_wait_dscnt 0x0
	v_pk_mul_f32 v[12:13], v[8:9], v[6:7] op_sel:[0,1]
	s_delay_alu instid0(VALU_DEP_1) | instskip(SKIP_2) | instid1(VALU_DEP_2)
	v_pk_fma_f32 v[14:15], v[8:9], v[4:5], v[12:13] op_sel:[0,0,1] op_sel_hi:[1,1,0] neg_lo:[0,0,1] neg_hi:[0,0,1]
	v_pk_fma_f32 v[8:9], v[8:9], v[4:5], v[12:13] op_sel:[0,0,1] op_sel_hi:[1,0,0]
	v_dual_mul_f32 v12, v11, v7 :: v_dual_mov_b32 v8, v11
	v_dual_mov_b32 v15, v9 :: v_dual_mov_b32 v9, v10
	s_delay_alu instid0(VALU_DEP_2) | instskip(SKIP_1) | instid1(VALU_DEP_3)
	v_pk_fma_f32 v[12:13], v[10:11], v[128:129], v[12:13] op_sel_hi:[1,1,0] neg_lo:[0,0,1] neg_hi:[0,0,1]
	v_mul_f32_e32 v10, v11, v4
	v_pk_add_f32 v[122:123], v[122:123], v[14:15] neg_lo:[0,1] neg_hi:[0,1]
	s_delay_alu instid0(VALU_DEP_2) | instskip(NEXT) | instid1(VALU_DEP_1)
	v_pk_fma_f32 v[8:9], v[8:9], v[128:129], v[10:11] op_sel_hi:[1,1,0]
	v_mov_b32_e32 v13, v9
	ds_load_2addr_b64 v[8:11], v96 offset0:33 offset1:34
	v_pk_add_f32 v[144:145], v[144:145], v[12:13] neg_lo:[0,1] neg_hi:[0,1]
	s_wait_dscnt 0x0
	v_pk_mul_f32 v[12:13], v[8:9], v[6:7] op_sel:[0,1]
	s_delay_alu instid0(VALU_DEP_1) | instskip(SKIP_1) | instid1(VALU_DEP_1)
	v_pk_fma_f32 v[14:15], v[8:9], v[4:5], v[12:13] op_sel:[0,0,1] op_sel_hi:[1,1,0] neg_lo:[0,0,1] neg_hi:[0,0,1]
	v_pk_fma_f32 v[8:9], v[8:9], v[4:5], v[12:13] op_sel:[0,0,1] op_sel_hi:[1,0,0]
	v_mov_b32_e32 v15, v9
	v_pk_mul_f32 v[8:9], v[10:11], v[6:7] op_sel:[0,1]
	s_delay_alu instid0(VALU_DEP_1) | instskip(SKIP_1) | instid1(VALU_DEP_1)
	v_pk_fma_f32 v[12:13], v[10:11], v[4:5], v[8:9] op_sel:[0,0,1] op_sel_hi:[1,1,0] neg_lo:[0,0,1] neg_hi:[0,0,1]
	v_pk_fma_f32 v[8:9], v[10:11], v[4:5], v[8:9] op_sel:[0,0,1] op_sel_hi:[1,0,0]
	v_mov_b32_e32 v13, v9
	ds_load_2addr_b64 v[8:11], v96 offset0:35 offset1:36
	v_pk_add_f32 v[140:141], v[140:141], v[14:15] neg_lo:[0,1] neg_hi:[0,1]
	v_pk_add_f32 v[142:143], v[142:143], v[12:13] neg_lo:[0,1] neg_hi:[0,1]
	s_wait_dscnt 0x0
	v_pk_mul_f32 v[12:13], v[8:9], v[6:7] op_sel:[0,1]
	s_delay_alu instid0(VALU_DEP_1) | instskip(SKIP_1) | instid1(VALU_DEP_1)
	v_pk_fma_f32 v[14:15], v[8:9], v[4:5], v[12:13] op_sel:[0,0,1] op_sel_hi:[1,1,0] neg_lo:[0,0,1] neg_hi:[0,0,1]
	v_pk_fma_f32 v[8:9], v[8:9], v[4:5], v[12:13] op_sel:[0,0,1] op_sel_hi:[1,0,0]
	v_mov_b32_e32 v15, v9
	v_pk_mul_f32 v[8:9], v[10:11], v[6:7] op_sel:[0,1]
	s_delay_alu instid0(VALU_DEP_1) | instskip(SKIP_1) | instid1(VALU_DEP_1)
	v_pk_fma_f32 v[12:13], v[10:11], v[4:5], v[8:9] op_sel:[0,0,1] op_sel_hi:[1,1,0] neg_lo:[0,0,1] neg_hi:[0,0,1]
	v_pk_fma_f32 v[8:9], v[10:11], v[4:5], v[8:9] op_sel:[0,0,1] op_sel_hi:[1,0,0]
	v_mov_b32_e32 v13, v9
	ds_load_2addr_b64 v[8:11], v96 offset0:37 offset1:38
	v_pk_add_f32 v[138:139], v[138:139], v[14:15] neg_lo:[0,1] neg_hi:[0,1]
	v_pk_add_f32 v[162:163], v[162:163], v[12:13] neg_lo:[0,1] neg_hi:[0,1]
	s_wait_dscnt 0x0
	v_dual_mul_f32 v12, v9, v7 :: v_dual_mul_f32 v14, v9, v4
	s_delay_alu instid0(VALU_DEP_1) | instskip(NEXT) | instid1(VALU_DEP_2)
	v_pk_fma_f32 v[12:13], v[8:9], v[128:129], v[12:13] op_sel_hi:[1,1,0] neg_lo:[0,0,1] neg_hi:[0,0,1]
	v_pk_fma_f32 v[8:9], v[8:9], v[128:129], v[14:15] op_sel:[1,0,0] op_sel_hi:[0,1,0]
	s_delay_alu instid0(VALU_DEP_1) | instskip(SKIP_1) | instid1(VALU_DEP_2)
	v_mov_b32_e32 v13, v9
	v_pk_mul_f32 v[8:9], v[10:11], v[6:7] op_sel:[0,1]
	v_pk_add_f32 v[158:159], v[158:159], v[12:13] neg_lo:[0,1] neg_hi:[0,1]
	s_delay_alu instid0(VALU_DEP_2) | instskip(SKIP_1) | instid1(VALU_DEP_1)
	v_pk_fma_f32 v[12:13], v[10:11], v[4:5], v[8:9] op_sel:[0,0,1] op_sel_hi:[1,1,0] neg_lo:[0,0,1] neg_hi:[0,0,1]
	v_pk_fma_f32 v[8:9], v[10:11], v[4:5], v[8:9] op_sel:[0,0,1] op_sel_hi:[1,0,0]
	v_mov_b32_e32 v13, v9
	ds_load_2addr_b64 v[8:11], v96 offset0:39 offset1:40
	v_pk_add_f32 v[160:161], v[160:161], v[12:13] neg_lo:[0,1] neg_hi:[0,1]
	s_wait_dscnt 0x0
	v_pk_mul_f32 v[12:13], v[8:9], v[6:7] op_sel:[0,1]
	s_delay_alu instid0(VALU_DEP_1) | instskip(SKIP_1) | instid1(VALU_DEP_1)
	v_pk_fma_f32 v[14:15], v[8:9], v[4:5], v[12:13] op_sel:[0,0,1] op_sel_hi:[1,1,0] neg_lo:[0,0,1] neg_hi:[0,0,1]
	v_pk_fma_f32 v[8:9], v[8:9], v[4:5], v[12:13] op_sel:[0,0,1] op_sel_hi:[1,0,0]
	v_mov_b32_e32 v15, v9
	v_pk_mul_f32 v[8:9], v[10:11], v[6:7] op_sel:[0,1]
	s_delay_alu instid0(VALU_DEP_2) | instskip(NEXT) | instid1(VALU_DEP_2)
	v_pk_add_f32 v[156:157], v[156:157], v[14:15] neg_lo:[0,1] neg_hi:[0,1]
	v_pk_fma_f32 v[12:13], v[10:11], v[4:5], v[8:9] op_sel:[0,0,1] op_sel_hi:[1,1,0] neg_lo:[0,0,1] neg_hi:[0,0,1]
	v_pk_fma_f32 v[8:9], v[10:11], v[4:5], v[8:9] op_sel:[0,0,1] op_sel_hi:[1,0,0]
	s_delay_alu instid0(VALU_DEP_1) | instskip(SKIP_4) | instid1(VALU_DEP_1)
	v_mov_b32_e32 v13, v9
	ds_load_2addr_b64 v[8:11], v96 offset0:41 offset1:42
	v_pk_add_f32 v[180:181], v[180:181], v[12:13] neg_lo:[0,1] neg_hi:[0,1]
	s_wait_dscnt 0x0
	v_pk_mul_f32 v[12:13], v[8:9], v[6:7] op_sel:[0,1]
	v_pk_fma_f32 v[14:15], v[8:9], v[4:5], v[12:13] op_sel:[0,0,1] op_sel_hi:[1,1,0] neg_lo:[0,0,1] neg_hi:[0,0,1]
	v_pk_fma_f32 v[8:9], v[8:9], v[4:5], v[12:13] op_sel:[0,0,1] op_sel_hi:[1,0,0]
	v_dual_mul_f32 v12, v11, v7 :: v_dual_mov_b32 v8, v11
	s_delay_alu instid0(VALU_DEP_2) | instskip(NEXT) | instid1(VALU_DEP_2)
	v_dual_mov_b32 v15, v9 :: v_dual_mov_b32 v9, v10
	v_pk_fma_f32 v[12:13], v[10:11], v[128:129], v[12:13] op_sel_hi:[1,1,0] neg_lo:[0,0,1] neg_hi:[0,0,1]
	v_mul_f32_e32 v10, v11, v4
	s_delay_alu instid0(VALU_DEP_3) | instskip(NEXT) | instid1(VALU_DEP_2)
	v_pk_add_f32 v[176:177], v[176:177], v[14:15] neg_lo:[0,1] neg_hi:[0,1]
	v_pk_fma_f32 v[8:9], v[8:9], v[128:129], v[10:11] op_sel_hi:[1,1,0]
	s_delay_alu instid0(VALU_DEP_1) | instskip(SKIP_4) | instid1(VALU_DEP_1)
	v_mov_b32_e32 v13, v9
	ds_load_2addr_b64 v[8:11], v96 offset0:43 offset1:44
	v_pk_add_f32 v[178:179], v[178:179], v[12:13] neg_lo:[0,1] neg_hi:[0,1]
	s_wait_dscnt 0x0
	v_pk_mul_f32 v[12:13], v[8:9], v[6:7] op_sel:[0,1]
	v_pk_fma_f32 v[14:15], v[8:9], v[4:5], v[12:13] op_sel:[0,0,1] op_sel_hi:[1,1,0] neg_lo:[0,0,1] neg_hi:[0,0,1]
	v_pk_fma_f32 v[8:9], v[8:9], v[4:5], v[12:13] op_sel:[0,0,1] op_sel_hi:[1,0,0]
	s_delay_alu instid0(VALU_DEP_1) | instskip(SKIP_1) | instid1(VALU_DEP_1)
	v_mov_b32_e32 v15, v9
	v_pk_mul_f32 v[8:9], v[10:11], v[6:7] op_sel:[0,1]
	v_pk_fma_f32 v[12:13], v[10:11], v[4:5], v[8:9] op_sel:[0,0,1] op_sel_hi:[1,1,0] neg_lo:[0,0,1] neg_hi:[0,0,1]
	v_pk_fma_f32 v[8:9], v[10:11], v[4:5], v[8:9] op_sel:[0,0,1] op_sel_hi:[1,0,0]
	s_delay_alu instid0(VALU_DEP_1)
	v_mov_b32_e32 v13, v9
	ds_load_2addr_b64 v[8:11], v96 offset0:45 offset1:46
	v_pk_add_f32 v[174:175], v[174:175], v[14:15] neg_lo:[0,1] neg_hi:[0,1]
	v_pk_add_f32 v[196:197], v[196:197], v[12:13] neg_lo:[0,1] neg_hi:[0,1]
	s_wait_dscnt 0x0
	v_pk_mul_f32 v[12:13], v[8:9], v[6:7] op_sel:[0,1]
	s_delay_alu instid0(VALU_DEP_1) | instskip(SKIP_1) | instid1(VALU_DEP_1)
	v_pk_fma_f32 v[14:15], v[8:9], v[4:5], v[12:13] op_sel:[0,0,1] op_sel_hi:[1,1,0] neg_lo:[0,0,1] neg_hi:[0,0,1]
	v_pk_fma_f32 v[8:9], v[8:9], v[4:5], v[12:13] op_sel:[0,0,1] op_sel_hi:[1,0,0]
	v_mov_b32_e32 v15, v9
	v_pk_mul_f32 v[8:9], v[10:11], v[6:7] op_sel:[0,1]
	s_delay_alu instid0(VALU_DEP_1) | instskip(SKIP_1) | instid1(VALU_DEP_1)
	v_pk_fma_f32 v[12:13], v[10:11], v[4:5], v[8:9] op_sel:[0,0,1] op_sel_hi:[1,1,0] neg_lo:[0,0,1] neg_hi:[0,0,1]
	v_pk_fma_f32 v[8:9], v[10:11], v[4:5], v[8:9] op_sel:[0,0,1] op_sel_hi:[1,0,0]
	v_mov_b32_e32 v13, v9
	ds_load_2addr_b64 v[8:11], v96 offset0:47 offset1:48
	v_pk_add_f32 v[192:193], v[192:193], v[14:15] neg_lo:[0,1] neg_hi:[0,1]
	v_pk_add_f32 v[194:195], v[194:195], v[12:13] neg_lo:[0,1] neg_hi:[0,1]
	s_wait_dscnt 0x0
	v_dual_mul_f32 v12, v9, v7 :: v_dual_mul_f32 v14, v9, v4
	s_delay_alu instid0(VALU_DEP_1) | instskip(NEXT) | instid1(VALU_DEP_2)
	v_pk_fma_f32 v[12:13], v[8:9], v[128:129], v[12:13] op_sel_hi:[1,1,0] neg_lo:[0,0,1] neg_hi:[0,0,1]
	v_pk_fma_f32 v[8:9], v[8:9], v[128:129], v[14:15] op_sel:[1,0,0] op_sel_hi:[0,1,0]
	s_delay_alu instid0(VALU_DEP_1) | instskip(SKIP_1) | instid1(VALU_DEP_2)
	v_mov_b32_e32 v13, v9
	v_pk_mul_f32 v[8:9], v[10:11], v[6:7] op_sel:[0,1]
	v_pk_add_f32 v[190:191], v[190:191], v[12:13] neg_lo:[0,1] neg_hi:[0,1]
	s_delay_alu instid0(VALU_DEP_2) | instskip(SKIP_1) | instid1(VALU_DEP_1)
	v_pk_fma_f32 v[12:13], v[10:11], v[4:5], v[8:9] op_sel:[0,0,1] op_sel_hi:[1,1,0] neg_lo:[0,0,1] neg_hi:[0,0,1]
	v_pk_fma_f32 v[8:9], v[10:11], v[4:5], v[8:9] op_sel:[0,0,1] op_sel_hi:[1,0,0]
	v_mov_b32_e32 v13, v9
	ds_load_b64 v[8:9], v96 offset:392
	v_pk_add_f32 v[198:199], v[198:199], v[12:13] neg_lo:[0,1] neg_hi:[0,1]
	s_wait_dscnt 0x0
	v_pk_mul_f32 v[6:7], v[8:9], v[6:7] op_sel:[0,1]
	s_delay_alu instid0(VALU_DEP_1) | instskip(SKIP_1) | instid1(VALU_DEP_1)
	v_pk_fma_f32 v[10:11], v[8:9], v[4:5], v[6:7] op_sel:[0,0,1] op_sel_hi:[1,1,0] neg_lo:[0,0,1] neg_hi:[0,0,1]
	v_pk_fma_f32 v[4:5], v[8:9], v[4:5], v[6:7] op_sel:[0,0,1] op_sel_hi:[1,0,0]
	v_mov_b32_e32 v11, v5
	s_delay_alu instid0(VALU_DEP_1)
	v_pk_add_f32 v[200:201], v[200:201], v[10:11] neg_lo:[0,1] neg_hi:[0,1]
.LBB99_262:
	s_or_b32 exec_lo, exec_lo, s1
	s_delay_alu instid0(SALU_CYCLE_1)
	s_mov_b32 s2, exec_lo
	s_wait_dscnt 0x0
	s_barrier_signal -1
	s_barrier_wait -1
	v_cmpx_eq_u32_e32 29, v86
	s_cbranch_execz .LBB99_269
; %bb.263:
	v_dual_mov_b32 v4, v126 :: v_dual_mov_b32 v5, v127
	v_dual_mov_b32 v6, v122 :: v_dual_mov_b32 v7, v123
	ds_store_b64 v87, v[124:125]
	ds_store_2addr_b64 v96, v[4:5], v[6:7] offset0:30 offset1:31
	v_dual_mov_b32 v4, v144 :: v_dual_mov_b32 v5, v145
	v_dual_mov_b32 v6, v140 :: v_dual_mov_b32 v7, v141
	ds_store_2addr_b64 v96, v[4:5], v[6:7] offset0:32 offset1:33
	v_dual_mov_b32 v4, v142 :: v_dual_mov_b32 v5, v143
	v_dual_mov_b32 v6, v138 :: v_dual_mov_b32 v7, v139
	;; [unrolled: 3-line block ×8, first 2 shown]
	ds_store_2addr_b64 v96, v[4:5], v[6:7] offset0:46 offset1:47
	v_dual_mov_b32 v4, v198 :: v_dual_mov_b32 v5, v199
	ds_store_2addr_b64 v96, v[4:5], v[200:201] offset0:48 offset1:49
	ds_load_b64 v[4:5], v87
	s_wait_dscnt 0x0
	v_cmp_neq_f32_e32 vcc_lo, 0, v4
	v_cmp_neq_f32_e64 s1, 0, v5
	s_or_b32 s1, vcc_lo, s1
	s_delay_alu instid0(SALU_CYCLE_1)
	s_and_b32 exec_lo, exec_lo, s1
	s_cbranch_execz .LBB99_269
; %bb.264:
	v_cmp_ngt_f32_e64 s1, |v4|, |v5|
                                        ; implicit-def: $vgpr6_vgpr7
	s_and_saveexec_b32 s4, s1
	s_delay_alu instid0(SALU_CYCLE_1)
	s_xor_b32 s1, exec_lo, s4
	s_cbranch_execz .LBB99_266
; %bb.265:
	v_div_scale_f32 v6, null, v5, v5, v4
	v_div_scale_f32 v9, vcc_lo, v4, v5, v4
	s_delay_alu instid0(VALU_DEP_2) | instskip(SKIP_1) | instid1(TRANS32_DEP_1)
	v_rcp_f32_e32 v7, v6
	v_nop
	v_fma_f32 v8, -v6, v7, 1.0
	s_delay_alu instid0(VALU_DEP_1) | instskip(NEXT) | instid1(VALU_DEP_1)
	v_fmac_f32_e32 v7, v8, v7
	v_mul_f32_e32 v8, v9, v7
	s_delay_alu instid0(VALU_DEP_1) | instskip(NEXT) | instid1(VALU_DEP_1)
	v_fma_f32 v10, -v6, v8, v9
	v_fmac_f32_e32 v8, v10, v7
	s_delay_alu instid0(VALU_DEP_1) | instskip(NEXT) | instid1(VALU_DEP_1)
	v_fma_f32 v6, -v6, v8, v9
	v_div_fmas_f32 v6, v6, v7, v8
	s_delay_alu instid0(VALU_DEP_1) | instskip(NEXT) | instid1(VALU_DEP_1)
	v_div_fixup_f32 v6, v6, v5, v4
	v_fmac_f32_e32 v5, v4, v6
	s_delay_alu instid0(VALU_DEP_1) | instskip(SKIP_1) | instid1(VALU_DEP_2)
	v_div_scale_f32 v4, null, v5, v5, 1.0
	v_div_scale_f32 v9, vcc_lo, 1.0, v5, 1.0
	v_rcp_f32_e32 v7, v4
	v_nop
	s_delay_alu instid0(TRANS32_DEP_1) | instskip(NEXT) | instid1(VALU_DEP_1)
	v_fma_f32 v8, -v4, v7, 1.0
	v_fmac_f32_e32 v7, v8, v7
	s_delay_alu instid0(VALU_DEP_1) | instskip(NEXT) | instid1(VALU_DEP_1)
	v_mul_f32_e32 v8, v9, v7
	v_fma_f32 v10, -v4, v8, v9
	s_delay_alu instid0(VALU_DEP_1) | instskip(NEXT) | instid1(VALU_DEP_1)
	v_fmac_f32_e32 v8, v10, v7
	v_fma_f32 v4, -v4, v8, v9
	s_delay_alu instid0(VALU_DEP_1) | instskip(NEXT) | instid1(VALU_DEP_1)
	v_div_fmas_f32 v4, v4, v7, v8
	v_div_fixup_f32 v4, v4, v5, 1.0
	s_delay_alu instid0(VALU_DEP_1)
	v_mul_f32_e32 v6, v6, v4
	v_xor_b32_e32 v7, 0x80000000, v4
                                        ; implicit-def: $vgpr4_vgpr5
.LBB99_266:
	s_and_not1_saveexec_b32 s1, s1
	s_cbranch_execz .LBB99_268
; %bb.267:
	v_div_scale_f32 v6, null, v4, v4, v5
	v_div_scale_f32 v9, vcc_lo, v5, v4, v5
	s_delay_alu instid0(VALU_DEP_2) | instskip(SKIP_1) | instid1(TRANS32_DEP_1)
	v_rcp_f32_e32 v7, v6
	v_nop
	v_fma_f32 v8, -v6, v7, 1.0
	s_delay_alu instid0(VALU_DEP_1) | instskip(NEXT) | instid1(VALU_DEP_1)
	v_fmac_f32_e32 v7, v8, v7
	v_mul_f32_e32 v8, v9, v7
	s_delay_alu instid0(VALU_DEP_1) | instskip(NEXT) | instid1(VALU_DEP_1)
	v_fma_f32 v10, -v6, v8, v9
	v_fmac_f32_e32 v8, v10, v7
	s_delay_alu instid0(VALU_DEP_1) | instskip(NEXT) | instid1(VALU_DEP_1)
	v_fma_f32 v6, -v6, v8, v9
	v_div_fmas_f32 v6, v6, v7, v8
	s_delay_alu instid0(VALU_DEP_1) | instskip(NEXT) | instid1(VALU_DEP_1)
	v_div_fixup_f32 v7, v6, v4, v5
	v_fmac_f32_e32 v4, v5, v7
	s_delay_alu instid0(VALU_DEP_1) | instskip(NEXT) | instid1(VALU_DEP_1)
	v_div_scale_f32 v5, null, v4, v4, 1.0
	v_rcp_f32_e32 v6, v5
	v_nop
	s_delay_alu instid0(TRANS32_DEP_1) | instskip(NEXT) | instid1(VALU_DEP_1)
	v_fma_f32 v8, -v5, v6, 1.0
	v_fmac_f32_e32 v6, v8, v6
	v_div_scale_f32 v8, vcc_lo, 1.0, v4, 1.0
	s_delay_alu instid0(VALU_DEP_1) | instskip(NEXT) | instid1(VALU_DEP_1)
	v_mul_f32_e32 v9, v8, v6
	v_fma_f32 v10, -v5, v9, v8
	s_delay_alu instid0(VALU_DEP_1) | instskip(NEXT) | instid1(VALU_DEP_1)
	v_fmac_f32_e32 v9, v10, v6
	v_fma_f32 v5, -v5, v9, v8
	s_delay_alu instid0(VALU_DEP_1) | instskip(NEXT) | instid1(VALU_DEP_1)
	v_div_fmas_f32 v5, v5, v6, v9
	v_div_fixup_f32 v6, v5, v4, 1.0
	s_delay_alu instid0(VALU_DEP_1)
	v_mul_f32_e64 v7, v7, -v6
.LBB99_268:
	s_or_b32 exec_lo, exec_lo, s1
	ds_store_b64 v87, v[6:7]
.LBB99_269:
	s_or_b32 exec_lo, exec_lo, s2
	s_wait_dscnt 0x0
	s_barrier_signal -1
	s_barrier_wait -1
	ds_load_b64 v[4:5], v87
	s_mov_b32 s1, exec_lo
	v_cmpx_lt_u32_e32 29, v86
	s_cbranch_execz .LBB99_271
; %bb.270:
	ds_load_2addr_b64 v[10:13], v96 offset0:30 offset1:31
	s_wait_dscnt 0x1
	v_pk_mul_f32 v[8:9], v[4:5], v[124:125] op_sel:[1,1] op_sel_hi:[0,1]
	s_delay_alu instid0(VALU_DEP_1) | instskip(SKIP_1) | instid1(VALU_DEP_1)
	v_pk_fma_f32 v[6:7], v[4:5], v[124:125], v[8:9] op_sel_hi:[1,0,1] neg_lo:[0,0,1] neg_hi:[0,0,1]
	v_pk_fma_f32 v[8:9], v[4:5], v[124:125], v[8:9] op_sel_hi:[1,0,1]
	v_dual_mov_b32 v124, v6 :: v_dual_mov_b32 v125, v9
	s_wait_dscnt 0x0
	s_delay_alu instid0(VALU_DEP_2) | instskip(NEXT) | instid1(VALU_DEP_1)
	v_pk_mul_f32 v[14:15], v[10:11], v[8:9] op_sel:[0,1]
	v_pk_fma_f32 v[18:19], v[10:11], v[6:7], v[14:15] op_sel:[0,0,1] op_sel_hi:[1,1,0] neg_lo:[0,0,1] neg_hi:[0,0,1]
	v_pk_fma_f32 v[10:11], v[10:11], v[6:7], v[14:15] op_sel:[0,0,1] op_sel_hi:[1,0,0]
	s_delay_alu instid0(VALU_DEP_1) | instskip(SKIP_1) | instid1(VALU_DEP_1)
	v_mov_b32_e32 v19, v11
	v_pk_mul_f32 v[10:11], v[12:13], v[8:9] op_sel:[0,1]
	v_pk_fma_f32 v[14:15], v[12:13], v[6:7], v[10:11] op_sel:[0,0,1] op_sel_hi:[1,1,0] neg_lo:[0,0,1] neg_hi:[0,0,1]
	v_pk_fma_f32 v[10:11], v[12:13], v[6:7], v[10:11] op_sel:[0,0,1] op_sel_hi:[1,0,0]
	s_delay_alu instid0(VALU_DEP_1)
	v_mov_b32_e32 v15, v11
	ds_load_2addr_b64 v[10:13], v96 offset0:32 offset1:33
	v_pk_add_f32 v[126:127], v[126:127], v[18:19] neg_lo:[0,1] neg_hi:[0,1]
	v_pk_add_f32 v[122:123], v[122:123], v[14:15] neg_lo:[0,1] neg_hi:[0,1]
	s_wait_dscnt 0x0
	v_pk_mul_f32 v[14:15], v[10:11], v[8:9] op_sel:[0,1]
	s_delay_alu instid0(VALU_DEP_1) | instskip(SKIP_2) | instid1(VALU_DEP_2)
	v_pk_fma_f32 v[18:19], v[10:11], v[6:7], v[14:15] op_sel:[0,0,1] op_sel_hi:[1,1,0] neg_lo:[0,0,1] neg_hi:[0,0,1]
	v_pk_fma_f32 v[10:11], v[10:11], v[6:7], v[14:15] op_sel:[0,0,1] op_sel_hi:[1,0,0]
	v_dual_mul_f32 v14, v13, v9 :: v_dual_mov_b32 v10, v13
	v_dual_mov_b32 v19, v11 :: v_dual_mov_b32 v11, v12
	s_delay_alu instid0(VALU_DEP_2) | instskip(SKIP_1) | instid1(VALU_DEP_3)
	v_pk_fma_f32 v[14:15], v[12:13], v[124:125], v[14:15] op_sel_hi:[1,1,0] neg_lo:[0,0,1] neg_hi:[0,0,1]
	v_mul_f32_e32 v12, v13, v6
	v_pk_add_f32 v[144:145], v[144:145], v[18:19] neg_lo:[0,1] neg_hi:[0,1]
	s_delay_alu instid0(VALU_DEP_2) | instskip(NEXT) | instid1(VALU_DEP_1)
	v_pk_fma_f32 v[10:11], v[10:11], v[124:125], v[12:13] op_sel_hi:[1,1,0]
	v_mov_b32_e32 v15, v11
	ds_load_2addr_b64 v[10:13], v96 offset0:34 offset1:35
	v_pk_add_f32 v[140:141], v[140:141], v[14:15] neg_lo:[0,1] neg_hi:[0,1]
	s_wait_dscnt 0x0
	v_pk_mul_f32 v[14:15], v[10:11], v[8:9] op_sel:[0,1]
	s_delay_alu instid0(VALU_DEP_1) | instskip(SKIP_1) | instid1(VALU_DEP_1)
	v_pk_fma_f32 v[18:19], v[10:11], v[6:7], v[14:15] op_sel:[0,0,1] op_sel_hi:[1,1,0] neg_lo:[0,0,1] neg_hi:[0,0,1]
	v_pk_fma_f32 v[10:11], v[10:11], v[6:7], v[14:15] op_sel:[0,0,1] op_sel_hi:[1,0,0]
	v_mov_b32_e32 v19, v11
	v_pk_mul_f32 v[10:11], v[12:13], v[8:9] op_sel:[0,1]
	s_delay_alu instid0(VALU_DEP_1) | instskip(SKIP_1) | instid1(VALU_DEP_1)
	v_pk_fma_f32 v[14:15], v[12:13], v[6:7], v[10:11] op_sel:[0,0,1] op_sel_hi:[1,1,0] neg_lo:[0,0,1] neg_hi:[0,0,1]
	v_pk_fma_f32 v[10:11], v[12:13], v[6:7], v[10:11] op_sel:[0,0,1] op_sel_hi:[1,0,0]
	v_mov_b32_e32 v15, v11
	ds_load_2addr_b64 v[10:13], v96 offset0:36 offset1:37
	v_pk_add_f32 v[142:143], v[142:143], v[18:19] neg_lo:[0,1] neg_hi:[0,1]
	v_pk_add_f32 v[138:139], v[138:139], v[14:15] neg_lo:[0,1] neg_hi:[0,1]
	s_wait_dscnt 0x0
	v_pk_mul_f32 v[14:15], v[10:11], v[8:9] op_sel:[0,1]
	s_delay_alu instid0(VALU_DEP_1) | instskip(SKIP_1) | instid1(VALU_DEP_1)
	v_pk_fma_f32 v[18:19], v[10:11], v[6:7], v[14:15] op_sel:[0,0,1] op_sel_hi:[1,1,0] neg_lo:[0,0,1] neg_hi:[0,0,1]
	v_pk_fma_f32 v[10:11], v[10:11], v[6:7], v[14:15] op_sel:[0,0,1] op_sel_hi:[1,0,0]
	v_mov_b32_e32 v19, v11
	v_pk_mul_f32 v[10:11], v[12:13], v[8:9] op_sel:[0,1]
	s_delay_alu instid0(VALU_DEP_1) | instskip(SKIP_1) | instid1(VALU_DEP_1)
	v_pk_fma_f32 v[14:15], v[12:13], v[6:7], v[10:11] op_sel:[0,0,1] op_sel_hi:[1,1,0] neg_lo:[0,0,1] neg_hi:[0,0,1]
	v_pk_fma_f32 v[10:11], v[12:13], v[6:7], v[10:11] op_sel:[0,0,1] op_sel_hi:[1,0,0]
	v_mov_b32_e32 v15, v11
	ds_load_2addr_b64 v[10:13], v96 offset0:38 offset1:39
	v_pk_add_f32 v[162:163], v[162:163], v[18:19] neg_lo:[0,1] neg_hi:[0,1]
	v_pk_add_f32 v[158:159], v[158:159], v[14:15] neg_lo:[0,1] neg_hi:[0,1]
	s_wait_dscnt 0x0
	v_dual_mul_f32 v14, v11, v9 :: v_dual_mul_f32 v18, v11, v6
	s_delay_alu instid0(VALU_DEP_1) | instskip(NEXT) | instid1(VALU_DEP_2)
	v_pk_fma_f32 v[14:15], v[10:11], v[124:125], v[14:15] op_sel_hi:[1,1,0] neg_lo:[0,0,1] neg_hi:[0,0,1]
	v_pk_fma_f32 v[10:11], v[10:11], v[124:125], v[18:19] op_sel:[1,0,0] op_sel_hi:[0,1,0]
	s_delay_alu instid0(VALU_DEP_1) | instskip(SKIP_1) | instid1(VALU_DEP_2)
	v_mov_b32_e32 v15, v11
	v_pk_mul_f32 v[10:11], v[12:13], v[8:9] op_sel:[0,1]
	v_pk_add_f32 v[160:161], v[160:161], v[14:15] neg_lo:[0,1] neg_hi:[0,1]
	s_delay_alu instid0(VALU_DEP_2) | instskip(SKIP_1) | instid1(VALU_DEP_1)
	v_pk_fma_f32 v[14:15], v[12:13], v[6:7], v[10:11] op_sel:[0,0,1] op_sel_hi:[1,1,0] neg_lo:[0,0,1] neg_hi:[0,0,1]
	v_pk_fma_f32 v[10:11], v[12:13], v[6:7], v[10:11] op_sel:[0,0,1] op_sel_hi:[1,0,0]
	v_mov_b32_e32 v15, v11
	ds_load_2addr_b64 v[10:13], v96 offset0:40 offset1:41
	v_pk_add_f32 v[156:157], v[156:157], v[14:15] neg_lo:[0,1] neg_hi:[0,1]
	s_wait_dscnt 0x0
	v_pk_mul_f32 v[14:15], v[10:11], v[8:9] op_sel:[0,1]
	s_delay_alu instid0(VALU_DEP_1) | instskip(SKIP_1) | instid1(VALU_DEP_1)
	v_pk_fma_f32 v[18:19], v[10:11], v[6:7], v[14:15] op_sel:[0,0,1] op_sel_hi:[1,1,0] neg_lo:[0,0,1] neg_hi:[0,0,1]
	v_pk_fma_f32 v[10:11], v[10:11], v[6:7], v[14:15] op_sel:[0,0,1] op_sel_hi:[1,0,0]
	v_mov_b32_e32 v19, v11
	v_pk_mul_f32 v[10:11], v[12:13], v[8:9] op_sel:[0,1]
	s_delay_alu instid0(VALU_DEP_2) | instskip(NEXT) | instid1(VALU_DEP_2)
	v_pk_add_f32 v[180:181], v[180:181], v[18:19] neg_lo:[0,1] neg_hi:[0,1]
	v_pk_fma_f32 v[14:15], v[12:13], v[6:7], v[10:11] op_sel:[0,0,1] op_sel_hi:[1,1,0] neg_lo:[0,0,1] neg_hi:[0,0,1]
	v_pk_fma_f32 v[10:11], v[12:13], v[6:7], v[10:11] op_sel:[0,0,1] op_sel_hi:[1,0,0]
	s_delay_alu instid0(VALU_DEP_1) | instskip(SKIP_4) | instid1(VALU_DEP_1)
	v_mov_b32_e32 v15, v11
	ds_load_2addr_b64 v[10:13], v96 offset0:42 offset1:43
	v_pk_add_f32 v[176:177], v[176:177], v[14:15] neg_lo:[0,1] neg_hi:[0,1]
	s_wait_dscnt 0x0
	v_pk_mul_f32 v[14:15], v[10:11], v[8:9] op_sel:[0,1]
	v_pk_fma_f32 v[18:19], v[10:11], v[6:7], v[14:15] op_sel:[0,0,1] op_sel_hi:[1,1,0] neg_lo:[0,0,1] neg_hi:[0,0,1]
	v_pk_fma_f32 v[10:11], v[10:11], v[6:7], v[14:15] op_sel:[0,0,1] op_sel_hi:[1,0,0]
	v_dual_mul_f32 v14, v13, v9 :: v_dual_mov_b32 v10, v13
	s_delay_alu instid0(VALU_DEP_2) | instskip(NEXT) | instid1(VALU_DEP_2)
	v_dual_mov_b32 v19, v11 :: v_dual_mov_b32 v11, v12
	v_pk_fma_f32 v[14:15], v[12:13], v[124:125], v[14:15] op_sel_hi:[1,1,0] neg_lo:[0,0,1] neg_hi:[0,0,1]
	v_mul_f32_e32 v12, v13, v6
	s_delay_alu instid0(VALU_DEP_3) | instskip(NEXT) | instid1(VALU_DEP_2)
	v_pk_add_f32 v[178:179], v[178:179], v[18:19] neg_lo:[0,1] neg_hi:[0,1]
	v_pk_fma_f32 v[10:11], v[10:11], v[124:125], v[12:13] op_sel_hi:[1,1,0]
	s_delay_alu instid0(VALU_DEP_1) | instskip(SKIP_4) | instid1(VALU_DEP_1)
	v_mov_b32_e32 v15, v11
	ds_load_2addr_b64 v[10:13], v96 offset0:44 offset1:45
	v_pk_add_f32 v[174:175], v[174:175], v[14:15] neg_lo:[0,1] neg_hi:[0,1]
	s_wait_dscnt 0x0
	v_pk_mul_f32 v[14:15], v[10:11], v[8:9] op_sel:[0,1]
	v_pk_fma_f32 v[18:19], v[10:11], v[6:7], v[14:15] op_sel:[0,0,1] op_sel_hi:[1,1,0] neg_lo:[0,0,1] neg_hi:[0,0,1]
	v_pk_fma_f32 v[10:11], v[10:11], v[6:7], v[14:15] op_sel:[0,0,1] op_sel_hi:[1,0,0]
	s_delay_alu instid0(VALU_DEP_1) | instskip(SKIP_1) | instid1(VALU_DEP_1)
	v_mov_b32_e32 v19, v11
	v_pk_mul_f32 v[10:11], v[12:13], v[8:9] op_sel:[0,1]
	v_pk_fma_f32 v[14:15], v[12:13], v[6:7], v[10:11] op_sel:[0,0,1] op_sel_hi:[1,1,0] neg_lo:[0,0,1] neg_hi:[0,0,1]
	v_pk_fma_f32 v[10:11], v[12:13], v[6:7], v[10:11] op_sel:[0,0,1] op_sel_hi:[1,0,0]
	s_delay_alu instid0(VALU_DEP_1)
	v_mov_b32_e32 v15, v11
	ds_load_2addr_b64 v[10:13], v96 offset0:46 offset1:47
	v_pk_add_f32 v[196:197], v[196:197], v[18:19] neg_lo:[0,1] neg_hi:[0,1]
	v_pk_add_f32 v[192:193], v[192:193], v[14:15] neg_lo:[0,1] neg_hi:[0,1]
	s_wait_dscnt 0x0
	v_pk_mul_f32 v[14:15], v[10:11], v[8:9] op_sel:[0,1]
	s_delay_alu instid0(VALU_DEP_1) | instskip(SKIP_1) | instid1(VALU_DEP_1)
	v_pk_fma_f32 v[18:19], v[10:11], v[6:7], v[14:15] op_sel:[0,0,1] op_sel_hi:[1,1,0] neg_lo:[0,0,1] neg_hi:[0,0,1]
	v_pk_fma_f32 v[10:11], v[10:11], v[6:7], v[14:15] op_sel:[0,0,1] op_sel_hi:[1,0,0]
	v_mov_b32_e32 v19, v11
	v_pk_mul_f32 v[10:11], v[12:13], v[8:9] op_sel:[0,1]
	s_delay_alu instid0(VALU_DEP_1) | instskip(SKIP_1) | instid1(VALU_DEP_1)
	v_pk_fma_f32 v[14:15], v[12:13], v[6:7], v[10:11] op_sel:[0,0,1] op_sel_hi:[1,1,0] neg_lo:[0,0,1] neg_hi:[0,0,1]
	v_pk_fma_f32 v[10:11], v[12:13], v[6:7], v[10:11] op_sel:[0,0,1] op_sel_hi:[1,0,0]
	v_mov_b32_e32 v15, v11
	ds_load_2addr_b64 v[10:13], v96 offset0:48 offset1:49
	v_pk_add_f32 v[194:195], v[194:195], v[18:19] neg_lo:[0,1] neg_hi:[0,1]
	v_pk_add_f32 v[190:191], v[190:191], v[14:15] neg_lo:[0,1] neg_hi:[0,1]
	s_wait_dscnt 0x0
	v_dual_mul_f32 v14, v11, v9 :: v_dual_mul_f32 v18, v11, v6
	v_pk_mul_f32 v[8:9], v[12:13], v[8:9] op_sel:[0,1]
	s_delay_alu instid0(VALU_DEP_2) | instskip(NEXT) | instid1(VALU_DEP_3)
	v_pk_fma_f32 v[14:15], v[10:11], v[124:125], v[14:15] op_sel_hi:[1,1,0] neg_lo:[0,0,1] neg_hi:[0,0,1]
	v_pk_fma_f32 v[10:11], v[10:11], v[124:125], v[18:19] op_sel:[1,0,0] op_sel_hi:[0,1,0]
	s_delay_alu instid0(VALU_DEP_1) | instskip(NEXT) | instid1(VALU_DEP_4)
	v_mov_b32_e32 v15, v11
	v_pk_fma_f32 v[10:11], v[12:13], v[6:7], v[8:9] op_sel:[0,0,1] op_sel_hi:[1,1,0] neg_lo:[0,0,1] neg_hi:[0,0,1]
	v_pk_fma_f32 v[6:7], v[12:13], v[6:7], v[8:9] op_sel:[0,0,1] op_sel_hi:[1,0,0]
	s_delay_alu instid0(VALU_DEP_1) | instskip(NEXT) | instid1(VALU_DEP_4)
	v_mov_b32_e32 v11, v7
	v_pk_add_f32 v[198:199], v[198:199], v[14:15] neg_lo:[0,1] neg_hi:[0,1]
	s_delay_alu instid0(VALU_DEP_2)
	v_pk_add_f32 v[200:201], v[200:201], v[10:11] neg_lo:[0,1] neg_hi:[0,1]
.LBB99_271:
	s_or_b32 exec_lo, exec_lo, s1
	s_delay_alu instid0(SALU_CYCLE_1)
	s_mov_b32 s2, exec_lo
	s_wait_dscnt 0x0
	s_barrier_signal -1
	s_barrier_wait -1
	v_cmpx_eq_u32_e32 30, v86
	s_cbranch_execz .LBB99_278
; %bb.272:
	ds_store_b64 v87, v[126:127]
	ds_store_2addr_b64 v96, v[122:123], v[144:145] offset0:31 offset1:32
	ds_store_2addr_b64 v96, v[140:141], v[142:143] offset0:33 offset1:34
	;; [unrolled: 1-line block ×9, first 2 shown]
	ds_store_b64 v96, v[200:201] offset:392
	ds_load_b64 v[6:7], v87
	s_wait_dscnt 0x0
	v_cmp_neq_f32_e32 vcc_lo, 0, v6
	v_cmp_neq_f32_e64 s1, 0, v7
	s_or_b32 s1, vcc_lo, s1
	s_delay_alu instid0(SALU_CYCLE_1)
	s_and_b32 exec_lo, exec_lo, s1
	s_cbranch_execz .LBB99_278
; %bb.273:
	v_cmp_ngt_f32_e64 s1, |v6|, |v7|
                                        ; implicit-def: $vgpr8_vgpr9
	s_and_saveexec_b32 s4, s1
	s_delay_alu instid0(SALU_CYCLE_1)
	s_xor_b32 s1, exec_lo, s4
	s_cbranch_execz .LBB99_275
; %bb.274:
	v_div_scale_f32 v8, null, v7, v7, v6
	v_div_scale_f32 v11, vcc_lo, v6, v7, v6
	s_delay_alu instid0(VALU_DEP_2) | instskip(SKIP_1) | instid1(TRANS32_DEP_1)
	v_rcp_f32_e32 v9, v8
	v_nop
	v_fma_f32 v10, -v8, v9, 1.0
	s_delay_alu instid0(VALU_DEP_1) | instskip(NEXT) | instid1(VALU_DEP_1)
	v_fmac_f32_e32 v9, v10, v9
	v_mul_f32_e32 v10, v11, v9
	s_delay_alu instid0(VALU_DEP_1) | instskip(NEXT) | instid1(VALU_DEP_1)
	v_fma_f32 v12, -v8, v10, v11
	v_fmac_f32_e32 v10, v12, v9
	s_delay_alu instid0(VALU_DEP_1) | instskip(NEXT) | instid1(VALU_DEP_1)
	v_fma_f32 v8, -v8, v10, v11
	v_div_fmas_f32 v8, v8, v9, v10
	s_delay_alu instid0(VALU_DEP_1) | instskip(NEXT) | instid1(VALU_DEP_1)
	v_div_fixup_f32 v8, v8, v7, v6
	v_fmac_f32_e32 v7, v6, v8
	s_delay_alu instid0(VALU_DEP_1) | instskip(SKIP_1) | instid1(VALU_DEP_2)
	v_div_scale_f32 v6, null, v7, v7, 1.0
	v_div_scale_f32 v11, vcc_lo, 1.0, v7, 1.0
	v_rcp_f32_e32 v9, v6
	v_nop
	s_delay_alu instid0(TRANS32_DEP_1) | instskip(NEXT) | instid1(VALU_DEP_1)
	v_fma_f32 v10, -v6, v9, 1.0
	v_fmac_f32_e32 v9, v10, v9
	s_delay_alu instid0(VALU_DEP_1) | instskip(NEXT) | instid1(VALU_DEP_1)
	v_mul_f32_e32 v10, v11, v9
	v_fma_f32 v12, -v6, v10, v11
	s_delay_alu instid0(VALU_DEP_1) | instskip(NEXT) | instid1(VALU_DEP_1)
	v_fmac_f32_e32 v10, v12, v9
	v_fma_f32 v6, -v6, v10, v11
	s_delay_alu instid0(VALU_DEP_1) | instskip(NEXT) | instid1(VALU_DEP_1)
	v_div_fmas_f32 v6, v6, v9, v10
	v_div_fixup_f32 v6, v6, v7, 1.0
	s_delay_alu instid0(VALU_DEP_1)
	v_mul_f32_e32 v8, v8, v6
	v_xor_b32_e32 v9, 0x80000000, v6
                                        ; implicit-def: $vgpr6_vgpr7
.LBB99_275:
	s_and_not1_saveexec_b32 s1, s1
	s_cbranch_execz .LBB99_277
; %bb.276:
	v_div_scale_f32 v8, null, v6, v6, v7
	v_div_scale_f32 v11, vcc_lo, v7, v6, v7
	s_delay_alu instid0(VALU_DEP_2) | instskip(SKIP_1) | instid1(TRANS32_DEP_1)
	v_rcp_f32_e32 v9, v8
	v_nop
	v_fma_f32 v10, -v8, v9, 1.0
	s_delay_alu instid0(VALU_DEP_1) | instskip(NEXT) | instid1(VALU_DEP_1)
	v_fmac_f32_e32 v9, v10, v9
	v_mul_f32_e32 v10, v11, v9
	s_delay_alu instid0(VALU_DEP_1) | instskip(NEXT) | instid1(VALU_DEP_1)
	v_fma_f32 v12, -v8, v10, v11
	v_fmac_f32_e32 v10, v12, v9
	s_delay_alu instid0(VALU_DEP_1) | instskip(NEXT) | instid1(VALU_DEP_1)
	v_fma_f32 v8, -v8, v10, v11
	v_div_fmas_f32 v8, v8, v9, v10
	s_delay_alu instid0(VALU_DEP_1) | instskip(NEXT) | instid1(VALU_DEP_1)
	v_div_fixup_f32 v9, v8, v6, v7
	v_fmac_f32_e32 v6, v7, v9
	s_delay_alu instid0(VALU_DEP_1) | instskip(NEXT) | instid1(VALU_DEP_1)
	v_div_scale_f32 v7, null, v6, v6, 1.0
	v_rcp_f32_e32 v8, v7
	v_nop
	s_delay_alu instid0(TRANS32_DEP_1) | instskip(NEXT) | instid1(VALU_DEP_1)
	v_fma_f32 v10, -v7, v8, 1.0
	v_fmac_f32_e32 v8, v10, v8
	v_div_scale_f32 v10, vcc_lo, 1.0, v6, 1.0
	s_delay_alu instid0(VALU_DEP_1) | instskip(NEXT) | instid1(VALU_DEP_1)
	v_mul_f32_e32 v11, v10, v8
	v_fma_f32 v12, -v7, v11, v10
	s_delay_alu instid0(VALU_DEP_1) | instskip(NEXT) | instid1(VALU_DEP_1)
	v_fmac_f32_e32 v11, v12, v8
	v_fma_f32 v7, -v7, v11, v10
	s_delay_alu instid0(VALU_DEP_1) | instskip(NEXT) | instid1(VALU_DEP_1)
	v_div_fmas_f32 v7, v7, v8, v11
	v_div_fixup_f32 v8, v7, v6, 1.0
	s_delay_alu instid0(VALU_DEP_1)
	v_mul_f32_e64 v9, v9, -v8
.LBB99_277:
	s_or_b32 exec_lo, exec_lo, s1
	ds_store_b64 v87, v[8:9]
.LBB99_278:
	s_or_b32 exec_lo, exec_lo, s2
	s_wait_dscnt 0x0
	s_barrier_signal -1
	s_barrier_wait -1
	ds_load_b64 v[6:7], v87
	s_mov_b32 s1, exec_lo
	v_cmpx_lt_u32_e32 30, v86
	s_cbranch_execz .LBB99_280
; %bb.279:
	ds_load_2addr_b64 v[12:15], v96 offset0:31 offset1:32
	s_wait_dscnt 0x1
	v_pk_mul_f32 v[10:11], v[6:7], v[126:127] op_sel:[1,1] op_sel_hi:[0,1]
	s_delay_alu instid0(VALU_DEP_1) | instskip(SKIP_1) | instid1(VALU_DEP_1)
	v_pk_fma_f32 v[8:9], v[6:7], v[126:127], v[10:11] op_sel_hi:[1,0,1] neg_lo:[0,0,1] neg_hi:[0,0,1]
	v_pk_fma_f32 v[10:11], v[6:7], v[126:127], v[10:11] op_sel_hi:[1,0,1]
	v_dual_mov_b32 v126, v8 :: v_dual_mov_b32 v127, v11
	s_wait_dscnt 0x0
	s_delay_alu instid0(VALU_DEP_2) | instskip(NEXT) | instid1(VALU_DEP_1)
	v_pk_mul_f32 v[18:19], v[12:13], v[10:11] op_sel:[0,1]
	v_pk_fma_f32 v[26:27], v[12:13], v[8:9], v[18:19] op_sel:[0,0,1] op_sel_hi:[1,1,0] neg_lo:[0,0,1] neg_hi:[0,0,1]
	v_pk_fma_f32 v[12:13], v[12:13], v[8:9], v[18:19] op_sel:[0,0,1] op_sel_hi:[1,0,0]
	s_delay_alu instid0(VALU_DEP_1) | instskip(SKIP_1) | instid1(VALU_DEP_1)
	v_mov_b32_e32 v27, v13
	v_pk_mul_f32 v[12:13], v[14:15], v[10:11] op_sel:[0,1]
	v_pk_fma_f32 v[18:19], v[14:15], v[8:9], v[12:13] op_sel:[0,0,1] op_sel_hi:[1,1,0] neg_lo:[0,0,1] neg_hi:[0,0,1]
	v_pk_fma_f32 v[12:13], v[14:15], v[8:9], v[12:13] op_sel:[0,0,1] op_sel_hi:[1,0,0]
	s_delay_alu instid0(VALU_DEP_1)
	v_mov_b32_e32 v19, v13
	ds_load_2addr_b64 v[12:15], v96 offset0:33 offset1:34
	v_pk_add_f32 v[122:123], v[122:123], v[26:27] neg_lo:[0,1] neg_hi:[0,1]
	v_pk_add_f32 v[144:145], v[144:145], v[18:19] neg_lo:[0,1] neg_hi:[0,1]
	s_wait_dscnt 0x0
	v_pk_mul_f32 v[18:19], v[12:13], v[10:11] op_sel:[0,1]
	s_delay_alu instid0(VALU_DEP_1) | instskip(SKIP_2) | instid1(VALU_DEP_2)
	v_pk_fma_f32 v[26:27], v[12:13], v[8:9], v[18:19] op_sel:[0,0,1] op_sel_hi:[1,1,0] neg_lo:[0,0,1] neg_hi:[0,0,1]
	v_pk_fma_f32 v[12:13], v[12:13], v[8:9], v[18:19] op_sel:[0,0,1] op_sel_hi:[1,0,0]
	v_dual_mul_f32 v18, v15, v11 :: v_dual_mov_b32 v12, v15
	v_dual_mov_b32 v27, v13 :: v_dual_mov_b32 v13, v14
	s_delay_alu instid0(VALU_DEP_2) | instskip(SKIP_1) | instid1(VALU_DEP_3)
	v_pk_fma_f32 v[18:19], v[14:15], v[126:127], v[18:19] op_sel_hi:[1,1,0] neg_lo:[0,0,1] neg_hi:[0,0,1]
	v_mul_f32_e32 v14, v15, v8
	v_pk_add_f32 v[140:141], v[140:141], v[26:27] neg_lo:[0,1] neg_hi:[0,1]
	s_delay_alu instid0(VALU_DEP_2) | instskip(NEXT) | instid1(VALU_DEP_1)
	v_pk_fma_f32 v[12:13], v[12:13], v[126:127], v[14:15] op_sel_hi:[1,1,0]
	v_mov_b32_e32 v19, v13
	ds_load_2addr_b64 v[12:15], v96 offset0:35 offset1:36
	v_pk_add_f32 v[142:143], v[142:143], v[18:19] neg_lo:[0,1] neg_hi:[0,1]
	s_wait_dscnt 0x0
	v_pk_mul_f32 v[18:19], v[12:13], v[10:11] op_sel:[0,1]
	s_delay_alu instid0(VALU_DEP_1) | instskip(SKIP_1) | instid1(VALU_DEP_1)
	v_pk_fma_f32 v[26:27], v[12:13], v[8:9], v[18:19] op_sel:[0,0,1] op_sel_hi:[1,1,0] neg_lo:[0,0,1] neg_hi:[0,0,1]
	v_pk_fma_f32 v[12:13], v[12:13], v[8:9], v[18:19] op_sel:[0,0,1] op_sel_hi:[1,0,0]
	v_mov_b32_e32 v27, v13
	v_pk_mul_f32 v[12:13], v[14:15], v[10:11] op_sel:[0,1]
	s_delay_alu instid0(VALU_DEP_1) | instskip(SKIP_1) | instid1(VALU_DEP_1)
	v_pk_fma_f32 v[18:19], v[14:15], v[8:9], v[12:13] op_sel:[0,0,1] op_sel_hi:[1,1,0] neg_lo:[0,0,1] neg_hi:[0,0,1]
	v_pk_fma_f32 v[12:13], v[14:15], v[8:9], v[12:13] op_sel:[0,0,1] op_sel_hi:[1,0,0]
	v_mov_b32_e32 v19, v13
	ds_load_2addr_b64 v[12:15], v96 offset0:37 offset1:38
	v_pk_add_f32 v[138:139], v[138:139], v[26:27] neg_lo:[0,1] neg_hi:[0,1]
	v_pk_add_f32 v[162:163], v[162:163], v[18:19] neg_lo:[0,1] neg_hi:[0,1]
	s_wait_dscnt 0x0
	v_pk_mul_f32 v[18:19], v[12:13], v[10:11] op_sel:[0,1]
	s_delay_alu instid0(VALU_DEP_1) | instskip(SKIP_1) | instid1(VALU_DEP_1)
	v_pk_fma_f32 v[26:27], v[12:13], v[8:9], v[18:19] op_sel:[0,0,1] op_sel_hi:[1,1,0] neg_lo:[0,0,1] neg_hi:[0,0,1]
	v_pk_fma_f32 v[12:13], v[12:13], v[8:9], v[18:19] op_sel:[0,0,1] op_sel_hi:[1,0,0]
	v_mov_b32_e32 v27, v13
	v_pk_mul_f32 v[12:13], v[14:15], v[10:11] op_sel:[0,1]
	s_delay_alu instid0(VALU_DEP_1) | instskip(SKIP_1) | instid1(VALU_DEP_1)
	v_pk_fma_f32 v[18:19], v[14:15], v[8:9], v[12:13] op_sel:[0,0,1] op_sel_hi:[1,1,0] neg_lo:[0,0,1] neg_hi:[0,0,1]
	v_pk_fma_f32 v[12:13], v[14:15], v[8:9], v[12:13] op_sel:[0,0,1] op_sel_hi:[1,0,0]
	v_mov_b32_e32 v19, v13
	ds_load_2addr_b64 v[12:15], v96 offset0:39 offset1:40
	v_pk_add_f32 v[158:159], v[158:159], v[26:27] neg_lo:[0,1] neg_hi:[0,1]
	v_pk_add_f32 v[160:161], v[160:161], v[18:19] neg_lo:[0,1] neg_hi:[0,1]
	s_wait_dscnt 0x0
	v_dual_mul_f32 v18, v13, v11 :: v_dual_mul_f32 v26, v13, v8
	s_delay_alu instid0(VALU_DEP_1) | instskip(NEXT) | instid1(VALU_DEP_2)
	v_pk_fma_f32 v[18:19], v[12:13], v[126:127], v[18:19] op_sel_hi:[1,1,0] neg_lo:[0,0,1] neg_hi:[0,0,1]
	v_pk_fma_f32 v[12:13], v[12:13], v[126:127], v[26:27] op_sel:[1,0,0] op_sel_hi:[0,1,0]
	s_delay_alu instid0(VALU_DEP_1) | instskip(SKIP_1) | instid1(VALU_DEP_2)
	v_mov_b32_e32 v19, v13
	v_pk_mul_f32 v[12:13], v[14:15], v[10:11] op_sel:[0,1]
	v_pk_add_f32 v[156:157], v[156:157], v[18:19] neg_lo:[0,1] neg_hi:[0,1]
	s_delay_alu instid0(VALU_DEP_2) | instskip(SKIP_1) | instid1(VALU_DEP_1)
	v_pk_fma_f32 v[18:19], v[14:15], v[8:9], v[12:13] op_sel:[0,0,1] op_sel_hi:[1,1,0] neg_lo:[0,0,1] neg_hi:[0,0,1]
	v_pk_fma_f32 v[12:13], v[14:15], v[8:9], v[12:13] op_sel:[0,0,1] op_sel_hi:[1,0,0]
	v_mov_b32_e32 v19, v13
	ds_load_2addr_b64 v[12:15], v96 offset0:41 offset1:42
	v_pk_add_f32 v[180:181], v[180:181], v[18:19] neg_lo:[0,1] neg_hi:[0,1]
	s_wait_dscnt 0x0
	v_pk_mul_f32 v[18:19], v[12:13], v[10:11] op_sel:[0,1]
	s_delay_alu instid0(VALU_DEP_1) | instskip(SKIP_1) | instid1(VALU_DEP_1)
	v_pk_fma_f32 v[26:27], v[12:13], v[8:9], v[18:19] op_sel:[0,0,1] op_sel_hi:[1,1,0] neg_lo:[0,0,1] neg_hi:[0,0,1]
	v_pk_fma_f32 v[12:13], v[12:13], v[8:9], v[18:19] op_sel:[0,0,1] op_sel_hi:[1,0,0]
	v_mov_b32_e32 v27, v13
	v_pk_mul_f32 v[12:13], v[14:15], v[10:11] op_sel:[0,1]
	s_delay_alu instid0(VALU_DEP_2) | instskip(NEXT) | instid1(VALU_DEP_2)
	v_pk_add_f32 v[176:177], v[176:177], v[26:27] neg_lo:[0,1] neg_hi:[0,1]
	v_pk_fma_f32 v[18:19], v[14:15], v[8:9], v[12:13] op_sel:[0,0,1] op_sel_hi:[1,1,0] neg_lo:[0,0,1] neg_hi:[0,0,1]
	v_pk_fma_f32 v[12:13], v[14:15], v[8:9], v[12:13] op_sel:[0,0,1] op_sel_hi:[1,0,0]
	s_delay_alu instid0(VALU_DEP_1) | instskip(SKIP_4) | instid1(VALU_DEP_1)
	v_mov_b32_e32 v19, v13
	ds_load_2addr_b64 v[12:15], v96 offset0:43 offset1:44
	v_pk_add_f32 v[178:179], v[178:179], v[18:19] neg_lo:[0,1] neg_hi:[0,1]
	s_wait_dscnt 0x0
	v_pk_mul_f32 v[18:19], v[12:13], v[10:11] op_sel:[0,1]
	v_pk_fma_f32 v[26:27], v[12:13], v[8:9], v[18:19] op_sel:[0,0,1] op_sel_hi:[1,1,0] neg_lo:[0,0,1] neg_hi:[0,0,1]
	v_pk_fma_f32 v[12:13], v[12:13], v[8:9], v[18:19] op_sel:[0,0,1] op_sel_hi:[1,0,0]
	v_dual_mul_f32 v18, v15, v11 :: v_dual_mov_b32 v12, v15
	s_delay_alu instid0(VALU_DEP_2) | instskip(NEXT) | instid1(VALU_DEP_2)
	v_dual_mov_b32 v27, v13 :: v_dual_mov_b32 v13, v14
	v_pk_fma_f32 v[18:19], v[14:15], v[126:127], v[18:19] op_sel_hi:[1,1,0] neg_lo:[0,0,1] neg_hi:[0,0,1]
	v_mul_f32_e32 v14, v15, v8
	s_delay_alu instid0(VALU_DEP_3) | instskip(NEXT) | instid1(VALU_DEP_2)
	v_pk_add_f32 v[174:175], v[174:175], v[26:27] neg_lo:[0,1] neg_hi:[0,1]
	v_pk_fma_f32 v[12:13], v[12:13], v[126:127], v[14:15] op_sel_hi:[1,1,0]
	s_delay_alu instid0(VALU_DEP_1) | instskip(SKIP_4) | instid1(VALU_DEP_1)
	v_mov_b32_e32 v19, v13
	ds_load_2addr_b64 v[12:15], v96 offset0:45 offset1:46
	v_pk_add_f32 v[196:197], v[196:197], v[18:19] neg_lo:[0,1] neg_hi:[0,1]
	s_wait_dscnt 0x0
	v_pk_mul_f32 v[18:19], v[12:13], v[10:11] op_sel:[0,1]
	v_pk_fma_f32 v[26:27], v[12:13], v[8:9], v[18:19] op_sel:[0,0,1] op_sel_hi:[1,1,0] neg_lo:[0,0,1] neg_hi:[0,0,1]
	v_pk_fma_f32 v[12:13], v[12:13], v[8:9], v[18:19] op_sel:[0,0,1] op_sel_hi:[1,0,0]
	s_delay_alu instid0(VALU_DEP_1) | instskip(SKIP_1) | instid1(VALU_DEP_1)
	v_mov_b32_e32 v27, v13
	v_pk_mul_f32 v[12:13], v[14:15], v[10:11] op_sel:[0,1]
	v_pk_fma_f32 v[18:19], v[14:15], v[8:9], v[12:13] op_sel:[0,0,1] op_sel_hi:[1,1,0] neg_lo:[0,0,1] neg_hi:[0,0,1]
	v_pk_fma_f32 v[12:13], v[14:15], v[8:9], v[12:13] op_sel:[0,0,1] op_sel_hi:[1,0,0]
	s_delay_alu instid0(VALU_DEP_1)
	v_mov_b32_e32 v19, v13
	ds_load_2addr_b64 v[12:15], v96 offset0:47 offset1:48
	v_pk_add_f32 v[192:193], v[192:193], v[26:27] neg_lo:[0,1] neg_hi:[0,1]
	v_pk_add_f32 v[194:195], v[194:195], v[18:19] neg_lo:[0,1] neg_hi:[0,1]
	s_wait_dscnt 0x0
	v_pk_mul_f32 v[18:19], v[12:13], v[10:11] op_sel:[0,1]
	s_delay_alu instid0(VALU_DEP_1) | instskip(SKIP_1) | instid1(VALU_DEP_1)
	v_pk_fma_f32 v[26:27], v[12:13], v[8:9], v[18:19] op_sel:[0,0,1] op_sel_hi:[1,1,0] neg_lo:[0,0,1] neg_hi:[0,0,1]
	v_pk_fma_f32 v[12:13], v[12:13], v[8:9], v[18:19] op_sel:[0,0,1] op_sel_hi:[1,0,0]
	v_mov_b32_e32 v27, v13
	v_pk_mul_f32 v[12:13], v[14:15], v[10:11] op_sel:[0,1]
	s_delay_alu instid0(VALU_DEP_1) | instskip(SKIP_1) | instid1(VALU_DEP_1)
	v_pk_fma_f32 v[18:19], v[14:15], v[8:9], v[12:13] op_sel:[0,0,1] op_sel_hi:[1,1,0] neg_lo:[0,0,1] neg_hi:[0,0,1]
	v_pk_fma_f32 v[12:13], v[14:15], v[8:9], v[12:13] op_sel:[0,0,1] op_sel_hi:[1,0,0]
	v_mov_b32_e32 v19, v13
	ds_load_b64 v[12:13], v96 offset:392
	v_pk_add_f32 v[190:191], v[190:191], v[26:27] neg_lo:[0,1] neg_hi:[0,1]
	v_pk_add_f32 v[198:199], v[198:199], v[18:19] neg_lo:[0,1] neg_hi:[0,1]
	s_wait_dscnt 0x0
	v_pk_mul_f32 v[10:11], v[12:13], v[10:11] op_sel:[0,1]
	s_delay_alu instid0(VALU_DEP_1) | instskip(SKIP_1) | instid1(VALU_DEP_1)
	v_pk_fma_f32 v[14:15], v[12:13], v[8:9], v[10:11] op_sel:[0,0,1] op_sel_hi:[1,1,0] neg_lo:[0,0,1] neg_hi:[0,0,1]
	v_pk_fma_f32 v[8:9], v[12:13], v[8:9], v[10:11] op_sel:[0,0,1] op_sel_hi:[1,0,0]
	v_mov_b32_e32 v15, v9
	s_delay_alu instid0(VALU_DEP_1)
	v_pk_add_f32 v[200:201], v[200:201], v[14:15] neg_lo:[0,1] neg_hi:[0,1]
.LBB99_280:
	s_or_b32 exec_lo, exec_lo, s1
	s_delay_alu instid0(SALU_CYCLE_1)
	s_mov_b32 s2, exec_lo
	s_wait_dscnt 0x0
	s_barrier_signal -1
	s_barrier_wait -1
	v_cmpx_eq_u32_e32 31, v86
	s_cbranch_execz .LBB99_287
; %bb.281:
	v_dual_mov_b32 v8, v144 :: v_dual_mov_b32 v9, v145
	v_dual_mov_b32 v10, v140 :: v_dual_mov_b32 v11, v141
	ds_store_b64 v87, v[122:123]
	ds_store_2addr_b64 v96, v[8:9], v[10:11] offset0:32 offset1:33
	v_dual_mov_b32 v8, v142 :: v_dual_mov_b32 v9, v143
	v_dual_mov_b32 v10, v138 :: v_dual_mov_b32 v11, v139
	ds_store_2addr_b64 v96, v[8:9], v[10:11] offset0:34 offset1:35
	v_dual_mov_b32 v8, v162 :: v_dual_mov_b32 v9, v163
	v_dual_mov_b32 v10, v158 :: v_dual_mov_b32 v11, v159
	;; [unrolled: 3-line block ×7, first 2 shown]
	ds_store_2addr_b64 v96, v[8:9], v[10:11] offset0:46 offset1:47
	v_dual_mov_b32 v8, v198 :: v_dual_mov_b32 v9, v199
	ds_store_2addr_b64 v96, v[8:9], v[200:201] offset0:48 offset1:49
	ds_load_b64 v[8:9], v87
	s_wait_dscnt 0x0
	v_cmp_neq_f32_e32 vcc_lo, 0, v8
	v_cmp_neq_f32_e64 s1, 0, v9
	s_or_b32 s1, vcc_lo, s1
	s_delay_alu instid0(SALU_CYCLE_1)
	s_and_b32 exec_lo, exec_lo, s1
	s_cbranch_execz .LBB99_287
; %bb.282:
	v_cmp_ngt_f32_e64 s1, |v8|, |v9|
                                        ; implicit-def: $vgpr10_vgpr11
	s_and_saveexec_b32 s4, s1
	s_delay_alu instid0(SALU_CYCLE_1)
	s_xor_b32 s1, exec_lo, s4
	s_cbranch_execz .LBB99_284
; %bb.283:
	v_div_scale_f32 v10, null, v9, v9, v8
	v_div_scale_f32 v13, vcc_lo, v8, v9, v8
	s_delay_alu instid0(VALU_DEP_2) | instskip(SKIP_1) | instid1(TRANS32_DEP_1)
	v_rcp_f32_e32 v11, v10
	v_nop
	v_fma_f32 v12, -v10, v11, 1.0
	s_delay_alu instid0(VALU_DEP_1) | instskip(NEXT) | instid1(VALU_DEP_1)
	v_fmac_f32_e32 v11, v12, v11
	v_mul_f32_e32 v12, v13, v11
	s_delay_alu instid0(VALU_DEP_1) | instskip(NEXT) | instid1(VALU_DEP_1)
	v_fma_f32 v14, -v10, v12, v13
	v_fmac_f32_e32 v12, v14, v11
	s_delay_alu instid0(VALU_DEP_1) | instskip(NEXT) | instid1(VALU_DEP_1)
	v_fma_f32 v10, -v10, v12, v13
	v_div_fmas_f32 v10, v10, v11, v12
	s_delay_alu instid0(VALU_DEP_1) | instskip(NEXT) | instid1(VALU_DEP_1)
	v_div_fixup_f32 v10, v10, v9, v8
	v_fmac_f32_e32 v9, v8, v10
	s_delay_alu instid0(VALU_DEP_1) | instskip(SKIP_1) | instid1(VALU_DEP_2)
	v_div_scale_f32 v8, null, v9, v9, 1.0
	v_div_scale_f32 v13, vcc_lo, 1.0, v9, 1.0
	v_rcp_f32_e32 v11, v8
	v_nop
	s_delay_alu instid0(TRANS32_DEP_1) | instskip(NEXT) | instid1(VALU_DEP_1)
	v_fma_f32 v12, -v8, v11, 1.0
	v_fmac_f32_e32 v11, v12, v11
	s_delay_alu instid0(VALU_DEP_1) | instskip(NEXT) | instid1(VALU_DEP_1)
	v_mul_f32_e32 v12, v13, v11
	v_fma_f32 v14, -v8, v12, v13
	s_delay_alu instid0(VALU_DEP_1) | instskip(NEXT) | instid1(VALU_DEP_1)
	v_fmac_f32_e32 v12, v14, v11
	v_fma_f32 v8, -v8, v12, v13
	s_delay_alu instid0(VALU_DEP_1) | instskip(NEXT) | instid1(VALU_DEP_1)
	v_div_fmas_f32 v8, v8, v11, v12
	v_div_fixup_f32 v8, v8, v9, 1.0
	s_delay_alu instid0(VALU_DEP_1)
	v_mul_f32_e32 v10, v10, v8
	v_xor_b32_e32 v11, 0x80000000, v8
                                        ; implicit-def: $vgpr8_vgpr9
.LBB99_284:
	s_and_not1_saveexec_b32 s1, s1
	s_cbranch_execz .LBB99_286
; %bb.285:
	v_div_scale_f32 v10, null, v8, v8, v9
	v_div_scale_f32 v13, vcc_lo, v9, v8, v9
	s_delay_alu instid0(VALU_DEP_2) | instskip(SKIP_1) | instid1(TRANS32_DEP_1)
	v_rcp_f32_e32 v11, v10
	v_nop
	v_fma_f32 v12, -v10, v11, 1.0
	s_delay_alu instid0(VALU_DEP_1) | instskip(NEXT) | instid1(VALU_DEP_1)
	v_fmac_f32_e32 v11, v12, v11
	v_mul_f32_e32 v12, v13, v11
	s_delay_alu instid0(VALU_DEP_1) | instskip(NEXT) | instid1(VALU_DEP_1)
	v_fma_f32 v14, -v10, v12, v13
	v_fmac_f32_e32 v12, v14, v11
	s_delay_alu instid0(VALU_DEP_1) | instskip(NEXT) | instid1(VALU_DEP_1)
	v_fma_f32 v10, -v10, v12, v13
	v_div_fmas_f32 v10, v10, v11, v12
	s_delay_alu instid0(VALU_DEP_1) | instskip(NEXT) | instid1(VALU_DEP_1)
	v_div_fixup_f32 v11, v10, v8, v9
	v_fmac_f32_e32 v8, v9, v11
	s_delay_alu instid0(VALU_DEP_1) | instskip(NEXT) | instid1(VALU_DEP_1)
	v_div_scale_f32 v9, null, v8, v8, 1.0
	v_rcp_f32_e32 v10, v9
	v_nop
	s_delay_alu instid0(TRANS32_DEP_1) | instskip(NEXT) | instid1(VALU_DEP_1)
	v_fma_f32 v12, -v9, v10, 1.0
	v_fmac_f32_e32 v10, v12, v10
	v_div_scale_f32 v12, vcc_lo, 1.0, v8, 1.0
	s_delay_alu instid0(VALU_DEP_1) | instskip(NEXT) | instid1(VALU_DEP_1)
	v_mul_f32_e32 v13, v12, v10
	v_fma_f32 v14, -v9, v13, v12
	s_delay_alu instid0(VALU_DEP_1) | instskip(NEXT) | instid1(VALU_DEP_1)
	v_fmac_f32_e32 v13, v14, v10
	v_fma_f32 v9, -v9, v13, v12
	s_delay_alu instid0(VALU_DEP_1) | instskip(NEXT) | instid1(VALU_DEP_1)
	v_div_fmas_f32 v9, v9, v10, v13
	v_div_fixup_f32 v10, v9, v8, 1.0
	s_delay_alu instid0(VALU_DEP_1)
	v_mul_f32_e64 v11, v11, -v10
.LBB99_286:
	s_or_b32 exec_lo, exec_lo, s1
	ds_store_b64 v87, v[10:11]
.LBB99_287:
	s_or_b32 exec_lo, exec_lo, s2
	s_wait_dscnt 0x0
	s_barrier_signal -1
	s_barrier_wait -1
	ds_load_b64 v[8:9], v87
	s_mov_b32 s1, exec_lo
	v_cmpx_lt_u32_e32 31, v86
	s_cbranch_execz .LBB99_289
; %bb.288:
	ds_load_2addr_b64 v[26:29], v96 offset0:32 offset1:33
	s_wait_dscnt 0x1
	v_pk_mul_f32 v[12:13], v[8:9], v[122:123] op_sel:[1,1] op_sel_hi:[0,1]
	s_delay_alu instid0(VALU_DEP_1) | instskip(SKIP_1) | instid1(VALU_DEP_1)
	v_pk_fma_f32 v[10:11], v[8:9], v[122:123], v[12:13] op_sel_hi:[1,0,1] neg_lo:[0,0,1] neg_hi:[0,0,1]
	v_pk_fma_f32 v[12:13], v[8:9], v[122:123], v[12:13] op_sel_hi:[1,0,1]
	v_dual_mov_b32 v122, v10 :: v_dual_mov_b32 v123, v13
	s_wait_dscnt 0x0
	s_delay_alu instid0(VALU_DEP_2) | instskip(NEXT) | instid1(VALU_DEP_1)
	v_pk_mul_f32 v[14:15], v[26:27], v[12:13] op_sel:[0,1]
	v_pk_fma_f32 v[18:19], v[26:27], v[10:11], v[14:15] op_sel:[0,0,1] op_sel_hi:[1,1,0] neg_lo:[0,0,1] neg_hi:[0,0,1]
	v_pk_fma_f32 v[14:15], v[26:27], v[10:11], v[14:15] op_sel:[0,0,1] op_sel_hi:[1,0,0]
	s_delay_alu instid0(VALU_DEP_1) | instskip(SKIP_1) | instid1(VALU_DEP_2)
	v_mov_b32_e32 v19, v15
	v_pk_mul_f32 v[14:15], v[28:29], v[12:13] op_sel:[0,1]
	v_pk_add_f32 v[144:145], v[144:145], v[18:19] neg_lo:[0,1] neg_hi:[0,1]
	s_delay_alu instid0(VALU_DEP_2) | instskip(SKIP_3) | instid1(VALU_DEP_1)
	v_pk_fma_f32 v[18:19], v[28:29], v[10:11], v[14:15] op_sel:[0,0,1] op_sel_hi:[1,1,0] neg_lo:[0,0,1] neg_hi:[0,0,1]
	v_pk_fma_f32 v[14:15], v[28:29], v[10:11], v[14:15] op_sel:[0,0,1] op_sel_hi:[1,0,0]
	ds_load_2addr_b64 v[26:29], v96 offset0:34 offset1:35
	v_mov_b32_e32 v19, v15
	v_pk_add_f32 v[140:141], v[140:141], v[18:19] neg_lo:[0,1] neg_hi:[0,1]
	s_wait_dscnt 0x0
	v_pk_mul_f32 v[14:15], v[26:27], v[12:13] op_sel:[0,1]
	s_delay_alu instid0(VALU_DEP_1) | instskip(SKIP_2) | instid1(VALU_DEP_2)
	v_pk_fma_f32 v[18:19], v[26:27], v[10:11], v[14:15] op_sel:[0,0,1] op_sel_hi:[1,1,0] neg_lo:[0,0,1] neg_hi:[0,0,1]
	v_pk_fma_f32 v[14:15], v[26:27], v[10:11], v[14:15] op_sel:[0,0,1] op_sel_hi:[1,0,0]
	v_dual_mov_b32 v14, v29 :: v_dual_mul_f32 v26, v29, v10
	v_dual_mov_b32 v19, v15 :: v_dual_mov_b32 v15, v28
	s_delay_alu instid0(VALU_DEP_1) | instskip(SKIP_1) | instid1(VALU_DEP_3)
	v_pk_add_f32 v[142:143], v[142:143], v[18:19] neg_lo:[0,1] neg_hi:[0,1]
	v_mul_f32_e32 v18, v29, v13
	v_pk_fma_f32 v[14:15], v[14:15], v[122:123], v[26:27] op_sel_hi:[1,1,0]
	s_delay_alu instid0(VALU_DEP_2) | instskip(SKIP_2) | instid1(VALU_DEP_1)
	v_pk_fma_f32 v[18:19], v[28:29], v[122:123], v[18:19] op_sel_hi:[1,1,0] neg_lo:[0,0,1] neg_hi:[0,0,1]
	ds_load_2addr_b64 v[26:29], v96 offset0:36 offset1:37
	v_mov_b32_e32 v19, v15
	v_pk_add_f32 v[138:139], v[138:139], v[18:19] neg_lo:[0,1] neg_hi:[0,1]
	s_wait_dscnt 0x0
	v_pk_mul_f32 v[14:15], v[26:27], v[12:13] op_sel:[0,1]
	s_delay_alu instid0(VALU_DEP_1) | instskip(SKIP_1) | instid1(VALU_DEP_1)
	v_pk_fma_f32 v[18:19], v[26:27], v[10:11], v[14:15] op_sel:[0,0,1] op_sel_hi:[1,1,0] neg_lo:[0,0,1] neg_hi:[0,0,1]
	v_pk_fma_f32 v[14:15], v[26:27], v[10:11], v[14:15] op_sel:[0,0,1] op_sel_hi:[1,0,0]
	v_mov_b32_e32 v19, v15
	v_pk_mul_f32 v[14:15], v[28:29], v[12:13] op_sel:[0,1]
	s_delay_alu instid0(VALU_DEP_2) | instskip(NEXT) | instid1(VALU_DEP_2)
	v_pk_add_f32 v[162:163], v[162:163], v[18:19] neg_lo:[0,1] neg_hi:[0,1]
	v_pk_fma_f32 v[18:19], v[28:29], v[10:11], v[14:15] op_sel:[0,0,1] op_sel_hi:[1,1,0] neg_lo:[0,0,1] neg_hi:[0,0,1]
	v_pk_fma_f32 v[14:15], v[28:29], v[10:11], v[14:15] op_sel:[0,0,1] op_sel_hi:[1,0,0]
	ds_load_2addr_b64 v[26:29], v96 offset0:38 offset1:39
	v_mov_b32_e32 v19, v15
	s_delay_alu instid0(VALU_DEP_1) | instskip(SKIP_2) | instid1(VALU_DEP_1)
	v_pk_add_f32 v[158:159], v[158:159], v[18:19] neg_lo:[0,1] neg_hi:[0,1]
	s_wait_dscnt 0x0
	v_pk_mul_f32 v[14:15], v[26:27], v[12:13] op_sel:[0,1]
	v_pk_fma_f32 v[18:19], v[26:27], v[10:11], v[14:15] op_sel:[0,0,1] op_sel_hi:[1,1,0] neg_lo:[0,0,1] neg_hi:[0,0,1]
	v_pk_fma_f32 v[14:15], v[26:27], v[10:11], v[14:15] op_sel:[0,0,1] op_sel_hi:[1,0,0]
	s_delay_alu instid0(VALU_DEP_1) | instskip(SKIP_1) | instid1(VALU_DEP_2)
	v_mov_b32_e32 v19, v15
	v_pk_mul_f32 v[14:15], v[28:29], v[12:13] op_sel:[0,1]
	v_pk_add_f32 v[160:161], v[160:161], v[18:19] neg_lo:[0,1] neg_hi:[0,1]
	s_delay_alu instid0(VALU_DEP_2) | instskip(SKIP_3) | instid1(VALU_DEP_1)
	v_pk_fma_f32 v[18:19], v[28:29], v[10:11], v[14:15] op_sel:[0,0,1] op_sel_hi:[1,1,0] neg_lo:[0,0,1] neg_hi:[0,0,1]
	v_pk_fma_f32 v[14:15], v[28:29], v[10:11], v[14:15] op_sel:[0,0,1] op_sel_hi:[1,0,0]
	ds_load_2addr_b64 v[26:29], v96 offset0:40 offset1:41
	v_mov_b32_e32 v19, v15
	v_pk_add_f32 v[156:157], v[156:157], v[18:19] neg_lo:[0,1] neg_hi:[0,1]
	s_wait_dscnt 0x0
	v_dual_mul_f32 v14, v27, v13 :: v_dual_mul_f32 v18, v27, v10
	s_delay_alu instid0(VALU_DEP_1) | instskip(NEXT) | instid1(VALU_DEP_2)
	v_pk_fma_f32 v[14:15], v[26:27], v[122:123], v[14:15] op_sel_hi:[1,1,0] neg_lo:[0,0,1] neg_hi:[0,0,1]
	v_pk_fma_f32 v[18:19], v[26:27], v[122:123], v[18:19] op_sel:[1,0,0] op_sel_hi:[0,1,0]
	s_delay_alu instid0(VALU_DEP_1) | instskip(NEXT) | instid1(VALU_DEP_1)
	v_mov_b32_e32 v15, v19
	v_pk_add_f32 v[180:181], v[180:181], v[14:15] neg_lo:[0,1] neg_hi:[0,1]
	v_pk_mul_f32 v[14:15], v[28:29], v[12:13] op_sel:[0,1]
	s_delay_alu instid0(VALU_DEP_1) | instskip(SKIP_3) | instid1(VALU_DEP_1)
	v_pk_fma_f32 v[18:19], v[28:29], v[10:11], v[14:15] op_sel:[0,0,1] op_sel_hi:[1,1,0] neg_lo:[0,0,1] neg_hi:[0,0,1]
	v_pk_fma_f32 v[14:15], v[28:29], v[10:11], v[14:15] op_sel:[0,0,1] op_sel_hi:[1,0,0]
	ds_load_2addr_b64 v[26:29], v96 offset0:42 offset1:43
	v_mov_b32_e32 v19, v15
	v_pk_add_f32 v[176:177], v[176:177], v[18:19] neg_lo:[0,1] neg_hi:[0,1]
	s_wait_dscnt 0x0
	v_pk_mul_f32 v[14:15], v[26:27], v[12:13] op_sel:[0,1]
	s_delay_alu instid0(VALU_DEP_1) | instskip(SKIP_1) | instid1(VALU_DEP_1)
	v_pk_fma_f32 v[18:19], v[26:27], v[10:11], v[14:15] op_sel:[0,0,1] op_sel_hi:[1,1,0] neg_lo:[0,0,1] neg_hi:[0,0,1]
	v_pk_fma_f32 v[14:15], v[26:27], v[10:11], v[14:15] op_sel:[0,0,1] op_sel_hi:[1,0,0]
	v_mov_b32_e32 v19, v15
	v_pk_mul_f32 v[14:15], v[28:29], v[12:13] op_sel:[0,1]
	s_delay_alu instid0(VALU_DEP_2) | instskip(NEXT) | instid1(VALU_DEP_2)
	v_pk_add_f32 v[178:179], v[178:179], v[18:19] neg_lo:[0,1] neg_hi:[0,1]
	v_pk_fma_f32 v[18:19], v[28:29], v[10:11], v[14:15] op_sel:[0,0,1] op_sel_hi:[1,1,0] neg_lo:[0,0,1] neg_hi:[0,0,1]
	v_pk_fma_f32 v[14:15], v[28:29], v[10:11], v[14:15] op_sel:[0,0,1] op_sel_hi:[1,0,0]
	ds_load_2addr_b64 v[26:29], v96 offset0:44 offset1:45
	v_mov_b32_e32 v19, v15
	s_delay_alu instid0(VALU_DEP_1) | instskip(SKIP_2) | instid1(VALU_DEP_1)
	v_pk_add_f32 v[174:175], v[174:175], v[18:19] neg_lo:[0,1] neg_hi:[0,1]
	s_wait_dscnt 0x0
	v_pk_mul_f32 v[14:15], v[26:27], v[12:13] op_sel:[0,1]
	v_pk_fma_f32 v[18:19], v[26:27], v[10:11], v[14:15] op_sel:[0,0,1] op_sel_hi:[1,1,0] neg_lo:[0,0,1] neg_hi:[0,0,1]
	v_pk_fma_f32 v[14:15], v[26:27], v[10:11], v[14:15] op_sel:[0,0,1] op_sel_hi:[1,0,0]
	v_dual_mov_b32 v14, v29 :: v_dual_mul_f32 v26, v29, v10
	s_delay_alu instid0(VALU_DEP_2) | instskip(NEXT) | instid1(VALU_DEP_1)
	v_dual_mov_b32 v19, v15 :: v_dual_mov_b32 v15, v28
	v_pk_add_f32 v[196:197], v[196:197], v[18:19] neg_lo:[0,1] neg_hi:[0,1]
	v_mul_f32_e32 v18, v29, v13
	s_delay_alu instid0(VALU_DEP_3) | instskip(NEXT) | instid1(VALU_DEP_2)
	v_pk_fma_f32 v[14:15], v[14:15], v[122:123], v[26:27] op_sel_hi:[1,1,0]
	v_pk_fma_f32 v[18:19], v[28:29], v[122:123], v[18:19] op_sel_hi:[1,1,0] neg_lo:[0,0,1] neg_hi:[0,0,1]
	ds_load_2addr_b64 v[26:29], v96 offset0:46 offset1:47
	v_mov_b32_e32 v19, v15
	s_delay_alu instid0(VALU_DEP_1) | instskip(SKIP_2) | instid1(VALU_DEP_1)
	v_pk_add_f32 v[192:193], v[192:193], v[18:19] neg_lo:[0,1] neg_hi:[0,1]
	s_wait_dscnt 0x0
	v_pk_mul_f32 v[14:15], v[26:27], v[12:13] op_sel:[0,1]
	v_pk_fma_f32 v[18:19], v[26:27], v[10:11], v[14:15] op_sel:[0,0,1] op_sel_hi:[1,1,0] neg_lo:[0,0,1] neg_hi:[0,0,1]
	v_pk_fma_f32 v[14:15], v[26:27], v[10:11], v[14:15] op_sel:[0,0,1] op_sel_hi:[1,0,0]
	s_delay_alu instid0(VALU_DEP_1) | instskip(SKIP_1) | instid1(VALU_DEP_2)
	v_mov_b32_e32 v19, v15
	v_pk_mul_f32 v[14:15], v[28:29], v[12:13] op_sel:[0,1]
	v_pk_add_f32 v[194:195], v[194:195], v[18:19] neg_lo:[0,1] neg_hi:[0,1]
	s_delay_alu instid0(VALU_DEP_2) | instskip(SKIP_3) | instid1(VALU_DEP_1)
	v_pk_fma_f32 v[18:19], v[28:29], v[10:11], v[14:15] op_sel:[0,0,1] op_sel_hi:[1,1,0] neg_lo:[0,0,1] neg_hi:[0,0,1]
	v_pk_fma_f32 v[14:15], v[28:29], v[10:11], v[14:15] op_sel:[0,0,1] op_sel_hi:[1,0,0]
	ds_load_2addr_b64 v[26:29], v96 offset0:48 offset1:49
	v_mov_b32_e32 v19, v15
	v_pk_add_f32 v[190:191], v[190:191], v[18:19] neg_lo:[0,1] neg_hi:[0,1]
	s_wait_dscnt 0x0
	v_pk_mul_f32 v[14:15], v[26:27], v[12:13] op_sel:[0,1]
	v_mul_f32_e32 v12, v29, v13
	s_delay_alu instid0(VALU_DEP_2) | instskip(SKIP_2) | instid1(VALU_DEP_4)
	v_pk_fma_f32 v[18:19], v[26:27], v[10:11], v[14:15] op_sel:[0,0,1] op_sel_hi:[1,1,0] neg_lo:[0,0,1] neg_hi:[0,0,1]
	v_pk_fma_f32 v[14:15], v[26:27], v[10:11], v[14:15] op_sel:[0,0,1] op_sel_hi:[1,0,0]
	v_dual_mov_b32 v14, v29 :: v_dual_mul_f32 v10, v29, v10
	v_pk_fma_f32 v[12:13], v[28:29], v[122:123], v[12:13] op_sel_hi:[1,1,0] neg_lo:[0,0,1] neg_hi:[0,0,1]
	s_delay_alu instid0(VALU_DEP_3) | instskip(NEXT) | instid1(VALU_DEP_1)
	v_dual_mov_b32 v19, v15 :: v_dual_mov_b32 v15, v28
	v_pk_add_f32 v[198:199], v[198:199], v[18:19] neg_lo:[0,1] neg_hi:[0,1]
	s_delay_alu instid0(VALU_DEP_2) | instskip(NEXT) | instid1(VALU_DEP_1)
	v_pk_fma_f32 v[10:11], v[14:15], v[122:123], v[10:11] op_sel_hi:[1,1,0]
	v_mov_b32_e32 v13, v11
	s_delay_alu instid0(VALU_DEP_1)
	v_pk_add_f32 v[200:201], v[200:201], v[12:13] neg_lo:[0,1] neg_hi:[0,1]
.LBB99_289:
	s_or_b32 exec_lo, exec_lo, s1
	s_delay_alu instid0(SALU_CYCLE_1)
	s_mov_b32 s2, exec_lo
	s_wait_dscnt 0x0
	s_barrier_signal -1
	s_barrier_wait -1
	v_cmpx_eq_u32_e32 32, v86
	s_cbranch_execz .LBB99_296
; %bb.290:
	ds_store_b64 v87, v[144:145]
	ds_store_2addr_b64 v96, v[140:141], v[142:143] offset0:33 offset1:34
	ds_store_2addr_b64 v96, v[138:139], v[162:163] offset0:35 offset1:36
	;; [unrolled: 1-line block ×8, first 2 shown]
	ds_store_b64 v96, v[200:201] offset:392
	ds_load_b64 v[10:11], v87
	s_wait_dscnt 0x0
	v_cmp_neq_f32_e32 vcc_lo, 0, v10
	v_cmp_neq_f32_e64 s1, 0, v11
	s_or_b32 s1, vcc_lo, s1
	s_delay_alu instid0(SALU_CYCLE_1)
	s_and_b32 exec_lo, exec_lo, s1
	s_cbranch_execz .LBB99_296
; %bb.291:
	v_cmp_ngt_f32_e64 s1, |v10|, |v11|
                                        ; implicit-def: $vgpr12_vgpr13
	s_and_saveexec_b32 s4, s1
	s_delay_alu instid0(SALU_CYCLE_1)
	s_xor_b32 s1, exec_lo, s4
	s_cbranch_execz .LBB99_293
; %bb.292:
	v_div_scale_f32 v12, null, v11, v11, v10
	v_div_scale_f32 v15, vcc_lo, v10, v11, v10
	s_delay_alu instid0(VALU_DEP_2) | instskip(SKIP_1) | instid1(TRANS32_DEP_1)
	v_rcp_f32_e32 v13, v12
	v_nop
	v_fma_f32 v14, -v12, v13, 1.0
	s_delay_alu instid0(VALU_DEP_1) | instskip(NEXT) | instid1(VALU_DEP_1)
	v_fmac_f32_e32 v13, v14, v13
	v_mul_f32_e32 v14, v15, v13
	s_delay_alu instid0(VALU_DEP_1) | instskip(NEXT) | instid1(VALU_DEP_1)
	v_fma_f32 v18, -v12, v14, v15
	v_fmac_f32_e32 v14, v18, v13
	s_delay_alu instid0(VALU_DEP_1) | instskip(NEXT) | instid1(VALU_DEP_1)
	v_fma_f32 v12, -v12, v14, v15
	v_div_fmas_f32 v12, v12, v13, v14
	s_delay_alu instid0(VALU_DEP_1) | instskip(NEXT) | instid1(VALU_DEP_1)
	v_div_fixup_f32 v12, v12, v11, v10
	v_fmac_f32_e32 v11, v10, v12
	s_delay_alu instid0(VALU_DEP_1) | instskip(SKIP_1) | instid1(VALU_DEP_2)
	v_div_scale_f32 v10, null, v11, v11, 1.0
	v_div_scale_f32 v15, vcc_lo, 1.0, v11, 1.0
	v_rcp_f32_e32 v13, v10
	v_nop
	s_delay_alu instid0(TRANS32_DEP_1) | instskip(NEXT) | instid1(VALU_DEP_1)
	v_fma_f32 v14, -v10, v13, 1.0
	v_fmac_f32_e32 v13, v14, v13
	s_delay_alu instid0(VALU_DEP_1) | instskip(NEXT) | instid1(VALU_DEP_1)
	v_mul_f32_e32 v14, v15, v13
	v_fma_f32 v18, -v10, v14, v15
	s_delay_alu instid0(VALU_DEP_1) | instskip(NEXT) | instid1(VALU_DEP_1)
	v_fmac_f32_e32 v14, v18, v13
	v_fma_f32 v10, -v10, v14, v15
	s_delay_alu instid0(VALU_DEP_1) | instskip(NEXT) | instid1(VALU_DEP_1)
	v_div_fmas_f32 v10, v10, v13, v14
	v_div_fixup_f32 v10, v10, v11, 1.0
	s_delay_alu instid0(VALU_DEP_1)
	v_mul_f32_e32 v12, v12, v10
	v_xor_b32_e32 v13, 0x80000000, v10
                                        ; implicit-def: $vgpr10_vgpr11
.LBB99_293:
	s_and_not1_saveexec_b32 s1, s1
	s_cbranch_execz .LBB99_295
; %bb.294:
	v_div_scale_f32 v12, null, v10, v10, v11
	v_div_scale_f32 v15, vcc_lo, v11, v10, v11
	s_delay_alu instid0(VALU_DEP_2) | instskip(SKIP_1) | instid1(TRANS32_DEP_1)
	v_rcp_f32_e32 v13, v12
	v_nop
	v_fma_f32 v14, -v12, v13, 1.0
	s_delay_alu instid0(VALU_DEP_1) | instskip(NEXT) | instid1(VALU_DEP_1)
	v_fmac_f32_e32 v13, v14, v13
	v_mul_f32_e32 v14, v15, v13
	s_delay_alu instid0(VALU_DEP_1) | instskip(NEXT) | instid1(VALU_DEP_1)
	v_fma_f32 v18, -v12, v14, v15
	v_fmac_f32_e32 v14, v18, v13
	s_delay_alu instid0(VALU_DEP_1) | instskip(NEXT) | instid1(VALU_DEP_1)
	v_fma_f32 v12, -v12, v14, v15
	v_div_fmas_f32 v12, v12, v13, v14
	s_delay_alu instid0(VALU_DEP_1) | instskip(NEXT) | instid1(VALU_DEP_1)
	v_div_fixup_f32 v13, v12, v10, v11
	v_fmac_f32_e32 v10, v11, v13
	s_delay_alu instid0(VALU_DEP_1) | instskip(NEXT) | instid1(VALU_DEP_1)
	v_div_scale_f32 v11, null, v10, v10, 1.0
	v_rcp_f32_e32 v12, v11
	v_nop
	s_delay_alu instid0(TRANS32_DEP_1) | instskip(NEXT) | instid1(VALU_DEP_1)
	v_fma_f32 v14, -v11, v12, 1.0
	v_fmac_f32_e32 v12, v14, v12
	v_div_scale_f32 v14, vcc_lo, 1.0, v10, 1.0
	s_delay_alu instid0(VALU_DEP_1) | instskip(NEXT) | instid1(VALU_DEP_1)
	v_mul_f32_e32 v15, v14, v12
	v_fma_f32 v18, -v11, v15, v14
	s_delay_alu instid0(VALU_DEP_1) | instskip(NEXT) | instid1(VALU_DEP_1)
	v_fmac_f32_e32 v15, v18, v12
	v_fma_f32 v11, -v11, v15, v14
	s_delay_alu instid0(VALU_DEP_1) | instskip(NEXT) | instid1(VALU_DEP_1)
	v_div_fmas_f32 v11, v11, v12, v15
	v_div_fixup_f32 v12, v11, v10, 1.0
	s_delay_alu instid0(VALU_DEP_1)
	v_mul_f32_e64 v13, v13, -v12
.LBB99_295:
	s_or_b32 exec_lo, exec_lo, s1
	ds_store_b64 v87, v[12:13]
.LBB99_296:
	s_or_b32 exec_lo, exec_lo, s2
	s_wait_dscnt 0x0
	s_barrier_signal -1
	s_barrier_wait -1
	ds_load_b64 v[10:11], v87
	s_mov_b32 s1, exec_lo
	v_cmpx_lt_u32_e32 32, v86
	s_cbranch_execz .LBB99_298
; %bb.297:
	ds_load_2addr_b64 v[26:29], v96 offset0:33 offset1:34
	s_wait_dscnt 0x1
	v_pk_mul_f32 v[14:15], v[10:11], v[144:145] op_sel:[1,1] op_sel_hi:[0,1]
	s_delay_alu instid0(VALU_DEP_1) | instskip(SKIP_1) | instid1(VALU_DEP_1)
	v_pk_fma_f32 v[12:13], v[10:11], v[144:145], v[14:15] op_sel_hi:[1,0,1] neg_lo:[0,0,1] neg_hi:[0,0,1]
	v_pk_fma_f32 v[14:15], v[10:11], v[144:145], v[14:15] op_sel_hi:[1,0,1]
	v_dual_mov_b32 v144, v12 :: v_dual_mov_b32 v145, v15
	s_wait_dscnt 0x0
	s_delay_alu instid0(VALU_DEP_2) | instskip(NEXT) | instid1(VALU_DEP_1)
	v_pk_mul_f32 v[18:19], v[26:27], v[14:15] op_sel:[0,1]
	v_pk_fma_f32 v[30:31], v[26:27], v[12:13], v[18:19] op_sel:[0,0,1] op_sel_hi:[1,1,0] neg_lo:[0,0,1] neg_hi:[0,0,1]
	v_pk_fma_f32 v[18:19], v[26:27], v[12:13], v[18:19] op_sel:[0,0,1] op_sel_hi:[1,0,0]
	s_delay_alu instid0(VALU_DEP_1) | instskip(SKIP_1) | instid1(VALU_DEP_1)
	v_mov_b32_e32 v31, v19
	v_pk_mul_f32 v[18:19], v[28:29], v[14:15] op_sel:[0,1]
	v_pk_fma_f32 v[26:27], v[28:29], v[12:13], v[18:19] op_sel:[0,0,1] op_sel_hi:[1,1,0] neg_lo:[0,0,1] neg_hi:[0,0,1]
	v_pk_fma_f32 v[18:19], v[28:29], v[12:13], v[18:19] op_sel:[0,0,1] op_sel_hi:[1,0,0]
	s_delay_alu instid0(VALU_DEP_1) | instskip(SKIP_1) | instid1(VALU_DEP_2)
	v_mov_b32_e32 v27, v19
	v_pk_add_f32 v[140:141], v[140:141], v[30:31] neg_lo:[0,1] neg_hi:[0,1]
	v_pk_add_f32 v[142:143], v[142:143], v[26:27] neg_lo:[0,1] neg_hi:[0,1]
	ds_load_2addr_b64 v[26:29], v96 offset0:35 offset1:36
	s_wait_dscnt 0x0
	v_pk_mul_f32 v[18:19], v[26:27], v[14:15] op_sel:[0,1]
	s_delay_alu instid0(VALU_DEP_1) | instskip(SKIP_2) | instid1(VALU_DEP_2)
	v_pk_fma_f32 v[30:31], v[26:27], v[12:13], v[18:19] op_sel:[0,0,1] op_sel_hi:[1,1,0] neg_lo:[0,0,1] neg_hi:[0,0,1]
	v_pk_fma_f32 v[18:19], v[26:27], v[12:13], v[18:19] op_sel:[0,0,1] op_sel_hi:[1,0,0]
	v_dual_mul_f32 v26, v29, v15 :: v_dual_mov_b32 v18, v29
	v_dual_mov_b32 v31, v19 :: v_dual_mov_b32 v19, v28
	s_delay_alu instid0(VALU_DEP_2) | instskip(SKIP_1) | instid1(VALU_DEP_3)
	v_pk_fma_f32 v[26:27], v[28:29], v[144:145], v[26:27] op_sel_hi:[1,1,0] neg_lo:[0,0,1] neg_hi:[0,0,1]
	v_mul_f32_e32 v28, v29, v12
	v_pk_add_f32 v[138:139], v[138:139], v[30:31] neg_lo:[0,1] neg_hi:[0,1]
	s_delay_alu instid0(VALU_DEP_2) | instskip(NEXT) | instid1(VALU_DEP_1)
	v_pk_fma_f32 v[18:19], v[18:19], v[144:145], v[28:29] op_sel_hi:[1,1,0]
	v_mov_b32_e32 v27, v19
	s_delay_alu instid0(VALU_DEP_1) | instskip(SKIP_3) | instid1(VALU_DEP_1)
	v_pk_add_f32 v[162:163], v[162:163], v[26:27] neg_lo:[0,1] neg_hi:[0,1]
	ds_load_2addr_b64 v[26:29], v96 offset0:37 offset1:38
	s_wait_dscnt 0x0
	v_pk_mul_f32 v[18:19], v[26:27], v[14:15] op_sel:[0,1]
	v_pk_fma_f32 v[30:31], v[26:27], v[12:13], v[18:19] op_sel:[0,0,1] op_sel_hi:[1,1,0] neg_lo:[0,0,1] neg_hi:[0,0,1]
	v_pk_fma_f32 v[18:19], v[26:27], v[12:13], v[18:19] op_sel:[0,0,1] op_sel_hi:[1,0,0]
	s_delay_alu instid0(VALU_DEP_1) | instskip(SKIP_1) | instid1(VALU_DEP_1)
	v_mov_b32_e32 v31, v19
	v_pk_mul_f32 v[18:19], v[28:29], v[14:15] op_sel:[0,1]
	v_pk_fma_f32 v[26:27], v[28:29], v[12:13], v[18:19] op_sel:[0,0,1] op_sel_hi:[1,1,0] neg_lo:[0,0,1] neg_hi:[0,0,1]
	v_pk_fma_f32 v[18:19], v[28:29], v[12:13], v[18:19] op_sel:[0,0,1] op_sel_hi:[1,0,0]
	s_delay_alu instid0(VALU_DEP_1) | instskip(SKIP_1) | instid1(VALU_DEP_2)
	v_mov_b32_e32 v27, v19
	v_pk_add_f32 v[158:159], v[158:159], v[30:31] neg_lo:[0,1] neg_hi:[0,1]
	v_pk_add_f32 v[160:161], v[160:161], v[26:27] neg_lo:[0,1] neg_hi:[0,1]
	ds_load_2addr_b64 v[26:29], v96 offset0:39 offset1:40
	s_wait_dscnt 0x0
	v_pk_mul_f32 v[18:19], v[26:27], v[14:15] op_sel:[0,1]
	s_delay_alu instid0(VALU_DEP_1) | instskip(SKIP_1) | instid1(VALU_DEP_1)
	v_pk_fma_f32 v[30:31], v[26:27], v[12:13], v[18:19] op_sel:[0,0,1] op_sel_hi:[1,1,0] neg_lo:[0,0,1] neg_hi:[0,0,1]
	v_pk_fma_f32 v[18:19], v[26:27], v[12:13], v[18:19] op_sel:[0,0,1] op_sel_hi:[1,0,0]
	v_mov_b32_e32 v31, v19
	v_pk_mul_f32 v[18:19], v[28:29], v[14:15] op_sel:[0,1]
	s_delay_alu instid0(VALU_DEP_1) | instskip(SKIP_1) | instid1(VALU_DEP_1)
	v_pk_fma_f32 v[26:27], v[28:29], v[12:13], v[18:19] op_sel:[0,0,1] op_sel_hi:[1,1,0] neg_lo:[0,0,1] neg_hi:[0,0,1]
	v_pk_fma_f32 v[18:19], v[28:29], v[12:13], v[18:19] op_sel:[0,0,1] op_sel_hi:[1,0,0]
	v_mov_b32_e32 v27, v19
	v_pk_add_f32 v[156:157], v[156:157], v[30:31] neg_lo:[0,1] neg_hi:[0,1]
	s_delay_alu instid0(VALU_DEP_2) | instskip(SKIP_3) | instid1(VALU_DEP_1)
	v_pk_add_f32 v[180:181], v[180:181], v[26:27] neg_lo:[0,1] neg_hi:[0,1]
	ds_load_2addr_b64 v[26:29], v96 offset0:41 offset1:42
	s_wait_dscnt 0x0
	v_dual_mul_f32 v18, v27, v15 :: v_dual_mul_f32 v30, v27, v12
	v_pk_fma_f32 v[18:19], v[26:27], v[144:145], v[18:19] op_sel_hi:[1,1,0] neg_lo:[0,0,1] neg_hi:[0,0,1]
	s_delay_alu instid0(VALU_DEP_2) | instskip(NEXT) | instid1(VALU_DEP_1)
	v_pk_fma_f32 v[26:27], v[26:27], v[144:145], v[30:31] op_sel:[1,0,0] op_sel_hi:[0,1,0]
	v_mov_b32_e32 v19, v27
	s_delay_alu instid0(VALU_DEP_1) | instskip(SKIP_1) | instid1(VALU_DEP_1)
	v_pk_add_f32 v[176:177], v[176:177], v[18:19] neg_lo:[0,1] neg_hi:[0,1]
	v_pk_mul_f32 v[18:19], v[28:29], v[14:15] op_sel:[0,1]
	v_pk_fma_f32 v[26:27], v[28:29], v[12:13], v[18:19] op_sel:[0,0,1] op_sel_hi:[1,1,0] neg_lo:[0,0,1] neg_hi:[0,0,1]
	v_pk_fma_f32 v[18:19], v[28:29], v[12:13], v[18:19] op_sel:[0,0,1] op_sel_hi:[1,0,0]
	s_delay_alu instid0(VALU_DEP_1) | instskip(NEXT) | instid1(VALU_DEP_1)
	v_mov_b32_e32 v27, v19
	v_pk_add_f32 v[178:179], v[178:179], v[26:27] neg_lo:[0,1] neg_hi:[0,1]
	ds_load_2addr_b64 v[26:29], v96 offset0:43 offset1:44
	s_wait_dscnt 0x0
	v_pk_mul_f32 v[18:19], v[26:27], v[14:15] op_sel:[0,1]
	s_delay_alu instid0(VALU_DEP_1) | instskip(SKIP_1) | instid1(VALU_DEP_1)
	v_pk_fma_f32 v[30:31], v[26:27], v[12:13], v[18:19] op_sel:[0,0,1] op_sel_hi:[1,1,0] neg_lo:[0,0,1] neg_hi:[0,0,1]
	v_pk_fma_f32 v[18:19], v[26:27], v[12:13], v[18:19] op_sel:[0,0,1] op_sel_hi:[1,0,0]
	v_mov_b32_e32 v31, v19
	v_pk_mul_f32 v[18:19], v[28:29], v[14:15] op_sel:[0,1]
	s_delay_alu instid0(VALU_DEP_2) | instskip(NEXT) | instid1(VALU_DEP_2)
	v_pk_add_f32 v[174:175], v[174:175], v[30:31] neg_lo:[0,1] neg_hi:[0,1]
	v_pk_fma_f32 v[26:27], v[28:29], v[12:13], v[18:19] op_sel:[0,0,1] op_sel_hi:[1,1,0] neg_lo:[0,0,1] neg_hi:[0,0,1]
	v_pk_fma_f32 v[18:19], v[28:29], v[12:13], v[18:19] op_sel:[0,0,1] op_sel_hi:[1,0,0]
	s_delay_alu instid0(VALU_DEP_1) | instskip(NEXT) | instid1(VALU_DEP_1)
	v_mov_b32_e32 v27, v19
	v_pk_add_f32 v[196:197], v[196:197], v[26:27] neg_lo:[0,1] neg_hi:[0,1]
	ds_load_2addr_b64 v[26:29], v96 offset0:45 offset1:46
	s_wait_dscnt 0x0
	v_pk_mul_f32 v[18:19], v[26:27], v[14:15] op_sel:[0,1]
	s_delay_alu instid0(VALU_DEP_1) | instskip(SKIP_2) | instid1(VALU_DEP_2)
	v_pk_fma_f32 v[30:31], v[26:27], v[12:13], v[18:19] op_sel:[0,0,1] op_sel_hi:[1,1,0] neg_lo:[0,0,1] neg_hi:[0,0,1]
	v_pk_fma_f32 v[18:19], v[26:27], v[12:13], v[18:19] op_sel:[0,0,1] op_sel_hi:[1,0,0]
	v_dual_mul_f32 v26, v29, v15 :: v_dual_mov_b32 v18, v29
	v_dual_mov_b32 v31, v19 :: v_dual_mov_b32 v19, v28
	s_delay_alu instid0(VALU_DEP_2) | instskip(SKIP_1) | instid1(VALU_DEP_3)
	v_pk_fma_f32 v[26:27], v[28:29], v[144:145], v[26:27] op_sel_hi:[1,1,0] neg_lo:[0,0,1] neg_hi:[0,0,1]
	v_mul_f32_e32 v28, v29, v12
	v_pk_add_f32 v[192:193], v[192:193], v[30:31] neg_lo:[0,1] neg_hi:[0,1]
	s_delay_alu instid0(VALU_DEP_2) | instskip(NEXT) | instid1(VALU_DEP_1)
	v_pk_fma_f32 v[18:19], v[18:19], v[144:145], v[28:29] op_sel_hi:[1,1,0]
	v_mov_b32_e32 v27, v19
	s_delay_alu instid0(VALU_DEP_1) | instskip(SKIP_3) | instid1(VALU_DEP_1)
	v_pk_add_f32 v[194:195], v[194:195], v[26:27] neg_lo:[0,1] neg_hi:[0,1]
	ds_load_2addr_b64 v[26:29], v96 offset0:47 offset1:48
	s_wait_dscnt 0x0
	v_pk_mul_f32 v[18:19], v[26:27], v[14:15] op_sel:[0,1]
	v_pk_fma_f32 v[30:31], v[26:27], v[12:13], v[18:19] op_sel:[0,0,1] op_sel_hi:[1,1,0] neg_lo:[0,0,1] neg_hi:[0,0,1]
	v_pk_fma_f32 v[18:19], v[26:27], v[12:13], v[18:19] op_sel:[0,0,1] op_sel_hi:[1,0,0]
	s_delay_alu instid0(VALU_DEP_1) | instskip(SKIP_1) | instid1(VALU_DEP_1)
	v_mov_b32_e32 v31, v19
	v_pk_mul_f32 v[18:19], v[28:29], v[14:15] op_sel:[0,1]
	v_pk_fma_f32 v[26:27], v[28:29], v[12:13], v[18:19] op_sel:[0,0,1] op_sel_hi:[1,1,0] neg_lo:[0,0,1] neg_hi:[0,0,1]
	v_pk_fma_f32 v[18:19], v[28:29], v[12:13], v[18:19] op_sel:[0,0,1] op_sel_hi:[1,0,0]
	s_delay_alu instid0(VALU_DEP_1)
	v_mov_b32_e32 v27, v19
	ds_load_b64 v[18:19], v96 offset:392
	v_pk_add_f32 v[190:191], v[190:191], v[30:31] neg_lo:[0,1] neg_hi:[0,1]
	v_pk_add_f32 v[198:199], v[198:199], v[26:27] neg_lo:[0,1] neg_hi:[0,1]
	s_wait_dscnt 0x0
	v_pk_mul_f32 v[14:15], v[18:19], v[14:15] op_sel:[0,1]
	s_delay_alu instid0(VALU_DEP_1) | instskip(SKIP_1) | instid1(VALU_DEP_1)
	v_pk_fma_f32 v[26:27], v[18:19], v[12:13], v[14:15] op_sel:[0,0,1] op_sel_hi:[1,1,0] neg_lo:[0,0,1] neg_hi:[0,0,1]
	v_pk_fma_f32 v[12:13], v[18:19], v[12:13], v[14:15] op_sel:[0,0,1] op_sel_hi:[1,0,0]
	v_mov_b32_e32 v27, v13
	s_delay_alu instid0(VALU_DEP_1)
	v_pk_add_f32 v[200:201], v[200:201], v[26:27] neg_lo:[0,1] neg_hi:[0,1]
.LBB99_298:
	s_or_b32 exec_lo, exec_lo, s1
	s_delay_alu instid0(SALU_CYCLE_1)
	s_mov_b32 s2, exec_lo
	s_wait_dscnt 0x0
	s_barrier_signal -1
	s_barrier_wait -1
	v_cmpx_eq_u32_e32 33, v86
	s_cbranch_execz .LBB99_305
; %bb.299:
	v_dual_mov_b32 v12, v142 :: v_dual_mov_b32 v13, v143
	v_dual_mov_b32 v14, v138 :: v_dual_mov_b32 v15, v139
	ds_store_b64 v87, v[140:141]
	ds_store_2addr_b64 v96, v[12:13], v[14:15] offset0:34 offset1:35
	v_dual_mov_b32 v12, v162 :: v_dual_mov_b32 v13, v163
	v_dual_mov_b32 v14, v158 :: v_dual_mov_b32 v15, v159
	ds_store_2addr_b64 v96, v[12:13], v[14:15] offset0:36 offset1:37
	v_dual_mov_b32 v12, v160 :: v_dual_mov_b32 v13, v161
	v_dual_mov_b32 v14, v156 :: v_dual_mov_b32 v15, v157
	;; [unrolled: 3-line block ×6, first 2 shown]
	ds_store_2addr_b64 v96, v[12:13], v[14:15] offset0:46 offset1:47
	v_dual_mov_b32 v12, v198 :: v_dual_mov_b32 v13, v199
	ds_store_2addr_b64 v96, v[12:13], v[200:201] offset0:48 offset1:49
	ds_load_b64 v[12:13], v87
	s_wait_dscnt 0x0
	v_cmp_neq_f32_e32 vcc_lo, 0, v12
	v_cmp_neq_f32_e64 s1, 0, v13
	s_or_b32 s1, vcc_lo, s1
	s_delay_alu instid0(SALU_CYCLE_1)
	s_and_b32 exec_lo, exec_lo, s1
	s_cbranch_execz .LBB99_305
; %bb.300:
	v_cmp_ngt_f32_e64 s1, |v12|, |v13|
                                        ; implicit-def: $vgpr14_vgpr15
	s_and_saveexec_b32 s4, s1
	s_delay_alu instid0(SALU_CYCLE_1)
	s_xor_b32 s1, exec_lo, s4
	s_cbranch_execz .LBB99_302
; %bb.301:
	v_div_scale_f32 v14, null, v13, v13, v12
	v_div_scale_f32 v19, vcc_lo, v12, v13, v12
	s_delay_alu instid0(VALU_DEP_2) | instskip(SKIP_1) | instid1(TRANS32_DEP_1)
	v_rcp_f32_e32 v15, v14
	v_nop
	v_fma_f32 v18, -v14, v15, 1.0
	s_delay_alu instid0(VALU_DEP_1) | instskip(NEXT) | instid1(VALU_DEP_1)
	v_fmac_f32_e32 v15, v18, v15
	v_mul_f32_e32 v18, v19, v15
	s_delay_alu instid0(VALU_DEP_1) | instskip(NEXT) | instid1(VALU_DEP_1)
	v_fma_f32 v26, -v14, v18, v19
	v_fmac_f32_e32 v18, v26, v15
	s_delay_alu instid0(VALU_DEP_1) | instskip(NEXT) | instid1(VALU_DEP_1)
	v_fma_f32 v14, -v14, v18, v19
	v_div_fmas_f32 v14, v14, v15, v18
	s_delay_alu instid0(VALU_DEP_1) | instskip(NEXT) | instid1(VALU_DEP_1)
	v_div_fixup_f32 v14, v14, v13, v12
	v_fmac_f32_e32 v13, v12, v14
	s_delay_alu instid0(VALU_DEP_1) | instskip(SKIP_1) | instid1(VALU_DEP_2)
	v_div_scale_f32 v12, null, v13, v13, 1.0
	v_div_scale_f32 v19, vcc_lo, 1.0, v13, 1.0
	v_rcp_f32_e32 v15, v12
	v_nop
	s_delay_alu instid0(TRANS32_DEP_1) | instskip(NEXT) | instid1(VALU_DEP_1)
	v_fma_f32 v18, -v12, v15, 1.0
	v_fmac_f32_e32 v15, v18, v15
	s_delay_alu instid0(VALU_DEP_1) | instskip(NEXT) | instid1(VALU_DEP_1)
	v_mul_f32_e32 v18, v19, v15
	v_fma_f32 v26, -v12, v18, v19
	s_delay_alu instid0(VALU_DEP_1) | instskip(NEXT) | instid1(VALU_DEP_1)
	v_fmac_f32_e32 v18, v26, v15
	v_fma_f32 v12, -v12, v18, v19
	s_delay_alu instid0(VALU_DEP_1) | instskip(NEXT) | instid1(VALU_DEP_1)
	v_div_fmas_f32 v12, v12, v15, v18
	v_div_fixup_f32 v12, v12, v13, 1.0
	s_delay_alu instid0(VALU_DEP_1)
	v_mul_f32_e32 v14, v14, v12
	v_xor_b32_e32 v15, 0x80000000, v12
                                        ; implicit-def: $vgpr12_vgpr13
.LBB99_302:
	s_and_not1_saveexec_b32 s1, s1
	s_cbranch_execz .LBB99_304
; %bb.303:
	v_div_scale_f32 v14, null, v12, v12, v13
	v_div_scale_f32 v19, vcc_lo, v13, v12, v13
	s_delay_alu instid0(VALU_DEP_2) | instskip(SKIP_1) | instid1(TRANS32_DEP_1)
	v_rcp_f32_e32 v15, v14
	v_nop
	v_fma_f32 v18, -v14, v15, 1.0
	s_delay_alu instid0(VALU_DEP_1) | instskip(NEXT) | instid1(VALU_DEP_1)
	v_fmac_f32_e32 v15, v18, v15
	v_mul_f32_e32 v18, v19, v15
	s_delay_alu instid0(VALU_DEP_1) | instskip(NEXT) | instid1(VALU_DEP_1)
	v_fma_f32 v26, -v14, v18, v19
	v_fmac_f32_e32 v18, v26, v15
	s_delay_alu instid0(VALU_DEP_1) | instskip(NEXT) | instid1(VALU_DEP_1)
	v_fma_f32 v14, -v14, v18, v19
	v_div_fmas_f32 v14, v14, v15, v18
	s_delay_alu instid0(VALU_DEP_1) | instskip(NEXT) | instid1(VALU_DEP_1)
	v_div_fixup_f32 v15, v14, v12, v13
	v_fmac_f32_e32 v12, v13, v15
	s_delay_alu instid0(VALU_DEP_1) | instskip(NEXT) | instid1(VALU_DEP_1)
	v_div_scale_f32 v13, null, v12, v12, 1.0
	v_rcp_f32_e32 v14, v13
	v_nop
	s_delay_alu instid0(TRANS32_DEP_1) | instskip(NEXT) | instid1(VALU_DEP_1)
	v_fma_f32 v18, -v13, v14, 1.0
	v_fmac_f32_e32 v14, v18, v14
	v_div_scale_f32 v18, vcc_lo, 1.0, v12, 1.0
	s_delay_alu instid0(VALU_DEP_1) | instskip(NEXT) | instid1(VALU_DEP_1)
	v_mul_f32_e32 v19, v18, v14
	v_fma_f32 v26, -v13, v19, v18
	s_delay_alu instid0(VALU_DEP_1) | instskip(NEXT) | instid1(VALU_DEP_1)
	v_fmac_f32_e32 v19, v26, v14
	v_fma_f32 v13, -v13, v19, v18
	s_delay_alu instid0(VALU_DEP_1) | instskip(NEXT) | instid1(VALU_DEP_1)
	v_div_fmas_f32 v13, v13, v14, v19
	v_div_fixup_f32 v14, v13, v12, 1.0
	s_delay_alu instid0(VALU_DEP_1)
	v_mul_f32_e64 v15, v15, -v14
.LBB99_304:
	s_or_b32 exec_lo, exec_lo, s1
	ds_store_b64 v87, v[14:15]
.LBB99_305:
	s_or_b32 exec_lo, exec_lo, s2
	s_wait_dscnt 0x0
	s_barrier_signal -1
	s_barrier_wait -1
	ds_load_b64 v[12:13], v87
	s_mov_b32 s1, exec_lo
	v_cmpx_lt_u32_e32 33, v86
	s_cbranch_execz .LBB99_307
; %bb.306:
	ds_load_2addr_b64 v[26:29], v96 offset0:34 offset1:35
	s_wait_dscnt 0x1
	v_pk_mul_f32 v[18:19], v[12:13], v[140:141] op_sel:[1,1] op_sel_hi:[0,1]
	s_delay_alu instid0(VALU_DEP_1) | instskip(SKIP_1) | instid1(VALU_DEP_1)
	v_pk_fma_f32 v[14:15], v[12:13], v[140:141], v[18:19] op_sel_hi:[1,0,1] neg_lo:[0,0,1] neg_hi:[0,0,1]
	v_pk_fma_f32 v[18:19], v[12:13], v[140:141], v[18:19] op_sel_hi:[1,0,1]
	v_dual_mov_b32 v140, v14 :: v_dual_mov_b32 v141, v19
	s_wait_dscnt 0x0
	s_delay_alu instid0(VALU_DEP_2) | instskip(NEXT) | instid1(VALU_DEP_1)
	v_pk_mul_f32 v[30:31], v[26:27], v[18:19] op_sel:[0,1]
	v_pk_fma_f32 v[40:41], v[26:27], v[14:15], v[30:31] op_sel:[0,0,1] op_sel_hi:[1,1,0] neg_lo:[0,0,1] neg_hi:[0,0,1]
	v_pk_fma_f32 v[26:27], v[26:27], v[14:15], v[30:31] op_sel:[0,0,1] op_sel_hi:[1,0,0]
	s_delay_alu instid0(VALU_DEP_1) | instskip(SKIP_1) | instid1(VALU_DEP_1)
	v_mov_b32_e32 v41, v27
	v_pk_mul_f32 v[26:27], v[28:29], v[18:19] op_sel:[0,1]
	v_pk_fma_f32 v[30:31], v[28:29], v[14:15], v[26:27] op_sel:[0,0,1] op_sel_hi:[1,1,0] neg_lo:[0,0,1] neg_hi:[0,0,1]
	v_pk_fma_f32 v[26:27], v[28:29], v[14:15], v[26:27] op_sel:[0,0,1] op_sel_hi:[1,0,0]
	s_delay_alu instid0(VALU_DEP_1)
	v_mov_b32_e32 v31, v27
	ds_load_2addr_b64 v[26:29], v96 offset0:36 offset1:37
	v_pk_add_f32 v[142:143], v[142:143], v[40:41] neg_lo:[0,1] neg_hi:[0,1]
	v_pk_add_f32 v[138:139], v[138:139], v[30:31] neg_lo:[0,1] neg_hi:[0,1]
	s_wait_dscnt 0x0
	v_pk_mul_f32 v[30:31], v[26:27], v[18:19] op_sel:[0,1]
	s_delay_alu instid0(VALU_DEP_1) | instskip(SKIP_2) | instid1(VALU_DEP_2)
	v_pk_fma_f32 v[40:41], v[26:27], v[14:15], v[30:31] op_sel:[0,0,1] op_sel_hi:[1,1,0] neg_lo:[0,0,1] neg_hi:[0,0,1]
	v_pk_fma_f32 v[26:27], v[26:27], v[14:15], v[30:31] op_sel:[0,0,1] op_sel_hi:[1,0,0]
	v_dual_mul_f32 v30, v29, v19 :: v_dual_mov_b32 v26, v29
	v_dual_mov_b32 v41, v27 :: v_dual_mov_b32 v27, v28
	s_delay_alu instid0(VALU_DEP_2) | instskip(SKIP_1) | instid1(VALU_DEP_3)
	v_pk_fma_f32 v[30:31], v[28:29], v[140:141], v[30:31] op_sel_hi:[1,1,0] neg_lo:[0,0,1] neg_hi:[0,0,1]
	v_mul_f32_e32 v28, v29, v14
	v_pk_add_f32 v[162:163], v[162:163], v[40:41] neg_lo:[0,1] neg_hi:[0,1]
	s_delay_alu instid0(VALU_DEP_2) | instskip(NEXT) | instid1(VALU_DEP_1)
	v_pk_fma_f32 v[26:27], v[26:27], v[140:141], v[28:29] op_sel_hi:[1,1,0]
	v_mov_b32_e32 v31, v27
	ds_load_2addr_b64 v[26:29], v96 offset0:38 offset1:39
	v_pk_add_f32 v[158:159], v[158:159], v[30:31] neg_lo:[0,1] neg_hi:[0,1]
	s_wait_dscnt 0x0
	v_pk_mul_f32 v[30:31], v[26:27], v[18:19] op_sel:[0,1]
	s_delay_alu instid0(VALU_DEP_1) | instskip(SKIP_1) | instid1(VALU_DEP_1)
	v_pk_fma_f32 v[40:41], v[26:27], v[14:15], v[30:31] op_sel:[0,0,1] op_sel_hi:[1,1,0] neg_lo:[0,0,1] neg_hi:[0,0,1]
	v_pk_fma_f32 v[26:27], v[26:27], v[14:15], v[30:31] op_sel:[0,0,1] op_sel_hi:[1,0,0]
	v_mov_b32_e32 v41, v27
	v_pk_mul_f32 v[26:27], v[28:29], v[18:19] op_sel:[0,1]
	s_delay_alu instid0(VALU_DEP_1) | instskip(SKIP_1) | instid1(VALU_DEP_1)
	v_pk_fma_f32 v[30:31], v[28:29], v[14:15], v[26:27] op_sel:[0,0,1] op_sel_hi:[1,1,0] neg_lo:[0,0,1] neg_hi:[0,0,1]
	v_pk_fma_f32 v[26:27], v[28:29], v[14:15], v[26:27] op_sel:[0,0,1] op_sel_hi:[1,0,0]
	v_mov_b32_e32 v31, v27
	ds_load_2addr_b64 v[26:29], v96 offset0:40 offset1:41
	v_pk_add_f32 v[160:161], v[160:161], v[40:41] neg_lo:[0,1] neg_hi:[0,1]
	v_pk_add_f32 v[156:157], v[156:157], v[30:31] neg_lo:[0,1] neg_hi:[0,1]
	s_wait_dscnt 0x0
	v_pk_mul_f32 v[30:31], v[26:27], v[18:19] op_sel:[0,1]
	s_delay_alu instid0(VALU_DEP_1) | instskip(SKIP_1) | instid1(VALU_DEP_1)
	v_pk_fma_f32 v[40:41], v[26:27], v[14:15], v[30:31] op_sel:[0,0,1] op_sel_hi:[1,1,0] neg_lo:[0,0,1] neg_hi:[0,0,1]
	v_pk_fma_f32 v[26:27], v[26:27], v[14:15], v[30:31] op_sel:[0,0,1] op_sel_hi:[1,0,0]
	v_mov_b32_e32 v41, v27
	v_pk_mul_f32 v[26:27], v[28:29], v[18:19] op_sel:[0,1]
	s_delay_alu instid0(VALU_DEP_1) | instskip(SKIP_1) | instid1(VALU_DEP_1)
	v_pk_fma_f32 v[30:31], v[28:29], v[14:15], v[26:27] op_sel:[0,0,1] op_sel_hi:[1,1,0] neg_lo:[0,0,1] neg_hi:[0,0,1]
	v_pk_fma_f32 v[26:27], v[28:29], v[14:15], v[26:27] op_sel:[0,0,1] op_sel_hi:[1,0,0]
	v_mov_b32_e32 v31, v27
	ds_load_2addr_b64 v[26:29], v96 offset0:42 offset1:43
	v_pk_add_f32 v[180:181], v[180:181], v[40:41] neg_lo:[0,1] neg_hi:[0,1]
	v_pk_add_f32 v[176:177], v[176:177], v[30:31] neg_lo:[0,1] neg_hi:[0,1]
	s_wait_dscnt 0x0
	v_dual_mul_f32 v30, v27, v19 :: v_dual_mul_f32 v40, v27, v14
	s_delay_alu instid0(VALU_DEP_1) | instskip(NEXT) | instid1(VALU_DEP_2)
	v_pk_fma_f32 v[30:31], v[26:27], v[140:141], v[30:31] op_sel_hi:[1,1,0] neg_lo:[0,0,1] neg_hi:[0,0,1]
	v_pk_fma_f32 v[26:27], v[26:27], v[140:141], v[40:41] op_sel:[1,0,0] op_sel_hi:[0,1,0]
	s_delay_alu instid0(VALU_DEP_1) | instskip(SKIP_1) | instid1(VALU_DEP_2)
	v_mov_b32_e32 v31, v27
	v_pk_mul_f32 v[26:27], v[28:29], v[18:19] op_sel:[0,1]
	v_pk_add_f32 v[178:179], v[178:179], v[30:31] neg_lo:[0,1] neg_hi:[0,1]
	s_delay_alu instid0(VALU_DEP_2) | instskip(SKIP_1) | instid1(VALU_DEP_1)
	v_pk_fma_f32 v[30:31], v[28:29], v[14:15], v[26:27] op_sel:[0,0,1] op_sel_hi:[1,1,0] neg_lo:[0,0,1] neg_hi:[0,0,1]
	v_pk_fma_f32 v[26:27], v[28:29], v[14:15], v[26:27] op_sel:[0,0,1] op_sel_hi:[1,0,0]
	v_mov_b32_e32 v31, v27
	ds_load_2addr_b64 v[26:29], v96 offset0:44 offset1:45
	v_pk_add_f32 v[174:175], v[174:175], v[30:31] neg_lo:[0,1] neg_hi:[0,1]
	s_wait_dscnt 0x0
	v_pk_mul_f32 v[30:31], v[26:27], v[18:19] op_sel:[0,1]
	s_delay_alu instid0(VALU_DEP_1) | instskip(SKIP_1) | instid1(VALU_DEP_1)
	v_pk_fma_f32 v[40:41], v[26:27], v[14:15], v[30:31] op_sel:[0,0,1] op_sel_hi:[1,1,0] neg_lo:[0,0,1] neg_hi:[0,0,1]
	v_pk_fma_f32 v[26:27], v[26:27], v[14:15], v[30:31] op_sel:[0,0,1] op_sel_hi:[1,0,0]
	v_mov_b32_e32 v41, v27
	v_pk_mul_f32 v[26:27], v[28:29], v[18:19] op_sel:[0,1]
	s_delay_alu instid0(VALU_DEP_2) | instskip(NEXT) | instid1(VALU_DEP_2)
	v_pk_add_f32 v[196:197], v[196:197], v[40:41] neg_lo:[0,1] neg_hi:[0,1]
	v_pk_fma_f32 v[30:31], v[28:29], v[14:15], v[26:27] op_sel:[0,0,1] op_sel_hi:[1,1,0] neg_lo:[0,0,1] neg_hi:[0,0,1]
	v_pk_fma_f32 v[26:27], v[28:29], v[14:15], v[26:27] op_sel:[0,0,1] op_sel_hi:[1,0,0]
	s_delay_alu instid0(VALU_DEP_1) | instskip(SKIP_4) | instid1(VALU_DEP_1)
	v_mov_b32_e32 v31, v27
	ds_load_2addr_b64 v[26:29], v96 offset0:46 offset1:47
	v_pk_add_f32 v[192:193], v[192:193], v[30:31] neg_lo:[0,1] neg_hi:[0,1]
	s_wait_dscnt 0x0
	v_pk_mul_f32 v[30:31], v[26:27], v[18:19] op_sel:[0,1]
	v_pk_fma_f32 v[40:41], v[26:27], v[14:15], v[30:31] op_sel:[0,0,1] op_sel_hi:[1,1,0] neg_lo:[0,0,1] neg_hi:[0,0,1]
	v_pk_fma_f32 v[26:27], v[26:27], v[14:15], v[30:31] op_sel:[0,0,1] op_sel_hi:[1,0,0]
	v_dual_mul_f32 v30, v29, v19 :: v_dual_mov_b32 v26, v29
	s_delay_alu instid0(VALU_DEP_2) | instskip(NEXT) | instid1(VALU_DEP_2)
	v_dual_mov_b32 v41, v27 :: v_dual_mov_b32 v27, v28
	v_pk_fma_f32 v[30:31], v[28:29], v[140:141], v[30:31] op_sel_hi:[1,1,0] neg_lo:[0,0,1] neg_hi:[0,0,1]
	v_mul_f32_e32 v28, v29, v14
	s_delay_alu instid0(VALU_DEP_3) | instskip(NEXT) | instid1(VALU_DEP_2)
	v_pk_add_f32 v[194:195], v[194:195], v[40:41] neg_lo:[0,1] neg_hi:[0,1]
	v_pk_fma_f32 v[26:27], v[26:27], v[140:141], v[28:29] op_sel_hi:[1,1,0]
	s_delay_alu instid0(VALU_DEP_1)
	v_mov_b32_e32 v31, v27
	ds_load_2addr_b64 v[26:29], v96 offset0:48 offset1:49
	v_pk_add_f32 v[190:191], v[190:191], v[30:31] neg_lo:[0,1] neg_hi:[0,1]
	s_wait_dscnt 0x0
	v_pk_mul_f32 v[30:31], v[26:27], v[18:19] op_sel:[0,1]
	v_pk_mul_f32 v[18:19], v[28:29], v[18:19] op_sel:[0,1]
	s_delay_alu instid0(VALU_DEP_2) | instskip(SKIP_1) | instid1(VALU_DEP_1)
	v_pk_fma_f32 v[40:41], v[26:27], v[14:15], v[30:31] op_sel:[0,0,1] op_sel_hi:[1,1,0] neg_lo:[0,0,1] neg_hi:[0,0,1]
	v_pk_fma_f32 v[26:27], v[26:27], v[14:15], v[30:31] op_sel:[0,0,1] op_sel_hi:[1,0,0]
	v_mov_b32_e32 v41, v27
	s_delay_alu instid0(VALU_DEP_4) | instskip(SKIP_1) | instid1(VALU_DEP_1)
	v_pk_fma_f32 v[26:27], v[28:29], v[14:15], v[18:19] op_sel:[0,0,1] op_sel_hi:[1,1,0] neg_lo:[0,0,1] neg_hi:[0,0,1]
	v_pk_fma_f32 v[14:15], v[28:29], v[14:15], v[18:19] op_sel:[0,0,1] op_sel_hi:[1,0,0]
	v_mov_b32_e32 v27, v15
	s_delay_alu instid0(VALU_DEP_4) | instskip(NEXT) | instid1(VALU_DEP_2)
	v_pk_add_f32 v[198:199], v[198:199], v[40:41] neg_lo:[0,1] neg_hi:[0,1]
	v_pk_add_f32 v[200:201], v[200:201], v[26:27] neg_lo:[0,1] neg_hi:[0,1]
.LBB99_307:
	s_or_b32 exec_lo, exec_lo, s1
	s_delay_alu instid0(SALU_CYCLE_1)
	s_mov_b32 s2, exec_lo
	s_wait_dscnt 0x0
	s_barrier_signal -1
	s_barrier_wait -1
	v_cmpx_eq_u32_e32 34, v86
	s_cbranch_execz .LBB99_314
; %bb.308:
	ds_store_b64 v87, v[142:143]
	ds_store_2addr_b64 v96, v[138:139], v[162:163] offset0:35 offset1:36
	ds_store_2addr_b64 v96, v[158:159], v[160:161] offset0:37 offset1:38
	;; [unrolled: 1-line block ×7, first 2 shown]
	ds_store_b64 v96, v[200:201] offset:392
	ds_load_b64 v[14:15], v87
	s_wait_dscnt 0x0
	v_cmp_neq_f32_e32 vcc_lo, 0, v14
	v_cmp_neq_f32_e64 s1, 0, v15
	s_or_b32 s1, vcc_lo, s1
	s_delay_alu instid0(SALU_CYCLE_1)
	s_and_b32 exec_lo, exec_lo, s1
	s_cbranch_execz .LBB99_314
; %bb.309:
	v_cmp_ngt_f32_e64 s1, |v14|, |v15|
                                        ; implicit-def: $vgpr18_vgpr19
	s_and_saveexec_b32 s4, s1
	s_delay_alu instid0(SALU_CYCLE_1)
	s_xor_b32 s1, exec_lo, s4
	s_cbranch_execz .LBB99_311
; %bb.310:
	v_div_scale_f32 v18, null, v15, v15, v14
	v_div_scale_f32 v27, vcc_lo, v14, v15, v14
	s_delay_alu instid0(VALU_DEP_2) | instskip(SKIP_1) | instid1(TRANS32_DEP_1)
	v_rcp_f32_e32 v19, v18
	v_nop
	v_fma_f32 v26, -v18, v19, 1.0
	s_delay_alu instid0(VALU_DEP_1) | instskip(NEXT) | instid1(VALU_DEP_1)
	v_fmac_f32_e32 v19, v26, v19
	v_mul_f32_e32 v26, v27, v19
	s_delay_alu instid0(VALU_DEP_1) | instskip(NEXT) | instid1(VALU_DEP_1)
	v_fma_f32 v28, -v18, v26, v27
	v_fmac_f32_e32 v26, v28, v19
	s_delay_alu instid0(VALU_DEP_1) | instskip(NEXT) | instid1(VALU_DEP_1)
	v_fma_f32 v18, -v18, v26, v27
	v_div_fmas_f32 v18, v18, v19, v26
	s_delay_alu instid0(VALU_DEP_1) | instskip(NEXT) | instid1(VALU_DEP_1)
	v_div_fixup_f32 v18, v18, v15, v14
	v_fmac_f32_e32 v15, v14, v18
	s_delay_alu instid0(VALU_DEP_1) | instskip(SKIP_1) | instid1(VALU_DEP_2)
	v_div_scale_f32 v14, null, v15, v15, 1.0
	v_div_scale_f32 v27, vcc_lo, 1.0, v15, 1.0
	v_rcp_f32_e32 v19, v14
	v_nop
	s_delay_alu instid0(TRANS32_DEP_1) | instskip(NEXT) | instid1(VALU_DEP_1)
	v_fma_f32 v26, -v14, v19, 1.0
	v_fmac_f32_e32 v19, v26, v19
	s_delay_alu instid0(VALU_DEP_1) | instskip(NEXT) | instid1(VALU_DEP_1)
	v_mul_f32_e32 v26, v27, v19
	v_fma_f32 v28, -v14, v26, v27
	s_delay_alu instid0(VALU_DEP_1) | instskip(NEXT) | instid1(VALU_DEP_1)
	v_fmac_f32_e32 v26, v28, v19
	v_fma_f32 v14, -v14, v26, v27
	s_delay_alu instid0(VALU_DEP_1) | instskip(NEXT) | instid1(VALU_DEP_1)
	v_div_fmas_f32 v14, v14, v19, v26
	v_div_fixup_f32 v14, v14, v15, 1.0
	s_delay_alu instid0(VALU_DEP_1)
	v_mul_f32_e32 v18, v18, v14
	v_xor_b32_e32 v19, 0x80000000, v14
                                        ; implicit-def: $vgpr14_vgpr15
.LBB99_311:
	s_and_not1_saveexec_b32 s1, s1
	s_cbranch_execz .LBB99_313
; %bb.312:
	v_div_scale_f32 v18, null, v14, v14, v15
	v_div_scale_f32 v27, vcc_lo, v15, v14, v15
	s_delay_alu instid0(VALU_DEP_2) | instskip(SKIP_1) | instid1(TRANS32_DEP_1)
	v_rcp_f32_e32 v19, v18
	v_nop
	v_fma_f32 v26, -v18, v19, 1.0
	s_delay_alu instid0(VALU_DEP_1) | instskip(NEXT) | instid1(VALU_DEP_1)
	v_fmac_f32_e32 v19, v26, v19
	v_mul_f32_e32 v26, v27, v19
	s_delay_alu instid0(VALU_DEP_1) | instskip(NEXT) | instid1(VALU_DEP_1)
	v_fma_f32 v28, -v18, v26, v27
	v_fmac_f32_e32 v26, v28, v19
	s_delay_alu instid0(VALU_DEP_1) | instskip(NEXT) | instid1(VALU_DEP_1)
	v_fma_f32 v18, -v18, v26, v27
	v_div_fmas_f32 v18, v18, v19, v26
	s_delay_alu instid0(VALU_DEP_1) | instskip(NEXT) | instid1(VALU_DEP_1)
	v_div_fixup_f32 v19, v18, v14, v15
	v_fmac_f32_e32 v14, v15, v19
	s_delay_alu instid0(VALU_DEP_1) | instskip(NEXT) | instid1(VALU_DEP_1)
	v_div_scale_f32 v15, null, v14, v14, 1.0
	v_rcp_f32_e32 v18, v15
	v_nop
	s_delay_alu instid0(TRANS32_DEP_1) | instskip(NEXT) | instid1(VALU_DEP_1)
	v_fma_f32 v26, -v15, v18, 1.0
	v_fmac_f32_e32 v18, v26, v18
	v_div_scale_f32 v26, vcc_lo, 1.0, v14, 1.0
	s_delay_alu instid0(VALU_DEP_1) | instskip(NEXT) | instid1(VALU_DEP_1)
	v_mul_f32_e32 v27, v26, v18
	v_fma_f32 v28, -v15, v27, v26
	s_delay_alu instid0(VALU_DEP_1) | instskip(NEXT) | instid1(VALU_DEP_1)
	v_fmac_f32_e32 v27, v28, v18
	v_fma_f32 v15, -v15, v27, v26
	s_delay_alu instid0(VALU_DEP_1) | instskip(NEXT) | instid1(VALU_DEP_1)
	v_div_fmas_f32 v15, v15, v18, v27
	v_div_fixup_f32 v18, v15, v14, 1.0
	s_delay_alu instid0(VALU_DEP_1)
	v_mul_f32_e64 v19, v19, -v18
.LBB99_313:
	s_or_b32 exec_lo, exec_lo, s1
	ds_store_b64 v87, v[18:19]
.LBB99_314:
	s_or_b32 exec_lo, exec_lo, s2
	s_wait_dscnt 0x0
	s_barrier_signal -1
	s_barrier_wait -1
	ds_load_b64 v[14:15], v87
	s_mov_b32 s1, exec_lo
	v_cmpx_lt_u32_e32 34, v86
	s_cbranch_execz .LBB99_316
; %bb.315:
	ds_load_2addr_b64 v[28:31], v96 offset0:35 offset1:36
	s_wait_dscnt 0x1
	v_pk_mul_f32 v[26:27], v[14:15], v[142:143] op_sel:[1,1] op_sel_hi:[0,1]
	s_delay_alu instid0(VALU_DEP_1) | instskip(SKIP_1) | instid1(VALU_DEP_1)
	v_pk_fma_f32 v[18:19], v[14:15], v[142:143], v[26:27] op_sel_hi:[1,0,1] neg_lo:[0,0,1] neg_hi:[0,0,1]
	v_pk_fma_f32 v[26:27], v[14:15], v[142:143], v[26:27] op_sel_hi:[1,0,1]
	v_dual_mov_b32 v142, v18 :: v_dual_mov_b32 v143, v27
	s_wait_dscnt 0x0
	s_delay_alu instid0(VALU_DEP_2) | instskip(NEXT) | instid1(VALU_DEP_1)
	v_pk_mul_f32 v[40:41], v[28:29], v[26:27] op_sel:[0,1]
	v_pk_fma_f32 v[42:43], v[28:29], v[18:19], v[40:41] op_sel:[0,0,1] op_sel_hi:[1,1,0] neg_lo:[0,0,1] neg_hi:[0,0,1]
	v_pk_fma_f32 v[28:29], v[28:29], v[18:19], v[40:41] op_sel:[0,0,1] op_sel_hi:[1,0,0]
	s_delay_alu instid0(VALU_DEP_1) | instskip(SKIP_1) | instid1(VALU_DEP_1)
	v_mov_b32_e32 v43, v29
	v_pk_mul_f32 v[28:29], v[30:31], v[26:27] op_sel:[0,1]
	v_pk_fma_f32 v[40:41], v[30:31], v[18:19], v[28:29] op_sel:[0,0,1] op_sel_hi:[1,1,0] neg_lo:[0,0,1] neg_hi:[0,0,1]
	v_pk_fma_f32 v[28:29], v[30:31], v[18:19], v[28:29] op_sel:[0,0,1] op_sel_hi:[1,0,0]
	s_delay_alu instid0(VALU_DEP_1)
	v_mov_b32_e32 v41, v29
	ds_load_2addr_b64 v[28:31], v96 offset0:37 offset1:38
	v_pk_add_f32 v[138:139], v[138:139], v[42:43] neg_lo:[0,1] neg_hi:[0,1]
	v_pk_add_f32 v[162:163], v[162:163], v[40:41] neg_lo:[0,1] neg_hi:[0,1]
	s_wait_dscnt 0x0
	v_pk_mul_f32 v[40:41], v[28:29], v[26:27] op_sel:[0,1]
	s_delay_alu instid0(VALU_DEP_1) | instskip(SKIP_2) | instid1(VALU_DEP_2)
	v_pk_fma_f32 v[42:43], v[28:29], v[18:19], v[40:41] op_sel:[0,0,1] op_sel_hi:[1,1,0] neg_lo:[0,0,1] neg_hi:[0,0,1]
	v_pk_fma_f32 v[28:29], v[28:29], v[18:19], v[40:41] op_sel:[0,0,1] op_sel_hi:[1,0,0]
	v_dual_mul_f32 v40, v31, v27 :: v_dual_mov_b32 v28, v31
	v_dual_mov_b32 v43, v29 :: v_dual_mov_b32 v29, v30
	s_delay_alu instid0(VALU_DEP_2) | instskip(SKIP_1) | instid1(VALU_DEP_3)
	v_pk_fma_f32 v[40:41], v[30:31], v[142:143], v[40:41] op_sel_hi:[1,1,0] neg_lo:[0,0,1] neg_hi:[0,0,1]
	v_mul_f32_e32 v30, v31, v18
	v_pk_add_f32 v[158:159], v[158:159], v[42:43] neg_lo:[0,1] neg_hi:[0,1]
	s_delay_alu instid0(VALU_DEP_2) | instskip(NEXT) | instid1(VALU_DEP_1)
	v_pk_fma_f32 v[28:29], v[28:29], v[142:143], v[30:31] op_sel_hi:[1,1,0]
	v_mov_b32_e32 v41, v29
	ds_load_2addr_b64 v[28:31], v96 offset0:39 offset1:40
	v_pk_add_f32 v[160:161], v[160:161], v[40:41] neg_lo:[0,1] neg_hi:[0,1]
	s_wait_dscnt 0x0
	v_pk_mul_f32 v[40:41], v[28:29], v[26:27] op_sel:[0,1]
	s_delay_alu instid0(VALU_DEP_1) | instskip(SKIP_1) | instid1(VALU_DEP_1)
	v_pk_fma_f32 v[42:43], v[28:29], v[18:19], v[40:41] op_sel:[0,0,1] op_sel_hi:[1,1,0] neg_lo:[0,0,1] neg_hi:[0,0,1]
	v_pk_fma_f32 v[28:29], v[28:29], v[18:19], v[40:41] op_sel:[0,0,1] op_sel_hi:[1,0,0]
	v_mov_b32_e32 v43, v29
	v_pk_mul_f32 v[28:29], v[30:31], v[26:27] op_sel:[0,1]
	s_delay_alu instid0(VALU_DEP_1) | instskip(SKIP_1) | instid1(VALU_DEP_1)
	v_pk_fma_f32 v[40:41], v[30:31], v[18:19], v[28:29] op_sel:[0,0,1] op_sel_hi:[1,1,0] neg_lo:[0,0,1] neg_hi:[0,0,1]
	v_pk_fma_f32 v[28:29], v[30:31], v[18:19], v[28:29] op_sel:[0,0,1] op_sel_hi:[1,0,0]
	v_mov_b32_e32 v41, v29
	ds_load_2addr_b64 v[28:31], v96 offset0:41 offset1:42
	v_pk_add_f32 v[156:157], v[156:157], v[42:43] neg_lo:[0,1] neg_hi:[0,1]
	v_pk_add_f32 v[180:181], v[180:181], v[40:41] neg_lo:[0,1] neg_hi:[0,1]
	s_wait_dscnt 0x0
	v_pk_mul_f32 v[40:41], v[28:29], v[26:27] op_sel:[0,1]
	s_delay_alu instid0(VALU_DEP_1) | instskip(SKIP_1) | instid1(VALU_DEP_1)
	v_pk_fma_f32 v[42:43], v[28:29], v[18:19], v[40:41] op_sel:[0,0,1] op_sel_hi:[1,1,0] neg_lo:[0,0,1] neg_hi:[0,0,1]
	v_pk_fma_f32 v[28:29], v[28:29], v[18:19], v[40:41] op_sel:[0,0,1] op_sel_hi:[1,0,0]
	v_mov_b32_e32 v43, v29
	v_pk_mul_f32 v[28:29], v[30:31], v[26:27] op_sel:[0,1]
	s_delay_alu instid0(VALU_DEP_1) | instskip(SKIP_1) | instid1(VALU_DEP_1)
	v_pk_fma_f32 v[40:41], v[30:31], v[18:19], v[28:29] op_sel:[0,0,1] op_sel_hi:[1,1,0] neg_lo:[0,0,1] neg_hi:[0,0,1]
	v_pk_fma_f32 v[28:29], v[30:31], v[18:19], v[28:29] op_sel:[0,0,1] op_sel_hi:[1,0,0]
	v_mov_b32_e32 v41, v29
	ds_load_2addr_b64 v[28:31], v96 offset0:43 offset1:44
	v_pk_add_f32 v[176:177], v[176:177], v[42:43] neg_lo:[0,1] neg_hi:[0,1]
	v_pk_add_f32 v[178:179], v[178:179], v[40:41] neg_lo:[0,1] neg_hi:[0,1]
	s_wait_dscnt 0x0
	v_dual_mul_f32 v40, v29, v27 :: v_dual_mul_f32 v42, v29, v18
	s_delay_alu instid0(VALU_DEP_1) | instskip(NEXT) | instid1(VALU_DEP_2)
	v_pk_fma_f32 v[40:41], v[28:29], v[142:143], v[40:41] op_sel_hi:[1,1,0] neg_lo:[0,0,1] neg_hi:[0,0,1]
	v_pk_fma_f32 v[28:29], v[28:29], v[142:143], v[42:43] op_sel:[1,0,0] op_sel_hi:[0,1,0]
	s_delay_alu instid0(VALU_DEP_1) | instskip(SKIP_1) | instid1(VALU_DEP_2)
	v_mov_b32_e32 v41, v29
	v_pk_mul_f32 v[28:29], v[30:31], v[26:27] op_sel:[0,1]
	v_pk_add_f32 v[174:175], v[174:175], v[40:41] neg_lo:[0,1] neg_hi:[0,1]
	s_delay_alu instid0(VALU_DEP_2) | instskip(SKIP_1) | instid1(VALU_DEP_1)
	v_pk_fma_f32 v[40:41], v[30:31], v[18:19], v[28:29] op_sel:[0,0,1] op_sel_hi:[1,1,0] neg_lo:[0,0,1] neg_hi:[0,0,1]
	v_pk_fma_f32 v[28:29], v[30:31], v[18:19], v[28:29] op_sel:[0,0,1] op_sel_hi:[1,0,0]
	v_mov_b32_e32 v41, v29
	ds_load_2addr_b64 v[28:31], v96 offset0:45 offset1:46
	v_pk_add_f32 v[196:197], v[196:197], v[40:41] neg_lo:[0,1] neg_hi:[0,1]
	s_wait_dscnt 0x0
	v_pk_mul_f32 v[40:41], v[28:29], v[26:27] op_sel:[0,1]
	s_delay_alu instid0(VALU_DEP_1) | instskip(SKIP_1) | instid1(VALU_DEP_1)
	v_pk_fma_f32 v[42:43], v[28:29], v[18:19], v[40:41] op_sel:[0,0,1] op_sel_hi:[1,1,0] neg_lo:[0,0,1] neg_hi:[0,0,1]
	v_pk_fma_f32 v[28:29], v[28:29], v[18:19], v[40:41] op_sel:[0,0,1] op_sel_hi:[1,0,0]
	v_mov_b32_e32 v43, v29
	v_pk_mul_f32 v[28:29], v[30:31], v[26:27] op_sel:[0,1]
	s_delay_alu instid0(VALU_DEP_2) | instskip(NEXT) | instid1(VALU_DEP_2)
	v_pk_add_f32 v[192:193], v[192:193], v[42:43] neg_lo:[0,1] neg_hi:[0,1]
	v_pk_fma_f32 v[40:41], v[30:31], v[18:19], v[28:29] op_sel:[0,0,1] op_sel_hi:[1,1,0] neg_lo:[0,0,1] neg_hi:[0,0,1]
	v_pk_fma_f32 v[28:29], v[30:31], v[18:19], v[28:29] op_sel:[0,0,1] op_sel_hi:[1,0,0]
	s_delay_alu instid0(VALU_DEP_1) | instskip(SKIP_4) | instid1(VALU_DEP_1)
	v_mov_b32_e32 v41, v29
	ds_load_2addr_b64 v[28:31], v96 offset0:47 offset1:48
	v_pk_add_f32 v[194:195], v[194:195], v[40:41] neg_lo:[0,1] neg_hi:[0,1]
	s_wait_dscnt 0x0
	v_pk_mul_f32 v[40:41], v[28:29], v[26:27] op_sel:[0,1]
	v_pk_fma_f32 v[42:43], v[28:29], v[18:19], v[40:41] op_sel:[0,0,1] op_sel_hi:[1,1,0] neg_lo:[0,0,1] neg_hi:[0,0,1]
	v_pk_fma_f32 v[28:29], v[28:29], v[18:19], v[40:41] op_sel:[0,0,1] op_sel_hi:[1,0,0]
	v_dual_mul_f32 v40, v31, v27 :: v_dual_mov_b32 v28, v31
	s_delay_alu instid0(VALU_DEP_2) | instskip(NEXT) | instid1(VALU_DEP_2)
	v_dual_mov_b32 v43, v29 :: v_dual_mov_b32 v29, v30
	v_pk_fma_f32 v[40:41], v[30:31], v[142:143], v[40:41] op_sel_hi:[1,1,0] neg_lo:[0,0,1] neg_hi:[0,0,1]
	v_mul_f32_e32 v30, v31, v18
	s_delay_alu instid0(VALU_DEP_3) | instskip(NEXT) | instid1(VALU_DEP_2)
	v_pk_add_f32 v[190:191], v[190:191], v[42:43] neg_lo:[0,1] neg_hi:[0,1]
	v_pk_fma_f32 v[28:29], v[28:29], v[142:143], v[30:31] op_sel_hi:[1,1,0]
	s_delay_alu instid0(VALU_DEP_1) | instskip(SKIP_4) | instid1(VALU_DEP_1)
	v_mov_b32_e32 v41, v29
	ds_load_b64 v[28:29], v96 offset:392
	v_pk_add_f32 v[198:199], v[198:199], v[40:41] neg_lo:[0,1] neg_hi:[0,1]
	s_wait_dscnt 0x0
	v_pk_mul_f32 v[26:27], v[28:29], v[26:27] op_sel:[0,1]
	v_pk_fma_f32 v[30:31], v[28:29], v[18:19], v[26:27] op_sel:[0,0,1] op_sel_hi:[1,1,0] neg_lo:[0,0,1] neg_hi:[0,0,1]
	v_pk_fma_f32 v[18:19], v[28:29], v[18:19], v[26:27] op_sel:[0,0,1] op_sel_hi:[1,0,0]
	s_delay_alu instid0(VALU_DEP_1) | instskip(NEXT) | instid1(VALU_DEP_1)
	v_mov_b32_e32 v31, v19
	v_pk_add_f32 v[200:201], v[200:201], v[30:31] neg_lo:[0,1] neg_hi:[0,1]
.LBB99_316:
	s_or_b32 exec_lo, exec_lo, s1
	s_delay_alu instid0(SALU_CYCLE_1)
	s_mov_b32 s2, exec_lo
	s_wait_dscnt 0x0
	s_barrier_signal -1
	s_barrier_wait -1
	v_cmpx_eq_u32_e32 35, v86
	s_cbranch_execz .LBB99_323
; %bb.317:
	v_dual_mov_b32 v18, v162 :: v_dual_mov_b32 v19, v163
	v_dual_mov_b32 v26, v158 :: v_dual_mov_b32 v27, v159
	ds_store_b64 v87, v[138:139]
	ds_store_2addr_b64 v96, v[18:19], v[26:27] offset0:36 offset1:37
	v_dual_mov_b32 v18, v160 :: v_dual_mov_b32 v19, v161
	v_dual_mov_b32 v26, v156 :: v_dual_mov_b32 v27, v157
	ds_store_2addr_b64 v96, v[18:19], v[26:27] offset0:38 offset1:39
	v_dual_mov_b32 v18, v180 :: v_dual_mov_b32 v19, v181
	v_dual_mov_b32 v26, v176 :: v_dual_mov_b32 v27, v177
	ds_store_2addr_b64 v96, v[18:19], v[26:27] offset0:40 offset1:41
	v_dual_mov_b32 v18, v178 :: v_dual_mov_b32 v19, v179
	v_dual_mov_b32 v26, v174 :: v_dual_mov_b32 v27, v175
	ds_store_2addr_b64 v96, v[18:19], v[26:27] offset0:42 offset1:43
	v_dual_mov_b32 v18, v196 :: v_dual_mov_b32 v19, v197
	v_dual_mov_b32 v26, v192 :: v_dual_mov_b32 v27, v193
	ds_store_2addr_b64 v96, v[18:19], v[26:27] offset0:44 offset1:45
	v_dual_mov_b32 v18, v194 :: v_dual_mov_b32 v19, v195
	v_dual_mov_b32 v26, v190 :: v_dual_mov_b32 v27, v191
	ds_store_2addr_b64 v96, v[18:19], v[26:27] offset0:46 offset1:47
	v_dual_mov_b32 v18, v198 :: v_dual_mov_b32 v19, v199
	ds_store_2addr_b64 v96, v[18:19], v[200:201] offset0:48 offset1:49
	ds_load_b64 v[18:19], v87
	s_wait_dscnt 0x0
	v_cmp_neq_f32_e32 vcc_lo, 0, v18
	v_cmp_neq_f32_e64 s1, 0, v19
	s_or_b32 s1, vcc_lo, s1
	s_delay_alu instid0(SALU_CYCLE_1)
	s_and_b32 exec_lo, exec_lo, s1
	s_cbranch_execz .LBB99_323
; %bb.318:
	v_cmp_ngt_f32_e64 s1, |v18|, |v19|
                                        ; implicit-def: $vgpr26_vgpr27
	s_and_saveexec_b32 s4, s1
	s_delay_alu instid0(SALU_CYCLE_1)
	s_xor_b32 s1, exec_lo, s4
	s_cbranch_execz .LBB99_320
; %bb.319:
	v_div_scale_f32 v26, null, v19, v19, v18
	v_div_scale_f32 v29, vcc_lo, v18, v19, v18
	s_delay_alu instid0(VALU_DEP_2) | instskip(SKIP_1) | instid1(TRANS32_DEP_1)
	v_rcp_f32_e32 v27, v26
	v_nop
	v_fma_f32 v28, -v26, v27, 1.0
	s_delay_alu instid0(VALU_DEP_1) | instskip(NEXT) | instid1(VALU_DEP_1)
	v_fmac_f32_e32 v27, v28, v27
	v_mul_f32_e32 v28, v29, v27
	s_delay_alu instid0(VALU_DEP_1) | instskip(NEXT) | instid1(VALU_DEP_1)
	v_fma_f32 v30, -v26, v28, v29
	v_fmac_f32_e32 v28, v30, v27
	s_delay_alu instid0(VALU_DEP_1) | instskip(NEXT) | instid1(VALU_DEP_1)
	v_fma_f32 v26, -v26, v28, v29
	v_div_fmas_f32 v26, v26, v27, v28
	s_delay_alu instid0(VALU_DEP_1) | instskip(NEXT) | instid1(VALU_DEP_1)
	v_div_fixup_f32 v26, v26, v19, v18
	v_fmac_f32_e32 v19, v18, v26
	s_delay_alu instid0(VALU_DEP_1) | instskip(SKIP_1) | instid1(VALU_DEP_2)
	v_div_scale_f32 v18, null, v19, v19, 1.0
	v_div_scale_f32 v29, vcc_lo, 1.0, v19, 1.0
	v_rcp_f32_e32 v27, v18
	v_nop
	s_delay_alu instid0(TRANS32_DEP_1) | instskip(NEXT) | instid1(VALU_DEP_1)
	v_fma_f32 v28, -v18, v27, 1.0
	v_fmac_f32_e32 v27, v28, v27
	s_delay_alu instid0(VALU_DEP_1) | instskip(NEXT) | instid1(VALU_DEP_1)
	v_mul_f32_e32 v28, v29, v27
	v_fma_f32 v30, -v18, v28, v29
	s_delay_alu instid0(VALU_DEP_1) | instskip(NEXT) | instid1(VALU_DEP_1)
	v_fmac_f32_e32 v28, v30, v27
	v_fma_f32 v18, -v18, v28, v29
	s_delay_alu instid0(VALU_DEP_1) | instskip(NEXT) | instid1(VALU_DEP_1)
	v_div_fmas_f32 v18, v18, v27, v28
	v_div_fixup_f32 v18, v18, v19, 1.0
	s_delay_alu instid0(VALU_DEP_1)
	v_mul_f32_e32 v26, v26, v18
	v_xor_b32_e32 v27, 0x80000000, v18
                                        ; implicit-def: $vgpr18_vgpr19
.LBB99_320:
	s_and_not1_saveexec_b32 s1, s1
	s_cbranch_execz .LBB99_322
; %bb.321:
	v_div_scale_f32 v26, null, v18, v18, v19
	v_div_scale_f32 v29, vcc_lo, v19, v18, v19
	s_delay_alu instid0(VALU_DEP_2) | instskip(SKIP_1) | instid1(TRANS32_DEP_1)
	v_rcp_f32_e32 v27, v26
	v_nop
	v_fma_f32 v28, -v26, v27, 1.0
	s_delay_alu instid0(VALU_DEP_1) | instskip(NEXT) | instid1(VALU_DEP_1)
	v_fmac_f32_e32 v27, v28, v27
	v_mul_f32_e32 v28, v29, v27
	s_delay_alu instid0(VALU_DEP_1) | instskip(NEXT) | instid1(VALU_DEP_1)
	v_fma_f32 v30, -v26, v28, v29
	v_fmac_f32_e32 v28, v30, v27
	s_delay_alu instid0(VALU_DEP_1) | instskip(NEXT) | instid1(VALU_DEP_1)
	v_fma_f32 v26, -v26, v28, v29
	v_div_fmas_f32 v26, v26, v27, v28
	s_delay_alu instid0(VALU_DEP_1) | instskip(NEXT) | instid1(VALU_DEP_1)
	v_div_fixup_f32 v27, v26, v18, v19
	v_fmac_f32_e32 v18, v19, v27
	s_delay_alu instid0(VALU_DEP_1) | instskip(NEXT) | instid1(VALU_DEP_1)
	v_div_scale_f32 v19, null, v18, v18, 1.0
	v_rcp_f32_e32 v26, v19
	v_nop
	s_delay_alu instid0(TRANS32_DEP_1) | instskip(NEXT) | instid1(VALU_DEP_1)
	v_fma_f32 v28, -v19, v26, 1.0
	v_fmac_f32_e32 v26, v28, v26
	v_div_scale_f32 v28, vcc_lo, 1.0, v18, 1.0
	s_delay_alu instid0(VALU_DEP_1) | instskip(NEXT) | instid1(VALU_DEP_1)
	v_mul_f32_e32 v29, v28, v26
	v_fma_f32 v30, -v19, v29, v28
	s_delay_alu instid0(VALU_DEP_1) | instskip(NEXT) | instid1(VALU_DEP_1)
	v_fmac_f32_e32 v29, v30, v26
	v_fma_f32 v19, -v19, v29, v28
	s_delay_alu instid0(VALU_DEP_1) | instskip(NEXT) | instid1(VALU_DEP_1)
	v_div_fmas_f32 v19, v19, v26, v29
	v_div_fixup_f32 v26, v19, v18, 1.0
	s_delay_alu instid0(VALU_DEP_1)
	v_mul_f32_e64 v27, v27, -v26
.LBB99_322:
	s_or_b32 exec_lo, exec_lo, s1
	ds_store_b64 v87, v[26:27]
.LBB99_323:
	s_or_b32 exec_lo, exec_lo, s2
	s_wait_dscnt 0x0
	s_barrier_signal -1
	s_barrier_wait -1
	ds_load_b64 v[18:19], v87
	s_mov_b32 s1, exec_lo
	v_cmpx_lt_u32_e32 35, v86
	s_cbranch_execz .LBB99_325
; %bb.324:
	ds_load_2addr_b64 v[40:43], v96 offset0:36 offset1:37
	s_wait_dscnt 0x1
	v_pk_mul_f32 v[28:29], v[18:19], v[138:139] op_sel:[1,1] op_sel_hi:[0,1]
	s_delay_alu instid0(VALU_DEP_1) | instskip(SKIP_1) | instid1(VALU_DEP_1)
	v_pk_fma_f32 v[26:27], v[18:19], v[138:139], v[28:29] op_sel_hi:[1,0,1] neg_lo:[0,0,1] neg_hi:[0,0,1]
	v_pk_fma_f32 v[28:29], v[18:19], v[138:139], v[28:29] op_sel_hi:[1,0,1]
	v_dual_mov_b32 v138, v26 :: v_dual_mov_b32 v139, v29
	s_wait_dscnt 0x0
	s_delay_alu instid0(VALU_DEP_2) | instskip(NEXT) | instid1(VALU_DEP_1)
	v_pk_mul_f32 v[30:31], v[40:41], v[28:29] op_sel:[0,1]
	v_pk_fma_f32 v[44:45], v[40:41], v[26:27], v[30:31] op_sel:[0,0,1] op_sel_hi:[1,1,0] neg_lo:[0,0,1] neg_hi:[0,0,1]
	v_pk_fma_f32 v[30:31], v[40:41], v[26:27], v[30:31] op_sel:[0,0,1] op_sel_hi:[1,0,0]
	s_delay_alu instid0(VALU_DEP_1) | instskip(SKIP_1) | instid1(VALU_DEP_1)
	v_mov_b32_e32 v45, v31
	v_pk_mul_f32 v[30:31], v[42:43], v[28:29] op_sel:[0,1]
	v_pk_fma_f32 v[40:41], v[42:43], v[26:27], v[30:31] op_sel:[0,0,1] op_sel_hi:[1,1,0] neg_lo:[0,0,1] neg_hi:[0,0,1]
	v_pk_fma_f32 v[30:31], v[42:43], v[26:27], v[30:31] op_sel:[0,0,1] op_sel_hi:[1,0,0]
	s_delay_alu instid0(VALU_DEP_1) | instskip(SKIP_1) | instid1(VALU_DEP_2)
	v_mov_b32_e32 v41, v31
	v_pk_add_f32 v[162:163], v[162:163], v[44:45] neg_lo:[0,1] neg_hi:[0,1]
	v_pk_add_f32 v[158:159], v[158:159], v[40:41] neg_lo:[0,1] neg_hi:[0,1]
	ds_load_2addr_b64 v[40:43], v96 offset0:38 offset1:39
	s_wait_dscnt 0x0
	v_pk_mul_f32 v[30:31], v[40:41], v[28:29] op_sel:[0,1]
	s_delay_alu instid0(VALU_DEP_1) | instskip(SKIP_2) | instid1(VALU_DEP_2)
	v_pk_fma_f32 v[44:45], v[40:41], v[26:27], v[30:31] op_sel:[0,0,1] op_sel_hi:[1,1,0] neg_lo:[0,0,1] neg_hi:[0,0,1]
	v_pk_fma_f32 v[30:31], v[40:41], v[26:27], v[30:31] op_sel:[0,0,1] op_sel_hi:[1,0,0]
	v_dual_mul_f32 v40, v43, v29 :: v_dual_mov_b32 v30, v43
	v_dual_mov_b32 v45, v31 :: v_dual_mov_b32 v31, v42
	s_delay_alu instid0(VALU_DEP_2) | instskip(SKIP_1) | instid1(VALU_DEP_3)
	v_pk_fma_f32 v[40:41], v[42:43], v[138:139], v[40:41] op_sel_hi:[1,1,0] neg_lo:[0,0,1] neg_hi:[0,0,1]
	v_mul_f32_e32 v42, v43, v26
	v_pk_add_f32 v[160:161], v[160:161], v[44:45] neg_lo:[0,1] neg_hi:[0,1]
	s_delay_alu instid0(VALU_DEP_2) | instskip(NEXT) | instid1(VALU_DEP_1)
	v_pk_fma_f32 v[30:31], v[30:31], v[138:139], v[42:43] op_sel_hi:[1,1,0]
	v_mov_b32_e32 v41, v31
	s_delay_alu instid0(VALU_DEP_1) | instskip(SKIP_3) | instid1(VALU_DEP_1)
	v_pk_add_f32 v[156:157], v[156:157], v[40:41] neg_lo:[0,1] neg_hi:[0,1]
	ds_load_2addr_b64 v[40:43], v96 offset0:40 offset1:41
	s_wait_dscnt 0x0
	v_pk_mul_f32 v[30:31], v[40:41], v[28:29] op_sel:[0,1]
	v_pk_fma_f32 v[44:45], v[40:41], v[26:27], v[30:31] op_sel:[0,0,1] op_sel_hi:[1,1,0] neg_lo:[0,0,1] neg_hi:[0,0,1]
	v_pk_fma_f32 v[30:31], v[40:41], v[26:27], v[30:31] op_sel:[0,0,1] op_sel_hi:[1,0,0]
	s_delay_alu instid0(VALU_DEP_1) | instskip(SKIP_1) | instid1(VALU_DEP_2)
	v_mov_b32_e32 v45, v31
	v_pk_mul_f32 v[30:31], v[42:43], v[28:29] op_sel:[0,1]
	v_pk_add_f32 v[180:181], v[180:181], v[44:45] neg_lo:[0,1] neg_hi:[0,1]
	s_delay_alu instid0(VALU_DEP_2) | instskip(SKIP_1) | instid1(VALU_DEP_1)
	v_pk_fma_f32 v[40:41], v[42:43], v[26:27], v[30:31] op_sel:[0,0,1] op_sel_hi:[1,1,0] neg_lo:[0,0,1] neg_hi:[0,0,1]
	v_pk_fma_f32 v[30:31], v[42:43], v[26:27], v[30:31] op_sel:[0,0,1] op_sel_hi:[1,0,0]
	v_mov_b32_e32 v41, v31
	s_delay_alu instid0(VALU_DEP_1) | instskip(SKIP_3) | instid1(VALU_DEP_1)
	v_pk_add_f32 v[176:177], v[176:177], v[40:41] neg_lo:[0,1] neg_hi:[0,1]
	ds_load_2addr_b64 v[40:43], v96 offset0:42 offset1:43
	s_wait_dscnt 0x0
	v_pk_mul_f32 v[30:31], v[40:41], v[28:29] op_sel:[0,1]
	v_pk_fma_f32 v[44:45], v[40:41], v[26:27], v[30:31] op_sel:[0,0,1] op_sel_hi:[1,1,0] neg_lo:[0,0,1] neg_hi:[0,0,1]
	v_pk_fma_f32 v[30:31], v[40:41], v[26:27], v[30:31] op_sel:[0,0,1] op_sel_hi:[1,0,0]
	s_delay_alu instid0(VALU_DEP_1) | instskip(SKIP_1) | instid1(VALU_DEP_2)
	v_mov_b32_e32 v45, v31
	v_pk_mul_f32 v[30:31], v[42:43], v[28:29] op_sel:[0,1]
	v_pk_add_f32 v[178:179], v[178:179], v[44:45] neg_lo:[0,1] neg_hi:[0,1]
	s_delay_alu instid0(VALU_DEP_2) | instskip(SKIP_1) | instid1(VALU_DEP_1)
	v_pk_fma_f32 v[40:41], v[42:43], v[26:27], v[30:31] op_sel:[0,0,1] op_sel_hi:[1,1,0] neg_lo:[0,0,1] neg_hi:[0,0,1]
	v_pk_fma_f32 v[30:31], v[42:43], v[26:27], v[30:31] op_sel:[0,0,1] op_sel_hi:[1,0,0]
	v_mov_b32_e32 v41, v31
	s_delay_alu instid0(VALU_DEP_1) | instskip(SKIP_3) | instid1(VALU_DEP_1)
	v_pk_add_f32 v[174:175], v[174:175], v[40:41] neg_lo:[0,1] neg_hi:[0,1]
	ds_load_2addr_b64 v[40:43], v96 offset0:44 offset1:45
	s_wait_dscnt 0x0
	v_dual_mul_f32 v30, v41, v29 :: v_dual_mul_f32 v44, v41, v26
	v_pk_fma_f32 v[30:31], v[40:41], v[138:139], v[30:31] op_sel_hi:[1,1,0] neg_lo:[0,0,1] neg_hi:[0,0,1]
	s_delay_alu instid0(VALU_DEP_2) | instskip(NEXT) | instid1(VALU_DEP_1)
	v_pk_fma_f32 v[40:41], v[40:41], v[138:139], v[44:45] op_sel:[1,0,0] op_sel_hi:[0,1,0]
	v_mov_b32_e32 v31, v41
	s_delay_alu instid0(VALU_DEP_1) | instskip(SKIP_1) | instid1(VALU_DEP_1)
	v_pk_add_f32 v[196:197], v[196:197], v[30:31] neg_lo:[0,1] neg_hi:[0,1]
	v_pk_mul_f32 v[30:31], v[42:43], v[28:29] op_sel:[0,1]
	v_pk_fma_f32 v[40:41], v[42:43], v[26:27], v[30:31] op_sel:[0,0,1] op_sel_hi:[1,1,0] neg_lo:[0,0,1] neg_hi:[0,0,1]
	v_pk_fma_f32 v[30:31], v[42:43], v[26:27], v[30:31] op_sel:[0,0,1] op_sel_hi:[1,0,0]
	s_delay_alu instid0(VALU_DEP_1) | instskip(NEXT) | instid1(VALU_DEP_1)
	v_mov_b32_e32 v41, v31
	v_pk_add_f32 v[192:193], v[192:193], v[40:41] neg_lo:[0,1] neg_hi:[0,1]
	ds_load_2addr_b64 v[40:43], v96 offset0:46 offset1:47
	s_wait_dscnt 0x0
	v_pk_mul_f32 v[30:31], v[40:41], v[28:29] op_sel:[0,1]
	s_delay_alu instid0(VALU_DEP_1) | instskip(SKIP_1) | instid1(VALU_DEP_1)
	v_pk_fma_f32 v[44:45], v[40:41], v[26:27], v[30:31] op_sel:[0,0,1] op_sel_hi:[1,1,0] neg_lo:[0,0,1] neg_hi:[0,0,1]
	v_pk_fma_f32 v[30:31], v[40:41], v[26:27], v[30:31] op_sel:[0,0,1] op_sel_hi:[1,0,0]
	v_mov_b32_e32 v45, v31
	v_pk_mul_f32 v[30:31], v[42:43], v[28:29] op_sel:[0,1]
	s_delay_alu instid0(VALU_DEP_2) | instskip(NEXT) | instid1(VALU_DEP_2)
	v_pk_add_f32 v[194:195], v[194:195], v[44:45] neg_lo:[0,1] neg_hi:[0,1]
	v_pk_fma_f32 v[40:41], v[42:43], v[26:27], v[30:31] op_sel:[0,0,1] op_sel_hi:[1,1,0] neg_lo:[0,0,1] neg_hi:[0,0,1]
	v_pk_fma_f32 v[30:31], v[42:43], v[26:27], v[30:31] op_sel:[0,0,1] op_sel_hi:[1,0,0]
	s_delay_alu instid0(VALU_DEP_1) | instskip(NEXT) | instid1(VALU_DEP_1)
	v_mov_b32_e32 v41, v31
	v_pk_add_f32 v[190:191], v[190:191], v[40:41] neg_lo:[0,1] neg_hi:[0,1]
	ds_load_2addr_b64 v[40:43], v96 offset0:48 offset1:49
	s_wait_dscnt 0x0
	v_pk_mul_f32 v[30:31], v[40:41], v[28:29] op_sel:[0,1]
	v_pk_mul_f32 v[28:29], v[42:43], v[28:29] op_sel:[0,1]
	s_delay_alu instid0(VALU_DEP_2) | instskip(SKIP_1) | instid1(VALU_DEP_1)
	v_pk_fma_f32 v[44:45], v[40:41], v[26:27], v[30:31] op_sel:[0,0,1] op_sel_hi:[1,1,0] neg_lo:[0,0,1] neg_hi:[0,0,1]
	v_pk_fma_f32 v[30:31], v[40:41], v[26:27], v[30:31] op_sel:[0,0,1] op_sel_hi:[1,0,0]
	v_mov_b32_e32 v45, v31
	s_delay_alu instid0(VALU_DEP_4) | instskip(SKIP_1) | instid1(VALU_DEP_3)
	v_pk_fma_f32 v[30:31], v[42:43], v[26:27], v[28:29] op_sel:[0,0,1] op_sel_hi:[1,1,0] neg_lo:[0,0,1] neg_hi:[0,0,1]
	v_pk_fma_f32 v[26:27], v[42:43], v[26:27], v[28:29] op_sel:[0,0,1] op_sel_hi:[1,0,0]
	v_pk_add_f32 v[198:199], v[198:199], v[44:45] neg_lo:[0,1] neg_hi:[0,1]
	s_delay_alu instid0(VALU_DEP_2) | instskip(NEXT) | instid1(VALU_DEP_1)
	v_mov_b32_e32 v31, v27
	v_pk_add_f32 v[200:201], v[200:201], v[30:31] neg_lo:[0,1] neg_hi:[0,1]
.LBB99_325:
	s_or_b32 exec_lo, exec_lo, s1
	s_delay_alu instid0(SALU_CYCLE_1)
	s_mov_b32 s2, exec_lo
	s_wait_dscnt 0x0
	s_barrier_signal -1
	s_barrier_wait -1
	v_cmpx_eq_u32_e32 36, v86
	s_cbranch_execz .LBB99_332
; %bb.326:
	ds_store_b64 v87, v[162:163]
	ds_store_2addr_b64 v96, v[158:159], v[160:161] offset0:37 offset1:38
	ds_store_2addr_b64 v96, v[156:157], v[180:181] offset0:39 offset1:40
	ds_store_2addr_b64 v96, v[176:177], v[178:179] offset0:41 offset1:42
	ds_store_2addr_b64 v96, v[174:175], v[196:197] offset0:43 offset1:44
	ds_store_2addr_b64 v96, v[192:193], v[194:195] offset0:45 offset1:46
	ds_store_2addr_b64 v96, v[190:191], v[198:199] offset0:47 offset1:48
	ds_store_b64 v96, v[200:201] offset:392
	ds_load_b64 v[26:27], v87
	s_wait_dscnt 0x0
	v_cmp_neq_f32_e32 vcc_lo, 0, v26
	v_cmp_neq_f32_e64 s1, 0, v27
	s_or_b32 s1, vcc_lo, s1
	s_delay_alu instid0(SALU_CYCLE_1)
	s_and_b32 exec_lo, exec_lo, s1
	s_cbranch_execz .LBB99_332
; %bb.327:
	v_cmp_ngt_f32_e64 s1, |v26|, |v27|
                                        ; implicit-def: $vgpr28_vgpr29
	s_and_saveexec_b32 s4, s1
	s_delay_alu instid0(SALU_CYCLE_1)
	s_xor_b32 s1, exec_lo, s4
	s_cbranch_execz .LBB99_329
; %bb.328:
	v_div_scale_f32 v28, null, v27, v27, v26
	v_div_scale_f32 v31, vcc_lo, v26, v27, v26
	s_delay_alu instid0(VALU_DEP_2) | instskip(SKIP_1) | instid1(TRANS32_DEP_1)
	v_rcp_f32_e32 v29, v28
	v_nop
	v_fma_f32 v30, -v28, v29, 1.0
	s_delay_alu instid0(VALU_DEP_1) | instskip(NEXT) | instid1(VALU_DEP_1)
	v_fmac_f32_e32 v29, v30, v29
	v_mul_f32_e32 v30, v31, v29
	s_delay_alu instid0(VALU_DEP_1) | instskip(NEXT) | instid1(VALU_DEP_1)
	v_fma_f32 v40, -v28, v30, v31
	v_fmac_f32_e32 v30, v40, v29
	s_delay_alu instid0(VALU_DEP_1) | instskip(NEXT) | instid1(VALU_DEP_1)
	v_fma_f32 v28, -v28, v30, v31
	v_div_fmas_f32 v28, v28, v29, v30
	s_delay_alu instid0(VALU_DEP_1) | instskip(NEXT) | instid1(VALU_DEP_1)
	v_div_fixup_f32 v28, v28, v27, v26
	v_fmac_f32_e32 v27, v26, v28
	s_delay_alu instid0(VALU_DEP_1) | instskip(SKIP_1) | instid1(VALU_DEP_2)
	v_div_scale_f32 v26, null, v27, v27, 1.0
	v_div_scale_f32 v31, vcc_lo, 1.0, v27, 1.0
	v_rcp_f32_e32 v29, v26
	v_nop
	s_delay_alu instid0(TRANS32_DEP_1) | instskip(NEXT) | instid1(VALU_DEP_1)
	v_fma_f32 v30, -v26, v29, 1.0
	v_fmac_f32_e32 v29, v30, v29
	s_delay_alu instid0(VALU_DEP_1) | instskip(NEXT) | instid1(VALU_DEP_1)
	v_mul_f32_e32 v30, v31, v29
	v_fma_f32 v40, -v26, v30, v31
	s_delay_alu instid0(VALU_DEP_1) | instskip(NEXT) | instid1(VALU_DEP_1)
	v_fmac_f32_e32 v30, v40, v29
	v_fma_f32 v26, -v26, v30, v31
	s_delay_alu instid0(VALU_DEP_1) | instskip(NEXT) | instid1(VALU_DEP_1)
	v_div_fmas_f32 v26, v26, v29, v30
	v_div_fixup_f32 v26, v26, v27, 1.0
	s_delay_alu instid0(VALU_DEP_1)
	v_mul_f32_e32 v28, v28, v26
	v_xor_b32_e32 v29, 0x80000000, v26
                                        ; implicit-def: $vgpr26_vgpr27
.LBB99_329:
	s_and_not1_saveexec_b32 s1, s1
	s_cbranch_execz .LBB99_331
; %bb.330:
	v_div_scale_f32 v28, null, v26, v26, v27
	v_div_scale_f32 v31, vcc_lo, v27, v26, v27
	s_delay_alu instid0(VALU_DEP_2) | instskip(SKIP_1) | instid1(TRANS32_DEP_1)
	v_rcp_f32_e32 v29, v28
	v_nop
	v_fma_f32 v30, -v28, v29, 1.0
	s_delay_alu instid0(VALU_DEP_1) | instskip(NEXT) | instid1(VALU_DEP_1)
	v_fmac_f32_e32 v29, v30, v29
	v_mul_f32_e32 v30, v31, v29
	s_delay_alu instid0(VALU_DEP_1) | instskip(NEXT) | instid1(VALU_DEP_1)
	v_fma_f32 v40, -v28, v30, v31
	v_fmac_f32_e32 v30, v40, v29
	s_delay_alu instid0(VALU_DEP_1) | instskip(NEXT) | instid1(VALU_DEP_1)
	v_fma_f32 v28, -v28, v30, v31
	v_div_fmas_f32 v28, v28, v29, v30
	s_delay_alu instid0(VALU_DEP_1) | instskip(NEXT) | instid1(VALU_DEP_1)
	v_div_fixup_f32 v29, v28, v26, v27
	v_fmac_f32_e32 v26, v27, v29
	s_delay_alu instid0(VALU_DEP_1) | instskip(NEXT) | instid1(VALU_DEP_1)
	v_div_scale_f32 v27, null, v26, v26, 1.0
	v_rcp_f32_e32 v28, v27
	v_nop
	s_delay_alu instid0(TRANS32_DEP_1) | instskip(NEXT) | instid1(VALU_DEP_1)
	v_fma_f32 v30, -v27, v28, 1.0
	v_fmac_f32_e32 v28, v30, v28
	v_div_scale_f32 v30, vcc_lo, 1.0, v26, 1.0
	s_delay_alu instid0(VALU_DEP_1) | instskip(NEXT) | instid1(VALU_DEP_1)
	v_mul_f32_e32 v31, v30, v28
	v_fma_f32 v40, -v27, v31, v30
	s_delay_alu instid0(VALU_DEP_1) | instskip(NEXT) | instid1(VALU_DEP_1)
	v_fmac_f32_e32 v31, v40, v28
	v_fma_f32 v27, -v27, v31, v30
	s_delay_alu instid0(VALU_DEP_1) | instskip(NEXT) | instid1(VALU_DEP_1)
	v_div_fmas_f32 v27, v27, v28, v31
	v_div_fixup_f32 v28, v27, v26, 1.0
	s_delay_alu instid0(VALU_DEP_1)
	v_mul_f32_e64 v29, v29, -v28
.LBB99_331:
	s_or_b32 exec_lo, exec_lo, s1
	ds_store_b64 v87, v[28:29]
.LBB99_332:
	s_or_b32 exec_lo, exec_lo, s2
	s_wait_dscnt 0x0
	s_barrier_signal -1
	s_barrier_wait -1
	ds_load_b64 v[26:27], v87
	s_mov_b32 s1, exec_lo
	v_cmpx_lt_u32_e32 36, v86
	s_cbranch_execz .LBB99_334
; %bb.333:
	ds_load_2addr_b64 v[40:43], v96 offset0:37 offset1:38
	s_wait_dscnt 0x1
	v_pk_mul_f32 v[30:31], v[26:27], v[162:163] op_sel:[1,1] op_sel_hi:[0,1]
	s_delay_alu instid0(VALU_DEP_1) | instskip(SKIP_1) | instid1(VALU_DEP_1)
	v_pk_fma_f32 v[28:29], v[26:27], v[162:163], v[30:31] op_sel_hi:[1,0,1] neg_lo:[0,0,1] neg_hi:[0,0,1]
	v_pk_fma_f32 v[30:31], v[26:27], v[162:163], v[30:31] op_sel_hi:[1,0,1]
	v_dual_mov_b32 v162, v28 :: v_dual_mov_b32 v163, v31
	s_wait_dscnt 0x0
	s_delay_alu instid0(VALU_DEP_2) | instskip(NEXT) | instid1(VALU_DEP_1)
	v_pk_mul_f32 v[44:45], v[40:41], v[30:31] op_sel:[0,1]
	v_pk_fma_f32 v[46:47], v[40:41], v[28:29], v[44:45] op_sel:[0,0,1] op_sel_hi:[1,1,0] neg_lo:[0,0,1] neg_hi:[0,0,1]
	v_pk_fma_f32 v[40:41], v[40:41], v[28:29], v[44:45] op_sel:[0,0,1] op_sel_hi:[1,0,0]
	s_delay_alu instid0(VALU_DEP_1) | instskip(SKIP_1) | instid1(VALU_DEP_1)
	v_mov_b32_e32 v47, v41
	v_pk_mul_f32 v[40:41], v[42:43], v[30:31] op_sel:[0,1]
	v_pk_fma_f32 v[44:45], v[42:43], v[28:29], v[40:41] op_sel:[0,0,1] op_sel_hi:[1,1,0] neg_lo:[0,0,1] neg_hi:[0,0,1]
	v_pk_fma_f32 v[40:41], v[42:43], v[28:29], v[40:41] op_sel:[0,0,1] op_sel_hi:[1,0,0]
	s_delay_alu instid0(VALU_DEP_1)
	v_mov_b32_e32 v45, v41
	ds_load_2addr_b64 v[40:43], v96 offset0:39 offset1:40
	v_pk_add_f32 v[158:159], v[158:159], v[46:47] neg_lo:[0,1] neg_hi:[0,1]
	v_pk_add_f32 v[160:161], v[160:161], v[44:45] neg_lo:[0,1] neg_hi:[0,1]
	s_wait_dscnt 0x0
	v_pk_mul_f32 v[44:45], v[40:41], v[30:31] op_sel:[0,1]
	s_delay_alu instid0(VALU_DEP_1) | instskip(SKIP_2) | instid1(VALU_DEP_2)
	v_pk_fma_f32 v[46:47], v[40:41], v[28:29], v[44:45] op_sel:[0,0,1] op_sel_hi:[1,1,0] neg_lo:[0,0,1] neg_hi:[0,0,1]
	v_pk_fma_f32 v[40:41], v[40:41], v[28:29], v[44:45] op_sel:[0,0,1] op_sel_hi:[1,0,0]
	v_dual_mul_f32 v44, v43, v31 :: v_dual_mov_b32 v40, v43
	v_dual_mov_b32 v47, v41 :: v_dual_mov_b32 v41, v42
	s_delay_alu instid0(VALU_DEP_2) | instskip(SKIP_1) | instid1(VALU_DEP_3)
	v_pk_fma_f32 v[44:45], v[42:43], v[162:163], v[44:45] op_sel_hi:[1,1,0] neg_lo:[0,0,1] neg_hi:[0,0,1]
	v_mul_f32_e32 v42, v43, v28
	v_pk_add_f32 v[156:157], v[156:157], v[46:47] neg_lo:[0,1] neg_hi:[0,1]
	s_delay_alu instid0(VALU_DEP_2) | instskip(NEXT) | instid1(VALU_DEP_1)
	v_pk_fma_f32 v[40:41], v[40:41], v[162:163], v[42:43] op_sel_hi:[1,1,0]
	v_mov_b32_e32 v45, v41
	ds_load_2addr_b64 v[40:43], v96 offset0:41 offset1:42
	v_pk_add_f32 v[180:181], v[180:181], v[44:45] neg_lo:[0,1] neg_hi:[0,1]
	s_wait_dscnt 0x0
	v_pk_mul_f32 v[44:45], v[40:41], v[30:31] op_sel:[0,1]
	s_delay_alu instid0(VALU_DEP_1) | instskip(SKIP_1) | instid1(VALU_DEP_1)
	v_pk_fma_f32 v[46:47], v[40:41], v[28:29], v[44:45] op_sel:[0,0,1] op_sel_hi:[1,1,0] neg_lo:[0,0,1] neg_hi:[0,0,1]
	v_pk_fma_f32 v[40:41], v[40:41], v[28:29], v[44:45] op_sel:[0,0,1] op_sel_hi:[1,0,0]
	v_mov_b32_e32 v47, v41
	v_pk_mul_f32 v[40:41], v[42:43], v[30:31] op_sel:[0,1]
	s_delay_alu instid0(VALU_DEP_1) | instskip(SKIP_1) | instid1(VALU_DEP_1)
	v_pk_fma_f32 v[44:45], v[42:43], v[28:29], v[40:41] op_sel:[0,0,1] op_sel_hi:[1,1,0] neg_lo:[0,0,1] neg_hi:[0,0,1]
	v_pk_fma_f32 v[40:41], v[42:43], v[28:29], v[40:41] op_sel:[0,0,1] op_sel_hi:[1,0,0]
	v_mov_b32_e32 v45, v41
	ds_load_2addr_b64 v[40:43], v96 offset0:43 offset1:44
	v_pk_add_f32 v[176:177], v[176:177], v[46:47] neg_lo:[0,1] neg_hi:[0,1]
	v_pk_add_f32 v[178:179], v[178:179], v[44:45] neg_lo:[0,1] neg_hi:[0,1]
	s_wait_dscnt 0x0
	v_pk_mul_f32 v[44:45], v[40:41], v[30:31] op_sel:[0,1]
	s_delay_alu instid0(VALU_DEP_1) | instskip(SKIP_1) | instid1(VALU_DEP_1)
	v_pk_fma_f32 v[46:47], v[40:41], v[28:29], v[44:45] op_sel:[0,0,1] op_sel_hi:[1,1,0] neg_lo:[0,0,1] neg_hi:[0,0,1]
	v_pk_fma_f32 v[40:41], v[40:41], v[28:29], v[44:45] op_sel:[0,0,1] op_sel_hi:[1,0,0]
	v_mov_b32_e32 v47, v41
	v_pk_mul_f32 v[40:41], v[42:43], v[30:31] op_sel:[0,1]
	s_delay_alu instid0(VALU_DEP_1) | instskip(SKIP_1) | instid1(VALU_DEP_1)
	v_pk_fma_f32 v[44:45], v[42:43], v[28:29], v[40:41] op_sel:[0,0,1] op_sel_hi:[1,1,0] neg_lo:[0,0,1] neg_hi:[0,0,1]
	v_pk_fma_f32 v[40:41], v[42:43], v[28:29], v[40:41] op_sel:[0,0,1] op_sel_hi:[1,0,0]
	v_mov_b32_e32 v45, v41
	ds_load_2addr_b64 v[40:43], v96 offset0:45 offset1:46
	v_pk_add_f32 v[174:175], v[174:175], v[46:47] neg_lo:[0,1] neg_hi:[0,1]
	v_pk_add_f32 v[196:197], v[196:197], v[44:45] neg_lo:[0,1] neg_hi:[0,1]
	s_wait_dscnt 0x0
	v_dual_mul_f32 v44, v41, v31 :: v_dual_mul_f32 v46, v41, v28
	s_delay_alu instid0(VALU_DEP_1) | instskip(NEXT) | instid1(VALU_DEP_2)
	v_pk_fma_f32 v[44:45], v[40:41], v[162:163], v[44:45] op_sel_hi:[1,1,0] neg_lo:[0,0,1] neg_hi:[0,0,1]
	v_pk_fma_f32 v[40:41], v[40:41], v[162:163], v[46:47] op_sel:[1,0,0] op_sel_hi:[0,1,0]
	s_delay_alu instid0(VALU_DEP_1) | instskip(SKIP_1) | instid1(VALU_DEP_2)
	v_mov_b32_e32 v45, v41
	v_pk_mul_f32 v[40:41], v[42:43], v[30:31] op_sel:[0,1]
	v_pk_add_f32 v[192:193], v[192:193], v[44:45] neg_lo:[0,1] neg_hi:[0,1]
	s_delay_alu instid0(VALU_DEP_2) | instskip(SKIP_1) | instid1(VALU_DEP_1)
	v_pk_fma_f32 v[44:45], v[42:43], v[28:29], v[40:41] op_sel:[0,0,1] op_sel_hi:[1,1,0] neg_lo:[0,0,1] neg_hi:[0,0,1]
	v_pk_fma_f32 v[40:41], v[42:43], v[28:29], v[40:41] op_sel:[0,0,1] op_sel_hi:[1,0,0]
	v_mov_b32_e32 v45, v41
	ds_load_2addr_b64 v[40:43], v96 offset0:47 offset1:48
	v_pk_add_f32 v[194:195], v[194:195], v[44:45] neg_lo:[0,1] neg_hi:[0,1]
	s_wait_dscnt 0x0
	v_pk_mul_f32 v[44:45], v[40:41], v[30:31] op_sel:[0,1]
	s_delay_alu instid0(VALU_DEP_1) | instskip(SKIP_1) | instid1(VALU_DEP_1)
	v_pk_fma_f32 v[46:47], v[40:41], v[28:29], v[44:45] op_sel:[0,0,1] op_sel_hi:[1,1,0] neg_lo:[0,0,1] neg_hi:[0,0,1]
	v_pk_fma_f32 v[40:41], v[40:41], v[28:29], v[44:45] op_sel:[0,0,1] op_sel_hi:[1,0,0]
	v_mov_b32_e32 v47, v41
	v_pk_mul_f32 v[40:41], v[42:43], v[30:31] op_sel:[0,1]
	s_delay_alu instid0(VALU_DEP_2) | instskip(NEXT) | instid1(VALU_DEP_2)
	v_pk_add_f32 v[190:191], v[190:191], v[46:47] neg_lo:[0,1] neg_hi:[0,1]
	v_pk_fma_f32 v[44:45], v[42:43], v[28:29], v[40:41] op_sel:[0,0,1] op_sel_hi:[1,1,0] neg_lo:[0,0,1] neg_hi:[0,0,1]
	v_pk_fma_f32 v[40:41], v[42:43], v[28:29], v[40:41] op_sel:[0,0,1] op_sel_hi:[1,0,0]
	s_delay_alu instid0(VALU_DEP_1) | instskip(SKIP_4) | instid1(VALU_DEP_1)
	v_mov_b32_e32 v45, v41
	ds_load_b64 v[40:41], v96 offset:392
	v_pk_add_f32 v[198:199], v[198:199], v[44:45] neg_lo:[0,1] neg_hi:[0,1]
	s_wait_dscnt 0x0
	v_pk_mul_f32 v[30:31], v[40:41], v[30:31] op_sel:[0,1]
	v_pk_fma_f32 v[42:43], v[40:41], v[28:29], v[30:31] op_sel:[0,0,1] op_sel_hi:[1,1,0] neg_lo:[0,0,1] neg_hi:[0,0,1]
	v_pk_fma_f32 v[28:29], v[40:41], v[28:29], v[30:31] op_sel:[0,0,1] op_sel_hi:[1,0,0]
	s_delay_alu instid0(VALU_DEP_1) | instskip(NEXT) | instid1(VALU_DEP_1)
	v_mov_b32_e32 v43, v29
	v_pk_add_f32 v[200:201], v[200:201], v[42:43] neg_lo:[0,1] neg_hi:[0,1]
.LBB99_334:
	s_or_b32 exec_lo, exec_lo, s1
	s_delay_alu instid0(SALU_CYCLE_1)
	s_mov_b32 s2, exec_lo
	s_wait_dscnt 0x0
	s_barrier_signal -1
	s_barrier_wait -1
	v_cmpx_eq_u32_e32 37, v86
	s_cbranch_execz .LBB99_341
; %bb.335:
	v_dual_mov_b32 v28, v160 :: v_dual_mov_b32 v29, v161
	v_dual_mov_b32 v30, v156 :: v_dual_mov_b32 v31, v157
	ds_store_b64 v87, v[158:159]
	ds_store_2addr_b64 v96, v[28:29], v[30:31] offset0:38 offset1:39
	v_dual_mov_b32 v28, v180 :: v_dual_mov_b32 v29, v181
	v_dual_mov_b32 v30, v176 :: v_dual_mov_b32 v31, v177
	ds_store_2addr_b64 v96, v[28:29], v[30:31] offset0:40 offset1:41
	v_dual_mov_b32 v28, v178 :: v_dual_mov_b32 v29, v179
	v_dual_mov_b32 v30, v174 :: v_dual_mov_b32 v31, v175
	;; [unrolled: 3-line block ×4, first 2 shown]
	ds_store_2addr_b64 v96, v[28:29], v[30:31] offset0:46 offset1:47
	v_dual_mov_b32 v28, v198 :: v_dual_mov_b32 v29, v199
	ds_store_2addr_b64 v96, v[28:29], v[200:201] offset0:48 offset1:49
	ds_load_b64 v[28:29], v87
	s_wait_dscnt 0x0
	v_cmp_neq_f32_e32 vcc_lo, 0, v28
	v_cmp_neq_f32_e64 s1, 0, v29
	s_or_b32 s1, vcc_lo, s1
	s_delay_alu instid0(SALU_CYCLE_1)
	s_and_b32 exec_lo, exec_lo, s1
	s_cbranch_execz .LBB99_341
; %bb.336:
	v_cmp_ngt_f32_e64 s1, |v28|, |v29|
                                        ; implicit-def: $vgpr30_vgpr31
	s_and_saveexec_b32 s4, s1
	s_delay_alu instid0(SALU_CYCLE_1)
	s_xor_b32 s1, exec_lo, s4
	s_cbranch_execz .LBB99_338
; %bb.337:
	v_div_scale_f32 v30, null, v29, v29, v28
	v_div_scale_f32 v41, vcc_lo, v28, v29, v28
	s_delay_alu instid0(VALU_DEP_2) | instskip(SKIP_1) | instid1(TRANS32_DEP_1)
	v_rcp_f32_e32 v31, v30
	v_nop
	v_fma_f32 v40, -v30, v31, 1.0
	s_delay_alu instid0(VALU_DEP_1) | instskip(NEXT) | instid1(VALU_DEP_1)
	v_fmac_f32_e32 v31, v40, v31
	v_mul_f32_e32 v40, v41, v31
	s_delay_alu instid0(VALU_DEP_1) | instskip(NEXT) | instid1(VALU_DEP_1)
	v_fma_f32 v42, -v30, v40, v41
	v_fmac_f32_e32 v40, v42, v31
	s_delay_alu instid0(VALU_DEP_1) | instskip(NEXT) | instid1(VALU_DEP_1)
	v_fma_f32 v30, -v30, v40, v41
	v_div_fmas_f32 v30, v30, v31, v40
	s_delay_alu instid0(VALU_DEP_1) | instskip(NEXT) | instid1(VALU_DEP_1)
	v_div_fixup_f32 v30, v30, v29, v28
	v_fmac_f32_e32 v29, v28, v30
	s_delay_alu instid0(VALU_DEP_1) | instskip(SKIP_1) | instid1(VALU_DEP_2)
	v_div_scale_f32 v28, null, v29, v29, 1.0
	v_div_scale_f32 v41, vcc_lo, 1.0, v29, 1.0
	v_rcp_f32_e32 v31, v28
	v_nop
	s_delay_alu instid0(TRANS32_DEP_1) | instskip(NEXT) | instid1(VALU_DEP_1)
	v_fma_f32 v40, -v28, v31, 1.0
	v_fmac_f32_e32 v31, v40, v31
	s_delay_alu instid0(VALU_DEP_1) | instskip(NEXT) | instid1(VALU_DEP_1)
	v_mul_f32_e32 v40, v41, v31
	v_fma_f32 v42, -v28, v40, v41
	s_delay_alu instid0(VALU_DEP_1) | instskip(NEXT) | instid1(VALU_DEP_1)
	v_fmac_f32_e32 v40, v42, v31
	v_fma_f32 v28, -v28, v40, v41
	s_delay_alu instid0(VALU_DEP_1) | instskip(NEXT) | instid1(VALU_DEP_1)
	v_div_fmas_f32 v28, v28, v31, v40
	v_div_fixup_f32 v28, v28, v29, 1.0
	s_delay_alu instid0(VALU_DEP_1)
	v_mul_f32_e32 v30, v30, v28
	v_xor_b32_e32 v31, 0x80000000, v28
                                        ; implicit-def: $vgpr28_vgpr29
.LBB99_338:
	s_and_not1_saveexec_b32 s1, s1
	s_cbranch_execz .LBB99_340
; %bb.339:
	v_div_scale_f32 v30, null, v28, v28, v29
	v_div_scale_f32 v41, vcc_lo, v29, v28, v29
	s_delay_alu instid0(VALU_DEP_2) | instskip(SKIP_1) | instid1(TRANS32_DEP_1)
	v_rcp_f32_e32 v31, v30
	v_nop
	v_fma_f32 v40, -v30, v31, 1.0
	s_delay_alu instid0(VALU_DEP_1) | instskip(NEXT) | instid1(VALU_DEP_1)
	v_fmac_f32_e32 v31, v40, v31
	v_mul_f32_e32 v40, v41, v31
	s_delay_alu instid0(VALU_DEP_1) | instskip(NEXT) | instid1(VALU_DEP_1)
	v_fma_f32 v42, -v30, v40, v41
	v_fmac_f32_e32 v40, v42, v31
	s_delay_alu instid0(VALU_DEP_1) | instskip(NEXT) | instid1(VALU_DEP_1)
	v_fma_f32 v30, -v30, v40, v41
	v_div_fmas_f32 v30, v30, v31, v40
	s_delay_alu instid0(VALU_DEP_1) | instskip(NEXT) | instid1(VALU_DEP_1)
	v_div_fixup_f32 v31, v30, v28, v29
	v_fmac_f32_e32 v28, v29, v31
	s_delay_alu instid0(VALU_DEP_1) | instskip(NEXT) | instid1(VALU_DEP_1)
	v_div_scale_f32 v29, null, v28, v28, 1.0
	v_rcp_f32_e32 v30, v29
	v_nop
	s_delay_alu instid0(TRANS32_DEP_1) | instskip(NEXT) | instid1(VALU_DEP_1)
	v_fma_f32 v40, -v29, v30, 1.0
	v_fmac_f32_e32 v30, v40, v30
	v_div_scale_f32 v40, vcc_lo, 1.0, v28, 1.0
	s_delay_alu instid0(VALU_DEP_1) | instskip(NEXT) | instid1(VALU_DEP_1)
	v_mul_f32_e32 v41, v40, v30
	v_fma_f32 v42, -v29, v41, v40
	s_delay_alu instid0(VALU_DEP_1) | instskip(NEXT) | instid1(VALU_DEP_1)
	v_fmac_f32_e32 v41, v42, v30
	v_fma_f32 v29, -v29, v41, v40
	s_delay_alu instid0(VALU_DEP_1) | instskip(NEXT) | instid1(VALU_DEP_1)
	v_div_fmas_f32 v29, v29, v30, v41
	v_div_fixup_f32 v30, v29, v28, 1.0
	s_delay_alu instid0(VALU_DEP_1)
	v_mul_f32_e64 v31, v31, -v30
.LBB99_340:
	s_or_b32 exec_lo, exec_lo, s1
	ds_store_b64 v87, v[30:31]
.LBB99_341:
	s_or_b32 exec_lo, exec_lo, s2
	s_wait_dscnt 0x0
	s_barrier_signal -1
	s_barrier_wait -1
	ds_load_b64 v[28:29], v87
	s_mov_b32 s1, exec_lo
	v_cmpx_lt_u32_e32 37, v86
	s_cbranch_execz .LBB99_343
; %bb.342:
	ds_load_2addr_b64 v[42:45], v96 offset0:38 offset1:39
	s_wait_dscnt 0x1
	v_pk_mul_f32 v[40:41], v[28:29], v[158:159] op_sel:[1,1] op_sel_hi:[0,1]
	s_delay_alu instid0(VALU_DEP_1) | instskip(SKIP_1) | instid1(VALU_DEP_1)
	v_pk_fma_f32 v[30:31], v[28:29], v[158:159], v[40:41] op_sel_hi:[1,0,1] neg_lo:[0,0,1] neg_hi:[0,0,1]
	v_pk_fma_f32 v[40:41], v[28:29], v[158:159], v[40:41] op_sel_hi:[1,0,1]
	v_dual_mov_b32 v158, v30 :: v_dual_mov_b32 v159, v41
	s_wait_dscnt 0x0
	s_delay_alu instid0(VALU_DEP_2) | instskip(NEXT) | instid1(VALU_DEP_1)
	v_pk_mul_f32 v[46:47], v[42:43], v[40:41] op_sel:[0,1]
	v_pk_fma_f32 v[56:57], v[42:43], v[30:31], v[46:47] op_sel:[0,0,1] op_sel_hi:[1,1,0] neg_lo:[0,0,1] neg_hi:[0,0,1]
	v_pk_fma_f32 v[42:43], v[42:43], v[30:31], v[46:47] op_sel:[0,0,1] op_sel_hi:[1,0,0]
	s_delay_alu instid0(VALU_DEP_1) | instskip(SKIP_1) | instid1(VALU_DEP_1)
	v_mov_b32_e32 v57, v43
	v_pk_mul_f32 v[42:43], v[44:45], v[40:41] op_sel:[0,1]
	v_pk_fma_f32 v[46:47], v[44:45], v[30:31], v[42:43] op_sel:[0,0,1] op_sel_hi:[1,1,0] neg_lo:[0,0,1] neg_hi:[0,0,1]
	v_pk_fma_f32 v[42:43], v[44:45], v[30:31], v[42:43] op_sel:[0,0,1] op_sel_hi:[1,0,0]
	s_delay_alu instid0(VALU_DEP_1)
	v_mov_b32_e32 v47, v43
	ds_load_2addr_b64 v[42:45], v96 offset0:40 offset1:41
	v_pk_add_f32 v[160:161], v[160:161], v[56:57] neg_lo:[0,1] neg_hi:[0,1]
	v_pk_add_f32 v[156:157], v[156:157], v[46:47] neg_lo:[0,1] neg_hi:[0,1]
	s_wait_dscnt 0x0
	v_pk_mul_f32 v[46:47], v[42:43], v[40:41] op_sel:[0,1]
	s_delay_alu instid0(VALU_DEP_1) | instskip(SKIP_2) | instid1(VALU_DEP_2)
	v_pk_fma_f32 v[56:57], v[42:43], v[30:31], v[46:47] op_sel:[0,0,1] op_sel_hi:[1,1,0] neg_lo:[0,0,1] neg_hi:[0,0,1]
	v_pk_fma_f32 v[42:43], v[42:43], v[30:31], v[46:47] op_sel:[0,0,1] op_sel_hi:[1,0,0]
	v_dual_mul_f32 v46, v45, v41 :: v_dual_mov_b32 v42, v45
	v_dual_mov_b32 v57, v43 :: v_dual_mov_b32 v43, v44
	s_delay_alu instid0(VALU_DEP_2) | instskip(SKIP_1) | instid1(VALU_DEP_3)
	v_pk_fma_f32 v[46:47], v[44:45], v[158:159], v[46:47] op_sel_hi:[1,1,0] neg_lo:[0,0,1] neg_hi:[0,0,1]
	v_mul_f32_e32 v44, v45, v30
	v_pk_add_f32 v[180:181], v[180:181], v[56:57] neg_lo:[0,1] neg_hi:[0,1]
	s_delay_alu instid0(VALU_DEP_2) | instskip(NEXT) | instid1(VALU_DEP_1)
	v_pk_fma_f32 v[42:43], v[42:43], v[158:159], v[44:45] op_sel_hi:[1,1,0]
	v_mov_b32_e32 v47, v43
	ds_load_2addr_b64 v[42:45], v96 offset0:42 offset1:43
	v_pk_add_f32 v[176:177], v[176:177], v[46:47] neg_lo:[0,1] neg_hi:[0,1]
	s_wait_dscnt 0x0
	v_pk_mul_f32 v[46:47], v[42:43], v[40:41] op_sel:[0,1]
	s_delay_alu instid0(VALU_DEP_1) | instskip(SKIP_1) | instid1(VALU_DEP_1)
	v_pk_fma_f32 v[56:57], v[42:43], v[30:31], v[46:47] op_sel:[0,0,1] op_sel_hi:[1,1,0] neg_lo:[0,0,1] neg_hi:[0,0,1]
	v_pk_fma_f32 v[42:43], v[42:43], v[30:31], v[46:47] op_sel:[0,0,1] op_sel_hi:[1,0,0]
	v_mov_b32_e32 v57, v43
	v_pk_mul_f32 v[42:43], v[44:45], v[40:41] op_sel:[0,1]
	s_delay_alu instid0(VALU_DEP_1) | instskip(SKIP_1) | instid1(VALU_DEP_1)
	v_pk_fma_f32 v[46:47], v[44:45], v[30:31], v[42:43] op_sel:[0,0,1] op_sel_hi:[1,1,0] neg_lo:[0,0,1] neg_hi:[0,0,1]
	v_pk_fma_f32 v[42:43], v[44:45], v[30:31], v[42:43] op_sel:[0,0,1] op_sel_hi:[1,0,0]
	v_mov_b32_e32 v47, v43
	ds_load_2addr_b64 v[42:45], v96 offset0:44 offset1:45
	v_pk_add_f32 v[178:179], v[178:179], v[56:57] neg_lo:[0,1] neg_hi:[0,1]
	v_pk_add_f32 v[174:175], v[174:175], v[46:47] neg_lo:[0,1] neg_hi:[0,1]
	s_wait_dscnt 0x0
	v_pk_mul_f32 v[46:47], v[42:43], v[40:41] op_sel:[0,1]
	s_delay_alu instid0(VALU_DEP_1) | instskip(SKIP_1) | instid1(VALU_DEP_1)
	v_pk_fma_f32 v[56:57], v[42:43], v[30:31], v[46:47] op_sel:[0,0,1] op_sel_hi:[1,1,0] neg_lo:[0,0,1] neg_hi:[0,0,1]
	v_pk_fma_f32 v[42:43], v[42:43], v[30:31], v[46:47] op_sel:[0,0,1] op_sel_hi:[1,0,0]
	v_mov_b32_e32 v57, v43
	v_pk_mul_f32 v[42:43], v[44:45], v[40:41] op_sel:[0,1]
	s_delay_alu instid0(VALU_DEP_1) | instskip(SKIP_1) | instid1(VALU_DEP_1)
	v_pk_fma_f32 v[46:47], v[44:45], v[30:31], v[42:43] op_sel:[0,0,1] op_sel_hi:[1,1,0] neg_lo:[0,0,1] neg_hi:[0,0,1]
	v_pk_fma_f32 v[42:43], v[44:45], v[30:31], v[42:43] op_sel:[0,0,1] op_sel_hi:[1,0,0]
	v_mov_b32_e32 v47, v43
	ds_load_2addr_b64 v[42:45], v96 offset0:46 offset1:47
	v_pk_add_f32 v[196:197], v[196:197], v[56:57] neg_lo:[0,1] neg_hi:[0,1]
	v_pk_add_f32 v[192:193], v[192:193], v[46:47] neg_lo:[0,1] neg_hi:[0,1]
	s_wait_dscnt 0x0
	v_dual_mul_f32 v46, v43, v41 :: v_dual_mul_f32 v56, v43, v30
	s_delay_alu instid0(VALU_DEP_1) | instskip(NEXT) | instid1(VALU_DEP_2)
	v_pk_fma_f32 v[46:47], v[42:43], v[158:159], v[46:47] op_sel_hi:[1,1,0] neg_lo:[0,0,1] neg_hi:[0,0,1]
	v_pk_fma_f32 v[42:43], v[42:43], v[158:159], v[56:57] op_sel:[1,0,0] op_sel_hi:[0,1,0]
	s_delay_alu instid0(VALU_DEP_1) | instskip(SKIP_1) | instid1(VALU_DEP_2)
	v_mov_b32_e32 v47, v43
	v_pk_mul_f32 v[42:43], v[44:45], v[40:41] op_sel:[0,1]
	v_pk_add_f32 v[194:195], v[194:195], v[46:47] neg_lo:[0,1] neg_hi:[0,1]
	s_delay_alu instid0(VALU_DEP_2) | instskip(SKIP_1) | instid1(VALU_DEP_1)
	v_pk_fma_f32 v[46:47], v[44:45], v[30:31], v[42:43] op_sel:[0,0,1] op_sel_hi:[1,1,0] neg_lo:[0,0,1] neg_hi:[0,0,1]
	v_pk_fma_f32 v[42:43], v[44:45], v[30:31], v[42:43] op_sel:[0,0,1] op_sel_hi:[1,0,0]
	v_mov_b32_e32 v47, v43
	ds_load_2addr_b64 v[42:45], v96 offset0:48 offset1:49
	v_pk_add_f32 v[190:191], v[190:191], v[46:47] neg_lo:[0,1] neg_hi:[0,1]
	s_wait_dscnt 0x0
	v_pk_mul_f32 v[46:47], v[42:43], v[40:41] op_sel:[0,1]
	v_mul_f32_e32 v40, v45, v41
	s_delay_alu instid0(VALU_DEP_2) | instskip(SKIP_2) | instid1(VALU_DEP_4)
	v_pk_fma_f32 v[56:57], v[42:43], v[30:31], v[46:47] op_sel:[0,0,1] op_sel_hi:[1,1,0] neg_lo:[0,0,1] neg_hi:[0,0,1]
	v_pk_fma_f32 v[42:43], v[42:43], v[30:31], v[46:47] op_sel:[0,0,1] op_sel_hi:[1,0,0]
	v_dual_mov_b32 v42, v45 :: v_dual_mul_f32 v30, v45, v30
	v_pk_fma_f32 v[40:41], v[44:45], v[158:159], v[40:41] op_sel_hi:[1,1,0] neg_lo:[0,0,1] neg_hi:[0,0,1]
	s_delay_alu instid0(VALU_DEP_3) | instskip(NEXT) | instid1(VALU_DEP_1)
	v_dual_mov_b32 v57, v43 :: v_dual_mov_b32 v43, v44
	v_pk_add_f32 v[198:199], v[198:199], v[56:57] neg_lo:[0,1] neg_hi:[0,1]
	s_delay_alu instid0(VALU_DEP_2) | instskip(NEXT) | instid1(VALU_DEP_1)
	v_pk_fma_f32 v[30:31], v[42:43], v[158:159], v[30:31] op_sel_hi:[1,1,0]
	v_mov_b32_e32 v41, v31
	s_delay_alu instid0(VALU_DEP_1)
	v_pk_add_f32 v[200:201], v[200:201], v[40:41] neg_lo:[0,1] neg_hi:[0,1]
.LBB99_343:
	s_or_b32 exec_lo, exec_lo, s1
	s_delay_alu instid0(SALU_CYCLE_1)
	s_mov_b32 s2, exec_lo
	s_wait_dscnt 0x0
	s_barrier_signal -1
	s_barrier_wait -1
	v_cmpx_eq_u32_e32 38, v86
	s_cbranch_execz .LBB99_350
; %bb.344:
	ds_store_b64 v87, v[160:161]
	ds_store_2addr_b64 v96, v[156:157], v[180:181] offset0:39 offset1:40
	ds_store_2addr_b64 v96, v[176:177], v[178:179] offset0:41 offset1:42
	;; [unrolled: 1-line block ×5, first 2 shown]
	ds_store_b64 v96, v[200:201] offset:392
	ds_load_b64 v[30:31], v87
	s_wait_dscnt 0x0
	v_cmp_neq_f32_e32 vcc_lo, 0, v30
	v_cmp_neq_f32_e64 s1, 0, v31
	s_or_b32 s1, vcc_lo, s1
	s_delay_alu instid0(SALU_CYCLE_1)
	s_and_b32 exec_lo, exec_lo, s1
	s_cbranch_execz .LBB99_350
; %bb.345:
	v_cmp_ngt_f32_e64 s1, |v30|, |v31|
                                        ; implicit-def: $vgpr40_vgpr41
	s_and_saveexec_b32 s4, s1
	s_delay_alu instid0(SALU_CYCLE_1)
	s_xor_b32 s1, exec_lo, s4
	s_cbranch_execz .LBB99_347
; %bb.346:
	v_div_scale_f32 v40, null, v31, v31, v30
	v_div_scale_f32 v43, vcc_lo, v30, v31, v30
	s_delay_alu instid0(VALU_DEP_2) | instskip(SKIP_1) | instid1(TRANS32_DEP_1)
	v_rcp_f32_e32 v41, v40
	v_nop
	v_fma_f32 v42, -v40, v41, 1.0
	s_delay_alu instid0(VALU_DEP_1) | instskip(NEXT) | instid1(VALU_DEP_1)
	v_fmac_f32_e32 v41, v42, v41
	v_mul_f32_e32 v42, v43, v41
	s_delay_alu instid0(VALU_DEP_1) | instskip(NEXT) | instid1(VALU_DEP_1)
	v_fma_f32 v44, -v40, v42, v43
	v_fmac_f32_e32 v42, v44, v41
	s_delay_alu instid0(VALU_DEP_1) | instskip(NEXT) | instid1(VALU_DEP_1)
	v_fma_f32 v40, -v40, v42, v43
	v_div_fmas_f32 v40, v40, v41, v42
	s_delay_alu instid0(VALU_DEP_1) | instskip(NEXT) | instid1(VALU_DEP_1)
	v_div_fixup_f32 v40, v40, v31, v30
	v_fmac_f32_e32 v31, v30, v40
	s_delay_alu instid0(VALU_DEP_1) | instskip(SKIP_1) | instid1(VALU_DEP_2)
	v_div_scale_f32 v30, null, v31, v31, 1.0
	v_div_scale_f32 v43, vcc_lo, 1.0, v31, 1.0
	v_rcp_f32_e32 v41, v30
	v_nop
	s_delay_alu instid0(TRANS32_DEP_1) | instskip(NEXT) | instid1(VALU_DEP_1)
	v_fma_f32 v42, -v30, v41, 1.0
	v_fmac_f32_e32 v41, v42, v41
	s_delay_alu instid0(VALU_DEP_1) | instskip(NEXT) | instid1(VALU_DEP_1)
	v_mul_f32_e32 v42, v43, v41
	v_fma_f32 v44, -v30, v42, v43
	s_delay_alu instid0(VALU_DEP_1) | instskip(NEXT) | instid1(VALU_DEP_1)
	v_fmac_f32_e32 v42, v44, v41
	v_fma_f32 v30, -v30, v42, v43
	s_delay_alu instid0(VALU_DEP_1) | instskip(NEXT) | instid1(VALU_DEP_1)
	v_div_fmas_f32 v30, v30, v41, v42
	v_div_fixup_f32 v30, v30, v31, 1.0
	s_delay_alu instid0(VALU_DEP_1)
	v_mul_f32_e32 v40, v40, v30
	v_xor_b32_e32 v41, 0x80000000, v30
                                        ; implicit-def: $vgpr30_vgpr31
.LBB99_347:
	s_and_not1_saveexec_b32 s1, s1
	s_cbranch_execz .LBB99_349
; %bb.348:
	v_div_scale_f32 v40, null, v30, v30, v31
	v_div_scale_f32 v43, vcc_lo, v31, v30, v31
	s_delay_alu instid0(VALU_DEP_2) | instskip(SKIP_1) | instid1(TRANS32_DEP_1)
	v_rcp_f32_e32 v41, v40
	v_nop
	v_fma_f32 v42, -v40, v41, 1.0
	s_delay_alu instid0(VALU_DEP_1) | instskip(NEXT) | instid1(VALU_DEP_1)
	v_fmac_f32_e32 v41, v42, v41
	v_mul_f32_e32 v42, v43, v41
	s_delay_alu instid0(VALU_DEP_1) | instskip(NEXT) | instid1(VALU_DEP_1)
	v_fma_f32 v44, -v40, v42, v43
	v_fmac_f32_e32 v42, v44, v41
	s_delay_alu instid0(VALU_DEP_1) | instskip(NEXT) | instid1(VALU_DEP_1)
	v_fma_f32 v40, -v40, v42, v43
	v_div_fmas_f32 v40, v40, v41, v42
	s_delay_alu instid0(VALU_DEP_1) | instskip(NEXT) | instid1(VALU_DEP_1)
	v_div_fixup_f32 v41, v40, v30, v31
	v_fmac_f32_e32 v30, v31, v41
	s_delay_alu instid0(VALU_DEP_1) | instskip(NEXT) | instid1(VALU_DEP_1)
	v_div_scale_f32 v31, null, v30, v30, 1.0
	v_rcp_f32_e32 v40, v31
	v_nop
	s_delay_alu instid0(TRANS32_DEP_1) | instskip(NEXT) | instid1(VALU_DEP_1)
	v_fma_f32 v42, -v31, v40, 1.0
	v_fmac_f32_e32 v40, v42, v40
	v_div_scale_f32 v42, vcc_lo, 1.0, v30, 1.0
	s_delay_alu instid0(VALU_DEP_1) | instskip(NEXT) | instid1(VALU_DEP_1)
	v_mul_f32_e32 v43, v42, v40
	v_fma_f32 v44, -v31, v43, v42
	s_delay_alu instid0(VALU_DEP_1) | instskip(NEXT) | instid1(VALU_DEP_1)
	v_fmac_f32_e32 v43, v44, v40
	v_fma_f32 v31, -v31, v43, v42
	s_delay_alu instid0(VALU_DEP_1) | instskip(NEXT) | instid1(VALU_DEP_1)
	v_div_fmas_f32 v31, v31, v40, v43
	v_div_fixup_f32 v40, v31, v30, 1.0
	s_delay_alu instid0(VALU_DEP_1)
	v_mul_f32_e64 v41, v41, -v40
.LBB99_349:
	s_or_b32 exec_lo, exec_lo, s1
	ds_store_b64 v87, v[40:41]
.LBB99_350:
	s_or_b32 exec_lo, exec_lo, s2
	s_wait_dscnt 0x0
	s_barrier_signal -1
	s_barrier_wait -1
	ds_load_b64 v[30:31], v87
	s_mov_b32 s1, exec_lo
	v_cmpx_lt_u32_e32 38, v86
	s_cbranch_execz .LBB99_352
; %bb.351:
	ds_load_2addr_b64 v[44:47], v96 offset0:39 offset1:40
	s_wait_dscnt 0x1
	v_pk_mul_f32 v[42:43], v[30:31], v[160:161] op_sel:[1,1] op_sel_hi:[0,1]
	s_delay_alu instid0(VALU_DEP_1) | instskip(SKIP_1) | instid1(VALU_DEP_1)
	v_pk_fma_f32 v[40:41], v[30:31], v[160:161], v[42:43] op_sel_hi:[1,0,1] neg_lo:[0,0,1] neg_hi:[0,0,1]
	v_pk_fma_f32 v[42:43], v[30:31], v[160:161], v[42:43] op_sel_hi:[1,0,1]
	v_dual_mov_b32 v160, v40 :: v_dual_mov_b32 v161, v43
	s_wait_dscnt 0x0
	s_delay_alu instid0(VALU_DEP_2) | instskip(NEXT) | instid1(VALU_DEP_1)
	v_pk_mul_f32 v[56:57], v[44:45], v[42:43] op_sel:[0,1]
	v_pk_fma_f32 v[58:59], v[44:45], v[40:41], v[56:57] op_sel:[0,0,1] op_sel_hi:[1,1,0] neg_lo:[0,0,1] neg_hi:[0,0,1]
	v_pk_fma_f32 v[44:45], v[44:45], v[40:41], v[56:57] op_sel:[0,0,1] op_sel_hi:[1,0,0]
	s_delay_alu instid0(VALU_DEP_1) | instskip(SKIP_1) | instid1(VALU_DEP_1)
	v_mov_b32_e32 v59, v45
	v_pk_mul_f32 v[44:45], v[46:47], v[42:43] op_sel:[0,1]
	v_pk_fma_f32 v[56:57], v[46:47], v[40:41], v[44:45] op_sel:[0,0,1] op_sel_hi:[1,1,0] neg_lo:[0,0,1] neg_hi:[0,0,1]
	v_pk_fma_f32 v[44:45], v[46:47], v[40:41], v[44:45] op_sel:[0,0,1] op_sel_hi:[1,0,0]
	s_delay_alu instid0(VALU_DEP_1)
	v_mov_b32_e32 v57, v45
	ds_load_2addr_b64 v[44:47], v96 offset0:41 offset1:42
	v_pk_add_f32 v[156:157], v[156:157], v[58:59] neg_lo:[0,1] neg_hi:[0,1]
	v_pk_add_f32 v[180:181], v[180:181], v[56:57] neg_lo:[0,1] neg_hi:[0,1]
	s_wait_dscnt 0x0
	v_pk_mul_f32 v[56:57], v[44:45], v[42:43] op_sel:[0,1]
	s_delay_alu instid0(VALU_DEP_1) | instskip(SKIP_2) | instid1(VALU_DEP_2)
	v_pk_fma_f32 v[58:59], v[44:45], v[40:41], v[56:57] op_sel:[0,0,1] op_sel_hi:[1,1,0] neg_lo:[0,0,1] neg_hi:[0,0,1]
	v_pk_fma_f32 v[44:45], v[44:45], v[40:41], v[56:57] op_sel:[0,0,1] op_sel_hi:[1,0,0]
	v_dual_mul_f32 v56, v47, v43 :: v_dual_mov_b32 v44, v47
	v_dual_mov_b32 v59, v45 :: v_dual_mov_b32 v45, v46
	s_delay_alu instid0(VALU_DEP_2) | instskip(SKIP_1) | instid1(VALU_DEP_3)
	v_pk_fma_f32 v[56:57], v[46:47], v[160:161], v[56:57] op_sel_hi:[1,1,0] neg_lo:[0,0,1] neg_hi:[0,0,1]
	v_mul_f32_e32 v46, v47, v40
	v_pk_add_f32 v[176:177], v[176:177], v[58:59] neg_lo:[0,1] neg_hi:[0,1]
	s_delay_alu instid0(VALU_DEP_2) | instskip(NEXT) | instid1(VALU_DEP_1)
	v_pk_fma_f32 v[44:45], v[44:45], v[160:161], v[46:47] op_sel_hi:[1,1,0]
	v_mov_b32_e32 v57, v45
	ds_load_2addr_b64 v[44:47], v96 offset0:43 offset1:44
	v_pk_add_f32 v[178:179], v[178:179], v[56:57] neg_lo:[0,1] neg_hi:[0,1]
	s_wait_dscnt 0x0
	v_pk_mul_f32 v[56:57], v[44:45], v[42:43] op_sel:[0,1]
	s_delay_alu instid0(VALU_DEP_1) | instskip(SKIP_1) | instid1(VALU_DEP_1)
	v_pk_fma_f32 v[58:59], v[44:45], v[40:41], v[56:57] op_sel:[0,0,1] op_sel_hi:[1,1,0] neg_lo:[0,0,1] neg_hi:[0,0,1]
	v_pk_fma_f32 v[44:45], v[44:45], v[40:41], v[56:57] op_sel:[0,0,1] op_sel_hi:[1,0,0]
	v_mov_b32_e32 v59, v45
	v_pk_mul_f32 v[44:45], v[46:47], v[42:43] op_sel:[0,1]
	s_delay_alu instid0(VALU_DEP_1) | instskip(SKIP_1) | instid1(VALU_DEP_1)
	v_pk_fma_f32 v[56:57], v[46:47], v[40:41], v[44:45] op_sel:[0,0,1] op_sel_hi:[1,1,0] neg_lo:[0,0,1] neg_hi:[0,0,1]
	v_pk_fma_f32 v[44:45], v[46:47], v[40:41], v[44:45] op_sel:[0,0,1] op_sel_hi:[1,0,0]
	v_mov_b32_e32 v57, v45
	ds_load_2addr_b64 v[44:47], v96 offset0:45 offset1:46
	v_pk_add_f32 v[174:175], v[174:175], v[58:59] neg_lo:[0,1] neg_hi:[0,1]
	v_pk_add_f32 v[196:197], v[196:197], v[56:57] neg_lo:[0,1] neg_hi:[0,1]
	s_wait_dscnt 0x0
	v_pk_mul_f32 v[56:57], v[44:45], v[42:43] op_sel:[0,1]
	s_delay_alu instid0(VALU_DEP_1) | instskip(SKIP_1) | instid1(VALU_DEP_1)
	v_pk_fma_f32 v[58:59], v[44:45], v[40:41], v[56:57] op_sel:[0,0,1] op_sel_hi:[1,1,0] neg_lo:[0,0,1] neg_hi:[0,0,1]
	v_pk_fma_f32 v[44:45], v[44:45], v[40:41], v[56:57] op_sel:[0,0,1] op_sel_hi:[1,0,0]
	v_mov_b32_e32 v59, v45
	v_pk_mul_f32 v[44:45], v[46:47], v[42:43] op_sel:[0,1]
	s_delay_alu instid0(VALU_DEP_1) | instskip(SKIP_1) | instid1(VALU_DEP_1)
	v_pk_fma_f32 v[56:57], v[46:47], v[40:41], v[44:45] op_sel:[0,0,1] op_sel_hi:[1,1,0] neg_lo:[0,0,1] neg_hi:[0,0,1]
	v_pk_fma_f32 v[44:45], v[46:47], v[40:41], v[44:45] op_sel:[0,0,1] op_sel_hi:[1,0,0]
	v_mov_b32_e32 v57, v45
	ds_load_2addr_b64 v[44:47], v96 offset0:47 offset1:48
	v_pk_add_f32 v[192:193], v[192:193], v[58:59] neg_lo:[0,1] neg_hi:[0,1]
	v_pk_add_f32 v[194:195], v[194:195], v[56:57] neg_lo:[0,1] neg_hi:[0,1]
	s_wait_dscnt 0x0
	v_dual_mul_f32 v56, v45, v43 :: v_dual_mul_f32 v58, v45, v40
	s_delay_alu instid0(VALU_DEP_1) | instskip(NEXT) | instid1(VALU_DEP_2)
	v_pk_fma_f32 v[56:57], v[44:45], v[160:161], v[56:57] op_sel_hi:[1,1,0] neg_lo:[0,0,1] neg_hi:[0,0,1]
	v_pk_fma_f32 v[44:45], v[44:45], v[160:161], v[58:59] op_sel:[1,0,0] op_sel_hi:[0,1,0]
	s_delay_alu instid0(VALU_DEP_1) | instskip(SKIP_1) | instid1(VALU_DEP_2)
	v_mov_b32_e32 v57, v45
	v_pk_mul_f32 v[44:45], v[46:47], v[42:43] op_sel:[0,1]
	v_pk_add_f32 v[190:191], v[190:191], v[56:57] neg_lo:[0,1] neg_hi:[0,1]
	s_delay_alu instid0(VALU_DEP_2) | instskip(SKIP_1) | instid1(VALU_DEP_1)
	v_pk_fma_f32 v[56:57], v[46:47], v[40:41], v[44:45] op_sel:[0,0,1] op_sel_hi:[1,1,0] neg_lo:[0,0,1] neg_hi:[0,0,1]
	v_pk_fma_f32 v[44:45], v[46:47], v[40:41], v[44:45] op_sel:[0,0,1] op_sel_hi:[1,0,0]
	v_mov_b32_e32 v57, v45
	ds_load_b64 v[44:45], v96 offset:392
	v_pk_add_f32 v[198:199], v[198:199], v[56:57] neg_lo:[0,1] neg_hi:[0,1]
	s_wait_dscnt 0x0
	v_pk_mul_f32 v[42:43], v[44:45], v[42:43] op_sel:[0,1]
	s_delay_alu instid0(VALU_DEP_1) | instskip(SKIP_1) | instid1(VALU_DEP_1)
	v_pk_fma_f32 v[46:47], v[44:45], v[40:41], v[42:43] op_sel:[0,0,1] op_sel_hi:[1,1,0] neg_lo:[0,0,1] neg_hi:[0,0,1]
	v_pk_fma_f32 v[40:41], v[44:45], v[40:41], v[42:43] op_sel:[0,0,1] op_sel_hi:[1,0,0]
	v_mov_b32_e32 v47, v41
	s_delay_alu instid0(VALU_DEP_1)
	v_pk_add_f32 v[200:201], v[200:201], v[46:47] neg_lo:[0,1] neg_hi:[0,1]
.LBB99_352:
	s_or_b32 exec_lo, exec_lo, s1
	s_delay_alu instid0(SALU_CYCLE_1)
	s_mov_b32 s2, exec_lo
	s_wait_dscnt 0x0
	s_barrier_signal -1
	s_barrier_wait -1
	v_cmpx_eq_u32_e32 39, v86
	s_cbranch_execz .LBB99_359
; %bb.353:
	v_dual_mov_b32 v40, v180 :: v_dual_mov_b32 v41, v181
	v_dual_mov_b32 v42, v176 :: v_dual_mov_b32 v43, v177
	ds_store_b64 v87, v[156:157]
	ds_store_2addr_b64 v96, v[40:41], v[42:43] offset0:40 offset1:41
	v_dual_mov_b32 v40, v178 :: v_dual_mov_b32 v41, v179
	v_dual_mov_b32 v42, v174 :: v_dual_mov_b32 v43, v175
	ds_store_2addr_b64 v96, v[40:41], v[42:43] offset0:42 offset1:43
	v_dual_mov_b32 v40, v196 :: v_dual_mov_b32 v41, v197
	v_dual_mov_b32 v42, v192 :: v_dual_mov_b32 v43, v193
	;; [unrolled: 3-line block ×3, first 2 shown]
	ds_store_2addr_b64 v96, v[40:41], v[42:43] offset0:46 offset1:47
	v_dual_mov_b32 v40, v198 :: v_dual_mov_b32 v41, v199
	ds_store_2addr_b64 v96, v[40:41], v[200:201] offset0:48 offset1:49
	ds_load_b64 v[40:41], v87
	s_wait_dscnt 0x0
	v_cmp_neq_f32_e32 vcc_lo, 0, v40
	v_cmp_neq_f32_e64 s1, 0, v41
	s_or_b32 s1, vcc_lo, s1
	s_delay_alu instid0(SALU_CYCLE_1)
	s_and_b32 exec_lo, exec_lo, s1
	s_cbranch_execz .LBB99_359
; %bb.354:
	v_cmp_ngt_f32_e64 s1, |v40|, |v41|
                                        ; implicit-def: $vgpr42_vgpr43
	s_and_saveexec_b32 s4, s1
	s_delay_alu instid0(SALU_CYCLE_1)
	s_xor_b32 s1, exec_lo, s4
	s_cbranch_execz .LBB99_356
; %bb.355:
	v_div_scale_f32 v42, null, v41, v41, v40
	v_div_scale_f32 v45, vcc_lo, v40, v41, v40
	s_delay_alu instid0(VALU_DEP_2) | instskip(SKIP_1) | instid1(TRANS32_DEP_1)
	v_rcp_f32_e32 v43, v42
	v_nop
	v_fma_f32 v44, -v42, v43, 1.0
	s_delay_alu instid0(VALU_DEP_1) | instskip(NEXT) | instid1(VALU_DEP_1)
	v_fmac_f32_e32 v43, v44, v43
	v_mul_f32_e32 v44, v45, v43
	s_delay_alu instid0(VALU_DEP_1) | instskip(NEXT) | instid1(VALU_DEP_1)
	v_fma_f32 v46, -v42, v44, v45
	v_fmac_f32_e32 v44, v46, v43
	s_delay_alu instid0(VALU_DEP_1) | instskip(NEXT) | instid1(VALU_DEP_1)
	v_fma_f32 v42, -v42, v44, v45
	v_div_fmas_f32 v42, v42, v43, v44
	s_delay_alu instid0(VALU_DEP_1) | instskip(NEXT) | instid1(VALU_DEP_1)
	v_div_fixup_f32 v42, v42, v41, v40
	v_fmac_f32_e32 v41, v40, v42
	s_delay_alu instid0(VALU_DEP_1) | instskip(SKIP_1) | instid1(VALU_DEP_2)
	v_div_scale_f32 v40, null, v41, v41, 1.0
	v_div_scale_f32 v45, vcc_lo, 1.0, v41, 1.0
	v_rcp_f32_e32 v43, v40
	v_nop
	s_delay_alu instid0(TRANS32_DEP_1) | instskip(NEXT) | instid1(VALU_DEP_1)
	v_fma_f32 v44, -v40, v43, 1.0
	v_fmac_f32_e32 v43, v44, v43
	s_delay_alu instid0(VALU_DEP_1) | instskip(NEXT) | instid1(VALU_DEP_1)
	v_mul_f32_e32 v44, v45, v43
	v_fma_f32 v46, -v40, v44, v45
	s_delay_alu instid0(VALU_DEP_1) | instskip(NEXT) | instid1(VALU_DEP_1)
	v_fmac_f32_e32 v44, v46, v43
	v_fma_f32 v40, -v40, v44, v45
	s_delay_alu instid0(VALU_DEP_1) | instskip(NEXT) | instid1(VALU_DEP_1)
	v_div_fmas_f32 v40, v40, v43, v44
	v_div_fixup_f32 v40, v40, v41, 1.0
	s_delay_alu instid0(VALU_DEP_1)
	v_mul_f32_e32 v42, v42, v40
	v_xor_b32_e32 v43, 0x80000000, v40
                                        ; implicit-def: $vgpr40_vgpr41
.LBB99_356:
	s_and_not1_saveexec_b32 s1, s1
	s_cbranch_execz .LBB99_358
; %bb.357:
	v_div_scale_f32 v42, null, v40, v40, v41
	v_div_scale_f32 v45, vcc_lo, v41, v40, v41
	s_delay_alu instid0(VALU_DEP_2) | instskip(SKIP_1) | instid1(TRANS32_DEP_1)
	v_rcp_f32_e32 v43, v42
	v_nop
	v_fma_f32 v44, -v42, v43, 1.0
	s_delay_alu instid0(VALU_DEP_1) | instskip(NEXT) | instid1(VALU_DEP_1)
	v_fmac_f32_e32 v43, v44, v43
	v_mul_f32_e32 v44, v45, v43
	s_delay_alu instid0(VALU_DEP_1) | instskip(NEXT) | instid1(VALU_DEP_1)
	v_fma_f32 v46, -v42, v44, v45
	v_fmac_f32_e32 v44, v46, v43
	s_delay_alu instid0(VALU_DEP_1) | instskip(NEXT) | instid1(VALU_DEP_1)
	v_fma_f32 v42, -v42, v44, v45
	v_div_fmas_f32 v42, v42, v43, v44
	s_delay_alu instid0(VALU_DEP_1) | instskip(NEXT) | instid1(VALU_DEP_1)
	v_div_fixup_f32 v43, v42, v40, v41
	v_fmac_f32_e32 v40, v41, v43
	s_delay_alu instid0(VALU_DEP_1) | instskip(NEXT) | instid1(VALU_DEP_1)
	v_div_scale_f32 v41, null, v40, v40, 1.0
	v_rcp_f32_e32 v42, v41
	v_nop
	s_delay_alu instid0(TRANS32_DEP_1) | instskip(NEXT) | instid1(VALU_DEP_1)
	v_fma_f32 v44, -v41, v42, 1.0
	v_fmac_f32_e32 v42, v44, v42
	v_div_scale_f32 v44, vcc_lo, 1.0, v40, 1.0
	s_delay_alu instid0(VALU_DEP_1) | instskip(NEXT) | instid1(VALU_DEP_1)
	v_mul_f32_e32 v45, v44, v42
	v_fma_f32 v46, -v41, v45, v44
	s_delay_alu instid0(VALU_DEP_1) | instskip(NEXT) | instid1(VALU_DEP_1)
	v_fmac_f32_e32 v45, v46, v42
	v_fma_f32 v41, -v41, v45, v44
	s_delay_alu instid0(VALU_DEP_1) | instskip(NEXT) | instid1(VALU_DEP_1)
	v_div_fmas_f32 v41, v41, v42, v45
	v_div_fixup_f32 v42, v41, v40, 1.0
	s_delay_alu instid0(VALU_DEP_1)
	v_mul_f32_e64 v43, v43, -v42
.LBB99_358:
	s_or_b32 exec_lo, exec_lo, s1
	ds_store_b64 v87, v[42:43]
.LBB99_359:
	s_or_b32 exec_lo, exec_lo, s2
	s_wait_dscnt 0x0
	s_barrier_signal -1
	s_barrier_wait -1
	ds_load_b64 v[40:41], v87
	s_mov_b32 s1, exec_lo
	v_cmpx_lt_u32_e32 39, v86
	s_cbranch_execz .LBB99_361
; %bb.360:
	ds_load_2addr_b64 v[56:59], v96 offset0:40 offset1:41
	s_wait_dscnt 0x1
	v_pk_mul_f32 v[44:45], v[40:41], v[156:157] op_sel:[1,1] op_sel_hi:[0,1]
	s_delay_alu instid0(VALU_DEP_1) | instskip(SKIP_1) | instid1(VALU_DEP_1)
	v_pk_fma_f32 v[42:43], v[40:41], v[156:157], v[44:45] op_sel_hi:[1,0,1] neg_lo:[0,0,1] neg_hi:[0,0,1]
	v_pk_fma_f32 v[44:45], v[40:41], v[156:157], v[44:45] op_sel_hi:[1,0,1]
	v_dual_mov_b32 v156, v42 :: v_dual_mov_b32 v157, v45
	s_wait_dscnt 0x0
	s_delay_alu instid0(VALU_DEP_2) | instskip(NEXT) | instid1(VALU_DEP_1)
	v_pk_mul_f32 v[46:47], v[56:57], v[44:45] op_sel:[0,1]
	v_pk_fma_f32 v[60:61], v[56:57], v[42:43], v[46:47] op_sel:[0,0,1] op_sel_hi:[1,1,0] neg_lo:[0,0,1] neg_hi:[0,0,1]
	v_pk_fma_f32 v[46:47], v[56:57], v[42:43], v[46:47] op_sel:[0,0,1] op_sel_hi:[1,0,0]
	s_delay_alu instid0(VALU_DEP_1) | instskip(SKIP_1) | instid1(VALU_DEP_1)
	v_mov_b32_e32 v61, v47
	v_pk_mul_f32 v[46:47], v[58:59], v[44:45] op_sel:[0,1]
	v_pk_fma_f32 v[56:57], v[58:59], v[42:43], v[46:47] op_sel:[0,0,1] op_sel_hi:[1,1,0] neg_lo:[0,0,1] neg_hi:[0,0,1]
	v_pk_fma_f32 v[46:47], v[58:59], v[42:43], v[46:47] op_sel:[0,0,1] op_sel_hi:[1,0,0]
	s_delay_alu instid0(VALU_DEP_1) | instskip(SKIP_1) | instid1(VALU_DEP_2)
	v_mov_b32_e32 v57, v47
	v_pk_add_f32 v[180:181], v[180:181], v[60:61] neg_lo:[0,1] neg_hi:[0,1]
	v_pk_add_f32 v[176:177], v[176:177], v[56:57] neg_lo:[0,1] neg_hi:[0,1]
	ds_load_2addr_b64 v[56:59], v96 offset0:42 offset1:43
	s_wait_dscnt 0x0
	v_pk_mul_f32 v[46:47], v[56:57], v[44:45] op_sel:[0,1]
	s_delay_alu instid0(VALU_DEP_1) | instskip(SKIP_2) | instid1(VALU_DEP_2)
	v_pk_fma_f32 v[60:61], v[56:57], v[42:43], v[46:47] op_sel:[0,0,1] op_sel_hi:[1,1,0] neg_lo:[0,0,1] neg_hi:[0,0,1]
	v_pk_fma_f32 v[46:47], v[56:57], v[42:43], v[46:47] op_sel:[0,0,1] op_sel_hi:[1,0,0]
	v_dual_mul_f32 v56, v59, v45 :: v_dual_mov_b32 v46, v59
	v_dual_mov_b32 v61, v47 :: v_dual_mov_b32 v47, v58
	s_delay_alu instid0(VALU_DEP_2) | instskip(SKIP_1) | instid1(VALU_DEP_3)
	v_pk_fma_f32 v[56:57], v[58:59], v[156:157], v[56:57] op_sel_hi:[1,1,0] neg_lo:[0,0,1] neg_hi:[0,0,1]
	v_mul_f32_e32 v58, v59, v42
	v_pk_add_f32 v[178:179], v[178:179], v[60:61] neg_lo:[0,1] neg_hi:[0,1]
	s_delay_alu instid0(VALU_DEP_2) | instskip(NEXT) | instid1(VALU_DEP_1)
	v_pk_fma_f32 v[46:47], v[46:47], v[156:157], v[58:59] op_sel_hi:[1,1,0]
	v_mov_b32_e32 v57, v47
	s_delay_alu instid0(VALU_DEP_1) | instskip(SKIP_3) | instid1(VALU_DEP_1)
	v_pk_add_f32 v[174:175], v[174:175], v[56:57] neg_lo:[0,1] neg_hi:[0,1]
	ds_load_2addr_b64 v[56:59], v96 offset0:44 offset1:45
	s_wait_dscnt 0x0
	v_pk_mul_f32 v[46:47], v[56:57], v[44:45] op_sel:[0,1]
	v_pk_fma_f32 v[60:61], v[56:57], v[42:43], v[46:47] op_sel:[0,0,1] op_sel_hi:[1,1,0] neg_lo:[0,0,1] neg_hi:[0,0,1]
	v_pk_fma_f32 v[46:47], v[56:57], v[42:43], v[46:47] op_sel:[0,0,1] op_sel_hi:[1,0,0]
	s_delay_alu instid0(VALU_DEP_1) | instskip(SKIP_1) | instid1(VALU_DEP_2)
	v_mov_b32_e32 v61, v47
	v_pk_mul_f32 v[46:47], v[58:59], v[44:45] op_sel:[0,1]
	v_pk_add_f32 v[196:197], v[196:197], v[60:61] neg_lo:[0,1] neg_hi:[0,1]
	s_delay_alu instid0(VALU_DEP_2) | instskip(SKIP_1) | instid1(VALU_DEP_1)
	v_pk_fma_f32 v[56:57], v[58:59], v[42:43], v[46:47] op_sel:[0,0,1] op_sel_hi:[1,1,0] neg_lo:[0,0,1] neg_hi:[0,0,1]
	v_pk_fma_f32 v[46:47], v[58:59], v[42:43], v[46:47] op_sel:[0,0,1] op_sel_hi:[1,0,0]
	v_mov_b32_e32 v57, v47
	s_delay_alu instid0(VALU_DEP_1) | instskip(SKIP_3) | instid1(VALU_DEP_1)
	v_pk_add_f32 v[192:193], v[192:193], v[56:57] neg_lo:[0,1] neg_hi:[0,1]
	ds_load_2addr_b64 v[56:59], v96 offset0:46 offset1:47
	s_wait_dscnt 0x0
	v_pk_mul_f32 v[46:47], v[56:57], v[44:45] op_sel:[0,1]
	v_pk_fma_f32 v[60:61], v[56:57], v[42:43], v[46:47] op_sel:[0,0,1] op_sel_hi:[1,1,0] neg_lo:[0,0,1] neg_hi:[0,0,1]
	v_pk_fma_f32 v[46:47], v[56:57], v[42:43], v[46:47] op_sel:[0,0,1] op_sel_hi:[1,0,0]
	s_delay_alu instid0(VALU_DEP_1) | instskip(SKIP_1) | instid1(VALU_DEP_2)
	v_mov_b32_e32 v61, v47
	v_pk_mul_f32 v[46:47], v[58:59], v[44:45] op_sel:[0,1]
	v_pk_add_f32 v[194:195], v[194:195], v[60:61] neg_lo:[0,1] neg_hi:[0,1]
	s_delay_alu instid0(VALU_DEP_2) | instskip(SKIP_1) | instid1(VALU_DEP_1)
	v_pk_fma_f32 v[56:57], v[58:59], v[42:43], v[46:47] op_sel:[0,0,1] op_sel_hi:[1,1,0] neg_lo:[0,0,1] neg_hi:[0,0,1]
	v_pk_fma_f32 v[46:47], v[58:59], v[42:43], v[46:47] op_sel:[0,0,1] op_sel_hi:[1,0,0]
	v_mov_b32_e32 v57, v47
	s_delay_alu instid0(VALU_DEP_1) | instskip(SKIP_4) | instid1(VALU_DEP_2)
	v_pk_add_f32 v[190:191], v[190:191], v[56:57] neg_lo:[0,1] neg_hi:[0,1]
	ds_load_2addr_b64 v[56:59], v96 offset0:48 offset1:49
	s_wait_dscnt 0x0
	v_dual_mul_f32 v46, v57, v45 :: v_dual_mul_f32 v60, v57, v42
	v_pk_mul_f32 v[44:45], v[58:59], v[44:45] op_sel:[0,1]
	v_pk_fma_f32 v[46:47], v[56:57], v[156:157], v[46:47] op_sel_hi:[1,1,0] neg_lo:[0,0,1] neg_hi:[0,0,1]
	s_delay_alu instid0(VALU_DEP_3) | instskip(NEXT) | instid1(VALU_DEP_1)
	v_pk_fma_f32 v[56:57], v[56:57], v[156:157], v[60:61] op_sel:[1,0,0] op_sel_hi:[0,1,0]
	v_mov_b32_e32 v47, v57
	s_delay_alu instid0(VALU_DEP_1) | instskip(SKIP_2) | instid1(VALU_DEP_1)
	v_pk_add_f32 v[198:199], v[198:199], v[46:47] neg_lo:[0,1] neg_hi:[0,1]
	v_pk_fma_f32 v[46:47], v[58:59], v[42:43], v[44:45] op_sel:[0,0,1] op_sel_hi:[1,1,0] neg_lo:[0,0,1] neg_hi:[0,0,1]
	v_pk_fma_f32 v[42:43], v[58:59], v[42:43], v[44:45] op_sel:[0,0,1] op_sel_hi:[1,0,0]
	v_mov_b32_e32 v47, v43
	s_delay_alu instid0(VALU_DEP_1)
	v_pk_add_f32 v[200:201], v[200:201], v[46:47] neg_lo:[0,1] neg_hi:[0,1]
.LBB99_361:
	s_or_b32 exec_lo, exec_lo, s1
	s_delay_alu instid0(SALU_CYCLE_1)
	s_mov_b32 s2, exec_lo
	s_wait_dscnt 0x0
	s_barrier_signal -1
	s_barrier_wait -1
	v_cmpx_eq_u32_e32 40, v86
	s_cbranch_execz .LBB99_368
; %bb.362:
	ds_store_b64 v87, v[180:181]
	ds_store_2addr_b64 v96, v[176:177], v[178:179] offset0:41 offset1:42
	ds_store_2addr_b64 v96, v[174:175], v[196:197] offset0:43 offset1:44
	;; [unrolled: 1-line block ×4, first 2 shown]
	ds_store_b64 v96, v[200:201] offset:392
	ds_load_b64 v[42:43], v87
	s_wait_dscnt 0x0
	v_cmp_neq_f32_e32 vcc_lo, 0, v42
	v_cmp_neq_f32_e64 s1, 0, v43
	s_or_b32 s1, vcc_lo, s1
	s_delay_alu instid0(SALU_CYCLE_1)
	s_and_b32 exec_lo, exec_lo, s1
	s_cbranch_execz .LBB99_368
; %bb.363:
	v_cmp_ngt_f32_e64 s1, |v42|, |v43|
                                        ; implicit-def: $vgpr44_vgpr45
	s_and_saveexec_b32 s4, s1
	s_delay_alu instid0(SALU_CYCLE_1)
	s_xor_b32 s1, exec_lo, s4
	s_cbranch_execz .LBB99_365
; %bb.364:
	v_div_scale_f32 v44, null, v43, v43, v42
	v_div_scale_f32 v47, vcc_lo, v42, v43, v42
	s_delay_alu instid0(VALU_DEP_2) | instskip(SKIP_1) | instid1(TRANS32_DEP_1)
	v_rcp_f32_e32 v45, v44
	v_nop
	v_fma_f32 v46, -v44, v45, 1.0
	s_delay_alu instid0(VALU_DEP_1) | instskip(NEXT) | instid1(VALU_DEP_1)
	v_fmac_f32_e32 v45, v46, v45
	v_mul_f32_e32 v46, v47, v45
	s_delay_alu instid0(VALU_DEP_1) | instskip(NEXT) | instid1(VALU_DEP_1)
	v_fma_f32 v56, -v44, v46, v47
	v_fmac_f32_e32 v46, v56, v45
	s_delay_alu instid0(VALU_DEP_1) | instskip(NEXT) | instid1(VALU_DEP_1)
	v_fma_f32 v44, -v44, v46, v47
	v_div_fmas_f32 v44, v44, v45, v46
	s_delay_alu instid0(VALU_DEP_1) | instskip(NEXT) | instid1(VALU_DEP_1)
	v_div_fixup_f32 v44, v44, v43, v42
	v_fmac_f32_e32 v43, v42, v44
	s_delay_alu instid0(VALU_DEP_1) | instskip(SKIP_1) | instid1(VALU_DEP_2)
	v_div_scale_f32 v42, null, v43, v43, 1.0
	v_div_scale_f32 v47, vcc_lo, 1.0, v43, 1.0
	v_rcp_f32_e32 v45, v42
	v_nop
	s_delay_alu instid0(TRANS32_DEP_1) | instskip(NEXT) | instid1(VALU_DEP_1)
	v_fma_f32 v46, -v42, v45, 1.0
	v_fmac_f32_e32 v45, v46, v45
	s_delay_alu instid0(VALU_DEP_1) | instskip(NEXT) | instid1(VALU_DEP_1)
	v_mul_f32_e32 v46, v47, v45
	v_fma_f32 v56, -v42, v46, v47
	s_delay_alu instid0(VALU_DEP_1) | instskip(NEXT) | instid1(VALU_DEP_1)
	v_fmac_f32_e32 v46, v56, v45
	v_fma_f32 v42, -v42, v46, v47
	s_delay_alu instid0(VALU_DEP_1) | instskip(NEXT) | instid1(VALU_DEP_1)
	v_div_fmas_f32 v42, v42, v45, v46
	v_div_fixup_f32 v42, v42, v43, 1.0
	s_delay_alu instid0(VALU_DEP_1)
	v_mul_f32_e32 v44, v44, v42
	v_xor_b32_e32 v45, 0x80000000, v42
                                        ; implicit-def: $vgpr42_vgpr43
.LBB99_365:
	s_and_not1_saveexec_b32 s1, s1
	s_cbranch_execz .LBB99_367
; %bb.366:
	v_div_scale_f32 v44, null, v42, v42, v43
	v_div_scale_f32 v47, vcc_lo, v43, v42, v43
	s_delay_alu instid0(VALU_DEP_2) | instskip(SKIP_1) | instid1(TRANS32_DEP_1)
	v_rcp_f32_e32 v45, v44
	v_nop
	v_fma_f32 v46, -v44, v45, 1.0
	s_delay_alu instid0(VALU_DEP_1) | instskip(NEXT) | instid1(VALU_DEP_1)
	v_fmac_f32_e32 v45, v46, v45
	v_mul_f32_e32 v46, v47, v45
	s_delay_alu instid0(VALU_DEP_1) | instskip(NEXT) | instid1(VALU_DEP_1)
	v_fma_f32 v56, -v44, v46, v47
	v_fmac_f32_e32 v46, v56, v45
	s_delay_alu instid0(VALU_DEP_1) | instskip(NEXT) | instid1(VALU_DEP_1)
	v_fma_f32 v44, -v44, v46, v47
	v_div_fmas_f32 v44, v44, v45, v46
	s_delay_alu instid0(VALU_DEP_1) | instskip(NEXT) | instid1(VALU_DEP_1)
	v_div_fixup_f32 v45, v44, v42, v43
	v_fmac_f32_e32 v42, v43, v45
	s_delay_alu instid0(VALU_DEP_1) | instskip(NEXT) | instid1(VALU_DEP_1)
	v_div_scale_f32 v43, null, v42, v42, 1.0
	v_rcp_f32_e32 v44, v43
	v_nop
	s_delay_alu instid0(TRANS32_DEP_1) | instskip(NEXT) | instid1(VALU_DEP_1)
	v_fma_f32 v46, -v43, v44, 1.0
	v_fmac_f32_e32 v44, v46, v44
	v_div_scale_f32 v46, vcc_lo, 1.0, v42, 1.0
	s_delay_alu instid0(VALU_DEP_1) | instskip(NEXT) | instid1(VALU_DEP_1)
	v_mul_f32_e32 v47, v46, v44
	v_fma_f32 v56, -v43, v47, v46
	s_delay_alu instid0(VALU_DEP_1) | instskip(NEXT) | instid1(VALU_DEP_1)
	v_fmac_f32_e32 v47, v56, v44
	v_fma_f32 v43, -v43, v47, v46
	s_delay_alu instid0(VALU_DEP_1) | instskip(NEXT) | instid1(VALU_DEP_1)
	v_div_fmas_f32 v43, v43, v44, v47
	v_div_fixup_f32 v44, v43, v42, 1.0
	s_delay_alu instid0(VALU_DEP_1)
	v_mul_f32_e64 v45, v45, -v44
.LBB99_367:
	s_or_b32 exec_lo, exec_lo, s1
	ds_store_b64 v87, v[44:45]
.LBB99_368:
	s_or_b32 exec_lo, exec_lo, s2
	s_wait_dscnt 0x0
	s_barrier_signal -1
	s_barrier_wait -1
	ds_load_b64 v[42:43], v87
	s_mov_b32 s1, exec_lo
	v_cmpx_lt_u32_e32 40, v86
	s_cbranch_execz .LBB99_370
; %bb.369:
	ds_load_2addr_b64 v[56:59], v96 offset0:41 offset1:42
	s_wait_dscnt 0x1
	v_pk_mul_f32 v[46:47], v[42:43], v[180:181] op_sel:[1,1] op_sel_hi:[0,1]
	s_delay_alu instid0(VALU_DEP_1) | instskip(SKIP_1) | instid1(VALU_DEP_1)
	v_pk_fma_f32 v[44:45], v[42:43], v[180:181], v[46:47] op_sel_hi:[1,0,1] neg_lo:[0,0,1] neg_hi:[0,0,1]
	v_pk_fma_f32 v[46:47], v[42:43], v[180:181], v[46:47] op_sel_hi:[1,0,1]
	v_dual_mov_b32 v180, v44 :: v_dual_mov_b32 v181, v47
	s_wait_dscnt 0x0
	s_delay_alu instid0(VALU_DEP_2) | instskip(NEXT) | instid1(VALU_DEP_1)
	v_pk_mul_f32 v[60:61], v[56:57], v[46:47] op_sel:[0,1]
	v_pk_fma_f32 v[62:63], v[56:57], v[44:45], v[60:61] op_sel:[0,0,1] op_sel_hi:[1,1,0] neg_lo:[0,0,1] neg_hi:[0,0,1]
	v_pk_fma_f32 v[56:57], v[56:57], v[44:45], v[60:61] op_sel:[0,0,1] op_sel_hi:[1,0,0]
	s_delay_alu instid0(VALU_DEP_1) | instskip(SKIP_1) | instid1(VALU_DEP_1)
	v_mov_b32_e32 v63, v57
	v_pk_mul_f32 v[56:57], v[58:59], v[46:47] op_sel:[0,1]
	v_pk_fma_f32 v[60:61], v[58:59], v[44:45], v[56:57] op_sel:[0,0,1] op_sel_hi:[1,1,0] neg_lo:[0,0,1] neg_hi:[0,0,1]
	v_pk_fma_f32 v[56:57], v[58:59], v[44:45], v[56:57] op_sel:[0,0,1] op_sel_hi:[1,0,0]
	s_delay_alu instid0(VALU_DEP_1)
	v_mov_b32_e32 v61, v57
	ds_load_2addr_b64 v[56:59], v96 offset0:43 offset1:44
	v_pk_add_f32 v[176:177], v[176:177], v[62:63] neg_lo:[0,1] neg_hi:[0,1]
	v_pk_add_f32 v[178:179], v[178:179], v[60:61] neg_lo:[0,1] neg_hi:[0,1]
	s_wait_dscnt 0x0
	v_pk_mul_f32 v[60:61], v[56:57], v[46:47] op_sel:[0,1]
	s_delay_alu instid0(VALU_DEP_1) | instskip(SKIP_2) | instid1(VALU_DEP_2)
	v_pk_fma_f32 v[62:63], v[56:57], v[44:45], v[60:61] op_sel:[0,0,1] op_sel_hi:[1,1,0] neg_lo:[0,0,1] neg_hi:[0,0,1]
	v_pk_fma_f32 v[56:57], v[56:57], v[44:45], v[60:61] op_sel:[0,0,1] op_sel_hi:[1,0,0]
	v_dual_mul_f32 v60, v59, v47 :: v_dual_mov_b32 v56, v59
	v_dual_mov_b32 v63, v57 :: v_dual_mov_b32 v57, v58
	s_delay_alu instid0(VALU_DEP_2) | instskip(SKIP_1) | instid1(VALU_DEP_3)
	v_pk_fma_f32 v[60:61], v[58:59], v[180:181], v[60:61] op_sel_hi:[1,1,0] neg_lo:[0,0,1] neg_hi:[0,0,1]
	v_mul_f32_e32 v58, v59, v44
	v_pk_add_f32 v[174:175], v[174:175], v[62:63] neg_lo:[0,1] neg_hi:[0,1]
	s_delay_alu instid0(VALU_DEP_2) | instskip(NEXT) | instid1(VALU_DEP_1)
	v_pk_fma_f32 v[56:57], v[56:57], v[180:181], v[58:59] op_sel_hi:[1,1,0]
	v_mov_b32_e32 v61, v57
	ds_load_2addr_b64 v[56:59], v96 offset0:45 offset1:46
	v_pk_add_f32 v[196:197], v[196:197], v[60:61] neg_lo:[0,1] neg_hi:[0,1]
	s_wait_dscnt 0x0
	v_pk_mul_f32 v[60:61], v[56:57], v[46:47] op_sel:[0,1]
	s_delay_alu instid0(VALU_DEP_1) | instskip(SKIP_1) | instid1(VALU_DEP_1)
	v_pk_fma_f32 v[62:63], v[56:57], v[44:45], v[60:61] op_sel:[0,0,1] op_sel_hi:[1,1,0] neg_lo:[0,0,1] neg_hi:[0,0,1]
	v_pk_fma_f32 v[56:57], v[56:57], v[44:45], v[60:61] op_sel:[0,0,1] op_sel_hi:[1,0,0]
	v_mov_b32_e32 v63, v57
	v_pk_mul_f32 v[56:57], v[58:59], v[46:47] op_sel:[0,1]
	s_delay_alu instid0(VALU_DEP_1) | instskip(SKIP_1) | instid1(VALU_DEP_1)
	v_pk_fma_f32 v[60:61], v[58:59], v[44:45], v[56:57] op_sel:[0,0,1] op_sel_hi:[1,1,0] neg_lo:[0,0,1] neg_hi:[0,0,1]
	v_pk_fma_f32 v[56:57], v[58:59], v[44:45], v[56:57] op_sel:[0,0,1] op_sel_hi:[1,0,0]
	v_mov_b32_e32 v61, v57
	ds_load_2addr_b64 v[56:59], v96 offset0:47 offset1:48
	v_pk_add_f32 v[192:193], v[192:193], v[62:63] neg_lo:[0,1] neg_hi:[0,1]
	v_pk_add_f32 v[194:195], v[194:195], v[60:61] neg_lo:[0,1] neg_hi:[0,1]
	s_wait_dscnt 0x0
	v_pk_mul_f32 v[60:61], v[56:57], v[46:47] op_sel:[0,1]
	s_delay_alu instid0(VALU_DEP_1) | instskip(SKIP_1) | instid1(VALU_DEP_1)
	v_pk_fma_f32 v[62:63], v[56:57], v[44:45], v[60:61] op_sel:[0,0,1] op_sel_hi:[1,1,0] neg_lo:[0,0,1] neg_hi:[0,0,1]
	v_pk_fma_f32 v[56:57], v[56:57], v[44:45], v[60:61] op_sel:[0,0,1] op_sel_hi:[1,0,0]
	v_mov_b32_e32 v63, v57
	v_pk_mul_f32 v[56:57], v[58:59], v[46:47] op_sel:[0,1]
	s_delay_alu instid0(VALU_DEP_1) | instskip(SKIP_1) | instid1(VALU_DEP_1)
	v_pk_fma_f32 v[60:61], v[58:59], v[44:45], v[56:57] op_sel:[0,0,1] op_sel_hi:[1,1,0] neg_lo:[0,0,1] neg_hi:[0,0,1]
	v_pk_fma_f32 v[56:57], v[58:59], v[44:45], v[56:57] op_sel:[0,0,1] op_sel_hi:[1,0,0]
	v_mov_b32_e32 v61, v57
	ds_load_b64 v[56:57], v96 offset:392
	v_pk_add_f32 v[190:191], v[190:191], v[62:63] neg_lo:[0,1] neg_hi:[0,1]
	v_pk_add_f32 v[198:199], v[198:199], v[60:61] neg_lo:[0,1] neg_hi:[0,1]
	s_wait_dscnt 0x0
	v_pk_mul_f32 v[46:47], v[56:57], v[46:47] op_sel:[0,1]
	s_delay_alu instid0(VALU_DEP_1) | instskip(SKIP_1) | instid1(VALU_DEP_1)
	v_pk_fma_f32 v[58:59], v[56:57], v[44:45], v[46:47] op_sel:[0,0,1] op_sel_hi:[1,1,0] neg_lo:[0,0,1] neg_hi:[0,0,1]
	v_pk_fma_f32 v[44:45], v[56:57], v[44:45], v[46:47] op_sel:[0,0,1] op_sel_hi:[1,0,0]
	v_mov_b32_e32 v59, v45
	s_delay_alu instid0(VALU_DEP_1)
	v_pk_add_f32 v[200:201], v[200:201], v[58:59] neg_lo:[0,1] neg_hi:[0,1]
.LBB99_370:
	s_or_b32 exec_lo, exec_lo, s1
	s_delay_alu instid0(SALU_CYCLE_1)
	s_mov_b32 s2, exec_lo
	s_wait_dscnt 0x0
	s_barrier_signal -1
	s_barrier_wait -1
	v_cmpx_eq_u32_e32 41, v86
	s_cbranch_execz .LBB99_377
; %bb.371:
	v_dual_mov_b32 v44, v178 :: v_dual_mov_b32 v45, v179
	v_dual_mov_b32 v46, v174 :: v_dual_mov_b32 v47, v175
	ds_store_b64 v87, v[176:177]
	ds_store_2addr_b64 v96, v[44:45], v[46:47] offset0:42 offset1:43
	v_dual_mov_b32 v44, v196 :: v_dual_mov_b32 v45, v197
	v_dual_mov_b32 v46, v192 :: v_dual_mov_b32 v47, v193
	ds_store_2addr_b64 v96, v[44:45], v[46:47] offset0:44 offset1:45
	v_dual_mov_b32 v44, v194 :: v_dual_mov_b32 v45, v195
	v_dual_mov_b32 v46, v190 :: v_dual_mov_b32 v47, v191
	ds_store_2addr_b64 v96, v[44:45], v[46:47] offset0:46 offset1:47
	v_dual_mov_b32 v44, v198 :: v_dual_mov_b32 v45, v199
	ds_store_2addr_b64 v96, v[44:45], v[200:201] offset0:48 offset1:49
	ds_load_b64 v[44:45], v87
	s_wait_dscnt 0x0
	v_cmp_neq_f32_e32 vcc_lo, 0, v44
	v_cmp_neq_f32_e64 s1, 0, v45
	s_or_b32 s1, vcc_lo, s1
	s_delay_alu instid0(SALU_CYCLE_1)
	s_and_b32 exec_lo, exec_lo, s1
	s_cbranch_execz .LBB99_377
; %bb.372:
	v_cmp_ngt_f32_e64 s1, |v44|, |v45|
                                        ; implicit-def: $vgpr46_vgpr47
	s_and_saveexec_b32 s4, s1
	s_delay_alu instid0(SALU_CYCLE_1)
	s_xor_b32 s1, exec_lo, s4
	s_cbranch_execz .LBB99_374
; %bb.373:
	v_div_scale_f32 v46, null, v45, v45, v44
	v_div_scale_f32 v57, vcc_lo, v44, v45, v44
	s_delay_alu instid0(VALU_DEP_2) | instskip(SKIP_1) | instid1(TRANS32_DEP_1)
	v_rcp_f32_e32 v47, v46
	v_nop
	v_fma_f32 v56, -v46, v47, 1.0
	s_delay_alu instid0(VALU_DEP_1) | instskip(NEXT) | instid1(VALU_DEP_1)
	v_fmac_f32_e32 v47, v56, v47
	v_mul_f32_e32 v56, v57, v47
	s_delay_alu instid0(VALU_DEP_1) | instskip(NEXT) | instid1(VALU_DEP_1)
	v_fma_f32 v58, -v46, v56, v57
	v_fmac_f32_e32 v56, v58, v47
	s_delay_alu instid0(VALU_DEP_1) | instskip(NEXT) | instid1(VALU_DEP_1)
	v_fma_f32 v46, -v46, v56, v57
	v_div_fmas_f32 v46, v46, v47, v56
	s_delay_alu instid0(VALU_DEP_1) | instskip(NEXT) | instid1(VALU_DEP_1)
	v_div_fixup_f32 v46, v46, v45, v44
	v_fmac_f32_e32 v45, v44, v46
	s_delay_alu instid0(VALU_DEP_1) | instskip(SKIP_1) | instid1(VALU_DEP_2)
	v_div_scale_f32 v44, null, v45, v45, 1.0
	v_div_scale_f32 v57, vcc_lo, 1.0, v45, 1.0
	v_rcp_f32_e32 v47, v44
	v_nop
	s_delay_alu instid0(TRANS32_DEP_1) | instskip(NEXT) | instid1(VALU_DEP_1)
	v_fma_f32 v56, -v44, v47, 1.0
	v_fmac_f32_e32 v47, v56, v47
	s_delay_alu instid0(VALU_DEP_1) | instskip(NEXT) | instid1(VALU_DEP_1)
	v_mul_f32_e32 v56, v57, v47
	v_fma_f32 v58, -v44, v56, v57
	s_delay_alu instid0(VALU_DEP_1) | instskip(NEXT) | instid1(VALU_DEP_1)
	v_fmac_f32_e32 v56, v58, v47
	v_fma_f32 v44, -v44, v56, v57
	s_delay_alu instid0(VALU_DEP_1) | instskip(NEXT) | instid1(VALU_DEP_1)
	v_div_fmas_f32 v44, v44, v47, v56
	v_div_fixup_f32 v44, v44, v45, 1.0
	s_delay_alu instid0(VALU_DEP_1)
	v_mul_f32_e32 v46, v46, v44
	v_xor_b32_e32 v47, 0x80000000, v44
                                        ; implicit-def: $vgpr44_vgpr45
.LBB99_374:
	s_and_not1_saveexec_b32 s1, s1
	s_cbranch_execz .LBB99_376
; %bb.375:
	v_div_scale_f32 v46, null, v44, v44, v45
	v_div_scale_f32 v57, vcc_lo, v45, v44, v45
	s_delay_alu instid0(VALU_DEP_2) | instskip(SKIP_1) | instid1(TRANS32_DEP_1)
	v_rcp_f32_e32 v47, v46
	v_nop
	v_fma_f32 v56, -v46, v47, 1.0
	s_delay_alu instid0(VALU_DEP_1) | instskip(NEXT) | instid1(VALU_DEP_1)
	v_fmac_f32_e32 v47, v56, v47
	v_mul_f32_e32 v56, v57, v47
	s_delay_alu instid0(VALU_DEP_1) | instskip(NEXT) | instid1(VALU_DEP_1)
	v_fma_f32 v58, -v46, v56, v57
	v_fmac_f32_e32 v56, v58, v47
	s_delay_alu instid0(VALU_DEP_1) | instskip(NEXT) | instid1(VALU_DEP_1)
	v_fma_f32 v46, -v46, v56, v57
	v_div_fmas_f32 v46, v46, v47, v56
	s_delay_alu instid0(VALU_DEP_1) | instskip(NEXT) | instid1(VALU_DEP_1)
	v_div_fixup_f32 v47, v46, v44, v45
	v_fmac_f32_e32 v44, v45, v47
	s_delay_alu instid0(VALU_DEP_1) | instskip(NEXT) | instid1(VALU_DEP_1)
	v_div_scale_f32 v45, null, v44, v44, 1.0
	v_rcp_f32_e32 v46, v45
	v_nop
	s_delay_alu instid0(TRANS32_DEP_1) | instskip(NEXT) | instid1(VALU_DEP_1)
	v_fma_f32 v56, -v45, v46, 1.0
	v_fmac_f32_e32 v46, v56, v46
	v_div_scale_f32 v56, vcc_lo, 1.0, v44, 1.0
	s_delay_alu instid0(VALU_DEP_1) | instskip(NEXT) | instid1(VALU_DEP_1)
	v_mul_f32_e32 v57, v56, v46
	v_fma_f32 v58, -v45, v57, v56
	s_delay_alu instid0(VALU_DEP_1) | instskip(NEXT) | instid1(VALU_DEP_1)
	v_fmac_f32_e32 v57, v58, v46
	v_fma_f32 v45, -v45, v57, v56
	s_delay_alu instid0(VALU_DEP_1) | instskip(NEXT) | instid1(VALU_DEP_1)
	v_div_fmas_f32 v45, v45, v46, v57
	v_div_fixup_f32 v46, v45, v44, 1.0
	s_delay_alu instid0(VALU_DEP_1)
	v_mul_f32_e64 v47, v47, -v46
.LBB99_376:
	s_or_b32 exec_lo, exec_lo, s1
	ds_store_b64 v87, v[46:47]
.LBB99_377:
	s_or_b32 exec_lo, exec_lo, s2
	s_wait_dscnt 0x0
	s_barrier_signal -1
	s_barrier_wait -1
	ds_load_b64 v[44:45], v87
	s_mov_b32 s1, exec_lo
	v_cmpx_lt_u32_e32 41, v86
	s_cbranch_execz .LBB99_379
; %bb.378:
	ds_load_2addr_b64 v[58:61], v96 offset0:42 offset1:43
	s_wait_dscnt 0x1
	v_pk_mul_f32 v[56:57], v[44:45], v[176:177] op_sel:[1,1] op_sel_hi:[0,1]
	s_delay_alu instid0(VALU_DEP_1) | instskip(SKIP_1) | instid1(VALU_DEP_1)
	v_pk_fma_f32 v[46:47], v[44:45], v[176:177], v[56:57] op_sel_hi:[1,0,1] neg_lo:[0,0,1] neg_hi:[0,0,1]
	v_pk_fma_f32 v[56:57], v[44:45], v[176:177], v[56:57] op_sel_hi:[1,0,1]
	v_dual_mov_b32 v176, v46 :: v_dual_mov_b32 v177, v57
	s_wait_dscnt 0x0
	s_delay_alu instid0(VALU_DEP_2) | instskip(NEXT) | instid1(VALU_DEP_1)
	v_pk_mul_f32 v[62:63], v[58:59], v[56:57] op_sel:[0,1]
	v_pk_fma_f32 v[80:81], v[58:59], v[46:47], v[62:63] op_sel:[0,0,1] op_sel_hi:[1,1,0] neg_lo:[0,0,1] neg_hi:[0,0,1]
	v_pk_fma_f32 v[58:59], v[58:59], v[46:47], v[62:63] op_sel:[0,0,1] op_sel_hi:[1,0,0]
	s_delay_alu instid0(VALU_DEP_1) | instskip(SKIP_1) | instid1(VALU_DEP_1)
	v_mov_b32_e32 v81, v59
	v_pk_mul_f32 v[58:59], v[60:61], v[56:57] op_sel:[0,1]
	v_pk_fma_f32 v[62:63], v[60:61], v[46:47], v[58:59] op_sel:[0,0,1] op_sel_hi:[1,1,0] neg_lo:[0,0,1] neg_hi:[0,0,1]
	v_pk_fma_f32 v[58:59], v[60:61], v[46:47], v[58:59] op_sel:[0,0,1] op_sel_hi:[1,0,0]
	s_delay_alu instid0(VALU_DEP_1)
	v_mov_b32_e32 v63, v59
	ds_load_2addr_b64 v[58:61], v96 offset0:44 offset1:45
	v_pk_add_f32 v[178:179], v[178:179], v[80:81] neg_lo:[0,1] neg_hi:[0,1]
	v_pk_add_f32 v[174:175], v[174:175], v[62:63] neg_lo:[0,1] neg_hi:[0,1]
	s_wait_dscnt 0x0
	v_pk_mul_f32 v[62:63], v[58:59], v[56:57] op_sel:[0,1]
	s_delay_alu instid0(VALU_DEP_1) | instskip(SKIP_2) | instid1(VALU_DEP_2)
	v_pk_fma_f32 v[80:81], v[58:59], v[46:47], v[62:63] op_sel:[0,0,1] op_sel_hi:[1,1,0] neg_lo:[0,0,1] neg_hi:[0,0,1]
	v_pk_fma_f32 v[58:59], v[58:59], v[46:47], v[62:63] op_sel:[0,0,1] op_sel_hi:[1,0,0]
	v_dual_mul_f32 v62, v61, v57 :: v_dual_mov_b32 v58, v61
	v_dual_mov_b32 v81, v59 :: v_dual_mov_b32 v59, v60
	s_delay_alu instid0(VALU_DEP_2) | instskip(SKIP_1) | instid1(VALU_DEP_3)
	v_pk_fma_f32 v[62:63], v[60:61], v[176:177], v[62:63] op_sel_hi:[1,1,0] neg_lo:[0,0,1] neg_hi:[0,0,1]
	v_mul_f32_e32 v60, v61, v46
	v_pk_add_f32 v[196:197], v[196:197], v[80:81] neg_lo:[0,1] neg_hi:[0,1]
	s_delay_alu instid0(VALU_DEP_2) | instskip(NEXT) | instid1(VALU_DEP_1)
	v_pk_fma_f32 v[58:59], v[58:59], v[176:177], v[60:61] op_sel_hi:[1,1,0]
	v_mov_b32_e32 v63, v59
	ds_load_2addr_b64 v[58:61], v96 offset0:46 offset1:47
	v_pk_add_f32 v[192:193], v[192:193], v[62:63] neg_lo:[0,1] neg_hi:[0,1]
	s_wait_dscnt 0x0
	v_pk_mul_f32 v[62:63], v[58:59], v[56:57] op_sel:[0,1]
	s_delay_alu instid0(VALU_DEP_1) | instskip(SKIP_1) | instid1(VALU_DEP_1)
	v_pk_fma_f32 v[80:81], v[58:59], v[46:47], v[62:63] op_sel:[0,0,1] op_sel_hi:[1,1,0] neg_lo:[0,0,1] neg_hi:[0,0,1]
	v_pk_fma_f32 v[58:59], v[58:59], v[46:47], v[62:63] op_sel:[0,0,1] op_sel_hi:[1,0,0]
	v_mov_b32_e32 v81, v59
	v_pk_mul_f32 v[58:59], v[60:61], v[56:57] op_sel:[0,1]
	s_delay_alu instid0(VALU_DEP_1) | instskip(SKIP_1) | instid1(VALU_DEP_1)
	v_pk_fma_f32 v[62:63], v[60:61], v[46:47], v[58:59] op_sel:[0,0,1] op_sel_hi:[1,1,0] neg_lo:[0,0,1] neg_hi:[0,0,1]
	v_pk_fma_f32 v[58:59], v[60:61], v[46:47], v[58:59] op_sel:[0,0,1] op_sel_hi:[1,0,0]
	v_mov_b32_e32 v63, v59
	ds_load_2addr_b64 v[58:61], v96 offset0:48 offset1:49
	v_pk_add_f32 v[194:195], v[194:195], v[80:81] neg_lo:[0,1] neg_hi:[0,1]
	v_pk_add_f32 v[190:191], v[190:191], v[62:63] neg_lo:[0,1] neg_hi:[0,1]
	s_wait_dscnt 0x0
	v_pk_mul_f32 v[62:63], v[58:59], v[56:57] op_sel:[0,1]
	v_pk_mul_f32 v[56:57], v[60:61], v[56:57] op_sel:[0,1]
	s_delay_alu instid0(VALU_DEP_2) | instskip(SKIP_1) | instid1(VALU_DEP_1)
	v_pk_fma_f32 v[80:81], v[58:59], v[46:47], v[62:63] op_sel:[0,0,1] op_sel_hi:[1,1,0] neg_lo:[0,0,1] neg_hi:[0,0,1]
	v_pk_fma_f32 v[58:59], v[58:59], v[46:47], v[62:63] op_sel:[0,0,1] op_sel_hi:[1,0,0]
	v_mov_b32_e32 v81, v59
	s_delay_alu instid0(VALU_DEP_4) | instskip(SKIP_1) | instid1(VALU_DEP_1)
	v_pk_fma_f32 v[58:59], v[60:61], v[46:47], v[56:57] op_sel:[0,0,1] op_sel_hi:[1,1,0] neg_lo:[0,0,1] neg_hi:[0,0,1]
	v_pk_fma_f32 v[46:47], v[60:61], v[46:47], v[56:57] op_sel:[0,0,1] op_sel_hi:[1,0,0]
	v_mov_b32_e32 v59, v47
	s_delay_alu instid0(VALU_DEP_4) | instskip(NEXT) | instid1(VALU_DEP_2)
	v_pk_add_f32 v[198:199], v[198:199], v[80:81] neg_lo:[0,1] neg_hi:[0,1]
	v_pk_add_f32 v[200:201], v[200:201], v[58:59] neg_lo:[0,1] neg_hi:[0,1]
.LBB99_379:
	s_or_b32 exec_lo, exec_lo, s1
	s_delay_alu instid0(SALU_CYCLE_1)
	s_mov_b32 s2, exec_lo
	s_wait_dscnt 0x0
	s_barrier_signal -1
	s_barrier_wait -1
	v_cmpx_eq_u32_e32 42, v86
	s_cbranch_execz .LBB99_386
; %bb.380:
	ds_store_b64 v87, v[178:179]
	ds_store_2addr_b64 v96, v[174:175], v[196:197] offset0:43 offset1:44
	ds_store_2addr_b64 v96, v[192:193], v[194:195] offset0:45 offset1:46
	ds_store_2addr_b64 v96, v[190:191], v[198:199] offset0:47 offset1:48
	ds_store_b64 v96, v[200:201] offset:392
	ds_load_b64 v[46:47], v87
	s_wait_dscnt 0x0
	v_cmp_neq_f32_e32 vcc_lo, 0, v46
	v_cmp_neq_f32_e64 s1, 0, v47
	s_or_b32 s1, vcc_lo, s1
	s_delay_alu instid0(SALU_CYCLE_1)
	s_and_b32 exec_lo, exec_lo, s1
	s_cbranch_execz .LBB99_386
; %bb.381:
	v_cmp_ngt_f32_e64 s1, |v46|, |v47|
                                        ; implicit-def: $vgpr56_vgpr57
	s_and_saveexec_b32 s4, s1
	s_delay_alu instid0(SALU_CYCLE_1)
	s_xor_b32 s1, exec_lo, s4
	s_cbranch_execz .LBB99_383
; %bb.382:
	v_div_scale_f32 v56, null, v47, v47, v46
	v_div_scale_f32 v59, vcc_lo, v46, v47, v46
	s_delay_alu instid0(VALU_DEP_2) | instskip(SKIP_1) | instid1(TRANS32_DEP_1)
	v_rcp_f32_e32 v57, v56
	v_nop
	v_fma_f32 v58, -v56, v57, 1.0
	s_delay_alu instid0(VALU_DEP_1) | instskip(NEXT) | instid1(VALU_DEP_1)
	v_fmac_f32_e32 v57, v58, v57
	v_mul_f32_e32 v58, v59, v57
	s_delay_alu instid0(VALU_DEP_1) | instskip(NEXT) | instid1(VALU_DEP_1)
	v_fma_f32 v60, -v56, v58, v59
	v_fmac_f32_e32 v58, v60, v57
	s_delay_alu instid0(VALU_DEP_1) | instskip(NEXT) | instid1(VALU_DEP_1)
	v_fma_f32 v56, -v56, v58, v59
	v_div_fmas_f32 v56, v56, v57, v58
	s_delay_alu instid0(VALU_DEP_1) | instskip(NEXT) | instid1(VALU_DEP_1)
	v_div_fixup_f32 v56, v56, v47, v46
	v_fmac_f32_e32 v47, v46, v56
	s_delay_alu instid0(VALU_DEP_1) | instskip(SKIP_1) | instid1(VALU_DEP_2)
	v_div_scale_f32 v46, null, v47, v47, 1.0
	v_div_scale_f32 v59, vcc_lo, 1.0, v47, 1.0
	v_rcp_f32_e32 v57, v46
	v_nop
	s_delay_alu instid0(TRANS32_DEP_1) | instskip(NEXT) | instid1(VALU_DEP_1)
	v_fma_f32 v58, -v46, v57, 1.0
	v_fmac_f32_e32 v57, v58, v57
	s_delay_alu instid0(VALU_DEP_1) | instskip(NEXT) | instid1(VALU_DEP_1)
	v_mul_f32_e32 v58, v59, v57
	v_fma_f32 v60, -v46, v58, v59
	s_delay_alu instid0(VALU_DEP_1) | instskip(NEXT) | instid1(VALU_DEP_1)
	v_fmac_f32_e32 v58, v60, v57
	v_fma_f32 v46, -v46, v58, v59
	s_delay_alu instid0(VALU_DEP_1) | instskip(NEXT) | instid1(VALU_DEP_1)
	v_div_fmas_f32 v46, v46, v57, v58
	v_div_fixup_f32 v46, v46, v47, 1.0
	s_delay_alu instid0(VALU_DEP_1)
	v_mul_f32_e32 v56, v56, v46
	v_xor_b32_e32 v57, 0x80000000, v46
                                        ; implicit-def: $vgpr46_vgpr47
.LBB99_383:
	s_and_not1_saveexec_b32 s1, s1
	s_cbranch_execz .LBB99_385
; %bb.384:
	v_div_scale_f32 v56, null, v46, v46, v47
	v_div_scale_f32 v59, vcc_lo, v47, v46, v47
	s_delay_alu instid0(VALU_DEP_2) | instskip(SKIP_1) | instid1(TRANS32_DEP_1)
	v_rcp_f32_e32 v57, v56
	v_nop
	v_fma_f32 v58, -v56, v57, 1.0
	s_delay_alu instid0(VALU_DEP_1) | instskip(NEXT) | instid1(VALU_DEP_1)
	v_fmac_f32_e32 v57, v58, v57
	v_mul_f32_e32 v58, v59, v57
	s_delay_alu instid0(VALU_DEP_1) | instskip(NEXT) | instid1(VALU_DEP_1)
	v_fma_f32 v60, -v56, v58, v59
	v_fmac_f32_e32 v58, v60, v57
	s_delay_alu instid0(VALU_DEP_1) | instskip(NEXT) | instid1(VALU_DEP_1)
	v_fma_f32 v56, -v56, v58, v59
	v_div_fmas_f32 v56, v56, v57, v58
	s_delay_alu instid0(VALU_DEP_1) | instskip(NEXT) | instid1(VALU_DEP_1)
	v_div_fixup_f32 v57, v56, v46, v47
	v_fmac_f32_e32 v46, v47, v57
	s_delay_alu instid0(VALU_DEP_1) | instskip(NEXT) | instid1(VALU_DEP_1)
	v_div_scale_f32 v47, null, v46, v46, 1.0
	v_rcp_f32_e32 v56, v47
	v_nop
	s_delay_alu instid0(TRANS32_DEP_1) | instskip(NEXT) | instid1(VALU_DEP_1)
	v_fma_f32 v58, -v47, v56, 1.0
	v_fmac_f32_e32 v56, v58, v56
	v_div_scale_f32 v58, vcc_lo, 1.0, v46, 1.0
	s_delay_alu instid0(VALU_DEP_1) | instskip(NEXT) | instid1(VALU_DEP_1)
	v_mul_f32_e32 v59, v58, v56
	v_fma_f32 v60, -v47, v59, v58
	s_delay_alu instid0(VALU_DEP_1) | instskip(NEXT) | instid1(VALU_DEP_1)
	v_fmac_f32_e32 v59, v60, v56
	v_fma_f32 v47, -v47, v59, v58
	s_delay_alu instid0(VALU_DEP_1) | instskip(NEXT) | instid1(VALU_DEP_1)
	v_div_fmas_f32 v47, v47, v56, v59
	v_div_fixup_f32 v56, v47, v46, 1.0
	s_delay_alu instid0(VALU_DEP_1)
	v_mul_f32_e64 v57, v57, -v56
.LBB99_385:
	s_or_b32 exec_lo, exec_lo, s1
	ds_store_b64 v87, v[56:57]
.LBB99_386:
	s_or_b32 exec_lo, exec_lo, s2
	s_wait_dscnt 0x0
	s_barrier_signal -1
	s_barrier_wait -1
	ds_load_b64 v[46:47], v87
	s_mov_b32 s1, exec_lo
	v_cmpx_lt_u32_e32 42, v86
	s_cbranch_execz .LBB99_388
; %bb.387:
	s_wait_dscnt 0x0
	v_pk_mul_f32 v[58:59], v[46:47], v[178:179] op_sel:[1,1] op_sel_hi:[0,1]
	s_delay_alu instid0(VALU_DEP_1)
	v_pk_fma_f32 v[56:57], v[46:47], v[178:179], v[58:59] op_sel_hi:[1,0,1] neg_lo:[0,0,1] neg_hi:[0,0,1]
	v_pk_fma_f32 v[62:63], v[46:47], v[178:179], v[58:59] op_sel_hi:[1,0,1]
	ds_load_2addr_b64 v[58:61], v96 offset0:43 offset1:44
	v_dual_mov_b32 v178, v56 :: v_dual_mov_b32 v179, v63
	s_wait_dscnt 0x0
	v_pk_mul_f32 v[80:81], v[58:59], v[62:63] op_sel:[0,1]
	s_delay_alu instid0(VALU_DEP_1) | instskip(SKIP_1) | instid1(VALU_DEP_1)
	v_pk_fma_f32 v[82:83], v[58:59], v[56:57], v[80:81] op_sel:[0,0,1] op_sel_hi:[1,1,0] neg_lo:[0,0,1] neg_hi:[0,0,1]
	v_pk_fma_f32 v[58:59], v[58:59], v[56:57], v[80:81] op_sel:[0,0,1] op_sel_hi:[1,0,0]
	v_mov_b32_e32 v83, v59
	v_pk_mul_f32 v[58:59], v[60:61], v[62:63] op_sel:[0,1]
	s_delay_alu instid0(VALU_DEP_1) | instskip(SKIP_1) | instid1(VALU_DEP_1)
	v_pk_fma_f32 v[80:81], v[60:61], v[56:57], v[58:59] op_sel:[0,0,1] op_sel_hi:[1,1,0] neg_lo:[0,0,1] neg_hi:[0,0,1]
	v_pk_fma_f32 v[58:59], v[60:61], v[56:57], v[58:59] op_sel:[0,0,1] op_sel_hi:[1,0,0]
	v_mov_b32_e32 v81, v59
	ds_load_2addr_b64 v[58:61], v96 offset0:45 offset1:46
	v_pk_add_f32 v[174:175], v[174:175], v[82:83] neg_lo:[0,1] neg_hi:[0,1]
	v_pk_add_f32 v[196:197], v[196:197], v[80:81] neg_lo:[0,1] neg_hi:[0,1]
	s_wait_dscnt 0x0
	v_pk_mul_f32 v[80:81], v[58:59], v[62:63] op_sel:[0,1]
	s_delay_alu instid0(VALU_DEP_1) | instskip(SKIP_2) | instid1(VALU_DEP_2)
	v_pk_fma_f32 v[82:83], v[58:59], v[56:57], v[80:81] op_sel:[0,0,1] op_sel_hi:[1,1,0] neg_lo:[0,0,1] neg_hi:[0,0,1]
	v_pk_fma_f32 v[58:59], v[58:59], v[56:57], v[80:81] op_sel:[0,0,1] op_sel_hi:[1,0,0]
	v_dual_mul_f32 v80, v61, v63 :: v_dual_mov_b32 v58, v61
	v_dual_mov_b32 v83, v59 :: v_dual_mov_b32 v59, v60
	s_delay_alu instid0(VALU_DEP_2) | instskip(SKIP_1) | instid1(VALU_DEP_3)
	v_pk_fma_f32 v[80:81], v[60:61], v[178:179], v[80:81] op_sel_hi:[1,1,0] neg_lo:[0,0,1] neg_hi:[0,0,1]
	v_mul_f32_e32 v60, v61, v56
	v_pk_add_f32 v[192:193], v[192:193], v[82:83] neg_lo:[0,1] neg_hi:[0,1]
	s_delay_alu instid0(VALU_DEP_2) | instskip(NEXT) | instid1(VALU_DEP_1)
	v_pk_fma_f32 v[58:59], v[58:59], v[178:179], v[60:61] op_sel_hi:[1,1,0]
	v_mov_b32_e32 v81, v59
	ds_load_2addr_b64 v[58:61], v96 offset0:47 offset1:48
	v_pk_add_f32 v[194:195], v[194:195], v[80:81] neg_lo:[0,1] neg_hi:[0,1]
	s_wait_dscnt 0x0
	v_pk_mul_f32 v[80:81], v[58:59], v[62:63] op_sel:[0,1]
	s_delay_alu instid0(VALU_DEP_1) | instskip(SKIP_1) | instid1(VALU_DEP_1)
	v_pk_fma_f32 v[82:83], v[58:59], v[56:57], v[80:81] op_sel:[0,0,1] op_sel_hi:[1,1,0] neg_lo:[0,0,1] neg_hi:[0,0,1]
	v_pk_fma_f32 v[58:59], v[58:59], v[56:57], v[80:81] op_sel:[0,0,1] op_sel_hi:[1,0,0]
	v_mov_b32_e32 v83, v59
	v_pk_mul_f32 v[58:59], v[60:61], v[62:63] op_sel:[0,1]
	s_delay_alu instid0(VALU_DEP_1) | instskip(SKIP_1) | instid1(VALU_DEP_1)
	v_pk_fma_f32 v[80:81], v[60:61], v[56:57], v[58:59] op_sel:[0,0,1] op_sel_hi:[1,1,0] neg_lo:[0,0,1] neg_hi:[0,0,1]
	v_pk_fma_f32 v[58:59], v[60:61], v[56:57], v[58:59] op_sel:[0,0,1] op_sel_hi:[1,0,0]
	v_mov_b32_e32 v81, v59
	ds_load_b64 v[58:59], v96 offset:392
	v_pk_add_f32 v[190:191], v[190:191], v[82:83] neg_lo:[0,1] neg_hi:[0,1]
	v_pk_add_f32 v[198:199], v[198:199], v[80:81] neg_lo:[0,1] neg_hi:[0,1]
	s_wait_dscnt 0x0
	v_pk_mul_f32 v[60:61], v[58:59], v[62:63] op_sel:[0,1]
	s_delay_alu instid0(VALU_DEP_1) | instskip(SKIP_1) | instid1(VALU_DEP_1)
	v_pk_fma_f32 v[62:63], v[58:59], v[56:57], v[60:61] op_sel:[0,0,1] op_sel_hi:[1,1,0] neg_lo:[0,0,1] neg_hi:[0,0,1]
	v_pk_fma_f32 v[56:57], v[58:59], v[56:57], v[60:61] op_sel:[0,0,1] op_sel_hi:[1,0,0]
	v_mov_b32_e32 v63, v57
	s_delay_alu instid0(VALU_DEP_1)
	v_pk_add_f32 v[200:201], v[200:201], v[62:63] neg_lo:[0,1] neg_hi:[0,1]
.LBB99_388:
	s_or_b32 exec_lo, exec_lo, s1
	s_delay_alu instid0(SALU_CYCLE_1)
	s_mov_b32 s2, exec_lo
	s_wait_dscnt 0x0
	s_barrier_signal -1
	s_barrier_wait -1
	v_cmpx_eq_u32_e32 43, v86
	s_cbranch_execz .LBB99_395
; %bb.389:
	v_dual_mov_b32 v56, v196 :: v_dual_mov_b32 v57, v197
	v_dual_mov_b32 v58, v192 :: v_dual_mov_b32 v59, v193
	ds_store_b64 v87, v[174:175]
	ds_store_2addr_b64 v96, v[56:57], v[58:59] offset0:44 offset1:45
	v_dual_mov_b32 v56, v194 :: v_dual_mov_b32 v57, v195
	v_dual_mov_b32 v58, v190 :: v_dual_mov_b32 v59, v191
	ds_store_2addr_b64 v96, v[56:57], v[58:59] offset0:46 offset1:47
	v_dual_mov_b32 v56, v198 :: v_dual_mov_b32 v57, v199
	ds_store_2addr_b64 v96, v[56:57], v[200:201] offset0:48 offset1:49
	ds_load_b64 v[56:57], v87
	s_wait_dscnt 0x0
	v_cmp_neq_f32_e32 vcc_lo, 0, v56
	v_cmp_neq_f32_e64 s1, 0, v57
	s_or_b32 s1, vcc_lo, s1
	s_delay_alu instid0(SALU_CYCLE_1)
	s_and_b32 exec_lo, exec_lo, s1
	s_cbranch_execz .LBB99_395
; %bb.390:
	v_cmp_ngt_f32_e64 s1, |v56|, |v57|
                                        ; implicit-def: $vgpr58_vgpr59
	s_and_saveexec_b32 s4, s1
	s_delay_alu instid0(SALU_CYCLE_1)
	s_xor_b32 s1, exec_lo, s4
	s_cbranch_execz .LBB99_392
; %bb.391:
	v_div_scale_f32 v58, null, v57, v57, v56
	v_div_scale_f32 v61, vcc_lo, v56, v57, v56
	s_delay_alu instid0(VALU_DEP_2) | instskip(SKIP_1) | instid1(TRANS32_DEP_1)
	v_rcp_f32_e32 v59, v58
	v_nop
	v_fma_f32 v60, -v58, v59, 1.0
	s_delay_alu instid0(VALU_DEP_1) | instskip(NEXT) | instid1(VALU_DEP_1)
	v_fmac_f32_e32 v59, v60, v59
	v_mul_f32_e32 v60, v61, v59
	s_delay_alu instid0(VALU_DEP_1) | instskip(NEXT) | instid1(VALU_DEP_1)
	v_fma_f32 v62, -v58, v60, v61
	v_fmac_f32_e32 v60, v62, v59
	s_delay_alu instid0(VALU_DEP_1) | instskip(NEXT) | instid1(VALU_DEP_1)
	v_fma_f32 v58, -v58, v60, v61
	v_div_fmas_f32 v58, v58, v59, v60
	s_delay_alu instid0(VALU_DEP_1) | instskip(NEXT) | instid1(VALU_DEP_1)
	v_div_fixup_f32 v58, v58, v57, v56
	v_fmac_f32_e32 v57, v56, v58
	s_delay_alu instid0(VALU_DEP_1) | instskip(SKIP_1) | instid1(VALU_DEP_2)
	v_div_scale_f32 v56, null, v57, v57, 1.0
	v_div_scale_f32 v61, vcc_lo, 1.0, v57, 1.0
	v_rcp_f32_e32 v59, v56
	v_nop
	s_delay_alu instid0(TRANS32_DEP_1) | instskip(NEXT) | instid1(VALU_DEP_1)
	v_fma_f32 v60, -v56, v59, 1.0
	v_fmac_f32_e32 v59, v60, v59
	s_delay_alu instid0(VALU_DEP_1) | instskip(NEXT) | instid1(VALU_DEP_1)
	v_mul_f32_e32 v60, v61, v59
	v_fma_f32 v62, -v56, v60, v61
	s_delay_alu instid0(VALU_DEP_1) | instskip(NEXT) | instid1(VALU_DEP_1)
	v_fmac_f32_e32 v60, v62, v59
	v_fma_f32 v56, -v56, v60, v61
	s_delay_alu instid0(VALU_DEP_1) | instskip(NEXT) | instid1(VALU_DEP_1)
	v_div_fmas_f32 v56, v56, v59, v60
	v_div_fixup_f32 v56, v56, v57, 1.0
	s_delay_alu instid0(VALU_DEP_1)
	v_mul_f32_e32 v58, v58, v56
	v_xor_b32_e32 v59, 0x80000000, v56
                                        ; implicit-def: $vgpr56_vgpr57
.LBB99_392:
	s_and_not1_saveexec_b32 s1, s1
	s_cbranch_execz .LBB99_394
; %bb.393:
	v_div_scale_f32 v58, null, v56, v56, v57
	v_div_scale_f32 v61, vcc_lo, v57, v56, v57
	s_delay_alu instid0(VALU_DEP_2) | instskip(SKIP_1) | instid1(TRANS32_DEP_1)
	v_rcp_f32_e32 v59, v58
	v_nop
	v_fma_f32 v60, -v58, v59, 1.0
	s_delay_alu instid0(VALU_DEP_1) | instskip(NEXT) | instid1(VALU_DEP_1)
	v_fmac_f32_e32 v59, v60, v59
	v_mul_f32_e32 v60, v61, v59
	s_delay_alu instid0(VALU_DEP_1) | instskip(NEXT) | instid1(VALU_DEP_1)
	v_fma_f32 v62, -v58, v60, v61
	v_fmac_f32_e32 v60, v62, v59
	s_delay_alu instid0(VALU_DEP_1) | instskip(NEXT) | instid1(VALU_DEP_1)
	v_fma_f32 v58, -v58, v60, v61
	v_div_fmas_f32 v58, v58, v59, v60
	s_delay_alu instid0(VALU_DEP_1) | instskip(NEXT) | instid1(VALU_DEP_1)
	v_div_fixup_f32 v59, v58, v56, v57
	v_fmac_f32_e32 v56, v57, v59
	s_delay_alu instid0(VALU_DEP_1) | instskip(NEXT) | instid1(VALU_DEP_1)
	v_div_scale_f32 v57, null, v56, v56, 1.0
	v_rcp_f32_e32 v58, v57
	v_nop
	s_delay_alu instid0(TRANS32_DEP_1) | instskip(NEXT) | instid1(VALU_DEP_1)
	v_fma_f32 v60, -v57, v58, 1.0
	v_fmac_f32_e32 v58, v60, v58
	v_div_scale_f32 v60, vcc_lo, 1.0, v56, 1.0
	s_delay_alu instid0(VALU_DEP_1) | instskip(NEXT) | instid1(VALU_DEP_1)
	v_mul_f32_e32 v61, v60, v58
	v_fma_f32 v62, -v57, v61, v60
	s_delay_alu instid0(VALU_DEP_1) | instskip(NEXT) | instid1(VALU_DEP_1)
	v_fmac_f32_e32 v61, v62, v58
	v_fma_f32 v57, -v57, v61, v60
	s_delay_alu instid0(VALU_DEP_1) | instskip(NEXT) | instid1(VALU_DEP_1)
	v_div_fmas_f32 v57, v57, v58, v61
	v_div_fixup_f32 v58, v57, v56, 1.0
	s_delay_alu instid0(VALU_DEP_1)
	v_mul_f32_e64 v59, v59, -v58
.LBB99_394:
	s_or_b32 exec_lo, exec_lo, s1
	ds_store_b64 v87, v[58:59]
.LBB99_395:
	s_or_b32 exec_lo, exec_lo, s2
	s_wait_dscnt 0x0
	s_barrier_signal -1
	s_barrier_wait -1
	ds_load_b64 v[56:57], v87
	s_mov_b32 s1, exec_lo
	v_cmpx_lt_u32_e32 43, v86
	s_cbranch_execz .LBB99_397
; %bb.396:
	s_wait_dscnt 0x0
	v_pk_mul_f32 v[58:59], v[56:57], v[174:175] op_sel:[1,1] op_sel_hi:[0,1]
	s_delay_alu instid0(VALU_DEP_1)
	v_pk_fma_f32 v[62:63], v[56:57], v[174:175], v[58:59] op_sel_hi:[1,0,1] neg_lo:[0,0,1] neg_hi:[0,0,1]
	v_pk_fma_f32 v[80:81], v[56:57], v[174:175], v[58:59] op_sel_hi:[1,0,1]
	ds_load_2addr_b64 v[58:61], v96 offset0:44 offset1:45
	v_dual_mov_b32 v174, v62 :: v_dual_mov_b32 v175, v81
	s_wait_dscnt 0x0
	v_pk_mul_f32 v[82:83], v[58:59], v[80:81] op_sel:[0,1]
	s_delay_alu instid0(VALU_DEP_1) | instskip(SKIP_1) | instid1(VALU_DEP_1)
	v_pk_fma_f32 v[84:85], v[58:59], v[62:63], v[82:83] op_sel:[0,0,1] op_sel_hi:[1,1,0] neg_lo:[0,0,1] neg_hi:[0,0,1]
	v_pk_fma_f32 v[58:59], v[58:59], v[62:63], v[82:83] op_sel:[0,0,1] op_sel_hi:[1,0,0]
	v_mov_b32_e32 v85, v59
	v_pk_mul_f32 v[58:59], v[60:61], v[80:81] op_sel:[0,1]
	s_delay_alu instid0(VALU_DEP_1) | instskip(SKIP_1) | instid1(VALU_DEP_1)
	v_pk_fma_f32 v[82:83], v[60:61], v[62:63], v[58:59] op_sel:[0,0,1] op_sel_hi:[1,1,0] neg_lo:[0,0,1] neg_hi:[0,0,1]
	v_pk_fma_f32 v[58:59], v[60:61], v[62:63], v[58:59] op_sel:[0,0,1] op_sel_hi:[1,0,0]
	v_mov_b32_e32 v83, v59
	ds_load_2addr_b64 v[58:61], v96 offset0:46 offset1:47
	v_pk_add_f32 v[196:197], v[196:197], v[84:85] neg_lo:[0,1] neg_hi:[0,1]
	v_pk_add_f32 v[192:193], v[192:193], v[82:83] neg_lo:[0,1] neg_hi:[0,1]
	s_wait_dscnt 0x0
	v_pk_mul_f32 v[82:83], v[58:59], v[80:81] op_sel:[0,1]
	s_delay_alu instid0(VALU_DEP_1) | instskip(SKIP_2) | instid1(VALU_DEP_2)
	v_pk_fma_f32 v[84:85], v[58:59], v[62:63], v[82:83] op_sel:[0,0,1] op_sel_hi:[1,1,0] neg_lo:[0,0,1] neg_hi:[0,0,1]
	v_pk_fma_f32 v[58:59], v[58:59], v[62:63], v[82:83] op_sel:[0,0,1] op_sel_hi:[1,0,0]
	v_dual_mul_f32 v82, v61, v81 :: v_dual_mov_b32 v58, v61
	v_dual_mov_b32 v85, v59 :: v_dual_mov_b32 v59, v60
	s_delay_alu instid0(VALU_DEP_2) | instskip(SKIP_1) | instid1(VALU_DEP_3)
	v_pk_fma_f32 v[82:83], v[60:61], v[174:175], v[82:83] op_sel_hi:[1,1,0] neg_lo:[0,0,1] neg_hi:[0,0,1]
	v_mul_f32_e32 v60, v61, v62
	v_pk_add_f32 v[194:195], v[194:195], v[84:85] neg_lo:[0,1] neg_hi:[0,1]
	s_delay_alu instid0(VALU_DEP_2) | instskip(NEXT) | instid1(VALU_DEP_1)
	v_pk_fma_f32 v[58:59], v[58:59], v[174:175], v[60:61] op_sel_hi:[1,1,0]
	v_mov_b32_e32 v83, v59
	ds_load_2addr_b64 v[58:61], v96 offset0:48 offset1:49
	v_pk_add_f32 v[190:191], v[190:191], v[82:83] neg_lo:[0,1] neg_hi:[0,1]
	s_wait_dscnt 0x0
	v_pk_mul_f32 v[82:83], v[58:59], v[80:81] op_sel:[0,1]
	v_mul_f32_e32 v80, v61, v81
	s_delay_alu instid0(VALU_DEP_2) | instskip(SKIP_2) | instid1(VALU_DEP_4)
	v_pk_fma_f32 v[84:85], v[58:59], v[62:63], v[82:83] op_sel:[0,0,1] op_sel_hi:[1,1,0] neg_lo:[0,0,1] neg_hi:[0,0,1]
	v_pk_fma_f32 v[58:59], v[58:59], v[62:63], v[82:83] op_sel:[0,0,1] op_sel_hi:[1,0,0]
	v_mov_b32_e32 v58, v61
	v_pk_fma_f32 v[80:81], v[60:61], v[174:175], v[80:81] op_sel_hi:[1,1,0] neg_lo:[0,0,1] neg_hi:[0,0,1]
	s_delay_alu instid0(VALU_DEP_3) | instskip(SKIP_1) | instid1(VALU_DEP_2)
	v_dual_mov_b32 v85, v59 :: v_dual_mov_b32 v59, v60
	v_mul_f32_e32 v60, v61, v62
	v_pk_add_f32 v[198:199], v[198:199], v[84:85] neg_lo:[0,1] neg_hi:[0,1]
	s_delay_alu instid0(VALU_DEP_2) | instskip(NEXT) | instid1(VALU_DEP_1)
	v_pk_fma_f32 v[58:59], v[58:59], v[174:175], v[60:61] op_sel_hi:[1,1,0]
	v_mov_b32_e32 v81, v59
	s_delay_alu instid0(VALU_DEP_1)
	v_pk_add_f32 v[200:201], v[200:201], v[80:81] neg_lo:[0,1] neg_hi:[0,1]
.LBB99_397:
	s_or_b32 exec_lo, exec_lo, s1
	s_delay_alu instid0(SALU_CYCLE_1)
	s_mov_b32 s2, exec_lo
	s_wait_dscnt 0x0
	s_barrier_signal -1
	s_barrier_wait -1
	v_cmpx_eq_u32_e32 44, v86
	s_cbranch_execz .LBB99_404
; %bb.398:
	ds_store_b64 v87, v[196:197]
	ds_store_2addr_b64 v96, v[192:193], v[194:195] offset0:45 offset1:46
	ds_store_2addr_b64 v96, v[190:191], v[198:199] offset0:47 offset1:48
	ds_store_b64 v96, v[200:201] offset:392
	ds_load_b64 v[58:59], v87
	s_wait_dscnt 0x0
	v_cmp_neq_f32_e32 vcc_lo, 0, v58
	v_cmp_neq_f32_e64 s1, 0, v59
	s_or_b32 s1, vcc_lo, s1
	s_delay_alu instid0(SALU_CYCLE_1)
	s_and_b32 exec_lo, exec_lo, s1
	s_cbranch_execz .LBB99_404
; %bb.399:
	v_cmp_ngt_f32_e64 s1, |v58|, |v59|
                                        ; implicit-def: $vgpr60_vgpr61
	s_and_saveexec_b32 s4, s1
	s_delay_alu instid0(SALU_CYCLE_1)
	s_xor_b32 s1, exec_lo, s4
	s_cbranch_execz .LBB99_401
; %bb.400:
	v_div_scale_f32 v60, null, v59, v59, v58
	v_div_scale_f32 v63, vcc_lo, v58, v59, v58
	s_delay_alu instid0(VALU_DEP_2) | instskip(SKIP_1) | instid1(TRANS32_DEP_1)
	v_rcp_f32_e32 v61, v60
	v_nop
	v_fma_f32 v62, -v60, v61, 1.0
	s_delay_alu instid0(VALU_DEP_1) | instskip(NEXT) | instid1(VALU_DEP_1)
	v_fmac_f32_e32 v61, v62, v61
	v_mul_f32_e32 v62, v63, v61
	s_delay_alu instid0(VALU_DEP_1) | instskip(NEXT) | instid1(VALU_DEP_1)
	v_fma_f32 v80, -v60, v62, v63
	v_fmac_f32_e32 v62, v80, v61
	s_delay_alu instid0(VALU_DEP_1) | instskip(NEXT) | instid1(VALU_DEP_1)
	v_fma_f32 v60, -v60, v62, v63
	v_div_fmas_f32 v60, v60, v61, v62
	s_delay_alu instid0(VALU_DEP_1) | instskip(NEXT) | instid1(VALU_DEP_1)
	v_div_fixup_f32 v60, v60, v59, v58
	v_fmac_f32_e32 v59, v58, v60
	s_delay_alu instid0(VALU_DEP_1) | instskip(SKIP_1) | instid1(VALU_DEP_2)
	v_div_scale_f32 v58, null, v59, v59, 1.0
	v_div_scale_f32 v63, vcc_lo, 1.0, v59, 1.0
	v_rcp_f32_e32 v61, v58
	v_nop
	s_delay_alu instid0(TRANS32_DEP_1) | instskip(NEXT) | instid1(VALU_DEP_1)
	v_fma_f32 v62, -v58, v61, 1.0
	v_fmac_f32_e32 v61, v62, v61
	s_delay_alu instid0(VALU_DEP_1) | instskip(NEXT) | instid1(VALU_DEP_1)
	v_mul_f32_e32 v62, v63, v61
	v_fma_f32 v80, -v58, v62, v63
	s_delay_alu instid0(VALU_DEP_1) | instskip(NEXT) | instid1(VALU_DEP_1)
	v_fmac_f32_e32 v62, v80, v61
	v_fma_f32 v58, -v58, v62, v63
	s_delay_alu instid0(VALU_DEP_1) | instskip(NEXT) | instid1(VALU_DEP_1)
	v_div_fmas_f32 v58, v58, v61, v62
	v_div_fixup_f32 v58, v58, v59, 1.0
	s_delay_alu instid0(VALU_DEP_1)
	v_mul_f32_e32 v60, v60, v58
	v_xor_b32_e32 v61, 0x80000000, v58
                                        ; implicit-def: $vgpr58_vgpr59
.LBB99_401:
	s_and_not1_saveexec_b32 s1, s1
	s_cbranch_execz .LBB99_403
; %bb.402:
	v_div_scale_f32 v60, null, v58, v58, v59
	v_div_scale_f32 v63, vcc_lo, v59, v58, v59
	s_delay_alu instid0(VALU_DEP_2) | instskip(SKIP_1) | instid1(TRANS32_DEP_1)
	v_rcp_f32_e32 v61, v60
	v_nop
	v_fma_f32 v62, -v60, v61, 1.0
	s_delay_alu instid0(VALU_DEP_1) | instskip(NEXT) | instid1(VALU_DEP_1)
	v_fmac_f32_e32 v61, v62, v61
	v_mul_f32_e32 v62, v63, v61
	s_delay_alu instid0(VALU_DEP_1) | instskip(NEXT) | instid1(VALU_DEP_1)
	v_fma_f32 v80, -v60, v62, v63
	v_fmac_f32_e32 v62, v80, v61
	s_delay_alu instid0(VALU_DEP_1) | instskip(NEXT) | instid1(VALU_DEP_1)
	v_fma_f32 v60, -v60, v62, v63
	v_div_fmas_f32 v60, v60, v61, v62
	s_delay_alu instid0(VALU_DEP_1) | instskip(NEXT) | instid1(VALU_DEP_1)
	v_div_fixup_f32 v61, v60, v58, v59
	v_fmac_f32_e32 v58, v59, v61
	s_delay_alu instid0(VALU_DEP_1) | instskip(NEXT) | instid1(VALU_DEP_1)
	v_div_scale_f32 v59, null, v58, v58, 1.0
	v_rcp_f32_e32 v60, v59
	v_nop
	s_delay_alu instid0(TRANS32_DEP_1) | instskip(NEXT) | instid1(VALU_DEP_1)
	v_fma_f32 v62, -v59, v60, 1.0
	v_fmac_f32_e32 v60, v62, v60
	v_div_scale_f32 v62, vcc_lo, 1.0, v58, 1.0
	s_delay_alu instid0(VALU_DEP_1) | instskip(NEXT) | instid1(VALU_DEP_1)
	v_mul_f32_e32 v63, v62, v60
	v_fma_f32 v80, -v59, v63, v62
	s_delay_alu instid0(VALU_DEP_1) | instskip(NEXT) | instid1(VALU_DEP_1)
	v_fmac_f32_e32 v63, v80, v60
	v_fma_f32 v59, -v59, v63, v62
	s_delay_alu instid0(VALU_DEP_1) | instskip(NEXT) | instid1(VALU_DEP_1)
	v_div_fmas_f32 v59, v59, v60, v63
	v_div_fixup_f32 v60, v59, v58, 1.0
	s_delay_alu instid0(VALU_DEP_1)
	v_mul_f32_e64 v61, v61, -v60
.LBB99_403:
	s_or_b32 exec_lo, exec_lo, s1
	ds_store_b64 v87, v[60:61]
.LBB99_404:
	s_or_b32 exec_lo, exec_lo, s2
	s_wait_dscnt 0x0
	s_barrier_signal -1
	s_barrier_wait -1
	ds_load_b64 v[58:59], v87
	s_mov_b32 s1, exec_lo
	v_cmpx_lt_u32_e32 44, v86
	s_cbranch_execz .LBB99_406
; %bb.405:
	s_wait_dscnt 0x0
	v_pk_mul_f32 v[60:61], v[58:59], v[196:197] op_sel:[1,1] op_sel_hi:[0,1]
	s_delay_alu instid0(VALU_DEP_1)
	v_pk_fma_f32 v[80:81], v[58:59], v[196:197], v[60:61] op_sel_hi:[1,0,1] neg_lo:[0,0,1] neg_hi:[0,0,1]
	v_pk_fma_f32 v[82:83], v[58:59], v[196:197], v[60:61] op_sel_hi:[1,0,1]
	ds_load_2addr_b64 v[60:63], v96 offset0:45 offset1:46
	v_dual_mov_b32 v196, v80 :: v_dual_mov_b32 v197, v83
	s_wait_dscnt 0x0
	v_pk_mul_f32 v[84:85], v[60:61], v[82:83] op_sel:[0,1]
	s_delay_alu instid0(VALU_DEP_1) | instskip(SKIP_1) | instid1(VALU_DEP_1)
	v_pk_fma_f32 v[100:101], v[60:61], v[80:81], v[84:85] op_sel:[0,0,1] op_sel_hi:[1,1,0] neg_lo:[0,0,1] neg_hi:[0,0,1]
	v_pk_fma_f32 v[60:61], v[60:61], v[80:81], v[84:85] op_sel:[0,0,1] op_sel_hi:[1,0,0]
	v_mov_b32_e32 v101, v61
	v_pk_mul_f32 v[60:61], v[62:63], v[82:83] op_sel:[0,1]
	s_delay_alu instid0(VALU_DEP_1) | instskip(SKIP_1) | instid1(VALU_DEP_1)
	v_pk_fma_f32 v[84:85], v[62:63], v[80:81], v[60:61] op_sel:[0,0,1] op_sel_hi:[1,1,0] neg_lo:[0,0,1] neg_hi:[0,0,1]
	v_pk_fma_f32 v[60:61], v[62:63], v[80:81], v[60:61] op_sel:[0,0,1] op_sel_hi:[1,0,0]
	v_mov_b32_e32 v85, v61
	ds_load_2addr_b64 v[60:63], v96 offset0:47 offset1:48
	v_pk_add_f32 v[192:193], v[192:193], v[100:101] neg_lo:[0,1] neg_hi:[0,1]
	v_pk_add_f32 v[194:195], v[194:195], v[84:85] neg_lo:[0,1] neg_hi:[0,1]
	s_wait_dscnt 0x0
	v_pk_mul_f32 v[84:85], v[60:61], v[82:83] op_sel:[0,1]
	s_delay_alu instid0(VALU_DEP_1) | instskip(SKIP_2) | instid1(VALU_DEP_2)
	v_pk_fma_f32 v[100:101], v[60:61], v[80:81], v[84:85] op_sel:[0,0,1] op_sel_hi:[1,1,0] neg_lo:[0,0,1] neg_hi:[0,0,1]
	v_pk_fma_f32 v[60:61], v[60:61], v[80:81], v[84:85] op_sel:[0,0,1] op_sel_hi:[1,0,0]
	v_dual_mul_f32 v84, v63, v83 :: v_dual_mov_b32 v60, v63
	v_dual_mov_b32 v101, v61 :: v_dual_mov_b32 v61, v62
	s_delay_alu instid0(VALU_DEP_2) | instskip(SKIP_1) | instid1(VALU_DEP_3)
	v_pk_fma_f32 v[84:85], v[62:63], v[196:197], v[84:85] op_sel_hi:[1,1,0] neg_lo:[0,0,1] neg_hi:[0,0,1]
	v_mul_f32_e32 v62, v63, v80
	v_pk_add_f32 v[190:191], v[190:191], v[100:101] neg_lo:[0,1] neg_hi:[0,1]
	s_delay_alu instid0(VALU_DEP_2) | instskip(NEXT) | instid1(VALU_DEP_1)
	v_pk_fma_f32 v[60:61], v[60:61], v[196:197], v[62:63] op_sel_hi:[1,1,0]
	v_mov_b32_e32 v85, v61
	ds_load_b64 v[60:61], v96 offset:392
	v_pk_add_f32 v[198:199], v[198:199], v[84:85] neg_lo:[0,1] neg_hi:[0,1]
	s_wait_dscnt 0x0
	v_pk_mul_f32 v[62:63], v[60:61], v[82:83] op_sel:[0,1]
	s_delay_alu instid0(VALU_DEP_1) | instskip(SKIP_1) | instid1(VALU_DEP_1)
	v_pk_fma_f32 v[82:83], v[60:61], v[80:81], v[62:63] op_sel:[0,0,1] op_sel_hi:[1,1,0] neg_lo:[0,0,1] neg_hi:[0,0,1]
	v_pk_fma_f32 v[60:61], v[60:61], v[80:81], v[62:63] op_sel:[0,0,1] op_sel_hi:[1,0,0]
	v_mov_b32_e32 v83, v61
	s_delay_alu instid0(VALU_DEP_1)
	v_pk_add_f32 v[200:201], v[200:201], v[82:83] neg_lo:[0,1] neg_hi:[0,1]
.LBB99_406:
	s_or_b32 exec_lo, exec_lo, s1
	s_delay_alu instid0(SALU_CYCLE_1)
	s_mov_b32 s2, exec_lo
	s_wait_dscnt 0x0
	s_barrier_signal -1
	s_barrier_wait -1
	v_cmpx_eq_u32_e32 45, v86
	s_cbranch_execz .LBB99_413
; %bb.407:
	v_dual_mov_b32 v60, v194 :: v_dual_mov_b32 v61, v195
	v_dual_mov_b32 v62, v190 :: v_dual_mov_b32 v63, v191
	ds_store_b64 v87, v[192:193]
	ds_store_2addr_b64 v96, v[60:61], v[62:63] offset0:46 offset1:47
	v_dual_mov_b32 v60, v198 :: v_dual_mov_b32 v61, v199
	ds_store_2addr_b64 v96, v[60:61], v[200:201] offset0:48 offset1:49
	ds_load_b64 v[60:61], v87
	s_wait_dscnt 0x0
	v_cmp_neq_f32_e32 vcc_lo, 0, v60
	v_cmp_neq_f32_e64 s1, 0, v61
	s_or_b32 s1, vcc_lo, s1
	s_delay_alu instid0(SALU_CYCLE_1)
	s_and_b32 exec_lo, exec_lo, s1
	s_cbranch_execz .LBB99_413
; %bb.408:
	v_cmp_ngt_f32_e64 s1, |v60|, |v61|
                                        ; implicit-def: $vgpr62_vgpr63
	s_and_saveexec_b32 s4, s1
	s_delay_alu instid0(SALU_CYCLE_1)
	s_xor_b32 s1, exec_lo, s4
	s_cbranch_execz .LBB99_410
; %bb.409:
	v_div_scale_f32 v62, null, v61, v61, v60
	v_div_scale_f32 v81, vcc_lo, v60, v61, v60
	s_delay_alu instid0(VALU_DEP_2) | instskip(SKIP_1) | instid1(TRANS32_DEP_1)
	v_rcp_f32_e32 v63, v62
	v_nop
	v_fma_f32 v80, -v62, v63, 1.0
	s_delay_alu instid0(VALU_DEP_1) | instskip(NEXT) | instid1(VALU_DEP_1)
	v_fmac_f32_e32 v63, v80, v63
	v_mul_f32_e32 v80, v81, v63
	s_delay_alu instid0(VALU_DEP_1) | instskip(NEXT) | instid1(VALU_DEP_1)
	v_fma_f32 v82, -v62, v80, v81
	v_fmac_f32_e32 v80, v82, v63
	s_delay_alu instid0(VALU_DEP_1) | instskip(NEXT) | instid1(VALU_DEP_1)
	v_fma_f32 v62, -v62, v80, v81
	v_div_fmas_f32 v62, v62, v63, v80
	s_delay_alu instid0(VALU_DEP_1) | instskip(NEXT) | instid1(VALU_DEP_1)
	v_div_fixup_f32 v62, v62, v61, v60
	v_fmac_f32_e32 v61, v60, v62
	s_delay_alu instid0(VALU_DEP_1) | instskip(SKIP_1) | instid1(VALU_DEP_2)
	v_div_scale_f32 v60, null, v61, v61, 1.0
	v_div_scale_f32 v81, vcc_lo, 1.0, v61, 1.0
	v_rcp_f32_e32 v63, v60
	v_nop
	s_delay_alu instid0(TRANS32_DEP_1) | instskip(NEXT) | instid1(VALU_DEP_1)
	v_fma_f32 v80, -v60, v63, 1.0
	v_fmac_f32_e32 v63, v80, v63
	s_delay_alu instid0(VALU_DEP_1) | instskip(NEXT) | instid1(VALU_DEP_1)
	v_mul_f32_e32 v80, v81, v63
	v_fma_f32 v82, -v60, v80, v81
	s_delay_alu instid0(VALU_DEP_1) | instskip(NEXT) | instid1(VALU_DEP_1)
	v_fmac_f32_e32 v80, v82, v63
	v_fma_f32 v60, -v60, v80, v81
	s_delay_alu instid0(VALU_DEP_1) | instskip(NEXT) | instid1(VALU_DEP_1)
	v_div_fmas_f32 v60, v60, v63, v80
	v_div_fixup_f32 v60, v60, v61, 1.0
	s_delay_alu instid0(VALU_DEP_1)
	v_mul_f32_e32 v62, v62, v60
	v_xor_b32_e32 v63, 0x80000000, v60
                                        ; implicit-def: $vgpr60_vgpr61
.LBB99_410:
	s_and_not1_saveexec_b32 s1, s1
	s_cbranch_execz .LBB99_412
; %bb.411:
	v_div_scale_f32 v62, null, v60, v60, v61
	v_div_scale_f32 v81, vcc_lo, v61, v60, v61
	s_delay_alu instid0(VALU_DEP_2) | instskip(SKIP_1) | instid1(TRANS32_DEP_1)
	v_rcp_f32_e32 v63, v62
	v_nop
	v_fma_f32 v80, -v62, v63, 1.0
	s_delay_alu instid0(VALU_DEP_1) | instskip(NEXT) | instid1(VALU_DEP_1)
	v_fmac_f32_e32 v63, v80, v63
	v_mul_f32_e32 v80, v81, v63
	s_delay_alu instid0(VALU_DEP_1) | instskip(NEXT) | instid1(VALU_DEP_1)
	v_fma_f32 v82, -v62, v80, v81
	v_fmac_f32_e32 v80, v82, v63
	s_delay_alu instid0(VALU_DEP_1) | instskip(NEXT) | instid1(VALU_DEP_1)
	v_fma_f32 v62, -v62, v80, v81
	v_div_fmas_f32 v62, v62, v63, v80
	s_delay_alu instid0(VALU_DEP_1) | instskip(NEXT) | instid1(VALU_DEP_1)
	v_div_fixup_f32 v63, v62, v60, v61
	v_fmac_f32_e32 v60, v61, v63
	s_delay_alu instid0(VALU_DEP_1) | instskip(NEXT) | instid1(VALU_DEP_1)
	v_div_scale_f32 v61, null, v60, v60, 1.0
	v_rcp_f32_e32 v62, v61
	v_nop
	s_delay_alu instid0(TRANS32_DEP_1) | instskip(NEXT) | instid1(VALU_DEP_1)
	v_fma_f32 v80, -v61, v62, 1.0
	v_fmac_f32_e32 v62, v80, v62
	v_div_scale_f32 v80, vcc_lo, 1.0, v60, 1.0
	s_delay_alu instid0(VALU_DEP_1) | instskip(NEXT) | instid1(VALU_DEP_1)
	v_mul_f32_e32 v81, v80, v62
	v_fma_f32 v82, -v61, v81, v80
	s_delay_alu instid0(VALU_DEP_1) | instskip(NEXT) | instid1(VALU_DEP_1)
	v_fmac_f32_e32 v81, v82, v62
	v_fma_f32 v61, -v61, v81, v80
	s_delay_alu instid0(VALU_DEP_1) | instskip(NEXT) | instid1(VALU_DEP_1)
	v_div_fmas_f32 v61, v61, v62, v81
	v_div_fixup_f32 v62, v61, v60, 1.0
	s_delay_alu instid0(VALU_DEP_1)
	v_mul_f32_e64 v63, v63, -v62
.LBB99_412:
	s_or_b32 exec_lo, exec_lo, s1
	ds_store_b64 v87, v[62:63]
.LBB99_413:
	s_or_b32 exec_lo, exec_lo, s2
	s_wait_dscnt 0x0
	s_barrier_signal -1
	s_barrier_wait -1
	ds_load_b64 v[62:63], v87
	s_mov_b32 s1, exec_lo
	v_cmpx_lt_u32_e32 45, v86
	s_cbranch_execz .LBB99_415
; %bb.414:
	ds_load_2addr_b64 v[80:83], v96 offset0:46 offset1:47
	s_wait_dscnt 0x1
	v_pk_mul_f32 v[60:61], v[62:63], v[192:193] op_sel:[1,1] op_sel_hi:[0,1]
	s_delay_alu instid0(VALU_DEP_1) | instskip(SKIP_1) | instid1(VALU_DEP_1)
	v_pk_fma_f32 v[84:85], v[62:63], v[192:193], v[60:61] op_sel_hi:[1,0,1] neg_lo:[0,0,1] neg_hi:[0,0,1]
	v_pk_fma_f32 v[60:61], v[62:63], v[192:193], v[60:61] op_sel_hi:[1,0,1]
	v_dual_mov_b32 v192, v84 :: v_dual_mov_b32 v193, v61
	s_wait_dscnt 0x0
	s_delay_alu instid0(VALU_DEP_2) | instskip(NEXT) | instid1(VALU_DEP_1)
	v_pk_mul_f32 v[100:101], v[80:81], v[60:61] op_sel:[0,1]
	v_pk_fma_f32 v[102:103], v[80:81], v[84:85], v[100:101] op_sel:[0,0,1] op_sel_hi:[1,1,0] neg_lo:[0,0,1] neg_hi:[0,0,1]
	v_pk_fma_f32 v[80:81], v[80:81], v[84:85], v[100:101] op_sel:[0,0,1] op_sel_hi:[1,0,0]
	s_delay_alu instid0(VALU_DEP_1) | instskip(SKIP_1) | instid1(VALU_DEP_1)
	v_mov_b32_e32 v103, v81
	v_pk_mul_f32 v[80:81], v[82:83], v[60:61] op_sel:[0,1]
	v_pk_fma_f32 v[100:101], v[82:83], v[84:85], v[80:81] op_sel:[0,0,1] op_sel_hi:[1,1,0] neg_lo:[0,0,1] neg_hi:[0,0,1]
	v_pk_fma_f32 v[80:81], v[82:83], v[84:85], v[80:81] op_sel:[0,0,1] op_sel_hi:[1,0,0]
	s_delay_alu instid0(VALU_DEP_1)
	v_mov_b32_e32 v101, v81
	ds_load_2addr_b64 v[80:83], v96 offset0:48 offset1:49
	v_pk_add_f32 v[194:195], v[194:195], v[102:103] neg_lo:[0,1] neg_hi:[0,1]
	v_pk_add_f32 v[190:191], v[190:191], v[100:101] neg_lo:[0,1] neg_hi:[0,1]
	s_wait_dscnt 0x0
	v_pk_mul_f32 v[100:101], v[80:81], v[60:61] op_sel:[0,1]
	s_delay_alu instid0(VALU_DEP_1) | instskip(SKIP_1) | instid1(VALU_DEP_1)
	v_pk_fma_f32 v[102:103], v[80:81], v[84:85], v[100:101] op_sel:[0,0,1] op_sel_hi:[1,1,0] neg_lo:[0,0,1] neg_hi:[0,0,1]
	v_pk_fma_f32 v[80:81], v[80:81], v[84:85], v[100:101] op_sel:[0,0,1] op_sel_hi:[1,0,0]
	v_dual_mov_b32 v80, v83 :: v_dual_mov_b32 v103, v81
	v_mov_b32_e32 v81, v82
	s_delay_alu instid0(VALU_DEP_2) | instskip(NEXT) | instid1(VALU_DEP_2)
	v_pk_add_f32 v[198:199], v[198:199], v[102:103] neg_lo:[0,1] neg_hi:[0,1]
	v_pk_mul_f32 v[60:61], v[80:81], v[60:61] op_sel:[0,1]
	s_delay_alu instid0(VALU_DEP_1) | instskip(SKIP_1) | instid1(VALU_DEP_1)
	v_pk_fma_f32 v[80:81], v[82:83], v[84:85], v[60:61] neg_lo:[0,0,1] neg_hi:[0,0,1]
	v_pk_fma_f32 v[60:61], v[82:83], v[84:85], v[60:61] op_sel_hi:[1,0,1]
	v_mov_b32_e32 v81, v61
	s_delay_alu instid0(VALU_DEP_1)
	v_pk_add_f32 v[200:201], v[200:201], v[80:81] neg_lo:[0,1] neg_hi:[0,1]
.LBB99_415:
	s_or_b32 exec_lo, exec_lo, s1
	s_delay_alu instid0(SALU_CYCLE_1)
	s_mov_b32 s2, exec_lo
	s_wait_dscnt 0x0
	s_barrier_signal -1
	s_barrier_wait -1
	v_cmpx_eq_u32_e32 46, v86
	s_cbranch_execz .LBB99_422
; %bb.416:
	ds_store_b64 v87, v[194:195]
	ds_store_2addr_b64 v96, v[190:191], v[198:199] offset0:47 offset1:48
	ds_store_b64 v96, v[200:201] offset:392
	ds_load_b64 v[60:61], v87
	s_wait_dscnt 0x0
	v_cmp_neq_f32_e32 vcc_lo, 0, v60
	v_cmp_neq_f32_e64 s1, 0, v61
	s_or_b32 s1, vcc_lo, s1
	s_delay_alu instid0(SALU_CYCLE_1)
	s_and_b32 exec_lo, exec_lo, s1
	s_cbranch_execz .LBB99_422
; %bb.417:
	v_cmp_ngt_f32_e64 s1, |v60|, |v61|
                                        ; implicit-def: $vgpr80_vgpr81
	s_and_saveexec_b32 s4, s1
	s_delay_alu instid0(SALU_CYCLE_1)
	s_xor_b32 s1, exec_lo, s4
	s_cbranch_execz .LBB99_419
; %bb.418:
	v_div_scale_f32 v80, null, v61, v61, v60
	v_div_scale_f32 v83, vcc_lo, v60, v61, v60
	s_delay_alu instid0(VALU_DEP_2) | instskip(SKIP_1) | instid1(TRANS32_DEP_1)
	v_rcp_f32_e32 v81, v80
	v_nop
	v_fma_f32 v82, -v80, v81, 1.0
	s_delay_alu instid0(VALU_DEP_1) | instskip(NEXT) | instid1(VALU_DEP_1)
	v_fmac_f32_e32 v81, v82, v81
	v_mul_f32_e32 v82, v83, v81
	s_delay_alu instid0(VALU_DEP_1) | instskip(NEXT) | instid1(VALU_DEP_1)
	v_fma_f32 v84, -v80, v82, v83
	v_fmac_f32_e32 v82, v84, v81
	s_delay_alu instid0(VALU_DEP_1) | instskip(NEXT) | instid1(VALU_DEP_1)
	v_fma_f32 v80, -v80, v82, v83
	v_div_fmas_f32 v80, v80, v81, v82
	s_delay_alu instid0(VALU_DEP_1) | instskip(NEXT) | instid1(VALU_DEP_1)
	v_div_fixup_f32 v80, v80, v61, v60
	v_fmac_f32_e32 v61, v60, v80
	s_delay_alu instid0(VALU_DEP_1) | instskip(SKIP_1) | instid1(VALU_DEP_2)
	v_div_scale_f32 v60, null, v61, v61, 1.0
	v_div_scale_f32 v83, vcc_lo, 1.0, v61, 1.0
	v_rcp_f32_e32 v81, v60
	v_nop
	s_delay_alu instid0(TRANS32_DEP_1) | instskip(NEXT) | instid1(VALU_DEP_1)
	v_fma_f32 v82, -v60, v81, 1.0
	v_fmac_f32_e32 v81, v82, v81
	s_delay_alu instid0(VALU_DEP_1) | instskip(NEXT) | instid1(VALU_DEP_1)
	v_mul_f32_e32 v82, v83, v81
	v_fma_f32 v84, -v60, v82, v83
	s_delay_alu instid0(VALU_DEP_1) | instskip(NEXT) | instid1(VALU_DEP_1)
	v_fmac_f32_e32 v82, v84, v81
	v_fma_f32 v60, -v60, v82, v83
	s_delay_alu instid0(VALU_DEP_1) | instskip(NEXT) | instid1(VALU_DEP_1)
	v_div_fmas_f32 v60, v60, v81, v82
	v_div_fixup_f32 v60, v60, v61, 1.0
	s_delay_alu instid0(VALU_DEP_1)
	v_mul_f32_e32 v80, v80, v60
	v_xor_b32_e32 v81, 0x80000000, v60
                                        ; implicit-def: $vgpr60_vgpr61
.LBB99_419:
	s_and_not1_saveexec_b32 s1, s1
	s_cbranch_execz .LBB99_421
; %bb.420:
	v_div_scale_f32 v80, null, v60, v60, v61
	v_div_scale_f32 v83, vcc_lo, v61, v60, v61
	s_delay_alu instid0(VALU_DEP_2) | instskip(SKIP_1) | instid1(TRANS32_DEP_1)
	v_rcp_f32_e32 v81, v80
	v_nop
	v_fma_f32 v82, -v80, v81, 1.0
	s_delay_alu instid0(VALU_DEP_1) | instskip(NEXT) | instid1(VALU_DEP_1)
	v_fmac_f32_e32 v81, v82, v81
	v_mul_f32_e32 v82, v83, v81
	s_delay_alu instid0(VALU_DEP_1) | instskip(NEXT) | instid1(VALU_DEP_1)
	v_fma_f32 v84, -v80, v82, v83
	v_fmac_f32_e32 v82, v84, v81
	s_delay_alu instid0(VALU_DEP_1) | instskip(NEXT) | instid1(VALU_DEP_1)
	v_fma_f32 v80, -v80, v82, v83
	v_div_fmas_f32 v80, v80, v81, v82
	s_delay_alu instid0(VALU_DEP_1) | instskip(NEXT) | instid1(VALU_DEP_1)
	v_div_fixup_f32 v81, v80, v60, v61
	v_fmac_f32_e32 v60, v61, v81
	s_delay_alu instid0(VALU_DEP_1) | instskip(NEXT) | instid1(VALU_DEP_1)
	v_div_scale_f32 v61, null, v60, v60, 1.0
	v_rcp_f32_e32 v80, v61
	v_nop
	s_delay_alu instid0(TRANS32_DEP_1) | instskip(NEXT) | instid1(VALU_DEP_1)
	v_fma_f32 v82, -v61, v80, 1.0
	v_fmac_f32_e32 v80, v82, v80
	v_div_scale_f32 v82, vcc_lo, 1.0, v60, 1.0
	s_delay_alu instid0(VALU_DEP_1) | instskip(NEXT) | instid1(VALU_DEP_1)
	v_mul_f32_e32 v83, v82, v80
	v_fma_f32 v84, -v61, v83, v82
	s_delay_alu instid0(VALU_DEP_1) | instskip(NEXT) | instid1(VALU_DEP_1)
	v_fmac_f32_e32 v83, v84, v80
	v_fma_f32 v61, -v61, v83, v82
	s_delay_alu instid0(VALU_DEP_1) | instskip(NEXT) | instid1(VALU_DEP_1)
	v_div_fmas_f32 v61, v61, v80, v83
	v_div_fixup_f32 v80, v61, v60, 1.0
	s_delay_alu instid0(VALU_DEP_1)
	v_mul_f32_e64 v81, v81, -v80
.LBB99_421:
	s_or_b32 exec_lo, exec_lo, s1
	ds_store_b64 v87, v[80:81]
.LBB99_422:
	s_or_b32 exec_lo, exec_lo, s2
	s_wait_dscnt 0x0
	s_barrier_signal -1
	s_barrier_wait -1
	ds_load_b64 v[80:81], v87
	s_mov_b32 s1, exec_lo
	v_cmpx_lt_u32_e32 46, v86
	s_cbranch_execz .LBB99_424
; %bb.423:
	ds_load_2addr_b64 v[82:85], v96 offset0:47 offset1:48
	s_wait_dscnt 0x1
	v_pk_mul_f32 v[60:61], v[80:81], v[194:195] op_sel:[1,1] op_sel_hi:[0,1]
	s_delay_alu instid0(VALU_DEP_1) | instskip(SKIP_1) | instid1(VALU_DEP_1)
	v_pk_fma_f32 v[100:101], v[80:81], v[194:195], v[60:61] op_sel_hi:[1,0,1] neg_lo:[0,0,1] neg_hi:[0,0,1]
	v_pk_fma_f32 v[60:61], v[80:81], v[194:195], v[60:61] op_sel_hi:[1,0,1]
	v_dual_mov_b32 v194, v100 :: v_dual_mov_b32 v195, v61
	s_wait_dscnt 0x0
	s_delay_alu instid0(VALU_DEP_2) | instskip(NEXT) | instid1(VALU_DEP_1)
	v_pk_mul_f32 v[102:103], v[82:83], v[60:61] op_sel:[0,1]
	v_pk_fma_f32 v[104:105], v[82:83], v[100:101], v[102:103] op_sel:[0,0,1] op_sel_hi:[1,1,0] neg_lo:[0,0,1] neg_hi:[0,0,1]
	v_pk_fma_f32 v[82:83], v[82:83], v[100:101], v[102:103] op_sel:[0,0,1] op_sel_hi:[1,0,0]
	s_delay_alu instid0(VALU_DEP_1) | instskip(SKIP_1) | instid1(VALU_DEP_1)
	v_mov_b32_e32 v105, v83
	v_pk_mul_f32 v[82:83], v[84:85], v[60:61] op_sel:[0,1]
	v_pk_fma_f32 v[102:103], v[84:85], v[100:101], v[82:83] op_sel:[0,0,1] op_sel_hi:[1,1,0] neg_lo:[0,0,1] neg_hi:[0,0,1]
	v_pk_fma_f32 v[82:83], v[84:85], v[100:101], v[82:83] op_sel:[0,0,1] op_sel_hi:[1,0,0]
	s_delay_alu instid0(VALU_DEP_1)
	v_mov_b32_e32 v103, v83
	ds_load_b64 v[82:83], v96 offset:392
	v_pk_add_f32 v[190:191], v[190:191], v[104:105] neg_lo:[0,1] neg_hi:[0,1]
	v_pk_add_f32 v[198:199], v[198:199], v[102:103] neg_lo:[0,1] neg_hi:[0,1]
	s_wait_dscnt 0x0
	v_pk_mul_f32 v[60:61], v[82:83], v[60:61] op_sel:[1,1] op_sel_hi:[0,1]
	s_delay_alu instid0(VALU_DEP_1) | instskip(SKIP_1) | instid1(VALU_DEP_1)
	v_pk_fma_f32 v[84:85], v[82:83], v[100:101], v[60:61] neg_lo:[0,0,1] neg_hi:[0,0,1]
	v_pk_fma_f32 v[60:61], v[82:83], v[100:101], v[60:61] op_sel_hi:[1,0,1]
	v_mov_b32_e32 v85, v61
	s_delay_alu instid0(VALU_DEP_1)
	v_pk_add_f32 v[200:201], v[200:201], v[84:85] neg_lo:[0,1] neg_hi:[0,1]
.LBB99_424:
	s_or_b32 exec_lo, exec_lo, s1
	s_delay_alu instid0(SALU_CYCLE_1)
	s_mov_b32 s2, exec_lo
	s_wait_dscnt 0x0
	s_barrier_signal -1
	s_barrier_wait -1
	v_cmpx_eq_u32_e32 47, v86
	s_cbranch_execz .LBB99_431
; %bb.425:
	v_dual_mov_b32 v60, v198 :: v_dual_mov_b32 v61, v199
	ds_store_b64 v87, v[190:191]
	ds_store_2addr_b64 v96, v[60:61], v[200:201] offset0:48 offset1:49
	ds_load_b64 v[60:61], v87
	s_wait_dscnt 0x0
	v_cmp_neq_f32_e32 vcc_lo, 0, v60
	v_cmp_neq_f32_e64 s1, 0, v61
	s_or_b32 s1, vcc_lo, s1
	s_delay_alu instid0(SALU_CYCLE_1)
	s_and_b32 exec_lo, exec_lo, s1
	s_cbranch_execz .LBB99_431
; %bb.426:
	v_cmp_ngt_f32_e64 s1, |v60|, |v61|
                                        ; implicit-def: $vgpr82_vgpr83
	s_and_saveexec_b32 s4, s1
	s_delay_alu instid0(SALU_CYCLE_1)
	s_xor_b32 s1, exec_lo, s4
	s_cbranch_execz .LBB99_428
; %bb.427:
	v_div_scale_f32 v82, null, v61, v61, v60
	v_div_scale_f32 v85, vcc_lo, v60, v61, v60
	s_delay_alu instid0(VALU_DEP_2) | instskip(SKIP_1) | instid1(TRANS32_DEP_1)
	v_rcp_f32_e32 v83, v82
	v_nop
	v_fma_f32 v84, -v82, v83, 1.0
	s_delay_alu instid0(VALU_DEP_1) | instskip(NEXT) | instid1(VALU_DEP_1)
	v_fmac_f32_e32 v83, v84, v83
	v_mul_f32_e32 v84, v85, v83
	s_delay_alu instid0(VALU_DEP_1) | instskip(NEXT) | instid1(VALU_DEP_1)
	v_fma_f32 v97, -v82, v84, v85
	v_fmac_f32_e32 v84, v97, v83
	s_delay_alu instid0(VALU_DEP_1) | instskip(NEXT) | instid1(VALU_DEP_1)
	v_fma_f32 v82, -v82, v84, v85
	v_div_fmas_f32 v82, v82, v83, v84
	s_delay_alu instid0(VALU_DEP_1) | instskip(NEXT) | instid1(VALU_DEP_1)
	v_div_fixup_f32 v82, v82, v61, v60
	v_fmac_f32_e32 v61, v60, v82
	s_delay_alu instid0(VALU_DEP_1) | instskip(SKIP_1) | instid1(VALU_DEP_2)
	v_div_scale_f32 v60, null, v61, v61, 1.0
	v_div_scale_f32 v85, vcc_lo, 1.0, v61, 1.0
	v_rcp_f32_e32 v83, v60
	v_nop
	s_delay_alu instid0(TRANS32_DEP_1) | instskip(NEXT) | instid1(VALU_DEP_1)
	v_fma_f32 v84, -v60, v83, 1.0
	v_fmac_f32_e32 v83, v84, v83
	s_delay_alu instid0(VALU_DEP_1) | instskip(NEXT) | instid1(VALU_DEP_1)
	v_mul_f32_e32 v84, v85, v83
	v_fma_f32 v97, -v60, v84, v85
	s_delay_alu instid0(VALU_DEP_1) | instskip(NEXT) | instid1(VALU_DEP_1)
	v_fmac_f32_e32 v84, v97, v83
	v_fma_f32 v60, -v60, v84, v85
	s_delay_alu instid0(VALU_DEP_1) | instskip(NEXT) | instid1(VALU_DEP_1)
	v_div_fmas_f32 v60, v60, v83, v84
	v_div_fixup_f32 v60, v60, v61, 1.0
	s_delay_alu instid0(VALU_DEP_1)
	v_mul_f32_e32 v82, v82, v60
	v_xor_b32_e32 v83, 0x80000000, v60
                                        ; implicit-def: $vgpr60_vgpr61
.LBB99_428:
	s_and_not1_saveexec_b32 s1, s1
	s_cbranch_execz .LBB99_430
; %bb.429:
	v_div_scale_f32 v82, null, v60, v60, v61
	v_div_scale_f32 v85, vcc_lo, v61, v60, v61
	s_delay_alu instid0(VALU_DEP_2) | instskip(SKIP_1) | instid1(TRANS32_DEP_1)
	v_rcp_f32_e32 v83, v82
	v_nop
	v_fma_f32 v84, -v82, v83, 1.0
	s_delay_alu instid0(VALU_DEP_1) | instskip(NEXT) | instid1(VALU_DEP_1)
	v_fmac_f32_e32 v83, v84, v83
	v_mul_f32_e32 v84, v85, v83
	s_delay_alu instid0(VALU_DEP_1) | instskip(NEXT) | instid1(VALU_DEP_1)
	v_fma_f32 v97, -v82, v84, v85
	v_fmac_f32_e32 v84, v97, v83
	s_delay_alu instid0(VALU_DEP_1) | instskip(NEXT) | instid1(VALU_DEP_1)
	v_fma_f32 v82, -v82, v84, v85
	v_div_fmas_f32 v82, v82, v83, v84
	s_delay_alu instid0(VALU_DEP_1) | instskip(NEXT) | instid1(VALU_DEP_1)
	v_div_fixup_f32 v83, v82, v60, v61
	v_fmac_f32_e32 v60, v61, v83
	s_delay_alu instid0(VALU_DEP_1) | instskip(NEXT) | instid1(VALU_DEP_1)
	v_div_scale_f32 v61, null, v60, v60, 1.0
	v_rcp_f32_e32 v82, v61
	v_nop
	s_delay_alu instid0(TRANS32_DEP_1) | instskip(NEXT) | instid1(VALU_DEP_1)
	v_fma_f32 v84, -v61, v82, 1.0
	v_fmac_f32_e32 v82, v84, v82
	v_div_scale_f32 v84, vcc_lo, 1.0, v60, 1.0
	s_delay_alu instid0(VALU_DEP_1) | instskip(NEXT) | instid1(VALU_DEP_1)
	v_mul_f32_e32 v85, v84, v82
	v_fma_f32 v97, -v61, v85, v84
	s_delay_alu instid0(VALU_DEP_1) | instskip(NEXT) | instid1(VALU_DEP_1)
	v_fmac_f32_e32 v85, v97, v82
	v_fma_f32 v61, -v61, v85, v84
	s_delay_alu instid0(VALU_DEP_1) | instskip(NEXT) | instid1(VALU_DEP_1)
	v_div_fmas_f32 v61, v61, v82, v85
	v_div_fixup_f32 v82, v61, v60, 1.0
	s_delay_alu instid0(VALU_DEP_1)
	v_mul_f32_e64 v83, v83, -v82
.LBB99_430:
	s_or_b32 exec_lo, exec_lo, s1
	ds_store_b64 v87, v[82:83]
.LBB99_431:
	s_or_b32 exec_lo, exec_lo, s2
	s_wait_dscnt 0x0
	s_barrier_signal -1
	s_barrier_wait -1
	ds_load_b64 v[82:83], v87
	s_mov_b32 s1, exec_lo
	v_cmpx_lt_u32_e32 47, v86
	s_cbranch_execz .LBB99_433
; %bb.432:
	ds_load_2addr_b64 v[100:103], v96 offset0:48 offset1:49
	s_wait_dscnt 0x1
	v_pk_mul_f32 v[60:61], v[82:83], v[190:191] op_sel:[1,1] op_sel_hi:[0,1]
	v_mov_b64_e32 v[0:1], v[254:255]
	v_mov_b64_e32 v[254:255], v[252:253]
	;; [unrolled: 1-line block ×4, first 2 shown]
	v_pk_fma_f32 v[84:85], v[82:83], v[190:191], v[60:61] op_sel_hi:[1,0,1] neg_lo:[0,0,1] neg_hi:[0,0,1]
	v_pk_fma_f32 v[60:61], v[82:83], v[190:191], v[60:61] op_sel_hi:[1,0,1]
	v_mov_b64_e32 v[248:249], v[246:247]
	v_mov_b64_e32 v[246:247], v[244:245]
	;; [unrolled: 1-line block ×12, first 2 shown]
	s_wait_dscnt 0x0
	v_pk_mul_f32 v[104:105], v[100:101], v[60:61] op_sel:[0,1]
	v_mov_b64_e32 v[226:227], v[224:225]
	v_mov_b64_e32 v[224:225], v[222:223]
	;; [unrolled: 1-line block ×34, first 2 shown]
	v_pk_fma_f32 v[114:115], v[100:101], v[84:85], v[104:105] op_sel:[0,0,1] op_sel_hi:[1,1,0] neg_lo:[0,0,1] neg_hi:[0,0,1]
	v_pk_fma_f32 v[100:101], v[100:101], v[84:85], v[104:105] op_sel:[0,0,1] op_sel_hi:[1,0,0]
	v_dual_mov_b32 v100, v103 :: v_dual_mov_b32 v190, v84
	s_delay_alu instid0(VALU_DEP_2) | instskip(SKIP_1) | instid1(VALU_DEP_2)
	v_dual_mov_b32 v191, v61 :: v_dual_mov_b32 v115, v101
	v_mov_b32_e32 v101, v102
	v_pk_add_f32 v[198:199], v[198:199], v[114:115] neg_lo:[0,1] neg_hi:[0,1]
	s_delay_alu instid0(VALU_DEP_2)
	v_pk_mul_f32 v[60:61], v[100:101], v[60:61] op_sel:[0,1]
	v_mov_b64_e32 v[114:115], v[116:117]
	v_mov_b64_e32 v[116:117], v[118:119]
	;; [unrolled: 1-line block ×4, first 2 shown]
	v_pk_fma_f32 v[100:101], v[102:103], v[84:85], v[60:61] neg_lo:[0,0,1] neg_hi:[0,0,1]
	v_pk_fma_f32 v[60:61], v[102:103], v[84:85], v[60:61] op_sel_hi:[1,0,1]
	v_mov_b64_e32 v[130:131], v[132:133]
	v_mov_b64_e32 v[132:133], v[134:135]
	;; [unrolled: 1-line block ×4, first 2 shown]
	v_mov_b32_e32 v101, v61
	v_mov_b64_e32 v[146:147], v[148:149]
	v_mov_b64_e32 v[148:149], v[150:151]
	;; [unrolled: 1-line block ×42, first 2 shown]
	v_pk_add_f32 v[200:201], v[200:201], v[100:101] neg_lo:[0,1] neg_hi:[0,1]
.LBB99_433:
	s_or_b32 exec_lo, exec_lo, s1
	s_delay_alu instid0(SALU_CYCLE_1)
	s_mov_b32 s2, exec_lo
	s_wait_dscnt 0x0
	s_barrier_signal -1
	s_barrier_wait -1
	v_cmpx_eq_u32_e32 48, v86
	s_cbranch_execz .LBB99_440
; %bb.434:
	ds_store_b64 v87, v[198:199]
	ds_store_b64 v96, v[200:201] offset:392
	ds_load_b64 v[60:61], v87
	s_wait_dscnt 0x0
	v_cmp_neq_f32_e32 vcc_lo, 0, v60
	v_cmp_neq_f32_e64 s1, 0, v61
	s_or_b32 s1, vcc_lo, s1
	s_delay_alu instid0(SALU_CYCLE_1)
	s_and_b32 exec_lo, exec_lo, s1
	s_cbranch_execz .LBB99_440
; %bb.435:
	v_cmp_ngt_f32_e64 s1, |v60|, |v61|
                                        ; implicit-def: $vgpr84_vgpr85
	s_and_saveexec_b32 s4, s1
	s_delay_alu instid0(SALU_CYCLE_1)
	s_xor_b32 s1, exec_lo, s4
	s_cbranch_execz .LBB99_437
; %bb.436:
	v_div_scale_f32 v84, null, v61, v61, v60
	v_div_scale_f32 v100, vcc_lo, v60, v61, v60
	s_delay_alu instid0(VALU_DEP_2) | instskip(SKIP_1) | instid1(TRANS32_DEP_1)
	v_rcp_f32_e32 v85, v84
	v_nop
	v_fma_f32 v97, -v84, v85, 1.0
	s_delay_alu instid0(VALU_DEP_1) | instskip(NEXT) | instid1(VALU_DEP_1)
	v_fmac_f32_e32 v85, v97, v85
	v_mul_f32_e32 v97, v100, v85
	s_delay_alu instid0(VALU_DEP_1) | instskip(NEXT) | instid1(VALU_DEP_1)
	v_fma_f32 v101, -v84, v97, v100
	v_fmac_f32_e32 v97, v101, v85
	s_delay_alu instid0(VALU_DEP_1) | instskip(NEXT) | instid1(VALU_DEP_1)
	v_fma_f32 v84, -v84, v97, v100
	v_div_fmas_f32 v84, v84, v85, v97
	s_delay_alu instid0(VALU_DEP_1) | instskip(NEXT) | instid1(VALU_DEP_1)
	v_div_fixup_f32 v84, v84, v61, v60
	v_fmac_f32_e32 v61, v60, v84
	s_delay_alu instid0(VALU_DEP_1) | instskip(SKIP_1) | instid1(VALU_DEP_2)
	v_div_scale_f32 v60, null, v61, v61, 1.0
	v_div_scale_f32 v100, vcc_lo, 1.0, v61, 1.0
	v_rcp_f32_e32 v85, v60
	v_nop
	s_delay_alu instid0(TRANS32_DEP_1) | instskip(NEXT) | instid1(VALU_DEP_1)
	v_fma_f32 v97, -v60, v85, 1.0
	v_fmac_f32_e32 v85, v97, v85
	s_delay_alu instid0(VALU_DEP_1) | instskip(NEXT) | instid1(VALU_DEP_1)
	v_mul_f32_e32 v97, v100, v85
	v_fma_f32 v101, -v60, v97, v100
	s_delay_alu instid0(VALU_DEP_1) | instskip(NEXT) | instid1(VALU_DEP_1)
	v_fmac_f32_e32 v97, v101, v85
	v_fma_f32 v60, -v60, v97, v100
	s_delay_alu instid0(VALU_DEP_1) | instskip(NEXT) | instid1(VALU_DEP_1)
	v_div_fmas_f32 v60, v60, v85, v97
	v_div_fixup_f32 v60, v60, v61, 1.0
	s_delay_alu instid0(VALU_DEP_1)
	v_mul_f32_e32 v84, v84, v60
	v_xor_b32_e32 v85, 0x80000000, v60
                                        ; implicit-def: $vgpr60_vgpr61
.LBB99_437:
	s_and_not1_saveexec_b32 s1, s1
	s_cbranch_execz .LBB99_439
; %bb.438:
	v_div_scale_f32 v84, null, v60, v60, v61
	v_div_scale_f32 v100, vcc_lo, v61, v60, v61
	s_delay_alu instid0(VALU_DEP_2) | instskip(SKIP_1) | instid1(TRANS32_DEP_1)
	v_rcp_f32_e32 v85, v84
	v_nop
	v_fma_f32 v97, -v84, v85, 1.0
	s_delay_alu instid0(VALU_DEP_1) | instskip(NEXT) | instid1(VALU_DEP_1)
	v_fmac_f32_e32 v85, v97, v85
	v_mul_f32_e32 v97, v100, v85
	s_delay_alu instid0(VALU_DEP_1) | instskip(NEXT) | instid1(VALU_DEP_1)
	v_fma_f32 v101, -v84, v97, v100
	v_fmac_f32_e32 v97, v101, v85
	s_delay_alu instid0(VALU_DEP_1) | instskip(NEXT) | instid1(VALU_DEP_1)
	v_fma_f32 v84, -v84, v97, v100
	v_div_fmas_f32 v84, v84, v85, v97
	s_delay_alu instid0(VALU_DEP_1) | instskip(NEXT) | instid1(VALU_DEP_1)
	v_div_fixup_f32 v85, v84, v60, v61
	v_fmac_f32_e32 v60, v61, v85
	s_delay_alu instid0(VALU_DEP_1) | instskip(NEXT) | instid1(VALU_DEP_1)
	v_div_scale_f32 v61, null, v60, v60, 1.0
	v_rcp_f32_e32 v84, v61
	v_nop
	s_delay_alu instid0(TRANS32_DEP_1) | instskip(NEXT) | instid1(VALU_DEP_1)
	v_fma_f32 v97, -v61, v84, 1.0
	v_fmac_f32_e32 v84, v97, v84
	v_div_scale_f32 v97, vcc_lo, 1.0, v60, 1.0
	s_delay_alu instid0(VALU_DEP_1) | instskip(NEXT) | instid1(VALU_DEP_1)
	v_mul_f32_e32 v100, v97, v84
	v_fma_f32 v101, -v61, v100, v97
	s_delay_alu instid0(VALU_DEP_1) | instskip(NEXT) | instid1(VALU_DEP_1)
	v_fmac_f32_e32 v100, v101, v84
	v_fma_f32 v61, -v61, v100, v97
	s_delay_alu instid0(VALU_DEP_1) | instskip(NEXT) | instid1(VALU_DEP_1)
	v_div_fmas_f32 v61, v61, v84, v100
	v_div_fixup_f32 v84, v61, v60, 1.0
	s_delay_alu instid0(VALU_DEP_1)
	v_mul_f32_e64 v85, v85, -v84
.LBB99_439:
	s_or_b32 exec_lo, exec_lo, s1
	ds_store_b64 v87, v[84:85]
.LBB99_440:
	s_or_b32 exec_lo, exec_lo, s2
	s_wait_dscnt 0x0
	s_barrier_signal -1
	s_barrier_wait -1
	ds_load_b64 v[84:85], v87
	s_mov_b32 s1, exec_lo
	v_cmpx_lt_u32_e32 48, v86
	s_cbranch_execz .LBB99_442
; %bb.441:
	ds_load_b64 v[60:61], v96 offset:392
	s_wait_dscnt 0x1
	v_pk_mul_f32 v[96:97], v[84:85], v[198:199] op_sel:[1,1] op_sel_hi:[0,1]
	s_delay_alu instid0(VALU_DEP_1) | instskip(SKIP_2) | instid1(VALU_DEP_2)
	v_pk_fma_f32 v[100:101], v[84:85], v[198:199], v[96:97] op_sel_hi:[1,0,1]
	v_pk_fma_f32 v[198:199], v[84:85], v[198:199], v[96:97] op_sel_hi:[1,0,1] neg_lo:[0,0,1] neg_hi:[0,0,1]
	s_wait_dscnt 0x0
	v_pk_mul_f32 v[96:97], v[60:61], v[100:101] op_sel:[1,1] op_sel_hi:[0,1]
	s_delay_alu instid0(VALU_DEP_1) | instskip(SKIP_1) | instid1(VALU_DEP_2)
	v_pk_fma_f32 v[102:103], v[60:61], v[198:199], v[96:97] op_sel_hi:[1,0,1]
	v_pk_fma_f32 v[60:61], v[60:61], v[198:199], v[96:97] neg_lo:[0,0,1] neg_hi:[0,0,1]
	v_dual_mov_b32 v199, v101 :: v_dual_mov_b32 v61, v103
	s_delay_alu instid0(VALU_DEP_1)
	v_pk_add_f32 v[200:201], v[200:201], v[60:61] neg_lo:[0,1] neg_hi:[0,1]
.LBB99_442:
	s_or_b32 exec_lo, exec_lo, s1
	s_delay_alu instid0(SALU_CYCLE_1)
	s_mov_b32 s2, exec_lo
	s_wait_dscnt 0x0
	s_barrier_signal -1
	s_barrier_wait -1
	v_cmpx_eq_u32_e32 49, v86
	s_cbranch_execz .LBB99_449
; %bb.443:
	v_cmp_neq_f32_e32 vcc_lo, 0, v200
	v_cmp_neq_f32_e64 s1, 0, v201
	ds_store_b64 v87, v[200:201]
	s_or_b32 s1, vcc_lo, s1
	s_delay_alu instid0(SALU_CYCLE_1)
	s_and_b32 exec_lo, exec_lo, s1
	s_cbranch_execz .LBB99_449
; %bb.444:
	v_cmp_ngt_f32_e64 s1, |v200|, |v201|
                                        ; implicit-def: $vgpr60_vgpr61
	s_and_saveexec_b32 s4, s1
	s_delay_alu instid0(SALU_CYCLE_1)
	s_xor_b32 s1, exec_lo, s4
	s_cbranch_execz .LBB99_446
; %bb.445:
	v_div_scale_f32 v60, null, v201, v201, v200
	v_div_scale_f32 v97, vcc_lo, v200, v201, v200
	s_delay_alu instid0(VALU_DEP_2) | instskip(SKIP_1) | instid1(TRANS32_DEP_1)
	v_rcp_f32_e32 v61, v60
	v_nop
	v_fma_f32 v96, -v60, v61, 1.0
	s_delay_alu instid0(VALU_DEP_1) | instskip(NEXT) | instid1(VALU_DEP_1)
	v_fmac_f32_e32 v61, v96, v61
	v_mul_f32_e32 v96, v97, v61
	s_delay_alu instid0(VALU_DEP_1) | instskip(NEXT) | instid1(VALU_DEP_1)
	v_fma_f32 v100, -v60, v96, v97
	v_fmac_f32_e32 v96, v100, v61
	s_delay_alu instid0(VALU_DEP_1) | instskip(NEXT) | instid1(VALU_DEP_1)
	v_fma_f32 v60, -v60, v96, v97
	v_div_fmas_f32 v60, v60, v61, v96
	s_delay_alu instid0(VALU_DEP_1) | instskip(NEXT) | instid1(VALU_DEP_1)
	v_div_fixup_f32 v60, v60, v201, v200
	v_fma_f32 v61, v200, v60, v201
	s_delay_alu instid0(VALU_DEP_1) | instskip(SKIP_1) | instid1(VALU_DEP_2)
	v_div_scale_f32 v96, null, v61, v61, 1.0
	v_div_scale_f32 v101, vcc_lo, 1.0, v61, 1.0
	v_rcp_f32_e32 v97, v96
	v_nop
	s_delay_alu instid0(TRANS32_DEP_1) | instskip(NEXT) | instid1(VALU_DEP_1)
	v_fma_f32 v100, -v96, v97, 1.0
	v_fmac_f32_e32 v97, v100, v97
	s_delay_alu instid0(VALU_DEP_1) | instskip(NEXT) | instid1(VALU_DEP_1)
	v_mul_f32_e32 v100, v101, v97
	v_fma_f32 v102, -v96, v100, v101
	s_delay_alu instid0(VALU_DEP_1) | instskip(NEXT) | instid1(VALU_DEP_1)
	v_fmac_f32_e32 v100, v102, v97
	v_fma_f32 v96, -v96, v100, v101
	s_delay_alu instid0(VALU_DEP_1) | instskip(NEXT) | instid1(VALU_DEP_1)
	v_div_fmas_f32 v96, v96, v97, v100
	v_div_fixup_f32 v61, v96, v61, 1.0
	s_delay_alu instid0(VALU_DEP_1)
	v_mul_f32_e32 v60, v60, v61
	v_xor_b32_e32 v61, 0x80000000, v61
.LBB99_446:
	s_and_not1_saveexec_b32 s1, s1
	s_cbranch_execz .LBB99_448
; %bb.447:
	v_div_scale_f32 v60, null, v200, v200, v201
	v_div_scale_f32 v97, vcc_lo, v201, v200, v201
	s_delay_alu instid0(VALU_DEP_2) | instskip(SKIP_1) | instid1(TRANS32_DEP_1)
	v_rcp_f32_e32 v61, v60
	v_nop
	v_fma_f32 v96, -v60, v61, 1.0
	s_delay_alu instid0(VALU_DEP_1) | instskip(NEXT) | instid1(VALU_DEP_1)
	v_fmac_f32_e32 v61, v96, v61
	v_mul_f32_e32 v96, v97, v61
	s_delay_alu instid0(VALU_DEP_1) | instskip(NEXT) | instid1(VALU_DEP_1)
	v_fma_f32 v100, -v60, v96, v97
	v_fmac_f32_e32 v96, v100, v61
	s_delay_alu instid0(VALU_DEP_1) | instskip(NEXT) | instid1(VALU_DEP_1)
	v_fma_f32 v60, -v60, v96, v97
	v_div_fmas_f32 v60, v60, v61, v96
	s_delay_alu instid0(VALU_DEP_1) | instskip(NEXT) | instid1(VALU_DEP_1)
	v_div_fixup_f32 v61, v60, v200, v201
	v_fma_f32 v60, v201, v61, v200
	s_delay_alu instid0(VALU_DEP_1) | instskip(NEXT) | instid1(VALU_DEP_1)
	v_div_scale_f32 v96, null, v60, v60, 1.0
	v_rcp_f32_e32 v97, v96
	v_nop
	s_delay_alu instid0(TRANS32_DEP_1) | instskip(NEXT) | instid1(VALU_DEP_1)
	v_fma_f32 v100, -v96, v97, 1.0
	v_fmac_f32_e32 v97, v100, v97
	v_div_scale_f32 v100, vcc_lo, 1.0, v60, 1.0
	s_delay_alu instid0(VALU_DEP_1) | instskip(NEXT) | instid1(VALU_DEP_1)
	v_mul_f32_e32 v101, v100, v97
	v_fma_f32 v102, -v96, v101, v100
	s_delay_alu instid0(VALU_DEP_1) | instskip(NEXT) | instid1(VALU_DEP_1)
	v_fmac_f32_e32 v101, v102, v97
	v_fma_f32 v96, -v96, v101, v100
	s_delay_alu instid0(VALU_DEP_1) | instskip(NEXT) | instid1(VALU_DEP_1)
	v_div_fmas_f32 v96, v96, v97, v101
	v_div_fixup_f32 v60, v96, v60, 1.0
	s_delay_alu instid0(VALU_DEP_1)
	v_mul_f32_e64 v61, v61, -v60
.LBB99_448:
	s_or_b32 exec_lo, exec_lo, s1
	ds_store_b64 v87, v[60:61]
.LBB99_449:
	s_or_b32 exec_lo, exec_lo, s2
	s_wait_dscnt 0x0
	s_barrier_signal -1
	s_barrier_wait -1
	ds_load_b64 v[60:61], v87
	s_wait_dscnt 0x0
	s_barrier_signal -1
	s_barrier_wait -1
	s_and_saveexec_b32 s2, s0
	s_cbranch_execz .LBB99_452
; %bb.450:
	scratch_load_b64 v[0:1], off, off offset:8 th:TH_LOAD_LU ; 8-byte Folded Reload
	s_wait_loadcnt 0x0
	v_cmp_eq_f32_e32 vcc_lo, 0, v0
	v_cmp_eq_f32_e64 s0, 0, v1
	scratch_load_b64 v[0:1], off, off offset:16 th:TH_LOAD_LU ; 8-byte Folded Reload
	s_and_b32 s1, vcc_lo, s0
	s_delay_alu instid0(SALU_CYCLE_1)
	v_cndmask_b32_e64 v87, 0, 1, s1
	s_wait_loadcnt 0x0
	v_cmp_neq_f32_e32 vcc_lo, 0, v0
	v_cmp_neq_f32_e64 s0, 0, v1
	scratch_load_b64 v[0:1], off, off offset:24 th:TH_LOAD_LU ; 8-byte Folded Reload
	s_or_b32 s0, vcc_lo, s0
	s_delay_alu instid0(SALU_CYCLE_1)
	s_or_b32 vcc_lo, s0, s1
	v_cmp_eq_f32_e64 s1, 0, v61
	v_cndmask_b32_e32 v87, 2, v87, vcc_lo
	s_wait_loadcnt 0x0
	v_cmp_eq_f32_e32 vcc_lo, 0, v0
	v_cmp_eq_f32_e64 s0, 0, v1
	scratch_load_b64 v[0:1], off, off offset:32 th:TH_LOAD_LU ; 8-byte Folded Reload
	s_and_b32 s0, vcc_lo, s0
	v_cmp_eq_u32_e32 vcc_lo, 0, v87
	s_and_b32 s0, s0, vcc_lo
	s_delay_alu instid0(SALU_CYCLE_1)
	v_cndmask_b32_e64 v87, v87, 3, s0
	s_wait_loadcnt 0x0
	v_cmp_eq_f32_e32 vcc_lo, 0, v0
	v_cmp_eq_f32_e64 s0, 0, v1
	scratch_load_b64 v[0:1], off, off offset:40 th:TH_LOAD_LU ; 8-byte Folded Reload
	s_and_b32 s0, vcc_lo, s0
	v_cmp_eq_u32_e32 vcc_lo, 0, v87
	s_and_b32 s0, s0, vcc_lo
	s_delay_alu instid0(SALU_CYCLE_1)
	v_cndmask_b32_e64 v87, v87, 4, s0
	;; [unrolled: 9-line block ×25, first 2 shown]
	s_wait_loadcnt 0x0
	v_cmp_eq_f32_e32 vcc_lo, 0, v0
	v_cmp_eq_f32_e64 s0, 0, v1
	s_and_b32 s0, vcc_lo, s0
	v_cmp_eq_u32_e32 vcc_lo, 0, v87
	s_and_b32 s0, s0, vcc_lo
	v_cmp_eq_f32_e32 vcc_lo, 0, v2
	v_cndmask_b32_e64 v0, v87, 28, s0
	v_cmp_eq_f32_e64 s0, 0, v3
	s_and_b32 s0, vcc_lo, s0
	v_cmp_eq_u32_e32 vcc_lo, 0, v0
	s_and_b32 s0, s0, vcc_lo
	v_cmp_eq_f32_e32 vcc_lo, 0, v4
	v_cndmask_b32_e64 v0, v0, 29, s0
	;; [unrolled: 6-line block ×21, first 2 shown]
	v_cmp_eq_f32_e64 s0, 0, v85
	s_and_b32 s0, vcc_lo, s0
	v_cmp_eq_u32_e32 vcc_lo, 0, v0
	s_and_b32 s0, s0, vcc_lo
	s_delay_alu instid0(SALU_CYCLE_1) | instskip(SKIP_1) | instid1(VALU_DEP_2)
	v_cndmask_b32_e64 v0, v0, 49, s0
	v_cmp_eq_f32_e64 s0, 0, v60
	v_cmp_eq_u32_e32 vcc_lo, 0, v0
	s_and_b32 s0, s0, s1
	s_delay_alu instid0(SALU_CYCLE_1) | instskip(NEXT) | instid1(SALU_CYCLE_1)
	s_and_b32 s0, s0, vcc_lo
	v_cndmask_b32_e64 v2, v0, 50, s0
	v_lshl_add_u64 v[0:1], v[154:155], 2, s[6:7]
	s_delay_alu instid0(VALU_DEP_2) | instskip(SKIP_4) | instid1(SALU_CYCLE_1)
	v_cmp_ne_u32_e64 s0, 0, v2
	global_load_b32 v3, v[0:1], off
	s_wait_loadcnt 0x0
	v_cmp_eq_u32_e32 vcc_lo, 0, v3
	s_and_b32 s0, vcc_lo, s0
	s_and_b32 exec_lo, exec_lo, s0
	s_cbranch_execz .LBB99_452
; %bb.451:
	v_add_nc_u32_e32 v2, s3, v2
	global_store_b32 v[0:1], v2, off
.LBB99_452:
	s_wait_xcnt 0x0
	s_or_b32 exec_lo, exec_lo, s2
	v_pk_mul_f32 v[0:1], v[60:61], v[200:201] op_sel:[1,1] op_sel_hi:[0,1]
	v_cmp_lt_u32_e32 vcc_lo, 49, v86
	s_clause 0x2f
	global_store_b64 v[16:17], v[70:71], off
	global_store_b64 v[152:153], v[98:99], off
	;; [unrolled: 1-line block ×48, first 2 shown]
	v_pk_fma_f32 v[2:3], v[60:61], v[200:201], v[0:1] op_sel_hi:[1,0,1]
	v_pk_fma_f32 v[0:1], v[60:61], v[200:201], v[0:1] neg_lo:[0,0,1] neg_hi:[0,0,1]
	s_delay_alu instid0(VALU_DEP_1)
	v_dual_cndmask_b32 v1, v201, v3 :: v_dual_cndmask_b32 v0, v200, v0
	scratch_load_b64 v[2:3], off, off th:TH_LOAD_LU ; 8-byte Folded Reload
	s_wait_loadcnt 0x0
	s_clause 0x1
	global_store_b64 v[2:3], v[198:199], off
	global_store_b64 v[248:249], v[0:1], off
.LBB99_453:
	s_sendmsg sendmsg(MSG_DEALLOC_VGPRS)
	s_endpgm
	.section	.rodata,"a",@progbits
	.p2align	6, 0x0
	.amdhsa_kernel _ZN9rocsolver6v33100L23getf2_npvt_small_kernelILi50E19rocblas_complex_numIfEiiPS3_EEvT1_T3_lS5_lPT2_S5_S5_
		.amdhsa_group_segment_fixed_size 0
		.amdhsa_private_segment_fixed_size 236
		.amdhsa_kernarg_size 312
		.amdhsa_user_sgpr_count 2
		.amdhsa_user_sgpr_dispatch_ptr 0
		.amdhsa_user_sgpr_queue_ptr 0
		.amdhsa_user_sgpr_kernarg_segment_ptr 1
		.amdhsa_user_sgpr_dispatch_id 0
		.amdhsa_user_sgpr_kernarg_preload_length 0
		.amdhsa_user_sgpr_kernarg_preload_offset 0
		.amdhsa_user_sgpr_private_segment_size 0
		.amdhsa_wavefront_size32 1
		.amdhsa_uses_dynamic_stack 0
		.amdhsa_enable_private_segment 1
		.amdhsa_system_sgpr_workgroup_id_x 1
		.amdhsa_system_sgpr_workgroup_id_y 1
		.amdhsa_system_sgpr_workgroup_id_z 0
		.amdhsa_system_sgpr_workgroup_info 0
		.amdhsa_system_vgpr_workitem_id 1
		.amdhsa_next_free_vgpr 256
		.amdhsa_next_free_sgpr 15
		.amdhsa_named_barrier_count 0
		.amdhsa_reserve_vcc 1
		.amdhsa_float_round_mode_32 0
		.amdhsa_float_round_mode_16_64 0
		.amdhsa_float_denorm_mode_32 3
		.amdhsa_float_denorm_mode_16_64 3
		.amdhsa_fp16_overflow 0
		.amdhsa_memory_ordered 1
		.amdhsa_forward_progress 1
		.amdhsa_inst_pref_size 255
		.amdhsa_round_robin_scheduling 0
		.amdhsa_exception_fp_ieee_invalid_op 0
		.amdhsa_exception_fp_denorm_src 0
		.amdhsa_exception_fp_ieee_div_zero 0
		.amdhsa_exception_fp_ieee_overflow 0
		.amdhsa_exception_fp_ieee_underflow 0
		.amdhsa_exception_fp_ieee_inexact 0
		.amdhsa_exception_int_div_zero 0
	.end_amdhsa_kernel
	.section	.text._ZN9rocsolver6v33100L23getf2_npvt_small_kernelILi50E19rocblas_complex_numIfEiiPS3_EEvT1_T3_lS5_lPT2_S5_S5_,"axG",@progbits,_ZN9rocsolver6v33100L23getf2_npvt_small_kernelILi50E19rocblas_complex_numIfEiiPS3_EEvT1_T3_lS5_lPT2_S5_S5_,comdat
.Lfunc_end99:
	.size	_ZN9rocsolver6v33100L23getf2_npvt_small_kernelILi50E19rocblas_complex_numIfEiiPS3_EEvT1_T3_lS5_lPT2_S5_S5_, .Lfunc_end99-_ZN9rocsolver6v33100L23getf2_npvt_small_kernelILi50E19rocblas_complex_numIfEiiPS3_EEvT1_T3_lS5_lPT2_S5_S5_
                                        ; -- End function
	.set _ZN9rocsolver6v33100L23getf2_npvt_small_kernelILi50E19rocblas_complex_numIfEiiPS3_EEvT1_T3_lS5_lPT2_S5_S5_.num_vgpr, 256
	.set _ZN9rocsolver6v33100L23getf2_npvt_small_kernelILi50E19rocblas_complex_numIfEiiPS3_EEvT1_T3_lS5_lPT2_S5_S5_.num_agpr, 0
	.set _ZN9rocsolver6v33100L23getf2_npvt_small_kernelILi50E19rocblas_complex_numIfEiiPS3_EEvT1_T3_lS5_lPT2_S5_S5_.numbered_sgpr, 15
	.set _ZN9rocsolver6v33100L23getf2_npvt_small_kernelILi50E19rocblas_complex_numIfEiiPS3_EEvT1_T3_lS5_lPT2_S5_S5_.num_named_barrier, 0
	.set _ZN9rocsolver6v33100L23getf2_npvt_small_kernelILi50E19rocblas_complex_numIfEiiPS3_EEvT1_T3_lS5_lPT2_S5_S5_.private_seg_size, 236
	.set _ZN9rocsolver6v33100L23getf2_npvt_small_kernelILi50E19rocblas_complex_numIfEiiPS3_EEvT1_T3_lS5_lPT2_S5_S5_.uses_vcc, 1
	.set _ZN9rocsolver6v33100L23getf2_npvt_small_kernelILi50E19rocblas_complex_numIfEiiPS3_EEvT1_T3_lS5_lPT2_S5_S5_.uses_flat_scratch, 0
	.set _ZN9rocsolver6v33100L23getf2_npvt_small_kernelILi50E19rocblas_complex_numIfEiiPS3_EEvT1_T3_lS5_lPT2_S5_S5_.has_dyn_sized_stack, 0
	.set _ZN9rocsolver6v33100L23getf2_npvt_small_kernelILi50E19rocblas_complex_numIfEiiPS3_EEvT1_T3_lS5_lPT2_S5_S5_.has_recursion, 0
	.set _ZN9rocsolver6v33100L23getf2_npvt_small_kernelILi50E19rocblas_complex_numIfEiiPS3_EEvT1_T3_lS5_lPT2_S5_S5_.has_indirect_call, 0
	.section	.AMDGPU.csdata,"",@progbits
; Kernel info:
; codeLenInByte = 106352
; TotalNumSgprs: 17
; NumVgprs: 256
; ScratchSize: 236
; MemoryBound: 0
; FloatMode: 240
; IeeeMode: 1
; LDSByteSize: 0 bytes/workgroup (compile time only)
; SGPRBlocks: 0
; VGPRBlocks: 15
; NumSGPRsForWavesPerEU: 17
; NumVGPRsForWavesPerEU: 256
; NamedBarCnt: 0
; Occupancy: 4
; WaveLimiterHint : 0
; COMPUTE_PGM_RSRC2:SCRATCH_EN: 1
; COMPUTE_PGM_RSRC2:USER_SGPR: 2
; COMPUTE_PGM_RSRC2:TRAP_HANDLER: 0
; COMPUTE_PGM_RSRC2:TGID_X_EN: 1
; COMPUTE_PGM_RSRC2:TGID_Y_EN: 1
; COMPUTE_PGM_RSRC2:TGID_Z_EN: 0
; COMPUTE_PGM_RSRC2:TIDIG_COMP_CNT: 1
	.section	.text._ZN9rocsolver6v33100L18getf2_small_kernelILi51E19rocblas_complex_numIfEiiPS3_EEvT1_T3_lS5_lPS5_llPT2_S5_S5_S7_l,"axG",@progbits,_ZN9rocsolver6v33100L18getf2_small_kernelILi51E19rocblas_complex_numIfEiiPS3_EEvT1_T3_lS5_lPS5_llPT2_S5_S5_S7_l,comdat
	.globl	_ZN9rocsolver6v33100L18getf2_small_kernelILi51E19rocblas_complex_numIfEiiPS3_EEvT1_T3_lS5_lPS5_llPT2_S5_S5_S7_l ; -- Begin function _ZN9rocsolver6v33100L18getf2_small_kernelILi51E19rocblas_complex_numIfEiiPS3_EEvT1_T3_lS5_lPS5_llPT2_S5_S5_S7_l
	.p2align	8
	.type	_ZN9rocsolver6v33100L18getf2_small_kernelILi51E19rocblas_complex_numIfEiiPS3_EEvT1_T3_lS5_lPS5_llPT2_S5_S5_S7_l,@function
_ZN9rocsolver6v33100L18getf2_small_kernelILi51E19rocblas_complex_numIfEiiPS3_EEvT1_T3_lS5_lPS5_llPT2_S5_S5_S7_l: ; @_ZN9rocsolver6v33100L18getf2_small_kernelILi51E19rocblas_complex_numIfEiiPS3_EEvT1_T3_lS5_lPS5_llPT2_S5_S5_S7_l
; %bb.0:
	s_clause 0x1
	s_load_u16 s2, s[0:1], 0x6e
	s_load_b64 s[16:17], s[0:1], 0x48
	s_bfe_u32 s3, ttmp6, 0x40010
	s_bfe_u32 s4, ttmp6, 0x40004
	s_add_co_i32 s3, s3, 1
	s_getreg_b32 s5, hwreg(HW_REG_IB_STS2, 6, 4)
	s_mul_i32 s3, ttmp7, s3
	v_bfe_u32 v110, v0, 10, 10
	s_add_co_i32 s4, s4, s3
	s_cmp_eq_u32 s5, 0
	s_cselect_b32 s3, ttmp7, s4
	s_wait_kmcnt 0x0
	v_mad_u32 v2, s3, s2, v110
	s_mov_b32 s2, exec_lo
	s_delay_alu instid0(VALU_DEP_1)
	v_cmpx_gt_i32_e64 s16, v2
	s_cbranch_execz .LBB100_1072
; %bb.1:
	s_load_b128 s[4:7], s[0:1], 0x50
	v_mov_b64_e32 v[4:5], 0
	v_ashrrev_i32_e32 v3, 31, v2
	s_wait_kmcnt 0x0
	s_cmp_eq_u64 s[4:5], 0
	s_cselect_b32 s16, -1, 0
	s_delay_alu instid0(SALU_CYCLE_1)
	s_and_b32 vcc_lo, exec_lo, s16
	s_cbranch_vccnz .LBB100_3
; %bb.2:
	v_mul_u64_e32 v[4:5], s[6:7], v[2:3]
	s_delay_alu instid0(VALU_DEP_1)
	v_lshl_add_u64 v[4:5], v[4:5], 2, s[4:5]
.LBB100_3:
	s_clause 0x2
	s_load_b32 s2, s[0:1], 0x18
	s_load_b128 s[12:15], s[0:1], 0x8
	s_load_b32 s18, s[0:1], 0x0
	v_and_b32_e32 v115, 0x3ff, v0
	s_load_b256 s[4:11], s[0:1], 0x20
	s_delay_alu instid0(VALU_DEP_1) | instskip(SKIP_4) | instid1(VALU_DEP_2)
	v_dual_mov_b32 v109, 0 :: v_dual_lshlrev_b32 v108, 3, v115
	s_wait_kmcnt 0x0
	v_add3_u32 v6, s2, s2, v115
	s_ashr_i32 s3, s2, 31
	v_mul_u64_e32 v[0:1], s[4:5], v[2:3]
	v_add_nc_u32_e32 v8, s2, v6
	s_max_i32 s4, s18, 51
	s_cmp_lt_i32 s18, 2
	s_delay_alu instid0(VALU_DEP_1) | instskip(NEXT) | instid1(VALU_DEP_1)
	v_dual_ashrrev_i32 v7, 31, v6 :: v_dual_add_nc_u32 v10, s2, v8
	v_add_nc_u32_e32 v12, s2, v10
	s_delay_alu instid0(VALU_DEP_1) | instskip(NEXT) | instid1(VALU_DEP_1)
	v_add_nc_u32_e32 v14, s2, v12
	v_dual_ashrrev_i32 v9, 31, v8 :: v_dual_add_nc_u32 v16, s2, v14
	s_delay_alu instid0(VALU_DEP_1) | instskip(SKIP_1) | instid1(VALU_DEP_2)
	v_dual_add_nc_u32 v18, s2, v16 :: v_dual_ashrrev_i32 v11, 31, v10
	v_ashrrev_i32_e32 v13, 31, v12
	v_dual_ashrrev_i32 v17, 31, v16 :: v_dual_add_nc_u32 v20, s2, v18
	v_lshl_add_u64 v[0:1], v[0:1], 3, s[12:13]
	s_delay_alu instid0(VALU_DEP_2) | instskip(NEXT) | instid1(VALU_DEP_2)
	v_add_nc_u32_e32 v22, s2, v20
	v_lshl_add_u64 v[0:1], s[14:15], 3, v[0:1]
	s_delay_alu instid0(VALU_DEP_2) | instskip(NEXT) | instid1(VALU_DEP_2)
	v_add_nc_u32_e32 v26, s2, v22
	v_lshl_add_u64 v[10:11], v[10:11], 3, v[0:1]
	v_add_nc_u64_e32 v[28:29], v[0:1], v[108:109]
	v_lshl_add_u64 v[12:13], v[12:13], 3, v[0:1]
	v_lshl_add_u64 v[48:49], v[6:7], 3, v[0:1]
	v_add_nc_u32_e32 v30, s2, v26
	v_lshl_add_u64 v[52:53], v[8:9], 3, v[0:1]
	v_lshl_add_u64 v[56:57], v[16:17], 3, v[0:1]
	s_delay_alu instid0(VALU_DEP_3) | instskip(NEXT) | instid1(VALU_DEP_1)
	v_add_nc_u32_e32 v32, s2, v30
	v_dual_add_nc_u32 v34, s2, v32 :: v_dual_ashrrev_i32 v19, 31, v18
	v_ashrrev_i32_e32 v21, 31, v20
	s_delay_alu instid0(VALU_DEP_2) | instskip(NEXT) | instid1(VALU_DEP_3)
	v_dual_ashrrev_i32 v33, 31, v32 :: v_dual_add_nc_u32 v36, s2, v34
	v_lshl_add_u64 v[18:19], v[18:19], 3, v[0:1]
	s_delay_alu instid0(VALU_DEP_3) | instskip(NEXT) | instid1(VALU_DEP_3)
	v_lshl_add_u64 v[20:21], v[20:21], 3, v[0:1]
	v_dual_add_nc_u32 v38, s2, v36 :: v_dual_ashrrev_i32 v27, 31, v26
	s_delay_alu instid0(VALU_DEP_1) | instskip(NEXT) | instid1(VALU_DEP_1)
	v_dual_ashrrev_i32 v37, 31, v36 :: v_dual_add_nc_u32 v40, s2, v38
	v_dual_ashrrev_i32 v35, 31, v34 :: v_dual_ashrrev_i32 v41, 31, v40
	v_add_nc_u32_e32 v42, s2, v40
	s_delay_alu instid0(VALU_DEP_1) | instskip(NEXT) | instid1(VALU_DEP_1)
	v_add_nc_u32_e32 v44, s2, v42
	v_dual_ashrrev_i32 v15, 31, v14 :: v_dual_add_nc_u32 v46, s2, v44
	s_delay_alu instid0(VALU_DEP_1)
	v_lshl_add_u64 v[14:15], v[14:15], 3, v[0:1]
	s_clause 0x3
	global_load_b64 v[24:25], v[10:11], off
	global_load_b64 v[16:17], v[12:13], off
	;; [unrolled: 1-line block ×4, first 2 shown]
	v_add_nc_u32_e32 v50, s2, v46
	s_wait_xcnt 0x3
	v_lshl_add_u64 v[10:11], s[2:3], 3, v[28:29]
	s_clause 0x3
	global_load_b64 v[72:73], v[48:49], off
	global_load_b64 v[58:59], v[52:53], off
	;; [unrolled: 1-line block ×4, first 2 shown]
	v_dual_ashrrev_i32 v45, 31, v44 :: v_dual_add_nc_u32 v54, s2, v50
	s_delay_alu instid0(VALU_DEP_1) | instskip(SKIP_1) | instid1(VALU_DEP_1)
	v_add_nc_u32_e32 v60, s2, v54
	s_wait_xcnt 0x4
	v_dual_add_nc_u32 v56, s2, v60 :: v_dual_ashrrev_i32 v47, 31, v46
	v_ashrrev_i32_e32 v61, 31, v60
	s_wait_xcnt 0x3
	s_delay_alu instid0(VALU_DEP_2) | instskip(SKIP_1) | instid1(VALU_DEP_2)
	v_dual_add_nc_u32 v48, s2, v56 :: v_dual_ashrrev_i32 v23, 31, v22
	v_dual_ashrrev_i32 v55, 31, v54 :: v_dual_ashrrev_i32 v57, 31, v56
	v_add_nc_u32_e32 v62, s2, v48
	s_delay_alu instid0(VALU_DEP_3)
	v_lshl_add_u64 v[14:15], v[22:23], 3, v[0:1]
	v_lshl_add_u64 v[22:23], v[26:27], 3, v[0:1]
	s_clause 0x3
	global_load_b64 v[28:29], v[18:19], off
	global_load_b64 v[26:27], v[20:21], off
	;; [unrolled: 1-line block ×4, first 2 shown]
	v_add_nc_u32_e32 v64, s2, v62
	v_ashrrev_i32_e32 v31, 31, v30
	s_wait_xcnt 0x0
	v_lshl_add_u64 v[22:23], v[32:33], 3, v[0:1]
	v_lshl_add_u64 v[32:33], v[36:37], 3, v[0:1]
	v_dual_ashrrev_i32 v51, 31, v50 :: v_dual_ashrrev_i32 v65, 31, v64
	v_add_nc_u32_e32 v66, s2, v64
	v_lshl_add_u64 v[20:21], v[30:31], 3, v[0:1]
	v_lshl_add_u64 v[30:31], v[34:35], 3, v[0:1]
	s_clause 0x3
	global_load_b64 v[36:37], v[20:21], off
	global_load_b64 v[34:35], v[22:23], off
	;; [unrolled: 1-line block ×4, first 2 shown]
	v_add_nc_u32_e32 v68, s2, v66
	v_ashrrev_i32_e32 v39, 31, v38
	s_wait_xcnt 0x0
	v_lshl_add_u64 v[32:33], v[40:41], 3, v[0:1]
	v_lshl_add_u64 v[40:41], v[44:45], 3, v[0:1]
	v_dual_ashrrev_i32 v63, 31, v62 :: v_dual_ashrrev_i32 v69, 31, v68
	v_add_nc_u32_e32 v70, s2, v68
	v_lshl_add_u64 v[30:31], v[38:39], 3, v[0:1]
	v_lshl_add_u64 v[64:65], v[64:65], 3, v[0:1]
	v_ashrrev_i32_e32 v49, 31, v48
	v_lshl_add_u64 v[82:83], v[68:69], 3, v[0:1]
	v_add_nc_u32_e32 v74, s2, v70
	s_delay_alu instid0(VALU_DEP_3) | instskip(NEXT) | instid1(VALU_DEP_2)
	v_lshl_add_u64 v[48:49], v[48:49], 3, v[0:1]
	v_add_nc_u32_e32 v76, s2, v74
	s_delay_alu instid0(VALU_DEP_1) | instskip(NEXT) | instid1(VALU_DEP_1)
	v_dual_ashrrev_i32 v43, 31, v42 :: v_dual_add_nc_u32 v78, s2, v76
	v_lshl_add_u64 v[38:39], v[42:43], 3, v[0:1]
	s_clause 0x3
	global_load_b64 v[44:45], v[30:31], off
	global_load_b64 v[42:43], v[32:33], off
	;; [unrolled: 1-line block ×4, first 2 shown]
	s_wait_xcnt 0x1
	v_lshl_add_u64 v[38:39], v[46:47], 3, v[0:1]
	v_add_nc_u32_e32 v80, s2, v78
	s_wait_xcnt 0x0
	v_lshl_add_u64 v[40:41], v[50:51], 3, v[0:1]
	v_lshl_add_u64 v[46:47], v[54:55], 3, v[0:1]
	;; [unrolled: 1-line block ×3, first 2 shown]
	s_clause 0x3
	global_load_b64 v[52:53], v[38:39], off
	global_load_b64 v[50:51], v[40:41], off
	;; [unrolled: 1-line block ×4, first 2 shown]
	s_wait_xcnt 0x0
	v_add_nc_u32_e32 v54, s2, v80
	v_lshl_add_u64 v[46:47], v[56:57], 3, v[0:1]
	v_lshl_add_u64 v[56:57], v[62:63], 3, v[0:1]
	s_clause 0x3
	global_load_b64 v[62:63], v[46:47], off
	global_load_b64 v[60:61], v[48:49], off
	;; [unrolled: 1-line block ×4, first 2 shown]
	v_dual_add_nc_u32 v86, s2, v54 :: v_dual_ashrrev_i32 v77, 31, v76
	s_delay_alu instid0(VALU_DEP_1) | instskip(NEXT) | instid1(VALU_DEP_2)
	v_add_nc_u32_e32 v88, s2, v86
	v_lshl_add_u64 v[76:77], v[76:77], 3, v[0:1]
	s_wait_xcnt 0x0
	s_delay_alu instid0(VALU_DEP_2) | instskip(SKIP_2) | instid1(VALU_DEP_3)
	v_dual_ashrrev_i32 v87, 31, v86 :: v_dual_add_nc_u32 v64, s2, v88
	v_dual_ashrrev_i32 v67, 31, v66 :: v_dual_ashrrev_i32 v89, 31, v88
	v_dual_ashrrev_i32 v75, 31, v74 :: v_dual_ashrrev_i32 v81, 31, v80
	;; [unrolled: 1-line block ×3, first 2 shown]
	s_delay_alu instid0(VALU_DEP_3) | instskip(SKIP_1) | instid1(VALU_DEP_4)
	v_lshl_add_u64 v[56:57], v[66:67], 3, v[0:1]
	v_add_nc_u32_e32 v66, s2, v64
	v_lshl_add_u64 v[74:75], v[74:75], 3, v[0:1]
	s_delay_alu instid0(VALU_DEP_4) | instskip(SKIP_1) | instid1(VALU_DEP_4)
	v_lshl_add_u64 v[78:79], v[78:79], 3, v[0:1]
	v_lshl_add_u64 v[80:81], v[80:81], 3, v[0:1]
	v_add_nc_u32_e32 v96, s2, v66
	v_ashrrev_i32_e32 v71, 31, v70
	s_delay_alu instid0(VALU_DEP_2) | instskip(NEXT) | instid1(VALU_DEP_2)
	v_dual_ashrrev_i32 v55, 31, v54 :: v_dual_ashrrev_i32 v97, 31, v96
	v_lshl_add_u64 v[84:85], v[70:71], 3, v[0:1]
	s_clause 0x3
	global_load_b64 v[70:71], v[56:57], off
	global_load_b64 v[68:69], v[82:83], off
	;; [unrolled: 1-line block ×4, first 2 shown]
	s_wait_xcnt 0x0
	v_add_nc_u32_e32 v74, s2, v96
	v_lshl_add_u64 v[92:93], v[54:55], 3, v[0:1]
	s_clause 0x3
	global_load_b64 v[84:85], v[76:77], off
	global_load_b64 v[82:83], v[78:79], off
	;; [unrolled: 1-line block ×4, first 2 shown]
	s_wait_xcnt 0x3
	v_lshl_add_u64 v[76:77], v[86:87], 3, v[0:1]
	v_add_nc_u32_e32 v98, s2, v74
	v_lshl_add_u64 v[86:87], v[88:89], 3, v[0:1]
	v_lshl_add_u64 v[88:89], v[64:65], 3, v[0:1]
	s_delay_alu instid0(VALU_DEP_3) | instskip(SKIP_1) | instid1(VALU_DEP_1)
	v_add_nc_u32_e32 v102, s2, v98
	s_wait_xcnt 0x2
	v_add_nc_u32_e32 v78, s2, v102
	s_wait_xcnt 0x1
	s_delay_alu instid0(VALU_DEP_1) | instskip(NEXT) | instid1(VALU_DEP_1)
	v_add_nc_u32_e32 v80, s2, v78
	v_dual_add_nc_u32 v106, s2, v80 :: v_dual_ashrrev_i32 v99, 31, v98
	v_ashrrev_i32_e32 v103, 31, v102
	v_ashrrev_i32_e32 v79, 31, v78
	v_dual_ashrrev_i32 v67, 31, v66 :: v_dual_ashrrev_i32 v81, 31, v80
	s_delay_alu instid0(VALU_DEP_4) | instskip(SKIP_2) | instid1(VALU_DEP_4)
	v_ashrrev_i32_e32 v107, 31, v106
	v_lshl_add_u64 v[98:99], v[98:99], 3, v[0:1]
	v_lshl_add_u64 v[116:117], v[102:103], 3, v[0:1]
	;; [unrolled: 1-line block ×3, first 2 shown]
	s_clause 0x3
	global_load_b64 v[94:95], v[76:77], off
	global_load_b64 v[92:93], v[86:87], off
	;; [unrolled: 1-line block ×4, first 2 shown]
	s_wait_xcnt 0x2
	v_add_nc_u32_e32 v86, s2, v106
	s_wait_xcnt 0x1
	v_lshl_add_u64 v[88:89], v[96:97], 3, v[0:1]
	v_lshl_add_u64 v[120:121], v[80:81], 3, v[0:1]
	;; [unrolled: 1-line block ×3, first 2 shown]
	v_add_nc_u32_e32 v112, s2, v86
	v_ashrrev_i32_e32 v75, 31, v74
	s_delay_alu instid0(VALU_DEP_2) | instskip(NEXT) | instid1(VALU_DEP_2)
	v_dual_ashrrev_i32 v87, 31, v86 :: v_dual_add_nc_u32 v118, s2, v112
	v_lshl_add_u64 v[96:97], v[74:75], 3, v[0:1]
	s_clause 0x3
	global_load_b64 v[104:105], v[88:89], off
	global_load_b64 v[102:103], v[96:97], off
	;; [unrolled: 1-line block ×4, first 2 shown]
	s_wait_xcnt 0x0
	v_lshl_add_u64 v[116:117], v[78:79], 3, v[0:1]
	v_dual_add_nc_u32 v78, s2, v118 :: v_dual_ashrrev_i32 v113, 31, v112
	v_ashrrev_i32_e32 v119, 31, v118
	v_lshl_add_u64 v[124:125], v[86:87], 3, v[0:1]
	s_delay_alu instid0(VALU_DEP_3) | instskip(NEXT) | instid1(VALU_DEP_4)
	v_ashrrev_i32_e32 v79, 31, v78
	v_lshl_add_u64 v[112:113], v[112:113], 3, v[0:1]
	s_delay_alu instid0(VALU_DEP_4) | instskip(NEXT) | instid1(VALU_DEP_3)
	v_lshl_add_u64 v[118:119], v[118:119], 3, v[0:1]
	v_lshl_add_u64 v[126:127], v[78:79], 3, v[0:1]
	s_clause 0x6
	global_load_b64 v[98:99], v[116:117], off
	global_load_b64 v[96:97], v[120:121], off
	;; [unrolled: 1-line block ×7, first 2 shown]
	s_wait_xcnt 0x2
	v_mul_lo_u32 v113, s4, v110
	s_load_b64 s[4:5], s[0:1], 0x40
	s_delay_alu instid0(VALU_DEP_1) | instskip(NEXT) | instid1(VALU_DEP_1)
	v_lshl_add_u32 v112, v113, 3, 0
	v_dual_lshlrev_b32 v113, 3, v113 :: v_dual_add_nc_u32 v108, v112, v108
	s_wait_loadcnt 0x2c
	ds_store_b64 v108, v[100:101]
	s_wait_loadcnt_dscnt 0x0
	s_barrier_signal -1
	s_barrier_wait -1
	ds_load_b64 v[110:111], v112
	s_cbranch_scc1 .LBB100_6
; %bb.4:
	v_add3_u32 v108, v113, 0, 8
	v_mov_b32_e32 v109, 0
	s_wait_xcnt 0x0
	s_mov_b32 s0, 1
.LBB100_5:                              ; =>This Inner Loop Header: Depth=1
	ds_load_b64 v[116:117], v108
	s_wait_dscnt 0x1
	v_cmp_gt_f32_e32 vcc_lo, 0, v110
	v_cndmask_b32_e64 v118, v110, -v110, vcc_lo
	v_cmp_gt_f32_e32 vcc_lo, 0, v111
	v_cndmask_b32_e64 v120, v111, -v111, vcc_lo
	s_wait_dscnt 0x0
	v_cmp_gt_f32_e32 vcc_lo, 0, v116
	v_cndmask_b32_e64 v119, v116, -v116, vcc_lo
	v_cmp_gt_f32_e32 vcc_lo, 0, v117
	v_cndmask_b32_e64 v121, v117, -v117, vcc_lo
	s_delay_alu instid0(VALU_DEP_1) | instskip(NEXT) | instid1(VALU_DEP_1)
	v_pk_add_f32 v[118:119], v[118:119], v[120:121]
	v_cmp_lt_f32_e32 vcc_lo, v118, v119
	v_dual_cndmask_b32 v111, v111, v117 :: v_dual_add_nc_u32 v108, 8, v108
	v_cndmask_b32_e32 v110, v110, v116, vcc_lo
	v_cndmask_b32_e64 v109, v109, s0, vcc_lo
	s_add_co_i32 s0, s0, 1
	s_delay_alu instid0(SALU_CYCLE_1)
	s_cmp_eq_u32 s18, s0
	s_cbranch_scc0 .LBB100_5
.LBB100_6:
	s_wait_dscnt 0x0
	v_cmp_neq_f32_e32 vcc_lo, 0, v110
	s_wait_xcnt 0x0
	v_cmp_neq_f32_e64 s0, 0, v111
	v_dual_mov_b32 v114, 1 :: v_dual_mov_b32 v117, 1
	s_or_b32 s1, vcc_lo, s0
	s_delay_alu instid0(SALU_CYCLE_1)
	s_and_saveexec_b32 s0, s1
	s_cbranch_execz .LBB100_12
; %bb.7:
	v_cmp_ngt_f32_e64 s1, |v110|, |v111|
	s_and_saveexec_b32 s12, s1
	s_delay_alu instid0(SALU_CYCLE_1)
	s_xor_b32 s1, exec_lo, s12
	s_cbranch_execz .LBB100_9
; %bb.8:
	v_div_scale_f32 v108, null, v111, v111, v110
	v_div_scale_f32 v117, vcc_lo, v110, v111, v110
	s_delay_alu instid0(VALU_DEP_2) | instskip(SKIP_1) | instid1(TRANS32_DEP_1)
	v_rcp_f32_e32 v114, v108
	v_nop
	v_fma_f32 v116, -v108, v114, 1.0
	s_delay_alu instid0(VALU_DEP_1) | instskip(NEXT) | instid1(VALU_DEP_1)
	v_fmac_f32_e32 v114, v116, v114
	v_mul_f32_e32 v116, v117, v114
	s_delay_alu instid0(VALU_DEP_1) | instskip(NEXT) | instid1(VALU_DEP_1)
	v_fma_f32 v118, -v108, v116, v117
	v_fmac_f32_e32 v116, v118, v114
	s_delay_alu instid0(VALU_DEP_1) | instskip(NEXT) | instid1(VALU_DEP_1)
	v_fma_f32 v108, -v108, v116, v117
	v_div_fmas_f32 v108, v108, v114, v116
	s_delay_alu instid0(VALU_DEP_1) | instskip(NEXT) | instid1(VALU_DEP_1)
	v_div_fixup_f32 v108, v108, v111, v110
	v_fmac_f32_e32 v111, v110, v108
	s_delay_alu instid0(VALU_DEP_1) | instskip(SKIP_1) | instid1(VALU_DEP_2)
	v_div_scale_f32 v110, null, v111, v111, 1.0
	v_div_scale_f32 v117, vcc_lo, 1.0, v111, 1.0
	v_rcp_f32_e32 v114, v110
	v_nop
	s_delay_alu instid0(TRANS32_DEP_1) | instskip(NEXT) | instid1(VALU_DEP_1)
	v_fma_f32 v116, -v110, v114, 1.0
	v_fmac_f32_e32 v114, v116, v114
	s_delay_alu instid0(VALU_DEP_1) | instskip(NEXT) | instid1(VALU_DEP_1)
	v_mul_f32_e32 v116, v117, v114
	v_fma_f32 v118, -v110, v116, v117
	s_delay_alu instid0(VALU_DEP_1) | instskip(NEXT) | instid1(VALU_DEP_1)
	v_fmac_f32_e32 v116, v118, v114
	v_fma_f32 v110, -v110, v116, v117
	s_delay_alu instid0(VALU_DEP_1) | instskip(NEXT) | instid1(VALU_DEP_1)
	v_div_fmas_f32 v110, v110, v114, v116
	v_div_fixup_f32 v111, v110, v111, 1.0
	s_delay_alu instid0(VALU_DEP_1)
	v_mul_f32_e32 v110, v108, v111
	v_xor_b32_e32 v111, 0x80000000, v111
.LBB100_9:
	s_and_not1_saveexec_b32 s1, s1
	s_cbranch_execz .LBB100_11
; %bb.10:
	s_delay_alu instid0(VALU_DEP_1) | instskip(SKIP_1) | instid1(VALU_DEP_2)
	v_div_scale_f32 v108, null, v110, v110, v111
	v_div_scale_f32 v117, vcc_lo, v111, v110, v111
	v_rcp_f32_e32 v114, v108
	v_nop
	s_delay_alu instid0(TRANS32_DEP_1) | instskip(NEXT) | instid1(VALU_DEP_1)
	v_fma_f32 v116, -v108, v114, 1.0
	v_fmac_f32_e32 v114, v116, v114
	s_delay_alu instid0(VALU_DEP_1) | instskip(NEXT) | instid1(VALU_DEP_1)
	v_mul_f32_e32 v116, v117, v114
	v_fma_f32 v118, -v108, v116, v117
	s_delay_alu instid0(VALU_DEP_1) | instskip(NEXT) | instid1(VALU_DEP_1)
	v_fmac_f32_e32 v116, v118, v114
	v_fma_f32 v108, -v108, v116, v117
	s_delay_alu instid0(VALU_DEP_1) | instskip(NEXT) | instid1(VALU_DEP_1)
	v_div_fmas_f32 v108, v108, v114, v116
	v_div_fixup_f32 v108, v108, v110, v111
	s_delay_alu instid0(VALU_DEP_1) | instskip(NEXT) | instid1(VALU_DEP_1)
	v_fmac_f32_e32 v110, v111, v108
	v_div_scale_f32 v111, null, v110, v110, 1.0
	s_delay_alu instid0(VALU_DEP_1) | instskip(SKIP_1) | instid1(TRANS32_DEP_1)
	v_rcp_f32_e32 v114, v111
	v_nop
	v_fma_f32 v116, -v111, v114, 1.0
	s_delay_alu instid0(VALU_DEP_1) | instskip(SKIP_1) | instid1(VALU_DEP_1)
	v_fmac_f32_e32 v114, v116, v114
	v_div_scale_f32 v116, vcc_lo, 1.0, v110, 1.0
	v_mul_f32_e32 v117, v116, v114
	s_delay_alu instid0(VALU_DEP_1) | instskip(NEXT) | instid1(VALU_DEP_1)
	v_fma_f32 v118, -v111, v117, v116
	v_fmac_f32_e32 v117, v118, v114
	s_delay_alu instid0(VALU_DEP_1) | instskip(NEXT) | instid1(VALU_DEP_1)
	v_fma_f32 v111, -v111, v117, v116
	v_div_fmas_f32 v111, v111, v114, v117
	s_delay_alu instid0(VALU_DEP_1) | instskip(NEXT) | instid1(VALU_DEP_1)
	v_div_fixup_f32 v110, v111, v110, 1.0
	v_mul_f32_e64 v111, v108, -v110
.LBB100_11:
	s_or_b32 exec_lo, exec_lo, s1
	v_dual_mov_b32 v117, 0 :: v_dual_mov_b32 v114, 2
.LBB100_12:
	s_or_b32 exec_lo, exec_lo, s0
	s_delay_alu instid0(SALU_CYCLE_1)
	s_mov_b32 s0, exec_lo
	v_cmpx_ne_u32_e64 v115, v109
	s_xor_b32 s0, exec_lo, s0
	s_cbranch_execz .LBB100_18
; %bb.13:
	s_mov_b32 s1, exec_lo
	v_cmpx_eq_u32_e32 0, v115
	s_cbranch_execz .LBB100_17
; %bb.14:
	v_cmp_ne_u32_e32 vcc_lo, 0, v109
	s_xor_b32 s12, s16, -1
	s_delay_alu instid0(SALU_CYCLE_1) | instskip(NEXT) | instid1(SALU_CYCLE_1)
	s_and_b32 s13, s12, vcc_lo
	s_and_saveexec_b32 s12, s13
	s_cbranch_execz .LBB100_16
; %bb.15:
	v_dual_mov_b32 v118, v109 :: v_dual_ashrrev_i32 v119, 31, v109
	s_delay_alu instid0(VALU_DEP_1)
	v_lshl_add_u64 v[118:119], v[118:119], 2, v[4:5]
	s_clause 0x1
	global_load_b32 v108, v[118:119], off
	global_load_b32 v115, v[4:5], off
	s_wait_loadcnt 0x1
	global_store_b32 v[4:5], v108, off
	s_wait_loadcnt 0x0
	global_store_b32 v[118:119], v115, off
.LBB100_16:
	s_wait_xcnt 0x0
	s_or_b32 exec_lo, exec_lo, s12
	v_mov_b32_e32 v115, v109
.LBB100_17:
	s_or_b32 exec_lo, exec_lo, s1
.LBB100_18:
	s_or_saveexec_b32 s0, s0
	s_delay_alu instid0(VALU_DEP_1)
	v_mov_b32_e32 v116, v115
	s_xor_b32 exec_lo, exec_lo, s0
	s_cbranch_execz .LBB100_20
; %bb.19:
	v_mov_b32_e32 v116, 0
	ds_store_2addr_b64 v112, v[90:91], v[72:73] offset0:1 offset1:2
	ds_store_2addr_b64 v112, v[58:59], v[24:25] offset0:3 offset1:4
	;; [unrolled: 1-line block ×25, first 2 shown]
.LBB100_20:
	s_or_b32 exec_lo, exec_lo, s0
	s_delay_alu instid0(SALU_CYCLE_1)
	s_mov_b32 s0, exec_lo
	s_wait_storecnt_dscnt 0x0
	s_barrier_signal -1
	s_barrier_wait -1
	v_cmpx_lt_i32_e32 0, v116
	s_cbranch_execz .LBB100_22
; %bb.21:
	v_pk_mul_f32 v[118:119], v[110:111], v[100:101] op_sel:[1,1] op_sel_hi:[0,1]
	s_delay_alu instid0(VALU_DEP_1)
	v_pk_fma_f32 v[108:109], v[110:111], v[100:101], v[118:119] op_sel_hi:[1,0,1] neg_lo:[0,0,1] neg_hi:[0,0,1]
	v_pk_fma_f32 v[110:111], v[110:111], v[100:101], v[118:119] op_sel_hi:[1,0,1]
	ds_load_2addr_b64 v[118:121], v112 offset0:1 offset1:2
	v_dual_mov_b32 v100, v108 :: v_dual_mov_b32 v101, v111
	s_wait_dscnt 0x0
	v_pk_mul_f32 v[122:123], v[118:119], v[110:111] op_sel:[0,1]
	s_delay_alu instid0(VALU_DEP_1) | instskip(SKIP_1) | instid1(VALU_DEP_1)
	v_pk_fma_f32 v[124:125], v[118:119], v[108:109], v[122:123] op_sel:[0,0,1] op_sel_hi:[1,1,0] neg_lo:[0,0,1] neg_hi:[0,0,1]
	v_pk_fma_f32 v[118:119], v[118:119], v[108:109], v[122:123] op_sel:[0,0,1] op_sel_hi:[1,0,0]
	v_mov_b32_e32 v125, v119
	v_pk_mul_f32 v[118:119], v[120:121], v[110:111] op_sel:[0,1]
	s_delay_alu instid0(VALU_DEP_1) | instskip(SKIP_1) | instid1(VALU_DEP_1)
	v_pk_fma_f32 v[122:123], v[120:121], v[108:109], v[118:119] op_sel:[0,0,1] op_sel_hi:[1,1,0] neg_lo:[0,0,1] neg_hi:[0,0,1]
	v_pk_fma_f32 v[118:119], v[120:121], v[108:109], v[118:119] op_sel:[0,0,1] op_sel_hi:[1,0,0]
	v_mov_b32_e32 v123, v119
	ds_load_2addr_b64 v[118:121], v112 offset0:3 offset1:4
	v_pk_add_f32 v[90:91], v[90:91], v[124:125] neg_lo:[0,1] neg_hi:[0,1]
	v_pk_add_f32 v[72:73], v[72:73], v[122:123] neg_lo:[0,1] neg_hi:[0,1]
	s_wait_dscnt 0x0
	v_pk_mul_f32 v[122:123], v[118:119], v[110:111] op_sel:[0,1]
	s_delay_alu instid0(VALU_DEP_1) | instskip(SKIP_2) | instid1(VALU_DEP_2)
	v_pk_fma_f32 v[124:125], v[118:119], v[108:109], v[122:123] op_sel:[0,0,1] op_sel_hi:[1,1,0] neg_lo:[0,0,1] neg_hi:[0,0,1]
	v_pk_fma_f32 v[118:119], v[118:119], v[108:109], v[122:123] op_sel:[0,0,1] op_sel_hi:[1,0,0]
	v_dual_mul_f32 v122, v121, v111 :: v_dual_mov_b32 v118, v121
	v_dual_mov_b32 v125, v119 :: v_dual_mov_b32 v119, v120
	s_delay_alu instid0(VALU_DEP_2) | instskip(SKIP_1) | instid1(VALU_DEP_3)
	v_pk_fma_f32 v[122:123], v[120:121], v[100:101], v[122:123] op_sel_hi:[1,1,0] neg_lo:[0,0,1] neg_hi:[0,0,1]
	v_mul_f32_e32 v120, v121, v108
	v_pk_add_f32 v[58:59], v[58:59], v[124:125] neg_lo:[0,1] neg_hi:[0,1]
	s_delay_alu instid0(VALU_DEP_2) | instskip(NEXT) | instid1(VALU_DEP_1)
	v_pk_fma_f32 v[118:119], v[118:119], v[100:101], v[120:121] op_sel_hi:[1,1,0]
	v_mov_b32_e32 v123, v119
	ds_load_2addr_b64 v[118:121], v112 offset0:5 offset1:6
	v_pk_add_f32 v[24:25], v[24:25], v[122:123] neg_lo:[0,1] neg_hi:[0,1]
	s_wait_dscnt 0x0
	v_pk_mul_f32 v[122:123], v[118:119], v[110:111] op_sel:[0,1]
	s_delay_alu instid0(VALU_DEP_1) | instskip(SKIP_1) | instid1(VALU_DEP_1)
	v_pk_fma_f32 v[124:125], v[118:119], v[108:109], v[122:123] op_sel:[0,0,1] op_sel_hi:[1,1,0] neg_lo:[0,0,1] neg_hi:[0,0,1]
	v_pk_fma_f32 v[118:119], v[118:119], v[108:109], v[122:123] op_sel:[0,0,1] op_sel_hi:[1,0,0]
	v_mov_b32_e32 v125, v119
	v_pk_mul_f32 v[118:119], v[120:121], v[110:111] op_sel:[0,1]
	s_delay_alu instid0(VALU_DEP_1) | instskip(SKIP_1) | instid1(VALU_DEP_1)
	v_pk_fma_f32 v[122:123], v[120:121], v[108:109], v[118:119] op_sel:[0,0,1] op_sel_hi:[1,1,0] neg_lo:[0,0,1] neg_hi:[0,0,1]
	v_pk_fma_f32 v[118:119], v[120:121], v[108:109], v[118:119] op_sel:[0,0,1] op_sel_hi:[1,0,0]
	v_mov_b32_e32 v123, v119
	ds_load_2addr_b64 v[118:121], v112 offset0:7 offset1:8
	v_pk_add_f32 v[16:17], v[16:17], v[124:125] neg_lo:[0,1] neg_hi:[0,1]
	v_pk_add_f32 v[8:9], v[8:9], v[122:123] neg_lo:[0,1] neg_hi:[0,1]
	s_wait_dscnt 0x0
	v_pk_mul_f32 v[122:123], v[118:119], v[110:111] op_sel:[0,1]
	s_delay_alu instid0(VALU_DEP_1) | instskip(SKIP_1) | instid1(VALU_DEP_1)
	v_pk_fma_f32 v[124:125], v[118:119], v[108:109], v[122:123] op_sel:[0,0,1] op_sel_hi:[1,1,0] neg_lo:[0,0,1] neg_hi:[0,0,1]
	v_pk_fma_f32 v[118:119], v[118:119], v[108:109], v[122:123] op_sel:[0,0,1] op_sel_hi:[1,0,0]
	v_mov_b32_e32 v125, v119
	v_pk_mul_f32 v[118:119], v[120:121], v[110:111] op_sel:[0,1]
	s_delay_alu instid0(VALU_DEP_1) | instskip(SKIP_1) | instid1(VALU_DEP_1)
	v_pk_fma_f32 v[122:123], v[120:121], v[108:109], v[118:119] op_sel:[0,0,1] op_sel_hi:[1,1,0] neg_lo:[0,0,1] neg_hi:[0,0,1]
	v_pk_fma_f32 v[118:119], v[120:121], v[108:109], v[118:119] op_sel:[0,0,1] op_sel_hi:[1,0,0]
	v_mov_b32_e32 v123, v119
	ds_load_2addr_b64 v[118:121], v112 offset0:9 offset1:10
	v_pk_add_f32 v[6:7], v[6:7], v[124:125] neg_lo:[0,1] neg_hi:[0,1]
	v_pk_add_f32 v[28:29], v[28:29], v[122:123] neg_lo:[0,1] neg_hi:[0,1]
	s_wait_dscnt 0x0
	v_dual_mul_f32 v122, v119, v111 :: v_dual_mul_f32 v124, v119, v108
	s_delay_alu instid0(VALU_DEP_1) | instskip(NEXT) | instid1(VALU_DEP_2)
	v_pk_fma_f32 v[122:123], v[118:119], v[100:101], v[122:123] op_sel_hi:[1,1,0] neg_lo:[0,0,1] neg_hi:[0,0,1]
	v_pk_fma_f32 v[118:119], v[118:119], v[100:101], v[124:125] op_sel:[1,0,0] op_sel_hi:[0,1,0]
	s_delay_alu instid0(VALU_DEP_1) | instskip(SKIP_1) | instid1(VALU_DEP_2)
	v_mov_b32_e32 v123, v119
	v_pk_mul_f32 v[118:119], v[120:121], v[110:111] op_sel:[0,1]
	v_pk_add_f32 v[26:27], v[26:27], v[122:123] neg_lo:[0,1] neg_hi:[0,1]
	s_delay_alu instid0(VALU_DEP_2) | instskip(SKIP_1) | instid1(VALU_DEP_1)
	v_pk_fma_f32 v[122:123], v[120:121], v[108:109], v[118:119] op_sel:[0,0,1] op_sel_hi:[1,1,0] neg_lo:[0,0,1] neg_hi:[0,0,1]
	v_pk_fma_f32 v[118:119], v[120:121], v[108:109], v[118:119] op_sel:[0,0,1] op_sel_hi:[1,0,0]
	v_mov_b32_e32 v123, v119
	ds_load_2addr_b64 v[118:121], v112 offset0:11 offset1:12
	v_pk_add_f32 v[12:13], v[12:13], v[122:123] neg_lo:[0,1] neg_hi:[0,1]
	s_wait_dscnt 0x0
	v_pk_mul_f32 v[122:123], v[118:119], v[110:111] op_sel:[0,1]
	s_delay_alu instid0(VALU_DEP_1) | instskip(SKIP_1) | instid1(VALU_DEP_1)
	v_pk_fma_f32 v[124:125], v[118:119], v[108:109], v[122:123] op_sel:[0,0,1] op_sel_hi:[1,1,0] neg_lo:[0,0,1] neg_hi:[0,0,1]
	v_pk_fma_f32 v[118:119], v[118:119], v[108:109], v[122:123] op_sel:[0,0,1] op_sel_hi:[1,0,0]
	v_mov_b32_e32 v125, v119
	v_pk_mul_f32 v[118:119], v[120:121], v[110:111] op_sel:[0,1]
	s_delay_alu instid0(VALU_DEP_2) | instskip(NEXT) | instid1(VALU_DEP_2)
	v_pk_add_f32 v[10:11], v[10:11], v[124:125] neg_lo:[0,1] neg_hi:[0,1]
	v_pk_fma_f32 v[122:123], v[120:121], v[108:109], v[118:119] op_sel:[0,0,1] op_sel_hi:[1,1,0] neg_lo:[0,0,1] neg_hi:[0,0,1]
	v_pk_fma_f32 v[118:119], v[120:121], v[108:109], v[118:119] op_sel:[0,0,1] op_sel_hi:[1,0,0]
	s_delay_alu instid0(VALU_DEP_1) | instskip(SKIP_4) | instid1(VALU_DEP_1)
	v_mov_b32_e32 v123, v119
	ds_load_2addr_b64 v[118:121], v112 offset0:13 offset1:14
	v_pk_add_f32 v[36:37], v[36:37], v[122:123] neg_lo:[0,1] neg_hi:[0,1]
	s_wait_dscnt 0x0
	v_pk_mul_f32 v[122:123], v[118:119], v[110:111] op_sel:[0,1]
	v_pk_fma_f32 v[124:125], v[118:119], v[108:109], v[122:123] op_sel:[0,0,1] op_sel_hi:[1,1,0] neg_lo:[0,0,1] neg_hi:[0,0,1]
	v_pk_fma_f32 v[118:119], v[118:119], v[108:109], v[122:123] op_sel:[0,0,1] op_sel_hi:[1,0,0]
	v_dual_mul_f32 v122, v121, v111 :: v_dual_mov_b32 v118, v121
	s_delay_alu instid0(VALU_DEP_2) | instskip(NEXT) | instid1(VALU_DEP_2)
	v_dual_mov_b32 v125, v119 :: v_dual_mov_b32 v119, v120
	v_pk_fma_f32 v[122:123], v[120:121], v[100:101], v[122:123] op_sel_hi:[1,1,0] neg_lo:[0,0,1] neg_hi:[0,0,1]
	v_mul_f32_e32 v120, v121, v108
	s_delay_alu instid0(VALU_DEP_3) | instskip(NEXT) | instid1(VALU_DEP_2)
	v_pk_add_f32 v[34:35], v[34:35], v[124:125] neg_lo:[0,1] neg_hi:[0,1]
	v_pk_fma_f32 v[118:119], v[118:119], v[100:101], v[120:121] op_sel_hi:[1,1,0]
	s_delay_alu instid0(VALU_DEP_1) | instskip(SKIP_4) | instid1(VALU_DEP_1)
	v_mov_b32_e32 v123, v119
	ds_load_2addr_b64 v[118:121], v112 offset0:15 offset1:16
	v_pk_add_f32 v[18:19], v[18:19], v[122:123] neg_lo:[0,1] neg_hi:[0,1]
	s_wait_dscnt 0x0
	v_pk_mul_f32 v[122:123], v[118:119], v[110:111] op_sel:[0,1]
	v_pk_fma_f32 v[124:125], v[118:119], v[108:109], v[122:123] op_sel:[0,0,1] op_sel_hi:[1,1,0] neg_lo:[0,0,1] neg_hi:[0,0,1]
	v_pk_fma_f32 v[118:119], v[118:119], v[108:109], v[122:123] op_sel:[0,0,1] op_sel_hi:[1,0,0]
	s_delay_alu instid0(VALU_DEP_1) | instskip(SKIP_1) | instid1(VALU_DEP_1)
	v_mov_b32_e32 v125, v119
	v_pk_mul_f32 v[118:119], v[120:121], v[110:111] op_sel:[0,1]
	v_pk_fma_f32 v[122:123], v[120:121], v[108:109], v[118:119] op_sel:[0,0,1] op_sel_hi:[1,1,0] neg_lo:[0,0,1] neg_hi:[0,0,1]
	v_pk_fma_f32 v[118:119], v[120:121], v[108:109], v[118:119] op_sel:[0,0,1] op_sel_hi:[1,0,0]
	s_delay_alu instid0(VALU_DEP_1)
	v_mov_b32_e32 v123, v119
	ds_load_2addr_b64 v[118:121], v112 offset0:17 offset1:18
	v_pk_add_f32 v[14:15], v[14:15], v[124:125] neg_lo:[0,1] neg_hi:[0,1]
	v_pk_add_f32 v[44:45], v[44:45], v[122:123] neg_lo:[0,1] neg_hi:[0,1]
	s_wait_dscnt 0x0
	v_pk_mul_f32 v[122:123], v[118:119], v[110:111] op_sel:[0,1]
	s_delay_alu instid0(VALU_DEP_1) | instskip(SKIP_1) | instid1(VALU_DEP_1)
	v_pk_fma_f32 v[124:125], v[118:119], v[108:109], v[122:123] op_sel:[0,0,1] op_sel_hi:[1,1,0] neg_lo:[0,0,1] neg_hi:[0,0,1]
	v_pk_fma_f32 v[118:119], v[118:119], v[108:109], v[122:123] op_sel:[0,0,1] op_sel_hi:[1,0,0]
	v_mov_b32_e32 v125, v119
	v_pk_mul_f32 v[118:119], v[120:121], v[110:111] op_sel:[0,1]
	s_delay_alu instid0(VALU_DEP_1) | instskip(SKIP_1) | instid1(VALU_DEP_1)
	v_pk_fma_f32 v[122:123], v[120:121], v[108:109], v[118:119] op_sel:[0,0,1] op_sel_hi:[1,1,0] neg_lo:[0,0,1] neg_hi:[0,0,1]
	v_pk_fma_f32 v[118:119], v[120:121], v[108:109], v[118:119] op_sel:[0,0,1] op_sel_hi:[1,0,0]
	v_mov_b32_e32 v123, v119
	ds_load_2addr_b64 v[118:121], v112 offset0:19 offset1:20
	v_pk_add_f32 v[42:43], v[42:43], v[124:125] neg_lo:[0,1] neg_hi:[0,1]
	v_pk_add_f32 v[22:23], v[22:23], v[122:123] neg_lo:[0,1] neg_hi:[0,1]
	s_wait_dscnt 0x0
	v_dual_mul_f32 v122, v119, v111 :: v_dual_mul_f32 v124, v119, v108
	s_delay_alu instid0(VALU_DEP_1) | instskip(NEXT) | instid1(VALU_DEP_2)
	v_pk_fma_f32 v[122:123], v[118:119], v[100:101], v[122:123] op_sel_hi:[1,1,0] neg_lo:[0,0,1] neg_hi:[0,0,1]
	v_pk_fma_f32 v[118:119], v[118:119], v[100:101], v[124:125] op_sel:[1,0,0] op_sel_hi:[0,1,0]
	s_delay_alu instid0(VALU_DEP_1) | instskip(SKIP_1) | instid1(VALU_DEP_2)
	v_mov_b32_e32 v123, v119
	v_pk_mul_f32 v[118:119], v[120:121], v[110:111] op_sel:[0,1]
	v_pk_add_f32 v[20:21], v[20:21], v[122:123] neg_lo:[0,1] neg_hi:[0,1]
	s_delay_alu instid0(VALU_DEP_2) | instskip(SKIP_1) | instid1(VALU_DEP_1)
	v_pk_fma_f32 v[122:123], v[120:121], v[108:109], v[118:119] op_sel:[0,0,1] op_sel_hi:[1,1,0] neg_lo:[0,0,1] neg_hi:[0,0,1]
	v_pk_fma_f32 v[118:119], v[120:121], v[108:109], v[118:119] op_sel:[0,0,1] op_sel_hi:[1,0,0]
	v_mov_b32_e32 v123, v119
	ds_load_2addr_b64 v[118:121], v112 offset0:21 offset1:22
	v_pk_add_f32 v[52:53], v[52:53], v[122:123] neg_lo:[0,1] neg_hi:[0,1]
	s_wait_dscnt 0x0
	v_pk_mul_f32 v[122:123], v[118:119], v[110:111] op_sel:[0,1]
	s_delay_alu instid0(VALU_DEP_1) | instskip(SKIP_1) | instid1(VALU_DEP_1)
	v_pk_fma_f32 v[124:125], v[118:119], v[108:109], v[122:123] op_sel:[0,0,1] op_sel_hi:[1,1,0] neg_lo:[0,0,1] neg_hi:[0,0,1]
	v_pk_fma_f32 v[118:119], v[118:119], v[108:109], v[122:123] op_sel:[0,0,1] op_sel_hi:[1,0,0]
	v_mov_b32_e32 v125, v119
	v_pk_mul_f32 v[118:119], v[120:121], v[110:111] op_sel:[0,1]
	s_delay_alu instid0(VALU_DEP_2) | instskip(NEXT) | instid1(VALU_DEP_2)
	v_pk_add_f32 v[50:51], v[50:51], v[124:125] neg_lo:[0,1] neg_hi:[0,1]
	v_pk_fma_f32 v[122:123], v[120:121], v[108:109], v[118:119] op_sel:[0,0,1] op_sel_hi:[1,1,0] neg_lo:[0,0,1] neg_hi:[0,0,1]
	v_pk_fma_f32 v[118:119], v[120:121], v[108:109], v[118:119] op_sel:[0,0,1] op_sel_hi:[1,0,0]
	s_delay_alu instid0(VALU_DEP_1) | instskip(SKIP_4) | instid1(VALU_DEP_1)
	v_mov_b32_e32 v123, v119
	ds_load_2addr_b64 v[118:121], v112 offset0:23 offset1:24
	v_pk_add_f32 v[32:33], v[32:33], v[122:123] neg_lo:[0,1] neg_hi:[0,1]
	s_wait_dscnt 0x0
	v_pk_mul_f32 v[122:123], v[118:119], v[110:111] op_sel:[0,1]
	v_pk_fma_f32 v[124:125], v[118:119], v[108:109], v[122:123] op_sel:[0,0,1] op_sel_hi:[1,1,0] neg_lo:[0,0,1] neg_hi:[0,0,1]
	v_pk_fma_f32 v[118:119], v[118:119], v[108:109], v[122:123] op_sel:[0,0,1] op_sel_hi:[1,0,0]
	v_dual_mul_f32 v122, v121, v111 :: v_dual_mov_b32 v118, v121
	s_delay_alu instid0(VALU_DEP_2) | instskip(NEXT) | instid1(VALU_DEP_2)
	v_dual_mov_b32 v125, v119 :: v_dual_mov_b32 v119, v120
	v_pk_fma_f32 v[122:123], v[120:121], v[100:101], v[122:123] op_sel_hi:[1,1,0] neg_lo:[0,0,1] neg_hi:[0,0,1]
	v_mul_f32_e32 v120, v121, v108
	s_delay_alu instid0(VALU_DEP_3) | instskip(NEXT) | instid1(VALU_DEP_2)
	v_pk_add_f32 v[30:31], v[30:31], v[124:125] neg_lo:[0,1] neg_hi:[0,1]
	v_pk_fma_f32 v[118:119], v[118:119], v[100:101], v[120:121] op_sel_hi:[1,1,0]
	s_delay_alu instid0(VALU_DEP_1) | instskip(SKIP_4) | instid1(VALU_DEP_1)
	v_mov_b32_e32 v123, v119
	ds_load_2addr_b64 v[118:121], v112 offset0:25 offset1:26
	v_pk_add_f32 v[62:63], v[62:63], v[122:123] neg_lo:[0,1] neg_hi:[0,1]
	s_wait_dscnt 0x0
	v_pk_mul_f32 v[122:123], v[118:119], v[110:111] op_sel:[0,1]
	v_pk_fma_f32 v[124:125], v[118:119], v[108:109], v[122:123] op_sel:[0,0,1] op_sel_hi:[1,1,0] neg_lo:[0,0,1] neg_hi:[0,0,1]
	v_pk_fma_f32 v[118:119], v[118:119], v[108:109], v[122:123] op_sel:[0,0,1] op_sel_hi:[1,0,0]
	s_delay_alu instid0(VALU_DEP_1) | instskip(SKIP_1) | instid1(VALU_DEP_1)
	v_mov_b32_e32 v125, v119
	v_pk_mul_f32 v[118:119], v[120:121], v[110:111] op_sel:[0,1]
	v_pk_fma_f32 v[122:123], v[120:121], v[108:109], v[118:119] op_sel:[0,0,1] op_sel_hi:[1,1,0] neg_lo:[0,0,1] neg_hi:[0,0,1]
	v_pk_fma_f32 v[118:119], v[120:121], v[108:109], v[118:119] op_sel:[0,0,1] op_sel_hi:[1,0,0]
	s_delay_alu instid0(VALU_DEP_1)
	v_mov_b32_e32 v123, v119
	ds_load_2addr_b64 v[118:121], v112 offset0:27 offset1:28
	v_pk_add_f32 v[60:61], v[60:61], v[124:125] neg_lo:[0,1] neg_hi:[0,1]
	v_pk_add_f32 v[40:41], v[40:41], v[122:123] neg_lo:[0,1] neg_hi:[0,1]
	s_wait_dscnt 0x0
	v_pk_mul_f32 v[122:123], v[118:119], v[110:111] op_sel:[0,1]
	s_delay_alu instid0(VALU_DEP_1) | instskip(SKIP_1) | instid1(VALU_DEP_1)
	v_pk_fma_f32 v[124:125], v[118:119], v[108:109], v[122:123] op_sel:[0,0,1] op_sel_hi:[1,1,0] neg_lo:[0,0,1] neg_hi:[0,0,1]
	v_pk_fma_f32 v[118:119], v[118:119], v[108:109], v[122:123] op_sel:[0,0,1] op_sel_hi:[1,0,0]
	v_mov_b32_e32 v125, v119
	v_pk_mul_f32 v[118:119], v[120:121], v[110:111] op_sel:[0,1]
	s_delay_alu instid0(VALU_DEP_1) | instskip(SKIP_1) | instid1(VALU_DEP_1)
	v_pk_fma_f32 v[122:123], v[120:121], v[108:109], v[118:119] op_sel:[0,0,1] op_sel_hi:[1,1,0] neg_lo:[0,0,1] neg_hi:[0,0,1]
	v_pk_fma_f32 v[118:119], v[120:121], v[108:109], v[118:119] op_sel:[0,0,1] op_sel_hi:[1,0,0]
	v_mov_b32_e32 v123, v119
	ds_load_2addr_b64 v[118:121], v112 offset0:29 offset1:30
	v_pk_add_f32 v[38:39], v[38:39], v[124:125] neg_lo:[0,1] neg_hi:[0,1]
	v_pk_add_f32 v[70:71], v[70:71], v[122:123] neg_lo:[0,1] neg_hi:[0,1]
	s_wait_dscnt 0x0
	v_dual_mul_f32 v122, v119, v111 :: v_dual_mul_f32 v124, v119, v108
	s_delay_alu instid0(VALU_DEP_1) | instskip(NEXT) | instid1(VALU_DEP_2)
	v_pk_fma_f32 v[122:123], v[118:119], v[100:101], v[122:123] op_sel_hi:[1,1,0] neg_lo:[0,0,1] neg_hi:[0,0,1]
	v_pk_fma_f32 v[118:119], v[118:119], v[100:101], v[124:125] op_sel:[1,0,0] op_sel_hi:[0,1,0]
	s_delay_alu instid0(VALU_DEP_1) | instskip(SKIP_1) | instid1(VALU_DEP_2)
	v_mov_b32_e32 v123, v119
	v_pk_mul_f32 v[118:119], v[120:121], v[110:111] op_sel:[0,1]
	v_pk_add_f32 v[68:69], v[68:69], v[122:123] neg_lo:[0,1] neg_hi:[0,1]
	s_delay_alu instid0(VALU_DEP_2) | instskip(SKIP_1) | instid1(VALU_DEP_1)
	v_pk_fma_f32 v[122:123], v[120:121], v[108:109], v[118:119] op_sel:[0,0,1] op_sel_hi:[1,1,0] neg_lo:[0,0,1] neg_hi:[0,0,1]
	v_pk_fma_f32 v[118:119], v[120:121], v[108:109], v[118:119] op_sel:[0,0,1] op_sel_hi:[1,0,0]
	v_mov_b32_e32 v123, v119
	ds_load_2addr_b64 v[118:121], v112 offset0:31 offset1:32
	v_pk_add_f32 v[48:49], v[48:49], v[122:123] neg_lo:[0,1] neg_hi:[0,1]
	s_wait_dscnt 0x0
	v_pk_mul_f32 v[122:123], v[118:119], v[110:111] op_sel:[0,1]
	s_delay_alu instid0(VALU_DEP_1) | instskip(SKIP_1) | instid1(VALU_DEP_1)
	v_pk_fma_f32 v[124:125], v[118:119], v[108:109], v[122:123] op_sel:[0,0,1] op_sel_hi:[1,1,0] neg_lo:[0,0,1] neg_hi:[0,0,1]
	v_pk_fma_f32 v[118:119], v[118:119], v[108:109], v[122:123] op_sel:[0,0,1] op_sel_hi:[1,0,0]
	v_mov_b32_e32 v125, v119
	v_pk_mul_f32 v[118:119], v[120:121], v[110:111] op_sel:[0,1]
	s_delay_alu instid0(VALU_DEP_2) | instskip(NEXT) | instid1(VALU_DEP_2)
	v_pk_add_f32 v[46:47], v[46:47], v[124:125] neg_lo:[0,1] neg_hi:[0,1]
	v_pk_fma_f32 v[122:123], v[120:121], v[108:109], v[118:119] op_sel:[0,0,1] op_sel_hi:[1,1,0] neg_lo:[0,0,1] neg_hi:[0,0,1]
	v_pk_fma_f32 v[118:119], v[120:121], v[108:109], v[118:119] op_sel:[0,0,1] op_sel_hi:[1,0,0]
	s_delay_alu instid0(VALU_DEP_1) | instskip(SKIP_4) | instid1(VALU_DEP_1)
	v_mov_b32_e32 v123, v119
	ds_load_2addr_b64 v[118:121], v112 offset0:33 offset1:34
	v_pk_add_f32 v[84:85], v[84:85], v[122:123] neg_lo:[0,1] neg_hi:[0,1]
	s_wait_dscnt 0x0
	v_pk_mul_f32 v[122:123], v[118:119], v[110:111] op_sel:[0,1]
	v_pk_fma_f32 v[124:125], v[118:119], v[108:109], v[122:123] op_sel:[0,0,1] op_sel_hi:[1,1,0] neg_lo:[0,0,1] neg_hi:[0,0,1]
	v_pk_fma_f32 v[118:119], v[118:119], v[108:109], v[122:123] op_sel:[0,0,1] op_sel_hi:[1,0,0]
	v_dual_mul_f32 v122, v121, v111 :: v_dual_mov_b32 v118, v121
	s_delay_alu instid0(VALU_DEP_2) | instskip(NEXT) | instid1(VALU_DEP_2)
	v_dual_mov_b32 v125, v119 :: v_dual_mov_b32 v119, v120
	v_pk_fma_f32 v[122:123], v[120:121], v[100:101], v[122:123] op_sel_hi:[1,1,0] neg_lo:[0,0,1] neg_hi:[0,0,1]
	v_mul_f32_e32 v120, v121, v108
	s_delay_alu instid0(VALU_DEP_3) | instskip(NEXT) | instid1(VALU_DEP_2)
	v_pk_add_f32 v[82:83], v[82:83], v[124:125] neg_lo:[0,1] neg_hi:[0,1]
	v_pk_fma_f32 v[118:119], v[118:119], v[100:101], v[120:121] op_sel_hi:[1,1,0]
	s_delay_alu instid0(VALU_DEP_1) | instskip(SKIP_4) | instid1(VALU_DEP_1)
	v_mov_b32_e32 v123, v119
	ds_load_2addr_b64 v[118:121], v112 offset0:35 offset1:36
	v_pk_add_f32 v[56:57], v[56:57], v[122:123] neg_lo:[0,1] neg_hi:[0,1]
	s_wait_dscnt 0x0
	v_pk_mul_f32 v[122:123], v[118:119], v[110:111] op_sel:[0,1]
	v_pk_fma_f32 v[124:125], v[118:119], v[108:109], v[122:123] op_sel:[0,0,1] op_sel_hi:[1,1,0] neg_lo:[0,0,1] neg_hi:[0,0,1]
	v_pk_fma_f32 v[118:119], v[118:119], v[108:109], v[122:123] op_sel:[0,0,1] op_sel_hi:[1,0,0]
	s_delay_alu instid0(VALU_DEP_1) | instskip(SKIP_1) | instid1(VALU_DEP_1)
	v_mov_b32_e32 v125, v119
	v_pk_mul_f32 v[118:119], v[120:121], v[110:111] op_sel:[0,1]
	v_pk_fma_f32 v[122:123], v[120:121], v[108:109], v[118:119] op_sel:[0,0,1] op_sel_hi:[1,1,0] neg_lo:[0,0,1] neg_hi:[0,0,1]
	v_pk_fma_f32 v[118:119], v[120:121], v[108:109], v[118:119] op_sel:[0,0,1] op_sel_hi:[1,0,0]
	s_delay_alu instid0(VALU_DEP_1)
	v_mov_b32_e32 v123, v119
	ds_load_2addr_b64 v[118:121], v112 offset0:37 offset1:38
	v_pk_add_f32 v[54:55], v[54:55], v[124:125] neg_lo:[0,1] neg_hi:[0,1]
	v_pk_add_f32 v[94:95], v[94:95], v[122:123] neg_lo:[0,1] neg_hi:[0,1]
	s_wait_dscnt 0x0
	v_pk_mul_f32 v[122:123], v[118:119], v[110:111] op_sel:[0,1]
	s_delay_alu instid0(VALU_DEP_1) | instskip(SKIP_1) | instid1(VALU_DEP_1)
	v_pk_fma_f32 v[124:125], v[118:119], v[108:109], v[122:123] op_sel:[0,0,1] op_sel_hi:[1,1,0] neg_lo:[0,0,1] neg_hi:[0,0,1]
	v_pk_fma_f32 v[118:119], v[118:119], v[108:109], v[122:123] op_sel:[0,0,1] op_sel_hi:[1,0,0]
	v_mov_b32_e32 v125, v119
	v_pk_mul_f32 v[118:119], v[120:121], v[110:111] op_sel:[0,1]
	s_delay_alu instid0(VALU_DEP_1) | instskip(SKIP_1) | instid1(VALU_DEP_1)
	v_pk_fma_f32 v[122:123], v[120:121], v[108:109], v[118:119] op_sel:[0,0,1] op_sel_hi:[1,1,0] neg_lo:[0,0,1] neg_hi:[0,0,1]
	v_pk_fma_f32 v[118:119], v[120:121], v[108:109], v[118:119] op_sel:[0,0,1] op_sel_hi:[1,0,0]
	v_mov_b32_e32 v123, v119
	ds_load_2addr_b64 v[118:121], v112 offset0:39 offset1:40
	v_pk_add_f32 v[92:93], v[92:93], v[124:125] neg_lo:[0,1] neg_hi:[0,1]
	v_pk_add_f32 v[66:67], v[66:67], v[122:123] neg_lo:[0,1] neg_hi:[0,1]
	s_wait_dscnt 0x0
	v_dual_mul_f32 v122, v119, v111 :: v_dual_mul_f32 v124, v119, v108
	s_delay_alu instid0(VALU_DEP_1) | instskip(NEXT) | instid1(VALU_DEP_2)
	v_pk_fma_f32 v[122:123], v[118:119], v[100:101], v[122:123] op_sel_hi:[1,1,0] neg_lo:[0,0,1] neg_hi:[0,0,1]
	v_pk_fma_f32 v[118:119], v[118:119], v[100:101], v[124:125] op_sel:[1,0,0] op_sel_hi:[0,1,0]
	s_delay_alu instid0(VALU_DEP_1) | instskip(SKIP_1) | instid1(VALU_DEP_2)
	v_mov_b32_e32 v123, v119
	v_pk_mul_f32 v[118:119], v[120:121], v[110:111] op_sel:[0,1]
	v_pk_add_f32 v[64:65], v[64:65], v[122:123] neg_lo:[0,1] neg_hi:[0,1]
	s_delay_alu instid0(VALU_DEP_2) | instskip(SKIP_1) | instid1(VALU_DEP_1)
	v_pk_fma_f32 v[122:123], v[120:121], v[108:109], v[118:119] op_sel:[0,0,1] op_sel_hi:[1,1,0] neg_lo:[0,0,1] neg_hi:[0,0,1]
	v_pk_fma_f32 v[118:119], v[120:121], v[108:109], v[118:119] op_sel:[0,0,1] op_sel_hi:[1,0,0]
	v_mov_b32_e32 v123, v119
	ds_load_2addr_b64 v[118:121], v112 offset0:41 offset1:42
	v_pk_add_f32 v[104:105], v[104:105], v[122:123] neg_lo:[0,1] neg_hi:[0,1]
	s_wait_dscnt 0x0
	v_pk_mul_f32 v[122:123], v[118:119], v[110:111] op_sel:[0,1]
	s_delay_alu instid0(VALU_DEP_1) | instskip(SKIP_1) | instid1(VALU_DEP_1)
	v_pk_fma_f32 v[124:125], v[118:119], v[108:109], v[122:123] op_sel:[0,0,1] op_sel_hi:[1,1,0] neg_lo:[0,0,1] neg_hi:[0,0,1]
	v_pk_fma_f32 v[118:119], v[118:119], v[108:109], v[122:123] op_sel:[0,0,1] op_sel_hi:[1,0,0]
	v_mov_b32_e32 v125, v119
	v_pk_mul_f32 v[118:119], v[120:121], v[110:111] op_sel:[0,1]
	s_delay_alu instid0(VALU_DEP_2) | instskip(NEXT) | instid1(VALU_DEP_2)
	v_pk_add_f32 v[102:103], v[102:103], v[124:125] neg_lo:[0,1] neg_hi:[0,1]
	v_pk_fma_f32 v[122:123], v[120:121], v[108:109], v[118:119] op_sel:[0,0,1] op_sel_hi:[1,1,0] neg_lo:[0,0,1] neg_hi:[0,0,1]
	v_pk_fma_f32 v[118:119], v[120:121], v[108:109], v[118:119] op_sel:[0,0,1] op_sel_hi:[1,0,0]
	s_delay_alu instid0(VALU_DEP_1) | instskip(SKIP_4) | instid1(VALU_DEP_1)
	v_mov_b32_e32 v123, v119
	ds_load_2addr_b64 v[118:121], v112 offset0:43 offset1:44
	v_pk_add_f32 v[76:77], v[76:77], v[122:123] neg_lo:[0,1] neg_hi:[0,1]
	s_wait_dscnt 0x0
	v_pk_mul_f32 v[122:123], v[118:119], v[110:111] op_sel:[0,1]
	v_pk_fma_f32 v[124:125], v[118:119], v[108:109], v[122:123] op_sel:[0,0,1] op_sel_hi:[1,1,0] neg_lo:[0,0,1] neg_hi:[0,0,1]
	v_pk_fma_f32 v[118:119], v[118:119], v[108:109], v[122:123] op_sel:[0,0,1] op_sel_hi:[1,0,0]
	v_dual_mul_f32 v122, v121, v111 :: v_dual_mov_b32 v118, v121
	s_delay_alu instid0(VALU_DEP_2) | instskip(NEXT) | instid1(VALU_DEP_2)
	v_dual_mov_b32 v125, v119 :: v_dual_mov_b32 v119, v120
	v_pk_fma_f32 v[122:123], v[120:121], v[100:101], v[122:123] op_sel_hi:[1,1,0] neg_lo:[0,0,1] neg_hi:[0,0,1]
	v_mul_f32_e32 v120, v121, v108
	s_delay_alu instid0(VALU_DEP_3) | instskip(NEXT) | instid1(VALU_DEP_2)
	v_pk_add_f32 v[74:75], v[74:75], v[124:125] neg_lo:[0,1] neg_hi:[0,1]
	v_pk_fma_f32 v[118:119], v[118:119], v[100:101], v[120:121] op_sel_hi:[1,1,0]
	s_delay_alu instid0(VALU_DEP_1) | instskip(SKIP_4) | instid1(VALU_DEP_1)
	v_mov_b32_e32 v123, v119
	ds_load_2addr_b64 v[118:121], v112 offset0:45 offset1:46
	v_pk_add_f32 v[98:99], v[98:99], v[122:123] neg_lo:[0,1] neg_hi:[0,1]
	s_wait_dscnt 0x0
	v_pk_mul_f32 v[122:123], v[118:119], v[110:111] op_sel:[0,1]
	v_pk_fma_f32 v[124:125], v[118:119], v[108:109], v[122:123] op_sel:[0,0,1] op_sel_hi:[1,1,0] neg_lo:[0,0,1] neg_hi:[0,0,1]
	v_pk_fma_f32 v[118:119], v[118:119], v[108:109], v[122:123] op_sel:[0,0,1] op_sel_hi:[1,0,0]
	s_delay_alu instid0(VALU_DEP_1) | instskip(SKIP_1) | instid1(VALU_DEP_1)
	v_mov_b32_e32 v125, v119
	v_pk_mul_f32 v[118:119], v[120:121], v[110:111] op_sel:[0,1]
	v_pk_fma_f32 v[122:123], v[120:121], v[108:109], v[118:119] op_sel:[0,0,1] op_sel_hi:[1,1,0] neg_lo:[0,0,1] neg_hi:[0,0,1]
	v_pk_fma_f32 v[118:119], v[120:121], v[108:109], v[118:119] op_sel:[0,0,1] op_sel_hi:[1,0,0]
	s_delay_alu instid0(VALU_DEP_1)
	v_mov_b32_e32 v123, v119
	ds_load_2addr_b64 v[118:121], v112 offset0:47 offset1:48
	v_pk_add_f32 v[96:97], v[96:97], v[124:125] neg_lo:[0,1] neg_hi:[0,1]
	v_pk_add_f32 v[80:81], v[80:81], v[122:123] neg_lo:[0,1] neg_hi:[0,1]
	s_wait_dscnt 0x0
	v_pk_mul_f32 v[122:123], v[118:119], v[110:111] op_sel:[0,1]
	s_delay_alu instid0(VALU_DEP_1) | instskip(SKIP_1) | instid1(VALU_DEP_1)
	v_pk_fma_f32 v[124:125], v[118:119], v[108:109], v[122:123] op_sel:[0,0,1] op_sel_hi:[1,1,0] neg_lo:[0,0,1] neg_hi:[0,0,1]
	v_pk_fma_f32 v[118:119], v[118:119], v[108:109], v[122:123] op_sel:[0,0,1] op_sel_hi:[1,0,0]
	v_mov_b32_e32 v125, v119
	v_pk_mul_f32 v[118:119], v[120:121], v[110:111] op_sel:[0,1]
	s_delay_alu instid0(VALU_DEP_1) | instskip(SKIP_1) | instid1(VALU_DEP_1)
	v_pk_fma_f32 v[122:123], v[120:121], v[108:109], v[118:119] op_sel:[0,0,1] op_sel_hi:[1,1,0] neg_lo:[0,0,1] neg_hi:[0,0,1]
	v_pk_fma_f32 v[118:119], v[120:121], v[108:109], v[118:119] op_sel:[0,0,1] op_sel_hi:[1,0,0]
	v_mov_b32_e32 v123, v119
	ds_load_2addr_b64 v[118:121], v112 offset0:49 offset1:50
	v_pk_add_f32 v[78:79], v[78:79], v[124:125] neg_lo:[0,1] neg_hi:[0,1]
	v_pk_add_f32 v[88:89], v[88:89], v[122:123] neg_lo:[0,1] neg_hi:[0,1]
	s_wait_dscnt 0x0
	v_dual_mul_f32 v122, v119, v111 :: v_dual_mul_f32 v124, v119, v108
	v_pk_mul_f32 v[110:111], v[120:121], v[110:111] op_sel:[0,1]
	s_delay_alu instid0(VALU_DEP_2) | instskip(NEXT) | instid1(VALU_DEP_3)
	v_pk_fma_f32 v[122:123], v[118:119], v[100:101], v[122:123] op_sel_hi:[1,1,0] neg_lo:[0,0,1] neg_hi:[0,0,1]
	v_pk_fma_f32 v[118:119], v[118:119], v[100:101], v[124:125] op_sel:[1,0,0] op_sel_hi:[0,1,0]
	s_delay_alu instid0(VALU_DEP_1) | instskip(NEXT) | instid1(VALU_DEP_4)
	v_mov_b32_e32 v123, v119
	v_pk_fma_f32 v[118:119], v[120:121], v[108:109], v[110:111] op_sel:[0,0,1] op_sel_hi:[1,1,0] neg_lo:[0,0,1] neg_hi:[0,0,1]
	v_pk_fma_f32 v[108:109], v[120:121], v[108:109], v[110:111] op_sel:[0,0,1] op_sel_hi:[1,0,0]
	s_delay_alu instid0(VALU_DEP_1) | instskip(NEXT) | instid1(VALU_DEP_4)
	v_mov_b32_e32 v119, v109
	v_pk_add_f32 v[86:87], v[86:87], v[122:123] neg_lo:[0,1] neg_hi:[0,1]
	s_delay_alu instid0(VALU_DEP_2)
	v_pk_add_f32 v[106:107], v[106:107], v[118:119] neg_lo:[0,1] neg_hi:[0,1]
.LBB100_22:
	s_or_b32 exec_lo, exec_lo, s0
	v_lshl_add_u32 v108, v116, 3, v112
	s_barrier_signal -1
	s_barrier_wait -1
	ds_store_b64 v108, v[90:91]
	s_wait_dscnt 0x0
	s_barrier_signal -1
	s_barrier_wait -1
	ds_load_b64 v[110:111], v112 offset:8
	v_mov_b32_e32 v108, 1
	s_cmp_lt_i32 s18, 3
	s_cbranch_scc1 .LBB100_25
; %bb.23:
	v_add3_u32 v109, v113, 0, 16
	v_mov_b32_e32 v108, 1
	s_mov_b32 s0, 2
.LBB100_24:                             ; =>This Inner Loop Header: Depth=1
	ds_load_b64 v[118:119], v109
	s_wait_dscnt 0x1
	v_cmp_gt_f32_e32 vcc_lo, 0, v110
	v_cndmask_b32_e64 v120, v110, -v110, vcc_lo
	v_cmp_gt_f32_e32 vcc_lo, 0, v111
	v_cndmask_b32_e64 v122, v111, -v111, vcc_lo
	s_wait_dscnt 0x0
	v_cmp_gt_f32_e32 vcc_lo, 0, v118
	v_cndmask_b32_e64 v121, v118, -v118, vcc_lo
	v_cmp_gt_f32_e32 vcc_lo, 0, v119
	v_cndmask_b32_e64 v123, v119, -v119, vcc_lo
	s_delay_alu instid0(VALU_DEP_1) | instskip(NEXT) | instid1(VALU_DEP_1)
	v_pk_add_f32 v[120:121], v[120:121], v[122:123]
	v_cmp_lt_f32_e32 vcc_lo, v120, v121
	v_dual_add_nc_u32 v109, 8, v109 :: v_dual_cndmask_b32 v111, v111, v119, vcc_lo
	v_cndmask_b32_e32 v110, v110, v118, vcc_lo
	v_cndmask_b32_e64 v108, v108, s0, vcc_lo
	s_add_co_i32 s0, s0, 1
	s_delay_alu instid0(SALU_CYCLE_1)
	s_cmp_lg_u32 s18, s0
	s_cbranch_scc1 .LBB100_24
.LBB100_25:
	s_wait_dscnt 0x0
	v_cmp_neq_f32_e32 vcc_lo, 0, v110
	v_cmp_neq_f32_e64 s0, 0, v111
	s_or_b32 s1, vcc_lo, s0
	s_delay_alu instid0(SALU_CYCLE_1)
	s_and_saveexec_b32 s0, s1
	s_cbranch_execz .LBB100_31
; %bb.26:
	v_cmp_ngt_f32_e64 s1, |v110|, |v111|
	s_and_saveexec_b32 s12, s1
	s_delay_alu instid0(SALU_CYCLE_1)
	s_xor_b32 s1, exec_lo, s12
	s_cbranch_execz .LBB100_28
; %bb.27:
	v_div_scale_f32 v109, null, v111, v111, v110
	v_div_scale_f32 v119, vcc_lo, v110, v111, v110
	s_delay_alu instid0(VALU_DEP_2) | instskip(SKIP_1) | instid1(TRANS32_DEP_1)
	v_rcp_f32_e32 v114, v109
	v_nop
	v_fma_f32 v118, -v109, v114, 1.0
	s_delay_alu instid0(VALU_DEP_1) | instskip(NEXT) | instid1(VALU_DEP_1)
	v_fmac_f32_e32 v114, v118, v114
	v_mul_f32_e32 v118, v119, v114
	s_delay_alu instid0(VALU_DEP_1) | instskip(NEXT) | instid1(VALU_DEP_1)
	v_fma_f32 v120, -v109, v118, v119
	v_fmac_f32_e32 v118, v120, v114
	s_delay_alu instid0(VALU_DEP_1) | instskip(NEXT) | instid1(VALU_DEP_1)
	v_fma_f32 v109, -v109, v118, v119
	v_div_fmas_f32 v109, v109, v114, v118
	s_delay_alu instid0(VALU_DEP_1) | instskip(NEXT) | instid1(VALU_DEP_1)
	v_div_fixup_f32 v109, v109, v111, v110
	v_fmac_f32_e32 v111, v110, v109
	s_delay_alu instid0(VALU_DEP_1) | instskip(SKIP_1) | instid1(VALU_DEP_2)
	v_div_scale_f32 v110, null, v111, v111, 1.0
	v_div_scale_f32 v119, vcc_lo, 1.0, v111, 1.0
	v_rcp_f32_e32 v114, v110
	v_nop
	s_delay_alu instid0(TRANS32_DEP_1) | instskip(NEXT) | instid1(VALU_DEP_1)
	v_fma_f32 v118, -v110, v114, 1.0
	v_fmac_f32_e32 v114, v118, v114
	s_delay_alu instid0(VALU_DEP_1) | instskip(NEXT) | instid1(VALU_DEP_1)
	v_mul_f32_e32 v118, v119, v114
	v_fma_f32 v120, -v110, v118, v119
	s_delay_alu instid0(VALU_DEP_1) | instskip(NEXT) | instid1(VALU_DEP_1)
	v_fmac_f32_e32 v118, v120, v114
	v_fma_f32 v110, -v110, v118, v119
	s_delay_alu instid0(VALU_DEP_1) | instskip(NEXT) | instid1(VALU_DEP_1)
	v_div_fmas_f32 v110, v110, v114, v118
	v_div_fixup_f32 v111, v110, v111, 1.0
	s_delay_alu instid0(VALU_DEP_1)
	v_mul_f32_e32 v110, v109, v111
	v_xor_b32_e32 v111, 0x80000000, v111
.LBB100_28:
	s_and_not1_saveexec_b32 s1, s1
	s_cbranch_execz .LBB100_30
; %bb.29:
	s_delay_alu instid0(VALU_DEP_1) | instskip(SKIP_1) | instid1(VALU_DEP_2)
	v_div_scale_f32 v109, null, v110, v110, v111
	v_div_scale_f32 v119, vcc_lo, v111, v110, v111
	v_rcp_f32_e32 v114, v109
	v_nop
	s_delay_alu instid0(TRANS32_DEP_1) | instskip(NEXT) | instid1(VALU_DEP_1)
	v_fma_f32 v118, -v109, v114, 1.0
	v_fmac_f32_e32 v114, v118, v114
	s_delay_alu instid0(VALU_DEP_1) | instskip(NEXT) | instid1(VALU_DEP_1)
	v_mul_f32_e32 v118, v119, v114
	v_fma_f32 v120, -v109, v118, v119
	s_delay_alu instid0(VALU_DEP_1) | instskip(NEXT) | instid1(VALU_DEP_1)
	v_fmac_f32_e32 v118, v120, v114
	v_fma_f32 v109, -v109, v118, v119
	s_delay_alu instid0(VALU_DEP_1) | instskip(NEXT) | instid1(VALU_DEP_1)
	v_div_fmas_f32 v109, v109, v114, v118
	v_div_fixup_f32 v109, v109, v110, v111
	s_delay_alu instid0(VALU_DEP_1) | instskip(NEXT) | instid1(VALU_DEP_1)
	v_fmac_f32_e32 v110, v111, v109
	v_div_scale_f32 v111, null, v110, v110, 1.0
	s_delay_alu instid0(VALU_DEP_1) | instskip(SKIP_1) | instid1(TRANS32_DEP_1)
	v_rcp_f32_e32 v114, v111
	v_nop
	v_fma_f32 v118, -v111, v114, 1.0
	s_delay_alu instid0(VALU_DEP_1) | instskip(SKIP_1) | instid1(VALU_DEP_1)
	v_fmac_f32_e32 v114, v118, v114
	v_div_scale_f32 v118, vcc_lo, 1.0, v110, 1.0
	v_mul_f32_e32 v119, v118, v114
	s_delay_alu instid0(VALU_DEP_1) | instskip(NEXT) | instid1(VALU_DEP_1)
	v_fma_f32 v120, -v111, v119, v118
	v_fmac_f32_e32 v119, v120, v114
	s_delay_alu instid0(VALU_DEP_1) | instskip(NEXT) | instid1(VALU_DEP_1)
	v_fma_f32 v111, -v111, v119, v118
	v_div_fmas_f32 v111, v111, v114, v119
	s_delay_alu instid0(VALU_DEP_1) | instskip(NEXT) | instid1(VALU_DEP_1)
	v_div_fixup_f32 v110, v111, v110, 1.0
	v_mul_f32_e64 v111, v109, -v110
.LBB100_30:
	s_or_b32 exec_lo, exec_lo, s1
	v_mov_b32_e32 v114, v117
.LBB100_31:
	s_or_b32 exec_lo, exec_lo, s0
	s_delay_alu instid0(SALU_CYCLE_1)
	s_mov_b32 s0, exec_lo
	v_cmpx_ne_u32_e64 v116, v108
	s_xor_b32 s0, exec_lo, s0
	s_cbranch_execz .LBB100_37
; %bb.32:
	s_mov_b32 s1, exec_lo
	v_cmpx_eq_u32_e32 1, v116
	s_cbranch_execz .LBB100_36
; %bb.33:
	v_cmp_ne_u32_e32 vcc_lo, 1, v108
	s_xor_b32 s12, s16, -1
	s_delay_alu instid0(SALU_CYCLE_1) | instskip(NEXT) | instid1(SALU_CYCLE_1)
	s_and_b32 s13, s12, vcc_lo
	s_and_saveexec_b32 s12, s13
	s_cbranch_execz .LBB100_35
; %bb.34:
	v_ashrrev_i32_e32 v109, 31, v108
	s_delay_alu instid0(VALU_DEP_1)
	v_lshl_add_u64 v[116:117], v[108:109], 2, v[4:5]
	s_clause 0x1
	global_load_b32 v109, v[116:117], off
	global_load_b32 v115, v[4:5], off offset:4
	s_wait_loadcnt 0x1
	global_store_b32 v[4:5], v109, off offset:4
	s_wait_loadcnt 0x0
	global_store_b32 v[116:117], v115, off
.LBB100_35:
	s_wait_xcnt 0x0
	s_or_b32 exec_lo, exec_lo, s12
	v_dual_mov_b32 v116, v108 :: v_dual_mov_b32 v115, v108
.LBB100_36:
	s_or_b32 exec_lo, exec_lo, s1
.LBB100_37:
	s_and_not1_saveexec_b32 s0, s0
	s_cbranch_execz .LBB100_39
; %bb.38:
	v_dual_mov_b32 v108, v72 :: v_dual_mov_b32 v109, v73
	v_dual_mov_b32 v116, v58 :: v_dual_mov_b32 v117, v59
	ds_store_2addr_b64 v112, v[108:109], v[116:117] offset0:2 offset1:3
	v_dual_mov_b32 v108, v24 :: v_dual_mov_b32 v109, v25
	v_dual_mov_b32 v116, v16 :: v_dual_mov_b32 v117, v17
	ds_store_2addr_b64 v112, v[108:109], v[116:117] offset0:4 offset1:5
	;; [unrolled: 3-line block ×24, first 2 shown]
	ds_store_b64 v112, v[106:107] offset:400
	v_mov_b32_e32 v116, 1
.LBB100_39:
	s_or_b32 exec_lo, exec_lo, s0
	s_delay_alu instid0(SALU_CYCLE_1)
	s_mov_b32 s0, exec_lo
	s_wait_storecnt_dscnt 0x0
	s_barrier_signal -1
	s_barrier_wait -1
	v_cmpx_lt_i32_e32 1, v116
	s_cbranch_execz .LBB100_41
; %bb.40:
	v_pk_mul_f32 v[118:119], v[110:111], v[90:91] op_sel:[1,1] op_sel_hi:[0,1]
	s_delay_alu instid0(VALU_DEP_1)
	v_pk_fma_f32 v[108:109], v[110:111], v[90:91], v[118:119] op_sel_hi:[1,0,1] neg_lo:[0,0,1] neg_hi:[0,0,1]
	v_pk_fma_f32 v[110:111], v[110:111], v[90:91], v[118:119] op_sel_hi:[1,0,1]
	ds_load_2addr_b64 v[118:121], v112 offset0:2 offset1:3
	v_dual_mov_b32 v90, v108 :: v_dual_mov_b32 v91, v111
	s_wait_dscnt 0x0
	v_pk_mul_f32 v[122:123], v[118:119], v[110:111] op_sel:[0,1]
	s_delay_alu instid0(VALU_DEP_1) | instskip(SKIP_1) | instid1(VALU_DEP_1)
	v_pk_fma_f32 v[124:125], v[118:119], v[108:109], v[122:123] op_sel:[0,0,1] op_sel_hi:[1,1,0] neg_lo:[0,0,1] neg_hi:[0,0,1]
	v_pk_fma_f32 v[118:119], v[118:119], v[108:109], v[122:123] op_sel:[0,0,1] op_sel_hi:[1,0,0]
	v_mov_b32_e32 v125, v119
	v_pk_mul_f32 v[118:119], v[120:121], v[110:111] op_sel:[0,1]
	s_delay_alu instid0(VALU_DEP_1) | instskip(SKIP_1) | instid1(VALU_DEP_1)
	v_pk_fma_f32 v[122:123], v[120:121], v[108:109], v[118:119] op_sel:[0,0,1] op_sel_hi:[1,1,0] neg_lo:[0,0,1] neg_hi:[0,0,1]
	v_pk_fma_f32 v[118:119], v[120:121], v[108:109], v[118:119] op_sel:[0,0,1] op_sel_hi:[1,0,0]
	v_mov_b32_e32 v123, v119
	ds_load_2addr_b64 v[118:121], v112 offset0:4 offset1:5
	v_pk_add_f32 v[72:73], v[72:73], v[124:125] neg_lo:[0,1] neg_hi:[0,1]
	v_pk_add_f32 v[58:59], v[58:59], v[122:123] neg_lo:[0,1] neg_hi:[0,1]
	s_wait_dscnt 0x0
	v_pk_mul_f32 v[122:123], v[118:119], v[110:111] op_sel:[0,1]
	s_delay_alu instid0(VALU_DEP_1) | instskip(SKIP_2) | instid1(VALU_DEP_2)
	v_pk_fma_f32 v[124:125], v[118:119], v[108:109], v[122:123] op_sel:[0,0,1] op_sel_hi:[1,1,0] neg_lo:[0,0,1] neg_hi:[0,0,1]
	v_pk_fma_f32 v[118:119], v[118:119], v[108:109], v[122:123] op_sel:[0,0,1] op_sel_hi:[1,0,0]
	v_dual_mul_f32 v122, v121, v111 :: v_dual_mov_b32 v118, v121
	v_dual_mov_b32 v125, v119 :: v_dual_mov_b32 v119, v120
	s_delay_alu instid0(VALU_DEP_2) | instskip(SKIP_1) | instid1(VALU_DEP_3)
	v_pk_fma_f32 v[122:123], v[120:121], v[90:91], v[122:123] op_sel_hi:[1,1,0] neg_lo:[0,0,1] neg_hi:[0,0,1]
	v_mul_f32_e32 v120, v121, v108
	v_pk_add_f32 v[24:25], v[24:25], v[124:125] neg_lo:[0,1] neg_hi:[0,1]
	s_delay_alu instid0(VALU_DEP_2) | instskip(NEXT) | instid1(VALU_DEP_1)
	v_pk_fma_f32 v[118:119], v[118:119], v[90:91], v[120:121] op_sel_hi:[1,1,0]
	v_mov_b32_e32 v123, v119
	ds_load_2addr_b64 v[118:121], v112 offset0:6 offset1:7
	v_pk_add_f32 v[16:17], v[16:17], v[122:123] neg_lo:[0,1] neg_hi:[0,1]
	s_wait_dscnt 0x0
	v_pk_mul_f32 v[122:123], v[118:119], v[110:111] op_sel:[0,1]
	s_delay_alu instid0(VALU_DEP_1) | instskip(SKIP_1) | instid1(VALU_DEP_1)
	v_pk_fma_f32 v[124:125], v[118:119], v[108:109], v[122:123] op_sel:[0,0,1] op_sel_hi:[1,1,0] neg_lo:[0,0,1] neg_hi:[0,0,1]
	v_pk_fma_f32 v[118:119], v[118:119], v[108:109], v[122:123] op_sel:[0,0,1] op_sel_hi:[1,0,0]
	v_mov_b32_e32 v125, v119
	v_pk_mul_f32 v[118:119], v[120:121], v[110:111] op_sel:[0,1]
	s_delay_alu instid0(VALU_DEP_1) | instskip(SKIP_1) | instid1(VALU_DEP_1)
	v_pk_fma_f32 v[122:123], v[120:121], v[108:109], v[118:119] op_sel:[0,0,1] op_sel_hi:[1,1,0] neg_lo:[0,0,1] neg_hi:[0,0,1]
	v_pk_fma_f32 v[118:119], v[120:121], v[108:109], v[118:119] op_sel:[0,0,1] op_sel_hi:[1,0,0]
	v_mov_b32_e32 v123, v119
	ds_load_2addr_b64 v[118:121], v112 offset0:8 offset1:9
	v_pk_add_f32 v[8:9], v[8:9], v[124:125] neg_lo:[0,1] neg_hi:[0,1]
	v_pk_add_f32 v[6:7], v[6:7], v[122:123] neg_lo:[0,1] neg_hi:[0,1]
	s_wait_dscnt 0x0
	v_pk_mul_f32 v[122:123], v[118:119], v[110:111] op_sel:[0,1]
	s_delay_alu instid0(VALU_DEP_1) | instskip(SKIP_1) | instid1(VALU_DEP_1)
	v_pk_fma_f32 v[124:125], v[118:119], v[108:109], v[122:123] op_sel:[0,0,1] op_sel_hi:[1,1,0] neg_lo:[0,0,1] neg_hi:[0,0,1]
	v_pk_fma_f32 v[118:119], v[118:119], v[108:109], v[122:123] op_sel:[0,0,1] op_sel_hi:[1,0,0]
	v_mov_b32_e32 v125, v119
	v_pk_mul_f32 v[118:119], v[120:121], v[110:111] op_sel:[0,1]
	s_delay_alu instid0(VALU_DEP_1) | instskip(SKIP_1) | instid1(VALU_DEP_1)
	v_pk_fma_f32 v[122:123], v[120:121], v[108:109], v[118:119] op_sel:[0,0,1] op_sel_hi:[1,1,0] neg_lo:[0,0,1] neg_hi:[0,0,1]
	v_pk_fma_f32 v[118:119], v[120:121], v[108:109], v[118:119] op_sel:[0,0,1] op_sel_hi:[1,0,0]
	v_mov_b32_e32 v123, v119
	ds_load_2addr_b64 v[118:121], v112 offset0:10 offset1:11
	v_pk_add_f32 v[28:29], v[28:29], v[124:125] neg_lo:[0,1] neg_hi:[0,1]
	v_pk_add_f32 v[26:27], v[26:27], v[122:123] neg_lo:[0,1] neg_hi:[0,1]
	s_wait_dscnt 0x0
	v_dual_mul_f32 v122, v119, v111 :: v_dual_mul_f32 v124, v119, v108
	s_delay_alu instid0(VALU_DEP_1) | instskip(NEXT) | instid1(VALU_DEP_2)
	v_pk_fma_f32 v[122:123], v[118:119], v[90:91], v[122:123] op_sel_hi:[1,1,0] neg_lo:[0,0,1] neg_hi:[0,0,1]
	v_pk_fma_f32 v[118:119], v[118:119], v[90:91], v[124:125] op_sel:[1,0,0] op_sel_hi:[0,1,0]
	s_delay_alu instid0(VALU_DEP_1) | instskip(SKIP_1) | instid1(VALU_DEP_2)
	v_mov_b32_e32 v123, v119
	v_pk_mul_f32 v[118:119], v[120:121], v[110:111] op_sel:[0,1]
	v_pk_add_f32 v[12:13], v[12:13], v[122:123] neg_lo:[0,1] neg_hi:[0,1]
	s_delay_alu instid0(VALU_DEP_2) | instskip(SKIP_1) | instid1(VALU_DEP_1)
	v_pk_fma_f32 v[122:123], v[120:121], v[108:109], v[118:119] op_sel:[0,0,1] op_sel_hi:[1,1,0] neg_lo:[0,0,1] neg_hi:[0,0,1]
	v_pk_fma_f32 v[118:119], v[120:121], v[108:109], v[118:119] op_sel:[0,0,1] op_sel_hi:[1,0,0]
	v_mov_b32_e32 v123, v119
	ds_load_2addr_b64 v[118:121], v112 offset0:12 offset1:13
	v_pk_add_f32 v[10:11], v[10:11], v[122:123] neg_lo:[0,1] neg_hi:[0,1]
	s_wait_dscnt 0x0
	v_pk_mul_f32 v[122:123], v[118:119], v[110:111] op_sel:[0,1]
	s_delay_alu instid0(VALU_DEP_1) | instskip(SKIP_1) | instid1(VALU_DEP_1)
	v_pk_fma_f32 v[124:125], v[118:119], v[108:109], v[122:123] op_sel:[0,0,1] op_sel_hi:[1,1,0] neg_lo:[0,0,1] neg_hi:[0,0,1]
	v_pk_fma_f32 v[118:119], v[118:119], v[108:109], v[122:123] op_sel:[0,0,1] op_sel_hi:[1,0,0]
	v_mov_b32_e32 v125, v119
	v_pk_mul_f32 v[118:119], v[120:121], v[110:111] op_sel:[0,1]
	s_delay_alu instid0(VALU_DEP_2) | instskip(NEXT) | instid1(VALU_DEP_2)
	v_pk_add_f32 v[36:37], v[36:37], v[124:125] neg_lo:[0,1] neg_hi:[0,1]
	v_pk_fma_f32 v[122:123], v[120:121], v[108:109], v[118:119] op_sel:[0,0,1] op_sel_hi:[1,1,0] neg_lo:[0,0,1] neg_hi:[0,0,1]
	v_pk_fma_f32 v[118:119], v[120:121], v[108:109], v[118:119] op_sel:[0,0,1] op_sel_hi:[1,0,0]
	s_delay_alu instid0(VALU_DEP_1) | instskip(SKIP_4) | instid1(VALU_DEP_1)
	v_mov_b32_e32 v123, v119
	ds_load_2addr_b64 v[118:121], v112 offset0:14 offset1:15
	v_pk_add_f32 v[34:35], v[34:35], v[122:123] neg_lo:[0,1] neg_hi:[0,1]
	s_wait_dscnt 0x0
	v_pk_mul_f32 v[122:123], v[118:119], v[110:111] op_sel:[0,1]
	v_pk_fma_f32 v[124:125], v[118:119], v[108:109], v[122:123] op_sel:[0,0,1] op_sel_hi:[1,1,0] neg_lo:[0,0,1] neg_hi:[0,0,1]
	v_pk_fma_f32 v[118:119], v[118:119], v[108:109], v[122:123] op_sel:[0,0,1] op_sel_hi:[1,0,0]
	v_dual_mul_f32 v122, v121, v111 :: v_dual_mov_b32 v118, v121
	s_delay_alu instid0(VALU_DEP_2) | instskip(NEXT) | instid1(VALU_DEP_2)
	v_dual_mov_b32 v125, v119 :: v_dual_mov_b32 v119, v120
	v_pk_fma_f32 v[122:123], v[120:121], v[90:91], v[122:123] op_sel_hi:[1,1,0] neg_lo:[0,0,1] neg_hi:[0,0,1]
	v_mul_f32_e32 v120, v121, v108
	s_delay_alu instid0(VALU_DEP_3) | instskip(NEXT) | instid1(VALU_DEP_2)
	v_pk_add_f32 v[18:19], v[18:19], v[124:125] neg_lo:[0,1] neg_hi:[0,1]
	v_pk_fma_f32 v[118:119], v[118:119], v[90:91], v[120:121] op_sel_hi:[1,1,0]
	s_delay_alu instid0(VALU_DEP_1) | instskip(SKIP_4) | instid1(VALU_DEP_1)
	v_mov_b32_e32 v123, v119
	ds_load_2addr_b64 v[118:121], v112 offset0:16 offset1:17
	v_pk_add_f32 v[14:15], v[14:15], v[122:123] neg_lo:[0,1] neg_hi:[0,1]
	s_wait_dscnt 0x0
	v_pk_mul_f32 v[122:123], v[118:119], v[110:111] op_sel:[0,1]
	v_pk_fma_f32 v[124:125], v[118:119], v[108:109], v[122:123] op_sel:[0,0,1] op_sel_hi:[1,1,0] neg_lo:[0,0,1] neg_hi:[0,0,1]
	v_pk_fma_f32 v[118:119], v[118:119], v[108:109], v[122:123] op_sel:[0,0,1] op_sel_hi:[1,0,0]
	s_delay_alu instid0(VALU_DEP_1) | instskip(SKIP_1) | instid1(VALU_DEP_1)
	v_mov_b32_e32 v125, v119
	v_pk_mul_f32 v[118:119], v[120:121], v[110:111] op_sel:[0,1]
	v_pk_fma_f32 v[122:123], v[120:121], v[108:109], v[118:119] op_sel:[0,0,1] op_sel_hi:[1,1,0] neg_lo:[0,0,1] neg_hi:[0,0,1]
	v_pk_fma_f32 v[118:119], v[120:121], v[108:109], v[118:119] op_sel:[0,0,1] op_sel_hi:[1,0,0]
	s_delay_alu instid0(VALU_DEP_1)
	v_mov_b32_e32 v123, v119
	ds_load_2addr_b64 v[118:121], v112 offset0:18 offset1:19
	v_pk_add_f32 v[44:45], v[44:45], v[124:125] neg_lo:[0,1] neg_hi:[0,1]
	v_pk_add_f32 v[42:43], v[42:43], v[122:123] neg_lo:[0,1] neg_hi:[0,1]
	s_wait_dscnt 0x0
	v_pk_mul_f32 v[122:123], v[118:119], v[110:111] op_sel:[0,1]
	s_delay_alu instid0(VALU_DEP_1) | instskip(SKIP_1) | instid1(VALU_DEP_1)
	v_pk_fma_f32 v[124:125], v[118:119], v[108:109], v[122:123] op_sel:[0,0,1] op_sel_hi:[1,1,0] neg_lo:[0,0,1] neg_hi:[0,0,1]
	v_pk_fma_f32 v[118:119], v[118:119], v[108:109], v[122:123] op_sel:[0,0,1] op_sel_hi:[1,0,0]
	v_mov_b32_e32 v125, v119
	v_pk_mul_f32 v[118:119], v[120:121], v[110:111] op_sel:[0,1]
	s_delay_alu instid0(VALU_DEP_1) | instskip(SKIP_1) | instid1(VALU_DEP_1)
	v_pk_fma_f32 v[122:123], v[120:121], v[108:109], v[118:119] op_sel:[0,0,1] op_sel_hi:[1,1,0] neg_lo:[0,0,1] neg_hi:[0,0,1]
	v_pk_fma_f32 v[118:119], v[120:121], v[108:109], v[118:119] op_sel:[0,0,1] op_sel_hi:[1,0,0]
	v_mov_b32_e32 v123, v119
	ds_load_2addr_b64 v[118:121], v112 offset0:20 offset1:21
	v_pk_add_f32 v[22:23], v[22:23], v[124:125] neg_lo:[0,1] neg_hi:[0,1]
	v_pk_add_f32 v[20:21], v[20:21], v[122:123] neg_lo:[0,1] neg_hi:[0,1]
	s_wait_dscnt 0x0
	v_dual_mul_f32 v122, v119, v111 :: v_dual_mul_f32 v124, v119, v108
	s_delay_alu instid0(VALU_DEP_1) | instskip(NEXT) | instid1(VALU_DEP_2)
	v_pk_fma_f32 v[122:123], v[118:119], v[90:91], v[122:123] op_sel_hi:[1,1,0] neg_lo:[0,0,1] neg_hi:[0,0,1]
	v_pk_fma_f32 v[118:119], v[118:119], v[90:91], v[124:125] op_sel:[1,0,0] op_sel_hi:[0,1,0]
	s_delay_alu instid0(VALU_DEP_1) | instskip(SKIP_1) | instid1(VALU_DEP_2)
	v_mov_b32_e32 v123, v119
	v_pk_mul_f32 v[118:119], v[120:121], v[110:111] op_sel:[0,1]
	v_pk_add_f32 v[52:53], v[52:53], v[122:123] neg_lo:[0,1] neg_hi:[0,1]
	s_delay_alu instid0(VALU_DEP_2) | instskip(SKIP_1) | instid1(VALU_DEP_1)
	v_pk_fma_f32 v[122:123], v[120:121], v[108:109], v[118:119] op_sel:[0,0,1] op_sel_hi:[1,1,0] neg_lo:[0,0,1] neg_hi:[0,0,1]
	v_pk_fma_f32 v[118:119], v[120:121], v[108:109], v[118:119] op_sel:[0,0,1] op_sel_hi:[1,0,0]
	v_mov_b32_e32 v123, v119
	ds_load_2addr_b64 v[118:121], v112 offset0:22 offset1:23
	v_pk_add_f32 v[50:51], v[50:51], v[122:123] neg_lo:[0,1] neg_hi:[0,1]
	s_wait_dscnt 0x0
	v_pk_mul_f32 v[122:123], v[118:119], v[110:111] op_sel:[0,1]
	s_delay_alu instid0(VALU_DEP_1) | instskip(SKIP_1) | instid1(VALU_DEP_1)
	v_pk_fma_f32 v[124:125], v[118:119], v[108:109], v[122:123] op_sel:[0,0,1] op_sel_hi:[1,1,0] neg_lo:[0,0,1] neg_hi:[0,0,1]
	v_pk_fma_f32 v[118:119], v[118:119], v[108:109], v[122:123] op_sel:[0,0,1] op_sel_hi:[1,0,0]
	v_mov_b32_e32 v125, v119
	v_pk_mul_f32 v[118:119], v[120:121], v[110:111] op_sel:[0,1]
	s_delay_alu instid0(VALU_DEP_2) | instskip(NEXT) | instid1(VALU_DEP_2)
	v_pk_add_f32 v[32:33], v[32:33], v[124:125] neg_lo:[0,1] neg_hi:[0,1]
	v_pk_fma_f32 v[122:123], v[120:121], v[108:109], v[118:119] op_sel:[0,0,1] op_sel_hi:[1,1,0] neg_lo:[0,0,1] neg_hi:[0,0,1]
	v_pk_fma_f32 v[118:119], v[120:121], v[108:109], v[118:119] op_sel:[0,0,1] op_sel_hi:[1,0,0]
	s_delay_alu instid0(VALU_DEP_1) | instskip(SKIP_4) | instid1(VALU_DEP_1)
	v_mov_b32_e32 v123, v119
	ds_load_2addr_b64 v[118:121], v112 offset0:24 offset1:25
	v_pk_add_f32 v[30:31], v[30:31], v[122:123] neg_lo:[0,1] neg_hi:[0,1]
	s_wait_dscnt 0x0
	v_pk_mul_f32 v[122:123], v[118:119], v[110:111] op_sel:[0,1]
	v_pk_fma_f32 v[124:125], v[118:119], v[108:109], v[122:123] op_sel:[0,0,1] op_sel_hi:[1,1,0] neg_lo:[0,0,1] neg_hi:[0,0,1]
	v_pk_fma_f32 v[118:119], v[118:119], v[108:109], v[122:123] op_sel:[0,0,1] op_sel_hi:[1,0,0]
	v_dual_mul_f32 v122, v121, v111 :: v_dual_mov_b32 v118, v121
	s_delay_alu instid0(VALU_DEP_2) | instskip(NEXT) | instid1(VALU_DEP_2)
	v_dual_mov_b32 v125, v119 :: v_dual_mov_b32 v119, v120
	v_pk_fma_f32 v[122:123], v[120:121], v[90:91], v[122:123] op_sel_hi:[1,1,0] neg_lo:[0,0,1] neg_hi:[0,0,1]
	v_mul_f32_e32 v120, v121, v108
	s_delay_alu instid0(VALU_DEP_3) | instskip(NEXT) | instid1(VALU_DEP_2)
	v_pk_add_f32 v[62:63], v[62:63], v[124:125] neg_lo:[0,1] neg_hi:[0,1]
	v_pk_fma_f32 v[118:119], v[118:119], v[90:91], v[120:121] op_sel_hi:[1,1,0]
	s_delay_alu instid0(VALU_DEP_1) | instskip(SKIP_4) | instid1(VALU_DEP_1)
	v_mov_b32_e32 v123, v119
	ds_load_2addr_b64 v[118:121], v112 offset0:26 offset1:27
	v_pk_add_f32 v[60:61], v[60:61], v[122:123] neg_lo:[0,1] neg_hi:[0,1]
	s_wait_dscnt 0x0
	v_pk_mul_f32 v[122:123], v[118:119], v[110:111] op_sel:[0,1]
	v_pk_fma_f32 v[124:125], v[118:119], v[108:109], v[122:123] op_sel:[0,0,1] op_sel_hi:[1,1,0] neg_lo:[0,0,1] neg_hi:[0,0,1]
	v_pk_fma_f32 v[118:119], v[118:119], v[108:109], v[122:123] op_sel:[0,0,1] op_sel_hi:[1,0,0]
	s_delay_alu instid0(VALU_DEP_1) | instskip(SKIP_1) | instid1(VALU_DEP_1)
	v_mov_b32_e32 v125, v119
	v_pk_mul_f32 v[118:119], v[120:121], v[110:111] op_sel:[0,1]
	v_pk_fma_f32 v[122:123], v[120:121], v[108:109], v[118:119] op_sel:[0,0,1] op_sel_hi:[1,1,0] neg_lo:[0,0,1] neg_hi:[0,0,1]
	v_pk_fma_f32 v[118:119], v[120:121], v[108:109], v[118:119] op_sel:[0,0,1] op_sel_hi:[1,0,0]
	s_delay_alu instid0(VALU_DEP_1)
	v_mov_b32_e32 v123, v119
	ds_load_2addr_b64 v[118:121], v112 offset0:28 offset1:29
	v_pk_add_f32 v[40:41], v[40:41], v[124:125] neg_lo:[0,1] neg_hi:[0,1]
	v_pk_add_f32 v[38:39], v[38:39], v[122:123] neg_lo:[0,1] neg_hi:[0,1]
	s_wait_dscnt 0x0
	v_pk_mul_f32 v[122:123], v[118:119], v[110:111] op_sel:[0,1]
	s_delay_alu instid0(VALU_DEP_1) | instskip(SKIP_1) | instid1(VALU_DEP_1)
	v_pk_fma_f32 v[124:125], v[118:119], v[108:109], v[122:123] op_sel:[0,0,1] op_sel_hi:[1,1,0] neg_lo:[0,0,1] neg_hi:[0,0,1]
	v_pk_fma_f32 v[118:119], v[118:119], v[108:109], v[122:123] op_sel:[0,0,1] op_sel_hi:[1,0,0]
	v_mov_b32_e32 v125, v119
	v_pk_mul_f32 v[118:119], v[120:121], v[110:111] op_sel:[0,1]
	s_delay_alu instid0(VALU_DEP_1) | instskip(SKIP_1) | instid1(VALU_DEP_1)
	v_pk_fma_f32 v[122:123], v[120:121], v[108:109], v[118:119] op_sel:[0,0,1] op_sel_hi:[1,1,0] neg_lo:[0,0,1] neg_hi:[0,0,1]
	v_pk_fma_f32 v[118:119], v[120:121], v[108:109], v[118:119] op_sel:[0,0,1] op_sel_hi:[1,0,0]
	v_mov_b32_e32 v123, v119
	ds_load_2addr_b64 v[118:121], v112 offset0:30 offset1:31
	v_pk_add_f32 v[70:71], v[70:71], v[124:125] neg_lo:[0,1] neg_hi:[0,1]
	v_pk_add_f32 v[68:69], v[68:69], v[122:123] neg_lo:[0,1] neg_hi:[0,1]
	s_wait_dscnt 0x0
	v_dual_mul_f32 v122, v119, v111 :: v_dual_mul_f32 v124, v119, v108
	s_delay_alu instid0(VALU_DEP_1) | instskip(NEXT) | instid1(VALU_DEP_2)
	v_pk_fma_f32 v[122:123], v[118:119], v[90:91], v[122:123] op_sel_hi:[1,1,0] neg_lo:[0,0,1] neg_hi:[0,0,1]
	v_pk_fma_f32 v[118:119], v[118:119], v[90:91], v[124:125] op_sel:[1,0,0] op_sel_hi:[0,1,0]
	s_delay_alu instid0(VALU_DEP_1) | instskip(SKIP_1) | instid1(VALU_DEP_2)
	v_mov_b32_e32 v123, v119
	v_pk_mul_f32 v[118:119], v[120:121], v[110:111] op_sel:[0,1]
	v_pk_add_f32 v[48:49], v[48:49], v[122:123] neg_lo:[0,1] neg_hi:[0,1]
	s_delay_alu instid0(VALU_DEP_2) | instskip(SKIP_1) | instid1(VALU_DEP_1)
	v_pk_fma_f32 v[122:123], v[120:121], v[108:109], v[118:119] op_sel:[0,0,1] op_sel_hi:[1,1,0] neg_lo:[0,0,1] neg_hi:[0,0,1]
	v_pk_fma_f32 v[118:119], v[120:121], v[108:109], v[118:119] op_sel:[0,0,1] op_sel_hi:[1,0,0]
	v_mov_b32_e32 v123, v119
	ds_load_2addr_b64 v[118:121], v112 offset0:32 offset1:33
	v_pk_add_f32 v[46:47], v[46:47], v[122:123] neg_lo:[0,1] neg_hi:[0,1]
	s_wait_dscnt 0x0
	v_pk_mul_f32 v[122:123], v[118:119], v[110:111] op_sel:[0,1]
	s_delay_alu instid0(VALU_DEP_1) | instskip(SKIP_1) | instid1(VALU_DEP_1)
	v_pk_fma_f32 v[124:125], v[118:119], v[108:109], v[122:123] op_sel:[0,0,1] op_sel_hi:[1,1,0] neg_lo:[0,0,1] neg_hi:[0,0,1]
	v_pk_fma_f32 v[118:119], v[118:119], v[108:109], v[122:123] op_sel:[0,0,1] op_sel_hi:[1,0,0]
	v_mov_b32_e32 v125, v119
	v_pk_mul_f32 v[118:119], v[120:121], v[110:111] op_sel:[0,1]
	s_delay_alu instid0(VALU_DEP_2) | instskip(NEXT) | instid1(VALU_DEP_2)
	v_pk_add_f32 v[84:85], v[84:85], v[124:125] neg_lo:[0,1] neg_hi:[0,1]
	v_pk_fma_f32 v[122:123], v[120:121], v[108:109], v[118:119] op_sel:[0,0,1] op_sel_hi:[1,1,0] neg_lo:[0,0,1] neg_hi:[0,0,1]
	v_pk_fma_f32 v[118:119], v[120:121], v[108:109], v[118:119] op_sel:[0,0,1] op_sel_hi:[1,0,0]
	s_delay_alu instid0(VALU_DEP_1) | instskip(SKIP_4) | instid1(VALU_DEP_1)
	v_mov_b32_e32 v123, v119
	ds_load_2addr_b64 v[118:121], v112 offset0:34 offset1:35
	v_pk_add_f32 v[82:83], v[82:83], v[122:123] neg_lo:[0,1] neg_hi:[0,1]
	s_wait_dscnt 0x0
	v_pk_mul_f32 v[122:123], v[118:119], v[110:111] op_sel:[0,1]
	v_pk_fma_f32 v[124:125], v[118:119], v[108:109], v[122:123] op_sel:[0,0,1] op_sel_hi:[1,1,0] neg_lo:[0,0,1] neg_hi:[0,0,1]
	v_pk_fma_f32 v[118:119], v[118:119], v[108:109], v[122:123] op_sel:[0,0,1] op_sel_hi:[1,0,0]
	v_dual_mul_f32 v122, v121, v111 :: v_dual_mov_b32 v118, v121
	s_delay_alu instid0(VALU_DEP_2) | instskip(NEXT) | instid1(VALU_DEP_2)
	v_dual_mov_b32 v125, v119 :: v_dual_mov_b32 v119, v120
	v_pk_fma_f32 v[122:123], v[120:121], v[90:91], v[122:123] op_sel_hi:[1,1,0] neg_lo:[0,0,1] neg_hi:[0,0,1]
	v_mul_f32_e32 v120, v121, v108
	s_delay_alu instid0(VALU_DEP_3) | instskip(NEXT) | instid1(VALU_DEP_2)
	v_pk_add_f32 v[56:57], v[56:57], v[124:125] neg_lo:[0,1] neg_hi:[0,1]
	v_pk_fma_f32 v[118:119], v[118:119], v[90:91], v[120:121] op_sel_hi:[1,1,0]
	s_delay_alu instid0(VALU_DEP_1) | instskip(SKIP_4) | instid1(VALU_DEP_1)
	v_mov_b32_e32 v123, v119
	ds_load_2addr_b64 v[118:121], v112 offset0:36 offset1:37
	v_pk_add_f32 v[54:55], v[54:55], v[122:123] neg_lo:[0,1] neg_hi:[0,1]
	s_wait_dscnt 0x0
	v_pk_mul_f32 v[122:123], v[118:119], v[110:111] op_sel:[0,1]
	v_pk_fma_f32 v[124:125], v[118:119], v[108:109], v[122:123] op_sel:[0,0,1] op_sel_hi:[1,1,0] neg_lo:[0,0,1] neg_hi:[0,0,1]
	v_pk_fma_f32 v[118:119], v[118:119], v[108:109], v[122:123] op_sel:[0,0,1] op_sel_hi:[1,0,0]
	s_delay_alu instid0(VALU_DEP_1) | instskip(SKIP_1) | instid1(VALU_DEP_1)
	v_mov_b32_e32 v125, v119
	v_pk_mul_f32 v[118:119], v[120:121], v[110:111] op_sel:[0,1]
	v_pk_fma_f32 v[122:123], v[120:121], v[108:109], v[118:119] op_sel:[0,0,1] op_sel_hi:[1,1,0] neg_lo:[0,0,1] neg_hi:[0,0,1]
	v_pk_fma_f32 v[118:119], v[120:121], v[108:109], v[118:119] op_sel:[0,0,1] op_sel_hi:[1,0,0]
	s_delay_alu instid0(VALU_DEP_1)
	v_mov_b32_e32 v123, v119
	ds_load_2addr_b64 v[118:121], v112 offset0:38 offset1:39
	v_pk_add_f32 v[94:95], v[94:95], v[124:125] neg_lo:[0,1] neg_hi:[0,1]
	v_pk_add_f32 v[92:93], v[92:93], v[122:123] neg_lo:[0,1] neg_hi:[0,1]
	s_wait_dscnt 0x0
	v_pk_mul_f32 v[122:123], v[118:119], v[110:111] op_sel:[0,1]
	s_delay_alu instid0(VALU_DEP_1) | instskip(SKIP_1) | instid1(VALU_DEP_1)
	v_pk_fma_f32 v[124:125], v[118:119], v[108:109], v[122:123] op_sel:[0,0,1] op_sel_hi:[1,1,0] neg_lo:[0,0,1] neg_hi:[0,0,1]
	v_pk_fma_f32 v[118:119], v[118:119], v[108:109], v[122:123] op_sel:[0,0,1] op_sel_hi:[1,0,0]
	v_mov_b32_e32 v125, v119
	v_pk_mul_f32 v[118:119], v[120:121], v[110:111] op_sel:[0,1]
	s_delay_alu instid0(VALU_DEP_1) | instskip(SKIP_1) | instid1(VALU_DEP_1)
	v_pk_fma_f32 v[122:123], v[120:121], v[108:109], v[118:119] op_sel:[0,0,1] op_sel_hi:[1,1,0] neg_lo:[0,0,1] neg_hi:[0,0,1]
	v_pk_fma_f32 v[118:119], v[120:121], v[108:109], v[118:119] op_sel:[0,0,1] op_sel_hi:[1,0,0]
	v_mov_b32_e32 v123, v119
	ds_load_2addr_b64 v[118:121], v112 offset0:40 offset1:41
	v_pk_add_f32 v[66:67], v[66:67], v[124:125] neg_lo:[0,1] neg_hi:[0,1]
	v_pk_add_f32 v[64:65], v[64:65], v[122:123] neg_lo:[0,1] neg_hi:[0,1]
	s_wait_dscnt 0x0
	v_dual_mul_f32 v122, v119, v111 :: v_dual_mul_f32 v124, v119, v108
	s_delay_alu instid0(VALU_DEP_1) | instskip(NEXT) | instid1(VALU_DEP_2)
	v_pk_fma_f32 v[122:123], v[118:119], v[90:91], v[122:123] op_sel_hi:[1,1,0] neg_lo:[0,0,1] neg_hi:[0,0,1]
	v_pk_fma_f32 v[118:119], v[118:119], v[90:91], v[124:125] op_sel:[1,0,0] op_sel_hi:[0,1,0]
	s_delay_alu instid0(VALU_DEP_1) | instskip(SKIP_1) | instid1(VALU_DEP_2)
	v_mov_b32_e32 v123, v119
	v_pk_mul_f32 v[118:119], v[120:121], v[110:111] op_sel:[0,1]
	v_pk_add_f32 v[104:105], v[104:105], v[122:123] neg_lo:[0,1] neg_hi:[0,1]
	s_delay_alu instid0(VALU_DEP_2) | instskip(SKIP_1) | instid1(VALU_DEP_1)
	v_pk_fma_f32 v[122:123], v[120:121], v[108:109], v[118:119] op_sel:[0,0,1] op_sel_hi:[1,1,0] neg_lo:[0,0,1] neg_hi:[0,0,1]
	v_pk_fma_f32 v[118:119], v[120:121], v[108:109], v[118:119] op_sel:[0,0,1] op_sel_hi:[1,0,0]
	v_mov_b32_e32 v123, v119
	ds_load_2addr_b64 v[118:121], v112 offset0:42 offset1:43
	v_pk_add_f32 v[102:103], v[102:103], v[122:123] neg_lo:[0,1] neg_hi:[0,1]
	s_wait_dscnt 0x0
	v_pk_mul_f32 v[122:123], v[118:119], v[110:111] op_sel:[0,1]
	s_delay_alu instid0(VALU_DEP_1) | instskip(SKIP_1) | instid1(VALU_DEP_1)
	v_pk_fma_f32 v[124:125], v[118:119], v[108:109], v[122:123] op_sel:[0,0,1] op_sel_hi:[1,1,0] neg_lo:[0,0,1] neg_hi:[0,0,1]
	v_pk_fma_f32 v[118:119], v[118:119], v[108:109], v[122:123] op_sel:[0,0,1] op_sel_hi:[1,0,0]
	v_mov_b32_e32 v125, v119
	v_pk_mul_f32 v[118:119], v[120:121], v[110:111] op_sel:[0,1]
	s_delay_alu instid0(VALU_DEP_2) | instskip(NEXT) | instid1(VALU_DEP_2)
	v_pk_add_f32 v[76:77], v[76:77], v[124:125] neg_lo:[0,1] neg_hi:[0,1]
	v_pk_fma_f32 v[122:123], v[120:121], v[108:109], v[118:119] op_sel:[0,0,1] op_sel_hi:[1,1,0] neg_lo:[0,0,1] neg_hi:[0,0,1]
	v_pk_fma_f32 v[118:119], v[120:121], v[108:109], v[118:119] op_sel:[0,0,1] op_sel_hi:[1,0,0]
	s_delay_alu instid0(VALU_DEP_1) | instskip(SKIP_4) | instid1(VALU_DEP_1)
	v_mov_b32_e32 v123, v119
	ds_load_2addr_b64 v[118:121], v112 offset0:44 offset1:45
	v_pk_add_f32 v[74:75], v[74:75], v[122:123] neg_lo:[0,1] neg_hi:[0,1]
	s_wait_dscnt 0x0
	v_pk_mul_f32 v[122:123], v[118:119], v[110:111] op_sel:[0,1]
	v_pk_fma_f32 v[124:125], v[118:119], v[108:109], v[122:123] op_sel:[0,0,1] op_sel_hi:[1,1,0] neg_lo:[0,0,1] neg_hi:[0,0,1]
	v_pk_fma_f32 v[118:119], v[118:119], v[108:109], v[122:123] op_sel:[0,0,1] op_sel_hi:[1,0,0]
	v_dual_mul_f32 v122, v121, v111 :: v_dual_mov_b32 v118, v121
	s_delay_alu instid0(VALU_DEP_2) | instskip(NEXT) | instid1(VALU_DEP_2)
	v_dual_mov_b32 v125, v119 :: v_dual_mov_b32 v119, v120
	v_pk_fma_f32 v[122:123], v[120:121], v[90:91], v[122:123] op_sel_hi:[1,1,0] neg_lo:[0,0,1] neg_hi:[0,0,1]
	v_mul_f32_e32 v120, v121, v108
	s_delay_alu instid0(VALU_DEP_3) | instskip(NEXT) | instid1(VALU_DEP_2)
	v_pk_add_f32 v[98:99], v[98:99], v[124:125] neg_lo:[0,1] neg_hi:[0,1]
	v_pk_fma_f32 v[118:119], v[118:119], v[90:91], v[120:121] op_sel_hi:[1,1,0]
	s_delay_alu instid0(VALU_DEP_1) | instskip(SKIP_4) | instid1(VALU_DEP_1)
	v_mov_b32_e32 v123, v119
	ds_load_2addr_b64 v[118:121], v112 offset0:46 offset1:47
	v_pk_add_f32 v[96:97], v[96:97], v[122:123] neg_lo:[0,1] neg_hi:[0,1]
	s_wait_dscnt 0x0
	v_pk_mul_f32 v[122:123], v[118:119], v[110:111] op_sel:[0,1]
	v_pk_fma_f32 v[124:125], v[118:119], v[108:109], v[122:123] op_sel:[0,0,1] op_sel_hi:[1,1,0] neg_lo:[0,0,1] neg_hi:[0,0,1]
	v_pk_fma_f32 v[118:119], v[118:119], v[108:109], v[122:123] op_sel:[0,0,1] op_sel_hi:[1,0,0]
	s_delay_alu instid0(VALU_DEP_1) | instskip(SKIP_1) | instid1(VALU_DEP_1)
	v_mov_b32_e32 v125, v119
	v_pk_mul_f32 v[118:119], v[120:121], v[110:111] op_sel:[0,1]
	v_pk_fma_f32 v[122:123], v[120:121], v[108:109], v[118:119] op_sel:[0,0,1] op_sel_hi:[1,1,0] neg_lo:[0,0,1] neg_hi:[0,0,1]
	v_pk_fma_f32 v[118:119], v[120:121], v[108:109], v[118:119] op_sel:[0,0,1] op_sel_hi:[1,0,0]
	s_delay_alu instid0(VALU_DEP_1)
	v_mov_b32_e32 v123, v119
	ds_load_2addr_b64 v[118:121], v112 offset0:48 offset1:49
	v_pk_add_f32 v[80:81], v[80:81], v[124:125] neg_lo:[0,1] neg_hi:[0,1]
	v_pk_add_f32 v[78:79], v[78:79], v[122:123] neg_lo:[0,1] neg_hi:[0,1]
	s_wait_dscnt 0x0
	v_pk_mul_f32 v[122:123], v[118:119], v[110:111] op_sel:[0,1]
	s_delay_alu instid0(VALU_DEP_1) | instskip(SKIP_1) | instid1(VALU_DEP_1)
	v_pk_fma_f32 v[124:125], v[118:119], v[108:109], v[122:123] op_sel:[0,0,1] op_sel_hi:[1,1,0] neg_lo:[0,0,1] neg_hi:[0,0,1]
	v_pk_fma_f32 v[118:119], v[118:119], v[108:109], v[122:123] op_sel:[0,0,1] op_sel_hi:[1,0,0]
	v_mov_b32_e32 v125, v119
	v_pk_mul_f32 v[118:119], v[120:121], v[110:111] op_sel:[0,1]
	s_delay_alu instid0(VALU_DEP_1) | instskip(SKIP_1) | instid1(VALU_DEP_1)
	v_pk_fma_f32 v[122:123], v[120:121], v[108:109], v[118:119] op_sel:[0,0,1] op_sel_hi:[1,1,0] neg_lo:[0,0,1] neg_hi:[0,0,1]
	v_pk_fma_f32 v[118:119], v[120:121], v[108:109], v[118:119] op_sel:[0,0,1] op_sel_hi:[1,0,0]
	v_mov_b32_e32 v123, v119
	ds_load_b64 v[118:119], v112 offset:400
	v_pk_add_f32 v[88:89], v[88:89], v[124:125] neg_lo:[0,1] neg_hi:[0,1]
	v_pk_add_f32 v[86:87], v[86:87], v[122:123] neg_lo:[0,1] neg_hi:[0,1]
	s_wait_dscnt 0x0
	v_pk_mul_f32 v[110:111], v[118:119], v[110:111] op_sel:[0,1]
	s_delay_alu instid0(VALU_DEP_1) | instskip(SKIP_1) | instid1(VALU_DEP_1)
	v_pk_fma_f32 v[120:121], v[118:119], v[108:109], v[110:111] op_sel:[0,0,1] op_sel_hi:[1,1,0] neg_lo:[0,0,1] neg_hi:[0,0,1]
	v_pk_fma_f32 v[108:109], v[118:119], v[108:109], v[110:111] op_sel:[0,0,1] op_sel_hi:[1,0,0]
	v_mov_b32_e32 v121, v109
	s_delay_alu instid0(VALU_DEP_1)
	v_pk_add_f32 v[106:107], v[106:107], v[120:121] neg_lo:[0,1] neg_hi:[0,1]
.LBB100_41:
	s_or_b32 exec_lo, exec_lo, s0
	v_lshl_add_u32 v108, v116, 3, v112
	s_barrier_signal -1
	s_barrier_wait -1
	ds_store_b64 v108, v[72:73]
	s_wait_dscnt 0x0
	s_barrier_signal -1
	s_barrier_wait -1
	ds_load_b64 v[110:111], v112 offset:16
	v_mov_b32_e32 v108, 2
	s_cmp_lt_i32 s18, 4
	s_mov_b32 s0, 3
	s_cbranch_scc1 .LBB100_44
; %bb.42:
	v_add3_u32 v109, v113, 0, 24
	v_mov_b32_e32 v108, 2
.LBB100_43:                             ; =>This Inner Loop Header: Depth=1
	ds_load_b64 v[118:119], v109
	s_wait_dscnt 0x1
	v_cmp_gt_f32_e32 vcc_lo, 0, v110
	v_cndmask_b32_e64 v120, v110, -v110, vcc_lo
	v_cmp_gt_f32_e32 vcc_lo, 0, v111
	v_cndmask_b32_e64 v122, v111, -v111, vcc_lo
	s_wait_dscnt 0x0
	v_cmp_gt_f32_e32 vcc_lo, 0, v118
	v_cndmask_b32_e64 v121, v118, -v118, vcc_lo
	v_cmp_gt_f32_e32 vcc_lo, 0, v119
	v_cndmask_b32_e64 v123, v119, -v119, vcc_lo
	s_delay_alu instid0(VALU_DEP_1) | instskip(NEXT) | instid1(VALU_DEP_1)
	v_pk_add_f32 v[120:121], v[120:121], v[122:123]
	v_cmp_lt_f32_e32 vcc_lo, v120, v121
	v_dual_add_nc_u32 v109, 8, v109 :: v_dual_cndmask_b32 v111, v111, v119, vcc_lo
	v_cndmask_b32_e32 v110, v110, v118, vcc_lo
	v_cndmask_b32_e64 v108, v108, s0, vcc_lo
	s_add_co_i32 s0, s0, 1
	s_delay_alu instid0(SALU_CYCLE_1)
	s_cmp_lg_u32 s18, s0
	s_cbranch_scc1 .LBB100_43
.LBB100_44:
	s_wait_dscnt 0x0
	v_cmp_eq_f32_e32 vcc_lo, 0, v110
	v_cmp_eq_f32_e64 s0, 0, v111
	s_and_b32 s0, vcc_lo, s0
	s_delay_alu instid0(SALU_CYCLE_1) | instskip(NEXT) | instid1(SALU_CYCLE_1)
	s_and_saveexec_b32 s1, s0
	s_xor_b32 s0, exec_lo, s1
; %bb.45:
	v_cmp_ne_u32_e32 vcc_lo, 0, v114
	v_cndmask_b32_e32 v114, 3, v114, vcc_lo
; %bb.46:
	s_and_not1_saveexec_b32 s0, s0
	s_cbranch_execz .LBB100_52
; %bb.47:
	v_cmp_ngt_f32_e64 s1, |v110|, |v111|
	s_and_saveexec_b32 s12, s1
	s_delay_alu instid0(SALU_CYCLE_1)
	s_xor_b32 s1, exec_lo, s12
	s_cbranch_execz .LBB100_49
; %bb.48:
	v_div_scale_f32 v109, null, v111, v111, v110
	v_div_scale_f32 v119, vcc_lo, v110, v111, v110
	s_delay_alu instid0(VALU_DEP_2) | instskip(SKIP_1) | instid1(TRANS32_DEP_1)
	v_rcp_f32_e32 v117, v109
	v_nop
	v_fma_f32 v118, -v109, v117, 1.0
	s_delay_alu instid0(VALU_DEP_1) | instskip(NEXT) | instid1(VALU_DEP_1)
	v_fmac_f32_e32 v117, v118, v117
	v_mul_f32_e32 v118, v119, v117
	s_delay_alu instid0(VALU_DEP_1) | instskip(NEXT) | instid1(VALU_DEP_1)
	v_fma_f32 v120, -v109, v118, v119
	v_fmac_f32_e32 v118, v120, v117
	s_delay_alu instid0(VALU_DEP_1) | instskip(NEXT) | instid1(VALU_DEP_1)
	v_fma_f32 v109, -v109, v118, v119
	v_div_fmas_f32 v109, v109, v117, v118
	s_delay_alu instid0(VALU_DEP_1) | instskip(NEXT) | instid1(VALU_DEP_1)
	v_div_fixup_f32 v109, v109, v111, v110
	v_fmac_f32_e32 v111, v110, v109
	s_delay_alu instid0(VALU_DEP_1) | instskip(SKIP_1) | instid1(VALU_DEP_2)
	v_div_scale_f32 v110, null, v111, v111, 1.0
	v_div_scale_f32 v119, vcc_lo, 1.0, v111, 1.0
	v_rcp_f32_e32 v117, v110
	v_nop
	s_delay_alu instid0(TRANS32_DEP_1) | instskip(NEXT) | instid1(VALU_DEP_1)
	v_fma_f32 v118, -v110, v117, 1.0
	v_fmac_f32_e32 v117, v118, v117
	s_delay_alu instid0(VALU_DEP_1) | instskip(NEXT) | instid1(VALU_DEP_1)
	v_mul_f32_e32 v118, v119, v117
	v_fma_f32 v120, -v110, v118, v119
	s_delay_alu instid0(VALU_DEP_1) | instskip(NEXT) | instid1(VALU_DEP_1)
	v_fmac_f32_e32 v118, v120, v117
	v_fma_f32 v110, -v110, v118, v119
	s_delay_alu instid0(VALU_DEP_1) | instskip(NEXT) | instid1(VALU_DEP_1)
	v_div_fmas_f32 v110, v110, v117, v118
	v_div_fixup_f32 v111, v110, v111, 1.0
	s_delay_alu instid0(VALU_DEP_1)
	v_mul_f32_e32 v110, v109, v111
	v_xor_b32_e32 v111, 0x80000000, v111
.LBB100_49:
	s_and_not1_saveexec_b32 s1, s1
	s_cbranch_execz .LBB100_51
; %bb.50:
	s_delay_alu instid0(VALU_DEP_1) | instskip(SKIP_1) | instid1(VALU_DEP_2)
	v_div_scale_f32 v109, null, v110, v110, v111
	v_div_scale_f32 v119, vcc_lo, v111, v110, v111
	v_rcp_f32_e32 v117, v109
	v_nop
	s_delay_alu instid0(TRANS32_DEP_1) | instskip(NEXT) | instid1(VALU_DEP_1)
	v_fma_f32 v118, -v109, v117, 1.0
	v_fmac_f32_e32 v117, v118, v117
	s_delay_alu instid0(VALU_DEP_1) | instskip(NEXT) | instid1(VALU_DEP_1)
	v_mul_f32_e32 v118, v119, v117
	v_fma_f32 v120, -v109, v118, v119
	s_delay_alu instid0(VALU_DEP_1) | instskip(NEXT) | instid1(VALU_DEP_1)
	v_fmac_f32_e32 v118, v120, v117
	v_fma_f32 v109, -v109, v118, v119
	s_delay_alu instid0(VALU_DEP_1) | instskip(NEXT) | instid1(VALU_DEP_1)
	v_div_fmas_f32 v109, v109, v117, v118
	v_div_fixup_f32 v109, v109, v110, v111
	s_delay_alu instid0(VALU_DEP_1) | instskip(NEXT) | instid1(VALU_DEP_1)
	v_fmac_f32_e32 v110, v111, v109
	v_div_scale_f32 v111, null, v110, v110, 1.0
	s_delay_alu instid0(VALU_DEP_1) | instskip(SKIP_1) | instid1(TRANS32_DEP_1)
	v_rcp_f32_e32 v117, v111
	v_nop
	v_fma_f32 v118, -v111, v117, 1.0
	s_delay_alu instid0(VALU_DEP_1) | instskip(SKIP_1) | instid1(VALU_DEP_1)
	v_fmac_f32_e32 v117, v118, v117
	v_div_scale_f32 v118, vcc_lo, 1.0, v110, 1.0
	v_mul_f32_e32 v119, v118, v117
	s_delay_alu instid0(VALU_DEP_1) | instskip(NEXT) | instid1(VALU_DEP_1)
	v_fma_f32 v120, -v111, v119, v118
	v_fmac_f32_e32 v119, v120, v117
	s_delay_alu instid0(VALU_DEP_1) | instskip(NEXT) | instid1(VALU_DEP_1)
	v_fma_f32 v111, -v111, v119, v118
	v_div_fmas_f32 v111, v111, v117, v119
	s_delay_alu instid0(VALU_DEP_1) | instskip(NEXT) | instid1(VALU_DEP_1)
	v_div_fixup_f32 v110, v111, v110, 1.0
	v_mul_f32_e64 v111, v109, -v110
.LBB100_51:
	s_or_b32 exec_lo, exec_lo, s1
.LBB100_52:
	s_delay_alu instid0(SALU_CYCLE_1) | instskip(NEXT) | instid1(SALU_CYCLE_1)
	s_or_b32 exec_lo, exec_lo, s0
	s_mov_b32 s0, exec_lo
	v_cmpx_ne_u32_e64 v116, v108
	s_xor_b32 s0, exec_lo, s0
	s_cbranch_execz .LBB100_58
; %bb.53:
	s_mov_b32 s1, exec_lo
	v_cmpx_eq_u32_e32 2, v116
	s_cbranch_execz .LBB100_57
; %bb.54:
	v_cmp_ne_u32_e32 vcc_lo, 2, v108
	s_xor_b32 s12, s16, -1
	s_delay_alu instid0(SALU_CYCLE_1) | instskip(NEXT) | instid1(SALU_CYCLE_1)
	s_and_b32 s13, s12, vcc_lo
	s_and_saveexec_b32 s12, s13
	s_cbranch_execz .LBB100_56
; %bb.55:
	v_ashrrev_i32_e32 v109, 31, v108
	s_delay_alu instid0(VALU_DEP_1)
	v_lshl_add_u64 v[116:117], v[108:109], 2, v[4:5]
	s_clause 0x1
	global_load_b32 v109, v[116:117], off
	global_load_b32 v115, v[4:5], off offset:8
	s_wait_loadcnt 0x1
	global_store_b32 v[4:5], v109, off offset:8
	s_wait_loadcnt 0x0
	global_store_b32 v[116:117], v115, off
.LBB100_56:
	s_wait_xcnt 0x0
	s_or_b32 exec_lo, exec_lo, s12
	v_dual_mov_b32 v116, v108 :: v_dual_mov_b32 v115, v108
.LBB100_57:
	s_or_b32 exec_lo, exec_lo, s1
.LBB100_58:
	s_and_not1_saveexec_b32 s0, s0
	s_cbranch_execz .LBB100_60
; %bb.59:
	v_mov_b32_e32 v116, 2
	ds_store_2addr_b64 v112, v[58:59], v[24:25] offset0:3 offset1:4
	ds_store_2addr_b64 v112, v[16:17], v[8:9] offset0:5 offset1:6
	;; [unrolled: 1-line block ×24, first 2 shown]
.LBB100_60:
	s_or_b32 exec_lo, exec_lo, s0
	s_delay_alu instid0(SALU_CYCLE_1)
	s_mov_b32 s0, exec_lo
	s_wait_storecnt_dscnt 0x0
	s_barrier_signal -1
	s_barrier_wait -1
	v_cmpx_lt_i32_e32 2, v116
	s_cbranch_execz .LBB100_62
; %bb.61:
	v_pk_mul_f32 v[118:119], v[110:111], v[72:73] op_sel:[1,1] op_sel_hi:[0,1]
	s_delay_alu instid0(VALU_DEP_1)
	v_pk_fma_f32 v[108:109], v[110:111], v[72:73], v[118:119] op_sel_hi:[1,0,1] neg_lo:[0,0,1] neg_hi:[0,0,1]
	v_pk_fma_f32 v[110:111], v[110:111], v[72:73], v[118:119] op_sel_hi:[1,0,1]
	ds_load_2addr_b64 v[118:121], v112 offset0:3 offset1:4
	v_dual_mov_b32 v72, v108 :: v_dual_mov_b32 v73, v111
	s_wait_dscnt 0x0
	v_pk_mul_f32 v[122:123], v[118:119], v[110:111] op_sel:[0,1]
	s_delay_alu instid0(VALU_DEP_1) | instskip(SKIP_1) | instid1(VALU_DEP_1)
	v_pk_fma_f32 v[124:125], v[118:119], v[108:109], v[122:123] op_sel:[0,0,1] op_sel_hi:[1,1,0] neg_lo:[0,0,1] neg_hi:[0,0,1]
	v_pk_fma_f32 v[118:119], v[118:119], v[108:109], v[122:123] op_sel:[0,0,1] op_sel_hi:[1,0,0]
	v_mov_b32_e32 v125, v119
	v_pk_mul_f32 v[118:119], v[120:121], v[110:111] op_sel:[0,1]
	s_delay_alu instid0(VALU_DEP_1) | instskip(SKIP_1) | instid1(VALU_DEP_1)
	v_pk_fma_f32 v[122:123], v[120:121], v[108:109], v[118:119] op_sel:[0,0,1] op_sel_hi:[1,1,0] neg_lo:[0,0,1] neg_hi:[0,0,1]
	v_pk_fma_f32 v[118:119], v[120:121], v[108:109], v[118:119] op_sel:[0,0,1] op_sel_hi:[1,0,0]
	v_mov_b32_e32 v123, v119
	ds_load_2addr_b64 v[118:121], v112 offset0:5 offset1:6
	v_pk_add_f32 v[58:59], v[58:59], v[124:125] neg_lo:[0,1] neg_hi:[0,1]
	v_pk_add_f32 v[24:25], v[24:25], v[122:123] neg_lo:[0,1] neg_hi:[0,1]
	s_wait_dscnt 0x0
	v_pk_mul_f32 v[122:123], v[118:119], v[110:111] op_sel:[0,1]
	s_delay_alu instid0(VALU_DEP_1) | instskip(SKIP_2) | instid1(VALU_DEP_2)
	v_pk_fma_f32 v[124:125], v[118:119], v[108:109], v[122:123] op_sel:[0,0,1] op_sel_hi:[1,1,0] neg_lo:[0,0,1] neg_hi:[0,0,1]
	v_pk_fma_f32 v[118:119], v[118:119], v[108:109], v[122:123] op_sel:[0,0,1] op_sel_hi:[1,0,0]
	v_dual_mul_f32 v122, v121, v111 :: v_dual_mov_b32 v118, v121
	v_dual_mov_b32 v125, v119 :: v_dual_mov_b32 v119, v120
	s_delay_alu instid0(VALU_DEP_2) | instskip(SKIP_1) | instid1(VALU_DEP_3)
	v_pk_fma_f32 v[122:123], v[120:121], v[72:73], v[122:123] op_sel_hi:[1,1,0] neg_lo:[0,0,1] neg_hi:[0,0,1]
	v_mul_f32_e32 v120, v121, v108
	v_pk_add_f32 v[16:17], v[16:17], v[124:125] neg_lo:[0,1] neg_hi:[0,1]
	s_delay_alu instid0(VALU_DEP_2) | instskip(NEXT) | instid1(VALU_DEP_1)
	v_pk_fma_f32 v[118:119], v[118:119], v[72:73], v[120:121] op_sel_hi:[1,1,0]
	v_mov_b32_e32 v123, v119
	ds_load_2addr_b64 v[118:121], v112 offset0:7 offset1:8
	v_pk_add_f32 v[8:9], v[8:9], v[122:123] neg_lo:[0,1] neg_hi:[0,1]
	s_wait_dscnt 0x0
	v_pk_mul_f32 v[122:123], v[118:119], v[110:111] op_sel:[0,1]
	s_delay_alu instid0(VALU_DEP_1) | instskip(SKIP_1) | instid1(VALU_DEP_1)
	v_pk_fma_f32 v[124:125], v[118:119], v[108:109], v[122:123] op_sel:[0,0,1] op_sel_hi:[1,1,0] neg_lo:[0,0,1] neg_hi:[0,0,1]
	v_pk_fma_f32 v[118:119], v[118:119], v[108:109], v[122:123] op_sel:[0,0,1] op_sel_hi:[1,0,0]
	v_mov_b32_e32 v125, v119
	v_pk_mul_f32 v[118:119], v[120:121], v[110:111] op_sel:[0,1]
	s_delay_alu instid0(VALU_DEP_1) | instskip(SKIP_1) | instid1(VALU_DEP_1)
	v_pk_fma_f32 v[122:123], v[120:121], v[108:109], v[118:119] op_sel:[0,0,1] op_sel_hi:[1,1,0] neg_lo:[0,0,1] neg_hi:[0,0,1]
	v_pk_fma_f32 v[118:119], v[120:121], v[108:109], v[118:119] op_sel:[0,0,1] op_sel_hi:[1,0,0]
	v_mov_b32_e32 v123, v119
	ds_load_2addr_b64 v[118:121], v112 offset0:9 offset1:10
	v_pk_add_f32 v[6:7], v[6:7], v[124:125] neg_lo:[0,1] neg_hi:[0,1]
	v_pk_add_f32 v[28:29], v[28:29], v[122:123] neg_lo:[0,1] neg_hi:[0,1]
	s_wait_dscnt 0x0
	v_pk_mul_f32 v[122:123], v[118:119], v[110:111] op_sel:[0,1]
	s_delay_alu instid0(VALU_DEP_1) | instskip(SKIP_1) | instid1(VALU_DEP_1)
	v_pk_fma_f32 v[124:125], v[118:119], v[108:109], v[122:123] op_sel:[0,0,1] op_sel_hi:[1,1,0] neg_lo:[0,0,1] neg_hi:[0,0,1]
	v_pk_fma_f32 v[118:119], v[118:119], v[108:109], v[122:123] op_sel:[0,0,1] op_sel_hi:[1,0,0]
	v_mov_b32_e32 v125, v119
	v_pk_mul_f32 v[118:119], v[120:121], v[110:111] op_sel:[0,1]
	s_delay_alu instid0(VALU_DEP_1) | instskip(SKIP_1) | instid1(VALU_DEP_1)
	v_pk_fma_f32 v[122:123], v[120:121], v[108:109], v[118:119] op_sel:[0,0,1] op_sel_hi:[1,1,0] neg_lo:[0,0,1] neg_hi:[0,0,1]
	v_pk_fma_f32 v[118:119], v[120:121], v[108:109], v[118:119] op_sel:[0,0,1] op_sel_hi:[1,0,0]
	v_mov_b32_e32 v123, v119
	ds_load_2addr_b64 v[118:121], v112 offset0:11 offset1:12
	v_pk_add_f32 v[26:27], v[26:27], v[124:125] neg_lo:[0,1] neg_hi:[0,1]
	v_pk_add_f32 v[12:13], v[12:13], v[122:123] neg_lo:[0,1] neg_hi:[0,1]
	s_wait_dscnt 0x0
	v_dual_mul_f32 v122, v119, v111 :: v_dual_mul_f32 v124, v119, v108
	s_delay_alu instid0(VALU_DEP_1) | instskip(NEXT) | instid1(VALU_DEP_2)
	v_pk_fma_f32 v[122:123], v[118:119], v[72:73], v[122:123] op_sel_hi:[1,1,0] neg_lo:[0,0,1] neg_hi:[0,0,1]
	v_pk_fma_f32 v[118:119], v[118:119], v[72:73], v[124:125] op_sel:[1,0,0] op_sel_hi:[0,1,0]
	s_delay_alu instid0(VALU_DEP_1) | instskip(SKIP_1) | instid1(VALU_DEP_2)
	v_mov_b32_e32 v123, v119
	v_pk_mul_f32 v[118:119], v[120:121], v[110:111] op_sel:[0,1]
	v_pk_add_f32 v[10:11], v[10:11], v[122:123] neg_lo:[0,1] neg_hi:[0,1]
	s_delay_alu instid0(VALU_DEP_2) | instskip(SKIP_1) | instid1(VALU_DEP_1)
	v_pk_fma_f32 v[122:123], v[120:121], v[108:109], v[118:119] op_sel:[0,0,1] op_sel_hi:[1,1,0] neg_lo:[0,0,1] neg_hi:[0,0,1]
	v_pk_fma_f32 v[118:119], v[120:121], v[108:109], v[118:119] op_sel:[0,0,1] op_sel_hi:[1,0,0]
	v_mov_b32_e32 v123, v119
	ds_load_2addr_b64 v[118:121], v112 offset0:13 offset1:14
	v_pk_add_f32 v[36:37], v[36:37], v[122:123] neg_lo:[0,1] neg_hi:[0,1]
	s_wait_dscnt 0x0
	v_pk_mul_f32 v[122:123], v[118:119], v[110:111] op_sel:[0,1]
	s_delay_alu instid0(VALU_DEP_1) | instskip(SKIP_1) | instid1(VALU_DEP_1)
	v_pk_fma_f32 v[124:125], v[118:119], v[108:109], v[122:123] op_sel:[0,0,1] op_sel_hi:[1,1,0] neg_lo:[0,0,1] neg_hi:[0,0,1]
	v_pk_fma_f32 v[118:119], v[118:119], v[108:109], v[122:123] op_sel:[0,0,1] op_sel_hi:[1,0,0]
	v_mov_b32_e32 v125, v119
	v_pk_mul_f32 v[118:119], v[120:121], v[110:111] op_sel:[0,1]
	s_delay_alu instid0(VALU_DEP_2) | instskip(NEXT) | instid1(VALU_DEP_2)
	v_pk_add_f32 v[34:35], v[34:35], v[124:125] neg_lo:[0,1] neg_hi:[0,1]
	v_pk_fma_f32 v[122:123], v[120:121], v[108:109], v[118:119] op_sel:[0,0,1] op_sel_hi:[1,1,0] neg_lo:[0,0,1] neg_hi:[0,0,1]
	v_pk_fma_f32 v[118:119], v[120:121], v[108:109], v[118:119] op_sel:[0,0,1] op_sel_hi:[1,0,0]
	s_delay_alu instid0(VALU_DEP_1) | instskip(SKIP_4) | instid1(VALU_DEP_1)
	v_mov_b32_e32 v123, v119
	ds_load_2addr_b64 v[118:121], v112 offset0:15 offset1:16
	v_pk_add_f32 v[18:19], v[18:19], v[122:123] neg_lo:[0,1] neg_hi:[0,1]
	s_wait_dscnt 0x0
	v_pk_mul_f32 v[122:123], v[118:119], v[110:111] op_sel:[0,1]
	v_pk_fma_f32 v[124:125], v[118:119], v[108:109], v[122:123] op_sel:[0,0,1] op_sel_hi:[1,1,0] neg_lo:[0,0,1] neg_hi:[0,0,1]
	v_pk_fma_f32 v[118:119], v[118:119], v[108:109], v[122:123] op_sel:[0,0,1] op_sel_hi:[1,0,0]
	v_dual_mul_f32 v122, v121, v111 :: v_dual_mov_b32 v118, v121
	s_delay_alu instid0(VALU_DEP_2) | instskip(NEXT) | instid1(VALU_DEP_2)
	v_dual_mov_b32 v125, v119 :: v_dual_mov_b32 v119, v120
	v_pk_fma_f32 v[122:123], v[120:121], v[72:73], v[122:123] op_sel_hi:[1,1,0] neg_lo:[0,0,1] neg_hi:[0,0,1]
	v_mul_f32_e32 v120, v121, v108
	s_delay_alu instid0(VALU_DEP_3) | instskip(NEXT) | instid1(VALU_DEP_2)
	v_pk_add_f32 v[14:15], v[14:15], v[124:125] neg_lo:[0,1] neg_hi:[0,1]
	v_pk_fma_f32 v[118:119], v[118:119], v[72:73], v[120:121] op_sel_hi:[1,1,0]
	s_delay_alu instid0(VALU_DEP_1) | instskip(SKIP_4) | instid1(VALU_DEP_1)
	v_mov_b32_e32 v123, v119
	ds_load_2addr_b64 v[118:121], v112 offset0:17 offset1:18
	v_pk_add_f32 v[44:45], v[44:45], v[122:123] neg_lo:[0,1] neg_hi:[0,1]
	s_wait_dscnt 0x0
	v_pk_mul_f32 v[122:123], v[118:119], v[110:111] op_sel:[0,1]
	v_pk_fma_f32 v[124:125], v[118:119], v[108:109], v[122:123] op_sel:[0,0,1] op_sel_hi:[1,1,0] neg_lo:[0,0,1] neg_hi:[0,0,1]
	v_pk_fma_f32 v[118:119], v[118:119], v[108:109], v[122:123] op_sel:[0,0,1] op_sel_hi:[1,0,0]
	s_delay_alu instid0(VALU_DEP_1) | instskip(SKIP_1) | instid1(VALU_DEP_1)
	v_mov_b32_e32 v125, v119
	v_pk_mul_f32 v[118:119], v[120:121], v[110:111] op_sel:[0,1]
	v_pk_fma_f32 v[122:123], v[120:121], v[108:109], v[118:119] op_sel:[0,0,1] op_sel_hi:[1,1,0] neg_lo:[0,0,1] neg_hi:[0,0,1]
	v_pk_fma_f32 v[118:119], v[120:121], v[108:109], v[118:119] op_sel:[0,0,1] op_sel_hi:[1,0,0]
	s_delay_alu instid0(VALU_DEP_1)
	v_mov_b32_e32 v123, v119
	ds_load_2addr_b64 v[118:121], v112 offset0:19 offset1:20
	v_pk_add_f32 v[42:43], v[42:43], v[124:125] neg_lo:[0,1] neg_hi:[0,1]
	v_pk_add_f32 v[22:23], v[22:23], v[122:123] neg_lo:[0,1] neg_hi:[0,1]
	s_wait_dscnt 0x0
	v_pk_mul_f32 v[122:123], v[118:119], v[110:111] op_sel:[0,1]
	s_delay_alu instid0(VALU_DEP_1) | instskip(SKIP_1) | instid1(VALU_DEP_1)
	v_pk_fma_f32 v[124:125], v[118:119], v[108:109], v[122:123] op_sel:[0,0,1] op_sel_hi:[1,1,0] neg_lo:[0,0,1] neg_hi:[0,0,1]
	v_pk_fma_f32 v[118:119], v[118:119], v[108:109], v[122:123] op_sel:[0,0,1] op_sel_hi:[1,0,0]
	v_mov_b32_e32 v125, v119
	v_pk_mul_f32 v[118:119], v[120:121], v[110:111] op_sel:[0,1]
	s_delay_alu instid0(VALU_DEP_1) | instskip(SKIP_1) | instid1(VALU_DEP_1)
	v_pk_fma_f32 v[122:123], v[120:121], v[108:109], v[118:119] op_sel:[0,0,1] op_sel_hi:[1,1,0] neg_lo:[0,0,1] neg_hi:[0,0,1]
	v_pk_fma_f32 v[118:119], v[120:121], v[108:109], v[118:119] op_sel:[0,0,1] op_sel_hi:[1,0,0]
	v_mov_b32_e32 v123, v119
	ds_load_2addr_b64 v[118:121], v112 offset0:21 offset1:22
	v_pk_add_f32 v[20:21], v[20:21], v[124:125] neg_lo:[0,1] neg_hi:[0,1]
	v_pk_add_f32 v[52:53], v[52:53], v[122:123] neg_lo:[0,1] neg_hi:[0,1]
	s_wait_dscnt 0x0
	v_dual_mul_f32 v122, v119, v111 :: v_dual_mul_f32 v124, v119, v108
	s_delay_alu instid0(VALU_DEP_1) | instskip(NEXT) | instid1(VALU_DEP_2)
	v_pk_fma_f32 v[122:123], v[118:119], v[72:73], v[122:123] op_sel_hi:[1,1,0] neg_lo:[0,0,1] neg_hi:[0,0,1]
	v_pk_fma_f32 v[118:119], v[118:119], v[72:73], v[124:125] op_sel:[1,0,0] op_sel_hi:[0,1,0]
	s_delay_alu instid0(VALU_DEP_1) | instskip(SKIP_1) | instid1(VALU_DEP_2)
	v_mov_b32_e32 v123, v119
	v_pk_mul_f32 v[118:119], v[120:121], v[110:111] op_sel:[0,1]
	v_pk_add_f32 v[50:51], v[50:51], v[122:123] neg_lo:[0,1] neg_hi:[0,1]
	s_delay_alu instid0(VALU_DEP_2) | instskip(SKIP_1) | instid1(VALU_DEP_1)
	v_pk_fma_f32 v[122:123], v[120:121], v[108:109], v[118:119] op_sel:[0,0,1] op_sel_hi:[1,1,0] neg_lo:[0,0,1] neg_hi:[0,0,1]
	v_pk_fma_f32 v[118:119], v[120:121], v[108:109], v[118:119] op_sel:[0,0,1] op_sel_hi:[1,0,0]
	v_mov_b32_e32 v123, v119
	ds_load_2addr_b64 v[118:121], v112 offset0:23 offset1:24
	v_pk_add_f32 v[32:33], v[32:33], v[122:123] neg_lo:[0,1] neg_hi:[0,1]
	s_wait_dscnt 0x0
	v_pk_mul_f32 v[122:123], v[118:119], v[110:111] op_sel:[0,1]
	s_delay_alu instid0(VALU_DEP_1) | instskip(SKIP_1) | instid1(VALU_DEP_1)
	v_pk_fma_f32 v[124:125], v[118:119], v[108:109], v[122:123] op_sel:[0,0,1] op_sel_hi:[1,1,0] neg_lo:[0,0,1] neg_hi:[0,0,1]
	v_pk_fma_f32 v[118:119], v[118:119], v[108:109], v[122:123] op_sel:[0,0,1] op_sel_hi:[1,0,0]
	v_mov_b32_e32 v125, v119
	v_pk_mul_f32 v[118:119], v[120:121], v[110:111] op_sel:[0,1]
	s_delay_alu instid0(VALU_DEP_2) | instskip(NEXT) | instid1(VALU_DEP_2)
	v_pk_add_f32 v[30:31], v[30:31], v[124:125] neg_lo:[0,1] neg_hi:[0,1]
	v_pk_fma_f32 v[122:123], v[120:121], v[108:109], v[118:119] op_sel:[0,0,1] op_sel_hi:[1,1,0] neg_lo:[0,0,1] neg_hi:[0,0,1]
	v_pk_fma_f32 v[118:119], v[120:121], v[108:109], v[118:119] op_sel:[0,0,1] op_sel_hi:[1,0,0]
	s_delay_alu instid0(VALU_DEP_1) | instskip(SKIP_4) | instid1(VALU_DEP_1)
	v_mov_b32_e32 v123, v119
	ds_load_2addr_b64 v[118:121], v112 offset0:25 offset1:26
	v_pk_add_f32 v[62:63], v[62:63], v[122:123] neg_lo:[0,1] neg_hi:[0,1]
	s_wait_dscnt 0x0
	v_pk_mul_f32 v[122:123], v[118:119], v[110:111] op_sel:[0,1]
	v_pk_fma_f32 v[124:125], v[118:119], v[108:109], v[122:123] op_sel:[0,0,1] op_sel_hi:[1,1,0] neg_lo:[0,0,1] neg_hi:[0,0,1]
	v_pk_fma_f32 v[118:119], v[118:119], v[108:109], v[122:123] op_sel:[0,0,1] op_sel_hi:[1,0,0]
	v_dual_mul_f32 v122, v121, v111 :: v_dual_mov_b32 v118, v121
	s_delay_alu instid0(VALU_DEP_2) | instskip(NEXT) | instid1(VALU_DEP_2)
	v_dual_mov_b32 v125, v119 :: v_dual_mov_b32 v119, v120
	v_pk_fma_f32 v[122:123], v[120:121], v[72:73], v[122:123] op_sel_hi:[1,1,0] neg_lo:[0,0,1] neg_hi:[0,0,1]
	v_mul_f32_e32 v120, v121, v108
	s_delay_alu instid0(VALU_DEP_3) | instskip(NEXT) | instid1(VALU_DEP_2)
	v_pk_add_f32 v[60:61], v[60:61], v[124:125] neg_lo:[0,1] neg_hi:[0,1]
	v_pk_fma_f32 v[118:119], v[118:119], v[72:73], v[120:121] op_sel_hi:[1,1,0]
	s_delay_alu instid0(VALU_DEP_1) | instskip(SKIP_4) | instid1(VALU_DEP_1)
	v_mov_b32_e32 v123, v119
	ds_load_2addr_b64 v[118:121], v112 offset0:27 offset1:28
	v_pk_add_f32 v[40:41], v[40:41], v[122:123] neg_lo:[0,1] neg_hi:[0,1]
	s_wait_dscnt 0x0
	v_pk_mul_f32 v[122:123], v[118:119], v[110:111] op_sel:[0,1]
	v_pk_fma_f32 v[124:125], v[118:119], v[108:109], v[122:123] op_sel:[0,0,1] op_sel_hi:[1,1,0] neg_lo:[0,0,1] neg_hi:[0,0,1]
	v_pk_fma_f32 v[118:119], v[118:119], v[108:109], v[122:123] op_sel:[0,0,1] op_sel_hi:[1,0,0]
	s_delay_alu instid0(VALU_DEP_1) | instskip(SKIP_1) | instid1(VALU_DEP_1)
	v_mov_b32_e32 v125, v119
	v_pk_mul_f32 v[118:119], v[120:121], v[110:111] op_sel:[0,1]
	v_pk_fma_f32 v[122:123], v[120:121], v[108:109], v[118:119] op_sel:[0,0,1] op_sel_hi:[1,1,0] neg_lo:[0,0,1] neg_hi:[0,0,1]
	v_pk_fma_f32 v[118:119], v[120:121], v[108:109], v[118:119] op_sel:[0,0,1] op_sel_hi:[1,0,0]
	s_delay_alu instid0(VALU_DEP_1)
	v_mov_b32_e32 v123, v119
	ds_load_2addr_b64 v[118:121], v112 offset0:29 offset1:30
	v_pk_add_f32 v[38:39], v[38:39], v[124:125] neg_lo:[0,1] neg_hi:[0,1]
	v_pk_add_f32 v[70:71], v[70:71], v[122:123] neg_lo:[0,1] neg_hi:[0,1]
	s_wait_dscnt 0x0
	v_pk_mul_f32 v[122:123], v[118:119], v[110:111] op_sel:[0,1]
	s_delay_alu instid0(VALU_DEP_1) | instskip(SKIP_1) | instid1(VALU_DEP_1)
	v_pk_fma_f32 v[124:125], v[118:119], v[108:109], v[122:123] op_sel:[0,0,1] op_sel_hi:[1,1,0] neg_lo:[0,0,1] neg_hi:[0,0,1]
	v_pk_fma_f32 v[118:119], v[118:119], v[108:109], v[122:123] op_sel:[0,0,1] op_sel_hi:[1,0,0]
	v_mov_b32_e32 v125, v119
	v_pk_mul_f32 v[118:119], v[120:121], v[110:111] op_sel:[0,1]
	s_delay_alu instid0(VALU_DEP_1) | instskip(SKIP_1) | instid1(VALU_DEP_1)
	v_pk_fma_f32 v[122:123], v[120:121], v[108:109], v[118:119] op_sel:[0,0,1] op_sel_hi:[1,1,0] neg_lo:[0,0,1] neg_hi:[0,0,1]
	v_pk_fma_f32 v[118:119], v[120:121], v[108:109], v[118:119] op_sel:[0,0,1] op_sel_hi:[1,0,0]
	v_mov_b32_e32 v123, v119
	ds_load_2addr_b64 v[118:121], v112 offset0:31 offset1:32
	v_pk_add_f32 v[68:69], v[68:69], v[124:125] neg_lo:[0,1] neg_hi:[0,1]
	v_pk_add_f32 v[48:49], v[48:49], v[122:123] neg_lo:[0,1] neg_hi:[0,1]
	s_wait_dscnt 0x0
	v_dual_mul_f32 v122, v119, v111 :: v_dual_mul_f32 v124, v119, v108
	s_delay_alu instid0(VALU_DEP_1) | instskip(NEXT) | instid1(VALU_DEP_2)
	v_pk_fma_f32 v[122:123], v[118:119], v[72:73], v[122:123] op_sel_hi:[1,1,0] neg_lo:[0,0,1] neg_hi:[0,0,1]
	v_pk_fma_f32 v[118:119], v[118:119], v[72:73], v[124:125] op_sel:[1,0,0] op_sel_hi:[0,1,0]
	s_delay_alu instid0(VALU_DEP_1) | instskip(SKIP_1) | instid1(VALU_DEP_2)
	v_mov_b32_e32 v123, v119
	v_pk_mul_f32 v[118:119], v[120:121], v[110:111] op_sel:[0,1]
	v_pk_add_f32 v[46:47], v[46:47], v[122:123] neg_lo:[0,1] neg_hi:[0,1]
	s_delay_alu instid0(VALU_DEP_2) | instskip(SKIP_1) | instid1(VALU_DEP_1)
	v_pk_fma_f32 v[122:123], v[120:121], v[108:109], v[118:119] op_sel:[0,0,1] op_sel_hi:[1,1,0] neg_lo:[0,0,1] neg_hi:[0,0,1]
	v_pk_fma_f32 v[118:119], v[120:121], v[108:109], v[118:119] op_sel:[0,0,1] op_sel_hi:[1,0,0]
	v_mov_b32_e32 v123, v119
	ds_load_2addr_b64 v[118:121], v112 offset0:33 offset1:34
	v_pk_add_f32 v[84:85], v[84:85], v[122:123] neg_lo:[0,1] neg_hi:[0,1]
	s_wait_dscnt 0x0
	v_pk_mul_f32 v[122:123], v[118:119], v[110:111] op_sel:[0,1]
	s_delay_alu instid0(VALU_DEP_1) | instskip(SKIP_1) | instid1(VALU_DEP_1)
	v_pk_fma_f32 v[124:125], v[118:119], v[108:109], v[122:123] op_sel:[0,0,1] op_sel_hi:[1,1,0] neg_lo:[0,0,1] neg_hi:[0,0,1]
	v_pk_fma_f32 v[118:119], v[118:119], v[108:109], v[122:123] op_sel:[0,0,1] op_sel_hi:[1,0,0]
	v_mov_b32_e32 v125, v119
	v_pk_mul_f32 v[118:119], v[120:121], v[110:111] op_sel:[0,1]
	s_delay_alu instid0(VALU_DEP_2) | instskip(NEXT) | instid1(VALU_DEP_2)
	v_pk_add_f32 v[82:83], v[82:83], v[124:125] neg_lo:[0,1] neg_hi:[0,1]
	v_pk_fma_f32 v[122:123], v[120:121], v[108:109], v[118:119] op_sel:[0,0,1] op_sel_hi:[1,1,0] neg_lo:[0,0,1] neg_hi:[0,0,1]
	v_pk_fma_f32 v[118:119], v[120:121], v[108:109], v[118:119] op_sel:[0,0,1] op_sel_hi:[1,0,0]
	s_delay_alu instid0(VALU_DEP_1) | instskip(SKIP_4) | instid1(VALU_DEP_1)
	v_mov_b32_e32 v123, v119
	ds_load_2addr_b64 v[118:121], v112 offset0:35 offset1:36
	v_pk_add_f32 v[56:57], v[56:57], v[122:123] neg_lo:[0,1] neg_hi:[0,1]
	s_wait_dscnt 0x0
	v_pk_mul_f32 v[122:123], v[118:119], v[110:111] op_sel:[0,1]
	v_pk_fma_f32 v[124:125], v[118:119], v[108:109], v[122:123] op_sel:[0,0,1] op_sel_hi:[1,1,0] neg_lo:[0,0,1] neg_hi:[0,0,1]
	v_pk_fma_f32 v[118:119], v[118:119], v[108:109], v[122:123] op_sel:[0,0,1] op_sel_hi:[1,0,0]
	v_dual_mul_f32 v122, v121, v111 :: v_dual_mov_b32 v118, v121
	s_delay_alu instid0(VALU_DEP_2) | instskip(NEXT) | instid1(VALU_DEP_2)
	v_dual_mov_b32 v125, v119 :: v_dual_mov_b32 v119, v120
	v_pk_fma_f32 v[122:123], v[120:121], v[72:73], v[122:123] op_sel_hi:[1,1,0] neg_lo:[0,0,1] neg_hi:[0,0,1]
	v_mul_f32_e32 v120, v121, v108
	s_delay_alu instid0(VALU_DEP_3) | instskip(NEXT) | instid1(VALU_DEP_2)
	v_pk_add_f32 v[54:55], v[54:55], v[124:125] neg_lo:[0,1] neg_hi:[0,1]
	v_pk_fma_f32 v[118:119], v[118:119], v[72:73], v[120:121] op_sel_hi:[1,1,0]
	s_delay_alu instid0(VALU_DEP_1) | instskip(SKIP_4) | instid1(VALU_DEP_1)
	v_mov_b32_e32 v123, v119
	ds_load_2addr_b64 v[118:121], v112 offset0:37 offset1:38
	v_pk_add_f32 v[94:95], v[94:95], v[122:123] neg_lo:[0,1] neg_hi:[0,1]
	s_wait_dscnt 0x0
	v_pk_mul_f32 v[122:123], v[118:119], v[110:111] op_sel:[0,1]
	v_pk_fma_f32 v[124:125], v[118:119], v[108:109], v[122:123] op_sel:[0,0,1] op_sel_hi:[1,1,0] neg_lo:[0,0,1] neg_hi:[0,0,1]
	v_pk_fma_f32 v[118:119], v[118:119], v[108:109], v[122:123] op_sel:[0,0,1] op_sel_hi:[1,0,0]
	s_delay_alu instid0(VALU_DEP_1) | instskip(SKIP_1) | instid1(VALU_DEP_1)
	v_mov_b32_e32 v125, v119
	v_pk_mul_f32 v[118:119], v[120:121], v[110:111] op_sel:[0,1]
	v_pk_fma_f32 v[122:123], v[120:121], v[108:109], v[118:119] op_sel:[0,0,1] op_sel_hi:[1,1,0] neg_lo:[0,0,1] neg_hi:[0,0,1]
	v_pk_fma_f32 v[118:119], v[120:121], v[108:109], v[118:119] op_sel:[0,0,1] op_sel_hi:[1,0,0]
	s_delay_alu instid0(VALU_DEP_1)
	v_mov_b32_e32 v123, v119
	ds_load_2addr_b64 v[118:121], v112 offset0:39 offset1:40
	v_pk_add_f32 v[92:93], v[92:93], v[124:125] neg_lo:[0,1] neg_hi:[0,1]
	v_pk_add_f32 v[66:67], v[66:67], v[122:123] neg_lo:[0,1] neg_hi:[0,1]
	s_wait_dscnt 0x0
	v_pk_mul_f32 v[122:123], v[118:119], v[110:111] op_sel:[0,1]
	s_delay_alu instid0(VALU_DEP_1) | instskip(SKIP_1) | instid1(VALU_DEP_1)
	v_pk_fma_f32 v[124:125], v[118:119], v[108:109], v[122:123] op_sel:[0,0,1] op_sel_hi:[1,1,0] neg_lo:[0,0,1] neg_hi:[0,0,1]
	v_pk_fma_f32 v[118:119], v[118:119], v[108:109], v[122:123] op_sel:[0,0,1] op_sel_hi:[1,0,0]
	v_mov_b32_e32 v125, v119
	v_pk_mul_f32 v[118:119], v[120:121], v[110:111] op_sel:[0,1]
	s_delay_alu instid0(VALU_DEP_1) | instskip(SKIP_1) | instid1(VALU_DEP_1)
	v_pk_fma_f32 v[122:123], v[120:121], v[108:109], v[118:119] op_sel:[0,0,1] op_sel_hi:[1,1,0] neg_lo:[0,0,1] neg_hi:[0,0,1]
	v_pk_fma_f32 v[118:119], v[120:121], v[108:109], v[118:119] op_sel:[0,0,1] op_sel_hi:[1,0,0]
	v_mov_b32_e32 v123, v119
	ds_load_2addr_b64 v[118:121], v112 offset0:41 offset1:42
	v_pk_add_f32 v[64:65], v[64:65], v[124:125] neg_lo:[0,1] neg_hi:[0,1]
	v_pk_add_f32 v[104:105], v[104:105], v[122:123] neg_lo:[0,1] neg_hi:[0,1]
	s_wait_dscnt 0x0
	v_dual_mul_f32 v122, v119, v111 :: v_dual_mul_f32 v124, v119, v108
	s_delay_alu instid0(VALU_DEP_1) | instskip(NEXT) | instid1(VALU_DEP_2)
	v_pk_fma_f32 v[122:123], v[118:119], v[72:73], v[122:123] op_sel_hi:[1,1,0] neg_lo:[0,0,1] neg_hi:[0,0,1]
	v_pk_fma_f32 v[118:119], v[118:119], v[72:73], v[124:125] op_sel:[1,0,0] op_sel_hi:[0,1,0]
	s_delay_alu instid0(VALU_DEP_1) | instskip(SKIP_1) | instid1(VALU_DEP_2)
	v_mov_b32_e32 v123, v119
	v_pk_mul_f32 v[118:119], v[120:121], v[110:111] op_sel:[0,1]
	v_pk_add_f32 v[102:103], v[102:103], v[122:123] neg_lo:[0,1] neg_hi:[0,1]
	s_delay_alu instid0(VALU_DEP_2) | instskip(SKIP_1) | instid1(VALU_DEP_1)
	v_pk_fma_f32 v[122:123], v[120:121], v[108:109], v[118:119] op_sel:[0,0,1] op_sel_hi:[1,1,0] neg_lo:[0,0,1] neg_hi:[0,0,1]
	v_pk_fma_f32 v[118:119], v[120:121], v[108:109], v[118:119] op_sel:[0,0,1] op_sel_hi:[1,0,0]
	v_mov_b32_e32 v123, v119
	ds_load_2addr_b64 v[118:121], v112 offset0:43 offset1:44
	v_pk_add_f32 v[76:77], v[76:77], v[122:123] neg_lo:[0,1] neg_hi:[0,1]
	s_wait_dscnt 0x0
	v_pk_mul_f32 v[122:123], v[118:119], v[110:111] op_sel:[0,1]
	s_delay_alu instid0(VALU_DEP_1) | instskip(SKIP_1) | instid1(VALU_DEP_1)
	v_pk_fma_f32 v[124:125], v[118:119], v[108:109], v[122:123] op_sel:[0,0,1] op_sel_hi:[1,1,0] neg_lo:[0,0,1] neg_hi:[0,0,1]
	v_pk_fma_f32 v[118:119], v[118:119], v[108:109], v[122:123] op_sel:[0,0,1] op_sel_hi:[1,0,0]
	v_mov_b32_e32 v125, v119
	v_pk_mul_f32 v[118:119], v[120:121], v[110:111] op_sel:[0,1]
	s_delay_alu instid0(VALU_DEP_2) | instskip(NEXT) | instid1(VALU_DEP_2)
	v_pk_add_f32 v[74:75], v[74:75], v[124:125] neg_lo:[0,1] neg_hi:[0,1]
	v_pk_fma_f32 v[122:123], v[120:121], v[108:109], v[118:119] op_sel:[0,0,1] op_sel_hi:[1,1,0] neg_lo:[0,0,1] neg_hi:[0,0,1]
	v_pk_fma_f32 v[118:119], v[120:121], v[108:109], v[118:119] op_sel:[0,0,1] op_sel_hi:[1,0,0]
	s_delay_alu instid0(VALU_DEP_1) | instskip(SKIP_4) | instid1(VALU_DEP_1)
	v_mov_b32_e32 v123, v119
	ds_load_2addr_b64 v[118:121], v112 offset0:45 offset1:46
	v_pk_add_f32 v[98:99], v[98:99], v[122:123] neg_lo:[0,1] neg_hi:[0,1]
	s_wait_dscnt 0x0
	v_pk_mul_f32 v[122:123], v[118:119], v[110:111] op_sel:[0,1]
	v_pk_fma_f32 v[124:125], v[118:119], v[108:109], v[122:123] op_sel:[0,0,1] op_sel_hi:[1,1,0] neg_lo:[0,0,1] neg_hi:[0,0,1]
	v_pk_fma_f32 v[118:119], v[118:119], v[108:109], v[122:123] op_sel:[0,0,1] op_sel_hi:[1,0,0]
	v_dual_mul_f32 v122, v121, v111 :: v_dual_mov_b32 v118, v121
	s_delay_alu instid0(VALU_DEP_2) | instskip(NEXT) | instid1(VALU_DEP_2)
	v_dual_mov_b32 v125, v119 :: v_dual_mov_b32 v119, v120
	v_pk_fma_f32 v[122:123], v[120:121], v[72:73], v[122:123] op_sel_hi:[1,1,0] neg_lo:[0,0,1] neg_hi:[0,0,1]
	v_mul_f32_e32 v120, v121, v108
	s_delay_alu instid0(VALU_DEP_3) | instskip(NEXT) | instid1(VALU_DEP_2)
	v_pk_add_f32 v[96:97], v[96:97], v[124:125] neg_lo:[0,1] neg_hi:[0,1]
	v_pk_fma_f32 v[118:119], v[118:119], v[72:73], v[120:121] op_sel_hi:[1,1,0]
	s_delay_alu instid0(VALU_DEP_1) | instskip(SKIP_4) | instid1(VALU_DEP_1)
	v_mov_b32_e32 v123, v119
	ds_load_2addr_b64 v[118:121], v112 offset0:47 offset1:48
	v_pk_add_f32 v[80:81], v[80:81], v[122:123] neg_lo:[0,1] neg_hi:[0,1]
	s_wait_dscnt 0x0
	v_pk_mul_f32 v[122:123], v[118:119], v[110:111] op_sel:[0,1]
	v_pk_fma_f32 v[124:125], v[118:119], v[108:109], v[122:123] op_sel:[0,0,1] op_sel_hi:[1,1,0] neg_lo:[0,0,1] neg_hi:[0,0,1]
	v_pk_fma_f32 v[118:119], v[118:119], v[108:109], v[122:123] op_sel:[0,0,1] op_sel_hi:[1,0,0]
	s_delay_alu instid0(VALU_DEP_1) | instskip(SKIP_1) | instid1(VALU_DEP_1)
	v_mov_b32_e32 v125, v119
	v_pk_mul_f32 v[118:119], v[120:121], v[110:111] op_sel:[0,1]
	v_pk_fma_f32 v[122:123], v[120:121], v[108:109], v[118:119] op_sel:[0,0,1] op_sel_hi:[1,1,0] neg_lo:[0,0,1] neg_hi:[0,0,1]
	v_pk_fma_f32 v[118:119], v[120:121], v[108:109], v[118:119] op_sel:[0,0,1] op_sel_hi:[1,0,0]
	s_delay_alu instid0(VALU_DEP_1)
	v_mov_b32_e32 v123, v119
	ds_load_2addr_b64 v[118:121], v112 offset0:49 offset1:50
	v_pk_add_f32 v[78:79], v[78:79], v[124:125] neg_lo:[0,1] neg_hi:[0,1]
	v_pk_add_f32 v[88:89], v[88:89], v[122:123] neg_lo:[0,1] neg_hi:[0,1]
	s_wait_dscnt 0x0
	v_pk_mul_f32 v[122:123], v[118:119], v[110:111] op_sel:[0,1]
	v_mul_f32_e32 v110, v121, v111
	s_delay_alu instid0(VALU_DEP_2) | instskip(SKIP_2) | instid1(VALU_DEP_4)
	v_pk_fma_f32 v[124:125], v[118:119], v[108:109], v[122:123] op_sel:[0,0,1] op_sel_hi:[1,1,0] neg_lo:[0,0,1] neg_hi:[0,0,1]
	v_pk_fma_f32 v[118:119], v[118:119], v[108:109], v[122:123] op_sel:[0,0,1] op_sel_hi:[1,0,0]
	v_dual_mov_b32 v118, v121 :: v_dual_mul_f32 v108, v121, v108
	v_pk_fma_f32 v[110:111], v[120:121], v[72:73], v[110:111] op_sel_hi:[1,1,0] neg_lo:[0,0,1] neg_hi:[0,0,1]
	s_delay_alu instid0(VALU_DEP_3) | instskip(NEXT) | instid1(VALU_DEP_1)
	v_dual_mov_b32 v125, v119 :: v_dual_mov_b32 v119, v120
	v_pk_add_f32 v[86:87], v[86:87], v[124:125] neg_lo:[0,1] neg_hi:[0,1]
	s_delay_alu instid0(VALU_DEP_2) | instskip(NEXT) | instid1(VALU_DEP_1)
	v_pk_fma_f32 v[108:109], v[118:119], v[72:73], v[108:109] op_sel_hi:[1,1,0]
	v_mov_b32_e32 v111, v109
	s_delay_alu instid0(VALU_DEP_1)
	v_pk_add_f32 v[106:107], v[106:107], v[110:111] neg_lo:[0,1] neg_hi:[0,1]
.LBB100_62:
	s_or_b32 exec_lo, exec_lo, s0
	v_lshl_add_u32 v108, v116, 3, v112
	s_barrier_signal -1
	s_barrier_wait -1
	ds_store_b64 v108, v[58:59]
	s_wait_dscnt 0x0
	s_barrier_signal -1
	s_barrier_wait -1
	ds_load_b64 v[110:111], v112 offset:24
	v_mov_b32_e32 v108, 3
	s_cmp_lt_i32 s18, 5
	s_cbranch_scc1 .LBB100_65
; %bb.63:
	v_mov_b32_e32 v108, 3
	v_add3_u32 v109, v113, 0, 32
	s_mov_b32 s0, 4
.LBB100_64:                             ; =>This Inner Loop Header: Depth=1
	ds_load_b64 v[118:119], v109
	s_wait_dscnt 0x1
	v_cmp_gt_f32_e32 vcc_lo, 0, v110
	v_cndmask_b32_e64 v120, v110, -v110, vcc_lo
	v_cmp_gt_f32_e32 vcc_lo, 0, v111
	v_cndmask_b32_e64 v122, v111, -v111, vcc_lo
	s_wait_dscnt 0x0
	v_cmp_gt_f32_e32 vcc_lo, 0, v118
	v_cndmask_b32_e64 v121, v118, -v118, vcc_lo
	v_cmp_gt_f32_e32 vcc_lo, 0, v119
	v_cndmask_b32_e64 v123, v119, -v119, vcc_lo
	s_delay_alu instid0(VALU_DEP_1) | instskip(NEXT) | instid1(VALU_DEP_1)
	v_pk_add_f32 v[120:121], v[120:121], v[122:123]
	v_cmp_lt_f32_e32 vcc_lo, v120, v121
	v_dual_add_nc_u32 v109, 8, v109 :: v_dual_cndmask_b32 v111, v111, v119, vcc_lo
	v_cndmask_b32_e32 v110, v110, v118, vcc_lo
	v_cndmask_b32_e64 v108, v108, s0, vcc_lo
	s_add_co_i32 s0, s0, 1
	s_delay_alu instid0(SALU_CYCLE_1)
	s_cmp_lg_u32 s18, s0
	s_cbranch_scc1 .LBB100_64
.LBB100_65:
	s_wait_dscnt 0x0
	v_cmp_eq_f32_e32 vcc_lo, 0, v110
	v_cmp_eq_f32_e64 s0, 0, v111
	s_and_b32 s0, vcc_lo, s0
	s_delay_alu instid0(SALU_CYCLE_1) | instskip(NEXT) | instid1(SALU_CYCLE_1)
	s_and_saveexec_b32 s1, s0
	s_xor_b32 s0, exec_lo, s1
; %bb.66:
	v_cmp_ne_u32_e32 vcc_lo, 0, v114
	v_cndmask_b32_e32 v114, 4, v114, vcc_lo
; %bb.67:
	s_and_not1_saveexec_b32 s0, s0
	s_cbranch_execz .LBB100_73
; %bb.68:
	v_cmp_ngt_f32_e64 s1, |v110|, |v111|
	s_and_saveexec_b32 s12, s1
	s_delay_alu instid0(SALU_CYCLE_1)
	s_xor_b32 s1, exec_lo, s12
	s_cbranch_execz .LBB100_70
; %bb.69:
	v_div_scale_f32 v109, null, v111, v111, v110
	v_div_scale_f32 v119, vcc_lo, v110, v111, v110
	s_delay_alu instid0(VALU_DEP_2) | instskip(SKIP_1) | instid1(TRANS32_DEP_1)
	v_rcp_f32_e32 v117, v109
	v_nop
	v_fma_f32 v118, -v109, v117, 1.0
	s_delay_alu instid0(VALU_DEP_1) | instskip(NEXT) | instid1(VALU_DEP_1)
	v_fmac_f32_e32 v117, v118, v117
	v_mul_f32_e32 v118, v119, v117
	s_delay_alu instid0(VALU_DEP_1) | instskip(NEXT) | instid1(VALU_DEP_1)
	v_fma_f32 v120, -v109, v118, v119
	v_fmac_f32_e32 v118, v120, v117
	s_delay_alu instid0(VALU_DEP_1) | instskip(NEXT) | instid1(VALU_DEP_1)
	v_fma_f32 v109, -v109, v118, v119
	v_div_fmas_f32 v109, v109, v117, v118
	s_delay_alu instid0(VALU_DEP_1) | instskip(NEXT) | instid1(VALU_DEP_1)
	v_div_fixup_f32 v109, v109, v111, v110
	v_fmac_f32_e32 v111, v110, v109
	s_delay_alu instid0(VALU_DEP_1) | instskip(SKIP_1) | instid1(VALU_DEP_2)
	v_div_scale_f32 v110, null, v111, v111, 1.0
	v_div_scale_f32 v119, vcc_lo, 1.0, v111, 1.0
	v_rcp_f32_e32 v117, v110
	v_nop
	s_delay_alu instid0(TRANS32_DEP_1) | instskip(NEXT) | instid1(VALU_DEP_1)
	v_fma_f32 v118, -v110, v117, 1.0
	v_fmac_f32_e32 v117, v118, v117
	s_delay_alu instid0(VALU_DEP_1) | instskip(NEXT) | instid1(VALU_DEP_1)
	v_mul_f32_e32 v118, v119, v117
	v_fma_f32 v120, -v110, v118, v119
	s_delay_alu instid0(VALU_DEP_1) | instskip(NEXT) | instid1(VALU_DEP_1)
	v_fmac_f32_e32 v118, v120, v117
	v_fma_f32 v110, -v110, v118, v119
	s_delay_alu instid0(VALU_DEP_1) | instskip(NEXT) | instid1(VALU_DEP_1)
	v_div_fmas_f32 v110, v110, v117, v118
	v_div_fixup_f32 v111, v110, v111, 1.0
	s_delay_alu instid0(VALU_DEP_1)
	v_mul_f32_e32 v110, v109, v111
	v_xor_b32_e32 v111, 0x80000000, v111
.LBB100_70:
	s_and_not1_saveexec_b32 s1, s1
	s_cbranch_execz .LBB100_72
; %bb.71:
	s_delay_alu instid0(VALU_DEP_1) | instskip(SKIP_1) | instid1(VALU_DEP_2)
	v_div_scale_f32 v109, null, v110, v110, v111
	v_div_scale_f32 v119, vcc_lo, v111, v110, v111
	v_rcp_f32_e32 v117, v109
	v_nop
	s_delay_alu instid0(TRANS32_DEP_1) | instskip(NEXT) | instid1(VALU_DEP_1)
	v_fma_f32 v118, -v109, v117, 1.0
	v_fmac_f32_e32 v117, v118, v117
	s_delay_alu instid0(VALU_DEP_1) | instskip(NEXT) | instid1(VALU_DEP_1)
	v_mul_f32_e32 v118, v119, v117
	v_fma_f32 v120, -v109, v118, v119
	s_delay_alu instid0(VALU_DEP_1) | instskip(NEXT) | instid1(VALU_DEP_1)
	v_fmac_f32_e32 v118, v120, v117
	v_fma_f32 v109, -v109, v118, v119
	s_delay_alu instid0(VALU_DEP_1) | instskip(NEXT) | instid1(VALU_DEP_1)
	v_div_fmas_f32 v109, v109, v117, v118
	v_div_fixup_f32 v109, v109, v110, v111
	s_delay_alu instid0(VALU_DEP_1) | instskip(NEXT) | instid1(VALU_DEP_1)
	v_fmac_f32_e32 v110, v111, v109
	v_div_scale_f32 v111, null, v110, v110, 1.0
	s_delay_alu instid0(VALU_DEP_1) | instskip(SKIP_1) | instid1(TRANS32_DEP_1)
	v_rcp_f32_e32 v117, v111
	v_nop
	v_fma_f32 v118, -v111, v117, 1.0
	s_delay_alu instid0(VALU_DEP_1) | instskip(SKIP_1) | instid1(VALU_DEP_1)
	v_fmac_f32_e32 v117, v118, v117
	v_div_scale_f32 v118, vcc_lo, 1.0, v110, 1.0
	v_mul_f32_e32 v119, v118, v117
	s_delay_alu instid0(VALU_DEP_1) | instskip(NEXT) | instid1(VALU_DEP_1)
	v_fma_f32 v120, -v111, v119, v118
	v_fmac_f32_e32 v119, v120, v117
	s_delay_alu instid0(VALU_DEP_1) | instskip(NEXT) | instid1(VALU_DEP_1)
	v_fma_f32 v111, -v111, v119, v118
	v_div_fmas_f32 v111, v111, v117, v119
	s_delay_alu instid0(VALU_DEP_1) | instskip(NEXT) | instid1(VALU_DEP_1)
	v_div_fixup_f32 v110, v111, v110, 1.0
	v_mul_f32_e64 v111, v109, -v110
.LBB100_72:
	s_or_b32 exec_lo, exec_lo, s1
.LBB100_73:
	s_delay_alu instid0(SALU_CYCLE_1) | instskip(NEXT) | instid1(SALU_CYCLE_1)
	s_or_b32 exec_lo, exec_lo, s0
	s_mov_b32 s0, exec_lo
	v_cmpx_ne_u32_e64 v116, v108
	s_xor_b32 s0, exec_lo, s0
	s_cbranch_execz .LBB100_79
; %bb.74:
	s_mov_b32 s1, exec_lo
	v_cmpx_eq_u32_e32 3, v116
	s_cbranch_execz .LBB100_78
; %bb.75:
	v_cmp_ne_u32_e32 vcc_lo, 3, v108
	s_xor_b32 s12, s16, -1
	s_delay_alu instid0(SALU_CYCLE_1) | instskip(NEXT) | instid1(SALU_CYCLE_1)
	s_and_b32 s13, s12, vcc_lo
	s_and_saveexec_b32 s12, s13
	s_cbranch_execz .LBB100_77
; %bb.76:
	v_ashrrev_i32_e32 v109, 31, v108
	s_delay_alu instid0(VALU_DEP_1)
	v_lshl_add_u64 v[116:117], v[108:109], 2, v[4:5]
	s_clause 0x1
	global_load_b32 v109, v[116:117], off
	global_load_b32 v115, v[4:5], off offset:12
	s_wait_loadcnt 0x1
	global_store_b32 v[4:5], v109, off offset:12
	s_wait_loadcnt 0x0
	global_store_b32 v[116:117], v115, off
.LBB100_77:
	s_wait_xcnt 0x0
	s_or_b32 exec_lo, exec_lo, s12
	v_dual_mov_b32 v116, v108 :: v_dual_mov_b32 v115, v108
.LBB100_78:
	s_or_b32 exec_lo, exec_lo, s1
.LBB100_79:
	s_and_not1_saveexec_b32 s0, s0
	s_cbranch_execz .LBB100_81
; %bb.80:
	v_dual_mov_b32 v108, v24 :: v_dual_mov_b32 v109, v25
	v_dual_mov_b32 v116, v16 :: v_dual_mov_b32 v117, v17
	ds_store_2addr_b64 v112, v[108:109], v[116:117] offset0:4 offset1:5
	v_dual_mov_b32 v108, v8 :: v_dual_mov_b32 v109, v9
	v_dual_mov_b32 v116, v6 :: v_dual_mov_b32 v117, v7
	ds_store_2addr_b64 v112, v[108:109], v[116:117] offset0:6 offset1:7
	;; [unrolled: 3-line block ×23, first 2 shown]
	ds_store_b64 v112, v[106:107] offset:400
	v_mov_b32_e32 v116, 3
.LBB100_81:
	s_or_b32 exec_lo, exec_lo, s0
	s_delay_alu instid0(SALU_CYCLE_1)
	s_mov_b32 s0, exec_lo
	s_wait_storecnt_dscnt 0x0
	s_barrier_signal -1
	s_barrier_wait -1
	v_cmpx_lt_i32_e32 3, v116
	s_cbranch_execz .LBB100_83
; %bb.82:
	v_pk_mul_f32 v[118:119], v[110:111], v[58:59] op_sel:[1,1] op_sel_hi:[0,1]
	s_delay_alu instid0(VALU_DEP_1)
	v_pk_fma_f32 v[108:109], v[110:111], v[58:59], v[118:119] op_sel_hi:[1,0,1] neg_lo:[0,0,1] neg_hi:[0,0,1]
	v_pk_fma_f32 v[110:111], v[110:111], v[58:59], v[118:119] op_sel_hi:[1,0,1]
	ds_load_2addr_b64 v[118:121], v112 offset0:4 offset1:5
	v_dual_mov_b32 v58, v108 :: v_dual_mov_b32 v59, v111
	s_wait_dscnt 0x0
	v_pk_mul_f32 v[122:123], v[118:119], v[110:111] op_sel:[0,1]
	s_delay_alu instid0(VALU_DEP_1) | instskip(SKIP_1) | instid1(VALU_DEP_1)
	v_pk_fma_f32 v[124:125], v[118:119], v[108:109], v[122:123] op_sel:[0,0,1] op_sel_hi:[1,1,0] neg_lo:[0,0,1] neg_hi:[0,0,1]
	v_pk_fma_f32 v[118:119], v[118:119], v[108:109], v[122:123] op_sel:[0,0,1] op_sel_hi:[1,0,0]
	v_mov_b32_e32 v125, v119
	v_pk_mul_f32 v[118:119], v[120:121], v[110:111] op_sel:[0,1]
	s_delay_alu instid0(VALU_DEP_1) | instskip(SKIP_1) | instid1(VALU_DEP_1)
	v_pk_fma_f32 v[122:123], v[120:121], v[108:109], v[118:119] op_sel:[0,0,1] op_sel_hi:[1,1,0] neg_lo:[0,0,1] neg_hi:[0,0,1]
	v_pk_fma_f32 v[118:119], v[120:121], v[108:109], v[118:119] op_sel:[0,0,1] op_sel_hi:[1,0,0]
	v_mov_b32_e32 v123, v119
	ds_load_2addr_b64 v[118:121], v112 offset0:6 offset1:7
	v_pk_add_f32 v[24:25], v[24:25], v[124:125] neg_lo:[0,1] neg_hi:[0,1]
	v_pk_add_f32 v[16:17], v[16:17], v[122:123] neg_lo:[0,1] neg_hi:[0,1]
	s_wait_dscnt 0x0
	v_pk_mul_f32 v[122:123], v[118:119], v[110:111] op_sel:[0,1]
	s_delay_alu instid0(VALU_DEP_1) | instskip(SKIP_2) | instid1(VALU_DEP_2)
	v_pk_fma_f32 v[124:125], v[118:119], v[108:109], v[122:123] op_sel:[0,0,1] op_sel_hi:[1,1,0] neg_lo:[0,0,1] neg_hi:[0,0,1]
	v_pk_fma_f32 v[118:119], v[118:119], v[108:109], v[122:123] op_sel:[0,0,1] op_sel_hi:[1,0,0]
	v_dual_mul_f32 v122, v121, v111 :: v_dual_mov_b32 v118, v121
	v_dual_mov_b32 v125, v119 :: v_dual_mov_b32 v119, v120
	s_delay_alu instid0(VALU_DEP_2) | instskip(SKIP_1) | instid1(VALU_DEP_3)
	v_pk_fma_f32 v[122:123], v[120:121], v[58:59], v[122:123] op_sel_hi:[1,1,0] neg_lo:[0,0,1] neg_hi:[0,0,1]
	v_mul_f32_e32 v120, v121, v108
	v_pk_add_f32 v[8:9], v[8:9], v[124:125] neg_lo:[0,1] neg_hi:[0,1]
	s_delay_alu instid0(VALU_DEP_2) | instskip(NEXT) | instid1(VALU_DEP_1)
	v_pk_fma_f32 v[118:119], v[118:119], v[58:59], v[120:121] op_sel_hi:[1,1,0]
	v_mov_b32_e32 v123, v119
	ds_load_2addr_b64 v[118:121], v112 offset0:8 offset1:9
	v_pk_add_f32 v[6:7], v[6:7], v[122:123] neg_lo:[0,1] neg_hi:[0,1]
	s_wait_dscnt 0x0
	v_pk_mul_f32 v[122:123], v[118:119], v[110:111] op_sel:[0,1]
	s_delay_alu instid0(VALU_DEP_1) | instskip(SKIP_1) | instid1(VALU_DEP_1)
	v_pk_fma_f32 v[124:125], v[118:119], v[108:109], v[122:123] op_sel:[0,0,1] op_sel_hi:[1,1,0] neg_lo:[0,0,1] neg_hi:[0,0,1]
	v_pk_fma_f32 v[118:119], v[118:119], v[108:109], v[122:123] op_sel:[0,0,1] op_sel_hi:[1,0,0]
	v_mov_b32_e32 v125, v119
	v_pk_mul_f32 v[118:119], v[120:121], v[110:111] op_sel:[0,1]
	s_delay_alu instid0(VALU_DEP_1) | instskip(SKIP_1) | instid1(VALU_DEP_1)
	v_pk_fma_f32 v[122:123], v[120:121], v[108:109], v[118:119] op_sel:[0,0,1] op_sel_hi:[1,1,0] neg_lo:[0,0,1] neg_hi:[0,0,1]
	v_pk_fma_f32 v[118:119], v[120:121], v[108:109], v[118:119] op_sel:[0,0,1] op_sel_hi:[1,0,0]
	v_mov_b32_e32 v123, v119
	ds_load_2addr_b64 v[118:121], v112 offset0:10 offset1:11
	v_pk_add_f32 v[28:29], v[28:29], v[124:125] neg_lo:[0,1] neg_hi:[0,1]
	v_pk_add_f32 v[26:27], v[26:27], v[122:123] neg_lo:[0,1] neg_hi:[0,1]
	s_wait_dscnt 0x0
	v_pk_mul_f32 v[122:123], v[118:119], v[110:111] op_sel:[0,1]
	s_delay_alu instid0(VALU_DEP_1) | instskip(SKIP_1) | instid1(VALU_DEP_1)
	v_pk_fma_f32 v[124:125], v[118:119], v[108:109], v[122:123] op_sel:[0,0,1] op_sel_hi:[1,1,0] neg_lo:[0,0,1] neg_hi:[0,0,1]
	v_pk_fma_f32 v[118:119], v[118:119], v[108:109], v[122:123] op_sel:[0,0,1] op_sel_hi:[1,0,0]
	v_mov_b32_e32 v125, v119
	v_pk_mul_f32 v[118:119], v[120:121], v[110:111] op_sel:[0,1]
	s_delay_alu instid0(VALU_DEP_1) | instskip(SKIP_1) | instid1(VALU_DEP_1)
	v_pk_fma_f32 v[122:123], v[120:121], v[108:109], v[118:119] op_sel:[0,0,1] op_sel_hi:[1,1,0] neg_lo:[0,0,1] neg_hi:[0,0,1]
	v_pk_fma_f32 v[118:119], v[120:121], v[108:109], v[118:119] op_sel:[0,0,1] op_sel_hi:[1,0,0]
	v_mov_b32_e32 v123, v119
	ds_load_2addr_b64 v[118:121], v112 offset0:12 offset1:13
	v_pk_add_f32 v[12:13], v[12:13], v[124:125] neg_lo:[0,1] neg_hi:[0,1]
	v_pk_add_f32 v[10:11], v[10:11], v[122:123] neg_lo:[0,1] neg_hi:[0,1]
	s_wait_dscnt 0x0
	v_dual_mul_f32 v122, v119, v111 :: v_dual_mul_f32 v124, v119, v108
	s_delay_alu instid0(VALU_DEP_1) | instskip(NEXT) | instid1(VALU_DEP_2)
	v_pk_fma_f32 v[122:123], v[118:119], v[58:59], v[122:123] op_sel_hi:[1,1,0] neg_lo:[0,0,1] neg_hi:[0,0,1]
	v_pk_fma_f32 v[118:119], v[118:119], v[58:59], v[124:125] op_sel:[1,0,0] op_sel_hi:[0,1,0]
	s_delay_alu instid0(VALU_DEP_1) | instskip(SKIP_1) | instid1(VALU_DEP_2)
	v_mov_b32_e32 v123, v119
	v_pk_mul_f32 v[118:119], v[120:121], v[110:111] op_sel:[0,1]
	v_pk_add_f32 v[36:37], v[36:37], v[122:123] neg_lo:[0,1] neg_hi:[0,1]
	s_delay_alu instid0(VALU_DEP_2) | instskip(SKIP_1) | instid1(VALU_DEP_1)
	v_pk_fma_f32 v[122:123], v[120:121], v[108:109], v[118:119] op_sel:[0,0,1] op_sel_hi:[1,1,0] neg_lo:[0,0,1] neg_hi:[0,0,1]
	v_pk_fma_f32 v[118:119], v[120:121], v[108:109], v[118:119] op_sel:[0,0,1] op_sel_hi:[1,0,0]
	v_mov_b32_e32 v123, v119
	ds_load_2addr_b64 v[118:121], v112 offset0:14 offset1:15
	v_pk_add_f32 v[34:35], v[34:35], v[122:123] neg_lo:[0,1] neg_hi:[0,1]
	s_wait_dscnt 0x0
	v_pk_mul_f32 v[122:123], v[118:119], v[110:111] op_sel:[0,1]
	s_delay_alu instid0(VALU_DEP_1) | instskip(SKIP_1) | instid1(VALU_DEP_1)
	v_pk_fma_f32 v[124:125], v[118:119], v[108:109], v[122:123] op_sel:[0,0,1] op_sel_hi:[1,1,0] neg_lo:[0,0,1] neg_hi:[0,0,1]
	v_pk_fma_f32 v[118:119], v[118:119], v[108:109], v[122:123] op_sel:[0,0,1] op_sel_hi:[1,0,0]
	v_mov_b32_e32 v125, v119
	v_pk_mul_f32 v[118:119], v[120:121], v[110:111] op_sel:[0,1]
	s_delay_alu instid0(VALU_DEP_2) | instskip(NEXT) | instid1(VALU_DEP_2)
	v_pk_add_f32 v[18:19], v[18:19], v[124:125] neg_lo:[0,1] neg_hi:[0,1]
	v_pk_fma_f32 v[122:123], v[120:121], v[108:109], v[118:119] op_sel:[0,0,1] op_sel_hi:[1,1,0] neg_lo:[0,0,1] neg_hi:[0,0,1]
	v_pk_fma_f32 v[118:119], v[120:121], v[108:109], v[118:119] op_sel:[0,0,1] op_sel_hi:[1,0,0]
	s_delay_alu instid0(VALU_DEP_1) | instskip(SKIP_4) | instid1(VALU_DEP_1)
	v_mov_b32_e32 v123, v119
	ds_load_2addr_b64 v[118:121], v112 offset0:16 offset1:17
	v_pk_add_f32 v[14:15], v[14:15], v[122:123] neg_lo:[0,1] neg_hi:[0,1]
	s_wait_dscnt 0x0
	v_pk_mul_f32 v[122:123], v[118:119], v[110:111] op_sel:[0,1]
	v_pk_fma_f32 v[124:125], v[118:119], v[108:109], v[122:123] op_sel:[0,0,1] op_sel_hi:[1,1,0] neg_lo:[0,0,1] neg_hi:[0,0,1]
	v_pk_fma_f32 v[118:119], v[118:119], v[108:109], v[122:123] op_sel:[0,0,1] op_sel_hi:[1,0,0]
	v_dual_mul_f32 v122, v121, v111 :: v_dual_mov_b32 v118, v121
	s_delay_alu instid0(VALU_DEP_2) | instskip(NEXT) | instid1(VALU_DEP_2)
	v_dual_mov_b32 v125, v119 :: v_dual_mov_b32 v119, v120
	v_pk_fma_f32 v[122:123], v[120:121], v[58:59], v[122:123] op_sel_hi:[1,1,0] neg_lo:[0,0,1] neg_hi:[0,0,1]
	v_mul_f32_e32 v120, v121, v108
	s_delay_alu instid0(VALU_DEP_3) | instskip(NEXT) | instid1(VALU_DEP_2)
	v_pk_add_f32 v[44:45], v[44:45], v[124:125] neg_lo:[0,1] neg_hi:[0,1]
	v_pk_fma_f32 v[118:119], v[118:119], v[58:59], v[120:121] op_sel_hi:[1,1,0]
	s_delay_alu instid0(VALU_DEP_1) | instskip(SKIP_4) | instid1(VALU_DEP_1)
	v_mov_b32_e32 v123, v119
	ds_load_2addr_b64 v[118:121], v112 offset0:18 offset1:19
	v_pk_add_f32 v[42:43], v[42:43], v[122:123] neg_lo:[0,1] neg_hi:[0,1]
	s_wait_dscnt 0x0
	v_pk_mul_f32 v[122:123], v[118:119], v[110:111] op_sel:[0,1]
	v_pk_fma_f32 v[124:125], v[118:119], v[108:109], v[122:123] op_sel:[0,0,1] op_sel_hi:[1,1,0] neg_lo:[0,0,1] neg_hi:[0,0,1]
	v_pk_fma_f32 v[118:119], v[118:119], v[108:109], v[122:123] op_sel:[0,0,1] op_sel_hi:[1,0,0]
	s_delay_alu instid0(VALU_DEP_1) | instskip(SKIP_1) | instid1(VALU_DEP_1)
	v_mov_b32_e32 v125, v119
	v_pk_mul_f32 v[118:119], v[120:121], v[110:111] op_sel:[0,1]
	v_pk_fma_f32 v[122:123], v[120:121], v[108:109], v[118:119] op_sel:[0,0,1] op_sel_hi:[1,1,0] neg_lo:[0,0,1] neg_hi:[0,0,1]
	v_pk_fma_f32 v[118:119], v[120:121], v[108:109], v[118:119] op_sel:[0,0,1] op_sel_hi:[1,0,0]
	s_delay_alu instid0(VALU_DEP_1)
	v_mov_b32_e32 v123, v119
	ds_load_2addr_b64 v[118:121], v112 offset0:20 offset1:21
	v_pk_add_f32 v[22:23], v[22:23], v[124:125] neg_lo:[0,1] neg_hi:[0,1]
	v_pk_add_f32 v[20:21], v[20:21], v[122:123] neg_lo:[0,1] neg_hi:[0,1]
	s_wait_dscnt 0x0
	v_pk_mul_f32 v[122:123], v[118:119], v[110:111] op_sel:[0,1]
	s_delay_alu instid0(VALU_DEP_1) | instskip(SKIP_1) | instid1(VALU_DEP_1)
	v_pk_fma_f32 v[124:125], v[118:119], v[108:109], v[122:123] op_sel:[0,0,1] op_sel_hi:[1,1,0] neg_lo:[0,0,1] neg_hi:[0,0,1]
	v_pk_fma_f32 v[118:119], v[118:119], v[108:109], v[122:123] op_sel:[0,0,1] op_sel_hi:[1,0,0]
	v_mov_b32_e32 v125, v119
	v_pk_mul_f32 v[118:119], v[120:121], v[110:111] op_sel:[0,1]
	s_delay_alu instid0(VALU_DEP_1) | instskip(SKIP_1) | instid1(VALU_DEP_1)
	v_pk_fma_f32 v[122:123], v[120:121], v[108:109], v[118:119] op_sel:[0,0,1] op_sel_hi:[1,1,0] neg_lo:[0,0,1] neg_hi:[0,0,1]
	v_pk_fma_f32 v[118:119], v[120:121], v[108:109], v[118:119] op_sel:[0,0,1] op_sel_hi:[1,0,0]
	v_mov_b32_e32 v123, v119
	ds_load_2addr_b64 v[118:121], v112 offset0:22 offset1:23
	v_pk_add_f32 v[52:53], v[52:53], v[124:125] neg_lo:[0,1] neg_hi:[0,1]
	v_pk_add_f32 v[50:51], v[50:51], v[122:123] neg_lo:[0,1] neg_hi:[0,1]
	s_wait_dscnt 0x0
	v_dual_mul_f32 v122, v119, v111 :: v_dual_mul_f32 v124, v119, v108
	s_delay_alu instid0(VALU_DEP_1) | instskip(NEXT) | instid1(VALU_DEP_2)
	v_pk_fma_f32 v[122:123], v[118:119], v[58:59], v[122:123] op_sel_hi:[1,1,0] neg_lo:[0,0,1] neg_hi:[0,0,1]
	v_pk_fma_f32 v[118:119], v[118:119], v[58:59], v[124:125] op_sel:[1,0,0] op_sel_hi:[0,1,0]
	s_delay_alu instid0(VALU_DEP_1) | instskip(SKIP_1) | instid1(VALU_DEP_2)
	v_mov_b32_e32 v123, v119
	v_pk_mul_f32 v[118:119], v[120:121], v[110:111] op_sel:[0,1]
	v_pk_add_f32 v[32:33], v[32:33], v[122:123] neg_lo:[0,1] neg_hi:[0,1]
	s_delay_alu instid0(VALU_DEP_2) | instskip(SKIP_1) | instid1(VALU_DEP_1)
	v_pk_fma_f32 v[122:123], v[120:121], v[108:109], v[118:119] op_sel:[0,0,1] op_sel_hi:[1,1,0] neg_lo:[0,0,1] neg_hi:[0,0,1]
	v_pk_fma_f32 v[118:119], v[120:121], v[108:109], v[118:119] op_sel:[0,0,1] op_sel_hi:[1,0,0]
	v_mov_b32_e32 v123, v119
	ds_load_2addr_b64 v[118:121], v112 offset0:24 offset1:25
	v_pk_add_f32 v[30:31], v[30:31], v[122:123] neg_lo:[0,1] neg_hi:[0,1]
	s_wait_dscnt 0x0
	v_pk_mul_f32 v[122:123], v[118:119], v[110:111] op_sel:[0,1]
	s_delay_alu instid0(VALU_DEP_1) | instskip(SKIP_1) | instid1(VALU_DEP_1)
	v_pk_fma_f32 v[124:125], v[118:119], v[108:109], v[122:123] op_sel:[0,0,1] op_sel_hi:[1,1,0] neg_lo:[0,0,1] neg_hi:[0,0,1]
	v_pk_fma_f32 v[118:119], v[118:119], v[108:109], v[122:123] op_sel:[0,0,1] op_sel_hi:[1,0,0]
	v_mov_b32_e32 v125, v119
	v_pk_mul_f32 v[118:119], v[120:121], v[110:111] op_sel:[0,1]
	s_delay_alu instid0(VALU_DEP_2) | instskip(NEXT) | instid1(VALU_DEP_2)
	v_pk_add_f32 v[62:63], v[62:63], v[124:125] neg_lo:[0,1] neg_hi:[0,1]
	v_pk_fma_f32 v[122:123], v[120:121], v[108:109], v[118:119] op_sel:[0,0,1] op_sel_hi:[1,1,0] neg_lo:[0,0,1] neg_hi:[0,0,1]
	v_pk_fma_f32 v[118:119], v[120:121], v[108:109], v[118:119] op_sel:[0,0,1] op_sel_hi:[1,0,0]
	s_delay_alu instid0(VALU_DEP_1) | instskip(SKIP_4) | instid1(VALU_DEP_1)
	v_mov_b32_e32 v123, v119
	ds_load_2addr_b64 v[118:121], v112 offset0:26 offset1:27
	v_pk_add_f32 v[60:61], v[60:61], v[122:123] neg_lo:[0,1] neg_hi:[0,1]
	s_wait_dscnt 0x0
	v_pk_mul_f32 v[122:123], v[118:119], v[110:111] op_sel:[0,1]
	v_pk_fma_f32 v[124:125], v[118:119], v[108:109], v[122:123] op_sel:[0,0,1] op_sel_hi:[1,1,0] neg_lo:[0,0,1] neg_hi:[0,0,1]
	v_pk_fma_f32 v[118:119], v[118:119], v[108:109], v[122:123] op_sel:[0,0,1] op_sel_hi:[1,0,0]
	v_dual_mul_f32 v122, v121, v111 :: v_dual_mov_b32 v118, v121
	s_delay_alu instid0(VALU_DEP_2) | instskip(NEXT) | instid1(VALU_DEP_2)
	v_dual_mov_b32 v125, v119 :: v_dual_mov_b32 v119, v120
	v_pk_fma_f32 v[122:123], v[120:121], v[58:59], v[122:123] op_sel_hi:[1,1,0] neg_lo:[0,0,1] neg_hi:[0,0,1]
	v_mul_f32_e32 v120, v121, v108
	s_delay_alu instid0(VALU_DEP_3) | instskip(NEXT) | instid1(VALU_DEP_2)
	v_pk_add_f32 v[40:41], v[40:41], v[124:125] neg_lo:[0,1] neg_hi:[0,1]
	v_pk_fma_f32 v[118:119], v[118:119], v[58:59], v[120:121] op_sel_hi:[1,1,0]
	s_delay_alu instid0(VALU_DEP_1) | instskip(SKIP_4) | instid1(VALU_DEP_1)
	v_mov_b32_e32 v123, v119
	ds_load_2addr_b64 v[118:121], v112 offset0:28 offset1:29
	v_pk_add_f32 v[38:39], v[38:39], v[122:123] neg_lo:[0,1] neg_hi:[0,1]
	s_wait_dscnt 0x0
	v_pk_mul_f32 v[122:123], v[118:119], v[110:111] op_sel:[0,1]
	v_pk_fma_f32 v[124:125], v[118:119], v[108:109], v[122:123] op_sel:[0,0,1] op_sel_hi:[1,1,0] neg_lo:[0,0,1] neg_hi:[0,0,1]
	v_pk_fma_f32 v[118:119], v[118:119], v[108:109], v[122:123] op_sel:[0,0,1] op_sel_hi:[1,0,0]
	s_delay_alu instid0(VALU_DEP_1) | instskip(SKIP_1) | instid1(VALU_DEP_1)
	v_mov_b32_e32 v125, v119
	v_pk_mul_f32 v[118:119], v[120:121], v[110:111] op_sel:[0,1]
	v_pk_fma_f32 v[122:123], v[120:121], v[108:109], v[118:119] op_sel:[0,0,1] op_sel_hi:[1,1,0] neg_lo:[0,0,1] neg_hi:[0,0,1]
	v_pk_fma_f32 v[118:119], v[120:121], v[108:109], v[118:119] op_sel:[0,0,1] op_sel_hi:[1,0,0]
	s_delay_alu instid0(VALU_DEP_1)
	v_mov_b32_e32 v123, v119
	ds_load_2addr_b64 v[118:121], v112 offset0:30 offset1:31
	v_pk_add_f32 v[70:71], v[70:71], v[124:125] neg_lo:[0,1] neg_hi:[0,1]
	v_pk_add_f32 v[68:69], v[68:69], v[122:123] neg_lo:[0,1] neg_hi:[0,1]
	s_wait_dscnt 0x0
	v_pk_mul_f32 v[122:123], v[118:119], v[110:111] op_sel:[0,1]
	s_delay_alu instid0(VALU_DEP_1) | instskip(SKIP_1) | instid1(VALU_DEP_1)
	v_pk_fma_f32 v[124:125], v[118:119], v[108:109], v[122:123] op_sel:[0,0,1] op_sel_hi:[1,1,0] neg_lo:[0,0,1] neg_hi:[0,0,1]
	v_pk_fma_f32 v[118:119], v[118:119], v[108:109], v[122:123] op_sel:[0,0,1] op_sel_hi:[1,0,0]
	v_mov_b32_e32 v125, v119
	v_pk_mul_f32 v[118:119], v[120:121], v[110:111] op_sel:[0,1]
	s_delay_alu instid0(VALU_DEP_1) | instskip(SKIP_1) | instid1(VALU_DEP_1)
	v_pk_fma_f32 v[122:123], v[120:121], v[108:109], v[118:119] op_sel:[0,0,1] op_sel_hi:[1,1,0] neg_lo:[0,0,1] neg_hi:[0,0,1]
	v_pk_fma_f32 v[118:119], v[120:121], v[108:109], v[118:119] op_sel:[0,0,1] op_sel_hi:[1,0,0]
	v_mov_b32_e32 v123, v119
	ds_load_2addr_b64 v[118:121], v112 offset0:32 offset1:33
	v_pk_add_f32 v[48:49], v[48:49], v[124:125] neg_lo:[0,1] neg_hi:[0,1]
	v_pk_add_f32 v[46:47], v[46:47], v[122:123] neg_lo:[0,1] neg_hi:[0,1]
	s_wait_dscnt 0x0
	v_dual_mul_f32 v122, v119, v111 :: v_dual_mul_f32 v124, v119, v108
	s_delay_alu instid0(VALU_DEP_1) | instskip(NEXT) | instid1(VALU_DEP_2)
	v_pk_fma_f32 v[122:123], v[118:119], v[58:59], v[122:123] op_sel_hi:[1,1,0] neg_lo:[0,0,1] neg_hi:[0,0,1]
	v_pk_fma_f32 v[118:119], v[118:119], v[58:59], v[124:125] op_sel:[1,0,0] op_sel_hi:[0,1,0]
	s_delay_alu instid0(VALU_DEP_1) | instskip(SKIP_1) | instid1(VALU_DEP_2)
	v_mov_b32_e32 v123, v119
	v_pk_mul_f32 v[118:119], v[120:121], v[110:111] op_sel:[0,1]
	v_pk_add_f32 v[84:85], v[84:85], v[122:123] neg_lo:[0,1] neg_hi:[0,1]
	s_delay_alu instid0(VALU_DEP_2) | instskip(SKIP_1) | instid1(VALU_DEP_1)
	v_pk_fma_f32 v[122:123], v[120:121], v[108:109], v[118:119] op_sel:[0,0,1] op_sel_hi:[1,1,0] neg_lo:[0,0,1] neg_hi:[0,0,1]
	v_pk_fma_f32 v[118:119], v[120:121], v[108:109], v[118:119] op_sel:[0,0,1] op_sel_hi:[1,0,0]
	v_mov_b32_e32 v123, v119
	ds_load_2addr_b64 v[118:121], v112 offset0:34 offset1:35
	v_pk_add_f32 v[82:83], v[82:83], v[122:123] neg_lo:[0,1] neg_hi:[0,1]
	s_wait_dscnt 0x0
	v_pk_mul_f32 v[122:123], v[118:119], v[110:111] op_sel:[0,1]
	s_delay_alu instid0(VALU_DEP_1) | instskip(SKIP_1) | instid1(VALU_DEP_1)
	v_pk_fma_f32 v[124:125], v[118:119], v[108:109], v[122:123] op_sel:[0,0,1] op_sel_hi:[1,1,0] neg_lo:[0,0,1] neg_hi:[0,0,1]
	v_pk_fma_f32 v[118:119], v[118:119], v[108:109], v[122:123] op_sel:[0,0,1] op_sel_hi:[1,0,0]
	v_mov_b32_e32 v125, v119
	v_pk_mul_f32 v[118:119], v[120:121], v[110:111] op_sel:[0,1]
	s_delay_alu instid0(VALU_DEP_2) | instskip(NEXT) | instid1(VALU_DEP_2)
	v_pk_add_f32 v[56:57], v[56:57], v[124:125] neg_lo:[0,1] neg_hi:[0,1]
	v_pk_fma_f32 v[122:123], v[120:121], v[108:109], v[118:119] op_sel:[0,0,1] op_sel_hi:[1,1,0] neg_lo:[0,0,1] neg_hi:[0,0,1]
	v_pk_fma_f32 v[118:119], v[120:121], v[108:109], v[118:119] op_sel:[0,0,1] op_sel_hi:[1,0,0]
	s_delay_alu instid0(VALU_DEP_1) | instskip(SKIP_4) | instid1(VALU_DEP_1)
	v_mov_b32_e32 v123, v119
	ds_load_2addr_b64 v[118:121], v112 offset0:36 offset1:37
	v_pk_add_f32 v[54:55], v[54:55], v[122:123] neg_lo:[0,1] neg_hi:[0,1]
	s_wait_dscnt 0x0
	v_pk_mul_f32 v[122:123], v[118:119], v[110:111] op_sel:[0,1]
	v_pk_fma_f32 v[124:125], v[118:119], v[108:109], v[122:123] op_sel:[0,0,1] op_sel_hi:[1,1,0] neg_lo:[0,0,1] neg_hi:[0,0,1]
	v_pk_fma_f32 v[118:119], v[118:119], v[108:109], v[122:123] op_sel:[0,0,1] op_sel_hi:[1,0,0]
	v_dual_mul_f32 v122, v121, v111 :: v_dual_mov_b32 v118, v121
	s_delay_alu instid0(VALU_DEP_2) | instskip(NEXT) | instid1(VALU_DEP_2)
	v_dual_mov_b32 v125, v119 :: v_dual_mov_b32 v119, v120
	v_pk_fma_f32 v[122:123], v[120:121], v[58:59], v[122:123] op_sel_hi:[1,1,0] neg_lo:[0,0,1] neg_hi:[0,0,1]
	v_mul_f32_e32 v120, v121, v108
	s_delay_alu instid0(VALU_DEP_3) | instskip(NEXT) | instid1(VALU_DEP_2)
	v_pk_add_f32 v[94:95], v[94:95], v[124:125] neg_lo:[0,1] neg_hi:[0,1]
	v_pk_fma_f32 v[118:119], v[118:119], v[58:59], v[120:121] op_sel_hi:[1,1,0]
	s_delay_alu instid0(VALU_DEP_1) | instskip(SKIP_4) | instid1(VALU_DEP_1)
	v_mov_b32_e32 v123, v119
	ds_load_2addr_b64 v[118:121], v112 offset0:38 offset1:39
	v_pk_add_f32 v[92:93], v[92:93], v[122:123] neg_lo:[0,1] neg_hi:[0,1]
	s_wait_dscnt 0x0
	v_pk_mul_f32 v[122:123], v[118:119], v[110:111] op_sel:[0,1]
	v_pk_fma_f32 v[124:125], v[118:119], v[108:109], v[122:123] op_sel:[0,0,1] op_sel_hi:[1,1,0] neg_lo:[0,0,1] neg_hi:[0,0,1]
	v_pk_fma_f32 v[118:119], v[118:119], v[108:109], v[122:123] op_sel:[0,0,1] op_sel_hi:[1,0,0]
	s_delay_alu instid0(VALU_DEP_1) | instskip(SKIP_1) | instid1(VALU_DEP_1)
	v_mov_b32_e32 v125, v119
	v_pk_mul_f32 v[118:119], v[120:121], v[110:111] op_sel:[0,1]
	v_pk_fma_f32 v[122:123], v[120:121], v[108:109], v[118:119] op_sel:[0,0,1] op_sel_hi:[1,1,0] neg_lo:[0,0,1] neg_hi:[0,0,1]
	v_pk_fma_f32 v[118:119], v[120:121], v[108:109], v[118:119] op_sel:[0,0,1] op_sel_hi:[1,0,0]
	s_delay_alu instid0(VALU_DEP_1)
	v_mov_b32_e32 v123, v119
	ds_load_2addr_b64 v[118:121], v112 offset0:40 offset1:41
	v_pk_add_f32 v[66:67], v[66:67], v[124:125] neg_lo:[0,1] neg_hi:[0,1]
	v_pk_add_f32 v[64:65], v[64:65], v[122:123] neg_lo:[0,1] neg_hi:[0,1]
	s_wait_dscnt 0x0
	v_pk_mul_f32 v[122:123], v[118:119], v[110:111] op_sel:[0,1]
	s_delay_alu instid0(VALU_DEP_1) | instskip(SKIP_1) | instid1(VALU_DEP_1)
	v_pk_fma_f32 v[124:125], v[118:119], v[108:109], v[122:123] op_sel:[0,0,1] op_sel_hi:[1,1,0] neg_lo:[0,0,1] neg_hi:[0,0,1]
	v_pk_fma_f32 v[118:119], v[118:119], v[108:109], v[122:123] op_sel:[0,0,1] op_sel_hi:[1,0,0]
	v_mov_b32_e32 v125, v119
	v_pk_mul_f32 v[118:119], v[120:121], v[110:111] op_sel:[0,1]
	s_delay_alu instid0(VALU_DEP_1) | instskip(SKIP_1) | instid1(VALU_DEP_1)
	v_pk_fma_f32 v[122:123], v[120:121], v[108:109], v[118:119] op_sel:[0,0,1] op_sel_hi:[1,1,0] neg_lo:[0,0,1] neg_hi:[0,0,1]
	v_pk_fma_f32 v[118:119], v[120:121], v[108:109], v[118:119] op_sel:[0,0,1] op_sel_hi:[1,0,0]
	v_mov_b32_e32 v123, v119
	ds_load_2addr_b64 v[118:121], v112 offset0:42 offset1:43
	v_pk_add_f32 v[104:105], v[104:105], v[124:125] neg_lo:[0,1] neg_hi:[0,1]
	v_pk_add_f32 v[102:103], v[102:103], v[122:123] neg_lo:[0,1] neg_hi:[0,1]
	s_wait_dscnt 0x0
	v_dual_mul_f32 v122, v119, v111 :: v_dual_mul_f32 v124, v119, v108
	s_delay_alu instid0(VALU_DEP_1) | instskip(NEXT) | instid1(VALU_DEP_2)
	v_pk_fma_f32 v[122:123], v[118:119], v[58:59], v[122:123] op_sel_hi:[1,1,0] neg_lo:[0,0,1] neg_hi:[0,0,1]
	v_pk_fma_f32 v[118:119], v[118:119], v[58:59], v[124:125] op_sel:[1,0,0] op_sel_hi:[0,1,0]
	s_delay_alu instid0(VALU_DEP_1) | instskip(SKIP_1) | instid1(VALU_DEP_2)
	v_mov_b32_e32 v123, v119
	v_pk_mul_f32 v[118:119], v[120:121], v[110:111] op_sel:[0,1]
	v_pk_add_f32 v[76:77], v[76:77], v[122:123] neg_lo:[0,1] neg_hi:[0,1]
	s_delay_alu instid0(VALU_DEP_2) | instskip(SKIP_1) | instid1(VALU_DEP_1)
	v_pk_fma_f32 v[122:123], v[120:121], v[108:109], v[118:119] op_sel:[0,0,1] op_sel_hi:[1,1,0] neg_lo:[0,0,1] neg_hi:[0,0,1]
	v_pk_fma_f32 v[118:119], v[120:121], v[108:109], v[118:119] op_sel:[0,0,1] op_sel_hi:[1,0,0]
	v_mov_b32_e32 v123, v119
	ds_load_2addr_b64 v[118:121], v112 offset0:44 offset1:45
	v_pk_add_f32 v[74:75], v[74:75], v[122:123] neg_lo:[0,1] neg_hi:[0,1]
	s_wait_dscnt 0x0
	v_pk_mul_f32 v[122:123], v[118:119], v[110:111] op_sel:[0,1]
	s_delay_alu instid0(VALU_DEP_1) | instskip(SKIP_1) | instid1(VALU_DEP_1)
	v_pk_fma_f32 v[124:125], v[118:119], v[108:109], v[122:123] op_sel:[0,0,1] op_sel_hi:[1,1,0] neg_lo:[0,0,1] neg_hi:[0,0,1]
	v_pk_fma_f32 v[118:119], v[118:119], v[108:109], v[122:123] op_sel:[0,0,1] op_sel_hi:[1,0,0]
	v_mov_b32_e32 v125, v119
	v_pk_mul_f32 v[118:119], v[120:121], v[110:111] op_sel:[0,1]
	s_delay_alu instid0(VALU_DEP_2) | instskip(NEXT) | instid1(VALU_DEP_2)
	v_pk_add_f32 v[98:99], v[98:99], v[124:125] neg_lo:[0,1] neg_hi:[0,1]
	v_pk_fma_f32 v[122:123], v[120:121], v[108:109], v[118:119] op_sel:[0,0,1] op_sel_hi:[1,1,0] neg_lo:[0,0,1] neg_hi:[0,0,1]
	v_pk_fma_f32 v[118:119], v[120:121], v[108:109], v[118:119] op_sel:[0,0,1] op_sel_hi:[1,0,0]
	s_delay_alu instid0(VALU_DEP_1) | instskip(SKIP_4) | instid1(VALU_DEP_1)
	v_mov_b32_e32 v123, v119
	ds_load_2addr_b64 v[118:121], v112 offset0:46 offset1:47
	v_pk_add_f32 v[96:97], v[96:97], v[122:123] neg_lo:[0,1] neg_hi:[0,1]
	s_wait_dscnt 0x0
	v_pk_mul_f32 v[122:123], v[118:119], v[110:111] op_sel:[0,1]
	v_pk_fma_f32 v[124:125], v[118:119], v[108:109], v[122:123] op_sel:[0,0,1] op_sel_hi:[1,1,0] neg_lo:[0,0,1] neg_hi:[0,0,1]
	v_pk_fma_f32 v[118:119], v[118:119], v[108:109], v[122:123] op_sel:[0,0,1] op_sel_hi:[1,0,0]
	v_dual_mul_f32 v122, v121, v111 :: v_dual_mov_b32 v118, v121
	s_delay_alu instid0(VALU_DEP_2) | instskip(NEXT) | instid1(VALU_DEP_2)
	v_dual_mov_b32 v125, v119 :: v_dual_mov_b32 v119, v120
	v_pk_fma_f32 v[122:123], v[120:121], v[58:59], v[122:123] op_sel_hi:[1,1,0] neg_lo:[0,0,1] neg_hi:[0,0,1]
	v_mul_f32_e32 v120, v121, v108
	s_delay_alu instid0(VALU_DEP_3) | instskip(NEXT) | instid1(VALU_DEP_2)
	v_pk_add_f32 v[80:81], v[80:81], v[124:125] neg_lo:[0,1] neg_hi:[0,1]
	v_pk_fma_f32 v[118:119], v[118:119], v[58:59], v[120:121] op_sel_hi:[1,1,0]
	s_delay_alu instid0(VALU_DEP_1) | instskip(SKIP_4) | instid1(VALU_DEP_1)
	v_mov_b32_e32 v123, v119
	ds_load_2addr_b64 v[118:121], v112 offset0:48 offset1:49
	v_pk_add_f32 v[78:79], v[78:79], v[122:123] neg_lo:[0,1] neg_hi:[0,1]
	s_wait_dscnt 0x0
	v_pk_mul_f32 v[122:123], v[118:119], v[110:111] op_sel:[0,1]
	v_pk_fma_f32 v[124:125], v[118:119], v[108:109], v[122:123] op_sel:[0,0,1] op_sel_hi:[1,1,0] neg_lo:[0,0,1] neg_hi:[0,0,1]
	v_pk_fma_f32 v[118:119], v[118:119], v[108:109], v[122:123] op_sel:[0,0,1] op_sel_hi:[1,0,0]
	s_delay_alu instid0(VALU_DEP_1) | instskip(SKIP_1) | instid1(VALU_DEP_1)
	v_mov_b32_e32 v125, v119
	v_pk_mul_f32 v[118:119], v[120:121], v[110:111] op_sel:[0,1]
	v_pk_fma_f32 v[122:123], v[120:121], v[108:109], v[118:119] op_sel:[0,0,1] op_sel_hi:[1,1,0] neg_lo:[0,0,1] neg_hi:[0,0,1]
	v_pk_fma_f32 v[118:119], v[120:121], v[108:109], v[118:119] op_sel:[0,0,1] op_sel_hi:[1,0,0]
	s_delay_alu instid0(VALU_DEP_1)
	v_mov_b32_e32 v123, v119
	ds_load_b64 v[118:119], v112 offset:400
	v_pk_add_f32 v[88:89], v[88:89], v[124:125] neg_lo:[0,1] neg_hi:[0,1]
	v_pk_add_f32 v[86:87], v[86:87], v[122:123] neg_lo:[0,1] neg_hi:[0,1]
	s_wait_dscnt 0x0
	v_pk_mul_f32 v[110:111], v[118:119], v[110:111] op_sel:[0,1]
	s_delay_alu instid0(VALU_DEP_1) | instskip(SKIP_1) | instid1(VALU_DEP_1)
	v_pk_fma_f32 v[120:121], v[118:119], v[108:109], v[110:111] op_sel:[0,0,1] op_sel_hi:[1,1,0] neg_lo:[0,0,1] neg_hi:[0,0,1]
	v_pk_fma_f32 v[108:109], v[118:119], v[108:109], v[110:111] op_sel:[0,0,1] op_sel_hi:[1,0,0]
	v_mov_b32_e32 v121, v109
	s_delay_alu instid0(VALU_DEP_1)
	v_pk_add_f32 v[106:107], v[106:107], v[120:121] neg_lo:[0,1] neg_hi:[0,1]
.LBB100_83:
	s_or_b32 exec_lo, exec_lo, s0
	v_lshl_add_u32 v108, v116, 3, v112
	s_barrier_signal -1
	s_barrier_wait -1
	ds_store_b64 v108, v[24:25]
	s_wait_dscnt 0x0
	s_barrier_signal -1
	s_barrier_wait -1
	ds_load_b64 v[110:111], v112 offset:32
	v_mov_b32_e32 v108, 4
	s_cmp_lt_i32 s18, 6
	s_cbranch_scc1 .LBB100_86
; %bb.84:
	v_add3_u32 v109, v113, 0, 40
	v_mov_b32_e32 v108, 4
	s_mov_b32 s0, 5
.LBB100_85:                             ; =>This Inner Loop Header: Depth=1
	ds_load_b64 v[118:119], v109
	s_wait_dscnt 0x1
	v_cmp_gt_f32_e32 vcc_lo, 0, v110
	v_cndmask_b32_e64 v120, v110, -v110, vcc_lo
	v_cmp_gt_f32_e32 vcc_lo, 0, v111
	v_cndmask_b32_e64 v122, v111, -v111, vcc_lo
	s_wait_dscnt 0x0
	v_cmp_gt_f32_e32 vcc_lo, 0, v118
	v_cndmask_b32_e64 v121, v118, -v118, vcc_lo
	v_cmp_gt_f32_e32 vcc_lo, 0, v119
	v_cndmask_b32_e64 v123, v119, -v119, vcc_lo
	s_delay_alu instid0(VALU_DEP_1) | instskip(NEXT) | instid1(VALU_DEP_1)
	v_pk_add_f32 v[120:121], v[120:121], v[122:123]
	v_cmp_lt_f32_e32 vcc_lo, v120, v121
	v_dual_add_nc_u32 v109, 8, v109 :: v_dual_cndmask_b32 v111, v111, v119, vcc_lo
	v_cndmask_b32_e32 v110, v110, v118, vcc_lo
	v_cndmask_b32_e64 v108, v108, s0, vcc_lo
	s_add_co_i32 s0, s0, 1
	s_delay_alu instid0(SALU_CYCLE_1)
	s_cmp_lg_u32 s18, s0
	s_cbranch_scc1 .LBB100_85
.LBB100_86:
	s_wait_dscnt 0x0
	v_cmp_eq_f32_e32 vcc_lo, 0, v110
	v_cmp_eq_f32_e64 s0, 0, v111
	s_and_b32 s0, vcc_lo, s0
	s_delay_alu instid0(SALU_CYCLE_1) | instskip(NEXT) | instid1(SALU_CYCLE_1)
	s_and_saveexec_b32 s1, s0
	s_xor_b32 s0, exec_lo, s1
; %bb.87:
	v_cmp_ne_u32_e32 vcc_lo, 0, v114
	v_cndmask_b32_e32 v114, 5, v114, vcc_lo
; %bb.88:
	s_and_not1_saveexec_b32 s0, s0
	s_cbranch_execz .LBB100_94
; %bb.89:
	v_cmp_ngt_f32_e64 s1, |v110|, |v111|
	s_and_saveexec_b32 s12, s1
	s_delay_alu instid0(SALU_CYCLE_1)
	s_xor_b32 s1, exec_lo, s12
	s_cbranch_execz .LBB100_91
; %bb.90:
	v_div_scale_f32 v109, null, v111, v111, v110
	v_div_scale_f32 v119, vcc_lo, v110, v111, v110
	s_delay_alu instid0(VALU_DEP_2) | instskip(SKIP_1) | instid1(TRANS32_DEP_1)
	v_rcp_f32_e32 v117, v109
	v_nop
	v_fma_f32 v118, -v109, v117, 1.0
	s_delay_alu instid0(VALU_DEP_1) | instskip(NEXT) | instid1(VALU_DEP_1)
	v_fmac_f32_e32 v117, v118, v117
	v_mul_f32_e32 v118, v119, v117
	s_delay_alu instid0(VALU_DEP_1) | instskip(NEXT) | instid1(VALU_DEP_1)
	v_fma_f32 v120, -v109, v118, v119
	v_fmac_f32_e32 v118, v120, v117
	s_delay_alu instid0(VALU_DEP_1) | instskip(NEXT) | instid1(VALU_DEP_1)
	v_fma_f32 v109, -v109, v118, v119
	v_div_fmas_f32 v109, v109, v117, v118
	s_delay_alu instid0(VALU_DEP_1) | instskip(NEXT) | instid1(VALU_DEP_1)
	v_div_fixup_f32 v109, v109, v111, v110
	v_fmac_f32_e32 v111, v110, v109
	s_delay_alu instid0(VALU_DEP_1) | instskip(SKIP_1) | instid1(VALU_DEP_2)
	v_div_scale_f32 v110, null, v111, v111, 1.0
	v_div_scale_f32 v119, vcc_lo, 1.0, v111, 1.0
	v_rcp_f32_e32 v117, v110
	v_nop
	s_delay_alu instid0(TRANS32_DEP_1) | instskip(NEXT) | instid1(VALU_DEP_1)
	v_fma_f32 v118, -v110, v117, 1.0
	v_fmac_f32_e32 v117, v118, v117
	s_delay_alu instid0(VALU_DEP_1) | instskip(NEXT) | instid1(VALU_DEP_1)
	v_mul_f32_e32 v118, v119, v117
	v_fma_f32 v120, -v110, v118, v119
	s_delay_alu instid0(VALU_DEP_1) | instskip(NEXT) | instid1(VALU_DEP_1)
	v_fmac_f32_e32 v118, v120, v117
	v_fma_f32 v110, -v110, v118, v119
	s_delay_alu instid0(VALU_DEP_1) | instskip(NEXT) | instid1(VALU_DEP_1)
	v_div_fmas_f32 v110, v110, v117, v118
	v_div_fixup_f32 v111, v110, v111, 1.0
	s_delay_alu instid0(VALU_DEP_1)
	v_mul_f32_e32 v110, v109, v111
	v_xor_b32_e32 v111, 0x80000000, v111
.LBB100_91:
	s_and_not1_saveexec_b32 s1, s1
	s_cbranch_execz .LBB100_93
; %bb.92:
	s_delay_alu instid0(VALU_DEP_1) | instskip(SKIP_1) | instid1(VALU_DEP_2)
	v_div_scale_f32 v109, null, v110, v110, v111
	v_div_scale_f32 v119, vcc_lo, v111, v110, v111
	v_rcp_f32_e32 v117, v109
	v_nop
	s_delay_alu instid0(TRANS32_DEP_1) | instskip(NEXT) | instid1(VALU_DEP_1)
	v_fma_f32 v118, -v109, v117, 1.0
	v_fmac_f32_e32 v117, v118, v117
	s_delay_alu instid0(VALU_DEP_1) | instskip(NEXT) | instid1(VALU_DEP_1)
	v_mul_f32_e32 v118, v119, v117
	v_fma_f32 v120, -v109, v118, v119
	s_delay_alu instid0(VALU_DEP_1) | instskip(NEXT) | instid1(VALU_DEP_1)
	v_fmac_f32_e32 v118, v120, v117
	v_fma_f32 v109, -v109, v118, v119
	s_delay_alu instid0(VALU_DEP_1) | instskip(NEXT) | instid1(VALU_DEP_1)
	v_div_fmas_f32 v109, v109, v117, v118
	v_div_fixup_f32 v109, v109, v110, v111
	s_delay_alu instid0(VALU_DEP_1) | instskip(NEXT) | instid1(VALU_DEP_1)
	v_fmac_f32_e32 v110, v111, v109
	v_div_scale_f32 v111, null, v110, v110, 1.0
	s_delay_alu instid0(VALU_DEP_1) | instskip(SKIP_1) | instid1(TRANS32_DEP_1)
	v_rcp_f32_e32 v117, v111
	v_nop
	v_fma_f32 v118, -v111, v117, 1.0
	s_delay_alu instid0(VALU_DEP_1) | instskip(SKIP_1) | instid1(VALU_DEP_1)
	v_fmac_f32_e32 v117, v118, v117
	v_div_scale_f32 v118, vcc_lo, 1.0, v110, 1.0
	v_mul_f32_e32 v119, v118, v117
	s_delay_alu instid0(VALU_DEP_1) | instskip(NEXT) | instid1(VALU_DEP_1)
	v_fma_f32 v120, -v111, v119, v118
	v_fmac_f32_e32 v119, v120, v117
	s_delay_alu instid0(VALU_DEP_1) | instskip(NEXT) | instid1(VALU_DEP_1)
	v_fma_f32 v111, -v111, v119, v118
	v_div_fmas_f32 v111, v111, v117, v119
	s_delay_alu instid0(VALU_DEP_1) | instskip(NEXT) | instid1(VALU_DEP_1)
	v_div_fixup_f32 v110, v111, v110, 1.0
	v_mul_f32_e64 v111, v109, -v110
.LBB100_93:
	s_or_b32 exec_lo, exec_lo, s1
.LBB100_94:
	s_delay_alu instid0(SALU_CYCLE_1) | instskip(NEXT) | instid1(SALU_CYCLE_1)
	s_or_b32 exec_lo, exec_lo, s0
	s_mov_b32 s0, exec_lo
	v_cmpx_ne_u32_e64 v116, v108
	s_xor_b32 s0, exec_lo, s0
	s_cbranch_execz .LBB100_100
; %bb.95:
	s_mov_b32 s1, exec_lo
	v_cmpx_eq_u32_e32 4, v116
	s_cbranch_execz .LBB100_99
; %bb.96:
	v_cmp_ne_u32_e32 vcc_lo, 4, v108
	s_xor_b32 s12, s16, -1
	s_delay_alu instid0(SALU_CYCLE_1) | instskip(NEXT) | instid1(SALU_CYCLE_1)
	s_and_b32 s13, s12, vcc_lo
	s_and_saveexec_b32 s12, s13
	s_cbranch_execz .LBB100_98
; %bb.97:
	v_ashrrev_i32_e32 v109, 31, v108
	s_delay_alu instid0(VALU_DEP_1)
	v_lshl_add_u64 v[116:117], v[108:109], 2, v[4:5]
	s_clause 0x1
	global_load_b32 v109, v[116:117], off
	global_load_b32 v115, v[4:5], off offset:16
	s_wait_loadcnt 0x1
	global_store_b32 v[4:5], v109, off offset:16
	s_wait_loadcnt 0x0
	global_store_b32 v[116:117], v115, off
.LBB100_98:
	s_wait_xcnt 0x0
	s_or_b32 exec_lo, exec_lo, s12
	v_dual_mov_b32 v116, v108 :: v_dual_mov_b32 v115, v108
.LBB100_99:
	s_or_b32 exec_lo, exec_lo, s1
.LBB100_100:
	s_and_not1_saveexec_b32 s0, s0
	s_cbranch_execz .LBB100_102
; %bb.101:
	v_mov_b32_e32 v116, 4
	ds_store_2addr_b64 v112, v[16:17], v[8:9] offset0:5 offset1:6
	ds_store_2addr_b64 v112, v[6:7], v[28:29] offset0:7 offset1:8
	;; [unrolled: 1-line block ×23, first 2 shown]
.LBB100_102:
	s_or_b32 exec_lo, exec_lo, s0
	s_delay_alu instid0(SALU_CYCLE_1)
	s_mov_b32 s0, exec_lo
	s_wait_storecnt_dscnt 0x0
	s_barrier_signal -1
	s_barrier_wait -1
	v_cmpx_lt_i32_e32 4, v116
	s_cbranch_execz .LBB100_104
; %bb.103:
	v_pk_mul_f32 v[118:119], v[110:111], v[24:25] op_sel:[1,1] op_sel_hi:[0,1]
	s_delay_alu instid0(VALU_DEP_1)
	v_pk_fma_f32 v[108:109], v[110:111], v[24:25], v[118:119] op_sel_hi:[1,0,1] neg_lo:[0,0,1] neg_hi:[0,0,1]
	v_pk_fma_f32 v[110:111], v[110:111], v[24:25], v[118:119] op_sel_hi:[1,0,1]
	ds_load_2addr_b64 v[118:121], v112 offset0:5 offset1:6
	v_dual_mov_b32 v24, v108 :: v_dual_mov_b32 v25, v111
	s_wait_dscnt 0x0
	v_pk_mul_f32 v[122:123], v[118:119], v[110:111] op_sel:[0,1]
	s_delay_alu instid0(VALU_DEP_1) | instskip(SKIP_1) | instid1(VALU_DEP_1)
	v_pk_fma_f32 v[124:125], v[118:119], v[108:109], v[122:123] op_sel:[0,0,1] op_sel_hi:[1,1,0] neg_lo:[0,0,1] neg_hi:[0,0,1]
	v_pk_fma_f32 v[118:119], v[118:119], v[108:109], v[122:123] op_sel:[0,0,1] op_sel_hi:[1,0,0]
	v_mov_b32_e32 v125, v119
	v_pk_mul_f32 v[118:119], v[120:121], v[110:111] op_sel:[0,1]
	s_delay_alu instid0(VALU_DEP_1) | instskip(SKIP_1) | instid1(VALU_DEP_1)
	v_pk_fma_f32 v[122:123], v[120:121], v[108:109], v[118:119] op_sel:[0,0,1] op_sel_hi:[1,1,0] neg_lo:[0,0,1] neg_hi:[0,0,1]
	v_pk_fma_f32 v[118:119], v[120:121], v[108:109], v[118:119] op_sel:[0,0,1] op_sel_hi:[1,0,0]
	v_mov_b32_e32 v123, v119
	ds_load_2addr_b64 v[118:121], v112 offset0:7 offset1:8
	v_pk_add_f32 v[16:17], v[16:17], v[124:125] neg_lo:[0,1] neg_hi:[0,1]
	v_pk_add_f32 v[8:9], v[8:9], v[122:123] neg_lo:[0,1] neg_hi:[0,1]
	s_wait_dscnt 0x0
	v_pk_mul_f32 v[122:123], v[118:119], v[110:111] op_sel:[0,1]
	s_delay_alu instid0(VALU_DEP_1) | instskip(SKIP_2) | instid1(VALU_DEP_2)
	v_pk_fma_f32 v[124:125], v[118:119], v[108:109], v[122:123] op_sel:[0,0,1] op_sel_hi:[1,1,0] neg_lo:[0,0,1] neg_hi:[0,0,1]
	v_pk_fma_f32 v[118:119], v[118:119], v[108:109], v[122:123] op_sel:[0,0,1] op_sel_hi:[1,0,0]
	v_dual_mul_f32 v122, v121, v111 :: v_dual_mov_b32 v118, v121
	v_dual_mov_b32 v125, v119 :: v_dual_mov_b32 v119, v120
	s_delay_alu instid0(VALU_DEP_2) | instskip(SKIP_1) | instid1(VALU_DEP_3)
	v_pk_fma_f32 v[122:123], v[120:121], v[24:25], v[122:123] op_sel_hi:[1,1,0] neg_lo:[0,0,1] neg_hi:[0,0,1]
	v_mul_f32_e32 v120, v121, v108
	v_pk_add_f32 v[6:7], v[6:7], v[124:125] neg_lo:[0,1] neg_hi:[0,1]
	s_delay_alu instid0(VALU_DEP_2) | instskip(NEXT) | instid1(VALU_DEP_1)
	v_pk_fma_f32 v[118:119], v[118:119], v[24:25], v[120:121] op_sel_hi:[1,1,0]
	v_mov_b32_e32 v123, v119
	ds_load_2addr_b64 v[118:121], v112 offset0:9 offset1:10
	v_pk_add_f32 v[28:29], v[28:29], v[122:123] neg_lo:[0,1] neg_hi:[0,1]
	s_wait_dscnt 0x0
	v_pk_mul_f32 v[122:123], v[118:119], v[110:111] op_sel:[0,1]
	s_delay_alu instid0(VALU_DEP_1) | instskip(SKIP_1) | instid1(VALU_DEP_1)
	v_pk_fma_f32 v[124:125], v[118:119], v[108:109], v[122:123] op_sel:[0,0,1] op_sel_hi:[1,1,0] neg_lo:[0,0,1] neg_hi:[0,0,1]
	v_pk_fma_f32 v[118:119], v[118:119], v[108:109], v[122:123] op_sel:[0,0,1] op_sel_hi:[1,0,0]
	v_mov_b32_e32 v125, v119
	v_pk_mul_f32 v[118:119], v[120:121], v[110:111] op_sel:[0,1]
	s_delay_alu instid0(VALU_DEP_1) | instskip(SKIP_1) | instid1(VALU_DEP_1)
	v_pk_fma_f32 v[122:123], v[120:121], v[108:109], v[118:119] op_sel:[0,0,1] op_sel_hi:[1,1,0] neg_lo:[0,0,1] neg_hi:[0,0,1]
	v_pk_fma_f32 v[118:119], v[120:121], v[108:109], v[118:119] op_sel:[0,0,1] op_sel_hi:[1,0,0]
	v_mov_b32_e32 v123, v119
	ds_load_2addr_b64 v[118:121], v112 offset0:11 offset1:12
	v_pk_add_f32 v[26:27], v[26:27], v[124:125] neg_lo:[0,1] neg_hi:[0,1]
	v_pk_add_f32 v[12:13], v[12:13], v[122:123] neg_lo:[0,1] neg_hi:[0,1]
	s_wait_dscnt 0x0
	v_pk_mul_f32 v[122:123], v[118:119], v[110:111] op_sel:[0,1]
	s_delay_alu instid0(VALU_DEP_1) | instskip(SKIP_1) | instid1(VALU_DEP_1)
	v_pk_fma_f32 v[124:125], v[118:119], v[108:109], v[122:123] op_sel:[0,0,1] op_sel_hi:[1,1,0] neg_lo:[0,0,1] neg_hi:[0,0,1]
	v_pk_fma_f32 v[118:119], v[118:119], v[108:109], v[122:123] op_sel:[0,0,1] op_sel_hi:[1,0,0]
	v_mov_b32_e32 v125, v119
	v_pk_mul_f32 v[118:119], v[120:121], v[110:111] op_sel:[0,1]
	s_delay_alu instid0(VALU_DEP_1) | instskip(SKIP_1) | instid1(VALU_DEP_1)
	v_pk_fma_f32 v[122:123], v[120:121], v[108:109], v[118:119] op_sel:[0,0,1] op_sel_hi:[1,1,0] neg_lo:[0,0,1] neg_hi:[0,0,1]
	v_pk_fma_f32 v[118:119], v[120:121], v[108:109], v[118:119] op_sel:[0,0,1] op_sel_hi:[1,0,0]
	v_mov_b32_e32 v123, v119
	ds_load_2addr_b64 v[118:121], v112 offset0:13 offset1:14
	v_pk_add_f32 v[10:11], v[10:11], v[124:125] neg_lo:[0,1] neg_hi:[0,1]
	v_pk_add_f32 v[36:37], v[36:37], v[122:123] neg_lo:[0,1] neg_hi:[0,1]
	s_wait_dscnt 0x0
	v_dual_mul_f32 v122, v119, v111 :: v_dual_mul_f32 v124, v119, v108
	s_delay_alu instid0(VALU_DEP_1) | instskip(NEXT) | instid1(VALU_DEP_2)
	v_pk_fma_f32 v[122:123], v[118:119], v[24:25], v[122:123] op_sel_hi:[1,1,0] neg_lo:[0,0,1] neg_hi:[0,0,1]
	v_pk_fma_f32 v[118:119], v[118:119], v[24:25], v[124:125] op_sel:[1,0,0] op_sel_hi:[0,1,0]
	s_delay_alu instid0(VALU_DEP_1) | instskip(SKIP_1) | instid1(VALU_DEP_2)
	v_mov_b32_e32 v123, v119
	v_pk_mul_f32 v[118:119], v[120:121], v[110:111] op_sel:[0,1]
	v_pk_add_f32 v[34:35], v[34:35], v[122:123] neg_lo:[0,1] neg_hi:[0,1]
	s_delay_alu instid0(VALU_DEP_2) | instskip(SKIP_1) | instid1(VALU_DEP_1)
	v_pk_fma_f32 v[122:123], v[120:121], v[108:109], v[118:119] op_sel:[0,0,1] op_sel_hi:[1,1,0] neg_lo:[0,0,1] neg_hi:[0,0,1]
	v_pk_fma_f32 v[118:119], v[120:121], v[108:109], v[118:119] op_sel:[0,0,1] op_sel_hi:[1,0,0]
	v_mov_b32_e32 v123, v119
	ds_load_2addr_b64 v[118:121], v112 offset0:15 offset1:16
	v_pk_add_f32 v[18:19], v[18:19], v[122:123] neg_lo:[0,1] neg_hi:[0,1]
	s_wait_dscnt 0x0
	v_pk_mul_f32 v[122:123], v[118:119], v[110:111] op_sel:[0,1]
	s_delay_alu instid0(VALU_DEP_1) | instskip(SKIP_1) | instid1(VALU_DEP_1)
	v_pk_fma_f32 v[124:125], v[118:119], v[108:109], v[122:123] op_sel:[0,0,1] op_sel_hi:[1,1,0] neg_lo:[0,0,1] neg_hi:[0,0,1]
	v_pk_fma_f32 v[118:119], v[118:119], v[108:109], v[122:123] op_sel:[0,0,1] op_sel_hi:[1,0,0]
	v_mov_b32_e32 v125, v119
	v_pk_mul_f32 v[118:119], v[120:121], v[110:111] op_sel:[0,1]
	s_delay_alu instid0(VALU_DEP_2) | instskip(NEXT) | instid1(VALU_DEP_2)
	v_pk_add_f32 v[14:15], v[14:15], v[124:125] neg_lo:[0,1] neg_hi:[0,1]
	v_pk_fma_f32 v[122:123], v[120:121], v[108:109], v[118:119] op_sel:[0,0,1] op_sel_hi:[1,1,0] neg_lo:[0,0,1] neg_hi:[0,0,1]
	v_pk_fma_f32 v[118:119], v[120:121], v[108:109], v[118:119] op_sel:[0,0,1] op_sel_hi:[1,0,0]
	s_delay_alu instid0(VALU_DEP_1) | instskip(SKIP_4) | instid1(VALU_DEP_1)
	v_mov_b32_e32 v123, v119
	ds_load_2addr_b64 v[118:121], v112 offset0:17 offset1:18
	v_pk_add_f32 v[44:45], v[44:45], v[122:123] neg_lo:[0,1] neg_hi:[0,1]
	s_wait_dscnt 0x0
	v_pk_mul_f32 v[122:123], v[118:119], v[110:111] op_sel:[0,1]
	v_pk_fma_f32 v[124:125], v[118:119], v[108:109], v[122:123] op_sel:[0,0,1] op_sel_hi:[1,1,0] neg_lo:[0,0,1] neg_hi:[0,0,1]
	v_pk_fma_f32 v[118:119], v[118:119], v[108:109], v[122:123] op_sel:[0,0,1] op_sel_hi:[1,0,0]
	v_dual_mul_f32 v122, v121, v111 :: v_dual_mov_b32 v118, v121
	s_delay_alu instid0(VALU_DEP_2) | instskip(NEXT) | instid1(VALU_DEP_2)
	v_dual_mov_b32 v125, v119 :: v_dual_mov_b32 v119, v120
	v_pk_fma_f32 v[122:123], v[120:121], v[24:25], v[122:123] op_sel_hi:[1,1,0] neg_lo:[0,0,1] neg_hi:[0,0,1]
	v_mul_f32_e32 v120, v121, v108
	s_delay_alu instid0(VALU_DEP_3) | instskip(NEXT) | instid1(VALU_DEP_2)
	v_pk_add_f32 v[42:43], v[42:43], v[124:125] neg_lo:[0,1] neg_hi:[0,1]
	v_pk_fma_f32 v[118:119], v[118:119], v[24:25], v[120:121] op_sel_hi:[1,1,0]
	s_delay_alu instid0(VALU_DEP_1) | instskip(SKIP_4) | instid1(VALU_DEP_1)
	v_mov_b32_e32 v123, v119
	ds_load_2addr_b64 v[118:121], v112 offset0:19 offset1:20
	v_pk_add_f32 v[22:23], v[22:23], v[122:123] neg_lo:[0,1] neg_hi:[0,1]
	s_wait_dscnt 0x0
	v_pk_mul_f32 v[122:123], v[118:119], v[110:111] op_sel:[0,1]
	v_pk_fma_f32 v[124:125], v[118:119], v[108:109], v[122:123] op_sel:[0,0,1] op_sel_hi:[1,1,0] neg_lo:[0,0,1] neg_hi:[0,0,1]
	v_pk_fma_f32 v[118:119], v[118:119], v[108:109], v[122:123] op_sel:[0,0,1] op_sel_hi:[1,0,0]
	s_delay_alu instid0(VALU_DEP_1) | instskip(SKIP_1) | instid1(VALU_DEP_1)
	v_mov_b32_e32 v125, v119
	v_pk_mul_f32 v[118:119], v[120:121], v[110:111] op_sel:[0,1]
	v_pk_fma_f32 v[122:123], v[120:121], v[108:109], v[118:119] op_sel:[0,0,1] op_sel_hi:[1,1,0] neg_lo:[0,0,1] neg_hi:[0,0,1]
	v_pk_fma_f32 v[118:119], v[120:121], v[108:109], v[118:119] op_sel:[0,0,1] op_sel_hi:[1,0,0]
	s_delay_alu instid0(VALU_DEP_1)
	v_mov_b32_e32 v123, v119
	ds_load_2addr_b64 v[118:121], v112 offset0:21 offset1:22
	v_pk_add_f32 v[20:21], v[20:21], v[124:125] neg_lo:[0,1] neg_hi:[0,1]
	v_pk_add_f32 v[52:53], v[52:53], v[122:123] neg_lo:[0,1] neg_hi:[0,1]
	s_wait_dscnt 0x0
	v_pk_mul_f32 v[122:123], v[118:119], v[110:111] op_sel:[0,1]
	s_delay_alu instid0(VALU_DEP_1) | instskip(SKIP_1) | instid1(VALU_DEP_1)
	v_pk_fma_f32 v[124:125], v[118:119], v[108:109], v[122:123] op_sel:[0,0,1] op_sel_hi:[1,1,0] neg_lo:[0,0,1] neg_hi:[0,0,1]
	v_pk_fma_f32 v[118:119], v[118:119], v[108:109], v[122:123] op_sel:[0,0,1] op_sel_hi:[1,0,0]
	v_mov_b32_e32 v125, v119
	v_pk_mul_f32 v[118:119], v[120:121], v[110:111] op_sel:[0,1]
	s_delay_alu instid0(VALU_DEP_1) | instskip(SKIP_1) | instid1(VALU_DEP_1)
	v_pk_fma_f32 v[122:123], v[120:121], v[108:109], v[118:119] op_sel:[0,0,1] op_sel_hi:[1,1,0] neg_lo:[0,0,1] neg_hi:[0,0,1]
	v_pk_fma_f32 v[118:119], v[120:121], v[108:109], v[118:119] op_sel:[0,0,1] op_sel_hi:[1,0,0]
	v_mov_b32_e32 v123, v119
	ds_load_2addr_b64 v[118:121], v112 offset0:23 offset1:24
	v_pk_add_f32 v[50:51], v[50:51], v[124:125] neg_lo:[0,1] neg_hi:[0,1]
	v_pk_add_f32 v[32:33], v[32:33], v[122:123] neg_lo:[0,1] neg_hi:[0,1]
	s_wait_dscnt 0x0
	v_dual_mul_f32 v122, v119, v111 :: v_dual_mul_f32 v124, v119, v108
	s_delay_alu instid0(VALU_DEP_1) | instskip(NEXT) | instid1(VALU_DEP_2)
	v_pk_fma_f32 v[122:123], v[118:119], v[24:25], v[122:123] op_sel_hi:[1,1,0] neg_lo:[0,0,1] neg_hi:[0,0,1]
	v_pk_fma_f32 v[118:119], v[118:119], v[24:25], v[124:125] op_sel:[1,0,0] op_sel_hi:[0,1,0]
	s_delay_alu instid0(VALU_DEP_1) | instskip(SKIP_1) | instid1(VALU_DEP_2)
	v_mov_b32_e32 v123, v119
	v_pk_mul_f32 v[118:119], v[120:121], v[110:111] op_sel:[0,1]
	v_pk_add_f32 v[30:31], v[30:31], v[122:123] neg_lo:[0,1] neg_hi:[0,1]
	s_delay_alu instid0(VALU_DEP_2) | instskip(SKIP_1) | instid1(VALU_DEP_1)
	v_pk_fma_f32 v[122:123], v[120:121], v[108:109], v[118:119] op_sel:[0,0,1] op_sel_hi:[1,1,0] neg_lo:[0,0,1] neg_hi:[0,0,1]
	v_pk_fma_f32 v[118:119], v[120:121], v[108:109], v[118:119] op_sel:[0,0,1] op_sel_hi:[1,0,0]
	v_mov_b32_e32 v123, v119
	ds_load_2addr_b64 v[118:121], v112 offset0:25 offset1:26
	v_pk_add_f32 v[62:63], v[62:63], v[122:123] neg_lo:[0,1] neg_hi:[0,1]
	s_wait_dscnt 0x0
	v_pk_mul_f32 v[122:123], v[118:119], v[110:111] op_sel:[0,1]
	s_delay_alu instid0(VALU_DEP_1) | instskip(SKIP_1) | instid1(VALU_DEP_1)
	v_pk_fma_f32 v[124:125], v[118:119], v[108:109], v[122:123] op_sel:[0,0,1] op_sel_hi:[1,1,0] neg_lo:[0,0,1] neg_hi:[0,0,1]
	v_pk_fma_f32 v[118:119], v[118:119], v[108:109], v[122:123] op_sel:[0,0,1] op_sel_hi:[1,0,0]
	v_mov_b32_e32 v125, v119
	v_pk_mul_f32 v[118:119], v[120:121], v[110:111] op_sel:[0,1]
	s_delay_alu instid0(VALU_DEP_2) | instskip(NEXT) | instid1(VALU_DEP_2)
	v_pk_add_f32 v[60:61], v[60:61], v[124:125] neg_lo:[0,1] neg_hi:[0,1]
	v_pk_fma_f32 v[122:123], v[120:121], v[108:109], v[118:119] op_sel:[0,0,1] op_sel_hi:[1,1,0] neg_lo:[0,0,1] neg_hi:[0,0,1]
	v_pk_fma_f32 v[118:119], v[120:121], v[108:109], v[118:119] op_sel:[0,0,1] op_sel_hi:[1,0,0]
	s_delay_alu instid0(VALU_DEP_1) | instskip(SKIP_4) | instid1(VALU_DEP_1)
	v_mov_b32_e32 v123, v119
	ds_load_2addr_b64 v[118:121], v112 offset0:27 offset1:28
	v_pk_add_f32 v[40:41], v[40:41], v[122:123] neg_lo:[0,1] neg_hi:[0,1]
	s_wait_dscnt 0x0
	v_pk_mul_f32 v[122:123], v[118:119], v[110:111] op_sel:[0,1]
	v_pk_fma_f32 v[124:125], v[118:119], v[108:109], v[122:123] op_sel:[0,0,1] op_sel_hi:[1,1,0] neg_lo:[0,0,1] neg_hi:[0,0,1]
	v_pk_fma_f32 v[118:119], v[118:119], v[108:109], v[122:123] op_sel:[0,0,1] op_sel_hi:[1,0,0]
	v_dual_mul_f32 v122, v121, v111 :: v_dual_mov_b32 v118, v121
	s_delay_alu instid0(VALU_DEP_2) | instskip(NEXT) | instid1(VALU_DEP_2)
	v_dual_mov_b32 v125, v119 :: v_dual_mov_b32 v119, v120
	v_pk_fma_f32 v[122:123], v[120:121], v[24:25], v[122:123] op_sel_hi:[1,1,0] neg_lo:[0,0,1] neg_hi:[0,0,1]
	v_mul_f32_e32 v120, v121, v108
	s_delay_alu instid0(VALU_DEP_3) | instskip(NEXT) | instid1(VALU_DEP_2)
	v_pk_add_f32 v[38:39], v[38:39], v[124:125] neg_lo:[0,1] neg_hi:[0,1]
	v_pk_fma_f32 v[118:119], v[118:119], v[24:25], v[120:121] op_sel_hi:[1,1,0]
	s_delay_alu instid0(VALU_DEP_1) | instskip(SKIP_4) | instid1(VALU_DEP_1)
	v_mov_b32_e32 v123, v119
	ds_load_2addr_b64 v[118:121], v112 offset0:29 offset1:30
	v_pk_add_f32 v[70:71], v[70:71], v[122:123] neg_lo:[0,1] neg_hi:[0,1]
	s_wait_dscnt 0x0
	v_pk_mul_f32 v[122:123], v[118:119], v[110:111] op_sel:[0,1]
	v_pk_fma_f32 v[124:125], v[118:119], v[108:109], v[122:123] op_sel:[0,0,1] op_sel_hi:[1,1,0] neg_lo:[0,0,1] neg_hi:[0,0,1]
	v_pk_fma_f32 v[118:119], v[118:119], v[108:109], v[122:123] op_sel:[0,0,1] op_sel_hi:[1,0,0]
	s_delay_alu instid0(VALU_DEP_1) | instskip(SKIP_1) | instid1(VALU_DEP_1)
	v_mov_b32_e32 v125, v119
	v_pk_mul_f32 v[118:119], v[120:121], v[110:111] op_sel:[0,1]
	v_pk_fma_f32 v[122:123], v[120:121], v[108:109], v[118:119] op_sel:[0,0,1] op_sel_hi:[1,1,0] neg_lo:[0,0,1] neg_hi:[0,0,1]
	v_pk_fma_f32 v[118:119], v[120:121], v[108:109], v[118:119] op_sel:[0,0,1] op_sel_hi:[1,0,0]
	s_delay_alu instid0(VALU_DEP_1)
	v_mov_b32_e32 v123, v119
	ds_load_2addr_b64 v[118:121], v112 offset0:31 offset1:32
	v_pk_add_f32 v[68:69], v[68:69], v[124:125] neg_lo:[0,1] neg_hi:[0,1]
	v_pk_add_f32 v[48:49], v[48:49], v[122:123] neg_lo:[0,1] neg_hi:[0,1]
	s_wait_dscnt 0x0
	v_pk_mul_f32 v[122:123], v[118:119], v[110:111] op_sel:[0,1]
	s_delay_alu instid0(VALU_DEP_1) | instskip(SKIP_1) | instid1(VALU_DEP_1)
	v_pk_fma_f32 v[124:125], v[118:119], v[108:109], v[122:123] op_sel:[0,0,1] op_sel_hi:[1,1,0] neg_lo:[0,0,1] neg_hi:[0,0,1]
	v_pk_fma_f32 v[118:119], v[118:119], v[108:109], v[122:123] op_sel:[0,0,1] op_sel_hi:[1,0,0]
	v_mov_b32_e32 v125, v119
	v_pk_mul_f32 v[118:119], v[120:121], v[110:111] op_sel:[0,1]
	s_delay_alu instid0(VALU_DEP_1) | instskip(SKIP_1) | instid1(VALU_DEP_1)
	v_pk_fma_f32 v[122:123], v[120:121], v[108:109], v[118:119] op_sel:[0,0,1] op_sel_hi:[1,1,0] neg_lo:[0,0,1] neg_hi:[0,0,1]
	v_pk_fma_f32 v[118:119], v[120:121], v[108:109], v[118:119] op_sel:[0,0,1] op_sel_hi:[1,0,0]
	v_mov_b32_e32 v123, v119
	ds_load_2addr_b64 v[118:121], v112 offset0:33 offset1:34
	v_pk_add_f32 v[46:47], v[46:47], v[124:125] neg_lo:[0,1] neg_hi:[0,1]
	v_pk_add_f32 v[84:85], v[84:85], v[122:123] neg_lo:[0,1] neg_hi:[0,1]
	s_wait_dscnt 0x0
	v_dual_mul_f32 v122, v119, v111 :: v_dual_mul_f32 v124, v119, v108
	s_delay_alu instid0(VALU_DEP_1) | instskip(NEXT) | instid1(VALU_DEP_2)
	v_pk_fma_f32 v[122:123], v[118:119], v[24:25], v[122:123] op_sel_hi:[1,1,0] neg_lo:[0,0,1] neg_hi:[0,0,1]
	v_pk_fma_f32 v[118:119], v[118:119], v[24:25], v[124:125] op_sel:[1,0,0] op_sel_hi:[0,1,0]
	s_delay_alu instid0(VALU_DEP_1) | instskip(SKIP_1) | instid1(VALU_DEP_2)
	v_mov_b32_e32 v123, v119
	v_pk_mul_f32 v[118:119], v[120:121], v[110:111] op_sel:[0,1]
	v_pk_add_f32 v[82:83], v[82:83], v[122:123] neg_lo:[0,1] neg_hi:[0,1]
	s_delay_alu instid0(VALU_DEP_2) | instskip(SKIP_1) | instid1(VALU_DEP_1)
	v_pk_fma_f32 v[122:123], v[120:121], v[108:109], v[118:119] op_sel:[0,0,1] op_sel_hi:[1,1,0] neg_lo:[0,0,1] neg_hi:[0,0,1]
	v_pk_fma_f32 v[118:119], v[120:121], v[108:109], v[118:119] op_sel:[0,0,1] op_sel_hi:[1,0,0]
	v_mov_b32_e32 v123, v119
	ds_load_2addr_b64 v[118:121], v112 offset0:35 offset1:36
	v_pk_add_f32 v[56:57], v[56:57], v[122:123] neg_lo:[0,1] neg_hi:[0,1]
	s_wait_dscnt 0x0
	v_pk_mul_f32 v[122:123], v[118:119], v[110:111] op_sel:[0,1]
	s_delay_alu instid0(VALU_DEP_1) | instskip(SKIP_1) | instid1(VALU_DEP_1)
	v_pk_fma_f32 v[124:125], v[118:119], v[108:109], v[122:123] op_sel:[0,0,1] op_sel_hi:[1,1,0] neg_lo:[0,0,1] neg_hi:[0,0,1]
	v_pk_fma_f32 v[118:119], v[118:119], v[108:109], v[122:123] op_sel:[0,0,1] op_sel_hi:[1,0,0]
	v_mov_b32_e32 v125, v119
	v_pk_mul_f32 v[118:119], v[120:121], v[110:111] op_sel:[0,1]
	s_delay_alu instid0(VALU_DEP_2) | instskip(NEXT) | instid1(VALU_DEP_2)
	v_pk_add_f32 v[54:55], v[54:55], v[124:125] neg_lo:[0,1] neg_hi:[0,1]
	v_pk_fma_f32 v[122:123], v[120:121], v[108:109], v[118:119] op_sel:[0,0,1] op_sel_hi:[1,1,0] neg_lo:[0,0,1] neg_hi:[0,0,1]
	v_pk_fma_f32 v[118:119], v[120:121], v[108:109], v[118:119] op_sel:[0,0,1] op_sel_hi:[1,0,0]
	s_delay_alu instid0(VALU_DEP_1) | instskip(SKIP_4) | instid1(VALU_DEP_1)
	v_mov_b32_e32 v123, v119
	ds_load_2addr_b64 v[118:121], v112 offset0:37 offset1:38
	v_pk_add_f32 v[94:95], v[94:95], v[122:123] neg_lo:[0,1] neg_hi:[0,1]
	s_wait_dscnt 0x0
	v_pk_mul_f32 v[122:123], v[118:119], v[110:111] op_sel:[0,1]
	v_pk_fma_f32 v[124:125], v[118:119], v[108:109], v[122:123] op_sel:[0,0,1] op_sel_hi:[1,1,0] neg_lo:[0,0,1] neg_hi:[0,0,1]
	v_pk_fma_f32 v[118:119], v[118:119], v[108:109], v[122:123] op_sel:[0,0,1] op_sel_hi:[1,0,0]
	v_dual_mul_f32 v122, v121, v111 :: v_dual_mov_b32 v118, v121
	s_delay_alu instid0(VALU_DEP_2) | instskip(NEXT) | instid1(VALU_DEP_2)
	v_dual_mov_b32 v125, v119 :: v_dual_mov_b32 v119, v120
	v_pk_fma_f32 v[122:123], v[120:121], v[24:25], v[122:123] op_sel_hi:[1,1,0] neg_lo:[0,0,1] neg_hi:[0,0,1]
	v_mul_f32_e32 v120, v121, v108
	s_delay_alu instid0(VALU_DEP_3) | instskip(NEXT) | instid1(VALU_DEP_2)
	v_pk_add_f32 v[92:93], v[92:93], v[124:125] neg_lo:[0,1] neg_hi:[0,1]
	v_pk_fma_f32 v[118:119], v[118:119], v[24:25], v[120:121] op_sel_hi:[1,1,0]
	s_delay_alu instid0(VALU_DEP_1) | instskip(SKIP_4) | instid1(VALU_DEP_1)
	v_mov_b32_e32 v123, v119
	ds_load_2addr_b64 v[118:121], v112 offset0:39 offset1:40
	v_pk_add_f32 v[66:67], v[66:67], v[122:123] neg_lo:[0,1] neg_hi:[0,1]
	s_wait_dscnt 0x0
	v_pk_mul_f32 v[122:123], v[118:119], v[110:111] op_sel:[0,1]
	v_pk_fma_f32 v[124:125], v[118:119], v[108:109], v[122:123] op_sel:[0,0,1] op_sel_hi:[1,1,0] neg_lo:[0,0,1] neg_hi:[0,0,1]
	v_pk_fma_f32 v[118:119], v[118:119], v[108:109], v[122:123] op_sel:[0,0,1] op_sel_hi:[1,0,0]
	s_delay_alu instid0(VALU_DEP_1) | instskip(SKIP_1) | instid1(VALU_DEP_1)
	v_mov_b32_e32 v125, v119
	v_pk_mul_f32 v[118:119], v[120:121], v[110:111] op_sel:[0,1]
	v_pk_fma_f32 v[122:123], v[120:121], v[108:109], v[118:119] op_sel:[0,0,1] op_sel_hi:[1,1,0] neg_lo:[0,0,1] neg_hi:[0,0,1]
	v_pk_fma_f32 v[118:119], v[120:121], v[108:109], v[118:119] op_sel:[0,0,1] op_sel_hi:[1,0,0]
	s_delay_alu instid0(VALU_DEP_1)
	v_mov_b32_e32 v123, v119
	ds_load_2addr_b64 v[118:121], v112 offset0:41 offset1:42
	v_pk_add_f32 v[64:65], v[64:65], v[124:125] neg_lo:[0,1] neg_hi:[0,1]
	v_pk_add_f32 v[104:105], v[104:105], v[122:123] neg_lo:[0,1] neg_hi:[0,1]
	s_wait_dscnt 0x0
	v_pk_mul_f32 v[122:123], v[118:119], v[110:111] op_sel:[0,1]
	s_delay_alu instid0(VALU_DEP_1) | instskip(SKIP_1) | instid1(VALU_DEP_1)
	v_pk_fma_f32 v[124:125], v[118:119], v[108:109], v[122:123] op_sel:[0,0,1] op_sel_hi:[1,1,0] neg_lo:[0,0,1] neg_hi:[0,0,1]
	v_pk_fma_f32 v[118:119], v[118:119], v[108:109], v[122:123] op_sel:[0,0,1] op_sel_hi:[1,0,0]
	v_mov_b32_e32 v125, v119
	v_pk_mul_f32 v[118:119], v[120:121], v[110:111] op_sel:[0,1]
	s_delay_alu instid0(VALU_DEP_1) | instskip(SKIP_1) | instid1(VALU_DEP_1)
	v_pk_fma_f32 v[122:123], v[120:121], v[108:109], v[118:119] op_sel:[0,0,1] op_sel_hi:[1,1,0] neg_lo:[0,0,1] neg_hi:[0,0,1]
	v_pk_fma_f32 v[118:119], v[120:121], v[108:109], v[118:119] op_sel:[0,0,1] op_sel_hi:[1,0,0]
	v_mov_b32_e32 v123, v119
	ds_load_2addr_b64 v[118:121], v112 offset0:43 offset1:44
	v_pk_add_f32 v[102:103], v[102:103], v[124:125] neg_lo:[0,1] neg_hi:[0,1]
	v_pk_add_f32 v[76:77], v[76:77], v[122:123] neg_lo:[0,1] neg_hi:[0,1]
	s_wait_dscnt 0x0
	v_dual_mul_f32 v122, v119, v111 :: v_dual_mul_f32 v124, v119, v108
	s_delay_alu instid0(VALU_DEP_1) | instskip(NEXT) | instid1(VALU_DEP_2)
	v_pk_fma_f32 v[122:123], v[118:119], v[24:25], v[122:123] op_sel_hi:[1,1,0] neg_lo:[0,0,1] neg_hi:[0,0,1]
	v_pk_fma_f32 v[118:119], v[118:119], v[24:25], v[124:125] op_sel:[1,0,0] op_sel_hi:[0,1,0]
	s_delay_alu instid0(VALU_DEP_1) | instskip(SKIP_1) | instid1(VALU_DEP_2)
	v_mov_b32_e32 v123, v119
	v_pk_mul_f32 v[118:119], v[120:121], v[110:111] op_sel:[0,1]
	v_pk_add_f32 v[74:75], v[74:75], v[122:123] neg_lo:[0,1] neg_hi:[0,1]
	s_delay_alu instid0(VALU_DEP_2) | instskip(SKIP_1) | instid1(VALU_DEP_1)
	v_pk_fma_f32 v[122:123], v[120:121], v[108:109], v[118:119] op_sel:[0,0,1] op_sel_hi:[1,1,0] neg_lo:[0,0,1] neg_hi:[0,0,1]
	v_pk_fma_f32 v[118:119], v[120:121], v[108:109], v[118:119] op_sel:[0,0,1] op_sel_hi:[1,0,0]
	v_mov_b32_e32 v123, v119
	ds_load_2addr_b64 v[118:121], v112 offset0:45 offset1:46
	v_pk_add_f32 v[98:99], v[98:99], v[122:123] neg_lo:[0,1] neg_hi:[0,1]
	s_wait_dscnt 0x0
	v_pk_mul_f32 v[122:123], v[118:119], v[110:111] op_sel:[0,1]
	s_delay_alu instid0(VALU_DEP_1) | instskip(SKIP_1) | instid1(VALU_DEP_1)
	v_pk_fma_f32 v[124:125], v[118:119], v[108:109], v[122:123] op_sel:[0,0,1] op_sel_hi:[1,1,0] neg_lo:[0,0,1] neg_hi:[0,0,1]
	v_pk_fma_f32 v[118:119], v[118:119], v[108:109], v[122:123] op_sel:[0,0,1] op_sel_hi:[1,0,0]
	v_mov_b32_e32 v125, v119
	v_pk_mul_f32 v[118:119], v[120:121], v[110:111] op_sel:[0,1]
	s_delay_alu instid0(VALU_DEP_2) | instskip(NEXT) | instid1(VALU_DEP_2)
	v_pk_add_f32 v[96:97], v[96:97], v[124:125] neg_lo:[0,1] neg_hi:[0,1]
	v_pk_fma_f32 v[122:123], v[120:121], v[108:109], v[118:119] op_sel:[0,0,1] op_sel_hi:[1,1,0] neg_lo:[0,0,1] neg_hi:[0,0,1]
	v_pk_fma_f32 v[118:119], v[120:121], v[108:109], v[118:119] op_sel:[0,0,1] op_sel_hi:[1,0,0]
	s_delay_alu instid0(VALU_DEP_1) | instskip(SKIP_4) | instid1(VALU_DEP_1)
	v_mov_b32_e32 v123, v119
	ds_load_2addr_b64 v[118:121], v112 offset0:47 offset1:48
	v_pk_add_f32 v[80:81], v[80:81], v[122:123] neg_lo:[0,1] neg_hi:[0,1]
	s_wait_dscnt 0x0
	v_pk_mul_f32 v[122:123], v[118:119], v[110:111] op_sel:[0,1]
	v_pk_fma_f32 v[124:125], v[118:119], v[108:109], v[122:123] op_sel:[0,0,1] op_sel_hi:[1,1,0] neg_lo:[0,0,1] neg_hi:[0,0,1]
	v_pk_fma_f32 v[118:119], v[118:119], v[108:109], v[122:123] op_sel:[0,0,1] op_sel_hi:[1,0,0]
	v_dual_mul_f32 v122, v121, v111 :: v_dual_mov_b32 v118, v121
	s_delay_alu instid0(VALU_DEP_2) | instskip(NEXT) | instid1(VALU_DEP_2)
	v_dual_mov_b32 v125, v119 :: v_dual_mov_b32 v119, v120
	v_pk_fma_f32 v[122:123], v[120:121], v[24:25], v[122:123] op_sel_hi:[1,1,0] neg_lo:[0,0,1] neg_hi:[0,0,1]
	v_mul_f32_e32 v120, v121, v108
	s_delay_alu instid0(VALU_DEP_3) | instskip(NEXT) | instid1(VALU_DEP_2)
	v_pk_add_f32 v[78:79], v[78:79], v[124:125] neg_lo:[0,1] neg_hi:[0,1]
	v_pk_fma_f32 v[118:119], v[118:119], v[24:25], v[120:121] op_sel_hi:[1,1,0]
	s_delay_alu instid0(VALU_DEP_1)
	v_mov_b32_e32 v123, v119
	ds_load_2addr_b64 v[118:121], v112 offset0:49 offset1:50
	v_pk_add_f32 v[88:89], v[88:89], v[122:123] neg_lo:[0,1] neg_hi:[0,1]
	s_wait_dscnt 0x0
	v_pk_mul_f32 v[122:123], v[118:119], v[110:111] op_sel:[0,1]
	v_pk_mul_f32 v[110:111], v[120:121], v[110:111] op_sel:[0,1]
	s_delay_alu instid0(VALU_DEP_2) | instskip(SKIP_1) | instid1(VALU_DEP_1)
	v_pk_fma_f32 v[124:125], v[118:119], v[108:109], v[122:123] op_sel:[0,0,1] op_sel_hi:[1,1,0] neg_lo:[0,0,1] neg_hi:[0,0,1]
	v_pk_fma_f32 v[118:119], v[118:119], v[108:109], v[122:123] op_sel:[0,0,1] op_sel_hi:[1,0,0]
	v_mov_b32_e32 v125, v119
	s_delay_alu instid0(VALU_DEP_4) | instskip(SKIP_1) | instid1(VALU_DEP_1)
	v_pk_fma_f32 v[118:119], v[120:121], v[108:109], v[110:111] op_sel:[0,0,1] op_sel_hi:[1,1,0] neg_lo:[0,0,1] neg_hi:[0,0,1]
	v_pk_fma_f32 v[108:109], v[120:121], v[108:109], v[110:111] op_sel:[0,0,1] op_sel_hi:[1,0,0]
	v_mov_b32_e32 v119, v109
	s_delay_alu instid0(VALU_DEP_4) | instskip(NEXT) | instid1(VALU_DEP_2)
	v_pk_add_f32 v[86:87], v[86:87], v[124:125] neg_lo:[0,1] neg_hi:[0,1]
	v_pk_add_f32 v[106:107], v[106:107], v[118:119] neg_lo:[0,1] neg_hi:[0,1]
.LBB100_104:
	s_or_b32 exec_lo, exec_lo, s0
	v_lshl_add_u32 v108, v116, 3, v112
	s_barrier_signal -1
	s_barrier_wait -1
	ds_store_b64 v108, v[16:17]
	s_wait_dscnt 0x0
	s_barrier_signal -1
	s_barrier_wait -1
	ds_load_b64 v[110:111], v112 offset:40
	v_mov_b32_e32 v108, 5
	s_cmp_lt_i32 s18, 7
	s_cbranch_scc1 .LBB100_107
; %bb.105:
	v_add3_u32 v109, v113, 0, 48
	v_mov_b32_e32 v108, 5
	s_mov_b32 s0, 6
.LBB100_106:                            ; =>This Inner Loop Header: Depth=1
	ds_load_b64 v[118:119], v109
	s_wait_dscnt 0x1
	v_cmp_gt_f32_e32 vcc_lo, 0, v110
	v_cndmask_b32_e64 v120, v110, -v110, vcc_lo
	v_cmp_gt_f32_e32 vcc_lo, 0, v111
	v_cndmask_b32_e64 v122, v111, -v111, vcc_lo
	s_wait_dscnt 0x0
	v_cmp_gt_f32_e32 vcc_lo, 0, v118
	v_cndmask_b32_e64 v121, v118, -v118, vcc_lo
	v_cmp_gt_f32_e32 vcc_lo, 0, v119
	v_cndmask_b32_e64 v123, v119, -v119, vcc_lo
	s_delay_alu instid0(VALU_DEP_1) | instskip(NEXT) | instid1(VALU_DEP_1)
	v_pk_add_f32 v[120:121], v[120:121], v[122:123]
	v_cmp_lt_f32_e32 vcc_lo, v120, v121
	v_dual_add_nc_u32 v109, 8, v109 :: v_dual_cndmask_b32 v111, v111, v119, vcc_lo
	v_cndmask_b32_e32 v110, v110, v118, vcc_lo
	v_cndmask_b32_e64 v108, v108, s0, vcc_lo
	s_add_co_i32 s0, s0, 1
	s_delay_alu instid0(SALU_CYCLE_1)
	s_cmp_lg_u32 s18, s0
	s_cbranch_scc1 .LBB100_106
.LBB100_107:
	s_wait_dscnt 0x0
	v_cmp_eq_f32_e32 vcc_lo, 0, v110
	v_cmp_eq_f32_e64 s0, 0, v111
	s_and_b32 s0, vcc_lo, s0
	s_delay_alu instid0(SALU_CYCLE_1) | instskip(NEXT) | instid1(SALU_CYCLE_1)
	s_and_saveexec_b32 s1, s0
	s_xor_b32 s0, exec_lo, s1
; %bb.108:
	v_cmp_ne_u32_e32 vcc_lo, 0, v114
	v_cndmask_b32_e32 v114, 6, v114, vcc_lo
; %bb.109:
	s_and_not1_saveexec_b32 s0, s0
	s_cbranch_execz .LBB100_115
; %bb.110:
	v_cmp_ngt_f32_e64 s1, |v110|, |v111|
	s_and_saveexec_b32 s12, s1
	s_delay_alu instid0(SALU_CYCLE_1)
	s_xor_b32 s1, exec_lo, s12
	s_cbranch_execz .LBB100_112
; %bb.111:
	v_div_scale_f32 v109, null, v111, v111, v110
	v_div_scale_f32 v119, vcc_lo, v110, v111, v110
	s_delay_alu instid0(VALU_DEP_2) | instskip(SKIP_1) | instid1(TRANS32_DEP_1)
	v_rcp_f32_e32 v117, v109
	v_nop
	v_fma_f32 v118, -v109, v117, 1.0
	s_delay_alu instid0(VALU_DEP_1) | instskip(NEXT) | instid1(VALU_DEP_1)
	v_fmac_f32_e32 v117, v118, v117
	v_mul_f32_e32 v118, v119, v117
	s_delay_alu instid0(VALU_DEP_1) | instskip(NEXT) | instid1(VALU_DEP_1)
	v_fma_f32 v120, -v109, v118, v119
	v_fmac_f32_e32 v118, v120, v117
	s_delay_alu instid0(VALU_DEP_1) | instskip(NEXT) | instid1(VALU_DEP_1)
	v_fma_f32 v109, -v109, v118, v119
	v_div_fmas_f32 v109, v109, v117, v118
	s_delay_alu instid0(VALU_DEP_1) | instskip(NEXT) | instid1(VALU_DEP_1)
	v_div_fixup_f32 v109, v109, v111, v110
	v_fmac_f32_e32 v111, v110, v109
	s_delay_alu instid0(VALU_DEP_1) | instskip(SKIP_1) | instid1(VALU_DEP_2)
	v_div_scale_f32 v110, null, v111, v111, 1.0
	v_div_scale_f32 v119, vcc_lo, 1.0, v111, 1.0
	v_rcp_f32_e32 v117, v110
	v_nop
	s_delay_alu instid0(TRANS32_DEP_1) | instskip(NEXT) | instid1(VALU_DEP_1)
	v_fma_f32 v118, -v110, v117, 1.0
	v_fmac_f32_e32 v117, v118, v117
	s_delay_alu instid0(VALU_DEP_1) | instskip(NEXT) | instid1(VALU_DEP_1)
	v_mul_f32_e32 v118, v119, v117
	v_fma_f32 v120, -v110, v118, v119
	s_delay_alu instid0(VALU_DEP_1) | instskip(NEXT) | instid1(VALU_DEP_1)
	v_fmac_f32_e32 v118, v120, v117
	v_fma_f32 v110, -v110, v118, v119
	s_delay_alu instid0(VALU_DEP_1) | instskip(NEXT) | instid1(VALU_DEP_1)
	v_div_fmas_f32 v110, v110, v117, v118
	v_div_fixup_f32 v111, v110, v111, 1.0
	s_delay_alu instid0(VALU_DEP_1)
	v_mul_f32_e32 v110, v109, v111
	v_xor_b32_e32 v111, 0x80000000, v111
.LBB100_112:
	s_and_not1_saveexec_b32 s1, s1
	s_cbranch_execz .LBB100_114
; %bb.113:
	s_delay_alu instid0(VALU_DEP_1) | instskip(SKIP_1) | instid1(VALU_DEP_2)
	v_div_scale_f32 v109, null, v110, v110, v111
	v_div_scale_f32 v119, vcc_lo, v111, v110, v111
	v_rcp_f32_e32 v117, v109
	v_nop
	s_delay_alu instid0(TRANS32_DEP_1) | instskip(NEXT) | instid1(VALU_DEP_1)
	v_fma_f32 v118, -v109, v117, 1.0
	v_fmac_f32_e32 v117, v118, v117
	s_delay_alu instid0(VALU_DEP_1) | instskip(NEXT) | instid1(VALU_DEP_1)
	v_mul_f32_e32 v118, v119, v117
	v_fma_f32 v120, -v109, v118, v119
	s_delay_alu instid0(VALU_DEP_1) | instskip(NEXT) | instid1(VALU_DEP_1)
	v_fmac_f32_e32 v118, v120, v117
	v_fma_f32 v109, -v109, v118, v119
	s_delay_alu instid0(VALU_DEP_1) | instskip(NEXT) | instid1(VALU_DEP_1)
	v_div_fmas_f32 v109, v109, v117, v118
	v_div_fixup_f32 v109, v109, v110, v111
	s_delay_alu instid0(VALU_DEP_1) | instskip(NEXT) | instid1(VALU_DEP_1)
	v_fmac_f32_e32 v110, v111, v109
	v_div_scale_f32 v111, null, v110, v110, 1.0
	s_delay_alu instid0(VALU_DEP_1) | instskip(SKIP_1) | instid1(TRANS32_DEP_1)
	v_rcp_f32_e32 v117, v111
	v_nop
	v_fma_f32 v118, -v111, v117, 1.0
	s_delay_alu instid0(VALU_DEP_1) | instskip(SKIP_1) | instid1(VALU_DEP_1)
	v_fmac_f32_e32 v117, v118, v117
	v_div_scale_f32 v118, vcc_lo, 1.0, v110, 1.0
	v_mul_f32_e32 v119, v118, v117
	s_delay_alu instid0(VALU_DEP_1) | instskip(NEXT) | instid1(VALU_DEP_1)
	v_fma_f32 v120, -v111, v119, v118
	v_fmac_f32_e32 v119, v120, v117
	s_delay_alu instid0(VALU_DEP_1) | instskip(NEXT) | instid1(VALU_DEP_1)
	v_fma_f32 v111, -v111, v119, v118
	v_div_fmas_f32 v111, v111, v117, v119
	s_delay_alu instid0(VALU_DEP_1) | instskip(NEXT) | instid1(VALU_DEP_1)
	v_div_fixup_f32 v110, v111, v110, 1.0
	v_mul_f32_e64 v111, v109, -v110
.LBB100_114:
	s_or_b32 exec_lo, exec_lo, s1
.LBB100_115:
	s_delay_alu instid0(SALU_CYCLE_1) | instskip(NEXT) | instid1(SALU_CYCLE_1)
	s_or_b32 exec_lo, exec_lo, s0
	s_mov_b32 s0, exec_lo
	v_cmpx_ne_u32_e64 v116, v108
	s_xor_b32 s0, exec_lo, s0
	s_cbranch_execz .LBB100_121
; %bb.116:
	s_mov_b32 s1, exec_lo
	v_cmpx_eq_u32_e32 5, v116
	s_cbranch_execz .LBB100_120
; %bb.117:
	v_cmp_ne_u32_e32 vcc_lo, 5, v108
	s_xor_b32 s12, s16, -1
	s_delay_alu instid0(SALU_CYCLE_1) | instskip(NEXT) | instid1(SALU_CYCLE_1)
	s_and_b32 s13, s12, vcc_lo
	s_and_saveexec_b32 s12, s13
	s_cbranch_execz .LBB100_119
; %bb.118:
	v_ashrrev_i32_e32 v109, 31, v108
	s_delay_alu instid0(VALU_DEP_1)
	v_lshl_add_u64 v[116:117], v[108:109], 2, v[4:5]
	s_clause 0x1
	global_load_b32 v109, v[116:117], off
	global_load_b32 v115, v[4:5], off offset:20
	s_wait_loadcnt 0x1
	global_store_b32 v[4:5], v109, off offset:20
	s_wait_loadcnt 0x0
	global_store_b32 v[116:117], v115, off
.LBB100_119:
	s_wait_xcnt 0x0
	s_or_b32 exec_lo, exec_lo, s12
	v_dual_mov_b32 v116, v108 :: v_dual_mov_b32 v115, v108
.LBB100_120:
	s_or_b32 exec_lo, exec_lo, s1
.LBB100_121:
	s_and_not1_saveexec_b32 s0, s0
	s_cbranch_execz .LBB100_123
; %bb.122:
	v_dual_mov_b32 v108, v8 :: v_dual_mov_b32 v109, v9
	v_dual_mov_b32 v116, v6 :: v_dual_mov_b32 v117, v7
	ds_store_2addr_b64 v112, v[108:109], v[116:117] offset0:6 offset1:7
	v_dual_mov_b32 v108, v28 :: v_dual_mov_b32 v109, v29
	v_dual_mov_b32 v116, v26 :: v_dual_mov_b32 v117, v27
	ds_store_2addr_b64 v112, v[108:109], v[116:117] offset0:8 offset1:9
	;; [unrolled: 3-line block ×22, first 2 shown]
	ds_store_b64 v112, v[106:107] offset:400
	v_mov_b32_e32 v116, 5
.LBB100_123:
	s_or_b32 exec_lo, exec_lo, s0
	s_delay_alu instid0(SALU_CYCLE_1)
	s_mov_b32 s0, exec_lo
	s_wait_storecnt_dscnt 0x0
	s_barrier_signal -1
	s_barrier_wait -1
	v_cmpx_lt_i32_e32 5, v116
	s_cbranch_execz .LBB100_125
; %bb.124:
	v_pk_mul_f32 v[118:119], v[110:111], v[16:17] op_sel:[1,1] op_sel_hi:[0,1]
	s_delay_alu instid0(VALU_DEP_1)
	v_pk_fma_f32 v[108:109], v[110:111], v[16:17], v[118:119] op_sel_hi:[1,0,1] neg_lo:[0,0,1] neg_hi:[0,0,1]
	v_pk_fma_f32 v[110:111], v[110:111], v[16:17], v[118:119] op_sel_hi:[1,0,1]
	ds_load_2addr_b64 v[118:121], v112 offset0:6 offset1:7
	v_dual_mov_b32 v16, v108 :: v_dual_mov_b32 v17, v111
	s_wait_dscnt 0x0
	v_pk_mul_f32 v[122:123], v[118:119], v[110:111] op_sel:[0,1]
	s_delay_alu instid0(VALU_DEP_1) | instskip(SKIP_1) | instid1(VALU_DEP_1)
	v_pk_fma_f32 v[124:125], v[118:119], v[108:109], v[122:123] op_sel:[0,0,1] op_sel_hi:[1,1,0] neg_lo:[0,0,1] neg_hi:[0,0,1]
	v_pk_fma_f32 v[118:119], v[118:119], v[108:109], v[122:123] op_sel:[0,0,1] op_sel_hi:[1,0,0]
	v_mov_b32_e32 v125, v119
	v_pk_mul_f32 v[118:119], v[120:121], v[110:111] op_sel:[0,1]
	s_delay_alu instid0(VALU_DEP_1) | instskip(SKIP_1) | instid1(VALU_DEP_1)
	v_pk_fma_f32 v[122:123], v[120:121], v[108:109], v[118:119] op_sel:[0,0,1] op_sel_hi:[1,1,0] neg_lo:[0,0,1] neg_hi:[0,0,1]
	v_pk_fma_f32 v[118:119], v[120:121], v[108:109], v[118:119] op_sel:[0,0,1] op_sel_hi:[1,0,0]
	v_mov_b32_e32 v123, v119
	ds_load_2addr_b64 v[118:121], v112 offset0:8 offset1:9
	v_pk_add_f32 v[8:9], v[8:9], v[124:125] neg_lo:[0,1] neg_hi:[0,1]
	v_pk_add_f32 v[6:7], v[6:7], v[122:123] neg_lo:[0,1] neg_hi:[0,1]
	s_wait_dscnt 0x0
	v_pk_mul_f32 v[122:123], v[118:119], v[110:111] op_sel:[0,1]
	s_delay_alu instid0(VALU_DEP_1) | instskip(SKIP_2) | instid1(VALU_DEP_2)
	v_pk_fma_f32 v[124:125], v[118:119], v[108:109], v[122:123] op_sel:[0,0,1] op_sel_hi:[1,1,0] neg_lo:[0,0,1] neg_hi:[0,0,1]
	v_pk_fma_f32 v[118:119], v[118:119], v[108:109], v[122:123] op_sel:[0,0,1] op_sel_hi:[1,0,0]
	v_dual_mul_f32 v122, v121, v111 :: v_dual_mov_b32 v118, v121
	v_dual_mov_b32 v125, v119 :: v_dual_mov_b32 v119, v120
	s_delay_alu instid0(VALU_DEP_2) | instskip(SKIP_1) | instid1(VALU_DEP_3)
	v_pk_fma_f32 v[122:123], v[120:121], v[16:17], v[122:123] op_sel_hi:[1,1,0] neg_lo:[0,0,1] neg_hi:[0,0,1]
	v_mul_f32_e32 v120, v121, v108
	v_pk_add_f32 v[28:29], v[28:29], v[124:125] neg_lo:[0,1] neg_hi:[0,1]
	s_delay_alu instid0(VALU_DEP_2) | instskip(NEXT) | instid1(VALU_DEP_1)
	v_pk_fma_f32 v[118:119], v[118:119], v[16:17], v[120:121] op_sel_hi:[1,1,0]
	v_mov_b32_e32 v123, v119
	ds_load_2addr_b64 v[118:121], v112 offset0:10 offset1:11
	v_pk_add_f32 v[26:27], v[26:27], v[122:123] neg_lo:[0,1] neg_hi:[0,1]
	s_wait_dscnt 0x0
	v_pk_mul_f32 v[122:123], v[118:119], v[110:111] op_sel:[0,1]
	s_delay_alu instid0(VALU_DEP_1) | instskip(SKIP_1) | instid1(VALU_DEP_1)
	v_pk_fma_f32 v[124:125], v[118:119], v[108:109], v[122:123] op_sel:[0,0,1] op_sel_hi:[1,1,0] neg_lo:[0,0,1] neg_hi:[0,0,1]
	v_pk_fma_f32 v[118:119], v[118:119], v[108:109], v[122:123] op_sel:[0,0,1] op_sel_hi:[1,0,0]
	v_mov_b32_e32 v125, v119
	v_pk_mul_f32 v[118:119], v[120:121], v[110:111] op_sel:[0,1]
	s_delay_alu instid0(VALU_DEP_1) | instskip(SKIP_1) | instid1(VALU_DEP_1)
	v_pk_fma_f32 v[122:123], v[120:121], v[108:109], v[118:119] op_sel:[0,0,1] op_sel_hi:[1,1,0] neg_lo:[0,0,1] neg_hi:[0,0,1]
	v_pk_fma_f32 v[118:119], v[120:121], v[108:109], v[118:119] op_sel:[0,0,1] op_sel_hi:[1,0,0]
	v_mov_b32_e32 v123, v119
	ds_load_2addr_b64 v[118:121], v112 offset0:12 offset1:13
	v_pk_add_f32 v[12:13], v[12:13], v[124:125] neg_lo:[0,1] neg_hi:[0,1]
	v_pk_add_f32 v[10:11], v[10:11], v[122:123] neg_lo:[0,1] neg_hi:[0,1]
	s_wait_dscnt 0x0
	v_pk_mul_f32 v[122:123], v[118:119], v[110:111] op_sel:[0,1]
	s_delay_alu instid0(VALU_DEP_1) | instskip(SKIP_1) | instid1(VALU_DEP_1)
	v_pk_fma_f32 v[124:125], v[118:119], v[108:109], v[122:123] op_sel:[0,0,1] op_sel_hi:[1,1,0] neg_lo:[0,0,1] neg_hi:[0,0,1]
	v_pk_fma_f32 v[118:119], v[118:119], v[108:109], v[122:123] op_sel:[0,0,1] op_sel_hi:[1,0,0]
	v_mov_b32_e32 v125, v119
	v_pk_mul_f32 v[118:119], v[120:121], v[110:111] op_sel:[0,1]
	s_delay_alu instid0(VALU_DEP_1) | instskip(SKIP_1) | instid1(VALU_DEP_1)
	v_pk_fma_f32 v[122:123], v[120:121], v[108:109], v[118:119] op_sel:[0,0,1] op_sel_hi:[1,1,0] neg_lo:[0,0,1] neg_hi:[0,0,1]
	v_pk_fma_f32 v[118:119], v[120:121], v[108:109], v[118:119] op_sel:[0,0,1] op_sel_hi:[1,0,0]
	v_mov_b32_e32 v123, v119
	ds_load_2addr_b64 v[118:121], v112 offset0:14 offset1:15
	v_pk_add_f32 v[36:37], v[36:37], v[124:125] neg_lo:[0,1] neg_hi:[0,1]
	v_pk_add_f32 v[34:35], v[34:35], v[122:123] neg_lo:[0,1] neg_hi:[0,1]
	s_wait_dscnt 0x0
	v_dual_mul_f32 v122, v119, v111 :: v_dual_mul_f32 v124, v119, v108
	s_delay_alu instid0(VALU_DEP_1) | instskip(NEXT) | instid1(VALU_DEP_2)
	v_pk_fma_f32 v[122:123], v[118:119], v[16:17], v[122:123] op_sel_hi:[1,1,0] neg_lo:[0,0,1] neg_hi:[0,0,1]
	v_pk_fma_f32 v[118:119], v[118:119], v[16:17], v[124:125] op_sel:[1,0,0] op_sel_hi:[0,1,0]
	s_delay_alu instid0(VALU_DEP_1) | instskip(SKIP_1) | instid1(VALU_DEP_2)
	v_mov_b32_e32 v123, v119
	v_pk_mul_f32 v[118:119], v[120:121], v[110:111] op_sel:[0,1]
	v_pk_add_f32 v[18:19], v[18:19], v[122:123] neg_lo:[0,1] neg_hi:[0,1]
	s_delay_alu instid0(VALU_DEP_2) | instskip(SKIP_1) | instid1(VALU_DEP_1)
	v_pk_fma_f32 v[122:123], v[120:121], v[108:109], v[118:119] op_sel:[0,0,1] op_sel_hi:[1,1,0] neg_lo:[0,0,1] neg_hi:[0,0,1]
	v_pk_fma_f32 v[118:119], v[120:121], v[108:109], v[118:119] op_sel:[0,0,1] op_sel_hi:[1,0,0]
	v_mov_b32_e32 v123, v119
	ds_load_2addr_b64 v[118:121], v112 offset0:16 offset1:17
	v_pk_add_f32 v[14:15], v[14:15], v[122:123] neg_lo:[0,1] neg_hi:[0,1]
	s_wait_dscnt 0x0
	v_pk_mul_f32 v[122:123], v[118:119], v[110:111] op_sel:[0,1]
	s_delay_alu instid0(VALU_DEP_1) | instskip(SKIP_1) | instid1(VALU_DEP_1)
	v_pk_fma_f32 v[124:125], v[118:119], v[108:109], v[122:123] op_sel:[0,0,1] op_sel_hi:[1,1,0] neg_lo:[0,0,1] neg_hi:[0,0,1]
	v_pk_fma_f32 v[118:119], v[118:119], v[108:109], v[122:123] op_sel:[0,0,1] op_sel_hi:[1,0,0]
	v_mov_b32_e32 v125, v119
	v_pk_mul_f32 v[118:119], v[120:121], v[110:111] op_sel:[0,1]
	s_delay_alu instid0(VALU_DEP_2) | instskip(NEXT) | instid1(VALU_DEP_2)
	v_pk_add_f32 v[44:45], v[44:45], v[124:125] neg_lo:[0,1] neg_hi:[0,1]
	v_pk_fma_f32 v[122:123], v[120:121], v[108:109], v[118:119] op_sel:[0,0,1] op_sel_hi:[1,1,0] neg_lo:[0,0,1] neg_hi:[0,0,1]
	v_pk_fma_f32 v[118:119], v[120:121], v[108:109], v[118:119] op_sel:[0,0,1] op_sel_hi:[1,0,0]
	s_delay_alu instid0(VALU_DEP_1) | instskip(SKIP_4) | instid1(VALU_DEP_1)
	v_mov_b32_e32 v123, v119
	ds_load_2addr_b64 v[118:121], v112 offset0:18 offset1:19
	v_pk_add_f32 v[42:43], v[42:43], v[122:123] neg_lo:[0,1] neg_hi:[0,1]
	s_wait_dscnt 0x0
	v_pk_mul_f32 v[122:123], v[118:119], v[110:111] op_sel:[0,1]
	v_pk_fma_f32 v[124:125], v[118:119], v[108:109], v[122:123] op_sel:[0,0,1] op_sel_hi:[1,1,0] neg_lo:[0,0,1] neg_hi:[0,0,1]
	v_pk_fma_f32 v[118:119], v[118:119], v[108:109], v[122:123] op_sel:[0,0,1] op_sel_hi:[1,0,0]
	v_dual_mul_f32 v122, v121, v111 :: v_dual_mov_b32 v118, v121
	s_delay_alu instid0(VALU_DEP_2) | instskip(NEXT) | instid1(VALU_DEP_2)
	v_dual_mov_b32 v125, v119 :: v_dual_mov_b32 v119, v120
	v_pk_fma_f32 v[122:123], v[120:121], v[16:17], v[122:123] op_sel_hi:[1,1,0] neg_lo:[0,0,1] neg_hi:[0,0,1]
	v_mul_f32_e32 v120, v121, v108
	s_delay_alu instid0(VALU_DEP_3) | instskip(NEXT) | instid1(VALU_DEP_2)
	v_pk_add_f32 v[22:23], v[22:23], v[124:125] neg_lo:[0,1] neg_hi:[0,1]
	v_pk_fma_f32 v[118:119], v[118:119], v[16:17], v[120:121] op_sel_hi:[1,1,0]
	s_delay_alu instid0(VALU_DEP_1) | instskip(SKIP_4) | instid1(VALU_DEP_1)
	v_mov_b32_e32 v123, v119
	ds_load_2addr_b64 v[118:121], v112 offset0:20 offset1:21
	v_pk_add_f32 v[20:21], v[20:21], v[122:123] neg_lo:[0,1] neg_hi:[0,1]
	s_wait_dscnt 0x0
	v_pk_mul_f32 v[122:123], v[118:119], v[110:111] op_sel:[0,1]
	v_pk_fma_f32 v[124:125], v[118:119], v[108:109], v[122:123] op_sel:[0,0,1] op_sel_hi:[1,1,0] neg_lo:[0,0,1] neg_hi:[0,0,1]
	v_pk_fma_f32 v[118:119], v[118:119], v[108:109], v[122:123] op_sel:[0,0,1] op_sel_hi:[1,0,0]
	s_delay_alu instid0(VALU_DEP_1) | instskip(SKIP_1) | instid1(VALU_DEP_1)
	v_mov_b32_e32 v125, v119
	v_pk_mul_f32 v[118:119], v[120:121], v[110:111] op_sel:[0,1]
	v_pk_fma_f32 v[122:123], v[120:121], v[108:109], v[118:119] op_sel:[0,0,1] op_sel_hi:[1,1,0] neg_lo:[0,0,1] neg_hi:[0,0,1]
	v_pk_fma_f32 v[118:119], v[120:121], v[108:109], v[118:119] op_sel:[0,0,1] op_sel_hi:[1,0,0]
	s_delay_alu instid0(VALU_DEP_1)
	v_mov_b32_e32 v123, v119
	ds_load_2addr_b64 v[118:121], v112 offset0:22 offset1:23
	v_pk_add_f32 v[52:53], v[52:53], v[124:125] neg_lo:[0,1] neg_hi:[0,1]
	v_pk_add_f32 v[50:51], v[50:51], v[122:123] neg_lo:[0,1] neg_hi:[0,1]
	s_wait_dscnt 0x0
	v_pk_mul_f32 v[122:123], v[118:119], v[110:111] op_sel:[0,1]
	s_delay_alu instid0(VALU_DEP_1) | instskip(SKIP_1) | instid1(VALU_DEP_1)
	v_pk_fma_f32 v[124:125], v[118:119], v[108:109], v[122:123] op_sel:[0,0,1] op_sel_hi:[1,1,0] neg_lo:[0,0,1] neg_hi:[0,0,1]
	v_pk_fma_f32 v[118:119], v[118:119], v[108:109], v[122:123] op_sel:[0,0,1] op_sel_hi:[1,0,0]
	v_mov_b32_e32 v125, v119
	v_pk_mul_f32 v[118:119], v[120:121], v[110:111] op_sel:[0,1]
	s_delay_alu instid0(VALU_DEP_1) | instskip(SKIP_1) | instid1(VALU_DEP_1)
	v_pk_fma_f32 v[122:123], v[120:121], v[108:109], v[118:119] op_sel:[0,0,1] op_sel_hi:[1,1,0] neg_lo:[0,0,1] neg_hi:[0,0,1]
	v_pk_fma_f32 v[118:119], v[120:121], v[108:109], v[118:119] op_sel:[0,0,1] op_sel_hi:[1,0,0]
	v_mov_b32_e32 v123, v119
	ds_load_2addr_b64 v[118:121], v112 offset0:24 offset1:25
	v_pk_add_f32 v[32:33], v[32:33], v[124:125] neg_lo:[0,1] neg_hi:[0,1]
	v_pk_add_f32 v[30:31], v[30:31], v[122:123] neg_lo:[0,1] neg_hi:[0,1]
	s_wait_dscnt 0x0
	v_dual_mul_f32 v122, v119, v111 :: v_dual_mul_f32 v124, v119, v108
	s_delay_alu instid0(VALU_DEP_1) | instskip(NEXT) | instid1(VALU_DEP_2)
	v_pk_fma_f32 v[122:123], v[118:119], v[16:17], v[122:123] op_sel_hi:[1,1,0] neg_lo:[0,0,1] neg_hi:[0,0,1]
	v_pk_fma_f32 v[118:119], v[118:119], v[16:17], v[124:125] op_sel:[1,0,0] op_sel_hi:[0,1,0]
	s_delay_alu instid0(VALU_DEP_1) | instskip(SKIP_1) | instid1(VALU_DEP_2)
	v_mov_b32_e32 v123, v119
	v_pk_mul_f32 v[118:119], v[120:121], v[110:111] op_sel:[0,1]
	v_pk_add_f32 v[62:63], v[62:63], v[122:123] neg_lo:[0,1] neg_hi:[0,1]
	s_delay_alu instid0(VALU_DEP_2) | instskip(SKIP_1) | instid1(VALU_DEP_1)
	v_pk_fma_f32 v[122:123], v[120:121], v[108:109], v[118:119] op_sel:[0,0,1] op_sel_hi:[1,1,0] neg_lo:[0,0,1] neg_hi:[0,0,1]
	v_pk_fma_f32 v[118:119], v[120:121], v[108:109], v[118:119] op_sel:[0,0,1] op_sel_hi:[1,0,0]
	v_mov_b32_e32 v123, v119
	ds_load_2addr_b64 v[118:121], v112 offset0:26 offset1:27
	v_pk_add_f32 v[60:61], v[60:61], v[122:123] neg_lo:[0,1] neg_hi:[0,1]
	s_wait_dscnt 0x0
	v_pk_mul_f32 v[122:123], v[118:119], v[110:111] op_sel:[0,1]
	s_delay_alu instid0(VALU_DEP_1) | instskip(SKIP_1) | instid1(VALU_DEP_1)
	v_pk_fma_f32 v[124:125], v[118:119], v[108:109], v[122:123] op_sel:[0,0,1] op_sel_hi:[1,1,0] neg_lo:[0,0,1] neg_hi:[0,0,1]
	v_pk_fma_f32 v[118:119], v[118:119], v[108:109], v[122:123] op_sel:[0,0,1] op_sel_hi:[1,0,0]
	v_mov_b32_e32 v125, v119
	v_pk_mul_f32 v[118:119], v[120:121], v[110:111] op_sel:[0,1]
	s_delay_alu instid0(VALU_DEP_2) | instskip(NEXT) | instid1(VALU_DEP_2)
	v_pk_add_f32 v[40:41], v[40:41], v[124:125] neg_lo:[0,1] neg_hi:[0,1]
	v_pk_fma_f32 v[122:123], v[120:121], v[108:109], v[118:119] op_sel:[0,0,1] op_sel_hi:[1,1,0] neg_lo:[0,0,1] neg_hi:[0,0,1]
	v_pk_fma_f32 v[118:119], v[120:121], v[108:109], v[118:119] op_sel:[0,0,1] op_sel_hi:[1,0,0]
	s_delay_alu instid0(VALU_DEP_1) | instskip(SKIP_4) | instid1(VALU_DEP_1)
	v_mov_b32_e32 v123, v119
	ds_load_2addr_b64 v[118:121], v112 offset0:28 offset1:29
	v_pk_add_f32 v[38:39], v[38:39], v[122:123] neg_lo:[0,1] neg_hi:[0,1]
	s_wait_dscnt 0x0
	v_pk_mul_f32 v[122:123], v[118:119], v[110:111] op_sel:[0,1]
	v_pk_fma_f32 v[124:125], v[118:119], v[108:109], v[122:123] op_sel:[0,0,1] op_sel_hi:[1,1,0] neg_lo:[0,0,1] neg_hi:[0,0,1]
	v_pk_fma_f32 v[118:119], v[118:119], v[108:109], v[122:123] op_sel:[0,0,1] op_sel_hi:[1,0,0]
	v_dual_mul_f32 v122, v121, v111 :: v_dual_mov_b32 v118, v121
	s_delay_alu instid0(VALU_DEP_2) | instskip(NEXT) | instid1(VALU_DEP_2)
	v_dual_mov_b32 v125, v119 :: v_dual_mov_b32 v119, v120
	v_pk_fma_f32 v[122:123], v[120:121], v[16:17], v[122:123] op_sel_hi:[1,1,0] neg_lo:[0,0,1] neg_hi:[0,0,1]
	v_mul_f32_e32 v120, v121, v108
	s_delay_alu instid0(VALU_DEP_3) | instskip(NEXT) | instid1(VALU_DEP_2)
	v_pk_add_f32 v[70:71], v[70:71], v[124:125] neg_lo:[0,1] neg_hi:[0,1]
	v_pk_fma_f32 v[118:119], v[118:119], v[16:17], v[120:121] op_sel_hi:[1,1,0]
	s_delay_alu instid0(VALU_DEP_1) | instskip(SKIP_4) | instid1(VALU_DEP_1)
	v_mov_b32_e32 v123, v119
	ds_load_2addr_b64 v[118:121], v112 offset0:30 offset1:31
	v_pk_add_f32 v[68:69], v[68:69], v[122:123] neg_lo:[0,1] neg_hi:[0,1]
	s_wait_dscnt 0x0
	v_pk_mul_f32 v[122:123], v[118:119], v[110:111] op_sel:[0,1]
	v_pk_fma_f32 v[124:125], v[118:119], v[108:109], v[122:123] op_sel:[0,0,1] op_sel_hi:[1,1,0] neg_lo:[0,0,1] neg_hi:[0,0,1]
	v_pk_fma_f32 v[118:119], v[118:119], v[108:109], v[122:123] op_sel:[0,0,1] op_sel_hi:[1,0,0]
	s_delay_alu instid0(VALU_DEP_1) | instskip(SKIP_1) | instid1(VALU_DEP_1)
	v_mov_b32_e32 v125, v119
	v_pk_mul_f32 v[118:119], v[120:121], v[110:111] op_sel:[0,1]
	v_pk_fma_f32 v[122:123], v[120:121], v[108:109], v[118:119] op_sel:[0,0,1] op_sel_hi:[1,1,0] neg_lo:[0,0,1] neg_hi:[0,0,1]
	v_pk_fma_f32 v[118:119], v[120:121], v[108:109], v[118:119] op_sel:[0,0,1] op_sel_hi:[1,0,0]
	s_delay_alu instid0(VALU_DEP_1)
	v_mov_b32_e32 v123, v119
	ds_load_2addr_b64 v[118:121], v112 offset0:32 offset1:33
	v_pk_add_f32 v[48:49], v[48:49], v[124:125] neg_lo:[0,1] neg_hi:[0,1]
	v_pk_add_f32 v[46:47], v[46:47], v[122:123] neg_lo:[0,1] neg_hi:[0,1]
	s_wait_dscnt 0x0
	v_pk_mul_f32 v[122:123], v[118:119], v[110:111] op_sel:[0,1]
	s_delay_alu instid0(VALU_DEP_1) | instskip(SKIP_1) | instid1(VALU_DEP_1)
	v_pk_fma_f32 v[124:125], v[118:119], v[108:109], v[122:123] op_sel:[0,0,1] op_sel_hi:[1,1,0] neg_lo:[0,0,1] neg_hi:[0,0,1]
	v_pk_fma_f32 v[118:119], v[118:119], v[108:109], v[122:123] op_sel:[0,0,1] op_sel_hi:[1,0,0]
	v_mov_b32_e32 v125, v119
	v_pk_mul_f32 v[118:119], v[120:121], v[110:111] op_sel:[0,1]
	s_delay_alu instid0(VALU_DEP_1) | instskip(SKIP_1) | instid1(VALU_DEP_1)
	v_pk_fma_f32 v[122:123], v[120:121], v[108:109], v[118:119] op_sel:[0,0,1] op_sel_hi:[1,1,0] neg_lo:[0,0,1] neg_hi:[0,0,1]
	v_pk_fma_f32 v[118:119], v[120:121], v[108:109], v[118:119] op_sel:[0,0,1] op_sel_hi:[1,0,0]
	v_mov_b32_e32 v123, v119
	ds_load_2addr_b64 v[118:121], v112 offset0:34 offset1:35
	v_pk_add_f32 v[84:85], v[84:85], v[124:125] neg_lo:[0,1] neg_hi:[0,1]
	v_pk_add_f32 v[82:83], v[82:83], v[122:123] neg_lo:[0,1] neg_hi:[0,1]
	s_wait_dscnt 0x0
	v_dual_mul_f32 v122, v119, v111 :: v_dual_mul_f32 v124, v119, v108
	s_delay_alu instid0(VALU_DEP_1) | instskip(NEXT) | instid1(VALU_DEP_2)
	v_pk_fma_f32 v[122:123], v[118:119], v[16:17], v[122:123] op_sel_hi:[1,1,0] neg_lo:[0,0,1] neg_hi:[0,0,1]
	v_pk_fma_f32 v[118:119], v[118:119], v[16:17], v[124:125] op_sel:[1,0,0] op_sel_hi:[0,1,0]
	s_delay_alu instid0(VALU_DEP_1) | instskip(SKIP_1) | instid1(VALU_DEP_2)
	v_mov_b32_e32 v123, v119
	v_pk_mul_f32 v[118:119], v[120:121], v[110:111] op_sel:[0,1]
	v_pk_add_f32 v[56:57], v[56:57], v[122:123] neg_lo:[0,1] neg_hi:[0,1]
	s_delay_alu instid0(VALU_DEP_2) | instskip(SKIP_1) | instid1(VALU_DEP_1)
	v_pk_fma_f32 v[122:123], v[120:121], v[108:109], v[118:119] op_sel:[0,0,1] op_sel_hi:[1,1,0] neg_lo:[0,0,1] neg_hi:[0,0,1]
	v_pk_fma_f32 v[118:119], v[120:121], v[108:109], v[118:119] op_sel:[0,0,1] op_sel_hi:[1,0,0]
	v_mov_b32_e32 v123, v119
	ds_load_2addr_b64 v[118:121], v112 offset0:36 offset1:37
	v_pk_add_f32 v[54:55], v[54:55], v[122:123] neg_lo:[0,1] neg_hi:[0,1]
	s_wait_dscnt 0x0
	v_pk_mul_f32 v[122:123], v[118:119], v[110:111] op_sel:[0,1]
	s_delay_alu instid0(VALU_DEP_1) | instskip(SKIP_1) | instid1(VALU_DEP_1)
	v_pk_fma_f32 v[124:125], v[118:119], v[108:109], v[122:123] op_sel:[0,0,1] op_sel_hi:[1,1,0] neg_lo:[0,0,1] neg_hi:[0,0,1]
	v_pk_fma_f32 v[118:119], v[118:119], v[108:109], v[122:123] op_sel:[0,0,1] op_sel_hi:[1,0,0]
	v_mov_b32_e32 v125, v119
	v_pk_mul_f32 v[118:119], v[120:121], v[110:111] op_sel:[0,1]
	s_delay_alu instid0(VALU_DEP_2) | instskip(NEXT) | instid1(VALU_DEP_2)
	v_pk_add_f32 v[94:95], v[94:95], v[124:125] neg_lo:[0,1] neg_hi:[0,1]
	v_pk_fma_f32 v[122:123], v[120:121], v[108:109], v[118:119] op_sel:[0,0,1] op_sel_hi:[1,1,0] neg_lo:[0,0,1] neg_hi:[0,0,1]
	v_pk_fma_f32 v[118:119], v[120:121], v[108:109], v[118:119] op_sel:[0,0,1] op_sel_hi:[1,0,0]
	s_delay_alu instid0(VALU_DEP_1) | instskip(SKIP_4) | instid1(VALU_DEP_1)
	v_mov_b32_e32 v123, v119
	ds_load_2addr_b64 v[118:121], v112 offset0:38 offset1:39
	v_pk_add_f32 v[92:93], v[92:93], v[122:123] neg_lo:[0,1] neg_hi:[0,1]
	s_wait_dscnt 0x0
	v_pk_mul_f32 v[122:123], v[118:119], v[110:111] op_sel:[0,1]
	v_pk_fma_f32 v[124:125], v[118:119], v[108:109], v[122:123] op_sel:[0,0,1] op_sel_hi:[1,1,0] neg_lo:[0,0,1] neg_hi:[0,0,1]
	v_pk_fma_f32 v[118:119], v[118:119], v[108:109], v[122:123] op_sel:[0,0,1] op_sel_hi:[1,0,0]
	v_dual_mul_f32 v122, v121, v111 :: v_dual_mov_b32 v118, v121
	s_delay_alu instid0(VALU_DEP_2) | instskip(NEXT) | instid1(VALU_DEP_2)
	v_dual_mov_b32 v125, v119 :: v_dual_mov_b32 v119, v120
	v_pk_fma_f32 v[122:123], v[120:121], v[16:17], v[122:123] op_sel_hi:[1,1,0] neg_lo:[0,0,1] neg_hi:[0,0,1]
	v_mul_f32_e32 v120, v121, v108
	s_delay_alu instid0(VALU_DEP_3) | instskip(NEXT) | instid1(VALU_DEP_2)
	v_pk_add_f32 v[66:67], v[66:67], v[124:125] neg_lo:[0,1] neg_hi:[0,1]
	v_pk_fma_f32 v[118:119], v[118:119], v[16:17], v[120:121] op_sel_hi:[1,1,0]
	s_delay_alu instid0(VALU_DEP_1) | instskip(SKIP_4) | instid1(VALU_DEP_1)
	v_mov_b32_e32 v123, v119
	ds_load_2addr_b64 v[118:121], v112 offset0:40 offset1:41
	v_pk_add_f32 v[64:65], v[64:65], v[122:123] neg_lo:[0,1] neg_hi:[0,1]
	s_wait_dscnt 0x0
	v_pk_mul_f32 v[122:123], v[118:119], v[110:111] op_sel:[0,1]
	v_pk_fma_f32 v[124:125], v[118:119], v[108:109], v[122:123] op_sel:[0,0,1] op_sel_hi:[1,1,0] neg_lo:[0,0,1] neg_hi:[0,0,1]
	v_pk_fma_f32 v[118:119], v[118:119], v[108:109], v[122:123] op_sel:[0,0,1] op_sel_hi:[1,0,0]
	s_delay_alu instid0(VALU_DEP_1) | instskip(SKIP_1) | instid1(VALU_DEP_1)
	v_mov_b32_e32 v125, v119
	v_pk_mul_f32 v[118:119], v[120:121], v[110:111] op_sel:[0,1]
	v_pk_fma_f32 v[122:123], v[120:121], v[108:109], v[118:119] op_sel:[0,0,1] op_sel_hi:[1,1,0] neg_lo:[0,0,1] neg_hi:[0,0,1]
	v_pk_fma_f32 v[118:119], v[120:121], v[108:109], v[118:119] op_sel:[0,0,1] op_sel_hi:[1,0,0]
	s_delay_alu instid0(VALU_DEP_1)
	v_mov_b32_e32 v123, v119
	ds_load_2addr_b64 v[118:121], v112 offset0:42 offset1:43
	v_pk_add_f32 v[104:105], v[104:105], v[124:125] neg_lo:[0,1] neg_hi:[0,1]
	v_pk_add_f32 v[102:103], v[102:103], v[122:123] neg_lo:[0,1] neg_hi:[0,1]
	s_wait_dscnt 0x0
	v_pk_mul_f32 v[122:123], v[118:119], v[110:111] op_sel:[0,1]
	s_delay_alu instid0(VALU_DEP_1) | instskip(SKIP_1) | instid1(VALU_DEP_1)
	v_pk_fma_f32 v[124:125], v[118:119], v[108:109], v[122:123] op_sel:[0,0,1] op_sel_hi:[1,1,0] neg_lo:[0,0,1] neg_hi:[0,0,1]
	v_pk_fma_f32 v[118:119], v[118:119], v[108:109], v[122:123] op_sel:[0,0,1] op_sel_hi:[1,0,0]
	v_mov_b32_e32 v125, v119
	v_pk_mul_f32 v[118:119], v[120:121], v[110:111] op_sel:[0,1]
	s_delay_alu instid0(VALU_DEP_1) | instskip(SKIP_1) | instid1(VALU_DEP_1)
	v_pk_fma_f32 v[122:123], v[120:121], v[108:109], v[118:119] op_sel:[0,0,1] op_sel_hi:[1,1,0] neg_lo:[0,0,1] neg_hi:[0,0,1]
	v_pk_fma_f32 v[118:119], v[120:121], v[108:109], v[118:119] op_sel:[0,0,1] op_sel_hi:[1,0,0]
	v_mov_b32_e32 v123, v119
	ds_load_2addr_b64 v[118:121], v112 offset0:44 offset1:45
	v_pk_add_f32 v[76:77], v[76:77], v[124:125] neg_lo:[0,1] neg_hi:[0,1]
	v_pk_add_f32 v[74:75], v[74:75], v[122:123] neg_lo:[0,1] neg_hi:[0,1]
	s_wait_dscnt 0x0
	v_dual_mul_f32 v122, v119, v111 :: v_dual_mul_f32 v124, v119, v108
	s_delay_alu instid0(VALU_DEP_1) | instskip(NEXT) | instid1(VALU_DEP_2)
	v_pk_fma_f32 v[122:123], v[118:119], v[16:17], v[122:123] op_sel_hi:[1,1,0] neg_lo:[0,0,1] neg_hi:[0,0,1]
	v_pk_fma_f32 v[118:119], v[118:119], v[16:17], v[124:125] op_sel:[1,0,0] op_sel_hi:[0,1,0]
	s_delay_alu instid0(VALU_DEP_1) | instskip(SKIP_1) | instid1(VALU_DEP_2)
	v_mov_b32_e32 v123, v119
	v_pk_mul_f32 v[118:119], v[120:121], v[110:111] op_sel:[0,1]
	v_pk_add_f32 v[98:99], v[98:99], v[122:123] neg_lo:[0,1] neg_hi:[0,1]
	s_delay_alu instid0(VALU_DEP_2) | instskip(SKIP_1) | instid1(VALU_DEP_1)
	v_pk_fma_f32 v[122:123], v[120:121], v[108:109], v[118:119] op_sel:[0,0,1] op_sel_hi:[1,1,0] neg_lo:[0,0,1] neg_hi:[0,0,1]
	v_pk_fma_f32 v[118:119], v[120:121], v[108:109], v[118:119] op_sel:[0,0,1] op_sel_hi:[1,0,0]
	v_mov_b32_e32 v123, v119
	ds_load_2addr_b64 v[118:121], v112 offset0:46 offset1:47
	v_pk_add_f32 v[96:97], v[96:97], v[122:123] neg_lo:[0,1] neg_hi:[0,1]
	s_wait_dscnt 0x0
	v_pk_mul_f32 v[122:123], v[118:119], v[110:111] op_sel:[0,1]
	s_delay_alu instid0(VALU_DEP_1) | instskip(SKIP_1) | instid1(VALU_DEP_1)
	v_pk_fma_f32 v[124:125], v[118:119], v[108:109], v[122:123] op_sel:[0,0,1] op_sel_hi:[1,1,0] neg_lo:[0,0,1] neg_hi:[0,0,1]
	v_pk_fma_f32 v[118:119], v[118:119], v[108:109], v[122:123] op_sel:[0,0,1] op_sel_hi:[1,0,0]
	v_mov_b32_e32 v125, v119
	v_pk_mul_f32 v[118:119], v[120:121], v[110:111] op_sel:[0,1]
	s_delay_alu instid0(VALU_DEP_2) | instskip(NEXT) | instid1(VALU_DEP_2)
	v_pk_add_f32 v[80:81], v[80:81], v[124:125] neg_lo:[0,1] neg_hi:[0,1]
	v_pk_fma_f32 v[122:123], v[120:121], v[108:109], v[118:119] op_sel:[0,0,1] op_sel_hi:[1,1,0] neg_lo:[0,0,1] neg_hi:[0,0,1]
	v_pk_fma_f32 v[118:119], v[120:121], v[108:109], v[118:119] op_sel:[0,0,1] op_sel_hi:[1,0,0]
	s_delay_alu instid0(VALU_DEP_1) | instskip(SKIP_4) | instid1(VALU_DEP_1)
	v_mov_b32_e32 v123, v119
	ds_load_2addr_b64 v[118:121], v112 offset0:48 offset1:49
	v_pk_add_f32 v[78:79], v[78:79], v[122:123] neg_lo:[0,1] neg_hi:[0,1]
	s_wait_dscnt 0x0
	v_pk_mul_f32 v[122:123], v[118:119], v[110:111] op_sel:[0,1]
	v_pk_fma_f32 v[124:125], v[118:119], v[108:109], v[122:123] op_sel:[0,0,1] op_sel_hi:[1,1,0] neg_lo:[0,0,1] neg_hi:[0,0,1]
	v_pk_fma_f32 v[118:119], v[118:119], v[108:109], v[122:123] op_sel:[0,0,1] op_sel_hi:[1,0,0]
	v_dual_mul_f32 v122, v121, v111 :: v_dual_mov_b32 v118, v121
	s_delay_alu instid0(VALU_DEP_2) | instskip(NEXT) | instid1(VALU_DEP_2)
	v_dual_mov_b32 v125, v119 :: v_dual_mov_b32 v119, v120
	v_pk_fma_f32 v[122:123], v[120:121], v[16:17], v[122:123] op_sel_hi:[1,1,0] neg_lo:[0,0,1] neg_hi:[0,0,1]
	v_mul_f32_e32 v120, v121, v108
	s_delay_alu instid0(VALU_DEP_3) | instskip(NEXT) | instid1(VALU_DEP_2)
	v_pk_add_f32 v[88:89], v[88:89], v[124:125] neg_lo:[0,1] neg_hi:[0,1]
	v_pk_fma_f32 v[118:119], v[118:119], v[16:17], v[120:121] op_sel_hi:[1,1,0]
	s_delay_alu instid0(VALU_DEP_1) | instskip(SKIP_4) | instid1(VALU_DEP_1)
	v_mov_b32_e32 v123, v119
	ds_load_b64 v[118:119], v112 offset:400
	v_pk_add_f32 v[86:87], v[86:87], v[122:123] neg_lo:[0,1] neg_hi:[0,1]
	s_wait_dscnt 0x0
	v_pk_mul_f32 v[110:111], v[118:119], v[110:111] op_sel:[0,1]
	v_pk_fma_f32 v[120:121], v[118:119], v[108:109], v[110:111] op_sel:[0,0,1] op_sel_hi:[1,1,0] neg_lo:[0,0,1] neg_hi:[0,0,1]
	v_pk_fma_f32 v[108:109], v[118:119], v[108:109], v[110:111] op_sel:[0,0,1] op_sel_hi:[1,0,0]
	s_delay_alu instid0(VALU_DEP_1) | instskip(NEXT) | instid1(VALU_DEP_1)
	v_mov_b32_e32 v121, v109
	v_pk_add_f32 v[106:107], v[106:107], v[120:121] neg_lo:[0,1] neg_hi:[0,1]
.LBB100_125:
	s_or_b32 exec_lo, exec_lo, s0
	v_lshl_add_u32 v108, v116, 3, v112
	s_barrier_signal -1
	s_barrier_wait -1
	ds_store_b64 v108, v[8:9]
	s_wait_dscnt 0x0
	s_barrier_signal -1
	s_barrier_wait -1
	ds_load_b64 v[110:111], v112 offset:48
	v_mov_b32_e32 v108, 6
	s_cmp_lt_i32 s18, 8
	s_cbranch_scc1 .LBB100_128
; %bb.126:
	v_add3_u32 v109, v113, 0, 56
	v_mov_b32_e32 v108, 6
	s_mov_b32 s0, 7
.LBB100_127:                            ; =>This Inner Loop Header: Depth=1
	ds_load_b64 v[118:119], v109
	s_wait_dscnt 0x1
	v_cmp_gt_f32_e32 vcc_lo, 0, v110
	v_cndmask_b32_e64 v120, v110, -v110, vcc_lo
	v_cmp_gt_f32_e32 vcc_lo, 0, v111
	v_cndmask_b32_e64 v122, v111, -v111, vcc_lo
	s_wait_dscnt 0x0
	v_cmp_gt_f32_e32 vcc_lo, 0, v118
	v_cndmask_b32_e64 v121, v118, -v118, vcc_lo
	v_cmp_gt_f32_e32 vcc_lo, 0, v119
	v_cndmask_b32_e64 v123, v119, -v119, vcc_lo
	s_delay_alu instid0(VALU_DEP_1) | instskip(NEXT) | instid1(VALU_DEP_1)
	v_pk_add_f32 v[120:121], v[120:121], v[122:123]
	v_cmp_lt_f32_e32 vcc_lo, v120, v121
	v_dual_add_nc_u32 v109, 8, v109 :: v_dual_cndmask_b32 v111, v111, v119, vcc_lo
	v_cndmask_b32_e32 v110, v110, v118, vcc_lo
	v_cndmask_b32_e64 v108, v108, s0, vcc_lo
	s_add_co_i32 s0, s0, 1
	s_delay_alu instid0(SALU_CYCLE_1)
	s_cmp_lg_u32 s18, s0
	s_cbranch_scc1 .LBB100_127
.LBB100_128:
	s_wait_dscnt 0x0
	v_cmp_eq_f32_e32 vcc_lo, 0, v110
	v_cmp_eq_f32_e64 s0, 0, v111
	s_and_b32 s0, vcc_lo, s0
	s_delay_alu instid0(SALU_CYCLE_1) | instskip(NEXT) | instid1(SALU_CYCLE_1)
	s_and_saveexec_b32 s1, s0
	s_xor_b32 s0, exec_lo, s1
; %bb.129:
	v_cmp_ne_u32_e32 vcc_lo, 0, v114
	v_cndmask_b32_e32 v114, 7, v114, vcc_lo
; %bb.130:
	s_and_not1_saveexec_b32 s0, s0
	s_cbranch_execz .LBB100_136
; %bb.131:
	v_cmp_ngt_f32_e64 s1, |v110|, |v111|
	s_and_saveexec_b32 s12, s1
	s_delay_alu instid0(SALU_CYCLE_1)
	s_xor_b32 s1, exec_lo, s12
	s_cbranch_execz .LBB100_133
; %bb.132:
	v_div_scale_f32 v109, null, v111, v111, v110
	v_div_scale_f32 v119, vcc_lo, v110, v111, v110
	s_delay_alu instid0(VALU_DEP_2) | instskip(SKIP_1) | instid1(TRANS32_DEP_1)
	v_rcp_f32_e32 v117, v109
	v_nop
	v_fma_f32 v118, -v109, v117, 1.0
	s_delay_alu instid0(VALU_DEP_1) | instskip(NEXT) | instid1(VALU_DEP_1)
	v_fmac_f32_e32 v117, v118, v117
	v_mul_f32_e32 v118, v119, v117
	s_delay_alu instid0(VALU_DEP_1) | instskip(NEXT) | instid1(VALU_DEP_1)
	v_fma_f32 v120, -v109, v118, v119
	v_fmac_f32_e32 v118, v120, v117
	s_delay_alu instid0(VALU_DEP_1) | instskip(NEXT) | instid1(VALU_DEP_1)
	v_fma_f32 v109, -v109, v118, v119
	v_div_fmas_f32 v109, v109, v117, v118
	s_delay_alu instid0(VALU_DEP_1) | instskip(NEXT) | instid1(VALU_DEP_1)
	v_div_fixup_f32 v109, v109, v111, v110
	v_fmac_f32_e32 v111, v110, v109
	s_delay_alu instid0(VALU_DEP_1) | instskip(SKIP_1) | instid1(VALU_DEP_2)
	v_div_scale_f32 v110, null, v111, v111, 1.0
	v_div_scale_f32 v119, vcc_lo, 1.0, v111, 1.0
	v_rcp_f32_e32 v117, v110
	v_nop
	s_delay_alu instid0(TRANS32_DEP_1) | instskip(NEXT) | instid1(VALU_DEP_1)
	v_fma_f32 v118, -v110, v117, 1.0
	v_fmac_f32_e32 v117, v118, v117
	s_delay_alu instid0(VALU_DEP_1) | instskip(NEXT) | instid1(VALU_DEP_1)
	v_mul_f32_e32 v118, v119, v117
	v_fma_f32 v120, -v110, v118, v119
	s_delay_alu instid0(VALU_DEP_1) | instskip(NEXT) | instid1(VALU_DEP_1)
	v_fmac_f32_e32 v118, v120, v117
	v_fma_f32 v110, -v110, v118, v119
	s_delay_alu instid0(VALU_DEP_1) | instskip(NEXT) | instid1(VALU_DEP_1)
	v_div_fmas_f32 v110, v110, v117, v118
	v_div_fixup_f32 v111, v110, v111, 1.0
	s_delay_alu instid0(VALU_DEP_1)
	v_mul_f32_e32 v110, v109, v111
	v_xor_b32_e32 v111, 0x80000000, v111
.LBB100_133:
	s_and_not1_saveexec_b32 s1, s1
	s_cbranch_execz .LBB100_135
; %bb.134:
	s_delay_alu instid0(VALU_DEP_1) | instskip(SKIP_1) | instid1(VALU_DEP_2)
	v_div_scale_f32 v109, null, v110, v110, v111
	v_div_scale_f32 v119, vcc_lo, v111, v110, v111
	v_rcp_f32_e32 v117, v109
	v_nop
	s_delay_alu instid0(TRANS32_DEP_1) | instskip(NEXT) | instid1(VALU_DEP_1)
	v_fma_f32 v118, -v109, v117, 1.0
	v_fmac_f32_e32 v117, v118, v117
	s_delay_alu instid0(VALU_DEP_1) | instskip(NEXT) | instid1(VALU_DEP_1)
	v_mul_f32_e32 v118, v119, v117
	v_fma_f32 v120, -v109, v118, v119
	s_delay_alu instid0(VALU_DEP_1) | instskip(NEXT) | instid1(VALU_DEP_1)
	v_fmac_f32_e32 v118, v120, v117
	v_fma_f32 v109, -v109, v118, v119
	s_delay_alu instid0(VALU_DEP_1) | instskip(NEXT) | instid1(VALU_DEP_1)
	v_div_fmas_f32 v109, v109, v117, v118
	v_div_fixup_f32 v109, v109, v110, v111
	s_delay_alu instid0(VALU_DEP_1) | instskip(NEXT) | instid1(VALU_DEP_1)
	v_fmac_f32_e32 v110, v111, v109
	v_div_scale_f32 v111, null, v110, v110, 1.0
	s_delay_alu instid0(VALU_DEP_1) | instskip(SKIP_1) | instid1(TRANS32_DEP_1)
	v_rcp_f32_e32 v117, v111
	v_nop
	v_fma_f32 v118, -v111, v117, 1.0
	s_delay_alu instid0(VALU_DEP_1) | instskip(SKIP_1) | instid1(VALU_DEP_1)
	v_fmac_f32_e32 v117, v118, v117
	v_div_scale_f32 v118, vcc_lo, 1.0, v110, 1.0
	v_mul_f32_e32 v119, v118, v117
	s_delay_alu instid0(VALU_DEP_1) | instskip(NEXT) | instid1(VALU_DEP_1)
	v_fma_f32 v120, -v111, v119, v118
	v_fmac_f32_e32 v119, v120, v117
	s_delay_alu instid0(VALU_DEP_1) | instskip(NEXT) | instid1(VALU_DEP_1)
	v_fma_f32 v111, -v111, v119, v118
	v_div_fmas_f32 v111, v111, v117, v119
	s_delay_alu instid0(VALU_DEP_1) | instskip(NEXT) | instid1(VALU_DEP_1)
	v_div_fixup_f32 v110, v111, v110, 1.0
	v_mul_f32_e64 v111, v109, -v110
.LBB100_135:
	s_or_b32 exec_lo, exec_lo, s1
.LBB100_136:
	s_delay_alu instid0(SALU_CYCLE_1) | instskip(NEXT) | instid1(SALU_CYCLE_1)
	s_or_b32 exec_lo, exec_lo, s0
	s_mov_b32 s0, exec_lo
	v_cmpx_ne_u32_e64 v116, v108
	s_xor_b32 s0, exec_lo, s0
	s_cbranch_execz .LBB100_142
; %bb.137:
	s_mov_b32 s1, exec_lo
	v_cmpx_eq_u32_e32 6, v116
	s_cbranch_execz .LBB100_141
; %bb.138:
	v_cmp_ne_u32_e32 vcc_lo, 6, v108
	s_xor_b32 s12, s16, -1
	s_delay_alu instid0(SALU_CYCLE_1) | instskip(NEXT) | instid1(SALU_CYCLE_1)
	s_and_b32 s13, s12, vcc_lo
	s_and_saveexec_b32 s12, s13
	s_cbranch_execz .LBB100_140
; %bb.139:
	v_ashrrev_i32_e32 v109, 31, v108
	s_delay_alu instid0(VALU_DEP_1)
	v_lshl_add_u64 v[116:117], v[108:109], 2, v[4:5]
	s_clause 0x1
	global_load_b32 v109, v[116:117], off
	global_load_b32 v115, v[4:5], off offset:24
	s_wait_loadcnt 0x1
	global_store_b32 v[4:5], v109, off offset:24
	s_wait_loadcnt 0x0
	global_store_b32 v[116:117], v115, off
.LBB100_140:
	s_wait_xcnt 0x0
	s_or_b32 exec_lo, exec_lo, s12
	v_dual_mov_b32 v116, v108 :: v_dual_mov_b32 v115, v108
.LBB100_141:
	s_or_b32 exec_lo, exec_lo, s1
.LBB100_142:
	s_and_not1_saveexec_b32 s0, s0
	s_cbranch_execz .LBB100_144
; %bb.143:
	v_mov_b32_e32 v116, 6
	ds_store_2addr_b64 v112, v[6:7], v[28:29] offset0:7 offset1:8
	ds_store_2addr_b64 v112, v[26:27], v[12:13] offset0:9 offset1:10
	;; [unrolled: 1-line block ×22, first 2 shown]
.LBB100_144:
	s_or_b32 exec_lo, exec_lo, s0
	s_delay_alu instid0(SALU_CYCLE_1)
	s_mov_b32 s0, exec_lo
	s_wait_storecnt_dscnt 0x0
	s_barrier_signal -1
	s_barrier_wait -1
	v_cmpx_lt_i32_e32 6, v116
	s_cbranch_execz .LBB100_146
; %bb.145:
	v_pk_mul_f32 v[118:119], v[110:111], v[8:9] op_sel:[1,1] op_sel_hi:[0,1]
	s_delay_alu instid0(VALU_DEP_1)
	v_pk_fma_f32 v[108:109], v[110:111], v[8:9], v[118:119] op_sel_hi:[1,0,1] neg_lo:[0,0,1] neg_hi:[0,0,1]
	v_pk_fma_f32 v[110:111], v[110:111], v[8:9], v[118:119] op_sel_hi:[1,0,1]
	ds_load_2addr_b64 v[118:121], v112 offset0:7 offset1:8
	v_dual_mov_b32 v8, v108 :: v_dual_mov_b32 v9, v111
	s_wait_dscnt 0x0
	v_pk_mul_f32 v[122:123], v[118:119], v[110:111] op_sel:[0,1]
	s_delay_alu instid0(VALU_DEP_1) | instskip(SKIP_1) | instid1(VALU_DEP_1)
	v_pk_fma_f32 v[124:125], v[118:119], v[108:109], v[122:123] op_sel:[0,0,1] op_sel_hi:[1,1,0] neg_lo:[0,0,1] neg_hi:[0,0,1]
	v_pk_fma_f32 v[118:119], v[118:119], v[108:109], v[122:123] op_sel:[0,0,1] op_sel_hi:[1,0,0]
	v_mov_b32_e32 v125, v119
	v_pk_mul_f32 v[118:119], v[120:121], v[110:111] op_sel:[0,1]
	s_delay_alu instid0(VALU_DEP_1) | instskip(SKIP_1) | instid1(VALU_DEP_1)
	v_pk_fma_f32 v[122:123], v[120:121], v[108:109], v[118:119] op_sel:[0,0,1] op_sel_hi:[1,1,0] neg_lo:[0,0,1] neg_hi:[0,0,1]
	v_pk_fma_f32 v[118:119], v[120:121], v[108:109], v[118:119] op_sel:[0,0,1] op_sel_hi:[1,0,0]
	v_mov_b32_e32 v123, v119
	ds_load_2addr_b64 v[118:121], v112 offset0:9 offset1:10
	v_pk_add_f32 v[6:7], v[6:7], v[124:125] neg_lo:[0,1] neg_hi:[0,1]
	v_pk_add_f32 v[28:29], v[28:29], v[122:123] neg_lo:[0,1] neg_hi:[0,1]
	s_wait_dscnt 0x0
	v_pk_mul_f32 v[122:123], v[118:119], v[110:111] op_sel:[0,1]
	s_delay_alu instid0(VALU_DEP_1) | instskip(SKIP_2) | instid1(VALU_DEP_2)
	v_pk_fma_f32 v[124:125], v[118:119], v[108:109], v[122:123] op_sel:[0,0,1] op_sel_hi:[1,1,0] neg_lo:[0,0,1] neg_hi:[0,0,1]
	v_pk_fma_f32 v[118:119], v[118:119], v[108:109], v[122:123] op_sel:[0,0,1] op_sel_hi:[1,0,0]
	v_dual_mul_f32 v122, v121, v111 :: v_dual_mov_b32 v118, v121
	v_dual_mov_b32 v125, v119 :: v_dual_mov_b32 v119, v120
	s_delay_alu instid0(VALU_DEP_2) | instskip(SKIP_1) | instid1(VALU_DEP_3)
	v_pk_fma_f32 v[122:123], v[120:121], v[8:9], v[122:123] op_sel_hi:[1,1,0] neg_lo:[0,0,1] neg_hi:[0,0,1]
	v_mul_f32_e32 v120, v121, v108
	v_pk_add_f32 v[26:27], v[26:27], v[124:125] neg_lo:[0,1] neg_hi:[0,1]
	s_delay_alu instid0(VALU_DEP_2) | instskip(NEXT) | instid1(VALU_DEP_1)
	v_pk_fma_f32 v[118:119], v[118:119], v[8:9], v[120:121] op_sel_hi:[1,1,0]
	v_mov_b32_e32 v123, v119
	ds_load_2addr_b64 v[118:121], v112 offset0:11 offset1:12
	v_pk_add_f32 v[12:13], v[12:13], v[122:123] neg_lo:[0,1] neg_hi:[0,1]
	s_wait_dscnt 0x0
	v_pk_mul_f32 v[122:123], v[118:119], v[110:111] op_sel:[0,1]
	s_delay_alu instid0(VALU_DEP_1) | instskip(SKIP_1) | instid1(VALU_DEP_1)
	v_pk_fma_f32 v[124:125], v[118:119], v[108:109], v[122:123] op_sel:[0,0,1] op_sel_hi:[1,1,0] neg_lo:[0,0,1] neg_hi:[0,0,1]
	v_pk_fma_f32 v[118:119], v[118:119], v[108:109], v[122:123] op_sel:[0,0,1] op_sel_hi:[1,0,0]
	v_mov_b32_e32 v125, v119
	v_pk_mul_f32 v[118:119], v[120:121], v[110:111] op_sel:[0,1]
	s_delay_alu instid0(VALU_DEP_1) | instskip(SKIP_1) | instid1(VALU_DEP_1)
	v_pk_fma_f32 v[122:123], v[120:121], v[108:109], v[118:119] op_sel:[0,0,1] op_sel_hi:[1,1,0] neg_lo:[0,0,1] neg_hi:[0,0,1]
	v_pk_fma_f32 v[118:119], v[120:121], v[108:109], v[118:119] op_sel:[0,0,1] op_sel_hi:[1,0,0]
	v_mov_b32_e32 v123, v119
	ds_load_2addr_b64 v[118:121], v112 offset0:13 offset1:14
	v_pk_add_f32 v[10:11], v[10:11], v[124:125] neg_lo:[0,1] neg_hi:[0,1]
	v_pk_add_f32 v[36:37], v[36:37], v[122:123] neg_lo:[0,1] neg_hi:[0,1]
	s_wait_dscnt 0x0
	v_pk_mul_f32 v[122:123], v[118:119], v[110:111] op_sel:[0,1]
	s_delay_alu instid0(VALU_DEP_1) | instskip(SKIP_1) | instid1(VALU_DEP_1)
	v_pk_fma_f32 v[124:125], v[118:119], v[108:109], v[122:123] op_sel:[0,0,1] op_sel_hi:[1,1,0] neg_lo:[0,0,1] neg_hi:[0,0,1]
	v_pk_fma_f32 v[118:119], v[118:119], v[108:109], v[122:123] op_sel:[0,0,1] op_sel_hi:[1,0,0]
	v_mov_b32_e32 v125, v119
	v_pk_mul_f32 v[118:119], v[120:121], v[110:111] op_sel:[0,1]
	s_delay_alu instid0(VALU_DEP_1) | instskip(SKIP_1) | instid1(VALU_DEP_1)
	v_pk_fma_f32 v[122:123], v[120:121], v[108:109], v[118:119] op_sel:[0,0,1] op_sel_hi:[1,1,0] neg_lo:[0,0,1] neg_hi:[0,0,1]
	v_pk_fma_f32 v[118:119], v[120:121], v[108:109], v[118:119] op_sel:[0,0,1] op_sel_hi:[1,0,0]
	v_mov_b32_e32 v123, v119
	ds_load_2addr_b64 v[118:121], v112 offset0:15 offset1:16
	v_pk_add_f32 v[34:35], v[34:35], v[124:125] neg_lo:[0,1] neg_hi:[0,1]
	v_pk_add_f32 v[18:19], v[18:19], v[122:123] neg_lo:[0,1] neg_hi:[0,1]
	s_wait_dscnt 0x0
	v_dual_mul_f32 v122, v119, v111 :: v_dual_mul_f32 v124, v119, v108
	s_delay_alu instid0(VALU_DEP_1) | instskip(NEXT) | instid1(VALU_DEP_2)
	v_pk_fma_f32 v[122:123], v[118:119], v[8:9], v[122:123] op_sel_hi:[1,1,0] neg_lo:[0,0,1] neg_hi:[0,0,1]
	v_pk_fma_f32 v[118:119], v[118:119], v[8:9], v[124:125] op_sel:[1,0,0] op_sel_hi:[0,1,0]
	s_delay_alu instid0(VALU_DEP_1) | instskip(SKIP_1) | instid1(VALU_DEP_2)
	v_mov_b32_e32 v123, v119
	v_pk_mul_f32 v[118:119], v[120:121], v[110:111] op_sel:[0,1]
	v_pk_add_f32 v[14:15], v[14:15], v[122:123] neg_lo:[0,1] neg_hi:[0,1]
	s_delay_alu instid0(VALU_DEP_2) | instskip(SKIP_1) | instid1(VALU_DEP_1)
	v_pk_fma_f32 v[122:123], v[120:121], v[108:109], v[118:119] op_sel:[0,0,1] op_sel_hi:[1,1,0] neg_lo:[0,0,1] neg_hi:[0,0,1]
	v_pk_fma_f32 v[118:119], v[120:121], v[108:109], v[118:119] op_sel:[0,0,1] op_sel_hi:[1,0,0]
	v_mov_b32_e32 v123, v119
	ds_load_2addr_b64 v[118:121], v112 offset0:17 offset1:18
	v_pk_add_f32 v[44:45], v[44:45], v[122:123] neg_lo:[0,1] neg_hi:[0,1]
	s_wait_dscnt 0x0
	v_pk_mul_f32 v[122:123], v[118:119], v[110:111] op_sel:[0,1]
	s_delay_alu instid0(VALU_DEP_1) | instskip(SKIP_1) | instid1(VALU_DEP_1)
	v_pk_fma_f32 v[124:125], v[118:119], v[108:109], v[122:123] op_sel:[0,0,1] op_sel_hi:[1,1,0] neg_lo:[0,0,1] neg_hi:[0,0,1]
	v_pk_fma_f32 v[118:119], v[118:119], v[108:109], v[122:123] op_sel:[0,0,1] op_sel_hi:[1,0,0]
	v_mov_b32_e32 v125, v119
	v_pk_mul_f32 v[118:119], v[120:121], v[110:111] op_sel:[0,1]
	s_delay_alu instid0(VALU_DEP_2) | instskip(NEXT) | instid1(VALU_DEP_2)
	v_pk_add_f32 v[42:43], v[42:43], v[124:125] neg_lo:[0,1] neg_hi:[0,1]
	v_pk_fma_f32 v[122:123], v[120:121], v[108:109], v[118:119] op_sel:[0,0,1] op_sel_hi:[1,1,0] neg_lo:[0,0,1] neg_hi:[0,0,1]
	v_pk_fma_f32 v[118:119], v[120:121], v[108:109], v[118:119] op_sel:[0,0,1] op_sel_hi:[1,0,0]
	s_delay_alu instid0(VALU_DEP_1) | instskip(SKIP_4) | instid1(VALU_DEP_1)
	v_mov_b32_e32 v123, v119
	ds_load_2addr_b64 v[118:121], v112 offset0:19 offset1:20
	v_pk_add_f32 v[22:23], v[22:23], v[122:123] neg_lo:[0,1] neg_hi:[0,1]
	s_wait_dscnt 0x0
	v_pk_mul_f32 v[122:123], v[118:119], v[110:111] op_sel:[0,1]
	v_pk_fma_f32 v[124:125], v[118:119], v[108:109], v[122:123] op_sel:[0,0,1] op_sel_hi:[1,1,0] neg_lo:[0,0,1] neg_hi:[0,0,1]
	v_pk_fma_f32 v[118:119], v[118:119], v[108:109], v[122:123] op_sel:[0,0,1] op_sel_hi:[1,0,0]
	v_dual_mul_f32 v122, v121, v111 :: v_dual_mov_b32 v118, v121
	s_delay_alu instid0(VALU_DEP_2) | instskip(NEXT) | instid1(VALU_DEP_2)
	v_dual_mov_b32 v125, v119 :: v_dual_mov_b32 v119, v120
	v_pk_fma_f32 v[122:123], v[120:121], v[8:9], v[122:123] op_sel_hi:[1,1,0] neg_lo:[0,0,1] neg_hi:[0,0,1]
	v_mul_f32_e32 v120, v121, v108
	s_delay_alu instid0(VALU_DEP_3) | instskip(NEXT) | instid1(VALU_DEP_2)
	v_pk_add_f32 v[20:21], v[20:21], v[124:125] neg_lo:[0,1] neg_hi:[0,1]
	v_pk_fma_f32 v[118:119], v[118:119], v[8:9], v[120:121] op_sel_hi:[1,1,0]
	s_delay_alu instid0(VALU_DEP_1) | instskip(SKIP_4) | instid1(VALU_DEP_1)
	v_mov_b32_e32 v123, v119
	ds_load_2addr_b64 v[118:121], v112 offset0:21 offset1:22
	v_pk_add_f32 v[52:53], v[52:53], v[122:123] neg_lo:[0,1] neg_hi:[0,1]
	s_wait_dscnt 0x0
	v_pk_mul_f32 v[122:123], v[118:119], v[110:111] op_sel:[0,1]
	v_pk_fma_f32 v[124:125], v[118:119], v[108:109], v[122:123] op_sel:[0,0,1] op_sel_hi:[1,1,0] neg_lo:[0,0,1] neg_hi:[0,0,1]
	v_pk_fma_f32 v[118:119], v[118:119], v[108:109], v[122:123] op_sel:[0,0,1] op_sel_hi:[1,0,0]
	s_delay_alu instid0(VALU_DEP_1) | instskip(SKIP_1) | instid1(VALU_DEP_1)
	v_mov_b32_e32 v125, v119
	v_pk_mul_f32 v[118:119], v[120:121], v[110:111] op_sel:[0,1]
	v_pk_fma_f32 v[122:123], v[120:121], v[108:109], v[118:119] op_sel:[0,0,1] op_sel_hi:[1,1,0] neg_lo:[0,0,1] neg_hi:[0,0,1]
	v_pk_fma_f32 v[118:119], v[120:121], v[108:109], v[118:119] op_sel:[0,0,1] op_sel_hi:[1,0,0]
	s_delay_alu instid0(VALU_DEP_1)
	v_mov_b32_e32 v123, v119
	ds_load_2addr_b64 v[118:121], v112 offset0:23 offset1:24
	v_pk_add_f32 v[50:51], v[50:51], v[124:125] neg_lo:[0,1] neg_hi:[0,1]
	v_pk_add_f32 v[32:33], v[32:33], v[122:123] neg_lo:[0,1] neg_hi:[0,1]
	s_wait_dscnt 0x0
	v_pk_mul_f32 v[122:123], v[118:119], v[110:111] op_sel:[0,1]
	s_delay_alu instid0(VALU_DEP_1) | instskip(SKIP_1) | instid1(VALU_DEP_1)
	v_pk_fma_f32 v[124:125], v[118:119], v[108:109], v[122:123] op_sel:[0,0,1] op_sel_hi:[1,1,0] neg_lo:[0,0,1] neg_hi:[0,0,1]
	v_pk_fma_f32 v[118:119], v[118:119], v[108:109], v[122:123] op_sel:[0,0,1] op_sel_hi:[1,0,0]
	v_mov_b32_e32 v125, v119
	v_pk_mul_f32 v[118:119], v[120:121], v[110:111] op_sel:[0,1]
	s_delay_alu instid0(VALU_DEP_1) | instskip(SKIP_1) | instid1(VALU_DEP_1)
	v_pk_fma_f32 v[122:123], v[120:121], v[108:109], v[118:119] op_sel:[0,0,1] op_sel_hi:[1,1,0] neg_lo:[0,0,1] neg_hi:[0,0,1]
	v_pk_fma_f32 v[118:119], v[120:121], v[108:109], v[118:119] op_sel:[0,0,1] op_sel_hi:[1,0,0]
	v_mov_b32_e32 v123, v119
	ds_load_2addr_b64 v[118:121], v112 offset0:25 offset1:26
	v_pk_add_f32 v[30:31], v[30:31], v[124:125] neg_lo:[0,1] neg_hi:[0,1]
	v_pk_add_f32 v[62:63], v[62:63], v[122:123] neg_lo:[0,1] neg_hi:[0,1]
	s_wait_dscnt 0x0
	v_dual_mul_f32 v122, v119, v111 :: v_dual_mul_f32 v124, v119, v108
	s_delay_alu instid0(VALU_DEP_1) | instskip(NEXT) | instid1(VALU_DEP_2)
	v_pk_fma_f32 v[122:123], v[118:119], v[8:9], v[122:123] op_sel_hi:[1,1,0] neg_lo:[0,0,1] neg_hi:[0,0,1]
	v_pk_fma_f32 v[118:119], v[118:119], v[8:9], v[124:125] op_sel:[1,0,0] op_sel_hi:[0,1,0]
	s_delay_alu instid0(VALU_DEP_1) | instskip(SKIP_1) | instid1(VALU_DEP_2)
	v_mov_b32_e32 v123, v119
	v_pk_mul_f32 v[118:119], v[120:121], v[110:111] op_sel:[0,1]
	v_pk_add_f32 v[60:61], v[60:61], v[122:123] neg_lo:[0,1] neg_hi:[0,1]
	s_delay_alu instid0(VALU_DEP_2) | instskip(SKIP_1) | instid1(VALU_DEP_1)
	v_pk_fma_f32 v[122:123], v[120:121], v[108:109], v[118:119] op_sel:[0,0,1] op_sel_hi:[1,1,0] neg_lo:[0,0,1] neg_hi:[0,0,1]
	v_pk_fma_f32 v[118:119], v[120:121], v[108:109], v[118:119] op_sel:[0,0,1] op_sel_hi:[1,0,0]
	v_mov_b32_e32 v123, v119
	ds_load_2addr_b64 v[118:121], v112 offset0:27 offset1:28
	v_pk_add_f32 v[40:41], v[40:41], v[122:123] neg_lo:[0,1] neg_hi:[0,1]
	s_wait_dscnt 0x0
	v_pk_mul_f32 v[122:123], v[118:119], v[110:111] op_sel:[0,1]
	s_delay_alu instid0(VALU_DEP_1) | instskip(SKIP_1) | instid1(VALU_DEP_1)
	v_pk_fma_f32 v[124:125], v[118:119], v[108:109], v[122:123] op_sel:[0,0,1] op_sel_hi:[1,1,0] neg_lo:[0,0,1] neg_hi:[0,0,1]
	v_pk_fma_f32 v[118:119], v[118:119], v[108:109], v[122:123] op_sel:[0,0,1] op_sel_hi:[1,0,0]
	v_mov_b32_e32 v125, v119
	v_pk_mul_f32 v[118:119], v[120:121], v[110:111] op_sel:[0,1]
	s_delay_alu instid0(VALU_DEP_2) | instskip(NEXT) | instid1(VALU_DEP_2)
	v_pk_add_f32 v[38:39], v[38:39], v[124:125] neg_lo:[0,1] neg_hi:[0,1]
	v_pk_fma_f32 v[122:123], v[120:121], v[108:109], v[118:119] op_sel:[0,0,1] op_sel_hi:[1,1,0] neg_lo:[0,0,1] neg_hi:[0,0,1]
	v_pk_fma_f32 v[118:119], v[120:121], v[108:109], v[118:119] op_sel:[0,0,1] op_sel_hi:[1,0,0]
	s_delay_alu instid0(VALU_DEP_1) | instskip(SKIP_4) | instid1(VALU_DEP_1)
	v_mov_b32_e32 v123, v119
	ds_load_2addr_b64 v[118:121], v112 offset0:29 offset1:30
	v_pk_add_f32 v[70:71], v[70:71], v[122:123] neg_lo:[0,1] neg_hi:[0,1]
	s_wait_dscnt 0x0
	v_pk_mul_f32 v[122:123], v[118:119], v[110:111] op_sel:[0,1]
	v_pk_fma_f32 v[124:125], v[118:119], v[108:109], v[122:123] op_sel:[0,0,1] op_sel_hi:[1,1,0] neg_lo:[0,0,1] neg_hi:[0,0,1]
	v_pk_fma_f32 v[118:119], v[118:119], v[108:109], v[122:123] op_sel:[0,0,1] op_sel_hi:[1,0,0]
	v_dual_mul_f32 v122, v121, v111 :: v_dual_mov_b32 v118, v121
	s_delay_alu instid0(VALU_DEP_2) | instskip(NEXT) | instid1(VALU_DEP_2)
	v_dual_mov_b32 v125, v119 :: v_dual_mov_b32 v119, v120
	v_pk_fma_f32 v[122:123], v[120:121], v[8:9], v[122:123] op_sel_hi:[1,1,0] neg_lo:[0,0,1] neg_hi:[0,0,1]
	v_mul_f32_e32 v120, v121, v108
	s_delay_alu instid0(VALU_DEP_3) | instskip(NEXT) | instid1(VALU_DEP_2)
	v_pk_add_f32 v[68:69], v[68:69], v[124:125] neg_lo:[0,1] neg_hi:[0,1]
	v_pk_fma_f32 v[118:119], v[118:119], v[8:9], v[120:121] op_sel_hi:[1,1,0]
	s_delay_alu instid0(VALU_DEP_1) | instskip(SKIP_4) | instid1(VALU_DEP_1)
	v_mov_b32_e32 v123, v119
	ds_load_2addr_b64 v[118:121], v112 offset0:31 offset1:32
	v_pk_add_f32 v[48:49], v[48:49], v[122:123] neg_lo:[0,1] neg_hi:[0,1]
	s_wait_dscnt 0x0
	v_pk_mul_f32 v[122:123], v[118:119], v[110:111] op_sel:[0,1]
	v_pk_fma_f32 v[124:125], v[118:119], v[108:109], v[122:123] op_sel:[0,0,1] op_sel_hi:[1,1,0] neg_lo:[0,0,1] neg_hi:[0,0,1]
	v_pk_fma_f32 v[118:119], v[118:119], v[108:109], v[122:123] op_sel:[0,0,1] op_sel_hi:[1,0,0]
	s_delay_alu instid0(VALU_DEP_1) | instskip(SKIP_1) | instid1(VALU_DEP_1)
	v_mov_b32_e32 v125, v119
	v_pk_mul_f32 v[118:119], v[120:121], v[110:111] op_sel:[0,1]
	v_pk_fma_f32 v[122:123], v[120:121], v[108:109], v[118:119] op_sel:[0,0,1] op_sel_hi:[1,1,0] neg_lo:[0,0,1] neg_hi:[0,0,1]
	v_pk_fma_f32 v[118:119], v[120:121], v[108:109], v[118:119] op_sel:[0,0,1] op_sel_hi:[1,0,0]
	s_delay_alu instid0(VALU_DEP_1)
	v_mov_b32_e32 v123, v119
	ds_load_2addr_b64 v[118:121], v112 offset0:33 offset1:34
	v_pk_add_f32 v[46:47], v[46:47], v[124:125] neg_lo:[0,1] neg_hi:[0,1]
	v_pk_add_f32 v[84:85], v[84:85], v[122:123] neg_lo:[0,1] neg_hi:[0,1]
	s_wait_dscnt 0x0
	v_pk_mul_f32 v[122:123], v[118:119], v[110:111] op_sel:[0,1]
	s_delay_alu instid0(VALU_DEP_1) | instskip(SKIP_1) | instid1(VALU_DEP_1)
	v_pk_fma_f32 v[124:125], v[118:119], v[108:109], v[122:123] op_sel:[0,0,1] op_sel_hi:[1,1,0] neg_lo:[0,0,1] neg_hi:[0,0,1]
	v_pk_fma_f32 v[118:119], v[118:119], v[108:109], v[122:123] op_sel:[0,0,1] op_sel_hi:[1,0,0]
	v_mov_b32_e32 v125, v119
	v_pk_mul_f32 v[118:119], v[120:121], v[110:111] op_sel:[0,1]
	s_delay_alu instid0(VALU_DEP_1) | instskip(SKIP_1) | instid1(VALU_DEP_1)
	v_pk_fma_f32 v[122:123], v[120:121], v[108:109], v[118:119] op_sel:[0,0,1] op_sel_hi:[1,1,0] neg_lo:[0,0,1] neg_hi:[0,0,1]
	v_pk_fma_f32 v[118:119], v[120:121], v[108:109], v[118:119] op_sel:[0,0,1] op_sel_hi:[1,0,0]
	v_mov_b32_e32 v123, v119
	ds_load_2addr_b64 v[118:121], v112 offset0:35 offset1:36
	v_pk_add_f32 v[82:83], v[82:83], v[124:125] neg_lo:[0,1] neg_hi:[0,1]
	v_pk_add_f32 v[56:57], v[56:57], v[122:123] neg_lo:[0,1] neg_hi:[0,1]
	s_wait_dscnt 0x0
	v_dual_mul_f32 v122, v119, v111 :: v_dual_mul_f32 v124, v119, v108
	s_delay_alu instid0(VALU_DEP_1) | instskip(NEXT) | instid1(VALU_DEP_2)
	v_pk_fma_f32 v[122:123], v[118:119], v[8:9], v[122:123] op_sel_hi:[1,1,0] neg_lo:[0,0,1] neg_hi:[0,0,1]
	v_pk_fma_f32 v[118:119], v[118:119], v[8:9], v[124:125] op_sel:[1,0,0] op_sel_hi:[0,1,0]
	s_delay_alu instid0(VALU_DEP_1) | instskip(SKIP_1) | instid1(VALU_DEP_2)
	v_mov_b32_e32 v123, v119
	v_pk_mul_f32 v[118:119], v[120:121], v[110:111] op_sel:[0,1]
	v_pk_add_f32 v[54:55], v[54:55], v[122:123] neg_lo:[0,1] neg_hi:[0,1]
	s_delay_alu instid0(VALU_DEP_2) | instskip(SKIP_1) | instid1(VALU_DEP_1)
	v_pk_fma_f32 v[122:123], v[120:121], v[108:109], v[118:119] op_sel:[0,0,1] op_sel_hi:[1,1,0] neg_lo:[0,0,1] neg_hi:[0,0,1]
	v_pk_fma_f32 v[118:119], v[120:121], v[108:109], v[118:119] op_sel:[0,0,1] op_sel_hi:[1,0,0]
	v_mov_b32_e32 v123, v119
	ds_load_2addr_b64 v[118:121], v112 offset0:37 offset1:38
	v_pk_add_f32 v[94:95], v[94:95], v[122:123] neg_lo:[0,1] neg_hi:[0,1]
	s_wait_dscnt 0x0
	v_pk_mul_f32 v[122:123], v[118:119], v[110:111] op_sel:[0,1]
	s_delay_alu instid0(VALU_DEP_1) | instskip(SKIP_1) | instid1(VALU_DEP_1)
	v_pk_fma_f32 v[124:125], v[118:119], v[108:109], v[122:123] op_sel:[0,0,1] op_sel_hi:[1,1,0] neg_lo:[0,0,1] neg_hi:[0,0,1]
	v_pk_fma_f32 v[118:119], v[118:119], v[108:109], v[122:123] op_sel:[0,0,1] op_sel_hi:[1,0,0]
	v_mov_b32_e32 v125, v119
	v_pk_mul_f32 v[118:119], v[120:121], v[110:111] op_sel:[0,1]
	s_delay_alu instid0(VALU_DEP_2) | instskip(NEXT) | instid1(VALU_DEP_2)
	v_pk_add_f32 v[92:93], v[92:93], v[124:125] neg_lo:[0,1] neg_hi:[0,1]
	v_pk_fma_f32 v[122:123], v[120:121], v[108:109], v[118:119] op_sel:[0,0,1] op_sel_hi:[1,1,0] neg_lo:[0,0,1] neg_hi:[0,0,1]
	v_pk_fma_f32 v[118:119], v[120:121], v[108:109], v[118:119] op_sel:[0,0,1] op_sel_hi:[1,0,0]
	s_delay_alu instid0(VALU_DEP_1) | instskip(SKIP_4) | instid1(VALU_DEP_1)
	v_mov_b32_e32 v123, v119
	ds_load_2addr_b64 v[118:121], v112 offset0:39 offset1:40
	v_pk_add_f32 v[66:67], v[66:67], v[122:123] neg_lo:[0,1] neg_hi:[0,1]
	s_wait_dscnt 0x0
	v_pk_mul_f32 v[122:123], v[118:119], v[110:111] op_sel:[0,1]
	v_pk_fma_f32 v[124:125], v[118:119], v[108:109], v[122:123] op_sel:[0,0,1] op_sel_hi:[1,1,0] neg_lo:[0,0,1] neg_hi:[0,0,1]
	v_pk_fma_f32 v[118:119], v[118:119], v[108:109], v[122:123] op_sel:[0,0,1] op_sel_hi:[1,0,0]
	v_dual_mul_f32 v122, v121, v111 :: v_dual_mov_b32 v118, v121
	s_delay_alu instid0(VALU_DEP_2) | instskip(NEXT) | instid1(VALU_DEP_2)
	v_dual_mov_b32 v125, v119 :: v_dual_mov_b32 v119, v120
	v_pk_fma_f32 v[122:123], v[120:121], v[8:9], v[122:123] op_sel_hi:[1,1,0] neg_lo:[0,0,1] neg_hi:[0,0,1]
	v_mul_f32_e32 v120, v121, v108
	s_delay_alu instid0(VALU_DEP_3) | instskip(NEXT) | instid1(VALU_DEP_2)
	v_pk_add_f32 v[64:65], v[64:65], v[124:125] neg_lo:[0,1] neg_hi:[0,1]
	v_pk_fma_f32 v[118:119], v[118:119], v[8:9], v[120:121] op_sel_hi:[1,1,0]
	s_delay_alu instid0(VALU_DEP_1) | instskip(SKIP_4) | instid1(VALU_DEP_1)
	v_mov_b32_e32 v123, v119
	ds_load_2addr_b64 v[118:121], v112 offset0:41 offset1:42
	v_pk_add_f32 v[104:105], v[104:105], v[122:123] neg_lo:[0,1] neg_hi:[0,1]
	s_wait_dscnt 0x0
	v_pk_mul_f32 v[122:123], v[118:119], v[110:111] op_sel:[0,1]
	v_pk_fma_f32 v[124:125], v[118:119], v[108:109], v[122:123] op_sel:[0,0,1] op_sel_hi:[1,1,0] neg_lo:[0,0,1] neg_hi:[0,0,1]
	v_pk_fma_f32 v[118:119], v[118:119], v[108:109], v[122:123] op_sel:[0,0,1] op_sel_hi:[1,0,0]
	s_delay_alu instid0(VALU_DEP_1) | instskip(SKIP_1) | instid1(VALU_DEP_1)
	v_mov_b32_e32 v125, v119
	v_pk_mul_f32 v[118:119], v[120:121], v[110:111] op_sel:[0,1]
	v_pk_fma_f32 v[122:123], v[120:121], v[108:109], v[118:119] op_sel:[0,0,1] op_sel_hi:[1,1,0] neg_lo:[0,0,1] neg_hi:[0,0,1]
	v_pk_fma_f32 v[118:119], v[120:121], v[108:109], v[118:119] op_sel:[0,0,1] op_sel_hi:[1,0,0]
	s_delay_alu instid0(VALU_DEP_1)
	v_mov_b32_e32 v123, v119
	ds_load_2addr_b64 v[118:121], v112 offset0:43 offset1:44
	v_pk_add_f32 v[102:103], v[102:103], v[124:125] neg_lo:[0,1] neg_hi:[0,1]
	v_pk_add_f32 v[76:77], v[76:77], v[122:123] neg_lo:[0,1] neg_hi:[0,1]
	s_wait_dscnt 0x0
	v_pk_mul_f32 v[122:123], v[118:119], v[110:111] op_sel:[0,1]
	s_delay_alu instid0(VALU_DEP_1) | instskip(SKIP_1) | instid1(VALU_DEP_1)
	v_pk_fma_f32 v[124:125], v[118:119], v[108:109], v[122:123] op_sel:[0,0,1] op_sel_hi:[1,1,0] neg_lo:[0,0,1] neg_hi:[0,0,1]
	v_pk_fma_f32 v[118:119], v[118:119], v[108:109], v[122:123] op_sel:[0,0,1] op_sel_hi:[1,0,0]
	v_mov_b32_e32 v125, v119
	v_pk_mul_f32 v[118:119], v[120:121], v[110:111] op_sel:[0,1]
	s_delay_alu instid0(VALU_DEP_1) | instskip(SKIP_1) | instid1(VALU_DEP_1)
	v_pk_fma_f32 v[122:123], v[120:121], v[108:109], v[118:119] op_sel:[0,0,1] op_sel_hi:[1,1,0] neg_lo:[0,0,1] neg_hi:[0,0,1]
	v_pk_fma_f32 v[118:119], v[120:121], v[108:109], v[118:119] op_sel:[0,0,1] op_sel_hi:[1,0,0]
	v_mov_b32_e32 v123, v119
	ds_load_2addr_b64 v[118:121], v112 offset0:45 offset1:46
	v_pk_add_f32 v[74:75], v[74:75], v[124:125] neg_lo:[0,1] neg_hi:[0,1]
	v_pk_add_f32 v[98:99], v[98:99], v[122:123] neg_lo:[0,1] neg_hi:[0,1]
	s_wait_dscnt 0x0
	v_dual_mul_f32 v122, v119, v111 :: v_dual_mul_f32 v124, v119, v108
	s_delay_alu instid0(VALU_DEP_1) | instskip(NEXT) | instid1(VALU_DEP_2)
	v_pk_fma_f32 v[122:123], v[118:119], v[8:9], v[122:123] op_sel_hi:[1,1,0] neg_lo:[0,0,1] neg_hi:[0,0,1]
	v_pk_fma_f32 v[118:119], v[118:119], v[8:9], v[124:125] op_sel:[1,0,0] op_sel_hi:[0,1,0]
	s_delay_alu instid0(VALU_DEP_1) | instskip(SKIP_1) | instid1(VALU_DEP_2)
	v_mov_b32_e32 v123, v119
	v_pk_mul_f32 v[118:119], v[120:121], v[110:111] op_sel:[0,1]
	v_pk_add_f32 v[96:97], v[96:97], v[122:123] neg_lo:[0,1] neg_hi:[0,1]
	s_delay_alu instid0(VALU_DEP_2) | instskip(SKIP_1) | instid1(VALU_DEP_1)
	v_pk_fma_f32 v[122:123], v[120:121], v[108:109], v[118:119] op_sel:[0,0,1] op_sel_hi:[1,1,0] neg_lo:[0,0,1] neg_hi:[0,0,1]
	v_pk_fma_f32 v[118:119], v[120:121], v[108:109], v[118:119] op_sel:[0,0,1] op_sel_hi:[1,0,0]
	v_mov_b32_e32 v123, v119
	ds_load_2addr_b64 v[118:121], v112 offset0:47 offset1:48
	v_pk_add_f32 v[80:81], v[80:81], v[122:123] neg_lo:[0,1] neg_hi:[0,1]
	s_wait_dscnt 0x0
	v_pk_mul_f32 v[122:123], v[118:119], v[110:111] op_sel:[0,1]
	s_delay_alu instid0(VALU_DEP_1) | instskip(SKIP_1) | instid1(VALU_DEP_1)
	v_pk_fma_f32 v[124:125], v[118:119], v[108:109], v[122:123] op_sel:[0,0,1] op_sel_hi:[1,1,0] neg_lo:[0,0,1] neg_hi:[0,0,1]
	v_pk_fma_f32 v[118:119], v[118:119], v[108:109], v[122:123] op_sel:[0,0,1] op_sel_hi:[1,0,0]
	v_mov_b32_e32 v125, v119
	v_pk_mul_f32 v[118:119], v[120:121], v[110:111] op_sel:[0,1]
	s_delay_alu instid0(VALU_DEP_2) | instskip(NEXT) | instid1(VALU_DEP_2)
	v_pk_add_f32 v[78:79], v[78:79], v[124:125] neg_lo:[0,1] neg_hi:[0,1]
	v_pk_fma_f32 v[122:123], v[120:121], v[108:109], v[118:119] op_sel:[0,0,1] op_sel_hi:[1,1,0] neg_lo:[0,0,1] neg_hi:[0,0,1]
	v_pk_fma_f32 v[118:119], v[120:121], v[108:109], v[118:119] op_sel:[0,0,1] op_sel_hi:[1,0,0]
	s_delay_alu instid0(VALU_DEP_1)
	v_mov_b32_e32 v123, v119
	ds_load_2addr_b64 v[118:121], v112 offset0:49 offset1:50
	v_pk_add_f32 v[88:89], v[88:89], v[122:123] neg_lo:[0,1] neg_hi:[0,1]
	s_wait_dscnt 0x0
	v_pk_mul_f32 v[122:123], v[118:119], v[110:111] op_sel:[0,1]
	v_pk_mul_f32 v[110:111], v[120:121], v[110:111] op_sel:[0,1]
	s_delay_alu instid0(VALU_DEP_2) | instskip(SKIP_1) | instid1(VALU_DEP_1)
	v_pk_fma_f32 v[124:125], v[118:119], v[108:109], v[122:123] op_sel:[0,0,1] op_sel_hi:[1,1,0] neg_lo:[0,0,1] neg_hi:[0,0,1]
	v_pk_fma_f32 v[118:119], v[118:119], v[108:109], v[122:123] op_sel:[0,0,1] op_sel_hi:[1,0,0]
	v_mov_b32_e32 v125, v119
	s_delay_alu instid0(VALU_DEP_4) | instskip(SKIP_1) | instid1(VALU_DEP_3)
	v_pk_fma_f32 v[118:119], v[120:121], v[108:109], v[110:111] op_sel:[0,0,1] op_sel_hi:[1,1,0] neg_lo:[0,0,1] neg_hi:[0,0,1]
	v_pk_fma_f32 v[108:109], v[120:121], v[108:109], v[110:111] op_sel:[0,0,1] op_sel_hi:[1,0,0]
	v_pk_add_f32 v[86:87], v[86:87], v[124:125] neg_lo:[0,1] neg_hi:[0,1]
	s_delay_alu instid0(VALU_DEP_2) | instskip(NEXT) | instid1(VALU_DEP_1)
	v_mov_b32_e32 v119, v109
	v_pk_add_f32 v[106:107], v[106:107], v[118:119] neg_lo:[0,1] neg_hi:[0,1]
.LBB100_146:
	s_or_b32 exec_lo, exec_lo, s0
	v_lshl_add_u32 v108, v116, 3, v112
	s_barrier_signal -1
	s_barrier_wait -1
	ds_store_b64 v108, v[6:7]
	s_wait_dscnt 0x0
	s_barrier_signal -1
	s_barrier_wait -1
	ds_load_b64 v[110:111], v112 offset:56
	v_mov_b32_e32 v108, 7
	s_cmp_lt_i32 s18, 9
	s_cbranch_scc1 .LBB100_149
; %bb.147:
	v_add3_u32 v109, v113, 0, 64
	v_mov_b32_e32 v108, 7
	s_mov_b32 s0, 8
.LBB100_148:                            ; =>This Inner Loop Header: Depth=1
	ds_load_b64 v[118:119], v109
	s_wait_dscnt 0x1
	v_cmp_gt_f32_e32 vcc_lo, 0, v110
	v_cndmask_b32_e64 v120, v110, -v110, vcc_lo
	v_cmp_gt_f32_e32 vcc_lo, 0, v111
	v_cndmask_b32_e64 v122, v111, -v111, vcc_lo
	s_wait_dscnt 0x0
	v_cmp_gt_f32_e32 vcc_lo, 0, v118
	v_cndmask_b32_e64 v121, v118, -v118, vcc_lo
	v_cmp_gt_f32_e32 vcc_lo, 0, v119
	v_cndmask_b32_e64 v123, v119, -v119, vcc_lo
	s_delay_alu instid0(VALU_DEP_1) | instskip(NEXT) | instid1(VALU_DEP_1)
	v_pk_add_f32 v[120:121], v[120:121], v[122:123]
	v_cmp_lt_f32_e32 vcc_lo, v120, v121
	v_dual_add_nc_u32 v109, 8, v109 :: v_dual_cndmask_b32 v111, v111, v119, vcc_lo
	v_cndmask_b32_e32 v110, v110, v118, vcc_lo
	v_cndmask_b32_e64 v108, v108, s0, vcc_lo
	s_add_co_i32 s0, s0, 1
	s_delay_alu instid0(SALU_CYCLE_1)
	s_cmp_lg_u32 s18, s0
	s_cbranch_scc1 .LBB100_148
.LBB100_149:
	s_wait_dscnt 0x0
	v_cmp_eq_f32_e32 vcc_lo, 0, v110
	v_cmp_eq_f32_e64 s0, 0, v111
	s_and_b32 s0, vcc_lo, s0
	s_delay_alu instid0(SALU_CYCLE_1) | instskip(NEXT) | instid1(SALU_CYCLE_1)
	s_and_saveexec_b32 s1, s0
	s_xor_b32 s0, exec_lo, s1
; %bb.150:
	v_cmp_ne_u32_e32 vcc_lo, 0, v114
	v_cndmask_b32_e32 v114, 8, v114, vcc_lo
; %bb.151:
	s_and_not1_saveexec_b32 s0, s0
	s_cbranch_execz .LBB100_157
; %bb.152:
	v_cmp_ngt_f32_e64 s1, |v110|, |v111|
	s_and_saveexec_b32 s12, s1
	s_delay_alu instid0(SALU_CYCLE_1)
	s_xor_b32 s1, exec_lo, s12
	s_cbranch_execz .LBB100_154
; %bb.153:
	v_div_scale_f32 v109, null, v111, v111, v110
	v_div_scale_f32 v119, vcc_lo, v110, v111, v110
	s_delay_alu instid0(VALU_DEP_2) | instskip(SKIP_1) | instid1(TRANS32_DEP_1)
	v_rcp_f32_e32 v117, v109
	v_nop
	v_fma_f32 v118, -v109, v117, 1.0
	s_delay_alu instid0(VALU_DEP_1) | instskip(NEXT) | instid1(VALU_DEP_1)
	v_fmac_f32_e32 v117, v118, v117
	v_mul_f32_e32 v118, v119, v117
	s_delay_alu instid0(VALU_DEP_1) | instskip(NEXT) | instid1(VALU_DEP_1)
	v_fma_f32 v120, -v109, v118, v119
	v_fmac_f32_e32 v118, v120, v117
	s_delay_alu instid0(VALU_DEP_1) | instskip(NEXT) | instid1(VALU_DEP_1)
	v_fma_f32 v109, -v109, v118, v119
	v_div_fmas_f32 v109, v109, v117, v118
	s_delay_alu instid0(VALU_DEP_1) | instskip(NEXT) | instid1(VALU_DEP_1)
	v_div_fixup_f32 v109, v109, v111, v110
	v_fmac_f32_e32 v111, v110, v109
	s_delay_alu instid0(VALU_DEP_1) | instskip(SKIP_1) | instid1(VALU_DEP_2)
	v_div_scale_f32 v110, null, v111, v111, 1.0
	v_div_scale_f32 v119, vcc_lo, 1.0, v111, 1.0
	v_rcp_f32_e32 v117, v110
	v_nop
	s_delay_alu instid0(TRANS32_DEP_1) | instskip(NEXT) | instid1(VALU_DEP_1)
	v_fma_f32 v118, -v110, v117, 1.0
	v_fmac_f32_e32 v117, v118, v117
	s_delay_alu instid0(VALU_DEP_1) | instskip(NEXT) | instid1(VALU_DEP_1)
	v_mul_f32_e32 v118, v119, v117
	v_fma_f32 v120, -v110, v118, v119
	s_delay_alu instid0(VALU_DEP_1) | instskip(NEXT) | instid1(VALU_DEP_1)
	v_fmac_f32_e32 v118, v120, v117
	v_fma_f32 v110, -v110, v118, v119
	s_delay_alu instid0(VALU_DEP_1) | instskip(NEXT) | instid1(VALU_DEP_1)
	v_div_fmas_f32 v110, v110, v117, v118
	v_div_fixup_f32 v111, v110, v111, 1.0
	s_delay_alu instid0(VALU_DEP_1)
	v_mul_f32_e32 v110, v109, v111
	v_xor_b32_e32 v111, 0x80000000, v111
.LBB100_154:
	s_and_not1_saveexec_b32 s1, s1
	s_cbranch_execz .LBB100_156
; %bb.155:
	s_delay_alu instid0(VALU_DEP_1) | instskip(SKIP_1) | instid1(VALU_DEP_2)
	v_div_scale_f32 v109, null, v110, v110, v111
	v_div_scale_f32 v119, vcc_lo, v111, v110, v111
	v_rcp_f32_e32 v117, v109
	v_nop
	s_delay_alu instid0(TRANS32_DEP_1) | instskip(NEXT) | instid1(VALU_DEP_1)
	v_fma_f32 v118, -v109, v117, 1.0
	v_fmac_f32_e32 v117, v118, v117
	s_delay_alu instid0(VALU_DEP_1) | instskip(NEXT) | instid1(VALU_DEP_1)
	v_mul_f32_e32 v118, v119, v117
	v_fma_f32 v120, -v109, v118, v119
	s_delay_alu instid0(VALU_DEP_1) | instskip(NEXT) | instid1(VALU_DEP_1)
	v_fmac_f32_e32 v118, v120, v117
	v_fma_f32 v109, -v109, v118, v119
	s_delay_alu instid0(VALU_DEP_1) | instskip(NEXT) | instid1(VALU_DEP_1)
	v_div_fmas_f32 v109, v109, v117, v118
	v_div_fixup_f32 v109, v109, v110, v111
	s_delay_alu instid0(VALU_DEP_1) | instskip(NEXT) | instid1(VALU_DEP_1)
	v_fmac_f32_e32 v110, v111, v109
	v_div_scale_f32 v111, null, v110, v110, 1.0
	s_delay_alu instid0(VALU_DEP_1) | instskip(SKIP_1) | instid1(TRANS32_DEP_1)
	v_rcp_f32_e32 v117, v111
	v_nop
	v_fma_f32 v118, -v111, v117, 1.0
	s_delay_alu instid0(VALU_DEP_1) | instskip(SKIP_1) | instid1(VALU_DEP_1)
	v_fmac_f32_e32 v117, v118, v117
	v_div_scale_f32 v118, vcc_lo, 1.0, v110, 1.0
	v_mul_f32_e32 v119, v118, v117
	s_delay_alu instid0(VALU_DEP_1) | instskip(NEXT) | instid1(VALU_DEP_1)
	v_fma_f32 v120, -v111, v119, v118
	v_fmac_f32_e32 v119, v120, v117
	s_delay_alu instid0(VALU_DEP_1) | instskip(NEXT) | instid1(VALU_DEP_1)
	v_fma_f32 v111, -v111, v119, v118
	v_div_fmas_f32 v111, v111, v117, v119
	s_delay_alu instid0(VALU_DEP_1) | instskip(NEXT) | instid1(VALU_DEP_1)
	v_div_fixup_f32 v110, v111, v110, 1.0
	v_mul_f32_e64 v111, v109, -v110
.LBB100_156:
	s_or_b32 exec_lo, exec_lo, s1
.LBB100_157:
	s_delay_alu instid0(SALU_CYCLE_1) | instskip(NEXT) | instid1(SALU_CYCLE_1)
	s_or_b32 exec_lo, exec_lo, s0
	s_mov_b32 s0, exec_lo
	v_cmpx_ne_u32_e64 v116, v108
	s_xor_b32 s0, exec_lo, s0
	s_cbranch_execz .LBB100_163
; %bb.158:
	s_mov_b32 s1, exec_lo
	v_cmpx_eq_u32_e32 7, v116
	s_cbranch_execz .LBB100_162
; %bb.159:
	v_cmp_ne_u32_e32 vcc_lo, 7, v108
	s_xor_b32 s12, s16, -1
	s_delay_alu instid0(SALU_CYCLE_1) | instskip(NEXT) | instid1(SALU_CYCLE_1)
	s_and_b32 s13, s12, vcc_lo
	s_and_saveexec_b32 s12, s13
	s_cbranch_execz .LBB100_161
; %bb.160:
	v_ashrrev_i32_e32 v109, 31, v108
	s_delay_alu instid0(VALU_DEP_1)
	v_lshl_add_u64 v[116:117], v[108:109], 2, v[4:5]
	s_clause 0x1
	global_load_b32 v109, v[116:117], off
	global_load_b32 v115, v[4:5], off offset:28
	s_wait_loadcnt 0x1
	global_store_b32 v[4:5], v109, off offset:28
	s_wait_loadcnt 0x0
	global_store_b32 v[116:117], v115, off
.LBB100_161:
	s_wait_xcnt 0x0
	s_or_b32 exec_lo, exec_lo, s12
	v_dual_mov_b32 v116, v108 :: v_dual_mov_b32 v115, v108
.LBB100_162:
	s_or_b32 exec_lo, exec_lo, s1
.LBB100_163:
	s_and_not1_saveexec_b32 s0, s0
	s_cbranch_execz .LBB100_165
; %bb.164:
	v_dual_mov_b32 v108, v28 :: v_dual_mov_b32 v109, v29
	v_dual_mov_b32 v116, v26 :: v_dual_mov_b32 v117, v27
	ds_store_2addr_b64 v112, v[108:109], v[116:117] offset0:8 offset1:9
	v_dual_mov_b32 v108, v12 :: v_dual_mov_b32 v109, v13
	v_dual_mov_b32 v116, v10 :: v_dual_mov_b32 v117, v11
	ds_store_2addr_b64 v112, v[108:109], v[116:117] offset0:10 offset1:11
	;; [unrolled: 3-line block ×21, first 2 shown]
	ds_store_b64 v112, v[106:107] offset:400
	v_mov_b32_e32 v116, 7
.LBB100_165:
	s_or_b32 exec_lo, exec_lo, s0
	s_delay_alu instid0(SALU_CYCLE_1)
	s_mov_b32 s0, exec_lo
	s_wait_storecnt_dscnt 0x0
	s_barrier_signal -1
	s_barrier_wait -1
	v_cmpx_lt_i32_e32 7, v116
	s_cbranch_execz .LBB100_167
; %bb.166:
	v_pk_mul_f32 v[118:119], v[110:111], v[6:7] op_sel:[1,1] op_sel_hi:[0,1]
	s_delay_alu instid0(VALU_DEP_1)
	v_pk_fma_f32 v[108:109], v[110:111], v[6:7], v[118:119] op_sel_hi:[1,0,1] neg_lo:[0,0,1] neg_hi:[0,0,1]
	v_pk_fma_f32 v[110:111], v[110:111], v[6:7], v[118:119] op_sel_hi:[1,0,1]
	ds_load_2addr_b64 v[118:121], v112 offset0:8 offset1:9
	v_dual_mov_b32 v6, v108 :: v_dual_mov_b32 v7, v111
	s_wait_dscnt 0x0
	v_pk_mul_f32 v[122:123], v[118:119], v[110:111] op_sel:[0,1]
	s_delay_alu instid0(VALU_DEP_1) | instskip(SKIP_1) | instid1(VALU_DEP_1)
	v_pk_fma_f32 v[124:125], v[118:119], v[108:109], v[122:123] op_sel:[0,0,1] op_sel_hi:[1,1,0] neg_lo:[0,0,1] neg_hi:[0,0,1]
	v_pk_fma_f32 v[118:119], v[118:119], v[108:109], v[122:123] op_sel:[0,0,1] op_sel_hi:[1,0,0]
	v_mov_b32_e32 v125, v119
	v_pk_mul_f32 v[118:119], v[120:121], v[110:111] op_sel:[0,1]
	s_delay_alu instid0(VALU_DEP_1) | instskip(SKIP_1) | instid1(VALU_DEP_1)
	v_pk_fma_f32 v[122:123], v[120:121], v[108:109], v[118:119] op_sel:[0,0,1] op_sel_hi:[1,1,0] neg_lo:[0,0,1] neg_hi:[0,0,1]
	v_pk_fma_f32 v[118:119], v[120:121], v[108:109], v[118:119] op_sel:[0,0,1] op_sel_hi:[1,0,0]
	v_mov_b32_e32 v123, v119
	ds_load_2addr_b64 v[118:121], v112 offset0:10 offset1:11
	v_pk_add_f32 v[28:29], v[28:29], v[124:125] neg_lo:[0,1] neg_hi:[0,1]
	v_pk_add_f32 v[26:27], v[26:27], v[122:123] neg_lo:[0,1] neg_hi:[0,1]
	s_wait_dscnt 0x0
	v_pk_mul_f32 v[122:123], v[118:119], v[110:111] op_sel:[0,1]
	s_delay_alu instid0(VALU_DEP_1) | instskip(SKIP_2) | instid1(VALU_DEP_2)
	v_pk_fma_f32 v[124:125], v[118:119], v[108:109], v[122:123] op_sel:[0,0,1] op_sel_hi:[1,1,0] neg_lo:[0,0,1] neg_hi:[0,0,1]
	v_pk_fma_f32 v[118:119], v[118:119], v[108:109], v[122:123] op_sel:[0,0,1] op_sel_hi:[1,0,0]
	v_dual_mul_f32 v122, v121, v111 :: v_dual_mov_b32 v118, v121
	v_dual_mov_b32 v125, v119 :: v_dual_mov_b32 v119, v120
	s_delay_alu instid0(VALU_DEP_2) | instskip(SKIP_1) | instid1(VALU_DEP_3)
	v_pk_fma_f32 v[122:123], v[120:121], v[6:7], v[122:123] op_sel_hi:[1,1,0] neg_lo:[0,0,1] neg_hi:[0,0,1]
	v_mul_f32_e32 v120, v121, v108
	v_pk_add_f32 v[12:13], v[12:13], v[124:125] neg_lo:[0,1] neg_hi:[0,1]
	s_delay_alu instid0(VALU_DEP_2) | instskip(NEXT) | instid1(VALU_DEP_1)
	v_pk_fma_f32 v[118:119], v[118:119], v[6:7], v[120:121] op_sel_hi:[1,1,0]
	v_mov_b32_e32 v123, v119
	ds_load_2addr_b64 v[118:121], v112 offset0:12 offset1:13
	v_pk_add_f32 v[10:11], v[10:11], v[122:123] neg_lo:[0,1] neg_hi:[0,1]
	s_wait_dscnt 0x0
	v_pk_mul_f32 v[122:123], v[118:119], v[110:111] op_sel:[0,1]
	s_delay_alu instid0(VALU_DEP_1) | instskip(SKIP_1) | instid1(VALU_DEP_1)
	v_pk_fma_f32 v[124:125], v[118:119], v[108:109], v[122:123] op_sel:[0,0,1] op_sel_hi:[1,1,0] neg_lo:[0,0,1] neg_hi:[0,0,1]
	v_pk_fma_f32 v[118:119], v[118:119], v[108:109], v[122:123] op_sel:[0,0,1] op_sel_hi:[1,0,0]
	v_mov_b32_e32 v125, v119
	v_pk_mul_f32 v[118:119], v[120:121], v[110:111] op_sel:[0,1]
	s_delay_alu instid0(VALU_DEP_1) | instskip(SKIP_1) | instid1(VALU_DEP_1)
	v_pk_fma_f32 v[122:123], v[120:121], v[108:109], v[118:119] op_sel:[0,0,1] op_sel_hi:[1,1,0] neg_lo:[0,0,1] neg_hi:[0,0,1]
	v_pk_fma_f32 v[118:119], v[120:121], v[108:109], v[118:119] op_sel:[0,0,1] op_sel_hi:[1,0,0]
	v_mov_b32_e32 v123, v119
	ds_load_2addr_b64 v[118:121], v112 offset0:14 offset1:15
	v_pk_add_f32 v[36:37], v[36:37], v[124:125] neg_lo:[0,1] neg_hi:[0,1]
	v_pk_add_f32 v[34:35], v[34:35], v[122:123] neg_lo:[0,1] neg_hi:[0,1]
	s_wait_dscnt 0x0
	v_pk_mul_f32 v[122:123], v[118:119], v[110:111] op_sel:[0,1]
	s_delay_alu instid0(VALU_DEP_1) | instskip(SKIP_1) | instid1(VALU_DEP_1)
	v_pk_fma_f32 v[124:125], v[118:119], v[108:109], v[122:123] op_sel:[0,0,1] op_sel_hi:[1,1,0] neg_lo:[0,0,1] neg_hi:[0,0,1]
	v_pk_fma_f32 v[118:119], v[118:119], v[108:109], v[122:123] op_sel:[0,0,1] op_sel_hi:[1,0,0]
	v_mov_b32_e32 v125, v119
	v_pk_mul_f32 v[118:119], v[120:121], v[110:111] op_sel:[0,1]
	s_delay_alu instid0(VALU_DEP_1) | instskip(SKIP_1) | instid1(VALU_DEP_1)
	v_pk_fma_f32 v[122:123], v[120:121], v[108:109], v[118:119] op_sel:[0,0,1] op_sel_hi:[1,1,0] neg_lo:[0,0,1] neg_hi:[0,0,1]
	v_pk_fma_f32 v[118:119], v[120:121], v[108:109], v[118:119] op_sel:[0,0,1] op_sel_hi:[1,0,0]
	v_mov_b32_e32 v123, v119
	ds_load_2addr_b64 v[118:121], v112 offset0:16 offset1:17
	v_pk_add_f32 v[18:19], v[18:19], v[124:125] neg_lo:[0,1] neg_hi:[0,1]
	v_pk_add_f32 v[14:15], v[14:15], v[122:123] neg_lo:[0,1] neg_hi:[0,1]
	s_wait_dscnt 0x0
	v_dual_mul_f32 v122, v119, v111 :: v_dual_mul_f32 v124, v119, v108
	s_delay_alu instid0(VALU_DEP_1) | instskip(NEXT) | instid1(VALU_DEP_2)
	v_pk_fma_f32 v[122:123], v[118:119], v[6:7], v[122:123] op_sel_hi:[1,1,0] neg_lo:[0,0,1] neg_hi:[0,0,1]
	v_pk_fma_f32 v[118:119], v[118:119], v[6:7], v[124:125] op_sel:[1,0,0] op_sel_hi:[0,1,0]
	s_delay_alu instid0(VALU_DEP_1) | instskip(SKIP_1) | instid1(VALU_DEP_2)
	v_mov_b32_e32 v123, v119
	v_pk_mul_f32 v[118:119], v[120:121], v[110:111] op_sel:[0,1]
	v_pk_add_f32 v[44:45], v[44:45], v[122:123] neg_lo:[0,1] neg_hi:[0,1]
	s_delay_alu instid0(VALU_DEP_2) | instskip(SKIP_1) | instid1(VALU_DEP_1)
	v_pk_fma_f32 v[122:123], v[120:121], v[108:109], v[118:119] op_sel:[0,0,1] op_sel_hi:[1,1,0] neg_lo:[0,0,1] neg_hi:[0,0,1]
	v_pk_fma_f32 v[118:119], v[120:121], v[108:109], v[118:119] op_sel:[0,0,1] op_sel_hi:[1,0,0]
	v_mov_b32_e32 v123, v119
	ds_load_2addr_b64 v[118:121], v112 offset0:18 offset1:19
	v_pk_add_f32 v[42:43], v[42:43], v[122:123] neg_lo:[0,1] neg_hi:[0,1]
	s_wait_dscnt 0x0
	v_pk_mul_f32 v[122:123], v[118:119], v[110:111] op_sel:[0,1]
	s_delay_alu instid0(VALU_DEP_1) | instskip(SKIP_1) | instid1(VALU_DEP_1)
	v_pk_fma_f32 v[124:125], v[118:119], v[108:109], v[122:123] op_sel:[0,0,1] op_sel_hi:[1,1,0] neg_lo:[0,0,1] neg_hi:[0,0,1]
	v_pk_fma_f32 v[118:119], v[118:119], v[108:109], v[122:123] op_sel:[0,0,1] op_sel_hi:[1,0,0]
	v_mov_b32_e32 v125, v119
	v_pk_mul_f32 v[118:119], v[120:121], v[110:111] op_sel:[0,1]
	s_delay_alu instid0(VALU_DEP_2) | instskip(NEXT) | instid1(VALU_DEP_2)
	v_pk_add_f32 v[22:23], v[22:23], v[124:125] neg_lo:[0,1] neg_hi:[0,1]
	v_pk_fma_f32 v[122:123], v[120:121], v[108:109], v[118:119] op_sel:[0,0,1] op_sel_hi:[1,1,0] neg_lo:[0,0,1] neg_hi:[0,0,1]
	v_pk_fma_f32 v[118:119], v[120:121], v[108:109], v[118:119] op_sel:[0,0,1] op_sel_hi:[1,0,0]
	s_delay_alu instid0(VALU_DEP_1) | instskip(SKIP_4) | instid1(VALU_DEP_1)
	v_mov_b32_e32 v123, v119
	ds_load_2addr_b64 v[118:121], v112 offset0:20 offset1:21
	v_pk_add_f32 v[20:21], v[20:21], v[122:123] neg_lo:[0,1] neg_hi:[0,1]
	s_wait_dscnt 0x0
	v_pk_mul_f32 v[122:123], v[118:119], v[110:111] op_sel:[0,1]
	v_pk_fma_f32 v[124:125], v[118:119], v[108:109], v[122:123] op_sel:[0,0,1] op_sel_hi:[1,1,0] neg_lo:[0,0,1] neg_hi:[0,0,1]
	v_pk_fma_f32 v[118:119], v[118:119], v[108:109], v[122:123] op_sel:[0,0,1] op_sel_hi:[1,0,0]
	v_dual_mul_f32 v122, v121, v111 :: v_dual_mov_b32 v118, v121
	s_delay_alu instid0(VALU_DEP_2) | instskip(NEXT) | instid1(VALU_DEP_2)
	v_dual_mov_b32 v125, v119 :: v_dual_mov_b32 v119, v120
	v_pk_fma_f32 v[122:123], v[120:121], v[6:7], v[122:123] op_sel_hi:[1,1,0] neg_lo:[0,0,1] neg_hi:[0,0,1]
	v_mul_f32_e32 v120, v121, v108
	s_delay_alu instid0(VALU_DEP_3) | instskip(NEXT) | instid1(VALU_DEP_2)
	v_pk_add_f32 v[52:53], v[52:53], v[124:125] neg_lo:[0,1] neg_hi:[0,1]
	v_pk_fma_f32 v[118:119], v[118:119], v[6:7], v[120:121] op_sel_hi:[1,1,0]
	s_delay_alu instid0(VALU_DEP_1) | instskip(SKIP_4) | instid1(VALU_DEP_1)
	v_mov_b32_e32 v123, v119
	ds_load_2addr_b64 v[118:121], v112 offset0:22 offset1:23
	v_pk_add_f32 v[50:51], v[50:51], v[122:123] neg_lo:[0,1] neg_hi:[0,1]
	s_wait_dscnt 0x0
	v_pk_mul_f32 v[122:123], v[118:119], v[110:111] op_sel:[0,1]
	v_pk_fma_f32 v[124:125], v[118:119], v[108:109], v[122:123] op_sel:[0,0,1] op_sel_hi:[1,1,0] neg_lo:[0,0,1] neg_hi:[0,0,1]
	v_pk_fma_f32 v[118:119], v[118:119], v[108:109], v[122:123] op_sel:[0,0,1] op_sel_hi:[1,0,0]
	s_delay_alu instid0(VALU_DEP_1) | instskip(SKIP_1) | instid1(VALU_DEP_1)
	v_mov_b32_e32 v125, v119
	v_pk_mul_f32 v[118:119], v[120:121], v[110:111] op_sel:[0,1]
	v_pk_fma_f32 v[122:123], v[120:121], v[108:109], v[118:119] op_sel:[0,0,1] op_sel_hi:[1,1,0] neg_lo:[0,0,1] neg_hi:[0,0,1]
	v_pk_fma_f32 v[118:119], v[120:121], v[108:109], v[118:119] op_sel:[0,0,1] op_sel_hi:[1,0,0]
	s_delay_alu instid0(VALU_DEP_1)
	v_mov_b32_e32 v123, v119
	ds_load_2addr_b64 v[118:121], v112 offset0:24 offset1:25
	v_pk_add_f32 v[32:33], v[32:33], v[124:125] neg_lo:[0,1] neg_hi:[0,1]
	v_pk_add_f32 v[30:31], v[30:31], v[122:123] neg_lo:[0,1] neg_hi:[0,1]
	s_wait_dscnt 0x0
	v_pk_mul_f32 v[122:123], v[118:119], v[110:111] op_sel:[0,1]
	s_delay_alu instid0(VALU_DEP_1) | instskip(SKIP_1) | instid1(VALU_DEP_1)
	v_pk_fma_f32 v[124:125], v[118:119], v[108:109], v[122:123] op_sel:[0,0,1] op_sel_hi:[1,1,0] neg_lo:[0,0,1] neg_hi:[0,0,1]
	v_pk_fma_f32 v[118:119], v[118:119], v[108:109], v[122:123] op_sel:[0,0,1] op_sel_hi:[1,0,0]
	v_mov_b32_e32 v125, v119
	v_pk_mul_f32 v[118:119], v[120:121], v[110:111] op_sel:[0,1]
	s_delay_alu instid0(VALU_DEP_1) | instskip(SKIP_1) | instid1(VALU_DEP_1)
	v_pk_fma_f32 v[122:123], v[120:121], v[108:109], v[118:119] op_sel:[0,0,1] op_sel_hi:[1,1,0] neg_lo:[0,0,1] neg_hi:[0,0,1]
	v_pk_fma_f32 v[118:119], v[120:121], v[108:109], v[118:119] op_sel:[0,0,1] op_sel_hi:[1,0,0]
	v_mov_b32_e32 v123, v119
	ds_load_2addr_b64 v[118:121], v112 offset0:26 offset1:27
	v_pk_add_f32 v[62:63], v[62:63], v[124:125] neg_lo:[0,1] neg_hi:[0,1]
	v_pk_add_f32 v[60:61], v[60:61], v[122:123] neg_lo:[0,1] neg_hi:[0,1]
	s_wait_dscnt 0x0
	v_dual_mul_f32 v122, v119, v111 :: v_dual_mul_f32 v124, v119, v108
	s_delay_alu instid0(VALU_DEP_1) | instskip(NEXT) | instid1(VALU_DEP_2)
	v_pk_fma_f32 v[122:123], v[118:119], v[6:7], v[122:123] op_sel_hi:[1,1,0] neg_lo:[0,0,1] neg_hi:[0,0,1]
	v_pk_fma_f32 v[118:119], v[118:119], v[6:7], v[124:125] op_sel:[1,0,0] op_sel_hi:[0,1,0]
	s_delay_alu instid0(VALU_DEP_1) | instskip(SKIP_1) | instid1(VALU_DEP_2)
	v_mov_b32_e32 v123, v119
	v_pk_mul_f32 v[118:119], v[120:121], v[110:111] op_sel:[0,1]
	v_pk_add_f32 v[40:41], v[40:41], v[122:123] neg_lo:[0,1] neg_hi:[0,1]
	s_delay_alu instid0(VALU_DEP_2) | instskip(SKIP_1) | instid1(VALU_DEP_1)
	v_pk_fma_f32 v[122:123], v[120:121], v[108:109], v[118:119] op_sel:[0,0,1] op_sel_hi:[1,1,0] neg_lo:[0,0,1] neg_hi:[0,0,1]
	v_pk_fma_f32 v[118:119], v[120:121], v[108:109], v[118:119] op_sel:[0,0,1] op_sel_hi:[1,0,0]
	v_mov_b32_e32 v123, v119
	ds_load_2addr_b64 v[118:121], v112 offset0:28 offset1:29
	v_pk_add_f32 v[38:39], v[38:39], v[122:123] neg_lo:[0,1] neg_hi:[0,1]
	s_wait_dscnt 0x0
	v_pk_mul_f32 v[122:123], v[118:119], v[110:111] op_sel:[0,1]
	s_delay_alu instid0(VALU_DEP_1) | instskip(SKIP_1) | instid1(VALU_DEP_1)
	v_pk_fma_f32 v[124:125], v[118:119], v[108:109], v[122:123] op_sel:[0,0,1] op_sel_hi:[1,1,0] neg_lo:[0,0,1] neg_hi:[0,0,1]
	v_pk_fma_f32 v[118:119], v[118:119], v[108:109], v[122:123] op_sel:[0,0,1] op_sel_hi:[1,0,0]
	v_mov_b32_e32 v125, v119
	v_pk_mul_f32 v[118:119], v[120:121], v[110:111] op_sel:[0,1]
	s_delay_alu instid0(VALU_DEP_2) | instskip(NEXT) | instid1(VALU_DEP_2)
	v_pk_add_f32 v[70:71], v[70:71], v[124:125] neg_lo:[0,1] neg_hi:[0,1]
	v_pk_fma_f32 v[122:123], v[120:121], v[108:109], v[118:119] op_sel:[0,0,1] op_sel_hi:[1,1,0] neg_lo:[0,0,1] neg_hi:[0,0,1]
	v_pk_fma_f32 v[118:119], v[120:121], v[108:109], v[118:119] op_sel:[0,0,1] op_sel_hi:[1,0,0]
	s_delay_alu instid0(VALU_DEP_1) | instskip(SKIP_4) | instid1(VALU_DEP_1)
	v_mov_b32_e32 v123, v119
	ds_load_2addr_b64 v[118:121], v112 offset0:30 offset1:31
	v_pk_add_f32 v[68:69], v[68:69], v[122:123] neg_lo:[0,1] neg_hi:[0,1]
	s_wait_dscnt 0x0
	v_pk_mul_f32 v[122:123], v[118:119], v[110:111] op_sel:[0,1]
	v_pk_fma_f32 v[124:125], v[118:119], v[108:109], v[122:123] op_sel:[0,0,1] op_sel_hi:[1,1,0] neg_lo:[0,0,1] neg_hi:[0,0,1]
	v_pk_fma_f32 v[118:119], v[118:119], v[108:109], v[122:123] op_sel:[0,0,1] op_sel_hi:[1,0,0]
	v_dual_mul_f32 v122, v121, v111 :: v_dual_mov_b32 v118, v121
	s_delay_alu instid0(VALU_DEP_2) | instskip(NEXT) | instid1(VALU_DEP_2)
	v_dual_mov_b32 v125, v119 :: v_dual_mov_b32 v119, v120
	v_pk_fma_f32 v[122:123], v[120:121], v[6:7], v[122:123] op_sel_hi:[1,1,0] neg_lo:[0,0,1] neg_hi:[0,0,1]
	v_mul_f32_e32 v120, v121, v108
	s_delay_alu instid0(VALU_DEP_3) | instskip(NEXT) | instid1(VALU_DEP_2)
	v_pk_add_f32 v[48:49], v[48:49], v[124:125] neg_lo:[0,1] neg_hi:[0,1]
	v_pk_fma_f32 v[118:119], v[118:119], v[6:7], v[120:121] op_sel_hi:[1,1,0]
	s_delay_alu instid0(VALU_DEP_1) | instskip(SKIP_4) | instid1(VALU_DEP_1)
	v_mov_b32_e32 v123, v119
	ds_load_2addr_b64 v[118:121], v112 offset0:32 offset1:33
	v_pk_add_f32 v[46:47], v[46:47], v[122:123] neg_lo:[0,1] neg_hi:[0,1]
	s_wait_dscnt 0x0
	v_pk_mul_f32 v[122:123], v[118:119], v[110:111] op_sel:[0,1]
	v_pk_fma_f32 v[124:125], v[118:119], v[108:109], v[122:123] op_sel:[0,0,1] op_sel_hi:[1,1,0] neg_lo:[0,0,1] neg_hi:[0,0,1]
	v_pk_fma_f32 v[118:119], v[118:119], v[108:109], v[122:123] op_sel:[0,0,1] op_sel_hi:[1,0,0]
	s_delay_alu instid0(VALU_DEP_1) | instskip(SKIP_1) | instid1(VALU_DEP_1)
	v_mov_b32_e32 v125, v119
	v_pk_mul_f32 v[118:119], v[120:121], v[110:111] op_sel:[0,1]
	v_pk_fma_f32 v[122:123], v[120:121], v[108:109], v[118:119] op_sel:[0,0,1] op_sel_hi:[1,1,0] neg_lo:[0,0,1] neg_hi:[0,0,1]
	v_pk_fma_f32 v[118:119], v[120:121], v[108:109], v[118:119] op_sel:[0,0,1] op_sel_hi:[1,0,0]
	s_delay_alu instid0(VALU_DEP_1)
	v_mov_b32_e32 v123, v119
	ds_load_2addr_b64 v[118:121], v112 offset0:34 offset1:35
	v_pk_add_f32 v[84:85], v[84:85], v[124:125] neg_lo:[0,1] neg_hi:[0,1]
	v_pk_add_f32 v[82:83], v[82:83], v[122:123] neg_lo:[0,1] neg_hi:[0,1]
	s_wait_dscnt 0x0
	v_pk_mul_f32 v[122:123], v[118:119], v[110:111] op_sel:[0,1]
	s_delay_alu instid0(VALU_DEP_1) | instskip(SKIP_1) | instid1(VALU_DEP_1)
	v_pk_fma_f32 v[124:125], v[118:119], v[108:109], v[122:123] op_sel:[0,0,1] op_sel_hi:[1,1,0] neg_lo:[0,0,1] neg_hi:[0,0,1]
	v_pk_fma_f32 v[118:119], v[118:119], v[108:109], v[122:123] op_sel:[0,0,1] op_sel_hi:[1,0,0]
	v_mov_b32_e32 v125, v119
	v_pk_mul_f32 v[118:119], v[120:121], v[110:111] op_sel:[0,1]
	s_delay_alu instid0(VALU_DEP_1) | instskip(SKIP_1) | instid1(VALU_DEP_1)
	v_pk_fma_f32 v[122:123], v[120:121], v[108:109], v[118:119] op_sel:[0,0,1] op_sel_hi:[1,1,0] neg_lo:[0,0,1] neg_hi:[0,0,1]
	v_pk_fma_f32 v[118:119], v[120:121], v[108:109], v[118:119] op_sel:[0,0,1] op_sel_hi:[1,0,0]
	v_mov_b32_e32 v123, v119
	ds_load_2addr_b64 v[118:121], v112 offset0:36 offset1:37
	v_pk_add_f32 v[56:57], v[56:57], v[124:125] neg_lo:[0,1] neg_hi:[0,1]
	v_pk_add_f32 v[54:55], v[54:55], v[122:123] neg_lo:[0,1] neg_hi:[0,1]
	s_wait_dscnt 0x0
	v_dual_mul_f32 v122, v119, v111 :: v_dual_mul_f32 v124, v119, v108
	s_delay_alu instid0(VALU_DEP_1) | instskip(NEXT) | instid1(VALU_DEP_2)
	v_pk_fma_f32 v[122:123], v[118:119], v[6:7], v[122:123] op_sel_hi:[1,1,0] neg_lo:[0,0,1] neg_hi:[0,0,1]
	v_pk_fma_f32 v[118:119], v[118:119], v[6:7], v[124:125] op_sel:[1,0,0] op_sel_hi:[0,1,0]
	s_delay_alu instid0(VALU_DEP_1) | instskip(SKIP_1) | instid1(VALU_DEP_2)
	v_mov_b32_e32 v123, v119
	v_pk_mul_f32 v[118:119], v[120:121], v[110:111] op_sel:[0,1]
	v_pk_add_f32 v[94:95], v[94:95], v[122:123] neg_lo:[0,1] neg_hi:[0,1]
	s_delay_alu instid0(VALU_DEP_2) | instskip(SKIP_1) | instid1(VALU_DEP_1)
	v_pk_fma_f32 v[122:123], v[120:121], v[108:109], v[118:119] op_sel:[0,0,1] op_sel_hi:[1,1,0] neg_lo:[0,0,1] neg_hi:[0,0,1]
	v_pk_fma_f32 v[118:119], v[120:121], v[108:109], v[118:119] op_sel:[0,0,1] op_sel_hi:[1,0,0]
	v_mov_b32_e32 v123, v119
	ds_load_2addr_b64 v[118:121], v112 offset0:38 offset1:39
	v_pk_add_f32 v[92:93], v[92:93], v[122:123] neg_lo:[0,1] neg_hi:[0,1]
	s_wait_dscnt 0x0
	v_pk_mul_f32 v[122:123], v[118:119], v[110:111] op_sel:[0,1]
	s_delay_alu instid0(VALU_DEP_1) | instskip(SKIP_1) | instid1(VALU_DEP_1)
	v_pk_fma_f32 v[124:125], v[118:119], v[108:109], v[122:123] op_sel:[0,0,1] op_sel_hi:[1,1,0] neg_lo:[0,0,1] neg_hi:[0,0,1]
	v_pk_fma_f32 v[118:119], v[118:119], v[108:109], v[122:123] op_sel:[0,0,1] op_sel_hi:[1,0,0]
	v_mov_b32_e32 v125, v119
	v_pk_mul_f32 v[118:119], v[120:121], v[110:111] op_sel:[0,1]
	s_delay_alu instid0(VALU_DEP_2) | instskip(NEXT) | instid1(VALU_DEP_2)
	v_pk_add_f32 v[66:67], v[66:67], v[124:125] neg_lo:[0,1] neg_hi:[0,1]
	v_pk_fma_f32 v[122:123], v[120:121], v[108:109], v[118:119] op_sel:[0,0,1] op_sel_hi:[1,1,0] neg_lo:[0,0,1] neg_hi:[0,0,1]
	v_pk_fma_f32 v[118:119], v[120:121], v[108:109], v[118:119] op_sel:[0,0,1] op_sel_hi:[1,0,0]
	s_delay_alu instid0(VALU_DEP_1) | instskip(SKIP_4) | instid1(VALU_DEP_1)
	v_mov_b32_e32 v123, v119
	ds_load_2addr_b64 v[118:121], v112 offset0:40 offset1:41
	v_pk_add_f32 v[64:65], v[64:65], v[122:123] neg_lo:[0,1] neg_hi:[0,1]
	s_wait_dscnt 0x0
	v_pk_mul_f32 v[122:123], v[118:119], v[110:111] op_sel:[0,1]
	v_pk_fma_f32 v[124:125], v[118:119], v[108:109], v[122:123] op_sel:[0,0,1] op_sel_hi:[1,1,0] neg_lo:[0,0,1] neg_hi:[0,0,1]
	v_pk_fma_f32 v[118:119], v[118:119], v[108:109], v[122:123] op_sel:[0,0,1] op_sel_hi:[1,0,0]
	v_dual_mul_f32 v122, v121, v111 :: v_dual_mov_b32 v118, v121
	s_delay_alu instid0(VALU_DEP_2) | instskip(NEXT) | instid1(VALU_DEP_2)
	v_dual_mov_b32 v125, v119 :: v_dual_mov_b32 v119, v120
	v_pk_fma_f32 v[122:123], v[120:121], v[6:7], v[122:123] op_sel_hi:[1,1,0] neg_lo:[0,0,1] neg_hi:[0,0,1]
	v_mul_f32_e32 v120, v121, v108
	s_delay_alu instid0(VALU_DEP_3) | instskip(NEXT) | instid1(VALU_DEP_2)
	v_pk_add_f32 v[104:105], v[104:105], v[124:125] neg_lo:[0,1] neg_hi:[0,1]
	v_pk_fma_f32 v[118:119], v[118:119], v[6:7], v[120:121] op_sel_hi:[1,1,0]
	s_delay_alu instid0(VALU_DEP_1) | instskip(SKIP_4) | instid1(VALU_DEP_1)
	v_mov_b32_e32 v123, v119
	ds_load_2addr_b64 v[118:121], v112 offset0:42 offset1:43
	v_pk_add_f32 v[102:103], v[102:103], v[122:123] neg_lo:[0,1] neg_hi:[0,1]
	s_wait_dscnt 0x0
	v_pk_mul_f32 v[122:123], v[118:119], v[110:111] op_sel:[0,1]
	v_pk_fma_f32 v[124:125], v[118:119], v[108:109], v[122:123] op_sel:[0,0,1] op_sel_hi:[1,1,0] neg_lo:[0,0,1] neg_hi:[0,0,1]
	v_pk_fma_f32 v[118:119], v[118:119], v[108:109], v[122:123] op_sel:[0,0,1] op_sel_hi:[1,0,0]
	s_delay_alu instid0(VALU_DEP_1) | instskip(SKIP_1) | instid1(VALU_DEP_1)
	v_mov_b32_e32 v125, v119
	v_pk_mul_f32 v[118:119], v[120:121], v[110:111] op_sel:[0,1]
	v_pk_fma_f32 v[122:123], v[120:121], v[108:109], v[118:119] op_sel:[0,0,1] op_sel_hi:[1,1,0] neg_lo:[0,0,1] neg_hi:[0,0,1]
	v_pk_fma_f32 v[118:119], v[120:121], v[108:109], v[118:119] op_sel:[0,0,1] op_sel_hi:[1,0,0]
	s_delay_alu instid0(VALU_DEP_1)
	v_mov_b32_e32 v123, v119
	ds_load_2addr_b64 v[118:121], v112 offset0:44 offset1:45
	v_pk_add_f32 v[76:77], v[76:77], v[124:125] neg_lo:[0,1] neg_hi:[0,1]
	v_pk_add_f32 v[74:75], v[74:75], v[122:123] neg_lo:[0,1] neg_hi:[0,1]
	s_wait_dscnt 0x0
	v_pk_mul_f32 v[122:123], v[118:119], v[110:111] op_sel:[0,1]
	s_delay_alu instid0(VALU_DEP_1) | instskip(SKIP_1) | instid1(VALU_DEP_1)
	v_pk_fma_f32 v[124:125], v[118:119], v[108:109], v[122:123] op_sel:[0,0,1] op_sel_hi:[1,1,0] neg_lo:[0,0,1] neg_hi:[0,0,1]
	v_pk_fma_f32 v[118:119], v[118:119], v[108:109], v[122:123] op_sel:[0,0,1] op_sel_hi:[1,0,0]
	v_mov_b32_e32 v125, v119
	v_pk_mul_f32 v[118:119], v[120:121], v[110:111] op_sel:[0,1]
	s_delay_alu instid0(VALU_DEP_1) | instskip(SKIP_1) | instid1(VALU_DEP_1)
	v_pk_fma_f32 v[122:123], v[120:121], v[108:109], v[118:119] op_sel:[0,0,1] op_sel_hi:[1,1,0] neg_lo:[0,0,1] neg_hi:[0,0,1]
	v_pk_fma_f32 v[118:119], v[120:121], v[108:109], v[118:119] op_sel:[0,0,1] op_sel_hi:[1,0,0]
	v_mov_b32_e32 v123, v119
	ds_load_2addr_b64 v[118:121], v112 offset0:46 offset1:47
	v_pk_add_f32 v[98:99], v[98:99], v[124:125] neg_lo:[0,1] neg_hi:[0,1]
	v_pk_add_f32 v[96:97], v[96:97], v[122:123] neg_lo:[0,1] neg_hi:[0,1]
	s_wait_dscnt 0x0
	v_dual_mul_f32 v122, v119, v111 :: v_dual_mul_f32 v124, v119, v108
	s_delay_alu instid0(VALU_DEP_1) | instskip(NEXT) | instid1(VALU_DEP_2)
	v_pk_fma_f32 v[122:123], v[118:119], v[6:7], v[122:123] op_sel_hi:[1,1,0] neg_lo:[0,0,1] neg_hi:[0,0,1]
	v_pk_fma_f32 v[118:119], v[118:119], v[6:7], v[124:125] op_sel:[1,0,0] op_sel_hi:[0,1,0]
	s_delay_alu instid0(VALU_DEP_1) | instskip(SKIP_1) | instid1(VALU_DEP_2)
	v_mov_b32_e32 v123, v119
	v_pk_mul_f32 v[118:119], v[120:121], v[110:111] op_sel:[0,1]
	v_pk_add_f32 v[80:81], v[80:81], v[122:123] neg_lo:[0,1] neg_hi:[0,1]
	s_delay_alu instid0(VALU_DEP_2) | instskip(SKIP_1) | instid1(VALU_DEP_1)
	v_pk_fma_f32 v[122:123], v[120:121], v[108:109], v[118:119] op_sel:[0,0,1] op_sel_hi:[1,1,0] neg_lo:[0,0,1] neg_hi:[0,0,1]
	v_pk_fma_f32 v[118:119], v[120:121], v[108:109], v[118:119] op_sel:[0,0,1] op_sel_hi:[1,0,0]
	v_mov_b32_e32 v123, v119
	ds_load_2addr_b64 v[118:121], v112 offset0:48 offset1:49
	v_pk_add_f32 v[78:79], v[78:79], v[122:123] neg_lo:[0,1] neg_hi:[0,1]
	s_wait_dscnt 0x0
	v_pk_mul_f32 v[122:123], v[118:119], v[110:111] op_sel:[0,1]
	s_delay_alu instid0(VALU_DEP_1) | instskip(SKIP_1) | instid1(VALU_DEP_1)
	v_pk_fma_f32 v[124:125], v[118:119], v[108:109], v[122:123] op_sel:[0,0,1] op_sel_hi:[1,1,0] neg_lo:[0,0,1] neg_hi:[0,0,1]
	v_pk_fma_f32 v[118:119], v[118:119], v[108:109], v[122:123] op_sel:[0,0,1] op_sel_hi:[1,0,0]
	v_mov_b32_e32 v125, v119
	v_pk_mul_f32 v[118:119], v[120:121], v[110:111] op_sel:[0,1]
	s_delay_alu instid0(VALU_DEP_2) | instskip(NEXT) | instid1(VALU_DEP_2)
	v_pk_add_f32 v[88:89], v[88:89], v[124:125] neg_lo:[0,1] neg_hi:[0,1]
	v_pk_fma_f32 v[122:123], v[120:121], v[108:109], v[118:119] op_sel:[0,0,1] op_sel_hi:[1,1,0] neg_lo:[0,0,1] neg_hi:[0,0,1]
	v_pk_fma_f32 v[118:119], v[120:121], v[108:109], v[118:119] op_sel:[0,0,1] op_sel_hi:[1,0,0]
	s_delay_alu instid0(VALU_DEP_1) | instskip(SKIP_4) | instid1(VALU_DEP_1)
	v_mov_b32_e32 v123, v119
	ds_load_b64 v[118:119], v112 offset:400
	v_pk_add_f32 v[86:87], v[86:87], v[122:123] neg_lo:[0,1] neg_hi:[0,1]
	s_wait_dscnt 0x0
	v_pk_mul_f32 v[110:111], v[118:119], v[110:111] op_sel:[0,1]
	v_pk_fma_f32 v[120:121], v[118:119], v[108:109], v[110:111] op_sel:[0,0,1] op_sel_hi:[1,1,0] neg_lo:[0,0,1] neg_hi:[0,0,1]
	v_pk_fma_f32 v[108:109], v[118:119], v[108:109], v[110:111] op_sel:[0,0,1] op_sel_hi:[1,0,0]
	s_delay_alu instid0(VALU_DEP_1) | instskip(NEXT) | instid1(VALU_DEP_1)
	v_mov_b32_e32 v121, v109
	v_pk_add_f32 v[106:107], v[106:107], v[120:121] neg_lo:[0,1] neg_hi:[0,1]
.LBB100_167:
	s_or_b32 exec_lo, exec_lo, s0
	v_lshl_add_u32 v108, v116, 3, v112
	s_barrier_signal -1
	s_barrier_wait -1
	ds_store_b64 v108, v[28:29]
	s_wait_dscnt 0x0
	s_barrier_signal -1
	s_barrier_wait -1
	ds_load_b64 v[110:111], v112 offset:64
	v_mov_b32_e32 v108, 8
	s_cmp_lt_i32 s18, 10
	s_cbranch_scc1 .LBB100_170
; %bb.168:
	v_add3_u32 v109, v113, 0, 0x48
	v_mov_b32_e32 v108, 8
	s_mov_b32 s0, 9
.LBB100_169:                            ; =>This Inner Loop Header: Depth=1
	ds_load_b64 v[118:119], v109
	s_wait_dscnt 0x1
	v_cmp_gt_f32_e32 vcc_lo, 0, v110
	v_cndmask_b32_e64 v120, v110, -v110, vcc_lo
	v_cmp_gt_f32_e32 vcc_lo, 0, v111
	v_cndmask_b32_e64 v122, v111, -v111, vcc_lo
	s_wait_dscnt 0x0
	v_cmp_gt_f32_e32 vcc_lo, 0, v118
	v_cndmask_b32_e64 v121, v118, -v118, vcc_lo
	v_cmp_gt_f32_e32 vcc_lo, 0, v119
	v_cndmask_b32_e64 v123, v119, -v119, vcc_lo
	s_delay_alu instid0(VALU_DEP_1) | instskip(NEXT) | instid1(VALU_DEP_1)
	v_pk_add_f32 v[120:121], v[120:121], v[122:123]
	v_cmp_lt_f32_e32 vcc_lo, v120, v121
	v_dual_add_nc_u32 v109, 8, v109 :: v_dual_cndmask_b32 v111, v111, v119, vcc_lo
	v_cndmask_b32_e32 v110, v110, v118, vcc_lo
	v_cndmask_b32_e64 v108, v108, s0, vcc_lo
	s_add_co_i32 s0, s0, 1
	s_delay_alu instid0(SALU_CYCLE_1)
	s_cmp_lg_u32 s18, s0
	s_cbranch_scc1 .LBB100_169
.LBB100_170:
	s_wait_dscnt 0x0
	v_cmp_eq_f32_e32 vcc_lo, 0, v110
	v_cmp_eq_f32_e64 s0, 0, v111
	s_and_b32 s0, vcc_lo, s0
	s_delay_alu instid0(SALU_CYCLE_1) | instskip(NEXT) | instid1(SALU_CYCLE_1)
	s_and_saveexec_b32 s1, s0
	s_xor_b32 s0, exec_lo, s1
; %bb.171:
	v_cmp_ne_u32_e32 vcc_lo, 0, v114
	v_cndmask_b32_e32 v114, 9, v114, vcc_lo
; %bb.172:
	s_and_not1_saveexec_b32 s0, s0
	s_cbranch_execz .LBB100_178
; %bb.173:
	v_cmp_ngt_f32_e64 s1, |v110|, |v111|
	s_and_saveexec_b32 s12, s1
	s_delay_alu instid0(SALU_CYCLE_1)
	s_xor_b32 s1, exec_lo, s12
	s_cbranch_execz .LBB100_175
; %bb.174:
	v_div_scale_f32 v109, null, v111, v111, v110
	v_div_scale_f32 v119, vcc_lo, v110, v111, v110
	s_delay_alu instid0(VALU_DEP_2) | instskip(SKIP_1) | instid1(TRANS32_DEP_1)
	v_rcp_f32_e32 v117, v109
	v_nop
	v_fma_f32 v118, -v109, v117, 1.0
	s_delay_alu instid0(VALU_DEP_1) | instskip(NEXT) | instid1(VALU_DEP_1)
	v_fmac_f32_e32 v117, v118, v117
	v_mul_f32_e32 v118, v119, v117
	s_delay_alu instid0(VALU_DEP_1) | instskip(NEXT) | instid1(VALU_DEP_1)
	v_fma_f32 v120, -v109, v118, v119
	v_fmac_f32_e32 v118, v120, v117
	s_delay_alu instid0(VALU_DEP_1) | instskip(NEXT) | instid1(VALU_DEP_1)
	v_fma_f32 v109, -v109, v118, v119
	v_div_fmas_f32 v109, v109, v117, v118
	s_delay_alu instid0(VALU_DEP_1) | instskip(NEXT) | instid1(VALU_DEP_1)
	v_div_fixup_f32 v109, v109, v111, v110
	v_fmac_f32_e32 v111, v110, v109
	s_delay_alu instid0(VALU_DEP_1) | instskip(SKIP_1) | instid1(VALU_DEP_2)
	v_div_scale_f32 v110, null, v111, v111, 1.0
	v_div_scale_f32 v119, vcc_lo, 1.0, v111, 1.0
	v_rcp_f32_e32 v117, v110
	v_nop
	s_delay_alu instid0(TRANS32_DEP_1) | instskip(NEXT) | instid1(VALU_DEP_1)
	v_fma_f32 v118, -v110, v117, 1.0
	v_fmac_f32_e32 v117, v118, v117
	s_delay_alu instid0(VALU_DEP_1) | instskip(NEXT) | instid1(VALU_DEP_1)
	v_mul_f32_e32 v118, v119, v117
	v_fma_f32 v120, -v110, v118, v119
	s_delay_alu instid0(VALU_DEP_1) | instskip(NEXT) | instid1(VALU_DEP_1)
	v_fmac_f32_e32 v118, v120, v117
	v_fma_f32 v110, -v110, v118, v119
	s_delay_alu instid0(VALU_DEP_1) | instskip(NEXT) | instid1(VALU_DEP_1)
	v_div_fmas_f32 v110, v110, v117, v118
	v_div_fixup_f32 v111, v110, v111, 1.0
	s_delay_alu instid0(VALU_DEP_1)
	v_mul_f32_e32 v110, v109, v111
	v_xor_b32_e32 v111, 0x80000000, v111
.LBB100_175:
	s_and_not1_saveexec_b32 s1, s1
	s_cbranch_execz .LBB100_177
; %bb.176:
	s_delay_alu instid0(VALU_DEP_1) | instskip(SKIP_1) | instid1(VALU_DEP_2)
	v_div_scale_f32 v109, null, v110, v110, v111
	v_div_scale_f32 v119, vcc_lo, v111, v110, v111
	v_rcp_f32_e32 v117, v109
	v_nop
	s_delay_alu instid0(TRANS32_DEP_1) | instskip(NEXT) | instid1(VALU_DEP_1)
	v_fma_f32 v118, -v109, v117, 1.0
	v_fmac_f32_e32 v117, v118, v117
	s_delay_alu instid0(VALU_DEP_1) | instskip(NEXT) | instid1(VALU_DEP_1)
	v_mul_f32_e32 v118, v119, v117
	v_fma_f32 v120, -v109, v118, v119
	s_delay_alu instid0(VALU_DEP_1) | instskip(NEXT) | instid1(VALU_DEP_1)
	v_fmac_f32_e32 v118, v120, v117
	v_fma_f32 v109, -v109, v118, v119
	s_delay_alu instid0(VALU_DEP_1) | instskip(NEXT) | instid1(VALU_DEP_1)
	v_div_fmas_f32 v109, v109, v117, v118
	v_div_fixup_f32 v109, v109, v110, v111
	s_delay_alu instid0(VALU_DEP_1) | instskip(NEXT) | instid1(VALU_DEP_1)
	v_fmac_f32_e32 v110, v111, v109
	v_div_scale_f32 v111, null, v110, v110, 1.0
	s_delay_alu instid0(VALU_DEP_1) | instskip(SKIP_1) | instid1(TRANS32_DEP_1)
	v_rcp_f32_e32 v117, v111
	v_nop
	v_fma_f32 v118, -v111, v117, 1.0
	s_delay_alu instid0(VALU_DEP_1) | instskip(SKIP_1) | instid1(VALU_DEP_1)
	v_fmac_f32_e32 v117, v118, v117
	v_div_scale_f32 v118, vcc_lo, 1.0, v110, 1.0
	v_mul_f32_e32 v119, v118, v117
	s_delay_alu instid0(VALU_DEP_1) | instskip(NEXT) | instid1(VALU_DEP_1)
	v_fma_f32 v120, -v111, v119, v118
	v_fmac_f32_e32 v119, v120, v117
	s_delay_alu instid0(VALU_DEP_1) | instskip(NEXT) | instid1(VALU_DEP_1)
	v_fma_f32 v111, -v111, v119, v118
	v_div_fmas_f32 v111, v111, v117, v119
	s_delay_alu instid0(VALU_DEP_1) | instskip(NEXT) | instid1(VALU_DEP_1)
	v_div_fixup_f32 v110, v111, v110, 1.0
	v_mul_f32_e64 v111, v109, -v110
.LBB100_177:
	s_or_b32 exec_lo, exec_lo, s1
.LBB100_178:
	s_delay_alu instid0(SALU_CYCLE_1) | instskip(NEXT) | instid1(SALU_CYCLE_1)
	s_or_b32 exec_lo, exec_lo, s0
	s_mov_b32 s0, exec_lo
	v_cmpx_ne_u32_e64 v116, v108
	s_xor_b32 s0, exec_lo, s0
	s_cbranch_execz .LBB100_184
; %bb.179:
	s_mov_b32 s1, exec_lo
	v_cmpx_eq_u32_e32 8, v116
	s_cbranch_execz .LBB100_183
; %bb.180:
	v_cmp_ne_u32_e32 vcc_lo, 8, v108
	s_xor_b32 s12, s16, -1
	s_delay_alu instid0(SALU_CYCLE_1) | instskip(NEXT) | instid1(SALU_CYCLE_1)
	s_and_b32 s13, s12, vcc_lo
	s_and_saveexec_b32 s12, s13
	s_cbranch_execz .LBB100_182
; %bb.181:
	v_ashrrev_i32_e32 v109, 31, v108
	s_delay_alu instid0(VALU_DEP_1)
	v_lshl_add_u64 v[116:117], v[108:109], 2, v[4:5]
	s_clause 0x1
	global_load_b32 v109, v[116:117], off
	global_load_b32 v115, v[4:5], off offset:32
	s_wait_loadcnt 0x1
	global_store_b32 v[4:5], v109, off offset:32
	s_wait_loadcnt 0x0
	global_store_b32 v[116:117], v115, off
.LBB100_182:
	s_wait_xcnt 0x0
	s_or_b32 exec_lo, exec_lo, s12
	v_dual_mov_b32 v116, v108 :: v_dual_mov_b32 v115, v108
.LBB100_183:
	s_or_b32 exec_lo, exec_lo, s1
.LBB100_184:
	s_and_not1_saveexec_b32 s0, s0
	s_cbranch_execz .LBB100_186
; %bb.185:
	v_mov_b32_e32 v116, 8
	ds_store_2addr_b64 v112, v[26:27], v[12:13] offset0:9 offset1:10
	ds_store_2addr_b64 v112, v[10:11], v[36:37] offset0:11 offset1:12
	;; [unrolled: 1-line block ×21, first 2 shown]
.LBB100_186:
	s_or_b32 exec_lo, exec_lo, s0
	s_delay_alu instid0(SALU_CYCLE_1)
	s_mov_b32 s0, exec_lo
	s_wait_storecnt_dscnt 0x0
	s_barrier_signal -1
	s_barrier_wait -1
	v_cmpx_lt_i32_e32 8, v116
	s_cbranch_execz .LBB100_188
; %bb.187:
	v_pk_mul_f32 v[118:119], v[110:111], v[28:29] op_sel:[1,1] op_sel_hi:[0,1]
	s_delay_alu instid0(VALU_DEP_1)
	v_pk_fma_f32 v[108:109], v[110:111], v[28:29], v[118:119] op_sel_hi:[1,0,1] neg_lo:[0,0,1] neg_hi:[0,0,1]
	v_pk_fma_f32 v[110:111], v[110:111], v[28:29], v[118:119] op_sel_hi:[1,0,1]
	ds_load_2addr_b64 v[118:121], v112 offset0:9 offset1:10
	v_dual_mov_b32 v28, v108 :: v_dual_mov_b32 v29, v111
	s_wait_dscnt 0x0
	v_pk_mul_f32 v[122:123], v[118:119], v[110:111] op_sel:[0,1]
	s_delay_alu instid0(VALU_DEP_1) | instskip(SKIP_1) | instid1(VALU_DEP_1)
	v_pk_fma_f32 v[124:125], v[118:119], v[108:109], v[122:123] op_sel:[0,0,1] op_sel_hi:[1,1,0] neg_lo:[0,0,1] neg_hi:[0,0,1]
	v_pk_fma_f32 v[118:119], v[118:119], v[108:109], v[122:123] op_sel:[0,0,1] op_sel_hi:[1,0,0]
	v_mov_b32_e32 v125, v119
	v_pk_mul_f32 v[118:119], v[120:121], v[110:111] op_sel:[0,1]
	s_delay_alu instid0(VALU_DEP_1) | instskip(SKIP_1) | instid1(VALU_DEP_1)
	v_pk_fma_f32 v[122:123], v[120:121], v[108:109], v[118:119] op_sel:[0,0,1] op_sel_hi:[1,1,0] neg_lo:[0,0,1] neg_hi:[0,0,1]
	v_pk_fma_f32 v[118:119], v[120:121], v[108:109], v[118:119] op_sel:[0,0,1] op_sel_hi:[1,0,0]
	v_mov_b32_e32 v123, v119
	ds_load_2addr_b64 v[118:121], v112 offset0:11 offset1:12
	v_pk_add_f32 v[26:27], v[26:27], v[124:125] neg_lo:[0,1] neg_hi:[0,1]
	v_pk_add_f32 v[12:13], v[12:13], v[122:123] neg_lo:[0,1] neg_hi:[0,1]
	s_wait_dscnt 0x0
	v_pk_mul_f32 v[122:123], v[118:119], v[110:111] op_sel:[0,1]
	s_delay_alu instid0(VALU_DEP_1) | instskip(SKIP_2) | instid1(VALU_DEP_2)
	v_pk_fma_f32 v[124:125], v[118:119], v[108:109], v[122:123] op_sel:[0,0,1] op_sel_hi:[1,1,0] neg_lo:[0,0,1] neg_hi:[0,0,1]
	v_pk_fma_f32 v[118:119], v[118:119], v[108:109], v[122:123] op_sel:[0,0,1] op_sel_hi:[1,0,0]
	v_dual_mul_f32 v122, v121, v111 :: v_dual_mov_b32 v118, v121
	v_dual_mov_b32 v125, v119 :: v_dual_mov_b32 v119, v120
	s_delay_alu instid0(VALU_DEP_2) | instskip(SKIP_1) | instid1(VALU_DEP_3)
	v_pk_fma_f32 v[122:123], v[120:121], v[28:29], v[122:123] op_sel_hi:[1,1,0] neg_lo:[0,0,1] neg_hi:[0,0,1]
	v_mul_f32_e32 v120, v121, v108
	v_pk_add_f32 v[10:11], v[10:11], v[124:125] neg_lo:[0,1] neg_hi:[0,1]
	s_delay_alu instid0(VALU_DEP_2) | instskip(NEXT) | instid1(VALU_DEP_1)
	v_pk_fma_f32 v[118:119], v[118:119], v[28:29], v[120:121] op_sel_hi:[1,1,0]
	v_mov_b32_e32 v123, v119
	ds_load_2addr_b64 v[118:121], v112 offset0:13 offset1:14
	v_pk_add_f32 v[36:37], v[36:37], v[122:123] neg_lo:[0,1] neg_hi:[0,1]
	s_wait_dscnt 0x0
	v_pk_mul_f32 v[122:123], v[118:119], v[110:111] op_sel:[0,1]
	s_delay_alu instid0(VALU_DEP_1) | instskip(SKIP_1) | instid1(VALU_DEP_1)
	v_pk_fma_f32 v[124:125], v[118:119], v[108:109], v[122:123] op_sel:[0,0,1] op_sel_hi:[1,1,0] neg_lo:[0,0,1] neg_hi:[0,0,1]
	v_pk_fma_f32 v[118:119], v[118:119], v[108:109], v[122:123] op_sel:[0,0,1] op_sel_hi:[1,0,0]
	v_mov_b32_e32 v125, v119
	v_pk_mul_f32 v[118:119], v[120:121], v[110:111] op_sel:[0,1]
	s_delay_alu instid0(VALU_DEP_1) | instskip(SKIP_1) | instid1(VALU_DEP_1)
	v_pk_fma_f32 v[122:123], v[120:121], v[108:109], v[118:119] op_sel:[0,0,1] op_sel_hi:[1,1,0] neg_lo:[0,0,1] neg_hi:[0,0,1]
	v_pk_fma_f32 v[118:119], v[120:121], v[108:109], v[118:119] op_sel:[0,0,1] op_sel_hi:[1,0,0]
	v_mov_b32_e32 v123, v119
	ds_load_2addr_b64 v[118:121], v112 offset0:15 offset1:16
	v_pk_add_f32 v[34:35], v[34:35], v[124:125] neg_lo:[0,1] neg_hi:[0,1]
	v_pk_add_f32 v[18:19], v[18:19], v[122:123] neg_lo:[0,1] neg_hi:[0,1]
	s_wait_dscnt 0x0
	v_pk_mul_f32 v[122:123], v[118:119], v[110:111] op_sel:[0,1]
	s_delay_alu instid0(VALU_DEP_1) | instskip(SKIP_1) | instid1(VALU_DEP_1)
	v_pk_fma_f32 v[124:125], v[118:119], v[108:109], v[122:123] op_sel:[0,0,1] op_sel_hi:[1,1,0] neg_lo:[0,0,1] neg_hi:[0,0,1]
	v_pk_fma_f32 v[118:119], v[118:119], v[108:109], v[122:123] op_sel:[0,0,1] op_sel_hi:[1,0,0]
	v_mov_b32_e32 v125, v119
	v_pk_mul_f32 v[118:119], v[120:121], v[110:111] op_sel:[0,1]
	s_delay_alu instid0(VALU_DEP_1) | instskip(SKIP_1) | instid1(VALU_DEP_1)
	v_pk_fma_f32 v[122:123], v[120:121], v[108:109], v[118:119] op_sel:[0,0,1] op_sel_hi:[1,1,0] neg_lo:[0,0,1] neg_hi:[0,0,1]
	v_pk_fma_f32 v[118:119], v[120:121], v[108:109], v[118:119] op_sel:[0,0,1] op_sel_hi:[1,0,0]
	v_mov_b32_e32 v123, v119
	ds_load_2addr_b64 v[118:121], v112 offset0:17 offset1:18
	v_pk_add_f32 v[14:15], v[14:15], v[124:125] neg_lo:[0,1] neg_hi:[0,1]
	v_pk_add_f32 v[44:45], v[44:45], v[122:123] neg_lo:[0,1] neg_hi:[0,1]
	s_wait_dscnt 0x0
	v_dual_mul_f32 v122, v119, v111 :: v_dual_mul_f32 v124, v119, v108
	s_delay_alu instid0(VALU_DEP_1) | instskip(NEXT) | instid1(VALU_DEP_2)
	v_pk_fma_f32 v[122:123], v[118:119], v[28:29], v[122:123] op_sel_hi:[1,1,0] neg_lo:[0,0,1] neg_hi:[0,0,1]
	v_pk_fma_f32 v[118:119], v[118:119], v[28:29], v[124:125] op_sel:[1,0,0] op_sel_hi:[0,1,0]
	s_delay_alu instid0(VALU_DEP_1) | instskip(SKIP_1) | instid1(VALU_DEP_2)
	v_mov_b32_e32 v123, v119
	v_pk_mul_f32 v[118:119], v[120:121], v[110:111] op_sel:[0,1]
	v_pk_add_f32 v[42:43], v[42:43], v[122:123] neg_lo:[0,1] neg_hi:[0,1]
	s_delay_alu instid0(VALU_DEP_2) | instskip(SKIP_1) | instid1(VALU_DEP_1)
	v_pk_fma_f32 v[122:123], v[120:121], v[108:109], v[118:119] op_sel:[0,0,1] op_sel_hi:[1,1,0] neg_lo:[0,0,1] neg_hi:[0,0,1]
	v_pk_fma_f32 v[118:119], v[120:121], v[108:109], v[118:119] op_sel:[0,0,1] op_sel_hi:[1,0,0]
	v_mov_b32_e32 v123, v119
	ds_load_2addr_b64 v[118:121], v112 offset0:19 offset1:20
	v_pk_add_f32 v[22:23], v[22:23], v[122:123] neg_lo:[0,1] neg_hi:[0,1]
	s_wait_dscnt 0x0
	v_pk_mul_f32 v[122:123], v[118:119], v[110:111] op_sel:[0,1]
	s_delay_alu instid0(VALU_DEP_1) | instskip(SKIP_1) | instid1(VALU_DEP_1)
	v_pk_fma_f32 v[124:125], v[118:119], v[108:109], v[122:123] op_sel:[0,0,1] op_sel_hi:[1,1,0] neg_lo:[0,0,1] neg_hi:[0,0,1]
	v_pk_fma_f32 v[118:119], v[118:119], v[108:109], v[122:123] op_sel:[0,0,1] op_sel_hi:[1,0,0]
	v_mov_b32_e32 v125, v119
	v_pk_mul_f32 v[118:119], v[120:121], v[110:111] op_sel:[0,1]
	s_delay_alu instid0(VALU_DEP_2) | instskip(NEXT) | instid1(VALU_DEP_2)
	v_pk_add_f32 v[20:21], v[20:21], v[124:125] neg_lo:[0,1] neg_hi:[0,1]
	v_pk_fma_f32 v[122:123], v[120:121], v[108:109], v[118:119] op_sel:[0,0,1] op_sel_hi:[1,1,0] neg_lo:[0,0,1] neg_hi:[0,0,1]
	v_pk_fma_f32 v[118:119], v[120:121], v[108:109], v[118:119] op_sel:[0,0,1] op_sel_hi:[1,0,0]
	s_delay_alu instid0(VALU_DEP_1) | instskip(SKIP_4) | instid1(VALU_DEP_1)
	v_mov_b32_e32 v123, v119
	ds_load_2addr_b64 v[118:121], v112 offset0:21 offset1:22
	v_pk_add_f32 v[52:53], v[52:53], v[122:123] neg_lo:[0,1] neg_hi:[0,1]
	s_wait_dscnt 0x0
	v_pk_mul_f32 v[122:123], v[118:119], v[110:111] op_sel:[0,1]
	v_pk_fma_f32 v[124:125], v[118:119], v[108:109], v[122:123] op_sel:[0,0,1] op_sel_hi:[1,1,0] neg_lo:[0,0,1] neg_hi:[0,0,1]
	v_pk_fma_f32 v[118:119], v[118:119], v[108:109], v[122:123] op_sel:[0,0,1] op_sel_hi:[1,0,0]
	v_dual_mul_f32 v122, v121, v111 :: v_dual_mov_b32 v118, v121
	s_delay_alu instid0(VALU_DEP_2) | instskip(NEXT) | instid1(VALU_DEP_2)
	v_dual_mov_b32 v125, v119 :: v_dual_mov_b32 v119, v120
	v_pk_fma_f32 v[122:123], v[120:121], v[28:29], v[122:123] op_sel_hi:[1,1,0] neg_lo:[0,0,1] neg_hi:[0,0,1]
	v_mul_f32_e32 v120, v121, v108
	s_delay_alu instid0(VALU_DEP_3) | instskip(NEXT) | instid1(VALU_DEP_2)
	v_pk_add_f32 v[50:51], v[50:51], v[124:125] neg_lo:[0,1] neg_hi:[0,1]
	v_pk_fma_f32 v[118:119], v[118:119], v[28:29], v[120:121] op_sel_hi:[1,1,0]
	s_delay_alu instid0(VALU_DEP_1) | instskip(SKIP_4) | instid1(VALU_DEP_1)
	v_mov_b32_e32 v123, v119
	ds_load_2addr_b64 v[118:121], v112 offset0:23 offset1:24
	v_pk_add_f32 v[32:33], v[32:33], v[122:123] neg_lo:[0,1] neg_hi:[0,1]
	s_wait_dscnt 0x0
	v_pk_mul_f32 v[122:123], v[118:119], v[110:111] op_sel:[0,1]
	v_pk_fma_f32 v[124:125], v[118:119], v[108:109], v[122:123] op_sel:[0,0,1] op_sel_hi:[1,1,0] neg_lo:[0,0,1] neg_hi:[0,0,1]
	v_pk_fma_f32 v[118:119], v[118:119], v[108:109], v[122:123] op_sel:[0,0,1] op_sel_hi:[1,0,0]
	s_delay_alu instid0(VALU_DEP_1) | instskip(SKIP_1) | instid1(VALU_DEP_1)
	v_mov_b32_e32 v125, v119
	v_pk_mul_f32 v[118:119], v[120:121], v[110:111] op_sel:[0,1]
	v_pk_fma_f32 v[122:123], v[120:121], v[108:109], v[118:119] op_sel:[0,0,1] op_sel_hi:[1,1,0] neg_lo:[0,0,1] neg_hi:[0,0,1]
	v_pk_fma_f32 v[118:119], v[120:121], v[108:109], v[118:119] op_sel:[0,0,1] op_sel_hi:[1,0,0]
	s_delay_alu instid0(VALU_DEP_1)
	v_mov_b32_e32 v123, v119
	ds_load_2addr_b64 v[118:121], v112 offset0:25 offset1:26
	v_pk_add_f32 v[30:31], v[30:31], v[124:125] neg_lo:[0,1] neg_hi:[0,1]
	v_pk_add_f32 v[62:63], v[62:63], v[122:123] neg_lo:[0,1] neg_hi:[0,1]
	s_wait_dscnt 0x0
	v_pk_mul_f32 v[122:123], v[118:119], v[110:111] op_sel:[0,1]
	s_delay_alu instid0(VALU_DEP_1) | instskip(SKIP_1) | instid1(VALU_DEP_1)
	v_pk_fma_f32 v[124:125], v[118:119], v[108:109], v[122:123] op_sel:[0,0,1] op_sel_hi:[1,1,0] neg_lo:[0,0,1] neg_hi:[0,0,1]
	v_pk_fma_f32 v[118:119], v[118:119], v[108:109], v[122:123] op_sel:[0,0,1] op_sel_hi:[1,0,0]
	v_mov_b32_e32 v125, v119
	v_pk_mul_f32 v[118:119], v[120:121], v[110:111] op_sel:[0,1]
	s_delay_alu instid0(VALU_DEP_1) | instskip(SKIP_1) | instid1(VALU_DEP_1)
	v_pk_fma_f32 v[122:123], v[120:121], v[108:109], v[118:119] op_sel:[0,0,1] op_sel_hi:[1,1,0] neg_lo:[0,0,1] neg_hi:[0,0,1]
	v_pk_fma_f32 v[118:119], v[120:121], v[108:109], v[118:119] op_sel:[0,0,1] op_sel_hi:[1,0,0]
	v_mov_b32_e32 v123, v119
	ds_load_2addr_b64 v[118:121], v112 offset0:27 offset1:28
	v_pk_add_f32 v[60:61], v[60:61], v[124:125] neg_lo:[0,1] neg_hi:[0,1]
	v_pk_add_f32 v[40:41], v[40:41], v[122:123] neg_lo:[0,1] neg_hi:[0,1]
	s_wait_dscnt 0x0
	v_dual_mul_f32 v122, v119, v111 :: v_dual_mul_f32 v124, v119, v108
	s_delay_alu instid0(VALU_DEP_1) | instskip(NEXT) | instid1(VALU_DEP_2)
	v_pk_fma_f32 v[122:123], v[118:119], v[28:29], v[122:123] op_sel_hi:[1,1,0] neg_lo:[0,0,1] neg_hi:[0,0,1]
	v_pk_fma_f32 v[118:119], v[118:119], v[28:29], v[124:125] op_sel:[1,0,0] op_sel_hi:[0,1,0]
	s_delay_alu instid0(VALU_DEP_1) | instskip(SKIP_1) | instid1(VALU_DEP_2)
	v_mov_b32_e32 v123, v119
	v_pk_mul_f32 v[118:119], v[120:121], v[110:111] op_sel:[0,1]
	v_pk_add_f32 v[38:39], v[38:39], v[122:123] neg_lo:[0,1] neg_hi:[0,1]
	s_delay_alu instid0(VALU_DEP_2) | instskip(SKIP_1) | instid1(VALU_DEP_1)
	v_pk_fma_f32 v[122:123], v[120:121], v[108:109], v[118:119] op_sel:[0,0,1] op_sel_hi:[1,1,0] neg_lo:[0,0,1] neg_hi:[0,0,1]
	v_pk_fma_f32 v[118:119], v[120:121], v[108:109], v[118:119] op_sel:[0,0,1] op_sel_hi:[1,0,0]
	v_mov_b32_e32 v123, v119
	ds_load_2addr_b64 v[118:121], v112 offset0:29 offset1:30
	v_pk_add_f32 v[70:71], v[70:71], v[122:123] neg_lo:[0,1] neg_hi:[0,1]
	s_wait_dscnt 0x0
	v_pk_mul_f32 v[122:123], v[118:119], v[110:111] op_sel:[0,1]
	s_delay_alu instid0(VALU_DEP_1) | instskip(SKIP_1) | instid1(VALU_DEP_1)
	v_pk_fma_f32 v[124:125], v[118:119], v[108:109], v[122:123] op_sel:[0,0,1] op_sel_hi:[1,1,0] neg_lo:[0,0,1] neg_hi:[0,0,1]
	v_pk_fma_f32 v[118:119], v[118:119], v[108:109], v[122:123] op_sel:[0,0,1] op_sel_hi:[1,0,0]
	v_mov_b32_e32 v125, v119
	v_pk_mul_f32 v[118:119], v[120:121], v[110:111] op_sel:[0,1]
	s_delay_alu instid0(VALU_DEP_2) | instskip(NEXT) | instid1(VALU_DEP_2)
	v_pk_add_f32 v[68:69], v[68:69], v[124:125] neg_lo:[0,1] neg_hi:[0,1]
	v_pk_fma_f32 v[122:123], v[120:121], v[108:109], v[118:119] op_sel:[0,0,1] op_sel_hi:[1,1,0] neg_lo:[0,0,1] neg_hi:[0,0,1]
	v_pk_fma_f32 v[118:119], v[120:121], v[108:109], v[118:119] op_sel:[0,0,1] op_sel_hi:[1,0,0]
	s_delay_alu instid0(VALU_DEP_1) | instskip(SKIP_4) | instid1(VALU_DEP_1)
	v_mov_b32_e32 v123, v119
	ds_load_2addr_b64 v[118:121], v112 offset0:31 offset1:32
	v_pk_add_f32 v[48:49], v[48:49], v[122:123] neg_lo:[0,1] neg_hi:[0,1]
	s_wait_dscnt 0x0
	v_pk_mul_f32 v[122:123], v[118:119], v[110:111] op_sel:[0,1]
	v_pk_fma_f32 v[124:125], v[118:119], v[108:109], v[122:123] op_sel:[0,0,1] op_sel_hi:[1,1,0] neg_lo:[0,0,1] neg_hi:[0,0,1]
	v_pk_fma_f32 v[118:119], v[118:119], v[108:109], v[122:123] op_sel:[0,0,1] op_sel_hi:[1,0,0]
	v_dual_mul_f32 v122, v121, v111 :: v_dual_mov_b32 v118, v121
	s_delay_alu instid0(VALU_DEP_2) | instskip(NEXT) | instid1(VALU_DEP_2)
	v_dual_mov_b32 v125, v119 :: v_dual_mov_b32 v119, v120
	v_pk_fma_f32 v[122:123], v[120:121], v[28:29], v[122:123] op_sel_hi:[1,1,0] neg_lo:[0,0,1] neg_hi:[0,0,1]
	v_mul_f32_e32 v120, v121, v108
	s_delay_alu instid0(VALU_DEP_3) | instskip(NEXT) | instid1(VALU_DEP_2)
	v_pk_add_f32 v[46:47], v[46:47], v[124:125] neg_lo:[0,1] neg_hi:[0,1]
	v_pk_fma_f32 v[118:119], v[118:119], v[28:29], v[120:121] op_sel_hi:[1,1,0]
	s_delay_alu instid0(VALU_DEP_1) | instskip(SKIP_4) | instid1(VALU_DEP_1)
	v_mov_b32_e32 v123, v119
	ds_load_2addr_b64 v[118:121], v112 offset0:33 offset1:34
	v_pk_add_f32 v[84:85], v[84:85], v[122:123] neg_lo:[0,1] neg_hi:[0,1]
	s_wait_dscnt 0x0
	v_pk_mul_f32 v[122:123], v[118:119], v[110:111] op_sel:[0,1]
	v_pk_fma_f32 v[124:125], v[118:119], v[108:109], v[122:123] op_sel:[0,0,1] op_sel_hi:[1,1,0] neg_lo:[0,0,1] neg_hi:[0,0,1]
	v_pk_fma_f32 v[118:119], v[118:119], v[108:109], v[122:123] op_sel:[0,0,1] op_sel_hi:[1,0,0]
	s_delay_alu instid0(VALU_DEP_1) | instskip(SKIP_1) | instid1(VALU_DEP_1)
	v_mov_b32_e32 v125, v119
	v_pk_mul_f32 v[118:119], v[120:121], v[110:111] op_sel:[0,1]
	v_pk_fma_f32 v[122:123], v[120:121], v[108:109], v[118:119] op_sel:[0,0,1] op_sel_hi:[1,1,0] neg_lo:[0,0,1] neg_hi:[0,0,1]
	v_pk_fma_f32 v[118:119], v[120:121], v[108:109], v[118:119] op_sel:[0,0,1] op_sel_hi:[1,0,0]
	s_delay_alu instid0(VALU_DEP_1)
	v_mov_b32_e32 v123, v119
	ds_load_2addr_b64 v[118:121], v112 offset0:35 offset1:36
	v_pk_add_f32 v[82:83], v[82:83], v[124:125] neg_lo:[0,1] neg_hi:[0,1]
	v_pk_add_f32 v[56:57], v[56:57], v[122:123] neg_lo:[0,1] neg_hi:[0,1]
	s_wait_dscnt 0x0
	v_pk_mul_f32 v[122:123], v[118:119], v[110:111] op_sel:[0,1]
	s_delay_alu instid0(VALU_DEP_1) | instskip(SKIP_1) | instid1(VALU_DEP_1)
	v_pk_fma_f32 v[124:125], v[118:119], v[108:109], v[122:123] op_sel:[0,0,1] op_sel_hi:[1,1,0] neg_lo:[0,0,1] neg_hi:[0,0,1]
	v_pk_fma_f32 v[118:119], v[118:119], v[108:109], v[122:123] op_sel:[0,0,1] op_sel_hi:[1,0,0]
	v_mov_b32_e32 v125, v119
	v_pk_mul_f32 v[118:119], v[120:121], v[110:111] op_sel:[0,1]
	s_delay_alu instid0(VALU_DEP_1) | instskip(SKIP_1) | instid1(VALU_DEP_1)
	v_pk_fma_f32 v[122:123], v[120:121], v[108:109], v[118:119] op_sel:[0,0,1] op_sel_hi:[1,1,0] neg_lo:[0,0,1] neg_hi:[0,0,1]
	v_pk_fma_f32 v[118:119], v[120:121], v[108:109], v[118:119] op_sel:[0,0,1] op_sel_hi:[1,0,0]
	v_mov_b32_e32 v123, v119
	ds_load_2addr_b64 v[118:121], v112 offset0:37 offset1:38
	v_pk_add_f32 v[54:55], v[54:55], v[124:125] neg_lo:[0,1] neg_hi:[0,1]
	v_pk_add_f32 v[94:95], v[94:95], v[122:123] neg_lo:[0,1] neg_hi:[0,1]
	s_wait_dscnt 0x0
	v_dual_mul_f32 v122, v119, v111 :: v_dual_mul_f32 v124, v119, v108
	s_delay_alu instid0(VALU_DEP_1) | instskip(NEXT) | instid1(VALU_DEP_2)
	v_pk_fma_f32 v[122:123], v[118:119], v[28:29], v[122:123] op_sel_hi:[1,1,0] neg_lo:[0,0,1] neg_hi:[0,0,1]
	v_pk_fma_f32 v[118:119], v[118:119], v[28:29], v[124:125] op_sel:[1,0,0] op_sel_hi:[0,1,0]
	s_delay_alu instid0(VALU_DEP_1) | instskip(SKIP_1) | instid1(VALU_DEP_2)
	v_mov_b32_e32 v123, v119
	v_pk_mul_f32 v[118:119], v[120:121], v[110:111] op_sel:[0,1]
	v_pk_add_f32 v[92:93], v[92:93], v[122:123] neg_lo:[0,1] neg_hi:[0,1]
	s_delay_alu instid0(VALU_DEP_2) | instskip(SKIP_1) | instid1(VALU_DEP_1)
	v_pk_fma_f32 v[122:123], v[120:121], v[108:109], v[118:119] op_sel:[0,0,1] op_sel_hi:[1,1,0] neg_lo:[0,0,1] neg_hi:[0,0,1]
	v_pk_fma_f32 v[118:119], v[120:121], v[108:109], v[118:119] op_sel:[0,0,1] op_sel_hi:[1,0,0]
	v_mov_b32_e32 v123, v119
	ds_load_2addr_b64 v[118:121], v112 offset0:39 offset1:40
	v_pk_add_f32 v[66:67], v[66:67], v[122:123] neg_lo:[0,1] neg_hi:[0,1]
	s_wait_dscnt 0x0
	v_pk_mul_f32 v[122:123], v[118:119], v[110:111] op_sel:[0,1]
	s_delay_alu instid0(VALU_DEP_1) | instskip(SKIP_1) | instid1(VALU_DEP_1)
	v_pk_fma_f32 v[124:125], v[118:119], v[108:109], v[122:123] op_sel:[0,0,1] op_sel_hi:[1,1,0] neg_lo:[0,0,1] neg_hi:[0,0,1]
	v_pk_fma_f32 v[118:119], v[118:119], v[108:109], v[122:123] op_sel:[0,0,1] op_sel_hi:[1,0,0]
	v_mov_b32_e32 v125, v119
	v_pk_mul_f32 v[118:119], v[120:121], v[110:111] op_sel:[0,1]
	s_delay_alu instid0(VALU_DEP_2) | instskip(NEXT) | instid1(VALU_DEP_2)
	v_pk_add_f32 v[64:65], v[64:65], v[124:125] neg_lo:[0,1] neg_hi:[0,1]
	v_pk_fma_f32 v[122:123], v[120:121], v[108:109], v[118:119] op_sel:[0,0,1] op_sel_hi:[1,1,0] neg_lo:[0,0,1] neg_hi:[0,0,1]
	v_pk_fma_f32 v[118:119], v[120:121], v[108:109], v[118:119] op_sel:[0,0,1] op_sel_hi:[1,0,0]
	s_delay_alu instid0(VALU_DEP_1) | instskip(SKIP_4) | instid1(VALU_DEP_1)
	v_mov_b32_e32 v123, v119
	ds_load_2addr_b64 v[118:121], v112 offset0:41 offset1:42
	v_pk_add_f32 v[104:105], v[104:105], v[122:123] neg_lo:[0,1] neg_hi:[0,1]
	s_wait_dscnt 0x0
	v_pk_mul_f32 v[122:123], v[118:119], v[110:111] op_sel:[0,1]
	v_pk_fma_f32 v[124:125], v[118:119], v[108:109], v[122:123] op_sel:[0,0,1] op_sel_hi:[1,1,0] neg_lo:[0,0,1] neg_hi:[0,0,1]
	v_pk_fma_f32 v[118:119], v[118:119], v[108:109], v[122:123] op_sel:[0,0,1] op_sel_hi:[1,0,0]
	v_dual_mul_f32 v122, v121, v111 :: v_dual_mov_b32 v118, v121
	s_delay_alu instid0(VALU_DEP_2) | instskip(NEXT) | instid1(VALU_DEP_2)
	v_dual_mov_b32 v125, v119 :: v_dual_mov_b32 v119, v120
	v_pk_fma_f32 v[122:123], v[120:121], v[28:29], v[122:123] op_sel_hi:[1,1,0] neg_lo:[0,0,1] neg_hi:[0,0,1]
	v_mul_f32_e32 v120, v121, v108
	s_delay_alu instid0(VALU_DEP_3) | instskip(NEXT) | instid1(VALU_DEP_2)
	v_pk_add_f32 v[102:103], v[102:103], v[124:125] neg_lo:[0,1] neg_hi:[0,1]
	v_pk_fma_f32 v[118:119], v[118:119], v[28:29], v[120:121] op_sel_hi:[1,1,0]
	s_delay_alu instid0(VALU_DEP_1) | instskip(SKIP_4) | instid1(VALU_DEP_1)
	v_mov_b32_e32 v123, v119
	ds_load_2addr_b64 v[118:121], v112 offset0:43 offset1:44
	v_pk_add_f32 v[76:77], v[76:77], v[122:123] neg_lo:[0,1] neg_hi:[0,1]
	s_wait_dscnt 0x0
	v_pk_mul_f32 v[122:123], v[118:119], v[110:111] op_sel:[0,1]
	v_pk_fma_f32 v[124:125], v[118:119], v[108:109], v[122:123] op_sel:[0,0,1] op_sel_hi:[1,1,0] neg_lo:[0,0,1] neg_hi:[0,0,1]
	v_pk_fma_f32 v[118:119], v[118:119], v[108:109], v[122:123] op_sel:[0,0,1] op_sel_hi:[1,0,0]
	s_delay_alu instid0(VALU_DEP_1) | instskip(SKIP_1) | instid1(VALU_DEP_1)
	v_mov_b32_e32 v125, v119
	v_pk_mul_f32 v[118:119], v[120:121], v[110:111] op_sel:[0,1]
	v_pk_fma_f32 v[122:123], v[120:121], v[108:109], v[118:119] op_sel:[0,0,1] op_sel_hi:[1,1,0] neg_lo:[0,0,1] neg_hi:[0,0,1]
	v_pk_fma_f32 v[118:119], v[120:121], v[108:109], v[118:119] op_sel:[0,0,1] op_sel_hi:[1,0,0]
	s_delay_alu instid0(VALU_DEP_1)
	v_mov_b32_e32 v123, v119
	ds_load_2addr_b64 v[118:121], v112 offset0:45 offset1:46
	v_pk_add_f32 v[74:75], v[74:75], v[124:125] neg_lo:[0,1] neg_hi:[0,1]
	v_pk_add_f32 v[98:99], v[98:99], v[122:123] neg_lo:[0,1] neg_hi:[0,1]
	s_wait_dscnt 0x0
	v_pk_mul_f32 v[122:123], v[118:119], v[110:111] op_sel:[0,1]
	s_delay_alu instid0(VALU_DEP_1) | instskip(SKIP_1) | instid1(VALU_DEP_1)
	v_pk_fma_f32 v[124:125], v[118:119], v[108:109], v[122:123] op_sel:[0,0,1] op_sel_hi:[1,1,0] neg_lo:[0,0,1] neg_hi:[0,0,1]
	v_pk_fma_f32 v[118:119], v[118:119], v[108:109], v[122:123] op_sel:[0,0,1] op_sel_hi:[1,0,0]
	v_mov_b32_e32 v125, v119
	v_pk_mul_f32 v[118:119], v[120:121], v[110:111] op_sel:[0,1]
	s_delay_alu instid0(VALU_DEP_1) | instskip(SKIP_1) | instid1(VALU_DEP_1)
	v_pk_fma_f32 v[122:123], v[120:121], v[108:109], v[118:119] op_sel:[0,0,1] op_sel_hi:[1,1,0] neg_lo:[0,0,1] neg_hi:[0,0,1]
	v_pk_fma_f32 v[118:119], v[120:121], v[108:109], v[118:119] op_sel:[0,0,1] op_sel_hi:[1,0,0]
	v_mov_b32_e32 v123, v119
	ds_load_2addr_b64 v[118:121], v112 offset0:47 offset1:48
	v_pk_add_f32 v[96:97], v[96:97], v[124:125] neg_lo:[0,1] neg_hi:[0,1]
	v_pk_add_f32 v[80:81], v[80:81], v[122:123] neg_lo:[0,1] neg_hi:[0,1]
	s_wait_dscnt 0x0
	v_dual_mul_f32 v122, v119, v111 :: v_dual_mul_f32 v124, v119, v108
	s_delay_alu instid0(VALU_DEP_1) | instskip(NEXT) | instid1(VALU_DEP_2)
	v_pk_fma_f32 v[122:123], v[118:119], v[28:29], v[122:123] op_sel_hi:[1,1,0] neg_lo:[0,0,1] neg_hi:[0,0,1]
	v_pk_fma_f32 v[118:119], v[118:119], v[28:29], v[124:125] op_sel:[1,0,0] op_sel_hi:[0,1,0]
	s_delay_alu instid0(VALU_DEP_1) | instskip(SKIP_1) | instid1(VALU_DEP_2)
	v_mov_b32_e32 v123, v119
	v_pk_mul_f32 v[118:119], v[120:121], v[110:111] op_sel:[0,1]
	v_pk_add_f32 v[78:79], v[78:79], v[122:123] neg_lo:[0,1] neg_hi:[0,1]
	s_delay_alu instid0(VALU_DEP_2) | instskip(SKIP_1) | instid1(VALU_DEP_1)
	v_pk_fma_f32 v[122:123], v[120:121], v[108:109], v[118:119] op_sel:[0,0,1] op_sel_hi:[1,1,0] neg_lo:[0,0,1] neg_hi:[0,0,1]
	v_pk_fma_f32 v[118:119], v[120:121], v[108:109], v[118:119] op_sel:[0,0,1] op_sel_hi:[1,0,0]
	v_mov_b32_e32 v123, v119
	ds_load_2addr_b64 v[118:121], v112 offset0:49 offset1:50
	v_pk_add_f32 v[88:89], v[88:89], v[122:123] neg_lo:[0,1] neg_hi:[0,1]
	s_wait_dscnt 0x0
	v_pk_mul_f32 v[122:123], v[118:119], v[110:111] op_sel:[0,1]
	v_mul_f32_e32 v110, v121, v111
	s_delay_alu instid0(VALU_DEP_2) | instskip(SKIP_2) | instid1(VALU_DEP_4)
	v_pk_fma_f32 v[124:125], v[118:119], v[108:109], v[122:123] op_sel:[0,0,1] op_sel_hi:[1,1,0] neg_lo:[0,0,1] neg_hi:[0,0,1]
	v_pk_fma_f32 v[118:119], v[118:119], v[108:109], v[122:123] op_sel:[0,0,1] op_sel_hi:[1,0,0]
	v_dual_mov_b32 v118, v121 :: v_dual_mul_f32 v108, v121, v108
	v_pk_fma_f32 v[110:111], v[120:121], v[28:29], v[110:111] op_sel_hi:[1,1,0] neg_lo:[0,0,1] neg_hi:[0,0,1]
	s_delay_alu instid0(VALU_DEP_3) | instskip(NEXT) | instid1(VALU_DEP_1)
	v_dual_mov_b32 v125, v119 :: v_dual_mov_b32 v119, v120
	v_pk_add_f32 v[86:87], v[86:87], v[124:125] neg_lo:[0,1] neg_hi:[0,1]
	s_delay_alu instid0(VALU_DEP_2) | instskip(NEXT) | instid1(VALU_DEP_1)
	v_pk_fma_f32 v[108:109], v[118:119], v[28:29], v[108:109] op_sel_hi:[1,1,0]
	v_mov_b32_e32 v111, v109
	s_delay_alu instid0(VALU_DEP_1)
	v_pk_add_f32 v[106:107], v[106:107], v[110:111] neg_lo:[0,1] neg_hi:[0,1]
.LBB100_188:
	s_or_b32 exec_lo, exec_lo, s0
	v_lshl_add_u32 v108, v116, 3, v112
	s_barrier_signal -1
	s_barrier_wait -1
	ds_store_b64 v108, v[26:27]
	s_wait_dscnt 0x0
	s_barrier_signal -1
	s_barrier_wait -1
	ds_load_b64 v[110:111], v112 offset:72
	v_mov_b32_e32 v108, 9
	s_cmp_lt_i32 s18, 11
	s_cbranch_scc1 .LBB100_191
; %bb.189:
	v_add3_u32 v109, v113, 0, 0x50
	v_mov_b32_e32 v108, 9
	s_mov_b32 s0, 10
.LBB100_190:                            ; =>This Inner Loop Header: Depth=1
	ds_load_b64 v[118:119], v109
	s_wait_dscnt 0x1
	v_cmp_gt_f32_e32 vcc_lo, 0, v110
	v_cndmask_b32_e64 v120, v110, -v110, vcc_lo
	v_cmp_gt_f32_e32 vcc_lo, 0, v111
	v_cndmask_b32_e64 v122, v111, -v111, vcc_lo
	s_wait_dscnt 0x0
	v_cmp_gt_f32_e32 vcc_lo, 0, v118
	v_cndmask_b32_e64 v121, v118, -v118, vcc_lo
	v_cmp_gt_f32_e32 vcc_lo, 0, v119
	v_cndmask_b32_e64 v123, v119, -v119, vcc_lo
	s_delay_alu instid0(VALU_DEP_1) | instskip(NEXT) | instid1(VALU_DEP_1)
	v_pk_add_f32 v[120:121], v[120:121], v[122:123]
	v_cmp_lt_f32_e32 vcc_lo, v120, v121
	v_dual_add_nc_u32 v109, 8, v109 :: v_dual_cndmask_b32 v111, v111, v119, vcc_lo
	v_cndmask_b32_e32 v110, v110, v118, vcc_lo
	v_cndmask_b32_e64 v108, v108, s0, vcc_lo
	s_add_co_i32 s0, s0, 1
	s_delay_alu instid0(SALU_CYCLE_1)
	s_cmp_lg_u32 s18, s0
	s_cbranch_scc1 .LBB100_190
.LBB100_191:
	s_wait_dscnt 0x0
	v_cmp_eq_f32_e32 vcc_lo, 0, v110
	v_cmp_eq_f32_e64 s0, 0, v111
	s_and_b32 s0, vcc_lo, s0
	s_delay_alu instid0(SALU_CYCLE_1) | instskip(NEXT) | instid1(SALU_CYCLE_1)
	s_and_saveexec_b32 s1, s0
	s_xor_b32 s0, exec_lo, s1
; %bb.192:
	v_cmp_ne_u32_e32 vcc_lo, 0, v114
	v_cndmask_b32_e32 v114, 10, v114, vcc_lo
; %bb.193:
	s_and_not1_saveexec_b32 s0, s0
	s_cbranch_execz .LBB100_199
; %bb.194:
	v_cmp_ngt_f32_e64 s1, |v110|, |v111|
	s_and_saveexec_b32 s12, s1
	s_delay_alu instid0(SALU_CYCLE_1)
	s_xor_b32 s1, exec_lo, s12
	s_cbranch_execz .LBB100_196
; %bb.195:
	v_div_scale_f32 v109, null, v111, v111, v110
	v_div_scale_f32 v119, vcc_lo, v110, v111, v110
	s_delay_alu instid0(VALU_DEP_2) | instskip(SKIP_1) | instid1(TRANS32_DEP_1)
	v_rcp_f32_e32 v117, v109
	v_nop
	v_fma_f32 v118, -v109, v117, 1.0
	s_delay_alu instid0(VALU_DEP_1) | instskip(NEXT) | instid1(VALU_DEP_1)
	v_fmac_f32_e32 v117, v118, v117
	v_mul_f32_e32 v118, v119, v117
	s_delay_alu instid0(VALU_DEP_1) | instskip(NEXT) | instid1(VALU_DEP_1)
	v_fma_f32 v120, -v109, v118, v119
	v_fmac_f32_e32 v118, v120, v117
	s_delay_alu instid0(VALU_DEP_1) | instskip(NEXT) | instid1(VALU_DEP_1)
	v_fma_f32 v109, -v109, v118, v119
	v_div_fmas_f32 v109, v109, v117, v118
	s_delay_alu instid0(VALU_DEP_1) | instskip(NEXT) | instid1(VALU_DEP_1)
	v_div_fixup_f32 v109, v109, v111, v110
	v_fmac_f32_e32 v111, v110, v109
	s_delay_alu instid0(VALU_DEP_1) | instskip(SKIP_1) | instid1(VALU_DEP_2)
	v_div_scale_f32 v110, null, v111, v111, 1.0
	v_div_scale_f32 v119, vcc_lo, 1.0, v111, 1.0
	v_rcp_f32_e32 v117, v110
	v_nop
	s_delay_alu instid0(TRANS32_DEP_1) | instskip(NEXT) | instid1(VALU_DEP_1)
	v_fma_f32 v118, -v110, v117, 1.0
	v_fmac_f32_e32 v117, v118, v117
	s_delay_alu instid0(VALU_DEP_1) | instskip(NEXT) | instid1(VALU_DEP_1)
	v_mul_f32_e32 v118, v119, v117
	v_fma_f32 v120, -v110, v118, v119
	s_delay_alu instid0(VALU_DEP_1) | instskip(NEXT) | instid1(VALU_DEP_1)
	v_fmac_f32_e32 v118, v120, v117
	v_fma_f32 v110, -v110, v118, v119
	s_delay_alu instid0(VALU_DEP_1) | instskip(NEXT) | instid1(VALU_DEP_1)
	v_div_fmas_f32 v110, v110, v117, v118
	v_div_fixup_f32 v111, v110, v111, 1.0
	s_delay_alu instid0(VALU_DEP_1)
	v_mul_f32_e32 v110, v109, v111
	v_xor_b32_e32 v111, 0x80000000, v111
.LBB100_196:
	s_and_not1_saveexec_b32 s1, s1
	s_cbranch_execz .LBB100_198
; %bb.197:
	s_delay_alu instid0(VALU_DEP_1) | instskip(SKIP_1) | instid1(VALU_DEP_2)
	v_div_scale_f32 v109, null, v110, v110, v111
	v_div_scale_f32 v119, vcc_lo, v111, v110, v111
	v_rcp_f32_e32 v117, v109
	v_nop
	s_delay_alu instid0(TRANS32_DEP_1) | instskip(NEXT) | instid1(VALU_DEP_1)
	v_fma_f32 v118, -v109, v117, 1.0
	v_fmac_f32_e32 v117, v118, v117
	s_delay_alu instid0(VALU_DEP_1) | instskip(NEXT) | instid1(VALU_DEP_1)
	v_mul_f32_e32 v118, v119, v117
	v_fma_f32 v120, -v109, v118, v119
	s_delay_alu instid0(VALU_DEP_1) | instskip(NEXT) | instid1(VALU_DEP_1)
	v_fmac_f32_e32 v118, v120, v117
	v_fma_f32 v109, -v109, v118, v119
	s_delay_alu instid0(VALU_DEP_1) | instskip(NEXT) | instid1(VALU_DEP_1)
	v_div_fmas_f32 v109, v109, v117, v118
	v_div_fixup_f32 v109, v109, v110, v111
	s_delay_alu instid0(VALU_DEP_1) | instskip(NEXT) | instid1(VALU_DEP_1)
	v_fmac_f32_e32 v110, v111, v109
	v_div_scale_f32 v111, null, v110, v110, 1.0
	s_delay_alu instid0(VALU_DEP_1) | instskip(SKIP_1) | instid1(TRANS32_DEP_1)
	v_rcp_f32_e32 v117, v111
	v_nop
	v_fma_f32 v118, -v111, v117, 1.0
	s_delay_alu instid0(VALU_DEP_1) | instskip(SKIP_1) | instid1(VALU_DEP_1)
	v_fmac_f32_e32 v117, v118, v117
	v_div_scale_f32 v118, vcc_lo, 1.0, v110, 1.0
	v_mul_f32_e32 v119, v118, v117
	s_delay_alu instid0(VALU_DEP_1) | instskip(NEXT) | instid1(VALU_DEP_1)
	v_fma_f32 v120, -v111, v119, v118
	v_fmac_f32_e32 v119, v120, v117
	s_delay_alu instid0(VALU_DEP_1) | instskip(NEXT) | instid1(VALU_DEP_1)
	v_fma_f32 v111, -v111, v119, v118
	v_div_fmas_f32 v111, v111, v117, v119
	s_delay_alu instid0(VALU_DEP_1) | instskip(NEXT) | instid1(VALU_DEP_1)
	v_div_fixup_f32 v110, v111, v110, 1.0
	v_mul_f32_e64 v111, v109, -v110
.LBB100_198:
	s_or_b32 exec_lo, exec_lo, s1
.LBB100_199:
	s_delay_alu instid0(SALU_CYCLE_1) | instskip(NEXT) | instid1(SALU_CYCLE_1)
	s_or_b32 exec_lo, exec_lo, s0
	s_mov_b32 s0, exec_lo
	v_cmpx_ne_u32_e64 v116, v108
	s_xor_b32 s0, exec_lo, s0
	s_cbranch_execz .LBB100_205
; %bb.200:
	s_mov_b32 s1, exec_lo
	v_cmpx_eq_u32_e32 9, v116
	s_cbranch_execz .LBB100_204
; %bb.201:
	v_cmp_ne_u32_e32 vcc_lo, 9, v108
	s_xor_b32 s12, s16, -1
	s_delay_alu instid0(SALU_CYCLE_1) | instskip(NEXT) | instid1(SALU_CYCLE_1)
	s_and_b32 s13, s12, vcc_lo
	s_and_saveexec_b32 s12, s13
	s_cbranch_execz .LBB100_203
; %bb.202:
	v_ashrrev_i32_e32 v109, 31, v108
	s_delay_alu instid0(VALU_DEP_1)
	v_lshl_add_u64 v[116:117], v[108:109], 2, v[4:5]
	s_clause 0x1
	global_load_b32 v109, v[116:117], off
	global_load_b32 v115, v[4:5], off offset:36
	s_wait_loadcnt 0x1
	global_store_b32 v[4:5], v109, off offset:36
	s_wait_loadcnt 0x0
	global_store_b32 v[116:117], v115, off
.LBB100_203:
	s_wait_xcnt 0x0
	s_or_b32 exec_lo, exec_lo, s12
	v_dual_mov_b32 v116, v108 :: v_dual_mov_b32 v115, v108
.LBB100_204:
	s_or_b32 exec_lo, exec_lo, s1
.LBB100_205:
	s_and_not1_saveexec_b32 s0, s0
	s_cbranch_execz .LBB100_207
; %bb.206:
	v_dual_mov_b32 v108, v12 :: v_dual_mov_b32 v109, v13
	v_dual_mov_b32 v116, v10 :: v_dual_mov_b32 v117, v11
	ds_store_2addr_b64 v112, v[108:109], v[116:117] offset0:10 offset1:11
	v_dual_mov_b32 v108, v36 :: v_dual_mov_b32 v109, v37
	v_dual_mov_b32 v116, v34 :: v_dual_mov_b32 v117, v35
	ds_store_2addr_b64 v112, v[108:109], v[116:117] offset0:12 offset1:13
	v_dual_mov_b32 v108, v18 :: v_dual_mov_b32 v109, v19
	v_dual_mov_b32 v116, v14 :: v_dual_mov_b32 v117, v15
	ds_store_2addr_b64 v112, v[108:109], v[116:117] offset0:14 offset1:15
	v_dual_mov_b32 v108, v44 :: v_dual_mov_b32 v109, v45
	v_dual_mov_b32 v116, v42 :: v_dual_mov_b32 v117, v43
	ds_store_2addr_b64 v112, v[108:109], v[116:117] offset0:16 offset1:17
	v_dual_mov_b32 v108, v22 :: v_dual_mov_b32 v109, v23
	v_dual_mov_b32 v116, v20 :: v_dual_mov_b32 v117, v21
	ds_store_2addr_b64 v112, v[108:109], v[116:117] offset0:18 offset1:19
	v_dual_mov_b32 v108, v52 :: v_dual_mov_b32 v109, v53
	v_dual_mov_b32 v116, v50 :: v_dual_mov_b32 v117, v51
	ds_store_2addr_b64 v112, v[108:109], v[116:117] offset0:20 offset1:21
	v_dual_mov_b32 v108, v32 :: v_dual_mov_b32 v109, v33
	v_dual_mov_b32 v116, v30 :: v_dual_mov_b32 v117, v31
	ds_store_2addr_b64 v112, v[108:109], v[116:117] offset0:22 offset1:23
	v_dual_mov_b32 v108, v62 :: v_dual_mov_b32 v109, v63
	v_dual_mov_b32 v116, v60 :: v_dual_mov_b32 v117, v61
	ds_store_2addr_b64 v112, v[108:109], v[116:117] offset0:24 offset1:25
	v_dual_mov_b32 v108, v40 :: v_dual_mov_b32 v109, v41
	v_dual_mov_b32 v116, v38 :: v_dual_mov_b32 v117, v39
	ds_store_2addr_b64 v112, v[108:109], v[116:117] offset0:26 offset1:27
	v_dual_mov_b32 v108, v70 :: v_dual_mov_b32 v109, v71
	v_dual_mov_b32 v116, v68 :: v_dual_mov_b32 v117, v69
	ds_store_2addr_b64 v112, v[108:109], v[116:117] offset0:28 offset1:29
	v_dual_mov_b32 v108, v48 :: v_dual_mov_b32 v109, v49
	v_dual_mov_b32 v116, v46 :: v_dual_mov_b32 v117, v47
	ds_store_2addr_b64 v112, v[108:109], v[116:117] offset0:30 offset1:31
	v_dual_mov_b32 v108, v84 :: v_dual_mov_b32 v109, v85
	v_dual_mov_b32 v116, v82 :: v_dual_mov_b32 v117, v83
	ds_store_2addr_b64 v112, v[108:109], v[116:117] offset0:32 offset1:33
	v_dual_mov_b32 v108, v56 :: v_dual_mov_b32 v109, v57
	v_dual_mov_b32 v116, v54 :: v_dual_mov_b32 v117, v55
	ds_store_2addr_b64 v112, v[108:109], v[116:117] offset0:34 offset1:35
	v_dual_mov_b32 v108, v94 :: v_dual_mov_b32 v109, v95
	v_dual_mov_b32 v116, v92 :: v_dual_mov_b32 v117, v93
	ds_store_2addr_b64 v112, v[108:109], v[116:117] offset0:36 offset1:37
	v_dual_mov_b32 v108, v66 :: v_dual_mov_b32 v109, v67
	v_dual_mov_b32 v116, v64 :: v_dual_mov_b32 v117, v65
	ds_store_2addr_b64 v112, v[108:109], v[116:117] offset0:38 offset1:39
	v_dual_mov_b32 v108, v104 :: v_dual_mov_b32 v109, v105
	v_dual_mov_b32 v116, v102 :: v_dual_mov_b32 v117, v103
	ds_store_2addr_b64 v112, v[108:109], v[116:117] offset0:40 offset1:41
	v_dual_mov_b32 v108, v76 :: v_dual_mov_b32 v109, v77
	v_dual_mov_b32 v116, v74 :: v_dual_mov_b32 v117, v75
	ds_store_2addr_b64 v112, v[108:109], v[116:117] offset0:42 offset1:43
	v_dual_mov_b32 v108, v98 :: v_dual_mov_b32 v109, v99
	v_dual_mov_b32 v116, v96 :: v_dual_mov_b32 v117, v97
	ds_store_2addr_b64 v112, v[108:109], v[116:117] offset0:44 offset1:45
	v_dual_mov_b32 v108, v80 :: v_dual_mov_b32 v109, v81
	v_dual_mov_b32 v116, v78 :: v_dual_mov_b32 v117, v79
	ds_store_2addr_b64 v112, v[108:109], v[116:117] offset0:46 offset1:47
	v_dual_mov_b32 v108, v88 :: v_dual_mov_b32 v109, v89
	v_dual_mov_b32 v116, v86 :: v_dual_mov_b32 v117, v87
	ds_store_2addr_b64 v112, v[108:109], v[116:117] offset0:48 offset1:49
	ds_store_b64 v112, v[106:107] offset:400
	v_mov_b32_e32 v116, 9
.LBB100_207:
	s_or_b32 exec_lo, exec_lo, s0
	s_delay_alu instid0(SALU_CYCLE_1)
	s_mov_b32 s0, exec_lo
	s_wait_storecnt_dscnt 0x0
	s_barrier_signal -1
	s_barrier_wait -1
	v_cmpx_lt_i32_e32 9, v116
	s_cbranch_execz .LBB100_209
; %bb.208:
	v_pk_mul_f32 v[118:119], v[110:111], v[26:27] op_sel:[1,1] op_sel_hi:[0,1]
	s_delay_alu instid0(VALU_DEP_1)
	v_pk_fma_f32 v[108:109], v[110:111], v[26:27], v[118:119] op_sel_hi:[1,0,1] neg_lo:[0,0,1] neg_hi:[0,0,1]
	v_pk_fma_f32 v[110:111], v[110:111], v[26:27], v[118:119] op_sel_hi:[1,0,1]
	ds_load_2addr_b64 v[118:121], v112 offset0:10 offset1:11
	v_dual_mov_b32 v26, v108 :: v_dual_mov_b32 v27, v111
	s_wait_dscnt 0x0
	v_pk_mul_f32 v[122:123], v[118:119], v[110:111] op_sel:[0,1]
	s_delay_alu instid0(VALU_DEP_1) | instskip(SKIP_1) | instid1(VALU_DEP_1)
	v_pk_fma_f32 v[124:125], v[118:119], v[108:109], v[122:123] op_sel:[0,0,1] op_sel_hi:[1,1,0] neg_lo:[0,0,1] neg_hi:[0,0,1]
	v_pk_fma_f32 v[118:119], v[118:119], v[108:109], v[122:123] op_sel:[0,0,1] op_sel_hi:[1,0,0]
	v_mov_b32_e32 v125, v119
	v_pk_mul_f32 v[118:119], v[120:121], v[110:111] op_sel:[0,1]
	s_delay_alu instid0(VALU_DEP_1) | instskip(SKIP_1) | instid1(VALU_DEP_1)
	v_pk_fma_f32 v[122:123], v[120:121], v[108:109], v[118:119] op_sel:[0,0,1] op_sel_hi:[1,1,0] neg_lo:[0,0,1] neg_hi:[0,0,1]
	v_pk_fma_f32 v[118:119], v[120:121], v[108:109], v[118:119] op_sel:[0,0,1] op_sel_hi:[1,0,0]
	v_mov_b32_e32 v123, v119
	ds_load_2addr_b64 v[118:121], v112 offset0:12 offset1:13
	v_pk_add_f32 v[12:13], v[12:13], v[124:125] neg_lo:[0,1] neg_hi:[0,1]
	v_pk_add_f32 v[10:11], v[10:11], v[122:123] neg_lo:[0,1] neg_hi:[0,1]
	s_wait_dscnt 0x0
	v_pk_mul_f32 v[122:123], v[118:119], v[110:111] op_sel:[0,1]
	s_delay_alu instid0(VALU_DEP_1) | instskip(SKIP_2) | instid1(VALU_DEP_2)
	v_pk_fma_f32 v[124:125], v[118:119], v[108:109], v[122:123] op_sel:[0,0,1] op_sel_hi:[1,1,0] neg_lo:[0,0,1] neg_hi:[0,0,1]
	v_pk_fma_f32 v[118:119], v[118:119], v[108:109], v[122:123] op_sel:[0,0,1] op_sel_hi:[1,0,0]
	v_dual_mul_f32 v122, v121, v111 :: v_dual_mov_b32 v118, v121
	v_dual_mov_b32 v125, v119 :: v_dual_mov_b32 v119, v120
	s_delay_alu instid0(VALU_DEP_2) | instskip(SKIP_1) | instid1(VALU_DEP_3)
	v_pk_fma_f32 v[122:123], v[120:121], v[26:27], v[122:123] op_sel_hi:[1,1,0] neg_lo:[0,0,1] neg_hi:[0,0,1]
	v_mul_f32_e32 v120, v121, v108
	v_pk_add_f32 v[36:37], v[36:37], v[124:125] neg_lo:[0,1] neg_hi:[0,1]
	s_delay_alu instid0(VALU_DEP_2) | instskip(NEXT) | instid1(VALU_DEP_1)
	v_pk_fma_f32 v[118:119], v[118:119], v[26:27], v[120:121] op_sel_hi:[1,1,0]
	v_mov_b32_e32 v123, v119
	ds_load_2addr_b64 v[118:121], v112 offset0:14 offset1:15
	v_pk_add_f32 v[34:35], v[34:35], v[122:123] neg_lo:[0,1] neg_hi:[0,1]
	s_wait_dscnt 0x0
	v_pk_mul_f32 v[122:123], v[118:119], v[110:111] op_sel:[0,1]
	s_delay_alu instid0(VALU_DEP_1) | instskip(SKIP_1) | instid1(VALU_DEP_1)
	v_pk_fma_f32 v[124:125], v[118:119], v[108:109], v[122:123] op_sel:[0,0,1] op_sel_hi:[1,1,0] neg_lo:[0,0,1] neg_hi:[0,0,1]
	v_pk_fma_f32 v[118:119], v[118:119], v[108:109], v[122:123] op_sel:[0,0,1] op_sel_hi:[1,0,0]
	v_mov_b32_e32 v125, v119
	v_pk_mul_f32 v[118:119], v[120:121], v[110:111] op_sel:[0,1]
	s_delay_alu instid0(VALU_DEP_1) | instskip(SKIP_1) | instid1(VALU_DEP_1)
	v_pk_fma_f32 v[122:123], v[120:121], v[108:109], v[118:119] op_sel:[0,0,1] op_sel_hi:[1,1,0] neg_lo:[0,0,1] neg_hi:[0,0,1]
	v_pk_fma_f32 v[118:119], v[120:121], v[108:109], v[118:119] op_sel:[0,0,1] op_sel_hi:[1,0,0]
	v_mov_b32_e32 v123, v119
	ds_load_2addr_b64 v[118:121], v112 offset0:16 offset1:17
	v_pk_add_f32 v[18:19], v[18:19], v[124:125] neg_lo:[0,1] neg_hi:[0,1]
	v_pk_add_f32 v[14:15], v[14:15], v[122:123] neg_lo:[0,1] neg_hi:[0,1]
	s_wait_dscnt 0x0
	v_pk_mul_f32 v[122:123], v[118:119], v[110:111] op_sel:[0,1]
	s_delay_alu instid0(VALU_DEP_1) | instskip(SKIP_1) | instid1(VALU_DEP_1)
	v_pk_fma_f32 v[124:125], v[118:119], v[108:109], v[122:123] op_sel:[0,0,1] op_sel_hi:[1,1,0] neg_lo:[0,0,1] neg_hi:[0,0,1]
	v_pk_fma_f32 v[118:119], v[118:119], v[108:109], v[122:123] op_sel:[0,0,1] op_sel_hi:[1,0,0]
	v_mov_b32_e32 v125, v119
	v_pk_mul_f32 v[118:119], v[120:121], v[110:111] op_sel:[0,1]
	s_delay_alu instid0(VALU_DEP_1) | instskip(SKIP_1) | instid1(VALU_DEP_1)
	v_pk_fma_f32 v[122:123], v[120:121], v[108:109], v[118:119] op_sel:[0,0,1] op_sel_hi:[1,1,0] neg_lo:[0,0,1] neg_hi:[0,0,1]
	v_pk_fma_f32 v[118:119], v[120:121], v[108:109], v[118:119] op_sel:[0,0,1] op_sel_hi:[1,0,0]
	v_mov_b32_e32 v123, v119
	ds_load_2addr_b64 v[118:121], v112 offset0:18 offset1:19
	v_pk_add_f32 v[44:45], v[44:45], v[124:125] neg_lo:[0,1] neg_hi:[0,1]
	v_pk_add_f32 v[42:43], v[42:43], v[122:123] neg_lo:[0,1] neg_hi:[0,1]
	s_wait_dscnt 0x0
	v_dual_mul_f32 v122, v119, v111 :: v_dual_mul_f32 v124, v119, v108
	s_delay_alu instid0(VALU_DEP_1) | instskip(NEXT) | instid1(VALU_DEP_2)
	v_pk_fma_f32 v[122:123], v[118:119], v[26:27], v[122:123] op_sel_hi:[1,1,0] neg_lo:[0,0,1] neg_hi:[0,0,1]
	v_pk_fma_f32 v[118:119], v[118:119], v[26:27], v[124:125] op_sel:[1,0,0] op_sel_hi:[0,1,0]
	s_delay_alu instid0(VALU_DEP_1) | instskip(SKIP_1) | instid1(VALU_DEP_2)
	v_mov_b32_e32 v123, v119
	v_pk_mul_f32 v[118:119], v[120:121], v[110:111] op_sel:[0,1]
	v_pk_add_f32 v[22:23], v[22:23], v[122:123] neg_lo:[0,1] neg_hi:[0,1]
	s_delay_alu instid0(VALU_DEP_2) | instskip(SKIP_1) | instid1(VALU_DEP_1)
	v_pk_fma_f32 v[122:123], v[120:121], v[108:109], v[118:119] op_sel:[0,0,1] op_sel_hi:[1,1,0] neg_lo:[0,0,1] neg_hi:[0,0,1]
	v_pk_fma_f32 v[118:119], v[120:121], v[108:109], v[118:119] op_sel:[0,0,1] op_sel_hi:[1,0,0]
	v_mov_b32_e32 v123, v119
	ds_load_2addr_b64 v[118:121], v112 offset0:20 offset1:21
	v_pk_add_f32 v[20:21], v[20:21], v[122:123] neg_lo:[0,1] neg_hi:[0,1]
	s_wait_dscnt 0x0
	v_pk_mul_f32 v[122:123], v[118:119], v[110:111] op_sel:[0,1]
	s_delay_alu instid0(VALU_DEP_1) | instskip(SKIP_1) | instid1(VALU_DEP_1)
	v_pk_fma_f32 v[124:125], v[118:119], v[108:109], v[122:123] op_sel:[0,0,1] op_sel_hi:[1,1,0] neg_lo:[0,0,1] neg_hi:[0,0,1]
	v_pk_fma_f32 v[118:119], v[118:119], v[108:109], v[122:123] op_sel:[0,0,1] op_sel_hi:[1,0,0]
	v_mov_b32_e32 v125, v119
	v_pk_mul_f32 v[118:119], v[120:121], v[110:111] op_sel:[0,1]
	s_delay_alu instid0(VALU_DEP_2) | instskip(NEXT) | instid1(VALU_DEP_2)
	v_pk_add_f32 v[52:53], v[52:53], v[124:125] neg_lo:[0,1] neg_hi:[0,1]
	v_pk_fma_f32 v[122:123], v[120:121], v[108:109], v[118:119] op_sel:[0,0,1] op_sel_hi:[1,1,0] neg_lo:[0,0,1] neg_hi:[0,0,1]
	v_pk_fma_f32 v[118:119], v[120:121], v[108:109], v[118:119] op_sel:[0,0,1] op_sel_hi:[1,0,0]
	s_delay_alu instid0(VALU_DEP_1) | instskip(SKIP_4) | instid1(VALU_DEP_1)
	v_mov_b32_e32 v123, v119
	ds_load_2addr_b64 v[118:121], v112 offset0:22 offset1:23
	v_pk_add_f32 v[50:51], v[50:51], v[122:123] neg_lo:[0,1] neg_hi:[0,1]
	s_wait_dscnt 0x0
	v_pk_mul_f32 v[122:123], v[118:119], v[110:111] op_sel:[0,1]
	v_pk_fma_f32 v[124:125], v[118:119], v[108:109], v[122:123] op_sel:[0,0,1] op_sel_hi:[1,1,0] neg_lo:[0,0,1] neg_hi:[0,0,1]
	v_pk_fma_f32 v[118:119], v[118:119], v[108:109], v[122:123] op_sel:[0,0,1] op_sel_hi:[1,0,0]
	v_dual_mul_f32 v122, v121, v111 :: v_dual_mov_b32 v118, v121
	s_delay_alu instid0(VALU_DEP_2) | instskip(NEXT) | instid1(VALU_DEP_2)
	v_dual_mov_b32 v125, v119 :: v_dual_mov_b32 v119, v120
	v_pk_fma_f32 v[122:123], v[120:121], v[26:27], v[122:123] op_sel_hi:[1,1,0] neg_lo:[0,0,1] neg_hi:[0,0,1]
	v_mul_f32_e32 v120, v121, v108
	s_delay_alu instid0(VALU_DEP_3) | instskip(NEXT) | instid1(VALU_DEP_2)
	v_pk_add_f32 v[32:33], v[32:33], v[124:125] neg_lo:[0,1] neg_hi:[0,1]
	v_pk_fma_f32 v[118:119], v[118:119], v[26:27], v[120:121] op_sel_hi:[1,1,0]
	s_delay_alu instid0(VALU_DEP_1) | instskip(SKIP_4) | instid1(VALU_DEP_1)
	v_mov_b32_e32 v123, v119
	ds_load_2addr_b64 v[118:121], v112 offset0:24 offset1:25
	v_pk_add_f32 v[30:31], v[30:31], v[122:123] neg_lo:[0,1] neg_hi:[0,1]
	s_wait_dscnt 0x0
	v_pk_mul_f32 v[122:123], v[118:119], v[110:111] op_sel:[0,1]
	v_pk_fma_f32 v[124:125], v[118:119], v[108:109], v[122:123] op_sel:[0,0,1] op_sel_hi:[1,1,0] neg_lo:[0,0,1] neg_hi:[0,0,1]
	v_pk_fma_f32 v[118:119], v[118:119], v[108:109], v[122:123] op_sel:[0,0,1] op_sel_hi:[1,0,0]
	s_delay_alu instid0(VALU_DEP_1) | instskip(SKIP_1) | instid1(VALU_DEP_1)
	v_mov_b32_e32 v125, v119
	v_pk_mul_f32 v[118:119], v[120:121], v[110:111] op_sel:[0,1]
	v_pk_fma_f32 v[122:123], v[120:121], v[108:109], v[118:119] op_sel:[0,0,1] op_sel_hi:[1,1,0] neg_lo:[0,0,1] neg_hi:[0,0,1]
	v_pk_fma_f32 v[118:119], v[120:121], v[108:109], v[118:119] op_sel:[0,0,1] op_sel_hi:[1,0,0]
	s_delay_alu instid0(VALU_DEP_1)
	v_mov_b32_e32 v123, v119
	ds_load_2addr_b64 v[118:121], v112 offset0:26 offset1:27
	v_pk_add_f32 v[62:63], v[62:63], v[124:125] neg_lo:[0,1] neg_hi:[0,1]
	v_pk_add_f32 v[60:61], v[60:61], v[122:123] neg_lo:[0,1] neg_hi:[0,1]
	s_wait_dscnt 0x0
	v_pk_mul_f32 v[122:123], v[118:119], v[110:111] op_sel:[0,1]
	s_delay_alu instid0(VALU_DEP_1) | instskip(SKIP_1) | instid1(VALU_DEP_1)
	v_pk_fma_f32 v[124:125], v[118:119], v[108:109], v[122:123] op_sel:[0,0,1] op_sel_hi:[1,1,0] neg_lo:[0,0,1] neg_hi:[0,0,1]
	v_pk_fma_f32 v[118:119], v[118:119], v[108:109], v[122:123] op_sel:[0,0,1] op_sel_hi:[1,0,0]
	v_mov_b32_e32 v125, v119
	v_pk_mul_f32 v[118:119], v[120:121], v[110:111] op_sel:[0,1]
	s_delay_alu instid0(VALU_DEP_1) | instskip(SKIP_1) | instid1(VALU_DEP_1)
	v_pk_fma_f32 v[122:123], v[120:121], v[108:109], v[118:119] op_sel:[0,0,1] op_sel_hi:[1,1,0] neg_lo:[0,0,1] neg_hi:[0,0,1]
	v_pk_fma_f32 v[118:119], v[120:121], v[108:109], v[118:119] op_sel:[0,0,1] op_sel_hi:[1,0,0]
	v_mov_b32_e32 v123, v119
	ds_load_2addr_b64 v[118:121], v112 offset0:28 offset1:29
	v_pk_add_f32 v[40:41], v[40:41], v[124:125] neg_lo:[0,1] neg_hi:[0,1]
	v_pk_add_f32 v[38:39], v[38:39], v[122:123] neg_lo:[0,1] neg_hi:[0,1]
	s_wait_dscnt 0x0
	v_dual_mul_f32 v122, v119, v111 :: v_dual_mul_f32 v124, v119, v108
	s_delay_alu instid0(VALU_DEP_1) | instskip(NEXT) | instid1(VALU_DEP_2)
	v_pk_fma_f32 v[122:123], v[118:119], v[26:27], v[122:123] op_sel_hi:[1,1,0] neg_lo:[0,0,1] neg_hi:[0,0,1]
	v_pk_fma_f32 v[118:119], v[118:119], v[26:27], v[124:125] op_sel:[1,0,0] op_sel_hi:[0,1,0]
	s_delay_alu instid0(VALU_DEP_1) | instskip(SKIP_1) | instid1(VALU_DEP_2)
	v_mov_b32_e32 v123, v119
	v_pk_mul_f32 v[118:119], v[120:121], v[110:111] op_sel:[0,1]
	v_pk_add_f32 v[70:71], v[70:71], v[122:123] neg_lo:[0,1] neg_hi:[0,1]
	s_delay_alu instid0(VALU_DEP_2) | instskip(SKIP_1) | instid1(VALU_DEP_1)
	v_pk_fma_f32 v[122:123], v[120:121], v[108:109], v[118:119] op_sel:[0,0,1] op_sel_hi:[1,1,0] neg_lo:[0,0,1] neg_hi:[0,0,1]
	v_pk_fma_f32 v[118:119], v[120:121], v[108:109], v[118:119] op_sel:[0,0,1] op_sel_hi:[1,0,0]
	v_mov_b32_e32 v123, v119
	ds_load_2addr_b64 v[118:121], v112 offset0:30 offset1:31
	v_pk_add_f32 v[68:69], v[68:69], v[122:123] neg_lo:[0,1] neg_hi:[0,1]
	s_wait_dscnt 0x0
	v_pk_mul_f32 v[122:123], v[118:119], v[110:111] op_sel:[0,1]
	s_delay_alu instid0(VALU_DEP_1) | instskip(SKIP_1) | instid1(VALU_DEP_1)
	v_pk_fma_f32 v[124:125], v[118:119], v[108:109], v[122:123] op_sel:[0,0,1] op_sel_hi:[1,1,0] neg_lo:[0,0,1] neg_hi:[0,0,1]
	v_pk_fma_f32 v[118:119], v[118:119], v[108:109], v[122:123] op_sel:[0,0,1] op_sel_hi:[1,0,0]
	v_mov_b32_e32 v125, v119
	v_pk_mul_f32 v[118:119], v[120:121], v[110:111] op_sel:[0,1]
	s_delay_alu instid0(VALU_DEP_2) | instskip(NEXT) | instid1(VALU_DEP_2)
	v_pk_add_f32 v[48:49], v[48:49], v[124:125] neg_lo:[0,1] neg_hi:[0,1]
	v_pk_fma_f32 v[122:123], v[120:121], v[108:109], v[118:119] op_sel:[0,0,1] op_sel_hi:[1,1,0] neg_lo:[0,0,1] neg_hi:[0,0,1]
	v_pk_fma_f32 v[118:119], v[120:121], v[108:109], v[118:119] op_sel:[0,0,1] op_sel_hi:[1,0,0]
	s_delay_alu instid0(VALU_DEP_1) | instskip(SKIP_4) | instid1(VALU_DEP_1)
	v_mov_b32_e32 v123, v119
	ds_load_2addr_b64 v[118:121], v112 offset0:32 offset1:33
	v_pk_add_f32 v[46:47], v[46:47], v[122:123] neg_lo:[0,1] neg_hi:[0,1]
	s_wait_dscnt 0x0
	v_pk_mul_f32 v[122:123], v[118:119], v[110:111] op_sel:[0,1]
	v_pk_fma_f32 v[124:125], v[118:119], v[108:109], v[122:123] op_sel:[0,0,1] op_sel_hi:[1,1,0] neg_lo:[0,0,1] neg_hi:[0,0,1]
	v_pk_fma_f32 v[118:119], v[118:119], v[108:109], v[122:123] op_sel:[0,0,1] op_sel_hi:[1,0,0]
	v_dual_mul_f32 v122, v121, v111 :: v_dual_mov_b32 v118, v121
	s_delay_alu instid0(VALU_DEP_2) | instskip(NEXT) | instid1(VALU_DEP_2)
	v_dual_mov_b32 v125, v119 :: v_dual_mov_b32 v119, v120
	v_pk_fma_f32 v[122:123], v[120:121], v[26:27], v[122:123] op_sel_hi:[1,1,0] neg_lo:[0,0,1] neg_hi:[0,0,1]
	v_mul_f32_e32 v120, v121, v108
	s_delay_alu instid0(VALU_DEP_3) | instskip(NEXT) | instid1(VALU_DEP_2)
	v_pk_add_f32 v[84:85], v[84:85], v[124:125] neg_lo:[0,1] neg_hi:[0,1]
	v_pk_fma_f32 v[118:119], v[118:119], v[26:27], v[120:121] op_sel_hi:[1,1,0]
	s_delay_alu instid0(VALU_DEP_1) | instskip(SKIP_4) | instid1(VALU_DEP_1)
	v_mov_b32_e32 v123, v119
	ds_load_2addr_b64 v[118:121], v112 offset0:34 offset1:35
	v_pk_add_f32 v[82:83], v[82:83], v[122:123] neg_lo:[0,1] neg_hi:[0,1]
	s_wait_dscnt 0x0
	v_pk_mul_f32 v[122:123], v[118:119], v[110:111] op_sel:[0,1]
	v_pk_fma_f32 v[124:125], v[118:119], v[108:109], v[122:123] op_sel:[0,0,1] op_sel_hi:[1,1,0] neg_lo:[0,0,1] neg_hi:[0,0,1]
	v_pk_fma_f32 v[118:119], v[118:119], v[108:109], v[122:123] op_sel:[0,0,1] op_sel_hi:[1,0,0]
	s_delay_alu instid0(VALU_DEP_1) | instskip(SKIP_1) | instid1(VALU_DEP_1)
	v_mov_b32_e32 v125, v119
	v_pk_mul_f32 v[118:119], v[120:121], v[110:111] op_sel:[0,1]
	v_pk_fma_f32 v[122:123], v[120:121], v[108:109], v[118:119] op_sel:[0,0,1] op_sel_hi:[1,1,0] neg_lo:[0,0,1] neg_hi:[0,0,1]
	v_pk_fma_f32 v[118:119], v[120:121], v[108:109], v[118:119] op_sel:[0,0,1] op_sel_hi:[1,0,0]
	s_delay_alu instid0(VALU_DEP_1)
	v_mov_b32_e32 v123, v119
	ds_load_2addr_b64 v[118:121], v112 offset0:36 offset1:37
	v_pk_add_f32 v[56:57], v[56:57], v[124:125] neg_lo:[0,1] neg_hi:[0,1]
	v_pk_add_f32 v[54:55], v[54:55], v[122:123] neg_lo:[0,1] neg_hi:[0,1]
	s_wait_dscnt 0x0
	v_pk_mul_f32 v[122:123], v[118:119], v[110:111] op_sel:[0,1]
	s_delay_alu instid0(VALU_DEP_1) | instskip(SKIP_1) | instid1(VALU_DEP_1)
	v_pk_fma_f32 v[124:125], v[118:119], v[108:109], v[122:123] op_sel:[0,0,1] op_sel_hi:[1,1,0] neg_lo:[0,0,1] neg_hi:[0,0,1]
	v_pk_fma_f32 v[118:119], v[118:119], v[108:109], v[122:123] op_sel:[0,0,1] op_sel_hi:[1,0,0]
	v_mov_b32_e32 v125, v119
	v_pk_mul_f32 v[118:119], v[120:121], v[110:111] op_sel:[0,1]
	s_delay_alu instid0(VALU_DEP_1) | instskip(SKIP_1) | instid1(VALU_DEP_1)
	v_pk_fma_f32 v[122:123], v[120:121], v[108:109], v[118:119] op_sel:[0,0,1] op_sel_hi:[1,1,0] neg_lo:[0,0,1] neg_hi:[0,0,1]
	v_pk_fma_f32 v[118:119], v[120:121], v[108:109], v[118:119] op_sel:[0,0,1] op_sel_hi:[1,0,0]
	v_mov_b32_e32 v123, v119
	ds_load_2addr_b64 v[118:121], v112 offset0:38 offset1:39
	v_pk_add_f32 v[94:95], v[94:95], v[124:125] neg_lo:[0,1] neg_hi:[0,1]
	v_pk_add_f32 v[92:93], v[92:93], v[122:123] neg_lo:[0,1] neg_hi:[0,1]
	s_wait_dscnt 0x0
	v_dual_mul_f32 v122, v119, v111 :: v_dual_mul_f32 v124, v119, v108
	s_delay_alu instid0(VALU_DEP_1) | instskip(NEXT) | instid1(VALU_DEP_2)
	v_pk_fma_f32 v[122:123], v[118:119], v[26:27], v[122:123] op_sel_hi:[1,1,0] neg_lo:[0,0,1] neg_hi:[0,0,1]
	v_pk_fma_f32 v[118:119], v[118:119], v[26:27], v[124:125] op_sel:[1,0,0] op_sel_hi:[0,1,0]
	s_delay_alu instid0(VALU_DEP_1) | instskip(SKIP_1) | instid1(VALU_DEP_2)
	v_mov_b32_e32 v123, v119
	v_pk_mul_f32 v[118:119], v[120:121], v[110:111] op_sel:[0,1]
	v_pk_add_f32 v[66:67], v[66:67], v[122:123] neg_lo:[0,1] neg_hi:[0,1]
	s_delay_alu instid0(VALU_DEP_2) | instskip(SKIP_1) | instid1(VALU_DEP_1)
	v_pk_fma_f32 v[122:123], v[120:121], v[108:109], v[118:119] op_sel:[0,0,1] op_sel_hi:[1,1,0] neg_lo:[0,0,1] neg_hi:[0,0,1]
	v_pk_fma_f32 v[118:119], v[120:121], v[108:109], v[118:119] op_sel:[0,0,1] op_sel_hi:[1,0,0]
	v_mov_b32_e32 v123, v119
	ds_load_2addr_b64 v[118:121], v112 offset0:40 offset1:41
	v_pk_add_f32 v[64:65], v[64:65], v[122:123] neg_lo:[0,1] neg_hi:[0,1]
	s_wait_dscnt 0x0
	v_pk_mul_f32 v[122:123], v[118:119], v[110:111] op_sel:[0,1]
	s_delay_alu instid0(VALU_DEP_1) | instskip(SKIP_1) | instid1(VALU_DEP_1)
	v_pk_fma_f32 v[124:125], v[118:119], v[108:109], v[122:123] op_sel:[0,0,1] op_sel_hi:[1,1,0] neg_lo:[0,0,1] neg_hi:[0,0,1]
	v_pk_fma_f32 v[118:119], v[118:119], v[108:109], v[122:123] op_sel:[0,0,1] op_sel_hi:[1,0,0]
	v_mov_b32_e32 v125, v119
	v_pk_mul_f32 v[118:119], v[120:121], v[110:111] op_sel:[0,1]
	s_delay_alu instid0(VALU_DEP_2) | instskip(NEXT) | instid1(VALU_DEP_2)
	v_pk_add_f32 v[104:105], v[104:105], v[124:125] neg_lo:[0,1] neg_hi:[0,1]
	v_pk_fma_f32 v[122:123], v[120:121], v[108:109], v[118:119] op_sel:[0,0,1] op_sel_hi:[1,1,0] neg_lo:[0,0,1] neg_hi:[0,0,1]
	v_pk_fma_f32 v[118:119], v[120:121], v[108:109], v[118:119] op_sel:[0,0,1] op_sel_hi:[1,0,0]
	s_delay_alu instid0(VALU_DEP_1) | instskip(SKIP_4) | instid1(VALU_DEP_1)
	v_mov_b32_e32 v123, v119
	ds_load_2addr_b64 v[118:121], v112 offset0:42 offset1:43
	v_pk_add_f32 v[102:103], v[102:103], v[122:123] neg_lo:[0,1] neg_hi:[0,1]
	s_wait_dscnt 0x0
	v_pk_mul_f32 v[122:123], v[118:119], v[110:111] op_sel:[0,1]
	v_pk_fma_f32 v[124:125], v[118:119], v[108:109], v[122:123] op_sel:[0,0,1] op_sel_hi:[1,1,0] neg_lo:[0,0,1] neg_hi:[0,0,1]
	v_pk_fma_f32 v[118:119], v[118:119], v[108:109], v[122:123] op_sel:[0,0,1] op_sel_hi:[1,0,0]
	v_dual_mul_f32 v122, v121, v111 :: v_dual_mov_b32 v118, v121
	s_delay_alu instid0(VALU_DEP_2) | instskip(NEXT) | instid1(VALU_DEP_2)
	v_dual_mov_b32 v125, v119 :: v_dual_mov_b32 v119, v120
	v_pk_fma_f32 v[122:123], v[120:121], v[26:27], v[122:123] op_sel_hi:[1,1,0] neg_lo:[0,0,1] neg_hi:[0,0,1]
	v_mul_f32_e32 v120, v121, v108
	s_delay_alu instid0(VALU_DEP_3) | instskip(NEXT) | instid1(VALU_DEP_2)
	v_pk_add_f32 v[76:77], v[76:77], v[124:125] neg_lo:[0,1] neg_hi:[0,1]
	v_pk_fma_f32 v[118:119], v[118:119], v[26:27], v[120:121] op_sel_hi:[1,1,0]
	s_delay_alu instid0(VALU_DEP_1) | instskip(SKIP_4) | instid1(VALU_DEP_1)
	v_mov_b32_e32 v123, v119
	ds_load_2addr_b64 v[118:121], v112 offset0:44 offset1:45
	v_pk_add_f32 v[74:75], v[74:75], v[122:123] neg_lo:[0,1] neg_hi:[0,1]
	s_wait_dscnt 0x0
	v_pk_mul_f32 v[122:123], v[118:119], v[110:111] op_sel:[0,1]
	v_pk_fma_f32 v[124:125], v[118:119], v[108:109], v[122:123] op_sel:[0,0,1] op_sel_hi:[1,1,0] neg_lo:[0,0,1] neg_hi:[0,0,1]
	v_pk_fma_f32 v[118:119], v[118:119], v[108:109], v[122:123] op_sel:[0,0,1] op_sel_hi:[1,0,0]
	s_delay_alu instid0(VALU_DEP_1) | instskip(SKIP_1) | instid1(VALU_DEP_1)
	v_mov_b32_e32 v125, v119
	v_pk_mul_f32 v[118:119], v[120:121], v[110:111] op_sel:[0,1]
	v_pk_fma_f32 v[122:123], v[120:121], v[108:109], v[118:119] op_sel:[0,0,1] op_sel_hi:[1,1,0] neg_lo:[0,0,1] neg_hi:[0,0,1]
	v_pk_fma_f32 v[118:119], v[120:121], v[108:109], v[118:119] op_sel:[0,0,1] op_sel_hi:[1,0,0]
	s_delay_alu instid0(VALU_DEP_1)
	v_mov_b32_e32 v123, v119
	ds_load_2addr_b64 v[118:121], v112 offset0:46 offset1:47
	v_pk_add_f32 v[98:99], v[98:99], v[124:125] neg_lo:[0,1] neg_hi:[0,1]
	v_pk_add_f32 v[96:97], v[96:97], v[122:123] neg_lo:[0,1] neg_hi:[0,1]
	s_wait_dscnt 0x0
	v_pk_mul_f32 v[122:123], v[118:119], v[110:111] op_sel:[0,1]
	s_delay_alu instid0(VALU_DEP_1) | instskip(SKIP_1) | instid1(VALU_DEP_1)
	v_pk_fma_f32 v[124:125], v[118:119], v[108:109], v[122:123] op_sel:[0,0,1] op_sel_hi:[1,1,0] neg_lo:[0,0,1] neg_hi:[0,0,1]
	v_pk_fma_f32 v[118:119], v[118:119], v[108:109], v[122:123] op_sel:[0,0,1] op_sel_hi:[1,0,0]
	v_mov_b32_e32 v125, v119
	v_pk_mul_f32 v[118:119], v[120:121], v[110:111] op_sel:[0,1]
	s_delay_alu instid0(VALU_DEP_1) | instskip(SKIP_1) | instid1(VALU_DEP_1)
	v_pk_fma_f32 v[122:123], v[120:121], v[108:109], v[118:119] op_sel:[0,0,1] op_sel_hi:[1,1,0] neg_lo:[0,0,1] neg_hi:[0,0,1]
	v_pk_fma_f32 v[118:119], v[120:121], v[108:109], v[118:119] op_sel:[0,0,1] op_sel_hi:[1,0,0]
	v_mov_b32_e32 v123, v119
	ds_load_2addr_b64 v[118:121], v112 offset0:48 offset1:49
	v_pk_add_f32 v[80:81], v[80:81], v[124:125] neg_lo:[0,1] neg_hi:[0,1]
	v_pk_add_f32 v[78:79], v[78:79], v[122:123] neg_lo:[0,1] neg_hi:[0,1]
	s_wait_dscnt 0x0
	v_dual_mul_f32 v122, v119, v111 :: v_dual_mul_f32 v124, v119, v108
	s_delay_alu instid0(VALU_DEP_1) | instskip(NEXT) | instid1(VALU_DEP_2)
	v_pk_fma_f32 v[122:123], v[118:119], v[26:27], v[122:123] op_sel_hi:[1,1,0] neg_lo:[0,0,1] neg_hi:[0,0,1]
	v_pk_fma_f32 v[118:119], v[118:119], v[26:27], v[124:125] op_sel:[1,0,0] op_sel_hi:[0,1,0]
	s_delay_alu instid0(VALU_DEP_1) | instskip(SKIP_1) | instid1(VALU_DEP_2)
	v_mov_b32_e32 v123, v119
	v_pk_mul_f32 v[118:119], v[120:121], v[110:111] op_sel:[0,1]
	v_pk_add_f32 v[88:89], v[88:89], v[122:123] neg_lo:[0,1] neg_hi:[0,1]
	s_delay_alu instid0(VALU_DEP_2) | instskip(SKIP_1) | instid1(VALU_DEP_1)
	v_pk_fma_f32 v[122:123], v[120:121], v[108:109], v[118:119] op_sel:[0,0,1] op_sel_hi:[1,1,0] neg_lo:[0,0,1] neg_hi:[0,0,1]
	v_pk_fma_f32 v[118:119], v[120:121], v[108:109], v[118:119] op_sel:[0,0,1] op_sel_hi:[1,0,0]
	v_mov_b32_e32 v123, v119
	ds_load_b64 v[118:119], v112 offset:400
	v_pk_add_f32 v[86:87], v[86:87], v[122:123] neg_lo:[0,1] neg_hi:[0,1]
	s_wait_dscnt 0x0
	v_pk_mul_f32 v[110:111], v[118:119], v[110:111] op_sel:[0,1]
	s_delay_alu instid0(VALU_DEP_1) | instskip(SKIP_1) | instid1(VALU_DEP_1)
	v_pk_fma_f32 v[120:121], v[118:119], v[108:109], v[110:111] op_sel:[0,0,1] op_sel_hi:[1,1,0] neg_lo:[0,0,1] neg_hi:[0,0,1]
	v_pk_fma_f32 v[108:109], v[118:119], v[108:109], v[110:111] op_sel:[0,0,1] op_sel_hi:[1,0,0]
	v_mov_b32_e32 v121, v109
	s_delay_alu instid0(VALU_DEP_1)
	v_pk_add_f32 v[106:107], v[106:107], v[120:121] neg_lo:[0,1] neg_hi:[0,1]
.LBB100_209:
	s_or_b32 exec_lo, exec_lo, s0
	v_lshl_add_u32 v108, v116, 3, v112
	s_barrier_signal -1
	s_barrier_wait -1
	ds_store_b64 v108, v[12:13]
	s_wait_dscnt 0x0
	s_barrier_signal -1
	s_barrier_wait -1
	ds_load_b64 v[110:111], v112 offset:80
	v_mov_b32_e32 v108, 10
	s_cmp_lt_i32 s18, 12
	s_cbranch_scc1 .LBB100_212
; %bb.210:
	v_add3_u32 v109, v113, 0, 0x58
	v_mov_b32_e32 v108, 10
	s_mov_b32 s0, 11
.LBB100_211:                            ; =>This Inner Loop Header: Depth=1
	ds_load_b64 v[118:119], v109
	s_wait_dscnt 0x1
	v_cmp_gt_f32_e32 vcc_lo, 0, v110
	v_cndmask_b32_e64 v120, v110, -v110, vcc_lo
	v_cmp_gt_f32_e32 vcc_lo, 0, v111
	v_cndmask_b32_e64 v122, v111, -v111, vcc_lo
	s_wait_dscnt 0x0
	v_cmp_gt_f32_e32 vcc_lo, 0, v118
	v_cndmask_b32_e64 v121, v118, -v118, vcc_lo
	v_cmp_gt_f32_e32 vcc_lo, 0, v119
	v_cndmask_b32_e64 v123, v119, -v119, vcc_lo
	s_delay_alu instid0(VALU_DEP_1) | instskip(NEXT) | instid1(VALU_DEP_1)
	v_pk_add_f32 v[120:121], v[120:121], v[122:123]
	v_cmp_lt_f32_e32 vcc_lo, v120, v121
	v_dual_add_nc_u32 v109, 8, v109 :: v_dual_cndmask_b32 v111, v111, v119, vcc_lo
	v_cndmask_b32_e32 v110, v110, v118, vcc_lo
	v_cndmask_b32_e64 v108, v108, s0, vcc_lo
	s_add_co_i32 s0, s0, 1
	s_delay_alu instid0(SALU_CYCLE_1)
	s_cmp_lg_u32 s18, s0
	s_cbranch_scc1 .LBB100_211
.LBB100_212:
	s_wait_dscnt 0x0
	v_cmp_eq_f32_e32 vcc_lo, 0, v110
	v_cmp_eq_f32_e64 s0, 0, v111
	s_and_b32 s0, vcc_lo, s0
	s_delay_alu instid0(SALU_CYCLE_1) | instskip(NEXT) | instid1(SALU_CYCLE_1)
	s_and_saveexec_b32 s1, s0
	s_xor_b32 s0, exec_lo, s1
; %bb.213:
	v_cmp_ne_u32_e32 vcc_lo, 0, v114
	v_cndmask_b32_e32 v114, 11, v114, vcc_lo
; %bb.214:
	s_and_not1_saveexec_b32 s0, s0
	s_cbranch_execz .LBB100_220
; %bb.215:
	v_cmp_ngt_f32_e64 s1, |v110|, |v111|
	s_and_saveexec_b32 s12, s1
	s_delay_alu instid0(SALU_CYCLE_1)
	s_xor_b32 s1, exec_lo, s12
	s_cbranch_execz .LBB100_217
; %bb.216:
	v_div_scale_f32 v109, null, v111, v111, v110
	v_div_scale_f32 v119, vcc_lo, v110, v111, v110
	s_delay_alu instid0(VALU_DEP_2) | instskip(SKIP_1) | instid1(TRANS32_DEP_1)
	v_rcp_f32_e32 v117, v109
	v_nop
	v_fma_f32 v118, -v109, v117, 1.0
	s_delay_alu instid0(VALU_DEP_1) | instskip(NEXT) | instid1(VALU_DEP_1)
	v_fmac_f32_e32 v117, v118, v117
	v_mul_f32_e32 v118, v119, v117
	s_delay_alu instid0(VALU_DEP_1) | instskip(NEXT) | instid1(VALU_DEP_1)
	v_fma_f32 v120, -v109, v118, v119
	v_fmac_f32_e32 v118, v120, v117
	s_delay_alu instid0(VALU_DEP_1) | instskip(NEXT) | instid1(VALU_DEP_1)
	v_fma_f32 v109, -v109, v118, v119
	v_div_fmas_f32 v109, v109, v117, v118
	s_delay_alu instid0(VALU_DEP_1) | instskip(NEXT) | instid1(VALU_DEP_1)
	v_div_fixup_f32 v109, v109, v111, v110
	v_fmac_f32_e32 v111, v110, v109
	s_delay_alu instid0(VALU_DEP_1) | instskip(SKIP_1) | instid1(VALU_DEP_2)
	v_div_scale_f32 v110, null, v111, v111, 1.0
	v_div_scale_f32 v119, vcc_lo, 1.0, v111, 1.0
	v_rcp_f32_e32 v117, v110
	v_nop
	s_delay_alu instid0(TRANS32_DEP_1) | instskip(NEXT) | instid1(VALU_DEP_1)
	v_fma_f32 v118, -v110, v117, 1.0
	v_fmac_f32_e32 v117, v118, v117
	s_delay_alu instid0(VALU_DEP_1) | instskip(NEXT) | instid1(VALU_DEP_1)
	v_mul_f32_e32 v118, v119, v117
	v_fma_f32 v120, -v110, v118, v119
	s_delay_alu instid0(VALU_DEP_1) | instskip(NEXT) | instid1(VALU_DEP_1)
	v_fmac_f32_e32 v118, v120, v117
	v_fma_f32 v110, -v110, v118, v119
	s_delay_alu instid0(VALU_DEP_1) | instskip(NEXT) | instid1(VALU_DEP_1)
	v_div_fmas_f32 v110, v110, v117, v118
	v_div_fixup_f32 v111, v110, v111, 1.0
	s_delay_alu instid0(VALU_DEP_1)
	v_mul_f32_e32 v110, v109, v111
	v_xor_b32_e32 v111, 0x80000000, v111
.LBB100_217:
	s_and_not1_saveexec_b32 s1, s1
	s_cbranch_execz .LBB100_219
; %bb.218:
	s_delay_alu instid0(VALU_DEP_1) | instskip(SKIP_1) | instid1(VALU_DEP_2)
	v_div_scale_f32 v109, null, v110, v110, v111
	v_div_scale_f32 v119, vcc_lo, v111, v110, v111
	v_rcp_f32_e32 v117, v109
	v_nop
	s_delay_alu instid0(TRANS32_DEP_1) | instskip(NEXT) | instid1(VALU_DEP_1)
	v_fma_f32 v118, -v109, v117, 1.0
	v_fmac_f32_e32 v117, v118, v117
	s_delay_alu instid0(VALU_DEP_1) | instskip(NEXT) | instid1(VALU_DEP_1)
	v_mul_f32_e32 v118, v119, v117
	v_fma_f32 v120, -v109, v118, v119
	s_delay_alu instid0(VALU_DEP_1) | instskip(NEXT) | instid1(VALU_DEP_1)
	v_fmac_f32_e32 v118, v120, v117
	v_fma_f32 v109, -v109, v118, v119
	s_delay_alu instid0(VALU_DEP_1) | instskip(NEXT) | instid1(VALU_DEP_1)
	v_div_fmas_f32 v109, v109, v117, v118
	v_div_fixup_f32 v109, v109, v110, v111
	s_delay_alu instid0(VALU_DEP_1) | instskip(NEXT) | instid1(VALU_DEP_1)
	v_fmac_f32_e32 v110, v111, v109
	v_div_scale_f32 v111, null, v110, v110, 1.0
	s_delay_alu instid0(VALU_DEP_1) | instskip(SKIP_1) | instid1(TRANS32_DEP_1)
	v_rcp_f32_e32 v117, v111
	v_nop
	v_fma_f32 v118, -v111, v117, 1.0
	s_delay_alu instid0(VALU_DEP_1) | instskip(SKIP_1) | instid1(VALU_DEP_1)
	v_fmac_f32_e32 v117, v118, v117
	v_div_scale_f32 v118, vcc_lo, 1.0, v110, 1.0
	v_mul_f32_e32 v119, v118, v117
	s_delay_alu instid0(VALU_DEP_1) | instskip(NEXT) | instid1(VALU_DEP_1)
	v_fma_f32 v120, -v111, v119, v118
	v_fmac_f32_e32 v119, v120, v117
	s_delay_alu instid0(VALU_DEP_1) | instskip(NEXT) | instid1(VALU_DEP_1)
	v_fma_f32 v111, -v111, v119, v118
	v_div_fmas_f32 v111, v111, v117, v119
	s_delay_alu instid0(VALU_DEP_1) | instskip(NEXT) | instid1(VALU_DEP_1)
	v_div_fixup_f32 v110, v111, v110, 1.0
	v_mul_f32_e64 v111, v109, -v110
.LBB100_219:
	s_or_b32 exec_lo, exec_lo, s1
.LBB100_220:
	s_delay_alu instid0(SALU_CYCLE_1) | instskip(NEXT) | instid1(SALU_CYCLE_1)
	s_or_b32 exec_lo, exec_lo, s0
	s_mov_b32 s0, exec_lo
	v_cmpx_ne_u32_e64 v116, v108
	s_xor_b32 s0, exec_lo, s0
	s_cbranch_execz .LBB100_226
; %bb.221:
	s_mov_b32 s1, exec_lo
	v_cmpx_eq_u32_e32 10, v116
	s_cbranch_execz .LBB100_225
; %bb.222:
	v_cmp_ne_u32_e32 vcc_lo, 10, v108
	s_xor_b32 s12, s16, -1
	s_delay_alu instid0(SALU_CYCLE_1) | instskip(NEXT) | instid1(SALU_CYCLE_1)
	s_and_b32 s13, s12, vcc_lo
	s_and_saveexec_b32 s12, s13
	s_cbranch_execz .LBB100_224
; %bb.223:
	v_ashrrev_i32_e32 v109, 31, v108
	s_delay_alu instid0(VALU_DEP_1)
	v_lshl_add_u64 v[116:117], v[108:109], 2, v[4:5]
	s_clause 0x1
	global_load_b32 v109, v[116:117], off
	global_load_b32 v115, v[4:5], off offset:40
	s_wait_loadcnt 0x1
	global_store_b32 v[4:5], v109, off offset:40
	s_wait_loadcnt 0x0
	global_store_b32 v[116:117], v115, off
.LBB100_224:
	s_wait_xcnt 0x0
	s_or_b32 exec_lo, exec_lo, s12
	v_dual_mov_b32 v116, v108 :: v_dual_mov_b32 v115, v108
.LBB100_225:
	s_or_b32 exec_lo, exec_lo, s1
.LBB100_226:
	s_and_not1_saveexec_b32 s0, s0
	s_cbranch_execz .LBB100_228
; %bb.227:
	v_mov_b32_e32 v116, 10
	ds_store_2addr_b64 v112, v[10:11], v[36:37] offset0:11 offset1:12
	ds_store_2addr_b64 v112, v[34:35], v[18:19] offset0:13 offset1:14
	ds_store_2addr_b64 v112, v[14:15], v[44:45] offset0:15 offset1:16
	ds_store_2addr_b64 v112, v[42:43], v[22:23] offset0:17 offset1:18
	ds_store_2addr_b64 v112, v[20:21], v[52:53] offset0:19 offset1:20
	ds_store_2addr_b64 v112, v[50:51], v[32:33] offset0:21 offset1:22
	ds_store_2addr_b64 v112, v[30:31], v[62:63] offset0:23 offset1:24
	ds_store_2addr_b64 v112, v[60:61], v[40:41] offset0:25 offset1:26
	ds_store_2addr_b64 v112, v[38:39], v[70:71] offset0:27 offset1:28
	ds_store_2addr_b64 v112, v[68:69], v[48:49] offset0:29 offset1:30
	ds_store_2addr_b64 v112, v[46:47], v[84:85] offset0:31 offset1:32
	ds_store_2addr_b64 v112, v[82:83], v[56:57] offset0:33 offset1:34
	ds_store_2addr_b64 v112, v[54:55], v[94:95] offset0:35 offset1:36
	ds_store_2addr_b64 v112, v[92:93], v[66:67] offset0:37 offset1:38
	ds_store_2addr_b64 v112, v[64:65], v[104:105] offset0:39 offset1:40
	ds_store_2addr_b64 v112, v[102:103], v[76:77] offset0:41 offset1:42
	ds_store_2addr_b64 v112, v[74:75], v[98:99] offset0:43 offset1:44
	ds_store_2addr_b64 v112, v[96:97], v[80:81] offset0:45 offset1:46
	ds_store_2addr_b64 v112, v[78:79], v[88:89] offset0:47 offset1:48
	ds_store_2addr_b64 v112, v[86:87], v[106:107] offset0:49 offset1:50
.LBB100_228:
	s_or_b32 exec_lo, exec_lo, s0
	s_delay_alu instid0(SALU_CYCLE_1)
	s_mov_b32 s0, exec_lo
	s_wait_storecnt_dscnt 0x0
	s_barrier_signal -1
	s_barrier_wait -1
	v_cmpx_lt_i32_e32 10, v116
	s_cbranch_execz .LBB100_230
; %bb.229:
	v_pk_mul_f32 v[118:119], v[110:111], v[12:13] op_sel:[1,1] op_sel_hi:[0,1]
	s_delay_alu instid0(VALU_DEP_1)
	v_pk_fma_f32 v[108:109], v[110:111], v[12:13], v[118:119] op_sel_hi:[1,0,1] neg_lo:[0,0,1] neg_hi:[0,0,1]
	v_pk_fma_f32 v[110:111], v[110:111], v[12:13], v[118:119] op_sel_hi:[1,0,1]
	ds_load_2addr_b64 v[118:121], v112 offset0:11 offset1:12
	v_dual_mov_b32 v12, v108 :: v_dual_mov_b32 v13, v111
	s_wait_dscnt 0x0
	v_pk_mul_f32 v[122:123], v[118:119], v[110:111] op_sel:[0,1]
	s_delay_alu instid0(VALU_DEP_1) | instskip(SKIP_1) | instid1(VALU_DEP_1)
	v_pk_fma_f32 v[124:125], v[118:119], v[108:109], v[122:123] op_sel:[0,0,1] op_sel_hi:[1,1,0] neg_lo:[0,0,1] neg_hi:[0,0,1]
	v_pk_fma_f32 v[118:119], v[118:119], v[108:109], v[122:123] op_sel:[0,0,1] op_sel_hi:[1,0,0]
	v_mov_b32_e32 v125, v119
	v_pk_mul_f32 v[118:119], v[120:121], v[110:111] op_sel:[0,1]
	s_delay_alu instid0(VALU_DEP_1) | instskip(SKIP_1) | instid1(VALU_DEP_1)
	v_pk_fma_f32 v[122:123], v[120:121], v[108:109], v[118:119] op_sel:[0,0,1] op_sel_hi:[1,1,0] neg_lo:[0,0,1] neg_hi:[0,0,1]
	v_pk_fma_f32 v[118:119], v[120:121], v[108:109], v[118:119] op_sel:[0,0,1] op_sel_hi:[1,0,0]
	v_mov_b32_e32 v123, v119
	ds_load_2addr_b64 v[118:121], v112 offset0:13 offset1:14
	v_pk_add_f32 v[10:11], v[10:11], v[124:125] neg_lo:[0,1] neg_hi:[0,1]
	v_pk_add_f32 v[36:37], v[36:37], v[122:123] neg_lo:[0,1] neg_hi:[0,1]
	s_wait_dscnt 0x0
	v_pk_mul_f32 v[122:123], v[118:119], v[110:111] op_sel:[0,1]
	s_delay_alu instid0(VALU_DEP_1) | instskip(SKIP_2) | instid1(VALU_DEP_2)
	v_pk_fma_f32 v[124:125], v[118:119], v[108:109], v[122:123] op_sel:[0,0,1] op_sel_hi:[1,1,0] neg_lo:[0,0,1] neg_hi:[0,0,1]
	v_pk_fma_f32 v[118:119], v[118:119], v[108:109], v[122:123] op_sel:[0,0,1] op_sel_hi:[1,0,0]
	v_dual_mul_f32 v122, v121, v111 :: v_dual_mov_b32 v118, v121
	v_dual_mov_b32 v125, v119 :: v_dual_mov_b32 v119, v120
	s_delay_alu instid0(VALU_DEP_2) | instskip(SKIP_1) | instid1(VALU_DEP_3)
	v_pk_fma_f32 v[122:123], v[120:121], v[12:13], v[122:123] op_sel_hi:[1,1,0] neg_lo:[0,0,1] neg_hi:[0,0,1]
	v_mul_f32_e32 v120, v121, v108
	v_pk_add_f32 v[34:35], v[34:35], v[124:125] neg_lo:[0,1] neg_hi:[0,1]
	s_delay_alu instid0(VALU_DEP_2) | instskip(NEXT) | instid1(VALU_DEP_1)
	v_pk_fma_f32 v[118:119], v[118:119], v[12:13], v[120:121] op_sel_hi:[1,1,0]
	v_mov_b32_e32 v123, v119
	ds_load_2addr_b64 v[118:121], v112 offset0:15 offset1:16
	v_pk_add_f32 v[18:19], v[18:19], v[122:123] neg_lo:[0,1] neg_hi:[0,1]
	s_wait_dscnt 0x0
	v_pk_mul_f32 v[122:123], v[118:119], v[110:111] op_sel:[0,1]
	s_delay_alu instid0(VALU_DEP_1) | instskip(SKIP_1) | instid1(VALU_DEP_1)
	v_pk_fma_f32 v[124:125], v[118:119], v[108:109], v[122:123] op_sel:[0,0,1] op_sel_hi:[1,1,0] neg_lo:[0,0,1] neg_hi:[0,0,1]
	v_pk_fma_f32 v[118:119], v[118:119], v[108:109], v[122:123] op_sel:[0,0,1] op_sel_hi:[1,0,0]
	v_mov_b32_e32 v125, v119
	v_pk_mul_f32 v[118:119], v[120:121], v[110:111] op_sel:[0,1]
	s_delay_alu instid0(VALU_DEP_1) | instskip(SKIP_1) | instid1(VALU_DEP_1)
	v_pk_fma_f32 v[122:123], v[120:121], v[108:109], v[118:119] op_sel:[0,0,1] op_sel_hi:[1,1,0] neg_lo:[0,0,1] neg_hi:[0,0,1]
	v_pk_fma_f32 v[118:119], v[120:121], v[108:109], v[118:119] op_sel:[0,0,1] op_sel_hi:[1,0,0]
	v_mov_b32_e32 v123, v119
	ds_load_2addr_b64 v[118:121], v112 offset0:17 offset1:18
	v_pk_add_f32 v[14:15], v[14:15], v[124:125] neg_lo:[0,1] neg_hi:[0,1]
	v_pk_add_f32 v[44:45], v[44:45], v[122:123] neg_lo:[0,1] neg_hi:[0,1]
	s_wait_dscnt 0x0
	v_pk_mul_f32 v[122:123], v[118:119], v[110:111] op_sel:[0,1]
	s_delay_alu instid0(VALU_DEP_1) | instskip(SKIP_1) | instid1(VALU_DEP_1)
	v_pk_fma_f32 v[124:125], v[118:119], v[108:109], v[122:123] op_sel:[0,0,1] op_sel_hi:[1,1,0] neg_lo:[0,0,1] neg_hi:[0,0,1]
	v_pk_fma_f32 v[118:119], v[118:119], v[108:109], v[122:123] op_sel:[0,0,1] op_sel_hi:[1,0,0]
	v_mov_b32_e32 v125, v119
	v_pk_mul_f32 v[118:119], v[120:121], v[110:111] op_sel:[0,1]
	s_delay_alu instid0(VALU_DEP_1) | instskip(SKIP_1) | instid1(VALU_DEP_1)
	v_pk_fma_f32 v[122:123], v[120:121], v[108:109], v[118:119] op_sel:[0,0,1] op_sel_hi:[1,1,0] neg_lo:[0,0,1] neg_hi:[0,0,1]
	v_pk_fma_f32 v[118:119], v[120:121], v[108:109], v[118:119] op_sel:[0,0,1] op_sel_hi:[1,0,0]
	v_mov_b32_e32 v123, v119
	ds_load_2addr_b64 v[118:121], v112 offset0:19 offset1:20
	v_pk_add_f32 v[42:43], v[42:43], v[124:125] neg_lo:[0,1] neg_hi:[0,1]
	v_pk_add_f32 v[22:23], v[22:23], v[122:123] neg_lo:[0,1] neg_hi:[0,1]
	s_wait_dscnt 0x0
	v_dual_mul_f32 v122, v119, v111 :: v_dual_mul_f32 v124, v119, v108
	s_delay_alu instid0(VALU_DEP_1) | instskip(NEXT) | instid1(VALU_DEP_2)
	v_pk_fma_f32 v[122:123], v[118:119], v[12:13], v[122:123] op_sel_hi:[1,1,0] neg_lo:[0,0,1] neg_hi:[0,0,1]
	v_pk_fma_f32 v[118:119], v[118:119], v[12:13], v[124:125] op_sel:[1,0,0] op_sel_hi:[0,1,0]
	s_delay_alu instid0(VALU_DEP_1) | instskip(SKIP_1) | instid1(VALU_DEP_2)
	v_mov_b32_e32 v123, v119
	v_pk_mul_f32 v[118:119], v[120:121], v[110:111] op_sel:[0,1]
	v_pk_add_f32 v[20:21], v[20:21], v[122:123] neg_lo:[0,1] neg_hi:[0,1]
	s_delay_alu instid0(VALU_DEP_2) | instskip(SKIP_1) | instid1(VALU_DEP_1)
	v_pk_fma_f32 v[122:123], v[120:121], v[108:109], v[118:119] op_sel:[0,0,1] op_sel_hi:[1,1,0] neg_lo:[0,0,1] neg_hi:[0,0,1]
	v_pk_fma_f32 v[118:119], v[120:121], v[108:109], v[118:119] op_sel:[0,0,1] op_sel_hi:[1,0,0]
	v_mov_b32_e32 v123, v119
	ds_load_2addr_b64 v[118:121], v112 offset0:21 offset1:22
	v_pk_add_f32 v[52:53], v[52:53], v[122:123] neg_lo:[0,1] neg_hi:[0,1]
	s_wait_dscnt 0x0
	v_pk_mul_f32 v[122:123], v[118:119], v[110:111] op_sel:[0,1]
	s_delay_alu instid0(VALU_DEP_1) | instskip(SKIP_1) | instid1(VALU_DEP_1)
	v_pk_fma_f32 v[124:125], v[118:119], v[108:109], v[122:123] op_sel:[0,0,1] op_sel_hi:[1,1,0] neg_lo:[0,0,1] neg_hi:[0,0,1]
	v_pk_fma_f32 v[118:119], v[118:119], v[108:109], v[122:123] op_sel:[0,0,1] op_sel_hi:[1,0,0]
	v_mov_b32_e32 v125, v119
	v_pk_mul_f32 v[118:119], v[120:121], v[110:111] op_sel:[0,1]
	s_delay_alu instid0(VALU_DEP_2) | instskip(NEXT) | instid1(VALU_DEP_2)
	v_pk_add_f32 v[50:51], v[50:51], v[124:125] neg_lo:[0,1] neg_hi:[0,1]
	v_pk_fma_f32 v[122:123], v[120:121], v[108:109], v[118:119] op_sel:[0,0,1] op_sel_hi:[1,1,0] neg_lo:[0,0,1] neg_hi:[0,0,1]
	v_pk_fma_f32 v[118:119], v[120:121], v[108:109], v[118:119] op_sel:[0,0,1] op_sel_hi:[1,0,0]
	s_delay_alu instid0(VALU_DEP_1) | instskip(SKIP_4) | instid1(VALU_DEP_1)
	v_mov_b32_e32 v123, v119
	ds_load_2addr_b64 v[118:121], v112 offset0:23 offset1:24
	v_pk_add_f32 v[32:33], v[32:33], v[122:123] neg_lo:[0,1] neg_hi:[0,1]
	s_wait_dscnt 0x0
	v_pk_mul_f32 v[122:123], v[118:119], v[110:111] op_sel:[0,1]
	v_pk_fma_f32 v[124:125], v[118:119], v[108:109], v[122:123] op_sel:[0,0,1] op_sel_hi:[1,1,0] neg_lo:[0,0,1] neg_hi:[0,0,1]
	v_pk_fma_f32 v[118:119], v[118:119], v[108:109], v[122:123] op_sel:[0,0,1] op_sel_hi:[1,0,0]
	v_dual_mul_f32 v122, v121, v111 :: v_dual_mov_b32 v118, v121
	s_delay_alu instid0(VALU_DEP_2) | instskip(NEXT) | instid1(VALU_DEP_2)
	v_dual_mov_b32 v125, v119 :: v_dual_mov_b32 v119, v120
	v_pk_fma_f32 v[122:123], v[120:121], v[12:13], v[122:123] op_sel_hi:[1,1,0] neg_lo:[0,0,1] neg_hi:[0,0,1]
	v_mul_f32_e32 v120, v121, v108
	s_delay_alu instid0(VALU_DEP_3) | instskip(NEXT) | instid1(VALU_DEP_2)
	v_pk_add_f32 v[30:31], v[30:31], v[124:125] neg_lo:[0,1] neg_hi:[0,1]
	v_pk_fma_f32 v[118:119], v[118:119], v[12:13], v[120:121] op_sel_hi:[1,1,0]
	s_delay_alu instid0(VALU_DEP_1) | instskip(SKIP_4) | instid1(VALU_DEP_1)
	v_mov_b32_e32 v123, v119
	ds_load_2addr_b64 v[118:121], v112 offset0:25 offset1:26
	v_pk_add_f32 v[62:63], v[62:63], v[122:123] neg_lo:[0,1] neg_hi:[0,1]
	s_wait_dscnt 0x0
	v_pk_mul_f32 v[122:123], v[118:119], v[110:111] op_sel:[0,1]
	v_pk_fma_f32 v[124:125], v[118:119], v[108:109], v[122:123] op_sel:[0,0,1] op_sel_hi:[1,1,0] neg_lo:[0,0,1] neg_hi:[0,0,1]
	v_pk_fma_f32 v[118:119], v[118:119], v[108:109], v[122:123] op_sel:[0,0,1] op_sel_hi:[1,0,0]
	s_delay_alu instid0(VALU_DEP_1) | instskip(SKIP_1) | instid1(VALU_DEP_1)
	v_mov_b32_e32 v125, v119
	v_pk_mul_f32 v[118:119], v[120:121], v[110:111] op_sel:[0,1]
	v_pk_fma_f32 v[122:123], v[120:121], v[108:109], v[118:119] op_sel:[0,0,1] op_sel_hi:[1,1,0] neg_lo:[0,0,1] neg_hi:[0,0,1]
	v_pk_fma_f32 v[118:119], v[120:121], v[108:109], v[118:119] op_sel:[0,0,1] op_sel_hi:[1,0,0]
	s_delay_alu instid0(VALU_DEP_1)
	v_mov_b32_e32 v123, v119
	ds_load_2addr_b64 v[118:121], v112 offset0:27 offset1:28
	v_pk_add_f32 v[60:61], v[60:61], v[124:125] neg_lo:[0,1] neg_hi:[0,1]
	v_pk_add_f32 v[40:41], v[40:41], v[122:123] neg_lo:[0,1] neg_hi:[0,1]
	s_wait_dscnt 0x0
	v_pk_mul_f32 v[122:123], v[118:119], v[110:111] op_sel:[0,1]
	s_delay_alu instid0(VALU_DEP_1) | instskip(SKIP_1) | instid1(VALU_DEP_1)
	v_pk_fma_f32 v[124:125], v[118:119], v[108:109], v[122:123] op_sel:[0,0,1] op_sel_hi:[1,1,0] neg_lo:[0,0,1] neg_hi:[0,0,1]
	v_pk_fma_f32 v[118:119], v[118:119], v[108:109], v[122:123] op_sel:[0,0,1] op_sel_hi:[1,0,0]
	v_mov_b32_e32 v125, v119
	v_pk_mul_f32 v[118:119], v[120:121], v[110:111] op_sel:[0,1]
	s_delay_alu instid0(VALU_DEP_1) | instskip(SKIP_1) | instid1(VALU_DEP_1)
	v_pk_fma_f32 v[122:123], v[120:121], v[108:109], v[118:119] op_sel:[0,0,1] op_sel_hi:[1,1,0] neg_lo:[0,0,1] neg_hi:[0,0,1]
	v_pk_fma_f32 v[118:119], v[120:121], v[108:109], v[118:119] op_sel:[0,0,1] op_sel_hi:[1,0,0]
	v_mov_b32_e32 v123, v119
	ds_load_2addr_b64 v[118:121], v112 offset0:29 offset1:30
	v_pk_add_f32 v[38:39], v[38:39], v[124:125] neg_lo:[0,1] neg_hi:[0,1]
	v_pk_add_f32 v[70:71], v[70:71], v[122:123] neg_lo:[0,1] neg_hi:[0,1]
	s_wait_dscnt 0x0
	v_dual_mul_f32 v122, v119, v111 :: v_dual_mul_f32 v124, v119, v108
	s_delay_alu instid0(VALU_DEP_1) | instskip(NEXT) | instid1(VALU_DEP_2)
	v_pk_fma_f32 v[122:123], v[118:119], v[12:13], v[122:123] op_sel_hi:[1,1,0] neg_lo:[0,0,1] neg_hi:[0,0,1]
	v_pk_fma_f32 v[118:119], v[118:119], v[12:13], v[124:125] op_sel:[1,0,0] op_sel_hi:[0,1,0]
	s_delay_alu instid0(VALU_DEP_1) | instskip(SKIP_1) | instid1(VALU_DEP_2)
	v_mov_b32_e32 v123, v119
	v_pk_mul_f32 v[118:119], v[120:121], v[110:111] op_sel:[0,1]
	v_pk_add_f32 v[68:69], v[68:69], v[122:123] neg_lo:[0,1] neg_hi:[0,1]
	s_delay_alu instid0(VALU_DEP_2) | instskip(SKIP_1) | instid1(VALU_DEP_1)
	v_pk_fma_f32 v[122:123], v[120:121], v[108:109], v[118:119] op_sel:[0,0,1] op_sel_hi:[1,1,0] neg_lo:[0,0,1] neg_hi:[0,0,1]
	v_pk_fma_f32 v[118:119], v[120:121], v[108:109], v[118:119] op_sel:[0,0,1] op_sel_hi:[1,0,0]
	v_mov_b32_e32 v123, v119
	ds_load_2addr_b64 v[118:121], v112 offset0:31 offset1:32
	v_pk_add_f32 v[48:49], v[48:49], v[122:123] neg_lo:[0,1] neg_hi:[0,1]
	s_wait_dscnt 0x0
	v_pk_mul_f32 v[122:123], v[118:119], v[110:111] op_sel:[0,1]
	s_delay_alu instid0(VALU_DEP_1) | instskip(SKIP_1) | instid1(VALU_DEP_1)
	v_pk_fma_f32 v[124:125], v[118:119], v[108:109], v[122:123] op_sel:[0,0,1] op_sel_hi:[1,1,0] neg_lo:[0,0,1] neg_hi:[0,0,1]
	v_pk_fma_f32 v[118:119], v[118:119], v[108:109], v[122:123] op_sel:[0,0,1] op_sel_hi:[1,0,0]
	v_mov_b32_e32 v125, v119
	v_pk_mul_f32 v[118:119], v[120:121], v[110:111] op_sel:[0,1]
	s_delay_alu instid0(VALU_DEP_2) | instskip(NEXT) | instid1(VALU_DEP_2)
	v_pk_add_f32 v[46:47], v[46:47], v[124:125] neg_lo:[0,1] neg_hi:[0,1]
	v_pk_fma_f32 v[122:123], v[120:121], v[108:109], v[118:119] op_sel:[0,0,1] op_sel_hi:[1,1,0] neg_lo:[0,0,1] neg_hi:[0,0,1]
	v_pk_fma_f32 v[118:119], v[120:121], v[108:109], v[118:119] op_sel:[0,0,1] op_sel_hi:[1,0,0]
	s_delay_alu instid0(VALU_DEP_1) | instskip(SKIP_4) | instid1(VALU_DEP_1)
	v_mov_b32_e32 v123, v119
	ds_load_2addr_b64 v[118:121], v112 offset0:33 offset1:34
	v_pk_add_f32 v[84:85], v[84:85], v[122:123] neg_lo:[0,1] neg_hi:[0,1]
	s_wait_dscnt 0x0
	v_pk_mul_f32 v[122:123], v[118:119], v[110:111] op_sel:[0,1]
	v_pk_fma_f32 v[124:125], v[118:119], v[108:109], v[122:123] op_sel:[0,0,1] op_sel_hi:[1,1,0] neg_lo:[0,0,1] neg_hi:[0,0,1]
	v_pk_fma_f32 v[118:119], v[118:119], v[108:109], v[122:123] op_sel:[0,0,1] op_sel_hi:[1,0,0]
	v_dual_mul_f32 v122, v121, v111 :: v_dual_mov_b32 v118, v121
	s_delay_alu instid0(VALU_DEP_2) | instskip(NEXT) | instid1(VALU_DEP_2)
	v_dual_mov_b32 v125, v119 :: v_dual_mov_b32 v119, v120
	v_pk_fma_f32 v[122:123], v[120:121], v[12:13], v[122:123] op_sel_hi:[1,1,0] neg_lo:[0,0,1] neg_hi:[0,0,1]
	v_mul_f32_e32 v120, v121, v108
	s_delay_alu instid0(VALU_DEP_3) | instskip(NEXT) | instid1(VALU_DEP_2)
	v_pk_add_f32 v[82:83], v[82:83], v[124:125] neg_lo:[0,1] neg_hi:[0,1]
	v_pk_fma_f32 v[118:119], v[118:119], v[12:13], v[120:121] op_sel_hi:[1,1,0]
	s_delay_alu instid0(VALU_DEP_1) | instskip(SKIP_4) | instid1(VALU_DEP_1)
	v_mov_b32_e32 v123, v119
	ds_load_2addr_b64 v[118:121], v112 offset0:35 offset1:36
	v_pk_add_f32 v[56:57], v[56:57], v[122:123] neg_lo:[0,1] neg_hi:[0,1]
	s_wait_dscnt 0x0
	v_pk_mul_f32 v[122:123], v[118:119], v[110:111] op_sel:[0,1]
	v_pk_fma_f32 v[124:125], v[118:119], v[108:109], v[122:123] op_sel:[0,0,1] op_sel_hi:[1,1,0] neg_lo:[0,0,1] neg_hi:[0,0,1]
	v_pk_fma_f32 v[118:119], v[118:119], v[108:109], v[122:123] op_sel:[0,0,1] op_sel_hi:[1,0,0]
	s_delay_alu instid0(VALU_DEP_1) | instskip(SKIP_1) | instid1(VALU_DEP_1)
	v_mov_b32_e32 v125, v119
	v_pk_mul_f32 v[118:119], v[120:121], v[110:111] op_sel:[0,1]
	v_pk_fma_f32 v[122:123], v[120:121], v[108:109], v[118:119] op_sel:[0,0,1] op_sel_hi:[1,1,0] neg_lo:[0,0,1] neg_hi:[0,0,1]
	v_pk_fma_f32 v[118:119], v[120:121], v[108:109], v[118:119] op_sel:[0,0,1] op_sel_hi:[1,0,0]
	s_delay_alu instid0(VALU_DEP_1)
	v_mov_b32_e32 v123, v119
	ds_load_2addr_b64 v[118:121], v112 offset0:37 offset1:38
	v_pk_add_f32 v[54:55], v[54:55], v[124:125] neg_lo:[0,1] neg_hi:[0,1]
	v_pk_add_f32 v[94:95], v[94:95], v[122:123] neg_lo:[0,1] neg_hi:[0,1]
	s_wait_dscnt 0x0
	v_pk_mul_f32 v[122:123], v[118:119], v[110:111] op_sel:[0,1]
	s_delay_alu instid0(VALU_DEP_1) | instskip(SKIP_1) | instid1(VALU_DEP_1)
	v_pk_fma_f32 v[124:125], v[118:119], v[108:109], v[122:123] op_sel:[0,0,1] op_sel_hi:[1,1,0] neg_lo:[0,0,1] neg_hi:[0,0,1]
	v_pk_fma_f32 v[118:119], v[118:119], v[108:109], v[122:123] op_sel:[0,0,1] op_sel_hi:[1,0,0]
	v_mov_b32_e32 v125, v119
	v_pk_mul_f32 v[118:119], v[120:121], v[110:111] op_sel:[0,1]
	s_delay_alu instid0(VALU_DEP_1) | instskip(SKIP_1) | instid1(VALU_DEP_1)
	v_pk_fma_f32 v[122:123], v[120:121], v[108:109], v[118:119] op_sel:[0,0,1] op_sel_hi:[1,1,0] neg_lo:[0,0,1] neg_hi:[0,0,1]
	v_pk_fma_f32 v[118:119], v[120:121], v[108:109], v[118:119] op_sel:[0,0,1] op_sel_hi:[1,0,0]
	v_mov_b32_e32 v123, v119
	ds_load_2addr_b64 v[118:121], v112 offset0:39 offset1:40
	v_pk_add_f32 v[92:93], v[92:93], v[124:125] neg_lo:[0,1] neg_hi:[0,1]
	v_pk_add_f32 v[66:67], v[66:67], v[122:123] neg_lo:[0,1] neg_hi:[0,1]
	s_wait_dscnt 0x0
	v_dual_mul_f32 v122, v119, v111 :: v_dual_mul_f32 v124, v119, v108
	s_delay_alu instid0(VALU_DEP_1) | instskip(NEXT) | instid1(VALU_DEP_2)
	v_pk_fma_f32 v[122:123], v[118:119], v[12:13], v[122:123] op_sel_hi:[1,1,0] neg_lo:[0,0,1] neg_hi:[0,0,1]
	v_pk_fma_f32 v[118:119], v[118:119], v[12:13], v[124:125] op_sel:[1,0,0] op_sel_hi:[0,1,0]
	s_delay_alu instid0(VALU_DEP_1) | instskip(SKIP_1) | instid1(VALU_DEP_2)
	v_mov_b32_e32 v123, v119
	v_pk_mul_f32 v[118:119], v[120:121], v[110:111] op_sel:[0,1]
	v_pk_add_f32 v[64:65], v[64:65], v[122:123] neg_lo:[0,1] neg_hi:[0,1]
	s_delay_alu instid0(VALU_DEP_2) | instskip(SKIP_1) | instid1(VALU_DEP_1)
	v_pk_fma_f32 v[122:123], v[120:121], v[108:109], v[118:119] op_sel:[0,0,1] op_sel_hi:[1,1,0] neg_lo:[0,0,1] neg_hi:[0,0,1]
	v_pk_fma_f32 v[118:119], v[120:121], v[108:109], v[118:119] op_sel:[0,0,1] op_sel_hi:[1,0,0]
	v_mov_b32_e32 v123, v119
	ds_load_2addr_b64 v[118:121], v112 offset0:41 offset1:42
	v_pk_add_f32 v[104:105], v[104:105], v[122:123] neg_lo:[0,1] neg_hi:[0,1]
	s_wait_dscnt 0x0
	v_pk_mul_f32 v[122:123], v[118:119], v[110:111] op_sel:[0,1]
	s_delay_alu instid0(VALU_DEP_1) | instskip(SKIP_1) | instid1(VALU_DEP_1)
	v_pk_fma_f32 v[124:125], v[118:119], v[108:109], v[122:123] op_sel:[0,0,1] op_sel_hi:[1,1,0] neg_lo:[0,0,1] neg_hi:[0,0,1]
	v_pk_fma_f32 v[118:119], v[118:119], v[108:109], v[122:123] op_sel:[0,0,1] op_sel_hi:[1,0,0]
	v_mov_b32_e32 v125, v119
	v_pk_mul_f32 v[118:119], v[120:121], v[110:111] op_sel:[0,1]
	s_delay_alu instid0(VALU_DEP_2) | instskip(NEXT) | instid1(VALU_DEP_2)
	v_pk_add_f32 v[102:103], v[102:103], v[124:125] neg_lo:[0,1] neg_hi:[0,1]
	v_pk_fma_f32 v[122:123], v[120:121], v[108:109], v[118:119] op_sel:[0,0,1] op_sel_hi:[1,1,0] neg_lo:[0,0,1] neg_hi:[0,0,1]
	v_pk_fma_f32 v[118:119], v[120:121], v[108:109], v[118:119] op_sel:[0,0,1] op_sel_hi:[1,0,0]
	s_delay_alu instid0(VALU_DEP_1) | instskip(SKIP_4) | instid1(VALU_DEP_1)
	v_mov_b32_e32 v123, v119
	ds_load_2addr_b64 v[118:121], v112 offset0:43 offset1:44
	v_pk_add_f32 v[76:77], v[76:77], v[122:123] neg_lo:[0,1] neg_hi:[0,1]
	s_wait_dscnt 0x0
	v_pk_mul_f32 v[122:123], v[118:119], v[110:111] op_sel:[0,1]
	v_pk_fma_f32 v[124:125], v[118:119], v[108:109], v[122:123] op_sel:[0,0,1] op_sel_hi:[1,1,0] neg_lo:[0,0,1] neg_hi:[0,0,1]
	v_pk_fma_f32 v[118:119], v[118:119], v[108:109], v[122:123] op_sel:[0,0,1] op_sel_hi:[1,0,0]
	v_dual_mul_f32 v122, v121, v111 :: v_dual_mov_b32 v118, v121
	s_delay_alu instid0(VALU_DEP_2) | instskip(NEXT) | instid1(VALU_DEP_2)
	v_dual_mov_b32 v125, v119 :: v_dual_mov_b32 v119, v120
	v_pk_fma_f32 v[122:123], v[120:121], v[12:13], v[122:123] op_sel_hi:[1,1,0] neg_lo:[0,0,1] neg_hi:[0,0,1]
	v_mul_f32_e32 v120, v121, v108
	s_delay_alu instid0(VALU_DEP_3) | instskip(NEXT) | instid1(VALU_DEP_2)
	v_pk_add_f32 v[74:75], v[74:75], v[124:125] neg_lo:[0,1] neg_hi:[0,1]
	v_pk_fma_f32 v[118:119], v[118:119], v[12:13], v[120:121] op_sel_hi:[1,1,0]
	s_delay_alu instid0(VALU_DEP_1) | instskip(SKIP_4) | instid1(VALU_DEP_1)
	v_mov_b32_e32 v123, v119
	ds_load_2addr_b64 v[118:121], v112 offset0:45 offset1:46
	v_pk_add_f32 v[98:99], v[98:99], v[122:123] neg_lo:[0,1] neg_hi:[0,1]
	s_wait_dscnt 0x0
	v_pk_mul_f32 v[122:123], v[118:119], v[110:111] op_sel:[0,1]
	v_pk_fma_f32 v[124:125], v[118:119], v[108:109], v[122:123] op_sel:[0,0,1] op_sel_hi:[1,1,0] neg_lo:[0,0,1] neg_hi:[0,0,1]
	v_pk_fma_f32 v[118:119], v[118:119], v[108:109], v[122:123] op_sel:[0,0,1] op_sel_hi:[1,0,0]
	s_delay_alu instid0(VALU_DEP_1) | instskip(SKIP_1) | instid1(VALU_DEP_1)
	v_mov_b32_e32 v125, v119
	v_pk_mul_f32 v[118:119], v[120:121], v[110:111] op_sel:[0,1]
	v_pk_fma_f32 v[122:123], v[120:121], v[108:109], v[118:119] op_sel:[0,0,1] op_sel_hi:[1,1,0] neg_lo:[0,0,1] neg_hi:[0,0,1]
	v_pk_fma_f32 v[118:119], v[120:121], v[108:109], v[118:119] op_sel:[0,0,1] op_sel_hi:[1,0,0]
	s_delay_alu instid0(VALU_DEP_1)
	v_mov_b32_e32 v123, v119
	ds_load_2addr_b64 v[118:121], v112 offset0:47 offset1:48
	v_pk_add_f32 v[96:97], v[96:97], v[124:125] neg_lo:[0,1] neg_hi:[0,1]
	v_pk_add_f32 v[80:81], v[80:81], v[122:123] neg_lo:[0,1] neg_hi:[0,1]
	s_wait_dscnt 0x0
	v_pk_mul_f32 v[122:123], v[118:119], v[110:111] op_sel:[0,1]
	s_delay_alu instid0(VALU_DEP_1) | instskip(SKIP_1) | instid1(VALU_DEP_1)
	v_pk_fma_f32 v[124:125], v[118:119], v[108:109], v[122:123] op_sel:[0,0,1] op_sel_hi:[1,1,0] neg_lo:[0,0,1] neg_hi:[0,0,1]
	v_pk_fma_f32 v[118:119], v[118:119], v[108:109], v[122:123] op_sel:[0,0,1] op_sel_hi:[1,0,0]
	v_mov_b32_e32 v125, v119
	v_pk_mul_f32 v[118:119], v[120:121], v[110:111] op_sel:[0,1]
	s_delay_alu instid0(VALU_DEP_1) | instskip(SKIP_1) | instid1(VALU_DEP_1)
	v_pk_fma_f32 v[122:123], v[120:121], v[108:109], v[118:119] op_sel:[0,0,1] op_sel_hi:[1,1,0] neg_lo:[0,0,1] neg_hi:[0,0,1]
	v_pk_fma_f32 v[118:119], v[120:121], v[108:109], v[118:119] op_sel:[0,0,1] op_sel_hi:[1,0,0]
	v_mov_b32_e32 v123, v119
	ds_load_2addr_b64 v[118:121], v112 offset0:49 offset1:50
	v_pk_add_f32 v[78:79], v[78:79], v[124:125] neg_lo:[0,1] neg_hi:[0,1]
	v_pk_add_f32 v[88:89], v[88:89], v[122:123] neg_lo:[0,1] neg_hi:[0,1]
	s_wait_dscnt 0x0
	v_dual_mul_f32 v122, v119, v111 :: v_dual_mul_f32 v124, v119, v108
	v_pk_mul_f32 v[110:111], v[120:121], v[110:111] op_sel:[0,1]
	s_delay_alu instid0(VALU_DEP_2) | instskip(NEXT) | instid1(VALU_DEP_3)
	v_pk_fma_f32 v[122:123], v[118:119], v[12:13], v[122:123] op_sel_hi:[1,1,0] neg_lo:[0,0,1] neg_hi:[0,0,1]
	v_pk_fma_f32 v[118:119], v[118:119], v[12:13], v[124:125] op_sel:[1,0,0] op_sel_hi:[0,1,0]
	s_delay_alu instid0(VALU_DEP_1) | instskip(NEXT) | instid1(VALU_DEP_4)
	v_mov_b32_e32 v123, v119
	v_pk_fma_f32 v[118:119], v[120:121], v[108:109], v[110:111] op_sel:[0,0,1] op_sel_hi:[1,1,0] neg_lo:[0,0,1] neg_hi:[0,0,1]
	v_pk_fma_f32 v[108:109], v[120:121], v[108:109], v[110:111] op_sel:[0,0,1] op_sel_hi:[1,0,0]
	s_delay_alu instid0(VALU_DEP_1) | instskip(NEXT) | instid1(VALU_DEP_4)
	v_mov_b32_e32 v119, v109
	v_pk_add_f32 v[86:87], v[86:87], v[122:123] neg_lo:[0,1] neg_hi:[0,1]
	s_delay_alu instid0(VALU_DEP_2)
	v_pk_add_f32 v[106:107], v[106:107], v[118:119] neg_lo:[0,1] neg_hi:[0,1]
.LBB100_230:
	s_or_b32 exec_lo, exec_lo, s0
	v_lshl_add_u32 v108, v116, 3, v112
	s_barrier_signal -1
	s_barrier_wait -1
	ds_store_b64 v108, v[10:11]
	s_wait_dscnt 0x0
	s_barrier_signal -1
	s_barrier_wait -1
	ds_load_b64 v[110:111], v112 offset:88
	v_mov_b32_e32 v108, 11
	s_cmp_lt_i32 s18, 13
	s_cbranch_scc1 .LBB100_233
; %bb.231:
	v_add3_u32 v109, v113, 0, 0x60
	v_mov_b32_e32 v108, 11
	s_mov_b32 s0, 12
.LBB100_232:                            ; =>This Inner Loop Header: Depth=1
	ds_load_b64 v[118:119], v109
	s_wait_dscnt 0x1
	v_cmp_gt_f32_e32 vcc_lo, 0, v110
	v_cndmask_b32_e64 v120, v110, -v110, vcc_lo
	v_cmp_gt_f32_e32 vcc_lo, 0, v111
	v_cndmask_b32_e64 v122, v111, -v111, vcc_lo
	s_wait_dscnt 0x0
	v_cmp_gt_f32_e32 vcc_lo, 0, v118
	v_cndmask_b32_e64 v121, v118, -v118, vcc_lo
	v_cmp_gt_f32_e32 vcc_lo, 0, v119
	v_cndmask_b32_e64 v123, v119, -v119, vcc_lo
	s_delay_alu instid0(VALU_DEP_1) | instskip(NEXT) | instid1(VALU_DEP_1)
	v_pk_add_f32 v[120:121], v[120:121], v[122:123]
	v_cmp_lt_f32_e32 vcc_lo, v120, v121
	v_dual_add_nc_u32 v109, 8, v109 :: v_dual_cndmask_b32 v111, v111, v119, vcc_lo
	v_cndmask_b32_e32 v110, v110, v118, vcc_lo
	v_cndmask_b32_e64 v108, v108, s0, vcc_lo
	s_add_co_i32 s0, s0, 1
	s_delay_alu instid0(SALU_CYCLE_1)
	s_cmp_lg_u32 s18, s0
	s_cbranch_scc1 .LBB100_232
.LBB100_233:
	s_wait_dscnt 0x0
	v_cmp_eq_f32_e32 vcc_lo, 0, v110
	v_cmp_eq_f32_e64 s0, 0, v111
	s_and_b32 s0, vcc_lo, s0
	s_delay_alu instid0(SALU_CYCLE_1) | instskip(NEXT) | instid1(SALU_CYCLE_1)
	s_and_saveexec_b32 s1, s0
	s_xor_b32 s0, exec_lo, s1
; %bb.234:
	v_cmp_ne_u32_e32 vcc_lo, 0, v114
	v_cndmask_b32_e32 v114, 12, v114, vcc_lo
; %bb.235:
	s_and_not1_saveexec_b32 s0, s0
	s_cbranch_execz .LBB100_241
; %bb.236:
	v_cmp_ngt_f32_e64 s1, |v110|, |v111|
	s_and_saveexec_b32 s12, s1
	s_delay_alu instid0(SALU_CYCLE_1)
	s_xor_b32 s1, exec_lo, s12
	s_cbranch_execz .LBB100_238
; %bb.237:
	v_div_scale_f32 v109, null, v111, v111, v110
	v_div_scale_f32 v119, vcc_lo, v110, v111, v110
	s_delay_alu instid0(VALU_DEP_2) | instskip(SKIP_1) | instid1(TRANS32_DEP_1)
	v_rcp_f32_e32 v117, v109
	v_nop
	v_fma_f32 v118, -v109, v117, 1.0
	s_delay_alu instid0(VALU_DEP_1) | instskip(NEXT) | instid1(VALU_DEP_1)
	v_fmac_f32_e32 v117, v118, v117
	v_mul_f32_e32 v118, v119, v117
	s_delay_alu instid0(VALU_DEP_1) | instskip(NEXT) | instid1(VALU_DEP_1)
	v_fma_f32 v120, -v109, v118, v119
	v_fmac_f32_e32 v118, v120, v117
	s_delay_alu instid0(VALU_DEP_1) | instskip(NEXT) | instid1(VALU_DEP_1)
	v_fma_f32 v109, -v109, v118, v119
	v_div_fmas_f32 v109, v109, v117, v118
	s_delay_alu instid0(VALU_DEP_1) | instskip(NEXT) | instid1(VALU_DEP_1)
	v_div_fixup_f32 v109, v109, v111, v110
	v_fmac_f32_e32 v111, v110, v109
	s_delay_alu instid0(VALU_DEP_1) | instskip(SKIP_1) | instid1(VALU_DEP_2)
	v_div_scale_f32 v110, null, v111, v111, 1.0
	v_div_scale_f32 v119, vcc_lo, 1.0, v111, 1.0
	v_rcp_f32_e32 v117, v110
	v_nop
	s_delay_alu instid0(TRANS32_DEP_1) | instskip(NEXT) | instid1(VALU_DEP_1)
	v_fma_f32 v118, -v110, v117, 1.0
	v_fmac_f32_e32 v117, v118, v117
	s_delay_alu instid0(VALU_DEP_1) | instskip(NEXT) | instid1(VALU_DEP_1)
	v_mul_f32_e32 v118, v119, v117
	v_fma_f32 v120, -v110, v118, v119
	s_delay_alu instid0(VALU_DEP_1) | instskip(NEXT) | instid1(VALU_DEP_1)
	v_fmac_f32_e32 v118, v120, v117
	v_fma_f32 v110, -v110, v118, v119
	s_delay_alu instid0(VALU_DEP_1) | instskip(NEXT) | instid1(VALU_DEP_1)
	v_div_fmas_f32 v110, v110, v117, v118
	v_div_fixup_f32 v111, v110, v111, 1.0
	s_delay_alu instid0(VALU_DEP_1)
	v_mul_f32_e32 v110, v109, v111
	v_xor_b32_e32 v111, 0x80000000, v111
.LBB100_238:
	s_and_not1_saveexec_b32 s1, s1
	s_cbranch_execz .LBB100_240
; %bb.239:
	s_delay_alu instid0(VALU_DEP_1) | instskip(SKIP_1) | instid1(VALU_DEP_2)
	v_div_scale_f32 v109, null, v110, v110, v111
	v_div_scale_f32 v119, vcc_lo, v111, v110, v111
	v_rcp_f32_e32 v117, v109
	v_nop
	s_delay_alu instid0(TRANS32_DEP_1) | instskip(NEXT) | instid1(VALU_DEP_1)
	v_fma_f32 v118, -v109, v117, 1.0
	v_fmac_f32_e32 v117, v118, v117
	s_delay_alu instid0(VALU_DEP_1) | instskip(NEXT) | instid1(VALU_DEP_1)
	v_mul_f32_e32 v118, v119, v117
	v_fma_f32 v120, -v109, v118, v119
	s_delay_alu instid0(VALU_DEP_1) | instskip(NEXT) | instid1(VALU_DEP_1)
	v_fmac_f32_e32 v118, v120, v117
	v_fma_f32 v109, -v109, v118, v119
	s_delay_alu instid0(VALU_DEP_1) | instskip(NEXT) | instid1(VALU_DEP_1)
	v_div_fmas_f32 v109, v109, v117, v118
	v_div_fixup_f32 v109, v109, v110, v111
	s_delay_alu instid0(VALU_DEP_1) | instskip(NEXT) | instid1(VALU_DEP_1)
	v_fmac_f32_e32 v110, v111, v109
	v_div_scale_f32 v111, null, v110, v110, 1.0
	s_delay_alu instid0(VALU_DEP_1) | instskip(SKIP_1) | instid1(TRANS32_DEP_1)
	v_rcp_f32_e32 v117, v111
	v_nop
	v_fma_f32 v118, -v111, v117, 1.0
	s_delay_alu instid0(VALU_DEP_1) | instskip(SKIP_1) | instid1(VALU_DEP_1)
	v_fmac_f32_e32 v117, v118, v117
	v_div_scale_f32 v118, vcc_lo, 1.0, v110, 1.0
	v_mul_f32_e32 v119, v118, v117
	s_delay_alu instid0(VALU_DEP_1) | instskip(NEXT) | instid1(VALU_DEP_1)
	v_fma_f32 v120, -v111, v119, v118
	v_fmac_f32_e32 v119, v120, v117
	s_delay_alu instid0(VALU_DEP_1) | instskip(NEXT) | instid1(VALU_DEP_1)
	v_fma_f32 v111, -v111, v119, v118
	v_div_fmas_f32 v111, v111, v117, v119
	s_delay_alu instid0(VALU_DEP_1) | instskip(NEXT) | instid1(VALU_DEP_1)
	v_div_fixup_f32 v110, v111, v110, 1.0
	v_mul_f32_e64 v111, v109, -v110
.LBB100_240:
	s_or_b32 exec_lo, exec_lo, s1
.LBB100_241:
	s_delay_alu instid0(SALU_CYCLE_1) | instskip(NEXT) | instid1(SALU_CYCLE_1)
	s_or_b32 exec_lo, exec_lo, s0
	s_mov_b32 s0, exec_lo
	v_cmpx_ne_u32_e64 v116, v108
	s_xor_b32 s0, exec_lo, s0
	s_cbranch_execz .LBB100_247
; %bb.242:
	s_mov_b32 s1, exec_lo
	v_cmpx_eq_u32_e32 11, v116
	s_cbranch_execz .LBB100_246
; %bb.243:
	v_cmp_ne_u32_e32 vcc_lo, 11, v108
	s_xor_b32 s12, s16, -1
	s_delay_alu instid0(SALU_CYCLE_1) | instskip(NEXT) | instid1(SALU_CYCLE_1)
	s_and_b32 s13, s12, vcc_lo
	s_and_saveexec_b32 s12, s13
	s_cbranch_execz .LBB100_245
; %bb.244:
	v_ashrrev_i32_e32 v109, 31, v108
	s_delay_alu instid0(VALU_DEP_1)
	v_lshl_add_u64 v[116:117], v[108:109], 2, v[4:5]
	s_clause 0x1
	global_load_b32 v109, v[116:117], off
	global_load_b32 v115, v[4:5], off offset:44
	s_wait_loadcnt 0x1
	global_store_b32 v[4:5], v109, off offset:44
	s_wait_loadcnt 0x0
	global_store_b32 v[116:117], v115, off
.LBB100_245:
	s_wait_xcnt 0x0
	s_or_b32 exec_lo, exec_lo, s12
	v_dual_mov_b32 v116, v108 :: v_dual_mov_b32 v115, v108
.LBB100_246:
	s_or_b32 exec_lo, exec_lo, s1
.LBB100_247:
	s_and_not1_saveexec_b32 s0, s0
	s_cbranch_execz .LBB100_249
; %bb.248:
	v_dual_mov_b32 v108, v36 :: v_dual_mov_b32 v109, v37
	v_dual_mov_b32 v116, v34 :: v_dual_mov_b32 v117, v35
	ds_store_2addr_b64 v112, v[108:109], v[116:117] offset0:12 offset1:13
	v_dual_mov_b32 v108, v18 :: v_dual_mov_b32 v109, v19
	v_dual_mov_b32 v116, v14 :: v_dual_mov_b32 v117, v15
	ds_store_2addr_b64 v112, v[108:109], v[116:117] offset0:14 offset1:15
	;; [unrolled: 3-line block ×19, first 2 shown]
	ds_store_b64 v112, v[106:107] offset:400
	v_mov_b32_e32 v116, 11
.LBB100_249:
	s_or_b32 exec_lo, exec_lo, s0
	s_delay_alu instid0(SALU_CYCLE_1)
	s_mov_b32 s0, exec_lo
	s_wait_storecnt_dscnt 0x0
	s_barrier_signal -1
	s_barrier_wait -1
	v_cmpx_lt_i32_e32 11, v116
	s_cbranch_execz .LBB100_251
; %bb.250:
	v_pk_mul_f32 v[118:119], v[110:111], v[10:11] op_sel:[1,1] op_sel_hi:[0,1]
	s_delay_alu instid0(VALU_DEP_1)
	v_pk_fma_f32 v[108:109], v[110:111], v[10:11], v[118:119] op_sel_hi:[1,0,1] neg_lo:[0,0,1] neg_hi:[0,0,1]
	v_pk_fma_f32 v[110:111], v[110:111], v[10:11], v[118:119] op_sel_hi:[1,0,1]
	ds_load_2addr_b64 v[118:121], v112 offset0:12 offset1:13
	v_dual_mov_b32 v10, v108 :: v_dual_mov_b32 v11, v111
	s_wait_dscnt 0x0
	v_pk_mul_f32 v[122:123], v[118:119], v[110:111] op_sel:[0,1]
	s_delay_alu instid0(VALU_DEP_1) | instskip(SKIP_1) | instid1(VALU_DEP_1)
	v_pk_fma_f32 v[124:125], v[118:119], v[108:109], v[122:123] op_sel:[0,0,1] op_sel_hi:[1,1,0] neg_lo:[0,0,1] neg_hi:[0,0,1]
	v_pk_fma_f32 v[118:119], v[118:119], v[108:109], v[122:123] op_sel:[0,0,1] op_sel_hi:[1,0,0]
	v_mov_b32_e32 v125, v119
	v_pk_mul_f32 v[118:119], v[120:121], v[110:111] op_sel:[0,1]
	s_delay_alu instid0(VALU_DEP_1) | instskip(SKIP_1) | instid1(VALU_DEP_1)
	v_pk_fma_f32 v[122:123], v[120:121], v[108:109], v[118:119] op_sel:[0,0,1] op_sel_hi:[1,1,0] neg_lo:[0,0,1] neg_hi:[0,0,1]
	v_pk_fma_f32 v[118:119], v[120:121], v[108:109], v[118:119] op_sel:[0,0,1] op_sel_hi:[1,0,0]
	v_mov_b32_e32 v123, v119
	ds_load_2addr_b64 v[118:121], v112 offset0:14 offset1:15
	v_pk_add_f32 v[36:37], v[36:37], v[124:125] neg_lo:[0,1] neg_hi:[0,1]
	v_pk_add_f32 v[34:35], v[34:35], v[122:123] neg_lo:[0,1] neg_hi:[0,1]
	s_wait_dscnt 0x0
	v_pk_mul_f32 v[122:123], v[118:119], v[110:111] op_sel:[0,1]
	s_delay_alu instid0(VALU_DEP_1) | instskip(SKIP_2) | instid1(VALU_DEP_2)
	v_pk_fma_f32 v[124:125], v[118:119], v[108:109], v[122:123] op_sel:[0,0,1] op_sel_hi:[1,1,0] neg_lo:[0,0,1] neg_hi:[0,0,1]
	v_pk_fma_f32 v[118:119], v[118:119], v[108:109], v[122:123] op_sel:[0,0,1] op_sel_hi:[1,0,0]
	v_dual_mul_f32 v122, v121, v111 :: v_dual_mov_b32 v118, v121
	v_dual_mov_b32 v125, v119 :: v_dual_mov_b32 v119, v120
	s_delay_alu instid0(VALU_DEP_2) | instskip(SKIP_1) | instid1(VALU_DEP_3)
	v_pk_fma_f32 v[122:123], v[120:121], v[10:11], v[122:123] op_sel_hi:[1,1,0] neg_lo:[0,0,1] neg_hi:[0,0,1]
	v_mul_f32_e32 v120, v121, v108
	v_pk_add_f32 v[18:19], v[18:19], v[124:125] neg_lo:[0,1] neg_hi:[0,1]
	s_delay_alu instid0(VALU_DEP_2) | instskip(NEXT) | instid1(VALU_DEP_1)
	v_pk_fma_f32 v[118:119], v[118:119], v[10:11], v[120:121] op_sel_hi:[1,1,0]
	v_mov_b32_e32 v123, v119
	ds_load_2addr_b64 v[118:121], v112 offset0:16 offset1:17
	v_pk_add_f32 v[14:15], v[14:15], v[122:123] neg_lo:[0,1] neg_hi:[0,1]
	s_wait_dscnt 0x0
	v_pk_mul_f32 v[122:123], v[118:119], v[110:111] op_sel:[0,1]
	s_delay_alu instid0(VALU_DEP_1) | instskip(SKIP_1) | instid1(VALU_DEP_1)
	v_pk_fma_f32 v[124:125], v[118:119], v[108:109], v[122:123] op_sel:[0,0,1] op_sel_hi:[1,1,0] neg_lo:[0,0,1] neg_hi:[0,0,1]
	v_pk_fma_f32 v[118:119], v[118:119], v[108:109], v[122:123] op_sel:[0,0,1] op_sel_hi:[1,0,0]
	v_mov_b32_e32 v125, v119
	v_pk_mul_f32 v[118:119], v[120:121], v[110:111] op_sel:[0,1]
	s_delay_alu instid0(VALU_DEP_1) | instskip(SKIP_1) | instid1(VALU_DEP_1)
	v_pk_fma_f32 v[122:123], v[120:121], v[108:109], v[118:119] op_sel:[0,0,1] op_sel_hi:[1,1,0] neg_lo:[0,0,1] neg_hi:[0,0,1]
	v_pk_fma_f32 v[118:119], v[120:121], v[108:109], v[118:119] op_sel:[0,0,1] op_sel_hi:[1,0,0]
	v_mov_b32_e32 v123, v119
	ds_load_2addr_b64 v[118:121], v112 offset0:18 offset1:19
	v_pk_add_f32 v[44:45], v[44:45], v[124:125] neg_lo:[0,1] neg_hi:[0,1]
	v_pk_add_f32 v[42:43], v[42:43], v[122:123] neg_lo:[0,1] neg_hi:[0,1]
	s_wait_dscnt 0x0
	v_pk_mul_f32 v[122:123], v[118:119], v[110:111] op_sel:[0,1]
	s_delay_alu instid0(VALU_DEP_1) | instskip(SKIP_1) | instid1(VALU_DEP_1)
	v_pk_fma_f32 v[124:125], v[118:119], v[108:109], v[122:123] op_sel:[0,0,1] op_sel_hi:[1,1,0] neg_lo:[0,0,1] neg_hi:[0,0,1]
	v_pk_fma_f32 v[118:119], v[118:119], v[108:109], v[122:123] op_sel:[0,0,1] op_sel_hi:[1,0,0]
	v_mov_b32_e32 v125, v119
	v_pk_mul_f32 v[118:119], v[120:121], v[110:111] op_sel:[0,1]
	s_delay_alu instid0(VALU_DEP_1) | instskip(SKIP_1) | instid1(VALU_DEP_1)
	v_pk_fma_f32 v[122:123], v[120:121], v[108:109], v[118:119] op_sel:[0,0,1] op_sel_hi:[1,1,0] neg_lo:[0,0,1] neg_hi:[0,0,1]
	v_pk_fma_f32 v[118:119], v[120:121], v[108:109], v[118:119] op_sel:[0,0,1] op_sel_hi:[1,0,0]
	v_mov_b32_e32 v123, v119
	ds_load_2addr_b64 v[118:121], v112 offset0:20 offset1:21
	v_pk_add_f32 v[22:23], v[22:23], v[124:125] neg_lo:[0,1] neg_hi:[0,1]
	v_pk_add_f32 v[20:21], v[20:21], v[122:123] neg_lo:[0,1] neg_hi:[0,1]
	s_wait_dscnt 0x0
	v_dual_mul_f32 v122, v119, v111 :: v_dual_mul_f32 v124, v119, v108
	s_delay_alu instid0(VALU_DEP_1) | instskip(NEXT) | instid1(VALU_DEP_2)
	v_pk_fma_f32 v[122:123], v[118:119], v[10:11], v[122:123] op_sel_hi:[1,1,0] neg_lo:[0,0,1] neg_hi:[0,0,1]
	v_pk_fma_f32 v[118:119], v[118:119], v[10:11], v[124:125] op_sel:[1,0,0] op_sel_hi:[0,1,0]
	s_delay_alu instid0(VALU_DEP_1) | instskip(SKIP_1) | instid1(VALU_DEP_2)
	v_mov_b32_e32 v123, v119
	v_pk_mul_f32 v[118:119], v[120:121], v[110:111] op_sel:[0,1]
	v_pk_add_f32 v[52:53], v[52:53], v[122:123] neg_lo:[0,1] neg_hi:[0,1]
	s_delay_alu instid0(VALU_DEP_2) | instskip(SKIP_1) | instid1(VALU_DEP_1)
	v_pk_fma_f32 v[122:123], v[120:121], v[108:109], v[118:119] op_sel:[0,0,1] op_sel_hi:[1,1,0] neg_lo:[0,0,1] neg_hi:[0,0,1]
	v_pk_fma_f32 v[118:119], v[120:121], v[108:109], v[118:119] op_sel:[0,0,1] op_sel_hi:[1,0,0]
	v_mov_b32_e32 v123, v119
	ds_load_2addr_b64 v[118:121], v112 offset0:22 offset1:23
	v_pk_add_f32 v[50:51], v[50:51], v[122:123] neg_lo:[0,1] neg_hi:[0,1]
	s_wait_dscnt 0x0
	v_pk_mul_f32 v[122:123], v[118:119], v[110:111] op_sel:[0,1]
	s_delay_alu instid0(VALU_DEP_1) | instskip(SKIP_1) | instid1(VALU_DEP_1)
	v_pk_fma_f32 v[124:125], v[118:119], v[108:109], v[122:123] op_sel:[0,0,1] op_sel_hi:[1,1,0] neg_lo:[0,0,1] neg_hi:[0,0,1]
	v_pk_fma_f32 v[118:119], v[118:119], v[108:109], v[122:123] op_sel:[0,0,1] op_sel_hi:[1,0,0]
	v_mov_b32_e32 v125, v119
	v_pk_mul_f32 v[118:119], v[120:121], v[110:111] op_sel:[0,1]
	s_delay_alu instid0(VALU_DEP_2) | instskip(NEXT) | instid1(VALU_DEP_2)
	v_pk_add_f32 v[32:33], v[32:33], v[124:125] neg_lo:[0,1] neg_hi:[0,1]
	v_pk_fma_f32 v[122:123], v[120:121], v[108:109], v[118:119] op_sel:[0,0,1] op_sel_hi:[1,1,0] neg_lo:[0,0,1] neg_hi:[0,0,1]
	v_pk_fma_f32 v[118:119], v[120:121], v[108:109], v[118:119] op_sel:[0,0,1] op_sel_hi:[1,0,0]
	s_delay_alu instid0(VALU_DEP_1) | instskip(SKIP_4) | instid1(VALU_DEP_1)
	v_mov_b32_e32 v123, v119
	ds_load_2addr_b64 v[118:121], v112 offset0:24 offset1:25
	v_pk_add_f32 v[30:31], v[30:31], v[122:123] neg_lo:[0,1] neg_hi:[0,1]
	s_wait_dscnt 0x0
	v_pk_mul_f32 v[122:123], v[118:119], v[110:111] op_sel:[0,1]
	v_pk_fma_f32 v[124:125], v[118:119], v[108:109], v[122:123] op_sel:[0,0,1] op_sel_hi:[1,1,0] neg_lo:[0,0,1] neg_hi:[0,0,1]
	v_pk_fma_f32 v[118:119], v[118:119], v[108:109], v[122:123] op_sel:[0,0,1] op_sel_hi:[1,0,0]
	v_dual_mul_f32 v122, v121, v111 :: v_dual_mov_b32 v118, v121
	s_delay_alu instid0(VALU_DEP_2) | instskip(NEXT) | instid1(VALU_DEP_2)
	v_dual_mov_b32 v125, v119 :: v_dual_mov_b32 v119, v120
	v_pk_fma_f32 v[122:123], v[120:121], v[10:11], v[122:123] op_sel_hi:[1,1,0] neg_lo:[0,0,1] neg_hi:[0,0,1]
	v_mul_f32_e32 v120, v121, v108
	s_delay_alu instid0(VALU_DEP_3) | instskip(NEXT) | instid1(VALU_DEP_2)
	v_pk_add_f32 v[62:63], v[62:63], v[124:125] neg_lo:[0,1] neg_hi:[0,1]
	v_pk_fma_f32 v[118:119], v[118:119], v[10:11], v[120:121] op_sel_hi:[1,1,0]
	s_delay_alu instid0(VALU_DEP_1) | instskip(SKIP_4) | instid1(VALU_DEP_1)
	v_mov_b32_e32 v123, v119
	ds_load_2addr_b64 v[118:121], v112 offset0:26 offset1:27
	v_pk_add_f32 v[60:61], v[60:61], v[122:123] neg_lo:[0,1] neg_hi:[0,1]
	s_wait_dscnt 0x0
	v_pk_mul_f32 v[122:123], v[118:119], v[110:111] op_sel:[0,1]
	v_pk_fma_f32 v[124:125], v[118:119], v[108:109], v[122:123] op_sel:[0,0,1] op_sel_hi:[1,1,0] neg_lo:[0,0,1] neg_hi:[0,0,1]
	v_pk_fma_f32 v[118:119], v[118:119], v[108:109], v[122:123] op_sel:[0,0,1] op_sel_hi:[1,0,0]
	s_delay_alu instid0(VALU_DEP_1) | instskip(SKIP_1) | instid1(VALU_DEP_1)
	v_mov_b32_e32 v125, v119
	v_pk_mul_f32 v[118:119], v[120:121], v[110:111] op_sel:[0,1]
	v_pk_fma_f32 v[122:123], v[120:121], v[108:109], v[118:119] op_sel:[0,0,1] op_sel_hi:[1,1,0] neg_lo:[0,0,1] neg_hi:[0,0,1]
	v_pk_fma_f32 v[118:119], v[120:121], v[108:109], v[118:119] op_sel:[0,0,1] op_sel_hi:[1,0,0]
	s_delay_alu instid0(VALU_DEP_1)
	v_mov_b32_e32 v123, v119
	ds_load_2addr_b64 v[118:121], v112 offset0:28 offset1:29
	v_pk_add_f32 v[40:41], v[40:41], v[124:125] neg_lo:[0,1] neg_hi:[0,1]
	v_pk_add_f32 v[38:39], v[38:39], v[122:123] neg_lo:[0,1] neg_hi:[0,1]
	s_wait_dscnt 0x0
	v_pk_mul_f32 v[122:123], v[118:119], v[110:111] op_sel:[0,1]
	s_delay_alu instid0(VALU_DEP_1) | instskip(SKIP_1) | instid1(VALU_DEP_1)
	v_pk_fma_f32 v[124:125], v[118:119], v[108:109], v[122:123] op_sel:[0,0,1] op_sel_hi:[1,1,0] neg_lo:[0,0,1] neg_hi:[0,0,1]
	v_pk_fma_f32 v[118:119], v[118:119], v[108:109], v[122:123] op_sel:[0,0,1] op_sel_hi:[1,0,0]
	v_mov_b32_e32 v125, v119
	v_pk_mul_f32 v[118:119], v[120:121], v[110:111] op_sel:[0,1]
	s_delay_alu instid0(VALU_DEP_1) | instskip(SKIP_1) | instid1(VALU_DEP_1)
	v_pk_fma_f32 v[122:123], v[120:121], v[108:109], v[118:119] op_sel:[0,0,1] op_sel_hi:[1,1,0] neg_lo:[0,0,1] neg_hi:[0,0,1]
	v_pk_fma_f32 v[118:119], v[120:121], v[108:109], v[118:119] op_sel:[0,0,1] op_sel_hi:[1,0,0]
	v_mov_b32_e32 v123, v119
	ds_load_2addr_b64 v[118:121], v112 offset0:30 offset1:31
	v_pk_add_f32 v[70:71], v[70:71], v[124:125] neg_lo:[0,1] neg_hi:[0,1]
	v_pk_add_f32 v[68:69], v[68:69], v[122:123] neg_lo:[0,1] neg_hi:[0,1]
	s_wait_dscnt 0x0
	v_dual_mul_f32 v122, v119, v111 :: v_dual_mul_f32 v124, v119, v108
	s_delay_alu instid0(VALU_DEP_1) | instskip(NEXT) | instid1(VALU_DEP_2)
	v_pk_fma_f32 v[122:123], v[118:119], v[10:11], v[122:123] op_sel_hi:[1,1,0] neg_lo:[0,0,1] neg_hi:[0,0,1]
	v_pk_fma_f32 v[118:119], v[118:119], v[10:11], v[124:125] op_sel:[1,0,0] op_sel_hi:[0,1,0]
	s_delay_alu instid0(VALU_DEP_1) | instskip(SKIP_1) | instid1(VALU_DEP_2)
	v_mov_b32_e32 v123, v119
	v_pk_mul_f32 v[118:119], v[120:121], v[110:111] op_sel:[0,1]
	v_pk_add_f32 v[48:49], v[48:49], v[122:123] neg_lo:[0,1] neg_hi:[0,1]
	s_delay_alu instid0(VALU_DEP_2) | instskip(SKIP_1) | instid1(VALU_DEP_1)
	v_pk_fma_f32 v[122:123], v[120:121], v[108:109], v[118:119] op_sel:[0,0,1] op_sel_hi:[1,1,0] neg_lo:[0,0,1] neg_hi:[0,0,1]
	v_pk_fma_f32 v[118:119], v[120:121], v[108:109], v[118:119] op_sel:[0,0,1] op_sel_hi:[1,0,0]
	v_mov_b32_e32 v123, v119
	ds_load_2addr_b64 v[118:121], v112 offset0:32 offset1:33
	v_pk_add_f32 v[46:47], v[46:47], v[122:123] neg_lo:[0,1] neg_hi:[0,1]
	s_wait_dscnt 0x0
	v_pk_mul_f32 v[122:123], v[118:119], v[110:111] op_sel:[0,1]
	s_delay_alu instid0(VALU_DEP_1) | instskip(SKIP_1) | instid1(VALU_DEP_1)
	v_pk_fma_f32 v[124:125], v[118:119], v[108:109], v[122:123] op_sel:[0,0,1] op_sel_hi:[1,1,0] neg_lo:[0,0,1] neg_hi:[0,0,1]
	v_pk_fma_f32 v[118:119], v[118:119], v[108:109], v[122:123] op_sel:[0,0,1] op_sel_hi:[1,0,0]
	v_mov_b32_e32 v125, v119
	v_pk_mul_f32 v[118:119], v[120:121], v[110:111] op_sel:[0,1]
	s_delay_alu instid0(VALU_DEP_2) | instskip(NEXT) | instid1(VALU_DEP_2)
	v_pk_add_f32 v[84:85], v[84:85], v[124:125] neg_lo:[0,1] neg_hi:[0,1]
	v_pk_fma_f32 v[122:123], v[120:121], v[108:109], v[118:119] op_sel:[0,0,1] op_sel_hi:[1,1,0] neg_lo:[0,0,1] neg_hi:[0,0,1]
	v_pk_fma_f32 v[118:119], v[120:121], v[108:109], v[118:119] op_sel:[0,0,1] op_sel_hi:[1,0,0]
	s_delay_alu instid0(VALU_DEP_1) | instskip(SKIP_4) | instid1(VALU_DEP_1)
	v_mov_b32_e32 v123, v119
	ds_load_2addr_b64 v[118:121], v112 offset0:34 offset1:35
	v_pk_add_f32 v[82:83], v[82:83], v[122:123] neg_lo:[0,1] neg_hi:[0,1]
	s_wait_dscnt 0x0
	v_pk_mul_f32 v[122:123], v[118:119], v[110:111] op_sel:[0,1]
	v_pk_fma_f32 v[124:125], v[118:119], v[108:109], v[122:123] op_sel:[0,0,1] op_sel_hi:[1,1,0] neg_lo:[0,0,1] neg_hi:[0,0,1]
	v_pk_fma_f32 v[118:119], v[118:119], v[108:109], v[122:123] op_sel:[0,0,1] op_sel_hi:[1,0,0]
	v_dual_mul_f32 v122, v121, v111 :: v_dual_mov_b32 v118, v121
	s_delay_alu instid0(VALU_DEP_2) | instskip(NEXT) | instid1(VALU_DEP_2)
	v_dual_mov_b32 v125, v119 :: v_dual_mov_b32 v119, v120
	v_pk_fma_f32 v[122:123], v[120:121], v[10:11], v[122:123] op_sel_hi:[1,1,0] neg_lo:[0,0,1] neg_hi:[0,0,1]
	v_mul_f32_e32 v120, v121, v108
	s_delay_alu instid0(VALU_DEP_3) | instskip(NEXT) | instid1(VALU_DEP_2)
	v_pk_add_f32 v[56:57], v[56:57], v[124:125] neg_lo:[0,1] neg_hi:[0,1]
	v_pk_fma_f32 v[118:119], v[118:119], v[10:11], v[120:121] op_sel_hi:[1,1,0]
	s_delay_alu instid0(VALU_DEP_1) | instskip(SKIP_4) | instid1(VALU_DEP_1)
	v_mov_b32_e32 v123, v119
	ds_load_2addr_b64 v[118:121], v112 offset0:36 offset1:37
	v_pk_add_f32 v[54:55], v[54:55], v[122:123] neg_lo:[0,1] neg_hi:[0,1]
	s_wait_dscnt 0x0
	v_pk_mul_f32 v[122:123], v[118:119], v[110:111] op_sel:[0,1]
	v_pk_fma_f32 v[124:125], v[118:119], v[108:109], v[122:123] op_sel:[0,0,1] op_sel_hi:[1,1,0] neg_lo:[0,0,1] neg_hi:[0,0,1]
	v_pk_fma_f32 v[118:119], v[118:119], v[108:109], v[122:123] op_sel:[0,0,1] op_sel_hi:[1,0,0]
	s_delay_alu instid0(VALU_DEP_1) | instskip(SKIP_1) | instid1(VALU_DEP_1)
	v_mov_b32_e32 v125, v119
	v_pk_mul_f32 v[118:119], v[120:121], v[110:111] op_sel:[0,1]
	v_pk_fma_f32 v[122:123], v[120:121], v[108:109], v[118:119] op_sel:[0,0,1] op_sel_hi:[1,1,0] neg_lo:[0,0,1] neg_hi:[0,0,1]
	v_pk_fma_f32 v[118:119], v[120:121], v[108:109], v[118:119] op_sel:[0,0,1] op_sel_hi:[1,0,0]
	s_delay_alu instid0(VALU_DEP_1)
	v_mov_b32_e32 v123, v119
	ds_load_2addr_b64 v[118:121], v112 offset0:38 offset1:39
	v_pk_add_f32 v[94:95], v[94:95], v[124:125] neg_lo:[0,1] neg_hi:[0,1]
	v_pk_add_f32 v[92:93], v[92:93], v[122:123] neg_lo:[0,1] neg_hi:[0,1]
	s_wait_dscnt 0x0
	v_pk_mul_f32 v[122:123], v[118:119], v[110:111] op_sel:[0,1]
	s_delay_alu instid0(VALU_DEP_1) | instskip(SKIP_1) | instid1(VALU_DEP_1)
	v_pk_fma_f32 v[124:125], v[118:119], v[108:109], v[122:123] op_sel:[0,0,1] op_sel_hi:[1,1,0] neg_lo:[0,0,1] neg_hi:[0,0,1]
	v_pk_fma_f32 v[118:119], v[118:119], v[108:109], v[122:123] op_sel:[0,0,1] op_sel_hi:[1,0,0]
	v_mov_b32_e32 v125, v119
	v_pk_mul_f32 v[118:119], v[120:121], v[110:111] op_sel:[0,1]
	s_delay_alu instid0(VALU_DEP_1) | instskip(SKIP_1) | instid1(VALU_DEP_1)
	v_pk_fma_f32 v[122:123], v[120:121], v[108:109], v[118:119] op_sel:[0,0,1] op_sel_hi:[1,1,0] neg_lo:[0,0,1] neg_hi:[0,0,1]
	v_pk_fma_f32 v[118:119], v[120:121], v[108:109], v[118:119] op_sel:[0,0,1] op_sel_hi:[1,0,0]
	v_mov_b32_e32 v123, v119
	ds_load_2addr_b64 v[118:121], v112 offset0:40 offset1:41
	v_pk_add_f32 v[66:67], v[66:67], v[124:125] neg_lo:[0,1] neg_hi:[0,1]
	v_pk_add_f32 v[64:65], v[64:65], v[122:123] neg_lo:[0,1] neg_hi:[0,1]
	s_wait_dscnt 0x0
	v_dual_mul_f32 v122, v119, v111 :: v_dual_mul_f32 v124, v119, v108
	s_delay_alu instid0(VALU_DEP_1) | instskip(NEXT) | instid1(VALU_DEP_2)
	v_pk_fma_f32 v[122:123], v[118:119], v[10:11], v[122:123] op_sel_hi:[1,1,0] neg_lo:[0,0,1] neg_hi:[0,0,1]
	v_pk_fma_f32 v[118:119], v[118:119], v[10:11], v[124:125] op_sel:[1,0,0] op_sel_hi:[0,1,0]
	s_delay_alu instid0(VALU_DEP_1) | instskip(SKIP_1) | instid1(VALU_DEP_2)
	v_mov_b32_e32 v123, v119
	v_pk_mul_f32 v[118:119], v[120:121], v[110:111] op_sel:[0,1]
	v_pk_add_f32 v[104:105], v[104:105], v[122:123] neg_lo:[0,1] neg_hi:[0,1]
	s_delay_alu instid0(VALU_DEP_2) | instskip(SKIP_1) | instid1(VALU_DEP_1)
	v_pk_fma_f32 v[122:123], v[120:121], v[108:109], v[118:119] op_sel:[0,0,1] op_sel_hi:[1,1,0] neg_lo:[0,0,1] neg_hi:[0,0,1]
	v_pk_fma_f32 v[118:119], v[120:121], v[108:109], v[118:119] op_sel:[0,0,1] op_sel_hi:[1,0,0]
	v_mov_b32_e32 v123, v119
	ds_load_2addr_b64 v[118:121], v112 offset0:42 offset1:43
	v_pk_add_f32 v[102:103], v[102:103], v[122:123] neg_lo:[0,1] neg_hi:[0,1]
	s_wait_dscnt 0x0
	v_pk_mul_f32 v[122:123], v[118:119], v[110:111] op_sel:[0,1]
	s_delay_alu instid0(VALU_DEP_1) | instskip(SKIP_1) | instid1(VALU_DEP_1)
	v_pk_fma_f32 v[124:125], v[118:119], v[108:109], v[122:123] op_sel:[0,0,1] op_sel_hi:[1,1,0] neg_lo:[0,0,1] neg_hi:[0,0,1]
	v_pk_fma_f32 v[118:119], v[118:119], v[108:109], v[122:123] op_sel:[0,0,1] op_sel_hi:[1,0,0]
	v_mov_b32_e32 v125, v119
	v_pk_mul_f32 v[118:119], v[120:121], v[110:111] op_sel:[0,1]
	s_delay_alu instid0(VALU_DEP_2) | instskip(NEXT) | instid1(VALU_DEP_2)
	v_pk_add_f32 v[76:77], v[76:77], v[124:125] neg_lo:[0,1] neg_hi:[0,1]
	v_pk_fma_f32 v[122:123], v[120:121], v[108:109], v[118:119] op_sel:[0,0,1] op_sel_hi:[1,1,0] neg_lo:[0,0,1] neg_hi:[0,0,1]
	v_pk_fma_f32 v[118:119], v[120:121], v[108:109], v[118:119] op_sel:[0,0,1] op_sel_hi:[1,0,0]
	s_delay_alu instid0(VALU_DEP_1) | instskip(SKIP_4) | instid1(VALU_DEP_1)
	v_mov_b32_e32 v123, v119
	ds_load_2addr_b64 v[118:121], v112 offset0:44 offset1:45
	v_pk_add_f32 v[74:75], v[74:75], v[122:123] neg_lo:[0,1] neg_hi:[0,1]
	s_wait_dscnt 0x0
	v_pk_mul_f32 v[122:123], v[118:119], v[110:111] op_sel:[0,1]
	v_pk_fma_f32 v[124:125], v[118:119], v[108:109], v[122:123] op_sel:[0,0,1] op_sel_hi:[1,1,0] neg_lo:[0,0,1] neg_hi:[0,0,1]
	v_pk_fma_f32 v[118:119], v[118:119], v[108:109], v[122:123] op_sel:[0,0,1] op_sel_hi:[1,0,0]
	v_dual_mul_f32 v122, v121, v111 :: v_dual_mov_b32 v118, v121
	s_delay_alu instid0(VALU_DEP_2) | instskip(NEXT) | instid1(VALU_DEP_2)
	v_dual_mov_b32 v125, v119 :: v_dual_mov_b32 v119, v120
	v_pk_fma_f32 v[122:123], v[120:121], v[10:11], v[122:123] op_sel_hi:[1,1,0] neg_lo:[0,0,1] neg_hi:[0,0,1]
	v_mul_f32_e32 v120, v121, v108
	s_delay_alu instid0(VALU_DEP_3) | instskip(NEXT) | instid1(VALU_DEP_2)
	v_pk_add_f32 v[98:99], v[98:99], v[124:125] neg_lo:[0,1] neg_hi:[0,1]
	v_pk_fma_f32 v[118:119], v[118:119], v[10:11], v[120:121] op_sel_hi:[1,1,0]
	s_delay_alu instid0(VALU_DEP_1) | instskip(SKIP_4) | instid1(VALU_DEP_1)
	v_mov_b32_e32 v123, v119
	ds_load_2addr_b64 v[118:121], v112 offset0:46 offset1:47
	v_pk_add_f32 v[96:97], v[96:97], v[122:123] neg_lo:[0,1] neg_hi:[0,1]
	s_wait_dscnt 0x0
	v_pk_mul_f32 v[122:123], v[118:119], v[110:111] op_sel:[0,1]
	v_pk_fma_f32 v[124:125], v[118:119], v[108:109], v[122:123] op_sel:[0,0,1] op_sel_hi:[1,1,0] neg_lo:[0,0,1] neg_hi:[0,0,1]
	v_pk_fma_f32 v[118:119], v[118:119], v[108:109], v[122:123] op_sel:[0,0,1] op_sel_hi:[1,0,0]
	s_delay_alu instid0(VALU_DEP_1) | instskip(SKIP_1) | instid1(VALU_DEP_1)
	v_mov_b32_e32 v125, v119
	v_pk_mul_f32 v[118:119], v[120:121], v[110:111] op_sel:[0,1]
	v_pk_fma_f32 v[122:123], v[120:121], v[108:109], v[118:119] op_sel:[0,0,1] op_sel_hi:[1,1,0] neg_lo:[0,0,1] neg_hi:[0,0,1]
	v_pk_fma_f32 v[118:119], v[120:121], v[108:109], v[118:119] op_sel:[0,0,1] op_sel_hi:[1,0,0]
	s_delay_alu instid0(VALU_DEP_1)
	v_mov_b32_e32 v123, v119
	ds_load_2addr_b64 v[118:121], v112 offset0:48 offset1:49
	v_pk_add_f32 v[80:81], v[80:81], v[124:125] neg_lo:[0,1] neg_hi:[0,1]
	v_pk_add_f32 v[78:79], v[78:79], v[122:123] neg_lo:[0,1] neg_hi:[0,1]
	s_wait_dscnt 0x0
	v_pk_mul_f32 v[122:123], v[118:119], v[110:111] op_sel:[0,1]
	s_delay_alu instid0(VALU_DEP_1) | instskip(SKIP_1) | instid1(VALU_DEP_1)
	v_pk_fma_f32 v[124:125], v[118:119], v[108:109], v[122:123] op_sel:[0,0,1] op_sel_hi:[1,1,0] neg_lo:[0,0,1] neg_hi:[0,0,1]
	v_pk_fma_f32 v[118:119], v[118:119], v[108:109], v[122:123] op_sel:[0,0,1] op_sel_hi:[1,0,0]
	v_mov_b32_e32 v125, v119
	v_pk_mul_f32 v[118:119], v[120:121], v[110:111] op_sel:[0,1]
	s_delay_alu instid0(VALU_DEP_1) | instskip(SKIP_1) | instid1(VALU_DEP_1)
	v_pk_fma_f32 v[122:123], v[120:121], v[108:109], v[118:119] op_sel:[0,0,1] op_sel_hi:[1,1,0] neg_lo:[0,0,1] neg_hi:[0,0,1]
	v_pk_fma_f32 v[118:119], v[120:121], v[108:109], v[118:119] op_sel:[0,0,1] op_sel_hi:[1,0,0]
	v_mov_b32_e32 v123, v119
	ds_load_b64 v[118:119], v112 offset:400
	v_pk_add_f32 v[88:89], v[88:89], v[124:125] neg_lo:[0,1] neg_hi:[0,1]
	v_pk_add_f32 v[86:87], v[86:87], v[122:123] neg_lo:[0,1] neg_hi:[0,1]
	s_wait_dscnt 0x0
	v_pk_mul_f32 v[110:111], v[118:119], v[110:111] op_sel:[0,1]
	s_delay_alu instid0(VALU_DEP_1) | instskip(SKIP_1) | instid1(VALU_DEP_1)
	v_pk_fma_f32 v[120:121], v[118:119], v[108:109], v[110:111] op_sel:[0,0,1] op_sel_hi:[1,1,0] neg_lo:[0,0,1] neg_hi:[0,0,1]
	v_pk_fma_f32 v[108:109], v[118:119], v[108:109], v[110:111] op_sel:[0,0,1] op_sel_hi:[1,0,0]
	v_mov_b32_e32 v121, v109
	s_delay_alu instid0(VALU_DEP_1)
	v_pk_add_f32 v[106:107], v[106:107], v[120:121] neg_lo:[0,1] neg_hi:[0,1]
.LBB100_251:
	s_or_b32 exec_lo, exec_lo, s0
	v_lshl_add_u32 v108, v116, 3, v112
	s_barrier_signal -1
	s_barrier_wait -1
	ds_store_b64 v108, v[36:37]
	s_wait_dscnt 0x0
	s_barrier_signal -1
	s_barrier_wait -1
	ds_load_b64 v[110:111], v112 offset:96
	v_mov_b32_e32 v108, 12
	s_cmp_lt_i32 s18, 14
	s_cbranch_scc1 .LBB100_254
; %bb.252:
	v_add3_u32 v109, v113, 0, 0x68
	v_mov_b32_e32 v108, 12
	s_mov_b32 s0, 13
.LBB100_253:                            ; =>This Inner Loop Header: Depth=1
	ds_load_b64 v[118:119], v109
	s_wait_dscnt 0x1
	v_cmp_gt_f32_e32 vcc_lo, 0, v110
	v_cndmask_b32_e64 v120, v110, -v110, vcc_lo
	v_cmp_gt_f32_e32 vcc_lo, 0, v111
	v_cndmask_b32_e64 v122, v111, -v111, vcc_lo
	s_wait_dscnt 0x0
	v_cmp_gt_f32_e32 vcc_lo, 0, v118
	v_cndmask_b32_e64 v121, v118, -v118, vcc_lo
	v_cmp_gt_f32_e32 vcc_lo, 0, v119
	v_cndmask_b32_e64 v123, v119, -v119, vcc_lo
	s_delay_alu instid0(VALU_DEP_1) | instskip(NEXT) | instid1(VALU_DEP_1)
	v_pk_add_f32 v[120:121], v[120:121], v[122:123]
	v_cmp_lt_f32_e32 vcc_lo, v120, v121
	v_dual_add_nc_u32 v109, 8, v109 :: v_dual_cndmask_b32 v111, v111, v119, vcc_lo
	v_cndmask_b32_e32 v110, v110, v118, vcc_lo
	v_cndmask_b32_e64 v108, v108, s0, vcc_lo
	s_add_co_i32 s0, s0, 1
	s_delay_alu instid0(SALU_CYCLE_1)
	s_cmp_lg_u32 s18, s0
	s_cbranch_scc1 .LBB100_253
.LBB100_254:
	s_wait_dscnt 0x0
	v_cmp_eq_f32_e32 vcc_lo, 0, v110
	v_cmp_eq_f32_e64 s0, 0, v111
	s_and_b32 s0, vcc_lo, s0
	s_delay_alu instid0(SALU_CYCLE_1) | instskip(NEXT) | instid1(SALU_CYCLE_1)
	s_and_saveexec_b32 s1, s0
	s_xor_b32 s0, exec_lo, s1
; %bb.255:
	v_cmp_ne_u32_e32 vcc_lo, 0, v114
	v_cndmask_b32_e32 v114, 13, v114, vcc_lo
; %bb.256:
	s_and_not1_saveexec_b32 s0, s0
	s_cbranch_execz .LBB100_262
; %bb.257:
	v_cmp_ngt_f32_e64 s1, |v110|, |v111|
	s_and_saveexec_b32 s12, s1
	s_delay_alu instid0(SALU_CYCLE_1)
	s_xor_b32 s1, exec_lo, s12
	s_cbranch_execz .LBB100_259
; %bb.258:
	v_div_scale_f32 v109, null, v111, v111, v110
	v_div_scale_f32 v119, vcc_lo, v110, v111, v110
	s_delay_alu instid0(VALU_DEP_2) | instskip(SKIP_1) | instid1(TRANS32_DEP_1)
	v_rcp_f32_e32 v117, v109
	v_nop
	v_fma_f32 v118, -v109, v117, 1.0
	s_delay_alu instid0(VALU_DEP_1) | instskip(NEXT) | instid1(VALU_DEP_1)
	v_fmac_f32_e32 v117, v118, v117
	v_mul_f32_e32 v118, v119, v117
	s_delay_alu instid0(VALU_DEP_1) | instskip(NEXT) | instid1(VALU_DEP_1)
	v_fma_f32 v120, -v109, v118, v119
	v_fmac_f32_e32 v118, v120, v117
	s_delay_alu instid0(VALU_DEP_1) | instskip(NEXT) | instid1(VALU_DEP_1)
	v_fma_f32 v109, -v109, v118, v119
	v_div_fmas_f32 v109, v109, v117, v118
	s_delay_alu instid0(VALU_DEP_1) | instskip(NEXT) | instid1(VALU_DEP_1)
	v_div_fixup_f32 v109, v109, v111, v110
	v_fmac_f32_e32 v111, v110, v109
	s_delay_alu instid0(VALU_DEP_1) | instskip(SKIP_1) | instid1(VALU_DEP_2)
	v_div_scale_f32 v110, null, v111, v111, 1.0
	v_div_scale_f32 v119, vcc_lo, 1.0, v111, 1.0
	v_rcp_f32_e32 v117, v110
	v_nop
	s_delay_alu instid0(TRANS32_DEP_1) | instskip(NEXT) | instid1(VALU_DEP_1)
	v_fma_f32 v118, -v110, v117, 1.0
	v_fmac_f32_e32 v117, v118, v117
	s_delay_alu instid0(VALU_DEP_1) | instskip(NEXT) | instid1(VALU_DEP_1)
	v_mul_f32_e32 v118, v119, v117
	v_fma_f32 v120, -v110, v118, v119
	s_delay_alu instid0(VALU_DEP_1) | instskip(NEXT) | instid1(VALU_DEP_1)
	v_fmac_f32_e32 v118, v120, v117
	v_fma_f32 v110, -v110, v118, v119
	s_delay_alu instid0(VALU_DEP_1) | instskip(NEXT) | instid1(VALU_DEP_1)
	v_div_fmas_f32 v110, v110, v117, v118
	v_div_fixup_f32 v111, v110, v111, 1.0
	s_delay_alu instid0(VALU_DEP_1)
	v_mul_f32_e32 v110, v109, v111
	v_xor_b32_e32 v111, 0x80000000, v111
.LBB100_259:
	s_and_not1_saveexec_b32 s1, s1
	s_cbranch_execz .LBB100_261
; %bb.260:
	s_delay_alu instid0(VALU_DEP_1) | instskip(SKIP_1) | instid1(VALU_DEP_2)
	v_div_scale_f32 v109, null, v110, v110, v111
	v_div_scale_f32 v119, vcc_lo, v111, v110, v111
	v_rcp_f32_e32 v117, v109
	v_nop
	s_delay_alu instid0(TRANS32_DEP_1) | instskip(NEXT) | instid1(VALU_DEP_1)
	v_fma_f32 v118, -v109, v117, 1.0
	v_fmac_f32_e32 v117, v118, v117
	s_delay_alu instid0(VALU_DEP_1) | instskip(NEXT) | instid1(VALU_DEP_1)
	v_mul_f32_e32 v118, v119, v117
	v_fma_f32 v120, -v109, v118, v119
	s_delay_alu instid0(VALU_DEP_1) | instskip(NEXT) | instid1(VALU_DEP_1)
	v_fmac_f32_e32 v118, v120, v117
	v_fma_f32 v109, -v109, v118, v119
	s_delay_alu instid0(VALU_DEP_1) | instskip(NEXT) | instid1(VALU_DEP_1)
	v_div_fmas_f32 v109, v109, v117, v118
	v_div_fixup_f32 v109, v109, v110, v111
	s_delay_alu instid0(VALU_DEP_1) | instskip(NEXT) | instid1(VALU_DEP_1)
	v_fmac_f32_e32 v110, v111, v109
	v_div_scale_f32 v111, null, v110, v110, 1.0
	s_delay_alu instid0(VALU_DEP_1) | instskip(SKIP_1) | instid1(TRANS32_DEP_1)
	v_rcp_f32_e32 v117, v111
	v_nop
	v_fma_f32 v118, -v111, v117, 1.0
	s_delay_alu instid0(VALU_DEP_1) | instskip(SKIP_1) | instid1(VALU_DEP_1)
	v_fmac_f32_e32 v117, v118, v117
	v_div_scale_f32 v118, vcc_lo, 1.0, v110, 1.0
	v_mul_f32_e32 v119, v118, v117
	s_delay_alu instid0(VALU_DEP_1) | instskip(NEXT) | instid1(VALU_DEP_1)
	v_fma_f32 v120, -v111, v119, v118
	v_fmac_f32_e32 v119, v120, v117
	s_delay_alu instid0(VALU_DEP_1) | instskip(NEXT) | instid1(VALU_DEP_1)
	v_fma_f32 v111, -v111, v119, v118
	v_div_fmas_f32 v111, v111, v117, v119
	s_delay_alu instid0(VALU_DEP_1) | instskip(NEXT) | instid1(VALU_DEP_1)
	v_div_fixup_f32 v110, v111, v110, 1.0
	v_mul_f32_e64 v111, v109, -v110
.LBB100_261:
	s_or_b32 exec_lo, exec_lo, s1
.LBB100_262:
	s_delay_alu instid0(SALU_CYCLE_1) | instskip(NEXT) | instid1(SALU_CYCLE_1)
	s_or_b32 exec_lo, exec_lo, s0
	s_mov_b32 s0, exec_lo
	v_cmpx_ne_u32_e64 v116, v108
	s_xor_b32 s0, exec_lo, s0
	s_cbranch_execz .LBB100_268
; %bb.263:
	s_mov_b32 s1, exec_lo
	v_cmpx_eq_u32_e32 12, v116
	s_cbranch_execz .LBB100_267
; %bb.264:
	v_cmp_ne_u32_e32 vcc_lo, 12, v108
	s_xor_b32 s12, s16, -1
	s_delay_alu instid0(SALU_CYCLE_1) | instskip(NEXT) | instid1(SALU_CYCLE_1)
	s_and_b32 s13, s12, vcc_lo
	s_and_saveexec_b32 s12, s13
	s_cbranch_execz .LBB100_266
; %bb.265:
	v_ashrrev_i32_e32 v109, 31, v108
	s_delay_alu instid0(VALU_DEP_1)
	v_lshl_add_u64 v[116:117], v[108:109], 2, v[4:5]
	s_clause 0x1
	global_load_b32 v109, v[116:117], off
	global_load_b32 v115, v[4:5], off offset:48
	s_wait_loadcnt 0x1
	global_store_b32 v[4:5], v109, off offset:48
	s_wait_loadcnt 0x0
	global_store_b32 v[116:117], v115, off
.LBB100_266:
	s_wait_xcnt 0x0
	s_or_b32 exec_lo, exec_lo, s12
	v_dual_mov_b32 v116, v108 :: v_dual_mov_b32 v115, v108
.LBB100_267:
	s_or_b32 exec_lo, exec_lo, s1
.LBB100_268:
	s_and_not1_saveexec_b32 s0, s0
	s_cbranch_execz .LBB100_270
; %bb.269:
	v_mov_b32_e32 v116, 12
	ds_store_2addr_b64 v112, v[34:35], v[18:19] offset0:13 offset1:14
	ds_store_2addr_b64 v112, v[14:15], v[44:45] offset0:15 offset1:16
	;; [unrolled: 1-line block ×19, first 2 shown]
.LBB100_270:
	s_or_b32 exec_lo, exec_lo, s0
	s_delay_alu instid0(SALU_CYCLE_1)
	s_mov_b32 s0, exec_lo
	s_wait_storecnt_dscnt 0x0
	s_barrier_signal -1
	s_barrier_wait -1
	v_cmpx_lt_i32_e32 12, v116
	s_cbranch_execz .LBB100_272
; %bb.271:
	v_pk_mul_f32 v[118:119], v[110:111], v[36:37] op_sel:[1,1] op_sel_hi:[0,1]
	s_delay_alu instid0(VALU_DEP_1)
	v_pk_fma_f32 v[108:109], v[110:111], v[36:37], v[118:119] op_sel_hi:[1,0,1] neg_lo:[0,0,1] neg_hi:[0,0,1]
	v_pk_fma_f32 v[110:111], v[110:111], v[36:37], v[118:119] op_sel_hi:[1,0,1]
	ds_load_2addr_b64 v[118:121], v112 offset0:13 offset1:14
	v_dual_mov_b32 v36, v108 :: v_dual_mov_b32 v37, v111
	s_wait_dscnt 0x0
	v_pk_mul_f32 v[122:123], v[118:119], v[110:111] op_sel:[0,1]
	s_delay_alu instid0(VALU_DEP_1) | instskip(SKIP_1) | instid1(VALU_DEP_1)
	v_pk_fma_f32 v[124:125], v[118:119], v[108:109], v[122:123] op_sel:[0,0,1] op_sel_hi:[1,1,0] neg_lo:[0,0,1] neg_hi:[0,0,1]
	v_pk_fma_f32 v[118:119], v[118:119], v[108:109], v[122:123] op_sel:[0,0,1] op_sel_hi:[1,0,0]
	v_mov_b32_e32 v125, v119
	v_pk_mul_f32 v[118:119], v[120:121], v[110:111] op_sel:[0,1]
	s_delay_alu instid0(VALU_DEP_1) | instskip(SKIP_1) | instid1(VALU_DEP_1)
	v_pk_fma_f32 v[122:123], v[120:121], v[108:109], v[118:119] op_sel:[0,0,1] op_sel_hi:[1,1,0] neg_lo:[0,0,1] neg_hi:[0,0,1]
	v_pk_fma_f32 v[118:119], v[120:121], v[108:109], v[118:119] op_sel:[0,0,1] op_sel_hi:[1,0,0]
	v_mov_b32_e32 v123, v119
	ds_load_2addr_b64 v[118:121], v112 offset0:15 offset1:16
	v_pk_add_f32 v[34:35], v[34:35], v[124:125] neg_lo:[0,1] neg_hi:[0,1]
	v_pk_add_f32 v[18:19], v[18:19], v[122:123] neg_lo:[0,1] neg_hi:[0,1]
	s_wait_dscnt 0x0
	v_pk_mul_f32 v[122:123], v[118:119], v[110:111] op_sel:[0,1]
	s_delay_alu instid0(VALU_DEP_1) | instskip(SKIP_2) | instid1(VALU_DEP_2)
	v_pk_fma_f32 v[124:125], v[118:119], v[108:109], v[122:123] op_sel:[0,0,1] op_sel_hi:[1,1,0] neg_lo:[0,0,1] neg_hi:[0,0,1]
	v_pk_fma_f32 v[118:119], v[118:119], v[108:109], v[122:123] op_sel:[0,0,1] op_sel_hi:[1,0,0]
	v_dual_mul_f32 v122, v121, v111 :: v_dual_mov_b32 v118, v121
	v_dual_mov_b32 v125, v119 :: v_dual_mov_b32 v119, v120
	s_delay_alu instid0(VALU_DEP_2) | instskip(SKIP_1) | instid1(VALU_DEP_3)
	v_pk_fma_f32 v[122:123], v[120:121], v[36:37], v[122:123] op_sel_hi:[1,1,0] neg_lo:[0,0,1] neg_hi:[0,0,1]
	v_mul_f32_e32 v120, v121, v108
	v_pk_add_f32 v[14:15], v[14:15], v[124:125] neg_lo:[0,1] neg_hi:[0,1]
	s_delay_alu instid0(VALU_DEP_2) | instskip(NEXT) | instid1(VALU_DEP_1)
	v_pk_fma_f32 v[118:119], v[118:119], v[36:37], v[120:121] op_sel_hi:[1,1,0]
	v_mov_b32_e32 v123, v119
	ds_load_2addr_b64 v[118:121], v112 offset0:17 offset1:18
	v_pk_add_f32 v[44:45], v[44:45], v[122:123] neg_lo:[0,1] neg_hi:[0,1]
	s_wait_dscnt 0x0
	v_pk_mul_f32 v[122:123], v[118:119], v[110:111] op_sel:[0,1]
	s_delay_alu instid0(VALU_DEP_1) | instskip(SKIP_1) | instid1(VALU_DEP_1)
	v_pk_fma_f32 v[124:125], v[118:119], v[108:109], v[122:123] op_sel:[0,0,1] op_sel_hi:[1,1,0] neg_lo:[0,0,1] neg_hi:[0,0,1]
	v_pk_fma_f32 v[118:119], v[118:119], v[108:109], v[122:123] op_sel:[0,0,1] op_sel_hi:[1,0,0]
	v_mov_b32_e32 v125, v119
	v_pk_mul_f32 v[118:119], v[120:121], v[110:111] op_sel:[0,1]
	s_delay_alu instid0(VALU_DEP_1) | instskip(SKIP_1) | instid1(VALU_DEP_1)
	v_pk_fma_f32 v[122:123], v[120:121], v[108:109], v[118:119] op_sel:[0,0,1] op_sel_hi:[1,1,0] neg_lo:[0,0,1] neg_hi:[0,0,1]
	v_pk_fma_f32 v[118:119], v[120:121], v[108:109], v[118:119] op_sel:[0,0,1] op_sel_hi:[1,0,0]
	v_mov_b32_e32 v123, v119
	ds_load_2addr_b64 v[118:121], v112 offset0:19 offset1:20
	v_pk_add_f32 v[42:43], v[42:43], v[124:125] neg_lo:[0,1] neg_hi:[0,1]
	v_pk_add_f32 v[22:23], v[22:23], v[122:123] neg_lo:[0,1] neg_hi:[0,1]
	s_wait_dscnt 0x0
	v_pk_mul_f32 v[122:123], v[118:119], v[110:111] op_sel:[0,1]
	s_delay_alu instid0(VALU_DEP_1) | instskip(SKIP_1) | instid1(VALU_DEP_1)
	v_pk_fma_f32 v[124:125], v[118:119], v[108:109], v[122:123] op_sel:[0,0,1] op_sel_hi:[1,1,0] neg_lo:[0,0,1] neg_hi:[0,0,1]
	v_pk_fma_f32 v[118:119], v[118:119], v[108:109], v[122:123] op_sel:[0,0,1] op_sel_hi:[1,0,0]
	v_mov_b32_e32 v125, v119
	v_pk_mul_f32 v[118:119], v[120:121], v[110:111] op_sel:[0,1]
	s_delay_alu instid0(VALU_DEP_1) | instskip(SKIP_1) | instid1(VALU_DEP_1)
	v_pk_fma_f32 v[122:123], v[120:121], v[108:109], v[118:119] op_sel:[0,0,1] op_sel_hi:[1,1,0] neg_lo:[0,0,1] neg_hi:[0,0,1]
	v_pk_fma_f32 v[118:119], v[120:121], v[108:109], v[118:119] op_sel:[0,0,1] op_sel_hi:[1,0,0]
	v_mov_b32_e32 v123, v119
	ds_load_2addr_b64 v[118:121], v112 offset0:21 offset1:22
	v_pk_add_f32 v[20:21], v[20:21], v[124:125] neg_lo:[0,1] neg_hi:[0,1]
	v_pk_add_f32 v[52:53], v[52:53], v[122:123] neg_lo:[0,1] neg_hi:[0,1]
	s_wait_dscnt 0x0
	v_dual_mul_f32 v122, v119, v111 :: v_dual_mul_f32 v124, v119, v108
	s_delay_alu instid0(VALU_DEP_1) | instskip(NEXT) | instid1(VALU_DEP_2)
	v_pk_fma_f32 v[122:123], v[118:119], v[36:37], v[122:123] op_sel_hi:[1,1,0] neg_lo:[0,0,1] neg_hi:[0,0,1]
	v_pk_fma_f32 v[118:119], v[118:119], v[36:37], v[124:125] op_sel:[1,0,0] op_sel_hi:[0,1,0]
	s_delay_alu instid0(VALU_DEP_1) | instskip(SKIP_1) | instid1(VALU_DEP_2)
	v_mov_b32_e32 v123, v119
	v_pk_mul_f32 v[118:119], v[120:121], v[110:111] op_sel:[0,1]
	v_pk_add_f32 v[50:51], v[50:51], v[122:123] neg_lo:[0,1] neg_hi:[0,1]
	s_delay_alu instid0(VALU_DEP_2) | instskip(SKIP_1) | instid1(VALU_DEP_1)
	v_pk_fma_f32 v[122:123], v[120:121], v[108:109], v[118:119] op_sel:[0,0,1] op_sel_hi:[1,1,0] neg_lo:[0,0,1] neg_hi:[0,0,1]
	v_pk_fma_f32 v[118:119], v[120:121], v[108:109], v[118:119] op_sel:[0,0,1] op_sel_hi:[1,0,0]
	v_mov_b32_e32 v123, v119
	ds_load_2addr_b64 v[118:121], v112 offset0:23 offset1:24
	v_pk_add_f32 v[32:33], v[32:33], v[122:123] neg_lo:[0,1] neg_hi:[0,1]
	s_wait_dscnt 0x0
	v_pk_mul_f32 v[122:123], v[118:119], v[110:111] op_sel:[0,1]
	s_delay_alu instid0(VALU_DEP_1) | instskip(SKIP_1) | instid1(VALU_DEP_1)
	v_pk_fma_f32 v[124:125], v[118:119], v[108:109], v[122:123] op_sel:[0,0,1] op_sel_hi:[1,1,0] neg_lo:[0,0,1] neg_hi:[0,0,1]
	v_pk_fma_f32 v[118:119], v[118:119], v[108:109], v[122:123] op_sel:[0,0,1] op_sel_hi:[1,0,0]
	v_mov_b32_e32 v125, v119
	v_pk_mul_f32 v[118:119], v[120:121], v[110:111] op_sel:[0,1]
	s_delay_alu instid0(VALU_DEP_2) | instskip(NEXT) | instid1(VALU_DEP_2)
	v_pk_add_f32 v[30:31], v[30:31], v[124:125] neg_lo:[0,1] neg_hi:[0,1]
	v_pk_fma_f32 v[122:123], v[120:121], v[108:109], v[118:119] op_sel:[0,0,1] op_sel_hi:[1,1,0] neg_lo:[0,0,1] neg_hi:[0,0,1]
	v_pk_fma_f32 v[118:119], v[120:121], v[108:109], v[118:119] op_sel:[0,0,1] op_sel_hi:[1,0,0]
	s_delay_alu instid0(VALU_DEP_1) | instskip(SKIP_4) | instid1(VALU_DEP_1)
	v_mov_b32_e32 v123, v119
	ds_load_2addr_b64 v[118:121], v112 offset0:25 offset1:26
	v_pk_add_f32 v[62:63], v[62:63], v[122:123] neg_lo:[0,1] neg_hi:[0,1]
	s_wait_dscnt 0x0
	v_pk_mul_f32 v[122:123], v[118:119], v[110:111] op_sel:[0,1]
	v_pk_fma_f32 v[124:125], v[118:119], v[108:109], v[122:123] op_sel:[0,0,1] op_sel_hi:[1,1,0] neg_lo:[0,0,1] neg_hi:[0,0,1]
	v_pk_fma_f32 v[118:119], v[118:119], v[108:109], v[122:123] op_sel:[0,0,1] op_sel_hi:[1,0,0]
	v_dual_mul_f32 v122, v121, v111 :: v_dual_mov_b32 v118, v121
	s_delay_alu instid0(VALU_DEP_2) | instskip(NEXT) | instid1(VALU_DEP_2)
	v_dual_mov_b32 v125, v119 :: v_dual_mov_b32 v119, v120
	v_pk_fma_f32 v[122:123], v[120:121], v[36:37], v[122:123] op_sel_hi:[1,1,0] neg_lo:[0,0,1] neg_hi:[0,0,1]
	v_mul_f32_e32 v120, v121, v108
	s_delay_alu instid0(VALU_DEP_3) | instskip(NEXT) | instid1(VALU_DEP_2)
	v_pk_add_f32 v[60:61], v[60:61], v[124:125] neg_lo:[0,1] neg_hi:[0,1]
	v_pk_fma_f32 v[118:119], v[118:119], v[36:37], v[120:121] op_sel_hi:[1,1,0]
	s_delay_alu instid0(VALU_DEP_1) | instskip(SKIP_4) | instid1(VALU_DEP_1)
	v_mov_b32_e32 v123, v119
	ds_load_2addr_b64 v[118:121], v112 offset0:27 offset1:28
	v_pk_add_f32 v[40:41], v[40:41], v[122:123] neg_lo:[0,1] neg_hi:[0,1]
	s_wait_dscnt 0x0
	v_pk_mul_f32 v[122:123], v[118:119], v[110:111] op_sel:[0,1]
	v_pk_fma_f32 v[124:125], v[118:119], v[108:109], v[122:123] op_sel:[0,0,1] op_sel_hi:[1,1,0] neg_lo:[0,0,1] neg_hi:[0,0,1]
	v_pk_fma_f32 v[118:119], v[118:119], v[108:109], v[122:123] op_sel:[0,0,1] op_sel_hi:[1,0,0]
	s_delay_alu instid0(VALU_DEP_1) | instskip(SKIP_1) | instid1(VALU_DEP_1)
	v_mov_b32_e32 v125, v119
	v_pk_mul_f32 v[118:119], v[120:121], v[110:111] op_sel:[0,1]
	v_pk_fma_f32 v[122:123], v[120:121], v[108:109], v[118:119] op_sel:[0,0,1] op_sel_hi:[1,1,0] neg_lo:[0,0,1] neg_hi:[0,0,1]
	v_pk_fma_f32 v[118:119], v[120:121], v[108:109], v[118:119] op_sel:[0,0,1] op_sel_hi:[1,0,0]
	s_delay_alu instid0(VALU_DEP_1)
	v_mov_b32_e32 v123, v119
	ds_load_2addr_b64 v[118:121], v112 offset0:29 offset1:30
	v_pk_add_f32 v[38:39], v[38:39], v[124:125] neg_lo:[0,1] neg_hi:[0,1]
	v_pk_add_f32 v[70:71], v[70:71], v[122:123] neg_lo:[0,1] neg_hi:[0,1]
	s_wait_dscnt 0x0
	v_pk_mul_f32 v[122:123], v[118:119], v[110:111] op_sel:[0,1]
	s_delay_alu instid0(VALU_DEP_1) | instskip(SKIP_1) | instid1(VALU_DEP_1)
	v_pk_fma_f32 v[124:125], v[118:119], v[108:109], v[122:123] op_sel:[0,0,1] op_sel_hi:[1,1,0] neg_lo:[0,0,1] neg_hi:[0,0,1]
	v_pk_fma_f32 v[118:119], v[118:119], v[108:109], v[122:123] op_sel:[0,0,1] op_sel_hi:[1,0,0]
	v_mov_b32_e32 v125, v119
	v_pk_mul_f32 v[118:119], v[120:121], v[110:111] op_sel:[0,1]
	s_delay_alu instid0(VALU_DEP_1) | instskip(SKIP_1) | instid1(VALU_DEP_1)
	v_pk_fma_f32 v[122:123], v[120:121], v[108:109], v[118:119] op_sel:[0,0,1] op_sel_hi:[1,1,0] neg_lo:[0,0,1] neg_hi:[0,0,1]
	v_pk_fma_f32 v[118:119], v[120:121], v[108:109], v[118:119] op_sel:[0,0,1] op_sel_hi:[1,0,0]
	v_mov_b32_e32 v123, v119
	ds_load_2addr_b64 v[118:121], v112 offset0:31 offset1:32
	v_pk_add_f32 v[68:69], v[68:69], v[124:125] neg_lo:[0,1] neg_hi:[0,1]
	v_pk_add_f32 v[48:49], v[48:49], v[122:123] neg_lo:[0,1] neg_hi:[0,1]
	s_wait_dscnt 0x0
	v_dual_mul_f32 v122, v119, v111 :: v_dual_mul_f32 v124, v119, v108
	s_delay_alu instid0(VALU_DEP_1) | instskip(NEXT) | instid1(VALU_DEP_2)
	v_pk_fma_f32 v[122:123], v[118:119], v[36:37], v[122:123] op_sel_hi:[1,1,0] neg_lo:[0,0,1] neg_hi:[0,0,1]
	v_pk_fma_f32 v[118:119], v[118:119], v[36:37], v[124:125] op_sel:[1,0,0] op_sel_hi:[0,1,0]
	s_delay_alu instid0(VALU_DEP_1) | instskip(SKIP_1) | instid1(VALU_DEP_2)
	v_mov_b32_e32 v123, v119
	v_pk_mul_f32 v[118:119], v[120:121], v[110:111] op_sel:[0,1]
	v_pk_add_f32 v[46:47], v[46:47], v[122:123] neg_lo:[0,1] neg_hi:[0,1]
	s_delay_alu instid0(VALU_DEP_2) | instskip(SKIP_1) | instid1(VALU_DEP_1)
	v_pk_fma_f32 v[122:123], v[120:121], v[108:109], v[118:119] op_sel:[0,0,1] op_sel_hi:[1,1,0] neg_lo:[0,0,1] neg_hi:[0,0,1]
	v_pk_fma_f32 v[118:119], v[120:121], v[108:109], v[118:119] op_sel:[0,0,1] op_sel_hi:[1,0,0]
	v_mov_b32_e32 v123, v119
	ds_load_2addr_b64 v[118:121], v112 offset0:33 offset1:34
	v_pk_add_f32 v[84:85], v[84:85], v[122:123] neg_lo:[0,1] neg_hi:[0,1]
	s_wait_dscnt 0x0
	v_pk_mul_f32 v[122:123], v[118:119], v[110:111] op_sel:[0,1]
	s_delay_alu instid0(VALU_DEP_1) | instskip(SKIP_1) | instid1(VALU_DEP_1)
	v_pk_fma_f32 v[124:125], v[118:119], v[108:109], v[122:123] op_sel:[0,0,1] op_sel_hi:[1,1,0] neg_lo:[0,0,1] neg_hi:[0,0,1]
	v_pk_fma_f32 v[118:119], v[118:119], v[108:109], v[122:123] op_sel:[0,0,1] op_sel_hi:[1,0,0]
	v_mov_b32_e32 v125, v119
	v_pk_mul_f32 v[118:119], v[120:121], v[110:111] op_sel:[0,1]
	s_delay_alu instid0(VALU_DEP_2) | instskip(NEXT) | instid1(VALU_DEP_2)
	v_pk_add_f32 v[82:83], v[82:83], v[124:125] neg_lo:[0,1] neg_hi:[0,1]
	v_pk_fma_f32 v[122:123], v[120:121], v[108:109], v[118:119] op_sel:[0,0,1] op_sel_hi:[1,1,0] neg_lo:[0,0,1] neg_hi:[0,0,1]
	v_pk_fma_f32 v[118:119], v[120:121], v[108:109], v[118:119] op_sel:[0,0,1] op_sel_hi:[1,0,0]
	s_delay_alu instid0(VALU_DEP_1) | instskip(SKIP_4) | instid1(VALU_DEP_1)
	v_mov_b32_e32 v123, v119
	ds_load_2addr_b64 v[118:121], v112 offset0:35 offset1:36
	v_pk_add_f32 v[56:57], v[56:57], v[122:123] neg_lo:[0,1] neg_hi:[0,1]
	s_wait_dscnt 0x0
	v_pk_mul_f32 v[122:123], v[118:119], v[110:111] op_sel:[0,1]
	v_pk_fma_f32 v[124:125], v[118:119], v[108:109], v[122:123] op_sel:[0,0,1] op_sel_hi:[1,1,0] neg_lo:[0,0,1] neg_hi:[0,0,1]
	v_pk_fma_f32 v[118:119], v[118:119], v[108:109], v[122:123] op_sel:[0,0,1] op_sel_hi:[1,0,0]
	v_dual_mul_f32 v122, v121, v111 :: v_dual_mov_b32 v118, v121
	s_delay_alu instid0(VALU_DEP_2) | instskip(NEXT) | instid1(VALU_DEP_2)
	v_dual_mov_b32 v125, v119 :: v_dual_mov_b32 v119, v120
	v_pk_fma_f32 v[122:123], v[120:121], v[36:37], v[122:123] op_sel_hi:[1,1,0] neg_lo:[0,0,1] neg_hi:[0,0,1]
	v_mul_f32_e32 v120, v121, v108
	s_delay_alu instid0(VALU_DEP_3) | instskip(NEXT) | instid1(VALU_DEP_2)
	v_pk_add_f32 v[54:55], v[54:55], v[124:125] neg_lo:[0,1] neg_hi:[0,1]
	v_pk_fma_f32 v[118:119], v[118:119], v[36:37], v[120:121] op_sel_hi:[1,1,0]
	s_delay_alu instid0(VALU_DEP_1) | instskip(SKIP_4) | instid1(VALU_DEP_1)
	v_mov_b32_e32 v123, v119
	ds_load_2addr_b64 v[118:121], v112 offset0:37 offset1:38
	v_pk_add_f32 v[94:95], v[94:95], v[122:123] neg_lo:[0,1] neg_hi:[0,1]
	s_wait_dscnt 0x0
	v_pk_mul_f32 v[122:123], v[118:119], v[110:111] op_sel:[0,1]
	v_pk_fma_f32 v[124:125], v[118:119], v[108:109], v[122:123] op_sel:[0,0,1] op_sel_hi:[1,1,0] neg_lo:[0,0,1] neg_hi:[0,0,1]
	v_pk_fma_f32 v[118:119], v[118:119], v[108:109], v[122:123] op_sel:[0,0,1] op_sel_hi:[1,0,0]
	s_delay_alu instid0(VALU_DEP_1) | instskip(SKIP_1) | instid1(VALU_DEP_1)
	v_mov_b32_e32 v125, v119
	v_pk_mul_f32 v[118:119], v[120:121], v[110:111] op_sel:[0,1]
	v_pk_fma_f32 v[122:123], v[120:121], v[108:109], v[118:119] op_sel:[0,0,1] op_sel_hi:[1,1,0] neg_lo:[0,0,1] neg_hi:[0,0,1]
	v_pk_fma_f32 v[118:119], v[120:121], v[108:109], v[118:119] op_sel:[0,0,1] op_sel_hi:[1,0,0]
	s_delay_alu instid0(VALU_DEP_1)
	v_mov_b32_e32 v123, v119
	ds_load_2addr_b64 v[118:121], v112 offset0:39 offset1:40
	v_pk_add_f32 v[92:93], v[92:93], v[124:125] neg_lo:[0,1] neg_hi:[0,1]
	v_pk_add_f32 v[66:67], v[66:67], v[122:123] neg_lo:[0,1] neg_hi:[0,1]
	s_wait_dscnt 0x0
	v_pk_mul_f32 v[122:123], v[118:119], v[110:111] op_sel:[0,1]
	s_delay_alu instid0(VALU_DEP_1) | instskip(SKIP_1) | instid1(VALU_DEP_1)
	v_pk_fma_f32 v[124:125], v[118:119], v[108:109], v[122:123] op_sel:[0,0,1] op_sel_hi:[1,1,0] neg_lo:[0,0,1] neg_hi:[0,0,1]
	v_pk_fma_f32 v[118:119], v[118:119], v[108:109], v[122:123] op_sel:[0,0,1] op_sel_hi:[1,0,0]
	v_mov_b32_e32 v125, v119
	v_pk_mul_f32 v[118:119], v[120:121], v[110:111] op_sel:[0,1]
	s_delay_alu instid0(VALU_DEP_1) | instskip(SKIP_1) | instid1(VALU_DEP_1)
	v_pk_fma_f32 v[122:123], v[120:121], v[108:109], v[118:119] op_sel:[0,0,1] op_sel_hi:[1,1,0] neg_lo:[0,0,1] neg_hi:[0,0,1]
	v_pk_fma_f32 v[118:119], v[120:121], v[108:109], v[118:119] op_sel:[0,0,1] op_sel_hi:[1,0,0]
	v_mov_b32_e32 v123, v119
	ds_load_2addr_b64 v[118:121], v112 offset0:41 offset1:42
	v_pk_add_f32 v[64:65], v[64:65], v[124:125] neg_lo:[0,1] neg_hi:[0,1]
	v_pk_add_f32 v[104:105], v[104:105], v[122:123] neg_lo:[0,1] neg_hi:[0,1]
	s_wait_dscnt 0x0
	v_dual_mul_f32 v122, v119, v111 :: v_dual_mul_f32 v124, v119, v108
	s_delay_alu instid0(VALU_DEP_1) | instskip(NEXT) | instid1(VALU_DEP_2)
	v_pk_fma_f32 v[122:123], v[118:119], v[36:37], v[122:123] op_sel_hi:[1,1,0] neg_lo:[0,0,1] neg_hi:[0,0,1]
	v_pk_fma_f32 v[118:119], v[118:119], v[36:37], v[124:125] op_sel:[1,0,0] op_sel_hi:[0,1,0]
	s_delay_alu instid0(VALU_DEP_1) | instskip(SKIP_1) | instid1(VALU_DEP_2)
	v_mov_b32_e32 v123, v119
	v_pk_mul_f32 v[118:119], v[120:121], v[110:111] op_sel:[0,1]
	v_pk_add_f32 v[102:103], v[102:103], v[122:123] neg_lo:[0,1] neg_hi:[0,1]
	s_delay_alu instid0(VALU_DEP_2) | instskip(SKIP_1) | instid1(VALU_DEP_1)
	v_pk_fma_f32 v[122:123], v[120:121], v[108:109], v[118:119] op_sel:[0,0,1] op_sel_hi:[1,1,0] neg_lo:[0,0,1] neg_hi:[0,0,1]
	v_pk_fma_f32 v[118:119], v[120:121], v[108:109], v[118:119] op_sel:[0,0,1] op_sel_hi:[1,0,0]
	v_mov_b32_e32 v123, v119
	ds_load_2addr_b64 v[118:121], v112 offset0:43 offset1:44
	v_pk_add_f32 v[76:77], v[76:77], v[122:123] neg_lo:[0,1] neg_hi:[0,1]
	s_wait_dscnt 0x0
	v_pk_mul_f32 v[122:123], v[118:119], v[110:111] op_sel:[0,1]
	s_delay_alu instid0(VALU_DEP_1) | instskip(SKIP_1) | instid1(VALU_DEP_1)
	v_pk_fma_f32 v[124:125], v[118:119], v[108:109], v[122:123] op_sel:[0,0,1] op_sel_hi:[1,1,0] neg_lo:[0,0,1] neg_hi:[0,0,1]
	v_pk_fma_f32 v[118:119], v[118:119], v[108:109], v[122:123] op_sel:[0,0,1] op_sel_hi:[1,0,0]
	v_mov_b32_e32 v125, v119
	v_pk_mul_f32 v[118:119], v[120:121], v[110:111] op_sel:[0,1]
	s_delay_alu instid0(VALU_DEP_2) | instskip(NEXT) | instid1(VALU_DEP_2)
	v_pk_add_f32 v[74:75], v[74:75], v[124:125] neg_lo:[0,1] neg_hi:[0,1]
	v_pk_fma_f32 v[122:123], v[120:121], v[108:109], v[118:119] op_sel:[0,0,1] op_sel_hi:[1,1,0] neg_lo:[0,0,1] neg_hi:[0,0,1]
	v_pk_fma_f32 v[118:119], v[120:121], v[108:109], v[118:119] op_sel:[0,0,1] op_sel_hi:[1,0,0]
	s_delay_alu instid0(VALU_DEP_1) | instskip(SKIP_4) | instid1(VALU_DEP_1)
	v_mov_b32_e32 v123, v119
	ds_load_2addr_b64 v[118:121], v112 offset0:45 offset1:46
	v_pk_add_f32 v[98:99], v[98:99], v[122:123] neg_lo:[0,1] neg_hi:[0,1]
	s_wait_dscnt 0x0
	v_pk_mul_f32 v[122:123], v[118:119], v[110:111] op_sel:[0,1]
	v_pk_fma_f32 v[124:125], v[118:119], v[108:109], v[122:123] op_sel:[0,0,1] op_sel_hi:[1,1,0] neg_lo:[0,0,1] neg_hi:[0,0,1]
	v_pk_fma_f32 v[118:119], v[118:119], v[108:109], v[122:123] op_sel:[0,0,1] op_sel_hi:[1,0,0]
	v_dual_mul_f32 v122, v121, v111 :: v_dual_mov_b32 v118, v121
	s_delay_alu instid0(VALU_DEP_2) | instskip(NEXT) | instid1(VALU_DEP_2)
	v_dual_mov_b32 v125, v119 :: v_dual_mov_b32 v119, v120
	v_pk_fma_f32 v[122:123], v[120:121], v[36:37], v[122:123] op_sel_hi:[1,1,0] neg_lo:[0,0,1] neg_hi:[0,0,1]
	v_mul_f32_e32 v120, v121, v108
	s_delay_alu instid0(VALU_DEP_3) | instskip(NEXT) | instid1(VALU_DEP_2)
	v_pk_add_f32 v[96:97], v[96:97], v[124:125] neg_lo:[0,1] neg_hi:[0,1]
	v_pk_fma_f32 v[118:119], v[118:119], v[36:37], v[120:121] op_sel_hi:[1,1,0]
	s_delay_alu instid0(VALU_DEP_1) | instskip(SKIP_4) | instid1(VALU_DEP_1)
	v_mov_b32_e32 v123, v119
	ds_load_2addr_b64 v[118:121], v112 offset0:47 offset1:48
	v_pk_add_f32 v[80:81], v[80:81], v[122:123] neg_lo:[0,1] neg_hi:[0,1]
	s_wait_dscnt 0x0
	v_pk_mul_f32 v[122:123], v[118:119], v[110:111] op_sel:[0,1]
	v_pk_fma_f32 v[124:125], v[118:119], v[108:109], v[122:123] op_sel:[0,0,1] op_sel_hi:[1,1,0] neg_lo:[0,0,1] neg_hi:[0,0,1]
	v_pk_fma_f32 v[118:119], v[118:119], v[108:109], v[122:123] op_sel:[0,0,1] op_sel_hi:[1,0,0]
	s_delay_alu instid0(VALU_DEP_1) | instskip(SKIP_1) | instid1(VALU_DEP_1)
	v_mov_b32_e32 v125, v119
	v_pk_mul_f32 v[118:119], v[120:121], v[110:111] op_sel:[0,1]
	v_pk_fma_f32 v[122:123], v[120:121], v[108:109], v[118:119] op_sel:[0,0,1] op_sel_hi:[1,1,0] neg_lo:[0,0,1] neg_hi:[0,0,1]
	v_pk_fma_f32 v[118:119], v[120:121], v[108:109], v[118:119] op_sel:[0,0,1] op_sel_hi:[1,0,0]
	s_delay_alu instid0(VALU_DEP_1)
	v_mov_b32_e32 v123, v119
	ds_load_2addr_b64 v[118:121], v112 offset0:49 offset1:50
	v_pk_add_f32 v[78:79], v[78:79], v[124:125] neg_lo:[0,1] neg_hi:[0,1]
	v_pk_add_f32 v[88:89], v[88:89], v[122:123] neg_lo:[0,1] neg_hi:[0,1]
	s_wait_dscnt 0x0
	v_pk_mul_f32 v[122:123], v[118:119], v[110:111] op_sel:[0,1]
	v_pk_mul_f32 v[110:111], v[120:121], v[110:111] op_sel:[0,1]
	s_delay_alu instid0(VALU_DEP_2) | instskip(SKIP_1) | instid1(VALU_DEP_1)
	v_pk_fma_f32 v[124:125], v[118:119], v[108:109], v[122:123] op_sel:[0,0,1] op_sel_hi:[1,1,0] neg_lo:[0,0,1] neg_hi:[0,0,1]
	v_pk_fma_f32 v[118:119], v[118:119], v[108:109], v[122:123] op_sel:[0,0,1] op_sel_hi:[1,0,0]
	v_mov_b32_e32 v125, v119
	s_delay_alu instid0(VALU_DEP_4) | instskip(SKIP_1) | instid1(VALU_DEP_1)
	v_pk_fma_f32 v[118:119], v[120:121], v[108:109], v[110:111] op_sel:[0,0,1] op_sel_hi:[1,1,0] neg_lo:[0,0,1] neg_hi:[0,0,1]
	v_pk_fma_f32 v[108:109], v[120:121], v[108:109], v[110:111] op_sel:[0,0,1] op_sel_hi:[1,0,0]
	v_mov_b32_e32 v119, v109
	s_delay_alu instid0(VALU_DEP_4) | instskip(NEXT) | instid1(VALU_DEP_2)
	v_pk_add_f32 v[86:87], v[86:87], v[124:125] neg_lo:[0,1] neg_hi:[0,1]
	v_pk_add_f32 v[106:107], v[106:107], v[118:119] neg_lo:[0,1] neg_hi:[0,1]
.LBB100_272:
	s_or_b32 exec_lo, exec_lo, s0
	v_lshl_add_u32 v108, v116, 3, v112
	s_barrier_signal -1
	s_barrier_wait -1
	ds_store_b64 v108, v[34:35]
	s_wait_dscnt 0x0
	s_barrier_signal -1
	s_barrier_wait -1
	ds_load_b64 v[110:111], v112 offset:104
	v_mov_b32_e32 v108, 13
	s_cmp_lt_i32 s18, 15
	s_cbranch_scc1 .LBB100_275
; %bb.273:
	v_add3_u32 v109, v113, 0, 0x70
	v_mov_b32_e32 v108, 13
	s_mov_b32 s0, 14
.LBB100_274:                            ; =>This Inner Loop Header: Depth=1
	ds_load_b64 v[118:119], v109
	s_wait_dscnt 0x1
	v_cmp_gt_f32_e32 vcc_lo, 0, v110
	v_cndmask_b32_e64 v120, v110, -v110, vcc_lo
	v_cmp_gt_f32_e32 vcc_lo, 0, v111
	v_cndmask_b32_e64 v122, v111, -v111, vcc_lo
	s_wait_dscnt 0x0
	v_cmp_gt_f32_e32 vcc_lo, 0, v118
	v_cndmask_b32_e64 v121, v118, -v118, vcc_lo
	v_cmp_gt_f32_e32 vcc_lo, 0, v119
	v_cndmask_b32_e64 v123, v119, -v119, vcc_lo
	s_delay_alu instid0(VALU_DEP_1) | instskip(NEXT) | instid1(VALU_DEP_1)
	v_pk_add_f32 v[120:121], v[120:121], v[122:123]
	v_cmp_lt_f32_e32 vcc_lo, v120, v121
	v_dual_add_nc_u32 v109, 8, v109 :: v_dual_cndmask_b32 v111, v111, v119, vcc_lo
	v_cndmask_b32_e32 v110, v110, v118, vcc_lo
	v_cndmask_b32_e64 v108, v108, s0, vcc_lo
	s_add_co_i32 s0, s0, 1
	s_delay_alu instid0(SALU_CYCLE_1)
	s_cmp_lg_u32 s18, s0
	s_cbranch_scc1 .LBB100_274
.LBB100_275:
	s_wait_dscnt 0x0
	v_cmp_eq_f32_e32 vcc_lo, 0, v110
	v_cmp_eq_f32_e64 s0, 0, v111
	s_and_b32 s0, vcc_lo, s0
	s_delay_alu instid0(SALU_CYCLE_1) | instskip(NEXT) | instid1(SALU_CYCLE_1)
	s_and_saveexec_b32 s1, s0
	s_xor_b32 s0, exec_lo, s1
; %bb.276:
	v_cmp_ne_u32_e32 vcc_lo, 0, v114
	v_cndmask_b32_e32 v114, 14, v114, vcc_lo
; %bb.277:
	s_and_not1_saveexec_b32 s0, s0
	s_cbranch_execz .LBB100_283
; %bb.278:
	v_cmp_ngt_f32_e64 s1, |v110|, |v111|
	s_and_saveexec_b32 s12, s1
	s_delay_alu instid0(SALU_CYCLE_1)
	s_xor_b32 s1, exec_lo, s12
	s_cbranch_execz .LBB100_280
; %bb.279:
	v_div_scale_f32 v109, null, v111, v111, v110
	v_div_scale_f32 v119, vcc_lo, v110, v111, v110
	s_delay_alu instid0(VALU_DEP_2) | instskip(SKIP_1) | instid1(TRANS32_DEP_1)
	v_rcp_f32_e32 v117, v109
	v_nop
	v_fma_f32 v118, -v109, v117, 1.0
	s_delay_alu instid0(VALU_DEP_1) | instskip(NEXT) | instid1(VALU_DEP_1)
	v_fmac_f32_e32 v117, v118, v117
	v_mul_f32_e32 v118, v119, v117
	s_delay_alu instid0(VALU_DEP_1) | instskip(NEXT) | instid1(VALU_DEP_1)
	v_fma_f32 v120, -v109, v118, v119
	v_fmac_f32_e32 v118, v120, v117
	s_delay_alu instid0(VALU_DEP_1) | instskip(NEXT) | instid1(VALU_DEP_1)
	v_fma_f32 v109, -v109, v118, v119
	v_div_fmas_f32 v109, v109, v117, v118
	s_delay_alu instid0(VALU_DEP_1) | instskip(NEXT) | instid1(VALU_DEP_1)
	v_div_fixup_f32 v109, v109, v111, v110
	v_fmac_f32_e32 v111, v110, v109
	s_delay_alu instid0(VALU_DEP_1) | instskip(SKIP_1) | instid1(VALU_DEP_2)
	v_div_scale_f32 v110, null, v111, v111, 1.0
	v_div_scale_f32 v119, vcc_lo, 1.0, v111, 1.0
	v_rcp_f32_e32 v117, v110
	v_nop
	s_delay_alu instid0(TRANS32_DEP_1) | instskip(NEXT) | instid1(VALU_DEP_1)
	v_fma_f32 v118, -v110, v117, 1.0
	v_fmac_f32_e32 v117, v118, v117
	s_delay_alu instid0(VALU_DEP_1) | instskip(NEXT) | instid1(VALU_DEP_1)
	v_mul_f32_e32 v118, v119, v117
	v_fma_f32 v120, -v110, v118, v119
	s_delay_alu instid0(VALU_DEP_1) | instskip(NEXT) | instid1(VALU_DEP_1)
	v_fmac_f32_e32 v118, v120, v117
	v_fma_f32 v110, -v110, v118, v119
	s_delay_alu instid0(VALU_DEP_1) | instskip(NEXT) | instid1(VALU_DEP_1)
	v_div_fmas_f32 v110, v110, v117, v118
	v_div_fixup_f32 v111, v110, v111, 1.0
	s_delay_alu instid0(VALU_DEP_1)
	v_mul_f32_e32 v110, v109, v111
	v_xor_b32_e32 v111, 0x80000000, v111
.LBB100_280:
	s_and_not1_saveexec_b32 s1, s1
	s_cbranch_execz .LBB100_282
; %bb.281:
	s_delay_alu instid0(VALU_DEP_1) | instskip(SKIP_1) | instid1(VALU_DEP_2)
	v_div_scale_f32 v109, null, v110, v110, v111
	v_div_scale_f32 v119, vcc_lo, v111, v110, v111
	v_rcp_f32_e32 v117, v109
	v_nop
	s_delay_alu instid0(TRANS32_DEP_1) | instskip(NEXT) | instid1(VALU_DEP_1)
	v_fma_f32 v118, -v109, v117, 1.0
	v_fmac_f32_e32 v117, v118, v117
	s_delay_alu instid0(VALU_DEP_1) | instskip(NEXT) | instid1(VALU_DEP_1)
	v_mul_f32_e32 v118, v119, v117
	v_fma_f32 v120, -v109, v118, v119
	s_delay_alu instid0(VALU_DEP_1) | instskip(NEXT) | instid1(VALU_DEP_1)
	v_fmac_f32_e32 v118, v120, v117
	v_fma_f32 v109, -v109, v118, v119
	s_delay_alu instid0(VALU_DEP_1) | instskip(NEXT) | instid1(VALU_DEP_1)
	v_div_fmas_f32 v109, v109, v117, v118
	v_div_fixup_f32 v109, v109, v110, v111
	s_delay_alu instid0(VALU_DEP_1) | instskip(NEXT) | instid1(VALU_DEP_1)
	v_fmac_f32_e32 v110, v111, v109
	v_div_scale_f32 v111, null, v110, v110, 1.0
	s_delay_alu instid0(VALU_DEP_1) | instskip(SKIP_1) | instid1(TRANS32_DEP_1)
	v_rcp_f32_e32 v117, v111
	v_nop
	v_fma_f32 v118, -v111, v117, 1.0
	s_delay_alu instid0(VALU_DEP_1) | instskip(SKIP_1) | instid1(VALU_DEP_1)
	v_fmac_f32_e32 v117, v118, v117
	v_div_scale_f32 v118, vcc_lo, 1.0, v110, 1.0
	v_mul_f32_e32 v119, v118, v117
	s_delay_alu instid0(VALU_DEP_1) | instskip(NEXT) | instid1(VALU_DEP_1)
	v_fma_f32 v120, -v111, v119, v118
	v_fmac_f32_e32 v119, v120, v117
	s_delay_alu instid0(VALU_DEP_1) | instskip(NEXT) | instid1(VALU_DEP_1)
	v_fma_f32 v111, -v111, v119, v118
	v_div_fmas_f32 v111, v111, v117, v119
	s_delay_alu instid0(VALU_DEP_1) | instskip(NEXT) | instid1(VALU_DEP_1)
	v_div_fixup_f32 v110, v111, v110, 1.0
	v_mul_f32_e64 v111, v109, -v110
.LBB100_282:
	s_or_b32 exec_lo, exec_lo, s1
.LBB100_283:
	s_delay_alu instid0(SALU_CYCLE_1) | instskip(NEXT) | instid1(SALU_CYCLE_1)
	s_or_b32 exec_lo, exec_lo, s0
	s_mov_b32 s0, exec_lo
	v_cmpx_ne_u32_e64 v116, v108
	s_xor_b32 s0, exec_lo, s0
	s_cbranch_execz .LBB100_289
; %bb.284:
	s_mov_b32 s1, exec_lo
	v_cmpx_eq_u32_e32 13, v116
	s_cbranch_execz .LBB100_288
; %bb.285:
	v_cmp_ne_u32_e32 vcc_lo, 13, v108
	s_xor_b32 s12, s16, -1
	s_delay_alu instid0(SALU_CYCLE_1) | instskip(NEXT) | instid1(SALU_CYCLE_1)
	s_and_b32 s13, s12, vcc_lo
	s_and_saveexec_b32 s12, s13
	s_cbranch_execz .LBB100_287
; %bb.286:
	v_ashrrev_i32_e32 v109, 31, v108
	s_delay_alu instid0(VALU_DEP_1)
	v_lshl_add_u64 v[116:117], v[108:109], 2, v[4:5]
	s_clause 0x1
	global_load_b32 v109, v[116:117], off
	global_load_b32 v115, v[4:5], off offset:52
	s_wait_loadcnt 0x1
	global_store_b32 v[4:5], v109, off offset:52
	s_wait_loadcnt 0x0
	global_store_b32 v[116:117], v115, off
.LBB100_287:
	s_wait_xcnt 0x0
	s_or_b32 exec_lo, exec_lo, s12
	v_dual_mov_b32 v116, v108 :: v_dual_mov_b32 v115, v108
.LBB100_288:
	s_or_b32 exec_lo, exec_lo, s1
.LBB100_289:
	s_and_not1_saveexec_b32 s0, s0
	s_cbranch_execz .LBB100_291
; %bb.290:
	v_dual_mov_b32 v108, v18 :: v_dual_mov_b32 v109, v19
	v_dual_mov_b32 v116, v14 :: v_dual_mov_b32 v117, v15
	ds_store_2addr_b64 v112, v[108:109], v[116:117] offset0:14 offset1:15
	v_dual_mov_b32 v108, v44 :: v_dual_mov_b32 v109, v45
	v_dual_mov_b32 v116, v42 :: v_dual_mov_b32 v117, v43
	ds_store_2addr_b64 v112, v[108:109], v[116:117] offset0:16 offset1:17
	;; [unrolled: 3-line block ×18, first 2 shown]
	ds_store_b64 v112, v[106:107] offset:400
	v_mov_b32_e32 v116, 13
.LBB100_291:
	s_or_b32 exec_lo, exec_lo, s0
	s_delay_alu instid0(SALU_CYCLE_1)
	s_mov_b32 s0, exec_lo
	s_wait_storecnt_dscnt 0x0
	s_barrier_signal -1
	s_barrier_wait -1
	v_cmpx_lt_i32_e32 13, v116
	s_cbranch_execz .LBB100_293
; %bb.292:
	v_pk_mul_f32 v[118:119], v[110:111], v[34:35] op_sel:[1,1] op_sel_hi:[0,1]
	s_delay_alu instid0(VALU_DEP_1)
	v_pk_fma_f32 v[108:109], v[110:111], v[34:35], v[118:119] op_sel_hi:[1,0,1] neg_lo:[0,0,1] neg_hi:[0,0,1]
	v_pk_fma_f32 v[110:111], v[110:111], v[34:35], v[118:119] op_sel_hi:[1,0,1]
	ds_load_2addr_b64 v[118:121], v112 offset0:14 offset1:15
	v_dual_mov_b32 v34, v108 :: v_dual_mov_b32 v35, v111
	s_wait_dscnt 0x0
	v_pk_mul_f32 v[122:123], v[118:119], v[110:111] op_sel:[0,1]
	s_delay_alu instid0(VALU_DEP_1) | instskip(SKIP_1) | instid1(VALU_DEP_1)
	v_pk_fma_f32 v[124:125], v[118:119], v[108:109], v[122:123] op_sel:[0,0,1] op_sel_hi:[1,1,0] neg_lo:[0,0,1] neg_hi:[0,0,1]
	v_pk_fma_f32 v[118:119], v[118:119], v[108:109], v[122:123] op_sel:[0,0,1] op_sel_hi:[1,0,0]
	v_mov_b32_e32 v125, v119
	v_pk_mul_f32 v[118:119], v[120:121], v[110:111] op_sel:[0,1]
	s_delay_alu instid0(VALU_DEP_1) | instskip(SKIP_1) | instid1(VALU_DEP_1)
	v_pk_fma_f32 v[122:123], v[120:121], v[108:109], v[118:119] op_sel:[0,0,1] op_sel_hi:[1,1,0] neg_lo:[0,0,1] neg_hi:[0,0,1]
	v_pk_fma_f32 v[118:119], v[120:121], v[108:109], v[118:119] op_sel:[0,0,1] op_sel_hi:[1,0,0]
	v_mov_b32_e32 v123, v119
	ds_load_2addr_b64 v[118:121], v112 offset0:16 offset1:17
	v_pk_add_f32 v[18:19], v[18:19], v[124:125] neg_lo:[0,1] neg_hi:[0,1]
	v_pk_add_f32 v[14:15], v[14:15], v[122:123] neg_lo:[0,1] neg_hi:[0,1]
	s_wait_dscnt 0x0
	v_pk_mul_f32 v[122:123], v[118:119], v[110:111] op_sel:[0,1]
	s_delay_alu instid0(VALU_DEP_1) | instskip(SKIP_2) | instid1(VALU_DEP_2)
	v_pk_fma_f32 v[124:125], v[118:119], v[108:109], v[122:123] op_sel:[0,0,1] op_sel_hi:[1,1,0] neg_lo:[0,0,1] neg_hi:[0,0,1]
	v_pk_fma_f32 v[118:119], v[118:119], v[108:109], v[122:123] op_sel:[0,0,1] op_sel_hi:[1,0,0]
	v_dual_mul_f32 v122, v121, v111 :: v_dual_mov_b32 v118, v121
	v_dual_mov_b32 v125, v119 :: v_dual_mov_b32 v119, v120
	s_delay_alu instid0(VALU_DEP_2) | instskip(SKIP_1) | instid1(VALU_DEP_3)
	v_pk_fma_f32 v[122:123], v[120:121], v[34:35], v[122:123] op_sel_hi:[1,1,0] neg_lo:[0,0,1] neg_hi:[0,0,1]
	v_mul_f32_e32 v120, v121, v108
	v_pk_add_f32 v[44:45], v[44:45], v[124:125] neg_lo:[0,1] neg_hi:[0,1]
	s_delay_alu instid0(VALU_DEP_2) | instskip(NEXT) | instid1(VALU_DEP_1)
	v_pk_fma_f32 v[118:119], v[118:119], v[34:35], v[120:121] op_sel_hi:[1,1,0]
	v_mov_b32_e32 v123, v119
	ds_load_2addr_b64 v[118:121], v112 offset0:18 offset1:19
	v_pk_add_f32 v[42:43], v[42:43], v[122:123] neg_lo:[0,1] neg_hi:[0,1]
	s_wait_dscnt 0x0
	v_pk_mul_f32 v[122:123], v[118:119], v[110:111] op_sel:[0,1]
	s_delay_alu instid0(VALU_DEP_1) | instskip(SKIP_1) | instid1(VALU_DEP_1)
	v_pk_fma_f32 v[124:125], v[118:119], v[108:109], v[122:123] op_sel:[0,0,1] op_sel_hi:[1,1,0] neg_lo:[0,0,1] neg_hi:[0,0,1]
	v_pk_fma_f32 v[118:119], v[118:119], v[108:109], v[122:123] op_sel:[0,0,1] op_sel_hi:[1,0,0]
	v_mov_b32_e32 v125, v119
	v_pk_mul_f32 v[118:119], v[120:121], v[110:111] op_sel:[0,1]
	s_delay_alu instid0(VALU_DEP_1) | instskip(SKIP_1) | instid1(VALU_DEP_1)
	v_pk_fma_f32 v[122:123], v[120:121], v[108:109], v[118:119] op_sel:[0,0,1] op_sel_hi:[1,1,0] neg_lo:[0,0,1] neg_hi:[0,0,1]
	v_pk_fma_f32 v[118:119], v[120:121], v[108:109], v[118:119] op_sel:[0,0,1] op_sel_hi:[1,0,0]
	v_mov_b32_e32 v123, v119
	ds_load_2addr_b64 v[118:121], v112 offset0:20 offset1:21
	v_pk_add_f32 v[22:23], v[22:23], v[124:125] neg_lo:[0,1] neg_hi:[0,1]
	v_pk_add_f32 v[20:21], v[20:21], v[122:123] neg_lo:[0,1] neg_hi:[0,1]
	s_wait_dscnt 0x0
	v_pk_mul_f32 v[122:123], v[118:119], v[110:111] op_sel:[0,1]
	s_delay_alu instid0(VALU_DEP_1) | instskip(SKIP_1) | instid1(VALU_DEP_1)
	v_pk_fma_f32 v[124:125], v[118:119], v[108:109], v[122:123] op_sel:[0,0,1] op_sel_hi:[1,1,0] neg_lo:[0,0,1] neg_hi:[0,0,1]
	v_pk_fma_f32 v[118:119], v[118:119], v[108:109], v[122:123] op_sel:[0,0,1] op_sel_hi:[1,0,0]
	v_mov_b32_e32 v125, v119
	v_pk_mul_f32 v[118:119], v[120:121], v[110:111] op_sel:[0,1]
	s_delay_alu instid0(VALU_DEP_1) | instskip(SKIP_1) | instid1(VALU_DEP_1)
	v_pk_fma_f32 v[122:123], v[120:121], v[108:109], v[118:119] op_sel:[0,0,1] op_sel_hi:[1,1,0] neg_lo:[0,0,1] neg_hi:[0,0,1]
	v_pk_fma_f32 v[118:119], v[120:121], v[108:109], v[118:119] op_sel:[0,0,1] op_sel_hi:[1,0,0]
	v_mov_b32_e32 v123, v119
	ds_load_2addr_b64 v[118:121], v112 offset0:22 offset1:23
	v_pk_add_f32 v[52:53], v[52:53], v[124:125] neg_lo:[0,1] neg_hi:[0,1]
	v_pk_add_f32 v[50:51], v[50:51], v[122:123] neg_lo:[0,1] neg_hi:[0,1]
	s_wait_dscnt 0x0
	v_dual_mul_f32 v122, v119, v111 :: v_dual_mul_f32 v124, v119, v108
	s_delay_alu instid0(VALU_DEP_1) | instskip(NEXT) | instid1(VALU_DEP_2)
	v_pk_fma_f32 v[122:123], v[118:119], v[34:35], v[122:123] op_sel_hi:[1,1,0] neg_lo:[0,0,1] neg_hi:[0,0,1]
	v_pk_fma_f32 v[118:119], v[118:119], v[34:35], v[124:125] op_sel:[1,0,0] op_sel_hi:[0,1,0]
	s_delay_alu instid0(VALU_DEP_1) | instskip(SKIP_1) | instid1(VALU_DEP_2)
	v_mov_b32_e32 v123, v119
	v_pk_mul_f32 v[118:119], v[120:121], v[110:111] op_sel:[0,1]
	v_pk_add_f32 v[32:33], v[32:33], v[122:123] neg_lo:[0,1] neg_hi:[0,1]
	s_delay_alu instid0(VALU_DEP_2) | instskip(SKIP_1) | instid1(VALU_DEP_1)
	v_pk_fma_f32 v[122:123], v[120:121], v[108:109], v[118:119] op_sel:[0,0,1] op_sel_hi:[1,1,0] neg_lo:[0,0,1] neg_hi:[0,0,1]
	v_pk_fma_f32 v[118:119], v[120:121], v[108:109], v[118:119] op_sel:[0,0,1] op_sel_hi:[1,0,0]
	v_mov_b32_e32 v123, v119
	ds_load_2addr_b64 v[118:121], v112 offset0:24 offset1:25
	v_pk_add_f32 v[30:31], v[30:31], v[122:123] neg_lo:[0,1] neg_hi:[0,1]
	s_wait_dscnt 0x0
	v_pk_mul_f32 v[122:123], v[118:119], v[110:111] op_sel:[0,1]
	s_delay_alu instid0(VALU_DEP_1) | instskip(SKIP_1) | instid1(VALU_DEP_1)
	v_pk_fma_f32 v[124:125], v[118:119], v[108:109], v[122:123] op_sel:[0,0,1] op_sel_hi:[1,1,0] neg_lo:[0,0,1] neg_hi:[0,0,1]
	v_pk_fma_f32 v[118:119], v[118:119], v[108:109], v[122:123] op_sel:[0,0,1] op_sel_hi:[1,0,0]
	v_mov_b32_e32 v125, v119
	v_pk_mul_f32 v[118:119], v[120:121], v[110:111] op_sel:[0,1]
	s_delay_alu instid0(VALU_DEP_2) | instskip(NEXT) | instid1(VALU_DEP_2)
	v_pk_add_f32 v[62:63], v[62:63], v[124:125] neg_lo:[0,1] neg_hi:[0,1]
	v_pk_fma_f32 v[122:123], v[120:121], v[108:109], v[118:119] op_sel:[0,0,1] op_sel_hi:[1,1,0] neg_lo:[0,0,1] neg_hi:[0,0,1]
	v_pk_fma_f32 v[118:119], v[120:121], v[108:109], v[118:119] op_sel:[0,0,1] op_sel_hi:[1,0,0]
	s_delay_alu instid0(VALU_DEP_1) | instskip(SKIP_4) | instid1(VALU_DEP_1)
	v_mov_b32_e32 v123, v119
	ds_load_2addr_b64 v[118:121], v112 offset0:26 offset1:27
	v_pk_add_f32 v[60:61], v[60:61], v[122:123] neg_lo:[0,1] neg_hi:[0,1]
	s_wait_dscnt 0x0
	v_pk_mul_f32 v[122:123], v[118:119], v[110:111] op_sel:[0,1]
	v_pk_fma_f32 v[124:125], v[118:119], v[108:109], v[122:123] op_sel:[0,0,1] op_sel_hi:[1,1,0] neg_lo:[0,0,1] neg_hi:[0,0,1]
	v_pk_fma_f32 v[118:119], v[118:119], v[108:109], v[122:123] op_sel:[0,0,1] op_sel_hi:[1,0,0]
	v_dual_mul_f32 v122, v121, v111 :: v_dual_mov_b32 v118, v121
	s_delay_alu instid0(VALU_DEP_2) | instskip(NEXT) | instid1(VALU_DEP_2)
	v_dual_mov_b32 v125, v119 :: v_dual_mov_b32 v119, v120
	v_pk_fma_f32 v[122:123], v[120:121], v[34:35], v[122:123] op_sel_hi:[1,1,0] neg_lo:[0,0,1] neg_hi:[0,0,1]
	v_mul_f32_e32 v120, v121, v108
	s_delay_alu instid0(VALU_DEP_3) | instskip(NEXT) | instid1(VALU_DEP_2)
	v_pk_add_f32 v[40:41], v[40:41], v[124:125] neg_lo:[0,1] neg_hi:[0,1]
	v_pk_fma_f32 v[118:119], v[118:119], v[34:35], v[120:121] op_sel_hi:[1,1,0]
	s_delay_alu instid0(VALU_DEP_1) | instskip(SKIP_4) | instid1(VALU_DEP_1)
	v_mov_b32_e32 v123, v119
	ds_load_2addr_b64 v[118:121], v112 offset0:28 offset1:29
	v_pk_add_f32 v[38:39], v[38:39], v[122:123] neg_lo:[0,1] neg_hi:[0,1]
	s_wait_dscnt 0x0
	v_pk_mul_f32 v[122:123], v[118:119], v[110:111] op_sel:[0,1]
	v_pk_fma_f32 v[124:125], v[118:119], v[108:109], v[122:123] op_sel:[0,0,1] op_sel_hi:[1,1,0] neg_lo:[0,0,1] neg_hi:[0,0,1]
	v_pk_fma_f32 v[118:119], v[118:119], v[108:109], v[122:123] op_sel:[0,0,1] op_sel_hi:[1,0,0]
	s_delay_alu instid0(VALU_DEP_1) | instskip(SKIP_1) | instid1(VALU_DEP_1)
	v_mov_b32_e32 v125, v119
	v_pk_mul_f32 v[118:119], v[120:121], v[110:111] op_sel:[0,1]
	v_pk_fma_f32 v[122:123], v[120:121], v[108:109], v[118:119] op_sel:[0,0,1] op_sel_hi:[1,1,0] neg_lo:[0,0,1] neg_hi:[0,0,1]
	v_pk_fma_f32 v[118:119], v[120:121], v[108:109], v[118:119] op_sel:[0,0,1] op_sel_hi:[1,0,0]
	s_delay_alu instid0(VALU_DEP_1)
	v_mov_b32_e32 v123, v119
	ds_load_2addr_b64 v[118:121], v112 offset0:30 offset1:31
	v_pk_add_f32 v[70:71], v[70:71], v[124:125] neg_lo:[0,1] neg_hi:[0,1]
	v_pk_add_f32 v[68:69], v[68:69], v[122:123] neg_lo:[0,1] neg_hi:[0,1]
	s_wait_dscnt 0x0
	v_pk_mul_f32 v[122:123], v[118:119], v[110:111] op_sel:[0,1]
	s_delay_alu instid0(VALU_DEP_1) | instskip(SKIP_1) | instid1(VALU_DEP_1)
	v_pk_fma_f32 v[124:125], v[118:119], v[108:109], v[122:123] op_sel:[0,0,1] op_sel_hi:[1,1,0] neg_lo:[0,0,1] neg_hi:[0,0,1]
	v_pk_fma_f32 v[118:119], v[118:119], v[108:109], v[122:123] op_sel:[0,0,1] op_sel_hi:[1,0,0]
	v_mov_b32_e32 v125, v119
	v_pk_mul_f32 v[118:119], v[120:121], v[110:111] op_sel:[0,1]
	s_delay_alu instid0(VALU_DEP_1) | instskip(SKIP_1) | instid1(VALU_DEP_1)
	v_pk_fma_f32 v[122:123], v[120:121], v[108:109], v[118:119] op_sel:[0,0,1] op_sel_hi:[1,1,0] neg_lo:[0,0,1] neg_hi:[0,0,1]
	v_pk_fma_f32 v[118:119], v[120:121], v[108:109], v[118:119] op_sel:[0,0,1] op_sel_hi:[1,0,0]
	v_mov_b32_e32 v123, v119
	ds_load_2addr_b64 v[118:121], v112 offset0:32 offset1:33
	v_pk_add_f32 v[48:49], v[48:49], v[124:125] neg_lo:[0,1] neg_hi:[0,1]
	v_pk_add_f32 v[46:47], v[46:47], v[122:123] neg_lo:[0,1] neg_hi:[0,1]
	s_wait_dscnt 0x0
	v_dual_mul_f32 v122, v119, v111 :: v_dual_mul_f32 v124, v119, v108
	s_delay_alu instid0(VALU_DEP_1) | instskip(NEXT) | instid1(VALU_DEP_2)
	v_pk_fma_f32 v[122:123], v[118:119], v[34:35], v[122:123] op_sel_hi:[1,1,0] neg_lo:[0,0,1] neg_hi:[0,0,1]
	v_pk_fma_f32 v[118:119], v[118:119], v[34:35], v[124:125] op_sel:[1,0,0] op_sel_hi:[0,1,0]
	s_delay_alu instid0(VALU_DEP_1) | instskip(SKIP_1) | instid1(VALU_DEP_2)
	v_mov_b32_e32 v123, v119
	v_pk_mul_f32 v[118:119], v[120:121], v[110:111] op_sel:[0,1]
	v_pk_add_f32 v[84:85], v[84:85], v[122:123] neg_lo:[0,1] neg_hi:[0,1]
	s_delay_alu instid0(VALU_DEP_2) | instskip(SKIP_1) | instid1(VALU_DEP_1)
	v_pk_fma_f32 v[122:123], v[120:121], v[108:109], v[118:119] op_sel:[0,0,1] op_sel_hi:[1,1,0] neg_lo:[0,0,1] neg_hi:[0,0,1]
	v_pk_fma_f32 v[118:119], v[120:121], v[108:109], v[118:119] op_sel:[0,0,1] op_sel_hi:[1,0,0]
	v_mov_b32_e32 v123, v119
	ds_load_2addr_b64 v[118:121], v112 offset0:34 offset1:35
	v_pk_add_f32 v[82:83], v[82:83], v[122:123] neg_lo:[0,1] neg_hi:[0,1]
	s_wait_dscnt 0x0
	v_pk_mul_f32 v[122:123], v[118:119], v[110:111] op_sel:[0,1]
	s_delay_alu instid0(VALU_DEP_1) | instskip(SKIP_1) | instid1(VALU_DEP_1)
	v_pk_fma_f32 v[124:125], v[118:119], v[108:109], v[122:123] op_sel:[0,0,1] op_sel_hi:[1,1,0] neg_lo:[0,0,1] neg_hi:[0,0,1]
	v_pk_fma_f32 v[118:119], v[118:119], v[108:109], v[122:123] op_sel:[0,0,1] op_sel_hi:[1,0,0]
	v_mov_b32_e32 v125, v119
	v_pk_mul_f32 v[118:119], v[120:121], v[110:111] op_sel:[0,1]
	s_delay_alu instid0(VALU_DEP_2) | instskip(NEXT) | instid1(VALU_DEP_2)
	v_pk_add_f32 v[56:57], v[56:57], v[124:125] neg_lo:[0,1] neg_hi:[0,1]
	v_pk_fma_f32 v[122:123], v[120:121], v[108:109], v[118:119] op_sel:[0,0,1] op_sel_hi:[1,1,0] neg_lo:[0,0,1] neg_hi:[0,0,1]
	v_pk_fma_f32 v[118:119], v[120:121], v[108:109], v[118:119] op_sel:[0,0,1] op_sel_hi:[1,0,0]
	s_delay_alu instid0(VALU_DEP_1) | instskip(SKIP_4) | instid1(VALU_DEP_1)
	v_mov_b32_e32 v123, v119
	ds_load_2addr_b64 v[118:121], v112 offset0:36 offset1:37
	v_pk_add_f32 v[54:55], v[54:55], v[122:123] neg_lo:[0,1] neg_hi:[0,1]
	s_wait_dscnt 0x0
	v_pk_mul_f32 v[122:123], v[118:119], v[110:111] op_sel:[0,1]
	v_pk_fma_f32 v[124:125], v[118:119], v[108:109], v[122:123] op_sel:[0,0,1] op_sel_hi:[1,1,0] neg_lo:[0,0,1] neg_hi:[0,0,1]
	v_pk_fma_f32 v[118:119], v[118:119], v[108:109], v[122:123] op_sel:[0,0,1] op_sel_hi:[1,0,0]
	v_dual_mul_f32 v122, v121, v111 :: v_dual_mov_b32 v118, v121
	s_delay_alu instid0(VALU_DEP_2) | instskip(NEXT) | instid1(VALU_DEP_2)
	v_dual_mov_b32 v125, v119 :: v_dual_mov_b32 v119, v120
	v_pk_fma_f32 v[122:123], v[120:121], v[34:35], v[122:123] op_sel_hi:[1,1,0] neg_lo:[0,0,1] neg_hi:[0,0,1]
	v_mul_f32_e32 v120, v121, v108
	s_delay_alu instid0(VALU_DEP_3) | instskip(NEXT) | instid1(VALU_DEP_2)
	v_pk_add_f32 v[94:95], v[94:95], v[124:125] neg_lo:[0,1] neg_hi:[0,1]
	v_pk_fma_f32 v[118:119], v[118:119], v[34:35], v[120:121] op_sel_hi:[1,1,0]
	s_delay_alu instid0(VALU_DEP_1) | instskip(SKIP_4) | instid1(VALU_DEP_1)
	v_mov_b32_e32 v123, v119
	ds_load_2addr_b64 v[118:121], v112 offset0:38 offset1:39
	v_pk_add_f32 v[92:93], v[92:93], v[122:123] neg_lo:[0,1] neg_hi:[0,1]
	s_wait_dscnt 0x0
	v_pk_mul_f32 v[122:123], v[118:119], v[110:111] op_sel:[0,1]
	v_pk_fma_f32 v[124:125], v[118:119], v[108:109], v[122:123] op_sel:[0,0,1] op_sel_hi:[1,1,0] neg_lo:[0,0,1] neg_hi:[0,0,1]
	v_pk_fma_f32 v[118:119], v[118:119], v[108:109], v[122:123] op_sel:[0,0,1] op_sel_hi:[1,0,0]
	s_delay_alu instid0(VALU_DEP_1) | instskip(SKIP_1) | instid1(VALU_DEP_1)
	v_mov_b32_e32 v125, v119
	v_pk_mul_f32 v[118:119], v[120:121], v[110:111] op_sel:[0,1]
	v_pk_fma_f32 v[122:123], v[120:121], v[108:109], v[118:119] op_sel:[0,0,1] op_sel_hi:[1,1,0] neg_lo:[0,0,1] neg_hi:[0,0,1]
	v_pk_fma_f32 v[118:119], v[120:121], v[108:109], v[118:119] op_sel:[0,0,1] op_sel_hi:[1,0,0]
	s_delay_alu instid0(VALU_DEP_1)
	v_mov_b32_e32 v123, v119
	ds_load_2addr_b64 v[118:121], v112 offset0:40 offset1:41
	v_pk_add_f32 v[66:67], v[66:67], v[124:125] neg_lo:[0,1] neg_hi:[0,1]
	v_pk_add_f32 v[64:65], v[64:65], v[122:123] neg_lo:[0,1] neg_hi:[0,1]
	s_wait_dscnt 0x0
	v_pk_mul_f32 v[122:123], v[118:119], v[110:111] op_sel:[0,1]
	s_delay_alu instid0(VALU_DEP_1) | instskip(SKIP_1) | instid1(VALU_DEP_1)
	v_pk_fma_f32 v[124:125], v[118:119], v[108:109], v[122:123] op_sel:[0,0,1] op_sel_hi:[1,1,0] neg_lo:[0,0,1] neg_hi:[0,0,1]
	v_pk_fma_f32 v[118:119], v[118:119], v[108:109], v[122:123] op_sel:[0,0,1] op_sel_hi:[1,0,0]
	v_mov_b32_e32 v125, v119
	v_pk_mul_f32 v[118:119], v[120:121], v[110:111] op_sel:[0,1]
	s_delay_alu instid0(VALU_DEP_1) | instskip(SKIP_1) | instid1(VALU_DEP_1)
	v_pk_fma_f32 v[122:123], v[120:121], v[108:109], v[118:119] op_sel:[0,0,1] op_sel_hi:[1,1,0] neg_lo:[0,0,1] neg_hi:[0,0,1]
	v_pk_fma_f32 v[118:119], v[120:121], v[108:109], v[118:119] op_sel:[0,0,1] op_sel_hi:[1,0,0]
	v_mov_b32_e32 v123, v119
	ds_load_2addr_b64 v[118:121], v112 offset0:42 offset1:43
	v_pk_add_f32 v[104:105], v[104:105], v[124:125] neg_lo:[0,1] neg_hi:[0,1]
	v_pk_add_f32 v[102:103], v[102:103], v[122:123] neg_lo:[0,1] neg_hi:[0,1]
	s_wait_dscnt 0x0
	v_dual_mul_f32 v122, v119, v111 :: v_dual_mul_f32 v124, v119, v108
	s_delay_alu instid0(VALU_DEP_1) | instskip(NEXT) | instid1(VALU_DEP_2)
	v_pk_fma_f32 v[122:123], v[118:119], v[34:35], v[122:123] op_sel_hi:[1,1,0] neg_lo:[0,0,1] neg_hi:[0,0,1]
	v_pk_fma_f32 v[118:119], v[118:119], v[34:35], v[124:125] op_sel:[1,0,0] op_sel_hi:[0,1,0]
	s_delay_alu instid0(VALU_DEP_1) | instskip(SKIP_1) | instid1(VALU_DEP_2)
	v_mov_b32_e32 v123, v119
	v_pk_mul_f32 v[118:119], v[120:121], v[110:111] op_sel:[0,1]
	v_pk_add_f32 v[76:77], v[76:77], v[122:123] neg_lo:[0,1] neg_hi:[0,1]
	s_delay_alu instid0(VALU_DEP_2) | instskip(SKIP_1) | instid1(VALU_DEP_1)
	v_pk_fma_f32 v[122:123], v[120:121], v[108:109], v[118:119] op_sel:[0,0,1] op_sel_hi:[1,1,0] neg_lo:[0,0,1] neg_hi:[0,0,1]
	v_pk_fma_f32 v[118:119], v[120:121], v[108:109], v[118:119] op_sel:[0,0,1] op_sel_hi:[1,0,0]
	v_mov_b32_e32 v123, v119
	ds_load_2addr_b64 v[118:121], v112 offset0:44 offset1:45
	v_pk_add_f32 v[74:75], v[74:75], v[122:123] neg_lo:[0,1] neg_hi:[0,1]
	s_wait_dscnt 0x0
	v_pk_mul_f32 v[122:123], v[118:119], v[110:111] op_sel:[0,1]
	s_delay_alu instid0(VALU_DEP_1) | instskip(SKIP_1) | instid1(VALU_DEP_1)
	v_pk_fma_f32 v[124:125], v[118:119], v[108:109], v[122:123] op_sel:[0,0,1] op_sel_hi:[1,1,0] neg_lo:[0,0,1] neg_hi:[0,0,1]
	v_pk_fma_f32 v[118:119], v[118:119], v[108:109], v[122:123] op_sel:[0,0,1] op_sel_hi:[1,0,0]
	v_mov_b32_e32 v125, v119
	v_pk_mul_f32 v[118:119], v[120:121], v[110:111] op_sel:[0,1]
	s_delay_alu instid0(VALU_DEP_2) | instskip(NEXT) | instid1(VALU_DEP_2)
	v_pk_add_f32 v[98:99], v[98:99], v[124:125] neg_lo:[0,1] neg_hi:[0,1]
	v_pk_fma_f32 v[122:123], v[120:121], v[108:109], v[118:119] op_sel:[0,0,1] op_sel_hi:[1,1,0] neg_lo:[0,0,1] neg_hi:[0,0,1]
	v_pk_fma_f32 v[118:119], v[120:121], v[108:109], v[118:119] op_sel:[0,0,1] op_sel_hi:[1,0,0]
	s_delay_alu instid0(VALU_DEP_1) | instskip(SKIP_4) | instid1(VALU_DEP_1)
	v_mov_b32_e32 v123, v119
	ds_load_2addr_b64 v[118:121], v112 offset0:46 offset1:47
	v_pk_add_f32 v[96:97], v[96:97], v[122:123] neg_lo:[0,1] neg_hi:[0,1]
	s_wait_dscnt 0x0
	v_pk_mul_f32 v[122:123], v[118:119], v[110:111] op_sel:[0,1]
	v_pk_fma_f32 v[124:125], v[118:119], v[108:109], v[122:123] op_sel:[0,0,1] op_sel_hi:[1,1,0] neg_lo:[0,0,1] neg_hi:[0,0,1]
	v_pk_fma_f32 v[118:119], v[118:119], v[108:109], v[122:123] op_sel:[0,0,1] op_sel_hi:[1,0,0]
	v_dual_mul_f32 v122, v121, v111 :: v_dual_mov_b32 v118, v121
	s_delay_alu instid0(VALU_DEP_2) | instskip(NEXT) | instid1(VALU_DEP_2)
	v_dual_mov_b32 v125, v119 :: v_dual_mov_b32 v119, v120
	v_pk_fma_f32 v[122:123], v[120:121], v[34:35], v[122:123] op_sel_hi:[1,1,0] neg_lo:[0,0,1] neg_hi:[0,0,1]
	v_mul_f32_e32 v120, v121, v108
	s_delay_alu instid0(VALU_DEP_3) | instskip(NEXT) | instid1(VALU_DEP_2)
	v_pk_add_f32 v[80:81], v[80:81], v[124:125] neg_lo:[0,1] neg_hi:[0,1]
	v_pk_fma_f32 v[118:119], v[118:119], v[34:35], v[120:121] op_sel_hi:[1,1,0]
	s_delay_alu instid0(VALU_DEP_1) | instskip(SKIP_4) | instid1(VALU_DEP_1)
	v_mov_b32_e32 v123, v119
	ds_load_2addr_b64 v[118:121], v112 offset0:48 offset1:49
	v_pk_add_f32 v[78:79], v[78:79], v[122:123] neg_lo:[0,1] neg_hi:[0,1]
	s_wait_dscnt 0x0
	v_pk_mul_f32 v[122:123], v[118:119], v[110:111] op_sel:[0,1]
	v_pk_fma_f32 v[124:125], v[118:119], v[108:109], v[122:123] op_sel:[0,0,1] op_sel_hi:[1,1,0] neg_lo:[0,0,1] neg_hi:[0,0,1]
	v_pk_fma_f32 v[118:119], v[118:119], v[108:109], v[122:123] op_sel:[0,0,1] op_sel_hi:[1,0,0]
	s_delay_alu instid0(VALU_DEP_1) | instskip(SKIP_1) | instid1(VALU_DEP_1)
	v_mov_b32_e32 v125, v119
	v_pk_mul_f32 v[118:119], v[120:121], v[110:111] op_sel:[0,1]
	v_pk_fma_f32 v[122:123], v[120:121], v[108:109], v[118:119] op_sel:[0,0,1] op_sel_hi:[1,1,0] neg_lo:[0,0,1] neg_hi:[0,0,1]
	v_pk_fma_f32 v[118:119], v[120:121], v[108:109], v[118:119] op_sel:[0,0,1] op_sel_hi:[1,0,0]
	s_delay_alu instid0(VALU_DEP_1)
	v_mov_b32_e32 v123, v119
	ds_load_b64 v[118:119], v112 offset:400
	v_pk_add_f32 v[88:89], v[88:89], v[124:125] neg_lo:[0,1] neg_hi:[0,1]
	v_pk_add_f32 v[86:87], v[86:87], v[122:123] neg_lo:[0,1] neg_hi:[0,1]
	s_wait_dscnt 0x0
	v_pk_mul_f32 v[110:111], v[118:119], v[110:111] op_sel:[0,1]
	s_delay_alu instid0(VALU_DEP_1) | instskip(SKIP_1) | instid1(VALU_DEP_1)
	v_pk_fma_f32 v[120:121], v[118:119], v[108:109], v[110:111] op_sel:[0,0,1] op_sel_hi:[1,1,0] neg_lo:[0,0,1] neg_hi:[0,0,1]
	v_pk_fma_f32 v[108:109], v[118:119], v[108:109], v[110:111] op_sel:[0,0,1] op_sel_hi:[1,0,0]
	v_mov_b32_e32 v121, v109
	s_delay_alu instid0(VALU_DEP_1)
	v_pk_add_f32 v[106:107], v[106:107], v[120:121] neg_lo:[0,1] neg_hi:[0,1]
.LBB100_293:
	s_or_b32 exec_lo, exec_lo, s0
	v_lshl_add_u32 v108, v116, 3, v112
	s_barrier_signal -1
	s_barrier_wait -1
	ds_store_b64 v108, v[18:19]
	s_wait_dscnt 0x0
	s_barrier_signal -1
	s_barrier_wait -1
	ds_load_b64 v[110:111], v112 offset:112
	v_mov_b32_e32 v108, 14
	s_cmp_lt_i32 s18, 16
	s_cbranch_scc1 .LBB100_296
; %bb.294:
	v_add3_u32 v109, v113, 0, 0x78
	v_mov_b32_e32 v108, 14
	s_mov_b32 s0, 15
.LBB100_295:                            ; =>This Inner Loop Header: Depth=1
	ds_load_b64 v[118:119], v109
	s_wait_dscnt 0x1
	v_cmp_gt_f32_e32 vcc_lo, 0, v110
	v_cndmask_b32_e64 v120, v110, -v110, vcc_lo
	v_cmp_gt_f32_e32 vcc_lo, 0, v111
	v_cndmask_b32_e64 v122, v111, -v111, vcc_lo
	s_wait_dscnt 0x0
	v_cmp_gt_f32_e32 vcc_lo, 0, v118
	v_cndmask_b32_e64 v121, v118, -v118, vcc_lo
	v_cmp_gt_f32_e32 vcc_lo, 0, v119
	v_cndmask_b32_e64 v123, v119, -v119, vcc_lo
	s_delay_alu instid0(VALU_DEP_1) | instskip(NEXT) | instid1(VALU_DEP_1)
	v_pk_add_f32 v[120:121], v[120:121], v[122:123]
	v_cmp_lt_f32_e32 vcc_lo, v120, v121
	v_dual_add_nc_u32 v109, 8, v109 :: v_dual_cndmask_b32 v111, v111, v119, vcc_lo
	v_cndmask_b32_e32 v110, v110, v118, vcc_lo
	v_cndmask_b32_e64 v108, v108, s0, vcc_lo
	s_add_co_i32 s0, s0, 1
	s_delay_alu instid0(SALU_CYCLE_1)
	s_cmp_lg_u32 s18, s0
	s_cbranch_scc1 .LBB100_295
.LBB100_296:
	s_wait_dscnt 0x0
	v_cmp_eq_f32_e32 vcc_lo, 0, v110
	v_cmp_eq_f32_e64 s0, 0, v111
	s_and_b32 s0, vcc_lo, s0
	s_delay_alu instid0(SALU_CYCLE_1) | instskip(NEXT) | instid1(SALU_CYCLE_1)
	s_and_saveexec_b32 s1, s0
	s_xor_b32 s0, exec_lo, s1
; %bb.297:
	v_cmp_ne_u32_e32 vcc_lo, 0, v114
	v_cndmask_b32_e32 v114, 15, v114, vcc_lo
; %bb.298:
	s_and_not1_saveexec_b32 s0, s0
	s_cbranch_execz .LBB100_304
; %bb.299:
	v_cmp_ngt_f32_e64 s1, |v110|, |v111|
	s_and_saveexec_b32 s12, s1
	s_delay_alu instid0(SALU_CYCLE_1)
	s_xor_b32 s1, exec_lo, s12
	s_cbranch_execz .LBB100_301
; %bb.300:
	v_div_scale_f32 v109, null, v111, v111, v110
	v_div_scale_f32 v119, vcc_lo, v110, v111, v110
	s_delay_alu instid0(VALU_DEP_2) | instskip(SKIP_1) | instid1(TRANS32_DEP_1)
	v_rcp_f32_e32 v117, v109
	v_nop
	v_fma_f32 v118, -v109, v117, 1.0
	s_delay_alu instid0(VALU_DEP_1) | instskip(NEXT) | instid1(VALU_DEP_1)
	v_fmac_f32_e32 v117, v118, v117
	v_mul_f32_e32 v118, v119, v117
	s_delay_alu instid0(VALU_DEP_1) | instskip(NEXT) | instid1(VALU_DEP_1)
	v_fma_f32 v120, -v109, v118, v119
	v_fmac_f32_e32 v118, v120, v117
	s_delay_alu instid0(VALU_DEP_1) | instskip(NEXT) | instid1(VALU_DEP_1)
	v_fma_f32 v109, -v109, v118, v119
	v_div_fmas_f32 v109, v109, v117, v118
	s_delay_alu instid0(VALU_DEP_1) | instskip(NEXT) | instid1(VALU_DEP_1)
	v_div_fixup_f32 v109, v109, v111, v110
	v_fmac_f32_e32 v111, v110, v109
	s_delay_alu instid0(VALU_DEP_1) | instskip(SKIP_1) | instid1(VALU_DEP_2)
	v_div_scale_f32 v110, null, v111, v111, 1.0
	v_div_scale_f32 v119, vcc_lo, 1.0, v111, 1.0
	v_rcp_f32_e32 v117, v110
	v_nop
	s_delay_alu instid0(TRANS32_DEP_1) | instskip(NEXT) | instid1(VALU_DEP_1)
	v_fma_f32 v118, -v110, v117, 1.0
	v_fmac_f32_e32 v117, v118, v117
	s_delay_alu instid0(VALU_DEP_1) | instskip(NEXT) | instid1(VALU_DEP_1)
	v_mul_f32_e32 v118, v119, v117
	v_fma_f32 v120, -v110, v118, v119
	s_delay_alu instid0(VALU_DEP_1) | instskip(NEXT) | instid1(VALU_DEP_1)
	v_fmac_f32_e32 v118, v120, v117
	v_fma_f32 v110, -v110, v118, v119
	s_delay_alu instid0(VALU_DEP_1) | instskip(NEXT) | instid1(VALU_DEP_1)
	v_div_fmas_f32 v110, v110, v117, v118
	v_div_fixup_f32 v111, v110, v111, 1.0
	s_delay_alu instid0(VALU_DEP_1)
	v_mul_f32_e32 v110, v109, v111
	v_xor_b32_e32 v111, 0x80000000, v111
.LBB100_301:
	s_and_not1_saveexec_b32 s1, s1
	s_cbranch_execz .LBB100_303
; %bb.302:
	s_delay_alu instid0(VALU_DEP_1) | instskip(SKIP_1) | instid1(VALU_DEP_2)
	v_div_scale_f32 v109, null, v110, v110, v111
	v_div_scale_f32 v119, vcc_lo, v111, v110, v111
	v_rcp_f32_e32 v117, v109
	v_nop
	s_delay_alu instid0(TRANS32_DEP_1) | instskip(NEXT) | instid1(VALU_DEP_1)
	v_fma_f32 v118, -v109, v117, 1.0
	v_fmac_f32_e32 v117, v118, v117
	s_delay_alu instid0(VALU_DEP_1) | instskip(NEXT) | instid1(VALU_DEP_1)
	v_mul_f32_e32 v118, v119, v117
	v_fma_f32 v120, -v109, v118, v119
	s_delay_alu instid0(VALU_DEP_1) | instskip(NEXT) | instid1(VALU_DEP_1)
	v_fmac_f32_e32 v118, v120, v117
	v_fma_f32 v109, -v109, v118, v119
	s_delay_alu instid0(VALU_DEP_1) | instskip(NEXT) | instid1(VALU_DEP_1)
	v_div_fmas_f32 v109, v109, v117, v118
	v_div_fixup_f32 v109, v109, v110, v111
	s_delay_alu instid0(VALU_DEP_1) | instskip(NEXT) | instid1(VALU_DEP_1)
	v_fmac_f32_e32 v110, v111, v109
	v_div_scale_f32 v111, null, v110, v110, 1.0
	s_delay_alu instid0(VALU_DEP_1) | instskip(SKIP_1) | instid1(TRANS32_DEP_1)
	v_rcp_f32_e32 v117, v111
	v_nop
	v_fma_f32 v118, -v111, v117, 1.0
	s_delay_alu instid0(VALU_DEP_1) | instskip(SKIP_1) | instid1(VALU_DEP_1)
	v_fmac_f32_e32 v117, v118, v117
	v_div_scale_f32 v118, vcc_lo, 1.0, v110, 1.0
	v_mul_f32_e32 v119, v118, v117
	s_delay_alu instid0(VALU_DEP_1) | instskip(NEXT) | instid1(VALU_DEP_1)
	v_fma_f32 v120, -v111, v119, v118
	v_fmac_f32_e32 v119, v120, v117
	s_delay_alu instid0(VALU_DEP_1) | instskip(NEXT) | instid1(VALU_DEP_1)
	v_fma_f32 v111, -v111, v119, v118
	v_div_fmas_f32 v111, v111, v117, v119
	s_delay_alu instid0(VALU_DEP_1) | instskip(NEXT) | instid1(VALU_DEP_1)
	v_div_fixup_f32 v110, v111, v110, 1.0
	v_mul_f32_e64 v111, v109, -v110
.LBB100_303:
	s_or_b32 exec_lo, exec_lo, s1
.LBB100_304:
	s_delay_alu instid0(SALU_CYCLE_1) | instskip(NEXT) | instid1(SALU_CYCLE_1)
	s_or_b32 exec_lo, exec_lo, s0
	s_mov_b32 s0, exec_lo
	v_cmpx_ne_u32_e64 v116, v108
	s_xor_b32 s0, exec_lo, s0
	s_cbranch_execz .LBB100_310
; %bb.305:
	s_mov_b32 s1, exec_lo
	v_cmpx_eq_u32_e32 14, v116
	s_cbranch_execz .LBB100_309
; %bb.306:
	v_cmp_ne_u32_e32 vcc_lo, 14, v108
	s_xor_b32 s12, s16, -1
	s_delay_alu instid0(SALU_CYCLE_1) | instskip(NEXT) | instid1(SALU_CYCLE_1)
	s_and_b32 s13, s12, vcc_lo
	s_and_saveexec_b32 s12, s13
	s_cbranch_execz .LBB100_308
; %bb.307:
	v_ashrrev_i32_e32 v109, 31, v108
	s_delay_alu instid0(VALU_DEP_1)
	v_lshl_add_u64 v[116:117], v[108:109], 2, v[4:5]
	s_clause 0x1
	global_load_b32 v109, v[116:117], off
	global_load_b32 v115, v[4:5], off offset:56
	s_wait_loadcnt 0x1
	global_store_b32 v[4:5], v109, off offset:56
	s_wait_loadcnt 0x0
	global_store_b32 v[116:117], v115, off
.LBB100_308:
	s_wait_xcnt 0x0
	s_or_b32 exec_lo, exec_lo, s12
	v_dual_mov_b32 v116, v108 :: v_dual_mov_b32 v115, v108
.LBB100_309:
	s_or_b32 exec_lo, exec_lo, s1
.LBB100_310:
	s_and_not1_saveexec_b32 s0, s0
	s_cbranch_execz .LBB100_312
; %bb.311:
	v_mov_b32_e32 v116, 14
	ds_store_2addr_b64 v112, v[14:15], v[44:45] offset0:15 offset1:16
	ds_store_2addr_b64 v112, v[42:43], v[22:23] offset0:17 offset1:18
	;; [unrolled: 1-line block ×18, first 2 shown]
.LBB100_312:
	s_or_b32 exec_lo, exec_lo, s0
	s_delay_alu instid0(SALU_CYCLE_1)
	s_mov_b32 s0, exec_lo
	s_wait_storecnt_dscnt 0x0
	s_barrier_signal -1
	s_barrier_wait -1
	v_cmpx_lt_i32_e32 14, v116
	s_cbranch_execz .LBB100_314
; %bb.313:
	v_pk_mul_f32 v[118:119], v[110:111], v[18:19] op_sel:[1,1] op_sel_hi:[0,1]
	s_delay_alu instid0(VALU_DEP_1)
	v_pk_fma_f32 v[108:109], v[110:111], v[18:19], v[118:119] op_sel_hi:[1,0,1] neg_lo:[0,0,1] neg_hi:[0,0,1]
	v_pk_fma_f32 v[110:111], v[110:111], v[18:19], v[118:119] op_sel_hi:[1,0,1]
	ds_load_2addr_b64 v[118:121], v112 offset0:15 offset1:16
	v_dual_mov_b32 v18, v108 :: v_dual_mov_b32 v19, v111
	s_wait_dscnt 0x0
	v_pk_mul_f32 v[122:123], v[118:119], v[110:111] op_sel:[0,1]
	s_delay_alu instid0(VALU_DEP_1) | instskip(SKIP_1) | instid1(VALU_DEP_1)
	v_pk_fma_f32 v[124:125], v[118:119], v[108:109], v[122:123] op_sel:[0,0,1] op_sel_hi:[1,1,0] neg_lo:[0,0,1] neg_hi:[0,0,1]
	v_pk_fma_f32 v[118:119], v[118:119], v[108:109], v[122:123] op_sel:[0,0,1] op_sel_hi:[1,0,0]
	v_mov_b32_e32 v125, v119
	v_pk_mul_f32 v[118:119], v[120:121], v[110:111] op_sel:[0,1]
	s_delay_alu instid0(VALU_DEP_1) | instskip(SKIP_1) | instid1(VALU_DEP_1)
	v_pk_fma_f32 v[122:123], v[120:121], v[108:109], v[118:119] op_sel:[0,0,1] op_sel_hi:[1,1,0] neg_lo:[0,0,1] neg_hi:[0,0,1]
	v_pk_fma_f32 v[118:119], v[120:121], v[108:109], v[118:119] op_sel:[0,0,1] op_sel_hi:[1,0,0]
	v_mov_b32_e32 v123, v119
	ds_load_2addr_b64 v[118:121], v112 offset0:17 offset1:18
	v_pk_add_f32 v[14:15], v[14:15], v[124:125] neg_lo:[0,1] neg_hi:[0,1]
	v_pk_add_f32 v[44:45], v[44:45], v[122:123] neg_lo:[0,1] neg_hi:[0,1]
	s_wait_dscnt 0x0
	v_pk_mul_f32 v[122:123], v[118:119], v[110:111] op_sel:[0,1]
	s_delay_alu instid0(VALU_DEP_1) | instskip(SKIP_2) | instid1(VALU_DEP_2)
	v_pk_fma_f32 v[124:125], v[118:119], v[108:109], v[122:123] op_sel:[0,0,1] op_sel_hi:[1,1,0] neg_lo:[0,0,1] neg_hi:[0,0,1]
	v_pk_fma_f32 v[118:119], v[118:119], v[108:109], v[122:123] op_sel:[0,0,1] op_sel_hi:[1,0,0]
	v_dual_mul_f32 v122, v121, v111 :: v_dual_mov_b32 v118, v121
	v_dual_mov_b32 v125, v119 :: v_dual_mov_b32 v119, v120
	s_delay_alu instid0(VALU_DEP_2) | instskip(SKIP_1) | instid1(VALU_DEP_3)
	v_pk_fma_f32 v[122:123], v[120:121], v[18:19], v[122:123] op_sel_hi:[1,1,0] neg_lo:[0,0,1] neg_hi:[0,0,1]
	v_mul_f32_e32 v120, v121, v108
	v_pk_add_f32 v[42:43], v[42:43], v[124:125] neg_lo:[0,1] neg_hi:[0,1]
	s_delay_alu instid0(VALU_DEP_2) | instskip(NEXT) | instid1(VALU_DEP_1)
	v_pk_fma_f32 v[118:119], v[118:119], v[18:19], v[120:121] op_sel_hi:[1,1,0]
	v_mov_b32_e32 v123, v119
	ds_load_2addr_b64 v[118:121], v112 offset0:19 offset1:20
	v_pk_add_f32 v[22:23], v[22:23], v[122:123] neg_lo:[0,1] neg_hi:[0,1]
	s_wait_dscnt 0x0
	v_pk_mul_f32 v[122:123], v[118:119], v[110:111] op_sel:[0,1]
	s_delay_alu instid0(VALU_DEP_1) | instskip(SKIP_1) | instid1(VALU_DEP_1)
	v_pk_fma_f32 v[124:125], v[118:119], v[108:109], v[122:123] op_sel:[0,0,1] op_sel_hi:[1,1,0] neg_lo:[0,0,1] neg_hi:[0,0,1]
	v_pk_fma_f32 v[118:119], v[118:119], v[108:109], v[122:123] op_sel:[0,0,1] op_sel_hi:[1,0,0]
	v_mov_b32_e32 v125, v119
	v_pk_mul_f32 v[118:119], v[120:121], v[110:111] op_sel:[0,1]
	s_delay_alu instid0(VALU_DEP_1) | instskip(SKIP_1) | instid1(VALU_DEP_1)
	v_pk_fma_f32 v[122:123], v[120:121], v[108:109], v[118:119] op_sel:[0,0,1] op_sel_hi:[1,1,0] neg_lo:[0,0,1] neg_hi:[0,0,1]
	v_pk_fma_f32 v[118:119], v[120:121], v[108:109], v[118:119] op_sel:[0,0,1] op_sel_hi:[1,0,0]
	v_mov_b32_e32 v123, v119
	ds_load_2addr_b64 v[118:121], v112 offset0:21 offset1:22
	v_pk_add_f32 v[20:21], v[20:21], v[124:125] neg_lo:[0,1] neg_hi:[0,1]
	v_pk_add_f32 v[52:53], v[52:53], v[122:123] neg_lo:[0,1] neg_hi:[0,1]
	s_wait_dscnt 0x0
	v_pk_mul_f32 v[122:123], v[118:119], v[110:111] op_sel:[0,1]
	s_delay_alu instid0(VALU_DEP_1) | instskip(SKIP_1) | instid1(VALU_DEP_1)
	v_pk_fma_f32 v[124:125], v[118:119], v[108:109], v[122:123] op_sel:[0,0,1] op_sel_hi:[1,1,0] neg_lo:[0,0,1] neg_hi:[0,0,1]
	v_pk_fma_f32 v[118:119], v[118:119], v[108:109], v[122:123] op_sel:[0,0,1] op_sel_hi:[1,0,0]
	v_mov_b32_e32 v125, v119
	v_pk_mul_f32 v[118:119], v[120:121], v[110:111] op_sel:[0,1]
	s_delay_alu instid0(VALU_DEP_1) | instskip(SKIP_1) | instid1(VALU_DEP_1)
	v_pk_fma_f32 v[122:123], v[120:121], v[108:109], v[118:119] op_sel:[0,0,1] op_sel_hi:[1,1,0] neg_lo:[0,0,1] neg_hi:[0,0,1]
	v_pk_fma_f32 v[118:119], v[120:121], v[108:109], v[118:119] op_sel:[0,0,1] op_sel_hi:[1,0,0]
	v_mov_b32_e32 v123, v119
	ds_load_2addr_b64 v[118:121], v112 offset0:23 offset1:24
	v_pk_add_f32 v[50:51], v[50:51], v[124:125] neg_lo:[0,1] neg_hi:[0,1]
	v_pk_add_f32 v[32:33], v[32:33], v[122:123] neg_lo:[0,1] neg_hi:[0,1]
	s_wait_dscnt 0x0
	v_dual_mul_f32 v122, v119, v111 :: v_dual_mul_f32 v124, v119, v108
	s_delay_alu instid0(VALU_DEP_1) | instskip(NEXT) | instid1(VALU_DEP_2)
	v_pk_fma_f32 v[122:123], v[118:119], v[18:19], v[122:123] op_sel_hi:[1,1,0] neg_lo:[0,0,1] neg_hi:[0,0,1]
	v_pk_fma_f32 v[118:119], v[118:119], v[18:19], v[124:125] op_sel:[1,0,0] op_sel_hi:[0,1,0]
	s_delay_alu instid0(VALU_DEP_1) | instskip(SKIP_1) | instid1(VALU_DEP_2)
	v_mov_b32_e32 v123, v119
	v_pk_mul_f32 v[118:119], v[120:121], v[110:111] op_sel:[0,1]
	v_pk_add_f32 v[30:31], v[30:31], v[122:123] neg_lo:[0,1] neg_hi:[0,1]
	s_delay_alu instid0(VALU_DEP_2) | instskip(SKIP_1) | instid1(VALU_DEP_1)
	v_pk_fma_f32 v[122:123], v[120:121], v[108:109], v[118:119] op_sel:[0,0,1] op_sel_hi:[1,1,0] neg_lo:[0,0,1] neg_hi:[0,0,1]
	v_pk_fma_f32 v[118:119], v[120:121], v[108:109], v[118:119] op_sel:[0,0,1] op_sel_hi:[1,0,0]
	v_mov_b32_e32 v123, v119
	ds_load_2addr_b64 v[118:121], v112 offset0:25 offset1:26
	v_pk_add_f32 v[62:63], v[62:63], v[122:123] neg_lo:[0,1] neg_hi:[0,1]
	s_wait_dscnt 0x0
	v_pk_mul_f32 v[122:123], v[118:119], v[110:111] op_sel:[0,1]
	s_delay_alu instid0(VALU_DEP_1) | instskip(SKIP_1) | instid1(VALU_DEP_1)
	v_pk_fma_f32 v[124:125], v[118:119], v[108:109], v[122:123] op_sel:[0,0,1] op_sel_hi:[1,1,0] neg_lo:[0,0,1] neg_hi:[0,0,1]
	v_pk_fma_f32 v[118:119], v[118:119], v[108:109], v[122:123] op_sel:[0,0,1] op_sel_hi:[1,0,0]
	v_mov_b32_e32 v125, v119
	v_pk_mul_f32 v[118:119], v[120:121], v[110:111] op_sel:[0,1]
	s_delay_alu instid0(VALU_DEP_2) | instskip(NEXT) | instid1(VALU_DEP_2)
	v_pk_add_f32 v[60:61], v[60:61], v[124:125] neg_lo:[0,1] neg_hi:[0,1]
	v_pk_fma_f32 v[122:123], v[120:121], v[108:109], v[118:119] op_sel:[0,0,1] op_sel_hi:[1,1,0] neg_lo:[0,0,1] neg_hi:[0,0,1]
	v_pk_fma_f32 v[118:119], v[120:121], v[108:109], v[118:119] op_sel:[0,0,1] op_sel_hi:[1,0,0]
	s_delay_alu instid0(VALU_DEP_1) | instskip(SKIP_4) | instid1(VALU_DEP_1)
	v_mov_b32_e32 v123, v119
	ds_load_2addr_b64 v[118:121], v112 offset0:27 offset1:28
	v_pk_add_f32 v[40:41], v[40:41], v[122:123] neg_lo:[0,1] neg_hi:[0,1]
	s_wait_dscnt 0x0
	v_pk_mul_f32 v[122:123], v[118:119], v[110:111] op_sel:[0,1]
	v_pk_fma_f32 v[124:125], v[118:119], v[108:109], v[122:123] op_sel:[0,0,1] op_sel_hi:[1,1,0] neg_lo:[0,0,1] neg_hi:[0,0,1]
	v_pk_fma_f32 v[118:119], v[118:119], v[108:109], v[122:123] op_sel:[0,0,1] op_sel_hi:[1,0,0]
	v_dual_mul_f32 v122, v121, v111 :: v_dual_mov_b32 v118, v121
	s_delay_alu instid0(VALU_DEP_2) | instskip(NEXT) | instid1(VALU_DEP_2)
	v_dual_mov_b32 v125, v119 :: v_dual_mov_b32 v119, v120
	v_pk_fma_f32 v[122:123], v[120:121], v[18:19], v[122:123] op_sel_hi:[1,1,0] neg_lo:[0,0,1] neg_hi:[0,0,1]
	v_mul_f32_e32 v120, v121, v108
	s_delay_alu instid0(VALU_DEP_3) | instskip(NEXT) | instid1(VALU_DEP_2)
	v_pk_add_f32 v[38:39], v[38:39], v[124:125] neg_lo:[0,1] neg_hi:[0,1]
	v_pk_fma_f32 v[118:119], v[118:119], v[18:19], v[120:121] op_sel_hi:[1,1,0]
	s_delay_alu instid0(VALU_DEP_1) | instskip(SKIP_4) | instid1(VALU_DEP_1)
	v_mov_b32_e32 v123, v119
	ds_load_2addr_b64 v[118:121], v112 offset0:29 offset1:30
	v_pk_add_f32 v[70:71], v[70:71], v[122:123] neg_lo:[0,1] neg_hi:[0,1]
	s_wait_dscnt 0x0
	v_pk_mul_f32 v[122:123], v[118:119], v[110:111] op_sel:[0,1]
	v_pk_fma_f32 v[124:125], v[118:119], v[108:109], v[122:123] op_sel:[0,0,1] op_sel_hi:[1,1,0] neg_lo:[0,0,1] neg_hi:[0,0,1]
	v_pk_fma_f32 v[118:119], v[118:119], v[108:109], v[122:123] op_sel:[0,0,1] op_sel_hi:[1,0,0]
	s_delay_alu instid0(VALU_DEP_1) | instskip(SKIP_1) | instid1(VALU_DEP_1)
	v_mov_b32_e32 v125, v119
	v_pk_mul_f32 v[118:119], v[120:121], v[110:111] op_sel:[0,1]
	v_pk_fma_f32 v[122:123], v[120:121], v[108:109], v[118:119] op_sel:[0,0,1] op_sel_hi:[1,1,0] neg_lo:[0,0,1] neg_hi:[0,0,1]
	v_pk_fma_f32 v[118:119], v[120:121], v[108:109], v[118:119] op_sel:[0,0,1] op_sel_hi:[1,0,0]
	s_delay_alu instid0(VALU_DEP_1)
	v_mov_b32_e32 v123, v119
	ds_load_2addr_b64 v[118:121], v112 offset0:31 offset1:32
	v_pk_add_f32 v[68:69], v[68:69], v[124:125] neg_lo:[0,1] neg_hi:[0,1]
	v_pk_add_f32 v[48:49], v[48:49], v[122:123] neg_lo:[0,1] neg_hi:[0,1]
	s_wait_dscnt 0x0
	v_pk_mul_f32 v[122:123], v[118:119], v[110:111] op_sel:[0,1]
	s_delay_alu instid0(VALU_DEP_1) | instskip(SKIP_1) | instid1(VALU_DEP_1)
	v_pk_fma_f32 v[124:125], v[118:119], v[108:109], v[122:123] op_sel:[0,0,1] op_sel_hi:[1,1,0] neg_lo:[0,0,1] neg_hi:[0,0,1]
	v_pk_fma_f32 v[118:119], v[118:119], v[108:109], v[122:123] op_sel:[0,0,1] op_sel_hi:[1,0,0]
	v_mov_b32_e32 v125, v119
	v_pk_mul_f32 v[118:119], v[120:121], v[110:111] op_sel:[0,1]
	s_delay_alu instid0(VALU_DEP_1) | instskip(SKIP_1) | instid1(VALU_DEP_1)
	v_pk_fma_f32 v[122:123], v[120:121], v[108:109], v[118:119] op_sel:[0,0,1] op_sel_hi:[1,1,0] neg_lo:[0,0,1] neg_hi:[0,0,1]
	v_pk_fma_f32 v[118:119], v[120:121], v[108:109], v[118:119] op_sel:[0,0,1] op_sel_hi:[1,0,0]
	v_mov_b32_e32 v123, v119
	ds_load_2addr_b64 v[118:121], v112 offset0:33 offset1:34
	v_pk_add_f32 v[46:47], v[46:47], v[124:125] neg_lo:[0,1] neg_hi:[0,1]
	v_pk_add_f32 v[84:85], v[84:85], v[122:123] neg_lo:[0,1] neg_hi:[0,1]
	s_wait_dscnt 0x0
	v_dual_mul_f32 v122, v119, v111 :: v_dual_mul_f32 v124, v119, v108
	s_delay_alu instid0(VALU_DEP_1) | instskip(NEXT) | instid1(VALU_DEP_2)
	v_pk_fma_f32 v[122:123], v[118:119], v[18:19], v[122:123] op_sel_hi:[1,1,0] neg_lo:[0,0,1] neg_hi:[0,0,1]
	v_pk_fma_f32 v[118:119], v[118:119], v[18:19], v[124:125] op_sel:[1,0,0] op_sel_hi:[0,1,0]
	s_delay_alu instid0(VALU_DEP_1) | instskip(SKIP_1) | instid1(VALU_DEP_2)
	v_mov_b32_e32 v123, v119
	v_pk_mul_f32 v[118:119], v[120:121], v[110:111] op_sel:[0,1]
	v_pk_add_f32 v[82:83], v[82:83], v[122:123] neg_lo:[0,1] neg_hi:[0,1]
	s_delay_alu instid0(VALU_DEP_2) | instskip(SKIP_1) | instid1(VALU_DEP_1)
	v_pk_fma_f32 v[122:123], v[120:121], v[108:109], v[118:119] op_sel:[0,0,1] op_sel_hi:[1,1,0] neg_lo:[0,0,1] neg_hi:[0,0,1]
	v_pk_fma_f32 v[118:119], v[120:121], v[108:109], v[118:119] op_sel:[0,0,1] op_sel_hi:[1,0,0]
	v_mov_b32_e32 v123, v119
	ds_load_2addr_b64 v[118:121], v112 offset0:35 offset1:36
	v_pk_add_f32 v[56:57], v[56:57], v[122:123] neg_lo:[0,1] neg_hi:[0,1]
	s_wait_dscnt 0x0
	v_pk_mul_f32 v[122:123], v[118:119], v[110:111] op_sel:[0,1]
	s_delay_alu instid0(VALU_DEP_1) | instskip(SKIP_1) | instid1(VALU_DEP_1)
	v_pk_fma_f32 v[124:125], v[118:119], v[108:109], v[122:123] op_sel:[0,0,1] op_sel_hi:[1,1,0] neg_lo:[0,0,1] neg_hi:[0,0,1]
	v_pk_fma_f32 v[118:119], v[118:119], v[108:109], v[122:123] op_sel:[0,0,1] op_sel_hi:[1,0,0]
	v_mov_b32_e32 v125, v119
	v_pk_mul_f32 v[118:119], v[120:121], v[110:111] op_sel:[0,1]
	s_delay_alu instid0(VALU_DEP_2) | instskip(NEXT) | instid1(VALU_DEP_2)
	v_pk_add_f32 v[54:55], v[54:55], v[124:125] neg_lo:[0,1] neg_hi:[0,1]
	v_pk_fma_f32 v[122:123], v[120:121], v[108:109], v[118:119] op_sel:[0,0,1] op_sel_hi:[1,1,0] neg_lo:[0,0,1] neg_hi:[0,0,1]
	v_pk_fma_f32 v[118:119], v[120:121], v[108:109], v[118:119] op_sel:[0,0,1] op_sel_hi:[1,0,0]
	s_delay_alu instid0(VALU_DEP_1) | instskip(SKIP_4) | instid1(VALU_DEP_1)
	v_mov_b32_e32 v123, v119
	ds_load_2addr_b64 v[118:121], v112 offset0:37 offset1:38
	v_pk_add_f32 v[94:95], v[94:95], v[122:123] neg_lo:[0,1] neg_hi:[0,1]
	s_wait_dscnt 0x0
	v_pk_mul_f32 v[122:123], v[118:119], v[110:111] op_sel:[0,1]
	v_pk_fma_f32 v[124:125], v[118:119], v[108:109], v[122:123] op_sel:[0,0,1] op_sel_hi:[1,1,0] neg_lo:[0,0,1] neg_hi:[0,0,1]
	v_pk_fma_f32 v[118:119], v[118:119], v[108:109], v[122:123] op_sel:[0,0,1] op_sel_hi:[1,0,0]
	v_dual_mul_f32 v122, v121, v111 :: v_dual_mov_b32 v118, v121
	s_delay_alu instid0(VALU_DEP_2) | instskip(NEXT) | instid1(VALU_DEP_2)
	v_dual_mov_b32 v125, v119 :: v_dual_mov_b32 v119, v120
	v_pk_fma_f32 v[122:123], v[120:121], v[18:19], v[122:123] op_sel_hi:[1,1,0] neg_lo:[0,0,1] neg_hi:[0,0,1]
	v_mul_f32_e32 v120, v121, v108
	s_delay_alu instid0(VALU_DEP_3) | instskip(NEXT) | instid1(VALU_DEP_2)
	v_pk_add_f32 v[92:93], v[92:93], v[124:125] neg_lo:[0,1] neg_hi:[0,1]
	v_pk_fma_f32 v[118:119], v[118:119], v[18:19], v[120:121] op_sel_hi:[1,1,0]
	s_delay_alu instid0(VALU_DEP_1) | instskip(SKIP_4) | instid1(VALU_DEP_1)
	v_mov_b32_e32 v123, v119
	ds_load_2addr_b64 v[118:121], v112 offset0:39 offset1:40
	v_pk_add_f32 v[66:67], v[66:67], v[122:123] neg_lo:[0,1] neg_hi:[0,1]
	s_wait_dscnt 0x0
	v_pk_mul_f32 v[122:123], v[118:119], v[110:111] op_sel:[0,1]
	v_pk_fma_f32 v[124:125], v[118:119], v[108:109], v[122:123] op_sel:[0,0,1] op_sel_hi:[1,1,0] neg_lo:[0,0,1] neg_hi:[0,0,1]
	v_pk_fma_f32 v[118:119], v[118:119], v[108:109], v[122:123] op_sel:[0,0,1] op_sel_hi:[1,0,0]
	s_delay_alu instid0(VALU_DEP_1) | instskip(SKIP_1) | instid1(VALU_DEP_1)
	v_mov_b32_e32 v125, v119
	v_pk_mul_f32 v[118:119], v[120:121], v[110:111] op_sel:[0,1]
	v_pk_fma_f32 v[122:123], v[120:121], v[108:109], v[118:119] op_sel:[0,0,1] op_sel_hi:[1,1,0] neg_lo:[0,0,1] neg_hi:[0,0,1]
	v_pk_fma_f32 v[118:119], v[120:121], v[108:109], v[118:119] op_sel:[0,0,1] op_sel_hi:[1,0,0]
	s_delay_alu instid0(VALU_DEP_1)
	v_mov_b32_e32 v123, v119
	ds_load_2addr_b64 v[118:121], v112 offset0:41 offset1:42
	v_pk_add_f32 v[64:65], v[64:65], v[124:125] neg_lo:[0,1] neg_hi:[0,1]
	v_pk_add_f32 v[104:105], v[104:105], v[122:123] neg_lo:[0,1] neg_hi:[0,1]
	s_wait_dscnt 0x0
	v_pk_mul_f32 v[122:123], v[118:119], v[110:111] op_sel:[0,1]
	s_delay_alu instid0(VALU_DEP_1) | instskip(SKIP_1) | instid1(VALU_DEP_1)
	v_pk_fma_f32 v[124:125], v[118:119], v[108:109], v[122:123] op_sel:[0,0,1] op_sel_hi:[1,1,0] neg_lo:[0,0,1] neg_hi:[0,0,1]
	v_pk_fma_f32 v[118:119], v[118:119], v[108:109], v[122:123] op_sel:[0,0,1] op_sel_hi:[1,0,0]
	v_mov_b32_e32 v125, v119
	v_pk_mul_f32 v[118:119], v[120:121], v[110:111] op_sel:[0,1]
	s_delay_alu instid0(VALU_DEP_1) | instskip(SKIP_1) | instid1(VALU_DEP_1)
	v_pk_fma_f32 v[122:123], v[120:121], v[108:109], v[118:119] op_sel:[0,0,1] op_sel_hi:[1,1,0] neg_lo:[0,0,1] neg_hi:[0,0,1]
	v_pk_fma_f32 v[118:119], v[120:121], v[108:109], v[118:119] op_sel:[0,0,1] op_sel_hi:[1,0,0]
	v_mov_b32_e32 v123, v119
	ds_load_2addr_b64 v[118:121], v112 offset0:43 offset1:44
	v_pk_add_f32 v[102:103], v[102:103], v[124:125] neg_lo:[0,1] neg_hi:[0,1]
	v_pk_add_f32 v[76:77], v[76:77], v[122:123] neg_lo:[0,1] neg_hi:[0,1]
	s_wait_dscnt 0x0
	v_dual_mul_f32 v122, v119, v111 :: v_dual_mul_f32 v124, v119, v108
	s_delay_alu instid0(VALU_DEP_1) | instskip(NEXT) | instid1(VALU_DEP_2)
	v_pk_fma_f32 v[122:123], v[118:119], v[18:19], v[122:123] op_sel_hi:[1,1,0] neg_lo:[0,0,1] neg_hi:[0,0,1]
	v_pk_fma_f32 v[118:119], v[118:119], v[18:19], v[124:125] op_sel:[1,0,0] op_sel_hi:[0,1,0]
	s_delay_alu instid0(VALU_DEP_1) | instskip(SKIP_1) | instid1(VALU_DEP_2)
	v_mov_b32_e32 v123, v119
	v_pk_mul_f32 v[118:119], v[120:121], v[110:111] op_sel:[0,1]
	v_pk_add_f32 v[74:75], v[74:75], v[122:123] neg_lo:[0,1] neg_hi:[0,1]
	s_delay_alu instid0(VALU_DEP_2) | instskip(SKIP_1) | instid1(VALU_DEP_1)
	v_pk_fma_f32 v[122:123], v[120:121], v[108:109], v[118:119] op_sel:[0,0,1] op_sel_hi:[1,1,0] neg_lo:[0,0,1] neg_hi:[0,0,1]
	v_pk_fma_f32 v[118:119], v[120:121], v[108:109], v[118:119] op_sel:[0,0,1] op_sel_hi:[1,0,0]
	v_mov_b32_e32 v123, v119
	ds_load_2addr_b64 v[118:121], v112 offset0:45 offset1:46
	v_pk_add_f32 v[98:99], v[98:99], v[122:123] neg_lo:[0,1] neg_hi:[0,1]
	s_wait_dscnt 0x0
	v_pk_mul_f32 v[122:123], v[118:119], v[110:111] op_sel:[0,1]
	s_delay_alu instid0(VALU_DEP_1) | instskip(SKIP_1) | instid1(VALU_DEP_1)
	v_pk_fma_f32 v[124:125], v[118:119], v[108:109], v[122:123] op_sel:[0,0,1] op_sel_hi:[1,1,0] neg_lo:[0,0,1] neg_hi:[0,0,1]
	v_pk_fma_f32 v[118:119], v[118:119], v[108:109], v[122:123] op_sel:[0,0,1] op_sel_hi:[1,0,0]
	v_mov_b32_e32 v125, v119
	v_pk_mul_f32 v[118:119], v[120:121], v[110:111] op_sel:[0,1]
	s_delay_alu instid0(VALU_DEP_2) | instskip(NEXT) | instid1(VALU_DEP_2)
	v_pk_add_f32 v[96:97], v[96:97], v[124:125] neg_lo:[0,1] neg_hi:[0,1]
	v_pk_fma_f32 v[122:123], v[120:121], v[108:109], v[118:119] op_sel:[0,0,1] op_sel_hi:[1,1,0] neg_lo:[0,0,1] neg_hi:[0,0,1]
	v_pk_fma_f32 v[118:119], v[120:121], v[108:109], v[118:119] op_sel:[0,0,1] op_sel_hi:[1,0,0]
	s_delay_alu instid0(VALU_DEP_1) | instskip(SKIP_4) | instid1(VALU_DEP_1)
	v_mov_b32_e32 v123, v119
	ds_load_2addr_b64 v[118:121], v112 offset0:47 offset1:48
	v_pk_add_f32 v[80:81], v[80:81], v[122:123] neg_lo:[0,1] neg_hi:[0,1]
	s_wait_dscnt 0x0
	v_pk_mul_f32 v[122:123], v[118:119], v[110:111] op_sel:[0,1]
	v_pk_fma_f32 v[124:125], v[118:119], v[108:109], v[122:123] op_sel:[0,0,1] op_sel_hi:[1,1,0] neg_lo:[0,0,1] neg_hi:[0,0,1]
	v_pk_fma_f32 v[118:119], v[118:119], v[108:109], v[122:123] op_sel:[0,0,1] op_sel_hi:[1,0,0]
	v_dual_mul_f32 v122, v121, v111 :: v_dual_mov_b32 v118, v121
	s_delay_alu instid0(VALU_DEP_2) | instskip(NEXT) | instid1(VALU_DEP_2)
	v_dual_mov_b32 v125, v119 :: v_dual_mov_b32 v119, v120
	v_pk_fma_f32 v[122:123], v[120:121], v[18:19], v[122:123] op_sel_hi:[1,1,0] neg_lo:[0,0,1] neg_hi:[0,0,1]
	v_mul_f32_e32 v120, v121, v108
	s_delay_alu instid0(VALU_DEP_3) | instskip(NEXT) | instid1(VALU_DEP_2)
	v_pk_add_f32 v[78:79], v[78:79], v[124:125] neg_lo:[0,1] neg_hi:[0,1]
	v_pk_fma_f32 v[118:119], v[118:119], v[18:19], v[120:121] op_sel_hi:[1,1,0]
	s_delay_alu instid0(VALU_DEP_1)
	v_mov_b32_e32 v123, v119
	ds_load_2addr_b64 v[118:121], v112 offset0:49 offset1:50
	v_pk_add_f32 v[88:89], v[88:89], v[122:123] neg_lo:[0,1] neg_hi:[0,1]
	s_wait_dscnt 0x0
	v_pk_mul_f32 v[122:123], v[118:119], v[110:111] op_sel:[0,1]
	v_mul_f32_e32 v110, v121, v111
	s_delay_alu instid0(VALU_DEP_2) | instskip(SKIP_2) | instid1(VALU_DEP_4)
	v_pk_fma_f32 v[124:125], v[118:119], v[108:109], v[122:123] op_sel:[0,0,1] op_sel_hi:[1,1,0] neg_lo:[0,0,1] neg_hi:[0,0,1]
	v_pk_fma_f32 v[118:119], v[118:119], v[108:109], v[122:123] op_sel:[0,0,1] op_sel_hi:[1,0,0]
	v_dual_mov_b32 v118, v121 :: v_dual_mul_f32 v108, v121, v108
	v_pk_fma_f32 v[110:111], v[120:121], v[18:19], v[110:111] op_sel_hi:[1,1,0] neg_lo:[0,0,1] neg_hi:[0,0,1]
	s_delay_alu instid0(VALU_DEP_3) | instskip(NEXT) | instid1(VALU_DEP_1)
	v_dual_mov_b32 v125, v119 :: v_dual_mov_b32 v119, v120
	v_pk_add_f32 v[86:87], v[86:87], v[124:125] neg_lo:[0,1] neg_hi:[0,1]
	s_delay_alu instid0(VALU_DEP_2) | instskip(NEXT) | instid1(VALU_DEP_1)
	v_pk_fma_f32 v[108:109], v[118:119], v[18:19], v[108:109] op_sel_hi:[1,1,0]
	v_mov_b32_e32 v111, v109
	s_delay_alu instid0(VALU_DEP_1)
	v_pk_add_f32 v[106:107], v[106:107], v[110:111] neg_lo:[0,1] neg_hi:[0,1]
.LBB100_314:
	s_or_b32 exec_lo, exec_lo, s0
	v_lshl_add_u32 v108, v116, 3, v112
	s_barrier_signal -1
	s_barrier_wait -1
	ds_store_b64 v108, v[14:15]
	s_wait_dscnt 0x0
	s_barrier_signal -1
	s_barrier_wait -1
	ds_load_b64 v[110:111], v112 offset:120
	v_mov_b32_e32 v108, 15
	s_cmp_lt_i32 s18, 17
	s_cbranch_scc1 .LBB100_317
; %bb.315:
	v_add3_u32 v109, v113, 0, 0x80
	v_mov_b32_e32 v108, 15
	s_mov_b32 s0, 16
.LBB100_316:                            ; =>This Inner Loop Header: Depth=1
	ds_load_b64 v[118:119], v109
	s_wait_dscnt 0x1
	v_cmp_gt_f32_e32 vcc_lo, 0, v110
	v_cndmask_b32_e64 v120, v110, -v110, vcc_lo
	v_cmp_gt_f32_e32 vcc_lo, 0, v111
	v_cndmask_b32_e64 v122, v111, -v111, vcc_lo
	s_wait_dscnt 0x0
	v_cmp_gt_f32_e32 vcc_lo, 0, v118
	v_cndmask_b32_e64 v121, v118, -v118, vcc_lo
	v_cmp_gt_f32_e32 vcc_lo, 0, v119
	v_cndmask_b32_e64 v123, v119, -v119, vcc_lo
	s_delay_alu instid0(VALU_DEP_1) | instskip(NEXT) | instid1(VALU_DEP_1)
	v_pk_add_f32 v[120:121], v[120:121], v[122:123]
	v_cmp_lt_f32_e32 vcc_lo, v120, v121
	v_dual_add_nc_u32 v109, 8, v109 :: v_dual_cndmask_b32 v111, v111, v119, vcc_lo
	v_cndmask_b32_e32 v110, v110, v118, vcc_lo
	v_cndmask_b32_e64 v108, v108, s0, vcc_lo
	s_add_co_i32 s0, s0, 1
	s_delay_alu instid0(SALU_CYCLE_1)
	s_cmp_lg_u32 s18, s0
	s_cbranch_scc1 .LBB100_316
.LBB100_317:
	s_wait_dscnt 0x0
	v_cmp_eq_f32_e32 vcc_lo, 0, v110
	v_cmp_eq_f32_e64 s0, 0, v111
	s_and_b32 s0, vcc_lo, s0
	s_delay_alu instid0(SALU_CYCLE_1) | instskip(NEXT) | instid1(SALU_CYCLE_1)
	s_and_saveexec_b32 s1, s0
	s_xor_b32 s0, exec_lo, s1
; %bb.318:
	v_cmp_ne_u32_e32 vcc_lo, 0, v114
	v_cndmask_b32_e32 v114, 16, v114, vcc_lo
; %bb.319:
	s_and_not1_saveexec_b32 s0, s0
	s_cbranch_execz .LBB100_325
; %bb.320:
	v_cmp_ngt_f32_e64 s1, |v110|, |v111|
	s_and_saveexec_b32 s12, s1
	s_delay_alu instid0(SALU_CYCLE_1)
	s_xor_b32 s1, exec_lo, s12
	s_cbranch_execz .LBB100_322
; %bb.321:
	v_div_scale_f32 v109, null, v111, v111, v110
	v_div_scale_f32 v119, vcc_lo, v110, v111, v110
	s_delay_alu instid0(VALU_DEP_2) | instskip(SKIP_1) | instid1(TRANS32_DEP_1)
	v_rcp_f32_e32 v117, v109
	v_nop
	v_fma_f32 v118, -v109, v117, 1.0
	s_delay_alu instid0(VALU_DEP_1) | instskip(NEXT) | instid1(VALU_DEP_1)
	v_fmac_f32_e32 v117, v118, v117
	v_mul_f32_e32 v118, v119, v117
	s_delay_alu instid0(VALU_DEP_1) | instskip(NEXT) | instid1(VALU_DEP_1)
	v_fma_f32 v120, -v109, v118, v119
	v_fmac_f32_e32 v118, v120, v117
	s_delay_alu instid0(VALU_DEP_1) | instskip(NEXT) | instid1(VALU_DEP_1)
	v_fma_f32 v109, -v109, v118, v119
	v_div_fmas_f32 v109, v109, v117, v118
	s_delay_alu instid0(VALU_DEP_1) | instskip(NEXT) | instid1(VALU_DEP_1)
	v_div_fixup_f32 v109, v109, v111, v110
	v_fmac_f32_e32 v111, v110, v109
	s_delay_alu instid0(VALU_DEP_1) | instskip(SKIP_1) | instid1(VALU_DEP_2)
	v_div_scale_f32 v110, null, v111, v111, 1.0
	v_div_scale_f32 v119, vcc_lo, 1.0, v111, 1.0
	v_rcp_f32_e32 v117, v110
	v_nop
	s_delay_alu instid0(TRANS32_DEP_1) | instskip(NEXT) | instid1(VALU_DEP_1)
	v_fma_f32 v118, -v110, v117, 1.0
	v_fmac_f32_e32 v117, v118, v117
	s_delay_alu instid0(VALU_DEP_1) | instskip(NEXT) | instid1(VALU_DEP_1)
	v_mul_f32_e32 v118, v119, v117
	v_fma_f32 v120, -v110, v118, v119
	s_delay_alu instid0(VALU_DEP_1) | instskip(NEXT) | instid1(VALU_DEP_1)
	v_fmac_f32_e32 v118, v120, v117
	v_fma_f32 v110, -v110, v118, v119
	s_delay_alu instid0(VALU_DEP_1) | instskip(NEXT) | instid1(VALU_DEP_1)
	v_div_fmas_f32 v110, v110, v117, v118
	v_div_fixup_f32 v111, v110, v111, 1.0
	s_delay_alu instid0(VALU_DEP_1)
	v_mul_f32_e32 v110, v109, v111
	v_xor_b32_e32 v111, 0x80000000, v111
.LBB100_322:
	s_and_not1_saveexec_b32 s1, s1
	s_cbranch_execz .LBB100_324
; %bb.323:
	s_delay_alu instid0(VALU_DEP_1) | instskip(SKIP_1) | instid1(VALU_DEP_2)
	v_div_scale_f32 v109, null, v110, v110, v111
	v_div_scale_f32 v119, vcc_lo, v111, v110, v111
	v_rcp_f32_e32 v117, v109
	v_nop
	s_delay_alu instid0(TRANS32_DEP_1) | instskip(NEXT) | instid1(VALU_DEP_1)
	v_fma_f32 v118, -v109, v117, 1.0
	v_fmac_f32_e32 v117, v118, v117
	s_delay_alu instid0(VALU_DEP_1) | instskip(NEXT) | instid1(VALU_DEP_1)
	v_mul_f32_e32 v118, v119, v117
	v_fma_f32 v120, -v109, v118, v119
	s_delay_alu instid0(VALU_DEP_1) | instskip(NEXT) | instid1(VALU_DEP_1)
	v_fmac_f32_e32 v118, v120, v117
	v_fma_f32 v109, -v109, v118, v119
	s_delay_alu instid0(VALU_DEP_1) | instskip(NEXT) | instid1(VALU_DEP_1)
	v_div_fmas_f32 v109, v109, v117, v118
	v_div_fixup_f32 v109, v109, v110, v111
	s_delay_alu instid0(VALU_DEP_1) | instskip(NEXT) | instid1(VALU_DEP_1)
	v_fmac_f32_e32 v110, v111, v109
	v_div_scale_f32 v111, null, v110, v110, 1.0
	s_delay_alu instid0(VALU_DEP_1) | instskip(SKIP_1) | instid1(TRANS32_DEP_1)
	v_rcp_f32_e32 v117, v111
	v_nop
	v_fma_f32 v118, -v111, v117, 1.0
	s_delay_alu instid0(VALU_DEP_1) | instskip(SKIP_1) | instid1(VALU_DEP_1)
	v_fmac_f32_e32 v117, v118, v117
	v_div_scale_f32 v118, vcc_lo, 1.0, v110, 1.0
	v_mul_f32_e32 v119, v118, v117
	s_delay_alu instid0(VALU_DEP_1) | instskip(NEXT) | instid1(VALU_DEP_1)
	v_fma_f32 v120, -v111, v119, v118
	v_fmac_f32_e32 v119, v120, v117
	s_delay_alu instid0(VALU_DEP_1) | instskip(NEXT) | instid1(VALU_DEP_1)
	v_fma_f32 v111, -v111, v119, v118
	v_div_fmas_f32 v111, v111, v117, v119
	s_delay_alu instid0(VALU_DEP_1) | instskip(NEXT) | instid1(VALU_DEP_1)
	v_div_fixup_f32 v110, v111, v110, 1.0
	v_mul_f32_e64 v111, v109, -v110
.LBB100_324:
	s_or_b32 exec_lo, exec_lo, s1
.LBB100_325:
	s_delay_alu instid0(SALU_CYCLE_1) | instskip(NEXT) | instid1(SALU_CYCLE_1)
	s_or_b32 exec_lo, exec_lo, s0
	s_mov_b32 s0, exec_lo
	v_cmpx_ne_u32_e64 v116, v108
	s_xor_b32 s0, exec_lo, s0
	s_cbranch_execz .LBB100_331
; %bb.326:
	s_mov_b32 s1, exec_lo
	v_cmpx_eq_u32_e32 15, v116
	s_cbranch_execz .LBB100_330
; %bb.327:
	v_cmp_ne_u32_e32 vcc_lo, 15, v108
	s_xor_b32 s12, s16, -1
	s_delay_alu instid0(SALU_CYCLE_1) | instskip(NEXT) | instid1(SALU_CYCLE_1)
	s_and_b32 s13, s12, vcc_lo
	s_and_saveexec_b32 s12, s13
	s_cbranch_execz .LBB100_329
; %bb.328:
	v_ashrrev_i32_e32 v109, 31, v108
	s_delay_alu instid0(VALU_DEP_1)
	v_lshl_add_u64 v[116:117], v[108:109], 2, v[4:5]
	s_clause 0x1
	global_load_b32 v109, v[116:117], off
	global_load_b32 v115, v[4:5], off offset:60
	s_wait_loadcnt 0x1
	global_store_b32 v[4:5], v109, off offset:60
	s_wait_loadcnt 0x0
	global_store_b32 v[116:117], v115, off
.LBB100_329:
	s_wait_xcnt 0x0
	s_or_b32 exec_lo, exec_lo, s12
	v_dual_mov_b32 v116, v108 :: v_dual_mov_b32 v115, v108
.LBB100_330:
	s_or_b32 exec_lo, exec_lo, s1
.LBB100_331:
	s_and_not1_saveexec_b32 s0, s0
	s_cbranch_execz .LBB100_333
; %bb.332:
	v_dual_mov_b32 v108, v44 :: v_dual_mov_b32 v109, v45
	v_dual_mov_b32 v116, v42 :: v_dual_mov_b32 v117, v43
	ds_store_2addr_b64 v112, v[108:109], v[116:117] offset0:16 offset1:17
	v_dual_mov_b32 v108, v22 :: v_dual_mov_b32 v109, v23
	v_dual_mov_b32 v116, v20 :: v_dual_mov_b32 v117, v21
	ds_store_2addr_b64 v112, v[108:109], v[116:117] offset0:18 offset1:19
	;; [unrolled: 3-line block ×17, first 2 shown]
	ds_store_b64 v112, v[106:107] offset:400
	v_mov_b32_e32 v116, 15
.LBB100_333:
	s_or_b32 exec_lo, exec_lo, s0
	s_delay_alu instid0(SALU_CYCLE_1)
	s_mov_b32 s0, exec_lo
	s_wait_storecnt_dscnt 0x0
	s_barrier_signal -1
	s_barrier_wait -1
	v_cmpx_lt_i32_e32 15, v116
	s_cbranch_execz .LBB100_335
; %bb.334:
	v_pk_mul_f32 v[118:119], v[110:111], v[14:15] op_sel:[1,1] op_sel_hi:[0,1]
	s_delay_alu instid0(VALU_DEP_1)
	v_pk_fma_f32 v[108:109], v[110:111], v[14:15], v[118:119] op_sel_hi:[1,0,1] neg_lo:[0,0,1] neg_hi:[0,0,1]
	v_pk_fma_f32 v[110:111], v[110:111], v[14:15], v[118:119] op_sel_hi:[1,0,1]
	ds_load_2addr_b64 v[118:121], v112 offset0:16 offset1:17
	v_dual_mov_b32 v14, v108 :: v_dual_mov_b32 v15, v111
	s_wait_dscnt 0x0
	v_pk_mul_f32 v[122:123], v[118:119], v[110:111] op_sel:[0,1]
	s_delay_alu instid0(VALU_DEP_1) | instskip(SKIP_1) | instid1(VALU_DEP_1)
	v_pk_fma_f32 v[124:125], v[118:119], v[108:109], v[122:123] op_sel:[0,0,1] op_sel_hi:[1,1,0] neg_lo:[0,0,1] neg_hi:[0,0,1]
	v_pk_fma_f32 v[118:119], v[118:119], v[108:109], v[122:123] op_sel:[0,0,1] op_sel_hi:[1,0,0]
	v_mov_b32_e32 v125, v119
	v_pk_mul_f32 v[118:119], v[120:121], v[110:111] op_sel:[0,1]
	s_delay_alu instid0(VALU_DEP_1) | instskip(SKIP_1) | instid1(VALU_DEP_1)
	v_pk_fma_f32 v[122:123], v[120:121], v[108:109], v[118:119] op_sel:[0,0,1] op_sel_hi:[1,1,0] neg_lo:[0,0,1] neg_hi:[0,0,1]
	v_pk_fma_f32 v[118:119], v[120:121], v[108:109], v[118:119] op_sel:[0,0,1] op_sel_hi:[1,0,0]
	v_mov_b32_e32 v123, v119
	ds_load_2addr_b64 v[118:121], v112 offset0:18 offset1:19
	v_pk_add_f32 v[44:45], v[44:45], v[124:125] neg_lo:[0,1] neg_hi:[0,1]
	v_pk_add_f32 v[42:43], v[42:43], v[122:123] neg_lo:[0,1] neg_hi:[0,1]
	s_wait_dscnt 0x0
	v_pk_mul_f32 v[122:123], v[118:119], v[110:111] op_sel:[0,1]
	s_delay_alu instid0(VALU_DEP_1) | instskip(SKIP_2) | instid1(VALU_DEP_2)
	v_pk_fma_f32 v[124:125], v[118:119], v[108:109], v[122:123] op_sel:[0,0,1] op_sel_hi:[1,1,0] neg_lo:[0,0,1] neg_hi:[0,0,1]
	v_pk_fma_f32 v[118:119], v[118:119], v[108:109], v[122:123] op_sel:[0,0,1] op_sel_hi:[1,0,0]
	v_dual_mul_f32 v122, v121, v111 :: v_dual_mov_b32 v118, v121
	v_dual_mov_b32 v125, v119 :: v_dual_mov_b32 v119, v120
	s_delay_alu instid0(VALU_DEP_2) | instskip(SKIP_1) | instid1(VALU_DEP_3)
	v_pk_fma_f32 v[122:123], v[120:121], v[14:15], v[122:123] op_sel_hi:[1,1,0] neg_lo:[0,0,1] neg_hi:[0,0,1]
	v_mul_f32_e32 v120, v121, v108
	v_pk_add_f32 v[22:23], v[22:23], v[124:125] neg_lo:[0,1] neg_hi:[0,1]
	s_delay_alu instid0(VALU_DEP_2) | instskip(NEXT) | instid1(VALU_DEP_1)
	v_pk_fma_f32 v[118:119], v[118:119], v[14:15], v[120:121] op_sel_hi:[1,1,0]
	v_mov_b32_e32 v123, v119
	ds_load_2addr_b64 v[118:121], v112 offset0:20 offset1:21
	v_pk_add_f32 v[20:21], v[20:21], v[122:123] neg_lo:[0,1] neg_hi:[0,1]
	s_wait_dscnt 0x0
	v_pk_mul_f32 v[122:123], v[118:119], v[110:111] op_sel:[0,1]
	s_delay_alu instid0(VALU_DEP_1) | instskip(SKIP_1) | instid1(VALU_DEP_1)
	v_pk_fma_f32 v[124:125], v[118:119], v[108:109], v[122:123] op_sel:[0,0,1] op_sel_hi:[1,1,0] neg_lo:[0,0,1] neg_hi:[0,0,1]
	v_pk_fma_f32 v[118:119], v[118:119], v[108:109], v[122:123] op_sel:[0,0,1] op_sel_hi:[1,0,0]
	v_mov_b32_e32 v125, v119
	v_pk_mul_f32 v[118:119], v[120:121], v[110:111] op_sel:[0,1]
	s_delay_alu instid0(VALU_DEP_1) | instskip(SKIP_1) | instid1(VALU_DEP_1)
	v_pk_fma_f32 v[122:123], v[120:121], v[108:109], v[118:119] op_sel:[0,0,1] op_sel_hi:[1,1,0] neg_lo:[0,0,1] neg_hi:[0,0,1]
	v_pk_fma_f32 v[118:119], v[120:121], v[108:109], v[118:119] op_sel:[0,0,1] op_sel_hi:[1,0,0]
	v_mov_b32_e32 v123, v119
	ds_load_2addr_b64 v[118:121], v112 offset0:22 offset1:23
	v_pk_add_f32 v[52:53], v[52:53], v[124:125] neg_lo:[0,1] neg_hi:[0,1]
	v_pk_add_f32 v[50:51], v[50:51], v[122:123] neg_lo:[0,1] neg_hi:[0,1]
	s_wait_dscnt 0x0
	v_pk_mul_f32 v[122:123], v[118:119], v[110:111] op_sel:[0,1]
	s_delay_alu instid0(VALU_DEP_1) | instskip(SKIP_1) | instid1(VALU_DEP_1)
	v_pk_fma_f32 v[124:125], v[118:119], v[108:109], v[122:123] op_sel:[0,0,1] op_sel_hi:[1,1,0] neg_lo:[0,0,1] neg_hi:[0,0,1]
	v_pk_fma_f32 v[118:119], v[118:119], v[108:109], v[122:123] op_sel:[0,0,1] op_sel_hi:[1,0,0]
	v_mov_b32_e32 v125, v119
	v_pk_mul_f32 v[118:119], v[120:121], v[110:111] op_sel:[0,1]
	s_delay_alu instid0(VALU_DEP_1) | instskip(SKIP_1) | instid1(VALU_DEP_1)
	v_pk_fma_f32 v[122:123], v[120:121], v[108:109], v[118:119] op_sel:[0,0,1] op_sel_hi:[1,1,0] neg_lo:[0,0,1] neg_hi:[0,0,1]
	v_pk_fma_f32 v[118:119], v[120:121], v[108:109], v[118:119] op_sel:[0,0,1] op_sel_hi:[1,0,0]
	v_mov_b32_e32 v123, v119
	ds_load_2addr_b64 v[118:121], v112 offset0:24 offset1:25
	v_pk_add_f32 v[32:33], v[32:33], v[124:125] neg_lo:[0,1] neg_hi:[0,1]
	v_pk_add_f32 v[30:31], v[30:31], v[122:123] neg_lo:[0,1] neg_hi:[0,1]
	s_wait_dscnt 0x0
	v_dual_mul_f32 v122, v119, v111 :: v_dual_mul_f32 v124, v119, v108
	s_delay_alu instid0(VALU_DEP_1) | instskip(NEXT) | instid1(VALU_DEP_2)
	v_pk_fma_f32 v[122:123], v[118:119], v[14:15], v[122:123] op_sel_hi:[1,1,0] neg_lo:[0,0,1] neg_hi:[0,0,1]
	v_pk_fma_f32 v[118:119], v[118:119], v[14:15], v[124:125] op_sel:[1,0,0] op_sel_hi:[0,1,0]
	s_delay_alu instid0(VALU_DEP_1) | instskip(SKIP_1) | instid1(VALU_DEP_2)
	v_mov_b32_e32 v123, v119
	v_pk_mul_f32 v[118:119], v[120:121], v[110:111] op_sel:[0,1]
	v_pk_add_f32 v[62:63], v[62:63], v[122:123] neg_lo:[0,1] neg_hi:[0,1]
	s_delay_alu instid0(VALU_DEP_2) | instskip(SKIP_1) | instid1(VALU_DEP_1)
	v_pk_fma_f32 v[122:123], v[120:121], v[108:109], v[118:119] op_sel:[0,0,1] op_sel_hi:[1,1,0] neg_lo:[0,0,1] neg_hi:[0,0,1]
	v_pk_fma_f32 v[118:119], v[120:121], v[108:109], v[118:119] op_sel:[0,0,1] op_sel_hi:[1,0,0]
	v_mov_b32_e32 v123, v119
	ds_load_2addr_b64 v[118:121], v112 offset0:26 offset1:27
	v_pk_add_f32 v[60:61], v[60:61], v[122:123] neg_lo:[0,1] neg_hi:[0,1]
	s_wait_dscnt 0x0
	v_pk_mul_f32 v[122:123], v[118:119], v[110:111] op_sel:[0,1]
	s_delay_alu instid0(VALU_DEP_1) | instskip(SKIP_1) | instid1(VALU_DEP_1)
	v_pk_fma_f32 v[124:125], v[118:119], v[108:109], v[122:123] op_sel:[0,0,1] op_sel_hi:[1,1,0] neg_lo:[0,0,1] neg_hi:[0,0,1]
	v_pk_fma_f32 v[118:119], v[118:119], v[108:109], v[122:123] op_sel:[0,0,1] op_sel_hi:[1,0,0]
	v_mov_b32_e32 v125, v119
	v_pk_mul_f32 v[118:119], v[120:121], v[110:111] op_sel:[0,1]
	s_delay_alu instid0(VALU_DEP_2) | instskip(NEXT) | instid1(VALU_DEP_2)
	v_pk_add_f32 v[40:41], v[40:41], v[124:125] neg_lo:[0,1] neg_hi:[0,1]
	v_pk_fma_f32 v[122:123], v[120:121], v[108:109], v[118:119] op_sel:[0,0,1] op_sel_hi:[1,1,0] neg_lo:[0,0,1] neg_hi:[0,0,1]
	v_pk_fma_f32 v[118:119], v[120:121], v[108:109], v[118:119] op_sel:[0,0,1] op_sel_hi:[1,0,0]
	s_delay_alu instid0(VALU_DEP_1) | instskip(SKIP_4) | instid1(VALU_DEP_1)
	v_mov_b32_e32 v123, v119
	ds_load_2addr_b64 v[118:121], v112 offset0:28 offset1:29
	v_pk_add_f32 v[38:39], v[38:39], v[122:123] neg_lo:[0,1] neg_hi:[0,1]
	s_wait_dscnt 0x0
	v_pk_mul_f32 v[122:123], v[118:119], v[110:111] op_sel:[0,1]
	v_pk_fma_f32 v[124:125], v[118:119], v[108:109], v[122:123] op_sel:[0,0,1] op_sel_hi:[1,1,0] neg_lo:[0,0,1] neg_hi:[0,0,1]
	v_pk_fma_f32 v[118:119], v[118:119], v[108:109], v[122:123] op_sel:[0,0,1] op_sel_hi:[1,0,0]
	v_dual_mul_f32 v122, v121, v111 :: v_dual_mov_b32 v118, v121
	s_delay_alu instid0(VALU_DEP_2) | instskip(NEXT) | instid1(VALU_DEP_2)
	v_dual_mov_b32 v125, v119 :: v_dual_mov_b32 v119, v120
	v_pk_fma_f32 v[122:123], v[120:121], v[14:15], v[122:123] op_sel_hi:[1,1,0] neg_lo:[0,0,1] neg_hi:[0,0,1]
	v_mul_f32_e32 v120, v121, v108
	s_delay_alu instid0(VALU_DEP_3) | instskip(NEXT) | instid1(VALU_DEP_2)
	v_pk_add_f32 v[70:71], v[70:71], v[124:125] neg_lo:[0,1] neg_hi:[0,1]
	v_pk_fma_f32 v[118:119], v[118:119], v[14:15], v[120:121] op_sel_hi:[1,1,0]
	s_delay_alu instid0(VALU_DEP_1) | instskip(SKIP_4) | instid1(VALU_DEP_1)
	v_mov_b32_e32 v123, v119
	ds_load_2addr_b64 v[118:121], v112 offset0:30 offset1:31
	v_pk_add_f32 v[68:69], v[68:69], v[122:123] neg_lo:[0,1] neg_hi:[0,1]
	s_wait_dscnt 0x0
	v_pk_mul_f32 v[122:123], v[118:119], v[110:111] op_sel:[0,1]
	v_pk_fma_f32 v[124:125], v[118:119], v[108:109], v[122:123] op_sel:[0,0,1] op_sel_hi:[1,1,0] neg_lo:[0,0,1] neg_hi:[0,0,1]
	v_pk_fma_f32 v[118:119], v[118:119], v[108:109], v[122:123] op_sel:[0,0,1] op_sel_hi:[1,0,0]
	s_delay_alu instid0(VALU_DEP_1) | instskip(SKIP_1) | instid1(VALU_DEP_1)
	v_mov_b32_e32 v125, v119
	v_pk_mul_f32 v[118:119], v[120:121], v[110:111] op_sel:[0,1]
	v_pk_fma_f32 v[122:123], v[120:121], v[108:109], v[118:119] op_sel:[0,0,1] op_sel_hi:[1,1,0] neg_lo:[0,0,1] neg_hi:[0,0,1]
	v_pk_fma_f32 v[118:119], v[120:121], v[108:109], v[118:119] op_sel:[0,0,1] op_sel_hi:[1,0,0]
	s_delay_alu instid0(VALU_DEP_1)
	v_mov_b32_e32 v123, v119
	ds_load_2addr_b64 v[118:121], v112 offset0:32 offset1:33
	v_pk_add_f32 v[48:49], v[48:49], v[124:125] neg_lo:[0,1] neg_hi:[0,1]
	v_pk_add_f32 v[46:47], v[46:47], v[122:123] neg_lo:[0,1] neg_hi:[0,1]
	s_wait_dscnt 0x0
	v_pk_mul_f32 v[122:123], v[118:119], v[110:111] op_sel:[0,1]
	s_delay_alu instid0(VALU_DEP_1) | instskip(SKIP_1) | instid1(VALU_DEP_1)
	v_pk_fma_f32 v[124:125], v[118:119], v[108:109], v[122:123] op_sel:[0,0,1] op_sel_hi:[1,1,0] neg_lo:[0,0,1] neg_hi:[0,0,1]
	v_pk_fma_f32 v[118:119], v[118:119], v[108:109], v[122:123] op_sel:[0,0,1] op_sel_hi:[1,0,0]
	v_mov_b32_e32 v125, v119
	v_pk_mul_f32 v[118:119], v[120:121], v[110:111] op_sel:[0,1]
	s_delay_alu instid0(VALU_DEP_1) | instskip(SKIP_1) | instid1(VALU_DEP_1)
	v_pk_fma_f32 v[122:123], v[120:121], v[108:109], v[118:119] op_sel:[0,0,1] op_sel_hi:[1,1,0] neg_lo:[0,0,1] neg_hi:[0,0,1]
	v_pk_fma_f32 v[118:119], v[120:121], v[108:109], v[118:119] op_sel:[0,0,1] op_sel_hi:[1,0,0]
	v_mov_b32_e32 v123, v119
	ds_load_2addr_b64 v[118:121], v112 offset0:34 offset1:35
	v_pk_add_f32 v[84:85], v[84:85], v[124:125] neg_lo:[0,1] neg_hi:[0,1]
	v_pk_add_f32 v[82:83], v[82:83], v[122:123] neg_lo:[0,1] neg_hi:[0,1]
	s_wait_dscnt 0x0
	v_dual_mul_f32 v122, v119, v111 :: v_dual_mul_f32 v124, v119, v108
	s_delay_alu instid0(VALU_DEP_1) | instskip(NEXT) | instid1(VALU_DEP_2)
	v_pk_fma_f32 v[122:123], v[118:119], v[14:15], v[122:123] op_sel_hi:[1,1,0] neg_lo:[0,0,1] neg_hi:[0,0,1]
	v_pk_fma_f32 v[118:119], v[118:119], v[14:15], v[124:125] op_sel:[1,0,0] op_sel_hi:[0,1,0]
	s_delay_alu instid0(VALU_DEP_1) | instskip(SKIP_1) | instid1(VALU_DEP_2)
	v_mov_b32_e32 v123, v119
	v_pk_mul_f32 v[118:119], v[120:121], v[110:111] op_sel:[0,1]
	v_pk_add_f32 v[56:57], v[56:57], v[122:123] neg_lo:[0,1] neg_hi:[0,1]
	s_delay_alu instid0(VALU_DEP_2) | instskip(SKIP_1) | instid1(VALU_DEP_1)
	v_pk_fma_f32 v[122:123], v[120:121], v[108:109], v[118:119] op_sel:[0,0,1] op_sel_hi:[1,1,0] neg_lo:[0,0,1] neg_hi:[0,0,1]
	v_pk_fma_f32 v[118:119], v[120:121], v[108:109], v[118:119] op_sel:[0,0,1] op_sel_hi:[1,0,0]
	v_mov_b32_e32 v123, v119
	ds_load_2addr_b64 v[118:121], v112 offset0:36 offset1:37
	v_pk_add_f32 v[54:55], v[54:55], v[122:123] neg_lo:[0,1] neg_hi:[0,1]
	s_wait_dscnt 0x0
	v_pk_mul_f32 v[122:123], v[118:119], v[110:111] op_sel:[0,1]
	s_delay_alu instid0(VALU_DEP_1) | instskip(SKIP_1) | instid1(VALU_DEP_1)
	v_pk_fma_f32 v[124:125], v[118:119], v[108:109], v[122:123] op_sel:[0,0,1] op_sel_hi:[1,1,0] neg_lo:[0,0,1] neg_hi:[0,0,1]
	v_pk_fma_f32 v[118:119], v[118:119], v[108:109], v[122:123] op_sel:[0,0,1] op_sel_hi:[1,0,0]
	v_mov_b32_e32 v125, v119
	v_pk_mul_f32 v[118:119], v[120:121], v[110:111] op_sel:[0,1]
	s_delay_alu instid0(VALU_DEP_2) | instskip(NEXT) | instid1(VALU_DEP_2)
	v_pk_add_f32 v[94:95], v[94:95], v[124:125] neg_lo:[0,1] neg_hi:[0,1]
	v_pk_fma_f32 v[122:123], v[120:121], v[108:109], v[118:119] op_sel:[0,0,1] op_sel_hi:[1,1,0] neg_lo:[0,0,1] neg_hi:[0,0,1]
	v_pk_fma_f32 v[118:119], v[120:121], v[108:109], v[118:119] op_sel:[0,0,1] op_sel_hi:[1,0,0]
	s_delay_alu instid0(VALU_DEP_1) | instskip(SKIP_4) | instid1(VALU_DEP_1)
	v_mov_b32_e32 v123, v119
	ds_load_2addr_b64 v[118:121], v112 offset0:38 offset1:39
	v_pk_add_f32 v[92:93], v[92:93], v[122:123] neg_lo:[0,1] neg_hi:[0,1]
	s_wait_dscnt 0x0
	v_pk_mul_f32 v[122:123], v[118:119], v[110:111] op_sel:[0,1]
	v_pk_fma_f32 v[124:125], v[118:119], v[108:109], v[122:123] op_sel:[0,0,1] op_sel_hi:[1,1,0] neg_lo:[0,0,1] neg_hi:[0,0,1]
	v_pk_fma_f32 v[118:119], v[118:119], v[108:109], v[122:123] op_sel:[0,0,1] op_sel_hi:[1,0,0]
	v_dual_mul_f32 v122, v121, v111 :: v_dual_mov_b32 v118, v121
	s_delay_alu instid0(VALU_DEP_2) | instskip(NEXT) | instid1(VALU_DEP_2)
	v_dual_mov_b32 v125, v119 :: v_dual_mov_b32 v119, v120
	v_pk_fma_f32 v[122:123], v[120:121], v[14:15], v[122:123] op_sel_hi:[1,1,0] neg_lo:[0,0,1] neg_hi:[0,0,1]
	v_mul_f32_e32 v120, v121, v108
	s_delay_alu instid0(VALU_DEP_3) | instskip(NEXT) | instid1(VALU_DEP_2)
	v_pk_add_f32 v[66:67], v[66:67], v[124:125] neg_lo:[0,1] neg_hi:[0,1]
	v_pk_fma_f32 v[118:119], v[118:119], v[14:15], v[120:121] op_sel_hi:[1,1,0]
	s_delay_alu instid0(VALU_DEP_1) | instskip(SKIP_4) | instid1(VALU_DEP_1)
	v_mov_b32_e32 v123, v119
	ds_load_2addr_b64 v[118:121], v112 offset0:40 offset1:41
	v_pk_add_f32 v[64:65], v[64:65], v[122:123] neg_lo:[0,1] neg_hi:[0,1]
	s_wait_dscnt 0x0
	v_pk_mul_f32 v[122:123], v[118:119], v[110:111] op_sel:[0,1]
	v_pk_fma_f32 v[124:125], v[118:119], v[108:109], v[122:123] op_sel:[0,0,1] op_sel_hi:[1,1,0] neg_lo:[0,0,1] neg_hi:[0,0,1]
	v_pk_fma_f32 v[118:119], v[118:119], v[108:109], v[122:123] op_sel:[0,0,1] op_sel_hi:[1,0,0]
	s_delay_alu instid0(VALU_DEP_1) | instskip(SKIP_1) | instid1(VALU_DEP_1)
	v_mov_b32_e32 v125, v119
	v_pk_mul_f32 v[118:119], v[120:121], v[110:111] op_sel:[0,1]
	v_pk_fma_f32 v[122:123], v[120:121], v[108:109], v[118:119] op_sel:[0,0,1] op_sel_hi:[1,1,0] neg_lo:[0,0,1] neg_hi:[0,0,1]
	v_pk_fma_f32 v[118:119], v[120:121], v[108:109], v[118:119] op_sel:[0,0,1] op_sel_hi:[1,0,0]
	s_delay_alu instid0(VALU_DEP_1)
	v_mov_b32_e32 v123, v119
	ds_load_2addr_b64 v[118:121], v112 offset0:42 offset1:43
	v_pk_add_f32 v[104:105], v[104:105], v[124:125] neg_lo:[0,1] neg_hi:[0,1]
	v_pk_add_f32 v[102:103], v[102:103], v[122:123] neg_lo:[0,1] neg_hi:[0,1]
	s_wait_dscnt 0x0
	v_pk_mul_f32 v[122:123], v[118:119], v[110:111] op_sel:[0,1]
	s_delay_alu instid0(VALU_DEP_1) | instskip(SKIP_1) | instid1(VALU_DEP_1)
	v_pk_fma_f32 v[124:125], v[118:119], v[108:109], v[122:123] op_sel:[0,0,1] op_sel_hi:[1,1,0] neg_lo:[0,0,1] neg_hi:[0,0,1]
	v_pk_fma_f32 v[118:119], v[118:119], v[108:109], v[122:123] op_sel:[0,0,1] op_sel_hi:[1,0,0]
	v_mov_b32_e32 v125, v119
	v_pk_mul_f32 v[118:119], v[120:121], v[110:111] op_sel:[0,1]
	s_delay_alu instid0(VALU_DEP_1) | instskip(SKIP_1) | instid1(VALU_DEP_1)
	v_pk_fma_f32 v[122:123], v[120:121], v[108:109], v[118:119] op_sel:[0,0,1] op_sel_hi:[1,1,0] neg_lo:[0,0,1] neg_hi:[0,0,1]
	v_pk_fma_f32 v[118:119], v[120:121], v[108:109], v[118:119] op_sel:[0,0,1] op_sel_hi:[1,0,0]
	v_mov_b32_e32 v123, v119
	ds_load_2addr_b64 v[118:121], v112 offset0:44 offset1:45
	v_pk_add_f32 v[76:77], v[76:77], v[124:125] neg_lo:[0,1] neg_hi:[0,1]
	v_pk_add_f32 v[74:75], v[74:75], v[122:123] neg_lo:[0,1] neg_hi:[0,1]
	s_wait_dscnt 0x0
	v_dual_mul_f32 v122, v119, v111 :: v_dual_mul_f32 v124, v119, v108
	s_delay_alu instid0(VALU_DEP_1) | instskip(NEXT) | instid1(VALU_DEP_2)
	v_pk_fma_f32 v[122:123], v[118:119], v[14:15], v[122:123] op_sel_hi:[1,1,0] neg_lo:[0,0,1] neg_hi:[0,0,1]
	v_pk_fma_f32 v[118:119], v[118:119], v[14:15], v[124:125] op_sel:[1,0,0] op_sel_hi:[0,1,0]
	s_delay_alu instid0(VALU_DEP_1) | instskip(SKIP_1) | instid1(VALU_DEP_2)
	v_mov_b32_e32 v123, v119
	v_pk_mul_f32 v[118:119], v[120:121], v[110:111] op_sel:[0,1]
	v_pk_add_f32 v[98:99], v[98:99], v[122:123] neg_lo:[0,1] neg_hi:[0,1]
	s_delay_alu instid0(VALU_DEP_2) | instskip(SKIP_1) | instid1(VALU_DEP_1)
	v_pk_fma_f32 v[122:123], v[120:121], v[108:109], v[118:119] op_sel:[0,0,1] op_sel_hi:[1,1,0] neg_lo:[0,0,1] neg_hi:[0,0,1]
	v_pk_fma_f32 v[118:119], v[120:121], v[108:109], v[118:119] op_sel:[0,0,1] op_sel_hi:[1,0,0]
	v_mov_b32_e32 v123, v119
	ds_load_2addr_b64 v[118:121], v112 offset0:46 offset1:47
	v_pk_add_f32 v[96:97], v[96:97], v[122:123] neg_lo:[0,1] neg_hi:[0,1]
	s_wait_dscnt 0x0
	v_pk_mul_f32 v[122:123], v[118:119], v[110:111] op_sel:[0,1]
	s_delay_alu instid0(VALU_DEP_1) | instskip(SKIP_1) | instid1(VALU_DEP_1)
	v_pk_fma_f32 v[124:125], v[118:119], v[108:109], v[122:123] op_sel:[0,0,1] op_sel_hi:[1,1,0] neg_lo:[0,0,1] neg_hi:[0,0,1]
	v_pk_fma_f32 v[118:119], v[118:119], v[108:109], v[122:123] op_sel:[0,0,1] op_sel_hi:[1,0,0]
	v_mov_b32_e32 v125, v119
	v_pk_mul_f32 v[118:119], v[120:121], v[110:111] op_sel:[0,1]
	s_delay_alu instid0(VALU_DEP_2) | instskip(NEXT) | instid1(VALU_DEP_2)
	v_pk_add_f32 v[80:81], v[80:81], v[124:125] neg_lo:[0,1] neg_hi:[0,1]
	v_pk_fma_f32 v[122:123], v[120:121], v[108:109], v[118:119] op_sel:[0,0,1] op_sel_hi:[1,1,0] neg_lo:[0,0,1] neg_hi:[0,0,1]
	v_pk_fma_f32 v[118:119], v[120:121], v[108:109], v[118:119] op_sel:[0,0,1] op_sel_hi:[1,0,0]
	s_delay_alu instid0(VALU_DEP_1) | instskip(SKIP_4) | instid1(VALU_DEP_1)
	v_mov_b32_e32 v123, v119
	ds_load_2addr_b64 v[118:121], v112 offset0:48 offset1:49
	v_pk_add_f32 v[78:79], v[78:79], v[122:123] neg_lo:[0,1] neg_hi:[0,1]
	s_wait_dscnt 0x0
	v_pk_mul_f32 v[122:123], v[118:119], v[110:111] op_sel:[0,1]
	v_pk_fma_f32 v[124:125], v[118:119], v[108:109], v[122:123] op_sel:[0,0,1] op_sel_hi:[1,1,0] neg_lo:[0,0,1] neg_hi:[0,0,1]
	v_pk_fma_f32 v[118:119], v[118:119], v[108:109], v[122:123] op_sel:[0,0,1] op_sel_hi:[1,0,0]
	v_dual_mul_f32 v122, v121, v111 :: v_dual_mov_b32 v118, v121
	s_delay_alu instid0(VALU_DEP_2) | instskip(NEXT) | instid1(VALU_DEP_2)
	v_dual_mov_b32 v125, v119 :: v_dual_mov_b32 v119, v120
	v_pk_fma_f32 v[122:123], v[120:121], v[14:15], v[122:123] op_sel_hi:[1,1,0] neg_lo:[0,0,1] neg_hi:[0,0,1]
	v_mul_f32_e32 v120, v121, v108
	s_delay_alu instid0(VALU_DEP_3) | instskip(NEXT) | instid1(VALU_DEP_2)
	v_pk_add_f32 v[88:89], v[88:89], v[124:125] neg_lo:[0,1] neg_hi:[0,1]
	v_pk_fma_f32 v[118:119], v[118:119], v[14:15], v[120:121] op_sel_hi:[1,1,0]
	s_delay_alu instid0(VALU_DEP_1) | instskip(SKIP_4) | instid1(VALU_DEP_1)
	v_mov_b32_e32 v123, v119
	ds_load_b64 v[118:119], v112 offset:400
	v_pk_add_f32 v[86:87], v[86:87], v[122:123] neg_lo:[0,1] neg_hi:[0,1]
	s_wait_dscnt 0x0
	v_pk_mul_f32 v[110:111], v[118:119], v[110:111] op_sel:[0,1]
	v_pk_fma_f32 v[120:121], v[118:119], v[108:109], v[110:111] op_sel:[0,0,1] op_sel_hi:[1,1,0] neg_lo:[0,0,1] neg_hi:[0,0,1]
	v_pk_fma_f32 v[108:109], v[118:119], v[108:109], v[110:111] op_sel:[0,0,1] op_sel_hi:[1,0,0]
	s_delay_alu instid0(VALU_DEP_1) | instskip(NEXT) | instid1(VALU_DEP_1)
	v_mov_b32_e32 v121, v109
	v_pk_add_f32 v[106:107], v[106:107], v[120:121] neg_lo:[0,1] neg_hi:[0,1]
.LBB100_335:
	s_or_b32 exec_lo, exec_lo, s0
	v_lshl_add_u32 v108, v116, 3, v112
	s_barrier_signal -1
	s_barrier_wait -1
	ds_store_b64 v108, v[44:45]
	s_wait_dscnt 0x0
	s_barrier_signal -1
	s_barrier_wait -1
	ds_load_b64 v[110:111], v112 offset:128
	v_mov_b32_e32 v108, 16
	s_cmp_lt_i32 s18, 18
	s_cbranch_scc1 .LBB100_338
; %bb.336:
	v_add3_u32 v109, v113, 0, 0x88
	v_mov_b32_e32 v108, 16
	s_mov_b32 s0, 17
.LBB100_337:                            ; =>This Inner Loop Header: Depth=1
	ds_load_b64 v[118:119], v109
	s_wait_dscnt 0x1
	v_cmp_gt_f32_e32 vcc_lo, 0, v110
	v_cndmask_b32_e64 v120, v110, -v110, vcc_lo
	v_cmp_gt_f32_e32 vcc_lo, 0, v111
	v_cndmask_b32_e64 v122, v111, -v111, vcc_lo
	s_wait_dscnt 0x0
	v_cmp_gt_f32_e32 vcc_lo, 0, v118
	v_cndmask_b32_e64 v121, v118, -v118, vcc_lo
	v_cmp_gt_f32_e32 vcc_lo, 0, v119
	v_cndmask_b32_e64 v123, v119, -v119, vcc_lo
	s_delay_alu instid0(VALU_DEP_1) | instskip(NEXT) | instid1(VALU_DEP_1)
	v_pk_add_f32 v[120:121], v[120:121], v[122:123]
	v_cmp_lt_f32_e32 vcc_lo, v120, v121
	v_dual_add_nc_u32 v109, 8, v109 :: v_dual_cndmask_b32 v111, v111, v119, vcc_lo
	v_cndmask_b32_e32 v110, v110, v118, vcc_lo
	v_cndmask_b32_e64 v108, v108, s0, vcc_lo
	s_add_co_i32 s0, s0, 1
	s_delay_alu instid0(SALU_CYCLE_1)
	s_cmp_lg_u32 s18, s0
	s_cbranch_scc1 .LBB100_337
.LBB100_338:
	s_wait_dscnt 0x0
	v_cmp_eq_f32_e32 vcc_lo, 0, v110
	v_cmp_eq_f32_e64 s0, 0, v111
	s_and_b32 s0, vcc_lo, s0
	s_delay_alu instid0(SALU_CYCLE_1) | instskip(NEXT) | instid1(SALU_CYCLE_1)
	s_and_saveexec_b32 s1, s0
	s_xor_b32 s0, exec_lo, s1
; %bb.339:
	v_cmp_ne_u32_e32 vcc_lo, 0, v114
	v_cndmask_b32_e32 v114, 17, v114, vcc_lo
; %bb.340:
	s_and_not1_saveexec_b32 s0, s0
	s_cbranch_execz .LBB100_346
; %bb.341:
	v_cmp_ngt_f32_e64 s1, |v110|, |v111|
	s_and_saveexec_b32 s12, s1
	s_delay_alu instid0(SALU_CYCLE_1)
	s_xor_b32 s1, exec_lo, s12
	s_cbranch_execz .LBB100_343
; %bb.342:
	v_div_scale_f32 v109, null, v111, v111, v110
	v_div_scale_f32 v119, vcc_lo, v110, v111, v110
	s_delay_alu instid0(VALU_DEP_2) | instskip(SKIP_1) | instid1(TRANS32_DEP_1)
	v_rcp_f32_e32 v117, v109
	v_nop
	v_fma_f32 v118, -v109, v117, 1.0
	s_delay_alu instid0(VALU_DEP_1) | instskip(NEXT) | instid1(VALU_DEP_1)
	v_fmac_f32_e32 v117, v118, v117
	v_mul_f32_e32 v118, v119, v117
	s_delay_alu instid0(VALU_DEP_1) | instskip(NEXT) | instid1(VALU_DEP_1)
	v_fma_f32 v120, -v109, v118, v119
	v_fmac_f32_e32 v118, v120, v117
	s_delay_alu instid0(VALU_DEP_1) | instskip(NEXT) | instid1(VALU_DEP_1)
	v_fma_f32 v109, -v109, v118, v119
	v_div_fmas_f32 v109, v109, v117, v118
	s_delay_alu instid0(VALU_DEP_1) | instskip(NEXT) | instid1(VALU_DEP_1)
	v_div_fixup_f32 v109, v109, v111, v110
	v_fmac_f32_e32 v111, v110, v109
	s_delay_alu instid0(VALU_DEP_1) | instskip(SKIP_1) | instid1(VALU_DEP_2)
	v_div_scale_f32 v110, null, v111, v111, 1.0
	v_div_scale_f32 v119, vcc_lo, 1.0, v111, 1.0
	v_rcp_f32_e32 v117, v110
	v_nop
	s_delay_alu instid0(TRANS32_DEP_1) | instskip(NEXT) | instid1(VALU_DEP_1)
	v_fma_f32 v118, -v110, v117, 1.0
	v_fmac_f32_e32 v117, v118, v117
	s_delay_alu instid0(VALU_DEP_1) | instskip(NEXT) | instid1(VALU_DEP_1)
	v_mul_f32_e32 v118, v119, v117
	v_fma_f32 v120, -v110, v118, v119
	s_delay_alu instid0(VALU_DEP_1) | instskip(NEXT) | instid1(VALU_DEP_1)
	v_fmac_f32_e32 v118, v120, v117
	v_fma_f32 v110, -v110, v118, v119
	s_delay_alu instid0(VALU_DEP_1) | instskip(NEXT) | instid1(VALU_DEP_1)
	v_div_fmas_f32 v110, v110, v117, v118
	v_div_fixup_f32 v111, v110, v111, 1.0
	s_delay_alu instid0(VALU_DEP_1)
	v_mul_f32_e32 v110, v109, v111
	v_xor_b32_e32 v111, 0x80000000, v111
.LBB100_343:
	s_and_not1_saveexec_b32 s1, s1
	s_cbranch_execz .LBB100_345
; %bb.344:
	s_delay_alu instid0(VALU_DEP_1) | instskip(SKIP_1) | instid1(VALU_DEP_2)
	v_div_scale_f32 v109, null, v110, v110, v111
	v_div_scale_f32 v119, vcc_lo, v111, v110, v111
	v_rcp_f32_e32 v117, v109
	v_nop
	s_delay_alu instid0(TRANS32_DEP_1) | instskip(NEXT) | instid1(VALU_DEP_1)
	v_fma_f32 v118, -v109, v117, 1.0
	v_fmac_f32_e32 v117, v118, v117
	s_delay_alu instid0(VALU_DEP_1) | instskip(NEXT) | instid1(VALU_DEP_1)
	v_mul_f32_e32 v118, v119, v117
	v_fma_f32 v120, -v109, v118, v119
	s_delay_alu instid0(VALU_DEP_1) | instskip(NEXT) | instid1(VALU_DEP_1)
	v_fmac_f32_e32 v118, v120, v117
	v_fma_f32 v109, -v109, v118, v119
	s_delay_alu instid0(VALU_DEP_1) | instskip(NEXT) | instid1(VALU_DEP_1)
	v_div_fmas_f32 v109, v109, v117, v118
	v_div_fixup_f32 v109, v109, v110, v111
	s_delay_alu instid0(VALU_DEP_1) | instskip(NEXT) | instid1(VALU_DEP_1)
	v_fmac_f32_e32 v110, v111, v109
	v_div_scale_f32 v111, null, v110, v110, 1.0
	s_delay_alu instid0(VALU_DEP_1) | instskip(SKIP_1) | instid1(TRANS32_DEP_1)
	v_rcp_f32_e32 v117, v111
	v_nop
	v_fma_f32 v118, -v111, v117, 1.0
	s_delay_alu instid0(VALU_DEP_1) | instskip(SKIP_1) | instid1(VALU_DEP_1)
	v_fmac_f32_e32 v117, v118, v117
	v_div_scale_f32 v118, vcc_lo, 1.0, v110, 1.0
	v_mul_f32_e32 v119, v118, v117
	s_delay_alu instid0(VALU_DEP_1) | instskip(NEXT) | instid1(VALU_DEP_1)
	v_fma_f32 v120, -v111, v119, v118
	v_fmac_f32_e32 v119, v120, v117
	s_delay_alu instid0(VALU_DEP_1) | instskip(NEXT) | instid1(VALU_DEP_1)
	v_fma_f32 v111, -v111, v119, v118
	v_div_fmas_f32 v111, v111, v117, v119
	s_delay_alu instid0(VALU_DEP_1) | instskip(NEXT) | instid1(VALU_DEP_1)
	v_div_fixup_f32 v110, v111, v110, 1.0
	v_mul_f32_e64 v111, v109, -v110
.LBB100_345:
	s_or_b32 exec_lo, exec_lo, s1
.LBB100_346:
	s_delay_alu instid0(SALU_CYCLE_1) | instskip(NEXT) | instid1(SALU_CYCLE_1)
	s_or_b32 exec_lo, exec_lo, s0
	s_mov_b32 s0, exec_lo
	v_cmpx_ne_u32_e64 v116, v108
	s_xor_b32 s0, exec_lo, s0
	s_cbranch_execz .LBB100_352
; %bb.347:
	s_mov_b32 s1, exec_lo
	v_cmpx_eq_u32_e32 16, v116
	s_cbranch_execz .LBB100_351
; %bb.348:
	v_cmp_ne_u32_e32 vcc_lo, 16, v108
	s_xor_b32 s12, s16, -1
	s_delay_alu instid0(SALU_CYCLE_1) | instskip(NEXT) | instid1(SALU_CYCLE_1)
	s_and_b32 s13, s12, vcc_lo
	s_and_saveexec_b32 s12, s13
	s_cbranch_execz .LBB100_350
; %bb.349:
	v_ashrrev_i32_e32 v109, 31, v108
	s_delay_alu instid0(VALU_DEP_1)
	v_lshl_add_u64 v[116:117], v[108:109], 2, v[4:5]
	s_clause 0x1
	global_load_b32 v109, v[116:117], off
	global_load_b32 v115, v[4:5], off offset:64
	s_wait_loadcnt 0x1
	global_store_b32 v[4:5], v109, off offset:64
	s_wait_loadcnt 0x0
	global_store_b32 v[116:117], v115, off
.LBB100_350:
	s_wait_xcnt 0x0
	s_or_b32 exec_lo, exec_lo, s12
	v_dual_mov_b32 v116, v108 :: v_dual_mov_b32 v115, v108
.LBB100_351:
	s_or_b32 exec_lo, exec_lo, s1
.LBB100_352:
	s_and_not1_saveexec_b32 s0, s0
	s_cbranch_execz .LBB100_354
; %bb.353:
	v_mov_b32_e32 v116, 16
	ds_store_2addr_b64 v112, v[42:43], v[22:23] offset0:17 offset1:18
	ds_store_2addr_b64 v112, v[20:21], v[52:53] offset0:19 offset1:20
	;; [unrolled: 1-line block ×17, first 2 shown]
.LBB100_354:
	s_or_b32 exec_lo, exec_lo, s0
	s_delay_alu instid0(SALU_CYCLE_1)
	s_mov_b32 s0, exec_lo
	s_wait_storecnt_dscnt 0x0
	s_barrier_signal -1
	s_barrier_wait -1
	v_cmpx_lt_i32_e32 16, v116
	s_cbranch_execz .LBB100_356
; %bb.355:
	v_pk_mul_f32 v[118:119], v[110:111], v[44:45] op_sel:[1,1] op_sel_hi:[0,1]
	s_delay_alu instid0(VALU_DEP_1)
	v_pk_fma_f32 v[108:109], v[110:111], v[44:45], v[118:119] op_sel_hi:[1,0,1] neg_lo:[0,0,1] neg_hi:[0,0,1]
	v_pk_fma_f32 v[110:111], v[110:111], v[44:45], v[118:119] op_sel_hi:[1,0,1]
	ds_load_2addr_b64 v[118:121], v112 offset0:17 offset1:18
	v_dual_mov_b32 v44, v108 :: v_dual_mov_b32 v45, v111
	s_wait_dscnt 0x0
	v_pk_mul_f32 v[122:123], v[118:119], v[110:111] op_sel:[0,1]
	s_delay_alu instid0(VALU_DEP_1) | instskip(SKIP_1) | instid1(VALU_DEP_1)
	v_pk_fma_f32 v[124:125], v[118:119], v[108:109], v[122:123] op_sel:[0,0,1] op_sel_hi:[1,1,0] neg_lo:[0,0,1] neg_hi:[0,0,1]
	v_pk_fma_f32 v[118:119], v[118:119], v[108:109], v[122:123] op_sel:[0,0,1] op_sel_hi:[1,0,0]
	v_mov_b32_e32 v125, v119
	v_pk_mul_f32 v[118:119], v[120:121], v[110:111] op_sel:[0,1]
	s_delay_alu instid0(VALU_DEP_1) | instskip(SKIP_1) | instid1(VALU_DEP_1)
	v_pk_fma_f32 v[122:123], v[120:121], v[108:109], v[118:119] op_sel:[0,0,1] op_sel_hi:[1,1,0] neg_lo:[0,0,1] neg_hi:[0,0,1]
	v_pk_fma_f32 v[118:119], v[120:121], v[108:109], v[118:119] op_sel:[0,0,1] op_sel_hi:[1,0,0]
	v_mov_b32_e32 v123, v119
	ds_load_2addr_b64 v[118:121], v112 offset0:19 offset1:20
	v_pk_add_f32 v[42:43], v[42:43], v[124:125] neg_lo:[0,1] neg_hi:[0,1]
	v_pk_add_f32 v[22:23], v[22:23], v[122:123] neg_lo:[0,1] neg_hi:[0,1]
	s_wait_dscnt 0x0
	v_pk_mul_f32 v[122:123], v[118:119], v[110:111] op_sel:[0,1]
	s_delay_alu instid0(VALU_DEP_1) | instskip(SKIP_2) | instid1(VALU_DEP_2)
	v_pk_fma_f32 v[124:125], v[118:119], v[108:109], v[122:123] op_sel:[0,0,1] op_sel_hi:[1,1,0] neg_lo:[0,0,1] neg_hi:[0,0,1]
	v_pk_fma_f32 v[118:119], v[118:119], v[108:109], v[122:123] op_sel:[0,0,1] op_sel_hi:[1,0,0]
	v_dual_mul_f32 v122, v121, v111 :: v_dual_mov_b32 v118, v121
	v_dual_mov_b32 v125, v119 :: v_dual_mov_b32 v119, v120
	s_delay_alu instid0(VALU_DEP_2) | instskip(SKIP_1) | instid1(VALU_DEP_3)
	v_pk_fma_f32 v[122:123], v[120:121], v[44:45], v[122:123] op_sel_hi:[1,1,0] neg_lo:[0,0,1] neg_hi:[0,0,1]
	v_mul_f32_e32 v120, v121, v108
	v_pk_add_f32 v[20:21], v[20:21], v[124:125] neg_lo:[0,1] neg_hi:[0,1]
	s_delay_alu instid0(VALU_DEP_2) | instskip(NEXT) | instid1(VALU_DEP_1)
	v_pk_fma_f32 v[118:119], v[118:119], v[44:45], v[120:121] op_sel_hi:[1,1,0]
	v_mov_b32_e32 v123, v119
	ds_load_2addr_b64 v[118:121], v112 offset0:21 offset1:22
	v_pk_add_f32 v[52:53], v[52:53], v[122:123] neg_lo:[0,1] neg_hi:[0,1]
	s_wait_dscnt 0x0
	v_pk_mul_f32 v[122:123], v[118:119], v[110:111] op_sel:[0,1]
	s_delay_alu instid0(VALU_DEP_1) | instskip(SKIP_1) | instid1(VALU_DEP_1)
	v_pk_fma_f32 v[124:125], v[118:119], v[108:109], v[122:123] op_sel:[0,0,1] op_sel_hi:[1,1,0] neg_lo:[0,0,1] neg_hi:[0,0,1]
	v_pk_fma_f32 v[118:119], v[118:119], v[108:109], v[122:123] op_sel:[0,0,1] op_sel_hi:[1,0,0]
	v_mov_b32_e32 v125, v119
	v_pk_mul_f32 v[118:119], v[120:121], v[110:111] op_sel:[0,1]
	s_delay_alu instid0(VALU_DEP_1) | instskip(SKIP_1) | instid1(VALU_DEP_1)
	v_pk_fma_f32 v[122:123], v[120:121], v[108:109], v[118:119] op_sel:[0,0,1] op_sel_hi:[1,1,0] neg_lo:[0,0,1] neg_hi:[0,0,1]
	v_pk_fma_f32 v[118:119], v[120:121], v[108:109], v[118:119] op_sel:[0,0,1] op_sel_hi:[1,0,0]
	v_mov_b32_e32 v123, v119
	ds_load_2addr_b64 v[118:121], v112 offset0:23 offset1:24
	v_pk_add_f32 v[50:51], v[50:51], v[124:125] neg_lo:[0,1] neg_hi:[0,1]
	v_pk_add_f32 v[32:33], v[32:33], v[122:123] neg_lo:[0,1] neg_hi:[0,1]
	s_wait_dscnt 0x0
	v_pk_mul_f32 v[122:123], v[118:119], v[110:111] op_sel:[0,1]
	s_delay_alu instid0(VALU_DEP_1) | instskip(SKIP_1) | instid1(VALU_DEP_1)
	v_pk_fma_f32 v[124:125], v[118:119], v[108:109], v[122:123] op_sel:[0,0,1] op_sel_hi:[1,1,0] neg_lo:[0,0,1] neg_hi:[0,0,1]
	v_pk_fma_f32 v[118:119], v[118:119], v[108:109], v[122:123] op_sel:[0,0,1] op_sel_hi:[1,0,0]
	v_mov_b32_e32 v125, v119
	v_pk_mul_f32 v[118:119], v[120:121], v[110:111] op_sel:[0,1]
	s_delay_alu instid0(VALU_DEP_1) | instskip(SKIP_1) | instid1(VALU_DEP_1)
	v_pk_fma_f32 v[122:123], v[120:121], v[108:109], v[118:119] op_sel:[0,0,1] op_sel_hi:[1,1,0] neg_lo:[0,0,1] neg_hi:[0,0,1]
	v_pk_fma_f32 v[118:119], v[120:121], v[108:109], v[118:119] op_sel:[0,0,1] op_sel_hi:[1,0,0]
	v_mov_b32_e32 v123, v119
	ds_load_2addr_b64 v[118:121], v112 offset0:25 offset1:26
	v_pk_add_f32 v[30:31], v[30:31], v[124:125] neg_lo:[0,1] neg_hi:[0,1]
	v_pk_add_f32 v[62:63], v[62:63], v[122:123] neg_lo:[0,1] neg_hi:[0,1]
	s_wait_dscnt 0x0
	v_dual_mul_f32 v122, v119, v111 :: v_dual_mul_f32 v124, v119, v108
	s_delay_alu instid0(VALU_DEP_1) | instskip(NEXT) | instid1(VALU_DEP_2)
	v_pk_fma_f32 v[122:123], v[118:119], v[44:45], v[122:123] op_sel_hi:[1,1,0] neg_lo:[0,0,1] neg_hi:[0,0,1]
	v_pk_fma_f32 v[118:119], v[118:119], v[44:45], v[124:125] op_sel:[1,0,0] op_sel_hi:[0,1,0]
	s_delay_alu instid0(VALU_DEP_1) | instskip(SKIP_1) | instid1(VALU_DEP_2)
	v_mov_b32_e32 v123, v119
	v_pk_mul_f32 v[118:119], v[120:121], v[110:111] op_sel:[0,1]
	v_pk_add_f32 v[60:61], v[60:61], v[122:123] neg_lo:[0,1] neg_hi:[0,1]
	s_delay_alu instid0(VALU_DEP_2) | instskip(SKIP_1) | instid1(VALU_DEP_1)
	v_pk_fma_f32 v[122:123], v[120:121], v[108:109], v[118:119] op_sel:[0,0,1] op_sel_hi:[1,1,0] neg_lo:[0,0,1] neg_hi:[0,0,1]
	v_pk_fma_f32 v[118:119], v[120:121], v[108:109], v[118:119] op_sel:[0,0,1] op_sel_hi:[1,0,0]
	v_mov_b32_e32 v123, v119
	ds_load_2addr_b64 v[118:121], v112 offset0:27 offset1:28
	v_pk_add_f32 v[40:41], v[40:41], v[122:123] neg_lo:[0,1] neg_hi:[0,1]
	s_wait_dscnt 0x0
	v_pk_mul_f32 v[122:123], v[118:119], v[110:111] op_sel:[0,1]
	s_delay_alu instid0(VALU_DEP_1) | instskip(SKIP_1) | instid1(VALU_DEP_1)
	v_pk_fma_f32 v[124:125], v[118:119], v[108:109], v[122:123] op_sel:[0,0,1] op_sel_hi:[1,1,0] neg_lo:[0,0,1] neg_hi:[0,0,1]
	v_pk_fma_f32 v[118:119], v[118:119], v[108:109], v[122:123] op_sel:[0,0,1] op_sel_hi:[1,0,0]
	v_mov_b32_e32 v125, v119
	v_pk_mul_f32 v[118:119], v[120:121], v[110:111] op_sel:[0,1]
	s_delay_alu instid0(VALU_DEP_2) | instskip(NEXT) | instid1(VALU_DEP_2)
	v_pk_add_f32 v[38:39], v[38:39], v[124:125] neg_lo:[0,1] neg_hi:[0,1]
	v_pk_fma_f32 v[122:123], v[120:121], v[108:109], v[118:119] op_sel:[0,0,1] op_sel_hi:[1,1,0] neg_lo:[0,0,1] neg_hi:[0,0,1]
	v_pk_fma_f32 v[118:119], v[120:121], v[108:109], v[118:119] op_sel:[0,0,1] op_sel_hi:[1,0,0]
	s_delay_alu instid0(VALU_DEP_1) | instskip(SKIP_4) | instid1(VALU_DEP_1)
	v_mov_b32_e32 v123, v119
	ds_load_2addr_b64 v[118:121], v112 offset0:29 offset1:30
	v_pk_add_f32 v[70:71], v[70:71], v[122:123] neg_lo:[0,1] neg_hi:[0,1]
	s_wait_dscnt 0x0
	v_pk_mul_f32 v[122:123], v[118:119], v[110:111] op_sel:[0,1]
	v_pk_fma_f32 v[124:125], v[118:119], v[108:109], v[122:123] op_sel:[0,0,1] op_sel_hi:[1,1,0] neg_lo:[0,0,1] neg_hi:[0,0,1]
	v_pk_fma_f32 v[118:119], v[118:119], v[108:109], v[122:123] op_sel:[0,0,1] op_sel_hi:[1,0,0]
	v_dual_mul_f32 v122, v121, v111 :: v_dual_mov_b32 v118, v121
	s_delay_alu instid0(VALU_DEP_2) | instskip(NEXT) | instid1(VALU_DEP_2)
	v_dual_mov_b32 v125, v119 :: v_dual_mov_b32 v119, v120
	v_pk_fma_f32 v[122:123], v[120:121], v[44:45], v[122:123] op_sel_hi:[1,1,0] neg_lo:[0,0,1] neg_hi:[0,0,1]
	v_mul_f32_e32 v120, v121, v108
	s_delay_alu instid0(VALU_DEP_3) | instskip(NEXT) | instid1(VALU_DEP_2)
	v_pk_add_f32 v[68:69], v[68:69], v[124:125] neg_lo:[0,1] neg_hi:[0,1]
	v_pk_fma_f32 v[118:119], v[118:119], v[44:45], v[120:121] op_sel_hi:[1,1,0]
	s_delay_alu instid0(VALU_DEP_1) | instskip(SKIP_4) | instid1(VALU_DEP_1)
	v_mov_b32_e32 v123, v119
	ds_load_2addr_b64 v[118:121], v112 offset0:31 offset1:32
	v_pk_add_f32 v[48:49], v[48:49], v[122:123] neg_lo:[0,1] neg_hi:[0,1]
	s_wait_dscnt 0x0
	v_pk_mul_f32 v[122:123], v[118:119], v[110:111] op_sel:[0,1]
	v_pk_fma_f32 v[124:125], v[118:119], v[108:109], v[122:123] op_sel:[0,0,1] op_sel_hi:[1,1,0] neg_lo:[0,0,1] neg_hi:[0,0,1]
	v_pk_fma_f32 v[118:119], v[118:119], v[108:109], v[122:123] op_sel:[0,0,1] op_sel_hi:[1,0,0]
	s_delay_alu instid0(VALU_DEP_1) | instskip(SKIP_1) | instid1(VALU_DEP_1)
	v_mov_b32_e32 v125, v119
	v_pk_mul_f32 v[118:119], v[120:121], v[110:111] op_sel:[0,1]
	v_pk_fma_f32 v[122:123], v[120:121], v[108:109], v[118:119] op_sel:[0,0,1] op_sel_hi:[1,1,0] neg_lo:[0,0,1] neg_hi:[0,0,1]
	v_pk_fma_f32 v[118:119], v[120:121], v[108:109], v[118:119] op_sel:[0,0,1] op_sel_hi:[1,0,0]
	s_delay_alu instid0(VALU_DEP_1)
	v_mov_b32_e32 v123, v119
	ds_load_2addr_b64 v[118:121], v112 offset0:33 offset1:34
	v_pk_add_f32 v[46:47], v[46:47], v[124:125] neg_lo:[0,1] neg_hi:[0,1]
	v_pk_add_f32 v[84:85], v[84:85], v[122:123] neg_lo:[0,1] neg_hi:[0,1]
	s_wait_dscnt 0x0
	v_pk_mul_f32 v[122:123], v[118:119], v[110:111] op_sel:[0,1]
	s_delay_alu instid0(VALU_DEP_1) | instskip(SKIP_1) | instid1(VALU_DEP_1)
	v_pk_fma_f32 v[124:125], v[118:119], v[108:109], v[122:123] op_sel:[0,0,1] op_sel_hi:[1,1,0] neg_lo:[0,0,1] neg_hi:[0,0,1]
	v_pk_fma_f32 v[118:119], v[118:119], v[108:109], v[122:123] op_sel:[0,0,1] op_sel_hi:[1,0,0]
	v_mov_b32_e32 v125, v119
	v_pk_mul_f32 v[118:119], v[120:121], v[110:111] op_sel:[0,1]
	s_delay_alu instid0(VALU_DEP_1) | instskip(SKIP_1) | instid1(VALU_DEP_1)
	v_pk_fma_f32 v[122:123], v[120:121], v[108:109], v[118:119] op_sel:[0,0,1] op_sel_hi:[1,1,0] neg_lo:[0,0,1] neg_hi:[0,0,1]
	v_pk_fma_f32 v[118:119], v[120:121], v[108:109], v[118:119] op_sel:[0,0,1] op_sel_hi:[1,0,0]
	v_mov_b32_e32 v123, v119
	ds_load_2addr_b64 v[118:121], v112 offset0:35 offset1:36
	v_pk_add_f32 v[82:83], v[82:83], v[124:125] neg_lo:[0,1] neg_hi:[0,1]
	v_pk_add_f32 v[56:57], v[56:57], v[122:123] neg_lo:[0,1] neg_hi:[0,1]
	s_wait_dscnt 0x0
	v_dual_mul_f32 v122, v119, v111 :: v_dual_mul_f32 v124, v119, v108
	s_delay_alu instid0(VALU_DEP_1) | instskip(NEXT) | instid1(VALU_DEP_2)
	v_pk_fma_f32 v[122:123], v[118:119], v[44:45], v[122:123] op_sel_hi:[1,1,0] neg_lo:[0,0,1] neg_hi:[0,0,1]
	v_pk_fma_f32 v[118:119], v[118:119], v[44:45], v[124:125] op_sel:[1,0,0] op_sel_hi:[0,1,0]
	s_delay_alu instid0(VALU_DEP_1) | instskip(SKIP_1) | instid1(VALU_DEP_2)
	v_mov_b32_e32 v123, v119
	v_pk_mul_f32 v[118:119], v[120:121], v[110:111] op_sel:[0,1]
	v_pk_add_f32 v[54:55], v[54:55], v[122:123] neg_lo:[0,1] neg_hi:[0,1]
	s_delay_alu instid0(VALU_DEP_2) | instskip(SKIP_1) | instid1(VALU_DEP_1)
	v_pk_fma_f32 v[122:123], v[120:121], v[108:109], v[118:119] op_sel:[0,0,1] op_sel_hi:[1,1,0] neg_lo:[0,0,1] neg_hi:[0,0,1]
	v_pk_fma_f32 v[118:119], v[120:121], v[108:109], v[118:119] op_sel:[0,0,1] op_sel_hi:[1,0,0]
	v_mov_b32_e32 v123, v119
	ds_load_2addr_b64 v[118:121], v112 offset0:37 offset1:38
	v_pk_add_f32 v[94:95], v[94:95], v[122:123] neg_lo:[0,1] neg_hi:[0,1]
	s_wait_dscnt 0x0
	v_pk_mul_f32 v[122:123], v[118:119], v[110:111] op_sel:[0,1]
	s_delay_alu instid0(VALU_DEP_1) | instskip(SKIP_1) | instid1(VALU_DEP_1)
	v_pk_fma_f32 v[124:125], v[118:119], v[108:109], v[122:123] op_sel:[0,0,1] op_sel_hi:[1,1,0] neg_lo:[0,0,1] neg_hi:[0,0,1]
	v_pk_fma_f32 v[118:119], v[118:119], v[108:109], v[122:123] op_sel:[0,0,1] op_sel_hi:[1,0,0]
	v_mov_b32_e32 v125, v119
	v_pk_mul_f32 v[118:119], v[120:121], v[110:111] op_sel:[0,1]
	s_delay_alu instid0(VALU_DEP_2) | instskip(NEXT) | instid1(VALU_DEP_2)
	v_pk_add_f32 v[92:93], v[92:93], v[124:125] neg_lo:[0,1] neg_hi:[0,1]
	v_pk_fma_f32 v[122:123], v[120:121], v[108:109], v[118:119] op_sel:[0,0,1] op_sel_hi:[1,1,0] neg_lo:[0,0,1] neg_hi:[0,0,1]
	v_pk_fma_f32 v[118:119], v[120:121], v[108:109], v[118:119] op_sel:[0,0,1] op_sel_hi:[1,0,0]
	s_delay_alu instid0(VALU_DEP_1) | instskip(SKIP_4) | instid1(VALU_DEP_1)
	v_mov_b32_e32 v123, v119
	ds_load_2addr_b64 v[118:121], v112 offset0:39 offset1:40
	v_pk_add_f32 v[66:67], v[66:67], v[122:123] neg_lo:[0,1] neg_hi:[0,1]
	s_wait_dscnt 0x0
	v_pk_mul_f32 v[122:123], v[118:119], v[110:111] op_sel:[0,1]
	v_pk_fma_f32 v[124:125], v[118:119], v[108:109], v[122:123] op_sel:[0,0,1] op_sel_hi:[1,1,0] neg_lo:[0,0,1] neg_hi:[0,0,1]
	v_pk_fma_f32 v[118:119], v[118:119], v[108:109], v[122:123] op_sel:[0,0,1] op_sel_hi:[1,0,0]
	v_dual_mul_f32 v122, v121, v111 :: v_dual_mov_b32 v118, v121
	s_delay_alu instid0(VALU_DEP_2) | instskip(NEXT) | instid1(VALU_DEP_2)
	v_dual_mov_b32 v125, v119 :: v_dual_mov_b32 v119, v120
	v_pk_fma_f32 v[122:123], v[120:121], v[44:45], v[122:123] op_sel_hi:[1,1,0] neg_lo:[0,0,1] neg_hi:[0,0,1]
	v_mul_f32_e32 v120, v121, v108
	s_delay_alu instid0(VALU_DEP_3) | instskip(NEXT) | instid1(VALU_DEP_2)
	v_pk_add_f32 v[64:65], v[64:65], v[124:125] neg_lo:[0,1] neg_hi:[0,1]
	v_pk_fma_f32 v[118:119], v[118:119], v[44:45], v[120:121] op_sel_hi:[1,1,0]
	s_delay_alu instid0(VALU_DEP_1) | instskip(SKIP_4) | instid1(VALU_DEP_1)
	v_mov_b32_e32 v123, v119
	ds_load_2addr_b64 v[118:121], v112 offset0:41 offset1:42
	v_pk_add_f32 v[104:105], v[104:105], v[122:123] neg_lo:[0,1] neg_hi:[0,1]
	s_wait_dscnt 0x0
	v_pk_mul_f32 v[122:123], v[118:119], v[110:111] op_sel:[0,1]
	v_pk_fma_f32 v[124:125], v[118:119], v[108:109], v[122:123] op_sel:[0,0,1] op_sel_hi:[1,1,0] neg_lo:[0,0,1] neg_hi:[0,0,1]
	v_pk_fma_f32 v[118:119], v[118:119], v[108:109], v[122:123] op_sel:[0,0,1] op_sel_hi:[1,0,0]
	s_delay_alu instid0(VALU_DEP_1) | instskip(SKIP_1) | instid1(VALU_DEP_1)
	v_mov_b32_e32 v125, v119
	v_pk_mul_f32 v[118:119], v[120:121], v[110:111] op_sel:[0,1]
	v_pk_fma_f32 v[122:123], v[120:121], v[108:109], v[118:119] op_sel:[0,0,1] op_sel_hi:[1,1,0] neg_lo:[0,0,1] neg_hi:[0,0,1]
	v_pk_fma_f32 v[118:119], v[120:121], v[108:109], v[118:119] op_sel:[0,0,1] op_sel_hi:[1,0,0]
	s_delay_alu instid0(VALU_DEP_1)
	v_mov_b32_e32 v123, v119
	ds_load_2addr_b64 v[118:121], v112 offset0:43 offset1:44
	v_pk_add_f32 v[102:103], v[102:103], v[124:125] neg_lo:[0,1] neg_hi:[0,1]
	v_pk_add_f32 v[76:77], v[76:77], v[122:123] neg_lo:[0,1] neg_hi:[0,1]
	s_wait_dscnt 0x0
	v_pk_mul_f32 v[122:123], v[118:119], v[110:111] op_sel:[0,1]
	s_delay_alu instid0(VALU_DEP_1) | instskip(SKIP_1) | instid1(VALU_DEP_1)
	v_pk_fma_f32 v[124:125], v[118:119], v[108:109], v[122:123] op_sel:[0,0,1] op_sel_hi:[1,1,0] neg_lo:[0,0,1] neg_hi:[0,0,1]
	v_pk_fma_f32 v[118:119], v[118:119], v[108:109], v[122:123] op_sel:[0,0,1] op_sel_hi:[1,0,0]
	v_mov_b32_e32 v125, v119
	v_pk_mul_f32 v[118:119], v[120:121], v[110:111] op_sel:[0,1]
	s_delay_alu instid0(VALU_DEP_1) | instskip(SKIP_1) | instid1(VALU_DEP_1)
	v_pk_fma_f32 v[122:123], v[120:121], v[108:109], v[118:119] op_sel:[0,0,1] op_sel_hi:[1,1,0] neg_lo:[0,0,1] neg_hi:[0,0,1]
	v_pk_fma_f32 v[118:119], v[120:121], v[108:109], v[118:119] op_sel:[0,0,1] op_sel_hi:[1,0,0]
	v_mov_b32_e32 v123, v119
	ds_load_2addr_b64 v[118:121], v112 offset0:45 offset1:46
	v_pk_add_f32 v[74:75], v[74:75], v[124:125] neg_lo:[0,1] neg_hi:[0,1]
	v_pk_add_f32 v[98:99], v[98:99], v[122:123] neg_lo:[0,1] neg_hi:[0,1]
	s_wait_dscnt 0x0
	v_dual_mul_f32 v122, v119, v111 :: v_dual_mul_f32 v124, v119, v108
	s_delay_alu instid0(VALU_DEP_1) | instskip(NEXT) | instid1(VALU_DEP_2)
	v_pk_fma_f32 v[122:123], v[118:119], v[44:45], v[122:123] op_sel_hi:[1,1,0] neg_lo:[0,0,1] neg_hi:[0,0,1]
	v_pk_fma_f32 v[118:119], v[118:119], v[44:45], v[124:125] op_sel:[1,0,0] op_sel_hi:[0,1,0]
	s_delay_alu instid0(VALU_DEP_1) | instskip(SKIP_1) | instid1(VALU_DEP_2)
	v_mov_b32_e32 v123, v119
	v_pk_mul_f32 v[118:119], v[120:121], v[110:111] op_sel:[0,1]
	v_pk_add_f32 v[96:97], v[96:97], v[122:123] neg_lo:[0,1] neg_hi:[0,1]
	s_delay_alu instid0(VALU_DEP_2) | instskip(SKIP_1) | instid1(VALU_DEP_1)
	v_pk_fma_f32 v[122:123], v[120:121], v[108:109], v[118:119] op_sel:[0,0,1] op_sel_hi:[1,1,0] neg_lo:[0,0,1] neg_hi:[0,0,1]
	v_pk_fma_f32 v[118:119], v[120:121], v[108:109], v[118:119] op_sel:[0,0,1] op_sel_hi:[1,0,0]
	v_mov_b32_e32 v123, v119
	ds_load_2addr_b64 v[118:121], v112 offset0:47 offset1:48
	v_pk_add_f32 v[80:81], v[80:81], v[122:123] neg_lo:[0,1] neg_hi:[0,1]
	s_wait_dscnt 0x0
	v_pk_mul_f32 v[122:123], v[118:119], v[110:111] op_sel:[0,1]
	s_delay_alu instid0(VALU_DEP_1) | instskip(SKIP_1) | instid1(VALU_DEP_1)
	v_pk_fma_f32 v[124:125], v[118:119], v[108:109], v[122:123] op_sel:[0,0,1] op_sel_hi:[1,1,0] neg_lo:[0,0,1] neg_hi:[0,0,1]
	v_pk_fma_f32 v[118:119], v[118:119], v[108:109], v[122:123] op_sel:[0,0,1] op_sel_hi:[1,0,0]
	v_mov_b32_e32 v125, v119
	v_pk_mul_f32 v[118:119], v[120:121], v[110:111] op_sel:[0,1]
	s_delay_alu instid0(VALU_DEP_2) | instskip(NEXT) | instid1(VALU_DEP_2)
	v_pk_add_f32 v[78:79], v[78:79], v[124:125] neg_lo:[0,1] neg_hi:[0,1]
	v_pk_fma_f32 v[122:123], v[120:121], v[108:109], v[118:119] op_sel:[0,0,1] op_sel_hi:[1,1,0] neg_lo:[0,0,1] neg_hi:[0,0,1]
	v_pk_fma_f32 v[118:119], v[120:121], v[108:109], v[118:119] op_sel:[0,0,1] op_sel_hi:[1,0,0]
	s_delay_alu instid0(VALU_DEP_1)
	v_mov_b32_e32 v123, v119
	ds_load_2addr_b64 v[118:121], v112 offset0:49 offset1:50
	v_pk_add_f32 v[88:89], v[88:89], v[122:123] neg_lo:[0,1] neg_hi:[0,1]
	s_wait_dscnt 0x0
	v_pk_mul_f32 v[122:123], v[118:119], v[110:111] op_sel:[0,1]
	v_pk_mul_f32 v[110:111], v[120:121], v[110:111] op_sel:[0,1]
	s_delay_alu instid0(VALU_DEP_2) | instskip(SKIP_1) | instid1(VALU_DEP_1)
	v_pk_fma_f32 v[124:125], v[118:119], v[108:109], v[122:123] op_sel:[0,0,1] op_sel_hi:[1,1,0] neg_lo:[0,0,1] neg_hi:[0,0,1]
	v_pk_fma_f32 v[118:119], v[118:119], v[108:109], v[122:123] op_sel:[0,0,1] op_sel_hi:[1,0,0]
	v_mov_b32_e32 v125, v119
	s_delay_alu instid0(VALU_DEP_4) | instskip(SKIP_1) | instid1(VALU_DEP_3)
	v_pk_fma_f32 v[118:119], v[120:121], v[108:109], v[110:111] op_sel:[0,0,1] op_sel_hi:[1,1,0] neg_lo:[0,0,1] neg_hi:[0,0,1]
	v_pk_fma_f32 v[108:109], v[120:121], v[108:109], v[110:111] op_sel:[0,0,1] op_sel_hi:[1,0,0]
	v_pk_add_f32 v[86:87], v[86:87], v[124:125] neg_lo:[0,1] neg_hi:[0,1]
	s_delay_alu instid0(VALU_DEP_2) | instskip(NEXT) | instid1(VALU_DEP_1)
	v_mov_b32_e32 v119, v109
	v_pk_add_f32 v[106:107], v[106:107], v[118:119] neg_lo:[0,1] neg_hi:[0,1]
.LBB100_356:
	s_or_b32 exec_lo, exec_lo, s0
	v_lshl_add_u32 v108, v116, 3, v112
	s_barrier_signal -1
	s_barrier_wait -1
	ds_store_b64 v108, v[42:43]
	s_wait_dscnt 0x0
	s_barrier_signal -1
	s_barrier_wait -1
	ds_load_b64 v[110:111], v112 offset:136
	v_mov_b32_e32 v108, 17
	s_cmp_lt_i32 s18, 19
	s_cbranch_scc1 .LBB100_359
; %bb.357:
	v_add3_u32 v109, v113, 0, 0x90
	v_mov_b32_e32 v108, 17
	s_mov_b32 s0, 18
.LBB100_358:                            ; =>This Inner Loop Header: Depth=1
	ds_load_b64 v[118:119], v109
	s_wait_dscnt 0x1
	v_cmp_gt_f32_e32 vcc_lo, 0, v110
	v_cndmask_b32_e64 v120, v110, -v110, vcc_lo
	v_cmp_gt_f32_e32 vcc_lo, 0, v111
	v_cndmask_b32_e64 v122, v111, -v111, vcc_lo
	s_wait_dscnt 0x0
	v_cmp_gt_f32_e32 vcc_lo, 0, v118
	v_cndmask_b32_e64 v121, v118, -v118, vcc_lo
	v_cmp_gt_f32_e32 vcc_lo, 0, v119
	v_cndmask_b32_e64 v123, v119, -v119, vcc_lo
	s_delay_alu instid0(VALU_DEP_1) | instskip(NEXT) | instid1(VALU_DEP_1)
	v_pk_add_f32 v[120:121], v[120:121], v[122:123]
	v_cmp_lt_f32_e32 vcc_lo, v120, v121
	v_dual_add_nc_u32 v109, 8, v109 :: v_dual_cndmask_b32 v111, v111, v119, vcc_lo
	v_cndmask_b32_e32 v110, v110, v118, vcc_lo
	v_cndmask_b32_e64 v108, v108, s0, vcc_lo
	s_add_co_i32 s0, s0, 1
	s_delay_alu instid0(SALU_CYCLE_1)
	s_cmp_lg_u32 s18, s0
	s_cbranch_scc1 .LBB100_358
.LBB100_359:
	s_wait_dscnt 0x0
	v_cmp_eq_f32_e32 vcc_lo, 0, v110
	v_cmp_eq_f32_e64 s0, 0, v111
	s_and_b32 s0, vcc_lo, s0
	s_delay_alu instid0(SALU_CYCLE_1) | instskip(NEXT) | instid1(SALU_CYCLE_1)
	s_and_saveexec_b32 s1, s0
	s_xor_b32 s0, exec_lo, s1
; %bb.360:
	v_cmp_ne_u32_e32 vcc_lo, 0, v114
	v_cndmask_b32_e32 v114, 18, v114, vcc_lo
; %bb.361:
	s_and_not1_saveexec_b32 s0, s0
	s_cbranch_execz .LBB100_367
; %bb.362:
	v_cmp_ngt_f32_e64 s1, |v110|, |v111|
	s_and_saveexec_b32 s12, s1
	s_delay_alu instid0(SALU_CYCLE_1)
	s_xor_b32 s1, exec_lo, s12
	s_cbranch_execz .LBB100_364
; %bb.363:
	v_div_scale_f32 v109, null, v111, v111, v110
	v_div_scale_f32 v119, vcc_lo, v110, v111, v110
	s_delay_alu instid0(VALU_DEP_2) | instskip(SKIP_1) | instid1(TRANS32_DEP_1)
	v_rcp_f32_e32 v117, v109
	v_nop
	v_fma_f32 v118, -v109, v117, 1.0
	s_delay_alu instid0(VALU_DEP_1) | instskip(NEXT) | instid1(VALU_DEP_1)
	v_fmac_f32_e32 v117, v118, v117
	v_mul_f32_e32 v118, v119, v117
	s_delay_alu instid0(VALU_DEP_1) | instskip(NEXT) | instid1(VALU_DEP_1)
	v_fma_f32 v120, -v109, v118, v119
	v_fmac_f32_e32 v118, v120, v117
	s_delay_alu instid0(VALU_DEP_1) | instskip(NEXT) | instid1(VALU_DEP_1)
	v_fma_f32 v109, -v109, v118, v119
	v_div_fmas_f32 v109, v109, v117, v118
	s_delay_alu instid0(VALU_DEP_1) | instskip(NEXT) | instid1(VALU_DEP_1)
	v_div_fixup_f32 v109, v109, v111, v110
	v_fmac_f32_e32 v111, v110, v109
	s_delay_alu instid0(VALU_DEP_1) | instskip(SKIP_1) | instid1(VALU_DEP_2)
	v_div_scale_f32 v110, null, v111, v111, 1.0
	v_div_scale_f32 v119, vcc_lo, 1.0, v111, 1.0
	v_rcp_f32_e32 v117, v110
	v_nop
	s_delay_alu instid0(TRANS32_DEP_1) | instskip(NEXT) | instid1(VALU_DEP_1)
	v_fma_f32 v118, -v110, v117, 1.0
	v_fmac_f32_e32 v117, v118, v117
	s_delay_alu instid0(VALU_DEP_1) | instskip(NEXT) | instid1(VALU_DEP_1)
	v_mul_f32_e32 v118, v119, v117
	v_fma_f32 v120, -v110, v118, v119
	s_delay_alu instid0(VALU_DEP_1) | instskip(NEXT) | instid1(VALU_DEP_1)
	v_fmac_f32_e32 v118, v120, v117
	v_fma_f32 v110, -v110, v118, v119
	s_delay_alu instid0(VALU_DEP_1) | instskip(NEXT) | instid1(VALU_DEP_1)
	v_div_fmas_f32 v110, v110, v117, v118
	v_div_fixup_f32 v111, v110, v111, 1.0
	s_delay_alu instid0(VALU_DEP_1)
	v_mul_f32_e32 v110, v109, v111
	v_xor_b32_e32 v111, 0x80000000, v111
.LBB100_364:
	s_and_not1_saveexec_b32 s1, s1
	s_cbranch_execz .LBB100_366
; %bb.365:
	s_delay_alu instid0(VALU_DEP_1) | instskip(SKIP_1) | instid1(VALU_DEP_2)
	v_div_scale_f32 v109, null, v110, v110, v111
	v_div_scale_f32 v119, vcc_lo, v111, v110, v111
	v_rcp_f32_e32 v117, v109
	v_nop
	s_delay_alu instid0(TRANS32_DEP_1) | instskip(NEXT) | instid1(VALU_DEP_1)
	v_fma_f32 v118, -v109, v117, 1.0
	v_fmac_f32_e32 v117, v118, v117
	s_delay_alu instid0(VALU_DEP_1) | instskip(NEXT) | instid1(VALU_DEP_1)
	v_mul_f32_e32 v118, v119, v117
	v_fma_f32 v120, -v109, v118, v119
	s_delay_alu instid0(VALU_DEP_1) | instskip(NEXT) | instid1(VALU_DEP_1)
	v_fmac_f32_e32 v118, v120, v117
	v_fma_f32 v109, -v109, v118, v119
	s_delay_alu instid0(VALU_DEP_1) | instskip(NEXT) | instid1(VALU_DEP_1)
	v_div_fmas_f32 v109, v109, v117, v118
	v_div_fixup_f32 v109, v109, v110, v111
	s_delay_alu instid0(VALU_DEP_1) | instskip(NEXT) | instid1(VALU_DEP_1)
	v_fmac_f32_e32 v110, v111, v109
	v_div_scale_f32 v111, null, v110, v110, 1.0
	s_delay_alu instid0(VALU_DEP_1) | instskip(SKIP_1) | instid1(TRANS32_DEP_1)
	v_rcp_f32_e32 v117, v111
	v_nop
	v_fma_f32 v118, -v111, v117, 1.0
	s_delay_alu instid0(VALU_DEP_1) | instskip(SKIP_1) | instid1(VALU_DEP_1)
	v_fmac_f32_e32 v117, v118, v117
	v_div_scale_f32 v118, vcc_lo, 1.0, v110, 1.0
	v_mul_f32_e32 v119, v118, v117
	s_delay_alu instid0(VALU_DEP_1) | instskip(NEXT) | instid1(VALU_DEP_1)
	v_fma_f32 v120, -v111, v119, v118
	v_fmac_f32_e32 v119, v120, v117
	s_delay_alu instid0(VALU_DEP_1) | instskip(NEXT) | instid1(VALU_DEP_1)
	v_fma_f32 v111, -v111, v119, v118
	v_div_fmas_f32 v111, v111, v117, v119
	s_delay_alu instid0(VALU_DEP_1) | instskip(NEXT) | instid1(VALU_DEP_1)
	v_div_fixup_f32 v110, v111, v110, 1.0
	v_mul_f32_e64 v111, v109, -v110
.LBB100_366:
	s_or_b32 exec_lo, exec_lo, s1
.LBB100_367:
	s_delay_alu instid0(SALU_CYCLE_1) | instskip(NEXT) | instid1(SALU_CYCLE_1)
	s_or_b32 exec_lo, exec_lo, s0
	s_mov_b32 s0, exec_lo
	v_cmpx_ne_u32_e64 v116, v108
	s_xor_b32 s0, exec_lo, s0
	s_cbranch_execz .LBB100_373
; %bb.368:
	s_mov_b32 s1, exec_lo
	v_cmpx_eq_u32_e32 17, v116
	s_cbranch_execz .LBB100_372
; %bb.369:
	v_cmp_ne_u32_e32 vcc_lo, 17, v108
	s_xor_b32 s12, s16, -1
	s_delay_alu instid0(SALU_CYCLE_1) | instskip(NEXT) | instid1(SALU_CYCLE_1)
	s_and_b32 s13, s12, vcc_lo
	s_and_saveexec_b32 s12, s13
	s_cbranch_execz .LBB100_371
; %bb.370:
	v_ashrrev_i32_e32 v109, 31, v108
	s_delay_alu instid0(VALU_DEP_1)
	v_lshl_add_u64 v[116:117], v[108:109], 2, v[4:5]
	s_clause 0x1
	global_load_b32 v109, v[116:117], off
	global_load_b32 v115, v[4:5], off offset:68
	s_wait_loadcnt 0x1
	global_store_b32 v[4:5], v109, off offset:68
	s_wait_loadcnt 0x0
	global_store_b32 v[116:117], v115, off
.LBB100_371:
	s_wait_xcnt 0x0
	s_or_b32 exec_lo, exec_lo, s12
	v_dual_mov_b32 v116, v108 :: v_dual_mov_b32 v115, v108
.LBB100_372:
	s_or_b32 exec_lo, exec_lo, s1
.LBB100_373:
	s_and_not1_saveexec_b32 s0, s0
	s_cbranch_execz .LBB100_375
; %bb.374:
	v_dual_mov_b32 v108, v22 :: v_dual_mov_b32 v109, v23
	v_dual_mov_b32 v116, v20 :: v_dual_mov_b32 v117, v21
	ds_store_2addr_b64 v112, v[108:109], v[116:117] offset0:18 offset1:19
	v_dual_mov_b32 v108, v52 :: v_dual_mov_b32 v109, v53
	v_dual_mov_b32 v116, v50 :: v_dual_mov_b32 v117, v51
	ds_store_2addr_b64 v112, v[108:109], v[116:117] offset0:20 offset1:21
	;; [unrolled: 3-line block ×16, first 2 shown]
	ds_store_b64 v112, v[106:107] offset:400
	v_mov_b32_e32 v116, 17
.LBB100_375:
	s_or_b32 exec_lo, exec_lo, s0
	s_delay_alu instid0(SALU_CYCLE_1)
	s_mov_b32 s0, exec_lo
	s_wait_storecnt_dscnt 0x0
	s_barrier_signal -1
	s_barrier_wait -1
	v_cmpx_lt_i32_e32 17, v116
	s_cbranch_execz .LBB100_377
; %bb.376:
	v_pk_mul_f32 v[118:119], v[110:111], v[42:43] op_sel:[1,1] op_sel_hi:[0,1]
	s_delay_alu instid0(VALU_DEP_1)
	v_pk_fma_f32 v[108:109], v[110:111], v[42:43], v[118:119] op_sel_hi:[1,0,1] neg_lo:[0,0,1] neg_hi:[0,0,1]
	v_pk_fma_f32 v[110:111], v[110:111], v[42:43], v[118:119] op_sel_hi:[1,0,1]
	ds_load_2addr_b64 v[118:121], v112 offset0:18 offset1:19
	v_dual_mov_b32 v42, v108 :: v_dual_mov_b32 v43, v111
	s_wait_dscnt 0x0
	v_pk_mul_f32 v[122:123], v[118:119], v[110:111] op_sel:[0,1]
	s_delay_alu instid0(VALU_DEP_1) | instskip(SKIP_1) | instid1(VALU_DEP_1)
	v_pk_fma_f32 v[124:125], v[118:119], v[108:109], v[122:123] op_sel:[0,0,1] op_sel_hi:[1,1,0] neg_lo:[0,0,1] neg_hi:[0,0,1]
	v_pk_fma_f32 v[118:119], v[118:119], v[108:109], v[122:123] op_sel:[0,0,1] op_sel_hi:[1,0,0]
	v_mov_b32_e32 v125, v119
	v_pk_mul_f32 v[118:119], v[120:121], v[110:111] op_sel:[0,1]
	s_delay_alu instid0(VALU_DEP_1) | instskip(SKIP_1) | instid1(VALU_DEP_1)
	v_pk_fma_f32 v[122:123], v[120:121], v[108:109], v[118:119] op_sel:[0,0,1] op_sel_hi:[1,1,0] neg_lo:[0,0,1] neg_hi:[0,0,1]
	v_pk_fma_f32 v[118:119], v[120:121], v[108:109], v[118:119] op_sel:[0,0,1] op_sel_hi:[1,0,0]
	v_mov_b32_e32 v123, v119
	ds_load_2addr_b64 v[118:121], v112 offset0:20 offset1:21
	v_pk_add_f32 v[22:23], v[22:23], v[124:125] neg_lo:[0,1] neg_hi:[0,1]
	v_pk_add_f32 v[20:21], v[20:21], v[122:123] neg_lo:[0,1] neg_hi:[0,1]
	s_wait_dscnt 0x0
	v_pk_mul_f32 v[122:123], v[118:119], v[110:111] op_sel:[0,1]
	s_delay_alu instid0(VALU_DEP_1) | instskip(SKIP_2) | instid1(VALU_DEP_2)
	v_pk_fma_f32 v[124:125], v[118:119], v[108:109], v[122:123] op_sel:[0,0,1] op_sel_hi:[1,1,0] neg_lo:[0,0,1] neg_hi:[0,0,1]
	v_pk_fma_f32 v[118:119], v[118:119], v[108:109], v[122:123] op_sel:[0,0,1] op_sel_hi:[1,0,0]
	v_dual_mul_f32 v122, v121, v111 :: v_dual_mov_b32 v118, v121
	v_dual_mov_b32 v125, v119 :: v_dual_mov_b32 v119, v120
	s_delay_alu instid0(VALU_DEP_2) | instskip(SKIP_1) | instid1(VALU_DEP_3)
	v_pk_fma_f32 v[122:123], v[120:121], v[42:43], v[122:123] op_sel_hi:[1,1,0] neg_lo:[0,0,1] neg_hi:[0,0,1]
	v_mul_f32_e32 v120, v121, v108
	v_pk_add_f32 v[52:53], v[52:53], v[124:125] neg_lo:[0,1] neg_hi:[0,1]
	s_delay_alu instid0(VALU_DEP_2) | instskip(NEXT) | instid1(VALU_DEP_1)
	v_pk_fma_f32 v[118:119], v[118:119], v[42:43], v[120:121] op_sel_hi:[1,1,0]
	v_mov_b32_e32 v123, v119
	ds_load_2addr_b64 v[118:121], v112 offset0:22 offset1:23
	v_pk_add_f32 v[50:51], v[50:51], v[122:123] neg_lo:[0,1] neg_hi:[0,1]
	s_wait_dscnt 0x0
	v_pk_mul_f32 v[122:123], v[118:119], v[110:111] op_sel:[0,1]
	s_delay_alu instid0(VALU_DEP_1) | instskip(SKIP_1) | instid1(VALU_DEP_1)
	v_pk_fma_f32 v[124:125], v[118:119], v[108:109], v[122:123] op_sel:[0,0,1] op_sel_hi:[1,1,0] neg_lo:[0,0,1] neg_hi:[0,0,1]
	v_pk_fma_f32 v[118:119], v[118:119], v[108:109], v[122:123] op_sel:[0,0,1] op_sel_hi:[1,0,0]
	v_mov_b32_e32 v125, v119
	v_pk_mul_f32 v[118:119], v[120:121], v[110:111] op_sel:[0,1]
	s_delay_alu instid0(VALU_DEP_1) | instskip(SKIP_1) | instid1(VALU_DEP_1)
	v_pk_fma_f32 v[122:123], v[120:121], v[108:109], v[118:119] op_sel:[0,0,1] op_sel_hi:[1,1,0] neg_lo:[0,0,1] neg_hi:[0,0,1]
	v_pk_fma_f32 v[118:119], v[120:121], v[108:109], v[118:119] op_sel:[0,0,1] op_sel_hi:[1,0,0]
	v_mov_b32_e32 v123, v119
	ds_load_2addr_b64 v[118:121], v112 offset0:24 offset1:25
	v_pk_add_f32 v[32:33], v[32:33], v[124:125] neg_lo:[0,1] neg_hi:[0,1]
	v_pk_add_f32 v[30:31], v[30:31], v[122:123] neg_lo:[0,1] neg_hi:[0,1]
	s_wait_dscnt 0x0
	v_pk_mul_f32 v[122:123], v[118:119], v[110:111] op_sel:[0,1]
	s_delay_alu instid0(VALU_DEP_1) | instskip(SKIP_1) | instid1(VALU_DEP_1)
	v_pk_fma_f32 v[124:125], v[118:119], v[108:109], v[122:123] op_sel:[0,0,1] op_sel_hi:[1,1,0] neg_lo:[0,0,1] neg_hi:[0,0,1]
	v_pk_fma_f32 v[118:119], v[118:119], v[108:109], v[122:123] op_sel:[0,0,1] op_sel_hi:[1,0,0]
	v_mov_b32_e32 v125, v119
	v_pk_mul_f32 v[118:119], v[120:121], v[110:111] op_sel:[0,1]
	s_delay_alu instid0(VALU_DEP_1) | instskip(SKIP_1) | instid1(VALU_DEP_1)
	v_pk_fma_f32 v[122:123], v[120:121], v[108:109], v[118:119] op_sel:[0,0,1] op_sel_hi:[1,1,0] neg_lo:[0,0,1] neg_hi:[0,0,1]
	v_pk_fma_f32 v[118:119], v[120:121], v[108:109], v[118:119] op_sel:[0,0,1] op_sel_hi:[1,0,0]
	v_mov_b32_e32 v123, v119
	ds_load_2addr_b64 v[118:121], v112 offset0:26 offset1:27
	v_pk_add_f32 v[62:63], v[62:63], v[124:125] neg_lo:[0,1] neg_hi:[0,1]
	v_pk_add_f32 v[60:61], v[60:61], v[122:123] neg_lo:[0,1] neg_hi:[0,1]
	s_wait_dscnt 0x0
	v_dual_mul_f32 v122, v119, v111 :: v_dual_mul_f32 v124, v119, v108
	s_delay_alu instid0(VALU_DEP_1) | instskip(NEXT) | instid1(VALU_DEP_2)
	v_pk_fma_f32 v[122:123], v[118:119], v[42:43], v[122:123] op_sel_hi:[1,1,0] neg_lo:[0,0,1] neg_hi:[0,0,1]
	v_pk_fma_f32 v[118:119], v[118:119], v[42:43], v[124:125] op_sel:[1,0,0] op_sel_hi:[0,1,0]
	s_delay_alu instid0(VALU_DEP_1) | instskip(SKIP_1) | instid1(VALU_DEP_2)
	v_mov_b32_e32 v123, v119
	v_pk_mul_f32 v[118:119], v[120:121], v[110:111] op_sel:[0,1]
	v_pk_add_f32 v[40:41], v[40:41], v[122:123] neg_lo:[0,1] neg_hi:[0,1]
	s_delay_alu instid0(VALU_DEP_2) | instskip(SKIP_1) | instid1(VALU_DEP_1)
	v_pk_fma_f32 v[122:123], v[120:121], v[108:109], v[118:119] op_sel:[0,0,1] op_sel_hi:[1,1,0] neg_lo:[0,0,1] neg_hi:[0,0,1]
	v_pk_fma_f32 v[118:119], v[120:121], v[108:109], v[118:119] op_sel:[0,0,1] op_sel_hi:[1,0,0]
	v_mov_b32_e32 v123, v119
	ds_load_2addr_b64 v[118:121], v112 offset0:28 offset1:29
	v_pk_add_f32 v[38:39], v[38:39], v[122:123] neg_lo:[0,1] neg_hi:[0,1]
	s_wait_dscnt 0x0
	v_pk_mul_f32 v[122:123], v[118:119], v[110:111] op_sel:[0,1]
	s_delay_alu instid0(VALU_DEP_1) | instskip(SKIP_1) | instid1(VALU_DEP_1)
	v_pk_fma_f32 v[124:125], v[118:119], v[108:109], v[122:123] op_sel:[0,0,1] op_sel_hi:[1,1,0] neg_lo:[0,0,1] neg_hi:[0,0,1]
	v_pk_fma_f32 v[118:119], v[118:119], v[108:109], v[122:123] op_sel:[0,0,1] op_sel_hi:[1,0,0]
	v_mov_b32_e32 v125, v119
	v_pk_mul_f32 v[118:119], v[120:121], v[110:111] op_sel:[0,1]
	s_delay_alu instid0(VALU_DEP_2) | instskip(NEXT) | instid1(VALU_DEP_2)
	v_pk_add_f32 v[70:71], v[70:71], v[124:125] neg_lo:[0,1] neg_hi:[0,1]
	v_pk_fma_f32 v[122:123], v[120:121], v[108:109], v[118:119] op_sel:[0,0,1] op_sel_hi:[1,1,0] neg_lo:[0,0,1] neg_hi:[0,0,1]
	v_pk_fma_f32 v[118:119], v[120:121], v[108:109], v[118:119] op_sel:[0,0,1] op_sel_hi:[1,0,0]
	s_delay_alu instid0(VALU_DEP_1) | instskip(SKIP_4) | instid1(VALU_DEP_1)
	v_mov_b32_e32 v123, v119
	ds_load_2addr_b64 v[118:121], v112 offset0:30 offset1:31
	v_pk_add_f32 v[68:69], v[68:69], v[122:123] neg_lo:[0,1] neg_hi:[0,1]
	s_wait_dscnt 0x0
	v_pk_mul_f32 v[122:123], v[118:119], v[110:111] op_sel:[0,1]
	v_pk_fma_f32 v[124:125], v[118:119], v[108:109], v[122:123] op_sel:[0,0,1] op_sel_hi:[1,1,0] neg_lo:[0,0,1] neg_hi:[0,0,1]
	v_pk_fma_f32 v[118:119], v[118:119], v[108:109], v[122:123] op_sel:[0,0,1] op_sel_hi:[1,0,0]
	v_dual_mul_f32 v122, v121, v111 :: v_dual_mov_b32 v118, v121
	s_delay_alu instid0(VALU_DEP_2) | instskip(NEXT) | instid1(VALU_DEP_2)
	v_dual_mov_b32 v125, v119 :: v_dual_mov_b32 v119, v120
	v_pk_fma_f32 v[122:123], v[120:121], v[42:43], v[122:123] op_sel_hi:[1,1,0] neg_lo:[0,0,1] neg_hi:[0,0,1]
	v_mul_f32_e32 v120, v121, v108
	s_delay_alu instid0(VALU_DEP_3) | instskip(NEXT) | instid1(VALU_DEP_2)
	v_pk_add_f32 v[48:49], v[48:49], v[124:125] neg_lo:[0,1] neg_hi:[0,1]
	v_pk_fma_f32 v[118:119], v[118:119], v[42:43], v[120:121] op_sel_hi:[1,1,0]
	s_delay_alu instid0(VALU_DEP_1) | instskip(SKIP_4) | instid1(VALU_DEP_1)
	v_mov_b32_e32 v123, v119
	ds_load_2addr_b64 v[118:121], v112 offset0:32 offset1:33
	v_pk_add_f32 v[46:47], v[46:47], v[122:123] neg_lo:[0,1] neg_hi:[0,1]
	s_wait_dscnt 0x0
	v_pk_mul_f32 v[122:123], v[118:119], v[110:111] op_sel:[0,1]
	v_pk_fma_f32 v[124:125], v[118:119], v[108:109], v[122:123] op_sel:[0,0,1] op_sel_hi:[1,1,0] neg_lo:[0,0,1] neg_hi:[0,0,1]
	v_pk_fma_f32 v[118:119], v[118:119], v[108:109], v[122:123] op_sel:[0,0,1] op_sel_hi:[1,0,0]
	s_delay_alu instid0(VALU_DEP_1) | instskip(SKIP_1) | instid1(VALU_DEP_1)
	v_mov_b32_e32 v125, v119
	v_pk_mul_f32 v[118:119], v[120:121], v[110:111] op_sel:[0,1]
	v_pk_fma_f32 v[122:123], v[120:121], v[108:109], v[118:119] op_sel:[0,0,1] op_sel_hi:[1,1,0] neg_lo:[0,0,1] neg_hi:[0,0,1]
	v_pk_fma_f32 v[118:119], v[120:121], v[108:109], v[118:119] op_sel:[0,0,1] op_sel_hi:[1,0,0]
	s_delay_alu instid0(VALU_DEP_1)
	v_mov_b32_e32 v123, v119
	ds_load_2addr_b64 v[118:121], v112 offset0:34 offset1:35
	v_pk_add_f32 v[84:85], v[84:85], v[124:125] neg_lo:[0,1] neg_hi:[0,1]
	v_pk_add_f32 v[82:83], v[82:83], v[122:123] neg_lo:[0,1] neg_hi:[0,1]
	s_wait_dscnt 0x0
	v_pk_mul_f32 v[122:123], v[118:119], v[110:111] op_sel:[0,1]
	s_delay_alu instid0(VALU_DEP_1) | instskip(SKIP_1) | instid1(VALU_DEP_1)
	v_pk_fma_f32 v[124:125], v[118:119], v[108:109], v[122:123] op_sel:[0,0,1] op_sel_hi:[1,1,0] neg_lo:[0,0,1] neg_hi:[0,0,1]
	v_pk_fma_f32 v[118:119], v[118:119], v[108:109], v[122:123] op_sel:[0,0,1] op_sel_hi:[1,0,0]
	v_mov_b32_e32 v125, v119
	v_pk_mul_f32 v[118:119], v[120:121], v[110:111] op_sel:[0,1]
	s_delay_alu instid0(VALU_DEP_1) | instskip(SKIP_1) | instid1(VALU_DEP_1)
	v_pk_fma_f32 v[122:123], v[120:121], v[108:109], v[118:119] op_sel:[0,0,1] op_sel_hi:[1,1,0] neg_lo:[0,0,1] neg_hi:[0,0,1]
	v_pk_fma_f32 v[118:119], v[120:121], v[108:109], v[118:119] op_sel:[0,0,1] op_sel_hi:[1,0,0]
	v_mov_b32_e32 v123, v119
	ds_load_2addr_b64 v[118:121], v112 offset0:36 offset1:37
	v_pk_add_f32 v[56:57], v[56:57], v[124:125] neg_lo:[0,1] neg_hi:[0,1]
	v_pk_add_f32 v[54:55], v[54:55], v[122:123] neg_lo:[0,1] neg_hi:[0,1]
	s_wait_dscnt 0x0
	v_dual_mul_f32 v122, v119, v111 :: v_dual_mul_f32 v124, v119, v108
	s_delay_alu instid0(VALU_DEP_1) | instskip(NEXT) | instid1(VALU_DEP_2)
	v_pk_fma_f32 v[122:123], v[118:119], v[42:43], v[122:123] op_sel_hi:[1,1,0] neg_lo:[0,0,1] neg_hi:[0,0,1]
	v_pk_fma_f32 v[118:119], v[118:119], v[42:43], v[124:125] op_sel:[1,0,0] op_sel_hi:[0,1,0]
	s_delay_alu instid0(VALU_DEP_1) | instskip(SKIP_1) | instid1(VALU_DEP_2)
	v_mov_b32_e32 v123, v119
	v_pk_mul_f32 v[118:119], v[120:121], v[110:111] op_sel:[0,1]
	v_pk_add_f32 v[94:95], v[94:95], v[122:123] neg_lo:[0,1] neg_hi:[0,1]
	s_delay_alu instid0(VALU_DEP_2) | instskip(SKIP_1) | instid1(VALU_DEP_1)
	v_pk_fma_f32 v[122:123], v[120:121], v[108:109], v[118:119] op_sel:[0,0,1] op_sel_hi:[1,1,0] neg_lo:[0,0,1] neg_hi:[0,0,1]
	v_pk_fma_f32 v[118:119], v[120:121], v[108:109], v[118:119] op_sel:[0,0,1] op_sel_hi:[1,0,0]
	v_mov_b32_e32 v123, v119
	ds_load_2addr_b64 v[118:121], v112 offset0:38 offset1:39
	v_pk_add_f32 v[92:93], v[92:93], v[122:123] neg_lo:[0,1] neg_hi:[0,1]
	s_wait_dscnt 0x0
	v_pk_mul_f32 v[122:123], v[118:119], v[110:111] op_sel:[0,1]
	s_delay_alu instid0(VALU_DEP_1) | instskip(SKIP_1) | instid1(VALU_DEP_1)
	v_pk_fma_f32 v[124:125], v[118:119], v[108:109], v[122:123] op_sel:[0,0,1] op_sel_hi:[1,1,0] neg_lo:[0,0,1] neg_hi:[0,0,1]
	v_pk_fma_f32 v[118:119], v[118:119], v[108:109], v[122:123] op_sel:[0,0,1] op_sel_hi:[1,0,0]
	v_mov_b32_e32 v125, v119
	v_pk_mul_f32 v[118:119], v[120:121], v[110:111] op_sel:[0,1]
	s_delay_alu instid0(VALU_DEP_2) | instskip(NEXT) | instid1(VALU_DEP_2)
	v_pk_add_f32 v[66:67], v[66:67], v[124:125] neg_lo:[0,1] neg_hi:[0,1]
	v_pk_fma_f32 v[122:123], v[120:121], v[108:109], v[118:119] op_sel:[0,0,1] op_sel_hi:[1,1,0] neg_lo:[0,0,1] neg_hi:[0,0,1]
	v_pk_fma_f32 v[118:119], v[120:121], v[108:109], v[118:119] op_sel:[0,0,1] op_sel_hi:[1,0,0]
	s_delay_alu instid0(VALU_DEP_1) | instskip(SKIP_4) | instid1(VALU_DEP_1)
	v_mov_b32_e32 v123, v119
	ds_load_2addr_b64 v[118:121], v112 offset0:40 offset1:41
	v_pk_add_f32 v[64:65], v[64:65], v[122:123] neg_lo:[0,1] neg_hi:[0,1]
	s_wait_dscnt 0x0
	v_pk_mul_f32 v[122:123], v[118:119], v[110:111] op_sel:[0,1]
	v_pk_fma_f32 v[124:125], v[118:119], v[108:109], v[122:123] op_sel:[0,0,1] op_sel_hi:[1,1,0] neg_lo:[0,0,1] neg_hi:[0,0,1]
	v_pk_fma_f32 v[118:119], v[118:119], v[108:109], v[122:123] op_sel:[0,0,1] op_sel_hi:[1,0,0]
	v_dual_mul_f32 v122, v121, v111 :: v_dual_mov_b32 v118, v121
	s_delay_alu instid0(VALU_DEP_2) | instskip(NEXT) | instid1(VALU_DEP_2)
	v_dual_mov_b32 v125, v119 :: v_dual_mov_b32 v119, v120
	v_pk_fma_f32 v[122:123], v[120:121], v[42:43], v[122:123] op_sel_hi:[1,1,0] neg_lo:[0,0,1] neg_hi:[0,0,1]
	v_mul_f32_e32 v120, v121, v108
	s_delay_alu instid0(VALU_DEP_3) | instskip(NEXT) | instid1(VALU_DEP_2)
	v_pk_add_f32 v[104:105], v[104:105], v[124:125] neg_lo:[0,1] neg_hi:[0,1]
	v_pk_fma_f32 v[118:119], v[118:119], v[42:43], v[120:121] op_sel_hi:[1,1,0]
	s_delay_alu instid0(VALU_DEP_1) | instskip(SKIP_4) | instid1(VALU_DEP_1)
	v_mov_b32_e32 v123, v119
	ds_load_2addr_b64 v[118:121], v112 offset0:42 offset1:43
	v_pk_add_f32 v[102:103], v[102:103], v[122:123] neg_lo:[0,1] neg_hi:[0,1]
	s_wait_dscnt 0x0
	v_pk_mul_f32 v[122:123], v[118:119], v[110:111] op_sel:[0,1]
	v_pk_fma_f32 v[124:125], v[118:119], v[108:109], v[122:123] op_sel:[0,0,1] op_sel_hi:[1,1,0] neg_lo:[0,0,1] neg_hi:[0,0,1]
	v_pk_fma_f32 v[118:119], v[118:119], v[108:109], v[122:123] op_sel:[0,0,1] op_sel_hi:[1,0,0]
	s_delay_alu instid0(VALU_DEP_1) | instskip(SKIP_1) | instid1(VALU_DEP_1)
	v_mov_b32_e32 v125, v119
	v_pk_mul_f32 v[118:119], v[120:121], v[110:111] op_sel:[0,1]
	v_pk_fma_f32 v[122:123], v[120:121], v[108:109], v[118:119] op_sel:[0,0,1] op_sel_hi:[1,1,0] neg_lo:[0,0,1] neg_hi:[0,0,1]
	v_pk_fma_f32 v[118:119], v[120:121], v[108:109], v[118:119] op_sel:[0,0,1] op_sel_hi:[1,0,0]
	s_delay_alu instid0(VALU_DEP_1)
	v_mov_b32_e32 v123, v119
	ds_load_2addr_b64 v[118:121], v112 offset0:44 offset1:45
	v_pk_add_f32 v[76:77], v[76:77], v[124:125] neg_lo:[0,1] neg_hi:[0,1]
	v_pk_add_f32 v[74:75], v[74:75], v[122:123] neg_lo:[0,1] neg_hi:[0,1]
	s_wait_dscnt 0x0
	v_pk_mul_f32 v[122:123], v[118:119], v[110:111] op_sel:[0,1]
	s_delay_alu instid0(VALU_DEP_1) | instskip(SKIP_1) | instid1(VALU_DEP_1)
	v_pk_fma_f32 v[124:125], v[118:119], v[108:109], v[122:123] op_sel:[0,0,1] op_sel_hi:[1,1,0] neg_lo:[0,0,1] neg_hi:[0,0,1]
	v_pk_fma_f32 v[118:119], v[118:119], v[108:109], v[122:123] op_sel:[0,0,1] op_sel_hi:[1,0,0]
	v_mov_b32_e32 v125, v119
	v_pk_mul_f32 v[118:119], v[120:121], v[110:111] op_sel:[0,1]
	s_delay_alu instid0(VALU_DEP_1) | instskip(SKIP_1) | instid1(VALU_DEP_1)
	v_pk_fma_f32 v[122:123], v[120:121], v[108:109], v[118:119] op_sel:[0,0,1] op_sel_hi:[1,1,0] neg_lo:[0,0,1] neg_hi:[0,0,1]
	v_pk_fma_f32 v[118:119], v[120:121], v[108:109], v[118:119] op_sel:[0,0,1] op_sel_hi:[1,0,0]
	v_mov_b32_e32 v123, v119
	ds_load_2addr_b64 v[118:121], v112 offset0:46 offset1:47
	v_pk_add_f32 v[98:99], v[98:99], v[124:125] neg_lo:[0,1] neg_hi:[0,1]
	v_pk_add_f32 v[96:97], v[96:97], v[122:123] neg_lo:[0,1] neg_hi:[0,1]
	s_wait_dscnt 0x0
	v_dual_mul_f32 v122, v119, v111 :: v_dual_mul_f32 v124, v119, v108
	s_delay_alu instid0(VALU_DEP_1) | instskip(NEXT) | instid1(VALU_DEP_2)
	v_pk_fma_f32 v[122:123], v[118:119], v[42:43], v[122:123] op_sel_hi:[1,1,0] neg_lo:[0,0,1] neg_hi:[0,0,1]
	v_pk_fma_f32 v[118:119], v[118:119], v[42:43], v[124:125] op_sel:[1,0,0] op_sel_hi:[0,1,0]
	s_delay_alu instid0(VALU_DEP_1) | instskip(SKIP_1) | instid1(VALU_DEP_2)
	v_mov_b32_e32 v123, v119
	v_pk_mul_f32 v[118:119], v[120:121], v[110:111] op_sel:[0,1]
	v_pk_add_f32 v[80:81], v[80:81], v[122:123] neg_lo:[0,1] neg_hi:[0,1]
	s_delay_alu instid0(VALU_DEP_2) | instskip(SKIP_1) | instid1(VALU_DEP_1)
	v_pk_fma_f32 v[122:123], v[120:121], v[108:109], v[118:119] op_sel:[0,0,1] op_sel_hi:[1,1,0] neg_lo:[0,0,1] neg_hi:[0,0,1]
	v_pk_fma_f32 v[118:119], v[120:121], v[108:109], v[118:119] op_sel:[0,0,1] op_sel_hi:[1,0,0]
	v_mov_b32_e32 v123, v119
	ds_load_2addr_b64 v[118:121], v112 offset0:48 offset1:49
	v_pk_add_f32 v[78:79], v[78:79], v[122:123] neg_lo:[0,1] neg_hi:[0,1]
	s_wait_dscnt 0x0
	v_pk_mul_f32 v[122:123], v[118:119], v[110:111] op_sel:[0,1]
	s_delay_alu instid0(VALU_DEP_1) | instskip(SKIP_1) | instid1(VALU_DEP_1)
	v_pk_fma_f32 v[124:125], v[118:119], v[108:109], v[122:123] op_sel:[0,0,1] op_sel_hi:[1,1,0] neg_lo:[0,0,1] neg_hi:[0,0,1]
	v_pk_fma_f32 v[118:119], v[118:119], v[108:109], v[122:123] op_sel:[0,0,1] op_sel_hi:[1,0,0]
	v_mov_b32_e32 v125, v119
	v_pk_mul_f32 v[118:119], v[120:121], v[110:111] op_sel:[0,1]
	s_delay_alu instid0(VALU_DEP_2) | instskip(NEXT) | instid1(VALU_DEP_2)
	v_pk_add_f32 v[88:89], v[88:89], v[124:125] neg_lo:[0,1] neg_hi:[0,1]
	v_pk_fma_f32 v[122:123], v[120:121], v[108:109], v[118:119] op_sel:[0,0,1] op_sel_hi:[1,1,0] neg_lo:[0,0,1] neg_hi:[0,0,1]
	v_pk_fma_f32 v[118:119], v[120:121], v[108:109], v[118:119] op_sel:[0,0,1] op_sel_hi:[1,0,0]
	s_delay_alu instid0(VALU_DEP_1) | instskip(SKIP_4) | instid1(VALU_DEP_1)
	v_mov_b32_e32 v123, v119
	ds_load_b64 v[118:119], v112 offset:400
	v_pk_add_f32 v[86:87], v[86:87], v[122:123] neg_lo:[0,1] neg_hi:[0,1]
	s_wait_dscnt 0x0
	v_pk_mul_f32 v[110:111], v[118:119], v[110:111] op_sel:[0,1]
	v_pk_fma_f32 v[120:121], v[118:119], v[108:109], v[110:111] op_sel:[0,0,1] op_sel_hi:[1,1,0] neg_lo:[0,0,1] neg_hi:[0,0,1]
	v_pk_fma_f32 v[108:109], v[118:119], v[108:109], v[110:111] op_sel:[0,0,1] op_sel_hi:[1,0,0]
	s_delay_alu instid0(VALU_DEP_1) | instskip(NEXT) | instid1(VALU_DEP_1)
	v_mov_b32_e32 v121, v109
	v_pk_add_f32 v[106:107], v[106:107], v[120:121] neg_lo:[0,1] neg_hi:[0,1]
.LBB100_377:
	s_or_b32 exec_lo, exec_lo, s0
	v_lshl_add_u32 v108, v116, 3, v112
	s_barrier_signal -1
	s_barrier_wait -1
	ds_store_b64 v108, v[22:23]
	s_wait_dscnt 0x0
	s_barrier_signal -1
	s_barrier_wait -1
	ds_load_b64 v[110:111], v112 offset:144
	v_mov_b32_e32 v108, 18
	s_cmp_lt_i32 s18, 20
	s_cbranch_scc1 .LBB100_380
; %bb.378:
	v_add3_u32 v109, v113, 0, 0x98
	v_mov_b32_e32 v108, 18
	s_mov_b32 s0, 19
.LBB100_379:                            ; =>This Inner Loop Header: Depth=1
	ds_load_b64 v[118:119], v109
	s_wait_dscnt 0x1
	v_cmp_gt_f32_e32 vcc_lo, 0, v110
	v_cndmask_b32_e64 v120, v110, -v110, vcc_lo
	v_cmp_gt_f32_e32 vcc_lo, 0, v111
	v_cndmask_b32_e64 v122, v111, -v111, vcc_lo
	s_wait_dscnt 0x0
	v_cmp_gt_f32_e32 vcc_lo, 0, v118
	v_cndmask_b32_e64 v121, v118, -v118, vcc_lo
	v_cmp_gt_f32_e32 vcc_lo, 0, v119
	v_cndmask_b32_e64 v123, v119, -v119, vcc_lo
	s_delay_alu instid0(VALU_DEP_1) | instskip(NEXT) | instid1(VALU_DEP_1)
	v_pk_add_f32 v[120:121], v[120:121], v[122:123]
	v_cmp_lt_f32_e32 vcc_lo, v120, v121
	v_dual_add_nc_u32 v109, 8, v109 :: v_dual_cndmask_b32 v111, v111, v119, vcc_lo
	v_cndmask_b32_e32 v110, v110, v118, vcc_lo
	v_cndmask_b32_e64 v108, v108, s0, vcc_lo
	s_add_co_i32 s0, s0, 1
	s_delay_alu instid0(SALU_CYCLE_1)
	s_cmp_lg_u32 s18, s0
	s_cbranch_scc1 .LBB100_379
.LBB100_380:
	s_wait_dscnt 0x0
	v_cmp_eq_f32_e32 vcc_lo, 0, v110
	v_cmp_eq_f32_e64 s0, 0, v111
	s_and_b32 s0, vcc_lo, s0
	s_delay_alu instid0(SALU_CYCLE_1) | instskip(NEXT) | instid1(SALU_CYCLE_1)
	s_and_saveexec_b32 s1, s0
	s_xor_b32 s0, exec_lo, s1
; %bb.381:
	v_cmp_ne_u32_e32 vcc_lo, 0, v114
	v_cndmask_b32_e32 v114, 19, v114, vcc_lo
; %bb.382:
	s_and_not1_saveexec_b32 s0, s0
	s_cbranch_execz .LBB100_388
; %bb.383:
	v_cmp_ngt_f32_e64 s1, |v110|, |v111|
	s_and_saveexec_b32 s12, s1
	s_delay_alu instid0(SALU_CYCLE_1)
	s_xor_b32 s1, exec_lo, s12
	s_cbranch_execz .LBB100_385
; %bb.384:
	v_div_scale_f32 v109, null, v111, v111, v110
	v_div_scale_f32 v119, vcc_lo, v110, v111, v110
	s_delay_alu instid0(VALU_DEP_2) | instskip(SKIP_1) | instid1(TRANS32_DEP_1)
	v_rcp_f32_e32 v117, v109
	v_nop
	v_fma_f32 v118, -v109, v117, 1.0
	s_delay_alu instid0(VALU_DEP_1) | instskip(NEXT) | instid1(VALU_DEP_1)
	v_fmac_f32_e32 v117, v118, v117
	v_mul_f32_e32 v118, v119, v117
	s_delay_alu instid0(VALU_DEP_1) | instskip(NEXT) | instid1(VALU_DEP_1)
	v_fma_f32 v120, -v109, v118, v119
	v_fmac_f32_e32 v118, v120, v117
	s_delay_alu instid0(VALU_DEP_1) | instskip(NEXT) | instid1(VALU_DEP_1)
	v_fma_f32 v109, -v109, v118, v119
	v_div_fmas_f32 v109, v109, v117, v118
	s_delay_alu instid0(VALU_DEP_1) | instskip(NEXT) | instid1(VALU_DEP_1)
	v_div_fixup_f32 v109, v109, v111, v110
	v_fmac_f32_e32 v111, v110, v109
	s_delay_alu instid0(VALU_DEP_1) | instskip(SKIP_1) | instid1(VALU_DEP_2)
	v_div_scale_f32 v110, null, v111, v111, 1.0
	v_div_scale_f32 v119, vcc_lo, 1.0, v111, 1.0
	v_rcp_f32_e32 v117, v110
	v_nop
	s_delay_alu instid0(TRANS32_DEP_1) | instskip(NEXT) | instid1(VALU_DEP_1)
	v_fma_f32 v118, -v110, v117, 1.0
	v_fmac_f32_e32 v117, v118, v117
	s_delay_alu instid0(VALU_DEP_1) | instskip(NEXT) | instid1(VALU_DEP_1)
	v_mul_f32_e32 v118, v119, v117
	v_fma_f32 v120, -v110, v118, v119
	s_delay_alu instid0(VALU_DEP_1) | instskip(NEXT) | instid1(VALU_DEP_1)
	v_fmac_f32_e32 v118, v120, v117
	v_fma_f32 v110, -v110, v118, v119
	s_delay_alu instid0(VALU_DEP_1) | instskip(NEXT) | instid1(VALU_DEP_1)
	v_div_fmas_f32 v110, v110, v117, v118
	v_div_fixup_f32 v111, v110, v111, 1.0
	s_delay_alu instid0(VALU_DEP_1)
	v_mul_f32_e32 v110, v109, v111
	v_xor_b32_e32 v111, 0x80000000, v111
.LBB100_385:
	s_and_not1_saveexec_b32 s1, s1
	s_cbranch_execz .LBB100_387
; %bb.386:
	s_delay_alu instid0(VALU_DEP_1) | instskip(SKIP_1) | instid1(VALU_DEP_2)
	v_div_scale_f32 v109, null, v110, v110, v111
	v_div_scale_f32 v119, vcc_lo, v111, v110, v111
	v_rcp_f32_e32 v117, v109
	v_nop
	s_delay_alu instid0(TRANS32_DEP_1) | instskip(NEXT) | instid1(VALU_DEP_1)
	v_fma_f32 v118, -v109, v117, 1.0
	v_fmac_f32_e32 v117, v118, v117
	s_delay_alu instid0(VALU_DEP_1) | instskip(NEXT) | instid1(VALU_DEP_1)
	v_mul_f32_e32 v118, v119, v117
	v_fma_f32 v120, -v109, v118, v119
	s_delay_alu instid0(VALU_DEP_1) | instskip(NEXT) | instid1(VALU_DEP_1)
	v_fmac_f32_e32 v118, v120, v117
	v_fma_f32 v109, -v109, v118, v119
	s_delay_alu instid0(VALU_DEP_1) | instskip(NEXT) | instid1(VALU_DEP_1)
	v_div_fmas_f32 v109, v109, v117, v118
	v_div_fixup_f32 v109, v109, v110, v111
	s_delay_alu instid0(VALU_DEP_1) | instskip(NEXT) | instid1(VALU_DEP_1)
	v_fmac_f32_e32 v110, v111, v109
	v_div_scale_f32 v111, null, v110, v110, 1.0
	s_delay_alu instid0(VALU_DEP_1) | instskip(SKIP_1) | instid1(TRANS32_DEP_1)
	v_rcp_f32_e32 v117, v111
	v_nop
	v_fma_f32 v118, -v111, v117, 1.0
	s_delay_alu instid0(VALU_DEP_1) | instskip(SKIP_1) | instid1(VALU_DEP_1)
	v_fmac_f32_e32 v117, v118, v117
	v_div_scale_f32 v118, vcc_lo, 1.0, v110, 1.0
	v_mul_f32_e32 v119, v118, v117
	s_delay_alu instid0(VALU_DEP_1) | instskip(NEXT) | instid1(VALU_DEP_1)
	v_fma_f32 v120, -v111, v119, v118
	v_fmac_f32_e32 v119, v120, v117
	s_delay_alu instid0(VALU_DEP_1) | instskip(NEXT) | instid1(VALU_DEP_1)
	v_fma_f32 v111, -v111, v119, v118
	v_div_fmas_f32 v111, v111, v117, v119
	s_delay_alu instid0(VALU_DEP_1) | instskip(NEXT) | instid1(VALU_DEP_1)
	v_div_fixup_f32 v110, v111, v110, 1.0
	v_mul_f32_e64 v111, v109, -v110
.LBB100_387:
	s_or_b32 exec_lo, exec_lo, s1
.LBB100_388:
	s_delay_alu instid0(SALU_CYCLE_1) | instskip(NEXT) | instid1(SALU_CYCLE_1)
	s_or_b32 exec_lo, exec_lo, s0
	s_mov_b32 s0, exec_lo
	v_cmpx_ne_u32_e64 v116, v108
	s_xor_b32 s0, exec_lo, s0
	s_cbranch_execz .LBB100_394
; %bb.389:
	s_mov_b32 s1, exec_lo
	v_cmpx_eq_u32_e32 18, v116
	s_cbranch_execz .LBB100_393
; %bb.390:
	v_cmp_ne_u32_e32 vcc_lo, 18, v108
	s_xor_b32 s12, s16, -1
	s_delay_alu instid0(SALU_CYCLE_1) | instskip(NEXT) | instid1(SALU_CYCLE_1)
	s_and_b32 s13, s12, vcc_lo
	s_and_saveexec_b32 s12, s13
	s_cbranch_execz .LBB100_392
; %bb.391:
	v_ashrrev_i32_e32 v109, 31, v108
	s_delay_alu instid0(VALU_DEP_1)
	v_lshl_add_u64 v[116:117], v[108:109], 2, v[4:5]
	s_clause 0x1
	global_load_b32 v109, v[116:117], off
	global_load_b32 v115, v[4:5], off offset:72
	s_wait_loadcnt 0x1
	global_store_b32 v[4:5], v109, off offset:72
	s_wait_loadcnt 0x0
	global_store_b32 v[116:117], v115, off
.LBB100_392:
	s_wait_xcnt 0x0
	s_or_b32 exec_lo, exec_lo, s12
	v_dual_mov_b32 v116, v108 :: v_dual_mov_b32 v115, v108
.LBB100_393:
	s_or_b32 exec_lo, exec_lo, s1
.LBB100_394:
	s_and_not1_saveexec_b32 s0, s0
	s_cbranch_execz .LBB100_396
; %bb.395:
	v_mov_b32_e32 v116, 18
	ds_store_2addr_b64 v112, v[20:21], v[52:53] offset0:19 offset1:20
	ds_store_2addr_b64 v112, v[50:51], v[32:33] offset0:21 offset1:22
	;; [unrolled: 1-line block ×16, first 2 shown]
.LBB100_396:
	s_or_b32 exec_lo, exec_lo, s0
	s_delay_alu instid0(SALU_CYCLE_1)
	s_mov_b32 s0, exec_lo
	s_wait_storecnt_dscnt 0x0
	s_barrier_signal -1
	s_barrier_wait -1
	v_cmpx_lt_i32_e32 18, v116
	s_cbranch_execz .LBB100_398
; %bb.397:
	v_pk_mul_f32 v[118:119], v[110:111], v[22:23] op_sel:[1,1] op_sel_hi:[0,1]
	s_delay_alu instid0(VALU_DEP_1)
	v_pk_fma_f32 v[108:109], v[110:111], v[22:23], v[118:119] op_sel_hi:[1,0,1] neg_lo:[0,0,1] neg_hi:[0,0,1]
	v_pk_fma_f32 v[110:111], v[110:111], v[22:23], v[118:119] op_sel_hi:[1,0,1]
	ds_load_2addr_b64 v[118:121], v112 offset0:19 offset1:20
	v_dual_mov_b32 v22, v108 :: v_dual_mov_b32 v23, v111
	s_wait_dscnt 0x0
	v_pk_mul_f32 v[122:123], v[118:119], v[110:111] op_sel:[0,1]
	s_delay_alu instid0(VALU_DEP_1) | instskip(SKIP_1) | instid1(VALU_DEP_1)
	v_pk_fma_f32 v[124:125], v[118:119], v[108:109], v[122:123] op_sel:[0,0,1] op_sel_hi:[1,1,0] neg_lo:[0,0,1] neg_hi:[0,0,1]
	v_pk_fma_f32 v[118:119], v[118:119], v[108:109], v[122:123] op_sel:[0,0,1] op_sel_hi:[1,0,0]
	v_mov_b32_e32 v125, v119
	v_pk_mul_f32 v[118:119], v[120:121], v[110:111] op_sel:[0,1]
	s_delay_alu instid0(VALU_DEP_1) | instskip(SKIP_1) | instid1(VALU_DEP_1)
	v_pk_fma_f32 v[122:123], v[120:121], v[108:109], v[118:119] op_sel:[0,0,1] op_sel_hi:[1,1,0] neg_lo:[0,0,1] neg_hi:[0,0,1]
	v_pk_fma_f32 v[118:119], v[120:121], v[108:109], v[118:119] op_sel:[0,0,1] op_sel_hi:[1,0,0]
	v_mov_b32_e32 v123, v119
	ds_load_2addr_b64 v[118:121], v112 offset0:21 offset1:22
	v_pk_add_f32 v[20:21], v[20:21], v[124:125] neg_lo:[0,1] neg_hi:[0,1]
	v_pk_add_f32 v[52:53], v[52:53], v[122:123] neg_lo:[0,1] neg_hi:[0,1]
	s_wait_dscnt 0x0
	v_pk_mul_f32 v[122:123], v[118:119], v[110:111] op_sel:[0,1]
	s_delay_alu instid0(VALU_DEP_1) | instskip(SKIP_2) | instid1(VALU_DEP_2)
	v_pk_fma_f32 v[124:125], v[118:119], v[108:109], v[122:123] op_sel:[0,0,1] op_sel_hi:[1,1,0] neg_lo:[0,0,1] neg_hi:[0,0,1]
	v_pk_fma_f32 v[118:119], v[118:119], v[108:109], v[122:123] op_sel:[0,0,1] op_sel_hi:[1,0,0]
	v_dual_mul_f32 v122, v121, v111 :: v_dual_mov_b32 v118, v121
	v_dual_mov_b32 v125, v119 :: v_dual_mov_b32 v119, v120
	s_delay_alu instid0(VALU_DEP_2) | instskip(SKIP_1) | instid1(VALU_DEP_3)
	v_pk_fma_f32 v[122:123], v[120:121], v[22:23], v[122:123] op_sel_hi:[1,1,0] neg_lo:[0,0,1] neg_hi:[0,0,1]
	v_mul_f32_e32 v120, v121, v108
	v_pk_add_f32 v[50:51], v[50:51], v[124:125] neg_lo:[0,1] neg_hi:[0,1]
	s_delay_alu instid0(VALU_DEP_2) | instskip(NEXT) | instid1(VALU_DEP_1)
	v_pk_fma_f32 v[118:119], v[118:119], v[22:23], v[120:121] op_sel_hi:[1,1,0]
	v_mov_b32_e32 v123, v119
	ds_load_2addr_b64 v[118:121], v112 offset0:23 offset1:24
	v_pk_add_f32 v[32:33], v[32:33], v[122:123] neg_lo:[0,1] neg_hi:[0,1]
	s_wait_dscnt 0x0
	v_pk_mul_f32 v[122:123], v[118:119], v[110:111] op_sel:[0,1]
	s_delay_alu instid0(VALU_DEP_1) | instskip(SKIP_1) | instid1(VALU_DEP_1)
	v_pk_fma_f32 v[124:125], v[118:119], v[108:109], v[122:123] op_sel:[0,0,1] op_sel_hi:[1,1,0] neg_lo:[0,0,1] neg_hi:[0,0,1]
	v_pk_fma_f32 v[118:119], v[118:119], v[108:109], v[122:123] op_sel:[0,0,1] op_sel_hi:[1,0,0]
	v_mov_b32_e32 v125, v119
	v_pk_mul_f32 v[118:119], v[120:121], v[110:111] op_sel:[0,1]
	s_delay_alu instid0(VALU_DEP_1) | instskip(SKIP_1) | instid1(VALU_DEP_1)
	v_pk_fma_f32 v[122:123], v[120:121], v[108:109], v[118:119] op_sel:[0,0,1] op_sel_hi:[1,1,0] neg_lo:[0,0,1] neg_hi:[0,0,1]
	v_pk_fma_f32 v[118:119], v[120:121], v[108:109], v[118:119] op_sel:[0,0,1] op_sel_hi:[1,0,0]
	v_mov_b32_e32 v123, v119
	ds_load_2addr_b64 v[118:121], v112 offset0:25 offset1:26
	v_pk_add_f32 v[30:31], v[30:31], v[124:125] neg_lo:[0,1] neg_hi:[0,1]
	v_pk_add_f32 v[62:63], v[62:63], v[122:123] neg_lo:[0,1] neg_hi:[0,1]
	s_wait_dscnt 0x0
	v_pk_mul_f32 v[122:123], v[118:119], v[110:111] op_sel:[0,1]
	s_delay_alu instid0(VALU_DEP_1) | instskip(SKIP_1) | instid1(VALU_DEP_1)
	v_pk_fma_f32 v[124:125], v[118:119], v[108:109], v[122:123] op_sel:[0,0,1] op_sel_hi:[1,1,0] neg_lo:[0,0,1] neg_hi:[0,0,1]
	v_pk_fma_f32 v[118:119], v[118:119], v[108:109], v[122:123] op_sel:[0,0,1] op_sel_hi:[1,0,0]
	v_mov_b32_e32 v125, v119
	v_pk_mul_f32 v[118:119], v[120:121], v[110:111] op_sel:[0,1]
	s_delay_alu instid0(VALU_DEP_1) | instskip(SKIP_1) | instid1(VALU_DEP_1)
	v_pk_fma_f32 v[122:123], v[120:121], v[108:109], v[118:119] op_sel:[0,0,1] op_sel_hi:[1,1,0] neg_lo:[0,0,1] neg_hi:[0,0,1]
	v_pk_fma_f32 v[118:119], v[120:121], v[108:109], v[118:119] op_sel:[0,0,1] op_sel_hi:[1,0,0]
	v_mov_b32_e32 v123, v119
	ds_load_2addr_b64 v[118:121], v112 offset0:27 offset1:28
	v_pk_add_f32 v[60:61], v[60:61], v[124:125] neg_lo:[0,1] neg_hi:[0,1]
	v_pk_add_f32 v[40:41], v[40:41], v[122:123] neg_lo:[0,1] neg_hi:[0,1]
	s_wait_dscnt 0x0
	v_dual_mul_f32 v122, v119, v111 :: v_dual_mul_f32 v124, v119, v108
	s_delay_alu instid0(VALU_DEP_1) | instskip(NEXT) | instid1(VALU_DEP_2)
	v_pk_fma_f32 v[122:123], v[118:119], v[22:23], v[122:123] op_sel_hi:[1,1,0] neg_lo:[0,0,1] neg_hi:[0,0,1]
	v_pk_fma_f32 v[118:119], v[118:119], v[22:23], v[124:125] op_sel:[1,0,0] op_sel_hi:[0,1,0]
	s_delay_alu instid0(VALU_DEP_1) | instskip(SKIP_1) | instid1(VALU_DEP_2)
	v_mov_b32_e32 v123, v119
	v_pk_mul_f32 v[118:119], v[120:121], v[110:111] op_sel:[0,1]
	v_pk_add_f32 v[38:39], v[38:39], v[122:123] neg_lo:[0,1] neg_hi:[0,1]
	s_delay_alu instid0(VALU_DEP_2) | instskip(SKIP_1) | instid1(VALU_DEP_1)
	v_pk_fma_f32 v[122:123], v[120:121], v[108:109], v[118:119] op_sel:[0,0,1] op_sel_hi:[1,1,0] neg_lo:[0,0,1] neg_hi:[0,0,1]
	v_pk_fma_f32 v[118:119], v[120:121], v[108:109], v[118:119] op_sel:[0,0,1] op_sel_hi:[1,0,0]
	v_mov_b32_e32 v123, v119
	ds_load_2addr_b64 v[118:121], v112 offset0:29 offset1:30
	v_pk_add_f32 v[70:71], v[70:71], v[122:123] neg_lo:[0,1] neg_hi:[0,1]
	s_wait_dscnt 0x0
	v_pk_mul_f32 v[122:123], v[118:119], v[110:111] op_sel:[0,1]
	s_delay_alu instid0(VALU_DEP_1) | instskip(SKIP_1) | instid1(VALU_DEP_1)
	v_pk_fma_f32 v[124:125], v[118:119], v[108:109], v[122:123] op_sel:[0,0,1] op_sel_hi:[1,1,0] neg_lo:[0,0,1] neg_hi:[0,0,1]
	v_pk_fma_f32 v[118:119], v[118:119], v[108:109], v[122:123] op_sel:[0,0,1] op_sel_hi:[1,0,0]
	v_mov_b32_e32 v125, v119
	v_pk_mul_f32 v[118:119], v[120:121], v[110:111] op_sel:[0,1]
	s_delay_alu instid0(VALU_DEP_2) | instskip(NEXT) | instid1(VALU_DEP_2)
	v_pk_add_f32 v[68:69], v[68:69], v[124:125] neg_lo:[0,1] neg_hi:[0,1]
	v_pk_fma_f32 v[122:123], v[120:121], v[108:109], v[118:119] op_sel:[0,0,1] op_sel_hi:[1,1,0] neg_lo:[0,0,1] neg_hi:[0,0,1]
	v_pk_fma_f32 v[118:119], v[120:121], v[108:109], v[118:119] op_sel:[0,0,1] op_sel_hi:[1,0,0]
	s_delay_alu instid0(VALU_DEP_1) | instskip(SKIP_4) | instid1(VALU_DEP_1)
	v_mov_b32_e32 v123, v119
	ds_load_2addr_b64 v[118:121], v112 offset0:31 offset1:32
	v_pk_add_f32 v[48:49], v[48:49], v[122:123] neg_lo:[0,1] neg_hi:[0,1]
	s_wait_dscnt 0x0
	v_pk_mul_f32 v[122:123], v[118:119], v[110:111] op_sel:[0,1]
	v_pk_fma_f32 v[124:125], v[118:119], v[108:109], v[122:123] op_sel:[0,0,1] op_sel_hi:[1,1,0] neg_lo:[0,0,1] neg_hi:[0,0,1]
	v_pk_fma_f32 v[118:119], v[118:119], v[108:109], v[122:123] op_sel:[0,0,1] op_sel_hi:[1,0,0]
	v_dual_mul_f32 v122, v121, v111 :: v_dual_mov_b32 v118, v121
	s_delay_alu instid0(VALU_DEP_2) | instskip(NEXT) | instid1(VALU_DEP_2)
	v_dual_mov_b32 v125, v119 :: v_dual_mov_b32 v119, v120
	v_pk_fma_f32 v[122:123], v[120:121], v[22:23], v[122:123] op_sel_hi:[1,1,0] neg_lo:[0,0,1] neg_hi:[0,0,1]
	v_mul_f32_e32 v120, v121, v108
	s_delay_alu instid0(VALU_DEP_3) | instskip(NEXT) | instid1(VALU_DEP_2)
	v_pk_add_f32 v[46:47], v[46:47], v[124:125] neg_lo:[0,1] neg_hi:[0,1]
	v_pk_fma_f32 v[118:119], v[118:119], v[22:23], v[120:121] op_sel_hi:[1,1,0]
	s_delay_alu instid0(VALU_DEP_1) | instskip(SKIP_4) | instid1(VALU_DEP_1)
	v_mov_b32_e32 v123, v119
	ds_load_2addr_b64 v[118:121], v112 offset0:33 offset1:34
	v_pk_add_f32 v[84:85], v[84:85], v[122:123] neg_lo:[0,1] neg_hi:[0,1]
	s_wait_dscnt 0x0
	v_pk_mul_f32 v[122:123], v[118:119], v[110:111] op_sel:[0,1]
	v_pk_fma_f32 v[124:125], v[118:119], v[108:109], v[122:123] op_sel:[0,0,1] op_sel_hi:[1,1,0] neg_lo:[0,0,1] neg_hi:[0,0,1]
	v_pk_fma_f32 v[118:119], v[118:119], v[108:109], v[122:123] op_sel:[0,0,1] op_sel_hi:[1,0,0]
	s_delay_alu instid0(VALU_DEP_1) | instskip(SKIP_1) | instid1(VALU_DEP_1)
	v_mov_b32_e32 v125, v119
	v_pk_mul_f32 v[118:119], v[120:121], v[110:111] op_sel:[0,1]
	v_pk_fma_f32 v[122:123], v[120:121], v[108:109], v[118:119] op_sel:[0,0,1] op_sel_hi:[1,1,0] neg_lo:[0,0,1] neg_hi:[0,0,1]
	v_pk_fma_f32 v[118:119], v[120:121], v[108:109], v[118:119] op_sel:[0,0,1] op_sel_hi:[1,0,0]
	s_delay_alu instid0(VALU_DEP_1)
	v_mov_b32_e32 v123, v119
	ds_load_2addr_b64 v[118:121], v112 offset0:35 offset1:36
	v_pk_add_f32 v[82:83], v[82:83], v[124:125] neg_lo:[0,1] neg_hi:[0,1]
	v_pk_add_f32 v[56:57], v[56:57], v[122:123] neg_lo:[0,1] neg_hi:[0,1]
	s_wait_dscnt 0x0
	v_pk_mul_f32 v[122:123], v[118:119], v[110:111] op_sel:[0,1]
	s_delay_alu instid0(VALU_DEP_1) | instskip(SKIP_1) | instid1(VALU_DEP_1)
	v_pk_fma_f32 v[124:125], v[118:119], v[108:109], v[122:123] op_sel:[0,0,1] op_sel_hi:[1,1,0] neg_lo:[0,0,1] neg_hi:[0,0,1]
	v_pk_fma_f32 v[118:119], v[118:119], v[108:109], v[122:123] op_sel:[0,0,1] op_sel_hi:[1,0,0]
	v_mov_b32_e32 v125, v119
	v_pk_mul_f32 v[118:119], v[120:121], v[110:111] op_sel:[0,1]
	s_delay_alu instid0(VALU_DEP_1) | instskip(SKIP_1) | instid1(VALU_DEP_1)
	v_pk_fma_f32 v[122:123], v[120:121], v[108:109], v[118:119] op_sel:[0,0,1] op_sel_hi:[1,1,0] neg_lo:[0,0,1] neg_hi:[0,0,1]
	v_pk_fma_f32 v[118:119], v[120:121], v[108:109], v[118:119] op_sel:[0,0,1] op_sel_hi:[1,0,0]
	v_mov_b32_e32 v123, v119
	ds_load_2addr_b64 v[118:121], v112 offset0:37 offset1:38
	v_pk_add_f32 v[54:55], v[54:55], v[124:125] neg_lo:[0,1] neg_hi:[0,1]
	v_pk_add_f32 v[94:95], v[94:95], v[122:123] neg_lo:[0,1] neg_hi:[0,1]
	s_wait_dscnt 0x0
	v_dual_mul_f32 v122, v119, v111 :: v_dual_mul_f32 v124, v119, v108
	s_delay_alu instid0(VALU_DEP_1) | instskip(NEXT) | instid1(VALU_DEP_2)
	v_pk_fma_f32 v[122:123], v[118:119], v[22:23], v[122:123] op_sel_hi:[1,1,0] neg_lo:[0,0,1] neg_hi:[0,0,1]
	v_pk_fma_f32 v[118:119], v[118:119], v[22:23], v[124:125] op_sel:[1,0,0] op_sel_hi:[0,1,0]
	s_delay_alu instid0(VALU_DEP_1) | instskip(SKIP_1) | instid1(VALU_DEP_2)
	v_mov_b32_e32 v123, v119
	v_pk_mul_f32 v[118:119], v[120:121], v[110:111] op_sel:[0,1]
	v_pk_add_f32 v[92:93], v[92:93], v[122:123] neg_lo:[0,1] neg_hi:[0,1]
	s_delay_alu instid0(VALU_DEP_2) | instskip(SKIP_1) | instid1(VALU_DEP_1)
	v_pk_fma_f32 v[122:123], v[120:121], v[108:109], v[118:119] op_sel:[0,0,1] op_sel_hi:[1,1,0] neg_lo:[0,0,1] neg_hi:[0,0,1]
	v_pk_fma_f32 v[118:119], v[120:121], v[108:109], v[118:119] op_sel:[0,0,1] op_sel_hi:[1,0,0]
	v_mov_b32_e32 v123, v119
	ds_load_2addr_b64 v[118:121], v112 offset0:39 offset1:40
	v_pk_add_f32 v[66:67], v[66:67], v[122:123] neg_lo:[0,1] neg_hi:[0,1]
	s_wait_dscnt 0x0
	v_pk_mul_f32 v[122:123], v[118:119], v[110:111] op_sel:[0,1]
	s_delay_alu instid0(VALU_DEP_1) | instskip(SKIP_1) | instid1(VALU_DEP_1)
	v_pk_fma_f32 v[124:125], v[118:119], v[108:109], v[122:123] op_sel:[0,0,1] op_sel_hi:[1,1,0] neg_lo:[0,0,1] neg_hi:[0,0,1]
	v_pk_fma_f32 v[118:119], v[118:119], v[108:109], v[122:123] op_sel:[0,0,1] op_sel_hi:[1,0,0]
	v_mov_b32_e32 v125, v119
	v_pk_mul_f32 v[118:119], v[120:121], v[110:111] op_sel:[0,1]
	s_delay_alu instid0(VALU_DEP_2) | instskip(NEXT) | instid1(VALU_DEP_2)
	v_pk_add_f32 v[64:65], v[64:65], v[124:125] neg_lo:[0,1] neg_hi:[0,1]
	v_pk_fma_f32 v[122:123], v[120:121], v[108:109], v[118:119] op_sel:[0,0,1] op_sel_hi:[1,1,0] neg_lo:[0,0,1] neg_hi:[0,0,1]
	v_pk_fma_f32 v[118:119], v[120:121], v[108:109], v[118:119] op_sel:[0,0,1] op_sel_hi:[1,0,0]
	s_delay_alu instid0(VALU_DEP_1) | instskip(SKIP_4) | instid1(VALU_DEP_1)
	v_mov_b32_e32 v123, v119
	ds_load_2addr_b64 v[118:121], v112 offset0:41 offset1:42
	v_pk_add_f32 v[104:105], v[104:105], v[122:123] neg_lo:[0,1] neg_hi:[0,1]
	s_wait_dscnt 0x0
	v_pk_mul_f32 v[122:123], v[118:119], v[110:111] op_sel:[0,1]
	v_pk_fma_f32 v[124:125], v[118:119], v[108:109], v[122:123] op_sel:[0,0,1] op_sel_hi:[1,1,0] neg_lo:[0,0,1] neg_hi:[0,0,1]
	v_pk_fma_f32 v[118:119], v[118:119], v[108:109], v[122:123] op_sel:[0,0,1] op_sel_hi:[1,0,0]
	v_dual_mul_f32 v122, v121, v111 :: v_dual_mov_b32 v118, v121
	s_delay_alu instid0(VALU_DEP_2) | instskip(NEXT) | instid1(VALU_DEP_2)
	v_dual_mov_b32 v125, v119 :: v_dual_mov_b32 v119, v120
	v_pk_fma_f32 v[122:123], v[120:121], v[22:23], v[122:123] op_sel_hi:[1,1,0] neg_lo:[0,0,1] neg_hi:[0,0,1]
	v_mul_f32_e32 v120, v121, v108
	s_delay_alu instid0(VALU_DEP_3) | instskip(NEXT) | instid1(VALU_DEP_2)
	v_pk_add_f32 v[102:103], v[102:103], v[124:125] neg_lo:[0,1] neg_hi:[0,1]
	v_pk_fma_f32 v[118:119], v[118:119], v[22:23], v[120:121] op_sel_hi:[1,1,0]
	s_delay_alu instid0(VALU_DEP_1) | instskip(SKIP_4) | instid1(VALU_DEP_1)
	v_mov_b32_e32 v123, v119
	ds_load_2addr_b64 v[118:121], v112 offset0:43 offset1:44
	v_pk_add_f32 v[76:77], v[76:77], v[122:123] neg_lo:[0,1] neg_hi:[0,1]
	s_wait_dscnt 0x0
	v_pk_mul_f32 v[122:123], v[118:119], v[110:111] op_sel:[0,1]
	v_pk_fma_f32 v[124:125], v[118:119], v[108:109], v[122:123] op_sel:[0,0,1] op_sel_hi:[1,1,0] neg_lo:[0,0,1] neg_hi:[0,0,1]
	v_pk_fma_f32 v[118:119], v[118:119], v[108:109], v[122:123] op_sel:[0,0,1] op_sel_hi:[1,0,0]
	s_delay_alu instid0(VALU_DEP_1) | instskip(SKIP_1) | instid1(VALU_DEP_1)
	v_mov_b32_e32 v125, v119
	v_pk_mul_f32 v[118:119], v[120:121], v[110:111] op_sel:[0,1]
	v_pk_fma_f32 v[122:123], v[120:121], v[108:109], v[118:119] op_sel:[0,0,1] op_sel_hi:[1,1,0] neg_lo:[0,0,1] neg_hi:[0,0,1]
	v_pk_fma_f32 v[118:119], v[120:121], v[108:109], v[118:119] op_sel:[0,0,1] op_sel_hi:[1,0,0]
	s_delay_alu instid0(VALU_DEP_1)
	v_mov_b32_e32 v123, v119
	ds_load_2addr_b64 v[118:121], v112 offset0:45 offset1:46
	v_pk_add_f32 v[74:75], v[74:75], v[124:125] neg_lo:[0,1] neg_hi:[0,1]
	v_pk_add_f32 v[98:99], v[98:99], v[122:123] neg_lo:[0,1] neg_hi:[0,1]
	s_wait_dscnt 0x0
	v_pk_mul_f32 v[122:123], v[118:119], v[110:111] op_sel:[0,1]
	s_delay_alu instid0(VALU_DEP_1) | instskip(SKIP_1) | instid1(VALU_DEP_1)
	v_pk_fma_f32 v[124:125], v[118:119], v[108:109], v[122:123] op_sel:[0,0,1] op_sel_hi:[1,1,0] neg_lo:[0,0,1] neg_hi:[0,0,1]
	v_pk_fma_f32 v[118:119], v[118:119], v[108:109], v[122:123] op_sel:[0,0,1] op_sel_hi:[1,0,0]
	v_mov_b32_e32 v125, v119
	v_pk_mul_f32 v[118:119], v[120:121], v[110:111] op_sel:[0,1]
	s_delay_alu instid0(VALU_DEP_1) | instskip(SKIP_1) | instid1(VALU_DEP_1)
	v_pk_fma_f32 v[122:123], v[120:121], v[108:109], v[118:119] op_sel:[0,0,1] op_sel_hi:[1,1,0] neg_lo:[0,0,1] neg_hi:[0,0,1]
	v_pk_fma_f32 v[118:119], v[120:121], v[108:109], v[118:119] op_sel:[0,0,1] op_sel_hi:[1,0,0]
	v_mov_b32_e32 v123, v119
	ds_load_2addr_b64 v[118:121], v112 offset0:47 offset1:48
	v_pk_add_f32 v[96:97], v[96:97], v[124:125] neg_lo:[0,1] neg_hi:[0,1]
	v_pk_add_f32 v[80:81], v[80:81], v[122:123] neg_lo:[0,1] neg_hi:[0,1]
	s_wait_dscnt 0x0
	v_dual_mul_f32 v122, v119, v111 :: v_dual_mul_f32 v124, v119, v108
	s_delay_alu instid0(VALU_DEP_1) | instskip(NEXT) | instid1(VALU_DEP_2)
	v_pk_fma_f32 v[122:123], v[118:119], v[22:23], v[122:123] op_sel_hi:[1,1,0] neg_lo:[0,0,1] neg_hi:[0,0,1]
	v_pk_fma_f32 v[118:119], v[118:119], v[22:23], v[124:125] op_sel:[1,0,0] op_sel_hi:[0,1,0]
	s_delay_alu instid0(VALU_DEP_1) | instskip(SKIP_1) | instid1(VALU_DEP_2)
	v_mov_b32_e32 v123, v119
	v_pk_mul_f32 v[118:119], v[120:121], v[110:111] op_sel:[0,1]
	v_pk_add_f32 v[78:79], v[78:79], v[122:123] neg_lo:[0,1] neg_hi:[0,1]
	s_delay_alu instid0(VALU_DEP_2) | instskip(SKIP_1) | instid1(VALU_DEP_1)
	v_pk_fma_f32 v[122:123], v[120:121], v[108:109], v[118:119] op_sel:[0,0,1] op_sel_hi:[1,1,0] neg_lo:[0,0,1] neg_hi:[0,0,1]
	v_pk_fma_f32 v[118:119], v[120:121], v[108:109], v[118:119] op_sel:[0,0,1] op_sel_hi:[1,0,0]
	v_mov_b32_e32 v123, v119
	ds_load_2addr_b64 v[118:121], v112 offset0:49 offset1:50
	v_pk_add_f32 v[88:89], v[88:89], v[122:123] neg_lo:[0,1] neg_hi:[0,1]
	s_wait_dscnt 0x0
	v_pk_mul_f32 v[122:123], v[118:119], v[110:111] op_sel:[0,1]
	v_pk_mul_f32 v[110:111], v[120:121], v[110:111] op_sel:[0,1]
	s_delay_alu instid0(VALU_DEP_2) | instskip(SKIP_1) | instid1(VALU_DEP_1)
	v_pk_fma_f32 v[124:125], v[118:119], v[108:109], v[122:123] op_sel:[0,0,1] op_sel_hi:[1,1,0] neg_lo:[0,0,1] neg_hi:[0,0,1]
	v_pk_fma_f32 v[118:119], v[118:119], v[108:109], v[122:123] op_sel:[0,0,1] op_sel_hi:[1,0,0]
	v_mov_b32_e32 v125, v119
	s_delay_alu instid0(VALU_DEP_4) | instskip(SKIP_1) | instid1(VALU_DEP_3)
	v_pk_fma_f32 v[118:119], v[120:121], v[108:109], v[110:111] op_sel:[0,0,1] op_sel_hi:[1,1,0] neg_lo:[0,0,1] neg_hi:[0,0,1]
	v_pk_fma_f32 v[108:109], v[120:121], v[108:109], v[110:111] op_sel:[0,0,1] op_sel_hi:[1,0,0]
	v_pk_add_f32 v[86:87], v[86:87], v[124:125] neg_lo:[0,1] neg_hi:[0,1]
	s_delay_alu instid0(VALU_DEP_2) | instskip(NEXT) | instid1(VALU_DEP_1)
	v_mov_b32_e32 v119, v109
	v_pk_add_f32 v[106:107], v[106:107], v[118:119] neg_lo:[0,1] neg_hi:[0,1]
.LBB100_398:
	s_or_b32 exec_lo, exec_lo, s0
	v_lshl_add_u32 v108, v116, 3, v112
	s_barrier_signal -1
	s_barrier_wait -1
	ds_store_b64 v108, v[20:21]
	s_wait_dscnt 0x0
	s_barrier_signal -1
	s_barrier_wait -1
	ds_load_b64 v[110:111], v112 offset:152
	v_mov_b32_e32 v108, 19
	s_cmp_lt_i32 s18, 21
	s_cbranch_scc1 .LBB100_401
; %bb.399:
	v_add3_u32 v109, v113, 0, 0xa0
	v_mov_b32_e32 v108, 19
	s_mov_b32 s0, 20
.LBB100_400:                            ; =>This Inner Loop Header: Depth=1
	ds_load_b64 v[118:119], v109
	s_wait_dscnt 0x1
	v_cmp_gt_f32_e32 vcc_lo, 0, v110
	v_cndmask_b32_e64 v120, v110, -v110, vcc_lo
	v_cmp_gt_f32_e32 vcc_lo, 0, v111
	v_cndmask_b32_e64 v122, v111, -v111, vcc_lo
	s_wait_dscnt 0x0
	v_cmp_gt_f32_e32 vcc_lo, 0, v118
	v_cndmask_b32_e64 v121, v118, -v118, vcc_lo
	v_cmp_gt_f32_e32 vcc_lo, 0, v119
	v_cndmask_b32_e64 v123, v119, -v119, vcc_lo
	s_delay_alu instid0(VALU_DEP_1) | instskip(NEXT) | instid1(VALU_DEP_1)
	v_pk_add_f32 v[120:121], v[120:121], v[122:123]
	v_cmp_lt_f32_e32 vcc_lo, v120, v121
	v_dual_add_nc_u32 v109, 8, v109 :: v_dual_cndmask_b32 v111, v111, v119, vcc_lo
	v_cndmask_b32_e32 v110, v110, v118, vcc_lo
	v_cndmask_b32_e64 v108, v108, s0, vcc_lo
	s_add_co_i32 s0, s0, 1
	s_delay_alu instid0(SALU_CYCLE_1)
	s_cmp_lg_u32 s18, s0
	s_cbranch_scc1 .LBB100_400
.LBB100_401:
	s_wait_dscnt 0x0
	v_cmp_eq_f32_e32 vcc_lo, 0, v110
	v_cmp_eq_f32_e64 s0, 0, v111
	s_and_b32 s0, vcc_lo, s0
	s_delay_alu instid0(SALU_CYCLE_1) | instskip(NEXT) | instid1(SALU_CYCLE_1)
	s_and_saveexec_b32 s1, s0
	s_xor_b32 s0, exec_lo, s1
; %bb.402:
	v_cmp_ne_u32_e32 vcc_lo, 0, v114
	v_cndmask_b32_e32 v114, 20, v114, vcc_lo
; %bb.403:
	s_and_not1_saveexec_b32 s0, s0
	s_cbranch_execz .LBB100_409
; %bb.404:
	v_cmp_ngt_f32_e64 s1, |v110|, |v111|
	s_and_saveexec_b32 s12, s1
	s_delay_alu instid0(SALU_CYCLE_1)
	s_xor_b32 s1, exec_lo, s12
	s_cbranch_execz .LBB100_406
; %bb.405:
	v_div_scale_f32 v109, null, v111, v111, v110
	v_div_scale_f32 v119, vcc_lo, v110, v111, v110
	s_delay_alu instid0(VALU_DEP_2) | instskip(SKIP_1) | instid1(TRANS32_DEP_1)
	v_rcp_f32_e32 v117, v109
	v_nop
	v_fma_f32 v118, -v109, v117, 1.0
	s_delay_alu instid0(VALU_DEP_1) | instskip(NEXT) | instid1(VALU_DEP_1)
	v_fmac_f32_e32 v117, v118, v117
	v_mul_f32_e32 v118, v119, v117
	s_delay_alu instid0(VALU_DEP_1) | instskip(NEXT) | instid1(VALU_DEP_1)
	v_fma_f32 v120, -v109, v118, v119
	v_fmac_f32_e32 v118, v120, v117
	s_delay_alu instid0(VALU_DEP_1) | instskip(NEXT) | instid1(VALU_DEP_1)
	v_fma_f32 v109, -v109, v118, v119
	v_div_fmas_f32 v109, v109, v117, v118
	s_delay_alu instid0(VALU_DEP_1) | instskip(NEXT) | instid1(VALU_DEP_1)
	v_div_fixup_f32 v109, v109, v111, v110
	v_fmac_f32_e32 v111, v110, v109
	s_delay_alu instid0(VALU_DEP_1) | instskip(SKIP_1) | instid1(VALU_DEP_2)
	v_div_scale_f32 v110, null, v111, v111, 1.0
	v_div_scale_f32 v119, vcc_lo, 1.0, v111, 1.0
	v_rcp_f32_e32 v117, v110
	v_nop
	s_delay_alu instid0(TRANS32_DEP_1) | instskip(NEXT) | instid1(VALU_DEP_1)
	v_fma_f32 v118, -v110, v117, 1.0
	v_fmac_f32_e32 v117, v118, v117
	s_delay_alu instid0(VALU_DEP_1) | instskip(NEXT) | instid1(VALU_DEP_1)
	v_mul_f32_e32 v118, v119, v117
	v_fma_f32 v120, -v110, v118, v119
	s_delay_alu instid0(VALU_DEP_1) | instskip(NEXT) | instid1(VALU_DEP_1)
	v_fmac_f32_e32 v118, v120, v117
	v_fma_f32 v110, -v110, v118, v119
	s_delay_alu instid0(VALU_DEP_1) | instskip(NEXT) | instid1(VALU_DEP_1)
	v_div_fmas_f32 v110, v110, v117, v118
	v_div_fixup_f32 v111, v110, v111, 1.0
	s_delay_alu instid0(VALU_DEP_1)
	v_mul_f32_e32 v110, v109, v111
	v_xor_b32_e32 v111, 0x80000000, v111
.LBB100_406:
	s_and_not1_saveexec_b32 s1, s1
	s_cbranch_execz .LBB100_408
; %bb.407:
	s_delay_alu instid0(VALU_DEP_1) | instskip(SKIP_1) | instid1(VALU_DEP_2)
	v_div_scale_f32 v109, null, v110, v110, v111
	v_div_scale_f32 v119, vcc_lo, v111, v110, v111
	v_rcp_f32_e32 v117, v109
	v_nop
	s_delay_alu instid0(TRANS32_DEP_1) | instskip(NEXT) | instid1(VALU_DEP_1)
	v_fma_f32 v118, -v109, v117, 1.0
	v_fmac_f32_e32 v117, v118, v117
	s_delay_alu instid0(VALU_DEP_1) | instskip(NEXT) | instid1(VALU_DEP_1)
	v_mul_f32_e32 v118, v119, v117
	v_fma_f32 v120, -v109, v118, v119
	s_delay_alu instid0(VALU_DEP_1) | instskip(NEXT) | instid1(VALU_DEP_1)
	v_fmac_f32_e32 v118, v120, v117
	v_fma_f32 v109, -v109, v118, v119
	s_delay_alu instid0(VALU_DEP_1) | instskip(NEXT) | instid1(VALU_DEP_1)
	v_div_fmas_f32 v109, v109, v117, v118
	v_div_fixup_f32 v109, v109, v110, v111
	s_delay_alu instid0(VALU_DEP_1) | instskip(NEXT) | instid1(VALU_DEP_1)
	v_fmac_f32_e32 v110, v111, v109
	v_div_scale_f32 v111, null, v110, v110, 1.0
	s_delay_alu instid0(VALU_DEP_1) | instskip(SKIP_1) | instid1(TRANS32_DEP_1)
	v_rcp_f32_e32 v117, v111
	v_nop
	v_fma_f32 v118, -v111, v117, 1.0
	s_delay_alu instid0(VALU_DEP_1) | instskip(SKIP_1) | instid1(VALU_DEP_1)
	v_fmac_f32_e32 v117, v118, v117
	v_div_scale_f32 v118, vcc_lo, 1.0, v110, 1.0
	v_mul_f32_e32 v119, v118, v117
	s_delay_alu instid0(VALU_DEP_1) | instskip(NEXT) | instid1(VALU_DEP_1)
	v_fma_f32 v120, -v111, v119, v118
	v_fmac_f32_e32 v119, v120, v117
	s_delay_alu instid0(VALU_DEP_1) | instskip(NEXT) | instid1(VALU_DEP_1)
	v_fma_f32 v111, -v111, v119, v118
	v_div_fmas_f32 v111, v111, v117, v119
	s_delay_alu instid0(VALU_DEP_1) | instskip(NEXT) | instid1(VALU_DEP_1)
	v_div_fixup_f32 v110, v111, v110, 1.0
	v_mul_f32_e64 v111, v109, -v110
.LBB100_408:
	s_or_b32 exec_lo, exec_lo, s1
.LBB100_409:
	s_delay_alu instid0(SALU_CYCLE_1) | instskip(NEXT) | instid1(SALU_CYCLE_1)
	s_or_b32 exec_lo, exec_lo, s0
	s_mov_b32 s0, exec_lo
	v_cmpx_ne_u32_e64 v116, v108
	s_xor_b32 s0, exec_lo, s0
	s_cbranch_execz .LBB100_415
; %bb.410:
	s_mov_b32 s1, exec_lo
	v_cmpx_eq_u32_e32 19, v116
	s_cbranch_execz .LBB100_414
; %bb.411:
	v_cmp_ne_u32_e32 vcc_lo, 19, v108
	s_xor_b32 s12, s16, -1
	s_delay_alu instid0(SALU_CYCLE_1) | instskip(NEXT) | instid1(SALU_CYCLE_1)
	s_and_b32 s13, s12, vcc_lo
	s_and_saveexec_b32 s12, s13
	s_cbranch_execz .LBB100_413
; %bb.412:
	v_ashrrev_i32_e32 v109, 31, v108
	s_delay_alu instid0(VALU_DEP_1)
	v_lshl_add_u64 v[116:117], v[108:109], 2, v[4:5]
	s_clause 0x1
	global_load_b32 v109, v[116:117], off
	global_load_b32 v115, v[4:5], off offset:76
	s_wait_loadcnt 0x1
	global_store_b32 v[4:5], v109, off offset:76
	s_wait_loadcnt 0x0
	global_store_b32 v[116:117], v115, off
.LBB100_413:
	s_wait_xcnt 0x0
	s_or_b32 exec_lo, exec_lo, s12
	v_dual_mov_b32 v116, v108 :: v_dual_mov_b32 v115, v108
.LBB100_414:
	s_or_b32 exec_lo, exec_lo, s1
.LBB100_415:
	s_and_not1_saveexec_b32 s0, s0
	s_cbranch_execz .LBB100_417
; %bb.416:
	v_dual_mov_b32 v108, v52 :: v_dual_mov_b32 v109, v53
	v_dual_mov_b32 v116, v50 :: v_dual_mov_b32 v117, v51
	ds_store_2addr_b64 v112, v[108:109], v[116:117] offset0:20 offset1:21
	v_dual_mov_b32 v108, v32 :: v_dual_mov_b32 v109, v33
	v_dual_mov_b32 v116, v30 :: v_dual_mov_b32 v117, v31
	ds_store_2addr_b64 v112, v[108:109], v[116:117] offset0:22 offset1:23
	;; [unrolled: 3-line block ×15, first 2 shown]
	ds_store_b64 v112, v[106:107] offset:400
	v_mov_b32_e32 v116, 19
.LBB100_417:
	s_or_b32 exec_lo, exec_lo, s0
	s_delay_alu instid0(SALU_CYCLE_1)
	s_mov_b32 s0, exec_lo
	s_wait_storecnt_dscnt 0x0
	s_barrier_signal -1
	s_barrier_wait -1
	v_cmpx_lt_i32_e32 19, v116
	s_cbranch_execz .LBB100_419
; %bb.418:
	v_pk_mul_f32 v[118:119], v[110:111], v[20:21] op_sel:[1,1] op_sel_hi:[0,1]
	s_delay_alu instid0(VALU_DEP_1)
	v_pk_fma_f32 v[108:109], v[110:111], v[20:21], v[118:119] op_sel_hi:[1,0,1] neg_lo:[0,0,1] neg_hi:[0,0,1]
	v_pk_fma_f32 v[110:111], v[110:111], v[20:21], v[118:119] op_sel_hi:[1,0,1]
	ds_load_2addr_b64 v[118:121], v112 offset0:20 offset1:21
	v_dual_mov_b32 v20, v108 :: v_dual_mov_b32 v21, v111
	s_wait_dscnt 0x0
	v_pk_mul_f32 v[122:123], v[118:119], v[110:111] op_sel:[0,1]
	s_delay_alu instid0(VALU_DEP_1) | instskip(SKIP_1) | instid1(VALU_DEP_1)
	v_pk_fma_f32 v[124:125], v[118:119], v[108:109], v[122:123] op_sel:[0,0,1] op_sel_hi:[1,1,0] neg_lo:[0,0,1] neg_hi:[0,0,1]
	v_pk_fma_f32 v[118:119], v[118:119], v[108:109], v[122:123] op_sel:[0,0,1] op_sel_hi:[1,0,0]
	v_mov_b32_e32 v125, v119
	v_pk_mul_f32 v[118:119], v[120:121], v[110:111] op_sel:[0,1]
	s_delay_alu instid0(VALU_DEP_1) | instskip(SKIP_1) | instid1(VALU_DEP_1)
	v_pk_fma_f32 v[122:123], v[120:121], v[108:109], v[118:119] op_sel:[0,0,1] op_sel_hi:[1,1,0] neg_lo:[0,0,1] neg_hi:[0,0,1]
	v_pk_fma_f32 v[118:119], v[120:121], v[108:109], v[118:119] op_sel:[0,0,1] op_sel_hi:[1,0,0]
	v_mov_b32_e32 v123, v119
	ds_load_2addr_b64 v[118:121], v112 offset0:22 offset1:23
	v_pk_add_f32 v[52:53], v[52:53], v[124:125] neg_lo:[0,1] neg_hi:[0,1]
	v_pk_add_f32 v[50:51], v[50:51], v[122:123] neg_lo:[0,1] neg_hi:[0,1]
	s_wait_dscnt 0x0
	v_pk_mul_f32 v[122:123], v[118:119], v[110:111] op_sel:[0,1]
	s_delay_alu instid0(VALU_DEP_1) | instskip(SKIP_2) | instid1(VALU_DEP_2)
	v_pk_fma_f32 v[124:125], v[118:119], v[108:109], v[122:123] op_sel:[0,0,1] op_sel_hi:[1,1,0] neg_lo:[0,0,1] neg_hi:[0,0,1]
	v_pk_fma_f32 v[118:119], v[118:119], v[108:109], v[122:123] op_sel:[0,0,1] op_sel_hi:[1,0,0]
	v_dual_mul_f32 v122, v121, v111 :: v_dual_mov_b32 v118, v121
	v_dual_mov_b32 v125, v119 :: v_dual_mov_b32 v119, v120
	s_delay_alu instid0(VALU_DEP_2) | instskip(SKIP_1) | instid1(VALU_DEP_3)
	v_pk_fma_f32 v[122:123], v[120:121], v[20:21], v[122:123] op_sel_hi:[1,1,0] neg_lo:[0,0,1] neg_hi:[0,0,1]
	v_mul_f32_e32 v120, v121, v108
	v_pk_add_f32 v[32:33], v[32:33], v[124:125] neg_lo:[0,1] neg_hi:[0,1]
	s_delay_alu instid0(VALU_DEP_2) | instskip(NEXT) | instid1(VALU_DEP_1)
	v_pk_fma_f32 v[118:119], v[118:119], v[20:21], v[120:121] op_sel_hi:[1,1,0]
	v_mov_b32_e32 v123, v119
	ds_load_2addr_b64 v[118:121], v112 offset0:24 offset1:25
	v_pk_add_f32 v[30:31], v[30:31], v[122:123] neg_lo:[0,1] neg_hi:[0,1]
	s_wait_dscnt 0x0
	v_pk_mul_f32 v[122:123], v[118:119], v[110:111] op_sel:[0,1]
	s_delay_alu instid0(VALU_DEP_1) | instskip(SKIP_1) | instid1(VALU_DEP_1)
	v_pk_fma_f32 v[124:125], v[118:119], v[108:109], v[122:123] op_sel:[0,0,1] op_sel_hi:[1,1,0] neg_lo:[0,0,1] neg_hi:[0,0,1]
	v_pk_fma_f32 v[118:119], v[118:119], v[108:109], v[122:123] op_sel:[0,0,1] op_sel_hi:[1,0,0]
	v_mov_b32_e32 v125, v119
	v_pk_mul_f32 v[118:119], v[120:121], v[110:111] op_sel:[0,1]
	s_delay_alu instid0(VALU_DEP_1) | instskip(SKIP_1) | instid1(VALU_DEP_1)
	v_pk_fma_f32 v[122:123], v[120:121], v[108:109], v[118:119] op_sel:[0,0,1] op_sel_hi:[1,1,0] neg_lo:[0,0,1] neg_hi:[0,0,1]
	v_pk_fma_f32 v[118:119], v[120:121], v[108:109], v[118:119] op_sel:[0,0,1] op_sel_hi:[1,0,0]
	v_mov_b32_e32 v123, v119
	ds_load_2addr_b64 v[118:121], v112 offset0:26 offset1:27
	v_pk_add_f32 v[62:63], v[62:63], v[124:125] neg_lo:[0,1] neg_hi:[0,1]
	v_pk_add_f32 v[60:61], v[60:61], v[122:123] neg_lo:[0,1] neg_hi:[0,1]
	s_wait_dscnt 0x0
	v_pk_mul_f32 v[122:123], v[118:119], v[110:111] op_sel:[0,1]
	s_delay_alu instid0(VALU_DEP_1) | instskip(SKIP_1) | instid1(VALU_DEP_1)
	v_pk_fma_f32 v[124:125], v[118:119], v[108:109], v[122:123] op_sel:[0,0,1] op_sel_hi:[1,1,0] neg_lo:[0,0,1] neg_hi:[0,0,1]
	v_pk_fma_f32 v[118:119], v[118:119], v[108:109], v[122:123] op_sel:[0,0,1] op_sel_hi:[1,0,0]
	v_mov_b32_e32 v125, v119
	v_pk_mul_f32 v[118:119], v[120:121], v[110:111] op_sel:[0,1]
	s_delay_alu instid0(VALU_DEP_1) | instskip(SKIP_1) | instid1(VALU_DEP_1)
	v_pk_fma_f32 v[122:123], v[120:121], v[108:109], v[118:119] op_sel:[0,0,1] op_sel_hi:[1,1,0] neg_lo:[0,0,1] neg_hi:[0,0,1]
	v_pk_fma_f32 v[118:119], v[120:121], v[108:109], v[118:119] op_sel:[0,0,1] op_sel_hi:[1,0,0]
	v_mov_b32_e32 v123, v119
	ds_load_2addr_b64 v[118:121], v112 offset0:28 offset1:29
	v_pk_add_f32 v[40:41], v[40:41], v[124:125] neg_lo:[0,1] neg_hi:[0,1]
	v_pk_add_f32 v[38:39], v[38:39], v[122:123] neg_lo:[0,1] neg_hi:[0,1]
	s_wait_dscnt 0x0
	v_dual_mul_f32 v122, v119, v111 :: v_dual_mul_f32 v124, v119, v108
	s_delay_alu instid0(VALU_DEP_1) | instskip(NEXT) | instid1(VALU_DEP_2)
	v_pk_fma_f32 v[122:123], v[118:119], v[20:21], v[122:123] op_sel_hi:[1,1,0] neg_lo:[0,0,1] neg_hi:[0,0,1]
	v_pk_fma_f32 v[118:119], v[118:119], v[20:21], v[124:125] op_sel:[1,0,0] op_sel_hi:[0,1,0]
	s_delay_alu instid0(VALU_DEP_1) | instskip(SKIP_1) | instid1(VALU_DEP_2)
	v_mov_b32_e32 v123, v119
	v_pk_mul_f32 v[118:119], v[120:121], v[110:111] op_sel:[0,1]
	v_pk_add_f32 v[70:71], v[70:71], v[122:123] neg_lo:[0,1] neg_hi:[0,1]
	s_delay_alu instid0(VALU_DEP_2) | instskip(SKIP_1) | instid1(VALU_DEP_1)
	v_pk_fma_f32 v[122:123], v[120:121], v[108:109], v[118:119] op_sel:[0,0,1] op_sel_hi:[1,1,0] neg_lo:[0,0,1] neg_hi:[0,0,1]
	v_pk_fma_f32 v[118:119], v[120:121], v[108:109], v[118:119] op_sel:[0,0,1] op_sel_hi:[1,0,0]
	v_mov_b32_e32 v123, v119
	ds_load_2addr_b64 v[118:121], v112 offset0:30 offset1:31
	v_pk_add_f32 v[68:69], v[68:69], v[122:123] neg_lo:[0,1] neg_hi:[0,1]
	s_wait_dscnt 0x0
	v_pk_mul_f32 v[122:123], v[118:119], v[110:111] op_sel:[0,1]
	s_delay_alu instid0(VALU_DEP_1) | instskip(SKIP_1) | instid1(VALU_DEP_1)
	v_pk_fma_f32 v[124:125], v[118:119], v[108:109], v[122:123] op_sel:[0,0,1] op_sel_hi:[1,1,0] neg_lo:[0,0,1] neg_hi:[0,0,1]
	v_pk_fma_f32 v[118:119], v[118:119], v[108:109], v[122:123] op_sel:[0,0,1] op_sel_hi:[1,0,0]
	v_mov_b32_e32 v125, v119
	v_pk_mul_f32 v[118:119], v[120:121], v[110:111] op_sel:[0,1]
	s_delay_alu instid0(VALU_DEP_2) | instskip(NEXT) | instid1(VALU_DEP_2)
	v_pk_add_f32 v[48:49], v[48:49], v[124:125] neg_lo:[0,1] neg_hi:[0,1]
	v_pk_fma_f32 v[122:123], v[120:121], v[108:109], v[118:119] op_sel:[0,0,1] op_sel_hi:[1,1,0] neg_lo:[0,0,1] neg_hi:[0,0,1]
	v_pk_fma_f32 v[118:119], v[120:121], v[108:109], v[118:119] op_sel:[0,0,1] op_sel_hi:[1,0,0]
	s_delay_alu instid0(VALU_DEP_1) | instskip(SKIP_4) | instid1(VALU_DEP_1)
	v_mov_b32_e32 v123, v119
	ds_load_2addr_b64 v[118:121], v112 offset0:32 offset1:33
	v_pk_add_f32 v[46:47], v[46:47], v[122:123] neg_lo:[0,1] neg_hi:[0,1]
	s_wait_dscnt 0x0
	v_pk_mul_f32 v[122:123], v[118:119], v[110:111] op_sel:[0,1]
	v_pk_fma_f32 v[124:125], v[118:119], v[108:109], v[122:123] op_sel:[0,0,1] op_sel_hi:[1,1,0] neg_lo:[0,0,1] neg_hi:[0,0,1]
	v_pk_fma_f32 v[118:119], v[118:119], v[108:109], v[122:123] op_sel:[0,0,1] op_sel_hi:[1,0,0]
	v_dual_mul_f32 v122, v121, v111 :: v_dual_mov_b32 v118, v121
	s_delay_alu instid0(VALU_DEP_2) | instskip(NEXT) | instid1(VALU_DEP_2)
	v_dual_mov_b32 v125, v119 :: v_dual_mov_b32 v119, v120
	v_pk_fma_f32 v[122:123], v[120:121], v[20:21], v[122:123] op_sel_hi:[1,1,0] neg_lo:[0,0,1] neg_hi:[0,0,1]
	v_mul_f32_e32 v120, v121, v108
	s_delay_alu instid0(VALU_DEP_3) | instskip(NEXT) | instid1(VALU_DEP_2)
	v_pk_add_f32 v[84:85], v[84:85], v[124:125] neg_lo:[0,1] neg_hi:[0,1]
	v_pk_fma_f32 v[118:119], v[118:119], v[20:21], v[120:121] op_sel_hi:[1,1,0]
	s_delay_alu instid0(VALU_DEP_1) | instskip(SKIP_4) | instid1(VALU_DEP_1)
	v_mov_b32_e32 v123, v119
	ds_load_2addr_b64 v[118:121], v112 offset0:34 offset1:35
	v_pk_add_f32 v[82:83], v[82:83], v[122:123] neg_lo:[0,1] neg_hi:[0,1]
	s_wait_dscnt 0x0
	v_pk_mul_f32 v[122:123], v[118:119], v[110:111] op_sel:[0,1]
	v_pk_fma_f32 v[124:125], v[118:119], v[108:109], v[122:123] op_sel:[0,0,1] op_sel_hi:[1,1,0] neg_lo:[0,0,1] neg_hi:[0,0,1]
	v_pk_fma_f32 v[118:119], v[118:119], v[108:109], v[122:123] op_sel:[0,0,1] op_sel_hi:[1,0,0]
	s_delay_alu instid0(VALU_DEP_1) | instskip(SKIP_1) | instid1(VALU_DEP_1)
	v_mov_b32_e32 v125, v119
	v_pk_mul_f32 v[118:119], v[120:121], v[110:111] op_sel:[0,1]
	v_pk_fma_f32 v[122:123], v[120:121], v[108:109], v[118:119] op_sel:[0,0,1] op_sel_hi:[1,1,0] neg_lo:[0,0,1] neg_hi:[0,0,1]
	v_pk_fma_f32 v[118:119], v[120:121], v[108:109], v[118:119] op_sel:[0,0,1] op_sel_hi:[1,0,0]
	s_delay_alu instid0(VALU_DEP_1)
	v_mov_b32_e32 v123, v119
	ds_load_2addr_b64 v[118:121], v112 offset0:36 offset1:37
	v_pk_add_f32 v[56:57], v[56:57], v[124:125] neg_lo:[0,1] neg_hi:[0,1]
	v_pk_add_f32 v[54:55], v[54:55], v[122:123] neg_lo:[0,1] neg_hi:[0,1]
	s_wait_dscnt 0x0
	v_pk_mul_f32 v[122:123], v[118:119], v[110:111] op_sel:[0,1]
	s_delay_alu instid0(VALU_DEP_1) | instskip(SKIP_1) | instid1(VALU_DEP_1)
	v_pk_fma_f32 v[124:125], v[118:119], v[108:109], v[122:123] op_sel:[0,0,1] op_sel_hi:[1,1,0] neg_lo:[0,0,1] neg_hi:[0,0,1]
	v_pk_fma_f32 v[118:119], v[118:119], v[108:109], v[122:123] op_sel:[0,0,1] op_sel_hi:[1,0,0]
	v_mov_b32_e32 v125, v119
	v_pk_mul_f32 v[118:119], v[120:121], v[110:111] op_sel:[0,1]
	s_delay_alu instid0(VALU_DEP_1) | instskip(SKIP_1) | instid1(VALU_DEP_1)
	v_pk_fma_f32 v[122:123], v[120:121], v[108:109], v[118:119] op_sel:[0,0,1] op_sel_hi:[1,1,0] neg_lo:[0,0,1] neg_hi:[0,0,1]
	v_pk_fma_f32 v[118:119], v[120:121], v[108:109], v[118:119] op_sel:[0,0,1] op_sel_hi:[1,0,0]
	v_mov_b32_e32 v123, v119
	ds_load_2addr_b64 v[118:121], v112 offset0:38 offset1:39
	v_pk_add_f32 v[94:95], v[94:95], v[124:125] neg_lo:[0,1] neg_hi:[0,1]
	v_pk_add_f32 v[92:93], v[92:93], v[122:123] neg_lo:[0,1] neg_hi:[0,1]
	s_wait_dscnt 0x0
	v_dual_mul_f32 v122, v119, v111 :: v_dual_mul_f32 v124, v119, v108
	s_delay_alu instid0(VALU_DEP_1) | instskip(NEXT) | instid1(VALU_DEP_2)
	v_pk_fma_f32 v[122:123], v[118:119], v[20:21], v[122:123] op_sel_hi:[1,1,0] neg_lo:[0,0,1] neg_hi:[0,0,1]
	v_pk_fma_f32 v[118:119], v[118:119], v[20:21], v[124:125] op_sel:[1,0,0] op_sel_hi:[0,1,0]
	s_delay_alu instid0(VALU_DEP_1) | instskip(SKIP_1) | instid1(VALU_DEP_2)
	v_mov_b32_e32 v123, v119
	v_pk_mul_f32 v[118:119], v[120:121], v[110:111] op_sel:[0,1]
	v_pk_add_f32 v[66:67], v[66:67], v[122:123] neg_lo:[0,1] neg_hi:[0,1]
	s_delay_alu instid0(VALU_DEP_2) | instskip(SKIP_1) | instid1(VALU_DEP_1)
	v_pk_fma_f32 v[122:123], v[120:121], v[108:109], v[118:119] op_sel:[0,0,1] op_sel_hi:[1,1,0] neg_lo:[0,0,1] neg_hi:[0,0,1]
	v_pk_fma_f32 v[118:119], v[120:121], v[108:109], v[118:119] op_sel:[0,0,1] op_sel_hi:[1,0,0]
	v_mov_b32_e32 v123, v119
	ds_load_2addr_b64 v[118:121], v112 offset0:40 offset1:41
	v_pk_add_f32 v[64:65], v[64:65], v[122:123] neg_lo:[0,1] neg_hi:[0,1]
	s_wait_dscnt 0x0
	v_pk_mul_f32 v[122:123], v[118:119], v[110:111] op_sel:[0,1]
	s_delay_alu instid0(VALU_DEP_1) | instskip(SKIP_1) | instid1(VALU_DEP_1)
	v_pk_fma_f32 v[124:125], v[118:119], v[108:109], v[122:123] op_sel:[0,0,1] op_sel_hi:[1,1,0] neg_lo:[0,0,1] neg_hi:[0,0,1]
	v_pk_fma_f32 v[118:119], v[118:119], v[108:109], v[122:123] op_sel:[0,0,1] op_sel_hi:[1,0,0]
	v_mov_b32_e32 v125, v119
	v_pk_mul_f32 v[118:119], v[120:121], v[110:111] op_sel:[0,1]
	s_delay_alu instid0(VALU_DEP_2) | instskip(NEXT) | instid1(VALU_DEP_2)
	v_pk_add_f32 v[104:105], v[104:105], v[124:125] neg_lo:[0,1] neg_hi:[0,1]
	v_pk_fma_f32 v[122:123], v[120:121], v[108:109], v[118:119] op_sel:[0,0,1] op_sel_hi:[1,1,0] neg_lo:[0,0,1] neg_hi:[0,0,1]
	v_pk_fma_f32 v[118:119], v[120:121], v[108:109], v[118:119] op_sel:[0,0,1] op_sel_hi:[1,0,0]
	s_delay_alu instid0(VALU_DEP_1) | instskip(SKIP_4) | instid1(VALU_DEP_1)
	v_mov_b32_e32 v123, v119
	ds_load_2addr_b64 v[118:121], v112 offset0:42 offset1:43
	v_pk_add_f32 v[102:103], v[102:103], v[122:123] neg_lo:[0,1] neg_hi:[0,1]
	s_wait_dscnt 0x0
	v_pk_mul_f32 v[122:123], v[118:119], v[110:111] op_sel:[0,1]
	v_pk_fma_f32 v[124:125], v[118:119], v[108:109], v[122:123] op_sel:[0,0,1] op_sel_hi:[1,1,0] neg_lo:[0,0,1] neg_hi:[0,0,1]
	v_pk_fma_f32 v[118:119], v[118:119], v[108:109], v[122:123] op_sel:[0,0,1] op_sel_hi:[1,0,0]
	v_dual_mul_f32 v122, v121, v111 :: v_dual_mov_b32 v118, v121
	s_delay_alu instid0(VALU_DEP_2) | instskip(NEXT) | instid1(VALU_DEP_2)
	v_dual_mov_b32 v125, v119 :: v_dual_mov_b32 v119, v120
	v_pk_fma_f32 v[122:123], v[120:121], v[20:21], v[122:123] op_sel_hi:[1,1,0] neg_lo:[0,0,1] neg_hi:[0,0,1]
	v_mul_f32_e32 v120, v121, v108
	s_delay_alu instid0(VALU_DEP_3) | instskip(NEXT) | instid1(VALU_DEP_2)
	v_pk_add_f32 v[76:77], v[76:77], v[124:125] neg_lo:[0,1] neg_hi:[0,1]
	v_pk_fma_f32 v[118:119], v[118:119], v[20:21], v[120:121] op_sel_hi:[1,1,0]
	s_delay_alu instid0(VALU_DEP_1) | instskip(SKIP_4) | instid1(VALU_DEP_1)
	v_mov_b32_e32 v123, v119
	ds_load_2addr_b64 v[118:121], v112 offset0:44 offset1:45
	v_pk_add_f32 v[74:75], v[74:75], v[122:123] neg_lo:[0,1] neg_hi:[0,1]
	s_wait_dscnt 0x0
	v_pk_mul_f32 v[122:123], v[118:119], v[110:111] op_sel:[0,1]
	v_pk_fma_f32 v[124:125], v[118:119], v[108:109], v[122:123] op_sel:[0,0,1] op_sel_hi:[1,1,0] neg_lo:[0,0,1] neg_hi:[0,0,1]
	v_pk_fma_f32 v[118:119], v[118:119], v[108:109], v[122:123] op_sel:[0,0,1] op_sel_hi:[1,0,0]
	s_delay_alu instid0(VALU_DEP_1) | instskip(SKIP_1) | instid1(VALU_DEP_1)
	v_mov_b32_e32 v125, v119
	v_pk_mul_f32 v[118:119], v[120:121], v[110:111] op_sel:[0,1]
	v_pk_fma_f32 v[122:123], v[120:121], v[108:109], v[118:119] op_sel:[0,0,1] op_sel_hi:[1,1,0] neg_lo:[0,0,1] neg_hi:[0,0,1]
	v_pk_fma_f32 v[118:119], v[120:121], v[108:109], v[118:119] op_sel:[0,0,1] op_sel_hi:[1,0,0]
	s_delay_alu instid0(VALU_DEP_1)
	v_mov_b32_e32 v123, v119
	ds_load_2addr_b64 v[118:121], v112 offset0:46 offset1:47
	v_pk_add_f32 v[98:99], v[98:99], v[124:125] neg_lo:[0,1] neg_hi:[0,1]
	v_pk_add_f32 v[96:97], v[96:97], v[122:123] neg_lo:[0,1] neg_hi:[0,1]
	s_wait_dscnt 0x0
	v_pk_mul_f32 v[122:123], v[118:119], v[110:111] op_sel:[0,1]
	s_delay_alu instid0(VALU_DEP_1) | instskip(SKIP_1) | instid1(VALU_DEP_1)
	v_pk_fma_f32 v[124:125], v[118:119], v[108:109], v[122:123] op_sel:[0,0,1] op_sel_hi:[1,1,0] neg_lo:[0,0,1] neg_hi:[0,0,1]
	v_pk_fma_f32 v[118:119], v[118:119], v[108:109], v[122:123] op_sel:[0,0,1] op_sel_hi:[1,0,0]
	v_mov_b32_e32 v125, v119
	v_pk_mul_f32 v[118:119], v[120:121], v[110:111] op_sel:[0,1]
	s_delay_alu instid0(VALU_DEP_1) | instskip(SKIP_1) | instid1(VALU_DEP_1)
	v_pk_fma_f32 v[122:123], v[120:121], v[108:109], v[118:119] op_sel:[0,0,1] op_sel_hi:[1,1,0] neg_lo:[0,0,1] neg_hi:[0,0,1]
	v_pk_fma_f32 v[118:119], v[120:121], v[108:109], v[118:119] op_sel:[0,0,1] op_sel_hi:[1,0,0]
	v_mov_b32_e32 v123, v119
	ds_load_2addr_b64 v[118:121], v112 offset0:48 offset1:49
	v_pk_add_f32 v[80:81], v[80:81], v[124:125] neg_lo:[0,1] neg_hi:[0,1]
	v_pk_add_f32 v[78:79], v[78:79], v[122:123] neg_lo:[0,1] neg_hi:[0,1]
	s_wait_dscnt 0x0
	v_dual_mul_f32 v122, v119, v111 :: v_dual_mul_f32 v124, v119, v108
	s_delay_alu instid0(VALU_DEP_1) | instskip(NEXT) | instid1(VALU_DEP_2)
	v_pk_fma_f32 v[122:123], v[118:119], v[20:21], v[122:123] op_sel_hi:[1,1,0] neg_lo:[0,0,1] neg_hi:[0,0,1]
	v_pk_fma_f32 v[118:119], v[118:119], v[20:21], v[124:125] op_sel:[1,0,0] op_sel_hi:[0,1,0]
	s_delay_alu instid0(VALU_DEP_1) | instskip(SKIP_1) | instid1(VALU_DEP_2)
	v_mov_b32_e32 v123, v119
	v_pk_mul_f32 v[118:119], v[120:121], v[110:111] op_sel:[0,1]
	v_pk_add_f32 v[88:89], v[88:89], v[122:123] neg_lo:[0,1] neg_hi:[0,1]
	s_delay_alu instid0(VALU_DEP_2) | instskip(SKIP_1) | instid1(VALU_DEP_1)
	v_pk_fma_f32 v[122:123], v[120:121], v[108:109], v[118:119] op_sel:[0,0,1] op_sel_hi:[1,1,0] neg_lo:[0,0,1] neg_hi:[0,0,1]
	v_pk_fma_f32 v[118:119], v[120:121], v[108:109], v[118:119] op_sel:[0,0,1] op_sel_hi:[1,0,0]
	v_mov_b32_e32 v123, v119
	ds_load_b64 v[118:119], v112 offset:400
	v_pk_add_f32 v[86:87], v[86:87], v[122:123] neg_lo:[0,1] neg_hi:[0,1]
	s_wait_dscnt 0x0
	v_pk_mul_f32 v[110:111], v[118:119], v[110:111] op_sel:[0,1]
	s_delay_alu instid0(VALU_DEP_1) | instskip(SKIP_1) | instid1(VALU_DEP_1)
	v_pk_fma_f32 v[120:121], v[118:119], v[108:109], v[110:111] op_sel:[0,0,1] op_sel_hi:[1,1,0] neg_lo:[0,0,1] neg_hi:[0,0,1]
	v_pk_fma_f32 v[108:109], v[118:119], v[108:109], v[110:111] op_sel:[0,0,1] op_sel_hi:[1,0,0]
	v_mov_b32_e32 v121, v109
	s_delay_alu instid0(VALU_DEP_1)
	v_pk_add_f32 v[106:107], v[106:107], v[120:121] neg_lo:[0,1] neg_hi:[0,1]
.LBB100_419:
	s_or_b32 exec_lo, exec_lo, s0
	v_lshl_add_u32 v108, v116, 3, v112
	s_barrier_signal -1
	s_barrier_wait -1
	ds_store_b64 v108, v[52:53]
	s_wait_dscnt 0x0
	s_barrier_signal -1
	s_barrier_wait -1
	ds_load_b64 v[110:111], v112 offset:160
	v_mov_b32_e32 v108, 20
	s_cmp_lt_i32 s18, 22
	s_cbranch_scc1 .LBB100_422
; %bb.420:
	v_add3_u32 v109, v113, 0, 0xa8
	v_mov_b32_e32 v108, 20
	s_mov_b32 s0, 21
.LBB100_421:                            ; =>This Inner Loop Header: Depth=1
	ds_load_b64 v[118:119], v109
	s_wait_dscnt 0x1
	v_cmp_gt_f32_e32 vcc_lo, 0, v110
	v_cndmask_b32_e64 v120, v110, -v110, vcc_lo
	v_cmp_gt_f32_e32 vcc_lo, 0, v111
	v_cndmask_b32_e64 v122, v111, -v111, vcc_lo
	s_wait_dscnt 0x0
	v_cmp_gt_f32_e32 vcc_lo, 0, v118
	v_cndmask_b32_e64 v121, v118, -v118, vcc_lo
	v_cmp_gt_f32_e32 vcc_lo, 0, v119
	v_cndmask_b32_e64 v123, v119, -v119, vcc_lo
	s_delay_alu instid0(VALU_DEP_1) | instskip(NEXT) | instid1(VALU_DEP_1)
	v_pk_add_f32 v[120:121], v[120:121], v[122:123]
	v_cmp_lt_f32_e32 vcc_lo, v120, v121
	v_dual_add_nc_u32 v109, 8, v109 :: v_dual_cndmask_b32 v111, v111, v119, vcc_lo
	v_cndmask_b32_e32 v110, v110, v118, vcc_lo
	v_cndmask_b32_e64 v108, v108, s0, vcc_lo
	s_add_co_i32 s0, s0, 1
	s_delay_alu instid0(SALU_CYCLE_1)
	s_cmp_lg_u32 s18, s0
	s_cbranch_scc1 .LBB100_421
.LBB100_422:
	s_wait_dscnt 0x0
	v_cmp_eq_f32_e32 vcc_lo, 0, v110
	v_cmp_eq_f32_e64 s0, 0, v111
	s_and_b32 s0, vcc_lo, s0
	s_delay_alu instid0(SALU_CYCLE_1) | instskip(NEXT) | instid1(SALU_CYCLE_1)
	s_and_saveexec_b32 s1, s0
	s_xor_b32 s0, exec_lo, s1
; %bb.423:
	v_cmp_ne_u32_e32 vcc_lo, 0, v114
	v_cndmask_b32_e32 v114, 21, v114, vcc_lo
; %bb.424:
	s_and_not1_saveexec_b32 s0, s0
	s_cbranch_execz .LBB100_430
; %bb.425:
	v_cmp_ngt_f32_e64 s1, |v110|, |v111|
	s_and_saveexec_b32 s12, s1
	s_delay_alu instid0(SALU_CYCLE_1)
	s_xor_b32 s1, exec_lo, s12
	s_cbranch_execz .LBB100_427
; %bb.426:
	v_div_scale_f32 v109, null, v111, v111, v110
	v_div_scale_f32 v119, vcc_lo, v110, v111, v110
	s_delay_alu instid0(VALU_DEP_2) | instskip(SKIP_1) | instid1(TRANS32_DEP_1)
	v_rcp_f32_e32 v117, v109
	v_nop
	v_fma_f32 v118, -v109, v117, 1.0
	s_delay_alu instid0(VALU_DEP_1) | instskip(NEXT) | instid1(VALU_DEP_1)
	v_fmac_f32_e32 v117, v118, v117
	v_mul_f32_e32 v118, v119, v117
	s_delay_alu instid0(VALU_DEP_1) | instskip(NEXT) | instid1(VALU_DEP_1)
	v_fma_f32 v120, -v109, v118, v119
	v_fmac_f32_e32 v118, v120, v117
	s_delay_alu instid0(VALU_DEP_1) | instskip(NEXT) | instid1(VALU_DEP_1)
	v_fma_f32 v109, -v109, v118, v119
	v_div_fmas_f32 v109, v109, v117, v118
	s_delay_alu instid0(VALU_DEP_1) | instskip(NEXT) | instid1(VALU_DEP_1)
	v_div_fixup_f32 v109, v109, v111, v110
	v_fmac_f32_e32 v111, v110, v109
	s_delay_alu instid0(VALU_DEP_1) | instskip(SKIP_1) | instid1(VALU_DEP_2)
	v_div_scale_f32 v110, null, v111, v111, 1.0
	v_div_scale_f32 v119, vcc_lo, 1.0, v111, 1.0
	v_rcp_f32_e32 v117, v110
	v_nop
	s_delay_alu instid0(TRANS32_DEP_1) | instskip(NEXT) | instid1(VALU_DEP_1)
	v_fma_f32 v118, -v110, v117, 1.0
	v_fmac_f32_e32 v117, v118, v117
	s_delay_alu instid0(VALU_DEP_1) | instskip(NEXT) | instid1(VALU_DEP_1)
	v_mul_f32_e32 v118, v119, v117
	v_fma_f32 v120, -v110, v118, v119
	s_delay_alu instid0(VALU_DEP_1) | instskip(NEXT) | instid1(VALU_DEP_1)
	v_fmac_f32_e32 v118, v120, v117
	v_fma_f32 v110, -v110, v118, v119
	s_delay_alu instid0(VALU_DEP_1) | instskip(NEXT) | instid1(VALU_DEP_1)
	v_div_fmas_f32 v110, v110, v117, v118
	v_div_fixup_f32 v111, v110, v111, 1.0
	s_delay_alu instid0(VALU_DEP_1)
	v_mul_f32_e32 v110, v109, v111
	v_xor_b32_e32 v111, 0x80000000, v111
.LBB100_427:
	s_and_not1_saveexec_b32 s1, s1
	s_cbranch_execz .LBB100_429
; %bb.428:
	s_delay_alu instid0(VALU_DEP_1) | instskip(SKIP_1) | instid1(VALU_DEP_2)
	v_div_scale_f32 v109, null, v110, v110, v111
	v_div_scale_f32 v119, vcc_lo, v111, v110, v111
	v_rcp_f32_e32 v117, v109
	v_nop
	s_delay_alu instid0(TRANS32_DEP_1) | instskip(NEXT) | instid1(VALU_DEP_1)
	v_fma_f32 v118, -v109, v117, 1.0
	v_fmac_f32_e32 v117, v118, v117
	s_delay_alu instid0(VALU_DEP_1) | instskip(NEXT) | instid1(VALU_DEP_1)
	v_mul_f32_e32 v118, v119, v117
	v_fma_f32 v120, -v109, v118, v119
	s_delay_alu instid0(VALU_DEP_1) | instskip(NEXT) | instid1(VALU_DEP_1)
	v_fmac_f32_e32 v118, v120, v117
	v_fma_f32 v109, -v109, v118, v119
	s_delay_alu instid0(VALU_DEP_1) | instskip(NEXT) | instid1(VALU_DEP_1)
	v_div_fmas_f32 v109, v109, v117, v118
	v_div_fixup_f32 v109, v109, v110, v111
	s_delay_alu instid0(VALU_DEP_1) | instskip(NEXT) | instid1(VALU_DEP_1)
	v_fmac_f32_e32 v110, v111, v109
	v_div_scale_f32 v111, null, v110, v110, 1.0
	s_delay_alu instid0(VALU_DEP_1) | instskip(SKIP_1) | instid1(TRANS32_DEP_1)
	v_rcp_f32_e32 v117, v111
	v_nop
	v_fma_f32 v118, -v111, v117, 1.0
	s_delay_alu instid0(VALU_DEP_1) | instskip(SKIP_1) | instid1(VALU_DEP_1)
	v_fmac_f32_e32 v117, v118, v117
	v_div_scale_f32 v118, vcc_lo, 1.0, v110, 1.0
	v_mul_f32_e32 v119, v118, v117
	s_delay_alu instid0(VALU_DEP_1) | instskip(NEXT) | instid1(VALU_DEP_1)
	v_fma_f32 v120, -v111, v119, v118
	v_fmac_f32_e32 v119, v120, v117
	s_delay_alu instid0(VALU_DEP_1) | instskip(NEXT) | instid1(VALU_DEP_1)
	v_fma_f32 v111, -v111, v119, v118
	v_div_fmas_f32 v111, v111, v117, v119
	s_delay_alu instid0(VALU_DEP_1) | instskip(NEXT) | instid1(VALU_DEP_1)
	v_div_fixup_f32 v110, v111, v110, 1.0
	v_mul_f32_e64 v111, v109, -v110
.LBB100_429:
	s_or_b32 exec_lo, exec_lo, s1
.LBB100_430:
	s_delay_alu instid0(SALU_CYCLE_1) | instskip(NEXT) | instid1(SALU_CYCLE_1)
	s_or_b32 exec_lo, exec_lo, s0
	s_mov_b32 s0, exec_lo
	v_cmpx_ne_u32_e64 v116, v108
	s_xor_b32 s0, exec_lo, s0
	s_cbranch_execz .LBB100_436
; %bb.431:
	s_mov_b32 s1, exec_lo
	v_cmpx_eq_u32_e32 20, v116
	s_cbranch_execz .LBB100_435
; %bb.432:
	v_cmp_ne_u32_e32 vcc_lo, 20, v108
	s_xor_b32 s12, s16, -1
	s_delay_alu instid0(SALU_CYCLE_1) | instskip(NEXT) | instid1(SALU_CYCLE_1)
	s_and_b32 s13, s12, vcc_lo
	s_and_saveexec_b32 s12, s13
	s_cbranch_execz .LBB100_434
; %bb.433:
	v_ashrrev_i32_e32 v109, 31, v108
	s_delay_alu instid0(VALU_DEP_1)
	v_lshl_add_u64 v[116:117], v[108:109], 2, v[4:5]
	s_clause 0x1
	global_load_b32 v109, v[116:117], off
	global_load_b32 v115, v[4:5], off offset:80
	s_wait_loadcnt 0x1
	global_store_b32 v[4:5], v109, off offset:80
	s_wait_loadcnt 0x0
	global_store_b32 v[116:117], v115, off
.LBB100_434:
	s_wait_xcnt 0x0
	s_or_b32 exec_lo, exec_lo, s12
	v_dual_mov_b32 v116, v108 :: v_dual_mov_b32 v115, v108
.LBB100_435:
	s_or_b32 exec_lo, exec_lo, s1
.LBB100_436:
	s_and_not1_saveexec_b32 s0, s0
	s_cbranch_execz .LBB100_438
; %bb.437:
	v_mov_b32_e32 v116, 20
	ds_store_2addr_b64 v112, v[50:51], v[32:33] offset0:21 offset1:22
	ds_store_2addr_b64 v112, v[30:31], v[62:63] offset0:23 offset1:24
	;; [unrolled: 1-line block ×15, first 2 shown]
.LBB100_438:
	s_or_b32 exec_lo, exec_lo, s0
	s_delay_alu instid0(SALU_CYCLE_1)
	s_mov_b32 s0, exec_lo
	s_wait_storecnt_dscnt 0x0
	s_barrier_signal -1
	s_barrier_wait -1
	v_cmpx_lt_i32_e32 20, v116
	s_cbranch_execz .LBB100_440
; %bb.439:
	v_pk_mul_f32 v[118:119], v[110:111], v[52:53] op_sel:[1,1] op_sel_hi:[0,1]
	s_delay_alu instid0(VALU_DEP_1)
	v_pk_fma_f32 v[108:109], v[110:111], v[52:53], v[118:119] op_sel_hi:[1,0,1] neg_lo:[0,0,1] neg_hi:[0,0,1]
	v_pk_fma_f32 v[110:111], v[110:111], v[52:53], v[118:119] op_sel_hi:[1,0,1]
	ds_load_2addr_b64 v[118:121], v112 offset0:21 offset1:22
	v_dual_mov_b32 v52, v108 :: v_dual_mov_b32 v53, v111
	s_wait_dscnt 0x0
	v_pk_mul_f32 v[122:123], v[118:119], v[110:111] op_sel:[0,1]
	s_delay_alu instid0(VALU_DEP_1) | instskip(SKIP_1) | instid1(VALU_DEP_1)
	v_pk_fma_f32 v[124:125], v[118:119], v[108:109], v[122:123] op_sel:[0,0,1] op_sel_hi:[1,1,0] neg_lo:[0,0,1] neg_hi:[0,0,1]
	v_pk_fma_f32 v[118:119], v[118:119], v[108:109], v[122:123] op_sel:[0,0,1] op_sel_hi:[1,0,0]
	v_mov_b32_e32 v125, v119
	v_pk_mul_f32 v[118:119], v[120:121], v[110:111] op_sel:[0,1]
	s_delay_alu instid0(VALU_DEP_1) | instskip(SKIP_1) | instid1(VALU_DEP_1)
	v_pk_fma_f32 v[122:123], v[120:121], v[108:109], v[118:119] op_sel:[0,0,1] op_sel_hi:[1,1,0] neg_lo:[0,0,1] neg_hi:[0,0,1]
	v_pk_fma_f32 v[118:119], v[120:121], v[108:109], v[118:119] op_sel:[0,0,1] op_sel_hi:[1,0,0]
	v_mov_b32_e32 v123, v119
	ds_load_2addr_b64 v[118:121], v112 offset0:23 offset1:24
	v_pk_add_f32 v[50:51], v[50:51], v[124:125] neg_lo:[0,1] neg_hi:[0,1]
	v_pk_add_f32 v[32:33], v[32:33], v[122:123] neg_lo:[0,1] neg_hi:[0,1]
	s_wait_dscnt 0x0
	v_pk_mul_f32 v[122:123], v[118:119], v[110:111] op_sel:[0,1]
	s_delay_alu instid0(VALU_DEP_1) | instskip(SKIP_2) | instid1(VALU_DEP_2)
	v_pk_fma_f32 v[124:125], v[118:119], v[108:109], v[122:123] op_sel:[0,0,1] op_sel_hi:[1,1,0] neg_lo:[0,0,1] neg_hi:[0,0,1]
	v_pk_fma_f32 v[118:119], v[118:119], v[108:109], v[122:123] op_sel:[0,0,1] op_sel_hi:[1,0,0]
	v_dual_mul_f32 v122, v121, v111 :: v_dual_mov_b32 v118, v121
	v_dual_mov_b32 v125, v119 :: v_dual_mov_b32 v119, v120
	s_delay_alu instid0(VALU_DEP_2) | instskip(SKIP_1) | instid1(VALU_DEP_3)
	v_pk_fma_f32 v[122:123], v[120:121], v[52:53], v[122:123] op_sel_hi:[1,1,0] neg_lo:[0,0,1] neg_hi:[0,0,1]
	v_mul_f32_e32 v120, v121, v108
	v_pk_add_f32 v[30:31], v[30:31], v[124:125] neg_lo:[0,1] neg_hi:[0,1]
	s_delay_alu instid0(VALU_DEP_2) | instskip(NEXT) | instid1(VALU_DEP_1)
	v_pk_fma_f32 v[118:119], v[118:119], v[52:53], v[120:121] op_sel_hi:[1,1,0]
	v_mov_b32_e32 v123, v119
	ds_load_2addr_b64 v[118:121], v112 offset0:25 offset1:26
	v_pk_add_f32 v[62:63], v[62:63], v[122:123] neg_lo:[0,1] neg_hi:[0,1]
	s_wait_dscnt 0x0
	v_pk_mul_f32 v[122:123], v[118:119], v[110:111] op_sel:[0,1]
	s_delay_alu instid0(VALU_DEP_1) | instskip(SKIP_1) | instid1(VALU_DEP_1)
	v_pk_fma_f32 v[124:125], v[118:119], v[108:109], v[122:123] op_sel:[0,0,1] op_sel_hi:[1,1,0] neg_lo:[0,0,1] neg_hi:[0,0,1]
	v_pk_fma_f32 v[118:119], v[118:119], v[108:109], v[122:123] op_sel:[0,0,1] op_sel_hi:[1,0,0]
	v_mov_b32_e32 v125, v119
	v_pk_mul_f32 v[118:119], v[120:121], v[110:111] op_sel:[0,1]
	s_delay_alu instid0(VALU_DEP_1) | instskip(SKIP_1) | instid1(VALU_DEP_1)
	v_pk_fma_f32 v[122:123], v[120:121], v[108:109], v[118:119] op_sel:[0,0,1] op_sel_hi:[1,1,0] neg_lo:[0,0,1] neg_hi:[0,0,1]
	v_pk_fma_f32 v[118:119], v[120:121], v[108:109], v[118:119] op_sel:[0,0,1] op_sel_hi:[1,0,0]
	v_mov_b32_e32 v123, v119
	ds_load_2addr_b64 v[118:121], v112 offset0:27 offset1:28
	v_pk_add_f32 v[60:61], v[60:61], v[124:125] neg_lo:[0,1] neg_hi:[0,1]
	v_pk_add_f32 v[40:41], v[40:41], v[122:123] neg_lo:[0,1] neg_hi:[0,1]
	s_wait_dscnt 0x0
	v_pk_mul_f32 v[122:123], v[118:119], v[110:111] op_sel:[0,1]
	s_delay_alu instid0(VALU_DEP_1) | instskip(SKIP_1) | instid1(VALU_DEP_1)
	v_pk_fma_f32 v[124:125], v[118:119], v[108:109], v[122:123] op_sel:[0,0,1] op_sel_hi:[1,1,0] neg_lo:[0,0,1] neg_hi:[0,0,1]
	v_pk_fma_f32 v[118:119], v[118:119], v[108:109], v[122:123] op_sel:[0,0,1] op_sel_hi:[1,0,0]
	v_mov_b32_e32 v125, v119
	v_pk_mul_f32 v[118:119], v[120:121], v[110:111] op_sel:[0,1]
	s_delay_alu instid0(VALU_DEP_1) | instskip(SKIP_1) | instid1(VALU_DEP_1)
	v_pk_fma_f32 v[122:123], v[120:121], v[108:109], v[118:119] op_sel:[0,0,1] op_sel_hi:[1,1,0] neg_lo:[0,0,1] neg_hi:[0,0,1]
	v_pk_fma_f32 v[118:119], v[120:121], v[108:109], v[118:119] op_sel:[0,0,1] op_sel_hi:[1,0,0]
	v_mov_b32_e32 v123, v119
	ds_load_2addr_b64 v[118:121], v112 offset0:29 offset1:30
	v_pk_add_f32 v[38:39], v[38:39], v[124:125] neg_lo:[0,1] neg_hi:[0,1]
	v_pk_add_f32 v[70:71], v[70:71], v[122:123] neg_lo:[0,1] neg_hi:[0,1]
	s_wait_dscnt 0x0
	v_dual_mul_f32 v122, v119, v111 :: v_dual_mul_f32 v124, v119, v108
	s_delay_alu instid0(VALU_DEP_1) | instskip(NEXT) | instid1(VALU_DEP_2)
	v_pk_fma_f32 v[122:123], v[118:119], v[52:53], v[122:123] op_sel_hi:[1,1,0] neg_lo:[0,0,1] neg_hi:[0,0,1]
	v_pk_fma_f32 v[118:119], v[118:119], v[52:53], v[124:125] op_sel:[1,0,0] op_sel_hi:[0,1,0]
	s_delay_alu instid0(VALU_DEP_1) | instskip(SKIP_1) | instid1(VALU_DEP_2)
	v_mov_b32_e32 v123, v119
	v_pk_mul_f32 v[118:119], v[120:121], v[110:111] op_sel:[0,1]
	v_pk_add_f32 v[68:69], v[68:69], v[122:123] neg_lo:[0,1] neg_hi:[0,1]
	s_delay_alu instid0(VALU_DEP_2) | instskip(SKIP_1) | instid1(VALU_DEP_1)
	v_pk_fma_f32 v[122:123], v[120:121], v[108:109], v[118:119] op_sel:[0,0,1] op_sel_hi:[1,1,0] neg_lo:[0,0,1] neg_hi:[0,0,1]
	v_pk_fma_f32 v[118:119], v[120:121], v[108:109], v[118:119] op_sel:[0,0,1] op_sel_hi:[1,0,0]
	v_mov_b32_e32 v123, v119
	ds_load_2addr_b64 v[118:121], v112 offset0:31 offset1:32
	v_pk_add_f32 v[48:49], v[48:49], v[122:123] neg_lo:[0,1] neg_hi:[0,1]
	s_wait_dscnt 0x0
	v_pk_mul_f32 v[122:123], v[118:119], v[110:111] op_sel:[0,1]
	s_delay_alu instid0(VALU_DEP_1) | instskip(SKIP_1) | instid1(VALU_DEP_1)
	v_pk_fma_f32 v[124:125], v[118:119], v[108:109], v[122:123] op_sel:[0,0,1] op_sel_hi:[1,1,0] neg_lo:[0,0,1] neg_hi:[0,0,1]
	v_pk_fma_f32 v[118:119], v[118:119], v[108:109], v[122:123] op_sel:[0,0,1] op_sel_hi:[1,0,0]
	v_mov_b32_e32 v125, v119
	v_pk_mul_f32 v[118:119], v[120:121], v[110:111] op_sel:[0,1]
	s_delay_alu instid0(VALU_DEP_2) | instskip(NEXT) | instid1(VALU_DEP_2)
	v_pk_add_f32 v[46:47], v[46:47], v[124:125] neg_lo:[0,1] neg_hi:[0,1]
	v_pk_fma_f32 v[122:123], v[120:121], v[108:109], v[118:119] op_sel:[0,0,1] op_sel_hi:[1,1,0] neg_lo:[0,0,1] neg_hi:[0,0,1]
	v_pk_fma_f32 v[118:119], v[120:121], v[108:109], v[118:119] op_sel:[0,0,1] op_sel_hi:[1,0,0]
	s_delay_alu instid0(VALU_DEP_1) | instskip(SKIP_4) | instid1(VALU_DEP_1)
	v_mov_b32_e32 v123, v119
	ds_load_2addr_b64 v[118:121], v112 offset0:33 offset1:34
	v_pk_add_f32 v[84:85], v[84:85], v[122:123] neg_lo:[0,1] neg_hi:[0,1]
	s_wait_dscnt 0x0
	v_pk_mul_f32 v[122:123], v[118:119], v[110:111] op_sel:[0,1]
	v_pk_fma_f32 v[124:125], v[118:119], v[108:109], v[122:123] op_sel:[0,0,1] op_sel_hi:[1,1,0] neg_lo:[0,0,1] neg_hi:[0,0,1]
	v_pk_fma_f32 v[118:119], v[118:119], v[108:109], v[122:123] op_sel:[0,0,1] op_sel_hi:[1,0,0]
	v_dual_mul_f32 v122, v121, v111 :: v_dual_mov_b32 v118, v121
	s_delay_alu instid0(VALU_DEP_2) | instskip(NEXT) | instid1(VALU_DEP_2)
	v_dual_mov_b32 v125, v119 :: v_dual_mov_b32 v119, v120
	v_pk_fma_f32 v[122:123], v[120:121], v[52:53], v[122:123] op_sel_hi:[1,1,0] neg_lo:[0,0,1] neg_hi:[0,0,1]
	v_mul_f32_e32 v120, v121, v108
	s_delay_alu instid0(VALU_DEP_3) | instskip(NEXT) | instid1(VALU_DEP_2)
	v_pk_add_f32 v[82:83], v[82:83], v[124:125] neg_lo:[0,1] neg_hi:[0,1]
	v_pk_fma_f32 v[118:119], v[118:119], v[52:53], v[120:121] op_sel_hi:[1,1,0]
	s_delay_alu instid0(VALU_DEP_1) | instskip(SKIP_4) | instid1(VALU_DEP_1)
	v_mov_b32_e32 v123, v119
	ds_load_2addr_b64 v[118:121], v112 offset0:35 offset1:36
	v_pk_add_f32 v[56:57], v[56:57], v[122:123] neg_lo:[0,1] neg_hi:[0,1]
	s_wait_dscnt 0x0
	v_pk_mul_f32 v[122:123], v[118:119], v[110:111] op_sel:[0,1]
	v_pk_fma_f32 v[124:125], v[118:119], v[108:109], v[122:123] op_sel:[0,0,1] op_sel_hi:[1,1,0] neg_lo:[0,0,1] neg_hi:[0,0,1]
	v_pk_fma_f32 v[118:119], v[118:119], v[108:109], v[122:123] op_sel:[0,0,1] op_sel_hi:[1,0,0]
	s_delay_alu instid0(VALU_DEP_1) | instskip(SKIP_1) | instid1(VALU_DEP_1)
	v_mov_b32_e32 v125, v119
	v_pk_mul_f32 v[118:119], v[120:121], v[110:111] op_sel:[0,1]
	v_pk_fma_f32 v[122:123], v[120:121], v[108:109], v[118:119] op_sel:[0,0,1] op_sel_hi:[1,1,0] neg_lo:[0,0,1] neg_hi:[0,0,1]
	v_pk_fma_f32 v[118:119], v[120:121], v[108:109], v[118:119] op_sel:[0,0,1] op_sel_hi:[1,0,0]
	s_delay_alu instid0(VALU_DEP_1)
	v_mov_b32_e32 v123, v119
	ds_load_2addr_b64 v[118:121], v112 offset0:37 offset1:38
	v_pk_add_f32 v[54:55], v[54:55], v[124:125] neg_lo:[0,1] neg_hi:[0,1]
	v_pk_add_f32 v[94:95], v[94:95], v[122:123] neg_lo:[0,1] neg_hi:[0,1]
	s_wait_dscnt 0x0
	v_pk_mul_f32 v[122:123], v[118:119], v[110:111] op_sel:[0,1]
	s_delay_alu instid0(VALU_DEP_1) | instskip(SKIP_1) | instid1(VALU_DEP_1)
	v_pk_fma_f32 v[124:125], v[118:119], v[108:109], v[122:123] op_sel:[0,0,1] op_sel_hi:[1,1,0] neg_lo:[0,0,1] neg_hi:[0,0,1]
	v_pk_fma_f32 v[118:119], v[118:119], v[108:109], v[122:123] op_sel:[0,0,1] op_sel_hi:[1,0,0]
	v_mov_b32_e32 v125, v119
	v_pk_mul_f32 v[118:119], v[120:121], v[110:111] op_sel:[0,1]
	s_delay_alu instid0(VALU_DEP_1) | instskip(SKIP_1) | instid1(VALU_DEP_1)
	v_pk_fma_f32 v[122:123], v[120:121], v[108:109], v[118:119] op_sel:[0,0,1] op_sel_hi:[1,1,0] neg_lo:[0,0,1] neg_hi:[0,0,1]
	v_pk_fma_f32 v[118:119], v[120:121], v[108:109], v[118:119] op_sel:[0,0,1] op_sel_hi:[1,0,0]
	v_mov_b32_e32 v123, v119
	ds_load_2addr_b64 v[118:121], v112 offset0:39 offset1:40
	v_pk_add_f32 v[92:93], v[92:93], v[124:125] neg_lo:[0,1] neg_hi:[0,1]
	v_pk_add_f32 v[66:67], v[66:67], v[122:123] neg_lo:[0,1] neg_hi:[0,1]
	s_wait_dscnt 0x0
	v_dual_mul_f32 v122, v119, v111 :: v_dual_mul_f32 v124, v119, v108
	s_delay_alu instid0(VALU_DEP_1) | instskip(NEXT) | instid1(VALU_DEP_2)
	v_pk_fma_f32 v[122:123], v[118:119], v[52:53], v[122:123] op_sel_hi:[1,1,0] neg_lo:[0,0,1] neg_hi:[0,0,1]
	v_pk_fma_f32 v[118:119], v[118:119], v[52:53], v[124:125] op_sel:[1,0,0] op_sel_hi:[0,1,0]
	s_delay_alu instid0(VALU_DEP_1) | instskip(SKIP_1) | instid1(VALU_DEP_2)
	v_mov_b32_e32 v123, v119
	v_pk_mul_f32 v[118:119], v[120:121], v[110:111] op_sel:[0,1]
	v_pk_add_f32 v[64:65], v[64:65], v[122:123] neg_lo:[0,1] neg_hi:[0,1]
	s_delay_alu instid0(VALU_DEP_2) | instskip(SKIP_1) | instid1(VALU_DEP_1)
	v_pk_fma_f32 v[122:123], v[120:121], v[108:109], v[118:119] op_sel:[0,0,1] op_sel_hi:[1,1,0] neg_lo:[0,0,1] neg_hi:[0,0,1]
	v_pk_fma_f32 v[118:119], v[120:121], v[108:109], v[118:119] op_sel:[0,0,1] op_sel_hi:[1,0,0]
	v_mov_b32_e32 v123, v119
	ds_load_2addr_b64 v[118:121], v112 offset0:41 offset1:42
	v_pk_add_f32 v[104:105], v[104:105], v[122:123] neg_lo:[0,1] neg_hi:[0,1]
	s_wait_dscnt 0x0
	v_pk_mul_f32 v[122:123], v[118:119], v[110:111] op_sel:[0,1]
	s_delay_alu instid0(VALU_DEP_1) | instskip(SKIP_1) | instid1(VALU_DEP_1)
	v_pk_fma_f32 v[124:125], v[118:119], v[108:109], v[122:123] op_sel:[0,0,1] op_sel_hi:[1,1,0] neg_lo:[0,0,1] neg_hi:[0,0,1]
	v_pk_fma_f32 v[118:119], v[118:119], v[108:109], v[122:123] op_sel:[0,0,1] op_sel_hi:[1,0,0]
	v_mov_b32_e32 v125, v119
	v_pk_mul_f32 v[118:119], v[120:121], v[110:111] op_sel:[0,1]
	s_delay_alu instid0(VALU_DEP_2) | instskip(NEXT) | instid1(VALU_DEP_2)
	v_pk_add_f32 v[102:103], v[102:103], v[124:125] neg_lo:[0,1] neg_hi:[0,1]
	v_pk_fma_f32 v[122:123], v[120:121], v[108:109], v[118:119] op_sel:[0,0,1] op_sel_hi:[1,1,0] neg_lo:[0,0,1] neg_hi:[0,0,1]
	v_pk_fma_f32 v[118:119], v[120:121], v[108:109], v[118:119] op_sel:[0,0,1] op_sel_hi:[1,0,0]
	s_delay_alu instid0(VALU_DEP_1) | instskip(SKIP_4) | instid1(VALU_DEP_1)
	v_mov_b32_e32 v123, v119
	ds_load_2addr_b64 v[118:121], v112 offset0:43 offset1:44
	v_pk_add_f32 v[76:77], v[76:77], v[122:123] neg_lo:[0,1] neg_hi:[0,1]
	s_wait_dscnt 0x0
	v_pk_mul_f32 v[122:123], v[118:119], v[110:111] op_sel:[0,1]
	v_pk_fma_f32 v[124:125], v[118:119], v[108:109], v[122:123] op_sel:[0,0,1] op_sel_hi:[1,1,0] neg_lo:[0,0,1] neg_hi:[0,0,1]
	v_pk_fma_f32 v[118:119], v[118:119], v[108:109], v[122:123] op_sel:[0,0,1] op_sel_hi:[1,0,0]
	v_dual_mul_f32 v122, v121, v111 :: v_dual_mov_b32 v118, v121
	s_delay_alu instid0(VALU_DEP_2) | instskip(NEXT) | instid1(VALU_DEP_2)
	v_dual_mov_b32 v125, v119 :: v_dual_mov_b32 v119, v120
	v_pk_fma_f32 v[122:123], v[120:121], v[52:53], v[122:123] op_sel_hi:[1,1,0] neg_lo:[0,0,1] neg_hi:[0,0,1]
	v_mul_f32_e32 v120, v121, v108
	s_delay_alu instid0(VALU_DEP_3) | instskip(NEXT) | instid1(VALU_DEP_2)
	v_pk_add_f32 v[74:75], v[74:75], v[124:125] neg_lo:[0,1] neg_hi:[0,1]
	v_pk_fma_f32 v[118:119], v[118:119], v[52:53], v[120:121] op_sel_hi:[1,1,0]
	s_delay_alu instid0(VALU_DEP_1) | instskip(SKIP_4) | instid1(VALU_DEP_1)
	v_mov_b32_e32 v123, v119
	ds_load_2addr_b64 v[118:121], v112 offset0:45 offset1:46
	v_pk_add_f32 v[98:99], v[98:99], v[122:123] neg_lo:[0,1] neg_hi:[0,1]
	s_wait_dscnt 0x0
	v_pk_mul_f32 v[122:123], v[118:119], v[110:111] op_sel:[0,1]
	v_pk_fma_f32 v[124:125], v[118:119], v[108:109], v[122:123] op_sel:[0,0,1] op_sel_hi:[1,1,0] neg_lo:[0,0,1] neg_hi:[0,0,1]
	v_pk_fma_f32 v[118:119], v[118:119], v[108:109], v[122:123] op_sel:[0,0,1] op_sel_hi:[1,0,0]
	s_delay_alu instid0(VALU_DEP_1) | instskip(SKIP_1) | instid1(VALU_DEP_1)
	v_mov_b32_e32 v125, v119
	v_pk_mul_f32 v[118:119], v[120:121], v[110:111] op_sel:[0,1]
	v_pk_fma_f32 v[122:123], v[120:121], v[108:109], v[118:119] op_sel:[0,0,1] op_sel_hi:[1,1,0] neg_lo:[0,0,1] neg_hi:[0,0,1]
	v_pk_fma_f32 v[118:119], v[120:121], v[108:109], v[118:119] op_sel:[0,0,1] op_sel_hi:[1,0,0]
	s_delay_alu instid0(VALU_DEP_1)
	v_mov_b32_e32 v123, v119
	ds_load_2addr_b64 v[118:121], v112 offset0:47 offset1:48
	v_pk_add_f32 v[96:97], v[96:97], v[124:125] neg_lo:[0,1] neg_hi:[0,1]
	v_pk_add_f32 v[80:81], v[80:81], v[122:123] neg_lo:[0,1] neg_hi:[0,1]
	s_wait_dscnt 0x0
	v_pk_mul_f32 v[122:123], v[118:119], v[110:111] op_sel:[0,1]
	s_delay_alu instid0(VALU_DEP_1) | instskip(SKIP_1) | instid1(VALU_DEP_1)
	v_pk_fma_f32 v[124:125], v[118:119], v[108:109], v[122:123] op_sel:[0,0,1] op_sel_hi:[1,1,0] neg_lo:[0,0,1] neg_hi:[0,0,1]
	v_pk_fma_f32 v[118:119], v[118:119], v[108:109], v[122:123] op_sel:[0,0,1] op_sel_hi:[1,0,0]
	v_mov_b32_e32 v125, v119
	v_pk_mul_f32 v[118:119], v[120:121], v[110:111] op_sel:[0,1]
	s_delay_alu instid0(VALU_DEP_1) | instskip(SKIP_1) | instid1(VALU_DEP_1)
	v_pk_fma_f32 v[122:123], v[120:121], v[108:109], v[118:119] op_sel:[0,0,1] op_sel_hi:[1,1,0] neg_lo:[0,0,1] neg_hi:[0,0,1]
	v_pk_fma_f32 v[118:119], v[120:121], v[108:109], v[118:119] op_sel:[0,0,1] op_sel_hi:[1,0,0]
	v_mov_b32_e32 v123, v119
	ds_load_2addr_b64 v[118:121], v112 offset0:49 offset1:50
	v_pk_add_f32 v[78:79], v[78:79], v[124:125] neg_lo:[0,1] neg_hi:[0,1]
	v_pk_add_f32 v[88:89], v[88:89], v[122:123] neg_lo:[0,1] neg_hi:[0,1]
	s_wait_dscnt 0x0
	v_mul_f32_e32 v110, v119, v111
	s_delay_alu instid0(VALU_DEP_1) | instskip(SKIP_1) | instid1(VALU_DEP_1)
	v_pk_fma_f32 v[122:123], v[118:119], v[52:53], v[110:111] op_sel_hi:[1,1,0] neg_lo:[0,0,1] neg_hi:[0,0,1]
	v_dual_mul_f32 v110, v119, v108 :: v_dual_mul_f32 v108, v121, v108
	v_pk_fma_f32 v[118:119], v[118:119], v[52:53], v[110:111] op_sel:[1,0,0] op_sel_hi:[0,1,0]
	v_dual_mov_b32 v118, v121 :: v_dual_mul_f32 v110, v121, v111
	s_delay_alu instid0(VALU_DEP_2) | instskip(NEXT) | instid1(VALU_DEP_2)
	v_dual_mov_b32 v123, v119 :: v_dual_mov_b32 v119, v120
	v_pk_fma_f32 v[110:111], v[120:121], v[52:53], v[110:111] op_sel_hi:[1,1,0] neg_lo:[0,0,1] neg_hi:[0,0,1]
	s_delay_alu instid0(VALU_DEP_2) | instskip(NEXT) | instid1(VALU_DEP_3)
	v_pk_add_f32 v[86:87], v[86:87], v[122:123] neg_lo:[0,1] neg_hi:[0,1]
	v_pk_fma_f32 v[108:109], v[118:119], v[52:53], v[108:109] op_sel_hi:[1,1,0]
	s_delay_alu instid0(VALU_DEP_1) | instskip(NEXT) | instid1(VALU_DEP_1)
	v_mov_b32_e32 v111, v109
	v_pk_add_f32 v[106:107], v[106:107], v[110:111] neg_lo:[0,1] neg_hi:[0,1]
.LBB100_440:
	s_or_b32 exec_lo, exec_lo, s0
	v_lshl_add_u32 v108, v116, 3, v112
	s_barrier_signal -1
	s_barrier_wait -1
	ds_store_b64 v108, v[50:51]
	s_wait_dscnt 0x0
	s_barrier_signal -1
	s_barrier_wait -1
	ds_load_b64 v[110:111], v112 offset:168
	v_mov_b32_e32 v108, 21
	s_cmp_lt_i32 s18, 23
	s_cbranch_scc1 .LBB100_443
; %bb.441:
	v_add3_u32 v109, v113, 0, 0xb0
	v_mov_b32_e32 v108, 21
	s_mov_b32 s0, 22
.LBB100_442:                            ; =>This Inner Loop Header: Depth=1
	ds_load_b64 v[118:119], v109
	s_wait_dscnt 0x1
	v_cmp_gt_f32_e32 vcc_lo, 0, v110
	v_cndmask_b32_e64 v120, v110, -v110, vcc_lo
	v_cmp_gt_f32_e32 vcc_lo, 0, v111
	v_cndmask_b32_e64 v122, v111, -v111, vcc_lo
	s_wait_dscnt 0x0
	v_cmp_gt_f32_e32 vcc_lo, 0, v118
	v_cndmask_b32_e64 v121, v118, -v118, vcc_lo
	v_cmp_gt_f32_e32 vcc_lo, 0, v119
	v_cndmask_b32_e64 v123, v119, -v119, vcc_lo
	s_delay_alu instid0(VALU_DEP_1) | instskip(NEXT) | instid1(VALU_DEP_1)
	v_pk_add_f32 v[120:121], v[120:121], v[122:123]
	v_cmp_lt_f32_e32 vcc_lo, v120, v121
	v_dual_add_nc_u32 v109, 8, v109 :: v_dual_cndmask_b32 v111, v111, v119, vcc_lo
	v_cndmask_b32_e32 v110, v110, v118, vcc_lo
	v_cndmask_b32_e64 v108, v108, s0, vcc_lo
	s_add_co_i32 s0, s0, 1
	s_delay_alu instid0(SALU_CYCLE_1)
	s_cmp_lg_u32 s18, s0
	s_cbranch_scc1 .LBB100_442
.LBB100_443:
	s_wait_dscnt 0x0
	v_cmp_eq_f32_e32 vcc_lo, 0, v110
	v_cmp_eq_f32_e64 s0, 0, v111
	s_and_b32 s0, vcc_lo, s0
	s_delay_alu instid0(SALU_CYCLE_1) | instskip(NEXT) | instid1(SALU_CYCLE_1)
	s_and_saveexec_b32 s1, s0
	s_xor_b32 s0, exec_lo, s1
; %bb.444:
	v_cmp_ne_u32_e32 vcc_lo, 0, v114
	v_cndmask_b32_e32 v114, 22, v114, vcc_lo
; %bb.445:
	s_and_not1_saveexec_b32 s0, s0
	s_cbranch_execz .LBB100_451
; %bb.446:
	v_cmp_ngt_f32_e64 s1, |v110|, |v111|
	s_and_saveexec_b32 s12, s1
	s_delay_alu instid0(SALU_CYCLE_1)
	s_xor_b32 s1, exec_lo, s12
	s_cbranch_execz .LBB100_448
; %bb.447:
	v_div_scale_f32 v109, null, v111, v111, v110
	v_div_scale_f32 v119, vcc_lo, v110, v111, v110
	s_delay_alu instid0(VALU_DEP_2) | instskip(SKIP_1) | instid1(TRANS32_DEP_1)
	v_rcp_f32_e32 v117, v109
	v_nop
	v_fma_f32 v118, -v109, v117, 1.0
	s_delay_alu instid0(VALU_DEP_1) | instskip(NEXT) | instid1(VALU_DEP_1)
	v_fmac_f32_e32 v117, v118, v117
	v_mul_f32_e32 v118, v119, v117
	s_delay_alu instid0(VALU_DEP_1) | instskip(NEXT) | instid1(VALU_DEP_1)
	v_fma_f32 v120, -v109, v118, v119
	v_fmac_f32_e32 v118, v120, v117
	s_delay_alu instid0(VALU_DEP_1) | instskip(NEXT) | instid1(VALU_DEP_1)
	v_fma_f32 v109, -v109, v118, v119
	v_div_fmas_f32 v109, v109, v117, v118
	s_delay_alu instid0(VALU_DEP_1) | instskip(NEXT) | instid1(VALU_DEP_1)
	v_div_fixup_f32 v109, v109, v111, v110
	v_fmac_f32_e32 v111, v110, v109
	s_delay_alu instid0(VALU_DEP_1) | instskip(SKIP_1) | instid1(VALU_DEP_2)
	v_div_scale_f32 v110, null, v111, v111, 1.0
	v_div_scale_f32 v119, vcc_lo, 1.0, v111, 1.0
	v_rcp_f32_e32 v117, v110
	v_nop
	s_delay_alu instid0(TRANS32_DEP_1) | instskip(NEXT) | instid1(VALU_DEP_1)
	v_fma_f32 v118, -v110, v117, 1.0
	v_fmac_f32_e32 v117, v118, v117
	s_delay_alu instid0(VALU_DEP_1) | instskip(NEXT) | instid1(VALU_DEP_1)
	v_mul_f32_e32 v118, v119, v117
	v_fma_f32 v120, -v110, v118, v119
	s_delay_alu instid0(VALU_DEP_1) | instskip(NEXT) | instid1(VALU_DEP_1)
	v_fmac_f32_e32 v118, v120, v117
	v_fma_f32 v110, -v110, v118, v119
	s_delay_alu instid0(VALU_DEP_1) | instskip(NEXT) | instid1(VALU_DEP_1)
	v_div_fmas_f32 v110, v110, v117, v118
	v_div_fixup_f32 v111, v110, v111, 1.0
	s_delay_alu instid0(VALU_DEP_1)
	v_mul_f32_e32 v110, v109, v111
	v_xor_b32_e32 v111, 0x80000000, v111
.LBB100_448:
	s_and_not1_saveexec_b32 s1, s1
	s_cbranch_execz .LBB100_450
; %bb.449:
	s_delay_alu instid0(VALU_DEP_1) | instskip(SKIP_1) | instid1(VALU_DEP_2)
	v_div_scale_f32 v109, null, v110, v110, v111
	v_div_scale_f32 v119, vcc_lo, v111, v110, v111
	v_rcp_f32_e32 v117, v109
	v_nop
	s_delay_alu instid0(TRANS32_DEP_1) | instskip(NEXT) | instid1(VALU_DEP_1)
	v_fma_f32 v118, -v109, v117, 1.0
	v_fmac_f32_e32 v117, v118, v117
	s_delay_alu instid0(VALU_DEP_1) | instskip(NEXT) | instid1(VALU_DEP_1)
	v_mul_f32_e32 v118, v119, v117
	v_fma_f32 v120, -v109, v118, v119
	s_delay_alu instid0(VALU_DEP_1) | instskip(NEXT) | instid1(VALU_DEP_1)
	v_fmac_f32_e32 v118, v120, v117
	v_fma_f32 v109, -v109, v118, v119
	s_delay_alu instid0(VALU_DEP_1) | instskip(NEXT) | instid1(VALU_DEP_1)
	v_div_fmas_f32 v109, v109, v117, v118
	v_div_fixup_f32 v109, v109, v110, v111
	s_delay_alu instid0(VALU_DEP_1) | instskip(NEXT) | instid1(VALU_DEP_1)
	v_fmac_f32_e32 v110, v111, v109
	v_div_scale_f32 v111, null, v110, v110, 1.0
	s_delay_alu instid0(VALU_DEP_1) | instskip(SKIP_1) | instid1(TRANS32_DEP_1)
	v_rcp_f32_e32 v117, v111
	v_nop
	v_fma_f32 v118, -v111, v117, 1.0
	s_delay_alu instid0(VALU_DEP_1) | instskip(SKIP_1) | instid1(VALU_DEP_1)
	v_fmac_f32_e32 v117, v118, v117
	v_div_scale_f32 v118, vcc_lo, 1.0, v110, 1.0
	v_mul_f32_e32 v119, v118, v117
	s_delay_alu instid0(VALU_DEP_1) | instskip(NEXT) | instid1(VALU_DEP_1)
	v_fma_f32 v120, -v111, v119, v118
	v_fmac_f32_e32 v119, v120, v117
	s_delay_alu instid0(VALU_DEP_1) | instskip(NEXT) | instid1(VALU_DEP_1)
	v_fma_f32 v111, -v111, v119, v118
	v_div_fmas_f32 v111, v111, v117, v119
	s_delay_alu instid0(VALU_DEP_1) | instskip(NEXT) | instid1(VALU_DEP_1)
	v_div_fixup_f32 v110, v111, v110, 1.0
	v_mul_f32_e64 v111, v109, -v110
.LBB100_450:
	s_or_b32 exec_lo, exec_lo, s1
.LBB100_451:
	s_delay_alu instid0(SALU_CYCLE_1) | instskip(NEXT) | instid1(SALU_CYCLE_1)
	s_or_b32 exec_lo, exec_lo, s0
	s_mov_b32 s0, exec_lo
	v_cmpx_ne_u32_e64 v116, v108
	s_xor_b32 s0, exec_lo, s0
	s_cbranch_execz .LBB100_457
; %bb.452:
	s_mov_b32 s1, exec_lo
	v_cmpx_eq_u32_e32 21, v116
	s_cbranch_execz .LBB100_456
; %bb.453:
	v_cmp_ne_u32_e32 vcc_lo, 21, v108
	s_xor_b32 s12, s16, -1
	s_delay_alu instid0(SALU_CYCLE_1) | instskip(NEXT) | instid1(SALU_CYCLE_1)
	s_and_b32 s13, s12, vcc_lo
	s_and_saveexec_b32 s12, s13
	s_cbranch_execz .LBB100_455
; %bb.454:
	v_ashrrev_i32_e32 v109, 31, v108
	s_delay_alu instid0(VALU_DEP_1)
	v_lshl_add_u64 v[116:117], v[108:109], 2, v[4:5]
	s_clause 0x1
	global_load_b32 v109, v[116:117], off
	global_load_b32 v115, v[4:5], off offset:84
	s_wait_loadcnt 0x1
	global_store_b32 v[4:5], v109, off offset:84
	s_wait_loadcnt 0x0
	global_store_b32 v[116:117], v115, off
.LBB100_455:
	s_wait_xcnt 0x0
	s_or_b32 exec_lo, exec_lo, s12
	v_dual_mov_b32 v116, v108 :: v_dual_mov_b32 v115, v108
.LBB100_456:
	s_or_b32 exec_lo, exec_lo, s1
.LBB100_457:
	s_and_not1_saveexec_b32 s0, s0
	s_cbranch_execz .LBB100_459
; %bb.458:
	v_dual_mov_b32 v108, v32 :: v_dual_mov_b32 v109, v33
	v_dual_mov_b32 v116, v30 :: v_dual_mov_b32 v117, v31
	ds_store_2addr_b64 v112, v[108:109], v[116:117] offset0:22 offset1:23
	v_dual_mov_b32 v108, v62 :: v_dual_mov_b32 v109, v63
	v_dual_mov_b32 v116, v60 :: v_dual_mov_b32 v117, v61
	ds_store_2addr_b64 v112, v[108:109], v[116:117] offset0:24 offset1:25
	;; [unrolled: 3-line block ×14, first 2 shown]
	ds_store_b64 v112, v[106:107] offset:400
	v_mov_b32_e32 v116, 21
.LBB100_459:
	s_or_b32 exec_lo, exec_lo, s0
	s_delay_alu instid0(SALU_CYCLE_1)
	s_mov_b32 s0, exec_lo
	s_wait_storecnt_dscnt 0x0
	s_barrier_signal -1
	s_barrier_wait -1
	v_cmpx_lt_i32_e32 21, v116
	s_cbranch_execz .LBB100_461
; %bb.460:
	v_pk_mul_f32 v[118:119], v[110:111], v[50:51] op_sel:[1,1] op_sel_hi:[0,1]
	s_delay_alu instid0(VALU_DEP_1)
	v_pk_fma_f32 v[108:109], v[110:111], v[50:51], v[118:119] op_sel_hi:[1,0,1] neg_lo:[0,0,1] neg_hi:[0,0,1]
	v_pk_fma_f32 v[110:111], v[110:111], v[50:51], v[118:119] op_sel_hi:[1,0,1]
	ds_load_2addr_b64 v[118:121], v112 offset0:22 offset1:23
	v_dual_mov_b32 v50, v108 :: v_dual_mov_b32 v51, v111
	s_wait_dscnt 0x0
	v_pk_mul_f32 v[122:123], v[118:119], v[110:111] op_sel:[0,1]
	s_delay_alu instid0(VALU_DEP_1) | instskip(SKIP_1) | instid1(VALU_DEP_1)
	v_pk_fma_f32 v[124:125], v[118:119], v[108:109], v[122:123] op_sel:[0,0,1] op_sel_hi:[1,1,0] neg_lo:[0,0,1] neg_hi:[0,0,1]
	v_pk_fma_f32 v[118:119], v[118:119], v[108:109], v[122:123] op_sel:[0,0,1] op_sel_hi:[1,0,0]
	v_mov_b32_e32 v125, v119
	v_pk_mul_f32 v[118:119], v[120:121], v[110:111] op_sel:[0,1]
	s_delay_alu instid0(VALU_DEP_1) | instskip(SKIP_1) | instid1(VALU_DEP_1)
	v_pk_fma_f32 v[122:123], v[120:121], v[108:109], v[118:119] op_sel:[0,0,1] op_sel_hi:[1,1,0] neg_lo:[0,0,1] neg_hi:[0,0,1]
	v_pk_fma_f32 v[118:119], v[120:121], v[108:109], v[118:119] op_sel:[0,0,1] op_sel_hi:[1,0,0]
	v_mov_b32_e32 v123, v119
	ds_load_2addr_b64 v[118:121], v112 offset0:24 offset1:25
	v_pk_add_f32 v[32:33], v[32:33], v[124:125] neg_lo:[0,1] neg_hi:[0,1]
	v_pk_add_f32 v[30:31], v[30:31], v[122:123] neg_lo:[0,1] neg_hi:[0,1]
	s_wait_dscnt 0x0
	v_pk_mul_f32 v[122:123], v[118:119], v[110:111] op_sel:[0,1]
	s_delay_alu instid0(VALU_DEP_1) | instskip(SKIP_2) | instid1(VALU_DEP_2)
	v_pk_fma_f32 v[124:125], v[118:119], v[108:109], v[122:123] op_sel:[0,0,1] op_sel_hi:[1,1,0] neg_lo:[0,0,1] neg_hi:[0,0,1]
	v_pk_fma_f32 v[118:119], v[118:119], v[108:109], v[122:123] op_sel:[0,0,1] op_sel_hi:[1,0,0]
	v_dual_mul_f32 v122, v121, v111 :: v_dual_mov_b32 v118, v121
	v_dual_mov_b32 v125, v119 :: v_dual_mov_b32 v119, v120
	s_delay_alu instid0(VALU_DEP_2) | instskip(SKIP_1) | instid1(VALU_DEP_3)
	v_pk_fma_f32 v[122:123], v[120:121], v[50:51], v[122:123] op_sel_hi:[1,1,0] neg_lo:[0,0,1] neg_hi:[0,0,1]
	v_mul_f32_e32 v120, v121, v108
	v_pk_add_f32 v[62:63], v[62:63], v[124:125] neg_lo:[0,1] neg_hi:[0,1]
	s_delay_alu instid0(VALU_DEP_2) | instskip(NEXT) | instid1(VALU_DEP_1)
	v_pk_fma_f32 v[118:119], v[118:119], v[50:51], v[120:121] op_sel_hi:[1,1,0]
	v_mov_b32_e32 v123, v119
	ds_load_2addr_b64 v[118:121], v112 offset0:26 offset1:27
	v_pk_add_f32 v[60:61], v[60:61], v[122:123] neg_lo:[0,1] neg_hi:[0,1]
	s_wait_dscnt 0x0
	v_pk_mul_f32 v[122:123], v[118:119], v[110:111] op_sel:[0,1]
	s_delay_alu instid0(VALU_DEP_1) | instskip(SKIP_1) | instid1(VALU_DEP_1)
	v_pk_fma_f32 v[124:125], v[118:119], v[108:109], v[122:123] op_sel:[0,0,1] op_sel_hi:[1,1,0] neg_lo:[0,0,1] neg_hi:[0,0,1]
	v_pk_fma_f32 v[118:119], v[118:119], v[108:109], v[122:123] op_sel:[0,0,1] op_sel_hi:[1,0,0]
	v_mov_b32_e32 v125, v119
	v_pk_mul_f32 v[118:119], v[120:121], v[110:111] op_sel:[0,1]
	s_delay_alu instid0(VALU_DEP_1) | instskip(SKIP_1) | instid1(VALU_DEP_1)
	v_pk_fma_f32 v[122:123], v[120:121], v[108:109], v[118:119] op_sel:[0,0,1] op_sel_hi:[1,1,0] neg_lo:[0,0,1] neg_hi:[0,0,1]
	v_pk_fma_f32 v[118:119], v[120:121], v[108:109], v[118:119] op_sel:[0,0,1] op_sel_hi:[1,0,0]
	v_mov_b32_e32 v123, v119
	ds_load_2addr_b64 v[118:121], v112 offset0:28 offset1:29
	v_pk_add_f32 v[40:41], v[40:41], v[124:125] neg_lo:[0,1] neg_hi:[0,1]
	v_pk_add_f32 v[38:39], v[38:39], v[122:123] neg_lo:[0,1] neg_hi:[0,1]
	s_wait_dscnt 0x0
	v_pk_mul_f32 v[122:123], v[118:119], v[110:111] op_sel:[0,1]
	s_delay_alu instid0(VALU_DEP_1) | instskip(SKIP_1) | instid1(VALU_DEP_1)
	v_pk_fma_f32 v[124:125], v[118:119], v[108:109], v[122:123] op_sel:[0,0,1] op_sel_hi:[1,1,0] neg_lo:[0,0,1] neg_hi:[0,0,1]
	v_pk_fma_f32 v[118:119], v[118:119], v[108:109], v[122:123] op_sel:[0,0,1] op_sel_hi:[1,0,0]
	v_mov_b32_e32 v125, v119
	v_pk_mul_f32 v[118:119], v[120:121], v[110:111] op_sel:[0,1]
	s_delay_alu instid0(VALU_DEP_1) | instskip(SKIP_1) | instid1(VALU_DEP_1)
	v_pk_fma_f32 v[122:123], v[120:121], v[108:109], v[118:119] op_sel:[0,0,1] op_sel_hi:[1,1,0] neg_lo:[0,0,1] neg_hi:[0,0,1]
	v_pk_fma_f32 v[118:119], v[120:121], v[108:109], v[118:119] op_sel:[0,0,1] op_sel_hi:[1,0,0]
	v_mov_b32_e32 v123, v119
	ds_load_2addr_b64 v[118:121], v112 offset0:30 offset1:31
	v_pk_add_f32 v[70:71], v[70:71], v[124:125] neg_lo:[0,1] neg_hi:[0,1]
	v_pk_add_f32 v[68:69], v[68:69], v[122:123] neg_lo:[0,1] neg_hi:[0,1]
	s_wait_dscnt 0x0
	v_dual_mul_f32 v122, v119, v111 :: v_dual_mul_f32 v124, v119, v108
	s_delay_alu instid0(VALU_DEP_1) | instskip(NEXT) | instid1(VALU_DEP_2)
	v_pk_fma_f32 v[122:123], v[118:119], v[50:51], v[122:123] op_sel_hi:[1,1,0] neg_lo:[0,0,1] neg_hi:[0,0,1]
	v_pk_fma_f32 v[118:119], v[118:119], v[50:51], v[124:125] op_sel:[1,0,0] op_sel_hi:[0,1,0]
	s_delay_alu instid0(VALU_DEP_1) | instskip(SKIP_1) | instid1(VALU_DEP_2)
	v_mov_b32_e32 v123, v119
	v_pk_mul_f32 v[118:119], v[120:121], v[110:111] op_sel:[0,1]
	v_pk_add_f32 v[48:49], v[48:49], v[122:123] neg_lo:[0,1] neg_hi:[0,1]
	s_delay_alu instid0(VALU_DEP_2) | instskip(SKIP_1) | instid1(VALU_DEP_1)
	v_pk_fma_f32 v[122:123], v[120:121], v[108:109], v[118:119] op_sel:[0,0,1] op_sel_hi:[1,1,0] neg_lo:[0,0,1] neg_hi:[0,0,1]
	v_pk_fma_f32 v[118:119], v[120:121], v[108:109], v[118:119] op_sel:[0,0,1] op_sel_hi:[1,0,0]
	v_mov_b32_e32 v123, v119
	ds_load_2addr_b64 v[118:121], v112 offset0:32 offset1:33
	v_pk_add_f32 v[46:47], v[46:47], v[122:123] neg_lo:[0,1] neg_hi:[0,1]
	s_wait_dscnt 0x0
	v_pk_mul_f32 v[122:123], v[118:119], v[110:111] op_sel:[0,1]
	s_delay_alu instid0(VALU_DEP_1) | instskip(SKIP_1) | instid1(VALU_DEP_1)
	v_pk_fma_f32 v[124:125], v[118:119], v[108:109], v[122:123] op_sel:[0,0,1] op_sel_hi:[1,1,0] neg_lo:[0,0,1] neg_hi:[0,0,1]
	v_pk_fma_f32 v[118:119], v[118:119], v[108:109], v[122:123] op_sel:[0,0,1] op_sel_hi:[1,0,0]
	v_mov_b32_e32 v125, v119
	v_pk_mul_f32 v[118:119], v[120:121], v[110:111] op_sel:[0,1]
	s_delay_alu instid0(VALU_DEP_2) | instskip(NEXT) | instid1(VALU_DEP_2)
	v_pk_add_f32 v[84:85], v[84:85], v[124:125] neg_lo:[0,1] neg_hi:[0,1]
	v_pk_fma_f32 v[122:123], v[120:121], v[108:109], v[118:119] op_sel:[0,0,1] op_sel_hi:[1,1,0] neg_lo:[0,0,1] neg_hi:[0,0,1]
	v_pk_fma_f32 v[118:119], v[120:121], v[108:109], v[118:119] op_sel:[0,0,1] op_sel_hi:[1,0,0]
	s_delay_alu instid0(VALU_DEP_1) | instskip(SKIP_4) | instid1(VALU_DEP_1)
	v_mov_b32_e32 v123, v119
	ds_load_2addr_b64 v[118:121], v112 offset0:34 offset1:35
	v_pk_add_f32 v[82:83], v[82:83], v[122:123] neg_lo:[0,1] neg_hi:[0,1]
	s_wait_dscnt 0x0
	v_pk_mul_f32 v[122:123], v[118:119], v[110:111] op_sel:[0,1]
	v_pk_fma_f32 v[124:125], v[118:119], v[108:109], v[122:123] op_sel:[0,0,1] op_sel_hi:[1,1,0] neg_lo:[0,0,1] neg_hi:[0,0,1]
	v_pk_fma_f32 v[118:119], v[118:119], v[108:109], v[122:123] op_sel:[0,0,1] op_sel_hi:[1,0,0]
	v_dual_mul_f32 v122, v121, v111 :: v_dual_mov_b32 v118, v121
	s_delay_alu instid0(VALU_DEP_2) | instskip(NEXT) | instid1(VALU_DEP_2)
	v_dual_mov_b32 v125, v119 :: v_dual_mov_b32 v119, v120
	v_pk_fma_f32 v[122:123], v[120:121], v[50:51], v[122:123] op_sel_hi:[1,1,0] neg_lo:[0,0,1] neg_hi:[0,0,1]
	v_mul_f32_e32 v120, v121, v108
	s_delay_alu instid0(VALU_DEP_3) | instskip(NEXT) | instid1(VALU_DEP_2)
	v_pk_add_f32 v[56:57], v[56:57], v[124:125] neg_lo:[0,1] neg_hi:[0,1]
	v_pk_fma_f32 v[118:119], v[118:119], v[50:51], v[120:121] op_sel_hi:[1,1,0]
	s_delay_alu instid0(VALU_DEP_1) | instskip(SKIP_4) | instid1(VALU_DEP_1)
	v_mov_b32_e32 v123, v119
	ds_load_2addr_b64 v[118:121], v112 offset0:36 offset1:37
	v_pk_add_f32 v[54:55], v[54:55], v[122:123] neg_lo:[0,1] neg_hi:[0,1]
	s_wait_dscnt 0x0
	v_pk_mul_f32 v[122:123], v[118:119], v[110:111] op_sel:[0,1]
	v_pk_fma_f32 v[124:125], v[118:119], v[108:109], v[122:123] op_sel:[0,0,1] op_sel_hi:[1,1,0] neg_lo:[0,0,1] neg_hi:[0,0,1]
	v_pk_fma_f32 v[118:119], v[118:119], v[108:109], v[122:123] op_sel:[0,0,1] op_sel_hi:[1,0,0]
	s_delay_alu instid0(VALU_DEP_1) | instskip(SKIP_1) | instid1(VALU_DEP_1)
	v_mov_b32_e32 v125, v119
	v_pk_mul_f32 v[118:119], v[120:121], v[110:111] op_sel:[0,1]
	v_pk_fma_f32 v[122:123], v[120:121], v[108:109], v[118:119] op_sel:[0,0,1] op_sel_hi:[1,1,0] neg_lo:[0,0,1] neg_hi:[0,0,1]
	v_pk_fma_f32 v[118:119], v[120:121], v[108:109], v[118:119] op_sel:[0,0,1] op_sel_hi:[1,0,0]
	s_delay_alu instid0(VALU_DEP_1)
	v_mov_b32_e32 v123, v119
	ds_load_2addr_b64 v[118:121], v112 offset0:38 offset1:39
	v_pk_add_f32 v[94:95], v[94:95], v[124:125] neg_lo:[0,1] neg_hi:[0,1]
	v_pk_add_f32 v[92:93], v[92:93], v[122:123] neg_lo:[0,1] neg_hi:[0,1]
	s_wait_dscnt 0x0
	v_pk_mul_f32 v[122:123], v[118:119], v[110:111] op_sel:[0,1]
	s_delay_alu instid0(VALU_DEP_1) | instskip(SKIP_1) | instid1(VALU_DEP_1)
	v_pk_fma_f32 v[124:125], v[118:119], v[108:109], v[122:123] op_sel:[0,0,1] op_sel_hi:[1,1,0] neg_lo:[0,0,1] neg_hi:[0,0,1]
	v_pk_fma_f32 v[118:119], v[118:119], v[108:109], v[122:123] op_sel:[0,0,1] op_sel_hi:[1,0,0]
	v_mov_b32_e32 v125, v119
	v_pk_mul_f32 v[118:119], v[120:121], v[110:111] op_sel:[0,1]
	s_delay_alu instid0(VALU_DEP_1) | instskip(SKIP_1) | instid1(VALU_DEP_1)
	v_pk_fma_f32 v[122:123], v[120:121], v[108:109], v[118:119] op_sel:[0,0,1] op_sel_hi:[1,1,0] neg_lo:[0,0,1] neg_hi:[0,0,1]
	v_pk_fma_f32 v[118:119], v[120:121], v[108:109], v[118:119] op_sel:[0,0,1] op_sel_hi:[1,0,0]
	v_mov_b32_e32 v123, v119
	ds_load_2addr_b64 v[118:121], v112 offset0:40 offset1:41
	v_pk_add_f32 v[66:67], v[66:67], v[124:125] neg_lo:[0,1] neg_hi:[0,1]
	v_pk_add_f32 v[64:65], v[64:65], v[122:123] neg_lo:[0,1] neg_hi:[0,1]
	s_wait_dscnt 0x0
	v_dual_mul_f32 v122, v119, v111 :: v_dual_mul_f32 v124, v119, v108
	s_delay_alu instid0(VALU_DEP_1) | instskip(NEXT) | instid1(VALU_DEP_2)
	v_pk_fma_f32 v[122:123], v[118:119], v[50:51], v[122:123] op_sel_hi:[1,1,0] neg_lo:[0,0,1] neg_hi:[0,0,1]
	v_pk_fma_f32 v[118:119], v[118:119], v[50:51], v[124:125] op_sel:[1,0,0] op_sel_hi:[0,1,0]
	s_delay_alu instid0(VALU_DEP_1) | instskip(SKIP_1) | instid1(VALU_DEP_2)
	v_mov_b32_e32 v123, v119
	v_pk_mul_f32 v[118:119], v[120:121], v[110:111] op_sel:[0,1]
	v_pk_add_f32 v[104:105], v[104:105], v[122:123] neg_lo:[0,1] neg_hi:[0,1]
	s_delay_alu instid0(VALU_DEP_2) | instskip(SKIP_1) | instid1(VALU_DEP_1)
	v_pk_fma_f32 v[122:123], v[120:121], v[108:109], v[118:119] op_sel:[0,0,1] op_sel_hi:[1,1,0] neg_lo:[0,0,1] neg_hi:[0,0,1]
	v_pk_fma_f32 v[118:119], v[120:121], v[108:109], v[118:119] op_sel:[0,0,1] op_sel_hi:[1,0,0]
	v_mov_b32_e32 v123, v119
	ds_load_2addr_b64 v[118:121], v112 offset0:42 offset1:43
	v_pk_add_f32 v[102:103], v[102:103], v[122:123] neg_lo:[0,1] neg_hi:[0,1]
	s_wait_dscnt 0x0
	v_pk_mul_f32 v[122:123], v[118:119], v[110:111] op_sel:[0,1]
	s_delay_alu instid0(VALU_DEP_1) | instskip(SKIP_1) | instid1(VALU_DEP_1)
	v_pk_fma_f32 v[124:125], v[118:119], v[108:109], v[122:123] op_sel:[0,0,1] op_sel_hi:[1,1,0] neg_lo:[0,0,1] neg_hi:[0,0,1]
	v_pk_fma_f32 v[118:119], v[118:119], v[108:109], v[122:123] op_sel:[0,0,1] op_sel_hi:[1,0,0]
	v_mov_b32_e32 v125, v119
	v_pk_mul_f32 v[118:119], v[120:121], v[110:111] op_sel:[0,1]
	s_delay_alu instid0(VALU_DEP_2) | instskip(NEXT) | instid1(VALU_DEP_2)
	v_pk_add_f32 v[76:77], v[76:77], v[124:125] neg_lo:[0,1] neg_hi:[0,1]
	v_pk_fma_f32 v[122:123], v[120:121], v[108:109], v[118:119] op_sel:[0,0,1] op_sel_hi:[1,1,0] neg_lo:[0,0,1] neg_hi:[0,0,1]
	v_pk_fma_f32 v[118:119], v[120:121], v[108:109], v[118:119] op_sel:[0,0,1] op_sel_hi:[1,0,0]
	s_delay_alu instid0(VALU_DEP_1) | instskip(SKIP_4) | instid1(VALU_DEP_1)
	v_mov_b32_e32 v123, v119
	ds_load_2addr_b64 v[118:121], v112 offset0:44 offset1:45
	v_pk_add_f32 v[74:75], v[74:75], v[122:123] neg_lo:[0,1] neg_hi:[0,1]
	s_wait_dscnt 0x0
	v_pk_mul_f32 v[122:123], v[118:119], v[110:111] op_sel:[0,1]
	v_pk_fma_f32 v[124:125], v[118:119], v[108:109], v[122:123] op_sel:[0,0,1] op_sel_hi:[1,1,0] neg_lo:[0,0,1] neg_hi:[0,0,1]
	v_pk_fma_f32 v[118:119], v[118:119], v[108:109], v[122:123] op_sel:[0,0,1] op_sel_hi:[1,0,0]
	v_dual_mul_f32 v122, v121, v111 :: v_dual_mov_b32 v118, v121
	s_delay_alu instid0(VALU_DEP_2) | instskip(NEXT) | instid1(VALU_DEP_2)
	v_dual_mov_b32 v125, v119 :: v_dual_mov_b32 v119, v120
	v_pk_fma_f32 v[122:123], v[120:121], v[50:51], v[122:123] op_sel_hi:[1,1,0] neg_lo:[0,0,1] neg_hi:[0,0,1]
	v_mul_f32_e32 v120, v121, v108
	s_delay_alu instid0(VALU_DEP_3) | instskip(NEXT) | instid1(VALU_DEP_2)
	v_pk_add_f32 v[98:99], v[98:99], v[124:125] neg_lo:[0,1] neg_hi:[0,1]
	v_pk_fma_f32 v[118:119], v[118:119], v[50:51], v[120:121] op_sel_hi:[1,1,0]
	s_delay_alu instid0(VALU_DEP_1) | instskip(SKIP_4) | instid1(VALU_DEP_1)
	v_mov_b32_e32 v123, v119
	ds_load_2addr_b64 v[118:121], v112 offset0:46 offset1:47
	v_pk_add_f32 v[96:97], v[96:97], v[122:123] neg_lo:[0,1] neg_hi:[0,1]
	s_wait_dscnt 0x0
	v_pk_mul_f32 v[122:123], v[118:119], v[110:111] op_sel:[0,1]
	v_pk_fma_f32 v[124:125], v[118:119], v[108:109], v[122:123] op_sel:[0,0,1] op_sel_hi:[1,1,0] neg_lo:[0,0,1] neg_hi:[0,0,1]
	v_pk_fma_f32 v[118:119], v[118:119], v[108:109], v[122:123] op_sel:[0,0,1] op_sel_hi:[1,0,0]
	s_delay_alu instid0(VALU_DEP_1) | instskip(SKIP_1) | instid1(VALU_DEP_1)
	v_mov_b32_e32 v125, v119
	v_pk_mul_f32 v[118:119], v[120:121], v[110:111] op_sel:[0,1]
	v_pk_fma_f32 v[122:123], v[120:121], v[108:109], v[118:119] op_sel:[0,0,1] op_sel_hi:[1,1,0] neg_lo:[0,0,1] neg_hi:[0,0,1]
	v_pk_fma_f32 v[118:119], v[120:121], v[108:109], v[118:119] op_sel:[0,0,1] op_sel_hi:[1,0,0]
	s_delay_alu instid0(VALU_DEP_1)
	v_mov_b32_e32 v123, v119
	ds_load_2addr_b64 v[118:121], v112 offset0:48 offset1:49
	v_pk_add_f32 v[80:81], v[80:81], v[124:125] neg_lo:[0,1] neg_hi:[0,1]
	v_pk_add_f32 v[78:79], v[78:79], v[122:123] neg_lo:[0,1] neg_hi:[0,1]
	s_wait_dscnt 0x0
	v_pk_mul_f32 v[122:123], v[118:119], v[110:111] op_sel:[0,1]
	s_delay_alu instid0(VALU_DEP_1) | instskip(SKIP_1) | instid1(VALU_DEP_1)
	v_pk_fma_f32 v[124:125], v[118:119], v[108:109], v[122:123] op_sel:[0,0,1] op_sel_hi:[1,1,0] neg_lo:[0,0,1] neg_hi:[0,0,1]
	v_pk_fma_f32 v[118:119], v[118:119], v[108:109], v[122:123] op_sel:[0,0,1] op_sel_hi:[1,0,0]
	v_mov_b32_e32 v125, v119
	v_pk_mul_f32 v[118:119], v[120:121], v[110:111] op_sel:[0,1]
	s_delay_alu instid0(VALU_DEP_1) | instskip(SKIP_1) | instid1(VALU_DEP_1)
	v_pk_fma_f32 v[122:123], v[120:121], v[108:109], v[118:119] op_sel:[0,0,1] op_sel_hi:[1,1,0] neg_lo:[0,0,1] neg_hi:[0,0,1]
	v_pk_fma_f32 v[118:119], v[120:121], v[108:109], v[118:119] op_sel:[0,0,1] op_sel_hi:[1,0,0]
	v_mov_b32_e32 v123, v119
	ds_load_b64 v[118:119], v112 offset:400
	v_pk_add_f32 v[88:89], v[88:89], v[124:125] neg_lo:[0,1] neg_hi:[0,1]
	v_pk_add_f32 v[86:87], v[86:87], v[122:123] neg_lo:[0,1] neg_hi:[0,1]
	s_wait_dscnt 0x0
	v_pk_mul_f32 v[110:111], v[118:119], v[110:111] op_sel:[0,1]
	s_delay_alu instid0(VALU_DEP_1) | instskip(SKIP_1) | instid1(VALU_DEP_1)
	v_pk_fma_f32 v[120:121], v[118:119], v[108:109], v[110:111] op_sel:[0,0,1] op_sel_hi:[1,1,0] neg_lo:[0,0,1] neg_hi:[0,0,1]
	v_pk_fma_f32 v[108:109], v[118:119], v[108:109], v[110:111] op_sel:[0,0,1] op_sel_hi:[1,0,0]
	v_mov_b32_e32 v121, v109
	s_delay_alu instid0(VALU_DEP_1)
	v_pk_add_f32 v[106:107], v[106:107], v[120:121] neg_lo:[0,1] neg_hi:[0,1]
.LBB100_461:
	s_or_b32 exec_lo, exec_lo, s0
	v_lshl_add_u32 v108, v116, 3, v112
	s_barrier_signal -1
	s_barrier_wait -1
	ds_store_b64 v108, v[32:33]
	s_wait_dscnt 0x0
	s_barrier_signal -1
	s_barrier_wait -1
	ds_load_b64 v[110:111], v112 offset:176
	v_mov_b32_e32 v108, 22
	s_cmp_lt_i32 s18, 24
	s_cbranch_scc1 .LBB100_464
; %bb.462:
	v_add3_u32 v109, v113, 0, 0xb8
	v_mov_b32_e32 v108, 22
	s_mov_b32 s0, 23
.LBB100_463:                            ; =>This Inner Loop Header: Depth=1
	ds_load_b64 v[118:119], v109
	s_wait_dscnt 0x1
	v_cmp_gt_f32_e32 vcc_lo, 0, v110
	v_cndmask_b32_e64 v120, v110, -v110, vcc_lo
	v_cmp_gt_f32_e32 vcc_lo, 0, v111
	v_cndmask_b32_e64 v122, v111, -v111, vcc_lo
	s_wait_dscnt 0x0
	v_cmp_gt_f32_e32 vcc_lo, 0, v118
	v_cndmask_b32_e64 v121, v118, -v118, vcc_lo
	v_cmp_gt_f32_e32 vcc_lo, 0, v119
	v_cndmask_b32_e64 v123, v119, -v119, vcc_lo
	s_delay_alu instid0(VALU_DEP_1) | instskip(NEXT) | instid1(VALU_DEP_1)
	v_pk_add_f32 v[120:121], v[120:121], v[122:123]
	v_cmp_lt_f32_e32 vcc_lo, v120, v121
	v_dual_add_nc_u32 v109, 8, v109 :: v_dual_cndmask_b32 v111, v111, v119, vcc_lo
	v_cndmask_b32_e32 v110, v110, v118, vcc_lo
	v_cndmask_b32_e64 v108, v108, s0, vcc_lo
	s_add_co_i32 s0, s0, 1
	s_delay_alu instid0(SALU_CYCLE_1)
	s_cmp_lg_u32 s18, s0
	s_cbranch_scc1 .LBB100_463
.LBB100_464:
	s_wait_dscnt 0x0
	v_cmp_eq_f32_e32 vcc_lo, 0, v110
	v_cmp_eq_f32_e64 s0, 0, v111
	s_and_b32 s0, vcc_lo, s0
	s_delay_alu instid0(SALU_CYCLE_1) | instskip(NEXT) | instid1(SALU_CYCLE_1)
	s_and_saveexec_b32 s1, s0
	s_xor_b32 s0, exec_lo, s1
; %bb.465:
	v_cmp_ne_u32_e32 vcc_lo, 0, v114
	v_cndmask_b32_e32 v114, 23, v114, vcc_lo
; %bb.466:
	s_and_not1_saveexec_b32 s0, s0
	s_cbranch_execz .LBB100_472
; %bb.467:
	v_cmp_ngt_f32_e64 s1, |v110|, |v111|
	s_and_saveexec_b32 s12, s1
	s_delay_alu instid0(SALU_CYCLE_1)
	s_xor_b32 s1, exec_lo, s12
	s_cbranch_execz .LBB100_469
; %bb.468:
	v_div_scale_f32 v109, null, v111, v111, v110
	v_div_scale_f32 v119, vcc_lo, v110, v111, v110
	s_delay_alu instid0(VALU_DEP_2) | instskip(SKIP_1) | instid1(TRANS32_DEP_1)
	v_rcp_f32_e32 v117, v109
	v_nop
	v_fma_f32 v118, -v109, v117, 1.0
	s_delay_alu instid0(VALU_DEP_1) | instskip(NEXT) | instid1(VALU_DEP_1)
	v_fmac_f32_e32 v117, v118, v117
	v_mul_f32_e32 v118, v119, v117
	s_delay_alu instid0(VALU_DEP_1) | instskip(NEXT) | instid1(VALU_DEP_1)
	v_fma_f32 v120, -v109, v118, v119
	v_fmac_f32_e32 v118, v120, v117
	s_delay_alu instid0(VALU_DEP_1) | instskip(NEXT) | instid1(VALU_DEP_1)
	v_fma_f32 v109, -v109, v118, v119
	v_div_fmas_f32 v109, v109, v117, v118
	s_delay_alu instid0(VALU_DEP_1) | instskip(NEXT) | instid1(VALU_DEP_1)
	v_div_fixup_f32 v109, v109, v111, v110
	v_fmac_f32_e32 v111, v110, v109
	s_delay_alu instid0(VALU_DEP_1) | instskip(SKIP_1) | instid1(VALU_DEP_2)
	v_div_scale_f32 v110, null, v111, v111, 1.0
	v_div_scale_f32 v119, vcc_lo, 1.0, v111, 1.0
	v_rcp_f32_e32 v117, v110
	v_nop
	s_delay_alu instid0(TRANS32_DEP_1) | instskip(NEXT) | instid1(VALU_DEP_1)
	v_fma_f32 v118, -v110, v117, 1.0
	v_fmac_f32_e32 v117, v118, v117
	s_delay_alu instid0(VALU_DEP_1) | instskip(NEXT) | instid1(VALU_DEP_1)
	v_mul_f32_e32 v118, v119, v117
	v_fma_f32 v120, -v110, v118, v119
	s_delay_alu instid0(VALU_DEP_1) | instskip(NEXT) | instid1(VALU_DEP_1)
	v_fmac_f32_e32 v118, v120, v117
	v_fma_f32 v110, -v110, v118, v119
	s_delay_alu instid0(VALU_DEP_1) | instskip(NEXT) | instid1(VALU_DEP_1)
	v_div_fmas_f32 v110, v110, v117, v118
	v_div_fixup_f32 v111, v110, v111, 1.0
	s_delay_alu instid0(VALU_DEP_1)
	v_mul_f32_e32 v110, v109, v111
	v_xor_b32_e32 v111, 0x80000000, v111
.LBB100_469:
	s_and_not1_saveexec_b32 s1, s1
	s_cbranch_execz .LBB100_471
; %bb.470:
	s_delay_alu instid0(VALU_DEP_1) | instskip(SKIP_1) | instid1(VALU_DEP_2)
	v_div_scale_f32 v109, null, v110, v110, v111
	v_div_scale_f32 v119, vcc_lo, v111, v110, v111
	v_rcp_f32_e32 v117, v109
	v_nop
	s_delay_alu instid0(TRANS32_DEP_1) | instskip(NEXT) | instid1(VALU_DEP_1)
	v_fma_f32 v118, -v109, v117, 1.0
	v_fmac_f32_e32 v117, v118, v117
	s_delay_alu instid0(VALU_DEP_1) | instskip(NEXT) | instid1(VALU_DEP_1)
	v_mul_f32_e32 v118, v119, v117
	v_fma_f32 v120, -v109, v118, v119
	s_delay_alu instid0(VALU_DEP_1) | instskip(NEXT) | instid1(VALU_DEP_1)
	v_fmac_f32_e32 v118, v120, v117
	v_fma_f32 v109, -v109, v118, v119
	s_delay_alu instid0(VALU_DEP_1) | instskip(NEXT) | instid1(VALU_DEP_1)
	v_div_fmas_f32 v109, v109, v117, v118
	v_div_fixup_f32 v109, v109, v110, v111
	s_delay_alu instid0(VALU_DEP_1) | instskip(NEXT) | instid1(VALU_DEP_1)
	v_fmac_f32_e32 v110, v111, v109
	v_div_scale_f32 v111, null, v110, v110, 1.0
	s_delay_alu instid0(VALU_DEP_1) | instskip(SKIP_1) | instid1(TRANS32_DEP_1)
	v_rcp_f32_e32 v117, v111
	v_nop
	v_fma_f32 v118, -v111, v117, 1.0
	s_delay_alu instid0(VALU_DEP_1) | instskip(SKIP_1) | instid1(VALU_DEP_1)
	v_fmac_f32_e32 v117, v118, v117
	v_div_scale_f32 v118, vcc_lo, 1.0, v110, 1.0
	v_mul_f32_e32 v119, v118, v117
	s_delay_alu instid0(VALU_DEP_1) | instskip(NEXT) | instid1(VALU_DEP_1)
	v_fma_f32 v120, -v111, v119, v118
	v_fmac_f32_e32 v119, v120, v117
	s_delay_alu instid0(VALU_DEP_1) | instskip(NEXT) | instid1(VALU_DEP_1)
	v_fma_f32 v111, -v111, v119, v118
	v_div_fmas_f32 v111, v111, v117, v119
	s_delay_alu instid0(VALU_DEP_1) | instskip(NEXT) | instid1(VALU_DEP_1)
	v_div_fixup_f32 v110, v111, v110, 1.0
	v_mul_f32_e64 v111, v109, -v110
.LBB100_471:
	s_or_b32 exec_lo, exec_lo, s1
.LBB100_472:
	s_delay_alu instid0(SALU_CYCLE_1) | instskip(NEXT) | instid1(SALU_CYCLE_1)
	s_or_b32 exec_lo, exec_lo, s0
	s_mov_b32 s0, exec_lo
	v_cmpx_ne_u32_e64 v116, v108
	s_xor_b32 s0, exec_lo, s0
	s_cbranch_execz .LBB100_478
; %bb.473:
	s_mov_b32 s1, exec_lo
	v_cmpx_eq_u32_e32 22, v116
	s_cbranch_execz .LBB100_477
; %bb.474:
	v_cmp_ne_u32_e32 vcc_lo, 22, v108
	s_xor_b32 s12, s16, -1
	s_delay_alu instid0(SALU_CYCLE_1) | instskip(NEXT) | instid1(SALU_CYCLE_1)
	s_and_b32 s13, s12, vcc_lo
	s_and_saveexec_b32 s12, s13
	s_cbranch_execz .LBB100_476
; %bb.475:
	v_ashrrev_i32_e32 v109, 31, v108
	s_delay_alu instid0(VALU_DEP_1)
	v_lshl_add_u64 v[116:117], v[108:109], 2, v[4:5]
	s_clause 0x1
	global_load_b32 v109, v[116:117], off
	global_load_b32 v115, v[4:5], off offset:88
	s_wait_loadcnt 0x1
	global_store_b32 v[4:5], v109, off offset:88
	s_wait_loadcnt 0x0
	global_store_b32 v[116:117], v115, off
.LBB100_476:
	s_wait_xcnt 0x0
	s_or_b32 exec_lo, exec_lo, s12
	v_dual_mov_b32 v116, v108 :: v_dual_mov_b32 v115, v108
.LBB100_477:
	s_or_b32 exec_lo, exec_lo, s1
.LBB100_478:
	s_and_not1_saveexec_b32 s0, s0
	s_cbranch_execz .LBB100_480
; %bb.479:
	v_mov_b32_e32 v116, 22
	ds_store_2addr_b64 v112, v[30:31], v[62:63] offset0:23 offset1:24
	ds_store_2addr_b64 v112, v[60:61], v[40:41] offset0:25 offset1:26
	;; [unrolled: 1-line block ×14, first 2 shown]
.LBB100_480:
	s_or_b32 exec_lo, exec_lo, s0
	s_delay_alu instid0(SALU_CYCLE_1)
	s_mov_b32 s0, exec_lo
	s_wait_storecnt_dscnt 0x0
	s_barrier_signal -1
	s_barrier_wait -1
	v_cmpx_lt_i32_e32 22, v116
	s_cbranch_execz .LBB100_482
; %bb.481:
	v_pk_mul_f32 v[118:119], v[110:111], v[32:33] op_sel:[1,1] op_sel_hi:[0,1]
	s_delay_alu instid0(VALU_DEP_1)
	v_pk_fma_f32 v[108:109], v[110:111], v[32:33], v[118:119] op_sel_hi:[1,0,1] neg_lo:[0,0,1] neg_hi:[0,0,1]
	v_pk_fma_f32 v[110:111], v[110:111], v[32:33], v[118:119] op_sel_hi:[1,0,1]
	ds_load_2addr_b64 v[118:121], v112 offset0:23 offset1:24
	v_dual_mov_b32 v32, v108 :: v_dual_mov_b32 v33, v111
	s_wait_dscnt 0x0
	v_pk_mul_f32 v[122:123], v[118:119], v[110:111] op_sel:[0,1]
	s_delay_alu instid0(VALU_DEP_1) | instskip(SKIP_1) | instid1(VALU_DEP_1)
	v_pk_fma_f32 v[124:125], v[118:119], v[108:109], v[122:123] op_sel:[0,0,1] op_sel_hi:[1,1,0] neg_lo:[0,0,1] neg_hi:[0,0,1]
	v_pk_fma_f32 v[118:119], v[118:119], v[108:109], v[122:123] op_sel:[0,0,1] op_sel_hi:[1,0,0]
	v_mov_b32_e32 v125, v119
	v_pk_mul_f32 v[118:119], v[120:121], v[110:111] op_sel:[0,1]
	s_delay_alu instid0(VALU_DEP_1) | instskip(SKIP_1) | instid1(VALU_DEP_1)
	v_pk_fma_f32 v[122:123], v[120:121], v[108:109], v[118:119] op_sel:[0,0,1] op_sel_hi:[1,1,0] neg_lo:[0,0,1] neg_hi:[0,0,1]
	v_pk_fma_f32 v[118:119], v[120:121], v[108:109], v[118:119] op_sel:[0,0,1] op_sel_hi:[1,0,0]
	v_mov_b32_e32 v123, v119
	ds_load_2addr_b64 v[118:121], v112 offset0:25 offset1:26
	v_pk_add_f32 v[30:31], v[30:31], v[124:125] neg_lo:[0,1] neg_hi:[0,1]
	v_pk_add_f32 v[62:63], v[62:63], v[122:123] neg_lo:[0,1] neg_hi:[0,1]
	s_wait_dscnt 0x0
	v_pk_mul_f32 v[122:123], v[118:119], v[110:111] op_sel:[0,1]
	s_delay_alu instid0(VALU_DEP_1) | instskip(SKIP_2) | instid1(VALU_DEP_2)
	v_pk_fma_f32 v[124:125], v[118:119], v[108:109], v[122:123] op_sel:[0,0,1] op_sel_hi:[1,1,0] neg_lo:[0,0,1] neg_hi:[0,0,1]
	v_pk_fma_f32 v[118:119], v[118:119], v[108:109], v[122:123] op_sel:[0,0,1] op_sel_hi:[1,0,0]
	v_dual_mul_f32 v122, v121, v111 :: v_dual_mov_b32 v118, v121
	v_dual_mov_b32 v125, v119 :: v_dual_mov_b32 v119, v120
	s_delay_alu instid0(VALU_DEP_2) | instskip(SKIP_1) | instid1(VALU_DEP_3)
	v_pk_fma_f32 v[122:123], v[120:121], v[32:33], v[122:123] op_sel_hi:[1,1,0] neg_lo:[0,0,1] neg_hi:[0,0,1]
	v_mul_f32_e32 v120, v121, v108
	v_pk_add_f32 v[60:61], v[60:61], v[124:125] neg_lo:[0,1] neg_hi:[0,1]
	s_delay_alu instid0(VALU_DEP_2) | instskip(NEXT) | instid1(VALU_DEP_1)
	v_pk_fma_f32 v[118:119], v[118:119], v[32:33], v[120:121] op_sel_hi:[1,1,0]
	v_mov_b32_e32 v123, v119
	ds_load_2addr_b64 v[118:121], v112 offset0:27 offset1:28
	v_pk_add_f32 v[40:41], v[40:41], v[122:123] neg_lo:[0,1] neg_hi:[0,1]
	s_wait_dscnt 0x0
	v_pk_mul_f32 v[122:123], v[118:119], v[110:111] op_sel:[0,1]
	s_delay_alu instid0(VALU_DEP_1) | instskip(SKIP_1) | instid1(VALU_DEP_1)
	v_pk_fma_f32 v[124:125], v[118:119], v[108:109], v[122:123] op_sel:[0,0,1] op_sel_hi:[1,1,0] neg_lo:[0,0,1] neg_hi:[0,0,1]
	v_pk_fma_f32 v[118:119], v[118:119], v[108:109], v[122:123] op_sel:[0,0,1] op_sel_hi:[1,0,0]
	v_mov_b32_e32 v125, v119
	v_pk_mul_f32 v[118:119], v[120:121], v[110:111] op_sel:[0,1]
	s_delay_alu instid0(VALU_DEP_1) | instskip(SKIP_1) | instid1(VALU_DEP_1)
	v_pk_fma_f32 v[122:123], v[120:121], v[108:109], v[118:119] op_sel:[0,0,1] op_sel_hi:[1,1,0] neg_lo:[0,0,1] neg_hi:[0,0,1]
	v_pk_fma_f32 v[118:119], v[120:121], v[108:109], v[118:119] op_sel:[0,0,1] op_sel_hi:[1,0,0]
	v_mov_b32_e32 v123, v119
	ds_load_2addr_b64 v[118:121], v112 offset0:29 offset1:30
	v_pk_add_f32 v[38:39], v[38:39], v[124:125] neg_lo:[0,1] neg_hi:[0,1]
	v_pk_add_f32 v[70:71], v[70:71], v[122:123] neg_lo:[0,1] neg_hi:[0,1]
	s_wait_dscnt 0x0
	v_pk_mul_f32 v[122:123], v[118:119], v[110:111] op_sel:[0,1]
	s_delay_alu instid0(VALU_DEP_1) | instskip(SKIP_1) | instid1(VALU_DEP_1)
	v_pk_fma_f32 v[124:125], v[118:119], v[108:109], v[122:123] op_sel:[0,0,1] op_sel_hi:[1,1,0] neg_lo:[0,0,1] neg_hi:[0,0,1]
	v_pk_fma_f32 v[118:119], v[118:119], v[108:109], v[122:123] op_sel:[0,0,1] op_sel_hi:[1,0,0]
	v_mov_b32_e32 v125, v119
	v_pk_mul_f32 v[118:119], v[120:121], v[110:111] op_sel:[0,1]
	s_delay_alu instid0(VALU_DEP_1) | instskip(SKIP_1) | instid1(VALU_DEP_1)
	v_pk_fma_f32 v[122:123], v[120:121], v[108:109], v[118:119] op_sel:[0,0,1] op_sel_hi:[1,1,0] neg_lo:[0,0,1] neg_hi:[0,0,1]
	v_pk_fma_f32 v[118:119], v[120:121], v[108:109], v[118:119] op_sel:[0,0,1] op_sel_hi:[1,0,0]
	v_mov_b32_e32 v123, v119
	ds_load_2addr_b64 v[118:121], v112 offset0:31 offset1:32
	v_pk_add_f32 v[68:69], v[68:69], v[124:125] neg_lo:[0,1] neg_hi:[0,1]
	v_pk_add_f32 v[48:49], v[48:49], v[122:123] neg_lo:[0,1] neg_hi:[0,1]
	s_wait_dscnt 0x0
	v_dual_mul_f32 v122, v119, v111 :: v_dual_mul_f32 v124, v119, v108
	s_delay_alu instid0(VALU_DEP_1) | instskip(NEXT) | instid1(VALU_DEP_2)
	v_pk_fma_f32 v[122:123], v[118:119], v[32:33], v[122:123] op_sel_hi:[1,1,0] neg_lo:[0,0,1] neg_hi:[0,0,1]
	v_pk_fma_f32 v[118:119], v[118:119], v[32:33], v[124:125] op_sel:[1,0,0] op_sel_hi:[0,1,0]
	s_delay_alu instid0(VALU_DEP_1) | instskip(SKIP_1) | instid1(VALU_DEP_2)
	v_mov_b32_e32 v123, v119
	v_pk_mul_f32 v[118:119], v[120:121], v[110:111] op_sel:[0,1]
	v_pk_add_f32 v[46:47], v[46:47], v[122:123] neg_lo:[0,1] neg_hi:[0,1]
	s_delay_alu instid0(VALU_DEP_2) | instskip(SKIP_1) | instid1(VALU_DEP_1)
	v_pk_fma_f32 v[122:123], v[120:121], v[108:109], v[118:119] op_sel:[0,0,1] op_sel_hi:[1,1,0] neg_lo:[0,0,1] neg_hi:[0,0,1]
	v_pk_fma_f32 v[118:119], v[120:121], v[108:109], v[118:119] op_sel:[0,0,1] op_sel_hi:[1,0,0]
	v_mov_b32_e32 v123, v119
	ds_load_2addr_b64 v[118:121], v112 offset0:33 offset1:34
	v_pk_add_f32 v[84:85], v[84:85], v[122:123] neg_lo:[0,1] neg_hi:[0,1]
	s_wait_dscnt 0x0
	v_pk_mul_f32 v[122:123], v[118:119], v[110:111] op_sel:[0,1]
	s_delay_alu instid0(VALU_DEP_1) | instskip(SKIP_1) | instid1(VALU_DEP_1)
	v_pk_fma_f32 v[124:125], v[118:119], v[108:109], v[122:123] op_sel:[0,0,1] op_sel_hi:[1,1,0] neg_lo:[0,0,1] neg_hi:[0,0,1]
	v_pk_fma_f32 v[118:119], v[118:119], v[108:109], v[122:123] op_sel:[0,0,1] op_sel_hi:[1,0,0]
	v_mov_b32_e32 v125, v119
	v_pk_mul_f32 v[118:119], v[120:121], v[110:111] op_sel:[0,1]
	s_delay_alu instid0(VALU_DEP_2) | instskip(NEXT) | instid1(VALU_DEP_2)
	v_pk_add_f32 v[82:83], v[82:83], v[124:125] neg_lo:[0,1] neg_hi:[0,1]
	v_pk_fma_f32 v[122:123], v[120:121], v[108:109], v[118:119] op_sel:[0,0,1] op_sel_hi:[1,1,0] neg_lo:[0,0,1] neg_hi:[0,0,1]
	v_pk_fma_f32 v[118:119], v[120:121], v[108:109], v[118:119] op_sel:[0,0,1] op_sel_hi:[1,0,0]
	s_delay_alu instid0(VALU_DEP_1) | instskip(SKIP_4) | instid1(VALU_DEP_1)
	v_mov_b32_e32 v123, v119
	ds_load_2addr_b64 v[118:121], v112 offset0:35 offset1:36
	v_pk_add_f32 v[56:57], v[56:57], v[122:123] neg_lo:[0,1] neg_hi:[0,1]
	s_wait_dscnt 0x0
	v_pk_mul_f32 v[122:123], v[118:119], v[110:111] op_sel:[0,1]
	v_pk_fma_f32 v[124:125], v[118:119], v[108:109], v[122:123] op_sel:[0,0,1] op_sel_hi:[1,1,0] neg_lo:[0,0,1] neg_hi:[0,0,1]
	v_pk_fma_f32 v[118:119], v[118:119], v[108:109], v[122:123] op_sel:[0,0,1] op_sel_hi:[1,0,0]
	v_dual_mul_f32 v122, v121, v111 :: v_dual_mov_b32 v118, v121
	s_delay_alu instid0(VALU_DEP_2) | instskip(NEXT) | instid1(VALU_DEP_2)
	v_dual_mov_b32 v125, v119 :: v_dual_mov_b32 v119, v120
	v_pk_fma_f32 v[122:123], v[120:121], v[32:33], v[122:123] op_sel_hi:[1,1,0] neg_lo:[0,0,1] neg_hi:[0,0,1]
	v_mul_f32_e32 v120, v121, v108
	s_delay_alu instid0(VALU_DEP_3) | instskip(NEXT) | instid1(VALU_DEP_2)
	v_pk_add_f32 v[54:55], v[54:55], v[124:125] neg_lo:[0,1] neg_hi:[0,1]
	v_pk_fma_f32 v[118:119], v[118:119], v[32:33], v[120:121] op_sel_hi:[1,1,0]
	s_delay_alu instid0(VALU_DEP_1) | instskip(SKIP_4) | instid1(VALU_DEP_1)
	v_mov_b32_e32 v123, v119
	ds_load_2addr_b64 v[118:121], v112 offset0:37 offset1:38
	v_pk_add_f32 v[94:95], v[94:95], v[122:123] neg_lo:[0,1] neg_hi:[0,1]
	s_wait_dscnt 0x0
	v_pk_mul_f32 v[122:123], v[118:119], v[110:111] op_sel:[0,1]
	v_pk_fma_f32 v[124:125], v[118:119], v[108:109], v[122:123] op_sel:[0,0,1] op_sel_hi:[1,1,0] neg_lo:[0,0,1] neg_hi:[0,0,1]
	v_pk_fma_f32 v[118:119], v[118:119], v[108:109], v[122:123] op_sel:[0,0,1] op_sel_hi:[1,0,0]
	s_delay_alu instid0(VALU_DEP_1) | instskip(SKIP_1) | instid1(VALU_DEP_1)
	v_mov_b32_e32 v125, v119
	v_pk_mul_f32 v[118:119], v[120:121], v[110:111] op_sel:[0,1]
	v_pk_fma_f32 v[122:123], v[120:121], v[108:109], v[118:119] op_sel:[0,0,1] op_sel_hi:[1,1,0] neg_lo:[0,0,1] neg_hi:[0,0,1]
	v_pk_fma_f32 v[118:119], v[120:121], v[108:109], v[118:119] op_sel:[0,0,1] op_sel_hi:[1,0,0]
	s_delay_alu instid0(VALU_DEP_1)
	v_mov_b32_e32 v123, v119
	ds_load_2addr_b64 v[118:121], v112 offset0:39 offset1:40
	v_pk_add_f32 v[92:93], v[92:93], v[124:125] neg_lo:[0,1] neg_hi:[0,1]
	v_pk_add_f32 v[66:67], v[66:67], v[122:123] neg_lo:[0,1] neg_hi:[0,1]
	s_wait_dscnt 0x0
	v_pk_mul_f32 v[122:123], v[118:119], v[110:111] op_sel:[0,1]
	s_delay_alu instid0(VALU_DEP_1) | instskip(SKIP_1) | instid1(VALU_DEP_1)
	v_pk_fma_f32 v[124:125], v[118:119], v[108:109], v[122:123] op_sel:[0,0,1] op_sel_hi:[1,1,0] neg_lo:[0,0,1] neg_hi:[0,0,1]
	v_pk_fma_f32 v[118:119], v[118:119], v[108:109], v[122:123] op_sel:[0,0,1] op_sel_hi:[1,0,0]
	v_mov_b32_e32 v125, v119
	v_pk_mul_f32 v[118:119], v[120:121], v[110:111] op_sel:[0,1]
	s_delay_alu instid0(VALU_DEP_1) | instskip(SKIP_1) | instid1(VALU_DEP_1)
	v_pk_fma_f32 v[122:123], v[120:121], v[108:109], v[118:119] op_sel:[0,0,1] op_sel_hi:[1,1,0] neg_lo:[0,0,1] neg_hi:[0,0,1]
	v_pk_fma_f32 v[118:119], v[120:121], v[108:109], v[118:119] op_sel:[0,0,1] op_sel_hi:[1,0,0]
	v_mov_b32_e32 v123, v119
	ds_load_2addr_b64 v[118:121], v112 offset0:41 offset1:42
	v_pk_add_f32 v[64:65], v[64:65], v[124:125] neg_lo:[0,1] neg_hi:[0,1]
	v_pk_add_f32 v[104:105], v[104:105], v[122:123] neg_lo:[0,1] neg_hi:[0,1]
	s_wait_dscnt 0x0
	v_dual_mul_f32 v122, v119, v111 :: v_dual_mul_f32 v124, v119, v108
	s_delay_alu instid0(VALU_DEP_1) | instskip(NEXT) | instid1(VALU_DEP_2)
	v_pk_fma_f32 v[122:123], v[118:119], v[32:33], v[122:123] op_sel_hi:[1,1,0] neg_lo:[0,0,1] neg_hi:[0,0,1]
	v_pk_fma_f32 v[118:119], v[118:119], v[32:33], v[124:125] op_sel:[1,0,0] op_sel_hi:[0,1,0]
	s_delay_alu instid0(VALU_DEP_1) | instskip(SKIP_1) | instid1(VALU_DEP_2)
	v_mov_b32_e32 v123, v119
	v_pk_mul_f32 v[118:119], v[120:121], v[110:111] op_sel:[0,1]
	v_pk_add_f32 v[102:103], v[102:103], v[122:123] neg_lo:[0,1] neg_hi:[0,1]
	s_delay_alu instid0(VALU_DEP_2) | instskip(SKIP_1) | instid1(VALU_DEP_1)
	v_pk_fma_f32 v[122:123], v[120:121], v[108:109], v[118:119] op_sel:[0,0,1] op_sel_hi:[1,1,0] neg_lo:[0,0,1] neg_hi:[0,0,1]
	v_pk_fma_f32 v[118:119], v[120:121], v[108:109], v[118:119] op_sel:[0,0,1] op_sel_hi:[1,0,0]
	v_mov_b32_e32 v123, v119
	ds_load_2addr_b64 v[118:121], v112 offset0:43 offset1:44
	v_pk_add_f32 v[76:77], v[76:77], v[122:123] neg_lo:[0,1] neg_hi:[0,1]
	s_wait_dscnt 0x0
	v_pk_mul_f32 v[122:123], v[118:119], v[110:111] op_sel:[0,1]
	s_delay_alu instid0(VALU_DEP_1) | instskip(SKIP_1) | instid1(VALU_DEP_1)
	v_pk_fma_f32 v[124:125], v[118:119], v[108:109], v[122:123] op_sel:[0,0,1] op_sel_hi:[1,1,0] neg_lo:[0,0,1] neg_hi:[0,0,1]
	v_pk_fma_f32 v[118:119], v[118:119], v[108:109], v[122:123] op_sel:[0,0,1] op_sel_hi:[1,0,0]
	v_mov_b32_e32 v125, v119
	v_pk_mul_f32 v[118:119], v[120:121], v[110:111] op_sel:[0,1]
	s_delay_alu instid0(VALU_DEP_2) | instskip(NEXT) | instid1(VALU_DEP_2)
	v_pk_add_f32 v[74:75], v[74:75], v[124:125] neg_lo:[0,1] neg_hi:[0,1]
	v_pk_fma_f32 v[122:123], v[120:121], v[108:109], v[118:119] op_sel:[0,0,1] op_sel_hi:[1,1,0] neg_lo:[0,0,1] neg_hi:[0,0,1]
	v_pk_fma_f32 v[118:119], v[120:121], v[108:109], v[118:119] op_sel:[0,0,1] op_sel_hi:[1,0,0]
	s_delay_alu instid0(VALU_DEP_1) | instskip(SKIP_4) | instid1(VALU_DEP_1)
	v_mov_b32_e32 v123, v119
	ds_load_2addr_b64 v[118:121], v112 offset0:45 offset1:46
	v_pk_add_f32 v[98:99], v[98:99], v[122:123] neg_lo:[0,1] neg_hi:[0,1]
	s_wait_dscnt 0x0
	v_pk_mul_f32 v[122:123], v[118:119], v[110:111] op_sel:[0,1]
	v_pk_fma_f32 v[124:125], v[118:119], v[108:109], v[122:123] op_sel:[0,0,1] op_sel_hi:[1,1,0] neg_lo:[0,0,1] neg_hi:[0,0,1]
	v_pk_fma_f32 v[118:119], v[118:119], v[108:109], v[122:123] op_sel:[0,0,1] op_sel_hi:[1,0,0]
	v_dual_mul_f32 v122, v121, v111 :: v_dual_mov_b32 v118, v121
	s_delay_alu instid0(VALU_DEP_2) | instskip(NEXT) | instid1(VALU_DEP_2)
	v_dual_mov_b32 v125, v119 :: v_dual_mov_b32 v119, v120
	v_pk_fma_f32 v[122:123], v[120:121], v[32:33], v[122:123] op_sel_hi:[1,1,0] neg_lo:[0,0,1] neg_hi:[0,0,1]
	v_mul_f32_e32 v120, v121, v108
	s_delay_alu instid0(VALU_DEP_3) | instskip(NEXT) | instid1(VALU_DEP_2)
	v_pk_add_f32 v[96:97], v[96:97], v[124:125] neg_lo:[0,1] neg_hi:[0,1]
	v_pk_fma_f32 v[118:119], v[118:119], v[32:33], v[120:121] op_sel_hi:[1,1,0]
	s_delay_alu instid0(VALU_DEP_1) | instskip(SKIP_4) | instid1(VALU_DEP_1)
	v_mov_b32_e32 v123, v119
	ds_load_2addr_b64 v[118:121], v112 offset0:47 offset1:48
	v_pk_add_f32 v[80:81], v[80:81], v[122:123] neg_lo:[0,1] neg_hi:[0,1]
	s_wait_dscnt 0x0
	v_pk_mul_f32 v[122:123], v[118:119], v[110:111] op_sel:[0,1]
	v_pk_fma_f32 v[124:125], v[118:119], v[108:109], v[122:123] op_sel:[0,0,1] op_sel_hi:[1,1,0] neg_lo:[0,0,1] neg_hi:[0,0,1]
	v_pk_fma_f32 v[118:119], v[118:119], v[108:109], v[122:123] op_sel:[0,0,1] op_sel_hi:[1,0,0]
	s_delay_alu instid0(VALU_DEP_1) | instskip(SKIP_1) | instid1(VALU_DEP_1)
	v_mov_b32_e32 v125, v119
	v_pk_mul_f32 v[118:119], v[120:121], v[110:111] op_sel:[0,1]
	v_pk_fma_f32 v[122:123], v[120:121], v[108:109], v[118:119] op_sel:[0,0,1] op_sel_hi:[1,1,0] neg_lo:[0,0,1] neg_hi:[0,0,1]
	v_pk_fma_f32 v[118:119], v[120:121], v[108:109], v[118:119] op_sel:[0,0,1] op_sel_hi:[1,0,0]
	s_delay_alu instid0(VALU_DEP_1)
	v_mov_b32_e32 v123, v119
	ds_load_2addr_b64 v[118:121], v112 offset0:49 offset1:50
	v_pk_add_f32 v[78:79], v[78:79], v[124:125] neg_lo:[0,1] neg_hi:[0,1]
	v_pk_add_f32 v[88:89], v[88:89], v[122:123] neg_lo:[0,1] neg_hi:[0,1]
	s_wait_dscnt 0x0
	v_pk_mul_f32 v[122:123], v[118:119], v[110:111] op_sel:[0,1]
	v_pk_mul_f32 v[110:111], v[120:121], v[110:111] op_sel:[0,1]
	s_delay_alu instid0(VALU_DEP_2) | instskip(SKIP_1) | instid1(VALU_DEP_1)
	v_pk_fma_f32 v[124:125], v[118:119], v[108:109], v[122:123] op_sel:[0,0,1] op_sel_hi:[1,1,0] neg_lo:[0,0,1] neg_hi:[0,0,1]
	v_pk_fma_f32 v[118:119], v[118:119], v[108:109], v[122:123] op_sel:[0,0,1] op_sel_hi:[1,0,0]
	v_mov_b32_e32 v125, v119
	s_delay_alu instid0(VALU_DEP_4) | instskip(SKIP_1) | instid1(VALU_DEP_1)
	v_pk_fma_f32 v[118:119], v[120:121], v[108:109], v[110:111] op_sel:[0,0,1] op_sel_hi:[1,1,0] neg_lo:[0,0,1] neg_hi:[0,0,1]
	v_pk_fma_f32 v[108:109], v[120:121], v[108:109], v[110:111] op_sel:[0,0,1] op_sel_hi:[1,0,0]
	v_mov_b32_e32 v119, v109
	s_delay_alu instid0(VALU_DEP_4) | instskip(NEXT) | instid1(VALU_DEP_2)
	v_pk_add_f32 v[86:87], v[86:87], v[124:125] neg_lo:[0,1] neg_hi:[0,1]
	v_pk_add_f32 v[106:107], v[106:107], v[118:119] neg_lo:[0,1] neg_hi:[0,1]
.LBB100_482:
	s_or_b32 exec_lo, exec_lo, s0
	v_lshl_add_u32 v108, v116, 3, v112
	s_barrier_signal -1
	s_barrier_wait -1
	ds_store_b64 v108, v[30:31]
	s_wait_dscnt 0x0
	s_barrier_signal -1
	s_barrier_wait -1
	ds_load_b64 v[110:111], v112 offset:184
	v_mov_b32_e32 v108, 23
	s_cmp_lt_i32 s18, 25
	s_cbranch_scc1 .LBB100_485
; %bb.483:
	v_add3_u32 v109, v113, 0, 0xc0
	v_mov_b32_e32 v108, 23
	s_mov_b32 s0, 24
.LBB100_484:                            ; =>This Inner Loop Header: Depth=1
	ds_load_b64 v[118:119], v109
	s_wait_dscnt 0x1
	v_cmp_gt_f32_e32 vcc_lo, 0, v110
	v_cndmask_b32_e64 v120, v110, -v110, vcc_lo
	v_cmp_gt_f32_e32 vcc_lo, 0, v111
	v_cndmask_b32_e64 v122, v111, -v111, vcc_lo
	s_wait_dscnt 0x0
	v_cmp_gt_f32_e32 vcc_lo, 0, v118
	v_cndmask_b32_e64 v121, v118, -v118, vcc_lo
	v_cmp_gt_f32_e32 vcc_lo, 0, v119
	v_cndmask_b32_e64 v123, v119, -v119, vcc_lo
	s_delay_alu instid0(VALU_DEP_1) | instskip(NEXT) | instid1(VALU_DEP_1)
	v_pk_add_f32 v[120:121], v[120:121], v[122:123]
	v_cmp_lt_f32_e32 vcc_lo, v120, v121
	v_dual_add_nc_u32 v109, 8, v109 :: v_dual_cndmask_b32 v111, v111, v119, vcc_lo
	v_cndmask_b32_e32 v110, v110, v118, vcc_lo
	v_cndmask_b32_e64 v108, v108, s0, vcc_lo
	s_add_co_i32 s0, s0, 1
	s_delay_alu instid0(SALU_CYCLE_1)
	s_cmp_lg_u32 s18, s0
	s_cbranch_scc1 .LBB100_484
.LBB100_485:
	s_wait_dscnt 0x0
	v_cmp_eq_f32_e32 vcc_lo, 0, v110
	v_cmp_eq_f32_e64 s0, 0, v111
	s_and_b32 s0, vcc_lo, s0
	s_delay_alu instid0(SALU_CYCLE_1) | instskip(NEXT) | instid1(SALU_CYCLE_1)
	s_and_saveexec_b32 s1, s0
	s_xor_b32 s0, exec_lo, s1
; %bb.486:
	v_cmp_ne_u32_e32 vcc_lo, 0, v114
	v_cndmask_b32_e32 v114, 24, v114, vcc_lo
; %bb.487:
	s_and_not1_saveexec_b32 s0, s0
	s_cbranch_execz .LBB100_493
; %bb.488:
	v_cmp_ngt_f32_e64 s1, |v110|, |v111|
	s_and_saveexec_b32 s12, s1
	s_delay_alu instid0(SALU_CYCLE_1)
	s_xor_b32 s1, exec_lo, s12
	s_cbranch_execz .LBB100_490
; %bb.489:
	v_div_scale_f32 v109, null, v111, v111, v110
	v_div_scale_f32 v119, vcc_lo, v110, v111, v110
	s_delay_alu instid0(VALU_DEP_2) | instskip(SKIP_1) | instid1(TRANS32_DEP_1)
	v_rcp_f32_e32 v117, v109
	v_nop
	v_fma_f32 v118, -v109, v117, 1.0
	s_delay_alu instid0(VALU_DEP_1) | instskip(NEXT) | instid1(VALU_DEP_1)
	v_fmac_f32_e32 v117, v118, v117
	v_mul_f32_e32 v118, v119, v117
	s_delay_alu instid0(VALU_DEP_1) | instskip(NEXT) | instid1(VALU_DEP_1)
	v_fma_f32 v120, -v109, v118, v119
	v_fmac_f32_e32 v118, v120, v117
	s_delay_alu instid0(VALU_DEP_1) | instskip(NEXT) | instid1(VALU_DEP_1)
	v_fma_f32 v109, -v109, v118, v119
	v_div_fmas_f32 v109, v109, v117, v118
	s_delay_alu instid0(VALU_DEP_1) | instskip(NEXT) | instid1(VALU_DEP_1)
	v_div_fixup_f32 v109, v109, v111, v110
	v_fmac_f32_e32 v111, v110, v109
	s_delay_alu instid0(VALU_DEP_1) | instskip(SKIP_1) | instid1(VALU_DEP_2)
	v_div_scale_f32 v110, null, v111, v111, 1.0
	v_div_scale_f32 v119, vcc_lo, 1.0, v111, 1.0
	v_rcp_f32_e32 v117, v110
	v_nop
	s_delay_alu instid0(TRANS32_DEP_1) | instskip(NEXT) | instid1(VALU_DEP_1)
	v_fma_f32 v118, -v110, v117, 1.0
	v_fmac_f32_e32 v117, v118, v117
	s_delay_alu instid0(VALU_DEP_1) | instskip(NEXT) | instid1(VALU_DEP_1)
	v_mul_f32_e32 v118, v119, v117
	v_fma_f32 v120, -v110, v118, v119
	s_delay_alu instid0(VALU_DEP_1) | instskip(NEXT) | instid1(VALU_DEP_1)
	v_fmac_f32_e32 v118, v120, v117
	v_fma_f32 v110, -v110, v118, v119
	s_delay_alu instid0(VALU_DEP_1) | instskip(NEXT) | instid1(VALU_DEP_1)
	v_div_fmas_f32 v110, v110, v117, v118
	v_div_fixup_f32 v111, v110, v111, 1.0
	s_delay_alu instid0(VALU_DEP_1)
	v_mul_f32_e32 v110, v109, v111
	v_xor_b32_e32 v111, 0x80000000, v111
.LBB100_490:
	s_and_not1_saveexec_b32 s1, s1
	s_cbranch_execz .LBB100_492
; %bb.491:
	s_delay_alu instid0(VALU_DEP_1) | instskip(SKIP_1) | instid1(VALU_DEP_2)
	v_div_scale_f32 v109, null, v110, v110, v111
	v_div_scale_f32 v119, vcc_lo, v111, v110, v111
	v_rcp_f32_e32 v117, v109
	v_nop
	s_delay_alu instid0(TRANS32_DEP_1) | instskip(NEXT) | instid1(VALU_DEP_1)
	v_fma_f32 v118, -v109, v117, 1.0
	v_fmac_f32_e32 v117, v118, v117
	s_delay_alu instid0(VALU_DEP_1) | instskip(NEXT) | instid1(VALU_DEP_1)
	v_mul_f32_e32 v118, v119, v117
	v_fma_f32 v120, -v109, v118, v119
	s_delay_alu instid0(VALU_DEP_1) | instskip(NEXT) | instid1(VALU_DEP_1)
	v_fmac_f32_e32 v118, v120, v117
	v_fma_f32 v109, -v109, v118, v119
	s_delay_alu instid0(VALU_DEP_1) | instskip(NEXT) | instid1(VALU_DEP_1)
	v_div_fmas_f32 v109, v109, v117, v118
	v_div_fixup_f32 v109, v109, v110, v111
	s_delay_alu instid0(VALU_DEP_1) | instskip(NEXT) | instid1(VALU_DEP_1)
	v_fmac_f32_e32 v110, v111, v109
	v_div_scale_f32 v111, null, v110, v110, 1.0
	s_delay_alu instid0(VALU_DEP_1) | instskip(SKIP_1) | instid1(TRANS32_DEP_1)
	v_rcp_f32_e32 v117, v111
	v_nop
	v_fma_f32 v118, -v111, v117, 1.0
	s_delay_alu instid0(VALU_DEP_1) | instskip(SKIP_1) | instid1(VALU_DEP_1)
	v_fmac_f32_e32 v117, v118, v117
	v_div_scale_f32 v118, vcc_lo, 1.0, v110, 1.0
	v_mul_f32_e32 v119, v118, v117
	s_delay_alu instid0(VALU_DEP_1) | instskip(NEXT) | instid1(VALU_DEP_1)
	v_fma_f32 v120, -v111, v119, v118
	v_fmac_f32_e32 v119, v120, v117
	s_delay_alu instid0(VALU_DEP_1) | instskip(NEXT) | instid1(VALU_DEP_1)
	v_fma_f32 v111, -v111, v119, v118
	v_div_fmas_f32 v111, v111, v117, v119
	s_delay_alu instid0(VALU_DEP_1) | instskip(NEXT) | instid1(VALU_DEP_1)
	v_div_fixup_f32 v110, v111, v110, 1.0
	v_mul_f32_e64 v111, v109, -v110
.LBB100_492:
	s_or_b32 exec_lo, exec_lo, s1
.LBB100_493:
	s_delay_alu instid0(SALU_CYCLE_1) | instskip(NEXT) | instid1(SALU_CYCLE_1)
	s_or_b32 exec_lo, exec_lo, s0
	s_mov_b32 s0, exec_lo
	v_cmpx_ne_u32_e64 v116, v108
	s_xor_b32 s0, exec_lo, s0
	s_cbranch_execz .LBB100_499
; %bb.494:
	s_mov_b32 s1, exec_lo
	v_cmpx_eq_u32_e32 23, v116
	s_cbranch_execz .LBB100_498
; %bb.495:
	v_cmp_ne_u32_e32 vcc_lo, 23, v108
	s_xor_b32 s12, s16, -1
	s_delay_alu instid0(SALU_CYCLE_1) | instskip(NEXT) | instid1(SALU_CYCLE_1)
	s_and_b32 s13, s12, vcc_lo
	s_and_saveexec_b32 s12, s13
	s_cbranch_execz .LBB100_497
; %bb.496:
	v_ashrrev_i32_e32 v109, 31, v108
	s_delay_alu instid0(VALU_DEP_1)
	v_lshl_add_u64 v[116:117], v[108:109], 2, v[4:5]
	s_clause 0x1
	global_load_b32 v109, v[116:117], off
	global_load_b32 v115, v[4:5], off offset:92
	s_wait_loadcnt 0x1
	global_store_b32 v[4:5], v109, off offset:92
	s_wait_loadcnt 0x0
	global_store_b32 v[116:117], v115, off
.LBB100_497:
	s_wait_xcnt 0x0
	s_or_b32 exec_lo, exec_lo, s12
	v_dual_mov_b32 v116, v108 :: v_dual_mov_b32 v115, v108
.LBB100_498:
	s_or_b32 exec_lo, exec_lo, s1
.LBB100_499:
	s_and_not1_saveexec_b32 s0, s0
	s_cbranch_execz .LBB100_501
; %bb.500:
	v_dual_mov_b32 v108, v62 :: v_dual_mov_b32 v109, v63
	v_dual_mov_b32 v116, v60 :: v_dual_mov_b32 v117, v61
	ds_store_2addr_b64 v112, v[108:109], v[116:117] offset0:24 offset1:25
	v_dual_mov_b32 v108, v40 :: v_dual_mov_b32 v109, v41
	v_dual_mov_b32 v116, v38 :: v_dual_mov_b32 v117, v39
	ds_store_2addr_b64 v112, v[108:109], v[116:117] offset0:26 offset1:27
	;; [unrolled: 3-line block ×13, first 2 shown]
	ds_store_b64 v112, v[106:107] offset:400
	v_mov_b32_e32 v116, 23
.LBB100_501:
	s_or_b32 exec_lo, exec_lo, s0
	s_delay_alu instid0(SALU_CYCLE_1)
	s_mov_b32 s0, exec_lo
	s_wait_storecnt_dscnt 0x0
	s_barrier_signal -1
	s_barrier_wait -1
	v_cmpx_lt_i32_e32 23, v116
	s_cbranch_execz .LBB100_503
; %bb.502:
	v_pk_mul_f32 v[118:119], v[110:111], v[30:31] op_sel:[1,1] op_sel_hi:[0,1]
	s_delay_alu instid0(VALU_DEP_1)
	v_pk_fma_f32 v[108:109], v[110:111], v[30:31], v[118:119] op_sel_hi:[1,0,1] neg_lo:[0,0,1] neg_hi:[0,0,1]
	v_pk_fma_f32 v[110:111], v[110:111], v[30:31], v[118:119] op_sel_hi:[1,0,1]
	ds_load_2addr_b64 v[118:121], v112 offset0:24 offset1:25
	v_dual_mov_b32 v30, v108 :: v_dual_mov_b32 v31, v111
	s_wait_dscnt 0x0
	v_pk_mul_f32 v[122:123], v[118:119], v[110:111] op_sel:[0,1]
	s_delay_alu instid0(VALU_DEP_1) | instskip(SKIP_1) | instid1(VALU_DEP_1)
	v_pk_fma_f32 v[124:125], v[118:119], v[108:109], v[122:123] op_sel:[0,0,1] op_sel_hi:[1,1,0] neg_lo:[0,0,1] neg_hi:[0,0,1]
	v_pk_fma_f32 v[118:119], v[118:119], v[108:109], v[122:123] op_sel:[0,0,1] op_sel_hi:[1,0,0]
	v_mov_b32_e32 v125, v119
	v_pk_mul_f32 v[118:119], v[120:121], v[110:111] op_sel:[0,1]
	s_delay_alu instid0(VALU_DEP_1) | instskip(SKIP_1) | instid1(VALU_DEP_1)
	v_pk_fma_f32 v[122:123], v[120:121], v[108:109], v[118:119] op_sel:[0,0,1] op_sel_hi:[1,1,0] neg_lo:[0,0,1] neg_hi:[0,0,1]
	v_pk_fma_f32 v[118:119], v[120:121], v[108:109], v[118:119] op_sel:[0,0,1] op_sel_hi:[1,0,0]
	v_mov_b32_e32 v123, v119
	ds_load_2addr_b64 v[118:121], v112 offset0:26 offset1:27
	v_pk_add_f32 v[62:63], v[62:63], v[124:125] neg_lo:[0,1] neg_hi:[0,1]
	v_pk_add_f32 v[60:61], v[60:61], v[122:123] neg_lo:[0,1] neg_hi:[0,1]
	s_wait_dscnt 0x0
	v_pk_mul_f32 v[122:123], v[118:119], v[110:111] op_sel:[0,1]
	s_delay_alu instid0(VALU_DEP_1) | instskip(SKIP_2) | instid1(VALU_DEP_2)
	v_pk_fma_f32 v[124:125], v[118:119], v[108:109], v[122:123] op_sel:[0,0,1] op_sel_hi:[1,1,0] neg_lo:[0,0,1] neg_hi:[0,0,1]
	v_pk_fma_f32 v[118:119], v[118:119], v[108:109], v[122:123] op_sel:[0,0,1] op_sel_hi:[1,0,0]
	v_dual_mul_f32 v122, v121, v111 :: v_dual_mov_b32 v118, v121
	v_dual_mov_b32 v125, v119 :: v_dual_mov_b32 v119, v120
	s_delay_alu instid0(VALU_DEP_2) | instskip(SKIP_1) | instid1(VALU_DEP_3)
	v_pk_fma_f32 v[122:123], v[120:121], v[30:31], v[122:123] op_sel_hi:[1,1,0] neg_lo:[0,0,1] neg_hi:[0,0,1]
	v_mul_f32_e32 v120, v121, v108
	v_pk_add_f32 v[40:41], v[40:41], v[124:125] neg_lo:[0,1] neg_hi:[0,1]
	s_delay_alu instid0(VALU_DEP_2) | instskip(NEXT) | instid1(VALU_DEP_1)
	v_pk_fma_f32 v[118:119], v[118:119], v[30:31], v[120:121] op_sel_hi:[1,1,0]
	v_mov_b32_e32 v123, v119
	ds_load_2addr_b64 v[118:121], v112 offset0:28 offset1:29
	v_pk_add_f32 v[38:39], v[38:39], v[122:123] neg_lo:[0,1] neg_hi:[0,1]
	s_wait_dscnt 0x0
	v_pk_mul_f32 v[122:123], v[118:119], v[110:111] op_sel:[0,1]
	s_delay_alu instid0(VALU_DEP_1) | instskip(SKIP_1) | instid1(VALU_DEP_1)
	v_pk_fma_f32 v[124:125], v[118:119], v[108:109], v[122:123] op_sel:[0,0,1] op_sel_hi:[1,1,0] neg_lo:[0,0,1] neg_hi:[0,0,1]
	v_pk_fma_f32 v[118:119], v[118:119], v[108:109], v[122:123] op_sel:[0,0,1] op_sel_hi:[1,0,0]
	v_mov_b32_e32 v125, v119
	v_pk_mul_f32 v[118:119], v[120:121], v[110:111] op_sel:[0,1]
	s_delay_alu instid0(VALU_DEP_1) | instskip(SKIP_1) | instid1(VALU_DEP_1)
	v_pk_fma_f32 v[122:123], v[120:121], v[108:109], v[118:119] op_sel:[0,0,1] op_sel_hi:[1,1,0] neg_lo:[0,0,1] neg_hi:[0,0,1]
	v_pk_fma_f32 v[118:119], v[120:121], v[108:109], v[118:119] op_sel:[0,0,1] op_sel_hi:[1,0,0]
	v_mov_b32_e32 v123, v119
	ds_load_2addr_b64 v[118:121], v112 offset0:30 offset1:31
	v_pk_add_f32 v[70:71], v[70:71], v[124:125] neg_lo:[0,1] neg_hi:[0,1]
	v_pk_add_f32 v[68:69], v[68:69], v[122:123] neg_lo:[0,1] neg_hi:[0,1]
	s_wait_dscnt 0x0
	v_pk_mul_f32 v[122:123], v[118:119], v[110:111] op_sel:[0,1]
	s_delay_alu instid0(VALU_DEP_1) | instskip(SKIP_1) | instid1(VALU_DEP_1)
	v_pk_fma_f32 v[124:125], v[118:119], v[108:109], v[122:123] op_sel:[0,0,1] op_sel_hi:[1,1,0] neg_lo:[0,0,1] neg_hi:[0,0,1]
	v_pk_fma_f32 v[118:119], v[118:119], v[108:109], v[122:123] op_sel:[0,0,1] op_sel_hi:[1,0,0]
	v_mov_b32_e32 v125, v119
	v_pk_mul_f32 v[118:119], v[120:121], v[110:111] op_sel:[0,1]
	s_delay_alu instid0(VALU_DEP_1) | instskip(SKIP_1) | instid1(VALU_DEP_1)
	v_pk_fma_f32 v[122:123], v[120:121], v[108:109], v[118:119] op_sel:[0,0,1] op_sel_hi:[1,1,0] neg_lo:[0,0,1] neg_hi:[0,0,1]
	v_pk_fma_f32 v[118:119], v[120:121], v[108:109], v[118:119] op_sel:[0,0,1] op_sel_hi:[1,0,0]
	v_mov_b32_e32 v123, v119
	ds_load_2addr_b64 v[118:121], v112 offset0:32 offset1:33
	v_pk_add_f32 v[48:49], v[48:49], v[124:125] neg_lo:[0,1] neg_hi:[0,1]
	v_pk_add_f32 v[46:47], v[46:47], v[122:123] neg_lo:[0,1] neg_hi:[0,1]
	s_wait_dscnt 0x0
	v_dual_mul_f32 v122, v119, v111 :: v_dual_mul_f32 v124, v119, v108
	s_delay_alu instid0(VALU_DEP_1) | instskip(NEXT) | instid1(VALU_DEP_2)
	v_pk_fma_f32 v[122:123], v[118:119], v[30:31], v[122:123] op_sel_hi:[1,1,0] neg_lo:[0,0,1] neg_hi:[0,0,1]
	v_pk_fma_f32 v[118:119], v[118:119], v[30:31], v[124:125] op_sel:[1,0,0] op_sel_hi:[0,1,0]
	s_delay_alu instid0(VALU_DEP_1) | instskip(SKIP_1) | instid1(VALU_DEP_2)
	v_mov_b32_e32 v123, v119
	v_pk_mul_f32 v[118:119], v[120:121], v[110:111] op_sel:[0,1]
	v_pk_add_f32 v[84:85], v[84:85], v[122:123] neg_lo:[0,1] neg_hi:[0,1]
	s_delay_alu instid0(VALU_DEP_2) | instskip(SKIP_1) | instid1(VALU_DEP_1)
	v_pk_fma_f32 v[122:123], v[120:121], v[108:109], v[118:119] op_sel:[0,0,1] op_sel_hi:[1,1,0] neg_lo:[0,0,1] neg_hi:[0,0,1]
	v_pk_fma_f32 v[118:119], v[120:121], v[108:109], v[118:119] op_sel:[0,0,1] op_sel_hi:[1,0,0]
	v_mov_b32_e32 v123, v119
	ds_load_2addr_b64 v[118:121], v112 offset0:34 offset1:35
	v_pk_add_f32 v[82:83], v[82:83], v[122:123] neg_lo:[0,1] neg_hi:[0,1]
	s_wait_dscnt 0x0
	v_pk_mul_f32 v[122:123], v[118:119], v[110:111] op_sel:[0,1]
	s_delay_alu instid0(VALU_DEP_1) | instskip(SKIP_1) | instid1(VALU_DEP_1)
	v_pk_fma_f32 v[124:125], v[118:119], v[108:109], v[122:123] op_sel:[0,0,1] op_sel_hi:[1,1,0] neg_lo:[0,0,1] neg_hi:[0,0,1]
	v_pk_fma_f32 v[118:119], v[118:119], v[108:109], v[122:123] op_sel:[0,0,1] op_sel_hi:[1,0,0]
	v_mov_b32_e32 v125, v119
	v_pk_mul_f32 v[118:119], v[120:121], v[110:111] op_sel:[0,1]
	s_delay_alu instid0(VALU_DEP_2) | instskip(NEXT) | instid1(VALU_DEP_2)
	v_pk_add_f32 v[56:57], v[56:57], v[124:125] neg_lo:[0,1] neg_hi:[0,1]
	v_pk_fma_f32 v[122:123], v[120:121], v[108:109], v[118:119] op_sel:[0,0,1] op_sel_hi:[1,1,0] neg_lo:[0,0,1] neg_hi:[0,0,1]
	v_pk_fma_f32 v[118:119], v[120:121], v[108:109], v[118:119] op_sel:[0,0,1] op_sel_hi:[1,0,0]
	s_delay_alu instid0(VALU_DEP_1) | instskip(SKIP_4) | instid1(VALU_DEP_1)
	v_mov_b32_e32 v123, v119
	ds_load_2addr_b64 v[118:121], v112 offset0:36 offset1:37
	v_pk_add_f32 v[54:55], v[54:55], v[122:123] neg_lo:[0,1] neg_hi:[0,1]
	s_wait_dscnt 0x0
	v_pk_mul_f32 v[122:123], v[118:119], v[110:111] op_sel:[0,1]
	v_pk_fma_f32 v[124:125], v[118:119], v[108:109], v[122:123] op_sel:[0,0,1] op_sel_hi:[1,1,0] neg_lo:[0,0,1] neg_hi:[0,0,1]
	v_pk_fma_f32 v[118:119], v[118:119], v[108:109], v[122:123] op_sel:[0,0,1] op_sel_hi:[1,0,0]
	v_dual_mul_f32 v122, v121, v111 :: v_dual_mov_b32 v118, v121
	s_delay_alu instid0(VALU_DEP_2) | instskip(NEXT) | instid1(VALU_DEP_2)
	v_dual_mov_b32 v125, v119 :: v_dual_mov_b32 v119, v120
	v_pk_fma_f32 v[122:123], v[120:121], v[30:31], v[122:123] op_sel_hi:[1,1,0] neg_lo:[0,0,1] neg_hi:[0,0,1]
	v_mul_f32_e32 v120, v121, v108
	s_delay_alu instid0(VALU_DEP_3) | instskip(NEXT) | instid1(VALU_DEP_2)
	v_pk_add_f32 v[94:95], v[94:95], v[124:125] neg_lo:[0,1] neg_hi:[0,1]
	v_pk_fma_f32 v[118:119], v[118:119], v[30:31], v[120:121] op_sel_hi:[1,1,0]
	s_delay_alu instid0(VALU_DEP_1) | instskip(SKIP_4) | instid1(VALU_DEP_1)
	v_mov_b32_e32 v123, v119
	ds_load_2addr_b64 v[118:121], v112 offset0:38 offset1:39
	v_pk_add_f32 v[92:93], v[92:93], v[122:123] neg_lo:[0,1] neg_hi:[0,1]
	s_wait_dscnt 0x0
	v_pk_mul_f32 v[122:123], v[118:119], v[110:111] op_sel:[0,1]
	v_pk_fma_f32 v[124:125], v[118:119], v[108:109], v[122:123] op_sel:[0,0,1] op_sel_hi:[1,1,0] neg_lo:[0,0,1] neg_hi:[0,0,1]
	v_pk_fma_f32 v[118:119], v[118:119], v[108:109], v[122:123] op_sel:[0,0,1] op_sel_hi:[1,0,0]
	s_delay_alu instid0(VALU_DEP_1) | instskip(SKIP_1) | instid1(VALU_DEP_1)
	v_mov_b32_e32 v125, v119
	v_pk_mul_f32 v[118:119], v[120:121], v[110:111] op_sel:[0,1]
	v_pk_fma_f32 v[122:123], v[120:121], v[108:109], v[118:119] op_sel:[0,0,1] op_sel_hi:[1,1,0] neg_lo:[0,0,1] neg_hi:[0,0,1]
	v_pk_fma_f32 v[118:119], v[120:121], v[108:109], v[118:119] op_sel:[0,0,1] op_sel_hi:[1,0,0]
	s_delay_alu instid0(VALU_DEP_1)
	v_mov_b32_e32 v123, v119
	ds_load_2addr_b64 v[118:121], v112 offset0:40 offset1:41
	v_pk_add_f32 v[66:67], v[66:67], v[124:125] neg_lo:[0,1] neg_hi:[0,1]
	v_pk_add_f32 v[64:65], v[64:65], v[122:123] neg_lo:[0,1] neg_hi:[0,1]
	s_wait_dscnt 0x0
	v_pk_mul_f32 v[122:123], v[118:119], v[110:111] op_sel:[0,1]
	s_delay_alu instid0(VALU_DEP_1) | instskip(SKIP_1) | instid1(VALU_DEP_1)
	v_pk_fma_f32 v[124:125], v[118:119], v[108:109], v[122:123] op_sel:[0,0,1] op_sel_hi:[1,1,0] neg_lo:[0,0,1] neg_hi:[0,0,1]
	v_pk_fma_f32 v[118:119], v[118:119], v[108:109], v[122:123] op_sel:[0,0,1] op_sel_hi:[1,0,0]
	v_mov_b32_e32 v125, v119
	v_pk_mul_f32 v[118:119], v[120:121], v[110:111] op_sel:[0,1]
	s_delay_alu instid0(VALU_DEP_1) | instskip(SKIP_1) | instid1(VALU_DEP_1)
	v_pk_fma_f32 v[122:123], v[120:121], v[108:109], v[118:119] op_sel:[0,0,1] op_sel_hi:[1,1,0] neg_lo:[0,0,1] neg_hi:[0,0,1]
	v_pk_fma_f32 v[118:119], v[120:121], v[108:109], v[118:119] op_sel:[0,0,1] op_sel_hi:[1,0,0]
	v_mov_b32_e32 v123, v119
	ds_load_2addr_b64 v[118:121], v112 offset0:42 offset1:43
	v_pk_add_f32 v[104:105], v[104:105], v[124:125] neg_lo:[0,1] neg_hi:[0,1]
	v_pk_add_f32 v[102:103], v[102:103], v[122:123] neg_lo:[0,1] neg_hi:[0,1]
	s_wait_dscnt 0x0
	v_dual_mul_f32 v122, v119, v111 :: v_dual_mul_f32 v124, v119, v108
	s_delay_alu instid0(VALU_DEP_1) | instskip(NEXT) | instid1(VALU_DEP_2)
	v_pk_fma_f32 v[122:123], v[118:119], v[30:31], v[122:123] op_sel_hi:[1,1,0] neg_lo:[0,0,1] neg_hi:[0,0,1]
	v_pk_fma_f32 v[118:119], v[118:119], v[30:31], v[124:125] op_sel:[1,0,0] op_sel_hi:[0,1,0]
	s_delay_alu instid0(VALU_DEP_1) | instskip(SKIP_1) | instid1(VALU_DEP_2)
	v_mov_b32_e32 v123, v119
	v_pk_mul_f32 v[118:119], v[120:121], v[110:111] op_sel:[0,1]
	v_pk_add_f32 v[76:77], v[76:77], v[122:123] neg_lo:[0,1] neg_hi:[0,1]
	s_delay_alu instid0(VALU_DEP_2) | instskip(SKIP_1) | instid1(VALU_DEP_1)
	v_pk_fma_f32 v[122:123], v[120:121], v[108:109], v[118:119] op_sel:[0,0,1] op_sel_hi:[1,1,0] neg_lo:[0,0,1] neg_hi:[0,0,1]
	v_pk_fma_f32 v[118:119], v[120:121], v[108:109], v[118:119] op_sel:[0,0,1] op_sel_hi:[1,0,0]
	v_mov_b32_e32 v123, v119
	ds_load_2addr_b64 v[118:121], v112 offset0:44 offset1:45
	v_pk_add_f32 v[74:75], v[74:75], v[122:123] neg_lo:[0,1] neg_hi:[0,1]
	s_wait_dscnt 0x0
	v_pk_mul_f32 v[122:123], v[118:119], v[110:111] op_sel:[0,1]
	s_delay_alu instid0(VALU_DEP_1) | instskip(SKIP_1) | instid1(VALU_DEP_1)
	v_pk_fma_f32 v[124:125], v[118:119], v[108:109], v[122:123] op_sel:[0,0,1] op_sel_hi:[1,1,0] neg_lo:[0,0,1] neg_hi:[0,0,1]
	v_pk_fma_f32 v[118:119], v[118:119], v[108:109], v[122:123] op_sel:[0,0,1] op_sel_hi:[1,0,0]
	v_mov_b32_e32 v125, v119
	v_pk_mul_f32 v[118:119], v[120:121], v[110:111] op_sel:[0,1]
	s_delay_alu instid0(VALU_DEP_2) | instskip(NEXT) | instid1(VALU_DEP_2)
	v_pk_add_f32 v[98:99], v[98:99], v[124:125] neg_lo:[0,1] neg_hi:[0,1]
	v_pk_fma_f32 v[122:123], v[120:121], v[108:109], v[118:119] op_sel:[0,0,1] op_sel_hi:[1,1,0] neg_lo:[0,0,1] neg_hi:[0,0,1]
	v_pk_fma_f32 v[118:119], v[120:121], v[108:109], v[118:119] op_sel:[0,0,1] op_sel_hi:[1,0,0]
	s_delay_alu instid0(VALU_DEP_1) | instskip(SKIP_4) | instid1(VALU_DEP_1)
	v_mov_b32_e32 v123, v119
	ds_load_2addr_b64 v[118:121], v112 offset0:46 offset1:47
	v_pk_add_f32 v[96:97], v[96:97], v[122:123] neg_lo:[0,1] neg_hi:[0,1]
	s_wait_dscnt 0x0
	v_pk_mul_f32 v[122:123], v[118:119], v[110:111] op_sel:[0,1]
	v_pk_fma_f32 v[124:125], v[118:119], v[108:109], v[122:123] op_sel:[0,0,1] op_sel_hi:[1,1,0] neg_lo:[0,0,1] neg_hi:[0,0,1]
	v_pk_fma_f32 v[118:119], v[118:119], v[108:109], v[122:123] op_sel:[0,0,1] op_sel_hi:[1,0,0]
	v_dual_mul_f32 v122, v121, v111 :: v_dual_mov_b32 v118, v121
	s_delay_alu instid0(VALU_DEP_2) | instskip(NEXT) | instid1(VALU_DEP_2)
	v_dual_mov_b32 v125, v119 :: v_dual_mov_b32 v119, v120
	v_pk_fma_f32 v[122:123], v[120:121], v[30:31], v[122:123] op_sel_hi:[1,1,0] neg_lo:[0,0,1] neg_hi:[0,0,1]
	v_mul_f32_e32 v120, v121, v108
	s_delay_alu instid0(VALU_DEP_3) | instskip(NEXT) | instid1(VALU_DEP_2)
	v_pk_add_f32 v[80:81], v[80:81], v[124:125] neg_lo:[0,1] neg_hi:[0,1]
	v_pk_fma_f32 v[118:119], v[118:119], v[30:31], v[120:121] op_sel_hi:[1,1,0]
	s_delay_alu instid0(VALU_DEP_1) | instskip(SKIP_4) | instid1(VALU_DEP_1)
	v_mov_b32_e32 v123, v119
	ds_load_2addr_b64 v[118:121], v112 offset0:48 offset1:49
	v_pk_add_f32 v[78:79], v[78:79], v[122:123] neg_lo:[0,1] neg_hi:[0,1]
	s_wait_dscnt 0x0
	v_pk_mul_f32 v[122:123], v[118:119], v[110:111] op_sel:[0,1]
	v_pk_fma_f32 v[124:125], v[118:119], v[108:109], v[122:123] op_sel:[0,0,1] op_sel_hi:[1,1,0] neg_lo:[0,0,1] neg_hi:[0,0,1]
	v_pk_fma_f32 v[118:119], v[118:119], v[108:109], v[122:123] op_sel:[0,0,1] op_sel_hi:[1,0,0]
	s_delay_alu instid0(VALU_DEP_1) | instskip(SKIP_1) | instid1(VALU_DEP_1)
	v_mov_b32_e32 v125, v119
	v_pk_mul_f32 v[118:119], v[120:121], v[110:111] op_sel:[0,1]
	v_pk_fma_f32 v[122:123], v[120:121], v[108:109], v[118:119] op_sel:[0,0,1] op_sel_hi:[1,1,0] neg_lo:[0,0,1] neg_hi:[0,0,1]
	v_pk_fma_f32 v[118:119], v[120:121], v[108:109], v[118:119] op_sel:[0,0,1] op_sel_hi:[1,0,0]
	s_delay_alu instid0(VALU_DEP_1)
	v_mov_b32_e32 v123, v119
	ds_load_b64 v[118:119], v112 offset:400
	v_pk_add_f32 v[88:89], v[88:89], v[124:125] neg_lo:[0,1] neg_hi:[0,1]
	v_pk_add_f32 v[86:87], v[86:87], v[122:123] neg_lo:[0,1] neg_hi:[0,1]
	s_wait_dscnt 0x0
	v_pk_mul_f32 v[110:111], v[118:119], v[110:111] op_sel:[0,1]
	s_delay_alu instid0(VALU_DEP_1) | instskip(SKIP_1) | instid1(VALU_DEP_1)
	v_pk_fma_f32 v[120:121], v[118:119], v[108:109], v[110:111] op_sel:[0,0,1] op_sel_hi:[1,1,0] neg_lo:[0,0,1] neg_hi:[0,0,1]
	v_pk_fma_f32 v[108:109], v[118:119], v[108:109], v[110:111] op_sel:[0,0,1] op_sel_hi:[1,0,0]
	v_mov_b32_e32 v121, v109
	s_delay_alu instid0(VALU_DEP_1)
	v_pk_add_f32 v[106:107], v[106:107], v[120:121] neg_lo:[0,1] neg_hi:[0,1]
.LBB100_503:
	s_or_b32 exec_lo, exec_lo, s0
	v_lshl_add_u32 v108, v116, 3, v112
	s_barrier_signal -1
	s_barrier_wait -1
	ds_store_b64 v108, v[62:63]
	s_wait_dscnt 0x0
	s_barrier_signal -1
	s_barrier_wait -1
	ds_load_b64 v[110:111], v112 offset:192
	v_mov_b32_e32 v108, 24
	s_cmp_lt_i32 s18, 26
	s_cbranch_scc1 .LBB100_506
; %bb.504:
	v_add3_u32 v109, v113, 0, 0xc8
	v_mov_b32_e32 v108, 24
	s_mov_b32 s0, 25
.LBB100_505:                            ; =>This Inner Loop Header: Depth=1
	ds_load_b64 v[118:119], v109
	s_wait_dscnt 0x1
	v_cmp_gt_f32_e32 vcc_lo, 0, v110
	v_cndmask_b32_e64 v120, v110, -v110, vcc_lo
	v_cmp_gt_f32_e32 vcc_lo, 0, v111
	v_cndmask_b32_e64 v122, v111, -v111, vcc_lo
	s_wait_dscnt 0x0
	v_cmp_gt_f32_e32 vcc_lo, 0, v118
	v_cndmask_b32_e64 v121, v118, -v118, vcc_lo
	v_cmp_gt_f32_e32 vcc_lo, 0, v119
	v_cndmask_b32_e64 v123, v119, -v119, vcc_lo
	s_delay_alu instid0(VALU_DEP_1) | instskip(NEXT) | instid1(VALU_DEP_1)
	v_pk_add_f32 v[120:121], v[120:121], v[122:123]
	v_cmp_lt_f32_e32 vcc_lo, v120, v121
	v_dual_add_nc_u32 v109, 8, v109 :: v_dual_cndmask_b32 v111, v111, v119, vcc_lo
	v_cndmask_b32_e32 v110, v110, v118, vcc_lo
	v_cndmask_b32_e64 v108, v108, s0, vcc_lo
	s_add_co_i32 s0, s0, 1
	s_delay_alu instid0(SALU_CYCLE_1)
	s_cmp_lg_u32 s18, s0
	s_cbranch_scc1 .LBB100_505
.LBB100_506:
	s_wait_dscnt 0x0
	v_cmp_eq_f32_e32 vcc_lo, 0, v110
	v_cmp_eq_f32_e64 s0, 0, v111
	s_and_b32 s0, vcc_lo, s0
	s_delay_alu instid0(SALU_CYCLE_1) | instskip(NEXT) | instid1(SALU_CYCLE_1)
	s_and_saveexec_b32 s1, s0
	s_xor_b32 s0, exec_lo, s1
; %bb.507:
	v_cmp_ne_u32_e32 vcc_lo, 0, v114
	v_cndmask_b32_e32 v114, 25, v114, vcc_lo
; %bb.508:
	s_and_not1_saveexec_b32 s0, s0
	s_cbranch_execz .LBB100_514
; %bb.509:
	v_cmp_ngt_f32_e64 s1, |v110|, |v111|
	s_and_saveexec_b32 s12, s1
	s_delay_alu instid0(SALU_CYCLE_1)
	s_xor_b32 s1, exec_lo, s12
	s_cbranch_execz .LBB100_511
; %bb.510:
	v_div_scale_f32 v109, null, v111, v111, v110
	v_div_scale_f32 v119, vcc_lo, v110, v111, v110
	s_delay_alu instid0(VALU_DEP_2) | instskip(SKIP_1) | instid1(TRANS32_DEP_1)
	v_rcp_f32_e32 v117, v109
	v_nop
	v_fma_f32 v118, -v109, v117, 1.0
	s_delay_alu instid0(VALU_DEP_1) | instskip(NEXT) | instid1(VALU_DEP_1)
	v_fmac_f32_e32 v117, v118, v117
	v_mul_f32_e32 v118, v119, v117
	s_delay_alu instid0(VALU_DEP_1) | instskip(NEXT) | instid1(VALU_DEP_1)
	v_fma_f32 v120, -v109, v118, v119
	v_fmac_f32_e32 v118, v120, v117
	s_delay_alu instid0(VALU_DEP_1) | instskip(NEXT) | instid1(VALU_DEP_1)
	v_fma_f32 v109, -v109, v118, v119
	v_div_fmas_f32 v109, v109, v117, v118
	s_delay_alu instid0(VALU_DEP_1) | instskip(NEXT) | instid1(VALU_DEP_1)
	v_div_fixup_f32 v109, v109, v111, v110
	v_fmac_f32_e32 v111, v110, v109
	s_delay_alu instid0(VALU_DEP_1) | instskip(SKIP_1) | instid1(VALU_DEP_2)
	v_div_scale_f32 v110, null, v111, v111, 1.0
	v_div_scale_f32 v119, vcc_lo, 1.0, v111, 1.0
	v_rcp_f32_e32 v117, v110
	v_nop
	s_delay_alu instid0(TRANS32_DEP_1) | instskip(NEXT) | instid1(VALU_DEP_1)
	v_fma_f32 v118, -v110, v117, 1.0
	v_fmac_f32_e32 v117, v118, v117
	s_delay_alu instid0(VALU_DEP_1) | instskip(NEXT) | instid1(VALU_DEP_1)
	v_mul_f32_e32 v118, v119, v117
	v_fma_f32 v120, -v110, v118, v119
	s_delay_alu instid0(VALU_DEP_1) | instskip(NEXT) | instid1(VALU_DEP_1)
	v_fmac_f32_e32 v118, v120, v117
	v_fma_f32 v110, -v110, v118, v119
	s_delay_alu instid0(VALU_DEP_1) | instskip(NEXT) | instid1(VALU_DEP_1)
	v_div_fmas_f32 v110, v110, v117, v118
	v_div_fixup_f32 v111, v110, v111, 1.0
	s_delay_alu instid0(VALU_DEP_1)
	v_mul_f32_e32 v110, v109, v111
	v_xor_b32_e32 v111, 0x80000000, v111
.LBB100_511:
	s_and_not1_saveexec_b32 s1, s1
	s_cbranch_execz .LBB100_513
; %bb.512:
	s_delay_alu instid0(VALU_DEP_1) | instskip(SKIP_1) | instid1(VALU_DEP_2)
	v_div_scale_f32 v109, null, v110, v110, v111
	v_div_scale_f32 v119, vcc_lo, v111, v110, v111
	v_rcp_f32_e32 v117, v109
	v_nop
	s_delay_alu instid0(TRANS32_DEP_1) | instskip(NEXT) | instid1(VALU_DEP_1)
	v_fma_f32 v118, -v109, v117, 1.0
	v_fmac_f32_e32 v117, v118, v117
	s_delay_alu instid0(VALU_DEP_1) | instskip(NEXT) | instid1(VALU_DEP_1)
	v_mul_f32_e32 v118, v119, v117
	v_fma_f32 v120, -v109, v118, v119
	s_delay_alu instid0(VALU_DEP_1) | instskip(NEXT) | instid1(VALU_DEP_1)
	v_fmac_f32_e32 v118, v120, v117
	v_fma_f32 v109, -v109, v118, v119
	s_delay_alu instid0(VALU_DEP_1) | instskip(NEXT) | instid1(VALU_DEP_1)
	v_div_fmas_f32 v109, v109, v117, v118
	v_div_fixup_f32 v109, v109, v110, v111
	s_delay_alu instid0(VALU_DEP_1) | instskip(NEXT) | instid1(VALU_DEP_1)
	v_fmac_f32_e32 v110, v111, v109
	v_div_scale_f32 v111, null, v110, v110, 1.0
	s_delay_alu instid0(VALU_DEP_1) | instskip(SKIP_1) | instid1(TRANS32_DEP_1)
	v_rcp_f32_e32 v117, v111
	v_nop
	v_fma_f32 v118, -v111, v117, 1.0
	s_delay_alu instid0(VALU_DEP_1) | instskip(SKIP_1) | instid1(VALU_DEP_1)
	v_fmac_f32_e32 v117, v118, v117
	v_div_scale_f32 v118, vcc_lo, 1.0, v110, 1.0
	v_mul_f32_e32 v119, v118, v117
	s_delay_alu instid0(VALU_DEP_1) | instskip(NEXT) | instid1(VALU_DEP_1)
	v_fma_f32 v120, -v111, v119, v118
	v_fmac_f32_e32 v119, v120, v117
	s_delay_alu instid0(VALU_DEP_1) | instskip(NEXT) | instid1(VALU_DEP_1)
	v_fma_f32 v111, -v111, v119, v118
	v_div_fmas_f32 v111, v111, v117, v119
	s_delay_alu instid0(VALU_DEP_1) | instskip(NEXT) | instid1(VALU_DEP_1)
	v_div_fixup_f32 v110, v111, v110, 1.0
	v_mul_f32_e64 v111, v109, -v110
.LBB100_513:
	s_or_b32 exec_lo, exec_lo, s1
.LBB100_514:
	s_delay_alu instid0(SALU_CYCLE_1) | instskip(NEXT) | instid1(SALU_CYCLE_1)
	s_or_b32 exec_lo, exec_lo, s0
	s_mov_b32 s0, exec_lo
	v_cmpx_ne_u32_e64 v116, v108
	s_xor_b32 s0, exec_lo, s0
	s_cbranch_execz .LBB100_520
; %bb.515:
	s_mov_b32 s1, exec_lo
	v_cmpx_eq_u32_e32 24, v116
	s_cbranch_execz .LBB100_519
; %bb.516:
	v_cmp_ne_u32_e32 vcc_lo, 24, v108
	s_xor_b32 s12, s16, -1
	s_delay_alu instid0(SALU_CYCLE_1) | instskip(NEXT) | instid1(SALU_CYCLE_1)
	s_and_b32 s13, s12, vcc_lo
	s_and_saveexec_b32 s12, s13
	s_cbranch_execz .LBB100_518
; %bb.517:
	v_ashrrev_i32_e32 v109, 31, v108
	s_delay_alu instid0(VALU_DEP_1)
	v_lshl_add_u64 v[116:117], v[108:109], 2, v[4:5]
	s_clause 0x1
	global_load_b32 v109, v[116:117], off
	global_load_b32 v115, v[4:5], off offset:96
	s_wait_loadcnt 0x1
	global_store_b32 v[4:5], v109, off offset:96
	s_wait_loadcnt 0x0
	global_store_b32 v[116:117], v115, off
.LBB100_518:
	s_wait_xcnt 0x0
	s_or_b32 exec_lo, exec_lo, s12
	v_dual_mov_b32 v116, v108 :: v_dual_mov_b32 v115, v108
.LBB100_519:
	s_or_b32 exec_lo, exec_lo, s1
.LBB100_520:
	s_and_not1_saveexec_b32 s0, s0
	s_cbranch_execz .LBB100_522
; %bb.521:
	v_mov_b32_e32 v116, 24
	ds_store_2addr_b64 v112, v[60:61], v[40:41] offset0:25 offset1:26
	ds_store_2addr_b64 v112, v[38:39], v[70:71] offset0:27 offset1:28
	ds_store_2addr_b64 v112, v[68:69], v[48:49] offset0:29 offset1:30
	ds_store_2addr_b64 v112, v[46:47], v[84:85] offset0:31 offset1:32
	ds_store_2addr_b64 v112, v[82:83], v[56:57] offset0:33 offset1:34
	ds_store_2addr_b64 v112, v[54:55], v[94:95] offset0:35 offset1:36
	ds_store_2addr_b64 v112, v[92:93], v[66:67] offset0:37 offset1:38
	ds_store_2addr_b64 v112, v[64:65], v[104:105] offset0:39 offset1:40
	ds_store_2addr_b64 v112, v[102:103], v[76:77] offset0:41 offset1:42
	ds_store_2addr_b64 v112, v[74:75], v[98:99] offset0:43 offset1:44
	ds_store_2addr_b64 v112, v[96:97], v[80:81] offset0:45 offset1:46
	ds_store_2addr_b64 v112, v[78:79], v[88:89] offset0:47 offset1:48
	ds_store_2addr_b64 v112, v[86:87], v[106:107] offset0:49 offset1:50
.LBB100_522:
	s_or_b32 exec_lo, exec_lo, s0
	s_delay_alu instid0(SALU_CYCLE_1)
	s_mov_b32 s0, exec_lo
	s_wait_storecnt_dscnt 0x0
	s_barrier_signal -1
	s_barrier_wait -1
	v_cmpx_lt_i32_e32 24, v116
	s_cbranch_execz .LBB100_524
; %bb.523:
	v_pk_mul_f32 v[118:119], v[110:111], v[62:63] op_sel:[1,1] op_sel_hi:[0,1]
	s_delay_alu instid0(VALU_DEP_1)
	v_pk_fma_f32 v[108:109], v[110:111], v[62:63], v[118:119] op_sel_hi:[1,0,1] neg_lo:[0,0,1] neg_hi:[0,0,1]
	v_pk_fma_f32 v[110:111], v[110:111], v[62:63], v[118:119] op_sel_hi:[1,0,1]
	ds_load_2addr_b64 v[118:121], v112 offset0:25 offset1:26
	v_dual_mov_b32 v62, v108 :: v_dual_mov_b32 v63, v111
	s_wait_dscnt 0x0
	v_pk_mul_f32 v[122:123], v[118:119], v[110:111] op_sel:[0,1]
	s_delay_alu instid0(VALU_DEP_1) | instskip(SKIP_1) | instid1(VALU_DEP_1)
	v_pk_fma_f32 v[124:125], v[118:119], v[108:109], v[122:123] op_sel:[0,0,1] op_sel_hi:[1,1,0] neg_lo:[0,0,1] neg_hi:[0,0,1]
	v_pk_fma_f32 v[118:119], v[118:119], v[108:109], v[122:123] op_sel:[0,0,1] op_sel_hi:[1,0,0]
	v_mov_b32_e32 v125, v119
	v_pk_mul_f32 v[118:119], v[120:121], v[110:111] op_sel:[0,1]
	s_delay_alu instid0(VALU_DEP_1) | instskip(SKIP_1) | instid1(VALU_DEP_1)
	v_pk_fma_f32 v[122:123], v[120:121], v[108:109], v[118:119] op_sel:[0,0,1] op_sel_hi:[1,1,0] neg_lo:[0,0,1] neg_hi:[0,0,1]
	v_pk_fma_f32 v[118:119], v[120:121], v[108:109], v[118:119] op_sel:[0,0,1] op_sel_hi:[1,0,0]
	v_mov_b32_e32 v123, v119
	ds_load_2addr_b64 v[118:121], v112 offset0:27 offset1:28
	v_pk_add_f32 v[60:61], v[60:61], v[124:125] neg_lo:[0,1] neg_hi:[0,1]
	v_pk_add_f32 v[40:41], v[40:41], v[122:123] neg_lo:[0,1] neg_hi:[0,1]
	s_wait_dscnt 0x0
	v_pk_mul_f32 v[122:123], v[118:119], v[110:111] op_sel:[0,1]
	s_delay_alu instid0(VALU_DEP_1) | instskip(SKIP_2) | instid1(VALU_DEP_2)
	v_pk_fma_f32 v[124:125], v[118:119], v[108:109], v[122:123] op_sel:[0,0,1] op_sel_hi:[1,1,0] neg_lo:[0,0,1] neg_hi:[0,0,1]
	v_pk_fma_f32 v[118:119], v[118:119], v[108:109], v[122:123] op_sel:[0,0,1] op_sel_hi:[1,0,0]
	v_dual_mul_f32 v122, v121, v111 :: v_dual_mov_b32 v118, v121
	v_dual_mov_b32 v125, v119 :: v_dual_mov_b32 v119, v120
	s_delay_alu instid0(VALU_DEP_2) | instskip(SKIP_1) | instid1(VALU_DEP_3)
	v_pk_fma_f32 v[122:123], v[120:121], v[62:63], v[122:123] op_sel_hi:[1,1,0] neg_lo:[0,0,1] neg_hi:[0,0,1]
	v_mul_f32_e32 v120, v121, v108
	v_pk_add_f32 v[38:39], v[38:39], v[124:125] neg_lo:[0,1] neg_hi:[0,1]
	s_delay_alu instid0(VALU_DEP_2) | instskip(NEXT) | instid1(VALU_DEP_1)
	v_pk_fma_f32 v[118:119], v[118:119], v[62:63], v[120:121] op_sel_hi:[1,1,0]
	v_mov_b32_e32 v123, v119
	ds_load_2addr_b64 v[118:121], v112 offset0:29 offset1:30
	v_pk_add_f32 v[70:71], v[70:71], v[122:123] neg_lo:[0,1] neg_hi:[0,1]
	s_wait_dscnt 0x0
	v_pk_mul_f32 v[122:123], v[118:119], v[110:111] op_sel:[0,1]
	s_delay_alu instid0(VALU_DEP_1) | instskip(SKIP_1) | instid1(VALU_DEP_1)
	v_pk_fma_f32 v[124:125], v[118:119], v[108:109], v[122:123] op_sel:[0,0,1] op_sel_hi:[1,1,0] neg_lo:[0,0,1] neg_hi:[0,0,1]
	v_pk_fma_f32 v[118:119], v[118:119], v[108:109], v[122:123] op_sel:[0,0,1] op_sel_hi:[1,0,0]
	v_mov_b32_e32 v125, v119
	v_pk_mul_f32 v[118:119], v[120:121], v[110:111] op_sel:[0,1]
	s_delay_alu instid0(VALU_DEP_1) | instskip(SKIP_1) | instid1(VALU_DEP_1)
	v_pk_fma_f32 v[122:123], v[120:121], v[108:109], v[118:119] op_sel:[0,0,1] op_sel_hi:[1,1,0] neg_lo:[0,0,1] neg_hi:[0,0,1]
	v_pk_fma_f32 v[118:119], v[120:121], v[108:109], v[118:119] op_sel:[0,0,1] op_sel_hi:[1,0,0]
	v_mov_b32_e32 v123, v119
	ds_load_2addr_b64 v[118:121], v112 offset0:31 offset1:32
	v_pk_add_f32 v[68:69], v[68:69], v[124:125] neg_lo:[0,1] neg_hi:[0,1]
	v_pk_add_f32 v[48:49], v[48:49], v[122:123] neg_lo:[0,1] neg_hi:[0,1]
	s_wait_dscnt 0x0
	v_pk_mul_f32 v[122:123], v[118:119], v[110:111] op_sel:[0,1]
	s_delay_alu instid0(VALU_DEP_1) | instskip(SKIP_1) | instid1(VALU_DEP_1)
	v_pk_fma_f32 v[124:125], v[118:119], v[108:109], v[122:123] op_sel:[0,0,1] op_sel_hi:[1,1,0] neg_lo:[0,0,1] neg_hi:[0,0,1]
	v_pk_fma_f32 v[118:119], v[118:119], v[108:109], v[122:123] op_sel:[0,0,1] op_sel_hi:[1,0,0]
	v_mov_b32_e32 v125, v119
	v_pk_mul_f32 v[118:119], v[120:121], v[110:111] op_sel:[0,1]
	s_delay_alu instid0(VALU_DEP_1) | instskip(SKIP_1) | instid1(VALU_DEP_1)
	v_pk_fma_f32 v[122:123], v[120:121], v[108:109], v[118:119] op_sel:[0,0,1] op_sel_hi:[1,1,0] neg_lo:[0,0,1] neg_hi:[0,0,1]
	v_pk_fma_f32 v[118:119], v[120:121], v[108:109], v[118:119] op_sel:[0,0,1] op_sel_hi:[1,0,0]
	v_mov_b32_e32 v123, v119
	ds_load_2addr_b64 v[118:121], v112 offset0:33 offset1:34
	v_pk_add_f32 v[46:47], v[46:47], v[124:125] neg_lo:[0,1] neg_hi:[0,1]
	v_pk_add_f32 v[84:85], v[84:85], v[122:123] neg_lo:[0,1] neg_hi:[0,1]
	s_wait_dscnt 0x0
	v_dual_mul_f32 v122, v119, v111 :: v_dual_mul_f32 v124, v119, v108
	s_delay_alu instid0(VALU_DEP_1) | instskip(NEXT) | instid1(VALU_DEP_2)
	v_pk_fma_f32 v[122:123], v[118:119], v[62:63], v[122:123] op_sel_hi:[1,1,0] neg_lo:[0,0,1] neg_hi:[0,0,1]
	v_pk_fma_f32 v[118:119], v[118:119], v[62:63], v[124:125] op_sel:[1,0,0] op_sel_hi:[0,1,0]
	s_delay_alu instid0(VALU_DEP_1) | instskip(SKIP_1) | instid1(VALU_DEP_2)
	v_mov_b32_e32 v123, v119
	v_pk_mul_f32 v[118:119], v[120:121], v[110:111] op_sel:[0,1]
	v_pk_add_f32 v[82:83], v[82:83], v[122:123] neg_lo:[0,1] neg_hi:[0,1]
	s_delay_alu instid0(VALU_DEP_2) | instskip(SKIP_1) | instid1(VALU_DEP_1)
	v_pk_fma_f32 v[122:123], v[120:121], v[108:109], v[118:119] op_sel:[0,0,1] op_sel_hi:[1,1,0] neg_lo:[0,0,1] neg_hi:[0,0,1]
	v_pk_fma_f32 v[118:119], v[120:121], v[108:109], v[118:119] op_sel:[0,0,1] op_sel_hi:[1,0,0]
	v_mov_b32_e32 v123, v119
	ds_load_2addr_b64 v[118:121], v112 offset0:35 offset1:36
	v_pk_add_f32 v[56:57], v[56:57], v[122:123] neg_lo:[0,1] neg_hi:[0,1]
	s_wait_dscnt 0x0
	v_pk_mul_f32 v[122:123], v[118:119], v[110:111] op_sel:[0,1]
	s_delay_alu instid0(VALU_DEP_1) | instskip(SKIP_1) | instid1(VALU_DEP_1)
	v_pk_fma_f32 v[124:125], v[118:119], v[108:109], v[122:123] op_sel:[0,0,1] op_sel_hi:[1,1,0] neg_lo:[0,0,1] neg_hi:[0,0,1]
	v_pk_fma_f32 v[118:119], v[118:119], v[108:109], v[122:123] op_sel:[0,0,1] op_sel_hi:[1,0,0]
	v_mov_b32_e32 v125, v119
	v_pk_mul_f32 v[118:119], v[120:121], v[110:111] op_sel:[0,1]
	s_delay_alu instid0(VALU_DEP_2) | instskip(NEXT) | instid1(VALU_DEP_2)
	v_pk_add_f32 v[54:55], v[54:55], v[124:125] neg_lo:[0,1] neg_hi:[0,1]
	v_pk_fma_f32 v[122:123], v[120:121], v[108:109], v[118:119] op_sel:[0,0,1] op_sel_hi:[1,1,0] neg_lo:[0,0,1] neg_hi:[0,0,1]
	v_pk_fma_f32 v[118:119], v[120:121], v[108:109], v[118:119] op_sel:[0,0,1] op_sel_hi:[1,0,0]
	s_delay_alu instid0(VALU_DEP_1) | instskip(SKIP_4) | instid1(VALU_DEP_1)
	v_mov_b32_e32 v123, v119
	ds_load_2addr_b64 v[118:121], v112 offset0:37 offset1:38
	v_pk_add_f32 v[94:95], v[94:95], v[122:123] neg_lo:[0,1] neg_hi:[0,1]
	s_wait_dscnt 0x0
	v_pk_mul_f32 v[122:123], v[118:119], v[110:111] op_sel:[0,1]
	v_pk_fma_f32 v[124:125], v[118:119], v[108:109], v[122:123] op_sel:[0,0,1] op_sel_hi:[1,1,0] neg_lo:[0,0,1] neg_hi:[0,0,1]
	v_pk_fma_f32 v[118:119], v[118:119], v[108:109], v[122:123] op_sel:[0,0,1] op_sel_hi:[1,0,0]
	v_dual_mul_f32 v122, v121, v111 :: v_dual_mov_b32 v118, v121
	s_delay_alu instid0(VALU_DEP_2) | instskip(NEXT) | instid1(VALU_DEP_2)
	v_dual_mov_b32 v125, v119 :: v_dual_mov_b32 v119, v120
	v_pk_fma_f32 v[122:123], v[120:121], v[62:63], v[122:123] op_sel_hi:[1,1,0] neg_lo:[0,0,1] neg_hi:[0,0,1]
	v_mul_f32_e32 v120, v121, v108
	s_delay_alu instid0(VALU_DEP_3) | instskip(NEXT) | instid1(VALU_DEP_2)
	v_pk_add_f32 v[92:93], v[92:93], v[124:125] neg_lo:[0,1] neg_hi:[0,1]
	v_pk_fma_f32 v[118:119], v[118:119], v[62:63], v[120:121] op_sel_hi:[1,1,0]
	s_delay_alu instid0(VALU_DEP_1) | instskip(SKIP_4) | instid1(VALU_DEP_1)
	v_mov_b32_e32 v123, v119
	ds_load_2addr_b64 v[118:121], v112 offset0:39 offset1:40
	v_pk_add_f32 v[66:67], v[66:67], v[122:123] neg_lo:[0,1] neg_hi:[0,1]
	s_wait_dscnt 0x0
	v_pk_mul_f32 v[122:123], v[118:119], v[110:111] op_sel:[0,1]
	v_pk_fma_f32 v[124:125], v[118:119], v[108:109], v[122:123] op_sel:[0,0,1] op_sel_hi:[1,1,0] neg_lo:[0,0,1] neg_hi:[0,0,1]
	v_pk_fma_f32 v[118:119], v[118:119], v[108:109], v[122:123] op_sel:[0,0,1] op_sel_hi:[1,0,0]
	s_delay_alu instid0(VALU_DEP_1) | instskip(SKIP_1) | instid1(VALU_DEP_1)
	v_mov_b32_e32 v125, v119
	v_pk_mul_f32 v[118:119], v[120:121], v[110:111] op_sel:[0,1]
	v_pk_fma_f32 v[122:123], v[120:121], v[108:109], v[118:119] op_sel:[0,0,1] op_sel_hi:[1,1,0] neg_lo:[0,0,1] neg_hi:[0,0,1]
	v_pk_fma_f32 v[118:119], v[120:121], v[108:109], v[118:119] op_sel:[0,0,1] op_sel_hi:[1,0,0]
	s_delay_alu instid0(VALU_DEP_1)
	v_mov_b32_e32 v123, v119
	ds_load_2addr_b64 v[118:121], v112 offset0:41 offset1:42
	v_pk_add_f32 v[64:65], v[64:65], v[124:125] neg_lo:[0,1] neg_hi:[0,1]
	v_pk_add_f32 v[104:105], v[104:105], v[122:123] neg_lo:[0,1] neg_hi:[0,1]
	s_wait_dscnt 0x0
	v_pk_mul_f32 v[122:123], v[118:119], v[110:111] op_sel:[0,1]
	s_delay_alu instid0(VALU_DEP_1) | instskip(SKIP_1) | instid1(VALU_DEP_1)
	v_pk_fma_f32 v[124:125], v[118:119], v[108:109], v[122:123] op_sel:[0,0,1] op_sel_hi:[1,1,0] neg_lo:[0,0,1] neg_hi:[0,0,1]
	v_pk_fma_f32 v[118:119], v[118:119], v[108:109], v[122:123] op_sel:[0,0,1] op_sel_hi:[1,0,0]
	v_mov_b32_e32 v125, v119
	v_pk_mul_f32 v[118:119], v[120:121], v[110:111] op_sel:[0,1]
	s_delay_alu instid0(VALU_DEP_1) | instskip(SKIP_1) | instid1(VALU_DEP_1)
	v_pk_fma_f32 v[122:123], v[120:121], v[108:109], v[118:119] op_sel:[0,0,1] op_sel_hi:[1,1,0] neg_lo:[0,0,1] neg_hi:[0,0,1]
	v_pk_fma_f32 v[118:119], v[120:121], v[108:109], v[118:119] op_sel:[0,0,1] op_sel_hi:[1,0,0]
	v_mov_b32_e32 v123, v119
	ds_load_2addr_b64 v[118:121], v112 offset0:43 offset1:44
	v_pk_add_f32 v[102:103], v[102:103], v[124:125] neg_lo:[0,1] neg_hi:[0,1]
	v_pk_add_f32 v[76:77], v[76:77], v[122:123] neg_lo:[0,1] neg_hi:[0,1]
	s_wait_dscnt 0x0
	v_dual_mul_f32 v122, v119, v111 :: v_dual_mul_f32 v124, v119, v108
	s_delay_alu instid0(VALU_DEP_1) | instskip(NEXT) | instid1(VALU_DEP_2)
	v_pk_fma_f32 v[122:123], v[118:119], v[62:63], v[122:123] op_sel_hi:[1,1,0] neg_lo:[0,0,1] neg_hi:[0,0,1]
	v_pk_fma_f32 v[118:119], v[118:119], v[62:63], v[124:125] op_sel:[1,0,0] op_sel_hi:[0,1,0]
	s_delay_alu instid0(VALU_DEP_1) | instskip(SKIP_1) | instid1(VALU_DEP_2)
	v_mov_b32_e32 v123, v119
	v_pk_mul_f32 v[118:119], v[120:121], v[110:111] op_sel:[0,1]
	v_pk_add_f32 v[74:75], v[74:75], v[122:123] neg_lo:[0,1] neg_hi:[0,1]
	s_delay_alu instid0(VALU_DEP_2) | instskip(SKIP_1) | instid1(VALU_DEP_1)
	v_pk_fma_f32 v[122:123], v[120:121], v[108:109], v[118:119] op_sel:[0,0,1] op_sel_hi:[1,1,0] neg_lo:[0,0,1] neg_hi:[0,0,1]
	v_pk_fma_f32 v[118:119], v[120:121], v[108:109], v[118:119] op_sel:[0,0,1] op_sel_hi:[1,0,0]
	v_mov_b32_e32 v123, v119
	ds_load_2addr_b64 v[118:121], v112 offset0:45 offset1:46
	v_pk_add_f32 v[98:99], v[98:99], v[122:123] neg_lo:[0,1] neg_hi:[0,1]
	s_wait_dscnt 0x0
	v_pk_mul_f32 v[122:123], v[118:119], v[110:111] op_sel:[0,1]
	s_delay_alu instid0(VALU_DEP_1) | instskip(SKIP_1) | instid1(VALU_DEP_1)
	v_pk_fma_f32 v[124:125], v[118:119], v[108:109], v[122:123] op_sel:[0,0,1] op_sel_hi:[1,1,0] neg_lo:[0,0,1] neg_hi:[0,0,1]
	v_pk_fma_f32 v[118:119], v[118:119], v[108:109], v[122:123] op_sel:[0,0,1] op_sel_hi:[1,0,0]
	v_mov_b32_e32 v125, v119
	v_pk_mul_f32 v[118:119], v[120:121], v[110:111] op_sel:[0,1]
	s_delay_alu instid0(VALU_DEP_2) | instskip(NEXT) | instid1(VALU_DEP_2)
	v_pk_add_f32 v[96:97], v[96:97], v[124:125] neg_lo:[0,1] neg_hi:[0,1]
	v_pk_fma_f32 v[122:123], v[120:121], v[108:109], v[118:119] op_sel:[0,0,1] op_sel_hi:[1,1,0] neg_lo:[0,0,1] neg_hi:[0,0,1]
	v_pk_fma_f32 v[118:119], v[120:121], v[108:109], v[118:119] op_sel:[0,0,1] op_sel_hi:[1,0,0]
	s_delay_alu instid0(VALU_DEP_1) | instskip(SKIP_4) | instid1(VALU_DEP_1)
	v_mov_b32_e32 v123, v119
	ds_load_2addr_b64 v[118:121], v112 offset0:47 offset1:48
	v_pk_add_f32 v[80:81], v[80:81], v[122:123] neg_lo:[0,1] neg_hi:[0,1]
	s_wait_dscnt 0x0
	v_pk_mul_f32 v[122:123], v[118:119], v[110:111] op_sel:[0,1]
	v_pk_fma_f32 v[124:125], v[118:119], v[108:109], v[122:123] op_sel:[0,0,1] op_sel_hi:[1,1,0] neg_lo:[0,0,1] neg_hi:[0,0,1]
	v_pk_fma_f32 v[118:119], v[118:119], v[108:109], v[122:123] op_sel:[0,0,1] op_sel_hi:[1,0,0]
	v_dual_mul_f32 v122, v121, v111 :: v_dual_mov_b32 v118, v121
	s_delay_alu instid0(VALU_DEP_2) | instskip(NEXT) | instid1(VALU_DEP_2)
	v_dual_mov_b32 v125, v119 :: v_dual_mov_b32 v119, v120
	v_pk_fma_f32 v[122:123], v[120:121], v[62:63], v[122:123] op_sel_hi:[1,1,0] neg_lo:[0,0,1] neg_hi:[0,0,1]
	v_mul_f32_e32 v120, v121, v108
	s_delay_alu instid0(VALU_DEP_3) | instskip(NEXT) | instid1(VALU_DEP_2)
	v_pk_add_f32 v[78:79], v[78:79], v[124:125] neg_lo:[0,1] neg_hi:[0,1]
	v_pk_fma_f32 v[118:119], v[118:119], v[62:63], v[120:121] op_sel_hi:[1,1,0]
	s_delay_alu instid0(VALU_DEP_1)
	v_mov_b32_e32 v123, v119
	ds_load_2addr_b64 v[118:121], v112 offset0:49 offset1:50
	v_pk_add_f32 v[88:89], v[88:89], v[122:123] neg_lo:[0,1] neg_hi:[0,1]
	s_wait_dscnt 0x0
	v_pk_mul_f32 v[122:123], v[118:119], v[110:111] op_sel:[0,1]
	v_pk_mul_f32 v[110:111], v[120:121], v[110:111] op_sel:[0,1]
	s_delay_alu instid0(VALU_DEP_2) | instskip(SKIP_1) | instid1(VALU_DEP_1)
	v_pk_fma_f32 v[124:125], v[118:119], v[108:109], v[122:123] op_sel:[0,0,1] op_sel_hi:[1,1,0] neg_lo:[0,0,1] neg_hi:[0,0,1]
	v_pk_fma_f32 v[118:119], v[118:119], v[108:109], v[122:123] op_sel:[0,0,1] op_sel_hi:[1,0,0]
	v_mov_b32_e32 v125, v119
	s_delay_alu instid0(VALU_DEP_4) | instskip(SKIP_1) | instid1(VALU_DEP_1)
	v_pk_fma_f32 v[118:119], v[120:121], v[108:109], v[110:111] op_sel:[0,0,1] op_sel_hi:[1,1,0] neg_lo:[0,0,1] neg_hi:[0,0,1]
	v_pk_fma_f32 v[108:109], v[120:121], v[108:109], v[110:111] op_sel:[0,0,1] op_sel_hi:[1,0,0]
	v_mov_b32_e32 v119, v109
	s_delay_alu instid0(VALU_DEP_4) | instskip(NEXT) | instid1(VALU_DEP_2)
	v_pk_add_f32 v[86:87], v[86:87], v[124:125] neg_lo:[0,1] neg_hi:[0,1]
	v_pk_add_f32 v[106:107], v[106:107], v[118:119] neg_lo:[0,1] neg_hi:[0,1]
.LBB100_524:
	s_or_b32 exec_lo, exec_lo, s0
	v_lshl_add_u32 v108, v116, 3, v112
	s_barrier_signal -1
	s_barrier_wait -1
	ds_store_b64 v108, v[60:61]
	s_wait_dscnt 0x0
	s_barrier_signal -1
	s_barrier_wait -1
	ds_load_b64 v[110:111], v112 offset:200
	v_mov_b32_e32 v108, 25
	s_cmp_lt_i32 s18, 27
	s_cbranch_scc1 .LBB100_527
; %bb.525:
	v_add3_u32 v109, v113, 0, 0xd0
	v_mov_b32_e32 v108, 25
	s_mov_b32 s0, 26
.LBB100_526:                            ; =>This Inner Loop Header: Depth=1
	ds_load_b64 v[118:119], v109
	s_wait_dscnt 0x1
	v_cmp_gt_f32_e32 vcc_lo, 0, v110
	v_cndmask_b32_e64 v120, v110, -v110, vcc_lo
	v_cmp_gt_f32_e32 vcc_lo, 0, v111
	v_cndmask_b32_e64 v122, v111, -v111, vcc_lo
	s_wait_dscnt 0x0
	v_cmp_gt_f32_e32 vcc_lo, 0, v118
	v_cndmask_b32_e64 v121, v118, -v118, vcc_lo
	v_cmp_gt_f32_e32 vcc_lo, 0, v119
	v_cndmask_b32_e64 v123, v119, -v119, vcc_lo
	s_delay_alu instid0(VALU_DEP_1) | instskip(NEXT) | instid1(VALU_DEP_1)
	v_pk_add_f32 v[120:121], v[120:121], v[122:123]
	v_cmp_lt_f32_e32 vcc_lo, v120, v121
	v_dual_add_nc_u32 v109, 8, v109 :: v_dual_cndmask_b32 v111, v111, v119, vcc_lo
	v_cndmask_b32_e32 v110, v110, v118, vcc_lo
	v_cndmask_b32_e64 v108, v108, s0, vcc_lo
	s_add_co_i32 s0, s0, 1
	s_delay_alu instid0(SALU_CYCLE_1)
	s_cmp_lg_u32 s18, s0
	s_cbranch_scc1 .LBB100_526
.LBB100_527:
	s_wait_dscnt 0x0
	v_cmp_eq_f32_e32 vcc_lo, 0, v110
	v_cmp_eq_f32_e64 s0, 0, v111
	s_and_b32 s0, vcc_lo, s0
	s_delay_alu instid0(SALU_CYCLE_1) | instskip(NEXT) | instid1(SALU_CYCLE_1)
	s_and_saveexec_b32 s1, s0
	s_xor_b32 s0, exec_lo, s1
; %bb.528:
	v_cmp_ne_u32_e32 vcc_lo, 0, v114
	v_cndmask_b32_e32 v114, 26, v114, vcc_lo
; %bb.529:
	s_and_not1_saveexec_b32 s0, s0
	s_cbranch_execz .LBB100_535
; %bb.530:
	v_cmp_ngt_f32_e64 s1, |v110|, |v111|
	s_and_saveexec_b32 s12, s1
	s_delay_alu instid0(SALU_CYCLE_1)
	s_xor_b32 s1, exec_lo, s12
	s_cbranch_execz .LBB100_532
; %bb.531:
	v_div_scale_f32 v109, null, v111, v111, v110
	v_div_scale_f32 v119, vcc_lo, v110, v111, v110
	s_delay_alu instid0(VALU_DEP_2) | instskip(SKIP_1) | instid1(TRANS32_DEP_1)
	v_rcp_f32_e32 v117, v109
	v_nop
	v_fma_f32 v118, -v109, v117, 1.0
	s_delay_alu instid0(VALU_DEP_1) | instskip(NEXT) | instid1(VALU_DEP_1)
	v_fmac_f32_e32 v117, v118, v117
	v_mul_f32_e32 v118, v119, v117
	s_delay_alu instid0(VALU_DEP_1) | instskip(NEXT) | instid1(VALU_DEP_1)
	v_fma_f32 v120, -v109, v118, v119
	v_fmac_f32_e32 v118, v120, v117
	s_delay_alu instid0(VALU_DEP_1) | instskip(NEXT) | instid1(VALU_DEP_1)
	v_fma_f32 v109, -v109, v118, v119
	v_div_fmas_f32 v109, v109, v117, v118
	s_delay_alu instid0(VALU_DEP_1) | instskip(NEXT) | instid1(VALU_DEP_1)
	v_div_fixup_f32 v109, v109, v111, v110
	v_fmac_f32_e32 v111, v110, v109
	s_delay_alu instid0(VALU_DEP_1) | instskip(SKIP_1) | instid1(VALU_DEP_2)
	v_div_scale_f32 v110, null, v111, v111, 1.0
	v_div_scale_f32 v119, vcc_lo, 1.0, v111, 1.0
	v_rcp_f32_e32 v117, v110
	v_nop
	s_delay_alu instid0(TRANS32_DEP_1) | instskip(NEXT) | instid1(VALU_DEP_1)
	v_fma_f32 v118, -v110, v117, 1.0
	v_fmac_f32_e32 v117, v118, v117
	s_delay_alu instid0(VALU_DEP_1) | instskip(NEXT) | instid1(VALU_DEP_1)
	v_mul_f32_e32 v118, v119, v117
	v_fma_f32 v120, -v110, v118, v119
	s_delay_alu instid0(VALU_DEP_1) | instskip(NEXT) | instid1(VALU_DEP_1)
	v_fmac_f32_e32 v118, v120, v117
	v_fma_f32 v110, -v110, v118, v119
	s_delay_alu instid0(VALU_DEP_1) | instskip(NEXT) | instid1(VALU_DEP_1)
	v_div_fmas_f32 v110, v110, v117, v118
	v_div_fixup_f32 v111, v110, v111, 1.0
	s_delay_alu instid0(VALU_DEP_1)
	v_mul_f32_e32 v110, v109, v111
	v_xor_b32_e32 v111, 0x80000000, v111
.LBB100_532:
	s_and_not1_saveexec_b32 s1, s1
	s_cbranch_execz .LBB100_534
; %bb.533:
	s_delay_alu instid0(VALU_DEP_1) | instskip(SKIP_1) | instid1(VALU_DEP_2)
	v_div_scale_f32 v109, null, v110, v110, v111
	v_div_scale_f32 v119, vcc_lo, v111, v110, v111
	v_rcp_f32_e32 v117, v109
	v_nop
	s_delay_alu instid0(TRANS32_DEP_1) | instskip(NEXT) | instid1(VALU_DEP_1)
	v_fma_f32 v118, -v109, v117, 1.0
	v_fmac_f32_e32 v117, v118, v117
	s_delay_alu instid0(VALU_DEP_1) | instskip(NEXT) | instid1(VALU_DEP_1)
	v_mul_f32_e32 v118, v119, v117
	v_fma_f32 v120, -v109, v118, v119
	s_delay_alu instid0(VALU_DEP_1) | instskip(NEXT) | instid1(VALU_DEP_1)
	v_fmac_f32_e32 v118, v120, v117
	v_fma_f32 v109, -v109, v118, v119
	s_delay_alu instid0(VALU_DEP_1) | instskip(NEXT) | instid1(VALU_DEP_1)
	v_div_fmas_f32 v109, v109, v117, v118
	v_div_fixup_f32 v109, v109, v110, v111
	s_delay_alu instid0(VALU_DEP_1) | instskip(NEXT) | instid1(VALU_DEP_1)
	v_fmac_f32_e32 v110, v111, v109
	v_div_scale_f32 v111, null, v110, v110, 1.0
	s_delay_alu instid0(VALU_DEP_1) | instskip(SKIP_1) | instid1(TRANS32_DEP_1)
	v_rcp_f32_e32 v117, v111
	v_nop
	v_fma_f32 v118, -v111, v117, 1.0
	s_delay_alu instid0(VALU_DEP_1) | instskip(SKIP_1) | instid1(VALU_DEP_1)
	v_fmac_f32_e32 v117, v118, v117
	v_div_scale_f32 v118, vcc_lo, 1.0, v110, 1.0
	v_mul_f32_e32 v119, v118, v117
	s_delay_alu instid0(VALU_DEP_1) | instskip(NEXT) | instid1(VALU_DEP_1)
	v_fma_f32 v120, -v111, v119, v118
	v_fmac_f32_e32 v119, v120, v117
	s_delay_alu instid0(VALU_DEP_1) | instskip(NEXT) | instid1(VALU_DEP_1)
	v_fma_f32 v111, -v111, v119, v118
	v_div_fmas_f32 v111, v111, v117, v119
	s_delay_alu instid0(VALU_DEP_1) | instskip(NEXT) | instid1(VALU_DEP_1)
	v_div_fixup_f32 v110, v111, v110, 1.0
	v_mul_f32_e64 v111, v109, -v110
.LBB100_534:
	s_or_b32 exec_lo, exec_lo, s1
.LBB100_535:
	s_delay_alu instid0(SALU_CYCLE_1) | instskip(NEXT) | instid1(SALU_CYCLE_1)
	s_or_b32 exec_lo, exec_lo, s0
	s_mov_b32 s0, exec_lo
	v_cmpx_ne_u32_e64 v116, v108
	s_xor_b32 s0, exec_lo, s0
	s_cbranch_execz .LBB100_541
; %bb.536:
	s_mov_b32 s1, exec_lo
	v_cmpx_eq_u32_e32 25, v116
	s_cbranch_execz .LBB100_540
; %bb.537:
	v_cmp_ne_u32_e32 vcc_lo, 25, v108
	s_xor_b32 s12, s16, -1
	s_delay_alu instid0(SALU_CYCLE_1) | instskip(NEXT) | instid1(SALU_CYCLE_1)
	s_and_b32 s13, s12, vcc_lo
	s_and_saveexec_b32 s12, s13
	s_cbranch_execz .LBB100_539
; %bb.538:
	v_ashrrev_i32_e32 v109, 31, v108
	s_delay_alu instid0(VALU_DEP_1)
	v_lshl_add_u64 v[116:117], v[108:109], 2, v[4:5]
	s_clause 0x1
	global_load_b32 v109, v[116:117], off
	global_load_b32 v115, v[4:5], off offset:100
	s_wait_loadcnt 0x1
	global_store_b32 v[4:5], v109, off offset:100
	s_wait_loadcnt 0x0
	global_store_b32 v[116:117], v115, off
.LBB100_539:
	s_wait_xcnt 0x0
	s_or_b32 exec_lo, exec_lo, s12
	v_dual_mov_b32 v116, v108 :: v_dual_mov_b32 v115, v108
.LBB100_540:
	s_or_b32 exec_lo, exec_lo, s1
.LBB100_541:
	s_and_not1_saveexec_b32 s0, s0
	s_cbranch_execz .LBB100_543
; %bb.542:
	v_dual_mov_b32 v108, v40 :: v_dual_mov_b32 v109, v41
	v_dual_mov_b32 v116, v38 :: v_dual_mov_b32 v117, v39
	ds_store_2addr_b64 v112, v[108:109], v[116:117] offset0:26 offset1:27
	v_dual_mov_b32 v108, v70 :: v_dual_mov_b32 v109, v71
	v_dual_mov_b32 v116, v68 :: v_dual_mov_b32 v117, v69
	ds_store_2addr_b64 v112, v[108:109], v[116:117] offset0:28 offset1:29
	;; [unrolled: 3-line block ×12, first 2 shown]
	ds_store_b64 v112, v[106:107] offset:400
	v_mov_b32_e32 v116, 25
.LBB100_543:
	s_or_b32 exec_lo, exec_lo, s0
	s_delay_alu instid0(SALU_CYCLE_1)
	s_mov_b32 s0, exec_lo
	s_wait_storecnt_dscnt 0x0
	s_barrier_signal -1
	s_barrier_wait -1
	v_cmpx_lt_i32_e32 25, v116
	s_cbranch_execz .LBB100_545
; %bb.544:
	v_pk_mul_f32 v[118:119], v[110:111], v[60:61] op_sel:[1,1] op_sel_hi:[0,1]
	s_delay_alu instid0(VALU_DEP_1)
	v_pk_fma_f32 v[108:109], v[110:111], v[60:61], v[118:119] op_sel_hi:[1,0,1] neg_lo:[0,0,1] neg_hi:[0,0,1]
	v_pk_fma_f32 v[110:111], v[110:111], v[60:61], v[118:119] op_sel_hi:[1,0,1]
	ds_load_2addr_b64 v[118:121], v112 offset0:26 offset1:27
	v_dual_mov_b32 v60, v108 :: v_dual_mov_b32 v61, v111
	s_wait_dscnt 0x0
	v_pk_mul_f32 v[122:123], v[118:119], v[110:111] op_sel:[0,1]
	s_delay_alu instid0(VALU_DEP_1) | instskip(SKIP_1) | instid1(VALU_DEP_1)
	v_pk_fma_f32 v[124:125], v[118:119], v[108:109], v[122:123] op_sel:[0,0,1] op_sel_hi:[1,1,0] neg_lo:[0,0,1] neg_hi:[0,0,1]
	v_pk_fma_f32 v[118:119], v[118:119], v[108:109], v[122:123] op_sel:[0,0,1] op_sel_hi:[1,0,0]
	v_mov_b32_e32 v125, v119
	v_pk_mul_f32 v[118:119], v[120:121], v[110:111] op_sel:[0,1]
	s_delay_alu instid0(VALU_DEP_1) | instskip(SKIP_1) | instid1(VALU_DEP_1)
	v_pk_fma_f32 v[122:123], v[120:121], v[108:109], v[118:119] op_sel:[0,0,1] op_sel_hi:[1,1,0] neg_lo:[0,0,1] neg_hi:[0,0,1]
	v_pk_fma_f32 v[118:119], v[120:121], v[108:109], v[118:119] op_sel:[0,0,1] op_sel_hi:[1,0,0]
	v_mov_b32_e32 v123, v119
	ds_load_2addr_b64 v[118:121], v112 offset0:28 offset1:29
	v_pk_add_f32 v[40:41], v[40:41], v[124:125] neg_lo:[0,1] neg_hi:[0,1]
	v_pk_add_f32 v[38:39], v[38:39], v[122:123] neg_lo:[0,1] neg_hi:[0,1]
	s_wait_dscnt 0x0
	v_pk_mul_f32 v[122:123], v[118:119], v[110:111] op_sel:[0,1]
	s_delay_alu instid0(VALU_DEP_1) | instskip(SKIP_2) | instid1(VALU_DEP_2)
	v_pk_fma_f32 v[124:125], v[118:119], v[108:109], v[122:123] op_sel:[0,0,1] op_sel_hi:[1,1,0] neg_lo:[0,0,1] neg_hi:[0,0,1]
	v_pk_fma_f32 v[118:119], v[118:119], v[108:109], v[122:123] op_sel:[0,0,1] op_sel_hi:[1,0,0]
	v_dual_mul_f32 v122, v121, v111 :: v_dual_mov_b32 v118, v121
	v_dual_mov_b32 v125, v119 :: v_dual_mov_b32 v119, v120
	s_delay_alu instid0(VALU_DEP_2) | instskip(SKIP_1) | instid1(VALU_DEP_3)
	v_pk_fma_f32 v[122:123], v[120:121], v[60:61], v[122:123] op_sel_hi:[1,1,0] neg_lo:[0,0,1] neg_hi:[0,0,1]
	v_mul_f32_e32 v120, v121, v108
	v_pk_add_f32 v[70:71], v[70:71], v[124:125] neg_lo:[0,1] neg_hi:[0,1]
	s_delay_alu instid0(VALU_DEP_2) | instskip(NEXT) | instid1(VALU_DEP_1)
	v_pk_fma_f32 v[118:119], v[118:119], v[60:61], v[120:121] op_sel_hi:[1,1,0]
	v_mov_b32_e32 v123, v119
	ds_load_2addr_b64 v[118:121], v112 offset0:30 offset1:31
	v_pk_add_f32 v[68:69], v[68:69], v[122:123] neg_lo:[0,1] neg_hi:[0,1]
	s_wait_dscnt 0x0
	v_pk_mul_f32 v[122:123], v[118:119], v[110:111] op_sel:[0,1]
	s_delay_alu instid0(VALU_DEP_1) | instskip(SKIP_1) | instid1(VALU_DEP_1)
	v_pk_fma_f32 v[124:125], v[118:119], v[108:109], v[122:123] op_sel:[0,0,1] op_sel_hi:[1,1,0] neg_lo:[0,0,1] neg_hi:[0,0,1]
	v_pk_fma_f32 v[118:119], v[118:119], v[108:109], v[122:123] op_sel:[0,0,1] op_sel_hi:[1,0,0]
	v_mov_b32_e32 v125, v119
	v_pk_mul_f32 v[118:119], v[120:121], v[110:111] op_sel:[0,1]
	s_delay_alu instid0(VALU_DEP_1) | instskip(SKIP_1) | instid1(VALU_DEP_1)
	v_pk_fma_f32 v[122:123], v[120:121], v[108:109], v[118:119] op_sel:[0,0,1] op_sel_hi:[1,1,0] neg_lo:[0,0,1] neg_hi:[0,0,1]
	v_pk_fma_f32 v[118:119], v[120:121], v[108:109], v[118:119] op_sel:[0,0,1] op_sel_hi:[1,0,0]
	v_mov_b32_e32 v123, v119
	ds_load_2addr_b64 v[118:121], v112 offset0:32 offset1:33
	v_pk_add_f32 v[48:49], v[48:49], v[124:125] neg_lo:[0,1] neg_hi:[0,1]
	v_pk_add_f32 v[46:47], v[46:47], v[122:123] neg_lo:[0,1] neg_hi:[0,1]
	s_wait_dscnt 0x0
	v_pk_mul_f32 v[122:123], v[118:119], v[110:111] op_sel:[0,1]
	s_delay_alu instid0(VALU_DEP_1) | instskip(SKIP_1) | instid1(VALU_DEP_1)
	v_pk_fma_f32 v[124:125], v[118:119], v[108:109], v[122:123] op_sel:[0,0,1] op_sel_hi:[1,1,0] neg_lo:[0,0,1] neg_hi:[0,0,1]
	v_pk_fma_f32 v[118:119], v[118:119], v[108:109], v[122:123] op_sel:[0,0,1] op_sel_hi:[1,0,0]
	v_mov_b32_e32 v125, v119
	v_pk_mul_f32 v[118:119], v[120:121], v[110:111] op_sel:[0,1]
	s_delay_alu instid0(VALU_DEP_1) | instskip(SKIP_1) | instid1(VALU_DEP_1)
	v_pk_fma_f32 v[122:123], v[120:121], v[108:109], v[118:119] op_sel:[0,0,1] op_sel_hi:[1,1,0] neg_lo:[0,0,1] neg_hi:[0,0,1]
	v_pk_fma_f32 v[118:119], v[120:121], v[108:109], v[118:119] op_sel:[0,0,1] op_sel_hi:[1,0,0]
	v_mov_b32_e32 v123, v119
	ds_load_2addr_b64 v[118:121], v112 offset0:34 offset1:35
	v_pk_add_f32 v[84:85], v[84:85], v[124:125] neg_lo:[0,1] neg_hi:[0,1]
	v_pk_add_f32 v[82:83], v[82:83], v[122:123] neg_lo:[0,1] neg_hi:[0,1]
	s_wait_dscnt 0x0
	v_dual_mul_f32 v122, v119, v111 :: v_dual_mul_f32 v124, v119, v108
	s_delay_alu instid0(VALU_DEP_1) | instskip(NEXT) | instid1(VALU_DEP_2)
	v_pk_fma_f32 v[122:123], v[118:119], v[60:61], v[122:123] op_sel_hi:[1,1,0] neg_lo:[0,0,1] neg_hi:[0,0,1]
	v_pk_fma_f32 v[118:119], v[118:119], v[60:61], v[124:125] op_sel:[1,0,0] op_sel_hi:[0,1,0]
	s_delay_alu instid0(VALU_DEP_1) | instskip(SKIP_1) | instid1(VALU_DEP_2)
	v_mov_b32_e32 v123, v119
	v_pk_mul_f32 v[118:119], v[120:121], v[110:111] op_sel:[0,1]
	v_pk_add_f32 v[56:57], v[56:57], v[122:123] neg_lo:[0,1] neg_hi:[0,1]
	s_delay_alu instid0(VALU_DEP_2) | instskip(SKIP_1) | instid1(VALU_DEP_1)
	v_pk_fma_f32 v[122:123], v[120:121], v[108:109], v[118:119] op_sel:[0,0,1] op_sel_hi:[1,1,0] neg_lo:[0,0,1] neg_hi:[0,0,1]
	v_pk_fma_f32 v[118:119], v[120:121], v[108:109], v[118:119] op_sel:[0,0,1] op_sel_hi:[1,0,0]
	v_mov_b32_e32 v123, v119
	ds_load_2addr_b64 v[118:121], v112 offset0:36 offset1:37
	v_pk_add_f32 v[54:55], v[54:55], v[122:123] neg_lo:[0,1] neg_hi:[0,1]
	s_wait_dscnt 0x0
	v_pk_mul_f32 v[122:123], v[118:119], v[110:111] op_sel:[0,1]
	s_delay_alu instid0(VALU_DEP_1) | instskip(SKIP_1) | instid1(VALU_DEP_1)
	v_pk_fma_f32 v[124:125], v[118:119], v[108:109], v[122:123] op_sel:[0,0,1] op_sel_hi:[1,1,0] neg_lo:[0,0,1] neg_hi:[0,0,1]
	v_pk_fma_f32 v[118:119], v[118:119], v[108:109], v[122:123] op_sel:[0,0,1] op_sel_hi:[1,0,0]
	v_mov_b32_e32 v125, v119
	v_pk_mul_f32 v[118:119], v[120:121], v[110:111] op_sel:[0,1]
	s_delay_alu instid0(VALU_DEP_2) | instskip(NEXT) | instid1(VALU_DEP_2)
	v_pk_add_f32 v[94:95], v[94:95], v[124:125] neg_lo:[0,1] neg_hi:[0,1]
	v_pk_fma_f32 v[122:123], v[120:121], v[108:109], v[118:119] op_sel:[0,0,1] op_sel_hi:[1,1,0] neg_lo:[0,0,1] neg_hi:[0,0,1]
	v_pk_fma_f32 v[118:119], v[120:121], v[108:109], v[118:119] op_sel:[0,0,1] op_sel_hi:[1,0,0]
	s_delay_alu instid0(VALU_DEP_1) | instskip(SKIP_4) | instid1(VALU_DEP_1)
	v_mov_b32_e32 v123, v119
	ds_load_2addr_b64 v[118:121], v112 offset0:38 offset1:39
	v_pk_add_f32 v[92:93], v[92:93], v[122:123] neg_lo:[0,1] neg_hi:[0,1]
	s_wait_dscnt 0x0
	v_pk_mul_f32 v[122:123], v[118:119], v[110:111] op_sel:[0,1]
	v_pk_fma_f32 v[124:125], v[118:119], v[108:109], v[122:123] op_sel:[0,0,1] op_sel_hi:[1,1,0] neg_lo:[0,0,1] neg_hi:[0,0,1]
	v_pk_fma_f32 v[118:119], v[118:119], v[108:109], v[122:123] op_sel:[0,0,1] op_sel_hi:[1,0,0]
	v_dual_mul_f32 v122, v121, v111 :: v_dual_mov_b32 v118, v121
	s_delay_alu instid0(VALU_DEP_2) | instskip(NEXT) | instid1(VALU_DEP_2)
	v_dual_mov_b32 v125, v119 :: v_dual_mov_b32 v119, v120
	v_pk_fma_f32 v[122:123], v[120:121], v[60:61], v[122:123] op_sel_hi:[1,1,0] neg_lo:[0,0,1] neg_hi:[0,0,1]
	v_mul_f32_e32 v120, v121, v108
	s_delay_alu instid0(VALU_DEP_3) | instskip(NEXT) | instid1(VALU_DEP_2)
	v_pk_add_f32 v[66:67], v[66:67], v[124:125] neg_lo:[0,1] neg_hi:[0,1]
	v_pk_fma_f32 v[118:119], v[118:119], v[60:61], v[120:121] op_sel_hi:[1,1,0]
	s_delay_alu instid0(VALU_DEP_1) | instskip(SKIP_4) | instid1(VALU_DEP_1)
	v_mov_b32_e32 v123, v119
	ds_load_2addr_b64 v[118:121], v112 offset0:40 offset1:41
	v_pk_add_f32 v[64:65], v[64:65], v[122:123] neg_lo:[0,1] neg_hi:[0,1]
	s_wait_dscnt 0x0
	v_pk_mul_f32 v[122:123], v[118:119], v[110:111] op_sel:[0,1]
	v_pk_fma_f32 v[124:125], v[118:119], v[108:109], v[122:123] op_sel:[0,0,1] op_sel_hi:[1,1,0] neg_lo:[0,0,1] neg_hi:[0,0,1]
	v_pk_fma_f32 v[118:119], v[118:119], v[108:109], v[122:123] op_sel:[0,0,1] op_sel_hi:[1,0,0]
	s_delay_alu instid0(VALU_DEP_1) | instskip(SKIP_1) | instid1(VALU_DEP_1)
	v_mov_b32_e32 v125, v119
	v_pk_mul_f32 v[118:119], v[120:121], v[110:111] op_sel:[0,1]
	v_pk_fma_f32 v[122:123], v[120:121], v[108:109], v[118:119] op_sel:[0,0,1] op_sel_hi:[1,1,0] neg_lo:[0,0,1] neg_hi:[0,0,1]
	v_pk_fma_f32 v[118:119], v[120:121], v[108:109], v[118:119] op_sel:[0,0,1] op_sel_hi:[1,0,0]
	s_delay_alu instid0(VALU_DEP_1)
	v_mov_b32_e32 v123, v119
	ds_load_2addr_b64 v[118:121], v112 offset0:42 offset1:43
	v_pk_add_f32 v[104:105], v[104:105], v[124:125] neg_lo:[0,1] neg_hi:[0,1]
	v_pk_add_f32 v[102:103], v[102:103], v[122:123] neg_lo:[0,1] neg_hi:[0,1]
	s_wait_dscnt 0x0
	v_pk_mul_f32 v[122:123], v[118:119], v[110:111] op_sel:[0,1]
	s_delay_alu instid0(VALU_DEP_1) | instskip(SKIP_1) | instid1(VALU_DEP_1)
	v_pk_fma_f32 v[124:125], v[118:119], v[108:109], v[122:123] op_sel:[0,0,1] op_sel_hi:[1,1,0] neg_lo:[0,0,1] neg_hi:[0,0,1]
	v_pk_fma_f32 v[118:119], v[118:119], v[108:109], v[122:123] op_sel:[0,0,1] op_sel_hi:[1,0,0]
	v_mov_b32_e32 v125, v119
	v_pk_mul_f32 v[118:119], v[120:121], v[110:111] op_sel:[0,1]
	s_delay_alu instid0(VALU_DEP_1) | instskip(SKIP_1) | instid1(VALU_DEP_1)
	v_pk_fma_f32 v[122:123], v[120:121], v[108:109], v[118:119] op_sel:[0,0,1] op_sel_hi:[1,1,0] neg_lo:[0,0,1] neg_hi:[0,0,1]
	v_pk_fma_f32 v[118:119], v[120:121], v[108:109], v[118:119] op_sel:[0,0,1] op_sel_hi:[1,0,0]
	v_mov_b32_e32 v123, v119
	ds_load_2addr_b64 v[118:121], v112 offset0:44 offset1:45
	v_pk_add_f32 v[76:77], v[76:77], v[124:125] neg_lo:[0,1] neg_hi:[0,1]
	v_pk_add_f32 v[74:75], v[74:75], v[122:123] neg_lo:[0,1] neg_hi:[0,1]
	s_wait_dscnt 0x0
	v_dual_mul_f32 v122, v119, v111 :: v_dual_mul_f32 v124, v119, v108
	s_delay_alu instid0(VALU_DEP_1) | instskip(NEXT) | instid1(VALU_DEP_2)
	v_pk_fma_f32 v[122:123], v[118:119], v[60:61], v[122:123] op_sel_hi:[1,1,0] neg_lo:[0,0,1] neg_hi:[0,0,1]
	v_pk_fma_f32 v[118:119], v[118:119], v[60:61], v[124:125] op_sel:[1,0,0] op_sel_hi:[0,1,0]
	s_delay_alu instid0(VALU_DEP_1) | instskip(SKIP_1) | instid1(VALU_DEP_2)
	v_mov_b32_e32 v123, v119
	v_pk_mul_f32 v[118:119], v[120:121], v[110:111] op_sel:[0,1]
	v_pk_add_f32 v[98:99], v[98:99], v[122:123] neg_lo:[0,1] neg_hi:[0,1]
	s_delay_alu instid0(VALU_DEP_2) | instskip(SKIP_1) | instid1(VALU_DEP_1)
	v_pk_fma_f32 v[122:123], v[120:121], v[108:109], v[118:119] op_sel:[0,0,1] op_sel_hi:[1,1,0] neg_lo:[0,0,1] neg_hi:[0,0,1]
	v_pk_fma_f32 v[118:119], v[120:121], v[108:109], v[118:119] op_sel:[0,0,1] op_sel_hi:[1,0,0]
	v_mov_b32_e32 v123, v119
	ds_load_2addr_b64 v[118:121], v112 offset0:46 offset1:47
	v_pk_add_f32 v[96:97], v[96:97], v[122:123] neg_lo:[0,1] neg_hi:[0,1]
	s_wait_dscnt 0x0
	v_pk_mul_f32 v[122:123], v[118:119], v[110:111] op_sel:[0,1]
	s_delay_alu instid0(VALU_DEP_1) | instskip(SKIP_1) | instid1(VALU_DEP_1)
	v_pk_fma_f32 v[124:125], v[118:119], v[108:109], v[122:123] op_sel:[0,0,1] op_sel_hi:[1,1,0] neg_lo:[0,0,1] neg_hi:[0,0,1]
	v_pk_fma_f32 v[118:119], v[118:119], v[108:109], v[122:123] op_sel:[0,0,1] op_sel_hi:[1,0,0]
	v_mov_b32_e32 v125, v119
	v_pk_mul_f32 v[118:119], v[120:121], v[110:111] op_sel:[0,1]
	s_delay_alu instid0(VALU_DEP_2) | instskip(NEXT) | instid1(VALU_DEP_2)
	v_pk_add_f32 v[80:81], v[80:81], v[124:125] neg_lo:[0,1] neg_hi:[0,1]
	v_pk_fma_f32 v[122:123], v[120:121], v[108:109], v[118:119] op_sel:[0,0,1] op_sel_hi:[1,1,0] neg_lo:[0,0,1] neg_hi:[0,0,1]
	v_pk_fma_f32 v[118:119], v[120:121], v[108:109], v[118:119] op_sel:[0,0,1] op_sel_hi:[1,0,0]
	s_delay_alu instid0(VALU_DEP_1) | instskip(SKIP_4) | instid1(VALU_DEP_1)
	v_mov_b32_e32 v123, v119
	ds_load_2addr_b64 v[118:121], v112 offset0:48 offset1:49
	v_pk_add_f32 v[78:79], v[78:79], v[122:123] neg_lo:[0,1] neg_hi:[0,1]
	s_wait_dscnt 0x0
	v_pk_mul_f32 v[122:123], v[118:119], v[110:111] op_sel:[0,1]
	v_pk_fma_f32 v[124:125], v[118:119], v[108:109], v[122:123] op_sel:[0,0,1] op_sel_hi:[1,1,0] neg_lo:[0,0,1] neg_hi:[0,0,1]
	v_pk_fma_f32 v[118:119], v[118:119], v[108:109], v[122:123] op_sel:[0,0,1] op_sel_hi:[1,0,0]
	v_dual_mul_f32 v122, v121, v111 :: v_dual_mov_b32 v118, v121
	s_delay_alu instid0(VALU_DEP_2) | instskip(NEXT) | instid1(VALU_DEP_2)
	v_dual_mov_b32 v125, v119 :: v_dual_mov_b32 v119, v120
	v_pk_fma_f32 v[122:123], v[120:121], v[60:61], v[122:123] op_sel_hi:[1,1,0] neg_lo:[0,0,1] neg_hi:[0,0,1]
	v_mul_f32_e32 v120, v121, v108
	s_delay_alu instid0(VALU_DEP_3) | instskip(NEXT) | instid1(VALU_DEP_2)
	v_pk_add_f32 v[88:89], v[88:89], v[124:125] neg_lo:[0,1] neg_hi:[0,1]
	v_pk_fma_f32 v[118:119], v[118:119], v[60:61], v[120:121] op_sel_hi:[1,1,0]
	s_delay_alu instid0(VALU_DEP_1) | instskip(SKIP_4) | instid1(VALU_DEP_1)
	v_mov_b32_e32 v123, v119
	ds_load_b64 v[118:119], v112 offset:400
	v_pk_add_f32 v[86:87], v[86:87], v[122:123] neg_lo:[0,1] neg_hi:[0,1]
	s_wait_dscnt 0x0
	v_pk_mul_f32 v[110:111], v[118:119], v[110:111] op_sel:[0,1]
	v_pk_fma_f32 v[120:121], v[118:119], v[108:109], v[110:111] op_sel:[0,0,1] op_sel_hi:[1,1,0] neg_lo:[0,0,1] neg_hi:[0,0,1]
	v_pk_fma_f32 v[108:109], v[118:119], v[108:109], v[110:111] op_sel:[0,0,1] op_sel_hi:[1,0,0]
	s_delay_alu instid0(VALU_DEP_1) | instskip(NEXT) | instid1(VALU_DEP_1)
	v_mov_b32_e32 v121, v109
	v_pk_add_f32 v[106:107], v[106:107], v[120:121] neg_lo:[0,1] neg_hi:[0,1]
.LBB100_545:
	s_or_b32 exec_lo, exec_lo, s0
	v_lshl_add_u32 v108, v116, 3, v112
	s_barrier_signal -1
	s_barrier_wait -1
	ds_store_b64 v108, v[40:41]
	s_wait_dscnt 0x0
	s_barrier_signal -1
	s_barrier_wait -1
	ds_load_b64 v[110:111], v112 offset:208
	v_mov_b32_e32 v108, 26
	s_cmp_lt_i32 s18, 28
	s_cbranch_scc1 .LBB100_548
; %bb.546:
	v_add3_u32 v109, v113, 0, 0xd8
	v_mov_b32_e32 v108, 26
	s_mov_b32 s0, 27
.LBB100_547:                            ; =>This Inner Loop Header: Depth=1
	ds_load_b64 v[118:119], v109
	s_wait_dscnt 0x1
	v_cmp_gt_f32_e32 vcc_lo, 0, v110
	v_cndmask_b32_e64 v120, v110, -v110, vcc_lo
	v_cmp_gt_f32_e32 vcc_lo, 0, v111
	v_cndmask_b32_e64 v122, v111, -v111, vcc_lo
	s_wait_dscnt 0x0
	v_cmp_gt_f32_e32 vcc_lo, 0, v118
	v_cndmask_b32_e64 v121, v118, -v118, vcc_lo
	v_cmp_gt_f32_e32 vcc_lo, 0, v119
	v_cndmask_b32_e64 v123, v119, -v119, vcc_lo
	s_delay_alu instid0(VALU_DEP_1) | instskip(NEXT) | instid1(VALU_DEP_1)
	v_pk_add_f32 v[120:121], v[120:121], v[122:123]
	v_cmp_lt_f32_e32 vcc_lo, v120, v121
	v_dual_add_nc_u32 v109, 8, v109 :: v_dual_cndmask_b32 v111, v111, v119, vcc_lo
	v_cndmask_b32_e32 v110, v110, v118, vcc_lo
	v_cndmask_b32_e64 v108, v108, s0, vcc_lo
	s_add_co_i32 s0, s0, 1
	s_delay_alu instid0(SALU_CYCLE_1)
	s_cmp_lg_u32 s18, s0
	s_cbranch_scc1 .LBB100_547
.LBB100_548:
	s_wait_dscnt 0x0
	v_cmp_eq_f32_e32 vcc_lo, 0, v110
	v_cmp_eq_f32_e64 s0, 0, v111
	s_and_b32 s0, vcc_lo, s0
	s_delay_alu instid0(SALU_CYCLE_1) | instskip(NEXT) | instid1(SALU_CYCLE_1)
	s_and_saveexec_b32 s1, s0
	s_xor_b32 s0, exec_lo, s1
; %bb.549:
	v_cmp_ne_u32_e32 vcc_lo, 0, v114
	v_cndmask_b32_e32 v114, 27, v114, vcc_lo
; %bb.550:
	s_and_not1_saveexec_b32 s0, s0
	s_cbranch_execz .LBB100_556
; %bb.551:
	v_cmp_ngt_f32_e64 s1, |v110|, |v111|
	s_and_saveexec_b32 s12, s1
	s_delay_alu instid0(SALU_CYCLE_1)
	s_xor_b32 s1, exec_lo, s12
	s_cbranch_execz .LBB100_553
; %bb.552:
	v_div_scale_f32 v109, null, v111, v111, v110
	v_div_scale_f32 v119, vcc_lo, v110, v111, v110
	s_delay_alu instid0(VALU_DEP_2) | instskip(SKIP_1) | instid1(TRANS32_DEP_1)
	v_rcp_f32_e32 v117, v109
	v_nop
	v_fma_f32 v118, -v109, v117, 1.0
	s_delay_alu instid0(VALU_DEP_1) | instskip(NEXT) | instid1(VALU_DEP_1)
	v_fmac_f32_e32 v117, v118, v117
	v_mul_f32_e32 v118, v119, v117
	s_delay_alu instid0(VALU_DEP_1) | instskip(NEXT) | instid1(VALU_DEP_1)
	v_fma_f32 v120, -v109, v118, v119
	v_fmac_f32_e32 v118, v120, v117
	s_delay_alu instid0(VALU_DEP_1) | instskip(NEXT) | instid1(VALU_DEP_1)
	v_fma_f32 v109, -v109, v118, v119
	v_div_fmas_f32 v109, v109, v117, v118
	s_delay_alu instid0(VALU_DEP_1) | instskip(NEXT) | instid1(VALU_DEP_1)
	v_div_fixup_f32 v109, v109, v111, v110
	v_fmac_f32_e32 v111, v110, v109
	s_delay_alu instid0(VALU_DEP_1) | instskip(SKIP_1) | instid1(VALU_DEP_2)
	v_div_scale_f32 v110, null, v111, v111, 1.0
	v_div_scale_f32 v119, vcc_lo, 1.0, v111, 1.0
	v_rcp_f32_e32 v117, v110
	v_nop
	s_delay_alu instid0(TRANS32_DEP_1) | instskip(NEXT) | instid1(VALU_DEP_1)
	v_fma_f32 v118, -v110, v117, 1.0
	v_fmac_f32_e32 v117, v118, v117
	s_delay_alu instid0(VALU_DEP_1) | instskip(NEXT) | instid1(VALU_DEP_1)
	v_mul_f32_e32 v118, v119, v117
	v_fma_f32 v120, -v110, v118, v119
	s_delay_alu instid0(VALU_DEP_1) | instskip(NEXT) | instid1(VALU_DEP_1)
	v_fmac_f32_e32 v118, v120, v117
	v_fma_f32 v110, -v110, v118, v119
	s_delay_alu instid0(VALU_DEP_1) | instskip(NEXT) | instid1(VALU_DEP_1)
	v_div_fmas_f32 v110, v110, v117, v118
	v_div_fixup_f32 v111, v110, v111, 1.0
	s_delay_alu instid0(VALU_DEP_1)
	v_mul_f32_e32 v110, v109, v111
	v_xor_b32_e32 v111, 0x80000000, v111
.LBB100_553:
	s_and_not1_saveexec_b32 s1, s1
	s_cbranch_execz .LBB100_555
; %bb.554:
	s_delay_alu instid0(VALU_DEP_1) | instskip(SKIP_1) | instid1(VALU_DEP_2)
	v_div_scale_f32 v109, null, v110, v110, v111
	v_div_scale_f32 v119, vcc_lo, v111, v110, v111
	v_rcp_f32_e32 v117, v109
	v_nop
	s_delay_alu instid0(TRANS32_DEP_1) | instskip(NEXT) | instid1(VALU_DEP_1)
	v_fma_f32 v118, -v109, v117, 1.0
	v_fmac_f32_e32 v117, v118, v117
	s_delay_alu instid0(VALU_DEP_1) | instskip(NEXT) | instid1(VALU_DEP_1)
	v_mul_f32_e32 v118, v119, v117
	v_fma_f32 v120, -v109, v118, v119
	s_delay_alu instid0(VALU_DEP_1) | instskip(NEXT) | instid1(VALU_DEP_1)
	v_fmac_f32_e32 v118, v120, v117
	v_fma_f32 v109, -v109, v118, v119
	s_delay_alu instid0(VALU_DEP_1) | instskip(NEXT) | instid1(VALU_DEP_1)
	v_div_fmas_f32 v109, v109, v117, v118
	v_div_fixup_f32 v109, v109, v110, v111
	s_delay_alu instid0(VALU_DEP_1) | instskip(NEXT) | instid1(VALU_DEP_1)
	v_fmac_f32_e32 v110, v111, v109
	v_div_scale_f32 v111, null, v110, v110, 1.0
	s_delay_alu instid0(VALU_DEP_1) | instskip(SKIP_1) | instid1(TRANS32_DEP_1)
	v_rcp_f32_e32 v117, v111
	v_nop
	v_fma_f32 v118, -v111, v117, 1.0
	s_delay_alu instid0(VALU_DEP_1) | instskip(SKIP_1) | instid1(VALU_DEP_1)
	v_fmac_f32_e32 v117, v118, v117
	v_div_scale_f32 v118, vcc_lo, 1.0, v110, 1.0
	v_mul_f32_e32 v119, v118, v117
	s_delay_alu instid0(VALU_DEP_1) | instskip(NEXT) | instid1(VALU_DEP_1)
	v_fma_f32 v120, -v111, v119, v118
	v_fmac_f32_e32 v119, v120, v117
	s_delay_alu instid0(VALU_DEP_1) | instskip(NEXT) | instid1(VALU_DEP_1)
	v_fma_f32 v111, -v111, v119, v118
	v_div_fmas_f32 v111, v111, v117, v119
	s_delay_alu instid0(VALU_DEP_1) | instskip(NEXT) | instid1(VALU_DEP_1)
	v_div_fixup_f32 v110, v111, v110, 1.0
	v_mul_f32_e64 v111, v109, -v110
.LBB100_555:
	s_or_b32 exec_lo, exec_lo, s1
.LBB100_556:
	s_delay_alu instid0(SALU_CYCLE_1) | instskip(NEXT) | instid1(SALU_CYCLE_1)
	s_or_b32 exec_lo, exec_lo, s0
	s_mov_b32 s0, exec_lo
	v_cmpx_ne_u32_e64 v116, v108
	s_xor_b32 s0, exec_lo, s0
	s_cbranch_execz .LBB100_562
; %bb.557:
	s_mov_b32 s1, exec_lo
	v_cmpx_eq_u32_e32 26, v116
	s_cbranch_execz .LBB100_561
; %bb.558:
	v_cmp_ne_u32_e32 vcc_lo, 26, v108
	s_xor_b32 s12, s16, -1
	s_delay_alu instid0(SALU_CYCLE_1) | instskip(NEXT) | instid1(SALU_CYCLE_1)
	s_and_b32 s13, s12, vcc_lo
	s_and_saveexec_b32 s12, s13
	s_cbranch_execz .LBB100_560
; %bb.559:
	v_ashrrev_i32_e32 v109, 31, v108
	s_delay_alu instid0(VALU_DEP_1)
	v_lshl_add_u64 v[116:117], v[108:109], 2, v[4:5]
	s_clause 0x1
	global_load_b32 v109, v[116:117], off
	global_load_b32 v115, v[4:5], off offset:104
	s_wait_loadcnt 0x1
	global_store_b32 v[4:5], v109, off offset:104
	s_wait_loadcnt 0x0
	global_store_b32 v[116:117], v115, off
.LBB100_560:
	s_wait_xcnt 0x0
	s_or_b32 exec_lo, exec_lo, s12
	v_dual_mov_b32 v116, v108 :: v_dual_mov_b32 v115, v108
.LBB100_561:
	s_or_b32 exec_lo, exec_lo, s1
.LBB100_562:
	s_and_not1_saveexec_b32 s0, s0
	s_cbranch_execz .LBB100_564
; %bb.563:
	v_mov_b32_e32 v116, 26
	ds_store_2addr_b64 v112, v[38:39], v[70:71] offset0:27 offset1:28
	ds_store_2addr_b64 v112, v[68:69], v[48:49] offset0:29 offset1:30
	;; [unrolled: 1-line block ×12, first 2 shown]
.LBB100_564:
	s_or_b32 exec_lo, exec_lo, s0
	s_delay_alu instid0(SALU_CYCLE_1)
	s_mov_b32 s0, exec_lo
	s_wait_storecnt_dscnt 0x0
	s_barrier_signal -1
	s_barrier_wait -1
	v_cmpx_lt_i32_e32 26, v116
	s_cbranch_execz .LBB100_566
; %bb.565:
	v_pk_mul_f32 v[118:119], v[110:111], v[40:41] op_sel:[1,1] op_sel_hi:[0,1]
	s_delay_alu instid0(VALU_DEP_1)
	v_pk_fma_f32 v[108:109], v[110:111], v[40:41], v[118:119] op_sel_hi:[1,0,1] neg_lo:[0,0,1] neg_hi:[0,0,1]
	v_pk_fma_f32 v[110:111], v[110:111], v[40:41], v[118:119] op_sel_hi:[1,0,1]
	ds_load_2addr_b64 v[118:121], v112 offset0:27 offset1:28
	v_dual_mov_b32 v40, v108 :: v_dual_mov_b32 v41, v111
	s_wait_dscnt 0x0
	v_pk_mul_f32 v[122:123], v[118:119], v[110:111] op_sel:[0,1]
	s_delay_alu instid0(VALU_DEP_1) | instskip(SKIP_1) | instid1(VALU_DEP_1)
	v_pk_fma_f32 v[124:125], v[118:119], v[108:109], v[122:123] op_sel:[0,0,1] op_sel_hi:[1,1,0] neg_lo:[0,0,1] neg_hi:[0,0,1]
	v_pk_fma_f32 v[118:119], v[118:119], v[108:109], v[122:123] op_sel:[0,0,1] op_sel_hi:[1,0,0]
	v_mov_b32_e32 v125, v119
	v_pk_mul_f32 v[118:119], v[120:121], v[110:111] op_sel:[0,1]
	s_delay_alu instid0(VALU_DEP_1) | instskip(SKIP_1) | instid1(VALU_DEP_1)
	v_pk_fma_f32 v[122:123], v[120:121], v[108:109], v[118:119] op_sel:[0,0,1] op_sel_hi:[1,1,0] neg_lo:[0,0,1] neg_hi:[0,0,1]
	v_pk_fma_f32 v[118:119], v[120:121], v[108:109], v[118:119] op_sel:[0,0,1] op_sel_hi:[1,0,0]
	v_mov_b32_e32 v123, v119
	ds_load_2addr_b64 v[118:121], v112 offset0:29 offset1:30
	v_pk_add_f32 v[38:39], v[38:39], v[124:125] neg_lo:[0,1] neg_hi:[0,1]
	v_pk_add_f32 v[70:71], v[70:71], v[122:123] neg_lo:[0,1] neg_hi:[0,1]
	s_wait_dscnt 0x0
	v_pk_mul_f32 v[122:123], v[118:119], v[110:111] op_sel:[0,1]
	s_delay_alu instid0(VALU_DEP_1) | instskip(SKIP_2) | instid1(VALU_DEP_2)
	v_pk_fma_f32 v[124:125], v[118:119], v[108:109], v[122:123] op_sel:[0,0,1] op_sel_hi:[1,1,0] neg_lo:[0,0,1] neg_hi:[0,0,1]
	v_pk_fma_f32 v[118:119], v[118:119], v[108:109], v[122:123] op_sel:[0,0,1] op_sel_hi:[1,0,0]
	v_dual_mul_f32 v122, v121, v111 :: v_dual_mov_b32 v118, v121
	v_dual_mov_b32 v125, v119 :: v_dual_mov_b32 v119, v120
	s_delay_alu instid0(VALU_DEP_2) | instskip(SKIP_1) | instid1(VALU_DEP_3)
	v_pk_fma_f32 v[122:123], v[120:121], v[40:41], v[122:123] op_sel_hi:[1,1,0] neg_lo:[0,0,1] neg_hi:[0,0,1]
	v_mul_f32_e32 v120, v121, v108
	v_pk_add_f32 v[68:69], v[68:69], v[124:125] neg_lo:[0,1] neg_hi:[0,1]
	s_delay_alu instid0(VALU_DEP_2) | instskip(NEXT) | instid1(VALU_DEP_1)
	v_pk_fma_f32 v[118:119], v[118:119], v[40:41], v[120:121] op_sel_hi:[1,1,0]
	v_mov_b32_e32 v123, v119
	ds_load_2addr_b64 v[118:121], v112 offset0:31 offset1:32
	v_pk_add_f32 v[48:49], v[48:49], v[122:123] neg_lo:[0,1] neg_hi:[0,1]
	s_wait_dscnt 0x0
	v_pk_mul_f32 v[122:123], v[118:119], v[110:111] op_sel:[0,1]
	s_delay_alu instid0(VALU_DEP_1) | instskip(SKIP_1) | instid1(VALU_DEP_1)
	v_pk_fma_f32 v[124:125], v[118:119], v[108:109], v[122:123] op_sel:[0,0,1] op_sel_hi:[1,1,0] neg_lo:[0,0,1] neg_hi:[0,0,1]
	v_pk_fma_f32 v[118:119], v[118:119], v[108:109], v[122:123] op_sel:[0,0,1] op_sel_hi:[1,0,0]
	v_mov_b32_e32 v125, v119
	v_pk_mul_f32 v[118:119], v[120:121], v[110:111] op_sel:[0,1]
	s_delay_alu instid0(VALU_DEP_1) | instskip(SKIP_1) | instid1(VALU_DEP_1)
	v_pk_fma_f32 v[122:123], v[120:121], v[108:109], v[118:119] op_sel:[0,0,1] op_sel_hi:[1,1,0] neg_lo:[0,0,1] neg_hi:[0,0,1]
	v_pk_fma_f32 v[118:119], v[120:121], v[108:109], v[118:119] op_sel:[0,0,1] op_sel_hi:[1,0,0]
	v_mov_b32_e32 v123, v119
	ds_load_2addr_b64 v[118:121], v112 offset0:33 offset1:34
	v_pk_add_f32 v[46:47], v[46:47], v[124:125] neg_lo:[0,1] neg_hi:[0,1]
	v_pk_add_f32 v[84:85], v[84:85], v[122:123] neg_lo:[0,1] neg_hi:[0,1]
	s_wait_dscnt 0x0
	v_pk_mul_f32 v[122:123], v[118:119], v[110:111] op_sel:[0,1]
	s_delay_alu instid0(VALU_DEP_1) | instskip(SKIP_1) | instid1(VALU_DEP_1)
	v_pk_fma_f32 v[124:125], v[118:119], v[108:109], v[122:123] op_sel:[0,0,1] op_sel_hi:[1,1,0] neg_lo:[0,0,1] neg_hi:[0,0,1]
	v_pk_fma_f32 v[118:119], v[118:119], v[108:109], v[122:123] op_sel:[0,0,1] op_sel_hi:[1,0,0]
	v_mov_b32_e32 v125, v119
	v_pk_mul_f32 v[118:119], v[120:121], v[110:111] op_sel:[0,1]
	s_delay_alu instid0(VALU_DEP_1) | instskip(SKIP_1) | instid1(VALU_DEP_1)
	v_pk_fma_f32 v[122:123], v[120:121], v[108:109], v[118:119] op_sel:[0,0,1] op_sel_hi:[1,1,0] neg_lo:[0,0,1] neg_hi:[0,0,1]
	v_pk_fma_f32 v[118:119], v[120:121], v[108:109], v[118:119] op_sel:[0,0,1] op_sel_hi:[1,0,0]
	v_mov_b32_e32 v123, v119
	ds_load_2addr_b64 v[118:121], v112 offset0:35 offset1:36
	v_pk_add_f32 v[82:83], v[82:83], v[124:125] neg_lo:[0,1] neg_hi:[0,1]
	v_pk_add_f32 v[56:57], v[56:57], v[122:123] neg_lo:[0,1] neg_hi:[0,1]
	s_wait_dscnt 0x0
	v_dual_mul_f32 v122, v119, v111 :: v_dual_mul_f32 v124, v119, v108
	s_delay_alu instid0(VALU_DEP_1) | instskip(NEXT) | instid1(VALU_DEP_2)
	v_pk_fma_f32 v[122:123], v[118:119], v[40:41], v[122:123] op_sel_hi:[1,1,0] neg_lo:[0,0,1] neg_hi:[0,0,1]
	v_pk_fma_f32 v[118:119], v[118:119], v[40:41], v[124:125] op_sel:[1,0,0] op_sel_hi:[0,1,0]
	s_delay_alu instid0(VALU_DEP_1) | instskip(SKIP_1) | instid1(VALU_DEP_2)
	v_mov_b32_e32 v123, v119
	v_pk_mul_f32 v[118:119], v[120:121], v[110:111] op_sel:[0,1]
	v_pk_add_f32 v[54:55], v[54:55], v[122:123] neg_lo:[0,1] neg_hi:[0,1]
	s_delay_alu instid0(VALU_DEP_2) | instskip(SKIP_1) | instid1(VALU_DEP_1)
	v_pk_fma_f32 v[122:123], v[120:121], v[108:109], v[118:119] op_sel:[0,0,1] op_sel_hi:[1,1,0] neg_lo:[0,0,1] neg_hi:[0,0,1]
	v_pk_fma_f32 v[118:119], v[120:121], v[108:109], v[118:119] op_sel:[0,0,1] op_sel_hi:[1,0,0]
	v_mov_b32_e32 v123, v119
	ds_load_2addr_b64 v[118:121], v112 offset0:37 offset1:38
	v_pk_add_f32 v[94:95], v[94:95], v[122:123] neg_lo:[0,1] neg_hi:[0,1]
	s_wait_dscnt 0x0
	v_pk_mul_f32 v[122:123], v[118:119], v[110:111] op_sel:[0,1]
	s_delay_alu instid0(VALU_DEP_1) | instskip(SKIP_1) | instid1(VALU_DEP_1)
	v_pk_fma_f32 v[124:125], v[118:119], v[108:109], v[122:123] op_sel:[0,0,1] op_sel_hi:[1,1,0] neg_lo:[0,0,1] neg_hi:[0,0,1]
	v_pk_fma_f32 v[118:119], v[118:119], v[108:109], v[122:123] op_sel:[0,0,1] op_sel_hi:[1,0,0]
	v_mov_b32_e32 v125, v119
	v_pk_mul_f32 v[118:119], v[120:121], v[110:111] op_sel:[0,1]
	s_delay_alu instid0(VALU_DEP_2) | instskip(NEXT) | instid1(VALU_DEP_2)
	v_pk_add_f32 v[92:93], v[92:93], v[124:125] neg_lo:[0,1] neg_hi:[0,1]
	v_pk_fma_f32 v[122:123], v[120:121], v[108:109], v[118:119] op_sel:[0,0,1] op_sel_hi:[1,1,0] neg_lo:[0,0,1] neg_hi:[0,0,1]
	v_pk_fma_f32 v[118:119], v[120:121], v[108:109], v[118:119] op_sel:[0,0,1] op_sel_hi:[1,0,0]
	s_delay_alu instid0(VALU_DEP_1) | instskip(SKIP_4) | instid1(VALU_DEP_1)
	v_mov_b32_e32 v123, v119
	ds_load_2addr_b64 v[118:121], v112 offset0:39 offset1:40
	v_pk_add_f32 v[66:67], v[66:67], v[122:123] neg_lo:[0,1] neg_hi:[0,1]
	s_wait_dscnt 0x0
	v_pk_mul_f32 v[122:123], v[118:119], v[110:111] op_sel:[0,1]
	v_pk_fma_f32 v[124:125], v[118:119], v[108:109], v[122:123] op_sel:[0,0,1] op_sel_hi:[1,1,0] neg_lo:[0,0,1] neg_hi:[0,0,1]
	v_pk_fma_f32 v[118:119], v[118:119], v[108:109], v[122:123] op_sel:[0,0,1] op_sel_hi:[1,0,0]
	v_dual_mul_f32 v122, v121, v111 :: v_dual_mov_b32 v118, v121
	s_delay_alu instid0(VALU_DEP_2) | instskip(NEXT) | instid1(VALU_DEP_2)
	v_dual_mov_b32 v125, v119 :: v_dual_mov_b32 v119, v120
	v_pk_fma_f32 v[122:123], v[120:121], v[40:41], v[122:123] op_sel_hi:[1,1,0] neg_lo:[0,0,1] neg_hi:[0,0,1]
	v_mul_f32_e32 v120, v121, v108
	s_delay_alu instid0(VALU_DEP_3) | instskip(NEXT) | instid1(VALU_DEP_2)
	v_pk_add_f32 v[64:65], v[64:65], v[124:125] neg_lo:[0,1] neg_hi:[0,1]
	v_pk_fma_f32 v[118:119], v[118:119], v[40:41], v[120:121] op_sel_hi:[1,1,0]
	s_delay_alu instid0(VALU_DEP_1) | instskip(SKIP_4) | instid1(VALU_DEP_1)
	v_mov_b32_e32 v123, v119
	ds_load_2addr_b64 v[118:121], v112 offset0:41 offset1:42
	v_pk_add_f32 v[104:105], v[104:105], v[122:123] neg_lo:[0,1] neg_hi:[0,1]
	s_wait_dscnt 0x0
	v_pk_mul_f32 v[122:123], v[118:119], v[110:111] op_sel:[0,1]
	v_pk_fma_f32 v[124:125], v[118:119], v[108:109], v[122:123] op_sel:[0,0,1] op_sel_hi:[1,1,0] neg_lo:[0,0,1] neg_hi:[0,0,1]
	v_pk_fma_f32 v[118:119], v[118:119], v[108:109], v[122:123] op_sel:[0,0,1] op_sel_hi:[1,0,0]
	s_delay_alu instid0(VALU_DEP_1) | instskip(SKIP_1) | instid1(VALU_DEP_1)
	v_mov_b32_e32 v125, v119
	v_pk_mul_f32 v[118:119], v[120:121], v[110:111] op_sel:[0,1]
	v_pk_fma_f32 v[122:123], v[120:121], v[108:109], v[118:119] op_sel:[0,0,1] op_sel_hi:[1,1,0] neg_lo:[0,0,1] neg_hi:[0,0,1]
	v_pk_fma_f32 v[118:119], v[120:121], v[108:109], v[118:119] op_sel:[0,0,1] op_sel_hi:[1,0,0]
	s_delay_alu instid0(VALU_DEP_1)
	v_mov_b32_e32 v123, v119
	ds_load_2addr_b64 v[118:121], v112 offset0:43 offset1:44
	v_pk_add_f32 v[102:103], v[102:103], v[124:125] neg_lo:[0,1] neg_hi:[0,1]
	v_pk_add_f32 v[76:77], v[76:77], v[122:123] neg_lo:[0,1] neg_hi:[0,1]
	s_wait_dscnt 0x0
	v_pk_mul_f32 v[122:123], v[118:119], v[110:111] op_sel:[0,1]
	s_delay_alu instid0(VALU_DEP_1) | instskip(SKIP_1) | instid1(VALU_DEP_1)
	v_pk_fma_f32 v[124:125], v[118:119], v[108:109], v[122:123] op_sel:[0,0,1] op_sel_hi:[1,1,0] neg_lo:[0,0,1] neg_hi:[0,0,1]
	v_pk_fma_f32 v[118:119], v[118:119], v[108:109], v[122:123] op_sel:[0,0,1] op_sel_hi:[1,0,0]
	v_mov_b32_e32 v125, v119
	v_pk_mul_f32 v[118:119], v[120:121], v[110:111] op_sel:[0,1]
	s_delay_alu instid0(VALU_DEP_1) | instskip(SKIP_1) | instid1(VALU_DEP_1)
	v_pk_fma_f32 v[122:123], v[120:121], v[108:109], v[118:119] op_sel:[0,0,1] op_sel_hi:[1,1,0] neg_lo:[0,0,1] neg_hi:[0,0,1]
	v_pk_fma_f32 v[118:119], v[120:121], v[108:109], v[118:119] op_sel:[0,0,1] op_sel_hi:[1,0,0]
	v_mov_b32_e32 v123, v119
	ds_load_2addr_b64 v[118:121], v112 offset0:45 offset1:46
	v_pk_add_f32 v[74:75], v[74:75], v[124:125] neg_lo:[0,1] neg_hi:[0,1]
	v_pk_add_f32 v[98:99], v[98:99], v[122:123] neg_lo:[0,1] neg_hi:[0,1]
	s_wait_dscnt 0x0
	v_dual_mul_f32 v122, v119, v111 :: v_dual_mul_f32 v124, v119, v108
	s_delay_alu instid0(VALU_DEP_1) | instskip(NEXT) | instid1(VALU_DEP_2)
	v_pk_fma_f32 v[122:123], v[118:119], v[40:41], v[122:123] op_sel_hi:[1,1,0] neg_lo:[0,0,1] neg_hi:[0,0,1]
	v_pk_fma_f32 v[118:119], v[118:119], v[40:41], v[124:125] op_sel:[1,0,0] op_sel_hi:[0,1,0]
	s_delay_alu instid0(VALU_DEP_1) | instskip(SKIP_1) | instid1(VALU_DEP_2)
	v_mov_b32_e32 v123, v119
	v_pk_mul_f32 v[118:119], v[120:121], v[110:111] op_sel:[0,1]
	v_pk_add_f32 v[96:97], v[96:97], v[122:123] neg_lo:[0,1] neg_hi:[0,1]
	s_delay_alu instid0(VALU_DEP_2) | instskip(SKIP_1) | instid1(VALU_DEP_1)
	v_pk_fma_f32 v[122:123], v[120:121], v[108:109], v[118:119] op_sel:[0,0,1] op_sel_hi:[1,1,0] neg_lo:[0,0,1] neg_hi:[0,0,1]
	v_pk_fma_f32 v[118:119], v[120:121], v[108:109], v[118:119] op_sel:[0,0,1] op_sel_hi:[1,0,0]
	v_mov_b32_e32 v123, v119
	ds_load_2addr_b64 v[118:121], v112 offset0:47 offset1:48
	v_pk_add_f32 v[80:81], v[80:81], v[122:123] neg_lo:[0,1] neg_hi:[0,1]
	s_wait_dscnt 0x0
	v_pk_mul_f32 v[122:123], v[118:119], v[110:111] op_sel:[0,1]
	s_delay_alu instid0(VALU_DEP_1) | instskip(SKIP_1) | instid1(VALU_DEP_1)
	v_pk_fma_f32 v[124:125], v[118:119], v[108:109], v[122:123] op_sel:[0,0,1] op_sel_hi:[1,1,0] neg_lo:[0,0,1] neg_hi:[0,0,1]
	v_pk_fma_f32 v[118:119], v[118:119], v[108:109], v[122:123] op_sel:[0,0,1] op_sel_hi:[1,0,0]
	v_mov_b32_e32 v125, v119
	v_pk_mul_f32 v[118:119], v[120:121], v[110:111] op_sel:[0,1]
	s_delay_alu instid0(VALU_DEP_2) | instskip(NEXT) | instid1(VALU_DEP_2)
	v_pk_add_f32 v[78:79], v[78:79], v[124:125] neg_lo:[0,1] neg_hi:[0,1]
	v_pk_fma_f32 v[122:123], v[120:121], v[108:109], v[118:119] op_sel:[0,0,1] op_sel_hi:[1,1,0] neg_lo:[0,0,1] neg_hi:[0,0,1]
	v_pk_fma_f32 v[118:119], v[120:121], v[108:109], v[118:119] op_sel:[0,0,1] op_sel_hi:[1,0,0]
	s_delay_alu instid0(VALU_DEP_1)
	v_mov_b32_e32 v123, v119
	ds_load_2addr_b64 v[118:121], v112 offset0:49 offset1:50
	v_pk_add_f32 v[88:89], v[88:89], v[122:123] neg_lo:[0,1] neg_hi:[0,1]
	s_wait_dscnt 0x0
	v_pk_mul_f32 v[122:123], v[118:119], v[110:111] op_sel:[0,1]
	v_mul_f32_e32 v110, v121, v111
	s_delay_alu instid0(VALU_DEP_2) | instskip(SKIP_2) | instid1(VALU_DEP_4)
	v_pk_fma_f32 v[124:125], v[118:119], v[108:109], v[122:123] op_sel:[0,0,1] op_sel_hi:[1,1,0] neg_lo:[0,0,1] neg_hi:[0,0,1]
	v_pk_fma_f32 v[118:119], v[118:119], v[108:109], v[122:123] op_sel:[0,0,1] op_sel_hi:[1,0,0]
	v_dual_mov_b32 v118, v121 :: v_dual_mul_f32 v108, v121, v108
	v_pk_fma_f32 v[110:111], v[120:121], v[40:41], v[110:111] op_sel_hi:[1,1,0] neg_lo:[0,0,1] neg_hi:[0,0,1]
	s_delay_alu instid0(VALU_DEP_3) | instskip(NEXT) | instid1(VALU_DEP_1)
	v_dual_mov_b32 v125, v119 :: v_dual_mov_b32 v119, v120
	v_pk_add_f32 v[86:87], v[86:87], v[124:125] neg_lo:[0,1] neg_hi:[0,1]
	s_delay_alu instid0(VALU_DEP_2) | instskip(NEXT) | instid1(VALU_DEP_1)
	v_pk_fma_f32 v[108:109], v[118:119], v[40:41], v[108:109] op_sel_hi:[1,1,0]
	v_mov_b32_e32 v111, v109
	s_delay_alu instid0(VALU_DEP_1)
	v_pk_add_f32 v[106:107], v[106:107], v[110:111] neg_lo:[0,1] neg_hi:[0,1]
.LBB100_566:
	s_or_b32 exec_lo, exec_lo, s0
	v_lshl_add_u32 v108, v116, 3, v112
	s_barrier_signal -1
	s_barrier_wait -1
	ds_store_b64 v108, v[38:39]
	s_wait_dscnt 0x0
	s_barrier_signal -1
	s_barrier_wait -1
	ds_load_b64 v[110:111], v112 offset:216
	v_mov_b32_e32 v108, 27
	s_cmp_lt_i32 s18, 29
	s_cbranch_scc1 .LBB100_569
; %bb.567:
	v_add3_u32 v109, v113, 0, 0xe0
	v_mov_b32_e32 v108, 27
	s_mov_b32 s0, 28
.LBB100_568:                            ; =>This Inner Loop Header: Depth=1
	ds_load_b64 v[118:119], v109
	s_wait_dscnt 0x1
	v_cmp_gt_f32_e32 vcc_lo, 0, v110
	v_cndmask_b32_e64 v120, v110, -v110, vcc_lo
	v_cmp_gt_f32_e32 vcc_lo, 0, v111
	v_cndmask_b32_e64 v122, v111, -v111, vcc_lo
	s_wait_dscnt 0x0
	v_cmp_gt_f32_e32 vcc_lo, 0, v118
	v_cndmask_b32_e64 v121, v118, -v118, vcc_lo
	v_cmp_gt_f32_e32 vcc_lo, 0, v119
	v_cndmask_b32_e64 v123, v119, -v119, vcc_lo
	s_delay_alu instid0(VALU_DEP_1) | instskip(NEXT) | instid1(VALU_DEP_1)
	v_pk_add_f32 v[120:121], v[120:121], v[122:123]
	v_cmp_lt_f32_e32 vcc_lo, v120, v121
	v_dual_add_nc_u32 v109, 8, v109 :: v_dual_cndmask_b32 v111, v111, v119, vcc_lo
	v_cndmask_b32_e32 v110, v110, v118, vcc_lo
	v_cndmask_b32_e64 v108, v108, s0, vcc_lo
	s_add_co_i32 s0, s0, 1
	s_delay_alu instid0(SALU_CYCLE_1)
	s_cmp_lg_u32 s18, s0
	s_cbranch_scc1 .LBB100_568
.LBB100_569:
	s_wait_dscnt 0x0
	v_cmp_eq_f32_e32 vcc_lo, 0, v110
	v_cmp_eq_f32_e64 s0, 0, v111
	s_and_b32 s0, vcc_lo, s0
	s_delay_alu instid0(SALU_CYCLE_1) | instskip(NEXT) | instid1(SALU_CYCLE_1)
	s_and_saveexec_b32 s1, s0
	s_xor_b32 s0, exec_lo, s1
; %bb.570:
	v_cmp_ne_u32_e32 vcc_lo, 0, v114
	v_cndmask_b32_e32 v114, 28, v114, vcc_lo
; %bb.571:
	s_and_not1_saveexec_b32 s0, s0
	s_cbranch_execz .LBB100_577
; %bb.572:
	v_cmp_ngt_f32_e64 s1, |v110|, |v111|
	s_and_saveexec_b32 s12, s1
	s_delay_alu instid0(SALU_CYCLE_1)
	s_xor_b32 s1, exec_lo, s12
	s_cbranch_execz .LBB100_574
; %bb.573:
	v_div_scale_f32 v109, null, v111, v111, v110
	v_div_scale_f32 v119, vcc_lo, v110, v111, v110
	s_delay_alu instid0(VALU_DEP_2) | instskip(SKIP_1) | instid1(TRANS32_DEP_1)
	v_rcp_f32_e32 v117, v109
	v_nop
	v_fma_f32 v118, -v109, v117, 1.0
	s_delay_alu instid0(VALU_DEP_1) | instskip(NEXT) | instid1(VALU_DEP_1)
	v_fmac_f32_e32 v117, v118, v117
	v_mul_f32_e32 v118, v119, v117
	s_delay_alu instid0(VALU_DEP_1) | instskip(NEXT) | instid1(VALU_DEP_1)
	v_fma_f32 v120, -v109, v118, v119
	v_fmac_f32_e32 v118, v120, v117
	s_delay_alu instid0(VALU_DEP_1) | instskip(NEXT) | instid1(VALU_DEP_1)
	v_fma_f32 v109, -v109, v118, v119
	v_div_fmas_f32 v109, v109, v117, v118
	s_delay_alu instid0(VALU_DEP_1) | instskip(NEXT) | instid1(VALU_DEP_1)
	v_div_fixup_f32 v109, v109, v111, v110
	v_fmac_f32_e32 v111, v110, v109
	s_delay_alu instid0(VALU_DEP_1) | instskip(SKIP_1) | instid1(VALU_DEP_2)
	v_div_scale_f32 v110, null, v111, v111, 1.0
	v_div_scale_f32 v119, vcc_lo, 1.0, v111, 1.0
	v_rcp_f32_e32 v117, v110
	v_nop
	s_delay_alu instid0(TRANS32_DEP_1) | instskip(NEXT) | instid1(VALU_DEP_1)
	v_fma_f32 v118, -v110, v117, 1.0
	v_fmac_f32_e32 v117, v118, v117
	s_delay_alu instid0(VALU_DEP_1) | instskip(NEXT) | instid1(VALU_DEP_1)
	v_mul_f32_e32 v118, v119, v117
	v_fma_f32 v120, -v110, v118, v119
	s_delay_alu instid0(VALU_DEP_1) | instskip(NEXT) | instid1(VALU_DEP_1)
	v_fmac_f32_e32 v118, v120, v117
	v_fma_f32 v110, -v110, v118, v119
	s_delay_alu instid0(VALU_DEP_1) | instskip(NEXT) | instid1(VALU_DEP_1)
	v_div_fmas_f32 v110, v110, v117, v118
	v_div_fixup_f32 v111, v110, v111, 1.0
	s_delay_alu instid0(VALU_DEP_1)
	v_mul_f32_e32 v110, v109, v111
	v_xor_b32_e32 v111, 0x80000000, v111
.LBB100_574:
	s_and_not1_saveexec_b32 s1, s1
	s_cbranch_execz .LBB100_576
; %bb.575:
	s_delay_alu instid0(VALU_DEP_1) | instskip(SKIP_1) | instid1(VALU_DEP_2)
	v_div_scale_f32 v109, null, v110, v110, v111
	v_div_scale_f32 v119, vcc_lo, v111, v110, v111
	v_rcp_f32_e32 v117, v109
	v_nop
	s_delay_alu instid0(TRANS32_DEP_1) | instskip(NEXT) | instid1(VALU_DEP_1)
	v_fma_f32 v118, -v109, v117, 1.0
	v_fmac_f32_e32 v117, v118, v117
	s_delay_alu instid0(VALU_DEP_1) | instskip(NEXT) | instid1(VALU_DEP_1)
	v_mul_f32_e32 v118, v119, v117
	v_fma_f32 v120, -v109, v118, v119
	s_delay_alu instid0(VALU_DEP_1) | instskip(NEXT) | instid1(VALU_DEP_1)
	v_fmac_f32_e32 v118, v120, v117
	v_fma_f32 v109, -v109, v118, v119
	s_delay_alu instid0(VALU_DEP_1) | instskip(NEXT) | instid1(VALU_DEP_1)
	v_div_fmas_f32 v109, v109, v117, v118
	v_div_fixup_f32 v109, v109, v110, v111
	s_delay_alu instid0(VALU_DEP_1) | instskip(NEXT) | instid1(VALU_DEP_1)
	v_fmac_f32_e32 v110, v111, v109
	v_div_scale_f32 v111, null, v110, v110, 1.0
	s_delay_alu instid0(VALU_DEP_1) | instskip(SKIP_1) | instid1(TRANS32_DEP_1)
	v_rcp_f32_e32 v117, v111
	v_nop
	v_fma_f32 v118, -v111, v117, 1.0
	s_delay_alu instid0(VALU_DEP_1) | instskip(SKIP_1) | instid1(VALU_DEP_1)
	v_fmac_f32_e32 v117, v118, v117
	v_div_scale_f32 v118, vcc_lo, 1.0, v110, 1.0
	v_mul_f32_e32 v119, v118, v117
	s_delay_alu instid0(VALU_DEP_1) | instskip(NEXT) | instid1(VALU_DEP_1)
	v_fma_f32 v120, -v111, v119, v118
	v_fmac_f32_e32 v119, v120, v117
	s_delay_alu instid0(VALU_DEP_1) | instskip(NEXT) | instid1(VALU_DEP_1)
	v_fma_f32 v111, -v111, v119, v118
	v_div_fmas_f32 v111, v111, v117, v119
	s_delay_alu instid0(VALU_DEP_1) | instskip(NEXT) | instid1(VALU_DEP_1)
	v_div_fixup_f32 v110, v111, v110, 1.0
	v_mul_f32_e64 v111, v109, -v110
.LBB100_576:
	s_or_b32 exec_lo, exec_lo, s1
.LBB100_577:
	s_delay_alu instid0(SALU_CYCLE_1) | instskip(NEXT) | instid1(SALU_CYCLE_1)
	s_or_b32 exec_lo, exec_lo, s0
	s_mov_b32 s0, exec_lo
	v_cmpx_ne_u32_e64 v116, v108
	s_xor_b32 s0, exec_lo, s0
	s_cbranch_execz .LBB100_583
; %bb.578:
	s_mov_b32 s1, exec_lo
	v_cmpx_eq_u32_e32 27, v116
	s_cbranch_execz .LBB100_582
; %bb.579:
	v_cmp_ne_u32_e32 vcc_lo, 27, v108
	s_xor_b32 s12, s16, -1
	s_delay_alu instid0(SALU_CYCLE_1) | instskip(NEXT) | instid1(SALU_CYCLE_1)
	s_and_b32 s13, s12, vcc_lo
	s_and_saveexec_b32 s12, s13
	s_cbranch_execz .LBB100_581
; %bb.580:
	v_ashrrev_i32_e32 v109, 31, v108
	s_delay_alu instid0(VALU_DEP_1)
	v_lshl_add_u64 v[116:117], v[108:109], 2, v[4:5]
	s_clause 0x1
	global_load_b32 v109, v[116:117], off
	global_load_b32 v115, v[4:5], off offset:108
	s_wait_loadcnt 0x1
	global_store_b32 v[4:5], v109, off offset:108
	s_wait_loadcnt 0x0
	global_store_b32 v[116:117], v115, off
.LBB100_581:
	s_wait_xcnt 0x0
	s_or_b32 exec_lo, exec_lo, s12
	v_dual_mov_b32 v116, v108 :: v_dual_mov_b32 v115, v108
.LBB100_582:
	s_or_b32 exec_lo, exec_lo, s1
.LBB100_583:
	s_and_not1_saveexec_b32 s0, s0
	s_cbranch_execz .LBB100_585
; %bb.584:
	v_dual_mov_b32 v108, v70 :: v_dual_mov_b32 v109, v71
	v_dual_mov_b32 v116, v68 :: v_dual_mov_b32 v117, v69
	ds_store_2addr_b64 v112, v[108:109], v[116:117] offset0:28 offset1:29
	v_dual_mov_b32 v108, v48 :: v_dual_mov_b32 v109, v49
	v_dual_mov_b32 v116, v46 :: v_dual_mov_b32 v117, v47
	ds_store_2addr_b64 v112, v[108:109], v[116:117] offset0:30 offset1:31
	;; [unrolled: 3-line block ×11, first 2 shown]
	ds_store_b64 v112, v[106:107] offset:400
	v_mov_b32_e32 v116, 27
.LBB100_585:
	s_or_b32 exec_lo, exec_lo, s0
	s_delay_alu instid0(SALU_CYCLE_1)
	s_mov_b32 s0, exec_lo
	s_wait_storecnt_dscnt 0x0
	s_barrier_signal -1
	s_barrier_wait -1
	v_cmpx_lt_i32_e32 27, v116
	s_cbranch_execz .LBB100_587
; %bb.586:
	v_pk_mul_f32 v[118:119], v[110:111], v[38:39] op_sel:[1,1] op_sel_hi:[0,1]
	s_delay_alu instid0(VALU_DEP_1)
	v_pk_fma_f32 v[108:109], v[110:111], v[38:39], v[118:119] op_sel_hi:[1,0,1] neg_lo:[0,0,1] neg_hi:[0,0,1]
	v_pk_fma_f32 v[110:111], v[110:111], v[38:39], v[118:119] op_sel_hi:[1,0,1]
	ds_load_2addr_b64 v[118:121], v112 offset0:28 offset1:29
	v_dual_mov_b32 v38, v108 :: v_dual_mov_b32 v39, v111
	s_wait_dscnt 0x0
	v_pk_mul_f32 v[122:123], v[118:119], v[110:111] op_sel:[0,1]
	s_delay_alu instid0(VALU_DEP_1) | instskip(SKIP_1) | instid1(VALU_DEP_1)
	v_pk_fma_f32 v[124:125], v[118:119], v[108:109], v[122:123] op_sel:[0,0,1] op_sel_hi:[1,1,0] neg_lo:[0,0,1] neg_hi:[0,0,1]
	v_pk_fma_f32 v[118:119], v[118:119], v[108:109], v[122:123] op_sel:[0,0,1] op_sel_hi:[1,0,0]
	v_mov_b32_e32 v125, v119
	v_pk_mul_f32 v[118:119], v[120:121], v[110:111] op_sel:[0,1]
	s_delay_alu instid0(VALU_DEP_1) | instskip(SKIP_1) | instid1(VALU_DEP_1)
	v_pk_fma_f32 v[122:123], v[120:121], v[108:109], v[118:119] op_sel:[0,0,1] op_sel_hi:[1,1,0] neg_lo:[0,0,1] neg_hi:[0,0,1]
	v_pk_fma_f32 v[118:119], v[120:121], v[108:109], v[118:119] op_sel:[0,0,1] op_sel_hi:[1,0,0]
	v_mov_b32_e32 v123, v119
	ds_load_2addr_b64 v[118:121], v112 offset0:30 offset1:31
	v_pk_add_f32 v[70:71], v[70:71], v[124:125] neg_lo:[0,1] neg_hi:[0,1]
	v_pk_add_f32 v[68:69], v[68:69], v[122:123] neg_lo:[0,1] neg_hi:[0,1]
	s_wait_dscnt 0x0
	v_pk_mul_f32 v[122:123], v[118:119], v[110:111] op_sel:[0,1]
	s_delay_alu instid0(VALU_DEP_1) | instskip(SKIP_2) | instid1(VALU_DEP_2)
	v_pk_fma_f32 v[124:125], v[118:119], v[108:109], v[122:123] op_sel:[0,0,1] op_sel_hi:[1,1,0] neg_lo:[0,0,1] neg_hi:[0,0,1]
	v_pk_fma_f32 v[118:119], v[118:119], v[108:109], v[122:123] op_sel:[0,0,1] op_sel_hi:[1,0,0]
	v_dual_mul_f32 v122, v121, v111 :: v_dual_mov_b32 v118, v121
	v_dual_mov_b32 v125, v119 :: v_dual_mov_b32 v119, v120
	s_delay_alu instid0(VALU_DEP_2) | instskip(SKIP_1) | instid1(VALU_DEP_3)
	v_pk_fma_f32 v[122:123], v[120:121], v[38:39], v[122:123] op_sel_hi:[1,1,0] neg_lo:[0,0,1] neg_hi:[0,0,1]
	v_mul_f32_e32 v120, v121, v108
	v_pk_add_f32 v[48:49], v[48:49], v[124:125] neg_lo:[0,1] neg_hi:[0,1]
	s_delay_alu instid0(VALU_DEP_2) | instskip(NEXT) | instid1(VALU_DEP_1)
	v_pk_fma_f32 v[118:119], v[118:119], v[38:39], v[120:121] op_sel_hi:[1,1,0]
	v_mov_b32_e32 v123, v119
	ds_load_2addr_b64 v[118:121], v112 offset0:32 offset1:33
	v_pk_add_f32 v[46:47], v[46:47], v[122:123] neg_lo:[0,1] neg_hi:[0,1]
	s_wait_dscnt 0x0
	v_pk_mul_f32 v[122:123], v[118:119], v[110:111] op_sel:[0,1]
	s_delay_alu instid0(VALU_DEP_1) | instskip(SKIP_1) | instid1(VALU_DEP_1)
	v_pk_fma_f32 v[124:125], v[118:119], v[108:109], v[122:123] op_sel:[0,0,1] op_sel_hi:[1,1,0] neg_lo:[0,0,1] neg_hi:[0,0,1]
	v_pk_fma_f32 v[118:119], v[118:119], v[108:109], v[122:123] op_sel:[0,0,1] op_sel_hi:[1,0,0]
	v_mov_b32_e32 v125, v119
	v_pk_mul_f32 v[118:119], v[120:121], v[110:111] op_sel:[0,1]
	s_delay_alu instid0(VALU_DEP_1) | instskip(SKIP_1) | instid1(VALU_DEP_1)
	v_pk_fma_f32 v[122:123], v[120:121], v[108:109], v[118:119] op_sel:[0,0,1] op_sel_hi:[1,1,0] neg_lo:[0,0,1] neg_hi:[0,0,1]
	v_pk_fma_f32 v[118:119], v[120:121], v[108:109], v[118:119] op_sel:[0,0,1] op_sel_hi:[1,0,0]
	v_mov_b32_e32 v123, v119
	ds_load_2addr_b64 v[118:121], v112 offset0:34 offset1:35
	v_pk_add_f32 v[84:85], v[84:85], v[124:125] neg_lo:[0,1] neg_hi:[0,1]
	v_pk_add_f32 v[82:83], v[82:83], v[122:123] neg_lo:[0,1] neg_hi:[0,1]
	s_wait_dscnt 0x0
	v_pk_mul_f32 v[122:123], v[118:119], v[110:111] op_sel:[0,1]
	s_delay_alu instid0(VALU_DEP_1) | instskip(SKIP_1) | instid1(VALU_DEP_1)
	v_pk_fma_f32 v[124:125], v[118:119], v[108:109], v[122:123] op_sel:[0,0,1] op_sel_hi:[1,1,0] neg_lo:[0,0,1] neg_hi:[0,0,1]
	v_pk_fma_f32 v[118:119], v[118:119], v[108:109], v[122:123] op_sel:[0,0,1] op_sel_hi:[1,0,0]
	v_mov_b32_e32 v125, v119
	v_pk_mul_f32 v[118:119], v[120:121], v[110:111] op_sel:[0,1]
	s_delay_alu instid0(VALU_DEP_1) | instskip(SKIP_1) | instid1(VALU_DEP_1)
	v_pk_fma_f32 v[122:123], v[120:121], v[108:109], v[118:119] op_sel:[0,0,1] op_sel_hi:[1,1,0] neg_lo:[0,0,1] neg_hi:[0,0,1]
	v_pk_fma_f32 v[118:119], v[120:121], v[108:109], v[118:119] op_sel:[0,0,1] op_sel_hi:[1,0,0]
	v_mov_b32_e32 v123, v119
	ds_load_2addr_b64 v[118:121], v112 offset0:36 offset1:37
	v_pk_add_f32 v[56:57], v[56:57], v[124:125] neg_lo:[0,1] neg_hi:[0,1]
	v_pk_add_f32 v[54:55], v[54:55], v[122:123] neg_lo:[0,1] neg_hi:[0,1]
	s_wait_dscnt 0x0
	v_dual_mul_f32 v122, v119, v111 :: v_dual_mul_f32 v124, v119, v108
	s_delay_alu instid0(VALU_DEP_1) | instskip(NEXT) | instid1(VALU_DEP_2)
	v_pk_fma_f32 v[122:123], v[118:119], v[38:39], v[122:123] op_sel_hi:[1,1,0] neg_lo:[0,0,1] neg_hi:[0,0,1]
	v_pk_fma_f32 v[118:119], v[118:119], v[38:39], v[124:125] op_sel:[1,0,0] op_sel_hi:[0,1,0]
	s_delay_alu instid0(VALU_DEP_1) | instskip(SKIP_1) | instid1(VALU_DEP_2)
	v_mov_b32_e32 v123, v119
	v_pk_mul_f32 v[118:119], v[120:121], v[110:111] op_sel:[0,1]
	v_pk_add_f32 v[94:95], v[94:95], v[122:123] neg_lo:[0,1] neg_hi:[0,1]
	s_delay_alu instid0(VALU_DEP_2) | instskip(SKIP_1) | instid1(VALU_DEP_1)
	v_pk_fma_f32 v[122:123], v[120:121], v[108:109], v[118:119] op_sel:[0,0,1] op_sel_hi:[1,1,0] neg_lo:[0,0,1] neg_hi:[0,0,1]
	v_pk_fma_f32 v[118:119], v[120:121], v[108:109], v[118:119] op_sel:[0,0,1] op_sel_hi:[1,0,0]
	v_mov_b32_e32 v123, v119
	ds_load_2addr_b64 v[118:121], v112 offset0:38 offset1:39
	v_pk_add_f32 v[92:93], v[92:93], v[122:123] neg_lo:[0,1] neg_hi:[0,1]
	s_wait_dscnt 0x0
	v_pk_mul_f32 v[122:123], v[118:119], v[110:111] op_sel:[0,1]
	s_delay_alu instid0(VALU_DEP_1) | instskip(SKIP_1) | instid1(VALU_DEP_1)
	v_pk_fma_f32 v[124:125], v[118:119], v[108:109], v[122:123] op_sel:[0,0,1] op_sel_hi:[1,1,0] neg_lo:[0,0,1] neg_hi:[0,0,1]
	v_pk_fma_f32 v[118:119], v[118:119], v[108:109], v[122:123] op_sel:[0,0,1] op_sel_hi:[1,0,0]
	v_mov_b32_e32 v125, v119
	v_pk_mul_f32 v[118:119], v[120:121], v[110:111] op_sel:[0,1]
	s_delay_alu instid0(VALU_DEP_2) | instskip(NEXT) | instid1(VALU_DEP_2)
	v_pk_add_f32 v[66:67], v[66:67], v[124:125] neg_lo:[0,1] neg_hi:[0,1]
	v_pk_fma_f32 v[122:123], v[120:121], v[108:109], v[118:119] op_sel:[0,0,1] op_sel_hi:[1,1,0] neg_lo:[0,0,1] neg_hi:[0,0,1]
	v_pk_fma_f32 v[118:119], v[120:121], v[108:109], v[118:119] op_sel:[0,0,1] op_sel_hi:[1,0,0]
	s_delay_alu instid0(VALU_DEP_1) | instskip(SKIP_4) | instid1(VALU_DEP_1)
	v_mov_b32_e32 v123, v119
	ds_load_2addr_b64 v[118:121], v112 offset0:40 offset1:41
	v_pk_add_f32 v[64:65], v[64:65], v[122:123] neg_lo:[0,1] neg_hi:[0,1]
	s_wait_dscnt 0x0
	v_pk_mul_f32 v[122:123], v[118:119], v[110:111] op_sel:[0,1]
	v_pk_fma_f32 v[124:125], v[118:119], v[108:109], v[122:123] op_sel:[0,0,1] op_sel_hi:[1,1,0] neg_lo:[0,0,1] neg_hi:[0,0,1]
	v_pk_fma_f32 v[118:119], v[118:119], v[108:109], v[122:123] op_sel:[0,0,1] op_sel_hi:[1,0,0]
	v_dual_mul_f32 v122, v121, v111 :: v_dual_mov_b32 v118, v121
	s_delay_alu instid0(VALU_DEP_2) | instskip(NEXT) | instid1(VALU_DEP_2)
	v_dual_mov_b32 v125, v119 :: v_dual_mov_b32 v119, v120
	v_pk_fma_f32 v[122:123], v[120:121], v[38:39], v[122:123] op_sel_hi:[1,1,0] neg_lo:[0,0,1] neg_hi:[0,0,1]
	v_mul_f32_e32 v120, v121, v108
	s_delay_alu instid0(VALU_DEP_3) | instskip(NEXT) | instid1(VALU_DEP_2)
	v_pk_add_f32 v[104:105], v[104:105], v[124:125] neg_lo:[0,1] neg_hi:[0,1]
	v_pk_fma_f32 v[118:119], v[118:119], v[38:39], v[120:121] op_sel_hi:[1,1,0]
	s_delay_alu instid0(VALU_DEP_1) | instskip(SKIP_4) | instid1(VALU_DEP_1)
	v_mov_b32_e32 v123, v119
	ds_load_2addr_b64 v[118:121], v112 offset0:42 offset1:43
	v_pk_add_f32 v[102:103], v[102:103], v[122:123] neg_lo:[0,1] neg_hi:[0,1]
	s_wait_dscnt 0x0
	v_pk_mul_f32 v[122:123], v[118:119], v[110:111] op_sel:[0,1]
	v_pk_fma_f32 v[124:125], v[118:119], v[108:109], v[122:123] op_sel:[0,0,1] op_sel_hi:[1,1,0] neg_lo:[0,0,1] neg_hi:[0,0,1]
	v_pk_fma_f32 v[118:119], v[118:119], v[108:109], v[122:123] op_sel:[0,0,1] op_sel_hi:[1,0,0]
	s_delay_alu instid0(VALU_DEP_1) | instskip(SKIP_1) | instid1(VALU_DEP_1)
	v_mov_b32_e32 v125, v119
	v_pk_mul_f32 v[118:119], v[120:121], v[110:111] op_sel:[0,1]
	v_pk_fma_f32 v[122:123], v[120:121], v[108:109], v[118:119] op_sel:[0,0,1] op_sel_hi:[1,1,0] neg_lo:[0,0,1] neg_hi:[0,0,1]
	v_pk_fma_f32 v[118:119], v[120:121], v[108:109], v[118:119] op_sel:[0,0,1] op_sel_hi:[1,0,0]
	s_delay_alu instid0(VALU_DEP_1)
	v_mov_b32_e32 v123, v119
	ds_load_2addr_b64 v[118:121], v112 offset0:44 offset1:45
	v_pk_add_f32 v[76:77], v[76:77], v[124:125] neg_lo:[0,1] neg_hi:[0,1]
	v_pk_add_f32 v[74:75], v[74:75], v[122:123] neg_lo:[0,1] neg_hi:[0,1]
	s_wait_dscnt 0x0
	v_pk_mul_f32 v[122:123], v[118:119], v[110:111] op_sel:[0,1]
	s_delay_alu instid0(VALU_DEP_1) | instskip(SKIP_1) | instid1(VALU_DEP_1)
	v_pk_fma_f32 v[124:125], v[118:119], v[108:109], v[122:123] op_sel:[0,0,1] op_sel_hi:[1,1,0] neg_lo:[0,0,1] neg_hi:[0,0,1]
	v_pk_fma_f32 v[118:119], v[118:119], v[108:109], v[122:123] op_sel:[0,0,1] op_sel_hi:[1,0,0]
	v_mov_b32_e32 v125, v119
	v_pk_mul_f32 v[118:119], v[120:121], v[110:111] op_sel:[0,1]
	s_delay_alu instid0(VALU_DEP_1) | instskip(SKIP_1) | instid1(VALU_DEP_1)
	v_pk_fma_f32 v[122:123], v[120:121], v[108:109], v[118:119] op_sel:[0,0,1] op_sel_hi:[1,1,0] neg_lo:[0,0,1] neg_hi:[0,0,1]
	v_pk_fma_f32 v[118:119], v[120:121], v[108:109], v[118:119] op_sel:[0,0,1] op_sel_hi:[1,0,0]
	v_mov_b32_e32 v123, v119
	ds_load_2addr_b64 v[118:121], v112 offset0:46 offset1:47
	v_pk_add_f32 v[98:99], v[98:99], v[124:125] neg_lo:[0,1] neg_hi:[0,1]
	v_pk_add_f32 v[96:97], v[96:97], v[122:123] neg_lo:[0,1] neg_hi:[0,1]
	s_wait_dscnt 0x0
	v_dual_mul_f32 v122, v119, v111 :: v_dual_mul_f32 v124, v119, v108
	s_delay_alu instid0(VALU_DEP_1) | instskip(NEXT) | instid1(VALU_DEP_2)
	v_pk_fma_f32 v[122:123], v[118:119], v[38:39], v[122:123] op_sel_hi:[1,1,0] neg_lo:[0,0,1] neg_hi:[0,0,1]
	v_pk_fma_f32 v[118:119], v[118:119], v[38:39], v[124:125] op_sel:[1,0,0] op_sel_hi:[0,1,0]
	s_delay_alu instid0(VALU_DEP_1) | instskip(SKIP_1) | instid1(VALU_DEP_2)
	v_mov_b32_e32 v123, v119
	v_pk_mul_f32 v[118:119], v[120:121], v[110:111] op_sel:[0,1]
	v_pk_add_f32 v[80:81], v[80:81], v[122:123] neg_lo:[0,1] neg_hi:[0,1]
	s_delay_alu instid0(VALU_DEP_2) | instskip(SKIP_1) | instid1(VALU_DEP_1)
	v_pk_fma_f32 v[122:123], v[120:121], v[108:109], v[118:119] op_sel:[0,0,1] op_sel_hi:[1,1,0] neg_lo:[0,0,1] neg_hi:[0,0,1]
	v_pk_fma_f32 v[118:119], v[120:121], v[108:109], v[118:119] op_sel:[0,0,1] op_sel_hi:[1,0,0]
	v_mov_b32_e32 v123, v119
	ds_load_2addr_b64 v[118:121], v112 offset0:48 offset1:49
	v_pk_add_f32 v[78:79], v[78:79], v[122:123] neg_lo:[0,1] neg_hi:[0,1]
	s_wait_dscnt 0x0
	v_pk_mul_f32 v[122:123], v[118:119], v[110:111] op_sel:[0,1]
	s_delay_alu instid0(VALU_DEP_1) | instskip(SKIP_1) | instid1(VALU_DEP_1)
	v_pk_fma_f32 v[124:125], v[118:119], v[108:109], v[122:123] op_sel:[0,0,1] op_sel_hi:[1,1,0] neg_lo:[0,0,1] neg_hi:[0,0,1]
	v_pk_fma_f32 v[118:119], v[118:119], v[108:109], v[122:123] op_sel:[0,0,1] op_sel_hi:[1,0,0]
	v_mov_b32_e32 v125, v119
	v_pk_mul_f32 v[118:119], v[120:121], v[110:111] op_sel:[0,1]
	s_delay_alu instid0(VALU_DEP_2) | instskip(NEXT) | instid1(VALU_DEP_2)
	v_pk_add_f32 v[88:89], v[88:89], v[124:125] neg_lo:[0,1] neg_hi:[0,1]
	v_pk_fma_f32 v[122:123], v[120:121], v[108:109], v[118:119] op_sel:[0,0,1] op_sel_hi:[1,1,0] neg_lo:[0,0,1] neg_hi:[0,0,1]
	v_pk_fma_f32 v[118:119], v[120:121], v[108:109], v[118:119] op_sel:[0,0,1] op_sel_hi:[1,0,0]
	s_delay_alu instid0(VALU_DEP_1) | instskip(SKIP_4) | instid1(VALU_DEP_1)
	v_mov_b32_e32 v123, v119
	ds_load_b64 v[118:119], v112 offset:400
	v_pk_add_f32 v[86:87], v[86:87], v[122:123] neg_lo:[0,1] neg_hi:[0,1]
	s_wait_dscnt 0x0
	v_pk_mul_f32 v[110:111], v[118:119], v[110:111] op_sel:[0,1]
	v_pk_fma_f32 v[120:121], v[118:119], v[108:109], v[110:111] op_sel:[0,0,1] op_sel_hi:[1,1,0] neg_lo:[0,0,1] neg_hi:[0,0,1]
	v_pk_fma_f32 v[108:109], v[118:119], v[108:109], v[110:111] op_sel:[0,0,1] op_sel_hi:[1,0,0]
	s_delay_alu instid0(VALU_DEP_1) | instskip(NEXT) | instid1(VALU_DEP_1)
	v_mov_b32_e32 v121, v109
	v_pk_add_f32 v[106:107], v[106:107], v[120:121] neg_lo:[0,1] neg_hi:[0,1]
.LBB100_587:
	s_or_b32 exec_lo, exec_lo, s0
	v_lshl_add_u32 v108, v116, 3, v112
	s_barrier_signal -1
	s_barrier_wait -1
	ds_store_b64 v108, v[70:71]
	s_wait_dscnt 0x0
	s_barrier_signal -1
	s_barrier_wait -1
	ds_load_b64 v[110:111], v112 offset:224
	v_mov_b32_e32 v108, 28
	s_cmp_lt_i32 s18, 30
	s_cbranch_scc1 .LBB100_590
; %bb.588:
	v_add3_u32 v109, v113, 0, 0xe8
	v_mov_b32_e32 v108, 28
	s_mov_b32 s0, 29
.LBB100_589:                            ; =>This Inner Loop Header: Depth=1
	ds_load_b64 v[118:119], v109
	s_wait_dscnt 0x1
	v_cmp_gt_f32_e32 vcc_lo, 0, v110
	v_cndmask_b32_e64 v120, v110, -v110, vcc_lo
	v_cmp_gt_f32_e32 vcc_lo, 0, v111
	v_cndmask_b32_e64 v122, v111, -v111, vcc_lo
	s_wait_dscnt 0x0
	v_cmp_gt_f32_e32 vcc_lo, 0, v118
	v_cndmask_b32_e64 v121, v118, -v118, vcc_lo
	v_cmp_gt_f32_e32 vcc_lo, 0, v119
	v_cndmask_b32_e64 v123, v119, -v119, vcc_lo
	s_delay_alu instid0(VALU_DEP_1) | instskip(NEXT) | instid1(VALU_DEP_1)
	v_pk_add_f32 v[120:121], v[120:121], v[122:123]
	v_cmp_lt_f32_e32 vcc_lo, v120, v121
	v_dual_add_nc_u32 v109, 8, v109 :: v_dual_cndmask_b32 v111, v111, v119, vcc_lo
	v_cndmask_b32_e32 v110, v110, v118, vcc_lo
	v_cndmask_b32_e64 v108, v108, s0, vcc_lo
	s_add_co_i32 s0, s0, 1
	s_delay_alu instid0(SALU_CYCLE_1)
	s_cmp_lg_u32 s18, s0
	s_cbranch_scc1 .LBB100_589
.LBB100_590:
	s_wait_dscnt 0x0
	v_cmp_eq_f32_e32 vcc_lo, 0, v110
	v_cmp_eq_f32_e64 s0, 0, v111
	s_and_b32 s0, vcc_lo, s0
	s_delay_alu instid0(SALU_CYCLE_1) | instskip(NEXT) | instid1(SALU_CYCLE_1)
	s_and_saveexec_b32 s1, s0
	s_xor_b32 s0, exec_lo, s1
; %bb.591:
	v_cmp_ne_u32_e32 vcc_lo, 0, v114
	v_cndmask_b32_e32 v114, 29, v114, vcc_lo
; %bb.592:
	s_and_not1_saveexec_b32 s0, s0
	s_cbranch_execz .LBB100_598
; %bb.593:
	v_cmp_ngt_f32_e64 s1, |v110|, |v111|
	s_and_saveexec_b32 s12, s1
	s_delay_alu instid0(SALU_CYCLE_1)
	s_xor_b32 s1, exec_lo, s12
	s_cbranch_execz .LBB100_595
; %bb.594:
	v_div_scale_f32 v109, null, v111, v111, v110
	v_div_scale_f32 v119, vcc_lo, v110, v111, v110
	s_delay_alu instid0(VALU_DEP_2) | instskip(SKIP_1) | instid1(TRANS32_DEP_1)
	v_rcp_f32_e32 v117, v109
	v_nop
	v_fma_f32 v118, -v109, v117, 1.0
	s_delay_alu instid0(VALU_DEP_1) | instskip(NEXT) | instid1(VALU_DEP_1)
	v_fmac_f32_e32 v117, v118, v117
	v_mul_f32_e32 v118, v119, v117
	s_delay_alu instid0(VALU_DEP_1) | instskip(NEXT) | instid1(VALU_DEP_1)
	v_fma_f32 v120, -v109, v118, v119
	v_fmac_f32_e32 v118, v120, v117
	s_delay_alu instid0(VALU_DEP_1) | instskip(NEXT) | instid1(VALU_DEP_1)
	v_fma_f32 v109, -v109, v118, v119
	v_div_fmas_f32 v109, v109, v117, v118
	s_delay_alu instid0(VALU_DEP_1) | instskip(NEXT) | instid1(VALU_DEP_1)
	v_div_fixup_f32 v109, v109, v111, v110
	v_fmac_f32_e32 v111, v110, v109
	s_delay_alu instid0(VALU_DEP_1) | instskip(SKIP_1) | instid1(VALU_DEP_2)
	v_div_scale_f32 v110, null, v111, v111, 1.0
	v_div_scale_f32 v119, vcc_lo, 1.0, v111, 1.0
	v_rcp_f32_e32 v117, v110
	v_nop
	s_delay_alu instid0(TRANS32_DEP_1) | instskip(NEXT) | instid1(VALU_DEP_1)
	v_fma_f32 v118, -v110, v117, 1.0
	v_fmac_f32_e32 v117, v118, v117
	s_delay_alu instid0(VALU_DEP_1) | instskip(NEXT) | instid1(VALU_DEP_1)
	v_mul_f32_e32 v118, v119, v117
	v_fma_f32 v120, -v110, v118, v119
	s_delay_alu instid0(VALU_DEP_1) | instskip(NEXT) | instid1(VALU_DEP_1)
	v_fmac_f32_e32 v118, v120, v117
	v_fma_f32 v110, -v110, v118, v119
	s_delay_alu instid0(VALU_DEP_1) | instskip(NEXT) | instid1(VALU_DEP_1)
	v_div_fmas_f32 v110, v110, v117, v118
	v_div_fixup_f32 v111, v110, v111, 1.0
	s_delay_alu instid0(VALU_DEP_1)
	v_mul_f32_e32 v110, v109, v111
	v_xor_b32_e32 v111, 0x80000000, v111
.LBB100_595:
	s_and_not1_saveexec_b32 s1, s1
	s_cbranch_execz .LBB100_597
; %bb.596:
	s_delay_alu instid0(VALU_DEP_1) | instskip(SKIP_1) | instid1(VALU_DEP_2)
	v_div_scale_f32 v109, null, v110, v110, v111
	v_div_scale_f32 v119, vcc_lo, v111, v110, v111
	v_rcp_f32_e32 v117, v109
	v_nop
	s_delay_alu instid0(TRANS32_DEP_1) | instskip(NEXT) | instid1(VALU_DEP_1)
	v_fma_f32 v118, -v109, v117, 1.0
	v_fmac_f32_e32 v117, v118, v117
	s_delay_alu instid0(VALU_DEP_1) | instskip(NEXT) | instid1(VALU_DEP_1)
	v_mul_f32_e32 v118, v119, v117
	v_fma_f32 v120, -v109, v118, v119
	s_delay_alu instid0(VALU_DEP_1) | instskip(NEXT) | instid1(VALU_DEP_1)
	v_fmac_f32_e32 v118, v120, v117
	v_fma_f32 v109, -v109, v118, v119
	s_delay_alu instid0(VALU_DEP_1) | instskip(NEXT) | instid1(VALU_DEP_1)
	v_div_fmas_f32 v109, v109, v117, v118
	v_div_fixup_f32 v109, v109, v110, v111
	s_delay_alu instid0(VALU_DEP_1) | instskip(NEXT) | instid1(VALU_DEP_1)
	v_fmac_f32_e32 v110, v111, v109
	v_div_scale_f32 v111, null, v110, v110, 1.0
	s_delay_alu instid0(VALU_DEP_1) | instskip(SKIP_1) | instid1(TRANS32_DEP_1)
	v_rcp_f32_e32 v117, v111
	v_nop
	v_fma_f32 v118, -v111, v117, 1.0
	s_delay_alu instid0(VALU_DEP_1) | instskip(SKIP_1) | instid1(VALU_DEP_1)
	v_fmac_f32_e32 v117, v118, v117
	v_div_scale_f32 v118, vcc_lo, 1.0, v110, 1.0
	v_mul_f32_e32 v119, v118, v117
	s_delay_alu instid0(VALU_DEP_1) | instskip(NEXT) | instid1(VALU_DEP_1)
	v_fma_f32 v120, -v111, v119, v118
	v_fmac_f32_e32 v119, v120, v117
	s_delay_alu instid0(VALU_DEP_1) | instskip(NEXT) | instid1(VALU_DEP_1)
	v_fma_f32 v111, -v111, v119, v118
	v_div_fmas_f32 v111, v111, v117, v119
	s_delay_alu instid0(VALU_DEP_1) | instskip(NEXT) | instid1(VALU_DEP_1)
	v_div_fixup_f32 v110, v111, v110, 1.0
	v_mul_f32_e64 v111, v109, -v110
.LBB100_597:
	s_or_b32 exec_lo, exec_lo, s1
.LBB100_598:
	s_delay_alu instid0(SALU_CYCLE_1) | instskip(NEXT) | instid1(SALU_CYCLE_1)
	s_or_b32 exec_lo, exec_lo, s0
	s_mov_b32 s0, exec_lo
	v_cmpx_ne_u32_e64 v116, v108
	s_xor_b32 s0, exec_lo, s0
	s_cbranch_execz .LBB100_604
; %bb.599:
	s_mov_b32 s1, exec_lo
	v_cmpx_eq_u32_e32 28, v116
	s_cbranch_execz .LBB100_603
; %bb.600:
	v_cmp_ne_u32_e32 vcc_lo, 28, v108
	s_xor_b32 s12, s16, -1
	s_delay_alu instid0(SALU_CYCLE_1) | instskip(NEXT) | instid1(SALU_CYCLE_1)
	s_and_b32 s13, s12, vcc_lo
	s_and_saveexec_b32 s12, s13
	s_cbranch_execz .LBB100_602
; %bb.601:
	v_ashrrev_i32_e32 v109, 31, v108
	s_delay_alu instid0(VALU_DEP_1)
	v_lshl_add_u64 v[116:117], v[108:109], 2, v[4:5]
	s_clause 0x1
	global_load_b32 v109, v[116:117], off
	global_load_b32 v115, v[4:5], off offset:112
	s_wait_loadcnt 0x1
	global_store_b32 v[4:5], v109, off offset:112
	s_wait_loadcnt 0x0
	global_store_b32 v[116:117], v115, off
.LBB100_602:
	s_wait_xcnt 0x0
	s_or_b32 exec_lo, exec_lo, s12
	v_dual_mov_b32 v116, v108 :: v_dual_mov_b32 v115, v108
.LBB100_603:
	s_or_b32 exec_lo, exec_lo, s1
.LBB100_604:
	s_and_not1_saveexec_b32 s0, s0
	s_cbranch_execz .LBB100_606
; %bb.605:
	v_mov_b32_e32 v116, 28
	ds_store_2addr_b64 v112, v[68:69], v[48:49] offset0:29 offset1:30
	ds_store_2addr_b64 v112, v[46:47], v[84:85] offset0:31 offset1:32
	;; [unrolled: 1-line block ×11, first 2 shown]
.LBB100_606:
	s_or_b32 exec_lo, exec_lo, s0
	s_delay_alu instid0(SALU_CYCLE_1)
	s_mov_b32 s0, exec_lo
	s_wait_storecnt_dscnt 0x0
	s_barrier_signal -1
	s_barrier_wait -1
	v_cmpx_lt_i32_e32 28, v116
	s_cbranch_execz .LBB100_608
; %bb.607:
	v_pk_mul_f32 v[118:119], v[110:111], v[70:71] op_sel:[1,1] op_sel_hi:[0,1]
	s_delay_alu instid0(VALU_DEP_1)
	v_pk_fma_f32 v[108:109], v[110:111], v[70:71], v[118:119] op_sel_hi:[1,0,1] neg_lo:[0,0,1] neg_hi:[0,0,1]
	v_pk_fma_f32 v[110:111], v[110:111], v[70:71], v[118:119] op_sel_hi:[1,0,1]
	ds_load_2addr_b64 v[118:121], v112 offset0:29 offset1:30
	v_dual_mov_b32 v70, v108 :: v_dual_mov_b32 v71, v111
	s_wait_dscnt 0x0
	v_pk_mul_f32 v[122:123], v[118:119], v[110:111] op_sel:[0,1]
	s_delay_alu instid0(VALU_DEP_1) | instskip(SKIP_1) | instid1(VALU_DEP_1)
	v_pk_fma_f32 v[124:125], v[118:119], v[108:109], v[122:123] op_sel:[0,0,1] op_sel_hi:[1,1,0] neg_lo:[0,0,1] neg_hi:[0,0,1]
	v_pk_fma_f32 v[118:119], v[118:119], v[108:109], v[122:123] op_sel:[0,0,1] op_sel_hi:[1,0,0]
	v_mov_b32_e32 v125, v119
	v_pk_mul_f32 v[118:119], v[120:121], v[110:111] op_sel:[0,1]
	s_delay_alu instid0(VALU_DEP_1) | instskip(SKIP_1) | instid1(VALU_DEP_1)
	v_pk_fma_f32 v[122:123], v[120:121], v[108:109], v[118:119] op_sel:[0,0,1] op_sel_hi:[1,1,0] neg_lo:[0,0,1] neg_hi:[0,0,1]
	v_pk_fma_f32 v[118:119], v[120:121], v[108:109], v[118:119] op_sel:[0,0,1] op_sel_hi:[1,0,0]
	v_mov_b32_e32 v123, v119
	ds_load_2addr_b64 v[118:121], v112 offset0:31 offset1:32
	v_pk_add_f32 v[68:69], v[68:69], v[124:125] neg_lo:[0,1] neg_hi:[0,1]
	v_pk_add_f32 v[48:49], v[48:49], v[122:123] neg_lo:[0,1] neg_hi:[0,1]
	s_wait_dscnt 0x0
	v_pk_mul_f32 v[122:123], v[118:119], v[110:111] op_sel:[0,1]
	s_delay_alu instid0(VALU_DEP_1) | instskip(SKIP_2) | instid1(VALU_DEP_2)
	v_pk_fma_f32 v[124:125], v[118:119], v[108:109], v[122:123] op_sel:[0,0,1] op_sel_hi:[1,1,0] neg_lo:[0,0,1] neg_hi:[0,0,1]
	v_pk_fma_f32 v[118:119], v[118:119], v[108:109], v[122:123] op_sel:[0,0,1] op_sel_hi:[1,0,0]
	v_dual_mul_f32 v122, v121, v111 :: v_dual_mov_b32 v118, v121
	v_dual_mov_b32 v125, v119 :: v_dual_mov_b32 v119, v120
	s_delay_alu instid0(VALU_DEP_2) | instskip(SKIP_1) | instid1(VALU_DEP_3)
	v_pk_fma_f32 v[122:123], v[120:121], v[70:71], v[122:123] op_sel_hi:[1,1,0] neg_lo:[0,0,1] neg_hi:[0,0,1]
	v_mul_f32_e32 v120, v121, v108
	v_pk_add_f32 v[46:47], v[46:47], v[124:125] neg_lo:[0,1] neg_hi:[0,1]
	s_delay_alu instid0(VALU_DEP_2) | instskip(NEXT) | instid1(VALU_DEP_1)
	v_pk_fma_f32 v[118:119], v[118:119], v[70:71], v[120:121] op_sel_hi:[1,1,0]
	v_mov_b32_e32 v123, v119
	ds_load_2addr_b64 v[118:121], v112 offset0:33 offset1:34
	v_pk_add_f32 v[84:85], v[84:85], v[122:123] neg_lo:[0,1] neg_hi:[0,1]
	s_wait_dscnt 0x0
	v_pk_mul_f32 v[122:123], v[118:119], v[110:111] op_sel:[0,1]
	s_delay_alu instid0(VALU_DEP_1) | instskip(SKIP_1) | instid1(VALU_DEP_1)
	v_pk_fma_f32 v[124:125], v[118:119], v[108:109], v[122:123] op_sel:[0,0,1] op_sel_hi:[1,1,0] neg_lo:[0,0,1] neg_hi:[0,0,1]
	v_pk_fma_f32 v[118:119], v[118:119], v[108:109], v[122:123] op_sel:[0,0,1] op_sel_hi:[1,0,0]
	v_mov_b32_e32 v125, v119
	v_pk_mul_f32 v[118:119], v[120:121], v[110:111] op_sel:[0,1]
	s_delay_alu instid0(VALU_DEP_1) | instskip(SKIP_1) | instid1(VALU_DEP_1)
	v_pk_fma_f32 v[122:123], v[120:121], v[108:109], v[118:119] op_sel:[0,0,1] op_sel_hi:[1,1,0] neg_lo:[0,0,1] neg_hi:[0,0,1]
	v_pk_fma_f32 v[118:119], v[120:121], v[108:109], v[118:119] op_sel:[0,0,1] op_sel_hi:[1,0,0]
	v_mov_b32_e32 v123, v119
	ds_load_2addr_b64 v[118:121], v112 offset0:35 offset1:36
	v_pk_add_f32 v[82:83], v[82:83], v[124:125] neg_lo:[0,1] neg_hi:[0,1]
	v_pk_add_f32 v[56:57], v[56:57], v[122:123] neg_lo:[0,1] neg_hi:[0,1]
	s_wait_dscnt 0x0
	v_pk_mul_f32 v[122:123], v[118:119], v[110:111] op_sel:[0,1]
	s_delay_alu instid0(VALU_DEP_1) | instskip(SKIP_1) | instid1(VALU_DEP_1)
	v_pk_fma_f32 v[124:125], v[118:119], v[108:109], v[122:123] op_sel:[0,0,1] op_sel_hi:[1,1,0] neg_lo:[0,0,1] neg_hi:[0,0,1]
	v_pk_fma_f32 v[118:119], v[118:119], v[108:109], v[122:123] op_sel:[0,0,1] op_sel_hi:[1,0,0]
	v_mov_b32_e32 v125, v119
	v_pk_mul_f32 v[118:119], v[120:121], v[110:111] op_sel:[0,1]
	s_delay_alu instid0(VALU_DEP_1) | instskip(SKIP_1) | instid1(VALU_DEP_1)
	v_pk_fma_f32 v[122:123], v[120:121], v[108:109], v[118:119] op_sel:[0,0,1] op_sel_hi:[1,1,0] neg_lo:[0,0,1] neg_hi:[0,0,1]
	v_pk_fma_f32 v[118:119], v[120:121], v[108:109], v[118:119] op_sel:[0,0,1] op_sel_hi:[1,0,0]
	v_mov_b32_e32 v123, v119
	ds_load_2addr_b64 v[118:121], v112 offset0:37 offset1:38
	v_pk_add_f32 v[54:55], v[54:55], v[124:125] neg_lo:[0,1] neg_hi:[0,1]
	v_pk_add_f32 v[94:95], v[94:95], v[122:123] neg_lo:[0,1] neg_hi:[0,1]
	s_wait_dscnt 0x0
	v_dual_mul_f32 v122, v119, v111 :: v_dual_mul_f32 v124, v119, v108
	s_delay_alu instid0(VALU_DEP_1) | instskip(NEXT) | instid1(VALU_DEP_2)
	v_pk_fma_f32 v[122:123], v[118:119], v[70:71], v[122:123] op_sel_hi:[1,1,0] neg_lo:[0,0,1] neg_hi:[0,0,1]
	v_pk_fma_f32 v[118:119], v[118:119], v[70:71], v[124:125] op_sel:[1,0,0] op_sel_hi:[0,1,0]
	s_delay_alu instid0(VALU_DEP_1) | instskip(SKIP_1) | instid1(VALU_DEP_2)
	v_mov_b32_e32 v123, v119
	v_pk_mul_f32 v[118:119], v[120:121], v[110:111] op_sel:[0,1]
	v_pk_add_f32 v[92:93], v[92:93], v[122:123] neg_lo:[0,1] neg_hi:[0,1]
	s_delay_alu instid0(VALU_DEP_2) | instskip(SKIP_1) | instid1(VALU_DEP_1)
	v_pk_fma_f32 v[122:123], v[120:121], v[108:109], v[118:119] op_sel:[0,0,1] op_sel_hi:[1,1,0] neg_lo:[0,0,1] neg_hi:[0,0,1]
	v_pk_fma_f32 v[118:119], v[120:121], v[108:109], v[118:119] op_sel:[0,0,1] op_sel_hi:[1,0,0]
	v_mov_b32_e32 v123, v119
	ds_load_2addr_b64 v[118:121], v112 offset0:39 offset1:40
	v_pk_add_f32 v[66:67], v[66:67], v[122:123] neg_lo:[0,1] neg_hi:[0,1]
	s_wait_dscnt 0x0
	v_pk_mul_f32 v[122:123], v[118:119], v[110:111] op_sel:[0,1]
	s_delay_alu instid0(VALU_DEP_1) | instskip(SKIP_1) | instid1(VALU_DEP_1)
	v_pk_fma_f32 v[124:125], v[118:119], v[108:109], v[122:123] op_sel:[0,0,1] op_sel_hi:[1,1,0] neg_lo:[0,0,1] neg_hi:[0,0,1]
	v_pk_fma_f32 v[118:119], v[118:119], v[108:109], v[122:123] op_sel:[0,0,1] op_sel_hi:[1,0,0]
	v_mov_b32_e32 v125, v119
	v_pk_mul_f32 v[118:119], v[120:121], v[110:111] op_sel:[0,1]
	s_delay_alu instid0(VALU_DEP_2) | instskip(NEXT) | instid1(VALU_DEP_2)
	v_pk_add_f32 v[64:65], v[64:65], v[124:125] neg_lo:[0,1] neg_hi:[0,1]
	v_pk_fma_f32 v[122:123], v[120:121], v[108:109], v[118:119] op_sel:[0,0,1] op_sel_hi:[1,1,0] neg_lo:[0,0,1] neg_hi:[0,0,1]
	v_pk_fma_f32 v[118:119], v[120:121], v[108:109], v[118:119] op_sel:[0,0,1] op_sel_hi:[1,0,0]
	s_delay_alu instid0(VALU_DEP_1) | instskip(SKIP_4) | instid1(VALU_DEP_1)
	v_mov_b32_e32 v123, v119
	ds_load_2addr_b64 v[118:121], v112 offset0:41 offset1:42
	v_pk_add_f32 v[104:105], v[104:105], v[122:123] neg_lo:[0,1] neg_hi:[0,1]
	s_wait_dscnt 0x0
	v_pk_mul_f32 v[122:123], v[118:119], v[110:111] op_sel:[0,1]
	v_pk_fma_f32 v[124:125], v[118:119], v[108:109], v[122:123] op_sel:[0,0,1] op_sel_hi:[1,1,0] neg_lo:[0,0,1] neg_hi:[0,0,1]
	v_pk_fma_f32 v[118:119], v[118:119], v[108:109], v[122:123] op_sel:[0,0,1] op_sel_hi:[1,0,0]
	v_dual_mul_f32 v122, v121, v111 :: v_dual_mov_b32 v118, v121
	s_delay_alu instid0(VALU_DEP_2) | instskip(NEXT) | instid1(VALU_DEP_2)
	v_dual_mov_b32 v125, v119 :: v_dual_mov_b32 v119, v120
	v_pk_fma_f32 v[122:123], v[120:121], v[70:71], v[122:123] op_sel_hi:[1,1,0] neg_lo:[0,0,1] neg_hi:[0,0,1]
	v_mul_f32_e32 v120, v121, v108
	s_delay_alu instid0(VALU_DEP_3) | instskip(NEXT) | instid1(VALU_DEP_2)
	v_pk_add_f32 v[102:103], v[102:103], v[124:125] neg_lo:[0,1] neg_hi:[0,1]
	v_pk_fma_f32 v[118:119], v[118:119], v[70:71], v[120:121] op_sel_hi:[1,1,0]
	s_delay_alu instid0(VALU_DEP_1) | instskip(SKIP_4) | instid1(VALU_DEP_1)
	v_mov_b32_e32 v123, v119
	ds_load_2addr_b64 v[118:121], v112 offset0:43 offset1:44
	v_pk_add_f32 v[76:77], v[76:77], v[122:123] neg_lo:[0,1] neg_hi:[0,1]
	s_wait_dscnt 0x0
	v_pk_mul_f32 v[122:123], v[118:119], v[110:111] op_sel:[0,1]
	v_pk_fma_f32 v[124:125], v[118:119], v[108:109], v[122:123] op_sel:[0,0,1] op_sel_hi:[1,1,0] neg_lo:[0,0,1] neg_hi:[0,0,1]
	v_pk_fma_f32 v[118:119], v[118:119], v[108:109], v[122:123] op_sel:[0,0,1] op_sel_hi:[1,0,0]
	s_delay_alu instid0(VALU_DEP_1) | instskip(SKIP_1) | instid1(VALU_DEP_1)
	v_mov_b32_e32 v125, v119
	v_pk_mul_f32 v[118:119], v[120:121], v[110:111] op_sel:[0,1]
	v_pk_fma_f32 v[122:123], v[120:121], v[108:109], v[118:119] op_sel:[0,0,1] op_sel_hi:[1,1,0] neg_lo:[0,0,1] neg_hi:[0,0,1]
	v_pk_fma_f32 v[118:119], v[120:121], v[108:109], v[118:119] op_sel:[0,0,1] op_sel_hi:[1,0,0]
	s_delay_alu instid0(VALU_DEP_1)
	v_mov_b32_e32 v123, v119
	ds_load_2addr_b64 v[118:121], v112 offset0:45 offset1:46
	v_pk_add_f32 v[74:75], v[74:75], v[124:125] neg_lo:[0,1] neg_hi:[0,1]
	v_pk_add_f32 v[98:99], v[98:99], v[122:123] neg_lo:[0,1] neg_hi:[0,1]
	s_wait_dscnt 0x0
	v_pk_mul_f32 v[122:123], v[118:119], v[110:111] op_sel:[0,1]
	s_delay_alu instid0(VALU_DEP_1) | instskip(SKIP_1) | instid1(VALU_DEP_1)
	v_pk_fma_f32 v[124:125], v[118:119], v[108:109], v[122:123] op_sel:[0,0,1] op_sel_hi:[1,1,0] neg_lo:[0,0,1] neg_hi:[0,0,1]
	v_pk_fma_f32 v[118:119], v[118:119], v[108:109], v[122:123] op_sel:[0,0,1] op_sel_hi:[1,0,0]
	v_mov_b32_e32 v125, v119
	v_pk_mul_f32 v[118:119], v[120:121], v[110:111] op_sel:[0,1]
	s_delay_alu instid0(VALU_DEP_1) | instskip(SKIP_1) | instid1(VALU_DEP_1)
	v_pk_fma_f32 v[122:123], v[120:121], v[108:109], v[118:119] op_sel:[0,0,1] op_sel_hi:[1,1,0] neg_lo:[0,0,1] neg_hi:[0,0,1]
	v_pk_fma_f32 v[118:119], v[120:121], v[108:109], v[118:119] op_sel:[0,0,1] op_sel_hi:[1,0,0]
	v_mov_b32_e32 v123, v119
	ds_load_2addr_b64 v[118:121], v112 offset0:47 offset1:48
	v_pk_add_f32 v[96:97], v[96:97], v[124:125] neg_lo:[0,1] neg_hi:[0,1]
	v_pk_add_f32 v[80:81], v[80:81], v[122:123] neg_lo:[0,1] neg_hi:[0,1]
	s_wait_dscnt 0x0
	v_dual_mul_f32 v122, v119, v111 :: v_dual_mul_f32 v124, v119, v108
	s_delay_alu instid0(VALU_DEP_1) | instskip(NEXT) | instid1(VALU_DEP_2)
	v_pk_fma_f32 v[122:123], v[118:119], v[70:71], v[122:123] op_sel_hi:[1,1,0] neg_lo:[0,0,1] neg_hi:[0,0,1]
	v_pk_fma_f32 v[118:119], v[118:119], v[70:71], v[124:125] op_sel:[1,0,0] op_sel_hi:[0,1,0]
	s_delay_alu instid0(VALU_DEP_1) | instskip(SKIP_1) | instid1(VALU_DEP_2)
	v_mov_b32_e32 v123, v119
	v_pk_mul_f32 v[118:119], v[120:121], v[110:111] op_sel:[0,1]
	v_pk_add_f32 v[78:79], v[78:79], v[122:123] neg_lo:[0,1] neg_hi:[0,1]
	s_delay_alu instid0(VALU_DEP_2) | instskip(SKIP_1) | instid1(VALU_DEP_1)
	v_pk_fma_f32 v[122:123], v[120:121], v[108:109], v[118:119] op_sel:[0,0,1] op_sel_hi:[1,1,0] neg_lo:[0,0,1] neg_hi:[0,0,1]
	v_pk_fma_f32 v[118:119], v[120:121], v[108:109], v[118:119] op_sel:[0,0,1] op_sel_hi:[1,0,0]
	v_mov_b32_e32 v123, v119
	ds_load_2addr_b64 v[118:121], v112 offset0:49 offset1:50
	v_pk_add_f32 v[88:89], v[88:89], v[122:123] neg_lo:[0,1] neg_hi:[0,1]
	s_wait_dscnt 0x0
	v_pk_mul_f32 v[122:123], v[118:119], v[110:111] op_sel:[0,1]
	v_pk_mul_f32 v[110:111], v[120:121], v[110:111] op_sel:[0,1]
	s_delay_alu instid0(VALU_DEP_2) | instskip(SKIP_1) | instid1(VALU_DEP_1)
	v_pk_fma_f32 v[124:125], v[118:119], v[108:109], v[122:123] op_sel:[0,0,1] op_sel_hi:[1,1,0] neg_lo:[0,0,1] neg_hi:[0,0,1]
	v_pk_fma_f32 v[118:119], v[118:119], v[108:109], v[122:123] op_sel:[0,0,1] op_sel_hi:[1,0,0]
	v_mov_b32_e32 v125, v119
	s_delay_alu instid0(VALU_DEP_4) | instskip(SKIP_1) | instid1(VALU_DEP_3)
	v_pk_fma_f32 v[118:119], v[120:121], v[108:109], v[110:111] op_sel:[0,0,1] op_sel_hi:[1,1,0] neg_lo:[0,0,1] neg_hi:[0,0,1]
	v_pk_fma_f32 v[108:109], v[120:121], v[108:109], v[110:111] op_sel:[0,0,1] op_sel_hi:[1,0,0]
	v_pk_add_f32 v[86:87], v[86:87], v[124:125] neg_lo:[0,1] neg_hi:[0,1]
	s_delay_alu instid0(VALU_DEP_2) | instskip(NEXT) | instid1(VALU_DEP_1)
	v_mov_b32_e32 v119, v109
	v_pk_add_f32 v[106:107], v[106:107], v[118:119] neg_lo:[0,1] neg_hi:[0,1]
.LBB100_608:
	s_or_b32 exec_lo, exec_lo, s0
	v_lshl_add_u32 v108, v116, 3, v112
	s_barrier_signal -1
	s_barrier_wait -1
	ds_store_b64 v108, v[68:69]
	s_wait_dscnt 0x0
	s_barrier_signal -1
	s_barrier_wait -1
	ds_load_b64 v[110:111], v112 offset:232
	v_mov_b32_e32 v108, 29
	s_cmp_lt_i32 s18, 31
	s_cbranch_scc1 .LBB100_611
; %bb.609:
	v_add3_u32 v109, v113, 0, 0xf0
	v_mov_b32_e32 v108, 29
	s_mov_b32 s0, 30
.LBB100_610:                            ; =>This Inner Loop Header: Depth=1
	ds_load_b64 v[118:119], v109
	s_wait_dscnt 0x1
	v_cmp_gt_f32_e32 vcc_lo, 0, v110
	v_cndmask_b32_e64 v120, v110, -v110, vcc_lo
	v_cmp_gt_f32_e32 vcc_lo, 0, v111
	v_cndmask_b32_e64 v122, v111, -v111, vcc_lo
	s_wait_dscnt 0x0
	v_cmp_gt_f32_e32 vcc_lo, 0, v118
	v_cndmask_b32_e64 v121, v118, -v118, vcc_lo
	v_cmp_gt_f32_e32 vcc_lo, 0, v119
	v_cndmask_b32_e64 v123, v119, -v119, vcc_lo
	s_delay_alu instid0(VALU_DEP_1) | instskip(NEXT) | instid1(VALU_DEP_1)
	v_pk_add_f32 v[120:121], v[120:121], v[122:123]
	v_cmp_lt_f32_e32 vcc_lo, v120, v121
	v_dual_add_nc_u32 v109, 8, v109 :: v_dual_cndmask_b32 v111, v111, v119, vcc_lo
	v_cndmask_b32_e32 v110, v110, v118, vcc_lo
	v_cndmask_b32_e64 v108, v108, s0, vcc_lo
	s_add_co_i32 s0, s0, 1
	s_delay_alu instid0(SALU_CYCLE_1)
	s_cmp_lg_u32 s18, s0
	s_cbranch_scc1 .LBB100_610
.LBB100_611:
	s_wait_dscnt 0x0
	v_cmp_eq_f32_e32 vcc_lo, 0, v110
	v_cmp_eq_f32_e64 s0, 0, v111
	s_and_b32 s0, vcc_lo, s0
	s_delay_alu instid0(SALU_CYCLE_1) | instskip(NEXT) | instid1(SALU_CYCLE_1)
	s_and_saveexec_b32 s1, s0
	s_xor_b32 s0, exec_lo, s1
; %bb.612:
	v_cmp_ne_u32_e32 vcc_lo, 0, v114
	v_cndmask_b32_e32 v114, 30, v114, vcc_lo
; %bb.613:
	s_and_not1_saveexec_b32 s0, s0
	s_cbranch_execz .LBB100_619
; %bb.614:
	v_cmp_ngt_f32_e64 s1, |v110|, |v111|
	s_and_saveexec_b32 s12, s1
	s_delay_alu instid0(SALU_CYCLE_1)
	s_xor_b32 s1, exec_lo, s12
	s_cbranch_execz .LBB100_616
; %bb.615:
	v_div_scale_f32 v109, null, v111, v111, v110
	v_div_scale_f32 v119, vcc_lo, v110, v111, v110
	s_delay_alu instid0(VALU_DEP_2) | instskip(SKIP_1) | instid1(TRANS32_DEP_1)
	v_rcp_f32_e32 v117, v109
	v_nop
	v_fma_f32 v118, -v109, v117, 1.0
	s_delay_alu instid0(VALU_DEP_1) | instskip(NEXT) | instid1(VALU_DEP_1)
	v_fmac_f32_e32 v117, v118, v117
	v_mul_f32_e32 v118, v119, v117
	s_delay_alu instid0(VALU_DEP_1) | instskip(NEXT) | instid1(VALU_DEP_1)
	v_fma_f32 v120, -v109, v118, v119
	v_fmac_f32_e32 v118, v120, v117
	s_delay_alu instid0(VALU_DEP_1) | instskip(NEXT) | instid1(VALU_DEP_1)
	v_fma_f32 v109, -v109, v118, v119
	v_div_fmas_f32 v109, v109, v117, v118
	s_delay_alu instid0(VALU_DEP_1) | instskip(NEXT) | instid1(VALU_DEP_1)
	v_div_fixup_f32 v109, v109, v111, v110
	v_fmac_f32_e32 v111, v110, v109
	s_delay_alu instid0(VALU_DEP_1) | instskip(SKIP_1) | instid1(VALU_DEP_2)
	v_div_scale_f32 v110, null, v111, v111, 1.0
	v_div_scale_f32 v119, vcc_lo, 1.0, v111, 1.0
	v_rcp_f32_e32 v117, v110
	v_nop
	s_delay_alu instid0(TRANS32_DEP_1) | instskip(NEXT) | instid1(VALU_DEP_1)
	v_fma_f32 v118, -v110, v117, 1.0
	v_fmac_f32_e32 v117, v118, v117
	s_delay_alu instid0(VALU_DEP_1) | instskip(NEXT) | instid1(VALU_DEP_1)
	v_mul_f32_e32 v118, v119, v117
	v_fma_f32 v120, -v110, v118, v119
	s_delay_alu instid0(VALU_DEP_1) | instskip(NEXT) | instid1(VALU_DEP_1)
	v_fmac_f32_e32 v118, v120, v117
	v_fma_f32 v110, -v110, v118, v119
	s_delay_alu instid0(VALU_DEP_1) | instskip(NEXT) | instid1(VALU_DEP_1)
	v_div_fmas_f32 v110, v110, v117, v118
	v_div_fixup_f32 v111, v110, v111, 1.0
	s_delay_alu instid0(VALU_DEP_1)
	v_mul_f32_e32 v110, v109, v111
	v_xor_b32_e32 v111, 0x80000000, v111
.LBB100_616:
	s_and_not1_saveexec_b32 s1, s1
	s_cbranch_execz .LBB100_618
; %bb.617:
	s_delay_alu instid0(VALU_DEP_1) | instskip(SKIP_1) | instid1(VALU_DEP_2)
	v_div_scale_f32 v109, null, v110, v110, v111
	v_div_scale_f32 v119, vcc_lo, v111, v110, v111
	v_rcp_f32_e32 v117, v109
	v_nop
	s_delay_alu instid0(TRANS32_DEP_1) | instskip(NEXT) | instid1(VALU_DEP_1)
	v_fma_f32 v118, -v109, v117, 1.0
	v_fmac_f32_e32 v117, v118, v117
	s_delay_alu instid0(VALU_DEP_1) | instskip(NEXT) | instid1(VALU_DEP_1)
	v_mul_f32_e32 v118, v119, v117
	v_fma_f32 v120, -v109, v118, v119
	s_delay_alu instid0(VALU_DEP_1) | instskip(NEXT) | instid1(VALU_DEP_1)
	v_fmac_f32_e32 v118, v120, v117
	v_fma_f32 v109, -v109, v118, v119
	s_delay_alu instid0(VALU_DEP_1) | instskip(NEXT) | instid1(VALU_DEP_1)
	v_div_fmas_f32 v109, v109, v117, v118
	v_div_fixup_f32 v109, v109, v110, v111
	s_delay_alu instid0(VALU_DEP_1) | instskip(NEXT) | instid1(VALU_DEP_1)
	v_fmac_f32_e32 v110, v111, v109
	v_div_scale_f32 v111, null, v110, v110, 1.0
	s_delay_alu instid0(VALU_DEP_1) | instskip(SKIP_1) | instid1(TRANS32_DEP_1)
	v_rcp_f32_e32 v117, v111
	v_nop
	v_fma_f32 v118, -v111, v117, 1.0
	s_delay_alu instid0(VALU_DEP_1) | instskip(SKIP_1) | instid1(VALU_DEP_1)
	v_fmac_f32_e32 v117, v118, v117
	v_div_scale_f32 v118, vcc_lo, 1.0, v110, 1.0
	v_mul_f32_e32 v119, v118, v117
	s_delay_alu instid0(VALU_DEP_1) | instskip(NEXT) | instid1(VALU_DEP_1)
	v_fma_f32 v120, -v111, v119, v118
	v_fmac_f32_e32 v119, v120, v117
	s_delay_alu instid0(VALU_DEP_1) | instskip(NEXT) | instid1(VALU_DEP_1)
	v_fma_f32 v111, -v111, v119, v118
	v_div_fmas_f32 v111, v111, v117, v119
	s_delay_alu instid0(VALU_DEP_1) | instskip(NEXT) | instid1(VALU_DEP_1)
	v_div_fixup_f32 v110, v111, v110, 1.0
	v_mul_f32_e64 v111, v109, -v110
.LBB100_618:
	s_or_b32 exec_lo, exec_lo, s1
.LBB100_619:
	s_delay_alu instid0(SALU_CYCLE_1) | instskip(NEXT) | instid1(SALU_CYCLE_1)
	s_or_b32 exec_lo, exec_lo, s0
	s_mov_b32 s0, exec_lo
	v_cmpx_ne_u32_e64 v116, v108
	s_xor_b32 s0, exec_lo, s0
	s_cbranch_execz .LBB100_625
; %bb.620:
	s_mov_b32 s1, exec_lo
	v_cmpx_eq_u32_e32 29, v116
	s_cbranch_execz .LBB100_624
; %bb.621:
	v_cmp_ne_u32_e32 vcc_lo, 29, v108
	s_xor_b32 s12, s16, -1
	s_delay_alu instid0(SALU_CYCLE_1) | instskip(NEXT) | instid1(SALU_CYCLE_1)
	s_and_b32 s13, s12, vcc_lo
	s_and_saveexec_b32 s12, s13
	s_cbranch_execz .LBB100_623
; %bb.622:
	v_ashrrev_i32_e32 v109, 31, v108
	s_delay_alu instid0(VALU_DEP_1)
	v_lshl_add_u64 v[116:117], v[108:109], 2, v[4:5]
	s_clause 0x1
	global_load_b32 v109, v[116:117], off
	global_load_b32 v115, v[4:5], off offset:116
	s_wait_loadcnt 0x1
	global_store_b32 v[4:5], v109, off offset:116
	s_wait_loadcnt 0x0
	global_store_b32 v[116:117], v115, off
.LBB100_623:
	s_wait_xcnt 0x0
	s_or_b32 exec_lo, exec_lo, s12
	v_dual_mov_b32 v116, v108 :: v_dual_mov_b32 v115, v108
.LBB100_624:
	s_or_b32 exec_lo, exec_lo, s1
.LBB100_625:
	s_and_not1_saveexec_b32 s0, s0
	s_cbranch_execz .LBB100_627
; %bb.626:
	v_dual_mov_b32 v108, v48 :: v_dual_mov_b32 v109, v49
	v_dual_mov_b32 v116, v46 :: v_dual_mov_b32 v117, v47
	ds_store_2addr_b64 v112, v[108:109], v[116:117] offset0:30 offset1:31
	v_dual_mov_b32 v108, v84 :: v_dual_mov_b32 v109, v85
	v_dual_mov_b32 v116, v82 :: v_dual_mov_b32 v117, v83
	ds_store_2addr_b64 v112, v[108:109], v[116:117] offset0:32 offset1:33
	;; [unrolled: 3-line block ×10, first 2 shown]
	ds_store_b64 v112, v[106:107] offset:400
	v_mov_b32_e32 v116, 29
.LBB100_627:
	s_or_b32 exec_lo, exec_lo, s0
	s_delay_alu instid0(SALU_CYCLE_1)
	s_mov_b32 s0, exec_lo
	s_wait_storecnt_dscnt 0x0
	s_barrier_signal -1
	s_barrier_wait -1
	v_cmpx_lt_i32_e32 29, v116
	s_cbranch_execz .LBB100_629
; %bb.628:
	v_pk_mul_f32 v[118:119], v[110:111], v[68:69] op_sel:[1,1] op_sel_hi:[0,1]
	s_delay_alu instid0(VALU_DEP_1)
	v_pk_fma_f32 v[108:109], v[110:111], v[68:69], v[118:119] op_sel_hi:[1,0,1] neg_lo:[0,0,1] neg_hi:[0,0,1]
	v_pk_fma_f32 v[110:111], v[110:111], v[68:69], v[118:119] op_sel_hi:[1,0,1]
	ds_load_2addr_b64 v[118:121], v112 offset0:30 offset1:31
	v_dual_mov_b32 v68, v108 :: v_dual_mov_b32 v69, v111
	s_wait_dscnt 0x0
	v_pk_mul_f32 v[122:123], v[118:119], v[110:111] op_sel:[0,1]
	s_delay_alu instid0(VALU_DEP_1) | instskip(SKIP_1) | instid1(VALU_DEP_1)
	v_pk_fma_f32 v[124:125], v[118:119], v[108:109], v[122:123] op_sel:[0,0,1] op_sel_hi:[1,1,0] neg_lo:[0,0,1] neg_hi:[0,0,1]
	v_pk_fma_f32 v[118:119], v[118:119], v[108:109], v[122:123] op_sel:[0,0,1] op_sel_hi:[1,0,0]
	v_mov_b32_e32 v125, v119
	v_pk_mul_f32 v[118:119], v[120:121], v[110:111] op_sel:[0,1]
	s_delay_alu instid0(VALU_DEP_1) | instskip(SKIP_1) | instid1(VALU_DEP_1)
	v_pk_fma_f32 v[122:123], v[120:121], v[108:109], v[118:119] op_sel:[0,0,1] op_sel_hi:[1,1,0] neg_lo:[0,0,1] neg_hi:[0,0,1]
	v_pk_fma_f32 v[118:119], v[120:121], v[108:109], v[118:119] op_sel:[0,0,1] op_sel_hi:[1,0,0]
	v_mov_b32_e32 v123, v119
	ds_load_2addr_b64 v[118:121], v112 offset0:32 offset1:33
	v_pk_add_f32 v[48:49], v[48:49], v[124:125] neg_lo:[0,1] neg_hi:[0,1]
	v_pk_add_f32 v[46:47], v[46:47], v[122:123] neg_lo:[0,1] neg_hi:[0,1]
	s_wait_dscnt 0x0
	v_pk_mul_f32 v[122:123], v[118:119], v[110:111] op_sel:[0,1]
	s_delay_alu instid0(VALU_DEP_1) | instskip(SKIP_2) | instid1(VALU_DEP_2)
	v_pk_fma_f32 v[124:125], v[118:119], v[108:109], v[122:123] op_sel:[0,0,1] op_sel_hi:[1,1,0] neg_lo:[0,0,1] neg_hi:[0,0,1]
	v_pk_fma_f32 v[118:119], v[118:119], v[108:109], v[122:123] op_sel:[0,0,1] op_sel_hi:[1,0,0]
	v_dual_mul_f32 v122, v121, v111 :: v_dual_mov_b32 v118, v121
	v_dual_mov_b32 v125, v119 :: v_dual_mov_b32 v119, v120
	s_delay_alu instid0(VALU_DEP_2) | instskip(SKIP_1) | instid1(VALU_DEP_3)
	v_pk_fma_f32 v[122:123], v[120:121], v[68:69], v[122:123] op_sel_hi:[1,1,0] neg_lo:[0,0,1] neg_hi:[0,0,1]
	v_mul_f32_e32 v120, v121, v108
	v_pk_add_f32 v[84:85], v[84:85], v[124:125] neg_lo:[0,1] neg_hi:[0,1]
	s_delay_alu instid0(VALU_DEP_2) | instskip(NEXT) | instid1(VALU_DEP_1)
	v_pk_fma_f32 v[118:119], v[118:119], v[68:69], v[120:121] op_sel_hi:[1,1,0]
	v_mov_b32_e32 v123, v119
	ds_load_2addr_b64 v[118:121], v112 offset0:34 offset1:35
	v_pk_add_f32 v[82:83], v[82:83], v[122:123] neg_lo:[0,1] neg_hi:[0,1]
	s_wait_dscnt 0x0
	v_pk_mul_f32 v[122:123], v[118:119], v[110:111] op_sel:[0,1]
	s_delay_alu instid0(VALU_DEP_1) | instskip(SKIP_1) | instid1(VALU_DEP_1)
	v_pk_fma_f32 v[124:125], v[118:119], v[108:109], v[122:123] op_sel:[0,0,1] op_sel_hi:[1,1,0] neg_lo:[0,0,1] neg_hi:[0,0,1]
	v_pk_fma_f32 v[118:119], v[118:119], v[108:109], v[122:123] op_sel:[0,0,1] op_sel_hi:[1,0,0]
	v_mov_b32_e32 v125, v119
	v_pk_mul_f32 v[118:119], v[120:121], v[110:111] op_sel:[0,1]
	s_delay_alu instid0(VALU_DEP_1) | instskip(SKIP_1) | instid1(VALU_DEP_1)
	v_pk_fma_f32 v[122:123], v[120:121], v[108:109], v[118:119] op_sel:[0,0,1] op_sel_hi:[1,1,0] neg_lo:[0,0,1] neg_hi:[0,0,1]
	v_pk_fma_f32 v[118:119], v[120:121], v[108:109], v[118:119] op_sel:[0,0,1] op_sel_hi:[1,0,0]
	v_mov_b32_e32 v123, v119
	ds_load_2addr_b64 v[118:121], v112 offset0:36 offset1:37
	v_pk_add_f32 v[56:57], v[56:57], v[124:125] neg_lo:[0,1] neg_hi:[0,1]
	v_pk_add_f32 v[54:55], v[54:55], v[122:123] neg_lo:[0,1] neg_hi:[0,1]
	s_wait_dscnt 0x0
	v_pk_mul_f32 v[122:123], v[118:119], v[110:111] op_sel:[0,1]
	s_delay_alu instid0(VALU_DEP_1) | instskip(SKIP_1) | instid1(VALU_DEP_1)
	v_pk_fma_f32 v[124:125], v[118:119], v[108:109], v[122:123] op_sel:[0,0,1] op_sel_hi:[1,1,0] neg_lo:[0,0,1] neg_hi:[0,0,1]
	v_pk_fma_f32 v[118:119], v[118:119], v[108:109], v[122:123] op_sel:[0,0,1] op_sel_hi:[1,0,0]
	v_mov_b32_e32 v125, v119
	v_pk_mul_f32 v[118:119], v[120:121], v[110:111] op_sel:[0,1]
	s_delay_alu instid0(VALU_DEP_1) | instskip(SKIP_1) | instid1(VALU_DEP_1)
	v_pk_fma_f32 v[122:123], v[120:121], v[108:109], v[118:119] op_sel:[0,0,1] op_sel_hi:[1,1,0] neg_lo:[0,0,1] neg_hi:[0,0,1]
	v_pk_fma_f32 v[118:119], v[120:121], v[108:109], v[118:119] op_sel:[0,0,1] op_sel_hi:[1,0,0]
	v_mov_b32_e32 v123, v119
	ds_load_2addr_b64 v[118:121], v112 offset0:38 offset1:39
	v_pk_add_f32 v[94:95], v[94:95], v[124:125] neg_lo:[0,1] neg_hi:[0,1]
	v_pk_add_f32 v[92:93], v[92:93], v[122:123] neg_lo:[0,1] neg_hi:[0,1]
	s_wait_dscnt 0x0
	v_dual_mul_f32 v122, v119, v111 :: v_dual_mul_f32 v124, v119, v108
	s_delay_alu instid0(VALU_DEP_1) | instskip(NEXT) | instid1(VALU_DEP_2)
	v_pk_fma_f32 v[122:123], v[118:119], v[68:69], v[122:123] op_sel_hi:[1,1,0] neg_lo:[0,0,1] neg_hi:[0,0,1]
	v_pk_fma_f32 v[118:119], v[118:119], v[68:69], v[124:125] op_sel:[1,0,0] op_sel_hi:[0,1,0]
	s_delay_alu instid0(VALU_DEP_1) | instskip(SKIP_1) | instid1(VALU_DEP_2)
	v_mov_b32_e32 v123, v119
	v_pk_mul_f32 v[118:119], v[120:121], v[110:111] op_sel:[0,1]
	v_pk_add_f32 v[66:67], v[66:67], v[122:123] neg_lo:[0,1] neg_hi:[0,1]
	s_delay_alu instid0(VALU_DEP_2) | instskip(SKIP_1) | instid1(VALU_DEP_1)
	v_pk_fma_f32 v[122:123], v[120:121], v[108:109], v[118:119] op_sel:[0,0,1] op_sel_hi:[1,1,0] neg_lo:[0,0,1] neg_hi:[0,0,1]
	v_pk_fma_f32 v[118:119], v[120:121], v[108:109], v[118:119] op_sel:[0,0,1] op_sel_hi:[1,0,0]
	v_mov_b32_e32 v123, v119
	ds_load_2addr_b64 v[118:121], v112 offset0:40 offset1:41
	v_pk_add_f32 v[64:65], v[64:65], v[122:123] neg_lo:[0,1] neg_hi:[0,1]
	s_wait_dscnt 0x0
	v_pk_mul_f32 v[122:123], v[118:119], v[110:111] op_sel:[0,1]
	s_delay_alu instid0(VALU_DEP_1) | instskip(SKIP_1) | instid1(VALU_DEP_1)
	v_pk_fma_f32 v[124:125], v[118:119], v[108:109], v[122:123] op_sel:[0,0,1] op_sel_hi:[1,1,0] neg_lo:[0,0,1] neg_hi:[0,0,1]
	v_pk_fma_f32 v[118:119], v[118:119], v[108:109], v[122:123] op_sel:[0,0,1] op_sel_hi:[1,0,0]
	v_mov_b32_e32 v125, v119
	v_pk_mul_f32 v[118:119], v[120:121], v[110:111] op_sel:[0,1]
	s_delay_alu instid0(VALU_DEP_2) | instskip(NEXT) | instid1(VALU_DEP_2)
	v_pk_add_f32 v[104:105], v[104:105], v[124:125] neg_lo:[0,1] neg_hi:[0,1]
	v_pk_fma_f32 v[122:123], v[120:121], v[108:109], v[118:119] op_sel:[0,0,1] op_sel_hi:[1,1,0] neg_lo:[0,0,1] neg_hi:[0,0,1]
	v_pk_fma_f32 v[118:119], v[120:121], v[108:109], v[118:119] op_sel:[0,0,1] op_sel_hi:[1,0,0]
	s_delay_alu instid0(VALU_DEP_1) | instskip(SKIP_4) | instid1(VALU_DEP_1)
	v_mov_b32_e32 v123, v119
	ds_load_2addr_b64 v[118:121], v112 offset0:42 offset1:43
	v_pk_add_f32 v[102:103], v[102:103], v[122:123] neg_lo:[0,1] neg_hi:[0,1]
	s_wait_dscnt 0x0
	v_pk_mul_f32 v[122:123], v[118:119], v[110:111] op_sel:[0,1]
	v_pk_fma_f32 v[124:125], v[118:119], v[108:109], v[122:123] op_sel:[0,0,1] op_sel_hi:[1,1,0] neg_lo:[0,0,1] neg_hi:[0,0,1]
	v_pk_fma_f32 v[118:119], v[118:119], v[108:109], v[122:123] op_sel:[0,0,1] op_sel_hi:[1,0,0]
	v_dual_mul_f32 v122, v121, v111 :: v_dual_mov_b32 v118, v121
	s_delay_alu instid0(VALU_DEP_2) | instskip(NEXT) | instid1(VALU_DEP_2)
	v_dual_mov_b32 v125, v119 :: v_dual_mov_b32 v119, v120
	v_pk_fma_f32 v[122:123], v[120:121], v[68:69], v[122:123] op_sel_hi:[1,1,0] neg_lo:[0,0,1] neg_hi:[0,0,1]
	v_mul_f32_e32 v120, v121, v108
	s_delay_alu instid0(VALU_DEP_3) | instskip(NEXT) | instid1(VALU_DEP_2)
	v_pk_add_f32 v[76:77], v[76:77], v[124:125] neg_lo:[0,1] neg_hi:[0,1]
	v_pk_fma_f32 v[118:119], v[118:119], v[68:69], v[120:121] op_sel_hi:[1,1,0]
	s_delay_alu instid0(VALU_DEP_1) | instskip(SKIP_4) | instid1(VALU_DEP_1)
	v_mov_b32_e32 v123, v119
	ds_load_2addr_b64 v[118:121], v112 offset0:44 offset1:45
	v_pk_add_f32 v[74:75], v[74:75], v[122:123] neg_lo:[0,1] neg_hi:[0,1]
	s_wait_dscnt 0x0
	v_pk_mul_f32 v[122:123], v[118:119], v[110:111] op_sel:[0,1]
	v_pk_fma_f32 v[124:125], v[118:119], v[108:109], v[122:123] op_sel:[0,0,1] op_sel_hi:[1,1,0] neg_lo:[0,0,1] neg_hi:[0,0,1]
	v_pk_fma_f32 v[118:119], v[118:119], v[108:109], v[122:123] op_sel:[0,0,1] op_sel_hi:[1,0,0]
	s_delay_alu instid0(VALU_DEP_1) | instskip(SKIP_1) | instid1(VALU_DEP_1)
	v_mov_b32_e32 v125, v119
	v_pk_mul_f32 v[118:119], v[120:121], v[110:111] op_sel:[0,1]
	v_pk_fma_f32 v[122:123], v[120:121], v[108:109], v[118:119] op_sel:[0,0,1] op_sel_hi:[1,1,0] neg_lo:[0,0,1] neg_hi:[0,0,1]
	v_pk_fma_f32 v[118:119], v[120:121], v[108:109], v[118:119] op_sel:[0,0,1] op_sel_hi:[1,0,0]
	s_delay_alu instid0(VALU_DEP_1)
	v_mov_b32_e32 v123, v119
	ds_load_2addr_b64 v[118:121], v112 offset0:46 offset1:47
	v_pk_add_f32 v[98:99], v[98:99], v[124:125] neg_lo:[0,1] neg_hi:[0,1]
	v_pk_add_f32 v[96:97], v[96:97], v[122:123] neg_lo:[0,1] neg_hi:[0,1]
	s_wait_dscnt 0x0
	v_pk_mul_f32 v[122:123], v[118:119], v[110:111] op_sel:[0,1]
	s_delay_alu instid0(VALU_DEP_1) | instskip(SKIP_1) | instid1(VALU_DEP_1)
	v_pk_fma_f32 v[124:125], v[118:119], v[108:109], v[122:123] op_sel:[0,0,1] op_sel_hi:[1,1,0] neg_lo:[0,0,1] neg_hi:[0,0,1]
	v_pk_fma_f32 v[118:119], v[118:119], v[108:109], v[122:123] op_sel:[0,0,1] op_sel_hi:[1,0,0]
	v_mov_b32_e32 v125, v119
	v_pk_mul_f32 v[118:119], v[120:121], v[110:111] op_sel:[0,1]
	s_delay_alu instid0(VALU_DEP_1) | instskip(SKIP_1) | instid1(VALU_DEP_1)
	v_pk_fma_f32 v[122:123], v[120:121], v[108:109], v[118:119] op_sel:[0,0,1] op_sel_hi:[1,1,0] neg_lo:[0,0,1] neg_hi:[0,0,1]
	v_pk_fma_f32 v[118:119], v[120:121], v[108:109], v[118:119] op_sel:[0,0,1] op_sel_hi:[1,0,0]
	v_mov_b32_e32 v123, v119
	ds_load_2addr_b64 v[118:121], v112 offset0:48 offset1:49
	v_pk_add_f32 v[80:81], v[80:81], v[124:125] neg_lo:[0,1] neg_hi:[0,1]
	v_pk_add_f32 v[78:79], v[78:79], v[122:123] neg_lo:[0,1] neg_hi:[0,1]
	s_wait_dscnt 0x0
	v_dual_mul_f32 v122, v119, v111 :: v_dual_mul_f32 v124, v119, v108
	s_delay_alu instid0(VALU_DEP_1) | instskip(NEXT) | instid1(VALU_DEP_2)
	v_pk_fma_f32 v[122:123], v[118:119], v[68:69], v[122:123] op_sel_hi:[1,1,0] neg_lo:[0,0,1] neg_hi:[0,0,1]
	v_pk_fma_f32 v[118:119], v[118:119], v[68:69], v[124:125] op_sel:[1,0,0] op_sel_hi:[0,1,0]
	s_delay_alu instid0(VALU_DEP_1) | instskip(SKIP_1) | instid1(VALU_DEP_2)
	v_mov_b32_e32 v123, v119
	v_pk_mul_f32 v[118:119], v[120:121], v[110:111] op_sel:[0,1]
	v_pk_add_f32 v[88:89], v[88:89], v[122:123] neg_lo:[0,1] neg_hi:[0,1]
	s_delay_alu instid0(VALU_DEP_2) | instskip(SKIP_1) | instid1(VALU_DEP_1)
	v_pk_fma_f32 v[122:123], v[120:121], v[108:109], v[118:119] op_sel:[0,0,1] op_sel_hi:[1,1,0] neg_lo:[0,0,1] neg_hi:[0,0,1]
	v_pk_fma_f32 v[118:119], v[120:121], v[108:109], v[118:119] op_sel:[0,0,1] op_sel_hi:[1,0,0]
	v_mov_b32_e32 v123, v119
	ds_load_b64 v[118:119], v112 offset:400
	v_pk_add_f32 v[86:87], v[86:87], v[122:123] neg_lo:[0,1] neg_hi:[0,1]
	s_wait_dscnt 0x0
	v_pk_mul_f32 v[110:111], v[118:119], v[110:111] op_sel:[0,1]
	s_delay_alu instid0(VALU_DEP_1) | instskip(SKIP_1) | instid1(VALU_DEP_1)
	v_pk_fma_f32 v[120:121], v[118:119], v[108:109], v[110:111] op_sel:[0,0,1] op_sel_hi:[1,1,0] neg_lo:[0,0,1] neg_hi:[0,0,1]
	v_pk_fma_f32 v[108:109], v[118:119], v[108:109], v[110:111] op_sel:[0,0,1] op_sel_hi:[1,0,0]
	v_mov_b32_e32 v121, v109
	s_delay_alu instid0(VALU_DEP_1)
	v_pk_add_f32 v[106:107], v[106:107], v[120:121] neg_lo:[0,1] neg_hi:[0,1]
.LBB100_629:
	s_or_b32 exec_lo, exec_lo, s0
	v_lshl_add_u32 v108, v116, 3, v112
	s_barrier_signal -1
	s_barrier_wait -1
	ds_store_b64 v108, v[48:49]
	s_wait_dscnt 0x0
	s_barrier_signal -1
	s_barrier_wait -1
	ds_load_b64 v[110:111], v112 offset:240
	v_mov_b32_e32 v108, 30
	s_cmp_lt_i32 s18, 32
	s_cbranch_scc1 .LBB100_632
; %bb.630:
	v_add3_u32 v109, v113, 0, 0xf8
	v_mov_b32_e32 v108, 30
	s_mov_b32 s0, 31
.LBB100_631:                            ; =>This Inner Loop Header: Depth=1
	ds_load_b64 v[118:119], v109
	s_wait_dscnt 0x1
	v_cmp_gt_f32_e32 vcc_lo, 0, v110
	v_cndmask_b32_e64 v120, v110, -v110, vcc_lo
	v_cmp_gt_f32_e32 vcc_lo, 0, v111
	v_cndmask_b32_e64 v122, v111, -v111, vcc_lo
	s_wait_dscnt 0x0
	v_cmp_gt_f32_e32 vcc_lo, 0, v118
	v_cndmask_b32_e64 v121, v118, -v118, vcc_lo
	v_cmp_gt_f32_e32 vcc_lo, 0, v119
	v_cndmask_b32_e64 v123, v119, -v119, vcc_lo
	s_delay_alu instid0(VALU_DEP_1) | instskip(NEXT) | instid1(VALU_DEP_1)
	v_pk_add_f32 v[120:121], v[120:121], v[122:123]
	v_cmp_lt_f32_e32 vcc_lo, v120, v121
	v_dual_add_nc_u32 v109, 8, v109 :: v_dual_cndmask_b32 v111, v111, v119, vcc_lo
	v_cndmask_b32_e32 v110, v110, v118, vcc_lo
	v_cndmask_b32_e64 v108, v108, s0, vcc_lo
	s_add_co_i32 s0, s0, 1
	s_delay_alu instid0(SALU_CYCLE_1)
	s_cmp_lg_u32 s18, s0
	s_cbranch_scc1 .LBB100_631
.LBB100_632:
	s_wait_dscnt 0x0
	v_cmp_eq_f32_e32 vcc_lo, 0, v110
	v_cmp_eq_f32_e64 s0, 0, v111
	s_and_b32 s0, vcc_lo, s0
	s_delay_alu instid0(SALU_CYCLE_1) | instskip(NEXT) | instid1(SALU_CYCLE_1)
	s_and_saveexec_b32 s1, s0
	s_xor_b32 s0, exec_lo, s1
; %bb.633:
	v_cmp_ne_u32_e32 vcc_lo, 0, v114
	v_cndmask_b32_e32 v114, 31, v114, vcc_lo
; %bb.634:
	s_and_not1_saveexec_b32 s0, s0
	s_cbranch_execz .LBB100_640
; %bb.635:
	v_cmp_ngt_f32_e64 s1, |v110|, |v111|
	s_and_saveexec_b32 s12, s1
	s_delay_alu instid0(SALU_CYCLE_1)
	s_xor_b32 s1, exec_lo, s12
	s_cbranch_execz .LBB100_637
; %bb.636:
	v_div_scale_f32 v109, null, v111, v111, v110
	v_div_scale_f32 v119, vcc_lo, v110, v111, v110
	s_delay_alu instid0(VALU_DEP_2) | instskip(SKIP_1) | instid1(TRANS32_DEP_1)
	v_rcp_f32_e32 v117, v109
	v_nop
	v_fma_f32 v118, -v109, v117, 1.0
	s_delay_alu instid0(VALU_DEP_1) | instskip(NEXT) | instid1(VALU_DEP_1)
	v_fmac_f32_e32 v117, v118, v117
	v_mul_f32_e32 v118, v119, v117
	s_delay_alu instid0(VALU_DEP_1) | instskip(NEXT) | instid1(VALU_DEP_1)
	v_fma_f32 v120, -v109, v118, v119
	v_fmac_f32_e32 v118, v120, v117
	s_delay_alu instid0(VALU_DEP_1) | instskip(NEXT) | instid1(VALU_DEP_1)
	v_fma_f32 v109, -v109, v118, v119
	v_div_fmas_f32 v109, v109, v117, v118
	s_delay_alu instid0(VALU_DEP_1) | instskip(NEXT) | instid1(VALU_DEP_1)
	v_div_fixup_f32 v109, v109, v111, v110
	v_fmac_f32_e32 v111, v110, v109
	s_delay_alu instid0(VALU_DEP_1) | instskip(SKIP_1) | instid1(VALU_DEP_2)
	v_div_scale_f32 v110, null, v111, v111, 1.0
	v_div_scale_f32 v119, vcc_lo, 1.0, v111, 1.0
	v_rcp_f32_e32 v117, v110
	v_nop
	s_delay_alu instid0(TRANS32_DEP_1) | instskip(NEXT) | instid1(VALU_DEP_1)
	v_fma_f32 v118, -v110, v117, 1.0
	v_fmac_f32_e32 v117, v118, v117
	s_delay_alu instid0(VALU_DEP_1) | instskip(NEXT) | instid1(VALU_DEP_1)
	v_mul_f32_e32 v118, v119, v117
	v_fma_f32 v120, -v110, v118, v119
	s_delay_alu instid0(VALU_DEP_1) | instskip(NEXT) | instid1(VALU_DEP_1)
	v_fmac_f32_e32 v118, v120, v117
	v_fma_f32 v110, -v110, v118, v119
	s_delay_alu instid0(VALU_DEP_1) | instskip(NEXT) | instid1(VALU_DEP_1)
	v_div_fmas_f32 v110, v110, v117, v118
	v_div_fixup_f32 v111, v110, v111, 1.0
	s_delay_alu instid0(VALU_DEP_1)
	v_mul_f32_e32 v110, v109, v111
	v_xor_b32_e32 v111, 0x80000000, v111
.LBB100_637:
	s_and_not1_saveexec_b32 s1, s1
	s_cbranch_execz .LBB100_639
; %bb.638:
	s_delay_alu instid0(VALU_DEP_1) | instskip(SKIP_1) | instid1(VALU_DEP_2)
	v_div_scale_f32 v109, null, v110, v110, v111
	v_div_scale_f32 v119, vcc_lo, v111, v110, v111
	v_rcp_f32_e32 v117, v109
	v_nop
	s_delay_alu instid0(TRANS32_DEP_1) | instskip(NEXT) | instid1(VALU_DEP_1)
	v_fma_f32 v118, -v109, v117, 1.0
	v_fmac_f32_e32 v117, v118, v117
	s_delay_alu instid0(VALU_DEP_1) | instskip(NEXT) | instid1(VALU_DEP_1)
	v_mul_f32_e32 v118, v119, v117
	v_fma_f32 v120, -v109, v118, v119
	s_delay_alu instid0(VALU_DEP_1) | instskip(NEXT) | instid1(VALU_DEP_1)
	v_fmac_f32_e32 v118, v120, v117
	v_fma_f32 v109, -v109, v118, v119
	s_delay_alu instid0(VALU_DEP_1) | instskip(NEXT) | instid1(VALU_DEP_1)
	v_div_fmas_f32 v109, v109, v117, v118
	v_div_fixup_f32 v109, v109, v110, v111
	s_delay_alu instid0(VALU_DEP_1) | instskip(NEXT) | instid1(VALU_DEP_1)
	v_fmac_f32_e32 v110, v111, v109
	v_div_scale_f32 v111, null, v110, v110, 1.0
	s_delay_alu instid0(VALU_DEP_1) | instskip(SKIP_1) | instid1(TRANS32_DEP_1)
	v_rcp_f32_e32 v117, v111
	v_nop
	v_fma_f32 v118, -v111, v117, 1.0
	s_delay_alu instid0(VALU_DEP_1) | instskip(SKIP_1) | instid1(VALU_DEP_1)
	v_fmac_f32_e32 v117, v118, v117
	v_div_scale_f32 v118, vcc_lo, 1.0, v110, 1.0
	v_mul_f32_e32 v119, v118, v117
	s_delay_alu instid0(VALU_DEP_1) | instskip(NEXT) | instid1(VALU_DEP_1)
	v_fma_f32 v120, -v111, v119, v118
	v_fmac_f32_e32 v119, v120, v117
	s_delay_alu instid0(VALU_DEP_1) | instskip(NEXT) | instid1(VALU_DEP_1)
	v_fma_f32 v111, -v111, v119, v118
	v_div_fmas_f32 v111, v111, v117, v119
	s_delay_alu instid0(VALU_DEP_1) | instskip(NEXT) | instid1(VALU_DEP_1)
	v_div_fixup_f32 v110, v111, v110, 1.0
	v_mul_f32_e64 v111, v109, -v110
.LBB100_639:
	s_or_b32 exec_lo, exec_lo, s1
.LBB100_640:
	s_delay_alu instid0(SALU_CYCLE_1) | instskip(NEXT) | instid1(SALU_CYCLE_1)
	s_or_b32 exec_lo, exec_lo, s0
	s_mov_b32 s0, exec_lo
	v_cmpx_ne_u32_e64 v116, v108
	s_xor_b32 s0, exec_lo, s0
	s_cbranch_execz .LBB100_646
; %bb.641:
	s_mov_b32 s1, exec_lo
	v_cmpx_eq_u32_e32 30, v116
	s_cbranch_execz .LBB100_645
; %bb.642:
	v_cmp_ne_u32_e32 vcc_lo, 30, v108
	s_xor_b32 s12, s16, -1
	s_delay_alu instid0(SALU_CYCLE_1) | instskip(NEXT) | instid1(SALU_CYCLE_1)
	s_and_b32 s13, s12, vcc_lo
	s_and_saveexec_b32 s12, s13
	s_cbranch_execz .LBB100_644
; %bb.643:
	v_ashrrev_i32_e32 v109, 31, v108
	s_delay_alu instid0(VALU_DEP_1)
	v_lshl_add_u64 v[116:117], v[108:109], 2, v[4:5]
	s_clause 0x1
	global_load_b32 v109, v[116:117], off
	global_load_b32 v115, v[4:5], off offset:120
	s_wait_loadcnt 0x1
	global_store_b32 v[4:5], v109, off offset:120
	s_wait_loadcnt 0x0
	global_store_b32 v[116:117], v115, off
.LBB100_644:
	s_wait_xcnt 0x0
	s_or_b32 exec_lo, exec_lo, s12
	v_dual_mov_b32 v116, v108 :: v_dual_mov_b32 v115, v108
.LBB100_645:
	s_or_b32 exec_lo, exec_lo, s1
.LBB100_646:
	s_and_not1_saveexec_b32 s0, s0
	s_cbranch_execz .LBB100_648
; %bb.647:
	v_mov_b32_e32 v116, 30
	ds_store_2addr_b64 v112, v[46:47], v[84:85] offset0:31 offset1:32
	ds_store_2addr_b64 v112, v[82:83], v[56:57] offset0:33 offset1:34
	;; [unrolled: 1-line block ×10, first 2 shown]
.LBB100_648:
	s_or_b32 exec_lo, exec_lo, s0
	s_delay_alu instid0(SALU_CYCLE_1)
	s_mov_b32 s0, exec_lo
	s_wait_storecnt_dscnt 0x0
	s_barrier_signal -1
	s_barrier_wait -1
	v_cmpx_lt_i32_e32 30, v116
	s_cbranch_execz .LBB100_650
; %bb.649:
	v_pk_mul_f32 v[118:119], v[110:111], v[48:49] op_sel:[1,1] op_sel_hi:[0,1]
	s_delay_alu instid0(VALU_DEP_1)
	v_pk_fma_f32 v[108:109], v[110:111], v[48:49], v[118:119] op_sel_hi:[1,0,1] neg_lo:[0,0,1] neg_hi:[0,0,1]
	v_pk_fma_f32 v[110:111], v[110:111], v[48:49], v[118:119] op_sel_hi:[1,0,1]
	ds_load_2addr_b64 v[118:121], v112 offset0:31 offset1:32
	v_dual_mov_b32 v48, v108 :: v_dual_mov_b32 v49, v111
	s_wait_dscnt 0x0
	v_pk_mul_f32 v[122:123], v[118:119], v[110:111] op_sel:[0,1]
	s_delay_alu instid0(VALU_DEP_1) | instskip(SKIP_1) | instid1(VALU_DEP_1)
	v_pk_fma_f32 v[124:125], v[118:119], v[108:109], v[122:123] op_sel:[0,0,1] op_sel_hi:[1,1,0] neg_lo:[0,0,1] neg_hi:[0,0,1]
	v_pk_fma_f32 v[118:119], v[118:119], v[108:109], v[122:123] op_sel:[0,0,1] op_sel_hi:[1,0,0]
	v_mov_b32_e32 v125, v119
	v_pk_mul_f32 v[118:119], v[120:121], v[110:111] op_sel:[0,1]
	s_delay_alu instid0(VALU_DEP_1) | instskip(SKIP_1) | instid1(VALU_DEP_1)
	v_pk_fma_f32 v[122:123], v[120:121], v[108:109], v[118:119] op_sel:[0,0,1] op_sel_hi:[1,1,0] neg_lo:[0,0,1] neg_hi:[0,0,1]
	v_pk_fma_f32 v[118:119], v[120:121], v[108:109], v[118:119] op_sel:[0,0,1] op_sel_hi:[1,0,0]
	v_mov_b32_e32 v123, v119
	ds_load_2addr_b64 v[118:121], v112 offset0:33 offset1:34
	v_pk_add_f32 v[46:47], v[46:47], v[124:125] neg_lo:[0,1] neg_hi:[0,1]
	v_pk_add_f32 v[84:85], v[84:85], v[122:123] neg_lo:[0,1] neg_hi:[0,1]
	s_wait_dscnt 0x0
	v_pk_mul_f32 v[122:123], v[118:119], v[110:111] op_sel:[0,1]
	s_delay_alu instid0(VALU_DEP_1) | instskip(SKIP_2) | instid1(VALU_DEP_2)
	v_pk_fma_f32 v[124:125], v[118:119], v[108:109], v[122:123] op_sel:[0,0,1] op_sel_hi:[1,1,0] neg_lo:[0,0,1] neg_hi:[0,0,1]
	v_pk_fma_f32 v[118:119], v[118:119], v[108:109], v[122:123] op_sel:[0,0,1] op_sel_hi:[1,0,0]
	v_dual_mul_f32 v122, v121, v111 :: v_dual_mov_b32 v118, v121
	v_dual_mov_b32 v125, v119 :: v_dual_mov_b32 v119, v120
	s_delay_alu instid0(VALU_DEP_2) | instskip(SKIP_1) | instid1(VALU_DEP_3)
	v_pk_fma_f32 v[122:123], v[120:121], v[48:49], v[122:123] op_sel_hi:[1,1,0] neg_lo:[0,0,1] neg_hi:[0,0,1]
	v_mul_f32_e32 v120, v121, v108
	v_pk_add_f32 v[82:83], v[82:83], v[124:125] neg_lo:[0,1] neg_hi:[0,1]
	s_delay_alu instid0(VALU_DEP_2) | instskip(NEXT) | instid1(VALU_DEP_1)
	v_pk_fma_f32 v[118:119], v[118:119], v[48:49], v[120:121] op_sel_hi:[1,1,0]
	v_mov_b32_e32 v123, v119
	ds_load_2addr_b64 v[118:121], v112 offset0:35 offset1:36
	v_pk_add_f32 v[56:57], v[56:57], v[122:123] neg_lo:[0,1] neg_hi:[0,1]
	s_wait_dscnt 0x0
	v_pk_mul_f32 v[122:123], v[118:119], v[110:111] op_sel:[0,1]
	s_delay_alu instid0(VALU_DEP_1) | instskip(SKIP_1) | instid1(VALU_DEP_1)
	v_pk_fma_f32 v[124:125], v[118:119], v[108:109], v[122:123] op_sel:[0,0,1] op_sel_hi:[1,1,0] neg_lo:[0,0,1] neg_hi:[0,0,1]
	v_pk_fma_f32 v[118:119], v[118:119], v[108:109], v[122:123] op_sel:[0,0,1] op_sel_hi:[1,0,0]
	v_mov_b32_e32 v125, v119
	v_pk_mul_f32 v[118:119], v[120:121], v[110:111] op_sel:[0,1]
	s_delay_alu instid0(VALU_DEP_1) | instskip(SKIP_1) | instid1(VALU_DEP_1)
	v_pk_fma_f32 v[122:123], v[120:121], v[108:109], v[118:119] op_sel:[0,0,1] op_sel_hi:[1,1,0] neg_lo:[0,0,1] neg_hi:[0,0,1]
	v_pk_fma_f32 v[118:119], v[120:121], v[108:109], v[118:119] op_sel:[0,0,1] op_sel_hi:[1,0,0]
	v_mov_b32_e32 v123, v119
	ds_load_2addr_b64 v[118:121], v112 offset0:37 offset1:38
	v_pk_add_f32 v[54:55], v[54:55], v[124:125] neg_lo:[0,1] neg_hi:[0,1]
	v_pk_add_f32 v[94:95], v[94:95], v[122:123] neg_lo:[0,1] neg_hi:[0,1]
	s_wait_dscnt 0x0
	v_pk_mul_f32 v[122:123], v[118:119], v[110:111] op_sel:[0,1]
	s_delay_alu instid0(VALU_DEP_1) | instskip(SKIP_1) | instid1(VALU_DEP_1)
	v_pk_fma_f32 v[124:125], v[118:119], v[108:109], v[122:123] op_sel:[0,0,1] op_sel_hi:[1,1,0] neg_lo:[0,0,1] neg_hi:[0,0,1]
	v_pk_fma_f32 v[118:119], v[118:119], v[108:109], v[122:123] op_sel:[0,0,1] op_sel_hi:[1,0,0]
	v_mov_b32_e32 v125, v119
	v_pk_mul_f32 v[118:119], v[120:121], v[110:111] op_sel:[0,1]
	s_delay_alu instid0(VALU_DEP_1) | instskip(SKIP_1) | instid1(VALU_DEP_1)
	v_pk_fma_f32 v[122:123], v[120:121], v[108:109], v[118:119] op_sel:[0,0,1] op_sel_hi:[1,1,0] neg_lo:[0,0,1] neg_hi:[0,0,1]
	v_pk_fma_f32 v[118:119], v[120:121], v[108:109], v[118:119] op_sel:[0,0,1] op_sel_hi:[1,0,0]
	v_mov_b32_e32 v123, v119
	ds_load_2addr_b64 v[118:121], v112 offset0:39 offset1:40
	v_pk_add_f32 v[92:93], v[92:93], v[124:125] neg_lo:[0,1] neg_hi:[0,1]
	v_pk_add_f32 v[66:67], v[66:67], v[122:123] neg_lo:[0,1] neg_hi:[0,1]
	s_wait_dscnt 0x0
	v_dual_mul_f32 v122, v119, v111 :: v_dual_mul_f32 v124, v119, v108
	s_delay_alu instid0(VALU_DEP_1) | instskip(NEXT) | instid1(VALU_DEP_2)
	v_pk_fma_f32 v[122:123], v[118:119], v[48:49], v[122:123] op_sel_hi:[1,1,0] neg_lo:[0,0,1] neg_hi:[0,0,1]
	v_pk_fma_f32 v[118:119], v[118:119], v[48:49], v[124:125] op_sel:[1,0,0] op_sel_hi:[0,1,0]
	s_delay_alu instid0(VALU_DEP_1) | instskip(SKIP_1) | instid1(VALU_DEP_2)
	v_mov_b32_e32 v123, v119
	v_pk_mul_f32 v[118:119], v[120:121], v[110:111] op_sel:[0,1]
	v_pk_add_f32 v[64:65], v[64:65], v[122:123] neg_lo:[0,1] neg_hi:[0,1]
	s_delay_alu instid0(VALU_DEP_2) | instskip(SKIP_1) | instid1(VALU_DEP_1)
	v_pk_fma_f32 v[122:123], v[120:121], v[108:109], v[118:119] op_sel:[0,0,1] op_sel_hi:[1,1,0] neg_lo:[0,0,1] neg_hi:[0,0,1]
	v_pk_fma_f32 v[118:119], v[120:121], v[108:109], v[118:119] op_sel:[0,0,1] op_sel_hi:[1,0,0]
	v_mov_b32_e32 v123, v119
	ds_load_2addr_b64 v[118:121], v112 offset0:41 offset1:42
	v_pk_add_f32 v[104:105], v[104:105], v[122:123] neg_lo:[0,1] neg_hi:[0,1]
	s_wait_dscnt 0x0
	v_pk_mul_f32 v[122:123], v[118:119], v[110:111] op_sel:[0,1]
	s_delay_alu instid0(VALU_DEP_1) | instskip(SKIP_1) | instid1(VALU_DEP_1)
	v_pk_fma_f32 v[124:125], v[118:119], v[108:109], v[122:123] op_sel:[0,0,1] op_sel_hi:[1,1,0] neg_lo:[0,0,1] neg_hi:[0,0,1]
	v_pk_fma_f32 v[118:119], v[118:119], v[108:109], v[122:123] op_sel:[0,0,1] op_sel_hi:[1,0,0]
	v_mov_b32_e32 v125, v119
	v_pk_mul_f32 v[118:119], v[120:121], v[110:111] op_sel:[0,1]
	s_delay_alu instid0(VALU_DEP_2) | instskip(NEXT) | instid1(VALU_DEP_2)
	v_pk_add_f32 v[102:103], v[102:103], v[124:125] neg_lo:[0,1] neg_hi:[0,1]
	v_pk_fma_f32 v[122:123], v[120:121], v[108:109], v[118:119] op_sel:[0,0,1] op_sel_hi:[1,1,0] neg_lo:[0,0,1] neg_hi:[0,0,1]
	v_pk_fma_f32 v[118:119], v[120:121], v[108:109], v[118:119] op_sel:[0,0,1] op_sel_hi:[1,0,0]
	s_delay_alu instid0(VALU_DEP_1) | instskip(SKIP_4) | instid1(VALU_DEP_1)
	v_mov_b32_e32 v123, v119
	ds_load_2addr_b64 v[118:121], v112 offset0:43 offset1:44
	v_pk_add_f32 v[76:77], v[76:77], v[122:123] neg_lo:[0,1] neg_hi:[0,1]
	s_wait_dscnt 0x0
	v_pk_mul_f32 v[122:123], v[118:119], v[110:111] op_sel:[0,1]
	v_pk_fma_f32 v[124:125], v[118:119], v[108:109], v[122:123] op_sel:[0,0,1] op_sel_hi:[1,1,0] neg_lo:[0,0,1] neg_hi:[0,0,1]
	v_pk_fma_f32 v[118:119], v[118:119], v[108:109], v[122:123] op_sel:[0,0,1] op_sel_hi:[1,0,0]
	v_dual_mul_f32 v122, v121, v111 :: v_dual_mov_b32 v118, v121
	s_delay_alu instid0(VALU_DEP_2) | instskip(NEXT) | instid1(VALU_DEP_2)
	v_dual_mov_b32 v125, v119 :: v_dual_mov_b32 v119, v120
	v_pk_fma_f32 v[122:123], v[120:121], v[48:49], v[122:123] op_sel_hi:[1,1,0] neg_lo:[0,0,1] neg_hi:[0,0,1]
	v_mul_f32_e32 v120, v121, v108
	s_delay_alu instid0(VALU_DEP_3) | instskip(NEXT) | instid1(VALU_DEP_2)
	v_pk_add_f32 v[74:75], v[74:75], v[124:125] neg_lo:[0,1] neg_hi:[0,1]
	v_pk_fma_f32 v[118:119], v[118:119], v[48:49], v[120:121] op_sel_hi:[1,1,0]
	s_delay_alu instid0(VALU_DEP_1) | instskip(SKIP_4) | instid1(VALU_DEP_1)
	v_mov_b32_e32 v123, v119
	ds_load_2addr_b64 v[118:121], v112 offset0:45 offset1:46
	v_pk_add_f32 v[98:99], v[98:99], v[122:123] neg_lo:[0,1] neg_hi:[0,1]
	s_wait_dscnt 0x0
	v_pk_mul_f32 v[122:123], v[118:119], v[110:111] op_sel:[0,1]
	v_pk_fma_f32 v[124:125], v[118:119], v[108:109], v[122:123] op_sel:[0,0,1] op_sel_hi:[1,1,0] neg_lo:[0,0,1] neg_hi:[0,0,1]
	v_pk_fma_f32 v[118:119], v[118:119], v[108:109], v[122:123] op_sel:[0,0,1] op_sel_hi:[1,0,0]
	s_delay_alu instid0(VALU_DEP_1) | instskip(SKIP_1) | instid1(VALU_DEP_1)
	v_mov_b32_e32 v125, v119
	v_pk_mul_f32 v[118:119], v[120:121], v[110:111] op_sel:[0,1]
	v_pk_fma_f32 v[122:123], v[120:121], v[108:109], v[118:119] op_sel:[0,0,1] op_sel_hi:[1,1,0] neg_lo:[0,0,1] neg_hi:[0,0,1]
	v_pk_fma_f32 v[118:119], v[120:121], v[108:109], v[118:119] op_sel:[0,0,1] op_sel_hi:[1,0,0]
	s_delay_alu instid0(VALU_DEP_1)
	v_mov_b32_e32 v123, v119
	ds_load_2addr_b64 v[118:121], v112 offset0:47 offset1:48
	v_pk_add_f32 v[96:97], v[96:97], v[124:125] neg_lo:[0,1] neg_hi:[0,1]
	v_pk_add_f32 v[80:81], v[80:81], v[122:123] neg_lo:[0,1] neg_hi:[0,1]
	s_wait_dscnt 0x0
	v_pk_mul_f32 v[122:123], v[118:119], v[110:111] op_sel:[0,1]
	s_delay_alu instid0(VALU_DEP_1) | instskip(SKIP_1) | instid1(VALU_DEP_1)
	v_pk_fma_f32 v[124:125], v[118:119], v[108:109], v[122:123] op_sel:[0,0,1] op_sel_hi:[1,1,0] neg_lo:[0,0,1] neg_hi:[0,0,1]
	v_pk_fma_f32 v[118:119], v[118:119], v[108:109], v[122:123] op_sel:[0,0,1] op_sel_hi:[1,0,0]
	v_mov_b32_e32 v125, v119
	v_pk_mul_f32 v[118:119], v[120:121], v[110:111] op_sel:[0,1]
	s_delay_alu instid0(VALU_DEP_1) | instskip(SKIP_1) | instid1(VALU_DEP_1)
	v_pk_fma_f32 v[122:123], v[120:121], v[108:109], v[118:119] op_sel:[0,0,1] op_sel_hi:[1,1,0] neg_lo:[0,0,1] neg_hi:[0,0,1]
	v_pk_fma_f32 v[118:119], v[120:121], v[108:109], v[118:119] op_sel:[0,0,1] op_sel_hi:[1,0,0]
	v_mov_b32_e32 v123, v119
	ds_load_2addr_b64 v[118:121], v112 offset0:49 offset1:50
	v_pk_add_f32 v[78:79], v[78:79], v[124:125] neg_lo:[0,1] neg_hi:[0,1]
	v_pk_add_f32 v[88:89], v[88:89], v[122:123] neg_lo:[0,1] neg_hi:[0,1]
	s_wait_dscnt 0x0
	v_dual_mul_f32 v122, v119, v111 :: v_dual_mul_f32 v124, v119, v108
	v_pk_mul_f32 v[110:111], v[120:121], v[110:111] op_sel:[0,1]
	s_delay_alu instid0(VALU_DEP_2) | instskip(NEXT) | instid1(VALU_DEP_3)
	v_pk_fma_f32 v[122:123], v[118:119], v[48:49], v[122:123] op_sel_hi:[1,1,0] neg_lo:[0,0,1] neg_hi:[0,0,1]
	v_pk_fma_f32 v[118:119], v[118:119], v[48:49], v[124:125] op_sel:[1,0,0] op_sel_hi:[0,1,0]
	s_delay_alu instid0(VALU_DEP_1) | instskip(NEXT) | instid1(VALU_DEP_4)
	v_mov_b32_e32 v123, v119
	v_pk_fma_f32 v[118:119], v[120:121], v[108:109], v[110:111] op_sel:[0,0,1] op_sel_hi:[1,1,0] neg_lo:[0,0,1] neg_hi:[0,0,1]
	v_pk_fma_f32 v[108:109], v[120:121], v[108:109], v[110:111] op_sel:[0,0,1] op_sel_hi:[1,0,0]
	s_delay_alu instid0(VALU_DEP_1) | instskip(NEXT) | instid1(VALU_DEP_4)
	v_mov_b32_e32 v119, v109
	v_pk_add_f32 v[86:87], v[86:87], v[122:123] neg_lo:[0,1] neg_hi:[0,1]
	s_delay_alu instid0(VALU_DEP_2)
	v_pk_add_f32 v[106:107], v[106:107], v[118:119] neg_lo:[0,1] neg_hi:[0,1]
.LBB100_650:
	s_or_b32 exec_lo, exec_lo, s0
	v_lshl_add_u32 v108, v116, 3, v112
	s_barrier_signal -1
	s_barrier_wait -1
	ds_store_b64 v108, v[46:47]
	s_wait_dscnt 0x0
	s_barrier_signal -1
	s_barrier_wait -1
	ds_load_b64 v[108:109], v112 offset:248
	v_mov_b32_e32 v110, 31
	s_cmp_lt_i32 s18, 33
	s_cbranch_scc1 .LBB100_653
; %bb.651:
	v_add3_u32 v111, v113, 0, 0x100
	v_mov_b32_e32 v110, 31
	s_mov_b32 s0, 32
.LBB100_652:                            ; =>This Inner Loop Header: Depth=1
	ds_load_b64 v[118:119], v111
	s_wait_dscnt 0x1
	v_cmp_gt_f32_e32 vcc_lo, 0, v108
	v_cndmask_b32_e64 v120, v108, -v108, vcc_lo
	v_cmp_gt_f32_e32 vcc_lo, 0, v109
	v_cndmask_b32_e64 v122, v109, -v109, vcc_lo
	s_wait_dscnt 0x0
	v_cmp_gt_f32_e32 vcc_lo, 0, v118
	v_cndmask_b32_e64 v121, v118, -v118, vcc_lo
	v_cmp_gt_f32_e32 vcc_lo, 0, v119
	v_cndmask_b32_e64 v123, v119, -v119, vcc_lo
	s_delay_alu instid0(VALU_DEP_1) | instskip(NEXT) | instid1(VALU_DEP_1)
	v_pk_add_f32 v[120:121], v[120:121], v[122:123]
	v_cmp_lt_f32_e32 vcc_lo, v120, v121
	v_dual_cndmask_b32 v108, v108, v118 :: v_dual_add_nc_u32 v111, 8, v111
	v_cndmask_b32_e32 v109, v109, v119, vcc_lo
	v_cndmask_b32_e64 v110, v110, s0, vcc_lo
	s_add_co_i32 s0, s0, 1
	s_delay_alu instid0(SALU_CYCLE_1)
	s_cmp_lg_u32 s18, s0
	s_cbranch_scc1 .LBB100_652
.LBB100_653:
	s_wait_dscnt 0x0
	v_cmp_eq_f32_e32 vcc_lo, 0, v108
	v_cmp_eq_f32_e64 s0, 0, v109
	s_and_b32 s0, vcc_lo, s0
	s_delay_alu instid0(SALU_CYCLE_1) | instskip(NEXT) | instid1(SALU_CYCLE_1)
	s_and_saveexec_b32 s1, s0
	s_xor_b32 s0, exec_lo, s1
; %bb.654:
	v_cmp_ne_u32_e32 vcc_lo, 0, v114
	v_cndmask_b32_e32 v114, 32, v114, vcc_lo
; %bb.655:
	s_and_not1_saveexec_b32 s0, s0
	s_cbranch_execz .LBB100_661
; %bb.656:
	v_cmp_ngt_f32_e64 s1, |v108|, |v109|
	s_and_saveexec_b32 s12, s1
	s_delay_alu instid0(SALU_CYCLE_1)
	s_xor_b32 s1, exec_lo, s12
	s_cbranch_execz .LBB100_658
; %bb.657:
	v_div_scale_f32 v111, null, v109, v109, v108
	v_div_scale_f32 v119, vcc_lo, v108, v109, v108
	s_delay_alu instid0(VALU_DEP_2) | instskip(SKIP_1) | instid1(TRANS32_DEP_1)
	v_rcp_f32_e32 v117, v111
	v_nop
	v_fma_f32 v118, -v111, v117, 1.0
	s_delay_alu instid0(VALU_DEP_1) | instskip(NEXT) | instid1(VALU_DEP_1)
	v_fmac_f32_e32 v117, v118, v117
	v_mul_f32_e32 v118, v119, v117
	s_delay_alu instid0(VALU_DEP_1) | instskip(NEXT) | instid1(VALU_DEP_1)
	v_fma_f32 v120, -v111, v118, v119
	v_fmac_f32_e32 v118, v120, v117
	s_delay_alu instid0(VALU_DEP_1) | instskip(NEXT) | instid1(VALU_DEP_1)
	v_fma_f32 v111, -v111, v118, v119
	v_div_fmas_f32 v111, v111, v117, v118
	s_delay_alu instid0(VALU_DEP_1) | instskip(NEXT) | instid1(VALU_DEP_1)
	v_div_fixup_f32 v111, v111, v109, v108
	v_fmac_f32_e32 v109, v108, v111
	s_delay_alu instid0(VALU_DEP_1) | instskip(SKIP_1) | instid1(VALU_DEP_2)
	v_div_scale_f32 v108, null, v109, v109, 1.0
	v_div_scale_f32 v119, vcc_lo, 1.0, v109, 1.0
	v_rcp_f32_e32 v117, v108
	v_nop
	s_delay_alu instid0(TRANS32_DEP_1) | instskip(NEXT) | instid1(VALU_DEP_1)
	v_fma_f32 v118, -v108, v117, 1.0
	v_fmac_f32_e32 v117, v118, v117
	s_delay_alu instid0(VALU_DEP_1) | instskip(NEXT) | instid1(VALU_DEP_1)
	v_mul_f32_e32 v118, v119, v117
	v_fma_f32 v120, -v108, v118, v119
	s_delay_alu instid0(VALU_DEP_1) | instskip(NEXT) | instid1(VALU_DEP_1)
	v_fmac_f32_e32 v118, v120, v117
	v_fma_f32 v108, -v108, v118, v119
	s_delay_alu instid0(VALU_DEP_1) | instskip(NEXT) | instid1(VALU_DEP_1)
	v_div_fmas_f32 v108, v108, v117, v118
	v_div_fixup_f32 v109, v108, v109, 1.0
	s_delay_alu instid0(VALU_DEP_1)
	v_mul_f32_e32 v108, v111, v109
	v_xor_b32_e32 v109, 0x80000000, v109
.LBB100_658:
	s_and_not1_saveexec_b32 s1, s1
	s_cbranch_execz .LBB100_660
; %bb.659:
	s_delay_alu instid0(VALU_DEP_1) | instskip(SKIP_1) | instid1(VALU_DEP_2)
	v_div_scale_f32 v111, null, v108, v108, v109
	v_div_scale_f32 v119, vcc_lo, v109, v108, v109
	v_rcp_f32_e32 v117, v111
	v_nop
	s_delay_alu instid0(TRANS32_DEP_1) | instskip(NEXT) | instid1(VALU_DEP_1)
	v_fma_f32 v118, -v111, v117, 1.0
	v_fmac_f32_e32 v117, v118, v117
	s_delay_alu instid0(VALU_DEP_1) | instskip(NEXT) | instid1(VALU_DEP_1)
	v_mul_f32_e32 v118, v119, v117
	v_fma_f32 v120, -v111, v118, v119
	s_delay_alu instid0(VALU_DEP_1) | instskip(NEXT) | instid1(VALU_DEP_1)
	v_fmac_f32_e32 v118, v120, v117
	v_fma_f32 v111, -v111, v118, v119
	s_delay_alu instid0(VALU_DEP_1) | instskip(NEXT) | instid1(VALU_DEP_1)
	v_div_fmas_f32 v111, v111, v117, v118
	v_div_fixup_f32 v111, v111, v108, v109
	s_delay_alu instid0(VALU_DEP_1) | instskip(NEXT) | instid1(VALU_DEP_1)
	v_fmac_f32_e32 v108, v109, v111
	v_div_scale_f32 v109, null, v108, v108, 1.0
	s_delay_alu instid0(VALU_DEP_1) | instskip(SKIP_1) | instid1(TRANS32_DEP_1)
	v_rcp_f32_e32 v117, v109
	v_nop
	v_fma_f32 v118, -v109, v117, 1.0
	s_delay_alu instid0(VALU_DEP_1) | instskip(SKIP_1) | instid1(VALU_DEP_1)
	v_fmac_f32_e32 v117, v118, v117
	v_div_scale_f32 v118, vcc_lo, 1.0, v108, 1.0
	v_mul_f32_e32 v119, v118, v117
	s_delay_alu instid0(VALU_DEP_1) | instskip(NEXT) | instid1(VALU_DEP_1)
	v_fma_f32 v120, -v109, v119, v118
	v_fmac_f32_e32 v119, v120, v117
	s_delay_alu instid0(VALU_DEP_1) | instskip(NEXT) | instid1(VALU_DEP_1)
	v_fma_f32 v109, -v109, v119, v118
	v_div_fmas_f32 v109, v109, v117, v119
	s_delay_alu instid0(VALU_DEP_1) | instskip(NEXT) | instid1(VALU_DEP_1)
	v_div_fixup_f32 v108, v109, v108, 1.0
	v_mul_f32_e64 v109, v111, -v108
.LBB100_660:
	s_or_b32 exec_lo, exec_lo, s1
.LBB100_661:
	s_delay_alu instid0(SALU_CYCLE_1) | instskip(NEXT) | instid1(SALU_CYCLE_1)
	s_or_b32 exec_lo, exec_lo, s0
	s_mov_b32 s0, exec_lo
	v_cmpx_ne_u32_e64 v116, v110
	s_xor_b32 s0, exec_lo, s0
	s_cbranch_execz .LBB100_667
; %bb.662:
	s_mov_b32 s1, exec_lo
	v_cmpx_eq_u32_e32 31, v116
	s_cbranch_execz .LBB100_666
; %bb.663:
	v_cmp_ne_u32_e32 vcc_lo, 31, v110
	s_xor_b32 s12, s16, -1
	s_delay_alu instid0(SALU_CYCLE_1) | instskip(NEXT) | instid1(SALU_CYCLE_1)
	s_and_b32 s13, s12, vcc_lo
	s_and_saveexec_b32 s12, s13
	s_cbranch_execz .LBB100_665
; %bb.664:
	v_ashrrev_i32_e32 v111, 31, v110
	s_delay_alu instid0(VALU_DEP_1)
	v_lshl_add_u64 v[116:117], v[110:111], 2, v[4:5]
	s_clause 0x1
	global_load_b32 v111, v[116:117], off
	global_load_b32 v115, v[4:5], off offset:124
	s_wait_loadcnt 0x1
	global_store_b32 v[4:5], v111, off offset:124
	s_wait_loadcnt 0x0
	global_store_b32 v[116:117], v115, off
.LBB100_665:
	s_wait_xcnt 0x0
	s_or_b32 exec_lo, exec_lo, s12
	v_dual_mov_b32 v116, v110 :: v_dual_mov_b32 v115, v110
.LBB100_666:
	s_or_b32 exec_lo, exec_lo, s1
.LBB100_667:
	s_and_not1_saveexec_b32 s0, s0
	s_cbranch_execz .LBB100_669
; %bb.668:
	v_dual_mov_b32 v110, v84 :: v_dual_mov_b32 v111, v85
	v_dual_mov_b32 v116, v82 :: v_dual_mov_b32 v117, v83
	ds_store_2addr_b64 v112, v[110:111], v[116:117] offset0:32 offset1:33
	v_dual_mov_b32 v110, v56 :: v_dual_mov_b32 v111, v57
	v_dual_mov_b32 v116, v54 :: v_dual_mov_b32 v117, v55
	ds_store_2addr_b64 v112, v[110:111], v[116:117] offset0:34 offset1:35
	;; [unrolled: 3-line block ×9, first 2 shown]
	ds_store_b64 v112, v[106:107] offset:400
	v_mov_b32_e32 v116, 31
.LBB100_669:
	s_or_b32 exec_lo, exec_lo, s0
	s_delay_alu instid0(SALU_CYCLE_1)
	s_mov_b32 s0, exec_lo
	s_wait_storecnt_dscnt 0x0
	s_barrier_signal -1
	s_barrier_wait -1
	v_cmpx_lt_i32_e32 31, v116
	s_cbranch_execz .LBB100_671
; %bb.670:
	v_pk_mul_f32 v[118:119], v[108:109], v[46:47] op_sel:[1,1] op_sel_hi:[0,1]
	s_delay_alu instid0(VALU_DEP_1)
	v_pk_fma_f32 v[110:111], v[108:109], v[46:47], v[118:119] op_sel_hi:[1,0,1] neg_lo:[0,0,1] neg_hi:[0,0,1]
	v_pk_fma_f32 v[108:109], v[108:109], v[46:47], v[118:119] op_sel_hi:[1,0,1]
	ds_load_2addr_b64 v[118:121], v112 offset0:32 offset1:33
	v_dual_mov_b32 v46, v110 :: v_dual_mov_b32 v47, v109
	s_wait_dscnt 0x0
	v_pk_mul_f32 v[122:123], v[118:119], v[108:109] op_sel:[0,1]
	s_delay_alu instid0(VALU_DEP_1) | instskip(SKIP_1) | instid1(VALU_DEP_1)
	v_pk_fma_f32 v[124:125], v[118:119], v[110:111], v[122:123] op_sel:[0,0,1] op_sel_hi:[1,1,0] neg_lo:[0,0,1] neg_hi:[0,0,1]
	v_pk_fma_f32 v[118:119], v[118:119], v[110:111], v[122:123] op_sel:[0,0,1] op_sel_hi:[1,0,0]
	v_mov_b32_e32 v125, v119
	v_pk_mul_f32 v[118:119], v[120:121], v[108:109] op_sel:[0,1]
	s_delay_alu instid0(VALU_DEP_1) | instskip(SKIP_1) | instid1(VALU_DEP_1)
	v_pk_fma_f32 v[122:123], v[120:121], v[110:111], v[118:119] op_sel:[0,0,1] op_sel_hi:[1,1,0] neg_lo:[0,0,1] neg_hi:[0,0,1]
	v_pk_fma_f32 v[118:119], v[120:121], v[110:111], v[118:119] op_sel:[0,0,1] op_sel_hi:[1,0,0]
	v_mov_b32_e32 v123, v119
	ds_load_2addr_b64 v[118:121], v112 offset0:34 offset1:35
	v_pk_add_f32 v[84:85], v[84:85], v[124:125] neg_lo:[0,1] neg_hi:[0,1]
	v_pk_add_f32 v[82:83], v[82:83], v[122:123] neg_lo:[0,1] neg_hi:[0,1]
	s_wait_dscnt 0x0
	v_pk_mul_f32 v[122:123], v[118:119], v[108:109] op_sel:[0,1]
	s_delay_alu instid0(VALU_DEP_1) | instskip(SKIP_2) | instid1(VALU_DEP_2)
	v_pk_fma_f32 v[124:125], v[118:119], v[110:111], v[122:123] op_sel:[0,0,1] op_sel_hi:[1,1,0] neg_lo:[0,0,1] neg_hi:[0,0,1]
	v_pk_fma_f32 v[118:119], v[118:119], v[110:111], v[122:123] op_sel:[0,0,1] op_sel_hi:[1,0,0]
	v_dual_mul_f32 v122, v121, v109 :: v_dual_mov_b32 v118, v121
	v_dual_mov_b32 v125, v119 :: v_dual_mov_b32 v119, v120
	s_delay_alu instid0(VALU_DEP_2) | instskip(SKIP_1) | instid1(VALU_DEP_3)
	v_pk_fma_f32 v[122:123], v[120:121], v[46:47], v[122:123] op_sel_hi:[1,1,0] neg_lo:[0,0,1] neg_hi:[0,0,1]
	v_mul_f32_e32 v120, v121, v110
	v_pk_add_f32 v[56:57], v[56:57], v[124:125] neg_lo:[0,1] neg_hi:[0,1]
	s_delay_alu instid0(VALU_DEP_2) | instskip(NEXT) | instid1(VALU_DEP_1)
	v_pk_fma_f32 v[118:119], v[118:119], v[46:47], v[120:121] op_sel_hi:[1,1,0]
	v_mov_b32_e32 v123, v119
	ds_load_2addr_b64 v[118:121], v112 offset0:36 offset1:37
	v_pk_add_f32 v[54:55], v[54:55], v[122:123] neg_lo:[0,1] neg_hi:[0,1]
	s_wait_dscnt 0x0
	v_pk_mul_f32 v[122:123], v[118:119], v[108:109] op_sel:[0,1]
	s_delay_alu instid0(VALU_DEP_1) | instskip(SKIP_1) | instid1(VALU_DEP_1)
	v_pk_fma_f32 v[124:125], v[118:119], v[110:111], v[122:123] op_sel:[0,0,1] op_sel_hi:[1,1,0] neg_lo:[0,0,1] neg_hi:[0,0,1]
	v_pk_fma_f32 v[118:119], v[118:119], v[110:111], v[122:123] op_sel:[0,0,1] op_sel_hi:[1,0,0]
	v_mov_b32_e32 v125, v119
	v_pk_mul_f32 v[118:119], v[120:121], v[108:109] op_sel:[0,1]
	s_delay_alu instid0(VALU_DEP_1) | instskip(SKIP_1) | instid1(VALU_DEP_1)
	v_pk_fma_f32 v[122:123], v[120:121], v[110:111], v[118:119] op_sel:[0,0,1] op_sel_hi:[1,1,0] neg_lo:[0,0,1] neg_hi:[0,0,1]
	v_pk_fma_f32 v[118:119], v[120:121], v[110:111], v[118:119] op_sel:[0,0,1] op_sel_hi:[1,0,0]
	v_mov_b32_e32 v123, v119
	ds_load_2addr_b64 v[118:121], v112 offset0:38 offset1:39
	v_pk_add_f32 v[94:95], v[94:95], v[124:125] neg_lo:[0,1] neg_hi:[0,1]
	v_pk_add_f32 v[92:93], v[92:93], v[122:123] neg_lo:[0,1] neg_hi:[0,1]
	s_wait_dscnt 0x0
	v_pk_mul_f32 v[122:123], v[118:119], v[108:109] op_sel:[0,1]
	s_delay_alu instid0(VALU_DEP_1) | instskip(SKIP_1) | instid1(VALU_DEP_1)
	v_pk_fma_f32 v[124:125], v[118:119], v[110:111], v[122:123] op_sel:[0,0,1] op_sel_hi:[1,1,0] neg_lo:[0,0,1] neg_hi:[0,0,1]
	v_pk_fma_f32 v[118:119], v[118:119], v[110:111], v[122:123] op_sel:[0,0,1] op_sel_hi:[1,0,0]
	v_mov_b32_e32 v125, v119
	v_pk_mul_f32 v[118:119], v[120:121], v[108:109] op_sel:[0,1]
	s_delay_alu instid0(VALU_DEP_1) | instskip(SKIP_1) | instid1(VALU_DEP_1)
	v_pk_fma_f32 v[122:123], v[120:121], v[110:111], v[118:119] op_sel:[0,0,1] op_sel_hi:[1,1,0] neg_lo:[0,0,1] neg_hi:[0,0,1]
	v_pk_fma_f32 v[118:119], v[120:121], v[110:111], v[118:119] op_sel:[0,0,1] op_sel_hi:[1,0,0]
	v_mov_b32_e32 v123, v119
	ds_load_2addr_b64 v[118:121], v112 offset0:40 offset1:41
	v_pk_add_f32 v[66:67], v[66:67], v[124:125] neg_lo:[0,1] neg_hi:[0,1]
	v_pk_add_f32 v[64:65], v[64:65], v[122:123] neg_lo:[0,1] neg_hi:[0,1]
	s_wait_dscnt 0x0
	v_dual_mul_f32 v122, v119, v109 :: v_dual_mul_f32 v124, v119, v110
	s_delay_alu instid0(VALU_DEP_1) | instskip(NEXT) | instid1(VALU_DEP_2)
	v_pk_fma_f32 v[122:123], v[118:119], v[46:47], v[122:123] op_sel_hi:[1,1,0] neg_lo:[0,0,1] neg_hi:[0,0,1]
	v_pk_fma_f32 v[118:119], v[118:119], v[46:47], v[124:125] op_sel:[1,0,0] op_sel_hi:[0,1,0]
	s_delay_alu instid0(VALU_DEP_1) | instskip(SKIP_1) | instid1(VALU_DEP_2)
	v_mov_b32_e32 v123, v119
	v_pk_mul_f32 v[118:119], v[120:121], v[108:109] op_sel:[0,1]
	v_pk_add_f32 v[104:105], v[104:105], v[122:123] neg_lo:[0,1] neg_hi:[0,1]
	s_delay_alu instid0(VALU_DEP_2) | instskip(SKIP_1) | instid1(VALU_DEP_1)
	v_pk_fma_f32 v[122:123], v[120:121], v[110:111], v[118:119] op_sel:[0,0,1] op_sel_hi:[1,1,0] neg_lo:[0,0,1] neg_hi:[0,0,1]
	v_pk_fma_f32 v[118:119], v[120:121], v[110:111], v[118:119] op_sel:[0,0,1] op_sel_hi:[1,0,0]
	v_mov_b32_e32 v123, v119
	ds_load_2addr_b64 v[118:121], v112 offset0:42 offset1:43
	v_pk_add_f32 v[102:103], v[102:103], v[122:123] neg_lo:[0,1] neg_hi:[0,1]
	s_wait_dscnt 0x0
	v_pk_mul_f32 v[122:123], v[118:119], v[108:109] op_sel:[0,1]
	s_delay_alu instid0(VALU_DEP_1) | instskip(SKIP_1) | instid1(VALU_DEP_1)
	v_pk_fma_f32 v[124:125], v[118:119], v[110:111], v[122:123] op_sel:[0,0,1] op_sel_hi:[1,1,0] neg_lo:[0,0,1] neg_hi:[0,0,1]
	v_pk_fma_f32 v[118:119], v[118:119], v[110:111], v[122:123] op_sel:[0,0,1] op_sel_hi:[1,0,0]
	v_mov_b32_e32 v125, v119
	v_pk_mul_f32 v[118:119], v[120:121], v[108:109] op_sel:[0,1]
	s_delay_alu instid0(VALU_DEP_2) | instskip(NEXT) | instid1(VALU_DEP_2)
	v_pk_add_f32 v[76:77], v[76:77], v[124:125] neg_lo:[0,1] neg_hi:[0,1]
	v_pk_fma_f32 v[122:123], v[120:121], v[110:111], v[118:119] op_sel:[0,0,1] op_sel_hi:[1,1,0] neg_lo:[0,0,1] neg_hi:[0,0,1]
	v_pk_fma_f32 v[118:119], v[120:121], v[110:111], v[118:119] op_sel:[0,0,1] op_sel_hi:[1,0,0]
	s_delay_alu instid0(VALU_DEP_1) | instskip(SKIP_4) | instid1(VALU_DEP_1)
	v_mov_b32_e32 v123, v119
	ds_load_2addr_b64 v[118:121], v112 offset0:44 offset1:45
	v_pk_add_f32 v[74:75], v[74:75], v[122:123] neg_lo:[0,1] neg_hi:[0,1]
	s_wait_dscnt 0x0
	v_pk_mul_f32 v[122:123], v[118:119], v[108:109] op_sel:[0,1]
	v_pk_fma_f32 v[124:125], v[118:119], v[110:111], v[122:123] op_sel:[0,0,1] op_sel_hi:[1,1,0] neg_lo:[0,0,1] neg_hi:[0,0,1]
	v_pk_fma_f32 v[118:119], v[118:119], v[110:111], v[122:123] op_sel:[0,0,1] op_sel_hi:[1,0,0]
	v_dual_mul_f32 v122, v121, v109 :: v_dual_mov_b32 v118, v121
	s_delay_alu instid0(VALU_DEP_2) | instskip(NEXT) | instid1(VALU_DEP_2)
	v_dual_mov_b32 v125, v119 :: v_dual_mov_b32 v119, v120
	v_pk_fma_f32 v[122:123], v[120:121], v[46:47], v[122:123] op_sel_hi:[1,1,0] neg_lo:[0,0,1] neg_hi:[0,0,1]
	v_mul_f32_e32 v120, v121, v110
	s_delay_alu instid0(VALU_DEP_3) | instskip(NEXT) | instid1(VALU_DEP_2)
	v_pk_add_f32 v[98:99], v[98:99], v[124:125] neg_lo:[0,1] neg_hi:[0,1]
	v_pk_fma_f32 v[118:119], v[118:119], v[46:47], v[120:121] op_sel_hi:[1,1,0]
	s_delay_alu instid0(VALU_DEP_1) | instskip(SKIP_4) | instid1(VALU_DEP_1)
	v_mov_b32_e32 v123, v119
	ds_load_2addr_b64 v[118:121], v112 offset0:46 offset1:47
	v_pk_add_f32 v[96:97], v[96:97], v[122:123] neg_lo:[0,1] neg_hi:[0,1]
	s_wait_dscnt 0x0
	v_pk_mul_f32 v[122:123], v[118:119], v[108:109] op_sel:[0,1]
	v_pk_fma_f32 v[124:125], v[118:119], v[110:111], v[122:123] op_sel:[0,0,1] op_sel_hi:[1,1,0] neg_lo:[0,0,1] neg_hi:[0,0,1]
	v_pk_fma_f32 v[118:119], v[118:119], v[110:111], v[122:123] op_sel:[0,0,1] op_sel_hi:[1,0,0]
	s_delay_alu instid0(VALU_DEP_1) | instskip(SKIP_1) | instid1(VALU_DEP_1)
	v_mov_b32_e32 v125, v119
	v_pk_mul_f32 v[118:119], v[120:121], v[108:109] op_sel:[0,1]
	v_pk_fma_f32 v[122:123], v[120:121], v[110:111], v[118:119] op_sel:[0,0,1] op_sel_hi:[1,1,0] neg_lo:[0,0,1] neg_hi:[0,0,1]
	v_pk_fma_f32 v[118:119], v[120:121], v[110:111], v[118:119] op_sel:[0,0,1] op_sel_hi:[1,0,0]
	s_delay_alu instid0(VALU_DEP_1)
	v_mov_b32_e32 v123, v119
	ds_load_2addr_b64 v[118:121], v112 offset0:48 offset1:49
	v_pk_add_f32 v[80:81], v[80:81], v[124:125] neg_lo:[0,1] neg_hi:[0,1]
	v_pk_add_f32 v[78:79], v[78:79], v[122:123] neg_lo:[0,1] neg_hi:[0,1]
	s_wait_dscnt 0x0
	v_pk_mul_f32 v[122:123], v[118:119], v[108:109] op_sel:[0,1]
	s_delay_alu instid0(VALU_DEP_1) | instskip(SKIP_1) | instid1(VALU_DEP_1)
	v_pk_fma_f32 v[124:125], v[118:119], v[110:111], v[122:123] op_sel:[0,0,1] op_sel_hi:[1,1,0] neg_lo:[0,0,1] neg_hi:[0,0,1]
	v_pk_fma_f32 v[118:119], v[118:119], v[110:111], v[122:123] op_sel:[0,0,1] op_sel_hi:[1,0,0]
	v_mov_b32_e32 v125, v119
	v_pk_mul_f32 v[118:119], v[120:121], v[108:109] op_sel:[0,1]
	s_delay_alu instid0(VALU_DEP_1) | instskip(SKIP_1) | instid1(VALU_DEP_1)
	v_pk_fma_f32 v[122:123], v[120:121], v[110:111], v[118:119] op_sel:[0,0,1] op_sel_hi:[1,1,0] neg_lo:[0,0,1] neg_hi:[0,0,1]
	v_pk_fma_f32 v[118:119], v[120:121], v[110:111], v[118:119] op_sel:[0,0,1] op_sel_hi:[1,0,0]
	v_mov_b32_e32 v123, v119
	ds_load_b64 v[118:119], v112 offset:400
	v_pk_add_f32 v[88:89], v[88:89], v[124:125] neg_lo:[0,1] neg_hi:[0,1]
	v_pk_add_f32 v[86:87], v[86:87], v[122:123] neg_lo:[0,1] neg_hi:[0,1]
	s_wait_dscnt 0x0
	v_pk_mul_f32 v[108:109], v[118:119], v[108:109] op_sel:[0,1]
	s_delay_alu instid0(VALU_DEP_1) | instskip(SKIP_1) | instid1(VALU_DEP_1)
	v_pk_fma_f32 v[120:121], v[118:119], v[110:111], v[108:109] op_sel:[0,0,1] op_sel_hi:[1,1,0] neg_lo:[0,0,1] neg_hi:[0,0,1]
	v_pk_fma_f32 v[108:109], v[118:119], v[110:111], v[108:109] op_sel:[0,0,1] op_sel_hi:[1,0,0]
	v_mov_b32_e32 v121, v109
	s_delay_alu instid0(VALU_DEP_1)
	v_pk_add_f32 v[106:107], v[106:107], v[120:121] neg_lo:[0,1] neg_hi:[0,1]
.LBB100_671:
	s_or_b32 exec_lo, exec_lo, s0
	v_lshl_add_u32 v108, v116, 3, v112
	s_barrier_signal -1
	s_barrier_wait -1
	ds_store_b64 v108, v[84:85]
	s_wait_dscnt 0x0
	s_barrier_signal -1
	s_barrier_wait -1
	ds_load_b64 v[108:109], v112 offset:256
	v_mov_b32_e32 v110, 32
	s_cmp_lt_i32 s18, 34
	s_cbranch_scc1 .LBB100_674
; %bb.672:
	v_add3_u32 v111, v113, 0, 0x108
	v_mov_b32_e32 v110, 32
	s_mov_b32 s0, 33
.LBB100_673:                            ; =>This Inner Loop Header: Depth=1
	ds_load_b64 v[118:119], v111
	s_wait_dscnt 0x1
	v_cmp_gt_f32_e32 vcc_lo, 0, v108
	v_cndmask_b32_e64 v120, v108, -v108, vcc_lo
	v_cmp_gt_f32_e32 vcc_lo, 0, v109
	v_cndmask_b32_e64 v122, v109, -v109, vcc_lo
	s_wait_dscnt 0x0
	v_cmp_gt_f32_e32 vcc_lo, 0, v118
	v_cndmask_b32_e64 v121, v118, -v118, vcc_lo
	v_cmp_gt_f32_e32 vcc_lo, 0, v119
	v_cndmask_b32_e64 v123, v119, -v119, vcc_lo
	s_delay_alu instid0(VALU_DEP_1) | instskip(NEXT) | instid1(VALU_DEP_1)
	v_pk_add_f32 v[120:121], v[120:121], v[122:123]
	v_cmp_lt_f32_e32 vcc_lo, v120, v121
	v_dual_cndmask_b32 v108, v108, v118 :: v_dual_add_nc_u32 v111, 8, v111
	v_cndmask_b32_e32 v109, v109, v119, vcc_lo
	v_cndmask_b32_e64 v110, v110, s0, vcc_lo
	s_add_co_i32 s0, s0, 1
	s_delay_alu instid0(SALU_CYCLE_1)
	s_cmp_lg_u32 s18, s0
	s_cbranch_scc1 .LBB100_673
.LBB100_674:
	s_wait_dscnt 0x0
	v_cmp_eq_f32_e32 vcc_lo, 0, v108
	v_cmp_eq_f32_e64 s0, 0, v109
	s_and_b32 s0, vcc_lo, s0
	s_delay_alu instid0(SALU_CYCLE_1) | instskip(NEXT) | instid1(SALU_CYCLE_1)
	s_and_saveexec_b32 s1, s0
	s_xor_b32 s0, exec_lo, s1
; %bb.675:
	v_cmp_ne_u32_e32 vcc_lo, 0, v114
	v_cndmask_b32_e32 v114, 33, v114, vcc_lo
; %bb.676:
	s_and_not1_saveexec_b32 s0, s0
	s_cbranch_execz .LBB100_682
; %bb.677:
	v_cmp_ngt_f32_e64 s1, |v108|, |v109|
	s_and_saveexec_b32 s12, s1
	s_delay_alu instid0(SALU_CYCLE_1)
	s_xor_b32 s1, exec_lo, s12
	s_cbranch_execz .LBB100_679
; %bb.678:
	v_div_scale_f32 v111, null, v109, v109, v108
	v_div_scale_f32 v119, vcc_lo, v108, v109, v108
	s_delay_alu instid0(VALU_DEP_2) | instskip(SKIP_1) | instid1(TRANS32_DEP_1)
	v_rcp_f32_e32 v117, v111
	v_nop
	v_fma_f32 v118, -v111, v117, 1.0
	s_delay_alu instid0(VALU_DEP_1) | instskip(NEXT) | instid1(VALU_DEP_1)
	v_fmac_f32_e32 v117, v118, v117
	v_mul_f32_e32 v118, v119, v117
	s_delay_alu instid0(VALU_DEP_1) | instskip(NEXT) | instid1(VALU_DEP_1)
	v_fma_f32 v120, -v111, v118, v119
	v_fmac_f32_e32 v118, v120, v117
	s_delay_alu instid0(VALU_DEP_1) | instskip(NEXT) | instid1(VALU_DEP_1)
	v_fma_f32 v111, -v111, v118, v119
	v_div_fmas_f32 v111, v111, v117, v118
	s_delay_alu instid0(VALU_DEP_1) | instskip(NEXT) | instid1(VALU_DEP_1)
	v_div_fixup_f32 v111, v111, v109, v108
	v_fmac_f32_e32 v109, v108, v111
	s_delay_alu instid0(VALU_DEP_1) | instskip(SKIP_1) | instid1(VALU_DEP_2)
	v_div_scale_f32 v108, null, v109, v109, 1.0
	v_div_scale_f32 v119, vcc_lo, 1.0, v109, 1.0
	v_rcp_f32_e32 v117, v108
	v_nop
	s_delay_alu instid0(TRANS32_DEP_1) | instskip(NEXT) | instid1(VALU_DEP_1)
	v_fma_f32 v118, -v108, v117, 1.0
	v_fmac_f32_e32 v117, v118, v117
	s_delay_alu instid0(VALU_DEP_1) | instskip(NEXT) | instid1(VALU_DEP_1)
	v_mul_f32_e32 v118, v119, v117
	v_fma_f32 v120, -v108, v118, v119
	s_delay_alu instid0(VALU_DEP_1) | instskip(NEXT) | instid1(VALU_DEP_1)
	v_fmac_f32_e32 v118, v120, v117
	v_fma_f32 v108, -v108, v118, v119
	s_delay_alu instid0(VALU_DEP_1) | instskip(NEXT) | instid1(VALU_DEP_1)
	v_div_fmas_f32 v108, v108, v117, v118
	v_div_fixup_f32 v109, v108, v109, 1.0
	s_delay_alu instid0(VALU_DEP_1)
	v_mul_f32_e32 v108, v111, v109
	v_xor_b32_e32 v109, 0x80000000, v109
.LBB100_679:
	s_and_not1_saveexec_b32 s1, s1
	s_cbranch_execz .LBB100_681
; %bb.680:
	s_delay_alu instid0(VALU_DEP_1) | instskip(SKIP_1) | instid1(VALU_DEP_2)
	v_div_scale_f32 v111, null, v108, v108, v109
	v_div_scale_f32 v119, vcc_lo, v109, v108, v109
	v_rcp_f32_e32 v117, v111
	v_nop
	s_delay_alu instid0(TRANS32_DEP_1) | instskip(NEXT) | instid1(VALU_DEP_1)
	v_fma_f32 v118, -v111, v117, 1.0
	v_fmac_f32_e32 v117, v118, v117
	s_delay_alu instid0(VALU_DEP_1) | instskip(NEXT) | instid1(VALU_DEP_1)
	v_mul_f32_e32 v118, v119, v117
	v_fma_f32 v120, -v111, v118, v119
	s_delay_alu instid0(VALU_DEP_1) | instskip(NEXT) | instid1(VALU_DEP_1)
	v_fmac_f32_e32 v118, v120, v117
	v_fma_f32 v111, -v111, v118, v119
	s_delay_alu instid0(VALU_DEP_1) | instskip(NEXT) | instid1(VALU_DEP_1)
	v_div_fmas_f32 v111, v111, v117, v118
	v_div_fixup_f32 v111, v111, v108, v109
	s_delay_alu instid0(VALU_DEP_1) | instskip(NEXT) | instid1(VALU_DEP_1)
	v_fmac_f32_e32 v108, v109, v111
	v_div_scale_f32 v109, null, v108, v108, 1.0
	s_delay_alu instid0(VALU_DEP_1) | instskip(SKIP_1) | instid1(TRANS32_DEP_1)
	v_rcp_f32_e32 v117, v109
	v_nop
	v_fma_f32 v118, -v109, v117, 1.0
	s_delay_alu instid0(VALU_DEP_1) | instskip(SKIP_1) | instid1(VALU_DEP_1)
	v_fmac_f32_e32 v117, v118, v117
	v_div_scale_f32 v118, vcc_lo, 1.0, v108, 1.0
	v_mul_f32_e32 v119, v118, v117
	s_delay_alu instid0(VALU_DEP_1) | instskip(NEXT) | instid1(VALU_DEP_1)
	v_fma_f32 v120, -v109, v119, v118
	v_fmac_f32_e32 v119, v120, v117
	s_delay_alu instid0(VALU_DEP_1) | instskip(NEXT) | instid1(VALU_DEP_1)
	v_fma_f32 v109, -v109, v119, v118
	v_div_fmas_f32 v109, v109, v117, v119
	s_delay_alu instid0(VALU_DEP_1) | instskip(NEXT) | instid1(VALU_DEP_1)
	v_div_fixup_f32 v108, v109, v108, 1.0
	v_mul_f32_e64 v109, v111, -v108
.LBB100_681:
	s_or_b32 exec_lo, exec_lo, s1
.LBB100_682:
	s_delay_alu instid0(SALU_CYCLE_1) | instskip(NEXT) | instid1(SALU_CYCLE_1)
	s_or_b32 exec_lo, exec_lo, s0
	s_mov_b32 s0, exec_lo
	v_cmpx_ne_u32_e64 v116, v110
	s_xor_b32 s0, exec_lo, s0
	s_cbranch_execz .LBB100_688
; %bb.683:
	s_mov_b32 s1, exec_lo
	v_cmpx_eq_u32_e32 32, v116
	s_cbranch_execz .LBB100_687
; %bb.684:
	v_cmp_ne_u32_e32 vcc_lo, 32, v110
	s_xor_b32 s12, s16, -1
	s_delay_alu instid0(SALU_CYCLE_1) | instskip(NEXT) | instid1(SALU_CYCLE_1)
	s_and_b32 s13, s12, vcc_lo
	s_and_saveexec_b32 s12, s13
	s_cbranch_execz .LBB100_686
; %bb.685:
	v_ashrrev_i32_e32 v111, 31, v110
	s_delay_alu instid0(VALU_DEP_1)
	v_lshl_add_u64 v[116:117], v[110:111], 2, v[4:5]
	s_clause 0x1
	global_load_b32 v111, v[116:117], off
	global_load_b32 v115, v[4:5], off offset:128
	s_wait_loadcnt 0x1
	global_store_b32 v[4:5], v111, off offset:128
	s_wait_loadcnt 0x0
	global_store_b32 v[116:117], v115, off
.LBB100_686:
	s_wait_xcnt 0x0
	s_or_b32 exec_lo, exec_lo, s12
	v_dual_mov_b32 v116, v110 :: v_dual_mov_b32 v115, v110
.LBB100_687:
	s_or_b32 exec_lo, exec_lo, s1
.LBB100_688:
	s_and_not1_saveexec_b32 s0, s0
	s_cbranch_execz .LBB100_690
; %bb.689:
	v_mov_b32_e32 v116, 32
	ds_store_2addr_b64 v112, v[82:83], v[56:57] offset0:33 offset1:34
	ds_store_2addr_b64 v112, v[54:55], v[94:95] offset0:35 offset1:36
	;; [unrolled: 1-line block ×9, first 2 shown]
.LBB100_690:
	s_or_b32 exec_lo, exec_lo, s0
	s_delay_alu instid0(SALU_CYCLE_1)
	s_mov_b32 s0, exec_lo
	s_wait_storecnt_dscnt 0x0
	s_barrier_signal -1
	s_barrier_wait -1
	v_cmpx_lt_i32_e32 32, v116
	s_cbranch_execz .LBB100_692
; %bb.691:
	v_pk_mul_f32 v[118:119], v[108:109], v[84:85] op_sel:[1,1] op_sel_hi:[0,1]
	s_delay_alu instid0(VALU_DEP_1)
	v_pk_fma_f32 v[110:111], v[108:109], v[84:85], v[118:119] op_sel_hi:[1,0,1] neg_lo:[0,0,1] neg_hi:[0,0,1]
	v_pk_fma_f32 v[108:109], v[108:109], v[84:85], v[118:119] op_sel_hi:[1,0,1]
	ds_load_2addr_b64 v[118:121], v112 offset0:33 offset1:34
	v_dual_mov_b32 v84, v110 :: v_dual_mov_b32 v85, v109
	s_wait_dscnt 0x0
	v_pk_mul_f32 v[122:123], v[118:119], v[108:109] op_sel:[0,1]
	s_delay_alu instid0(VALU_DEP_1) | instskip(SKIP_1) | instid1(VALU_DEP_1)
	v_pk_fma_f32 v[124:125], v[118:119], v[110:111], v[122:123] op_sel:[0,0,1] op_sel_hi:[1,1,0] neg_lo:[0,0,1] neg_hi:[0,0,1]
	v_pk_fma_f32 v[118:119], v[118:119], v[110:111], v[122:123] op_sel:[0,0,1] op_sel_hi:[1,0,0]
	v_mov_b32_e32 v125, v119
	v_pk_mul_f32 v[118:119], v[120:121], v[108:109] op_sel:[0,1]
	s_delay_alu instid0(VALU_DEP_1) | instskip(SKIP_1) | instid1(VALU_DEP_1)
	v_pk_fma_f32 v[122:123], v[120:121], v[110:111], v[118:119] op_sel:[0,0,1] op_sel_hi:[1,1,0] neg_lo:[0,0,1] neg_hi:[0,0,1]
	v_pk_fma_f32 v[118:119], v[120:121], v[110:111], v[118:119] op_sel:[0,0,1] op_sel_hi:[1,0,0]
	v_mov_b32_e32 v123, v119
	ds_load_2addr_b64 v[118:121], v112 offset0:35 offset1:36
	v_pk_add_f32 v[82:83], v[82:83], v[124:125] neg_lo:[0,1] neg_hi:[0,1]
	v_pk_add_f32 v[56:57], v[56:57], v[122:123] neg_lo:[0,1] neg_hi:[0,1]
	s_wait_dscnt 0x0
	v_pk_mul_f32 v[122:123], v[118:119], v[108:109] op_sel:[0,1]
	s_delay_alu instid0(VALU_DEP_1) | instskip(SKIP_2) | instid1(VALU_DEP_2)
	v_pk_fma_f32 v[124:125], v[118:119], v[110:111], v[122:123] op_sel:[0,0,1] op_sel_hi:[1,1,0] neg_lo:[0,0,1] neg_hi:[0,0,1]
	v_pk_fma_f32 v[118:119], v[118:119], v[110:111], v[122:123] op_sel:[0,0,1] op_sel_hi:[1,0,0]
	v_dual_mul_f32 v122, v121, v109 :: v_dual_mov_b32 v118, v121
	v_dual_mov_b32 v125, v119 :: v_dual_mov_b32 v119, v120
	s_delay_alu instid0(VALU_DEP_2) | instskip(SKIP_1) | instid1(VALU_DEP_3)
	v_pk_fma_f32 v[122:123], v[120:121], v[84:85], v[122:123] op_sel_hi:[1,1,0] neg_lo:[0,0,1] neg_hi:[0,0,1]
	v_mul_f32_e32 v120, v121, v110
	v_pk_add_f32 v[54:55], v[54:55], v[124:125] neg_lo:[0,1] neg_hi:[0,1]
	s_delay_alu instid0(VALU_DEP_2) | instskip(NEXT) | instid1(VALU_DEP_1)
	v_pk_fma_f32 v[118:119], v[118:119], v[84:85], v[120:121] op_sel_hi:[1,1,0]
	v_mov_b32_e32 v123, v119
	ds_load_2addr_b64 v[118:121], v112 offset0:37 offset1:38
	v_pk_add_f32 v[94:95], v[94:95], v[122:123] neg_lo:[0,1] neg_hi:[0,1]
	s_wait_dscnt 0x0
	v_pk_mul_f32 v[122:123], v[118:119], v[108:109] op_sel:[0,1]
	s_delay_alu instid0(VALU_DEP_1) | instskip(SKIP_1) | instid1(VALU_DEP_1)
	v_pk_fma_f32 v[124:125], v[118:119], v[110:111], v[122:123] op_sel:[0,0,1] op_sel_hi:[1,1,0] neg_lo:[0,0,1] neg_hi:[0,0,1]
	v_pk_fma_f32 v[118:119], v[118:119], v[110:111], v[122:123] op_sel:[0,0,1] op_sel_hi:[1,0,0]
	v_mov_b32_e32 v125, v119
	v_pk_mul_f32 v[118:119], v[120:121], v[108:109] op_sel:[0,1]
	s_delay_alu instid0(VALU_DEP_1) | instskip(SKIP_1) | instid1(VALU_DEP_1)
	v_pk_fma_f32 v[122:123], v[120:121], v[110:111], v[118:119] op_sel:[0,0,1] op_sel_hi:[1,1,0] neg_lo:[0,0,1] neg_hi:[0,0,1]
	v_pk_fma_f32 v[118:119], v[120:121], v[110:111], v[118:119] op_sel:[0,0,1] op_sel_hi:[1,0,0]
	v_mov_b32_e32 v123, v119
	ds_load_2addr_b64 v[118:121], v112 offset0:39 offset1:40
	v_pk_add_f32 v[92:93], v[92:93], v[124:125] neg_lo:[0,1] neg_hi:[0,1]
	v_pk_add_f32 v[66:67], v[66:67], v[122:123] neg_lo:[0,1] neg_hi:[0,1]
	s_wait_dscnt 0x0
	v_pk_mul_f32 v[122:123], v[118:119], v[108:109] op_sel:[0,1]
	s_delay_alu instid0(VALU_DEP_1) | instskip(SKIP_1) | instid1(VALU_DEP_1)
	v_pk_fma_f32 v[124:125], v[118:119], v[110:111], v[122:123] op_sel:[0,0,1] op_sel_hi:[1,1,0] neg_lo:[0,0,1] neg_hi:[0,0,1]
	v_pk_fma_f32 v[118:119], v[118:119], v[110:111], v[122:123] op_sel:[0,0,1] op_sel_hi:[1,0,0]
	v_mov_b32_e32 v125, v119
	v_pk_mul_f32 v[118:119], v[120:121], v[108:109] op_sel:[0,1]
	s_delay_alu instid0(VALU_DEP_1) | instskip(SKIP_1) | instid1(VALU_DEP_1)
	v_pk_fma_f32 v[122:123], v[120:121], v[110:111], v[118:119] op_sel:[0,0,1] op_sel_hi:[1,1,0] neg_lo:[0,0,1] neg_hi:[0,0,1]
	v_pk_fma_f32 v[118:119], v[120:121], v[110:111], v[118:119] op_sel:[0,0,1] op_sel_hi:[1,0,0]
	v_mov_b32_e32 v123, v119
	ds_load_2addr_b64 v[118:121], v112 offset0:41 offset1:42
	v_pk_add_f32 v[64:65], v[64:65], v[124:125] neg_lo:[0,1] neg_hi:[0,1]
	v_pk_add_f32 v[104:105], v[104:105], v[122:123] neg_lo:[0,1] neg_hi:[0,1]
	s_wait_dscnt 0x0
	v_dual_mul_f32 v122, v119, v109 :: v_dual_mul_f32 v124, v119, v110
	s_delay_alu instid0(VALU_DEP_1) | instskip(NEXT) | instid1(VALU_DEP_2)
	v_pk_fma_f32 v[122:123], v[118:119], v[84:85], v[122:123] op_sel_hi:[1,1,0] neg_lo:[0,0,1] neg_hi:[0,0,1]
	v_pk_fma_f32 v[118:119], v[118:119], v[84:85], v[124:125] op_sel:[1,0,0] op_sel_hi:[0,1,0]
	s_delay_alu instid0(VALU_DEP_1) | instskip(SKIP_1) | instid1(VALU_DEP_2)
	v_mov_b32_e32 v123, v119
	v_pk_mul_f32 v[118:119], v[120:121], v[108:109] op_sel:[0,1]
	v_pk_add_f32 v[102:103], v[102:103], v[122:123] neg_lo:[0,1] neg_hi:[0,1]
	s_delay_alu instid0(VALU_DEP_2) | instskip(SKIP_1) | instid1(VALU_DEP_1)
	v_pk_fma_f32 v[122:123], v[120:121], v[110:111], v[118:119] op_sel:[0,0,1] op_sel_hi:[1,1,0] neg_lo:[0,0,1] neg_hi:[0,0,1]
	v_pk_fma_f32 v[118:119], v[120:121], v[110:111], v[118:119] op_sel:[0,0,1] op_sel_hi:[1,0,0]
	v_mov_b32_e32 v123, v119
	ds_load_2addr_b64 v[118:121], v112 offset0:43 offset1:44
	v_pk_add_f32 v[76:77], v[76:77], v[122:123] neg_lo:[0,1] neg_hi:[0,1]
	s_wait_dscnt 0x0
	v_pk_mul_f32 v[122:123], v[118:119], v[108:109] op_sel:[0,1]
	s_delay_alu instid0(VALU_DEP_1) | instskip(SKIP_1) | instid1(VALU_DEP_1)
	v_pk_fma_f32 v[124:125], v[118:119], v[110:111], v[122:123] op_sel:[0,0,1] op_sel_hi:[1,1,0] neg_lo:[0,0,1] neg_hi:[0,0,1]
	v_pk_fma_f32 v[118:119], v[118:119], v[110:111], v[122:123] op_sel:[0,0,1] op_sel_hi:[1,0,0]
	v_mov_b32_e32 v125, v119
	v_pk_mul_f32 v[118:119], v[120:121], v[108:109] op_sel:[0,1]
	s_delay_alu instid0(VALU_DEP_2) | instskip(NEXT) | instid1(VALU_DEP_2)
	v_pk_add_f32 v[74:75], v[74:75], v[124:125] neg_lo:[0,1] neg_hi:[0,1]
	v_pk_fma_f32 v[122:123], v[120:121], v[110:111], v[118:119] op_sel:[0,0,1] op_sel_hi:[1,1,0] neg_lo:[0,0,1] neg_hi:[0,0,1]
	v_pk_fma_f32 v[118:119], v[120:121], v[110:111], v[118:119] op_sel:[0,0,1] op_sel_hi:[1,0,0]
	s_delay_alu instid0(VALU_DEP_1) | instskip(SKIP_4) | instid1(VALU_DEP_1)
	v_mov_b32_e32 v123, v119
	ds_load_2addr_b64 v[118:121], v112 offset0:45 offset1:46
	v_pk_add_f32 v[98:99], v[98:99], v[122:123] neg_lo:[0,1] neg_hi:[0,1]
	s_wait_dscnt 0x0
	v_pk_mul_f32 v[122:123], v[118:119], v[108:109] op_sel:[0,1]
	v_pk_fma_f32 v[124:125], v[118:119], v[110:111], v[122:123] op_sel:[0,0,1] op_sel_hi:[1,1,0] neg_lo:[0,0,1] neg_hi:[0,0,1]
	v_pk_fma_f32 v[118:119], v[118:119], v[110:111], v[122:123] op_sel:[0,0,1] op_sel_hi:[1,0,0]
	v_dual_mul_f32 v122, v121, v109 :: v_dual_mov_b32 v118, v121
	s_delay_alu instid0(VALU_DEP_2) | instskip(NEXT) | instid1(VALU_DEP_2)
	v_dual_mov_b32 v125, v119 :: v_dual_mov_b32 v119, v120
	v_pk_fma_f32 v[122:123], v[120:121], v[84:85], v[122:123] op_sel_hi:[1,1,0] neg_lo:[0,0,1] neg_hi:[0,0,1]
	v_mul_f32_e32 v120, v121, v110
	s_delay_alu instid0(VALU_DEP_3) | instskip(NEXT) | instid1(VALU_DEP_2)
	v_pk_add_f32 v[96:97], v[96:97], v[124:125] neg_lo:[0,1] neg_hi:[0,1]
	v_pk_fma_f32 v[118:119], v[118:119], v[84:85], v[120:121] op_sel_hi:[1,1,0]
	s_delay_alu instid0(VALU_DEP_1) | instskip(SKIP_4) | instid1(VALU_DEP_1)
	v_mov_b32_e32 v123, v119
	ds_load_2addr_b64 v[118:121], v112 offset0:47 offset1:48
	v_pk_add_f32 v[80:81], v[80:81], v[122:123] neg_lo:[0,1] neg_hi:[0,1]
	s_wait_dscnt 0x0
	v_pk_mul_f32 v[122:123], v[118:119], v[108:109] op_sel:[0,1]
	v_pk_fma_f32 v[124:125], v[118:119], v[110:111], v[122:123] op_sel:[0,0,1] op_sel_hi:[1,1,0] neg_lo:[0,0,1] neg_hi:[0,0,1]
	v_pk_fma_f32 v[118:119], v[118:119], v[110:111], v[122:123] op_sel:[0,0,1] op_sel_hi:[1,0,0]
	s_delay_alu instid0(VALU_DEP_1) | instskip(SKIP_1) | instid1(VALU_DEP_1)
	v_mov_b32_e32 v125, v119
	v_pk_mul_f32 v[118:119], v[120:121], v[108:109] op_sel:[0,1]
	v_pk_fma_f32 v[122:123], v[120:121], v[110:111], v[118:119] op_sel:[0,0,1] op_sel_hi:[1,1,0] neg_lo:[0,0,1] neg_hi:[0,0,1]
	v_pk_fma_f32 v[118:119], v[120:121], v[110:111], v[118:119] op_sel:[0,0,1] op_sel_hi:[1,0,0]
	s_delay_alu instid0(VALU_DEP_1)
	v_mov_b32_e32 v123, v119
	ds_load_2addr_b64 v[118:121], v112 offset0:49 offset1:50
	v_pk_add_f32 v[78:79], v[78:79], v[124:125] neg_lo:[0,1] neg_hi:[0,1]
	v_pk_add_f32 v[88:89], v[88:89], v[122:123] neg_lo:[0,1] neg_hi:[0,1]
	s_wait_dscnt 0x0
	v_pk_mul_f32 v[122:123], v[118:119], v[108:109] op_sel:[0,1]
	v_mul_f32_e32 v108, v121, v109
	s_delay_alu instid0(VALU_DEP_2) | instskip(SKIP_2) | instid1(VALU_DEP_4)
	v_pk_fma_f32 v[124:125], v[118:119], v[110:111], v[122:123] op_sel:[0,0,1] op_sel_hi:[1,1,0] neg_lo:[0,0,1] neg_hi:[0,0,1]
	v_pk_fma_f32 v[118:119], v[118:119], v[110:111], v[122:123] op_sel:[0,0,1] op_sel_hi:[1,0,0]
	v_dual_mov_b32 v118, v121 :: v_dual_mul_f32 v110, v121, v110
	v_pk_fma_f32 v[108:109], v[120:121], v[84:85], v[108:109] op_sel_hi:[1,1,0] neg_lo:[0,0,1] neg_hi:[0,0,1]
	s_delay_alu instid0(VALU_DEP_3) | instskip(NEXT) | instid1(VALU_DEP_1)
	v_dual_mov_b32 v125, v119 :: v_dual_mov_b32 v119, v120
	v_pk_add_f32 v[86:87], v[86:87], v[124:125] neg_lo:[0,1] neg_hi:[0,1]
	s_delay_alu instid0(VALU_DEP_2) | instskip(NEXT) | instid1(VALU_DEP_1)
	v_pk_fma_f32 v[110:111], v[118:119], v[84:85], v[110:111] op_sel_hi:[1,1,0]
	v_mov_b32_e32 v109, v111
	s_delay_alu instid0(VALU_DEP_1)
	v_pk_add_f32 v[106:107], v[106:107], v[108:109] neg_lo:[0,1] neg_hi:[0,1]
.LBB100_692:
	s_or_b32 exec_lo, exec_lo, s0
	v_lshl_add_u32 v108, v116, 3, v112
	s_barrier_signal -1
	s_barrier_wait -1
	ds_store_b64 v108, v[82:83]
	s_wait_dscnt 0x0
	s_barrier_signal -1
	s_barrier_wait -1
	ds_load_b64 v[108:109], v112 offset:264
	v_mov_b32_e32 v110, 33
	s_cmp_lt_i32 s18, 35
	s_cbranch_scc1 .LBB100_695
; %bb.693:
	v_add3_u32 v111, v113, 0, 0x110
	v_mov_b32_e32 v110, 33
	s_mov_b32 s0, 34
.LBB100_694:                            ; =>This Inner Loop Header: Depth=1
	ds_load_b64 v[118:119], v111
	s_wait_dscnt 0x1
	v_cmp_gt_f32_e32 vcc_lo, 0, v108
	v_cndmask_b32_e64 v120, v108, -v108, vcc_lo
	v_cmp_gt_f32_e32 vcc_lo, 0, v109
	v_cndmask_b32_e64 v122, v109, -v109, vcc_lo
	s_wait_dscnt 0x0
	v_cmp_gt_f32_e32 vcc_lo, 0, v118
	v_cndmask_b32_e64 v121, v118, -v118, vcc_lo
	v_cmp_gt_f32_e32 vcc_lo, 0, v119
	v_cndmask_b32_e64 v123, v119, -v119, vcc_lo
	s_delay_alu instid0(VALU_DEP_1) | instskip(NEXT) | instid1(VALU_DEP_1)
	v_pk_add_f32 v[120:121], v[120:121], v[122:123]
	v_cmp_lt_f32_e32 vcc_lo, v120, v121
	v_dual_cndmask_b32 v108, v108, v118 :: v_dual_add_nc_u32 v111, 8, v111
	v_cndmask_b32_e32 v109, v109, v119, vcc_lo
	v_cndmask_b32_e64 v110, v110, s0, vcc_lo
	s_add_co_i32 s0, s0, 1
	s_delay_alu instid0(SALU_CYCLE_1)
	s_cmp_lg_u32 s18, s0
	s_cbranch_scc1 .LBB100_694
.LBB100_695:
	s_wait_dscnt 0x0
	v_cmp_eq_f32_e32 vcc_lo, 0, v108
	v_cmp_eq_f32_e64 s0, 0, v109
	s_and_b32 s0, vcc_lo, s0
	s_delay_alu instid0(SALU_CYCLE_1) | instskip(NEXT) | instid1(SALU_CYCLE_1)
	s_and_saveexec_b32 s1, s0
	s_xor_b32 s0, exec_lo, s1
; %bb.696:
	v_cmp_ne_u32_e32 vcc_lo, 0, v114
	v_cndmask_b32_e32 v114, 34, v114, vcc_lo
; %bb.697:
	s_and_not1_saveexec_b32 s0, s0
	s_cbranch_execz .LBB100_703
; %bb.698:
	v_cmp_ngt_f32_e64 s1, |v108|, |v109|
	s_and_saveexec_b32 s12, s1
	s_delay_alu instid0(SALU_CYCLE_1)
	s_xor_b32 s1, exec_lo, s12
	s_cbranch_execz .LBB100_700
; %bb.699:
	v_div_scale_f32 v111, null, v109, v109, v108
	v_div_scale_f32 v119, vcc_lo, v108, v109, v108
	s_delay_alu instid0(VALU_DEP_2) | instskip(SKIP_1) | instid1(TRANS32_DEP_1)
	v_rcp_f32_e32 v117, v111
	v_nop
	v_fma_f32 v118, -v111, v117, 1.0
	s_delay_alu instid0(VALU_DEP_1) | instskip(NEXT) | instid1(VALU_DEP_1)
	v_fmac_f32_e32 v117, v118, v117
	v_mul_f32_e32 v118, v119, v117
	s_delay_alu instid0(VALU_DEP_1) | instskip(NEXT) | instid1(VALU_DEP_1)
	v_fma_f32 v120, -v111, v118, v119
	v_fmac_f32_e32 v118, v120, v117
	s_delay_alu instid0(VALU_DEP_1) | instskip(NEXT) | instid1(VALU_DEP_1)
	v_fma_f32 v111, -v111, v118, v119
	v_div_fmas_f32 v111, v111, v117, v118
	s_delay_alu instid0(VALU_DEP_1) | instskip(NEXT) | instid1(VALU_DEP_1)
	v_div_fixup_f32 v111, v111, v109, v108
	v_fmac_f32_e32 v109, v108, v111
	s_delay_alu instid0(VALU_DEP_1) | instskip(SKIP_1) | instid1(VALU_DEP_2)
	v_div_scale_f32 v108, null, v109, v109, 1.0
	v_div_scale_f32 v119, vcc_lo, 1.0, v109, 1.0
	v_rcp_f32_e32 v117, v108
	v_nop
	s_delay_alu instid0(TRANS32_DEP_1) | instskip(NEXT) | instid1(VALU_DEP_1)
	v_fma_f32 v118, -v108, v117, 1.0
	v_fmac_f32_e32 v117, v118, v117
	s_delay_alu instid0(VALU_DEP_1) | instskip(NEXT) | instid1(VALU_DEP_1)
	v_mul_f32_e32 v118, v119, v117
	v_fma_f32 v120, -v108, v118, v119
	s_delay_alu instid0(VALU_DEP_1) | instskip(NEXT) | instid1(VALU_DEP_1)
	v_fmac_f32_e32 v118, v120, v117
	v_fma_f32 v108, -v108, v118, v119
	s_delay_alu instid0(VALU_DEP_1) | instskip(NEXT) | instid1(VALU_DEP_1)
	v_div_fmas_f32 v108, v108, v117, v118
	v_div_fixup_f32 v109, v108, v109, 1.0
	s_delay_alu instid0(VALU_DEP_1)
	v_mul_f32_e32 v108, v111, v109
	v_xor_b32_e32 v109, 0x80000000, v109
.LBB100_700:
	s_and_not1_saveexec_b32 s1, s1
	s_cbranch_execz .LBB100_702
; %bb.701:
	s_delay_alu instid0(VALU_DEP_1) | instskip(SKIP_1) | instid1(VALU_DEP_2)
	v_div_scale_f32 v111, null, v108, v108, v109
	v_div_scale_f32 v119, vcc_lo, v109, v108, v109
	v_rcp_f32_e32 v117, v111
	v_nop
	s_delay_alu instid0(TRANS32_DEP_1) | instskip(NEXT) | instid1(VALU_DEP_1)
	v_fma_f32 v118, -v111, v117, 1.0
	v_fmac_f32_e32 v117, v118, v117
	s_delay_alu instid0(VALU_DEP_1) | instskip(NEXT) | instid1(VALU_DEP_1)
	v_mul_f32_e32 v118, v119, v117
	v_fma_f32 v120, -v111, v118, v119
	s_delay_alu instid0(VALU_DEP_1) | instskip(NEXT) | instid1(VALU_DEP_1)
	v_fmac_f32_e32 v118, v120, v117
	v_fma_f32 v111, -v111, v118, v119
	s_delay_alu instid0(VALU_DEP_1) | instskip(NEXT) | instid1(VALU_DEP_1)
	v_div_fmas_f32 v111, v111, v117, v118
	v_div_fixup_f32 v111, v111, v108, v109
	s_delay_alu instid0(VALU_DEP_1) | instskip(NEXT) | instid1(VALU_DEP_1)
	v_fmac_f32_e32 v108, v109, v111
	v_div_scale_f32 v109, null, v108, v108, 1.0
	s_delay_alu instid0(VALU_DEP_1) | instskip(SKIP_1) | instid1(TRANS32_DEP_1)
	v_rcp_f32_e32 v117, v109
	v_nop
	v_fma_f32 v118, -v109, v117, 1.0
	s_delay_alu instid0(VALU_DEP_1) | instskip(SKIP_1) | instid1(VALU_DEP_1)
	v_fmac_f32_e32 v117, v118, v117
	v_div_scale_f32 v118, vcc_lo, 1.0, v108, 1.0
	v_mul_f32_e32 v119, v118, v117
	s_delay_alu instid0(VALU_DEP_1) | instskip(NEXT) | instid1(VALU_DEP_1)
	v_fma_f32 v120, -v109, v119, v118
	v_fmac_f32_e32 v119, v120, v117
	s_delay_alu instid0(VALU_DEP_1) | instskip(NEXT) | instid1(VALU_DEP_1)
	v_fma_f32 v109, -v109, v119, v118
	v_div_fmas_f32 v109, v109, v117, v119
	s_delay_alu instid0(VALU_DEP_1) | instskip(NEXT) | instid1(VALU_DEP_1)
	v_div_fixup_f32 v108, v109, v108, 1.0
	v_mul_f32_e64 v109, v111, -v108
.LBB100_702:
	s_or_b32 exec_lo, exec_lo, s1
.LBB100_703:
	s_delay_alu instid0(SALU_CYCLE_1) | instskip(NEXT) | instid1(SALU_CYCLE_1)
	s_or_b32 exec_lo, exec_lo, s0
	s_mov_b32 s0, exec_lo
	v_cmpx_ne_u32_e64 v116, v110
	s_xor_b32 s0, exec_lo, s0
	s_cbranch_execz .LBB100_709
; %bb.704:
	s_mov_b32 s1, exec_lo
	v_cmpx_eq_u32_e32 33, v116
	s_cbranch_execz .LBB100_708
; %bb.705:
	v_cmp_ne_u32_e32 vcc_lo, 33, v110
	s_xor_b32 s12, s16, -1
	s_delay_alu instid0(SALU_CYCLE_1) | instskip(NEXT) | instid1(SALU_CYCLE_1)
	s_and_b32 s13, s12, vcc_lo
	s_and_saveexec_b32 s12, s13
	s_cbranch_execz .LBB100_707
; %bb.706:
	v_ashrrev_i32_e32 v111, 31, v110
	s_delay_alu instid0(VALU_DEP_1)
	v_lshl_add_u64 v[116:117], v[110:111], 2, v[4:5]
	s_clause 0x1
	global_load_b32 v111, v[116:117], off
	global_load_b32 v115, v[4:5], off offset:132
	s_wait_loadcnt 0x1
	global_store_b32 v[4:5], v111, off offset:132
	s_wait_loadcnt 0x0
	global_store_b32 v[116:117], v115, off
.LBB100_707:
	s_wait_xcnt 0x0
	s_or_b32 exec_lo, exec_lo, s12
	v_dual_mov_b32 v116, v110 :: v_dual_mov_b32 v115, v110
.LBB100_708:
	s_or_b32 exec_lo, exec_lo, s1
.LBB100_709:
	s_and_not1_saveexec_b32 s0, s0
	s_cbranch_execz .LBB100_711
; %bb.710:
	v_dual_mov_b32 v110, v56 :: v_dual_mov_b32 v111, v57
	v_dual_mov_b32 v116, v54 :: v_dual_mov_b32 v117, v55
	ds_store_2addr_b64 v112, v[110:111], v[116:117] offset0:34 offset1:35
	v_dual_mov_b32 v110, v94 :: v_dual_mov_b32 v111, v95
	v_dual_mov_b32 v116, v92 :: v_dual_mov_b32 v117, v93
	ds_store_2addr_b64 v112, v[110:111], v[116:117] offset0:36 offset1:37
	;; [unrolled: 3-line block ×8, first 2 shown]
	ds_store_b64 v112, v[106:107] offset:400
	v_mov_b32_e32 v116, 33
.LBB100_711:
	s_or_b32 exec_lo, exec_lo, s0
	s_delay_alu instid0(SALU_CYCLE_1)
	s_mov_b32 s0, exec_lo
	s_wait_storecnt_dscnt 0x0
	s_barrier_signal -1
	s_barrier_wait -1
	v_cmpx_lt_i32_e32 33, v116
	s_cbranch_execz .LBB100_713
; %bb.712:
	v_pk_mul_f32 v[118:119], v[108:109], v[82:83] op_sel:[1,1] op_sel_hi:[0,1]
	s_delay_alu instid0(VALU_DEP_1)
	v_pk_fma_f32 v[110:111], v[108:109], v[82:83], v[118:119] op_sel_hi:[1,0,1] neg_lo:[0,0,1] neg_hi:[0,0,1]
	v_pk_fma_f32 v[108:109], v[108:109], v[82:83], v[118:119] op_sel_hi:[1,0,1]
	ds_load_2addr_b64 v[118:121], v112 offset0:34 offset1:35
	v_dual_mov_b32 v82, v110 :: v_dual_mov_b32 v83, v109
	s_wait_dscnt 0x0
	v_pk_mul_f32 v[122:123], v[118:119], v[108:109] op_sel:[0,1]
	s_delay_alu instid0(VALU_DEP_1) | instskip(SKIP_1) | instid1(VALU_DEP_1)
	v_pk_fma_f32 v[124:125], v[118:119], v[110:111], v[122:123] op_sel:[0,0,1] op_sel_hi:[1,1,0] neg_lo:[0,0,1] neg_hi:[0,0,1]
	v_pk_fma_f32 v[118:119], v[118:119], v[110:111], v[122:123] op_sel:[0,0,1] op_sel_hi:[1,0,0]
	v_mov_b32_e32 v125, v119
	v_pk_mul_f32 v[118:119], v[120:121], v[108:109] op_sel:[0,1]
	s_delay_alu instid0(VALU_DEP_1) | instskip(SKIP_1) | instid1(VALU_DEP_1)
	v_pk_fma_f32 v[122:123], v[120:121], v[110:111], v[118:119] op_sel:[0,0,1] op_sel_hi:[1,1,0] neg_lo:[0,0,1] neg_hi:[0,0,1]
	v_pk_fma_f32 v[118:119], v[120:121], v[110:111], v[118:119] op_sel:[0,0,1] op_sel_hi:[1,0,0]
	v_mov_b32_e32 v123, v119
	ds_load_2addr_b64 v[118:121], v112 offset0:36 offset1:37
	v_pk_add_f32 v[56:57], v[56:57], v[124:125] neg_lo:[0,1] neg_hi:[0,1]
	v_pk_add_f32 v[54:55], v[54:55], v[122:123] neg_lo:[0,1] neg_hi:[0,1]
	s_wait_dscnt 0x0
	v_pk_mul_f32 v[122:123], v[118:119], v[108:109] op_sel:[0,1]
	s_delay_alu instid0(VALU_DEP_1) | instskip(SKIP_2) | instid1(VALU_DEP_2)
	v_pk_fma_f32 v[124:125], v[118:119], v[110:111], v[122:123] op_sel:[0,0,1] op_sel_hi:[1,1,0] neg_lo:[0,0,1] neg_hi:[0,0,1]
	v_pk_fma_f32 v[118:119], v[118:119], v[110:111], v[122:123] op_sel:[0,0,1] op_sel_hi:[1,0,0]
	v_dual_mul_f32 v122, v121, v109 :: v_dual_mov_b32 v118, v121
	v_dual_mov_b32 v125, v119 :: v_dual_mov_b32 v119, v120
	s_delay_alu instid0(VALU_DEP_2) | instskip(SKIP_1) | instid1(VALU_DEP_3)
	v_pk_fma_f32 v[122:123], v[120:121], v[82:83], v[122:123] op_sel_hi:[1,1,0] neg_lo:[0,0,1] neg_hi:[0,0,1]
	v_mul_f32_e32 v120, v121, v110
	v_pk_add_f32 v[94:95], v[94:95], v[124:125] neg_lo:[0,1] neg_hi:[0,1]
	s_delay_alu instid0(VALU_DEP_2) | instskip(NEXT) | instid1(VALU_DEP_1)
	v_pk_fma_f32 v[118:119], v[118:119], v[82:83], v[120:121] op_sel_hi:[1,1,0]
	v_mov_b32_e32 v123, v119
	ds_load_2addr_b64 v[118:121], v112 offset0:38 offset1:39
	v_pk_add_f32 v[92:93], v[92:93], v[122:123] neg_lo:[0,1] neg_hi:[0,1]
	s_wait_dscnt 0x0
	v_pk_mul_f32 v[122:123], v[118:119], v[108:109] op_sel:[0,1]
	s_delay_alu instid0(VALU_DEP_1) | instskip(SKIP_1) | instid1(VALU_DEP_1)
	v_pk_fma_f32 v[124:125], v[118:119], v[110:111], v[122:123] op_sel:[0,0,1] op_sel_hi:[1,1,0] neg_lo:[0,0,1] neg_hi:[0,0,1]
	v_pk_fma_f32 v[118:119], v[118:119], v[110:111], v[122:123] op_sel:[0,0,1] op_sel_hi:[1,0,0]
	v_mov_b32_e32 v125, v119
	v_pk_mul_f32 v[118:119], v[120:121], v[108:109] op_sel:[0,1]
	s_delay_alu instid0(VALU_DEP_1) | instskip(SKIP_1) | instid1(VALU_DEP_1)
	v_pk_fma_f32 v[122:123], v[120:121], v[110:111], v[118:119] op_sel:[0,0,1] op_sel_hi:[1,1,0] neg_lo:[0,0,1] neg_hi:[0,0,1]
	v_pk_fma_f32 v[118:119], v[120:121], v[110:111], v[118:119] op_sel:[0,0,1] op_sel_hi:[1,0,0]
	v_mov_b32_e32 v123, v119
	ds_load_2addr_b64 v[118:121], v112 offset0:40 offset1:41
	v_pk_add_f32 v[66:67], v[66:67], v[124:125] neg_lo:[0,1] neg_hi:[0,1]
	v_pk_add_f32 v[64:65], v[64:65], v[122:123] neg_lo:[0,1] neg_hi:[0,1]
	s_wait_dscnt 0x0
	v_pk_mul_f32 v[122:123], v[118:119], v[108:109] op_sel:[0,1]
	s_delay_alu instid0(VALU_DEP_1) | instskip(SKIP_1) | instid1(VALU_DEP_1)
	v_pk_fma_f32 v[124:125], v[118:119], v[110:111], v[122:123] op_sel:[0,0,1] op_sel_hi:[1,1,0] neg_lo:[0,0,1] neg_hi:[0,0,1]
	v_pk_fma_f32 v[118:119], v[118:119], v[110:111], v[122:123] op_sel:[0,0,1] op_sel_hi:[1,0,0]
	v_mov_b32_e32 v125, v119
	v_pk_mul_f32 v[118:119], v[120:121], v[108:109] op_sel:[0,1]
	s_delay_alu instid0(VALU_DEP_1) | instskip(SKIP_1) | instid1(VALU_DEP_1)
	v_pk_fma_f32 v[122:123], v[120:121], v[110:111], v[118:119] op_sel:[0,0,1] op_sel_hi:[1,1,0] neg_lo:[0,0,1] neg_hi:[0,0,1]
	v_pk_fma_f32 v[118:119], v[120:121], v[110:111], v[118:119] op_sel:[0,0,1] op_sel_hi:[1,0,0]
	v_mov_b32_e32 v123, v119
	ds_load_2addr_b64 v[118:121], v112 offset0:42 offset1:43
	v_pk_add_f32 v[104:105], v[104:105], v[124:125] neg_lo:[0,1] neg_hi:[0,1]
	v_pk_add_f32 v[102:103], v[102:103], v[122:123] neg_lo:[0,1] neg_hi:[0,1]
	s_wait_dscnt 0x0
	v_dual_mul_f32 v122, v119, v109 :: v_dual_mul_f32 v124, v119, v110
	s_delay_alu instid0(VALU_DEP_1) | instskip(NEXT) | instid1(VALU_DEP_2)
	v_pk_fma_f32 v[122:123], v[118:119], v[82:83], v[122:123] op_sel_hi:[1,1,0] neg_lo:[0,0,1] neg_hi:[0,0,1]
	v_pk_fma_f32 v[118:119], v[118:119], v[82:83], v[124:125] op_sel:[1,0,0] op_sel_hi:[0,1,0]
	s_delay_alu instid0(VALU_DEP_1) | instskip(SKIP_1) | instid1(VALU_DEP_2)
	v_mov_b32_e32 v123, v119
	v_pk_mul_f32 v[118:119], v[120:121], v[108:109] op_sel:[0,1]
	v_pk_add_f32 v[76:77], v[76:77], v[122:123] neg_lo:[0,1] neg_hi:[0,1]
	s_delay_alu instid0(VALU_DEP_2) | instskip(SKIP_1) | instid1(VALU_DEP_1)
	v_pk_fma_f32 v[122:123], v[120:121], v[110:111], v[118:119] op_sel:[0,0,1] op_sel_hi:[1,1,0] neg_lo:[0,0,1] neg_hi:[0,0,1]
	v_pk_fma_f32 v[118:119], v[120:121], v[110:111], v[118:119] op_sel:[0,0,1] op_sel_hi:[1,0,0]
	v_mov_b32_e32 v123, v119
	ds_load_2addr_b64 v[118:121], v112 offset0:44 offset1:45
	v_pk_add_f32 v[74:75], v[74:75], v[122:123] neg_lo:[0,1] neg_hi:[0,1]
	s_wait_dscnt 0x0
	v_pk_mul_f32 v[122:123], v[118:119], v[108:109] op_sel:[0,1]
	s_delay_alu instid0(VALU_DEP_1) | instskip(SKIP_1) | instid1(VALU_DEP_1)
	v_pk_fma_f32 v[124:125], v[118:119], v[110:111], v[122:123] op_sel:[0,0,1] op_sel_hi:[1,1,0] neg_lo:[0,0,1] neg_hi:[0,0,1]
	v_pk_fma_f32 v[118:119], v[118:119], v[110:111], v[122:123] op_sel:[0,0,1] op_sel_hi:[1,0,0]
	v_mov_b32_e32 v125, v119
	v_pk_mul_f32 v[118:119], v[120:121], v[108:109] op_sel:[0,1]
	s_delay_alu instid0(VALU_DEP_2) | instskip(NEXT) | instid1(VALU_DEP_2)
	v_pk_add_f32 v[98:99], v[98:99], v[124:125] neg_lo:[0,1] neg_hi:[0,1]
	v_pk_fma_f32 v[122:123], v[120:121], v[110:111], v[118:119] op_sel:[0,0,1] op_sel_hi:[1,1,0] neg_lo:[0,0,1] neg_hi:[0,0,1]
	v_pk_fma_f32 v[118:119], v[120:121], v[110:111], v[118:119] op_sel:[0,0,1] op_sel_hi:[1,0,0]
	s_delay_alu instid0(VALU_DEP_1) | instskip(SKIP_4) | instid1(VALU_DEP_1)
	v_mov_b32_e32 v123, v119
	ds_load_2addr_b64 v[118:121], v112 offset0:46 offset1:47
	v_pk_add_f32 v[96:97], v[96:97], v[122:123] neg_lo:[0,1] neg_hi:[0,1]
	s_wait_dscnt 0x0
	v_pk_mul_f32 v[122:123], v[118:119], v[108:109] op_sel:[0,1]
	v_pk_fma_f32 v[124:125], v[118:119], v[110:111], v[122:123] op_sel:[0,0,1] op_sel_hi:[1,1,0] neg_lo:[0,0,1] neg_hi:[0,0,1]
	v_pk_fma_f32 v[118:119], v[118:119], v[110:111], v[122:123] op_sel:[0,0,1] op_sel_hi:[1,0,0]
	v_dual_mul_f32 v122, v121, v109 :: v_dual_mov_b32 v118, v121
	s_delay_alu instid0(VALU_DEP_2) | instskip(NEXT) | instid1(VALU_DEP_2)
	v_dual_mov_b32 v125, v119 :: v_dual_mov_b32 v119, v120
	v_pk_fma_f32 v[122:123], v[120:121], v[82:83], v[122:123] op_sel_hi:[1,1,0] neg_lo:[0,0,1] neg_hi:[0,0,1]
	v_mul_f32_e32 v120, v121, v110
	s_delay_alu instid0(VALU_DEP_3) | instskip(NEXT) | instid1(VALU_DEP_2)
	v_pk_add_f32 v[80:81], v[80:81], v[124:125] neg_lo:[0,1] neg_hi:[0,1]
	v_pk_fma_f32 v[118:119], v[118:119], v[82:83], v[120:121] op_sel_hi:[1,1,0]
	s_delay_alu instid0(VALU_DEP_1) | instskip(SKIP_4) | instid1(VALU_DEP_1)
	v_mov_b32_e32 v123, v119
	ds_load_2addr_b64 v[118:121], v112 offset0:48 offset1:49
	v_pk_add_f32 v[78:79], v[78:79], v[122:123] neg_lo:[0,1] neg_hi:[0,1]
	s_wait_dscnt 0x0
	v_pk_mul_f32 v[122:123], v[118:119], v[108:109] op_sel:[0,1]
	v_pk_fma_f32 v[124:125], v[118:119], v[110:111], v[122:123] op_sel:[0,0,1] op_sel_hi:[1,1,0] neg_lo:[0,0,1] neg_hi:[0,0,1]
	v_pk_fma_f32 v[118:119], v[118:119], v[110:111], v[122:123] op_sel:[0,0,1] op_sel_hi:[1,0,0]
	s_delay_alu instid0(VALU_DEP_1) | instskip(SKIP_1) | instid1(VALU_DEP_1)
	v_mov_b32_e32 v125, v119
	v_pk_mul_f32 v[118:119], v[120:121], v[108:109] op_sel:[0,1]
	v_pk_fma_f32 v[122:123], v[120:121], v[110:111], v[118:119] op_sel:[0,0,1] op_sel_hi:[1,1,0] neg_lo:[0,0,1] neg_hi:[0,0,1]
	v_pk_fma_f32 v[118:119], v[120:121], v[110:111], v[118:119] op_sel:[0,0,1] op_sel_hi:[1,0,0]
	s_delay_alu instid0(VALU_DEP_1)
	v_mov_b32_e32 v123, v119
	ds_load_b64 v[118:119], v112 offset:400
	v_pk_add_f32 v[88:89], v[88:89], v[124:125] neg_lo:[0,1] neg_hi:[0,1]
	v_pk_add_f32 v[86:87], v[86:87], v[122:123] neg_lo:[0,1] neg_hi:[0,1]
	s_wait_dscnt 0x0
	v_pk_mul_f32 v[108:109], v[118:119], v[108:109] op_sel:[0,1]
	s_delay_alu instid0(VALU_DEP_1) | instskip(SKIP_1) | instid1(VALU_DEP_1)
	v_pk_fma_f32 v[120:121], v[118:119], v[110:111], v[108:109] op_sel:[0,0,1] op_sel_hi:[1,1,0] neg_lo:[0,0,1] neg_hi:[0,0,1]
	v_pk_fma_f32 v[108:109], v[118:119], v[110:111], v[108:109] op_sel:[0,0,1] op_sel_hi:[1,0,0]
	v_mov_b32_e32 v121, v109
	s_delay_alu instid0(VALU_DEP_1)
	v_pk_add_f32 v[106:107], v[106:107], v[120:121] neg_lo:[0,1] neg_hi:[0,1]
.LBB100_713:
	s_or_b32 exec_lo, exec_lo, s0
	v_lshl_add_u32 v108, v116, 3, v112
	s_barrier_signal -1
	s_barrier_wait -1
	ds_store_b64 v108, v[56:57]
	s_wait_dscnt 0x0
	s_barrier_signal -1
	s_barrier_wait -1
	ds_load_b64 v[108:109], v112 offset:272
	v_mov_b32_e32 v110, 34
	s_cmp_lt_i32 s18, 36
	s_cbranch_scc1 .LBB100_716
; %bb.714:
	v_add3_u32 v111, v113, 0, 0x118
	v_mov_b32_e32 v110, 34
	s_mov_b32 s0, 35
.LBB100_715:                            ; =>This Inner Loop Header: Depth=1
	ds_load_b64 v[118:119], v111
	s_wait_dscnt 0x1
	v_cmp_gt_f32_e32 vcc_lo, 0, v108
	v_cndmask_b32_e64 v120, v108, -v108, vcc_lo
	v_cmp_gt_f32_e32 vcc_lo, 0, v109
	v_cndmask_b32_e64 v122, v109, -v109, vcc_lo
	s_wait_dscnt 0x0
	v_cmp_gt_f32_e32 vcc_lo, 0, v118
	v_cndmask_b32_e64 v121, v118, -v118, vcc_lo
	v_cmp_gt_f32_e32 vcc_lo, 0, v119
	v_cndmask_b32_e64 v123, v119, -v119, vcc_lo
	s_delay_alu instid0(VALU_DEP_1) | instskip(NEXT) | instid1(VALU_DEP_1)
	v_pk_add_f32 v[120:121], v[120:121], v[122:123]
	v_cmp_lt_f32_e32 vcc_lo, v120, v121
	v_dual_cndmask_b32 v108, v108, v118 :: v_dual_add_nc_u32 v111, 8, v111
	v_cndmask_b32_e32 v109, v109, v119, vcc_lo
	v_cndmask_b32_e64 v110, v110, s0, vcc_lo
	s_add_co_i32 s0, s0, 1
	s_delay_alu instid0(SALU_CYCLE_1)
	s_cmp_lg_u32 s18, s0
	s_cbranch_scc1 .LBB100_715
.LBB100_716:
	s_wait_dscnt 0x0
	v_cmp_eq_f32_e32 vcc_lo, 0, v108
	v_cmp_eq_f32_e64 s0, 0, v109
	s_and_b32 s0, vcc_lo, s0
	s_delay_alu instid0(SALU_CYCLE_1) | instskip(NEXT) | instid1(SALU_CYCLE_1)
	s_and_saveexec_b32 s1, s0
	s_xor_b32 s0, exec_lo, s1
; %bb.717:
	v_cmp_ne_u32_e32 vcc_lo, 0, v114
	v_cndmask_b32_e32 v114, 35, v114, vcc_lo
; %bb.718:
	s_and_not1_saveexec_b32 s0, s0
	s_cbranch_execz .LBB100_724
; %bb.719:
	v_cmp_ngt_f32_e64 s1, |v108|, |v109|
	s_and_saveexec_b32 s12, s1
	s_delay_alu instid0(SALU_CYCLE_1)
	s_xor_b32 s1, exec_lo, s12
	s_cbranch_execz .LBB100_721
; %bb.720:
	v_div_scale_f32 v111, null, v109, v109, v108
	v_div_scale_f32 v119, vcc_lo, v108, v109, v108
	s_delay_alu instid0(VALU_DEP_2) | instskip(SKIP_1) | instid1(TRANS32_DEP_1)
	v_rcp_f32_e32 v117, v111
	v_nop
	v_fma_f32 v118, -v111, v117, 1.0
	s_delay_alu instid0(VALU_DEP_1) | instskip(NEXT) | instid1(VALU_DEP_1)
	v_fmac_f32_e32 v117, v118, v117
	v_mul_f32_e32 v118, v119, v117
	s_delay_alu instid0(VALU_DEP_1) | instskip(NEXT) | instid1(VALU_DEP_1)
	v_fma_f32 v120, -v111, v118, v119
	v_fmac_f32_e32 v118, v120, v117
	s_delay_alu instid0(VALU_DEP_1) | instskip(NEXT) | instid1(VALU_DEP_1)
	v_fma_f32 v111, -v111, v118, v119
	v_div_fmas_f32 v111, v111, v117, v118
	s_delay_alu instid0(VALU_DEP_1) | instskip(NEXT) | instid1(VALU_DEP_1)
	v_div_fixup_f32 v111, v111, v109, v108
	v_fmac_f32_e32 v109, v108, v111
	s_delay_alu instid0(VALU_DEP_1) | instskip(SKIP_1) | instid1(VALU_DEP_2)
	v_div_scale_f32 v108, null, v109, v109, 1.0
	v_div_scale_f32 v119, vcc_lo, 1.0, v109, 1.0
	v_rcp_f32_e32 v117, v108
	v_nop
	s_delay_alu instid0(TRANS32_DEP_1) | instskip(NEXT) | instid1(VALU_DEP_1)
	v_fma_f32 v118, -v108, v117, 1.0
	v_fmac_f32_e32 v117, v118, v117
	s_delay_alu instid0(VALU_DEP_1) | instskip(NEXT) | instid1(VALU_DEP_1)
	v_mul_f32_e32 v118, v119, v117
	v_fma_f32 v120, -v108, v118, v119
	s_delay_alu instid0(VALU_DEP_1) | instskip(NEXT) | instid1(VALU_DEP_1)
	v_fmac_f32_e32 v118, v120, v117
	v_fma_f32 v108, -v108, v118, v119
	s_delay_alu instid0(VALU_DEP_1) | instskip(NEXT) | instid1(VALU_DEP_1)
	v_div_fmas_f32 v108, v108, v117, v118
	v_div_fixup_f32 v109, v108, v109, 1.0
	s_delay_alu instid0(VALU_DEP_1)
	v_mul_f32_e32 v108, v111, v109
	v_xor_b32_e32 v109, 0x80000000, v109
.LBB100_721:
	s_and_not1_saveexec_b32 s1, s1
	s_cbranch_execz .LBB100_723
; %bb.722:
	s_delay_alu instid0(VALU_DEP_1) | instskip(SKIP_1) | instid1(VALU_DEP_2)
	v_div_scale_f32 v111, null, v108, v108, v109
	v_div_scale_f32 v119, vcc_lo, v109, v108, v109
	v_rcp_f32_e32 v117, v111
	v_nop
	s_delay_alu instid0(TRANS32_DEP_1) | instskip(NEXT) | instid1(VALU_DEP_1)
	v_fma_f32 v118, -v111, v117, 1.0
	v_fmac_f32_e32 v117, v118, v117
	s_delay_alu instid0(VALU_DEP_1) | instskip(NEXT) | instid1(VALU_DEP_1)
	v_mul_f32_e32 v118, v119, v117
	v_fma_f32 v120, -v111, v118, v119
	s_delay_alu instid0(VALU_DEP_1) | instskip(NEXT) | instid1(VALU_DEP_1)
	v_fmac_f32_e32 v118, v120, v117
	v_fma_f32 v111, -v111, v118, v119
	s_delay_alu instid0(VALU_DEP_1) | instskip(NEXT) | instid1(VALU_DEP_1)
	v_div_fmas_f32 v111, v111, v117, v118
	v_div_fixup_f32 v111, v111, v108, v109
	s_delay_alu instid0(VALU_DEP_1) | instskip(NEXT) | instid1(VALU_DEP_1)
	v_fmac_f32_e32 v108, v109, v111
	v_div_scale_f32 v109, null, v108, v108, 1.0
	s_delay_alu instid0(VALU_DEP_1) | instskip(SKIP_1) | instid1(TRANS32_DEP_1)
	v_rcp_f32_e32 v117, v109
	v_nop
	v_fma_f32 v118, -v109, v117, 1.0
	s_delay_alu instid0(VALU_DEP_1) | instskip(SKIP_1) | instid1(VALU_DEP_1)
	v_fmac_f32_e32 v117, v118, v117
	v_div_scale_f32 v118, vcc_lo, 1.0, v108, 1.0
	v_mul_f32_e32 v119, v118, v117
	s_delay_alu instid0(VALU_DEP_1) | instskip(NEXT) | instid1(VALU_DEP_1)
	v_fma_f32 v120, -v109, v119, v118
	v_fmac_f32_e32 v119, v120, v117
	s_delay_alu instid0(VALU_DEP_1) | instskip(NEXT) | instid1(VALU_DEP_1)
	v_fma_f32 v109, -v109, v119, v118
	v_div_fmas_f32 v109, v109, v117, v119
	s_delay_alu instid0(VALU_DEP_1) | instskip(NEXT) | instid1(VALU_DEP_1)
	v_div_fixup_f32 v108, v109, v108, 1.0
	v_mul_f32_e64 v109, v111, -v108
.LBB100_723:
	s_or_b32 exec_lo, exec_lo, s1
.LBB100_724:
	s_delay_alu instid0(SALU_CYCLE_1) | instskip(NEXT) | instid1(SALU_CYCLE_1)
	s_or_b32 exec_lo, exec_lo, s0
	s_mov_b32 s0, exec_lo
	v_cmpx_ne_u32_e64 v116, v110
	s_xor_b32 s0, exec_lo, s0
	s_cbranch_execz .LBB100_730
; %bb.725:
	s_mov_b32 s1, exec_lo
	v_cmpx_eq_u32_e32 34, v116
	s_cbranch_execz .LBB100_729
; %bb.726:
	v_cmp_ne_u32_e32 vcc_lo, 34, v110
	s_xor_b32 s12, s16, -1
	s_delay_alu instid0(SALU_CYCLE_1) | instskip(NEXT) | instid1(SALU_CYCLE_1)
	s_and_b32 s13, s12, vcc_lo
	s_and_saveexec_b32 s12, s13
	s_cbranch_execz .LBB100_728
; %bb.727:
	v_ashrrev_i32_e32 v111, 31, v110
	s_delay_alu instid0(VALU_DEP_1)
	v_lshl_add_u64 v[116:117], v[110:111], 2, v[4:5]
	s_clause 0x1
	global_load_b32 v111, v[116:117], off
	global_load_b32 v115, v[4:5], off offset:136
	s_wait_loadcnt 0x1
	global_store_b32 v[4:5], v111, off offset:136
	s_wait_loadcnt 0x0
	global_store_b32 v[116:117], v115, off
.LBB100_728:
	s_wait_xcnt 0x0
	s_or_b32 exec_lo, exec_lo, s12
	v_dual_mov_b32 v116, v110 :: v_dual_mov_b32 v115, v110
.LBB100_729:
	s_or_b32 exec_lo, exec_lo, s1
.LBB100_730:
	s_and_not1_saveexec_b32 s0, s0
	s_cbranch_execz .LBB100_732
; %bb.731:
	v_mov_b32_e32 v116, 34
	ds_store_2addr_b64 v112, v[54:55], v[94:95] offset0:35 offset1:36
	ds_store_2addr_b64 v112, v[92:93], v[66:67] offset0:37 offset1:38
	;; [unrolled: 1-line block ×8, first 2 shown]
.LBB100_732:
	s_or_b32 exec_lo, exec_lo, s0
	s_delay_alu instid0(SALU_CYCLE_1)
	s_mov_b32 s0, exec_lo
	s_wait_storecnt_dscnt 0x0
	s_barrier_signal -1
	s_barrier_wait -1
	v_cmpx_lt_i32_e32 34, v116
	s_cbranch_execz .LBB100_734
; %bb.733:
	v_pk_mul_f32 v[118:119], v[108:109], v[56:57] op_sel:[1,1] op_sel_hi:[0,1]
	s_delay_alu instid0(VALU_DEP_1)
	v_pk_fma_f32 v[110:111], v[108:109], v[56:57], v[118:119] op_sel_hi:[1,0,1] neg_lo:[0,0,1] neg_hi:[0,0,1]
	v_pk_fma_f32 v[108:109], v[108:109], v[56:57], v[118:119] op_sel_hi:[1,0,1]
	ds_load_2addr_b64 v[118:121], v112 offset0:35 offset1:36
	v_dual_mov_b32 v56, v110 :: v_dual_mov_b32 v57, v109
	s_wait_dscnt 0x0
	v_pk_mul_f32 v[122:123], v[118:119], v[108:109] op_sel:[0,1]
	s_delay_alu instid0(VALU_DEP_1) | instskip(SKIP_1) | instid1(VALU_DEP_1)
	v_pk_fma_f32 v[124:125], v[118:119], v[110:111], v[122:123] op_sel:[0,0,1] op_sel_hi:[1,1,0] neg_lo:[0,0,1] neg_hi:[0,0,1]
	v_pk_fma_f32 v[118:119], v[118:119], v[110:111], v[122:123] op_sel:[0,0,1] op_sel_hi:[1,0,0]
	v_mov_b32_e32 v125, v119
	v_pk_mul_f32 v[118:119], v[120:121], v[108:109] op_sel:[0,1]
	s_delay_alu instid0(VALU_DEP_1) | instskip(SKIP_1) | instid1(VALU_DEP_1)
	v_pk_fma_f32 v[122:123], v[120:121], v[110:111], v[118:119] op_sel:[0,0,1] op_sel_hi:[1,1,0] neg_lo:[0,0,1] neg_hi:[0,0,1]
	v_pk_fma_f32 v[118:119], v[120:121], v[110:111], v[118:119] op_sel:[0,0,1] op_sel_hi:[1,0,0]
	v_mov_b32_e32 v123, v119
	ds_load_2addr_b64 v[118:121], v112 offset0:37 offset1:38
	v_pk_add_f32 v[54:55], v[54:55], v[124:125] neg_lo:[0,1] neg_hi:[0,1]
	v_pk_add_f32 v[94:95], v[94:95], v[122:123] neg_lo:[0,1] neg_hi:[0,1]
	s_wait_dscnt 0x0
	v_pk_mul_f32 v[122:123], v[118:119], v[108:109] op_sel:[0,1]
	s_delay_alu instid0(VALU_DEP_1) | instskip(SKIP_2) | instid1(VALU_DEP_2)
	v_pk_fma_f32 v[124:125], v[118:119], v[110:111], v[122:123] op_sel:[0,0,1] op_sel_hi:[1,1,0] neg_lo:[0,0,1] neg_hi:[0,0,1]
	v_pk_fma_f32 v[118:119], v[118:119], v[110:111], v[122:123] op_sel:[0,0,1] op_sel_hi:[1,0,0]
	v_dual_mul_f32 v122, v121, v109 :: v_dual_mov_b32 v118, v121
	v_dual_mov_b32 v125, v119 :: v_dual_mov_b32 v119, v120
	s_delay_alu instid0(VALU_DEP_2) | instskip(SKIP_1) | instid1(VALU_DEP_3)
	v_pk_fma_f32 v[122:123], v[120:121], v[56:57], v[122:123] op_sel_hi:[1,1,0] neg_lo:[0,0,1] neg_hi:[0,0,1]
	v_mul_f32_e32 v120, v121, v110
	v_pk_add_f32 v[92:93], v[92:93], v[124:125] neg_lo:[0,1] neg_hi:[0,1]
	s_delay_alu instid0(VALU_DEP_2) | instskip(NEXT) | instid1(VALU_DEP_1)
	v_pk_fma_f32 v[118:119], v[118:119], v[56:57], v[120:121] op_sel_hi:[1,1,0]
	v_mov_b32_e32 v123, v119
	ds_load_2addr_b64 v[118:121], v112 offset0:39 offset1:40
	v_pk_add_f32 v[66:67], v[66:67], v[122:123] neg_lo:[0,1] neg_hi:[0,1]
	s_wait_dscnt 0x0
	v_pk_mul_f32 v[122:123], v[118:119], v[108:109] op_sel:[0,1]
	s_delay_alu instid0(VALU_DEP_1) | instskip(SKIP_1) | instid1(VALU_DEP_1)
	v_pk_fma_f32 v[124:125], v[118:119], v[110:111], v[122:123] op_sel:[0,0,1] op_sel_hi:[1,1,0] neg_lo:[0,0,1] neg_hi:[0,0,1]
	v_pk_fma_f32 v[118:119], v[118:119], v[110:111], v[122:123] op_sel:[0,0,1] op_sel_hi:[1,0,0]
	v_mov_b32_e32 v125, v119
	v_pk_mul_f32 v[118:119], v[120:121], v[108:109] op_sel:[0,1]
	s_delay_alu instid0(VALU_DEP_1) | instskip(SKIP_1) | instid1(VALU_DEP_1)
	v_pk_fma_f32 v[122:123], v[120:121], v[110:111], v[118:119] op_sel:[0,0,1] op_sel_hi:[1,1,0] neg_lo:[0,0,1] neg_hi:[0,0,1]
	v_pk_fma_f32 v[118:119], v[120:121], v[110:111], v[118:119] op_sel:[0,0,1] op_sel_hi:[1,0,0]
	v_mov_b32_e32 v123, v119
	ds_load_2addr_b64 v[118:121], v112 offset0:41 offset1:42
	v_pk_add_f32 v[64:65], v[64:65], v[124:125] neg_lo:[0,1] neg_hi:[0,1]
	v_pk_add_f32 v[104:105], v[104:105], v[122:123] neg_lo:[0,1] neg_hi:[0,1]
	s_wait_dscnt 0x0
	v_pk_mul_f32 v[122:123], v[118:119], v[108:109] op_sel:[0,1]
	s_delay_alu instid0(VALU_DEP_1) | instskip(SKIP_1) | instid1(VALU_DEP_1)
	v_pk_fma_f32 v[124:125], v[118:119], v[110:111], v[122:123] op_sel:[0,0,1] op_sel_hi:[1,1,0] neg_lo:[0,0,1] neg_hi:[0,0,1]
	v_pk_fma_f32 v[118:119], v[118:119], v[110:111], v[122:123] op_sel:[0,0,1] op_sel_hi:[1,0,0]
	v_mov_b32_e32 v125, v119
	v_pk_mul_f32 v[118:119], v[120:121], v[108:109] op_sel:[0,1]
	s_delay_alu instid0(VALU_DEP_1) | instskip(SKIP_1) | instid1(VALU_DEP_1)
	v_pk_fma_f32 v[122:123], v[120:121], v[110:111], v[118:119] op_sel:[0,0,1] op_sel_hi:[1,1,0] neg_lo:[0,0,1] neg_hi:[0,0,1]
	v_pk_fma_f32 v[118:119], v[120:121], v[110:111], v[118:119] op_sel:[0,0,1] op_sel_hi:[1,0,0]
	v_mov_b32_e32 v123, v119
	ds_load_2addr_b64 v[118:121], v112 offset0:43 offset1:44
	v_pk_add_f32 v[102:103], v[102:103], v[124:125] neg_lo:[0,1] neg_hi:[0,1]
	v_pk_add_f32 v[76:77], v[76:77], v[122:123] neg_lo:[0,1] neg_hi:[0,1]
	s_wait_dscnt 0x0
	v_dual_mul_f32 v122, v119, v109 :: v_dual_mul_f32 v124, v119, v110
	s_delay_alu instid0(VALU_DEP_1) | instskip(NEXT) | instid1(VALU_DEP_2)
	v_pk_fma_f32 v[122:123], v[118:119], v[56:57], v[122:123] op_sel_hi:[1,1,0] neg_lo:[0,0,1] neg_hi:[0,0,1]
	v_pk_fma_f32 v[118:119], v[118:119], v[56:57], v[124:125] op_sel:[1,0,0] op_sel_hi:[0,1,0]
	s_delay_alu instid0(VALU_DEP_1) | instskip(SKIP_1) | instid1(VALU_DEP_2)
	v_mov_b32_e32 v123, v119
	v_pk_mul_f32 v[118:119], v[120:121], v[108:109] op_sel:[0,1]
	v_pk_add_f32 v[74:75], v[74:75], v[122:123] neg_lo:[0,1] neg_hi:[0,1]
	s_delay_alu instid0(VALU_DEP_2) | instskip(SKIP_1) | instid1(VALU_DEP_1)
	v_pk_fma_f32 v[122:123], v[120:121], v[110:111], v[118:119] op_sel:[0,0,1] op_sel_hi:[1,1,0] neg_lo:[0,0,1] neg_hi:[0,0,1]
	v_pk_fma_f32 v[118:119], v[120:121], v[110:111], v[118:119] op_sel:[0,0,1] op_sel_hi:[1,0,0]
	v_mov_b32_e32 v123, v119
	ds_load_2addr_b64 v[118:121], v112 offset0:45 offset1:46
	v_pk_add_f32 v[98:99], v[98:99], v[122:123] neg_lo:[0,1] neg_hi:[0,1]
	s_wait_dscnt 0x0
	v_pk_mul_f32 v[122:123], v[118:119], v[108:109] op_sel:[0,1]
	s_delay_alu instid0(VALU_DEP_1) | instskip(SKIP_1) | instid1(VALU_DEP_1)
	v_pk_fma_f32 v[124:125], v[118:119], v[110:111], v[122:123] op_sel:[0,0,1] op_sel_hi:[1,1,0] neg_lo:[0,0,1] neg_hi:[0,0,1]
	v_pk_fma_f32 v[118:119], v[118:119], v[110:111], v[122:123] op_sel:[0,0,1] op_sel_hi:[1,0,0]
	v_mov_b32_e32 v125, v119
	v_pk_mul_f32 v[118:119], v[120:121], v[108:109] op_sel:[0,1]
	s_delay_alu instid0(VALU_DEP_2) | instskip(NEXT) | instid1(VALU_DEP_2)
	v_pk_add_f32 v[96:97], v[96:97], v[124:125] neg_lo:[0,1] neg_hi:[0,1]
	v_pk_fma_f32 v[122:123], v[120:121], v[110:111], v[118:119] op_sel:[0,0,1] op_sel_hi:[1,1,0] neg_lo:[0,0,1] neg_hi:[0,0,1]
	v_pk_fma_f32 v[118:119], v[120:121], v[110:111], v[118:119] op_sel:[0,0,1] op_sel_hi:[1,0,0]
	s_delay_alu instid0(VALU_DEP_1) | instskip(SKIP_4) | instid1(VALU_DEP_1)
	v_mov_b32_e32 v123, v119
	ds_load_2addr_b64 v[118:121], v112 offset0:47 offset1:48
	v_pk_add_f32 v[80:81], v[80:81], v[122:123] neg_lo:[0,1] neg_hi:[0,1]
	s_wait_dscnt 0x0
	v_pk_mul_f32 v[122:123], v[118:119], v[108:109] op_sel:[0,1]
	v_pk_fma_f32 v[124:125], v[118:119], v[110:111], v[122:123] op_sel:[0,0,1] op_sel_hi:[1,1,0] neg_lo:[0,0,1] neg_hi:[0,0,1]
	v_pk_fma_f32 v[118:119], v[118:119], v[110:111], v[122:123] op_sel:[0,0,1] op_sel_hi:[1,0,0]
	v_dual_mul_f32 v122, v121, v109 :: v_dual_mov_b32 v118, v121
	s_delay_alu instid0(VALU_DEP_2) | instskip(NEXT) | instid1(VALU_DEP_2)
	v_dual_mov_b32 v125, v119 :: v_dual_mov_b32 v119, v120
	v_pk_fma_f32 v[122:123], v[120:121], v[56:57], v[122:123] op_sel_hi:[1,1,0] neg_lo:[0,0,1] neg_hi:[0,0,1]
	v_mul_f32_e32 v120, v121, v110
	s_delay_alu instid0(VALU_DEP_3) | instskip(NEXT) | instid1(VALU_DEP_2)
	v_pk_add_f32 v[78:79], v[78:79], v[124:125] neg_lo:[0,1] neg_hi:[0,1]
	v_pk_fma_f32 v[118:119], v[118:119], v[56:57], v[120:121] op_sel_hi:[1,1,0]
	s_delay_alu instid0(VALU_DEP_1)
	v_mov_b32_e32 v123, v119
	ds_load_2addr_b64 v[118:121], v112 offset0:49 offset1:50
	v_pk_add_f32 v[88:89], v[88:89], v[122:123] neg_lo:[0,1] neg_hi:[0,1]
	s_wait_dscnt 0x0
	v_pk_mul_f32 v[122:123], v[118:119], v[108:109] op_sel:[0,1]
	v_pk_mul_f32 v[108:109], v[120:121], v[108:109] op_sel:[0,1]
	s_delay_alu instid0(VALU_DEP_2) | instskip(SKIP_1) | instid1(VALU_DEP_1)
	v_pk_fma_f32 v[124:125], v[118:119], v[110:111], v[122:123] op_sel:[0,0,1] op_sel_hi:[1,1,0] neg_lo:[0,0,1] neg_hi:[0,0,1]
	v_pk_fma_f32 v[118:119], v[118:119], v[110:111], v[122:123] op_sel:[0,0,1] op_sel_hi:[1,0,0]
	v_mov_b32_e32 v125, v119
	s_delay_alu instid0(VALU_DEP_4) | instskip(SKIP_1) | instid1(VALU_DEP_1)
	v_pk_fma_f32 v[118:119], v[120:121], v[110:111], v[108:109] op_sel:[0,0,1] op_sel_hi:[1,1,0] neg_lo:[0,0,1] neg_hi:[0,0,1]
	v_pk_fma_f32 v[108:109], v[120:121], v[110:111], v[108:109] op_sel:[0,0,1] op_sel_hi:[1,0,0]
	v_mov_b32_e32 v119, v109
	s_delay_alu instid0(VALU_DEP_4) | instskip(NEXT) | instid1(VALU_DEP_2)
	v_pk_add_f32 v[86:87], v[86:87], v[124:125] neg_lo:[0,1] neg_hi:[0,1]
	v_pk_add_f32 v[106:107], v[106:107], v[118:119] neg_lo:[0,1] neg_hi:[0,1]
.LBB100_734:
	s_or_b32 exec_lo, exec_lo, s0
	v_lshl_add_u32 v108, v116, 3, v112
	s_barrier_signal -1
	s_barrier_wait -1
	ds_store_b64 v108, v[54:55]
	s_wait_dscnt 0x0
	s_barrier_signal -1
	s_barrier_wait -1
	ds_load_b64 v[108:109], v112 offset:280
	v_mov_b32_e32 v110, 35
	s_cmp_lt_i32 s18, 37
	s_cbranch_scc1 .LBB100_737
; %bb.735:
	v_add3_u32 v111, v113, 0, 0x120
	v_mov_b32_e32 v110, 35
	s_mov_b32 s0, 36
.LBB100_736:                            ; =>This Inner Loop Header: Depth=1
	ds_load_b64 v[118:119], v111
	s_wait_dscnt 0x1
	v_cmp_gt_f32_e32 vcc_lo, 0, v108
	v_cndmask_b32_e64 v120, v108, -v108, vcc_lo
	v_cmp_gt_f32_e32 vcc_lo, 0, v109
	v_cndmask_b32_e64 v122, v109, -v109, vcc_lo
	s_wait_dscnt 0x0
	v_cmp_gt_f32_e32 vcc_lo, 0, v118
	v_cndmask_b32_e64 v121, v118, -v118, vcc_lo
	v_cmp_gt_f32_e32 vcc_lo, 0, v119
	v_cndmask_b32_e64 v123, v119, -v119, vcc_lo
	s_delay_alu instid0(VALU_DEP_1) | instskip(NEXT) | instid1(VALU_DEP_1)
	v_pk_add_f32 v[120:121], v[120:121], v[122:123]
	v_cmp_lt_f32_e32 vcc_lo, v120, v121
	v_dual_cndmask_b32 v108, v108, v118 :: v_dual_add_nc_u32 v111, 8, v111
	v_cndmask_b32_e32 v109, v109, v119, vcc_lo
	v_cndmask_b32_e64 v110, v110, s0, vcc_lo
	s_add_co_i32 s0, s0, 1
	s_delay_alu instid0(SALU_CYCLE_1)
	s_cmp_lg_u32 s18, s0
	s_cbranch_scc1 .LBB100_736
.LBB100_737:
	s_wait_dscnt 0x0
	v_cmp_eq_f32_e32 vcc_lo, 0, v108
	v_cmp_eq_f32_e64 s0, 0, v109
	s_and_b32 s0, vcc_lo, s0
	s_delay_alu instid0(SALU_CYCLE_1) | instskip(NEXT) | instid1(SALU_CYCLE_1)
	s_and_saveexec_b32 s1, s0
	s_xor_b32 s0, exec_lo, s1
; %bb.738:
	v_cmp_ne_u32_e32 vcc_lo, 0, v114
	v_cndmask_b32_e32 v114, 36, v114, vcc_lo
; %bb.739:
	s_and_not1_saveexec_b32 s0, s0
	s_cbranch_execz .LBB100_745
; %bb.740:
	v_cmp_ngt_f32_e64 s1, |v108|, |v109|
	s_and_saveexec_b32 s12, s1
	s_delay_alu instid0(SALU_CYCLE_1)
	s_xor_b32 s1, exec_lo, s12
	s_cbranch_execz .LBB100_742
; %bb.741:
	v_div_scale_f32 v111, null, v109, v109, v108
	v_div_scale_f32 v119, vcc_lo, v108, v109, v108
	s_delay_alu instid0(VALU_DEP_2) | instskip(SKIP_1) | instid1(TRANS32_DEP_1)
	v_rcp_f32_e32 v117, v111
	v_nop
	v_fma_f32 v118, -v111, v117, 1.0
	s_delay_alu instid0(VALU_DEP_1) | instskip(NEXT) | instid1(VALU_DEP_1)
	v_fmac_f32_e32 v117, v118, v117
	v_mul_f32_e32 v118, v119, v117
	s_delay_alu instid0(VALU_DEP_1) | instskip(NEXT) | instid1(VALU_DEP_1)
	v_fma_f32 v120, -v111, v118, v119
	v_fmac_f32_e32 v118, v120, v117
	s_delay_alu instid0(VALU_DEP_1) | instskip(NEXT) | instid1(VALU_DEP_1)
	v_fma_f32 v111, -v111, v118, v119
	v_div_fmas_f32 v111, v111, v117, v118
	s_delay_alu instid0(VALU_DEP_1) | instskip(NEXT) | instid1(VALU_DEP_1)
	v_div_fixup_f32 v111, v111, v109, v108
	v_fmac_f32_e32 v109, v108, v111
	s_delay_alu instid0(VALU_DEP_1) | instskip(SKIP_1) | instid1(VALU_DEP_2)
	v_div_scale_f32 v108, null, v109, v109, 1.0
	v_div_scale_f32 v119, vcc_lo, 1.0, v109, 1.0
	v_rcp_f32_e32 v117, v108
	v_nop
	s_delay_alu instid0(TRANS32_DEP_1) | instskip(NEXT) | instid1(VALU_DEP_1)
	v_fma_f32 v118, -v108, v117, 1.0
	v_fmac_f32_e32 v117, v118, v117
	s_delay_alu instid0(VALU_DEP_1) | instskip(NEXT) | instid1(VALU_DEP_1)
	v_mul_f32_e32 v118, v119, v117
	v_fma_f32 v120, -v108, v118, v119
	s_delay_alu instid0(VALU_DEP_1) | instskip(NEXT) | instid1(VALU_DEP_1)
	v_fmac_f32_e32 v118, v120, v117
	v_fma_f32 v108, -v108, v118, v119
	s_delay_alu instid0(VALU_DEP_1) | instskip(NEXT) | instid1(VALU_DEP_1)
	v_div_fmas_f32 v108, v108, v117, v118
	v_div_fixup_f32 v109, v108, v109, 1.0
	s_delay_alu instid0(VALU_DEP_1)
	v_mul_f32_e32 v108, v111, v109
	v_xor_b32_e32 v109, 0x80000000, v109
.LBB100_742:
	s_and_not1_saveexec_b32 s1, s1
	s_cbranch_execz .LBB100_744
; %bb.743:
	s_delay_alu instid0(VALU_DEP_1) | instskip(SKIP_1) | instid1(VALU_DEP_2)
	v_div_scale_f32 v111, null, v108, v108, v109
	v_div_scale_f32 v119, vcc_lo, v109, v108, v109
	v_rcp_f32_e32 v117, v111
	v_nop
	s_delay_alu instid0(TRANS32_DEP_1) | instskip(NEXT) | instid1(VALU_DEP_1)
	v_fma_f32 v118, -v111, v117, 1.0
	v_fmac_f32_e32 v117, v118, v117
	s_delay_alu instid0(VALU_DEP_1) | instskip(NEXT) | instid1(VALU_DEP_1)
	v_mul_f32_e32 v118, v119, v117
	v_fma_f32 v120, -v111, v118, v119
	s_delay_alu instid0(VALU_DEP_1) | instskip(NEXT) | instid1(VALU_DEP_1)
	v_fmac_f32_e32 v118, v120, v117
	v_fma_f32 v111, -v111, v118, v119
	s_delay_alu instid0(VALU_DEP_1) | instskip(NEXT) | instid1(VALU_DEP_1)
	v_div_fmas_f32 v111, v111, v117, v118
	v_div_fixup_f32 v111, v111, v108, v109
	s_delay_alu instid0(VALU_DEP_1) | instskip(NEXT) | instid1(VALU_DEP_1)
	v_fmac_f32_e32 v108, v109, v111
	v_div_scale_f32 v109, null, v108, v108, 1.0
	s_delay_alu instid0(VALU_DEP_1) | instskip(SKIP_1) | instid1(TRANS32_DEP_1)
	v_rcp_f32_e32 v117, v109
	v_nop
	v_fma_f32 v118, -v109, v117, 1.0
	s_delay_alu instid0(VALU_DEP_1) | instskip(SKIP_1) | instid1(VALU_DEP_1)
	v_fmac_f32_e32 v117, v118, v117
	v_div_scale_f32 v118, vcc_lo, 1.0, v108, 1.0
	v_mul_f32_e32 v119, v118, v117
	s_delay_alu instid0(VALU_DEP_1) | instskip(NEXT) | instid1(VALU_DEP_1)
	v_fma_f32 v120, -v109, v119, v118
	v_fmac_f32_e32 v119, v120, v117
	s_delay_alu instid0(VALU_DEP_1) | instskip(NEXT) | instid1(VALU_DEP_1)
	v_fma_f32 v109, -v109, v119, v118
	v_div_fmas_f32 v109, v109, v117, v119
	s_delay_alu instid0(VALU_DEP_1) | instskip(NEXT) | instid1(VALU_DEP_1)
	v_div_fixup_f32 v108, v109, v108, 1.0
	v_mul_f32_e64 v109, v111, -v108
.LBB100_744:
	s_or_b32 exec_lo, exec_lo, s1
.LBB100_745:
	s_delay_alu instid0(SALU_CYCLE_1) | instskip(NEXT) | instid1(SALU_CYCLE_1)
	s_or_b32 exec_lo, exec_lo, s0
	s_mov_b32 s0, exec_lo
	v_cmpx_ne_u32_e64 v116, v110
	s_xor_b32 s0, exec_lo, s0
	s_cbranch_execz .LBB100_751
; %bb.746:
	s_mov_b32 s1, exec_lo
	v_cmpx_eq_u32_e32 35, v116
	s_cbranch_execz .LBB100_750
; %bb.747:
	v_cmp_ne_u32_e32 vcc_lo, 35, v110
	s_xor_b32 s12, s16, -1
	s_delay_alu instid0(SALU_CYCLE_1) | instskip(NEXT) | instid1(SALU_CYCLE_1)
	s_and_b32 s13, s12, vcc_lo
	s_and_saveexec_b32 s12, s13
	s_cbranch_execz .LBB100_749
; %bb.748:
	v_ashrrev_i32_e32 v111, 31, v110
	s_delay_alu instid0(VALU_DEP_1)
	v_lshl_add_u64 v[116:117], v[110:111], 2, v[4:5]
	s_clause 0x1
	global_load_b32 v111, v[116:117], off
	global_load_b32 v115, v[4:5], off offset:140
	s_wait_loadcnt 0x1
	global_store_b32 v[4:5], v111, off offset:140
	s_wait_loadcnt 0x0
	global_store_b32 v[116:117], v115, off
.LBB100_749:
	s_wait_xcnt 0x0
	s_or_b32 exec_lo, exec_lo, s12
	v_dual_mov_b32 v116, v110 :: v_dual_mov_b32 v115, v110
.LBB100_750:
	s_or_b32 exec_lo, exec_lo, s1
.LBB100_751:
	s_and_not1_saveexec_b32 s0, s0
	s_cbranch_execz .LBB100_753
; %bb.752:
	v_dual_mov_b32 v110, v94 :: v_dual_mov_b32 v111, v95
	v_dual_mov_b32 v116, v92 :: v_dual_mov_b32 v117, v93
	ds_store_2addr_b64 v112, v[110:111], v[116:117] offset0:36 offset1:37
	v_dual_mov_b32 v110, v66 :: v_dual_mov_b32 v111, v67
	v_dual_mov_b32 v116, v64 :: v_dual_mov_b32 v117, v65
	ds_store_2addr_b64 v112, v[110:111], v[116:117] offset0:38 offset1:39
	;; [unrolled: 3-line block ×7, first 2 shown]
	ds_store_b64 v112, v[106:107] offset:400
	v_mov_b32_e32 v116, 35
.LBB100_753:
	s_or_b32 exec_lo, exec_lo, s0
	s_delay_alu instid0(SALU_CYCLE_1)
	s_mov_b32 s0, exec_lo
	s_wait_storecnt_dscnt 0x0
	s_barrier_signal -1
	s_barrier_wait -1
	v_cmpx_lt_i32_e32 35, v116
	s_cbranch_execz .LBB100_755
; %bb.754:
	v_pk_mul_f32 v[118:119], v[108:109], v[54:55] op_sel:[1,1] op_sel_hi:[0,1]
	s_delay_alu instid0(VALU_DEP_1)
	v_pk_fma_f32 v[110:111], v[108:109], v[54:55], v[118:119] op_sel_hi:[1,0,1] neg_lo:[0,0,1] neg_hi:[0,0,1]
	v_pk_fma_f32 v[108:109], v[108:109], v[54:55], v[118:119] op_sel_hi:[1,0,1]
	ds_load_2addr_b64 v[118:121], v112 offset0:36 offset1:37
	v_dual_mov_b32 v54, v110 :: v_dual_mov_b32 v55, v109
	s_wait_dscnt 0x0
	v_pk_mul_f32 v[122:123], v[118:119], v[108:109] op_sel:[0,1]
	s_delay_alu instid0(VALU_DEP_1) | instskip(SKIP_1) | instid1(VALU_DEP_1)
	v_pk_fma_f32 v[124:125], v[118:119], v[110:111], v[122:123] op_sel:[0,0,1] op_sel_hi:[1,1,0] neg_lo:[0,0,1] neg_hi:[0,0,1]
	v_pk_fma_f32 v[118:119], v[118:119], v[110:111], v[122:123] op_sel:[0,0,1] op_sel_hi:[1,0,0]
	v_mov_b32_e32 v125, v119
	v_pk_mul_f32 v[118:119], v[120:121], v[108:109] op_sel:[0,1]
	s_delay_alu instid0(VALU_DEP_1) | instskip(SKIP_1) | instid1(VALU_DEP_1)
	v_pk_fma_f32 v[122:123], v[120:121], v[110:111], v[118:119] op_sel:[0,0,1] op_sel_hi:[1,1,0] neg_lo:[0,0,1] neg_hi:[0,0,1]
	v_pk_fma_f32 v[118:119], v[120:121], v[110:111], v[118:119] op_sel:[0,0,1] op_sel_hi:[1,0,0]
	v_mov_b32_e32 v123, v119
	ds_load_2addr_b64 v[118:121], v112 offset0:38 offset1:39
	v_pk_add_f32 v[94:95], v[94:95], v[124:125] neg_lo:[0,1] neg_hi:[0,1]
	v_pk_add_f32 v[92:93], v[92:93], v[122:123] neg_lo:[0,1] neg_hi:[0,1]
	s_wait_dscnt 0x0
	v_pk_mul_f32 v[122:123], v[118:119], v[108:109] op_sel:[0,1]
	s_delay_alu instid0(VALU_DEP_1) | instskip(SKIP_2) | instid1(VALU_DEP_2)
	v_pk_fma_f32 v[124:125], v[118:119], v[110:111], v[122:123] op_sel:[0,0,1] op_sel_hi:[1,1,0] neg_lo:[0,0,1] neg_hi:[0,0,1]
	v_pk_fma_f32 v[118:119], v[118:119], v[110:111], v[122:123] op_sel:[0,0,1] op_sel_hi:[1,0,0]
	v_dual_mul_f32 v122, v121, v109 :: v_dual_mov_b32 v118, v121
	v_dual_mov_b32 v125, v119 :: v_dual_mov_b32 v119, v120
	s_delay_alu instid0(VALU_DEP_2) | instskip(SKIP_1) | instid1(VALU_DEP_3)
	v_pk_fma_f32 v[122:123], v[120:121], v[54:55], v[122:123] op_sel_hi:[1,1,0] neg_lo:[0,0,1] neg_hi:[0,0,1]
	v_mul_f32_e32 v120, v121, v110
	v_pk_add_f32 v[66:67], v[66:67], v[124:125] neg_lo:[0,1] neg_hi:[0,1]
	s_delay_alu instid0(VALU_DEP_2) | instskip(NEXT) | instid1(VALU_DEP_1)
	v_pk_fma_f32 v[118:119], v[118:119], v[54:55], v[120:121] op_sel_hi:[1,1,0]
	v_mov_b32_e32 v123, v119
	ds_load_2addr_b64 v[118:121], v112 offset0:40 offset1:41
	v_pk_add_f32 v[64:65], v[64:65], v[122:123] neg_lo:[0,1] neg_hi:[0,1]
	s_wait_dscnt 0x0
	v_pk_mul_f32 v[122:123], v[118:119], v[108:109] op_sel:[0,1]
	s_delay_alu instid0(VALU_DEP_1) | instskip(SKIP_1) | instid1(VALU_DEP_1)
	v_pk_fma_f32 v[124:125], v[118:119], v[110:111], v[122:123] op_sel:[0,0,1] op_sel_hi:[1,1,0] neg_lo:[0,0,1] neg_hi:[0,0,1]
	v_pk_fma_f32 v[118:119], v[118:119], v[110:111], v[122:123] op_sel:[0,0,1] op_sel_hi:[1,0,0]
	v_mov_b32_e32 v125, v119
	v_pk_mul_f32 v[118:119], v[120:121], v[108:109] op_sel:[0,1]
	s_delay_alu instid0(VALU_DEP_1) | instskip(SKIP_1) | instid1(VALU_DEP_1)
	v_pk_fma_f32 v[122:123], v[120:121], v[110:111], v[118:119] op_sel:[0,0,1] op_sel_hi:[1,1,0] neg_lo:[0,0,1] neg_hi:[0,0,1]
	v_pk_fma_f32 v[118:119], v[120:121], v[110:111], v[118:119] op_sel:[0,0,1] op_sel_hi:[1,0,0]
	v_mov_b32_e32 v123, v119
	ds_load_2addr_b64 v[118:121], v112 offset0:42 offset1:43
	v_pk_add_f32 v[104:105], v[104:105], v[124:125] neg_lo:[0,1] neg_hi:[0,1]
	v_pk_add_f32 v[102:103], v[102:103], v[122:123] neg_lo:[0,1] neg_hi:[0,1]
	s_wait_dscnt 0x0
	v_pk_mul_f32 v[122:123], v[118:119], v[108:109] op_sel:[0,1]
	s_delay_alu instid0(VALU_DEP_1) | instskip(SKIP_1) | instid1(VALU_DEP_1)
	v_pk_fma_f32 v[124:125], v[118:119], v[110:111], v[122:123] op_sel:[0,0,1] op_sel_hi:[1,1,0] neg_lo:[0,0,1] neg_hi:[0,0,1]
	v_pk_fma_f32 v[118:119], v[118:119], v[110:111], v[122:123] op_sel:[0,0,1] op_sel_hi:[1,0,0]
	v_mov_b32_e32 v125, v119
	v_pk_mul_f32 v[118:119], v[120:121], v[108:109] op_sel:[0,1]
	s_delay_alu instid0(VALU_DEP_1) | instskip(SKIP_1) | instid1(VALU_DEP_1)
	v_pk_fma_f32 v[122:123], v[120:121], v[110:111], v[118:119] op_sel:[0,0,1] op_sel_hi:[1,1,0] neg_lo:[0,0,1] neg_hi:[0,0,1]
	v_pk_fma_f32 v[118:119], v[120:121], v[110:111], v[118:119] op_sel:[0,0,1] op_sel_hi:[1,0,0]
	v_mov_b32_e32 v123, v119
	ds_load_2addr_b64 v[118:121], v112 offset0:44 offset1:45
	v_pk_add_f32 v[76:77], v[76:77], v[124:125] neg_lo:[0,1] neg_hi:[0,1]
	v_pk_add_f32 v[74:75], v[74:75], v[122:123] neg_lo:[0,1] neg_hi:[0,1]
	s_wait_dscnt 0x0
	v_dual_mul_f32 v122, v119, v109 :: v_dual_mul_f32 v124, v119, v110
	s_delay_alu instid0(VALU_DEP_1) | instskip(NEXT) | instid1(VALU_DEP_2)
	v_pk_fma_f32 v[122:123], v[118:119], v[54:55], v[122:123] op_sel_hi:[1,1,0] neg_lo:[0,0,1] neg_hi:[0,0,1]
	v_pk_fma_f32 v[118:119], v[118:119], v[54:55], v[124:125] op_sel:[1,0,0] op_sel_hi:[0,1,0]
	s_delay_alu instid0(VALU_DEP_1) | instskip(SKIP_1) | instid1(VALU_DEP_2)
	v_mov_b32_e32 v123, v119
	v_pk_mul_f32 v[118:119], v[120:121], v[108:109] op_sel:[0,1]
	v_pk_add_f32 v[98:99], v[98:99], v[122:123] neg_lo:[0,1] neg_hi:[0,1]
	s_delay_alu instid0(VALU_DEP_2) | instskip(SKIP_1) | instid1(VALU_DEP_1)
	v_pk_fma_f32 v[122:123], v[120:121], v[110:111], v[118:119] op_sel:[0,0,1] op_sel_hi:[1,1,0] neg_lo:[0,0,1] neg_hi:[0,0,1]
	v_pk_fma_f32 v[118:119], v[120:121], v[110:111], v[118:119] op_sel:[0,0,1] op_sel_hi:[1,0,0]
	v_mov_b32_e32 v123, v119
	ds_load_2addr_b64 v[118:121], v112 offset0:46 offset1:47
	v_pk_add_f32 v[96:97], v[96:97], v[122:123] neg_lo:[0,1] neg_hi:[0,1]
	s_wait_dscnt 0x0
	v_pk_mul_f32 v[122:123], v[118:119], v[108:109] op_sel:[0,1]
	s_delay_alu instid0(VALU_DEP_1) | instskip(SKIP_1) | instid1(VALU_DEP_1)
	v_pk_fma_f32 v[124:125], v[118:119], v[110:111], v[122:123] op_sel:[0,0,1] op_sel_hi:[1,1,0] neg_lo:[0,0,1] neg_hi:[0,0,1]
	v_pk_fma_f32 v[118:119], v[118:119], v[110:111], v[122:123] op_sel:[0,0,1] op_sel_hi:[1,0,0]
	v_mov_b32_e32 v125, v119
	v_pk_mul_f32 v[118:119], v[120:121], v[108:109] op_sel:[0,1]
	s_delay_alu instid0(VALU_DEP_2) | instskip(NEXT) | instid1(VALU_DEP_2)
	v_pk_add_f32 v[80:81], v[80:81], v[124:125] neg_lo:[0,1] neg_hi:[0,1]
	v_pk_fma_f32 v[122:123], v[120:121], v[110:111], v[118:119] op_sel:[0,0,1] op_sel_hi:[1,1,0] neg_lo:[0,0,1] neg_hi:[0,0,1]
	v_pk_fma_f32 v[118:119], v[120:121], v[110:111], v[118:119] op_sel:[0,0,1] op_sel_hi:[1,0,0]
	s_delay_alu instid0(VALU_DEP_1) | instskip(SKIP_4) | instid1(VALU_DEP_1)
	v_mov_b32_e32 v123, v119
	ds_load_2addr_b64 v[118:121], v112 offset0:48 offset1:49
	v_pk_add_f32 v[78:79], v[78:79], v[122:123] neg_lo:[0,1] neg_hi:[0,1]
	s_wait_dscnt 0x0
	v_pk_mul_f32 v[122:123], v[118:119], v[108:109] op_sel:[0,1]
	v_pk_fma_f32 v[124:125], v[118:119], v[110:111], v[122:123] op_sel:[0,0,1] op_sel_hi:[1,1,0] neg_lo:[0,0,1] neg_hi:[0,0,1]
	v_pk_fma_f32 v[118:119], v[118:119], v[110:111], v[122:123] op_sel:[0,0,1] op_sel_hi:[1,0,0]
	v_dual_mul_f32 v122, v121, v109 :: v_dual_mov_b32 v118, v121
	s_delay_alu instid0(VALU_DEP_2) | instskip(NEXT) | instid1(VALU_DEP_2)
	v_dual_mov_b32 v125, v119 :: v_dual_mov_b32 v119, v120
	v_pk_fma_f32 v[122:123], v[120:121], v[54:55], v[122:123] op_sel_hi:[1,1,0] neg_lo:[0,0,1] neg_hi:[0,0,1]
	v_mul_f32_e32 v120, v121, v110
	s_delay_alu instid0(VALU_DEP_3) | instskip(NEXT) | instid1(VALU_DEP_2)
	v_pk_add_f32 v[88:89], v[88:89], v[124:125] neg_lo:[0,1] neg_hi:[0,1]
	v_pk_fma_f32 v[118:119], v[118:119], v[54:55], v[120:121] op_sel_hi:[1,1,0]
	s_delay_alu instid0(VALU_DEP_1) | instskip(SKIP_4) | instid1(VALU_DEP_1)
	v_mov_b32_e32 v123, v119
	ds_load_b64 v[118:119], v112 offset:400
	v_pk_add_f32 v[86:87], v[86:87], v[122:123] neg_lo:[0,1] neg_hi:[0,1]
	s_wait_dscnt 0x0
	v_pk_mul_f32 v[108:109], v[118:119], v[108:109] op_sel:[0,1]
	v_pk_fma_f32 v[120:121], v[118:119], v[110:111], v[108:109] op_sel:[0,0,1] op_sel_hi:[1,1,0] neg_lo:[0,0,1] neg_hi:[0,0,1]
	v_pk_fma_f32 v[108:109], v[118:119], v[110:111], v[108:109] op_sel:[0,0,1] op_sel_hi:[1,0,0]
	s_delay_alu instid0(VALU_DEP_1) | instskip(NEXT) | instid1(VALU_DEP_1)
	v_mov_b32_e32 v121, v109
	v_pk_add_f32 v[106:107], v[106:107], v[120:121] neg_lo:[0,1] neg_hi:[0,1]
.LBB100_755:
	s_or_b32 exec_lo, exec_lo, s0
	v_lshl_add_u32 v108, v116, 3, v112
	s_barrier_signal -1
	s_barrier_wait -1
	ds_store_b64 v108, v[94:95]
	s_wait_dscnt 0x0
	s_barrier_signal -1
	s_barrier_wait -1
	ds_load_b64 v[108:109], v112 offset:288
	v_mov_b32_e32 v110, 36
	s_cmp_lt_i32 s18, 38
	s_cbranch_scc1 .LBB100_758
; %bb.756:
	v_add3_u32 v111, v113, 0, 0x128
	v_mov_b32_e32 v110, 36
	s_mov_b32 s0, 37
.LBB100_757:                            ; =>This Inner Loop Header: Depth=1
	ds_load_b64 v[118:119], v111
	s_wait_dscnt 0x1
	v_cmp_gt_f32_e32 vcc_lo, 0, v108
	v_cndmask_b32_e64 v120, v108, -v108, vcc_lo
	v_cmp_gt_f32_e32 vcc_lo, 0, v109
	v_cndmask_b32_e64 v122, v109, -v109, vcc_lo
	s_wait_dscnt 0x0
	v_cmp_gt_f32_e32 vcc_lo, 0, v118
	v_cndmask_b32_e64 v121, v118, -v118, vcc_lo
	v_cmp_gt_f32_e32 vcc_lo, 0, v119
	v_cndmask_b32_e64 v123, v119, -v119, vcc_lo
	s_delay_alu instid0(VALU_DEP_1) | instskip(NEXT) | instid1(VALU_DEP_1)
	v_pk_add_f32 v[120:121], v[120:121], v[122:123]
	v_cmp_lt_f32_e32 vcc_lo, v120, v121
	v_dual_cndmask_b32 v108, v108, v118 :: v_dual_add_nc_u32 v111, 8, v111
	v_cndmask_b32_e32 v109, v109, v119, vcc_lo
	v_cndmask_b32_e64 v110, v110, s0, vcc_lo
	s_add_co_i32 s0, s0, 1
	s_delay_alu instid0(SALU_CYCLE_1)
	s_cmp_lg_u32 s18, s0
	s_cbranch_scc1 .LBB100_757
.LBB100_758:
	s_wait_dscnt 0x0
	v_cmp_eq_f32_e32 vcc_lo, 0, v108
	v_cmp_eq_f32_e64 s0, 0, v109
	s_and_b32 s0, vcc_lo, s0
	s_delay_alu instid0(SALU_CYCLE_1) | instskip(NEXT) | instid1(SALU_CYCLE_1)
	s_and_saveexec_b32 s1, s0
	s_xor_b32 s0, exec_lo, s1
; %bb.759:
	v_cmp_ne_u32_e32 vcc_lo, 0, v114
	v_cndmask_b32_e32 v114, 37, v114, vcc_lo
; %bb.760:
	s_and_not1_saveexec_b32 s0, s0
	s_cbranch_execz .LBB100_766
; %bb.761:
	v_cmp_ngt_f32_e64 s1, |v108|, |v109|
	s_and_saveexec_b32 s12, s1
	s_delay_alu instid0(SALU_CYCLE_1)
	s_xor_b32 s1, exec_lo, s12
	s_cbranch_execz .LBB100_763
; %bb.762:
	v_div_scale_f32 v111, null, v109, v109, v108
	v_div_scale_f32 v119, vcc_lo, v108, v109, v108
	s_delay_alu instid0(VALU_DEP_2) | instskip(SKIP_1) | instid1(TRANS32_DEP_1)
	v_rcp_f32_e32 v117, v111
	v_nop
	v_fma_f32 v118, -v111, v117, 1.0
	s_delay_alu instid0(VALU_DEP_1) | instskip(NEXT) | instid1(VALU_DEP_1)
	v_fmac_f32_e32 v117, v118, v117
	v_mul_f32_e32 v118, v119, v117
	s_delay_alu instid0(VALU_DEP_1) | instskip(NEXT) | instid1(VALU_DEP_1)
	v_fma_f32 v120, -v111, v118, v119
	v_fmac_f32_e32 v118, v120, v117
	s_delay_alu instid0(VALU_DEP_1) | instskip(NEXT) | instid1(VALU_DEP_1)
	v_fma_f32 v111, -v111, v118, v119
	v_div_fmas_f32 v111, v111, v117, v118
	s_delay_alu instid0(VALU_DEP_1) | instskip(NEXT) | instid1(VALU_DEP_1)
	v_div_fixup_f32 v111, v111, v109, v108
	v_fmac_f32_e32 v109, v108, v111
	s_delay_alu instid0(VALU_DEP_1) | instskip(SKIP_1) | instid1(VALU_DEP_2)
	v_div_scale_f32 v108, null, v109, v109, 1.0
	v_div_scale_f32 v119, vcc_lo, 1.0, v109, 1.0
	v_rcp_f32_e32 v117, v108
	v_nop
	s_delay_alu instid0(TRANS32_DEP_1) | instskip(NEXT) | instid1(VALU_DEP_1)
	v_fma_f32 v118, -v108, v117, 1.0
	v_fmac_f32_e32 v117, v118, v117
	s_delay_alu instid0(VALU_DEP_1) | instskip(NEXT) | instid1(VALU_DEP_1)
	v_mul_f32_e32 v118, v119, v117
	v_fma_f32 v120, -v108, v118, v119
	s_delay_alu instid0(VALU_DEP_1) | instskip(NEXT) | instid1(VALU_DEP_1)
	v_fmac_f32_e32 v118, v120, v117
	v_fma_f32 v108, -v108, v118, v119
	s_delay_alu instid0(VALU_DEP_1) | instskip(NEXT) | instid1(VALU_DEP_1)
	v_div_fmas_f32 v108, v108, v117, v118
	v_div_fixup_f32 v109, v108, v109, 1.0
	s_delay_alu instid0(VALU_DEP_1)
	v_mul_f32_e32 v108, v111, v109
	v_xor_b32_e32 v109, 0x80000000, v109
.LBB100_763:
	s_and_not1_saveexec_b32 s1, s1
	s_cbranch_execz .LBB100_765
; %bb.764:
	s_delay_alu instid0(VALU_DEP_1) | instskip(SKIP_1) | instid1(VALU_DEP_2)
	v_div_scale_f32 v111, null, v108, v108, v109
	v_div_scale_f32 v119, vcc_lo, v109, v108, v109
	v_rcp_f32_e32 v117, v111
	v_nop
	s_delay_alu instid0(TRANS32_DEP_1) | instskip(NEXT) | instid1(VALU_DEP_1)
	v_fma_f32 v118, -v111, v117, 1.0
	v_fmac_f32_e32 v117, v118, v117
	s_delay_alu instid0(VALU_DEP_1) | instskip(NEXT) | instid1(VALU_DEP_1)
	v_mul_f32_e32 v118, v119, v117
	v_fma_f32 v120, -v111, v118, v119
	s_delay_alu instid0(VALU_DEP_1) | instskip(NEXT) | instid1(VALU_DEP_1)
	v_fmac_f32_e32 v118, v120, v117
	v_fma_f32 v111, -v111, v118, v119
	s_delay_alu instid0(VALU_DEP_1) | instskip(NEXT) | instid1(VALU_DEP_1)
	v_div_fmas_f32 v111, v111, v117, v118
	v_div_fixup_f32 v111, v111, v108, v109
	s_delay_alu instid0(VALU_DEP_1) | instskip(NEXT) | instid1(VALU_DEP_1)
	v_fmac_f32_e32 v108, v109, v111
	v_div_scale_f32 v109, null, v108, v108, 1.0
	s_delay_alu instid0(VALU_DEP_1) | instskip(SKIP_1) | instid1(TRANS32_DEP_1)
	v_rcp_f32_e32 v117, v109
	v_nop
	v_fma_f32 v118, -v109, v117, 1.0
	s_delay_alu instid0(VALU_DEP_1) | instskip(SKIP_1) | instid1(VALU_DEP_1)
	v_fmac_f32_e32 v117, v118, v117
	v_div_scale_f32 v118, vcc_lo, 1.0, v108, 1.0
	v_mul_f32_e32 v119, v118, v117
	s_delay_alu instid0(VALU_DEP_1) | instskip(NEXT) | instid1(VALU_DEP_1)
	v_fma_f32 v120, -v109, v119, v118
	v_fmac_f32_e32 v119, v120, v117
	s_delay_alu instid0(VALU_DEP_1) | instskip(NEXT) | instid1(VALU_DEP_1)
	v_fma_f32 v109, -v109, v119, v118
	v_div_fmas_f32 v109, v109, v117, v119
	s_delay_alu instid0(VALU_DEP_1) | instskip(NEXT) | instid1(VALU_DEP_1)
	v_div_fixup_f32 v108, v109, v108, 1.0
	v_mul_f32_e64 v109, v111, -v108
.LBB100_765:
	s_or_b32 exec_lo, exec_lo, s1
.LBB100_766:
	s_delay_alu instid0(SALU_CYCLE_1) | instskip(NEXT) | instid1(SALU_CYCLE_1)
	s_or_b32 exec_lo, exec_lo, s0
	s_mov_b32 s0, exec_lo
	v_cmpx_ne_u32_e64 v116, v110
	s_xor_b32 s0, exec_lo, s0
	s_cbranch_execz .LBB100_772
; %bb.767:
	s_mov_b32 s1, exec_lo
	v_cmpx_eq_u32_e32 36, v116
	s_cbranch_execz .LBB100_771
; %bb.768:
	v_cmp_ne_u32_e32 vcc_lo, 36, v110
	s_xor_b32 s12, s16, -1
	s_delay_alu instid0(SALU_CYCLE_1) | instskip(NEXT) | instid1(SALU_CYCLE_1)
	s_and_b32 s13, s12, vcc_lo
	s_and_saveexec_b32 s12, s13
	s_cbranch_execz .LBB100_770
; %bb.769:
	v_ashrrev_i32_e32 v111, 31, v110
	s_delay_alu instid0(VALU_DEP_1)
	v_lshl_add_u64 v[116:117], v[110:111], 2, v[4:5]
	s_clause 0x1
	global_load_b32 v111, v[116:117], off
	global_load_b32 v115, v[4:5], off offset:144
	s_wait_loadcnt 0x1
	global_store_b32 v[4:5], v111, off offset:144
	s_wait_loadcnt 0x0
	global_store_b32 v[116:117], v115, off
.LBB100_770:
	s_wait_xcnt 0x0
	s_or_b32 exec_lo, exec_lo, s12
	v_dual_mov_b32 v116, v110 :: v_dual_mov_b32 v115, v110
.LBB100_771:
	s_or_b32 exec_lo, exec_lo, s1
.LBB100_772:
	s_and_not1_saveexec_b32 s0, s0
	s_cbranch_execz .LBB100_774
; %bb.773:
	v_mov_b32_e32 v116, 36
	ds_store_2addr_b64 v112, v[92:93], v[66:67] offset0:37 offset1:38
	ds_store_2addr_b64 v112, v[64:65], v[104:105] offset0:39 offset1:40
	;; [unrolled: 1-line block ×7, first 2 shown]
.LBB100_774:
	s_or_b32 exec_lo, exec_lo, s0
	s_delay_alu instid0(SALU_CYCLE_1)
	s_mov_b32 s0, exec_lo
	s_wait_storecnt_dscnt 0x0
	s_barrier_signal -1
	s_barrier_wait -1
	v_cmpx_lt_i32_e32 36, v116
	s_cbranch_execz .LBB100_776
; %bb.775:
	v_pk_mul_f32 v[110:111], v[108:109], v[94:95] op_sel:[1,1] op_sel_hi:[0,1]
	s_delay_alu instid0(VALU_DEP_1)
	v_pk_fma_f32 v[118:119], v[108:109], v[94:95], v[110:111] op_sel_hi:[1,0,1] neg_lo:[0,0,1] neg_hi:[0,0,1]
	v_pk_fma_f32 v[120:121], v[108:109], v[94:95], v[110:111] op_sel_hi:[1,0,1]
	ds_load_2addr_b64 v[108:111], v112 offset0:37 offset1:38
	v_dual_mov_b32 v94, v118 :: v_dual_mov_b32 v95, v121
	s_wait_dscnt 0x0
	v_pk_mul_f32 v[122:123], v[108:109], v[120:121] op_sel:[0,1]
	s_delay_alu instid0(VALU_DEP_1) | instskip(SKIP_1) | instid1(VALU_DEP_1)
	v_pk_fma_f32 v[124:125], v[108:109], v[118:119], v[122:123] op_sel:[0,0,1] op_sel_hi:[1,1,0] neg_lo:[0,0,1] neg_hi:[0,0,1]
	v_pk_fma_f32 v[108:109], v[108:109], v[118:119], v[122:123] op_sel:[0,0,1] op_sel_hi:[1,0,0]
	v_mov_b32_e32 v125, v109
	v_pk_mul_f32 v[108:109], v[110:111], v[120:121] op_sel:[0,1]
	s_delay_alu instid0(VALU_DEP_1) | instskip(SKIP_1) | instid1(VALU_DEP_1)
	v_pk_fma_f32 v[122:123], v[110:111], v[118:119], v[108:109] op_sel:[0,0,1] op_sel_hi:[1,1,0] neg_lo:[0,0,1] neg_hi:[0,0,1]
	v_pk_fma_f32 v[108:109], v[110:111], v[118:119], v[108:109] op_sel:[0,0,1] op_sel_hi:[1,0,0]
	v_mov_b32_e32 v123, v109
	ds_load_2addr_b64 v[108:111], v112 offset0:39 offset1:40
	v_pk_add_f32 v[92:93], v[92:93], v[124:125] neg_lo:[0,1] neg_hi:[0,1]
	v_pk_add_f32 v[66:67], v[66:67], v[122:123] neg_lo:[0,1] neg_hi:[0,1]
	s_wait_dscnt 0x0
	v_pk_mul_f32 v[122:123], v[108:109], v[120:121] op_sel:[0,1]
	s_delay_alu instid0(VALU_DEP_1) | instskip(SKIP_2) | instid1(VALU_DEP_2)
	v_pk_fma_f32 v[124:125], v[108:109], v[118:119], v[122:123] op_sel:[0,0,1] op_sel_hi:[1,1,0] neg_lo:[0,0,1] neg_hi:[0,0,1]
	v_pk_fma_f32 v[108:109], v[108:109], v[118:119], v[122:123] op_sel:[0,0,1] op_sel_hi:[1,0,0]
	v_dual_mul_f32 v122, v111, v121 :: v_dual_mov_b32 v108, v111
	v_dual_mov_b32 v125, v109 :: v_dual_mov_b32 v109, v110
	s_delay_alu instid0(VALU_DEP_2) | instskip(SKIP_1) | instid1(VALU_DEP_3)
	v_pk_fma_f32 v[122:123], v[110:111], v[94:95], v[122:123] op_sel_hi:[1,1,0] neg_lo:[0,0,1] neg_hi:[0,0,1]
	v_mul_f32_e32 v110, v111, v118
	v_pk_add_f32 v[64:65], v[64:65], v[124:125] neg_lo:[0,1] neg_hi:[0,1]
	s_delay_alu instid0(VALU_DEP_2) | instskip(NEXT) | instid1(VALU_DEP_1)
	v_pk_fma_f32 v[108:109], v[108:109], v[94:95], v[110:111] op_sel_hi:[1,1,0]
	v_mov_b32_e32 v123, v109
	ds_load_2addr_b64 v[108:111], v112 offset0:41 offset1:42
	v_pk_add_f32 v[104:105], v[104:105], v[122:123] neg_lo:[0,1] neg_hi:[0,1]
	s_wait_dscnt 0x0
	v_pk_mul_f32 v[122:123], v[108:109], v[120:121] op_sel:[0,1]
	s_delay_alu instid0(VALU_DEP_1) | instskip(SKIP_1) | instid1(VALU_DEP_1)
	v_pk_fma_f32 v[124:125], v[108:109], v[118:119], v[122:123] op_sel:[0,0,1] op_sel_hi:[1,1,0] neg_lo:[0,0,1] neg_hi:[0,0,1]
	v_pk_fma_f32 v[108:109], v[108:109], v[118:119], v[122:123] op_sel:[0,0,1] op_sel_hi:[1,0,0]
	v_mov_b32_e32 v125, v109
	v_pk_mul_f32 v[108:109], v[110:111], v[120:121] op_sel:[0,1]
	s_delay_alu instid0(VALU_DEP_1) | instskip(SKIP_1) | instid1(VALU_DEP_1)
	v_pk_fma_f32 v[122:123], v[110:111], v[118:119], v[108:109] op_sel:[0,0,1] op_sel_hi:[1,1,0] neg_lo:[0,0,1] neg_hi:[0,0,1]
	v_pk_fma_f32 v[108:109], v[110:111], v[118:119], v[108:109] op_sel:[0,0,1] op_sel_hi:[1,0,0]
	v_mov_b32_e32 v123, v109
	ds_load_2addr_b64 v[108:111], v112 offset0:43 offset1:44
	v_pk_add_f32 v[102:103], v[102:103], v[124:125] neg_lo:[0,1] neg_hi:[0,1]
	v_pk_add_f32 v[76:77], v[76:77], v[122:123] neg_lo:[0,1] neg_hi:[0,1]
	s_wait_dscnt 0x0
	v_pk_mul_f32 v[122:123], v[108:109], v[120:121] op_sel:[0,1]
	s_delay_alu instid0(VALU_DEP_1) | instskip(SKIP_1) | instid1(VALU_DEP_1)
	v_pk_fma_f32 v[124:125], v[108:109], v[118:119], v[122:123] op_sel:[0,0,1] op_sel_hi:[1,1,0] neg_lo:[0,0,1] neg_hi:[0,0,1]
	v_pk_fma_f32 v[108:109], v[108:109], v[118:119], v[122:123] op_sel:[0,0,1] op_sel_hi:[1,0,0]
	v_mov_b32_e32 v125, v109
	v_pk_mul_f32 v[108:109], v[110:111], v[120:121] op_sel:[0,1]
	s_delay_alu instid0(VALU_DEP_1) | instskip(SKIP_1) | instid1(VALU_DEP_1)
	v_pk_fma_f32 v[122:123], v[110:111], v[118:119], v[108:109] op_sel:[0,0,1] op_sel_hi:[1,1,0] neg_lo:[0,0,1] neg_hi:[0,0,1]
	v_pk_fma_f32 v[108:109], v[110:111], v[118:119], v[108:109] op_sel:[0,0,1] op_sel_hi:[1,0,0]
	v_mov_b32_e32 v123, v109
	ds_load_2addr_b64 v[108:111], v112 offset0:45 offset1:46
	v_pk_add_f32 v[74:75], v[74:75], v[124:125] neg_lo:[0,1] neg_hi:[0,1]
	v_pk_add_f32 v[98:99], v[98:99], v[122:123] neg_lo:[0,1] neg_hi:[0,1]
	s_wait_dscnt 0x0
	v_dual_mul_f32 v122, v109, v121 :: v_dual_mul_f32 v124, v109, v118
	s_delay_alu instid0(VALU_DEP_1) | instskip(NEXT) | instid1(VALU_DEP_2)
	v_pk_fma_f32 v[122:123], v[108:109], v[94:95], v[122:123] op_sel_hi:[1,1,0] neg_lo:[0,0,1] neg_hi:[0,0,1]
	v_pk_fma_f32 v[108:109], v[108:109], v[94:95], v[124:125] op_sel:[1,0,0] op_sel_hi:[0,1,0]
	s_delay_alu instid0(VALU_DEP_1) | instskip(SKIP_1) | instid1(VALU_DEP_2)
	v_mov_b32_e32 v123, v109
	v_pk_mul_f32 v[108:109], v[110:111], v[120:121] op_sel:[0,1]
	v_pk_add_f32 v[96:97], v[96:97], v[122:123] neg_lo:[0,1] neg_hi:[0,1]
	s_delay_alu instid0(VALU_DEP_2) | instskip(SKIP_1) | instid1(VALU_DEP_1)
	v_pk_fma_f32 v[122:123], v[110:111], v[118:119], v[108:109] op_sel:[0,0,1] op_sel_hi:[1,1,0] neg_lo:[0,0,1] neg_hi:[0,0,1]
	v_pk_fma_f32 v[108:109], v[110:111], v[118:119], v[108:109] op_sel:[0,0,1] op_sel_hi:[1,0,0]
	v_mov_b32_e32 v123, v109
	ds_load_2addr_b64 v[108:111], v112 offset0:47 offset1:48
	v_pk_add_f32 v[80:81], v[80:81], v[122:123] neg_lo:[0,1] neg_hi:[0,1]
	s_wait_dscnt 0x0
	v_pk_mul_f32 v[122:123], v[108:109], v[120:121] op_sel:[0,1]
	s_delay_alu instid0(VALU_DEP_1) | instskip(SKIP_1) | instid1(VALU_DEP_1)
	v_pk_fma_f32 v[124:125], v[108:109], v[118:119], v[122:123] op_sel:[0,0,1] op_sel_hi:[1,1,0] neg_lo:[0,0,1] neg_hi:[0,0,1]
	v_pk_fma_f32 v[108:109], v[108:109], v[118:119], v[122:123] op_sel:[0,0,1] op_sel_hi:[1,0,0]
	v_mov_b32_e32 v125, v109
	v_pk_mul_f32 v[108:109], v[110:111], v[120:121] op_sel:[0,1]
	s_delay_alu instid0(VALU_DEP_2) | instskip(NEXT) | instid1(VALU_DEP_2)
	v_pk_add_f32 v[78:79], v[78:79], v[124:125] neg_lo:[0,1] neg_hi:[0,1]
	v_pk_fma_f32 v[122:123], v[110:111], v[118:119], v[108:109] op_sel:[0,0,1] op_sel_hi:[1,1,0] neg_lo:[0,0,1] neg_hi:[0,0,1]
	v_pk_fma_f32 v[108:109], v[110:111], v[118:119], v[108:109] op_sel:[0,0,1] op_sel_hi:[1,0,0]
	s_delay_alu instid0(VALU_DEP_1) | instskip(SKIP_4) | instid1(VALU_DEP_1)
	v_mov_b32_e32 v123, v109
	ds_load_2addr_b64 v[108:111], v112 offset0:49 offset1:50
	v_pk_add_f32 v[88:89], v[88:89], v[122:123] neg_lo:[0,1] neg_hi:[0,1]
	s_wait_dscnt 0x0
	v_pk_mul_f32 v[122:123], v[108:109], v[120:121] op_sel:[0,1]
	v_pk_fma_f32 v[124:125], v[108:109], v[118:119], v[122:123] op_sel:[0,0,1] op_sel_hi:[1,1,0] neg_lo:[0,0,1] neg_hi:[0,0,1]
	v_pk_fma_f32 v[108:109], v[108:109], v[118:119], v[122:123] op_sel:[0,0,1] op_sel_hi:[1,0,0]
	s_delay_alu instid0(VALU_DEP_1) | instskip(SKIP_1) | instid1(VALU_DEP_2)
	v_mov_b32_e32 v125, v109
	v_pk_mul_f32 v[108:109], v[110:111], v[120:121] op_sel:[0,1]
	v_pk_add_f32 v[86:87], v[86:87], v[124:125] neg_lo:[0,1] neg_hi:[0,1]
	s_delay_alu instid0(VALU_DEP_2) | instskip(SKIP_1) | instid1(VALU_DEP_1)
	v_pk_fma_f32 v[120:121], v[110:111], v[118:119], v[108:109] op_sel:[0,0,1] op_sel_hi:[1,1,0] neg_lo:[0,0,1] neg_hi:[0,0,1]
	v_pk_fma_f32 v[108:109], v[110:111], v[118:119], v[108:109] op_sel:[0,0,1] op_sel_hi:[1,0,0]
	v_mov_b32_e32 v121, v109
	s_delay_alu instid0(VALU_DEP_1)
	v_pk_add_f32 v[106:107], v[106:107], v[120:121] neg_lo:[0,1] neg_hi:[0,1]
.LBB100_776:
	s_or_b32 exec_lo, exec_lo, s0
	v_lshl_add_u32 v108, v116, 3, v112
	s_barrier_signal -1
	s_barrier_wait -1
	ds_store_b64 v108, v[92:93]
	s_wait_dscnt 0x0
	s_barrier_signal -1
	s_barrier_wait -1
	ds_load_b64 v[108:109], v112 offset:296
	v_mov_b32_e32 v110, 37
	s_cmp_lt_i32 s18, 39
	s_cbranch_scc1 .LBB100_779
; %bb.777:
	v_add3_u32 v111, v113, 0, 0x130
	v_mov_b32_e32 v110, 37
	s_mov_b32 s0, 38
.LBB100_778:                            ; =>This Inner Loop Header: Depth=1
	ds_load_b64 v[118:119], v111
	s_wait_dscnt 0x1
	v_cmp_gt_f32_e32 vcc_lo, 0, v108
	v_cndmask_b32_e64 v120, v108, -v108, vcc_lo
	v_cmp_gt_f32_e32 vcc_lo, 0, v109
	v_cndmask_b32_e64 v122, v109, -v109, vcc_lo
	s_wait_dscnt 0x0
	v_cmp_gt_f32_e32 vcc_lo, 0, v118
	v_cndmask_b32_e64 v121, v118, -v118, vcc_lo
	v_cmp_gt_f32_e32 vcc_lo, 0, v119
	v_cndmask_b32_e64 v123, v119, -v119, vcc_lo
	s_delay_alu instid0(VALU_DEP_1) | instskip(NEXT) | instid1(VALU_DEP_1)
	v_pk_add_f32 v[120:121], v[120:121], v[122:123]
	v_cmp_lt_f32_e32 vcc_lo, v120, v121
	v_dual_cndmask_b32 v108, v108, v118 :: v_dual_add_nc_u32 v111, 8, v111
	v_cndmask_b32_e32 v109, v109, v119, vcc_lo
	v_cndmask_b32_e64 v110, v110, s0, vcc_lo
	s_add_co_i32 s0, s0, 1
	s_delay_alu instid0(SALU_CYCLE_1)
	s_cmp_lg_u32 s18, s0
	s_cbranch_scc1 .LBB100_778
.LBB100_779:
	s_wait_dscnt 0x0
	v_cmp_eq_f32_e32 vcc_lo, 0, v108
	v_cmp_eq_f32_e64 s0, 0, v109
	s_and_b32 s0, vcc_lo, s0
	s_delay_alu instid0(SALU_CYCLE_1) | instskip(NEXT) | instid1(SALU_CYCLE_1)
	s_and_saveexec_b32 s1, s0
	s_xor_b32 s0, exec_lo, s1
; %bb.780:
	v_cmp_ne_u32_e32 vcc_lo, 0, v114
	v_cndmask_b32_e32 v114, 38, v114, vcc_lo
; %bb.781:
	s_and_not1_saveexec_b32 s0, s0
	s_cbranch_execz .LBB100_787
; %bb.782:
	v_cmp_ngt_f32_e64 s1, |v108|, |v109|
	s_and_saveexec_b32 s12, s1
	s_delay_alu instid0(SALU_CYCLE_1)
	s_xor_b32 s1, exec_lo, s12
	s_cbranch_execz .LBB100_784
; %bb.783:
	v_div_scale_f32 v111, null, v109, v109, v108
	v_div_scale_f32 v119, vcc_lo, v108, v109, v108
	s_delay_alu instid0(VALU_DEP_2) | instskip(SKIP_1) | instid1(TRANS32_DEP_1)
	v_rcp_f32_e32 v117, v111
	v_nop
	v_fma_f32 v118, -v111, v117, 1.0
	s_delay_alu instid0(VALU_DEP_1) | instskip(NEXT) | instid1(VALU_DEP_1)
	v_fmac_f32_e32 v117, v118, v117
	v_mul_f32_e32 v118, v119, v117
	s_delay_alu instid0(VALU_DEP_1) | instskip(NEXT) | instid1(VALU_DEP_1)
	v_fma_f32 v120, -v111, v118, v119
	v_fmac_f32_e32 v118, v120, v117
	s_delay_alu instid0(VALU_DEP_1) | instskip(NEXT) | instid1(VALU_DEP_1)
	v_fma_f32 v111, -v111, v118, v119
	v_div_fmas_f32 v111, v111, v117, v118
	s_delay_alu instid0(VALU_DEP_1) | instskip(NEXT) | instid1(VALU_DEP_1)
	v_div_fixup_f32 v111, v111, v109, v108
	v_fmac_f32_e32 v109, v108, v111
	s_delay_alu instid0(VALU_DEP_1) | instskip(SKIP_1) | instid1(VALU_DEP_2)
	v_div_scale_f32 v108, null, v109, v109, 1.0
	v_div_scale_f32 v119, vcc_lo, 1.0, v109, 1.0
	v_rcp_f32_e32 v117, v108
	v_nop
	s_delay_alu instid0(TRANS32_DEP_1) | instskip(NEXT) | instid1(VALU_DEP_1)
	v_fma_f32 v118, -v108, v117, 1.0
	v_fmac_f32_e32 v117, v118, v117
	s_delay_alu instid0(VALU_DEP_1) | instskip(NEXT) | instid1(VALU_DEP_1)
	v_mul_f32_e32 v118, v119, v117
	v_fma_f32 v120, -v108, v118, v119
	s_delay_alu instid0(VALU_DEP_1) | instskip(NEXT) | instid1(VALU_DEP_1)
	v_fmac_f32_e32 v118, v120, v117
	v_fma_f32 v108, -v108, v118, v119
	s_delay_alu instid0(VALU_DEP_1) | instskip(NEXT) | instid1(VALU_DEP_1)
	v_div_fmas_f32 v108, v108, v117, v118
	v_div_fixup_f32 v109, v108, v109, 1.0
	s_delay_alu instid0(VALU_DEP_1)
	v_mul_f32_e32 v108, v111, v109
	v_xor_b32_e32 v109, 0x80000000, v109
.LBB100_784:
	s_and_not1_saveexec_b32 s1, s1
	s_cbranch_execz .LBB100_786
; %bb.785:
	s_delay_alu instid0(VALU_DEP_1) | instskip(SKIP_1) | instid1(VALU_DEP_2)
	v_div_scale_f32 v111, null, v108, v108, v109
	v_div_scale_f32 v119, vcc_lo, v109, v108, v109
	v_rcp_f32_e32 v117, v111
	v_nop
	s_delay_alu instid0(TRANS32_DEP_1) | instskip(NEXT) | instid1(VALU_DEP_1)
	v_fma_f32 v118, -v111, v117, 1.0
	v_fmac_f32_e32 v117, v118, v117
	s_delay_alu instid0(VALU_DEP_1) | instskip(NEXT) | instid1(VALU_DEP_1)
	v_mul_f32_e32 v118, v119, v117
	v_fma_f32 v120, -v111, v118, v119
	s_delay_alu instid0(VALU_DEP_1) | instskip(NEXT) | instid1(VALU_DEP_1)
	v_fmac_f32_e32 v118, v120, v117
	v_fma_f32 v111, -v111, v118, v119
	s_delay_alu instid0(VALU_DEP_1) | instskip(NEXT) | instid1(VALU_DEP_1)
	v_div_fmas_f32 v111, v111, v117, v118
	v_div_fixup_f32 v111, v111, v108, v109
	s_delay_alu instid0(VALU_DEP_1) | instskip(NEXT) | instid1(VALU_DEP_1)
	v_fmac_f32_e32 v108, v109, v111
	v_div_scale_f32 v109, null, v108, v108, 1.0
	s_delay_alu instid0(VALU_DEP_1) | instskip(SKIP_1) | instid1(TRANS32_DEP_1)
	v_rcp_f32_e32 v117, v109
	v_nop
	v_fma_f32 v118, -v109, v117, 1.0
	s_delay_alu instid0(VALU_DEP_1) | instskip(SKIP_1) | instid1(VALU_DEP_1)
	v_fmac_f32_e32 v117, v118, v117
	v_div_scale_f32 v118, vcc_lo, 1.0, v108, 1.0
	v_mul_f32_e32 v119, v118, v117
	s_delay_alu instid0(VALU_DEP_1) | instskip(NEXT) | instid1(VALU_DEP_1)
	v_fma_f32 v120, -v109, v119, v118
	v_fmac_f32_e32 v119, v120, v117
	s_delay_alu instid0(VALU_DEP_1) | instskip(NEXT) | instid1(VALU_DEP_1)
	v_fma_f32 v109, -v109, v119, v118
	v_div_fmas_f32 v109, v109, v117, v119
	s_delay_alu instid0(VALU_DEP_1) | instskip(NEXT) | instid1(VALU_DEP_1)
	v_div_fixup_f32 v108, v109, v108, 1.0
	v_mul_f32_e64 v109, v111, -v108
.LBB100_786:
	s_or_b32 exec_lo, exec_lo, s1
.LBB100_787:
	s_delay_alu instid0(SALU_CYCLE_1) | instskip(NEXT) | instid1(SALU_CYCLE_1)
	s_or_b32 exec_lo, exec_lo, s0
	s_mov_b32 s0, exec_lo
	v_cmpx_ne_u32_e64 v116, v110
	s_xor_b32 s0, exec_lo, s0
	s_cbranch_execz .LBB100_793
; %bb.788:
	s_mov_b32 s1, exec_lo
	v_cmpx_eq_u32_e32 37, v116
	s_cbranch_execz .LBB100_792
; %bb.789:
	v_cmp_ne_u32_e32 vcc_lo, 37, v110
	s_xor_b32 s12, s16, -1
	s_delay_alu instid0(SALU_CYCLE_1) | instskip(NEXT) | instid1(SALU_CYCLE_1)
	s_and_b32 s13, s12, vcc_lo
	s_and_saveexec_b32 s12, s13
	s_cbranch_execz .LBB100_791
; %bb.790:
	v_ashrrev_i32_e32 v111, 31, v110
	s_delay_alu instid0(VALU_DEP_1)
	v_lshl_add_u64 v[116:117], v[110:111], 2, v[4:5]
	s_clause 0x1
	global_load_b32 v111, v[116:117], off
	global_load_b32 v115, v[4:5], off offset:148
	s_wait_loadcnt 0x1
	global_store_b32 v[4:5], v111, off offset:148
	s_wait_loadcnt 0x0
	global_store_b32 v[116:117], v115, off
.LBB100_791:
	s_wait_xcnt 0x0
	s_or_b32 exec_lo, exec_lo, s12
	v_dual_mov_b32 v116, v110 :: v_dual_mov_b32 v115, v110
.LBB100_792:
	s_or_b32 exec_lo, exec_lo, s1
.LBB100_793:
	s_and_not1_saveexec_b32 s0, s0
	s_cbranch_execz .LBB100_795
; %bb.794:
	v_dual_mov_b32 v110, v66 :: v_dual_mov_b32 v111, v67
	v_dual_mov_b32 v116, v64 :: v_dual_mov_b32 v117, v65
	ds_store_2addr_b64 v112, v[110:111], v[116:117] offset0:38 offset1:39
	v_dual_mov_b32 v110, v104 :: v_dual_mov_b32 v111, v105
	v_dual_mov_b32 v116, v102 :: v_dual_mov_b32 v117, v103
	ds_store_2addr_b64 v112, v[110:111], v[116:117] offset0:40 offset1:41
	;; [unrolled: 3-line block ×6, first 2 shown]
	ds_store_b64 v112, v[106:107] offset:400
	v_mov_b32_e32 v116, 37
.LBB100_795:
	s_or_b32 exec_lo, exec_lo, s0
	s_delay_alu instid0(SALU_CYCLE_1)
	s_mov_b32 s0, exec_lo
	s_wait_storecnt_dscnt 0x0
	s_barrier_signal -1
	s_barrier_wait -1
	v_cmpx_lt_i32_e32 37, v116
	s_cbranch_execz .LBB100_797
; %bb.796:
	v_pk_mul_f32 v[110:111], v[108:109], v[92:93] op_sel:[1,1] op_sel_hi:[0,1]
	s_delay_alu instid0(VALU_DEP_1)
	v_pk_fma_f32 v[118:119], v[108:109], v[92:93], v[110:111] op_sel_hi:[1,0,1] neg_lo:[0,0,1] neg_hi:[0,0,1]
	v_pk_fma_f32 v[120:121], v[108:109], v[92:93], v[110:111] op_sel_hi:[1,0,1]
	ds_load_2addr_b64 v[108:111], v112 offset0:38 offset1:39
	v_dual_mov_b32 v92, v118 :: v_dual_mov_b32 v93, v121
	s_wait_dscnt 0x0
	v_pk_mul_f32 v[122:123], v[108:109], v[120:121] op_sel:[0,1]
	s_delay_alu instid0(VALU_DEP_1) | instskip(SKIP_1) | instid1(VALU_DEP_1)
	v_pk_fma_f32 v[124:125], v[108:109], v[118:119], v[122:123] op_sel:[0,0,1] op_sel_hi:[1,1,0] neg_lo:[0,0,1] neg_hi:[0,0,1]
	v_pk_fma_f32 v[108:109], v[108:109], v[118:119], v[122:123] op_sel:[0,0,1] op_sel_hi:[1,0,0]
	v_mov_b32_e32 v125, v109
	v_pk_mul_f32 v[108:109], v[110:111], v[120:121] op_sel:[0,1]
	s_delay_alu instid0(VALU_DEP_1) | instskip(SKIP_1) | instid1(VALU_DEP_1)
	v_pk_fma_f32 v[122:123], v[110:111], v[118:119], v[108:109] op_sel:[0,0,1] op_sel_hi:[1,1,0] neg_lo:[0,0,1] neg_hi:[0,0,1]
	v_pk_fma_f32 v[108:109], v[110:111], v[118:119], v[108:109] op_sel:[0,0,1] op_sel_hi:[1,0,0]
	v_mov_b32_e32 v123, v109
	ds_load_2addr_b64 v[108:111], v112 offset0:40 offset1:41
	v_pk_add_f32 v[66:67], v[66:67], v[124:125] neg_lo:[0,1] neg_hi:[0,1]
	v_pk_add_f32 v[64:65], v[64:65], v[122:123] neg_lo:[0,1] neg_hi:[0,1]
	s_wait_dscnt 0x0
	v_pk_mul_f32 v[122:123], v[108:109], v[120:121] op_sel:[0,1]
	s_delay_alu instid0(VALU_DEP_1) | instskip(SKIP_2) | instid1(VALU_DEP_2)
	v_pk_fma_f32 v[124:125], v[108:109], v[118:119], v[122:123] op_sel:[0,0,1] op_sel_hi:[1,1,0] neg_lo:[0,0,1] neg_hi:[0,0,1]
	v_pk_fma_f32 v[108:109], v[108:109], v[118:119], v[122:123] op_sel:[0,0,1] op_sel_hi:[1,0,0]
	v_dual_mul_f32 v122, v111, v121 :: v_dual_mov_b32 v108, v111
	v_dual_mov_b32 v125, v109 :: v_dual_mov_b32 v109, v110
	s_delay_alu instid0(VALU_DEP_2) | instskip(SKIP_1) | instid1(VALU_DEP_3)
	v_pk_fma_f32 v[122:123], v[110:111], v[92:93], v[122:123] op_sel_hi:[1,1,0] neg_lo:[0,0,1] neg_hi:[0,0,1]
	v_mul_f32_e32 v110, v111, v118
	v_pk_add_f32 v[104:105], v[104:105], v[124:125] neg_lo:[0,1] neg_hi:[0,1]
	s_delay_alu instid0(VALU_DEP_2) | instskip(NEXT) | instid1(VALU_DEP_1)
	v_pk_fma_f32 v[108:109], v[108:109], v[92:93], v[110:111] op_sel_hi:[1,1,0]
	v_mov_b32_e32 v123, v109
	ds_load_2addr_b64 v[108:111], v112 offset0:42 offset1:43
	v_pk_add_f32 v[102:103], v[102:103], v[122:123] neg_lo:[0,1] neg_hi:[0,1]
	s_wait_dscnt 0x0
	v_pk_mul_f32 v[122:123], v[108:109], v[120:121] op_sel:[0,1]
	s_delay_alu instid0(VALU_DEP_1) | instskip(SKIP_1) | instid1(VALU_DEP_1)
	v_pk_fma_f32 v[124:125], v[108:109], v[118:119], v[122:123] op_sel:[0,0,1] op_sel_hi:[1,1,0] neg_lo:[0,0,1] neg_hi:[0,0,1]
	v_pk_fma_f32 v[108:109], v[108:109], v[118:119], v[122:123] op_sel:[0,0,1] op_sel_hi:[1,0,0]
	v_mov_b32_e32 v125, v109
	v_pk_mul_f32 v[108:109], v[110:111], v[120:121] op_sel:[0,1]
	s_delay_alu instid0(VALU_DEP_1) | instskip(SKIP_1) | instid1(VALU_DEP_1)
	v_pk_fma_f32 v[122:123], v[110:111], v[118:119], v[108:109] op_sel:[0,0,1] op_sel_hi:[1,1,0] neg_lo:[0,0,1] neg_hi:[0,0,1]
	v_pk_fma_f32 v[108:109], v[110:111], v[118:119], v[108:109] op_sel:[0,0,1] op_sel_hi:[1,0,0]
	v_mov_b32_e32 v123, v109
	ds_load_2addr_b64 v[108:111], v112 offset0:44 offset1:45
	v_pk_add_f32 v[76:77], v[76:77], v[124:125] neg_lo:[0,1] neg_hi:[0,1]
	v_pk_add_f32 v[74:75], v[74:75], v[122:123] neg_lo:[0,1] neg_hi:[0,1]
	s_wait_dscnt 0x0
	v_pk_mul_f32 v[122:123], v[108:109], v[120:121] op_sel:[0,1]
	s_delay_alu instid0(VALU_DEP_1) | instskip(SKIP_1) | instid1(VALU_DEP_1)
	v_pk_fma_f32 v[124:125], v[108:109], v[118:119], v[122:123] op_sel:[0,0,1] op_sel_hi:[1,1,0] neg_lo:[0,0,1] neg_hi:[0,0,1]
	v_pk_fma_f32 v[108:109], v[108:109], v[118:119], v[122:123] op_sel:[0,0,1] op_sel_hi:[1,0,0]
	v_mov_b32_e32 v125, v109
	v_pk_mul_f32 v[108:109], v[110:111], v[120:121] op_sel:[0,1]
	s_delay_alu instid0(VALU_DEP_1) | instskip(SKIP_1) | instid1(VALU_DEP_1)
	v_pk_fma_f32 v[122:123], v[110:111], v[118:119], v[108:109] op_sel:[0,0,1] op_sel_hi:[1,1,0] neg_lo:[0,0,1] neg_hi:[0,0,1]
	v_pk_fma_f32 v[108:109], v[110:111], v[118:119], v[108:109] op_sel:[0,0,1] op_sel_hi:[1,0,0]
	v_mov_b32_e32 v123, v109
	ds_load_2addr_b64 v[108:111], v112 offset0:46 offset1:47
	v_pk_add_f32 v[98:99], v[98:99], v[124:125] neg_lo:[0,1] neg_hi:[0,1]
	v_pk_add_f32 v[96:97], v[96:97], v[122:123] neg_lo:[0,1] neg_hi:[0,1]
	s_wait_dscnt 0x0
	v_dual_mul_f32 v122, v109, v121 :: v_dual_mul_f32 v124, v109, v118
	s_delay_alu instid0(VALU_DEP_1) | instskip(NEXT) | instid1(VALU_DEP_2)
	v_pk_fma_f32 v[122:123], v[108:109], v[92:93], v[122:123] op_sel_hi:[1,1,0] neg_lo:[0,0,1] neg_hi:[0,0,1]
	v_pk_fma_f32 v[108:109], v[108:109], v[92:93], v[124:125] op_sel:[1,0,0] op_sel_hi:[0,1,0]
	s_delay_alu instid0(VALU_DEP_1) | instskip(SKIP_1) | instid1(VALU_DEP_2)
	v_mov_b32_e32 v123, v109
	v_pk_mul_f32 v[108:109], v[110:111], v[120:121] op_sel:[0,1]
	v_pk_add_f32 v[80:81], v[80:81], v[122:123] neg_lo:[0,1] neg_hi:[0,1]
	s_delay_alu instid0(VALU_DEP_2) | instskip(SKIP_1) | instid1(VALU_DEP_1)
	v_pk_fma_f32 v[122:123], v[110:111], v[118:119], v[108:109] op_sel:[0,0,1] op_sel_hi:[1,1,0] neg_lo:[0,0,1] neg_hi:[0,0,1]
	v_pk_fma_f32 v[108:109], v[110:111], v[118:119], v[108:109] op_sel:[0,0,1] op_sel_hi:[1,0,0]
	v_mov_b32_e32 v123, v109
	ds_load_2addr_b64 v[108:111], v112 offset0:48 offset1:49
	v_pk_add_f32 v[78:79], v[78:79], v[122:123] neg_lo:[0,1] neg_hi:[0,1]
	s_wait_dscnt 0x0
	v_pk_mul_f32 v[122:123], v[108:109], v[120:121] op_sel:[0,1]
	s_delay_alu instid0(VALU_DEP_1) | instskip(SKIP_1) | instid1(VALU_DEP_1)
	v_pk_fma_f32 v[124:125], v[108:109], v[118:119], v[122:123] op_sel:[0,0,1] op_sel_hi:[1,1,0] neg_lo:[0,0,1] neg_hi:[0,0,1]
	v_pk_fma_f32 v[108:109], v[108:109], v[118:119], v[122:123] op_sel:[0,0,1] op_sel_hi:[1,0,0]
	v_mov_b32_e32 v125, v109
	v_pk_mul_f32 v[108:109], v[110:111], v[120:121] op_sel:[0,1]
	s_delay_alu instid0(VALU_DEP_2) | instskip(NEXT) | instid1(VALU_DEP_2)
	v_pk_add_f32 v[88:89], v[88:89], v[124:125] neg_lo:[0,1] neg_hi:[0,1]
	v_pk_fma_f32 v[122:123], v[110:111], v[118:119], v[108:109] op_sel:[0,0,1] op_sel_hi:[1,1,0] neg_lo:[0,0,1] neg_hi:[0,0,1]
	v_pk_fma_f32 v[108:109], v[110:111], v[118:119], v[108:109] op_sel:[0,0,1] op_sel_hi:[1,0,0]
	s_delay_alu instid0(VALU_DEP_1) | instskip(SKIP_4) | instid1(VALU_DEP_1)
	v_mov_b32_e32 v123, v109
	ds_load_b64 v[108:109], v112 offset:400
	v_pk_add_f32 v[86:87], v[86:87], v[122:123] neg_lo:[0,1] neg_hi:[0,1]
	s_wait_dscnt 0x0
	v_pk_mul_f32 v[110:111], v[108:109], v[120:121] op_sel:[0,1]
	v_pk_fma_f32 v[120:121], v[108:109], v[118:119], v[110:111] op_sel:[0,0,1] op_sel_hi:[1,1,0] neg_lo:[0,0,1] neg_hi:[0,0,1]
	v_pk_fma_f32 v[108:109], v[108:109], v[118:119], v[110:111] op_sel:[0,0,1] op_sel_hi:[1,0,0]
	s_delay_alu instid0(VALU_DEP_1) | instskip(NEXT) | instid1(VALU_DEP_1)
	v_mov_b32_e32 v121, v109
	v_pk_add_f32 v[106:107], v[106:107], v[120:121] neg_lo:[0,1] neg_hi:[0,1]
.LBB100_797:
	s_or_b32 exec_lo, exec_lo, s0
	v_lshl_add_u32 v108, v116, 3, v112
	s_barrier_signal -1
	s_barrier_wait -1
	ds_store_b64 v108, v[66:67]
	s_wait_dscnt 0x0
	s_barrier_signal -1
	s_barrier_wait -1
	ds_load_b64 v[108:109], v112 offset:304
	v_mov_b32_e32 v110, 38
	s_cmp_lt_i32 s18, 40
	s_cbranch_scc1 .LBB100_800
; %bb.798:
	v_add3_u32 v111, v113, 0, 0x138
	v_mov_b32_e32 v110, 38
	s_mov_b32 s0, 39
.LBB100_799:                            ; =>This Inner Loop Header: Depth=1
	ds_load_b64 v[118:119], v111
	s_wait_dscnt 0x1
	v_cmp_gt_f32_e32 vcc_lo, 0, v108
	v_cndmask_b32_e64 v120, v108, -v108, vcc_lo
	v_cmp_gt_f32_e32 vcc_lo, 0, v109
	v_cndmask_b32_e64 v122, v109, -v109, vcc_lo
	s_wait_dscnt 0x0
	v_cmp_gt_f32_e32 vcc_lo, 0, v118
	v_cndmask_b32_e64 v121, v118, -v118, vcc_lo
	v_cmp_gt_f32_e32 vcc_lo, 0, v119
	v_cndmask_b32_e64 v123, v119, -v119, vcc_lo
	s_delay_alu instid0(VALU_DEP_1) | instskip(NEXT) | instid1(VALU_DEP_1)
	v_pk_add_f32 v[120:121], v[120:121], v[122:123]
	v_cmp_lt_f32_e32 vcc_lo, v120, v121
	v_dual_cndmask_b32 v108, v108, v118 :: v_dual_add_nc_u32 v111, 8, v111
	v_cndmask_b32_e32 v109, v109, v119, vcc_lo
	v_cndmask_b32_e64 v110, v110, s0, vcc_lo
	s_add_co_i32 s0, s0, 1
	s_delay_alu instid0(SALU_CYCLE_1)
	s_cmp_lg_u32 s18, s0
	s_cbranch_scc1 .LBB100_799
.LBB100_800:
	s_wait_dscnt 0x0
	v_cmp_eq_f32_e32 vcc_lo, 0, v108
	v_cmp_eq_f32_e64 s0, 0, v109
	s_and_b32 s0, vcc_lo, s0
	s_delay_alu instid0(SALU_CYCLE_1) | instskip(NEXT) | instid1(SALU_CYCLE_1)
	s_and_saveexec_b32 s1, s0
	s_xor_b32 s0, exec_lo, s1
; %bb.801:
	v_cmp_ne_u32_e32 vcc_lo, 0, v114
	v_cndmask_b32_e32 v114, 39, v114, vcc_lo
; %bb.802:
	s_and_not1_saveexec_b32 s0, s0
	s_cbranch_execz .LBB100_808
; %bb.803:
	v_cmp_ngt_f32_e64 s1, |v108|, |v109|
	s_and_saveexec_b32 s12, s1
	s_delay_alu instid0(SALU_CYCLE_1)
	s_xor_b32 s1, exec_lo, s12
	s_cbranch_execz .LBB100_805
; %bb.804:
	v_div_scale_f32 v111, null, v109, v109, v108
	v_div_scale_f32 v119, vcc_lo, v108, v109, v108
	s_delay_alu instid0(VALU_DEP_2) | instskip(SKIP_1) | instid1(TRANS32_DEP_1)
	v_rcp_f32_e32 v117, v111
	v_nop
	v_fma_f32 v118, -v111, v117, 1.0
	s_delay_alu instid0(VALU_DEP_1) | instskip(NEXT) | instid1(VALU_DEP_1)
	v_fmac_f32_e32 v117, v118, v117
	v_mul_f32_e32 v118, v119, v117
	s_delay_alu instid0(VALU_DEP_1) | instskip(NEXT) | instid1(VALU_DEP_1)
	v_fma_f32 v120, -v111, v118, v119
	v_fmac_f32_e32 v118, v120, v117
	s_delay_alu instid0(VALU_DEP_1) | instskip(NEXT) | instid1(VALU_DEP_1)
	v_fma_f32 v111, -v111, v118, v119
	v_div_fmas_f32 v111, v111, v117, v118
	s_delay_alu instid0(VALU_DEP_1) | instskip(NEXT) | instid1(VALU_DEP_1)
	v_div_fixup_f32 v111, v111, v109, v108
	v_fmac_f32_e32 v109, v108, v111
	s_delay_alu instid0(VALU_DEP_1) | instskip(SKIP_1) | instid1(VALU_DEP_2)
	v_div_scale_f32 v108, null, v109, v109, 1.0
	v_div_scale_f32 v119, vcc_lo, 1.0, v109, 1.0
	v_rcp_f32_e32 v117, v108
	v_nop
	s_delay_alu instid0(TRANS32_DEP_1) | instskip(NEXT) | instid1(VALU_DEP_1)
	v_fma_f32 v118, -v108, v117, 1.0
	v_fmac_f32_e32 v117, v118, v117
	s_delay_alu instid0(VALU_DEP_1) | instskip(NEXT) | instid1(VALU_DEP_1)
	v_mul_f32_e32 v118, v119, v117
	v_fma_f32 v120, -v108, v118, v119
	s_delay_alu instid0(VALU_DEP_1) | instskip(NEXT) | instid1(VALU_DEP_1)
	v_fmac_f32_e32 v118, v120, v117
	v_fma_f32 v108, -v108, v118, v119
	s_delay_alu instid0(VALU_DEP_1) | instskip(NEXT) | instid1(VALU_DEP_1)
	v_div_fmas_f32 v108, v108, v117, v118
	v_div_fixup_f32 v109, v108, v109, 1.0
	s_delay_alu instid0(VALU_DEP_1)
	v_mul_f32_e32 v108, v111, v109
	v_xor_b32_e32 v109, 0x80000000, v109
.LBB100_805:
	s_and_not1_saveexec_b32 s1, s1
	s_cbranch_execz .LBB100_807
; %bb.806:
	s_delay_alu instid0(VALU_DEP_1) | instskip(SKIP_1) | instid1(VALU_DEP_2)
	v_div_scale_f32 v111, null, v108, v108, v109
	v_div_scale_f32 v119, vcc_lo, v109, v108, v109
	v_rcp_f32_e32 v117, v111
	v_nop
	s_delay_alu instid0(TRANS32_DEP_1) | instskip(NEXT) | instid1(VALU_DEP_1)
	v_fma_f32 v118, -v111, v117, 1.0
	v_fmac_f32_e32 v117, v118, v117
	s_delay_alu instid0(VALU_DEP_1) | instskip(NEXT) | instid1(VALU_DEP_1)
	v_mul_f32_e32 v118, v119, v117
	v_fma_f32 v120, -v111, v118, v119
	s_delay_alu instid0(VALU_DEP_1) | instskip(NEXT) | instid1(VALU_DEP_1)
	v_fmac_f32_e32 v118, v120, v117
	v_fma_f32 v111, -v111, v118, v119
	s_delay_alu instid0(VALU_DEP_1) | instskip(NEXT) | instid1(VALU_DEP_1)
	v_div_fmas_f32 v111, v111, v117, v118
	v_div_fixup_f32 v111, v111, v108, v109
	s_delay_alu instid0(VALU_DEP_1) | instskip(NEXT) | instid1(VALU_DEP_1)
	v_fmac_f32_e32 v108, v109, v111
	v_div_scale_f32 v109, null, v108, v108, 1.0
	s_delay_alu instid0(VALU_DEP_1) | instskip(SKIP_1) | instid1(TRANS32_DEP_1)
	v_rcp_f32_e32 v117, v109
	v_nop
	v_fma_f32 v118, -v109, v117, 1.0
	s_delay_alu instid0(VALU_DEP_1) | instskip(SKIP_1) | instid1(VALU_DEP_1)
	v_fmac_f32_e32 v117, v118, v117
	v_div_scale_f32 v118, vcc_lo, 1.0, v108, 1.0
	v_mul_f32_e32 v119, v118, v117
	s_delay_alu instid0(VALU_DEP_1) | instskip(NEXT) | instid1(VALU_DEP_1)
	v_fma_f32 v120, -v109, v119, v118
	v_fmac_f32_e32 v119, v120, v117
	s_delay_alu instid0(VALU_DEP_1) | instskip(NEXT) | instid1(VALU_DEP_1)
	v_fma_f32 v109, -v109, v119, v118
	v_div_fmas_f32 v109, v109, v117, v119
	s_delay_alu instid0(VALU_DEP_1) | instskip(NEXT) | instid1(VALU_DEP_1)
	v_div_fixup_f32 v108, v109, v108, 1.0
	v_mul_f32_e64 v109, v111, -v108
.LBB100_807:
	s_or_b32 exec_lo, exec_lo, s1
.LBB100_808:
	s_delay_alu instid0(SALU_CYCLE_1) | instskip(NEXT) | instid1(SALU_CYCLE_1)
	s_or_b32 exec_lo, exec_lo, s0
	s_mov_b32 s0, exec_lo
	v_cmpx_ne_u32_e64 v116, v110
	s_xor_b32 s0, exec_lo, s0
	s_cbranch_execz .LBB100_814
; %bb.809:
	s_mov_b32 s1, exec_lo
	v_cmpx_eq_u32_e32 38, v116
	s_cbranch_execz .LBB100_813
; %bb.810:
	v_cmp_ne_u32_e32 vcc_lo, 38, v110
	s_xor_b32 s12, s16, -1
	s_delay_alu instid0(SALU_CYCLE_1) | instskip(NEXT) | instid1(SALU_CYCLE_1)
	s_and_b32 s13, s12, vcc_lo
	s_and_saveexec_b32 s12, s13
	s_cbranch_execz .LBB100_812
; %bb.811:
	v_ashrrev_i32_e32 v111, 31, v110
	s_delay_alu instid0(VALU_DEP_1)
	v_lshl_add_u64 v[116:117], v[110:111], 2, v[4:5]
	s_clause 0x1
	global_load_b32 v111, v[116:117], off
	global_load_b32 v115, v[4:5], off offset:152
	s_wait_loadcnt 0x1
	global_store_b32 v[4:5], v111, off offset:152
	s_wait_loadcnt 0x0
	global_store_b32 v[116:117], v115, off
.LBB100_812:
	s_wait_xcnt 0x0
	s_or_b32 exec_lo, exec_lo, s12
	v_dual_mov_b32 v116, v110 :: v_dual_mov_b32 v115, v110
.LBB100_813:
	s_or_b32 exec_lo, exec_lo, s1
.LBB100_814:
	s_and_not1_saveexec_b32 s0, s0
	s_cbranch_execz .LBB100_816
; %bb.815:
	v_mov_b32_e32 v116, 38
	ds_store_2addr_b64 v112, v[64:65], v[104:105] offset0:39 offset1:40
	ds_store_2addr_b64 v112, v[102:103], v[76:77] offset0:41 offset1:42
	ds_store_2addr_b64 v112, v[74:75], v[98:99] offset0:43 offset1:44
	ds_store_2addr_b64 v112, v[96:97], v[80:81] offset0:45 offset1:46
	ds_store_2addr_b64 v112, v[78:79], v[88:89] offset0:47 offset1:48
	ds_store_2addr_b64 v112, v[86:87], v[106:107] offset0:49 offset1:50
.LBB100_816:
	s_or_b32 exec_lo, exec_lo, s0
	s_delay_alu instid0(SALU_CYCLE_1)
	s_mov_b32 s0, exec_lo
	s_wait_storecnt_dscnt 0x0
	s_barrier_signal -1
	s_barrier_wait -1
	v_cmpx_lt_i32_e32 38, v116
	s_cbranch_execz .LBB100_818
; %bb.817:
	v_pk_mul_f32 v[110:111], v[108:109], v[66:67] op_sel:[1,1] op_sel_hi:[0,1]
	s_delay_alu instid0(VALU_DEP_1)
	v_pk_fma_f32 v[118:119], v[108:109], v[66:67], v[110:111] op_sel_hi:[1,0,1] neg_lo:[0,0,1] neg_hi:[0,0,1]
	v_pk_fma_f32 v[120:121], v[108:109], v[66:67], v[110:111] op_sel_hi:[1,0,1]
	ds_load_2addr_b64 v[108:111], v112 offset0:39 offset1:40
	v_dual_mov_b32 v66, v118 :: v_dual_mov_b32 v67, v121
	s_wait_dscnt 0x0
	v_pk_mul_f32 v[122:123], v[108:109], v[120:121] op_sel:[0,1]
	s_delay_alu instid0(VALU_DEP_1) | instskip(SKIP_1) | instid1(VALU_DEP_1)
	v_pk_fma_f32 v[124:125], v[108:109], v[118:119], v[122:123] op_sel:[0,0,1] op_sel_hi:[1,1,0] neg_lo:[0,0,1] neg_hi:[0,0,1]
	v_pk_fma_f32 v[108:109], v[108:109], v[118:119], v[122:123] op_sel:[0,0,1] op_sel_hi:[1,0,0]
	v_mov_b32_e32 v125, v109
	v_pk_mul_f32 v[108:109], v[110:111], v[120:121] op_sel:[0,1]
	s_delay_alu instid0(VALU_DEP_1) | instskip(SKIP_1) | instid1(VALU_DEP_1)
	v_pk_fma_f32 v[122:123], v[110:111], v[118:119], v[108:109] op_sel:[0,0,1] op_sel_hi:[1,1,0] neg_lo:[0,0,1] neg_hi:[0,0,1]
	v_pk_fma_f32 v[108:109], v[110:111], v[118:119], v[108:109] op_sel:[0,0,1] op_sel_hi:[1,0,0]
	v_mov_b32_e32 v123, v109
	ds_load_2addr_b64 v[108:111], v112 offset0:41 offset1:42
	v_pk_add_f32 v[64:65], v[64:65], v[124:125] neg_lo:[0,1] neg_hi:[0,1]
	v_pk_add_f32 v[104:105], v[104:105], v[122:123] neg_lo:[0,1] neg_hi:[0,1]
	s_wait_dscnt 0x0
	v_pk_mul_f32 v[122:123], v[108:109], v[120:121] op_sel:[0,1]
	s_delay_alu instid0(VALU_DEP_1) | instskip(SKIP_2) | instid1(VALU_DEP_2)
	v_pk_fma_f32 v[124:125], v[108:109], v[118:119], v[122:123] op_sel:[0,0,1] op_sel_hi:[1,1,0] neg_lo:[0,0,1] neg_hi:[0,0,1]
	v_pk_fma_f32 v[108:109], v[108:109], v[118:119], v[122:123] op_sel:[0,0,1] op_sel_hi:[1,0,0]
	v_dual_mul_f32 v122, v111, v121 :: v_dual_mov_b32 v108, v111
	v_dual_mov_b32 v125, v109 :: v_dual_mov_b32 v109, v110
	s_delay_alu instid0(VALU_DEP_2) | instskip(SKIP_1) | instid1(VALU_DEP_3)
	v_pk_fma_f32 v[122:123], v[110:111], v[66:67], v[122:123] op_sel_hi:[1,1,0] neg_lo:[0,0,1] neg_hi:[0,0,1]
	v_mul_f32_e32 v110, v111, v118
	v_pk_add_f32 v[102:103], v[102:103], v[124:125] neg_lo:[0,1] neg_hi:[0,1]
	s_delay_alu instid0(VALU_DEP_2) | instskip(NEXT) | instid1(VALU_DEP_1)
	v_pk_fma_f32 v[108:109], v[108:109], v[66:67], v[110:111] op_sel_hi:[1,1,0]
	v_mov_b32_e32 v123, v109
	ds_load_2addr_b64 v[108:111], v112 offset0:43 offset1:44
	v_pk_add_f32 v[76:77], v[76:77], v[122:123] neg_lo:[0,1] neg_hi:[0,1]
	s_wait_dscnt 0x0
	v_pk_mul_f32 v[122:123], v[108:109], v[120:121] op_sel:[0,1]
	s_delay_alu instid0(VALU_DEP_1) | instskip(SKIP_1) | instid1(VALU_DEP_1)
	v_pk_fma_f32 v[124:125], v[108:109], v[118:119], v[122:123] op_sel:[0,0,1] op_sel_hi:[1,1,0] neg_lo:[0,0,1] neg_hi:[0,0,1]
	v_pk_fma_f32 v[108:109], v[108:109], v[118:119], v[122:123] op_sel:[0,0,1] op_sel_hi:[1,0,0]
	v_mov_b32_e32 v125, v109
	v_pk_mul_f32 v[108:109], v[110:111], v[120:121] op_sel:[0,1]
	s_delay_alu instid0(VALU_DEP_1) | instskip(SKIP_1) | instid1(VALU_DEP_1)
	v_pk_fma_f32 v[122:123], v[110:111], v[118:119], v[108:109] op_sel:[0,0,1] op_sel_hi:[1,1,0] neg_lo:[0,0,1] neg_hi:[0,0,1]
	v_pk_fma_f32 v[108:109], v[110:111], v[118:119], v[108:109] op_sel:[0,0,1] op_sel_hi:[1,0,0]
	v_mov_b32_e32 v123, v109
	ds_load_2addr_b64 v[108:111], v112 offset0:45 offset1:46
	v_pk_add_f32 v[74:75], v[74:75], v[124:125] neg_lo:[0,1] neg_hi:[0,1]
	v_pk_add_f32 v[98:99], v[98:99], v[122:123] neg_lo:[0,1] neg_hi:[0,1]
	s_wait_dscnt 0x0
	v_pk_mul_f32 v[122:123], v[108:109], v[120:121] op_sel:[0,1]
	s_delay_alu instid0(VALU_DEP_1) | instskip(SKIP_1) | instid1(VALU_DEP_1)
	v_pk_fma_f32 v[124:125], v[108:109], v[118:119], v[122:123] op_sel:[0,0,1] op_sel_hi:[1,1,0] neg_lo:[0,0,1] neg_hi:[0,0,1]
	v_pk_fma_f32 v[108:109], v[108:109], v[118:119], v[122:123] op_sel:[0,0,1] op_sel_hi:[1,0,0]
	v_mov_b32_e32 v125, v109
	v_pk_mul_f32 v[108:109], v[110:111], v[120:121] op_sel:[0,1]
	s_delay_alu instid0(VALU_DEP_1) | instskip(SKIP_1) | instid1(VALU_DEP_1)
	v_pk_fma_f32 v[122:123], v[110:111], v[118:119], v[108:109] op_sel:[0,0,1] op_sel_hi:[1,1,0] neg_lo:[0,0,1] neg_hi:[0,0,1]
	v_pk_fma_f32 v[108:109], v[110:111], v[118:119], v[108:109] op_sel:[0,0,1] op_sel_hi:[1,0,0]
	v_mov_b32_e32 v123, v109
	ds_load_2addr_b64 v[108:111], v112 offset0:47 offset1:48
	v_pk_add_f32 v[96:97], v[96:97], v[124:125] neg_lo:[0,1] neg_hi:[0,1]
	v_pk_add_f32 v[80:81], v[80:81], v[122:123] neg_lo:[0,1] neg_hi:[0,1]
	s_wait_dscnt 0x0
	v_dual_mul_f32 v122, v109, v121 :: v_dual_mul_f32 v124, v109, v118
	s_delay_alu instid0(VALU_DEP_1) | instskip(NEXT) | instid1(VALU_DEP_2)
	v_pk_fma_f32 v[122:123], v[108:109], v[66:67], v[122:123] op_sel_hi:[1,1,0] neg_lo:[0,0,1] neg_hi:[0,0,1]
	v_pk_fma_f32 v[108:109], v[108:109], v[66:67], v[124:125] op_sel:[1,0,0] op_sel_hi:[0,1,0]
	s_delay_alu instid0(VALU_DEP_1) | instskip(SKIP_1) | instid1(VALU_DEP_2)
	v_mov_b32_e32 v123, v109
	v_pk_mul_f32 v[108:109], v[110:111], v[120:121] op_sel:[0,1]
	v_pk_add_f32 v[78:79], v[78:79], v[122:123] neg_lo:[0,1] neg_hi:[0,1]
	s_delay_alu instid0(VALU_DEP_2) | instskip(SKIP_1) | instid1(VALU_DEP_1)
	v_pk_fma_f32 v[122:123], v[110:111], v[118:119], v[108:109] op_sel:[0,0,1] op_sel_hi:[1,1,0] neg_lo:[0,0,1] neg_hi:[0,0,1]
	v_pk_fma_f32 v[108:109], v[110:111], v[118:119], v[108:109] op_sel:[0,0,1] op_sel_hi:[1,0,0]
	v_mov_b32_e32 v123, v109
	ds_load_2addr_b64 v[108:111], v112 offset0:49 offset1:50
	v_pk_add_f32 v[88:89], v[88:89], v[122:123] neg_lo:[0,1] neg_hi:[0,1]
	s_wait_dscnt 0x0
	v_pk_mul_f32 v[122:123], v[108:109], v[120:121] op_sel:[0,1]
	v_mul_f32_e32 v120, v111, v121
	s_delay_alu instid0(VALU_DEP_2) | instskip(SKIP_2) | instid1(VALU_DEP_4)
	v_pk_fma_f32 v[124:125], v[108:109], v[118:119], v[122:123] op_sel:[0,0,1] op_sel_hi:[1,1,0] neg_lo:[0,0,1] neg_hi:[0,0,1]
	v_pk_fma_f32 v[108:109], v[108:109], v[118:119], v[122:123] op_sel:[0,0,1] op_sel_hi:[1,0,0]
	v_mov_b32_e32 v108, v111
	v_pk_fma_f32 v[120:121], v[110:111], v[66:67], v[120:121] op_sel_hi:[1,1,0] neg_lo:[0,0,1] neg_hi:[0,0,1]
	s_delay_alu instid0(VALU_DEP_3) | instskip(SKIP_1) | instid1(VALU_DEP_2)
	v_dual_mov_b32 v125, v109 :: v_dual_mov_b32 v109, v110
	v_mul_f32_e32 v110, v111, v118
	v_pk_add_f32 v[86:87], v[86:87], v[124:125] neg_lo:[0,1] neg_hi:[0,1]
	s_delay_alu instid0(VALU_DEP_2) | instskip(NEXT) | instid1(VALU_DEP_1)
	v_pk_fma_f32 v[108:109], v[108:109], v[66:67], v[110:111] op_sel_hi:[1,1,0]
	v_mov_b32_e32 v121, v109
	s_delay_alu instid0(VALU_DEP_1)
	v_pk_add_f32 v[106:107], v[106:107], v[120:121] neg_lo:[0,1] neg_hi:[0,1]
.LBB100_818:
	s_or_b32 exec_lo, exec_lo, s0
	v_lshl_add_u32 v108, v116, 3, v112
	s_barrier_signal -1
	s_barrier_wait -1
	ds_store_b64 v108, v[64:65]
	s_wait_dscnt 0x0
	s_barrier_signal -1
	s_barrier_wait -1
	ds_load_b64 v[108:109], v112 offset:312
	v_mov_b32_e32 v110, 39
	s_cmp_lt_i32 s18, 41
	s_cbranch_scc1 .LBB100_821
; %bb.819:
	v_add3_u32 v111, v113, 0, 0x140
	v_mov_b32_e32 v110, 39
	s_mov_b32 s0, 40
.LBB100_820:                            ; =>This Inner Loop Header: Depth=1
	ds_load_b64 v[118:119], v111
	s_wait_dscnt 0x1
	v_cmp_gt_f32_e32 vcc_lo, 0, v108
	v_cndmask_b32_e64 v120, v108, -v108, vcc_lo
	v_cmp_gt_f32_e32 vcc_lo, 0, v109
	v_cndmask_b32_e64 v122, v109, -v109, vcc_lo
	s_wait_dscnt 0x0
	v_cmp_gt_f32_e32 vcc_lo, 0, v118
	v_cndmask_b32_e64 v121, v118, -v118, vcc_lo
	v_cmp_gt_f32_e32 vcc_lo, 0, v119
	v_cndmask_b32_e64 v123, v119, -v119, vcc_lo
	s_delay_alu instid0(VALU_DEP_1) | instskip(NEXT) | instid1(VALU_DEP_1)
	v_pk_add_f32 v[120:121], v[120:121], v[122:123]
	v_cmp_lt_f32_e32 vcc_lo, v120, v121
	v_dual_cndmask_b32 v108, v108, v118 :: v_dual_add_nc_u32 v111, 8, v111
	v_cndmask_b32_e32 v109, v109, v119, vcc_lo
	v_cndmask_b32_e64 v110, v110, s0, vcc_lo
	s_add_co_i32 s0, s0, 1
	s_delay_alu instid0(SALU_CYCLE_1)
	s_cmp_lg_u32 s18, s0
	s_cbranch_scc1 .LBB100_820
.LBB100_821:
	s_wait_dscnt 0x0
	v_cmp_eq_f32_e32 vcc_lo, 0, v108
	v_cmp_eq_f32_e64 s0, 0, v109
	s_and_b32 s0, vcc_lo, s0
	s_delay_alu instid0(SALU_CYCLE_1) | instskip(NEXT) | instid1(SALU_CYCLE_1)
	s_and_saveexec_b32 s1, s0
	s_xor_b32 s0, exec_lo, s1
; %bb.822:
	v_cmp_ne_u32_e32 vcc_lo, 0, v114
	v_cndmask_b32_e32 v114, 40, v114, vcc_lo
; %bb.823:
	s_and_not1_saveexec_b32 s0, s0
	s_cbranch_execz .LBB100_829
; %bb.824:
	v_cmp_ngt_f32_e64 s1, |v108|, |v109|
	s_and_saveexec_b32 s12, s1
	s_delay_alu instid0(SALU_CYCLE_1)
	s_xor_b32 s1, exec_lo, s12
	s_cbranch_execz .LBB100_826
; %bb.825:
	v_div_scale_f32 v111, null, v109, v109, v108
	v_div_scale_f32 v119, vcc_lo, v108, v109, v108
	s_delay_alu instid0(VALU_DEP_2) | instskip(SKIP_1) | instid1(TRANS32_DEP_1)
	v_rcp_f32_e32 v117, v111
	v_nop
	v_fma_f32 v118, -v111, v117, 1.0
	s_delay_alu instid0(VALU_DEP_1) | instskip(NEXT) | instid1(VALU_DEP_1)
	v_fmac_f32_e32 v117, v118, v117
	v_mul_f32_e32 v118, v119, v117
	s_delay_alu instid0(VALU_DEP_1) | instskip(NEXT) | instid1(VALU_DEP_1)
	v_fma_f32 v120, -v111, v118, v119
	v_fmac_f32_e32 v118, v120, v117
	s_delay_alu instid0(VALU_DEP_1) | instskip(NEXT) | instid1(VALU_DEP_1)
	v_fma_f32 v111, -v111, v118, v119
	v_div_fmas_f32 v111, v111, v117, v118
	s_delay_alu instid0(VALU_DEP_1) | instskip(NEXT) | instid1(VALU_DEP_1)
	v_div_fixup_f32 v111, v111, v109, v108
	v_fmac_f32_e32 v109, v108, v111
	s_delay_alu instid0(VALU_DEP_1) | instskip(SKIP_1) | instid1(VALU_DEP_2)
	v_div_scale_f32 v108, null, v109, v109, 1.0
	v_div_scale_f32 v119, vcc_lo, 1.0, v109, 1.0
	v_rcp_f32_e32 v117, v108
	v_nop
	s_delay_alu instid0(TRANS32_DEP_1) | instskip(NEXT) | instid1(VALU_DEP_1)
	v_fma_f32 v118, -v108, v117, 1.0
	v_fmac_f32_e32 v117, v118, v117
	s_delay_alu instid0(VALU_DEP_1) | instskip(NEXT) | instid1(VALU_DEP_1)
	v_mul_f32_e32 v118, v119, v117
	v_fma_f32 v120, -v108, v118, v119
	s_delay_alu instid0(VALU_DEP_1) | instskip(NEXT) | instid1(VALU_DEP_1)
	v_fmac_f32_e32 v118, v120, v117
	v_fma_f32 v108, -v108, v118, v119
	s_delay_alu instid0(VALU_DEP_1) | instskip(NEXT) | instid1(VALU_DEP_1)
	v_div_fmas_f32 v108, v108, v117, v118
	v_div_fixup_f32 v109, v108, v109, 1.0
	s_delay_alu instid0(VALU_DEP_1)
	v_mul_f32_e32 v108, v111, v109
	v_xor_b32_e32 v109, 0x80000000, v109
.LBB100_826:
	s_and_not1_saveexec_b32 s1, s1
	s_cbranch_execz .LBB100_828
; %bb.827:
	s_delay_alu instid0(VALU_DEP_1) | instskip(SKIP_1) | instid1(VALU_DEP_2)
	v_div_scale_f32 v111, null, v108, v108, v109
	v_div_scale_f32 v119, vcc_lo, v109, v108, v109
	v_rcp_f32_e32 v117, v111
	v_nop
	s_delay_alu instid0(TRANS32_DEP_1) | instskip(NEXT) | instid1(VALU_DEP_1)
	v_fma_f32 v118, -v111, v117, 1.0
	v_fmac_f32_e32 v117, v118, v117
	s_delay_alu instid0(VALU_DEP_1) | instskip(NEXT) | instid1(VALU_DEP_1)
	v_mul_f32_e32 v118, v119, v117
	v_fma_f32 v120, -v111, v118, v119
	s_delay_alu instid0(VALU_DEP_1) | instskip(NEXT) | instid1(VALU_DEP_1)
	v_fmac_f32_e32 v118, v120, v117
	v_fma_f32 v111, -v111, v118, v119
	s_delay_alu instid0(VALU_DEP_1) | instskip(NEXT) | instid1(VALU_DEP_1)
	v_div_fmas_f32 v111, v111, v117, v118
	v_div_fixup_f32 v111, v111, v108, v109
	s_delay_alu instid0(VALU_DEP_1) | instskip(NEXT) | instid1(VALU_DEP_1)
	v_fmac_f32_e32 v108, v109, v111
	v_div_scale_f32 v109, null, v108, v108, 1.0
	s_delay_alu instid0(VALU_DEP_1) | instskip(SKIP_1) | instid1(TRANS32_DEP_1)
	v_rcp_f32_e32 v117, v109
	v_nop
	v_fma_f32 v118, -v109, v117, 1.0
	s_delay_alu instid0(VALU_DEP_1) | instskip(SKIP_1) | instid1(VALU_DEP_1)
	v_fmac_f32_e32 v117, v118, v117
	v_div_scale_f32 v118, vcc_lo, 1.0, v108, 1.0
	v_mul_f32_e32 v119, v118, v117
	s_delay_alu instid0(VALU_DEP_1) | instskip(NEXT) | instid1(VALU_DEP_1)
	v_fma_f32 v120, -v109, v119, v118
	v_fmac_f32_e32 v119, v120, v117
	s_delay_alu instid0(VALU_DEP_1) | instskip(NEXT) | instid1(VALU_DEP_1)
	v_fma_f32 v109, -v109, v119, v118
	v_div_fmas_f32 v109, v109, v117, v119
	s_delay_alu instid0(VALU_DEP_1) | instskip(NEXT) | instid1(VALU_DEP_1)
	v_div_fixup_f32 v108, v109, v108, 1.0
	v_mul_f32_e64 v109, v111, -v108
.LBB100_828:
	s_or_b32 exec_lo, exec_lo, s1
.LBB100_829:
	s_delay_alu instid0(SALU_CYCLE_1) | instskip(NEXT) | instid1(SALU_CYCLE_1)
	s_or_b32 exec_lo, exec_lo, s0
	s_mov_b32 s0, exec_lo
	v_cmpx_ne_u32_e64 v116, v110
	s_xor_b32 s0, exec_lo, s0
	s_cbranch_execz .LBB100_835
; %bb.830:
	s_mov_b32 s1, exec_lo
	v_cmpx_eq_u32_e32 39, v116
	s_cbranch_execz .LBB100_834
; %bb.831:
	v_cmp_ne_u32_e32 vcc_lo, 39, v110
	s_xor_b32 s12, s16, -1
	s_delay_alu instid0(SALU_CYCLE_1) | instskip(NEXT) | instid1(SALU_CYCLE_1)
	s_and_b32 s13, s12, vcc_lo
	s_and_saveexec_b32 s12, s13
	s_cbranch_execz .LBB100_833
; %bb.832:
	v_ashrrev_i32_e32 v111, 31, v110
	s_delay_alu instid0(VALU_DEP_1)
	v_lshl_add_u64 v[116:117], v[110:111], 2, v[4:5]
	s_clause 0x1
	global_load_b32 v111, v[116:117], off
	global_load_b32 v115, v[4:5], off offset:156
	s_wait_loadcnt 0x1
	global_store_b32 v[4:5], v111, off offset:156
	s_wait_loadcnt 0x0
	global_store_b32 v[116:117], v115, off
.LBB100_833:
	s_wait_xcnt 0x0
	s_or_b32 exec_lo, exec_lo, s12
	v_dual_mov_b32 v116, v110 :: v_dual_mov_b32 v115, v110
.LBB100_834:
	s_or_b32 exec_lo, exec_lo, s1
.LBB100_835:
	s_and_not1_saveexec_b32 s0, s0
	s_cbranch_execz .LBB100_837
; %bb.836:
	v_dual_mov_b32 v110, v104 :: v_dual_mov_b32 v111, v105
	v_dual_mov_b32 v116, v102 :: v_dual_mov_b32 v117, v103
	ds_store_2addr_b64 v112, v[110:111], v[116:117] offset0:40 offset1:41
	v_dual_mov_b32 v110, v76 :: v_dual_mov_b32 v111, v77
	v_dual_mov_b32 v116, v74 :: v_dual_mov_b32 v117, v75
	ds_store_2addr_b64 v112, v[110:111], v[116:117] offset0:42 offset1:43
	;; [unrolled: 3-line block ×5, first 2 shown]
	ds_store_b64 v112, v[106:107] offset:400
	v_mov_b32_e32 v116, 39
.LBB100_837:
	s_or_b32 exec_lo, exec_lo, s0
	s_delay_alu instid0(SALU_CYCLE_1)
	s_mov_b32 s0, exec_lo
	s_wait_storecnt_dscnt 0x0
	s_barrier_signal -1
	s_barrier_wait -1
	v_cmpx_lt_i32_e32 39, v116
	s_cbranch_execz .LBB100_839
; %bb.838:
	v_pk_mul_f32 v[110:111], v[108:109], v[64:65] op_sel:[1,1] op_sel_hi:[0,1]
	s_delay_alu instid0(VALU_DEP_1)
	v_pk_fma_f32 v[118:119], v[108:109], v[64:65], v[110:111] op_sel_hi:[1,0,1] neg_lo:[0,0,1] neg_hi:[0,0,1]
	v_pk_fma_f32 v[120:121], v[108:109], v[64:65], v[110:111] op_sel_hi:[1,0,1]
	ds_load_2addr_b64 v[108:111], v112 offset0:40 offset1:41
	v_dual_mov_b32 v64, v118 :: v_dual_mov_b32 v65, v121
	s_wait_dscnt 0x0
	v_pk_mul_f32 v[122:123], v[108:109], v[120:121] op_sel:[0,1]
	s_delay_alu instid0(VALU_DEP_1) | instskip(SKIP_1) | instid1(VALU_DEP_1)
	v_pk_fma_f32 v[124:125], v[108:109], v[118:119], v[122:123] op_sel:[0,0,1] op_sel_hi:[1,1,0] neg_lo:[0,0,1] neg_hi:[0,0,1]
	v_pk_fma_f32 v[108:109], v[108:109], v[118:119], v[122:123] op_sel:[0,0,1] op_sel_hi:[1,0,0]
	v_mov_b32_e32 v125, v109
	v_pk_mul_f32 v[108:109], v[110:111], v[120:121] op_sel:[0,1]
	s_delay_alu instid0(VALU_DEP_1) | instskip(SKIP_1) | instid1(VALU_DEP_1)
	v_pk_fma_f32 v[122:123], v[110:111], v[118:119], v[108:109] op_sel:[0,0,1] op_sel_hi:[1,1,0] neg_lo:[0,0,1] neg_hi:[0,0,1]
	v_pk_fma_f32 v[108:109], v[110:111], v[118:119], v[108:109] op_sel:[0,0,1] op_sel_hi:[1,0,0]
	v_mov_b32_e32 v123, v109
	ds_load_2addr_b64 v[108:111], v112 offset0:42 offset1:43
	v_pk_add_f32 v[104:105], v[104:105], v[124:125] neg_lo:[0,1] neg_hi:[0,1]
	v_pk_add_f32 v[102:103], v[102:103], v[122:123] neg_lo:[0,1] neg_hi:[0,1]
	s_wait_dscnt 0x0
	v_pk_mul_f32 v[122:123], v[108:109], v[120:121] op_sel:[0,1]
	s_delay_alu instid0(VALU_DEP_1) | instskip(SKIP_2) | instid1(VALU_DEP_2)
	v_pk_fma_f32 v[124:125], v[108:109], v[118:119], v[122:123] op_sel:[0,0,1] op_sel_hi:[1,1,0] neg_lo:[0,0,1] neg_hi:[0,0,1]
	v_pk_fma_f32 v[108:109], v[108:109], v[118:119], v[122:123] op_sel:[0,0,1] op_sel_hi:[1,0,0]
	v_dual_mul_f32 v122, v111, v121 :: v_dual_mov_b32 v108, v111
	v_dual_mov_b32 v125, v109 :: v_dual_mov_b32 v109, v110
	s_delay_alu instid0(VALU_DEP_2) | instskip(SKIP_1) | instid1(VALU_DEP_3)
	v_pk_fma_f32 v[122:123], v[110:111], v[64:65], v[122:123] op_sel_hi:[1,1,0] neg_lo:[0,0,1] neg_hi:[0,0,1]
	v_mul_f32_e32 v110, v111, v118
	v_pk_add_f32 v[76:77], v[76:77], v[124:125] neg_lo:[0,1] neg_hi:[0,1]
	s_delay_alu instid0(VALU_DEP_2) | instskip(NEXT) | instid1(VALU_DEP_1)
	v_pk_fma_f32 v[108:109], v[108:109], v[64:65], v[110:111] op_sel_hi:[1,1,0]
	v_mov_b32_e32 v123, v109
	ds_load_2addr_b64 v[108:111], v112 offset0:44 offset1:45
	v_pk_add_f32 v[74:75], v[74:75], v[122:123] neg_lo:[0,1] neg_hi:[0,1]
	s_wait_dscnt 0x0
	v_pk_mul_f32 v[122:123], v[108:109], v[120:121] op_sel:[0,1]
	s_delay_alu instid0(VALU_DEP_1) | instskip(SKIP_1) | instid1(VALU_DEP_1)
	v_pk_fma_f32 v[124:125], v[108:109], v[118:119], v[122:123] op_sel:[0,0,1] op_sel_hi:[1,1,0] neg_lo:[0,0,1] neg_hi:[0,0,1]
	v_pk_fma_f32 v[108:109], v[108:109], v[118:119], v[122:123] op_sel:[0,0,1] op_sel_hi:[1,0,0]
	v_mov_b32_e32 v125, v109
	v_pk_mul_f32 v[108:109], v[110:111], v[120:121] op_sel:[0,1]
	s_delay_alu instid0(VALU_DEP_1) | instskip(SKIP_1) | instid1(VALU_DEP_1)
	v_pk_fma_f32 v[122:123], v[110:111], v[118:119], v[108:109] op_sel:[0,0,1] op_sel_hi:[1,1,0] neg_lo:[0,0,1] neg_hi:[0,0,1]
	v_pk_fma_f32 v[108:109], v[110:111], v[118:119], v[108:109] op_sel:[0,0,1] op_sel_hi:[1,0,0]
	v_mov_b32_e32 v123, v109
	ds_load_2addr_b64 v[108:111], v112 offset0:46 offset1:47
	v_pk_add_f32 v[98:99], v[98:99], v[124:125] neg_lo:[0,1] neg_hi:[0,1]
	v_pk_add_f32 v[96:97], v[96:97], v[122:123] neg_lo:[0,1] neg_hi:[0,1]
	s_wait_dscnt 0x0
	v_pk_mul_f32 v[122:123], v[108:109], v[120:121] op_sel:[0,1]
	s_delay_alu instid0(VALU_DEP_1) | instskip(SKIP_1) | instid1(VALU_DEP_1)
	v_pk_fma_f32 v[124:125], v[108:109], v[118:119], v[122:123] op_sel:[0,0,1] op_sel_hi:[1,1,0] neg_lo:[0,0,1] neg_hi:[0,0,1]
	v_pk_fma_f32 v[108:109], v[108:109], v[118:119], v[122:123] op_sel:[0,0,1] op_sel_hi:[1,0,0]
	v_mov_b32_e32 v125, v109
	v_pk_mul_f32 v[108:109], v[110:111], v[120:121] op_sel:[0,1]
	s_delay_alu instid0(VALU_DEP_1) | instskip(SKIP_1) | instid1(VALU_DEP_1)
	v_pk_fma_f32 v[122:123], v[110:111], v[118:119], v[108:109] op_sel:[0,0,1] op_sel_hi:[1,1,0] neg_lo:[0,0,1] neg_hi:[0,0,1]
	v_pk_fma_f32 v[108:109], v[110:111], v[118:119], v[108:109] op_sel:[0,0,1] op_sel_hi:[1,0,0]
	v_mov_b32_e32 v123, v109
	ds_load_2addr_b64 v[108:111], v112 offset0:48 offset1:49
	v_pk_add_f32 v[80:81], v[80:81], v[124:125] neg_lo:[0,1] neg_hi:[0,1]
	v_pk_add_f32 v[78:79], v[78:79], v[122:123] neg_lo:[0,1] neg_hi:[0,1]
	s_wait_dscnt 0x0
	v_dual_mul_f32 v122, v109, v121 :: v_dual_mul_f32 v124, v109, v118
	s_delay_alu instid0(VALU_DEP_1) | instskip(NEXT) | instid1(VALU_DEP_2)
	v_pk_fma_f32 v[122:123], v[108:109], v[64:65], v[122:123] op_sel_hi:[1,1,0] neg_lo:[0,0,1] neg_hi:[0,0,1]
	v_pk_fma_f32 v[108:109], v[108:109], v[64:65], v[124:125] op_sel:[1,0,0] op_sel_hi:[0,1,0]
	s_delay_alu instid0(VALU_DEP_1) | instskip(SKIP_1) | instid1(VALU_DEP_2)
	v_mov_b32_e32 v123, v109
	v_pk_mul_f32 v[108:109], v[110:111], v[120:121] op_sel:[0,1]
	v_pk_add_f32 v[88:89], v[88:89], v[122:123] neg_lo:[0,1] neg_hi:[0,1]
	s_delay_alu instid0(VALU_DEP_2) | instskip(SKIP_1) | instid1(VALU_DEP_1)
	v_pk_fma_f32 v[122:123], v[110:111], v[118:119], v[108:109] op_sel:[0,0,1] op_sel_hi:[1,1,0] neg_lo:[0,0,1] neg_hi:[0,0,1]
	v_pk_fma_f32 v[108:109], v[110:111], v[118:119], v[108:109] op_sel:[0,0,1] op_sel_hi:[1,0,0]
	v_mov_b32_e32 v123, v109
	ds_load_b64 v[108:109], v112 offset:400
	v_pk_add_f32 v[86:87], v[86:87], v[122:123] neg_lo:[0,1] neg_hi:[0,1]
	s_wait_dscnt 0x0
	v_pk_mul_f32 v[110:111], v[108:109], v[120:121] op_sel:[0,1]
	s_delay_alu instid0(VALU_DEP_1) | instskip(SKIP_1) | instid1(VALU_DEP_1)
	v_pk_fma_f32 v[120:121], v[108:109], v[118:119], v[110:111] op_sel:[0,0,1] op_sel_hi:[1,1,0] neg_lo:[0,0,1] neg_hi:[0,0,1]
	v_pk_fma_f32 v[108:109], v[108:109], v[118:119], v[110:111] op_sel:[0,0,1] op_sel_hi:[1,0,0]
	v_mov_b32_e32 v121, v109
	s_delay_alu instid0(VALU_DEP_1)
	v_pk_add_f32 v[106:107], v[106:107], v[120:121] neg_lo:[0,1] neg_hi:[0,1]
.LBB100_839:
	s_or_b32 exec_lo, exec_lo, s0
	v_lshl_add_u32 v108, v116, 3, v112
	s_barrier_signal -1
	s_barrier_wait -1
	ds_store_b64 v108, v[104:105]
	s_wait_dscnt 0x0
	s_barrier_signal -1
	s_barrier_wait -1
	ds_load_b64 v[108:109], v112 offset:320
	v_mov_b32_e32 v110, 40
	s_cmp_lt_i32 s18, 42
	s_cbranch_scc1 .LBB100_842
; %bb.840:
	v_add3_u32 v111, v113, 0, 0x148
	v_mov_b32_e32 v110, 40
	s_mov_b32 s0, 41
.LBB100_841:                            ; =>This Inner Loop Header: Depth=1
	ds_load_b64 v[118:119], v111
	s_wait_dscnt 0x1
	v_cmp_gt_f32_e32 vcc_lo, 0, v108
	v_cndmask_b32_e64 v120, v108, -v108, vcc_lo
	v_cmp_gt_f32_e32 vcc_lo, 0, v109
	v_cndmask_b32_e64 v122, v109, -v109, vcc_lo
	s_wait_dscnt 0x0
	v_cmp_gt_f32_e32 vcc_lo, 0, v118
	v_cndmask_b32_e64 v121, v118, -v118, vcc_lo
	v_cmp_gt_f32_e32 vcc_lo, 0, v119
	v_cndmask_b32_e64 v123, v119, -v119, vcc_lo
	s_delay_alu instid0(VALU_DEP_1) | instskip(NEXT) | instid1(VALU_DEP_1)
	v_pk_add_f32 v[120:121], v[120:121], v[122:123]
	v_cmp_lt_f32_e32 vcc_lo, v120, v121
	v_dual_cndmask_b32 v108, v108, v118 :: v_dual_add_nc_u32 v111, 8, v111
	v_cndmask_b32_e32 v109, v109, v119, vcc_lo
	v_cndmask_b32_e64 v110, v110, s0, vcc_lo
	s_add_co_i32 s0, s0, 1
	s_delay_alu instid0(SALU_CYCLE_1)
	s_cmp_lg_u32 s18, s0
	s_cbranch_scc1 .LBB100_841
.LBB100_842:
	s_wait_dscnt 0x0
	v_cmp_eq_f32_e32 vcc_lo, 0, v108
	v_cmp_eq_f32_e64 s0, 0, v109
	s_and_b32 s0, vcc_lo, s0
	s_delay_alu instid0(SALU_CYCLE_1) | instskip(NEXT) | instid1(SALU_CYCLE_1)
	s_and_saveexec_b32 s1, s0
	s_xor_b32 s0, exec_lo, s1
; %bb.843:
	v_cmp_ne_u32_e32 vcc_lo, 0, v114
	v_cndmask_b32_e32 v114, 41, v114, vcc_lo
; %bb.844:
	s_and_not1_saveexec_b32 s0, s0
	s_cbranch_execz .LBB100_850
; %bb.845:
	v_cmp_ngt_f32_e64 s1, |v108|, |v109|
	s_and_saveexec_b32 s12, s1
	s_delay_alu instid0(SALU_CYCLE_1)
	s_xor_b32 s1, exec_lo, s12
	s_cbranch_execz .LBB100_847
; %bb.846:
	v_div_scale_f32 v111, null, v109, v109, v108
	v_div_scale_f32 v119, vcc_lo, v108, v109, v108
	s_delay_alu instid0(VALU_DEP_2) | instskip(SKIP_1) | instid1(TRANS32_DEP_1)
	v_rcp_f32_e32 v117, v111
	v_nop
	v_fma_f32 v118, -v111, v117, 1.0
	s_delay_alu instid0(VALU_DEP_1) | instskip(NEXT) | instid1(VALU_DEP_1)
	v_fmac_f32_e32 v117, v118, v117
	v_mul_f32_e32 v118, v119, v117
	s_delay_alu instid0(VALU_DEP_1) | instskip(NEXT) | instid1(VALU_DEP_1)
	v_fma_f32 v120, -v111, v118, v119
	v_fmac_f32_e32 v118, v120, v117
	s_delay_alu instid0(VALU_DEP_1) | instskip(NEXT) | instid1(VALU_DEP_1)
	v_fma_f32 v111, -v111, v118, v119
	v_div_fmas_f32 v111, v111, v117, v118
	s_delay_alu instid0(VALU_DEP_1) | instskip(NEXT) | instid1(VALU_DEP_1)
	v_div_fixup_f32 v111, v111, v109, v108
	v_fmac_f32_e32 v109, v108, v111
	s_delay_alu instid0(VALU_DEP_1) | instskip(SKIP_1) | instid1(VALU_DEP_2)
	v_div_scale_f32 v108, null, v109, v109, 1.0
	v_div_scale_f32 v119, vcc_lo, 1.0, v109, 1.0
	v_rcp_f32_e32 v117, v108
	v_nop
	s_delay_alu instid0(TRANS32_DEP_1) | instskip(NEXT) | instid1(VALU_DEP_1)
	v_fma_f32 v118, -v108, v117, 1.0
	v_fmac_f32_e32 v117, v118, v117
	s_delay_alu instid0(VALU_DEP_1) | instskip(NEXT) | instid1(VALU_DEP_1)
	v_mul_f32_e32 v118, v119, v117
	v_fma_f32 v120, -v108, v118, v119
	s_delay_alu instid0(VALU_DEP_1) | instskip(NEXT) | instid1(VALU_DEP_1)
	v_fmac_f32_e32 v118, v120, v117
	v_fma_f32 v108, -v108, v118, v119
	s_delay_alu instid0(VALU_DEP_1) | instskip(NEXT) | instid1(VALU_DEP_1)
	v_div_fmas_f32 v108, v108, v117, v118
	v_div_fixup_f32 v109, v108, v109, 1.0
	s_delay_alu instid0(VALU_DEP_1)
	v_mul_f32_e32 v108, v111, v109
	v_xor_b32_e32 v109, 0x80000000, v109
.LBB100_847:
	s_and_not1_saveexec_b32 s1, s1
	s_cbranch_execz .LBB100_849
; %bb.848:
	s_delay_alu instid0(VALU_DEP_1) | instskip(SKIP_1) | instid1(VALU_DEP_2)
	v_div_scale_f32 v111, null, v108, v108, v109
	v_div_scale_f32 v119, vcc_lo, v109, v108, v109
	v_rcp_f32_e32 v117, v111
	v_nop
	s_delay_alu instid0(TRANS32_DEP_1) | instskip(NEXT) | instid1(VALU_DEP_1)
	v_fma_f32 v118, -v111, v117, 1.0
	v_fmac_f32_e32 v117, v118, v117
	s_delay_alu instid0(VALU_DEP_1) | instskip(NEXT) | instid1(VALU_DEP_1)
	v_mul_f32_e32 v118, v119, v117
	v_fma_f32 v120, -v111, v118, v119
	s_delay_alu instid0(VALU_DEP_1) | instskip(NEXT) | instid1(VALU_DEP_1)
	v_fmac_f32_e32 v118, v120, v117
	v_fma_f32 v111, -v111, v118, v119
	s_delay_alu instid0(VALU_DEP_1) | instskip(NEXT) | instid1(VALU_DEP_1)
	v_div_fmas_f32 v111, v111, v117, v118
	v_div_fixup_f32 v111, v111, v108, v109
	s_delay_alu instid0(VALU_DEP_1) | instskip(NEXT) | instid1(VALU_DEP_1)
	v_fmac_f32_e32 v108, v109, v111
	v_div_scale_f32 v109, null, v108, v108, 1.0
	s_delay_alu instid0(VALU_DEP_1) | instskip(SKIP_1) | instid1(TRANS32_DEP_1)
	v_rcp_f32_e32 v117, v109
	v_nop
	v_fma_f32 v118, -v109, v117, 1.0
	s_delay_alu instid0(VALU_DEP_1) | instskip(SKIP_1) | instid1(VALU_DEP_1)
	v_fmac_f32_e32 v117, v118, v117
	v_div_scale_f32 v118, vcc_lo, 1.0, v108, 1.0
	v_mul_f32_e32 v119, v118, v117
	s_delay_alu instid0(VALU_DEP_1) | instskip(NEXT) | instid1(VALU_DEP_1)
	v_fma_f32 v120, -v109, v119, v118
	v_fmac_f32_e32 v119, v120, v117
	s_delay_alu instid0(VALU_DEP_1) | instskip(NEXT) | instid1(VALU_DEP_1)
	v_fma_f32 v109, -v109, v119, v118
	v_div_fmas_f32 v109, v109, v117, v119
	s_delay_alu instid0(VALU_DEP_1) | instskip(NEXT) | instid1(VALU_DEP_1)
	v_div_fixup_f32 v108, v109, v108, 1.0
	v_mul_f32_e64 v109, v111, -v108
.LBB100_849:
	s_or_b32 exec_lo, exec_lo, s1
.LBB100_850:
	s_delay_alu instid0(SALU_CYCLE_1) | instskip(NEXT) | instid1(SALU_CYCLE_1)
	s_or_b32 exec_lo, exec_lo, s0
	s_mov_b32 s0, exec_lo
	v_cmpx_ne_u32_e64 v116, v110
	s_xor_b32 s0, exec_lo, s0
	s_cbranch_execz .LBB100_856
; %bb.851:
	s_mov_b32 s1, exec_lo
	v_cmpx_eq_u32_e32 40, v116
	s_cbranch_execz .LBB100_855
; %bb.852:
	v_cmp_ne_u32_e32 vcc_lo, 40, v110
	s_xor_b32 s12, s16, -1
	s_delay_alu instid0(SALU_CYCLE_1) | instskip(NEXT) | instid1(SALU_CYCLE_1)
	s_and_b32 s13, s12, vcc_lo
	s_and_saveexec_b32 s12, s13
	s_cbranch_execz .LBB100_854
; %bb.853:
	v_ashrrev_i32_e32 v111, 31, v110
	s_delay_alu instid0(VALU_DEP_1)
	v_lshl_add_u64 v[116:117], v[110:111], 2, v[4:5]
	s_clause 0x1
	global_load_b32 v111, v[116:117], off
	global_load_b32 v115, v[4:5], off offset:160
	s_wait_loadcnt 0x1
	global_store_b32 v[4:5], v111, off offset:160
	s_wait_loadcnt 0x0
	global_store_b32 v[116:117], v115, off
.LBB100_854:
	s_wait_xcnt 0x0
	s_or_b32 exec_lo, exec_lo, s12
	v_dual_mov_b32 v116, v110 :: v_dual_mov_b32 v115, v110
.LBB100_855:
	s_or_b32 exec_lo, exec_lo, s1
.LBB100_856:
	s_and_not1_saveexec_b32 s0, s0
	s_cbranch_execz .LBB100_858
; %bb.857:
	v_mov_b32_e32 v116, 40
	ds_store_2addr_b64 v112, v[102:103], v[76:77] offset0:41 offset1:42
	ds_store_2addr_b64 v112, v[74:75], v[98:99] offset0:43 offset1:44
	ds_store_2addr_b64 v112, v[96:97], v[80:81] offset0:45 offset1:46
	ds_store_2addr_b64 v112, v[78:79], v[88:89] offset0:47 offset1:48
	ds_store_2addr_b64 v112, v[86:87], v[106:107] offset0:49 offset1:50
.LBB100_858:
	s_or_b32 exec_lo, exec_lo, s0
	s_delay_alu instid0(SALU_CYCLE_1)
	s_mov_b32 s0, exec_lo
	s_wait_storecnt_dscnt 0x0
	s_barrier_signal -1
	s_barrier_wait -1
	v_cmpx_lt_i32_e32 40, v116
	s_cbranch_execz .LBB100_860
; %bb.859:
	v_pk_mul_f32 v[110:111], v[108:109], v[104:105] op_sel:[1,1] op_sel_hi:[0,1]
	s_delay_alu instid0(VALU_DEP_1)
	v_pk_fma_f32 v[118:119], v[108:109], v[104:105], v[110:111] op_sel_hi:[1,0,1] neg_lo:[0,0,1] neg_hi:[0,0,1]
	v_pk_fma_f32 v[120:121], v[108:109], v[104:105], v[110:111] op_sel_hi:[1,0,1]
	ds_load_2addr_b64 v[108:111], v112 offset0:41 offset1:42
	v_dual_mov_b32 v104, v118 :: v_dual_mov_b32 v105, v121
	s_wait_dscnt 0x0
	v_pk_mul_f32 v[122:123], v[108:109], v[120:121] op_sel:[0,1]
	s_delay_alu instid0(VALU_DEP_1) | instskip(SKIP_1) | instid1(VALU_DEP_1)
	v_pk_fma_f32 v[124:125], v[108:109], v[118:119], v[122:123] op_sel:[0,0,1] op_sel_hi:[1,1,0] neg_lo:[0,0,1] neg_hi:[0,0,1]
	v_pk_fma_f32 v[108:109], v[108:109], v[118:119], v[122:123] op_sel:[0,0,1] op_sel_hi:[1,0,0]
	v_mov_b32_e32 v125, v109
	v_pk_mul_f32 v[108:109], v[110:111], v[120:121] op_sel:[0,1]
	s_delay_alu instid0(VALU_DEP_1) | instskip(SKIP_1) | instid1(VALU_DEP_1)
	v_pk_fma_f32 v[122:123], v[110:111], v[118:119], v[108:109] op_sel:[0,0,1] op_sel_hi:[1,1,0] neg_lo:[0,0,1] neg_hi:[0,0,1]
	v_pk_fma_f32 v[108:109], v[110:111], v[118:119], v[108:109] op_sel:[0,0,1] op_sel_hi:[1,0,0]
	v_mov_b32_e32 v123, v109
	ds_load_2addr_b64 v[108:111], v112 offset0:43 offset1:44
	v_pk_add_f32 v[102:103], v[102:103], v[124:125] neg_lo:[0,1] neg_hi:[0,1]
	v_pk_add_f32 v[76:77], v[76:77], v[122:123] neg_lo:[0,1] neg_hi:[0,1]
	s_wait_dscnt 0x0
	v_pk_mul_f32 v[122:123], v[108:109], v[120:121] op_sel:[0,1]
	s_delay_alu instid0(VALU_DEP_1) | instskip(SKIP_2) | instid1(VALU_DEP_2)
	v_pk_fma_f32 v[124:125], v[108:109], v[118:119], v[122:123] op_sel:[0,0,1] op_sel_hi:[1,1,0] neg_lo:[0,0,1] neg_hi:[0,0,1]
	v_pk_fma_f32 v[108:109], v[108:109], v[118:119], v[122:123] op_sel:[0,0,1] op_sel_hi:[1,0,0]
	v_dual_mul_f32 v122, v111, v121 :: v_dual_mov_b32 v108, v111
	v_dual_mov_b32 v125, v109 :: v_dual_mov_b32 v109, v110
	s_delay_alu instid0(VALU_DEP_2) | instskip(SKIP_1) | instid1(VALU_DEP_3)
	v_pk_fma_f32 v[122:123], v[110:111], v[104:105], v[122:123] op_sel_hi:[1,1,0] neg_lo:[0,0,1] neg_hi:[0,0,1]
	v_mul_f32_e32 v110, v111, v118
	v_pk_add_f32 v[74:75], v[74:75], v[124:125] neg_lo:[0,1] neg_hi:[0,1]
	s_delay_alu instid0(VALU_DEP_2) | instskip(NEXT) | instid1(VALU_DEP_1)
	v_pk_fma_f32 v[108:109], v[108:109], v[104:105], v[110:111] op_sel_hi:[1,1,0]
	v_mov_b32_e32 v123, v109
	ds_load_2addr_b64 v[108:111], v112 offset0:45 offset1:46
	v_pk_add_f32 v[98:99], v[98:99], v[122:123] neg_lo:[0,1] neg_hi:[0,1]
	s_wait_dscnt 0x0
	v_pk_mul_f32 v[122:123], v[108:109], v[120:121] op_sel:[0,1]
	s_delay_alu instid0(VALU_DEP_1) | instskip(SKIP_1) | instid1(VALU_DEP_1)
	v_pk_fma_f32 v[124:125], v[108:109], v[118:119], v[122:123] op_sel:[0,0,1] op_sel_hi:[1,1,0] neg_lo:[0,0,1] neg_hi:[0,0,1]
	v_pk_fma_f32 v[108:109], v[108:109], v[118:119], v[122:123] op_sel:[0,0,1] op_sel_hi:[1,0,0]
	v_mov_b32_e32 v125, v109
	v_pk_mul_f32 v[108:109], v[110:111], v[120:121] op_sel:[0,1]
	s_delay_alu instid0(VALU_DEP_1) | instskip(SKIP_1) | instid1(VALU_DEP_1)
	v_pk_fma_f32 v[122:123], v[110:111], v[118:119], v[108:109] op_sel:[0,0,1] op_sel_hi:[1,1,0] neg_lo:[0,0,1] neg_hi:[0,0,1]
	v_pk_fma_f32 v[108:109], v[110:111], v[118:119], v[108:109] op_sel:[0,0,1] op_sel_hi:[1,0,0]
	v_mov_b32_e32 v123, v109
	ds_load_2addr_b64 v[108:111], v112 offset0:47 offset1:48
	v_pk_add_f32 v[96:97], v[96:97], v[124:125] neg_lo:[0,1] neg_hi:[0,1]
	v_pk_add_f32 v[80:81], v[80:81], v[122:123] neg_lo:[0,1] neg_hi:[0,1]
	s_wait_dscnt 0x0
	v_pk_mul_f32 v[122:123], v[108:109], v[120:121] op_sel:[0,1]
	s_delay_alu instid0(VALU_DEP_1) | instskip(SKIP_1) | instid1(VALU_DEP_1)
	v_pk_fma_f32 v[124:125], v[108:109], v[118:119], v[122:123] op_sel:[0,0,1] op_sel_hi:[1,1,0] neg_lo:[0,0,1] neg_hi:[0,0,1]
	v_pk_fma_f32 v[108:109], v[108:109], v[118:119], v[122:123] op_sel:[0,0,1] op_sel_hi:[1,0,0]
	v_mov_b32_e32 v125, v109
	v_pk_mul_f32 v[108:109], v[110:111], v[120:121] op_sel:[0,1]
	s_delay_alu instid0(VALU_DEP_1) | instskip(SKIP_1) | instid1(VALU_DEP_1)
	v_pk_fma_f32 v[122:123], v[110:111], v[118:119], v[108:109] op_sel:[0,0,1] op_sel_hi:[1,1,0] neg_lo:[0,0,1] neg_hi:[0,0,1]
	v_pk_fma_f32 v[108:109], v[110:111], v[118:119], v[108:109] op_sel:[0,0,1] op_sel_hi:[1,0,0]
	v_mov_b32_e32 v123, v109
	ds_load_2addr_b64 v[108:111], v112 offset0:49 offset1:50
	v_pk_add_f32 v[78:79], v[78:79], v[124:125] neg_lo:[0,1] neg_hi:[0,1]
	v_pk_add_f32 v[88:89], v[88:89], v[122:123] neg_lo:[0,1] neg_hi:[0,1]
	s_wait_dscnt 0x0
	v_dual_mul_f32 v122, v109, v121 :: v_dual_mul_f32 v124, v109, v118
	s_delay_alu instid0(VALU_DEP_1) | instskip(NEXT) | instid1(VALU_DEP_2)
	v_pk_fma_f32 v[122:123], v[108:109], v[104:105], v[122:123] op_sel_hi:[1,1,0] neg_lo:[0,0,1] neg_hi:[0,0,1]
	v_pk_fma_f32 v[108:109], v[108:109], v[104:105], v[124:125] op_sel:[1,0,0] op_sel_hi:[0,1,0]
	s_delay_alu instid0(VALU_DEP_1) | instskip(SKIP_1) | instid1(VALU_DEP_1)
	v_mov_b32_e32 v123, v109
	v_pk_mul_f32 v[108:109], v[110:111], v[120:121] op_sel:[0,1]
	v_pk_fma_f32 v[120:121], v[110:111], v[118:119], v[108:109] op_sel:[0,0,1] op_sel_hi:[1,1,0] neg_lo:[0,0,1] neg_hi:[0,0,1]
	v_pk_fma_f32 v[108:109], v[110:111], v[118:119], v[108:109] op_sel:[0,0,1] op_sel_hi:[1,0,0]
	s_delay_alu instid0(VALU_DEP_1) | instskip(SKIP_1) | instid1(VALU_DEP_2)
	v_mov_b32_e32 v121, v109
	v_pk_add_f32 v[86:87], v[86:87], v[122:123] neg_lo:[0,1] neg_hi:[0,1]
	v_pk_add_f32 v[106:107], v[106:107], v[120:121] neg_lo:[0,1] neg_hi:[0,1]
.LBB100_860:
	s_or_b32 exec_lo, exec_lo, s0
	v_lshl_add_u32 v108, v116, 3, v112
	s_barrier_signal -1
	s_barrier_wait -1
	ds_store_b64 v108, v[102:103]
	s_wait_dscnt 0x0
	s_barrier_signal -1
	s_barrier_wait -1
	ds_load_b64 v[108:109], v112 offset:328
	v_mov_b32_e32 v110, 41
	s_cmp_lt_i32 s18, 43
	s_cbranch_scc1 .LBB100_863
; %bb.861:
	v_add3_u32 v111, v113, 0, 0x150
	v_mov_b32_e32 v110, 41
	s_mov_b32 s0, 42
.LBB100_862:                            ; =>This Inner Loop Header: Depth=1
	ds_load_b64 v[118:119], v111
	s_wait_dscnt 0x1
	v_cmp_gt_f32_e32 vcc_lo, 0, v108
	v_cndmask_b32_e64 v120, v108, -v108, vcc_lo
	v_cmp_gt_f32_e32 vcc_lo, 0, v109
	v_cndmask_b32_e64 v122, v109, -v109, vcc_lo
	s_wait_dscnt 0x0
	v_cmp_gt_f32_e32 vcc_lo, 0, v118
	v_cndmask_b32_e64 v121, v118, -v118, vcc_lo
	v_cmp_gt_f32_e32 vcc_lo, 0, v119
	v_cndmask_b32_e64 v123, v119, -v119, vcc_lo
	s_delay_alu instid0(VALU_DEP_1) | instskip(NEXT) | instid1(VALU_DEP_1)
	v_pk_add_f32 v[120:121], v[120:121], v[122:123]
	v_cmp_lt_f32_e32 vcc_lo, v120, v121
	v_dual_cndmask_b32 v108, v108, v118 :: v_dual_add_nc_u32 v111, 8, v111
	v_cndmask_b32_e32 v109, v109, v119, vcc_lo
	v_cndmask_b32_e64 v110, v110, s0, vcc_lo
	s_add_co_i32 s0, s0, 1
	s_delay_alu instid0(SALU_CYCLE_1)
	s_cmp_lg_u32 s18, s0
	s_cbranch_scc1 .LBB100_862
.LBB100_863:
	s_wait_dscnt 0x0
	v_cmp_eq_f32_e32 vcc_lo, 0, v108
	v_cmp_eq_f32_e64 s0, 0, v109
	s_and_b32 s0, vcc_lo, s0
	s_delay_alu instid0(SALU_CYCLE_1) | instskip(NEXT) | instid1(SALU_CYCLE_1)
	s_and_saveexec_b32 s1, s0
	s_xor_b32 s0, exec_lo, s1
; %bb.864:
	v_cmp_ne_u32_e32 vcc_lo, 0, v114
	v_cndmask_b32_e32 v114, 42, v114, vcc_lo
; %bb.865:
	s_and_not1_saveexec_b32 s0, s0
	s_cbranch_execz .LBB100_871
; %bb.866:
	v_cmp_ngt_f32_e64 s1, |v108|, |v109|
	s_and_saveexec_b32 s12, s1
	s_delay_alu instid0(SALU_CYCLE_1)
	s_xor_b32 s1, exec_lo, s12
	s_cbranch_execz .LBB100_868
; %bb.867:
	v_div_scale_f32 v111, null, v109, v109, v108
	v_div_scale_f32 v119, vcc_lo, v108, v109, v108
	s_delay_alu instid0(VALU_DEP_2) | instskip(SKIP_1) | instid1(TRANS32_DEP_1)
	v_rcp_f32_e32 v117, v111
	v_nop
	v_fma_f32 v118, -v111, v117, 1.0
	s_delay_alu instid0(VALU_DEP_1) | instskip(NEXT) | instid1(VALU_DEP_1)
	v_fmac_f32_e32 v117, v118, v117
	v_mul_f32_e32 v118, v119, v117
	s_delay_alu instid0(VALU_DEP_1) | instskip(NEXT) | instid1(VALU_DEP_1)
	v_fma_f32 v120, -v111, v118, v119
	v_fmac_f32_e32 v118, v120, v117
	s_delay_alu instid0(VALU_DEP_1) | instskip(NEXT) | instid1(VALU_DEP_1)
	v_fma_f32 v111, -v111, v118, v119
	v_div_fmas_f32 v111, v111, v117, v118
	s_delay_alu instid0(VALU_DEP_1) | instskip(NEXT) | instid1(VALU_DEP_1)
	v_div_fixup_f32 v111, v111, v109, v108
	v_fmac_f32_e32 v109, v108, v111
	s_delay_alu instid0(VALU_DEP_1) | instskip(SKIP_1) | instid1(VALU_DEP_2)
	v_div_scale_f32 v108, null, v109, v109, 1.0
	v_div_scale_f32 v119, vcc_lo, 1.0, v109, 1.0
	v_rcp_f32_e32 v117, v108
	v_nop
	s_delay_alu instid0(TRANS32_DEP_1) | instskip(NEXT) | instid1(VALU_DEP_1)
	v_fma_f32 v118, -v108, v117, 1.0
	v_fmac_f32_e32 v117, v118, v117
	s_delay_alu instid0(VALU_DEP_1) | instskip(NEXT) | instid1(VALU_DEP_1)
	v_mul_f32_e32 v118, v119, v117
	v_fma_f32 v120, -v108, v118, v119
	s_delay_alu instid0(VALU_DEP_1) | instskip(NEXT) | instid1(VALU_DEP_1)
	v_fmac_f32_e32 v118, v120, v117
	v_fma_f32 v108, -v108, v118, v119
	s_delay_alu instid0(VALU_DEP_1) | instskip(NEXT) | instid1(VALU_DEP_1)
	v_div_fmas_f32 v108, v108, v117, v118
	v_div_fixup_f32 v109, v108, v109, 1.0
	s_delay_alu instid0(VALU_DEP_1)
	v_mul_f32_e32 v108, v111, v109
	v_xor_b32_e32 v109, 0x80000000, v109
.LBB100_868:
	s_and_not1_saveexec_b32 s1, s1
	s_cbranch_execz .LBB100_870
; %bb.869:
	s_delay_alu instid0(VALU_DEP_1) | instskip(SKIP_1) | instid1(VALU_DEP_2)
	v_div_scale_f32 v111, null, v108, v108, v109
	v_div_scale_f32 v119, vcc_lo, v109, v108, v109
	v_rcp_f32_e32 v117, v111
	v_nop
	s_delay_alu instid0(TRANS32_DEP_1) | instskip(NEXT) | instid1(VALU_DEP_1)
	v_fma_f32 v118, -v111, v117, 1.0
	v_fmac_f32_e32 v117, v118, v117
	s_delay_alu instid0(VALU_DEP_1) | instskip(NEXT) | instid1(VALU_DEP_1)
	v_mul_f32_e32 v118, v119, v117
	v_fma_f32 v120, -v111, v118, v119
	s_delay_alu instid0(VALU_DEP_1) | instskip(NEXT) | instid1(VALU_DEP_1)
	v_fmac_f32_e32 v118, v120, v117
	v_fma_f32 v111, -v111, v118, v119
	s_delay_alu instid0(VALU_DEP_1) | instskip(NEXT) | instid1(VALU_DEP_1)
	v_div_fmas_f32 v111, v111, v117, v118
	v_div_fixup_f32 v111, v111, v108, v109
	s_delay_alu instid0(VALU_DEP_1) | instskip(NEXT) | instid1(VALU_DEP_1)
	v_fmac_f32_e32 v108, v109, v111
	v_div_scale_f32 v109, null, v108, v108, 1.0
	s_delay_alu instid0(VALU_DEP_1) | instskip(SKIP_1) | instid1(TRANS32_DEP_1)
	v_rcp_f32_e32 v117, v109
	v_nop
	v_fma_f32 v118, -v109, v117, 1.0
	s_delay_alu instid0(VALU_DEP_1) | instskip(SKIP_1) | instid1(VALU_DEP_1)
	v_fmac_f32_e32 v117, v118, v117
	v_div_scale_f32 v118, vcc_lo, 1.0, v108, 1.0
	v_mul_f32_e32 v119, v118, v117
	s_delay_alu instid0(VALU_DEP_1) | instskip(NEXT) | instid1(VALU_DEP_1)
	v_fma_f32 v120, -v109, v119, v118
	v_fmac_f32_e32 v119, v120, v117
	s_delay_alu instid0(VALU_DEP_1) | instskip(NEXT) | instid1(VALU_DEP_1)
	v_fma_f32 v109, -v109, v119, v118
	v_div_fmas_f32 v109, v109, v117, v119
	s_delay_alu instid0(VALU_DEP_1) | instskip(NEXT) | instid1(VALU_DEP_1)
	v_div_fixup_f32 v108, v109, v108, 1.0
	v_mul_f32_e64 v109, v111, -v108
.LBB100_870:
	s_or_b32 exec_lo, exec_lo, s1
.LBB100_871:
	s_delay_alu instid0(SALU_CYCLE_1) | instskip(NEXT) | instid1(SALU_CYCLE_1)
	s_or_b32 exec_lo, exec_lo, s0
	s_mov_b32 s0, exec_lo
	v_cmpx_ne_u32_e64 v116, v110
	s_xor_b32 s0, exec_lo, s0
	s_cbranch_execz .LBB100_877
; %bb.872:
	s_mov_b32 s1, exec_lo
	v_cmpx_eq_u32_e32 41, v116
	s_cbranch_execz .LBB100_876
; %bb.873:
	v_cmp_ne_u32_e32 vcc_lo, 41, v110
	s_xor_b32 s12, s16, -1
	s_delay_alu instid0(SALU_CYCLE_1) | instskip(NEXT) | instid1(SALU_CYCLE_1)
	s_and_b32 s13, s12, vcc_lo
	s_and_saveexec_b32 s12, s13
	s_cbranch_execz .LBB100_875
; %bb.874:
	v_ashrrev_i32_e32 v111, 31, v110
	s_delay_alu instid0(VALU_DEP_1)
	v_lshl_add_u64 v[116:117], v[110:111], 2, v[4:5]
	s_clause 0x1
	global_load_b32 v111, v[116:117], off
	global_load_b32 v115, v[4:5], off offset:164
	s_wait_loadcnt 0x1
	global_store_b32 v[4:5], v111, off offset:164
	s_wait_loadcnt 0x0
	global_store_b32 v[116:117], v115, off
.LBB100_875:
	s_wait_xcnt 0x0
	s_or_b32 exec_lo, exec_lo, s12
	v_dual_mov_b32 v116, v110 :: v_dual_mov_b32 v115, v110
.LBB100_876:
	s_or_b32 exec_lo, exec_lo, s1
.LBB100_877:
	s_and_not1_saveexec_b32 s0, s0
	s_cbranch_execz .LBB100_879
; %bb.878:
	v_dual_mov_b32 v110, v76 :: v_dual_mov_b32 v111, v77
	v_dual_mov_b32 v116, v74 :: v_dual_mov_b32 v117, v75
	ds_store_2addr_b64 v112, v[110:111], v[116:117] offset0:42 offset1:43
	v_dual_mov_b32 v110, v98 :: v_dual_mov_b32 v111, v99
	v_dual_mov_b32 v116, v96 :: v_dual_mov_b32 v117, v97
	ds_store_2addr_b64 v112, v[110:111], v[116:117] offset0:44 offset1:45
	;; [unrolled: 3-line block ×4, first 2 shown]
	ds_store_b64 v112, v[106:107] offset:400
	v_mov_b32_e32 v116, 41
.LBB100_879:
	s_or_b32 exec_lo, exec_lo, s0
	s_delay_alu instid0(SALU_CYCLE_1)
	s_mov_b32 s0, exec_lo
	s_wait_storecnt_dscnt 0x0
	s_barrier_signal -1
	s_barrier_wait -1
	v_cmpx_lt_i32_e32 41, v116
	s_cbranch_execz .LBB100_881
; %bb.880:
	v_pk_mul_f32 v[110:111], v[108:109], v[102:103] op_sel:[1,1] op_sel_hi:[0,1]
	s_delay_alu instid0(VALU_DEP_1)
	v_pk_fma_f32 v[118:119], v[108:109], v[102:103], v[110:111] op_sel_hi:[1,0,1] neg_lo:[0,0,1] neg_hi:[0,0,1]
	v_pk_fma_f32 v[120:121], v[108:109], v[102:103], v[110:111] op_sel_hi:[1,0,1]
	ds_load_2addr_b64 v[108:111], v112 offset0:42 offset1:43
	v_dual_mov_b32 v102, v118 :: v_dual_mov_b32 v103, v121
	s_wait_dscnt 0x0
	v_pk_mul_f32 v[122:123], v[108:109], v[120:121] op_sel:[0,1]
	s_delay_alu instid0(VALU_DEP_1) | instskip(SKIP_1) | instid1(VALU_DEP_1)
	v_pk_fma_f32 v[124:125], v[108:109], v[118:119], v[122:123] op_sel:[0,0,1] op_sel_hi:[1,1,0] neg_lo:[0,0,1] neg_hi:[0,0,1]
	v_pk_fma_f32 v[108:109], v[108:109], v[118:119], v[122:123] op_sel:[0,0,1] op_sel_hi:[1,0,0]
	v_mov_b32_e32 v125, v109
	v_pk_mul_f32 v[108:109], v[110:111], v[120:121] op_sel:[0,1]
	s_delay_alu instid0(VALU_DEP_1) | instskip(SKIP_1) | instid1(VALU_DEP_1)
	v_pk_fma_f32 v[122:123], v[110:111], v[118:119], v[108:109] op_sel:[0,0,1] op_sel_hi:[1,1,0] neg_lo:[0,0,1] neg_hi:[0,0,1]
	v_pk_fma_f32 v[108:109], v[110:111], v[118:119], v[108:109] op_sel:[0,0,1] op_sel_hi:[1,0,0]
	v_mov_b32_e32 v123, v109
	ds_load_2addr_b64 v[108:111], v112 offset0:44 offset1:45
	v_pk_add_f32 v[76:77], v[76:77], v[124:125] neg_lo:[0,1] neg_hi:[0,1]
	v_pk_add_f32 v[74:75], v[74:75], v[122:123] neg_lo:[0,1] neg_hi:[0,1]
	s_wait_dscnt 0x0
	v_pk_mul_f32 v[122:123], v[108:109], v[120:121] op_sel:[0,1]
	s_delay_alu instid0(VALU_DEP_1) | instskip(SKIP_2) | instid1(VALU_DEP_2)
	v_pk_fma_f32 v[124:125], v[108:109], v[118:119], v[122:123] op_sel:[0,0,1] op_sel_hi:[1,1,0] neg_lo:[0,0,1] neg_hi:[0,0,1]
	v_pk_fma_f32 v[108:109], v[108:109], v[118:119], v[122:123] op_sel:[0,0,1] op_sel_hi:[1,0,0]
	v_dual_mul_f32 v122, v111, v121 :: v_dual_mov_b32 v108, v111
	v_dual_mov_b32 v125, v109 :: v_dual_mov_b32 v109, v110
	s_delay_alu instid0(VALU_DEP_2) | instskip(SKIP_1) | instid1(VALU_DEP_3)
	v_pk_fma_f32 v[122:123], v[110:111], v[102:103], v[122:123] op_sel_hi:[1,1,0] neg_lo:[0,0,1] neg_hi:[0,0,1]
	v_mul_f32_e32 v110, v111, v118
	v_pk_add_f32 v[98:99], v[98:99], v[124:125] neg_lo:[0,1] neg_hi:[0,1]
	s_delay_alu instid0(VALU_DEP_2) | instskip(NEXT) | instid1(VALU_DEP_1)
	v_pk_fma_f32 v[108:109], v[108:109], v[102:103], v[110:111] op_sel_hi:[1,1,0]
	v_mov_b32_e32 v123, v109
	ds_load_2addr_b64 v[108:111], v112 offset0:46 offset1:47
	v_pk_add_f32 v[96:97], v[96:97], v[122:123] neg_lo:[0,1] neg_hi:[0,1]
	s_wait_dscnt 0x0
	v_pk_mul_f32 v[122:123], v[108:109], v[120:121] op_sel:[0,1]
	s_delay_alu instid0(VALU_DEP_1) | instskip(SKIP_1) | instid1(VALU_DEP_1)
	v_pk_fma_f32 v[124:125], v[108:109], v[118:119], v[122:123] op_sel:[0,0,1] op_sel_hi:[1,1,0] neg_lo:[0,0,1] neg_hi:[0,0,1]
	v_pk_fma_f32 v[108:109], v[108:109], v[118:119], v[122:123] op_sel:[0,0,1] op_sel_hi:[1,0,0]
	v_mov_b32_e32 v125, v109
	v_pk_mul_f32 v[108:109], v[110:111], v[120:121] op_sel:[0,1]
	s_delay_alu instid0(VALU_DEP_1) | instskip(SKIP_1) | instid1(VALU_DEP_1)
	v_pk_fma_f32 v[122:123], v[110:111], v[118:119], v[108:109] op_sel:[0,0,1] op_sel_hi:[1,1,0] neg_lo:[0,0,1] neg_hi:[0,0,1]
	v_pk_fma_f32 v[108:109], v[110:111], v[118:119], v[108:109] op_sel:[0,0,1] op_sel_hi:[1,0,0]
	v_mov_b32_e32 v123, v109
	ds_load_2addr_b64 v[108:111], v112 offset0:48 offset1:49
	v_pk_add_f32 v[80:81], v[80:81], v[124:125] neg_lo:[0,1] neg_hi:[0,1]
	v_pk_add_f32 v[78:79], v[78:79], v[122:123] neg_lo:[0,1] neg_hi:[0,1]
	s_wait_dscnt 0x0
	v_pk_mul_f32 v[122:123], v[108:109], v[120:121] op_sel:[0,1]
	s_delay_alu instid0(VALU_DEP_1) | instskip(SKIP_1) | instid1(VALU_DEP_1)
	v_pk_fma_f32 v[124:125], v[108:109], v[118:119], v[122:123] op_sel:[0,0,1] op_sel_hi:[1,1,0] neg_lo:[0,0,1] neg_hi:[0,0,1]
	v_pk_fma_f32 v[108:109], v[108:109], v[118:119], v[122:123] op_sel:[0,0,1] op_sel_hi:[1,0,0]
	v_mov_b32_e32 v125, v109
	v_pk_mul_f32 v[108:109], v[110:111], v[120:121] op_sel:[0,1]
	s_delay_alu instid0(VALU_DEP_1) | instskip(SKIP_1) | instid1(VALU_DEP_1)
	v_pk_fma_f32 v[122:123], v[110:111], v[118:119], v[108:109] op_sel:[0,0,1] op_sel_hi:[1,1,0] neg_lo:[0,0,1] neg_hi:[0,0,1]
	v_pk_fma_f32 v[108:109], v[110:111], v[118:119], v[108:109] op_sel:[0,0,1] op_sel_hi:[1,0,0]
	v_mov_b32_e32 v123, v109
	ds_load_b64 v[108:109], v112 offset:400
	v_pk_add_f32 v[88:89], v[88:89], v[124:125] neg_lo:[0,1] neg_hi:[0,1]
	v_pk_add_f32 v[86:87], v[86:87], v[122:123] neg_lo:[0,1] neg_hi:[0,1]
	s_wait_dscnt 0x0
	v_pk_mul_f32 v[110:111], v[108:109], v[120:121] op_sel:[0,1]
	s_delay_alu instid0(VALU_DEP_1) | instskip(SKIP_1) | instid1(VALU_DEP_1)
	v_pk_fma_f32 v[120:121], v[108:109], v[118:119], v[110:111] op_sel:[0,0,1] op_sel_hi:[1,1,0] neg_lo:[0,0,1] neg_hi:[0,0,1]
	v_pk_fma_f32 v[108:109], v[108:109], v[118:119], v[110:111] op_sel:[0,0,1] op_sel_hi:[1,0,0]
	v_mov_b32_e32 v121, v109
	s_delay_alu instid0(VALU_DEP_1)
	v_pk_add_f32 v[106:107], v[106:107], v[120:121] neg_lo:[0,1] neg_hi:[0,1]
.LBB100_881:
	s_or_b32 exec_lo, exec_lo, s0
	v_lshl_add_u32 v108, v116, 3, v112
	s_barrier_signal -1
	s_barrier_wait -1
	ds_store_b64 v108, v[76:77]
	s_wait_dscnt 0x0
	s_barrier_signal -1
	s_barrier_wait -1
	ds_load_b64 v[108:109], v112 offset:336
	v_mov_b32_e32 v110, 42
	s_cmp_lt_i32 s18, 44
	s_cbranch_scc1 .LBB100_884
; %bb.882:
	v_add3_u32 v111, v113, 0, 0x158
	v_mov_b32_e32 v110, 42
	s_mov_b32 s0, 43
.LBB100_883:                            ; =>This Inner Loop Header: Depth=1
	ds_load_b64 v[118:119], v111
	s_wait_dscnt 0x1
	v_cmp_gt_f32_e32 vcc_lo, 0, v108
	v_cndmask_b32_e64 v120, v108, -v108, vcc_lo
	v_cmp_gt_f32_e32 vcc_lo, 0, v109
	v_cndmask_b32_e64 v122, v109, -v109, vcc_lo
	s_wait_dscnt 0x0
	v_cmp_gt_f32_e32 vcc_lo, 0, v118
	v_cndmask_b32_e64 v121, v118, -v118, vcc_lo
	v_cmp_gt_f32_e32 vcc_lo, 0, v119
	v_cndmask_b32_e64 v123, v119, -v119, vcc_lo
	s_delay_alu instid0(VALU_DEP_1) | instskip(NEXT) | instid1(VALU_DEP_1)
	v_pk_add_f32 v[120:121], v[120:121], v[122:123]
	v_cmp_lt_f32_e32 vcc_lo, v120, v121
	v_dual_cndmask_b32 v108, v108, v118 :: v_dual_add_nc_u32 v111, 8, v111
	v_cndmask_b32_e32 v109, v109, v119, vcc_lo
	v_cndmask_b32_e64 v110, v110, s0, vcc_lo
	s_add_co_i32 s0, s0, 1
	s_delay_alu instid0(SALU_CYCLE_1)
	s_cmp_lg_u32 s18, s0
	s_cbranch_scc1 .LBB100_883
.LBB100_884:
	s_wait_dscnt 0x0
	v_cmp_eq_f32_e32 vcc_lo, 0, v108
	v_cmp_eq_f32_e64 s0, 0, v109
	s_and_b32 s0, vcc_lo, s0
	s_delay_alu instid0(SALU_CYCLE_1) | instskip(NEXT) | instid1(SALU_CYCLE_1)
	s_and_saveexec_b32 s1, s0
	s_xor_b32 s0, exec_lo, s1
; %bb.885:
	v_cmp_ne_u32_e32 vcc_lo, 0, v114
	v_cndmask_b32_e32 v114, 43, v114, vcc_lo
; %bb.886:
	s_and_not1_saveexec_b32 s0, s0
	s_cbranch_execz .LBB100_892
; %bb.887:
	v_cmp_ngt_f32_e64 s1, |v108|, |v109|
	s_and_saveexec_b32 s12, s1
	s_delay_alu instid0(SALU_CYCLE_1)
	s_xor_b32 s1, exec_lo, s12
	s_cbranch_execz .LBB100_889
; %bb.888:
	v_div_scale_f32 v111, null, v109, v109, v108
	v_div_scale_f32 v119, vcc_lo, v108, v109, v108
	s_delay_alu instid0(VALU_DEP_2) | instskip(SKIP_1) | instid1(TRANS32_DEP_1)
	v_rcp_f32_e32 v117, v111
	v_nop
	v_fma_f32 v118, -v111, v117, 1.0
	s_delay_alu instid0(VALU_DEP_1) | instskip(NEXT) | instid1(VALU_DEP_1)
	v_fmac_f32_e32 v117, v118, v117
	v_mul_f32_e32 v118, v119, v117
	s_delay_alu instid0(VALU_DEP_1) | instskip(NEXT) | instid1(VALU_DEP_1)
	v_fma_f32 v120, -v111, v118, v119
	v_fmac_f32_e32 v118, v120, v117
	s_delay_alu instid0(VALU_DEP_1) | instskip(NEXT) | instid1(VALU_DEP_1)
	v_fma_f32 v111, -v111, v118, v119
	v_div_fmas_f32 v111, v111, v117, v118
	s_delay_alu instid0(VALU_DEP_1) | instskip(NEXT) | instid1(VALU_DEP_1)
	v_div_fixup_f32 v111, v111, v109, v108
	v_fmac_f32_e32 v109, v108, v111
	s_delay_alu instid0(VALU_DEP_1) | instskip(SKIP_1) | instid1(VALU_DEP_2)
	v_div_scale_f32 v108, null, v109, v109, 1.0
	v_div_scale_f32 v119, vcc_lo, 1.0, v109, 1.0
	v_rcp_f32_e32 v117, v108
	v_nop
	s_delay_alu instid0(TRANS32_DEP_1) | instskip(NEXT) | instid1(VALU_DEP_1)
	v_fma_f32 v118, -v108, v117, 1.0
	v_fmac_f32_e32 v117, v118, v117
	s_delay_alu instid0(VALU_DEP_1) | instskip(NEXT) | instid1(VALU_DEP_1)
	v_mul_f32_e32 v118, v119, v117
	v_fma_f32 v120, -v108, v118, v119
	s_delay_alu instid0(VALU_DEP_1) | instskip(NEXT) | instid1(VALU_DEP_1)
	v_fmac_f32_e32 v118, v120, v117
	v_fma_f32 v108, -v108, v118, v119
	s_delay_alu instid0(VALU_DEP_1) | instskip(NEXT) | instid1(VALU_DEP_1)
	v_div_fmas_f32 v108, v108, v117, v118
	v_div_fixup_f32 v109, v108, v109, 1.0
	s_delay_alu instid0(VALU_DEP_1)
	v_mul_f32_e32 v108, v111, v109
	v_xor_b32_e32 v109, 0x80000000, v109
.LBB100_889:
	s_and_not1_saveexec_b32 s1, s1
	s_cbranch_execz .LBB100_891
; %bb.890:
	s_delay_alu instid0(VALU_DEP_1) | instskip(SKIP_1) | instid1(VALU_DEP_2)
	v_div_scale_f32 v111, null, v108, v108, v109
	v_div_scale_f32 v119, vcc_lo, v109, v108, v109
	v_rcp_f32_e32 v117, v111
	v_nop
	s_delay_alu instid0(TRANS32_DEP_1) | instskip(NEXT) | instid1(VALU_DEP_1)
	v_fma_f32 v118, -v111, v117, 1.0
	v_fmac_f32_e32 v117, v118, v117
	s_delay_alu instid0(VALU_DEP_1) | instskip(NEXT) | instid1(VALU_DEP_1)
	v_mul_f32_e32 v118, v119, v117
	v_fma_f32 v120, -v111, v118, v119
	s_delay_alu instid0(VALU_DEP_1) | instskip(NEXT) | instid1(VALU_DEP_1)
	v_fmac_f32_e32 v118, v120, v117
	v_fma_f32 v111, -v111, v118, v119
	s_delay_alu instid0(VALU_DEP_1) | instskip(NEXT) | instid1(VALU_DEP_1)
	v_div_fmas_f32 v111, v111, v117, v118
	v_div_fixup_f32 v111, v111, v108, v109
	s_delay_alu instid0(VALU_DEP_1) | instskip(NEXT) | instid1(VALU_DEP_1)
	v_fmac_f32_e32 v108, v109, v111
	v_div_scale_f32 v109, null, v108, v108, 1.0
	s_delay_alu instid0(VALU_DEP_1) | instskip(SKIP_1) | instid1(TRANS32_DEP_1)
	v_rcp_f32_e32 v117, v109
	v_nop
	v_fma_f32 v118, -v109, v117, 1.0
	s_delay_alu instid0(VALU_DEP_1) | instskip(SKIP_1) | instid1(VALU_DEP_1)
	v_fmac_f32_e32 v117, v118, v117
	v_div_scale_f32 v118, vcc_lo, 1.0, v108, 1.0
	v_mul_f32_e32 v119, v118, v117
	s_delay_alu instid0(VALU_DEP_1) | instskip(NEXT) | instid1(VALU_DEP_1)
	v_fma_f32 v120, -v109, v119, v118
	v_fmac_f32_e32 v119, v120, v117
	s_delay_alu instid0(VALU_DEP_1) | instskip(NEXT) | instid1(VALU_DEP_1)
	v_fma_f32 v109, -v109, v119, v118
	v_div_fmas_f32 v109, v109, v117, v119
	s_delay_alu instid0(VALU_DEP_1) | instskip(NEXT) | instid1(VALU_DEP_1)
	v_div_fixup_f32 v108, v109, v108, 1.0
	v_mul_f32_e64 v109, v111, -v108
.LBB100_891:
	s_or_b32 exec_lo, exec_lo, s1
.LBB100_892:
	s_delay_alu instid0(SALU_CYCLE_1) | instskip(NEXT) | instid1(SALU_CYCLE_1)
	s_or_b32 exec_lo, exec_lo, s0
	s_mov_b32 s0, exec_lo
	v_cmpx_ne_u32_e64 v116, v110
	s_xor_b32 s0, exec_lo, s0
	s_cbranch_execz .LBB100_898
; %bb.893:
	s_mov_b32 s1, exec_lo
	v_cmpx_eq_u32_e32 42, v116
	s_cbranch_execz .LBB100_897
; %bb.894:
	v_cmp_ne_u32_e32 vcc_lo, 42, v110
	s_xor_b32 s12, s16, -1
	s_delay_alu instid0(SALU_CYCLE_1) | instskip(NEXT) | instid1(SALU_CYCLE_1)
	s_and_b32 s13, s12, vcc_lo
	s_and_saveexec_b32 s12, s13
	s_cbranch_execz .LBB100_896
; %bb.895:
	v_ashrrev_i32_e32 v111, 31, v110
	s_delay_alu instid0(VALU_DEP_1)
	v_lshl_add_u64 v[116:117], v[110:111], 2, v[4:5]
	s_clause 0x1
	global_load_b32 v111, v[116:117], off
	global_load_b32 v115, v[4:5], off offset:168
	s_wait_loadcnt 0x1
	global_store_b32 v[4:5], v111, off offset:168
	s_wait_loadcnt 0x0
	global_store_b32 v[116:117], v115, off
.LBB100_896:
	s_wait_xcnt 0x0
	s_or_b32 exec_lo, exec_lo, s12
	v_dual_mov_b32 v116, v110 :: v_dual_mov_b32 v115, v110
.LBB100_897:
	s_or_b32 exec_lo, exec_lo, s1
.LBB100_898:
	s_and_not1_saveexec_b32 s0, s0
	s_cbranch_execz .LBB100_900
; %bb.899:
	v_mov_b32_e32 v116, 42
	ds_store_2addr_b64 v112, v[74:75], v[98:99] offset0:43 offset1:44
	ds_store_2addr_b64 v112, v[96:97], v[80:81] offset0:45 offset1:46
	;; [unrolled: 1-line block ×4, first 2 shown]
.LBB100_900:
	s_or_b32 exec_lo, exec_lo, s0
	s_delay_alu instid0(SALU_CYCLE_1)
	s_mov_b32 s0, exec_lo
	s_wait_storecnt_dscnt 0x0
	s_barrier_signal -1
	s_barrier_wait -1
	v_cmpx_lt_i32_e32 42, v116
	s_cbranch_execz .LBB100_902
; %bb.901:
	v_pk_mul_f32 v[110:111], v[108:109], v[76:77] op_sel:[1,1] op_sel_hi:[0,1]
	s_delay_alu instid0(VALU_DEP_1)
	v_pk_fma_f32 v[118:119], v[108:109], v[76:77], v[110:111] op_sel_hi:[1,0,1] neg_lo:[0,0,1] neg_hi:[0,0,1]
	v_pk_fma_f32 v[120:121], v[108:109], v[76:77], v[110:111] op_sel_hi:[1,0,1]
	ds_load_2addr_b64 v[108:111], v112 offset0:43 offset1:44
	v_dual_mov_b32 v76, v118 :: v_dual_mov_b32 v77, v121
	s_wait_dscnt 0x0
	v_pk_mul_f32 v[122:123], v[108:109], v[120:121] op_sel:[0,1]
	s_delay_alu instid0(VALU_DEP_1) | instskip(SKIP_1) | instid1(VALU_DEP_1)
	v_pk_fma_f32 v[124:125], v[108:109], v[118:119], v[122:123] op_sel:[0,0,1] op_sel_hi:[1,1,0] neg_lo:[0,0,1] neg_hi:[0,0,1]
	v_pk_fma_f32 v[108:109], v[108:109], v[118:119], v[122:123] op_sel:[0,0,1] op_sel_hi:[1,0,0]
	v_mov_b32_e32 v125, v109
	v_pk_mul_f32 v[108:109], v[110:111], v[120:121] op_sel:[0,1]
	s_delay_alu instid0(VALU_DEP_1) | instskip(SKIP_1) | instid1(VALU_DEP_1)
	v_pk_fma_f32 v[122:123], v[110:111], v[118:119], v[108:109] op_sel:[0,0,1] op_sel_hi:[1,1,0] neg_lo:[0,0,1] neg_hi:[0,0,1]
	v_pk_fma_f32 v[108:109], v[110:111], v[118:119], v[108:109] op_sel:[0,0,1] op_sel_hi:[1,0,0]
	v_mov_b32_e32 v123, v109
	ds_load_2addr_b64 v[108:111], v112 offset0:45 offset1:46
	v_pk_add_f32 v[74:75], v[74:75], v[124:125] neg_lo:[0,1] neg_hi:[0,1]
	v_pk_add_f32 v[98:99], v[98:99], v[122:123] neg_lo:[0,1] neg_hi:[0,1]
	s_wait_dscnt 0x0
	v_pk_mul_f32 v[122:123], v[108:109], v[120:121] op_sel:[0,1]
	s_delay_alu instid0(VALU_DEP_1) | instskip(SKIP_2) | instid1(VALU_DEP_2)
	v_pk_fma_f32 v[124:125], v[108:109], v[118:119], v[122:123] op_sel:[0,0,1] op_sel_hi:[1,1,0] neg_lo:[0,0,1] neg_hi:[0,0,1]
	v_pk_fma_f32 v[108:109], v[108:109], v[118:119], v[122:123] op_sel:[0,0,1] op_sel_hi:[1,0,0]
	v_dual_mul_f32 v122, v111, v121 :: v_dual_mov_b32 v108, v111
	v_dual_mov_b32 v125, v109 :: v_dual_mov_b32 v109, v110
	s_delay_alu instid0(VALU_DEP_2) | instskip(SKIP_1) | instid1(VALU_DEP_3)
	v_pk_fma_f32 v[122:123], v[110:111], v[76:77], v[122:123] op_sel_hi:[1,1,0] neg_lo:[0,0,1] neg_hi:[0,0,1]
	v_mul_f32_e32 v110, v111, v118
	v_pk_add_f32 v[96:97], v[96:97], v[124:125] neg_lo:[0,1] neg_hi:[0,1]
	s_delay_alu instid0(VALU_DEP_2) | instskip(NEXT) | instid1(VALU_DEP_1)
	v_pk_fma_f32 v[108:109], v[108:109], v[76:77], v[110:111] op_sel_hi:[1,1,0]
	v_mov_b32_e32 v123, v109
	ds_load_2addr_b64 v[108:111], v112 offset0:47 offset1:48
	v_pk_add_f32 v[80:81], v[80:81], v[122:123] neg_lo:[0,1] neg_hi:[0,1]
	s_wait_dscnt 0x0
	v_pk_mul_f32 v[122:123], v[108:109], v[120:121] op_sel:[0,1]
	s_delay_alu instid0(VALU_DEP_1) | instskip(SKIP_1) | instid1(VALU_DEP_1)
	v_pk_fma_f32 v[124:125], v[108:109], v[118:119], v[122:123] op_sel:[0,0,1] op_sel_hi:[1,1,0] neg_lo:[0,0,1] neg_hi:[0,0,1]
	v_pk_fma_f32 v[108:109], v[108:109], v[118:119], v[122:123] op_sel:[0,0,1] op_sel_hi:[1,0,0]
	v_mov_b32_e32 v125, v109
	v_pk_mul_f32 v[108:109], v[110:111], v[120:121] op_sel:[0,1]
	s_delay_alu instid0(VALU_DEP_1) | instskip(SKIP_1) | instid1(VALU_DEP_1)
	v_pk_fma_f32 v[122:123], v[110:111], v[118:119], v[108:109] op_sel:[0,0,1] op_sel_hi:[1,1,0] neg_lo:[0,0,1] neg_hi:[0,0,1]
	v_pk_fma_f32 v[108:109], v[110:111], v[118:119], v[108:109] op_sel:[0,0,1] op_sel_hi:[1,0,0]
	v_mov_b32_e32 v123, v109
	ds_load_2addr_b64 v[108:111], v112 offset0:49 offset1:50
	v_pk_add_f32 v[78:79], v[78:79], v[124:125] neg_lo:[0,1] neg_hi:[0,1]
	v_pk_add_f32 v[88:89], v[88:89], v[122:123] neg_lo:[0,1] neg_hi:[0,1]
	s_wait_dscnt 0x0
	v_pk_mul_f32 v[122:123], v[108:109], v[120:121] op_sel:[0,1]
	s_delay_alu instid0(VALU_DEP_1) | instskip(SKIP_1) | instid1(VALU_DEP_1)
	v_pk_fma_f32 v[124:125], v[108:109], v[118:119], v[122:123] op_sel:[0,0,1] op_sel_hi:[1,1,0] neg_lo:[0,0,1] neg_hi:[0,0,1]
	v_pk_fma_f32 v[108:109], v[108:109], v[118:119], v[122:123] op_sel:[0,0,1] op_sel_hi:[1,0,0]
	v_mov_b32_e32 v125, v109
	v_pk_mul_f32 v[108:109], v[110:111], v[120:121] op_sel:[0,1]
	s_delay_alu instid0(VALU_DEP_1) | instskip(SKIP_1) | instid1(VALU_DEP_1)
	v_pk_fma_f32 v[120:121], v[110:111], v[118:119], v[108:109] op_sel:[0,0,1] op_sel_hi:[1,1,0] neg_lo:[0,0,1] neg_hi:[0,0,1]
	v_pk_fma_f32 v[108:109], v[110:111], v[118:119], v[108:109] op_sel:[0,0,1] op_sel_hi:[1,0,0]
	v_mov_b32_e32 v121, v109
	v_pk_add_f32 v[86:87], v[86:87], v[124:125] neg_lo:[0,1] neg_hi:[0,1]
	s_delay_alu instid0(VALU_DEP_2)
	v_pk_add_f32 v[106:107], v[106:107], v[120:121] neg_lo:[0,1] neg_hi:[0,1]
.LBB100_902:
	s_or_b32 exec_lo, exec_lo, s0
	v_lshl_add_u32 v108, v116, 3, v112
	s_barrier_signal -1
	s_barrier_wait -1
	ds_store_b64 v108, v[74:75]
	s_wait_dscnt 0x0
	s_barrier_signal -1
	s_barrier_wait -1
	ds_load_b64 v[108:109], v112 offset:344
	v_mov_b32_e32 v110, 43
	s_cmp_lt_i32 s18, 45
	s_cbranch_scc1 .LBB100_905
; %bb.903:
	v_add3_u32 v111, v113, 0, 0x160
	v_mov_b32_e32 v110, 43
	s_mov_b32 s0, 44
.LBB100_904:                            ; =>This Inner Loop Header: Depth=1
	ds_load_b64 v[118:119], v111
	s_wait_dscnt 0x1
	v_cmp_gt_f32_e32 vcc_lo, 0, v108
	v_cndmask_b32_e64 v120, v108, -v108, vcc_lo
	v_cmp_gt_f32_e32 vcc_lo, 0, v109
	v_cndmask_b32_e64 v122, v109, -v109, vcc_lo
	s_wait_dscnt 0x0
	v_cmp_gt_f32_e32 vcc_lo, 0, v118
	v_cndmask_b32_e64 v121, v118, -v118, vcc_lo
	v_cmp_gt_f32_e32 vcc_lo, 0, v119
	v_cndmask_b32_e64 v123, v119, -v119, vcc_lo
	s_delay_alu instid0(VALU_DEP_1) | instskip(NEXT) | instid1(VALU_DEP_1)
	v_pk_add_f32 v[120:121], v[120:121], v[122:123]
	v_cmp_lt_f32_e32 vcc_lo, v120, v121
	v_dual_cndmask_b32 v108, v108, v118 :: v_dual_add_nc_u32 v111, 8, v111
	v_cndmask_b32_e32 v109, v109, v119, vcc_lo
	v_cndmask_b32_e64 v110, v110, s0, vcc_lo
	s_add_co_i32 s0, s0, 1
	s_delay_alu instid0(SALU_CYCLE_1)
	s_cmp_lg_u32 s18, s0
	s_cbranch_scc1 .LBB100_904
.LBB100_905:
	s_wait_dscnt 0x0
	v_cmp_eq_f32_e32 vcc_lo, 0, v108
	v_cmp_eq_f32_e64 s0, 0, v109
	s_and_b32 s0, vcc_lo, s0
	s_delay_alu instid0(SALU_CYCLE_1) | instskip(NEXT) | instid1(SALU_CYCLE_1)
	s_and_saveexec_b32 s1, s0
	s_xor_b32 s0, exec_lo, s1
; %bb.906:
	v_cmp_ne_u32_e32 vcc_lo, 0, v114
	v_cndmask_b32_e32 v114, 44, v114, vcc_lo
; %bb.907:
	s_and_not1_saveexec_b32 s0, s0
	s_cbranch_execz .LBB100_913
; %bb.908:
	v_cmp_ngt_f32_e64 s1, |v108|, |v109|
	s_and_saveexec_b32 s12, s1
	s_delay_alu instid0(SALU_CYCLE_1)
	s_xor_b32 s1, exec_lo, s12
	s_cbranch_execz .LBB100_910
; %bb.909:
	v_div_scale_f32 v111, null, v109, v109, v108
	v_div_scale_f32 v119, vcc_lo, v108, v109, v108
	s_delay_alu instid0(VALU_DEP_2) | instskip(SKIP_1) | instid1(TRANS32_DEP_1)
	v_rcp_f32_e32 v117, v111
	v_nop
	v_fma_f32 v118, -v111, v117, 1.0
	s_delay_alu instid0(VALU_DEP_1) | instskip(NEXT) | instid1(VALU_DEP_1)
	v_fmac_f32_e32 v117, v118, v117
	v_mul_f32_e32 v118, v119, v117
	s_delay_alu instid0(VALU_DEP_1) | instskip(NEXT) | instid1(VALU_DEP_1)
	v_fma_f32 v120, -v111, v118, v119
	v_fmac_f32_e32 v118, v120, v117
	s_delay_alu instid0(VALU_DEP_1) | instskip(NEXT) | instid1(VALU_DEP_1)
	v_fma_f32 v111, -v111, v118, v119
	v_div_fmas_f32 v111, v111, v117, v118
	s_delay_alu instid0(VALU_DEP_1) | instskip(NEXT) | instid1(VALU_DEP_1)
	v_div_fixup_f32 v111, v111, v109, v108
	v_fmac_f32_e32 v109, v108, v111
	s_delay_alu instid0(VALU_DEP_1) | instskip(SKIP_1) | instid1(VALU_DEP_2)
	v_div_scale_f32 v108, null, v109, v109, 1.0
	v_div_scale_f32 v119, vcc_lo, 1.0, v109, 1.0
	v_rcp_f32_e32 v117, v108
	v_nop
	s_delay_alu instid0(TRANS32_DEP_1) | instskip(NEXT) | instid1(VALU_DEP_1)
	v_fma_f32 v118, -v108, v117, 1.0
	v_fmac_f32_e32 v117, v118, v117
	s_delay_alu instid0(VALU_DEP_1) | instskip(NEXT) | instid1(VALU_DEP_1)
	v_mul_f32_e32 v118, v119, v117
	v_fma_f32 v120, -v108, v118, v119
	s_delay_alu instid0(VALU_DEP_1) | instskip(NEXT) | instid1(VALU_DEP_1)
	v_fmac_f32_e32 v118, v120, v117
	v_fma_f32 v108, -v108, v118, v119
	s_delay_alu instid0(VALU_DEP_1) | instskip(NEXT) | instid1(VALU_DEP_1)
	v_div_fmas_f32 v108, v108, v117, v118
	v_div_fixup_f32 v109, v108, v109, 1.0
	s_delay_alu instid0(VALU_DEP_1)
	v_mul_f32_e32 v108, v111, v109
	v_xor_b32_e32 v109, 0x80000000, v109
.LBB100_910:
	s_and_not1_saveexec_b32 s1, s1
	s_cbranch_execz .LBB100_912
; %bb.911:
	s_delay_alu instid0(VALU_DEP_1) | instskip(SKIP_1) | instid1(VALU_DEP_2)
	v_div_scale_f32 v111, null, v108, v108, v109
	v_div_scale_f32 v119, vcc_lo, v109, v108, v109
	v_rcp_f32_e32 v117, v111
	v_nop
	s_delay_alu instid0(TRANS32_DEP_1) | instskip(NEXT) | instid1(VALU_DEP_1)
	v_fma_f32 v118, -v111, v117, 1.0
	v_fmac_f32_e32 v117, v118, v117
	s_delay_alu instid0(VALU_DEP_1) | instskip(NEXT) | instid1(VALU_DEP_1)
	v_mul_f32_e32 v118, v119, v117
	v_fma_f32 v120, -v111, v118, v119
	s_delay_alu instid0(VALU_DEP_1) | instskip(NEXT) | instid1(VALU_DEP_1)
	v_fmac_f32_e32 v118, v120, v117
	v_fma_f32 v111, -v111, v118, v119
	s_delay_alu instid0(VALU_DEP_1) | instskip(NEXT) | instid1(VALU_DEP_1)
	v_div_fmas_f32 v111, v111, v117, v118
	v_div_fixup_f32 v111, v111, v108, v109
	s_delay_alu instid0(VALU_DEP_1) | instskip(NEXT) | instid1(VALU_DEP_1)
	v_fmac_f32_e32 v108, v109, v111
	v_div_scale_f32 v109, null, v108, v108, 1.0
	s_delay_alu instid0(VALU_DEP_1) | instskip(SKIP_1) | instid1(TRANS32_DEP_1)
	v_rcp_f32_e32 v117, v109
	v_nop
	v_fma_f32 v118, -v109, v117, 1.0
	s_delay_alu instid0(VALU_DEP_1) | instskip(SKIP_1) | instid1(VALU_DEP_1)
	v_fmac_f32_e32 v117, v118, v117
	v_div_scale_f32 v118, vcc_lo, 1.0, v108, 1.0
	v_mul_f32_e32 v119, v118, v117
	s_delay_alu instid0(VALU_DEP_1) | instskip(NEXT) | instid1(VALU_DEP_1)
	v_fma_f32 v120, -v109, v119, v118
	v_fmac_f32_e32 v119, v120, v117
	s_delay_alu instid0(VALU_DEP_1) | instskip(NEXT) | instid1(VALU_DEP_1)
	v_fma_f32 v109, -v109, v119, v118
	v_div_fmas_f32 v109, v109, v117, v119
	s_delay_alu instid0(VALU_DEP_1) | instskip(NEXT) | instid1(VALU_DEP_1)
	v_div_fixup_f32 v108, v109, v108, 1.0
	v_mul_f32_e64 v109, v111, -v108
.LBB100_912:
	s_or_b32 exec_lo, exec_lo, s1
.LBB100_913:
	s_delay_alu instid0(SALU_CYCLE_1) | instskip(NEXT) | instid1(SALU_CYCLE_1)
	s_or_b32 exec_lo, exec_lo, s0
	s_mov_b32 s0, exec_lo
	v_cmpx_ne_u32_e64 v116, v110
	s_xor_b32 s0, exec_lo, s0
	s_cbranch_execz .LBB100_919
; %bb.914:
	s_mov_b32 s1, exec_lo
	v_cmpx_eq_u32_e32 43, v116
	s_cbranch_execz .LBB100_918
; %bb.915:
	v_cmp_ne_u32_e32 vcc_lo, 43, v110
	s_xor_b32 s12, s16, -1
	s_delay_alu instid0(SALU_CYCLE_1) | instskip(NEXT) | instid1(SALU_CYCLE_1)
	s_and_b32 s13, s12, vcc_lo
	s_and_saveexec_b32 s12, s13
	s_cbranch_execz .LBB100_917
; %bb.916:
	v_ashrrev_i32_e32 v111, 31, v110
	s_delay_alu instid0(VALU_DEP_1)
	v_lshl_add_u64 v[116:117], v[110:111], 2, v[4:5]
	s_clause 0x1
	global_load_b32 v111, v[116:117], off
	global_load_b32 v115, v[4:5], off offset:172
	s_wait_loadcnt 0x1
	global_store_b32 v[4:5], v111, off offset:172
	s_wait_loadcnt 0x0
	global_store_b32 v[116:117], v115, off
.LBB100_917:
	s_wait_xcnt 0x0
	s_or_b32 exec_lo, exec_lo, s12
	v_dual_mov_b32 v116, v110 :: v_dual_mov_b32 v115, v110
.LBB100_918:
	s_or_b32 exec_lo, exec_lo, s1
.LBB100_919:
	s_and_not1_saveexec_b32 s0, s0
	s_cbranch_execz .LBB100_921
; %bb.920:
	v_dual_mov_b32 v110, v98 :: v_dual_mov_b32 v111, v99
	v_dual_mov_b32 v118, v96 :: v_dual_mov_b32 v119, v97
	;; [unrolled: 1-line block ×6, first 2 shown]
	v_mov_b32_e32 v127, v87
	ds_store_2addr_b64 v112, v[110:111], v[118:119] offset0:44 offset1:45
	ds_store_2addr_b64 v112, v[120:121], v[122:123] offset0:46 offset1:47
	;; [unrolled: 1-line block ×3, first 2 shown]
	ds_store_b64 v112, v[106:107] offset:400
.LBB100_921:
	s_or_b32 exec_lo, exec_lo, s0
	s_delay_alu instid0(SALU_CYCLE_1)
	s_mov_b32 s0, exec_lo
	s_wait_storecnt_dscnt 0x0
	s_barrier_signal -1
	s_barrier_wait -1
	v_cmpx_lt_i32_e32 43, v116
	s_cbranch_execz .LBB100_923
; %bb.922:
	v_pk_mul_f32 v[110:111], v[108:109], v[74:75] op_sel:[1,1] op_sel_hi:[0,1]
	s_delay_alu instid0(VALU_DEP_1)
	v_pk_fma_f32 v[118:119], v[108:109], v[74:75], v[110:111] op_sel_hi:[1,0,1] neg_lo:[0,0,1] neg_hi:[0,0,1]
	v_pk_fma_f32 v[120:121], v[108:109], v[74:75], v[110:111] op_sel_hi:[1,0,1]
	ds_load_2addr_b64 v[108:111], v112 offset0:44 offset1:45
	v_dual_mov_b32 v74, v118 :: v_dual_mov_b32 v75, v121
	s_wait_dscnt 0x0
	v_pk_mul_f32 v[122:123], v[108:109], v[120:121] op_sel:[0,1]
	s_delay_alu instid0(VALU_DEP_1) | instskip(SKIP_1) | instid1(VALU_DEP_1)
	v_pk_fma_f32 v[124:125], v[108:109], v[118:119], v[122:123] op_sel:[0,0,1] op_sel_hi:[1,1,0] neg_lo:[0,0,1] neg_hi:[0,0,1]
	v_pk_fma_f32 v[108:109], v[108:109], v[118:119], v[122:123] op_sel:[0,0,1] op_sel_hi:[1,0,0]
	v_mov_b32_e32 v125, v109
	v_pk_mul_f32 v[108:109], v[110:111], v[120:121] op_sel:[0,1]
	s_delay_alu instid0(VALU_DEP_1) | instskip(SKIP_1) | instid1(VALU_DEP_1)
	v_pk_fma_f32 v[122:123], v[110:111], v[118:119], v[108:109] op_sel:[0,0,1] op_sel_hi:[1,1,0] neg_lo:[0,0,1] neg_hi:[0,0,1]
	v_pk_fma_f32 v[108:109], v[110:111], v[118:119], v[108:109] op_sel:[0,0,1] op_sel_hi:[1,0,0]
	v_mov_b32_e32 v123, v109
	ds_load_2addr_b64 v[108:111], v112 offset0:46 offset1:47
	v_pk_add_f32 v[98:99], v[98:99], v[124:125] neg_lo:[0,1] neg_hi:[0,1]
	v_pk_add_f32 v[96:97], v[96:97], v[122:123] neg_lo:[0,1] neg_hi:[0,1]
	s_wait_dscnt 0x0
	v_pk_mul_f32 v[122:123], v[108:109], v[120:121] op_sel:[0,1]
	s_delay_alu instid0(VALU_DEP_1) | instskip(SKIP_2) | instid1(VALU_DEP_2)
	v_pk_fma_f32 v[124:125], v[108:109], v[118:119], v[122:123] op_sel:[0,0,1] op_sel_hi:[1,1,0] neg_lo:[0,0,1] neg_hi:[0,0,1]
	v_pk_fma_f32 v[108:109], v[108:109], v[118:119], v[122:123] op_sel:[0,0,1] op_sel_hi:[1,0,0]
	v_dual_mul_f32 v122, v111, v121 :: v_dual_mov_b32 v108, v111
	v_dual_mov_b32 v125, v109 :: v_dual_mov_b32 v109, v110
	s_delay_alu instid0(VALU_DEP_2) | instskip(SKIP_1) | instid1(VALU_DEP_3)
	v_pk_fma_f32 v[122:123], v[110:111], v[74:75], v[122:123] op_sel_hi:[1,1,0] neg_lo:[0,0,1] neg_hi:[0,0,1]
	v_mul_f32_e32 v110, v111, v118
	v_pk_add_f32 v[80:81], v[80:81], v[124:125] neg_lo:[0,1] neg_hi:[0,1]
	s_delay_alu instid0(VALU_DEP_2) | instskip(NEXT) | instid1(VALU_DEP_1)
	v_pk_fma_f32 v[108:109], v[108:109], v[74:75], v[110:111] op_sel_hi:[1,1,0]
	v_mov_b32_e32 v123, v109
	ds_load_2addr_b64 v[108:111], v112 offset0:48 offset1:49
	v_pk_add_f32 v[78:79], v[78:79], v[122:123] neg_lo:[0,1] neg_hi:[0,1]
	s_wait_dscnt 0x0
	v_pk_mul_f32 v[122:123], v[108:109], v[120:121] op_sel:[0,1]
	s_delay_alu instid0(VALU_DEP_1) | instskip(SKIP_1) | instid1(VALU_DEP_1)
	v_pk_fma_f32 v[124:125], v[108:109], v[118:119], v[122:123] op_sel:[0,0,1] op_sel_hi:[1,1,0] neg_lo:[0,0,1] neg_hi:[0,0,1]
	v_pk_fma_f32 v[108:109], v[108:109], v[118:119], v[122:123] op_sel:[0,0,1] op_sel_hi:[1,0,0]
	v_mov_b32_e32 v125, v109
	v_pk_mul_f32 v[108:109], v[110:111], v[120:121] op_sel:[0,1]
	s_delay_alu instid0(VALU_DEP_1) | instskip(SKIP_1) | instid1(VALU_DEP_1)
	v_pk_fma_f32 v[122:123], v[110:111], v[118:119], v[108:109] op_sel:[0,0,1] op_sel_hi:[1,1,0] neg_lo:[0,0,1] neg_hi:[0,0,1]
	v_pk_fma_f32 v[108:109], v[110:111], v[118:119], v[108:109] op_sel:[0,0,1] op_sel_hi:[1,0,0]
	v_mov_b32_e32 v123, v109
	ds_load_b64 v[108:109], v112 offset:400
	v_pk_add_f32 v[88:89], v[88:89], v[124:125] neg_lo:[0,1] neg_hi:[0,1]
	v_pk_add_f32 v[86:87], v[86:87], v[122:123] neg_lo:[0,1] neg_hi:[0,1]
	s_wait_dscnt 0x0
	v_pk_mul_f32 v[110:111], v[108:109], v[120:121] op_sel:[0,1]
	s_delay_alu instid0(VALU_DEP_1) | instskip(SKIP_1) | instid1(VALU_DEP_1)
	v_pk_fma_f32 v[120:121], v[108:109], v[118:119], v[110:111] op_sel:[0,0,1] op_sel_hi:[1,1,0] neg_lo:[0,0,1] neg_hi:[0,0,1]
	v_pk_fma_f32 v[108:109], v[108:109], v[118:119], v[110:111] op_sel:[0,0,1] op_sel_hi:[1,0,0]
	v_mov_b32_e32 v121, v109
	s_delay_alu instid0(VALU_DEP_1)
	v_pk_add_f32 v[106:107], v[106:107], v[120:121] neg_lo:[0,1] neg_hi:[0,1]
.LBB100_923:
	s_or_b32 exec_lo, exec_lo, s0
	v_lshl_add_u32 v108, v116, 3, v112
	s_barrier_signal -1
	s_barrier_wait -1
	ds_store_b64 v108, v[98:99]
	s_wait_dscnt 0x0
	s_barrier_signal -1
	s_barrier_wait -1
	ds_load_b64 v[108:109], v112 offset:352
	v_mov_b32_e32 v110, 44
	s_cmp_lt_i32 s18, 46
	s_cbranch_scc1 .LBB100_926
; %bb.924:
	v_add3_u32 v111, v113, 0, 0x168
	v_mov_b32_e32 v110, 44
	s_mov_b32 s0, 45
.LBB100_925:                            ; =>This Inner Loop Header: Depth=1
	ds_load_b64 v[118:119], v111
	s_wait_dscnt 0x1
	v_cmp_gt_f32_e32 vcc_lo, 0, v108
	v_cndmask_b32_e64 v120, v108, -v108, vcc_lo
	v_cmp_gt_f32_e32 vcc_lo, 0, v109
	v_cndmask_b32_e64 v122, v109, -v109, vcc_lo
	s_wait_dscnt 0x0
	v_cmp_gt_f32_e32 vcc_lo, 0, v118
	v_cndmask_b32_e64 v121, v118, -v118, vcc_lo
	v_cmp_gt_f32_e32 vcc_lo, 0, v119
	v_cndmask_b32_e64 v123, v119, -v119, vcc_lo
	s_delay_alu instid0(VALU_DEP_1) | instskip(NEXT) | instid1(VALU_DEP_1)
	v_pk_add_f32 v[120:121], v[120:121], v[122:123]
	v_cmp_lt_f32_e32 vcc_lo, v120, v121
	v_dual_cndmask_b32 v108, v108, v118 :: v_dual_add_nc_u32 v111, 8, v111
	v_cndmask_b32_e32 v109, v109, v119, vcc_lo
	v_cndmask_b32_e64 v110, v110, s0, vcc_lo
	s_add_co_i32 s0, s0, 1
	s_delay_alu instid0(SALU_CYCLE_1)
	s_cmp_lg_u32 s18, s0
	s_cbranch_scc1 .LBB100_925
.LBB100_926:
	s_wait_dscnt 0x0
	v_cmp_eq_f32_e32 vcc_lo, 0, v108
	v_cmp_eq_f32_e64 s0, 0, v109
	s_and_b32 s0, vcc_lo, s0
	s_delay_alu instid0(SALU_CYCLE_1) | instskip(NEXT) | instid1(SALU_CYCLE_1)
	s_and_saveexec_b32 s1, s0
	s_xor_b32 s0, exec_lo, s1
; %bb.927:
	v_cmp_ne_u32_e32 vcc_lo, 0, v114
	v_cndmask_b32_e32 v114, 45, v114, vcc_lo
; %bb.928:
	s_and_not1_saveexec_b32 s0, s0
	s_cbranch_execz .LBB100_934
; %bb.929:
	v_cmp_ngt_f32_e64 s1, |v108|, |v109|
	s_and_saveexec_b32 s12, s1
	s_delay_alu instid0(SALU_CYCLE_1)
	s_xor_b32 s1, exec_lo, s12
	s_cbranch_execz .LBB100_931
; %bb.930:
	v_div_scale_f32 v111, null, v109, v109, v108
	v_div_scale_f32 v119, vcc_lo, v108, v109, v108
	s_delay_alu instid0(VALU_DEP_2) | instskip(SKIP_1) | instid1(TRANS32_DEP_1)
	v_rcp_f32_e32 v117, v111
	v_nop
	v_fma_f32 v118, -v111, v117, 1.0
	s_delay_alu instid0(VALU_DEP_1) | instskip(NEXT) | instid1(VALU_DEP_1)
	v_fmac_f32_e32 v117, v118, v117
	v_mul_f32_e32 v118, v119, v117
	s_delay_alu instid0(VALU_DEP_1) | instskip(NEXT) | instid1(VALU_DEP_1)
	v_fma_f32 v120, -v111, v118, v119
	v_fmac_f32_e32 v118, v120, v117
	s_delay_alu instid0(VALU_DEP_1) | instskip(NEXT) | instid1(VALU_DEP_1)
	v_fma_f32 v111, -v111, v118, v119
	v_div_fmas_f32 v111, v111, v117, v118
	s_delay_alu instid0(VALU_DEP_1) | instskip(NEXT) | instid1(VALU_DEP_1)
	v_div_fixup_f32 v111, v111, v109, v108
	v_fmac_f32_e32 v109, v108, v111
	s_delay_alu instid0(VALU_DEP_1) | instskip(SKIP_1) | instid1(VALU_DEP_2)
	v_div_scale_f32 v108, null, v109, v109, 1.0
	v_div_scale_f32 v119, vcc_lo, 1.0, v109, 1.0
	v_rcp_f32_e32 v117, v108
	v_nop
	s_delay_alu instid0(TRANS32_DEP_1) | instskip(NEXT) | instid1(VALU_DEP_1)
	v_fma_f32 v118, -v108, v117, 1.0
	v_fmac_f32_e32 v117, v118, v117
	s_delay_alu instid0(VALU_DEP_1) | instskip(NEXT) | instid1(VALU_DEP_1)
	v_mul_f32_e32 v118, v119, v117
	v_fma_f32 v120, -v108, v118, v119
	s_delay_alu instid0(VALU_DEP_1) | instskip(NEXT) | instid1(VALU_DEP_1)
	v_fmac_f32_e32 v118, v120, v117
	v_fma_f32 v108, -v108, v118, v119
	s_delay_alu instid0(VALU_DEP_1) | instskip(NEXT) | instid1(VALU_DEP_1)
	v_div_fmas_f32 v108, v108, v117, v118
	v_div_fixup_f32 v109, v108, v109, 1.0
	s_delay_alu instid0(VALU_DEP_1)
	v_mul_f32_e32 v108, v111, v109
	v_xor_b32_e32 v109, 0x80000000, v109
.LBB100_931:
	s_and_not1_saveexec_b32 s1, s1
	s_cbranch_execz .LBB100_933
; %bb.932:
	s_delay_alu instid0(VALU_DEP_1) | instskip(SKIP_1) | instid1(VALU_DEP_2)
	v_div_scale_f32 v111, null, v108, v108, v109
	v_div_scale_f32 v119, vcc_lo, v109, v108, v109
	v_rcp_f32_e32 v117, v111
	v_nop
	s_delay_alu instid0(TRANS32_DEP_1) | instskip(NEXT) | instid1(VALU_DEP_1)
	v_fma_f32 v118, -v111, v117, 1.0
	v_fmac_f32_e32 v117, v118, v117
	s_delay_alu instid0(VALU_DEP_1) | instskip(NEXT) | instid1(VALU_DEP_1)
	v_mul_f32_e32 v118, v119, v117
	v_fma_f32 v120, -v111, v118, v119
	s_delay_alu instid0(VALU_DEP_1) | instskip(NEXT) | instid1(VALU_DEP_1)
	v_fmac_f32_e32 v118, v120, v117
	v_fma_f32 v111, -v111, v118, v119
	s_delay_alu instid0(VALU_DEP_1) | instskip(NEXT) | instid1(VALU_DEP_1)
	v_div_fmas_f32 v111, v111, v117, v118
	v_div_fixup_f32 v111, v111, v108, v109
	s_delay_alu instid0(VALU_DEP_1) | instskip(NEXT) | instid1(VALU_DEP_1)
	v_fmac_f32_e32 v108, v109, v111
	v_div_scale_f32 v109, null, v108, v108, 1.0
	s_delay_alu instid0(VALU_DEP_1) | instskip(SKIP_1) | instid1(TRANS32_DEP_1)
	v_rcp_f32_e32 v117, v109
	v_nop
	v_fma_f32 v118, -v109, v117, 1.0
	s_delay_alu instid0(VALU_DEP_1) | instskip(SKIP_1) | instid1(VALU_DEP_1)
	v_fmac_f32_e32 v117, v118, v117
	v_div_scale_f32 v118, vcc_lo, 1.0, v108, 1.0
	v_mul_f32_e32 v119, v118, v117
	s_delay_alu instid0(VALU_DEP_1) | instskip(NEXT) | instid1(VALU_DEP_1)
	v_fma_f32 v120, -v109, v119, v118
	v_fmac_f32_e32 v119, v120, v117
	s_delay_alu instid0(VALU_DEP_1) | instskip(NEXT) | instid1(VALU_DEP_1)
	v_fma_f32 v109, -v109, v119, v118
	v_div_fmas_f32 v109, v109, v117, v119
	s_delay_alu instid0(VALU_DEP_1) | instskip(NEXT) | instid1(VALU_DEP_1)
	v_div_fixup_f32 v108, v109, v108, 1.0
	v_mul_f32_e64 v109, v111, -v108
.LBB100_933:
	s_or_b32 exec_lo, exec_lo, s1
.LBB100_934:
	s_delay_alu instid0(SALU_CYCLE_1) | instskip(NEXT) | instid1(SALU_CYCLE_1)
	s_or_b32 exec_lo, exec_lo, s0
	s_mov_b32 s0, exec_lo
	v_cmpx_ne_u32_e64 v116, v110
	s_xor_b32 s0, exec_lo, s0
	s_cbranch_execz .LBB100_940
; %bb.935:
	s_mov_b32 s1, exec_lo
	v_cmpx_eq_u32_e32 44, v116
	s_cbranch_execz .LBB100_939
; %bb.936:
	v_cmp_ne_u32_e32 vcc_lo, 44, v110
	s_xor_b32 s12, s16, -1
	s_delay_alu instid0(SALU_CYCLE_1) | instskip(NEXT) | instid1(SALU_CYCLE_1)
	s_and_b32 s13, s12, vcc_lo
	s_and_saveexec_b32 s12, s13
	s_cbranch_execz .LBB100_938
; %bb.937:
	v_ashrrev_i32_e32 v111, 31, v110
	s_delay_alu instid0(VALU_DEP_1)
	v_lshl_add_u64 v[116:117], v[110:111], 2, v[4:5]
	s_clause 0x1
	global_load_b32 v111, v[116:117], off
	global_load_b32 v115, v[4:5], off offset:176
	s_wait_loadcnt 0x1
	global_store_b32 v[4:5], v111, off offset:176
	s_wait_loadcnt 0x0
	global_store_b32 v[116:117], v115, off
.LBB100_938:
	s_wait_xcnt 0x0
	s_or_b32 exec_lo, exec_lo, s12
	v_dual_mov_b32 v116, v110 :: v_dual_mov_b32 v115, v110
.LBB100_939:
	s_or_b32 exec_lo, exec_lo, s1
.LBB100_940:
	s_and_not1_saveexec_b32 s0, s0
	s_cbranch_execz .LBB100_942
; %bb.941:
	v_mov_b32_e32 v116, 44
	ds_store_2addr_b64 v112, v[96:97], v[80:81] offset0:45 offset1:46
	ds_store_2addr_b64 v112, v[78:79], v[88:89] offset0:47 offset1:48
	;; [unrolled: 1-line block ×3, first 2 shown]
.LBB100_942:
	s_or_b32 exec_lo, exec_lo, s0
	s_delay_alu instid0(SALU_CYCLE_1)
	s_mov_b32 s0, exec_lo
	s_wait_storecnt_dscnt 0x0
	s_barrier_signal -1
	s_barrier_wait -1
	v_cmpx_lt_i32_e32 44, v116
	s_cbranch_execz .LBB100_944
; %bb.943:
	v_pk_mul_f32 v[110:111], v[108:109], v[98:99] op_sel:[1,1] op_sel_hi:[0,1]
	s_delay_alu instid0(VALU_DEP_1)
	v_pk_fma_f32 v[118:119], v[108:109], v[98:99], v[110:111] op_sel_hi:[1,0,1] neg_lo:[0,0,1] neg_hi:[0,0,1]
	v_pk_fma_f32 v[120:121], v[108:109], v[98:99], v[110:111] op_sel_hi:[1,0,1]
	ds_load_2addr_b64 v[108:111], v112 offset0:45 offset1:46
	v_dual_mov_b32 v98, v118 :: v_dual_mov_b32 v99, v121
	s_wait_dscnt 0x0
	v_pk_mul_f32 v[122:123], v[108:109], v[120:121] op_sel:[0,1]
	s_delay_alu instid0(VALU_DEP_1) | instskip(SKIP_1) | instid1(VALU_DEP_1)
	v_pk_fma_f32 v[124:125], v[108:109], v[118:119], v[122:123] op_sel:[0,0,1] op_sel_hi:[1,1,0] neg_lo:[0,0,1] neg_hi:[0,0,1]
	v_pk_fma_f32 v[108:109], v[108:109], v[118:119], v[122:123] op_sel:[0,0,1] op_sel_hi:[1,0,0]
	v_mov_b32_e32 v125, v109
	v_pk_mul_f32 v[108:109], v[110:111], v[120:121] op_sel:[0,1]
	s_delay_alu instid0(VALU_DEP_1) | instskip(SKIP_1) | instid1(VALU_DEP_1)
	v_pk_fma_f32 v[122:123], v[110:111], v[118:119], v[108:109] op_sel:[0,0,1] op_sel_hi:[1,1,0] neg_lo:[0,0,1] neg_hi:[0,0,1]
	v_pk_fma_f32 v[108:109], v[110:111], v[118:119], v[108:109] op_sel:[0,0,1] op_sel_hi:[1,0,0]
	v_mov_b32_e32 v123, v109
	ds_load_2addr_b64 v[108:111], v112 offset0:47 offset1:48
	v_pk_add_f32 v[96:97], v[96:97], v[124:125] neg_lo:[0,1] neg_hi:[0,1]
	v_pk_add_f32 v[80:81], v[80:81], v[122:123] neg_lo:[0,1] neg_hi:[0,1]
	s_wait_dscnt 0x0
	v_pk_mul_f32 v[122:123], v[108:109], v[120:121] op_sel:[0,1]
	s_delay_alu instid0(VALU_DEP_1) | instskip(SKIP_2) | instid1(VALU_DEP_2)
	v_pk_fma_f32 v[124:125], v[108:109], v[118:119], v[122:123] op_sel:[0,0,1] op_sel_hi:[1,1,0] neg_lo:[0,0,1] neg_hi:[0,0,1]
	v_pk_fma_f32 v[108:109], v[108:109], v[118:119], v[122:123] op_sel:[0,0,1] op_sel_hi:[1,0,0]
	v_dual_mul_f32 v122, v111, v121 :: v_dual_mov_b32 v108, v111
	v_dual_mov_b32 v125, v109 :: v_dual_mov_b32 v109, v110
	s_delay_alu instid0(VALU_DEP_2) | instskip(SKIP_1) | instid1(VALU_DEP_3)
	v_pk_fma_f32 v[122:123], v[110:111], v[98:99], v[122:123] op_sel_hi:[1,1,0] neg_lo:[0,0,1] neg_hi:[0,0,1]
	v_mul_f32_e32 v110, v111, v118
	v_pk_add_f32 v[78:79], v[78:79], v[124:125] neg_lo:[0,1] neg_hi:[0,1]
	s_delay_alu instid0(VALU_DEP_2) | instskip(NEXT) | instid1(VALU_DEP_1)
	v_pk_fma_f32 v[108:109], v[108:109], v[98:99], v[110:111] op_sel_hi:[1,1,0]
	v_mov_b32_e32 v123, v109
	ds_load_2addr_b64 v[108:111], v112 offset0:49 offset1:50
	v_pk_add_f32 v[88:89], v[88:89], v[122:123] neg_lo:[0,1] neg_hi:[0,1]
	s_wait_dscnt 0x0
	v_pk_mul_f32 v[122:123], v[108:109], v[120:121] op_sel:[0,1]
	v_mul_f32_e32 v120, v111, v121
	s_delay_alu instid0(VALU_DEP_2) | instskip(SKIP_2) | instid1(VALU_DEP_4)
	v_pk_fma_f32 v[124:125], v[108:109], v[118:119], v[122:123] op_sel:[0,0,1] op_sel_hi:[1,1,0] neg_lo:[0,0,1] neg_hi:[0,0,1]
	v_pk_fma_f32 v[108:109], v[108:109], v[118:119], v[122:123] op_sel:[0,0,1] op_sel_hi:[1,0,0]
	v_mov_b32_e32 v108, v111
	v_pk_fma_f32 v[120:121], v[110:111], v[98:99], v[120:121] op_sel_hi:[1,1,0] neg_lo:[0,0,1] neg_hi:[0,0,1]
	s_delay_alu instid0(VALU_DEP_3) | instskip(SKIP_1) | instid1(VALU_DEP_2)
	v_dual_mov_b32 v125, v109 :: v_dual_mov_b32 v109, v110
	v_mul_f32_e32 v110, v111, v118
	v_pk_add_f32 v[86:87], v[86:87], v[124:125] neg_lo:[0,1] neg_hi:[0,1]
	s_delay_alu instid0(VALU_DEP_2) | instskip(NEXT) | instid1(VALU_DEP_1)
	v_pk_fma_f32 v[108:109], v[108:109], v[98:99], v[110:111] op_sel_hi:[1,1,0]
	v_mov_b32_e32 v121, v109
	s_delay_alu instid0(VALU_DEP_1)
	v_pk_add_f32 v[106:107], v[106:107], v[120:121] neg_lo:[0,1] neg_hi:[0,1]
.LBB100_944:
	s_or_b32 exec_lo, exec_lo, s0
	v_lshl_add_u32 v108, v116, 3, v112
	s_barrier_signal -1
	s_barrier_wait -1
	ds_store_b64 v108, v[96:97]
	s_wait_dscnt 0x0
	s_barrier_signal -1
	s_barrier_wait -1
	ds_load_b64 v[108:109], v112 offset:360
	v_mov_b32_e32 v110, 45
	s_cmp_lt_i32 s18, 47
	s_cbranch_scc1 .LBB100_947
; %bb.945:
	v_add3_u32 v111, v113, 0, 0x170
	v_mov_b32_e32 v110, 45
	s_mov_b32 s0, 46
.LBB100_946:                            ; =>This Inner Loop Header: Depth=1
	ds_load_b64 v[118:119], v111
	s_wait_dscnt 0x1
	v_cmp_gt_f32_e32 vcc_lo, 0, v108
	v_cndmask_b32_e64 v120, v108, -v108, vcc_lo
	v_cmp_gt_f32_e32 vcc_lo, 0, v109
	v_cndmask_b32_e64 v122, v109, -v109, vcc_lo
	s_wait_dscnt 0x0
	v_cmp_gt_f32_e32 vcc_lo, 0, v118
	v_cndmask_b32_e64 v121, v118, -v118, vcc_lo
	v_cmp_gt_f32_e32 vcc_lo, 0, v119
	v_cndmask_b32_e64 v123, v119, -v119, vcc_lo
	s_delay_alu instid0(VALU_DEP_1) | instskip(NEXT) | instid1(VALU_DEP_1)
	v_pk_add_f32 v[120:121], v[120:121], v[122:123]
	v_cmp_lt_f32_e32 vcc_lo, v120, v121
	v_dual_cndmask_b32 v108, v108, v118 :: v_dual_add_nc_u32 v111, 8, v111
	v_cndmask_b32_e32 v109, v109, v119, vcc_lo
	v_cndmask_b32_e64 v110, v110, s0, vcc_lo
	s_add_co_i32 s0, s0, 1
	s_delay_alu instid0(SALU_CYCLE_1)
	s_cmp_lg_u32 s18, s0
	s_cbranch_scc1 .LBB100_946
.LBB100_947:
	s_wait_dscnt 0x0
	v_cmp_eq_f32_e32 vcc_lo, 0, v108
	v_cmp_eq_f32_e64 s0, 0, v109
	s_and_b32 s0, vcc_lo, s0
	s_delay_alu instid0(SALU_CYCLE_1) | instskip(NEXT) | instid1(SALU_CYCLE_1)
	s_and_saveexec_b32 s1, s0
	s_xor_b32 s0, exec_lo, s1
; %bb.948:
	v_cmp_ne_u32_e32 vcc_lo, 0, v114
	v_cndmask_b32_e32 v114, 46, v114, vcc_lo
; %bb.949:
	s_and_not1_saveexec_b32 s0, s0
	s_cbranch_execz .LBB100_955
; %bb.950:
	v_cmp_ngt_f32_e64 s1, |v108|, |v109|
	s_and_saveexec_b32 s12, s1
	s_delay_alu instid0(SALU_CYCLE_1)
	s_xor_b32 s1, exec_lo, s12
	s_cbranch_execz .LBB100_952
; %bb.951:
	v_div_scale_f32 v111, null, v109, v109, v108
	v_div_scale_f32 v119, vcc_lo, v108, v109, v108
	s_delay_alu instid0(VALU_DEP_2) | instskip(SKIP_1) | instid1(TRANS32_DEP_1)
	v_rcp_f32_e32 v117, v111
	v_nop
	v_fma_f32 v118, -v111, v117, 1.0
	s_delay_alu instid0(VALU_DEP_1) | instskip(NEXT) | instid1(VALU_DEP_1)
	v_fmac_f32_e32 v117, v118, v117
	v_mul_f32_e32 v118, v119, v117
	s_delay_alu instid0(VALU_DEP_1) | instskip(NEXT) | instid1(VALU_DEP_1)
	v_fma_f32 v120, -v111, v118, v119
	v_fmac_f32_e32 v118, v120, v117
	s_delay_alu instid0(VALU_DEP_1) | instskip(NEXT) | instid1(VALU_DEP_1)
	v_fma_f32 v111, -v111, v118, v119
	v_div_fmas_f32 v111, v111, v117, v118
	s_delay_alu instid0(VALU_DEP_1) | instskip(NEXT) | instid1(VALU_DEP_1)
	v_div_fixup_f32 v111, v111, v109, v108
	v_fmac_f32_e32 v109, v108, v111
	s_delay_alu instid0(VALU_DEP_1) | instskip(SKIP_1) | instid1(VALU_DEP_2)
	v_div_scale_f32 v108, null, v109, v109, 1.0
	v_div_scale_f32 v119, vcc_lo, 1.0, v109, 1.0
	v_rcp_f32_e32 v117, v108
	v_nop
	s_delay_alu instid0(TRANS32_DEP_1) | instskip(NEXT) | instid1(VALU_DEP_1)
	v_fma_f32 v118, -v108, v117, 1.0
	v_fmac_f32_e32 v117, v118, v117
	s_delay_alu instid0(VALU_DEP_1) | instskip(NEXT) | instid1(VALU_DEP_1)
	v_mul_f32_e32 v118, v119, v117
	v_fma_f32 v120, -v108, v118, v119
	s_delay_alu instid0(VALU_DEP_1) | instskip(NEXT) | instid1(VALU_DEP_1)
	v_fmac_f32_e32 v118, v120, v117
	v_fma_f32 v108, -v108, v118, v119
	s_delay_alu instid0(VALU_DEP_1) | instskip(NEXT) | instid1(VALU_DEP_1)
	v_div_fmas_f32 v108, v108, v117, v118
	v_div_fixup_f32 v109, v108, v109, 1.0
	s_delay_alu instid0(VALU_DEP_1)
	v_mul_f32_e32 v108, v111, v109
	v_xor_b32_e32 v109, 0x80000000, v109
.LBB100_952:
	s_and_not1_saveexec_b32 s1, s1
	s_cbranch_execz .LBB100_954
; %bb.953:
	s_delay_alu instid0(VALU_DEP_1) | instskip(SKIP_1) | instid1(VALU_DEP_2)
	v_div_scale_f32 v111, null, v108, v108, v109
	v_div_scale_f32 v119, vcc_lo, v109, v108, v109
	v_rcp_f32_e32 v117, v111
	v_nop
	s_delay_alu instid0(TRANS32_DEP_1) | instskip(NEXT) | instid1(VALU_DEP_1)
	v_fma_f32 v118, -v111, v117, 1.0
	v_fmac_f32_e32 v117, v118, v117
	s_delay_alu instid0(VALU_DEP_1) | instskip(NEXT) | instid1(VALU_DEP_1)
	v_mul_f32_e32 v118, v119, v117
	v_fma_f32 v120, -v111, v118, v119
	s_delay_alu instid0(VALU_DEP_1) | instskip(NEXT) | instid1(VALU_DEP_1)
	v_fmac_f32_e32 v118, v120, v117
	v_fma_f32 v111, -v111, v118, v119
	s_delay_alu instid0(VALU_DEP_1) | instskip(NEXT) | instid1(VALU_DEP_1)
	v_div_fmas_f32 v111, v111, v117, v118
	v_div_fixup_f32 v111, v111, v108, v109
	s_delay_alu instid0(VALU_DEP_1) | instskip(NEXT) | instid1(VALU_DEP_1)
	v_fmac_f32_e32 v108, v109, v111
	v_div_scale_f32 v109, null, v108, v108, 1.0
	s_delay_alu instid0(VALU_DEP_1) | instskip(SKIP_1) | instid1(TRANS32_DEP_1)
	v_rcp_f32_e32 v117, v109
	v_nop
	v_fma_f32 v118, -v109, v117, 1.0
	s_delay_alu instid0(VALU_DEP_1) | instskip(SKIP_1) | instid1(VALU_DEP_1)
	v_fmac_f32_e32 v117, v118, v117
	v_div_scale_f32 v118, vcc_lo, 1.0, v108, 1.0
	v_mul_f32_e32 v119, v118, v117
	s_delay_alu instid0(VALU_DEP_1) | instskip(NEXT) | instid1(VALU_DEP_1)
	v_fma_f32 v120, -v109, v119, v118
	v_fmac_f32_e32 v119, v120, v117
	s_delay_alu instid0(VALU_DEP_1) | instskip(NEXT) | instid1(VALU_DEP_1)
	v_fma_f32 v109, -v109, v119, v118
	v_div_fmas_f32 v109, v109, v117, v119
	s_delay_alu instid0(VALU_DEP_1) | instskip(NEXT) | instid1(VALU_DEP_1)
	v_div_fixup_f32 v108, v109, v108, 1.0
	v_mul_f32_e64 v109, v111, -v108
.LBB100_954:
	s_or_b32 exec_lo, exec_lo, s1
.LBB100_955:
	s_delay_alu instid0(SALU_CYCLE_1) | instskip(NEXT) | instid1(SALU_CYCLE_1)
	s_or_b32 exec_lo, exec_lo, s0
	s_mov_b32 s0, exec_lo
	v_cmpx_ne_u32_e64 v116, v110
	s_xor_b32 s0, exec_lo, s0
	s_cbranch_execz .LBB100_961
; %bb.956:
	s_mov_b32 s1, exec_lo
	v_cmpx_eq_u32_e32 45, v116
	s_cbranch_execz .LBB100_960
; %bb.957:
	v_cmp_ne_u32_e32 vcc_lo, 45, v110
	s_xor_b32 s12, s16, -1
	s_delay_alu instid0(SALU_CYCLE_1) | instskip(NEXT) | instid1(SALU_CYCLE_1)
	s_and_b32 s13, s12, vcc_lo
	s_and_saveexec_b32 s12, s13
	s_cbranch_execz .LBB100_959
; %bb.958:
	v_ashrrev_i32_e32 v111, 31, v110
	s_delay_alu instid0(VALU_DEP_1)
	v_lshl_add_u64 v[116:117], v[110:111], 2, v[4:5]
	s_clause 0x1
	global_load_b32 v111, v[116:117], off
	global_load_b32 v115, v[4:5], off offset:180
	s_wait_loadcnt 0x1
	global_store_b32 v[4:5], v111, off offset:180
	s_wait_loadcnt 0x0
	global_store_b32 v[116:117], v115, off
.LBB100_959:
	s_wait_xcnt 0x0
	s_or_b32 exec_lo, exec_lo, s12
	v_dual_mov_b32 v116, v110 :: v_dual_mov_b32 v115, v110
.LBB100_960:
	s_or_b32 exec_lo, exec_lo, s1
.LBB100_961:
	s_and_not1_saveexec_b32 s0, s0
	s_cbranch_execz .LBB100_963
; %bb.962:
	v_dual_mov_b32 v110, v80 :: v_dual_mov_b32 v111, v81
	v_dual_mov_b32 v118, v78 :: v_dual_mov_b32 v119, v79
	;; [unrolled: 1-line block ×4, first 2 shown]
	v_mov_b32_e32 v123, v87
	ds_store_2addr_b64 v112, v[110:111], v[118:119] offset0:46 offset1:47
	ds_store_2addr_b64 v112, v[120:121], v[122:123] offset0:48 offset1:49
	ds_store_b64 v112, v[106:107] offset:400
.LBB100_963:
	s_or_b32 exec_lo, exec_lo, s0
	s_delay_alu instid0(SALU_CYCLE_1)
	s_mov_b32 s0, exec_lo
	s_wait_storecnt_dscnt 0x0
	s_barrier_signal -1
	s_barrier_wait -1
	v_cmpx_lt_i32_e32 45, v116
	s_cbranch_execz .LBB100_965
; %bb.964:
	v_pk_mul_f32 v[110:111], v[108:109], v[96:97] op_sel:[1,1] op_sel_hi:[0,1]
	s_delay_alu instid0(VALU_DEP_1)
	v_pk_fma_f32 v[118:119], v[108:109], v[96:97], v[110:111] op_sel_hi:[1,0,1] neg_lo:[0,0,1] neg_hi:[0,0,1]
	v_pk_fma_f32 v[120:121], v[108:109], v[96:97], v[110:111] op_sel_hi:[1,0,1]
	ds_load_2addr_b64 v[108:111], v112 offset0:46 offset1:47
	v_dual_mov_b32 v96, v118 :: v_dual_mov_b32 v97, v121
	s_wait_dscnt 0x0
	v_pk_mul_f32 v[122:123], v[108:109], v[120:121] op_sel:[0,1]
	s_delay_alu instid0(VALU_DEP_1) | instskip(SKIP_1) | instid1(VALU_DEP_1)
	v_pk_fma_f32 v[124:125], v[108:109], v[118:119], v[122:123] op_sel:[0,0,1] op_sel_hi:[1,1,0] neg_lo:[0,0,1] neg_hi:[0,0,1]
	v_pk_fma_f32 v[108:109], v[108:109], v[118:119], v[122:123] op_sel:[0,0,1] op_sel_hi:[1,0,0]
	v_mov_b32_e32 v125, v109
	v_pk_mul_f32 v[108:109], v[110:111], v[120:121] op_sel:[0,1]
	s_delay_alu instid0(VALU_DEP_1) | instskip(SKIP_1) | instid1(VALU_DEP_1)
	v_pk_fma_f32 v[122:123], v[110:111], v[118:119], v[108:109] op_sel:[0,0,1] op_sel_hi:[1,1,0] neg_lo:[0,0,1] neg_hi:[0,0,1]
	v_pk_fma_f32 v[108:109], v[110:111], v[118:119], v[108:109] op_sel:[0,0,1] op_sel_hi:[1,0,0]
	v_mov_b32_e32 v123, v109
	ds_load_2addr_b64 v[108:111], v112 offset0:48 offset1:49
	v_pk_add_f32 v[80:81], v[80:81], v[124:125] neg_lo:[0,1] neg_hi:[0,1]
	v_pk_add_f32 v[78:79], v[78:79], v[122:123] neg_lo:[0,1] neg_hi:[0,1]
	s_wait_dscnt 0x0
	v_pk_mul_f32 v[122:123], v[108:109], v[120:121] op_sel:[0,1]
	s_delay_alu instid0(VALU_DEP_1) | instskip(SKIP_2) | instid1(VALU_DEP_2)
	v_pk_fma_f32 v[124:125], v[108:109], v[118:119], v[122:123] op_sel:[0,0,1] op_sel_hi:[1,1,0] neg_lo:[0,0,1] neg_hi:[0,0,1]
	v_pk_fma_f32 v[108:109], v[108:109], v[118:119], v[122:123] op_sel:[0,0,1] op_sel_hi:[1,0,0]
	v_dual_mul_f32 v122, v111, v121 :: v_dual_mov_b32 v108, v111
	v_dual_mov_b32 v125, v109 :: v_dual_mov_b32 v109, v110
	s_delay_alu instid0(VALU_DEP_2) | instskip(SKIP_1) | instid1(VALU_DEP_3)
	v_pk_fma_f32 v[122:123], v[110:111], v[96:97], v[122:123] op_sel_hi:[1,1,0] neg_lo:[0,0,1] neg_hi:[0,0,1]
	v_mul_f32_e32 v110, v111, v118
	v_pk_add_f32 v[88:89], v[88:89], v[124:125] neg_lo:[0,1] neg_hi:[0,1]
	s_delay_alu instid0(VALU_DEP_2) | instskip(NEXT) | instid1(VALU_DEP_1)
	v_pk_fma_f32 v[108:109], v[108:109], v[96:97], v[110:111] op_sel_hi:[1,1,0]
	v_mov_b32_e32 v123, v109
	ds_load_b64 v[108:109], v112 offset:400
	v_pk_add_f32 v[86:87], v[86:87], v[122:123] neg_lo:[0,1] neg_hi:[0,1]
	s_wait_dscnt 0x0
	v_pk_mul_f32 v[110:111], v[108:109], v[120:121] op_sel:[0,1]
	s_delay_alu instid0(VALU_DEP_1) | instskip(SKIP_1) | instid1(VALU_DEP_1)
	v_pk_fma_f32 v[120:121], v[108:109], v[118:119], v[110:111] op_sel:[0,0,1] op_sel_hi:[1,1,0] neg_lo:[0,0,1] neg_hi:[0,0,1]
	v_pk_fma_f32 v[108:109], v[108:109], v[118:119], v[110:111] op_sel:[0,0,1] op_sel_hi:[1,0,0]
	v_mov_b32_e32 v121, v109
	s_delay_alu instid0(VALU_DEP_1)
	v_pk_add_f32 v[106:107], v[106:107], v[120:121] neg_lo:[0,1] neg_hi:[0,1]
.LBB100_965:
	s_or_b32 exec_lo, exec_lo, s0
	v_lshl_add_u32 v108, v116, 3, v112
	s_barrier_signal -1
	s_barrier_wait -1
	ds_store_b64 v108, v[80:81]
	s_wait_dscnt 0x0
	s_barrier_signal -1
	s_barrier_wait -1
	ds_load_b64 v[108:109], v112 offset:368
	v_mov_b32_e32 v110, 46
	s_cmp_lt_i32 s18, 48
	s_cbranch_scc1 .LBB100_968
; %bb.966:
	v_add3_u32 v111, v113, 0, 0x178
	v_mov_b32_e32 v110, 46
	s_mov_b32 s0, 47
.LBB100_967:                            ; =>This Inner Loop Header: Depth=1
	ds_load_b64 v[118:119], v111
	s_wait_dscnt 0x1
	v_cmp_gt_f32_e32 vcc_lo, 0, v108
	v_cndmask_b32_e64 v120, v108, -v108, vcc_lo
	v_cmp_gt_f32_e32 vcc_lo, 0, v109
	v_cndmask_b32_e64 v122, v109, -v109, vcc_lo
	s_wait_dscnt 0x0
	v_cmp_gt_f32_e32 vcc_lo, 0, v118
	v_cndmask_b32_e64 v121, v118, -v118, vcc_lo
	v_cmp_gt_f32_e32 vcc_lo, 0, v119
	v_cndmask_b32_e64 v123, v119, -v119, vcc_lo
	s_delay_alu instid0(VALU_DEP_1) | instskip(NEXT) | instid1(VALU_DEP_1)
	v_pk_add_f32 v[120:121], v[120:121], v[122:123]
	v_cmp_lt_f32_e32 vcc_lo, v120, v121
	v_dual_cndmask_b32 v108, v108, v118 :: v_dual_add_nc_u32 v111, 8, v111
	v_cndmask_b32_e32 v109, v109, v119, vcc_lo
	v_cndmask_b32_e64 v110, v110, s0, vcc_lo
	s_add_co_i32 s0, s0, 1
	s_delay_alu instid0(SALU_CYCLE_1)
	s_cmp_lg_u32 s18, s0
	s_cbranch_scc1 .LBB100_967
.LBB100_968:
	s_wait_dscnt 0x0
	v_cmp_eq_f32_e32 vcc_lo, 0, v108
	v_cmp_eq_f32_e64 s0, 0, v109
	s_and_b32 s0, vcc_lo, s0
	s_delay_alu instid0(SALU_CYCLE_1) | instskip(NEXT) | instid1(SALU_CYCLE_1)
	s_and_saveexec_b32 s1, s0
	s_xor_b32 s0, exec_lo, s1
; %bb.969:
	v_cmp_ne_u32_e32 vcc_lo, 0, v114
	v_cndmask_b32_e32 v114, 47, v114, vcc_lo
; %bb.970:
	s_and_not1_saveexec_b32 s0, s0
	s_cbranch_execz .LBB100_976
; %bb.971:
	v_cmp_ngt_f32_e64 s1, |v108|, |v109|
	s_and_saveexec_b32 s12, s1
	s_delay_alu instid0(SALU_CYCLE_1)
	s_xor_b32 s1, exec_lo, s12
	s_cbranch_execz .LBB100_973
; %bb.972:
	v_div_scale_f32 v111, null, v109, v109, v108
	v_div_scale_f32 v119, vcc_lo, v108, v109, v108
	s_delay_alu instid0(VALU_DEP_2) | instskip(SKIP_1) | instid1(TRANS32_DEP_1)
	v_rcp_f32_e32 v117, v111
	v_nop
	v_fma_f32 v118, -v111, v117, 1.0
	s_delay_alu instid0(VALU_DEP_1) | instskip(NEXT) | instid1(VALU_DEP_1)
	v_fmac_f32_e32 v117, v118, v117
	v_mul_f32_e32 v118, v119, v117
	s_delay_alu instid0(VALU_DEP_1) | instskip(NEXT) | instid1(VALU_DEP_1)
	v_fma_f32 v120, -v111, v118, v119
	v_fmac_f32_e32 v118, v120, v117
	s_delay_alu instid0(VALU_DEP_1) | instskip(NEXT) | instid1(VALU_DEP_1)
	v_fma_f32 v111, -v111, v118, v119
	v_div_fmas_f32 v111, v111, v117, v118
	s_delay_alu instid0(VALU_DEP_1) | instskip(NEXT) | instid1(VALU_DEP_1)
	v_div_fixup_f32 v111, v111, v109, v108
	v_fmac_f32_e32 v109, v108, v111
	s_delay_alu instid0(VALU_DEP_1) | instskip(SKIP_1) | instid1(VALU_DEP_2)
	v_div_scale_f32 v108, null, v109, v109, 1.0
	v_div_scale_f32 v119, vcc_lo, 1.0, v109, 1.0
	v_rcp_f32_e32 v117, v108
	v_nop
	s_delay_alu instid0(TRANS32_DEP_1) | instskip(NEXT) | instid1(VALU_DEP_1)
	v_fma_f32 v118, -v108, v117, 1.0
	v_fmac_f32_e32 v117, v118, v117
	s_delay_alu instid0(VALU_DEP_1) | instskip(NEXT) | instid1(VALU_DEP_1)
	v_mul_f32_e32 v118, v119, v117
	v_fma_f32 v120, -v108, v118, v119
	s_delay_alu instid0(VALU_DEP_1) | instskip(NEXT) | instid1(VALU_DEP_1)
	v_fmac_f32_e32 v118, v120, v117
	v_fma_f32 v108, -v108, v118, v119
	s_delay_alu instid0(VALU_DEP_1) | instskip(NEXT) | instid1(VALU_DEP_1)
	v_div_fmas_f32 v108, v108, v117, v118
	v_div_fixup_f32 v109, v108, v109, 1.0
	s_delay_alu instid0(VALU_DEP_1)
	v_mul_f32_e32 v108, v111, v109
	v_xor_b32_e32 v109, 0x80000000, v109
.LBB100_973:
	s_and_not1_saveexec_b32 s1, s1
	s_cbranch_execz .LBB100_975
; %bb.974:
	s_delay_alu instid0(VALU_DEP_1) | instskip(SKIP_1) | instid1(VALU_DEP_2)
	v_div_scale_f32 v111, null, v108, v108, v109
	v_div_scale_f32 v119, vcc_lo, v109, v108, v109
	v_rcp_f32_e32 v117, v111
	v_nop
	s_delay_alu instid0(TRANS32_DEP_1) | instskip(NEXT) | instid1(VALU_DEP_1)
	v_fma_f32 v118, -v111, v117, 1.0
	v_fmac_f32_e32 v117, v118, v117
	s_delay_alu instid0(VALU_DEP_1) | instskip(NEXT) | instid1(VALU_DEP_1)
	v_mul_f32_e32 v118, v119, v117
	v_fma_f32 v120, -v111, v118, v119
	s_delay_alu instid0(VALU_DEP_1) | instskip(NEXT) | instid1(VALU_DEP_1)
	v_fmac_f32_e32 v118, v120, v117
	v_fma_f32 v111, -v111, v118, v119
	s_delay_alu instid0(VALU_DEP_1) | instskip(NEXT) | instid1(VALU_DEP_1)
	v_div_fmas_f32 v111, v111, v117, v118
	v_div_fixup_f32 v111, v111, v108, v109
	s_delay_alu instid0(VALU_DEP_1) | instskip(NEXT) | instid1(VALU_DEP_1)
	v_fmac_f32_e32 v108, v109, v111
	v_div_scale_f32 v109, null, v108, v108, 1.0
	s_delay_alu instid0(VALU_DEP_1) | instskip(SKIP_1) | instid1(TRANS32_DEP_1)
	v_rcp_f32_e32 v117, v109
	v_nop
	v_fma_f32 v118, -v109, v117, 1.0
	s_delay_alu instid0(VALU_DEP_1) | instskip(SKIP_1) | instid1(VALU_DEP_1)
	v_fmac_f32_e32 v117, v118, v117
	v_div_scale_f32 v118, vcc_lo, 1.0, v108, 1.0
	v_mul_f32_e32 v119, v118, v117
	s_delay_alu instid0(VALU_DEP_1) | instskip(NEXT) | instid1(VALU_DEP_1)
	v_fma_f32 v120, -v109, v119, v118
	v_fmac_f32_e32 v119, v120, v117
	s_delay_alu instid0(VALU_DEP_1) | instskip(NEXT) | instid1(VALU_DEP_1)
	v_fma_f32 v109, -v109, v119, v118
	v_div_fmas_f32 v109, v109, v117, v119
	s_delay_alu instid0(VALU_DEP_1) | instskip(NEXT) | instid1(VALU_DEP_1)
	v_div_fixup_f32 v108, v109, v108, 1.0
	v_mul_f32_e64 v109, v111, -v108
.LBB100_975:
	s_or_b32 exec_lo, exec_lo, s1
.LBB100_976:
	s_delay_alu instid0(SALU_CYCLE_1) | instskip(NEXT) | instid1(SALU_CYCLE_1)
	s_or_b32 exec_lo, exec_lo, s0
	s_mov_b32 s0, exec_lo
	v_cmpx_ne_u32_e64 v116, v110
	s_xor_b32 s0, exec_lo, s0
	s_cbranch_execz .LBB100_982
; %bb.977:
	s_mov_b32 s1, exec_lo
	v_cmpx_eq_u32_e32 46, v116
	s_cbranch_execz .LBB100_981
; %bb.978:
	v_cmp_ne_u32_e32 vcc_lo, 46, v110
	s_xor_b32 s12, s16, -1
	s_delay_alu instid0(SALU_CYCLE_1) | instskip(NEXT) | instid1(SALU_CYCLE_1)
	s_and_b32 s13, s12, vcc_lo
	s_and_saveexec_b32 s12, s13
	s_cbranch_execz .LBB100_980
; %bb.979:
	v_ashrrev_i32_e32 v111, 31, v110
	s_delay_alu instid0(VALU_DEP_1)
	v_lshl_add_u64 v[116:117], v[110:111], 2, v[4:5]
	s_clause 0x1
	global_load_b32 v111, v[116:117], off
	global_load_b32 v115, v[4:5], off offset:184
	s_wait_loadcnt 0x1
	global_store_b32 v[4:5], v111, off offset:184
	s_wait_loadcnt 0x0
	global_store_b32 v[116:117], v115, off
.LBB100_980:
	s_wait_xcnt 0x0
	s_or_b32 exec_lo, exec_lo, s12
	v_dual_mov_b32 v116, v110 :: v_dual_mov_b32 v115, v110
.LBB100_981:
	s_or_b32 exec_lo, exec_lo, s1
.LBB100_982:
	s_and_not1_saveexec_b32 s0, s0
	s_cbranch_execz .LBB100_984
; %bb.983:
	v_mov_b32_e32 v116, 46
	ds_store_2addr_b64 v112, v[78:79], v[88:89] offset0:47 offset1:48
	ds_store_2addr_b64 v112, v[86:87], v[106:107] offset0:49 offset1:50
.LBB100_984:
	s_or_b32 exec_lo, exec_lo, s0
	s_delay_alu instid0(SALU_CYCLE_1)
	s_mov_b32 s0, exec_lo
	s_wait_storecnt_dscnt 0x0
	s_barrier_signal -1
	s_barrier_wait -1
	v_cmpx_lt_i32_e32 46, v116
	s_cbranch_execz .LBB100_986
; %bb.985:
	v_pk_mul_f32 v[110:111], v[108:109], v[80:81] op_sel:[1,1] op_sel_hi:[0,1]
	s_delay_alu instid0(VALU_DEP_1)
	v_pk_fma_f32 v[118:119], v[108:109], v[80:81], v[110:111] op_sel_hi:[1,0,1] neg_lo:[0,0,1] neg_hi:[0,0,1]
	v_pk_fma_f32 v[120:121], v[108:109], v[80:81], v[110:111] op_sel_hi:[1,0,1]
	ds_load_2addr_b64 v[108:111], v112 offset0:47 offset1:48
	v_dual_mov_b32 v80, v118 :: v_dual_mov_b32 v81, v121
	s_wait_dscnt 0x0
	v_pk_mul_f32 v[122:123], v[108:109], v[120:121] op_sel:[0,1]
	s_delay_alu instid0(VALU_DEP_1) | instskip(SKIP_1) | instid1(VALU_DEP_1)
	v_pk_fma_f32 v[124:125], v[108:109], v[118:119], v[122:123] op_sel:[0,0,1] op_sel_hi:[1,1,0] neg_lo:[0,0,1] neg_hi:[0,0,1]
	v_pk_fma_f32 v[108:109], v[108:109], v[118:119], v[122:123] op_sel:[0,0,1] op_sel_hi:[1,0,0]
	v_mov_b32_e32 v125, v109
	v_pk_mul_f32 v[108:109], v[110:111], v[120:121] op_sel:[0,1]
	s_delay_alu instid0(VALU_DEP_1) | instskip(SKIP_1) | instid1(VALU_DEP_1)
	v_pk_fma_f32 v[122:123], v[110:111], v[118:119], v[108:109] op_sel:[0,0,1] op_sel_hi:[1,1,0] neg_lo:[0,0,1] neg_hi:[0,0,1]
	v_pk_fma_f32 v[108:109], v[110:111], v[118:119], v[108:109] op_sel:[0,0,1] op_sel_hi:[1,0,0]
	v_mov_b32_e32 v123, v109
	ds_load_2addr_b64 v[108:111], v112 offset0:49 offset1:50
	v_pk_add_f32 v[78:79], v[78:79], v[124:125] neg_lo:[0,1] neg_hi:[0,1]
	v_pk_add_f32 v[88:89], v[88:89], v[122:123] neg_lo:[0,1] neg_hi:[0,1]
	s_wait_dscnt 0x0
	v_pk_mul_f32 v[122:123], v[108:109], v[120:121] op_sel:[0,1]
	s_delay_alu instid0(VALU_DEP_1) | instskip(SKIP_1) | instid1(VALU_DEP_1)
	v_pk_fma_f32 v[124:125], v[108:109], v[118:119], v[122:123] op_sel:[0,0,1] op_sel_hi:[1,1,0] neg_lo:[0,0,1] neg_hi:[0,0,1]
	v_pk_fma_f32 v[108:109], v[108:109], v[118:119], v[122:123] op_sel:[0,0,1] op_sel_hi:[1,0,0]
	v_dual_mov_b32 v108, v111 :: v_dual_mov_b32 v125, v109
	v_mov_b32_e32 v109, v110
	s_delay_alu instid0(VALU_DEP_2) | instskip(NEXT) | instid1(VALU_DEP_2)
	v_pk_add_f32 v[86:87], v[86:87], v[124:125] neg_lo:[0,1] neg_hi:[0,1]
	v_pk_mul_f32 v[108:109], v[108:109], v[120:121] op_sel:[0,1]
	s_delay_alu instid0(VALU_DEP_1) | instskip(SKIP_1) | instid1(VALU_DEP_1)
	v_pk_fma_f32 v[120:121], v[110:111], v[118:119], v[108:109] neg_lo:[0,0,1] neg_hi:[0,0,1]
	v_pk_fma_f32 v[108:109], v[110:111], v[118:119], v[108:109] op_sel_hi:[1,0,1]
	v_mov_b32_e32 v121, v109
	s_delay_alu instid0(VALU_DEP_1)
	v_pk_add_f32 v[106:107], v[106:107], v[120:121] neg_lo:[0,1] neg_hi:[0,1]
.LBB100_986:
	s_or_b32 exec_lo, exec_lo, s0
	v_lshl_add_u32 v108, v116, 3, v112
	s_barrier_signal -1
	s_barrier_wait -1
	ds_store_b64 v108, v[78:79]
	s_wait_dscnt 0x0
	s_barrier_signal -1
	s_barrier_wait -1
	ds_load_b64 v[108:109], v112 offset:376
	v_mov_b32_e32 v110, 47
	s_cmp_lt_i32 s18, 49
	s_cbranch_scc1 .LBB100_989
; %bb.987:
	v_add3_u32 v111, v113, 0, 0x180
	v_mov_b32_e32 v110, 47
	s_mov_b32 s0, 48
.LBB100_988:                            ; =>This Inner Loop Header: Depth=1
	ds_load_b64 v[118:119], v111
	s_wait_dscnt 0x1
	v_cmp_gt_f32_e32 vcc_lo, 0, v108
	v_cndmask_b32_e64 v120, v108, -v108, vcc_lo
	v_cmp_gt_f32_e32 vcc_lo, 0, v109
	v_cndmask_b32_e64 v122, v109, -v109, vcc_lo
	s_wait_dscnt 0x0
	v_cmp_gt_f32_e32 vcc_lo, 0, v118
	v_cndmask_b32_e64 v121, v118, -v118, vcc_lo
	v_cmp_gt_f32_e32 vcc_lo, 0, v119
	v_cndmask_b32_e64 v123, v119, -v119, vcc_lo
	s_delay_alu instid0(VALU_DEP_1) | instskip(NEXT) | instid1(VALU_DEP_1)
	v_pk_add_f32 v[120:121], v[120:121], v[122:123]
	v_cmp_lt_f32_e32 vcc_lo, v120, v121
	v_dual_cndmask_b32 v108, v108, v118 :: v_dual_add_nc_u32 v111, 8, v111
	v_cndmask_b32_e32 v109, v109, v119, vcc_lo
	v_cndmask_b32_e64 v110, v110, s0, vcc_lo
	s_add_co_i32 s0, s0, 1
	s_delay_alu instid0(SALU_CYCLE_1)
	s_cmp_lg_u32 s18, s0
	s_cbranch_scc1 .LBB100_988
.LBB100_989:
	s_wait_dscnt 0x0
	v_cmp_eq_f32_e32 vcc_lo, 0, v108
	v_cmp_eq_f32_e64 s0, 0, v109
	s_and_b32 s0, vcc_lo, s0
	s_delay_alu instid0(SALU_CYCLE_1) | instskip(NEXT) | instid1(SALU_CYCLE_1)
	s_and_saveexec_b32 s1, s0
	s_xor_b32 s0, exec_lo, s1
; %bb.990:
	v_cmp_ne_u32_e32 vcc_lo, 0, v114
	v_cndmask_b32_e32 v114, 48, v114, vcc_lo
; %bb.991:
	s_and_not1_saveexec_b32 s0, s0
	s_cbranch_execz .LBB100_997
; %bb.992:
	v_cmp_ngt_f32_e64 s1, |v108|, |v109|
	s_and_saveexec_b32 s12, s1
	s_delay_alu instid0(SALU_CYCLE_1)
	s_xor_b32 s1, exec_lo, s12
	s_cbranch_execz .LBB100_994
; %bb.993:
	v_div_scale_f32 v111, null, v109, v109, v108
	v_div_scale_f32 v119, vcc_lo, v108, v109, v108
	s_delay_alu instid0(VALU_DEP_2) | instskip(SKIP_1) | instid1(TRANS32_DEP_1)
	v_rcp_f32_e32 v117, v111
	v_nop
	v_fma_f32 v118, -v111, v117, 1.0
	s_delay_alu instid0(VALU_DEP_1) | instskip(NEXT) | instid1(VALU_DEP_1)
	v_fmac_f32_e32 v117, v118, v117
	v_mul_f32_e32 v118, v119, v117
	s_delay_alu instid0(VALU_DEP_1) | instskip(NEXT) | instid1(VALU_DEP_1)
	v_fma_f32 v120, -v111, v118, v119
	v_fmac_f32_e32 v118, v120, v117
	s_delay_alu instid0(VALU_DEP_1) | instskip(NEXT) | instid1(VALU_DEP_1)
	v_fma_f32 v111, -v111, v118, v119
	v_div_fmas_f32 v111, v111, v117, v118
	s_delay_alu instid0(VALU_DEP_1) | instskip(NEXT) | instid1(VALU_DEP_1)
	v_div_fixup_f32 v111, v111, v109, v108
	v_fmac_f32_e32 v109, v108, v111
	s_delay_alu instid0(VALU_DEP_1) | instskip(SKIP_1) | instid1(VALU_DEP_2)
	v_div_scale_f32 v108, null, v109, v109, 1.0
	v_div_scale_f32 v119, vcc_lo, 1.0, v109, 1.0
	v_rcp_f32_e32 v117, v108
	v_nop
	s_delay_alu instid0(TRANS32_DEP_1) | instskip(NEXT) | instid1(VALU_DEP_1)
	v_fma_f32 v118, -v108, v117, 1.0
	v_fmac_f32_e32 v117, v118, v117
	s_delay_alu instid0(VALU_DEP_1) | instskip(NEXT) | instid1(VALU_DEP_1)
	v_mul_f32_e32 v118, v119, v117
	v_fma_f32 v120, -v108, v118, v119
	s_delay_alu instid0(VALU_DEP_1) | instskip(NEXT) | instid1(VALU_DEP_1)
	v_fmac_f32_e32 v118, v120, v117
	v_fma_f32 v108, -v108, v118, v119
	s_delay_alu instid0(VALU_DEP_1) | instskip(NEXT) | instid1(VALU_DEP_1)
	v_div_fmas_f32 v108, v108, v117, v118
	v_div_fixup_f32 v109, v108, v109, 1.0
	s_delay_alu instid0(VALU_DEP_1)
	v_mul_f32_e32 v108, v111, v109
	v_xor_b32_e32 v109, 0x80000000, v109
.LBB100_994:
	s_and_not1_saveexec_b32 s1, s1
	s_cbranch_execz .LBB100_996
; %bb.995:
	s_delay_alu instid0(VALU_DEP_1) | instskip(SKIP_1) | instid1(VALU_DEP_2)
	v_div_scale_f32 v111, null, v108, v108, v109
	v_div_scale_f32 v119, vcc_lo, v109, v108, v109
	v_rcp_f32_e32 v117, v111
	v_nop
	s_delay_alu instid0(TRANS32_DEP_1) | instskip(NEXT) | instid1(VALU_DEP_1)
	v_fma_f32 v118, -v111, v117, 1.0
	v_fmac_f32_e32 v117, v118, v117
	s_delay_alu instid0(VALU_DEP_1) | instskip(NEXT) | instid1(VALU_DEP_1)
	v_mul_f32_e32 v118, v119, v117
	v_fma_f32 v120, -v111, v118, v119
	s_delay_alu instid0(VALU_DEP_1) | instskip(NEXT) | instid1(VALU_DEP_1)
	v_fmac_f32_e32 v118, v120, v117
	v_fma_f32 v111, -v111, v118, v119
	s_delay_alu instid0(VALU_DEP_1) | instskip(NEXT) | instid1(VALU_DEP_1)
	v_div_fmas_f32 v111, v111, v117, v118
	v_div_fixup_f32 v111, v111, v108, v109
	s_delay_alu instid0(VALU_DEP_1) | instskip(NEXT) | instid1(VALU_DEP_1)
	v_fmac_f32_e32 v108, v109, v111
	v_div_scale_f32 v109, null, v108, v108, 1.0
	s_delay_alu instid0(VALU_DEP_1) | instskip(SKIP_1) | instid1(TRANS32_DEP_1)
	v_rcp_f32_e32 v117, v109
	v_nop
	v_fma_f32 v118, -v109, v117, 1.0
	s_delay_alu instid0(VALU_DEP_1) | instskip(SKIP_1) | instid1(VALU_DEP_1)
	v_fmac_f32_e32 v117, v118, v117
	v_div_scale_f32 v118, vcc_lo, 1.0, v108, 1.0
	v_mul_f32_e32 v119, v118, v117
	s_delay_alu instid0(VALU_DEP_1) | instskip(NEXT) | instid1(VALU_DEP_1)
	v_fma_f32 v120, -v109, v119, v118
	v_fmac_f32_e32 v119, v120, v117
	s_delay_alu instid0(VALU_DEP_1) | instskip(NEXT) | instid1(VALU_DEP_1)
	v_fma_f32 v109, -v109, v119, v118
	v_div_fmas_f32 v109, v109, v117, v119
	s_delay_alu instid0(VALU_DEP_1) | instskip(NEXT) | instid1(VALU_DEP_1)
	v_div_fixup_f32 v108, v109, v108, 1.0
	v_mul_f32_e64 v109, v111, -v108
.LBB100_996:
	s_or_b32 exec_lo, exec_lo, s1
.LBB100_997:
	s_delay_alu instid0(SALU_CYCLE_1) | instskip(NEXT) | instid1(SALU_CYCLE_1)
	s_or_b32 exec_lo, exec_lo, s0
	s_mov_b32 s0, exec_lo
	v_cmpx_ne_u32_e64 v116, v110
	s_xor_b32 s0, exec_lo, s0
	s_cbranch_execz .LBB100_1003
; %bb.998:
	s_mov_b32 s1, exec_lo
	v_cmpx_eq_u32_e32 47, v116
	s_cbranch_execz .LBB100_1002
; %bb.999:
	v_cmp_ne_u32_e32 vcc_lo, 47, v110
	s_xor_b32 s12, s16, -1
	s_delay_alu instid0(SALU_CYCLE_1) | instskip(NEXT) | instid1(SALU_CYCLE_1)
	s_and_b32 s13, s12, vcc_lo
	s_and_saveexec_b32 s12, s13
	s_cbranch_execz .LBB100_1001
; %bb.1000:
	v_ashrrev_i32_e32 v111, 31, v110
	s_delay_alu instid0(VALU_DEP_1)
	v_lshl_add_u64 v[116:117], v[110:111], 2, v[4:5]
	s_clause 0x1
	global_load_b32 v111, v[116:117], off
	global_load_b32 v115, v[4:5], off offset:188
	s_wait_loadcnt 0x1
	global_store_b32 v[4:5], v111, off offset:188
	s_wait_loadcnt 0x0
	global_store_b32 v[116:117], v115, off
.LBB100_1001:
	s_wait_xcnt 0x0
	s_or_b32 exec_lo, exec_lo, s12
	v_dual_mov_b32 v116, v110 :: v_dual_mov_b32 v115, v110
.LBB100_1002:
	s_or_b32 exec_lo, exec_lo, s1
.LBB100_1003:
	s_and_not1_saveexec_b32 s0, s0
	s_cbranch_execz .LBB100_1005
; %bb.1004:
	v_dual_mov_b32 v110, v88 :: v_dual_mov_b32 v111, v89
	v_dual_mov_b32 v118, v86 :: v_dual_mov_b32 v119, v87
	v_mov_b32_e32 v116, 47
	ds_store_2addr_b64 v112, v[110:111], v[118:119] offset0:48 offset1:49
	ds_store_b64 v112, v[106:107] offset:400
.LBB100_1005:
	s_or_b32 exec_lo, exec_lo, s0
	s_delay_alu instid0(SALU_CYCLE_1)
	s_mov_b32 s0, exec_lo
	s_wait_storecnt_dscnt 0x0
	s_barrier_signal -1
	s_barrier_wait -1
	v_cmpx_lt_i32_e32 47, v116
	s_cbranch_execz .LBB100_1007
; %bb.1006:
	v_pk_mul_f32 v[110:111], v[108:109], v[78:79] op_sel:[1,1] op_sel_hi:[0,1]
	s_delay_alu instid0(VALU_DEP_1)
	v_pk_fma_f32 v[118:119], v[108:109], v[78:79], v[110:111] op_sel_hi:[1,0,1] neg_lo:[0,0,1] neg_hi:[0,0,1]
	v_pk_fma_f32 v[120:121], v[108:109], v[78:79], v[110:111] op_sel_hi:[1,0,1]
	ds_load_2addr_b64 v[108:111], v112 offset0:48 offset1:49
	v_dual_mov_b32 v78, v118 :: v_dual_mov_b32 v79, v121
	s_wait_dscnt 0x0
	v_pk_mul_f32 v[122:123], v[108:109], v[120:121] op_sel:[0,1]
	s_delay_alu instid0(VALU_DEP_1) | instskip(SKIP_1) | instid1(VALU_DEP_1)
	v_pk_fma_f32 v[124:125], v[108:109], v[118:119], v[122:123] op_sel:[0,0,1] op_sel_hi:[1,1,0] neg_lo:[0,0,1] neg_hi:[0,0,1]
	v_pk_fma_f32 v[108:109], v[108:109], v[118:119], v[122:123] op_sel:[0,0,1] op_sel_hi:[1,0,0]
	v_mov_b32_e32 v125, v109
	v_pk_mul_f32 v[108:109], v[110:111], v[120:121] op_sel:[0,1]
	s_delay_alu instid0(VALU_DEP_1) | instskip(SKIP_1) | instid1(VALU_DEP_1)
	v_pk_fma_f32 v[122:123], v[110:111], v[118:119], v[108:109] op_sel:[0,0,1] op_sel_hi:[1,1,0] neg_lo:[0,0,1] neg_hi:[0,0,1]
	v_pk_fma_f32 v[108:109], v[110:111], v[118:119], v[108:109] op_sel:[0,0,1] op_sel_hi:[1,0,0]
	v_mov_b32_e32 v123, v109
	ds_load_b64 v[108:109], v112 offset:400
	v_pk_add_f32 v[88:89], v[88:89], v[124:125] neg_lo:[0,1] neg_hi:[0,1]
	v_pk_add_f32 v[86:87], v[86:87], v[122:123] neg_lo:[0,1] neg_hi:[0,1]
	s_wait_dscnt 0x0
	v_pk_mul_f32 v[110:111], v[108:109], v[120:121] op_sel:[1,1] op_sel_hi:[0,1]
	s_delay_alu instid0(VALU_DEP_1) | instskip(SKIP_1) | instid1(VALU_DEP_1)
	v_pk_fma_f32 v[120:121], v[108:109], v[118:119], v[110:111] neg_lo:[0,0,1] neg_hi:[0,0,1]
	v_pk_fma_f32 v[108:109], v[108:109], v[118:119], v[110:111] op_sel_hi:[1,0,1]
	v_mov_b32_e32 v121, v109
	s_delay_alu instid0(VALU_DEP_1)
	v_pk_add_f32 v[106:107], v[106:107], v[120:121] neg_lo:[0,1] neg_hi:[0,1]
.LBB100_1007:
	s_or_b32 exec_lo, exec_lo, s0
	v_lshl_add_u32 v108, v116, 3, v112
	s_barrier_signal -1
	s_barrier_wait -1
	ds_store_b64 v108, v[88:89]
	s_wait_dscnt 0x0
	s_barrier_signal -1
	s_barrier_wait -1
	ds_load_b64 v[108:109], v112 offset:384
	v_mov_b32_e32 v110, 48
	s_cmp_lt_i32 s18, 50
	s_cbranch_scc1 .LBB100_1010
; %bb.1008:
	v_add3_u32 v111, v113, 0, 0x188
	v_mov_b32_e32 v110, 48
	s_mov_b32 s0, 49
.LBB100_1009:                           ; =>This Inner Loop Header: Depth=1
	ds_load_b64 v[118:119], v111
	s_wait_dscnt 0x1
	v_cmp_gt_f32_e32 vcc_lo, 0, v108
	v_cndmask_b32_e64 v120, v108, -v108, vcc_lo
	v_cmp_gt_f32_e32 vcc_lo, 0, v109
	v_cndmask_b32_e64 v122, v109, -v109, vcc_lo
	s_wait_dscnt 0x0
	v_cmp_gt_f32_e32 vcc_lo, 0, v118
	v_cndmask_b32_e64 v121, v118, -v118, vcc_lo
	v_cmp_gt_f32_e32 vcc_lo, 0, v119
	v_cndmask_b32_e64 v123, v119, -v119, vcc_lo
	s_delay_alu instid0(VALU_DEP_1) | instskip(NEXT) | instid1(VALU_DEP_1)
	v_pk_add_f32 v[120:121], v[120:121], v[122:123]
	v_cmp_lt_f32_e32 vcc_lo, v120, v121
	v_dual_cndmask_b32 v108, v108, v118 :: v_dual_add_nc_u32 v111, 8, v111
	v_cndmask_b32_e32 v109, v109, v119, vcc_lo
	v_cndmask_b32_e64 v110, v110, s0, vcc_lo
	s_add_co_i32 s0, s0, 1
	s_delay_alu instid0(SALU_CYCLE_1)
	s_cmp_lg_u32 s18, s0
	s_cbranch_scc1 .LBB100_1009
.LBB100_1010:
	s_wait_dscnt 0x0
	v_cmp_eq_f32_e32 vcc_lo, 0, v108
	v_cmp_eq_f32_e64 s0, 0, v109
	s_and_b32 s0, vcc_lo, s0
	s_delay_alu instid0(SALU_CYCLE_1) | instskip(NEXT) | instid1(SALU_CYCLE_1)
	s_and_saveexec_b32 s1, s0
	s_xor_b32 s0, exec_lo, s1
; %bb.1011:
	v_cmp_ne_u32_e32 vcc_lo, 0, v114
	v_cndmask_b32_e32 v114, 49, v114, vcc_lo
; %bb.1012:
	s_and_not1_saveexec_b32 s0, s0
	s_cbranch_execz .LBB100_1018
; %bb.1013:
	v_cmp_ngt_f32_e64 s1, |v108|, |v109|
	s_and_saveexec_b32 s12, s1
	s_delay_alu instid0(SALU_CYCLE_1)
	s_xor_b32 s1, exec_lo, s12
	s_cbranch_execz .LBB100_1015
; %bb.1014:
	v_div_scale_f32 v111, null, v109, v109, v108
	v_div_scale_f32 v119, vcc_lo, v108, v109, v108
	s_delay_alu instid0(VALU_DEP_2) | instskip(SKIP_1) | instid1(TRANS32_DEP_1)
	v_rcp_f32_e32 v117, v111
	v_nop
	v_fma_f32 v118, -v111, v117, 1.0
	s_delay_alu instid0(VALU_DEP_1) | instskip(NEXT) | instid1(VALU_DEP_1)
	v_fmac_f32_e32 v117, v118, v117
	v_mul_f32_e32 v118, v119, v117
	s_delay_alu instid0(VALU_DEP_1) | instskip(NEXT) | instid1(VALU_DEP_1)
	v_fma_f32 v120, -v111, v118, v119
	v_fmac_f32_e32 v118, v120, v117
	s_delay_alu instid0(VALU_DEP_1) | instskip(NEXT) | instid1(VALU_DEP_1)
	v_fma_f32 v111, -v111, v118, v119
	v_div_fmas_f32 v111, v111, v117, v118
	s_delay_alu instid0(VALU_DEP_1) | instskip(NEXT) | instid1(VALU_DEP_1)
	v_div_fixup_f32 v111, v111, v109, v108
	v_fmac_f32_e32 v109, v108, v111
	s_delay_alu instid0(VALU_DEP_1) | instskip(SKIP_1) | instid1(VALU_DEP_2)
	v_div_scale_f32 v108, null, v109, v109, 1.0
	v_div_scale_f32 v119, vcc_lo, 1.0, v109, 1.0
	v_rcp_f32_e32 v117, v108
	v_nop
	s_delay_alu instid0(TRANS32_DEP_1) | instskip(NEXT) | instid1(VALU_DEP_1)
	v_fma_f32 v118, -v108, v117, 1.0
	v_fmac_f32_e32 v117, v118, v117
	s_delay_alu instid0(VALU_DEP_1) | instskip(NEXT) | instid1(VALU_DEP_1)
	v_mul_f32_e32 v118, v119, v117
	v_fma_f32 v120, -v108, v118, v119
	s_delay_alu instid0(VALU_DEP_1) | instskip(NEXT) | instid1(VALU_DEP_1)
	v_fmac_f32_e32 v118, v120, v117
	v_fma_f32 v108, -v108, v118, v119
	s_delay_alu instid0(VALU_DEP_1) | instskip(NEXT) | instid1(VALU_DEP_1)
	v_div_fmas_f32 v108, v108, v117, v118
	v_div_fixup_f32 v109, v108, v109, 1.0
	s_delay_alu instid0(VALU_DEP_1)
	v_mul_f32_e32 v108, v111, v109
	v_xor_b32_e32 v109, 0x80000000, v109
.LBB100_1015:
	s_and_not1_saveexec_b32 s1, s1
	s_cbranch_execz .LBB100_1017
; %bb.1016:
	s_delay_alu instid0(VALU_DEP_1) | instskip(SKIP_1) | instid1(VALU_DEP_2)
	v_div_scale_f32 v111, null, v108, v108, v109
	v_div_scale_f32 v119, vcc_lo, v109, v108, v109
	v_rcp_f32_e32 v117, v111
	v_nop
	s_delay_alu instid0(TRANS32_DEP_1) | instskip(NEXT) | instid1(VALU_DEP_1)
	v_fma_f32 v118, -v111, v117, 1.0
	v_fmac_f32_e32 v117, v118, v117
	s_delay_alu instid0(VALU_DEP_1) | instskip(NEXT) | instid1(VALU_DEP_1)
	v_mul_f32_e32 v118, v119, v117
	v_fma_f32 v120, -v111, v118, v119
	s_delay_alu instid0(VALU_DEP_1) | instskip(NEXT) | instid1(VALU_DEP_1)
	v_fmac_f32_e32 v118, v120, v117
	v_fma_f32 v111, -v111, v118, v119
	s_delay_alu instid0(VALU_DEP_1) | instskip(NEXT) | instid1(VALU_DEP_1)
	v_div_fmas_f32 v111, v111, v117, v118
	v_div_fixup_f32 v111, v111, v108, v109
	s_delay_alu instid0(VALU_DEP_1) | instskip(NEXT) | instid1(VALU_DEP_1)
	v_fmac_f32_e32 v108, v109, v111
	v_div_scale_f32 v109, null, v108, v108, 1.0
	s_delay_alu instid0(VALU_DEP_1) | instskip(SKIP_1) | instid1(TRANS32_DEP_1)
	v_rcp_f32_e32 v117, v109
	v_nop
	v_fma_f32 v118, -v109, v117, 1.0
	s_delay_alu instid0(VALU_DEP_1) | instskip(SKIP_1) | instid1(VALU_DEP_1)
	v_fmac_f32_e32 v117, v118, v117
	v_div_scale_f32 v118, vcc_lo, 1.0, v108, 1.0
	v_mul_f32_e32 v119, v118, v117
	s_delay_alu instid0(VALU_DEP_1) | instskip(NEXT) | instid1(VALU_DEP_1)
	v_fma_f32 v120, -v109, v119, v118
	v_fmac_f32_e32 v119, v120, v117
	s_delay_alu instid0(VALU_DEP_1) | instskip(NEXT) | instid1(VALU_DEP_1)
	v_fma_f32 v109, -v109, v119, v118
	v_div_fmas_f32 v109, v109, v117, v119
	s_delay_alu instid0(VALU_DEP_1) | instskip(NEXT) | instid1(VALU_DEP_1)
	v_div_fixup_f32 v108, v109, v108, 1.0
	v_mul_f32_e64 v109, v111, -v108
.LBB100_1017:
	s_or_b32 exec_lo, exec_lo, s1
.LBB100_1018:
	s_delay_alu instid0(SALU_CYCLE_1) | instskip(NEXT) | instid1(SALU_CYCLE_1)
	s_or_b32 exec_lo, exec_lo, s0
	s_mov_b32 s0, exec_lo
	v_cmpx_ne_u32_e64 v116, v110
	s_xor_b32 s0, exec_lo, s0
	s_cbranch_execz .LBB100_1024
; %bb.1019:
	s_mov_b32 s1, exec_lo
	v_cmpx_eq_u32_e32 48, v116
	s_cbranch_execz .LBB100_1023
; %bb.1020:
	v_cmp_ne_u32_e32 vcc_lo, 48, v110
	s_xor_b32 s12, s16, -1
	s_delay_alu instid0(SALU_CYCLE_1) | instskip(NEXT) | instid1(SALU_CYCLE_1)
	s_and_b32 s13, s12, vcc_lo
	s_and_saveexec_b32 s12, s13
	s_cbranch_execz .LBB100_1022
; %bb.1021:
	v_ashrrev_i32_e32 v111, 31, v110
	s_delay_alu instid0(VALU_DEP_1)
	v_lshl_add_u64 v[116:117], v[110:111], 2, v[4:5]
	s_clause 0x1
	global_load_b32 v111, v[116:117], off
	global_load_b32 v115, v[4:5], off offset:192
	s_wait_loadcnt 0x1
	global_store_b32 v[4:5], v111, off offset:192
	s_wait_loadcnt 0x0
	global_store_b32 v[116:117], v115, off
.LBB100_1022:
	s_wait_xcnt 0x0
	s_or_b32 exec_lo, exec_lo, s12
	v_dual_mov_b32 v116, v110 :: v_dual_mov_b32 v115, v110
.LBB100_1023:
	s_or_b32 exec_lo, exec_lo, s1
.LBB100_1024:
	s_and_not1_saveexec_b32 s0, s0
; %bb.1025:
	v_mov_b32_e32 v116, 48
	ds_store_2addr_b64 v112, v[86:87], v[106:107] offset0:49 offset1:50
; %bb.1026:
	s_or_b32 exec_lo, exec_lo, s0
	s_delay_alu instid0(SALU_CYCLE_1)
	s_mov_b32 s0, exec_lo
	s_wait_storecnt_dscnt 0x0
	s_barrier_signal -1
	s_barrier_wait -1
	v_cmpx_lt_i32_e32 48, v116
	s_cbranch_execz .LBB100_1028
; %bb.1027:
	ds_load_2addr_b64 v[118:121], v112 offset0:49 offset1:50
	v_pk_mul_f32 v[110:111], v[108:109], v[88:89] op_sel:[1,1] op_sel_hi:[0,1]
	s_delay_alu instid0(VALU_DEP_1) | instskip(SKIP_3) | instid1(VALU_DEP_3)
	v_pk_fma_f32 v[122:123], v[108:109], v[88:89], v[110:111] op_sel_hi:[1,0,1]
	v_pk_fma_f32 v[88:89], v[108:109], v[88:89], v[110:111] op_sel_hi:[1,0,1] neg_lo:[0,0,1] neg_hi:[0,0,1]
	s_wait_dscnt 0x0
	v_dual_mov_b32 v124, v121 :: v_dual_mov_b32 v125, v120
	v_pk_mul_f32 v[108:109], v[118:119], v[122:123] op_sel:[0,1]
	s_delay_alu instid0(VALU_DEP_2) | instskip(NEXT) | instid1(VALU_DEP_2)
	v_pk_mul_f32 v[110:111], v[124:125], v[122:123] op_sel:[0,1]
	v_pk_fma_f32 v[124:125], v[118:119], v[88:89], v[108:109] op_sel:[0,0,1] op_sel_hi:[1,0,0]
	v_pk_fma_f32 v[108:109], v[118:119], v[88:89], v[108:109] op_sel:[0,0,1] op_sel_hi:[1,1,0] neg_lo:[0,0,1] neg_hi:[0,0,1]
	s_delay_alu instid0(VALU_DEP_3) | instskip(SKIP_1) | instid1(VALU_DEP_4)
	v_pk_fma_f32 v[126:127], v[120:121], v[88:89], v[110:111] op_sel_hi:[1,0,1]
	v_pk_fma_f32 v[110:111], v[120:121], v[88:89], v[110:111] neg_lo:[0,0,1] neg_hi:[0,0,1]
	v_dual_mov_b32 v109, v125 :: v_dual_mov_b32 v89, v123
	s_delay_alu instid0(VALU_DEP_3) | instskip(NEXT) | instid1(VALU_DEP_2)
	v_mov_b32_e32 v111, v127
	v_pk_add_f32 v[86:87], v[86:87], v[108:109] neg_lo:[0,1] neg_hi:[0,1]
	s_delay_alu instid0(VALU_DEP_2)
	v_pk_add_f32 v[106:107], v[106:107], v[110:111] neg_lo:[0,1] neg_hi:[0,1]
.LBB100_1028:
	s_or_b32 exec_lo, exec_lo, s0
	v_lshl_add_u32 v108, v116, 3, v112
	s_barrier_signal -1
	s_barrier_wait -1
	ds_store_b64 v108, v[86:87]
	s_wait_dscnt 0x0
	s_barrier_signal -1
	s_barrier_wait -1
	ds_load_b64 v[108:109], v112 offset:392
	v_mov_b32_e32 v110, 49
	s_cmp_lt_i32 s18, 51
	s_cbranch_scc1 .LBB100_1031
; %bb.1029:
	v_add3_u32 v111, v113, 0, 0x190
	v_mov_b32_e32 v110, 49
	s_mov_b32 s0, 50
.LBB100_1030:                           ; =>This Inner Loop Header: Depth=1
	ds_load_b64 v[118:119], v111
	s_wait_dscnt 0x1
	v_cmp_gt_f32_e32 vcc_lo, 0, v108
	v_cndmask_b32_e64 v120, v108, -v108, vcc_lo
	v_cmp_gt_f32_e32 vcc_lo, 0, v109
	v_cndmask_b32_e64 v122, v109, -v109, vcc_lo
	s_wait_dscnt 0x0
	v_cmp_gt_f32_e32 vcc_lo, 0, v118
	v_cndmask_b32_e64 v121, v118, -v118, vcc_lo
	v_cmp_gt_f32_e32 vcc_lo, 0, v119
	v_cndmask_b32_e64 v123, v119, -v119, vcc_lo
	s_delay_alu instid0(VALU_DEP_1) | instskip(NEXT) | instid1(VALU_DEP_1)
	v_pk_add_f32 v[120:121], v[120:121], v[122:123]
	v_cmp_lt_f32_e32 vcc_lo, v120, v121
	v_dual_cndmask_b32 v108, v108, v118 :: v_dual_add_nc_u32 v111, 8, v111
	v_cndmask_b32_e32 v109, v109, v119, vcc_lo
	v_cndmask_b32_e64 v110, v110, s0, vcc_lo
	s_add_co_i32 s0, s0, 1
	s_delay_alu instid0(SALU_CYCLE_1)
	s_cmp_lg_u32 s18, s0
	s_cbranch_scc1 .LBB100_1030
.LBB100_1031:
	s_wait_dscnt 0x0
	v_cmp_eq_f32_e32 vcc_lo, 0, v108
	v_cmp_eq_f32_e64 s0, 0, v109
	s_and_b32 s0, vcc_lo, s0
	s_delay_alu instid0(SALU_CYCLE_1) | instskip(NEXT) | instid1(SALU_CYCLE_1)
	s_and_saveexec_b32 s1, s0
	s_xor_b32 s0, exec_lo, s1
; %bb.1032:
	v_cmp_ne_u32_e32 vcc_lo, 0, v114
	v_cndmask_b32_e32 v114, 50, v114, vcc_lo
; %bb.1033:
	s_and_not1_saveexec_b32 s0, s0
	s_cbranch_execz .LBB100_1039
; %bb.1034:
	v_cmp_ngt_f32_e64 s1, |v108|, |v109|
	s_and_saveexec_b32 s12, s1
	s_delay_alu instid0(SALU_CYCLE_1)
	s_xor_b32 s1, exec_lo, s12
	s_cbranch_execz .LBB100_1036
; %bb.1035:
	v_div_scale_f32 v111, null, v109, v109, v108
	v_div_scale_f32 v119, vcc_lo, v108, v109, v108
	s_delay_alu instid0(VALU_DEP_2) | instskip(SKIP_1) | instid1(TRANS32_DEP_1)
	v_rcp_f32_e32 v117, v111
	v_nop
	v_fma_f32 v118, -v111, v117, 1.0
	s_delay_alu instid0(VALU_DEP_1) | instskip(NEXT) | instid1(VALU_DEP_1)
	v_fmac_f32_e32 v117, v118, v117
	v_mul_f32_e32 v118, v119, v117
	s_delay_alu instid0(VALU_DEP_1) | instskip(NEXT) | instid1(VALU_DEP_1)
	v_fma_f32 v120, -v111, v118, v119
	v_fmac_f32_e32 v118, v120, v117
	s_delay_alu instid0(VALU_DEP_1) | instskip(NEXT) | instid1(VALU_DEP_1)
	v_fma_f32 v111, -v111, v118, v119
	v_div_fmas_f32 v111, v111, v117, v118
	s_delay_alu instid0(VALU_DEP_1) | instskip(NEXT) | instid1(VALU_DEP_1)
	v_div_fixup_f32 v111, v111, v109, v108
	v_fmac_f32_e32 v109, v108, v111
	s_delay_alu instid0(VALU_DEP_1) | instskip(SKIP_1) | instid1(VALU_DEP_2)
	v_div_scale_f32 v108, null, v109, v109, 1.0
	v_div_scale_f32 v119, vcc_lo, 1.0, v109, 1.0
	v_rcp_f32_e32 v117, v108
	v_nop
	s_delay_alu instid0(TRANS32_DEP_1) | instskip(NEXT) | instid1(VALU_DEP_1)
	v_fma_f32 v118, -v108, v117, 1.0
	v_fmac_f32_e32 v117, v118, v117
	s_delay_alu instid0(VALU_DEP_1) | instskip(NEXT) | instid1(VALU_DEP_1)
	v_mul_f32_e32 v118, v119, v117
	v_fma_f32 v120, -v108, v118, v119
	s_delay_alu instid0(VALU_DEP_1) | instskip(NEXT) | instid1(VALU_DEP_1)
	v_fmac_f32_e32 v118, v120, v117
	v_fma_f32 v108, -v108, v118, v119
	s_delay_alu instid0(VALU_DEP_1) | instskip(NEXT) | instid1(VALU_DEP_1)
	v_div_fmas_f32 v108, v108, v117, v118
	v_div_fixup_f32 v109, v108, v109, 1.0
	s_delay_alu instid0(VALU_DEP_1)
	v_mul_f32_e32 v108, v111, v109
	v_xor_b32_e32 v109, 0x80000000, v109
.LBB100_1036:
	s_and_not1_saveexec_b32 s1, s1
	s_cbranch_execz .LBB100_1038
; %bb.1037:
	s_delay_alu instid0(VALU_DEP_1) | instskip(SKIP_1) | instid1(VALU_DEP_2)
	v_div_scale_f32 v111, null, v108, v108, v109
	v_div_scale_f32 v119, vcc_lo, v109, v108, v109
	v_rcp_f32_e32 v117, v111
	v_nop
	s_delay_alu instid0(TRANS32_DEP_1) | instskip(NEXT) | instid1(VALU_DEP_1)
	v_fma_f32 v118, -v111, v117, 1.0
	v_fmac_f32_e32 v117, v118, v117
	s_delay_alu instid0(VALU_DEP_1) | instskip(NEXT) | instid1(VALU_DEP_1)
	v_mul_f32_e32 v118, v119, v117
	v_fma_f32 v120, -v111, v118, v119
	s_delay_alu instid0(VALU_DEP_1) | instskip(NEXT) | instid1(VALU_DEP_1)
	v_fmac_f32_e32 v118, v120, v117
	v_fma_f32 v111, -v111, v118, v119
	s_delay_alu instid0(VALU_DEP_1) | instskip(NEXT) | instid1(VALU_DEP_1)
	v_div_fmas_f32 v111, v111, v117, v118
	v_div_fixup_f32 v111, v111, v108, v109
	s_delay_alu instid0(VALU_DEP_1) | instskip(NEXT) | instid1(VALU_DEP_1)
	v_fmac_f32_e32 v108, v109, v111
	v_div_scale_f32 v109, null, v108, v108, 1.0
	s_delay_alu instid0(VALU_DEP_1) | instskip(SKIP_1) | instid1(TRANS32_DEP_1)
	v_rcp_f32_e32 v117, v109
	v_nop
	v_fma_f32 v118, -v109, v117, 1.0
	s_delay_alu instid0(VALU_DEP_1) | instskip(SKIP_1) | instid1(VALU_DEP_1)
	v_fmac_f32_e32 v117, v118, v117
	v_div_scale_f32 v118, vcc_lo, 1.0, v108, 1.0
	v_mul_f32_e32 v119, v118, v117
	s_delay_alu instid0(VALU_DEP_1) | instskip(NEXT) | instid1(VALU_DEP_1)
	v_fma_f32 v120, -v109, v119, v118
	v_fmac_f32_e32 v119, v120, v117
	s_delay_alu instid0(VALU_DEP_1) | instskip(NEXT) | instid1(VALU_DEP_1)
	v_fma_f32 v109, -v109, v119, v118
	v_div_fmas_f32 v109, v109, v117, v119
	s_delay_alu instid0(VALU_DEP_1) | instskip(NEXT) | instid1(VALU_DEP_1)
	v_div_fixup_f32 v108, v109, v108, 1.0
	v_mul_f32_e64 v109, v111, -v108
.LBB100_1038:
	s_or_b32 exec_lo, exec_lo, s1
.LBB100_1039:
	s_delay_alu instid0(SALU_CYCLE_1) | instskip(NEXT) | instid1(SALU_CYCLE_1)
	s_or_b32 exec_lo, exec_lo, s0
	s_mov_b32 s0, exec_lo
	v_cmpx_ne_u32_e64 v116, v110
	s_xor_b32 s0, exec_lo, s0
	s_cbranch_execz .LBB100_1045
; %bb.1040:
	s_mov_b32 s1, exec_lo
	v_cmpx_eq_u32_e32 49, v116
	s_cbranch_execz .LBB100_1044
; %bb.1041:
	v_cmp_ne_u32_e32 vcc_lo, 49, v110
	s_xor_b32 s12, s16, -1
	s_delay_alu instid0(SALU_CYCLE_1) | instskip(NEXT) | instid1(SALU_CYCLE_1)
	s_and_b32 s13, s12, vcc_lo
	s_and_saveexec_b32 s12, s13
	s_cbranch_execz .LBB100_1043
; %bb.1042:
	v_ashrrev_i32_e32 v111, 31, v110
	s_delay_alu instid0(VALU_DEP_1)
	v_lshl_add_u64 v[116:117], v[110:111], 2, v[4:5]
	s_clause 0x1
	global_load_b32 v111, v[116:117], off
	global_load_b32 v115, v[4:5], off offset:196
	s_wait_loadcnt 0x1
	global_store_b32 v[4:5], v111, off offset:196
	s_wait_loadcnt 0x0
	global_store_b32 v[116:117], v115, off
.LBB100_1043:
	s_wait_xcnt 0x0
	s_or_b32 exec_lo, exec_lo, s12
	v_dual_mov_b32 v116, v110 :: v_dual_mov_b32 v115, v110
.LBB100_1044:
	s_or_b32 exec_lo, exec_lo, s1
.LBB100_1045:
	s_and_not1_saveexec_b32 s0, s0
; %bb.1046:
	v_mov_b32_e32 v116, 49
	ds_store_b64 v112, v[106:107] offset:400
; %bb.1047:
	s_or_b32 exec_lo, exec_lo, s0
	s_delay_alu instid0(SALU_CYCLE_1)
	s_mov_b32 s0, exec_lo
	s_wait_storecnt_dscnt 0x0
	s_barrier_signal -1
	s_barrier_wait -1
	v_cmpx_lt_i32_e32 49, v116
	s_cbranch_execz .LBB100_1049
; %bb.1048:
	ds_load_b64 v[110:111], v112 offset:400
	v_pk_mul_f32 v[118:119], v[108:109], v[86:87] op_sel:[1,1] op_sel_hi:[0,1]
	s_delay_alu instid0(VALU_DEP_1) | instskip(SKIP_2) | instid1(VALU_DEP_2)
	v_pk_fma_f32 v[120:121], v[108:109], v[86:87], v[118:119] op_sel_hi:[1,0,1]
	v_pk_fma_f32 v[86:87], v[108:109], v[86:87], v[118:119] op_sel_hi:[1,0,1] neg_lo:[0,0,1] neg_hi:[0,0,1]
	s_wait_dscnt 0x0
	v_pk_mul_f32 v[108:109], v[110:111], v[120:121] op_sel:[1,1] op_sel_hi:[0,1]
	s_delay_alu instid0(VALU_DEP_1) | instskip(SKIP_1) | instid1(VALU_DEP_2)
	v_pk_fma_f32 v[118:119], v[110:111], v[86:87], v[108:109] op_sel_hi:[1,0,1]
	v_pk_fma_f32 v[108:109], v[110:111], v[86:87], v[108:109] neg_lo:[0,0,1] neg_hi:[0,0,1]
	v_dual_mov_b32 v87, v121 :: v_dual_mov_b32 v109, v119
	s_delay_alu instid0(VALU_DEP_1)
	v_pk_add_f32 v[106:107], v[106:107], v[108:109] neg_lo:[0,1] neg_hi:[0,1]
.LBB100_1049:
	s_or_b32 exec_lo, exec_lo, s0
	v_lshl_add_u32 v108, v116, 3, v112
	s_barrier_signal -1
	s_barrier_wait -1
	ds_store_b64 v108, v[106:107]
	s_wait_dscnt 0x0
	s_barrier_signal -1
	s_barrier_wait -1
	ds_load_b64 v[108:109], v112 offset:400
	v_mov_b32_e32 v110, 50
	s_cmp_lt_i32 s18, 52
	s_cbranch_scc1 .LBB100_1052
; %bb.1050:
	v_add3_u32 v111, v113, 0, 0x198
	v_mov_b32_e32 v110, 50
	s_mov_b32 s0, 51
.LBB100_1051:                           ; =>This Inner Loop Header: Depth=1
	ds_load_b64 v[112:113], v111
	s_wait_dscnt 0x1
	v_cmp_gt_f32_e32 vcc_lo, 0, v108
	v_cndmask_b32_e64 v118, v108, -v108, vcc_lo
	v_cmp_gt_f32_e32 vcc_lo, 0, v109
	v_cndmask_b32_e64 v120, v109, -v109, vcc_lo
	s_wait_dscnt 0x0
	v_cmp_gt_f32_e32 vcc_lo, 0, v112
	v_cndmask_b32_e64 v119, v112, -v112, vcc_lo
	v_cmp_gt_f32_e32 vcc_lo, 0, v113
	v_cndmask_b32_e64 v121, v113, -v113, vcc_lo
	s_delay_alu instid0(VALU_DEP_1) | instskip(NEXT) | instid1(VALU_DEP_1)
	v_pk_add_f32 v[118:119], v[118:119], v[120:121]
	v_cmp_lt_f32_e32 vcc_lo, v118, v119
	v_dual_add_nc_u32 v111, 8, v111 :: v_dual_cndmask_b32 v109, v109, v113, vcc_lo
	v_cndmask_b32_e32 v108, v108, v112, vcc_lo
	v_cndmask_b32_e64 v110, v110, s0, vcc_lo
	s_add_co_i32 s0, s0, 1
	s_delay_alu instid0(SALU_CYCLE_1)
	s_cmp_lg_u32 s18, s0
	s_cbranch_scc1 .LBB100_1051
.LBB100_1052:
	s_wait_dscnt 0x0
	v_cmp_eq_f32_e32 vcc_lo, 0, v108
	v_cmp_eq_f32_e64 s0, 0, v109
	s_and_b32 s0, vcc_lo, s0
	s_delay_alu instid0(SALU_CYCLE_1) | instskip(NEXT) | instid1(SALU_CYCLE_1)
	s_and_saveexec_b32 s1, s0
	s_xor_b32 s0, exec_lo, s1
; %bb.1053:
	v_cmp_ne_u32_e32 vcc_lo, 0, v114
	v_cndmask_b32_e32 v114, 51, v114, vcc_lo
; %bb.1054:
	s_and_not1_saveexec_b32 s0, s0
	s_cbranch_execz .LBB100_1060
; %bb.1055:
	v_cmp_ngt_f32_e64 s1, |v108|, |v109|
	s_and_saveexec_b32 s12, s1
	s_delay_alu instid0(SALU_CYCLE_1)
	s_xor_b32 s1, exec_lo, s12
	s_cbranch_execz .LBB100_1057
; %bb.1056:
	v_div_scale_f32 v111, null, v109, v109, v108
	v_div_scale_f32 v117, vcc_lo, v108, v109, v108
	s_delay_alu instid0(VALU_DEP_2) | instskip(SKIP_1) | instid1(TRANS32_DEP_1)
	v_rcp_f32_e32 v112, v111
	v_nop
	v_fma_f32 v113, -v111, v112, 1.0
	s_delay_alu instid0(VALU_DEP_1) | instskip(NEXT) | instid1(VALU_DEP_1)
	v_fmac_f32_e32 v112, v113, v112
	v_mul_f32_e32 v113, v117, v112
	s_delay_alu instid0(VALU_DEP_1) | instskip(NEXT) | instid1(VALU_DEP_1)
	v_fma_f32 v118, -v111, v113, v117
	v_fmac_f32_e32 v113, v118, v112
	s_delay_alu instid0(VALU_DEP_1) | instskip(NEXT) | instid1(VALU_DEP_1)
	v_fma_f32 v111, -v111, v113, v117
	v_div_fmas_f32 v111, v111, v112, v113
	s_delay_alu instid0(VALU_DEP_1) | instskip(NEXT) | instid1(VALU_DEP_1)
	v_div_fixup_f32 v111, v111, v109, v108
	v_fmac_f32_e32 v109, v108, v111
	s_delay_alu instid0(VALU_DEP_1) | instskip(SKIP_1) | instid1(VALU_DEP_2)
	v_div_scale_f32 v108, null, v109, v109, 1.0
	v_div_scale_f32 v117, vcc_lo, 1.0, v109, 1.0
	v_rcp_f32_e32 v112, v108
	v_nop
	s_delay_alu instid0(TRANS32_DEP_1) | instskip(NEXT) | instid1(VALU_DEP_1)
	v_fma_f32 v113, -v108, v112, 1.0
	v_fmac_f32_e32 v112, v113, v112
	s_delay_alu instid0(VALU_DEP_1) | instskip(NEXT) | instid1(VALU_DEP_1)
	v_mul_f32_e32 v113, v117, v112
	v_fma_f32 v118, -v108, v113, v117
	s_delay_alu instid0(VALU_DEP_1) | instskip(NEXT) | instid1(VALU_DEP_1)
	v_fmac_f32_e32 v113, v118, v112
	v_fma_f32 v108, -v108, v113, v117
	s_delay_alu instid0(VALU_DEP_1) | instskip(NEXT) | instid1(VALU_DEP_1)
	v_div_fmas_f32 v108, v108, v112, v113
	v_div_fixup_f32 v109, v108, v109, 1.0
	s_delay_alu instid0(VALU_DEP_1)
	v_mul_f32_e32 v108, v111, v109
	v_xor_b32_e32 v109, 0x80000000, v109
.LBB100_1057:
	s_and_not1_saveexec_b32 s1, s1
	s_cbranch_execz .LBB100_1059
; %bb.1058:
	s_delay_alu instid0(VALU_DEP_1) | instskip(SKIP_1) | instid1(VALU_DEP_2)
	v_div_scale_f32 v111, null, v108, v108, v109
	v_div_scale_f32 v117, vcc_lo, v109, v108, v109
	v_rcp_f32_e32 v112, v111
	v_nop
	s_delay_alu instid0(TRANS32_DEP_1) | instskip(NEXT) | instid1(VALU_DEP_1)
	v_fma_f32 v113, -v111, v112, 1.0
	v_fmac_f32_e32 v112, v113, v112
	s_delay_alu instid0(VALU_DEP_1) | instskip(NEXT) | instid1(VALU_DEP_1)
	v_mul_f32_e32 v113, v117, v112
	v_fma_f32 v118, -v111, v113, v117
	s_delay_alu instid0(VALU_DEP_1) | instskip(NEXT) | instid1(VALU_DEP_1)
	v_fmac_f32_e32 v113, v118, v112
	v_fma_f32 v111, -v111, v113, v117
	s_delay_alu instid0(VALU_DEP_1) | instskip(NEXT) | instid1(VALU_DEP_1)
	v_div_fmas_f32 v111, v111, v112, v113
	v_div_fixup_f32 v111, v111, v108, v109
	s_delay_alu instid0(VALU_DEP_1) | instskip(NEXT) | instid1(VALU_DEP_1)
	v_fmac_f32_e32 v108, v109, v111
	v_div_scale_f32 v109, null, v108, v108, 1.0
	s_delay_alu instid0(VALU_DEP_1) | instskip(SKIP_1) | instid1(TRANS32_DEP_1)
	v_rcp_f32_e32 v112, v109
	v_nop
	v_fma_f32 v113, -v109, v112, 1.0
	s_delay_alu instid0(VALU_DEP_1) | instskip(SKIP_1) | instid1(VALU_DEP_1)
	v_fmac_f32_e32 v112, v113, v112
	v_div_scale_f32 v113, vcc_lo, 1.0, v108, 1.0
	v_mul_f32_e32 v117, v113, v112
	s_delay_alu instid0(VALU_DEP_1) | instskip(NEXT) | instid1(VALU_DEP_1)
	v_fma_f32 v118, -v109, v117, v113
	v_fmac_f32_e32 v117, v118, v112
	s_delay_alu instid0(VALU_DEP_1) | instskip(NEXT) | instid1(VALU_DEP_1)
	v_fma_f32 v109, -v109, v117, v113
	v_div_fmas_f32 v109, v109, v112, v117
	s_delay_alu instid0(VALU_DEP_1) | instskip(NEXT) | instid1(VALU_DEP_1)
	v_div_fixup_f32 v108, v109, v108, 1.0
	v_mul_f32_e64 v109, v111, -v108
.LBB100_1059:
	s_or_b32 exec_lo, exec_lo, s1
.LBB100_1060:
	s_delay_alu instid0(SALU_CYCLE_1)
	s_or_b32 exec_lo, exec_lo, s0
	v_mov_b32_e32 v112, 50
	s_mov_b32 s0, exec_lo
	v_cmpx_ne_u32_e64 v116, v110
	s_cbranch_execz .LBB100_1066
; %bb.1061:
	s_mov_b32 s1, exec_lo
	v_cmpx_eq_u32_e32 50, v116
	s_cbranch_execz .LBB100_1065
; %bb.1062:
	v_cmp_ne_u32_e32 vcc_lo, 50, v110
	s_xor_b32 s12, s16, -1
	s_delay_alu instid0(SALU_CYCLE_1) | instskip(NEXT) | instid1(SALU_CYCLE_1)
	s_and_b32 s13, s12, vcc_lo
	s_and_saveexec_b32 s12, s13
	s_cbranch_execz .LBB100_1064
; %bb.1063:
	v_ashrrev_i32_e32 v111, 31, v110
	s_delay_alu instid0(VALU_DEP_1)
	v_lshl_add_u64 v[112:113], v[110:111], 2, v[4:5]
	s_clause 0x1
	global_load_b32 v111, v[112:113], off
	global_load_b32 v115, v[4:5], off offset:200
	s_wait_loadcnt 0x1
	global_store_b32 v[4:5], v111, off offset:200
	s_wait_loadcnt 0x0
	global_store_b32 v[112:113], v115, off
.LBB100_1064:
	s_wait_xcnt 0x0
	s_or_b32 exec_lo, exec_lo, s12
	v_dual_mov_b32 v116, v110 :: v_dual_mov_b32 v115, v110
.LBB100_1065:
	s_or_b32 exec_lo, exec_lo, s1
	s_delay_alu instid0(VALU_DEP_1)
	v_mov_b32_e32 v112, v116
.LBB100_1066:
	s_or_b32 exec_lo, exec_lo, s0
	s_delay_alu instid0(VALU_DEP_1)
	v_ashrrev_i32_e32 v113, 31, v112
	s_mov_b32 s0, exec_lo
	s_wait_storecnt 0x0
	s_barrier_signal -1
	s_barrier_wait -1
	s_barrier_signal -1
	s_barrier_wait -1
	v_cmpx_gt_i32_e32 51, v112
	s_cbranch_execz .LBB100_1068
; %bb.1067:
	v_mul_u64_e32 v[4:5], s[10:11], v[2:3]
	v_add3_u32 v110, v115, s17, 1
	s_delay_alu instid0(VALU_DEP_2) | instskip(NEXT) | instid1(VALU_DEP_1)
	v_lshl_add_u64 v[4:5], v[4:5], 2, s[6:7]
	v_lshl_add_u64 v[4:5], s[8:9], 2, v[4:5]
	s_delay_alu instid0(VALU_DEP_1)
	v_lshl_add_u64 v[4:5], v[112:113], 2, v[4:5]
	global_store_b32 v[4:5], v110, off
.LBB100_1068:
	s_wait_xcnt 0x0
	s_or_b32 exec_lo, exec_lo, s0
	s_delay_alu instid0(SALU_CYCLE_1)
	s_mov_b32 s1, exec_lo
	v_cmpx_eq_u32_e32 0, v112
	s_cbranch_execz .LBB100_1071
; %bb.1069:
	s_wait_kmcnt 0x0
	v_lshl_add_u64 v[2:3], v[2:3], 2, s[4:5]
	v_cmp_ne_u32_e64 s0, 0, v114
	global_load_b32 v4, v[2:3], off
	s_wait_loadcnt 0x0
	v_cmp_eq_u32_e32 vcc_lo, 0, v4
	s_and_b32 s0, vcc_lo, s0
	s_wait_xcnt 0x0
	s_and_b32 exec_lo, exec_lo, s0
	s_cbranch_execz .LBB100_1071
; %bb.1070:
	v_add_nc_u32_e32 v4, s17, v114
	global_store_b32 v[2:3], v4, off
.LBB100_1071:
	s_wait_xcnt 0x0
	s_or_b32 exec_lo, exec_lo, s1
	v_add3_u32 v4, s2, s2, v112
	v_pk_mul_f32 v[2:3], v[108:109], v[106:107] op_sel:[1,1] op_sel_hi:[0,1]
	v_cmp_lt_i32_e32 vcc_lo, 50, v112
	v_lshl_add_u64 v[112:113], v[112:113], 3, v[0:1]
	s_delay_alu instid0(VALU_DEP_4) | instskip(NEXT) | instid1(VALU_DEP_4)
	v_add_nc_u32_e32 v110, s2, v4
	v_pk_fma_f32 v[122:123], v[108:109], v[106:107], v[2:3] op_sel_hi:[1,0,1]
	v_pk_fma_f32 v[2:3], v[108:109], v[106:107], v[2:3] neg_lo:[0,0,1] neg_hi:[0,0,1]
	global_store_b64 v[112:113], v[100:101], off
	s_wait_xcnt 0x0
	v_lshl_add_u64 v[100:101], s[2:3], 3, v[112:113]
	v_dual_cndmask_b32 v3, v107, v123 :: v_dual_add_nc_u32 v114, s2, v110
	v_dual_cndmask_b32 v2, v106, v2 :: v_dual_ashrrev_i32 v5, 31, v4
	global_store_b64 v[100:101], v[90:91], off
	v_add_nc_u32_e32 v116, s2, v114
	v_ashrrev_i32_e32 v111, 31, v110
	v_lshl_add_u64 v[4:5], v[4:5], 3, v[0:1]
	s_delay_alu instid0(VALU_DEP_3)
	v_dual_add_nc_u32 v118, s2, v116 :: v_dual_ashrrev_i32 v115, 31, v114
	v_ashrrev_i32_e32 v117, 31, v116
	global_store_b64 v[4:5], v[72:73], off
	s_wait_xcnt 0x0
	v_lshl_add_u64 v[72:73], v[110:111], 3, v[0:1]
	v_dual_add_nc_u32 v120, s2, v118 :: v_dual_ashrrev_i32 v119, 31, v118
	global_store_b64 v[72:73], v[58:59], off
	v_add_nc_u32_e32 v108, s2, v120
	s_wait_xcnt 0x0
	v_lshl_add_u64 v[72:73], v[114:115], 3, v[0:1]
	v_ashrrev_i32_e32 v121, 31, v120
	s_delay_alu instid0(VALU_DEP_3)
	v_add_nc_u32_e32 v106, s2, v108
	global_store_b64 v[72:73], v[24:25], off
	s_wait_xcnt 0x0
	v_lshl_add_u64 v[72:73], v[116:117], 3, v[0:1]
	v_add_nc_u32_e32 v122, s2, v106
	global_store_b64 v[72:73], v[16:17], off
	s_wait_xcnt 0x0
	v_lshl_add_u64 v[72:73], v[118:119], 3, v[0:1]
	v_dual_add_nc_u32 v112, s2, v122 :: v_dual_ashrrev_i32 v109, 31, v108
	v_ashrrev_i32_e32 v107, 31, v106
	global_store_b64 v[72:73], v[8:9], off
	s_wait_xcnt 0x0
	v_lshl_add_u64 v[8:9], v[120:121], 3, v[0:1]
	v_add_nc_u32_e32 v90, s2, v112
	v_lshl_add_u64 v[72:73], v[108:109], 3, v[0:1]
	v_lshl_add_u64 v[106:107], v[106:107], 3, v[0:1]
	s_clause 0x2
	global_store_b64 v[8:9], v[6:7], off
	global_store_b64 v[72:73], v[28:29], off
	;; [unrolled: 1-line block ×3, first 2 shown]
	v_add_nc_u32_e32 v100, s2, v90
	v_dual_ashrrev_i32 v123, 31, v122 :: v_dual_ashrrev_i32 v113, 31, v112
	s_delay_alu instid0(VALU_DEP_2) | instskip(SKIP_1) | instid1(VALU_DEP_2)
	v_dual_ashrrev_i32 v91, 31, v90 :: v_dual_add_nc_u32 v4, s2, v100
	s_wait_xcnt 0x0
	v_lshl_add_u64 v[26:27], v[122:123], 3, v[0:1]
	s_delay_alu instid0(VALU_DEP_3) | instskip(NEXT) | instid1(VALU_DEP_3)
	v_lshl_add_u64 v[28:29], v[112:113], 3, v[0:1]
	v_lshl_add_u64 v[72:73], v[90:91], 3, v[0:1]
	v_add_nc_u32_e32 v110, s2, v4
	s_delay_alu instid0(VALU_DEP_1) | instskip(NEXT) | instid1(VALU_DEP_1)
	v_dual_add_nc_u32 v58, s2, v110 :: v_dual_ashrrev_i32 v111, 31, v110
	v_dual_add_nc_u32 v114, s2, v58 :: v_dual_ashrrev_i32 v59, 31, v58
	s_delay_alu instid0(VALU_DEP_1) | instskip(NEXT) | instid1(VALU_DEP_1)
	v_add_nc_u32_e32 v24, s2, v114
	v_add_nc_u32_e32 v116, s2, v24
	v_dual_ashrrev_i32 v5, 31, v4 :: v_dual_ashrrev_i32 v115, 31, v114
	s_delay_alu instid0(VALU_DEP_2) | instskip(NEXT) | instid1(VALU_DEP_2)
	v_add_nc_u32_e32 v16, s2, v116
	v_lshl_add_u64 v[4:5], v[4:5], 3, v[0:1]
	s_delay_alu instid0(VALU_DEP_2) | instskip(NEXT) | instid1(VALU_DEP_1)
	v_dual_add_nc_u32 v118, s2, v16 :: v_dual_ashrrev_i32 v17, 31, v16
	v_add_nc_u32_e32 v108, s2, v118
	s_delay_alu instid0(VALU_DEP_2) | instskip(NEXT) | instid1(VALU_DEP_2)
	v_lshl_add_u64 v[16:17], v[16:17], 3, v[0:1]
	v_dual_ashrrev_i32 v119, 31, v118 :: v_dual_add_nc_u32 v6, s2, v108
	v_ashrrev_i32_e32 v101, 31, v100
	v_ashrrev_i32_e32 v117, 31, v116
	s_delay_alu instid0(VALU_DEP_3) | instskip(NEXT) | instid1(VALU_DEP_3)
	v_dual_ashrrev_i32 v109, 31, v108 :: v_dual_add_nc_u32 v8, s2, v6
	v_lshl_add_u64 v[90:91], v[100:101], 3, v[0:1]
	s_clause 0x3
	global_store_b64 v[26:27], v[12:13], off
	global_store_b64 v[28:29], v[10:11], off
	;; [unrolled: 1-line block ×4, first 2 shown]
	s_wait_xcnt 0x3
	v_lshl_add_u64 v[26:27], v[110:111], 3, v[0:1]
	v_add_nc_u32_e32 v100, s2, v8
	s_wait_xcnt 0x2
	v_lshl_add_u64 v[28:29], v[58:59], 3, v[0:1]
	s_wait_xcnt 0x0
	v_lshl_add_u64 v[34:35], v[114:115], 3, v[0:1]
	s_clause 0x3
	global_store_b64 v[4:5], v[18:19], off
	global_store_b64 v[26:27], v[14:15], off
	;; [unrolled: 1-line block ×4, first 2 shown]
	v_dual_add_nc_u32 v10, s2, v100 :: v_dual_ashrrev_i32 v7, 31, v6
	v_ashrrev_i32_e32 v9, 31, v8
	v_ashrrev_i32_e32 v101, 31, v100
	s_wait_xcnt 0x2
	v_lshl_add_u64 v[26:27], v[118:119], 3, v[0:1]
	v_add_nc_u32_e32 v12, s2, v10
	v_lshl_add_u64 v[6:7], v[6:7], 3, v[0:1]
	v_lshl_add_u64 v[8:9], v[8:9], 3, v[0:1]
	s_delay_alu instid0(VALU_DEP_3) | instskip(NEXT) | instid1(VALU_DEP_1)
	v_dual_ashrrev_i32 v11, 31, v10 :: v_dual_add_nc_u32 v36, s2, v12
	v_lshl_add_u64 v[10:11], v[10:11], 3, v[0:1]
	s_delay_alu instid0(VALU_DEP_2) | instskip(NEXT) | instid1(VALU_DEP_1)
	v_dual_add_nc_u32 v4, s2, v36 :: v_dual_ashrrev_i32 v37, 31, v36
	v_add_nc_u32_e32 v14, s2, v4
	v_ashrrev_i32_e32 v25, 31, v24
	s_wait_xcnt 0x1
	s_delay_alu instid0(VALU_DEP_2) | instskip(NEXT) | instid1(VALU_DEP_2)
	v_dual_ashrrev_i32 v5, 31, v4 :: v_dual_add_nc_u32 v28, s2, v14
	v_lshl_add_u64 v[18:19], v[24:25], 3, v[0:1]
	v_lshl_add_u64 v[24:25], v[116:117], 3, v[0:1]
	s_clause 0x3
	global_store_b64 v[18:19], v[22:23], off
	global_store_b64 v[24:25], v[20:21], off
	;; [unrolled: 1-line block ×4, first 2 shown]
	s_wait_xcnt 0x1
	v_add_nc_u32_e32 v16, s2, v28
	v_lshl_add_u64 v[20:21], v[108:109], 3, v[0:1]
	v_lshl_add_u64 v[22:23], v[100:101], 3, v[0:1]
	s_clause 0x3
	global_store_b64 v[20:21], v[32:33], off
	global_store_b64 v[6:7], v[30:31], off
	;; [unrolled: 1-line block ×4, first 2 shown]
	v_add_nc_u32_e32 v18, s2, v16
	v_ashrrev_i32_e32 v13, 31, v12
	s_wait_xcnt 0x3
	v_lshl_add_u64 v[20:21], v[36:37], 3, v[0:1]
	v_lshl_add_u64 v[4:5], v[4:5], 3, v[0:1]
	v_add_nc_u32_e32 v24, s2, v18
	v_ashrrev_i32_e32 v15, 31, v14
	v_ashrrev_i32_e32 v19, 31, v18
	v_lshl_add_u64 v[12:13], v[12:13], 3, v[0:1]
	s_clause 0x3
	global_store_b64 v[10:11], v[40:41], off
	global_store_b64 v[12:13], v[38:39], off
	global_store_b64 v[20:21], v[70:71], off
	global_store_b64 v[4:5], v[68:69], off
	s_wait_xcnt 0x6
	v_add_nc_u32_e32 v6, s2, v24
	v_ashrrev_i32_e32 v29, 31, v28
	s_wait_xcnt 0x2
	v_lshl_add_u64 v[12:13], v[14:15], 3, v[0:1]
	v_lshl_add_u64 v[18:19], v[18:19], 3, v[0:1]
	v_dual_add_nc_u32 v8, s2, v6 :: v_dual_ashrrev_i32 v7, 31, v6
	v_lshl_add_u64 v[14:15], v[28:29], 3, v[0:1]
	s_delay_alu instid0(VALU_DEP_2) | instskip(SKIP_1) | instid1(VALU_DEP_4)
	v_add_nc_u32_e32 v22, s2, v8
	v_ashrrev_i32_e32 v17, 31, v16
	v_lshl_add_u64 v[6:7], v[6:7], 3, v[0:1]
	s_wait_xcnt 0x0
	s_delay_alu instid0(VALU_DEP_3) | instskip(NEXT) | instid1(VALU_DEP_3)
	v_dual_add_nc_u32 v4, s2, v22 :: v_dual_ashrrev_i32 v23, 31, v22
	v_lshl_add_u64 v[16:17], v[16:17], 3, v[0:1]
	s_clause 0x3
	global_store_b64 v[12:13], v[48:49], off
	global_store_b64 v[14:15], v[46:47], off
	global_store_b64 v[16:17], v[84:85], off
	global_store_b64 v[18:19], v[82:83], off
	v_add_nc_u32_e32 v10, s2, v4
	s_wait_xcnt 0x0
	v_lshl_add_u64 v[18:19], v[22:23], 3, v[0:1]
	s_delay_alu instid0(VALU_DEP_2) | instskip(SKIP_1) | instid1(VALU_DEP_2)
	v_dual_ashrrev_i32 v9, 31, v8 :: v_dual_ashrrev_i32 v11, 31, v10
	v_add_nc_u32_e32 v20, s2, v10
	v_lshl_add_u64 v[8:9], v[8:9], 3, v[0:1]
	s_delay_alu instid0(VALU_DEP_3) | instskip(NEXT) | instid1(VALU_DEP_3)
	v_lshl_add_u64 v[10:11], v[10:11], 3, v[0:1]
	v_add_nc_u32_e32 v12, s2, v20
	s_delay_alu instid0(VALU_DEP_1) | instskip(NEXT) | instid1(VALU_DEP_1)
	v_add_nc_u32_e32 v14, s2, v12
	v_dual_add_nc_u32 v22, s2, v14 :: v_dual_ashrrev_i32 v25, 31, v24
	v_dual_ashrrev_i32 v13, 31, v12 :: v_dual_ashrrev_i32 v15, 31, v14
	s_delay_alu instid0(VALU_DEP_2)
	v_lshl_add_u64 v[16:17], v[24:25], 3, v[0:1]
	s_clause 0x3
	global_store_b64 v[16:17], v[56:57], off
	global_store_b64 v[6:7], v[54:55], off
	;; [unrolled: 1-line block ×4, first 2 shown]
	s_wait_xcnt 0x2
	v_dual_add_nc_u32 v6, s2, v22 :: v_dual_ashrrev_i32 v5, 31, v4
	v_lshl_add_u64 v[12:13], v[12:13], 3, v[0:1]
	s_wait_xcnt 0x1
	s_delay_alu instid0(VALU_DEP_2) | instskip(NEXT) | instid1(VALU_DEP_3)
	v_add_nc_u32_e32 v8, s2, v6
	v_lshl_add_u64 v[4:5], v[4:5], 3, v[0:1]
	s_delay_alu instid0(VALU_DEP_2) | instskip(SKIP_3) | instid1(VALU_DEP_3)
	v_dual_ashrrev_i32 v23, 31, v22 :: v_dual_ashrrev_i32 v9, 31, v8
	s_wait_xcnt 0x0
	v_add_nc_u32_e32 v18, s2, v8
	v_ashrrev_i32_e32 v21, 31, v20
	v_lshl_add_u64 v[8:9], v[8:9], 3, v[0:1]
	s_delay_alu instid0(VALU_DEP_3) | instskip(NEXT) | instid1(VALU_DEP_3)
	v_ashrrev_i32_e32 v19, 31, v18
	v_lshl_add_u64 v[16:17], v[20:21], 3, v[0:1]
	s_clause 0x3
	global_store_b64 v[4:5], v[66:67], off
	global_store_b64 v[10:11], v[64:65], off
	;; [unrolled: 1-line block ×4, first 2 shown]
	s_wait_xcnt 0x3
	v_add_nc_u32_e32 v4, s2, v18
	v_ashrrev_i32_e32 v7, 31, v6
	s_wait_xcnt 0x0
	v_lshl_add_u64 v[12:13], v[14:15], 3, v[0:1]
	v_lshl_add_u64 v[14:15], v[22:23], 3, v[0:1]
	v_add_nc_u32_e32 v10, s2, v4
	v_lshl_add_u64 v[6:7], v[6:7], 3, v[0:1]
	s_clause 0x3
	global_store_b64 v[12:13], v[76:77], off
	global_store_b64 v[14:15], v[74:75], off
	global_store_b64 v[6:7], v[98:99], off
	global_store_b64 v[8:9], v[96:97], off
	v_dual_add_nc_u32 v16, s2, v10 :: v_dual_ashrrev_i32 v5, 31, v4
	v_ashrrev_i32_e32 v11, 31, v10
	s_wait_xcnt 0x0
	v_lshl_add_u64 v[8:9], v[18:19], 3, v[0:1]
	s_delay_alu instid0(VALU_DEP_3) | instskip(SKIP_2) | instid1(VALU_DEP_3)
	v_dual_add_nc_u32 v6, s2, v16 :: v_dual_ashrrev_i32 v17, 31, v16
	v_lshl_add_u64 v[4:5], v[4:5], 3, v[0:1]
	v_lshl_add_u64 v[10:11], v[10:11], 3, v[0:1]
	v_ashrrev_i32_e32 v7, 31, v6
	s_delay_alu instid0(VALU_DEP_4) | instskip(NEXT) | instid1(VALU_DEP_2)
	v_lshl_add_u64 v[12:13], v[16:17], 3, v[0:1]
	v_lshl_add_u64 v[0:1], v[6:7], 3, v[0:1]
	s_clause 0x4
	global_store_b64 v[8:9], v[80:81], off
	global_store_b64 v[4:5], v[78:79], off
	;; [unrolled: 1-line block ×5, first 2 shown]
.LBB100_1072:
	s_sendmsg sendmsg(MSG_DEALLOC_VGPRS)
	s_endpgm
	.section	.rodata,"a",@progbits
	.p2align	6, 0x0
	.amdhsa_kernel _ZN9rocsolver6v33100L18getf2_small_kernelILi51E19rocblas_complex_numIfEiiPS3_EEvT1_T3_lS5_lPS5_llPT2_S5_S5_S7_l
		.amdhsa_group_segment_fixed_size 0
		.amdhsa_private_segment_fixed_size 0
		.amdhsa_kernarg_size 352
		.amdhsa_user_sgpr_count 2
		.amdhsa_user_sgpr_dispatch_ptr 0
		.amdhsa_user_sgpr_queue_ptr 0
		.amdhsa_user_sgpr_kernarg_segment_ptr 1
		.amdhsa_user_sgpr_dispatch_id 0
		.amdhsa_user_sgpr_kernarg_preload_length 0
		.amdhsa_user_sgpr_kernarg_preload_offset 0
		.amdhsa_user_sgpr_private_segment_size 0
		.amdhsa_wavefront_size32 1
		.amdhsa_uses_dynamic_stack 0
		.amdhsa_enable_private_segment 0
		.amdhsa_system_sgpr_workgroup_id_x 1
		.amdhsa_system_sgpr_workgroup_id_y 1
		.amdhsa_system_sgpr_workgroup_id_z 0
		.amdhsa_system_sgpr_workgroup_info 0
		.amdhsa_system_vgpr_workitem_id 1
		.amdhsa_next_free_vgpr 128
		.amdhsa_next_free_sgpr 19
		.amdhsa_named_barrier_count 0
		.amdhsa_reserve_vcc 1
		.amdhsa_float_round_mode_32 0
		.amdhsa_float_round_mode_16_64 0
		.amdhsa_float_denorm_mode_32 3
		.amdhsa_float_denorm_mode_16_64 3
		.amdhsa_fp16_overflow 0
		.amdhsa_memory_ordered 1
		.amdhsa_forward_progress 1
		.amdhsa_inst_pref_size 255
		.amdhsa_round_robin_scheduling 0
		.amdhsa_exception_fp_ieee_invalid_op 0
		.amdhsa_exception_fp_denorm_src 0
		.amdhsa_exception_fp_ieee_div_zero 0
		.amdhsa_exception_fp_ieee_overflow 0
		.amdhsa_exception_fp_ieee_underflow 0
		.amdhsa_exception_fp_ieee_inexact 0
		.amdhsa_exception_int_div_zero 0
	.end_amdhsa_kernel
	.section	.text._ZN9rocsolver6v33100L18getf2_small_kernelILi51E19rocblas_complex_numIfEiiPS3_EEvT1_T3_lS5_lPS5_llPT2_S5_S5_S7_l,"axG",@progbits,_ZN9rocsolver6v33100L18getf2_small_kernelILi51E19rocblas_complex_numIfEiiPS3_EEvT1_T3_lS5_lPS5_llPT2_S5_S5_S7_l,comdat
.Lfunc_end100:
	.size	_ZN9rocsolver6v33100L18getf2_small_kernelILi51E19rocblas_complex_numIfEiiPS3_EEvT1_T3_lS5_lPS5_llPT2_S5_S5_S7_l, .Lfunc_end100-_ZN9rocsolver6v33100L18getf2_small_kernelILi51E19rocblas_complex_numIfEiiPS3_EEvT1_T3_lS5_lPS5_llPT2_S5_S5_S7_l
                                        ; -- End function
	.set _ZN9rocsolver6v33100L18getf2_small_kernelILi51E19rocblas_complex_numIfEiiPS3_EEvT1_T3_lS5_lPS5_llPT2_S5_S5_S7_l.num_vgpr, 128
	.set _ZN9rocsolver6v33100L18getf2_small_kernelILi51E19rocblas_complex_numIfEiiPS3_EEvT1_T3_lS5_lPS5_llPT2_S5_S5_S7_l.num_agpr, 0
	.set _ZN9rocsolver6v33100L18getf2_small_kernelILi51E19rocblas_complex_numIfEiiPS3_EEvT1_T3_lS5_lPS5_llPT2_S5_S5_S7_l.numbered_sgpr, 19
	.set _ZN9rocsolver6v33100L18getf2_small_kernelILi51E19rocblas_complex_numIfEiiPS3_EEvT1_T3_lS5_lPS5_llPT2_S5_S5_S7_l.num_named_barrier, 0
	.set _ZN9rocsolver6v33100L18getf2_small_kernelILi51E19rocblas_complex_numIfEiiPS3_EEvT1_T3_lS5_lPS5_llPT2_S5_S5_S7_l.private_seg_size, 0
	.set _ZN9rocsolver6v33100L18getf2_small_kernelILi51E19rocblas_complex_numIfEiiPS3_EEvT1_T3_lS5_lPS5_llPT2_S5_S5_S7_l.uses_vcc, 1
	.set _ZN9rocsolver6v33100L18getf2_small_kernelILi51E19rocblas_complex_numIfEiiPS3_EEvT1_T3_lS5_lPS5_llPT2_S5_S5_S7_l.uses_flat_scratch, 0
	.set _ZN9rocsolver6v33100L18getf2_small_kernelILi51E19rocblas_complex_numIfEiiPS3_EEvT1_T3_lS5_lPS5_llPT2_S5_S5_S7_l.has_dyn_sized_stack, 0
	.set _ZN9rocsolver6v33100L18getf2_small_kernelILi51E19rocblas_complex_numIfEiiPS3_EEvT1_T3_lS5_lPS5_llPT2_S5_S5_S7_l.has_recursion, 0
	.set _ZN9rocsolver6v33100L18getf2_small_kernelILi51E19rocblas_complex_numIfEiiPS3_EEvT1_T3_lS5_lPS5_llPT2_S5_S5_S7_l.has_indirect_call, 0
	.section	.AMDGPU.csdata,"",@progbits
; Kernel info:
; codeLenInByte = 124920
; TotalNumSgprs: 21
; NumVgprs: 128
; ScratchSize: 0
; MemoryBound: 0
; FloatMode: 240
; IeeeMode: 1
; LDSByteSize: 0 bytes/workgroup (compile time only)
; SGPRBlocks: 0
; VGPRBlocks: 7
; NumSGPRsForWavesPerEU: 21
; NumVGPRsForWavesPerEU: 128
; NamedBarCnt: 0
; Occupancy: 8
; WaveLimiterHint : 0
; COMPUTE_PGM_RSRC2:SCRATCH_EN: 0
; COMPUTE_PGM_RSRC2:USER_SGPR: 2
; COMPUTE_PGM_RSRC2:TRAP_HANDLER: 0
; COMPUTE_PGM_RSRC2:TGID_X_EN: 1
; COMPUTE_PGM_RSRC2:TGID_Y_EN: 1
; COMPUTE_PGM_RSRC2:TGID_Z_EN: 0
; COMPUTE_PGM_RSRC2:TIDIG_COMP_CNT: 1
	.section	.text._ZN9rocsolver6v33100L23getf2_npvt_small_kernelILi51E19rocblas_complex_numIfEiiPS3_EEvT1_T3_lS5_lPT2_S5_S5_,"axG",@progbits,_ZN9rocsolver6v33100L23getf2_npvt_small_kernelILi51E19rocblas_complex_numIfEiiPS3_EEvT1_T3_lS5_lPT2_S5_S5_,comdat
	.globl	_ZN9rocsolver6v33100L23getf2_npvt_small_kernelILi51E19rocblas_complex_numIfEiiPS3_EEvT1_T3_lS5_lPT2_S5_S5_ ; -- Begin function _ZN9rocsolver6v33100L23getf2_npvt_small_kernelILi51E19rocblas_complex_numIfEiiPS3_EEvT1_T3_lS5_lPT2_S5_S5_
	.p2align	8
	.type	_ZN9rocsolver6v33100L23getf2_npvt_small_kernelILi51E19rocblas_complex_numIfEiiPS3_EEvT1_T3_lS5_lPT2_S5_S5_,@function
_ZN9rocsolver6v33100L23getf2_npvt_small_kernelILi51E19rocblas_complex_numIfEiiPS3_EEvT1_T3_lS5_lPT2_S5_S5_: ; @_ZN9rocsolver6v33100L23getf2_npvt_small_kernelILi51E19rocblas_complex_numIfEiiPS3_EEvT1_T3_lS5_lPT2_S5_S5_
; %bb.0:
	s_clause 0x1
	s_load_u16 s14, s[0:1], 0x46
	s_load_b64 s[2:3], s[0:1], 0x30
	s_bfe_u32 s4, ttmp6, 0x40010
	s_bfe_u32 s5, ttmp6, 0x40004
	s_add_co_i32 s4, s4, 1
	s_getreg_b32 s6, hwreg(HW_REG_IB_STS2, 6, 4)
	s_mul_i32 s4, ttmp7, s4
	v_bfe_u32 v42, v0, 10, 10
	s_add_co_i32 s5, s5, s4
	s_cmp_eq_u32 s6, 0
	s_cselect_b32 s4, ttmp7, s5
	s_wait_kmcnt 0x0
	v_mad_u32 v138, s4, s14, v42
	s_delay_alu instid0(VALU_DEP_1)
	v_cmp_gt_i32_e32 vcc_lo, s2, v138
	s_and_saveexec_b32 s2, vcc_lo
	s_cbranch_execz .LBB101_462
; %bb.1:
	s_clause 0x1
	s_load_b32 s12, s[0:1], 0x18
	s_load_b128 s[8:11], s[0:1], 0x8
	v_and_b32_e32 v102, 0x3ff, v0
	s_load_b128 s[4:7], s[0:1], 0x20
	s_mulk_i32 s14, 0x198
	v_mad_u32_u24 v104, 0x198, v42, 0
	v_mov_b32_e32 v33, 0
	s_wait_xcnt 0x0
	v_cmp_ne_u32_e64 s1, 0, v102
	v_cmp_eq_u32_e64 s0, 0, v102
	s_wait_kmcnt 0x0
	v_add3_u32 v28, s12, s12, v102
	v_lshlrev_b32_e32 v32, 3, v102
	s_ashr_i32 s13, s12, 31
	s_delay_alu instid0(VALU_DEP_2) | instskip(NEXT) | instid1(VALU_DEP_1)
	v_dual_add_nc_u32 v18, s12, v28 :: v_dual_ashrrev_i32 v29, 31, v28
	v_add_nc_u32_e32 v20, s12, v18
	s_delay_alu instid0(VALU_DEP_1) | instskip(NEXT) | instid1(VALU_DEP_1)
	v_add_nc_u32_e32 v22, s12, v20
	v_add_nc_u32_e32 v24, s12, v22
	s_delay_alu instid0(VALU_DEP_1) | instskip(SKIP_2) | instid1(VALU_DEP_2)
	v_dual_ashrrev_i32 v19, 31, v18 :: v_dual_ashrrev_i32 v25, 31, v24
	v_add_nc_u32_e32 v12, s12, v24
	v_ashrrev_i32_e32 v21, 31, v20
	v_dual_add_nc_u32 v26, s12, v12 :: v_dual_ashrrev_i32 v13, 31, v12
	s_delay_alu instid0(VALU_DEP_1) | instskip(NEXT) | instid1(VALU_DEP_1)
	v_add_nc_u32_e32 v14, s12, v26
	v_add_nc_u32_e32 v8, s12, v14
	s_delay_alu instid0(VALU_DEP_1) | instskip(NEXT) | instid1(VALU_DEP_1)
	v_dual_ashrrev_i32 v139, 31, v138 :: v_dual_add_nc_u32 v0, s12, v8
	v_mul_u64_e32 v[16:17], s[4:5], v[138:139]
	s_delay_alu instid0(VALU_DEP_2) | instskip(NEXT) | instid1(VALU_DEP_1)
	v_add_nc_u32_e32 v4, s12, v0
	v_add_nc_u32_e32 v2, s12, v4
	s_delay_alu instid0(VALU_DEP_1) | instskip(NEXT) | instid1(VALU_DEP_1)
	v_dual_add_nc_u32 v6, s12, v2 :: v_dual_ashrrev_i32 v5, 31, v4
	v_dual_ashrrev_i32 v7, 31, v6 :: v_dual_add_nc_u32 v10, s12, v6
	v_ashrrev_i32_e32 v3, 31, v2
	s_delay_alu instid0(VALU_DEP_2) | instskip(NEXT) | instid1(VALU_DEP_1)
	v_dual_add_nc_u32 v30, s12, v10 :: v_dual_ashrrev_i32 v11, 31, v10
	v_dual_add_nc_u32 v46, s12, v30 :: v_dual_ashrrev_i32 v31, 31, v30
	v_lshl_add_u64 v[16:17], v[16:17], 3, s[8:9]
	s_delay_alu instid0(VALU_DEP_2) | instskip(SKIP_1) | instid1(VALU_DEP_3)
	v_add_nc_u32_e32 v48, s12, v46
	v_ashrrev_i32_e32 v23, 31, v22
	v_lshl_add_u64 v[50:51], s[10:11], 3, v[16:17]
	s_delay_alu instid0(VALU_DEP_3) | instskip(SKIP_1) | instid1(VALU_DEP_3)
	v_dual_ashrrev_i32 v47, 31, v46 :: v_dual_add_nc_u32 v60, s12, v48
	v_ashrrev_i32_e32 v27, 31, v26
	v_lshl_add_u64 v[132:133], v[28:29], 3, v[50:51]
	v_lshl_add_u64 v[148:149], v[18:19], 3, v[50:51]
	;; [unrolled: 1-line block ×3, first 2 shown]
	v_dual_add_nc_u32 v28, s12, v60 :: v_dual_ashrrev_i32 v15, 31, v14
	v_lshl_add_u64 v[166:167], v[4:5], 3, v[50:51]
	v_lshl_add_u64 v[170:171], v[2:3], 3, v[50:51]
	v_lshl_add_u64 v[172:173], v[6:7], 3, v[50:51]
	s_delay_alu instid0(VALU_DEP_4)
	v_add_nc_u32_e32 v18, s12, v28
	v_ashrrev_i32_e32 v9, 31, v8
	v_lshl_add_u64 v[152:153], v[14:15], 3, v[50:51]
	v_lshl_add_u64 v[182:183], v[10:11], 3, v[50:51]
	;; [unrolled: 1-line block ×3, first 2 shown]
	v_add_nc_u32_e32 v12, s12, v18
	v_lshl_add_u64 v[154:155], v[8:9], 3, v[50:51]
	v_add_nc_u64_e32 v[16:17], v[50:51], v[32:33]
	v_lshl_add_u64 v[150:151], v[20:21], 3, v[50:51]
	v_lshl_add_u64 v[136:137], v[26:27], 3, v[50:51]
	v_add_nc_u32_e32 v14, s12, v12
	v_ashrrev_i32_e32 v1, 31, v0
	v_lshl_add_u64 v[120:121], v[22:23], 3, v[50:51]
	v_lshl_add_u64 v[130:131], v[24:25], 3, v[50:51]
	;; [unrolled: 1-line block ×3, first 2 shown]
	v_add_nc_u32_e32 v8, s12, v14
	v_lshl_add_u64 v[164:165], v[0:1], 3, v[50:51]
	v_ashrrev_i32_e32 v15, 31, v14
	s_clause 0x7
	global_load_b64 v[26:27], v[150:151], off
	global_load_b64 v[22:23], v[120:121], off
	;; [unrolled: 1-line block ×8, first 2 shown]
	v_dual_add_nc_u32 v0, s12, v8 :: v_dual_ashrrev_i32 v9, 31, v8
	v_lshl_add_u64 v[212:213], v[14:15], 3, v[50:51]
	s_clause 0x7
	global_load_b64 v[40:41], v[136:137], off
	global_load_b64 v[36:37], v[152:153], off
	;; [unrolled: 1-line block ×8, first 2 shown]
	v_add_nc_u32_e32 v4, s12, v0
	v_lshl_add_u64 v[214:215], v[8:9], 3, v[50:51]
	v_ashrrev_i32_e32 v49, 31, v48
	v_lshl_add_u64 v[186:187], v[46:47], 3, v[50:51]
	v_ashrrev_i32_e32 v61, 31, v60
	v_add_nc_u32_e32 v2, s12, v4
	v_ashrrev_i32_e32 v13, 31, v12
	v_lshl_add_u64 v[188:189], v[48:49], 3, v[50:51]
	s_delay_alu instid0(VALU_DEP_4) | instskip(NEXT) | instid1(VALU_DEP_4)
	v_lshl_add_u64 v[190:191], v[60:61], 3, v[50:51]
	v_add_nc_u32_e32 v6, s12, v2
	s_clause 0x3
	global_load_b64 v[76:77], v[184:185], off
	global_load_b64 v[72:73], v[186:187], off
	;; [unrolled: 1-line block ×4, first 2 shown]
	v_lshl_add_u64 v[210:211], v[12:13], 3, v[50:51]
	v_ashrrev_i32_e32 v3, 31, v2
	v_dual_add_nc_u32 v10, s12, v6 :: v_dual_ashrrev_i32 v29, 31, v28
	v_ashrrev_i32_e32 v5, 31, v4
	s_delay_alu instid0(VALU_DEP_3) | instskip(SKIP_1) | instid1(VALU_DEP_4)
	v_lshl_add_u64 v[220:221], v[2:3], 3, v[50:51]
	v_ashrrev_i32_e32 v7, 31, v6
	v_add_nc_u32_e32 v30, s12, v10
	v_lshl_add_u64 v[206:207], v[28:29], 3, v[50:51]
	v_ashrrev_i32_e32 v11, 31, v10
	v_lshl_add_u64 v[218:219], v[4:5], 3, v[50:51]
	v_lshl_add_u64 v[222:223], v[6:7], 3, v[50:51]
	v_add_nc_u32_e32 v28, s12, v30
	v_ashrrev_i32_e32 v19, 31, v18
	v_lshl_add_u64 v[224:225], v[10:11], 3, v[50:51]
	s_delay_alu instid0(VALU_DEP_3) | instskip(NEXT) | instid1(VALU_DEP_3)
	v_dual_ashrrev_i32 v31, 31, v30 :: v_dual_add_nc_u32 v32, s12, v28
	v_lshl_add_u64 v[208:209], v[18:19], 3, v[50:51]
	s_clause 0x3
	global_load_b64 v[94:95], v[206:207], off
	global_load_b64 v[90:91], v[208:209], off
	;; [unrolled: 1-line block ×4, first 2 shown]
	v_add_nc_u32_e32 v18, s12, v32
	v_ashrrev_i32_e32 v1, 31, v0
	v_ashrrev_i32_e32 v29, 31, v28
	v_lshl_add_u64 v[226:227], v[30:31], 3, v[50:51]
	s_delay_alu instid0(VALU_DEP_4) | instskip(NEXT) | instid1(VALU_DEP_4)
	v_add_nc_u32_e32 v8, s12, v18
	v_lshl_add_u64 v[216:217], v[0:1], 3, v[50:51]
	v_ashrrev_i32_e32 v19, 31, v18
	v_lshl_add_u64 v[228:229], v[28:29], 3, v[50:51]
	s_clause 0x3
	global_load_b64 v[112:113], v[214:215], off
	global_load_b64 v[108:109], v[216:217], off
	;; [unrolled: 1-line block ×4, first 2 shown]
	v_add_nc_u32_e32 v12, s12, v8
	v_lshl_add_u64 v[232:233], v[18:19], 3, v[50:51]
	s_clause 0x3
	global_load_b64 v[128:129], v[222:223], off
	global_load_b64 v[124:125], v[224:225], off
	;; [unrolled: 1-line block ×4, first 2 shown]
	v_add_nc_u32_e32 v0, s12, v12
	s_delay_alu instid0(VALU_DEP_1) | instskip(NEXT) | instid1(VALU_DEP_1)
	v_add_nc_u32_e32 v2, s12, v0
	v_dual_ashrrev_i32 v13, 31, v12 :: v_dual_ashrrev_i32 v3, 31, v2
	v_add_nc_u32_e32 v4, s12, v2
	s_delay_alu instid0(VALU_DEP_2) | instskip(NEXT) | instid1(VALU_DEP_3)
	v_lshl_add_u64 v[236:237], v[12:13], 3, v[50:51]
	v_lshl_add_u64 v[240:241], v[2:3], 3, v[50:51]
	s_delay_alu instid0(VALU_DEP_3) | instskip(NEXT) | instid1(VALU_DEP_1)
	v_add_nc_u32_e32 v6, s12, v4
	v_dual_ashrrev_i32 v33, 31, v32 :: v_dual_add_nc_u32 v10, s12, v6
	v_ashrrev_i32_e32 v5, 31, v4
	s_delay_alu instid0(VALU_DEP_2) | instskip(NEXT) | instid1(VALU_DEP_3)
	v_lshl_add_u64 v[230:231], v[32:33], 3, v[50:51]
	v_dual_add_nc_u32 v14, s12, v10 :: v_dual_ashrrev_i32 v9, 31, v8
	v_ashrrev_i32_e32 v11, 31, v10
	s_delay_alu instid0(VALU_DEP_4) | instskip(SKIP_1) | instid1(VALU_DEP_4)
	v_lshl_add_u64 v[242:243], v[4:5], 3, v[50:51]
	v_ashrrev_i32_e32 v7, 31, v6
	v_dual_add_nc_u32 v18, s12, v14 :: v_dual_ashrrev_i32 v1, 31, v0
	v_lshl_add_u64 v[234:235], v[8:9], 3, v[50:51]
	v_lshl_add_u64 v[246:247], v[10:11], 3, v[50:51]
	s_clause 0x3
	global_load_b64 v[146:147], v[230:231], off
	global_load_b64 v[142:143], v[232:233], off
	;; [unrolled: 1-line block ×4, first 2 shown]
	v_lshl_add_u64 v[238:239], v[0:1], 3, v[50:51]
	v_add_nc_u32_e32 v0, s12, v18
	v_ashrrev_i32_e32 v15, 31, v14
	v_lshl_add_u64 v[244:245], v[6:7], 3, v[50:51]
	s_clause 0x3
	global_load_b64 v[162:163], v[238:239], off
	global_load_b64 v[158:159], v[240:241], off
	;; [unrolled: 1-line block ×4, first 2 shown]
	v_dual_add_nc_u32 v8, s12, v0 :: v_dual_ashrrev_i32 v1, 31, v0
	v_lshl_add_u64 v[248:249], v[14:15], 3, v[50:51]
	s_delay_alu instid0(VALU_DEP_2) | instskip(NEXT) | instid1(VALU_DEP_3)
	v_dual_ashrrev_i32 v19, 31, v18 :: v_dual_add_nc_u32 v2, s12, v8
	v_lshl_add_u64 v[252:253], v[0:1], 3, v[50:51]
	s_delay_alu instid0(VALU_DEP_2)
	v_lshl_add_u64 v[250:251], v[18:19], 3, v[50:51]
	s_clause 0x3
	global_load_b64 v[180:181], v[246:247], off
	global_load_b64 v[176:177], v[248:249], off
	;; [unrolled: 1-line block ×4, first 2 shown]
	v_add_nc_u32_e32 v4, s12, v2
	s_delay_alu instid0(VALU_DEP_1) | instskip(SKIP_1) | instid1(VALU_DEP_2)
	v_add_nc_u32_e32 v6, s12, v4
	v_ashrrev_i32_e32 v9, 31, v8
	v_dual_ashrrev_i32 v5, 31, v4 :: v_dual_add_nc_u32 v10, s12, v6
	s_delay_alu instid0(VALU_DEP_2) | instskip(NEXT) | instid1(VALU_DEP_2)
	v_lshl_add_u64 v[254:255], v[8:9], 3, v[50:51]
	v_lshl_add_u64 v[4:5], v[4:5], 3, v[50:51]
	s_delay_alu instid0(VALU_DEP_3)
	v_add_nc_u32_e32 v0, s12, v10
	v_ashrrev_i32_e32 v3, 31, v2
	v_ashrrev_i32_e32 v7, 31, v6
	;; [unrolled: 1-line block ×3, first 2 shown]
	global_load_b64 v[200:201], v[254:255], off
	v_ashrrev_i32_e32 v1, 31, v0
	v_lshl_add_u64 v[8:9], v[2:3], 3, v[50:51]
	v_add_nc_u32_e32 v2, s12, v0
	v_lshl_add_u64 v[6:7], v[6:7], 3, v[50:51]
	v_lshl_add_u64 v[10:11], v[10:11], 3, v[50:51]
	;; [unrolled: 1-line block ×3, first 2 shown]
	s_clause 0x2
	global_load_b64 v[194:195], v[8:9], off
	global_load_b64 v[198:199], v[4:5], off
	;; [unrolled: 1-line block ×3, first 2 shown]
	v_ashrrev_i32_e32 v3, 31, v2
	s_clause 0x1
	global_load_b64 v[196:197], v[10:11], off
	global_load_b64 v[202:203], v[12:13], off
	s_clause 0x2
	scratch_store_b64 off, v[6:7], off offset:24
	scratch_store_b64 off, v[10:11], off offset:32
	;; [unrolled: 1-line block ×3, first 2 shown]
	v_lshl_add_u64 v[0:1], v[2:3], 3, v[50:51]
	s_clause 0x2
	scratch_store_b64 off, v[8:9], off
	scratch_store_b64 off, v[4:5], off offset:16
	scratch_store_b64 off, v[0:1], off offset:8
	global_load_b64 v[204:205], v[0:1], off
	s_wait_xcnt 0x0
	v_lshlrev_b32_e32 v0, 3, v42
	s_delay_alu instid0(VALU_DEP_1)
	v_add3_u32 v103, 0, s14, v0
	s_and_saveexec_b32 s4, s0
	s_cbranch_execz .LBB101_8
; %bb.2:
	s_wait_loadcnt 0x2e
	ds_store_b64 v103, v[98:99]
	s_wait_loadcnt 0x2c
	ds_store_2addr_b64 v104, v[68:69], v[86:87] offset0:1 offset1:2
	s_wait_loadcnt 0x2b
	ds_store_2addr_b64 v104, v[44:45], v[26:27] offset0:3 offset1:4
	ds_store_2addr_b64 v104, v[22:23], v[24:25] offset0:5 offset1:6
	s_wait_loadcnt 0x2a
	ds_store_2addr_b64 v104, v[20:21], v[40:41] offset0:7 offset1:8
	s_wait_loadcnt 0x28
	ds_store_2addr_b64 v104, v[36:37], v[38:39] offset0:9 offset1:10
	s_wait_loadcnt 0x26
	ds_store_2addr_b64 v104, v[34:35], v[58:59] offset0:11 offset1:12
	s_wait_loadcnt 0x24
	ds_store_2addr_b64 v104, v[54:55], v[56:57] offset0:13 offset1:14
	s_wait_loadcnt 0x22
	ds_store_2addr_b64 v104, v[52:53], v[76:77] offset0:15 offset1:16
	s_wait_loadcnt 0x20
	ds_store_2addr_b64 v104, v[72:73], v[74:75] offset0:17 offset1:18
	s_wait_loadcnt 0x1e
	ds_store_2addr_b64 v104, v[70:71], v[94:95] offset0:19 offset1:20
	s_wait_loadcnt 0x1c
	ds_store_2addr_b64 v104, v[90:91], v[92:93] offset0:21 offset1:22
	s_wait_loadcnt 0x1a
	ds_store_2addr_b64 v104, v[88:89], v[112:113] offset0:23 offset1:24
	s_wait_loadcnt 0x18
	ds_store_2addr_b64 v104, v[108:109], v[110:111] offset0:25 offset1:26
	s_wait_loadcnt 0x16
	ds_store_2addr_b64 v104, v[106:107], v[128:129] offset0:27 offset1:28
	s_wait_loadcnt 0x14
	ds_store_2addr_b64 v104, v[124:125], v[126:127] offset0:29 offset1:30
	s_wait_loadcnt 0x12
	ds_store_2addr_b64 v104, v[122:123], v[146:147] offset0:31 offset1:32
	s_wait_loadcnt 0x10
	ds_store_2addr_b64 v104, v[142:143], v[144:145] offset0:33 offset1:34
	s_wait_loadcnt 0xe
	ds_store_2addr_b64 v104, v[140:141], v[162:163] offset0:35 offset1:36
	s_wait_loadcnt 0xc
	ds_store_2addr_b64 v104, v[158:159], v[160:161] offset0:37 offset1:38
	s_wait_loadcnt 0xa
	ds_store_2addr_b64 v104, v[156:157], v[180:181] offset0:39 offset1:40
	s_wait_loadcnt 0x8
	ds_store_2addr_b64 v104, v[176:177], v[178:179] offset0:41 offset1:42
	s_wait_loadcnt 0x6
	ds_store_2addr_b64 v104, v[174:175], v[200:201] offset0:43 offset1:44
	s_wait_loadcnt 0x4
	ds_store_2addr_b64 v104, v[194:195], v[198:199] offset0:45 offset1:46
	s_wait_loadcnt 0x2
	ds_store_2addr_b64 v104, v[192:193], v[196:197] offset0:47 offset1:48
	s_wait_loadcnt 0x0
	ds_store_2addr_b64 v104, v[202:203], v[204:205] offset0:49 offset1:50
	ds_load_b64 v[0:1], v103
	s_wait_dscnt 0x0
	v_cmp_neq_f32_e32 vcc_lo, 0, v0
	v_cmp_neq_f32_e64 s2, 0, v1
	s_or_b32 s2, vcc_lo, s2
	s_delay_alu instid0(SALU_CYCLE_1)
	s_and_b32 exec_lo, exec_lo, s2
	s_cbranch_execz .LBB101_8
; %bb.3:
	v_cmp_ngt_f32_e64 s2, |v0|, |v1|
                                        ; implicit-def: $vgpr2_vgpr3
	s_and_saveexec_b32 s5, s2
	s_delay_alu instid0(SALU_CYCLE_1)
	s_xor_b32 s2, exec_lo, s5
	s_cbranch_execz .LBB101_5
; %bb.4:
	v_div_scale_f32 v2, null, v1, v1, v0
	v_div_scale_f32 v5, vcc_lo, v0, v1, v0
	s_delay_alu instid0(VALU_DEP_2) | instskip(SKIP_1) | instid1(TRANS32_DEP_1)
	v_rcp_f32_e32 v3, v2
	v_nop
	v_fma_f32 v4, -v2, v3, 1.0
	s_delay_alu instid0(VALU_DEP_1) | instskip(NEXT) | instid1(VALU_DEP_1)
	v_fmac_f32_e32 v3, v4, v3
	v_mul_f32_e32 v4, v5, v3
	s_delay_alu instid0(VALU_DEP_1) | instskip(NEXT) | instid1(VALU_DEP_1)
	v_fma_f32 v6, -v2, v4, v5
	v_fmac_f32_e32 v4, v6, v3
	s_delay_alu instid0(VALU_DEP_1) | instskip(NEXT) | instid1(VALU_DEP_1)
	v_fma_f32 v2, -v2, v4, v5
	v_div_fmas_f32 v2, v2, v3, v4
	s_delay_alu instid0(VALU_DEP_1) | instskip(NEXT) | instid1(VALU_DEP_1)
	v_div_fixup_f32 v2, v2, v1, v0
	v_fmac_f32_e32 v1, v0, v2
	s_delay_alu instid0(VALU_DEP_1) | instskip(SKIP_1) | instid1(VALU_DEP_2)
	v_div_scale_f32 v0, null, v1, v1, 1.0
	v_div_scale_f32 v5, vcc_lo, 1.0, v1, 1.0
	v_rcp_f32_e32 v3, v0
	v_nop
	s_delay_alu instid0(TRANS32_DEP_1) | instskip(NEXT) | instid1(VALU_DEP_1)
	v_fma_f32 v4, -v0, v3, 1.0
	v_fmac_f32_e32 v3, v4, v3
	s_delay_alu instid0(VALU_DEP_1) | instskip(NEXT) | instid1(VALU_DEP_1)
	v_mul_f32_e32 v4, v5, v3
	v_fma_f32 v6, -v0, v4, v5
	s_delay_alu instid0(VALU_DEP_1) | instskip(NEXT) | instid1(VALU_DEP_1)
	v_fmac_f32_e32 v4, v6, v3
	v_fma_f32 v0, -v0, v4, v5
	s_delay_alu instid0(VALU_DEP_1) | instskip(NEXT) | instid1(VALU_DEP_1)
	v_div_fmas_f32 v0, v0, v3, v4
	v_div_fixup_f32 v0, v0, v1, 1.0
	s_delay_alu instid0(VALU_DEP_1)
	v_mul_f32_e32 v2, v2, v0
	v_xor_b32_e32 v3, 0x80000000, v0
                                        ; implicit-def: $vgpr0_vgpr1
.LBB101_5:
	s_and_not1_saveexec_b32 s2, s2
	s_cbranch_execz .LBB101_7
; %bb.6:
	v_div_scale_f32 v2, null, v0, v0, v1
	v_div_scale_f32 v5, vcc_lo, v1, v0, v1
	s_delay_alu instid0(VALU_DEP_2) | instskip(SKIP_1) | instid1(TRANS32_DEP_1)
	v_rcp_f32_e32 v3, v2
	v_nop
	v_fma_f32 v4, -v2, v3, 1.0
	s_delay_alu instid0(VALU_DEP_1) | instskip(NEXT) | instid1(VALU_DEP_1)
	v_fmac_f32_e32 v3, v4, v3
	v_mul_f32_e32 v4, v5, v3
	s_delay_alu instid0(VALU_DEP_1) | instskip(NEXT) | instid1(VALU_DEP_1)
	v_fma_f32 v6, -v2, v4, v5
	v_fmac_f32_e32 v4, v6, v3
	s_delay_alu instid0(VALU_DEP_1) | instskip(NEXT) | instid1(VALU_DEP_1)
	v_fma_f32 v2, -v2, v4, v5
	v_div_fmas_f32 v2, v2, v3, v4
	s_delay_alu instid0(VALU_DEP_1) | instskip(NEXT) | instid1(VALU_DEP_1)
	v_div_fixup_f32 v3, v2, v0, v1
	v_fmac_f32_e32 v0, v1, v3
	s_delay_alu instid0(VALU_DEP_1) | instskip(NEXT) | instid1(VALU_DEP_1)
	v_div_scale_f32 v1, null, v0, v0, 1.0
	v_rcp_f32_e32 v2, v1
	v_nop
	s_delay_alu instid0(TRANS32_DEP_1) | instskip(NEXT) | instid1(VALU_DEP_1)
	v_fma_f32 v4, -v1, v2, 1.0
	v_fmac_f32_e32 v2, v4, v2
	v_div_scale_f32 v4, vcc_lo, 1.0, v0, 1.0
	s_delay_alu instid0(VALU_DEP_1) | instskip(NEXT) | instid1(VALU_DEP_1)
	v_mul_f32_e32 v5, v4, v2
	v_fma_f32 v6, -v1, v5, v4
	s_delay_alu instid0(VALU_DEP_1) | instskip(NEXT) | instid1(VALU_DEP_1)
	v_fmac_f32_e32 v5, v6, v2
	v_fma_f32 v1, -v1, v5, v4
	s_delay_alu instid0(VALU_DEP_1) | instskip(NEXT) | instid1(VALU_DEP_1)
	v_div_fmas_f32 v1, v1, v2, v5
	v_div_fixup_f32 v2, v1, v0, 1.0
	s_delay_alu instid0(VALU_DEP_1)
	v_mul_f32_e64 v3, v3, -v2
.LBB101_7:
	s_or_b32 exec_lo, exec_lo, s2
	ds_store_b64 v103, v[2:3]
.LBB101_8:
	s_or_b32 exec_lo, exec_lo, s4
	s_wait_storecnt 0x0
	s_wait_loadcnt_dscnt 0x0
	s_barrier_signal -1
	s_barrier_wait -1
	ds_load_b64 v[0:1], v103
	s_wait_dscnt 0x0
	scratch_store_b64 off, v[0:1], off offset:48 ; 8-byte Folded Spill
	s_wait_xcnt 0x0
	s_and_saveexec_b32 s2, s1
	s_cbranch_execz .LBB101_10
; %bb.9:
	ds_load_2addr_b64 v[4:7], v104 offset0:1 offset1:2
	ds_load_2addr_b64 v[8:11], v104 offset0:3 offset1:4
	ds_load_2addr_b64 v[12:15], v104 offset0:5 offset1:6
	scratch_load_b64 v[18:19], off, off offset:48 ; 8-byte Folded Reload
	ds_load_2addr_b64 v[28:31], v104 offset0:7 offset1:8
	ds_load_2addr_b64 v[46:49], v104 offset0:9 offset1:10
	s_wait_dscnt 0x3
	v_dual_mov_b32 v50, v11 :: v_dual_mov_b32 v51, v10
	s_wait_loadcnt 0x0
	v_pk_mul_f32 v[2:3], v[18:19], v[98:99] op_sel:[1,1] op_sel_hi:[0,1]
	s_delay_alu instid0(VALU_DEP_1) | instskip(SKIP_1) | instid1(VALU_DEP_1)
	v_pk_fma_f32 v[0:1], v[18:19], v[98:99], v[2:3] op_sel_hi:[1,0,1] neg_lo:[0,0,1] neg_hi:[0,0,1]
	v_pk_fma_f32 v[2:3], v[18:19], v[98:99], v[2:3] op_sel_hi:[1,0,1]
	v_dual_mov_b32 v98, v0 :: v_dual_mov_b32 v99, v3
	s_delay_alu instid0(VALU_DEP_2) | instskip(SKIP_3) | instid1(VALU_DEP_4)
	v_pk_mul_f32 v[18:19], v[4:5], v[2:3] op_sel:[0,1]
	v_pk_mul_f32 v[32:33], v[6:7], v[2:3] op_sel:[0,1]
	;; [unrolled: 1-line block ×3, first 2 shown]
	v_dual_mul_f32 v60, v11, v3 :: v_dual_mul_f32 v62, v11, v0
	v_pk_fma_f32 v[78:79], v[4:5], v[0:1], v[18:19] op_sel:[0,0,1] op_sel_hi:[1,1,0] neg_lo:[0,0,1] neg_hi:[0,0,1]
	v_pk_fma_f32 v[4:5], v[4:5], v[0:1], v[18:19] op_sel:[0,0,1] op_sel_hi:[1,0,0]
	v_pk_fma_f32 v[18:19], v[6:7], v[0:1], v[32:33] op_sel:[0,0,1] op_sel_hi:[1,1,0] neg_lo:[0,0,1] neg_hi:[0,0,1]
	v_pk_fma_f32 v[6:7], v[6:7], v[0:1], v[32:33] op_sel:[0,0,1] op_sel_hi:[1,0,0]
	;; [unrolled: 2-line block ×3, first 2 shown]
	v_pk_fma_f32 v[42:43], v[50:51], v[98:99], v[62:63] op_sel_hi:[1,1,0]
	v_pk_fma_f32 v[10:11], v[10:11], v[98:99], v[60:61] op_sel_hi:[1,1,0] neg_lo:[0,0,1] neg_hi:[0,0,1]
	s_wait_dscnt 0x2
	v_pk_mul_f32 v[64:65], v[12:13], v[2:3] op_sel:[0,1]
	v_pk_mul_f32 v[66:67], v[14:15], v[2:3] op_sel:[0,1]
	v_dual_mov_b32 v79, v5 :: v_dual_mov_b32 v19, v7
	v_dual_mov_b32 v33, v9 :: v_dual_mov_b32 v11, v43
	s_delay_alu instid0(VALU_DEP_4)
	v_pk_fma_f32 v[8:9], v[12:13], v[0:1], v[64:65] op_sel:[0,0,1] op_sel_hi:[1,0,0]
	ds_load_2addr_b64 v[4:7], v104 offset0:11 offset1:12
	v_pk_add_f32 v[86:87], v[86:87], v[18:19] neg_lo:[0,1] neg_hi:[0,1]
	v_pk_fma_f32 v[18:19], v[14:15], v[0:1], v[66:67] op_sel:[0,0,1] op_sel_hi:[1,0,0]
	v_pk_add_f32 v[26:27], v[26:27], v[10:11] neg_lo:[0,1] neg_hi:[0,1]
	s_wait_dscnt 0x2
	v_pk_mul_f32 v[10:11], v[28:29], v[2:3] op_sel:[0,1]
	v_pk_fma_f32 v[12:13], v[12:13], v[0:1], v[64:65] op_sel:[0,0,1] op_sel_hi:[1,1,0] neg_lo:[0,0,1] neg_hi:[0,0,1]
	v_pk_fma_f32 v[14:15], v[14:15], v[0:1], v[66:67] op_sel:[0,0,1] op_sel_hi:[1,1,0] neg_lo:[0,0,1] neg_hi:[0,0,1]
	v_dual_mov_b32 v13, v9 :: v_dual_mov_b32 v15, v19
	s_delay_alu instid0(VALU_DEP_4) | instskip(SKIP_2) | instid1(VALU_DEP_4)
	v_pk_fma_f32 v[8:9], v[28:29], v[0:1], v[10:11] op_sel:[0,0,1] op_sel_hi:[1,0,0]
	v_pk_mul_f32 v[18:19], v[30:31], v[2:3] op_sel:[0,1]
	v_pk_fma_f32 v[10:11], v[28:29], v[0:1], v[10:11] op_sel:[0,0,1] op_sel_hi:[1,1,0] neg_lo:[0,0,1] neg_hi:[0,0,1]
	v_pk_add_f32 v[22:23], v[22:23], v[12:13] neg_lo:[0,1] neg_hi:[0,1]
	v_pk_add_f32 v[24:25], v[24:25], v[14:15] neg_lo:[0,1] neg_hi:[0,1]
	v_mov_b32_e32 v11, v9
	v_pk_fma_f32 v[8:9], v[30:31], v[0:1], v[18:19] op_sel:[0,0,1] op_sel_hi:[1,0,0]
	s_wait_dscnt 0x1
	v_mul_f32_e32 v8, v47, v0
	v_pk_fma_f32 v[18:19], v[30:31], v[0:1], v[18:19] op_sel:[0,0,1] op_sel_hi:[1,1,0] neg_lo:[0,0,1] neg_hi:[0,0,1]
	v_mul_f32_e32 v12, v47, v3
	v_pk_add_f32 v[20:21], v[20:21], v[10:11] neg_lo:[0,1] neg_hi:[0,1]
	v_mov_b32_e32 v19, v9
	v_pk_fma_f32 v[14:15], v[46:47], v[98:99], v[8:9] op_sel:[1,0,0] op_sel_hi:[0,1,0]
	ds_load_2addr_b64 v[8:11], v104 offset0:13 offset1:14
	v_pk_mul_f32 v[28:29], v[48:49], v[2:3] op_sel:[0,1]
	v_pk_fma_f32 v[30:31], v[46:47], v[98:99], v[12:13] op_sel_hi:[1,1,0] neg_lo:[0,0,1] neg_hi:[0,0,1]
	v_pk_add_f32 v[44:45], v[44:45], v[32:33] neg_lo:[0,1] neg_hi:[0,1]
	s_wait_dscnt 0x1
	v_pk_mul_f32 v[32:33], v[4:5], v[2:3] op_sel:[0,1]
	v_pk_mul_f32 v[42:43], v[6:7], v[2:3] op_sel:[0,1]
	v_pk_fma_f32 v[46:47], v[48:49], v[0:1], v[28:29] op_sel:[0,0,1] op_sel_hi:[1,0,0]
	v_mov_b32_e32 v31, v15
	ds_load_2addr_b64 v[12:15], v104 offset0:15 offset1:16
	v_pk_fma_f32 v[28:29], v[48:49], v[0:1], v[28:29] op_sel:[0,0,1] op_sel_hi:[1,1,0] neg_lo:[0,0,1] neg_hi:[0,0,1]
	v_pk_fma_f32 v[48:49], v[4:5], v[0:1], v[32:33] op_sel:[0,0,1] op_sel_hi:[1,0,0]
	v_pk_fma_f32 v[50:51], v[6:7], v[0:1], v[42:43] op_sel:[0,0,1] op_sel_hi:[1,0,0]
	v_pk_fma_f32 v[4:5], v[4:5], v[0:1], v[32:33] op_sel:[0,0,1] op_sel_hi:[1,1,0] neg_lo:[0,0,1] neg_hi:[0,0,1]
	v_pk_fma_f32 v[6:7], v[6:7], v[0:1], v[42:43] op_sel:[0,0,1] op_sel_hi:[1,1,0] neg_lo:[0,0,1] neg_hi:[0,0,1]
	v_pk_add_f32 v[40:41], v[40:41], v[18:19] neg_lo:[0,1] neg_hi:[0,1]
	s_delay_alu instid0(VALU_DEP_4)
	v_dual_mov_b32 v5, v49 :: v_dual_mov_b32 v7, v51
	v_mov_b32_e32 v29, v47
	v_pk_add_f32 v[36:37], v[36:37], v[30:31] neg_lo:[0,1] neg_hi:[0,1]
	v_pk_add_f32 v[68:69], v[68:69], v[78:79] neg_lo:[0,1] neg_hi:[0,1]
	s_wait_dscnt 0x1
	v_pk_mul_f32 v[18:19], v[8:9], v[2:3] op_sel:[0,1]
	v_pk_add_f32 v[34:35], v[34:35], v[4:5] neg_lo:[0,1] neg_hi:[0,1]
	v_pk_add_f32 v[58:59], v[58:59], v[6:7] neg_lo:[0,1] neg_hi:[0,1]
	ds_load_2addr_b64 v[4:7], v104 offset0:17 offset1:18
	v_pk_add_f32 v[38:39], v[38:39], v[28:29] neg_lo:[0,1] neg_hi:[0,1]
	v_pk_fma_f32 v[32:33], v[8:9], v[0:1], v[18:19] op_sel:[0,0,1] op_sel_hi:[1,1,0] neg_lo:[0,0,1] neg_hi:[0,0,1]
	v_pk_fma_f32 v[8:9], v[8:9], v[0:1], v[18:19] op_sel:[0,0,1] op_sel_hi:[1,0,0]
	v_dual_mov_b32 v28, v11 :: v_dual_mov_b32 v29, v10
	v_dual_mul_f32 v30, v11, v0 :: v_dual_mul_f32 v8, v11, v3
	s_wait_dscnt 0x1
	v_pk_mul_f32 v[18:19], v[12:13], v[2:3] op_sel:[0,1]
	v_pk_mul_f32 v[46:47], v[14:15], v[2:3] op_sel:[0,1]
	s_delay_alu instid0(VALU_DEP_3)
	v_pk_fma_f32 v[42:43], v[28:29], v[98:99], v[30:31] op_sel_hi:[1,1,0]
	ds_load_2addr_b64 v[28:31], v104 offset0:19 offset1:20
	v_mov_b32_e32 v33, v9
	v_pk_fma_f32 v[48:49], v[12:13], v[0:1], v[18:19] op_sel:[0,0,1] op_sel_hi:[1,0,0]
	v_pk_fma_f32 v[8:9], v[10:11], v[98:99], v[8:9] op_sel_hi:[1,1,0] neg_lo:[0,0,1] neg_hi:[0,0,1]
	v_pk_fma_f32 v[10:11], v[14:15], v[0:1], v[46:47] op_sel:[0,0,1] op_sel_hi:[1,0,0]
	v_pk_fma_f32 v[12:13], v[12:13], v[0:1], v[18:19] op_sel:[0,0,1] op_sel_hi:[1,1,0] neg_lo:[0,0,1] neg_hi:[0,0,1]
	v_pk_fma_f32 v[14:15], v[14:15], v[0:1], v[46:47] op_sel:[0,0,1] op_sel_hi:[1,1,0] neg_lo:[0,0,1] neg_hi:[0,0,1]
	v_dual_mov_b32 v9, v43 :: v_dual_mov_b32 v13, v49
	s_delay_alu instid0(VALU_DEP_4)
	v_mov_b32_e32 v15, v11
	s_wait_dscnt 0x1
	v_pk_mul_f32 v[18:19], v[4:5], v[2:3] op_sel:[0,1]
	v_pk_add_f32 v[54:55], v[54:55], v[32:33] neg_lo:[0,1] neg_hi:[0,1]
	v_pk_add_f32 v[56:57], v[56:57], v[8:9] neg_lo:[0,1] neg_hi:[0,1]
	;; [unrolled: 1-line block ×4, first 2 shown]
	ds_load_2addr_b64 v[8:11], v104 offset0:21 offset1:22
	ds_load_2addr_b64 v[12:15], v104 offset0:23 offset1:24
	v_pk_fma_f32 v[32:33], v[4:5], v[0:1], v[18:19] op_sel:[0,0,1] op_sel_hi:[1,0,0]
	v_pk_fma_f32 v[4:5], v[4:5], v[0:1], v[18:19] op_sel:[0,0,1] op_sel_hi:[1,1,0] neg_lo:[0,0,1] neg_hi:[0,0,1]
	v_pk_mul_f32 v[18:19], v[6:7], v[2:3] op_sel:[0,1]
	s_wait_dscnt 0x2
	v_mul_f32_e32 v32, v29, v0
	v_pk_mul_f32 v[42:43], v[30:31], v[2:3] op_sel:[0,1]
	s_delay_alu instid0(VALU_DEP_3)
	v_pk_fma_f32 v[46:47], v[6:7], v[0:1], v[18:19] op_sel:[0,0,1] op_sel_hi:[1,0,0]
	v_mul_f32_e32 v46, v29, v3
	v_pk_fma_f32 v[6:7], v[6:7], v[0:1], v[18:19] op_sel:[0,0,1] op_sel_hi:[1,1,0] neg_lo:[0,0,1] neg_hi:[0,0,1]
	v_mov_b32_e32 v5, v33
	v_pk_fma_f32 v[32:33], v[28:29], v[98:99], v[32:33] op_sel:[1,0,0] op_sel_hi:[0,1,0]
	v_pk_fma_f32 v[18:19], v[30:31], v[0:1], v[42:43] op_sel:[0,0,1] op_sel_hi:[1,0,0]
	v_mov_b32_e32 v7, v47
	v_pk_fma_f32 v[28:29], v[28:29], v[98:99], v[46:47] op_sel_hi:[1,1,0] neg_lo:[0,0,1] neg_hi:[0,0,1]
	v_pk_fma_f32 v[30:31], v[30:31], v[0:1], v[42:43] op_sel:[0,0,1] op_sel_hi:[1,1,0] neg_lo:[0,0,1] neg_hi:[0,0,1]
	s_delay_alu instid0(VALU_DEP_4)
	v_dual_mov_b32 v29, v33 :: v_dual_mov_b32 v31, v19
	v_pk_add_f32 v[72:73], v[72:73], v[4:5] neg_lo:[0,1] neg_hi:[0,1]
	v_pk_add_f32 v[74:75], v[74:75], v[6:7] neg_lo:[0,1] neg_hi:[0,1]
	s_wait_dscnt 0x1
	v_pk_mul_f32 v[18:19], v[8:9], v[2:3] op_sel:[0,1]
	v_pk_mul_f32 v[32:33], v[10:11], v[2:3] op_sel:[0,1]
	ds_load_2addr_b64 v[4:7], v104 offset0:25 offset1:26
	s_wait_dscnt 0x1
	v_pk_mul_f32 v[42:43], v[12:13], v[2:3] op_sel:[0,1]
	v_pk_add_f32 v[70:71], v[70:71], v[28:29] neg_lo:[0,1] neg_hi:[0,1]
	v_pk_add_f32 v[94:95], v[94:95], v[30:31] neg_lo:[0,1] neg_hi:[0,1]
	v_pk_fma_f32 v[46:47], v[8:9], v[0:1], v[18:19] op_sel:[0,0,1] op_sel_hi:[1,0,0]
	v_pk_fma_f32 v[8:9], v[8:9], v[0:1], v[18:19] op_sel:[0,0,1] op_sel_hi:[1,1,0] neg_lo:[0,0,1] neg_hi:[0,0,1]
	v_pk_fma_f32 v[18:19], v[10:11], v[0:1], v[32:33] op_sel:[0,0,1] op_sel_hi:[1,0,0]
	ds_load_2addr_b64 v[28:31], v104 offset0:27 offset1:28
	v_pk_fma_f32 v[48:49], v[12:13], v[0:1], v[42:43] op_sel:[0,0,1] op_sel_hi:[1,0,0]
	v_pk_fma_f32 v[10:11], v[10:11], v[0:1], v[32:33] op_sel:[0,0,1] op_sel_hi:[1,1,0] neg_lo:[0,0,1] neg_hi:[0,0,1]
	v_pk_fma_f32 v[12:13], v[12:13], v[0:1], v[42:43] op_sel:[0,0,1] op_sel_hi:[1,1,0] neg_lo:[0,0,1] neg_hi:[0,0,1]
	v_dual_mov_b32 v9, v47 :: v_dual_mov_b32 v11, v19
	s_delay_alu instid0(VALU_DEP_4) | instskip(SKIP_1) | instid1(VALU_DEP_3)
	v_dual_mov_b32 v13, v49 :: v_dual_mov_b32 v18, v15
	v_dual_mov_b32 v19, v14 :: v_dual_mul_f32 v32, v15, v0
	v_pk_add_f32 v[90:91], v[90:91], v[8:9] neg_lo:[0,1] neg_hi:[0,1]
	s_delay_alu instid0(VALU_DEP_3)
	v_pk_add_f32 v[88:89], v[88:89], v[12:13] neg_lo:[0,1] neg_hi:[0,1]
	v_pk_add_f32 v[92:93], v[92:93], v[10:11] neg_lo:[0,1] neg_hi:[0,1]
	ds_load_2addr_b64 v[8:11], v104 offset0:29 offset1:30
	v_pk_fma_f32 v[12:13], v[18:19], v[98:99], v[32:33] op_sel_hi:[1,1,0]
	v_mul_f32_e32 v42, v15, v3
	s_wait_dscnt 0x2
	v_pk_mul_f32 v[32:33], v[4:5], v[2:3] op_sel:[0,1]
	s_delay_alu instid0(VALU_DEP_2)
	v_pk_fma_f32 v[18:19], v[14:15], v[98:99], v[42:43] op_sel_hi:[1,1,0] neg_lo:[0,0,1] neg_hi:[0,0,1]
	v_pk_mul_f32 v[42:43], v[6:7], v[2:3] op_sel:[0,1]
	v_mov_b32_e32 v19, v13
	ds_load_2addr_b64 v[12:15], v104 offset0:31 offset1:32
	s_wait_dscnt 0x2
	v_pk_mul_f32 v[46:47], v[28:29], v[2:3] op_sel:[0,1]
	v_pk_fma_f32 v[48:49], v[4:5], v[0:1], v[32:33] op_sel:[0,0,1] op_sel_hi:[1,0,0]
	v_pk_fma_f32 v[50:51], v[6:7], v[0:1], v[42:43] op_sel:[0,0,1] op_sel_hi:[1,0,0]
	v_pk_fma_f32 v[4:5], v[4:5], v[0:1], v[32:33] op_sel:[0,0,1] op_sel_hi:[1,1,0] neg_lo:[0,0,1] neg_hi:[0,0,1]
	v_pk_fma_f32 v[6:7], v[6:7], v[0:1], v[42:43] op_sel:[0,0,1] op_sel_hi:[1,1,0] neg_lo:[0,0,1] neg_hi:[0,0,1]
	v_pk_fma_f32 v[32:33], v[28:29], v[0:1], v[46:47] op_sel:[0,0,1] op_sel_hi:[1,0,0]
	s_delay_alu instid0(VALU_DEP_4) | instskip(SKIP_2) | instid1(VALU_DEP_4)
	v_dual_mov_b32 v5, v49 :: v_dual_mov_b32 v7, v51
	v_pk_fma_f32 v[28:29], v[28:29], v[0:1], v[46:47] op_sel:[0,0,1] op_sel_hi:[1,1,0] neg_lo:[0,0,1] neg_hi:[0,0,1]
	v_pk_add_f32 v[112:113], v[112:113], v[18:19] neg_lo:[0,1] neg_hi:[0,1]
	v_mov_b32_e32 v29, v33
	v_pk_mul_f32 v[32:33], v[30:31], v[2:3] op_sel:[0,1]
	v_pk_add_f32 v[108:109], v[108:109], v[4:5] neg_lo:[0,1] neg_hi:[0,1]
	v_pk_add_f32 v[110:111], v[110:111], v[6:7] neg_lo:[0,1] neg_hi:[0,1]
	ds_load_2addr_b64 v[4:7], v104 offset0:33 offset1:34
	v_pk_add_f32 v[106:107], v[106:107], v[28:29] neg_lo:[0,1] neg_hi:[0,1]
	v_pk_fma_f32 v[28:29], v[30:31], v[0:1], v[32:33] op_sel:[0,0,1] op_sel_hi:[1,0,0]
	v_pk_fma_f32 v[18:19], v[30:31], v[0:1], v[32:33] op_sel:[0,0,1] op_sel_hi:[1,1,0] neg_lo:[0,0,1] neg_hi:[0,0,1]
	s_wait_dscnt 0x2
	v_dual_mul_f32 v28, v9, v0 :: v_dual_mul_f32 v32, v9, v3
	s_wait_dscnt 0x1
	v_pk_mul_f32 v[42:43], v[12:13], v[2:3] op_sel:[0,1]
	v_pk_mul_f32 v[30:31], v[10:11], v[2:3] op_sel:[0,1]
	v_mov_b32_e32 v19, v29
	v_pk_fma_f32 v[46:47], v[8:9], v[98:99], v[28:29] op_sel:[1,0,0] op_sel_hi:[0,1,0]
	v_pk_fma_f32 v[32:33], v[8:9], v[98:99], v[32:33] op_sel_hi:[1,1,0] neg_lo:[0,0,1] neg_hi:[0,0,1]
	v_pk_fma_f32 v[8:9], v[12:13], v[0:1], v[42:43] op_sel:[0,0,1] op_sel_hi:[1,0,0]
	v_pk_fma_f32 v[28:29], v[10:11], v[0:1], v[30:31] op_sel:[0,0,1] op_sel_hi:[1,0,0]
	v_pk_fma_f32 v[12:13], v[12:13], v[0:1], v[42:43] op_sel:[0,0,1] op_sel_hi:[1,1,0] neg_lo:[0,0,1] neg_hi:[0,0,1]
	v_pk_fma_f32 v[30:31], v[10:11], v[0:1], v[30:31] op_sel:[0,0,1] op_sel_hi:[1,1,0] neg_lo:[0,0,1] neg_hi:[0,0,1]
	s_delay_alu instid0(VALU_DEP_4)
	v_dual_mov_b32 v33, v47 :: v_dual_mov_b32 v13, v9
	ds_load_2addr_b64 v[8:11], v104 offset0:35 offset1:36
	v_mov_b32_e32 v31, v29
	v_pk_mul_f32 v[42:43], v[14:15], v[2:3] op_sel:[0,1]
	v_pk_add_f32 v[128:129], v[128:129], v[18:19] neg_lo:[0,1] neg_hi:[0,1]
	s_wait_dscnt 0x1
	v_pk_mul_f32 v[18:19], v[4:5], v[2:3] op_sel:[0,1]
	v_pk_add_f32 v[124:125], v[124:125], v[32:33] neg_lo:[0,1] neg_hi:[0,1]
	v_pk_add_f32 v[126:127], v[126:127], v[30:31] neg_lo:[0,1] neg_hi:[0,1]
	ds_load_2addr_b64 v[28:31], v104 offset0:37 offset1:38
	v_mov_b32_e32 v32, v7
	v_pk_add_f32 v[122:123], v[122:123], v[12:13] neg_lo:[0,1] neg_hi:[0,1]
	v_pk_fma_f32 v[12:13], v[14:15], v[0:1], v[42:43] op_sel:[0,0,1] op_sel_hi:[1,0,0]
	v_pk_fma_f32 v[14:15], v[14:15], v[0:1], v[42:43] op_sel:[0,0,1] op_sel_hi:[1,1,0] neg_lo:[0,0,1] neg_hi:[0,0,1]
	v_pk_fma_f32 v[42:43], v[4:5], v[0:1], v[18:19] op_sel:[0,0,1] op_sel_hi:[1,0,0]
	v_dual_mov_b32 v33, v6 :: v_dual_mul_f32 v12, v7, v0
	s_delay_alu instid0(VALU_DEP_4) | instskip(SKIP_1) | instid1(VALU_DEP_3)
	v_dual_mul_f32 v42, v7, v3 :: v_dual_mov_b32 v15, v13
	v_pk_fma_f32 v[18:19], v[4:5], v[0:1], v[18:19] op_sel:[0,0,1] op_sel_hi:[1,1,0] neg_lo:[0,0,1] neg_hi:[0,0,1]
	v_pk_fma_f32 v[12:13], v[32:33], v[98:99], v[12:13] op_sel_hi:[1,1,0]
	s_delay_alu instid0(VALU_DEP_3)
	v_pk_fma_f32 v[32:33], v[6:7], v[98:99], v[42:43] op_sel_hi:[1,1,0] neg_lo:[0,0,1] neg_hi:[0,0,1]
	ds_load_2addr_b64 v[4:7], v104 offset0:39 offset1:40
	v_mov_b32_e32 v19, v43
	s_wait_dscnt 0x2
	v_pk_mul_f32 v[42:43], v[8:9], v[2:3] op_sel:[0,1]
	v_mov_b32_e32 v33, v13
	v_pk_add_f32 v[146:147], v[146:147], v[14:15] neg_lo:[0,1] neg_hi:[0,1]
	v_pk_add_f32 v[142:143], v[142:143], v[18:19] neg_lo:[0,1] neg_hi:[0,1]
	s_delay_alu instid0(VALU_DEP_4)
	v_pk_fma_f32 v[12:13], v[8:9], v[0:1], v[42:43] op_sel:[0,0,1] op_sel_hi:[1,0,0]
	v_pk_mul_f32 v[18:19], v[10:11], v[2:3] op_sel:[0,1]
	v_pk_add_f32 v[144:145], v[144:145], v[32:33] neg_lo:[0,1] neg_hi:[0,1]
	s_wait_dscnt 0x1
	v_pk_mul_f32 v[32:33], v[28:29], v[2:3] op_sel:[0,1]
	v_pk_fma_f32 v[8:9], v[8:9], v[0:1], v[42:43] op_sel:[0,0,1] op_sel_hi:[1,1,0] neg_lo:[0,0,1] neg_hi:[0,0,1]
	v_pk_fma_f32 v[42:43], v[10:11], v[0:1], v[18:19] op_sel:[0,0,1] op_sel_hi:[1,0,0]
	v_mov_b32_e32 v9, v13
	v_pk_fma_f32 v[10:11], v[10:11], v[0:1], v[18:19] op_sel:[0,0,1] op_sel_hi:[1,1,0] neg_lo:[0,0,1] neg_hi:[0,0,1]
	v_pk_mul_f32 v[18:19], v[30:31], v[2:3] op_sel:[0,1]
	v_pk_fma_f32 v[46:47], v[28:29], v[0:1], v[32:33] op_sel:[0,0,1] op_sel_hi:[1,0,0]
	ds_load_2addr_b64 v[12:15], v104 offset0:41 offset1:42
	v_mov_b32_e32 v11, v43
	v_pk_fma_f32 v[28:29], v[28:29], v[0:1], v[32:33] op_sel:[0,0,1] op_sel_hi:[1,1,0] neg_lo:[0,0,1] neg_hi:[0,0,1]
	v_pk_add_f32 v[140:141], v[140:141], v[8:9] neg_lo:[0,1] neg_hi:[0,1]
	v_pk_fma_f32 v[8:9], v[30:31], v[0:1], v[18:19] op_sel:[0,0,1] op_sel_hi:[1,0,0]
	s_wait_dscnt 0x1
	v_dual_mov_b32 v29, v47 :: v_dual_mul_f32 v8, v5, v0
	v_pk_mul_f32 v[32:33], v[6:7], v[2:3] op_sel:[0,1]
	v_pk_fma_f32 v[18:19], v[30:31], v[0:1], v[18:19] op_sel:[0,0,1] op_sel_hi:[1,1,0] neg_lo:[0,0,1] neg_hi:[0,0,1]
	v_pk_add_f32 v[162:163], v[162:163], v[10:11] neg_lo:[0,1] neg_hi:[0,1]
	s_delay_alu instid0(VALU_DEP_4)
	v_pk_add_f32 v[158:159], v[158:159], v[28:29] neg_lo:[0,1] neg_hi:[0,1]
	v_pk_fma_f32 v[30:31], v[4:5], v[98:99], v[8:9] op_sel:[1,0,0] op_sel_hi:[0,1,0]
	v_mov_b32_e32 v19, v9
	ds_load_2addr_b64 v[8:11], v104 offset0:43 offset1:44
	v_pk_fma_f32 v[42:43], v[6:7], v[0:1], v[32:33] op_sel:[0,0,1] op_sel_hi:[1,0,0]
	v_mul_f32_e32 v28, v5, v3
	v_pk_fma_f32 v[6:7], v[6:7], v[0:1], v[32:33] op_sel:[0,0,1] op_sel_hi:[1,1,0] neg_lo:[0,0,1] neg_hi:[0,0,1]
	s_delay_alu instid0(VALU_DEP_3) | instskip(NEXT) | instid1(VALU_DEP_3)
	v_mov_b32_e32 v7, v43
	v_pk_fma_f32 v[4:5], v[4:5], v[98:99], v[28:29] op_sel_hi:[1,1,0] neg_lo:[0,0,1] neg_hi:[0,0,1]
	v_mov_b32_e32 v5, v31
	ds_load_2addr_b64 v[28:31], v104 offset0:45 offset1:46
	v_pk_add_f32 v[160:161], v[160:161], v[18:19] neg_lo:[0,1] neg_hi:[0,1]
	s_wait_dscnt 0x2
	v_pk_mul_f32 v[18:19], v[12:13], v[2:3] op_sel:[0,1]
	v_pk_mul_f32 v[46:47], v[14:15], v[2:3] op_sel:[0,1]
	v_pk_add_f32 v[156:157], v[156:157], v[4:5] neg_lo:[0,1] neg_hi:[0,1]
	v_pk_add_f32 v[180:181], v[180:181], v[6:7] neg_lo:[0,1] neg_hi:[0,1]
	ds_load_2addr_b64 v[4:7], v104 offset0:47 offset1:48
	v_pk_fma_f32 v[48:49], v[12:13], v[0:1], v[18:19] op_sel:[0,0,1] op_sel_hi:[1,0,0]
	v_pk_fma_f32 v[32:33], v[14:15], v[0:1], v[46:47] op_sel:[0,0,1] op_sel_hi:[1,0,0]
	v_pk_fma_f32 v[12:13], v[12:13], v[0:1], v[18:19] op_sel:[0,0,1] op_sel_hi:[1,1,0] neg_lo:[0,0,1] neg_hi:[0,0,1]
	v_pk_fma_f32 v[14:15], v[14:15], v[0:1], v[46:47] op_sel:[0,0,1] op_sel_hi:[1,1,0] neg_lo:[0,0,1] neg_hi:[0,0,1]
	s_wait_dscnt 0x2
	v_pk_mul_f32 v[18:19], v[8:9], v[2:3] op_sel:[0,1]
	v_dual_mov_b32 v13, v49 :: v_dual_mov_b32 v15, v33
	v_dual_mov_b32 v32, v11 :: v_dual_mov_b32 v33, v10
	v_mul_f32_e32 v42, v11, v0
	s_delay_alu instid0(VALU_DEP_4)
	v_pk_fma_f32 v[46:47], v[8:9], v[0:1], v[18:19] op_sel:[0,0,1] op_sel_hi:[1,0,0]
	v_mul_f32_e32 v46, v11, v3
	v_pk_add_f32 v[176:177], v[176:177], v[12:13] neg_lo:[0,1] neg_hi:[0,1]
	v_pk_add_f32 v[178:179], v[178:179], v[14:15] neg_lo:[0,1] neg_hi:[0,1]
	s_wait_dscnt 0x1
	v_pk_mul_f32 v[48:49], v[28:29], v[2:3] op_sel:[0,1]
	ds_load_2addr_b64 v[12:15], v104 offset0:49 offset1:50
	v_pk_fma_f32 v[32:33], v[32:33], v[98:99], v[42:43] op_sel_hi:[1,1,0]
	v_pk_fma_f32 v[8:9], v[8:9], v[0:1], v[18:19] op_sel:[0,0,1] op_sel_hi:[1,1,0] neg_lo:[0,0,1] neg_hi:[0,0,1]
	v_pk_fma_f32 v[10:11], v[10:11], v[98:99], v[46:47] op_sel_hi:[1,1,0] neg_lo:[0,0,1] neg_hi:[0,0,1]
	v_mov_b32_e32 v9, v47
	v_pk_fma_f32 v[18:19], v[28:29], v[0:1], v[48:49] op_sel:[0,0,1] op_sel_hi:[1,0,0]
	v_mov_b32_e32 v11, v33
	v_pk_mul_f32 v[32:33], v[30:31], v[2:3] op_sel:[0,1]
	v_pk_fma_f32 v[28:29], v[28:29], v[0:1], v[48:49] op_sel:[0,0,1] op_sel_hi:[1,1,0] neg_lo:[0,0,1] neg_hi:[0,0,1]
	v_pk_add_f32 v[174:175], v[174:175], v[8:9] neg_lo:[0,1] neg_hi:[0,1]
	v_mov_b32_e32 v29, v19
	s_wait_dscnt 0x1
	v_pk_mul_f32 v[8:9], v[4:5], v[2:3] op_sel:[0,1]
	v_pk_fma_f32 v[18:19], v[30:31], v[0:1], v[32:33] op_sel:[0,0,1] op_sel_hi:[1,0,0]
	v_pk_add_f32 v[200:201], v[200:201], v[10:11] neg_lo:[0,1] neg_hi:[0,1]
	v_pk_fma_f32 v[10:11], v[30:31], v[0:1], v[32:33] op_sel:[0,0,1] op_sel_hi:[1,1,0] neg_lo:[0,0,1] neg_hi:[0,0,1]
	s_delay_alu instid0(VALU_DEP_3)
	v_mov_b32_e32 v11, v19
	v_pk_add_f32 v[194:195], v[194:195], v[28:29] neg_lo:[0,1] neg_hi:[0,1]
	v_pk_fma_f32 v[28:29], v[4:5], v[0:1], v[8:9] op_sel:[0,0,1] op_sel_hi:[1,0,0]
	v_pk_mul_f32 v[18:19], v[6:7], v[2:3] op_sel:[0,1]
	v_pk_fma_f32 v[4:5], v[4:5], v[0:1], v[8:9] op_sel:[0,0,1] op_sel_hi:[1,1,0] neg_lo:[0,0,1] neg_hi:[0,0,1]
	s_wait_dscnt 0x0
	v_mul_f32_e32 v8, v13, v0
	v_pk_add_f32 v[198:199], v[198:199], v[10:11] neg_lo:[0,1] neg_hi:[0,1]
	v_pk_fma_f32 v[30:31], v[6:7], v[0:1], v[18:19] op_sel:[0,0,1] op_sel_hi:[1,0,0]
	v_mov_b32_e32 v5, v29
	v_pk_mul_f32 v[28:29], v[14:15], v[2:3] op_sel:[0,1]
	v_mul_f32_e32 v2, v13, v3
	v_pk_fma_f32 v[8:9], v[12:13], v[98:99], v[8:9] op_sel:[1,0,0] op_sel_hi:[0,1,0]
	v_pk_fma_f32 v[6:7], v[6:7], v[0:1], v[18:19] op_sel:[0,0,1] op_sel_hi:[1,1,0] neg_lo:[0,0,1] neg_hi:[0,0,1]
	v_mov_b32_e32 v7, v31
	v_pk_fma_f32 v[18:19], v[14:15], v[0:1], v[28:29] op_sel:[0,0,1] op_sel_hi:[1,0,0]
	v_pk_fma_f32 v[2:3], v[12:13], v[98:99], v[2:3] op_sel_hi:[1,1,0] neg_lo:[0,0,1] neg_hi:[0,0,1]
	v_pk_fma_f32 v[0:1], v[14:15], v[0:1], v[28:29] op_sel:[0,0,1] op_sel_hi:[1,1,0] neg_lo:[0,0,1] neg_hi:[0,0,1]
	v_mov_b32_e32 v3, v9
	v_pk_add_f32 v[192:193], v[192:193], v[4:5] neg_lo:[0,1] neg_hi:[0,1]
	v_mov_b32_e32 v1, v19
	v_pk_add_f32 v[196:197], v[196:197], v[6:7] neg_lo:[0,1] neg_hi:[0,1]
	s_delay_alu instid0(VALU_DEP_4) | instskip(NEXT) | instid1(VALU_DEP_3)
	v_pk_add_f32 v[202:203], v[202:203], v[2:3] neg_lo:[0,1] neg_hi:[0,1]
	v_pk_add_f32 v[204:205], v[204:205], v[0:1] neg_lo:[0,1] neg_hi:[0,1]
.LBB101_10:
	s_wait_xcnt 0x0
	s_or_b32 exec_lo, exec_lo, s2
	s_delay_alu instid0(SALU_CYCLE_1)
	s_mov_b32 s2, exec_lo
	s_wait_storecnt 0x0
	s_barrier_signal -1
	s_barrier_wait -1
	v_cmpx_eq_u32_e32 1, v102
	s_cbranch_execz .LBB101_17
; %bb.11:
	v_dual_mov_b32 v0, v86 :: v_dual_mov_b32 v1, v87
	v_dual_mov_b32 v2, v44 :: v_dual_mov_b32 v3, v45
	;; [unrolled: 1-line block ×10, first 2 shown]
	ds_store_b64 v103, v[68:69]
	v_dual_mov_b32 v30, v58 :: v_dual_mov_b32 v31, v59
	v_dual_mov_b32 v32, v54 :: v_dual_mov_b32 v33, v55
	ds_store_2addr_b64 v104, v[0:1], v[2:3] offset0:2 offset1:3
	ds_store_2addr_b64 v104, v[4:5], v[6:7] offset0:4 offset1:5
	ds_store_2addr_b64 v104, v[8:9], v[10:11] offset0:6 offset1:7
	ds_store_2addr_b64 v104, v[12:13], v[14:15] offset0:8 offset1:9
	ds_store_2addr_b64 v104, v[18:19], v[28:29] offset0:10 offset1:11
	ds_store_2addr_b64 v104, v[30:31], v[32:33] offset0:12 offset1:13
	v_dual_mov_b32 v0, v56 :: v_dual_mov_b32 v1, v57
	v_dual_mov_b32 v2, v52 :: v_dual_mov_b32 v3, v53
	v_dual_mov_b32 v4, v76 :: v_dual_mov_b32 v5, v77
	v_dual_mov_b32 v6, v72 :: v_dual_mov_b32 v7, v73
	v_dual_mov_b32 v8, v74 :: v_dual_mov_b32 v9, v75
	v_dual_mov_b32 v10, v70 :: v_dual_mov_b32 v11, v71
	v_dual_mov_b32 v12, v94 :: v_dual_mov_b32 v13, v95
	v_dual_mov_b32 v14, v90 :: v_dual_mov_b32 v15, v91
	v_dual_mov_b32 v18, v92 :: v_dual_mov_b32 v19, v93
	v_dual_mov_b32 v28, v88 :: v_dual_mov_b32 v29, v89
	v_dual_mov_b32 v30, v112 :: v_dual_mov_b32 v31, v113
	v_dual_mov_b32 v32, v108 :: v_dual_mov_b32 v33, v109
	ds_store_2addr_b64 v104, v[0:1], v[2:3] offset0:14 offset1:15
	ds_store_2addr_b64 v104, v[4:5], v[6:7] offset0:16 offset1:17
	ds_store_2addr_b64 v104, v[8:9], v[10:11] offset0:18 offset1:19
	ds_store_2addr_b64 v104, v[12:13], v[14:15] offset0:20 offset1:21
	ds_store_2addr_b64 v104, v[18:19], v[28:29] offset0:22 offset1:23
	ds_store_2addr_b64 v104, v[30:31], v[32:33] offset0:24 offset1:25
	v_dual_mov_b32 v0, v110 :: v_dual_mov_b32 v1, v111
	v_dual_mov_b32 v2, v106 :: v_dual_mov_b32 v3, v107
	v_dual_mov_b32 v4, v128 :: v_dual_mov_b32 v5, v129
	v_dual_mov_b32 v6, v124 :: v_dual_mov_b32 v7, v125
	v_dual_mov_b32 v8, v126 :: v_dual_mov_b32 v9, v127
	v_dual_mov_b32 v10, v122 :: v_dual_mov_b32 v11, v123
	v_dual_mov_b32 v12, v146 :: v_dual_mov_b32 v13, v147
	v_dual_mov_b32 v14, v142 :: v_dual_mov_b32 v15, v143
	v_dual_mov_b32 v18, v144 :: v_dual_mov_b32 v19, v145
	v_dual_mov_b32 v28, v140 :: v_dual_mov_b32 v29, v141
	;; [unrolled: 18-line block ×3, first 2 shown]
	v_dual_mov_b32 v30, v196 :: v_dual_mov_b32 v31, v197
	v_dual_mov_b32 v32, v202 :: v_dual_mov_b32 v33, v203
	ds_store_2addr_b64 v104, v[0:1], v[2:3] offset0:38 offset1:39
	ds_store_2addr_b64 v104, v[4:5], v[6:7] offset0:40 offset1:41
	ds_store_2addr_b64 v104, v[8:9], v[10:11] offset0:42 offset1:43
	ds_store_2addr_b64 v104, v[12:13], v[14:15] offset0:44 offset1:45
	ds_store_2addr_b64 v104, v[18:19], v[28:29] offset0:46 offset1:47
	ds_store_2addr_b64 v104, v[30:31], v[32:33] offset0:48 offset1:49
	ds_store_b64 v104, v[204:205] offset:400
	ds_load_b64 v[0:1], v103
	s_wait_dscnt 0x0
	v_cmp_neq_f32_e32 vcc_lo, 0, v0
	v_cmp_neq_f32_e64 s1, 0, v1
	s_or_b32 s1, vcc_lo, s1
	s_delay_alu instid0(SALU_CYCLE_1)
	s_and_b32 exec_lo, exec_lo, s1
	s_cbranch_execz .LBB101_17
; %bb.12:
	v_cmp_ngt_f32_e64 s1, |v0|, |v1|
                                        ; implicit-def: $vgpr2_vgpr3
	s_and_saveexec_b32 s4, s1
	s_delay_alu instid0(SALU_CYCLE_1)
	s_xor_b32 s1, exec_lo, s4
	s_cbranch_execz .LBB101_14
; %bb.13:
	v_div_scale_f32 v2, null, v1, v1, v0
	v_div_scale_f32 v5, vcc_lo, v0, v1, v0
	s_delay_alu instid0(VALU_DEP_2) | instskip(SKIP_1) | instid1(TRANS32_DEP_1)
	v_rcp_f32_e32 v3, v2
	v_nop
	v_fma_f32 v4, -v2, v3, 1.0
	s_delay_alu instid0(VALU_DEP_1) | instskip(NEXT) | instid1(VALU_DEP_1)
	v_fmac_f32_e32 v3, v4, v3
	v_mul_f32_e32 v4, v5, v3
	s_delay_alu instid0(VALU_DEP_1) | instskip(NEXT) | instid1(VALU_DEP_1)
	v_fma_f32 v6, -v2, v4, v5
	v_fmac_f32_e32 v4, v6, v3
	s_delay_alu instid0(VALU_DEP_1) | instskip(NEXT) | instid1(VALU_DEP_1)
	v_fma_f32 v2, -v2, v4, v5
	v_div_fmas_f32 v2, v2, v3, v4
	s_delay_alu instid0(VALU_DEP_1) | instskip(NEXT) | instid1(VALU_DEP_1)
	v_div_fixup_f32 v2, v2, v1, v0
	v_fmac_f32_e32 v1, v0, v2
	s_delay_alu instid0(VALU_DEP_1) | instskip(SKIP_1) | instid1(VALU_DEP_2)
	v_div_scale_f32 v0, null, v1, v1, 1.0
	v_div_scale_f32 v5, vcc_lo, 1.0, v1, 1.0
	v_rcp_f32_e32 v3, v0
	v_nop
	s_delay_alu instid0(TRANS32_DEP_1) | instskip(NEXT) | instid1(VALU_DEP_1)
	v_fma_f32 v4, -v0, v3, 1.0
	v_fmac_f32_e32 v3, v4, v3
	s_delay_alu instid0(VALU_DEP_1) | instskip(NEXT) | instid1(VALU_DEP_1)
	v_mul_f32_e32 v4, v5, v3
	v_fma_f32 v6, -v0, v4, v5
	s_delay_alu instid0(VALU_DEP_1) | instskip(NEXT) | instid1(VALU_DEP_1)
	v_fmac_f32_e32 v4, v6, v3
	v_fma_f32 v0, -v0, v4, v5
	s_delay_alu instid0(VALU_DEP_1) | instskip(NEXT) | instid1(VALU_DEP_1)
	v_div_fmas_f32 v0, v0, v3, v4
	v_div_fixup_f32 v0, v0, v1, 1.0
	s_delay_alu instid0(VALU_DEP_1)
	v_mul_f32_e32 v2, v2, v0
	v_xor_b32_e32 v3, 0x80000000, v0
                                        ; implicit-def: $vgpr0_vgpr1
.LBB101_14:
	s_and_not1_saveexec_b32 s1, s1
	s_cbranch_execz .LBB101_16
; %bb.15:
	v_div_scale_f32 v2, null, v0, v0, v1
	v_div_scale_f32 v5, vcc_lo, v1, v0, v1
	s_delay_alu instid0(VALU_DEP_2) | instskip(SKIP_1) | instid1(TRANS32_DEP_1)
	v_rcp_f32_e32 v3, v2
	v_nop
	v_fma_f32 v4, -v2, v3, 1.0
	s_delay_alu instid0(VALU_DEP_1) | instskip(NEXT) | instid1(VALU_DEP_1)
	v_fmac_f32_e32 v3, v4, v3
	v_mul_f32_e32 v4, v5, v3
	s_delay_alu instid0(VALU_DEP_1) | instskip(NEXT) | instid1(VALU_DEP_1)
	v_fma_f32 v6, -v2, v4, v5
	v_fmac_f32_e32 v4, v6, v3
	s_delay_alu instid0(VALU_DEP_1) | instskip(NEXT) | instid1(VALU_DEP_1)
	v_fma_f32 v2, -v2, v4, v5
	v_div_fmas_f32 v2, v2, v3, v4
	s_delay_alu instid0(VALU_DEP_1) | instskip(NEXT) | instid1(VALU_DEP_1)
	v_div_fixup_f32 v3, v2, v0, v1
	v_fmac_f32_e32 v0, v1, v3
	s_delay_alu instid0(VALU_DEP_1) | instskip(NEXT) | instid1(VALU_DEP_1)
	v_div_scale_f32 v1, null, v0, v0, 1.0
	v_rcp_f32_e32 v2, v1
	v_nop
	s_delay_alu instid0(TRANS32_DEP_1) | instskip(NEXT) | instid1(VALU_DEP_1)
	v_fma_f32 v4, -v1, v2, 1.0
	v_fmac_f32_e32 v2, v4, v2
	v_div_scale_f32 v4, vcc_lo, 1.0, v0, 1.0
	s_delay_alu instid0(VALU_DEP_1) | instskip(NEXT) | instid1(VALU_DEP_1)
	v_mul_f32_e32 v5, v4, v2
	v_fma_f32 v6, -v1, v5, v4
	s_delay_alu instid0(VALU_DEP_1) | instskip(NEXT) | instid1(VALU_DEP_1)
	v_fmac_f32_e32 v5, v6, v2
	v_fma_f32 v1, -v1, v5, v4
	s_delay_alu instid0(VALU_DEP_1) | instskip(NEXT) | instid1(VALU_DEP_1)
	v_div_fmas_f32 v1, v1, v2, v5
	v_div_fixup_f32 v2, v1, v0, 1.0
	s_delay_alu instid0(VALU_DEP_1)
	v_mul_f32_e64 v3, v3, -v2
.LBB101_16:
	s_or_b32 exec_lo, exec_lo, s1
	ds_store_b64 v103, v[2:3]
.LBB101_17:
	s_or_b32 exec_lo, exec_lo, s2
	s_wait_dscnt 0x0
	s_barrier_signal -1
	s_barrier_wait -1
	ds_load_b64 v[0:1], v103
	s_mov_b32 s1, exec_lo
	s_wait_dscnt 0x0
	scratch_store_b64 off, v[0:1], off offset:56 ; 8-byte Folded Spill
	s_wait_xcnt 0x0
	v_cmpx_lt_u32_e32 1, v102
	s_cbranch_execz .LBB101_19
; %bb.18:
	ds_load_2addr_b64 v[4:7], v104 offset0:2 offset1:3
	ds_load_2addr_b64 v[8:11], v104 offset0:4 offset1:5
	;; [unrolled: 1-line block ×3, first 2 shown]
	scratch_load_b64 v[18:19], off, off offset:56 ; 8-byte Folded Reload
	ds_load_2addr_b64 v[28:31], v104 offset0:8 offset1:9
	ds_load_2addr_b64 v[46:49], v104 offset0:10 offset1:11
	s_wait_dscnt 0x3
	v_dual_mov_b32 v50, v11 :: v_dual_mov_b32 v51, v10
	s_wait_loadcnt 0x0
	v_pk_mul_f32 v[2:3], v[18:19], v[68:69] op_sel:[1,1] op_sel_hi:[0,1]
	s_delay_alu instid0(VALU_DEP_1) | instskip(SKIP_1) | instid1(VALU_DEP_1)
	v_pk_fma_f32 v[0:1], v[18:19], v[68:69], v[2:3] op_sel_hi:[1,0,1] neg_lo:[0,0,1] neg_hi:[0,0,1]
	v_pk_fma_f32 v[2:3], v[18:19], v[68:69], v[2:3] op_sel_hi:[1,0,1]
	v_dual_mov_b32 v68, v0 :: v_dual_mov_b32 v69, v3
	s_delay_alu instid0(VALU_DEP_2) | instskip(SKIP_3) | instid1(VALU_DEP_4)
	v_pk_mul_f32 v[18:19], v[4:5], v[2:3] op_sel:[0,1]
	v_pk_mul_f32 v[32:33], v[6:7], v[2:3] op_sel:[0,1]
	;; [unrolled: 1-line block ×3, first 2 shown]
	v_dual_mul_f32 v60, v11, v3 :: v_dual_mul_f32 v62, v11, v0
	v_pk_fma_f32 v[80:81], v[4:5], v[0:1], v[18:19] op_sel:[0,0,1] op_sel_hi:[1,1,0] neg_lo:[0,0,1] neg_hi:[0,0,1]
	v_pk_fma_f32 v[4:5], v[4:5], v[0:1], v[18:19] op_sel:[0,0,1] op_sel_hi:[1,0,0]
	v_pk_fma_f32 v[18:19], v[6:7], v[0:1], v[32:33] op_sel:[0,0,1] op_sel_hi:[1,1,0] neg_lo:[0,0,1] neg_hi:[0,0,1]
	v_pk_fma_f32 v[6:7], v[6:7], v[0:1], v[32:33] op_sel:[0,0,1] op_sel_hi:[1,0,0]
	s_wait_dscnt 0x2
	v_pk_mul_f32 v[64:65], v[12:13], v[2:3] op_sel:[0,1]
	v_pk_mul_f32 v[66:67], v[14:15], v[2:3] op_sel:[0,1]
	v_pk_fma_f32 v[32:33], v[8:9], v[0:1], v[42:43] op_sel:[0,0,1] op_sel_hi:[1,1,0] neg_lo:[0,0,1] neg_hi:[0,0,1]
	v_pk_fma_f32 v[8:9], v[8:9], v[0:1], v[42:43] op_sel:[0,0,1] op_sel_hi:[1,0,0]
	s_wait_dscnt 0x1
	v_pk_mul_f32 v[78:79], v[28:29], v[2:3] op_sel:[0,1]
	v_dual_mov_b32 v81, v5 :: v_dual_mov_b32 v19, v7
	v_pk_fma_f32 v[42:43], v[50:51], v[68:69], v[62:63] op_sel_hi:[1,1,0]
	v_mov_b32_e32 v33, v9
	v_pk_fma_f32 v[4:5], v[12:13], v[0:1], v[64:65] op_sel:[0,0,1] op_sel_hi:[1,0,0]
	v_pk_fma_f32 v[8:9], v[12:13], v[0:1], v[64:65] op_sel:[0,0,1] op_sel_hi:[1,1,0] neg_lo:[0,0,1] neg_hi:[0,0,1]
	v_pk_fma_f32 v[12:13], v[14:15], v[0:1], v[66:67] op_sel:[0,0,1] op_sel_hi:[1,0,0]
	v_pk_add_f32 v[44:45], v[44:45], v[18:19] neg_lo:[0,1] neg_hi:[0,1]
	v_pk_fma_f32 v[18:19], v[28:29], v[0:1], v[78:79] op_sel:[0,0,1] op_sel_hi:[1,0,0]
	v_pk_fma_f32 v[14:15], v[14:15], v[0:1], v[66:67] op_sel:[0,0,1] op_sel_hi:[1,1,0] neg_lo:[0,0,1] neg_hi:[0,0,1]
	s_delay_alu instid0(VALU_DEP_4) | instskip(SKIP_1) | instid1(VALU_DEP_4)
	v_dual_mov_b32 v9, v5 :: v_dual_mov_b32 v15, v13
	v_pk_fma_f32 v[12:13], v[28:29], v[0:1], v[78:79] op_sel:[0,0,1] op_sel_hi:[1,1,0] neg_lo:[0,0,1] neg_hi:[0,0,1]
	v_mov_b32_e32 v13, v19
	v_pk_mul_f32 v[18:19], v[30:31], v[2:3] op_sel:[0,1]
	ds_load_2addr_b64 v[4:7], v104 offset0:12 offset1:13
	v_pk_fma_f32 v[10:11], v[10:11], v[68:69], v[60:61] op_sel_hi:[1,1,0] neg_lo:[0,0,1] neg_hi:[0,0,1]
	v_pk_add_f32 v[20:21], v[20:21], v[14:15] neg_lo:[0,1] neg_hi:[0,1]
	v_mov_b32_e32 v11, v43
	v_pk_fma_f32 v[14:15], v[30:31], v[0:1], v[18:19] op_sel:[0,0,1] op_sel_hi:[1,0,0]
	v_pk_fma_f32 v[18:19], v[30:31], v[0:1], v[18:19] op_sel:[0,0,1] op_sel_hi:[1,1,0] neg_lo:[0,0,1] neg_hi:[0,0,1]
	v_pk_add_f32 v[24:25], v[24:25], v[8:9] neg_lo:[0,1] neg_hi:[0,1]
	s_wait_dscnt 0x1
	v_pk_mul_f32 v[28:29], v[48:49], v[2:3] op_sel:[0,1]
	v_pk_add_f32 v[22:23], v[22:23], v[10:11] neg_lo:[0,1] neg_hi:[0,1]
	v_mov_b32_e32 v19, v15
	v_pk_add_f32 v[40:41], v[40:41], v[12:13] neg_lo:[0,1] neg_hi:[0,1]
	v_dual_mul_f32 v12, v47, v0 :: v_dual_mul_f32 v14, v47, v3
	ds_load_2addr_b64 v[8:11], v104 offset0:14 offset1:15
	v_pk_fma_f32 v[30:31], v[48:49], v[0:1], v[28:29] op_sel:[0,0,1] op_sel_hi:[1,0,0]
	v_pk_add_f32 v[26:27], v[26:27], v[32:33] neg_lo:[0,1] neg_hi:[0,1]
	v_pk_fma_f32 v[12:13], v[46:47], v[68:69], v[12:13] op_sel:[1,0,0] op_sel_hi:[0,1,0]
	v_pk_fma_f32 v[14:15], v[46:47], v[68:69], v[14:15] op_sel_hi:[1,1,0] neg_lo:[0,0,1] neg_hi:[0,0,1]
	v_pk_add_f32 v[36:37], v[36:37], v[18:19] neg_lo:[0,1] neg_hi:[0,1]
	v_pk_add_f32 v[86:87], v[86:87], v[80:81] neg_lo:[0,1] neg_hi:[0,1]
	s_wait_dscnt 0x1
	v_pk_mul_f32 v[32:33], v[4:5], v[2:3] op_sel:[0,1]
	v_mov_b32_e32 v15, v13
	v_pk_fma_f32 v[12:13], v[48:49], v[0:1], v[28:29] op_sel:[0,0,1] op_sel_hi:[1,1,0] neg_lo:[0,0,1] neg_hi:[0,0,1]
	v_mov_b32_e32 v13, v31
	v_pk_mul_f32 v[28:29], v[6:7], v[2:3] op_sel:[0,1]
	v_pk_fma_f32 v[18:19], v[4:5], v[0:1], v[32:33] op_sel:[0,0,1] op_sel_hi:[1,0,0]
	v_pk_add_f32 v[38:39], v[38:39], v[14:15] neg_lo:[0,1] neg_hi:[0,1]
	v_pk_fma_f32 v[30:31], v[4:5], v[0:1], v[32:33] op_sel:[0,0,1] op_sel_hi:[1,1,0] neg_lo:[0,0,1] neg_hi:[0,0,1]
	v_pk_add_f32 v[34:35], v[34:35], v[12:13] neg_lo:[0,1] neg_hi:[0,1]
	ds_load_2addr_b64 v[12:15], v104 offset0:16 offset1:17
	v_mov_b32_e32 v31, v19
	v_pk_fma_f32 v[18:19], v[6:7], v[0:1], v[28:29] op_sel:[0,0,1] op_sel_hi:[1,1,0] neg_lo:[0,0,1] neg_hi:[0,0,1]
	v_pk_fma_f32 v[28:29], v[6:7], v[0:1], v[28:29] op_sel:[0,0,1] op_sel_hi:[1,0,0]
	s_wait_dscnt 0x1
	v_pk_mul_f32 v[32:33], v[8:9], v[2:3] op_sel:[0,1]
	ds_load_2addr_b64 v[4:7], v104 offset0:18 offset1:19
	v_dual_mov_b32 v42, v11 :: v_dual_mov_b32 v43, v10
	v_dual_mul_f32 v28, v11, v0 :: v_dual_mov_b32 v19, v29
	v_pk_add_f32 v[58:59], v[58:59], v[30:31] neg_lo:[0,1] neg_hi:[0,1]
	v_pk_fma_f32 v[30:31], v[8:9], v[0:1], v[32:33] op_sel:[0,0,1] op_sel_hi:[1,0,0]
	v_mul_f32_e32 v30, v11, v3
	s_delay_alu instid0(VALU_DEP_4)
	v_pk_fma_f32 v[28:29], v[42:43], v[68:69], v[28:29] op_sel_hi:[1,1,0]
	v_pk_add_f32 v[54:55], v[54:55], v[18:19] neg_lo:[0,1] neg_hi:[0,1]
	v_pk_fma_f32 v[18:19], v[8:9], v[0:1], v[32:33] op_sel:[0,0,1] op_sel_hi:[1,1,0] neg_lo:[0,0,1] neg_hi:[0,0,1]
	v_mov_b32_e32 v19, v31
	v_pk_fma_f32 v[30:31], v[10:11], v[68:69], v[30:31] op_sel_hi:[1,1,0] neg_lo:[0,0,1] neg_hi:[0,0,1]
	ds_load_2addr_b64 v[8:11], v104 offset0:20 offset1:21
	v_mov_b32_e32 v31, v29
	s_wait_dscnt 0x2
	v_pk_mul_f32 v[28:29], v[12:13], v[2:3] op_sel:[0,1]
	v_pk_mul_f32 v[32:33], v[14:15], v[2:3] op_sel:[0,1]
	v_pk_add_f32 v[56:57], v[56:57], v[18:19] neg_lo:[0,1] neg_hi:[0,1]
	v_pk_add_f32 v[52:53], v[52:53], v[30:31] neg_lo:[0,1] neg_hi:[0,1]
	s_delay_alu instid0(VALU_DEP_4)
	v_pk_fma_f32 v[18:19], v[12:13], v[0:1], v[28:29] op_sel:[0,0,1] op_sel_hi:[1,0,0]
	s_wait_dscnt 0x1
	v_pk_mul_f32 v[46:47], v[4:5], v[2:3] op_sel:[0,1]
	v_pk_fma_f32 v[12:13], v[12:13], v[0:1], v[28:29] op_sel:[0,0,1] op_sel_hi:[1,1,0] neg_lo:[0,0,1] neg_hi:[0,0,1]
	v_pk_fma_f32 v[42:43], v[14:15], v[0:1], v[32:33] op_sel:[0,0,1] op_sel_hi:[1,0,0]
	ds_load_2addr_b64 v[28:31], v104 offset0:22 offset1:23
	v_mov_b32_e32 v13, v19
	v_pk_fma_f32 v[14:15], v[14:15], v[0:1], v[32:33] op_sel:[0,0,1] op_sel_hi:[1,1,0] neg_lo:[0,0,1] neg_hi:[0,0,1]
	v_pk_mul_f32 v[18:19], v[6:7], v[2:3] op_sel:[0,1]
	v_pk_fma_f32 v[32:33], v[4:5], v[0:1], v[46:47] op_sel:[0,0,1] op_sel_hi:[1,0,0]
	v_mov_b32_e32 v15, v43
	v_pk_fma_f32 v[4:5], v[4:5], v[0:1], v[46:47] op_sel:[0,0,1] op_sel_hi:[1,1,0] neg_lo:[0,0,1] neg_hi:[0,0,1]
	v_pk_add_f32 v[76:77], v[76:77], v[12:13] neg_lo:[0,1] neg_hi:[0,1]
	v_pk_fma_f32 v[12:13], v[6:7], v[0:1], v[18:19] op_sel:[0,0,1] op_sel_hi:[1,0,0]
	v_mov_b32_e32 v5, v33
	s_wait_dscnt 0x1
	v_mul_f32_e32 v12, v9, v0
	v_pk_add_f32 v[72:73], v[72:73], v[14:15] neg_lo:[0,1] neg_hi:[0,1]
	v_pk_fma_f32 v[14:15], v[6:7], v[0:1], v[18:19] op_sel:[0,0,1] op_sel_hi:[1,1,0] neg_lo:[0,0,1] neg_hi:[0,0,1]
	v_mov_b32_e32 v15, v13
	v_pk_add_f32 v[74:75], v[74:75], v[4:5] neg_lo:[0,1] neg_hi:[0,1]
	ds_load_2addr_b64 v[4:7], v104 offset0:24 offset1:25
	v_mul_f32_e32 v18, v9, v3
	v_pk_fma_f32 v[12:13], v[8:9], v[68:69], v[12:13] op_sel:[1,0,0] op_sel_hi:[0,1,0]
	v_pk_mul_f32 v[32:33], v[10:11], v[2:3] op_sel:[0,1]
	v_pk_add_f32 v[70:71], v[70:71], v[14:15] neg_lo:[0,1] neg_hi:[0,1]
	s_wait_dscnt 0x1
	v_pk_mul_f32 v[42:43], v[28:29], v[2:3] op_sel:[0,1]
	v_pk_fma_f32 v[8:9], v[8:9], v[68:69], v[18:19] op_sel_hi:[1,1,0] neg_lo:[0,0,1] neg_hi:[0,0,1]
	v_pk_mul_f32 v[18:19], v[30:31], v[2:3] op_sel:[0,1]
	v_pk_fma_f32 v[46:47], v[10:11], v[0:1], v[32:33] op_sel:[0,0,1] op_sel_hi:[1,0,0]
	v_mov_b32_e32 v9, v13
	ds_load_2addr_b64 v[12:15], v104 offset0:26 offset1:27
	v_pk_fma_f32 v[10:11], v[10:11], v[0:1], v[32:33] op_sel:[0,0,1] op_sel_hi:[1,1,0] neg_lo:[0,0,1] neg_hi:[0,0,1]
	v_pk_fma_f32 v[48:49], v[28:29], v[0:1], v[42:43] op_sel:[0,0,1] op_sel_hi:[1,0,0]
	v_mov_b32_e32 v11, v47
	v_pk_fma_f32 v[32:33], v[30:31], v[0:1], v[18:19] op_sel:[0,0,1] op_sel_hi:[1,0,0]
	v_pk_add_f32 v[94:95], v[94:95], v[8:9] neg_lo:[0,1] neg_hi:[0,1]
	v_pk_fma_f32 v[28:29], v[28:29], v[0:1], v[42:43] op_sel:[0,0,1] op_sel_hi:[1,1,0] neg_lo:[0,0,1] neg_hi:[0,0,1]
	v_pk_fma_f32 v[18:19], v[30:31], v[0:1], v[18:19] op_sel:[0,0,1] op_sel_hi:[1,1,0] neg_lo:[0,0,1] neg_hi:[0,0,1]
	v_pk_add_f32 v[90:91], v[90:91], v[10:11] neg_lo:[0,1] neg_hi:[0,1]
	ds_load_2addr_b64 v[8:11], v104 offset0:28 offset1:29
	v_dual_mov_b32 v29, v49 :: v_dual_mov_b32 v19, v33
	s_wait_dscnt 0x2
	v_pk_mul_f32 v[30:31], v[4:5], v[2:3] op_sel:[0,1]
	v_dual_mov_b32 v32, v7 :: v_dual_mov_b32 v33, v6
	v_mul_f32_e32 v42, v7, v3
	v_pk_add_f32 v[88:89], v[88:89], v[18:19] neg_lo:[0,1] neg_hi:[0,1]
	s_delay_alu instid0(VALU_DEP_4)
	v_pk_fma_f32 v[18:19], v[4:5], v[0:1], v[30:31] op_sel:[0,0,1] op_sel_hi:[1,1,0] neg_lo:[0,0,1] neg_hi:[0,0,1]
	v_pk_fma_f32 v[4:5], v[4:5], v[0:1], v[30:31] op_sel:[0,0,1] op_sel_hi:[1,0,0]
	v_mul_f32_e32 v4, v7, v0
	s_wait_dscnt 0x1
	v_pk_mul_f32 v[46:47], v[12:13], v[2:3] op_sel:[0,1]
	v_pk_mul_f32 v[48:49], v[14:15], v[2:3] op_sel:[0,1]
	v_pk_add_f32 v[92:93], v[92:93], v[28:29] neg_lo:[0,1] neg_hi:[0,1]
	ds_load_2addr_b64 v[28:31], v104 offset0:30 offset1:31
	v_pk_fma_f32 v[32:33], v[32:33], v[68:69], v[4:5] op_sel_hi:[1,1,0]
	v_mov_b32_e32 v19, v5
	v_pk_fma_f32 v[4:5], v[12:13], v[0:1], v[46:47] op_sel:[0,0,1] op_sel_hi:[1,0,0]
	v_pk_fma_f32 v[6:7], v[6:7], v[68:69], v[42:43] op_sel_hi:[1,1,0] neg_lo:[0,0,1] neg_hi:[0,0,1]
	v_pk_fma_f32 v[42:43], v[14:15], v[0:1], v[48:49] op_sel:[0,0,1] op_sel_hi:[1,0,0]
	v_pk_fma_f32 v[12:13], v[12:13], v[0:1], v[46:47] op_sel:[0,0,1] op_sel_hi:[1,1,0] neg_lo:[0,0,1] neg_hi:[0,0,1]
	s_delay_alu instid0(VALU_DEP_4) | instskip(SKIP_1) | instid1(VALU_DEP_4)
	v_dual_mov_b32 v7, v33 :: v_dual_mov_b32 v13, v5
	v_pk_fma_f32 v[4:5], v[14:15], v[0:1], v[48:49] op_sel:[0,0,1] op_sel_hi:[1,1,0] neg_lo:[0,0,1] neg_hi:[0,0,1]
	v_mov_b32_e32 v5, v43
	s_wait_dscnt 0x1
	v_pk_mul_f32 v[14:15], v[8:9], v[2:3] op_sel:[0,1]
	v_pk_add_f32 v[112:113], v[112:113], v[18:19] neg_lo:[0,1] neg_hi:[0,1]
	v_pk_add_f32 v[108:109], v[108:109], v[6:7] neg_lo:[0,1] neg_hi:[0,1]
	;; [unrolled: 1-line block ×4, first 2 shown]
	v_pk_fma_f32 v[18:19], v[8:9], v[0:1], v[14:15] op_sel:[0,0,1] op_sel_hi:[1,0,0]
	ds_load_2addr_b64 v[4:7], v104 offset0:32 offset1:33
	v_pk_fma_f32 v[8:9], v[8:9], v[0:1], v[14:15] op_sel:[0,0,1] op_sel_hi:[1,1,0] neg_lo:[0,0,1] neg_hi:[0,0,1]
	v_pk_mul_f32 v[32:33], v[10:11], v[2:3] op_sel:[0,1]
	ds_load_2addr_b64 v[12:15], v104 offset0:34 offset1:35
	s_wait_dscnt 0x2
	v_dual_mul_f32 v18, v29, v0 :: v_dual_mov_b32 v9, v19
	v_pk_mul_f32 v[42:43], v[30:31], v[2:3] op_sel:[0,1]
	v_pk_fma_f32 v[46:47], v[10:11], v[0:1], v[32:33] op_sel:[0,0,1] op_sel_hi:[1,0,0]
	v_pk_fma_f32 v[10:11], v[10:11], v[0:1], v[32:33] op_sel:[0,0,1] op_sel_hi:[1,1,0] neg_lo:[0,0,1] neg_hi:[0,0,1]
	v_mul_f32_e32 v46, v29, v3
	v_pk_fma_f32 v[18:19], v[28:29], v[68:69], v[18:19] op_sel:[1,0,0] op_sel_hi:[0,1,0]
	v_pk_fma_f32 v[32:33], v[30:31], v[0:1], v[42:43] op_sel:[0,0,1] op_sel_hi:[1,0,0]
	v_mov_b32_e32 v11, v47
	v_pk_add_f32 v[128:129], v[128:129], v[8:9] neg_lo:[0,1] neg_hi:[0,1]
	v_pk_fma_f32 v[28:29], v[28:29], v[68:69], v[46:47] op_sel_hi:[1,1,0] neg_lo:[0,0,1] neg_hi:[0,0,1]
	v_mov_b32_e32 v29, v19
	v_pk_fma_f32 v[18:19], v[30:31], v[0:1], v[42:43] op_sel:[0,0,1] op_sel_hi:[1,1,0] neg_lo:[0,0,1] neg_hi:[0,0,1]
	v_pk_add_f32 v[124:125], v[124:125], v[10:11] neg_lo:[0,1] neg_hi:[0,1]
	ds_load_2addr_b64 v[8:11], v104 offset0:36 offset1:37
	v_mov_b32_e32 v19, v33
	v_pk_add_f32 v[126:127], v[126:127], v[28:29] neg_lo:[0,1] neg_hi:[0,1]
	s_wait_dscnt 0x2
	v_pk_mul_f32 v[28:29], v[4:5], v[2:3] op_sel:[0,1]
	s_wait_dscnt 0x1
	v_pk_mul_f32 v[32:33], v[12:13], v[2:3] op_sel:[0,1]
	v_pk_add_f32 v[122:123], v[122:123], v[18:19] neg_lo:[0,1] neg_hi:[0,1]
	v_pk_mul_f32 v[18:19], v[6:7], v[2:3] op_sel:[0,1]
	v_pk_fma_f32 v[42:43], v[4:5], v[0:1], v[28:29] op_sel:[0,0,1] op_sel_hi:[1,0,0]
	v_pk_fma_f32 v[4:5], v[4:5], v[0:1], v[28:29] op_sel:[0,0,1] op_sel_hi:[1,1,0] neg_lo:[0,0,1] neg_hi:[0,0,1]
	v_pk_fma_f32 v[48:49], v[12:13], v[0:1], v[32:33] op_sel:[0,0,1] op_sel_hi:[1,0,0]
	ds_load_2addr_b64 v[28:31], v104 offset0:38 offset1:39
	v_pk_fma_f32 v[12:13], v[12:13], v[0:1], v[32:33] op_sel:[0,0,1] op_sel_hi:[1,1,0] neg_lo:[0,0,1] neg_hi:[0,0,1]
	v_pk_fma_f32 v[46:47], v[6:7], v[0:1], v[18:19] op_sel:[0,0,1] op_sel_hi:[1,0,0]
	v_pk_fma_f32 v[6:7], v[6:7], v[0:1], v[18:19] op_sel:[0,0,1] op_sel_hi:[1,1,0] neg_lo:[0,0,1] neg_hi:[0,0,1]
	v_dual_mov_b32 v13, v49 :: v_dual_mov_b32 v18, v15
	v_dual_mov_b32 v19, v14 :: v_dual_mul_f32 v32, v15, v0
	s_delay_alu instid0(VALU_DEP_4) | instskip(NEXT) | instid1(VALU_DEP_3)
	v_dual_mov_b32 v5, v43 :: v_dual_mov_b32 v7, v47
	v_pk_add_f32 v[144:145], v[144:145], v[12:13] neg_lo:[0,1] neg_hi:[0,1]
	s_wait_dscnt 0x1
	v_pk_mul_f32 v[42:43], v[10:11], v[2:3] op_sel:[0,1]
	v_pk_fma_f32 v[18:19], v[18:19], v[68:69], v[32:33] op_sel_hi:[1,1,0]
	v_pk_mul_f32 v[32:33], v[8:9], v[2:3] op_sel:[0,1]
	v_pk_add_f32 v[146:147], v[146:147], v[4:5] neg_lo:[0,1] neg_hi:[0,1]
	v_pk_add_f32 v[142:143], v[142:143], v[6:7] neg_lo:[0,1] neg_hi:[0,1]
	ds_load_2addr_b64 v[4:7], v104 offset0:40 offset1:41
	v_pk_fma_f32 v[50:51], v[10:11], v[0:1], v[42:43] op_sel:[0,0,1] op_sel_hi:[1,0,0]
	v_pk_fma_f32 v[48:49], v[8:9], v[0:1], v[32:33] op_sel:[0,0,1] op_sel_hi:[1,0,0]
	v_mul_f32_e32 v12, v15, v3
	v_pk_fma_f32 v[8:9], v[8:9], v[0:1], v[32:33] op_sel:[0,0,1] op_sel_hi:[1,1,0] neg_lo:[0,0,1] neg_hi:[0,0,1]
	v_pk_fma_f32 v[10:11], v[10:11], v[0:1], v[42:43] op_sel:[0,0,1] op_sel_hi:[1,1,0] neg_lo:[0,0,1] neg_hi:[0,0,1]
	s_delay_alu instid0(VALU_DEP_4) | instskip(NEXT) | instid1(VALU_DEP_4)
	v_dual_mov_b32 v11, v51 :: v_dual_mov_b32 v9, v49
	v_pk_fma_f32 v[46:47], v[14:15], v[68:69], v[12:13] op_sel_hi:[1,1,0] neg_lo:[0,0,1] neg_hi:[0,0,1]
	ds_load_2addr_b64 v[12:15], v104 offset0:42 offset1:43
	v_mov_b32_e32 v47, v19
	s_wait_dscnt 0x2
	v_pk_mul_f32 v[18:19], v[28:29], v[2:3] op_sel:[0,1]
	v_pk_add_f32 v[162:163], v[162:163], v[8:9] neg_lo:[0,1] neg_hi:[0,1]
	v_pk_add_f32 v[158:159], v[158:159], v[10:11] neg_lo:[0,1] neg_hi:[0,1]
	ds_load_2addr_b64 v[8:11], v104 offset0:44 offset1:45
	v_pk_add_f32 v[140:141], v[140:141], v[46:47] neg_lo:[0,1] neg_hi:[0,1]
	v_pk_fma_f32 v[32:33], v[28:29], v[0:1], v[18:19] op_sel:[0,0,1] op_sel_hi:[1,0,0]
	v_pk_fma_f32 v[18:19], v[28:29], v[0:1], v[18:19] op_sel:[0,0,1] op_sel_hi:[1,1,0] neg_lo:[0,0,1] neg_hi:[0,0,1]
	v_pk_mul_f32 v[28:29], v[30:31], v[2:3] op_sel:[0,1]
	s_wait_dscnt 0x2
	v_mul_f32_e32 v32, v5, v0
	v_mov_b32_e32 v19, v33
	s_delay_alu instid0(VALU_DEP_1)
	v_pk_add_f32 v[160:161], v[160:161], v[18:19] neg_lo:[0,1] neg_hi:[0,1]
	v_pk_fma_f32 v[18:19], v[30:31], v[0:1], v[28:29] op_sel:[0,0,1] op_sel_hi:[1,1,0] neg_lo:[0,0,1] neg_hi:[0,0,1]
	v_pk_fma_f32 v[28:29], v[30:31], v[0:1], v[28:29] op_sel:[0,0,1] op_sel_hi:[1,0,0]
	v_mul_f32_e32 v28, v5, v3
	v_pk_mul_f32 v[30:31], v[6:7], v[2:3] op_sel:[0,1]
	v_pk_fma_f32 v[32:33], v[4:5], v[68:69], v[32:33] op_sel:[1,0,0] op_sel_hi:[0,1,0]
	s_wait_dscnt 0x1
	v_pk_mul_f32 v[42:43], v[12:13], v[2:3] op_sel:[0,1]
	s_delay_alu instid0(VALU_DEP_3)
	v_pk_fma_f32 v[46:47], v[6:7], v[0:1], v[30:31] op_sel:[0,0,1] op_sel_hi:[1,0,0]
	v_mov_b32_e32 v19, v29
	v_pk_fma_f32 v[28:29], v[4:5], v[68:69], v[28:29] op_sel_hi:[1,1,0] neg_lo:[0,0,1] neg_hi:[0,0,1]
	v_mov_b32_e32 v29, v33
	v_pk_fma_f32 v[32:33], v[12:13], v[0:1], v[42:43] op_sel:[0,0,1] op_sel_hi:[1,0,0]
	v_pk_fma_f32 v[30:31], v[6:7], v[0:1], v[30:31] op_sel:[0,0,1] op_sel_hi:[1,1,0] neg_lo:[0,0,1] neg_hi:[0,0,1]
	ds_load_2addr_b64 v[4:7], v104 offset0:46 offset1:47
	v_pk_fma_f32 v[12:13], v[12:13], v[0:1], v[42:43] op_sel:[0,0,1] op_sel_hi:[1,1,0] neg_lo:[0,0,1] neg_hi:[0,0,1]
	v_dual_mov_b32 v31, v47 :: v_dual_mov_b32 v13, v33
	v_pk_mul_f32 v[32:33], v[14:15], v[2:3] op_sel:[0,1]
	v_pk_add_f32 v[156:157], v[156:157], v[18:19] neg_lo:[0,1] neg_hi:[0,1]
	v_pk_add_f32 v[180:181], v[180:181], v[28:29] neg_lo:[0,1] neg_hi:[0,1]
	s_delay_alu instid0(VALU_DEP_4)
	v_pk_add_f32 v[176:177], v[176:177], v[30:31] neg_lo:[0,1] neg_hi:[0,1]
	s_wait_dscnt 0x1
	v_pk_mul_f32 v[30:31], v[8:9], v[2:3] op_sel:[0,1]
	v_pk_fma_f32 v[18:19], v[14:15], v[0:1], v[32:33] op_sel:[0,0,1] op_sel_hi:[1,1,0] neg_lo:[0,0,1] neg_hi:[0,0,1]
	v_pk_fma_f32 v[28:29], v[14:15], v[0:1], v[32:33] op_sel:[0,0,1] op_sel_hi:[1,0,0]
	v_mov_b32_e32 v32, v11
	v_pk_add_f32 v[178:179], v[178:179], v[12:13] neg_lo:[0,1] neg_hi:[0,1]
	ds_load_2addr_b64 v[12:15], v104 offset0:48 offset1:49
	ds_load_b64 v[42:43], v104 offset:400
	v_dual_mov_b32 v33, v10 :: v_dual_mul_f32 v28, v11, v0
	v_pk_fma_f32 v[46:47], v[8:9], v[0:1], v[30:31] op_sel:[0,0,1] op_sel_hi:[1,0,0]
	v_dual_mov_b32 v19, v29 :: v_dual_mul_f32 v46, v11, v3
	v_pk_fma_f32 v[8:9], v[8:9], v[0:1], v[30:31] op_sel:[0,0,1] op_sel_hi:[1,1,0] neg_lo:[0,0,1] neg_hi:[0,0,1]
	s_delay_alu instid0(VALU_DEP_4)
	v_pk_fma_f32 v[28:29], v[32:33], v[68:69], v[28:29] op_sel_hi:[1,1,0]
	s_wait_dscnt 0x2
	v_pk_mul_f32 v[30:31], v[4:5], v[2:3] op_sel:[0,1]
	v_mov_b32_e32 v9, v47
	v_pk_fma_f32 v[10:11], v[10:11], v[68:69], v[46:47] op_sel_hi:[1,1,0] neg_lo:[0,0,1] neg_hi:[0,0,1]
	v_pk_add_f32 v[174:175], v[174:175], v[18:19] neg_lo:[0,1] neg_hi:[0,1]
	v_mov_b32_e32 v11, v29
	v_pk_fma_f32 v[18:19], v[4:5], v[0:1], v[30:31] op_sel:[0,0,1] op_sel_hi:[1,0,0]
	v_pk_add_f32 v[200:201], v[200:201], v[8:9] neg_lo:[0,1] neg_hi:[0,1]
	v_pk_mul_f32 v[8:9], v[6:7], v[2:3] op_sel:[0,1]
	v_pk_fma_f32 v[4:5], v[4:5], v[0:1], v[30:31] op_sel:[0,0,1] op_sel_hi:[1,1,0] neg_lo:[0,0,1] neg_hi:[0,0,1]
	v_pk_add_f32 v[194:195], v[194:195], v[10:11] neg_lo:[0,1] neg_hi:[0,1]
	v_mov_b32_e32 v5, v19
	s_wait_dscnt 0x1
	v_pk_mul_f32 v[10:11], v[12:13], v[2:3] op_sel:[0,1]
	v_pk_fma_f32 v[18:19], v[6:7], v[0:1], v[8:9] op_sel:[0,0,1] op_sel_hi:[1,0,0]
	v_pk_mul_f32 v[28:29], v[14:15], v[2:3] op_sel:[0,1]
	s_wait_dscnt 0x0
	v_pk_mul_f32 v[2:3], v[42:43], v[2:3] op_sel:[0,1]
	v_pk_fma_f32 v[6:7], v[6:7], v[0:1], v[8:9] op_sel:[0,0,1] op_sel_hi:[1,1,0] neg_lo:[0,0,1] neg_hi:[0,0,1]
	v_pk_fma_f32 v[8:9], v[12:13], v[0:1], v[10:11] op_sel:[0,0,1] op_sel_hi:[1,0,0]
	v_mov_b32_e32 v7, v19
	v_pk_fma_f32 v[18:19], v[14:15], v[0:1], v[28:29] op_sel:[0,0,1] op_sel_hi:[1,0,0]
	v_pk_fma_f32 v[10:11], v[12:13], v[0:1], v[10:11] op_sel:[0,0,1] op_sel_hi:[1,1,0] neg_lo:[0,0,1] neg_hi:[0,0,1]
	v_pk_fma_f32 v[12:13], v[42:43], v[0:1], v[2:3] op_sel:[0,0,1] op_sel_hi:[1,0,0]
	v_mov_b32_e32 v11, v9
	v_pk_fma_f32 v[8:9], v[14:15], v[0:1], v[28:29] op_sel:[0,0,1] op_sel_hi:[1,1,0] neg_lo:[0,0,1] neg_hi:[0,0,1]
	v_pk_fma_f32 v[0:1], v[42:43], v[0:1], v[2:3] op_sel:[0,0,1] op_sel_hi:[1,1,0] neg_lo:[0,0,1] neg_hi:[0,0,1]
	s_delay_alu instid0(VALU_DEP_4) | instskip(SKIP_3) | instid1(VALU_DEP_4)
	v_dual_mov_b32 v9, v19 :: v_dual_mov_b32 v1, v13
	v_pk_add_f32 v[198:199], v[198:199], v[4:5] neg_lo:[0,1] neg_hi:[0,1]
	v_pk_add_f32 v[192:193], v[192:193], v[6:7] neg_lo:[0,1] neg_hi:[0,1]
	;; [unrolled: 1-line block ×5, first 2 shown]
.LBB101_19:
	s_wait_xcnt 0x0
	s_or_b32 exec_lo, exec_lo, s1
	s_delay_alu instid0(SALU_CYCLE_1)
	s_mov_b32 s2, exec_lo
	s_wait_storecnt 0x0
	s_barrier_signal -1
	s_barrier_wait -1
	v_cmpx_eq_u32_e32 2, v102
	s_cbranch_execz .LBB101_26
; %bb.20:
	ds_store_b64 v103, v[86:87]
	ds_store_2addr_b64 v104, v[44:45], v[26:27] offset0:3 offset1:4
	ds_store_2addr_b64 v104, v[22:23], v[24:25] offset0:5 offset1:6
	ds_store_2addr_b64 v104, v[20:21], v[40:41] offset0:7 offset1:8
	ds_store_2addr_b64 v104, v[36:37], v[38:39] offset0:9 offset1:10
	ds_store_2addr_b64 v104, v[34:35], v[58:59] offset0:11 offset1:12
	ds_store_2addr_b64 v104, v[54:55], v[56:57] offset0:13 offset1:14
	ds_store_2addr_b64 v104, v[52:53], v[76:77] offset0:15 offset1:16
	ds_store_2addr_b64 v104, v[72:73], v[74:75] offset0:17 offset1:18
	ds_store_2addr_b64 v104, v[70:71], v[94:95] offset0:19 offset1:20
	ds_store_2addr_b64 v104, v[90:91], v[92:93] offset0:21 offset1:22
	ds_store_2addr_b64 v104, v[88:89], v[112:113] offset0:23 offset1:24
	ds_store_2addr_b64 v104, v[108:109], v[110:111] offset0:25 offset1:26
	ds_store_2addr_b64 v104, v[106:107], v[128:129] offset0:27 offset1:28
	ds_store_2addr_b64 v104, v[124:125], v[126:127] offset0:29 offset1:30
	ds_store_2addr_b64 v104, v[122:123], v[146:147] offset0:31 offset1:32
	ds_store_2addr_b64 v104, v[142:143], v[144:145] offset0:33 offset1:34
	ds_store_2addr_b64 v104, v[140:141], v[162:163] offset0:35 offset1:36
	ds_store_2addr_b64 v104, v[158:159], v[160:161] offset0:37 offset1:38
	ds_store_2addr_b64 v104, v[156:157], v[180:181] offset0:39 offset1:40
	ds_store_2addr_b64 v104, v[176:177], v[178:179] offset0:41 offset1:42
	ds_store_2addr_b64 v104, v[174:175], v[200:201] offset0:43 offset1:44
	ds_store_2addr_b64 v104, v[194:195], v[198:199] offset0:45 offset1:46
	ds_store_2addr_b64 v104, v[192:193], v[196:197] offset0:47 offset1:48
	ds_store_2addr_b64 v104, v[202:203], v[204:205] offset0:49 offset1:50
	ds_load_b64 v[0:1], v103
	s_wait_dscnt 0x0
	v_cmp_neq_f32_e32 vcc_lo, 0, v0
	v_cmp_neq_f32_e64 s1, 0, v1
	s_or_b32 s1, vcc_lo, s1
	s_delay_alu instid0(SALU_CYCLE_1)
	s_and_b32 exec_lo, exec_lo, s1
	s_cbranch_execz .LBB101_26
; %bb.21:
	v_cmp_ngt_f32_e64 s1, |v0|, |v1|
                                        ; implicit-def: $vgpr2_vgpr3
	s_and_saveexec_b32 s4, s1
	s_delay_alu instid0(SALU_CYCLE_1)
	s_xor_b32 s1, exec_lo, s4
	s_cbranch_execz .LBB101_23
; %bb.22:
	v_div_scale_f32 v2, null, v1, v1, v0
	v_div_scale_f32 v5, vcc_lo, v0, v1, v0
	s_delay_alu instid0(VALU_DEP_2) | instskip(SKIP_1) | instid1(TRANS32_DEP_1)
	v_rcp_f32_e32 v3, v2
	v_nop
	v_fma_f32 v4, -v2, v3, 1.0
	s_delay_alu instid0(VALU_DEP_1) | instskip(NEXT) | instid1(VALU_DEP_1)
	v_fmac_f32_e32 v3, v4, v3
	v_mul_f32_e32 v4, v5, v3
	s_delay_alu instid0(VALU_DEP_1) | instskip(NEXT) | instid1(VALU_DEP_1)
	v_fma_f32 v6, -v2, v4, v5
	v_fmac_f32_e32 v4, v6, v3
	s_delay_alu instid0(VALU_DEP_1) | instskip(NEXT) | instid1(VALU_DEP_1)
	v_fma_f32 v2, -v2, v4, v5
	v_div_fmas_f32 v2, v2, v3, v4
	s_delay_alu instid0(VALU_DEP_1) | instskip(NEXT) | instid1(VALU_DEP_1)
	v_div_fixup_f32 v2, v2, v1, v0
	v_fmac_f32_e32 v1, v0, v2
	s_delay_alu instid0(VALU_DEP_1) | instskip(SKIP_1) | instid1(VALU_DEP_2)
	v_div_scale_f32 v0, null, v1, v1, 1.0
	v_div_scale_f32 v5, vcc_lo, 1.0, v1, 1.0
	v_rcp_f32_e32 v3, v0
	v_nop
	s_delay_alu instid0(TRANS32_DEP_1) | instskip(NEXT) | instid1(VALU_DEP_1)
	v_fma_f32 v4, -v0, v3, 1.0
	v_fmac_f32_e32 v3, v4, v3
	s_delay_alu instid0(VALU_DEP_1) | instskip(NEXT) | instid1(VALU_DEP_1)
	v_mul_f32_e32 v4, v5, v3
	v_fma_f32 v6, -v0, v4, v5
	s_delay_alu instid0(VALU_DEP_1) | instskip(NEXT) | instid1(VALU_DEP_1)
	v_fmac_f32_e32 v4, v6, v3
	v_fma_f32 v0, -v0, v4, v5
	s_delay_alu instid0(VALU_DEP_1) | instskip(NEXT) | instid1(VALU_DEP_1)
	v_div_fmas_f32 v0, v0, v3, v4
	v_div_fixup_f32 v0, v0, v1, 1.0
	s_delay_alu instid0(VALU_DEP_1)
	v_mul_f32_e32 v2, v2, v0
	v_xor_b32_e32 v3, 0x80000000, v0
                                        ; implicit-def: $vgpr0_vgpr1
.LBB101_23:
	s_and_not1_saveexec_b32 s1, s1
	s_cbranch_execz .LBB101_25
; %bb.24:
	v_div_scale_f32 v2, null, v0, v0, v1
	v_div_scale_f32 v5, vcc_lo, v1, v0, v1
	s_delay_alu instid0(VALU_DEP_2) | instskip(SKIP_1) | instid1(TRANS32_DEP_1)
	v_rcp_f32_e32 v3, v2
	v_nop
	v_fma_f32 v4, -v2, v3, 1.0
	s_delay_alu instid0(VALU_DEP_1) | instskip(NEXT) | instid1(VALU_DEP_1)
	v_fmac_f32_e32 v3, v4, v3
	v_mul_f32_e32 v4, v5, v3
	s_delay_alu instid0(VALU_DEP_1) | instskip(NEXT) | instid1(VALU_DEP_1)
	v_fma_f32 v6, -v2, v4, v5
	v_fmac_f32_e32 v4, v6, v3
	s_delay_alu instid0(VALU_DEP_1) | instskip(NEXT) | instid1(VALU_DEP_1)
	v_fma_f32 v2, -v2, v4, v5
	v_div_fmas_f32 v2, v2, v3, v4
	s_delay_alu instid0(VALU_DEP_1) | instskip(NEXT) | instid1(VALU_DEP_1)
	v_div_fixup_f32 v3, v2, v0, v1
	v_fmac_f32_e32 v0, v1, v3
	s_delay_alu instid0(VALU_DEP_1) | instskip(NEXT) | instid1(VALU_DEP_1)
	v_div_scale_f32 v1, null, v0, v0, 1.0
	v_rcp_f32_e32 v2, v1
	v_nop
	s_delay_alu instid0(TRANS32_DEP_1) | instskip(NEXT) | instid1(VALU_DEP_1)
	v_fma_f32 v4, -v1, v2, 1.0
	v_fmac_f32_e32 v2, v4, v2
	v_div_scale_f32 v4, vcc_lo, 1.0, v0, 1.0
	s_delay_alu instid0(VALU_DEP_1) | instskip(NEXT) | instid1(VALU_DEP_1)
	v_mul_f32_e32 v5, v4, v2
	v_fma_f32 v6, -v1, v5, v4
	s_delay_alu instid0(VALU_DEP_1) | instskip(NEXT) | instid1(VALU_DEP_1)
	v_fmac_f32_e32 v5, v6, v2
	v_fma_f32 v1, -v1, v5, v4
	s_delay_alu instid0(VALU_DEP_1) | instskip(NEXT) | instid1(VALU_DEP_1)
	v_div_fmas_f32 v1, v1, v2, v5
	v_div_fixup_f32 v2, v1, v0, 1.0
	s_delay_alu instid0(VALU_DEP_1)
	v_mul_f32_e64 v3, v3, -v2
.LBB101_25:
	s_or_b32 exec_lo, exec_lo, s1
	ds_store_b64 v103, v[2:3]
.LBB101_26:
	s_or_b32 exec_lo, exec_lo, s2
	s_wait_dscnt 0x0
	s_barrier_signal -1
	s_barrier_wait -1
	ds_load_b64 v[0:1], v103
	s_mov_b32 s1, exec_lo
	s_wait_dscnt 0x0
	scratch_store_b64 off, v[0:1], off offset:64 ; 8-byte Folded Spill
	s_wait_xcnt 0x0
	v_cmpx_lt_u32_e32 2, v102
	s_cbranch_execz .LBB101_28
; %bb.27:
	ds_load_2addr_b64 v[4:7], v104 offset0:3 offset1:4
	ds_load_2addr_b64 v[8:11], v104 offset0:5 offset1:6
	;; [unrolled: 1-line block ×3, first 2 shown]
	scratch_load_b64 v[18:19], off, off offset:64 ; 8-byte Folded Reload
	ds_load_2addr_b64 v[28:31], v104 offset0:9 offset1:10
	ds_load_2addr_b64 v[46:49], v104 offset0:11 offset1:12
	s_wait_dscnt 0x3
	v_dual_mov_b32 v50, v11 :: v_dual_mov_b32 v51, v10
	s_wait_loadcnt 0x0
	v_pk_mul_f32 v[2:3], v[18:19], v[86:87] op_sel:[1,1] op_sel_hi:[0,1]
	s_delay_alu instid0(VALU_DEP_1) | instskip(SKIP_1) | instid1(VALU_DEP_1)
	v_pk_fma_f32 v[0:1], v[18:19], v[86:87], v[2:3] op_sel_hi:[1,0,1] neg_lo:[0,0,1] neg_hi:[0,0,1]
	v_pk_fma_f32 v[2:3], v[18:19], v[86:87], v[2:3] op_sel_hi:[1,0,1]
	v_dual_mov_b32 v86, v0 :: v_dual_mov_b32 v87, v3
	s_delay_alu instid0(VALU_DEP_2)
	v_pk_mul_f32 v[18:19], v[4:5], v[2:3] op_sel:[0,1]
	v_pk_mul_f32 v[32:33], v[6:7], v[2:3] op_sel:[0,1]
	v_pk_mul_f32 v[42:43], v[8:9], v[2:3] op_sel:[0,1]
	v_dual_mul_f32 v60, v11, v3 :: v_dual_mul_f32 v62, v11, v0
	s_wait_dscnt 0x2
	v_pk_mul_f32 v[64:65], v[12:13], v[2:3] op_sel:[0,1]
	v_pk_mul_f32 v[66:67], v[14:15], v[2:3] op_sel:[0,1]
	v_pk_fma_f32 v[78:79], v[4:5], v[0:1], v[18:19] op_sel:[0,0,1] op_sel_hi:[1,1,0] neg_lo:[0,0,1] neg_hi:[0,0,1]
	v_pk_fma_f32 v[4:5], v[4:5], v[0:1], v[18:19] op_sel:[0,0,1] op_sel_hi:[1,0,0]
	v_pk_fma_f32 v[18:19], v[6:7], v[0:1], v[32:33] op_sel:[0,0,1] op_sel_hi:[1,1,0] neg_lo:[0,0,1] neg_hi:[0,0,1]
	v_pk_fma_f32 v[6:7], v[6:7], v[0:1], v[32:33] op_sel:[0,0,1] op_sel_hi:[1,0,0]
	;; [unrolled: 2-line block ×3, first 2 shown]
	v_pk_fma_f32 v[42:43], v[50:51], v[86:87], v[62:63] op_sel_hi:[1,1,0]
	v_pk_fma_f32 v[50:51], v[12:13], v[0:1], v[64:65] op_sel:[0,0,1] op_sel_hi:[1,0,0]
	v_dual_mov_b32 v79, v5 :: v_dual_mov_b32 v19, v7
	v_pk_fma_f32 v[4:5], v[14:15], v[0:1], v[66:67] op_sel:[0,0,1] op_sel_hi:[1,0,0]
	v_pk_fma_f32 v[10:11], v[10:11], v[86:87], v[60:61] op_sel_hi:[1,1,0] neg_lo:[0,0,1] neg_hi:[0,0,1]
	v_dual_mov_b32 v33, v9 :: v_dual_mov_b32 v11, v43
	v_pk_fma_f32 v[8:9], v[12:13], v[0:1], v[64:65] op_sel:[0,0,1] op_sel_hi:[1,1,0] neg_lo:[0,0,1] neg_hi:[0,0,1]
	v_pk_fma_f32 v[12:13], v[14:15], v[0:1], v[66:67] op_sel:[0,0,1] op_sel_hi:[1,1,0] neg_lo:[0,0,1] neg_hi:[0,0,1]
	v_dual_mov_b32 v9, v51 :: v_dual_mov_b32 v13, v5
	ds_load_2addr_b64 v[4:7], v104 offset0:13 offset1:14
	v_pk_add_f32 v[26:27], v[26:27], v[18:19] neg_lo:[0,1] neg_hi:[0,1]
	s_wait_dscnt 0x2
	v_pk_mul_f32 v[14:15], v[28:29], v[2:3] op_sel:[0,1]
	v_pk_add_f32 v[24:25], v[24:25], v[10:11] neg_lo:[0,1] neg_hi:[0,1]
	v_pk_add_f32 v[20:21], v[20:21], v[8:9] neg_lo:[0,1] neg_hi:[0,1]
	v_pk_mul_f32 v[18:19], v[30:31], v[2:3] op_sel:[0,1]
	ds_load_2addr_b64 v[8:11], v104 offset0:15 offset1:16
	v_pk_add_f32 v[22:23], v[22:23], v[32:33] neg_lo:[0,1] neg_hi:[0,1]
	v_pk_add_f32 v[40:41], v[40:41], v[12:13] neg_lo:[0,1] neg_hi:[0,1]
	v_pk_fma_f32 v[12:13], v[28:29], v[0:1], v[14:15] op_sel:[0,0,1] op_sel_hi:[1,1,0] neg_lo:[0,0,1] neg_hi:[0,0,1]
	s_wait_dscnt 0x2
	v_mul_f32_e32 v32, v47, v0
	v_pk_fma_f32 v[14:15], v[28:29], v[0:1], v[14:15] op_sel:[0,0,1] op_sel_hi:[1,0,0]
	v_pk_fma_f32 v[28:29], v[30:31], v[0:1], v[18:19] op_sel:[0,0,1] op_sel_hi:[1,0,0]
	v_mul_f32_e32 v14, v47, v3
	v_pk_fma_f32 v[18:19], v[30:31], v[0:1], v[18:19] op_sel:[0,0,1] op_sel_hi:[1,1,0] neg_lo:[0,0,1] neg_hi:[0,0,1]
	v_pk_fma_f32 v[32:33], v[46:47], v[86:87], v[32:33] op_sel:[1,0,0] op_sel_hi:[0,1,0]
	s_delay_alu instid0(VALU_DEP_4)
	v_dual_mov_b32 v13, v15 :: v_dual_mov_b32 v19, v29
	v_pk_mul_f32 v[28:29], v[48:49], v[2:3] op_sel:[0,1]
	v_pk_fma_f32 v[14:15], v[46:47], v[86:87], v[14:15] op_sel_hi:[1,1,0] neg_lo:[0,0,1] neg_hi:[0,0,1]
	s_wait_dscnt 0x1
	v_pk_mul_f32 v[30:31], v[4:5], v[2:3] op_sel:[0,1]
	v_pk_add_f32 v[36:37], v[36:37], v[12:13] neg_lo:[0,1] neg_hi:[0,1]
	v_pk_add_f32 v[38:39], v[38:39], v[18:19] neg_lo:[0,1] neg_hi:[0,1]
	v_pk_fma_f32 v[18:19], v[48:49], v[0:1], v[28:29] op_sel:[0,0,1] op_sel_hi:[1,0,0]
	v_mov_b32_e32 v15, v33
	v_pk_fma_f32 v[32:33], v[48:49], v[0:1], v[28:29] op_sel:[0,0,1] op_sel_hi:[1,1,0] neg_lo:[0,0,1] neg_hi:[0,0,1]
	v_pk_fma_f32 v[28:29], v[4:5], v[0:1], v[30:31] op_sel:[0,0,1] op_sel_hi:[1,0,0]
	v_pk_mul_f32 v[42:43], v[6:7], v[2:3] op_sel:[0,1]
	v_mov_b32_e32 v33, v19
	v_pk_add_f32 v[34:35], v[34:35], v[14:15] neg_lo:[0,1] neg_hi:[0,1]
	ds_load_2addr_b64 v[12:15], v104 offset0:17 offset1:18
	s_wait_dscnt 0x1
	v_pk_mul_f32 v[18:19], v[8:9], v[2:3] op_sel:[0,1]
	v_pk_fma_f32 v[4:5], v[4:5], v[0:1], v[30:31] op_sel:[0,0,1] op_sel_hi:[1,1,0] neg_lo:[0,0,1] neg_hi:[0,0,1]
	v_pk_add_f32 v[58:59], v[58:59], v[32:33] neg_lo:[0,1] neg_hi:[0,1]
	v_pk_fma_f32 v[46:47], v[6:7], v[0:1], v[42:43] op_sel:[0,0,1] op_sel_hi:[1,0,0]
	v_pk_add_f32 v[44:45], v[44:45], v[78:79] neg_lo:[0,1] neg_hi:[0,1]
	v_pk_fma_f32 v[32:33], v[8:9], v[0:1], v[18:19] op_sel:[0,0,1] op_sel_hi:[1,0,0]
	v_mov_b32_e32 v5, v29
	ds_load_2addr_b64 v[28:31], v104 offset0:19 offset1:20
	v_pk_add_f32 v[54:55], v[54:55], v[4:5] neg_lo:[0,1] neg_hi:[0,1]
	v_pk_fma_f32 v[4:5], v[6:7], v[0:1], v[42:43] op_sel:[0,0,1] op_sel_hi:[1,1,0] neg_lo:[0,0,1] neg_hi:[0,0,1]
	v_mov_b32_e32 v5, v47
	v_pk_fma_f32 v[6:7], v[8:9], v[0:1], v[18:19] op_sel:[0,0,1] op_sel_hi:[1,1,0] neg_lo:[0,0,1] neg_hi:[0,0,1]
	v_dual_mov_b32 v8, v11 :: v_dual_mov_b32 v9, v10
	v_dual_mul_f32 v18, v11, v0 :: v_dual_mov_b32 v7, v33
	s_delay_alu instid0(VALU_DEP_4) | instskip(SKIP_2) | instid1(VALU_DEP_3)
	v_pk_add_f32 v[56:57], v[56:57], v[4:5] neg_lo:[0,1] neg_hi:[0,1]
	s_wait_dscnt 0x1
	v_pk_mul_f32 v[42:43], v[12:13], v[2:3] op_sel:[0,1]
	v_pk_fma_f32 v[8:9], v[8:9], v[86:87], v[18:19] op_sel_hi:[1,1,0]
	v_mul_f32_e32 v32, v11, v3
	v_pk_add_f32 v[52:53], v[52:53], v[6:7] neg_lo:[0,1] neg_hi:[0,1]
	ds_load_2addr_b64 v[4:7], v104 offset0:21 offset1:22
	s_wait_dscnt 0x1
	v_pk_mul_f32 v[46:47], v[28:29], v[2:3] op_sel:[0,1]
	v_pk_fma_f32 v[18:19], v[10:11], v[86:87], v[32:33] op_sel_hi:[1,1,0] neg_lo:[0,0,1] neg_hi:[0,0,1]
	v_pk_mul_f32 v[10:11], v[14:15], v[2:3] op_sel:[0,1]
	v_pk_fma_f32 v[32:33], v[12:13], v[0:1], v[42:43] op_sel:[0,0,1] op_sel_hi:[1,0,0]
	v_mov_b32_e32 v19, v9
	v_pk_fma_f32 v[12:13], v[12:13], v[0:1], v[42:43] op_sel:[0,0,1] op_sel_hi:[1,1,0] neg_lo:[0,0,1] neg_hi:[0,0,1]
	s_delay_alu instid0(VALU_DEP_4) | instskip(NEXT) | instid1(VALU_DEP_4)
	v_pk_fma_f32 v[42:43], v[14:15], v[0:1], v[10:11] op_sel:[0,0,1] op_sel_hi:[1,0,0]
	v_mov_b32_e32 v13, v33
	v_pk_fma_f32 v[32:33], v[28:29], v[0:1], v[46:47] op_sel:[0,0,1] op_sel_hi:[1,0,0]
	v_pk_fma_f32 v[14:15], v[14:15], v[0:1], v[10:11] op_sel:[0,0,1] op_sel_hi:[1,1,0] neg_lo:[0,0,1] neg_hi:[0,0,1]
	ds_load_2addr_b64 v[8:11], v104 offset0:23 offset1:24
	v_pk_add_f32 v[76:77], v[76:77], v[18:19] neg_lo:[0,1] neg_hi:[0,1]
	v_pk_mul_f32 v[18:19], v[30:31], v[2:3] op_sel:[0,1]
	v_pk_fma_f32 v[28:29], v[28:29], v[0:1], v[46:47] op_sel:[0,0,1] op_sel_hi:[1,1,0] neg_lo:[0,0,1] neg_hi:[0,0,1]
	v_dual_mov_b32 v29, v33 :: v_dual_mov_b32 v15, v43
	v_pk_add_f32 v[72:73], v[72:73], v[12:13] neg_lo:[0,1] neg_hi:[0,1]
	s_delay_alu instid0(VALU_DEP_4)
	v_pk_fma_f32 v[32:33], v[30:31], v[0:1], v[18:19] op_sel:[0,0,1] op_sel_hi:[1,0,0]
	v_pk_fma_f32 v[18:19], v[30:31], v[0:1], v[18:19] op_sel:[0,0,1] op_sel_hi:[1,1,0] neg_lo:[0,0,1] neg_hi:[0,0,1]
	s_wait_dscnt 0x1
	v_pk_mul_f32 v[42:43], v[6:7], v[2:3] op_sel:[0,1]
	v_pk_add_f32 v[74:75], v[74:75], v[14:15] neg_lo:[0,1] neg_hi:[0,1]
	v_mul_f32_e32 v32, v5, v3
	v_mov_b32_e32 v19, v33
	v_pk_add_f32 v[70:71], v[70:71], v[28:29] neg_lo:[0,1] neg_hi:[0,1]
	v_mul_f32_e32 v28, v5, v0
	ds_load_2addr_b64 v[12:15], v104 offset0:25 offset1:26
	v_pk_fma_f32 v[30:31], v[6:7], v[0:1], v[42:43] op_sel:[0,0,1] op_sel_hi:[1,0,0]
	v_pk_fma_f32 v[6:7], v[6:7], v[0:1], v[42:43] op_sel:[0,0,1] op_sel_hi:[1,1,0] neg_lo:[0,0,1] neg_hi:[0,0,1]
	v_pk_add_f32 v[94:95], v[94:95], v[18:19] neg_lo:[0,1] neg_hi:[0,1]
	v_pk_fma_f32 v[28:29], v[4:5], v[86:87], v[28:29] op_sel:[1,0,0] op_sel_hi:[0,1,0]
	v_pk_fma_f32 v[4:5], v[4:5], v[86:87], v[32:33] op_sel_hi:[1,1,0] neg_lo:[0,0,1] neg_hi:[0,0,1]
	v_mov_b32_e32 v7, v31
	s_wait_dscnt 0x1
	v_pk_mul_f32 v[30:31], v[10:11], v[2:3] op_sel:[0,1]
	v_mov_b32_e32 v5, v29
	v_pk_mul_f32 v[28:29], v[8:9], v[2:3] op_sel:[0,1]
	v_pk_add_f32 v[92:93], v[92:93], v[6:7] neg_lo:[0,1] neg_hi:[0,1]
	s_delay_alu instid0(VALU_DEP_3) | instskip(NEXT) | instid1(VALU_DEP_3)
	v_pk_add_f32 v[90:91], v[90:91], v[4:5] neg_lo:[0,1] neg_hi:[0,1]
	v_pk_fma_f32 v[18:19], v[8:9], v[0:1], v[28:29] op_sel:[0,0,1] op_sel_hi:[1,0,0]
	ds_load_2addr_b64 v[4:7], v104 offset0:27 offset1:28
	v_pk_fma_f32 v[28:29], v[8:9], v[0:1], v[28:29] op_sel:[0,0,1] op_sel_hi:[1,1,0] neg_lo:[0,0,1] neg_hi:[0,0,1]
	s_wait_dscnt 0x1
	v_dual_mov_b32 v29, v19 :: v_dual_mov_b32 v42, v15
	v_pk_fma_f32 v[18:19], v[10:11], v[0:1], v[30:31] op_sel:[0,0,1] op_sel_hi:[1,1,0] neg_lo:[0,0,1] neg_hi:[0,0,1]
	v_pk_fma_f32 v[30:31], v[10:11], v[0:1], v[30:31] op_sel:[0,0,1] op_sel_hi:[1,0,0]
	ds_load_2addr_b64 v[8:11], v104 offset0:29 offset1:30
	v_pk_mul_f32 v[32:33], v[12:13], v[2:3] op_sel:[0,1]
	v_pk_add_f32 v[88:89], v[88:89], v[28:29] neg_lo:[0,1] neg_hi:[0,1]
	v_dual_mov_b32 v43, v14 :: v_dual_mul_f32 v30, v15, v0
	v_mov_b32_e32 v19, v31
	s_delay_alu instid0(VALU_DEP_4) | instskip(SKIP_1) | instid1(VALU_DEP_4)
	v_pk_fma_f32 v[28:29], v[12:13], v[0:1], v[32:33] op_sel:[0,0,1] op_sel_hi:[1,0,0]
	v_mul_f32_e32 v28, v15, v3
	v_pk_fma_f32 v[30:31], v[42:43], v[86:87], v[30:31] op_sel_hi:[1,1,0]
	s_delay_alu instid0(VALU_DEP_4)
	v_pk_add_f32 v[112:113], v[112:113], v[18:19] neg_lo:[0,1] neg_hi:[0,1]
	v_pk_fma_f32 v[18:19], v[12:13], v[0:1], v[32:33] op_sel:[0,0,1] op_sel_hi:[1,1,0] neg_lo:[0,0,1] neg_hi:[0,0,1]
	v_mov_b32_e32 v19, v29
	v_pk_fma_f32 v[28:29], v[14:15], v[86:87], v[28:29] op_sel_hi:[1,1,0] neg_lo:[0,0,1] neg_hi:[0,0,1]
	s_wait_dscnt 0x1
	v_pk_mul_f32 v[32:33], v[4:5], v[2:3] op_sel:[0,1]
	ds_load_2addr_b64 v[12:15], v104 offset0:31 offset1:32
	v_pk_mul_f32 v[42:43], v[6:7], v[2:3] op_sel:[0,1]
	v_pk_add_f32 v[108:109], v[108:109], v[18:19] neg_lo:[0,1] neg_hi:[0,1]
	v_mov_b32_e32 v29, v31
	v_pk_fma_f32 v[18:19], v[4:5], v[0:1], v[32:33] op_sel:[0,0,1] op_sel_hi:[1,0,0]
	s_wait_dscnt 0x1
	v_pk_mul_f32 v[46:47], v[8:9], v[2:3] op_sel:[0,1]
	v_pk_fma_f32 v[4:5], v[4:5], v[0:1], v[32:33] op_sel:[0,0,1] op_sel_hi:[1,1,0] neg_lo:[0,0,1] neg_hi:[0,0,1]
	v_pk_fma_f32 v[48:49], v[6:7], v[0:1], v[42:43] op_sel:[0,0,1] op_sel_hi:[1,0,0]
	v_pk_mul_f32 v[32:33], v[10:11], v[2:3] op_sel:[0,1]
	v_mov_b32_e32 v5, v19
	v_pk_fma_f32 v[18:19], v[8:9], v[0:1], v[46:47] op_sel:[0,0,1] op_sel_hi:[1,0,0]
	v_pk_fma_f32 v[8:9], v[8:9], v[0:1], v[46:47] op_sel:[0,0,1] op_sel_hi:[1,1,0] neg_lo:[0,0,1] neg_hi:[0,0,1]
	v_pk_add_f32 v[110:111], v[110:111], v[28:29] neg_lo:[0,1] neg_hi:[0,1]
	ds_load_2addr_b64 v[28:31], v104 offset0:33 offset1:34
	v_pk_fma_f32 v[6:7], v[6:7], v[0:1], v[42:43] op_sel:[0,0,1] op_sel_hi:[1,1,0] neg_lo:[0,0,1] neg_hi:[0,0,1]
	v_mov_b32_e32 v9, v19
	v_pk_fma_f32 v[18:19], v[10:11], v[0:1], v[32:33] op_sel:[0,0,1] op_sel_hi:[1,0,0]
	v_mov_b32_e32 v7, v49
	v_pk_fma_f32 v[10:11], v[10:11], v[0:1], v[32:33] op_sel:[0,0,1] op_sel_hi:[1,1,0] neg_lo:[0,0,1] neg_hi:[0,0,1]
	v_pk_add_f32 v[106:107], v[106:107], v[4:5] neg_lo:[0,1] neg_hi:[0,1]
	v_pk_add_f32 v[124:125], v[124:125], v[8:9] neg_lo:[0,1] neg_hi:[0,1]
	s_wait_dscnt 0x1
	v_dual_mul_f32 v8, v13, v0 :: v_dual_mov_b32 v11, v19
	v_mul_f32_e32 v18, v13, v3
	v_pk_add_f32 v[128:129], v[128:129], v[6:7] neg_lo:[0,1] neg_hi:[0,1]
	ds_load_2addr_b64 v[4:7], v104 offset0:35 offset1:36
	v_pk_mul_f32 v[32:33], v[14:15], v[2:3] op_sel:[0,1]
	v_pk_fma_f32 v[8:9], v[12:13], v[86:87], v[8:9] op_sel:[1,0,0] op_sel_hi:[0,1,0]
	v_pk_fma_f32 v[12:13], v[12:13], v[86:87], v[18:19] op_sel_hi:[1,1,0] neg_lo:[0,0,1] neg_hi:[0,0,1]
	v_pk_add_f32 v[126:127], v[126:127], v[10:11] neg_lo:[0,1] neg_hi:[0,1]
	s_delay_alu instid0(VALU_DEP_4) | instskip(NEXT) | instid1(VALU_DEP_4)
	v_pk_fma_f32 v[18:19], v[14:15], v[0:1], v[32:33] op_sel:[0,0,1] op_sel_hi:[1,0,0]
	v_mov_b32_e32 v13, v9
	ds_load_2addr_b64 v[8:11], v104 offset0:37 offset1:38
	v_pk_fma_f32 v[14:15], v[14:15], v[0:1], v[32:33] op_sel:[0,0,1] op_sel_hi:[1,1,0] neg_lo:[0,0,1] neg_hi:[0,0,1]
	s_wait_dscnt 0x2
	v_pk_mul_f32 v[42:43], v[28:29], v[2:3] op_sel:[0,1]
	v_mov_b32_e32 v15, v19
	v_pk_add_f32 v[122:123], v[122:123], v[12:13] neg_lo:[0,1] neg_hi:[0,1]
	s_delay_alu instid0(VALU_DEP_3)
	v_pk_fma_f32 v[46:47], v[28:29], v[0:1], v[42:43] op_sel:[0,0,1] op_sel_hi:[1,0,0]
	v_pk_fma_f32 v[18:19], v[28:29], v[0:1], v[42:43] op_sel:[0,0,1] op_sel_hi:[1,1,0] neg_lo:[0,0,1] neg_hi:[0,0,1]
	v_pk_mul_f32 v[28:29], v[30:31], v[2:3] op_sel:[0,1]
	v_pk_add_f32 v[146:147], v[146:147], v[14:15] neg_lo:[0,1] neg_hi:[0,1]
	ds_load_2addr_b64 v[12:15], v104 offset0:39 offset1:40
	s_wait_dscnt 0x2
	v_pk_mul_f32 v[32:33], v[4:5], v[2:3] op_sel:[0,1]
	v_pk_fma_f32 v[42:43], v[30:31], v[0:1], v[28:29] op_sel:[0,0,1] op_sel_hi:[1,0,0]
	v_mov_b32_e32 v19, v47
	v_pk_fma_f32 v[28:29], v[30:31], v[0:1], v[28:29] op_sel:[0,0,1] op_sel_hi:[1,1,0] neg_lo:[0,0,1] neg_hi:[0,0,1]
	v_mul_f32_e32 v30, v7, v0
	s_delay_alu instid0(VALU_DEP_4) | instskip(NEXT) | instid1(VALU_DEP_4)
	v_mov_b32_e32 v29, v43
	v_pk_add_f32 v[142:143], v[142:143], v[18:19] neg_lo:[0,1] neg_hi:[0,1]
	v_pk_fma_f32 v[18:19], v[4:5], v[0:1], v[32:33] op_sel:[0,0,1] op_sel_hi:[1,0,0]
	v_pk_fma_f32 v[4:5], v[4:5], v[0:1], v[32:33] op_sel:[0,0,1] op_sel_hi:[1,1,0] neg_lo:[0,0,1] neg_hi:[0,0,1]
	s_wait_dscnt 0x1
	v_pk_mul_f32 v[32:33], v[8:9], v[2:3] op_sel:[0,1]
	v_mov_b32_e32 v18, v7
	v_pk_add_f32 v[144:145], v[144:145], v[28:29] neg_lo:[0,1] neg_hi:[0,1]
	v_dual_mov_b32 v5, v19 :: v_dual_mov_b32 v19, v6
	s_delay_alu instid0(VALU_DEP_4) | instskip(SKIP_2) | instid1(VALU_DEP_4)
	v_pk_fma_f32 v[42:43], v[8:9], v[0:1], v[32:33] op_sel:[0,0,1] op_sel_hi:[1,0,0]
	v_pk_fma_f32 v[8:9], v[8:9], v[0:1], v[32:33] op_sel:[0,0,1] op_sel_hi:[1,1,0] neg_lo:[0,0,1] neg_hi:[0,0,1]
	v_pk_mul_f32 v[46:47], v[10:11], v[2:3] op_sel:[0,1]
	v_pk_add_f32 v[140:141], v[140:141], v[4:5] neg_lo:[0,1] neg_hi:[0,1]
	v_pk_fma_f32 v[18:19], v[18:19], v[86:87], v[30:31] op_sel_hi:[1,1,0]
	v_mov_b32_e32 v9, v43
	s_wait_dscnt 0x0
	v_pk_mul_f32 v[42:43], v[14:15], v[2:3] op_sel:[0,1]
	ds_load_2addr_b64 v[28:31], v104 offset0:41 offset1:42
	v_pk_mul_f32 v[32:33], v[12:13], v[2:3] op_sel:[0,1]
	v_pk_add_f32 v[158:159], v[158:159], v[8:9] neg_lo:[0,1] neg_hi:[0,1]
	v_pk_fma_f32 v[8:9], v[14:15], v[0:1], v[42:43] op_sel:[0,0,1] op_sel_hi:[1,0,0]
	v_mul_f32_e32 v4, v7, v3
	v_pk_fma_f32 v[14:15], v[14:15], v[0:1], v[42:43] op_sel:[0,0,1] op_sel_hi:[1,1,0] neg_lo:[0,0,1] neg_hi:[0,0,1]
	s_delay_alu instid0(VALU_DEP_3) | instskip(NEXT) | instid1(VALU_DEP_3)
	v_mov_b32_e32 v15, v9
	v_pk_fma_f32 v[48:49], v[6:7], v[86:87], v[4:5] op_sel_hi:[1,1,0] neg_lo:[0,0,1] neg_hi:[0,0,1]
	v_mov_b32_e32 v49, v19
	v_pk_fma_f32 v[18:19], v[10:11], v[0:1], v[46:47] op_sel:[0,0,1] op_sel_hi:[1,0,0]
	ds_load_2addr_b64 v[4:7], v104 offset0:43 offset1:44
	v_pk_fma_f32 v[10:11], v[10:11], v[0:1], v[46:47] op_sel:[0,0,1] op_sel_hi:[1,1,0] neg_lo:[0,0,1] neg_hi:[0,0,1]
	v_pk_add_f32 v[180:181], v[180:181], v[14:15] neg_lo:[0,1] neg_hi:[0,1]
	v_mov_b32_e32 v11, v19
	v_pk_fma_f32 v[18:19], v[12:13], v[0:1], v[32:33] op_sel:[0,0,1] op_sel_hi:[1,0,0]
	v_pk_fma_f32 v[12:13], v[12:13], v[0:1], v[32:33] op_sel:[0,0,1] op_sel_hi:[1,1,0] neg_lo:[0,0,1] neg_hi:[0,0,1]
	s_wait_dscnt 0x1
	v_mul_f32_e32 v18, v29, v0
	v_pk_mul_f32 v[32:33], v[30:31], v[2:3] op_sel:[0,1]
	v_pk_add_f32 v[160:161], v[160:161], v[10:11] neg_lo:[0,1] neg_hi:[0,1]
	v_mov_b32_e32 v13, v19
	ds_load_2addr_b64 v[8:11], v104 offset0:45 offset1:46
	v_pk_add_f32 v[162:163], v[162:163], v[48:49] neg_lo:[0,1] neg_hi:[0,1]
	v_pk_fma_f32 v[46:47], v[30:31], v[0:1], v[32:33] op_sel:[0,0,1] op_sel_hi:[1,0,0]
	v_pk_fma_f32 v[30:31], v[30:31], v[0:1], v[32:33] op_sel:[0,0,1] op_sel_hi:[1,1,0] neg_lo:[0,0,1] neg_hi:[0,0,1]
	v_pk_add_f32 v[156:157], v[156:157], v[12:13] neg_lo:[0,1] neg_hi:[0,1]
	v_mul_f32_e32 v12, v29, v3
	v_pk_fma_f32 v[18:19], v[28:29], v[86:87], v[18:19] op_sel:[1,0,0] op_sel_hi:[0,1,0]
	v_mov_b32_e32 v31, v47
	s_wait_dscnt 0x1
	v_pk_mul_f32 v[42:43], v[4:5], v[2:3] op_sel:[0,1]
	v_pk_fma_f32 v[28:29], v[28:29], v[86:87], v[12:13] op_sel_hi:[1,1,0] neg_lo:[0,0,1] neg_hi:[0,0,1]
	ds_load_2addr_b64 v[12:15], v104 offset0:47 offset1:48
	v_mov_b32_e32 v29, v19
	v_pk_mul_f32 v[32:33], v[6:7], v[2:3] op_sel:[0,1]
	v_pk_fma_f32 v[18:19], v[4:5], v[0:1], v[42:43] op_sel:[0,0,1] op_sel_hi:[1,0,0]
	v_pk_add_f32 v[178:179], v[178:179], v[30:31] neg_lo:[0,1] neg_hi:[0,1]
	v_pk_fma_f32 v[4:5], v[4:5], v[0:1], v[42:43] op_sel:[0,0,1] op_sel_hi:[1,1,0] neg_lo:[0,0,1] neg_hi:[0,0,1]
	v_pk_add_f32 v[176:177], v[176:177], v[28:29] neg_lo:[0,1] neg_hi:[0,1]
	ds_load_2addr_b64 v[28:31], v104 offset0:49 offset1:50
	v_mov_b32_e32 v5, v19
	v_pk_fma_f32 v[18:19], v[6:7], v[0:1], v[32:33] op_sel:[0,0,1] op_sel_hi:[1,0,0]
	s_wait_dscnt 0x2
	v_pk_mul_f32 v[42:43], v[8:9], v[2:3] op_sel:[0,1]
	v_mov_b32_e32 v18, v11
	v_pk_add_f32 v[174:175], v[174:175], v[4:5] neg_lo:[0,1] neg_hi:[0,1]
	v_pk_fma_f32 v[4:5], v[6:7], v[0:1], v[32:33] op_sel:[0,0,1] op_sel_hi:[1,1,0] neg_lo:[0,0,1] neg_hi:[0,0,1]
	v_dual_mov_b32 v5, v19 :: v_dual_mov_b32 v19, v10
	v_pk_fma_f32 v[6:7], v[8:9], v[0:1], v[42:43] op_sel:[0,0,1] op_sel_hi:[1,0,0]
	v_mul_f32_e32 v6, v11, v0
	v_pk_fma_f32 v[8:9], v[8:9], v[0:1], v[42:43] op_sel:[0,0,1] op_sel_hi:[1,1,0] neg_lo:[0,0,1] neg_hi:[0,0,1]
	s_wait_dscnt 0x1
	v_pk_mul_f32 v[32:33], v[12:13], v[2:3] op_sel:[0,1]
	v_mul_f32_e32 v42, v11, v3
	v_pk_add_f32 v[200:201], v[200:201], v[4:5] neg_lo:[0,1] neg_hi:[0,1]
	s_delay_alu instid0(VALU_DEP_3) | instskip(SKIP_2) | instid1(VALU_DEP_2)
	v_pk_fma_f32 v[4:5], v[12:13], v[0:1], v[32:33] op_sel:[0,0,1] op_sel_hi:[1,0,0]
	v_mov_b32_e32 v9, v7
	v_pk_fma_f32 v[6:7], v[18:19], v[86:87], v[6:7] op_sel_hi:[1,1,0]
	v_pk_add_f32 v[194:195], v[194:195], v[8:9] neg_lo:[0,1] neg_hi:[0,1]
	v_pk_fma_f32 v[8:9], v[10:11], v[86:87], v[42:43] op_sel_hi:[1,1,0] neg_lo:[0,0,1] neg_hi:[0,0,1]
	s_delay_alu instid0(VALU_DEP_3)
	v_mov_b32_e32 v9, v7
	v_pk_fma_f32 v[6:7], v[12:13], v[0:1], v[32:33] op_sel:[0,0,1] op_sel_hi:[1,1,0] neg_lo:[0,0,1] neg_hi:[0,0,1]
	v_mov_b32_e32 v7, v5
	v_pk_mul_f32 v[4:5], v[14:15], v[2:3] op_sel:[0,1]
	s_wait_dscnt 0x0
	v_pk_mul_f32 v[10:11], v[28:29], v[2:3] op_sel:[0,1]
	v_dual_mov_b32 v12, v31 :: v_dual_mov_b32 v13, v30
	v_mul_f32_e32 v2, v31, v0
	v_pk_fma_f32 v[18:19], v[14:15], v[0:1], v[4:5] op_sel:[0,0,1] op_sel_hi:[1,0,0]
	v_pk_fma_f32 v[4:5], v[14:15], v[0:1], v[4:5] op_sel:[0,0,1] op_sel_hi:[1,1,0] neg_lo:[0,0,1] neg_hi:[0,0,1]
	v_pk_fma_f32 v[14:15], v[28:29], v[0:1], v[10:11] op_sel:[0,0,1] op_sel_hi:[1,0,0]
	v_mul_f32_e32 v14, v31, v3
	v_pk_fma_f32 v[2:3], v[12:13], v[86:87], v[2:3] op_sel_hi:[1,1,0]
	v_pk_fma_f32 v[0:1], v[28:29], v[0:1], v[10:11] op_sel:[0,0,1] op_sel_hi:[1,1,0] neg_lo:[0,0,1] neg_hi:[0,0,1]
	s_delay_alu instid0(VALU_DEP_4) | instskip(NEXT) | instid1(VALU_DEP_4)
	v_dual_mov_b32 v5, v19 :: v_dual_mov_b32 v1, v15
	v_pk_fma_f32 v[10:11], v[30:31], v[86:87], v[14:15] op_sel_hi:[1,1,0] neg_lo:[0,0,1] neg_hi:[0,0,1]
	s_delay_alu instid0(VALU_DEP_4)
	v_mov_b32_e32 v11, v3
	v_pk_add_f32 v[198:199], v[198:199], v[8:9] neg_lo:[0,1] neg_hi:[0,1]
	v_pk_add_f32 v[192:193], v[192:193], v[6:7] neg_lo:[0,1] neg_hi:[0,1]
	;; [unrolled: 1-line block ×5, first 2 shown]
.LBB101_28:
	s_wait_xcnt 0x0
	s_or_b32 exec_lo, exec_lo, s1
	s_delay_alu instid0(SALU_CYCLE_1)
	s_mov_b32 s2, exec_lo
	s_wait_storecnt 0x0
	s_barrier_signal -1
	s_barrier_wait -1
	v_cmpx_eq_u32_e32 3, v102
	s_cbranch_execz .LBB101_35
; %bb.29:
	v_dual_mov_b32 v0, v26 :: v_dual_mov_b32 v1, v27
	v_dual_mov_b32 v2, v22 :: v_dual_mov_b32 v3, v23
	;; [unrolled: 1-line block ×10, first 2 shown]
	ds_store_b64 v103, v[44:45]
	v_dual_mov_b32 v30, v56 :: v_dual_mov_b32 v31, v57
	v_dual_mov_b32 v32, v52 :: v_dual_mov_b32 v33, v53
	ds_store_2addr_b64 v104, v[0:1], v[2:3] offset0:4 offset1:5
	ds_store_2addr_b64 v104, v[4:5], v[6:7] offset0:6 offset1:7
	ds_store_2addr_b64 v104, v[8:9], v[10:11] offset0:8 offset1:9
	ds_store_2addr_b64 v104, v[12:13], v[14:15] offset0:10 offset1:11
	ds_store_2addr_b64 v104, v[18:19], v[28:29] offset0:12 offset1:13
	ds_store_2addr_b64 v104, v[30:31], v[32:33] offset0:14 offset1:15
	v_dual_mov_b32 v0, v76 :: v_dual_mov_b32 v1, v77
	v_dual_mov_b32 v2, v72 :: v_dual_mov_b32 v3, v73
	v_dual_mov_b32 v4, v74 :: v_dual_mov_b32 v5, v75
	v_dual_mov_b32 v6, v70 :: v_dual_mov_b32 v7, v71
	v_dual_mov_b32 v8, v94 :: v_dual_mov_b32 v9, v95
	v_dual_mov_b32 v10, v90 :: v_dual_mov_b32 v11, v91
	v_dual_mov_b32 v12, v92 :: v_dual_mov_b32 v13, v93
	v_dual_mov_b32 v14, v88 :: v_dual_mov_b32 v15, v89
	v_dual_mov_b32 v18, v112 :: v_dual_mov_b32 v19, v113
	v_dual_mov_b32 v28, v108 :: v_dual_mov_b32 v29, v109
	v_dual_mov_b32 v30, v110 :: v_dual_mov_b32 v31, v111
	v_dual_mov_b32 v32, v106 :: v_dual_mov_b32 v33, v107
	ds_store_2addr_b64 v104, v[0:1], v[2:3] offset0:16 offset1:17
	ds_store_2addr_b64 v104, v[4:5], v[6:7] offset0:18 offset1:19
	ds_store_2addr_b64 v104, v[8:9], v[10:11] offset0:20 offset1:21
	ds_store_2addr_b64 v104, v[12:13], v[14:15] offset0:22 offset1:23
	ds_store_2addr_b64 v104, v[18:19], v[28:29] offset0:24 offset1:25
	ds_store_2addr_b64 v104, v[30:31], v[32:33] offset0:26 offset1:27
	v_dual_mov_b32 v0, v128 :: v_dual_mov_b32 v1, v129
	v_dual_mov_b32 v2, v124 :: v_dual_mov_b32 v3, v125
	v_dual_mov_b32 v4, v126 :: v_dual_mov_b32 v5, v127
	v_dual_mov_b32 v6, v122 :: v_dual_mov_b32 v7, v123
	v_dual_mov_b32 v8, v146 :: v_dual_mov_b32 v9, v147
	v_dual_mov_b32 v10, v142 :: v_dual_mov_b32 v11, v143
	v_dual_mov_b32 v12, v144 :: v_dual_mov_b32 v13, v145
	v_dual_mov_b32 v14, v140 :: v_dual_mov_b32 v15, v141
	v_dual_mov_b32 v18, v162 :: v_dual_mov_b32 v19, v163
	v_dual_mov_b32 v28, v158 :: v_dual_mov_b32 v29, v159
	;; [unrolled: 18-line block ×3, first 2 shown]
	ds_store_2addr_b64 v104, v[0:1], v[2:3] offset0:40 offset1:41
	ds_store_2addr_b64 v104, v[4:5], v[6:7] offset0:42 offset1:43
	;; [unrolled: 1-line block ×5, first 2 shown]
	ds_store_b64 v104, v[204:205] offset:400
	ds_load_b64 v[0:1], v103
	s_wait_dscnt 0x0
	v_cmp_neq_f32_e32 vcc_lo, 0, v0
	v_cmp_neq_f32_e64 s1, 0, v1
	s_or_b32 s1, vcc_lo, s1
	s_delay_alu instid0(SALU_CYCLE_1)
	s_and_b32 exec_lo, exec_lo, s1
	s_cbranch_execz .LBB101_35
; %bb.30:
	v_cmp_ngt_f32_e64 s1, |v0|, |v1|
                                        ; implicit-def: $vgpr2_vgpr3
	s_and_saveexec_b32 s4, s1
	s_delay_alu instid0(SALU_CYCLE_1)
	s_xor_b32 s1, exec_lo, s4
	s_cbranch_execz .LBB101_32
; %bb.31:
	v_div_scale_f32 v2, null, v1, v1, v0
	v_div_scale_f32 v5, vcc_lo, v0, v1, v0
	s_delay_alu instid0(VALU_DEP_2) | instskip(SKIP_1) | instid1(TRANS32_DEP_1)
	v_rcp_f32_e32 v3, v2
	v_nop
	v_fma_f32 v4, -v2, v3, 1.0
	s_delay_alu instid0(VALU_DEP_1) | instskip(NEXT) | instid1(VALU_DEP_1)
	v_fmac_f32_e32 v3, v4, v3
	v_mul_f32_e32 v4, v5, v3
	s_delay_alu instid0(VALU_DEP_1) | instskip(NEXT) | instid1(VALU_DEP_1)
	v_fma_f32 v6, -v2, v4, v5
	v_fmac_f32_e32 v4, v6, v3
	s_delay_alu instid0(VALU_DEP_1) | instskip(NEXT) | instid1(VALU_DEP_1)
	v_fma_f32 v2, -v2, v4, v5
	v_div_fmas_f32 v2, v2, v3, v4
	s_delay_alu instid0(VALU_DEP_1) | instskip(NEXT) | instid1(VALU_DEP_1)
	v_div_fixup_f32 v2, v2, v1, v0
	v_fmac_f32_e32 v1, v0, v2
	s_delay_alu instid0(VALU_DEP_1) | instskip(SKIP_1) | instid1(VALU_DEP_2)
	v_div_scale_f32 v0, null, v1, v1, 1.0
	v_div_scale_f32 v5, vcc_lo, 1.0, v1, 1.0
	v_rcp_f32_e32 v3, v0
	v_nop
	s_delay_alu instid0(TRANS32_DEP_1) | instskip(NEXT) | instid1(VALU_DEP_1)
	v_fma_f32 v4, -v0, v3, 1.0
	v_fmac_f32_e32 v3, v4, v3
	s_delay_alu instid0(VALU_DEP_1) | instskip(NEXT) | instid1(VALU_DEP_1)
	v_mul_f32_e32 v4, v5, v3
	v_fma_f32 v6, -v0, v4, v5
	s_delay_alu instid0(VALU_DEP_1) | instskip(NEXT) | instid1(VALU_DEP_1)
	v_fmac_f32_e32 v4, v6, v3
	v_fma_f32 v0, -v0, v4, v5
	s_delay_alu instid0(VALU_DEP_1) | instskip(NEXT) | instid1(VALU_DEP_1)
	v_div_fmas_f32 v0, v0, v3, v4
	v_div_fixup_f32 v0, v0, v1, 1.0
	s_delay_alu instid0(VALU_DEP_1)
	v_mul_f32_e32 v2, v2, v0
	v_xor_b32_e32 v3, 0x80000000, v0
                                        ; implicit-def: $vgpr0_vgpr1
.LBB101_32:
	s_and_not1_saveexec_b32 s1, s1
	s_cbranch_execz .LBB101_34
; %bb.33:
	v_div_scale_f32 v2, null, v0, v0, v1
	v_div_scale_f32 v5, vcc_lo, v1, v0, v1
	s_delay_alu instid0(VALU_DEP_2) | instskip(SKIP_1) | instid1(TRANS32_DEP_1)
	v_rcp_f32_e32 v3, v2
	v_nop
	v_fma_f32 v4, -v2, v3, 1.0
	s_delay_alu instid0(VALU_DEP_1) | instskip(NEXT) | instid1(VALU_DEP_1)
	v_fmac_f32_e32 v3, v4, v3
	v_mul_f32_e32 v4, v5, v3
	s_delay_alu instid0(VALU_DEP_1) | instskip(NEXT) | instid1(VALU_DEP_1)
	v_fma_f32 v6, -v2, v4, v5
	v_fmac_f32_e32 v4, v6, v3
	s_delay_alu instid0(VALU_DEP_1) | instskip(NEXT) | instid1(VALU_DEP_1)
	v_fma_f32 v2, -v2, v4, v5
	v_div_fmas_f32 v2, v2, v3, v4
	s_delay_alu instid0(VALU_DEP_1) | instskip(NEXT) | instid1(VALU_DEP_1)
	v_div_fixup_f32 v3, v2, v0, v1
	v_fmac_f32_e32 v0, v1, v3
	s_delay_alu instid0(VALU_DEP_1) | instskip(NEXT) | instid1(VALU_DEP_1)
	v_div_scale_f32 v1, null, v0, v0, 1.0
	v_rcp_f32_e32 v2, v1
	v_nop
	s_delay_alu instid0(TRANS32_DEP_1) | instskip(NEXT) | instid1(VALU_DEP_1)
	v_fma_f32 v4, -v1, v2, 1.0
	v_fmac_f32_e32 v2, v4, v2
	v_div_scale_f32 v4, vcc_lo, 1.0, v0, 1.0
	s_delay_alu instid0(VALU_DEP_1) | instskip(NEXT) | instid1(VALU_DEP_1)
	v_mul_f32_e32 v5, v4, v2
	v_fma_f32 v6, -v1, v5, v4
	s_delay_alu instid0(VALU_DEP_1) | instskip(NEXT) | instid1(VALU_DEP_1)
	v_fmac_f32_e32 v5, v6, v2
	v_fma_f32 v1, -v1, v5, v4
	s_delay_alu instid0(VALU_DEP_1) | instskip(NEXT) | instid1(VALU_DEP_1)
	v_div_fmas_f32 v1, v1, v2, v5
	v_div_fixup_f32 v2, v1, v0, 1.0
	s_delay_alu instid0(VALU_DEP_1)
	v_mul_f32_e64 v3, v3, -v2
.LBB101_34:
	s_or_b32 exec_lo, exec_lo, s1
	ds_store_b64 v103, v[2:3]
.LBB101_35:
	s_or_b32 exec_lo, exec_lo, s2
	s_wait_dscnt 0x0
	s_barrier_signal -1
	s_barrier_wait -1
	ds_load_b64 v[0:1], v103
	s_mov_b32 s1, exec_lo
	s_wait_dscnt 0x0
	scratch_store_b64 off, v[0:1], off offset:72 ; 8-byte Folded Spill
	s_wait_xcnt 0x0
	v_cmpx_lt_u32_e32 3, v102
	s_cbranch_execz .LBB101_37
; %bb.36:
	scratch_load_b64 v[4:5], off, off offset:72 ; 8-byte Folded Reload
	s_wait_loadcnt 0x0
	v_pk_mul_f32 v[2:3], v[4:5], v[44:45] op_sel:[1,1] op_sel_hi:[0,1]
	s_delay_alu instid0(VALU_DEP_1)
	v_pk_fma_f32 v[0:1], v[4:5], v[44:45], v[2:3] op_sel_hi:[1,0,1] neg_lo:[0,0,1] neg_hi:[0,0,1]
	v_pk_fma_f32 v[2:3], v[4:5], v[44:45], v[2:3] op_sel_hi:[1,0,1]
	ds_load_2addr_b64 v[4:7], v104 offset0:4 offset1:5
	v_dual_mov_b32 v44, v0 :: v_dual_mov_b32 v45, v3
	s_wait_dscnt 0x0
	v_pk_mul_f32 v[8:9], v[4:5], v[2:3] op_sel:[0,1]
	s_delay_alu instid0(VALU_DEP_1) | instskip(SKIP_1) | instid1(VALU_DEP_1)
	v_pk_fma_f32 v[10:11], v[4:5], v[0:1], v[8:9] op_sel:[0,0,1] op_sel_hi:[1,1,0] neg_lo:[0,0,1] neg_hi:[0,0,1]
	v_pk_fma_f32 v[4:5], v[4:5], v[0:1], v[8:9] op_sel:[0,0,1] op_sel_hi:[1,0,0]
	v_mov_b32_e32 v11, v5
	v_pk_mul_f32 v[4:5], v[6:7], v[2:3] op_sel:[0,1]
	s_delay_alu instid0(VALU_DEP_1) | instskip(SKIP_1) | instid1(VALU_DEP_1)
	v_pk_fma_f32 v[8:9], v[6:7], v[0:1], v[4:5] op_sel:[0,0,1] op_sel_hi:[1,1,0] neg_lo:[0,0,1] neg_hi:[0,0,1]
	v_pk_fma_f32 v[4:5], v[6:7], v[0:1], v[4:5] op_sel:[0,0,1] op_sel_hi:[1,0,0]
	v_mov_b32_e32 v9, v5
	ds_load_2addr_b64 v[4:7], v104 offset0:6 offset1:7
	v_pk_add_f32 v[26:27], v[26:27], v[10:11] neg_lo:[0,1] neg_hi:[0,1]
	v_pk_add_f32 v[22:23], v[22:23], v[8:9] neg_lo:[0,1] neg_hi:[0,1]
	s_wait_dscnt 0x0
	v_pk_mul_f32 v[8:9], v[4:5], v[2:3] op_sel:[0,1]
	s_delay_alu instid0(VALU_DEP_1) | instskip(SKIP_2) | instid1(VALU_DEP_2)
	v_pk_fma_f32 v[10:11], v[4:5], v[0:1], v[8:9] op_sel:[0,0,1] op_sel_hi:[1,1,0] neg_lo:[0,0,1] neg_hi:[0,0,1]
	v_pk_fma_f32 v[4:5], v[4:5], v[0:1], v[8:9] op_sel:[0,0,1] op_sel_hi:[1,0,0]
	v_dual_mul_f32 v8, v7, v3 :: v_dual_mov_b32 v4, v7
	v_dual_mov_b32 v11, v5 :: v_dual_mov_b32 v5, v6
	s_delay_alu instid0(VALU_DEP_2) | instskip(SKIP_1) | instid1(VALU_DEP_3)
	v_pk_fma_f32 v[8:9], v[6:7], v[44:45], v[8:9] op_sel_hi:[1,1,0] neg_lo:[0,0,1] neg_hi:[0,0,1]
	v_mul_f32_e32 v6, v7, v0
	v_pk_add_f32 v[24:25], v[24:25], v[10:11] neg_lo:[0,1] neg_hi:[0,1]
	s_delay_alu instid0(VALU_DEP_2) | instskip(NEXT) | instid1(VALU_DEP_1)
	v_pk_fma_f32 v[4:5], v[4:5], v[44:45], v[6:7] op_sel_hi:[1,1,0]
	v_mov_b32_e32 v9, v5
	ds_load_2addr_b64 v[4:7], v104 offset0:8 offset1:9
	v_pk_add_f32 v[20:21], v[20:21], v[8:9] neg_lo:[0,1] neg_hi:[0,1]
	s_wait_dscnt 0x0
	v_pk_mul_f32 v[8:9], v[4:5], v[2:3] op_sel:[0,1]
	s_delay_alu instid0(VALU_DEP_1) | instskip(SKIP_1) | instid1(VALU_DEP_1)
	v_pk_fma_f32 v[10:11], v[4:5], v[0:1], v[8:9] op_sel:[0,0,1] op_sel_hi:[1,1,0] neg_lo:[0,0,1] neg_hi:[0,0,1]
	v_pk_fma_f32 v[4:5], v[4:5], v[0:1], v[8:9] op_sel:[0,0,1] op_sel_hi:[1,0,0]
	v_mov_b32_e32 v11, v5
	v_pk_mul_f32 v[4:5], v[6:7], v[2:3] op_sel:[0,1]
	s_delay_alu instid0(VALU_DEP_1) | instskip(SKIP_1) | instid1(VALU_DEP_1)
	v_pk_fma_f32 v[8:9], v[6:7], v[0:1], v[4:5] op_sel:[0,0,1] op_sel_hi:[1,1,0] neg_lo:[0,0,1] neg_hi:[0,0,1]
	v_pk_fma_f32 v[4:5], v[6:7], v[0:1], v[4:5] op_sel:[0,0,1] op_sel_hi:[1,0,0]
	v_mov_b32_e32 v9, v5
	ds_load_2addr_b64 v[4:7], v104 offset0:10 offset1:11
	v_pk_add_f32 v[40:41], v[40:41], v[10:11] neg_lo:[0,1] neg_hi:[0,1]
	v_pk_add_f32 v[36:37], v[36:37], v[8:9] neg_lo:[0,1] neg_hi:[0,1]
	s_wait_dscnt 0x0
	v_pk_mul_f32 v[8:9], v[4:5], v[2:3] op_sel:[0,1]
	s_delay_alu instid0(VALU_DEP_1) | instskip(SKIP_1) | instid1(VALU_DEP_1)
	v_pk_fma_f32 v[10:11], v[4:5], v[0:1], v[8:9] op_sel:[0,0,1] op_sel_hi:[1,1,0] neg_lo:[0,0,1] neg_hi:[0,0,1]
	v_pk_fma_f32 v[4:5], v[4:5], v[0:1], v[8:9] op_sel:[0,0,1] op_sel_hi:[1,0,0]
	v_mov_b32_e32 v11, v5
	v_pk_mul_f32 v[4:5], v[6:7], v[2:3] op_sel:[0,1]
	s_delay_alu instid0(VALU_DEP_1) | instskip(SKIP_1) | instid1(VALU_DEP_1)
	v_pk_fma_f32 v[8:9], v[6:7], v[0:1], v[4:5] op_sel:[0,0,1] op_sel_hi:[1,1,0] neg_lo:[0,0,1] neg_hi:[0,0,1]
	v_pk_fma_f32 v[4:5], v[6:7], v[0:1], v[4:5] op_sel:[0,0,1] op_sel_hi:[1,0,0]
	v_mov_b32_e32 v9, v5
	ds_load_2addr_b64 v[4:7], v104 offset0:12 offset1:13
	v_pk_add_f32 v[38:39], v[38:39], v[10:11] neg_lo:[0,1] neg_hi:[0,1]
	v_pk_add_f32 v[34:35], v[34:35], v[8:9] neg_lo:[0,1] neg_hi:[0,1]
	s_wait_dscnt 0x0
	v_dual_mul_f32 v8, v5, v3 :: v_dual_mul_f32 v10, v5, v0
	s_delay_alu instid0(VALU_DEP_1) | instskip(NEXT) | instid1(VALU_DEP_2)
	v_pk_fma_f32 v[8:9], v[4:5], v[44:45], v[8:9] op_sel_hi:[1,1,0] neg_lo:[0,0,1] neg_hi:[0,0,1]
	v_pk_fma_f32 v[4:5], v[4:5], v[44:45], v[10:11] op_sel:[1,0,0] op_sel_hi:[0,1,0]
	s_delay_alu instid0(VALU_DEP_1) | instskip(SKIP_1) | instid1(VALU_DEP_2)
	v_mov_b32_e32 v9, v5
	v_pk_mul_f32 v[4:5], v[6:7], v[2:3] op_sel:[0,1]
	v_pk_add_f32 v[58:59], v[58:59], v[8:9] neg_lo:[0,1] neg_hi:[0,1]
	s_delay_alu instid0(VALU_DEP_2) | instskip(SKIP_1) | instid1(VALU_DEP_1)
	v_pk_fma_f32 v[8:9], v[6:7], v[0:1], v[4:5] op_sel:[0,0,1] op_sel_hi:[1,1,0] neg_lo:[0,0,1] neg_hi:[0,0,1]
	v_pk_fma_f32 v[4:5], v[6:7], v[0:1], v[4:5] op_sel:[0,0,1] op_sel_hi:[1,0,0]
	v_mov_b32_e32 v9, v5
	ds_load_2addr_b64 v[4:7], v104 offset0:14 offset1:15
	v_pk_add_f32 v[54:55], v[54:55], v[8:9] neg_lo:[0,1] neg_hi:[0,1]
	s_wait_dscnt 0x0
	v_pk_mul_f32 v[8:9], v[4:5], v[2:3] op_sel:[0,1]
	s_delay_alu instid0(VALU_DEP_1) | instskip(SKIP_1) | instid1(VALU_DEP_1)
	v_pk_fma_f32 v[10:11], v[4:5], v[0:1], v[8:9] op_sel:[0,0,1] op_sel_hi:[1,1,0] neg_lo:[0,0,1] neg_hi:[0,0,1]
	v_pk_fma_f32 v[4:5], v[4:5], v[0:1], v[8:9] op_sel:[0,0,1] op_sel_hi:[1,0,0]
	v_mov_b32_e32 v11, v5
	v_pk_mul_f32 v[4:5], v[6:7], v[2:3] op_sel:[0,1]
	s_delay_alu instid0(VALU_DEP_2) | instskip(NEXT) | instid1(VALU_DEP_2)
	v_pk_add_f32 v[56:57], v[56:57], v[10:11] neg_lo:[0,1] neg_hi:[0,1]
	v_pk_fma_f32 v[8:9], v[6:7], v[0:1], v[4:5] op_sel:[0,0,1] op_sel_hi:[1,1,0] neg_lo:[0,0,1] neg_hi:[0,0,1]
	v_pk_fma_f32 v[4:5], v[6:7], v[0:1], v[4:5] op_sel:[0,0,1] op_sel_hi:[1,0,0]
	s_delay_alu instid0(VALU_DEP_1) | instskip(SKIP_4) | instid1(VALU_DEP_1)
	v_mov_b32_e32 v9, v5
	ds_load_2addr_b64 v[4:7], v104 offset0:16 offset1:17
	v_pk_add_f32 v[52:53], v[52:53], v[8:9] neg_lo:[0,1] neg_hi:[0,1]
	s_wait_dscnt 0x0
	v_pk_mul_f32 v[8:9], v[4:5], v[2:3] op_sel:[0,1]
	v_pk_fma_f32 v[10:11], v[4:5], v[0:1], v[8:9] op_sel:[0,0,1] op_sel_hi:[1,1,0] neg_lo:[0,0,1] neg_hi:[0,0,1]
	v_pk_fma_f32 v[4:5], v[4:5], v[0:1], v[8:9] op_sel:[0,0,1] op_sel_hi:[1,0,0]
	v_dual_mul_f32 v8, v7, v3 :: v_dual_mov_b32 v4, v7
	s_delay_alu instid0(VALU_DEP_2) | instskip(NEXT) | instid1(VALU_DEP_2)
	v_dual_mov_b32 v11, v5 :: v_dual_mov_b32 v5, v6
	v_pk_fma_f32 v[8:9], v[6:7], v[44:45], v[8:9] op_sel_hi:[1,1,0] neg_lo:[0,0,1] neg_hi:[0,0,1]
	v_mul_f32_e32 v6, v7, v0
	s_delay_alu instid0(VALU_DEP_3) | instskip(NEXT) | instid1(VALU_DEP_2)
	v_pk_add_f32 v[76:77], v[76:77], v[10:11] neg_lo:[0,1] neg_hi:[0,1]
	v_pk_fma_f32 v[4:5], v[4:5], v[44:45], v[6:7] op_sel_hi:[1,1,0]
	s_delay_alu instid0(VALU_DEP_1) | instskip(SKIP_4) | instid1(VALU_DEP_1)
	v_mov_b32_e32 v9, v5
	ds_load_2addr_b64 v[4:7], v104 offset0:18 offset1:19
	v_pk_add_f32 v[72:73], v[72:73], v[8:9] neg_lo:[0,1] neg_hi:[0,1]
	s_wait_dscnt 0x0
	v_pk_mul_f32 v[8:9], v[4:5], v[2:3] op_sel:[0,1]
	v_pk_fma_f32 v[10:11], v[4:5], v[0:1], v[8:9] op_sel:[0,0,1] op_sel_hi:[1,1,0] neg_lo:[0,0,1] neg_hi:[0,0,1]
	v_pk_fma_f32 v[4:5], v[4:5], v[0:1], v[8:9] op_sel:[0,0,1] op_sel_hi:[1,0,0]
	s_delay_alu instid0(VALU_DEP_1) | instskip(SKIP_1) | instid1(VALU_DEP_1)
	v_mov_b32_e32 v11, v5
	v_pk_mul_f32 v[4:5], v[6:7], v[2:3] op_sel:[0,1]
	v_pk_fma_f32 v[8:9], v[6:7], v[0:1], v[4:5] op_sel:[0,0,1] op_sel_hi:[1,1,0] neg_lo:[0,0,1] neg_hi:[0,0,1]
	v_pk_fma_f32 v[4:5], v[6:7], v[0:1], v[4:5] op_sel:[0,0,1] op_sel_hi:[1,0,0]
	s_delay_alu instid0(VALU_DEP_1)
	v_mov_b32_e32 v9, v5
	ds_load_2addr_b64 v[4:7], v104 offset0:20 offset1:21
	v_pk_add_f32 v[74:75], v[74:75], v[10:11] neg_lo:[0,1] neg_hi:[0,1]
	v_pk_add_f32 v[70:71], v[70:71], v[8:9] neg_lo:[0,1] neg_hi:[0,1]
	s_wait_dscnt 0x0
	v_pk_mul_f32 v[8:9], v[4:5], v[2:3] op_sel:[0,1]
	s_delay_alu instid0(VALU_DEP_1) | instskip(SKIP_1) | instid1(VALU_DEP_1)
	v_pk_fma_f32 v[10:11], v[4:5], v[0:1], v[8:9] op_sel:[0,0,1] op_sel_hi:[1,1,0] neg_lo:[0,0,1] neg_hi:[0,0,1]
	v_pk_fma_f32 v[4:5], v[4:5], v[0:1], v[8:9] op_sel:[0,0,1] op_sel_hi:[1,0,0]
	v_mov_b32_e32 v11, v5
	v_pk_mul_f32 v[4:5], v[6:7], v[2:3] op_sel:[0,1]
	s_delay_alu instid0(VALU_DEP_1) | instskip(SKIP_1) | instid1(VALU_DEP_1)
	v_pk_fma_f32 v[8:9], v[6:7], v[0:1], v[4:5] op_sel:[0,0,1] op_sel_hi:[1,1,0] neg_lo:[0,0,1] neg_hi:[0,0,1]
	v_pk_fma_f32 v[4:5], v[6:7], v[0:1], v[4:5] op_sel:[0,0,1] op_sel_hi:[1,0,0]
	v_mov_b32_e32 v9, v5
	ds_load_2addr_b64 v[4:7], v104 offset0:22 offset1:23
	v_pk_add_f32 v[94:95], v[94:95], v[10:11] neg_lo:[0,1] neg_hi:[0,1]
	v_pk_add_f32 v[90:91], v[90:91], v[8:9] neg_lo:[0,1] neg_hi:[0,1]
	s_wait_dscnt 0x0
	v_dual_mul_f32 v8, v5, v3 :: v_dual_mul_f32 v10, v5, v0
	s_delay_alu instid0(VALU_DEP_1) | instskip(NEXT) | instid1(VALU_DEP_2)
	v_pk_fma_f32 v[8:9], v[4:5], v[44:45], v[8:9] op_sel_hi:[1,1,0] neg_lo:[0,0,1] neg_hi:[0,0,1]
	v_pk_fma_f32 v[4:5], v[4:5], v[44:45], v[10:11] op_sel:[1,0,0] op_sel_hi:[0,1,0]
	s_delay_alu instid0(VALU_DEP_1) | instskip(SKIP_1) | instid1(VALU_DEP_2)
	v_mov_b32_e32 v9, v5
	v_pk_mul_f32 v[4:5], v[6:7], v[2:3] op_sel:[0,1]
	v_pk_add_f32 v[92:93], v[92:93], v[8:9] neg_lo:[0,1] neg_hi:[0,1]
	s_delay_alu instid0(VALU_DEP_2) | instskip(SKIP_1) | instid1(VALU_DEP_1)
	v_pk_fma_f32 v[8:9], v[6:7], v[0:1], v[4:5] op_sel:[0,0,1] op_sel_hi:[1,1,0] neg_lo:[0,0,1] neg_hi:[0,0,1]
	v_pk_fma_f32 v[4:5], v[6:7], v[0:1], v[4:5] op_sel:[0,0,1] op_sel_hi:[1,0,0]
	v_mov_b32_e32 v9, v5
	ds_load_2addr_b64 v[4:7], v104 offset0:24 offset1:25
	v_pk_add_f32 v[88:89], v[88:89], v[8:9] neg_lo:[0,1] neg_hi:[0,1]
	s_wait_dscnt 0x0
	v_pk_mul_f32 v[8:9], v[4:5], v[2:3] op_sel:[0,1]
	s_delay_alu instid0(VALU_DEP_1) | instskip(SKIP_1) | instid1(VALU_DEP_1)
	v_pk_fma_f32 v[10:11], v[4:5], v[0:1], v[8:9] op_sel:[0,0,1] op_sel_hi:[1,1,0] neg_lo:[0,0,1] neg_hi:[0,0,1]
	v_pk_fma_f32 v[4:5], v[4:5], v[0:1], v[8:9] op_sel:[0,0,1] op_sel_hi:[1,0,0]
	v_mov_b32_e32 v11, v5
	v_pk_mul_f32 v[4:5], v[6:7], v[2:3] op_sel:[0,1]
	s_delay_alu instid0(VALU_DEP_2) | instskip(NEXT) | instid1(VALU_DEP_2)
	v_pk_add_f32 v[112:113], v[112:113], v[10:11] neg_lo:[0,1] neg_hi:[0,1]
	v_pk_fma_f32 v[8:9], v[6:7], v[0:1], v[4:5] op_sel:[0,0,1] op_sel_hi:[1,1,0] neg_lo:[0,0,1] neg_hi:[0,0,1]
	v_pk_fma_f32 v[4:5], v[6:7], v[0:1], v[4:5] op_sel:[0,0,1] op_sel_hi:[1,0,0]
	s_delay_alu instid0(VALU_DEP_1) | instskip(SKIP_4) | instid1(VALU_DEP_1)
	v_mov_b32_e32 v9, v5
	ds_load_2addr_b64 v[4:7], v104 offset0:26 offset1:27
	v_pk_add_f32 v[108:109], v[108:109], v[8:9] neg_lo:[0,1] neg_hi:[0,1]
	s_wait_dscnt 0x0
	v_pk_mul_f32 v[8:9], v[4:5], v[2:3] op_sel:[0,1]
	v_pk_fma_f32 v[10:11], v[4:5], v[0:1], v[8:9] op_sel:[0,0,1] op_sel_hi:[1,1,0] neg_lo:[0,0,1] neg_hi:[0,0,1]
	v_pk_fma_f32 v[4:5], v[4:5], v[0:1], v[8:9] op_sel:[0,0,1] op_sel_hi:[1,0,0]
	v_dual_mul_f32 v8, v7, v3 :: v_dual_mov_b32 v4, v7
	s_delay_alu instid0(VALU_DEP_2) | instskip(NEXT) | instid1(VALU_DEP_2)
	v_dual_mov_b32 v11, v5 :: v_dual_mov_b32 v5, v6
	v_pk_fma_f32 v[8:9], v[6:7], v[44:45], v[8:9] op_sel_hi:[1,1,0] neg_lo:[0,0,1] neg_hi:[0,0,1]
	v_mul_f32_e32 v6, v7, v0
	s_delay_alu instid0(VALU_DEP_3) | instskip(NEXT) | instid1(VALU_DEP_2)
	v_pk_add_f32 v[110:111], v[110:111], v[10:11] neg_lo:[0,1] neg_hi:[0,1]
	v_pk_fma_f32 v[4:5], v[4:5], v[44:45], v[6:7] op_sel_hi:[1,1,0]
	s_delay_alu instid0(VALU_DEP_1) | instskip(SKIP_4) | instid1(VALU_DEP_1)
	v_mov_b32_e32 v9, v5
	ds_load_2addr_b64 v[4:7], v104 offset0:28 offset1:29
	v_pk_add_f32 v[106:107], v[106:107], v[8:9] neg_lo:[0,1] neg_hi:[0,1]
	s_wait_dscnt 0x0
	v_pk_mul_f32 v[8:9], v[4:5], v[2:3] op_sel:[0,1]
	v_pk_fma_f32 v[10:11], v[4:5], v[0:1], v[8:9] op_sel:[0,0,1] op_sel_hi:[1,1,0] neg_lo:[0,0,1] neg_hi:[0,0,1]
	v_pk_fma_f32 v[4:5], v[4:5], v[0:1], v[8:9] op_sel:[0,0,1] op_sel_hi:[1,0,0]
	s_delay_alu instid0(VALU_DEP_1) | instskip(SKIP_1) | instid1(VALU_DEP_1)
	v_mov_b32_e32 v11, v5
	v_pk_mul_f32 v[4:5], v[6:7], v[2:3] op_sel:[0,1]
	v_pk_fma_f32 v[8:9], v[6:7], v[0:1], v[4:5] op_sel:[0,0,1] op_sel_hi:[1,1,0] neg_lo:[0,0,1] neg_hi:[0,0,1]
	v_pk_fma_f32 v[4:5], v[6:7], v[0:1], v[4:5] op_sel:[0,0,1] op_sel_hi:[1,0,0]
	s_delay_alu instid0(VALU_DEP_1)
	v_mov_b32_e32 v9, v5
	ds_load_2addr_b64 v[4:7], v104 offset0:30 offset1:31
	v_pk_add_f32 v[128:129], v[128:129], v[10:11] neg_lo:[0,1] neg_hi:[0,1]
	v_pk_add_f32 v[124:125], v[124:125], v[8:9] neg_lo:[0,1] neg_hi:[0,1]
	s_wait_dscnt 0x0
	v_pk_mul_f32 v[8:9], v[4:5], v[2:3] op_sel:[0,1]
	s_delay_alu instid0(VALU_DEP_1) | instskip(SKIP_1) | instid1(VALU_DEP_1)
	v_pk_fma_f32 v[10:11], v[4:5], v[0:1], v[8:9] op_sel:[0,0,1] op_sel_hi:[1,1,0] neg_lo:[0,0,1] neg_hi:[0,0,1]
	v_pk_fma_f32 v[4:5], v[4:5], v[0:1], v[8:9] op_sel:[0,0,1] op_sel_hi:[1,0,0]
	v_mov_b32_e32 v11, v5
	v_pk_mul_f32 v[4:5], v[6:7], v[2:3] op_sel:[0,1]
	s_delay_alu instid0(VALU_DEP_1) | instskip(SKIP_1) | instid1(VALU_DEP_1)
	v_pk_fma_f32 v[8:9], v[6:7], v[0:1], v[4:5] op_sel:[0,0,1] op_sel_hi:[1,1,0] neg_lo:[0,0,1] neg_hi:[0,0,1]
	v_pk_fma_f32 v[4:5], v[6:7], v[0:1], v[4:5] op_sel:[0,0,1] op_sel_hi:[1,0,0]
	v_mov_b32_e32 v9, v5
	ds_load_2addr_b64 v[4:7], v104 offset0:32 offset1:33
	v_pk_add_f32 v[126:127], v[126:127], v[10:11] neg_lo:[0,1] neg_hi:[0,1]
	v_pk_add_f32 v[122:123], v[122:123], v[8:9] neg_lo:[0,1] neg_hi:[0,1]
	s_wait_dscnt 0x0
	v_dual_mul_f32 v8, v5, v3 :: v_dual_mul_f32 v10, v5, v0
	s_delay_alu instid0(VALU_DEP_1) | instskip(NEXT) | instid1(VALU_DEP_2)
	v_pk_fma_f32 v[8:9], v[4:5], v[44:45], v[8:9] op_sel_hi:[1,1,0] neg_lo:[0,0,1] neg_hi:[0,0,1]
	v_pk_fma_f32 v[4:5], v[4:5], v[44:45], v[10:11] op_sel:[1,0,0] op_sel_hi:[0,1,0]
	s_delay_alu instid0(VALU_DEP_1) | instskip(SKIP_1) | instid1(VALU_DEP_2)
	v_mov_b32_e32 v9, v5
	v_pk_mul_f32 v[4:5], v[6:7], v[2:3] op_sel:[0,1]
	v_pk_add_f32 v[146:147], v[146:147], v[8:9] neg_lo:[0,1] neg_hi:[0,1]
	s_delay_alu instid0(VALU_DEP_2) | instskip(SKIP_1) | instid1(VALU_DEP_1)
	v_pk_fma_f32 v[8:9], v[6:7], v[0:1], v[4:5] op_sel:[0,0,1] op_sel_hi:[1,1,0] neg_lo:[0,0,1] neg_hi:[0,0,1]
	v_pk_fma_f32 v[4:5], v[6:7], v[0:1], v[4:5] op_sel:[0,0,1] op_sel_hi:[1,0,0]
	v_mov_b32_e32 v9, v5
	ds_load_2addr_b64 v[4:7], v104 offset0:34 offset1:35
	v_pk_add_f32 v[142:143], v[142:143], v[8:9] neg_lo:[0,1] neg_hi:[0,1]
	s_wait_dscnt 0x0
	v_pk_mul_f32 v[8:9], v[4:5], v[2:3] op_sel:[0,1]
	s_delay_alu instid0(VALU_DEP_1) | instskip(SKIP_1) | instid1(VALU_DEP_1)
	v_pk_fma_f32 v[10:11], v[4:5], v[0:1], v[8:9] op_sel:[0,0,1] op_sel_hi:[1,1,0] neg_lo:[0,0,1] neg_hi:[0,0,1]
	v_pk_fma_f32 v[4:5], v[4:5], v[0:1], v[8:9] op_sel:[0,0,1] op_sel_hi:[1,0,0]
	v_mov_b32_e32 v11, v5
	v_pk_mul_f32 v[4:5], v[6:7], v[2:3] op_sel:[0,1]
	s_delay_alu instid0(VALU_DEP_2) | instskip(NEXT) | instid1(VALU_DEP_2)
	v_pk_add_f32 v[144:145], v[144:145], v[10:11] neg_lo:[0,1] neg_hi:[0,1]
	v_pk_fma_f32 v[8:9], v[6:7], v[0:1], v[4:5] op_sel:[0,0,1] op_sel_hi:[1,1,0] neg_lo:[0,0,1] neg_hi:[0,0,1]
	v_pk_fma_f32 v[4:5], v[6:7], v[0:1], v[4:5] op_sel:[0,0,1] op_sel_hi:[1,0,0]
	s_delay_alu instid0(VALU_DEP_1) | instskip(SKIP_4) | instid1(VALU_DEP_1)
	v_mov_b32_e32 v9, v5
	ds_load_2addr_b64 v[4:7], v104 offset0:36 offset1:37
	v_pk_add_f32 v[140:141], v[140:141], v[8:9] neg_lo:[0,1] neg_hi:[0,1]
	s_wait_dscnt 0x0
	v_pk_mul_f32 v[8:9], v[4:5], v[2:3] op_sel:[0,1]
	v_pk_fma_f32 v[10:11], v[4:5], v[0:1], v[8:9] op_sel:[0,0,1] op_sel_hi:[1,1,0] neg_lo:[0,0,1] neg_hi:[0,0,1]
	v_pk_fma_f32 v[4:5], v[4:5], v[0:1], v[8:9] op_sel:[0,0,1] op_sel_hi:[1,0,0]
	v_dual_mul_f32 v8, v7, v3 :: v_dual_mov_b32 v4, v7
	s_delay_alu instid0(VALU_DEP_2) | instskip(NEXT) | instid1(VALU_DEP_2)
	v_dual_mov_b32 v11, v5 :: v_dual_mov_b32 v5, v6
	v_pk_fma_f32 v[8:9], v[6:7], v[44:45], v[8:9] op_sel_hi:[1,1,0] neg_lo:[0,0,1] neg_hi:[0,0,1]
	v_mul_f32_e32 v6, v7, v0
	s_delay_alu instid0(VALU_DEP_3) | instskip(NEXT) | instid1(VALU_DEP_2)
	v_pk_add_f32 v[162:163], v[162:163], v[10:11] neg_lo:[0,1] neg_hi:[0,1]
	v_pk_fma_f32 v[4:5], v[4:5], v[44:45], v[6:7] op_sel_hi:[1,1,0]
	s_delay_alu instid0(VALU_DEP_1) | instskip(SKIP_4) | instid1(VALU_DEP_1)
	v_mov_b32_e32 v9, v5
	ds_load_2addr_b64 v[4:7], v104 offset0:38 offset1:39
	v_pk_add_f32 v[158:159], v[158:159], v[8:9] neg_lo:[0,1] neg_hi:[0,1]
	s_wait_dscnt 0x0
	v_pk_mul_f32 v[8:9], v[4:5], v[2:3] op_sel:[0,1]
	v_pk_fma_f32 v[10:11], v[4:5], v[0:1], v[8:9] op_sel:[0,0,1] op_sel_hi:[1,1,0] neg_lo:[0,0,1] neg_hi:[0,0,1]
	v_pk_fma_f32 v[4:5], v[4:5], v[0:1], v[8:9] op_sel:[0,0,1] op_sel_hi:[1,0,0]
	s_delay_alu instid0(VALU_DEP_1) | instskip(SKIP_1) | instid1(VALU_DEP_1)
	v_mov_b32_e32 v11, v5
	v_pk_mul_f32 v[4:5], v[6:7], v[2:3] op_sel:[0,1]
	v_pk_fma_f32 v[8:9], v[6:7], v[0:1], v[4:5] op_sel:[0,0,1] op_sel_hi:[1,1,0] neg_lo:[0,0,1] neg_hi:[0,0,1]
	v_pk_fma_f32 v[4:5], v[6:7], v[0:1], v[4:5] op_sel:[0,0,1] op_sel_hi:[1,0,0]
	s_delay_alu instid0(VALU_DEP_1)
	v_mov_b32_e32 v9, v5
	ds_load_2addr_b64 v[4:7], v104 offset0:40 offset1:41
	v_pk_add_f32 v[160:161], v[160:161], v[10:11] neg_lo:[0,1] neg_hi:[0,1]
	v_pk_add_f32 v[156:157], v[156:157], v[8:9] neg_lo:[0,1] neg_hi:[0,1]
	s_wait_dscnt 0x0
	v_pk_mul_f32 v[8:9], v[4:5], v[2:3] op_sel:[0,1]
	s_delay_alu instid0(VALU_DEP_1) | instskip(SKIP_1) | instid1(VALU_DEP_1)
	v_pk_fma_f32 v[10:11], v[4:5], v[0:1], v[8:9] op_sel:[0,0,1] op_sel_hi:[1,1,0] neg_lo:[0,0,1] neg_hi:[0,0,1]
	v_pk_fma_f32 v[4:5], v[4:5], v[0:1], v[8:9] op_sel:[0,0,1] op_sel_hi:[1,0,0]
	v_mov_b32_e32 v11, v5
	v_pk_mul_f32 v[4:5], v[6:7], v[2:3] op_sel:[0,1]
	s_delay_alu instid0(VALU_DEP_1) | instskip(SKIP_1) | instid1(VALU_DEP_1)
	v_pk_fma_f32 v[8:9], v[6:7], v[0:1], v[4:5] op_sel:[0,0,1] op_sel_hi:[1,1,0] neg_lo:[0,0,1] neg_hi:[0,0,1]
	v_pk_fma_f32 v[4:5], v[6:7], v[0:1], v[4:5] op_sel:[0,0,1] op_sel_hi:[1,0,0]
	v_mov_b32_e32 v9, v5
	ds_load_2addr_b64 v[4:7], v104 offset0:42 offset1:43
	v_pk_add_f32 v[180:181], v[180:181], v[10:11] neg_lo:[0,1] neg_hi:[0,1]
	v_pk_add_f32 v[176:177], v[176:177], v[8:9] neg_lo:[0,1] neg_hi:[0,1]
	s_wait_dscnt 0x0
	v_dual_mul_f32 v8, v5, v3 :: v_dual_mul_f32 v10, v5, v0
	s_delay_alu instid0(VALU_DEP_1) | instskip(NEXT) | instid1(VALU_DEP_2)
	v_pk_fma_f32 v[8:9], v[4:5], v[44:45], v[8:9] op_sel_hi:[1,1,0] neg_lo:[0,0,1] neg_hi:[0,0,1]
	v_pk_fma_f32 v[4:5], v[4:5], v[44:45], v[10:11] op_sel:[1,0,0] op_sel_hi:[0,1,0]
	s_delay_alu instid0(VALU_DEP_1) | instskip(SKIP_1) | instid1(VALU_DEP_2)
	v_mov_b32_e32 v9, v5
	v_pk_mul_f32 v[4:5], v[6:7], v[2:3] op_sel:[0,1]
	v_pk_add_f32 v[178:179], v[178:179], v[8:9] neg_lo:[0,1] neg_hi:[0,1]
	s_delay_alu instid0(VALU_DEP_2) | instskip(SKIP_1) | instid1(VALU_DEP_1)
	v_pk_fma_f32 v[8:9], v[6:7], v[0:1], v[4:5] op_sel:[0,0,1] op_sel_hi:[1,1,0] neg_lo:[0,0,1] neg_hi:[0,0,1]
	v_pk_fma_f32 v[4:5], v[6:7], v[0:1], v[4:5] op_sel:[0,0,1] op_sel_hi:[1,0,0]
	v_mov_b32_e32 v9, v5
	ds_load_2addr_b64 v[4:7], v104 offset0:44 offset1:45
	v_pk_add_f32 v[174:175], v[174:175], v[8:9] neg_lo:[0,1] neg_hi:[0,1]
	s_wait_dscnt 0x0
	v_pk_mul_f32 v[8:9], v[4:5], v[2:3] op_sel:[0,1]
	s_delay_alu instid0(VALU_DEP_1) | instskip(SKIP_1) | instid1(VALU_DEP_1)
	v_pk_fma_f32 v[10:11], v[4:5], v[0:1], v[8:9] op_sel:[0,0,1] op_sel_hi:[1,1,0] neg_lo:[0,0,1] neg_hi:[0,0,1]
	v_pk_fma_f32 v[4:5], v[4:5], v[0:1], v[8:9] op_sel:[0,0,1] op_sel_hi:[1,0,0]
	v_mov_b32_e32 v11, v5
	v_pk_mul_f32 v[4:5], v[6:7], v[2:3] op_sel:[0,1]
	s_delay_alu instid0(VALU_DEP_2) | instskip(NEXT) | instid1(VALU_DEP_2)
	v_pk_add_f32 v[200:201], v[200:201], v[10:11] neg_lo:[0,1] neg_hi:[0,1]
	v_pk_fma_f32 v[8:9], v[6:7], v[0:1], v[4:5] op_sel:[0,0,1] op_sel_hi:[1,1,0] neg_lo:[0,0,1] neg_hi:[0,0,1]
	v_pk_fma_f32 v[4:5], v[6:7], v[0:1], v[4:5] op_sel:[0,0,1] op_sel_hi:[1,0,0]
	s_delay_alu instid0(VALU_DEP_1) | instskip(SKIP_4) | instid1(VALU_DEP_1)
	v_mov_b32_e32 v9, v5
	ds_load_2addr_b64 v[4:7], v104 offset0:46 offset1:47
	v_pk_add_f32 v[194:195], v[194:195], v[8:9] neg_lo:[0,1] neg_hi:[0,1]
	s_wait_dscnt 0x0
	v_pk_mul_f32 v[8:9], v[4:5], v[2:3] op_sel:[0,1]
	v_pk_fma_f32 v[10:11], v[4:5], v[0:1], v[8:9] op_sel:[0,0,1] op_sel_hi:[1,1,0] neg_lo:[0,0,1] neg_hi:[0,0,1]
	v_pk_fma_f32 v[4:5], v[4:5], v[0:1], v[8:9] op_sel:[0,0,1] op_sel_hi:[1,0,0]
	v_dual_mul_f32 v8, v7, v3 :: v_dual_mov_b32 v4, v7
	s_delay_alu instid0(VALU_DEP_2) | instskip(NEXT) | instid1(VALU_DEP_2)
	v_dual_mov_b32 v11, v5 :: v_dual_mov_b32 v5, v6
	v_pk_fma_f32 v[8:9], v[6:7], v[44:45], v[8:9] op_sel_hi:[1,1,0] neg_lo:[0,0,1] neg_hi:[0,0,1]
	v_mul_f32_e32 v6, v7, v0
	s_delay_alu instid0(VALU_DEP_3) | instskip(NEXT) | instid1(VALU_DEP_2)
	v_pk_add_f32 v[198:199], v[198:199], v[10:11] neg_lo:[0,1] neg_hi:[0,1]
	v_pk_fma_f32 v[4:5], v[4:5], v[44:45], v[6:7] op_sel_hi:[1,1,0]
	s_delay_alu instid0(VALU_DEP_1) | instskip(SKIP_4) | instid1(VALU_DEP_1)
	v_mov_b32_e32 v9, v5
	ds_load_2addr_b64 v[4:7], v104 offset0:48 offset1:49
	v_pk_add_f32 v[192:193], v[192:193], v[8:9] neg_lo:[0,1] neg_hi:[0,1]
	s_wait_dscnt 0x0
	v_pk_mul_f32 v[8:9], v[4:5], v[2:3] op_sel:[0,1]
	v_pk_fma_f32 v[10:11], v[4:5], v[0:1], v[8:9] op_sel:[0,0,1] op_sel_hi:[1,1,0] neg_lo:[0,0,1] neg_hi:[0,0,1]
	v_pk_fma_f32 v[4:5], v[4:5], v[0:1], v[8:9] op_sel:[0,0,1] op_sel_hi:[1,0,0]
	s_delay_alu instid0(VALU_DEP_1) | instskip(SKIP_1) | instid1(VALU_DEP_1)
	v_mov_b32_e32 v11, v5
	v_pk_mul_f32 v[4:5], v[6:7], v[2:3] op_sel:[0,1]
	v_pk_fma_f32 v[8:9], v[6:7], v[0:1], v[4:5] op_sel:[0,0,1] op_sel_hi:[1,1,0] neg_lo:[0,0,1] neg_hi:[0,0,1]
	v_pk_fma_f32 v[4:5], v[6:7], v[0:1], v[4:5] op_sel:[0,0,1] op_sel_hi:[1,0,0]
	s_delay_alu instid0(VALU_DEP_1)
	v_mov_b32_e32 v9, v5
	ds_load_b64 v[4:5], v104 offset:400
	v_pk_add_f32 v[196:197], v[196:197], v[10:11] neg_lo:[0,1] neg_hi:[0,1]
	v_pk_add_f32 v[202:203], v[202:203], v[8:9] neg_lo:[0,1] neg_hi:[0,1]
	s_wait_dscnt 0x0
	v_pk_mul_f32 v[2:3], v[4:5], v[2:3] op_sel:[0,1]
	s_delay_alu instid0(VALU_DEP_1) | instskip(SKIP_1) | instid1(VALU_DEP_1)
	v_pk_fma_f32 v[6:7], v[4:5], v[0:1], v[2:3] op_sel:[0,0,1] op_sel_hi:[1,1,0] neg_lo:[0,0,1] neg_hi:[0,0,1]
	v_pk_fma_f32 v[0:1], v[4:5], v[0:1], v[2:3] op_sel:[0,0,1] op_sel_hi:[1,0,0]
	v_mov_b32_e32 v7, v1
	s_delay_alu instid0(VALU_DEP_1)
	v_pk_add_f32 v[204:205], v[204:205], v[6:7] neg_lo:[0,1] neg_hi:[0,1]
.LBB101_37:
	s_wait_xcnt 0x0
	s_or_b32 exec_lo, exec_lo, s1
	s_delay_alu instid0(SALU_CYCLE_1)
	s_mov_b32 s2, exec_lo
	s_wait_storecnt 0x0
	s_barrier_signal -1
	s_barrier_wait -1
	v_cmpx_eq_u32_e32 4, v102
	s_cbranch_execz .LBB101_44
; %bb.38:
	ds_store_b64 v103, v[26:27]
	ds_store_2addr_b64 v104, v[22:23], v[24:25] offset0:5 offset1:6
	ds_store_2addr_b64 v104, v[20:21], v[40:41] offset0:7 offset1:8
	;; [unrolled: 1-line block ×23, first 2 shown]
	ds_load_b64 v[0:1], v103
	s_wait_dscnt 0x0
	v_cmp_neq_f32_e32 vcc_lo, 0, v0
	v_cmp_neq_f32_e64 s1, 0, v1
	s_or_b32 s1, vcc_lo, s1
	s_delay_alu instid0(SALU_CYCLE_1)
	s_and_b32 exec_lo, exec_lo, s1
	s_cbranch_execz .LBB101_44
; %bb.39:
	v_cmp_ngt_f32_e64 s1, |v0|, |v1|
                                        ; implicit-def: $vgpr2_vgpr3
	s_and_saveexec_b32 s4, s1
	s_delay_alu instid0(SALU_CYCLE_1)
	s_xor_b32 s1, exec_lo, s4
	s_cbranch_execz .LBB101_41
; %bb.40:
	v_div_scale_f32 v2, null, v1, v1, v0
	v_div_scale_f32 v5, vcc_lo, v0, v1, v0
	s_delay_alu instid0(VALU_DEP_2) | instskip(SKIP_1) | instid1(TRANS32_DEP_1)
	v_rcp_f32_e32 v3, v2
	v_nop
	v_fma_f32 v4, -v2, v3, 1.0
	s_delay_alu instid0(VALU_DEP_1) | instskip(NEXT) | instid1(VALU_DEP_1)
	v_fmac_f32_e32 v3, v4, v3
	v_mul_f32_e32 v4, v5, v3
	s_delay_alu instid0(VALU_DEP_1) | instskip(NEXT) | instid1(VALU_DEP_1)
	v_fma_f32 v6, -v2, v4, v5
	v_fmac_f32_e32 v4, v6, v3
	s_delay_alu instid0(VALU_DEP_1) | instskip(NEXT) | instid1(VALU_DEP_1)
	v_fma_f32 v2, -v2, v4, v5
	v_div_fmas_f32 v2, v2, v3, v4
	s_delay_alu instid0(VALU_DEP_1) | instskip(NEXT) | instid1(VALU_DEP_1)
	v_div_fixup_f32 v2, v2, v1, v0
	v_fmac_f32_e32 v1, v0, v2
	s_delay_alu instid0(VALU_DEP_1) | instskip(SKIP_1) | instid1(VALU_DEP_2)
	v_div_scale_f32 v0, null, v1, v1, 1.0
	v_div_scale_f32 v5, vcc_lo, 1.0, v1, 1.0
	v_rcp_f32_e32 v3, v0
	v_nop
	s_delay_alu instid0(TRANS32_DEP_1) | instskip(NEXT) | instid1(VALU_DEP_1)
	v_fma_f32 v4, -v0, v3, 1.0
	v_fmac_f32_e32 v3, v4, v3
	s_delay_alu instid0(VALU_DEP_1) | instskip(NEXT) | instid1(VALU_DEP_1)
	v_mul_f32_e32 v4, v5, v3
	v_fma_f32 v6, -v0, v4, v5
	s_delay_alu instid0(VALU_DEP_1) | instskip(NEXT) | instid1(VALU_DEP_1)
	v_fmac_f32_e32 v4, v6, v3
	v_fma_f32 v0, -v0, v4, v5
	s_delay_alu instid0(VALU_DEP_1) | instskip(NEXT) | instid1(VALU_DEP_1)
	v_div_fmas_f32 v0, v0, v3, v4
	v_div_fixup_f32 v0, v0, v1, 1.0
	s_delay_alu instid0(VALU_DEP_1)
	v_mul_f32_e32 v2, v2, v0
	v_xor_b32_e32 v3, 0x80000000, v0
                                        ; implicit-def: $vgpr0_vgpr1
.LBB101_41:
	s_and_not1_saveexec_b32 s1, s1
	s_cbranch_execz .LBB101_43
; %bb.42:
	v_div_scale_f32 v2, null, v0, v0, v1
	v_div_scale_f32 v5, vcc_lo, v1, v0, v1
	s_delay_alu instid0(VALU_DEP_2) | instskip(SKIP_1) | instid1(TRANS32_DEP_1)
	v_rcp_f32_e32 v3, v2
	v_nop
	v_fma_f32 v4, -v2, v3, 1.0
	s_delay_alu instid0(VALU_DEP_1) | instskip(NEXT) | instid1(VALU_DEP_1)
	v_fmac_f32_e32 v3, v4, v3
	v_mul_f32_e32 v4, v5, v3
	s_delay_alu instid0(VALU_DEP_1) | instskip(NEXT) | instid1(VALU_DEP_1)
	v_fma_f32 v6, -v2, v4, v5
	v_fmac_f32_e32 v4, v6, v3
	s_delay_alu instid0(VALU_DEP_1) | instskip(NEXT) | instid1(VALU_DEP_1)
	v_fma_f32 v2, -v2, v4, v5
	v_div_fmas_f32 v2, v2, v3, v4
	s_delay_alu instid0(VALU_DEP_1) | instskip(NEXT) | instid1(VALU_DEP_1)
	v_div_fixup_f32 v3, v2, v0, v1
	v_fmac_f32_e32 v0, v1, v3
	s_delay_alu instid0(VALU_DEP_1) | instskip(NEXT) | instid1(VALU_DEP_1)
	v_div_scale_f32 v1, null, v0, v0, 1.0
	v_rcp_f32_e32 v2, v1
	v_nop
	s_delay_alu instid0(TRANS32_DEP_1) | instskip(NEXT) | instid1(VALU_DEP_1)
	v_fma_f32 v4, -v1, v2, 1.0
	v_fmac_f32_e32 v2, v4, v2
	v_div_scale_f32 v4, vcc_lo, 1.0, v0, 1.0
	s_delay_alu instid0(VALU_DEP_1) | instskip(NEXT) | instid1(VALU_DEP_1)
	v_mul_f32_e32 v5, v4, v2
	v_fma_f32 v6, -v1, v5, v4
	s_delay_alu instid0(VALU_DEP_1) | instskip(NEXT) | instid1(VALU_DEP_1)
	v_fmac_f32_e32 v5, v6, v2
	v_fma_f32 v1, -v1, v5, v4
	s_delay_alu instid0(VALU_DEP_1) | instskip(NEXT) | instid1(VALU_DEP_1)
	v_div_fmas_f32 v1, v1, v2, v5
	v_div_fixup_f32 v2, v1, v0, 1.0
	s_delay_alu instid0(VALU_DEP_1)
	v_mul_f32_e64 v3, v3, -v2
.LBB101_43:
	s_or_b32 exec_lo, exec_lo, s1
	ds_store_b64 v103, v[2:3]
.LBB101_44:
	s_or_b32 exec_lo, exec_lo, s2
	s_wait_dscnt 0x0
	s_barrier_signal -1
	s_barrier_wait -1
	ds_load_b64 v[0:1], v103
	s_mov_b32 s1, exec_lo
	s_wait_dscnt 0x0
	scratch_store_b64 off, v[0:1], off offset:80 ; 8-byte Folded Spill
	s_wait_xcnt 0x0
	v_cmpx_lt_u32_e32 4, v102
	s_cbranch_execz .LBB101_46
; %bb.45:
	scratch_load_b64 v[4:5], off, off offset:80 ; 8-byte Folded Reload
	s_wait_loadcnt 0x0
	v_pk_mul_f32 v[2:3], v[4:5], v[26:27] op_sel:[1,1] op_sel_hi:[0,1]
	s_delay_alu instid0(VALU_DEP_1)
	v_pk_fma_f32 v[0:1], v[4:5], v[26:27], v[2:3] op_sel_hi:[1,0,1] neg_lo:[0,0,1] neg_hi:[0,0,1]
	v_pk_fma_f32 v[2:3], v[4:5], v[26:27], v[2:3] op_sel_hi:[1,0,1]
	ds_load_2addr_b64 v[4:7], v104 offset0:5 offset1:6
	v_dual_mov_b32 v26, v0 :: v_dual_mov_b32 v27, v3
	s_wait_dscnt 0x0
	v_pk_mul_f32 v[8:9], v[4:5], v[2:3] op_sel:[0,1]
	s_delay_alu instid0(VALU_DEP_1) | instskip(SKIP_1) | instid1(VALU_DEP_1)
	v_pk_fma_f32 v[10:11], v[4:5], v[0:1], v[8:9] op_sel:[0,0,1] op_sel_hi:[1,1,0] neg_lo:[0,0,1] neg_hi:[0,0,1]
	v_pk_fma_f32 v[4:5], v[4:5], v[0:1], v[8:9] op_sel:[0,0,1] op_sel_hi:[1,0,0]
	v_mov_b32_e32 v11, v5
	v_pk_mul_f32 v[4:5], v[6:7], v[2:3] op_sel:[0,1]
	s_delay_alu instid0(VALU_DEP_1) | instskip(SKIP_1) | instid1(VALU_DEP_1)
	v_pk_fma_f32 v[8:9], v[6:7], v[0:1], v[4:5] op_sel:[0,0,1] op_sel_hi:[1,1,0] neg_lo:[0,0,1] neg_hi:[0,0,1]
	v_pk_fma_f32 v[4:5], v[6:7], v[0:1], v[4:5] op_sel:[0,0,1] op_sel_hi:[1,0,0]
	v_mov_b32_e32 v9, v5
	ds_load_2addr_b64 v[4:7], v104 offset0:7 offset1:8
	v_pk_add_f32 v[22:23], v[22:23], v[10:11] neg_lo:[0,1] neg_hi:[0,1]
	v_pk_add_f32 v[24:25], v[24:25], v[8:9] neg_lo:[0,1] neg_hi:[0,1]
	s_wait_dscnt 0x0
	v_pk_mul_f32 v[8:9], v[4:5], v[2:3] op_sel:[0,1]
	s_delay_alu instid0(VALU_DEP_1) | instskip(SKIP_2) | instid1(VALU_DEP_2)
	v_pk_fma_f32 v[10:11], v[4:5], v[0:1], v[8:9] op_sel:[0,0,1] op_sel_hi:[1,1,0] neg_lo:[0,0,1] neg_hi:[0,0,1]
	v_pk_fma_f32 v[4:5], v[4:5], v[0:1], v[8:9] op_sel:[0,0,1] op_sel_hi:[1,0,0]
	v_dual_mul_f32 v8, v7, v3 :: v_dual_mov_b32 v4, v7
	v_dual_mov_b32 v11, v5 :: v_dual_mov_b32 v5, v6
	s_delay_alu instid0(VALU_DEP_2) | instskip(SKIP_1) | instid1(VALU_DEP_3)
	v_pk_fma_f32 v[8:9], v[6:7], v[26:27], v[8:9] op_sel_hi:[1,1,0] neg_lo:[0,0,1] neg_hi:[0,0,1]
	v_mul_f32_e32 v6, v7, v0
	v_pk_add_f32 v[20:21], v[20:21], v[10:11] neg_lo:[0,1] neg_hi:[0,1]
	s_delay_alu instid0(VALU_DEP_2) | instskip(NEXT) | instid1(VALU_DEP_1)
	v_pk_fma_f32 v[4:5], v[4:5], v[26:27], v[6:7] op_sel_hi:[1,1,0]
	v_mov_b32_e32 v9, v5
	ds_load_2addr_b64 v[4:7], v104 offset0:9 offset1:10
	v_pk_add_f32 v[40:41], v[40:41], v[8:9] neg_lo:[0,1] neg_hi:[0,1]
	s_wait_dscnt 0x0
	v_pk_mul_f32 v[8:9], v[4:5], v[2:3] op_sel:[0,1]
	s_delay_alu instid0(VALU_DEP_1) | instskip(SKIP_1) | instid1(VALU_DEP_1)
	v_pk_fma_f32 v[10:11], v[4:5], v[0:1], v[8:9] op_sel:[0,0,1] op_sel_hi:[1,1,0] neg_lo:[0,0,1] neg_hi:[0,0,1]
	v_pk_fma_f32 v[4:5], v[4:5], v[0:1], v[8:9] op_sel:[0,0,1] op_sel_hi:[1,0,0]
	v_mov_b32_e32 v11, v5
	v_pk_mul_f32 v[4:5], v[6:7], v[2:3] op_sel:[0,1]
	s_delay_alu instid0(VALU_DEP_1) | instskip(SKIP_1) | instid1(VALU_DEP_1)
	v_pk_fma_f32 v[8:9], v[6:7], v[0:1], v[4:5] op_sel:[0,0,1] op_sel_hi:[1,1,0] neg_lo:[0,0,1] neg_hi:[0,0,1]
	v_pk_fma_f32 v[4:5], v[6:7], v[0:1], v[4:5] op_sel:[0,0,1] op_sel_hi:[1,0,0]
	v_mov_b32_e32 v9, v5
	ds_load_2addr_b64 v[4:7], v104 offset0:11 offset1:12
	v_pk_add_f32 v[36:37], v[36:37], v[10:11] neg_lo:[0,1] neg_hi:[0,1]
	v_pk_add_f32 v[38:39], v[38:39], v[8:9] neg_lo:[0,1] neg_hi:[0,1]
	s_wait_dscnt 0x0
	v_pk_mul_f32 v[8:9], v[4:5], v[2:3] op_sel:[0,1]
	s_delay_alu instid0(VALU_DEP_1) | instskip(SKIP_1) | instid1(VALU_DEP_1)
	v_pk_fma_f32 v[10:11], v[4:5], v[0:1], v[8:9] op_sel:[0,0,1] op_sel_hi:[1,1,0] neg_lo:[0,0,1] neg_hi:[0,0,1]
	v_pk_fma_f32 v[4:5], v[4:5], v[0:1], v[8:9] op_sel:[0,0,1] op_sel_hi:[1,0,0]
	v_mov_b32_e32 v11, v5
	v_pk_mul_f32 v[4:5], v[6:7], v[2:3] op_sel:[0,1]
	s_delay_alu instid0(VALU_DEP_1) | instskip(SKIP_1) | instid1(VALU_DEP_1)
	v_pk_fma_f32 v[8:9], v[6:7], v[0:1], v[4:5] op_sel:[0,0,1] op_sel_hi:[1,1,0] neg_lo:[0,0,1] neg_hi:[0,0,1]
	v_pk_fma_f32 v[4:5], v[6:7], v[0:1], v[4:5] op_sel:[0,0,1] op_sel_hi:[1,0,0]
	v_mov_b32_e32 v9, v5
	ds_load_2addr_b64 v[4:7], v104 offset0:13 offset1:14
	v_pk_add_f32 v[34:35], v[34:35], v[10:11] neg_lo:[0,1] neg_hi:[0,1]
	v_pk_add_f32 v[58:59], v[58:59], v[8:9] neg_lo:[0,1] neg_hi:[0,1]
	s_wait_dscnt 0x0
	v_dual_mul_f32 v8, v5, v3 :: v_dual_mul_f32 v10, v5, v0
	s_delay_alu instid0(VALU_DEP_1) | instskip(NEXT) | instid1(VALU_DEP_2)
	v_pk_fma_f32 v[8:9], v[4:5], v[26:27], v[8:9] op_sel_hi:[1,1,0] neg_lo:[0,0,1] neg_hi:[0,0,1]
	v_pk_fma_f32 v[4:5], v[4:5], v[26:27], v[10:11] op_sel:[1,0,0] op_sel_hi:[0,1,0]
	s_delay_alu instid0(VALU_DEP_1) | instskip(SKIP_1) | instid1(VALU_DEP_2)
	v_mov_b32_e32 v9, v5
	v_pk_mul_f32 v[4:5], v[6:7], v[2:3] op_sel:[0,1]
	v_pk_add_f32 v[54:55], v[54:55], v[8:9] neg_lo:[0,1] neg_hi:[0,1]
	s_delay_alu instid0(VALU_DEP_2) | instskip(SKIP_1) | instid1(VALU_DEP_1)
	v_pk_fma_f32 v[8:9], v[6:7], v[0:1], v[4:5] op_sel:[0,0,1] op_sel_hi:[1,1,0] neg_lo:[0,0,1] neg_hi:[0,0,1]
	v_pk_fma_f32 v[4:5], v[6:7], v[0:1], v[4:5] op_sel:[0,0,1] op_sel_hi:[1,0,0]
	v_mov_b32_e32 v9, v5
	ds_load_2addr_b64 v[4:7], v104 offset0:15 offset1:16
	v_pk_add_f32 v[56:57], v[56:57], v[8:9] neg_lo:[0,1] neg_hi:[0,1]
	s_wait_dscnt 0x0
	v_pk_mul_f32 v[8:9], v[4:5], v[2:3] op_sel:[0,1]
	s_delay_alu instid0(VALU_DEP_1) | instskip(SKIP_1) | instid1(VALU_DEP_1)
	v_pk_fma_f32 v[10:11], v[4:5], v[0:1], v[8:9] op_sel:[0,0,1] op_sel_hi:[1,1,0] neg_lo:[0,0,1] neg_hi:[0,0,1]
	v_pk_fma_f32 v[4:5], v[4:5], v[0:1], v[8:9] op_sel:[0,0,1] op_sel_hi:[1,0,0]
	v_mov_b32_e32 v11, v5
	v_pk_mul_f32 v[4:5], v[6:7], v[2:3] op_sel:[0,1]
	s_delay_alu instid0(VALU_DEP_2) | instskip(NEXT) | instid1(VALU_DEP_2)
	v_pk_add_f32 v[52:53], v[52:53], v[10:11] neg_lo:[0,1] neg_hi:[0,1]
	v_pk_fma_f32 v[8:9], v[6:7], v[0:1], v[4:5] op_sel:[0,0,1] op_sel_hi:[1,1,0] neg_lo:[0,0,1] neg_hi:[0,0,1]
	v_pk_fma_f32 v[4:5], v[6:7], v[0:1], v[4:5] op_sel:[0,0,1] op_sel_hi:[1,0,0]
	s_delay_alu instid0(VALU_DEP_1) | instskip(SKIP_4) | instid1(VALU_DEP_1)
	v_mov_b32_e32 v9, v5
	ds_load_2addr_b64 v[4:7], v104 offset0:17 offset1:18
	v_pk_add_f32 v[76:77], v[76:77], v[8:9] neg_lo:[0,1] neg_hi:[0,1]
	s_wait_dscnt 0x0
	v_pk_mul_f32 v[8:9], v[4:5], v[2:3] op_sel:[0,1]
	v_pk_fma_f32 v[10:11], v[4:5], v[0:1], v[8:9] op_sel:[0,0,1] op_sel_hi:[1,1,0] neg_lo:[0,0,1] neg_hi:[0,0,1]
	v_pk_fma_f32 v[4:5], v[4:5], v[0:1], v[8:9] op_sel:[0,0,1] op_sel_hi:[1,0,0]
	v_dual_mul_f32 v8, v7, v3 :: v_dual_mov_b32 v4, v7
	s_delay_alu instid0(VALU_DEP_2) | instskip(NEXT) | instid1(VALU_DEP_2)
	v_dual_mov_b32 v11, v5 :: v_dual_mov_b32 v5, v6
	v_pk_fma_f32 v[8:9], v[6:7], v[26:27], v[8:9] op_sel_hi:[1,1,0] neg_lo:[0,0,1] neg_hi:[0,0,1]
	v_mul_f32_e32 v6, v7, v0
	s_delay_alu instid0(VALU_DEP_3) | instskip(NEXT) | instid1(VALU_DEP_2)
	v_pk_add_f32 v[72:73], v[72:73], v[10:11] neg_lo:[0,1] neg_hi:[0,1]
	v_pk_fma_f32 v[4:5], v[4:5], v[26:27], v[6:7] op_sel_hi:[1,1,0]
	s_delay_alu instid0(VALU_DEP_1) | instskip(SKIP_4) | instid1(VALU_DEP_1)
	v_mov_b32_e32 v9, v5
	ds_load_2addr_b64 v[4:7], v104 offset0:19 offset1:20
	v_pk_add_f32 v[74:75], v[74:75], v[8:9] neg_lo:[0,1] neg_hi:[0,1]
	s_wait_dscnt 0x0
	v_pk_mul_f32 v[8:9], v[4:5], v[2:3] op_sel:[0,1]
	v_pk_fma_f32 v[10:11], v[4:5], v[0:1], v[8:9] op_sel:[0,0,1] op_sel_hi:[1,1,0] neg_lo:[0,0,1] neg_hi:[0,0,1]
	v_pk_fma_f32 v[4:5], v[4:5], v[0:1], v[8:9] op_sel:[0,0,1] op_sel_hi:[1,0,0]
	s_delay_alu instid0(VALU_DEP_1) | instskip(SKIP_1) | instid1(VALU_DEP_1)
	v_mov_b32_e32 v11, v5
	v_pk_mul_f32 v[4:5], v[6:7], v[2:3] op_sel:[0,1]
	v_pk_fma_f32 v[8:9], v[6:7], v[0:1], v[4:5] op_sel:[0,0,1] op_sel_hi:[1,1,0] neg_lo:[0,0,1] neg_hi:[0,0,1]
	v_pk_fma_f32 v[4:5], v[6:7], v[0:1], v[4:5] op_sel:[0,0,1] op_sel_hi:[1,0,0]
	s_delay_alu instid0(VALU_DEP_1)
	v_mov_b32_e32 v9, v5
	ds_load_2addr_b64 v[4:7], v104 offset0:21 offset1:22
	v_pk_add_f32 v[70:71], v[70:71], v[10:11] neg_lo:[0,1] neg_hi:[0,1]
	v_pk_add_f32 v[94:95], v[94:95], v[8:9] neg_lo:[0,1] neg_hi:[0,1]
	s_wait_dscnt 0x0
	v_pk_mul_f32 v[8:9], v[4:5], v[2:3] op_sel:[0,1]
	s_delay_alu instid0(VALU_DEP_1) | instskip(SKIP_1) | instid1(VALU_DEP_1)
	v_pk_fma_f32 v[10:11], v[4:5], v[0:1], v[8:9] op_sel:[0,0,1] op_sel_hi:[1,1,0] neg_lo:[0,0,1] neg_hi:[0,0,1]
	v_pk_fma_f32 v[4:5], v[4:5], v[0:1], v[8:9] op_sel:[0,0,1] op_sel_hi:[1,0,0]
	v_mov_b32_e32 v11, v5
	v_pk_mul_f32 v[4:5], v[6:7], v[2:3] op_sel:[0,1]
	s_delay_alu instid0(VALU_DEP_1) | instskip(SKIP_1) | instid1(VALU_DEP_1)
	v_pk_fma_f32 v[8:9], v[6:7], v[0:1], v[4:5] op_sel:[0,0,1] op_sel_hi:[1,1,0] neg_lo:[0,0,1] neg_hi:[0,0,1]
	v_pk_fma_f32 v[4:5], v[6:7], v[0:1], v[4:5] op_sel:[0,0,1] op_sel_hi:[1,0,0]
	v_mov_b32_e32 v9, v5
	ds_load_2addr_b64 v[4:7], v104 offset0:23 offset1:24
	v_pk_add_f32 v[90:91], v[90:91], v[10:11] neg_lo:[0,1] neg_hi:[0,1]
	v_pk_add_f32 v[92:93], v[92:93], v[8:9] neg_lo:[0,1] neg_hi:[0,1]
	s_wait_dscnt 0x0
	v_dual_mul_f32 v8, v5, v3 :: v_dual_mul_f32 v10, v5, v0
	s_delay_alu instid0(VALU_DEP_1) | instskip(NEXT) | instid1(VALU_DEP_2)
	v_pk_fma_f32 v[8:9], v[4:5], v[26:27], v[8:9] op_sel_hi:[1,1,0] neg_lo:[0,0,1] neg_hi:[0,0,1]
	v_pk_fma_f32 v[4:5], v[4:5], v[26:27], v[10:11] op_sel:[1,0,0] op_sel_hi:[0,1,0]
	s_delay_alu instid0(VALU_DEP_1) | instskip(SKIP_1) | instid1(VALU_DEP_2)
	v_mov_b32_e32 v9, v5
	v_pk_mul_f32 v[4:5], v[6:7], v[2:3] op_sel:[0,1]
	v_pk_add_f32 v[88:89], v[88:89], v[8:9] neg_lo:[0,1] neg_hi:[0,1]
	s_delay_alu instid0(VALU_DEP_2) | instskip(SKIP_1) | instid1(VALU_DEP_1)
	v_pk_fma_f32 v[8:9], v[6:7], v[0:1], v[4:5] op_sel:[0,0,1] op_sel_hi:[1,1,0] neg_lo:[0,0,1] neg_hi:[0,0,1]
	v_pk_fma_f32 v[4:5], v[6:7], v[0:1], v[4:5] op_sel:[0,0,1] op_sel_hi:[1,0,0]
	v_mov_b32_e32 v9, v5
	ds_load_2addr_b64 v[4:7], v104 offset0:25 offset1:26
	v_pk_add_f32 v[112:113], v[112:113], v[8:9] neg_lo:[0,1] neg_hi:[0,1]
	s_wait_dscnt 0x0
	v_pk_mul_f32 v[8:9], v[4:5], v[2:3] op_sel:[0,1]
	s_delay_alu instid0(VALU_DEP_1) | instskip(SKIP_1) | instid1(VALU_DEP_1)
	v_pk_fma_f32 v[10:11], v[4:5], v[0:1], v[8:9] op_sel:[0,0,1] op_sel_hi:[1,1,0] neg_lo:[0,0,1] neg_hi:[0,0,1]
	v_pk_fma_f32 v[4:5], v[4:5], v[0:1], v[8:9] op_sel:[0,0,1] op_sel_hi:[1,0,0]
	v_mov_b32_e32 v11, v5
	v_pk_mul_f32 v[4:5], v[6:7], v[2:3] op_sel:[0,1]
	s_delay_alu instid0(VALU_DEP_2) | instskip(NEXT) | instid1(VALU_DEP_2)
	v_pk_add_f32 v[108:109], v[108:109], v[10:11] neg_lo:[0,1] neg_hi:[0,1]
	v_pk_fma_f32 v[8:9], v[6:7], v[0:1], v[4:5] op_sel:[0,0,1] op_sel_hi:[1,1,0] neg_lo:[0,0,1] neg_hi:[0,0,1]
	v_pk_fma_f32 v[4:5], v[6:7], v[0:1], v[4:5] op_sel:[0,0,1] op_sel_hi:[1,0,0]
	s_delay_alu instid0(VALU_DEP_1) | instskip(SKIP_4) | instid1(VALU_DEP_1)
	v_mov_b32_e32 v9, v5
	ds_load_2addr_b64 v[4:7], v104 offset0:27 offset1:28
	v_pk_add_f32 v[110:111], v[110:111], v[8:9] neg_lo:[0,1] neg_hi:[0,1]
	s_wait_dscnt 0x0
	v_pk_mul_f32 v[8:9], v[4:5], v[2:3] op_sel:[0,1]
	v_pk_fma_f32 v[10:11], v[4:5], v[0:1], v[8:9] op_sel:[0,0,1] op_sel_hi:[1,1,0] neg_lo:[0,0,1] neg_hi:[0,0,1]
	v_pk_fma_f32 v[4:5], v[4:5], v[0:1], v[8:9] op_sel:[0,0,1] op_sel_hi:[1,0,0]
	v_dual_mul_f32 v8, v7, v3 :: v_dual_mov_b32 v4, v7
	s_delay_alu instid0(VALU_DEP_2) | instskip(NEXT) | instid1(VALU_DEP_2)
	v_dual_mov_b32 v11, v5 :: v_dual_mov_b32 v5, v6
	v_pk_fma_f32 v[8:9], v[6:7], v[26:27], v[8:9] op_sel_hi:[1,1,0] neg_lo:[0,0,1] neg_hi:[0,0,1]
	v_mul_f32_e32 v6, v7, v0
	s_delay_alu instid0(VALU_DEP_3) | instskip(NEXT) | instid1(VALU_DEP_2)
	v_pk_add_f32 v[106:107], v[106:107], v[10:11] neg_lo:[0,1] neg_hi:[0,1]
	v_pk_fma_f32 v[4:5], v[4:5], v[26:27], v[6:7] op_sel_hi:[1,1,0]
	s_delay_alu instid0(VALU_DEP_1) | instskip(SKIP_4) | instid1(VALU_DEP_1)
	v_mov_b32_e32 v9, v5
	ds_load_2addr_b64 v[4:7], v104 offset0:29 offset1:30
	v_pk_add_f32 v[128:129], v[128:129], v[8:9] neg_lo:[0,1] neg_hi:[0,1]
	s_wait_dscnt 0x0
	v_pk_mul_f32 v[8:9], v[4:5], v[2:3] op_sel:[0,1]
	v_pk_fma_f32 v[10:11], v[4:5], v[0:1], v[8:9] op_sel:[0,0,1] op_sel_hi:[1,1,0] neg_lo:[0,0,1] neg_hi:[0,0,1]
	v_pk_fma_f32 v[4:5], v[4:5], v[0:1], v[8:9] op_sel:[0,0,1] op_sel_hi:[1,0,0]
	s_delay_alu instid0(VALU_DEP_1) | instskip(SKIP_1) | instid1(VALU_DEP_1)
	v_mov_b32_e32 v11, v5
	v_pk_mul_f32 v[4:5], v[6:7], v[2:3] op_sel:[0,1]
	v_pk_fma_f32 v[8:9], v[6:7], v[0:1], v[4:5] op_sel:[0,0,1] op_sel_hi:[1,1,0] neg_lo:[0,0,1] neg_hi:[0,0,1]
	v_pk_fma_f32 v[4:5], v[6:7], v[0:1], v[4:5] op_sel:[0,0,1] op_sel_hi:[1,0,0]
	s_delay_alu instid0(VALU_DEP_1)
	v_mov_b32_e32 v9, v5
	ds_load_2addr_b64 v[4:7], v104 offset0:31 offset1:32
	v_pk_add_f32 v[124:125], v[124:125], v[10:11] neg_lo:[0,1] neg_hi:[0,1]
	v_pk_add_f32 v[126:127], v[126:127], v[8:9] neg_lo:[0,1] neg_hi:[0,1]
	s_wait_dscnt 0x0
	v_pk_mul_f32 v[8:9], v[4:5], v[2:3] op_sel:[0,1]
	s_delay_alu instid0(VALU_DEP_1) | instskip(SKIP_1) | instid1(VALU_DEP_1)
	v_pk_fma_f32 v[10:11], v[4:5], v[0:1], v[8:9] op_sel:[0,0,1] op_sel_hi:[1,1,0] neg_lo:[0,0,1] neg_hi:[0,0,1]
	v_pk_fma_f32 v[4:5], v[4:5], v[0:1], v[8:9] op_sel:[0,0,1] op_sel_hi:[1,0,0]
	v_mov_b32_e32 v11, v5
	v_pk_mul_f32 v[4:5], v[6:7], v[2:3] op_sel:[0,1]
	s_delay_alu instid0(VALU_DEP_1) | instskip(SKIP_1) | instid1(VALU_DEP_1)
	v_pk_fma_f32 v[8:9], v[6:7], v[0:1], v[4:5] op_sel:[0,0,1] op_sel_hi:[1,1,0] neg_lo:[0,0,1] neg_hi:[0,0,1]
	v_pk_fma_f32 v[4:5], v[6:7], v[0:1], v[4:5] op_sel:[0,0,1] op_sel_hi:[1,0,0]
	v_mov_b32_e32 v9, v5
	ds_load_2addr_b64 v[4:7], v104 offset0:33 offset1:34
	v_pk_add_f32 v[122:123], v[122:123], v[10:11] neg_lo:[0,1] neg_hi:[0,1]
	v_pk_add_f32 v[146:147], v[146:147], v[8:9] neg_lo:[0,1] neg_hi:[0,1]
	s_wait_dscnt 0x0
	v_dual_mul_f32 v8, v5, v3 :: v_dual_mul_f32 v10, v5, v0
	s_delay_alu instid0(VALU_DEP_1) | instskip(NEXT) | instid1(VALU_DEP_2)
	v_pk_fma_f32 v[8:9], v[4:5], v[26:27], v[8:9] op_sel_hi:[1,1,0] neg_lo:[0,0,1] neg_hi:[0,0,1]
	v_pk_fma_f32 v[4:5], v[4:5], v[26:27], v[10:11] op_sel:[1,0,0] op_sel_hi:[0,1,0]
	s_delay_alu instid0(VALU_DEP_1) | instskip(SKIP_1) | instid1(VALU_DEP_2)
	v_mov_b32_e32 v9, v5
	v_pk_mul_f32 v[4:5], v[6:7], v[2:3] op_sel:[0,1]
	v_pk_add_f32 v[142:143], v[142:143], v[8:9] neg_lo:[0,1] neg_hi:[0,1]
	s_delay_alu instid0(VALU_DEP_2) | instskip(SKIP_1) | instid1(VALU_DEP_1)
	v_pk_fma_f32 v[8:9], v[6:7], v[0:1], v[4:5] op_sel:[0,0,1] op_sel_hi:[1,1,0] neg_lo:[0,0,1] neg_hi:[0,0,1]
	v_pk_fma_f32 v[4:5], v[6:7], v[0:1], v[4:5] op_sel:[0,0,1] op_sel_hi:[1,0,0]
	v_mov_b32_e32 v9, v5
	ds_load_2addr_b64 v[4:7], v104 offset0:35 offset1:36
	v_pk_add_f32 v[144:145], v[144:145], v[8:9] neg_lo:[0,1] neg_hi:[0,1]
	s_wait_dscnt 0x0
	v_pk_mul_f32 v[8:9], v[4:5], v[2:3] op_sel:[0,1]
	s_delay_alu instid0(VALU_DEP_1) | instskip(SKIP_1) | instid1(VALU_DEP_1)
	v_pk_fma_f32 v[10:11], v[4:5], v[0:1], v[8:9] op_sel:[0,0,1] op_sel_hi:[1,1,0] neg_lo:[0,0,1] neg_hi:[0,0,1]
	v_pk_fma_f32 v[4:5], v[4:5], v[0:1], v[8:9] op_sel:[0,0,1] op_sel_hi:[1,0,0]
	v_mov_b32_e32 v11, v5
	v_pk_mul_f32 v[4:5], v[6:7], v[2:3] op_sel:[0,1]
	s_delay_alu instid0(VALU_DEP_2) | instskip(NEXT) | instid1(VALU_DEP_2)
	v_pk_add_f32 v[140:141], v[140:141], v[10:11] neg_lo:[0,1] neg_hi:[0,1]
	v_pk_fma_f32 v[8:9], v[6:7], v[0:1], v[4:5] op_sel:[0,0,1] op_sel_hi:[1,1,0] neg_lo:[0,0,1] neg_hi:[0,0,1]
	v_pk_fma_f32 v[4:5], v[6:7], v[0:1], v[4:5] op_sel:[0,0,1] op_sel_hi:[1,0,0]
	s_delay_alu instid0(VALU_DEP_1) | instskip(SKIP_4) | instid1(VALU_DEP_1)
	v_mov_b32_e32 v9, v5
	ds_load_2addr_b64 v[4:7], v104 offset0:37 offset1:38
	v_pk_add_f32 v[162:163], v[162:163], v[8:9] neg_lo:[0,1] neg_hi:[0,1]
	s_wait_dscnt 0x0
	v_pk_mul_f32 v[8:9], v[4:5], v[2:3] op_sel:[0,1]
	v_pk_fma_f32 v[10:11], v[4:5], v[0:1], v[8:9] op_sel:[0,0,1] op_sel_hi:[1,1,0] neg_lo:[0,0,1] neg_hi:[0,0,1]
	v_pk_fma_f32 v[4:5], v[4:5], v[0:1], v[8:9] op_sel:[0,0,1] op_sel_hi:[1,0,0]
	v_dual_mul_f32 v8, v7, v3 :: v_dual_mov_b32 v4, v7
	s_delay_alu instid0(VALU_DEP_2) | instskip(NEXT) | instid1(VALU_DEP_2)
	v_dual_mov_b32 v11, v5 :: v_dual_mov_b32 v5, v6
	v_pk_fma_f32 v[8:9], v[6:7], v[26:27], v[8:9] op_sel_hi:[1,1,0] neg_lo:[0,0,1] neg_hi:[0,0,1]
	v_mul_f32_e32 v6, v7, v0
	s_delay_alu instid0(VALU_DEP_3) | instskip(NEXT) | instid1(VALU_DEP_2)
	v_pk_add_f32 v[158:159], v[158:159], v[10:11] neg_lo:[0,1] neg_hi:[0,1]
	v_pk_fma_f32 v[4:5], v[4:5], v[26:27], v[6:7] op_sel_hi:[1,1,0]
	s_delay_alu instid0(VALU_DEP_1) | instskip(SKIP_4) | instid1(VALU_DEP_1)
	v_mov_b32_e32 v9, v5
	ds_load_2addr_b64 v[4:7], v104 offset0:39 offset1:40
	v_pk_add_f32 v[160:161], v[160:161], v[8:9] neg_lo:[0,1] neg_hi:[0,1]
	s_wait_dscnt 0x0
	v_pk_mul_f32 v[8:9], v[4:5], v[2:3] op_sel:[0,1]
	v_pk_fma_f32 v[10:11], v[4:5], v[0:1], v[8:9] op_sel:[0,0,1] op_sel_hi:[1,1,0] neg_lo:[0,0,1] neg_hi:[0,0,1]
	v_pk_fma_f32 v[4:5], v[4:5], v[0:1], v[8:9] op_sel:[0,0,1] op_sel_hi:[1,0,0]
	s_delay_alu instid0(VALU_DEP_1) | instskip(SKIP_1) | instid1(VALU_DEP_1)
	v_mov_b32_e32 v11, v5
	v_pk_mul_f32 v[4:5], v[6:7], v[2:3] op_sel:[0,1]
	v_pk_fma_f32 v[8:9], v[6:7], v[0:1], v[4:5] op_sel:[0,0,1] op_sel_hi:[1,1,0] neg_lo:[0,0,1] neg_hi:[0,0,1]
	v_pk_fma_f32 v[4:5], v[6:7], v[0:1], v[4:5] op_sel:[0,0,1] op_sel_hi:[1,0,0]
	s_delay_alu instid0(VALU_DEP_1)
	v_mov_b32_e32 v9, v5
	ds_load_2addr_b64 v[4:7], v104 offset0:41 offset1:42
	v_pk_add_f32 v[156:157], v[156:157], v[10:11] neg_lo:[0,1] neg_hi:[0,1]
	v_pk_add_f32 v[180:181], v[180:181], v[8:9] neg_lo:[0,1] neg_hi:[0,1]
	s_wait_dscnt 0x0
	v_pk_mul_f32 v[8:9], v[4:5], v[2:3] op_sel:[0,1]
	s_delay_alu instid0(VALU_DEP_1) | instskip(SKIP_1) | instid1(VALU_DEP_1)
	v_pk_fma_f32 v[10:11], v[4:5], v[0:1], v[8:9] op_sel:[0,0,1] op_sel_hi:[1,1,0] neg_lo:[0,0,1] neg_hi:[0,0,1]
	v_pk_fma_f32 v[4:5], v[4:5], v[0:1], v[8:9] op_sel:[0,0,1] op_sel_hi:[1,0,0]
	v_mov_b32_e32 v11, v5
	v_pk_mul_f32 v[4:5], v[6:7], v[2:3] op_sel:[0,1]
	s_delay_alu instid0(VALU_DEP_1) | instskip(SKIP_1) | instid1(VALU_DEP_1)
	v_pk_fma_f32 v[8:9], v[6:7], v[0:1], v[4:5] op_sel:[0,0,1] op_sel_hi:[1,1,0] neg_lo:[0,0,1] neg_hi:[0,0,1]
	v_pk_fma_f32 v[4:5], v[6:7], v[0:1], v[4:5] op_sel:[0,0,1] op_sel_hi:[1,0,0]
	v_mov_b32_e32 v9, v5
	ds_load_2addr_b64 v[4:7], v104 offset0:43 offset1:44
	v_pk_add_f32 v[176:177], v[176:177], v[10:11] neg_lo:[0,1] neg_hi:[0,1]
	v_pk_add_f32 v[178:179], v[178:179], v[8:9] neg_lo:[0,1] neg_hi:[0,1]
	s_wait_dscnt 0x0
	v_dual_mul_f32 v8, v5, v3 :: v_dual_mul_f32 v10, v5, v0
	s_delay_alu instid0(VALU_DEP_1) | instskip(NEXT) | instid1(VALU_DEP_2)
	v_pk_fma_f32 v[8:9], v[4:5], v[26:27], v[8:9] op_sel_hi:[1,1,0] neg_lo:[0,0,1] neg_hi:[0,0,1]
	v_pk_fma_f32 v[4:5], v[4:5], v[26:27], v[10:11] op_sel:[1,0,0] op_sel_hi:[0,1,0]
	s_delay_alu instid0(VALU_DEP_1) | instskip(SKIP_1) | instid1(VALU_DEP_2)
	v_mov_b32_e32 v9, v5
	v_pk_mul_f32 v[4:5], v[6:7], v[2:3] op_sel:[0,1]
	v_pk_add_f32 v[174:175], v[174:175], v[8:9] neg_lo:[0,1] neg_hi:[0,1]
	s_delay_alu instid0(VALU_DEP_2) | instskip(SKIP_1) | instid1(VALU_DEP_1)
	v_pk_fma_f32 v[8:9], v[6:7], v[0:1], v[4:5] op_sel:[0,0,1] op_sel_hi:[1,1,0] neg_lo:[0,0,1] neg_hi:[0,0,1]
	v_pk_fma_f32 v[4:5], v[6:7], v[0:1], v[4:5] op_sel:[0,0,1] op_sel_hi:[1,0,0]
	v_mov_b32_e32 v9, v5
	ds_load_2addr_b64 v[4:7], v104 offset0:45 offset1:46
	v_pk_add_f32 v[200:201], v[200:201], v[8:9] neg_lo:[0,1] neg_hi:[0,1]
	s_wait_dscnt 0x0
	v_pk_mul_f32 v[8:9], v[4:5], v[2:3] op_sel:[0,1]
	s_delay_alu instid0(VALU_DEP_1) | instskip(SKIP_1) | instid1(VALU_DEP_1)
	v_pk_fma_f32 v[10:11], v[4:5], v[0:1], v[8:9] op_sel:[0,0,1] op_sel_hi:[1,1,0] neg_lo:[0,0,1] neg_hi:[0,0,1]
	v_pk_fma_f32 v[4:5], v[4:5], v[0:1], v[8:9] op_sel:[0,0,1] op_sel_hi:[1,0,0]
	v_mov_b32_e32 v11, v5
	v_pk_mul_f32 v[4:5], v[6:7], v[2:3] op_sel:[0,1]
	s_delay_alu instid0(VALU_DEP_2) | instskip(NEXT) | instid1(VALU_DEP_2)
	v_pk_add_f32 v[194:195], v[194:195], v[10:11] neg_lo:[0,1] neg_hi:[0,1]
	v_pk_fma_f32 v[8:9], v[6:7], v[0:1], v[4:5] op_sel:[0,0,1] op_sel_hi:[1,1,0] neg_lo:[0,0,1] neg_hi:[0,0,1]
	v_pk_fma_f32 v[4:5], v[6:7], v[0:1], v[4:5] op_sel:[0,0,1] op_sel_hi:[1,0,0]
	s_delay_alu instid0(VALU_DEP_1) | instskip(SKIP_4) | instid1(VALU_DEP_1)
	v_mov_b32_e32 v9, v5
	ds_load_2addr_b64 v[4:7], v104 offset0:47 offset1:48
	v_pk_add_f32 v[198:199], v[198:199], v[8:9] neg_lo:[0,1] neg_hi:[0,1]
	s_wait_dscnt 0x0
	v_pk_mul_f32 v[8:9], v[4:5], v[2:3] op_sel:[0,1]
	v_pk_fma_f32 v[10:11], v[4:5], v[0:1], v[8:9] op_sel:[0,0,1] op_sel_hi:[1,1,0] neg_lo:[0,0,1] neg_hi:[0,0,1]
	v_pk_fma_f32 v[4:5], v[4:5], v[0:1], v[8:9] op_sel:[0,0,1] op_sel_hi:[1,0,0]
	v_dual_mul_f32 v8, v7, v3 :: v_dual_mov_b32 v4, v7
	s_delay_alu instid0(VALU_DEP_2) | instskip(NEXT) | instid1(VALU_DEP_2)
	v_dual_mov_b32 v11, v5 :: v_dual_mov_b32 v5, v6
	v_pk_fma_f32 v[8:9], v[6:7], v[26:27], v[8:9] op_sel_hi:[1,1,0] neg_lo:[0,0,1] neg_hi:[0,0,1]
	v_mul_f32_e32 v6, v7, v0
	s_delay_alu instid0(VALU_DEP_3) | instskip(NEXT) | instid1(VALU_DEP_2)
	v_pk_add_f32 v[192:193], v[192:193], v[10:11] neg_lo:[0,1] neg_hi:[0,1]
	v_pk_fma_f32 v[4:5], v[4:5], v[26:27], v[6:7] op_sel_hi:[1,1,0]
	s_delay_alu instid0(VALU_DEP_1)
	v_mov_b32_e32 v9, v5
	ds_load_2addr_b64 v[4:7], v104 offset0:49 offset1:50
	v_pk_add_f32 v[196:197], v[196:197], v[8:9] neg_lo:[0,1] neg_hi:[0,1]
	s_wait_dscnt 0x0
	v_pk_mul_f32 v[8:9], v[4:5], v[2:3] op_sel:[0,1]
	v_pk_mul_f32 v[2:3], v[6:7], v[2:3] op_sel:[0,1]
	s_delay_alu instid0(VALU_DEP_2) | instskip(SKIP_1) | instid1(VALU_DEP_1)
	v_pk_fma_f32 v[10:11], v[4:5], v[0:1], v[8:9] op_sel:[0,0,1] op_sel_hi:[1,1,0] neg_lo:[0,0,1] neg_hi:[0,0,1]
	v_pk_fma_f32 v[4:5], v[4:5], v[0:1], v[8:9] op_sel:[0,0,1] op_sel_hi:[1,0,0]
	v_mov_b32_e32 v11, v5
	s_delay_alu instid0(VALU_DEP_4) | instskip(SKIP_1) | instid1(VALU_DEP_1)
	v_pk_fma_f32 v[4:5], v[6:7], v[0:1], v[2:3] op_sel:[0,0,1] op_sel_hi:[1,1,0] neg_lo:[0,0,1] neg_hi:[0,0,1]
	v_pk_fma_f32 v[0:1], v[6:7], v[0:1], v[2:3] op_sel:[0,0,1] op_sel_hi:[1,0,0]
	v_mov_b32_e32 v5, v1
	s_delay_alu instid0(VALU_DEP_4) | instskip(NEXT) | instid1(VALU_DEP_2)
	v_pk_add_f32 v[202:203], v[202:203], v[10:11] neg_lo:[0,1] neg_hi:[0,1]
	v_pk_add_f32 v[204:205], v[204:205], v[4:5] neg_lo:[0,1] neg_hi:[0,1]
.LBB101_46:
	s_wait_xcnt 0x0
	s_or_b32 exec_lo, exec_lo, s1
	s_delay_alu instid0(SALU_CYCLE_1)
	s_mov_b32 s2, exec_lo
	s_wait_storecnt 0x0
	s_barrier_signal -1
	s_barrier_wait -1
	v_cmpx_eq_u32_e32 5, v102
	s_cbranch_execz .LBB101_53
; %bb.47:
	v_dual_mov_b32 v0, v24 :: v_dual_mov_b32 v1, v25
	v_dual_mov_b32 v2, v20 :: v_dual_mov_b32 v3, v21
	;; [unrolled: 1-line block ×8, first 2 shown]
	ds_store_b64 v103, v[22:23]
	ds_store_2addr_b64 v104, v[0:1], v[2:3] offset0:6 offset1:7
	ds_store_2addr_b64 v104, v[4:5], v[6:7] offset0:8 offset1:9
	ds_store_2addr_b64 v104, v[8:9], v[10:11] offset0:10 offset1:11
	ds_store_2addr_b64 v104, v[12:13], v[14:15] offset0:12 offset1:13
	v_dual_mov_b32 v0, v56 :: v_dual_mov_b32 v1, v57
	v_dual_mov_b32 v2, v52 :: v_dual_mov_b32 v3, v53
	v_dual_mov_b32 v4, v76 :: v_dual_mov_b32 v5, v77
	v_dual_mov_b32 v6, v72 :: v_dual_mov_b32 v7, v73
	v_dual_mov_b32 v8, v74 :: v_dual_mov_b32 v9, v75
	v_dual_mov_b32 v10, v70 :: v_dual_mov_b32 v11, v71
	v_dual_mov_b32 v12, v94 :: v_dual_mov_b32 v13, v95
	v_dual_mov_b32 v14, v90 :: v_dual_mov_b32 v15, v91
	v_dual_mov_b32 v18, v92 :: v_dual_mov_b32 v19, v93
	v_dual_mov_b32 v28, v88 :: v_dual_mov_b32 v29, v89
	v_dual_mov_b32 v30, v112 :: v_dual_mov_b32 v31, v113
	v_dual_mov_b32 v32, v108 :: v_dual_mov_b32 v33, v109
	ds_store_2addr_b64 v104, v[0:1], v[2:3] offset0:14 offset1:15
	ds_store_2addr_b64 v104, v[4:5], v[6:7] offset0:16 offset1:17
	ds_store_2addr_b64 v104, v[8:9], v[10:11] offset0:18 offset1:19
	ds_store_2addr_b64 v104, v[12:13], v[14:15] offset0:20 offset1:21
	ds_store_2addr_b64 v104, v[18:19], v[28:29] offset0:22 offset1:23
	ds_store_2addr_b64 v104, v[30:31], v[32:33] offset0:24 offset1:25
	v_dual_mov_b32 v0, v110 :: v_dual_mov_b32 v1, v111
	v_dual_mov_b32 v2, v106 :: v_dual_mov_b32 v3, v107
	v_dual_mov_b32 v4, v128 :: v_dual_mov_b32 v5, v129
	v_dual_mov_b32 v6, v124 :: v_dual_mov_b32 v7, v125
	v_dual_mov_b32 v8, v126 :: v_dual_mov_b32 v9, v127
	v_dual_mov_b32 v10, v122 :: v_dual_mov_b32 v11, v123
	v_dual_mov_b32 v12, v146 :: v_dual_mov_b32 v13, v147
	v_dual_mov_b32 v14, v142 :: v_dual_mov_b32 v15, v143
	v_dual_mov_b32 v18, v144 :: v_dual_mov_b32 v19, v145
	v_dual_mov_b32 v28, v140 :: v_dual_mov_b32 v29, v141
	v_dual_mov_b32 v30, v162 :: v_dual_mov_b32 v31, v163
	v_dual_mov_b32 v32, v158 :: v_dual_mov_b32 v33, v159
	ds_store_2addr_b64 v104, v[0:1], v[2:3] offset0:26 offset1:27
	ds_store_2addr_b64 v104, v[4:5], v[6:7] offset0:28 offset1:29
	;; [unrolled: 18-line block ×3, first 2 shown]
	ds_store_2addr_b64 v104, v[8:9], v[10:11] offset0:42 offset1:43
	ds_store_2addr_b64 v104, v[12:13], v[14:15] offset0:44 offset1:45
	;; [unrolled: 1-line block ×4, first 2 shown]
	ds_store_b64 v104, v[204:205] offset:400
	ds_load_b64 v[0:1], v103
	s_wait_dscnt 0x0
	v_cmp_neq_f32_e32 vcc_lo, 0, v0
	v_cmp_neq_f32_e64 s1, 0, v1
	s_or_b32 s1, vcc_lo, s1
	s_delay_alu instid0(SALU_CYCLE_1)
	s_and_b32 exec_lo, exec_lo, s1
	s_cbranch_execz .LBB101_53
; %bb.48:
	v_cmp_ngt_f32_e64 s1, |v0|, |v1|
                                        ; implicit-def: $vgpr2_vgpr3
	s_and_saveexec_b32 s4, s1
	s_delay_alu instid0(SALU_CYCLE_1)
	s_xor_b32 s1, exec_lo, s4
	s_cbranch_execz .LBB101_50
; %bb.49:
	v_div_scale_f32 v2, null, v1, v1, v0
	v_div_scale_f32 v5, vcc_lo, v0, v1, v0
	s_delay_alu instid0(VALU_DEP_2) | instskip(SKIP_1) | instid1(TRANS32_DEP_1)
	v_rcp_f32_e32 v3, v2
	v_nop
	v_fma_f32 v4, -v2, v3, 1.0
	s_delay_alu instid0(VALU_DEP_1) | instskip(NEXT) | instid1(VALU_DEP_1)
	v_fmac_f32_e32 v3, v4, v3
	v_mul_f32_e32 v4, v5, v3
	s_delay_alu instid0(VALU_DEP_1) | instskip(NEXT) | instid1(VALU_DEP_1)
	v_fma_f32 v6, -v2, v4, v5
	v_fmac_f32_e32 v4, v6, v3
	s_delay_alu instid0(VALU_DEP_1) | instskip(NEXT) | instid1(VALU_DEP_1)
	v_fma_f32 v2, -v2, v4, v5
	v_div_fmas_f32 v2, v2, v3, v4
	s_delay_alu instid0(VALU_DEP_1) | instskip(NEXT) | instid1(VALU_DEP_1)
	v_div_fixup_f32 v2, v2, v1, v0
	v_fmac_f32_e32 v1, v0, v2
	s_delay_alu instid0(VALU_DEP_1) | instskip(SKIP_1) | instid1(VALU_DEP_2)
	v_div_scale_f32 v0, null, v1, v1, 1.0
	v_div_scale_f32 v5, vcc_lo, 1.0, v1, 1.0
	v_rcp_f32_e32 v3, v0
	v_nop
	s_delay_alu instid0(TRANS32_DEP_1) | instskip(NEXT) | instid1(VALU_DEP_1)
	v_fma_f32 v4, -v0, v3, 1.0
	v_fmac_f32_e32 v3, v4, v3
	s_delay_alu instid0(VALU_DEP_1) | instskip(NEXT) | instid1(VALU_DEP_1)
	v_mul_f32_e32 v4, v5, v3
	v_fma_f32 v6, -v0, v4, v5
	s_delay_alu instid0(VALU_DEP_1) | instskip(NEXT) | instid1(VALU_DEP_1)
	v_fmac_f32_e32 v4, v6, v3
	v_fma_f32 v0, -v0, v4, v5
	s_delay_alu instid0(VALU_DEP_1) | instskip(NEXT) | instid1(VALU_DEP_1)
	v_div_fmas_f32 v0, v0, v3, v4
	v_div_fixup_f32 v0, v0, v1, 1.0
	s_delay_alu instid0(VALU_DEP_1)
	v_mul_f32_e32 v2, v2, v0
	v_xor_b32_e32 v3, 0x80000000, v0
                                        ; implicit-def: $vgpr0_vgpr1
.LBB101_50:
	s_and_not1_saveexec_b32 s1, s1
	s_cbranch_execz .LBB101_52
; %bb.51:
	v_div_scale_f32 v2, null, v0, v0, v1
	v_div_scale_f32 v5, vcc_lo, v1, v0, v1
	s_delay_alu instid0(VALU_DEP_2) | instskip(SKIP_1) | instid1(TRANS32_DEP_1)
	v_rcp_f32_e32 v3, v2
	v_nop
	v_fma_f32 v4, -v2, v3, 1.0
	s_delay_alu instid0(VALU_DEP_1) | instskip(NEXT) | instid1(VALU_DEP_1)
	v_fmac_f32_e32 v3, v4, v3
	v_mul_f32_e32 v4, v5, v3
	s_delay_alu instid0(VALU_DEP_1) | instskip(NEXT) | instid1(VALU_DEP_1)
	v_fma_f32 v6, -v2, v4, v5
	v_fmac_f32_e32 v4, v6, v3
	s_delay_alu instid0(VALU_DEP_1) | instskip(NEXT) | instid1(VALU_DEP_1)
	v_fma_f32 v2, -v2, v4, v5
	v_div_fmas_f32 v2, v2, v3, v4
	s_delay_alu instid0(VALU_DEP_1) | instskip(NEXT) | instid1(VALU_DEP_1)
	v_div_fixup_f32 v3, v2, v0, v1
	v_fmac_f32_e32 v0, v1, v3
	s_delay_alu instid0(VALU_DEP_1) | instskip(NEXT) | instid1(VALU_DEP_1)
	v_div_scale_f32 v1, null, v0, v0, 1.0
	v_rcp_f32_e32 v2, v1
	v_nop
	s_delay_alu instid0(TRANS32_DEP_1) | instskip(NEXT) | instid1(VALU_DEP_1)
	v_fma_f32 v4, -v1, v2, 1.0
	v_fmac_f32_e32 v2, v4, v2
	v_div_scale_f32 v4, vcc_lo, 1.0, v0, 1.0
	s_delay_alu instid0(VALU_DEP_1) | instskip(NEXT) | instid1(VALU_DEP_1)
	v_mul_f32_e32 v5, v4, v2
	v_fma_f32 v6, -v1, v5, v4
	s_delay_alu instid0(VALU_DEP_1) | instskip(NEXT) | instid1(VALU_DEP_1)
	v_fmac_f32_e32 v5, v6, v2
	v_fma_f32 v1, -v1, v5, v4
	s_delay_alu instid0(VALU_DEP_1) | instskip(NEXT) | instid1(VALU_DEP_1)
	v_div_fmas_f32 v1, v1, v2, v5
	v_div_fixup_f32 v2, v1, v0, 1.0
	s_delay_alu instid0(VALU_DEP_1)
	v_mul_f32_e64 v3, v3, -v2
.LBB101_52:
	s_or_b32 exec_lo, exec_lo, s1
	ds_store_b64 v103, v[2:3]
.LBB101_53:
	s_or_b32 exec_lo, exec_lo, s2
	s_wait_dscnt 0x0
	s_barrier_signal -1
	s_barrier_wait -1
	ds_load_b64 v[0:1], v103
	s_mov_b32 s1, exec_lo
	s_wait_dscnt 0x0
	scratch_store_b64 off, v[0:1], off offset:88 ; 8-byte Folded Spill
	s_wait_xcnt 0x0
	v_cmpx_lt_u32_e32 5, v102
	s_cbranch_execz .LBB101_55
; %bb.54:
	scratch_load_b64 v[4:5], off, off offset:88 ; 8-byte Folded Reload
	s_wait_loadcnt 0x0
	v_pk_mul_f32 v[2:3], v[4:5], v[22:23] op_sel:[1,1] op_sel_hi:[0,1]
	s_delay_alu instid0(VALU_DEP_1)
	v_pk_fma_f32 v[0:1], v[4:5], v[22:23], v[2:3] op_sel_hi:[1,0,1] neg_lo:[0,0,1] neg_hi:[0,0,1]
	v_pk_fma_f32 v[2:3], v[4:5], v[22:23], v[2:3] op_sel_hi:[1,0,1]
	ds_load_2addr_b64 v[4:7], v104 offset0:6 offset1:7
	v_dual_mov_b32 v22, v0 :: v_dual_mov_b32 v23, v3
	s_wait_dscnt 0x0
	v_pk_mul_f32 v[8:9], v[4:5], v[2:3] op_sel:[0,1]
	s_delay_alu instid0(VALU_DEP_1) | instskip(SKIP_1) | instid1(VALU_DEP_1)
	v_pk_fma_f32 v[10:11], v[4:5], v[0:1], v[8:9] op_sel:[0,0,1] op_sel_hi:[1,1,0] neg_lo:[0,0,1] neg_hi:[0,0,1]
	v_pk_fma_f32 v[4:5], v[4:5], v[0:1], v[8:9] op_sel:[0,0,1] op_sel_hi:[1,0,0]
	v_mov_b32_e32 v11, v5
	v_pk_mul_f32 v[4:5], v[6:7], v[2:3] op_sel:[0,1]
	s_delay_alu instid0(VALU_DEP_1) | instskip(SKIP_1) | instid1(VALU_DEP_1)
	v_pk_fma_f32 v[8:9], v[6:7], v[0:1], v[4:5] op_sel:[0,0,1] op_sel_hi:[1,1,0] neg_lo:[0,0,1] neg_hi:[0,0,1]
	v_pk_fma_f32 v[4:5], v[6:7], v[0:1], v[4:5] op_sel:[0,0,1] op_sel_hi:[1,0,0]
	v_mov_b32_e32 v9, v5
	ds_load_2addr_b64 v[4:7], v104 offset0:8 offset1:9
	v_pk_add_f32 v[24:25], v[24:25], v[10:11] neg_lo:[0,1] neg_hi:[0,1]
	v_pk_add_f32 v[20:21], v[20:21], v[8:9] neg_lo:[0,1] neg_hi:[0,1]
	s_wait_dscnt 0x0
	v_pk_mul_f32 v[8:9], v[4:5], v[2:3] op_sel:[0,1]
	s_delay_alu instid0(VALU_DEP_1) | instskip(SKIP_2) | instid1(VALU_DEP_2)
	v_pk_fma_f32 v[10:11], v[4:5], v[0:1], v[8:9] op_sel:[0,0,1] op_sel_hi:[1,1,0] neg_lo:[0,0,1] neg_hi:[0,0,1]
	v_pk_fma_f32 v[4:5], v[4:5], v[0:1], v[8:9] op_sel:[0,0,1] op_sel_hi:[1,0,0]
	v_dual_mul_f32 v8, v7, v3 :: v_dual_mov_b32 v4, v7
	v_dual_mov_b32 v11, v5 :: v_dual_mov_b32 v5, v6
	s_delay_alu instid0(VALU_DEP_2) | instskip(SKIP_1) | instid1(VALU_DEP_3)
	v_pk_fma_f32 v[8:9], v[6:7], v[22:23], v[8:9] op_sel_hi:[1,1,0] neg_lo:[0,0,1] neg_hi:[0,0,1]
	v_mul_f32_e32 v6, v7, v0
	v_pk_add_f32 v[40:41], v[40:41], v[10:11] neg_lo:[0,1] neg_hi:[0,1]
	s_delay_alu instid0(VALU_DEP_2) | instskip(NEXT) | instid1(VALU_DEP_1)
	v_pk_fma_f32 v[4:5], v[4:5], v[22:23], v[6:7] op_sel_hi:[1,1,0]
	v_mov_b32_e32 v9, v5
	ds_load_2addr_b64 v[4:7], v104 offset0:10 offset1:11
	v_pk_add_f32 v[36:37], v[36:37], v[8:9] neg_lo:[0,1] neg_hi:[0,1]
	s_wait_dscnt 0x0
	v_pk_mul_f32 v[8:9], v[4:5], v[2:3] op_sel:[0,1]
	s_delay_alu instid0(VALU_DEP_1) | instskip(SKIP_1) | instid1(VALU_DEP_1)
	v_pk_fma_f32 v[10:11], v[4:5], v[0:1], v[8:9] op_sel:[0,0,1] op_sel_hi:[1,1,0] neg_lo:[0,0,1] neg_hi:[0,0,1]
	v_pk_fma_f32 v[4:5], v[4:5], v[0:1], v[8:9] op_sel:[0,0,1] op_sel_hi:[1,0,0]
	v_mov_b32_e32 v11, v5
	v_pk_mul_f32 v[4:5], v[6:7], v[2:3] op_sel:[0,1]
	s_delay_alu instid0(VALU_DEP_1) | instskip(SKIP_1) | instid1(VALU_DEP_1)
	v_pk_fma_f32 v[8:9], v[6:7], v[0:1], v[4:5] op_sel:[0,0,1] op_sel_hi:[1,1,0] neg_lo:[0,0,1] neg_hi:[0,0,1]
	v_pk_fma_f32 v[4:5], v[6:7], v[0:1], v[4:5] op_sel:[0,0,1] op_sel_hi:[1,0,0]
	v_mov_b32_e32 v9, v5
	ds_load_2addr_b64 v[4:7], v104 offset0:12 offset1:13
	v_pk_add_f32 v[38:39], v[38:39], v[10:11] neg_lo:[0,1] neg_hi:[0,1]
	v_pk_add_f32 v[34:35], v[34:35], v[8:9] neg_lo:[0,1] neg_hi:[0,1]
	s_wait_dscnt 0x0
	v_pk_mul_f32 v[8:9], v[4:5], v[2:3] op_sel:[0,1]
	s_delay_alu instid0(VALU_DEP_1) | instskip(SKIP_1) | instid1(VALU_DEP_1)
	v_pk_fma_f32 v[10:11], v[4:5], v[0:1], v[8:9] op_sel:[0,0,1] op_sel_hi:[1,1,0] neg_lo:[0,0,1] neg_hi:[0,0,1]
	v_pk_fma_f32 v[4:5], v[4:5], v[0:1], v[8:9] op_sel:[0,0,1] op_sel_hi:[1,0,0]
	v_mov_b32_e32 v11, v5
	v_pk_mul_f32 v[4:5], v[6:7], v[2:3] op_sel:[0,1]
	s_delay_alu instid0(VALU_DEP_1) | instskip(SKIP_1) | instid1(VALU_DEP_1)
	v_pk_fma_f32 v[8:9], v[6:7], v[0:1], v[4:5] op_sel:[0,0,1] op_sel_hi:[1,1,0] neg_lo:[0,0,1] neg_hi:[0,0,1]
	v_pk_fma_f32 v[4:5], v[6:7], v[0:1], v[4:5] op_sel:[0,0,1] op_sel_hi:[1,0,0]
	v_mov_b32_e32 v9, v5
	ds_load_2addr_b64 v[4:7], v104 offset0:14 offset1:15
	v_pk_add_f32 v[58:59], v[58:59], v[10:11] neg_lo:[0,1] neg_hi:[0,1]
	v_pk_add_f32 v[54:55], v[54:55], v[8:9] neg_lo:[0,1] neg_hi:[0,1]
	s_wait_dscnt 0x0
	v_dual_mul_f32 v8, v5, v3 :: v_dual_mul_f32 v10, v5, v0
	s_delay_alu instid0(VALU_DEP_1) | instskip(NEXT) | instid1(VALU_DEP_2)
	v_pk_fma_f32 v[8:9], v[4:5], v[22:23], v[8:9] op_sel_hi:[1,1,0] neg_lo:[0,0,1] neg_hi:[0,0,1]
	v_pk_fma_f32 v[4:5], v[4:5], v[22:23], v[10:11] op_sel:[1,0,0] op_sel_hi:[0,1,0]
	s_delay_alu instid0(VALU_DEP_1) | instskip(SKIP_1) | instid1(VALU_DEP_2)
	v_mov_b32_e32 v9, v5
	v_pk_mul_f32 v[4:5], v[6:7], v[2:3] op_sel:[0,1]
	v_pk_add_f32 v[56:57], v[56:57], v[8:9] neg_lo:[0,1] neg_hi:[0,1]
	s_delay_alu instid0(VALU_DEP_2) | instskip(SKIP_1) | instid1(VALU_DEP_1)
	v_pk_fma_f32 v[8:9], v[6:7], v[0:1], v[4:5] op_sel:[0,0,1] op_sel_hi:[1,1,0] neg_lo:[0,0,1] neg_hi:[0,0,1]
	v_pk_fma_f32 v[4:5], v[6:7], v[0:1], v[4:5] op_sel:[0,0,1] op_sel_hi:[1,0,0]
	v_mov_b32_e32 v9, v5
	ds_load_2addr_b64 v[4:7], v104 offset0:16 offset1:17
	v_pk_add_f32 v[52:53], v[52:53], v[8:9] neg_lo:[0,1] neg_hi:[0,1]
	s_wait_dscnt 0x0
	v_pk_mul_f32 v[8:9], v[4:5], v[2:3] op_sel:[0,1]
	s_delay_alu instid0(VALU_DEP_1) | instskip(SKIP_1) | instid1(VALU_DEP_1)
	v_pk_fma_f32 v[10:11], v[4:5], v[0:1], v[8:9] op_sel:[0,0,1] op_sel_hi:[1,1,0] neg_lo:[0,0,1] neg_hi:[0,0,1]
	v_pk_fma_f32 v[4:5], v[4:5], v[0:1], v[8:9] op_sel:[0,0,1] op_sel_hi:[1,0,0]
	v_mov_b32_e32 v11, v5
	v_pk_mul_f32 v[4:5], v[6:7], v[2:3] op_sel:[0,1]
	s_delay_alu instid0(VALU_DEP_2) | instskip(NEXT) | instid1(VALU_DEP_2)
	v_pk_add_f32 v[76:77], v[76:77], v[10:11] neg_lo:[0,1] neg_hi:[0,1]
	v_pk_fma_f32 v[8:9], v[6:7], v[0:1], v[4:5] op_sel:[0,0,1] op_sel_hi:[1,1,0] neg_lo:[0,0,1] neg_hi:[0,0,1]
	v_pk_fma_f32 v[4:5], v[6:7], v[0:1], v[4:5] op_sel:[0,0,1] op_sel_hi:[1,0,0]
	s_delay_alu instid0(VALU_DEP_1) | instskip(SKIP_4) | instid1(VALU_DEP_1)
	v_mov_b32_e32 v9, v5
	ds_load_2addr_b64 v[4:7], v104 offset0:18 offset1:19
	v_pk_add_f32 v[72:73], v[72:73], v[8:9] neg_lo:[0,1] neg_hi:[0,1]
	s_wait_dscnt 0x0
	v_pk_mul_f32 v[8:9], v[4:5], v[2:3] op_sel:[0,1]
	v_pk_fma_f32 v[10:11], v[4:5], v[0:1], v[8:9] op_sel:[0,0,1] op_sel_hi:[1,1,0] neg_lo:[0,0,1] neg_hi:[0,0,1]
	v_pk_fma_f32 v[4:5], v[4:5], v[0:1], v[8:9] op_sel:[0,0,1] op_sel_hi:[1,0,0]
	v_dual_mul_f32 v8, v7, v3 :: v_dual_mov_b32 v4, v7
	s_delay_alu instid0(VALU_DEP_2) | instskip(NEXT) | instid1(VALU_DEP_2)
	v_dual_mov_b32 v11, v5 :: v_dual_mov_b32 v5, v6
	v_pk_fma_f32 v[8:9], v[6:7], v[22:23], v[8:9] op_sel_hi:[1,1,0] neg_lo:[0,0,1] neg_hi:[0,0,1]
	v_mul_f32_e32 v6, v7, v0
	s_delay_alu instid0(VALU_DEP_3) | instskip(NEXT) | instid1(VALU_DEP_2)
	v_pk_add_f32 v[74:75], v[74:75], v[10:11] neg_lo:[0,1] neg_hi:[0,1]
	v_pk_fma_f32 v[4:5], v[4:5], v[22:23], v[6:7] op_sel_hi:[1,1,0]
	s_delay_alu instid0(VALU_DEP_1) | instskip(SKIP_4) | instid1(VALU_DEP_1)
	v_mov_b32_e32 v9, v5
	ds_load_2addr_b64 v[4:7], v104 offset0:20 offset1:21
	v_pk_add_f32 v[70:71], v[70:71], v[8:9] neg_lo:[0,1] neg_hi:[0,1]
	s_wait_dscnt 0x0
	v_pk_mul_f32 v[8:9], v[4:5], v[2:3] op_sel:[0,1]
	v_pk_fma_f32 v[10:11], v[4:5], v[0:1], v[8:9] op_sel:[0,0,1] op_sel_hi:[1,1,0] neg_lo:[0,0,1] neg_hi:[0,0,1]
	v_pk_fma_f32 v[4:5], v[4:5], v[0:1], v[8:9] op_sel:[0,0,1] op_sel_hi:[1,0,0]
	s_delay_alu instid0(VALU_DEP_1) | instskip(SKIP_1) | instid1(VALU_DEP_1)
	v_mov_b32_e32 v11, v5
	v_pk_mul_f32 v[4:5], v[6:7], v[2:3] op_sel:[0,1]
	v_pk_fma_f32 v[8:9], v[6:7], v[0:1], v[4:5] op_sel:[0,0,1] op_sel_hi:[1,1,0] neg_lo:[0,0,1] neg_hi:[0,0,1]
	v_pk_fma_f32 v[4:5], v[6:7], v[0:1], v[4:5] op_sel:[0,0,1] op_sel_hi:[1,0,0]
	s_delay_alu instid0(VALU_DEP_1)
	v_mov_b32_e32 v9, v5
	ds_load_2addr_b64 v[4:7], v104 offset0:22 offset1:23
	v_pk_add_f32 v[94:95], v[94:95], v[10:11] neg_lo:[0,1] neg_hi:[0,1]
	v_pk_add_f32 v[90:91], v[90:91], v[8:9] neg_lo:[0,1] neg_hi:[0,1]
	s_wait_dscnt 0x0
	v_pk_mul_f32 v[8:9], v[4:5], v[2:3] op_sel:[0,1]
	s_delay_alu instid0(VALU_DEP_1) | instskip(SKIP_1) | instid1(VALU_DEP_1)
	v_pk_fma_f32 v[10:11], v[4:5], v[0:1], v[8:9] op_sel:[0,0,1] op_sel_hi:[1,1,0] neg_lo:[0,0,1] neg_hi:[0,0,1]
	v_pk_fma_f32 v[4:5], v[4:5], v[0:1], v[8:9] op_sel:[0,0,1] op_sel_hi:[1,0,0]
	v_mov_b32_e32 v11, v5
	v_pk_mul_f32 v[4:5], v[6:7], v[2:3] op_sel:[0,1]
	s_delay_alu instid0(VALU_DEP_1) | instskip(SKIP_1) | instid1(VALU_DEP_1)
	v_pk_fma_f32 v[8:9], v[6:7], v[0:1], v[4:5] op_sel:[0,0,1] op_sel_hi:[1,1,0] neg_lo:[0,0,1] neg_hi:[0,0,1]
	v_pk_fma_f32 v[4:5], v[6:7], v[0:1], v[4:5] op_sel:[0,0,1] op_sel_hi:[1,0,0]
	v_mov_b32_e32 v9, v5
	ds_load_2addr_b64 v[4:7], v104 offset0:24 offset1:25
	v_pk_add_f32 v[92:93], v[92:93], v[10:11] neg_lo:[0,1] neg_hi:[0,1]
	v_pk_add_f32 v[88:89], v[88:89], v[8:9] neg_lo:[0,1] neg_hi:[0,1]
	s_wait_dscnt 0x0
	v_dual_mul_f32 v8, v5, v3 :: v_dual_mul_f32 v10, v5, v0
	s_delay_alu instid0(VALU_DEP_1) | instskip(NEXT) | instid1(VALU_DEP_2)
	v_pk_fma_f32 v[8:9], v[4:5], v[22:23], v[8:9] op_sel_hi:[1,1,0] neg_lo:[0,0,1] neg_hi:[0,0,1]
	v_pk_fma_f32 v[4:5], v[4:5], v[22:23], v[10:11] op_sel:[1,0,0] op_sel_hi:[0,1,0]
	s_delay_alu instid0(VALU_DEP_1) | instskip(SKIP_1) | instid1(VALU_DEP_2)
	v_mov_b32_e32 v9, v5
	v_pk_mul_f32 v[4:5], v[6:7], v[2:3] op_sel:[0,1]
	v_pk_add_f32 v[112:113], v[112:113], v[8:9] neg_lo:[0,1] neg_hi:[0,1]
	s_delay_alu instid0(VALU_DEP_2) | instskip(SKIP_1) | instid1(VALU_DEP_1)
	v_pk_fma_f32 v[8:9], v[6:7], v[0:1], v[4:5] op_sel:[0,0,1] op_sel_hi:[1,1,0] neg_lo:[0,0,1] neg_hi:[0,0,1]
	v_pk_fma_f32 v[4:5], v[6:7], v[0:1], v[4:5] op_sel:[0,0,1] op_sel_hi:[1,0,0]
	v_mov_b32_e32 v9, v5
	ds_load_2addr_b64 v[4:7], v104 offset0:26 offset1:27
	v_pk_add_f32 v[108:109], v[108:109], v[8:9] neg_lo:[0,1] neg_hi:[0,1]
	s_wait_dscnt 0x0
	v_pk_mul_f32 v[8:9], v[4:5], v[2:3] op_sel:[0,1]
	s_delay_alu instid0(VALU_DEP_1) | instskip(SKIP_1) | instid1(VALU_DEP_1)
	v_pk_fma_f32 v[10:11], v[4:5], v[0:1], v[8:9] op_sel:[0,0,1] op_sel_hi:[1,1,0] neg_lo:[0,0,1] neg_hi:[0,0,1]
	v_pk_fma_f32 v[4:5], v[4:5], v[0:1], v[8:9] op_sel:[0,0,1] op_sel_hi:[1,0,0]
	v_mov_b32_e32 v11, v5
	v_pk_mul_f32 v[4:5], v[6:7], v[2:3] op_sel:[0,1]
	s_delay_alu instid0(VALU_DEP_2) | instskip(NEXT) | instid1(VALU_DEP_2)
	v_pk_add_f32 v[110:111], v[110:111], v[10:11] neg_lo:[0,1] neg_hi:[0,1]
	v_pk_fma_f32 v[8:9], v[6:7], v[0:1], v[4:5] op_sel:[0,0,1] op_sel_hi:[1,1,0] neg_lo:[0,0,1] neg_hi:[0,0,1]
	v_pk_fma_f32 v[4:5], v[6:7], v[0:1], v[4:5] op_sel:[0,0,1] op_sel_hi:[1,0,0]
	s_delay_alu instid0(VALU_DEP_1) | instskip(SKIP_4) | instid1(VALU_DEP_1)
	v_mov_b32_e32 v9, v5
	ds_load_2addr_b64 v[4:7], v104 offset0:28 offset1:29
	v_pk_add_f32 v[106:107], v[106:107], v[8:9] neg_lo:[0,1] neg_hi:[0,1]
	s_wait_dscnt 0x0
	v_pk_mul_f32 v[8:9], v[4:5], v[2:3] op_sel:[0,1]
	v_pk_fma_f32 v[10:11], v[4:5], v[0:1], v[8:9] op_sel:[0,0,1] op_sel_hi:[1,1,0] neg_lo:[0,0,1] neg_hi:[0,0,1]
	v_pk_fma_f32 v[4:5], v[4:5], v[0:1], v[8:9] op_sel:[0,0,1] op_sel_hi:[1,0,0]
	v_dual_mul_f32 v8, v7, v3 :: v_dual_mov_b32 v4, v7
	s_delay_alu instid0(VALU_DEP_2) | instskip(NEXT) | instid1(VALU_DEP_2)
	v_dual_mov_b32 v11, v5 :: v_dual_mov_b32 v5, v6
	v_pk_fma_f32 v[8:9], v[6:7], v[22:23], v[8:9] op_sel_hi:[1,1,0] neg_lo:[0,0,1] neg_hi:[0,0,1]
	v_mul_f32_e32 v6, v7, v0
	s_delay_alu instid0(VALU_DEP_3) | instskip(NEXT) | instid1(VALU_DEP_2)
	v_pk_add_f32 v[128:129], v[128:129], v[10:11] neg_lo:[0,1] neg_hi:[0,1]
	v_pk_fma_f32 v[4:5], v[4:5], v[22:23], v[6:7] op_sel_hi:[1,1,0]
	s_delay_alu instid0(VALU_DEP_1) | instskip(SKIP_4) | instid1(VALU_DEP_1)
	v_mov_b32_e32 v9, v5
	ds_load_2addr_b64 v[4:7], v104 offset0:30 offset1:31
	v_pk_add_f32 v[124:125], v[124:125], v[8:9] neg_lo:[0,1] neg_hi:[0,1]
	s_wait_dscnt 0x0
	v_pk_mul_f32 v[8:9], v[4:5], v[2:3] op_sel:[0,1]
	v_pk_fma_f32 v[10:11], v[4:5], v[0:1], v[8:9] op_sel:[0,0,1] op_sel_hi:[1,1,0] neg_lo:[0,0,1] neg_hi:[0,0,1]
	v_pk_fma_f32 v[4:5], v[4:5], v[0:1], v[8:9] op_sel:[0,0,1] op_sel_hi:[1,0,0]
	s_delay_alu instid0(VALU_DEP_1) | instskip(SKIP_1) | instid1(VALU_DEP_1)
	v_mov_b32_e32 v11, v5
	v_pk_mul_f32 v[4:5], v[6:7], v[2:3] op_sel:[0,1]
	v_pk_fma_f32 v[8:9], v[6:7], v[0:1], v[4:5] op_sel:[0,0,1] op_sel_hi:[1,1,0] neg_lo:[0,0,1] neg_hi:[0,0,1]
	v_pk_fma_f32 v[4:5], v[6:7], v[0:1], v[4:5] op_sel:[0,0,1] op_sel_hi:[1,0,0]
	s_delay_alu instid0(VALU_DEP_1)
	v_mov_b32_e32 v9, v5
	ds_load_2addr_b64 v[4:7], v104 offset0:32 offset1:33
	v_pk_add_f32 v[126:127], v[126:127], v[10:11] neg_lo:[0,1] neg_hi:[0,1]
	v_pk_add_f32 v[122:123], v[122:123], v[8:9] neg_lo:[0,1] neg_hi:[0,1]
	s_wait_dscnt 0x0
	v_pk_mul_f32 v[8:9], v[4:5], v[2:3] op_sel:[0,1]
	s_delay_alu instid0(VALU_DEP_1) | instskip(SKIP_1) | instid1(VALU_DEP_1)
	v_pk_fma_f32 v[10:11], v[4:5], v[0:1], v[8:9] op_sel:[0,0,1] op_sel_hi:[1,1,0] neg_lo:[0,0,1] neg_hi:[0,0,1]
	v_pk_fma_f32 v[4:5], v[4:5], v[0:1], v[8:9] op_sel:[0,0,1] op_sel_hi:[1,0,0]
	v_mov_b32_e32 v11, v5
	v_pk_mul_f32 v[4:5], v[6:7], v[2:3] op_sel:[0,1]
	s_delay_alu instid0(VALU_DEP_1) | instskip(SKIP_1) | instid1(VALU_DEP_1)
	v_pk_fma_f32 v[8:9], v[6:7], v[0:1], v[4:5] op_sel:[0,0,1] op_sel_hi:[1,1,0] neg_lo:[0,0,1] neg_hi:[0,0,1]
	v_pk_fma_f32 v[4:5], v[6:7], v[0:1], v[4:5] op_sel:[0,0,1] op_sel_hi:[1,0,0]
	v_mov_b32_e32 v9, v5
	ds_load_2addr_b64 v[4:7], v104 offset0:34 offset1:35
	v_pk_add_f32 v[146:147], v[146:147], v[10:11] neg_lo:[0,1] neg_hi:[0,1]
	v_pk_add_f32 v[142:143], v[142:143], v[8:9] neg_lo:[0,1] neg_hi:[0,1]
	s_wait_dscnt 0x0
	v_dual_mul_f32 v8, v5, v3 :: v_dual_mul_f32 v10, v5, v0
	s_delay_alu instid0(VALU_DEP_1) | instskip(NEXT) | instid1(VALU_DEP_2)
	v_pk_fma_f32 v[8:9], v[4:5], v[22:23], v[8:9] op_sel_hi:[1,1,0] neg_lo:[0,0,1] neg_hi:[0,0,1]
	v_pk_fma_f32 v[4:5], v[4:5], v[22:23], v[10:11] op_sel:[1,0,0] op_sel_hi:[0,1,0]
	s_delay_alu instid0(VALU_DEP_1) | instskip(SKIP_1) | instid1(VALU_DEP_2)
	v_mov_b32_e32 v9, v5
	v_pk_mul_f32 v[4:5], v[6:7], v[2:3] op_sel:[0,1]
	v_pk_add_f32 v[144:145], v[144:145], v[8:9] neg_lo:[0,1] neg_hi:[0,1]
	s_delay_alu instid0(VALU_DEP_2) | instskip(SKIP_1) | instid1(VALU_DEP_1)
	v_pk_fma_f32 v[8:9], v[6:7], v[0:1], v[4:5] op_sel:[0,0,1] op_sel_hi:[1,1,0] neg_lo:[0,0,1] neg_hi:[0,0,1]
	v_pk_fma_f32 v[4:5], v[6:7], v[0:1], v[4:5] op_sel:[0,0,1] op_sel_hi:[1,0,0]
	v_mov_b32_e32 v9, v5
	ds_load_2addr_b64 v[4:7], v104 offset0:36 offset1:37
	v_pk_add_f32 v[140:141], v[140:141], v[8:9] neg_lo:[0,1] neg_hi:[0,1]
	s_wait_dscnt 0x0
	v_pk_mul_f32 v[8:9], v[4:5], v[2:3] op_sel:[0,1]
	s_delay_alu instid0(VALU_DEP_1) | instskip(SKIP_1) | instid1(VALU_DEP_1)
	v_pk_fma_f32 v[10:11], v[4:5], v[0:1], v[8:9] op_sel:[0,0,1] op_sel_hi:[1,1,0] neg_lo:[0,0,1] neg_hi:[0,0,1]
	v_pk_fma_f32 v[4:5], v[4:5], v[0:1], v[8:9] op_sel:[0,0,1] op_sel_hi:[1,0,0]
	v_mov_b32_e32 v11, v5
	v_pk_mul_f32 v[4:5], v[6:7], v[2:3] op_sel:[0,1]
	s_delay_alu instid0(VALU_DEP_2) | instskip(NEXT) | instid1(VALU_DEP_2)
	v_pk_add_f32 v[162:163], v[162:163], v[10:11] neg_lo:[0,1] neg_hi:[0,1]
	v_pk_fma_f32 v[8:9], v[6:7], v[0:1], v[4:5] op_sel:[0,0,1] op_sel_hi:[1,1,0] neg_lo:[0,0,1] neg_hi:[0,0,1]
	v_pk_fma_f32 v[4:5], v[6:7], v[0:1], v[4:5] op_sel:[0,0,1] op_sel_hi:[1,0,0]
	s_delay_alu instid0(VALU_DEP_1) | instskip(SKIP_4) | instid1(VALU_DEP_1)
	v_mov_b32_e32 v9, v5
	ds_load_2addr_b64 v[4:7], v104 offset0:38 offset1:39
	v_pk_add_f32 v[158:159], v[158:159], v[8:9] neg_lo:[0,1] neg_hi:[0,1]
	s_wait_dscnt 0x0
	v_pk_mul_f32 v[8:9], v[4:5], v[2:3] op_sel:[0,1]
	v_pk_fma_f32 v[10:11], v[4:5], v[0:1], v[8:9] op_sel:[0,0,1] op_sel_hi:[1,1,0] neg_lo:[0,0,1] neg_hi:[0,0,1]
	v_pk_fma_f32 v[4:5], v[4:5], v[0:1], v[8:9] op_sel:[0,0,1] op_sel_hi:[1,0,0]
	v_dual_mul_f32 v8, v7, v3 :: v_dual_mov_b32 v4, v7
	s_delay_alu instid0(VALU_DEP_2) | instskip(NEXT) | instid1(VALU_DEP_2)
	v_dual_mov_b32 v11, v5 :: v_dual_mov_b32 v5, v6
	v_pk_fma_f32 v[8:9], v[6:7], v[22:23], v[8:9] op_sel_hi:[1,1,0] neg_lo:[0,0,1] neg_hi:[0,0,1]
	v_mul_f32_e32 v6, v7, v0
	s_delay_alu instid0(VALU_DEP_3) | instskip(NEXT) | instid1(VALU_DEP_2)
	v_pk_add_f32 v[160:161], v[160:161], v[10:11] neg_lo:[0,1] neg_hi:[0,1]
	v_pk_fma_f32 v[4:5], v[4:5], v[22:23], v[6:7] op_sel_hi:[1,1,0]
	s_delay_alu instid0(VALU_DEP_1) | instskip(SKIP_4) | instid1(VALU_DEP_1)
	v_mov_b32_e32 v9, v5
	ds_load_2addr_b64 v[4:7], v104 offset0:40 offset1:41
	v_pk_add_f32 v[156:157], v[156:157], v[8:9] neg_lo:[0,1] neg_hi:[0,1]
	s_wait_dscnt 0x0
	v_pk_mul_f32 v[8:9], v[4:5], v[2:3] op_sel:[0,1]
	v_pk_fma_f32 v[10:11], v[4:5], v[0:1], v[8:9] op_sel:[0,0,1] op_sel_hi:[1,1,0] neg_lo:[0,0,1] neg_hi:[0,0,1]
	v_pk_fma_f32 v[4:5], v[4:5], v[0:1], v[8:9] op_sel:[0,0,1] op_sel_hi:[1,0,0]
	s_delay_alu instid0(VALU_DEP_1) | instskip(SKIP_1) | instid1(VALU_DEP_1)
	v_mov_b32_e32 v11, v5
	v_pk_mul_f32 v[4:5], v[6:7], v[2:3] op_sel:[0,1]
	v_pk_fma_f32 v[8:9], v[6:7], v[0:1], v[4:5] op_sel:[0,0,1] op_sel_hi:[1,1,0] neg_lo:[0,0,1] neg_hi:[0,0,1]
	v_pk_fma_f32 v[4:5], v[6:7], v[0:1], v[4:5] op_sel:[0,0,1] op_sel_hi:[1,0,0]
	s_delay_alu instid0(VALU_DEP_1)
	v_mov_b32_e32 v9, v5
	ds_load_2addr_b64 v[4:7], v104 offset0:42 offset1:43
	v_pk_add_f32 v[180:181], v[180:181], v[10:11] neg_lo:[0,1] neg_hi:[0,1]
	v_pk_add_f32 v[176:177], v[176:177], v[8:9] neg_lo:[0,1] neg_hi:[0,1]
	s_wait_dscnt 0x0
	v_pk_mul_f32 v[8:9], v[4:5], v[2:3] op_sel:[0,1]
	s_delay_alu instid0(VALU_DEP_1) | instskip(SKIP_1) | instid1(VALU_DEP_1)
	v_pk_fma_f32 v[10:11], v[4:5], v[0:1], v[8:9] op_sel:[0,0,1] op_sel_hi:[1,1,0] neg_lo:[0,0,1] neg_hi:[0,0,1]
	v_pk_fma_f32 v[4:5], v[4:5], v[0:1], v[8:9] op_sel:[0,0,1] op_sel_hi:[1,0,0]
	v_mov_b32_e32 v11, v5
	v_pk_mul_f32 v[4:5], v[6:7], v[2:3] op_sel:[0,1]
	s_delay_alu instid0(VALU_DEP_1) | instskip(SKIP_1) | instid1(VALU_DEP_1)
	v_pk_fma_f32 v[8:9], v[6:7], v[0:1], v[4:5] op_sel:[0,0,1] op_sel_hi:[1,1,0] neg_lo:[0,0,1] neg_hi:[0,0,1]
	v_pk_fma_f32 v[4:5], v[6:7], v[0:1], v[4:5] op_sel:[0,0,1] op_sel_hi:[1,0,0]
	v_mov_b32_e32 v9, v5
	ds_load_2addr_b64 v[4:7], v104 offset0:44 offset1:45
	v_pk_add_f32 v[178:179], v[178:179], v[10:11] neg_lo:[0,1] neg_hi:[0,1]
	v_pk_add_f32 v[174:175], v[174:175], v[8:9] neg_lo:[0,1] neg_hi:[0,1]
	s_wait_dscnt 0x0
	v_dual_mul_f32 v8, v5, v3 :: v_dual_mul_f32 v10, v5, v0
	s_delay_alu instid0(VALU_DEP_1) | instskip(NEXT) | instid1(VALU_DEP_2)
	v_pk_fma_f32 v[8:9], v[4:5], v[22:23], v[8:9] op_sel_hi:[1,1,0] neg_lo:[0,0,1] neg_hi:[0,0,1]
	v_pk_fma_f32 v[4:5], v[4:5], v[22:23], v[10:11] op_sel:[1,0,0] op_sel_hi:[0,1,0]
	s_delay_alu instid0(VALU_DEP_1) | instskip(SKIP_1) | instid1(VALU_DEP_2)
	v_mov_b32_e32 v9, v5
	v_pk_mul_f32 v[4:5], v[6:7], v[2:3] op_sel:[0,1]
	v_pk_add_f32 v[200:201], v[200:201], v[8:9] neg_lo:[0,1] neg_hi:[0,1]
	s_delay_alu instid0(VALU_DEP_2) | instskip(SKIP_1) | instid1(VALU_DEP_1)
	v_pk_fma_f32 v[8:9], v[6:7], v[0:1], v[4:5] op_sel:[0,0,1] op_sel_hi:[1,1,0] neg_lo:[0,0,1] neg_hi:[0,0,1]
	v_pk_fma_f32 v[4:5], v[6:7], v[0:1], v[4:5] op_sel:[0,0,1] op_sel_hi:[1,0,0]
	v_mov_b32_e32 v9, v5
	ds_load_2addr_b64 v[4:7], v104 offset0:46 offset1:47
	v_pk_add_f32 v[194:195], v[194:195], v[8:9] neg_lo:[0,1] neg_hi:[0,1]
	s_wait_dscnt 0x0
	v_pk_mul_f32 v[8:9], v[4:5], v[2:3] op_sel:[0,1]
	s_delay_alu instid0(VALU_DEP_1) | instskip(SKIP_1) | instid1(VALU_DEP_1)
	v_pk_fma_f32 v[10:11], v[4:5], v[0:1], v[8:9] op_sel:[0,0,1] op_sel_hi:[1,1,0] neg_lo:[0,0,1] neg_hi:[0,0,1]
	v_pk_fma_f32 v[4:5], v[4:5], v[0:1], v[8:9] op_sel:[0,0,1] op_sel_hi:[1,0,0]
	v_mov_b32_e32 v11, v5
	v_pk_mul_f32 v[4:5], v[6:7], v[2:3] op_sel:[0,1]
	s_delay_alu instid0(VALU_DEP_2) | instskip(NEXT) | instid1(VALU_DEP_2)
	v_pk_add_f32 v[198:199], v[198:199], v[10:11] neg_lo:[0,1] neg_hi:[0,1]
	v_pk_fma_f32 v[8:9], v[6:7], v[0:1], v[4:5] op_sel:[0,0,1] op_sel_hi:[1,1,0] neg_lo:[0,0,1] neg_hi:[0,0,1]
	v_pk_fma_f32 v[4:5], v[6:7], v[0:1], v[4:5] op_sel:[0,0,1] op_sel_hi:[1,0,0]
	s_delay_alu instid0(VALU_DEP_1) | instskip(SKIP_4) | instid1(VALU_DEP_1)
	v_mov_b32_e32 v9, v5
	ds_load_2addr_b64 v[4:7], v104 offset0:48 offset1:49
	v_pk_add_f32 v[192:193], v[192:193], v[8:9] neg_lo:[0,1] neg_hi:[0,1]
	s_wait_dscnt 0x0
	v_pk_mul_f32 v[8:9], v[4:5], v[2:3] op_sel:[0,1]
	v_pk_fma_f32 v[10:11], v[4:5], v[0:1], v[8:9] op_sel:[0,0,1] op_sel_hi:[1,1,0] neg_lo:[0,0,1] neg_hi:[0,0,1]
	v_pk_fma_f32 v[4:5], v[4:5], v[0:1], v[8:9] op_sel:[0,0,1] op_sel_hi:[1,0,0]
	v_dual_mul_f32 v8, v7, v3 :: v_dual_mov_b32 v4, v7
	s_delay_alu instid0(VALU_DEP_2) | instskip(NEXT) | instid1(VALU_DEP_2)
	v_dual_mov_b32 v11, v5 :: v_dual_mov_b32 v5, v6
	v_pk_fma_f32 v[8:9], v[6:7], v[22:23], v[8:9] op_sel_hi:[1,1,0] neg_lo:[0,0,1] neg_hi:[0,0,1]
	v_mul_f32_e32 v6, v7, v0
	s_delay_alu instid0(VALU_DEP_3) | instskip(NEXT) | instid1(VALU_DEP_2)
	v_pk_add_f32 v[196:197], v[196:197], v[10:11] neg_lo:[0,1] neg_hi:[0,1]
	v_pk_fma_f32 v[4:5], v[4:5], v[22:23], v[6:7] op_sel_hi:[1,1,0]
	s_delay_alu instid0(VALU_DEP_1) | instskip(SKIP_4) | instid1(VALU_DEP_1)
	v_mov_b32_e32 v9, v5
	ds_load_b64 v[4:5], v104 offset:400
	v_pk_add_f32 v[202:203], v[202:203], v[8:9] neg_lo:[0,1] neg_hi:[0,1]
	s_wait_dscnt 0x0
	v_pk_mul_f32 v[2:3], v[4:5], v[2:3] op_sel:[0,1]
	v_pk_fma_f32 v[6:7], v[4:5], v[0:1], v[2:3] op_sel:[0,0,1] op_sel_hi:[1,1,0] neg_lo:[0,0,1] neg_hi:[0,0,1]
	v_pk_fma_f32 v[0:1], v[4:5], v[0:1], v[2:3] op_sel:[0,0,1] op_sel_hi:[1,0,0]
	s_delay_alu instid0(VALU_DEP_1) | instskip(NEXT) | instid1(VALU_DEP_1)
	v_mov_b32_e32 v7, v1
	v_pk_add_f32 v[204:205], v[204:205], v[6:7] neg_lo:[0,1] neg_hi:[0,1]
.LBB101_55:
	s_wait_xcnt 0x0
	s_or_b32 exec_lo, exec_lo, s1
	s_delay_alu instid0(SALU_CYCLE_1)
	s_mov_b32 s2, exec_lo
	s_wait_storecnt 0x0
	s_barrier_signal -1
	s_barrier_wait -1
	v_cmpx_eq_u32_e32 6, v102
	s_cbranch_execz .LBB101_62
; %bb.56:
	ds_store_b64 v103, v[24:25]
	ds_store_2addr_b64 v104, v[20:21], v[40:41] offset0:7 offset1:8
	ds_store_2addr_b64 v104, v[36:37], v[38:39] offset0:9 offset1:10
	;; [unrolled: 1-line block ×22, first 2 shown]
	ds_load_b64 v[0:1], v103
	s_wait_dscnt 0x0
	v_cmp_neq_f32_e32 vcc_lo, 0, v0
	v_cmp_neq_f32_e64 s1, 0, v1
	s_or_b32 s1, vcc_lo, s1
	s_delay_alu instid0(SALU_CYCLE_1)
	s_and_b32 exec_lo, exec_lo, s1
	s_cbranch_execz .LBB101_62
; %bb.57:
	v_cmp_ngt_f32_e64 s1, |v0|, |v1|
                                        ; implicit-def: $vgpr2_vgpr3
	s_and_saveexec_b32 s4, s1
	s_delay_alu instid0(SALU_CYCLE_1)
	s_xor_b32 s1, exec_lo, s4
	s_cbranch_execz .LBB101_59
; %bb.58:
	v_div_scale_f32 v2, null, v1, v1, v0
	v_div_scale_f32 v5, vcc_lo, v0, v1, v0
	s_delay_alu instid0(VALU_DEP_2) | instskip(SKIP_1) | instid1(TRANS32_DEP_1)
	v_rcp_f32_e32 v3, v2
	v_nop
	v_fma_f32 v4, -v2, v3, 1.0
	s_delay_alu instid0(VALU_DEP_1) | instskip(NEXT) | instid1(VALU_DEP_1)
	v_fmac_f32_e32 v3, v4, v3
	v_mul_f32_e32 v4, v5, v3
	s_delay_alu instid0(VALU_DEP_1) | instskip(NEXT) | instid1(VALU_DEP_1)
	v_fma_f32 v6, -v2, v4, v5
	v_fmac_f32_e32 v4, v6, v3
	s_delay_alu instid0(VALU_DEP_1) | instskip(NEXT) | instid1(VALU_DEP_1)
	v_fma_f32 v2, -v2, v4, v5
	v_div_fmas_f32 v2, v2, v3, v4
	s_delay_alu instid0(VALU_DEP_1) | instskip(NEXT) | instid1(VALU_DEP_1)
	v_div_fixup_f32 v2, v2, v1, v0
	v_fmac_f32_e32 v1, v0, v2
	s_delay_alu instid0(VALU_DEP_1) | instskip(SKIP_1) | instid1(VALU_DEP_2)
	v_div_scale_f32 v0, null, v1, v1, 1.0
	v_div_scale_f32 v5, vcc_lo, 1.0, v1, 1.0
	v_rcp_f32_e32 v3, v0
	v_nop
	s_delay_alu instid0(TRANS32_DEP_1) | instskip(NEXT) | instid1(VALU_DEP_1)
	v_fma_f32 v4, -v0, v3, 1.0
	v_fmac_f32_e32 v3, v4, v3
	s_delay_alu instid0(VALU_DEP_1) | instskip(NEXT) | instid1(VALU_DEP_1)
	v_mul_f32_e32 v4, v5, v3
	v_fma_f32 v6, -v0, v4, v5
	s_delay_alu instid0(VALU_DEP_1) | instskip(NEXT) | instid1(VALU_DEP_1)
	v_fmac_f32_e32 v4, v6, v3
	v_fma_f32 v0, -v0, v4, v5
	s_delay_alu instid0(VALU_DEP_1) | instskip(NEXT) | instid1(VALU_DEP_1)
	v_div_fmas_f32 v0, v0, v3, v4
	v_div_fixup_f32 v0, v0, v1, 1.0
	s_delay_alu instid0(VALU_DEP_1)
	v_mul_f32_e32 v2, v2, v0
	v_xor_b32_e32 v3, 0x80000000, v0
                                        ; implicit-def: $vgpr0_vgpr1
.LBB101_59:
	s_and_not1_saveexec_b32 s1, s1
	s_cbranch_execz .LBB101_61
; %bb.60:
	v_div_scale_f32 v2, null, v0, v0, v1
	v_div_scale_f32 v5, vcc_lo, v1, v0, v1
	s_delay_alu instid0(VALU_DEP_2) | instskip(SKIP_1) | instid1(TRANS32_DEP_1)
	v_rcp_f32_e32 v3, v2
	v_nop
	v_fma_f32 v4, -v2, v3, 1.0
	s_delay_alu instid0(VALU_DEP_1) | instskip(NEXT) | instid1(VALU_DEP_1)
	v_fmac_f32_e32 v3, v4, v3
	v_mul_f32_e32 v4, v5, v3
	s_delay_alu instid0(VALU_DEP_1) | instskip(NEXT) | instid1(VALU_DEP_1)
	v_fma_f32 v6, -v2, v4, v5
	v_fmac_f32_e32 v4, v6, v3
	s_delay_alu instid0(VALU_DEP_1) | instskip(NEXT) | instid1(VALU_DEP_1)
	v_fma_f32 v2, -v2, v4, v5
	v_div_fmas_f32 v2, v2, v3, v4
	s_delay_alu instid0(VALU_DEP_1) | instskip(NEXT) | instid1(VALU_DEP_1)
	v_div_fixup_f32 v3, v2, v0, v1
	v_fmac_f32_e32 v0, v1, v3
	s_delay_alu instid0(VALU_DEP_1) | instskip(NEXT) | instid1(VALU_DEP_1)
	v_div_scale_f32 v1, null, v0, v0, 1.0
	v_rcp_f32_e32 v2, v1
	v_nop
	s_delay_alu instid0(TRANS32_DEP_1) | instskip(NEXT) | instid1(VALU_DEP_1)
	v_fma_f32 v4, -v1, v2, 1.0
	v_fmac_f32_e32 v2, v4, v2
	v_div_scale_f32 v4, vcc_lo, 1.0, v0, 1.0
	s_delay_alu instid0(VALU_DEP_1) | instskip(NEXT) | instid1(VALU_DEP_1)
	v_mul_f32_e32 v5, v4, v2
	v_fma_f32 v6, -v1, v5, v4
	s_delay_alu instid0(VALU_DEP_1) | instskip(NEXT) | instid1(VALU_DEP_1)
	v_fmac_f32_e32 v5, v6, v2
	v_fma_f32 v1, -v1, v5, v4
	s_delay_alu instid0(VALU_DEP_1) | instskip(NEXT) | instid1(VALU_DEP_1)
	v_div_fmas_f32 v1, v1, v2, v5
	v_div_fixup_f32 v2, v1, v0, 1.0
	s_delay_alu instid0(VALU_DEP_1)
	v_mul_f32_e64 v3, v3, -v2
.LBB101_61:
	s_or_b32 exec_lo, exec_lo, s1
	ds_store_b64 v103, v[2:3]
.LBB101_62:
	s_or_b32 exec_lo, exec_lo, s2
	s_wait_dscnt 0x0
	s_barrier_signal -1
	s_barrier_wait -1
	ds_load_b64 v[0:1], v103
	s_mov_b32 s1, exec_lo
	s_wait_dscnt 0x0
	scratch_store_b64 off, v[0:1], off offset:96 ; 8-byte Folded Spill
	s_wait_xcnt 0x0
	v_cmpx_lt_u32_e32 6, v102
	s_cbranch_execz .LBB101_64
; %bb.63:
	scratch_load_b64 v[4:5], off, off offset:96 ; 8-byte Folded Reload
	s_wait_loadcnt 0x0
	v_pk_mul_f32 v[2:3], v[4:5], v[24:25] op_sel:[1,1] op_sel_hi:[0,1]
	s_delay_alu instid0(VALU_DEP_1)
	v_pk_fma_f32 v[0:1], v[4:5], v[24:25], v[2:3] op_sel_hi:[1,0,1] neg_lo:[0,0,1] neg_hi:[0,0,1]
	v_pk_fma_f32 v[2:3], v[4:5], v[24:25], v[2:3] op_sel_hi:[1,0,1]
	ds_load_2addr_b64 v[4:7], v104 offset0:7 offset1:8
	v_dual_mov_b32 v24, v0 :: v_dual_mov_b32 v25, v3
	s_wait_dscnt 0x0
	v_pk_mul_f32 v[8:9], v[4:5], v[2:3] op_sel:[0,1]
	s_delay_alu instid0(VALU_DEP_1) | instskip(SKIP_1) | instid1(VALU_DEP_1)
	v_pk_fma_f32 v[10:11], v[4:5], v[0:1], v[8:9] op_sel:[0,0,1] op_sel_hi:[1,1,0] neg_lo:[0,0,1] neg_hi:[0,0,1]
	v_pk_fma_f32 v[4:5], v[4:5], v[0:1], v[8:9] op_sel:[0,0,1] op_sel_hi:[1,0,0]
	v_mov_b32_e32 v11, v5
	v_pk_mul_f32 v[4:5], v[6:7], v[2:3] op_sel:[0,1]
	s_delay_alu instid0(VALU_DEP_1) | instskip(SKIP_1) | instid1(VALU_DEP_1)
	v_pk_fma_f32 v[8:9], v[6:7], v[0:1], v[4:5] op_sel:[0,0,1] op_sel_hi:[1,1,0] neg_lo:[0,0,1] neg_hi:[0,0,1]
	v_pk_fma_f32 v[4:5], v[6:7], v[0:1], v[4:5] op_sel:[0,0,1] op_sel_hi:[1,0,0]
	v_mov_b32_e32 v9, v5
	ds_load_2addr_b64 v[4:7], v104 offset0:9 offset1:10
	v_pk_add_f32 v[20:21], v[20:21], v[10:11] neg_lo:[0,1] neg_hi:[0,1]
	v_pk_add_f32 v[40:41], v[40:41], v[8:9] neg_lo:[0,1] neg_hi:[0,1]
	s_wait_dscnt 0x0
	v_pk_mul_f32 v[8:9], v[4:5], v[2:3] op_sel:[0,1]
	s_delay_alu instid0(VALU_DEP_1) | instskip(SKIP_2) | instid1(VALU_DEP_2)
	v_pk_fma_f32 v[10:11], v[4:5], v[0:1], v[8:9] op_sel:[0,0,1] op_sel_hi:[1,1,0] neg_lo:[0,0,1] neg_hi:[0,0,1]
	v_pk_fma_f32 v[4:5], v[4:5], v[0:1], v[8:9] op_sel:[0,0,1] op_sel_hi:[1,0,0]
	v_dual_mul_f32 v8, v7, v3 :: v_dual_mov_b32 v4, v7
	v_dual_mov_b32 v11, v5 :: v_dual_mov_b32 v5, v6
	s_delay_alu instid0(VALU_DEP_2) | instskip(SKIP_1) | instid1(VALU_DEP_3)
	v_pk_fma_f32 v[8:9], v[6:7], v[24:25], v[8:9] op_sel_hi:[1,1,0] neg_lo:[0,0,1] neg_hi:[0,0,1]
	v_mul_f32_e32 v6, v7, v0
	v_pk_add_f32 v[36:37], v[36:37], v[10:11] neg_lo:[0,1] neg_hi:[0,1]
	s_delay_alu instid0(VALU_DEP_2) | instskip(NEXT) | instid1(VALU_DEP_1)
	v_pk_fma_f32 v[4:5], v[4:5], v[24:25], v[6:7] op_sel_hi:[1,1,0]
	v_mov_b32_e32 v9, v5
	ds_load_2addr_b64 v[4:7], v104 offset0:11 offset1:12
	v_pk_add_f32 v[38:39], v[38:39], v[8:9] neg_lo:[0,1] neg_hi:[0,1]
	s_wait_dscnt 0x0
	v_pk_mul_f32 v[8:9], v[4:5], v[2:3] op_sel:[0,1]
	s_delay_alu instid0(VALU_DEP_1) | instskip(SKIP_1) | instid1(VALU_DEP_1)
	v_pk_fma_f32 v[10:11], v[4:5], v[0:1], v[8:9] op_sel:[0,0,1] op_sel_hi:[1,1,0] neg_lo:[0,0,1] neg_hi:[0,0,1]
	v_pk_fma_f32 v[4:5], v[4:5], v[0:1], v[8:9] op_sel:[0,0,1] op_sel_hi:[1,0,0]
	v_mov_b32_e32 v11, v5
	v_pk_mul_f32 v[4:5], v[6:7], v[2:3] op_sel:[0,1]
	s_delay_alu instid0(VALU_DEP_1) | instskip(SKIP_1) | instid1(VALU_DEP_1)
	v_pk_fma_f32 v[8:9], v[6:7], v[0:1], v[4:5] op_sel:[0,0,1] op_sel_hi:[1,1,0] neg_lo:[0,0,1] neg_hi:[0,0,1]
	v_pk_fma_f32 v[4:5], v[6:7], v[0:1], v[4:5] op_sel:[0,0,1] op_sel_hi:[1,0,0]
	v_mov_b32_e32 v9, v5
	ds_load_2addr_b64 v[4:7], v104 offset0:13 offset1:14
	v_pk_add_f32 v[34:35], v[34:35], v[10:11] neg_lo:[0,1] neg_hi:[0,1]
	v_pk_add_f32 v[58:59], v[58:59], v[8:9] neg_lo:[0,1] neg_hi:[0,1]
	s_wait_dscnt 0x0
	v_pk_mul_f32 v[8:9], v[4:5], v[2:3] op_sel:[0,1]
	s_delay_alu instid0(VALU_DEP_1) | instskip(SKIP_1) | instid1(VALU_DEP_1)
	v_pk_fma_f32 v[10:11], v[4:5], v[0:1], v[8:9] op_sel:[0,0,1] op_sel_hi:[1,1,0] neg_lo:[0,0,1] neg_hi:[0,0,1]
	v_pk_fma_f32 v[4:5], v[4:5], v[0:1], v[8:9] op_sel:[0,0,1] op_sel_hi:[1,0,0]
	v_mov_b32_e32 v11, v5
	v_pk_mul_f32 v[4:5], v[6:7], v[2:3] op_sel:[0,1]
	s_delay_alu instid0(VALU_DEP_1) | instskip(SKIP_1) | instid1(VALU_DEP_1)
	v_pk_fma_f32 v[8:9], v[6:7], v[0:1], v[4:5] op_sel:[0,0,1] op_sel_hi:[1,1,0] neg_lo:[0,0,1] neg_hi:[0,0,1]
	v_pk_fma_f32 v[4:5], v[6:7], v[0:1], v[4:5] op_sel:[0,0,1] op_sel_hi:[1,0,0]
	v_mov_b32_e32 v9, v5
	ds_load_2addr_b64 v[4:7], v104 offset0:15 offset1:16
	v_pk_add_f32 v[54:55], v[54:55], v[10:11] neg_lo:[0,1] neg_hi:[0,1]
	v_pk_add_f32 v[56:57], v[56:57], v[8:9] neg_lo:[0,1] neg_hi:[0,1]
	s_wait_dscnt 0x0
	v_dual_mul_f32 v8, v5, v3 :: v_dual_mul_f32 v10, v5, v0
	s_delay_alu instid0(VALU_DEP_1) | instskip(NEXT) | instid1(VALU_DEP_2)
	v_pk_fma_f32 v[8:9], v[4:5], v[24:25], v[8:9] op_sel_hi:[1,1,0] neg_lo:[0,0,1] neg_hi:[0,0,1]
	v_pk_fma_f32 v[4:5], v[4:5], v[24:25], v[10:11] op_sel:[1,0,0] op_sel_hi:[0,1,0]
	s_delay_alu instid0(VALU_DEP_1) | instskip(SKIP_1) | instid1(VALU_DEP_2)
	v_mov_b32_e32 v9, v5
	v_pk_mul_f32 v[4:5], v[6:7], v[2:3] op_sel:[0,1]
	v_pk_add_f32 v[52:53], v[52:53], v[8:9] neg_lo:[0,1] neg_hi:[0,1]
	s_delay_alu instid0(VALU_DEP_2) | instskip(SKIP_1) | instid1(VALU_DEP_1)
	v_pk_fma_f32 v[8:9], v[6:7], v[0:1], v[4:5] op_sel:[0,0,1] op_sel_hi:[1,1,0] neg_lo:[0,0,1] neg_hi:[0,0,1]
	v_pk_fma_f32 v[4:5], v[6:7], v[0:1], v[4:5] op_sel:[0,0,1] op_sel_hi:[1,0,0]
	v_mov_b32_e32 v9, v5
	ds_load_2addr_b64 v[4:7], v104 offset0:17 offset1:18
	v_pk_add_f32 v[76:77], v[76:77], v[8:9] neg_lo:[0,1] neg_hi:[0,1]
	s_wait_dscnt 0x0
	v_pk_mul_f32 v[8:9], v[4:5], v[2:3] op_sel:[0,1]
	s_delay_alu instid0(VALU_DEP_1) | instskip(SKIP_1) | instid1(VALU_DEP_1)
	v_pk_fma_f32 v[10:11], v[4:5], v[0:1], v[8:9] op_sel:[0,0,1] op_sel_hi:[1,1,0] neg_lo:[0,0,1] neg_hi:[0,0,1]
	v_pk_fma_f32 v[4:5], v[4:5], v[0:1], v[8:9] op_sel:[0,0,1] op_sel_hi:[1,0,0]
	v_mov_b32_e32 v11, v5
	v_pk_mul_f32 v[4:5], v[6:7], v[2:3] op_sel:[0,1]
	s_delay_alu instid0(VALU_DEP_2) | instskip(NEXT) | instid1(VALU_DEP_2)
	v_pk_add_f32 v[72:73], v[72:73], v[10:11] neg_lo:[0,1] neg_hi:[0,1]
	v_pk_fma_f32 v[8:9], v[6:7], v[0:1], v[4:5] op_sel:[0,0,1] op_sel_hi:[1,1,0] neg_lo:[0,0,1] neg_hi:[0,0,1]
	v_pk_fma_f32 v[4:5], v[6:7], v[0:1], v[4:5] op_sel:[0,0,1] op_sel_hi:[1,0,0]
	s_delay_alu instid0(VALU_DEP_1) | instskip(SKIP_4) | instid1(VALU_DEP_1)
	v_mov_b32_e32 v9, v5
	ds_load_2addr_b64 v[4:7], v104 offset0:19 offset1:20
	v_pk_add_f32 v[74:75], v[74:75], v[8:9] neg_lo:[0,1] neg_hi:[0,1]
	s_wait_dscnt 0x0
	v_pk_mul_f32 v[8:9], v[4:5], v[2:3] op_sel:[0,1]
	v_pk_fma_f32 v[10:11], v[4:5], v[0:1], v[8:9] op_sel:[0,0,1] op_sel_hi:[1,1,0] neg_lo:[0,0,1] neg_hi:[0,0,1]
	v_pk_fma_f32 v[4:5], v[4:5], v[0:1], v[8:9] op_sel:[0,0,1] op_sel_hi:[1,0,0]
	v_dual_mul_f32 v8, v7, v3 :: v_dual_mov_b32 v4, v7
	s_delay_alu instid0(VALU_DEP_2) | instskip(NEXT) | instid1(VALU_DEP_2)
	v_dual_mov_b32 v11, v5 :: v_dual_mov_b32 v5, v6
	v_pk_fma_f32 v[8:9], v[6:7], v[24:25], v[8:9] op_sel_hi:[1,1,0] neg_lo:[0,0,1] neg_hi:[0,0,1]
	v_mul_f32_e32 v6, v7, v0
	s_delay_alu instid0(VALU_DEP_3) | instskip(NEXT) | instid1(VALU_DEP_2)
	v_pk_add_f32 v[70:71], v[70:71], v[10:11] neg_lo:[0,1] neg_hi:[0,1]
	v_pk_fma_f32 v[4:5], v[4:5], v[24:25], v[6:7] op_sel_hi:[1,1,0]
	s_delay_alu instid0(VALU_DEP_1) | instskip(SKIP_4) | instid1(VALU_DEP_1)
	v_mov_b32_e32 v9, v5
	ds_load_2addr_b64 v[4:7], v104 offset0:21 offset1:22
	v_pk_add_f32 v[94:95], v[94:95], v[8:9] neg_lo:[0,1] neg_hi:[0,1]
	s_wait_dscnt 0x0
	v_pk_mul_f32 v[8:9], v[4:5], v[2:3] op_sel:[0,1]
	v_pk_fma_f32 v[10:11], v[4:5], v[0:1], v[8:9] op_sel:[0,0,1] op_sel_hi:[1,1,0] neg_lo:[0,0,1] neg_hi:[0,0,1]
	v_pk_fma_f32 v[4:5], v[4:5], v[0:1], v[8:9] op_sel:[0,0,1] op_sel_hi:[1,0,0]
	s_delay_alu instid0(VALU_DEP_1) | instskip(SKIP_1) | instid1(VALU_DEP_1)
	v_mov_b32_e32 v11, v5
	v_pk_mul_f32 v[4:5], v[6:7], v[2:3] op_sel:[0,1]
	v_pk_fma_f32 v[8:9], v[6:7], v[0:1], v[4:5] op_sel:[0,0,1] op_sel_hi:[1,1,0] neg_lo:[0,0,1] neg_hi:[0,0,1]
	v_pk_fma_f32 v[4:5], v[6:7], v[0:1], v[4:5] op_sel:[0,0,1] op_sel_hi:[1,0,0]
	s_delay_alu instid0(VALU_DEP_1)
	v_mov_b32_e32 v9, v5
	ds_load_2addr_b64 v[4:7], v104 offset0:23 offset1:24
	v_pk_add_f32 v[90:91], v[90:91], v[10:11] neg_lo:[0,1] neg_hi:[0,1]
	v_pk_add_f32 v[92:93], v[92:93], v[8:9] neg_lo:[0,1] neg_hi:[0,1]
	s_wait_dscnt 0x0
	v_pk_mul_f32 v[8:9], v[4:5], v[2:3] op_sel:[0,1]
	s_delay_alu instid0(VALU_DEP_1) | instskip(SKIP_1) | instid1(VALU_DEP_1)
	v_pk_fma_f32 v[10:11], v[4:5], v[0:1], v[8:9] op_sel:[0,0,1] op_sel_hi:[1,1,0] neg_lo:[0,0,1] neg_hi:[0,0,1]
	v_pk_fma_f32 v[4:5], v[4:5], v[0:1], v[8:9] op_sel:[0,0,1] op_sel_hi:[1,0,0]
	v_mov_b32_e32 v11, v5
	v_pk_mul_f32 v[4:5], v[6:7], v[2:3] op_sel:[0,1]
	s_delay_alu instid0(VALU_DEP_1) | instskip(SKIP_1) | instid1(VALU_DEP_1)
	v_pk_fma_f32 v[8:9], v[6:7], v[0:1], v[4:5] op_sel:[0,0,1] op_sel_hi:[1,1,0] neg_lo:[0,0,1] neg_hi:[0,0,1]
	v_pk_fma_f32 v[4:5], v[6:7], v[0:1], v[4:5] op_sel:[0,0,1] op_sel_hi:[1,0,0]
	v_mov_b32_e32 v9, v5
	ds_load_2addr_b64 v[4:7], v104 offset0:25 offset1:26
	v_pk_add_f32 v[88:89], v[88:89], v[10:11] neg_lo:[0,1] neg_hi:[0,1]
	v_pk_add_f32 v[112:113], v[112:113], v[8:9] neg_lo:[0,1] neg_hi:[0,1]
	s_wait_dscnt 0x0
	v_dual_mul_f32 v8, v5, v3 :: v_dual_mul_f32 v10, v5, v0
	s_delay_alu instid0(VALU_DEP_1) | instskip(NEXT) | instid1(VALU_DEP_2)
	v_pk_fma_f32 v[8:9], v[4:5], v[24:25], v[8:9] op_sel_hi:[1,1,0] neg_lo:[0,0,1] neg_hi:[0,0,1]
	v_pk_fma_f32 v[4:5], v[4:5], v[24:25], v[10:11] op_sel:[1,0,0] op_sel_hi:[0,1,0]
	s_delay_alu instid0(VALU_DEP_1) | instskip(SKIP_1) | instid1(VALU_DEP_2)
	v_mov_b32_e32 v9, v5
	v_pk_mul_f32 v[4:5], v[6:7], v[2:3] op_sel:[0,1]
	v_pk_add_f32 v[108:109], v[108:109], v[8:9] neg_lo:[0,1] neg_hi:[0,1]
	s_delay_alu instid0(VALU_DEP_2) | instskip(SKIP_1) | instid1(VALU_DEP_1)
	v_pk_fma_f32 v[8:9], v[6:7], v[0:1], v[4:5] op_sel:[0,0,1] op_sel_hi:[1,1,0] neg_lo:[0,0,1] neg_hi:[0,0,1]
	v_pk_fma_f32 v[4:5], v[6:7], v[0:1], v[4:5] op_sel:[0,0,1] op_sel_hi:[1,0,0]
	v_mov_b32_e32 v9, v5
	ds_load_2addr_b64 v[4:7], v104 offset0:27 offset1:28
	v_pk_add_f32 v[110:111], v[110:111], v[8:9] neg_lo:[0,1] neg_hi:[0,1]
	s_wait_dscnt 0x0
	v_pk_mul_f32 v[8:9], v[4:5], v[2:3] op_sel:[0,1]
	s_delay_alu instid0(VALU_DEP_1) | instskip(SKIP_1) | instid1(VALU_DEP_1)
	v_pk_fma_f32 v[10:11], v[4:5], v[0:1], v[8:9] op_sel:[0,0,1] op_sel_hi:[1,1,0] neg_lo:[0,0,1] neg_hi:[0,0,1]
	v_pk_fma_f32 v[4:5], v[4:5], v[0:1], v[8:9] op_sel:[0,0,1] op_sel_hi:[1,0,0]
	v_mov_b32_e32 v11, v5
	v_pk_mul_f32 v[4:5], v[6:7], v[2:3] op_sel:[0,1]
	s_delay_alu instid0(VALU_DEP_2) | instskip(NEXT) | instid1(VALU_DEP_2)
	v_pk_add_f32 v[106:107], v[106:107], v[10:11] neg_lo:[0,1] neg_hi:[0,1]
	v_pk_fma_f32 v[8:9], v[6:7], v[0:1], v[4:5] op_sel:[0,0,1] op_sel_hi:[1,1,0] neg_lo:[0,0,1] neg_hi:[0,0,1]
	v_pk_fma_f32 v[4:5], v[6:7], v[0:1], v[4:5] op_sel:[0,0,1] op_sel_hi:[1,0,0]
	s_delay_alu instid0(VALU_DEP_1) | instskip(SKIP_4) | instid1(VALU_DEP_1)
	v_mov_b32_e32 v9, v5
	ds_load_2addr_b64 v[4:7], v104 offset0:29 offset1:30
	v_pk_add_f32 v[128:129], v[128:129], v[8:9] neg_lo:[0,1] neg_hi:[0,1]
	s_wait_dscnt 0x0
	v_pk_mul_f32 v[8:9], v[4:5], v[2:3] op_sel:[0,1]
	v_pk_fma_f32 v[10:11], v[4:5], v[0:1], v[8:9] op_sel:[0,0,1] op_sel_hi:[1,1,0] neg_lo:[0,0,1] neg_hi:[0,0,1]
	v_pk_fma_f32 v[4:5], v[4:5], v[0:1], v[8:9] op_sel:[0,0,1] op_sel_hi:[1,0,0]
	v_dual_mul_f32 v8, v7, v3 :: v_dual_mov_b32 v4, v7
	s_delay_alu instid0(VALU_DEP_2) | instskip(NEXT) | instid1(VALU_DEP_2)
	v_dual_mov_b32 v11, v5 :: v_dual_mov_b32 v5, v6
	v_pk_fma_f32 v[8:9], v[6:7], v[24:25], v[8:9] op_sel_hi:[1,1,0] neg_lo:[0,0,1] neg_hi:[0,0,1]
	v_mul_f32_e32 v6, v7, v0
	s_delay_alu instid0(VALU_DEP_3) | instskip(NEXT) | instid1(VALU_DEP_2)
	v_pk_add_f32 v[124:125], v[124:125], v[10:11] neg_lo:[0,1] neg_hi:[0,1]
	v_pk_fma_f32 v[4:5], v[4:5], v[24:25], v[6:7] op_sel_hi:[1,1,0]
	s_delay_alu instid0(VALU_DEP_1) | instskip(SKIP_4) | instid1(VALU_DEP_1)
	v_mov_b32_e32 v9, v5
	ds_load_2addr_b64 v[4:7], v104 offset0:31 offset1:32
	v_pk_add_f32 v[126:127], v[126:127], v[8:9] neg_lo:[0,1] neg_hi:[0,1]
	s_wait_dscnt 0x0
	v_pk_mul_f32 v[8:9], v[4:5], v[2:3] op_sel:[0,1]
	v_pk_fma_f32 v[10:11], v[4:5], v[0:1], v[8:9] op_sel:[0,0,1] op_sel_hi:[1,1,0] neg_lo:[0,0,1] neg_hi:[0,0,1]
	v_pk_fma_f32 v[4:5], v[4:5], v[0:1], v[8:9] op_sel:[0,0,1] op_sel_hi:[1,0,0]
	s_delay_alu instid0(VALU_DEP_1) | instskip(SKIP_1) | instid1(VALU_DEP_1)
	v_mov_b32_e32 v11, v5
	v_pk_mul_f32 v[4:5], v[6:7], v[2:3] op_sel:[0,1]
	v_pk_fma_f32 v[8:9], v[6:7], v[0:1], v[4:5] op_sel:[0,0,1] op_sel_hi:[1,1,0] neg_lo:[0,0,1] neg_hi:[0,0,1]
	v_pk_fma_f32 v[4:5], v[6:7], v[0:1], v[4:5] op_sel:[0,0,1] op_sel_hi:[1,0,0]
	s_delay_alu instid0(VALU_DEP_1)
	v_mov_b32_e32 v9, v5
	ds_load_2addr_b64 v[4:7], v104 offset0:33 offset1:34
	v_pk_add_f32 v[122:123], v[122:123], v[10:11] neg_lo:[0,1] neg_hi:[0,1]
	v_pk_add_f32 v[146:147], v[146:147], v[8:9] neg_lo:[0,1] neg_hi:[0,1]
	s_wait_dscnt 0x0
	v_pk_mul_f32 v[8:9], v[4:5], v[2:3] op_sel:[0,1]
	s_delay_alu instid0(VALU_DEP_1) | instskip(SKIP_1) | instid1(VALU_DEP_1)
	v_pk_fma_f32 v[10:11], v[4:5], v[0:1], v[8:9] op_sel:[0,0,1] op_sel_hi:[1,1,0] neg_lo:[0,0,1] neg_hi:[0,0,1]
	v_pk_fma_f32 v[4:5], v[4:5], v[0:1], v[8:9] op_sel:[0,0,1] op_sel_hi:[1,0,0]
	v_mov_b32_e32 v11, v5
	v_pk_mul_f32 v[4:5], v[6:7], v[2:3] op_sel:[0,1]
	s_delay_alu instid0(VALU_DEP_1) | instskip(SKIP_1) | instid1(VALU_DEP_1)
	v_pk_fma_f32 v[8:9], v[6:7], v[0:1], v[4:5] op_sel:[0,0,1] op_sel_hi:[1,1,0] neg_lo:[0,0,1] neg_hi:[0,0,1]
	v_pk_fma_f32 v[4:5], v[6:7], v[0:1], v[4:5] op_sel:[0,0,1] op_sel_hi:[1,0,0]
	v_mov_b32_e32 v9, v5
	ds_load_2addr_b64 v[4:7], v104 offset0:35 offset1:36
	v_pk_add_f32 v[142:143], v[142:143], v[10:11] neg_lo:[0,1] neg_hi:[0,1]
	v_pk_add_f32 v[144:145], v[144:145], v[8:9] neg_lo:[0,1] neg_hi:[0,1]
	s_wait_dscnt 0x0
	v_dual_mul_f32 v8, v5, v3 :: v_dual_mul_f32 v10, v5, v0
	s_delay_alu instid0(VALU_DEP_1) | instskip(NEXT) | instid1(VALU_DEP_2)
	v_pk_fma_f32 v[8:9], v[4:5], v[24:25], v[8:9] op_sel_hi:[1,1,0] neg_lo:[0,0,1] neg_hi:[0,0,1]
	v_pk_fma_f32 v[4:5], v[4:5], v[24:25], v[10:11] op_sel:[1,0,0] op_sel_hi:[0,1,0]
	s_delay_alu instid0(VALU_DEP_1) | instskip(SKIP_1) | instid1(VALU_DEP_2)
	v_mov_b32_e32 v9, v5
	v_pk_mul_f32 v[4:5], v[6:7], v[2:3] op_sel:[0,1]
	v_pk_add_f32 v[140:141], v[140:141], v[8:9] neg_lo:[0,1] neg_hi:[0,1]
	s_delay_alu instid0(VALU_DEP_2) | instskip(SKIP_1) | instid1(VALU_DEP_1)
	v_pk_fma_f32 v[8:9], v[6:7], v[0:1], v[4:5] op_sel:[0,0,1] op_sel_hi:[1,1,0] neg_lo:[0,0,1] neg_hi:[0,0,1]
	v_pk_fma_f32 v[4:5], v[6:7], v[0:1], v[4:5] op_sel:[0,0,1] op_sel_hi:[1,0,0]
	v_mov_b32_e32 v9, v5
	ds_load_2addr_b64 v[4:7], v104 offset0:37 offset1:38
	v_pk_add_f32 v[162:163], v[162:163], v[8:9] neg_lo:[0,1] neg_hi:[0,1]
	s_wait_dscnt 0x0
	v_pk_mul_f32 v[8:9], v[4:5], v[2:3] op_sel:[0,1]
	s_delay_alu instid0(VALU_DEP_1) | instskip(SKIP_1) | instid1(VALU_DEP_1)
	v_pk_fma_f32 v[10:11], v[4:5], v[0:1], v[8:9] op_sel:[0,0,1] op_sel_hi:[1,1,0] neg_lo:[0,0,1] neg_hi:[0,0,1]
	v_pk_fma_f32 v[4:5], v[4:5], v[0:1], v[8:9] op_sel:[0,0,1] op_sel_hi:[1,0,0]
	v_mov_b32_e32 v11, v5
	v_pk_mul_f32 v[4:5], v[6:7], v[2:3] op_sel:[0,1]
	s_delay_alu instid0(VALU_DEP_2) | instskip(NEXT) | instid1(VALU_DEP_2)
	v_pk_add_f32 v[158:159], v[158:159], v[10:11] neg_lo:[0,1] neg_hi:[0,1]
	v_pk_fma_f32 v[8:9], v[6:7], v[0:1], v[4:5] op_sel:[0,0,1] op_sel_hi:[1,1,0] neg_lo:[0,0,1] neg_hi:[0,0,1]
	v_pk_fma_f32 v[4:5], v[6:7], v[0:1], v[4:5] op_sel:[0,0,1] op_sel_hi:[1,0,0]
	s_delay_alu instid0(VALU_DEP_1) | instskip(SKIP_4) | instid1(VALU_DEP_1)
	v_mov_b32_e32 v9, v5
	ds_load_2addr_b64 v[4:7], v104 offset0:39 offset1:40
	v_pk_add_f32 v[160:161], v[160:161], v[8:9] neg_lo:[0,1] neg_hi:[0,1]
	s_wait_dscnt 0x0
	v_pk_mul_f32 v[8:9], v[4:5], v[2:3] op_sel:[0,1]
	v_pk_fma_f32 v[10:11], v[4:5], v[0:1], v[8:9] op_sel:[0,0,1] op_sel_hi:[1,1,0] neg_lo:[0,0,1] neg_hi:[0,0,1]
	v_pk_fma_f32 v[4:5], v[4:5], v[0:1], v[8:9] op_sel:[0,0,1] op_sel_hi:[1,0,0]
	v_dual_mul_f32 v8, v7, v3 :: v_dual_mov_b32 v4, v7
	s_delay_alu instid0(VALU_DEP_2) | instskip(NEXT) | instid1(VALU_DEP_2)
	v_dual_mov_b32 v11, v5 :: v_dual_mov_b32 v5, v6
	v_pk_fma_f32 v[8:9], v[6:7], v[24:25], v[8:9] op_sel_hi:[1,1,0] neg_lo:[0,0,1] neg_hi:[0,0,1]
	v_mul_f32_e32 v6, v7, v0
	s_delay_alu instid0(VALU_DEP_3) | instskip(NEXT) | instid1(VALU_DEP_2)
	v_pk_add_f32 v[156:157], v[156:157], v[10:11] neg_lo:[0,1] neg_hi:[0,1]
	v_pk_fma_f32 v[4:5], v[4:5], v[24:25], v[6:7] op_sel_hi:[1,1,0]
	s_delay_alu instid0(VALU_DEP_1) | instskip(SKIP_4) | instid1(VALU_DEP_1)
	v_mov_b32_e32 v9, v5
	ds_load_2addr_b64 v[4:7], v104 offset0:41 offset1:42
	v_pk_add_f32 v[180:181], v[180:181], v[8:9] neg_lo:[0,1] neg_hi:[0,1]
	s_wait_dscnt 0x0
	v_pk_mul_f32 v[8:9], v[4:5], v[2:3] op_sel:[0,1]
	v_pk_fma_f32 v[10:11], v[4:5], v[0:1], v[8:9] op_sel:[0,0,1] op_sel_hi:[1,1,0] neg_lo:[0,0,1] neg_hi:[0,0,1]
	v_pk_fma_f32 v[4:5], v[4:5], v[0:1], v[8:9] op_sel:[0,0,1] op_sel_hi:[1,0,0]
	s_delay_alu instid0(VALU_DEP_1) | instskip(SKIP_1) | instid1(VALU_DEP_1)
	v_mov_b32_e32 v11, v5
	v_pk_mul_f32 v[4:5], v[6:7], v[2:3] op_sel:[0,1]
	v_pk_fma_f32 v[8:9], v[6:7], v[0:1], v[4:5] op_sel:[0,0,1] op_sel_hi:[1,1,0] neg_lo:[0,0,1] neg_hi:[0,0,1]
	v_pk_fma_f32 v[4:5], v[6:7], v[0:1], v[4:5] op_sel:[0,0,1] op_sel_hi:[1,0,0]
	s_delay_alu instid0(VALU_DEP_1)
	v_mov_b32_e32 v9, v5
	ds_load_2addr_b64 v[4:7], v104 offset0:43 offset1:44
	v_pk_add_f32 v[176:177], v[176:177], v[10:11] neg_lo:[0,1] neg_hi:[0,1]
	v_pk_add_f32 v[178:179], v[178:179], v[8:9] neg_lo:[0,1] neg_hi:[0,1]
	s_wait_dscnt 0x0
	v_pk_mul_f32 v[8:9], v[4:5], v[2:3] op_sel:[0,1]
	s_delay_alu instid0(VALU_DEP_1) | instskip(SKIP_1) | instid1(VALU_DEP_1)
	v_pk_fma_f32 v[10:11], v[4:5], v[0:1], v[8:9] op_sel:[0,0,1] op_sel_hi:[1,1,0] neg_lo:[0,0,1] neg_hi:[0,0,1]
	v_pk_fma_f32 v[4:5], v[4:5], v[0:1], v[8:9] op_sel:[0,0,1] op_sel_hi:[1,0,0]
	v_mov_b32_e32 v11, v5
	v_pk_mul_f32 v[4:5], v[6:7], v[2:3] op_sel:[0,1]
	s_delay_alu instid0(VALU_DEP_1) | instskip(SKIP_1) | instid1(VALU_DEP_1)
	v_pk_fma_f32 v[8:9], v[6:7], v[0:1], v[4:5] op_sel:[0,0,1] op_sel_hi:[1,1,0] neg_lo:[0,0,1] neg_hi:[0,0,1]
	v_pk_fma_f32 v[4:5], v[6:7], v[0:1], v[4:5] op_sel:[0,0,1] op_sel_hi:[1,0,0]
	v_mov_b32_e32 v9, v5
	ds_load_2addr_b64 v[4:7], v104 offset0:45 offset1:46
	v_pk_add_f32 v[174:175], v[174:175], v[10:11] neg_lo:[0,1] neg_hi:[0,1]
	v_pk_add_f32 v[200:201], v[200:201], v[8:9] neg_lo:[0,1] neg_hi:[0,1]
	s_wait_dscnt 0x0
	v_dual_mul_f32 v8, v5, v3 :: v_dual_mul_f32 v10, v5, v0
	s_delay_alu instid0(VALU_DEP_1) | instskip(NEXT) | instid1(VALU_DEP_2)
	v_pk_fma_f32 v[8:9], v[4:5], v[24:25], v[8:9] op_sel_hi:[1,1,0] neg_lo:[0,0,1] neg_hi:[0,0,1]
	v_pk_fma_f32 v[4:5], v[4:5], v[24:25], v[10:11] op_sel:[1,0,0] op_sel_hi:[0,1,0]
	s_delay_alu instid0(VALU_DEP_1) | instskip(SKIP_1) | instid1(VALU_DEP_2)
	v_mov_b32_e32 v9, v5
	v_pk_mul_f32 v[4:5], v[6:7], v[2:3] op_sel:[0,1]
	v_pk_add_f32 v[194:195], v[194:195], v[8:9] neg_lo:[0,1] neg_hi:[0,1]
	s_delay_alu instid0(VALU_DEP_2) | instskip(SKIP_1) | instid1(VALU_DEP_1)
	v_pk_fma_f32 v[8:9], v[6:7], v[0:1], v[4:5] op_sel:[0,0,1] op_sel_hi:[1,1,0] neg_lo:[0,0,1] neg_hi:[0,0,1]
	v_pk_fma_f32 v[4:5], v[6:7], v[0:1], v[4:5] op_sel:[0,0,1] op_sel_hi:[1,0,0]
	v_mov_b32_e32 v9, v5
	ds_load_2addr_b64 v[4:7], v104 offset0:47 offset1:48
	v_pk_add_f32 v[198:199], v[198:199], v[8:9] neg_lo:[0,1] neg_hi:[0,1]
	s_wait_dscnt 0x0
	v_pk_mul_f32 v[8:9], v[4:5], v[2:3] op_sel:[0,1]
	s_delay_alu instid0(VALU_DEP_1) | instskip(SKIP_1) | instid1(VALU_DEP_1)
	v_pk_fma_f32 v[10:11], v[4:5], v[0:1], v[8:9] op_sel:[0,0,1] op_sel_hi:[1,1,0] neg_lo:[0,0,1] neg_hi:[0,0,1]
	v_pk_fma_f32 v[4:5], v[4:5], v[0:1], v[8:9] op_sel:[0,0,1] op_sel_hi:[1,0,0]
	v_mov_b32_e32 v11, v5
	v_pk_mul_f32 v[4:5], v[6:7], v[2:3] op_sel:[0,1]
	s_delay_alu instid0(VALU_DEP_2) | instskip(NEXT) | instid1(VALU_DEP_2)
	v_pk_add_f32 v[192:193], v[192:193], v[10:11] neg_lo:[0,1] neg_hi:[0,1]
	v_pk_fma_f32 v[8:9], v[6:7], v[0:1], v[4:5] op_sel:[0,0,1] op_sel_hi:[1,1,0] neg_lo:[0,0,1] neg_hi:[0,0,1]
	v_pk_fma_f32 v[4:5], v[6:7], v[0:1], v[4:5] op_sel:[0,0,1] op_sel_hi:[1,0,0]
	s_delay_alu instid0(VALU_DEP_1)
	v_mov_b32_e32 v9, v5
	ds_load_2addr_b64 v[4:7], v104 offset0:49 offset1:50
	v_pk_add_f32 v[196:197], v[196:197], v[8:9] neg_lo:[0,1] neg_hi:[0,1]
	s_wait_dscnt 0x0
	v_pk_mul_f32 v[8:9], v[4:5], v[2:3] op_sel:[0,1]
	v_pk_mul_f32 v[2:3], v[6:7], v[2:3] op_sel:[0,1]
	s_delay_alu instid0(VALU_DEP_2) | instskip(SKIP_1) | instid1(VALU_DEP_1)
	v_pk_fma_f32 v[10:11], v[4:5], v[0:1], v[8:9] op_sel:[0,0,1] op_sel_hi:[1,1,0] neg_lo:[0,0,1] neg_hi:[0,0,1]
	v_pk_fma_f32 v[4:5], v[4:5], v[0:1], v[8:9] op_sel:[0,0,1] op_sel_hi:[1,0,0]
	v_mov_b32_e32 v11, v5
	s_delay_alu instid0(VALU_DEP_4) | instskip(SKIP_1) | instid1(VALU_DEP_3)
	v_pk_fma_f32 v[4:5], v[6:7], v[0:1], v[2:3] op_sel:[0,0,1] op_sel_hi:[1,1,0] neg_lo:[0,0,1] neg_hi:[0,0,1]
	v_pk_fma_f32 v[0:1], v[6:7], v[0:1], v[2:3] op_sel:[0,0,1] op_sel_hi:[1,0,0]
	v_pk_add_f32 v[202:203], v[202:203], v[10:11] neg_lo:[0,1] neg_hi:[0,1]
	s_delay_alu instid0(VALU_DEP_2) | instskip(NEXT) | instid1(VALU_DEP_1)
	v_mov_b32_e32 v5, v1
	v_pk_add_f32 v[204:205], v[204:205], v[4:5] neg_lo:[0,1] neg_hi:[0,1]
.LBB101_64:
	s_wait_xcnt 0x0
	s_or_b32 exec_lo, exec_lo, s1
	s_delay_alu instid0(SALU_CYCLE_1)
	s_mov_b32 s2, exec_lo
	s_wait_storecnt 0x0
	s_barrier_signal -1
	s_barrier_wait -1
	v_cmpx_eq_u32_e32 7, v102
	s_cbranch_execz .LBB101_71
; %bb.65:
	v_dual_mov_b32 v0, v40 :: v_dual_mov_b32 v1, v41
	v_dual_mov_b32 v2, v36 :: v_dual_mov_b32 v3, v37
	;; [unrolled: 1-line block ×8, first 2 shown]
	ds_store_b64 v103, v[20:21]
	ds_store_2addr_b64 v104, v[0:1], v[2:3] offset0:8 offset1:9
	ds_store_2addr_b64 v104, v[4:5], v[6:7] offset0:10 offset1:11
	ds_store_2addr_b64 v104, v[8:9], v[10:11] offset0:12 offset1:13
	ds_store_2addr_b64 v104, v[12:13], v[14:15] offset0:14 offset1:15
	v_dual_mov_b32 v0, v76 :: v_dual_mov_b32 v1, v77
	v_dual_mov_b32 v2, v72 :: v_dual_mov_b32 v3, v73
	;; [unrolled: 1-line block ×12, first 2 shown]
	ds_store_2addr_b64 v104, v[0:1], v[2:3] offset0:16 offset1:17
	ds_store_2addr_b64 v104, v[4:5], v[6:7] offset0:18 offset1:19
	;; [unrolled: 1-line block ×6, first 2 shown]
	v_dual_mov_b32 v0, v128 :: v_dual_mov_b32 v1, v129
	v_dual_mov_b32 v2, v124 :: v_dual_mov_b32 v3, v125
	;; [unrolled: 1-line block ×12, first 2 shown]
	ds_store_2addr_b64 v104, v[0:1], v[2:3] offset0:28 offset1:29
	ds_store_2addr_b64 v104, v[4:5], v[6:7] offset0:30 offset1:31
	ds_store_2addr_b64 v104, v[8:9], v[10:11] offset0:32 offset1:33
	ds_store_2addr_b64 v104, v[12:13], v[14:15] offset0:34 offset1:35
	ds_store_2addr_b64 v104, v[18:19], v[28:29] offset0:36 offset1:37
	ds_store_2addr_b64 v104, v[30:31], v[32:33] offset0:38 offset1:39
	v_dual_mov_b32 v0, v180 :: v_dual_mov_b32 v1, v181
	v_dual_mov_b32 v2, v176 :: v_dual_mov_b32 v3, v177
	v_dual_mov_b32 v4, v178 :: v_dual_mov_b32 v5, v179
	v_dual_mov_b32 v6, v174 :: v_dual_mov_b32 v7, v175
	v_dual_mov_b32 v8, v200 :: v_dual_mov_b32 v9, v201
	v_dual_mov_b32 v10, v194 :: v_dual_mov_b32 v11, v195
	v_dual_mov_b32 v12, v198 :: v_dual_mov_b32 v13, v199
	v_dual_mov_b32 v14, v192 :: v_dual_mov_b32 v15, v193
	v_dual_mov_b32 v18, v196 :: v_dual_mov_b32 v19, v197
	v_dual_mov_b32 v28, v202 :: v_dual_mov_b32 v29, v203
	ds_store_2addr_b64 v104, v[0:1], v[2:3] offset0:40 offset1:41
	ds_store_2addr_b64 v104, v[4:5], v[6:7] offset0:42 offset1:43
	;; [unrolled: 1-line block ×5, first 2 shown]
	ds_store_b64 v104, v[204:205] offset:400
	ds_load_b64 v[0:1], v103
	s_wait_dscnt 0x0
	v_cmp_neq_f32_e32 vcc_lo, 0, v0
	v_cmp_neq_f32_e64 s1, 0, v1
	s_or_b32 s1, vcc_lo, s1
	s_delay_alu instid0(SALU_CYCLE_1)
	s_and_b32 exec_lo, exec_lo, s1
	s_cbranch_execz .LBB101_71
; %bb.66:
	v_cmp_ngt_f32_e64 s1, |v0|, |v1|
                                        ; implicit-def: $vgpr2_vgpr3
	s_and_saveexec_b32 s4, s1
	s_delay_alu instid0(SALU_CYCLE_1)
	s_xor_b32 s1, exec_lo, s4
	s_cbranch_execz .LBB101_68
; %bb.67:
	v_div_scale_f32 v2, null, v1, v1, v0
	v_div_scale_f32 v5, vcc_lo, v0, v1, v0
	s_delay_alu instid0(VALU_DEP_2) | instskip(SKIP_1) | instid1(TRANS32_DEP_1)
	v_rcp_f32_e32 v3, v2
	v_nop
	v_fma_f32 v4, -v2, v3, 1.0
	s_delay_alu instid0(VALU_DEP_1) | instskip(NEXT) | instid1(VALU_DEP_1)
	v_fmac_f32_e32 v3, v4, v3
	v_mul_f32_e32 v4, v5, v3
	s_delay_alu instid0(VALU_DEP_1) | instskip(NEXT) | instid1(VALU_DEP_1)
	v_fma_f32 v6, -v2, v4, v5
	v_fmac_f32_e32 v4, v6, v3
	s_delay_alu instid0(VALU_DEP_1) | instskip(NEXT) | instid1(VALU_DEP_1)
	v_fma_f32 v2, -v2, v4, v5
	v_div_fmas_f32 v2, v2, v3, v4
	s_delay_alu instid0(VALU_DEP_1) | instskip(NEXT) | instid1(VALU_DEP_1)
	v_div_fixup_f32 v2, v2, v1, v0
	v_fmac_f32_e32 v1, v0, v2
	s_delay_alu instid0(VALU_DEP_1) | instskip(SKIP_1) | instid1(VALU_DEP_2)
	v_div_scale_f32 v0, null, v1, v1, 1.0
	v_div_scale_f32 v5, vcc_lo, 1.0, v1, 1.0
	v_rcp_f32_e32 v3, v0
	v_nop
	s_delay_alu instid0(TRANS32_DEP_1) | instskip(NEXT) | instid1(VALU_DEP_1)
	v_fma_f32 v4, -v0, v3, 1.0
	v_fmac_f32_e32 v3, v4, v3
	s_delay_alu instid0(VALU_DEP_1) | instskip(NEXT) | instid1(VALU_DEP_1)
	v_mul_f32_e32 v4, v5, v3
	v_fma_f32 v6, -v0, v4, v5
	s_delay_alu instid0(VALU_DEP_1) | instskip(NEXT) | instid1(VALU_DEP_1)
	v_fmac_f32_e32 v4, v6, v3
	v_fma_f32 v0, -v0, v4, v5
	s_delay_alu instid0(VALU_DEP_1) | instskip(NEXT) | instid1(VALU_DEP_1)
	v_div_fmas_f32 v0, v0, v3, v4
	v_div_fixup_f32 v0, v0, v1, 1.0
	s_delay_alu instid0(VALU_DEP_1)
	v_mul_f32_e32 v2, v2, v0
	v_xor_b32_e32 v3, 0x80000000, v0
                                        ; implicit-def: $vgpr0_vgpr1
.LBB101_68:
	s_and_not1_saveexec_b32 s1, s1
	s_cbranch_execz .LBB101_70
; %bb.69:
	v_div_scale_f32 v2, null, v0, v0, v1
	v_div_scale_f32 v5, vcc_lo, v1, v0, v1
	s_delay_alu instid0(VALU_DEP_2) | instskip(SKIP_1) | instid1(TRANS32_DEP_1)
	v_rcp_f32_e32 v3, v2
	v_nop
	v_fma_f32 v4, -v2, v3, 1.0
	s_delay_alu instid0(VALU_DEP_1) | instskip(NEXT) | instid1(VALU_DEP_1)
	v_fmac_f32_e32 v3, v4, v3
	v_mul_f32_e32 v4, v5, v3
	s_delay_alu instid0(VALU_DEP_1) | instskip(NEXT) | instid1(VALU_DEP_1)
	v_fma_f32 v6, -v2, v4, v5
	v_fmac_f32_e32 v4, v6, v3
	s_delay_alu instid0(VALU_DEP_1) | instskip(NEXT) | instid1(VALU_DEP_1)
	v_fma_f32 v2, -v2, v4, v5
	v_div_fmas_f32 v2, v2, v3, v4
	s_delay_alu instid0(VALU_DEP_1) | instskip(NEXT) | instid1(VALU_DEP_1)
	v_div_fixup_f32 v3, v2, v0, v1
	v_fmac_f32_e32 v0, v1, v3
	s_delay_alu instid0(VALU_DEP_1) | instskip(NEXT) | instid1(VALU_DEP_1)
	v_div_scale_f32 v1, null, v0, v0, 1.0
	v_rcp_f32_e32 v2, v1
	v_nop
	s_delay_alu instid0(TRANS32_DEP_1) | instskip(NEXT) | instid1(VALU_DEP_1)
	v_fma_f32 v4, -v1, v2, 1.0
	v_fmac_f32_e32 v2, v4, v2
	v_div_scale_f32 v4, vcc_lo, 1.0, v0, 1.0
	s_delay_alu instid0(VALU_DEP_1) | instskip(NEXT) | instid1(VALU_DEP_1)
	v_mul_f32_e32 v5, v4, v2
	v_fma_f32 v6, -v1, v5, v4
	s_delay_alu instid0(VALU_DEP_1) | instskip(NEXT) | instid1(VALU_DEP_1)
	v_fmac_f32_e32 v5, v6, v2
	v_fma_f32 v1, -v1, v5, v4
	s_delay_alu instid0(VALU_DEP_1) | instskip(NEXT) | instid1(VALU_DEP_1)
	v_div_fmas_f32 v1, v1, v2, v5
	v_div_fixup_f32 v2, v1, v0, 1.0
	s_delay_alu instid0(VALU_DEP_1)
	v_mul_f32_e64 v3, v3, -v2
.LBB101_70:
	s_or_b32 exec_lo, exec_lo, s1
	ds_store_b64 v103, v[2:3]
.LBB101_71:
	s_or_b32 exec_lo, exec_lo, s2
	s_wait_dscnt 0x0
	s_barrier_signal -1
	s_barrier_wait -1
	ds_load_b64 v[0:1], v103
	s_mov_b32 s1, exec_lo
	s_wait_dscnt 0x0
	scratch_store_b64 off, v[0:1], off offset:104 ; 8-byte Folded Spill
	s_wait_xcnt 0x0
	v_cmpx_lt_u32_e32 7, v102
	s_cbranch_execz .LBB101_73
; %bb.72:
	scratch_load_b64 v[4:5], off, off offset:104 ; 8-byte Folded Reload
	s_wait_loadcnt 0x0
	v_pk_mul_f32 v[2:3], v[4:5], v[20:21] op_sel:[1,1] op_sel_hi:[0,1]
	s_delay_alu instid0(VALU_DEP_1)
	v_pk_fma_f32 v[0:1], v[4:5], v[20:21], v[2:3] op_sel_hi:[1,0,1] neg_lo:[0,0,1] neg_hi:[0,0,1]
	v_pk_fma_f32 v[2:3], v[4:5], v[20:21], v[2:3] op_sel_hi:[1,0,1]
	ds_load_2addr_b64 v[4:7], v104 offset0:8 offset1:9
	v_dual_mov_b32 v20, v0 :: v_dual_mov_b32 v21, v3
	s_wait_dscnt 0x0
	v_pk_mul_f32 v[8:9], v[4:5], v[2:3] op_sel:[0,1]
	s_delay_alu instid0(VALU_DEP_1) | instskip(SKIP_1) | instid1(VALU_DEP_1)
	v_pk_fma_f32 v[10:11], v[4:5], v[0:1], v[8:9] op_sel:[0,0,1] op_sel_hi:[1,1,0] neg_lo:[0,0,1] neg_hi:[0,0,1]
	v_pk_fma_f32 v[4:5], v[4:5], v[0:1], v[8:9] op_sel:[0,0,1] op_sel_hi:[1,0,0]
	v_mov_b32_e32 v11, v5
	v_pk_mul_f32 v[4:5], v[6:7], v[2:3] op_sel:[0,1]
	s_delay_alu instid0(VALU_DEP_1) | instskip(SKIP_1) | instid1(VALU_DEP_1)
	v_pk_fma_f32 v[8:9], v[6:7], v[0:1], v[4:5] op_sel:[0,0,1] op_sel_hi:[1,1,0] neg_lo:[0,0,1] neg_hi:[0,0,1]
	v_pk_fma_f32 v[4:5], v[6:7], v[0:1], v[4:5] op_sel:[0,0,1] op_sel_hi:[1,0,0]
	v_mov_b32_e32 v9, v5
	ds_load_2addr_b64 v[4:7], v104 offset0:10 offset1:11
	v_pk_add_f32 v[40:41], v[40:41], v[10:11] neg_lo:[0,1] neg_hi:[0,1]
	v_pk_add_f32 v[36:37], v[36:37], v[8:9] neg_lo:[0,1] neg_hi:[0,1]
	s_wait_dscnt 0x0
	v_pk_mul_f32 v[8:9], v[4:5], v[2:3] op_sel:[0,1]
	s_delay_alu instid0(VALU_DEP_1) | instskip(SKIP_2) | instid1(VALU_DEP_2)
	v_pk_fma_f32 v[10:11], v[4:5], v[0:1], v[8:9] op_sel:[0,0,1] op_sel_hi:[1,1,0] neg_lo:[0,0,1] neg_hi:[0,0,1]
	v_pk_fma_f32 v[4:5], v[4:5], v[0:1], v[8:9] op_sel:[0,0,1] op_sel_hi:[1,0,0]
	v_dual_mul_f32 v8, v7, v3 :: v_dual_mov_b32 v4, v7
	v_dual_mov_b32 v11, v5 :: v_dual_mov_b32 v5, v6
	s_delay_alu instid0(VALU_DEP_2) | instskip(SKIP_1) | instid1(VALU_DEP_3)
	v_pk_fma_f32 v[8:9], v[6:7], v[20:21], v[8:9] op_sel_hi:[1,1,0] neg_lo:[0,0,1] neg_hi:[0,0,1]
	v_mul_f32_e32 v6, v7, v0
	v_pk_add_f32 v[38:39], v[38:39], v[10:11] neg_lo:[0,1] neg_hi:[0,1]
	s_delay_alu instid0(VALU_DEP_2) | instskip(NEXT) | instid1(VALU_DEP_1)
	v_pk_fma_f32 v[4:5], v[4:5], v[20:21], v[6:7] op_sel_hi:[1,1,0]
	v_mov_b32_e32 v9, v5
	ds_load_2addr_b64 v[4:7], v104 offset0:12 offset1:13
	v_pk_add_f32 v[34:35], v[34:35], v[8:9] neg_lo:[0,1] neg_hi:[0,1]
	s_wait_dscnt 0x0
	v_pk_mul_f32 v[8:9], v[4:5], v[2:3] op_sel:[0,1]
	s_delay_alu instid0(VALU_DEP_1) | instskip(SKIP_1) | instid1(VALU_DEP_1)
	v_pk_fma_f32 v[10:11], v[4:5], v[0:1], v[8:9] op_sel:[0,0,1] op_sel_hi:[1,1,0] neg_lo:[0,0,1] neg_hi:[0,0,1]
	v_pk_fma_f32 v[4:5], v[4:5], v[0:1], v[8:9] op_sel:[0,0,1] op_sel_hi:[1,0,0]
	v_mov_b32_e32 v11, v5
	v_pk_mul_f32 v[4:5], v[6:7], v[2:3] op_sel:[0,1]
	s_delay_alu instid0(VALU_DEP_1) | instskip(SKIP_1) | instid1(VALU_DEP_1)
	v_pk_fma_f32 v[8:9], v[6:7], v[0:1], v[4:5] op_sel:[0,0,1] op_sel_hi:[1,1,0] neg_lo:[0,0,1] neg_hi:[0,0,1]
	v_pk_fma_f32 v[4:5], v[6:7], v[0:1], v[4:5] op_sel:[0,0,1] op_sel_hi:[1,0,0]
	v_mov_b32_e32 v9, v5
	ds_load_2addr_b64 v[4:7], v104 offset0:14 offset1:15
	v_pk_add_f32 v[58:59], v[58:59], v[10:11] neg_lo:[0,1] neg_hi:[0,1]
	v_pk_add_f32 v[54:55], v[54:55], v[8:9] neg_lo:[0,1] neg_hi:[0,1]
	s_wait_dscnt 0x0
	v_pk_mul_f32 v[8:9], v[4:5], v[2:3] op_sel:[0,1]
	s_delay_alu instid0(VALU_DEP_1) | instskip(SKIP_1) | instid1(VALU_DEP_1)
	v_pk_fma_f32 v[10:11], v[4:5], v[0:1], v[8:9] op_sel:[0,0,1] op_sel_hi:[1,1,0] neg_lo:[0,0,1] neg_hi:[0,0,1]
	v_pk_fma_f32 v[4:5], v[4:5], v[0:1], v[8:9] op_sel:[0,0,1] op_sel_hi:[1,0,0]
	v_mov_b32_e32 v11, v5
	v_pk_mul_f32 v[4:5], v[6:7], v[2:3] op_sel:[0,1]
	s_delay_alu instid0(VALU_DEP_1) | instskip(SKIP_1) | instid1(VALU_DEP_1)
	v_pk_fma_f32 v[8:9], v[6:7], v[0:1], v[4:5] op_sel:[0,0,1] op_sel_hi:[1,1,0] neg_lo:[0,0,1] neg_hi:[0,0,1]
	v_pk_fma_f32 v[4:5], v[6:7], v[0:1], v[4:5] op_sel:[0,0,1] op_sel_hi:[1,0,0]
	v_mov_b32_e32 v9, v5
	ds_load_2addr_b64 v[4:7], v104 offset0:16 offset1:17
	v_pk_add_f32 v[56:57], v[56:57], v[10:11] neg_lo:[0,1] neg_hi:[0,1]
	v_pk_add_f32 v[52:53], v[52:53], v[8:9] neg_lo:[0,1] neg_hi:[0,1]
	s_wait_dscnt 0x0
	v_dual_mul_f32 v8, v5, v3 :: v_dual_mul_f32 v10, v5, v0
	s_delay_alu instid0(VALU_DEP_1) | instskip(NEXT) | instid1(VALU_DEP_2)
	v_pk_fma_f32 v[8:9], v[4:5], v[20:21], v[8:9] op_sel_hi:[1,1,0] neg_lo:[0,0,1] neg_hi:[0,0,1]
	v_pk_fma_f32 v[4:5], v[4:5], v[20:21], v[10:11] op_sel:[1,0,0] op_sel_hi:[0,1,0]
	s_delay_alu instid0(VALU_DEP_1) | instskip(SKIP_1) | instid1(VALU_DEP_2)
	v_mov_b32_e32 v9, v5
	v_pk_mul_f32 v[4:5], v[6:7], v[2:3] op_sel:[0,1]
	v_pk_add_f32 v[76:77], v[76:77], v[8:9] neg_lo:[0,1] neg_hi:[0,1]
	s_delay_alu instid0(VALU_DEP_2) | instskip(SKIP_1) | instid1(VALU_DEP_1)
	v_pk_fma_f32 v[8:9], v[6:7], v[0:1], v[4:5] op_sel:[0,0,1] op_sel_hi:[1,1,0] neg_lo:[0,0,1] neg_hi:[0,0,1]
	v_pk_fma_f32 v[4:5], v[6:7], v[0:1], v[4:5] op_sel:[0,0,1] op_sel_hi:[1,0,0]
	v_mov_b32_e32 v9, v5
	ds_load_2addr_b64 v[4:7], v104 offset0:18 offset1:19
	v_pk_add_f32 v[72:73], v[72:73], v[8:9] neg_lo:[0,1] neg_hi:[0,1]
	s_wait_dscnt 0x0
	v_pk_mul_f32 v[8:9], v[4:5], v[2:3] op_sel:[0,1]
	s_delay_alu instid0(VALU_DEP_1) | instskip(SKIP_1) | instid1(VALU_DEP_1)
	v_pk_fma_f32 v[10:11], v[4:5], v[0:1], v[8:9] op_sel:[0,0,1] op_sel_hi:[1,1,0] neg_lo:[0,0,1] neg_hi:[0,0,1]
	v_pk_fma_f32 v[4:5], v[4:5], v[0:1], v[8:9] op_sel:[0,0,1] op_sel_hi:[1,0,0]
	v_mov_b32_e32 v11, v5
	v_pk_mul_f32 v[4:5], v[6:7], v[2:3] op_sel:[0,1]
	s_delay_alu instid0(VALU_DEP_2) | instskip(NEXT) | instid1(VALU_DEP_2)
	v_pk_add_f32 v[74:75], v[74:75], v[10:11] neg_lo:[0,1] neg_hi:[0,1]
	v_pk_fma_f32 v[8:9], v[6:7], v[0:1], v[4:5] op_sel:[0,0,1] op_sel_hi:[1,1,0] neg_lo:[0,0,1] neg_hi:[0,0,1]
	v_pk_fma_f32 v[4:5], v[6:7], v[0:1], v[4:5] op_sel:[0,0,1] op_sel_hi:[1,0,0]
	s_delay_alu instid0(VALU_DEP_1) | instskip(SKIP_4) | instid1(VALU_DEP_1)
	v_mov_b32_e32 v9, v5
	ds_load_2addr_b64 v[4:7], v104 offset0:20 offset1:21
	v_pk_add_f32 v[70:71], v[70:71], v[8:9] neg_lo:[0,1] neg_hi:[0,1]
	s_wait_dscnt 0x0
	v_pk_mul_f32 v[8:9], v[4:5], v[2:3] op_sel:[0,1]
	v_pk_fma_f32 v[10:11], v[4:5], v[0:1], v[8:9] op_sel:[0,0,1] op_sel_hi:[1,1,0] neg_lo:[0,0,1] neg_hi:[0,0,1]
	v_pk_fma_f32 v[4:5], v[4:5], v[0:1], v[8:9] op_sel:[0,0,1] op_sel_hi:[1,0,0]
	v_dual_mul_f32 v8, v7, v3 :: v_dual_mov_b32 v4, v7
	s_delay_alu instid0(VALU_DEP_2) | instskip(NEXT) | instid1(VALU_DEP_2)
	v_dual_mov_b32 v11, v5 :: v_dual_mov_b32 v5, v6
	v_pk_fma_f32 v[8:9], v[6:7], v[20:21], v[8:9] op_sel_hi:[1,1,0] neg_lo:[0,0,1] neg_hi:[0,0,1]
	v_mul_f32_e32 v6, v7, v0
	s_delay_alu instid0(VALU_DEP_3) | instskip(NEXT) | instid1(VALU_DEP_2)
	v_pk_add_f32 v[94:95], v[94:95], v[10:11] neg_lo:[0,1] neg_hi:[0,1]
	v_pk_fma_f32 v[4:5], v[4:5], v[20:21], v[6:7] op_sel_hi:[1,1,0]
	s_delay_alu instid0(VALU_DEP_1) | instskip(SKIP_4) | instid1(VALU_DEP_1)
	v_mov_b32_e32 v9, v5
	ds_load_2addr_b64 v[4:7], v104 offset0:22 offset1:23
	v_pk_add_f32 v[90:91], v[90:91], v[8:9] neg_lo:[0,1] neg_hi:[0,1]
	s_wait_dscnt 0x0
	v_pk_mul_f32 v[8:9], v[4:5], v[2:3] op_sel:[0,1]
	v_pk_fma_f32 v[10:11], v[4:5], v[0:1], v[8:9] op_sel:[0,0,1] op_sel_hi:[1,1,0] neg_lo:[0,0,1] neg_hi:[0,0,1]
	v_pk_fma_f32 v[4:5], v[4:5], v[0:1], v[8:9] op_sel:[0,0,1] op_sel_hi:[1,0,0]
	s_delay_alu instid0(VALU_DEP_1) | instskip(SKIP_1) | instid1(VALU_DEP_1)
	v_mov_b32_e32 v11, v5
	v_pk_mul_f32 v[4:5], v[6:7], v[2:3] op_sel:[0,1]
	v_pk_fma_f32 v[8:9], v[6:7], v[0:1], v[4:5] op_sel:[0,0,1] op_sel_hi:[1,1,0] neg_lo:[0,0,1] neg_hi:[0,0,1]
	v_pk_fma_f32 v[4:5], v[6:7], v[0:1], v[4:5] op_sel:[0,0,1] op_sel_hi:[1,0,0]
	s_delay_alu instid0(VALU_DEP_1)
	v_mov_b32_e32 v9, v5
	ds_load_2addr_b64 v[4:7], v104 offset0:24 offset1:25
	v_pk_add_f32 v[92:93], v[92:93], v[10:11] neg_lo:[0,1] neg_hi:[0,1]
	v_pk_add_f32 v[88:89], v[88:89], v[8:9] neg_lo:[0,1] neg_hi:[0,1]
	s_wait_dscnt 0x0
	v_pk_mul_f32 v[8:9], v[4:5], v[2:3] op_sel:[0,1]
	s_delay_alu instid0(VALU_DEP_1) | instskip(SKIP_1) | instid1(VALU_DEP_1)
	v_pk_fma_f32 v[10:11], v[4:5], v[0:1], v[8:9] op_sel:[0,0,1] op_sel_hi:[1,1,0] neg_lo:[0,0,1] neg_hi:[0,0,1]
	v_pk_fma_f32 v[4:5], v[4:5], v[0:1], v[8:9] op_sel:[0,0,1] op_sel_hi:[1,0,0]
	v_mov_b32_e32 v11, v5
	v_pk_mul_f32 v[4:5], v[6:7], v[2:3] op_sel:[0,1]
	s_delay_alu instid0(VALU_DEP_1) | instskip(SKIP_1) | instid1(VALU_DEP_1)
	v_pk_fma_f32 v[8:9], v[6:7], v[0:1], v[4:5] op_sel:[0,0,1] op_sel_hi:[1,1,0] neg_lo:[0,0,1] neg_hi:[0,0,1]
	v_pk_fma_f32 v[4:5], v[6:7], v[0:1], v[4:5] op_sel:[0,0,1] op_sel_hi:[1,0,0]
	v_mov_b32_e32 v9, v5
	ds_load_2addr_b64 v[4:7], v104 offset0:26 offset1:27
	v_pk_add_f32 v[112:113], v[112:113], v[10:11] neg_lo:[0,1] neg_hi:[0,1]
	v_pk_add_f32 v[108:109], v[108:109], v[8:9] neg_lo:[0,1] neg_hi:[0,1]
	s_wait_dscnt 0x0
	v_dual_mul_f32 v8, v5, v3 :: v_dual_mul_f32 v10, v5, v0
	s_delay_alu instid0(VALU_DEP_1) | instskip(NEXT) | instid1(VALU_DEP_2)
	v_pk_fma_f32 v[8:9], v[4:5], v[20:21], v[8:9] op_sel_hi:[1,1,0] neg_lo:[0,0,1] neg_hi:[0,0,1]
	v_pk_fma_f32 v[4:5], v[4:5], v[20:21], v[10:11] op_sel:[1,0,0] op_sel_hi:[0,1,0]
	s_delay_alu instid0(VALU_DEP_1) | instskip(SKIP_1) | instid1(VALU_DEP_2)
	v_mov_b32_e32 v9, v5
	v_pk_mul_f32 v[4:5], v[6:7], v[2:3] op_sel:[0,1]
	v_pk_add_f32 v[110:111], v[110:111], v[8:9] neg_lo:[0,1] neg_hi:[0,1]
	s_delay_alu instid0(VALU_DEP_2) | instskip(SKIP_1) | instid1(VALU_DEP_1)
	v_pk_fma_f32 v[8:9], v[6:7], v[0:1], v[4:5] op_sel:[0,0,1] op_sel_hi:[1,1,0] neg_lo:[0,0,1] neg_hi:[0,0,1]
	v_pk_fma_f32 v[4:5], v[6:7], v[0:1], v[4:5] op_sel:[0,0,1] op_sel_hi:[1,0,0]
	v_mov_b32_e32 v9, v5
	ds_load_2addr_b64 v[4:7], v104 offset0:28 offset1:29
	v_pk_add_f32 v[106:107], v[106:107], v[8:9] neg_lo:[0,1] neg_hi:[0,1]
	s_wait_dscnt 0x0
	v_pk_mul_f32 v[8:9], v[4:5], v[2:3] op_sel:[0,1]
	s_delay_alu instid0(VALU_DEP_1) | instskip(SKIP_1) | instid1(VALU_DEP_1)
	v_pk_fma_f32 v[10:11], v[4:5], v[0:1], v[8:9] op_sel:[0,0,1] op_sel_hi:[1,1,0] neg_lo:[0,0,1] neg_hi:[0,0,1]
	v_pk_fma_f32 v[4:5], v[4:5], v[0:1], v[8:9] op_sel:[0,0,1] op_sel_hi:[1,0,0]
	v_mov_b32_e32 v11, v5
	v_pk_mul_f32 v[4:5], v[6:7], v[2:3] op_sel:[0,1]
	s_delay_alu instid0(VALU_DEP_2) | instskip(NEXT) | instid1(VALU_DEP_2)
	v_pk_add_f32 v[128:129], v[128:129], v[10:11] neg_lo:[0,1] neg_hi:[0,1]
	v_pk_fma_f32 v[8:9], v[6:7], v[0:1], v[4:5] op_sel:[0,0,1] op_sel_hi:[1,1,0] neg_lo:[0,0,1] neg_hi:[0,0,1]
	v_pk_fma_f32 v[4:5], v[6:7], v[0:1], v[4:5] op_sel:[0,0,1] op_sel_hi:[1,0,0]
	s_delay_alu instid0(VALU_DEP_1) | instskip(SKIP_4) | instid1(VALU_DEP_1)
	v_mov_b32_e32 v9, v5
	ds_load_2addr_b64 v[4:7], v104 offset0:30 offset1:31
	v_pk_add_f32 v[124:125], v[124:125], v[8:9] neg_lo:[0,1] neg_hi:[0,1]
	s_wait_dscnt 0x0
	v_pk_mul_f32 v[8:9], v[4:5], v[2:3] op_sel:[0,1]
	v_pk_fma_f32 v[10:11], v[4:5], v[0:1], v[8:9] op_sel:[0,0,1] op_sel_hi:[1,1,0] neg_lo:[0,0,1] neg_hi:[0,0,1]
	v_pk_fma_f32 v[4:5], v[4:5], v[0:1], v[8:9] op_sel:[0,0,1] op_sel_hi:[1,0,0]
	v_dual_mul_f32 v8, v7, v3 :: v_dual_mov_b32 v4, v7
	s_delay_alu instid0(VALU_DEP_2) | instskip(NEXT) | instid1(VALU_DEP_2)
	v_dual_mov_b32 v11, v5 :: v_dual_mov_b32 v5, v6
	v_pk_fma_f32 v[8:9], v[6:7], v[20:21], v[8:9] op_sel_hi:[1,1,0] neg_lo:[0,0,1] neg_hi:[0,0,1]
	v_mul_f32_e32 v6, v7, v0
	s_delay_alu instid0(VALU_DEP_3) | instskip(NEXT) | instid1(VALU_DEP_2)
	v_pk_add_f32 v[126:127], v[126:127], v[10:11] neg_lo:[0,1] neg_hi:[0,1]
	v_pk_fma_f32 v[4:5], v[4:5], v[20:21], v[6:7] op_sel_hi:[1,1,0]
	s_delay_alu instid0(VALU_DEP_1) | instskip(SKIP_4) | instid1(VALU_DEP_1)
	v_mov_b32_e32 v9, v5
	ds_load_2addr_b64 v[4:7], v104 offset0:32 offset1:33
	v_pk_add_f32 v[122:123], v[122:123], v[8:9] neg_lo:[0,1] neg_hi:[0,1]
	s_wait_dscnt 0x0
	v_pk_mul_f32 v[8:9], v[4:5], v[2:3] op_sel:[0,1]
	v_pk_fma_f32 v[10:11], v[4:5], v[0:1], v[8:9] op_sel:[0,0,1] op_sel_hi:[1,1,0] neg_lo:[0,0,1] neg_hi:[0,0,1]
	v_pk_fma_f32 v[4:5], v[4:5], v[0:1], v[8:9] op_sel:[0,0,1] op_sel_hi:[1,0,0]
	s_delay_alu instid0(VALU_DEP_1) | instskip(SKIP_1) | instid1(VALU_DEP_1)
	v_mov_b32_e32 v11, v5
	v_pk_mul_f32 v[4:5], v[6:7], v[2:3] op_sel:[0,1]
	v_pk_fma_f32 v[8:9], v[6:7], v[0:1], v[4:5] op_sel:[0,0,1] op_sel_hi:[1,1,0] neg_lo:[0,0,1] neg_hi:[0,0,1]
	v_pk_fma_f32 v[4:5], v[6:7], v[0:1], v[4:5] op_sel:[0,0,1] op_sel_hi:[1,0,0]
	s_delay_alu instid0(VALU_DEP_1)
	v_mov_b32_e32 v9, v5
	ds_load_2addr_b64 v[4:7], v104 offset0:34 offset1:35
	v_pk_add_f32 v[146:147], v[146:147], v[10:11] neg_lo:[0,1] neg_hi:[0,1]
	v_pk_add_f32 v[142:143], v[142:143], v[8:9] neg_lo:[0,1] neg_hi:[0,1]
	s_wait_dscnt 0x0
	v_pk_mul_f32 v[8:9], v[4:5], v[2:3] op_sel:[0,1]
	s_delay_alu instid0(VALU_DEP_1) | instskip(SKIP_1) | instid1(VALU_DEP_1)
	v_pk_fma_f32 v[10:11], v[4:5], v[0:1], v[8:9] op_sel:[0,0,1] op_sel_hi:[1,1,0] neg_lo:[0,0,1] neg_hi:[0,0,1]
	v_pk_fma_f32 v[4:5], v[4:5], v[0:1], v[8:9] op_sel:[0,0,1] op_sel_hi:[1,0,0]
	v_mov_b32_e32 v11, v5
	v_pk_mul_f32 v[4:5], v[6:7], v[2:3] op_sel:[0,1]
	s_delay_alu instid0(VALU_DEP_1) | instskip(SKIP_1) | instid1(VALU_DEP_1)
	v_pk_fma_f32 v[8:9], v[6:7], v[0:1], v[4:5] op_sel:[0,0,1] op_sel_hi:[1,1,0] neg_lo:[0,0,1] neg_hi:[0,0,1]
	v_pk_fma_f32 v[4:5], v[6:7], v[0:1], v[4:5] op_sel:[0,0,1] op_sel_hi:[1,0,0]
	v_mov_b32_e32 v9, v5
	ds_load_2addr_b64 v[4:7], v104 offset0:36 offset1:37
	v_pk_add_f32 v[144:145], v[144:145], v[10:11] neg_lo:[0,1] neg_hi:[0,1]
	v_pk_add_f32 v[140:141], v[140:141], v[8:9] neg_lo:[0,1] neg_hi:[0,1]
	s_wait_dscnt 0x0
	v_dual_mul_f32 v8, v5, v3 :: v_dual_mul_f32 v10, v5, v0
	s_delay_alu instid0(VALU_DEP_1) | instskip(NEXT) | instid1(VALU_DEP_2)
	v_pk_fma_f32 v[8:9], v[4:5], v[20:21], v[8:9] op_sel_hi:[1,1,0] neg_lo:[0,0,1] neg_hi:[0,0,1]
	v_pk_fma_f32 v[4:5], v[4:5], v[20:21], v[10:11] op_sel:[1,0,0] op_sel_hi:[0,1,0]
	s_delay_alu instid0(VALU_DEP_1) | instskip(SKIP_1) | instid1(VALU_DEP_2)
	v_mov_b32_e32 v9, v5
	v_pk_mul_f32 v[4:5], v[6:7], v[2:3] op_sel:[0,1]
	v_pk_add_f32 v[162:163], v[162:163], v[8:9] neg_lo:[0,1] neg_hi:[0,1]
	s_delay_alu instid0(VALU_DEP_2) | instskip(SKIP_1) | instid1(VALU_DEP_1)
	v_pk_fma_f32 v[8:9], v[6:7], v[0:1], v[4:5] op_sel:[0,0,1] op_sel_hi:[1,1,0] neg_lo:[0,0,1] neg_hi:[0,0,1]
	v_pk_fma_f32 v[4:5], v[6:7], v[0:1], v[4:5] op_sel:[0,0,1] op_sel_hi:[1,0,0]
	v_mov_b32_e32 v9, v5
	ds_load_2addr_b64 v[4:7], v104 offset0:38 offset1:39
	v_pk_add_f32 v[158:159], v[158:159], v[8:9] neg_lo:[0,1] neg_hi:[0,1]
	s_wait_dscnt 0x0
	v_pk_mul_f32 v[8:9], v[4:5], v[2:3] op_sel:[0,1]
	s_delay_alu instid0(VALU_DEP_1) | instskip(SKIP_1) | instid1(VALU_DEP_1)
	v_pk_fma_f32 v[10:11], v[4:5], v[0:1], v[8:9] op_sel:[0,0,1] op_sel_hi:[1,1,0] neg_lo:[0,0,1] neg_hi:[0,0,1]
	v_pk_fma_f32 v[4:5], v[4:5], v[0:1], v[8:9] op_sel:[0,0,1] op_sel_hi:[1,0,0]
	v_mov_b32_e32 v11, v5
	v_pk_mul_f32 v[4:5], v[6:7], v[2:3] op_sel:[0,1]
	s_delay_alu instid0(VALU_DEP_2) | instskip(NEXT) | instid1(VALU_DEP_2)
	v_pk_add_f32 v[160:161], v[160:161], v[10:11] neg_lo:[0,1] neg_hi:[0,1]
	v_pk_fma_f32 v[8:9], v[6:7], v[0:1], v[4:5] op_sel:[0,0,1] op_sel_hi:[1,1,0] neg_lo:[0,0,1] neg_hi:[0,0,1]
	v_pk_fma_f32 v[4:5], v[6:7], v[0:1], v[4:5] op_sel:[0,0,1] op_sel_hi:[1,0,0]
	s_delay_alu instid0(VALU_DEP_1) | instskip(SKIP_4) | instid1(VALU_DEP_1)
	v_mov_b32_e32 v9, v5
	ds_load_2addr_b64 v[4:7], v104 offset0:40 offset1:41
	v_pk_add_f32 v[156:157], v[156:157], v[8:9] neg_lo:[0,1] neg_hi:[0,1]
	s_wait_dscnt 0x0
	v_pk_mul_f32 v[8:9], v[4:5], v[2:3] op_sel:[0,1]
	v_pk_fma_f32 v[10:11], v[4:5], v[0:1], v[8:9] op_sel:[0,0,1] op_sel_hi:[1,1,0] neg_lo:[0,0,1] neg_hi:[0,0,1]
	v_pk_fma_f32 v[4:5], v[4:5], v[0:1], v[8:9] op_sel:[0,0,1] op_sel_hi:[1,0,0]
	v_dual_mul_f32 v8, v7, v3 :: v_dual_mov_b32 v4, v7
	s_delay_alu instid0(VALU_DEP_2) | instskip(NEXT) | instid1(VALU_DEP_2)
	v_dual_mov_b32 v11, v5 :: v_dual_mov_b32 v5, v6
	v_pk_fma_f32 v[8:9], v[6:7], v[20:21], v[8:9] op_sel_hi:[1,1,0] neg_lo:[0,0,1] neg_hi:[0,0,1]
	v_mul_f32_e32 v6, v7, v0
	s_delay_alu instid0(VALU_DEP_3) | instskip(NEXT) | instid1(VALU_DEP_2)
	v_pk_add_f32 v[180:181], v[180:181], v[10:11] neg_lo:[0,1] neg_hi:[0,1]
	v_pk_fma_f32 v[4:5], v[4:5], v[20:21], v[6:7] op_sel_hi:[1,1,0]
	s_delay_alu instid0(VALU_DEP_1) | instskip(SKIP_4) | instid1(VALU_DEP_1)
	v_mov_b32_e32 v9, v5
	ds_load_2addr_b64 v[4:7], v104 offset0:42 offset1:43
	v_pk_add_f32 v[176:177], v[176:177], v[8:9] neg_lo:[0,1] neg_hi:[0,1]
	s_wait_dscnt 0x0
	v_pk_mul_f32 v[8:9], v[4:5], v[2:3] op_sel:[0,1]
	v_pk_fma_f32 v[10:11], v[4:5], v[0:1], v[8:9] op_sel:[0,0,1] op_sel_hi:[1,1,0] neg_lo:[0,0,1] neg_hi:[0,0,1]
	v_pk_fma_f32 v[4:5], v[4:5], v[0:1], v[8:9] op_sel:[0,0,1] op_sel_hi:[1,0,0]
	s_delay_alu instid0(VALU_DEP_1) | instskip(SKIP_1) | instid1(VALU_DEP_1)
	v_mov_b32_e32 v11, v5
	v_pk_mul_f32 v[4:5], v[6:7], v[2:3] op_sel:[0,1]
	v_pk_fma_f32 v[8:9], v[6:7], v[0:1], v[4:5] op_sel:[0,0,1] op_sel_hi:[1,1,0] neg_lo:[0,0,1] neg_hi:[0,0,1]
	v_pk_fma_f32 v[4:5], v[6:7], v[0:1], v[4:5] op_sel:[0,0,1] op_sel_hi:[1,0,0]
	s_delay_alu instid0(VALU_DEP_1)
	v_mov_b32_e32 v9, v5
	ds_load_2addr_b64 v[4:7], v104 offset0:44 offset1:45
	v_pk_add_f32 v[178:179], v[178:179], v[10:11] neg_lo:[0,1] neg_hi:[0,1]
	v_pk_add_f32 v[174:175], v[174:175], v[8:9] neg_lo:[0,1] neg_hi:[0,1]
	s_wait_dscnt 0x0
	v_pk_mul_f32 v[8:9], v[4:5], v[2:3] op_sel:[0,1]
	s_delay_alu instid0(VALU_DEP_1) | instskip(SKIP_1) | instid1(VALU_DEP_1)
	v_pk_fma_f32 v[10:11], v[4:5], v[0:1], v[8:9] op_sel:[0,0,1] op_sel_hi:[1,1,0] neg_lo:[0,0,1] neg_hi:[0,0,1]
	v_pk_fma_f32 v[4:5], v[4:5], v[0:1], v[8:9] op_sel:[0,0,1] op_sel_hi:[1,0,0]
	v_mov_b32_e32 v11, v5
	v_pk_mul_f32 v[4:5], v[6:7], v[2:3] op_sel:[0,1]
	s_delay_alu instid0(VALU_DEP_1) | instskip(SKIP_1) | instid1(VALU_DEP_1)
	v_pk_fma_f32 v[8:9], v[6:7], v[0:1], v[4:5] op_sel:[0,0,1] op_sel_hi:[1,1,0] neg_lo:[0,0,1] neg_hi:[0,0,1]
	v_pk_fma_f32 v[4:5], v[6:7], v[0:1], v[4:5] op_sel:[0,0,1] op_sel_hi:[1,0,0]
	v_mov_b32_e32 v9, v5
	ds_load_2addr_b64 v[4:7], v104 offset0:46 offset1:47
	v_pk_add_f32 v[200:201], v[200:201], v[10:11] neg_lo:[0,1] neg_hi:[0,1]
	v_pk_add_f32 v[194:195], v[194:195], v[8:9] neg_lo:[0,1] neg_hi:[0,1]
	s_wait_dscnt 0x0
	v_dual_mul_f32 v8, v5, v3 :: v_dual_mul_f32 v10, v5, v0
	s_delay_alu instid0(VALU_DEP_1) | instskip(NEXT) | instid1(VALU_DEP_2)
	v_pk_fma_f32 v[8:9], v[4:5], v[20:21], v[8:9] op_sel_hi:[1,1,0] neg_lo:[0,0,1] neg_hi:[0,0,1]
	v_pk_fma_f32 v[4:5], v[4:5], v[20:21], v[10:11] op_sel:[1,0,0] op_sel_hi:[0,1,0]
	s_delay_alu instid0(VALU_DEP_1) | instskip(SKIP_1) | instid1(VALU_DEP_2)
	v_mov_b32_e32 v9, v5
	v_pk_mul_f32 v[4:5], v[6:7], v[2:3] op_sel:[0,1]
	v_pk_add_f32 v[198:199], v[198:199], v[8:9] neg_lo:[0,1] neg_hi:[0,1]
	s_delay_alu instid0(VALU_DEP_2) | instskip(SKIP_1) | instid1(VALU_DEP_1)
	v_pk_fma_f32 v[8:9], v[6:7], v[0:1], v[4:5] op_sel:[0,0,1] op_sel_hi:[1,1,0] neg_lo:[0,0,1] neg_hi:[0,0,1]
	v_pk_fma_f32 v[4:5], v[6:7], v[0:1], v[4:5] op_sel:[0,0,1] op_sel_hi:[1,0,0]
	v_mov_b32_e32 v9, v5
	ds_load_2addr_b64 v[4:7], v104 offset0:48 offset1:49
	v_pk_add_f32 v[192:193], v[192:193], v[8:9] neg_lo:[0,1] neg_hi:[0,1]
	s_wait_dscnt 0x0
	v_pk_mul_f32 v[8:9], v[4:5], v[2:3] op_sel:[0,1]
	s_delay_alu instid0(VALU_DEP_1) | instskip(SKIP_1) | instid1(VALU_DEP_1)
	v_pk_fma_f32 v[10:11], v[4:5], v[0:1], v[8:9] op_sel:[0,0,1] op_sel_hi:[1,1,0] neg_lo:[0,0,1] neg_hi:[0,0,1]
	v_pk_fma_f32 v[4:5], v[4:5], v[0:1], v[8:9] op_sel:[0,0,1] op_sel_hi:[1,0,0]
	v_mov_b32_e32 v11, v5
	v_pk_mul_f32 v[4:5], v[6:7], v[2:3] op_sel:[0,1]
	s_delay_alu instid0(VALU_DEP_2) | instskip(NEXT) | instid1(VALU_DEP_2)
	v_pk_add_f32 v[196:197], v[196:197], v[10:11] neg_lo:[0,1] neg_hi:[0,1]
	v_pk_fma_f32 v[8:9], v[6:7], v[0:1], v[4:5] op_sel:[0,0,1] op_sel_hi:[1,1,0] neg_lo:[0,0,1] neg_hi:[0,0,1]
	v_pk_fma_f32 v[4:5], v[6:7], v[0:1], v[4:5] op_sel:[0,0,1] op_sel_hi:[1,0,0]
	s_delay_alu instid0(VALU_DEP_1) | instskip(SKIP_4) | instid1(VALU_DEP_1)
	v_mov_b32_e32 v9, v5
	ds_load_b64 v[4:5], v104 offset:400
	v_pk_add_f32 v[202:203], v[202:203], v[8:9] neg_lo:[0,1] neg_hi:[0,1]
	s_wait_dscnt 0x0
	v_pk_mul_f32 v[2:3], v[4:5], v[2:3] op_sel:[0,1]
	v_pk_fma_f32 v[6:7], v[4:5], v[0:1], v[2:3] op_sel:[0,0,1] op_sel_hi:[1,1,0] neg_lo:[0,0,1] neg_hi:[0,0,1]
	v_pk_fma_f32 v[0:1], v[4:5], v[0:1], v[2:3] op_sel:[0,0,1] op_sel_hi:[1,0,0]
	s_delay_alu instid0(VALU_DEP_1) | instskip(NEXT) | instid1(VALU_DEP_1)
	v_mov_b32_e32 v7, v1
	v_pk_add_f32 v[204:205], v[204:205], v[6:7] neg_lo:[0,1] neg_hi:[0,1]
.LBB101_73:
	s_wait_xcnt 0x0
	s_or_b32 exec_lo, exec_lo, s1
	s_delay_alu instid0(SALU_CYCLE_1)
	s_mov_b32 s2, exec_lo
	s_wait_storecnt 0x0
	s_barrier_signal -1
	s_barrier_wait -1
	v_cmpx_eq_u32_e32 8, v102
	s_cbranch_execz .LBB101_80
; %bb.74:
	ds_store_b64 v103, v[40:41]
	ds_store_2addr_b64 v104, v[36:37], v[38:39] offset0:9 offset1:10
	ds_store_2addr_b64 v104, v[34:35], v[58:59] offset0:11 offset1:12
	;; [unrolled: 1-line block ×21, first 2 shown]
	ds_load_b64 v[0:1], v103
	s_wait_dscnt 0x0
	v_cmp_neq_f32_e32 vcc_lo, 0, v0
	v_cmp_neq_f32_e64 s1, 0, v1
	s_or_b32 s1, vcc_lo, s1
	s_delay_alu instid0(SALU_CYCLE_1)
	s_and_b32 exec_lo, exec_lo, s1
	s_cbranch_execz .LBB101_80
; %bb.75:
	v_cmp_ngt_f32_e64 s1, |v0|, |v1|
                                        ; implicit-def: $vgpr2_vgpr3
	s_and_saveexec_b32 s4, s1
	s_delay_alu instid0(SALU_CYCLE_1)
	s_xor_b32 s1, exec_lo, s4
	s_cbranch_execz .LBB101_77
; %bb.76:
	v_div_scale_f32 v2, null, v1, v1, v0
	v_div_scale_f32 v5, vcc_lo, v0, v1, v0
	s_delay_alu instid0(VALU_DEP_2) | instskip(SKIP_1) | instid1(TRANS32_DEP_1)
	v_rcp_f32_e32 v3, v2
	v_nop
	v_fma_f32 v4, -v2, v3, 1.0
	s_delay_alu instid0(VALU_DEP_1) | instskip(NEXT) | instid1(VALU_DEP_1)
	v_fmac_f32_e32 v3, v4, v3
	v_mul_f32_e32 v4, v5, v3
	s_delay_alu instid0(VALU_DEP_1) | instskip(NEXT) | instid1(VALU_DEP_1)
	v_fma_f32 v6, -v2, v4, v5
	v_fmac_f32_e32 v4, v6, v3
	s_delay_alu instid0(VALU_DEP_1) | instskip(NEXT) | instid1(VALU_DEP_1)
	v_fma_f32 v2, -v2, v4, v5
	v_div_fmas_f32 v2, v2, v3, v4
	s_delay_alu instid0(VALU_DEP_1) | instskip(NEXT) | instid1(VALU_DEP_1)
	v_div_fixup_f32 v2, v2, v1, v0
	v_fmac_f32_e32 v1, v0, v2
	s_delay_alu instid0(VALU_DEP_1) | instskip(SKIP_1) | instid1(VALU_DEP_2)
	v_div_scale_f32 v0, null, v1, v1, 1.0
	v_div_scale_f32 v5, vcc_lo, 1.0, v1, 1.0
	v_rcp_f32_e32 v3, v0
	v_nop
	s_delay_alu instid0(TRANS32_DEP_1) | instskip(NEXT) | instid1(VALU_DEP_1)
	v_fma_f32 v4, -v0, v3, 1.0
	v_fmac_f32_e32 v3, v4, v3
	s_delay_alu instid0(VALU_DEP_1) | instskip(NEXT) | instid1(VALU_DEP_1)
	v_mul_f32_e32 v4, v5, v3
	v_fma_f32 v6, -v0, v4, v5
	s_delay_alu instid0(VALU_DEP_1) | instskip(NEXT) | instid1(VALU_DEP_1)
	v_fmac_f32_e32 v4, v6, v3
	v_fma_f32 v0, -v0, v4, v5
	s_delay_alu instid0(VALU_DEP_1) | instskip(NEXT) | instid1(VALU_DEP_1)
	v_div_fmas_f32 v0, v0, v3, v4
	v_div_fixup_f32 v0, v0, v1, 1.0
	s_delay_alu instid0(VALU_DEP_1)
	v_mul_f32_e32 v2, v2, v0
	v_xor_b32_e32 v3, 0x80000000, v0
                                        ; implicit-def: $vgpr0_vgpr1
.LBB101_77:
	s_and_not1_saveexec_b32 s1, s1
	s_cbranch_execz .LBB101_79
; %bb.78:
	v_div_scale_f32 v2, null, v0, v0, v1
	v_div_scale_f32 v5, vcc_lo, v1, v0, v1
	s_delay_alu instid0(VALU_DEP_2) | instskip(SKIP_1) | instid1(TRANS32_DEP_1)
	v_rcp_f32_e32 v3, v2
	v_nop
	v_fma_f32 v4, -v2, v3, 1.0
	s_delay_alu instid0(VALU_DEP_1) | instskip(NEXT) | instid1(VALU_DEP_1)
	v_fmac_f32_e32 v3, v4, v3
	v_mul_f32_e32 v4, v5, v3
	s_delay_alu instid0(VALU_DEP_1) | instskip(NEXT) | instid1(VALU_DEP_1)
	v_fma_f32 v6, -v2, v4, v5
	v_fmac_f32_e32 v4, v6, v3
	s_delay_alu instid0(VALU_DEP_1) | instskip(NEXT) | instid1(VALU_DEP_1)
	v_fma_f32 v2, -v2, v4, v5
	v_div_fmas_f32 v2, v2, v3, v4
	s_delay_alu instid0(VALU_DEP_1) | instskip(NEXT) | instid1(VALU_DEP_1)
	v_div_fixup_f32 v3, v2, v0, v1
	v_fmac_f32_e32 v0, v1, v3
	s_delay_alu instid0(VALU_DEP_1) | instskip(NEXT) | instid1(VALU_DEP_1)
	v_div_scale_f32 v1, null, v0, v0, 1.0
	v_rcp_f32_e32 v2, v1
	v_nop
	s_delay_alu instid0(TRANS32_DEP_1) | instskip(NEXT) | instid1(VALU_DEP_1)
	v_fma_f32 v4, -v1, v2, 1.0
	v_fmac_f32_e32 v2, v4, v2
	v_div_scale_f32 v4, vcc_lo, 1.0, v0, 1.0
	s_delay_alu instid0(VALU_DEP_1) | instskip(NEXT) | instid1(VALU_DEP_1)
	v_mul_f32_e32 v5, v4, v2
	v_fma_f32 v6, -v1, v5, v4
	s_delay_alu instid0(VALU_DEP_1) | instskip(NEXT) | instid1(VALU_DEP_1)
	v_fmac_f32_e32 v5, v6, v2
	v_fma_f32 v1, -v1, v5, v4
	s_delay_alu instid0(VALU_DEP_1) | instskip(NEXT) | instid1(VALU_DEP_1)
	v_div_fmas_f32 v1, v1, v2, v5
	v_div_fixup_f32 v2, v1, v0, 1.0
	s_delay_alu instid0(VALU_DEP_1)
	v_mul_f32_e64 v3, v3, -v2
.LBB101_79:
	s_or_b32 exec_lo, exec_lo, s1
	ds_store_b64 v103, v[2:3]
.LBB101_80:
	s_or_b32 exec_lo, exec_lo, s2
	s_wait_dscnt 0x0
	s_barrier_signal -1
	s_barrier_wait -1
	ds_load_b64 v[0:1], v103
	s_mov_b32 s1, exec_lo
	s_wait_dscnt 0x0
	scratch_store_b64 off, v[0:1], off offset:112 ; 8-byte Folded Spill
	s_wait_xcnt 0x0
	v_cmpx_lt_u32_e32 8, v102
	s_cbranch_execz .LBB101_82
; %bb.81:
	scratch_load_b64 v[4:5], off, off offset:112 ; 8-byte Folded Reload
	s_wait_loadcnt 0x0
	v_pk_mul_f32 v[2:3], v[4:5], v[40:41] op_sel:[1,1] op_sel_hi:[0,1]
	s_delay_alu instid0(VALU_DEP_1)
	v_pk_fma_f32 v[0:1], v[4:5], v[40:41], v[2:3] op_sel_hi:[1,0,1] neg_lo:[0,0,1] neg_hi:[0,0,1]
	v_pk_fma_f32 v[2:3], v[4:5], v[40:41], v[2:3] op_sel_hi:[1,0,1]
	ds_load_2addr_b64 v[4:7], v104 offset0:9 offset1:10
	v_dual_mov_b32 v40, v0 :: v_dual_mov_b32 v41, v3
	s_wait_dscnt 0x0
	v_pk_mul_f32 v[8:9], v[4:5], v[2:3] op_sel:[0,1]
	s_delay_alu instid0(VALU_DEP_1) | instskip(SKIP_1) | instid1(VALU_DEP_1)
	v_pk_fma_f32 v[10:11], v[4:5], v[0:1], v[8:9] op_sel:[0,0,1] op_sel_hi:[1,1,0] neg_lo:[0,0,1] neg_hi:[0,0,1]
	v_pk_fma_f32 v[4:5], v[4:5], v[0:1], v[8:9] op_sel:[0,0,1] op_sel_hi:[1,0,0]
	v_mov_b32_e32 v11, v5
	v_pk_mul_f32 v[4:5], v[6:7], v[2:3] op_sel:[0,1]
	s_delay_alu instid0(VALU_DEP_1) | instskip(SKIP_1) | instid1(VALU_DEP_1)
	v_pk_fma_f32 v[8:9], v[6:7], v[0:1], v[4:5] op_sel:[0,0,1] op_sel_hi:[1,1,0] neg_lo:[0,0,1] neg_hi:[0,0,1]
	v_pk_fma_f32 v[4:5], v[6:7], v[0:1], v[4:5] op_sel:[0,0,1] op_sel_hi:[1,0,0]
	v_mov_b32_e32 v9, v5
	ds_load_2addr_b64 v[4:7], v104 offset0:11 offset1:12
	v_pk_add_f32 v[36:37], v[36:37], v[10:11] neg_lo:[0,1] neg_hi:[0,1]
	v_pk_add_f32 v[38:39], v[38:39], v[8:9] neg_lo:[0,1] neg_hi:[0,1]
	s_wait_dscnt 0x0
	v_pk_mul_f32 v[8:9], v[4:5], v[2:3] op_sel:[0,1]
	s_delay_alu instid0(VALU_DEP_1) | instskip(SKIP_2) | instid1(VALU_DEP_2)
	v_pk_fma_f32 v[10:11], v[4:5], v[0:1], v[8:9] op_sel:[0,0,1] op_sel_hi:[1,1,0] neg_lo:[0,0,1] neg_hi:[0,0,1]
	v_pk_fma_f32 v[4:5], v[4:5], v[0:1], v[8:9] op_sel:[0,0,1] op_sel_hi:[1,0,0]
	v_dual_mul_f32 v8, v7, v3 :: v_dual_mov_b32 v4, v7
	v_dual_mov_b32 v11, v5 :: v_dual_mov_b32 v5, v6
	s_delay_alu instid0(VALU_DEP_2) | instskip(SKIP_1) | instid1(VALU_DEP_3)
	v_pk_fma_f32 v[8:9], v[6:7], v[40:41], v[8:9] op_sel_hi:[1,1,0] neg_lo:[0,0,1] neg_hi:[0,0,1]
	v_mul_f32_e32 v6, v7, v0
	v_pk_add_f32 v[34:35], v[34:35], v[10:11] neg_lo:[0,1] neg_hi:[0,1]
	s_delay_alu instid0(VALU_DEP_2) | instskip(NEXT) | instid1(VALU_DEP_1)
	v_pk_fma_f32 v[4:5], v[4:5], v[40:41], v[6:7] op_sel_hi:[1,1,0]
	v_mov_b32_e32 v9, v5
	ds_load_2addr_b64 v[4:7], v104 offset0:13 offset1:14
	v_pk_add_f32 v[58:59], v[58:59], v[8:9] neg_lo:[0,1] neg_hi:[0,1]
	s_wait_dscnt 0x0
	v_pk_mul_f32 v[8:9], v[4:5], v[2:3] op_sel:[0,1]
	s_delay_alu instid0(VALU_DEP_1) | instskip(SKIP_1) | instid1(VALU_DEP_1)
	v_pk_fma_f32 v[10:11], v[4:5], v[0:1], v[8:9] op_sel:[0,0,1] op_sel_hi:[1,1,0] neg_lo:[0,0,1] neg_hi:[0,0,1]
	v_pk_fma_f32 v[4:5], v[4:5], v[0:1], v[8:9] op_sel:[0,0,1] op_sel_hi:[1,0,0]
	v_mov_b32_e32 v11, v5
	v_pk_mul_f32 v[4:5], v[6:7], v[2:3] op_sel:[0,1]
	s_delay_alu instid0(VALU_DEP_1) | instskip(SKIP_1) | instid1(VALU_DEP_1)
	v_pk_fma_f32 v[8:9], v[6:7], v[0:1], v[4:5] op_sel:[0,0,1] op_sel_hi:[1,1,0] neg_lo:[0,0,1] neg_hi:[0,0,1]
	v_pk_fma_f32 v[4:5], v[6:7], v[0:1], v[4:5] op_sel:[0,0,1] op_sel_hi:[1,0,0]
	v_mov_b32_e32 v9, v5
	ds_load_2addr_b64 v[4:7], v104 offset0:15 offset1:16
	v_pk_add_f32 v[54:55], v[54:55], v[10:11] neg_lo:[0,1] neg_hi:[0,1]
	v_pk_add_f32 v[56:57], v[56:57], v[8:9] neg_lo:[0,1] neg_hi:[0,1]
	s_wait_dscnt 0x0
	v_pk_mul_f32 v[8:9], v[4:5], v[2:3] op_sel:[0,1]
	s_delay_alu instid0(VALU_DEP_1) | instskip(SKIP_1) | instid1(VALU_DEP_1)
	v_pk_fma_f32 v[10:11], v[4:5], v[0:1], v[8:9] op_sel:[0,0,1] op_sel_hi:[1,1,0] neg_lo:[0,0,1] neg_hi:[0,0,1]
	v_pk_fma_f32 v[4:5], v[4:5], v[0:1], v[8:9] op_sel:[0,0,1] op_sel_hi:[1,0,0]
	v_mov_b32_e32 v11, v5
	v_pk_mul_f32 v[4:5], v[6:7], v[2:3] op_sel:[0,1]
	s_delay_alu instid0(VALU_DEP_1) | instskip(SKIP_1) | instid1(VALU_DEP_1)
	v_pk_fma_f32 v[8:9], v[6:7], v[0:1], v[4:5] op_sel:[0,0,1] op_sel_hi:[1,1,0] neg_lo:[0,0,1] neg_hi:[0,0,1]
	v_pk_fma_f32 v[4:5], v[6:7], v[0:1], v[4:5] op_sel:[0,0,1] op_sel_hi:[1,0,0]
	v_mov_b32_e32 v9, v5
	ds_load_2addr_b64 v[4:7], v104 offset0:17 offset1:18
	v_pk_add_f32 v[52:53], v[52:53], v[10:11] neg_lo:[0,1] neg_hi:[0,1]
	v_pk_add_f32 v[76:77], v[76:77], v[8:9] neg_lo:[0,1] neg_hi:[0,1]
	s_wait_dscnt 0x0
	v_dual_mul_f32 v8, v5, v3 :: v_dual_mul_f32 v10, v5, v0
	s_delay_alu instid0(VALU_DEP_1) | instskip(NEXT) | instid1(VALU_DEP_2)
	v_pk_fma_f32 v[8:9], v[4:5], v[40:41], v[8:9] op_sel_hi:[1,1,0] neg_lo:[0,0,1] neg_hi:[0,0,1]
	v_pk_fma_f32 v[4:5], v[4:5], v[40:41], v[10:11] op_sel:[1,0,0] op_sel_hi:[0,1,0]
	s_delay_alu instid0(VALU_DEP_1) | instskip(SKIP_1) | instid1(VALU_DEP_2)
	v_mov_b32_e32 v9, v5
	v_pk_mul_f32 v[4:5], v[6:7], v[2:3] op_sel:[0,1]
	v_pk_add_f32 v[72:73], v[72:73], v[8:9] neg_lo:[0,1] neg_hi:[0,1]
	s_delay_alu instid0(VALU_DEP_2) | instskip(SKIP_1) | instid1(VALU_DEP_1)
	v_pk_fma_f32 v[8:9], v[6:7], v[0:1], v[4:5] op_sel:[0,0,1] op_sel_hi:[1,1,0] neg_lo:[0,0,1] neg_hi:[0,0,1]
	v_pk_fma_f32 v[4:5], v[6:7], v[0:1], v[4:5] op_sel:[0,0,1] op_sel_hi:[1,0,0]
	v_mov_b32_e32 v9, v5
	ds_load_2addr_b64 v[4:7], v104 offset0:19 offset1:20
	v_pk_add_f32 v[74:75], v[74:75], v[8:9] neg_lo:[0,1] neg_hi:[0,1]
	s_wait_dscnt 0x0
	v_pk_mul_f32 v[8:9], v[4:5], v[2:3] op_sel:[0,1]
	s_delay_alu instid0(VALU_DEP_1) | instskip(SKIP_1) | instid1(VALU_DEP_1)
	v_pk_fma_f32 v[10:11], v[4:5], v[0:1], v[8:9] op_sel:[0,0,1] op_sel_hi:[1,1,0] neg_lo:[0,0,1] neg_hi:[0,0,1]
	v_pk_fma_f32 v[4:5], v[4:5], v[0:1], v[8:9] op_sel:[0,0,1] op_sel_hi:[1,0,0]
	v_mov_b32_e32 v11, v5
	v_pk_mul_f32 v[4:5], v[6:7], v[2:3] op_sel:[0,1]
	s_delay_alu instid0(VALU_DEP_2) | instskip(NEXT) | instid1(VALU_DEP_2)
	v_pk_add_f32 v[70:71], v[70:71], v[10:11] neg_lo:[0,1] neg_hi:[0,1]
	v_pk_fma_f32 v[8:9], v[6:7], v[0:1], v[4:5] op_sel:[0,0,1] op_sel_hi:[1,1,0] neg_lo:[0,0,1] neg_hi:[0,0,1]
	v_pk_fma_f32 v[4:5], v[6:7], v[0:1], v[4:5] op_sel:[0,0,1] op_sel_hi:[1,0,0]
	s_delay_alu instid0(VALU_DEP_1) | instskip(SKIP_4) | instid1(VALU_DEP_1)
	v_mov_b32_e32 v9, v5
	ds_load_2addr_b64 v[4:7], v104 offset0:21 offset1:22
	v_pk_add_f32 v[94:95], v[94:95], v[8:9] neg_lo:[0,1] neg_hi:[0,1]
	s_wait_dscnt 0x0
	v_pk_mul_f32 v[8:9], v[4:5], v[2:3] op_sel:[0,1]
	v_pk_fma_f32 v[10:11], v[4:5], v[0:1], v[8:9] op_sel:[0,0,1] op_sel_hi:[1,1,0] neg_lo:[0,0,1] neg_hi:[0,0,1]
	v_pk_fma_f32 v[4:5], v[4:5], v[0:1], v[8:9] op_sel:[0,0,1] op_sel_hi:[1,0,0]
	v_dual_mul_f32 v8, v7, v3 :: v_dual_mov_b32 v4, v7
	s_delay_alu instid0(VALU_DEP_2) | instskip(NEXT) | instid1(VALU_DEP_2)
	v_dual_mov_b32 v11, v5 :: v_dual_mov_b32 v5, v6
	v_pk_fma_f32 v[8:9], v[6:7], v[40:41], v[8:9] op_sel_hi:[1,1,0] neg_lo:[0,0,1] neg_hi:[0,0,1]
	v_mul_f32_e32 v6, v7, v0
	s_delay_alu instid0(VALU_DEP_3) | instskip(NEXT) | instid1(VALU_DEP_2)
	v_pk_add_f32 v[90:91], v[90:91], v[10:11] neg_lo:[0,1] neg_hi:[0,1]
	v_pk_fma_f32 v[4:5], v[4:5], v[40:41], v[6:7] op_sel_hi:[1,1,0]
	s_delay_alu instid0(VALU_DEP_1) | instskip(SKIP_4) | instid1(VALU_DEP_1)
	v_mov_b32_e32 v9, v5
	ds_load_2addr_b64 v[4:7], v104 offset0:23 offset1:24
	v_pk_add_f32 v[92:93], v[92:93], v[8:9] neg_lo:[0,1] neg_hi:[0,1]
	s_wait_dscnt 0x0
	v_pk_mul_f32 v[8:9], v[4:5], v[2:3] op_sel:[0,1]
	v_pk_fma_f32 v[10:11], v[4:5], v[0:1], v[8:9] op_sel:[0,0,1] op_sel_hi:[1,1,0] neg_lo:[0,0,1] neg_hi:[0,0,1]
	v_pk_fma_f32 v[4:5], v[4:5], v[0:1], v[8:9] op_sel:[0,0,1] op_sel_hi:[1,0,0]
	s_delay_alu instid0(VALU_DEP_1) | instskip(SKIP_1) | instid1(VALU_DEP_1)
	v_mov_b32_e32 v11, v5
	v_pk_mul_f32 v[4:5], v[6:7], v[2:3] op_sel:[0,1]
	v_pk_fma_f32 v[8:9], v[6:7], v[0:1], v[4:5] op_sel:[0,0,1] op_sel_hi:[1,1,0] neg_lo:[0,0,1] neg_hi:[0,0,1]
	v_pk_fma_f32 v[4:5], v[6:7], v[0:1], v[4:5] op_sel:[0,0,1] op_sel_hi:[1,0,0]
	s_delay_alu instid0(VALU_DEP_1)
	v_mov_b32_e32 v9, v5
	ds_load_2addr_b64 v[4:7], v104 offset0:25 offset1:26
	v_pk_add_f32 v[88:89], v[88:89], v[10:11] neg_lo:[0,1] neg_hi:[0,1]
	v_pk_add_f32 v[112:113], v[112:113], v[8:9] neg_lo:[0,1] neg_hi:[0,1]
	s_wait_dscnt 0x0
	v_pk_mul_f32 v[8:9], v[4:5], v[2:3] op_sel:[0,1]
	s_delay_alu instid0(VALU_DEP_1) | instskip(SKIP_1) | instid1(VALU_DEP_1)
	v_pk_fma_f32 v[10:11], v[4:5], v[0:1], v[8:9] op_sel:[0,0,1] op_sel_hi:[1,1,0] neg_lo:[0,0,1] neg_hi:[0,0,1]
	v_pk_fma_f32 v[4:5], v[4:5], v[0:1], v[8:9] op_sel:[0,0,1] op_sel_hi:[1,0,0]
	v_mov_b32_e32 v11, v5
	v_pk_mul_f32 v[4:5], v[6:7], v[2:3] op_sel:[0,1]
	s_delay_alu instid0(VALU_DEP_1) | instskip(SKIP_1) | instid1(VALU_DEP_1)
	v_pk_fma_f32 v[8:9], v[6:7], v[0:1], v[4:5] op_sel:[0,0,1] op_sel_hi:[1,1,0] neg_lo:[0,0,1] neg_hi:[0,0,1]
	v_pk_fma_f32 v[4:5], v[6:7], v[0:1], v[4:5] op_sel:[0,0,1] op_sel_hi:[1,0,0]
	v_mov_b32_e32 v9, v5
	ds_load_2addr_b64 v[4:7], v104 offset0:27 offset1:28
	v_pk_add_f32 v[108:109], v[108:109], v[10:11] neg_lo:[0,1] neg_hi:[0,1]
	v_pk_add_f32 v[110:111], v[110:111], v[8:9] neg_lo:[0,1] neg_hi:[0,1]
	s_wait_dscnt 0x0
	v_dual_mul_f32 v8, v5, v3 :: v_dual_mul_f32 v10, v5, v0
	s_delay_alu instid0(VALU_DEP_1) | instskip(NEXT) | instid1(VALU_DEP_2)
	v_pk_fma_f32 v[8:9], v[4:5], v[40:41], v[8:9] op_sel_hi:[1,1,0] neg_lo:[0,0,1] neg_hi:[0,0,1]
	v_pk_fma_f32 v[4:5], v[4:5], v[40:41], v[10:11] op_sel:[1,0,0] op_sel_hi:[0,1,0]
	s_delay_alu instid0(VALU_DEP_1) | instskip(SKIP_1) | instid1(VALU_DEP_2)
	v_mov_b32_e32 v9, v5
	v_pk_mul_f32 v[4:5], v[6:7], v[2:3] op_sel:[0,1]
	v_pk_add_f32 v[106:107], v[106:107], v[8:9] neg_lo:[0,1] neg_hi:[0,1]
	s_delay_alu instid0(VALU_DEP_2) | instskip(SKIP_1) | instid1(VALU_DEP_1)
	v_pk_fma_f32 v[8:9], v[6:7], v[0:1], v[4:5] op_sel:[0,0,1] op_sel_hi:[1,1,0] neg_lo:[0,0,1] neg_hi:[0,0,1]
	v_pk_fma_f32 v[4:5], v[6:7], v[0:1], v[4:5] op_sel:[0,0,1] op_sel_hi:[1,0,0]
	v_mov_b32_e32 v9, v5
	ds_load_2addr_b64 v[4:7], v104 offset0:29 offset1:30
	v_pk_add_f32 v[128:129], v[128:129], v[8:9] neg_lo:[0,1] neg_hi:[0,1]
	s_wait_dscnt 0x0
	v_pk_mul_f32 v[8:9], v[4:5], v[2:3] op_sel:[0,1]
	s_delay_alu instid0(VALU_DEP_1) | instskip(SKIP_1) | instid1(VALU_DEP_1)
	v_pk_fma_f32 v[10:11], v[4:5], v[0:1], v[8:9] op_sel:[0,0,1] op_sel_hi:[1,1,0] neg_lo:[0,0,1] neg_hi:[0,0,1]
	v_pk_fma_f32 v[4:5], v[4:5], v[0:1], v[8:9] op_sel:[0,0,1] op_sel_hi:[1,0,0]
	v_mov_b32_e32 v11, v5
	v_pk_mul_f32 v[4:5], v[6:7], v[2:3] op_sel:[0,1]
	s_delay_alu instid0(VALU_DEP_2) | instskip(NEXT) | instid1(VALU_DEP_2)
	v_pk_add_f32 v[124:125], v[124:125], v[10:11] neg_lo:[0,1] neg_hi:[0,1]
	v_pk_fma_f32 v[8:9], v[6:7], v[0:1], v[4:5] op_sel:[0,0,1] op_sel_hi:[1,1,0] neg_lo:[0,0,1] neg_hi:[0,0,1]
	v_pk_fma_f32 v[4:5], v[6:7], v[0:1], v[4:5] op_sel:[0,0,1] op_sel_hi:[1,0,0]
	s_delay_alu instid0(VALU_DEP_1) | instskip(SKIP_4) | instid1(VALU_DEP_1)
	v_mov_b32_e32 v9, v5
	ds_load_2addr_b64 v[4:7], v104 offset0:31 offset1:32
	v_pk_add_f32 v[126:127], v[126:127], v[8:9] neg_lo:[0,1] neg_hi:[0,1]
	s_wait_dscnt 0x0
	v_pk_mul_f32 v[8:9], v[4:5], v[2:3] op_sel:[0,1]
	v_pk_fma_f32 v[10:11], v[4:5], v[0:1], v[8:9] op_sel:[0,0,1] op_sel_hi:[1,1,0] neg_lo:[0,0,1] neg_hi:[0,0,1]
	v_pk_fma_f32 v[4:5], v[4:5], v[0:1], v[8:9] op_sel:[0,0,1] op_sel_hi:[1,0,0]
	v_dual_mul_f32 v8, v7, v3 :: v_dual_mov_b32 v4, v7
	s_delay_alu instid0(VALU_DEP_2) | instskip(NEXT) | instid1(VALU_DEP_2)
	v_dual_mov_b32 v11, v5 :: v_dual_mov_b32 v5, v6
	v_pk_fma_f32 v[8:9], v[6:7], v[40:41], v[8:9] op_sel_hi:[1,1,0] neg_lo:[0,0,1] neg_hi:[0,0,1]
	v_mul_f32_e32 v6, v7, v0
	s_delay_alu instid0(VALU_DEP_3) | instskip(NEXT) | instid1(VALU_DEP_2)
	v_pk_add_f32 v[122:123], v[122:123], v[10:11] neg_lo:[0,1] neg_hi:[0,1]
	v_pk_fma_f32 v[4:5], v[4:5], v[40:41], v[6:7] op_sel_hi:[1,1,0]
	s_delay_alu instid0(VALU_DEP_1) | instskip(SKIP_4) | instid1(VALU_DEP_1)
	v_mov_b32_e32 v9, v5
	ds_load_2addr_b64 v[4:7], v104 offset0:33 offset1:34
	v_pk_add_f32 v[146:147], v[146:147], v[8:9] neg_lo:[0,1] neg_hi:[0,1]
	s_wait_dscnt 0x0
	v_pk_mul_f32 v[8:9], v[4:5], v[2:3] op_sel:[0,1]
	v_pk_fma_f32 v[10:11], v[4:5], v[0:1], v[8:9] op_sel:[0,0,1] op_sel_hi:[1,1,0] neg_lo:[0,0,1] neg_hi:[0,0,1]
	v_pk_fma_f32 v[4:5], v[4:5], v[0:1], v[8:9] op_sel:[0,0,1] op_sel_hi:[1,0,0]
	s_delay_alu instid0(VALU_DEP_1) | instskip(SKIP_1) | instid1(VALU_DEP_1)
	v_mov_b32_e32 v11, v5
	v_pk_mul_f32 v[4:5], v[6:7], v[2:3] op_sel:[0,1]
	v_pk_fma_f32 v[8:9], v[6:7], v[0:1], v[4:5] op_sel:[0,0,1] op_sel_hi:[1,1,0] neg_lo:[0,0,1] neg_hi:[0,0,1]
	v_pk_fma_f32 v[4:5], v[6:7], v[0:1], v[4:5] op_sel:[0,0,1] op_sel_hi:[1,0,0]
	s_delay_alu instid0(VALU_DEP_1)
	v_mov_b32_e32 v9, v5
	ds_load_2addr_b64 v[4:7], v104 offset0:35 offset1:36
	v_pk_add_f32 v[142:143], v[142:143], v[10:11] neg_lo:[0,1] neg_hi:[0,1]
	v_pk_add_f32 v[144:145], v[144:145], v[8:9] neg_lo:[0,1] neg_hi:[0,1]
	s_wait_dscnt 0x0
	v_pk_mul_f32 v[8:9], v[4:5], v[2:3] op_sel:[0,1]
	s_delay_alu instid0(VALU_DEP_1) | instskip(SKIP_1) | instid1(VALU_DEP_1)
	v_pk_fma_f32 v[10:11], v[4:5], v[0:1], v[8:9] op_sel:[0,0,1] op_sel_hi:[1,1,0] neg_lo:[0,0,1] neg_hi:[0,0,1]
	v_pk_fma_f32 v[4:5], v[4:5], v[0:1], v[8:9] op_sel:[0,0,1] op_sel_hi:[1,0,0]
	v_mov_b32_e32 v11, v5
	v_pk_mul_f32 v[4:5], v[6:7], v[2:3] op_sel:[0,1]
	s_delay_alu instid0(VALU_DEP_1) | instskip(SKIP_1) | instid1(VALU_DEP_1)
	v_pk_fma_f32 v[8:9], v[6:7], v[0:1], v[4:5] op_sel:[0,0,1] op_sel_hi:[1,1,0] neg_lo:[0,0,1] neg_hi:[0,0,1]
	v_pk_fma_f32 v[4:5], v[6:7], v[0:1], v[4:5] op_sel:[0,0,1] op_sel_hi:[1,0,0]
	v_mov_b32_e32 v9, v5
	ds_load_2addr_b64 v[4:7], v104 offset0:37 offset1:38
	v_pk_add_f32 v[140:141], v[140:141], v[10:11] neg_lo:[0,1] neg_hi:[0,1]
	v_pk_add_f32 v[162:163], v[162:163], v[8:9] neg_lo:[0,1] neg_hi:[0,1]
	s_wait_dscnt 0x0
	v_dual_mul_f32 v8, v5, v3 :: v_dual_mul_f32 v10, v5, v0
	s_delay_alu instid0(VALU_DEP_1) | instskip(NEXT) | instid1(VALU_DEP_2)
	v_pk_fma_f32 v[8:9], v[4:5], v[40:41], v[8:9] op_sel_hi:[1,1,0] neg_lo:[0,0,1] neg_hi:[0,0,1]
	v_pk_fma_f32 v[4:5], v[4:5], v[40:41], v[10:11] op_sel:[1,0,0] op_sel_hi:[0,1,0]
	s_delay_alu instid0(VALU_DEP_1) | instskip(SKIP_1) | instid1(VALU_DEP_2)
	v_mov_b32_e32 v9, v5
	v_pk_mul_f32 v[4:5], v[6:7], v[2:3] op_sel:[0,1]
	v_pk_add_f32 v[158:159], v[158:159], v[8:9] neg_lo:[0,1] neg_hi:[0,1]
	s_delay_alu instid0(VALU_DEP_2) | instskip(SKIP_1) | instid1(VALU_DEP_1)
	v_pk_fma_f32 v[8:9], v[6:7], v[0:1], v[4:5] op_sel:[0,0,1] op_sel_hi:[1,1,0] neg_lo:[0,0,1] neg_hi:[0,0,1]
	v_pk_fma_f32 v[4:5], v[6:7], v[0:1], v[4:5] op_sel:[0,0,1] op_sel_hi:[1,0,0]
	v_mov_b32_e32 v9, v5
	ds_load_2addr_b64 v[4:7], v104 offset0:39 offset1:40
	v_pk_add_f32 v[160:161], v[160:161], v[8:9] neg_lo:[0,1] neg_hi:[0,1]
	s_wait_dscnt 0x0
	v_pk_mul_f32 v[8:9], v[4:5], v[2:3] op_sel:[0,1]
	s_delay_alu instid0(VALU_DEP_1) | instskip(SKIP_1) | instid1(VALU_DEP_1)
	v_pk_fma_f32 v[10:11], v[4:5], v[0:1], v[8:9] op_sel:[0,0,1] op_sel_hi:[1,1,0] neg_lo:[0,0,1] neg_hi:[0,0,1]
	v_pk_fma_f32 v[4:5], v[4:5], v[0:1], v[8:9] op_sel:[0,0,1] op_sel_hi:[1,0,0]
	v_mov_b32_e32 v11, v5
	v_pk_mul_f32 v[4:5], v[6:7], v[2:3] op_sel:[0,1]
	s_delay_alu instid0(VALU_DEP_2) | instskip(NEXT) | instid1(VALU_DEP_2)
	v_pk_add_f32 v[156:157], v[156:157], v[10:11] neg_lo:[0,1] neg_hi:[0,1]
	v_pk_fma_f32 v[8:9], v[6:7], v[0:1], v[4:5] op_sel:[0,0,1] op_sel_hi:[1,1,0] neg_lo:[0,0,1] neg_hi:[0,0,1]
	v_pk_fma_f32 v[4:5], v[6:7], v[0:1], v[4:5] op_sel:[0,0,1] op_sel_hi:[1,0,0]
	s_delay_alu instid0(VALU_DEP_1) | instskip(SKIP_4) | instid1(VALU_DEP_1)
	v_mov_b32_e32 v9, v5
	ds_load_2addr_b64 v[4:7], v104 offset0:41 offset1:42
	v_pk_add_f32 v[180:181], v[180:181], v[8:9] neg_lo:[0,1] neg_hi:[0,1]
	s_wait_dscnt 0x0
	v_pk_mul_f32 v[8:9], v[4:5], v[2:3] op_sel:[0,1]
	v_pk_fma_f32 v[10:11], v[4:5], v[0:1], v[8:9] op_sel:[0,0,1] op_sel_hi:[1,1,0] neg_lo:[0,0,1] neg_hi:[0,0,1]
	v_pk_fma_f32 v[4:5], v[4:5], v[0:1], v[8:9] op_sel:[0,0,1] op_sel_hi:[1,0,0]
	v_dual_mul_f32 v8, v7, v3 :: v_dual_mov_b32 v4, v7
	s_delay_alu instid0(VALU_DEP_2) | instskip(NEXT) | instid1(VALU_DEP_2)
	v_dual_mov_b32 v11, v5 :: v_dual_mov_b32 v5, v6
	v_pk_fma_f32 v[8:9], v[6:7], v[40:41], v[8:9] op_sel_hi:[1,1,0] neg_lo:[0,0,1] neg_hi:[0,0,1]
	v_mul_f32_e32 v6, v7, v0
	s_delay_alu instid0(VALU_DEP_3) | instskip(NEXT) | instid1(VALU_DEP_2)
	v_pk_add_f32 v[176:177], v[176:177], v[10:11] neg_lo:[0,1] neg_hi:[0,1]
	v_pk_fma_f32 v[4:5], v[4:5], v[40:41], v[6:7] op_sel_hi:[1,1,0]
	s_delay_alu instid0(VALU_DEP_1) | instskip(SKIP_4) | instid1(VALU_DEP_1)
	v_mov_b32_e32 v9, v5
	ds_load_2addr_b64 v[4:7], v104 offset0:43 offset1:44
	v_pk_add_f32 v[178:179], v[178:179], v[8:9] neg_lo:[0,1] neg_hi:[0,1]
	s_wait_dscnt 0x0
	v_pk_mul_f32 v[8:9], v[4:5], v[2:3] op_sel:[0,1]
	v_pk_fma_f32 v[10:11], v[4:5], v[0:1], v[8:9] op_sel:[0,0,1] op_sel_hi:[1,1,0] neg_lo:[0,0,1] neg_hi:[0,0,1]
	v_pk_fma_f32 v[4:5], v[4:5], v[0:1], v[8:9] op_sel:[0,0,1] op_sel_hi:[1,0,0]
	s_delay_alu instid0(VALU_DEP_1) | instskip(SKIP_1) | instid1(VALU_DEP_1)
	v_mov_b32_e32 v11, v5
	v_pk_mul_f32 v[4:5], v[6:7], v[2:3] op_sel:[0,1]
	v_pk_fma_f32 v[8:9], v[6:7], v[0:1], v[4:5] op_sel:[0,0,1] op_sel_hi:[1,1,0] neg_lo:[0,0,1] neg_hi:[0,0,1]
	v_pk_fma_f32 v[4:5], v[6:7], v[0:1], v[4:5] op_sel:[0,0,1] op_sel_hi:[1,0,0]
	s_delay_alu instid0(VALU_DEP_1)
	v_mov_b32_e32 v9, v5
	ds_load_2addr_b64 v[4:7], v104 offset0:45 offset1:46
	v_pk_add_f32 v[174:175], v[174:175], v[10:11] neg_lo:[0,1] neg_hi:[0,1]
	v_pk_add_f32 v[200:201], v[200:201], v[8:9] neg_lo:[0,1] neg_hi:[0,1]
	s_wait_dscnt 0x0
	v_pk_mul_f32 v[8:9], v[4:5], v[2:3] op_sel:[0,1]
	s_delay_alu instid0(VALU_DEP_1) | instskip(SKIP_1) | instid1(VALU_DEP_1)
	v_pk_fma_f32 v[10:11], v[4:5], v[0:1], v[8:9] op_sel:[0,0,1] op_sel_hi:[1,1,0] neg_lo:[0,0,1] neg_hi:[0,0,1]
	v_pk_fma_f32 v[4:5], v[4:5], v[0:1], v[8:9] op_sel:[0,0,1] op_sel_hi:[1,0,0]
	v_mov_b32_e32 v11, v5
	v_pk_mul_f32 v[4:5], v[6:7], v[2:3] op_sel:[0,1]
	s_delay_alu instid0(VALU_DEP_1) | instskip(SKIP_1) | instid1(VALU_DEP_1)
	v_pk_fma_f32 v[8:9], v[6:7], v[0:1], v[4:5] op_sel:[0,0,1] op_sel_hi:[1,1,0] neg_lo:[0,0,1] neg_hi:[0,0,1]
	v_pk_fma_f32 v[4:5], v[6:7], v[0:1], v[4:5] op_sel:[0,0,1] op_sel_hi:[1,0,0]
	v_mov_b32_e32 v9, v5
	ds_load_2addr_b64 v[4:7], v104 offset0:47 offset1:48
	v_pk_add_f32 v[194:195], v[194:195], v[10:11] neg_lo:[0,1] neg_hi:[0,1]
	v_pk_add_f32 v[198:199], v[198:199], v[8:9] neg_lo:[0,1] neg_hi:[0,1]
	s_wait_dscnt 0x0
	v_dual_mul_f32 v8, v5, v3 :: v_dual_mul_f32 v10, v5, v0
	s_delay_alu instid0(VALU_DEP_1) | instskip(NEXT) | instid1(VALU_DEP_2)
	v_pk_fma_f32 v[8:9], v[4:5], v[40:41], v[8:9] op_sel_hi:[1,1,0] neg_lo:[0,0,1] neg_hi:[0,0,1]
	v_pk_fma_f32 v[4:5], v[4:5], v[40:41], v[10:11] op_sel:[1,0,0] op_sel_hi:[0,1,0]
	s_delay_alu instid0(VALU_DEP_1) | instskip(SKIP_1) | instid1(VALU_DEP_2)
	v_mov_b32_e32 v9, v5
	v_pk_mul_f32 v[4:5], v[6:7], v[2:3] op_sel:[0,1]
	v_pk_add_f32 v[192:193], v[192:193], v[8:9] neg_lo:[0,1] neg_hi:[0,1]
	s_delay_alu instid0(VALU_DEP_2) | instskip(SKIP_1) | instid1(VALU_DEP_1)
	v_pk_fma_f32 v[8:9], v[6:7], v[0:1], v[4:5] op_sel:[0,0,1] op_sel_hi:[1,1,0] neg_lo:[0,0,1] neg_hi:[0,0,1]
	v_pk_fma_f32 v[4:5], v[6:7], v[0:1], v[4:5] op_sel:[0,0,1] op_sel_hi:[1,0,0]
	v_mov_b32_e32 v9, v5
	ds_load_2addr_b64 v[4:7], v104 offset0:49 offset1:50
	v_pk_add_f32 v[196:197], v[196:197], v[8:9] neg_lo:[0,1] neg_hi:[0,1]
	s_wait_dscnt 0x0
	v_pk_mul_f32 v[8:9], v[4:5], v[2:3] op_sel:[0,1]
	v_mul_f32_e32 v2, v7, v3
	s_delay_alu instid0(VALU_DEP_2) | instskip(SKIP_2) | instid1(VALU_DEP_4)
	v_pk_fma_f32 v[10:11], v[4:5], v[0:1], v[8:9] op_sel:[0,0,1] op_sel_hi:[1,1,0] neg_lo:[0,0,1] neg_hi:[0,0,1]
	v_pk_fma_f32 v[4:5], v[4:5], v[0:1], v[8:9] op_sel:[0,0,1] op_sel_hi:[1,0,0]
	v_dual_mov_b32 v4, v7 :: v_dual_mul_f32 v0, v7, v0
	v_pk_fma_f32 v[2:3], v[6:7], v[40:41], v[2:3] op_sel_hi:[1,1,0] neg_lo:[0,0,1] neg_hi:[0,0,1]
	s_delay_alu instid0(VALU_DEP_3) | instskip(NEXT) | instid1(VALU_DEP_1)
	v_dual_mov_b32 v11, v5 :: v_dual_mov_b32 v5, v6
	v_pk_add_f32 v[202:203], v[202:203], v[10:11] neg_lo:[0,1] neg_hi:[0,1]
	s_delay_alu instid0(VALU_DEP_2) | instskip(NEXT) | instid1(VALU_DEP_1)
	v_pk_fma_f32 v[0:1], v[4:5], v[40:41], v[0:1] op_sel_hi:[1,1,0]
	v_mov_b32_e32 v3, v1
	s_delay_alu instid0(VALU_DEP_1)
	v_pk_add_f32 v[204:205], v[204:205], v[2:3] neg_lo:[0,1] neg_hi:[0,1]
.LBB101_82:
	s_wait_xcnt 0x0
	s_or_b32 exec_lo, exec_lo, s1
	s_delay_alu instid0(SALU_CYCLE_1)
	s_mov_b32 s2, exec_lo
	s_wait_storecnt 0x0
	s_barrier_signal -1
	s_barrier_wait -1
	v_cmpx_eq_u32_e32 9, v102
	s_cbranch_execz .LBB101_89
; %bb.83:
	v_dual_mov_b32 v0, v38 :: v_dual_mov_b32 v1, v39
	v_dual_mov_b32 v2, v34 :: v_dual_mov_b32 v3, v35
	;; [unrolled: 1-line block ×4, first 2 shown]
	ds_store_b64 v103, v[36:37]
	ds_store_2addr_b64 v104, v[0:1], v[2:3] offset0:10 offset1:11
	ds_store_2addr_b64 v104, v[4:5], v[6:7] offset0:12 offset1:13
	v_dual_mov_b32 v0, v56 :: v_dual_mov_b32 v1, v57
	v_dual_mov_b32 v2, v52 :: v_dual_mov_b32 v3, v53
	v_dual_mov_b32 v4, v76 :: v_dual_mov_b32 v5, v77
	v_dual_mov_b32 v6, v72 :: v_dual_mov_b32 v7, v73
	v_dual_mov_b32 v8, v74 :: v_dual_mov_b32 v9, v75
	v_dual_mov_b32 v10, v70 :: v_dual_mov_b32 v11, v71
	v_dual_mov_b32 v12, v94 :: v_dual_mov_b32 v13, v95
	v_dual_mov_b32 v14, v90 :: v_dual_mov_b32 v15, v91
	v_dual_mov_b32 v18, v92 :: v_dual_mov_b32 v19, v93
	v_dual_mov_b32 v28, v88 :: v_dual_mov_b32 v29, v89
	v_dual_mov_b32 v30, v112 :: v_dual_mov_b32 v31, v113
	v_dual_mov_b32 v32, v108 :: v_dual_mov_b32 v33, v109
	ds_store_2addr_b64 v104, v[0:1], v[2:3] offset0:14 offset1:15
	ds_store_2addr_b64 v104, v[4:5], v[6:7] offset0:16 offset1:17
	ds_store_2addr_b64 v104, v[8:9], v[10:11] offset0:18 offset1:19
	ds_store_2addr_b64 v104, v[12:13], v[14:15] offset0:20 offset1:21
	ds_store_2addr_b64 v104, v[18:19], v[28:29] offset0:22 offset1:23
	ds_store_2addr_b64 v104, v[30:31], v[32:33] offset0:24 offset1:25
	v_dual_mov_b32 v0, v110 :: v_dual_mov_b32 v1, v111
	v_dual_mov_b32 v2, v106 :: v_dual_mov_b32 v3, v107
	v_dual_mov_b32 v4, v128 :: v_dual_mov_b32 v5, v129
	v_dual_mov_b32 v6, v124 :: v_dual_mov_b32 v7, v125
	v_dual_mov_b32 v8, v126 :: v_dual_mov_b32 v9, v127
	v_dual_mov_b32 v10, v122 :: v_dual_mov_b32 v11, v123
	v_dual_mov_b32 v12, v146 :: v_dual_mov_b32 v13, v147
	v_dual_mov_b32 v14, v142 :: v_dual_mov_b32 v15, v143
	v_dual_mov_b32 v18, v144 :: v_dual_mov_b32 v19, v145
	v_dual_mov_b32 v28, v140 :: v_dual_mov_b32 v29, v141
	v_dual_mov_b32 v30, v162 :: v_dual_mov_b32 v31, v163
	v_dual_mov_b32 v32, v158 :: v_dual_mov_b32 v33, v159
	ds_store_2addr_b64 v104, v[0:1], v[2:3] offset0:26 offset1:27
	ds_store_2addr_b64 v104, v[4:5], v[6:7] offset0:28 offset1:29
	ds_store_2addr_b64 v104, v[8:9], v[10:11] offset0:30 offset1:31
	ds_store_2addr_b64 v104, v[12:13], v[14:15] offset0:32 offset1:33
	;; [unrolled: 18-line block ×3, first 2 shown]
	ds_store_2addr_b64 v104, v[18:19], v[28:29] offset0:46 offset1:47
	ds_store_2addr_b64 v104, v[30:31], v[32:33] offset0:48 offset1:49
	ds_store_b64 v104, v[204:205] offset:400
	ds_load_b64 v[0:1], v103
	s_wait_dscnt 0x0
	v_cmp_neq_f32_e32 vcc_lo, 0, v0
	v_cmp_neq_f32_e64 s1, 0, v1
	s_or_b32 s1, vcc_lo, s1
	s_delay_alu instid0(SALU_CYCLE_1)
	s_and_b32 exec_lo, exec_lo, s1
	s_cbranch_execz .LBB101_89
; %bb.84:
	v_cmp_ngt_f32_e64 s1, |v0|, |v1|
                                        ; implicit-def: $vgpr2_vgpr3
	s_and_saveexec_b32 s4, s1
	s_delay_alu instid0(SALU_CYCLE_1)
	s_xor_b32 s1, exec_lo, s4
	s_cbranch_execz .LBB101_86
; %bb.85:
	v_div_scale_f32 v2, null, v1, v1, v0
	v_div_scale_f32 v5, vcc_lo, v0, v1, v0
	s_delay_alu instid0(VALU_DEP_2) | instskip(SKIP_1) | instid1(TRANS32_DEP_1)
	v_rcp_f32_e32 v3, v2
	v_nop
	v_fma_f32 v4, -v2, v3, 1.0
	s_delay_alu instid0(VALU_DEP_1) | instskip(NEXT) | instid1(VALU_DEP_1)
	v_fmac_f32_e32 v3, v4, v3
	v_mul_f32_e32 v4, v5, v3
	s_delay_alu instid0(VALU_DEP_1) | instskip(NEXT) | instid1(VALU_DEP_1)
	v_fma_f32 v6, -v2, v4, v5
	v_fmac_f32_e32 v4, v6, v3
	s_delay_alu instid0(VALU_DEP_1) | instskip(NEXT) | instid1(VALU_DEP_1)
	v_fma_f32 v2, -v2, v4, v5
	v_div_fmas_f32 v2, v2, v3, v4
	s_delay_alu instid0(VALU_DEP_1) | instskip(NEXT) | instid1(VALU_DEP_1)
	v_div_fixup_f32 v2, v2, v1, v0
	v_fmac_f32_e32 v1, v0, v2
	s_delay_alu instid0(VALU_DEP_1) | instskip(SKIP_1) | instid1(VALU_DEP_2)
	v_div_scale_f32 v0, null, v1, v1, 1.0
	v_div_scale_f32 v5, vcc_lo, 1.0, v1, 1.0
	v_rcp_f32_e32 v3, v0
	v_nop
	s_delay_alu instid0(TRANS32_DEP_1) | instskip(NEXT) | instid1(VALU_DEP_1)
	v_fma_f32 v4, -v0, v3, 1.0
	v_fmac_f32_e32 v3, v4, v3
	s_delay_alu instid0(VALU_DEP_1) | instskip(NEXT) | instid1(VALU_DEP_1)
	v_mul_f32_e32 v4, v5, v3
	v_fma_f32 v6, -v0, v4, v5
	s_delay_alu instid0(VALU_DEP_1) | instskip(NEXT) | instid1(VALU_DEP_1)
	v_fmac_f32_e32 v4, v6, v3
	v_fma_f32 v0, -v0, v4, v5
	s_delay_alu instid0(VALU_DEP_1) | instskip(NEXT) | instid1(VALU_DEP_1)
	v_div_fmas_f32 v0, v0, v3, v4
	v_div_fixup_f32 v0, v0, v1, 1.0
	s_delay_alu instid0(VALU_DEP_1)
	v_mul_f32_e32 v2, v2, v0
	v_xor_b32_e32 v3, 0x80000000, v0
                                        ; implicit-def: $vgpr0_vgpr1
.LBB101_86:
	s_and_not1_saveexec_b32 s1, s1
	s_cbranch_execz .LBB101_88
; %bb.87:
	v_div_scale_f32 v2, null, v0, v0, v1
	v_div_scale_f32 v5, vcc_lo, v1, v0, v1
	s_delay_alu instid0(VALU_DEP_2) | instskip(SKIP_1) | instid1(TRANS32_DEP_1)
	v_rcp_f32_e32 v3, v2
	v_nop
	v_fma_f32 v4, -v2, v3, 1.0
	s_delay_alu instid0(VALU_DEP_1) | instskip(NEXT) | instid1(VALU_DEP_1)
	v_fmac_f32_e32 v3, v4, v3
	v_mul_f32_e32 v4, v5, v3
	s_delay_alu instid0(VALU_DEP_1) | instskip(NEXT) | instid1(VALU_DEP_1)
	v_fma_f32 v6, -v2, v4, v5
	v_fmac_f32_e32 v4, v6, v3
	s_delay_alu instid0(VALU_DEP_1) | instskip(NEXT) | instid1(VALU_DEP_1)
	v_fma_f32 v2, -v2, v4, v5
	v_div_fmas_f32 v2, v2, v3, v4
	s_delay_alu instid0(VALU_DEP_1) | instskip(NEXT) | instid1(VALU_DEP_1)
	v_div_fixup_f32 v3, v2, v0, v1
	v_fmac_f32_e32 v0, v1, v3
	s_delay_alu instid0(VALU_DEP_1) | instskip(NEXT) | instid1(VALU_DEP_1)
	v_div_scale_f32 v1, null, v0, v0, 1.0
	v_rcp_f32_e32 v2, v1
	v_nop
	s_delay_alu instid0(TRANS32_DEP_1) | instskip(NEXT) | instid1(VALU_DEP_1)
	v_fma_f32 v4, -v1, v2, 1.0
	v_fmac_f32_e32 v2, v4, v2
	v_div_scale_f32 v4, vcc_lo, 1.0, v0, 1.0
	s_delay_alu instid0(VALU_DEP_1) | instskip(NEXT) | instid1(VALU_DEP_1)
	v_mul_f32_e32 v5, v4, v2
	v_fma_f32 v6, -v1, v5, v4
	s_delay_alu instid0(VALU_DEP_1) | instskip(NEXT) | instid1(VALU_DEP_1)
	v_fmac_f32_e32 v5, v6, v2
	v_fma_f32 v1, -v1, v5, v4
	s_delay_alu instid0(VALU_DEP_1) | instskip(NEXT) | instid1(VALU_DEP_1)
	v_div_fmas_f32 v1, v1, v2, v5
	v_div_fixup_f32 v2, v1, v0, 1.0
	s_delay_alu instid0(VALU_DEP_1)
	v_mul_f32_e64 v3, v3, -v2
.LBB101_88:
	s_or_b32 exec_lo, exec_lo, s1
	ds_store_b64 v103, v[2:3]
.LBB101_89:
	s_or_b32 exec_lo, exec_lo, s2
	s_wait_dscnt 0x0
	s_barrier_signal -1
	s_barrier_wait -1
	ds_load_b64 v[0:1], v103
	s_mov_b32 s1, exec_lo
	s_wait_dscnt 0x0
	scratch_store_b64 off, v[0:1], off offset:120 ; 8-byte Folded Spill
	s_wait_xcnt 0x0
	v_cmpx_lt_u32_e32 9, v102
	s_cbranch_execz .LBB101_91
; %bb.90:
	scratch_load_b64 v[4:5], off, off offset:120 ; 8-byte Folded Reload
	s_wait_loadcnt 0x0
	v_pk_mul_f32 v[2:3], v[4:5], v[36:37] op_sel:[1,1] op_sel_hi:[0,1]
	s_delay_alu instid0(VALU_DEP_1)
	v_pk_fma_f32 v[0:1], v[4:5], v[36:37], v[2:3] op_sel_hi:[1,0,1] neg_lo:[0,0,1] neg_hi:[0,0,1]
	v_pk_fma_f32 v[2:3], v[4:5], v[36:37], v[2:3] op_sel_hi:[1,0,1]
	ds_load_2addr_b64 v[4:7], v104 offset0:10 offset1:11
	v_dual_mov_b32 v36, v0 :: v_dual_mov_b32 v37, v3
	s_wait_dscnt 0x0
	v_pk_mul_f32 v[8:9], v[4:5], v[2:3] op_sel:[0,1]
	s_delay_alu instid0(VALU_DEP_1) | instskip(SKIP_1) | instid1(VALU_DEP_1)
	v_pk_fma_f32 v[10:11], v[4:5], v[0:1], v[8:9] op_sel:[0,0,1] op_sel_hi:[1,1,0] neg_lo:[0,0,1] neg_hi:[0,0,1]
	v_pk_fma_f32 v[4:5], v[4:5], v[0:1], v[8:9] op_sel:[0,0,1] op_sel_hi:[1,0,0]
	v_mov_b32_e32 v11, v5
	v_pk_mul_f32 v[4:5], v[6:7], v[2:3] op_sel:[0,1]
	s_delay_alu instid0(VALU_DEP_1) | instskip(SKIP_1) | instid1(VALU_DEP_1)
	v_pk_fma_f32 v[8:9], v[6:7], v[0:1], v[4:5] op_sel:[0,0,1] op_sel_hi:[1,1,0] neg_lo:[0,0,1] neg_hi:[0,0,1]
	v_pk_fma_f32 v[4:5], v[6:7], v[0:1], v[4:5] op_sel:[0,0,1] op_sel_hi:[1,0,0]
	v_mov_b32_e32 v9, v5
	ds_load_2addr_b64 v[4:7], v104 offset0:12 offset1:13
	v_pk_add_f32 v[38:39], v[38:39], v[10:11] neg_lo:[0,1] neg_hi:[0,1]
	v_pk_add_f32 v[34:35], v[34:35], v[8:9] neg_lo:[0,1] neg_hi:[0,1]
	s_wait_dscnt 0x0
	v_pk_mul_f32 v[8:9], v[4:5], v[2:3] op_sel:[0,1]
	s_delay_alu instid0(VALU_DEP_1) | instskip(SKIP_2) | instid1(VALU_DEP_2)
	v_pk_fma_f32 v[10:11], v[4:5], v[0:1], v[8:9] op_sel:[0,0,1] op_sel_hi:[1,1,0] neg_lo:[0,0,1] neg_hi:[0,0,1]
	v_pk_fma_f32 v[4:5], v[4:5], v[0:1], v[8:9] op_sel:[0,0,1] op_sel_hi:[1,0,0]
	v_dual_mul_f32 v8, v7, v3 :: v_dual_mov_b32 v4, v7
	v_dual_mov_b32 v11, v5 :: v_dual_mov_b32 v5, v6
	s_delay_alu instid0(VALU_DEP_2) | instskip(SKIP_1) | instid1(VALU_DEP_3)
	v_pk_fma_f32 v[8:9], v[6:7], v[36:37], v[8:9] op_sel_hi:[1,1,0] neg_lo:[0,0,1] neg_hi:[0,0,1]
	v_mul_f32_e32 v6, v7, v0
	v_pk_add_f32 v[58:59], v[58:59], v[10:11] neg_lo:[0,1] neg_hi:[0,1]
	s_delay_alu instid0(VALU_DEP_2) | instskip(NEXT) | instid1(VALU_DEP_1)
	v_pk_fma_f32 v[4:5], v[4:5], v[36:37], v[6:7] op_sel_hi:[1,1,0]
	v_mov_b32_e32 v9, v5
	ds_load_2addr_b64 v[4:7], v104 offset0:14 offset1:15
	v_pk_add_f32 v[54:55], v[54:55], v[8:9] neg_lo:[0,1] neg_hi:[0,1]
	s_wait_dscnt 0x0
	v_pk_mul_f32 v[8:9], v[4:5], v[2:3] op_sel:[0,1]
	s_delay_alu instid0(VALU_DEP_1) | instskip(SKIP_1) | instid1(VALU_DEP_1)
	v_pk_fma_f32 v[10:11], v[4:5], v[0:1], v[8:9] op_sel:[0,0,1] op_sel_hi:[1,1,0] neg_lo:[0,0,1] neg_hi:[0,0,1]
	v_pk_fma_f32 v[4:5], v[4:5], v[0:1], v[8:9] op_sel:[0,0,1] op_sel_hi:[1,0,0]
	v_mov_b32_e32 v11, v5
	v_pk_mul_f32 v[4:5], v[6:7], v[2:3] op_sel:[0,1]
	s_delay_alu instid0(VALU_DEP_1) | instskip(SKIP_1) | instid1(VALU_DEP_1)
	v_pk_fma_f32 v[8:9], v[6:7], v[0:1], v[4:5] op_sel:[0,0,1] op_sel_hi:[1,1,0] neg_lo:[0,0,1] neg_hi:[0,0,1]
	v_pk_fma_f32 v[4:5], v[6:7], v[0:1], v[4:5] op_sel:[0,0,1] op_sel_hi:[1,0,0]
	v_mov_b32_e32 v9, v5
	ds_load_2addr_b64 v[4:7], v104 offset0:16 offset1:17
	v_pk_add_f32 v[56:57], v[56:57], v[10:11] neg_lo:[0,1] neg_hi:[0,1]
	v_pk_add_f32 v[52:53], v[52:53], v[8:9] neg_lo:[0,1] neg_hi:[0,1]
	s_wait_dscnt 0x0
	v_pk_mul_f32 v[8:9], v[4:5], v[2:3] op_sel:[0,1]
	s_delay_alu instid0(VALU_DEP_1) | instskip(SKIP_1) | instid1(VALU_DEP_1)
	v_pk_fma_f32 v[10:11], v[4:5], v[0:1], v[8:9] op_sel:[0,0,1] op_sel_hi:[1,1,0] neg_lo:[0,0,1] neg_hi:[0,0,1]
	v_pk_fma_f32 v[4:5], v[4:5], v[0:1], v[8:9] op_sel:[0,0,1] op_sel_hi:[1,0,0]
	v_mov_b32_e32 v11, v5
	v_pk_mul_f32 v[4:5], v[6:7], v[2:3] op_sel:[0,1]
	s_delay_alu instid0(VALU_DEP_1) | instskip(SKIP_1) | instid1(VALU_DEP_1)
	v_pk_fma_f32 v[8:9], v[6:7], v[0:1], v[4:5] op_sel:[0,0,1] op_sel_hi:[1,1,0] neg_lo:[0,0,1] neg_hi:[0,0,1]
	v_pk_fma_f32 v[4:5], v[6:7], v[0:1], v[4:5] op_sel:[0,0,1] op_sel_hi:[1,0,0]
	v_mov_b32_e32 v9, v5
	ds_load_2addr_b64 v[4:7], v104 offset0:18 offset1:19
	v_pk_add_f32 v[76:77], v[76:77], v[10:11] neg_lo:[0,1] neg_hi:[0,1]
	v_pk_add_f32 v[72:73], v[72:73], v[8:9] neg_lo:[0,1] neg_hi:[0,1]
	s_wait_dscnt 0x0
	v_dual_mul_f32 v8, v5, v3 :: v_dual_mul_f32 v10, v5, v0
	s_delay_alu instid0(VALU_DEP_1) | instskip(NEXT) | instid1(VALU_DEP_2)
	v_pk_fma_f32 v[8:9], v[4:5], v[36:37], v[8:9] op_sel_hi:[1,1,0] neg_lo:[0,0,1] neg_hi:[0,0,1]
	v_pk_fma_f32 v[4:5], v[4:5], v[36:37], v[10:11] op_sel:[1,0,0] op_sel_hi:[0,1,0]
	s_delay_alu instid0(VALU_DEP_1) | instskip(SKIP_1) | instid1(VALU_DEP_2)
	v_mov_b32_e32 v9, v5
	v_pk_mul_f32 v[4:5], v[6:7], v[2:3] op_sel:[0,1]
	v_pk_add_f32 v[74:75], v[74:75], v[8:9] neg_lo:[0,1] neg_hi:[0,1]
	s_delay_alu instid0(VALU_DEP_2) | instskip(SKIP_1) | instid1(VALU_DEP_1)
	v_pk_fma_f32 v[8:9], v[6:7], v[0:1], v[4:5] op_sel:[0,0,1] op_sel_hi:[1,1,0] neg_lo:[0,0,1] neg_hi:[0,0,1]
	v_pk_fma_f32 v[4:5], v[6:7], v[0:1], v[4:5] op_sel:[0,0,1] op_sel_hi:[1,0,0]
	v_mov_b32_e32 v9, v5
	ds_load_2addr_b64 v[4:7], v104 offset0:20 offset1:21
	v_pk_add_f32 v[70:71], v[70:71], v[8:9] neg_lo:[0,1] neg_hi:[0,1]
	s_wait_dscnt 0x0
	v_pk_mul_f32 v[8:9], v[4:5], v[2:3] op_sel:[0,1]
	s_delay_alu instid0(VALU_DEP_1) | instskip(SKIP_1) | instid1(VALU_DEP_1)
	v_pk_fma_f32 v[10:11], v[4:5], v[0:1], v[8:9] op_sel:[0,0,1] op_sel_hi:[1,1,0] neg_lo:[0,0,1] neg_hi:[0,0,1]
	v_pk_fma_f32 v[4:5], v[4:5], v[0:1], v[8:9] op_sel:[0,0,1] op_sel_hi:[1,0,0]
	v_mov_b32_e32 v11, v5
	v_pk_mul_f32 v[4:5], v[6:7], v[2:3] op_sel:[0,1]
	s_delay_alu instid0(VALU_DEP_2) | instskip(NEXT) | instid1(VALU_DEP_2)
	v_pk_add_f32 v[94:95], v[94:95], v[10:11] neg_lo:[0,1] neg_hi:[0,1]
	v_pk_fma_f32 v[8:9], v[6:7], v[0:1], v[4:5] op_sel:[0,0,1] op_sel_hi:[1,1,0] neg_lo:[0,0,1] neg_hi:[0,0,1]
	v_pk_fma_f32 v[4:5], v[6:7], v[0:1], v[4:5] op_sel:[0,0,1] op_sel_hi:[1,0,0]
	s_delay_alu instid0(VALU_DEP_1) | instskip(SKIP_4) | instid1(VALU_DEP_1)
	v_mov_b32_e32 v9, v5
	ds_load_2addr_b64 v[4:7], v104 offset0:22 offset1:23
	v_pk_add_f32 v[90:91], v[90:91], v[8:9] neg_lo:[0,1] neg_hi:[0,1]
	s_wait_dscnt 0x0
	v_pk_mul_f32 v[8:9], v[4:5], v[2:3] op_sel:[0,1]
	v_pk_fma_f32 v[10:11], v[4:5], v[0:1], v[8:9] op_sel:[0,0,1] op_sel_hi:[1,1,0] neg_lo:[0,0,1] neg_hi:[0,0,1]
	v_pk_fma_f32 v[4:5], v[4:5], v[0:1], v[8:9] op_sel:[0,0,1] op_sel_hi:[1,0,0]
	v_dual_mul_f32 v8, v7, v3 :: v_dual_mov_b32 v4, v7
	s_delay_alu instid0(VALU_DEP_2) | instskip(NEXT) | instid1(VALU_DEP_2)
	v_dual_mov_b32 v11, v5 :: v_dual_mov_b32 v5, v6
	v_pk_fma_f32 v[8:9], v[6:7], v[36:37], v[8:9] op_sel_hi:[1,1,0] neg_lo:[0,0,1] neg_hi:[0,0,1]
	v_mul_f32_e32 v6, v7, v0
	s_delay_alu instid0(VALU_DEP_3) | instskip(NEXT) | instid1(VALU_DEP_2)
	v_pk_add_f32 v[92:93], v[92:93], v[10:11] neg_lo:[0,1] neg_hi:[0,1]
	v_pk_fma_f32 v[4:5], v[4:5], v[36:37], v[6:7] op_sel_hi:[1,1,0]
	s_delay_alu instid0(VALU_DEP_1) | instskip(SKIP_4) | instid1(VALU_DEP_1)
	v_mov_b32_e32 v9, v5
	ds_load_2addr_b64 v[4:7], v104 offset0:24 offset1:25
	v_pk_add_f32 v[88:89], v[88:89], v[8:9] neg_lo:[0,1] neg_hi:[0,1]
	s_wait_dscnt 0x0
	v_pk_mul_f32 v[8:9], v[4:5], v[2:3] op_sel:[0,1]
	v_pk_fma_f32 v[10:11], v[4:5], v[0:1], v[8:9] op_sel:[0,0,1] op_sel_hi:[1,1,0] neg_lo:[0,0,1] neg_hi:[0,0,1]
	v_pk_fma_f32 v[4:5], v[4:5], v[0:1], v[8:9] op_sel:[0,0,1] op_sel_hi:[1,0,0]
	s_delay_alu instid0(VALU_DEP_1) | instskip(SKIP_1) | instid1(VALU_DEP_1)
	v_mov_b32_e32 v11, v5
	v_pk_mul_f32 v[4:5], v[6:7], v[2:3] op_sel:[0,1]
	v_pk_fma_f32 v[8:9], v[6:7], v[0:1], v[4:5] op_sel:[0,0,1] op_sel_hi:[1,1,0] neg_lo:[0,0,1] neg_hi:[0,0,1]
	v_pk_fma_f32 v[4:5], v[6:7], v[0:1], v[4:5] op_sel:[0,0,1] op_sel_hi:[1,0,0]
	s_delay_alu instid0(VALU_DEP_1)
	v_mov_b32_e32 v9, v5
	ds_load_2addr_b64 v[4:7], v104 offset0:26 offset1:27
	v_pk_add_f32 v[112:113], v[112:113], v[10:11] neg_lo:[0,1] neg_hi:[0,1]
	v_pk_add_f32 v[108:109], v[108:109], v[8:9] neg_lo:[0,1] neg_hi:[0,1]
	s_wait_dscnt 0x0
	v_pk_mul_f32 v[8:9], v[4:5], v[2:3] op_sel:[0,1]
	s_delay_alu instid0(VALU_DEP_1) | instskip(SKIP_1) | instid1(VALU_DEP_1)
	v_pk_fma_f32 v[10:11], v[4:5], v[0:1], v[8:9] op_sel:[0,0,1] op_sel_hi:[1,1,0] neg_lo:[0,0,1] neg_hi:[0,0,1]
	v_pk_fma_f32 v[4:5], v[4:5], v[0:1], v[8:9] op_sel:[0,0,1] op_sel_hi:[1,0,0]
	v_mov_b32_e32 v11, v5
	v_pk_mul_f32 v[4:5], v[6:7], v[2:3] op_sel:[0,1]
	s_delay_alu instid0(VALU_DEP_1) | instskip(SKIP_1) | instid1(VALU_DEP_1)
	v_pk_fma_f32 v[8:9], v[6:7], v[0:1], v[4:5] op_sel:[0,0,1] op_sel_hi:[1,1,0] neg_lo:[0,0,1] neg_hi:[0,0,1]
	v_pk_fma_f32 v[4:5], v[6:7], v[0:1], v[4:5] op_sel:[0,0,1] op_sel_hi:[1,0,0]
	v_mov_b32_e32 v9, v5
	ds_load_2addr_b64 v[4:7], v104 offset0:28 offset1:29
	v_pk_add_f32 v[110:111], v[110:111], v[10:11] neg_lo:[0,1] neg_hi:[0,1]
	v_pk_add_f32 v[106:107], v[106:107], v[8:9] neg_lo:[0,1] neg_hi:[0,1]
	s_wait_dscnt 0x0
	v_dual_mul_f32 v8, v5, v3 :: v_dual_mul_f32 v10, v5, v0
	s_delay_alu instid0(VALU_DEP_1) | instskip(NEXT) | instid1(VALU_DEP_2)
	v_pk_fma_f32 v[8:9], v[4:5], v[36:37], v[8:9] op_sel_hi:[1,1,0] neg_lo:[0,0,1] neg_hi:[0,0,1]
	v_pk_fma_f32 v[4:5], v[4:5], v[36:37], v[10:11] op_sel:[1,0,0] op_sel_hi:[0,1,0]
	s_delay_alu instid0(VALU_DEP_1) | instskip(SKIP_1) | instid1(VALU_DEP_2)
	v_mov_b32_e32 v9, v5
	v_pk_mul_f32 v[4:5], v[6:7], v[2:3] op_sel:[0,1]
	v_pk_add_f32 v[128:129], v[128:129], v[8:9] neg_lo:[0,1] neg_hi:[0,1]
	s_delay_alu instid0(VALU_DEP_2) | instskip(SKIP_1) | instid1(VALU_DEP_1)
	v_pk_fma_f32 v[8:9], v[6:7], v[0:1], v[4:5] op_sel:[0,0,1] op_sel_hi:[1,1,0] neg_lo:[0,0,1] neg_hi:[0,0,1]
	v_pk_fma_f32 v[4:5], v[6:7], v[0:1], v[4:5] op_sel:[0,0,1] op_sel_hi:[1,0,0]
	v_mov_b32_e32 v9, v5
	ds_load_2addr_b64 v[4:7], v104 offset0:30 offset1:31
	v_pk_add_f32 v[124:125], v[124:125], v[8:9] neg_lo:[0,1] neg_hi:[0,1]
	s_wait_dscnt 0x0
	v_pk_mul_f32 v[8:9], v[4:5], v[2:3] op_sel:[0,1]
	s_delay_alu instid0(VALU_DEP_1) | instskip(SKIP_1) | instid1(VALU_DEP_1)
	v_pk_fma_f32 v[10:11], v[4:5], v[0:1], v[8:9] op_sel:[0,0,1] op_sel_hi:[1,1,0] neg_lo:[0,0,1] neg_hi:[0,0,1]
	v_pk_fma_f32 v[4:5], v[4:5], v[0:1], v[8:9] op_sel:[0,0,1] op_sel_hi:[1,0,0]
	v_mov_b32_e32 v11, v5
	v_pk_mul_f32 v[4:5], v[6:7], v[2:3] op_sel:[0,1]
	s_delay_alu instid0(VALU_DEP_2) | instskip(NEXT) | instid1(VALU_DEP_2)
	v_pk_add_f32 v[126:127], v[126:127], v[10:11] neg_lo:[0,1] neg_hi:[0,1]
	v_pk_fma_f32 v[8:9], v[6:7], v[0:1], v[4:5] op_sel:[0,0,1] op_sel_hi:[1,1,0] neg_lo:[0,0,1] neg_hi:[0,0,1]
	v_pk_fma_f32 v[4:5], v[6:7], v[0:1], v[4:5] op_sel:[0,0,1] op_sel_hi:[1,0,0]
	s_delay_alu instid0(VALU_DEP_1) | instskip(SKIP_4) | instid1(VALU_DEP_1)
	v_mov_b32_e32 v9, v5
	ds_load_2addr_b64 v[4:7], v104 offset0:32 offset1:33
	v_pk_add_f32 v[122:123], v[122:123], v[8:9] neg_lo:[0,1] neg_hi:[0,1]
	s_wait_dscnt 0x0
	v_pk_mul_f32 v[8:9], v[4:5], v[2:3] op_sel:[0,1]
	v_pk_fma_f32 v[10:11], v[4:5], v[0:1], v[8:9] op_sel:[0,0,1] op_sel_hi:[1,1,0] neg_lo:[0,0,1] neg_hi:[0,0,1]
	v_pk_fma_f32 v[4:5], v[4:5], v[0:1], v[8:9] op_sel:[0,0,1] op_sel_hi:[1,0,0]
	v_dual_mul_f32 v8, v7, v3 :: v_dual_mov_b32 v4, v7
	s_delay_alu instid0(VALU_DEP_2) | instskip(NEXT) | instid1(VALU_DEP_2)
	v_dual_mov_b32 v11, v5 :: v_dual_mov_b32 v5, v6
	v_pk_fma_f32 v[8:9], v[6:7], v[36:37], v[8:9] op_sel_hi:[1,1,0] neg_lo:[0,0,1] neg_hi:[0,0,1]
	v_mul_f32_e32 v6, v7, v0
	s_delay_alu instid0(VALU_DEP_3) | instskip(NEXT) | instid1(VALU_DEP_2)
	v_pk_add_f32 v[146:147], v[146:147], v[10:11] neg_lo:[0,1] neg_hi:[0,1]
	v_pk_fma_f32 v[4:5], v[4:5], v[36:37], v[6:7] op_sel_hi:[1,1,0]
	s_delay_alu instid0(VALU_DEP_1) | instskip(SKIP_4) | instid1(VALU_DEP_1)
	v_mov_b32_e32 v9, v5
	ds_load_2addr_b64 v[4:7], v104 offset0:34 offset1:35
	v_pk_add_f32 v[142:143], v[142:143], v[8:9] neg_lo:[0,1] neg_hi:[0,1]
	s_wait_dscnt 0x0
	v_pk_mul_f32 v[8:9], v[4:5], v[2:3] op_sel:[0,1]
	v_pk_fma_f32 v[10:11], v[4:5], v[0:1], v[8:9] op_sel:[0,0,1] op_sel_hi:[1,1,0] neg_lo:[0,0,1] neg_hi:[0,0,1]
	v_pk_fma_f32 v[4:5], v[4:5], v[0:1], v[8:9] op_sel:[0,0,1] op_sel_hi:[1,0,0]
	s_delay_alu instid0(VALU_DEP_1) | instskip(SKIP_1) | instid1(VALU_DEP_1)
	v_mov_b32_e32 v11, v5
	v_pk_mul_f32 v[4:5], v[6:7], v[2:3] op_sel:[0,1]
	v_pk_fma_f32 v[8:9], v[6:7], v[0:1], v[4:5] op_sel:[0,0,1] op_sel_hi:[1,1,0] neg_lo:[0,0,1] neg_hi:[0,0,1]
	v_pk_fma_f32 v[4:5], v[6:7], v[0:1], v[4:5] op_sel:[0,0,1] op_sel_hi:[1,0,0]
	s_delay_alu instid0(VALU_DEP_1)
	v_mov_b32_e32 v9, v5
	ds_load_2addr_b64 v[4:7], v104 offset0:36 offset1:37
	v_pk_add_f32 v[144:145], v[144:145], v[10:11] neg_lo:[0,1] neg_hi:[0,1]
	v_pk_add_f32 v[140:141], v[140:141], v[8:9] neg_lo:[0,1] neg_hi:[0,1]
	s_wait_dscnt 0x0
	v_pk_mul_f32 v[8:9], v[4:5], v[2:3] op_sel:[0,1]
	s_delay_alu instid0(VALU_DEP_1) | instskip(SKIP_1) | instid1(VALU_DEP_1)
	v_pk_fma_f32 v[10:11], v[4:5], v[0:1], v[8:9] op_sel:[0,0,1] op_sel_hi:[1,1,0] neg_lo:[0,0,1] neg_hi:[0,0,1]
	v_pk_fma_f32 v[4:5], v[4:5], v[0:1], v[8:9] op_sel:[0,0,1] op_sel_hi:[1,0,0]
	v_mov_b32_e32 v11, v5
	v_pk_mul_f32 v[4:5], v[6:7], v[2:3] op_sel:[0,1]
	s_delay_alu instid0(VALU_DEP_1) | instskip(SKIP_1) | instid1(VALU_DEP_1)
	v_pk_fma_f32 v[8:9], v[6:7], v[0:1], v[4:5] op_sel:[0,0,1] op_sel_hi:[1,1,0] neg_lo:[0,0,1] neg_hi:[0,0,1]
	v_pk_fma_f32 v[4:5], v[6:7], v[0:1], v[4:5] op_sel:[0,0,1] op_sel_hi:[1,0,0]
	v_mov_b32_e32 v9, v5
	ds_load_2addr_b64 v[4:7], v104 offset0:38 offset1:39
	v_pk_add_f32 v[162:163], v[162:163], v[10:11] neg_lo:[0,1] neg_hi:[0,1]
	v_pk_add_f32 v[158:159], v[158:159], v[8:9] neg_lo:[0,1] neg_hi:[0,1]
	s_wait_dscnt 0x0
	v_dual_mul_f32 v8, v5, v3 :: v_dual_mul_f32 v10, v5, v0
	s_delay_alu instid0(VALU_DEP_1) | instskip(NEXT) | instid1(VALU_DEP_2)
	v_pk_fma_f32 v[8:9], v[4:5], v[36:37], v[8:9] op_sel_hi:[1,1,0] neg_lo:[0,0,1] neg_hi:[0,0,1]
	v_pk_fma_f32 v[4:5], v[4:5], v[36:37], v[10:11] op_sel:[1,0,0] op_sel_hi:[0,1,0]
	s_delay_alu instid0(VALU_DEP_1) | instskip(SKIP_1) | instid1(VALU_DEP_2)
	v_mov_b32_e32 v9, v5
	v_pk_mul_f32 v[4:5], v[6:7], v[2:3] op_sel:[0,1]
	v_pk_add_f32 v[160:161], v[160:161], v[8:9] neg_lo:[0,1] neg_hi:[0,1]
	s_delay_alu instid0(VALU_DEP_2) | instskip(SKIP_1) | instid1(VALU_DEP_1)
	v_pk_fma_f32 v[8:9], v[6:7], v[0:1], v[4:5] op_sel:[0,0,1] op_sel_hi:[1,1,0] neg_lo:[0,0,1] neg_hi:[0,0,1]
	v_pk_fma_f32 v[4:5], v[6:7], v[0:1], v[4:5] op_sel:[0,0,1] op_sel_hi:[1,0,0]
	v_mov_b32_e32 v9, v5
	ds_load_2addr_b64 v[4:7], v104 offset0:40 offset1:41
	v_pk_add_f32 v[156:157], v[156:157], v[8:9] neg_lo:[0,1] neg_hi:[0,1]
	s_wait_dscnt 0x0
	v_pk_mul_f32 v[8:9], v[4:5], v[2:3] op_sel:[0,1]
	s_delay_alu instid0(VALU_DEP_1) | instskip(SKIP_1) | instid1(VALU_DEP_1)
	v_pk_fma_f32 v[10:11], v[4:5], v[0:1], v[8:9] op_sel:[0,0,1] op_sel_hi:[1,1,0] neg_lo:[0,0,1] neg_hi:[0,0,1]
	v_pk_fma_f32 v[4:5], v[4:5], v[0:1], v[8:9] op_sel:[0,0,1] op_sel_hi:[1,0,0]
	v_mov_b32_e32 v11, v5
	v_pk_mul_f32 v[4:5], v[6:7], v[2:3] op_sel:[0,1]
	s_delay_alu instid0(VALU_DEP_2) | instskip(NEXT) | instid1(VALU_DEP_2)
	v_pk_add_f32 v[180:181], v[180:181], v[10:11] neg_lo:[0,1] neg_hi:[0,1]
	v_pk_fma_f32 v[8:9], v[6:7], v[0:1], v[4:5] op_sel:[0,0,1] op_sel_hi:[1,1,0] neg_lo:[0,0,1] neg_hi:[0,0,1]
	v_pk_fma_f32 v[4:5], v[6:7], v[0:1], v[4:5] op_sel:[0,0,1] op_sel_hi:[1,0,0]
	s_delay_alu instid0(VALU_DEP_1) | instskip(SKIP_4) | instid1(VALU_DEP_1)
	v_mov_b32_e32 v9, v5
	ds_load_2addr_b64 v[4:7], v104 offset0:42 offset1:43
	v_pk_add_f32 v[176:177], v[176:177], v[8:9] neg_lo:[0,1] neg_hi:[0,1]
	s_wait_dscnt 0x0
	v_pk_mul_f32 v[8:9], v[4:5], v[2:3] op_sel:[0,1]
	v_pk_fma_f32 v[10:11], v[4:5], v[0:1], v[8:9] op_sel:[0,0,1] op_sel_hi:[1,1,0] neg_lo:[0,0,1] neg_hi:[0,0,1]
	v_pk_fma_f32 v[4:5], v[4:5], v[0:1], v[8:9] op_sel:[0,0,1] op_sel_hi:[1,0,0]
	v_dual_mul_f32 v8, v7, v3 :: v_dual_mov_b32 v4, v7
	s_delay_alu instid0(VALU_DEP_2) | instskip(NEXT) | instid1(VALU_DEP_2)
	v_dual_mov_b32 v11, v5 :: v_dual_mov_b32 v5, v6
	v_pk_fma_f32 v[8:9], v[6:7], v[36:37], v[8:9] op_sel_hi:[1,1,0] neg_lo:[0,0,1] neg_hi:[0,0,1]
	v_mul_f32_e32 v6, v7, v0
	s_delay_alu instid0(VALU_DEP_3) | instskip(NEXT) | instid1(VALU_DEP_2)
	v_pk_add_f32 v[178:179], v[178:179], v[10:11] neg_lo:[0,1] neg_hi:[0,1]
	v_pk_fma_f32 v[4:5], v[4:5], v[36:37], v[6:7] op_sel_hi:[1,1,0]
	s_delay_alu instid0(VALU_DEP_1) | instskip(SKIP_4) | instid1(VALU_DEP_1)
	v_mov_b32_e32 v9, v5
	ds_load_2addr_b64 v[4:7], v104 offset0:44 offset1:45
	v_pk_add_f32 v[174:175], v[174:175], v[8:9] neg_lo:[0,1] neg_hi:[0,1]
	s_wait_dscnt 0x0
	v_pk_mul_f32 v[8:9], v[4:5], v[2:3] op_sel:[0,1]
	v_pk_fma_f32 v[10:11], v[4:5], v[0:1], v[8:9] op_sel:[0,0,1] op_sel_hi:[1,1,0] neg_lo:[0,0,1] neg_hi:[0,0,1]
	v_pk_fma_f32 v[4:5], v[4:5], v[0:1], v[8:9] op_sel:[0,0,1] op_sel_hi:[1,0,0]
	s_delay_alu instid0(VALU_DEP_1) | instskip(SKIP_1) | instid1(VALU_DEP_1)
	v_mov_b32_e32 v11, v5
	v_pk_mul_f32 v[4:5], v[6:7], v[2:3] op_sel:[0,1]
	v_pk_fma_f32 v[8:9], v[6:7], v[0:1], v[4:5] op_sel:[0,0,1] op_sel_hi:[1,1,0] neg_lo:[0,0,1] neg_hi:[0,0,1]
	v_pk_fma_f32 v[4:5], v[6:7], v[0:1], v[4:5] op_sel:[0,0,1] op_sel_hi:[1,0,0]
	s_delay_alu instid0(VALU_DEP_1)
	v_mov_b32_e32 v9, v5
	ds_load_2addr_b64 v[4:7], v104 offset0:46 offset1:47
	v_pk_add_f32 v[200:201], v[200:201], v[10:11] neg_lo:[0,1] neg_hi:[0,1]
	v_pk_add_f32 v[194:195], v[194:195], v[8:9] neg_lo:[0,1] neg_hi:[0,1]
	s_wait_dscnt 0x0
	v_pk_mul_f32 v[8:9], v[4:5], v[2:3] op_sel:[0,1]
	s_delay_alu instid0(VALU_DEP_1) | instskip(SKIP_1) | instid1(VALU_DEP_1)
	v_pk_fma_f32 v[10:11], v[4:5], v[0:1], v[8:9] op_sel:[0,0,1] op_sel_hi:[1,1,0] neg_lo:[0,0,1] neg_hi:[0,0,1]
	v_pk_fma_f32 v[4:5], v[4:5], v[0:1], v[8:9] op_sel:[0,0,1] op_sel_hi:[1,0,0]
	v_mov_b32_e32 v11, v5
	v_pk_mul_f32 v[4:5], v[6:7], v[2:3] op_sel:[0,1]
	s_delay_alu instid0(VALU_DEP_1) | instskip(SKIP_1) | instid1(VALU_DEP_1)
	v_pk_fma_f32 v[8:9], v[6:7], v[0:1], v[4:5] op_sel:[0,0,1] op_sel_hi:[1,1,0] neg_lo:[0,0,1] neg_hi:[0,0,1]
	v_pk_fma_f32 v[4:5], v[6:7], v[0:1], v[4:5] op_sel:[0,0,1] op_sel_hi:[1,0,0]
	v_mov_b32_e32 v9, v5
	ds_load_2addr_b64 v[4:7], v104 offset0:48 offset1:49
	v_pk_add_f32 v[198:199], v[198:199], v[10:11] neg_lo:[0,1] neg_hi:[0,1]
	v_pk_add_f32 v[192:193], v[192:193], v[8:9] neg_lo:[0,1] neg_hi:[0,1]
	s_wait_dscnt 0x0
	v_dual_mul_f32 v8, v5, v3 :: v_dual_mul_f32 v10, v5, v0
	s_delay_alu instid0(VALU_DEP_1) | instskip(NEXT) | instid1(VALU_DEP_2)
	v_pk_fma_f32 v[8:9], v[4:5], v[36:37], v[8:9] op_sel_hi:[1,1,0] neg_lo:[0,0,1] neg_hi:[0,0,1]
	v_pk_fma_f32 v[4:5], v[4:5], v[36:37], v[10:11] op_sel:[1,0,0] op_sel_hi:[0,1,0]
	s_delay_alu instid0(VALU_DEP_1) | instskip(SKIP_1) | instid1(VALU_DEP_2)
	v_mov_b32_e32 v9, v5
	v_pk_mul_f32 v[4:5], v[6:7], v[2:3] op_sel:[0,1]
	v_pk_add_f32 v[196:197], v[196:197], v[8:9] neg_lo:[0,1] neg_hi:[0,1]
	s_delay_alu instid0(VALU_DEP_2) | instskip(SKIP_1) | instid1(VALU_DEP_1)
	v_pk_fma_f32 v[8:9], v[6:7], v[0:1], v[4:5] op_sel:[0,0,1] op_sel_hi:[1,1,0] neg_lo:[0,0,1] neg_hi:[0,0,1]
	v_pk_fma_f32 v[4:5], v[6:7], v[0:1], v[4:5] op_sel:[0,0,1] op_sel_hi:[1,0,0]
	v_mov_b32_e32 v9, v5
	ds_load_b64 v[4:5], v104 offset:400
	v_pk_add_f32 v[202:203], v[202:203], v[8:9] neg_lo:[0,1] neg_hi:[0,1]
	s_wait_dscnt 0x0
	v_pk_mul_f32 v[2:3], v[4:5], v[2:3] op_sel:[0,1]
	s_delay_alu instid0(VALU_DEP_1) | instskip(SKIP_1) | instid1(VALU_DEP_1)
	v_pk_fma_f32 v[6:7], v[4:5], v[0:1], v[2:3] op_sel:[0,0,1] op_sel_hi:[1,1,0] neg_lo:[0,0,1] neg_hi:[0,0,1]
	v_pk_fma_f32 v[0:1], v[4:5], v[0:1], v[2:3] op_sel:[0,0,1] op_sel_hi:[1,0,0]
	v_mov_b32_e32 v7, v1
	s_delay_alu instid0(VALU_DEP_1)
	v_pk_add_f32 v[204:205], v[204:205], v[6:7] neg_lo:[0,1] neg_hi:[0,1]
.LBB101_91:
	s_wait_xcnt 0x0
	s_or_b32 exec_lo, exec_lo, s1
	s_delay_alu instid0(SALU_CYCLE_1)
	s_mov_b32 s2, exec_lo
	s_wait_storecnt 0x0
	s_barrier_signal -1
	s_barrier_wait -1
	v_cmpx_eq_u32_e32 10, v102
	s_cbranch_execz .LBB101_98
; %bb.92:
	ds_store_b64 v103, v[38:39]
	ds_store_2addr_b64 v104, v[34:35], v[58:59] offset0:11 offset1:12
	ds_store_2addr_b64 v104, v[54:55], v[56:57] offset0:13 offset1:14
	;; [unrolled: 1-line block ×20, first 2 shown]
	ds_load_b64 v[0:1], v103
	s_wait_dscnt 0x0
	v_cmp_neq_f32_e32 vcc_lo, 0, v0
	v_cmp_neq_f32_e64 s1, 0, v1
	s_or_b32 s1, vcc_lo, s1
	s_delay_alu instid0(SALU_CYCLE_1)
	s_and_b32 exec_lo, exec_lo, s1
	s_cbranch_execz .LBB101_98
; %bb.93:
	v_cmp_ngt_f32_e64 s1, |v0|, |v1|
                                        ; implicit-def: $vgpr2_vgpr3
	s_and_saveexec_b32 s4, s1
	s_delay_alu instid0(SALU_CYCLE_1)
	s_xor_b32 s1, exec_lo, s4
	s_cbranch_execz .LBB101_95
; %bb.94:
	v_div_scale_f32 v2, null, v1, v1, v0
	v_div_scale_f32 v5, vcc_lo, v0, v1, v0
	s_delay_alu instid0(VALU_DEP_2) | instskip(SKIP_1) | instid1(TRANS32_DEP_1)
	v_rcp_f32_e32 v3, v2
	v_nop
	v_fma_f32 v4, -v2, v3, 1.0
	s_delay_alu instid0(VALU_DEP_1) | instskip(NEXT) | instid1(VALU_DEP_1)
	v_fmac_f32_e32 v3, v4, v3
	v_mul_f32_e32 v4, v5, v3
	s_delay_alu instid0(VALU_DEP_1) | instskip(NEXT) | instid1(VALU_DEP_1)
	v_fma_f32 v6, -v2, v4, v5
	v_fmac_f32_e32 v4, v6, v3
	s_delay_alu instid0(VALU_DEP_1) | instskip(NEXT) | instid1(VALU_DEP_1)
	v_fma_f32 v2, -v2, v4, v5
	v_div_fmas_f32 v2, v2, v3, v4
	s_delay_alu instid0(VALU_DEP_1) | instskip(NEXT) | instid1(VALU_DEP_1)
	v_div_fixup_f32 v2, v2, v1, v0
	v_fmac_f32_e32 v1, v0, v2
	s_delay_alu instid0(VALU_DEP_1) | instskip(SKIP_1) | instid1(VALU_DEP_2)
	v_div_scale_f32 v0, null, v1, v1, 1.0
	v_div_scale_f32 v5, vcc_lo, 1.0, v1, 1.0
	v_rcp_f32_e32 v3, v0
	v_nop
	s_delay_alu instid0(TRANS32_DEP_1) | instskip(NEXT) | instid1(VALU_DEP_1)
	v_fma_f32 v4, -v0, v3, 1.0
	v_fmac_f32_e32 v3, v4, v3
	s_delay_alu instid0(VALU_DEP_1) | instskip(NEXT) | instid1(VALU_DEP_1)
	v_mul_f32_e32 v4, v5, v3
	v_fma_f32 v6, -v0, v4, v5
	s_delay_alu instid0(VALU_DEP_1) | instskip(NEXT) | instid1(VALU_DEP_1)
	v_fmac_f32_e32 v4, v6, v3
	v_fma_f32 v0, -v0, v4, v5
	s_delay_alu instid0(VALU_DEP_1) | instskip(NEXT) | instid1(VALU_DEP_1)
	v_div_fmas_f32 v0, v0, v3, v4
	v_div_fixup_f32 v0, v0, v1, 1.0
	s_delay_alu instid0(VALU_DEP_1)
	v_mul_f32_e32 v2, v2, v0
	v_xor_b32_e32 v3, 0x80000000, v0
                                        ; implicit-def: $vgpr0_vgpr1
.LBB101_95:
	s_and_not1_saveexec_b32 s1, s1
	s_cbranch_execz .LBB101_97
; %bb.96:
	v_div_scale_f32 v2, null, v0, v0, v1
	v_div_scale_f32 v5, vcc_lo, v1, v0, v1
	s_delay_alu instid0(VALU_DEP_2) | instskip(SKIP_1) | instid1(TRANS32_DEP_1)
	v_rcp_f32_e32 v3, v2
	v_nop
	v_fma_f32 v4, -v2, v3, 1.0
	s_delay_alu instid0(VALU_DEP_1) | instskip(NEXT) | instid1(VALU_DEP_1)
	v_fmac_f32_e32 v3, v4, v3
	v_mul_f32_e32 v4, v5, v3
	s_delay_alu instid0(VALU_DEP_1) | instskip(NEXT) | instid1(VALU_DEP_1)
	v_fma_f32 v6, -v2, v4, v5
	v_fmac_f32_e32 v4, v6, v3
	s_delay_alu instid0(VALU_DEP_1) | instskip(NEXT) | instid1(VALU_DEP_1)
	v_fma_f32 v2, -v2, v4, v5
	v_div_fmas_f32 v2, v2, v3, v4
	s_delay_alu instid0(VALU_DEP_1) | instskip(NEXT) | instid1(VALU_DEP_1)
	v_div_fixup_f32 v3, v2, v0, v1
	v_fmac_f32_e32 v0, v1, v3
	s_delay_alu instid0(VALU_DEP_1) | instskip(NEXT) | instid1(VALU_DEP_1)
	v_div_scale_f32 v1, null, v0, v0, 1.0
	v_rcp_f32_e32 v2, v1
	v_nop
	s_delay_alu instid0(TRANS32_DEP_1) | instskip(NEXT) | instid1(VALU_DEP_1)
	v_fma_f32 v4, -v1, v2, 1.0
	v_fmac_f32_e32 v2, v4, v2
	v_div_scale_f32 v4, vcc_lo, 1.0, v0, 1.0
	s_delay_alu instid0(VALU_DEP_1) | instskip(NEXT) | instid1(VALU_DEP_1)
	v_mul_f32_e32 v5, v4, v2
	v_fma_f32 v6, -v1, v5, v4
	s_delay_alu instid0(VALU_DEP_1) | instskip(NEXT) | instid1(VALU_DEP_1)
	v_fmac_f32_e32 v5, v6, v2
	v_fma_f32 v1, -v1, v5, v4
	s_delay_alu instid0(VALU_DEP_1) | instskip(NEXT) | instid1(VALU_DEP_1)
	v_div_fmas_f32 v1, v1, v2, v5
	v_div_fixup_f32 v2, v1, v0, 1.0
	s_delay_alu instid0(VALU_DEP_1)
	v_mul_f32_e64 v3, v3, -v2
.LBB101_97:
	s_or_b32 exec_lo, exec_lo, s1
	ds_store_b64 v103, v[2:3]
.LBB101_98:
	s_or_b32 exec_lo, exec_lo, s2
	s_wait_dscnt 0x0
	s_barrier_signal -1
	s_barrier_wait -1
	ds_load_b64 v[0:1], v103
	s_mov_b32 s1, exec_lo
	s_wait_dscnt 0x0
	scratch_store_b64 off, v[0:1], off offset:128 ; 8-byte Folded Spill
	s_wait_xcnt 0x0
	v_cmpx_lt_u32_e32 10, v102
	s_cbranch_execz .LBB101_100
; %bb.99:
	scratch_load_b64 v[4:5], off, off offset:128 ; 8-byte Folded Reload
	s_wait_loadcnt 0x0
	v_pk_mul_f32 v[2:3], v[4:5], v[38:39] op_sel:[1,1] op_sel_hi:[0,1]
	s_delay_alu instid0(VALU_DEP_1)
	v_pk_fma_f32 v[0:1], v[4:5], v[38:39], v[2:3] op_sel_hi:[1,0,1] neg_lo:[0,0,1] neg_hi:[0,0,1]
	v_pk_fma_f32 v[2:3], v[4:5], v[38:39], v[2:3] op_sel_hi:[1,0,1]
	ds_load_2addr_b64 v[4:7], v104 offset0:11 offset1:12
	v_dual_mov_b32 v38, v0 :: v_dual_mov_b32 v39, v3
	s_wait_dscnt 0x0
	v_pk_mul_f32 v[8:9], v[4:5], v[2:3] op_sel:[0,1]
	s_delay_alu instid0(VALU_DEP_1) | instskip(SKIP_1) | instid1(VALU_DEP_1)
	v_pk_fma_f32 v[10:11], v[4:5], v[0:1], v[8:9] op_sel:[0,0,1] op_sel_hi:[1,1,0] neg_lo:[0,0,1] neg_hi:[0,0,1]
	v_pk_fma_f32 v[4:5], v[4:5], v[0:1], v[8:9] op_sel:[0,0,1] op_sel_hi:[1,0,0]
	v_mov_b32_e32 v11, v5
	v_pk_mul_f32 v[4:5], v[6:7], v[2:3] op_sel:[0,1]
	s_delay_alu instid0(VALU_DEP_1) | instskip(SKIP_1) | instid1(VALU_DEP_1)
	v_pk_fma_f32 v[8:9], v[6:7], v[0:1], v[4:5] op_sel:[0,0,1] op_sel_hi:[1,1,0] neg_lo:[0,0,1] neg_hi:[0,0,1]
	v_pk_fma_f32 v[4:5], v[6:7], v[0:1], v[4:5] op_sel:[0,0,1] op_sel_hi:[1,0,0]
	v_mov_b32_e32 v9, v5
	ds_load_2addr_b64 v[4:7], v104 offset0:13 offset1:14
	v_pk_add_f32 v[34:35], v[34:35], v[10:11] neg_lo:[0,1] neg_hi:[0,1]
	v_pk_add_f32 v[58:59], v[58:59], v[8:9] neg_lo:[0,1] neg_hi:[0,1]
	s_wait_dscnt 0x0
	v_pk_mul_f32 v[8:9], v[4:5], v[2:3] op_sel:[0,1]
	s_delay_alu instid0(VALU_DEP_1) | instskip(SKIP_2) | instid1(VALU_DEP_2)
	v_pk_fma_f32 v[10:11], v[4:5], v[0:1], v[8:9] op_sel:[0,0,1] op_sel_hi:[1,1,0] neg_lo:[0,0,1] neg_hi:[0,0,1]
	v_pk_fma_f32 v[4:5], v[4:5], v[0:1], v[8:9] op_sel:[0,0,1] op_sel_hi:[1,0,0]
	v_dual_mul_f32 v8, v7, v3 :: v_dual_mov_b32 v4, v7
	v_dual_mov_b32 v11, v5 :: v_dual_mov_b32 v5, v6
	s_delay_alu instid0(VALU_DEP_2) | instskip(SKIP_1) | instid1(VALU_DEP_3)
	v_pk_fma_f32 v[8:9], v[6:7], v[38:39], v[8:9] op_sel_hi:[1,1,0] neg_lo:[0,0,1] neg_hi:[0,0,1]
	v_mul_f32_e32 v6, v7, v0
	v_pk_add_f32 v[54:55], v[54:55], v[10:11] neg_lo:[0,1] neg_hi:[0,1]
	s_delay_alu instid0(VALU_DEP_2) | instskip(NEXT) | instid1(VALU_DEP_1)
	v_pk_fma_f32 v[4:5], v[4:5], v[38:39], v[6:7] op_sel_hi:[1,1,0]
	v_mov_b32_e32 v9, v5
	ds_load_2addr_b64 v[4:7], v104 offset0:15 offset1:16
	v_pk_add_f32 v[56:57], v[56:57], v[8:9] neg_lo:[0,1] neg_hi:[0,1]
	s_wait_dscnt 0x0
	v_pk_mul_f32 v[8:9], v[4:5], v[2:3] op_sel:[0,1]
	s_delay_alu instid0(VALU_DEP_1) | instskip(SKIP_1) | instid1(VALU_DEP_1)
	v_pk_fma_f32 v[10:11], v[4:5], v[0:1], v[8:9] op_sel:[0,0,1] op_sel_hi:[1,1,0] neg_lo:[0,0,1] neg_hi:[0,0,1]
	v_pk_fma_f32 v[4:5], v[4:5], v[0:1], v[8:9] op_sel:[0,0,1] op_sel_hi:[1,0,0]
	v_mov_b32_e32 v11, v5
	v_pk_mul_f32 v[4:5], v[6:7], v[2:3] op_sel:[0,1]
	s_delay_alu instid0(VALU_DEP_1) | instskip(SKIP_1) | instid1(VALU_DEP_1)
	v_pk_fma_f32 v[8:9], v[6:7], v[0:1], v[4:5] op_sel:[0,0,1] op_sel_hi:[1,1,0] neg_lo:[0,0,1] neg_hi:[0,0,1]
	v_pk_fma_f32 v[4:5], v[6:7], v[0:1], v[4:5] op_sel:[0,0,1] op_sel_hi:[1,0,0]
	v_mov_b32_e32 v9, v5
	ds_load_2addr_b64 v[4:7], v104 offset0:17 offset1:18
	v_pk_add_f32 v[52:53], v[52:53], v[10:11] neg_lo:[0,1] neg_hi:[0,1]
	v_pk_add_f32 v[76:77], v[76:77], v[8:9] neg_lo:[0,1] neg_hi:[0,1]
	s_wait_dscnt 0x0
	v_pk_mul_f32 v[8:9], v[4:5], v[2:3] op_sel:[0,1]
	s_delay_alu instid0(VALU_DEP_1) | instskip(SKIP_1) | instid1(VALU_DEP_1)
	v_pk_fma_f32 v[10:11], v[4:5], v[0:1], v[8:9] op_sel:[0,0,1] op_sel_hi:[1,1,0] neg_lo:[0,0,1] neg_hi:[0,0,1]
	v_pk_fma_f32 v[4:5], v[4:5], v[0:1], v[8:9] op_sel:[0,0,1] op_sel_hi:[1,0,0]
	v_mov_b32_e32 v11, v5
	v_pk_mul_f32 v[4:5], v[6:7], v[2:3] op_sel:[0,1]
	s_delay_alu instid0(VALU_DEP_1) | instskip(SKIP_1) | instid1(VALU_DEP_1)
	v_pk_fma_f32 v[8:9], v[6:7], v[0:1], v[4:5] op_sel:[0,0,1] op_sel_hi:[1,1,0] neg_lo:[0,0,1] neg_hi:[0,0,1]
	v_pk_fma_f32 v[4:5], v[6:7], v[0:1], v[4:5] op_sel:[0,0,1] op_sel_hi:[1,0,0]
	v_mov_b32_e32 v9, v5
	ds_load_2addr_b64 v[4:7], v104 offset0:19 offset1:20
	v_pk_add_f32 v[72:73], v[72:73], v[10:11] neg_lo:[0,1] neg_hi:[0,1]
	v_pk_add_f32 v[74:75], v[74:75], v[8:9] neg_lo:[0,1] neg_hi:[0,1]
	s_wait_dscnt 0x0
	v_dual_mul_f32 v8, v5, v3 :: v_dual_mul_f32 v10, v5, v0
	s_delay_alu instid0(VALU_DEP_1) | instskip(NEXT) | instid1(VALU_DEP_2)
	v_pk_fma_f32 v[8:9], v[4:5], v[38:39], v[8:9] op_sel_hi:[1,1,0] neg_lo:[0,0,1] neg_hi:[0,0,1]
	v_pk_fma_f32 v[4:5], v[4:5], v[38:39], v[10:11] op_sel:[1,0,0] op_sel_hi:[0,1,0]
	s_delay_alu instid0(VALU_DEP_1) | instskip(SKIP_1) | instid1(VALU_DEP_2)
	v_mov_b32_e32 v9, v5
	v_pk_mul_f32 v[4:5], v[6:7], v[2:3] op_sel:[0,1]
	v_pk_add_f32 v[70:71], v[70:71], v[8:9] neg_lo:[0,1] neg_hi:[0,1]
	s_delay_alu instid0(VALU_DEP_2) | instskip(SKIP_1) | instid1(VALU_DEP_1)
	v_pk_fma_f32 v[8:9], v[6:7], v[0:1], v[4:5] op_sel:[0,0,1] op_sel_hi:[1,1,0] neg_lo:[0,0,1] neg_hi:[0,0,1]
	v_pk_fma_f32 v[4:5], v[6:7], v[0:1], v[4:5] op_sel:[0,0,1] op_sel_hi:[1,0,0]
	v_mov_b32_e32 v9, v5
	ds_load_2addr_b64 v[4:7], v104 offset0:21 offset1:22
	v_pk_add_f32 v[94:95], v[94:95], v[8:9] neg_lo:[0,1] neg_hi:[0,1]
	s_wait_dscnt 0x0
	v_pk_mul_f32 v[8:9], v[4:5], v[2:3] op_sel:[0,1]
	s_delay_alu instid0(VALU_DEP_1) | instskip(SKIP_1) | instid1(VALU_DEP_1)
	v_pk_fma_f32 v[10:11], v[4:5], v[0:1], v[8:9] op_sel:[0,0,1] op_sel_hi:[1,1,0] neg_lo:[0,0,1] neg_hi:[0,0,1]
	v_pk_fma_f32 v[4:5], v[4:5], v[0:1], v[8:9] op_sel:[0,0,1] op_sel_hi:[1,0,0]
	v_mov_b32_e32 v11, v5
	v_pk_mul_f32 v[4:5], v[6:7], v[2:3] op_sel:[0,1]
	s_delay_alu instid0(VALU_DEP_2) | instskip(NEXT) | instid1(VALU_DEP_2)
	v_pk_add_f32 v[90:91], v[90:91], v[10:11] neg_lo:[0,1] neg_hi:[0,1]
	v_pk_fma_f32 v[8:9], v[6:7], v[0:1], v[4:5] op_sel:[0,0,1] op_sel_hi:[1,1,0] neg_lo:[0,0,1] neg_hi:[0,0,1]
	v_pk_fma_f32 v[4:5], v[6:7], v[0:1], v[4:5] op_sel:[0,0,1] op_sel_hi:[1,0,0]
	s_delay_alu instid0(VALU_DEP_1) | instskip(SKIP_4) | instid1(VALU_DEP_1)
	v_mov_b32_e32 v9, v5
	ds_load_2addr_b64 v[4:7], v104 offset0:23 offset1:24
	v_pk_add_f32 v[92:93], v[92:93], v[8:9] neg_lo:[0,1] neg_hi:[0,1]
	s_wait_dscnt 0x0
	v_pk_mul_f32 v[8:9], v[4:5], v[2:3] op_sel:[0,1]
	v_pk_fma_f32 v[10:11], v[4:5], v[0:1], v[8:9] op_sel:[0,0,1] op_sel_hi:[1,1,0] neg_lo:[0,0,1] neg_hi:[0,0,1]
	v_pk_fma_f32 v[4:5], v[4:5], v[0:1], v[8:9] op_sel:[0,0,1] op_sel_hi:[1,0,0]
	v_dual_mul_f32 v8, v7, v3 :: v_dual_mov_b32 v4, v7
	s_delay_alu instid0(VALU_DEP_2) | instskip(NEXT) | instid1(VALU_DEP_2)
	v_dual_mov_b32 v11, v5 :: v_dual_mov_b32 v5, v6
	v_pk_fma_f32 v[8:9], v[6:7], v[38:39], v[8:9] op_sel_hi:[1,1,0] neg_lo:[0,0,1] neg_hi:[0,0,1]
	v_mul_f32_e32 v6, v7, v0
	s_delay_alu instid0(VALU_DEP_3) | instskip(NEXT) | instid1(VALU_DEP_2)
	v_pk_add_f32 v[88:89], v[88:89], v[10:11] neg_lo:[0,1] neg_hi:[0,1]
	v_pk_fma_f32 v[4:5], v[4:5], v[38:39], v[6:7] op_sel_hi:[1,1,0]
	s_delay_alu instid0(VALU_DEP_1) | instskip(SKIP_4) | instid1(VALU_DEP_1)
	v_mov_b32_e32 v9, v5
	ds_load_2addr_b64 v[4:7], v104 offset0:25 offset1:26
	v_pk_add_f32 v[112:113], v[112:113], v[8:9] neg_lo:[0,1] neg_hi:[0,1]
	s_wait_dscnt 0x0
	v_pk_mul_f32 v[8:9], v[4:5], v[2:3] op_sel:[0,1]
	v_pk_fma_f32 v[10:11], v[4:5], v[0:1], v[8:9] op_sel:[0,0,1] op_sel_hi:[1,1,0] neg_lo:[0,0,1] neg_hi:[0,0,1]
	v_pk_fma_f32 v[4:5], v[4:5], v[0:1], v[8:9] op_sel:[0,0,1] op_sel_hi:[1,0,0]
	s_delay_alu instid0(VALU_DEP_1) | instskip(SKIP_1) | instid1(VALU_DEP_1)
	v_mov_b32_e32 v11, v5
	v_pk_mul_f32 v[4:5], v[6:7], v[2:3] op_sel:[0,1]
	v_pk_fma_f32 v[8:9], v[6:7], v[0:1], v[4:5] op_sel:[0,0,1] op_sel_hi:[1,1,0] neg_lo:[0,0,1] neg_hi:[0,0,1]
	v_pk_fma_f32 v[4:5], v[6:7], v[0:1], v[4:5] op_sel:[0,0,1] op_sel_hi:[1,0,0]
	s_delay_alu instid0(VALU_DEP_1)
	v_mov_b32_e32 v9, v5
	ds_load_2addr_b64 v[4:7], v104 offset0:27 offset1:28
	v_pk_add_f32 v[108:109], v[108:109], v[10:11] neg_lo:[0,1] neg_hi:[0,1]
	v_pk_add_f32 v[110:111], v[110:111], v[8:9] neg_lo:[0,1] neg_hi:[0,1]
	s_wait_dscnt 0x0
	v_pk_mul_f32 v[8:9], v[4:5], v[2:3] op_sel:[0,1]
	s_delay_alu instid0(VALU_DEP_1) | instskip(SKIP_1) | instid1(VALU_DEP_1)
	v_pk_fma_f32 v[10:11], v[4:5], v[0:1], v[8:9] op_sel:[0,0,1] op_sel_hi:[1,1,0] neg_lo:[0,0,1] neg_hi:[0,0,1]
	v_pk_fma_f32 v[4:5], v[4:5], v[0:1], v[8:9] op_sel:[0,0,1] op_sel_hi:[1,0,0]
	v_mov_b32_e32 v11, v5
	v_pk_mul_f32 v[4:5], v[6:7], v[2:3] op_sel:[0,1]
	s_delay_alu instid0(VALU_DEP_1) | instskip(SKIP_1) | instid1(VALU_DEP_1)
	v_pk_fma_f32 v[8:9], v[6:7], v[0:1], v[4:5] op_sel:[0,0,1] op_sel_hi:[1,1,0] neg_lo:[0,0,1] neg_hi:[0,0,1]
	v_pk_fma_f32 v[4:5], v[6:7], v[0:1], v[4:5] op_sel:[0,0,1] op_sel_hi:[1,0,0]
	v_mov_b32_e32 v9, v5
	ds_load_2addr_b64 v[4:7], v104 offset0:29 offset1:30
	v_pk_add_f32 v[106:107], v[106:107], v[10:11] neg_lo:[0,1] neg_hi:[0,1]
	v_pk_add_f32 v[128:129], v[128:129], v[8:9] neg_lo:[0,1] neg_hi:[0,1]
	s_wait_dscnt 0x0
	v_dual_mul_f32 v8, v5, v3 :: v_dual_mul_f32 v10, v5, v0
	s_delay_alu instid0(VALU_DEP_1) | instskip(NEXT) | instid1(VALU_DEP_2)
	v_pk_fma_f32 v[8:9], v[4:5], v[38:39], v[8:9] op_sel_hi:[1,1,0] neg_lo:[0,0,1] neg_hi:[0,0,1]
	v_pk_fma_f32 v[4:5], v[4:5], v[38:39], v[10:11] op_sel:[1,0,0] op_sel_hi:[0,1,0]
	s_delay_alu instid0(VALU_DEP_1) | instskip(SKIP_1) | instid1(VALU_DEP_2)
	v_mov_b32_e32 v9, v5
	v_pk_mul_f32 v[4:5], v[6:7], v[2:3] op_sel:[0,1]
	v_pk_add_f32 v[124:125], v[124:125], v[8:9] neg_lo:[0,1] neg_hi:[0,1]
	s_delay_alu instid0(VALU_DEP_2) | instskip(SKIP_1) | instid1(VALU_DEP_1)
	v_pk_fma_f32 v[8:9], v[6:7], v[0:1], v[4:5] op_sel:[0,0,1] op_sel_hi:[1,1,0] neg_lo:[0,0,1] neg_hi:[0,0,1]
	v_pk_fma_f32 v[4:5], v[6:7], v[0:1], v[4:5] op_sel:[0,0,1] op_sel_hi:[1,0,0]
	v_mov_b32_e32 v9, v5
	ds_load_2addr_b64 v[4:7], v104 offset0:31 offset1:32
	v_pk_add_f32 v[126:127], v[126:127], v[8:9] neg_lo:[0,1] neg_hi:[0,1]
	s_wait_dscnt 0x0
	v_pk_mul_f32 v[8:9], v[4:5], v[2:3] op_sel:[0,1]
	s_delay_alu instid0(VALU_DEP_1) | instskip(SKIP_1) | instid1(VALU_DEP_1)
	v_pk_fma_f32 v[10:11], v[4:5], v[0:1], v[8:9] op_sel:[0,0,1] op_sel_hi:[1,1,0] neg_lo:[0,0,1] neg_hi:[0,0,1]
	v_pk_fma_f32 v[4:5], v[4:5], v[0:1], v[8:9] op_sel:[0,0,1] op_sel_hi:[1,0,0]
	v_mov_b32_e32 v11, v5
	v_pk_mul_f32 v[4:5], v[6:7], v[2:3] op_sel:[0,1]
	s_delay_alu instid0(VALU_DEP_2) | instskip(NEXT) | instid1(VALU_DEP_2)
	v_pk_add_f32 v[122:123], v[122:123], v[10:11] neg_lo:[0,1] neg_hi:[0,1]
	v_pk_fma_f32 v[8:9], v[6:7], v[0:1], v[4:5] op_sel:[0,0,1] op_sel_hi:[1,1,0] neg_lo:[0,0,1] neg_hi:[0,0,1]
	v_pk_fma_f32 v[4:5], v[6:7], v[0:1], v[4:5] op_sel:[0,0,1] op_sel_hi:[1,0,0]
	s_delay_alu instid0(VALU_DEP_1) | instskip(SKIP_4) | instid1(VALU_DEP_1)
	v_mov_b32_e32 v9, v5
	ds_load_2addr_b64 v[4:7], v104 offset0:33 offset1:34
	v_pk_add_f32 v[146:147], v[146:147], v[8:9] neg_lo:[0,1] neg_hi:[0,1]
	s_wait_dscnt 0x0
	v_pk_mul_f32 v[8:9], v[4:5], v[2:3] op_sel:[0,1]
	v_pk_fma_f32 v[10:11], v[4:5], v[0:1], v[8:9] op_sel:[0,0,1] op_sel_hi:[1,1,0] neg_lo:[0,0,1] neg_hi:[0,0,1]
	v_pk_fma_f32 v[4:5], v[4:5], v[0:1], v[8:9] op_sel:[0,0,1] op_sel_hi:[1,0,0]
	v_dual_mul_f32 v8, v7, v3 :: v_dual_mov_b32 v4, v7
	s_delay_alu instid0(VALU_DEP_2) | instskip(NEXT) | instid1(VALU_DEP_2)
	v_dual_mov_b32 v11, v5 :: v_dual_mov_b32 v5, v6
	v_pk_fma_f32 v[8:9], v[6:7], v[38:39], v[8:9] op_sel_hi:[1,1,0] neg_lo:[0,0,1] neg_hi:[0,0,1]
	v_mul_f32_e32 v6, v7, v0
	s_delay_alu instid0(VALU_DEP_3) | instskip(NEXT) | instid1(VALU_DEP_2)
	v_pk_add_f32 v[142:143], v[142:143], v[10:11] neg_lo:[0,1] neg_hi:[0,1]
	v_pk_fma_f32 v[4:5], v[4:5], v[38:39], v[6:7] op_sel_hi:[1,1,0]
	s_delay_alu instid0(VALU_DEP_1) | instskip(SKIP_4) | instid1(VALU_DEP_1)
	v_mov_b32_e32 v9, v5
	ds_load_2addr_b64 v[4:7], v104 offset0:35 offset1:36
	v_pk_add_f32 v[144:145], v[144:145], v[8:9] neg_lo:[0,1] neg_hi:[0,1]
	s_wait_dscnt 0x0
	v_pk_mul_f32 v[8:9], v[4:5], v[2:3] op_sel:[0,1]
	v_pk_fma_f32 v[10:11], v[4:5], v[0:1], v[8:9] op_sel:[0,0,1] op_sel_hi:[1,1,0] neg_lo:[0,0,1] neg_hi:[0,0,1]
	v_pk_fma_f32 v[4:5], v[4:5], v[0:1], v[8:9] op_sel:[0,0,1] op_sel_hi:[1,0,0]
	s_delay_alu instid0(VALU_DEP_1) | instskip(SKIP_1) | instid1(VALU_DEP_1)
	v_mov_b32_e32 v11, v5
	v_pk_mul_f32 v[4:5], v[6:7], v[2:3] op_sel:[0,1]
	v_pk_fma_f32 v[8:9], v[6:7], v[0:1], v[4:5] op_sel:[0,0,1] op_sel_hi:[1,1,0] neg_lo:[0,0,1] neg_hi:[0,0,1]
	v_pk_fma_f32 v[4:5], v[6:7], v[0:1], v[4:5] op_sel:[0,0,1] op_sel_hi:[1,0,0]
	s_delay_alu instid0(VALU_DEP_1)
	v_mov_b32_e32 v9, v5
	ds_load_2addr_b64 v[4:7], v104 offset0:37 offset1:38
	v_pk_add_f32 v[140:141], v[140:141], v[10:11] neg_lo:[0,1] neg_hi:[0,1]
	v_pk_add_f32 v[162:163], v[162:163], v[8:9] neg_lo:[0,1] neg_hi:[0,1]
	s_wait_dscnt 0x0
	v_pk_mul_f32 v[8:9], v[4:5], v[2:3] op_sel:[0,1]
	s_delay_alu instid0(VALU_DEP_1) | instskip(SKIP_1) | instid1(VALU_DEP_1)
	v_pk_fma_f32 v[10:11], v[4:5], v[0:1], v[8:9] op_sel:[0,0,1] op_sel_hi:[1,1,0] neg_lo:[0,0,1] neg_hi:[0,0,1]
	v_pk_fma_f32 v[4:5], v[4:5], v[0:1], v[8:9] op_sel:[0,0,1] op_sel_hi:[1,0,0]
	v_mov_b32_e32 v11, v5
	v_pk_mul_f32 v[4:5], v[6:7], v[2:3] op_sel:[0,1]
	s_delay_alu instid0(VALU_DEP_1) | instskip(SKIP_1) | instid1(VALU_DEP_1)
	v_pk_fma_f32 v[8:9], v[6:7], v[0:1], v[4:5] op_sel:[0,0,1] op_sel_hi:[1,1,0] neg_lo:[0,0,1] neg_hi:[0,0,1]
	v_pk_fma_f32 v[4:5], v[6:7], v[0:1], v[4:5] op_sel:[0,0,1] op_sel_hi:[1,0,0]
	v_mov_b32_e32 v9, v5
	ds_load_2addr_b64 v[4:7], v104 offset0:39 offset1:40
	v_pk_add_f32 v[158:159], v[158:159], v[10:11] neg_lo:[0,1] neg_hi:[0,1]
	v_pk_add_f32 v[160:161], v[160:161], v[8:9] neg_lo:[0,1] neg_hi:[0,1]
	s_wait_dscnt 0x0
	v_dual_mul_f32 v8, v5, v3 :: v_dual_mul_f32 v10, v5, v0
	s_delay_alu instid0(VALU_DEP_1) | instskip(NEXT) | instid1(VALU_DEP_2)
	v_pk_fma_f32 v[8:9], v[4:5], v[38:39], v[8:9] op_sel_hi:[1,1,0] neg_lo:[0,0,1] neg_hi:[0,0,1]
	v_pk_fma_f32 v[4:5], v[4:5], v[38:39], v[10:11] op_sel:[1,0,0] op_sel_hi:[0,1,0]
	s_delay_alu instid0(VALU_DEP_1) | instskip(SKIP_1) | instid1(VALU_DEP_2)
	v_mov_b32_e32 v9, v5
	v_pk_mul_f32 v[4:5], v[6:7], v[2:3] op_sel:[0,1]
	v_pk_add_f32 v[156:157], v[156:157], v[8:9] neg_lo:[0,1] neg_hi:[0,1]
	s_delay_alu instid0(VALU_DEP_2) | instskip(SKIP_1) | instid1(VALU_DEP_1)
	v_pk_fma_f32 v[8:9], v[6:7], v[0:1], v[4:5] op_sel:[0,0,1] op_sel_hi:[1,1,0] neg_lo:[0,0,1] neg_hi:[0,0,1]
	v_pk_fma_f32 v[4:5], v[6:7], v[0:1], v[4:5] op_sel:[0,0,1] op_sel_hi:[1,0,0]
	v_mov_b32_e32 v9, v5
	ds_load_2addr_b64 v[4:7], v104 offset0:41 offset1:42
	v_pk_add_f32 v[180:181], v[180:181], v[8:9] neg_lo:[0,1] neg_hi:[0,1]
	s_wait_dscnt 0x0
	v_pk_mul_f32 v[8:9], v[4:5], v[2:3] op_sel:[0,1]
	s_delay_alu instid0(VALU_DEP_1) | instskip(SKIP_1) | instid1(VALU_DEP_1)
	v_pk_fma_f32 v[10:11], v[4:5], v[0:1], v[8:9] op_sel:[0,0,1] op_sel_hi:[1,1,0] neg_lo:[0,0,1] neg_hi:[0,0,1]
	v_pk_fma_f32 v[4:5], v[4:5], v[0:1], v[8:9] op_sel:[0,0,1] op_sel_hi:[1,0,0]
	v_mov_b32_e32 v11, v5
	v_pk_mul_f32 v[4:5], v[6:7], v[2:3] op_sel:[0,1]
	s_delay_alu instid0(VALU_DEP_2) | instskip(NEXT) | instid1(VALU_DEP_2)
	v_pk_add_f32 v[176:177], v[176:177], v[10:11] neg_lo:[0,1] neg_hi:[0,1]
	v_pk_fma_f32 v[8:9], v[6:7], v[0:1], v[4:5] op_sel:[0,0,1] op_sel_hi:[1,1,0] neg_lo:[0,0,1] neg_hi:[0,0,1]
	v_pk_fma_f32 v[4:5], v[6:7], v[0:1], v[4:5] op_sel:[0,0,1] op_sel_hi:[1,0,0]
	s_delay_alu instid0(VALU_DEP_1) | instskip(SKIP_4) | instid1(VALU_DEP_1)
	v_mov_b32_e32 v9, v5
	ds_load_2addr_b64 v[4:7], v104 offset0:43 offset1:44
	v_pk_add_f32 v[178:179], v[178:179], v[8:9] neg_lo:[0,1] neg_hi:[0,1]
	s_wait_dscnt 0x0
	v_pk_mul_f32 v[8:9], v[4:5], v[2:3] op_sel:[0,1]
	v_pk_fma_f32 v[10:11], v[4:5], v[0:1], v[8:9] op_sel:[0,0,1] op_sel_hi:[1,1,0] neg_lo:[0,0,1] neg_hi:[0,0,1]
	v_pk_fma_f32 v[4:5], v[4:5], v[0:1], v[8:9] op_sel:[0,0,1] op_sel_hi:[1,0,0]
	v_dual_mul_f32 v8, v7, v3 :: v_dual_mov_b32 v4, v7
	s_delay_alu instid0(VALU_DEP_2) | instskip(NEXT) | instid1(VALU_DEP_2)
	v_dual_mov_b32 v11, v5 :: v_dual_mov_b32 v5, v6
	v_pk_fma_f32 v[8:9], v[6:7], v[38:39], v[8:9] op_sel_hi:[1,1,0] neg_lo:[0,0,1] neg_hi:[0,0,1]
	v_mul_f32_e32 v6, v7, v0
	s_delay_alu instid0(VALU_DEP_3) | instskip(NEXT) | instid1(VALU_DEP_2)
	v_pk_add_f32 v[174:175], v[174:175], v[10:11] neg_lo:[0,1] neg_hi:[0,1]
	v_pk_fma_f32 v[4:5], v[4:5], v[38:39], v[6:7] op_sel_hi:[1,1,0]
	s_delay_alu instid0(VALU_DEP_1) | instskip(SKIP_4) | instid1(VALU_DEP_1)
	v_mov_b32_e32 v9, v5
	ds_load_2addr_b64 v[4:7], v104 offset0:45 offset1:46
	v_pk_add_f32 v[200:201], v[200:201], v[8:9] neg_lo:[0,1] neg_hi:[0,1]
	s_wait_dscnt 0x0
	v_pk_mul_f32 v[8:9], v[4:5], v[2:3] op_sel:[0,1]
	v_pk_fma_f32 v[10:11], v[4:5], v[0:1], v[8:9] op_sel:[0,0,1] op_sel_hi:[1,1,0] neg_lo:[0,0,1] neg_hi:[0,0,1]
	v_pk_fma_f32 v[4:5], v[4:5], v[0:1], v[8:9] op_sel:[0,0,1] op_sel_hi:[1,0,0]
	s_delay_alu instid0(VALU_DEP_1) | instskip(SKIP_1) | instid1(VALU_DEP_1)
	v_mov_b32_e32 v11, v5
	v_pk_mul_f32 v[4:5], v[6:7], v[2:3] op_sel:[0,1]
	v_pk_fma_f32 v[8:9], v[6:7], v[0:1], v[4:5] op_sel:[0,0,1] op_sel_hi:[1,1,0] neg_lo:[0,0,1] neg_hi:[0,0,1]
	v_pk_fma_f32 v[4:5], v[6:7], v[0:1], v[4:5] op_sel:[0,0,1] op_sel_hi:[1,0,0]
	s_delay_alu instid0(VALU_DEP_1)
	v_mov_b32_e32 v9, v5
	ds_load_2addr_b64 v[4:7], v104 offset0:47 offset1:48
	v_pk_add_f32 v[194:195], v[194:195], v[10:11] neg_lo:[0,1] neg_hi:[0,1]
	v_pk_add_f32 v[198:199], v[198:199], v[8:9] neg_lo:[0,1] neg_hi:[0,1]
	s_wait_dscnt 0x0
	v_pk_mul_f32 v[8:9], v[4:5], v[2:3] op_sel:[0,1]
	s_delay_alu instid0(VALU_DEP_1) | instskip(SKIP_1) | instid1(VALU_DEP_1)
	v_pk_fma_f32 v[10:11], v[4:5], v[0:1], v[8:9] op_sel:[0,0,1] op_sel_hi:[1,1,0] neg_lo:[0,0,1] neg_hi:[0,0,1]
	v_pk_fma_f32 v[4:5], v[4:5], v[0:1], v[8:9] op_sel:[0,0,1] op_sel_hi:[1,0,0]
	v_mov_b32_e32 v11, v5
	v_pk_mul_f32 v[4:5], v[6:7], v[2:3] op_sel:[0,1]
	s_delay_alu instid0(VALU_DEP_1) | instskip(SKIP_1) | instid1(VALU_DEP_1)
	v_pk_fma_f32 v[8:9], v[6:7], v[0:1], v[4:5] op_sel:[0,0,1] op_sel_hi:[1,1,0] neg_lo:[0,0,1] neg_hi:[0,0,1]
	v_pk_fma_f32 v[4:5], v[6:7], v[0:1], v[4:5] op_sel:[0,0,1] op_sel_hi:[1,0,0]
	v_mov_b32_e32 v9, v5
	ds_load_2addr_b64 v[4:7], v104 offset0:49 offset1:50
	v_pk_add_f32 v[192:193], v[192:193], v[10:11] neg_lo:[0,1] neg_hi:[0,1]
	v_pk_add_f32 v[196:197], v[196:197], v[8:9] neg_lo:[0,1] neg_hi:[0,1]
	s_wait_dscnt 0x0
	v_dual_mul_f32 v8, v5, v3 :: v_dual_mul_f32 v10, v5, v0
	v_pk_mul_f32 v[2:3], v[6:7], v[2:3] op_sel:[0,1]
	s_delay_alu instid0(VALU_DEP_2) | instskip(NEXT) | instid1(VALU_DEP_3)
	v_pk_fma_f32 v[8:9], v[4:5], v[38:39], v[8:9] op_sel_hi:[1,1,0] neg_lo:[0,0,1] neg_hi:[0,0,1]
	v_pk_fma_f32 v[4:5], v[4:5], v[38:39], v[10:11] op_sel:[1,0,0] op_sel_hi:[0,1,0]
	s_delay_alu instid0(VALU_DEP_1) | instskip(NEXT) | instid1(VALU_DEP_4)
	v_mov_b32_e32 v9, v5
	v_pk_fma_f32 v[4:5], v[6:7], v[0:1], v[2:3] op_sel:[0,0,1] op_sel_hi:[1,1,0] neg_lo:[0,0,1] neg_hi:[0,0,1]
	v_pk_fma_f32 v[0:1], v[6:7], v[0:1], v[2:3] op_sel:[0,0,1] op_sel_hi:[1,0,0]
	s_delay_alu instid0(VALU_DEP_1) | instskip(NEXT) | instid1(VALU_DEP_4)
	v_mov_b32_e32 v5, v1
	v_pk_add_f32 v[202:203], v[202:203], v[8:9] neg_lo:[0,1] neg_hi:[0,1]
	s_delay_alu instid0(VALU_DEP_2)
	v_pk_add_f32 v[204:205], v[204:205], v[4:5] neg_lo:[0,1] neg_hi:[0,1]
.LBB101_100:
	s_wait_xcnt 0x0
	s_or_b32 exec_lo, exec_lo, s1
	s_delay_alu instid0(SALU_CYCLE_1)
	s_mov_b32 s2, exec_lo
	s_wait_storecnt 0x0
	s_barrier_signal -1
	s_barrier_wait -1
	v_cmpx_eq_u32_e32 11, v102
	s_cbranch_execz .LBB101_107
; %bb.101:
	v_dual_mov_b32 v0, v58 :: v_dual_mov_b32 v1, v59
	v_dual_mov_b32 v2, v54 :: v_dual_mov_b32 v3, v55
	;; [unrolled: 1-line block ×4, first 2 shown]
	ds_store_b64 v103, v[34:35]
	ds_store_2addr_b64 v104, v[0:1], v[2:3] offset0:12 offset1:13
	ds_store_2addr_b64 v104, v[4:5], v[6:7] offset0:14 offset1:15
	v_dual_mov_b32 v0, v76 :: v_dual_mov_b32 v1, v77
	v_dual_mov_b32 v2, v72 :: v_dual_mov_b32 v3, v73
	;; [unrolled: 1-line block ×12, first 2 shown]
	ds_store_2addr_b64 v104, v[0:1], v[2:3] offset0:16 offset1:17
	ds_store_2addr_b64 v104, v[4:5], v[6:7] offset0:18 offset1:19
	;; [unrolled: 1-line block ×6, first 2 shown]
	v_dual_mov_b32 v0, v128 :: v_dual_mov_b32 v1, v129
	v_dual_mov_b32 v2, v124 :: v_dual_mov_b32 v3, v125
	;; [unrolled: 1-line block ×12, first 2 shown]
	ds_store_2addr_b64 v104, v[0:1], v[2:3] offset0:28 offset1:29
	ds_store_2addr_b64 v104, v[4:5], v[6:7] offset0:30 offset1:31
	;; [unrolled: 1-line block ×6, first 2 shown]
	v_dual_mov_b32 v0, v180 :: v_dual_mov_b32 v1, v181
	v_dual_mov_b32 v2, v176 :: v_dual_mov_b32 v3, v177
	;; [unrolled: 1-line block ×10, first 2 shown]
	ds_store_2addr_b64 v104, v[0:1], v[2:3] offset0:40 offset1:41
	ds_store_2addr_b64 v104, v[4:5], v[6:7] offset0:42 offset1:43
	;; [unrolled: 1-line block ×5, first 2 shown]
	ds_store_b64 v104, v[204:205] offset:400
	ds_load_b64 v[0:1], v103
	s_wait_dscnt 0x0
	v_cmp_neq_f32_e32 vcc_lo, 0, v0
	v_cmp_neq_f32_e64 s1, 0, v1
	s_or_b32 s1, vcc_lo, s1
	s_delay_alu instid0(SALU_CYCLE_1)
	s_and_b32 exec_lo, exec_lo, s1
	s_cbranch_execz .LBB101_107
; %bb.102:
	v_cmp_ngt_f32_e64 s1, |v0|, |v1|
                                        ; implicit-def: $vgpr2_vgpr3
	s_and_saveexec_b32 s4, s1
	s_delay_alu instid0(SALU_CYCLE_1)
	s_xor_b32 s1, exec_lo, s4
	s_cbranch_execz .LBB101_104
; %bb.103:
	v_div_scale_f32 v2, null, v1, v1, v0
	v_div_scale_f32 v5, vcc_lo, v0, v1, v0
	s_delay_alu instid0(VALU_DEP_2) | instskip(SKIP_1) | instid1(TRANS32_DEP_1)
	v_rcp_f32_e32 v3, v2
	v_nop
	v_fma_f32 v4, -v2, v3, 1.0
	s_delay_alu instid0(VALU_DEP_1) | instskip(NEXT) | instid1(VALU_DEP_1)
	v_fmac_f32_e32 v3, v4, v3
	v_mul_f32_e32 v4, v5, v3
	s_delay_alu instid0(VALU_DEP_1) | instskip(NEXT) | instid1(VALU_DEP_1)
	v_fma_f32 v6, -v2, v4, v5
	v_fmac_f32_e32 v4, v6, v3
	s_delay_alu instid0(VALU_DEP_1) | instskip(NEXT) | instid1(VALU_DEP_1)
	v_fma_f32 v2, -v2, v4, v5
	v_div_fmas_f32 v2, v2, v3, v4
	s_delay_alu instid0(VALU_DEP_1) | instskip(NEXT) | instid1(VALU_DEP_1)
	v_div_fixup_f32 v2, v2, v1, v0
	v_fmac_f32_e32 v1, v0, v2
	s_delay_alu instid0(VALU_DEP_1) | instskip(SKIP_1) | instid1(VALU_DEP_2)
	v_div_scale_f32 v0, null, v1, v1, 1.0
	v_div_scale_f32 v5, vcc_lo, 1.0, v1, 1.0
	v_rcp_f32_e32 v3, v0
	v_nop
	s_delay_alu instid0(TRANS32_DEP_1) | instskip(NEXT) | instid1(VALU_DEP_1)
	v_fma_f32 v4, -v0, v3, 1.0
	v_fmac_f32_e32 v3, v4, v3
	s_delay_alu instid0(VALU_DEP_1) | instskip(NEXT) | instid1(VALU_DEP_1)
	v_mul_f32_e32 v4, v5, v3
	v_fma_f32 v6, -v0, v4, v5
	s_delay_alu instid0(VALU_DEP_1) | instskip(NEXT) | instid1(VALU_DEP_1)
	v_fmac_f32_e32 v4, v6, v3
	v_fma_f32 v0, -v0, v4, v5
	s_delay_alu instid0(VALU_DEP_1) | instskip(NEXT) | instid1(VALU_DEP_1)
	v_div_fmas_f32 v0, v0, v3, v4
	v_div_fixup_f32 v0, v0, v1, 1.0
	s_delay_alu instid0(VALU_DEP_1)
	v_mul_f32_e32 v2, v2, v0
	v_xor_b32_e32 v3, 0x80000000, v0
                                        ; implicit-def: $vgpr0_vgpr1
.LBB101_104:
	s_and_not1_saveexec_b32 s1, s1
	s_cbranch_execz .LBB101_106
; %bb.105:
	v_div_scale_f32 v2, null, v0, v0, v1
	v_div_scale_f32 v5, vcc_lo, v1, v0, v1
	s_delay_alu instid0(VALU_DEP_2) | instskip(SKIP_1) | instid1(TRANS32_DEP_1)
	v_rcp_f32_e32 v3, v2
	v_nop
	v_fma_f32 v4, -v2, v3, 1.0
	s_delay_alu instid0(VALU_DEP_1) | instskip(NEXT) | instid1(VALU_DEP_1)
	v_fmac_f32_e32 v3, v4, v3
	v_mul_f32_e32 v4, v5, v3
	s_delay_alu instid0(VALU_DEP_1) | instskip(NEXT) | instid1(VALU_DEP_1)
	v_fma_f32 v6, -v2, v4, v5
	v_fmac_f32_e32 v4, v6, v3
	s_delay_alu instid0(VALU_DEP_1) | instskip(NEXT) | instid1(VALU_DEP_1)
	v_fma_f32 v2, -v2, v4, v5
	v_div_fmas_f32 v2, v2, v3, v4
	s_delay_alu instid0(VALU_DEP_1) | instskip(NEXT) | instid1(VALU_DEP_1)
	v_div_fixup_f32 v3, v2, v0, v1
	v_fmac_f32_e32 v0, v1, v3
	s_delay_alu instid0(VALU_DEP_1) | instskip(NEXT) | instid1(VALU_DEP_1)
	v_div_scale_f32 v1, null, v0, v0, 1.0
	v_rcp_f32_e32 v2, v1
	v_nop
	s_delay_alu instid0(TRANS32_DEP_1) | instskip(NEXT) | instid1(VALU_DEP_1)
	v_fma_f32 v4, -v1, v2, 1.0
	v_fmac_f32_e32 v2, v4, v2
	v_div_scale_f32 v4, vcc_lo, 1.0, v0, 1.0
	s_delay_alu instid0(VALU_DEP_1) | instskip(NEXT) | instid1(VALU_DEP_1)
	v_mul_f32_e32 v5, v4, v2
	v_fma_f32 v6, -v1, v5, v4
	s_delay_alu instid0(VALU_DEP_1) | instskip(NEXT) | instid1(VALU_DEP_1)
	v_fmac_f32_e32 v5, v6, v2
	v_fma_f32 v1, -v1, v5, v4
	s_delay_alu instid0(VALU_DEP_1) | instskip(NEXT) | instid1(VALU_DEP_1)
	v_div_fmas_f32 v1, v1, v2, v5
	v_div_fixup_f32 v2, v1, v0, 1.0
	s_delay_alu instid0(VALU_DEP_1)
	v_mul_f32_e64 v3, v3, -v2
.LBB101_106:
	s_or_b32 exec_lo, exec_lo, s1
	ds_store_b64 v103, v[2:3]
.LBB101_107:
	s_or_b32 exec_lo, exec_lo, s2
	s_wait_dscnt 0x0
	s_barrier_signal -1
	s_barrier_wait -1
	ds_load_b64 v[0:1], v103
	s_mov_b32 s1, exec_lo
	s_wait_dscnt 0x0
	scratch_store_b64 off, v[0:1], off offset:136 ; 8-byte Folded Spill
	s_wait_xcnt 0x0
	v_cmpx_lt_u32_e32 11, v102
	s_cbranch_execz .LBB101_109
; %bb.108:
	scratch_load_b64 v[4:5], off, off offset:136 ; 8-byte Folded Reload
	s_wait_loadcnt 0x0
	v_pk_mul_f32 v[2:3], v[4:5], v[34:35] op_sel:[1,1] op_sel_hi:[0,1]
	s_delay_alu instid0(VALU_DEP_1)
	v_pk_fma_f32 v[0:1], v[4:5], v[34:35], v[2:3] op_sel_hi:[1,0,1] neg_lo:[0,0,1] neg_hi:[0,0,1]
	v_pk_fma_f32 v[2:3], v[4:5], v[34:35], v[2:3] op_sel_hi:[1,0,1]
	ds_load_2addr_b64 v[4:7], v104 offset0:12 offset1:13
	v_dual_mov_b32 v34, v0 :: v_dual_mov_b32 v35, v3
	s_wait_dscnt 0x0
	v_pk_mul_f32 v[8:9], v[4:5], v[2:3] op_sel:[0,1]
	s_delay_alu instid0(VALU_DEP_1) | instskip(SKIP_1) | instid1(VALU_DEP_1)
	v_pk_fma_f32 v[10:11], v[4:5], v[0:1], v[8:9] op_sel:[0,0,1] op_sel_hi:[1,1,0] neg_lo:[0,0,1] neg_hi:[0,0,1]
	v_pk_fma_f32 v[4:5], v[4:5], v[0:1], v[8:9] op_sel:[0,0,1] op_sel_hi:[1,0,0]
	v_mov_b32_e32 v11, v5
	v_pk_mul_f32 v[4:5], v[6:7], v[2:3] op_sel:[0,1]
	s_delay_alu instid0(VALU_DEP_1) | instskip(SKIP_1) | instid1(VALU_DEP_1)
	v_pk_fma_f32 v[8:9], v[6:7], v[0:1], v[4:5] op_sel:[0,0,1] op_sel_hi:[1,1,0] neg_lo:[0,0,1] neg_hi:[0,0,1]
	v_pk_fma_f32 v[4:5], v[6:7], v[0:1], v[4:5] op_sel:[0,0,1] op_sel_hi:[1,0,0]
	v_mov_b32_e32 v9, v5
	ds_load_2addr_b64 v[4:7], v104 offset0:14 offset1:15
	v_pk_add_f32 v[58:59], v[58:59], v[10:11] neg_lo:[0,1] neg_hi:[0,1]
	v_pk_add_f32 v[54:55], v[54:55], v[8:9] neg_lo:[0,1] neg_hi:[0,1]
	s_wait_dscnt 0x0
	v_pk_mul_f32 v[8:9], v[4:5], v[2:3] op_sel:[0,1]
	s_delay_alu instid0(VALU_DEP_1) | instskip(SKIP_2) | instid1(VALU_DEP_2)
	v_pk_fma_f32 v[10:11], v[4:5], v[0:1], v[8:9] op_sel:[0,0,1] op_sel_hi:[1,1,0] neg_lo:[0,0,1] neg_hi:[0,0,1]
	v_pk_fma_f32 v[4:5], v[4:5], v[0:1], v[8:9] op_sel:[0,0,1] op_sel_hi:[1,0,0]
	v_dual_mul_f32 v8, v7, v3 :: v_dual_mov_b32 v4, v7
	v_dual_mov_b32 v11, v5 :: v_dual_mov_b32 v5, v6
	s_delay_alu instid0(VALU_DEP_2) | instskip(SKIP_1) | instid1(VALU_DEP_3)
	v_pk_fma_f32 v[8:9], v[6:7], v[34:35], v[8:9] op_sel_hi:[1,1,0] neg_lo:[0,0,1] neg_hi:[0,0,1]
	v_mul_f32_e32 v6, v7, v0
	v_pk_add_f32 v[56:57], v[56:57], v[10:11] neg_lo:[0,1] neg_hi:[0,1]
	s_delay_alu instid0(VALU_DEP_2) | instskip(NEXT) | instid1(VALU_DEP_1)
	v_pk_fma_f32 v[4:5], v[4:5], v[34:35], v[6:7] op_sel_hi:[1,1,0]
	v_mov_b32_e32 v9, v5
	ds_load_2addr_b64 v[4:7], v104 offset0:16 offset1:17
	v_pk_add_f32 v[52:53], v[52:53], v[8:9] neg_lo:[0,1] neg_hi:[0,1]
	s_wait_dscnt 0x0
	v_pk_mul_f32 v[8:9], v[4:5], v[2:3] op_sel:[0,1]
	s_delay_alu instid0(VALU_DEP_1) | instskip(SKIP_1) | instid1(VALU_DEP_1)
	v_pk_fma_f32 v[10:11], v[4:5], v[0:1], v[8:9] op_sel:[0,0,1] op_sel_hi:[1,1,0] neg_lo:[0,0,1] neg_hi:[0,0,1]
	v_pk_fma_f32 v[4:5], v[4:5], v[0:1], v[8:9] op_sel:[0,0,1] op_sel_hi:[1,0,0]
	v_mov_b32_e32 v11, v5
	v_pk_mul_f32 v[4:5], v[6:7], v[2:3] op_sel:[0,1]
	s_delay_alu instid0(VALU_DEP_1) | instskip(SKIP_1) | instid1(VALU_DEP_1)
	v_pk_fma_f32 v[8:9], v[6:7], v[0:1], v[4:5] op_sel:[0,0,1] op_sel_hi:[1,1,0] neg_lo:[0,0,1] neg_hi:[0,0,1]
	v_pk_fma_f32 v[4:5], v[6:7], v[0:1], v[4:5] op_sel:[0,0,1] op_sel_hi:[1,0,0]
	v_mov_b32_e32 v9, v5
	ds_load_2addr_b64 v[4:7], v104 offset0:18 offset1:19
	v_pk_add_f32 v[76:77], v[76:77], v[10:11] neg_lo:[0,1] neg_hi:[0,1]
	v_pk_add_f32 v[72:73], v[72:73], v[8:9] neg_lo:[0,1] neg_hi:[0,1]
	s_wait_dscnt 0x0
	v_pk_mul_f32 v[8:9], v[4:5], v[2:3] op_sel:[0,1]
	s_delay_alu instid0(VALU_DEP_1) | instskip(SKIP_1) | instid1(VALU_DEP_1)
	v_pk_fma_f32 v[10:11], v[4:5], v[0:1], v[8:9] op_sel:[0,0,1] op_sel_hi:[1,1,0] neg_lo:[0,0,1] neg_hi:[0,0,1]
	v_pk_fma_f32 v[4:5], v[4:5], v[0:1], v[8:9] op_sel:[0,0,1] op_sel_hi:[1,0,0]
	v_mov_b32_e32 v11, v5
	v_pk_mul_f32 v[4:5], v[6:7], v[2:3] op_sel:[0,1]
	s_delay_alu instid0(VALU_DEP_1) | instskip(SKIP_1) | instid1(VALU_DEP_1)
	v_pk_fma_f32 v[8:9], v[6:7], v[0:1], v[4:5] op_sel:[0,0,1] op_sel_hi:[1,1,0] neg_lo:[0,0,1] neg_hi:[0,0,1]
	v_pk_fma_f32 v[4:5], v[6:7], v[0:1], v[4:5] op_sel:[0,0,1] op_sel_hi:[1,0,0]
	v_mov_b32_e32 v9, v5
	ds_load_2addr_b64 v[4:7], v104 offset0:20 offset1:21
	v_pk_add_f32 v[74:75], v[74:75], v[10:11] neg_lo:[0,1] neg_hi:[0,1]
	v_pk_add_f32 v[70:71], v[70:71], v[8:9] neg_lo:[0,1] neg_hi:[0,1]
	s_wait_dscnt 0x0
	v_dual_mul_f32 v8, v5, v3 :: v_dual_mul_f32 v10, v5, v0
	s_delay_alu instid0(VALU_DEP_1) | instskip(NEXT) | instid1(VALU_DEP_2)
	v_pk_fma_f32 v[8:9], v[4:5], v[34:35], v[8:9] op_sel_hi:[1,1,0] neg_lo:[0,0,1] neg_hi:[0,0,1]
	v_pk_fma_f32 v[4:5], v[4:5], v[34:35], v[10:11] op_sel:[1,0,0] op_sel_hi:[0,1,0]
	s_delay_alu instid0(VALU_DEP_1) | instskip(SKIP_1) | instid1(VALU_DEP_2)
	v_mov_b32_e32 v9, v5
	v_pk_mul_f32 v[4:5], v[6:7], v[2:3] op_sel:[0,1]
	v_pk_add_f32 v[94:95], v[94:95], v[8:9] neg_lo:[0,1] neg_hi:[0,1]
	s_delay_alu instid0(VALU_DEP_2) | instskip(SKIP_1) | instid1(VALU_DEP_1)
	v_pk_fma_f32 v[8:9], v[6:7], v[0:1], v[4:5] op_sel:[0,0,1] op_sel_hi:[1,1,0] neg_lo:[0,0,1] neg_hi:[0,0,1]
	v_pk_fma_f32 v[4:5], v[6:7], v[0:1], v[4:5] op_sel:[0,0,1] op_sel_hi:[1,0,0]
	v_mov_b32_e32 v9, v5
	ds_load_2addr_b64 v[4:7], v104 offset0:22 offset1:23
	v_pk_add_f32 v[90:91], v[90:91], v[8:9] neg_lo:[0,1] neg_hi:[0,1]
	s_wait_dscnt 0x0
	v_pk_mul_f32 v[8:9], v[4:5], v[2:3] op_sel:[0,1]
	s_delay_alu instid0(VALU_DEP_1) | instskip(SKIP_1) | instid1(VALU_DEP_1)
	v_pk_fma_f32 v[10:11], v[4:5], v[0:1], v[8:9] op_sel:[0,0,1] op_sel_hi:[1,1,0] neg_lo:[0,0,1] neg_hi:[0,0,1]
	v_pk_fma_f32 v[4:5], v[4:5], v[0:1], v[8:9] op_sel:[0,0,1] op_sel_hi:[1,0,0]
	v_mov_b32_e32 v11, v5
	v_pk_mul_f32 v[4:5], v[6:7], v[2:3] op_sel:[0,1]
	s_delay_alu instid0(VALU_DEP_2) | instskip(NEXT) | instid1(VALU_DEP_2)
	v_pk_add_f32 v[92:93], v[92:93], v[10:11] neg_lo:[0,1] neg_hi:[0,1]
	v_pk_fma_f32 v[8:9], v[6:7], v[0:1], v[4:5] op_sel:[0,0,1] op_sel_hi:[1,1,0] neg_lo:[0,0,1] neg_hi:[0,0,1]
	v_pk_fma_f32 v[4:5], v[6:7], v[0:1], v[4:5] op_sel:[0,0,1] op_sel_hi:[1,0,0]
	s_delay_alu instid0(VALU_DEP_1) | instskip(SKIP_4) | instid1(VALU_DEP_1)
	v_mov_b32_e32 v9, v5
	ds_load_2addr_b64 v[4:7], v104 offset0:24 offset1:25
	v_pk_add_f32 v[88:89], v[88:89], v[8:9] neg_lo:[0,1] neg_hi:[0,1]
	s_wait_dscnt 0x0
	v_pk_mul_f32 v[8:9], v[4:5], v[2:3] op_sel:[0,1]
	v_pk_fma_f32 v[10:11], v[4:5], v[0:1], v[8:9] op_sel:[0,0,1] op_sel_hi:[1,1,0] neg_lo:[0,0,1] neg_hi:[0,0,1]
	v_pk_fma_f32 v[4:5], v[4:5], v[0:1], v[8:9] op_sel:[0,0,1] op_sel_hi:[1,0,0]
	v_dual_mul_f32 v8, v7, v3 :: v_dual_mov_b32 v4, v7
	s_delay_alu instid0(VALU_DEP_2) | instskip(NEXT) | instid1(VALU_DEP_2)
	v_dual_mov_b32 v11, v5 :: v_dual_mov_b32 v5, v6
	v_pk_fma_f32 v[8:9], v[6:7], v[34:35], v[8:9] op_sel_hi:[1,1,0] neg_lo:[0,0,1] neg_hi:[0,0,1]
	v_mul_f32_e32 v6, v7, v0
	s_delay_alu instid0(VALU_DEP_3) | instskip(NEXT) | instid1(VALU_DEP_2)
	v_pk_add_f32 v[112:113], v[112:113], v[10:11] neg_lo:[0,1] neg_hi:[0,1]
	v_pk_fma_f32 v[4:5], v[4:5], v[34:35], v[6:7] op_sel_hi:[1,1,0]
	s_delay_alu instid0(VALU_DEP_1) | instskip(SKIP_4) | instid1(VALU_DEP_1)
	v_mov_b32_e32 v9, v5
	ds_load_2addr_b64 v[4:7], v104 offset0:26 offset1:27
	v_pk_add_f32 v[108:109], v[108:109], v[8:9] neg_lo:[0,1] neg_hi:[0,1]
	s_wait_dscnt 0x0
	v_pk_mul_f32 v[8:9], v[4:5], v[2:3] op_sel:[0,1]
	v_pk_fma_f32 v[10:11], v[4:5], v[0:1], v[8:9] op_sel:[0,0,1] op_sel_hi:[1,1,0] neg_lo:[0,0,1] neg_hi:[0,0,1]
	v_pk_fma_f32 v[4:5], v[4:5], v[0:1], v[8:9] op_sel:[0,0,1] op_sel_hi:[1,0,0]
	s_delay_alu instid0(VALU_DEP_1) | instskip(SKIP_1) | instid1(VALU_DEP_1)
	v_mov_b32_e32 v11, v5
	v_pk_mul_f32 v[4:5], v[6:7], v[2:3] op_sel:[0,1]
	v_pk_fma_f32 v[8:9], v[6:7], v[0:1], v[4:5] op_sel:[0,0,1] op_sel_hi:[1,1,0] neg_lo:[0,0,1] neg_hi:[0,0,1]
	v_pk_fma_f32 v[4:5], v[6:7], v[0:1], v[4:5] op_sel:[0,0,1] op_sel_hi:[1,0,0]
	s_delay_alu instid0(VALU_DEP_1)
	v_mov_b32_e32 v9, v5
	ds_load_2addr_b64 v[4:7], v104 offset0:28 offset1:29
	v_pk_add_f32 v[110:111], v[110:111], v[10:11] neg_lo:[0,1] neg_hi:[0,1]
	v_pk_add_f32 v[106:107], v[106:107], v[8:9] neg_lo:[0,1] neg_hi:[0,1]
	s_wait_dscnt 0x0
	v_pk_mul_f32 v[8:9], v[4:5], v[2:3] op_sel:[0,1]
	s_delay_alu instid0(VALU_DEP_1) | instskip(SKIP_1) | instid1(VALU_DEP_1)
	v_pk_fma_f32 v[10:11], v[4:5], v[0:1], v[8:9] op_sel:[0,0,1] op_sel_hi:[1,1,0] neg_lo:[0,0,1] neg_hi:[0,0,1]
	v_pk_fma_f32 v[4:5], v[4:5], v[0:1], v[8:9] op_sel:[0,0,1] op_sel_hi:[1,0,0]
	v_mov_b32_e32 v11, v5
	v_pk_mul_f32 v[4:5], v[6:7], v[2:3] op_sel:[0,1]
	s_delay_alu instid0(VALU_DEP_1) | instskip(SKIP_1) | instid1(VALU_DEP_1)
	v_pk_fma_f32 v[8:9], v[6:7], v[0:1], v[4:5] op_sel:[0,0,1] op_sel_hi:[1,1,0] neg_lo:[0,0,1] neg_hi:[0,0,1]
	v_pk_fma_f32 v[4:5], v[6:7], v[0:1], v[4:5] op_sel:[0,0,1] op_sel_hi:[1,0,0]
	v_mov_b32_e32 v9, v5
	ds_load_2addr_b64 v[4:7], v104 offset0:30 offset1:31
	v_pk_add_f32 v[128:129], v[128:129], v[10:11] neg_lo:[0,1] neg_hi:[0,1]
	v_pk_add_f32 v[124:125], v[124:125], v[8:9] neg_lo:[0,1] neg_hi:[0,1]
	s_wait_dscnt 0x0
	v_dual_mul_f32 v8, v5, v3 :: v_dual_mul_f32 v10, v5, v0
	s_delay_alu instid0(VALU_DEP_1) | instskip(NEXT) | instid1(VALU_DEP_2)
	v_pk_fma_f32 v[8:9], v[4:5], v[34:35], v[8:9] op_sel_hi:[1,1,0] neg_lo:[0,0,1] neg_hi:[0,0,1]
	v_pk_fma_f32 v[4:5], v[4:5], v[34:35], v[10:11] op_sel:[1,0,0] op_sel_hi:[0,1,0]
	s_delay_alu instid0(VALU_DEP_1) | instskip(SKIP_1) | instid1(VALU_DEP_2)
	v_mov_b32_e32 v9, v5
	v_pk_mul_f32 v[4:5], v[6:7], v[2:3] op_sel:[0,1]
	v_pk_add_f32 v[126:127], v[126:127], v[8:9] neg_lo:[0,1] neg_hi:[0,1]
	s_delay_alu instid0(VALU_DEP_2) | instskip(SKIP_1) | instid1(VALU_DEP_1)
	v_pk_fma_f32 v[8:9], v[6:7], v[0:1], v[4:5] op_sel:[0,0,1] op_sel_hi:[1,1,0] neg_lo:[0,0,1] neg_hi:[0,0,1]
	v_pk_fma_f32 v[4:5], v[6:7], v[0:1], v[4:5] op_sel:[0,0,1] op_sel_hi:[1,0,0]
	v_mov_b32_e32 v9, v5
	ds_load_2addr_b64 v[4:7], v104 offset0:32 offset1:33
	v_pk_add_f32 v[122:123], v[122:123], v[8:9] neg_lo:[0,1] neg_hi:[0,1]
	s_wait_dscnt 0x0
	v_pk_mul_f32 v[8:9], v[4:5], v[2:3] op_sel:[0,1]
	s_delay_alu instid0(VALU_DEP_1) | instskip(SKIP_1) | instid1(VALU_DEP_1)
	v_pk_fma_f32 v[10:11], v[4:5], v[0:1], v[8:9] op_sel:[0,0,1] op_sel_hi:[1,1,0] neg_lo:[0,0,1] neg_hi:[0,0,1]
	v_pk_fma_f32 v[4:5], v[4:5], v[0:1], v[8:9] op_sel:[0,0,1] op_sel_hi:[1,0,0]
	v_mov_b32_e32 v11, v5
	v_pk_mul_f32 v[4:5], v[6:7], v[2:3] op_sel:[0,1]
	s_delay_alu instid0(VALU_DEP_2) | instskip(NEXT) | instid1(VALU_DEP_2)
	v_pk_add_f32 v[146:147], v[146:147], v[10:11] neg_lo:[0,1] neg_hi:[0,1]
	v_pk_fma_f32 v[8:9], v[6:7], v[0:1], v[4:5] op_sel:[0,0,1] op_sel_hi:[1,1,0] neg_lo:[0,0,1] neg_hi:[0,0,1]
	v_pk_fma_f32 v[4:5], v[6:7], v[0:1], v[4:5] op_sel:[0,0,1] op_sel_hi:[1,0,0]
	s_delay_alu instid0(VALU_DEP_1) | instskip(SKIP_4) | instid1(VALU_DEP_1)
	v_mov_b32_e32 v9, v5
	ds_load_2addr_b64 v[4:7], v104 offset0:34 offset1:35
	v_pk_add_f32 v[142:143], v[142:143], v[8:9] neg_lo:[0,1] neg_hi:[0,1]
	s_wait_dscnt 0x0
	v_pk_mul_f32 v[8:9], v[4:5], v[2:3] op_sel:[0,1]
	v_pk_fma_f32 v[10:11], v[4:5], v[0:1], v[8:9] op_sel:[0,0,1] op_sel_hi:[1,1,0] neg_lo:[0,0,1] neg_hi:[0,0,1]
	v_pk_fma_f32 v[4:5], v[4:5], v[0:1], v[8:9] op_sel:[0,0,1] op_sel_hi:[1,0,0]
	v_dual_mul_f32 v8, v7, v3 :: v_dual_mov_b32 v4, v7
	s_delay_alu instid0(VALU_DEP_2) | instskip(NEXT) | instid1(VALU_DEP_2)
	v_dual_mov_b32 v11, v5 :: v_dual_mov_b32 v5, v6
	v_pk_fma_f32 v[8:9], v[6:7], v[34:35], v[8:9] op_sel_hi:[1,1,0] neg_lo:[0,0,1] neg_hi:[0,0,1]
	v_mul_f32_e32 v6, v7, v0
	s_delay_alu instid0(VALU_DEP_3) | instskip(NEXT) | instid1(VALU_DEP_2)
	v_pk_add_f32 v[144:145], v[144:145], v[10:11] neg_lo:[0,1] neg_hi:[0,1]
	v_pk_fma_f32 v[4:5], v[4:5], v[34:35], v[6:7] op_sel_hi:[1,1,0]
	s_delay_alu instid0(VALU_DEP_1) | instskip(SKIP_4) | instid1(VALU_DEP_1)
	v_mov_b32_e32 v9, v5
	ds_load_2addr_b64 v[4:7], v104 offset0:36 offset1:37
	v_pk_add_f32 v[140:141], v[140:141], v[8:9] neg_lo:[0,1] neg_hi:[0,1]
	s_wait_dscnt 0x0
	v_pk_mul_f32 v[8:9], v[4:5], v[2:3] op_sel:[0,1]
	v_pk_fma_f32 v[10:11], v[4:5], v[0:1], v[8:9] op_sel:[0,0,1] op_sel_hi:[1,1,0] neg_lo:[0,0,1] neg_hi:[0,0,1]
	v_pk_fma_f32 v[4:5], v[4:5], v[0:1], v[8:9] op_sel:[0,0,1] op_sel_hi:[1,0,0]
	s_delay_alu instid0(VALU_DEP_1) | instskip(SKIP_1) | instid1(VALU_DEP_1)
	v_mov_b32_e32 v11, v5
	v_pk_mul_f32 v[4:5], v[6:7], v[2:3] op_sel:[0,1]
	v_pk_fma_f32 v[8:9], v[6:7], v[0:1], v[4:5] op_sel:[0,0,1] op_sel_hi:[1,1,0] neg_lo:[0,0,1] neg_hi:[0,0,1]
	v_pk_fma_f32 v[4:5], v[6:7], v[0:1], v[4:5] op_sel:[0,0,1] op_sel_hi:[1,0,0]
	s_delay_alu instid0(VALU_DEP_1)
	v_mov_b32_e32 v9, v5
	ds_load_2addr_b64 v[4:7], v104 offset0:38 offset1:39
	v_pk_add_f32 v[162:163], v[162:163], v[10:11] neg_lo:[0,1] neg_hi:[0,1]
	v_pk_add_f32 v[158:159], v[158:159], v[8:9] neg_lo:[0,1] neg_hi:[0,1]
	s_wait_dscnt 0x0
	v_pk_mul_f32 v[8:9], v[4:5], v[2:3] op_sel:[0,1]
	s_delay_alu instid0(VALU_DEP_1) | instskip(SKIP_1) | instid1(VALU_DEP_1)
	v_pk_fma_f32 v[10:11], v[4:5], v[0:1], v[8:9] op_sel:[0,0,1] op_sel_hi:[1,1,0] neg_lo:[0,0,1] neg_hi:[0,0,1]
	v_pk_fma_f32 v[4:5], v[4:5], v[0:1], v[8:9] op_sel:[0,0,1] op_sel_hi:[1,0,0]
	v_mov_b32_e32 v11, v5
	v_pk_mul_f32 v[4:5], v[6:7], v[2:3] op_sel:[0,1]
	s_delay_alu instid0(VALU_DEP_1) | instskip(SKIP_1) | instid1(VALU_DEP_1)
	v_pk_fma_f32 v[8:9], v[6:7], v[0:1], v[4:5] op_sel:[0,0,1] op_sel_hi:[1,1,0] neg_lo:[0,0,1] neg_hi:[0,0,1]
	v_pk_fma_f32 v[4:5], v[6:7], v[0:1], v[4:5] op_sel:[0,0,1] op_sel_hi:[1,0,0]
	v_mov_b32_e32 v9, v5
	ds_load_2addr_b64 v[4:7], v104 offset0:40 offset1:41
	v_pk_add_f32 v[160:161], v[160:161], v[10:11] neg_lo:[0,1] neg_hi:[0,1]
	v_pk_add_f32 v[156:157], v[156:157], v[8:9] neg_lo:[0,1] neg_hi:[0,1]
	s_wait_dscnt 0x0
	v_dual_mul_f32 v8, v5, v3 :: v_dual_mul_f32 v10, v5, v0
	s_delay_alu instid0(VALU_DEP_1) | instskip(NEXT) | instid1(VALU_DEP_2)
	v_pk_fma_f32 v[8:9], v[4:5], v[34:35], v[8:9] op_sel_hi:[1,1,0] neg_lo:[0,0,1] neg_hi:[0,0,1]
	v_pk_fma_f32 v[4:5], v[4:5], v[34:35], v[10:11] op_sel:[1,0,0] op_sel_hi:[0,1,0]
	s_delay_alu instid0(VALU_DEP_1) | instskip(SKIP_1) | instid1(VALU_DEP_2)
	v_mov_b32_e32 v9, v5
	v_pk_mul_f32 v[4:5], v[6:7], v[2:3] op_sel:[0,1]
	v_pk_add_f32 v[180:181], v[180:181], v[8:9] neg_lo:[0,1] neg_hi:[0,1]
	s_delay_alu instid0(VALU_DEP_2) | instskip(SKIP_1) | instid1(VALU_DEP_1)
	v_pk_fma_f32 v[8:9], v[6:7], v[0:1], v[4:5] op_sel:[0,0,1] op_sel_hi:[1,1,0] neg_lo:[0,0,1] neg_hi:[0,0,1]
	v_pk_fma_f32 v[4:5], v[6:7], v[0:1], v[4:5] op_sel:[0,0,1] op_sel_hi:[1,0,0]
	v_mov_b32_e32 v9, v5
	ds_load_2addr_b64 v[4:7], v104 offset0:42 offset1:43
	v_pk_add_f32 v[176:177], v[176:177], v[8:9] neg_lo:[0,1] neg_hi:[0,1]
	s_wait_dscnt 0x0
	v_pk_mul_f32 v[8:9], v[4:5], v[2:3] op_sel:[0,1]
	s_delay_alu instid0(VALU_DEP_1) | instskip(SKIP_1) | instid1(VALU_DEP_1)
	v_pk_fma_f32 v[10:11], v[4:5], v[0:1], v[8:9] op_sel:[0,0,1] op_sel_hi:[1,1,0] neg_lo:[0,0,1] neg_hi:[0,0,1]
	v_pk_fma_f32 v[4:5], v[4:5], v[0:1], v[8:9] op_sel:[0,0,1] op_sel_hi:[1,0,0]
	v_mov_b32_e32 v11, v5
	v_pk_mul_f32 v[4:5], v[6:7], v[2:3] op_sel:[0,1]
	s_delay_alu instid0(VALU_DEP_2) | instskip(NEXT) | instid1(VALU_DEP_2)
	v_pk_add_f32 v[178:179], v[178:179], v[10:11] neg_lo:[0,1] neg_hi:[0,1]
	v_pk_fma_f32 v[8:9], v[6:7], v[0:1], v[4:5] op_sel:[0,0,1] op_sel_hi:[1,1,0] neg_lo:[0,0,1] neg_hi:[0,0,1]
	v_pk_fma_f32 v[4:5], v[6:7], v[0:1], v[4:5] op_sel:[0,0,1] op_sel_hi:[1,0,0]
	s_delay_alu instid0(VALU_DEP_1) | instskip(SKIP_4) | instid1(VALU_DEP_1)
	v_mov_b32_e32 v9, v5
	ds_load_2addr_b64 v[4:7], v104 offset0:44 offset1:45
	v_pk_add_f32 v[174:175], v[174:175], v[8:9] neg_lo:[0,1] neg_hi:[0,1]
	s_wait_dscnt 0x0
	v_pk_mul_f32 v[8:9], v[4:5], v[2:3] op_sel:[0,1]
	v_pk_fma_f32 v[10:11], v[4:5], v[0:1], v[8:9] op_sel:[0,0,1] op_sel_hi:[1,1,0] neg_lo:[0,0,1] neg_hi:[0,0,1]
	v_pk_fma_f32 v[4:5], v[4:5], v[0:1], v[8:9] op_sel:[0,0,1] op_sel_hi:[1,0,0]
	v_dual_mul_f32 v8, v7, v3 :: v_dual_mov_b32 v4, v7
	s_delay_alu instid0(VALU_DEP_2) | instskip(NEXT) | instid1(VALU_DEP_2)
	v_dual_mov_b32 v11, v5 :: v_dual_mov_b32 v5, v6
	v_pk_fma_f32 v[8:9], v[6:7], v[34:35], v[8:9] op_sel_hi:[1,1,0] neg_lo:[0,0,1] neg_hi:[0,0,1]
	v_mul_f32_e32 v6, v7, v0
	s_delay_alu instid0(VALU_DEP_3) | instskip(NEXT) | instid1(VALU_DEP_2)
	v_pk_add_f32 v[200:201], v[200:201], v[10:11] neg_lo:[0,1] neg_hi:[0,1]
	v_pk_fma_f32 v[4:5], v[4:5], v[34:35], v[6:7] op_sel_hi:[1,1,0]
	s_delay_alu instid0(VALU_DEP_1) | instskip(SKIP_4) | instid1(VALU_DEP_1)
	v_mov_b32_e32 v9, v5
	ds_load_2addr_b64 v[4:7], v104 offset0:46 offset1:47
	v_pk_add_f32 v[194:195], v[194:195], v[8:9] neg_lo:[0,1] neg_hi:[0,1]
	s_wait_dscnt 0x0
	v_pk_mul_f32 v[8:9], v[4:5], v[2:3] op_sel:[0,1]
	v_pk_fma_f32 v[10:11], v[4:5], v[0:1], v[8:9] op_sel:[0,0,1] op_sel_hi:[1,1,0] neg_lo:[0,0,1] neg_hi:[0,0,1]
	v_pk_fma_f32 v[4:5], v[4:5], v[0:1], v[8:9] op_sel:[0,0,1] op_sel_hi:[1,0,0]
	s_delay_alu instid0(VALU_DEP_1) | instskip(SKIP_1) | instid1(VALU_DEP_1)
	v_mov_b32_e32 v11, v5
	v_pk_mul_f32 v[4:5], v[6:7], v[2:3] op_sel:[0,1]
	v_pk_fma_f32 v[8:9], v[6:7], v[0:1], v[4:5] op_sel:[0,0,1] op_sel_hi:[1,1,0] neg_lo:[0,0,1] neg_hi:[0,0,1]
	v_pk_fma_f32 v[4:5], v[6:7], v[0:1], v[4:5] op_sel:[0,0,1] op_sel_hi:[1,0,0]
	s_delay_alu instid0(VALU_DEP_1)
	v_mov_b32_e32 v9, v5
	ds_load_2addr_b64 v[4:7], v104 offset0:48 offset1:49
	v_pk_add_f32 v[198:199], v[198:199], v[10:11] neg_lo:[0,1] neg_hi:[0,1]
	v_pk_add_f32 v[192:193], v[192:193], v[8:9] neg_lo:[0,1] neg_hi:[0,1]
	s_wait_dscnt 0x0
	v_pk_mul_f32 v[8:9], v[4:5], v[2:3] op_sel:[0,1]
	s_delay_alu instid0(VALU_DEP_1) | instskip(SKIP_1) | instid1(VALU_DEP_1)
	v_pk_fma_f32 v[10:11], v[4:5], v[0:1], v[8:9] op_sel:[0,0,1] op_sel_hi:[1,1,0] neg_lo:[0,0,1] neg_hi:[0,0,1]
	v_pk_fma_f32 v[4:5], v[4:5], v[0:1], v[8:9] op_sel:[0,0,1] op_sel_hi:[1,0,0]
	v_mov_b32_e32 v11, v5
	v_pk_mul_f32 v[4:5], v[6:7], v[2:3] op_sel:[0,1]
	s_delay_alu instid0(VALU_DEP_1) | instskip(SKIP_1) | instid1(VALU_DEP_1)
	v_pk_fma_f32 v[8:9], v[6:7], v[0:1], v[4:5] op_sel:[0,0,1] op_sel_hi:[1,1,0] neg_lo:[0,0,1] neg_hi:[0,0,1]
	v_pk_fma_f32 v[4:5], v[6:7], v[0:1], v[4:5] op_sel:[0,0,1] op_sel_hi:[1,0,0]
	v_mov_b32_e32 v9, v5
	ds_load_b64 v[4:5], v104 offset:400
	v_pk_add_f32 v[196:197], v[196:197], v[10:11] neg_lo:[0,1] neg_hi:[0,1]
	v_pk_add_f32 v[202:203], v[202:203], v[8:9] neg_lo:[0,1] neg_hi:[0,1]
	s_wait_dscnt 0x0
	v_pk_mul_f32 v[2:3], v[4:5], v[2:3] op_sel:[0,1]
	s_delay_alu instid0(VALU_DEP_1) | instskip(SKIP_1) | instid1(VALU_DEP_1)
	v_pk_fma_f32 v[6:7], v[4:5], v[0:1], v[2:3] op_sel:[0,0,1] op_sel_hi:[1,1,0] neg_lo:[0,0,1] neg_hi:[0,0,1]
	v_pk_fma_f32 v[0:1], v[4:5], v[0:1], v[2:3] op_sel:[0,0,1] op_sel_hi:[1,0,0]
	v_mov_b32_e32 v7, v1
	s_delay_alu instid0(VALU_DEP_1)
	v_pk_add_f32 v[204:205], v[204:205], v[6:7] neg_lo:[0,1] neg_hi:[0,1]
.LBB101_109:
	s_wait_xcnt 0x0
	s_or_b32 exec_lo, exec_lo, s1
	s_delay_alu instid0(SALU_CYCLE_1)
	s_mov_b32 s2, exec_lo
	s_wait_storecnt 0x0
	s_barrier_signal -1
	s_barrier_wait -1
	v_cmpx_eq_u32_e32 12, v102
	s_cbranch_execz .LBB101_116
; %bb.110:
	ds_store_b64 v103, v[58:59]
	ds_store_2addr_b64 v104, v[54:55], v[56:57] offset0:13 offset1:14
	ds_store_2addr_b64 v104, v[52:53], v[76:77] offset0:15 offset1:16
	;; [unrolled: 1-line block ×19, first 2 shown]
	ds_load_b64 v[0:1], v103
	s_wait_dscnt 0x0
	v_cmp_neq_f32_e32 vcc_lo, 0, v0
	v_cmp_neq_f32_e64 s1, 0, v1
	s_or_b32 s1, vcc_lo, s1
	s_delay_alu instid0(SALU_CYCLE_1)
	s_and_b32 exec_lo, exec_lo, s1
	s_cbranch_execz .LBB101_116
; %bb.111:
	v_cmp_ngt_f32_e64 s1, |v0|, |v1|
                                        ; implicit-def: $vgpr2_vgpr3
	s_and_saveexec_b32 s4, s1
	s_delay_alu instid0(SALU_CYCLE_1)
	s_xor_b32 s1, exec_lo, s4
	s_cbranch_execz .LBB101_113
; %bb.112:
	v_div_scale_f32 v2, null, v1, v1, v0
	v_div_scale_f32 v5, vcc_lo, v0, v1, v0
	s_delay_alu instid0(VALU_DEP_2) | instskip(SKIP_1) | instid1(TRANS32_DEP_1)
	v_rcp_f32_e32 v3, v2
	v_nop
	v_fma_f32 v4, -v2, v3, 1.0
	s_delay_alu instid0(VALU_DEP_1) | instskip(NEXT) | instid1(VALU_DEP_1)
	v_fmac_f32_e32 v3, v4, v3
	v_mul_f32_e32 v4, v5, v3
	s_delay_alu instid0(VALU_DEP_1) | instskip(NEXT) | instid1(VALU_DEP_1)
	v_fma_f32 v6, -v2, v4, v5
	v_fmac_f32_e32 v4, v6, v3
	s_delay_alu instid0(VALU_DEP_1) | instskip(NEXT) | instid1(VALU_DEP_1)
	v_fma_f32 v2, -v2, v4, v5
	v_div_fmas_f32 v2, v2, v3, v4
	s_delay_alu instid0(VALU_DEP_1) | instskip(NEXT) | instid1(VALU_DEP_1)
	v_div_fixup_f32 v2, v2, v1, v0
	v_fmac_f32_e32 v1, v0, v2
	s_delay_alu instid0(VALU_DEP_1) | instskip(SKIP_1) | instid1(VALU_DEP_2)
	v_div_scale_f32 v0, null, v1, v1, 1.0
	v_div_scale_f32 v5, vcc_lo, 1.0, v1, 1.0
	v_rcp_f32_e32 v3, v0
	v_nop
	s_delay_alu instid0(TRANS32_DEP_1) | instskip(NEXT) | instid1(VALU_DEP_1)
	v_fma_f32 v4, -v0, v3, 1.0
	v_fmac_f32_e32 v3, v4, v3
	s_delay_alu instid0(VALU_DEP_1) | instskip(NEXT) | instid1(VALU_DEP_1)
	v_mul_f32_e32 v4, v5, v3
	v_fma_f32 v6, -v0, v4, v5
	s_delay_alu instid0(VALU_DEP_1) | instskip(NEXT) | instid1(VALU_DEP_1)
	v_fmac_f32_e32 v4, v6, v3
	v_fma_f32 v0, -v0, v4, v5
	s_delay_alu instid0(VALU_DEP_1) | instskip(NEXT) | instid1(VALU_DEP_1)
	v_div_fmas_f32 v0, v0, v3, v4
	v_div_fixup_f32 v0, v0, v1, 1.0
	s_delay_alu instid0(VALU_DEP_1)
	v_mul_f32_e32 v2, v2, v0
	v_xor_b32_e32 v3, 0x80000000, v0
                                        ; implicit-def: $vgpr0_vgpr1
.LBB101_113:
	s_and_not1_saveexec_b32 s1, s1
	s_cbranch_execz .LBB101_115
; %bb.114:
	v_div_scale_f32 v2, null, v0, v0, v1
	v_div_scale_f32 v5, vcc_lo, v1, v0, v1
	s_delay_alu instid0(VALU_DEP_2) | instskip(SKIP_1) | instid1(TRANS32_DEP_1)
	v_rcp_f32_e32 v3, v2
	v_nop
	v_fma_f32 v4, -v2, v3, 1.0
	s_delay_alu instid0(VALU_DEP_1) | instskip(NEXT) | instid1(VALU_DEP_1)
	v_fmac_f32_e32 v3, v4, v3
	v_mul_f32_e32 v4, v5, v3
	s_delay_alu instid0(VALU_DEP_1) | instskip(NEXT) | instid1(VALU_DEP_1)
	v_fma_f32 v6, -v2, v4, v5
	v_fmac_f32_e32 v4, v6, v3
	s_delay_alu instid0(VALU_DEP_1) | instskip(NEXT) | instid1(VALU_DEP_1)
	v_fma_f32 v2, -v2, v4, v5
	v_div_fmas_f32 v2, v2, v3, v4
	s_delay_alu instid0(VALU_DEP_1) | instskip(NEXT) | instid1(VALU_DEP_1)
	v_div_fixup_f32 v3, v2, v0, v1
	v_fmac_f32_e32 v0, v1, v3
	s_delay_alu instid0(VALU_DEP_1) | instskip(NEXT) | instid1(VALU_DEP_1)
	v_div_scale_f32 v1, null, v0, v0, 1.0
	v_rcp_f32_e32 v2, v1
	v_nop
	s_delay_alu instid0(TRANS32_DEP_1) | instskip(NEXT) | instid1(VALU_DEP_1)
	v_fma_f32 v4, -v1, v2, 1.0
	v_fmac_f32_e32 v2, v4, v2
	v_div_scale_f32 v4, vcc_lo, 1.0, v0, 1.0
	s_delay_alu instid0(VALU_DEP_1) | instskip(NEXT) | instid1(VALU_DEP_1)
	v_mul_f32_e32 v5, v4, v2
	v_fma_f32 v6, -v1, v5, v4
	s_delay_alu instid0(VALU_DEP_1) | instskip(NEXT) | instid1(VALU_DEP_1)
	v_fmac_f32_e32 v5, v6, v2
	v_fma_f32 v1, -v1, v5, v4
	s_delay_alu instid0(VALU_DEP_1) | instskip(NEXT) | instid1(VALU_DEP_1)
	v_div_fmas_f32 v1, v1, v2, v5
	v_div_fixup_f32 v2, v1, v0, 1.0
	s_delay_alu instid0(VALU_DEP_1)
	v_mul_f32_e64 v3, v3, -v2
.LBB101_115:
	s_or_b32 exec_lo, exec_lo, s1
	ds_store_b64 v103, v[2:3]
.LBB101_116:
	s_or_b32 exec_lo, exec_lo, s2
	s_wait_dscnt 0x0
	s_barrier_signal -1
	s_barrier_wait -1
	ds_load_b64 v[0:1], v103
	s_mov_b32 s1, exec_lo
	s_wait_dscnt 0x0
	scratch_store_b64 off, v[0:1], off offset:144 ; 8-byte Folded Spill
	s_wait_xcnt 0x0
	v_cmpx_lt_u32_e32 12, v102
	s_cbranch_execz .LBB101_118
; %bb.117:
	scratch_load_b64 v[4:5], off, off offset:144 ; 8-byte Folded Reload
	s_wait_loadcnt 0x0
	v_pk_mul_f32 v[2:3], v[4:5], v[58:59] op_sel:[1,1] op_sel_hi:[0,1]
	s_delay_alu instid0(VALU_DEP_1)
	v_pk_fma_f32 v[0:1], v[4:5], v[58:59], v[2:3] op_sel_hi:[1,0,1] neg_lo:[0,0,1] neg_hi:[0,0,1]
	v_pk_fma_f32 v[2:3], v[4:5], v[58:59], v[2:3] op_sel_hi:[1,0,1]
	ds_load_2addr_b64 v[4:7], v104 offset0:13 offset1:14
	v_dual_mov_b32 v58, v0 :: v_dual_mov_b32 v59, v3
	s_wait_dscnt 0x0
	v_pk_mul_f32 v[8:9], v[4:5], v[2:3] op_sel:[0,1]
	s_delay_alu instid0(VALU_DEP_1) | instskip(SKIP_1) | instid1(VALU_DEP_1)
	v_pk_fma_f32 v[10:11], v[4:5], v[0:1], v[8:9] op_sel:[0,0,1] op_sel_hi:[1,1,0] neg_lo:[0,0,1] neg_hi:[0,0,1]
	v_pk_fma_f32 v[4:5], v[4:5], v[0:1], v[8:9] op_sel:[0,0,1] op_sel_hi:[1,0,0]
	v_mov_b32_e32 v11, v5
	v_pk_mul_f32 v[4:5], v[6:7], v[2:3] op_sel:[0,1]
	s_delay_alu instid0(VALU_DEP_1) | instskip(SKIP_1) | instid1(VALU_DEP_1)
	v_pk_fma_f32 v[8:9], v[6:7], v[0:1], v[4:5] op_sel:[0,0,1] op_sel_hi:[1,1,0] neg_lo:[0,0,1] neg_hi:[0,0,1]
	v_pk_fma_f32 v[4:5], v[6:7], v[0:1], v[4:5] op_sel:[0,0,1] op_sel_hi:[1,0,0]
	v_mov_b32_e32 v9, v5
	ds_load_2addr_b64 v[4:7], v104 offset0:15 offset1:16
	v_pk_add_f32 v[54:55], v[54:55], v[10:11] neg_lo:[0,1] neg_hi:[0,1]
	v_pk_add_f32 v[56:57], v[56:57], v[8:9] neg_lo:[0,1] neg_hi:[0,1]
	s_wait_dscnt 0x0
	v_pk_mul_f32 v[8:9], v[4:5], v[2:3] op_sel:[0,1]
	s_delay_alu instid0(VALU_DEP_1) | instskip(SKIP_2) | instid1(VALU_DEP_2)
	v_pk_fma_f32 v[10:11], v[4:5], v[0:1], v[8:9] op_sel:[0,0,1] op_sel_hi:[1,1,0] neg_lo:[0,0,1] neg_hi:[0,0,1]
	v_pk_fma_f32 v[4:5], v[4:5], v[0:1], v[8:9] op_sel:[0,0,1] op_sel_hi:[1,0,0]
	v_dual_mul_f32 v8, v7, v3 :: v_dual_mov_b32 v4, v7
	v_dual_mov_b32 v11, v5 :: v_dual_mov_b32 v5, v6
	s_delay_alu instid0(VALU_DEP_2) | instskip(SKIP_1) | instid1(VALU_DEP_3)
	v_pk_fma_f32 v[8:9], v[6:7], v[58:59], v[8:9] op_sel_hi:[1,1,0] neg_lo:[0,0,1] neg_hi:[0,0,1]
	v_mul_f32_e32 v6, v7, v0
	v_pk_add_f32 v[52:53], v[52:53], v[10:11] neg_lo:[0,1] neg_hi:[0,1]
	s_delay_alu instid0(VALU_DEP_2) | instskip(NEXT) | instid1(VALU_DEP_1)
	v_pk_fma_f32 v[4:5], v[4:5], v[58:59], v[6:7] op_sel_hi:[1,1,0]
	v_mov_b32_e32 v9, v5
	ds_load_2addr_b64 v[4:7], v104 offset0:17 offset1:18
	v_pk_add_f32 v[76:77], v[76:77], v[8:9] neg_lo:[0,1] neg_hi:[0,1]
	s_wait_dscnt 0x0
	v_pk_mul_f32 v[8:9], v[4:5], v[2:3] op_sel:[0,1]
	s_delay_alu instid0(VALU_DEP_1) | instskip(SKIP_1) | instid1(VALU_DEP_1)
	v_pk_fma_f32 v[10:11], v[4:5], v[0:1], v[8:9] op_sel:[0,0,1] op_sel_hi:[1,1,0] neg_lo:[0,0,1] neg_hi:[0,0,1]
	v_pk_fma_f32 v[4:5], v[4:5], v[0:1], v[8:9] op_sel:[0,0,1] op_sel_hi:[1,0,0]
	v_mov_b32_e32 v11, v5
	v_pk_mul_f32 v[4:5], v[6:7], v[2:3] op_sel:[0,1]
	s_delay_alu instid0(VALU_DEP_1) | instskip(SKIP_1) | instid1(VALU_DEP_1)
	v_pk_fma_f32 v[8:9], v[6:7], v[0:1], v[4:5] op_sel:[0,0,1] op_sel_hi:[1,1,0] neg_lo:[0,0,1] neg_hi:[0,0,1]
	v_pk_fma_f32 v[4:5], v[6:7], v[0:1], v[4:5] op_sel:[0,0,1] op_sel_hi:[1,0,0]
	v_mov_b32_e32 v9, v5
	ds_load_2addr_b64 v[4:7], v104 offset0:19 offset1:20
	v_pk_add_f32 v[72:73], v[72:73], v[10:11] neg_lo:[0,1] neg_hi:[0,1]
	v_pk_add_f32 v[74:75], v[74:75], v[8:9] neg_lo:[0,1] neg_hi:[0,1]
	s_wait_dscnt 0x0
	v_pk_mul_f32 v[8:9], v[4:5], v[2:3] op_sel:[0,1]
	s_delay_alu instid0(VALU_DEP_1) | instskip(SKIP_1) | instid1(VALU_DEP_1)
	v_pk_fma_f32 v[10:11], v[4:5], v[0:1], v[8:9] op_sel:[0,0,1] op_sel_hi:[1,1,0] neg_lo:[0,0,1] neg_hi:[0,0,1]
	v_pk_fma_f32 v[4:5], v[4:5], v[0:1], v[8:9] op_sel:[0,0,1] op_sel_hi:[1,0,0]
	v_mov_b32_e32 v11, v5
	v_pk_mul_f32 v[4:5], v[6:7], v[2:3] op_sel:[0,1]
	s_delay_alu instid0(VALU_DEP_1) | instskip(SKIP_1) | instid1(VALU_DEP_1)
	v_pk_fma_f32 v[8:9], v[6:7], v[0:1], v[4:5] op_sel:[0,0,1] op_sel_hi:[1,1,0] neg_lo:[0,0,1] neg_hi:[0,0,1]
	v_pk_fma_f32 v[4:5], v[6:7], v[0:1], v[4:5] op_sel:[0,0,1] op_sel_hi:[1,0,0]
	v_mov_b32_e32 v9, v5
	ds_load_2addr_b64 v[4:7], v104 offset0:21 offset1:22
	v_pk_add_f32 v[70:71], v[70:71], v[10:11] neg_lo:[0,1] neg_hi:[0,1]
	v_pk_add_f32 v[94:95], v[94:95], v[8:9] neg_lo:[0,1] neg_hi:[0,1]
	s_wait_dscnt 0x0
	v_dual_mul_f32 v8, v5, v3 :: v_dual_mul_f32 v10, v5, v0
	s_delay_alu instid0(VALU_DEP_1) | instskip(NEXT) | instid1(VALU_DEP_2)
	v_pk_fma_f32 v[8:9], v[4:5], v[58:59], v[8:9] op_sel_hi:[1,1,0] neg_lo:[0,0,1] neg_hi:[0,0,1]
	v_pk_fma_f32 v[4:5], v[4:5], v[58:59], v[10:11] op_sel:[1,0,0] op_sel_hi:[0,1,0]
	s_delay_alu instid0(VALU_DEP_1) | instskip(SKIP_1) | instid1(VALU_DEP_2)
	v_mov_b32_e32 v9, v5
	v_pk_mul_f32 v[4:5], v[6:7], v[2:3] op_sel:[0,1]
	v_pk_add_f32 v[90:91], v[90:91], v[8:9] neg_lo:[0,1] neg_hi:[0,1]
	s_delay_alu instid0(VALU_DEP_2) | instskip(SKIP_1) | instid1(VALU_DEP_1)
	v_pk_fma_f32 v[8:9], v[6:7], v[0:1], v[4:5] op_sel:[0,0,1] op_sel_hi:[1,1,0] neg_lo:[0,0,1] neg_hi:[0,0,1]
	v_pk_fma_f32 v[4:5], v[6:7], v[0:1], v[4:5] op_sel:[0,0,1] op_sel_hi:[1,0,0]
	v_mov_b32_e32 v9, v5
	ds_load_2addr_b64 v[4:7], v104 offset0:23 offset1:24
	v_pk_add_f32 v[92:93], v[92:93], v[8:9] neg_lo:[0,1] neg_hi:[0,1]
	s_wait_dscnt 0x0
	v_pk_mul_f32 v[8:9], v[4:5], v[2:3] op_sel:[0,1]
	s_delay_alu instid0(VALU_DEP_1) | instskip(SKIP_1) | instid1(VALU_DEP_1)
	v_pk_fma_f32 v[10:11], v[4:5], v[0:1], v[8:9] op_sel:[0,0,1] op_sel_hi:[1,1,0] neg_lo:[0,0,1] neg_hi:[0,0,1]
	v_pk_fma_f32 v[4:5], v[4:5], v[0:1], v[8:9] op_sel:[0,0,1] op_sel_hi:[1,0,0]
	v_mov_b32_e32 v11, v5
	v_pk_mul_f32 v[4:5], v[6:7], v[2:3] op_sel:[0,1]
	s_delay_alu instid0(VALU_DEP_2) | instskip(NEXT) | instid1(VALU_DEP_2)
	v_pk_add_f32 v[88:89], v[88:89], v[10:11] neg_lo:[0,1] neg_hi:[0,1]
	v_pk_fma_f32 v[8:9], v[6:7], v[0:1], v[4:5] op_sel:[0,0,1] op_sel_hi:[1,1,0] neg_lo:[0,0,1] neg_hi:[0,0,1]
	v_pk_fma_f32 v[4:5], v[6:7], v[0:1], v[4:5] op_sel:[0,0,1] op_sel_hi:[1,0,0]
	s_delay_alu instid0(VALU_DEP_1) | instskip(SKIP_4) | instid1(VALU_DEP_1)
	v_mov_b32_e32 v9, v5
	ds_load_2addr_b64 v[4:7], v104 offset0:25 offset1:26
	v_pk_add_f32 v[112:113], v[112:113], v[8:9] neg_lo:[0,1] neg_hi:[0,1]
	s_wait_dscnt 0x0
	v_pk_mul_f32 v[8:9], v[4:5], v[2:3] op_sel:[0,1]
	v_pk_fma_f32 v[10:11], v[4:5], v[0:1], v[8:9] op_sel:[0,0,1] op_sel_hi:[1,1,0] neg_lo:[0,0,1] neg_hi:[0,0,1]
	v_pk_fma_f32 v[4:5], v[4:5], v[0:1], v[8:9] op_sel:[0,0,1] op_sel_hi:[1,0,0]
	v_dual_mul_f32 v8, v7, v3 :: v_dual_mov_b32 v4, v7
	s_delay_alu instid0(VALU_DEP_2) | instskip(NEXT) | instid1(VALU_DEP_2)
	v_dual_mov_b32 v11, v5 :: v_dual_mov_b32 v5, v6
	v_pk_fma_f32 v[8:9], v[6:7], v[58:59], v[8:9] op_sel_hi:[1,1,0] neg_lo:[0,0,1] neg_hi:[0,0,1]
	v_mul_f32_e32 v6, v7, v0
	s_delay_alu instid0(VALU_DEP_3) | instskip(NEXT) | instid1(VALU_DEP_2)
	v_pk_add_f32 v[108:109], v[108:109], v[10:11] neg_lo:[0,1] neg_hi:[0,1]
	v_pk_fma_f32 v[4:5], v[4:5], v[58:59], v[6:7] op_sel_hi:[1,1,0]
	s_delay_alu instid0(VALU_DEP_1) | instskip(SKIP_4) | instid1(VALU_DEP_1)
	v_mov_b32_e32 v9, v5
	ds_load_2addr_b64 v[4:7], v104 offset0:27 offset1:28
	v_pk_add_f32 v[110:111], v[110:111], v[8:9] neg_lo:[0,1] neg_hi:[0,1]
	s_wait_dscnt 0x0
	v_pk_mul_f32 v[8:9], v[4:5], v[2:3] op_sel:[0,1]
	v_pk_fma_f32 v[10:11], v[4:5], v[0:1], v[8:9] op_sel:[0,0,1] op_sel_hi:[1,1,0] neg_lo:[0,0,1] neg_hi:[0,0,1]
	v_pk_fma_f32 v[4:5], v[4:5], v[0:1], v[8:9] op_sel:[0,0,1] op_sel_hi:[1,0,0]
	s_delay_alu instid0(VALU_DEP_1) | instskip(SKIP_1) | instid1(VALU_DEP_1)
	v_mov_b32_e32 v11, v5
	v_pk_mul_f32 v[4:5], v[6:7], v[2:3] op_sel:[0,1]
	v_pk_fma_f32 v[8:9], v[6:7], v[0:1], v[4:5] op_sel:[0,0,1] op_sel_hi:[1,1,0] neg_lo:[0,0,1] neg_hi:[0,0,1]
	v_pk_fma_f32 v[4:5], v[6:7], v[0:1], v[4:5] op_sel:[0,0,1] op_sel_hi:[1,0,0]
	s_delay_alu instid0(VALU_DEP_1)
	v_mov_b32_e32 v9, v5
	ds_load_2addr_b64 v[4:7], v104 offset0:29 offset1:30
	v_pk_add_f32 v[106:107], v[106:107], v[10:11] neg_lo:[0,1] neg_hi:[0,1]
	v_pk_add_f32 v[128:129], v[128:129], v[8:9] neg_lo:[0,1] neg_hi:[0,1]
	s_wait_dscnt 0x0
	v_pk_mul_f32 v[8:9], v[4:5], v[2:3] op_sel:[0,1]
	s_delay_alu instid0(VALU_DEP_1) | instskip(SKIP_1) | instid1(VALU_DEP_1)
	v_pk_fma_f32 v[10:11], v[4:5], v[0:1], v[8:9] op_sel:[0,0,1] op_sel_hi:[1,1,0] neg_lo:[0,0,1] neg_hi:[0,0,1]
	v_pk_fma_f32 v[4:5], v[4:5], v[0:1], v[8:9] op_sel:[0,0,1] op_sel_hi:[1,0,0]
	v_mov_b32_e32 v11, v5
	v_pk_mul_f32 v[4:5], v[6:7], v[2:3] op_sel:[0,1]
	s_delay_alu instid0(VALU_DEP_1) | instskip(SKIP_1) | instid1(VALU_DEP_1)
	v_pk_fma_f32 v[8:9], v[6:7], v[0:1], v[4:5] op_sel:[0,0,1] op_sel_hi:[1,1,0] neg_lo:[0,0,1] neg_hi:[0,0,1]
	v_pk_fma_f32 v[4:5], v[6:7], v[0:1], v[4:5] op_sel:[0,0,1] op_sel_hi:[1,0,0]
	v_mov_b32_e32 v9, v5
	ds_load_2addr_b64 v[4:7], v104 offset0:31 offset1:32
	v_pk_add_f32 v[124:125], v[124:125], v[10:11] neg_lo:[0,1] neg_hi:[0,1]
	v_pk_add_f32 v[126:127], v[126:127], v[8:9] neg_lo:[0,1] neg_hi:[0,1]
	s_wait_dscnt 0x0
	v_dual_mul_f32 v8, v5, v3 :: v_dual_mul_f32 v10, v5, v0
	s_delay_alu instid0(VALU_DEP_1) | instskip(NEXT) | instid1(VALU_DEP_2)
	v_pk_fma_f32 v[8:9], v[4:5], v[58:59], v[8:9] op_sel_hi:[1,1,0] neg_lo:[0,0,1] neg_hi:[0,0,1]
	v_pk_fma_f32 v[4:5], v[4:5], v[58:59], v[10:11] op_sel:[1,0,0] op_sel_hi:[0,1,0]
	s_delay_alu instid0(VALU_DEP_1) | instskip(SKIP_1) | instid1(VALU_DEP_2)
	v_mov_b32_e32 v9, v5
	v_pk_mul_f32 v[4:5], v[6:7], v[2:3] op_sel:[0,1]
	v_pk_add_f32 v[122:123], v[122:123], v[8:9] neg_lo:[0,1] neg_hi:[0,1]
	s_delay_alu instid0(VALU_DEP_2) | instskip(SKIP_1) | instid1(VALU_DEP_1)
	v_pk_fma_f32 v[8:9], v[6:7], v[0:1], v[4:5] op_sel:[0,0,1] op_sel_hi:[1,1,0] neg_lo:[0,0,1] neg_hi:[0,0,1]
	v_pk_fma_f32 v[4:5], v[6:7], v[0:1], v[4:5] op_sel:[0,0,1] op_sel_hi:[1,0,0]
	v_mov_b32_e32 v9, v5
	ds_load_2addr_b64 v[4:7], v104 offset0:33 offset1:34
	v_pk_add_f32 v[146:147], v[146:147], v[8:9] neg_lo:[0,1] neg_hi:[0,1]
	s_wait_dscnt 0x0
	v_pk_mul_f32 v[8:9], v[4:5], v[2:3] op_sel:[0,1]
	s_delay_alu instid0(VALU_DEP_1) | instskip(SKIP_1) | instid1(VALU_DEP_1)
	v_pk_fma_f32 v[10:11], v[4:5], v[0:1], v[8:9] op_sel:[0,0,1] op_sel_hi:[1,1,0] neg_lo:[0,0,1] neg_hi:[0,0,1]
	v_pk_fma_f32 v[4:5], v[4:5], v[0:1], v[8:9] op_sel:[0,0,1] op_sel_hi:[1,0,0]
	v_mov_b32_e32 v11, v5
	v_pk_mul_f32 v[4:5], v[6:7], v[2:3] op_sel:[0,1]
	s_delay_alu instid0(VALU_DEP_2) | instskip(NEXT) | instid1(VALU_DEP_2)
	v_pk_add_f32 v[142:143], v[142:143], v[10:11] neg_lo:[0,1] neg_hi:[0,1]
	v_pk_fma_f32 v[8:9], v[6:7], v[0:1], v[4:5] op_sel:[0,0,1] op_sel_hi:[1,1,0] neg_lo:[0,0,1] neg_hi:[0,0,1]
	v_pk_fma_f32 v[4:5], v[6:7], v[0:1], v[4:5] op_sel:[0,0,1] op_sel_hi:[1,0,0]
	s_delay_alu instid0(VALU_DEP_1) | instskip(SKIP_4) | instid1(VALU_DEP_1)
	v_mov_b32_e32 v9, v5
	ds_load_2addr_b64 v[4:7], v104 offset0:35 offset1:36
	v_pk_add_f32 v[144:145], v[144:145], v[8:9] neg_lo:[0,1] neg_hi:[0,1]
	s_wait_dscnt 0x0
	v_pk_mul_f32 v[8:9], v[4:5], v[2:3] op_sel:[0,1]
	v_pk_fma_f32 v[10:11], v[4:5], v[0:1], v[8:9] op_sel:[0,0,1] op_sel_hi:[1,1,0] neg_lo:[0,0,1] neg_hi:[0,0,1]
	v_pk_fma_f32 v[4:5], v[4:5], v[0:1], v[8:9] op_sel:[0,0,1] op_sel_hi:[1,0,0]
	v_dual_mul_f32 v8, v7, v3 :: v_dual_mov_b32 v4, v7
	s_delay_alu instid0(VALU_DEP_2) | instskip(NEXT) | instid1(VALU_DEP_2)
	v_dual_mov_b32 v11, v5 :: v_dual_mov_b32 v5, v6
	v_pk_fma_f32 v[8:9], v[6:7], v[58:59], v[8:9] op_sel_hi:[1,1,0] neg_lo:[0,0,1] neg_hi:[0,0,1]
	v_mul_f32_e32 v6, v7, v0
	s_delay_alu instid0(VALU_DEP_3) | instskip(NEXT) | instid1(VALU_DEP_2)
	v_pk_add_f32 v[140:141], v[140:141], v[10:11] neg_lo:[0,1] neg_hi:[0,1]
	v_pk_fma_f32 v[4:5], v[4:5], v[58:59], v[6:7] op_sel_hi:[1,1,0]
	s_delay_alu instid0(VALU_DEP_1) | instskip(SKIP_4) | instid1(VALU_DEP_1)
	v_mov_b32_e32 v9, v5
	ds_load_2addr_b64 v[4:7], v104 offset0:37 offset1:38
	v_pk_add_f32 v[162:163], v[162:163], v[8:9] neg_lo:[0,1] neg_hi:[0,1]
	s_wait_dscnt 0x0
	v_pk_mul_f32 v[8:9], v[4:5], v[2:3] op_sel:[0,1]
	v_pk_fma_f32 v[10:11], v[4:5], v[0:1], v[8:9] op_sel:[0,0,1] op_sel_hi:[1,1,0] neg_lo:[0,0,1] neg_hi:[0,0,1]
	v_pk_fma_f32 v[4:5], v[4:5], v[0:1], v[8:9] op_sel:[0,0,1] op_sel_hi:[1,0,0]
	s_delay_alu instid0(VALU_DEP_1) | instskip(SKIP_1) | instid1(VALU_DEP_1)
	v_mov_b32_e32 v11, v5
	v_pk_mul_f32 v[4:5], v[6:7], v[2:3] op_sel:[0,1]
	v_pk_fma_f32 v[8:9], v[6:7], v[0:1], v[4:5] op_sel:[0,0,1] op_sel_hi:[1,1,0] neg_lo:[0,0,1] neg_hi:[0,0,1]
	v_pk_fma_f32 v[4:5], v[6:7], v[0:1], v[4:5] op_sel:[0,0,1] op_sel_hi:[1,0,0]
	s_delay_alu instid0(VALU_DEP_1)
	v_mov_b32_e32 v9, v5
	ds_load_2addr_b64 v[4:7], v104 offset0:39 offset1:40
	v_pk_add_f32 v[158:159], v[158:159], v[10:11] neg_lo:[0,1] neg_hi:[0,1]
	v_pk_add_f32 v[160:161], v[160:161], v[8:9] neg_lo:[0,1] neg_hi:[0,1]
	s_wait_dscnt 0x0
	v_pk_mul_f32 v[8:9], v[4:5], v[2:3] op_sel:[0,1]
	s_delay_alu instid0(VALU_DEP_1) | instskip(SKIP_1) | instid1(VALU_DEP_1)
	v_pk_fma_f32 v[10:11], v[4:5], v[0:1], v[8:9] op_sel:[0,0,1] op_sel_hi:[1,1,0] neg_lo:[0,0,1] neg_hi:[0,0,1]
	v_pk_fma_f32 v[4:5], v[4:5], v[0:1], v[8:9] op_sel:[0,0,1] op_sel_hi:[1,0,0]
	v_mov_b32_e32 v11, v5
	v_pk_mul_f32 v[4:5], v[6:7], v[2:3] op_sel:[0,1]
	s_delay_alu instid0(VALU_DEP_1) | instskip(SKIP_1) | instid1(VALU_DEP_1)
	v_pk_fma_f32 v[8:9], v[6:7], v[0:1], v[4:5] op_sel:[0,0,1] op_sel_hi:[1,1,0] neg_lo:[0,0,1] neg_hi:[0,0,1]
	v_pk_fma_f32 v[4:5], v[6:7], v[0:1], v[4:5] op_sel:[0,0,1] op_sel_hi:[1,0,0]
	v_mov_b32_e32 v9, v5
	ds_load_2addr_b64 v[4:7], v104 offset0:41 offset1:42
	v_pk_add_f32 v[156:157], v[156:157], v[10:11] neg_lo:[0,1] neg_hi:[0,1]
	v_pk_add_f32 v[180:181], v[180:181], v[8:9] neg_lo:[0,1] neg_hi:[0,1]
	s_wait_dscnt 0x0
	v_dual_mul_f32 v8, v5, v3 :: v_dual_mul_f32 v10, v5, v0
	s_delay_alu instid0(VALU_DEP_1) | instskip(NEXT) | instid1(VALU_DEP_2)
	v_pk_fma_f32 v[8:9], v[4:5], v[58:59], v[8:9] op_sel_hi:[1,1,0] neg_lo:[0,0,1] neg_hi:[0,0,1]
	v_pk_fma_f32 v[4:5], v[4:5], v[58:59], v[10:11] op_sel:[1,0,0] op_sel_hi:[0,1,0]
	s_delay_alu instid0(VALU_DEP_1) | instskip(SKIP_1) | instid1(VALU_DEP_2)
	v_mov_b32_e32 v9, v5
	v_pk_mul_f32 v[4:5], v[6:7], v[2:3] op_sel:[0,1]
	v_pk_add_f32 v[176:177], v[176:177], v[8:9] neg_lo:[0,1] neg_hi:[0,1]
	s_delay_alu instid0(VALU_DEP_2) | instskip(SKIP_1) | instid1(VALU_DEP_1)
	v_pk_fma_f32 v[8:9], v[6:7], v[0:1], v[4:5] op_sel:[0,0,1] op_sel_hi:[1,1,0] neg_lo:[0,0,1] neg_hi:[0,0,1]
	v_pk_fma_f32 v[4:5], v[6:7], v[0:1], v[4:5] op_sel:[0,0,1] op_sel_hi:[1,0,0]
	v_mov_b32_e32 v9, v5
	ds_load_2addr_b64 v[4:7], v104 offset0:43 offset1:44
	v_pk_add_f32 v[178:179], v[178:179], v[8:9] neg_lo:[0,1] neg_hi:[0,1]
	s_wait_dscnt 0x0
	v_pk_mul_f32 v[8:9], v[4:5], v[2:3] op_sel:[0,1]
	s_delay_alu instid0(VALU_DEP_1) | instskip(SKIP_1) | instid1(VALU_DEP_1)
	v_pk_fma_f32 v[10:11], v[4:5], v[0:1], v[8:9] op_sel:[0,0,1] op_sel_hi:[1,1,0] neg_lo:[0,0,1] neg_hi:[0,0,1]
	v_pk_fma_f32 v[4:5], v[4:5], v[0:1], v[8:9] op_sel:[0,0,1] op_sel_hi:[1,0,0]
	v_mov_b32_e32 v11, v5
	v_pk_mul_f32 v[4:5], v[6:7], v[2:3] op_sel:[0,1]
	s_delay_alu instid0(VALU_DEP_2) | instskip(NEXT) | instid1(VALU_DEP_2)
	v_pk_add_f32 v[174:175], v[174:175], v[10:11] neg_lo:[0,1] neg_hi:[0,1]
	v_pk_fma_f32 v[8:9], v[6:7], v[0:1], v[4:5] op_sel:[0,0,1] op_sel_hi:[1,1,0] neg_lo:[0,0,1] neg_hi:[0,0,1]
	v_pk_fma_f32 v[4:5], v[6:7], v[0:1], v[4:5] op_sel:[0,0,1] op_sel_hi:[1,0,0]
	s_delay_alu instid0(VALU_DEP_1) | instskip(SKIP_4) | instid1(VALU_DEP_1)
	v_mov_b32_e32 v9, v5
	ds_load_2addr_b64 v[4:7], v104 offset0:45 offset1:46
	v_pk_add_f32 v[200:201], v[200:201], v[8:9] neg_lo:[0,1] neg_hi:[0,1]
	s_wait_dscnt 0x0
	v_pk_mul_f32 v[8:9], v[4:5], v[2:3] op_sel:[0,1]
	v_pk_fma_f32 v[10:11], v[4:5], v[0:1], v[8:9] op_sel:[0,0,1] op_sel_hi:[1,1,0] neg_lo:[0,0,1] neg_hi:[0,0,1]
	v_pk_fma_f32 v[4:5], v[4:5], v[0:1], v[8:9] op_sel:[0,0,1] op_sel_hi:[1,0,0]
	v_dual_mul_f32 v8, v7, v3 :: v_dual_mov_b32 v4, v7
	s_delay_alu instid0(VALU_DEP_2) | instskip(NEXT) | instid1(VALU_DEP_2)
	v_dual_mov_b32 v11, v5 :: v_dual_mov_b32 v5, v6
	v_pk_fma_f32 v[8:9], v[6:7], v[58:59], v[8:9] op_sel_hi:[1,1,0] neg_lo:[0,0,1] neg_hi:[0,0,1]
	v_mul_f32_e32 v6, v7, v0
	s_delay_alu instid0(VALU_DEP_3) | instskip(NEXT) | instid1(VALU_DEP_2)
	v_pk_add_f32 v[194:195], v[194:195], v[10:11] neg_lo:[0,1] neg_hi:[0,1]
	v_pk_fma_f32 v[4:5], v[4:5], v[58:59], v[6:7] op_sel_hi:[1,1,0]
	s_delay_alu instid0(VALU_DEP_1) | instskip(SKIP_4) | instid1(VALU_DEP_1)
	v_mov_b32_e32 v9, v5
	ds_load_2addr_b64 v[4:7], v104 offset0:47 offset1:48
	v_pk_add_f32 v[198:199], v[198:199], v[8:9] neg_lo:[0,1] neg_hi:[0,1]
	s_wait_dscnt 0x0
	v_pk_mul_f32 v[8:9], v[4:5], v[2:3] op_sel:[0,1]
	v_pk_fma_f32 v[10:11], v[4:5], v[0:1], v[8:9] op_sel:[0,0,1] op_sel_hi:[1,1,0] neg_lo:[0,0,1] neg_hi:[0,0,1]
	v_pk_fma_f32 v[4:5], v[4:5], v[0:1], v[8:9] op_sel:[0,0,1] op_sel_hi:[1,0,0]
	s_delay_alu instid0(VALU_DEP_1) | instskip(SKIP_1) | instid1(VALU_DEP_1)
	v_mov_b32_e32 v11, v5
	v_pk_mul_f32 v[4:5], v[6:7], v[2:3] op_sel:[0,1]
	v_pk_fma_f32 v[8:9], v[6:7], v[0:1], v[4:5] op_sel:[0,0,1] op_sel_hi:[1,1,0] neg_lo:[0,0,1] neg_hi:[0,0,1]
	v_pk_fma_f32 v[4:5], v[6:7], v[0:1], v[4:5] op_sel:[0,0,1] op_sel_hi:[1,0,0]
	s_delay_alu instid0(VALU_DEP_1)
	v_mov_b32_e32 v9, v5
	ds_load_2addr_b64 v[4:7], v104 offset0:49 offset1:50
	v_pk_add_f32 v[192:193], v[192:193], v[10:11] neg_lo:[0,1] neg_hi:[0,1]
	v_pk_add_f32 v[196:197], v[196:197], v[8:9] neg_lo:[0,1] neg_hi:[0,1]
	s_wait_dscnt 0x0
	v_pk_mul_f32 v[8:9], v[4:5], v[2:3] op_sel:[0,1]
	v_pk_mul_f32 v[2:3], v[6:7], v[2:3] op_sel:[0,1]
	s_delay_alu instid0(VALU_DEP_2) | instskip(SKIP_1) | instid1(VALU_DEP_1)
	v_pk_fma_f32 v[10:11], v[4:5], v[0:1], v[8:9] op_sel:[0,0,1] op_sel_hi:[1,1,0] neg_lo:[0,0,1] neg_hi:[0,0,1]
	v_pk_fma_f32 v[4:5], v[4:5], v[0:1], v[8:9] op_sel:[0,0,1] op_sel_hi:[1,0,0]
	v_mov_b32_e32 v11, v5
	s_delay_alu instid0(VALU_DEP_4) | instskip(SKIP_1) | instid1(VALU_DEP_1)
	v_pk_fma_f32 v[4:5], v[6:7], v[0:1], v[2:3] op_sel:[0,0,1] op_sel_hi:[1,1,0] neg_lo:[0,0,1] neg_hi:[0,0,1]
	v_pk_fma_f32 v[0:1], v[6:7], v[0:1], v[2:3] op_sel:[0,0,1] op_sel_hi:[1,0,0]
	v_mov_b32_e32 v5, v1
	s_delay_alu instid0(VALU_DEP_4) | instskip(NEXT) | instid1(VALU_DEP_2)
	v_pk_add_f32 v[202:203], v[202:203], v[10:11] neg_lo:[0,1] neg_hi:[0,1]
	v_pk_add_f32 v[204:205], v[204:205], v[4:5] neg_lo:[0,1] neg_hi:[0,1]
.LBB101_118:
	s_wait_xcnt 0x0
	s_or_b32 exec_lo, exec_lo, s1
	s_delay_alu instid0(SALU_CYCLE_1)
	s_mov_b32 s2, exec_lo
	s_wait_storecnt 0x0
	s_barrier_signal -1
	s_barrier_wait -1
	v_cmpx_eq_u32_e32 13, v102
	s_cbranch_execz .LBB101_125
; %bb.119:
	v_dual_mov_b32 v0, v56 :: v_dual_mov_b32 v1, v57
	v_dual_mov_b32 v2, v52 :: v_dual_mov_b32 v3, v53
	ds_store_b64 v103, v[54:55]
	ds_store_2addr_b64 v104, v[0:1], v[2:3] offset0:14 offset1:15
	v_dual_mov_b32 v0, v76 :: v_dual_mov_b32 v1, v77
	v_dual_mov_b32 v2, v72 :: v_dual_mov_b32 v3, v73
	ds_store_2addr_b64 v104, v[0:1], v[2:3] offset0:16 offset1:17
	v_dual_mov_b32 v0, v74 :: v_dual_mov_b32 v1, v75
	v_dual_mov_b32 v2, v70 :: v_dual_mov_b32 v3, v71
	;; [unrolled: 3-line block ×17, first 2 shown]
	ds_store_2addr_b64 v104, v[0:1], v[2:3] offset0:48 offset1:49
	ds_store_b64 v104, v[204:205] offset:400
	ds_load_b64 v[0:1], v103
	s_wait_dscnt 0x0
	v_cmp_neq_f32_e32 vcc_lo, 0, v0
	v_cmp_neq_f32_e64 s1, 0, v1
	s_or_b32 s1, vcc_lo, s1
	s_delay_alu instid0(SALU_CYCLE_1)
	s_and_b32 exec_lo, exec_lo, s1
	s_cbranch_execz .LBB101_125
; %bb.120:
	v_cmp_ngt_f32_e64 s1, |v0|, |v1|
                                        ; implicit-def: $vgpr2_vgpr3
	s_and_saveexec_b32 s4, s1
	s_delay_alu instid0(SALU_CYCLE_1)
	s_xor_b32 s1, exec_lo, s4
	s_cbranch_execz .LBB101_122
; %bb.121:
	v_div_scale_f32 v2, null, v1, v1, v0
	v_div_scale_f32 v5, vcc_lo, v0, v1, v0
	s_delay_alu instid0(VALU_DEP_2) | instskip(SKIP_1) | instid1(TRANS32_DEP_1)
	v_rcp_f32_e32 v3, v2
	v_nop
	v_fma_f32 v4, -v2, v3, 1.0
	s_delay_alu instid0(VALU_DEP_1) | instskip(NEXT) | instid1(VALU_DEP_1)
	v_fmac_f32_e32 v3, v4, v3
	v_mul_f32_e32 v4, v5, v3
	s_delay_alu instid0(VALU_DEP_1) | instskip(NEXT) | instid1(VALU_DEP_1)
	v_fma_f32 v6, -v2, v4, v5
	v_fmac_f32_e32 v4, v6, v3
	s_delay_alu instid0(VALU_DEP_1) | instskip(NEXT) | instid1(VALU_DEP_1)
	v_fma_f32 v2, -v2, v4, v5
	v_div_fmas_f32 v2, v2, v3, v4
	s_delay_alu instid0(VALU_DEP_1) | instskip(NEXT) | instid1(VALU_DEP_1)
	v_div_fixup_f32 v2, v2, v1, v0
	v_fmac_f32_e32 v1, v0, v2
	s_delay_alu instid0(VALU_DEP_1) | instskip(SKIP_1) | instid1(VALU_DEP_2)
	v_div_scale_f32 v0, null, v1, v1, 1.0
	v_div_scale_f32 v5, vcc_lo, 1.0, v1, 1.0
	v_rcp_f32_e32 v3, v0
	v_nop
	s_delay_alu instid0(TRANS32_DEP_1) | instskip(NEXT) | instid1(VALU_DEP_1)
	v_fma_f32 v4, -v0, v3, 1.0
	v_fmac_f32_e32 v3, v4, v3
	s_delay_alu instid0(VALU_DEP_1) | instskip(NEXT) | instid1(VALU_DEP_1)
	v_mul_f32_e32 v4, v5, v3
	v_fma_f32 v6, -v0, v4, v5
	s_delay_alu instid0(VALU_DEP_1) | instskip(NEXT) | instid1(VALU_DEP_1)
	v_fmac_f32_e32 v4, v6, v3
	v_fma_f32 v0, -v0, v4, v5
	s_delay_alu instid0(VALU_DEP_1) | instskip(NEXT) | instid1(VALU_DEP_1)
	v_div_fmas_f32 v0, v0, v3, v4
	v_div_fixup_f32 v0, v0, v1, 1.0
	s_delay_alu instid0(VALU_DEP_1)
	v_mul_f32_e32 v2, v2, v0
	v_xor_b32_e32 v3, 0x80000000, v0
                                        ; implicit-def: $vgpr0_vgpr1
.LBB101_122:
	s_and_not1_saveexec_b32 s1, s1
	s_cbranch_execz .LBB101_124
; %bb.123:
	v_div_scale_f32 v2, null, v0, v0, v1
	v_div_scale_f32 v5, vcc_lo, v1, v0, v1
	s_delay_alu instid0(VALU_DEP_2) | instskip(SKIP_1) | instid1(TRANS32_DEP_1)
	v_rcp_f32_e32 v3, v2
	v_nop
	v_fma_f32 v4, -v2, v3, 1.0
	s_delay_alu instid0(VALU_DEP_1) | instskip(NEXT) | instid1(VALU_DEP_1)
	v_fmac_f32_e32 v3, v4, v3
	v_mul_f32_e32 v4, v5, v3
	s_delay_alu instid0(VALU_DEP_1) | instskip(NEXT) | instid1(VALU_DEP_1)
	v_fma_f32 v6, -v2, v4, v5
	v_fmac_f32_e32 v4, v6, v3
	s_delay_alu instid0(VALU_DEP_1) | instskip(NEXT) | instid1(VALU_DEP_1)
	v_fma_f32 v2, -v2, v4, v5
	v_div_fmas_f32 v2, v2, v3, v4
	s_delay_alu instid0(VALU_DEP_1) | instskip(NEXT) | instid1(VALU_DEP_1)
	v_div_fixup_f32 v3, v2, v0, v1
	v_fmac_f32_e32 v0, v1, v3
	s_delay_alu instid0(VALU_DEP_1) | instskip(NEXT) | instid1(VALU_DEP_1)
	v_div_scale_f32 v1, null, v0, v0, 1.0
	v_rcp_f32_e32 v2, v1
	v_nop
	s_delay_alu instid0(TRANS32_DEP_1) | instskip(NEXT) | instid1(VALU_DEP_1)
	v_fma_f32 v4, -v1, v2, 1.0
	v_fmac_f32_e32 v2, v4, v2
	v_div_scale_f32 v4, vcc_lo, 1.0, v0, 1.0
	s_delay_alu instid0(VALU_DEP_1) | instskip(NEXT) | instid1(VALU_DEP_1)
	v_mul_f32_e32 v5, v4, v2
	v_fma_f32 v6, -v1, v5, v4
	s_delay_alu instid0(VALU_DEP_1) | instskip(NEXT) | instid1(VALU_DEP_1)
	v_fmac_f32_e32 v5, v6, v2
	v_fma_f32 v1, -v1, v5, v4
	s_delay_alu instid0(VALU_DEP_1) | instskip(NEXT) | instid1(VALU_DEP_1)
	v_div_fmas_f32 v1, v1, v2, v5
	v_div_fixup_f32 v2, v1, v0, 1.0
	s_delay_alu instid0(VALU_DEP_1)
	v_mul_f32_e64 v3, v3, -v2
.LBB101_124:
	s_or_b32 exec_lo, exec_lo, s1
	ds_store_b64 v103, v[2:3]
.LBB101_125:
	s_or_b32 exec_lo, exec_lo, s2
	s_wait_dscnt 0x0
	s_barrier_signal -1
	s_barrier_wait -1
	ds_load_b64 v[0:1], v103
	s_mov_b32 s1, exec_lo
	s_wait_dscnt 0x0
	scratch_store_b64 off, v[0:1], off offset:152 ; 8-byte Folded Spill
	s_wait_xcnt 0x0
	v_cmpx_lt_u32_e32 13, v102
	s_cbranch_execz .LBB101_127
; %bb.126:
	scratch_load_b64 v[4:5], off, off offset:152 ; 8-byte Folded Reload
	s_wait_loadcnt 0x0
	v_pk_mul_f32 v[2:3], v[4:5], v[54:55] op_sel:[1,1] op_sel_hi:[0,1]
	s_delay_alu instid0(VALU_DEP_1)
	v_pk_fma_f32 v[0:1], v[4:5], v[54:55], v[2:3] op_sel_hi:[1,0,1] neg_lo:[0,0,1] neg_hi:[0,0,1]
	v_pk_fma_f32 v[2:3], v[4:5], v[54:55], v[2:3] op_sel_hi:[1,0,1]
	ds_load_2addr_b64 v[4:7], v104 offset0:14 offset1:15
	v_dual_mov_b32 v54, v0 :: v_dual_mov_b32 v55, v3
	s_wait_dscnt 0x0
	v_pk_mul_f32 v[8:9], v[4:5], v[2:3] op_sel:[0,1]
	s_delay_alu instid0(VALU_DEP_1) | instskip(SKIP_1) | instid1(VALU_DEP_1)
	v_pk_fma_f32 v[10:11], v[4:5], v[0:1], v[8:9] op_sel:[0,0,1] op_sel_hi:[1,1,0] neg_lo:[0,0,1] neg_hi:[0,0,1]
	v_pk_fma_f32 v[4:5], v[4:5], v[0:1], v[8:9] op_sel:[0,0,1] op_sel_hi:[1,0,0]
	v_mov_b32_e32 v11, v5
	v_pk_mul_f32 v[4:5], v[6:7], v[2:3] op_sel:[0,1]
	s_delay_alu instid0(VALU_DEP_1) | instskip(SKIP_1) | instid1(VALU_DEP_1)
	v_pk_fma_f32 v[8:9], v[6:7], v[0:1], v[4:5] op_sel:[0,0,1] op_sel_hi:[1,1,0] neg_lo:[0,0,1] neg_hi:[0,0,1]
	v_pk_fma_f32 v[4:5], v[6:7], v[0:1], v[4:5] op_sel:[0,0,1] op_sel_hi:[1,0,0]
	v_mov_b32_e32 v9, v5
	ds_load_2addr_b64 v[4:7], v104 offset0:16 offset1:17
	v_pk_add_f32 v[56:57], v[56:57], v[10:11] neg_lo:[0,1] neg_hi:[0,1]
	v_pk_add_f32 v[52:53], v[52:53], v[8:9] neg_lo:[0,1] neg_hi:[0,1]
	s_wait_dscnt 0x0
	v_pk_mul_f32 v[8:9], v[4:5], v[2:3] op_sel:[0,1]
	s_delay_alu instid0(VALU_DEP_1) | instskip(SKIP_2) | instid1(VALU_DEP_2)
	v_pk_fma_f32 v[10:11], v[4:5], v[0:1], v[8:9] op_sel:[0,0,1] op_sel_hi:[1,1,0] neg_lo:[0,0,1] neg_hi:[0,0,1]
	v_pk_fma_f32 v[4:5], v[4:5], v[0:1], v[8:9] op_sel:[0,0,1] op_sel_hi:[1,0,0]
	v_dual_mul_f32 v8, v7, v3 :: v_dual_mov_b32 v4, v7
	v_dual_mov_b32 v11, v5 :: v_dual_mov_b32 v5, v6
	s_delay_alu instid0(VALU_DEP_2) | instskip(SKIP_1) | instid1(VALU_DEP_3)
	v_pk_fma_f32 v[8:9], v[6:7], v[54:55], v[8:9] op_sel_hi:[1,1,0] neg_lo:[0,0,1] neg_hi:[0,0,1]
	v_mul_f32_e32 v6, v7, v0
	v_pk_add_f32 v[76:77], v[76:77], v[10:11] neg_lo:[0,1] neg_hi:[0,1]
	s_delay_alu instid0(VALU_DEP_2) | instskip(NEXT) | instid1(VALU_DEP_1)
	v_pk_fma_f32 v[4:5], v[4:5], v[54:55], v[6:7] op_sel_hi:[1,1,0]
	v_mov_b32_e32 v9, v5
	ds_load_2addr_b64 v[4:7], v104 offset0:18 offset1:19
	v_pk_add_f32 v[72:73], v[72:73], v[8:9] neg_lo:[0,1] neg_hi:[0,1]
	s_wait_dscnt 0x0
	v_pk_mul_f32 v[8:9], v[4:5], v[2:3] op_sel:[0,1]
	s_delay_alu instid0(VALU_DEP_1) | instskip(SKIP_1) | instid1(VALU_DEP_1)
	v_pk_fma_f32 v[10:11], v[4:5], v[0:1], v[8:9] op_sel:[0,0,1] op_sel_hi:[1,1,0] neg_lo:[0,0,1] neg_hi:[0,0,1]
	v_pk_fma_f32 v[4:5], v[4:5], v[0:1], v[8:9] op_sel:[0,0,1] op_sel_hi:[1,0,0]
	v_mov_b32_e32 v11, v5
	v_pk_mul_f32 v[4:5], v[6:7], v[2:3] op_sel:[0,1]
	s_delay_alu instid0(VALU_DEP_1) | instskip(SKIP_1) | instid1(VALU_DEP_1)
	v_pk_fma_f32 v[8:9], v[6:7], v[0:1], v[4:5] op_sel:[0,0,1] op_sel_hi:[1,1,0] neg_lo:[0,0,1] neg_hi:[0,0,1]
	v_pk_fma_f32 v[4:5], v[6:7], v[0:1], v[4:5] op_sel:[0,0,1] op_sel_hi:[1,0,0]
	v_mov_b32_e32 v9, v5
	ds_load_2addr_b64 v[4:7], v104 offset0:20 offset1:21
	v_pk_add_f32 v[74:75], v[74:75], v[10:11] neg_lo:[0,1] neg_hi:[0,1]
	v_pk_add_f32 v[70:71], v[70:71], v[8:9] neg_lo:[0,1] neg_hi:[0,1]
	s_wait_dscnt 0x0
	v_pk_mul_f32 v[8:9], v[4:5], v[2:3] op_sel:[0,1]
	s_delay_alu instid0(VALU_DEP_1) | instskip(SKIP_1) | instid1(VALU_DEP_1)
	v_pk_fma_f32 v[10:11], v[4:5], v[0:1], v[8:9] op_sel:[0,0,1] op_sel_hi:[1,1,0] neg_lo:[0,0,1] neg_hi:[0,0,1]
	v_pk_fma_f32 v[4:5], v[4:5], v[0:1], v[8:9] op_sel:[0,0,1] op_sel_hi:[1,0,0]
	v_mov_b32_e32 v11, v5
	v_pk_mul_f32 v[4:5], v[6:7], v[2:3] op_sel:[0,1]
	s_delay_alu instid0(VALU_DEP_1) | instskip(SKIP_1) | instid1(VALU_DEP_1)
	v_pk_fma_f32 v[8:9], v[6:7], v[0:1], v[4:5] op_sel:[0,0,1] op_sel_hi:[1,1,0] neg_lo:[0,0,1] neg_hi:[0,0,1]
	v_pk_fma_f32 v[4:5], v[6:7], v[0:1], v[4:5] op_sel:[0,0,1] op_sel_hi:[1,0,0]
	v_mov_b32_e32 v9, v5
	ds_load_2addr_b64 v[4:7], v104 offset0:22 offset1:23
	v_pk_add_f32 v[94:95], v[94:95], v[10:11] neg_lo:[0,1] neg_hi:[0,1]
	v_pk_add_f32 v[90:91], v[90:91], v[8:9] neg_lo:[0,1] neg_hi:[0,1]
	s_wait_dscnt 0x0
	v_dual_mul_f32 v8, v5, v3 :: v_dual_mul_f32 v10, v5, v0
	s_delay_alu instid0(VALU_DEP_1) | instskip(NEXT) | instid1(VALU_DEP_2)
	v_pk_fma_f32 v[8:9], v[4:5], v[54:55], v[8:9] op_sel_hi:[1,1,0] neg_lo:[0,0,1] neg_hi:[0,0,1]
	v_pk_fma_f32 v[4:5], v[4:5], v[54:55], v[10:11] op_sel:[1,0,0] op_sel_hi:[0,1,0]
	s_delay_alu instid0(VALU_DEP_1) | instskip(SKIP_1) | instid1(VALU_DEP_2)
	v_mov_b32_e32 v9, v5
	v_pk_mul_f32 v[4:5], v[6:7], v[2:3] op_sel:[0,1]
	v_pk_add_f32 v[92:93], v[92:93], v[8:9] neg_lo:[0,1] neg_hi:[0,1]
	s_delay_alu instid0(VALU_DEP_2) | instskip(SKIP_1) | instid1(VALU_DEP_1)
	v_pk_fma_f32 v[8:9], v[6:7], v[0:1], v[4:5] op_sel:[0,0,1] op_sel_hi:[1,1,0] neg_lo:[0,0,1] neg_hi:[0,0,1]
	v_pk_fma_f32 v[4:5], v[6:7], v[0:1], v[4:5] op_sel:[0,0,1] op_sel_hi:[1,0,0]
	v_mov_b32_e32 v9, v5
	ds_load_2addr_b64 v[4:7], v104 offset0:24 offset1:25
	v_pk_add_f32 v[88:89], v[88:89], v[8:9] neg_lo:[0,1] neg_hi:[0,1]
	s_wait_dscnt 0x0
	v_pk_mul_f32 v[8:9], v[4:5], v[2:3] op_sel:[0,1]
	s_delay_alu instid0(VALU_DEP_1) | instskip(SKIP_1) | instid1(VALU_DEP_1)
	v_pk_fma_f32 v[10:11], v[4:5], v[0:1], v[8:9] op_sel:[0,0,1] op_sel_hi:[1,1,0] neg_lo:[0,0,1] neg_hi:[0,0,1]
	v_pk_fma_f32 v[4:5], v[4:5], v[0:1], v[8:9] op_sel:[0,0,1] op_sel_hi:[1,0,0]
	v_mov_b32_e32 v11, v5
	v_pk_mul_f32 v[4:5], v[6:7], v[2:3] op_sel:[0,1]
	s_delay_alu instid0(VALU_DEP_2) | instskip(NEXT) | instid1(VALU_DEP_2)
	v_pk_add_f32 v[112:113], v[112:113], v[10:11] neg_lo:[0,1] neg_hi:[0,1]
	v_pk_fma_f32 v[8:9], v[6:7], v[0:1], v[4:5] op_sel:[0,0,1] op_sel_hi:[1,1,0] neg_lo:[0,0,1] neg_hi:[0,0,1]
	v_pk_fma_f32 v[4:5], v[6:7], v[0:1], v[4:5] op_sel:[0,0,1] op_sel_hi:[1,0,0]
	s_delay_alu instid0(VALU_DEP_1) | instskip(SKIP_4) | instid1(VALU_DEP_1)
	v_mov_b32_e32 v9, v5
	ds_load_2addr_b64 v[4:7], v104 offset0:26 offset1:27
	v_pk_add_f32 v[108:109], v[108:109], v[8:9] neg_lo:[0,1] neg_hi:[0,1]
	s_wait_dscnt 0x0
	v_pk_mul_f32 v[8:9], v[4:5], v[2:3] op_sel:[0,1]
	v_pk_fma_f32 v[10:11], v[4:5], v[0:1], v[8:9] op_sel:[0,0,1] op_sel_hi:[1,1,0] neg_lo:[0,0,1] neg_hi:[0,0,1]
	v_pk_fma_f32 v[4:5], v[4:5], v[0:1], v[8:9] op_sel:[0,0,1] op_sel_hi:[1,0,0]
	v_dual_mul_f32 v8, v7, v3 :: v_dual_mov_b32 v4, v7
	s_delay_alu instid0(VALU_DEP_2) | instskip(NEXT) | instid1(VALU_DEP_2)
	v_dual_mov_b32 v11, v5 :: v_dual_mov_b32 v5, v6
	v_pk_fma_f32 v[8:9], v[6:7], v[54:55], v[8:9] op_sel_hi:[1,1,0] neg_lo:[0,0,1] neg_hi:[0,0,1]
	v_mul_f32_e32 v6, v7, v0
	s_delay_alu instid0(VALU_DEP_3) | instskip(NEXT) | instid1(VALU_DEP_2)
	v_pk_add_f32 v[110:111], v[110:111], v[10:11] neg_lo:[0,1] neg_hi:[0,1]
	v_pk_fma_f32 v[4:5], v[4:5], v[54:55], v[6:7] op_sel_hi:[1,1,0]
	s_delay_alu instid0(VALU_DEP_1) | instskip(SKIP_4) | instid1(VALU_DEP_1)
	v_mov_b32_e32 v9, v5
	ds_load_2addr_b64 v[4:7], v104 offset0:28 offset1:29
	v_pk_add_f32 v[106:107], v[106:107], v[8:9] neg_lo:[0,1] neg_hi:[0,1]
	s_wait_dscnt 0x0
	v_pk_mul_f32 v[8:9], v[4:5], v[2:3] op_sel:[0,1]
	v_pk_fma_f32 v[10:11], v[4:5], v[0:1], v[8:9] op_sel:[0,0,1] op_sel_hi:[1,1,0] neg_lo:[0,0,1] neg_hi:[0,0,1]
	v_pk_fma_f32 v[4:5], v[4:5], v[0:1], v[8:9] op_sel:[0,0,1] op_sel_hi:[1,0,0]
	s_delay_alu instid0(VALU_DEP_1) | instskip(SKIP_1) | instid1(VALU_DEP_1)
	v_mov_b32_e32 v11, v5
	v_pk_mul_f32 v[4:5], v[6:7], v[2:3] op_sel:[0,1]
	v_pk_fma_f32 v[8:9], v[6:7], v[0:1], v[4:5] op_sel:[0,0,1] op_sel_hi:[1,1,0] neg_lo:[0,0,1] neg_hi:[0,0,1]
	v_pk_fma_f32 v[4:5], v[6:7], v[0:1], v[4:5] op_sel:[0,0,1] op_sel_hi:[1,0,0]
	s_delay_alu instid0(VALU_DEP_1)
	v_mov_b32_e32 v9, v5
	ds_load_2addr_b64 v[4:7], v104 offset0:30 offset1:31
	v_pk_add_f32 v[128:129], v[128:129], v[10:11] neg_lo:[0,1] neg_hi:[0,1]
	v_pk_add_f32 v[124:125], v[124:125], v[8:9] neg_lo:[0,1] neg_hi:[0,1]
	s_wait_dscnt 0x0
	v_pk_mul_f32 v[8:9], v[4:5], v[2:3] op_sel:[0,1]
	s_delay_alu instid0(VALU_DEP_1) | instskip(SKIP_1) | instid1(VALU_DEP_1)
	v_pk_fma_f32 v[10:11], v[4:5], v[0:1], v[8:9] op_sel:[0,0,1] op_sel_hi:[1,1,0] neg_lo:[0,0,1] neg_hi:[0,0,1]
	v_pk_fma_f32 v[4:5], v[4:5], v[0:1], v[8:9] op_sel:[0,0,1] op_sel_hi:[1,0,0]
	v_mov_b32_e32 v11, v5
	v_pk_mul_f32 v[4:5], v[6:7], v[2:3] op_sel:[0,1]
	s_delay_alu instid0(VALU_DEP_1) | instskip(SKIP_1) | instid1(VALU_DEP_1)
	v_pk_fma_f32 v[8:9], v[6:7], v[0:1], v[4:5] op_sel:[0,0,1] op_sel_hi:[1,1,0] neg_lo:[0,0,1] neg_hi:[0,0,1]
	v_pk_fma_f32 v[4:5], v[6:7], v[0:1], v[4:5] op_sel:[0,0,1] op_sel_hi:[1,0,0]
	v_mov_b32_e32 v9, v5
	ds_load_2addr_b64 v[4:7], v104 offset0:32 offset1:33
	v_pk_add_f32 v[126:127], v[126:127], v[10:11] neg_lo:[0,1] neg_hi:[0,1]
	v_pk_add_f32 v[122:123], v[122:123], v[8:9] neg_lo:[0,1] neg_hi:[0,1]
	s_wait_dscnt 0x0
	v_dual_mul_f32 v8, v5, v3 :: v_dual_mul_f32 v10, v5, v0
	s_delay_alu instid0(VALU_DEP_1) | instskip(NEXT) | instid1(VALU_DEP_2)
	v_pk_fma_f32 v[8:9], v[4:5], v[54:55], v[8:9] op_sel_hi:[1,1,0] neg_lo:[0,0,1] neg_hi:[0,0,1]
	v_pk_fma_f32 v[4:5], v[4:5], v[54:55], v[10:11] op_sel:[1,0,0] op_sel_hi:[0,1,0]
	s_delay_alu instid0(VALU_DEP_1) | instskip(SKIP_1) | instid1(VALU_DEP_2)
	v_mov_b32_e32 v9, v5
	v_pk_mul_f32 v[4:5], v[6:7], v[2:3] op_sel:[0,1]
	v_pk_add_f32 v[146:147], v[146:147], v[8:9] neg_lo:[0,1] neg_hi:[0,1]
	s_delay_alu instid0(VALU_DEP_2) | instskip(SKIP_1) | instid1(VALU_DEP_1)
	v_pk_fma_f32 v[8:9], v[6:7], v[0:1], v[4:5] op_sel:[0,0,1] op_sel_hi:[1,1,0] neg_lo:[0,0,1] neg_hi:[0,0,1]
	v_pk_fma_f32 v[4:5], v[6:7], v[0:1], v[4:5] op_sel:[0,0,1] op_sel_hi:[1,0,0]
	v_mov_b32_e32 v9, v5
	ds_load_2addr_b64 v[4:7], v104 offset0:34 offset1:35
	v_pk_add_f32 v[142:143], v[142:143], v[8:9] neg_lo:[0,1] neg_hi:[0,1]
	s_wait_dscnt 0x0
	v_pk_mul_f32 v[8:9], v[4:5], v[2:3] op_sel:[0,1]
	s_delay_alu instid0(VALU_DEP_1) | instskip(SKIP_1) | instid1(VALU_DEP_1)
	v_pk_fma_f32 v[10:11], v[4:5], v[0:1], v[8:9] op_sel:[0,0,1] op_sel_hi:[1,1,0] neg_lo:[0,0,1] neg_hi:[0,0,1]
	v_pk_fma_f32 v[4:5], v[4:5], v[0:1], v[8:9] op_sel:[0,0,1] op_sel_hi:[1,0,0]
	v_mov_b32_e32 v11, v5
	v_pk_mul_f32 v[4:5], v[6:7], v[2:3] op_sel:[0,1]
	s_delay_alu instid0(VALU_DEP_2) | instskip(NEXT) | instid1(VALU_DEP_2)
	v_pk_add_f32 v[144:145], v[144:145], v[10:11] neg_lo:[0,1] neg_hi:[0,1]
	v_pk_fma_f32 v[8:9], v[6:7], v[0:1], v[4:5] op_sel:[0,0,1] op_sel_hi:[1,1,0] neg_lo:[0,0,1] neg_hi:[0,0,1]
	v_pk_fma_f32 v[4:5], v[6:7], v[0:1], v[4:5] op_sel:[0,0,1] op_sel_hi:[1,0,0]
	s_delay_alu instid0(VALU_DEP_1) | instskip(SKIP_4) | instid1(VALU_DEP_1)
	v_mov_b32_e32 v9, v5
	ds_load_2addr_b64 v[4:7], v104 offset0:36 offset1:37
	v_pk_add_f32 v[140:141], v[140:141], v[8:9] neg_lo:[0,1] neg_hi:[0,1]
	s_wait_dscnt 0x0
	v_pk_mul_f32 v[8:9], v[4:5], v[2:3] op_sel:[0,1]
	v_pk_fma_f32 v[10:11], v[4:5], v[0:1], v[8:9] op_sel:[0,0,1] op_sel_hi:[1,1,0] neg_lo:[0,0,1] neg_hi:[0,0,1]
	v_pk_fma_f32 v[4:5], v[4:5], v[0:1], v[8:9] op_sel:[0,0,1] op_sel_hi:[1,0,0]
	v_dual_mul_f32 v8, v7, v3 :: v_dual_mov_b32 v4, v7
	s_delay_alu instid0(VALU_DEP_2) | instskip(NEXT) | instid1(VALU_DEP_2)
	v_dual_mov_b32 v11, v5 :: v_dual_mov_b32 v5, v6
	v_pk_fma_f32 v[8:9], v[6:7], v[54:55], v[8:9] op_sel_hi:[1,1,0] neg_lo:[0,0,1] neg_hi:[0,0,1]
	v_mul_f32_e32 v6, v7, v0
	s_delay_alu instid0(VALU_DEP_3) | instskip(NEXT) | instid1(VALU_DEP_2)
	v_pk_add_f32 v[162:163], v[162:163], v[10:11] neg_lo:[0,1] neg_hi:[0,1]
	v_pk_fma_f32 v[4:5], v[4:5], v[54:55], v[6:7] op_sel_hi:[1,1,0]
	s_delay_alu instid0(VALU_DEP_1) | instskip(SKIP_4) | instid1(VALU_DEP_1)
	v_mov_b32_e32 v9, v5
	ds_load_2addr_b64 v[4:7], v104 offset0:38 offset1:39
	v_pk_add_f32 v[158:159], v[158:159], v[8:9] neg_lo:[0,1] neg_hi:[0,1]
	s_wait_dscnt 0x0
	v_pk_mul_f32 v[8:9], v[4:5], v[2:3] op_sel:[0,1]
	v_pk_fma_f32 v[10:11], v[4:5], v[0:1], v[8:9] op_sel:[0,0,1] op_sel_hi:[1,1,0] neg_lo:[0,0,1] neg_hi:[0,0,1]
	v_pk_fma_f32 v[4:5], v[4:5], v[0:1], v[8:9] op_sel:[0,0,1] op_sel_hi:[1,0,0]
	s_delay_alu instid0(VALU_DEP_1) | instskip(SKIP_1) | instid1(VALU_DEP_1)
	v_mov_b32_e32 v11, v5
	v_pk_mul_f32 v[4:5], v[6:7], v[2:3] op_sel:[0,1]
	v_pk_fma_f32 v[8:9], v[6:7], v[0:1], v[4:5] op_sel:[0,0,1] op_sel_hi:[1,1,0] neg_lo:[0,0,1] neg_hi:[0,0,1]
	v_pk_fma_f32 v[4:5], v[6:7], v[0:1], v[4:5] op_sel:[0,0,1] op_sel_hi:[1,0,0]
	s_delay_alu instid0(VALU_DEP_1)
	v_mov_b32_e32 v9, v5
	ds_load_2addr_b64 v[4:7], v104 offset0:40 offset1:41
	v_pk_add_f32 v[160:161], v[160:161], v[10:11] neg_lo:[0,1] neg_hi:[0,1]
	v_pk_add_f32 v[156:157], v[156:157], v[8:9] neg_lo:[0,1] neg_hi:[0,1]
	s_wait_dscnt 0x0
	v_pk_mul_f32 v[8:9], v[4:5], v[2:3] op_sel:[0,1]
	s_delay_alu instid0(VALU_DEP_1) | instskip(SKIP_1) | instid1(VALU_DEP_1)
	v_pk_fma_f32 v[10:11], v[4:5], v[0:1], v[8:9] op_sel:[0,0,1] op_sel_hi:[1,1,0] neg_lo:[0,0,1] neg_hi:[0,0,1]
	v_pk_fma_f32 v[4:5], v[4:5], v[0:1], v[8:9] op_sel:[0,0,1] op_sel_hi:[1,0,0]
	v_mov_b32_e32 v11, v5
	v_pk_mul_f32 v[4:5], v[6:7], v[2:3] op_sel:[0,1]
	s_delay_alu instid0(VALU_DEP_1) | instskip(SKIP_1) | instid1(VALU_DEP_1)
	v_pk_fma_f32 v[8:9], v[6:7], v[0:1], v[4:5] op_sel:[0,0,1] op_sel_hi:[1,1,0] neg_lo:[0,0,1] neg_hi:[0,0,1]
	v_pk_fma_f32 v[4:5], v[6:7], v[0:1], v[4:5] op_sel:[0,0,1] op_sel_hi:[1,0,0]
	v_mov_b32_e32 v9, v5
	ds_load_2addr_b64 v[4:7], v104 offset0:42 offset1:43
	v_pk_add_f32 v[180:181], v[180:181], v[10:11] neg_lo:[0,1] neg_hi:[0,1]
	v_pk_add_f32 v[176:177], v[176:177], v[8:9] neg_lo:[0,1] neg_hi:[0,1]
	s_wait_dscnt 0x0
	v_dual_mul_f32 v8, v5, v3 :: v_dual_mul_f32 v10, v5, v0
	s_delay_alu instid0(VALU_DEP_1) | instskip(NEXT) | instid1(VALU_DEP_2)
	v_pk_fma_f32 v[8:9], v[4:5], v[54:55], v[8:9] op_sel_hi:[1,1,0] neg_lo:[0,0,1] neg_hi:[0,0,1]
	v_pk_fma_f32 v[4:5], v[4:5], v[54:55], v[10:11] op_sel:[1,0,0] op_sel_hi:[0,1,0]
	s_delay_alu instid0(VALU_DEP_1) | instskip(SKIP_1) | instid1(VALU_DEP_2)
	v_mov_b32_e32 v9, v5
	v_pk_mul_f32 v[4:5], v[6:7], v[2:3] op_sel:[0,1]
	v_pk_add_f32 v[178:179], v[178:179], v[8:9] neg_lo:[0,1] neg_hi:[0,1]
	s_delay_alu instid0(VALU_DEP_2) | instskip(SKIP_1) | instid1(VALU_DEP_1)
	v_pk_fma_f32 v[8:9], v[6:7], v[0:1], v[4:5] op_sel:[0,0,1] op_sel_hi:[1,1,0] neg_lo:[0,0,1] neg_hi:[0,0,1]
	v_pk_fma_f32 v[4:5], v[6:7], v[0:1], v[4:5] op_sel:[0,0,1] op_sel_hi:[1,0,0]
	v_mov_b32_e32 v9, v5
	ds_load_2addr_b64 v[4:7], v104 offset0:44 offset1:45
	v_pk_add_f32 v[174:175], v[174:175], v[8:9] neg_lo:[0,1] neg_hi:[0,1]
	s_wait_dscnt 0x0
	v_pk_mul_f32 v[8:9], v[4:5], v[2:3] op_sel:[0,1]
	s_delay_alu instid0(VALU_DEP_1) | instskip(SKIP_1) | instid1(VALU_DEP_1)
	v_pk_fma_f32 v[10:11], v[4:5], v[0:1], v[8:9] op_sel:[0,0,1] op_sel_hi:[1,1,0] neg_lo:[0,0,1] neg_hi:[0,0,1]
	v_pk_fma_f32 v[4:5], v[4:5], v[0:1], v[8:9] op_sel:[0,0,1] op_sel_hi:[1,0,0]
	v_mov_b32_e32 v11, v5
	v_pk_mul_f32 v[4:5], v[6:7], v[2:3] op_sel:[0,1]
	s_delay_alu instid0(VALU_DEP_2) | instskip(NEXT) | instid1(VALU_DEP_2)
	v_pk_add_f32 v[200:201], v[200:201], v[10:11] neg_lo:[0,1] neg_hi:[0,1]
	v_pk_fma_f32 v[8:9], v[6:7], v[0:1], v[4:5] op_sel:[0,0,1] op_sel_hi:[1,1,0] neg_lo:[0,0,1] neg_hi:[0,0,1]
	v_pk_fma_f32 v[4:5], v[6:7], v[0:1], v[4:5] op_sel:[0,0,1] op_sel_hi:[1,0,0]
	s_delay_alu instid0(VALU_DEP_1) | instskip(SKIP_4) | instid1(VALU_DEP_1)
	v_mov_b32_e32 v9, v5
	ds_load_2addr_b64 v[4:7], v104 offset0:46 offset1:47
	v_pk_add_f32 v[194:195], v[194:195], v[8:9] neg_lo:[0,1] neg_hi:[0,1]
	s_wait_dscnt 0x0
	v_pk_mul_f32 v[8:9], v[4:5], v[2:3] op_sel:[0,1]
	v_pk_fma_f32 v[10:11], v[4:5], v[0:1], v[8:9] op_sel:[0,0,1] op_sel_hi:[1,1,0] neg_lo:[0,0,1] neg_hi:[0,0,1]
	v_pk_fma_f32 v[4:5], v[4:5], v[0:1], v[8:9] op_sel:[0,0,1] op_sel_hi:[1,0,0]
	v_dual_mul_f32 v8, v7, v3 :: v_dual_mov_b32 v4, v7
	s_delay_alu instid0(VALU_DEP_2) | instskip(NEXT) | instid1(VALU_DEP_2)
	v_dual_mov_b32 v11, v5 :: v_dual_mov_b32 v5, v6
	v_pk_fma_f32 v[8:9], v[6:7], v[54:55], v[8:9] op_sel_hi:[1,1,0] neg_lo:[0,0,1] neg_hi:[0,0,1]
	v_mul_f32_e32 v6, v7, v0
	s_delay_alu instid0(VALU_DEP_3) | instskip(NEXT) | instid1(VALU_DEP_2)
	v_pk_add_f32 v[198:199], v[198:199], v[10:11] neg_lo:[0,1] neg_hi:[0,1]
	v_pk_fma_f32 v[4:5], v[4:5], v[54:55], v[6:7] op_sel_hi:[1,1,0]
	s_delay_alu instid0(VALU_DEP_1) | instskip(SKIP_4) | instid1(VALU_DEP_1)
	v_mov_b32_e32 v9, v5
	ds_load_2addr_b64 v[4:7], v104 offset0:48 offset1:49
	v_pk_add_f32 v[192:193], v[192:193], v[8:9] neg_lo:[0,1] neg_hi:[0,1]
	s_wait_dscnt 0x0
	v_pk_mul_f32 v[8:9], v[4:5], v[2:3] op_sel:[0,1]
	v_pk_fma_f32 v[10:11], v[4:5], v[0:1], v[8:9] op_sel:[0,0,1] op_sel_hi:[1,1,0] neg_lo:[0,0,1] neg_hi:[0,0,1]
	v_pk_fma_f32 v[4:5], v[4:5], v[0:1], v[8:9] op_sel:[0,0,1] op_sel_hi:[1,0,0]
	s_delay_alu instid0(VALU_DEP_1) | instskip(SKIP_1) | instid1(VALU_DEP_1)
	v_mov_b32_e32 v11, v5
	v_pk_mul_f32 v[4:5], v[6:7], v[2:3] op_sel:[0,1]
	v_pk_fma_f32 v[8:9], v[6:7], v[0:1], v[4:5] op_sel:[0,0,1] op_sel_hi:[1,1,0] neg_lo:[0,0,1] neg_hi:[0,0,1]
	v_pk_fma_f32 v[4:5], v[6:7], v[0:1], v[4:5] op_sel:[0,0,1] op_sel_hi:[1,0,0]
	s_delay_alu instid0(VALU_DEP_1)
	v_mov_b32_e32 v9, v5
	ds_load_b64 v[4:5], v104 offset:400
	v_pk_add_f32 v[196:197], v[196:197], v[10:11] neg_lo:[0,1] neg_hi:[0,1]
	v_pk_add_f32 v[202:203], v[202:203], v[8:9] neg_lo:[0,1] neg_hi:[0,1]
	s_wait_dscnt 0x0
	v_pk_mul_f32 v[2:3], v[4:5], v[2:3] op_sel:[0,1]
	s_delay_alu instid0(VALU_DEP_1) | instskip(SKIP_1) | instid1(VALU_DEP_1)
	v_pk_fma_f32 v[6:7], v[4:5], v[0:1], v[2:3] op_sel:[0,0,1] op_sel_hi:[1,1,0] neg_lo:[0,0,1] neg_hi:[0,0,1]
	v_pk_fma_f32 v[0:1], v[4:5], v[0:1], v[2:3] op_sel:[0,0,1] op_sel_hi:[1,0,0]
	v_mov_b32_e32 v7, v1
	s_delay_alu instid0(VALU_DEP_1)
	v_pk_add_f32 v[204:205], v[204:205], v[6:7] neg_lo:[0,1] neg_hi:[0,1]
.LBB101_127:
	s_wait_xcnt 0x0
	s_or_b32 exec_lo, exec_lo, s1
	s_delay_alu instid0(SALU_CYCLE_1)
	s_mov_b32 s2, exec_lo
	s_wait_storecnt 0x0
	s_barrier_signal -1
	s_barrier_wait -1
	v_cmpx_eq_u32_e32 14, v102
	s_cbranch_execz .LBB101_134
; %bb.128:
	ds_store_b64 v103, v[56:57]
	ds_store_2addr_b64 v104, v[52:53], v[76:77] offset0:15 offset1:16
	ds_store_2addr_b64 v104, v[72:73], v[74:75] offset0:17 offset1:18
	;; [unrolled: 1-line block ×18, first 2 shown]
	ds_load_b64 v[0:1], v103
	s_wait_dscnt 0x0
	v_cmp_neq_f32_e32 vcc_lo, 0, v0
	v_cmp_neq_f32_e64 s1, 0, v1
	s_or_b32 s1, vcc_lo, s1
	s_delay_alu instid0(SALU_CYCLE_1)
	s_and_b32 exec_lo, exec_lo, s1
	s_cbranch_execz .LBB101_134
; %bb.129:
	v_cmp_ngt_f32_e64 s1, |v0|, |v1|
                                        ; implicit-def: $vgpr2_vgpr3
	s_and_saveexec_b32 s4, s1
	s_delay_alu instid0(SALU_CYCLE_1)
	s_xor_b32 s1, exec_lo, s4
	s_cbranch_execz .LBB101_131
; %bb.130:
	v_div_scale_f32 v2, null, v1, v1, v0
	v_div_scale_f32 v5, vcc_lo, v0, v1, v0
	s_delay_alu instid0(VALU_DEP_2) | instskip(SKIP_1) | instid1(TRANS32_DEP_1)
	v_rcp_f32_e32 v3, v2
	v_nop
	v_fma_f32 v4, -v2, v3, 1.0
	s_delay_alu instid0(VALU_DEP_1) | instskip(NEXT) | instid1(VALU_DEP_1)
	v_fmac_f32_e32 v3, v4, v3
	v_mul_f32_e32 v4, v5, v3
	s_delay_alu instid0(VALU_DEP_1) | instskip(NEXT) | instid1(VALU_DEP_1)
	v_fma_f32 v6, -v2, v4, v5
	v_fmac_f32_e32 v4, v6, v3
	s_delay_alu instid0(VALU_DEP_1) | instskip(NEXT) | instid1(VALU_DEP_1)
	v_fma_f32 v2, -v2, v4, v5
	v_div_fmas_f32 v2, v2, v3, v4
	s_delay_alu instid0(VALU_DEP_1) | instskip(NEXT) | instid1(VALU_DEP_1)
	v_div_fixup_f32 v2, v2, v1, v0
	v_fmac_f32_e32 v1, v0, v2
	s_delay_alu instid0(VALU_DEP_1) | instskip(SKIP_1) | instid1(VALU_DEP_2)
	v_div_scale_f32 v0, null, v1, v1, 1.0
	v_div_scale_f32 v5, vcc_lo, 1.0, v1, 1.0
	v_rcp_f32_e32 v3, v0
	v_nop
	s_delay_alu instid0(TRANS32_DEP_1) | instskip(NEXT) | instid1(VALU_DEP_1)
	v_fma_f32 v4, -v0, v3, 1.0
	v_fmac_f32_e32 v3, v4, v3
	s_delay_alu instid0(VALU_DEP_1) | instskip(NEXT) | instid1(VALU_DEP_1)
	v_mul_f32_e32 v4, v5, v3
	v_fma_f32 v6, -v0, v4, v5
	s_delay_alu instid0(VALU_DEP_1) | instskip(NEXT) | instid1(VALU_DEP_1)
	v_fmac_f32_e32 v4, v6, v3
	v_fma_f32 v0, -v0, v4, v5
	s_delay_alu instid0(VALU_DEP_1) | instskip(NEXT) | instid1(VALU_DEP_1)
	v_div_fmas_f32 v0, v0, v3, v4
	v_div_fixup_f32 v0, v0, v1, 1.0
	s_delay_alu instid0(VALU_DEP_1)
	v_mul_f32_e32 v2, v2, v0
	v_xor_b32_e32 v3, 0x80000000, v0
                                        ; implicit-def: $vgpr0_vgpr1
.LBB101_131:
	s_and_not1_saveexec_b32 s1, s1
	s_cbranch_execz .LBB101_133
; %bb.132:
	v_div_scale_f32 v2, null, v0, v0, v1
	v_div_scale_f32 v5, vcc_lo, v1, v0, v1
	s_delay_alu instid0(VALU_DEP_2) | instskip(SKIP_1) | instid1(TRANS32_DEP_1)
	v_rcp_f32_e32 v3, v2
	v_nop
	v_fma_f32 v4, -v2, v3, 1.0
	s_delay_alu instid0(VALU_DEP_1) | instskip(NEXT) | instid1(VALU_DEP_1)
	v_fmac_f32_e32 v3, v4, v3
	v_mul_f32_e32 v4, v5, v3
	s_delay_alu instid0(VALU_DEP_1) | instskip(NEXT) | instid1(VALU_DEP_1)
	v_fma_f32 v6, -v2, v4, v5
	v_fmac_f32_e32 v4, v6, v3
	s_delay_alu instid0(VALU_DEP_1) | instskip(NEXT) | instid1(VALU_DEP_1)
	v_fma_f32 v2, -v2, v4, v5
	v_div_fmas_f32 v2, v2, v3, v4
	s_delay_alu instid0(VALU_DEP_1) | instskip(NEXT) | instid1(VALU_DEP_1)
	v_div_fixup_f32 v3, v2, v0, v1
	v_fmac_f32_e32 v0, v1, v3
	s_delay_alu instid0(VALU_DEP_1) | instskip(NEXT) | instid1(VALU_DEP_1)
	v_div_scale_f32 v1, null, v0, v0, 1.0
	v_rcp_f32_e32 v2, v1
	v_nop
	s_delay_alu instid0(TRANS32_DEP_1) | instskip(NEXT) | instid1(VALU_DEP_1)
	v_fma_f32 v4, -v1, v2, 1.0
	v_fmac_f32_e32 v2, v4, v2
	v_div_scale_f32 v4, vcc_lo, 1.0, v0, 1.0
	s_delay_alu instid0(VALU_DEP_1) | instskip(NEXT) | instid1(VALU_DEP_1)
	v_mul_f32_e32 v5, v4, v2
	v_fma_f32 v6, -v1, v5, v4
	s_delay_alu instid0(VALU_DEP_1) | instskip(NEXT) | instid1(VALU_DEP_1)
	v_fmac_f32_e32 v5, v6, v2
	v_fma_f32 v1, -v1, v5, v4
	s_delay_alu instid0(VALU_DEP_1) | instskip(NEXT) | instid1(VALU_DEP_1)
	v_div_fmas_f32 v1, v1, v2, v5
	v_div_fixup_f32 v2, v1, v0, 1.0
	s_delay_alu instid0(VALU_DEP_1)
	v_mul_f32_e64 v3, v3, -v2
.LBB101_133:
	s_or_b32 exec_lo, exec_lo, s1
	ds_store_b64 v103, v[2:3]
.LBB101_134:
	s_or_b32 exec_lo, exec_lo, s2
	s_wait_dscnt 0x0
	s_barrier_signal -1
	s_barrier_wait -1
	ds_load_b64 v[0:1], v103
	s_mov_b32 s1, exec_lo
	s_wait_dscnt 0x0
	scratch_store_b64 off, v[0:1], off offset:160 ; 8-byte Folded Spill
	s_wait_xcnt 0x0
	v_cmpx_lt_u32_e32 14, v102
	s_cbranch_execz .LBB101_136
; %bb.135:
	scratch_load_b64 v[4:5], off, off offset:160 ; 8-byte Folded Reload
	s_wait_loadcnt 0x0
	v_pk_mul_f32 v[2:3], v[4:5], v[56:57] op_sel:[1,1] op_sel_hi:[0,1]
	s_delay_alu instid0(VALU_DEP_1)
	v_pk_fma_f32 v[0:1], v[4:5], v[56:57], v[2:3] op_sel_hi:[1,0,1] neg_lo:[0,0,1] neg_hi:[0,0,1]
	v_pk_fma_f32 v[2:3], v[4:5], v[56:57], v[2:3] op_sel_hi:[1,0,1]
	ds_load_2addr_b64 v[4:7], v104 offset0:15 offset1:16
	v_dual_mov_b32 v56, v0 :: v_dual_mov_b32 v57, v3
	s_wait_dscnt 0x0
	v_pk_mul_f32 v[8:9], v[4:5], v[2:3] op_sel:[0,1]
	s_delay_alu instid0(VALU_DEP_1) | instskip(SKIP_1) | instid1(VALU_DEP_1)
	v_pk_fma_f32 v[10:11], v[4:5], v[0:1], v[8:9] op_sel:[0,0,1] op_sel_hi:[1,1,0] neg_lo:[0,0,1] neg_hi:[0,0,1]
	v_pk_fma_f32 v[4:5], v[4:5], v[0:1], v[8:9] op_sel:[0,0,1] op_sel_hi:[1,0,0]
	v_mov_b32_e32 v11, v5
	v_pk_mul_f32 v[4:5], v[6:7], v[2:3] op_sel:[0,1]
	s_delay_alu instid0(VALU_DEP_1) | instskip(SKIP_1) | instid1(VALU_DEP_1)
	v_pk_fma_f32 v[8:9], v[6:7], v[0:1], v[4:5] op_sel:[0,0,1] op_sel_hi:[1,1,0] neg_lo:[0,0,1] neg_hi:[0,0,1]
	v_pk_fma_f32 v[4:5], v[6:7], v[0:1], v[4:5] op_sel:[0,0,1] op_sel_hi:[1,0,0]
	v_mov_b32_e32 v9, v5
	ds_load_2addr_b64 v[4:7], v104 offset0:17 offset1:18
	v_pk_add_f32 v[52:53], v[52:53], v[10:11] neg_lo:[0,1] neg_hi:[0,1]
	v_pk_add_f32 v[76:77], v[76:77], v[8:9] neg_lo:[0,1] neg_hi:[0,1]
	s_wait_dscnt 0x0
	v_pk_mul_f32 v[8:9], v[4:5], v[2:3] op_sel:[0,1]
	s_delay_alu instid0(VALU_DEP_1) | instskip(SKIP_2) | instid1(VALU_DEP_2)
	v_pk_fma_f32 v[10:11], v[4:5], v[0:1], v[8:9] op_sel:[0,0,1] op_sel_hi:[1,1,0] neg_lo:[0,0,1] neg_hi:[0,0,1]
	v_pk_fma_f32 v[4:5], v[4:5], v[0:1], v[8:9] op_sel:[0,0,1] op_sel_hi:[1,0,0]
	v_dual_mul_f32 v8, v7, v3 :: v_dual_mov_b32 v4, v7
	v_dual_mov_b32 v11, v5 :: v_dual_mov_b32 v5, v6
	s_delay_alu instid0(VALU_DEP_2) | instskip(SKIP_1) | instid1(VALU_DEP_3)
	v_pk_fma_f32 v[8:9], v[6:7], v[56:57], v[8:9] op_sel_hi:[1,1,0] neg_lo:[0,0,1] neg_hi:[0,0,1]
	v_mul_f32_e32 v6, v7, v0
	v_pk_add_f32 v[72:73], v[72:73], v[10:11] neg_lo:[0,1] neg_hi:[0,1]
	s_delay_alu instid0(VALU_DEP_2) | instskip(NEXT) | instid1(VALU_DEP_1)
	v_pk_fma_f32 v[4:5], v[4:5], v[56:57], v[6:7] op_sel_hi:[1,1,0]
	v_mov_b32_e32 v9, v5
	ds_load_2addr_b64 v[4:7], v104 offset0:19 offset1:20
	v_pk_add_f32 v[74:75], v[74:75], v[8:9] neg_lo:[0,1] neg_hi:[0,1]
	s_wait_dscnt 0x0
	v_pk_mul_f32 v[8:9], v[4:5], v[2:3] op_sel:[0,1]
	s_delay_alu instid0(VALU_DEP_1) | instskip(SKIP_1) | instid1(VALU_DEP_1)
	v_pk_fma_f32 v[10:11], v[4:5], v[0:1], v[8:9] op_sel:[0,0,1] op_sel_hi:[1,1,0] neg_lo:[0,0,1] neg_hi:[0,0,1]
	v_pk_fma_f32 v[4:5], v[4:5], v[0:1], v[8:9] op_sel:[0,0,1] op_sel_hi:[1,0,0]
	v_mov_b32_e32 v11, v5
	v_pk_mul_f32 v[4:5], v[6:7], v[2:3] op_sel:[0,1]
	s_delay_alu instid0(VALU_DEP_1) | instskip(SKIP_1) | instid1(VALU_DEP_1)
	v_pk_fma_f32 v[8:9], v[6:7], v[0:1], v[4:5] op_sel:[0,0,1] op_sel_hi:[1,1,0] neg_lo:[0,0,1] neg_hi:[0,0,1]
	v_pk_fma_f32 v[4:5], v[6:7], v[0:1], v[4:5] op_sel:[0,0,1] op_sel_hi:[1,0,0]
	v_mov_b32_e32 v9, v5
	ds_load_2addr_b64 v[4:7], v104 offset0:21 offset1:22
	v_pk_add_f32 v[70:71], v[70:71], v[10:11] neg_lo:[0,1] neg_hi:[0,1]
	v_pk_add_f32 v[94:95], v[94:95], v[8:9] neg_lo:[0,1] neg_hi:[0,1]
	s_wait_dscnt 0x0
	v_pk_mul_f32 v[8:9], v[4:5], v[2:3] op_sel:[0,1]
	s_delay_alu instid0(VALU_DEP_1) | instskip(SKIP_1) | instid1(VALU_DEP_1)
	v_pk_fma_f32 v[10:11], v[4:5], v[0:1], v[8:9] op_sel:[0,0,1] op_sel_hi:[1,1,0] neg_lo:[0,0,1] neg_hi:[0,0,1]
	v_pk_fma_f32 v[4:5], v[4:5], v[0:1], v[8:9] op_sel:[0,0,1] op_sel_hi:[1,0,0]
	v_mov_b32_e32 v11, v5
	v_pk_mul_f32 v[4:5], v[6:7], v[2:3] op_sel:[0,1]
	s_delay_alu instid0(VALU_DEP_1) | instskip(SKIP_1) | instid1(VALU_DEP_1)
	v_pk_fma_f32 v[8:9], v[6:7], v[0:1], v[4:5] op_sel:[0,0,1] op_sel_hi:[1,1,0] neg_lo:[0,0,1] neg_hi:[0,0,1]
	v_pk_fma_f32 v[4:5], v[6:7], v[0:1], v[4:5] op_sel:[0,0,1] op_sel_hi:[1,0,0]
	v_mov_b32_e32 v9, v5
	ds_load_2addr_b64 v[4:7], v104 offset0:23 offset1:24
	v_pk_add_f32 v[90:91], v[90:91], v[10:11] neg_lo:[0,1] neg_hi:[0,1]
	v_pk_add_f32 v[92:93], v[92:93], v[8:9] neg_lo:[0,1] neg_hi:[0,1]
	s_wait_dscnt 0x0
	v_dual_mul_f32 v8, v5, v3 :: v_dual_mul_f32 v10, v5, v0
	s_delay_alu instid0(VALU_DEP_1) | instskip(NEXT) | instid1(VALU_DEP_2)
	v_pk_fma_f32 v[8:9], v[4:5], v[56:57], v[8:9] op_sel_hi:[1,1,0] neg_lo:[0,0,1] neg_hi:[0,0,1]
	v_pk_fma_f32 v[4:5], v[4:5], v[56:57], v[10:11] op_sel:[1,0,0] op_sel_hi:[0,1,0]
	s_delay_alu instid0(VALU_DEP_1) | instskip(SKIP_1) | instid1(VALU_DEP_2)
	v_mov_b32_e32 v9, v5
	v_pk_mul_f32 v[4:5], v[6:7], v[2:3] op_sel:[0,1]
	v_pk_add_f32 v[88:89], v[88:89], v[8:9] neg_lo:[0,1] neg_hi:[0,1]
	s_delay_alu instid0(VALU_DEP_2) | instskip(SKIP_1) | instid1(VALU_DEP_1)
	v_pk_fma_f32 v[8:9], v[6:7], v[0:1], v[4:5] op_sel:[0,0,1] op_sel_hi:[1,1,0] neg_lo:[0,0,1] neg_hi:[0,0,1]
	v_pk_fma_f32 v[4:5], v[6:7], v[0:1], v[4:5] op_sel:[0,0,1] op_sel_hi:[1,0,0]
	v_mov_b32_e32 v9, v5
	ds_load_2addr_b64 v[4:7], v104 offset0:25 offset1:26
	v_pk_add_f32 v[112:113], v[112:113], v[8:9] neg_lo:[0,1] neg_hi:[0,1]
	s_wait_dscnt 0x0
	v_pk_mul_f32 v[8:9], v[4:5], v[2:3] op_sel:[0,1]
	s_delay_alu instid0(VALU_DEP_1) | instskip(SKIP_1) | instid1(VALU_DEP_1)
	v_pk_fma_f32 v[10:11], v[4:5], v[0:1], v[8:9] op_sel:[0,0,1] op_sel_hi:[1,1,0] neg_lo:[0,0,1] neg_hi:[0,0,1]
	v_pk_fma_f32 v[4:5], v[4:5], v[0:1], v[8:9] op_sel:[0,0,1] op_sel_hi:[1,0,0]
	v_mov_b32_e32 v11, v5
	v_pk_mul_f32 v[4:5], v[6:7], v[2:3] op_sel:[0,1]
	s_delay_alu instid0(VALU_DEP_2) | instskip(NEXT) | instid1(VALU_DEP_2)
	v_pk_add_f32 v[108:109], v[108:109], v[10:11] neg_lo:[0,1] neg_hi:[0,1]
	v_pk_fma_f32 v[8:9], v[6:7], v[0:1], v[4:5] op_sel:[0,0,1] op_sel_hi:[1,1,0] neg_lo:[0,0,1] neg_hi:[0,0,1]
	v_pk_fma_f32 v[4:5], v[6:7], v[0:1], v[4:5] op_sel:[0,0,1] op_sel_hi:[1,0,0]
	s_delay_alu instid0(VALU_DEP_1) | instskip(SKIP_4) | instid1(VALU_DEP_1)
	v_mov_b32_e32 v9, v5
	ds_load_2addr_b64 v[4:7], v104 offset0:27 offset1:28
	v_pk_add_f32 v[110:111], v[110:111], v[8:9] neg_lo:[0,1] neg_hi:[0,1]
	s_wait_dscnt 0x0
	v_pk_mul_f32 v[8:9], v[4:5], v[2:3] op_sel:[0,1]
	v_pk_fma_f32 v[10:11], v[4:5], v[0:1], v[8:9] op_sel:[0,0,1] op_sel_hi:[1,1,0] neg_lo:[0,0,1] neg_hi:[0,0,1]
	v_pk_fma_f32 v[4:5], v[4:5], v[0:1], v[8:9] op_sel:[0,0,1] op_sel_hi:[1,0,0]
	v_dual_mul_f32 v8, v7, v3 :: v_dual_mov_b32 v4, v7
	s_delay_alu instid0(VALU_DEP_2) | instskip(NEXT) | instid1(VALU_DEP_2)
	v_dual_mov_b32 v11, v5 :: v_dual_mov_b32 v5, v6
	v_pk_fma_f32 v[8:9], v[6:7], v[56:57], v[8:9] op_sel_hi:[1,1,0] neg_lo:[0,0,1] neg_hi:[0,0,1]
	v_mul_f32_e32 v6, v7, v0
	s_delay_alu instid0(VALU_DEP_3) | instskip(NEXT) | instid1(VALU_DEP_2)
	v_pk_add_f32 v[106:107], v[106:107], v[10:11] neg_lo:[0,1] neg_hi:[0,1]
	v_pk_fma_f32 v[4:5], v[4:5], v[56:57], v[6:7] op_sel_hi:[1,1,0]
	s_delay_alu instid0(VALU_DEP_1) | instskip(SKIP_4) | instid1(VALU_DEP_1)
	v_mov_b32_e32 v9, v5
	ds_load_2addr_b64 v[4:7], v104 offset0:29 offset1:30
	v_pk_add_f32 v[128:129], v[128:129], v[8:9] neg_lo:[0,1] neg_hi:[0,1]
	s_wait_dscnt 0x0
	v_pk_mul_f32 v[8:9], v[4:5], v[2:3] op_sel:[0,1]
	v_pk_fma_f32 v[10:11], v[4:5], v[0:1], v[8:9] op_sel:[0,0,1] op_sel_hi:[1,1,0] neg_lo:[0,0,1] neg_hi:[0,0,1]
	v_pk_fma_f32 v[4:5], v[4:5], v[0:1], v[8:9] op_sel:[0,0,1] op_sel_hi:[1,0,0]
	s_delay_alu instid0(VALU_DEP_1) | instskip(SKIP_1) | instid1(VALU_DEP_1)
	v_mov_b32_e32 v11, v5
	v_pk_mul_f32 v[4:5], v[6:7], v[2:3] op_sel:[0,1]
	v_pk_fma_f32 v[8:9], v[6:7], v[0:1], v[4:5] op_sel:[0,0,1] op_sel_hi:[1,1,0] neg_lo:[0,0,1] neg_hi:[0,0,1]
	v_pk_fma_f32 v[4:5], v[6:7], v[0:1], v[4:5] op_sel:[0,0,1] op_sel_hi:[1,0,0]
	s_delay_alu instid0(VALU_DEP_1)
	v_mov_b32_e32 v9, v5
	ds_load_2addr_b64 v[4:7], v104 offset0:31 offset1:32
	v_pk_add_f32 v[124:125], v[124:125], v[10:11] neg_lo:[0,1] neg_hi:[0,1]
	v_pk_add_f32 v[126:127], v[126:127], v[8:9] neg_lo:[0,1] neg_hi:[0,1]
	s_wait_dscnt 0x0
	v_pk_mul_f32 v[8:9], v[4:5], v[2:3] op_sel:[0,1]
	s_delay_alu instid0(VALU_DEP_1) | instskip(SKIP_1) | instid1(VALU_DEP_1)
	v_pk_fma_f32 v[10:11], v[4:5], v[0:1], v[8:9] op_sel:[0,0,1] op_sel_hi:[1,1,0] neg_lo:[0,0,1] neg_hi:[0,0,1]
	v_pk_fma_f32 v[4:5], v[4:5], v[0:1], v[8:9] op_sel:[0,0,1] op_sel_hi:[1,0,0]
	v_mov_b32_e32 v11, v5
	v_pk_mul_f32 v[4:5], v[6:7], v[2:3] op_sel:[0,1]
	s_delay_alu instid0(VALU_DEP_1) | instskip(SKIP_1) | instid1(VALU_DEP_1)
	v_pk_fma_f32 v[8:9], v[6:7], v[0:1], v[4:5] op_sel:[0,0,1] op_sel_hi:[1,1,0] neg_lo:[0,0,1] neg_hi:[0,0,1]
	v_pk_fma_f32 v[4:5], v[6:7], v[0:1], v[4:5] op_sel:[0,0,1] op_sel_hi:[1,0,0]
	v_mov_b32_e32 v9, v5
	ds_load_2addr_b64 v[4:7], v104 offset0:33 offset1:34
	v_pk_add_f32 v[122:123], v[122:123], v[10:11] neg_lo:[0,1] neg_hi:[0,1]
	v_pk_add_f32 v[146:147], v[146:147], v[8:9] neg_lo:[0,1] neg_hi:[0,1]
	s_wait_dscnt 0x0
	v_dual_mul_f32 v8, v5, v3 :: v_dual_mul_f32 v10, v5, v0
	s_delay_alu instid0(VALU_DEP_1) | instskip(NEXT) | instid1(VALU_DEP_2)
	v_pk_fma_f32 v[8:9], v[4:5], v[56:57], v[8:9] op_sel_hi:[1,1,0] neg_lo:[0,0,1] neg_hi:[0,0,1]
	v_pk_fma_f32 v[4:5], v[4:5], v[56:57], v[10:11] op_sel:[1,0,0] op_sel_hi:[0,1,0]
	s_delay_alu instid0(VALU_DEP_1) | instskip(SKIP_1) | instid1(VALU_DEP_2)
	v_mov_b32_e32 v9, v5
	v_pk_mul_f32 v[4:5], v[6:7], v[2:3] op_sel:[0,1]
	v_pk_add_f32 v[142:143], v[142:143], v[8:9] neg_lo:[0,1] neg_hi:[0,1]
	s_delay_alu instid0(VALU_DEP_2) | instskip(SKIP_1) | instid1(VALU_DEP_1)
	v_pk_fma_f32 v[8:9], v[6:7], v[0:1], v[4:5] op_sel:[0,0,1] op_sel_hi:[1,1,0] neg_lo:[0,0,1] neg_hi:[0,0,1]
	v_pk_fma_f32 v[4:5], v[6:7], v[0:1], v[4:5] op_sel:[0,0,1] op_sel_hi:[1,0,0]
	v_mov_b32_e32 v9, v5
	ds_load_2addr_b64 v[4:7], v104 offset0:35 offset1:36
	v_pk_add_f32 v[144:145], v[144:145], v[8:9] neg_lo:[0,1] neg_hi:[0,1]
	s_wait_dscnt 0x0
	v_pk_mul_f32 v[8:9], v[4:5], v[2:3] op_sel:[0,1]
	s_delay_alu instid0(VALU_DEP_1) | instskip(SKIP_1) | instid1(VALU_DEP_1)
	v_pk_fma_f32 v[10:11], v[4:5], v[0:1], v[8:9] op_sel:[0,0,1] op_sel_hi:[1,1,0] neg_lo:[0,0,1] neg_hi:[0,0,1]
	v_pk_fma_f32 v[4:5], v[4:5], v[0:1], v[8:9] op_sel:[0,0,1] op_sel_hi:[1,0,0]
	v_mov_b32_e32 v11, v5
	v_pk_mul_f32 v[4:5], v[6:7], v[2:3] op_sel:[0,1]
	s_delay_alu instid0(VALU_DEP_2) | instskip(NEXT) | instid1(VALU_DEP_2)
	v_pk_add_f32 v[140:141], v[140:141], v[10:11] neg_lo:[0,1] neg_hi:[0,1]
	v_pk_fma_f32 v[8:9], v[6:7], v[0:1], v[4:5] op_sel:[0,0,1] op_sel_hi:[1,1,0] neg_lo:[0,0,1] neg_hi:[0,0,1]
	v_pk_fma_f32 v[4:5], v[6:7], v[0:1], v[4:5] op_sel:[0,0,1] op_sel_hi:[1,0,0]
	s_delay_alu instid0(VALU_DEP_1) | instskip(SKIP_4) | instid1(VALU_DEP_1)
	v_mov_b32_e32 v9, v5
	ds_load_2addr_b64 v[4:7], v104 offset0:37 offset1:38
	v_pk_add_f32 v[162:163], v[162:163], v[8:9] neg_lo:[0,1] neg_hi:[0,1]
	s_wait_dscnt 0x0
	v_pk_mul_f32 v[8:9], v[4:5], v[2:3] op_sel:[0,1]
	v_pk_fma_f32 v[10:11], v[4:5], v[0:1], v[8:9] op_sel:[0,0,1] op_sel_hi:[1,1,0] neg_lo:[0,0,1] neg_hi:[0,0,1]
	v_pk_fma_f32 v[4:5], v[4:5], v[0:1], v[8:9] op_sel:[0,0,1] op_sel_hi:[1,0,0]
	v_dual_mul_f32 v8, v7, v3 :: v_dual_mov_b32 v4, v7
	s_delay_alu instid0(VALU_DEP_2) | instskip(NEXT) | instid1(VALU_DEP_2)
	v_dual_mov_b32 v11, v5 :: v_dual_mov_b32 v5, v6
	v_pk_fma_f32 v[8:9], v[6:7], v[56:57], v[8:9] op_sel_hi:[1,1,0] neg_lo:[0,0,1] neg_hi:[0,0,1]
	v_mul_f32_e32 v6, v7, v0
	s_delay_alu instid0(VALU_DEP_3) | instskip(NEXT) | instid1(VALU_DEP_2)
	v_pk_add_f32 v[158:159], v[158:159], v[10:11] neg_lo:[0,1] neg_hi:[0,1]
	v_pk_fma_f32 v[4:5], v[4:5], v[56:57], v[6:7] op_sel_hi:[1,1,0]
	s_delay_alu instid0(VALU_DEP_1) | instskip(SKIP_4) | instid1(VALU_DEP_1)
	v_mov_b32_e32 v9, v5
	ds_load_2addr_b64 v[4:7], v104 offset0:39 offset1:40
	v_pk_add_f32 v[160:161], v[160:161], v[8:9] neg_lo:[0,1] neg_hi:[0,1]
	s_wait_dscnt 0x0
	v_pk_mul_f32 v[8:9], v[4:5], v[2:3] op_sel:[0,1]
	v_pk_fma_f32 v[10:11], v[4:5], v[0:1], v[8:9] op_sel:[0,0,1] op_sel_hi:[1,1,0] neg_lo:[0,0,1] neg_hi:[0,0,1]
	v_pk_fma_f32 v[4:5], v[4:5], v[0:1], v[8:9] op_sel:[0,0,1] op_sel_hi:[1,0,0]
	s_delay_alu instid0(VALU_DEP_1) | instskip(SKIP_1) | instid1(VALU_DEP_1)
	v_mov_b32_e32 v11, v5
	v_pk_mul_f32 v[4:5], v[6:7], v[2:3] op_sel:[0,1]
	v_pk_fma_f32 v[8:9], v[6:7], v[0:1], v[4:5] op_sel:[0,0,1] op_sel_hi:[1,1,0] neg_lo:[0,0,1] neg_hi:[0,0,1]
	v_pk_fma_f32 v[4:5], v[6:7], v[0:1], v[4:5] op_sel:[0,0,1] op_sel_hi:[1,0,0]
	s_delay_alu instid0(VALU_DEP_1)
	v_mov_b32_e32 v9, v5
	ds_load_2addr_b64 v[4:7], v104 offset0:41 offset1:42
	v_pk_add_f32 v[156:157], v[156:157], v[10:11] neg_lo:[0,1] neg_hi:[0,1]
	v_pk_add_f32 v[180:181], v[180:181], v[8:9] neg_lo:[0,1] neg_hi:[0,1]
	s_wait_dscnt 0x0
	v_pk_mul_f32 v[8:9], v[4:5], v[2:3] op_sel:[0,1]
	s_delay_alu instid0(VALU_DEP_1) | instskip(SKIP_1) | instid1(VALU_DEP_1)
	v_pk_fma_f32 v[10:11], v[4:5], v[0:1], v[8:9] op_sel:[0,0,1] op_sel_hi:[1,1,0] neg_lo:[0,0,1] neg_hi:[0,0,1]
	v_pk_fma_f32 v[4:5], v[4:5], v[0:1], v[8:9] op_sel:[0,0,1] op_sel_hi:[1,0,0]
	v_mov_b32_e32 v11, v5
	v_pk_mul_f32 v[4:5], v[6:7], v[2:3] op_sel:[0,1]
	s_delay_alu instid0(VALU_DEP_1) | instskip(SKIP_1) | instid1(VALU_DEP_1)
	v_pk_fma_f32 v[8:9], v[6:7], v[0:1], v[4:5] op_sel:[0,0,1] op_sel_hi:[1,1,0] neg_lo:[0,0,1] neg_hi:[0,0,1]
	v_pk_fma_f32 v[4:5], v[6:7], v[0:1], v[4:5] op_sel:[0,0,1] op_sel_hi:[1,0,0]
	v_mov_b32_e32 v9, v5
	ds_load_2addr_b64 v[4:7], v104 offset0:43 offset1:44
	v_pk_add_f32 v[176:177], v[176:177], v[10:11] neg_lo:[0,1] neg_hi:[0,1]
	v_pk_add_f32 v[178:179], v[178:179], v[8:9] neg_lo:[0,1] neg_hi:[0,1]
	s_wait_dscnt 0x0
	v_dual_mul_f32 v8, v5, v3 :: v_dual_mul_f32 v10, v5, v0
	s_delay_alu instid0(VALU_DEP_1) | instskip(NEXT) | instid1(VALU_DEP_2)
	v_pk_fma_f32 v[8:9], v[4:5], v[56:57], v[8:9] op_sel_hi:[1,1,0] neg_lo:[0,0,1] neg_hi:[0,0,1]
	v_pk_fma_f32 v[4:5], v[4:5], v[56:57], v[10:11] op_sel:[1,0,0] op_sel_hi:[0,1,0]
	s_delay_alu instid0(VALU_DEP_1) | instskip(SKIP_1) | instid1(VALU_DEP_2)
	v_mov_b32_e32 v9, v5
	v_pk_mul_f32 v[4:5], v[6:7], v[2:3] op_sel:[0,1]
	v_pk_add_f32 v[174:175], v[174:175], v[8:9] neg_lo:[0,1] neg_hi:[0,1]
	s_delay_alu instid0(VALU_DEP_2) | instskip(SKIP_1) | instid1(VALU_DEP_1)
	v_pk_fma_f32 v[8:9], v[6:7], v[0:1], v[4:5] op_sel:[0,0,1] op_sel_hi:[1,1,0] neg_lo:[0,0,1] neg_hi:[0,0,1]
	v_pk_fma_f32 v[4:5], v[6:7], v[0:1], v[4:5] op_sel:[0,0,1] op_sel_hi:[1,0,0]
	v_mov_b32_e32 v9, v5
	ds_load_2addr_b64 v[4:7], v104 offset0:45 offset1:46
	v_pk_add_f32 v[200:201], v[200:201], v[8:9] neg_lo:[0,1] neg_hi:[0,1]
	s_wait_dscnt 0x0
	v_pk_mul_f32 v[8:9], v[4:5], v[2:3] op_sel:[0,1]
	s_delay_alu instid0(VALU_DEP_1) | instskip(SKIP_1) | instid1(VALU_DEP_1)
	v_pk_fma_f32 v[10:11], v[4:5], v[0:1], v[8:9] op_sel:[0,0,1] op_sel_hi:[1,1,0] neg_lo:[0,0,1] neg_hi:[0,0,1]
	v_pk_fma_f32 v[4:5], v[4:5], v[0:1], v[8:9] op_sel:[0,0,1] op_sel_hi:[1,0,0]
	v_mov_b32_e32 v11, v5
	v_pk_mul_f32 v[4:5], v[6:7], v[2:3] op_sel:[0,1]
	s_delay_alu instid0(VALU_DEP_2) | instskip(NEXT) | instid1(VALU_DEP_2)
	v_pk_add_f32 v[194:195], v[194:195], v[10:11] neg_lo:[0,1] neg_hi:[0,1]
	v_pk_fma_f32 v[8:9], v[6:7], v[0:1], v[4:5] op_sel:[0,0,1] op_sel_hi:[1,1,0] neg_lo:[0,0,1] neg_hi:[0,0,1]
	v_pk_fma_f32 v[4:5], v[6:7], v[0:1], v[4:5] op_sel:[0,0,1] op_sel_hi:[1,0,0]
	s_delay_alu instid0(VALU_DEP_1) | instskip(SKIP_4) | instid1(VALU_DEP_1)
	v_mov_b32_e32 v9, v5
	ds_load_2addr_b64 v[4:7], v104 offset0:47 offset1:48
	v_pk_add_f32 v[198:199], v[198:199], v[8:9] neg_lo:[0,1] neg_hi:[0,1]
	s_wait_dscnt 0x0
	v_pk_mul_f32 v[8:9], v[4:5], v[2:3] op_sel:[0,1]
	v_pk_fma_f32 v[10:11], v[4:5], v[0:1], v[8:9] op_sel:[0,0,1] op_sel_hi:[1,1,0] neg_lo:[0,0,1] neg_hi:[0,0,1]
	v_pk_fma_f32 v[4:5], v[4:5], v[0:1], v[8:9] op_sel:[0,0,1] op_sel_hi:[1,0,0]
	v_dual_mul_f32 v8, v7, v3 :: v_dual_mov_b32 v4, v7
	s_delay_alu instid0(VALU_DEP_2) | instskip(NEXT) | instid1(VALU_DEP_2)
	v_dual_mov_b32 v11, v5 :: v_dual_mov_b32 v5, v6
	v_pk_fma_f32 v[8:9], v[6:7], v[56:57], v[8:9] op_sel_hi:[1,1,0] neg_lo:[0,0,1] neg_hi:[0,0,1]
	v_mul_f32_e32 v6, v7, v0
	s_delay_alu instid0(VALU_DEP_3) | instskip(NEXT) | instid1(VALU_DEP_2)
	v_pk_add_f32 v[192:193], v[192:193], v[10:11] neg_lo:[0,1] neg_hi:[0,1]
	v_pk_fma_f32 v[4:5], v[4:5], v[56:57], v[6:7] op_sel_hi:[1,1,0]
	s_delay_alu instid0(VALU_DEP_1)
	v_mov_b32_e32 v9, v5
	ds_load_2addr_b64 v[4:7], v104 offset0:49 offset1:50
	v_pk_add_f32 v[196:197], v[196:197], v[8:9] neg_lo:[0,1] neg_hi:[0,1]
	s_wait_dscnt 0x0
	v_pk_mul_f32 v[8:9], v[4:5], v[2:3] op_sel:[0,1]
	v_mul_f32_e32 v2, v7, v3
	s_delay_alu instid0(VALU_DEP_2) | instskip(SKIP_2) | instid1(VALU_DEP_4)
	v_pk_fma_f32 v[10:11], v[4:5], v[0:1], v[8:9] op_sel:[0,0,1] op_sel_hi:[1,1,0] neg_lo:[0,0,1] neg_hi:[0,0,1]
	v_pk_fma_f32 v[4:5], v[4:5], v[0:1], v[8:9] op_sel:[0,0,1] op_sel_hi:[1,0,0]
	v_dual_mov_b32 v4, v7 :: v_dual_mul_f32 v0, v7, v0
	v_pk_fma_f32 v[2:3], v[6:7], v[56:57], v[2:3] op_sel_hi:[1,1,0] neg_lo:[0,0,1] neg_hi:[0,0,1]
	s_delay_alu instid0(VALU_DEP_3) | instskip(NEXT) | instid1(VALU_DEP_1)
	v_dual_mov_b32 v11, v5 :: v_dual_mov_b32 v5, v6
	v_pk_add_f32 v[202:203], v[202:203], v[10:11] neg_lo:[0,1] neg_hi:[0,1]
	s_delay_alu instid0(VALU_DEP_2) | instskip(NEXT) | instid1(VALU_DEP_1)
	v_pk_fma_f32 v[0:1], v[4:5], v[56:57], v[0:1] op_sel_hi:[1,1,0]
	v_mov_b32_e32 v3, v1
	s_delay_alu instid0(VALU_DEP_1)
	v_pk_add_f32 v[204:205], v[204:205], v[2:3] neg_lo:[0,1] neg_hi:[0,1]
.LBB101_136:
	s_wait_xcnt 0x0
	s_or_b32 exec_lo, exec_lo, s1
	s_delay_alu instid0(SALU_CYCLE_1)
	s_mov_b32 s2, exec_lo
	s_wait_storecnt 0x0
	s_barrier_signal -1
	s_barrier_wait -1
	v_cmpx_eq_u32_e32 15, v102
	s_cbranch_execz .LBB101_143
; %bb.137:
	v_dual_mov_b32 v0, v76 :: v_dual_mov_b32 v1, v77
	v_dual_mov_b32 v2, v72 :: v_dual_mov_b32 v3, v73
	ds_store_b64 v103, v[52:53]
	ds_store_2addr_b64 v104, v[0:1], v[2:3] offset0:16 offset1:17
	v_dual_mov_b32 v0, v74 :: v_dual_mov_b32 v1, v75
	v_dual_mov_b32 v2, v70 :: v_dual_mov_b32 v3, v71
	ds_store_2addr_b64 v104, v[0:1], v[2:3] offset0:18 offset1:19
	v_dual_mov_b32 v0, v94 :: v_dual_mov_b32 v1, v95
	v_dual_mov_b32 v2, v90 :: v_dual_mov_b32 v3, v91
	;; [unrolled: 3-line block ×16, first 2 shown]
	ds_store_2addr_b64 v104, v[0:1], v[2:3] offset0:48 offset1:49
	ds_store_b64 v104, v[204:205] offset:400
	ds_load_b64 v[0:1], v103
	s_wait_dscnt 0x0
	v_cmp_neq_f32_e32 vcc_lo, 0, v0
	v_cmp_neq_f32_e64 s1, 0, v1
	s_or_b32 s1, vcc_lo, s1
	s_delay_alu instid0(SALU_CYCLE_1)
	s_and_b32 exec_lo, exec_lo, s1
	s_cbranch_execz .LBB101_143
; %bb.138:
	v_cmp_ngt_f32_e64 s1, |v0|, |v1|
                                        ; implicit-def: $vgpr2_vgpr3
	s_and_saveexec_b32 s4, s1
	s_delay_alu instid0(SALU_CYCLE_1)
	s_xor_b32 s1, exec_lo, s4
	s_cbranch_execz .LBB101_140
; %bb.139:
	v_div_scale_f32 v2, null, v1, v1, v0
	v_div_scale_f32 v5, vcc_lo, v0, v1, v0
	s_delay_alu instid0(VALU_DEP_2) | instskip(SKIP_1) | instid1(TRANS32_DEP_1)
	v_rcp_f32_e32 v3, v2
	v_nop
	v_fma_f32 v4, -v2, v3, 1.0
	s_delay_alu instid0(VALU_DEP_1) | instskip(NEXT) | instid1(VALU_DEP_1)
	v_fmac_f32_e32 v3, v4, v3
	v_mul_f32_e32 v4, v5, v3
	s_delay_alu instid0(VALU_DEP_1) | instskip(NEXT) | instid1(VALU_DEP_1)
	v_fma_f32 v6, -v2, v4, v5
	v_fmac_f32_e32 v4, v6, v3
	s_delay_alu instid0(VALU_DEP_1) | instskip(NEXT) | instid1(VALU_DEP_1)
	v_fma_f32 v2, -v2, v4, v5
	v_div_fmas_f32 v2, v2, v3, v4
	s_delay_alu instid0(VALU_DEP_1) | instskip(NEXT) | instid1(VALU_DEP_1)
	v_div_fixup_f32 v2, v2, v1, v0
	v_fmac_f32_e32 v1, v0, v2
	s_delay_alu instid0(VALU_DEP_1) | instskip(SKIP_1) | instid1(VALU_DEP_2)
	v_div_scale_f32 v0, null, v1, v1, 1.0
	v_div_scale_f32 v5, vcc_lo, 1.0, v1, 1.0
	v_rcp_f32_e32 v3, v0
	v_nop
	s_delay_alu instid0(TRANS32_DEP_1) | instskip(NEXT) | instid1(VALU_DEP_1)
	v_fma_f32 v4, -v0, v3, 1.0
	v_fmac_f32_e32 v3, v4, v3
	s_delay_alu instid0(VALU_DEP_1) | instskip(NEXT) | instid1(VALU_DEP_1)
	v_mul_f32_e32 v4, v5, v3
	v_fma_f32 v6, -v0, v4, v5
	s_delay_alu instid0(VALU_DEP_1) | instskip(NEXT) | instid1(VALU_DEP_1)
	v_fmac_f32_e32 v4, v6, v3
	v_fma_f32 v0, -v0, v4, v5
	s_delay_alu instid0(VALU_DEP_1) | instskip(NEXT) | instid1(VALU_DEP_1)
	v_div_fmas_f32 v0, v0, v3, v4
	v_div_fixup_f32 v0, v0, v1, 1.0
	s_delay_alu instid0(VALU_DEP_1)
	v_mul_f32_e32 v2, v2, v0
	v_xor_b32_e32 v3, 0x80000000, v0
                                        ; implicit-def: $vgpr0_vgpr1
.LBB101_140:
	s_and_not1_saveexec_b32 s1, s1
	s_cbranch_execz .LBB101_142
; %bb.141:
	v_div_scale_f32 v2, null, v0, v0, v1
	v_div_scale_f32 v5, vcc_lo, v1, v0, v1
	s_delay_alu instid0(VALU_DEP_2) | instskip(SKIP_1) | instid1(TRANS32_DEP_1)
	v_rcp_f32_e32 v3, v2
	v_nop
	v_fma_f32 v4, -v2, v3, 1.0
	s_delay_alu instid0(VALU_DEP_1) | instskip(NEXT) | instid1(VALU_DEP_1)
	v_fmac_f32_e32 v3, v4, v3
	v_mul_f32_e32 v4, v5, v3
	s_delay_alu instid0(VALU_DEP_1) | instskip(NEXT) | instid1(VALU_DEP_1)
	v_fma_f32 v6, -v2, v4, v5
	v_fmac_f32_e32 v4, v6, v3
	s_delay_alu instid0(VALU_DEP_1) | instskip(NEXT) | instid1(VALU_DEP_1)
	v_fma_f32 v2, -v2, v4, v5
	v_div_fmas_f32 v2, v2, v3, v4
	s_delay_alu instid0(VALU_DEP_1) | instskip(NEXT) | instid1(VALU_DEP_1)
	v_div_fixup_f32 v3, v2, v0, v1
	v_fmac_f32_e32 v0, v1, v3
	s_delay_alu instid0(VALU_DEP_1) | instskip(NEXT) | instid1(VALU_DEP_1)
	v_div_scale_f32 v1, null, v0, v0, 1.0
	v_rcp_f32_e32 v2, v1
	v_nop
	s_delay_alu instid0(TRANS32_DEP_1) | instskip(NEXT) | instid1(VALU_DEP_1)
	v_fma_f32 v4, -v1, v2, 1.0
	v_fmac_f32_e32 v2, v4, v2
	v_div_scale_f32 v4, vcc_lo, 1.0, v0, 1.0
	s_delay_alu instid0(VALU_DEP_1) | instskip(NEXT) | instid1(VALU_DEP_1)
	v_mul_f32_e32 v5, v4, v2
	v_fma_f32 v6, -v1, v5, v4
	s_delay_alu instid0(VALU_DEP_1) | instskip(NEXT) | instid1(VALU_DEP_1)
	v_fmac_f32_e32 v5, v6, v2
	v_fma_f32 v1, -v1, v5, v4
	s_delay_alu instid0(VALU_DEP_1) | instskip(NEXT) | instid1(VALU_DEP_1)
	v_div_fmas_f32 v1, v1, v2, v5
	v_div_fixup_f32 v2, v1, v0, 1.0
	s_delay_alu instid0(VALU_DEP_1)
	v_mul_f32_e64 v3, v3, -v2
.LBB101_142:
	s_or_b32 exec_lo, exec_lo, s1
	ds_store_b64 v103, v[2:3]
.LBB101_143:
	s_or_b32 exec_lo, exec_lo, s2
	s_wait_dscnt 0x0
	s_barrier_signal -1
	s_barrier_wait -1
	ds_load_b64 v[0:1], v103
	s_mov_b32 s1, exec_lo
	s_wait_dscnt 0x0
	scratch_store_b64 off, v[0:1], off offset:168 ; 8-byte Folded Spill
	s_wait_xcnt 0x0
	v_cmpx_lt_u32_e32 15, v102
	s_cbranch_execz .LBB101_145
; %bb.144:
	scratch_load_b64 v[4:5], off, off offset:168 ; 8-byte Folded Reload
	s_wait_loadcnt 0x0
	v_pk_mul_f32 v[2:3], v[4:5], v[52:53] op_sel:[1,1] op_sel_hi:[0,1]
	s_delay_alu instid0(VALU_DEP_1)
	v_pk_fma_f32 v[0:1], v[4:5], v[52:53], v[2:3] op_sel_hi:[1,0,1] neg_lo:[0,0,1] neg_hi:[0,0,1]
	v_pk_fma_f32 v[2:3], v[4:5], v[52:53], v[2:3] op_sel_hi:[1,0,1]
	ds_load_2addr_b64 v[4:7], v104 offset0:16 offset1:17
	v_dual_mov_b32 v52, v0 :: v_dual_mov_b32 v53, v3
	s_wait_dscnt 0x0
	v_pk_mul_f32 v[8:9], v[4:5], v[2:3] op_sel:[0,1]
	s_delay_alu instid0(VALU_DEP_1) | instskip(SKIP_1) | instid1(VALU_DEP_1)
	v_pk_fma_f32 v[10:11], v[4:5], v[0:1], v[8:9] op_sel:[0,0,1] op_sel_hi:[1,1,0] neg_lo:[0,0,1] neg_hi:[0,0,1]
	v_pk_fma_f32 v[4:5], v[4:5], v[0:1], v[8:9] op_sel:[0,0,1] op_sel_hi:[1,0,0]
	v_mov_b32_e32 v11, v5
	v_pk_mul_f32 v[4:5], v[6:7], v[2:3] op_sel:[0,1]
	s_delay_alu instid0(VALU_DEP_1) | instskip(SKIP_1) | instid1(VALU_DEP_1)
	v_pk_fma_f32 v[8:9], v[6:7], v[0:1], v[4:5] op_sel:[0,0,1] op_sel_hi:[1,1,0] neg_lo:[0,0,1] neg_hi:[0,0,1]
	v_pk_fma_f32 v[4:5], v[6:7], v[0:1], v[4:5] op_sel:[0,0,1] op_sel_hi:[1,0,0]
	v_mov_b32_e32 v9, v5
	ds_load_2addr_b64 v[4:7], v104 offset0:18 offset1:19
	v_pk_add_f32 v[76:77], v[76:77], v[10:11] neg_lo:[0,1] neg_hi:[0,1]
	v_pk_add_f32 v[72:73], v[72:73], v[8:9] neg_lo:[0,1] neg_hi:[0,1]
	s_wait_dscnt 0x0
	v_pk_mul_f32 v[8:9], v[4:5], v[2:3] op_sel:[0,1]
	s_delay_alu instid0(VALU_DEP_1) | instskip(SKIP_2) | instid1(VALU_DEP_2)
	v_pk_fma_f32 v[10:11], v[4:5], v[0:1], v[8:9] op_sel:[0,0,1] op_sel_hi:[1,1,0] neg_lo:[0,0,1] neg_hi:[0,0,1]
	v_pk_fma_f32 v[4:5], v[4:5], v[0:1], v[8:9] op_sel:[0,0,1] op_sel_hi:[1,0,0]
	v_dual_mul_f32 v8, v7, v3 :: v_dual_mov_b32 v4, v7
	v_dual_mov_b32 v11, v5 :: v_dual_mov_b32 v5, v6
	s_delay_alu instid0(VALU_DEP_2) | instskip(SKIP_1) | instid1(VALU_DEP_3)
	v_pk_fma_f32 v[8:9], v[6:7], v[52:53], v[8:9] op_sel_hi:[1,1,0] neg_lo:[0,0,1] neg_hi:[0,0,1]
	v_mul_f32_e32 v6, v7, v0
	v_pk_add_f32 v[74:75], v[74:75], v[10:11] neg_lo:[0,1] neg_hi:[0,1]
	s_delay_alu instid0(VALU_DEP_2) | instskip(NEXT) | instid1(VALU_DEP_1)
	v_pk_fma_f32 v[4:5], v[4:5], v[52:53], v[6:7] op_sel_hi:[1,1,0]
	v_mov_b32_e32 v9, v5
	ds_load_2addr_b64 v[4:7], v104 offset0:20 offset1:21
	v_pk_add_f32 v[70:71], v[70:71], v[8:9] neg_lo:[0,1] neg_hi:[0,1]
	s_wait_dscnt 0x0
	v_pk_mul_f32 v[8:9], v[4:5], v[2:3] op_sel:[0,1]
	s_delay_alu instid0(VALU_DEP_1) | instskip(SKIP_1) | instid1(VALU_DEP_1)
	v_pk_fma_f32 v[10:11], v[4:5], v[0:1], v[8:9] op_sel:[0,0,1] op_sel_hi:[1,1,0] neg_lo:[0,0,1] neg_hi:[0,0,1]
	v_pk_fma_f32 v[4:5], v[4:5], v[0:1], v[8:9] op_sel:[0,0,1] op_sel_hi:[1,0,0]
	v_mov_b32_e32 v11, v5
	v_pk_mul_f32 v[4:5], v[6:7], v[2:3] op_sel:[0,1]
	s_delay_alu instid0(VALU_DEP_1) | instskip(SKIP_1) | instid1(VALU_DEP_1)
	v_pk_fma_f32 v[8:9], v[6:7], v[0:1], v[4:5] op_sel:[0,0,1] op_sel_hi:[1,1,0] neg_lo:[0,0,1] neg_hi:[0,0,1]
	v_pk_fma_f32 v[4:5], v[6:7], v[0:1], v[4:5] op_sel:[0,0,1] op_sel_hi:[1,0,0]
	v_mov_b32_e32 v9, v5
	ds_load_2addr_b64 v[4:7], v104 offset0:22 offset1:23
	v_pk_add_f32 v[94:95], v[94:95], v[10:11] neg_lo:[0,1] neg_hi:[0,1]
	v_pk_add_f32 v[90:91], v[90:91], v[8:9] neg_lo:[0,1] neg_hi:[0,1]
	s_wait_dscnt 0x0
	v_pk_mul_f32 v[8:9], v[4:5], v[2:3] op_sel:[0,1]
	s_delay_alu instid0(VALU_DEP_1) | instskip(SKIP_1) | instid1(VALU_DEP_1)
	v_pk_fma_f32 v[10:11], v[4:5], v[0:1], v[8:9] op_sel:[0,0,1] op_sel_hi:[1,1,0] neg_lo:[0,0,1] neg_hi:[0,0,1]
	v_pk_fma_f32 v[4:5], v[4:5], v[0:1], v[8:9] op_sel:[0,0,1] op_sel_hi:[1,0,0]
	v_mov_b32_e32 v11, v5
	v_pk_mul_f32 v[4:5], v[6:7], v[2:3] op_sel:[0,1]
	s_delay_alu instid0(VALU_DEP_1) | instskip(SKIP_1) | instid1(VALU_DEP_1)
	v_pk_fma_f32 v[8:9], v[6:7], v[0:1], v[4:5] op_sel:[0,0,1] op_sel_hi:[1,1,0] neg_lo:[0,0,1] neg_hi:[0,0,1]
	v_pk_fma_f32 v[4:5], v[6:7], v[0:1], v[4:5] op_sel:[0,0,1] op_sel_hi:[1,0,0]
	v_mov_b32_e32 v9, v5
	ds_load_2addr_b64 v[4:7], v104 offset0:24 offset1:25
	v_pk_add_f32 v[92:93], v[92:93], v[10:11] neg_lo:[0,1] neg_hi:[0,1]
	v_pk_add_f32 v[88:89], v[88:89], v[8:9] neg_lo:[0,1] neg_hi:[0,1]
	s_wait_dscnt 0x0
	v_dual_mul_f32 v8, v5, v3 :: v_dual_mul_f32 v10, v5, v0
	s_delay_alu instid0(VALU_DEP_1) | instskip(NEXT) | instid1(VALU_DEP_2)
	v_pk_fma_f32 v[8:9], v[4:5], v[52:53], v[8:9] op_sel_hi:[1,1,0] neg_lo:[0,0,1] neg_hi:[0,0,1]
	v_pk_fma_f32 v[4:5], v[4:5], v[52:53], v[10:11] op_sel:[1,0,0] op_sel_hi:[0,1,0]
	s_delay_alu instid0(VALU_DEP_1) | instskip(SKIP_1) | instid1(VALU_DEP_2)
	v_mov_b32_e32 v9, v5
	v_pk_mul_f32 v[4:5], v[6:7], v[2:3] op_sel:[0,1]
	v_pk_add_f32 v[112:113], v[112:113], v[8:9] neg_lo:[0,1] neg_hi:[0,1]
	s_delay_alu instid0(VALU_DEP_2) | instskip(SKIP_1) | instid1(VALU_DEP_1)
	v_pk_fma_f32 v[8:9], v[6:7], v[0:1], v[4:5] op_sel:[0,0,1] op_sel_hi:[1,1,0] neg_lo:[0,0,1] neg_hi:[0,0,1]
	v_pk_fma_f32 v[4:5], v[6:7], v[0:1], v[4:5] op_sel:[0,0,1] op_sel_hi:[1,0,0]
	v_mov_b32_e32 v9, v5
	ds_load_2addr_b64 v[4:7], v104 offset0:26 offset1:27
	v_pk_add_f32 v[108:109], v[108:109], v[8:9] neg_lo:[0,1] neg_hi:[0,1]
	s_wait_dscnt 0x0
	v_pk_mul_f32 v[8:9], v[4:5], v[2:3] op_sel:[0,1]
	s_delay_alu instid0(VALU_DEP_1) | instskip(SKIP_1) | instid1(VALU_DEP_1)
	v_pk_fma_f32 v[10:11], v[4:5], v[0:1], v[8:9] op_sel:[0,0,1] op_sel_hi:[1,1,0] neg_lo:[0,0,1] neg_hi:[0,0,1]
	v_pk_fma_f32 v[4:5], v[4:5], v[0:1], v[8:9] op_sel:[0,0,1] op_sel_hi:[1,0,0]
	v_mov_b32_e32 v11, v5
	v_pk_mul_f32 v[4:5], v[6:7], v[2:3] op_sel:[0,1]
	s_delay_alu instid0(VALU_DEP_2) | instskip(NEXT) | instid1(VALU_DEP_2)
	v_pk_add_f32 v[110:111], v[110:111], v[10:11] neg_lo:[0,1] neg_hi:[0,1]
	v_pk_fma_f32 v[8:9], v[6:7], v[0:1], v[4:5] op_sel:[0,0,1] op_sel_hi:[1,1,0] neg_lo:[0,0,1] neg_hi:[0,0,1]
	v_pk_fma_f32 v[4:5], v[6:7], v[0:1], v[4:5] op_sel:[0,0,1] op_sel_hi:[1,0,0]
	s_delay_alu instid0(VALU_DEP_1) | instskip(SKIP_4) | instid1(VALU_DEP_1)
	v_mov_b32_e32 v9, v5
	ds_load_2addr_b64 v[4:7], v104 offset0:28 offset1:29
	v_pk_add_f32 v[106:107], v[106:107], v[8:9] neg_lo:[0,1] neg_hi:[0,1]
	s_wait_dscnt 0x0
	v_pk_mul_f32 v[8:9], v[4:5], v[2:3] op_sel:[0,1]
	v_pk_fma_f32 v[10:11], v[4:5], v[0:1], v[8:9] op_sel:[0,0,1] op_sel_hi:[1,1,0] neg_lo:[0,0,1] neg_hi:[0,0,1]
	v_pk_fma_f32 v[4:5], v[4:5], v[0:1], v[8:9] op_sel:[0,0,1] op_sel_hi:[1,0,0]
	v_dual_mul_f32 v8, v7, v3 :: v_dual_mov_b32 v4, v7
	s_delay_alu instid0(VALU_DEP_2) | instskip(NEXT) | instid1(VALU_DEP_2)
	v_dual_mov_b32 v11, v5 :: v_dual_mov_b32 v5, v6
	v_pk_fma_f32 v[8:9], v[6:7], v[52:53], v[8:9] op_sel_hi:[1,1,0] neg_lo:[0,0,1] neg_hi:[0,0,1]
	v_mul_f32_e32 v6, v7, v0
	s_delay_alu instid0(VALU_DEP_3) | instskip(NEXT) | instid1(VALU_DEP_2)
	v_pk_add_f32 v[128:129], v[128:129], v[10:11] neg_lo:[0,1] neg_hi:[0,1]
	v_pk_fma_f32 v[4:5], v[4:5], v[52:53], v[6:7] op_sel_hi:[1,1,0]
	s_delay_alu instid0(VALU_DEP_1) | instskip(SKIP_4) | instid1(VALU_DEP_1)
	v_mov_b32_e32 v9, v5
	ds_load_2addr_b64 v[4:7], v104 offset0:30 offset1:31
	v_pk_add_f32 v[124:125], v[124:125], v[8:9] neg_lo:[0,1] neg_hi:[0,1]
	s_wait_dscnt 0x0
	v_pk_mul_f32 v[8:9], v[4:5], v[2:3] op_sel:[0,1]
	v_pk_fma_f32 v[10:11], v[4:5], v[0:1], v[8:9] op_sel:[0,0,1] op_sel_hi:[1,1,0] neg_lo:[0,0,1] neg_hi:[0,0,1]
	v_pk_fma_f32 v[4:5], v[4:5], v[0:1], v[8:9] op_sel:[0,0,1] op_sel_hi:[1,0,0]
	s_delay_alu instid0(VALU_DEP_1) | instskip(SKIP_1) | instid1(VALU_DEP_1)
	v_mov_b32_e32 v11, v5
	v_pk_mul_f32 v[4:5], v[6:7], v[2:3] op_sel:[0,1]
	v_pk_fma_f32 v[8:9], v[6:7], v[0:1], v[4:5] op_sel:[0,0,1] op_sel_hi:[1,1,0] neg_lo:[0,0,1] neg_hi:[0,0,1]
	v_pk_fma_f32 v[4:5], v[6:7], v[0:1], v[4:5] op_sel:[0,0,1] op_sel_hi:[1,0,0]
	s_delay_alu instid0(VALU_DEP_1)
	v_mov_b32_e32 v9, v5
	ds_load_2addr_b64 v[4:7], v104 offset0:32 offset1:33
	v_pk_add_f32 v[126:127], v[126:127], v[10:11] neg_lo:[0,1] neg_hi:[0,1]
	v_pk_add_f32 v[122:123], v[122:123], v[8:9] neg_lo:[0,1] neg_hi:[0,1]
	s_wait_dscnt 0x0
	v_pk_mul_f32 v[8:9], v[4:5], v[2:3] op_sel:[0,1]
	s_delay_alu instid0(VALU_DEP_1) | instskip(SKIP_1) | instid1(VALU_DEP_1)
	v_pk_fma_f32 v[10:11], v[4:5], v[0:1], v[8:9] op_sel:[0,0,1] op_sel_hi:[1,1,0] neg_lo:[0,0,1] neg_hi:[0,0,1]
	v_pk_fma_f32 v[4:5], v[4:5], v[0:1], v[8:9] op_sel:[0,0,1] op_sel_hi:[1,0,0]
	v_mov_b32_e32 v11, v5
	v_pk_mul_f32 v[4:5], v[6:7], v[2:3] op_sel:[0,1]
	s_delay_alu instid0(VALU_DEP_1) | instskip(SKIP_1) | instid1(VALU_DEP_1)
	v_pk_fma_f32 v[8:9], v[6:7], v[0:1], v[4:5] op_sel:[0,0,1] op_sel_hi:[1,1,0] neg_lo:[0,0,1] neg_hi:[0,0,1]
	v_pk_fma_f32 v[4:5], v[6:7], v[0:1], v[4:5] op_sel:[0,0,1] op_sel_hi:[1,0,0]
	v_mov_b32_e32 v9, v5
	ds_load_2addr_b64 v[4:7], v104 offset0:34 offset1:35
	v_pk_add_f32 v[146:147], v[146:147], v[10:11] neg_lo:[0,1] neg_hi:[0,1]
	v_pk_add_f32 v[142:143], v[142:143], v[8:9] neg_lo:[0,1] neg_hi:[0,1]
	s_wait_dscnt 0x0
	v_dual_mul_f32 v8, v5, v3 :: v_dual_mul_f32 v10, v5, v0
	s_delay_alu instid0(VALU_DEP_1) | instskip(NEXT) | instid1(VALU_DEP_2)
	v_pk_fma_f32 v[8:9], v[4:5], v[52:53], v[8:9] op_sel_hi:[1,1,0] neg_lo:[0,0,1] neg_hi:[0,0,1]
	v_pk_fma_f32 v[4:5], v[4:5], v[52:53], v[10:11] op_sel:[1,0,0] op_sel_hi:[0,1,0]
	s_delay_alu instid0(VALU_DEP_1) | instskip(SKIP_1) | instid1(VALU_DEP_2)
	v_mov_b32_e32 v9, v5
	v_pk_mul_f32 v[4:5], v[6:7], v[2:3] op_sel:[0,1]
	v_pk_add_f32 v[144:145], v[144:145], v[8:9] neg_lo:[0,1] neg_hi:[0,1]
	s_delay_alu instid0(VALU_DEP_2) | instskip(SKIP_1) | instid1(VALU_DEP_1)
	v_pk_fma_f32 v[8:9], v[6:7], v[0:1], v[4:5] op_sel:[0,0,1] op_sel_hi:[1,1,0] neg_lo:[0,0,1] neg_hi:[0,0,1]
	v_pk_fma_f32 v[4:5], v[6:7], v[0:1], v[4:5] op_sel:[0,0,1] op_sel_hi:[1,0,0]
	v_mov_b32_e32 v9, v5
	ds_load_2addr_b64 v[4:7], v104 offset0:36 offset1:37
	v_pk_add_f32 v[140:141], v[140:141], v[8:9] neg_lo:[0,1] neg_hi:[0,1]
	s_wait_dscnt 0x0
	v_pk_mul_f32 v[8:9], v[4:5], v[2:3] op_sel:[0,1]
	s_delay_alu instid0(VALU_DEP_1) | instskip(SKIP_1) | instid1(VALU_DEP_1)
	v_pk_fma_f32 v[10:11], v[4:5], v[0:1], v[8:9] op_sel:[0,0,1] op_sel_hi:[1,1,0] neg_lo:[0,0,1] neg_hi:[0,0,1]
	v_pk_fma_f32 v[4:5], v[4:5], v[0:1], v[8:9] op_sel:[0,0,1] op_sel_hi:[1,0,0]
	v_mov_b32_e32 v11, v5
	v_pk_mul_f32 v[4:5], v[6:7], v[2:3] op_sel:[0,1]
	s_delay_alu instid0(VALU_DEP_2) | instskip(NEXT) | instid1(VALU_DEP_2)
	v_pk_add_f32 v[162:163], v[162:163], v[10:11] neg_lo:[0,1] neg_hi:[0,1]
	v_pk_fma_f32 v[8:9], v[6:7], v[0:1], v[4:5] op_sel:[0,0,1] op_sel_hi:[1,1,0] neg_lo:[0,0,1] neg_hi:[0,0,1]
	v_pk_fma_f32 v[4:5], v[6:7], v[0:1], v[4:5] op_sel:[0,0,1] op_sel_hi:[1,0,0]
	s_delay_alu instid0(VALU_DEP_1) | instskip(SKIP_4) | instid1(VALU_DEP_1)
	v_mov_b32_e32 v9, v5
	ds_load_2addr_b64 v[4:7], v104 offset0:38 offset1:39
	v_pk_add_f32 v[158:159], v[158:159], v[8:9] neg_lo:[0,1] neg_hi:[0,1]
	s_wait_dscnt 0x0
	v_pk_mul_f32 v[8:9], v[4:5], v[2:3] op_sel:[0,1]
	v_pk_fma_f32 v[10:11], v[4:5], v[0:1], v[8:9] op_sel:[0,0,1] op_sel_hi:[1,1,0] neg_lo:[0,0,1] neg_hi:[0,0,1]
	v_pk_fma_f32 v[4:5], v[4:5], v[0:1], v[8:9] op_sel:[0,0,1] op_sel_hi:[1,0,0]
	v_dual_mul_f32 v8, v7, v3 :: v_dual_mov_b32 v4, v7
	s_delay_alu instid0(VALU_DEP_2) | instskip(NEXT) | instid1(VALU_DEP_2)
	v_dual_mov_b32 v11, v5 :: v_dual_mov_b32 v5, v6
	v_pk_fma_f32 v[8:9], v[6:7], v[52:53], v[8:9] op_sel_hi:[1,1,0] neg_lo:[0,0,1] neg_hi:[0,0,1]
	v_mul_f32_e32 v6, v7, v0
	s_delay_alu instid0(VALU_DEP_3) | instskip(NEXT) | instid1(VALU_DEP_2)
	v_pk_add_f32 v[160:161], v[160:161], v[10:11] neg_lo:[0,1] neg_hi:[0,1]
	v_pk_fma_f32 v[4:5], v[4:5], v[52:53], v[6:7] op_sel_hi:[1,1,0]
	s_delay_alu instid0(VALU_DEP_1) | instskip(SKIP_4) | instid1(VALU_DEP_1)
	v_mov_b32_e32 v9, v5
	ds_load_2addr_b64 v[4:7], v104 offset0:40 offset1:41
	v_pk_add_f32 v[156:157], v[156:157], v[8:9] neg_lo:[0,1] neg_hi:[0,1]
	s_wait_dscnt 0x0
	v_pk_mul_f32 v[8:9], v[4:5], v[2:3] op_sel:[0,1]
	v_pk_fma_f32 v[10:11], v[4:5], v[0:1], v[8:9] op_sel:[0,0,1] op_sel_hi:[1,1,0] neg_lo:[0,0,1] neg_hi:[0,0,1]
	v_pk_fma_f32 v[4:5], v[4:5], v[0:1], v[8:9] op_sel:[0,0,1] op_sel_hi:[1,0,0]
	s_delay_alu instid0(VALU_DEP_1) | instskip(SKIP_1) | instid1(VALU_DEP_1)
	v_mov_b32_e32 v11, v5
	v_pk_mul_f32 v[4:5], v[6:7], v[2:3] op_sel:[0,1]
	v_pk_fma_f32 v[8:9], v[6:7], v[0:1], v[4:5] op_sel:[0,0,1] op_sel_hi:[1,1,0] neg_lo:[0,0,1] neg_hi:[0,0,1]
	v_pk_fma_f32 v[4:5], v[6:7], v[0:1], v[4:5] op_sel:[0,0,1] op_sel_hi:[1,0,0]
	s_delay_alu instid0(VALU_DEP_1)
	v_mov_b32_e32 v9, v5
	ds_load_2addr_b64 v[4:7], v104 offset0:42 offset1:43
	v_pk_add_f32 v[180:181], v[180:181], v[10:11] neg_lo:[0,1] neg_hi:[0,1]
	v_pk_add_f32 v[176:177], v[176:177], v[8:9] neg_lo:[0,1] neg_hi:[0,1]
	s_wait_dscnt 0x0
	v_pk_mul_f32 v[8:9], v[4:5], v[2:3] op_sel:[0,1]
	s_delay_alu instid0(VALU_DEP_1) | instskip(SKIP_1) | instid1(VALU_DEP_1)
	v_pk_fma_f32 v[10:11], v[4:5], v[0:1], v[8:9] op_sel:[0,0,1] op_sel_hi:[1,1,0] neg_lo:[0,0,1] neg_hi:[0,0,1]
	v_pk_fma_f32 v[4:5], v[4:5], v[0:1], v[8:9] op_sel:[0,0,1] op_sel_hi:[1,0,0]
	v_mov_b32_e32 v11, v5
	v_pk_mul_f32 v[4:5], v[6:7], v[2:3] op_sel:[0,1]
	s_delay_alu instid0(VALU_DEP_1) | instskip(SKIP_1) | instid1(VALU_DEP_1)
	v_pk_fma_f32 v[8:9], v[6:7], v[0:1], v[4:5] op_sel:[0,0,1] op_sel_hi:[1,1,0] neg_lo:[0,0,1] neg_hi:[0,0,1]
	v_pk_fma_f32 v[4:5], v[6:7], v[0:1], v[4:5] op_sel:[0,0,1] op_sel_hi:[1,0,0]
	v_mov_b32_e32 v9, v5
	ds_load_2addr_b64 v[4:7], v104 offset0:44 offset1:45
	v_pk_add_f32 v[178:179], v[178:179], v[10:11] neg_lo:[0,1] neg_hi:[0,1]
	v_pk_add_f32 v[174:175], v[174:175], v[8:9] neg_lo:[0,1] neg_hi:[0,1]
	s_wait_dscnt 0x0
	v_dual_mul_f32 v8, v5, v3 :: v_dual_mul_f32 v10, v5, v0
	s_delay_alu instid0(VALU_DEP_1) | instskip(NEXT) | instid1(VALU_DEP_2)
	v_pk_fma_f32 v[8:9], v[4:5], v[52:53], v[8:9] op_sel_hi:[1,1,0] neg_lo:[0,0,1] neg_hi:[0,0,1]
	v_pk_fma_f32 v[4:5], v[4:5], v[52:53], v[10:11] op_sel:[1,0,0] op_sel_hi:[0,1,0]
	s_delay_alu instid0(VALU_DEP_1) | instskip(SKIP_1) | instid1(VALU_DEP_2)
	v_mov_b32_e32 v9, v5
	v_pk_mul_f32 v[4:5], v[6:7], v[2:3] op_sel:[0,1]
	v_pk_add_f32 v[200:201], v[200:201], v[8:9] neg_lo:[0,1] neg_hi:[0,1]
	s_delay_alu instid0(VALU_DEP_2) | instskip(SKIP_1) | instid1(VALU_DEP_1)
	v_pk_fma_f32 v[8:9], v[6:7], v[0:1], v[4:5] op_sel:[0,0,1] op_sel_hi:[1,1,0] neg_lo:[0,0,1] neg_hi:[0,0,1]
	v_pk_fma_f32 v[4:5], v[6:7], v[0:1], v[4:5] op_sel:[0,0,1] op_sel_hi:[1,0,0]
	v_mov_b32_e32 v9, v5
	ds_load_2addr_b64 v[4:7], v104 offset0:46 offset1:47
	v_pk_add_f32 v[194:195], v[194:195], v[8:9] neg_lo:[0,1] neg_hi:[0,1]
	s_wait_dscnt 0x0
	v_pk_mul_f32 v[8:9], v[4:5], v[2:3] op_sel:[0,1]
	s_delay_alu instid0(VALU_DEP_1) | instskip(SKIP_1) | instid1(VALU_DEP_1)
	v_pk_fma_f32 v[10:11], v[4:5], v[0:1], v[8:9] op_sel:[0,0,1] op_sel_hi:[1,1,0] neg_lo:[0,0,1] neg_hi:[0,0,1]
	v_pk_fma_f32 v[4:5], v[4:5], v[0:1], v[8:9] op_sel:[0,0,1] op_sel_hi:[1,0,0]
	v_mov_b32_e32 v11, v5
	v_pk_mul_f32 v[4:5], v[6:7], v[2:3] op_sel:[0,1]
	s_delay_alu instid0(VALU_DEP_2) | instskip(NEXT) | instid1(VALU_DEP_2)
	v_pk_add_f32 v[198:199], v[198:199], v[10:11] neg_lo:[0,1] neg_hi:[0,1]
	v_pk_fma_f32 v[8:9], v[6:7], v[0:1], v[4:5] op_sel:[0,0,1] op_sel_hi:[1,1,0] neg_lo:[0,0,1] neg_hi:[0,0,1]
	v_pk_fma_f32 v[4:5], v[6:7], v[0:1], v[4:5] op_sel:[0,0,1] op_sel_hi:[1,0,0]
	s_delay_alu instid0(VALU_DEP_1) | instskip(SKIP_4) | instid1(VALU_DEP_1)
	v_mov_b32_e32 v9, v5
	ds_load_2addr_b64 v[4:7], v104 offset0:48 offset1:49
	v_pk_add_f32 v[192:193], v[192:193], v[8:9] neg_lo:[0,1] neg_hi:[0,1]
	s_wait_dscnt 0x0
	v_pk_mul_f32 v[8:9], v[4:5], v[2:3] op_sel:[0,1]
	v_pk_fma_f32 v[10:11], v[4:5], v[0:1], v[8:9] op_sel:[0,0,1] op_sel_hi:[1,1,0] neg_lo:[0,0,1] neg_hi:[0,0,1]
	v_pk_fma_f32 v[4:5], v[4:5], v[0:1], v[8:9] op_sel:[0,0,1] op_sel_hi:[1,0,0]
	v_dual_mul_f32 v8, v7, v3 :: v_dual_mov_b32 v4, v7
	s_delay_alu instid0(VALU_DEP_2) | instskip(NEXT) | instid1(VALU_DEP_2)
	v_dual_mov_b32 v11, v5 :: v_dual_mov_b32 v5, v6
	v_pk_fma_f32 v[8:9], v[6:7], v[52:53], v[8:9] op_sel_hi:[1,1,0] neg_lo:[0,0,1] neg_hi:[0,0,1]
	v_mul_f32_e32 v6, v7, v0
	s_delay_alu instid0(VALU_DEP_3) | instskip(NEXT) | instid1(VALU_DEP_2)
	v_pk_add_f32 v[196:197], v[196:197], v[10:11] neg_lo:[0,1] neg_hi:[0,1]
	v_pk_fma_f32 v[4:5], v[4:5], v[52:53], v[6:7] op_sel_hi:[1,1,0]
	s_delay_alu instid0(VALU_DEP_1) | instskip(SKIP_4) | instid1(VALU_DEP_1)
	v_mov_b32_e32 v9, v5
	ds_load_b64 v[4:5], v104 offset:400
	v_pk_add_f32 v[202:203], v[202:203], v[8:9] neg_lo:[0,1] neg_hi:[0,1]
	s_wait_dscnt 0x0
	v_pk_mul_f32 v[2:3], v[4:5], v[2:3] op_sel:[0,1]
	v_pk_fma_f32 v[6:7], v[4:5], v[0:1], v[2:3] op_sel:[0,0,1] op_sel_hi:[1,1,0] neg_lo:[0,0,1] neg_hi:[0,0,1]
	v_pk_fma_f32 v[0:1], v[4:5], v[0:1], v[2:3] op_sel:[0,0,1] op_sel_hi:[1,0,0]
	s_delay_alu instid0(VALU_DEP_1) | instskip(NEXT) | instid1(VALU_DEP_1)
	v_mov_b32_e32 v7, v1
	v_pk_add_f32 v[204:205], v[204:205], v[6:7] neg_lo:[0,1] neg_hi:[0,1]
.LBB101_145:
	s_wait_xcnt 0x0
	s_or_b32 exec_lo, exec_lo, s1
	s_delay_alu instid0(SALU_CYCLE_1)
	s_mov_b32 s2, exec_lo
	s_wait_storecnt 0x0
	s_barrier_signal -1
	s_barrier_wait -1
	v_cmpx_eq_u32_e32 16, v102
	s_cbranch_execz .LBB101_152
; %bb.146:
	ds_store_b64 v103, v[76:77]
	ds_store_2addr_b64 v104, v[72:73], v[74:75] offset0:17 offset1:18
	ds_store_2addr_b64 v104, v[70:71], v[94:95] offset0:19 offset1:20
	;; [unrolled: 1-line block ×17, first 2 shown]
	ds_load_b64 v[0:1], v103
	s_wait_dscnt 0x0
	v_cmp_neq_f32_e32 vcc_lo, 0, v0
	v_cmp_neq_f32_e64 s1, 0, v1
	s_or_b32 s1, vcc_lo, s1
	s_delay_alu instid0(SALU_CYCLE_1)
	s_and_b32 exec_lo, exec_lo, s1
	s_cbranch_execz .LBB101_152
; %bb.147:
	v_cmp_ngt_f32_e64 s1, |v0|, |v1|
                                        ; implicit-def: $vgpr2_vgpr3
	s_and_saveexec_b32 s4, s1
	s_delay_alu instid0(SALU_CYCLE_1)
	s_xor_b32 s1, exec_lo, s4
	s_cbranch_execz .LBB101_149
; %bb.148:
	v_div_scale_f32 v2, null, v1, v1, v0
	v_div_scale_f32 v5, vcc_lo, v0, v1, v0
	s_delay_alu instid0(VALU_DEP_2) | instskip(SKIP_1) | instid1(TRANS32_DEP_1)
	v_rcp_f32_e32 v3, v2
	v_nop
	v_fma_f32 v4, -v2, v3, 1.0
	s_delay_alu instid0(VALU_DEP_1) | instskip(NEXT) | instid1(VALU_DEP_1)
	v_fmac_f32_e32 v3, v4, v3
	v_mul_f32_e32 v4, v5, v3
	s_delay_alu instid0(VALU_DEP_1) | instskip(NEXT) | instid1(VALU_DEP_1)
	v_fma_f32 v6, -v2, v4, v5
	v_fmac_f32_e32 v4, v6, v3
	s_delay_alu instid0(VALU_DEP_1) | instskip(NEXT) | instid1(VALU_DEP_1)
	v_fma_f32 v2, -v2, v4, v5
	v_div_fmas_f32 v2, v2, v3, v4
	s_delay_alu instid0(VALU_DEP_1) | instskip(NEXT) | instid1(VALU_DEP_1)
	v_div_fixup_f32 v2, v2, v1, v0
	v_fmac_f32_e32 v1, v0, v2
	s_delay_alu instid0(VALU_DEP_1) | instskip(SKIP_1) | instid1(VALU_DEP_2)
	v_div_scale_f32 v0, null, v1, v1, 1.0
	v_div_scale_f32 v5, vcc_lo, 1.0, v1, 1.0
	v_rcp_f32_e32 v3, v0
	v_nop
	s_delay_alu instid0(TRANS32_DEP_1) | instskip(NEXT) | instid1(VALU_DEP_1)
	v_fma_f32 v4, -v0, v3, 1.0
	v_fmac_f32_e32 v3, v4, v3
	s_delay_alu instid0(VALU_DEP_1) | instskip(NEXT) | instid1(VALU_DEP_1)
	v_mul_f32_e32 v4, v5, v3
	v_fma_f32 v6, -v0, v4, v5
	s_delay_alu instid0(VALU_DEP_1) | instskip(NEXT) | instid1(VALU_DEP_1)
	v_fmac_f32_e32 v4, v6, v3
	v_fma_f32 v0, -v0, v4, v5
	s_delay_alu instid0(VALU_DEP_1) | instskip(NEXT) | instid1(VALU_DEP_1)
	v_div_fmas_f32 v0, v0, v3, v4
	v_div_fixup_f32 v0, v0, v1, 1.0
	s_delay_alu instid0(VALU_DEP_1)
	v_mul_f32_e32 v2, v2, v0
	v_xor_b32_e32 v3, 0x80000000, v0
                                        ; implicit-def: $vgpr0_vgpr1
.LBB101_149:
	s_and_not1_saveexec_b32 s1, s1
	s_cbranch_execz .LBB101_151
; %bb.150:
	v_div_scale_f32 v2, null, v0, v0, v1
	v_div_scale_f32 v5, vcc_lo, v1, v0, v1
	s_delay_alu instid0(VALU_DEP_2) | instskip(SKIP_1) | instid1(TRANS32_DEP_1)
	v_rcp_f32_e32 v3, v2
	v_nop
	v_fma_f32 v4, -v2, v3, 1.0
	s_delay_alu instid0(VALU_DEP_1) | instskip(NEXT) | instid1(VALU_DEP_1)
	v_fmac_f32_e32 v3, v4, v3
	v_mul_f32_e32 v4, v5, v3
	s_delay_alu instid0(VALU_DEP_1) | instskip(NEXT) | instid1(VALU_DEP_1)
	v_fma_f32 v6, -v2, v4, v5
	v_fmac_f32_e32 v4, v6, v3
	s_delay_alu instid0(VALU_DEP_1) | instskip(NEXT) | instid1(VALU_DEP_1)
	v_fma_f32 v2, -v2, v4, v5
	v_div_fmas_f32 v2, v2, v3, v4
	s_delay_alu instid0(VALU_DEP_1) | instskip(NEXT) | instid1(VALU_DEP_1)
	v_div_fixup_f32 v3, v2, v0, v1
	v_fmac_f32_e32 v0, v1, v3
	s_delay_alu instid0(VALU_DEP_1) | instskip(NEXT) | instid1(VALU_DEP_1)
	v_div_scale_f32 v1, null, v0, v0, 1.0
	v_rcp_f32_e32 v2, v1
	v_nop
	s_delay_alu instid0(TRANS32_DEP_1) | instskip(NEXT) | instid1(VALU_DEP_1)
	v_fma_f32 v4, -v1, v2, 1.0
	v_fmac_f32_e32 v2, v4, v2
	v_div_scale_f32 v4, vcc_lo, 1.0, v0, 1.0
	s_delay_alu instid0(VALU_DEP_1) | instskip(NEXT) | instid1(VALU_DEP_1)
	v_mul_f32_e32 v5, v4, v2
	v_fma_f32 v6, -v1, v5, v4
	s_delay_alu instid0(VALU_DEP_1) | instskip(NEXT) | instid1(VALU_DEP_1)
	v_fmac_f32_e32 v5, v6, v2
	v_fma_f32 v1, -v1, v5, v4
	s_delay_alu instid0(VALU_DEP_1) | instskip(NEXT) | instid1(VALU_DEP_1)
	v_div_fmas_f32 v1, v1, v2, v5
	v_div_fixup_f32 v2, v1, v0, 1.0
	s_delay_alu instid0(VALU_DEP_1)
	v_mul_f32_e64 v3, v3, -v2
.LBB101_151:
	s_or_b32 exec_lo, exec_lo, s1
	ds_store_b64 v103, v[2:3]
.LBB101_152:
	s_or_b32 exec_lo, exec_lo, s2
	s_wait_dscnt 0x0
	s_barrier_signal -1
	s_barrier_wait -1
	ds_load_b64 v[0:1], v103
	s_mov_b32 s1, exec_lo
	s_wait_dscnt 0x0
	scratch_store_b64 off, v[0:1], off offset:176 ; 8-byte Folded Spill
	s_wait_xcnt 0x0
	v_cmpx_lt_u32_e32 16, v102
	s_cbranch_execz .LBB101_154
; %bb.153:
	scratch_load_b64 v[4:5], off, off offset:176 ; 8-byte Folded Reload
	s_wait_loadcnt 0x0
	v_pk_mul_f32 v[2:3], v[4:5], v[76:77] op_sel:[1,1] op_sel_hi:[0,1]
	s_delay_alu instid0(VALU_DEP_1)
	v_pk_fma_f32 v[0:1], v[4:5], v[76:77], v[2:3] op_sel_hi:[1,0,1] neg_lo:[0,0,1] neg_hi:[0,0,1]
	v_pk_fma_f32 v[2:3], v[4:5], v[76:77], v[2:3] op_sel_hi:[1,0,1]
	ds_load_2addr_b64 v[4:7], v104 offset0:17 offset1:18
	v_dual_mov_b32 v76, v0 :: v_dual_mov_b32 v77, v3
	s_wait_dscnt 0x0
	v_pk_mul_f32 v[8:9], v[4:5], v[2:3] op_sel:[0,1]
	s_delay_alu instid0(VALU_DEP_1) | instskip(SKIP_1) | instid1(VALU_DEP_1)
	v_pk_fma_f32 v[10:11], v[4:5], v[0:1], v[8:9] op_sel:[0,0,1] op_sel_hi:[1,1,0] neg_lo:[0,0,1] neg_hi:[0,0,1]
	v_pk_fma_f32 v[4:5], v[4:5], v[0:1], v[8:9] op_sel:[0,0,1] op_sel_hi:[1,0,0]
	v_mov_b32_e32 v11, v5
	v_pk_mul_f32 v[4:5], v[6:7], v[2:3] op_sel:[0,1]
	s_delay_alu instid0(VALU_DEP_1) | instskip(SKIP_1) | instid1(VALU_DEP_1)
	v_pk_fma_f32 v[8:9], v[6:7], v[0:1], v[4:5] op_sel:[0,0,1] op_sel_hi:[1,1,0] neg_lo:[0,0,1] neg_hi:[0,0,1]
	v_pk_fma_f32 v[4:5], v[6:7], v[0:1], v[4:5] op_sel:[0,0,1] op_sel_hi:[1,0,0]
	v_mov_b32_e32 v9, v5
	ds_load_2addr_b64 v[4:7], v104 offset0:19 offset1:20
	v_pk_add_f32 v[72:73], v[72:73], v[10:11] neg_lo:[0,1] neg_hi:[0,1]
	v_pk_add_f32 v[74:75], v[74:75], v[8:9] neg_lo:[0,1] neg_hi:[0,1]
	s_wait_dscnt 0x0
	v_pk_mul_f32 v[8:9], v[4:5], v[2:3] op_sel:[0,1]
	s_delay_alu instid0(VALU_DEP_1) | instskip(SKIP_2) | instid1(VALU_DEP_2)
	v_pk_fma_f32 v[10:11], v[4:5], v[0:1], v[8:9] op_sel:[0,0,1] op_sel_hi:[1,1,0] neg_lo:[0,0,1] neg_hi:[0,0,1]
	v_pk_fma_f32 v[4:5], v[4:5], v[0:1], v[8:9] op_sel:[0,0,1] op_sel_hi:[1,0,0]
	v_dual_mul_f32 v8, v7, v3 :: v_dual_mov_b32 v4, v7
	v_dual_mov_b32 v11, v5 :: v_dual_mov_b32 v5, v6
	s_delay_alu instid0(VALU_DEP_2) | instskip(SKIP_1) | instid1(VALU_DEP_3)
	v_pk_fma_f32 v[8:9], v[6:7], v[76:77], v[8:9] op_sel_hi:[1,1,0] neg_lo:[0,0,1] neg_hi:[0,0,1]
	v_mul_f32_e32 v6, v7, v0
	v_pk_add_f32 v[70:71], v[70:71], v[10:11] neg_lo:[0,1] neg_hi:[0,1]
	s_delay_alu instid0(VALU_DEP_2) | instskip(NEXT) | instid1(VALU_DEP_1)
	v_pk_fma_f32 v[4:5], v[4:5], v[76:77], v[6:7] op_sel_hi:[1,1,0]
	v_mov_b32_e32 v9, v5
	ds_load_2addr_b64 v[4:7], v104 offset0:21 offset1:22
	v_pk_add_f32 v[94:95], v[94:95], v[8:9] neg_lo:[0,1] neg_hi:[0,1]
	s_wait_dscnt 0x0
	v_pk_mul_f32 v[8:9], v[4:5], v[2:3] op_sel:[0,1]
	s_delay_alu instid0(VALU_DEP_1) | instskip(SKIP_1) | instid1(VALU_DEP_1)
	v_pk_fma_f32 v[10:11], v[4:5], v[0:1], v[8:9] op_sel:[0,0,1] op_sel_hi:[1,1,0] neg_lo:[0,0,1] neg_hi:[0,0,1]
	v_pk_fma_f32 v[4:5], v[4:5], v[0:1], v[8:9] op_sel:[0,0,1] op_sel_hi:[1,0,0]
	v_mov_b32_e32 v11, v5
	v_pk_mul_f32 v[4:5], v[6:7], v[2:3] op_sel:[0,1]
	s_delay_alu instid0(VALU_DEP_1) | instskip(SKIP_1) | instid1(VALU_DEP_1)
	v_pk_fma_f32 v[8:9], v[6:7], v[0:1], v[4:5] op_sel:[0,0,1] op_sel_hi:[1,1,0] neg_lo:[0,0,1] neg_hi:[0,0,1]
	v_pk_fma_f32 v[4:5], v[6:7], v[0:1], v[4:5] op_sel:[0,0,1] op_sel_hi:[1,0,0]
	v_mov_b32_e32 v9, v5
	ds_load_2addr_b64 v[4:7], v104 offset0:23 offset1:24
	v_pk_add_f32 v[90:91], v[90:91], v[10:11] neg_lo:[0,1] neg_hi:[0,1]
	v_pk_add_f32 v[92:93], v[92:93], v[8:9] neg_lo:[0,1] neg_hi:[0,1]
	s_wait_dscnt 0x0
	v_pk_mul_f32 v[8:9], v[4:5], v[2:3] op_sel:[0,1]
	s_delay_alu instid0(VALU_DEP_1) | instskip(SKIP_1) | instid1(VALU_DEP_1)
	v_pk_fma_f32 v[10:11], v[4:5], v[0:1], v[8:9] op_sel:[0,0,1] op_sel_hi:[1,1,0] neg_lo:[0,0,1] neg_hi:[0,0,1]
	v_pk_fma_f32 v[4:5], v[4:5], v[0:1], v[8:9] op_sel:[0,0,1] op_sel_hi:[1,0,0]
	v_mov_b32_e32 v11, v5
	v_pk_mul_f32 v[4:5], v[6:7], v[2:3] op_sel:[0,1]
	s_delay_alu instid0(VALU_DEP_1) | instskip(SKIP_1) | instid1(VALU_DEP_1)
	v_pk_fma_f32 v[8:9], v[6:7], v[0:1], v[4:5] op_sel:[0,0,1] op_sel_hi:[1,1,0] neg_lo:[0,0,1] neg_hi:[0,0,1]
	v_pk_fma_f32 v[4:5], v[6:7], v[0:1], v[4:5] op_sel:[0,0,1] op_sel_hi:[1,0,0]
	v_mov_b32_e32 v9, v5
	ds_load_2addr_b64 v[4:7], v104 offset0:25 offset1:26
	v_pk_add_f32 v[88:89], v[88:89], v[10:11] neg_lo:[0,1] neg_hi:[0,1]
	v_pk_add_f32 v[112:113], v[112:113], v[8:9] neg_lo:[0,1] neg_hi:[0,1]
	s_wait_dscnt 0x0
	v_dual_mul_f32 v8, v5, v3 :: v_dual_mul_f32 v10, v5, v0
	s_delay_alu instid0(VALU_DEP_1) | instskip(NEXT) | instid1(VALU_DEP_2)
	v_pk_fma_f32 v[8:9], v[4:5], v[76:77], v[8:9] op_sel_hi:[1,1,0] neg_lo:[0,0,1] neg_hi:[0,0,1]
	v_pk_fma_f32 v[4:5], v[4:5], v[76:77], v[10:11] op_sel:[1,0,0] op_sel_hi:[0,1,0]
	s_delay_alu instid0(VALU_DEP_1) | instskip(SKIP_1) | instid1(VALU_DEP_2)
	v_mov_b32_e32 v9, v5
	v_pk_mul_f32 v[4:5], v[6:7], v[2:3] op_sel:[0,1]
	v_pk_add_f32 v[108:109], v[108:109], v[8:9] neg_lo:[0,1] neg_hi:[0,1]
	s_delay_alu instid0(VALU_DEP_2) | instskip(SKIP_1) | instid1(VALU_DEP_1)
	v_pk_fma_f32 v[8:9], v[6:7], v[0:1], v[4:5] op_sel:[0,0,1] op_sel_hi:[1,1,0] neg_lo:[0,0,1] neg_hi:[0,0,1]
	v_pk_fma_f32 v[4:5], v[6:7], v[0:1], v[4:5] op_sel:[0,0,1] op_sel_hi:[1,0,0]
	v_mov_b32_e32 v9, v5
	ds_load_2addr_b64 v[4:7], v104 offset0:27 offset1:28
	v_pk_add_f32 v[110:111], v[110:111], v[8:9] neg_lo:[0,1] neg_hi:[0,1]
	s_wait_dscnt 0x0
	v_pk_mul_f32 v[8:9], v[4:5], v[2:3] op_sel:[0,1]
	s_delay_alu instid0(VALU_DEP_1) | instskip(SKIP_1) | instid1(VALU_DEP_1)
	v_pk_fma_f32 v[10:11], v[4:5], v[0:1], v[8:9] op_sel:[0,0,1] op_sel_hi:[1,1,0] neg_lo:[0,0,1] neg_hi:[0,0,1]
	v_pk_fma_f32 v[4:5], v[4:5], v[0:1], v[8:9] op_sel:[0,0,1] op_sel_hi:[1,0,0]
	v_mov_b32_e32 v11, v5
	v_pk_mul_f32 v[4:5], v[6:7], v[2:3] op_sel:[0,1]
	s_delay_alu instid0(VALU_DEP_2) | instskip(NEXT) | instid1(VALU_DEP_2)
	v_pk_add_f32 v[106:107], v[106:107], v[10:11] neg_lo:[0,1] neg_hi:[0,1]
	v_pk_fma_f32 v[8:9], v[6:7], v[0:1], v[4:5] op_sel:[0,0,1] op_sel_hi:[1,1,0] neg_lo:[0,0,1] neg_hi:[0,0,1]
	v_pk_fma_f32 v[4:5], v[6:7], v[0:1], v[4:5] op_sel:[0,0,1] op_sel_hi:[1,0,0]
	s_delay_alu instid0(VALU_DEP_1) | instskip(SKIP_4) | instid1(VALU_DEP_1)
	v_mov_b32_e32 v9, v5
	ds_load_2addr_b64 v[4:7], v104 offset0:29 offset1:30
	v_pk_add_f32 v[128:129], v[128:129], v[8:9] neg_lo:[0,1] neg_hi:[0,1]
	s_wait_dscnt 0x0
	v_pk_mul_f32 v[8:9], v[4:5], v[2:3] op_sel:[0,1]
	v_pk_fma_f32 v[10:11], v[4:5], v[0:1], v[8:9] op_sel:[0,0,1] op_sel_hi:[1,1,0] neg_lo:[0,0,1] neg_hi:[0,0,1]
	v_pk_fma_f32 v[4:5], v[4:5], v[0:1], v[8:9] op_sel:[0,0,1] op_sel_hi:[1,0,0]
	v_dual_mul_f32 v8, v7, v3 :: v_dual_mov_b32 v4, v7
	s_delay_alu instid0(VALU_DEP_2) | instskip(NEXT) | instid1(VALU_DEP_2)
	v_dual_mov_b32 v11, v5 :: v_dual_mov_b32 v5, v6
	v_pk_fma_f32 v[8:9], v[6:7], v[76:77], v[8:9] op_sel_hi:[1,1,0] neg_lo:[0,0,1] neg_hi:[0,0,1]
	v_mul_f32_e32 v6, v7, v0
	s_delay_alu instid0(VALU_DEP_3) | instskip(NEXT) | instid1(VALU_DEP_2)
	v_pk_add_f32 v[124:125], v[124:125], v[10:11] neg_lo:[0,1] neg_hi:[0,1]
	v_pk_fma_f32 v[4:5], v[4:5], v[76:77], v[6:7] op_sel_hi:[1,1,0]
	s_delay_alu instid0(VALU_DEP_1) | instskip(SKIP_4) | instid1(VALU_DEP_1)
	v_mov_b32_e32 v9, v5
	ds_load_2addr_b64 v[4:7], v104 offset0:31 offset1:32
	v_pk_add_f32 v[126:127], v[126:127], v[8:9] neg_lo:[0,1] neg_hi:[0,1]
	s_wait_dscnt 0x0
	v_pk_mul_f32 v[8:9], v[4:5], v[2:3] op_sel:[0,1]
	v_pk_fma_f32 v[10:11], v[4:5], v[0:1], v[8:9] op_sel:[0,0,1] op_sel_hi:[1,1,0] neg_lo:[0,0,1] neg_hi:[0,0,1]
	v_pk_fma_f32 v[4:5], v[4:5], v[0:1], v[8:9] op_sel:[0,0,1] op_sel_hi:[1,0,0]
	s_delay_alu instid0(VALU_DEP_1) | instskip(SKIP_1) | instid1(VALU_DEP_1)
	v_mov_b32_e32 v11, v5
	v_pk_mul_f32 v[4:5], v[6:7], v[2:3] op_sel:[0,1]
	v_pk_fma_f32 v[8:9], v[6:7], v[0:1], v[4:5] op_sel:[0,0,1] op_sel_hi:[1,1,0] neg_lo:[0,0,1] neg_hi:[0,0,1]
	v_pk_fma_f32 v[4:5], v[6:7], v[0:1], v[4:5] op_sel:[0,0,1] op_sel_hi:[1,0,0]
	s_delay_alu instid0(VALU_DEP_1)
	v_mov_b32_e32 v9, v5
	ds_load_2addr_b64 v[4:7], v104 offset0:33 offset1:34
	v_pk_add_f32 v[122:123], v[122:123], v[10:11] neg_lo:[0,1] neg_hi:[0,1]
	v_pk_add_f32 v[146:147], v[146:147], v[8:9] neg_lo:[0,1] neg_hi:[0,1]
	s_wait_dscnt 0x0
	v_pk_mul_f32 v[8:9], v[4:5], v[2:3] op_sel:[0,1]
	s_delay_alu instid0(VALU_DEP_1) | instskip(SKIP_1) | instid1(VALU_DEP_1)
	v_pk_fma_f32 v[10:11], v[4:5], v[0:1], v[8:9] op_sel:[0,0,1] op_sel_hi:[1,1,0] neg_lo:[0,0,1] neg_hi:[0,0,1]
	v_pk_fma_f32 v[4:5], v[4:5], v[0:1], v[8:9] op_sel:[0,0,1] op_sel_hi:[1,0,0]
	v_mov_b32_e32 v11, v5
	v_pk_mul_f32 v[4:5], v[6:7], v[2:3] op_sel:[0,1]
	s_delay_alu instid0(VALU_DEP_1) | instskip(SKIP_1) | instid1(VALU_DEP_1)
	v_pk_fma_f32 v[8:9], v[6:7], v[0:1], v[4:5] op_sel:[0,0,1] op_sel_hi:[1,1,0] neg_lo:[0,0,1] neg_hi:[0,0,1]
	v_pk_fma_f32 v[4:5], v[6:7], v[0:1], v[4:5] op_sel:[0,0,1] op_sel_hi:[1,0,0]
	v_mov_b32_e32 v9, v5
	ds_load_2addr_b64 v[4:7], v104 offset0:35 offset1:36
	v_pk_add_f32 v[142:143], v[142:143], v[10:11] neg_lo:[0,1] neg_hi:[0,1]
	v_pk_add_f32 v[144:145], v[144:145], v[8:9] neg_lo:[0,1] neg_hi:[0,1]
	s_wait_dscnt 0x0
	v_dual_mul_f32 v8, v5, v3 :: v_dual_mul_f32 v10, v5, v0
	s_delay_alu instid0(VALU_DEP_1) | instskip(NEXT) | instid1(VALU_DEP_2)
	v_pk_fma_f32 v[8:9], v[4:5], v[76:77], v[8:9] op_sel_hi:[1,1,0] neg_lo:[0,0,1] neg_hi:[0,0,1]
	v_pk_fma_f32 v[4:5], v[4:5], v[76:77], v[10:11] op_sel:[1,0,0] op_sel_hi:[0,1,0]
	s_delay_alu instid0(VALU_DEP_1) | instskip(SKIP_1) | instid1(VALU_DEP_2)
	v_mov_b32_e32 v9, v5
	v_pk_mul_f32 v[4:5], v[6:7], v[2:3] op_sel:[0,1]
	v_pk_add_f32 v[140:141], v[140:141], v[8:9] neg_lo:[0,1] neg_hi:[0,1]
	s_delay_alu instid0(VALU_DEP_2) | instskip(SKIP_1) | instid1(VALU_DEP_1)
	v_pk_fma_f32 v[8:9], v[6:7], v[0:1], v[4:5] op_sel:[0,0,1] op_sel_hi:[1,1,0] neg_lo:[0,0,1] neg_hi:[0,0,1]
	v_pk_fma_f32 v[4:5], v[6:7], v[0:1], v[4:5] op_sel:[0,0,1] op_sel_hi:[1,0,0]
	v_mov_b32_e32 v9, v5
	ds_load_2addr_b64 v[4:7], v104 offset0:37 offset1:38
	v_pk_add_f32 v[162:163], v[162:163], v[8:9] neg_lo:[0,1] neg_hi:[0,1]
	s_wait_dscnt 0x0
	v_pk_mul_f32 v[8:9], v[4:5], v[2:3] op_sel:[0,1]
	s_delay_alu instid0(VALU_DEP_1) | instskip(SKIP_1) | instid1(VALU_DEP_1)
	v_pk_fma_f32 v[10:11], v[4:5], v[0:1], v[8:9] op_sel:[0,0,1] op_sel_hi:[1,1,0] neg_lo:[0,0,1] neg_hi:[0,0,1]
	v_pk_fma_f32 v[4:5], v[4:5], v[0:1], v[8:9] op_sel:[0,0,1] op_sel_hi:[1,0,0]
	v_mov_b32_e32 v11, v5
	v_pk_mul_f32 v[4:5], v[6:7], v[2:3] op_sel:[0,1]
	s_delay_alu instid0(VALU_DEP_2) | instskip(NEXT) | instid1(VALU_DEP_2)
	v_pk_add_f32 v[158:159], v[158:159], v[10:11] neg_lo:[0,1] neg_hi:[0,1]
	v_pk_fma_f32 v[8:9], v[6:7], v[0:1], v[4:5] op_sel:[0,0,1] op_sel_hi:[1,1,0] neg_lo:[0,0,1] neg_hi:[0,0,1]
	v_pk_fma_f32 v[4:5], v[6:7], v[0:1], v[4:5] op_sel:[0,0,1] op_sel_hi:[1,0,0]
	s_delay_alu instid0(VALU_DEP_1) | instskip(SKIP_4) | instid1(VALU_DEP_1)
	v_mov_b32_e32 v9, v5
	ds_load_2addr_b64 v[4:7], v104 offset0:39 offset1:40
	v_pk_add_f32 v[160:161], v[160:161], v[8:9] neg_lo:[0,1] neg_hi:[0,1]
	s_wait_dscnt 0x0
	v_pk_mul_f32 v[8:9], v[4:5], v[2:3] op_sel:[0,1]
	v_pk_fma_f32 v[10:11], v[4:5], v[0:1], v[8:9] op_sel:[0,0,1] op_sel_hi:[1,1,0] neg_lo:[0,0,1] neg_hi:[0,0,1]
	v_pk_fma_f32 v[4:5], v[4:5], v[0:1], v[8:9] op_sel:[0,0,1] op_sel_hi:[1,0,0]
	v_dual_mul_f32 v8, v7, v3 :: v_dual_mov_b32 v4, v7
	s_delay_alu instid0(VALU_DEP_2) | instskip(NEXT) | instid1(VALU_DEP_2)
	v_dual_mov_b32 v11, v5 :: v_dual_mov_b32 v5, v6
	v_pk_fma_f32 v[8:9], v[6:7], v[76:77], v[8:9] op_sel_hi:[1,1,0] neg_lo:[0,0,1] neg_hi:[0,0,1]
	v_mul_f32_e32 v6, v7, v0
	s_delay_alu instid0(VALU_DEP_3) | instskip(NEXT) | instid1(VALU_DEP_2)
	v_pk_add_f32 v[156:157], v[156:157], v[10:11] neg_lo:[0,1] neg_hi:[0,1]
	v_pk_fma_f32 v[4:5], v[4:5], v[76:77], v[6:7] op_sel_hi:[1,1,0]
	s_delay_alu instid0(VALU_DEP_1) | instskip(SKIP_4) | instid1(VALU_DEP_1)
	v_mov_b32_e32 v9, v5
	ds_load_2addr_b64 v[4:7], v104 offset0:41 offset1:42
	v_pk_add_f32 v[180:181], v[180:181], v[8:9] neg_lo:[0,1] neg_hi:[0,1]
	s_wait_dscnt 0x0
	v_pk_mul_f32 v[8:9], v[4:5], v[2:3] op_sel:[0,1]
	v_pk_fma_f32 v[10:11], v[4:5], v[0:1], v[8:9] op_sel:[0,0,1] op_sel_hi:[1,1,0] neg_lo:[0,0,1] neg_hi:[0,0,1]
	v_pk_fma_f32 v[4:5], v[4:5], v[0:1], v[8:9] op_sel:[0,0,1] op_sel_hi:[1,0,0]
	s_delay_alu instid0(VALU_DEP_1) | instskip(SKIP_1) | instid1(VALU_DEP_1)
	v_mov_b32_e32 v11, v5
	v_pk_mul_f32 v[4:5], v[6:7], v[2:3] op_sel:[0,1]
	v_pk_fma_f32 v[8:9], v[6:7], v[0:1], v[4:5] op_sel:[0,0,1] op_sel_hi:[1,1,0] neg_lo:[0,0,1] neg_hi:[0,0,1]
	v_pk_fma_f32 v[4:5], v[6:7], v[0:1], v[4:5] op_sel:[0,0,1] op_sel_hi:[1,0,0]
	s_delay_alu instid0(VALU_DEP_1)
	v_mov_b32_e32 v9, v5
	ds_load_2addr_b64 v[4:7], v104 offset0:43 offset1:44
	v_pk_add_f32 v[176:177], v[176:177], v[10:11] neg_lo:[0,1] neg_hi:[0,1]
	v_pk_add_f32 v[178:179], v[178:179], v[8:9] neg_lo:[0,1] neg_hi:[0,1]
	s_wait_dscnt 0x0
	v_pk_mul_f32 v[8:9], v[4:5], v[2:3] op_sel:[0,1]
	s_delay_alu instid0(VALU_DEP_1) | instskip(SKIP_1) | instid1(VALU_DEP_1)
	v_pk_fma_f32 v[10:11], v[4:5], v[0:1], v[8:9] op_sel:[0,0,1] op_sel_hi:[1,1,0] neg_lo:[0,0,1] neg_hi:[0,0,1]
	v_pk_fma_f32 v[4:5], v[4:5], v[0:1], v[8:9] op_sel:[0,0,1] op_sel_hi:[1,0,0]
	v_mov_b32_e32 v11, v5
	v_pk_mul_f32 v[4:5], v[6:7], v[2:3] op_sel:[0,1]
	s_delay_alu instid0(VALU_DEP_1) | instskip(SKIP_1) | instid1(VALU_DEP_1)
	v_pk_fma_f32 v[8:9], v[6:7], v[0:1], v[4:5] op_sel:[0,0,1] op_sel_hi:[1,1,0] neg_lo:[0,0,1] neg_hi:[0,0,1]
	v_pk_fma_f32 v[4:5], v[6:7], v[0:1], v[4:5] op_sel:[0,0,1] op_sel_hi:[1,0,0]
	v_mov_b32_e32 v9, v5
	ds_load_2addr_b64 v[4:7], v104 offset0:45 offset1:46
	v_pk_add_f32 v[174:175], v[174:175], v[10:11] neg_lo:[0,1] neg_hi:[0,1]
	v_pk_add_f32 v[200:201], v[200:201], v[8:9] neg_lo:[0,1] neg_hi:[0,1]
	s_wait_dscnt 0x0
	v_dual_mul_f32 v8, v5, v3 :: v_dual_mul_f32 v10, v5, v0
	s_delay_alu instid0(VALU_DEP_1) | instskip(NEXT) | instid1(VALU_DEP_2)
	v_pk_fma_f32 v[8:9], v[4:5], v[76:77], v[8:9] op_sel_hi:[1,1,0] neg_lo:[0,0,1] neg_hi:[0,0,1]
	v_pk_fma_f32 v[4:5], v[4:5], v[76:77], v[10:11] op_sel:[1,0,0] op_sel_hi:[0,1,0]
	s_delay_alu instid0(VALU_DEP_1) | instskip(SKIP_1) | instid1(VALU_DEP_2)
	v_mov_b32_e32 v9, v5
	v_pk_mul_f32 v[4:5], v[6:7], v[2:3] op_sel:[0,1]
	v_pk_add_f32 v[194:195], v[194:195], v[8:9] neg_lo:[0,1] neg_hi:[0,1]
	s_delay_alu instid0(VALU_DEP_2) | instskip(SKIP_1) | instid1(VALU_DEP_1)
	v_pk_fma_f32 v[8:9], v[6:7], v[0:1], v[4:5] op_sel:[0,0,1] op_sel_hi:[1,1,0] neg_lo:[0,0,1] neg_hi:[0,0,1]
	v_pk_fma_f32 v[4:5], v[6:7], v[0:1], v[4:5] op_sel:[0,0,1] op_sel_hi:[1,0,0]
	v_mov_b32_e32 v9, v5
	ds_load_2addr_b64 v[4:7], v104 offset0:47 offset1:48
	v_pk_add_f32 v[198:199], v[198:199], v[8:9] neg_lo:[0,1] neg_hi:[0,1]
	s_wait_dscnt 0x0
	v_pk_mul_f32 v[8:9], v[4:5], v[2:3] op_sel:[0,1]
	s_delay_alu instid0(VALU_DEP_1) | instskip(SKIP_1) | instid1(VALU_DEP_1)
	v_pk_fma_f32 v[10:11], v[4:5], v[0:1], v[8:9] op_sel:[0,0,1] op_sel_hi:[1,1,0] neg_lo:[0,0,1] neg_hi:[0,0,1]
	v_pk_fma_f32 v[4:5], v[4:5], v[0:1], v[8:9] op_sel:[0,0,1] op_sel_hi:[1,0,0]
	v_mov_b32_e32 v11, v5
	v_pk_mul_f32 v[4:5], v[6:7], v[2:3] op_sel:[0,1]
	s_delay_alu instid0(VALU_DEP_2) | instskip(NEXT) | instid1(VALU_DEP_2)
	v_pk_add_f32 v[192:193], v[192:193], v[10:11] neg_lo:[0,1] neg_hi:[0,1]
	v_pk_fma_f32 v[8:9], v[6:7], v[0:1], v[4:5] op_sel:[0,0,1] op_sel_hi:[1,1,0] neg_lo:[0,0,1] neg_hi:[0,0,1]
	v_pk_fma_f32 v[4:5], v[6:7], v[0:1], v[4:5] op_sel:[0,0,1] op_sel_hi:[1,0,0]
	s_delay_alu instid0(VALU_DEP_1)
	v_mov_b32_e32 v9, v5
	ds_load_2addr_b64 v[4:7], v104 offset0:49 offset1:50
	v_pk_add_f32 v[196:197], v[196:197], v[8:9] neg_lo:[0,1] neg_hi:[0,1]
	s_wait_dscnt 0x0
	v_pk_mul_f32 v[8:9], v[4:5], v[2:3] op_sel:[0,1]
	v_pk_mul_f32 v[2:3], v[6:7], v[2:3] op_sel:[0,1]
	s_delay_alu instid0(VALU_DEP_2) | instskip(SKIP_1) | instid1(VALU_DEP_1)
	v_pk_fma_f32 v[10:11], v[4:5], v[0:1], v[8:9] op_sel:[0,0,1] op_sel_hi:[1,1,0] neg_lo:[0,0,1] neg_hi:[0,0,1]
	v_pk_fma_f32 v[4:5], v[4:5], v[0:1], v[8:9] op_sel:[0,0,1] op_sel_hi:[1,0,0]
	v_mov_b32_e32 v11, v5
	s_delay_alu instid0(VALU_DEP_4) | instskip(SKIP_1) | instid1(VALU_DEP_3)
	v_pk_fma_f32 v[4:5], v[6:7], v[0:1], v[2:3] op_sel:[0,0,1] op_sel_hi:[1,1,0] neg_lo:[0,0,1] neg_hi:[0,0,1]
	v_pk_fma_f32 v[0:1], v[6:7], v[0:1], v[2:3] op_sel:[0,0,1] op_sel_hi:[1,0,0]
	v_pk_add_f32 v[202:203], v[202:203], v[10:11] neg_lo:[0,1] neg_hi:[0,1]
	s_delay_alu instid0(VALU_DEP_2) | instskip(NEXT) | instid1(VALU_DEP_1)
	v_mov_b32_e32 v5, v1
	v_pk_add_f32 v[204:205], v[204:205], v[4:5] neg_lo:[0,1] neg_hi:[0,1]
.LBB101_154:
	s_wait_xcnt 0x0
	s_or_b32 exec_lo, exec_lo, s1
	s_delay_alu instid0(SALU_CYCLE_1)
	s_mov_b32 s2, exec_lo
	s_wait_storecnt 0x0
	s_barrier_signal -1
	s_barrier_wait -1
	v_cmpx_eq_u32_e32 17, v102
	s_cbranch_execz .LBB101_161
; %bb.155:
	v_dual_mov_b32 v0, v74 :: v_dual_mov_b32 v1, v75
	v_dual_mov_b32 v2, v70 :: v_dual_mov_b32 v3, v71
	ds_store_b64 v103, v[72:73]
	ds_store_2addr_b64 v104, v[0:1], v[2:3] offset0:18 offset1:19
	v_dual_mov_b32 v0, v94 :: v_dual_mov_b32 v1, v95
	v_dual_mov_b32 v2, v90 :: v_dual_mov_b32 v3, v91
	ds_store_2addr_b64 v104, v[0:1], v[2:3] offset0:20 offset1:21
	v_dual_mov_b32 v0, v92 :: v_dual_mov_b32 v1, v93
	v_dual_mov_b32 v2, v88 :: v_dual_mov_b32 v3, v89
	;; [unrolled: 3-line block ×15, first 2 shown]
	ds_store_2addr_b64 v104, v[0:1], v[2:3] offset0:48 offset1:49
	ds_store_b64 v104, v[204:205] offset:400
	ds_load_b64 v[0:1], v103
	s_wait_dscnt 0x0
	v_cmp_neq_f32_e32 vcc_lo, 0, v0
	v_cmp_neq_f32_e64 s1, 0, v1
	s_or_b32 s1, vcc_lo, s1
	s_delay_alu instid0(SALU_CYCLE_1)
	s_and_b32 exec_lo, exec_lo, s1
	s_cbranch_execz .LBB101_161
; %bb.156:
	v_cmp_ngt_f32_e64 s1, |v0|, |v1|
                                        ; implicit-def: $vgpr2_vgpr3
	s_and_saveexec_b32 s4, s1
	s_delay_alu instid0(SALU_CYCLE_1)
	s_xor_b32 s1, exec_lo, s4
	s_cbranch_execz .LBB101_158
; %bb.157:
	v_div_scale_f32 v2, null, v1, v1, v0
	v_div_scale_f32 v5, vcc_lo, v0, v1, v0
	s_delay_alu instid0(VALU_DEP_2) | instskip(SKIP_1) | instid1(TRANS32_DEP_1)
	v_rcp_f32_e32 v3, v2
	v_nop
	v_fma_f32 v4, -v2, v3, 1.0
	s_delay_alu instid0(VALU_DEP_1) | instskip(NEXT) | instid1(VALU_DEP_1)
	v_fmac_f32_e32 v3, v4, v3
	v_mul_f32_e32 v4, v5, v3
	s_delay_alu instid0(VALU_DEP_1) | instskip(NEXT) | instid1(VALU_DEP_1)
	v_fma_f32 v6, -v2, v4, v5
	v_fmac_f32_e32 v4, v6, v3
	s_delay_alu instid0(VALU_DEP_1) | instskip(NEXT) | instid1(VALU_DEP_1)
	v_fma_f32 v2, -v2, v4, v5
	v_div_fmas_f32 v2, v2, v3, v4
	s_delay_alu instid0(VALU_DEP_1) | instskip(NEXT) | instid1(VALU_DEP_1)
	v_div_fixup_f32 v2, v2, v1, v0
	v_fmac_f32_e32 v1, v0, v2
	s_delay_alu instid0(VALU_DEP_1) | instskip(SKIP_1) | instid1(VALU_DEP_2)
	v_div_scale_f32 v0, null, v1, v1, 1.0
	v_div_scale_f32 v5, vcc_lo, 1.0, v1, 1.0
	v_rcp_f32_e32 v3, v0
	v_nop
	s_delay_alu instid0(TRANS32_DEP_1) | instskip(NEXT) | instid1(VALU_DEP_1)
	v_fma_f32 v4, -v0, v3, 1.0
	v_fmac_f32_e32 v3, v4, v3
	s_delay_alu instid0(VALU_DEP_1) | instskip(NEXT) | instid1(VALU_DEP_1)
	v_mul_f32_e32 v4, v5, v3
	v_fma_f32 v6, -v0, v4, v5
	s_delay_alu instid0(VALU_DEP_1) | instskip(NEXT) | instid1(VALU_DEP_1)
	v_fmac_f32_e32 v4, v6, v3
	v_fma_f32 v0, -v0, v4, v5
	s_delay_alu instid0(VALU_DEP_1) | instskip(NEXT) | instid1(VALU_DEP_1)
	v_div_fmas_f32 v0, v0, v3, v4
	v_div_fixup_f32 v0, v0, v1, 1.0
	s_delay_alu instid0(VALU_DEP_1)
	v_mul_f32_e32 v2, v2, v0
	v_xor_b32_e32 v3, 0x80000000, v0
                                        ; implicit-def: $vgpr0_vgpr1
.LBB101_158:
	s_and_not1_saveexec_b32 s1, s1
	s_cbranch_execz .LBB101_160
; %bb.159:
	v_div_scale_f32 v2, null, v0, v0, v1
	v_div_scale_f32 v5, vcc_lo, v1, v0, v1
	s_delay_alu instid0(VALU_DEP_2) | instskip(SKIP_1) | instid1(TRANS32_DEP_1)
	v_rcp_f32_e32 v3, v2
	v_nop
	v_fma_f32 v4, -v2, v3, 1.0
	s_delay_alu instid0(VALU_DEP_1) | instskip(NEXT) | instid1(VALU_DEP_1)
	v_fmac_f32_e32 v3, v4, v3
	v_mul_f32_e32 v4, v5, v3
	s_delay_alu instid0(VALU_DEP_1) | instskip(NEXT) | instid1(VALU_DEP_1)
	v_fma_f32 v6, -v2, v4, v5
	v_fmac_f32_e32 v4, v6, v3
	s_delay_alu instid0(VALU_DEP_1) | instskip(NEXT) | instid1(VALU_DEP_1)
	v_fma_f32 v2, -v2, v4, v5
	v_div_fmas_f32 v2, v2, v3, v4
	s_delay_alu instid0(VALU_DEP_1) | instskip(NEXT) | instid1(VALU_DEP_1)
	v_div_fixup_f32 v3, v2, v0, v1
	v_fmac_f32_e32 v0, v1, v3
	s_delay_alu instid0(VALU_DEP_1) | instskip(NEXT) | instid1(VALU_DEP_1)
	v_div_scale_f32 v1, null, v0, v0, 1.0
	v_rcp_f32_e32 v2, v1
	v_nop
	s_delay_alu instid0(TRANS32_DEP_1) | instskip(NEXT) | instid1(VALU_DEP_1)
	v_fma_f32 v4, -v1, v2, 1.0
	v_fmac_f32_e32 v2, v4, v2
	v_div_scale_f32 v4, vcc_lo, 1.0, v0, 1.0
	s_delay_alu instid0(VALU_DEP_1) | instskip(NEXT) | instid1(VALU_DEP_1)
	v_mul_f32_e32 v5, v4, v2
	v_fma_f32 v6, -v1, v5, v4
	s_delay_alu instid0(VALU_DEP_1) | instskip(NEXT) | instid1(VALU_DEP_1)
	v_fmac_f32_e32 v5, v6, v2
	v_fma_f32 v1, -v1, v5, v4
	s_delay_alu instid0(VALU_DEP_1) | instskip(NEXT) | instid1(VALU_DEP_1)
	v_div_fmas_f32 v1, v1, v2, v5
	v_div_fixup_f32 v2, v1, v0, 1.0
	s_delay_alu instid0(VALU_DEP_1)
	v_mul_f32_e64 v3, v3, -v2
.LBB101_160:
	s_or_b32 exec_lo, exec_lo, s1
	ds_store_b64 v103, v[2:3]
.LBB101_161:
	s_or_b32 exec_lo, exec_lo, s2
	s_wait_dscnt 0x0
	s_barrier_signal -1
	s_barrier_wait -1
	ds_load_b64 v[0:1], v103
	s_mov_b32 s1, exec_lo
	s_wait_dscnt 0x0
	scratch_store_b64 off, v[0:1], off offset:184 ; 8-byte Folded Spill
	s_wait_xcnt 0x0
	v_cmpx_lt_u32_e32 17, v102
	s_cbranch_execz .LBB101_163
; %bb.162:
	scratch_load_b64 v[4:5], off, off offset:184 ; 8-byte Folded Reload
	s_wait_loadcnt 0x0
	v_pk_mul_f32 v[2:3], v[4:5], v[72:73] op_sel:[1,1] op_sel_hi:[0,1]
	s_delay_alu instid0(VALU_DEP_1)
	v_pk_fma_f32 v[0:1], v[4:5], v[72:73], v[2:3] op_sel_hi:[1,0,1] neg_lo:[0,0,1] neg_hi:[0,0,1]
	v_pk_fma_f32 v[2:3], v[4:5], v[72:73], v[2:3] op_sel_hi:[1,0,1]
	ds_load_2addr_b64 v[4:7], v104 offset0:18 offset1:19
	v_dual_mov_b32 v72, v0 :: v_dual_mov_b32 v73, v3
	s_wait_dscnt 0x0
	v_pk_mul_f32 v[8:9], v[4:5], v[2:3] op_sel:[0,1]
	s_delay_alu instid0(VALU_DEP_1) | instskip(SKIP_1) | instid1(VALU_DEP_1)
	v_pk_fma_f32 v[10:11], v[4:5], v[0:1], v[8:9] op_sel:[0,0,1] op_sel_hi:[1,1,0] neg_lo:[0,0,1] neg_hi:[0,0,1]
	v_pk_fma_f32 v[4:5], v[4:5], v[0:1], v[8:9] op_sel:[0,0,1] op_sel_hi:[1,0,0]
	v_mov_b32_e32 v11, v5
	v_pk_mul_f32 v[4:5], v[6:7], v[2:3] op_sel:[0,1]
	s_delay_alu instid0(VALU_DEP_1) | instskip(SKIP_1) | instid1(VALU_DEP_1)
	v_pk_fma_f32 v[8:9], v[6:7], v[0:1], v[4:5] op_sel:[0,0,1] op_sel_hi:[1,1,0] neg_lo:[0,0,1] neg_hi:[0,0,1]
	v_pk_fma_f32 v[4:5], v[6:7], v[0:1], v[4:5] op_sel:[0,0,1] op_sel_hi:[1,0,0]
	v_mov_b32_e32 v9, v5
	ds_load_2addr_b64 v[4:7], v104 offset0:20 offset1:21
	v_pk_add_f32 v[74:75], v[74:75], v[10:11] neg_lo:[0,1] neg_hi:[0,1]
	v_pk_add_f32 v[70:71], v[70:71], v[8:9] neg_lo:[0,1] neg_hi:[0,1]
	s_wait_dscnt 0x0
	v_pk_mul_f32 v[8:9], v[4:5], v[2:3] op_sel:[0,1]
	s_delay_alu instid0(VALU_DEP_1) | instskip(SKIP_2) | instid1(VALU_DEP_2)
	v_pk_fma_f32 v[10:11], v[4:5], v[0:1], v[8:9] op_sel:[0,0,1] op_sel_hi:[1,1,0] neg_lo:[0,0,1] neg_hi:[0,0,1]
	v_pk_fma_f32 v[4:5], v[4:5], v[0:1], v[8:9] op_sel:[0,0,1] op_sel_hi:[1,0,0]
	v_dual_mul_f32 v8, v7, v3 :: v_dual_mov_b32 v4, v7
	v_dual_mov_b32 v11, v5 :: v_dual_mov_b32 v5, v6
	s_delay_alu instid0(VALU_DEP_2) | instskip(SKIP_1) | instid1(VALU_DEP_3)
	v_pk_fma_f32 v[8:9], v[6:7], v[72:73], v[8:9] op_sel_hi:[1,1,0] neg_lo:[0,0,1] neg_hi:[0,0,1]
	v_mul_f32_e32 v6, v7, v0
	v_pk_add_f32 v[94:95], v[94:95], v[10:11] neg_lo:[0,1] neg_hi:[0,1]
	s_delay_alu instid0(VALU_DEP_2) | instskip(NEXT) | instid1(VALU_DEP_1)
	v_pk_fma_f32 v[4:5], v[4:5], v[72:73], v[6:7] op_sel_hi:[1,1,0]
	v_mov_b32_e32 v9, v5
	ds_load_2addr_b64 v[4:7], v104 offset0:22 offset1:23
	v_pk_add_f32 v[90:91], v[90:91], v[8:9] neg_lo:[0,1] neg_hi:[0,1]
	s_wait_dscnt 0x0
	v_pk_mul_f32 v[8:9], v[4:5], v[2:3] op_sel:[0,1]
	s_delay_alu instid0(VALU_DEP_1) | instskip(SKIP_1) | instid1(VALU_DEP_1)
	v_pk_fma_f32 v[10:11], v[4:5], v[0:1], v[8:9] op_sel:[0,0,1] op_sel_hi:[1,1,0] neg_lo:[0,0,1] neg_hi:[0,0,1]
	v_pk_fma_f32 v[4:5], v[4:5], v[0:1], v[8:9] op_sel:[0,0,1] op_sel_hi:[1,0,0]
	v_mov_b32_e32 v11, v5
	v_pk_mul_f32 v[4:5], v[6:7], v[2:3] op_sel:[0,1]
	s_delay_alu instid0(VALU_DEP_1) | instskip(SKIP_1) | instid1(VALU_DEP_1)
	v_pk_fma_f32 v[8:9], v[6:7], v[0:1], v[4:5] op_sel:[0,0,1] op_sel_hi:[1,1,0] neg_lo:[0,0,1] neg_hi:[0,0,1]
	v_pk_fma_f32 v[4:5], v[6:7], v[0:1], v[4:5] op_sel:[0,0,1] op_sel_hi:[1,0,0]
	v_mov_b32_e32 v9, v5
	ds_load_2addr_b64 v[4:7], v104 offset0:24 offset1:25
	v_pk_add_f32 v[92:93], v[92:93], v[10:11] neg_lo:[0,1] neg_hi:[0,1]
	v_pk_add_f32 v[88:89], v[88:89], v[8:9] neg_lo:[0,1] neg_hi:[0,1]
	s_wait_dscnt 0x0
	v_pk_mul_f32 v[8:9], v[4:5], v[2:3] op_sel:[0,1]
	s_delay_alu instid0(VALU_DEP_1) | instskip(SKIP_1) | instid1(VALU_DEP_1)
	v_pk_fma_f32 v[10:11], v[4:5], v[0:1], v[8:9] op_sel:[0,0,1] op_sel_hi:[1,1,0] neg_lo:[0,0,1] neg_hi:[0,0,1]
	v_pk_fma_f32 v[4:5], v[4:5], v[0:1], v[8:9] op_sel:[0,0,1] op_sel_hi:[1,0,0]
	v_mov_b32_e32 v11, v5
	v_pk_mul_f32 v[4:5], v[6:7], v[2:3] op_sel:[0,1]
	s_delay_alu instid0(VALU_DEP_1) | instskip(SKIP_1) | instid1(VALU_DEP_1)
	v_pk_fma_f32 v[8:9], v[6:7], v[0:1], v[4:5] op_sel:[0,0,1] op_sel_hi:[1,1,0] neg_lo:[0,0,1] neg_hi:[0,0,1]
	v_pk_fma_f32 v[4:5], v[6:7], v[0:1], v[4:5] op_sel:[0,0,1] op_sel_hi:[1,0,0]
	v_mov_b32_e32 v9, v5
	ds_load_2addr_b64 v[4:7], v104 offset0:26 offset1:27
	v_pk_add_f32 v[112:113], v[112:113], v[10:11] neg_lo:[0,1] neg_hi:[0,1]
	v_pk_add_f32 v[108:109], v[108:109], v[8:9] neg_lo:[0,1] neg_hi:[0,1]
	s_wait_dscnt 0x0
	v_dual_mul_f32 v8, v5, v3 :: v_dual_mul_f32 v10, v5, v0
	s_delay_alu instid0(VALU_DEP_1) | instskip(NEXT) | instid1(VALU_DEP_2)
	v_pk_fma_f32 v[8:9], v[4:5], v[72:73], v[8:9] op_sel_hi:[1,1,0] neg_lo:[0,0,1] neg_hi:[0,0,1]
	v_pk_fma_f32 v[4:5], v[4:5], v[72:73], v[10:11] op_sel:[1,0,0] op_sel_hi:[0,1,0]
	s_delay_alu instid0(VALU_DEP_1) | instskip(SKIP_1) | instid1(VALU_DEP_2)
	v_mov_b32_e32 v9, v5
	v_pk_mul_f32 v[4:5], v[6:7], v[2:3] op_sel:[0,1]
	v_pk_add_f32 v[110:111], v[110:111], v[8:9] neg_lo:[0,1] neg_hi:[0,1]
	s_delay_alu instid0(VALU_DEP_2) | instskip(SKIP_1) | instid1(VALU_DEP_1)
	v_pk_fma_f32 v[8:9], v[6:7], v[0:1], v[4:5] op_sel:[0,0,1] op_sel_hi:[1,1,0] neg_lo:[0,0,1] neg_hi:[0,0,1]
	v_pk_fma_f32 v[4:5], v[6:7], v[0:1], v[4:5] op_sel:[0,0,1] op_sel_hi:[1,0,0]
	v_mov_b32_e32 v9, v5
	ds_load_2addr_b64 v[4:7], v104 offset0:28 offset1:29
	v_pk_add_f32 v[106:107], v[106:107], v[8:9] neg_lo:[0,1] neg_hi:[0,1]
	s_wait_dscnt 0x0
	v_pk_mul_f32 v[8:9], v[4:5], v[2:3] op_sel:[0,1]
	s_delay_alu instid0(VALU_DEP_1) | instskip(SKIP_1) | instid1(VALU_DEP_1)
	v_pk_fma_f32 v[10:11], v[4:5], v[0:1], v[8:9] op_sel:[0,0,1] op_sel_hi:[1,1,0] neg_lo:[0,0,1] neg_hi:[0,0,1]
	v_pk_fma_f32 v[4:5], v[4:5], v[0:1], v[8:9] op_sel:[0,0,1] op_sel_hi:[1,0,0]
	v_mov_b32_e32 v11, v5
	v_pk_mul_f32 v[4:5], v[6:7], v[2:3] op_sel:[0,1]
	s_delay_alu instid0(VALU_DEP_2) | instskip(NEXT) | instid1(VALU_DEP_2)
	v_pk_add_f32 v[128:129], v[128:129], v[10:11] neg_lo:[0,1] neg_hi:[0,1]
	v_pk_fma_f32 v[8:9], v[6:7], v[0:1], v[4:5] op_sel:[0,0,1] op_sel_hi:[1,1,0] neg_lo:[0,0,1] neg_hi:[0,0,1]
	v_pk_fma_f32 v[4:5], v[6:7], v[0:1], v[4:5] op_sel:[0,0,1] op_sel_hi:[1,0,0]
	s_delay_alu instid0(VALU_DEP_1) | instskip(SKIP_4) | instid1(VALU_DEP_1)
	v_mov_b32_e32 v9, v5
	ds_load_2addr_b64 v[4:7], v104 offset0:30 offset1:31
	v_pk_add_f32 v[124:125], v[124:125], v[8:9] neg_lo:[0,1] neg_hi:[0,1]
	s_wait_dscnt 0x0
	v_pk_mul_f32 v[8:9], v[4:5], v[2:3] op_sel:[0,1]
	v_pk_fma_f32 v[10:11], v[4:5], v[0:1], v[8:9] op_sel:[0,0,1] op_sel_hi:[1,1,0] neg_lo:[0,0,1] neg_hi:[0,0,1]
	v_pk_fma_f32 v[4:5], v[4:5], v[0:1], v[8:9] op_sel:[0,0,1] op_sel_hi:[1,0,0]
	v_dual_mul_f32 v8, v7, v3 :: v_dual_mov_b32 v4, v7
	s_delay_alu instid0(VALU_DEP_2) | instskip(NEXT) | instid1(VALU_DEP_2)
	v_dual_mov_b32 v11, v5 :: v_dual_mov_b32 v5, v6
	v_pk_fma_f32 v[8:9], v[6:7], v[72:73], v[8:9] op_sel_hi:[1,1,0] neg_lo:[0,0,1] neg_hi:[0,0,1]
	v_mul_f32_e32 v6, v7, v0
	s_delay_alu instid0(VALU_DEP_3) | instskip(NEXT) | instid1(VALU_DEP_2)
	v_pk_add_f32 v[126:127], v[126:127], v[10:11] neg_lo:[0,1] neg_hi:[0,1]
	v_pk_fma_f32 v[4:5], v[4:5], v[72:73], v[6:7] op_sel_hi:[1,1,0]
	s_delay_alu instid0(VALU_DEP_1) | instskip(SKIP_4) | instid1(VALU_DEP_1)
	v_mov_b32_e32 v9, v5
	ds_load_2addr_b64 v[4:7], v104 offset0:32 offset1:33
	v_pk_add_f32 v[122:123], v[122:123], v[8:9] neg_lo:[0,1] neg_hi:[0,1]
	s_wait_dscnt 0x0
	v_pk_mul_f32 v[8:9], v[4:5], v[2:3] op_sel:[0,1]
	v_pk_fma_f32 v[10:11], v[4:5], v[0:1], v[8:9] op_sel:[0,0,1] op_sel_hi:[1,1,0] neg_lo:[0,0,1] neg_hi:[0,0,1]
	v_pk_fma_f32 v[4:5], v[4:5], v[0:1], v[8:9] op_sel:[0,0,1] op_sel_hi:[1,0,0]
	s_delay_alu instid0(VALU_DEP_1) | instskip(SKIP_1) | instid1(VALU_DEP_1)
	v_mov_b32_e32 v11, v5
	v_pk_mul_f32 v[4:5], v[6:7], v[2:3] op_sel:[0,1]
	v_pk_fma_f32 v[8:9], v[6:7], v[0:1], v[4:5] op_sel:[0,0,1] op_sel_hi:[1,1,0] neg_lo:[0,0,1] neg_hi:[0,0,1]
	v_pk_fma_f32 v[4:5], v[6:7], v[0:1], v[4:5] op_sel:[0,0,1] op_sel_hi:[1,0,0]
	s_delay_alu instid0(VALU_DEP_1)
	v_mov_b32_e32 v9, v5
	ds_load_2addr_b64 v[4:7], v104 offset0:34 offset1:35
	v_pk_add_f32 v[146:147], v[146:147], v[10:11] neg_lo:[0,1] neg_hi:[0,1]
	v_pk_add_f32 v[142:143], v[142:143], v[8:9] neg_lo:[0,1] neg_hi:[0,1]
	s_wait_dscnt 0x0
	v_pk_mul_f32 v[8:9], v[4:5], v[2:3] op_sel:[0,1]
	s_delay_alu instid0(VALU_DEP_1) | instskip(SKIP_1) | instid1(VALU_DEP_1)
	v_pk_fma_f32 v[10:11], v[4:5], v[0:1], v[8:9] op_sel:[0,0,1] op_sel_hi:[1,1,0] neg_lo:[0,0,1] neg_hi:[0,0,1]
	v_pk_fma_f32 v[4:5], v[4:5], v[0:1], v[8:9] op_sel:[0,0,1] op_sel_hi:[1,0,0]
	v_mov_b32_e32 v11, v5
	v_pk_mul_f32 v[4:5], v[6:7], v[2:3] op_sel:[0,1]
	s_delay_alu instid0(VALU_DEP_1) | instskip(SKIP_1) | instid1(VALU_DEP_1)
	v_pk_fma_f32 v[8:9], v[6:7], v[0:1], v[4:5] op_sel:[0,0,1] op_sel_hi:[1,1,0] neg_lo:[0,0,1] neg_hi:[0,0,1]
	v_pk_fma_f32 v[4:5], v[6:7], v[0:1], v[4:5] op_sel:[0,0,1] op_sel_hi:[1,0,0]
	v_mov_b32_e32 v9, v5
	ds_load_2addr_b64 v[4:7], v104 offset0:36 offset1:37
	v_pk_add_f32 v[144:145], v[144:145], v[10:11] neg_lo:[0,1] neg_hi:[0,1]
	v_pk_add_f32 v[140:141], v[140:141], v[8:9] neg_lo:[0,1] neg_hi:[0,1]
	s_wait_dscnt 0x0
	v_dual_mul_f32 v8, v5, v3 :: v_dual_mul_f32 v10, v5, v0
	s_delay_alu instid0(VALU_DEP_1) | instskip(NEXT) | instid1(VALU_DEP_2)
	v_pk_fma_f32 v[8:9], v[4:5], v[72:73], v[8:9] op_sel_hi:[1,1,0] neg_lo:[0,0,1] neg_hi:[0,0,1]
	v_pk_fma_f32 v[4:5], v[4:5], v[72:73], v[10:11] op_sel:[1,0,0] op_sel_hi:[0,1,0]
	s_delay_alu instid0(VALU_DEP_1) | instskip(SKIP_1) | instid1(VALU_DEP_2)
	v_mov_b32_e32 v9, v5
	v_pk_mul_f32 v[4:5], v[6:7], v[2:3] op_sel:[0,1]
	v_pk_add_f32 v[162:163], v[162:163], v[8:9] neg_lo:[0,1] neg_hi:[0,1]
	s_delay_alu instid0(VALU_DEP_2) | instskip(SKIP_1) | instid1(VALU_DEP_1)
	v_pk_fma_f32 v[8:9], v[6:7], v[0:1], v[4:5] op_sel:[0,0,1] op_sel_hi:[1,1,0] neg_lo:[0,0,1] neg_hi:[0,0,1]
	v_pk_fma_f32 v[4:5], v[6:7], v[0:1], v[4:5] op_sel:[0,0,1] op_sel_hi:[1,0,0]
	v_mov_b32_e32 v9, v5
	ds_load_2addr_b64 v[4:7], v104 offset0:38 offset1:39
	v_pk_add_f32 v[158:159], v[158:159], v[8:9] neg_lo:[0,1] neg_hi:[0,1]
	s_wait_dscnt 0x0
	v_pk_mul_f32 v[8:9], v[4:5], v[2:3] op_sel:[0,1]
	s_delay_alu instid0(VALU_DEP_1) | instskip(SKIP_1) | instid1(VALU_DEP_1)
	v_pk_fma_f32 v[10:11], v[4:5], v[0:1], v[8:9] op_sel:[0,0,1] op_sel_hi:[1,1,0] neg_lo:[0,0,1] neg_hi:[0,0,1]
	v_pk_fma_f32 v[4:5], v[4:5], v[0:1], v[8:9] op_sel:[0,0,1] op_sel_hi:[1,0,0]
	v_mov_b32_e32 v11, v5
	v_pk_mul_f32 v[4:5], v[6:7], v[2:3] op_sel:[0,1]
	s_delay_alu instid0(VALU_DEP_2) | instskip(NEXT) | instid1(VALU_DEP_2)
	v_pk_add_f32 v[160:161], v[160:161], v[10:11] neg_lo:[0,1] neg_hi:[0,1]
	v_pk_fma_f32 v[8:9], v[6:7], v[0:1], v[4:5] op_sel:[0,0,1] op_sel_hi:[1,1,0] neg_lo:[0,0,1] neg_hi:[0,0,1]
	v_pk_fma_f32 v[4:5], v[6:7], v[0:1], v[4:5] op_sel:[0,0,1] op_sel_hi:[1,0,0]
	s_delay_alu instid0(VALU_DEP_1) | instskip(SKIP_4) | instid1(VALU_DEP_1)
	v_mov_b32_e32 v9, v5
	ds_load_2addr_b64 v[4:7], v104 offset0:40 offset1:41
	v_pk_add_f32 v[156:157], v[156:157], v[8:9] neg_lo:[0,1] neg_hi:[0,1]
	s_wait_dscnt 0x0
	v_pk_mul_f32 v[8:9], v[4:5], v[2:3] op_sel:[0,1]
	v_pk_fma_f32 v[10:11], v[4:5], v[0:1], v[8:9] op_sel:[0,0,1] op_sel_hi:[1,1,0] neg_lo:[0,0,1] neg_hi:[0,0,1]
	v_pk_fma_f32 v[4:5], v[4:5], v[0:1], v[8:9] op_sel:[0,0,1] op_sel_hi:[1,0,0]
	v_dual_mul_f32 v8, v7, v3 :: v_dual_mov_b32 v4, v7
	s_delay_alu instid0(VALU_DEP_2) | instskip(NEXT) | instid1(VALU_DEP_2)
	v_dual_mov_b32 v11, v5 :: v_dual_mov_b32 v5, v6
	v_pk_fma_f32 v[8:9], v[6:7], v[72:73], v[8:9] op_sel_hi:[1,1,0] neg_lo:[0,0,1] neg_hi:[0,0,1]
	v_mul_f32_e32 v6, v7, v0
	s_delay_alu instid0(VALU_DEP_3) | instskip(NEXT) | instid1(VALU_DEP_2)
	v_pk_add_f32 v[180:181], v[180:181], v[10:11] neg_lo:[0,1] neg_hi:[0,1]
	v_pk_fma_f32 v[4:5], v[4:5], v[72:73], v[6:7] op_sel_hi:[1,1,0]
	s_delay_alu instid0(VALU_DEP_1) | instskip(SKIP_4) | instid1(VALU_DEP_1)
	v_mov_b32_e32 v9, v5
	ds_load_2addr_b64 v[4:7], v104 offset0:42 offset1:43
	v_pk_add_f32 v[176:177], v[176:177], v[8:9] neg_lo:[0,1] neg_hi:[0,1]
	s_wait_dscnt 0x0
	v_pk_mul_f32 v[8:9], v[4:5], v[2:3] op_sel:[0,1]
	v_pk_fma_f32 v[10:11], v[4:5], v[0:1], v[8:9] op_sel:[0,0,1] op_sel_hi:[1,1,0] neg_lo:[0,0,1] neg_hi:[0,0,1]
	v_pk_fma_f32 v[4:5], v[4:5], v[0:1], v[8:9] op_sel:[0,0,1] op_sel_hi:[1,0,0]
	s_delay_alu instid0(VALU_DEP_1) | instskip(SKIP_1) | instid1(VALU_DEP_1)
	v_mov_b32_e32 v11, v5
	v_pk_mul_f32 v[4:5], v[6:7], v[2:3] op_sel:[0,1]
	v_pk_fma_f32 v[8:9], v[6:7], v[0:1], v[4:5] op_sel:[0,0,1] op_sel_hi:[1,1,0] neg_lo:[0,0,1] neg_hi:[0,0,1]
	v_pk_fma_f32 v[4:5], v[6:7], v[0:1], v[4:5] op_sel:[0,0,1] op_sel_hi:[1,0,0]
	s_delay_alu instid0(VALU_DEP_1)
	v_mov_b32_e32 v9, v5
	ds_load_2addr_b64 v[4:7], v104 offset0:44 offset1:45
	v_pk_add_f32 v[178:179], v[178:179], v[10:11] neg_lo:[0,1] neg_hi:[0,1]
	v_pk_add_f32 v[174:175], v[174:175], v[8:9] neg_lo:[0,1] neg_hi:[0,1]
	s_wait_dscnt 0x0
	v_pk_mul_f32 v[8:9], v[4:5], v[2:3] op_sel:[0,1]
	s_delay_alu instid0(VALU_DEP_1) | instskip(SKIP_1) | instid1(VALU_DEP_1)
	v_pk_fma_f32 v[10:11], v[4:5], v[0:1], v[8:9] op_sel:[0,0,1] op_sel_hi:[1,1,0] neg_lo:[0,0,1] neg_hi:[0,0,1]
	v_pk_fma_f32 v[4:5], v[4:5], v[0:1], v[8:9] op_sel:[0,0,1] op_sel_hi:[1,0,0]
	v_mov_b32_e32 v11, v5
	v_pk_mul_f32 v[4:5], v[6:7], v[2:3] op_sel:[0,1]
	s_delay_alu instid0(VALU_DEP_1) | instskip(SKIP_1) | instid1(VALU_DEP_1)
	v_pk_fma_f32 v[8:9], v[6:7], v[0:1], v[4:5] op_sel:[0,0,1] op_sel_hi:[1,1,0] neg_lo:[0,0,1] neg_hi:[0,0,1]
	v_pk_fma_f32 v[4:5], v[6:7], v[0:1], v[4:5] op_sel:[0,0,1] op_sel_hi:[1,0,0]
	v_mov_b32_e32 v9, v5
	ds_load_2addr_b64 v[4:7], v104 offset0:46 offset1:47
	v_pk_add_f32 v[200:201], v[200:201], v[10:11] neg_lo:[0,1] neg_hi:[0,1]
	v_pk_add_f32 v[194:195], v[194:195], v[8:9] neg_lo:[0,1] neg_hi:[0,1]
	s_wait_dscnt 0x0
	v_dual_mul_f32 v8, v5, v3 :: v_dual_mul_f32 v10, v5, v0
	s_delay_alu instid0(VALU_DEP_1) | instskip(NEXT) | instid1(VALU_DEP_2)
	v_pk_fma_f32 v[8:9], v[4:5], v[72:73], v[8:9] op_sel_hi:[1,1,0] neg_lo:[0,0,1] neg_hi:[0,0,1]
	v_pk_fma_f32 v[4:5], v[4:5], v[72:73], v[10:11] op_sel:[1,0,0] op_sel_hi:[0,1,0]
	s_delay_alu instid0(VALU_DEP_1) | instskip(SKIP_1) | instid1(VALU_DEP_2)
	v_mov_b32_e32 v9, v5
	v_pk_mul_f32 v[4:5], v[6:7], v[2:3] op_sel:[0,1]
	v_pk_add_f32 v[198:199], v[198:199], v[8:9] neg_lo:[0,1] neg_hi:[0,1]
	s_delay_alu instid0(VALU_DEP_2) | instskip(SKIP_1) | instid1(VALU_DEP_1)
	v_pk_fma_f32 v[8:9], v[6:7], v[0:1], v[4:5] op_sel:[0,0,1] op_sel_hi:[1,1,0] neg_lo:[0,0,1] neg_hi:[0,0,1]
	v_pk_fma_f32 v[4:5], v[6:7], v[0:1], v[4:5] op_sel:[0,0,1] op_sel_hi:[1,0,0]
	v_mov_b32_e32 v9, v5
	ds_load_2addr_b64 v[4:7], v104 offset0:48 offset1:49
	v_pk_add_f32 v[192:193], v[192:193], v[8:9] neg_lo:[0,1] neg_hi:[0,1]
	s_wait_dscnt 0x0
	v_pk_mul_f32 v[8:9], v[4:5], v[2:3] op_sel:[0,1]
	s_delay_alu instid0(VALU_DEP_1) | instskip(SKIP_1) | instid1(VALU_DEP_1)
	v_pk_fma_f32 v[10:11], v[4:5], v[0:1], v[8:9] op_sel:[0,0,1] op_sel_hi:[1,1,0] neg_lo:[0,0,1] neg_hi:[0,0,1]
	v_pk_fma_f32 v[4:5], v[4:5], v[0:1], v[8:9] op_sel:[0,0,1] op_sel_hi:[1,0,0]
	v_mov_b32_e32 v11, v5
	v_pk_mul_f32 v[4:5], v[6:7], v[2:3] op_sel:[0,1]
	s_delay_alu instid0(VALU_DEP_2) | instskip(NEXT) | instid1(VALU_DEP_2)
	v_pk_add_f32 v[196:197], v[196:197], v[10:11] neg_lo:[0,1] neg_hi:[0,1]
	v_pk_fma_f32 v[8:9], v[6:7], v[0:1], v[4:5] op_sel:[0,0,1] op_sel_hi:[1,1,0] neg_lo:[0,0,1] neg_hi:[0,0,1]
	v_pk_fma_f32 v[4:5], v[6:7], v[0:1], v[4:5] op_sel:[0,0,1] op_sel_hi:[1,0,0]
	s_delay_alu instid0(VALU_DEP_1) | instskip(SKIP_4) | instid1(VALU_DEP_1)
	v_mov_b32_e32 v9, v5
	ds_load_b64 v[4:5], v104 offset:400
	v_pk_add_f32 v[202:203], v[202:203], v[8:9] neg_lo:[0,1] neg_hi:[0,1]
	s_wait_dscnt 0x0
	v_pk_mul_f32 v[2:3], v[4:5], v[2:3] op_sel:[0,1]
	v_pk_fma_f32 v[6:7], v[4:5], v[0:1], v[2:3] op_sel:[0,0,1] op_sel_hi:[1,1,0] neg_lo:[0,0,1] neg_hi:[0,0,1]
	v_pk_fma_f32 v[0:1], v[4:5], v[0:1], v[2:3] op_sel:[0,0,1] op_sel_hi:[1,0,0]
	s_delay_alu instid0(VALU_DEP_1) | instskip(NEXT) | instid1(VALU_DEP_1)
	v_mov_b32_e32 v7, v1
	v_pk_add_f32 v[204:205], v[204:205], v[6:7] neg_lo:[0,1] neg_hi:[0,1]
.LBB101_163:
	s_wait_xcnt 0x0
	s_or_b32 exec_lo, exec_lo, s1
	s_delay_alu instid0(SALU_CYCLE_1)
	s_mov_b32 s2, exec_lo
	s_wait_storecnt 0x0
	s_barrier_signal -1
	s_barrier_wait -1
	v_cmpx_eq_u32_e32 18, v102
	s_cbranch_execz .LBB101_170
; %bb.164:
	ds_store_b64 v103, v[74:75]
	ds_store_2addr_b64 v104, v[70:71], v[94:95] offset0:19 offset1:20
	ds_store_2addr_b64 v104, v[90:91], v[92:93] offset0:21 offset1:22
	;; [unrolled: 1-line block ×16, first 2 shown]
	ds_load_b64 v[0:1], v103
	s_wait_dscnt 0x0
	v_cmp_neq_f32_e32 vcc_lo, 0, v0
	v_cmp_neq_f32_e64 s1, 0, v1
	s_or_b32 s1, vcc_lo, s1
	s_delay_alu instid0(SALU_CYCLE_1)
	s_and_b32 exec_lo, exec_lo, s1
	s_cbranch_execz .LBB101_170
; %bb.165:
	v_cmp_ngt_f32_e64 s1, |v0|, |v1|
                                        ; implicit-def: $vgpr2_vgpr3
	s_and_saveexec_b32 s4, s1
	s_delay_alu instid0(SALU_CYCLE_1)
	s_xor_b32 s1, exec_lo, s4
	s_cbranch_execz .LBB101_167
; %bb.166:
	v_div_scale_f32 v2, null, v1, v1, v0
	v_div_scale_f32 v5, vcc_lo, v0, v1, v0
	s_delay_alu instid0(VALU_DEP_2) | instskip(SKIP_1) | instid1(TRANS32_DEP_1)
	v_rcp_f32_e32 v3, v2
	v_nop
	v_fma_f32 v4, -v2, v3, 1.0
	s_delay_alu instid0(VALU_DEP_1) | instskip(NEXT) | instid1(VALU_DEP_1)
	v_fmac_f32_e32 v3, v4, v3
	v_mul_f32_e32 v4, v5, v3
	s_delay_alu instid0(VALU_DEP_1) | instskip(NEXT) | instid1(VALU_DEP_1)
	v_fma_f32 v6, -v2, v4, v5
	v_fmac_f32_e32 v4, v6, v3
	s_delay_alu instid0(VALU_DEP_1) | instskip(NEXT) | instid1(VALU_DEP_1)
	v_fma_f32 v2, -v2, v4, v5
	v_div_fmas_f32 v2, v2, v3, v4
	s_delay_alu instid0(VALU_DEP_1) | instskip(NEXT) | instid1(VALU_DEP_1)
	v_div_fixup_f32 v2, v2, v1, v0
	v_fmac_f32_e32 v1, v0, v2
	s_delay_alu instid0(VALU_DEP_1) | instskip(SKIP_1) | instid1(VALU_DEP_2)
	v_div_scale_f32 v0, null, v1, v1, 1.0
	v_div_scale_f32 v5, vcc_lo, 1.0, v1, 1.0
	v_rcp_f32_e32 v3, v0
	v_nop
	s_delay_alu instid0(TRANS32_DEP_1) | instskip(NEXT) | instid1(VALU_DEP_1)
	v_fma_f32 v4, -v0, v3, 1.0
	v_fmac_f32_e32 v3, v4, v3
	s_delay_alu instid0(VALU_DEP_1) | instskip(NEXT) | instid1(VALU_DEP_1)
	v_mul_f32_e32 v4, v5, v3
	v_fma_f32 v6, -v0, v4, v5
	s_delay_alu instid0(VALU_DEP_1) | instskip(NEXT) | instid1(VALU_DEP_1)
	v_fmac_f32_e32 v4, v6, v3
	v_fma_f32 v0, -v0, v4, v5
	s_delay_alu instid0(VALU_DEP_1) | instskip(NEXT) | instid1(VALU_DEP_1)
	v_div_fmas_f32 v0, v0, v3, v4
	v_div_fixup_f32 v0, v0, v1, 1.0
	s_delay_alu instid0(VALU_DEP_1)
	v_mul_f32_e32 v2, v2, v0
	v_xor_b32_e32 v3, 0x80000000, v0
                                        ; implicit-def: $vgpr0_vgpr1
.LBB101_167:
	s_and_not1_saveexec_b32 s1, s1
	s_cbranch_execz .LBB101_169
; %bb.168:
	v_div_scale_f32 v2, null, v0, v0, v1
	v_div_scale_f32 v5, vcc_lo, v1, v0, v1
	s_delay_alu instid0(VALU_DEP_2) | instskip(SKIP_1) | instid1(TRANS32_DEP_1)
	v_rcp_f32_e32 v3, v2
	v_nop
	v_fma_f32 v4, -v2, v3, 1.0
	s_delay_alu instid0(VALU_DEP_1) | instskip(NEXT) | instid1(VALU_DEP_1)
	v_fmac_f32_e32 v3, v4, v3
	v_mul_f32_e32 v4, v5, v3
	s_delay_alu instid0(VALU_DEP_1) | instskip(NEXT) | instid1(VALU_DEP_1)
	v_fma_f32 v6, -v2, v4, v5
	v_fmac_f32_e32 v4, v6, v3
	s_delay_alu instid0(VALU_DEP_1) | instskip(NEXT) | instid1(VALU_DEP_1)
	v_fma_f32 v2, -v2, v4, v5
	v_div_fmas_f32 v2, v2, v3, v4
	s_delay_alu instid0(VALU_DEP_1) | instskip(NEXT) | instid1(VALU_DEP_1)
	v_div_fixup_f32 v3, v2, v0, v1
	v_fmac_f32_e32 v0, v1, v3
	s_delay_alu instid0(VALU_DEP_1) | instskip(NEXT) | instid1(VALU_DEP_1)
	v_div_scale_f32 v1, null, v0, v0, 1.0
	v_rcp_f32_e32 v2, v1
	v_nop
	s_delay_alu instid0(TRANS32_DEP_1) | instskip(NEXT) | instid1(VALU_DEP_1)
	v_fma_f32 v4, -v1, v2, 1.0
	v_fmac_f32_e32 v2, v4, v2
	v_div_scale_f32 v4, vcc_lo, 1.0, v0, 1.0
	s_delay_alu instid0(VALU_DEP_1) | instskip(NEXT) | instid1(VALU_DEP_1)
	v_mul_f32_e32 v5, v4, v2
	v_fma_f32 v6, -v1, v5, v4
	s_delay_alu instid0(VALU_DEP_1) | instskip(NEXT) | instid1(VALU_DEP_1)
	v_fmac_f32_e32 v5, v6, v2
	v_fma_f32 v1, -v1, v5, v4
	s_delay_alu instid0(VALU_DEP_1) | instskip(NEXT) | instid1(VALU_DEP_1)
	v_div_fmas_f32 v1, v1, v2, v5
	v_div_fixup_f32 v2, v1, v0, 1.0
	s_delay_alu instid0(VALU_DEP_1)
	v_mul_f32_e64 v3, v3, -v2
.LBB101_169:
	s_or_b32 exec_lo, exec_lo, s1
	ds_store_b64 v103, v[2:3]
.LBB101_170:
	s_or_b32 exec_lo, exec_lo, s2
	s_wait_dscnt 0x0
	s_barrier_signal -1
	s_barrier_wait -1
	ds_load_b64 v[0:1], v103
	s_mov_b32 s1, exec_lo
	s_wait_dscnt 0x0
	scratch_store_b64 off, v[0:1], off offset:192 ; 8-byte Folded Spill
	s_wait_xcnt 0x0
	v_cmpx_lt_u32_e32 18, v102
	s_cbranch_execz .LBB101_172
; %bb.171:
	scratch_load_b64 v[4:5], off, off offset:192 ; 8-byte Folded Reload
	s_wait_loadcnt 0x0
	v_pk_mul_f32 v[2:3], v[4:5], v[74:75] op_sel:[1,1] op_sel_hi:[0,1]
	s_delay_alu instid0(VALU_DEP_1)
	v_pk_fma_f32 v[0:1], v[4:5], v[74:75], v[2:3] op_sel_hi:[1,0,1] neg_lo:[0,0,1] neg_hi:[0,0,1]
	v_pk_fma_f32 v[2:3], v[4:5], v[74:75], v[2:3] op_sel_hi:[1,0,1]
	ds_load_2addr_b64 v[4:7], v104 offset0:19 offset1:20
	v_dual_mov_b32 v74, v0 :: v_dual_mov_b32 v75, v3
	s_wait_dscnt 0x0
	v_pk_mul_f32 v[8:9], v[4:5], v[2:3] op_sel:[0,1]
	s_delay_alu instid0(VALU_DEP_1) | instskip(SKIP_1) | instid1(VALU_DEP_1)
	v_pk_fma_f32 v[10:11], v[4:5], v[0:1], v[8:9] op_sel:[0,0,1] op_sel_hi:[1,1,0] neg_lo:[0,0,1] neg_hi:[0,0,1]
	v_pk_fma_f32 v[4:5], v[4:5], v[0:1], v[8:9] op_sel:[0,0,1] op_sel_hi:[1,0,0]
	v_mov_b32_e32 v11, v5
	v_pk_mul_f32 v[4:5], v[6:7], v[2:3] op_sel:[0,1]
	s_delay_alu instid0(VALU_DEP_1) | instskip(SKIP_1) | instid1(VALU_DEP_1)
	v_pk_fma_f32 v[8:9], v[6:7], v[0:1], v[4:5] op_sel:[0,0,1] op_sel_hi:[1,1,0] neg_lo:[0,0,1] neg_hi:[0,0,1]
	v_pk_fma_f32 v[4:5], v[6:7], v[0:1], v[4:5] op_sel:[0,0,1] op_sel_hi:[1,0,0]
	v_mov_b32_e32 v9, v5
	ds_load_2addr_b64 v[4:7], v104 offset0:21 offset1:22
	v_pk_add_f32 v[70:71], v[70:71], v[10:11] neg_lo:[0,1] neg_hi:[0,1]
	v_pk_add_f32 v[94:95], v[94:95], v[8:9] neg_lo:[0,1] neg_hi:[0,1]
	s_wait_dscnt 0x0
	v_pk_mul_f32 v[8:9], v[4:5], v[2:3] op_sel:[0,1]
	s_delay_alu instid0(VALU_DEP_1) | instskip(SKIP_2) | instid1(VALU_DEP_2)
	v_pk_fma_f32 v[10:11], v[4:5], v[0:1], v[8:9] op_sel:[0,0,1] op_sel_hi:[1,1,0] neg_lo:[0,0,1] neg_hi:[0,0,1]
	v_pk_fma_f32 v[4:5], v[4:5], v[0:1], v[8:9] op_sel:[0,0,1] op_sel_hi:[1,0,0]
	v_dual_mul_f32 v8, v7, v3 :: v_dual_mov_b32 v4, v7
	v_dual_mov_b32 v11, v5 :: v_dual_mov_b32 v5, v6
	s_delay_alu instid0(VALU_DEP_2) | instskip(SKIP_1) | instid1(VALU_DEP_3)
	v_pk_fma_f32 v[8:9], v[6:7], v[74:75], v[8:9] op_sel_hi:[1,1,0] neg_lo:[0,0,1] neg_hi:[0,0,1]
	v_mul_f32_e32 v6, v7, v0
	v_pk_add_f32 v[90:91], v[90:91], v[10:11] neg_lo:[0,1] neg_hi:[0,1]
	s_delay_alu instid0(VALU_DEP_2) | instskip(NEXT) | instid1(VALU_DEP_1)
	v_pk_fma_f32 v[4:5], v[4:5], v[74:75], v[6:7] op_sel_hi:[1,1,0]
	v_mov_b32_e32 v9, v5
	ds_load_2addr_b64 v[4:7], v104 offset0:23 offset1:24
	v_pk_add_f32 v[92:93], v[92:93], v[8:9] neg_lo:[0,1] neg_hi:[0,1]
	s_wait_dscnt 0x0
	v_pk_mul_f32 v[8:9], v[4:5], v[2:3] op_sel:[0,1]
	s_delay_alu instid0(VALU_DEP_1) | instskip(SKIP_1) | instid1(VALU_DEP_1)
	v_pk_fma_f32 v[10:11], v[4:5], v[0:1], v[8:9] op_sel:[0,0,1] op_sel_hi:[1,1,0] neg_lo:[0,0,1] neg_hi:[0,0,1]
	v_pk_fma_f32 v[4:5], v[4:5], v[0:1], v[8:9] op_sel:[0,0,1] op_sel_hi:[1,0,0]
	v_mov_b32_e32 v11, v5
	v_pk_mul_f32 v[4:5], v[6:7], v[2:3] op_sel:[0,1]
	s_delay_alu instid0(VALU_DEP_1) | instskip(SKIP_1) | instid1(VALU_DEP_1)
	v_pk_fma_f32 v[8:9], v[6:7], v[0:1], v[4:5] op_sel:[0,0,1] op_sel_hi:[1,1,0] neg_lo:[0,0,1] neg_hi:[0,0,1]
	v_pk_fma_f32 v[4:5], v[6:7], v[0:1], v[4:5] op_sel:[0,0,1] op_sel_hi:[1,0,0]
	v_mov_b32_e32 v9, v5
	ds_load_2addr_b64 v[4:7], v104 offset0:25 offset1:26
	v_pk_add_f32 v[88:89], v[88:89], v[10:11] neg_lo:[0,1] neg_hi:[0,1]
	v_pk_add_f32 v[112:113], v[112:113], v[8:9] neg_lo:[0,1] neg_hi:[0,1]
	s_wait_dscnt 0x0
	v_pk_mul_f32 v[8:9], v[4:5], v[2:3] op_sel:[0,1]
	s_delay_alu instid0(VALU_DEP_1) | instskip(SKIP_1) | instid1(VALU_DEP_1)
	v_pk_fma_f32 v[10:11], v[4:5], v[0:1], v[8:9] op_sel:[0,0,1] op_sel_hi:[1,1,0] neg_lo:[0,0,1] neg_hi:[0,0,1]
	v_pk_fma_f32 v[4:5], v[4:5], v[0:1], v[8:9] op_sel:[0,0,1] op_sel_hi:[1,0,0]
	v_mov_b32_e32 v11, v5
	v_pk_mul_f32 v[4:5], v[6:7], v[2:3] op_sel:[0,1]
	s_delay_alu instid0(VALU_DEP_1) | instskip(SKIP_1) | instid1(VALU_DEP_1)
	v_pk_fma_f32 v[8:9], v[6:7], v[0:1], v[4:5] op_sel:[0,0,1] op_sel_hi:[1,1,0] neg_lo:[0,0,1] neg_hi:[0,0,1]
	v_pk_fma_f32 v[4:5], v[6:7], v[0:1], v[4:5] op_sel:[0,0,1] op_sel_hi:[1,0,0]
	v_mov_b32_e32 v9, v5
	ds_load_2addr_b64 v[4:7], v104 offset0:27 offset1:28
	v_pk_add_f32 v[108:109], v[108:109], v[10:11] neg_lo:[0,1] neg_hi:[0,1]
	v_pk_add_f32 v[110:111], v[110:111], v[8:9] neg_lo:[0,1] neg_hi:[0,1]
	s_wait_dscnt 0x0
	v_dual_mul_f32 v8, v5, v3 :: v_dual_mul_f32 v10, v5, v0
	s_delay_alu instid0(VALU_DEP_1) | instskip(NEXT) | instid1(VALU_DEP_2)
	v_pk_fma_f32 v[8:9], v[4:5], v[74:75], v[8:9] op_sel_hi:[1,1,0] neg_lo:[0,0,1] neg_hi:[0,0,1]
	v_pk_fma_f32 v[4:5], v[4:5], v[74:75], v[10:11] op_sel:[1,0,0] op_sel_hi:[0,1,0]
	s_delay_alu instid0(VALU_DEP_1) | instskip(SKIP_1) | instid1(VALU_DEP_2)
	v_mov_b32_e32 v9, v5
	v_pk_mul_f32 v[4:5], v[6:7], v[2:3] op_sel:[0,1]
	v_pk_add_f32 v[106:107], v[106:107], v[8:9] neg_lo:[0,1] neg_hi:[0,1]
	s_delay_alu instid0(VALU_DEP_2) | instskip(SKIP_1) | instid1(VALU_DEP_1)
	v_pk_fma_f32 v[8:9], v[6:7], v[0:1], v[4:5] op_sel:[0,0,1] op_sel_hi:[1,1,0] neg_lo:[0,0,1] neg_hi:[0,0,1]
	v_pk_fma_f32 v[4:5], v[6:7], v[0:1], v[4:5] op_sel:[0,0,1] op_sel_hi:[1,0,0]
	v_mov_b32_e32 v9, v5
	ds_load_2addr_b64 v[4:7], v104 offset0:29 offset1:30
	v_pk_add_f32 v[128:129], v[128:129], v[8:9] neg_lo:[0,1] neg_hi:[0,1]
	s_wait_dscnt 0x0
	v_pk_mul_f32 v[8:9], v[4:5], v[2:3] op_sel:[0,1]
	s_delay_alu instid0(VALU_DEP_1) | instskip(SKIP_1) | instid1(VALU_DEP_1)
	v_pk_fma_f32 v[10:11], v[4:5], v[0:1], v[8:9] op_sel:[0,0,1] op_sel_hi:[1,1,0] neg_lo:[0,0,1] neg_hi:[0,0,1]
	v_pk_fma_f32 v[4:5], v[4:5], v[0:1], v[8:9] op_sel:[0,0,1] op_sel_hi:[1,0,0]
	v_mov_b32_e32 v11, v5
	v_pk_mul_f32 v[4:5], v[6:7], v[2:3] op_sel:[0,1]
	s_delay_alu instid0(VALU_DEP_2) | instskip(NEXT) | instid1(VALU_DEP_2)
	v_pk_add_f32 v[124:125], v[124:125], v[10:11] neg_lo:[0,1] neg_hi:[0,1]
	v_pk_fma_f32 v[8:9], v[6:7], v[0:1], v[4:5] op_sel:[0,0,1] op_sel_hi:[1,1,0] neg_lo:[0,0,1] neg_hi:[0,0,1]
	v_pk_fma_f32 v[4:5], v[6:7], v[0:1], v[4:5] op_sel:[0,0,1] op_sel_hi:[1,0,0]
	s_delay_alu instid0(VALU_DEP_1) | instskip(SKIP_4) | instid1(VALU_DEP_1)
	v_mov_b32_e32 v9, v5
	ds_load_2addr_b64 v[4:7], v104 offset0:31 offset1:32
	v_pk_add_f32 v[126:127], v[126:127], v[8:9] neg_lo:[0,1] neg_hi:[0,1]
	s_wait_dscnt 0x0
	v_pk_mul_f32 v[8:9], v[4:5], v[2:3] op_sel:[0,1]
	v_pk_fma_f32 v[10:11], v[4:5], v[0:1], v[8:9] op_sel:[0,0,1] op_sel_hi:[1,1,0] neg_lo:[0,0,1] neg_hi:[0,0,1]
	v_pk_fma_f32 v[4:5], v[4:5], v[0:1], v[8:9] op_sel:[0,0,1] op_sel_hi:[1,0,0]
	v_dual_mul_f32 v8, v7, v3 :: v_dual_mov_b32 v4, v7
	s_delay_alu instid0(VALU_DEP_2) | instskip(NEXT) | instid1(VALU_DEP_2)
	v_dual_mov_b32 v11, v5 :: v_dual_mov_b32 v5, v6
	v_pk_fma_f32 v[8:9], v[6:7], v[74:75], v[8:9] op_sel_hi:[1,1,0] neg_lo:[0,0,1] neg_hi:[0,0,1]
	v_mul_f32_e32 v6, v7, v0
	s_delay_alu instid0(VALU_DEP_3) | instskip(NEXT) | instid1(VALU_DEP_2)
	v_pk_add_f32 v[122:123], v[122:123], v[10:11] neg_lo:[0,1] neg_hi:[0,1]
	v_pk_fma_f32 v[4:5], v[4:5], v[74:75], v[6:7] op_sel_hi:[1,1,0]
	s_delay_alu instid0(VALU_DEP_1) | instskip(SKIP_4) | instid1(VALU_DEP_1)
	v_mov_b32_e32 v9, v5
	ds_load_2addr_b64 v[4:7], v104 offset0:33 offset1:34
	v_pk_add_f32 v[146:147], v[146:147], v[8:9] neg_lo:[0,1] neg_hi:[0,1]
	s_wait_dscnt 0x0
	v_pk_mul_f32 v[8:9], v[4:5], v[2:3] op_sel:[0,1]
	v_pk_fma_f32 v[10:11], v[4:5], v[0:1], v[8:9] op_sel:[0,0,1] op_sel_hi:[1,1,0] neg_lo:[0,0,1] neg_hi:[0,0,1]
	v_pk_fma_f32 v[4:5], v[4:5], v[0:1], v[8:9] op_sel:[0,0,1] op_sel_hi:[1,0,0]
	s_delay_alu instid0(VALU_DEP_1) | instskip(SKIP_1) | instid1(VALU_DEP_1)
	v_mov_b32_e32 v11, v5
	v_pk_mul_f32 v[4:5], v[6:7], v[2:3] op_sel:[0,1]
	v_pk_fma_f32 v[8:9], v[6:7], v[0:1], v[4:5] op_sel:[0,0,1] op_sel_hi:[1,1,0] neg_lo:[0,0,1] neg_hi:[0,0,1]
	v_pk_fma_f32 v[4:5], v[6:7], v[0:1], v[4:5] op_sel:[0,0,1] op_sel_hi:[1,0,0]
	s_delay_alu instid0(VALU_DEP_1)
	v_mov_b32_e32 v9, v5
	ds_load_2addr_b64 v[4:7], v104 offset0:35 offset1:36
	v_pk_add_f32 v[142:143], v[142:143], v[10:11] neg_lo:[0,1] neg_hi:[0,1]
	v_pk_add_f32 v[144:145], v[144:145], v[8:9] neg_lo:[0,1] neg_hi:[0,1]
	s_wait_dscnt 0x0
	v_pk_mul_f32 v[8:9], v[4:5], v[2:3] op_sel:[0,1]
	s_delay_alu instid0(VALU_DEP_1) | instskip(SKIP_1) | instid1(VALU_DEP_1)
	v_pk_fma_f32 v[10:11], v[4:5], v[0:1], v[8:9] op_sel:[0,0,1] op_sel_hi:[1,1,0] neg_lo:[0,0,1] neg_hi:[0,0,1]
	v_pk_fma_f32 v[4:5], v[4:5], v[0:1], v[8:9] op_sel:[0,0,1] op_sel_hi:[1,0,0]
	v_mov_b32_e32 v11, v5
	v_pk_mul_f32 v[4:5], v[6:7], v[2:3] op_sel:[0,1]
	s_delay_alu instid0(VALU_DEP_1) | instskip(SKIP_1) | instid1(VALU_DEP_1)
	v_pk_fma_f32 v[8:9], v[6:7], v[0:1], v[4:5] op_sel:[0,0,1] op_sel_hi:[1,1,0] neg_lo:[0,0,1] neg_hi:[0,0,1]
	v_pk_fma_f32 v[4:5], v[6:7], v[0:1], v[4:5] op_sel:[0,0,1] op_sel_hi:[1,0,0]
	v_mov_b32_e32 v9, v5
	ds_load_2addr_b64 v[4:7], v104 offset0:37 offset1:38
	v_pk_add_f32 v[140:141], v[140:141], v[10:11] neg_lo:[0,1] neg_hi:[0,1]
	v_pk_add_f32 v[162:163], v[162:163], v[8:9] neg_lo:[0,1] neg_hi:[0,1]
	s_wait_dscnt 0x0
	v_dual_mul_f32 v8, v5, v3 :: v_dual_mul_f32 v10, v5, v0
	s_delay_alu instid0(VALU_DEP_1) | instskip(NEXT) | instid1(VALU_DEP_2)
	v_pk_fma_f32 v[8:9], v[4:5], v[74:75], v[8:9] op_sel_hi:[1,1,0] neg_lo:[0,0,1] neg_hi:[0,0,1]
	v_pk_fma_f32 v[4:5], v[4:5], v[74:75], v[10:11] op_sel:[1,0,0] op_sel_hi:[0,1,0]
	s_delay_alu instid0(VALU_DEP_1) | instskip(SKIP_1) | instid1(VALU_DEP_2)
	v_mov_b32_e32 v9, v5
	v_pk_mul_f32 v[4:5], v[6:7], v[2:3] op_sel:[0,1]
	v_pk_add_f32 v[158:159], v[158:159], v[8:9] neg_lo:[0,1] neg_hi:[0,1]
	s_delay_alu instid0(VALU_DEP_2) | instskip(SKIP_1) | instid1(VALU_DEP_1)
	v_pk_fma_f32 v[8:9], v[6:7], v[0:1], v[4:5] op_sel:[0,0,1] op_sel_hi:[1,1,0] neg_lo:[0,0,1] neg_hi:[0,0,1]
	v_pk_fma_f32 v[4:5], v[6:7], v[0:1], v[4:5] op_sel:[0,0,1] op_sel_hi:[1,0,0]
	v_mov_b32_e32 v9, v5
	ds_load_2addr_b64 v[4:7], v104 offset0:39 offset1:40
	v_pk_add_f32 v[160:161], v[160:161], v[8:9] neg_lo:[0,1] neg_hi:[0,1]
	s_wait_dscnt 0x0
	v_pk_mul_f32 v[8:9], v[4:5], v[2:3] op_sel:[0,1]
	s_delay_alu instid0(VALU_DEP_1) | instskip(SKIP_1) | instid1(VALU_DEP_1)
	v_pk_fma_f32 v[10:11], v[4:5], v[0:1], v[8:9] op_sel:[0,0,1] op_sel_hi:[1,1,0] neg_lo:[0,0,1] neg_hi:[0,0,1]
	v_pk_fma_f32 v[4:5], v[4:5], v[0:1], v[8:9] op_sel:[0,0,1] op_sel_hi:[1,0,0]
	v_mov_b32_e32 v11, v5
	v_pk_mul_f32 v[4:5], v[6:7], v[2:3] op_sel:[0,1]
	s_delay_alu instid0(VALU_DEP_2) | instskip(NEXT) | instid1(VALU_DEP_2)
	v_pk_add_f32 v[156:157], v[156:157], v[10:11] neg_lo:[0,1] neg_hi:[0,1]
	v_pk_fma_f32 v[8:9], v[6:7], v[0:1], v[4:5] op_sel:[0,0,1] op_sel_hi:[1,1,0] neg_lo:[0,0,1] neg_hi:[0,0,1]
	v_pk_fma_f32 v[4:5], v[6:7], v[0:1], v[4:5] op_sel:[0,0,1] op_sel_hi:[1,0,0]
	s_delay_alu instid0(VALU_DEP_1) | instskip(SKIP_4) | instid1(VALU_DEP_1)
	v_mov_b32_e32 v9, v5
	ds_load_2addr_b64 v[4:7], v104 offset0:41 offset1:42
	v_pk_add_f32 v[180:181], v[180:181], v[8:9] neg_lo:[0,1] neg_hi:[0,1]
	s_wait_dscnt 0x0
	v_pk_mul_f32 v[8:9], v[4:5], v[2:3] op_sel:[0,1]
	v_pk_fma_f32 v[10:11], v[4:5], v[0:1], v[8:9] op_sel:[0,0,1] op_sel_hi:[1,1,0] neg_lo:[0,0,1] neg_hi:[0,0,1]
	v_pk_fma_f32 v[4:5], v[4:5], v[0:1], v[8:9] op_sel:[0,0,1] op_sel_hi:[1,0,0]
	v_dual_mul_f32 v8, v7, v3 :: v_dual_mov_b32 v4, v7
	s_delay_alu instid0(VALU_DEP_2) | instskip(NEXT) | instid1(VALU_DEP_2)
	v_dual_mov_b32 v11, v5 :: v_dual_mov_b32 v5, v6
	v_pk_fma_f32 v[8:9], v[6:7], v[74:75], v[8:9] op_sel_hi:[1,1,0] neg_lo:[0,0,1] neg_hi:[0,0,1]
	v_mul_f32_e32 v6, v7, v0
	s_delay_alu instid0(VALU_DEP_3) | instskip(NEXT) | instid1(VALU_DEP_2)
	v_pk_add_f32 v[176:177], v[176:177], v[10:11] neg_lo:[0,1] neg_hi:[0,1]
	v_pk_fma_f32 v[4:5], v[4:5], v[74:75], v[6:7] op_sel_hi:[1,1,0]
	s_delay_alu instid0(VALU_DEP_1) | instskip(SKIP_4) | instid1(VALU_DEP_1)
	v_mov_b32_e32 v9, v5
	ds_load_2addr_b64 v[4:7], v104 offset0:43 offset1:44
	v_pk_add_f32 v[178:179], v[178:179], v[8:9] neg_lo:[0,1] neg_hi:[0,1]
	s_wait_dscnt 0x0
	v_pk_mul_f32 v[8:9], v[4:5], v[2:3] op_sel:[0,1]
	v_pk_fma_f32 v[10:11], v[4:5], v[0:1], v[8:9] op_sel:[0,0,1] op_sel_hi:[1,1,0] neg_lo:[0,0,1] neg_hi:[0,0,1]
	v_pk_fma_f32 v[4:5], v[4:5], v[0:1], v[8:9] op_sel:[0,0,1] op_sel_hi:[1,0,0]
	s_delay_alu instid0(VALU_DEP_1) | instskip(SKIP_1) | instid1(VALU_DEP_1)
	v_mov_b32_e32 v11, v5
	v_pk_mul_f32 v[4:5], v[6:7], v[2:3] op_sel:[0,1]
	v_pk_fma_f32 v[8:9], v[6:7], v[0:1], v[4:5] op_sel:[0,0,1] op_sel_hi:[1,1,0] neg_lo:[0,0,1] neg_hi:[0,0,1]
	v_pk_fma_f32 v[4:5], v[6:7], v[0:1], v[4:5] op_sel:[0,0,1] op_sel_hi:[1,0,0]
	s_delay_alu instid0(VALU_DEP_1)
	v_mov_b32_e32 v9, v5
	ds_load_2addr_b64 v[4:7], v104 offset0:45 offset1:46
	v_pk_add_f32 v[174:175], v[174:175], v[10:11] neg_lo:[0,1] neg_hi:[0,1]
	v_pk_add_f32 v[200:201], v[200:201], v[8:9] neg_lo:[0,1] neg_hi:[0,1]
	s_wait_dscnt 0x0
	v_pk_mul_f32 v[8:9], v[4:5], v[2:3] op_sel:[0,1]
	s_delay_alu instid0(VALU_DEP_1) | instskip(SKIP_1) | instid1(VALU_DEP_1)
	v_pk_fma_f32 v[10:11], v[4:5], v[0:1], v[8:9] op_sel:[0,0,1] op_sel_hi:[1,1,0] neg_lo:[0,0,1] neg_hi:[0,0,1]
	v_pk_fma_f32 v[4:5], v[4:5], v[0:1], v[8:9] op_sel:[0,0,1] op_sel_hi:[1,0,0]
	v_mov_b32_e32 v11, v5
	v_pk_mul_f32 v[4:5], v[6:7], v[2:3] op_sel:[0,1]
	s_delay_alu instid0(VALU_DEP_1) | instskip(SKIP_1) | instid1(VALU_DEP_1)
	v_pk_fma_f32 v[8:9], v[6:7], v[0:1], v[4:5] op_sel:[0,0,1] op_sel_hi:[1,1,0] neg_lo:[0,0,1] neg_hi:[0,0,1]
	v_pk_fma_f32 v[4:5], v[6:7], v[0:1], v[4:5] op_sel:[0,0,1] op_sel_hi:[1,0,0]
	v_mov_b32_e32 v9, v5
	ds_load_2addr_b64 v[4:7], v104 offset0:47 offset1:48
	v_pk_add_f32 v[194:195], v[194:195], v[10:11] neg_lo:[0,1] neg_hi:[0,1]
	v_pk_add_f32 v[198:199], v[198:199], v[8:9] neg_lo:[0,1] neg_hi:[0,1]
	s_wait_dscnt 0x0
	v_dual_mul_f32 v8, v5, v3 :: v_dual_mul_f32 v10, v5, v0
	s_delay_alu instid0(VALU_DEP_1) | instskip(NEXT) | instid1(VALU_DEP_2)
	v_pk_fma_f32 v[8:9], v[4:5], v[74:75], v[8:9] op_sel_hi:[1,1,0] neg_lo:[0,0,1] neg_hi:[0,0,1]
	v_pk_fma_f32 v[4:5], v[4:5], v[74:75], v[10:11] op_sel:[1,0,0] op_sel_hi:[0,1,0]
	s_delay_alu instid0(VALU_DEP_1) | instskip(SKIP_1) | instid1(VALU_DEP_2)
	v_mov_b32_e32 v9, v5
	v_pk_mul_f32 v[4:5], v[6:7], v[2:3] op_sel:[0,1]
	v_pk_add_f32 v[192:193], v[192:193], v[8:9] neg_lo:[0,1] neg_hi:[0,1]
	s_delay_alu instid0(VALU_DEP_2) | instskip(SKIP_1) | instid1(VALU_DEP_1)
	v_pk_fma_f32 v[8:9], v[6:7], v[0:1], v[4:5] op_sel:[0,0,1] op_sel_hi:[1,1,0] neg_lo:[0,0,1] neg_hi:[0,0,1]
	v_pk_fma_f32 v[4:5], v[6:7], v[0:1], v[4:5] op_sel:[0,0,1] op_sel_hi:[1,0,0]
	v_mov_b32_e32 v9, v5
	ds_load_2addr_b64 v[4:7], v104 offset0:49 offset1:50
	v_pk_add_f32 v[196:197], v[196:197], v[8:9] neg_lo:[0,1] neg_hi:[0,1]
	s_wait_dscnt 0x0
	v_pk_mul_f32 v[8:9], v[4:5], v[2:3] op_sel:[0,1]
	v_pk_mul_f32 v[2:3], v[6:7], v[2:3] op_sel:[0,1]
	s_delay_alu instid0(VALU_DEP_2) | instskip(SKIP_1) | instid1(VALU_DEP_1)
	v_pk_fma_f32 v[10:11], v[4:5], v[0:1], v[8:9] op_sel:[0,0,1] op_sel_hi:[1,1,0] neg_lo:[0,0,1] neg_hi:[0,0,1]
	v_pk_fma_f32 v[4:5], v[4:5], v[0:1], v[8:9] op_sel:[0,0,1] op_sel_hi:[1,0,0]
	v_mov_b32_e32 v11, v5
	s_delay_alu instid0(VALU_DEP_4) | instskip(SKIP_1) | instid1(VALU_DEP_3)
	v_pk_fma_f32 v[4:5], v[6:7], v[0:1], v[2:3] op_sel:[0,0,1] op_sel_hi:[1,1,0] neg_lo:[0,0,1] neg_hi:[0,0,1]
	v_pk_fma_f32 v[0:1], v[6:7], v[0:1], v[2:3] op_sel:[0,0,1] op_sel_hi:[1,0,0]
	v_pk_add_f32 v[202:203], v[202:203], v[10:11] neg_lo:[0,1] neg_hi:[0,1]
	s_delay_alu instid0(VALU_DEP_2) | instskip(NEXT) | instid1(VALU_DEP_1)
	v_mov_b32_e32 v5, v1
	v_pk_add_f32 v[204:205], v[204:205], v[4:5] neg_lo:[0,1] neg_hi:[0,1]
.LBB101_172:
	s_wait_xcnt 0x0
	s_or_b32 exec_lo, exec_lo, s1
	s_delay_alu instid0(SALU_CYCLE_1)
	s_mov_b32 s2, exec_lo
	s_wait_storecnt 0x0
	s_barrier_signal -1
	s_barrier_wait -1
	v_cmpx_eq_u32_e32 19, v102
	s_cbranch_execz .LBB101_179
; %bb.173:
	v_dual_mov_b32 v0, v94 :: v_dual_mov_b32 v1, v95
	v_dual_mov_b32 v2, v90 :: v_dual_mov_b32 v3, v91
	ds_store_b64 v103, v[70:71]
	ds_store_2addr_b64 v104, v[0:1], v[2:3] offset0:20 offset1:21
	v_dual_mov_b32 v0, v92 :: v_dual_mov_b32 v1, v93
	v_dual_mov_b32 v2, v88 :: v_dual_mov_b32 v3, v89
	ds_store_2addr_b64 v104, v[0:1], v[2:3] offset0:22 offset1:23
	v_dual_mov_b32 v0, v112 :: v_dual_mov_b32 v1, v113
	v_dual_mov_b32 v2, v108 :: v_dual_mov_b32 v3, v109
	;; [unrolled: 3-line block ×14, first 2 shown]
	ds_store_2addr_b64 v104, v[0:1], v[2:3] offset0:48 offset1:49
	ds_store_b64 v104, v[204:205] offset:400
	ds_load_b64 v[0:1], v103
	s_wait_dscnt 0x0
	v_cmp_neq_f32_e32 vcc_lo, 0, v0
	v_cmp_neq_f32_e64 s1, 0, v1
	s_or_b32 s1, vcc_lo, s1
	s_delay_alu instid0(SALU_CYCLE_1)
	s_and_b32 exec_lo, exec_lo, s1
	s_cbranch_execz .LBB101_179
; %bb.174:
	v_cmp_ngt_f32_e64 s1, |v0|, |v1|
                                        ; implicit-def: $vgpr2_vgpr3
	s_and_saveexec_b32 s4, s1
	s_delay_alu instid0(SALU_CYCLE_1)
	s_xor_b32 s1, exec_lo, s4
	s_cbranch_execz .LBB101_176
; %bb.175:
	v_div_scale_f32 v2, null, v1, v1, v0
	v_div_scale_f32 v5, vcc_lo, v0, v1, v0
	s_delay_alu instid0(VALU_DEP_2) | instskip(SKIP_1) | instid1(TRANS32_DEP_1)
	v_rcp_f32_e32 v3, v2
	v_nop
	v_fma_f32 v4, -v2, v3, 1.0
	s_delay_alu instid0(VALU_DEP_1) | instskip(NEXT) | instid1(VALU_DEP_1)
	v_fmac_f32_e32 v3, v4, v3
	v_mul_f32_e32 v4, v5, v3
	s_delay_alu instid0(VALU_DEP_1) | instskip(NEXT) | instid1(VALU_DEP_1)
	v_fma_f32 v6, -v2, v4, v5
	v_fmac_f32_e32 v4, v6, v3
	s_delay_alu instid0(VALU_DEP_1) | instskip(NEXT) | instid1(VALU_DEP_1)
	v_fma_f32 v2, -v2, v4, v5
	v_div_fmas_f32 v2, v2, v3, v4
	s_delay_alu instid0(VALU_DEP_1) | instskip(NEXT) | instid1(VALU_DEP_1)
	v_div_fixup_f32 v2, v2, v1, v0
	v_fmac_f32_e32 v1, v0, v2
	s_delay_alu instid0(VALU_DEP_1) | instskip(SKIP_1) | instid1(VALU_DEP_2)
	v_div_scale_f32 v0, null, v1, v1, 1.0
	v_div_scale_f32 v5, vcc_lo, 1.0, v1, 1.0
	v_rcp_f32_e32 v3, v0
	v_nop
	s_delay_alu instid0(TRANS32_DEP_1) | instskip(NEXT) | instid1(VALU_DEP_1)
	v_fma_f32 v4, -v0, v3, 1.0
	v_fmac_f32_e32 v3, v4, v3
	s_delay_alu instid0(VALU_DEP_1) | instskip(NEXT) | instid1(VALU_DEP_1)
	v_mul_f32_e32 v4, v5, v3
	v_fma_f32 v6, -v0, v4, v5
	s_delay_alu instid0(VALU_DEP_1) | instskip(NEXT) | instid1(VALU_DEP_1)
	v_fmac_f32_e32 v4, v6, v3
	v_fma_f32 v0, -v0, v4, v5
	s_delay_alu instid0(VALU_DEP_1) | instskip(NEXT) | instid1(VALU_DEP_1)
	v_div_fmas_f32 v0, v0, v3, v4
	v_div_fixup_f32 v0, v0, v1, 1.0
	s_delay_alu instid0(VALU_DEP_1)
	v_mul_f32_e32 v2, v2, v0
	v_xor_b32_e32 v3, 0x80000000, v0
                                        ; implicit-def: $vgpr0_vgpr1
.LBB101_176:
	s_and_not1_saveexec_b32 s1, s1
	s_cbranch_execz .LBB101_178
; %bb.177:
	v_div_scale_f32 v2, null, v0, v0, v1
	v_div_scale_f32 v5, vcc_lo, v1, v0, v1
	s_delay_alu instid0(VALU_DEP_2) | instskip(SKIP_1) | instid1(TRANS32_DEP_1)
	v_rcp_f32_e32 v3, v2
	v_nop
	v_fma_f32 v4, -v2, v3, 1.0
	s_delay_alu instid0(VALU_DEP_1) | instskip(NEXT) | instid1(VALU_DEP_1)
	v_fmac_f32_e32 v3, v4, v3
	v_mul_f32_e32 v4, v5, v3
	s_delay_alu instid0(VALU_DEP_1) | instskip(NEXT) | instid1(VALU_DEP_1)
	v_fma_f32 v6, -v2, v4, v5
	v_fmac_f32_e32 v4, v6, v3
	s_delay_alu instid0(VALU_DEP_1) | instskip(NEXT) | instid1(VALU_DEP_1)
	v_fma_f32 v2, -v2, v4, v5
	v_div_fmas_f32 v2, v2, v3, v4
	s_delay_alu instid0(VALU_DEP_1) | instskip(NEXT) | instid1(VALU_DEP_1)
	v_div_fixup_f32 v3, v2, v0, v1
	v_fmac_f32_e32 v0, v1, v3
	s_delay_alu instid0(VALU_DEP_1) | instskip(NEXT) | instid1(VALU_DEP_1)
	v_div_scale_f32 v1, null, v0, v0, 1.0
	v_rcp_f32_e32 v2, v1
	v_nop
	s_delay_alu instid0(TRANS32_DEP_1) | instskip(NEXT) | instid1(VALU_DEP_1)
	v_fma_f32 v4, -v1, v2, 1.0
	v_fmac_f32_e32 v2, v4, v2
	v_div_scale_f32 v4, vcc_lo, 1.0, v0, 1.0
	s_delay_alu instid0(VALU_DEP_1) | instskip(NEXT) | instid1(VALU_DEP_1)
	v_mul_f32_e32 v5, v4, v2
	v_fma_f32 v6, -v1, v5, v4
	s_delay_alu instid0(VALU_DEP_1) | instskip(NEXT) | instid1(VALU_DEP_1)
	v_fmac_f32_e32 v5, v6, v2
	v_fma_f32 v1, -v1, v5, v4
	s_delay_alu instid0(VALU_DEP_1) | instskip(NEXT) | instid1(VALU_DEP_1)
	v_div_fmas_f32 v1, v1, v2, v5
	v_div_fixup_f32 v2, v1, v0, 1.0
	s_delay_alu instid0(VALU_DEP_1)
	v_mul_f32_e64 v3, v3, -v2
.LBB101_178:
	s_or_b32 exec_lo, exec_lo, s1
	ds_store_b64 v103, v[2:3]
.LBB101_179:
	s_or_b32 exec_lo, exec_lo, s2
	s_wait_dscnt 0x0
	s_barrier_signal -1
	s_barrier_wait -1
	ds_load_b64 v[0:1], v103
	s_mov_b32 s1, exec_lo
	s_wait_dscnt 0x0
	scratch_store_b64 off, v[0:1], off offset:200 ; 8-byte Folded Spill
	s_wait_xcnt 0x0
	v_cmpx_lt_u32_e32 19, v102
	s_cbranch_execz .LBB101_181
; %bb.180:
	scratch_load_b64 v[4:5], off, off offset:200 ; 8-byte Folded Reload
	s_wait_loadcnt 0x0
	v_pk_mul_f32 v[2:3], v[4:5], v[70:71] op_sel:[1,1] op_sel_hi:[0,1]
	s_delay_alu instid0(VALU_DEP_1)
	v_pk_fma_f32 v[0:1], v[4:5], v[70:71], v[2:3] op_sel_hi:[1,0,1] neg_lo:[0,0,1] neg_hi:[0,0,1]
	v_pk_fma_f32 v[2:3], v[4:5], v[70:71], v[2:3] op_sel_hi:[1,0,1]
	ds_load_2addr_b64 v[4:7], v104 offset0:20 offset1:21
	v_dual_mov_b32 v70, v0 :: v_dual_mov_b32 v71, v3
	s_wait_dscnt 0x0
	v_pk_mul_f32 v[8:9], v[4:5], v[2:3] op_sel:[0,1]
	s_delay_alu instid0(VALU_DEP_1) | instskip(SKIP_1) | instid1(VALU_DEP_1)
	v_pk_fma_f32 v[10:11], v[4:5], v[0:1], v[8:9] op_sel:[0,0,1] op_sel_hi:[1,1,0] neg_lo:[0,0,1] neg_hi:[0,0,1]
	v_pk_fma_f32 v[4:5], v[4:5], v[0:1], v[8:9] op_sel:[0,0,1] op_sel_hi:[1,0,0]
	v_mov_b32_e32 v11, v5
	v_pk_mul_f32 v[4:5], v[6:7], v[2:3] op_sel:[0,1]
	s_delay_alu instid0(VALU_DEP_1) | instskip(SKIP_1) | instid1(VALU_DEP_1)
	v_pk_fma_f32 v[8:9], v[6:7], v[0:1], v[4:5] op_sel:[0,0,1] op_sel_hi:[1,1,0] neg_lo:[0,0,1] neg_hi:[0,0,1]
	v_pk_fma_f32 v[4:5], v[6:7], v[0:1], v[4:5] op_sel:[0,0,1] op_sel_hi:[1,0,0]
	v_mov_b32_e32 v9, v5
	ds_load_2addr_b64 v[4:7], v104 offset0:22 offset1:23
	v_pk_add_f32 v[94:95], v[94:95], v[10:11] neg_lo:[0,1] neg_hi:[0,1]
	v_pk_add_f32 v[90:91], v[90:91], v[8:9] neg_lo:[0,1] neg_hi:[0,1]
	s_wait_dscnt 0x0
	v_pk_mul_f32 v[8:9], v[4:5], v[2:3] op_sel:[0,1]
	s_delay_alu instid0(VALU_DEP_1) | instskip(SKIP_2) | instid1(VALU_DEP_2)
	v_pk_fma_f32 v[10:11], v[4:5], v[0:1], v[8:9] op_sel:[0,0,1] op_sel_hi:[1,1,0] neg_lo:[0,0,1] neg_hi:[0,0,1]
	v_pk_fma_f32 v[4:5], v[4:5], v[0:1], v[8:9] op_sel:[0,0,1] op_sel_hi:[1,0,0]
	v_dual_mul_f32 v8, v7, v3 :: v_dual_mov_b32 v4, v7
	v_dual_mov_b32 v11, v5 :: v_dual_mov_b32 v5, v6
	s_delay_alu instid0(VALU_DEP_2) | instskip(SKIP_1) | instid1(VALU_DEP_3)
	v_pk_fma_f32 v[8:9], v[6:7], v[70:71], v[8:9] op_sel_hi:[1,1,0] neg_lo:[0,0,1] neg_hi:[0,0,1]
	v_mul_f32_e32 v6, v7, v0
	v_pk_add_f32 v[92:93], v[92:93], v[10:11] neg_lo:[0,1] neg_hi:[0,1]
	s_delay_alu instid0(VALU_DEP_2) | instskip(NEXT) | instid1(VALU_DEP_1)
	v_pk_fma_f32 v[4:5], v[4:5], v[70:71], v[6:7] op_sel_hi:[1,1,0]
	v_mov_b32_e32 v9, v5
	ds_load_2addr_b64 v[4:7], v104 offset0:24 offset1:25
	v_pk_add_f32 v[88:89], v[88:89], v[8:9] neg_lo:[0,1] neg_hi:[0,1]
	s_wait_dscnt 0x0
	v_pk_mul_f32 v[8:9], v[4:5], v[2:3] op_sel:[0,1]
	s_delay_alu instid0(VALU_DEP_1) | instskip(SKIP_1) | instid1(VALU_DEP_1)
	v_pk_fma_f32 v[10:11], v[4:5], v[0:1], v[8:9] op_sel:[0,0,1] op_sel_hi:[1,1,0] neg_lo:[0,0,1] neg_hi:[0,0,1]
	v_pk_fma_f32 v[4:5], v[4:5], v[0:1], v[8:9] op_sel:[0,0,1] op_sel_hi:[1,0,0]
	v_mov_b32_e32 v11, v5
	v_pk_mul_f32 v[4:5], v[6:7], v[2:3] op_sel:[0,1]
	s_delay_alu instid0(VALU_DEP_1) | instskip(SKIP_1) | instid1(VALU_DEP_1)
	v_pk_fma_f32 v[8:9], v[6:7], v[0:1], v[4:5] op_sel:[0,0,1] op_sel_hi:[1,1,0] neg_lo:[0,0,1] neg_hi:[0,0,1]
	v_pk_fma_f32 v[4:5], v[6:7], v[0:1], v[4:5] op_sel:[0,0,1] op_sel_hi:[1,0,0]
	v_mov_b32_e32 v9, v5
	ds_load_2addr_b64 v[4:7], v104 offset0:26 offset1:27
	v_pk_add_f32 v[112:113], v[112:113], v[10:11] neg_lo:[0,1] neg_hi:[0,1]
	v_pk_add_f32 v[108:109], v[108:109], v[8:9] neg_lo:[0,1] neg_hi:[0,1]
	s_wait_dscnt 0x0
	v_pk_mul_f32 v[8:9], v[4:5], v[2:3] op_sel:[0,1]
	s_delay_alu instid0(VALU_DEP_1) | instskip(SKIP_1) | instid1(VALU_DEP_1)
	v_pk_fma_f32 v[10:11], v[4:5], v[0:1], v[8:9] op_sel:[0,0,1] op_sel_hi:[1,1,0] neg_lo:[0,0,1] neg_hi:[0,0,1]
	v_pk_fma_f32 v[4:5], v[4:5], v[0:1], v[8:9] op_sel:[0,0,1] op_sel_hi:[1,0,0]
	v_mov_b32_e32 v11, v5
	v_pk_mul_f32 v[4:5], v[6:7], v[2:3] op_sel:[0,1]
	s_delay_alu instid0(VALU_DEP_1) | instskip(SKIP_1) | instid1(VALU_DEP_1)
	v_pk_fma_f32 v[8:9], v[6:7], v[0:1], v[4:5] op_sel:[0,0,1] op_sel_hi:[1,1,0] neg_lo:[0,0,1] neg_hi:[0,0,1]
	v_pk_fma_f32 v[4:5], v[6:7], v[0:1], v[4:5] op_sel:[0,0,1] op_sel_hi:[1,0,0]
	v_mov_b32_e32 v9, v5
	ds_load_2addr_b64 v[4:7], v104 offset0:28 offset1:29
	v_pk_add_f32 v[110:111], v[110:111], v[10:11] neg_lo:[0,1] neg_hi:[0,1]
	v_pk_add_f32 v[106:107], v[106:107], v[8:9] neg_lo:[0,1] neg_hi:[0,1]
	s_wait_dscnt 0x0
	v_dual_mul_f32 v8, v5, v3 :: v_dual_mul_f32 v10, v5, v0
	s_delay_alu instid0(VALU_DEP_1) | instskip(NEXT) | instid1(VALU_DEP_2)
	v_pk_fma_f32 v[8:9], v[4:5], v[70:71], v[8:9] op_sel_hi:[1,1,0] neg_lo:[0,0,1] neg_hi:[0,0,1]
	v_pk_fma_f32 v[4:5], v[4:5], v[70:71], v[10:11] op_sel:[1,0,0] op_sel_hi:[0,1,0]
	s_delay_alu instid0(VALU_DEP_1) | instskip(SKIP_1) | instid1(VALU_DEP_2)
	v_mov_b32_e32 v9, v5
	v_pk_mul_f32 v[4:5], v[6:7], v[2:3] op_sel:[0,1]
	v_pk_add_f32 v[128:129], v[128:129], v[8:9] neg_lo:[0,1] neg_hi:[0,1]
	s_delay_alu instid0(VALU_DEP_2) | instskip(SKIP_1) | instid1(VALU_DEP_1)
	v_pk_fma_f32 v[8:9], v[6:7], v[0:1], v[4:5] op_sel:[0,0,1] op_sel_hi:[1,1,0] neg_lo:[0,0,1] neg_hi:[0,0,1]
	v_pk_fma_f32 v[4:5], v[6:7], v[0:1], v[4:5] op_sel:[0,0,1] op_sel_hi:[1,0,0]
	v_mov_b32_e32 v9, v5
	ds_load_2addr_b64 v[4:7], v104 offset0:30 offset1:31
	v_pk_add_f32 v[124:125], v[124:125], v[8:9] neg_lo:[0,1] neg_hi:[0,1]
	s_wait_dscnt 0x0
	v_pk_mul_f32 v[8:9], v[4:5], v[2:3] op_sel:[0,1]
	s_delay_alu instid0(VALU_DEP_1) | instskip(SKIP_1) | instid1(VALU_DEP_1)
	v_pk_fma_f32 v[10:11], v[4:5], v[0:1], v[8:9] op_sel:[0,0,1] op_sel_hi:[1,1,0] neg_lo:[0,0,1] neg_hi:[0,0,1]
	v_pk_fma_f32 v[4:5], v[4:5], v[0:1], v[8:9] op_sel:[0,0,1] op_sel_hi:[1,0,0]
	v_mov_b32_e32 v11, v5
	v_pk_mul_f32 v[4:5], v[6:7], v[2:3] op_sel:[0,1]
	s_delay_alu instid0(VALU_DEP_2) | instskip(NEXT) | instid1(VALU_DEP_2)
	v_pk_add_f32 v[126:127], v[126:127], v[10:11] neg_lo:[0,1] neg_hi:[0,1]
	v_pk_fma_f32 v[8:9], v[6:7], v[0:1], v[4:5] op_sel:[0,0,1] op_sel_hi:[1,1,0] neg_lo:[0,0,1] neg_hi:[0,0,1]
	v_pk_fma_f32 v[4:5], v[6:7], v[0:1], v[4:5] op_sel:[0,0,1] op_sel_hi:[1,0,0]
	s_delay_alu instid0(VALU_DEP_1) | instskip(SKIP_4) | instid1(VALU_DEP_1)
	v_mov_b32_e32 v9, v5
	ds_load_2addr_b64 v[4:7], v104 offset0:32 offset1:33
	v_pk_add_f32 v[122:123], v[122:123], v[8:9] neg_lo:[0,1] neg_hi:[0,1]
	s_wait_dscnt 0x0
	v_pk_mul_f32 v[8:9], v[4:5], v[2:3] op_sel:[0,1]
	v_pk_fma_f32 v[10:11], v[4:5], v[0:1], v[8:9] op_sel:[0,0,1] op_sel_hi:[1,1,0] neg_lo:[0,0,1] neg_hi:[0,0,1]
	v_pk_fma_f32 v[4:5], v[4:5], v[0:1], v[8:9] op_sel:[0,0,1] op_sel_hi:[1,0,0]
	v_dual_mul_f32 v8, v7, v3 :: v_dual_mov_b32 v4, v7
	s_delay_alu instid0(VALU_DEP_2) | instskip(NEXT) | instid1(VALU_DEP_2)
	v_dual_mov_b32 v11, v5 :: v_dual_mov_b32 v5, v6
	v_pk_fma_f32 v[8:9], v[6:7], v[70:71], v[8:9] op_sel_hi:[1,1,0] neg_lo:[0,0,1] neg_hi:[0,0,1]
	v_mul_f32_e32 v6, v7, v0
	s_delay_alu instid0(VALU_DEP_3) | instskip(NEXT) | instid1(VALU_DEP_2)
	v_pk_add_f32 v[146:147], v[146:147], v[10:11] neg_lo:[0,1] neg_hi:[0,1]
	v_pk_fma_f32 v[4:5], v[4:5], v[70:71], v[6:7] op_sel_hi:[1,1,0]
	s_delay_alu instid0(VALU_DEP_1) | instskip(SKIP_4) | instid1(VALU_DEP_1)
	v_mov_b32_e32 v9, v5
	ds_load_2addr_b64 v[4:7], v104 offset0:34 offset1:35
	v_pk_add_f32 v[142:143], v[142:143], v[8:9] neg_lo:[0,1] neg_hi:[0,1]
	s_wait_dscnt 0x0
	v_pk_mul_f32 v[8:9], v[4:5], v[2:3] op_sel:[0,1]
	v_pk_fma_f32 v[10:11], v[4:5], v[0:1], v[8:9] op_sel:[0,0,1] op_sel_hi:[1,1,0] neg_lo:[0,0,1] neg_hi:[0,0,1]
	v_pk_fma_f32 v[4:5], v[4:5], v[0:1], v[8:9] op_sel:[0,0,1] op_sel_hi:[1,0,0]
	s_delay_alu instid0(VALU_DEP_1) | instskip(SKIP_1) | instid1(VALU_DEP_1)
	v_mov_b32_e32 v11, v5
	v_pk_mul_f32 v[4:5], v[6:7], v[2:3] op_sel:[0,1]
	v_pk_fma_f32 v[8:9], v[6:7], v[0:1], v[4:5] op_sel:[0,0,1] op_sel_hi:[1,1,0] neg_lo:[0,0,1] neg_hi:[0,0,1]
	v_pk_fma_f32 v[4:5], v[6:7], v[0:1], v[4:5] op_sel:[0,0,1] op_sel_hi:[1,0,0]
	s_delay_alu instid0(VALU_DEP_1)
	v_mov_b32_e32 v9, v5
	ds_load_2addr_b64 v[4:7], v104 offset0:36 offset1:37
	v_pk_add_f32 v[144:145], v[144:145], v[10:11] neg_lo:[0,1] neg_hi:[0,1]
	v_pk_add_f32 v[140:141], v[140:141], v[8:9] neg_lo:[0,1] neg_hi:[0,1]
	s_wait_dscnt 0x0
	v_pk_mul_f32 v[8:9], v[4:5], v[2:3] op_sel:[0,1]
	s_delay_alu instid0(VALU_DEP_1) | instskip(SKIP_1) | instid1(VALU_DEP_1)
	v_pk_fma_f32 v[10:11], v[4:5], v[0:1], v[8:9] op_sel:[0,0,1] op_sel_hi:[1,1,0] neg_lo:[0,0,1] neg_hi:[0,0,1]
	v_pk_fma_f32 v[4:5], v[4:5], v[0:1], v[8:9] op_sel:[0,0,1] op_sel_hi:[1,0,0]
	v_mov_b32_e32 v11, v5
	v_pk_mul_f32 v[4:5], v[6:7], v[2:3] op_sel:[0,1]
	s_delay_alu instid0(VALU_DEP_1) | instskip(SKIP_1) | instid1(VALU_DEP_1)
	v_pk_fma_f32 v[8:9], v[6:7], v[0:1], v[4:5] op_sel:[0,0,1] op_sel_hi:[1,1,0] neg_lo:[0,0,1] neg_hi:[0,0,1]
	v_pk_fma_f32 v[4:5], v[6:7], v[0:1], v[4:5] op_sel:[0,0,1] op_sel_hi:[1,0,0]
	v_mov_b32_e32 v9, v5
	ds_load_2addr_b64 v[4:7], v104 offset0:38 offset1:39
	v_pk_add_f32 v[162:163], v[162:163], v[10:11] neg_lo:[0,1] neg_hi:[0,1]
	v_pk_add_f32 v[158:159], v[158:159], v[8:9] neg_lo:[0,1] neg_hi:[0,1]
	s_wait_dscnt 0x0
	v_dual_mul_f32 v8, v5, v3 :: v_dual_mul_f32 v10, v5, v0
	s_delay_alu instid0(VALU_DEP_1) | instskip(NEXT) | instid1(VALU_DEP_2)
	v_pk_fma_f32 v[8:9], v[4:5], v[70:71], v[8:9] op_sel_hi:[1,1,0] neg_lo:[0,0,1] neg_hi:[0,0,1]
	v_pk_fma_f32 v[4:5], v[4:5], v[70:71], v[10:11] op_sel:[1,0,0] op_sel_hi:[0,1,0]
	s_delay_alu instid0(VALU_DEP_1) | instskip(SKIP_1) | instid1(VALU_DEP_2)
	v_mov_b32_e32 v9, v5
	v_pk_mul_f32 v[4:5], v[6:7], v[2:3] op_sel:[0,1]
	v_pk_add_f32 v[160:161], v[160:161], v[8:9] neg_lo:[0,1] neg_hi:[0,1]
	s_delay_alu instid0(VALU_DEP_2) | instskip(SKIP_1) | instid1(VALU_DEP_1)
	v_pk_fma_f32 v[8:9], v[6:7], v[0:1], v[4:5] op_sel:[0,0,1] op_sel_hi:[1,1,0] neg_lo:[0,0,1] neg_hi:[0,0,1]
	v_pk_fma_f32 v[4:5], v[6:7], v[0:1], v[4:5] op_sel:[0,0,1] op_sel_hi:[1,0,0]
	v_mov_b32_e32 v9, v5
	ds_load_2addr_b64 v[4:7], v104 offset0:40 offset1:41
	v_pk_add_f32 v[156:157], v[156:157], v[8:9] neg_lo:[0,1] neg_hi:[0,1]
	s_wait_dscnt 0x0
	v_pk_mul_f32 v[8:9], v[4:5], v[2:3] op_sel:[0,1]
	s_delay_alu instid0(VALU_DEP_1) | instskip(SKIP_1) | instid1(VALU_DEP_1)
	v_pk_fma_f32 v[10:11], v[4:5], v[0:1], v[8:9] op_sel:[0,0,1] op_sel_hi:[1,1,0] neg_lo:[0,0,1] neg_hi:[0,0,1]
	v_pk_fma_f32 v[4:5], v[4:5], v[0:1], v[8:9] op_sel:[0,0,1] op_sel_hi:[1,0,0]
	v_mov_b32_e32 v11, v5
	v_pk_mul_f32 v[4:5], v[6:7], v[2:3] op_sel:[0,1]
	s_delay_alu instid0(VALU_DEP_2) | instskip(NEXT) | instid1(VALU_DEP_2)
	v_pk_add_f32 v[180:181], v[180:181], v[10:11] neg_lo:[0,1] neg_hi:[0,1]
	v_pk_fma_f32 v[8:9], v[6:7], v[0:1], v[4:5] op_sel:[0,0,1] op_sel_hi:[1,1,0] neg_lo:[0,0,1] neg_hi:[0,0,1]
	v_pk_fma_f32 v[4:5], v[6:7], v[0:1], v[4:5] op_sel:[0,0,1] op_sel_hi:[1,0,0]
	s_delay_alu instid0(VALU_DEP_1) | instskip(SKIP_4) | instid1(VALU_DEP_1)
	v_mov_b32_e32 v9, v5
	ds_load_2addr_b64 v[4:7], v104 offset0:42 offset1:43
	v_pk_add_f32 v[176:177], v[176:177], v[8:9] neg_lo:[0,1] neg_hi:[0,1]
	s_wait_dscnt 0x0
	v_pk_mul_f32 v[8:9], v[4:5], v[2:3] op_sel:[0,1]
	v_pk_fma_f32 v[10:11], v[4:5], v[0:1], v[8:9] op_sel:[0,0,1] op_sel_hi:[1,1,0] neg_lo:[0,0,1] neg_hi:[0,0,1]
	v_pk_fma_f32 v[4:5], v[4:5], v[0:1], v[8:9] op_sel:[0,0,1] op_sel_hi:[1,0,0]
	v_dual_mul_f32 v8, v7, v3 :: v_dual_mov_b32 v4, v7
	s_delay_alu instid0(VALU_DEP_2) | instskip(NEXT) | instid1(VALU_DEP_2)
	v_dual_mov_b32 v11, v5 :: v_dual_mov_b32 v5, v6
	v_pk_fma_f32 v[8:9], v[6:7], v[70:71], v[8:9] op_sel_hi:[1,1,0] neg_lo:[0,0,1] neg_hi:[0,0,1]
	v_mul_f32_e32 v6, v7, v0
	s_delay_alu instid0(VALU_DEP_3) | instskip(NEXT) | instid1(VALU_DEP_2)
	v_pk_add_f32 v[178:179], v[178:179], v[10:11] neg_lo:[0,1] neg_hi:[0,1]
	v_pk_fma_f32 v[4:5], v[4:5], v[70:71], v[6:7] op_sel_hi:[1,1,0]
	s_delay_alu instid0(VALU_DEP_1) | instskip(SKIP_4) | instid1(VALU_DEP_1)
	v_mov_b32_e32 v9, v5
	ds_load_2addr_b64 v[4:7], v104 offset0:44 offset1:45
	v_pk_add_f32 v[174:175], v[174:175], v[8:9] neg_lo:[0,1] neg_hi:[0,1]
	s_wait_dscnt 0x0
	v_pk_mul_f32 v[8:9], v[4:5], v[2:3] op_sel:[0,1]
	v_pk_fma_f32 v[10:11], v[4:5], v[0:1], v[8:9] op_sel:[0,0,1] op_sel_hi:[1,1,0] neg_lo:[0,0,1] neg_hi:[0,0,1]
	v_pk_fma_f32 v[4:5], v[4:5], v[0:1], v[8:9] op_sel:[0,0,1] op_sel_hi:[1,0,0]
	s_delay_alu instid0(VALU_DEP_1) | instskip(SKIP_1) | instid1(VALU_DEP_1)
	v_mov_b32_e32 v11, v5
	v_pk_mul_f32 v[4:5], v[6:7], v[2:3] op_sel:[0,1]
	v_pk_fma_f32 v[8:9], v[6:7], v[0:1], v[4:5] op_sel:[0,0,1] op_sel_hi:[1,1,0] neg_lo:[0,0,1] neg_hi:[0,0,1]
	v_pk_fma_f32 v[4:5], v[6:7], v[0:1], v[4:5] op_sel:[0,0,1] op_sel_hi:[1,0,0]
	s_delay_alu instid0(VALU_DEP_1)
	v_mov_b32_e32 v9, v5
	ds_load_2addr_b64 v[4:7], v104 offset0:46 offset1:47
	v_pk_add_f32 v[200:201], v[200:201], v[10:11] neg_lo:[0,1] neg_hi:[0,1]
	v_pk_add_f32 v[194:195], v[194:195], v[8:9] neg_lo:[0,1] neg_hi:[0,1]
	s_wait_dscnt 0x0
	v_pk_mul_f32 v[8:9], v[4:5], v[2:3] op_sel:[0,1]
	s_delay_alu instid0(VALU_DEP_1) | instskip(SKIP_1) | instid1(VALU_DEP_1)
	v_pk_fma_f32 v[10:11], v[4:5], v[0:1], v[8:9] op_sel:[0,0,1] op_sel_hi:[1,1,0] neg_lo:[0,0,1] neg_hi:[0,0,1]
	v_pk_fma_f32 v[4:5], v[4:5], v[0:1], v[8:9] op_sel:[0,0,1] op_sel_hi:[1,0,0]
	v_mov_b32_e32 v11, v5
	v_pk_mul_f32 v[4:5], v[6:7], v[2:3] op_sel:[0,1]
	s_delay_alu instid0(VALU_DEP_1) | instskip(SKIP_1) | instid1(VALU_DEP_1)
	v_pk_fma_f32 v[8:9], v[6:7], v[0:1], v[4:5] op_sel:[0,0,1] op_sel_hi:[1,1,0] neg_lo:[0,0,1] neg_hi:[0,0,1]
	v_pk_fma_f32 v[4:5], v[6:7], v[0:1], v[4:5] op_sel:[0,0,1] op_sel_hi:[1,0,0]
	v_mov_b32_e32 v9, v5
	ds_load_2addr_b64 v[4:7], v104 offset0:48 offset1:49
	v_pk_add_f32 v[198:199], v[198:199], v[10:11] neg_lo:[0,1] neg_hi:[0,1]
	v_pk_add_f32 v[192:193], v[192:193], v[8:9] neg_lo:[0,1] neg_hi:[0,1]
	s_wait_dscnt 0x0
	v_dual_mul_f32 v8, v5, v3 :: v_dual_mul_f32 v10, v5, v0
	s_delay_alu instid0(VALU_DEP_1) | instskip(NEXT) | instid1(VALU_DEP_2)
	v_pk_fma_f32 v[8:9], v[4:5], v[70:71], v[8:9] op_sel_hi:[1,1,0] neg_lo:[0,0,1] neg_hi:[0,0,1]
	v_pk_fma_f32 v[4:5], v[4:5], v[70:71], v[10:11] op_sel:[1,0,0] op_sel_hi:[0,1,0]
	s_delay_alu instid0(VALU_DEP_1) | instskip(SKIP_1) | instid1(VALU_DEP_2)
	v_mov_b32_e32 v9, v5
	v_pk_mul_f32 v[4:5], v[6:7], v[2:3] op_sel:[0,1]
	v_pk_add_f32 v[196:197], v[196:197], v[8:9] neg_lo:[0,1] neg_hi:[0,1]
	s_delay_alu instid0(VALU_DEP_2) | instskip(SKIP_1) | instid1(VALU_DEP_1)
	v_pk_fma_f32 v[8:9], v[6:7], v[0:1], v[4:5] op_sel:[0,0,1] op_sel_hi:[1,1,0] neg_lo:[0,0,1] neg_hi:[0,0,1]
	v_pk_fma_f32 v[4:5], v[6:7], v[0:1], v[4:5] op_sel:[0,0,1] op_sel_hi:[1,0,0]
	v_mov_b32_e32 v9, v5
	ds_load_b64 v[4:5], v104 offset:400
	v_pk_add_f32 v[202:203], v[202:203], v[8:9] neg_lo:[0,1] neg_hi:[0,1]
	s_wait_dscnt 0x0
	v_pk_mul_f32 v[2:3], v[4:5], v[2:3] op_sel:[0,1]
	s_delay_alu instid0(VALU_DEP_1) | instskip(SKIP_1) | instid1(VALU_DEP_1)
	v_pk_fma_f32 v[6:7], v[4:5], v[0:1], v[2:3] op_sel:[0,0,1] op_sel_hi:[1,1,0] neg_lo:[0,0,1] neg_hi:[0,0,1]
	v_pk_fma_f32 v[0:1], v[4:5], v[0:1], v[2:3] op_sel:[0,0,1] op_sel_hi:[1,0,0]
	v_mov_b32_e32 v7, v1
	s_delay_alu instid0(VALU_DEP_1)
	v_pk_add_f32 v[204:205], v[204:205], v[6:7] neg_lo:[0,1] neg_hi:[0,1]
.LBB101_181:
	s_wait_xcnt 0x0
	s_or_b32 exec_lo, exec_lo, s1
	s_delay_alu instid0(SALU_CYCLE_1)
	s_mov_b32 s2, exec_lo
	s_wait_storecnt 0x0
	s_barrier_signal -1
	s_barrier_wait -1
	v_cmpx_eq_u32_e32 20, v102
	s_cbranch_execz .LBB101_188
; %bb.182:
	ds_store_b64 v103, v[94:95]
	ds_store_2addr_b64 v104, v[90:91], v[92:93] offset0:21 offset1:22
	ds_store_2addr_b64 v104, v[88:89], v[112:113] offset0:23 offset1:24
	;; [unrolled: 1-line block ×15, first 2 shown]
	ds_load_b64 v[0:1], v103
	s_wait_dscnt 0x0
	v_cmp_neq_f32_e32 vcc_lo, 0, v0
	v_cmp_neq_f32_e64 s1, 0, v1
	s_or_b32 s1, vcc_lo, s1
	s_delay_alu instid0(SALU_CYCLE_1)
	s_and_b32 exec_lo, exec_lo, s1
	s_cbranch_execz .LBB101_188
; %bb.183:
	v_cmp_ngt_f32_e64 s1, |v0|, |v1|
                                        ; implicit-def: $vgpr2_vgpr3
	s_and_saveexec_b32 s4, s1
	s_delay_alu instid0(SALU_CYCLE_1)
	s_xor_b32 s1, exec_lo, s4
	s_cbranch_execz .LBB101_185
; %bb.184:
	v_div_scale_f32 v2, null, v1, v1, v0
	v_div_scale_f32 v5, vcc_lo, v0, v1, v0
	s_delay_alu instid0(VALU_DEP_2) | instskip(SKIP_1) | instid1(TRANS32_DEP_1)
	v_rcp_f32_e32 v3, v2
	v_nop
	v_fma_f32 v4, -v2, v3, 1.0
	s_delay_alu instid0(VALU_DEP_1) | instskip(NEXT) | instid1(VALU_DEP_1)
	v_fmac_f32_e32 v3, v4, v3
	v_mul_f32_e32 v4, v5, v3
	s_delay_alu instid0(VALU_DEP_1) | instskip(NEXT) | instid1(VALU_DEP_1)
	v_fma_f32 v6, -v2, v4, v5
	v_fmac_f32_e32 v4, v6, v3
	s_delay_alu instid0(VALU_DEP_1) | instskip(NEXT) | instid1(VALU_DEP_1)
	v_fma_f32 v2, -v2, v4, v5
	v_div_fmas_f32 v2, v2, v3, v4
	s_delay_alu instid0(VALU_DEP_1) | instskip(NEXT) | instid1(VALU_DEP_1)
	v_div_fixup_f32 v2, v2, v1, v0
	v_fmac_f32_e32 v1, v0, v2
	s_delay_alu instid0(VALU_DEP_1) | instskip(SKIP_1) | instid1(VALU_DEP_2)
	v_div_scale_f32 v0, null, v1, v1, 1.0
	v_div_scale_f32 v5, vcc_lo, 1.0, v1, 1.0
	v_rcp_f32_e32 v3, v0
	v_nop
	s_delay_alu instid0(TRANS32_DEP_1) | instskip(NEXT) | instid1(VALU_DEP_1)
	v_fma_f32 v4, -v0, v3, 1.0
	v_fmac_f32_e32 v3, v4, v3
	s_delay_alu instid0(VALU_DEP_1) | instskip(NEXT) | instid1(VALU_DEP_1)
	v_mul_f32_e32 v4, v5, v3
	v_fma_f32 v6, -v0, v4, v5
	s_delay_alu instid0(VALU_DEP_1) | instskip(NEXT) | instid1(VALU_DEP_1)
	v_fmac_f32_e32 v4, v6, v3
	v_fma_f32 v0, -v0, v4, v5
	s_delay_alu instid0(VALU_DEP_1) | instskip(NEXT) | instid1(VALU_DEP_1)
	v_div_fmas_f32 v0, v0, v3, v4
	v_div_fixup_f32 v0, v0, v1, 1.0
	s_delay_alu instid0(VALU_DEP_1)
	v_mul_f32_e32 v2, v2, v0
	v_xor_b32_e32 v3, 0x80000000, v0
                                        ; implicit-def: $vgpr0_vgpr1
.LBB101_185:
	s_and_not1_saveexec_b32 s1, s1
	s_cbranch_execz .LBB101_187
; %bb.186:
	v_div_scale_f32 v2, null, v0, v0, v1
	v_div_scale_f32 v5, vcc_lo, v1, v0, v1
	s_delay_alu instid0(VALU_DEP_2) | instskip(SKIP_1) | instid1(TRANS32_DEP_1)
	v_rcp_f32_e32 v3, v2
	v_nop
	v_fma_f32 v4, -v2, v3, 1.0
	s_delay_alu instid0(VALU_DEP_1) | instskip(NEXT) | instid1(VALU_DEP_1)
	v_fmac_f32_e32 v3, v4, v3
	v_mul_f32_e32 v4, v5, v3
	s_delay_alu instid0(VALU_DEP_1) | instskip(NEXT) | instid1(VALU_DEP_1)
	v_fma_f32 v6, -v2, v4, v5
	v_fmac_f32_e32 v4, v6, v3
	s_delay_alu instid0(VALU_DEP_1) | instskip(NEXT) | instid1(VALU_DEP_1)
	v_fma_f32 v2, -v2, v4, v5
	v_div_fmas_f32 v2, v2, v3, v4
	s_delay_alu instid0(VALU_DEP_1) | instskip(NEXT) | instid1(VALU_DEP_1)
	v_div_fixup_f32 v3, v2, v0, v1
	v_fmac_f32_e32 v0, v1, v3
	s_delay_alu instid0(VALU_DEP_1) | instskip(NEXT) | instid1(VALU_DEP_1)
	v_div_scale_f32 v1, null, v0, v0, 1.0
	v_rcp_f32_e32 v2, v1
	v_nop
	s_delay_alu instid0(TRANS32_DEP_1) | instskip(NEXT) | instid1(VALU_DEP_1)
	v_fma_f32 v4, -v1, v2, 1.0
	v_fmac_f32_e32 v2, v4, v2
	v_div_scale_f32 v4, vcc_lo, 1.0, v0, 1.0
	s_delay_alu instid0(VALU_DEP_1) | instskip(NEXT) | instid1(VALU_DEP_1)
	v_mul_f32_e32 v5, v4, v2
	v_fma_f32 v6, -v1, v5, v4
	s_delay_alu instid0(VALU_DEP_1) | instskip(NEXT) | instid1(VALU_DEP_1)
	v_fmac_f32_e32 v5, v6, v2
	v_fma_f32 v1, -v1, v5, v4
	s_delay_alu instid0(VALU_DEP_1) | instskip(NEXT) | instid1(VALU_DEP_1)
	v_div_fmas_f32 v1, v1, v2, v5
	v_div_fixup_f32 v2, v1, v0, 1.0
	s_delay_alu instid0(VALU_DEP_1)
	v_mul_f32_e64 v3, v3, -v2
.LBB101_187:
	s_or_b32 exec_lo, exec_lo, s1
	ds_store_b64 v103, v[2:3]
.LBB101_188:
	s_or_b32 exec_lo, exec_lo, s2
	s_wait_dscnt 0x0
	s_barrier_signal -1
	s_barrier_wait -1
	ds_load_b64 v[0:1], v103
	s_mov_b32 s1, exec_lo
	s_wait_dscnt 0x0
	scratch_store_b64 off, v[0:1], off offset:208 ; 8-byte Folded Spill
	s_wait_xcnt 0x0
	v_cmpx_lt_u32_e32 20, v102
	s_cbranch_execz .LBB101_190
; %bb.189:
	scratch_load_b64 v[4:5], off, off offset:208 ; 8-byte Folded Reload
	s_wait_loadcnt 0x0
	v_pk_mul_f32 v[2:3], v[4:5], v[94:95] op_sel:[1,1] op_sel_hi:[0,1]
	s_delay_alu instid0(VALU_DEP_1)
	v_pk_fma_f32 v[0:1], v[4:5], v[94:95], v[2:3] op_sel_hi:[1,0,1] neg_lo:[0,0,1] neg_hi:[0,0,1]
	v_pk_fma_f32 v[2:3], v[4:5], v[94:95], v[2:3] op_sel_hi:[1,0,1]
	ds_load_2addr_b64 v[4:7], v104 offset0:21 offset1:22
	v_dual_mov_b32 v94, v0 :: v_dual_mov_b32 v95, v3
	s_wait_dscnt 0x0
	v_pk_mul_f32 v[8:9], v[4:5], v[2:3] op_sel:[0,1]
	s_delay_alu instid0(VALU_DEP_1) | instskip(SKIP_1) | instid1(VALU_DEP_1)
	v_pk_fma_f32 v[10:11], v[4:5], v[0:1], v[8:9] op_sel:[0,0,1] op_sel_hi:[1,1,0] neg_lo:[0,0,1] neg_hi:[0,0,1]
	v_pk_fma_f32 v[4:5], v[4:5], v[0:1], v[8:9] op_sel:[0,0,1] op_sel_hi:[1,0,0]
	v_mov_b32_e32 v11, v5
	v_pk_mul_f32 v[4:5], v[6:7], v[2:3] op_sel:[0,1]
	s_delay_alu instid0(VALU_DEP_1) | instskip(SKIP_1) | instid1(VALU_DEP_1)
	v_pk_fma_f32 v[8:9], v[6:7], v[0:1], v[4:5] op_sel:[0,0,1] op_sel_hi:[1,1,0] neg_lo:[0,0,1] neg_hi:[0,0,1]
	v_pk_fma_f32 v[4:5], v[6:7], v[0:1], v[4:5] op_sel:[0,0,1] op_sel_hi:[1,0,0]
	v_mov_b32_e32 v9, v5
	ds_load_2addr_b64 v[4:7], v104 offset0:23 offset1:24
	v_pk_add_f32 v[90:91], v[90:91], v[10:11] neg_lo:[0,1] neg_hi:[0,1]
	v_pk_add_f32 v[92:93], v[92:93], v[8:9] neg_lo:[0,1] neg_hi:[0,1]
	s_wait_dscnt 0x0
	v_pk_mul_f32 v[8:9], v[4:5], v[2:3] op_sel:[0,1]
	s_delay_alu instid0(VALU_DEP_1) | instskip(SKIP_2) | instid1(VALU_DEP_2)
	v_pk_fma_f32 v[10:11], v[4:5], v[0:1], v[8:9] op_sel:[0,0,1] op_sel_hi:[1,1,0] neg_lo:[0,0,1] neg_hi:[0,0,1]
	v_pk_fma_f32 v[4:5], v[4:5], v[0:1], v[8:9] op_sel:[0,0,1] op_sel_hi:[1,0,0]
	v_dual_mul_f32 v8, v7, v3 :: v_dual_mov_b32 v4, v7
	v_dual_mov_b32 v11, v5 :: v_dual_mov_b32 v5, v6
	s_delay_alu instid0(VALU_DEP_2) | instskip(SKIP_1) | instid1(VALU_DEP_3)
	v_pk_fma_f32 v[8:9], v[6:7], v[94:95], v[8:9] op_sel_hi:[1,1,0] neg_lo:[0,0,1] neg_hi:[0,0,1]
	v_mul_f32_e32 v6, v7, v0
	v_pk_add_f32 v[88:89], v[88:89], v[10:11] neg_lo:[0,1] neg_hi:[0,1]
	s_delay_alu instid0(VALU_DEP_2) | instskip(NEXT) | instid1(VALU_DEP_1)
	v_pk_fma_f32 v[4:5], v[4:5], v[94:95], v[6:7] op_sel_hi:[1,1,0]
	v_mov_b32_e32 v9, v5
	ds_load_2addr_b64 v[4:7], v104 offset0:25 offset1:26
	v_pk_add_f32 v[112:113], v[112:113], v[8:9] neg_lo:[0,1] neg_hi:[0,1]
	s_wait_dscnt 0x0
	v_pk_mul_f32 v[8:9], v[4:5], v[2:3] op_sel:[0,1]
	s_delay_alu instid0(VALU_DEP_1) | instskip(SKIP_1) | instid1(VALU_DEP_1)
	v_pk_fma_f32 v[10:11], v[4:5], v[0:1], v[8:9] op_sel:[0,0,1] op_sel_hi:[1,1,0] neg_lo:[0,0,1] neg_hi:[0,0,1]
	v_pk_fma_f32 v[4:5], v[4:5], v[0:1], v[8:9] op_sel:[0,0,1] op_sel_hi:[1,0,0]
	v_mov_b32_e32 v11, v5
	v_pk_mul_f32 v[4:5], v[6:7], v[2:3] op_sel:[0,1]
	s_delay_alu instid0(VALU_DEP_1) | instskip(SKIP_1) | instid1(VALU_DEP_1)
	v_pk_fma_f32 v[8:9], v[6:7], v[0:1], v[4:5] op_sel:[0,0,1] op_sel_hi:[1,1,0] neg_lo:[0,0,1] neg_hi:[0,0,1]
	v_pk_fma_f32 v[4:5], v[6:7], v[0:1], v[4:5] op_sel:[0,0,1] op_sel_hi:[1,0,0]
	v_mov_b32_e32 v9, v5
	ds_load_2addr_b64 v[4:7], v104 offset0:27 offset1:28
	v_pk_add_f32 v[108:109], v[108:109], v[10:11] neg_lo:[0,1] neg_hi:[0,1]
	v_pk_add_f32 v[110:111], v[110:111], v[8:9] neg_lo:[0,1] neg_hi:[0,1]
	s_wait_dscnt 0x0
	v_pk_mul_f32 v[8:9], v[4:5], v[2:3] op_sel:[0,1]
	s_delay_alu instid0(VALU_DEP_1) | instskip(SKIP_1) | instid1(VALU_DEP_1)
	v_pk_fma_f32 v[10:11], v[4:5], v[0:1], v[8:9] op_sel:[0,0,1] op_sel_hi:[1,1,0] neg_lo:[0,0,1] neg_hi:[0,0,1]
	v_pk_fma_f32 v[4:5], v[4:5], v[0:1], v[8:9] op_sel:[0,0,1] op_sel_hi:[1,0,0]
	v_mov_b32_e32 v11, v5
	v_pk_mul_f32 v[4:5], v[6:7], v[2:3] op_sel:[0,1]
	s_delay_alu instid0(VALU_DEP_1) | instskip(SKIP_1) | instid1(VALU_DEP_1)
	v_pk_fma_f32 v[8:9], v[6:7], v[0:1], v[4:5] op_sel:[0,0,1] op_sel_hi:[1,1,0] neg_lo:[0,0,1] neg_hi:[0,0,1]
	v_pk_fma_f32 v[4:5], v[6:7], v[0:1], v[4:5] op_sel:[0,0,1] op_sel_hi:[1,0,0]
	v_mov_b32_e32 v9, v5
	ds_load_2addr_b64 v[4:7], v104 offset0:29 offset1:30
	v_pk_add_f32 v[106:107], v[106:107], v[10:11] neg_lo:[0,1] neg_hi:[0,1]
	v_pk_add_f32 v[128:129], v[128:129], v[8:9] neg_lo:[0,1] neg_hi:[0,1]
	s_wait_dscnt 0x0
	v_dual_mul_f32 v8, v5, v3 :: v_dual_mul_f32 v10, v5, v0
	s_delay_alu instid0(VALU_DEP_1) | instskip(NEXT) | instid1(VALU_DEP_2)
	v_pk_fma_f32 v[8:9], v[4:5], v[94:95], v[8:9] op_sel_hi:[1,1,0] neg_lo:[0,0,1] neg_hi:[0,0,1]
	v_pk_fma_f32 v[4:5], v[4:5], v[94:95], v[10:11] op_sel:[1,0,0] op_sel_hi:[0,1,0]
	s_delay_alu instid0(VALU_DEP_1) | instskip(SKIP_1) | instid1(VALU_DEP_2)
	v_mov_b32_e32 v9, v5
	v_pk_mul_f32 v[4:5], v[6:7], v[2:3] op_sel:[0,1]
	v_pk_add_f32 v[124:125], v[124:125], v[8:9] neg_lo:[0,1] neg_hi:[0,1]
	s_delay_alu instid0(VALU_DEP_2) | instskip(SKIP_1) | instid1(VALU_DEP_1)
	v_pk_fma_f32 v[8:9], v[6:7], v[0:1], v[4:5] op_sel:[0,0,1] op_sel_hi:[1,1,0] neg_lo:[0,0,1] neg_hi:[0,0,1]
	v_pk_fma_f32 v[4:5], v[6:7], v[0:1], v[4:5] op_sel:[0,0,1] op_sel_hi:[1,0,0]
	v_mov_b32_e32 v9, v5
	ds_load_2addr_b64 v[4:7], v104 offset0:31 offset1:32
	v_pk_add_f32 v[126:127], v[126:127], v[8:9] neg_lo:[0,1] neg_hi:[0,1]
	s_wait_dscnt 0x0
	v_pk_mul_f32 v[8:9], v[4:5], v[2:3] op_sel:[0,1]
	s_delay_alu instid0(VALU_DEP_1) | instskip(SKIP_1) | instid1(VALU_DEP_1)
	v_pk_fma_f32 v[10:11], v[4:5], v[0:1], v[8:9] op_sel:[0,0,1] op_sel_hi:[1,1,0] neg_lo:[0,0,1] neg_hi:[0,0,1]
	v_pk_fma_f32 v[4:5], v[4:5], v[0:1], v[8:9] op_sel:[0,0,1] op_sel_hi:[1,0,0]
	v_mov_b32_e32 v11, v5
	v_pk_mul_f32 v[4:5], v[6:7], v[2:3] op_sel:[0,1]
	s_delay_alu instid0(VALU_DEP_2) | instskip(NEXT) | instid1(VALU_DEP_2)
	v_pk_add_f32 v[122:123], v[122:123], v[10:11] neg_lo:[0,1] neg_hi:[0,1]
	v_pk_fma_f32 v[8:9], v[6:7], v[0:1], v[4:5] op_sel:[0,0,1] op_sel_hi:[1,1,0] neg_lo:[0,0,1] neg_hi:[0,0,1]
	v_pk_fma_f32 v[4:5], v[6:7], v[0:1], v[4:5] op_sel:[0,0,1] op_sel_hi:[1,0,0]
	s_delay_alu instid0(VALU_DEP_1) | instskip(SKIP_4) | instid1(VALU_DEP_1)
	v_mov_b32_e32 v9, v5
	ds_load_2addr_b64 v[4:7], v104 offset0:33 offset1:34
	v_pk_add_f32 v[146:147], v[146:147], v[8:9] neg_lo:[0,1] neg_hi:[0,1]
	s_wait_dscnt 0x0
	v_pk_mul_f32 v[8:9], v[4:5], v[2:3] op_sel:[0,1]
	v_pk_fma_f32 v[10:11], v[4:5], v[0:1], v[8:9] op_sel:[0,0,1] op_sel_hi:[1,1,0] neg_lo:[0,0,1] neg_hi:[0,0,1]
	v_pk_fma_f32 v[4:5], v[4:5], v[0:1], v[8:9] op_sel:[0,0,1] op_sel_hi:[1,0,0]
	v_dual_mul_f32 v8, v7, v3 :: v_dual_mov_b32 v4, v7
	s_delay_alu instid0(VALU_DEP_2) | instskip(NEXT) | instid1(VALU_DEP_2)
	v_dual_mov_b32 v11, v5 :: v_dual_mov_b32 v5, v6
	v_pk_fma_f32 v[8:9], v[6:7], v[94:95], v[8:9] op_sel_hi:[1,1,0] neg_lo:[0,0,1] neg_hi:[0,0,1]
	v_mul_f32_e32 v6, v7, v0
	s_delay_alu instid0(VALU_DEP_3) | instskip(NEXT) | instid1(VALU_DEP_2)
	v_pk_add_f32 v[142:143], v[142:143], v[10:11] neg_lo:[0,1] neg_hi:[0,1]
	v_pk_fma_f32 v[4:5], v[4:5], v[94:95], v[6:7] op_sel_hi:[1,1,0]
	s_delay_alu instid0(VALU_DEP_1) | instskip(SKIP_4) | instid1(VALU_DEP_1)
	v_mov_b32_e32 v9, v5
	ds_load_2addr_b64 v[4:7], v104 offset0:35 offset1:36
	v_pk_add_f32 v[144:145], v[144:145], v[8:9] neg_lo:[0,1] neg_hi:[0,1]
	s_wait_dscnt 0x0
	v_pk_mul_f32 v[8:9], v[4:5], v[2:3] op_sel:[0,1]
	v_pk_fma_f32 v[10:11], v[4:5], v[0:1], v[8:9] op_sel:[0,0,1] op_sel_hi:[1,1,0] neg_lo:[0,0,1] neg_hi:[0,0,1]
	v_pk_fma_f32 v[4:5], v[4:5], v[0:1], v[8:9] op_sel:[0,0,1] op_sel_hi:[1,0,0]
	s_delay_alu instid0(VALU_DEP_1) | instskip(SKIP_1) | instid1(VALU_DEP_1)
	v_mov_b32_e32 v11, v5
	v_pk_mul_f32 v[4:5], v[6:7], v[2:3] op_sel:[0,1]
	v_pk_fma_f32 v[8:9], v[6:7], v[0:1], v[4:5] op_sel:[0,0,1] op_sel_hi:[1,1,0] neg_lo:[0,0,1] neg_hi:[0,0,1]
	v_pk_fma_f32 v[4:5], v[6:7], v[0:1], v[4:5] op_sel:[0,0,1] op_sel_hi:[1,0,0]
	s_delay_alu instid0(VALU_DEP_1)
	v_mov_b32_e32 v9, v5
	ds_load_2addr_b64 v[4:7], v104 offset0:37 offset1:38
	v_pk_add_f32 v[140:141], v[140:141], v[10:11] neg_lo:[0,1] neg_hi:[0,1]
	v_pk_add_f32 v[162:163], v[162:163], v[8:9] neg_lo:[0,1] neg_hi:[0,1]
	s_wait_dscnt 0x0
	v_pk_mul_f32 v[8:9], v[4:5], v[2:3] op_sel:[0,1]
	s_delay_alu instid0(VALU_DEP_1) | instskip(SKIP_1) | instid1(VALU_DEP_1)
	v_pk_fma_f32 v[10:11], v[4:5], v[0:1], v[8:9] op_sel:[0,0,1] op_sel_hi:[1,1,0] neg_lo:[0,0,1] neg_hi:[0,0,1]
	v_pk_fma_f32 v[4:5], v[4:5], v[0:1], v[8:9] op_sel:[0,0,1] op_sel_hi:[1,0,0]
	v_mov_b32_e32 v11, v5
	v_pk_mul_f32 v[4:5], v[6:7], v[2:3] op_sel:[0,1]
	s_delay_alu instid0(VALU_DEP_1) | instskip(SKIP_1) | instid1(VALU_DEP_1)
	v_pk_fma_f32 v[8:9], v[6:7], v[0:1], v[4:5] op_sel:[0,0,1] op_sel_hi:[1,1,0] neg_lo:[0,0,1] neg_hi:[0,0,1]
	v_pk_fma_f32 v[4:5], v[6:7], v[0:1], v[4:5] op_sel:[0,0,1] op_sel_hi:[1,0,0]
	v_mov_b32_e32 v9, v5
	ds_load_2addr_b64 v[4:7], v104 offset0:39 offset1:40
	v_pk_add_f32 v[158:159], v[158:159], v[10:11] neg_lo:[0,1] neg_hi:[0,1]
	v_pk_add_f32 v[160:161], v[160:161], v[8:9] neg_lo:[0,1] neg_hi:[0,1]
	s_wait_dscnt 0x0
	v_dual_mul_f32 v8, v5, v3 :: v_dual_mul_f32 v10, v5, v0
	s_delay_alu instid0(VALU_DEP_1) | instskip(NEXT) | instid1(VALU_DEP_2)
	v_pk_fma_f32 v[8:9], v[4:5], v[94:95], v[8:9] op_sel_hi:[1,1,0] neg_lo:[0,0,1] neg_hi:[0,0,1]
	v_pk_fma_f32 v[4:5], v[4:5], v[94:95], v[10:11] op_sel:[1,0,0] op_sel_hi:[0,1,0]
	s_delay_alu instid0(VALU_DEP_1) | instskip(SKIP_1) | instid1(VALU_DEP_2)
	v_mov_b32_e32 v9, v5
	v_pk_mul_f32 v[4:5], v[6:7], v[2:3] op_sel:[0,1]
	v_pk_add_f32 v[156:157], v[156:157], v[8:9] neg_lo:[0,1] neg_hi:[0,1]
	s_delay_alu instid0(VALU_DEP_2) | instskip(SKIP_1) | instid1(VALU_DEP_1)
	v_pk_fma_f32 v[8:9], v[6:7], v[0:1], v[4:5] op_sel:[0,0,1] op_sel_hi:[1,1,0] neg_lo:[0,0,1] neg_hi:[0,0,1]
	v_pk_fma_f32 v[4:5], v[6:7], v[0:1], v[4:5] op_sel:[0,0,1] op_sel_hi:[1,0,0]
	v_mov_b32_e32 v9, v5
	ds_load_2addr_b64 v[4:7], v104 offset0:41 offset1:42
	v_pk_add_f32 v[180:181], v[180:181], v[8:9] neg_lo:[0,1] neg_hi:[0,1]
	s_wait_dscnt 0x0
	v_pk_mul_f32 v[8:9], v[4:5], v[2:3] op_sel:[0,1]
	s_delay_alu instid0(VALU_DEP_1) | instskip(SKIP_1) | instid1(VALU_DEP_1)
	v_pk_fma_f32 v[10:11], v[4:5], v[0:1], v[8:9] op_sel:[0,0,1] op_sel_hi:[1,1,0] neg_lo:[0,0,1] neg_hi:[0,0,1]
	v_pk_fma_f32 v[4:5], v[4:5], v[0:1], v[8:9] op_sel:[0,0,1] op_sel_hi:[1,0,0]
	v_mov_b32_e32 v11, v5
	v_pk_mul_f32 v[4:5], v[6:7], v[2:3] op_sel:[0,1]
	s_delay_alu instid0(VALU_DEP_2) | instskip(NEXT) | instid1(VALU_DEP_2)
	v_pk_add_f32 v[176:177], v[176:177], v[10:11] neg_lo:[0,1] neg_hi:[0,1]
	v_pk_fma_f32 v[8:9], v[6:7], v[0:1], v[4:5] op_sel:[0,0,1] op_sel_hi:[1,1,0] neg_lo:[0,0,1] neg_hi:[0,0,1]
	v_pk_fma_f32 v[4:5], v[6:7], v[0:1], v[4:5] op_sel:[0,0,1] op_sel_hi:[1,0,0]
	s_delay_alu instid0(VALU_DEP_1) | instskip(SKIP_4) | instid1(VALU_DEP_1)
	v_mov_b32_e32 v9, v5
	ds_load_2addr_b64 v[4:7], v104 offset0:43 offset1:44
	v_pk_add_f32 v[178:179], v[178:179], v[8:9] neg_lo:[0,1] neg_hi:[0,1]
	s_wait_dscnt 0x0
	v_pk_mul_f32 v[8:9], v[4:5], v[2:3] op_sel:[0,1]
	v_pk_fma_f32 v[10:11], v[4:5], v[0:1], v[8:9] op_sel:[0,0,1] op_sel_hi:[1,1,0] neg_lo:[0,0,1] neg_hi:[0,0,1]
	v_pk_fma_f32 v[4:5], v[4:5], v[0:1], v[8:9] op_sel:[0,0,1] op_sel_hi:[1,0,0]
	v_dual_mul_f32 v8, v7, v3 :: v_dual_mov_b32 v4, v7
	s_delay_alu instid0(VALU_DEP_2) | instskip(NEXT) | instid1(VALU_DEP_2)
	v_dual_mov_b32 v11, v5 :: v_dual_mov_b32 v5, v6
	v_pk_fma_f32 v[8:9], v[6:7], v[94:95], v[8:9] op_sel_hi:[1,1,0] neg_lo:[0,0,1] neg_hi:[0,0,1]
	v_mul_f32_e32 v6, v7, v0
	s_delay_alu instid0(VALU_DEP_3) | instskip(NEXT) | instid1(VALU_DEP_2)
	v_pk_add_f32 v[174:175], v[174:175], v[10:11] neg_lo:[0,1] neg_hi:[0,1]
	v_pk_fma_f32 v[4:5], v[4:5], v[94:95], v[6:7] op_sel_hi:[1,1,0]
	s_delay_alu instid0(VALU_DEP_1) | instskip(SKIP_4) | instid1(VALU_DEP_1)
	v_mov_b32_e32 v9, v5
	ds_load_2addr_b64 v[4:7], v104 offset0:45 offset1:46
	v_pk_add_f32 v[200:201], v[200:201], v[8:9] neg_lo:[0,1] neg_hi:[0,1]
	s_wait_dscnt 0x0
	v_pk_mul_f32 v[8:9], v[4:5], v[2:3] op_sel:[0,1]
	v_pk_fma_f32 v[10:11], v[4:5], v[0:1], v[8:9] op_sel:[0,0,1] op_sel_hi:[1,1,0] neg_lo:[0,0,1] neg_hi:[0,0,1]
	v_pk_fma_f32 v[4:5], v[4:5], v[0:1], v[8:9] op_sel:[0,0,1] op_sel_hi:[1,0,0]
	s_delay_alu instid0(VALU_DEP_1) | instskip(SKIP_1) | instid1(VALU_DEP_1)
	v_mov_b32_e32 v11, v5
	v_pk_mul_f32 v[4:5], v[6:7], v[2:3] op_sel:[0,1]
	v_pk_fma_f32 v[8:9], v[6:7], v[0:1], v[4:5] op_sel:[0,0,1] op_sel_hi:[1,1,0] neg_lo:[0,0,1] neg_hi:[0,0,1]
	v_pk_fma_f32 v[4:5], v[6:7], v[0:1], v[4:5] op_sel:[0,0,1] op_sel_hi:[1,0,0]
	s_delay_alu instid0(VALU_DEP_1)
	v_mov_b32_e32 v9, v5
	ds_load_2addr_b64 v[4:7], v104 offset0:47 offset1:48
	v_pk_add_f32 v[194:195], v[194:195], v[10:11] neg_lo:[0,1] neg_hi:[0,1]
	v_pk_add_f32 v[198:199], v[198:199], v[8:9] neg_lo:[0,1] neg_hi:[0,1]
	s_wait_dscnt 0x0
	v_pk_mul_f32 v[8:9], v[4:5], v[2:3] op_sel:[0,1]
	s_delay_alu instid0(VALU_DEP_1) | instskip(SKIP_1) | instid1(VALU_DEP_1)
	v_pk_fma_f32 v[10:11], v[4:5], v[0:1], v[8:9] op_sel:[0,0,1] op_sel_hi:[1,1,0] neg_lo:[0,0,1] neg_hi:[0,0,1]
	v_pk_fma_f32 v[4:5], v[4:5], v[0:1], v[8:9] op_sel:[0,0,1] op_sel_hi:[1,0,0]
	v_mov_b32_e32 v11, v5
	v_pk_mul_f32 v[4:5], v[6:7], v[2:3] op_sel:[0,1]
	s_delay_alu instid0(VALU_DEP_1) | instskip(SKIP_1) | instid1(VALU_DEP_1)
	v_pk_fma_f32 v[8:9], v[6:7], v[0:1], v[4:5] op_sel:[0,0,1] op_sel_hi:[1,1,0] neg_lo:[0,0,1] neg_hi:[0,0,1]
	v_pk_fma_f32 v[4:5], v[6:7], v[0:1], v[4:5] op_sel:[0,0,1] op_sel_hi:[1,0,0]
	v_mov_b32_e32 v9, v5
	ds_load_2addr_b64 v[4:7], v104 offset0:49 offset1:50
	v_pk_add_f32 v[192:193], v[192:193], v[10:11] neg_lo:[0,1] neg_hi:[0,1]
	v_pk_add_f32 v[196:197], v[196:197], v[8:9] neg_lo:[0,1] neg_hi:[0,1]
	s_wait_dscnt 0x0
	v_mul_f32_e32 v2, v5, v3
	s_delay_alu instid0(VALU_DEP_1) | instskip(SKIP_1) | instid1(VALU_DEP_1)
	v_pk_fma_f32 v[8:9], v[4:5], v[94:95], v[2:3] op_sel_hi:[1,1,0] neg_lo:[0,0,1] neg_hi:[0,0,1]
	v_dual_mul_f32 v2, v5, v0 :: v_dual_mul_f32 v0, v7, v0
	v_pk_fma_f32 v[4:5], v[4:5], v[94:95], v[2:3] op_sel:[1,0,0] op_sel_hi:[0,1,0]
	v_dual_mov_b32 v4, v7 :: v_dual_mul_f32 v2, v7, v3
	s_delay_alu instid0(VALU_DEP_2) | instskip(NEXT) | instid1(VALU_DEP_2)
	v_dual_mov_b32 v9, v5 :: v_dual_mov_b32 v5, v6
	v_pk_fma_f32 v[2:3], v[6:7], v[94:95], v[2:3] op_sel_hi:[1,1,0] neg_lo:[0,0,1] neg_hi:[0,0,1]
	s_delay_alu instid0(VALU_DEP_2) | instskip(NEXT) | instid1(VALU_DEP_3)
	v_pk_add_f32 v[202:203], v[202:203], v[8:9] neg_lo:[0,1] neg_hi:[0,1]
	v_pk_fma_f32 v[0:1], v[4:5], v[94:95], v[0:1] op_sel_hi:[1,1,0]
	s_delay_alu instid0(VALU_DEP_1) | instskip(NEXT) | instid1(VALU_DEP_1)
	v_mov_b32_e32 v3, v1
	v_pk_add_f32 v[204:205], v[204:205], v[2:3] neg_lo:[0,1] neg_hi:[0,1]
.LBB101_190:
	s_wait_xcnt 0x0
	s_or_b32 exec_lo, exec_lo, s1
	s_delay_alu instid0(SALU_CYCLE_1)
	s_mov_b32 s2, exec_lo
	s_wait_storecnt 0x0
	s_barrier_signal -1
	s_barrier_wait -1
	v_cmpx_eq_u32_e32 21, v102
	s_cbranch_execz .LBB101_197
; %bb.191:
	v_dual_mov_b32 v0, v92 :: v_dual_mov_b32 v1, v93
	v_dual_mov_b32 v2, v88 :: v_dual_mov_b32 v3, v89
	ds_store_b64 v103, v[90:91]
	ds_store_2addr_b64 v104, v[0:1], v[2:3] offset0:22 offset1:23
	v_dual_mov_b32 v0, v112 :: v_dual_mov_b32 v1, v113
	v_dual_mov_b32 v2, v108 :: v_dual_mov_b32 v3, v109
	ds_store_2addr_b64 v104, v[0:1], v[2:3] offset0:24 offset1:25
	v_dual_mov_b32 v0, v110 :: v_dual_mov_b32 v1, v111
	v_dual_mov_b32 v2, v106 :: v_dual_mov_b32 v3, v107
	;; [unrolled: 3-line block ×13, first 2 shown]
	ds_store_2addr_b64 v104, v[0:1], v[2:3] offset0:48 offset1:49
	ds_store_b64 v104, v[204:205] offset:400
	ds_load_b64 v[0:1], v103
	s_wait_dscnt 0x0
	v_cmp_neq_f32_e32 vcc_lo, 0, v0
	v_cmp_neq_f32_e64 s1, 0, v1
	s_or_b32 s1, vcc_lo, s1
	s_delay_alu instid0(SALU_CYCLE_1)
	s_and_b32 exec_lo, exec_lo, s1
	s_cbranch_execz .LBB101_197
; %bb.192:
	v_cmp_ngt_f32_e64 s1, |v0|, |v1|
                                        ; implicit-def: $vgpr2_vgpr3
	s_and_saveexec_b32 s4, s1
	s_delay_alu instid0(SALU_CYCLE_1)
	s_xor_b32 s1, exec_lo, s4
	s_cbranch_execz .LBB101_194
; %bb.193:
	v_div_scale_f32 v2, null, v1, v1, v0
	v_div_scale_f32 v5, vcc_lo, v0, v1, v0
	s_delay_alu instid0(VALU_DEP_2) | instskip(SKIP_1) | instid1(TRANS32_DEP_1)
	v_rcp_f32_e32 v3, v2
	v_nop
	v_fma_f32 v4, -v2, v3, 1.0
	s_delay_alu instid0(VALU_DEP_1) | instskip(NEXT) | instid1(VALU_DEP_1)
	v_fmac_f32_e32 v3, v4, v3
	v_mul_f32_e32 v4, v5, v3
	s_delay_alu instid0(VALU_DEP_1) | instskip(NEXT) | instid1(VALU_DEP_1)
	v_fma_f32 v6, -v2, v4, v5
	v_fmac_f32_e32 v4, v6, v3
	s_delay_alu instid0(VALU_DEP_1) | instskip(NEXT) | instid1(VALU_DEP_1)
	v_fma_f32 v2, -v2, v4, v5
	v_div_fmas_f32 v2, v2, v3, v4
	s_delay_alu instid0(VALU_DEP_1) | instskip(NEXT) | instid1(VALU_DEP_1)
	v_div_fixup_f32 v2, v2, v1, v0
	v_fmac_f32_e32 v1, v0, v2
	s_delay_alu instid0(VALU_DEP_1) | instskip(SKIP_1) | instid1(VALU_DEP_2)
	v_div_scale_f32 v0, null, v1, v1, 1.0
	v_div_scale_f32 v5, vcc_lo, 1.0, v1, 1.0
	v_rcp_f32_e32 v3, v0
	v_nop
	s_delay_alu instid0(TRANS32_DEP_1) | instskip(NEXT) | instid1(VALU_DEP_1)
	v_fma_f32 v4, -v0, v3, 1.0
	v_fmac_f32_e32 v3, v4, v3
	s_delay_alu instid0(VALU_DEP_1) | instskip(NEXT) | instid1(VALU_DEP_1)
	v_mul_f32_e32 v4, v5, v3
	v_fma_f32 v6, -v0, v4, v5
	s_delay_alu instid0(VALU_DEP_1) | instskip(NEXT) | instid1(VALU_DEP_1)
	v_fmac_f32_e32 v4, v6, v3
	v_fma_f32 v0, -v0, v4, v5
	s_delay_alu instid0(VALU_DEP_1) | instskip(NEXT) | instid1(VALU_DEP_1)
	v_div_fmas_f32 v0, v0, v3, v4
	v_div_fixup_f32 v0, v0, v1, 1.0
	s_delay_alu instid0(VALU_DEP_1)
	v_mul_f32_e32 v2, v2, v0
	v_xor_b32_e32 v3, 0x80000000, v0
                                        ; implicit-def: $vgpr0_vgpr1
.LBB101_194:
	s_and_not1_saveexec_b32 s1, s1
	s_cbranch_execz .LBB101_196
; %bb.195:
	v_div_scale_f32 v2, null, v0, v0, v1
	v_div_scale_f32 v5, vcc_lo, v1, v0, v1
	s_delay_alu instid0(VALU_DEP_2) | instskip(SKIP_1) | instid1(TRANS32_DEP_1)
	v_rcp_f32_e32 v3, v2
	v_nop
	v_fma_f32 v4, -v2, v3, 1.0
	s_delay_alu instid0(VALU_DEP_1) | instskip(NEXT) | instid1(VALU_DEP_1)
	v_fmac_f32_e32 v3, v4, v3
	v_mul_f32_e32 v4, v5, v3
	s_delay_alu instid0(VALU_DEP_1) | instskip(NEXT) | instid1(VALU_DEP_1)
	v_fma_f32 v6, -v2, v4, v5
	v_fmac_f32_e32 v4, v6, v3
	s_delay_alu instid0(VALU_DEP_1) | instskip(NEXT) | instid1(VALU_DEP_1)
	v_fma_f32 v2, -v2, v4, v5
	v_div_fmas_f32 v2, v2, v3, v4
	s_delay_alu instid0(VALU_DEP_1) | instskip(NEXT) | instid1(VALU_DEP_1)
	v_div_fixup_f32 v3, v2, v0, v1
	v_fmac_f32_e32 v0, v1, v3
	s_delay_alu instid0(VALU_DEP_1) | instskip(NEXT) | instid1(VALU_DEP_1)
	v_div_scale_f32 v1, null, v0, v0, 1.0
	v_rcp_f32_e32 v2, v1
	v_nop
	s_delay_alu instid0(TRANS32_DEP_1) | instskip(NEXT) | instid1(VALU_DEP_1)
	v_fma_f32 v4, -v1, v2, 1.0
	v_fmac_f32_e32 v2, v4, v2
	v_div_scale_f32 v4, vcc_lo, 1.0, v0, 1.0
	s_delay_alu instid0(VALU_DEP_1) | instskip(NEXT) | instid1(VALU_DEP_1)
	v_mul_f32_e32 v5, v4, v2
	v_fma_f32 v6, -v1, v5, v4
	s_delay_alu instid0(VALU_DEP_1) | instskip(NEXT) | instid1(VALU_DEP_1)
	v_fmac_f32_e32 v5, v6, v2
	v_fma_f32 v1, -v1, v5, v4
	s_delay_alu instid0(VALU_DEP_1) | instskip(NEXT) | instid1(VALU_DEP_1)
	v_div_fmas_f32 v1, v1, v2, v5
	v_div_fixup_f32 v2, v1, v0, 1.0
	s_delay_alu instid0(VALU_DEP_1)
	v_mul_f32_e64 v3, v3, -v2
.LBB101_196:
	s_or_b32 exec_lo, exec_lo, s1
	ds_store_b64 v103, v[2:3]
.LBB101_197:
	s_or_b32 exec_lo, exec_lo, s2
	s_wait_dscnt 0x0
	s_barrier_signal -1
	s_barrier_wait -1
	ds_load_b64 v[0:1], v103
	s_mov_b32 s1, exec_lo
	s_wait_dscnt 0x0
	scratch_store_b64 off, v[0:1], off offset:216 ; 8-byte Folded Spill
	s_wait_xcnt 0x0
	v_cmpx_lt_u32_e32 21, v102
	s_cbranch_execz .LBB101_199
; %bb.198:
	scratch_load_b64 v[4:5], off, off offset:216 ; 8-byte Folded Reload
	s_wait_loadcnt 0x0
	v_pk_mul_f32 v[2:3], v[4:5], v[90:91] op_sel:[1,1] op_sel_hi:[0,1]
	s_delay_alu instid0(VALU_DEP_1)
	v_pk_fma_f32 v[0:1], v[4:5], v[90:91], v[2:3] op_sel_hi:[1,0,1] neg_lo:[0,0,1] neg_hi:[0,0,1]
	v_pk_fma_f32 v[2:3], v[4:5], v[90:91], v[2:3] op_sel_hi:[1,0,1]
	ds_load_2addr_b64 v[4:7], v104 offset0:22 offset1:23
	v_dual_mov_b32 v90, v0 :: v_dual_mov_b32 v91, v3
	s_wait_dscnt 0x0
	v_pk_mul_f32 v[8:9], v[4:5], v[2:3] op_sel:[0,1]
	s_delay_alu instid0(VALU_DEP_1) | instskip(SKIP_1) | instid1(VALU_DEP_1)
	v_pk_fma_f32 v[10:11], v[4:5], v[0:1], v[8:9] op_sel:[0,0,1] op_sel_hi:[1,1,0] neg_lo:[0,0,1] neg_hi:[0,0,1]
	v_pk_fma_f32 v[4:5], v[4:5], v[0:1], v[8:9] op_sel:[0,0,1] op_sel_hi:[1,0,0]
	v_mov_b32_e32 v11, v5
	v_pk_mul_f32 v[4:5], v[6:7], v[2:3] op_sel:[0,1]
	s_delay_alu instid0(VALU_DEP_1) | instskip(SKIP_1) | instid1(VALU_DEP_1)
	v_pk_fma_f32 v[8:9], v[6:7], v[0:1], v[4:5] op_sel:[0,0,1] op_sel_hi:[1,1,0] neg_lo:[0,0,1] neg_hi:[0,0,1]
	v_pk_fma_f32 v[4:5], v[6:7], v[0:1], v[4:5] op_sel:[0,0,1] op_sel_hi:[1,0,0]
	v_mov_b32_e32 v9, v5
	ds_load_2addr_b64 v[4:7], v104 offset0:24 offset1:25
	v_pk_add_f32 v[92:93], v[92:93], v[10:11] neg_lo:[0,1] neg_hi:[0,1]
	v_pk_add_f32 v[88:89], v[88:89], v[8:9] neg_lo:[0,1] neg_hi:[0,1]
	s_wait_dscnt 0x0
	v_pk_mul_f32 v[8:9], v[4:5], v[2:3] op_sel:[0,1]
	s_delay_alu instid0(VALU_DEP_1) | instskip(SKIP_2) | instid1(VALU_DEP_2)
	v_pk_fma_f32 v[10:11], v[4:5], v[0:1], v[8:9] op_sel:[0,0,1] op_sel_hi:[1,1,0] neg_lo:[0,0,1] neg_hi:[0,0,1]
	v_pk_fma_f32 v[4:5], v[4:5], v[0:1], v[8:9] op_sel:[0,0,1] op_sel_hi:[1,0,0]
	v_dual_mul_f32 v8, v7, v3 :: v_dual_mov_b32 v4, v7
	v_dual_mov_b32 v11, v5 :: v_dual_mov_b32 v5, v6
	s_delay_alu instid0(VALU_DEP_2) | instskip(SKIP_1) | instid1(VALU_DEP_3)
	v_pk_fma_f32 v[8:9], v[6:7], v[90:91], v[8:9] op_sel_hi:[1,1,0] neg_lo:[0,0,1] neg_hi:[0,0,1]
	v_mul_f32_e32 v6, v7, v0
	v_pk_add_f32 v[112:113], v[112:113], v[10:11] neg_lo:[0,1] neg_hi:[0,1]
	s_delay_alu instid0(VALU_DEP_2) | instskip(NEXT) | instid1(VALU_DEP_1)
	v_pk_fma_f32 v[4:5], v[4:5], v[90:91], v[6:7] op_sel_hi:[1,1,0]
	v_mov_b32_e32 v9, v5
	ds_load_2addr_b64 v[4:7], v104 offset0:26 offset1:27
	v_pk_add_f32 v[108:109], v[108:109], v[8:9] neg_lo:[0,1] neg_hi:[0,1]
	s_wait_dscnt 0x0
	v_pk_mul_f32 v[8:9], v[4:5], v[2:3] op_sel:[0,1]
	s_delay_alu instid0(VALU_DEP_1) | instskip(SKIP_1) | instid1(VALU_DEP_1)
	v_pk_fma_f32 v[10:11], v[4:5], v[0:1], v[8:9] op_sel:[0,0,1] op_sel_hi:[1,1,0] neg_lo:[0,0,1] neg_hi:[0,0,1]
	v_pk_fma_f32 v[4:5], v[4:5], v[0:1], v[8:9] op_sel:[0,0,1] op_sel_hi:[1,0,0]
	v_mov_b32_e32 v11, v5
	v_pk_mul_f32 v[4:5], v[6:7], v[2:3] op_sel:[0,1]
	s_delay_alu instid0(VALU_DEP_1) | instskip(SKIP_1) | instid1(VALU_DEP_1)
	v_pk_fma_f32 v[8:9], v[6:7], v[0:1], v[4:5] op_sel:[0,0,1] op_sel_hi:[1,1,0] neg_lo:[0,0,1] neg_hi:[0,0,1]
	v_pk_fma_f32 v[4:5], v[6:7], v[0:1], v[4:5] op_sel:[0,0,1] op_sel_hi:[1,0,0]
	v_mov_b32_e32 v9, v5
	ds_load_2addr_b64 v[4:7], v104 offset0:28 offset1:29
	v_pk_add_f32 v[110:111], v[110:111], v[10:11] neg_lo:[0,1] neg_hi:[0,1]
	v_pk_add_f32 v[106:107], v[106:107], v[8:9] neg_lo:[0,1] neg_hi:[0,1]
	s_wait_dscnt 0x0
	v_pk_mul_f32 v[8:9], v[4:5], v[2:3] op_sel:[0,1]
	s_delay_alu instid0(VALU_DEP_1) | instskip(SKIP_1) | instid1(VALU_DEP_1)
	v_pk_fma_f32 v[10:11], v[4:5], v[0:1], v[8:9] op_sel:[0,0,1] op_sel_hi:[1,1,0] neg_lo:[0,0,1] neg_hi:[0,0,1]
	v_pk_fma_f32 v[4:5], v[4:5], v[0:1], v[8:9] op_sel:[0,0,1] op_sel_hi:[1,0,0]
	v_mov_b32_e32 v11, v5
	v_pk_mul_f32 v[4:5], v[6:7], v[2:3] op_sel:[0,1]
	s_delay_alu instid0(VALU_DEP_1) | instskip(SKIP_1) | instid1(VALU_DEP_1)
	v_pk_fma_f32 v[8:9], v[6:7], v[0:1], v[4:5] op_sel:[0,0,1] op_sel_hi:[1,1,0] neg_lo:[0,0,1] neg_hi:[0,0,1]
	v_pk_fma_f32 v[4:5], v[6:7], v[0:1], v[4:5] op_sel:[0,0,1] op_sel_hi:[1,0,0]
	v_mov_b32_e32 v9, v5
	ds_load_2addr_b64 v[4:7], v104 offset0:30 offset1:31
	v_pk_add_f32 v[128:129], v[128:129], v[10:11] neg_lo:[0,1] neg_hi:[0,1]
	v_pk_add_f32 v[124:125], v[124:125], v[8:9] neg_lo:[0,1] neg_hi:[0,1]
	s_wait_dscnt 0x0
	v_dual_mul_f32 v8, v5, v3 :: v_dual_mul_f32 v10, v5, v0
	s_delay_alu instid0(VALU_DEP_1) | instskip(NEXT) | instid1(VALU_DEP_2)
	v_pk_fma_f32 v[8:9], v[4:5], v[90:91], v[8:9] op_sel_hi:[1,1,0] neg_lo:[0,0,1] neg_hi:[0,0,1]
	v_pk_fma_f32 v[4:5], v[4:5], v[90:91], v[10:11] op_sel:[1,0,0] op_sel_hi:[0,1,0]
	s_delay_alu instid0(VALU_DEP_1) | instskip(SKIP_1) | instid1(VALU_DEP_2)
	v_mov_b32_e32 v9, v5
	v_pk_mul_f32 v[4:5], v[6:7], v[2:3] op_sel:[0,1]
	v_pk_add_f32 v[126:127], v[126:127], v[8:9] neg_lo:[0,1] neg_hi:[0,1]
	s_delay_alu instid0(VALU_DEP_2) | instskip(SKIP_1) | instid1(VALU_DEP_1)
	v_pk_fma_f32 v[8:9], v[6:7], v[0:1], v[4:5] op_sel:[0,0,1] op_sel_hi:[1,1,0] neg_lo:[0,0,1] neg_hi:[0,0,1]
	v_pk_fma_f32 v[4:5], v[6:7], v[0:1], v[4:5] op_sel:[0,0,1] op_sel_hi:[1,0,0]
	v_mov_b32_e32 v9, v5
	ds_load_2addr_b64 v[4:7], v104 offset0:32 offset1:33
	v_pk_add_f32 v[122:123], v[122:123], v[8:9] neg_lo:[0,1] neg_hi:[0,1]
	s_wait_dscnt 0x0
	v_pk_mul_f32 v[8:9], v[4:5], v[2:3] op_sel:[0,1]
	s_delay_alu instid0(VALU_DEP_1) | instskip(SKIP_1) | instid1(VALU_DEP_1)
	v_pk_fma_f32 v[10:11], v[4:5], v[0:1], v[8:9] op_sel:[0,0,1] op_sel_hi:[1,1,0] neg_lo:[0,0,1] neg_hi:[0,0,1]
	v_pk_fma_f32 v[4:5], v[4:5], v[0:1], v[8:9] op_sel:[0,0,1] op_sel_hi:[1,0,0]
	v_mov_b32_e32 v11, v5
	v_pk_mul_f32 v[4:5], v[6:7], v[2:3] op_sel:[0,1]
	s_delay_alu instid0(VALU_DEP_2) | instskip(NEXT) | instid1(VALU_DEP_2)
	v_pk_add_f32 v[146:147], v[146:147], v[10:11] neg_lo:[0,1] neg_hi:[0,1]
	v_pk_fma_f32 v[8:9], v[6:7], v[0:1], v[4:5] op_sel:[0,0,1] op_sel_hi:[1,1,0] neg_lo:[0,0,1] neg_hi:[0,0,1]
	v_pk_fma_f32 v[4:5], v[6:7], v[0:1], v[4:5] op_sel:[0,0,1] op_sel_hi:[1,0,0]
	s_delay_alu instid0(VALU_DEP_1) | instskip(SKIP_4) | instid1(VALU_DEP_1)
	v_mov_b32_e32 v9, v5
	ds_load_2addr_b64 v[4:7], v104 offset0:34 offset1:35
	v_pk_add_f32 v[142:143], v[142:143], v[8:9] neg_lo:[0,1] neg_hi:[0,1]
	s_wait_dscnt 0x0
	v_pk_mul_f32 v[8:9], v[4:5], v[2:3] op_sel:[0,1]
	v_pk_fma_f32 v[10:11], v[4:5], v[0:1], v[8:9] op_sel:[0,0,1] op_sel_hi:[1,1,0] neg_lo:[0,0,1] neg_hi:[0,0,1]
	v_pk_fma_f32 v[4:5], v[4:5], v[0:1], v[8:9] op_sel:[0,0,1] op_sel_hi:[1,0,0]
	v_dual_mul_f32 v8, v7, v3 :: v_dual_mov_b32 v4, v7
	s_delay_alu instid0(VALU_DEP_2) | instskip(NEXT) | instid1(VALU_DEP_2)
	v_dual_mov_b32 v11, v5 :: v_dual_mov_b32 v5, v6
	v_pk_fma_f32 v[8:9], v[6:7], v[90:91], v[8:9] op_sel_hi:[1,1,0] neg_lo:[0,0,1] neg_hi:[0,0,1]
	v_mul_f32_e32 v6, v7, v0
	s_delay_alu instid0(VALU_DEP_3) | instskip(NEXT) | instid1(VALU_DEP_2)
	v_pk_add_f32 v[144:145], v[144:145], v[10:11] neg_lo:[0,1] neg_hi:[0,1]
	v_pk_fma_f32 v[4:5], v[4:5], v[90:91], v[6:7] op_sel_hi:[1,1,0]
	s_delay_alu instid0(VALU_DEP_1) | instskip(SKIP_4) | instid1(VALU_DEP_1)
	v_mov_b32_e32 v9, v5
	ds_load_2addr_b64 v[4:7], v104 offset0:36 offset1:37
	v_pk_add_f32 v[140:141], v[140:141], v[8:9] neg_lo:[0,1] neg_hi:[0,1]
	s_wait_dscnt 0x0
	v_pk_mul_f32 v[8:9], v[4:5], v[2:3] op_sel:[0,1]
	v_pk_fma_f32 v[10:11], v[4:5], v[0:1], v[8:9] op_sel:[0,0,1] op_sel_hi:[1,1,0] neg_lo:[0,0,1] neg_hi:[0,0,1]
	v_pk_fma_f32 v[4:5], v[4:5], v[0:1], v[8:9] op_sel:[0,0,1] op_sel_hi:[1,0,0]
	s_delay_alu instid0(VALU_DEP_1) | instskip(SKIP_1) | instid1(VALU_DEP_1)
	v_mov_b32_e32 v11, v5
	v_pk_mul_f32 v[4:5], v[6:7], v[2:3] op_sel:[0,1]
	v_pk_fma_f32 v[8:9], v[6:7], v[0:1], v[4:5] op_sel:[0,0,1] op_sel_hi:[1,1,0] neg_lo:[0,0,1] neg_hi:[0,0,1]
	v_pk_fma_f32 v[4:5], v[6:7], v[0:1], v[4:5] op_sel:[0,0,1] op_sel_hi:[1,0,0]
	s_delay_alu instid0(VALU_DEP_1)
	v_mov_b32_e32 v9, v5
	ds_load_2addr_b64 v[4:7], v104 offset0:38 offset1:39
	v_pk_add_f32 v[162:163], v[162:163], v[10:11] neg_lo:[0,1] neg_hi:[0,1]
	v_pk_add_f32 v[158:159], v[158:159], v[8:9] neg_lo:[0,1] neg_hi:[0,1]
	s_wait_dscnt 0x0
	v_pk_mul_f32 v[8:9], v[4:5], v[2:3] op_sel:[0,1]
	s_delay_alu instid0(VALU_DEP_1) | instskip(SKIP_1) | instid1(VALU_DEP_1)
	v_pk_fma_f32 v[10:11], v[4:5], v[0:1], v[8:9] op_sel:[0,0,1] op_sel_hi:[1,1,0] neg_lo:[0,0,1] neg_hi:[0,0,1]
	v_pk_fma_f32 v[4:5], v[4:5], v[0:1], v[8:9] op_sel:[0,0,1] op_sel_hi:[1,0,0]
	v_mov_b32_e32 v11, v5
	v_pk_mul_f32 v[4:5], v[6:7], v[2:3] op_sel:[0,1]
	s_delay_alu instid0(VALU_DEP_1) | instskip(SKIP_1) | instid1(VALU_DEP_1)
	v_pk_fma_f32 v[8:9], v[6:7], v[0:1], v[4:5] op_sel:[0,0,1] op_sel_hi:[1,1,0] neg_lo:[0,0,1] neg_hi:[0,0,1]
	v_pk_fma_f32 v[4:5], v[6:7], v[0:1], v[4:5] op_sel:[0,0,1] op_sel_hi:[1,0,0]
	v_mov_b32_e32 v9, v5
	ds_load_2addr_b64 v[4:7], v104 offset0:40 offset1:41
	v_pk_add_f32 v[160:161], v[160:161], v[10:11] neg_lo:[0,1] neg_hi:[0,1]
	v_pk_add_f32 v[156:157], v[156:157], v[8:9] neg_lo:[0,1] neg_hi:[0,1]
	s_wait_dscnt 0x0
	v_dual_mul_f32 v8, v5, v3 :: v_dual_mul_f32 v10, v5, v0
	s_delay_alu instid0(VALU_DEP_1) | instskip(NEXT) | instid1(VALU_DEP_2)
	v_pk_fma_f32 v[8:9], v[4:5], v[90:91], v[8:9] op_sel_hi:[1,1,0] neg_lo:[0,0,1] neg_hi:[0,0,1]
	v_pk_fma_f32 v[4:5], v[4:5], v[90:91], v[10:11] op_sel:[1,0,0] op_sel_hi:[0,1,0]
	s_delay_alu instid0(VALU_DEP_1) | instskip(SKIP_1) | instid1(VALU_DEP_2)
	v_mov_b32_e32 v9, v5
	v_pk_mul_f32 v[4:5], v[6:7], v[2:3] op_sel:[0,1]
	v_pk_add_f32 v[180:181], v[180:181], v[8:9] neg_lo:[0,1] neg_hi:[0,1]
	s_delay_alu instid0(VALU_DEP_2) | instskip(SKIP_1) | instid1(VALU_DEP_1)
	v_pk_fma_f32 v[8:9], v[6:7], v[0:1], v[4:5] op_sel:[0,0,1] op_sel_hi:[1,1,0] neg_lo:[0,0,1] neg_hi:[0,0,1]
	v_pk_fma_f32 v[4:5], v[6:7], v[0:1], v[4:5] op_sel:[0,0,1] op_sel_hi:[1,0,0]
	v_mov_b32_e32 v9, v5
	ds_load_2addr_b64 v[4:7], v104 offset0:42 offset1:43
	v_pk_add_f32 v[176:177], v[176:177], v[8:9] neg_lo:[0,1] neg_hi:[0,1]
	s_wait_dscnt 0x0
	v_pk_mul_f32 v[8:9], v[4:5], v[2:3] op_sel:[0,1]
	s_delay_alu instid0(VALU_DEP_1) | instskip(SKIP_1) | instid1(VALU_DEP_1)
	v_pk_fma_f32 v[10:11], v[4:5], v[0:1], v[8:9] op_sel:[0,0,1] op_sel_hi:[1,1,0] neg_lo:[0,0,1] neg_hi:[0,0,1]
	v_pk_fma_f32 v[4:5], v[4:5], v[0:1], v[8:9] op_sel:[0,0,1] op_sel_hi:[1,0,0]
	v_mov_b32_e32 v11, v5
	v_pk_mul_f32 v[4:5], v[6:7], v[2:3] op_sel:[0,1]
	s_delay_alu instid0(VALU_DEP_2) | instskip(NEXT) | instid1(VALU_DEP_2)
	v_pk_add_f32 v[178:179], v[178:179], v[10:11] neg_lo:[0,1] neg_hi:[0,1]
	v_pk_fma_f32 v[8:9], v[6:7], v[0:1], v[4:5] op_sel:[0,0,1] op_sel_hi:[1,1,0] neg_lo:[0,0,1] neg_hi:[0,0,1]
	v_pk_fma_f32 v[4:5], v[6:7], v[0:1], v[4:5] op_sel:[0,0,1] op_sel_hi:[1,0,0]
	s_delay_alu instid0(VALU_DEP_1) | instskip(SKIP_4) | instid1(VALU_DEP_1)
	v_mov_b32_e32 v9, v5
	ds_load_2addr_b64 v[4:7], v104 offset0:44 offset1:45
	v_pk_add_f32 v[174:175], v[174:175], v[8:9] neg_lo:[0,1] neg_hi:[0,1]
	s_wait_dscnt 0x0
	v_pk_mul_f32 v[8:9], v[4:5], v[2:3] op_sel:[0,1]
	v_pk_fma_f32 v[10:11], v[4:5], v[0:1], v[8:9] op_sel:[0,0,1] op_sel_hi:[1,1,0] neg_lo:[0,0,1] neg_hi:[0,0,1]
	v_pk_fma_f32 v[4:5], v[4:5], v[0:1], v[8:9] op_sel:[0,0,1] op_sel_hi:[1,0,0]
	v_dual_mul_f32 v8, v7, v3 :: v_dual_mov_b32 v4, v7
	s_delay_alu instid0(VALU_DEP_2) | instskip(NEXT) | instid1(VALU_DEP_2)
	v_dual_mov_b32 v11, v5 :: v_dual_mov_b32 v5, v6
	v_pk_fma_f32 v[8:9], v[6:7], v[90:91], v[8:9] op_sel_hi:[1,1,0] neg_lo:[0,0,1] neg_hi:[0,0,1]
	v_mul_f32_e32 v6, v7, v0
	s_delay_alu instid0(VALU_DEP_3) | instskip(NEXT) | instid1(VALU_DEP_2)
	v_pk_add_f32 v[200:201], v[200:201], v[10:11] neg_lo:[0,1] neg_hi:[0,1]
	v_pk_fma_f32 v[4:5], v[4:5], v[90:91], v[6:7] op_sel_hi:[1,1,0]
	s_delay_alu instid0(VALU_DEP_1) | instskip(SKIP_4) | instid1(VALU_DEP_1)
	v_mov_b32_e32 v9, v5
	ds_load_2addr_b64 v[4:7], v104 offset0:46 offset1:47
	v_pk_add_f32 v[194:195], v[194:195], v[8:9] neg_lo:[0,1] neg_hi:[0,1]
	s_wait_dscnt 0x0
	v_pk_mul_f32 v[8:9], v[4:5], v[2:3] op_sel:[0,1]
	v_pk_fma_f32 v[10:11], v[4:5], v[0:1], v[8:9] op_sel:[0,0,1] op_sel_hi:[1,1,0] neg_lo:[0,0,1] neg_hi:[0,0,1]
	v_pk_fma_f32 v[4:5], v[4:5], v[0:1], v[8:9] op_sel:[0,0,1] op_sel_hi:[1,0,0]
	s_delay_alu instid0(VALU_DEP_1) | instskip(SKIP_1) | instid1(VALU_DEP_1)
	v_mov_b32_e32 v11, v5
	v_pk_mul_f32 v[4:5], v[6:7], v[2:3] op_sel:[0,1]
	v_pk_fma_f32 v[8:9], v[6:7], v[0:1], v[4:5] op_sel:[0,0,1] op_sel_hi:[1,1,0] neg_lo:[0,0,1] neg_hi:[0,0,1]
	v_pk_fma_f32 v[4:5], v[6:7], v[0:1], v[4:5] op_sel:[0,0,1] op_sel_hi:[1,0,0]
	s_delay_alu instid0(VALU_DEP_1)
	v_mov_b32_e32 v9, v5
	ds_load_2addr_b64 v[4:7], v104 offset0:48 offset1:49
	v_pk_add_f32 v[198:199], v[198:199], v[10:11] neg_lo:[0,1] neg_hi:[0,1]
	v_pk_add_f32 v[192:193], v[192:193], v[8:9] neg_lo:[0,1] neg_hi:[0,1]
	s_wait_dscnt 0x0
	v_pk_mul_f32 v[8:9], v[4:5], v[2:3] op_sel:[0,1]
	s_delay_alu instid0(VALU_DEP_1) | instskip(SKIP_1) | instid1(VALU_DEP_1)
	v_pk_fma_f32 v[10:11], v[4:5], v[0:1], v[8:9] op_sel:[0,0,1] op_sel_hi:[1,1,0] neg_lo:[0,0,1] neg_hi:[0,0,1]
	v_pk_fma_f32 v[4:5], v[4:5], v[0:1], v[8:9] op_sel:[0,0,1] op_sel_hi:[1,0,0]
	v_mov_b32_e32 v11, v5
	v_pk_mul_f32 v[4:5], v[6:7], v[2:3] op_sel:[0,1]
	s_delay_alu instid0(VALU_DEP_1) | instskip(SKIP_1) | instid1(VALU_DEP_1)
	v_pk_fma_f32 v[8:9], v[6:7], v[0:1], v[4:5] op_sel:[0,0,1] op_sel_hi:[1,1,0] neg_lo:[0,0,1] neg_hi:[0,0,1]
	v_pk_fma_f32 v[4:5], v[6:7], v[0:1], v[4:5] op_sel:[0,0,1] op_sel_hi:[1,0,0]
	v_mov_b32_e32 v9, v5
	ds_load_b64 v[4:5], v104 offset:400
	v_pk_add_f32 v[196:197], v[196:197], v[10:11] neg_lo:[0,1] neg_hi:[0,1]
	v_pk_add_f32 v[202:203], v[202:203], v[8:9] neg_lo:[0,1] neg_hi:[0,1]
	s_wait_dscnt 0x0
	v_pk_mul_f32 v[2:3], v[4:5], v[2:3] op_sel:[0,1]
	s_delay_alu instid0(VALU_DEP_1) | instskip(SKIP_1) | instid1(VALU_DEP_1)
	v_pk_fma_f32 v[6:7], v[4:5], v[0:1], v[2:3] op_sel:[0,0,1] op_sel_hi:[1,1,0] neg_lo:[0,0,1] neg_hi:[0,0,1]
	v_pk_fma_f32 v[0:1], v[4:5], v[0:1], v[2:3] op_sel:[0,0,1] op_sel_hi:[1,0,0]
	v_mov_b32_e32 v7, v1
	s_delay_alu instid0(VALU_DEP_1)
	v_pk_add_f32 v[204:205], v[204:205], v[6:7] neg_lo:[0,1] neg_hi:[0,1]
.LBB101_199:
	s_wait_xcnt 0x0
	s_or_b32 exec_lo, exec_lo, s1
	s_delay_alu instid0(SALU_CYCLE_1)
	s_mov_b32 s2, exec_lo
	s_wait_storecnt 0x0
	s_barrier_signal -1
	s_barrier_wait -1
	v_cmpx_eq_u32_e32 22, v102
	s_cbranch_execz .LBB101_206
; %bb.200:
	ds_store_b64 v103, v[92:93]
	ds_store_2addr_b64 v104, v[88:89], v[112:113] offset0:23 offset1:24
	ds_store_2addr_b64 v104, v[108:109], v[110:111] offset0:25 offset1:26
	;; [unrolled: 1-line block ×14, first 2 shown]
	ds_load_b64 v[0:1], v103
	s_wait_dscnt 0x0
	v_cmp_neq_f32_e32 vcc_lo, 0, v0
	v_cmp_neq_f32_e64 s1, 0, v1
	s_or_b32 s1, vcc_lo, s1
	s_delay_alu instid0(SALU_CYCLE_1)
	s_and_b32 exec_lo, exec_lo, s1
	s_cbranch_execz .LBB101_206
; %bb.201:
	v_cmp_ngt_f32_e64 s1, |v0|, |v1|
                                        ; implicit-def: $vgpr2_vgpr3
	s_and_saveexec_b32 s4, s1
	s_delay_alu instid0(SALU_CYCLE_1)
	s_xor_b32 s1, exec_lo, s4
	s_cbranch_execz .LBB101_203
; %bb.202:
	v_div_scale_f32 v2, null, v1, v1, v0
	v_div_scale_f32 v5, vcc_lo, v0, v1, v0
	s_delay_alu instid0(VALU_DEP_2) | instskip(SKIP_1) | instid1(TRANS32_DEP_1)
	v_rcp_f32_e32 v3, v2
	v_nop
	v_fma_f32 v4, -v2, v3, 1.0
	s_delay_alu instid0(VALU_DEP_1) | instskip(NEXT) | instid1(VALU_DEP_1)
	v_fmac_f32_e32 v3, v4, v3
	v_mul_f32_e32 v4, v5, v3
	s_delay_alu instid0(VALU_DEP_1) | instskip(NEXT) | instid1(VALU_DEP_1)
	v_fma_f32 v6, -v2, v4, v5
	v_fmac_f32_e32 v4, v6, v3
	s_delay_alu instid0(VALU_DEP_1) | instskip(NEXT) | instid1(VALU_DEP_1)
	v_fma_f32 v2, -v2, v4, v5
	v_div_fmas_f32 v2, v2, v3, v4
	s_delay_alu instid0(VALU_DEP_1) | instskip(NEXT) | instid1(VALU_DEP_1)
	v_div_fixup_f32 v2, v2, v1, v0
	v_fmac_f32_e32 v1, v0, v2
	s_delay_alu instid0(VALU_DEP_1) | instskip(SKIP_1) | instid1(VALU_DEP_2)
	v_div_scale_f32 v0, null, v1, v1, 1.0
	v_div_scale_f32 v5, vcc_lo, 1.0, v1, 1.0
	v_rcp_f32_e32 v3, v0
	v_nop
	s_delay_alu instid0(TRANS32_DEP_1) | instskip(NEXT) | instid1(VALU_DEP_1)
	v_fma_f32 v4, -v0, v3, 1.0
	v_fmac_f32_e32 v3, v4, v3
	s_delay_alu instid0(VALU_DEP_1) | instskip(NEXT) | instid1(VALU_DEP_1)
	v_mul_f32_e32 v4, v5, v3
	v_fma_f32 v6, -v0, v4, v5
	s_delay_alu instid0(VALU_DEP_1) | instskip(NEXT) | instid1(VALU_DEP_1)
	v_fmac_f32_e32 v4, v6, v3
	v_fma_f32 v0, -v0, v4, v5
	s_delay_alu instid0(VALU_DEP_1) | instskip(NEXT) | instid1(VALU_DEP_1)
	v_div_fmas_f32 v0, v0, v3, v4
	v_div_fixup_f32 v0, v0, v1, 1.0
	s_delay_alu instid0(VALU_DEP_1)
	v_mul_f32_e32 v2, v2, v0
	v_xor_b32_e32 v3, 0x80000000, v0
                                        ; implicit-def: $vgpr0_vgpr1
.LBB101_203:
	s_and_not1_saveexec_b32 s1, s1
	s_cbranch_execz .LBB101_205
; %bb.204:
	v_div_scale_f32 v2, null, v0, v0, v1
	v_div_scale_f32 v5, vcc_lo, v1, v0, v1
	s_delay_alu instid0(VALU_DEP_2) | instskip(SKIP_1) | instid1(TRANS32_DEP_1)
	v_rcp_f32_e32 v3, v2
	v_nop
	v_fma_f32 v4, -v2, v3, 1.0
	s_delay_alu instid0(VALU_DEP_1) | instskip(NEXT) | instid1(VALU_DEP_1)
	v_fmac_f32_e32 v3, v4, v3
	v_mul_f32_e32 v4, v5, v3
	s_delay_alu instid0(VALU_DEP_1) | instskip(NEXT) | instid1(VALU_DEP_1)
	v_fma_f32 v6, -v2, v4, v5
	v_fmac_f32_e32 v4, v6, v3
	s_delay_alu instid0(VALU_DEP_1) | instskip(NEXT) | instid1(VALU_DEP_1)
	v_fma_f32 v2, -v2, v4, v5
	v_div_fmas_f32 v2, v2, v3, v4
	s_delay_alu instid0(VALU_DEP_1) | instskip(NEXT) | instid1(VALU_DEP_1)
	v_div_fixup_f32 v3, v2, v0, v1
	v_fmac_f32_e32 v0, v1, v3
	s_delay_alu instid0(VALU_DEP_1) | instskip(NEXT) | instid1(VALU_DEP_1)
	v_div_scale_f32 v1, null, v0, v0, 1.0
	v_rcp_f32_e32 v2, v1
	v_nop
	s_delay_alu instid0(TRANS32_DEP_1) | instskip(NEXT) | instid1(VALU_DEP_1)
	v_fma_f32 v4, -v1, v2, 1.0
	v_fmac_f32_e32 v2, v4, v2
	v_div_scale_f32 v4, vcc_lo, 1.0, v0, 1.0
	s_delay_alu instid0(VALU_DEP_1) | instskip(NEXT) | instid1(VALU_DEP_1)
	v_mul_f32_e32 v5, v4, v2
	v_fma_f32 v6, -v1, v5, v4
	s_delay_alu instid0(VALU_DEP_1) | instskip(NEXT) | instid1(VALU_DEP_1)
	v_fmac_f32_e32 v5, v6, v2
	v_fma_f32 v1, -v1, v5, v4
	s_delay_alu instid0(VALU_DEP_1) | instskip(NEXT) | instid1(VALU_DEP_1)
	v_div_fmas_f32 v1, v1, v2, v5
	v_div_fixup_f32 v2, v1, v0, 1.0
	s_delay_alu instid0(VALU_DEP_1)
	v_mul_f32_e64 v3, v3, -v2
.LBB101_205:
	s_or_b32 exec_lo, exec_lo, s1
	ds_store_b64 v103, v[2:3]
.LBB101_206:
	s_or_b32 exec_lo, exec_lo, s2
	s_wait_dscnt 0x0
	s_barrier_signal -1
	s_barrier_wait -1
	ds_load_b64 v[0:1], v103
	s_mov_b32 s1, exec_lo
	s_wait_dscnt 0x0
	scratch_store_b64 off, v[0:1], off offset:224 ; 8-byte Folded Spill
	s_wait_xcnt 0x0
	v_cmpx_lt_u32_e32 22, v102
	s_cbranch_execz .LBB101_208
; %bb.207:
	scratch_load_b64 v[4:5], off, off offset:224 ; 8-byte Folded Reload
	s_wait_loadcnt 0x0
	v_pk_mul_f32 v[2:3], v[4:5], v[92:93] op_sel:[1,1] op_sel_hi:[0,1]
	s_delay_alu instid0(VALU_DEP_1)
	v_pk_fma_f32 v[0:1], v[4:5], v[92:93], v[2:3] op_sel_hi:[1,0,1] neg_lo:[0,0,1] neg_hi:[0,0,1]
	v_pk_fma_f32 v[2:3], v[4:5], v[92:93], v[2:3] op_sel_hi:[1,0,1]
	ds_load_2addr_b64 v[4:7], v104 offset0:23 offset1:24
	v_dual_mov_b32 v92, v0 :: v_dual_mov_b32 v93, v3
	s_wait_dscnt 0x0
	v_pk_mul_f32 v[8:9], v[4:5], v[2:3] op_sel:[0,1]
	s_delay_alu instid0(VALU_DEP_1) | instskip(SKIP_1) | instid1(VALU_DEP_1)
	v_pk_fma_f32 v[10:11], v[4:5], v[0:1], v[8:9] op_sel:[0,0,1] op_sel_hi:[1,1,0] neg_lo:[0,0,1] neg_hi:[0,0,1]
	v_pk_fma_f32 v[4:5], v[4:5], v[0:1], v[8:9] op_sel:[0,0,1] op_sel_hi:[1,0,0]
	v_mov_b32_e32 v11, v5
	v_pk_mul_f32 v[4:5], v[6:7], v[2:3] op_sel:[0,1]
	s_delay_alu instid0(VALU_DEP_1) | instskip(SKIP_1) | instid1(VALU_DEP_1)
	v_pk_fma_f32 v[8:9], v[6:7], v[0:1], v[4:5] op_sel:[0,0,1] op_sel_hi:[1,1,0] neg_lo:[0,0,1] neg_hi:[0,0,1]
	v_pk_fma_f32 v[4:5], v[6:7], v[0:1], v[4:5] op_sel:[0,0,1] op_sel_hi:[1,0,0]
	v_mov_b32_e32 v9, v5
	ds_load_2addr_b64 v[4:7], v104 offset0:25 offset1:26
	v_pk_add_f32 v[88:89], v[88:89], v[10:11] neg_lo:[0,1] neg_hi:[0,1]
	v_pk_add_f32 v[112:113], v[112:113], v[8:9] neg_lo:[0,1] neg_hi:[0,1]
	s_wait_dscnt 0x0
	v_pk_mul_f32 v[8:9], v[4:5], v[2:3] op_sel:[0,1]
	s_delay_alu instid0(VALU_DEP_1) | instskip(SKIP_2) | instid1(VALU_DEP_2)
	v_pk_fma_f32 v[10:11], v[4:5], v[0:1], v[8:9] op_sel:[0,0,1] op_sel_hi:[1,1,0] neg_lo:[0,0,1] neg_hi:[0,0,1]
	v_pk_fma_f32 v[4:5], v[4:5], v[0:1], v[8:9] op_sel:[0,0,1] op_sel_hi:[1,0,0]
	v_dual_mul_f32 v8, v7, v3 :: v_dual_mov_b32 v4, v7
	v_dual_mov_b32 v11, v5 :: v_dual_mov_b32 v5, v6
	s_delay_alu instid0(VALU_DEP_2) | instskip(SKIP_1) | instid1(VALU_DEP_3)
	v_pk_fma_f32 v[8:9], v[6:7], v[92:93], v[8:9] op_sel_hi:[1,1,0] neg_lo:[0,0,1] neg_hi:[0,0,1]
	v_mul_f32_e32 v6, v7, v0
	v_pk_add_f32 v[108:109], v[108:109], v[10:11] neg_lo:[0,1] neg_hi:[0,1]
	s_delay_alu instid0(VALU_DEP_2) | instskip(NEXT) | instid1(VALU_DEP_1)
	v_pk_fma_f32 v[4:5], v[4:5], v[92:93], v[6:7] op_sel_hi:[1,1,0]
	v_mov_b32_e32 v9, v5
	ds_load_2addr_b64 v[4:7], v104 offset0:27 offset1:28
	v_pk_add_f32 v[110:111], v[110:111], v[8:9] neg_lo:[0,1] neg_hi:[0,1]
	s_wait_dscnt 0x0
	v_pk_mul_f32 v[8:9], v[4:5], v[2:3] op_sel:[0,1]
	s_delay_alu instid0(VALU_DEP_1) | instskip(SKIP_1) | instid1(VALU_DEP_1)
	v_pk_fma_f32 v[10:11], v[4:5], v[0:1], v[8:9] op_sel:[0,0,1] op_sel_hi:[1,1,0] neg_lo:[0,0,1] neg_hi:[0,0,1]
	v_pk_fma_f32 v[4:5], v[4:5], v[0:1], v[8:9] op_sel:[0,0,1] op_sel_hi:[1,0,0]
	v_mov_b32_e32 v11, v5
	v_pk_mul_f32 v[4:5], v[6:7], v[2:3] op_sel:[0,1]
	s_delay_alu instid0(VALU_DEP_1) | instskip(SKIP_1) | instid1(VALU_DEP_1)
	v_pk_fma_f32 v[8:9], v[6:7], v[0:1], v[4:5] op_sel:[0,0,1] op_sel_hi:[1,1,0] neg_lo:[0,0,1] neg_hi:[0,0,1]
	v_pk_fma_f32 v[4:5], v[6:7], v[0:1], v[4:5] op_sel:[0,0,1] op_sel_hi:[1,0,0]
	v_mov_b32_e32 v9, v5
	ds_load_2addr_b64 v[4:7], v104 offset0:29 offset1:30
	v_pk_add_f32 v[106:107], v[106:107], v[10:11] neg_lo:[0,1] neg_hi:[0,1]
	v_pk_add_f32 v[128:129], v[128:129], v[8:9] neg_lo:[0,1] neg_hi:[0,1]
	s_wait_dscnt 0x0
	v_pk_mul_f32 v[8:9], v[4:5], v[2:3] op_sel:[0,1]
	s_delay_alu instid0(VALU_DEP_1) | instskip(SKIP_1) | instid1(VALU_DEP_1)
	v_pk_fma_f32 v[10:11], v[4:5], v[0:1], v[8:9] op_sel:[0,0,1] op_sel_hi:[1,1,0] neg_lo:[0,0,1] neg_hi:[0,0,1]
	v_pk_fma_f32 v[4:5], v[4:5], v[0:1], v[8:9] op_sel:[0,0,1] op_sel_hi:[1,0,0]
	v_mov_b32_e32 v11, v5
	v_pk_mul_f32 v[4:5], v[6:7], v[2:3] op_sel:[0,1]
	s_delay_alu instid0(VALU_DEP_1) | instskip(SKIP_1) | instid1(VALU_DEP_1)
	v_pk_fma_f32 v[8:9], v[6:7], v[0:1], v[4:5] op_sel:[0,0,1] op_sel_hi:[1,1,0] neg_lo:[0,0,1] neg_hi:[0,0,1]
	v_pk_fma_f32 v[4:5], v[6:7], v[0:1], v[4:5] op_sel:[0,0,1] op_sel_hi:[1,0,0]
	v_mov_b32_e32 v9, v5
	ds_load_2addr_b64 v[4:7], v104 offset0:31 offset1:32
	v_pk_add_f32 v[124:125], v[124:125], v[10:11] neg_lo:[0,1] neg_hi:[0,1]
	v_pk_add_f32 v[126:127], v[126:127], v[8:9] neg_lo:[0,1] neg_hi:[0,1]
	s_wait_dscnt 0x0
	v_dual_mul_f32 v8, v5, v3 :: v_dual_mul_f32 v10, v5, v0
	s_delay_alu instid0(VALU_DEP_1) | instskip(NEXT) | instid1(VALU_DEP_2)
	v_pk_fma_f32 v[8:9], v[4:5], v[92:93], v[8:9] op_sel_hi:[1,1,0] neg_lo:[0,0,1] neg_hi:[0,0,1]
	v_pk_fma_f32 v[4:5], v[4:5], v[92:93], v[10:11] op_sel:[1,0,0] op_sel_hi:[0,1,0]
	s_delay_alu instid0(VALU_DEP_1) | instskip(SKIP_1) | instid1(VALU_DEP_2)
	v_mov_b32_e32 v9, v5
	v_pk_mul_f32 v[4:5], v[6:7], v[2:3] op_sel:[0,1]
	v_pk_add_f32 v[122:123], v[122:123], v[8:9] neg_lo:[0,1] neg_hi:[0,1]
	s_delay_alu instid0(VALU_DEP_2) | instskip(SKIP_1) | instid1(VALU_DEP_1)
	v_pk_fma_f32 v[8:9], v[6:7], v[0:1], v[4:5] op_sel:[0,0,1] op_sel_hi:[1,1,0] neg_lo:[0,0,1] neg_hi:[0,0,1]
	v_pk_fma_f32 v[4:5], v[6:7], v[0:1], v[4:5] op_sel:[0,0,1] op_sel_hi:[1,0,0]
	v_mov_b32_e32 v9, v5
	ds_load_2addr_b64 v[4:7], v104 offset0:33 offset1:34
	v_pk_add_f32 v[146:147], v[146:147], v[8:9] neg_lo:[0,1] neg_hi:[0,1]
	s_wait_dscnt 0x0
	v_pk_mul_f32 v[8:9], v[4:5], v[2:3] op_sel:[0,1]
	s_delay_alu instid0(VALU_DEP_1) | instskip(SKIP_1) | instid1(VALU_DEP_1)
	v_pk_fma_f32 v[10:11], v[4:5], v[0:1], v[8:9] op_sel:[0,0,1] op_sel_hi:[1,1,0] neg_lo:[0,0,1] neg_hi:[0,0,1]
	v_pk_fma_f32 v[4:5], v[4:5], v[0:1], v[8:9] op_sel:[0,0,1] op_sel_hi:[1,0,0]
	v_mov_b32_e32 v11, v5
	v_pk_mul_f32 v[4:5], v[6:7], v[2:3] op_sel:[0,1]
	s_delay_alu instid0(VALU_DEP_2) | instskip(NEXT) | instid1(VALU_DEP_2)
	v_pk_add_f32 v[142:143], v[142:143], v[10:11] neg_lo:[0,1] neg_hi:[0,1]
	v_pk_fma_f32 v[8:9], v[6:7], v[0:1], v[4:5] op_sel:[0,0,1] op_sel_hi:[1,1,0] neg_lo:[0,0,1] neg_hi:[0,0,1]
	v_pk_fma_f32 v[4:5], v[6:7], v[0:1], v[4:5] op_sel:[0,0,1] op_sel_hi:[1,0,0]
	s_delay_alu instid0(VALU_DEP_1) | instskip(SKIP_4) | instid1(VALU_DEP_1)
	v_mov_b32_e32 v9, v5
	ds_load_2addr_b64 v[4:7], v104 offset0:35 offset1:36
	v_pk_add_f32 v[144:145], v[144:145], v[8:9] neg_lo:[0,1] neg_hi:[0,1]
	s_wait_dscnt 0x0
	v_pk_mul_f32 v[8:9], v[4:5], v[2:3] op_sel:[0,1]
	v_pk_fma_f32 v[10:11], v[4:5], v[0:1], v[8:9] op_sel:[0,0,1] op_sel_hi:[1,1,0] neg_lo:[0,0,1] neg_hi:[0,0,1]
	v_pk_fma_f32 v[4:5], v[4:5], v[0:1], v[8:9] op_sel:[0,0,1] op_sel_hi:[1,0,0]
	v_dual_mul_f32 v8, v7, v3 :: v_dual_mov_b32 v4, v7
	s_delay_alu instid0(VALU_DEP_2) | instskip(NEXT) | instid1(VALU_DEP_2)
	v_dual_mov_b32 v11, v5 :: v_dual_mov_b32 v5, v6
	v_pk_fma_f32 v[8:9], v[6:7], v[92:93], v[8:9] op_sel_hi:[1,1,0] neg_lo:[0,0,1] neg_hi:[0,0,1]
	v_mul_f32_e32 v6, v7, v0
	s_delay_alu instid0(VALU_DEP_3) | instskip(NEXT) | instid1(VALU_DEP_2)
	v_pk_add_f32 v[140:141], v[140:141], v[10:11] neg_lo:[0,1] neg_hi:[0,1]
	v_pk_fma_f32 v[4:5], v[4:5], v[92:93], v[6:7] op_sel_hi:[1,1,0]
	s_delay_alu instid0(VALU_DEP_1) | instskip(SKIP_4) | instid1(VALU_DEP_1)
	v_mov_b32_e32 v9, v5
	ds_load_2addr_b64 v[4:7], v104 offset0:37 offset1:38
	v_pk_add_f32 v[162:163], v[162:163], v[8:9] neg_lo:[0,1] neg_hi:[0,1]
	s_wait_dscnt 0x0
	v_pk_mul_f32 v[8:9], v[4:5], v[2:3] op_sel:[0,1]
	v_pk_fma_f32 v[10:11], v[4:5], v[0:1], v[8:9] op_sel:[0,0,1] op_sel_hi:[1,1,0] neg_lo:[0,0,1] neg_hi:[0,0,1]
	v_pk_fma_f32 v[4:5], v[4:5], v[0:1], v[8:9] op_sel:[0,0,1] op_sel_hi:[1,0,0]
	s_delay_alu instid0(VALU_DEP_1) | instskip(SKIP_1) | instid1(VALU_DEP_1)
	v_mov_b32_e32 v11, v5
	v_pk_mul_f32 v[4:5], v[6:7], v[2:3] op_sel:[0,1]
	v_pk_fma_f32 v[8:9], v[6:7], v[0:1], v[4:5] op_sel:[0,0,1] op_sel_hi:[1,1,0] neg_lo:[0,0,1] neg_hi:[0,0,1]
	v_pk_fma_f32 v[4:5], v[6:7], v[0:1], v[4:5] op_sel:[0,0,1] op_sel_hi:[1,0,0]
	s_delay_alu instid0(VALU_DEP_1)
	v_mov_b32_e32 v9, v5
	ds_load_2addr_b64 v[4:7], v104 offset0:39 offset1:40
	v_pk_add_f32 v[158:159], v[158:159], v[10:11] neg_lo:[0,1] neg_hi:[0,1]
	v_pk_add_f32 v[160:161], v[160:161], v[8:9] neg_lo:[0,1] neg_hi:[0,1]
	s_wait_dscnt 0x0
	v_pk_mul_f32 v[8:9], v[4:5], v[2:3] op_sel:[0,1]
	s_delay_alu instid0(VALU_DEP_1) | instskip(SKIP_1) | instid1(VALU_DEP_1)
	v_pk_fma_f32 v[10:11], v[4:5], v[0:1], v[8:9] op_sel:[0,0,1] op_sel_hi:[1,1,0] neg_lo:[0,0,1] neg_hi:[0,0,1]
	v_pk_fma_f32 v[4:5], v[4:5], v[0:1], v[8:9] op_sel:[0,0,1] op_sel_hi:[1,0,0]
	v_mov_b32_e32 v11, v5
	v_pk_mul_f32 v[4:5], v[6:7], v[2:3] op_sel:[0,1]
	s_delay_alu instid0(VALU_DEP_1) | instskip(SKIP_1) | instid1(VALU_DEP_1)
	v_pk_fma_f32 v[8:9], v[6:7], v[0:1], v[4:5] op_sel:[0,0,1] op_sel_hi:[1,1,0] neg_lo:[0,0,1] neg_hi:[0,0,1]
	v_pk_fma_f32 v[4:5], v[6:7], v[0:1], v[4:5] op_sel:[0,0,1] op_sel_hi:[1,0,0]
	v_mov_b32_e32 v9, v5
	ds_load_2addr_b64 v[4:7], v104 offset0:41 offset1:42
	v_pk_add_f32 v[156:157], v[156:157], v[10:11] neg_lo:[0,1] neg_hi:[0,1]
	v_pk_add_f32 v[180:181], v[180:181], v[8:9] neg_lo:[0,1] neg_hi:[0,1]
	s_wait_dscnt 0x0
	v_dual_mul_f32 v8, v5, v3 :: v_dual_mul_f32 v10, v5, v0
	s_delay_alu instid0(VALU_DEP_1) | instskip(NEXT) | instid1(VALU_DEP_2)
	v_pk_fma_f32 v[8:9], v[4:5], v[92:93], v[8:9] op_sel_hi:[1,1,0] neg_lo:[0,0,1] neg_hi:[0,0,1]
	v_pk_fma_f32 v[4:5], v[4:5], v[92:93], v[10:11] op_sel:[1,0,0] op_sel_hi:[0,1,0]
	s_delay_alu instid0(VALU_DEP_1) | instskip(SKIP_1) | instid1(VALU_DEP_2)
	v_mov_b32_e32 v9, v5
	v_pk_mul_f32 v[4:5], v[6:7], v[2:3] op_sel:[0,1]
	v_pk_add_f32 v[176:177], v[176:177], v[8:9] neg_lo:[0,1] neg_hi:[0,1]
	s_delay_alu instid0(VALU_DEP_2) | instskip(SKIP_1) | instid1(VALU_DEP_1)
	v_pk_fma_f32 v[8:9], v[6:7], v[0:1], v[4:5] op_sel:[0,0,1] op_sel_hi:[1,1,0] neg_lo:[0,0,1] neg_hi:[0,0,1]
	v_pk_fma_f32 v[4:5], v[6:7], v[0:1], v[4:5] op_sel:[0,0,1] op_sel_hi:[1,0,0]
	v_mov_b32_e32 v9, v5
	ds_load_2addr_b64 v[4:7], v104 offset0:43 offset1:44
	v_pk_add_f32 v[178:179], v[178:179], v[8:9] neg_lo:[0,1] neg_hi:[0,1]
	s_wait_dscnt 0x0
	v_pk_mul_f32 v[8:9], v[4:5], v[2:3] op_sel:[0,1]
	s_delay_alu instid0(VALU_DEP_1) | instskip(SKIP_1) | instid1(VALU_DEP_1)
	v_pk_fma_f32 v[10:11], v[4:5], v[0:1], v[8:9] op_sel:[0,0,1] op_sel_hi:[1,1,0] neg_lo:[0,0,1] neg_hi:[0,0,1]
	v_pk_fma_f32 v[4:5], v[4:5], v[0:1], v[8:9] op_sel:[0,0,1] op_sel_hi:[1,0,0]
	v_mov_b32_e32 v11, v5
	v_pk_mul_f32 v[4:5], v[6:7], v[2:3] op_sel:[0,1]
	s_delay_alu instid0(VALU_DEP_2) | instskip(NEXT) | instid1(VALU_DEP_2)
	v_pk_add_f32 v[174:175], v[174:175], v[10:11] neg_lo:[0,1] neg_hi:[0,1]
	v_pk_fma_f32 v[8:9], v[6:7], v[0:1], v[4:5] op_sel:[0,0,1] op_sel_hi:[1,1,0] neg_lo:[0,0,1] neg_hi:[0,0,1]
	v_pk_fma_f32 v[4:5], v[6:7], v[0:1], v[4:5] op_sel:[0,0,1] op_sel_hi:[1,0,0]
	s_delay_alu instid0(VALU_DEP_1) | instskip(SKIP_4) | instid1(VALU_DEP_1)
	v_mov_b32_e32 v9, v5
	ds_load_2addr_b64 v[4:7], v104 offset0:45 offset1:46
	v_pk_add_f32 v[200:201], v[200:201], v[8:9] neg_lo:[0,1] neg_hi:[0,1]
	s_wait_dscnt 0x0
	v_pk_mul_f32 v[8:9], v[4:5], v[2:3] op_sel:[0,1]
	v_pk_fma_f32 v[10:11], v[4:5], v[0:1], v[8:9] op_sel:[0,0,1] op_sel_hi:[1,1,0] neg_lo:[0,0,1] neg_hi:[0,0,1]
	v_pk_fma_f32 v[4:5], v[4:5], v[0:1], v[8:9] op_sel:[0,0,1] op_sel_hi:[1,0,0]
	v_dual_mul_f32 v8, v7, v3 :: v_dual_mov_b32 v4, v7
	s_delay_alu instid0(VALU_DEP_2) | instskip(NEXT) | instid1(VALU_DEP_2)
	v_dual_mov_b32 v11, v5 :: v_dual_mov_b32 v5, v6
	v_pk_fma_f32 v[8:9], v[6:7], v[92:93], v[8:9] op_sel_hi:[1,1,0] neg_lo:[0,0,1] neg_hi:[0,0,1]
	v_mul_f32_e32 v6, v7, v0
	s_delay_alu instid0(VALU_DEP_3) | instskip(NEXT) | instid1(VALU_DEP_2)
	v_pk_add_f32 v[194:195], v[194:195], v[10:11] neg_lo:[0,1] neg_hi:[0,1]
	v_pk_fma_f32 v[4:5], v[4:5], v[92:93], v[6:7] op_sel_hi:[1,1,0]
	s_delay_alu instid0(VALU_DEP_1) | instskip(SKIP_4) | instid1(VALU_DEP_1)
	v_mov_b32_e32 v9, v5
	ds_load_2addr_b64 v[4:7], v104 offset0:47 offset1:48
	v_pk_add_f32 v[198:199], v[198:199], v[8:9] neg_lo:[0,1] neg_hi:[0,1]
	s_wait_dscnt 0x0
	v_pk_mul_f32 v[8:9], v[4:5], v[2:3] op_sel:[0,1]
	v_pk_fma_f32 v[10:11], v[4:5], v[0:1], v[8:9] op_sel:[0,0,1] op_sel_hi:[1,1,0] neg_lo:[0,0,1] neg_hi:[0,0,1]
	v_pk_fma_f32 v[4:5], v[4:5], v[0:1], v[8:9] op_sel:[0,0,1] op_sel_hi:[1,0,0]
	s_delay_alu instid0(VALU_DEP_1) | instskip(SKIP_1) | instid1(VALU_DEP_1)
	v_mov_b32_e32 v11, v5
	v_pk_mul_f32 v[4:5], v[6:7], v[2:3] op_sel:[0,1]
	v_pk_fma_f32 v[8:9], v[6:7], v[0:1], v[4:5] op_sel:[0,0,1] op_sel_hi:[1,1,0] neg_lo:[0,0,1] neg_hi:[0,0,1]
	v_pk_fma_f32 v[4:5], v[6:7], v[0:1], v[4:5] op_sel:[0,0,1] op_sel_hi:[1,0,0]
	s_delay_alu instid0(VALU_DEP_1)
	v_mov_b32_e32 v9, v5
	ds_load_2addr_b64 v[4:7], v104 offset0:49 offset1:50
	v_pk_add_f32 v[192:193], v[192:193], v[10:11] neg_lo:[0,1] neg_hi:[0,1]
	v_pk_add_f32 v[196:197], v[196:197], v[8:9] neg_lo:[0,1] neg_hi:[0,1]
	s_wait_dscnt 0x0
	v_pk_mul_f32 v[8:9], v[4:5], v[2:3] op_sel:[0,1]
	v_pk_mul_f32 v[2:3], v[6:7], v[2:3] op_sel:[0,1]
	s_delay_alu instid0(VALU_DEP_2) | instskip(SKIP_1) | instid1(VALU_DEP_1)
	v_pk_fma_f32 v[10:11], v[4:5], v[0:1], v[8:9] op_sel:[0,0,1] op_sel_hi:[1,1,0] neg_lo:[0,0,1] neg_hi:[0,0,1]
	v_pk_fma_f32 v[4:5], v[4:5], v[0:1], v[8:9] op_sel:[0,0,1] op_sel_hi:[1,0,0]
	v_mov_b32_e32 v11, v5
	s_delay_alu instid0(VALU_DEP_4) | instskip(SKIP_1) | instid1(VALU_DEP_1)
	v_pk_fma_f32 v[4:5], v[6:7], v[0:1], v[2:3] op_sel:[0,0,1] op_sel_hi:[1,1,0] neg_lo:[0,0,1] neg_hi:[0,0,1]
	v_pk_fma_f32 v[0:1], v[6:7], v[0:1], v[2:3] op_sel:[0,0,1] op_sel_hi:[1,0,0]
	v_mov_b32_e32 v5, v1
	s_delay_alu instid0(VALU_DEP_4) | instskip(NEXT) | instid1(VALU_DEP_2)
	v_pk_add_f32 v[202:203], v[202:203], v[10:11] neg_lo:[0,1] neg_hi:[0,1]
	v_pk_add_f32 v[204:205], v[204:205], v[4:5] neg_lo:[0,1] neg_hi:[0,1]
.LBB101_208:
	s_wait_xcnt 0x0
	s_or_b32 exec_lo, exec_lo, s1
	s_delay_alu instid0(SALU_CYCLE_1)
	s_mov_b32 s2, exec_lo
	s_wait_storecnt 0x0
	s_barrier_signal -1
	s_barrier_wait -1
	v_cmpx_eq_u32_e32 23, v102
	s_cbranch_execz .LBB101_215
; %bb.209:
	v_dual_mov_b32 v0, v112 :: v_dual_mov_b32 v1, v113
	v_dual_mov_b32 v2, v108 :: v_dual_mov_b32 v3, v109
	ds_store_b64 v103, v[88:89]
	ds_store_2addr_b64 v104, v[0:1], v[2:3] offset0:24 offset1:25
	v_dual_mov_b32 v0, v110 :: v_dual_mov_b32 v1, v111
	v_dual_mov_b32 v2, v106 :: v_dual_mov_b32 v3, v107
	ds_store_2addr_b64 v104, v[0:1], v[2:3] offset0:26 offset1:27
	v_dual_mov_b32 v0, v128 :: v_dual_mov_b32 v1, v129
	v_dual_mov_b32 v2, v124 :: v_dual_mov_b32 v3, v125
	;; [unrolled: 3-line block ×12, first 2 shown]
	ds_store_2addr_b64 v104, v[0:1], v[2:3] offset0:48 offset1:49
	ds_store_b64 v104, v[204:205] offset:400
	ds_load_b64 v[0:1], v103
	s_wait_dscnt 0x0
	v_cmp_neq_f32_e32 vcc_lo, 0, v0
	v_cmp_neq_f32_e64 s1, 0, v1
	s_or_b32 s1, vcc_lo, s1
	s_delay_alu instid0(SALU_CYCLE_1)
	s_and_b32 exec_lo, exec_lo, s1
	s_cbranch_execz .LBB101_215
; %bb.210:
	v_cmp_ngt_f32_e64 s1, |v0|, |v1|
                                        ; implicit-def: $vgpr2_vgpr3
	s_and_saveexec_b32 s4, s1
	s_delay_alu instid0(SALU_CYCLE_1)
	s_xor_b32 s1, exec_lo, s4
	s_cbranch_execz .LBB101_212
; %bb.211:
	v_div_scale_f32 v2, null, v1, v1, v0
	v_div_scale_f32 v5, vcc_lo, v0, v1, v0
	s_delay_alu instid0(VALU_DEP_2) | instskip(SKIP_1) | instid1(TRANS32_DEP_1)
	v_rcp_f32_e32 v3, v2
	v_nop
	v_fma_f32 v4, -v2, v3, 1.0
	s_delay_alu instid0(VALU_DEP_1) | instskip(NEXT) | instid1(VALU_DEP_1)
	v_fmac_f32_e32 v3, v4, v3
	v_mul_f32_e32 v4, v5, v3
	s_delay_alu instid0(VALU_DEP_1) | instskip(NEXT) | instid1(VALU_DEP_1)
	v_fma_f32 v6, -v2, v4, v5
	v_fmac_f32_e32 v4, v6, v3
	s_delay_alu instid0(VALU_DEP_1) | instskip(NEXT) | instid1(VALU_DEP_1)
	v_fma_f32 v2, -v2, v4, v5
	v_div_fmas_f32 v2, v2, v3, v4
	s_delay_alu instid0(VALU_DEP_1) | instskip(NEXT) | instid1(VALU_DEP_1)
	v_div_fixup_f32 v2, v2, v1, v0
	v_fmac_f32_e32 v1, v0, v2
	s_delay_alu instid0(VALU_DEP_1) | instskip(SKIP_1) | instid1(VALU_DEP_2)
	v_div_scale_f32 v0, null, v1, v1, 1.0
	v_div_scale_f32 v5, vcc_lo, 1.0, v1, 1.0
	v_rcp_f32_e32 v3, v0
	v_nop
	s_delay_alu instid0(TRANS32_DEP_1) | instskip(NEXT) | instid1(VALU_DEP_1)
	v_fma_f32 v4, -v0, v3, 1.0
	v_fmac_f32_e32 v3, v4, v3
	s_delay_alu instid0(VALU_DEP_1) | instskip(NEXT) | instid1(VALU_DEP_1)
	v_mul_f32_e32 v4, v5, v3
	v_fma_f32 v6, -v0, v4, v5
	s_delay_alu instid0(VALU_DEP_1) | instskip(NEXT) | instid1(VALU_DEP_1)
	v_fmac_f32_e32 v4, v6, v3
	v_fma_f32 v0, -v0, v4, v5
	s_delay_alu instid0(VALU_DEP_1) | instskip(NEXT) | instid1(VALU_DEP_1)
	v_div_fmas_f32 v0, v0, v3, v4
	v_div_fixup_f32 v0, v0, v1, 1.0
	s_delay_alu instid0(VALU_DEP_1)
	v_mul_f32_e32 v2, v2, v0
	v_xor_b32_e32 v3, 0x80000000, v0
                                        ; implicit-def: $vgpr0_vgpr1
.LBB101_212:
	s_and_not1_saveexec_b32 s1, s1
	s_cbranch_execz .LBB101_214
; %bb.213:
	v_div_scale_f32 v2, null, v0, v0, v1
	v_div_scale_f32 v5, vcc_lo, v1, v0, v1
	s_delay_alu instid0(VALU_DEP_2) | instskip(SKIP_1) | instid1(TRANS32_DEP_1)
	v_rcp_f32_e32 v3, v2
	v_nop
	v_fma_f32 v4, -v2, v3, 1.0
	s_delay_alu instid0(VALU_DEP_1) | instskip(NEXT) | instid1(VALU_DEP_1)
	v_fmac_f32_e32 v3, v4, v3
	v_mul_f32_e32 v4, v5, v3
	s_delay_alu instid0(VALU_DEP_1) | instskip(NEXT) | instid1(VALU_DEP_1)
	v_fma_f32 v6, -v2, v4, v5
	v_fmac_f32_e32 v4, v6, v3
	s_delay_alu instid0(VALU_DEP_1) | instskip(NEXT) | instid1(VALU_DEP_1)
	v_fma_f32 v2, -v2, v4, v5
	v_div_fmas_f32 v2, v2, v3, v4
	s_delay_alu instid0(VALU_DEP_1) | instskip(NEXT) | instid1(VALU_DEP_1)
	v_div_fixup_f32 v3, v2, v0, v1
	v_fmac_f32_e32 v0, v1, v3
	s_delay_alu instid0(VALU_DEP_1) | instskip(NEXT) | instid1(VALU_DEP_1)
	v_div_scale_f32 v1, null, v0, v0, 1.0
	v_rcp_f32_e32 v2, v1
	v_nop
	s_delay_alu instid0(TRANS32_DEP_1) | instskip(NEXT) | instid1(VALU_DEP_1)
	v_fma_f32 v4, -v1, v2, 1.0
	v_fmac_f32_e32 v2, v4, v2
	v_div_scale_f32 v4, vcc_lo, 1.0, v0, 1.0
	s_delay_alu instid0(VALU_DEP_1) | instskip(NEXT) | instid1(VALU_DEP_1)
	v_mul_f32_e32 v5, v4, v2
	v_fma_f32 v6, -v1, v5, v4
	s_delay_alu instid0(VALU_DEP_1) | instskip(NEXT) | instid1(VALU_DEP_1)
	v_fmac_f32_e32 v5, v6, v2
	v_fma_f32 v1, -v1, v5, v4
	s_delay_alu instid0(VALU_DEP_1) | instskip(NEXT) | instid1(VALU_DEP_1)
	v_div_fmas_f32 v1, v1, v2, v5
	v_div_fixup_f32 v2, v1, v0, 1.0
	s_delay_alu instid0(VALU_DEP_1)
	v_mul_f32_e64 v3, v3, -v2
.LBB101_214:
	s_or_b32 exec_lo, exec_lo, s1
	ds_store_b64 v103, v[2:3]
.LBB101_215:
	s_or_b32 exec_lo, exec_lo, s2
	s_wait_dscnt 0x0
	s_barrier_signal -1
	s_barrier_wait -1
	ds_load_b64 v[0:1], v103
	s_mov_b32 s1, exec_lo
	s_wait_dscnt 0x0
	scratch_store_b64 off, v[0:1], off offset:232 ; 8-byte Folded Spill
	s_wait_xcnt 0x0
	v_cmpx_lt_u32_e32 23, v102
	s_cbranch_execz .LBB101_217
; %bb.216:
	scratch_load_b64 v[4:5], off, off offset:232 ; 8-byte Folded Reload
	s_wait_loadcnt 0x0
	v_pk_mul_f32 v[2:3], v[4:5], v[88:89] op_sel:[1,1] op_sel_hi:[0,1]
	s_delay_alu instid0(VALU_DEP_1)
	v_pk_fma_f32 v[0:1], v[4:5], v[88:89], v[2:3] op_sel_hi:[1,0,1] neg_lo:[0,0,1] neg_hi:[0,0,1]
	v_pk_fma_f32 v[2:3], v[4:5], v[88:89], v[2:3] op_sel_hi:[1,0,1]
	ds_load_2addr_b64 v[4:7], v104 offset0:24 offset1:25
	v_dual_mov_b32 v88, v0 :: v_dual_mov_b32 v89, v3
	s_wait_dscnt 0x0
	v_pk_mul_f32 v[8:9], v[4:5], v[2:3] op_sel:[0,1]
	s_delay_alu instid0(VALU_DEP_1) | instskip(SKIP_1) | instid1(VALU_DEP_1)
	v_pk_fma_f32 v[10:11], v[4:5], v[0:1], v[8:9] op_sel:[0,0,1] op_sel_hi:[1,1,0] neg_lo:[0,0,1] neg_hi:[0,0,1]
	v_pk_fma_f32 v[4:5], v[4:5], v[0:1], v[8:9] op_sel:[0,0,1] op_sel_hi:[1,0,0]
	v_mov_b32_e32 v11, v5
	v_pk_mul_f32 v[4:5], v[6:7], v[2:3] op_sel:[0,1]
	s_delay_alu instid0(VALU_DEP_1) | instskip(SKIP_1) | instid1(VALU_DEP_1)
	v_pk_fma_f32 v[8:9], v[6:7], v[0:1], v[4:5] op_sel:[0,0,1] op_sel_hi:[1,1,0] neg_lo:[0,0,1] neg_hi:[0,0,1]
	v_pk_fma_f32 v[4:5], v[6:7], v[0:1], v[4:5] op_sel:[0,0,1] op_sel_hi:[1,0,0]
	v_mov_b32_e32 v9, v5
	ds_load_2addr_b64 v[4:7], v104 offset0:26 offset1:27
	v_pk_add_f32 v[112:113], v[112:113], v[10:11] neg_lo:[0,1] neg_hi:[0,1]
	v_pk_add_f32 v[108:109], v[108:109], v[8:9] neg_lo:[0,1] neg_hi:[0,1]
	s_wait_dscnt 0x0
	v_pk_mul_f32 v[8:9], v[4:5], v[2:3] op_sel:[0,1]
	s_delay_alu instid0(VALU_DEP_1) | instskip(SKIP_2) | instid1(VALU_DEP_2)
	v_pk_fma_f32 v[10:11], v[4:5], v[0:1], v[8:9] op_sel:[0,0,1] op_sel_hi:[1,1,0] neg_lo:[0,0,1] neg_hi:[0,0,1]
	v_pk_fma_f32 v[4:5], v[4:5], v[0:1], v[8:9] op_sel:[0,0,1] op_sel_hi:[1,0,0]
	v_dual_mul_f32 v8, v7, v3 :: v_dual_mov_b32 v4, v7
	v_dual_mov_b32 v11, v5 :: v_dual_mov_b32 v5, v6
	s_delay_alu instid0(VALU_DEP_2) | instskip(SKIP_1) | instid1(VALU_DEP_3)
	v_pk_fma_f32 v[8:9], v[6:7], v[88:89], v[8:9] op_sel_hi:[1,1,0] neg_lo:[0,0,1] neg_hi:[0,0,1]
	v_mul_f32_e32 v6, v7, v0
	v_pk_add_f32 v[110:111], v[110:111], v[10:11] neg_lo:[0,1] neg_hi:[0,1]
	s_delay_alu instid0(VALU_DEP_2) | instskip(NEXT) | instid1(VALU_DEP_1)
	v_pk_fma_f32 v[4:5], v[4:5], v[88:89], v[6:7] op_sel_hi:[1,1,0]
	v_mov_b32_e32 v9, v5
	ds_load_2addr_b64 v[4:7], v104 offset0:28 offset1:29
	v_pk_add_f32 v[106:107], v[106:107], v[8:9] neg_lo:[0,1] neg_hi:[0,1]
	s_wait_dscnt 0x0
	v_pk_mul_f32 v[8:9], v[4:5], v[2:3] op_sel:[0,1]
	s_delay_alu instid0(VALU_DEP_1) | instskip(SKIP_1) | instid1(VALU_DEP_1)
	v_pk_fma_f32 v[10:11], v[4:5], v[0:1], v[8:9] op_sel:[0,0,1] op_sel_hi:[1,1,0] neg_lo:[0,0,1] neg_hi:[0,0,1]
	v_pk_fma_f32 v[4:5], v[4:5], v[0:1], v[8:9] op_sel:[0,0,1] op_sel_hi:[1,0,0]
	v_mov_b32_e32 v11, v5
	v_pk_mul_f32 v[4:5], v[6:7], v[2:3] op_sel:[0,1]
	s_delay_alu instid0(VALU_DEP_1) | instskip(SKIP_1) | instid1(VALU_DEP_1)
	v_pk_fma_f32 v[8:9], v[6:7], v[0:1], v[4:5] op_sel:[0,0,1] op_sel_hi:[1,1,0] neg_lo:[0,0,1] neg_hi:[0,0,1]
	v_pk_fma_f32 v[4:5], v[6:7], v[0:1], v[4:5] op_sel:[0,0,1] op_sel_hi:[1,0,0]
	v_mov_b32_e32 v9, v5
	ds_load_2addr_b64 v[4:7], v104 offset0:30 offset1:31
	v_pk_add_f32 v[128:129], v[128:129], v[10:11] neg_lo:[0,1] neg_hi:[0,1]
	v_pk_add_f32 v[124:125], v[124:125], v[8:9] neg_lo:[0,1] neg_hi:[0,1]
	s_wait_dscnt 0x0
	v_pk_mul_f32 v[8:9], v[4:5], v[2:3] op_sel:[0,1]
	s_delay_alu instid0(VALU_DEP_1) | instskip(SKIP_1) | instid1(VALU_DEP_1)
	v_pk_fma_f32 v[10:11], v[4:5], v[0:1], v[8:9] op_sel:[0,0,1] op_sel_hi:[1,1,0] neg_lo:[0,0,1] neg_hi:[0,0,1]
	v_pk_fma_f32 v[4:5], v[4:5], v[0:1], v[8:9] op_sel:[0,0,1] op_sel_hi:[1,0,0]
	v_mov_b32_e32 v11, v5
	v_pk_mul_f32 v[4:5], v[6:7], v[2:3] op_sel:[0,1]
	s_delay_alu instid0(VALU_DEP_1) | instskip(SKIP_1) | instid1(VALU_DEP_1)
	v_pk_fma_f32 v[8:9], v[6:7], v[0:1], v[4:5] op_sel:[0,0,1] op_sel_hi:[1,1,0] neg_lo:[0,0,1] neg_hi:[0,0,1]
	v_pk_fma_f32 v[4:5], v[6:7], v[0:1], v[4:5] op_sel:[0,0,1] op_sel_hi:[1,0,0]
	v_mov_b32_e32 v9, v5
	ds_load_2addr_b64 v[4:7], v104 offset0:32 offset1:33
	v_pk_add_f32 v[126:127], v[126:127], v[10:11] neg_lo:[0,1] neg_hi:[0,1]
	v_pk_add_f32 v[122:123], v[122:123], v[8:9] neg_lo:[0,1] neg_hi:[0,1]
	s_wait_dscnt 0x0
	v_dual_mul_f32 v8, v5, v3 :: v_dual_mul_f32 v10, v5, v0
	s_delay_alu instid0(VALU_DEP_1) | instskip(NEXT) | instid1(VALU_DEP_2)
	v_pk_fma_f32 v[8:9], v[4:5], v[88:89], v[8:9] op_sel_hi:[1,1,0] neg_lo:[0,0,1] neg_hi:[0,0,1]
	v_pk_fma_f32 v[4:5], v[4:5], v[88:89], v[10:11] op_sel:[1,0,0] op_sel_hi:[0,1,0]
	s_delay_alu instid0(VALU_DEP_1) | instskip(SKIP_1) | instid1(VALU_DEP_2)
	v_mov_b32_e32 v9, v5
	v_pk_mul_f32 v[4:5], v[6:7], v[2:3] op_sel:[0,1]
	v_pk_add_f32 v[146:147], v[146:147], v[8:9] neg_lo:[0,1] neg_hi:[0,1]
	s_delay_alu instid0(VALU_DEP_2) | instskip(SKIP_1) | instid1(VALU_DEP_1)
	v_pk_fma_f32 v[8:9], v[6:7], v[0:1], v[4:5] op_sel:[0,0,1] op_sel_hi:[1,1,0] neg_lo:[0,0,1] neg_hi:[0,0,1]
	v_pk_fma_f32 v[4:5], v[6:7], v[0:1], v[4:5] op_sel:[0,0,1] op_sel_hi:[1,0,0]
	v_mov_b32_e32 v9, v5
	ds_load_2addr_b64 v[4:7], v104 offset0:34 offset1:35
	v_pk_add_f32 v[142:143], v[142:143], v[8:9] neg_lo:[0,1] neg_hi:[0,1]
	s_wait_dscnt 0x0
	v_pk_mul_f32 v[8:9], v[4:5], v[2:3] op_sel:[0,1]
	s_delay_alu instid0(VALU_DEP_1) | instskip(SKIP_1) | instid1(VALU_DEP_1)
	v_pk_fma_f32 v[10:11], v[4:5], v[0:1], v[8:9] op_sel:[0,0,1] op_sel_hi:[1,1,0] neg_lo:[0,0,1] neg_hi:[0,0,1]
	v_pk_fma_f32 v[4:5], v[4:5], v[0:1], v[8:9] op_sel:[0,0,1] op_sel_hi:[1,0,0]
	v_mov_b32_e32 v11, v5
	v_pk_mul_f32 v[4:5], v[6:7], v[2:3] op_sel:[0,1]
	s_delay_alu instid0(VALU_DEP_2) | instskip(NEXT) | instid1(VALU_DEP_2)
	v_pk_add_f32 v[144:145], v[144:145], v[10:11] neg_lo:[0,1] neg_hi:[0,1]
	v_pk_fma_f32 v[8:9], v[6:7], v[0:1], v[4:5] op_sel:[0,0,1] op_sel_hi:[1,1,0] neg_lo:[0,0,1] neg_hi:[0,0,1]
	v_pk_fma_f32 v[4:5], v[6:7], v[0:1], v[4:5] op_sel:[0,0,1] op_sel_hi:[1,0,0]
	s_delay_alu instid0(VALU_DEP_1) | instskip(SKIP_4) | instid1(VALU_DEP_1)
	v_mov_b32_e32 v9, v5
	ds_load_2addr_b64 v[4:7], v104 offset0:36 offset1:37
	v_pk_add_f32 v[140:141], v[140:141], v[8:9] neg_lo:[0,1] neg_hi:[0,1]
	s_wait_dscnt 0x0
	v_pk_mul_f32 v[8:9], v[4:5], v[2:3] op_sel:[0,1]
	v_pk_fma_f32 v[10:11], v[4:5], v[0:1], v[8:9] op_sel:[0,0,1] op_sel_hi:[1,1,0] neg_lo:[0,0,1] neg_hi:[0,0,1]
	v_pk_fma_f32 v[4:5], v[4:5], v[0:1], v[8:9] op_sel:[0,0,1] op_sel_hi:[1,0,0]
	v_dual_mul_f32 v8, v7, v3 :: v_dual_mov_b32 v4, v7
	s_delay_alu instid0(VALU_DEP_2) | instskip(NEXT) | instid1(VALU_DEP_2)
	v_dual_mov_b32 v11, v5 :: v_dual_mov_b32 v5, v6
	v_pk_fma_f32 v[8:9], v[6:7], v[88:89], v[8:9] op_sel_hi:[1,1,0] neg_lo:[0,0,1] neg_hi:[0,0,1]
	v_mul_f32_e32 v6, v7, v0
	s_delay_alu instid0(VALU_DEP_3) | instskip(NEXT) | instid1(VALU_DEP_2)
	v_pk_add_f32 v[162:163], v[162:163], v[10:11] neg_lo:[0,1] neg_hi:[0,1]
	v_pk_fma_f32 v[4:5], v[4:5], v[88:89], v[6:7] op_sel_hi:[1,1,0]
	s_delay_alu instid0(VALU_DEP_1) | instskip(SKIP_4) | instid1(VALU_DEP_1)
	v_mov_b32_e32 v9, v5
	ds_load_2addr_b64 v[4:7], v104 offset0:38 offset1:39
	v_pk_add_f32 v[158:159], v[158:159], v[8:9] neg_lo:[0,1] neg_hi:[0,1]
	s_wait_dscnt 0x0
	v_pk_mul_f32 v[8:9], v[4:5], v[2:3] op_sel:[0,1]
	v_pk_fma_f32 v[10:11], v[4:5], v[0:1], v[8:9] op_sel:[0,0,1] op_sel_hi:[1,1,0] neg_lo:[0,0,1] neg_hi:[0,0,1]
	v_pk_fma_f32 v[4:5], v[4:5], v[0:1], v[8:9] op_sel:[0,0,1] op_sel_hi:[1,0,0]
	s_delay_alu instid0(VALU_DEP_1) | instskip(SKIP_1) | instid1(VALU_DEP_1)
	v_mov_b32_e32 v11, v5
	v_pk_mul_f32 v[4:5], v[6:7], v[2:3] op_sel:[0,1]
	v_pk_fma_f32 v[8:9], v[6:7], v[0:1], v[4:5] op_sel:[0,0,1] op_sel_hi:[1,1,0] neg_lo:[0,0,1] neg_hi:[0,0,1]
	v_pk_fma_f32 v[4:5], v[6:7], v[0:1], v[4:5] op_sel:[0,0,1] op_sel_hi:[1,0,0]
	s_delay_alu instid0(VALU_DEP_1)
	v_mov_b32_e32 v9, v5
	ds_load_2addr_b64 v[4:7], v104 offset0:40 offset1:41
	v_pk_add_f32 v[160:161], v[160:161], v[10:11] neg_lo:[0,1] neg_hi:[0,1]
	v_pk_add_f32 v[156:157], v[156:157], v[8:9] neg_lo:[0,1] neg_hi:[0,1]
	s_wait_dscnt 0x0
	v_pk_mul_f32 v[8:9], v[4:5], v[2:3] op_sel:[0,1]
	s_delay_alu instid0(VALU_DEP_1) | instskip(SKIP_1) | instid1(VALU_DEP_1)
	v_pk_fma_f32 v[10:11], v[4:5], v[0:1], v[8:9] op_sel:[0,0,1] op_sel_hi:[1,1,0] neg_lo:[0,0,1] neg_hi:[0,0,1]
	v_pk_fma_f32 v[4:5], v[4:5], v[0:1], v[8:9] op_sel:[0,0,1] op_sel_hi:[1,0,0]
	v_mov_b32_e32 v11, v5
	v_pk_mul_f32 v[4:5], v[6:7], v[2:3] op_sel:[0,1]
	s_delay_alu instid0(VALU_DEP_1) | instskip(SKIP_1) | instid1(VALU_DEP_1)
	v_pk_fma_f32 v[8:9], v[6:7], v[0:1], v[4:5] op_sel:[0,0,1] op_sel_hi:[1,1,0] neg_lo:[0,0,1] neg_hi:[0,0,1]
	v_pk_fma_f32 v[4:5], v[6:7], v[0:1], v[4:5] op_sel:[0,0,1] op_sel_hi:[1,0,0]
	v_mov_b32_e32 v9, v5
	ds_load_2addr_b64 v[4:7], v104 offset0:42 offset1:43
	v_pk_add_f32 v[180:181], v[180:181], v[10:11] neg_lo:[0,1] neg_hi:[0,1]
	v_pk_add_f32 v[176:177], v[176:177], v[8:9] neg_lo:[0,1] neg_hi:[0,1]
	s_wait_dscnt 0x0
	v_dual_mul_f32 v8, v5, v3 :: v_dual_mul_f32 v10, v5, v0
	s_delay_alu instid0(VALU_DEP_1) | instskip(NEXT) | instid1(VALU_DEP_2)
	v_pk_fma_f32 v[8:9], v[4:5], v[88:89], v[8:9] op_sel_hi:[1,1,0] neg_lo:[0,0,1] neg_hi:[0,0,1]
	v_pk_fma_f32 v[4:5], v[4:5], v[88:89], v[10:11] op_sel:[1,0,0] op_sel_hi:[0,1,0]
	s_delay_alu instid0(VALU_DEP_1) | instskip(SKIP_1) | instid1(VALU_DEP_2)
	v_mov_b32_e32 v9, v5
	v_pk_mul_f32 v[4:5], v[6:7], v[2:3] op_sel:[0,1]
	v_pk_add_f32 v[178:179], v[178:179], v[8:9] neg_lo:[0,1] neg_hi:[0,1]
	s_delay_alu instid0(VALU_DEP_2) | instskip(SKIP_1) | instid1(VALU_DEP_1)
	v_pk_fma_f32 v[8:9], v[6:7], v[0:1], v[4:5] op_sel:[0,0,1] op_sel_hi:[1,1,0] neg_lo:[0,0,1] neg_hi:[0,0,1]
	v_pk_fma_f32 v[4:5], v[6:7], v[0:1], v[4:5] op_sel:[0,0,1] op_sel_hi:[1,0,0]
	v_mov_b32_e32 v9, v5
	ds_load_2addr_b64 v[4:7], v104 offset0:44 offset1:45
	v_pk_add_f32 v[174:175], v[174:175], v[8:9] neg_lo:[0,1] neg_hi:[0,1]
	s_wait_dscnt 0x0
	v_pk_mul_f32 v[8:9], v[4:5], v[2:3] op_sel:[0,1]
	s_delay_alu instid0(VALU_DEP_1) | instskip(SKIP_1) | instid1(VALU_DEP_1)
	v_pk_fma_f32 v[10:11], v[4:5], v[0:1], v[8:9] op_sel:[0,0,1] op_sel_hi:[1,1,0] neg_lo:[0,0,1] neg_hi:[0,0,1]
	v_pk_fma_f32 v[4:5], v[4:5], v[0:1], v[8:9] op_sel:[0,0,1] op_sel_hi:[1,0,0]
	v_mov_b32_e32 v11, v5
	v_pk_mul_f32 v[4:5], v[6:7], v[2:3] op_sel:[0,1]
	s_delay_alu instid0(VALU_DEP_2) | instskip(NEXT) | instid1(VALU_DEP_2)
	v_pk_add_f32 v[200:201], v[200:201], v[10:11] neg_lo:[0,1] neg_hi:[0,1]
	v_pk_fma_f32 v[8:9], v[6:7], v[0:1], v[4:5] op_sel:[0,0,1] op_sel_hi:[1,1,0] neg_lo:[0,0,1] neg_hi:[0,0,1]
	v_pk_fma_f32 v[4:5], v[6:7], v[0:1], v[4:5] op_sel:[0,0,1] op_sel_hi:[1,0,0]
	s_delay_alu instid0(VALU_DEP_1) | instskip(SKIP_4) | instid1(VALU_DEP_1)
	v_mov_b32_e32 v9, v5
	ds_load_2addr_b64 v[4:7], v104 offset0:46 offset1:47
	v_pk_add_f32 v[194:195], v[194:195], v[8:9] neg_lo:[0,1] neg_hi:[0,1]
	s_wait_dscnt 0x0
	v_pk_mul_f32 v[8:9], v[4:5], v[2:3] op_sel:[0,1]
	v_pk_fma_f32 v[10:11], v[4:5], v[0:1], v[8:9] op_sel:[0,0,1] op_sel_hi:[1,1,0] neg_lo:[0,0,1] neg_hi:[0,0,1]
	v_pk_fma_f32 v[4:5], v[4:5], v[0:1], v[8:9] op_sel:[0,0,1] op_sel_hi:[1,0,0]
	v_dual_mul_f32 v8, v7, v3 :: v_dual_mov_b32 v4, v7
	s_delay_alu instid0(VALU_DEP_2) | instskip(NEXT) | instid1(VALU_DEP_2)
	v_dual_mov_b32 v11, v5 :: v_dual_mov_b32 v5, v6
	v_pk_fma_f32 v[8:9], v[6:7], v[88:89], v[8:9] op_sel_hi:[1,1,0] neg_lo:[0,0,1] neg_hi:[0,0,1]
	v_mul_f32_e32 v6, v7, v0
	s_delay_alu instid0(VALU_DEP_3) | instskip(NEXT) | instid1(VALU_DEP_2)
	v_pk_add_f32 v[198:199], v[198:199], v[10:11] neg_lo:[0,1] neg_hi:[0,1]
	v_pk_fma_f32 v[4:5], v[4:5], v[88:89], v[6:7] op_sel_hi:[1,1,0]
	s_delay_alu instid0(VALU_DEP_1) | instskip(SKIP_4) | instid1(VALU_DEP_1)
	v_mov_b32_e32 v9, v5
	ds_load_2addr_b64 v[4:7], v104 offset0:48 offset1:49
	v_pk_add_f32 v[192:193], v[192:193], v[8:9] neg_lo:[0,1] neg_hi:[0,1]
	s_wait_dscnt 0x0
	v_pk_mul_f32 v[8:9], v[4:5], v[2:3] op_sel:[0,1]
	v_pk_fma_f32 v[10:11], v[4:5], v[0:1], v[8:9] op_sel:[0,0,1] op_sel_hi:[1,1,0] neg_lo:[0,0,1] neg_hi:[0,0,1]
	v_pk_fma_f32 v[4:5], v[4:5], v[0:1], v[8:9] op_sel:[0,0,1] op_sel_hi:[1,0,0]
	s_delay_alu instid0(VALU_DEP_1) | instskip(SKIP_1) | instid1(VALU_DEP_1)
	v_mov_b32_e32 v11, v5
	v_pk_mul_f32 v[4:5], v[6:7], v[2:3] op_sel:[0,1]
	v_pk_fma_f32 v[8:9], v[6:7], v[0:1], v[4:5] op_sel:[0,0,1] op_sel_hi:[1,1,0] neg_lo:[0,0,1] neg_hi:[0,0,1]
	v_pk_fma_f32 v[4:5], v[6:7], v[0:1], v[4:5] op_sel:[0,0,1] op_sel_hi:[1,0,0]
	s_delay_alu instid0(VALU_DEP_1)
	v_mov_b32_e32 v9, v5
	ds_load_b64 v[4:5], v104 offset:400
	v_pk_add_f32 v[196:197], v[196:197], v[10:11] neg_lo:[0,1] neg_hi:[0,1]
	v_pk_add_f32 v[202:203], v[202:203], v[8:9] neg_lo:[0,1] neg_hi:[0,1]
	s_wait_dscnt 0x0
	v_pk_mul_f32 v[2:3], v[4:5], v[2:3] op_sel:[0,1]
	s_delay_alu instid0(VALU_DEP_1) | instskip(SKIP_1) | instid1(VALU_DEP_1)
	v_pk_fma_f32 v[6:7], v[4:5], v[0:1], v[2:3] op_sel:[0,0,1] op_sel_hi:[1,1,0] neg_lo:[0,0,1] neg_hi:[0,0,1]
	v_pk_fma_f32 v[0:1], v[4:5], v[0:1], v[2:3] op_sel:[0,0,1] op_sel_hi:[1,0,0]
	v_mov_b32_e32 v7, v1
	s_delay_alu instid0(VALU_DEP_1)
	v_pk_add_f32 v[204:205], v[204:205], v[6:7] neg_lo:[0,1] neg_hi:[0,1]
.LBB101_217:
	s_wait_xcnt 0x0
	s_or_b32 exec_lo, exec_lo, s1
	s_delay_alu instid0(SALU_CYCLE_1)
	s_mov_b32 s2, exec_lo
	s_wait_storecnt 0x0
	s_barrier_signal -1
	s_barrier_wait -1
	v_cmpx_eq_u32_e32 24, v102
	s_cbranch_execz .LBB101_224
; %bb.218:
	ds_store_b64 v103, v[112:113]
	ds_store_2addr_b64 v104, v[108:109], v[110:111] offset0:25 offset1:26
	ds_store_2addr_b64 v104, v[106:107], v[128:129] offset0:27 offset1:28
	;; [unrolled: 1-line block ×13, first 2 shown]
	ds_load_b64 v[0:1], v103
	s_wait_dscnt 0x0
	v_cmp_neq_f32_e32 vcc_lo, 0, v0
	v_cmp_neq_f32_e64 s1, 0, v1
	s_or_b32 s1, vcc_lo, s1
	s_delay_alu instid0(SALU_CYCLE_1)
	s_and_b32 exec_lo, exec_lo, s1
	s_cbranch_execz .LBB101_224
; %bb.219:
	v_cmp_ngt_f32_e64 s1, |v0|, |v1|
                                        ; implicit-def: $vgpr2_vgpr3
	s_and_saveexec_b32 s4, s1
	s_delay_alu instid0(SALU_CYCLE_1)
	s_xor_b32 s1, exec_lo, s4
	s_cbranch_execz .LBB101_221
; %bb.220:
	v_div_scale_f32 v2, null, v1, v1, v0
	v_div_scale_f32 v5, vcc_lo, v0, v1, v0
	s_delay_alu instid0(VALU_DEP_2) | instskip(SKIP_1) | instid1(TRANS32_DEP_1)
	v_rcp_f32_e32 v3, v2
	v_nop
	v_fma_f32 v4, -v2, v3, 1.0
	s_delay_alu instid0(VALU_DEP_1) | instskip(NEXT) | instid1(VALU_DEP_1)
	v_fmac_f32_e32 v3, v4, v3
	v_mul_f32_e32 v4, v5, v3
	s_delay_alu instid0(VALU_DEP_1) | instskip(NEXT) | instid1(VALU_DEP_1)
	v_fma_f32 v6, -v2, v4, v5
	v_fmac_f32_e32 v4, v6, v3
	s_delay_alu instid0(VALU_DEP_1) | instskip(NEXT) | instid1(VALU_DEP_1)
	v_fma_f32 v2, -v2, v4, v5
	v_div_fmas_f32 v2, v2, v3, v4
	s_delay_alu instid0(VALU_DEP_1) | instskip(NEXT) | instid1(VALU_DEP_1)
	v_div_fixup_f32 v2, v2, v1, v0
	v_fmac_f32_e32 v1, v0, v2
	s_delay_alu instid0(VALU_DEP_1) | instskip(SKIP_1) | instid1(VALU_DEP_2)
	v_div_scale_f32 v0, null, v1, v1, 1.0
	v_div_scale_f32 v5, vcc_lo, 1.0, v1, 1.0
	v_rcp_f32_e32 v3, v0
	v_nop
	s_delay_alu instid0(TRANS32_DEP_1) | instskip(NEXT) | instid1(VALU_DEP_1)
	v_fma_f32 v4, -v0, v3, 1.0
	v_fmac_f32_e32 v3, v4, v3
	s_delay_alu instid0(VALU_DEP_1) | instskip(NEXT) | instid1(VALU_DEP_1)
	v_mul_f32_e32 v4, v5, v3
	v_fma_f32 v6, -v0, v4, v5
	s_delay_alu instid0(VALU_DEP_1) | instskip(NEXT) | instid1(VALU_DEP_1)
	v_fmac_f32_e32 v4, v6, v3
	v_fma_f32 v0, -v0, v4, v5
	s_delay_alu instid0(VALU_DEP_1) | instskip(NEXT) | instid1(VALU_DEP_1)
	v_div_fmas_f32 v0, v0, v3, v4
	v_div_fixup_f32 v0, v0, v1, 1.0
	s_delay_alu instid0(VALU_DEP_1)
	v_mul_f32_e32 v2, v2, v0
	v_xor_b32_e32 v3, 0x80000000, v0
                                        ; implicit-def: $vgpr0_vgpr1
.LBB101_221:
	s_and_not1_saveexec_b32 s1, s1
	s_cbranch_execz .LBB101_223
; %bb.222:
	v_div_scale_f32 v2, null, v0, v0, v1
	v_div_scale_f32 v5, vcc_lo, v1, v0, v1
	s_delay_alu instid0(VALU_DEP_2) | instskip(SKIP_1) | instid1(TRANS32_DEP_1)
	v_rcp_f32_e32 v3, v2
	v_nop
	v_fma_f32 v4, -v2, v3, 1.0
	s_delay_alu instid0(VALU_DEP_1) | instskip(NEXT) | instid1(VALU_DEP_1)
	v_fmac_f32_e32 v3, v4, v3
	v_mul_f32_e32 v4, v5, v3
	s_delay_alu instid0(VALU_DEP_1) | instskip(NEXT) | instid1(VALU_DEP_1)
	v_fma_f32 v6, -v2, v4, v5
	v_fmac_f32_e32 v4, v6, v3
	s_delay_alu instid0(VALU_DEP_1) | instskip(NEXT) | instid1(VALU_DEP_1)
	v_fma_f32 v2, -v2, v4, v5
	v_div_fmas_f32 v2, v2, v3, v4
	s_delay_alu instid0(VALU_DEP_1) | instskip(NEXT) | instid1(VALU_DEP_1)
	v_div_fixup_f32 v3, v2, v0, v1
	v_fmac_f32_e32 v0, v1, v3
	s_delay_alu instid0(VALU_DEP_1) | instskip(NEXT) | instid1(VALU_DEP_1)
	v_div_scale_f32 v1, null, v0, v0, 1.0
	v_rcp_f32_e32 v2, v1
	v_nop
	s_delay_alu instid0(TRANS32_DEP_1) | instskip(NEXT) | instid1(VALU_DEP_1)
	v_fma_f32 v4, -v1, v2, 1.0
	v_fmac_f32_e32 v2, v4, v2
	v_div_scale_f32 v4, vcc_lo, 1.0, v0, 1.0
	s_delay_alu instid0(VALU_DEP_1) | instskip(NEXT) | instid1(VALU_DEP_1)
	v_mul_f32_e32 v5, v4, v2
	v_fma_f32 v6, -v1, v5, v4
	s_delay_alu instid0(VALU_DEP_1) | instskip(NEXT) | instid1(VALU_DEP_1)
	v_fmac_f32_e32 v5, v6, v2
	v_fma_f32 v1, -v1, v5, v4
	s_delay_alu instid0(VALU_DEP_1) | instskip(NEXT) | instid1(VALU_DEP_1)
	v_div_fmas_f32 v1, v1, v2, v5
	v_div_fixup_f32 v2, v1, v0, 1.0
	s_delay_alu instid0(VALU_DEP_1)
	v_mul_f32_e64 v3, v3, -v2
.LBB101_223:
	s_or_b32 exec_lo, exec_lo, s1
	ds_store_b64 v103, v[2:3]
.LBB101_224:
	s_or_b32 exec_lo, exec_lo, s2
	s_wait_dscnt 0x0
	s_barrier_signal -1
	s_barrier_wait -1
	ds_load_b64 v[0:1], v103
	s_mov_b32 s1, exec_lo
	s_wait_dscnt 0x0
	scratch_store_b64 off, v[0:1], off offset:240 ; 8-byte Folded Spill
	s_wait_xcnt 0x0
	v_cmpx_lt_u32_e32 24, v102
	s_cbranch_execz .LBB101_226
; %bb.225:
	scratch_load_b64 v[4:5], off, off offset:240 ; 8-byte Folded Reload
	s_wait_loadcnt 0x0
	v_pk_mul_f32 v[2:3], v[4:5], v[112:113] op_sel:[1,1] op_sel_hi:[0,1]
	s_delay_alu instid0(VALU_DEP_1)
	v_pk_fma_f32 v[0:1], v[4:5], v[112:113], v[2:3] op_sel_hi:[1,0,1] neg_lo:[0,0,1] neg_hi:[0,0,1]
	v_pk_fma_f32 v[2:3], v[4:5], v[112:113], v[2:3] op_sel_hi:[1,0,1]
	ds_load_2addr_b64 v[4:7], v104 offset0:25 offset1:26
	v_dual_mov_b32 v112, v0 :: v_dual_mov_b32 v113, v3
	s_wait_dscnt 0x0
	v_pk_mul_f32 v[8:9], v[4:5], v[2:3] op_sel:[0,1]
	s_delay_alu instid0(VALU_DEP_1) | instskip(SKIP_1) | instid1(VALU_DEP_1)
	v_pk_fma_f32 v[10:11], v[4:5], v[0:1], v[8:9] op_sel:[0,0,1] op_sel_hi:[1,1,0] neg_lo:[0,0,1] neg_hi:[0,0,1]
	v_pk_fma_f32 v[4:5], v[4:5], v[0:1], v[8:9] op_sel:[0,0,1] op_sel_hi:[1,0,0]
	v_mov_b32_e32 v11, v5
	v_pk_mul_f32 v[4:5], v[6:7], v[2:3] op_sel:[0,1]
	s_delay_alu instid0(VALU_DEP_1) | instskip(SKIP_1) | instid1(VALU_DEP_1)
	v_pk_fma_f32 v[8:9], v[6:7], v[0:1], v[4:5] op_sel:[0,0,1] op_sel_hi:[1,1,0] neg_lo:[0,0,1] neg_hi:[0,0,1]
	v_pk_fma_f32 v[4:5], v[6:7], v[0:1], v[4:5] op_sel:[0,0,1] op_sel_hi:[1,0,0]
	v_mov_b32_e32 v9, v5
	ds_load_2addr_b64 v[4:7], v104 offset0:27 offset1:28
	v_pk_add_f32 v[108:109], v[108:109], v[10:11] neg_lo:[0,1] neg_hi:[0,1]
	v_pk_add_f32 v[110:111], v[110:111], v[8:9] neg_lo:[0,1] neg_hi:[0,1]
	s_wait_dscnt 0x0
	v_pk_mul_f32 v[8:9], v[4:5], v[2:3] op_sel:[0,1]
	s_delay_alu instid0(VALU_DEP_1) | instskip(SKIP_2) | instid1(VALU_DEP_2)
	v_pk_fma_f32 v[10:11], v[4:5], v[0:1], v[8:9] op_sel:[0,0,1] op_sel_hi:[1,1,0] neg_lo:[0,0,1] neg_hi:[0,0,1]
	v_pk_fma_f32 v[4:5], v[4:5], v[0:1], v[8:9] op_sel:[0,0,1] op_sel_hi:[1,0,0]
	v_dual_mul_f32 v8, v7, v3 :: v_dual_mov_b32 v4, v7
	v_dual_mov_b32 v11, v5 :: v_dual_mov_b32 v5, v6
	s_delay_alu instid0(VALU_DEP_2) | instskip(SKIP_1) | instid1(VALU_DEP_3)
	v_pk_fma_f32 v[8:9], v[6:7], v[112:113], v[8:9] op_sel_hi:[1,1,0] neg_lo:[0,0,1] neg_hi:[0,0,1]
	v_mul_f32_e32 v6, v7, v0
	v_pk_add_f32 v[106:107], v[106:107], v[10:11] neg_lo:[0,1] neg_hi:[0,1]
	s_delay_alu instid0(VALU_DEP_2) | instskip(NEXT) | instid1(VALU_DEP_1)
	v_pk_fma_f32 v[4:5], v[4:5], v[112:113], v[6:7] op_sel_hi:[1,1,0]
	v_mov_b32_e32 v9, v5
	ds_load_2addr_b64 v[4:7], v104 offset0:29 offset1:30
	v_pk_add_f32 v[128:129], v[128:129], v[8:9] neg_lo:[0,1] neg_hi:[0,1]
	s_wait_dscnt 0x0
	v_pk_mul_f32 v[8:9], v[4:5], v[2:3] op_sel:[0,1]
	s_delay_alu instid0(VALU_DEP_1) | instskip(SKIP_1) | instid1(VALU_DEP_1)
	v_pk_fma_f32 v[10:11], v[4:5], v[0:1], v[8:9] op_sel:[0,0,1] op_sel_hi:[1,1,0] neg_lo:[0,0,1] neg_hi:[0,0,1]
	v_pk_fma_f32 v[4:5], v[4:5], v[0:1], v[8:9] op_sel:[0,0,1] op_sel_hi:[1,0,0]
	v_mov_b32_e32 v11, v5
	v_pk_mul_f32 v[4:5], v[6:7], v[2:3] op_sel:[0,1]
	s_delay_alu instid0(VALU_DEP_1) | instskip(SKIP_1) | instid1(VALU_DEP_1)
	v_pk_fma_f32 v[8:9], v[6:7], v[0:1], v[4:5] op_sel:[0,0,1] op_sel_hi:[1,1,0] neg_lo:[0,0,1] neg_hi:[0,0,1]
	v_pk_fma_f32 v[4:5], v[6:7], v[0:1], v[4:5] op_sel:[0,0,1] op_sel_hi:[1,0,0]
	v_mov_b32_e32 v9, v5
	ds_load_2addr_b64 v[4:7], v104 offset0:31 offset1:32
	v_pk_add_f32 v[124:125], v[124:125], v[10:11] neg_lo:[0,1] neg_hi:[0,1]
	v_pk_add_f32 v[126:127], v[126:127], v[8:9] neg_lo:[0,1] neg_hi:[0,1]
	s_wait_dscnt 0x0
	v_pk_mul_f32 v[8:9], v[4:5], v[2:3] op_sel:[0,1]
	s_delay_alu instid0(VALU_DEP_1) | instskip(SKIP_1) | instid1(VALU_DEP_1)
	v_pk_fma_f32 v[10:11], v[4:5], v[0:1], v[8:9] op_sel:[0,0,1] op_sel_hi:[1,1,0] neg_lo:[0,0,1] neg_hi:[0,0,1]
	v_pk_fma_f32 v[4:5], v[4:5], v[0:1], v[8:9] op_sel:[0,0,1] op_sel_hi:[1,0,0]
	v_mov_b32_e32 v11, v5
	v_pk_mul_f32 v[4:5], v[6:7], v[2:3] op_sel:[0,1]
	s_delay_alu instid0(VALU_DEP_1) | instskip(SKIP_1) | instid1(VALU_DEP_1)
	v_pk_fma_f32 v[8:9], v[6:7], v[0:1], v[4:5] op_sel:[0,0,1] op_sel_hi:[1,1,0] neg_lo:[0,0,1] neg_hi:[0,0,1]
	v_pk_fma_f32 v[4:5], v[6:7], v[0:1], v[4:5] op_sel:[0,0,1] op_sel_hi:[1,0,0]
	v_mov_b32_e32 v9, v5
	ds_load_2addr_b64 v[4:7], v104 offset0:33 offset1:34
	v_pk_add_f32 v[122:123], v[122:123], v[10:11] neg_lo:[0,1] neg_hi:[0,1]
	v_pk_add_f32 v[146:147], v[146:147], v[8:9] neg_lo:[0,1] neg_hi:[0,1]
	s_wait_dscnt 0x0
	v_dual_mul_f32 v8, v5, v3 :: v_dual_mul_f32 v10, v5, v0
	s_delay_alu instid0(VALU_DEP_1) | instskip(NEXT) | instid1(VALU_DEP_2)
	v_pk_fma_f32 v[8:9], v[4:5], v[112:113], v[8:9] op_sel_hi:[1,1,0] neg_lo:[0,0,1] neg_hi:[0,0,1]
	v_pk_fma_f32 v[4:5], v[4:5], v[112:113], v[10:11] op_sel:[1,0,0] op_sel_hi:[0,1,0]
	s_delay_alu instid0(VALU_DEP_1) | instskip(SKIP_1) | instid1(VALU_DEP_2)
	v_mov_b32_e32 v9, v5
	v_pk_mul_f32 v[4:5], v[6:7], v[2:3] op_sel:[0,1]
	v_pk_add_f32 v[142:143], v[142:143], v[8:9] neg_lo:[0,1] neg_hi:[0,1]
	s_delay_alu instid0(VALU_DEP_2) | instskip(SKIP_1) | instid1(VALU_DEP_1)
	v_pk_fma_f32 v[8:9], v[6:7], v[0:1], v[4:5] op_sel:[0,0,1] op_sel_hi:[1,1,0] neg_lo:[0,0,1] neg_hi:[0,0,1]
	v_pk_fma_f32 v[4:5], v[6:7], v[0:1], v[4:5] op_sel:[0,0,1] op_sel_hi:[1,0,0]
	v_mov_b32_e32 v9, v5
	ds_load_2addr_b64 v[4:7], v104 offset0:35 offset1:36
	v_pk_add_f32 v[144:145], v[144:145], v[8:9] neg_lo:[0,1] neg_hi:[0,1]
	s_wait_dscnt 0x0
	v_pk_mul_f32 v[8:9], v[4:5], v[2:3] op_sel:[0,1]
	s_delay_alu instid0(VALU_DEP_1) | instskip(SKIP_1) | instid1(VALU_DEP_1)
	v_pk_fma_f32 v[10:11], v[4:5], v[0:1], v[8:9] op_sel:[0,0,1] op_sel_hi:[1,1,0] neg_lo:[0,0,1] neg_hi:[0,0,1]
	v_pk_fma_f32 v[4:5], v[4:5], v[0:1], v[8:9] op_sel:[0,0,1] op_sel_hi:[1,0,0]
	v_mov_b32_e32 v11, v5
	v_pk_mul_f32 v[4:5], v[6:7], v[2:3] op_sel:[0,1]
	s_delay_alu instid0(VALU_DEP_2) | instskip(NEXT) | instid1(VALU_DEP_2)
	v_pk_add_f32 v[140:141], v[140:141], v[10:11] neg_lo:[0,1] neg_hi:[0,1]
	v_pk_fma_f32 v[8:9], v[6:7], v[0:1], v[4:5] op_sel:[0,0,1] op_sel_hi:[1,1,0] neg_lo:[0,0,1] neg_hi:[0,0,1]
	v_pk_fma_f32 v[4:5], v[6:7], v[0:1], v[4:5] op_sel:[0,0,1] op_sel_hi:[1,0,0]
	s_delay_alu instid0(VALU_DEP_1) | instskip(SKIP_4) | instid1(VALU_DEP_1)
	v_mov_b32_e32 v9, v5
	ds_load_2addr_b64 v[4:7], v104 offset0:37 offset1:38
	v_pk_add_f32 v[162:163], v[162:163], v[8:9] neg_lo:[0,1] neg_hi:[0,1]
	s_wait_dscnt 0x0
	v_pk_mul_f32 v[8:9], v[4:5], v[2:3] op_sel:[0,1]
	v_pk_fma_f32 v[10:11], v[4:5], v[0:1], v[8:9] op_sel:[0,0,1] op_sel_hi:[1,1,0] neg_lo:[0,0,1] neg_hi:[0,0,1]
	v_pk_fma_f32 v[4:5], v[4:5], v[0:1], v[8:9] op_sel:[0,0,1] op_sel_hi:[1,0,0]
	v_dual_mul_f32 v8, v7, v3 :: v_dual_mov_b32 v4, v7
	s_delay_alu instid0(VALU_DEP_2) | instskip(NEXT) | instid1(VALU_DEP_2)
	v_dual_mov_b32 v11, v5 :: v_dual_mov_b32 v5, v6
	v_pk_fma_f32 v[8:9], v[6:7], v[112:113], v[8:9] op_sel_hi:[1,1,0] neg_lo:[0,0,1] neg_hi:[0,0,1]
	v_mul_f32_e32 v6, v7, v0
	s_delay_alu instid0(VALU_DEP_3) | instskip(NEXT) | instid1(VALU_DEP_2)
	v_pk_add_f32 v[158:159], v[158:159], v[10:11] neg_lo:[0,1] neg_hi:[0,1]
	v_pk_fma_f32 v[4:5], v[4:5], v[112:113], v[6:7] op_sel_hi:[1,1,0]
	s_delay_alu instid0(VALU_DEP_1) | instskip(SKIP_4) | instid1(VALU_DEP_1)
	v_mov_b32_e32 v9, v5
	ds_load_2addr_b64 v[4:7], v104 offset0:39 offset1:40
	v_pk_add_f32 v[160:161], v[160:161], v[8:9] neg_lo:[0,1] neg_hi:[0,1]
	s_wait_dscnt 0x0
	v_pk_mul_f32 v[8:9], v[4:5], v[2:3] op_sel:[0,1]
	v_pk_fma_f32 v[10:11], v[4:5], v[0:1], v[8:9] op_sel:[0,0,1] op_sel_hi:[1,1,0] neg_lo:[0,0,1] neg_hi:[0,0,1]
	v_pk_fma_f32 v[4:5], v[4:5], v[0:1], v[8:9] op_sel:[0,0,1] op_sel_hi:[1,0,0]
	s_delay_alu instid0(VALU_DEP_1) | instskip(SKIP_1) | instid1(VALU_DEP_1)
	v_mov_b32_e32 v11, v5
	v_pk_mul_f32 v[4:5], v[6:7], v[2:3] op_sel:[0,1]
	v_pk_fma_f32 v[8:9], v[6:7], v[0:1], v[4:5] op_sel:[0,0,1] op_sel_hi:[1,1,0] neg_lo:[0,0,1] neg_hi:[0,0,1]
	v_pk_fma_f32 v[4:5], v[6:7], v[0:1], v[4:5] op_sel:[0,0,1] op_sel_hi:[1,0,0]
	s_delay_alu instid0(VALU_DEP_1)
	v_mov_b32_e32 v9, v5
	ds_load_2addr_b64 v[4:7], v104 offset0:41 offset1:42
	v_pk_add_f32 v[156:157], v[156:157], v[10:11] neg_lo:[0,1] neg_hi:[0,1]
	v_pk_add_f32 v[180:181], v[180:181], v[8:9] neg_lo:[0,1] neg_hi:[0,1]
	s_wait_dscnt 0x0
	v_pk_mul_f32 v[8:9], v[4:5], v[2:3] op_sel:[0,1]
	s_delay_alu instid0(VALU_DEP_1) | instskip(SKIP_1) | instid1(VALU_DEP_1)
	v_pk_fma_f32 v[10:11], v[4:5], v[0:1], v[8:9] op_sel:[0,0,1] op_sel_hi:[1,1,0] neg_lo:[0,0,1] neg_hi:[0,0,1]
	v_pk_fma_f32 v[4:5], v[4:5], v[0:1], v[8:9] op_sel:[0,0,1] op_sel_hi:[1,0,0]
	v_mov_b32_e32 v11, v5
	v_pk_mul_f32 v[4:5], v[6:7], v[2:3] op_sel:[0,1]
	s_delay_alu instid0(VALU_DEP_1) | instskip(SKIP_1) | instid1(VALU_DEP_1)
	v_pk_fma_f32 v[8:9], v[6:7], v[0:1], v[4:5] op_sel:[0,0,1] op_sel_hi:[1,1,0] neg_lo:[0,0,1] neg_hi:[0,0,1]
	v_pk_fma_f32 v[4:5], v[6:7], v[0:1], v[4:5] op_sel:[0,0,1] op_sel_hi:[1,0,0]
	v_mov_b32_e32 v9, v5
	ds_load_2addr_b64 v[4:7], v104 offset0:43 offset1:44
	v_pk_add_f32 v[176:177], v[176:177], v[10:11] neg_lo:[0,1] neg_hi:[0,1]
	v_pk_add_f32 v[178:179], v[178:179], v[8:9] neg_lo:[0,1] neg_hi:[0,1]
	s_wait_dscnt 0x0
	v_dual_mul_f32 v8, v5, v3 :: v_dual_mul_f32 v10, v5, v0
	s_delay_alu instid0(VALU_DEP_1) | instskip(NEXT) | instid1(VALU_DEP_2)
	v_pk_fma_f32 v[8:9], v[4:5], v[112:113], v[8:9] op_sel_hi:[1,1,0] neg_lo:[0,0,1] neg_hi:[0,0,1]
	v_pk_fma_f32 v[4:5], v[4:5], v[112:113], v[10:11] op_sel:[1,0,0] op_sel_hi:[0,1,0]
	s_delay_alu instid0(VALU_DEP_1) | instskip(SKIP_1) | instid1(VALU_DEP_2)
	v_mov_b32_e32 v9, v5
	v_pk_mul_f32 v[4:5], v[6:7], v[2:3] op_sel:[0,1]
	v_pk_add_f32 v[174:175], v[174:175], v[8:9] neg_lo:[0,1] neg_hi:[0,1]
	s_delay_alu instid0(VALU_DEP_2) | instskip(SKIP_1) | instid1(VALU_DEP_1)
	v_pk_fma_f32 v[8:9], v[6:7], v[0:1], v[4:5] op_sel:[0,0,1] op_sel_hi:[1,1,0] neg_lo:[0,0,1] neg_hi:[0,0,1]
	v_pk_fma_f32 v[4:5], v[6:7], v[0:1], v[4:5] op_sel:[0,0,1] op_sel_hi:[1,0,0]
	v_mov_b32_e32 v9, v5
	ds_load_2addr_b64 v[4:7], v104 offset0:45 offset1:46
	v_pk_add_f32 v[200:201], v[200:201], v[8:9] neg_lo:[0,1] neg_hi:[0,1]
	s_wait_dscnt 0x0
	v_pk_mul_f32 v[8:9], v[4:5], v[2:3] op_sel:[0,1]
	s_delay_alu instid0(VALU_DEP_1) | instskip(SKIP_1) | instid1(VALU_DEP_1)
	v_pk_fma_f32 v[10:11], v[4:5], v[0:1], v[8:9] op_sel:[0,0,1] op_sel_hi:[1,1,0] neg_lo:[0,0,1] neg_hi:[0,0,1]
	v_pk_fma_f32 v[4:5], v[4:5], v[0:1], v[8:9] op_sel:[0,0,1] op_sel_hi:[1,0,0]
	v_mov_b32_e32 v11, v5
	v_pk_mul_f32 v[4:5], v[6:7], v[2:3] op_sel:[0,1]
	s_delay_alu instid0(VALU_DEP_2) | instskip(NEXT) | instid1(VALU_DEP_2)
	v_pk_add_f32 v[194:195], v[194:195], v[10:11] neg_lo:[0,1] neg_hi:[0,1]
	v_pk_fma_f32 v[8:9], v[6:7], v[0:1], v[4:5] op_sel:[0,0,1] op_sel_hi:[1,1,0] neg_lo:[0,0,1] neg_hi:[0,0,1]
	v_pk_fma_f32 v[4:5], v[6:7], v[0:1], v[4:5] op_sel:[0,0,1] op_sel_hi:[1,0,0]
	s_delay_alu instid0(VALU_DEP_1) | instskip(SKIP_4) | instid1(VALU_DEP_1)
	v_mov_b32_e32 v9, v5
	ds_load_2addr_b64 v[4:7], v104 offset0:47 offset1:48
	v_pk_add_f32 v[198:199], v[198:199], v[8:9] neg_lo:[0,1] neg_hi:[0,1]
	s_wait_dscnt 0x0
	v_pk_mul_f32 v[8:9], v[4:5], v[2:3] op_sel:[0,1]
	v_pk_fma_f32 v[10:11], v[4:5], v[0:1], v[8:9] op_sel:[0,0,1] op_sel_hi:[1,1,0] neg_lo:[0,0,1] neg_hi:[0,0,1]
	v_pk_fma_f32 v[4:5], v[4:5], v[0:1], v[8:9] op_sel:[0,0,1] op_sel_hi:[1,0,0]
	v_dual_mul_f32 v8, v7, v3 :: v_dual_mov_b32 v4, v7
	s_delay_alu instid0(VALU_DEP_2) | instskip(NEXT) | instid1(VALU_DEP_2)
	v_dual_mov_b32 v11, v5 :: v_dual_mov_b32 v5, v6
	v_pk_fma_f32 v[8:9], v[6:7], v[112:113], v[8:9] op_sel_hi:[1,1,0] neg_lo:[0,0,1] neg_hi:[0,0,1]
	v_mul_f32_e32 v6, v7, v0
	s_delay_alu instid0(VALU_DEP_3) | instskip(NEXT) | instid1(VALU_DEP_2)
	v_pk_add_f32 v[192:193], v[192:193], v[10:11] neg_lo:[0,1] neg_hi:[0,1]
	v_pk_fma_f32 v[4:5], v[4:5], v[112:113], v[6:7] op_sel_hi:[1,1,0]
	s_delay_alu instid0(VALU_DEP_1)
	v_mov_b32_e32 v9, v5
	ds_load_2addr_b64 v[4:7], v104 offset0:49 offset1:50
	v_pk_add_f32 v[196:197], v[196:197], v[8:9] neg_lo:[0,1] neg_hi:[0,1]
	s_wait_dscnt 0x0
	v_pk_mul_f32 v[8:9], v[4:5], v[2:3] op_sel:[0,1]
	v_pk_mul_f32 v[2:3], v[6:7], v[2:3] op_sel:[0,1]
	s_delay_alu instid0(VALU_DEP_2) | instskip(SKIP_1) | instid1(VALU_DEP_1)
	v_pk_fma_f32 v[10:11], v[4:5], v[0:1], v[8:9] op_sel:[0,0,1] op_sel_hi:[1,1,0] neg_lo:[0,0,1] neg_hi:[0,0,1]
	v_pk_fma_f32 v[4:5], v[4:5], v[0:1], v[8:9] op_sel:[0,0,1] op_sel_hi:[1,0,0]
	v_mov_b32_e32 v11, v5
	s_delay_alu instid0(VALU_DEP_4) | instskip(SKIP_1) | instid1(VALU_DEP_1)
	v_pk_fma_f32 v[4:5], v[6:7], v[0:1], v[2:3] op_sel:[0,0,1] op_sel_hi:[1,1,0] neg_lo:[0,0,1] neg_hi:[0,0,1]
	v_pk_fma_f32 v[0:1], v[6:7], v[0:1], v[2:3] op_sel:[0,0,1] op_sel_hi:[1,0,0]
	v_mov_b32_e32 v5, v1
	s_delay_alu instid0(VALU_DEP_4) | instskip(NEXT) | instid1(VALU_DEP_2)
	v_pk_add_f32 v[202:203], v[202:203], v[10:11] neg_lo:[0,1] neg_hi:[0,1]
	v_pk_add_f32 v[204:205], v[204:205], v[4:5] neg_lo:[0,1] neg_hi:[0,1]
.LBB101_226:
	s_wait_xcnt 0x0
	s_or_b32 exec_lo, exec_lo, s1
	s_delay_alu instid0(SALU_CYCLE_1)
	s_mov_b32 s2, exec_lo
	s_wait_storecnt 0x0
	s_barrier_signal -1
	s_barrier_wait -1
	v_cmpx_eq_u32_e32 25, v102
	s_cbranch_execz .LBB101_233
; %bb.227:
	v_dual_mov_b32 v0, v110 :: v_dual_mov_b32 v1, v111
	v_dual_mov_b32 v2, v106 :: v_dual_mov_b32 v3, v107
	ds_store_b64 v103, v[108:109]
	ds_store_2addr_b64 v104, v[0:1], v[2:3] offset0:26 offset1:27
	v_dual_mov_b32 v0, v128 :: v_dual_mov_b32 v1, v129
	v_dual_mov_b32 v2, v124 :: v_dual_mov_b32 v3, v125
	ds_store_2addr_b64 v104, v[0:1], v[2:3] offset0:28 offset1:29
	v_dual_mov_b32 v0, v126 :: v_dual_mov_b32 v1, v127
	v_dual_mov_b32 v2, v122 :: v_dual_mov_b32 v3, v123
	;; [unrolled: 3-line block ×11, first 2 shown]
	ds_store_2addr_b64 v104, v[0:1], v[2:3] offset0:48 offset1:49
	ds_store_b64 v104, v[204:205] offset:400
	ds_load_b64 v[0:1], v103
	s_wait_dscnt 0x0
	v_cmp_neq_f32_e32 vcc_lo, 0, v0
	v_cmp_neq_f32_e64 s1, 0, v1
	s_or_b32 s1, vcc_lo, s1
	s_delay_alu instid0(SALU_CYCLE_1)
	s_and_b32 exec_lo, exec_lo, s1
	s_cbranch_execz .LBB101_233
; %bb.228:
	v_cmp_ngt_f32_e64 s1, |v0|, |v1|
                                        ; implicit-def: $vgpr2_vgpr3
	s_and_saveexec_b32 s4, s1
	s_delay_alu instid0(SALU_CYCLE_1)
	s_xor_b32 s1, exec_lo, s4
	s_cbranch_execz .LBB101_230
; %bb.229:
	v_div_scale_f32 v2, null, v1, v1, v0
	v_div_scale_f32 v5, vcc_lo, v0, v1, v0
	s_delay_alu instid0(VALU_DEP_2) | instskip(SKIP_1) | instid1(TRANS32_DEP_1)
	v_rcp_f32_e32 v3, v2
	v_nop
	v_fma_f32 v4, -v2, v3, 1.0
	s_delay_alu instid0(VALU_DEP_1) | instskip(NEXT) | instid1(VALU_DEP_1)
	v_fmac_f32_e32 v3, v4, v3
	v_mul_f32_e32 v4, v5, v3
	s_delay_alu instid0(VALU_DEP_1) | instskip(NEXT) | instid1(VALU_DEP_1)
	v_fma_f32 v6, -v2, v4, v5
	v_fmac_f32_e32 v4, v6, v3
	s_delay_alu instid0(VALU_DEP_1) | instskip(NEXT) | instid1(VALU_DEP_1)
	v_fma_f32 v2, -v2, v4, v5
	v_div_fmas_f32 v2, v2, v3, v4
	s_delay_alu instid0(VALU_DEP_1) | instskip(NEXT) | instid1(VALU_DEP_1)
	v_div_fixup_f32 v2, v2, v1, v0
	v_fmac_f32_e32 v1, v0, v2
	s_delay_alu instid0(VALU_DEP_1) | instskip(SKIP_1) | instid1(VALU_DEP_2)
	v_div_scale_f32 v0, null, v1, v1, 1.0
	v_div_scale_f32 v5, vcc_lo, 1.0, v1, 1.0
	v_rcp_f32_e32 v3, v0
	v_nop
	s_delay_alu instid0(TRANS32_DEP_1) | instskip(NEXT) | instid1(VALU_DEP_1)
	v_fma_f32 v4, -v0, v3, 1.0
	v_fmac_f32_e32 v3, v4, v3
	s_delay_alu instid0(VALU_DEP_1) | instskip(NEXT) | instid1(VALU_DEP_1)
	v_mul_f32_e32 v4, v5, v3
	v_fma_f32 v6, -v0, v4, v5
	s_delay_alu instid0(VALU_DEP_1) | instskip(NEXT) | instid1(VALU_DEP_1)
	v_fmac_f32_e32 v4, v6, v3
	v_fma_f32 v0, -v0, v4, v5
	s_delay_alu instid0(VALU_DEP_1) | instskip(NEXT) | instid1(VALU_DEP_1)
	v_div_fmas_f32 v0, v0, v3, v4
	v_div_fixup_f32 v0, v0, v1, 1.0
	s_delay_alu instid0(VALU_DEP_1)
	v_mul_f32_e32 v2, v2, v0
	v_xor_b32_e32 v3, 0x80000000, v0
                                        ; implicit-def: $vgpr0_vgpr1
.LBB101_230:
	s_and_not1_saveexec_b32 s1, s1
	s_cbranch_execz .LBB101_232
; %bb.231:
	v_div_scale_f32 v2, null, v0, v0, v1
	v_div_scale_f32 v5, vcc_lo, v1, v0, v1
	s_delay_alu instid0(VALU_DEP_2) | instskip(SKIP_1) | instid1(TRANS32_DEP_1)
	v_rcp_f32_e32 v3, v2
	v_nop
	v_fma_f32 v4, -v2, v3, 1.0
	s_delay_alu instid0(VALU_DEP_1) | instskip(NEXT) | instid1(VALU_DEP_1)
	v_fmac_f32_e32 v3, v4, v3
	v_mul_f32_e32 v4, v5, v3
	s_delay_alu instid0(VALU_DEP_1) | instskip(NEXT) | instid1(VALU_DEP_1)
	v_fma_f32 v6, -v2, v4, v5
	v_fmac_f32_e32 v4, v6, v3
	s_delay_alu instid0(VALU_DEP_1) | instskip(NEXT) | instid1(VALU_DEP_1)
	v_fma_f32 v2, -v2, v4, v5
	v_div_fmas_f32 v2, v2, v3, v4
	s_delay_alu instid0(VALU_DEP_1) | instskip(NEXT) | instid1(VALU_DEP_1)
	v_div_fixup_f32 v3, v2, v0, v1
	v_fmac_f32_e32 v0, v1, v3
	s_delay_alu instid0(VALU_DEP_1) | instskip(NEXT) | instid1(VALU_DEP_1)
	v_div_scale_f32 v1, null, v0, v0, 1.0
	v_rcp_f32_e32 v2, v1
	v_nop
	s_delay_alu instid0(TRANS32_DEP_1) | instskip(NEXT) | instid1(VALU_DEP_1)
	v_fma_f32 v4, -v1, v2, 1.0
	v_fmac_f32_e32 v2, v4, v2
	v_div_scale_f32 v4, vcc_lo, 1.0, v0, 1.0
	s_delay_alu instid0(VALU_DEP_1) | instskip(NEXT) | instid1(VALU_DEP_1)
	v_mul_f32_e32 v5, v4, v2
	v_fma_f32 v6, -v1, v5, v4
	s_delay_alu instid0(VALU_DEP_1) | instskip(NEXT) | instid1(VALU_DEP_1)
	v_fmac_f32_e32 v5, v6, v2
	v_fma_f32 v1, -v1, v5, v4
	s_delay_alu instid0(VALU_DEP_1) | instskip(NEXT) | instid1(VALU_DEP_1)
	v_div_fmas_f32 v1, v1, v2, v5
	v_div_fixup_f32 v2, v1, v0, 1.0
	s_delay_alu instid0(VALU_DEP_1)
	v_mul_f32_e64 v3, v3, -v2
.LBB101_232:
	s_or_b32 exec_lo, exec_lo, s1
	ds_store_b64 v103, v[2:3]
.LBB101_233:
	s_or_b32 exec_lo, exec_lo, s2
	s_wait_dscnt 0x0
	s_barrier_signal -1
	s_barrier_wait -1
	ds_load_b64 v[0:1], v103
	s_mov_b32 s1, exec_lo
	s_wait_dscnt 0x0
	scratch_store_b64 off, v[0:1], off offset:248 ; 8-byte Folded Spill
	s_wait_xcnt 0x0
	v_cmpx_lt_u32_e32 25, v102
	s_cbranch_execz .LBB101_235
; %bb.234:
	scratch_load_b64 v[0:1], off, off offset:248 ; 8-byte Folded Reload
	ds_load_2addr_b64 v[6:9], v104 offset0:26 offset1:27
	s_wait_loadcnt 0x0
	v_pk_mul_f32 v[4:5], v[0:1], v[108:109] op_sel:[1,1] op_sel_hi:[0,1]
	s_delay_alu instid0(VALU_DEP_1) | instskip(SKIP_1) | instid1(VALU_DEP_1)
	v_pk_fma_f32 v[2:3], v[0:1], v[108:109], v[4:5] op_sel_hi:[1,0,1] neg_lo:[0,0,1] neg_hi:[0,0,1]
	v_pk_fma_f32 v[4:5], v[0:1], v[108:109], v[4:5] op_sel_hi:[1,0,1]
	v_dual_mov_b32 v108, v2 :: v_dual_mov_b32 v109, v5
	s_wait_dscnt 0x0
	s_delay_alu instid0(VALU_DEP_2) | instskip(NEXT) | instid1(VALU_DEP_1)
	v_pk_mul_f32 v[10:11], v[6:7], v[4:5] op_sel:[0,1]
	v_pk_fma_f32 v[12:13], v[6:7], v[2:3], v[10:11] op_sel:[0,0,1] op_sel_hi:[1,1,0] neg_lo:[0,0,1] neg_hi:[0,0,1]
	v_pk_fma_f32 v[6:7], v[6:7], v[2:3], v[10:11] op_sel:[0,0,1] op_sel_hi:[1,0,0]
	s_delay_alu instid0(VALU_DEP_1) | instskip(SKIP_1) | instid1(VALU_DEP_1)
	v_mov_b32_e32 v13, v7
	v_pk_mul_f32 v[6:7], v[8:9], v[4:5] op_sel:[0,1]
	v_pk_fma_f32 v[10:11], v[8:9], v[2:3], v[6:7] op_sel:[0,0,1] op_sel_hi:[1,1,0] neg_lo:[0,0,1] neg_hi:[0,0,1]
	v_pk_fma_f32 v[6:7], v[8:9], v[2:3], v[6:7] op_sel:[0,0,1] op_sel_hi:[1,0,0]
	s_delay_alu instid0(VALU_DEP_1)
	v_mov_b32_e32 v11, v7
	ds_load_2addr_b64 v[6:9], v104 offset0:28 offset1:29
	v_pk_add_f32 v[110:111], v[110:111], v[12:13] neg_lo:[0,1] neg_hi:[0,1]
	v_pk_add_f32 v[106:107], v[106:107], v[10:11] neg_lo:[0,1] neg_hi:[0,1]
	s_wait_dscnt 0x0
	v_pk_mul_f32 v[10:11], v[6:7], v[4:5] op_sel:[0,1]
	s_delay_alu instid0(VALU_DEP_1) | instskip(SKIP_2) | instid1(VALU_DEP_2)
	v_pk_fma_f32 v[12:13], v[6:7], v[2:3], v[10:11] op_sel:[0,0,1] op_sel_hi:[1,1,0] neg_lo:[0,0,1] neg_hi:[0,0,1]
	v_pk_fma_f32 v[6:7], v[6:7], v[2:3], v[10:11] op_sel:[0,0,1] op_sel_hi:[1,0,0]
	v_dual_mul_f32 v10, v9, v5 :: v_dual_mov_b32 v6, v9
	v_dual_mov_b32 v13, v7 :: v_dual_mov_b32 v7, v8
	s_delay_alu instid0(VALU_DEP_2) | instskip(SKIP_1) | instid1(VALU_DEP_3)
	v_pk_fma_f32 v[10:11], v[8:9], v[108:109], v[10:11] op_sel_hi:[1,1,0] neg_lo:[0,0,1] neg_hi:[0,0,1]
	v_mul_f32_e32 v8, v9, v2
	v_pk_add_f32 v[128:129], v[128:129], v[12:13] neg_lo:[0,1] neg_hi:[0,1]
	s_delay_alu instid0(VALU_DEP_2) | instskip(NEXT) | instid1(VALU_DEP_1)
	v_pk_fma_f32 v[6:7], v[6:7], v[108:109], v[8:9] op_sel_hi:[1,1,0]
	v_mov_b32_e32 v11, v7
	ds_load_2addr_b64 v[6:9], v104 offset0:30 offset1:31
	v_pk_add_f32 v[124:125], v[124:125], v[10:11] neg_lo:[0,1] neg_hi:[0,1]
	s_wait_dscnt 0x0
	v_pk_mul_f32 v[10:11], v[6:7], v[4:5] op_sel:[0,1]
	s_delay_alu instid0(VALU_DEP_1) | instskip(SKIP_1) | instid1(VALU_DEP_1)
	v_pk_fma_f32 v[12:13], v[6:7], v[2:3], v[10:11] op_sel:[0,0,1] op_sel_hi:[1,1,0] neg_lo:[0,0,1] neg_hi:[0,0,1]
	v_pk_fma_f32 v[6:7], v[6:7], v[2:3], v[10:11] op_sel:[0,0,1] op_sel_hi:[1,0,0]
	v_mov_b32_e32 v13, v7
	v_pk_mul_f32 v[6:7], v[8:9], v[4:5] op_sel:[0,1]
	s_delay_alu instid0(VALU_DEP_1) | instskip(SKIP_1) | instid1(VALU_DEP_1)
	v_pk_fma_f32 v[10:11], v[8:9], v[2:3], v[6:7] op_sel:[0,0,1] op_sel_hi:[1,1,0] neg_lo:[0,0,1] neg_hi:[0,0,1]
	v_pk_fma_f32 v[6:7], v[8:9], v[2:3], v[6:7] op_sel:[0,0,1] op_sel_hi:[1,0,0]
	v_mov_b32_e32 v11, v7
	ds_load_2addr_b64 v[6:9], v104 offset0:32 offset1:33
	v_pk_add_f32 v[126:127], v[126:127], v[12:13] neg_lo:[0,1] neg_hi:[0,1]
	v_pk_add_f32 v[122:123], v[122:123], v[10:11] neg_lo:[0,1] neg_hi:[0,1]
	s_wait_dscnt 0x0
	v_pk_mul_f32 v[10:11], v[6:7], v[4:5] op_sel:[0,1]
	s_delay_alu instid0(VALU_DEP_1) | instskip(SKIP_1) | instid1(VALU_DEP_1)
	v_pk_fma_f32 v[12:13], v[6:7], v[2:3], v[10:11] op_sel:[0,0,1] op_sel_hi:[1,1,0] neg_lo:[0,0,1] neg_hi:[0,0,1]
	v_pk_fma_f32 v[6:7], v[6:7], v[2:3], v[10:11] op_sel:[0,0,1] op_sel_hi:[1,0,0]
	v_mov_b32_e32 v13, v7
	v_pk_mul_f32 v[6:7], v[8:9], v[4:5] op_sel:[0,1]
	s_delay_alu instid0(VALU_DEP_1) | instskip(SKIP_1) | instid1(VALU_DEP_1)
	v_pk_fma_f32 v[10:11], v[8:9], v[2:3], v[6:7] op_sel:[0,0,1] op_sel_hi:[1,1,0] neg_lo:[0,0,1] neg_hi:[0,0,1]
	v_pk_fma_f32 v[6:7], v[8:9], v[2:3], v[6:7] op_sel:[0,0,1] op_sel_hi:[1,0,0]
	v_mov_b32_e32 v11, v7
	ds_load_2addr_b64 v[6:9], v104 offset0:34 offset1:35
	v_pk_add_f32 v[146:147], v[146:147], v[12:13] neg_lo:[0,1] neg_hi:[0,1]
	v_pk_add_f32 v[142:143], v[142:143], v[10:11] neg_lo:[0,1] neg_hi:[0,1]
	s_wait_dscnt 0x0
	v_dual_mul_f32 v10, v7, v5 :: v_dual_mul_f32 v12, v7, v2
	s_delay_alu instid0(VALU_DEP_1) | instskip(NEXT) | instid1(VALU_DEP_2)
	v_pk_fma_f32 v[10:11], v[6:7], v[108:109], v[10:11] op_sel_hi:[1,1,0] neg_lo:[0,0,1] neg_hi:[0,0,1]
	v_pk_fma_f32 v[6:7], v[6:7], v[108:109], v[12:13] op_sel:[1,0,0] op_sel_hi:[0,1,0]
	s_delay_alu instid0(VALU_DEP_1) | instskip(SKIP_1) | instid1(VALU_DEP_2)
	v_mov_b32_e32 v11, v7
	v_pk_mul_f32 v[6:7], v[8:9], v[4:5] op_sel:[0,1]
	v_pk_add_f32 v[144:145], v[144:145], v[10:11] neg_lo:[0,1] neg_hi:[0,1]
	s_delay_alu instid0(VALU_DEP_2) | instskip(SKIP_1) | instid1(VALU_DEP_1)
	v_pk_fma_f32 v[10:11], v[8:9], v[2:3], v[6:7] op_sel:[0,0,1] op_sel_hi:[1,1,0] neg_lo:[0,0,1] neg_hi:[0,0,1]
	v_pk_fma_f32 v[6:7], v[8:9], v[2:3], v[6:7] op_sel:[0,0,1] op_sel_hi:[1,0,0]
	v_mov_b32_e32 v11, v7
	ds_load_2addr_b64 v[6:9], v104 offset0:36 offset1:37
	v_pk_add_f32 v[140:141], v[140:141], v[10:11] neg_lo:[0,1] neg_hi:[0,1]
	s_wait_dscnt 0x0
	v_pk_mul_f32 v[10:11], v[6:7], v[4:5] op_sel:[0,1]
	s_delay_alu instid0(VALU_DEP_1) | instskip(SKIP_1) | instid1(VALU_DEP_1)
	v_pk_fma_f32 v[12:13], v[6:7], v[2:3], v[10:11] op_sel:[0,0,1] op_sel_hi:[1,1,0] neg_lo:[0,0,1] neg_hi:[0,0,1]
	v_pk_fma_f32 v[6:7], v[6:7], v[2:3], v[10:11] op_sel:[0,0,1] op_sel_hi:[1,0,0]
	v_mov_b32_e32 v13, v7
	v_pk_mul_f32 v[6:7], v[8:9], v[4:5] op_sel:[0,1]
	s_delay_alu instid0(VALU_DEP_2) | instskip(NEXT) | instid1(VALU_DEP_2)
	v_pk_add_f32 v[162:163], v[162:163], v[12:13] neg_lo:[0,1] neg_hi:[0,1]
	v_pk_fma_f32 v[10:11], v[8:9], v[2:3], v[6:7] op_sel:[0,0,1] op_sel_hi:[1,1,0] neg_lo:[0,0,1] neg_hi:[0,0,1]
	v_pk_fma_f32 v[6:7], v[8:9], v[2:3], v[6:7] op_sel:[0,0,1] op_sel_hi:[1,0,0]
	s_delay_alu instid0(VALU_DEP_1) | instskip(SKIP_4) | instid1(VALU_DEP_1)
	v_mov_b32_e32 v11, v7
	ds_load_2addr_b64 v[6:9], v104 offset0:38 offset1:39
	v_pk_add_f32 v[158:159], v[158:159], v[10:11] neg_lo:[0,1] neg_hi:[0,1]
	s_wait_dscnt 0x0
	v_pk_mul_f32 v[10:11], v[6:7], v[4:5] op_sel:[0,1]
	v_pk_fma_f32 v[12:13], v[6:7], v[2:3], v[10:11] op_sel:[0,0,1] op_sel_hi:[1,1,0] neg_lo:[0,0,1] neg_hi:[0,0,1]
	v_pk_fma_f32 v[6:7], v[6:7], v[2:3], v[10:11] op_sel:[0,0,1] op_sel_hi:[1,0,0]
	v_dual_mul_f32 v10, v9, v5 :: v_dual_mov_b32 v6, v9
	s_delay_alu instid0(VALU_DEP_2) | instskip(NEXT) | instid1(VALU_DEP_2)
	v_dual_mov_b32 v13, v7 :: v_dual_mov_b32 v7, v8
	v_pk_fma_f32 v[10:11], v[8:9], v[108:109], v[10:11] op_sel_hi:[1,1,0] neg_lo:[0,0,1] neg_hi:[0,0,1]
	v_mul_f32_e32 v8, v9, v2
	s_delay_alu instid0(VALU_DEP_3) | instskip(NEXT) | instid1(VALU_DEP_2)
	v_pk_add_f32 v[160:161], v[160:161], v[12:13] neg_lo:[0,1] neg_hi:[0,1]
	v_pk_fma_f32 v[6:7], v[6:7], v[108:109], v[8:9] op_sel_hi:[1,1,0]
	s_delay_alu instid0(VALU_DEP_1) | instskip(SKIP_4) | instid1(VALU_DEP_1)
	v_mov_b32_e32 v11, v7
	ds_load_2addr_b64 v[6:9], v104 offset0:40 offset1:41
	v_pk_add_f32 v[156:157], v[156:157], v[10:11] neg_lo:[0,1] neg_hi:[0,1]
	s_wait_dscnt 0x0
	v_pk_mul_f32 v[10:11], v[6:7], v[4:5] op_sel:[0,1]
	v_pk_fma_f32 v[12:13], v[6:7], v[2:3], v[10:11] op_sel:[0,0,1] op_sel_hi:[1,1,0] neg_lo:[0,0,1] neg_hi:[0,0,1]
	v_pk_fma_f32 v[6:7], v[6:7], v[2:3], v[10:11] op_sel:[0,0,1] op_sel_hi:[1,0,0]
	s_delay_alu instid0(VALU_DEP_1) | instskip(SKIP_1) | instid1(VALU_DEP_1)
	v_mov_b32_e32 v13, v7
	v_pk_mul_f32 v[6:7], v[8:9], v[4:5] op_sel:[0,1]
	v_pk_fma_f32 v[10:11], v[8:9], v[2:3], v[6:7] op_sel:[0,0,1] op_sel_hi:[1,1,0] neg_lo:[0,0,1] neg_hi:[0,0,1]
	v_pk_fma_f32 v[6:7], v[8:9], v[2:3], v[6:7] op_sel:[0,0,1] op_sel_hi:[1,0,0]
	s_delay_alu instid0(VALU_DEP_1)
	v_mov_b32_e32 v11, v7
	ds_load_2addr_b64 v[6:9], v104 offset0:42 offset1:43
	v_pk_add_f32 v[180:181], v[180:181], v[12:13] neg_lo:[0,1] neg_hi:[0,1]
	v_pk_add_f32 v[176:177], v[176:177], v[10:11] neg_lo:[0,1] neg_hi:[0,1]
	s_wait_dscnt 0x0
	v_pk_mul_f32 v[10:11], v[6:7], v[4:5] op_sel:[0,1]
	s_delay_alu instid0(VALU_DEP_1) | instskip(SKIP_1) | instid1(VALU_DEP_1)
	v_pk_fma_f32 v[12:13], v[6:7], v[2:3], v[10:11] op_sel:[0,0,1] op_sel_hi:[1,1,0] neg_lo:[0,0,1] neg_hi:[0,0,1]
	v_pk_fma_f32 v[6:7], v[6:7], v[2:3], v[10:11] op_sel:[0,0,1] op_sel_hi:[1,0,0]
	v_mov_b32_e32 v13, v7
	v_pk_mul_f32 v[6:7], v[8:9], v[4:5] op_sel:[0,1]
	s_delay_alu instid0(VALU_DEP_1) | instskip(SKIP_1) | instid1(VALU_DEP_1)
	v_pk_fma_f32 v[10:11], v[8:9], v[2:3], v[6:7] op_sel:[0,0,1] op_sel_hi:[1,1,0] neg_lo:[0,0,1] neg_hi:[0,0,1]
	v_pk_fma_f32 v[6:7], v[8:9], v[2:3], v[6:7] op_sel:[0,0,1] op_sel_hi:[1,0,0]
	v_mov_b32_e32 v11, v7
	ds_load_2addr_b64 v[6:9], v104 offset0:44 offset1:45
	v_pk_add_f32 v[178:179], v[178:179], v[12:13] neg_lo:[0,1] neg_hi:[0,1]
	v_pk_add_f32 v[174:175], v[174:175], v[10:11] neg_lo:[0,1] neg_hi:[0,1]
	s_wait_dscnt 0x0
	v_dual_mul_f32 v10, v7, v5 :: v_dual_mul_f32 v12, v7, v2
	s_delay_alu instid0(VALU_DEP_1) | instskip(NEXT) | instid1(VALU_DEP_2)
	v_pk_fma_f32 v[10:11], v[6:7], v[108:109], v[10:11] op_sel_hi:[1,1,0] neg_lo:[0,0,1] neg_hi:[0,0,1]
	v_pk_fma_f32 v[6:7], v[6:7], v[108:109], v[12:13] op_sel:[1,0,0] op_sel_hi:[0,1,0]
	s_delay_alu instid0(VALU_DEP_1) | instskip(SKIP_1) | instid1(VALU_DEP_2)
	v_mov_b32_e32 v11, v7
	v_pk_mul_f32 v[6:7], v[8:9], v[4:5] op_sel:[0,1]
	v_pk_add_f32 v[200:201], v[200:201], v[10:11] neg_lo:[0,1] neg_hi:[0,1]
	s_delay_alu instid0(VALU_DEP_2) | instskip(SKIP_1) | instid1(VALU_DEP_1)
	v_pk_fma_f32 v[10:11], v[8:9], v[2:3], v[6:7] op_sel:[0,0,1] op_sel_hi:[1,1,0] neg_lo:[0,0,1] neg_hi:[0,0,1]
	v_pk_fma_f32 v[6:7], v[8:9], v[2:3], v[6:7] op_sel:[0,0,1] op_sel_hi:[1,0,0]
	v_mov_b32_e32 v11, v7
	ds_load_2addr_b64 v[6:9], v104 offset0:46 offset1:47
	v_pk_add_f32 v[194:195], v[194:195], v[10:11] neg_lo:[0,1] neg_hi:[0,1]
	s_wait_dscnt 0x0
	v_pk_mul_f32 v[10:11], v[6:7], v[4:5] op_sel:[0,1]
	s_delay_alu instid0(VALU_DEP_1) | instskip(SKIP_1) | instid1(VALU_DEP_1)
	v_pk_fma_f32 v[12:13], v[6:7], v[2:3], v[10:11] op_sel:[0,0,1] op_sel_hi:[1,1,0] neg_lo:[0,0,1] neg_hi:[0,0,1]
	v_pk_fma_f32 v[6:7], v[6:7], v[2:3], v[10:11] op_sel:[0,0,1] op_sel_hi:[1,0,0]
	v_mov_b32_e32 v13, v7
	v_pk_mul_f32 v[6:7], v[8:9], v[4:5] op_sel:[0,1]
	s_delay_alu instid0(VALU_DEP_2) | instskip(NEXT) | instid1(VALU_DEP_2)
	v_pk_add_f32 v[198:199], v[198:199], v[12:13] neg_lo:[0,1] neg_hi:[0,1]
	v_pk_fma_f32 v[10:11], v[8:9], v[2:3], v[6:7] op_sel:[0,0,1] op_sel_hi:[1,1,0] neg_lo:[0,0,1] neg_hi:[0,0,1]
	v_pk_fma_f32 v[6:7], v[8:9], v[2:3], v[6:7] op_sel:[0,0,1] op_sel_hi:[1,0,0]
	s_delay_alu instid0(VALU_DEP_1) | instskip(SKIP_4) | instid1(VALU_DEP_1)
	v_mov_b32_e32 v11, v7
	ds_load_2addr_b64 v[6:9], v104 offset0:48 offset1:49
	v_pk_add_f32 v[192:193], v[192:193], v[10:11] neg_lo:[0,1] neg_hi:[0,1]
	s_wait_dscnt 0x0
	v_pk_mul_f32 v[10:11], v[6:7], v[4:5] op_sel:[0,1]
	v_pk_fma_f32 v[12:13], v[6:7], v[2:3], v[10:11] op_sel:[0,0,1] op_sel_hi:[1,1,0] neg_lo:[0,0,1] neg_hi:[0,0,1]
	v_pk_fma_f32 v[6:7], v[6:7], v[2:3], v[10:11] op_sel:[0,0,1] op_sel_hi:[1,0,0]
	v_dual_mul_f32 v10, v9, v5 :: v_dual_mov_b32 v6, v9
	s_delay_alu instid0(VALU_DEP_2) | instskip(NEXT) | instid1(VALU_DEP_2)
	v_dual_mov_b32 v13, v7 :: v_dual_mov_b32 v7, v8
	v_pk_fma_f32 v[10:11], v[8:9], v[108:109], v[10:11] op_sel_hi:[1,1,0] neg_lo:[0,0,1] neg_hi:[0,0,1]
	v_mul_f32_e32 v8, v9, v2
	s_delay_alu instid0(VALU_DEP_3) | instskip(NEXT) | instid1(VALU_DEP_2)
	v_pk_add_f32 v[196:197], v[196:197], v[12:13] neg_lo:[0,1] neg_hi:[0,1]
	v_pk_fma_f32 v[6:7], v[6:7], v[108:109], v[8:9] op_sel_hi:[1,1,0]
	s_delay_alu instid0(VALU_DEP_1) | instskip(SKIP_4) | instid1(VALU_DEP_1)
	v_mov_b32_e32 v11, v7
	ds_load_b64 v[6:7], v104 offset:400
	v_pk_add_f32 v[202:203], v[202:203], v[10:11] neg_lo:[0,1] neg_hi:[0,1]
	s_wait_dscnt 0x0
	v_pk_mul_f32 v[4:5], v[6:7], v[4:5] op_sel:[0,1]
	v_pk_fma_f32 v[8:9], v[6:7], v[2:3], v[4:5] op_sel:[0,0,1] op_sel_hi:[1,1,0] neg_lo:[0,0,1] neg_hi:[0,0,1]
	v_pk_fma_f32 v[2:3], v[6:7], v[2:3], v[4:5] op_sel:[0,0,1] op_sel_hi:[1,0,0]
	s_delay_alu instid0(VALU_DEP_1) | instskip(NEXT) | instid1(VALU_DEP_1)
	v_mov_b32_e32 v9, v3
	v_pk_add_f32 v[204:205], v[204:205], v[8:9] neg_lo:[0,1] neg_hi:[0,1]
.LBB101_235:
	s_wait_xcnt 0x0
	s_or_b32 exec_lo, exec_lo, s1
	s_delay_alu instid0(SALU_CYCLE_1)
	s_mov_b32 s2, exec_lo
	s_wait_storecnt 0x0
	s_barrier_signal -1
	s_barrier_wait -1
	v_cmpx_eq_u32_e32 26, v102
	s_cbranch_execz .LBB101_242
; %bb.236:
	ds_store_b64 v103, v[110:111]
	ds_store_2addr_b64 v104, v[106:107], v[128:129] offset0:27 offset1:28
	ds_store_2addr_b64 v104, v[124:125], v[126:127] offset0:29 offset1:30
	;; [unrolled: 1-line block ×12, first 2 shown]
	ds_load_b64 v[2:3], v103
	s_wait_dscnt 0x0
	v_cmp_neq_f32_e32 vcc_lo, 0, v2
	v_cmp_neq_f32_e64 s1, 0, v3
	s_or_b32 s1, vcc_lo, s1
	s_delay_alu instid0(SALU_CYCLE_1)
	s_and_b32 exec_lo, exec_lo, s1
	s_cbranch_execz .LBB101_242
; %bb.237:
	v_cmp_ngt_f32_e64 s1, |v2|, |v3|
                                        ; implicit-def: $vgpr4_vgpr5
	s_and_saveexec_b32 s4, s1
	s_delay_alu instid0(SALU_CYCLE_1)
	s_xor_b32 s1, exec_lo, s4
	s_cbranch_execz .LBB101_239
; %bb.238:
	v_div_scale_f32 v4, null, v3, v3, v2
	v_div_scale_f32 v7, vcc_lo, v2, v3, v2
	s_delay_alu instid0(VALU_DEP_2) | instskip(SKIP_1) | instid1(TRANS32_DEP_1)
	v_rcp_f32_e32 v5, v4
	v_nop
	v_fma_f32 v6, -v4, v5, 1.0
	s_delay_alu instid0(VALU_DEP_1) | instskip(NEXT) | instid1(VALU_DEP_1)
	v_fmac_f32_e32 v5, v6, v5
	v_mul_f32_e32 v6, v7, v5
	s_delay_alu instid0(VALU_DEP_1) | instskip(NEXT) | instid1(VALU_DEP_1)
	v_fma_f32 v8, -v4, v6, v7
	v_fmac_f32_e32 v6, v8, v5
	s_delay_alu instid0(VALU_DEP_1) | instskip(NEXT) | instid1(VALU_DEP_1)
	v_fma_f32 v4, -v4, v6, v7
	v_div_fmas_f32 v4, v4, v5, v6
	s_delay_alu instid0(VALU_DEP_1) | instskip(NEXT) | instid1(VALU_DEP_1)
	v_div_fixup_f32 v4, v4, v3, v2
	v_fmac_f32_e32 v3, v2, v4
	s_delay_alu instid0(VALU_DEP_1) | instskip(SKIP_1) | instid1(VALU_DEP_2)
	v_div_scale_f32 v2, null, v3, v3, 1.0
	v_div_scale_f32 v7, vcc_lo, 1.0, v3, 1.0
	v_rcp_f32_e32 v5, v2
	v_nop
	s_delay_alu instid0(TRANS32_DEP_1) | instskip(NEXT) | instid1(VALU_DEP_1)
	v_fma_f32 v6, -v2, v5, 1.0
	v_fmac_f32_e32 v5, v6, v5
	s_delay_alu instid0(VALU_DEP_1) | instskip(NEXT) | instid1(VALU_DEP_1)
	v_mul_f32_e32 v6, v7, v5
	v_fma_f32 v8, -v2, v6, v7
	s_delay_alu instid0(VALU_DEP_1) | instskip(NEXT) | instid1(VALU_DEP_1)
	v_fmac_f32_e32 v6, v8, v5
	v_fma_f32 v2, -v2, v6, v7
	s_delay_alu instid0(VALU_DEP_1) | instskip(NEXT) | instid1(VALU_DEP_1)
	v_div_fmas_f32 v2, v2, v5, v6
	v_div_fixup_f32 v2, v2, v3, 1.0
	s_delay_alu instid0(VALU_DEP_1)
	v_mul_f32_e32 v4, v4, v2
	v_xor_b32_e32 v5, 0x80000000, v2
                                        ; implicit-def: $vgpr2_vgpr3
.LBB101_239:
	s_and_not1_saveexec_b32 s1, s1
	s_cbranch_execz .LBB101_241
; %bb.240:
	v_div_scale_f32 v4, null, v2, v2, v3
	v_div_scale_f32 v7, vcc_lo, v3, v2, v3
	s_delay_alu instid0(VALU_DEP_2) | instskip(SKIP_1) | instid1(TRANS32_DEP_1)
	v_rcp_f32_e32 v5, v4
	v_nop
	v_fma_f32 v6, -v4, v5, 1.0
	s_delay_alu instid0(VALU_DEP_1) | instskip(NEXT) | instid1(VALU_DEP_1)
	v_fmac_f32_e32 v5, v6, v5
	v_mul_f32_e32 v6, v7, v5
	s_delay_alu instid0(VALU_DEP_1) | instskip(NEXT) | instid1(VALU_DEP_1)
	v_fma_f32 v8, -v4, v6, v7
	v_fmac_f32_e32 v6, v8, v5
	s_delay_alu instid0(VALU_DEP_1) | instskip(NEXT) | instid1(VALU_DEP_1)
	v_fma_f32 v4, -v4, v6, v7
	v_div_fmas_f32 v4, v4, v5, v6
	s_delay_alu instid0(VALU_DEP_1) | instskip(NEXT) | instid1(VALU_DEP_1)
	v_div_fixup_f32 v5, v4, v2, v3
	v_fmac_f32_e32 v2, v3, v5
	s_delay_alu instid0(VALU_DEP_1) | instskip(NEXT) | instid1(VALU_DEP_1)
	v_div_scale_f32 v3, null, v2, v2, 1.0
	v_rcp_f32_e32 v4, v3
	v_nop
	s_delay_alu instid0(TRANS32_DEP_1) | instskip(NEXT) | instid1(VALU_DEP_1)
	v_fma_f32 v6, -v3, v4, 1.0
	v_fmac_f32_e32 v4, v6, v4
	v_div_scale_f32 v6, vcc_lo, 1.0, v2, 1.0
	s_delay_alu instid0(VALU_DEP_1) | instskip(NEXT) | instid1(VALU_DEP_1)
	v_mul_f32_e32 v7, v6, v4
	v_fma_f32 v8, -v3, v7, v6
	s_delay_alu instid0(VALU_DEP_1) | instskip(NEXT) | instid1(VALU_DEP_1)
	v_fmac_f32_e32 v7, v8, v4
	v_fma_f32 v3, -v3, v7, v6
	s_delay_alu instid0(VALU_DEP_1) | instskip(NEXT) | instid1(VALU_DEP_1)
	v_div_fmas_f32 v3, v3, v4, v7
	v_div_fixup_f32 v4, v3, v2, 1.0
	s_delay_alu instid0(VALU_DEP_1)
	v_mul_f32_e64 v5, v5, -v4
.LBB101_241:
	s_or_b32 exec_lo, exec_lo, s1
	ds_store_b64 v103, v[4:5]
.LBB101_242:
	s_or_b32 exec_lo, exec_lo, s2
	s_wait_dscnt 0x0
	s_barrier_signal -1
	s_barrier_wait -1
	ds_load_b64 v[2:3], v103
	s_mov_b32 s1, exec_lo
	v_cmpx_lt_u32_e32 26, v102
	s_cbranch_execz .LBB101_244
; %bb.243:
	ds_load_2addr_b64 v[8:11], v104 offset0:27 offset1:28
	s_wait_dscnt 0x1
	v_pk_mul_f32 v[6:7], v[2:3], v[110:111] op_sel:[1,1] op_sel_hi:[0,1]
	s_delay_alu instid0(VALU_DEP_1) | instskip(SKIP_1) | instid1(VALU_DEP_1)
	v_pk_fma_f32 v[4:5], v[2:3], v[110:111], v[6:7] op_sel_hi:[1,0,1] neg_lo:[0,0,1] neg_hi:[0,0,1]
	v_pk_fma_f32 v[6:7], v[2:3], v[110:111], v[6:7] op_sel_hi:[1,0,1]
	v_dual_mov_b32 v110, v4 :: v_dual_mov_b32 v111, v7
	s_wait_dscnt 0x0
	s_delay_alu instid0(VALU_DEP_2) | instskip(NEXT) | instid1(VALU_DEP_1)
	v_pk_mul_f32 v[12:13], v[8:9], v[6:7] op_sel:[0,1]
	v_pk_fma_f32 v[14:15], v[8:9], v[4:5], v[12:13] op_sel:[0,0,1] op_sel_hi:[1,1,0] neg_lo:[0,0,1] neg_hi:[0,0,1]
	v_pk_fma_f32 v[8:9], v[8:9], v[4:5], v[12:13] op_sel:[0,0,1] op_sel_hi:[1,0,0]
	s_delay_alu instid0(VALU_DEP_1) | instskip(SKIP_1) | instid1(VALU_DEP_1)
	v_mov_b32_e32 v15, v9
	v_pk_mul_f32 v[8:9], v[10:11], v[6:7] op_sel:[0,1]
	v_pk_fma_f32 v[12:13], v[10:11], v[4:5], v[8:9] op_sel:[0,0,1] op_sel_hi:[1,1,0] neg_lo:[0,0,1] neg_hi:[0,0,1]
	v_pk_fma_f32 v[8:9], v[10:11], v[4:5], v[8:9] op_sel:[0,0,1] op_sel_hi:[1,0,0]
	s_delay_alu instid0(VALU_DEP_1)
	v_mov_b32_e32 v13, v9
	ds_load_2addr_b64 v[8:11], v104 offset0:29 offset1:30
	v_pk_add_f32 v[106:107], v[106:107], v[14:15] neg_lo:[0,1] neg_hi:[0,1]
	v_pk_add_f32 v[128:129], v[128:129], v[12:13] neg_lo:[0,1] neg_hi:[0,1]
	s_wait_dscnt 0x0
	v_pk_mul_f32 v[12:13], v[8:9], v[6:7] op_sel:[0,1]
	s_delay_alu instid0(VALU_DEP_1) | instskip(SKIP_2) | instid1(VALU_DEP_2)
	v_pk_fma_f32 v[14:15], v[8:9], v[4:5], v[12:13] op_sel:[0,0,1] op_sel_hi:[1,1,0] neg_lo:[0,0,1] neg_hi:[0,0,1]
	v_pk_fma_f32 v[8:9], v[8:9], v[4:5], v[12:13] op_sel:[0,0,1] op_sel_hi:[1,0,0]
	v_dual_mul_f32 v12, v11, v7 :: v_dual_mov_b32 v8, v11
	v_dual_mov_b32 v15, v9 :: v_dual_mov_b32 v9, v10
	s_delay_alu instid0(VALU_DEP_2) | instskip(SKIP_1) | instid1(VALU_DEP_3)
	v_pk_fma_f32 v[12:13], v[10:11], v[110:111], v[12:13] op_sel_hi:[1,1,0] neg_lo:[0,0,1] neg_hi:[0,0,1]
	v_mul_f32_e32 v10, v11, v4
	v_pk_add_f32 v[124:125], v[124:125], v[14:15] neg_lo:[0,1] neg_hi:[0,1]
	s_delay_alu instid0(VALU_DEP_2) | instskip(NEXT) | instid1(VALU_DEP_1)
	v_pk_fma_f32 v[8:9], v[8:9], v[110:111], v[10:11] op_sel_hi:[1,1,0]
	v_mov_b32_e32 v13, v9
	ds_load_2addr_b64 v[8:11], v104 offset0:31 offset1:32
	v_pk_add_f32 v[126:127], v[126:127], v[12:13] neg_lo:[0,1] neg_hi:[0,1]
	s_wait_dscnt 0x0
	v_pk_mul_f32 v[12:13], v[8:9], v[6:7] op_sel:[0,1]
	s_delay_alu instid0(VALU_DEP_1) | instskip(SKIP_1) | instid1(VALU_DEP_1)
	v_pk_fma_f32 v[14:15], v[8:9], v[4:5], v[12:13] op_sel:[0,0,1] op_sel_hi:[1,1,0] neg_lo:[0,0,1] neg_hi:[0,0,1]
	v_pk_fma_f32 v[8:9], v[8:9], v[4:5], v[12:13] op_sel:[0,0,1] op_sel_hi:[1,0,0]
	v_mov_b32_e32 v15, v9
	v_pk_mul_f32 v[8:9], v[10:11], v[6:7] op_sel:[0,1]
	s_delay_alu instid0(VALU_DEP_1) | instskip(SKIP_1) | instid1(VALU_DEP_1)
	v_pk_fma_f32 v[12:13], v[10:11], v[4:5], v[8:9] op_sel:[0,0,1] op_sel_hi:[1,1,0] neg_lo:[0,0,1] neg_hi:[0,0,1]
	v_pk_fma_f32 v[8:9], v[10:11], v[4:5], v[8:9] op_sel:[0,0,1] op_sel_hi:[1,0,0]
	v_mov_b32_e32 v13, v9
	ds_load_2addr_b64 v[8:11], v104 offset0:33 offset1:34
	v_pk_add_f32 v[122:123], v[122:123], v[14:15] neg_lo:[0,1] neg_hi:[0,1]
	v_pk_add_f32 v[146:147], v[146:147], v[12:13] neg_lo:[0,1] neg_hi:[0,1]
	s_wait_dscnt 0x0
	v_pk_mul_f32 v[12:13], v[8:9], v[6:7] op_sel:[0,1]
	s_delay_alu instid0(VALU_DEP_1) | instskip(SKIP_1) | instid1(VALU_DEP_1)
	v_pk_fma_f32 v[14:15], v[8:9], v[4:5], v[12:13] op_sel:[0,0,1] op_sel_hi:[1,1,0] neg_lo:[0,0,1] neg_hi:[0,0,1]
	v_pk_fma_f32 v[8:9], v[8:9], v[4:5], v[12:13] op_sel:[0,0,1] op_sel_hi:[1,0,0]
	v_mov_b32_e32 v15, v9
	v_pk_mul_f32 v[8:9], v[10:11], v[6:7] op_sel:[0,1]
	s_delay_alu instid0(VALU_DEP_1) | instskip(SKIP_1) | instid1(VALU_DEP_1)
	v_pk_fma_f32 v[12:13], v[10:11], v[4:5], v[8:9] op_sel:[0,0,1] op_sel_hi:[1,1,0] neg_lo:[0,0,1] neg_hi:[0,0,1]
	v_pk_fma_f32 v[8:9], v[10:11], v[4:5], v[8:9] op_sel:[0,0,1] op_sel_hi:[1,0,0]
	v_mov_b32_e32 v13, v9
	ds_load_2addr_b64 v[8:11], v104 offset0:35 offset1:36
	v_pk_add_f32 v[142:143], v[142:143], v[14:15] neg_lo:[0,1] neg_hi:[0,1]
	v_pk_add_f32 v[144:145], v[144:145], v[12:13] neg_lo:[0,1] neg_hi:[0,1]
	s_wait_dscnt 0x0
	v_dual_mul_f32 v12, v9, v7 :: v_dual_mul_f32 v14, v9, v4
	s_delay_alu instid0(VALU_DEP_1) | instskip(NEXT) | instid1(VALU_DEP_2)
	v_pk_fma_f32 v[12:13], v[8:9], v[110:111], v[12:13] op_sel_hi:[1,1,0] neg_lo:[0,0,1] neg_hi:[0,0,1]
	v_pk_fma_f32 v[8:9], v[8:9], v[110:111], v[14:15] op_sel:[1,0,0] op_sel_hi:[0,1,0]
	s_delay_alu instid0(VALU_DEP_1) | instskip(SKIP_1) | instid1(VALU_DEP_2)
	v_mov_b32_e32 v13, v9
	v_pk_mul_f32 v[8:9], v[10:11], v[6:7] op_sel:[0,1]
	v_pk_add_f32 v[140:141], v[140:141], v[12:13] neg_lo:[0,1] neg_hi:[0,1]
	s_delay_alu instid0(VALU_DEP_2) | instskip(SKIP_1) | instid1(VALU_DEP_1)
	v_pk_fma_f32 v[12:13], v[10:11], v[4:5], v[8:9] op_sel:[0,0,1] op_sel_hi:[1,1,0] neg_lo:[0,0,1] neg_hi:[0,0,1]
	v_pk_fma_f32 v[8:9], v[10:11], v[4:5], v[8:9] op_sel:[0,0,1] op_sel_hi:[1,0,0]
	v_mov_b32_e32 v13, v9
	ds_load_2addr_b64 v[8:11], v104 offset0:37 offset1:38
	v_pk_add_f32 v[162:163], v[162:163], v[12:13] neg_lo:[0,1] neg_hi:[0,1]
	s_wait_dscnt 0x0
	v_pk_mul_f32 v[12:13], v[8:9], v[6:7] op_sel:[0,1]
	s_delay_alu instid0(VALU_DEP_1) | instskip(SKIP_1) | instid1(VALU_DEP_1)
	v_pk_fma_f32 v[14:15], v[8:9], v[4:5], v[12:13] op_sel:[0,0,1] op_sel_hi:[1,1,0] neg_lo:[0,0,1] neg_hi:[0,0,1]
	v_pk_fma_f32 v[8:9], v[8:9], v[4:5], v[12:13] op_sel:[0,0,1] op_sel_hi:[1,0,0]
	v_mov_b32_e32 v15, v9
	v_pk_mul_f32 v[8:9], v[10:11], v[6:7] op_sel:[0,1]
	s_delay_alu instid0(VALU_DEP_2) | instskip(NEXT) | instid1(VALU_DEP_2)
	v_pk_add_f32 v[158:159], v[158:159], v[14:15] neg_lo:[0,1] neg_hi:[0,1]
	v_pk_fma_f32 v[12:13], v[10:11], v[4:5], v[8:9] op_sel:[0,0,1] op_sel_hi:[1,1,0] neg_lo:[0,0,1] neg_hi:[0,0,1]
	v_pk_fma_f32 v[8:9], v[10:11], v[4:5], v[8:9] op_sel:[0,0,1] op_sel_hi:[1,0,0]
	s_delay_alu instid0(VALU_DEP_1) | instskip(SKIP_4) | instid1(VALU_DEP_1)
	v_mov_b32_e32 v13, v9
	ds_load_2addr_b64 v[8:11], v104 offset0:39 offset1:40
	v_pk_add_f32 v[160:161], v[160:161], v[12:13] neg_lo:[0,1] neg_hi:[0,1]
	s_wait_dscnt 0x0
	v_pk_mul_f32 v[12:13], v[8:9], v[6:7] op_sel:[0,1]
	v_pk_fma_f32 v[14:15], v[8:9], v[4:5], v[12:13] op_sel:[0,0,1] op_sel_hi:[1,1,0] neg_lo:[0,0,1] neg_hi:[0,0,1]
	v_pk_fma_f32 v[8:9], v[8:9], v[4:5], v[12:13] op_sel:[0,0,1] op_sel_hi:[1,0,0]
	v_dual_mul_f32 v12, v11, v7 :: v_dual_mov_b32 v8, v11
	s_delay_alu instid0(VALU_DEP_2) | instskip(NEXT) | instid1(VALU_DEP_2)
	v_dual_mov_b32 v15, v9 :: v_dual_mov_b32 v9, v10
	v_pk_fma_f32 v[12:13], v[10:11], v[110:111], v[12:13] op_sel_hi:[1,1,0] neg_lo:[0,0,1] neg_hi:[0,0,1]
	v_mul_f32_e32 v10, v11, v4
	s_delay_alu instid0(VALU_DEP_3) | instskip(NEXT) | instid1(VALU_DEP_2)
	v_pk_add_f32 v[156:157], v[156:157], v[14:15] neg_lo:[0,1] neg_hi:[0,1]
	v_pk_fma_f32 v[8:9], v[8:9], v[110:111], v[10:11] op_sel_hi:[1,1,0]
	s_delay_alu instid0(VALU_DEP_1) | instskip(SKIP_4) | instid1(VALU_DEP_1)
	v_mov_b32_e32 v13, v9
	ds_load_2addr_b64 v[8:11], v104 offset0:41 offset1:42
	v_pk_add_f32 v[180:181], v[180:181], v[12:13] neg_lo:[0,1] neg_hi:[0,1]
	s_wait_dscnt 0x0
	v_pk_mul_f32 v[12:13], v[8:9], v[6:7] op_sel:[0,1]
	v_pk_fma_f32 v[14:15], v[8:9], v[4:5], v[12:13] op_sel:[0,0,1] op_sel_hi:[1,1,0] neg_lo:[0,0,1] neg_hi:[0,0,1]
	v_pk_fma_f32 v[8:9], v[8:9], v[4:5], v[12:13] op_sel:[0,0,1] op_sel_hi:[1,0,0]
	s_delay_alu instid0(VALU_DEP_1) | instskip(SKIP_1) | instid1(VALU_DEP_1)
	v_mov_b32_e32 v15, v9
	v_pk_mul_f32 v[8:9], v[10:11], v[6:7] op_sel:[0,1]
	v_pk_fma_f32 v[12:13], v[10:11], v[4:5], v[8:9] op_sel:[0,0,1] op_sel_hi:[1,1,0] neg_lo:[0,0,1] neg_hi:[0,0,1]
	v_pk_fma_f32 v[8:9], v[10:11], v[4:5], v[8:9] op_sel:[0,0,1] op_sel_hi:[1,0,0]
	s_delay_alu instid0(VALU_DEP_1)
	v_mov_b32_e32 v13, v9
	ds_load_2addr_b64 v[8:11], v104 offset0:43 offset1:44
	v_pk_add_f32 v[176:177], v[176:177], v[14:15] neg_lo:[0,1] neg_hi:[0,1]
	v_pk_add_f32 v[178:179], v[178:179], v[12:13] neg_lo:[0,1] neg_hi:[0,1]
	s_wait_dscnt 0x0
	v_pk_mul_f32 v[12:13], v[8:9], v[6:7] op_sel:[0,1]
	s_delay_alu instid0(VALU_DEP_1) | instskip(SKIP_1) | instid1(VALU_DEP_1)
	v_pk_fma_f32 v[14:15], v[8:9], v[4:5], v[12:13] op_sel:[0,0,1] op_sel_hi:[1,1,0] neg_lo:[0,0,1] neg_hi:[0,0,1]
	v_pk_fma_f32 v[8:9], v[8:9], v[4:5], v[12:13] op_sel:[0,0,1] op_sel_hi:[1,0,0]
	v_mov_b32_e32 v15, v9
	v_pk_mul_f32 v[8:9], v[10:11], v[6:7] op_sel:[0,1]
	s_delay_alu instid0(VALU_DEP_1) | instskip(SKIP_1) | instid1(VALU_DEP_1)
	v_pk_fma_f32 v[12:13], v[10:11], v[4:5], v[8:9] op_sel:[0,0,1] op_sel_hi:[1,1,0] neg_lo:[0,0,1] neg_hi:[0,0,1]
	v_pk_fma_f32 v[8:9], v[10:11], v[4:5], v[8:9] op_sel:[0,0,1] op_sel_hi:[1,0,0]
	v_mov_b32_e32 v13, v9
	ds_load_2addr_b64 v[8:11], v104 offset0:45 offset1:46
	v_pk_add_f32 v[174:175], v[174:175], v[14:15] neg_lo:[0,1] neg_hi:[0,1]
	v_pk_add_f32 v[200:201], v[200:201], v[12:13] neg_lo:[0,1] neg_hi:[0,1]
	s_wait_dscnt 0x0
	v_dual_mul_f32 v12, v9, v7 :: v_dual_mul_f32 v14, v9, v4
	s_delay_alu instid0(VALU_DEP_1) | instskip(NEXT) | instid1(VALU_DEP_2)
	v_pk_fma_f32 v[12:13], v[8:9], v[110:111], v[12:13] op_sel_hi:[1,1,0] neg_lo:[0,0,1] neg_hi:[0,0,1]
	v_pk_fma_f32 v[8:9], v[8:9], v[110:111], v[14:15] op_sel:[1,0,0] op_sel_hi:[0,1,0]
	s_delay_alu instid0(VALU_DEP_1) | instskip(SKIP_1) | instid1(VALU_DEP_2)
	v_mov_b32_e32 v13, v9
	v_pk_mul_f32 v[8:9], v[10:11], v[6:7] op_sel:[0,1]
	v_pk_add_f32 v[194:195], v[194:195], v[12:13] neg_lo:[0,1] neg_hi:[0,1]
	s_delay_alu instid0(VALU_DEP_2) | instskip(SKIP_1) | instid1(VALU_DEP_1)
	v_pk_fma_f32 v[12:13], v[10:11], v[4:5], v[8:9] op_sel:[0,0,1] op_sel_hi:[1,1,0] neg_lo:[0,0,1] neg_hi:[0,0,1]
	v_pk_fma_f32 v[8:9], v[10:11], v[4:5], v[8:9] op_sel:[0,0,1] op_sel_hi:[1,0,0]
	v_mov_b32_e32 v13, v9
	ds_load_2addr_b64 v[8:11], v104 offset0:47 offset1:48
	v_pk_add_f32 v[198:199], v[198:199], v[12:13] neg_lo:[0,1] neg_hi:[0,1]
	s_wait_dscnt 0x0
	v_pk_mul_f32 v[12:13], v[8:9], v[6:7] op_sel:[0,1]
	s_delay_alu instid0(VALU_DEP_1) | instskip(SKIP_1) | instid1(VALU_DEP_1)
	v_pk_fma_f32 v[14:15], v[8:9], v[4:5], v[12:13] op_sel:[0,0,1] op_sel_hi:[1,1,0] neg_lo:[0,0,1] neg_hi:[0,0,1]
	v_pk_fma_f32 v[8:9], v[8:9], v[4:5], v[12:13] op_sel:[0,0,1] op_sel_hi:[1,0,0]
	v_mov_b32_e32 v15, v9
	v_pk_mul_f32 v[8:9], v[10:11], v[6:7] op_sel:[0,1]
	s_delay_alu instid0(VALU_DEP_2) | instskip(NEXT) | instid1(VALU_DEP_2)
	v_pk_add_f32 v[192:193], v[192:193], v[14:15] neg_lo:[0,1] neg_hi:[0,1]
	v_pk_fma_f32 v[12:13], v[10:11], v[4:5], v[8:9] op_sel:[0,0,1] op_sel_hi:[1,1,0] neg_lo:[0,0,1] neg_hi:[0,0,1]
	v_pk_fma_f32 v[8:9], v[10:11], v[4:5], v[8:9] op_sel:[0,0,1] op_sel_hi:[1,0,0]
	s_delay_alu instid0(VALU_DEP_1)
	v_mov_b32_e32 v13, v9
	ds_load_2addr_b64 v[8:11], v104 offset0:49 offset1:50
	v_pk_add_f32 v[196:197], v[196:197], v[12:13] neg_lo:[0,1] neg_hi:[0,1]
	s_wait_dscnt 0x0
	v_pk_mul_f32 v[12:13], v[8:9], v[6:7] op_sel:[0,1]
	v_mul_f32_e32 v6, v11, v7
	s_delay_alu instid0(VALU_DEP_2) | instskip(SKIP_2) | instid1(VALU_DEP_4)
	v_pk_fma_f32 v[14:15], v[8:9], v[4:5], v[12:13] op_sel:[0,0,1] op_sel_hi:[1,1,0] neg_lo:[0,0,1] neg_hi:[0,0,1]
	v_pk_fma_f32 v[8:9], v[8:9], v[4:5], v[12:13] op_sel:[0,0,1] op_sel_hi:[1,0,0]
	v_dual_mov_b32 v8, v11 :: v_dual_mul_f32 v4, v11, v4
	v_pk_fma_f32 v[6:7], v[10:11], v[110:111], v[6:7] op_sel_hi:[1,1,0] neg_lo:[0,0,1] neg_hi:[0,0,1]
	s_delay_alu instid0(VALU_DEP_3) | instskip(NEXT) | instid1(VALU_DEP_1)
	v_dual_mov_b32 v15, v9 :: v_dual_mov_b32 v9, v10
	v_pk_add_f32 v[202:203], v[202:203], v[14:15] neg_lo:[0,1] neg_hi:[0,1]
	s_delay_alu instid0(VALU_DEP_2) | instskip(NEXT) | instid1(VALU_DEP_1)
	v_pk_fma_f32 v[4:5], v[8:9], v[110:111], v[4:5] op_sel_hi:[1,1,0]
	v_mov_b32_e32 v7, v5
	s_delay_alu instid0(VALU_DEP_1)
	v_pk_add_f32 v[204:205], v[204:205], v[6:7] neg_lo:[0,1] neg_hi:[0,1]
.LBB101_244:
	s_or_b32 exec_lo, exec_lo, s1
	s_delay_alu instid0(SALU_CYCLE_1)
	s_mov_b32 s2, exec_lo
	s_wait_dscnt 0x0
	s_barrier_signal -1
	s_barrier_wait -1
	v_cmpx_eq_u32_e32 27, v102
	s_cbranch_execz .LBB101_251
; %bb.245:
	v_dual_mov_b32 v4, v128 :: v_dual_mov_b32 v5, v129
	v_dual_mov_b32 v6, v124 :: v_dual_mov_b32 v7, v125
	ds_store_b64 v103, v[106:107]
	ds_store_2addr_b64 v104, v[4:5], v[6:7] offset0:28 offset1:29
	v_dual_mov_b32 v4, v126 :: v_dual_mov_b32 v5, v127
	v_dual_mov_b32 v6, v122 :: v_dual_mov_b32 v7, v123
	ds_store_2addr_b64 v104, v[4:5], v[6:7] offset0:30 offset1:31
	v_dual_mov_b32 v4, v146 :: v_dual_mov_b32 v5, v147
	v_dual_mov_b32 v6, v142 :: v_dual_mov_b32 v7, v143
	ds_store_2addr_b64 v104, v[4:5], v[6:7] offset0:32 offset1:33
	v_dual_mov_b32 v4, v144 :: v_dual_mov_b32 v5, v145
	v_dual_mov_b32 v6, v140 :: v_dual_mov_b32 v7, v141
	ds_store_2addr_b64 v104, v[4:5], v[6:7] offset0:34 offset1:35
	v_dual_mov_b32 v4, v162 :: v_dual_mov_b32 v5, v163
	v_dual_mov_b32 v6, v158 :: v_dual_mov_b32 v7, v159
	ds_store_2addr_b64 v104, v[4:5], v[6:7] offset0:36 offset1:37
	v_dual_mov_b32 v4, v160 :: v_dual_mov_b32 v5, v161
	v_dual_mov_b32 v6, v156 :: v_dual_mov_b32 v7, v157
	ds_store_2addr_b64 v104, v[4:5], v[6:7] offset0:38 offset1:39
	v_dual_mov_b32 v4, v180 :: v_dual_mov_b32 v5, v181
	v_dual_mov_b32 v6, v176 :: v_dual_mov_b32 v7, v177
	ds_store_2addr_b64 v104, v[4:5], v[6:7] offset0:40 offset1:41
	v_dual_mov_b32 v4, v178 :: v_dual_mov_b32 v5, v179
	v_dual_mov_b32 v6, v174 :: v_dual_mov_b32 v7, v175
	ds_store_2addr_b64 v104, v[4:5], v[6:7] offset0:42 offset1:43
	v_dual_mov_b32 v4, v200 :: v_dual_mov_b32 v5, v201
	v_dual_mov_b32 v6, v194 :: v_dual_mov_b32 v7, v195
	ds_store_2addr_b64 v104, v[4:5], v[6:7] offset0:44 offset1:45
	v_dual_mov_b32 v4, v198 :: v_dual_mov_b32 v5, v199
	v_dual_mov_b32 v6, v192 :: v_dual_mov_b32 v7, v193
	ds_store_2addr_b64 v104, v[4:5], v[6:7] offset0:46 offset1:47
	v_dual_mov_b32 v4, v196 :: v_dual_mov_b32 v5, v197
	v_dual_mov_b32 v6, v202 :: v_dual_mov_b32 v7, v203
	ds_store_2addr_b64 v104, v[4:5], v[6:7] offset0:48 offset1:49
	ds_store_b64 v104, v[204:205] offset:400
	ds_load_b64 v[4:5], v103
	s_wait_dscnt 0x0
	v_cmp_neq_f32_e32 vcc_lo, 0, v4
	v_cmp_neq_f32_e64 s1, 0, v5
	s_or_b32 s1, vcc_lo, s1
	s_delay_alu instid0(SALU_CYCLE_1)
	s_and_b32 exec_lo, exec_lo, s1
	s_cbranch_execz .LBB101_251
; %bb.246:
	v_cmp_ngt_f32_e64 s1, |v4|, |v5|
                                        ; implicit-def: $vgpr6_vgpr7
	s_and_saveexec_b32 s4, s1
	s_delay_alu instid0(SALU_CYCLE_1)
	s_xor_b32 s1, exec_lo, s4
	s_cbranch_execz .LBB101_248
; %bb.247:
	v_div_scale_f32 v6, null, v5, v5, v4
	v_div_scale_f32 v9, vcc_lo, v4, v5, v4
	s_delay_alu instid0(VALU_DEP_2) | instskip(SKIP_1) | instid1(TRANS32_DEP_1)
	v_rcp_f32_e32 v7, v6
	v_nop
	v_fma_f32 v8, -v6, v7, 1.0
	s_delay_alu instid0(VALU_DEP_1) | instskip(NEXT) | instid1(VALU_DEP_1)
	v_fmac_f32_e32 v7, v8, v7
	v_mul_f32_e32 v8, v9, v7
	s_delay_alu instid0(VALU_DEP_1) | instskip(NEXT) | instid1(VALU_DEP_1)
	v_fma_f32 v10, -v6, v8, v9
	v_fmac_f32_e32 v8, v10, v7
	s_delay_alu instid0(VALU_DEP_1) | instskip(NEXT) | instid1(VALU_DEP_1)
	v_fma_f32 v6, -v6, v8, v9
	v_div_fmas_f32 v6, v6, v7, v8
	s_delay_alu instid0(VALU_DEP_1) | instskip(NEXT) | instid1(VALU_DEP_1)
	v_div_fixup_f32 v6, v6, v5, v4
	v_fmac_f32_e32 v5, v4, v6
	s_delay_alu instid0(VALU_DEP_1) | instskip(SKIP_1) | instid1(VALU_DEP_2)
	v_div_scale_f32 v4, null, v5, v5, 1.0
	v_div_scale_f32 v9, vcc_lo, 1.0, v5, 1.0
	v_rcp_f32_e32 v7, v4
	v_nop
	s_delay_alu instid0(TRANS32_DEP_1) | instskip(NEXT) | instid1(VALU_DEP_1)
	v_fma_f32 v8, -v4, v7, 1.0
	v_fmac_f32_e32 v7, v8, v7
	s_delay_alu instid0(VALU_DEP_1) | instskip(NEXT) | instid1(VALU_DEP_1)
	v_mul_f32_e32 v8, v9, v7
	v_fma_f32 v10, -v4, v8, v9
	s_delay_alu instid0(VALU_DEP_1) | instskip(NEXT) | instid1(VALU_DEP_1)
	v_fmac_f32_e32 v8, v10, v7
	v_fma_f32 v4, -v4, v8, v9
	s_delay_alu instid0(VALU_DEP_1) | instskip(NEXT) | instid1(VALU_DEP_1)
	v_div_fmas_f32 v4, v4, v7, v8
	v_div_fixup_f32 v4, v4, v5, 1.0
	s_delay_alu instid0(VALU_DEP_1)
	v_mul_f32_e32 v6, v6, v4
	v_xor_b32_e32 v7, 0x80000000, v4
                                        ; implicit-def: $vgpr4_vgpr5
.LBB101_248:
	s_and_not1_saveexec_b32 s1, s1
	s_cbranch_execz .LBB101_250
; %bb.249:
	v_div_scale_f32 v6, null, v4, v4, v5
	v_div_scale_f32 v9, vcc_lo, v5, v4, v5
	s_delay_alu instid0(VALU_DEP_2) | instskip(SKIP_1) | instid1(TRANS32_DEP_1)
	v_rcp_f32_e32 v7, v6
	v_nop
	v_fma_f32 v8, -v6, v7, 1.0
	s_delay_alu instid0(VALU_DEP_1) | instskip(NEXT) | instid1(VALU_DEP_1)
	v_fmac_f32_e32 v7, v8, v7
	v_mul_f32_e32 v8, v9, v7
	s_delay_alu instid0(VALU_DEP_1) | instskip(NEXT) | instid1(VALU_DEP_1)
	v_fma_f32 v10, -v6, v8, v9
	v_fmac_f32_e32 v8, v10, v7
	s_delay_alu instid0(VALU_DEP_1) | instskip(NEXT) | instid1(VALU_DEP_1)
	v_fma_f32 v6, -v6, v8, v9
	v_div_fmas_f32 v6, v6, v7, v8
	s_delay_alu instid0(VALU_DEP_1) | instskip(NEXT) | instid1(VALU_DEP_1)
	v_div_fixup_f32 v7, v6, v4, v5
	v_fmac_f32_e32 v4, v5, v7
	s_delay_alu instid0(VALU_DEP_1) | instskip(NEXT) | instid1(VALU_DEP_1)
	v_div_scale_f32 v5, null, v4, v4, 1.0
	v_rcp_f32_e32 v6, v5
	v_nop
	s_delay_alu instid0(TRANS32_DEP_1) | instskip(NEXT) | instid1(VALU_DEP_1)
	v_fma_f32 v8, -v5, v6, 1.0
	v_fmac_f32_e32 v6, v8, v6
	v_div_scale_f32 v8, vcc_lo, 1.0, v4, 1.0
	s_delay_alu instid0(VALU_DEP_1) | instskip(NEXT) | instid1(VALU_DEP_1)
	v_mul_f32_e32 v9, v8, v6
	v_fma_f32 v10, -v5, v9, v8
	s_delay_alu instid0(VALU_DEP_1) | instskip(NEXT) | instid1(VALU_DEP_1)
	v_fmac_f32_e32 v9, v10, v6
	v_fma_f32 v5, -v5, v9, v8
	s_delay_alu instid0(VALU_DEP_1) | instskip(NEXT) | instid1(VALU_DEP_1)
	v_div_fmas_f32 v5, v5, v6, v9
	v_div_fixup_f32 v6, v5, v4, 1.0
	s_delay_alu instid0(VALU_DEP_1)
	v_mul_f32_e64 v7, v7, -v6
.LBB101_250:
	s_or_b32 exec_lo, exec_lo, s1
	ds_store_b64 v103, v[6:7]
.LBB101_251:
	s_or_b32 exec_lo, exec_lo, s2
	s_wait_dscnt 0x0
	s_barrier_signal -1
	s_barrier_wait -1
	ds_load_b64 v[4:5], v103
	s_mov_b32 s1, exec_lo
	v_cmpx_lt_u32_e32 27, v102
	s_cbranch_execz .LBB101_253
; %bb.252:
	ds_load_2addr_b64 v[10:13], v104 offset0:28 offset1:29
	s_wait_dscnt 0x1
	v_pk_mul_f32 v[8:9], v[4:5], v[106:107] op_sel:[1,1] op_sel_hi:[0,1]
	s_delay_alu instid0(VALU_DEP_1) | instskip(SKIP_1) | instid1(VALU_DEP_1)
	v_pk_fma_f32 v[6:7], v[4:5], v[106:107], v[8:9] op_sel_hi:[1,0,1] neg_lo:[0,0,1] neg_hi:[0,0,1]
	v_pk_fma_f32 v[8:9], v[4:5], v[106:107], v[8:9] op_sel_hi:[1,0,1]
	v_dual_mov_b32 v106, v6 :: v_dual_mov_b32 v107, v9
	s_wait_dscnt 0x0
	s_delay_alu instid0(VALU_DEP_2) | instskip(NEXT) | instid1(VALU_DEP_1)
	v_pk_mul_f32 v[14:15], v[10:11], v[8:9] op_sel:[0,1]
	v_pk_fma_f32 v[18:19], v[10:11], v[6:7], v[14:15] op_sel:[0,0,1] op_sel_hi:[1,1,0] neg_lo:[0,0,1] neg_hi:[0,0,1]
	v_pk_fma_f32 v[10:11], v[10:11], v[6:7], v[14:15] op_sel:[0,0,1] op_sel_hi:[1,0,0]
	s_delay_alu instid0(VALU_DEP_1) | instskip(SKIP_1) | instid1(VALU_DEP_1)
	v_mov_b32_e32 v19, v11
	v_pk_mul_f32 v[10:11], v[12:13], v[8:9] op_sel:[0,1]
	v_pk_fma_f32 v[14:15], v[12:13], v[6:7], v[10:11] op_sel:[0,0,1] op_sel_hi:[1,1,0] neg_lo:[0,0,1] neg_hi:[0,0,1]
	v_pk_fma_f32 v[10:11], v[12:13], v[6:7], v[10:11] op_sel:[0,0,1] op_sel_hi:[1,0,0]
	s_delay_alu instid0(VALU_DEP_1)
	v_mov_b32_e32 v15, v11
	ds_load_2addr_b64 v[10:13], v104 offset0:30 offset1:31
	v_pk_add_f32 v[128:129], v[128:129], v[18:19] neg_lo:[0,1] neg_hi:[0,1]
	v_pk_add_f32 v[124:125], v[124:125], v[14:15] neg_lo:[0,1] neg_hi:[0,1]
	s_wait_dscnt 0x0
	v_pk_mul_f32 v[14:15], v[10:11], v[8:9] op_sel:[0,1]
	s_delay_alu instid0(VALU_DEP_1) | instskip(SKIP_2) | instid1(VALU_DEP_2)
	v_pk_fma_f32 v[18:19], v[10:11], v[6:7], v[14:15] op_sel:[0,0,1] op_sel_hi:[1,1,0] neg_lo:[0,0,1] neg_hi:[0,0,1]
	v_pk_fma_f32 v[10:11], v[10:11], v[6:7], v[14:15] op_sel:[0,0,1] op_sel_hi:[1,0,0]
	v_dual_mul_f32 v14, v13, v9 :: v_dual_mov_b32 v10, v13
	v_dual_mov_b32 v19, v11 :: v_dual_mov_b32 v11, v12
	s_delay_alu instid0(VALU_DEP_2) | instskip(SKIP_1) | instid1(VALU_DEP_3)
	v_pk_fma_f32 v[14:15], v[12:13], v[106:107], v[14:15] op_sel_hi:[1,1,0] neg_lo:[0,0,1] neg_hi:[0,0,1]
	v_mul_f32_e32 v12, v13, v6
	v_pk_add_f32 v[126:127], v[126:127], v[18:19] neg_lo:[0,1] neg_hi:[0,1]
	s_delay_alu instid0(VALU_DEP_2) | instskip(NEXT) | instid1(VALU_DEP_1)
	v_pk_fma_f32 v[10:11], v[10:11], v[106:107], v[12:13] op_sel_hi:[1,1,0]
	v_mov_b32_e32 v15, v11
	ds_load_2addr_b64 v[10:13], v104 offset0:32 offset1:33
	v_pk_add_f32 v[122:123], v[122:123], v[14:15] neg_lo:[0,1] neg_hi:[0,1]
	s_wait_dscnt 0x0
	v_pk_mul_f32 v[14:15], v[10:11], v[8:9] op_sel:[0,1]
	s_delay_alu instid0(VALU_DEP_1) | instskip(SKIP_1) | instid1(VALU_DEP_1)
	v_pk_fma_f32 v[18:19], v[10:11], v[6:7], v[14:15] op_sel:[0,0,1] op_sel_hi:[1,1,0] neg_lo:[0,0,1] neg_hi:[0,0,1]
	v_pk_fma_f32 v[10:11], v[10:11], v[6:7], v[14:15] op_sel:[0,0,1] op_sel_hi:[1,0,0]
	v_mov_b32_e32 v19, v11
	v_pk_mul_f32 v[10:11], v[12:13], v[8:9] op_sel:[0,1]
	s_delay_alu instid0(VALU_DEP_1) | instskip(SKIP_1) | instid1(VALU_DEP_1)
	v_pk_fma_f32 v[14:15], v[12:13], v[6:7], v[10:11] op_sel:[0,0,1] op_sel_hi:[1,1,0] neg_lo:[0,0,1] neg_hi:[0,0,1]
	v_pk_fma_f32 v[10:11], v[12:13], v[6:7], v[10:11] op_sel:[0,0,1] op_sel_hi:[1,0,0]
	v_mov_b32_e32 v15, v11
	ds_load_2addr_b64 v[10:13], v104 offset0:34 offset1:35
	v_pk_add_f32 v[146:147], v[146:147], v[18:19] neg_lo:[0,1] neg_hi:[0,1]
	v_pk_add_f32 v[142:143], v[142:143], v[14:15] neg_lo:[0,1] neg_hi:[0,1]
	s_wait_dscnt 0x0
	v_pk_mul_f32 v[14:15], v[10:11], v[8:9] op_sel:[0,1]
	s_delay_alu instid0(VALU_DEP_1) | instskip(SKIP_1) | instid1(VALU_DEP_1)
	v_pk_fma_f32 v[18:19], v[10:11], v[6:7], v[14:15] op_sel:[0,0,1] op_sel_hi:[1,1,0] neg_lo:[0,0,1] neg_hi:[0,0,1]
	v_pk_fma_f32 v[10:11], v[10:11], v[6:7], v[14:15] op_sel:[0,0,1] op_sel_hi:[1,0,0]
	v_mov_b32_e32 v19, v11
	v_pk_mul_f32 v[10:11], v[12:13], v[8:9] op_sel:[0,1]
	s_delay_alu instid0(VALU_DEP_1) | instskip(SKIP_1) | instid1(VALU_DEP_1)
	v_pk_fma_f32 v[14:15], v[12:13], v[6:7], v[10:11] op_sel:[0,0,1] op_sel_hi:[1,1,0] neg_lo:[0,0,1] neg_hi:[0,0,1]
	v_pk_fma_f32 v[10:11], v[12:13], v[6:7], v[10:11] op_sel:[0,0,1] op_sel_hi:[1,0,0]
	v_mov_b32_e32 v15, v11
	ds_load_2addr_b64 v[10:13], v104 offset0:36 offset1:37
	v_pk_add_f32 v[144:145], v[144:145], v[18:19] neg_lo:[0,1] neg_hi:[0,1]
	v_pk_add_f32 v[140:141], v[140:141], v[14:15] neg_lo:[0,1] neg_hi:[0,1]
	s_wait_dscnt 0x0
	v_dual_mul_f32 v14, v11, v9 :: v_dual_mul_f32 v18, v11, v6
	s_delay_alu instid0(VALU_DEP_1) | instskip(NEXT) | instid1(VALU_DEP_2)
	v_pk_fma_f32 v[14:15], v[10:11], v[106:107], v[14:15] op_sel_hi:[1,1,0] neg_lo:[0,0,1] neg_hi:[0,0,1]
	v_pk_fma_f32 v[10:11], v[10:11], v[106:107], v[18:19] op_sel:[1,0,0] op_sel_hi:[0,1,0]
	s_delay_alu instid0(VALU_DEP_1) | instskip(SKIP_1) | instid1(VALU_DEP_2)
	v_mov_b32_e32 v15, v11
	v_pk_mul_f32 v[10:11], v[12:13], v[8:9] op_sel:[0,1]
	v_pk_add_f32 v[162:163], v[162:163], v[14:15] neg_lo:[0,1] neg_hi:[0,1]
	s_delay_alu instid0(VALU_DEP_2) | instskip(SKIP_1) | instid1(VALU_DEP_1)
	v_pk_fma_f32 v[14:15], v[12:13], v[6:7], v[10:11] op_sel:[0,0,1] op_sel_hi:[1,1,0] neg_lo:[0,0,1] neg_hi:[0,0,1]
	v_pk_fma_f32 v[10:11], v[12:13], v[6:7], v[10:11] op_sel:[0,0,1] op_sel_hi:[1,0,0]
	v_mov_b32_e32 v15, v11
	ds_load_2addr_b64 v[10:13], v104 offset0:38 offset1:39
	v_pk_add_f32 v[158:159], v[158:159], v[14:15] neg_lo:[0,1] neg_hi:[0,1]
	s_wait_dscnt 0x0
	v_pk_mul_f32 v[14:15], v[10:11], v[8:9] op_sel:[0,1]
	s_delay_alu instid0(VALU_DEP_1) | instskip(SKIP_1) | instid1(VALU_DEP_1)
	v_pk_fma_f32 v[18:19], v[10:11], v[6:7], v[14:15] op_sel:[0,0,1] op_sel_hi:[1,1,0] neg_lo:[0,0,1] neg_hi:[0,0,1]
	v_pk_fma_f32 v[10:11], v[10:11], v[6:7], v[14:15] op_sel:[0,0,1] op_sel_hi:[1,0,0]
	v_mov_b32_e32 v19, v11
	v_pk_mul_f32 v[10:11], v[12:13], v[8:9] op_sel:[0,1]
	s_delay_alu instid0(VALU_DEP_2) | instskip(NEXT) | instid1(VALU_DEP_2)
	v_pk_add_f32 v[160:161], v[160:161], v[18:19] neg_lo:[0,1] neg_hi:[0,1]
	v_pk_fma_f32 v[14:15], v[12:13], v[6:7], v[10:11] op_sel:[0,0,1] op_sel_hi:[1,1,0] neg_lo:[0,0,1] neg_hi:[0,0,1]
	v_pk_fma_f32 v[10:11], v[12:13], v[6:7], v[10:11] op_sel:[0,0,1] op_sel_hi:[1,0,0]
	s_delay_alu instid0(VALU_DEP_1) | instskip(SKIP_4) | instid1(VALU_DEP_1)
	v_mov_b32_e32 v15, v11
	ds_load_2addr_b64 v[10:13], v104 offset0:40 offset1:41
	v_pk_add_f32 v[156:157], v[156:157], v[14:15] neg_lo:[0,1] neg_hi:[0,1]
	s_wait_dscnt 0x0
	v_pk_mul_f32 v[14:15], v[10:11], v[8:9] op_sel:[0,1]
	v_pk_fma_f32 v[18:19], v[10:11], v[6:7], v[14:15] op_sel:[0,0,1] op_sel_hi:[1,1,0] neg_lo:[0,0,1] neg_hi:[0,0,1]
	v_pk_fma_f32 v[10:11], v[10:11], v[6:7], v[14:15] op_sel:[0,0,1] op_sel_hi:[1,0,0]
	v_dual_mul_f32 v14, v13, v9 :: v_dual_mov_b32 v10, v13
	s_delay_alu instid0(VALU_DEP_2) | instskip(NEXT) | instid1(VALU_DEP_2)
	v_dual_mov_b32 v19, v11 :: v_dual_mov_b32 v11, v12
	v_pk_fma_f32 v[14:15], v[12:13], v[106:107], v[14:15] op_sel_hi:[1,1,0] neg_lo:[0,0,1] neg_hi:[0,0,1]
	v_mul_f32_e32 v12, v13, v6
	s_delay_alu instid0(VALU_DEP_3) | instskip(NEXT) | instid1(VALU_DEP_2)
	v_pk_add_f32 v[180:181], v[180:181], v[18:19] neg_lo:[0,1] neg_hi:[0,1]
	v_pk_fma_f32 v[10:11], v[10:11], v[106:107], v[12:13] op_sel_hi:[1,1,0]
	s_delay_alu instid0(VALU_DEP_1) | instskip(SKIP_4) | instid1(VALU_DEP_1)
	v_mov_b32_e32 v15, v11
	ds_load_2addr_b64 v[10:13], v104 offset0:42 offset1:43
	v_pk_add_f32 v[176:177], v[176:177], v[14:15] neg_lo:[0,1] neg_hi:[0,1]
	s_wait_dscnt 0x0
	v_pk_mul_f32 v[14:15], v[10:11], v[8:9] op_sel:[0,1]
	v_pk_fma_f32 v[18:19], v[10:11], v[6:7], v[14:15] op_sel:[0,0,1] op_sel_hi:[1,1,0] neg_lo:[0,0,1] neg_hi:[0,0,1]
	v_pk_fma_f32 v[10:11], v[10:11], v[6:7], v[14:15] op_sel:[0,0,1] op_sel_hi:[1,0,0]
	s_delay_alu instid0(VALU_DEP_1) | instskip(SKIP_1) | instid1(VALU_DEP_1)
	v_mov_b32_e32 v19, v11
	v_pk_mul_f32 v[10:11], v[12:13], v[8:9] op_sel:[0,1]
	v_pk_fma_f32 v[14:15], v[12:13], v[6:7], v[10:11] op_sel:[0,0,1] op_sel_hi:[1,1,0] neg_lo:[0,0,1] neg_hi:[0,0,1]
	v_pk_fma_f32 v[10:11], v[12:13], v[6:7], v[10:11] op_sel:[0,0,1] op_sel_hi:[1,0,0]
	s_delay_alu instid0(VALU_DEP_1)
	v_mov_b32_e32 v15, v11
	ds_load_2addr_b64 v[10:13], v104 offset0:44 offset1:45
	v_pk_add_f32 v[178:179], v[178:179], v[18:19] neg_lo:[0,1] neg_hi:[0,1]
	v_pk_add_f32 v[174:175], v[174:175], v[14:15] neg_lo:[0,1] neg_hi:[0,1]
	s_wait_dscnt 0x0
	v_pk_mul_f32 v[14:15], v[10:11], v[8:9] op_sel:[0,1]
	s_delay_alu instid0(VALU_DEP_1) | instskip(SKIP_1) | instid1(VALU_DEP_1)
	v_pk_fma_f32 v[18:19], v[10:11], v[6:7], v[14:15] op_sel:[0,0,1] op_sel_hi:[1,1,0] neg_lo:[0,0,1] neg_hi:[0,0,1]
	v_pk_fma_f32 v[10:11], v[10:11], v[6:7], v[14:15] op_sel:[0,0,1] op_sel_hi:[1,0,0]
	v_mov_b32_e32 v19, v11
	v_pk_mul_f32 v[10:11], v[12:13], v[8:9] op_sel:[0,1]
	s_delay_alu instid0(VALU_DEP_1) | instskip(SKIP_1) | instid1(VALU_DEP_1)
	v_pk_fma_f32 v[14:15], v[12:13], v[6:7], v[10:11] op_sel:[0,0,1] op_sel_hi:[1,1,0] neg_lo:[0,0,1] neg_hi:[0,0,1]
	v_pk_fma_f32 v[10:11], v[12:13], v[6:7], v[10:11] op_sel:[0,0,1] op_sel_hi:[1,0,0]
	v_mov_b32_e32 v15, v11
	ds_load_2addr_b64 v[10:13], v104 offset0:46 offset1:47
	v_pk_add_f32 v[200:201], v[200:201], v[18:19] neg_lo:[0,1] neg_hi:[0,1]
	v_pk_add_f32 v[194:195], v[194:195], v[14:15] neg_lo:[0,1] neg_hi:[0,1]
	s_wait_dscnt 0x0
	v_dual_mul_f32 v14, v11, v9 :: v_dual_mul_f32 v18, v11, v6
	s_delay_alu instid0(VALU_DEP_1) | instskip(NEXT) | instid1(VALU_DEP_2)
	v_pk_fma_f32 v[14:15], v[10:11], v[106:107], v[14:15] op_sel_hi:[1,1,0] neg_lo:[0,0,1] neg_hi:[0,0,1]
	v_pk_fma_f32 v[10:11], v[10:11], v[106:107], v[18:19] op_sel:[1,0,0] op_sel_hi:[0,1,0]
	s_delay_alu instid0(VALU_DEP_1) | instskip(SKIP_1) | instid1(VALU_DEP_2)
	v_mov_b32_e32 v15, v11
	v_pk_mul_f32 v[10:11], v[12:13], v[8:9] op_sel:[0,1]
	v_pk_add_f32 v[198:199], v[198:199], v[14:15] neg_lo:[0,1] neg_hi:[0,1]
	s_delay_alu instid0(VALU_DEP_2) | instskip(SKIP_1) | instid1(VALU_DEP_1)
	v_pk_fma_f32 v[14:15], v[12:13], v[6:7], v[10:11] op_sel:[0,0,1] op_sel_hi:[1,1,0] neg_lo:[0,0,1] neg_hi:[0,0,1]
	v_pk_fma_f32 v[10:11], v[12:13], v[6:7], v[10:11] op_sel:[0,0,1] op_sel_hi:[1,0,0]
	v_mov_b32_e32 v15, v11
	ds_load_2addr_b64 v[10:13], v104 offset0:48 offset1:49
	v_pk_add_f32 v[192:193], v[192:193], v[14:15] neg_lo:[0,1] neg_hi:[0,1]
	s_wait_dscnt 0x0
	v_pk_mul_f32 v[14:15], v[10:11], v[8:9] op_sel:[0,1]
	s_delay_alu instid0(VALU_DEP_1) | instskip(SKIP_1) | instid1(VALU_DEP_1)
	v_pk_fma_f32 v[18:19], v[10:11], v[6:7], v[14:15] op_sel:[0,0,1] op_sel_hi:[1,1,0] neg_lo:[0,0,1] neg_hi:[0,0,1]
	v_pk_fma_f32 v[10:11], v[10:11], v[6:7], v[14:15] op_sel:[0,0,1] op_sel_hi:[1,0,0]
	v_mov_b32_e32 v19, v11
	v_pk_mul_f32 v[10:11], v[12:13], v[8:9] op_sel:[0,1]
	s_delay_alu instid0(VALU_DEP_2) | instskip(NEXT) | instid1(VALU_DEP_2)
	v_pk_add_f32 v[196:197], v[196:197], v[18:19] neg_lo:[0,1] neg_hi:[0,1]
	v_pk_fma_f32 v[14:15], v[12:13], v[6:7], v[10:11] op_sel:[0,0,1] op_sel_hi:[1,1,0] neg_lo:[0,0,1] neg_hi:[0,0,1]
	v_pk_fma_f32 v[10:11], v[12:13], v[6:7], v[10:11] op_sel:[0,0,1] op_sel_hi:[1,0,0]
	s_delay_alu instid0(VALU_DEP_1) | instskip(SKIP_4) | instid1(VALU_DEP_1)
	v_mov_b32_e32 v15, v11
	ds_load_b64 v[10:11], v104 offset:400
	v_pk_add_f32 v[202:203], v[202:203], v[14:15] neg_lo:[0,1] neg_hi:[0,1]
	s_wait_dscnt 0x0
	v_pk_mul_f32 v[8:9], v[10:11], v[8:9] op_sel:[0,1]
	v_pk_fma_f32 v[12:13], v[10:11], v[6:7], v[8:9] op_sel:[0,0,1] op_sel_hi:[1,1,0] neg_lo:[0,0,1] neg_hi:[0,0,1]
	v_pk_fma_f32 v[6:7], v[10:11], v[6:7], v[8:9] op_sel:[0,0,1] op_sel_hi:[1,0,0]
	s_delay_alu instid0(VALU_DEP_1) | instskip(NEXT) | instid1(VALU_DEP_1)
	v_mov_b32_e32 v13, v7
	v_pk_add_f32 v[204:205], v[204:205], v[12:13] neg_lo:[0,1] neg_hi:[0,1]
.LBB101_253:
	s_or_b32 exec_lo, exec_lo, s1
	s_delay_alu instid0(SALU_CYCLE_1)
	s_mov_b32 s2, exec_lo
	s_wait_dscnt 0x0
	s_barrier_signal -1
	s_barrier_wait -1
	v_cmpx_eq_u32_e32 28, v102
	s_cbranch_execz .LBB101_260
; %bb.254:
	ds_store_b64 v103, v[128:129]
	ds_store_2addr_b64 v104, v[124:125], v[126:127] offset0:29 offset1:30
	ds_store_2addr_b64 v104, v[122:123], v[146:147] offset0:31 offset1:32
	;; [unrolled: 1-line block ×11, first 2 shown]
	ds_load_b64 v[6:7], v103
	s_wait_dscnt 0x0
	v_cmp_neq_f32_e32 vcc_lo, 0, v6
	v_cmp_neq_f32_e64 s1, 0, v7
	s_or_b32 s1, vcc_lo, s1
	s_delay_alu instid0(SALU_CYCLE_1)
	s_and_b32 exec_lo, exec_lo, s1
	s_cbranch_execz .LBB101_260
; %bb.255:
	v_cmp_ngt_f32_e64 s1, |v6|, |v7|
                                        ; implicit-def: $vgpr8_vgpr9
	s_and_saveexec_b32 s4, s1
	s_delay_alu instid0(SALU_CYCLE_1)
	s_xor_b32 s1, exec_lo, s4
	s_cbranch_execz .LBB101_257
; %bb.256:
	v_div_scale_f32 v8, null, v7, v7, v6
	v_div_scale_f32 v11, vcc_lo, v6, v7, v6
	s_delay_alu instid0(VALU_DEP_2) | instskip(SKIP_1) | instid1(TRANS32_DEP_1)
	v_rcp_f32_e32 v9, v8
	v_nop
	v_fma_f32 v10, -v8, v9, 1.0
	s_delay_alu instid0(VALU_DEP_1) | instskip(NEXT) | instid1(VALU_DEP_1)
	v_fmac_f32_e32 v9, v10, v9
	v_mul_f32_e32 v10, v11, v9
	s_delay_alu instid0(VALU_DEP_1) | instskip(NEXT) | instid1(VALU_DEP_1)
	v_fma_f32 v12, -v8, v10, v11
	v_fmac_f32_e32 v10, v12, v9
	s_delay_alu instid0(VALU_DEP_1) | instskip(NEXT) | instid1(VALU_DEP_1)
	v_fma_f32 v8, -v8, v10, v11
	v_div_fmas_f32 v8, v8, v9, v10
	s_delay_alu instid0(VALU_DEP_1) | instskip(NEXT) | instid1(VALU_DEP_1)
	v_div_fixup_f32 v8, v8, v7, v6
	v_fmac_f32_e32 v7, v6, v8
	s_delay_alu instid0(VALU_DEP_1) | instskip(SKIP_1) | instid1(VALU_DEP_2)
	v_div_scale_f32 v6, null, v7, v7, 1.0
	v_div_scale_f32 v11, vcc_lo, 1.0, v7, 1.0
	v_rcp_f32_e32 v9, v6
	v_nop
	s_delay_alu instid0(TRANS32_DEP_1) | instskip(NEXT) | instid1(VALU_DEP_1)
	v_fma_f32 v10, -v6, v9, 1.0
	v_fmac_f32_e32 v9, v10, v9
	s_delay_alu instid0(VALU_DEP_1) | instskip(NEXT) | instid1(VALU_DEP_1)
	v_mul_f32_e32 v10, v11, v9
	v_fma_f32 v12, -v6, v10, v11
	s_delay_alu instid0(VALU_DEP_1) | instskip(NEXT) | instid1(VALU_DEP_1)
	v_fmac_f32_e32 v10, v12, v9
	v_fma_f32 v6, -v6, v10, v11
	s_delay_alu instid0(VALU_DEP_1) | instskip(NEXT) | instid1(VALU_DEP_1)
	v_div_fmas_f32 v6, v6, v9, v10
	v_div_fixup_f32 v6, v6, v7, 1.0
	s_delay_alu instid0(VALU_DEP_1)
	v_mul_f32_e32 v8, v8, v6
	v_xor_b32_e32 v9, 0x80000000, v6
                                        ; implicit-def: $vgpr6_vgpr7
.LBB101_257:
	s_and_not1_saveexec_b32 s1, s1
	s_cbranch_execz .LBB101_259
; %bb.258:
	v_div_scale_f32 v8, null, v6, v6, v7
	v_div_scale_f32 v11, vcc_lo, v7, v6, v7
	s_delay_alu instid0(VALU_DEP_2) | instskip(SKIP_1) | instid1(TRANS32_DEP_1)
	v_rcp_f32_e32 v9, v8
	v_nop
	v_fma_f32 v10, -v8, v9, 1.0
	s_delay_alu instid0(VALU_DEP_1) | instskip(NEXT) | instid1(VALU_DEP_1)
	v_fmac_f32_e32 v9, v10, v9
	v_mul_f32_e32 v10, v11, v9
	s_delay_alu instid0(VALU_DEP_1) | instskip(NEXT) | instid1(VALU_DEP_1)
	v_fma_f32 v12, -v8, v10, v11
	v_fmac_f32_e32 v10, v12, v9
	s_delay_alu instid0(VALU_DEP_1) | instskip(NEXT) | instid1(VALU_DEP_1)
	v_fma_f32 v8, -v8, v10, v11
	v_div_fmas_f32 v8, v8, v9, v10
	s_delay_alu instid0(VALU_DEP_1) | instskip(NEXT) | instid1(VALU_DEP_1)
	v_div_fixup_f32 v9, v8, v6, v7
	v_fmac_f32_e32 v6, v7, v9
	s_delay_alu instid0(VALU_DEP_1) | instskip(NEXT) | instid1(VALU_DEP_1)
	v_div_scale_f32 v7, null, v6, v6, 1.0
	v_rcp_f32_e32 v8, v7
	v_nop
	s_delay_alu instid0(TRANS32_DEP_1) | instskip(NEXT) | instid1(VALU_DEP_1)
	v_fma_f32 v10, -v7, v8, 1.0
	v_fmac_f32_e32 v8, v10, v8
	v_div_scale_f32 v10, vcc_lo, 1.0, v6, 1.0
	s_delay_alu instid0(VALU_DEP_1) | instskip(NEXT) | instid1(VALU_DEP_1)
	v_mul_f32_e32 v11, v10, v8
	v_fma_f32 v12, -v7, v11, v10
	s_delay_alu instid0(VALU_DEP_1) | instskip(NEXT) | instid1(VALU_DEP_1)
	v_fmac_f32_e32 v11, v12, v8
	v_fma_f32 v7, -v7, v11, v10
	s_delay_alu instid0(VALU_DEP_1) | instskip(NEXT) | instid1(VALU_DEP_1)
	v_div_fmas_f32 v7, v7, v8, v11
	v_div_fixup_f32 v8, v7, v6, 1.0
	s_delay_alu instid0(VALU_DEP_1)
	v_mul_f32_e64 v9, v9, -v8
.LBB101_259:
	s_or_b32 exec_lo, exec_lo, s1
	ds_store_b64 v103, v[8:9]
.LBB101_260:
	s_or_b32 exec_lo, exec_lo, s2
	s_wait_dscnt 0x0
	s_barrier_signal -1
	s_barrier_wait -1
	ds_load_b64 v[6:7], v103
	s_mov_b32 s1, exec_lo
	v_cmpx_lt_u32_e32 28, v102
	s_cbranch_execz .LBB101_262
; %bb.261:
	ds_load_2addr_b64 v[12:15], v104 offset0:29 offset1:30
	s_wait_dscnt 0x1
	v_pk_mul_f32 v[10:11], v[6:7], v[128:129] op_sel:[1,1] op_sel_hi:[0,1]
	s_delay_alu instid0(VALU_DEP_1) | instskip(SKIP_1) | instid1(VALU_DEP_1)
	v_pk_fma_f32 v[8:9], v[6:7], v[128:129], v[10:11] op_sel_hi:[1,0,1] neg_lo:[0,0,1] neg_hi:[0,0,1]
	v_pk_fma_f32 v[10:11], v[6:7], v[128:129], v[10:11] op_sel_hi:[1,0,1]
	v_dual_mov_b32 v128, v8 :: v_dual_mov_b32 v129, v11
	s_wait_dscnt 0x0
	s_delay_alu instid0(VALU_DEP_2) | instskip(NEXT) | instid1(VALU_DEP_1)
	v_pk_mul_f32 v[18:19], v[12:13], v[10:11] op_sel:[0,1]
	v_pk_fma_f32 v[28:29], v[12:13], v[8:9], v[18:19] op_sel:[0,0,1] op_sel_hi:[1,1,0] neg_lo:[0,0,1] neg_hi:[0,0,1]
	v_pk_fma_f32 v[12:13], v[12:13], v[8:9], v[18:19] op_sel:[0,0,1] op_sel_hi:[1,0,0]
	s_delay_alu instid0(VALU_DEP_1) | instskip(SKIP_1) | instid1(VALU_DEP_1)
	v_mov_b32_e32 v29, v13
	v_pk_mul_f32 v[12:13], v[14:15], v[10:11] op_sel:[0,1]
	v_pk_fma_f32 v[18:19], v[14:15], v[8:9], v[12:13] op_sel:[0,0,1] op_sel_hi:[1,1,0] neg_lo:[0,0,1] neg_hi:[0,0,1]
	v_pk_fma_f32 v[12:13], v[14:15], v[8:9], v[12:13] op_sel:[0,0,1] op_sel_hi:[1,0,0]
	s_delay_alu instid0(VALU_DEP_1)
	v_mov_b32_e32 v19, v13
	ds_load_2addr_b64 v[12:15], v104 offset0:31 offset1:32
	v_pk_add_f32 v[124:125], v[124:125], v[28:29] neg_lo:[0,1] neg_hi:[0,1]
	v_pk_add_f32 v[126:127], v[126:127], v[18:19] neg_lo:[0,1] neg_hi:[0,1]
	s_wait_dscnt 0x0
	v_pk_mul_f32 v[18:19], v[12:13], v[10:11] op_sel:[0,1]
	s_delay_alu instid0(VALU_DEP_1) | instskip(SKIP_2) | instid1(VALU_DEP_2)
	v_pk_fma_f32 v[28:29], v[12:13], v[8:9], v[18:19] op_sel:[0,0,1] op_sel_hi:[1,1,0] neg_lo:[0,0,1] neg_hi:[0,0,1]
	v_pk_fma_f32 v[12:13], v[12:13], v[8:9], v[18:19] op_sel:[0,0,1] op_sel_hi:[1,0,0]
	v_dual_mul_f32 v18, v15, v11 :: v_dual_mov_b32 v12, v15
	v_dual_mov_b32 v29, v13 :: v_dual_mov_b32 v13, v14
	s_delay_alu instid0(VALU_DEP_2) | instskip(SKIP_1) | instid1(VALU_DEP_3)
	v_pk_fma_f32 v[18:19], v[14:15], v[128:129], v[18:19] op_sel_hi:[1,1,0] neg_lo:[0,0,1] neg_hi:[0,0,1]
	v_mul_f32_e32 v14, v15, v8
	v_pk_add_f32 v[122:123], v[122:123], v[28:29] neg_lo:[0,1] neg_hi:[0,1]
	s_delay_alu instid0(VALU_DEP_2) | instskip(NEXT) | instid1(VALU_DEP_1)
	v_pk_fma_f32 v[12:13], v[12:13], v[128:129], v[14:15] op_sel_hi:[1,1,0]
	v_mov_b32_e32 v19, v13
	ds_load_2addr_b64 v[12:15], v104 offset0:33 offset1:34
	v_pk_add_f32 v[146:147], v[146:147], v[18:19] neg_lo:[0,1] neg_hi:[0,1]
	s_wait_dscnt 0x0
	v_pk_mul_f32 v[18:19], v[12:13], v[10:11] op_sel:[0,1]
	s_delay_alu instid0(VALU_DEP_1) | instskip(SKIP_1) | instid1(VALU_DEP_1)
	v_pk_fma_f32 v[28:29], v[12:13], v[8:9], v[18:19] op_sel:[0,0,1] op_sel_hi:[1,1,0] neg_lo:[0,0,1] neg_hi:[0,0,1]
	v_pk_fma_f32 v[12:13], v[12:13], v[8:9], v[18:19] op_sel:[0,0,1] op_sel_hi:[1,0,0]
	v_mov_b32_e32 v29, v13
	v_pk_mul_f32 v[12:13], v[14:15], v[10:11] op_sel:[0,1]
	s_delay_alu instid0(VALU_DEP_1) | instskip(SKIP_1) | instid1(VALU_DEP_1)
	v_pk_fma_f32 v[18:19], v[14:15], v[8:9], v[12:13] op_sel:[0,0,1] op_sel_hi:[1,1,0] neg_lo:[0,0,1] neg_hi:[0,0,1]
	v_pk_fma_f32 v[12:13], v[14:15], v[8:9], v[12:13] op_sel:[0,0,1] op_sel_hi:[1,0,0]
	v_mov_b32_e32 v19, v13
	ds_load_2addr_b64 v[12:15], v104 offset0:35 offset1:36
	v_pk_add_f32 v[142:143], v[142:143], v[28:29] neg_lo:[0,1] neg_hi:[0,1]
	v_pk_add_f32 v[144:145], v[144:145], v[18:19] neg_lo:[0,1] neg_hi:[0,1]
	s_wait_dscnt 0x0
	v_pk_mul_f32 v[18:19], v[12:13], v[10:11] op_sel:[0,1]
	s_delay_alu instid0(VALU_DEP_1) | instskip(SKIP_1) | instid1(VALU_DEP_1)
	v_pk_fma_f32 v[28:29], v[12:13], v[8:9], v[18:19] op_sel:[0,0,1] op_sel_hi:[1,1,0] neg_lo:[0,0,1] neg_hi:[0,0,1]
	v_pk_fma_f32 v[12:13], v[12:13], v[8:9], v[18:19] op_sel:[0,0,1] op_sel_hi:[1,0,0]
	v_mov_b32_e32 v29, v13
	v_pk_mul_f32 v[12:13], v[14:15], v[10:11] op_sel:[0,1]
	s_delay_alu instid0(VALU_DEP_1) | instskip(SKIP_1) | instid1(VALU_DEP_1)
	v_pk_fma_f32 v[18:19], v[14:15], v[8:9], v[12:13] op_sel:[0,0,1] op_sel_hi:[1,1,0] neg_lo:[0,0,1] neg_hi:[0,0,1]
	v_pk_fma_f32 v[12:13], v[14:15], v[8:9], v[12:13] op_sel:[0,0,1] op_sel_hi:[1,0,0]
	v_mov_b32_e32 v19, v13
	ds_load_2addr_b64 v[12:15], v104 offset0:37 offset1:38
	v_pk_add_f32 v[140:141], v[140:141], v[28:29] neg_lo:[0,1] neg_hi:[0,1]
	v_pk_add_f32 v[162:163], v[162:163], v[18:19] neg_lo:[0,1] neg_hi:[0,1]
	s_wait_dscnt 0x0
	v_dual_mul_f32 v18, v13, v11 :: v_dual_mul_f32 v28, v13, v8
	s_delay_alu instid0(VALU_DEP_1) | instskip(NEXT) | instid1(VALU_DEP_2)
	v_pk_fma_f32 v[18:19], v[12:13], v[128:129], v[18:19] op_sel_hi:[1,1,0] neg_lo:[0,0,1] neg_hi:[0,0,1]
	v_pk_fma_f32 v[12:13], v[12:13], v[128:129], v[28:29] op_sel:[1,0,0] op_sel_hi:[0,1,0]
	s_delay_alu instid0(VALU_DEP_1) | instskip(SKIP_1) | instid1(VALU_DEP_2)
	v_mov_b32_e32 v19, v13
	v_pk_mul_f32 v[12:13], v[14:15], v[10:11] op_sel:[0,1]
	v_pk_add_f32 v[158:159], v[158:159], v[18:19] neg_lo:[0,1] neg_hi:[0,1]
	s_delay_alu instid0(VALU_DEP_2) | instskip(SKIP_1) | instid1(VALU_DEP_1)
	v_pk_fma_f32 v[18:19], v[14:15], v[8:9], v[12:13] op_sel:[0,0,1] op_sel_hi:[1,1,0] neg_lo:[0,0,1] neg_hi:[0,0,1]
	v_pk_fma_f32 v[12:13], v[14:15], v[8:9], v[12:13] op_sel:[0,0,1] op_sel_hi:[1,0,0]
	v_mov_b32_e32 v19, v13
	ds_load_2addr_b64 v[12:15], v104 offset0:39 offset1:40
	v_pk_add_f32 v[160:161], v[160:161], v[18:19] neg_lo:[0,1] neg_hi:[0,1]
	s_wait_dscnt 0x0
	v_pk_mul_f32 v[18:19], v[12:13], v[10:11] op_sel:[0,1]
	s_delay_alu instid0(VALU_DEP_1) | instskip(SKIP_1) | instid1(VALU_DEP_1)
	v_pk_fma_f32 v[28:29], v[12:13], v[8:9], v[18:19] op_sel:[0,0,1] op_sel_hi:[1,1,0] neg_lo:[0,0,1] neg_hi:[0,0,1]
	v_pk_fma_f32 v[12:13], v[12:13], v[8:9], v[18:19] op_sel:[0,0,1] op_sel_hi:[1,0,0]
	v_mov_b32_e32 v29, v13
	v_pk_mul_f32 v[12:13], v[14:15], v[10:11] op_sel:[0,1]
	s_delay_alu instid0(VALU_DEP_2) | instskip(NEXT) | instid1(VALU_DEP_2)
	v_pk_add_f32 v[156:157], v[156:157], v[28:29] neg_lo:[0,1] neg_hi:[0,1]
	v_pk_fma_f32 v[18:19], v[14:15], v[8:9], v[12:13] op_sel:[0,0,1] op_sel_hi:[1,1,0] neg_lo:[0,0,1] neg_hi:[0,0,1]
	v_pk_fma_f32 v[12:13], v[14:15], v[8:9], v[12:13] op_sel:[0,0,1] op_sel_hi:[1,0,0]
	s_delay_alu instid0(VALU_DEP_1) | instskip(SKIP_4) | instid1(VALU_DEP_1)
	v_mov_b32_e32 v19, v13
	ds_load_2addr_b64 v[12:15], v104 offset0:41 offset1:42
	v_pk_add_f32 v[180:181], v[180:181], v[18:19] neg_lo:[0,1] neg_hi:[0,1]
	s_wait_dscnt 0x0
	v_pk_mul_f32 v[18:19], v[12:13], v[10:11] op_sel:[0,1]
	v_pk_fma_f32 v[28:29], v[12:13], v[8:9], v[18:19] op_sel:[0,0,1] op_sel_hi:[1,1,0] neg_lo:[0,0,1] neg_hi:[0,0,1]
	v_pk_fma_f32 v[12:13], v[12:13], v[8:9], v[18:19] op_sel:[0,0,1] op_sel_hi:[1,0,0]
	v_dual_mul_f32 v18, v15, v11 :: v_dual_mov_b32 v12, v15
	s_delay_alu instid0(VALU_DEP_2) | instskip(NEXT) | instid1(VALU_DEP_2)
	v_dual_mov_b32 v29, v13 :: v_dual_mov_b32 v13, v14
	v_pk_fma_f32 v[18:19], v[14:15], v[128:129], v[18:19] op_sel_hi:[1,1,0] neg_lo:[0,0,1] neg_hi:[0,0,1]
	v_mul_f32_e32 v14, v15, v8
	s_delay_alu instid0(VALU_DEP_3) | instskip(NEXT) | instid1(VALU_DEP_2)
	v_pk_add_f32 v[176:177], v[176:177], v[28:29] neg_lo:[0,1] neg_hi:[0,1]
	v_pk_fma_f32 v[12:13], v[12:13], v[128:129], v[14:15] op_sel_hi:[1,1,0]
	s_delay_alu instid0(VALU_DEP_1) | instskip(SKIP_4) | instid1(VALU_DEP_1)
	v_mov_b32_e32 v19, v13
	ds_load_2addr_b64 v[12:15], v104 offset0:43 offset1:44
	v_pk_add_f32 v[178:179], v[178:179], v[18:19] neg_lo:[0,1] neg_hi:[0,1]
	s_wait_dscnt 0x0
	v_pk_mul_f32 v[18:19], v[12:13], v[10:11] op_sel:[0,1]
	v_pk_fma_f32 v[28:29], v[12:13], v[8:9], v[18:19] op_sel:[0,0,1] op_sel_hi:[1,1,0] neg_lo:[0,0,1] neg_hi:[0,0,1]
	v_pk_fma_f32 v[12:13], v[12:13], v[8:9], v[18:19] op_sel:[0,0,1] op_sel_hi:[1,0,0]
	s_delay_alu instid0(VALU_DEP_1) | instskip(SKIP_1) | instid1(VALU_DEP_1)
	v_mov_b32_e32 v29, v13
	v_pk_mul_f32 v[12:13], v[14:15], v[10:11] op_sel:[0,1]
	v_pk_fma_f32 v[18:19], v[14:15], v[8:9], v[12:13] op_sel:[0,0,1] op_sel_hi:[1,1,0] neg_lo:[0,0,1] neg_hi:[0,0,1]
	v_pk_fma_f32 v[12:13], v[14:15], v[8:9], v[12:13] op_sel:[0,0,1] op_sel_hi:[1,0,0]
	s_delay_alu instid0(VALU_DEP_1)
	v_mov_b32_e32 v19, v13
	ds_load_2addr_b64 v[12:15], v104 offset0:45 offset1:46
	v_pk_add_f32 v[174:175], v[174:175], v[28:29] neg_lo:[0,1] neg_hi:[0,1]
	v_pk_add_f32 v[200:201], v[200:201], v[18:19] neg_lo:[0,1] neg_hi:[0,1]
	s_wait_dscnt 0x0
	v_pk_mul_f32 v[18:19], v[12:13], v[10:11] op_sel:[0,1]
	s_delay_alu instid0(VALU_DEP_1) | instskip(SKIP_1) | instid1(VALU_DEP_1)
	v_pk_fma_f32 v[28:29], v[12:13], v[8:9], v[18:19] op_sel:[0,0,1] op_sel_hi:[1,1,0] neg_lo:[0,0,1] neg_hi:[0,0,1]
	v_pk_fma_f32 v[12:13], v[12:13], v[8:9], v[18:19] op_sel:[0,0,1] op_sel_hi:[1,0,0]
	v_mov_b32_e32 v29, v13
	v_pk_mul_f32 v[12:13], v[14:15], v[10:11] op_sel:[0,1]
	s_delay_alu instid0(VALU_DEP_1) | instskip(SKIP_1) | instid1(VALU_DEP_1)
	v_pk_fma_f32 v[18:19], v[14:15], v[8:9], v[12:13] op_sel:[0,0,1] op_sel_hi:[1,1,0] neg_lo:[0,0,1] neg_hi:[0,0,1]
	v_pk_fma_f32 v[12:13], v[14:15], v[8:9], v[12:13] op_sel:[0,0,1] op_sel_hi:[1,0,0]
	v_mov_b32_e32 v19, v13
	ds_load_2addr_b64 v[12:15], v104 offset0:47 offset1:48
	v_pk_add_f32 v[194:195], v[194:195], v[28:29] neg_lo:[0,1] neg_hi:[0,1]
	v_pk_add_f32 v[198:199], v[198:199], v[18:19] neg_lo:[0,1] neg_hi:[0,1]
	s_wait_dscnt 0x0
	v_dual_mul_f32 v18, v13, v11 :: v_dual_mul_f32 v28, v13, v8
	s_delay_alu instid0(VALU_DEP_1) | instskip(NEXT) | instid1(VALU_DEP_2)
	v_pk_fma_f32 v[18:19], v[12:13], v[128:129], v[18:19] op_sel_hi:[1,1,0] neg_lo:[0,0,1] neg_hi:[0,0,1]
	v_pk_fma_f32 v[12:13], v[12:13], v[128:129], v[28:29] op_sel:[1,0,0] op_sel_hi:[0,1,0]
	s_delay_alu instid0(VALU_DEP_1) | instskip(SKIP_1) | instid1(VALU_DEP_2)
	v_mov_b32_e32 v19, v13
	v_pk_mul_f32 v[12:13], v[14:15], v[10:11] op_sel:[0,1]
	v_pk_add_f32 v[192:193], v[192:193], v[18:19] neg_lo:[0,1] neg_hi:[0,1]
	s_delay_alu instid0(VALU_DEP_2) | instskip(SKIP_1) | instid1(VALU_DEP_1)
	v_pk_fma_f32 v[18:19], v[14:15], v[8:9], v[12:13] op_sel:[0,0,1] op_sel_hi:[1,1,0] neg_lo:[0,0,1] neg_hi:[0,0,1]
	v_pk_fma_f32 v[12:13], v[14:15], v[8:9], v[12:13] op_sel:[0,0,1] op_sel_hi:[1,0,0]
	v_mov_b32_e32 v19, v13
	ds_load_2addr_b64 v[12:15], v104 offset0:49 offset1:50
	v_pk_add_f32 v[196:197], v[196:197], v[18:19] neg_lo:[0,1] neg_hi:[0,1]
	s_wait_dscnt 0x0
	v_pk_mul_f32 v[18:19], v[12:13], v[10:11] op_sel:[0,1]
	v_pk_mul_f32 v[10:11], v[14:15], v[10:11] op_sel:[0,1]
	s_delay_alu instid0(VALU_DEP_2) | instskip(SKIP_1) | instid1(VALU_DEP_1)
	v_pk_fma_f32 v[28:29], v[12:13], v[8:9], v[18:19] op_sel:[0,0,1] op_sel_hi:[1,1,0] neg_lo:[0,0,1] neg_hi:[0,0,1]
	v_pk_fma_f32 v[12:13], v[12:13], v[8:9], v[18:19] op_sel:[0,0,1] op_sel_hi:[1,0,0]
	v_mov_b32_e32 v29, v13
	s_delay_alu instid0(VALU_DEP_4) | instskip(SKIP_1) | instid1(VALU_DEP_3)
	v_pk_fma_f32 v[12:13], v[14:15], v[8:9], v[10:11] op_sel:[0,0,1] op_sel_hi:[1,1,0] neg_lo:[0,0,1] neg_hi:[0,0,1]
	v_pk_fma_f32 v[8:9], v[14:15], v[8:9], v[10:11] op_sel:[0,0,1] op_sel_hi:[1,0,0]
	v_pk_add_f32 v[202:203], v[202:203], v[28:29] neg_lo:[0,1] neg_hi:[0,1]
	s_delay_alu instid0(VALU_DEP_2) | instskip(NEXT) | instid1(VALU_DEP_1)
	v_mov_b32_e32 v13, v9
	v_pk_add_f32 v[204:205], v[204:205], v[12:13] neg_lo:[0,1] neg_hi:[0,1]
.LBB101_262:
	s_or_b32 exec_lo, exec_lo, s1
	s_delay_alu instid0(SALU_CYCLE_1)
	s_mov_b32 s2, exec_lo
	s_wait_dscnt 0x0
	s_barrier_signal -1
	s_barrier_wait -1
	v_cmpx_eq_u32_e32 29, v102
	s_cbranch_execz .LBB101_269
; %bb.263:
	v_dual_mov_b32 v8, v126 :: v_dual_mov_b32 v9, v127
	v_dual_mov_b32 v10, v122 :: v_dual_mov_b32 v11, v123
	ds_store_b64 v103, v[124:125]
	ds_store_2addr_b64 v104, v[8:9], v[10:11] offset0:30 offset1:31
	v_dual_mov_b32 v8, v146 :: v_dual_mov_b32 v9, v147
	v_dual_mov_b32 v10, v142 :: v_dual_mov_b32 v11, v143
	ds_store_2addr_b64 v104, v[8:9], v[10:11] offset0:32 offset1:33
	v_dual_mov_b32 v8, v144 :: v_dual_mov_b32 v9, v145
	v_dual_mov_b32 v10, v140 :: v_dual_mov_b32 v11, v141
	;; [unrolled: 3-line block ×9, first 2 shown]
	ds_store_2addr_b64 v104, v[8:9], v[10:11] offset0:48 offset1:49
	ds_store_b64 v104, v[204:205] offset:400
	ds_load_b64 v[8:9], v103
	s_wait_dscnt 0x0
	v_cmp_neq_f32_e32 vcc_lo, 0, v8
	v_cmp_neq_f32_e64 s1, 0, v9
	s_or_b32 s1, vcc_lo, s1
	s_delay_alu instid0(SALU_CYCLE_1)
	s_and_b32 exec_lo, exec_lo, s1
	s_cbranch_execz .LBB101_269
; %bb.264:
	v_cmp_ngt_f32_e64 s1, |v8|, |v9|
                                        ; implicit-def: $vgpr10_vgpr11
	s_and_saveexec_b32 s4, s1
	s_delay_alu instid0(SALU_CYCLE_1)
	s_xor_b32 s1, exec_lo, s4
	s_cbranch_execz .LBB101_266
; %bb.265:
	v_div_scale_f32 v10, null, v9, v9, v8
	v_div_scale_f32 v13, vcc_lo, v8, v9, v8
	s_delay_alu instid0(VALU_DEP_2) | instskip(SKIP_1) | instid1(TRANS32_DEP_1)
	v_rcp_f32_e32 v11, v10
	v_nop
	v_fma_f32 v12, -v10, v11, 1.0
	s_delay_alu instid0(VALU_DEP_1) | instskip(NEXT) | instid1(VALU_DEP_1)
	v_fmac_f32_e32 v11, v12, v11
	v_mul_f32_e32 v12, v13, v11
	s_delay_alu instid0(VALU_DEP_1) | instskip(NEXT) | instid1(VALU_DEP_1)
	v_fma_f32 v14, -v10, v12, v13
	v_fmac_f32_e32 v12, v14, v11
	s_delay_alu instid0(VALU_DEP_1) | instskip(NEXT) | instid1(VALU_DEP_1)
	v_fma_f32 v10, -v10, v12, v13
	v_div_fmas_f32 v10, v10, v11, v12
	s_delay_alu instid0(VALU_DEP_1) | instskip(NEXT) | instid1(VALU_DEP_1)
	v_div_fixup_f32 v10, v10, v9, v8
	v_fmac_f32_e32 v9, v8, v10
	s_delay_alu instid0(VALU_DEP_1) | instskip(SKIP_1) | instid1(VALU_DEP_2)
	v_div_scale_f32 v8, null, v9, v9, 1.0
	v_div_scale_f32 v13, vcc_lo, 1.0, v9, 1.0
	v_rcp_f32_e32 v11, v8
	v_nop
	s_delay_alu instid0(TRANS32_DEP_1) | instskip(NEXT) | instid1(VALU_DEP_1)
	v_fma_f32 v12, -v8, v11, 1.0
	v_fmac_f32_e32 v11, v12, v11
	s_delay_alu instid0(VALU_DEP_1) | instskip(NEXT) | instid1(VALU_DEP_1)
	v_mul_f32_e32 v12, v13, v11
	v_fma_f32 v14, -v8, v12, v13
	s_delay_alu instid0(VALU_DEP_1) | instskip(NEXT) | instid1(VALU_DEP_1)
	v_fmac_f32_e32 v12, v14, v11
	v_fma_f32 v8, -v8, v12, v13
	s_delay_alu instid0(VALU_DEP_1) | instskip(NEXT) | instid1(VALU_DEP_1)
	v_div_fmas_f32 v8, v8, v11, v12
	v_div_fixup_f32 v8, v8, v9, 1.0
	s_delay_alu instid0(VALU_DEP_1)
	v_mul_f32_e32 v10, v10, v8
	v_xor_b32_e32 v11, 0x80000000, v8
                                        ; implicit-def: $vgpr8_vgpr9
.LBB101_266:
	s_and_not1_saveexec_b32 s1, s1
	s_cbranch_execz .LBB101_268
; %bb.267:
	v_div_scale_f32 v10, null, v8, v8, v9
	v_div_scale_f32 v13, vcc_lo, v9, v8, v9
	s_delay_alu instid0(VALU_DEP_2) | instskip(SKIP_1) | instid1(TRANS32_DEP_1)
	v_rcp_f32_e32 v11, v10
	v_nop
	v_fma_f32 v12, -v10, v11, 1.0
	s_delay_alu instid0(VALU_DEP_1) | instskip(NEXT) | instid1(VALU_DEP_1)
	v_fmac_f32_e32 v11, v12, v11
	v_mul_f32_e32 v12, v13, v11
	s_delay_alu instid0(VALU_DEP_1) | instskip(NEXT) | instid1(VALU_DEP_1)
	v_fma_f32 v14, -v10, v12, v13
	v_fmac_f32_e32 v12, v14, v11
	s_delay_alu instid0(VALU_DEP_1) | instskip(NEXT) | instid1(VALU_DEP_1)
	v_fma_f32 v10, -v10, v12, v13
	v_div_fmas_f32 v10, v10, v11, v12
	s_delay_alu instid0(VALU_DEP_1) | instskip(NEXT) | instid1(VALU_DEP_1)
	v_div_fixup_f32 v11, v10, v8, v9
	v_fmac_f32_e32 v8, v9, v11
	s_delay_alu instid0(VALU_DEP_1) | instskip(NEXT) | instid1(VALU_DEP_1)
	v_div_scale_f32 v9, null, v8, v8, 1.0
	v_rcp_f32_e32 v10, v9
	v_nop
	s_delay_alu instid0(TRANS32_DEP_1) | instskip(NEXT) | instid1(VALU_DEP_1)
	v_fma_f32 v12, -v9, v10, 1.0
	v_fmac_f32_e32 v10, v12, v10
	v_div_scale_f32 v12, vcc_lo, 1.0, v8, 1.0
	s_delay_alu instid0(VALU_DEP_1) | instskip(NEXT) | instid1(VALU_DEP_1)
	v_mul_f32_e32 v13, v12, v10
	v_fma_f32 v14, -v9, v13, v12
	s_delay_alu instid0(VALU_DEP_1) | instskip(NEXT) | instid1(VALU_DEP_1)
	v_fmac_f32_e32 v13, v14, v10
	v_fma_f32 v9, -v9, v13, v12
	s_delay_alu instid0(VALU_DEP_1) | instskip(NEXT) | instid1(VALU_DEP_1)
	v_div_fmas_f32 v9, v9, v10, v13
	v_div_fixup_f32 v10, v9, v8, 1.0
	s_delay_alu instid0(VALU_DEP_1)
	v_mul_f32_e64 v11, v11, -v10
.LBB101_268:
	s_or_b32 exec_lo, exec_lo, s1
	ds_store_b64 v103, v[10:11]
.LBB101_269:
	s_or_b32 exec_lo, exec_lo, s2
	s_wait_dscnt 0x0
	s_barrier_signal -1
	s_barrier_wait -1
	ds_load_b64 v[8:9], v103
	s_mov_b32 s1, exec_lo
	v_cmpx_lt_u32_e32 29, v102
	s_cbranch_execz .LBB101_271
; %bb.270:
	ds_load_2addr_b64 v[28:31], v104 offset0:30 offset1:31
	s_wait_dscnt 0x1
	v_pk_mul_f32 v[12:13], v[8:9], v[124:125] op_sel:[1,1] op_sel_hi:[0,1]
	s_delay_alu instid0(VALU_DEP_1) | instskip(SKIP_1) | instid1(VALU_DEP_1)
	v_pk_fma_f32 v[10:11], v[8:9], v[124:125], v[12:13] op_sel_hi:[1,0,1] neg_lo:[0,0,1] neg_hi:[0,0,1]
	v_pk_fma_f32 v[12:13], v[8:9], v[124:125], v[12:13] op_sel_hi:[1,0,1]
	v_dual_mov_b32 v124, v10 :: v_dual_mov_b32 v125, v13
	s_wait_dscnt 0x0
	s_delay_alu instid0(VALU_DEP_2) | instskip(NEXT) | instid1(VALU_DEP_1)
	v_pk_mul_f32 v[14:15], v[28:29], v[12:13] op_sel:[0,1]
	v_pk_fma_f32 v[18:19], v[28:29], v[10:11], v[14:15] op_sel:[0,0,1] op_sel_hi:[1,1,0] neg_lo:[0,0,1] neg_hi:[0,0,1]
	v_pk_fma_f32 v[14:15], v[28:29], v[10:11], v[14:15] op_sel:[0,0,1] op_sel_hi:[1,0,0]
	s_delay_alu instid0(VALU_DEP_1) | instskip(SKIP_1) | instid1(VALU_DEP_2)
	v_mov_b32_e32 v19, v15
	v_pk_mul_f32 v[14:15], v[30:31], v[12:13] op_sel:[0,1]
	v_pk_add_f32 v[126:127], v[126:127], v[18:19] neg_lo:[0,1] neg_hi:[0,1]
	s_delay_alu instid0(VALU_DEP_2) | instskip(SKIP_3) | instid1(VALU_DEP_1)
	v_pk_fma_f32 v[18:19], v[30:31], v[10:11], v[14:15] op_sel:[0,0,1] op_sel_hi:[1,1,0] neg_lo:[0,0,1] neg_hi:[0,0,1]
	v_pk_fma_f32 v[14:15], v[30:31], v[10:11], v[14:15] op_sel:[0,0,1] op_sel_hi:[1,0,0]
	ds_load_2addr_b64 v[28:31], v104 offset0:32 offset1:33
	v_mov_b32_e32 v19, v15
	v_pk_add_f32 v[122:123], v[122:123], v[18:19] neg_lo:[0,1] neg_hi:[0,1]
	s_wait_dscnt 0x0
	v_pk_mul_f32 v[14:15], v[28:29], v[12:13] op_sel:[0,1]
	s_delay_alu instid0(VALU_DEP_1) | instskip(SKIP_2) | instid1(VALU_DEP_2)
	v_pk_fma_f32 v[18:19], v[28:29], v[10:11], v[14:15] op_sel:[0,0,1] op_sel_hi:[1,1,0] neg_lo:[0,0,1] neg_hi:[0,0,1]
	v_pk_fma_f32 v[14:15], v[28:29], v[10:11], v[14:15] op_sel:[0,0,1] op_sel_hi:[1,0,0]
	v_dual_mov_b32 v14, v31 :: v_dual_mul_f32 v28, v31, v10
	v_dual_mov_b32 v19, v15 :: v_dual_mov_b32 v15, v30
	s_delay_alu instid0(VALU_DEP_1) | instskip(SKIP_1) | instid1(VALU_DEP_3)
	v_pk_add_f32 v[146:147], v[146:147], v[18:19] neg_lo:[0,1] neg_hi:[0,1]
	v_mul_f32_e32 v18, v31, v13
	v_pk_fma_f32 v[14:15], v[14:15], v[124:125], v[28:29] op_sel_hi:[1,1,0]
	s_delay_alu instid0(VALU_DEP_2) | instskip(SKIP_2) | instid1(VALU_DEP_1)
	v_pk_fma_f32 v[18:19], v[30:31], v[124:125], v[18:19] op_sel_hi:[1,1,0] neg_lo:[0,0,1] neg_hi:[0,0,1]
	ds_load_2addr_b64 v[28:31], v104 offset0:34 offset1:35
	v_mov_b32_e32 v19, v15
	v_pk_add_f32 v[142:143], v[142:143], v[18:19] neg_lo:[0,1] neg_hi:[0,1]
	s_wait_dscnt 0x0
	v_pk_mul_f32 v[14:15], v[28:29], v[12:13] op_sel:[0,1]
	s_delay_alu instid0(VALU_DEP_1) | instskip(SKIP_1) | instid1(VALU_DEP_1)
	v_pk_fma_f32 v[18:19], v[28:29], v[10:11], v[14:15] op_sel:[0,0,1] op_sel_hi:[1,1,0] neg_lo:[0,0,1] neg_hi:[0,0,1]
	v_pk_fma_f32 v[14:15], v[28:29], v[10:11], v[14:15] op_sel:[0,0,1] op_sel_hi:[1,0,0]
	v_mov_b32_e32 v19, v15
	v_pk_mul_f32 v[14:15], v[30:31], v[12:13] op_sel:[0,1]
	s_delay_alu instid0(VALU_DEP_2) | instskip(NEXT) | instid1(VALU_DEP_2)
	v_pk_add_f32 v[144:145], v[144:145], v[18:19] neg_lo:[0,1] neg_hi:[0,1]
	v_pk_fma_f32 v[18:19], v[30:31], v[10:11], v[14:15] op_sel:[0,0,1] op_sel_hi:[1,1,0] neg_lo:[0,0,1] neg_hi:[0,0,1]
	v_pk_fma_f32 v[14:15], v[30:31], v[10:11], v[14:15] op_sel:[0,0,1] op_sel_hi:[1,0,0]
	ds_load_2addr_b64 v[28:31], v104 offset0:36 offset1:37
	v_mov_b32_e32 v19, v15
	s_delay_alu instid0(VALU_DEP_1) | instskip(SKIP_2) | instid1(VALU_DEP_1)
	v_pk_add_f32 v[140:141], v[140:141], v[18:19] neg_lo:[0,1] neg_hi:[0,1]
	s_wait_dscnt 0x0
	v_pk_mul_f32 v[14:15], v[28:29], v[12:13] op_sel:[0,1]
	v_pk_fma_f32 v[18:19], v[28:29], v[10:11], v[14:15] op_sel:[0,0,1] op_sel_hi:[1,1,0] neg_lo:[0,0,1] neg_hi:[0,0,1]
	v_pk_fma_f32 v[14:15], v[28:29], v[10:11], v[14:15] op_sel:[0,0,1] op_sel_hi:[1,0,0]
	s_delay_alu instid0(VALU_DEP_1) | instskip(SKIP_1) | instid1(VALU_DEP_2)
	v_mov_b32_e32 v19, v15
	v_pk_mul_f32 v[14:15], v[30:31], v[12:13] op_sel:[0,1]
	v_pk_add_f32 v[162:163], v[162:163], v[18:19] neg_lo:[0,1] neg_hi:[0,1]
	s_delay_alu instid0(VALU_DEP_2) | instskip(SKIP_3) | instid1(VALU_DEP_1)
	v_pk_fma_f32 v[18:19], v[30:31], v[10:11], v[14:15] op_sel:[0,0,1] op_sel_hi:[1,1,0] neg_lo:[0,0,1] neg_hi:[0,0,1]
	v_pk_fma_f32 v[14:15], v[30:31], v[10:11], v[14:15] op_sel:[0,0,1] op_sel_hi:[1,0,0]
	ds_load_2addr_b64 v[28:31], v104 offset0:38 offset1:39
	v_mov_b32_e32 v19, v15
	v_pk_add_f32 v[158:159], v[158:159], v[18:19] neg_lo:[0,1] neg_hi:[0,1]
	s_wait_dscnt 0x0
	v_dual_mul_f32 v18, v29, v10 :: v_dual_mul_f32 v14, v29, v13
	s_delay_alu instid0(VALU_DEP_1) | instskip(NEXT) | instid1(VALU_DEP_2)
	v_pk_fma_f32 v[18:19], v[28:29], v[124:125], v[18:19] op_sel:[1,0,0] op_sel_hi:[0,1,0]
	v_pk_fma_f32 v[14:15], v[28:29], v[124:125], v[14:15] op_sel_hi:[1,1,0] neg_lo:[0,0,1] neg_hi:[0,0,1]
	s_delay_alu instid0(VALU_DEP_2) | instskip(NEXT) | instid1(VALU_DEP_1)
	v_mov_b32_e32 v15, v19
	v_pk_add_f32 v[160:161], v[160:161], v[14:15] neg_lo:[0,1] neg_hi:[0,1]
	v_pk_mul_f32 v[14:15], v[30:31], v[12:13] op_sel:[0,1]
	s_delay_alu instid0(VALU_DEP_1) | instskip(SKIP_3) | instid1(VALU_DEP_1)
	v_pk_fma_f32 v[18:19], v[30:31], v[10:11], v[14:15] op_sel:[0,0,1] op_sel_hi:[1,1,0] neg_lo:[0,0,1] neg_hi:[0,0,1]
	v_pk_fma_f32 v[14:15], v[30:31], v[10:11], v[14:15] op_sel:[0,0,1] op_sel_hi:[1,0,0]
	ds_load_2addr_b64 v[28:31], v104 offset0:40 offset1:41
	v_mov_b32_e32 v19, v15
	v_pk_add_f32 v[156:157], v[156:157], v[18:19] neg_lo:[0,1] neg_hi:[0,1]
	s_wait_dscnt 0x0
	v_pk_mul_f32 v[14:15], v[28:29], v[12:13] op_sel:[0,1]
	s_delay_alu instid0(VALU_DEP_1) | instskip(SKIP_1) | instid1(VALU_DEP_1)
	v_pk_fma_f32 v[18:19], v[28:29], v[10:11], v[14:15] op_sel:[0,0,1] op_sel_hi:[1,1,0] neg_lo:[0,0,1] neg_hi:[0,0,1]
	v_pk_fma_f32 v[14:15], v[28:29], v[10:11], v[14:15] op_sel:[0,0,1] op_sel_hi:[1,0,0]
	v_mov_b32_e32 v19, v15
	v_pk_mul_f32 v[14:15], v[30:31], v[12:13] op_sel:[0,1]
	s_delay_alu instid0(VALU_DEP_2) | instskip(NEXT) | instid1(VALU_DEP_2)
	v_pk_add_f32 v[180:181], v[180:181], v[18:19] neg_lo:[0,1] neg_hi:[0,1]
	v_pk_fma_f32 v[18:19], v[30:31], v[10:11], v[14:15] op_sel:[0,0,1] op_sel_hi:[1,1,0] neg_lo:[0,0,1] neg_hi:[0,0,1]
	v_pk_fma_f32 v[14:15], v[30:31], v[10:11], v[14:15] op_sel:[0,0,1] op_sel_hi:[1,0,0]
	ds_load_2addr_b64 v[28:31], v104 offset0:42 offset1:43
	v_mov_b32_e32 v19, v15
	s_delay_alu instid0(VALU_DEP_1) | instskip(SKIP_2) | instid1(VALU_DEP_1)
	v_pk_add_f32 v[176:177], v[176:177], v[18:19] neg_lo:[0,1] neg_hi:[0,1]
	s_wait_dscnt 0x0
	v_pk_mul_f32 v[14:15], v[28:29], v[12:13] op_sel:[0,1]
	v_pk_fma_f32 v[18:19], v[28:29], v[10:11], v[14:15] op_sel:[0,0,1] op_sel_hi:[1,1,0] neg_lo:[0,0,1] neg_hi:[0,0,1]
	v_pk_fma_f32 v[14:15], v[28:29], v[10:11], v[14:15] op_sel:[0,0,1] op_sel_hi:[1,0,0]
	v_dual_mov_b32 v14, v31 :: v_dual_mul_f32 v28, v31, v10
	s_delay_alu instid0(VALU_DEP_2) | instskip(NEXT) | instid1(VALU_DEP_1)
	v_dual_mov_b32 v19, v15 :: v_dual_mov_b32 v15, v30
	v_pk_add_f32 v[178:179], v[178:179], v[18:19] neg_lo:[0,1] neg_hi:[0,1]
	v_mul_f32_e32 v18, v31, v13
	s_delay_alu instid0(VALU_DEP_3) | instskip(NEXT) | instid1(VALU_DEP_2)
	v_pk_fma_f32 v[14:15], v[14:15], v[124:125], v[28:29] op_sel_hi:[1,1,0]
	v_pk_fma_f32 v[18:19], v[30:31], v[124:125], v[18:19] op_sel_hi:[1,1,0] neg_lo:[0,0,1] neg_hi:[0,0,1]
	ds_load_2addr_b64 v[28:31], v104 offset0:44 offset1:45
	v_mov_b32_e32 v19, v15
	s_delay_alu instid0(VALU_DEP_1) | instskip(SKIP_2) | instid1(VALU_DEP_1)
	v_pk_add_f32 v[174:175], v[174:175], v[18:19] neg_lo:[0,1] neg_hi:[0,1]
	s_wait_dscnt 0x0
	v_pk_mul_f32 v[14:15], v[28:29], v[12:13] op_sel:[0,1]
	v_pk_fma_f32 v[18:19], v[28:29], v[10:11], v[14:15] op_sel:[0,0,1] op_sel_hi:[1,1,0] neg_lo:[0,0,1] neg_hi:[0,0,1]
	v_pk_fma_f32 v[14:15], v[28:29], v[10:11], v[14:15] op_sel:[0,0,1] op_sel_hi:[1,0,0]
	s_delay_alu instid0(VALU_DEP_1) | instskip(SKIP_1) | instid1(VALU_DEP_2)
	v_mov_b32_e32 v19, v15
	v_pk_mul_f32 v[14:15], v[30:31], v[12:13] op_sel:[0,1]
	v_pk_add_f32 v[200:201], v[200:201], v[18:19] neg_lo:[0,1] neg_hi:[0,1]
	s_delay_alu instid0(VALU_DEP_2) | instskip(SKIP_3) | instid1(VALU_DEP_1)
	v_pk_fma_f32 v[18:19], v[30:31], v[10:11], v[14:15] op_sel:[0,0,1] op_sel_hi:[1,1,0] neg_lo:[0,0,1] neg_hi:[0,0,1]
	v_pk_fma_f32 v[14:15], v[30:31], v[10:11], v[14:15] op_sel:[0,0,1] op_sel_hi:[1,0,0]
	ds_load_2addr_b64 v[28:31], v104 offset0:46 offset1:47
	v_mov_b32_e32 v19, v15
	v_pk_add_f32 v[194:195], v[194:195], v[18:19] neg_lo:[0,1] neg_hi:[0,1]
	s_wait_dscnt 0x0
	v_pk_mul_f32 v[14:15], v[28:29], v[12:13] op_sel:[0,1]
	s_delay_alu instid0(VALU_DEP_1) | instskip(SKIP_1) | instid1(VALU_DEP_1)
	v_pk_fma_f32 v[18:19], v[28:29], v[10:11], v[14:15] op_sel:[0,0,1] op_sel_hi:[1,1,0] neg_lo:[0,0,1] neg_hi:[0,0,1]
	v_pk_fma_f32 v[14:15], v[28:29], v[10:11], v[14:15] op_sel:[0,0,1] op_sel_hi:[1,0,0]
	v_mov_b32_e32 v19, v15
	v_pk_mul_f32 v[14:15], v[30:31], v[12:13] op_sel:[0,1]
	s_delay_alu instid0(VALU_DEP_2) | instskip(NEXT) | instid1(VALU_DEP_2)
	v_pk_add_f32 v[198:199], v[198:199], v[18:19] neg_lo:[0,1] neg_hi:[0,1]
	v_pk_fma_f32 v[18:19], v[30:31], v[10:11], v[14:15] op_sel:[0,0,1] op_sel_hi:[1,1,0] neg_lo:[0,0,1] neg_hi:[0,0,1]
	v_pk_fma_f32 v[14:15], v[30:31], v[10:11], v[14:15] op_sel:[0,0,1] op_sel_hi:[1,0,0]
	ds_load_2addr_b64 v[28:31], v104 offset0:48 offset1:49
	v_mov_b32_e32 v19, v15
	s_delay_alu instid0(VALU_DEP_1) | instskip(SKIP_2) | instid1(VALU_DEP_1)
	v_pk_add_f32 v[192:193], v[192:193], v[18:19] neg_lo:[0,1] neg_hi:[0,1]
	s_wait_dscnt 0x0
	v_dual_mul_f32 v18, v29, v10 :: v_dual_mul_f32 v14, v29, v13
	v_pk_fma_f32 v[18:19], v[28:29], v[124:125], v[18:19] op_sel:[1,0,0] op_sel_hi:[0,1,0]
	s_delay_alu instid0(VALU_DEP_2) | instskip(NEXT) | instid1(VALU_DEP_2)
	v_pk_fma_f32 v[14:15], v[28:29], v[124:125], v[14:15] op_sel_hi:[1,1,0] neg_lo:[0,0,1] neg_hi:[0,0,1]
	v_mov_b32_e32 v15, v19
	s_delay_alu instid0(VALU_DEP_1) | instskip(SKIP_1) | instid1(VALU_DEP_1)
	v_pk_add_f32 v[196:197], v[196:197], v[14:15] neg_lo:[0,1] neg_hi:[0,1]
	v_pk_mul_f32 v[14:15], v[30:31], v[12:13] op_sel:[0,1]
	v_pk_fma_f32 v[18:19], v[30:31], v[10:11], v[14:15] op_sel:[0,0,1] op_sel_hi:[1,1,0] neg_lo:[0,0,1] neg_hi:[0,0,1]
	v_pk_fma_f32 v[14:15], v[30:31], v[10:11], v[14:15] op_sel:[0,0,1] op_sel_hi:[1,0,0]
	s_delay_alu instid0(VALU_DEP_1) | instskip(SKIP_4) | instid1(VALU_DEP_1)
	v_mov_b32_e32 v19, v15
	ds_load_b64 v[14:15], v104 offset:400
	v_pk_add_f32 v[202:203], v[202:203], v[18:19] neg_lo:[0,1] neg_hi:[0,1]
	s_wait_dscnt 0x0
	v_pk_mul_f32 v[12:13], v[14:15], v[12:13] op_sel:[0,1]
	v_pk_fma_f32 v[18:19], v[14:15], v[10:11], v[12:13] op_sel:[0,0,1] op_sel_hi:[1,1,0] neg_lo:[0,0,1] neg_hi:[0,0,1]
	v_pk_fma_f32 v[10:11], v[14:15], v[10:11], v[12:13] op_sel:[0,0,1] op_sel_hi:[1,0,0]
	s_delay_alu instid0(VALU_DEP_1) | instskip(NEXT) | instid1(VALU_DEP_1)
	v_mov_b32_e32 v19, v11
	v_pk_add_f32 v[204:205], v[204:205], v[18:19] neg_lo:[0,1] neg_hi:[0,1]
.LBB101_271:
	s_or_b32 exec_lo, exec_lo, s1
	s_delay_alu instid0(SALU_CYCLE_1)
	s_mov_b32 s2, exec_lo
	s_wait_dscnt 0x0
	s_barrier_signal -1
	s_barrier_wait -1
	v_cmpx_eq_u32_e32 30, v102
	s_cbranch_execz .LBB101_278
; %bb.272:
	ds_store_b64 v103, v[126:127]
	ds_store_2addr_b64 v104, v[122:123], v[146:147] offset0:31 offset1:32
	ds_store_2addr_b64 v104, v[142:143], v[144:145] offset0:33 offset1:34
	;; [unrolled: 1-line block ×10, first 2 shown]
	ds_load_b64 v[10:11], v103
	s_wait_dscnt 0x0
	v_cmp_neq_f32_e32 vcc_lo, 0, v10
	v_cmp_neq_f32_e64 s1, 0, v11
	s_or_b32 s1, vcc_lo, s1
	s_delay_alu instid0(SALU_CYCLE_1)
	s_and_b32 exec_lo, exec_lo, s1
	s_cbranch_execz .LBB101_278
; %bb.273:
	v_cmp_ngt_f32_e64 s1, |v10|, |v11|
                                        ; implicit-def: $vgpr12_vgpr13
	s_and_saveexec_b32 s4, s1
	s_delay_alu instid0(SALU_CYCLE_1)
	s_xor_b32 s1, exec_lo, s4
	s_cbranch_execz .LBB101_275
; %bb.274:
	v_div_scale_f32 v12, null, v11, v11, v10
	v_div_scale_f32 v15, vcc_lo, v10, v11, v10
	s_delay_alu instid0(VALU_DEP_2) | instskip(SKIP_1) | instid1(TRANS32_DEP_1)
	v_rcp_f32_e32 v13, v12
	v_nop
	v_fma_f32 v14, -v12, v13, 1.0
	s_delay_alu instid0(VALU_DEP_1) | instskip(NEXT) | instid1(VALU_DEP_1)
	v_fmac_f32_e32 v13, v14, v13
	v_mul_f32_e32 v14, v15, v13
	s_delay_alu instid0(VALU_DEP_1) | instskip(NEXT) | instid1(VALU_DEP_1)
	v_fma_f32 v18, -v12, v14, v15
	v_fmac_f32_e32 v14, v18, v13
	s_delay_alu instid0(VALU_DEP_1) | instskip(NEXT) | instid1(VALU_DEP_1)
	v_fma_f32 v12, -v12, v14, v15
	v_div_fmas_f32 v12, v12, v13, v14
	s_delay_alu instid0(VALU_DEP_1) | instskip(NEXT) | instid1(VALU_DEP_1)
	v_div_fixup_f32 v12, v12, v11, v10
	v_fmac_f32_e32 v11, v10, v12
	s_delay_alu instid0(VALU_DEP_1) | instskip(SKIP_1) | instid1(VALU_DEP_2)
	v_div_scale_f32 v10, null, v11, v11, 1.0
	v_div_scale_f32 v15, vcc_lo, 1.0, v11, 1.0
	v_rcp_f32_e32 v13, v10
	v_nop
	s_delay_alu instid0(TRANS32_DEP_1) | instskip(NEXT) | instid1(VALU_DEP_1)
	v_fma_f32 v14, -v10, v13, 1.0
	v_fmac_f32_e32 v13, v14, v13
	s_delay_alu instid0(VALU_DEP_1) | instskip(NEXT) | instid1(VALU_DEP_1)
	v_mul_f32_e32 v14, v15, v13
	v_fma_f32 v18, -v10, v14, v15
	s_delay_alu instid0(VALU_DEP_1) | instskip(NEXT) | instid1(VALU_DEP_1)
	v_fmac_f32_e32 v14, v18, v13
	v_fma_f32 v10, -v10, v14, v15
	s_delay_alu instid0(VALU_DEP_1) | instskip(NEXT) | instid1(VALU_DEP_1)
	v_div_fmas_f32 v10, v10, v13, v14
	v_div_fixup_f32 v10, v10, v11, 1.0
	s_delay_alu instid0(VALU_DEP_1)
	v_mul_f32_e32 v12, v12, v10
	v_xor_b32_e32 v13, 0x80000000, v10
                                        ; implicit-def: $vgpr10_vgpr11
.LBB101_275:
	s_and_not1_saveexec_b32 s1, s1
	s_cbranch_execz .LBB101_277
; %bb.276:
	v_div_scale_f32 v12, null, v10, v10, v11
	v_div_scale_f32 v15, vcc_lo, v11, v10, v11
	s_delay_alu instid0(VALU_DEP_2) | instskip(SKIP_1) | instid1(TRANS32_DEP_1)
	v_rcp_f32_e32 v13, v12
	v_nop
	v_fma_f32 v14, -v12, v13, 1.0
	s_delay_alu instid0(VALU_DEP_1) | instskip(NEXT) | instid1(VALU_DEP_1)
	v_fmac_f32_e32 v13, v14, v13
	v_mul_f32_e32 v14, v15, v13
	s_delay_alu instid0(VALU_DEP_1) | instskip(NEXT) | instid1(VALU_DEP_1)
	v_fma_f32 v18, -v12, v14, v15
	v_fmac_f32_e32 v14, v18, v13
	s_delay_alu instid0(VALU_DEP_1) | instskip(NEXT) | instid1(VALU_DEP_1)
	v_fma_f32 v12, -v12, v14, v15
	v_div_fmas_f32 v12, v12, v13, v14
	s_delay_alu instid0(VALU_DEP_1) | instskip(NEXT) | instid1(VALU_DEP_1)
	v_div_fixup_f32 v13, v12, v10, v11
	v_fmac_f32_e32 v10, v11, v13
	s_delay_alu instid0(VALU_DEP_1) | instskip(NEXT) | instid1(VALU_DEP_1)
	v_div_scale_f32 v11, null, v10, v10, 1.0
	v_rcp_f32_e32 v12, v11
	v_nop
	s_delay_alu instid0(TRANS32_DEP_1) | instskip(NEXT) | instid1(VALU_DEP_1)
	v_fma_f32 v14, -v11, v12, 1.0
	v_fmac_f32_e32 v12, v14, v12
	v_div_scale_f32 v14, vcc_lo, 1.0, v10, 1.0
	s_delay_alu instid0(VALU_DEP_1) | instskip(NEXT) | instid1(VALU_DEP_1)
	v_mul_f32_e32 v15, v14, v12
	v_fma_f32 v18, -v11, v15, v14
	s_delay_alu instid0(VALU_DEP_1) | instskip(NEXT) | instid1(VALU_DEP_1)
	v_fmac_f32_e32 v15, v18, v12
	v_fma_f32 v11, -v11, v15, v14
	s_delay_alu instid0(VALU_DEP_1) | instskip(NEXT) | instid1(VALU_DEP_1)
	v_div_fmas_f32 v11, v11, v12, v15
	v_div_fixup_f32 v12, v11, v10, 1.0
	s_delay_alu instid0(VALU_DEP_1)
	v_mul_f32_e64 v13, v13, -v12
.LBB101_277:
	s_or_b32 exec_lo, exec_lo, s1
	ds_store_b64 v103, v[12:13]
.LBB101_278:
	s_or_b32 exec_lo, exec_lo, s2
	s_wait_dscnt 0x0
	s_barrier_signal -1
	s_barrier_wait -1
	ds_load_b64 v[10:11], v103
	s_mov_b32 s1, exec_lo
	v_cmpx_lt_u32_e32 30, v102
	s_cbranch_execz .LBB101_280
; %bb.279:
	ds_load_2addr_b64 v[28:31], v104 offset0:31 offset1:32
	s_wait_dscnt 0x1
	v_pk_mul_f32 v[14:15], v[10:11], v[126:127] op_sel:[1,1] op_sel_hi:[0,1]
	s_delay_alu instid0(VALU_DEP_1) | instskip(SKIP_1) | instid1(VALU_DEP_1)
	v_pk_fma_f32 v[12:13], v[10:11], v[126:127], v[14:15] op_sel_hi:[1,0,1] neg_lo:[0,0,1] neg_hi:[0,0,1]
	v_pk_fma_f32 v[14:15], v[10:11], v[126:127], v[14:15] op_sel_hi:[1,0,1]
	v_dual_mov_b32 v126, v12 :: v_dual_mov_b32 v127, v15
	s_wait_dscnt 0x0
	s_delay_alu instid0(VALU_DEP_2) | instskip(NEXT) | instid1(VALU_DEP_1)
	v_pk_mul_f32 v[18:19], v[28:29], v[14:15] op_sel:[0,1]
	v_pk_fma_f32 v[32:33], v[28:29], v[12:13], v[18:19] op_sel:[0,0,1] op_sel_hi:[1,1,0] neg_lo:[0,0,1] neg_hi:[0,0,1]
	v_pk_fma_f32 v[18:19], v[28:29], v[12:13], v[18:19] op_sel:[0,0,1] op_sel_hi:[1,0,0]
	s_delay_alu instid0(VALU_DEP_1) | instskip(SKIP_1) | instid1(VALU_DEP_1)
	v_mov_b32_e32 v33, v19
	v_pk_mul_f32 v[18:19], v[30:31], v[14:15] op_sel:[0,1]
	v_pk_fma_f32 v[28:29], v[30:31], v[12:13], v[18:19] op_sel:[0,0,1] op_sel_hi:[1,1,0] neg_lo:[0,0,1] neg_hi:[0,0,1]
	v_pk_fma_f32 v[18:19], v[30:31], v[12:13], v[18:19] op_sel:[0,0,1] op_sel_hi:[1,0,0]
	s_delay_alu instid0(VALU_DEP_1) | instskip(SKIP_1) | instid1(VALU_DEP_2)
	v_mov_b32_e32 v29, v19
	v_pk_add_f32 v[122:123], v[122:123], v[32:33] neg_lo:[0,1] neg_hi:[0,1]
	v_pk_add_f32 v[146:147], v[146:147], v[28:29] neg_lo:[0,1] neg_hi:[0,1]
	ds_load_2addr_b64 v[28:31], v104 offset0:33 offset1:34
	s_wait_dscnt 0x0
	v_pk_mul_f32 v[18:19], v[28:29], v[14:15] op_sel:[0,1]
	s_delay_alu instid0(VALU_DEP_1) | instskip(SKIP_2) | instid1(VALU_DEP_2)
	v_pk_fma_f32 v[32:33], v[28:29], v[12:13], v[18:19] op_sel:[0,0,1] op_sel_hi:[1,1,0] neg_lo:[0,0,1] neg_hi:[0,0,1]
	v_pk_fma_f32 v[18:19], v[28:29], v[12:13], v[18:19] op_sel:[0,0,1] op_sel_hi:[1,0,0]
	v_dual_mul_f32 v28, v31, v15 :: v_dual_mov_b32 v18, v31
	v_dual_mov_b32 v33, v19 :: v_dual_mov_b32 v19, v30
	s_delay_alu instid0(VALU_DEP_2) | instskip(SKIP_1) | instid1(VALU_DEP_3)
	v_pk_fma_f32 v[28:29], v[30:31], v[126:127], v[28:29] op_sel_hi:[1,1,0] neg_lo:[0,0,1] neg_hi:[0,0,1]
	v_mul_f32_e32 v30, v31, v12
	v_pk_add_f32 v[142:143], v[142:143], v[32:33] neg_lo:[0,1] neg_hi:[0,1]
	s_delay_alu instid0(VALU_DEP_2) | instskip(NEXT) | instid1(VALU_DEP_1)
	v_pk_fma_f32 v[18:19], v[18:19], v[126:127], v[30:31] op_sel_hi:[1,1,0]
	v_mov_b32_e32 v29, v19
	s_delay_alu instid0(VALU_DEP_1) | instskip(SKIP_3) | instid1(VALU_DEP_1)
	v_pk_add_f32 v[144:145], v[144:145], v[28:29] neg_lo:[0,1] neg_hi:[0,1]
	ds_load_2addr_b64 v[28:31], v104 offset0:35 offset1:36
	s_wait_dscnt 0x0
	v_pk_mul_f32 v[18:19], v[28:29], v[14:15] op_sel:[0,1]
	v_pk_fma_f32 v[32:33], v[28:29], v[12:13], v[18:19] op_sel:[0,0,1] op_sel_hi:[1,1,0] neg_lo:[0,0,1] neg_hi:[0,0,1]
	v_pk_fma_f32 v[18:19], v[28:29], v[12:13], v[18:19] op_sel:[0,0,1] op_sel_hi:[1,0,0]
	s_delay_alu instid0(VALU_DEP_1) | instskip(SKIP_1) | instid1(VALU_DEP_2)
	v_mov_b32_e32 v33, v19
	v_pk_mul_f32 v[18:19], v[30:31], v[14:15] op_sel:[0,1]
	v_pk_add_f32 v[140:141], v[140:141], v[32:33] neg_lo:[0,1] neg_hi:[0,1]
	s_delay_alu instid0(VALU_DEP_2) | instskip(SKIP_1) | instid1(VALU_DEP_1)
	v_pk_fma_f32 v[28:29], v[30:31], v[12:13], v[18:19] op_sel:[0,0,1] op_sel_hi:[1,1,0] neg_lo:[0,0,1] neg_hi:[0,0,1]
	v_pk_fma_f32 v[18:19], v[30:31], v[12:13], v[18:19] op_sel:[0,0,1] op_sel_hi:[1,0,0]
	v_mov_b32_e32 v29, v19
	s_delay_alu instid0(VALU_DEP_1) | instskip(SKIP_3) | instid1(VALU_DEP_1)
	v_pk_add_f32 v[162:163], v[162:163], v[28:29] neg_lo:[0,1] neg_hi:[0,1]
	ds_load_2addr_b64 v[28:31], v104 offset0:37 offset1:38
	s_wait_dscnt 0x0
	v_pk_mul_f32 v[18:19], v[28:29], v[14:15] op_sel:[0,1]
	v_pk_fma_f32 v[32:33], v[28:29], v[12:13], v[18:19] op_sel:[0,0,1] op_sel_hi:[1,1,0] neg_lo:[0,0,1] neg_hi:[0,0,1]
	v_pk_fma_f32 v[18:19], v[28:29], v[12:13], v[18:19] op_sel:[0,0,1] op_sel_hi:[1,0,0]
	s_delay_alu instid0(VALU_DEP_1) | instskip(SKIP_1) | instid1(VALU_DEP_2)
	v_mov_b32_e32 v33, v19
	v_pk_mul_f32 v[18:19], v[30:31], v[14:15] op_sel:[0,1]
	v_pk_add_f32 v[158:159], v[158:159], v[32:33] neg_lo:[0,1] neg_hi:[0,1]
	s_delay_alu instid0(VALU_DEP_2) | instskip(SKIP_1) | instid1(VALU_DEP_1)
	v_pk_fma_f32 v[28:29], v[30:31], v[12:13], v[18:19] op_sel:[0,0,1] op_sel_hi:[1,1,0] neg_lo:[0,0,1] neg_hi:[0,0,1]
	v_pk_fma_f32 v[18:19], v[30:31], v[12:13], v[18:19] op_sel:[0,0,1] op_sel_hi:[1,0,0]
	v_mov_b32_e32 v29, v19
	s_delay_alu instid0(VALU_DEP_1) | instskip(SKIP_3) | instid1(VALU_DEP_1)
	v_pk_add_f32 v[160:161], v[160:161], v[28:29] neg_lo:[0,1] neg_hi:[0,1]
	ds_load_2addr_b64 v[28:31], v104 offset0:39 offset1:40
	s_wait_dscnt 0x0
	v_dual_mul_f32 v18, v29, v15 :: v_dual_mul_f32 v32, v29, v12
	v_pk_fma_f32 v[18:19], v[28:29], v[126:127], v[18:19] op_sel_hi:[1,1,0] neg_lo:[0,0,1] neg_hi:[0,0,1]
	s_delay_alu instid0(VALU_DEP_2) | instskip(NEXT) | instid1(VALU_DEP_1)
	v_pk_fma_f32 v[28:29], v[28:29], v[126:127], v[32:33] op_sel:[1,0,0] op_sel_hi:[0,1,0]
	v_mov_b32_e32 v19, v29
	s_delay_alu instid0(VALU_DEP_1) | instskip(SKIP_1) | instid1(VALU_DEP_1)
	v_pk_add_f32 v[156:157], v[156:157], v[18:19] neg_lo:[0,1] neg_hi:[0,1]
	v_pk_mul_f32 v[18:19], v[30:31], v[14:15] op_sel:[0,1]
	v_pk_fma_f32 v[28:29], v[30:31], v[12:13], v[18:19] op_sel:[0,0,1] op_sel_hi:[1,1,0] neg_lo:[0,0,1] neg_hi:[0,0,1]
	v_pk_fma_f32 v[18:19], v[30:31], v[12:13], v[18:19] op_sel:[0,0,1] op_sel_hi:[1,0,0]
	s_delay_alu instid0(VALU_DEP_1) | instskip(NEXT) | instid1(VALU_DEP_1)
	v_mov_b32_e32 v29, v19
	v_pk_add_f32 v[180:181], v[180:181], v[28:29] neg_lo:[0,1] neg_hi:[0,1]
	ds_load_2addr_b64 v[28:31], v104 offset0:41 offset1:42
	s_wait_dscnt 0x0
	v_pk_mul_f32 v[18:19], v[28:29], v[14:15] op_sel:[0,1]
	s_delay_alu instid0(VALU_DEP_1) | instskip(SKIP_1) | instid1(VALU_DEP_1)
	v_pk_fma_f32 v[32:33], v[28:29], v[12:13], v[18:19] op_sel:[0,0,1] op_sel_hi:[1,1,0] neg_lo:[0,0,1] neg_hi:[0,0,1]
	v_pk_fma_f32 v[18:19], v[28:29], v[12:13], v[18:19] op_sel:[0,0,1] op_sel_hi:[1,0,0]
	v_mov_b32_e32 v33, v19
	v_pk_mul_f32 v[18:19], v[30:31], v[14:15] op_sel:[0,1]
	s_delay_alu instid0(VALU_DEP_2) | instskip(NEXT) | instid1(VALU_DEP_2)
	v_pk_add_f32 v[176:177], v[176:177], v[32:33] neg_lo:[0,1] neg_hi:[0,1]
	v_pk_fma_f32 v[28:29], v[30:31], v[12:13], v[18:19] op_sel:[0,0,1] op_sel_hi:[1,1,0] neg_lo:[0,0,1] neg_hi:[0,0,1]
	v_pk_fma_f32 v[18:19], v[30:31], v[12:13], v[18:19] op_sel:[0,0,1] op_sel_hi:[1,0,0]
	s_delay_alu instid0(VALU_DEP_1) | instskip(NEXT) | instid1(VALU_DEP_1)
	v_mov_b32_e32 v29, v19
	v_pk_add_f32 v[178:179], v[178:179], v[28:29] neg_lo:[0,1] neg_hi:[0,1]
	ds_load_2addr_b64 v[28:31], v104 offset0:43 offset1:44
	s_wait_dscnt 0x0
	v_pk_mul_f32 v[18:19], v[28:29], v[14:15] op_sel:[0,1]
	s_delay_alu instid0(VALU_DEP_1) | instskip(SKIP_2) | instid1(VALU_DEP_2)
	v_pk_fma_f32 v[32:33], v[28:29], v[12:13], v[18:19] op_sel:[0,0,1] op_sel_hi:[1,1,0] neg_lo:[0,0,1] neg_hi:[0,0,1]
	v_pk_fma_f32 v[18:19], v[28:29], v[12:13], v[18:19] op_sel:[0,0,1] op_sel_hi:[1,0,0]
	v_dual_mul_f32 v28, v31, v15 :: v_dual_mov_b32 v18, v31
	v_dual_mov_b32 v33, v19 :: v_dual_mov_b32 v19, v30
	s_delay_alu instid0(VALU_DEP_2) | instskip(SKIP_1) | instid1(VALU_DEP_3)
	v_pk_fma_f32 v[28:29], v[30:31], v[126:127], v[28:29] op_sel_hi:[1,1,0] neg_lo:[0,0,1] neg_hi:[0,0,1]
	v_mul_f32_e32 v30, v31, v12
	v_pk_add_f32 v[174:175], v[174:175], v[32:33] neg_lo:[0,1] neg_hi:[0,1]
	s_delay_alu instid0(VALU_DEP_2) | instskip(NEXT) | instid1(VALU_DEP_1)
	v_pk_fma_f32 v[18:19], v[18:19], v[126:127], v[30:31] op_sel_hi:[1,1,0]
	v_mov_b32_e32 v29, v19
	s_delay_alu instid0(VALU_DEP_1) | instskip(SKIP_3) | instid1(VALU_DEP_1)
	v_pk_add_f32 v[200:201], v[200:201], v[28:29] neg_lo:[0,1] neg_hi:[0,1]
	ds_load_2addr_b64 v[28:31], v104 offset0:45 offset1:46
	s_wait_dscnt 0x0
	v_pk_mul_f32 v[18:19], v[28:29], v[14:15] op_sel:[0,1]
	v_pk_fma_f32 v[32:33], v[28:29], v[12:13], v[18:19] op_sel:[0,0,1] op_sel_hi:[1,1,0] neg_lo:[0,0,1] neg_hi:[0,0,1]
	v_pk_fma_f32 v[18:19], v[28:29], v[12:13], v[18:19] op_sel:[0,0,1] op_sel_hi:[1,0,0]
	s_delay_alu instid0(VALU_DEP_1) | instskip(SKIP_1) | instid1(VALU_DEP_2)
	v_mov_b32_e32 v33, v19
	v_pk_mul_f32 v[18:19], v[30:31], v[14:15] op_sel:[0,1]
	v_pk_add_f32 v[194:195], v[194:195], v[32:33] neg_lo:[0,1] neg_hi:[0,1]
	s_delay_alu instid0(VALU_DEP_2) | instskip(SKIP_1) | instid1(VALU_DEP_1)
	v_pk_fma_f32 v[28:29], v[30:31], v[12:13], v[18:19] op_sel:[0,0,1] op_sel_hi:[1,1,0] neg_lo:[0,0,1] neg_hi:[0,0,1]
	v_pk_fma_f32 v[18:19], v[30:31], v[12:13], v[18:19] op_sel:[0,0,1] op_sel_hi:[1,0,0]
	v_mov_b32_e32 v29, v19
	s_delay_alu instid0(VALU_DEP_1) | instskip(SKIP_3) | instid1(VALU_DEP_1)
	v_pk_add_f32 v[198:199], v[198:199], v[28:29] neg_lo:[0,1] neg_hi:[0,1]
	ds_load_2addr_b64 v[28:31], v104 offset0:47 offset1:48
	s_wait_dscnt 0x0
	v_pk_mul_f32 v[18:19], v[28:29], v[14:15] op_sel:[0,1]
	v_pk_fma_f32 v[32:33], v[28:29], v[12:13], v[18:19] op_sel:[0,0,1] op_sel_hi:[1,1,0] neg_lo:[0,0,1] neg_hi:[0,0,1]
	v_pk_fma_f32 v[18:19], v[28:29], v[12:13], v[18:19] op_sel:[0,0,1] op_sel_hi:[1,0,0]
	s_delay_alu instid0(VALU_DEP_1) | instskip(SKIP_1) | instid1(VALU_DEP_2)
	v_mov_b32_e32 v33, v19
	v_pk_mul_f32 v[18:19], v[30:31], v[14:15] op_sel:[0,1]
	v_pk_add_f32 v[192:193], v[192:193], v[32:33] neg_lo:[0,1] neg_hi:[0,1]
	s_delay_alu instid0(VALU_DEP_2) | instskip(SKIP_1) | instid1(VALU_DEP_1)
	v_pk_fma_f32 v[28:29], v[30:31], v[12:13], v[18:19] op_sel:[0,0,1] op_sel_hi:[1,1,0] neg_lo:[0,0,1] neg_hi:[0,0,1]
	v_pk_fma_f32 v[18:19], v[30:31], v[12:13], v[18:19] op_sel:[0,0,1] op_sel_hi:[1,0,0]
	v_mov_b32_e32 v29, v19
	s_delay_alu instid0(VALU_DEP_1) | instskip(SKIP_4) | instid1(VALU_DEP_2)
	v_pk_add_f32 v[196:197], v[196:197], v[28:29] neg_lo:[0,1] neg_hi:[0,1]
	ds_load_2addr_b64 v[28:31], v104 offset0:49 offset1:50
	s_wait_dscnt 0x0
	v_dual_mul_f32 v18, v29, v15 :: v_dual_mul_f32 v32, v29, v12
	v_pk_mul_f32 v[14:15], v[30:31], v[14:15] op_sel:[0,1]
	v_pk_fma_f32 v[18:19], v[28:29], v[126:127], v[18:19] op_sel_hi:[1,1,0] neg_lo:[0,0,1] neg_hi:[0,0,1]
	s_delay_alu instid0(VALU_DEP_3) | instskip(NEXT) | instid1(VALU_DEP_1)
	v_pk_fma_f32 v[28:29], v[28:29], v[126:127], v[32:33] op_sel:[1,0,0] op_sel_hi:[0,1,0]
	v_mov_b32_e32 v19, v29
	s_delay_alu instid0(VALU_DEP_1) | instskip(SKIP_2) | instid1(VALU_DEP_1)
	v_pk_add_f32 v[202:203], v[202:203], v[18:19] neg_lo:[0,1] neg_hi:[0,1]
	v_pk_fma_f32 v[18:19], v[30:31], v[12:13], v[14:15] op_sel:[0,0,1] op_sel_hi:[1,1,0] neg_lo:[0,0,1] neg_hi:[0,0,1]
	v_pk_fma_f32 v[12:13], v[30:31], v[12:13], v[14:15] op_sel:[0,0,1] op_sel_hi:[1,0,0]
	v_mov_b32_e32 v19, v13
	s_delay_alu instid0(VALU_DEP_1)
	v_pk_add_f32 v[204:205], v[204:205], v[18:19] neg_lo:[0,1] neg_hi:[0,1]
.LBB101_280:
	s_or_b32 exec_lo, exec_lo, s1
	s_delay_alu instid0(SALU_CYCLE_1)
	s_mov_b32 s2, exec_lo
	s_wait_dscnt 0x0
	s_barrier_signal -1
	s_barrier_wait -1
	v_cmpx_eq_u32_e32 31, v102
	s_cbranch_execz .LBB101_287
; %bb.281:
	v_dual_mov_b32 v12, v146 :: v_dual_mov_b32 v13, v147
	v_dual_mov_b32 v14, v142 :: v_dual_mov_b32 v15, v143
	ds_store_b64 v103, v[122:123]
	ds_store_2addr_b64 v104, v[12:13], v[14:15] offset0:32 offset1:33
	v_dual_mov_b32 v12, v144 :: v_dual_mov_b32 v13, v145
	v_dual_mov_b32 v14, v140 :: v_dual_mov_b32 v15, v141
	ds_store_2addr_b64 v104, v[12:13], v[14:15] offset0:34 offset1:35
	v_dual_mov_b32 v12, v162 :: v_dual_mov_b32 v13, v163
	v_dual_mov_b32 v14, v158 :: v_dual_mov_b32 v15, v159
	;; [unrolled: 3-line block ×8, first 2 shown]
	ds_store_2addr_b64 v104, v[12:13], v[14:15] offset0:48 offset1:49
	ds_store_b64 v104, v[204:205] offset:400
	ds_load_b64 v[12:13], v103
	s_wait_dscnt 0x0
	v_cmp_neq_f32_e32 vcc_lo, 0, v12
	v_cmp_neq_f32_e64 s1, 0, v13
	s_or_b32 s1, vcc_lo, s1
	s_delay_alu instid0(SALU_CYCLE_1)
	s_and_b32 exec_lo, exec_lo, s1
	s_cbranch_execz .LBB101_287
; %bb.282:
	v_cmp_ngt_f32_e64 s1, |v12|, |v13|
                                        ; implicit-def: $vgpr14_vgpr15
	s_and_saveexec_b32 s4, s1
	s_delay_alu instid0(SALU_CYCLE_1)
	s_xor_b32 s1, exec_lo, s4
	s_cbranch_execz .LBB101_284
; %bb.283:
	v_div_scale_f32 v14, null, v13, v13, v12
	v_div_scale_f32 v19, vcc_lo, v12, v13, v12
	s_delay_alu instid0(VALU_DEP_2) | instskip(SKIP_1) | instid1(TRANS32_DEP_1)
	v_rcp_f32_e32 v15, v14
	v_nop
	v_fma_f32 v18, -v14, v15, 1.0
	s_delay_alu instid0(VALU_DEP_1) | instskip(NEXT) | instid1(VALU_DEP_1)
	v_fmac_f32_e32 v15, v18, v15
	v_mul_f32_e32 v18, v19, v15
	s_delay_alu instid0(VALU_DEP_1) | instskip(NEXT) | instid1(VALU_DEP_1)
	v_fma_f32 v28, -v14, v18, v19
	v_fmac_f32_e32 v18, v28, v15
	s_delay_alu instid0(VALU_DEP_1) | instskip(NEXT) | instid1(VALU_DEP_1)
	v_fma_f32 v14, -v14, v18, v19
	v_div_fmas_f32 v14, v14, v15, v18
	s_delay_alu instid0(VALU_DEP_1) | instskip(NEXT) | instid1(VALU_DEP_1)
	v_div_fixup_f32 v14, v14, v13, v12
	v_fmac_f32_e32 v13, v12, v14
	s_delay_alu instid0(VALU_DEP_1) | instskip(SKIP_1) | instid1(VALU_DEP_2)
	v_div_scale_f32 v12, null, v13, v13, 1.0
	v_div_scale_f32 v19, vcc_lo, 1.0, v13, 1.0
	v_rcp_f32_e32 v15, v12
	v_nop
	s_delay_alu instid0(TRANS32_DEP_1) | instskip(NEXT) | instid1(VALU_DEP_1)
	v_fma_f32 v18, -v12, v15, 1.0
	v_fmac_f32_e32 v15, v18, v15
	s_delay_alu instid0(VALU_DEP_1) | instskip(NEXT) | instid1(VALU_DEP_1)
	v_mul_f32_e32 v18, v19, v15
	v_fma_f32 v28, -v12, v18, v19
	s_delay_alu instid0(VALU_DEP_1) | instskip(NEXT) | instid1(VALU_DEP_1)
	v_fmac_f32_e32 v18, v28, v15
	v_fma_f32 v12, -v12, v18, v19
	s_delay_alu instid0(VALU_DEP_1) | instskip(NEXT) | instid1(VALU_DEP_1)
	v_div_fmas_f32 v12, v12, v15, v18
	v_div_fixup_f32 v12, v12, v13, 1.0
	s_delay_alu instid0(VALU_DEP_1)
	v_mul_f32_e32 v14, v14, v12
	v_xor_b32_e32 v15, 0x80000000, v12
                                        ; implicit-def: $vgpr12_vgpr13
.LBB101_284:
	s_and_not1_saveexec_b32 s1, s1
	s_cbranch_execz .LBB101_286
; %bb.285:
	v_div_scale_f32 v14, null, v12, v12, v13
	v_div_scale_f32 v19, vcc_lo, v13, v12, v13
	s_delay_alu instid0(VALU_DEP_2) | instskip(SKIP_1) | instid1(TRANS32_DEP_1)
	v_rcp_f32_e32 v15, v14
	v_nop
	v_fma_f32 v18, -v14, v15, 1.0
	s_delay_alu instid0(VALU_DEP_1) | instskip(NEXT) | instid1(VALU_DEP_1)
	v_fmac_f32_e32 v15, v18, v15
	v_mul_f32_e32 v18, v19, v15
	s_delay_alu instid0(VALU_DEP_1) | instskip(NEXT) | instid1(VALU_DEP_1)
	v_fma_f32 v28, -v14, v18, v19
	v_fmac_f32_e32 v18, v28, v15
	s_delay_alu instid0(VALU_DEP_1) | instskip(NEXT) | instid1(VALU_DEP_1)
	v_fma_f32 v14, -v14, v18, v19
	v_div_fmas_f32 v14, v14, v15, v18
	s_delay_alu instid0(VALU_DEP_1) | instskip(NEXT) | instid1(VALU_DEP_1)
	v_div_fixup_f32 v15, v14, v12, v13
	v_fmac_f32_e32 v12, v13, v15
	s_delay_alu instid0(VALU_DEP_1) | instskip(NEXT) | instid1(VALU_DEP_1)
	v_div_scale_f32 v13, null, v12, v12, 1.0
	v_rcp_f32_e32 v14, v13
	v_nop
	s_delay_alu instid0(TRANS32_DEP_1) | instskip(NEXT) | instid1(VALU_DEP_1)
	v_fma_f32 v18, -v13, v14, 1.0
	v_fmac_f32_e32 v14, v18, v14
	v_div_scale_f32 v18, vcc_lo, 1.0, v12, 1.0
	s_delay_alu instid0(VALU_DEP_1) | instskip(NEXT) | instid1(VALU_DEP_1)
	v_mul_f32_e32 v19, v18, v14
	v_fma_f32 v28, -v13, v19, v18
	s_delay_alu instid0(VALU_DEP_1) | instskip(NEXT) | instid1(VALU_DEP_1)
	v_fmac_f32_e32 v19, v28, v14
	v_fma_f32 v13, -v13, v19, v18
	s_delay_alu instid0(VALU_DEP_1) | instskip(NEXT) | instid1(VALU_DEP_1)
	v_div_fmas_f32 v13, v13, v14, v19
	v_div_fixup_f32 v14, v13, v12, 1.0
	s_delay_alu instid0(VALU_DEP_1)
	v_mul_f32_e64 v15, v15, -v14
.LBB101_286:
	s_or_b32 exec_lo, exec_lo, s1
	ds_store_b64 v103, v[14:15]
.LBB101_287:
	s_or_b32 exec_lo, exec_lo, s2
	s_wait_dscnt 0x0
	s_barrier_signal -1
	s_barrier_wait -1
	ds_load_b64 v[12:13], v103
	s_mov_b32 s1, exec_lo
	v_cmpx_lt_u32_e32 31, v102
	s_cbranch_execz .LBB101_289
; %bb.288:
	ds_load_2addr_b64 v[28:31], v104 offset0:32 offset1:33
	s_wait_dscnt 0x1
	v_pk_mul_f32 v[18:19], v[12:13], v[122:123] op_sel:[1,1] op_sel_hi:[0,1]
	s_delay_alu instid0(VALU_DEP_1) | instskip(SKIP_1) | instid1(VALU_DEP_1)
	v_pk_fma_f32 v[14:15], v[12:13], v[122:123], v[18:19] op_sel_hi:[1,0,1] neg_lo:[0,0,1] neg_hi:[0,0,1]
	v_pk_fma_f32 v[18:19], v[12:13], v[122:123], v[18:19] op_sel_hi:[1,0,1]
	v_dual_mov_b32 v122, v14 :: v_dual_mov_b32 v123, v19
	s_wait_dscnt 0x0
	s_delay_alu instid0(VALU_DEP_2) | instskip(NEXT) | instid1(VALU_DEP_1)
	v_pk_mul_f32 v[32:33], v[28:29], v[18:19] op_sel:[0,1]
	v_pk_fma_f32 v[42:43], v[28:29], v[14:15], v[32:33] op_sel:[0,0,1] op_sel_hi:[1,1,0] neg_lo:[0,0,1] neg_hi:[0,0,1]
	v_pk_fma_f32 v[28:29], v[28:29], v[14:15], v[32:33] op_sel:[0,0,1] op_sel_hi:[1,0,0]
	s_delay_alu instid0(VALU_DEP_1) | instskip(SKIP_1) | instid1(VALU_DEP_1)
	v_mov_b32_e32 v43, v29
	v_pk_mul_f32 v[28:29], v[30:31], v[18:19] op_sel:[0,1]
	v_pk_fma_f32 v[32:33], v[30:31], v[14:15], v[28:29] op_sel:[0,0,1] op_sel_hi:[1,1,0] neg_lo:[0,0,1] neg_hi:[0,0,1]
	v_pk_fma_f32 v[28:29], v[30:31], v[14:15], v[28:29] op_sel:[0,0,1] op_sel_hi:[1,0,0]
	s_delay_alu instid0(VALU_DEP_1)
	v_mov_b32_e32 v33, v29
	ds_load_2addr_b64 v[28:31], v104 offset0:34 offset1:35
	v_pk_add_f32 v[146:147], v[146:147], v[42:43] neg_lo:[0,1] neg_hi:[0,1]
	v_pk_add_f32 v[142:143], v[142:143], v[32:33] neg_lo:[0,1] neg_hi:[0,1]
	s_wait_dscnt 0x0
	v_pk_mul_f32 v[32:33], v[28:29], v[18:19] op_sel:[0,1]
	s_delay_alu instid0(VALU_DEP_1) | instskip(SKIP_2) | instid1(VALU_DEP_2)
	v_pk_fma_f32 v[42:43], v[28:29], v[14:15], v[32:33] op_sel:[0,0,1] op_sel_hi:[1,1,0] neg_lo:[0,0,1] neg_hi:[0,0,1]
	v_pk_fma_f32 v[28:29], v[28:29], v[14:15], v[32:33] op_sel:[0,0,1] op_sel_hi:[1,0,0]
	v_dual_mul_f32 v32, v31, v19 :: v_dual_mov_b32 v28, v31
	v_dual_mov_b32 v43, v29 :: v_dual_mov_b32 v29, v30
	s_delay_alu instid0(VALU_DEP_2) | instskip(SKIP_1) | instid1(VALU_DEP_3)
	v_pk_fma_f32 v[32:33], v[30:31], v[122:123], v[32:33] op_sel_hi:[1,1,0] neg_lo:[0,0,1] neg_hi:[0,0,1]
	v_mul_f32_e32 v30, v31, v14
	v_pk_add_f32 v[144:145], v[144:145], v[42:43] neg_lo:[0,1] neg_hi:[0,1]
	s_delay_alu instid0(VALU_DEP_2) | instskip(NEXT) | instid1(VALU_DEP_1)
	v_pk_fma_f32 v[28:29], v[28:29], v[122:123], v[30:31] op_sel_hi:[1,1,0]
	v_mov_b32_e32 v33, v29
	ds_load_2addr_b64 v[28:31], v104 offset0:36 offset1:37
	v_pk_add_f32 v[140:141], v[140:141], v[32:33] neg_lo:[0,1] neg_hi:[0,1]
	s_wait_dscnt 0x0
	v_pk_mul_f32 v[32:33], v[28:29], v[18:19] op_sel:[0,1]
	s_delay_alu instid0(VALU_DEP_1) | instskip(SKIP_1) | instid1(VALU_DEP_1)
	v_pk_fma_f32 v[42:43], v[28:29], v[14:15], v[32:33] op_sel:[0,0,1] op_sel_hi:[1,1,0] neg_lo:[0,0,1] neg_hi:[0,0,1]
	v_pk_fma_f32 v[28:29], v[28:29], v[14:15], v[32:33] op_sel:[0,0,1] op_sel_hi:[1,0,0]
	v_mov_b32_e32 v43, v29
	v_pk_mul_f32 v[28:29], v[30:31], v[18:19] op_sel:[0,1]
	s_delay_alu instid0(VALU_DEP_1) | instskip(SKIP_1) | instid1(VALU_DEP_1)
	v_pk_fma_f32 v[32:33], v[30:31], v[14:15], v[28:29] op_sel:[0,0,1] op_sel_hi:[1,1,0] neg_lo:[0,0,1] neg_hi:[0,0,1]
	v_pk_fma_f32 v[28:29], v[30:31], v[14:15], v[28:29] op_sel:[0,0,1] op_sel_hi:[1,0,0]
	v_mov_b32_e32 v33, v29
	ds_load_2addr_b64 v[28:31], v104 offset0:38 offset1:39
	v_pk_add_f32 v[162:163], v[162:163], v[42:43] neg_lo:[0,1] neg_hi:[0,1]
	v_pk_add_f32 v[158:159], v[158:159], v[32:33] neg_lo:[0,1] neg_hi:[0,1]
	s_wait_dscnt 0x0
	v_pk_mul_f32 v[32:33], v[28:29], v[18:19] op_sel:[0,1]
	s_delay_alu instid0(VALU_DEP_1) | instskip(SKIP_1) | instid1(VALU_DEP_1)
	v_pk_fma_f32 v[42:43], v[28:29], v[14:15], v[32:33] op_sel:[0,0,1] op_sel_hi:[1,1,0] neg_lo:[0,0,1] neg_hi:[0,0,1]
	v_pk_fma_f32 v[28:29], v[28:29], v[14:15], v[32:33] op_sel:[0,0,1] op_sel_hi:[1,0,0]
	v_mov_b32_e32 v43, v29
	v_pk_mul_f32 v[28:29], v[30:31], v[18:19] op_sel:[0,1]
	s_delay_alu instid0(VALU_DEP_1) | instskip(SKIP_1) | instid1(VALU_DEP_1)
	v_pk_fma_f32 v[32:33], v[30:31], v[14:15], v[28:29] op_sel:[0,0,1] op_sel_hi:[1,1,0] neg_lo:[0,0,1] neg_hi:[0,0,1]
	v_pk_fma_f32 v[28:29], v[30:31], v[14:15], v[28:29] op_sel:[0,0,1] op_sel_hi:[1,0,0]
	v_mov_b32_e32 v33, v29
	ds_load_2addr_b64 v[28:31], v104 offset0:40 offset1:41
	v_pk_add_f32 v[160:161], v[160:161], v[42:43] neg_lo:[0,1] neg_hi:[0,1]
	v_pk_add_f32 v[156:157], v[156:157], v[32:33] neg_lo:[0,1] neg_hi:[0,1]
	s_wait_dscnt 0x0
	v_dual_mul_f32 v32, v29, v19 :: v_dual_mul_f32 v42, v29, v14
	s_delay_alu instid0(VALU_DEP_1) | instskip(NEXT) | instid1(VALU_DEP_2)
	v_pk_fma_f32 v[32:33], v[28:29], v[122:123], v[32:33] op_sel_hi:[1,1,0] neg_lo:[0,0,1] neg_hi:[0,0,1]
	v_pk_fma_f32 v[28:29], v[28:29], v[122:123], v[42:43] op_sel:[1,0,0] op_sel_hi:[0,1,0]
	s_delay_alu instid0(VALU_DEP_1) | instskip(SKIP_1) | instid1(VALU_DEP_2)
	v_mov_b32_e32 v33, v29
	v_pk_mul_f32 v[28:29], v[30:31], v[18:19] op_sel:[0,1]
	v_pk_add_f32 v[180:181], v[180:181], v[32:33] neg_lo:[0,1] neg_hi:[0,1]
	s_delay_alu instid0(VALU_DEP_2) | instskip(SKIP_1) | instid1(VALU_DEP_1)
	v_pk_fma_f32 v[32:33], v[30:31], v[14:15], v[28:29] op_sel:[0,0,1] op_sel_hi:[1,1,0] neg_lo:[0,0,1] neg_hi:[0,0,1]
	v_pk_fma_f32 v[28:29], v[30:31], v[14:15], v[28:29] op_sel:[0,0,1] op_sel_hi:[1,0,0]
	v_mov_b32_e32 v33, v29
	ds_load_2addr_b64 v[28:31], v104 offset0:42 offset1:43
	v_pk_add_f32 v[176:177], v[176:177], v[32:33] neg_lo:[0,1] neg_hi:[0,1]
	s_wait_dscnt 0x0
	v_pk_mul_f32 v[32:33], v[28:29], v[18:19] op_sel:[0,1]
	s_delay_alu instid0(VALU_DEP_1) | instskip(SKIP_1) | instid1(VALU_DEP_1)
	v_pk_fma_f32 v[42:43], v[28:29], v[14:15], v[32:33] op_sel:[0,0,1] op_sel_hi:[1,1,0] neg_lo:[0,0,1] neg_hi:[0,0,1]
	v_pk_fma_f32 v[28:29], v[28:29], v[14:15], v[32:33] op_sel:[0,0,1] op_sel_hi:[1,0,0]
	v_mov_b32_e32 v43, v29
	v_pk_mul_f32 v[28:29], v[30:31], v[18:19] op_sel:[0,1]
	s_delay_alu instid0(VALU_DEP_2) | instskip(NEXT) | instid1(VALU_DEP_2)
	v_pk_add_f32 v[178:179], v[178:179], v[42:43] neg_lo:[0,1] neg_hi:[0,1]
	v_pk_fma_f32 v[32:33], v[30:31], v[14:15], v[28:29] op_sel:[0,0,1] op_sel_hi:[1,1,0] neg_lo:[0,0,1] neg_hi:[0,0,1]
	v_pk_fma_f32 v[28:29], v[30:31], v[14:15], v[28:29] op_sel:[0,0,1] op_sel_hi:[1,0,0]
	s_delay_alu instid0(VALU_DEP_1) | instskip(SKIP_4) | instid1(VALU_DEP_1)
	v_mov_b32_e32 v33, v29
	ds_load_2addr_b64 v[28:31], v104 offset0:44 offset1:45
	v_pk_add_f32 v[174:175], v[174:175], v[32:33] neg_lo:[0,1] neg_hi:[0,1]
	s_wait_dscnt 0x0
	v_pk_mul_f32 v[32:33], v[28:29], v[18:19] op_sel:[0,1]
	v_pk_fma_f32 v[42:43], v[28:29], v[14:15], v[32:33] op_sel:[0,0,1] op_sel_hi:[1,1,0] neg_lo:[0,0,1] neg_hi:[0,0,1]
	v_pk_fma_f32 v[28:29], v[28:29], v[14:15], v[32:33] op_sel:[0,0,1] op_sel_hi:[1,0,0]
	v_dual_mul_f32 v32, v31, v19 :: v_dual_mov_b32 v28, v31
	s_delay_alu instid0(VALU_DEP_2) | instskip(NEXT) | instid1(VALU_DEP_2)
	v_dual_mov_b32 v43, v29 :: v_dual_mov_b32 v29, v30
	v_pk_fma_f32 v[32:33], v[30:31], v[122:123], v[32:33] op_sel_hi:[1,1,0] neg_lo:[0,0,1] neg_hi:[0,0,1]
	v_mul_f32_e32 v30, v31, v14
	s_delay_alu instid0(VALU_DEP_3) | instskip(NEXT) | instid1(VALU_DEP_2)
	v_pk_add_f32 v[200:201], v[200:201], v[42:43] neg_lo:[0,1] neg_hi:[0,1]
	v_pk_fma_f32 v[28:29], v[28:29], v[122:123], v[30:31] op_sel_hi:[1,1,0]
	s_delay_alu instid0(VALU_DEP_1) | instskip(SKIP_4) | instid1(VALU_DEP_1)
	v_mov_b32_e32 v33, v29
	ds_load_2addr_b64 v[28:31], v104 offset0:46 offset1:47
	v_pk_add_f32 v[194:195], v[194:195], v[32:33] neg_lo:[0,1] neg_hi:[0,1]
	s_wait_dscnt 0x0
	v_pk_mul_f32 v[32:33], v[28:29], v[18:19] op_sel:[0,1]
	v_pk_fma_f32 v[42:43], v[28:29], v[14:15], v[32:33] op_sel:[0,0,1] op_sel_hi:[1,1,0] neg_lo:[0,0,1] neg_hi:[0,0,1]
	v_pk_fma_f32 v[28:29], v[28:29], v[14:15], v[32:33] op_sel:[0,0,1] op_sel_hi:[1,0,0]
	s_delay_alu instid0(VALU_DEP_1) | instskip(SKIP_1) | instid1(VALU_DEP_1)
	v_mov_b32_e32 v43, v29
	v_pk_mul_f32 v[28:29], v[30:31], v[18:19] op_sel:[0,1]
	v_pk_fma_f32 v[32:33], v[30:31], v[14:15], v[28:29] op_sel:[0,0,1] op_sel_hi:[1,1,0] neg_lo:[0,0,1] neg_hi:[0,0,1]
	v_pk_fma_f32 v[28:29], v[30:31], v[14:15], v[28:29] op_sel:[0,0,1] op_sel_hi:[1,0,0]
	s_delay_alu instid0(VALU_DEP_1)
	v_mov_b32_e32 v33, v29
	ds_load_2addr_b64 v[28:31], v104 offset0:48 offset1:49
	v_pk_add_f32 v[198:199], v[198:199], v[42:43] neg_lo:[0,1] neg_hi:[0,1]
	v_pk_add_f32 v[192:193], v[192:193], v[32:33] neg_lo:[0,1] neg_hi:[0,1]
	s_wait_dscnt 0x0
	v_pk_mul_f32 v[32:33], v[28:29], v[18:19] op_sel:[0,1]
	s_delay_alu instid0(VALU_DEP_1) | instskip(SKIP_1) | instid1(VALU_DEP_1)
	v_pk_fma_f32 v[42:43], v[28:29], v[14:15], v[32:33] op_sel:[0,0,1] op_sel_hi:[1,1,0] neg_lo:[0,0,1] neg_hi:[0,0,1]
	v_pk_fma_f32 v[28:29], v[28:29], v[14:15], v[32:33] op_sel:[0,0,1] op_sel_hi:[1,0,0]
	v_mov_b32_e32 v43, v29
	v_pk_mul_f32 v[28:29], v[30:31], v[18:19] op_sel:[0,1]
	s_delay_alu instid0(VALU_DEP_1) | instskip(SKIP_1) | instid1(VALU_DEP_1)
	v_pk_fma_f32 v[32:33], v[30:31], v[14:15], v[28:29] op_sel:[0,0,1] op_sel_hi:[1,1,0] neg_lo:[0,0,1] neg_hi:[0,0,1]
	v_pk_fma_f32 v[28:29], v[30:31], v[14:15], v[28:29] op_sel:[0,0,1] op_sel_hi:[1,0,0]
	v_mov_b32_e32 v33, v29
	ds_load_b64 v[28:29], v104 offset:400
	v_pk_add_f32 v[196:197], v[196:197], v[42:43] neg_lo:[0,1] neg_hi:[0,1]
	v_pk_add_f32 v[202:203], v[202:203], v[32:33] neg_lo:[0,1] neg_hi:[0,1]
	s_wait_dscnt 0x0
	v_pk_mul_f32 v[18:19], v[28:29], v[18:19] op_sel:[0,1]
	s_delay_alu instid0(VALU_DEP_1) | instskip(SKIP_1) | instid1(VALU_DEP_1)
	v_pk_fma_f32 v[30:31], v[28:29], v[14:15], v[18:19] op_sel:[0,0,1] op_sel_hi:[1,1,0] neg_lo:[0,0,1] neg_hi:[0,0,1]
	v_pk_fma_f32 v[14:15], v[28:29], v[14:15], v[18:19] op_sel:[0,0,1] op_sel_hi:[1,0,0]
	v_mov_b32_e32 v31, v15
	s_delay_alu instid0(VALU_DEP_1)
	v_pk_add_f32 v[204:205], v[204:205], v[30:31] neg_lo:[0,1] neg_hi:[0,1]
.LBB101_289:
	s_or_b32 exec_lo, exec_lo, s1
	s_delay_alu instid0(SALU_CYCLE_1)
	s_mov_b32 s2, exec_lo
	s_wait_dscnt 0x0
	s_barrier_signal -1
	s_barrier_wait -1
	v_cmpx_eq_u32_e32 32, v102
	s_cbranch_execz .LBB101_296
; %bb.290:
	ds_store_b64 v103, v[146:147]
	ds_store_2addr_b64 v104, v[142:143], v[144:145] offset0:33 offset1:34
	ds_store_2addr_b64 v104, v[140:141], v[162:163] offset0:35 offset1:36
	;; [unrolled: 1-line block ×9, first 2 shown]
	ds_load_b64 v[14:15], v103
	s_wait_dscnt 0x0
	v_cmp_neq_f32_e32 vcc_lo, 0, v14
	v_cmp_neq_f32_e64 s1, 0, v15
	s_or_b32 s1, vcc_lo, s1
	s_delay_alu instid0(SALU_CYCLE_1)
	s_and_b32 exec_lo, exec_lo, s1
	s_cbranch_execz .LBB101_296
; %bb.291:
	v_cmp_ngt_f32_e64 s1, |v14|, |v15|
                                        ; implicit-def: $vgpr18_vgpr19
	s_and_saveexec_b32 s4, s1
	s_delay_alu instid0(SALU_CYCLE_1)
	s_xor_b32 s1, exec_lo, s4
	s_cbranch_execz .LBB101_293
; %bb.292:
	v_div_scale_f32 v18, null, v15, v15, v14
	v_div_scale_f32 v29, vcc_lo, v14, v15, v14
	s_delay_alu instid0(VALU_DEP_2) | instskip(SKIP_1) | instid1(TRANS32_DEP_1)
	v_rcp_f32_e32 v19, v18
	v_nop
	v_fma_f32 v28, -v18, v19, 1.0
	s_delay_alu instid0(VALU_DEP_1) | instskip(NEXT) | instid1(VALU_DEP_1)
	v_fmac_f32_e32 v19, v28, v19
	v_mul_f32_e32 v28, v29, v19
	s_delay_alu instid0(VALU_DEP_1) | instskip(NEXT) | instid1(VALU_DEP_1)
	v_fma_f32 v30, -v18, v28, v29
	v_fmac_f32_e32 v28, v30, v19
	s_delay_alu instid0(VALU_DEP_1) | instskip(NEXT) | instid1(VALU_DEP_1)
	v_fma_f32 v18, -v18, v28, v29
	v_div_fmas_f32 v18, v18, v19, v28
	s_delay_alu instid0(VALU_DEP_1) | instskip(NEXT) | instid1(VALU_DEP_1)
	v_div_fixup_f32 v18, v18, v15, v14
	v_fmac_f32_e32 v15, v14, v18
	s_delay_alu instid0(VALU_DEP_1) | instskip(SKIP_1) | instid1(VALU_DEP_2)
	v_div_scale_f32 v14, null, v15, v15, 1.0
	v_div_scale_f32 v29, vcc_lo, 1.0, v15, 1.0
	v_rcp_f32_e32 v19, v14
	v_nop
	s_delay_alu instid0(TRANS32_DEP_1) | instskip(NEXT) | instid1(VALU_DEP_1)
	v_fma_f32 v28, -v14, v19, 1.0
	v_fmac_f32_e32 v19, v28, v19
	s_delay_alu instid0(VALU_DEP_1) | instskip(NEXT) | instid1(VALU_DEP_1)
	v_mul_f32_e32 v28, v29, v19
	v_fma_f32 v30, -v14, v28, v29
	s_delay_alu instid0(VALU_DEP_1) | instskip(NEXT) | instid1(VALU_DEP_1)
	v_fmac_f32_e32 v28, v30, v19
	v_fma_f32 v14, -v14, v28, v29
	s_delay_alu instid0(VALU_DEP_1) | instskip(NEXT) | instid1(VALU_DEP_1)
	v_div_fmas_f32 v14, v14, v19, v28
	v_div_fixup_f32 v14, v14, v15, 1.0
	s_delay_alu instid0(VALU_DEP_1)
	v_mul_f32_e32 v18, v18, v14
	v_xor_b32_e32 v19, 0x80000000, v14
                                        ; implicit-def: $vgpr14_vgpr15
.LBB101_293:
	s_and_not1_saveexec_b32 s1, s1
	s_cbranch_execz .LBB101_295
; %bb.294:
	v_div_scale_f32 v18, null, v14, v14, v15
	v_div_scale_f32 v29, vcc_lo, v15, v14, v15
	s_delay_alu instid0(VALU_DEP_2) | instskip(SKIP_1) | instid1(TRANS32_DEP_1)
	v_rcp_f32_e32 v19, v18
	v_nop
	v_fma_f32 v28, -v18, v19, 1.0
	s_delay_alu instid0(VALU_DEP_1) | instskip(NEXT) | instid1(VALU_DEP_1)
	v_fmac_f32_e32 v19, v28, v19
	v_mul_f32_e32 v28, v29, v19
	s_delay_alu instid0(VALU_DEP_1) | instskip(NEXT) | instid1(VALU_DEP_1)
	v_fma_f32 v30, -v18, v28, v29
	v_fmac_f32_e32 v28, v30, v19
	s_delay_alu instid0(VALU_DEP_1) | instskip(NEXT) | instid1(VALU_DEP_1)
	v_fma_f32 v18, -v18, v28, v29
	v_div_fmas_f32 v18, v18, v19, v28
	s_delay_alu instid0(VALU_DEP_1) | instskip(NEXT) | instid1(VALU_DEP_1)
	v_div_fixup_f32 v19, v18, v14, v15
	v_fmac_f32_e32 v14, v15, v19
	s_delay_alu instid0(VALU_DEP_1) | instskip(NEXT) | instid1(VALU_DEP_1)
	v_div_scale_f32 v15, null, v14, v14, 1.0
	v_rcp_f32_e32 v18, v15
	v_nop
	s_delay_alu instid0(TRANS32_DEP_1) | instskip(NEXT) | instid1(VALU_DEP_1)
	v_fma_f32 v28, -v15, v18, 1.0
	v_fmac_f32_e32 v18, v28, v18
	v_div_scale_f32 v28, vcc_lo, 1.0, v14, 1.0
	s_delay_alu instid0(VALU_DEP_1) | instskip(NEXT) | instid1(VALU_DEP_1)
	v_mul_f32_e32 v29, v28, v18
	v_fma_f32 v30, -v15, v29, v28
	s_delay_alu instid0(VALU_DEP_1) | instskip(NEXT) | instid1(VALU_DEP_1)
	v_fmac_f32_e32 v29, v30, v18
	v_fma_f32 v15, -v15, v29, v28
	s_delay_alu instid0(VALU_DEP_1) | instskip(NEXT) | instid1(VALU_DEP_1)
	v_div_fmas_f32 v15, v15, v18, v29
	v_div_fixup_f32 v18, v15, v14, 1.0
	s_delay_alu instid0(VALU_DEP_1)
	v_mul_f32_e64 v19, v19, -v18
.LBB101_295:
	s_or_b32 exec_lo, exec_lo, s1
	ds_store_b64 v103, v[18:19]
.LBB101_296:
	s_or_b32 exec_lo, exec_lo, s2
	s_wait_dscnt 0x0
	s_barrier_signal -1
	s_barrier_wait -1
	ds_load_b64 v[14:15], v103
	s_mov_b32 s1, exec_lo
	v_cmpx_lt_u32_e32 32, v102
	s_cbranch_execz .LBB101_298
; %bb.297:
	ds_load_2addr_b64 v[30:33], v104 offset0:33 offset1:34
	s_wait_dscnt 0x1
	v_pk_mul_f32 v[28:29], v[14:15], v[146:147] op_sel:[1,1] op_sel_hi:[0,1]
	s_delay_alu instid0(VALU_DEP_1) | instskip(SKIP_1) | instid1(VALU_DEP_1)
	v_pk_fma_f32 v[18:19], v[14:15], v[146:147], v[28:29] op_sel_hi:[1,0,1] neg_lo:[0,0,1] neg_hi:[0,0,1]
	v_pk_fma_f32 v[28:29], v[14:15], v[146:147], v[28:29] op_sel_hi:[1,0,1]
	v_dual_mov_b32 v146, v18 :: v_dual_mov_b32 v147, v29
	s_wait_dscnt 0x0
	s_delay_alu instid0(VALU_DEP_2) | instskip(NEXT) | instid1(VALU_DEP_1)
	v_pk_mul_f32 v[42:43], v[30:31], v[28:29] op_sel:[0,1]
	v_pk_fma_f32 v[46:47], v[30:31], v[18:19], v[42:43] op_sel:[0,0,1] op_sel_hi:[1,1,0] neg_lo:[0,0,1] neg_hi:[0,0,1]
	v_pk_fma_f32 v[30:31], v[30:31], v[18:19], v[42:43] op_sel:[0,0,1] op_sel_hi:[1,0,0]
	s_delay_alu instid0(VALU_DEP_1) | instskip(SKIP_1) | instid1(VALU_DEP_1)
	v_mov_b32_e32 v47, v31
	v_pk_mul_f32 v[30:31], v[32:33], v[28:29] op_sel:[0,1]
	v_pk_fma_f32 v[42:43], v[32:33], v[18:19], v[30:31] op_sel:[0,0,1] op_sel_hi:[1,1,0] neg_lo:[0,0,1] neg_hi:[0,0,1]
	v_pk_fma_f32 v[30:31], v[32:33], v[18:19], v[30:31] op_sel:[0,0,1] op_sel_hi:[1,0,0]
	s_delay_alu instid0(VALU_DEP_1)
	v_mov_b32_e32 v43, v31
	ds_load_2addr_b64 v[30:33], v104 offset0:35 offset1:36
	v_pk_add_f32 v[142:143], v[142:143], v[46:47] neg_lo:[0,1] neg_hi:[0,1]
	v_pk_add_f32 v[144:145], v[144:145], v[42:43] neg_lo:[0,1] neg_hi:[0,1]
	s_wait_dscnt 0x0
	v_pk_mul_f32 v[42:43], v[30:31], v[28:29] op_sel:[0,1]
	s_delay_alu instid0(VALU_DEP_1) | instskip(SKIP_2) | instid1(VALU_DEP_2)
	v_pk_fma_f32 v[46:47], v[30:31], v[18:19], v[42:43] op_sel:[0,0,1] op_sel_hi:[1,1,0] neg_lo:[0,0,1] neg_hi:[0,0,1]
	v_pk_fma_f32 v[30:31], v[30:31], v[18:19], v[42:43] op_sel:[0,0,1] op_sel_hi:[1,0,0]
	v_dual_mul_f32 v42, v33, v29 :: v_dual_mov_b32 v30, v33
	v_dual_mov_b32 v47, v31 :: v_dual_mov_b32 v31, v32
	s_delay_alu instid0(VALU_DEP_2) | instskip(SKIP_1) | instid1(VALU_DEP_3)
	v_pk_fma_f32 v[42:43], v[32:33], v[146:147], v[42:43] op_sel_hi:[1,1,0] neg_lo:[0,0,1] neg_hi:[0,0,1]
	v_mul_f32_e32 v32, v33, v18
	v_pk_add_f32 v[140:141], v[140:141], v[46:47] neg_lo:[0,1] neg_hi:[0,1]
	s_delay_alu instid0(VALU_DEP_2) | instskip(NEXT) | instid1(VALU_DEP_1)
	v_pk_fma_f32 v[30:31], v[30:31], v[146:147], v[32:33] op_sel_hi:[1,1,0]
	v_mov_b32_e32 v43, v31
	ds_load_2addr_b64 v[30:33], v104 offset0:37 offset1:38
	v_pk_add_f32 v[162:163], v[162:163], v[42:43] neg_lo:[0,1] neg_hi:[0,1]
	s_wait_dscnt 0x0
	v_pk_mul_f32 v[42:43], v[30:31], v[28:29] op_sel:[0,1]
	s_delay_alu instid0(VALU_DEP_1) | instskip(SKIP_1) | instid1(VALU_DEP_1)
	v_pk_fma_f32 v[46:47], v[30:31], v[18:19], v[42:43] op_sel:[0,0,1] op_sel_hi:[1,1,0] neg_lo:[0,0,1] neg_hi:[0,0,1]
	v_pk_fma_f32 v[30:31], v[30:31], v[18:19], v[42:43] op_sel:[0,0,1] op_sel_hi:[1,0,0]
	v_mov_b32_e32 v47, v31
	v_pk_mul_f32 v[30:31], v[32:33], v[28:29] op_sel:[0,1]
	s_delay_alu instid0(VALU_DEP_1) | instskip(SKIP_1) | instid1(VALU_DEP_1)
	v_pk_fma_f32 v[42:43], v[32:33], v[18:19], v[30:31] op_sel:[0,0,1] op_sel_hi:[1,1,0] neg_lo:[0,0,1] neg_hi:[0,0,1]
	v_pk_fma_f32 v[30:31], v[32:33], v[18:19], v[30:31] op_sel:[0,0,1] op_sel_hi:[1,0,0]
	v_mov_b32_e32 v43, v31
	ds_load_2addr_b64 v[30:33], v104 offset0:39 offset1:40
	v_pk_add_f32 v[158:159], v[158:159], v[46:47] neg_lo:[0,1] neg_hi:[0,1]
	v_pk_add_f32 v[160:161], v[160:161], v[42:43] neg_lo:[0,1] neg_hi:[0,1]
	s_wait_dscnt 0x0
	v_pk_mul_f32 v[42:43], v[30:31], v[28:29] op_sel:[0,1]
	s_delay_alu instid0(VALU_DEP_1) | instskip(SKIP_1) | instid1(VALU_DEP_1)
	v_pk_fma_f32 v[46:47], v[30:31], v[18:19], v[42:43] op_sel:[0,0,1] op_sel_hi:[1,1,0] neg_lo:[0,0,1] neg_hi:[0,0,1]
	v_pk_fma_f32 v[30:31], v[30:31], v[18:19], v[42:43] op_sel:[0,0,1] op_sel_hi:[1,0,0]
	v_mov_b32_e32 v47, v31
	v_pk_mul_f32 v[30:31], v[32:33], v[28:29] op_sel:[0,1]
	s_delay_alu instid0(VALU_DEP_1) | instskip(SKIP_1) | instid1(VALU_DEP_1)
	v_pk_fma_f32 v[42:43], v[32:33], v[18:19], v[30:31] op_sel:[0,0,1] op_sel_hi:[1,1,0] neg_lo:[0,0,1] neg_hi:[0,0,1]
	v_pk_fma_f32 v[30:31], v[32:33], v[18:19], v[30:31] op_sel:[0,0,1] op_sel_hi:[1,0,0]
	v_mov_b32_e32 v43, v31
	ds_load_2addr_b64 v[30:33], v104 offset0:41 offset1:42
	v_pk_add_f32 v[156:157], v[156:157], v[46:47] neg_lo:[0,1] neg_hi:[0,1]
	v_pk_add_f32 v[180:181], v[180:181], v[42:43] neg_lo:[0,1] neg_hi:[0,1]
	s_wait_dscnt 0x0
	v_dual_mul_f32 v42, v31, v29 :: v_dual_mul_f32 v46, v31, v18
	s_delay_alu instid0(VALU_DEP_1) | instskip(NEXT) | instid1(VALU_DEP_2)
	v_pk_fma_f32 v[42:43], v[30:31], v[146:147], v[42:43] op_sel_hi:[1,1,0] neg_lo:[0,0,1] neg_hi:[0,0,1]
	v_pk_fma_f32 v[30:31], v[30:31], v[146:147], v[46:47] op_sel:[1,0,0] op_sel_hi:[0,1,0]
	s_delay_alu instid0(VALU_DEP_1) | instskip(SKIP_1) | instid1(VALU_DEP_2)
	v_mov_b32_e32 v43, v31
	v_pk_mul_f32 v[30:31], v[32:33], v[28:29] op_sel:[0,1]
	v_pk_add_f32 v[176:177], v[176:177], v[42:43] neg_lo:[0,1] neg_hi:[0,1]
	s_delay_alu instid0(VALU_DEP_2) | instskip(SKIP_1) | instid1(VALU_DEP_1)
	v_pk_fma_f32 v[42:43], v[32:33], v[18:19], v[30:31] op_sel:[0,0,1] op_sel_hi:[1,1,0] neg_lo:[0,0,1] neg_hi:[0,0,1]
	v_pk_fma_f32 v[30:31], v[32:33], v[18:19], v[30:31] op_sel:[0,0,1] op_sel_hi:[1,0,0]
	v_mov_b32_e32 v43, v31
	ds_load_2addr_b64 v[30:33], v104 offset0:43 offset1:44
	v_pk_add_f32 v[178:179], v[178:179], v[42:43] neg_lo:[0,1] neg_hi:[0,1]
	s_wait_dscnt 0x0
	v_pk_mul_f32 v[42:43], v[30:31], v[28:29] op_sel:[0,1]
	s_delay_alu instid0(VALU_DEP_1) | instskip(SKIP_1) | instid1(VALU_DEP_1)
	v_pk_fma_f32 v[46:47], v[30:31], v[18:19], v[42:43] op_sel:[0,0,1] op_sel_hi:[1,1,0] neg_lo:[0,0,1] neg_hi:[0,0,1]
	v_pk_fma_f32 v[30:31], v[30:31], v[18:19], v[42:43] op_sel:[0,0,1] op_sel_hi:[1,0,0]
	v_mov_b32_e32 v47, v31
	v_pk_mul_f32 v[30:31], v[32:33], v[28:29] op_sel:[0,1]
	s_delay_alu instid0(VALU_DEP_2) | instskip(NEXT) | instid1(VALU_DEP_2)
	v_pk_add_f32 v[174:175], v[174:175], v[46:47] neg_lo:[0,1] neg_hi:[0,1]
	v_pk_fma_f32 v[42:43], v[32:33], v[18:19], v[30:31] op_sel:[0,0,1] op_sel_hi:[1,1,0] neg_lo:[0,0,1] neg_hi:[0,0,1]
	v_pk_fma_f32 v[30:31], v[32:33], v[18:19], v[30:31] op_sel:[0,0,1] op_sel_hi:[1,0,0]
	s_delay_alu instid0(VALU_DEP_1) | instskip(SKIP_4) | instid1(VALU_DEP_1)
	v_mov_b32_e32 v43, v31
	ds_load_2addr_b64 v[30:33], v104 offset0:45 offset1:46
	v_pk_add_f32 v[200:201], v[200:201], v[42:43] neg_lo:[0,1] neg_hi:[0,1]
	s_wait_dscnt 0x0
	v_pk_mul_f32 v[42:43], v[30:31], v[28:29] op_sel:[0,1]
	v_pk_fma_f32 v[46:47], v[30:31], v[18:19], v[42:43] op_sel:[0,0,1] op_sel_hi:[1,1,0] neg_lo:[0,0,1] neg_hi:[0,0,1]
	v_pk_fma_f32 v[30:31], v[30:31], v[18:19], v[42:43] op_sel:[0,0,1] op_sel_hi:[1,0,0]
	v_dual_mul_f32 v42, v33, v29 :: v_dual_mov_b32 v30, v33
	s_delay_alu instid0(VALU_DEP_2) | instskip(NEXT) | instid1(VALU_DEP_2)
	v_dual_mov_b32 v47, v31 :: v_dual_mov_b32 v31, v32
	v_pk_fma_f32 v[42:43], v[32:33], v[146:147], v[42:43] op_sel_hi:[1,1,0] neg_lo:[0,0,1] neg_hi:[0,0,1]
	v_mul_f32_e32 v32, v33, v18
	s_delay_alu instid0(VALU_DEP_3) | instskip(NEXT) | instid1(VALU_DEP_2)
	v_pk_add_f32 v[194:195], v[194:195], v[46:47] neg_lo:[0,1] neg_hi:[0,1]
	v_pk_fma_f32 v[30:31], v[30:31], v[146:147], v[32:33] op_sel_hi:[1,1,0]
	s_delay_alu instid0(VALU_DEP_1) | instskip(SKIP_4) | instid1(VALU_DEP_1)
	v_mov_b32_e32 v43, v31
	ds_load_2addr_b64 v[30:33], v104 offset0:47 offset1:48
	v_pk_add_f32 v[198:199], v[198:199], v[42:43] neg_lo:[0,1] neg_hi:[0,1]
	s_wait_dscnt 0x0
	v_pk_mul_f32 v[42:43], v[30:31], v[28:29] op_sel:[0,1]
	v_pk_fma_f32 v[46:47], v[30:31], v[18:19], v[42:43] op_sel:[0,0,1] op_sel_hi:[1,1,0] neg_lo:[0,0,1] neg_hi:[0,0,1]
	v_pk_fma_f32 v[30:31], v[30:31], v[18:19], v[42:43] op_sel:[0,0,1] op_sel_hi:[1,0,0]
	s_delay_alu instid0(VALU_DEP_1) | instskip(SKIP_1) | instid1(VALU_DEP_1)
	v_mov_b32_e32 v47, v31
	v_pk_mul_f32 v[30:31], v[32:33], v[28:29] op_sel:[0,1]
	v_pk_fma_f32 v[42:43], v[32:33], v[18:19], v[30:31] op_sel:[0,0,1] op_sel_hi:[1,1,0] neg_lo:[0,0,1] neg_hi:[0,0,1]
	v_pk_fma_f32 v[30:31], v[32:33], v[18:19], v[30:31] op_sel:[0,0,1] op_sel_hi:[1,0,0]
	s_delay_alu instid0(VALU_DEP_1)
	v_mov_b32_e32 v43, v31
	ds_load_2addr_b64 v[30:33], v104 offset0:49 offset1:50
	v_pk_add_f32 v[192:193], v[192:193], v[46:47] neg_lo:[0,1] neg_hi:[0,1]
	v_pk_add_f32 v[196:197], v[196:197], v[42:43] neg_lo:[0,1] neg_hi:[0,1]
	s_wait_dscnt 0x0
	v_pk_mul_f32 v[42:43], v[30:31], v[28:29] op_sel:[0,1]
	v_mul_f32_e32 v28, v33, v29
	s_delay_alu instid0(VALU_DEP_2) | instskip(SKIP_2) | instid1(VALU_DEP_4)
	v_pk_fma_f32 v[46:47], v[30:31], v[18:19], v[42:43] op_sel:[0,0,1] op_sel_hi:[1,1,0] neg_lo:[0,0,1] neg_hi:[0,0,1]
	v_pk_fma_f32 v[30:31], v[30:31], v[18:19], v[42:43] op_sel:[0,0,1] op_sel_hi:[1,0,0]
	v_dual_mov_b32 v30, v33 :: v_dual_mul_f32 v18, v33, v18
	v_pk_fma_f32 v[28:29], v[32:33], v[146:147], v[28:29] op_sel_hi:[1,1,0] neg_lo:[0,0,1] neg_hi:[0,0,1]
	s_delay_alu instid0(VALU_DEP_3) | instskip(NEXT) | instid1(VALU_DEP_1)
	v_dual_mov_b32 v47, v31 :: v_dual_mov_b32 v31, v32
	v_pk_add_f32 v[202:203], v[202:203], v[46:47] neg_lo:[0,1] neg_hi:[0,1]
	s_delay_alu instid0(VALU_DEP_2) | instskip(NEXT) | instid1(VALU_DEP_1)
	v_pk_fma_f32 v[18:19], v[30:31], v[146:147], v[18:19] op_sel_hi:[1,1,0]
	v_mov_b32_e32 v29, v19
	s_delay_alu instid0(VALU_DEP_1)
	v_pk_add_f32 v[204:205], v[204:205], v[28:29] neg_lo:[0,1] neg_hi:[0,1]
.LBB101_298:
	s_or_b32 exec_lo, exec_lo, s1
	s_delay_alu instid0(SALU_CYCLE_1)
	s_mov_b32 s2, exec_lo
	s_wait_dscnt 0x0
	s_barrier_signal -1
	s_barrier_wait -1
	v_cmpx_eq_u32_e32 33, v102
	s_cbranch_execz .LBB101_305
; %bb.299:
	v_dual_mov_b32 v18, v144 :: v_dual_mov_b32 v19, v145
	v_dual_mov_b32 v28, v140 :: v_dual_mov_b32 v29, v141
	ds_store_b64 v103, v[142:143]
	ds_store_2addr_b64 v104, v[18:19], v[28:29] offset0:34 offset1:35
	v_dual_mov_b32 v18, v162 :: v_dual_mov_b32 v19, v163
	v_dual_mov_b32 v28, v158 :: v_dual_mov_b32 v29, v159
	ds_store_2addr_b64 v104, v[18:19], v[28:29] offset0:36 offset1:37
	v_dual_mov_b32 v18, v160 :: v_dual_mov_b32 v19, v161
	v_dual_mov_b32 v28, v156 :: v_dual_mov_b32 v29, v157
	;; [unrolled: 3-line block ×7, first 2 shown]
	ds_store_2addr_b64 v104, v[18:19], v[28:29] offset0:48 offset1:49
	ds_store_b64 v104, v[204:205] offset:400
	ds_load_b64 v[18:19], v103
	s_wait_dscnt 0x0
	v_cmp_neq_f32_e32 vcc_lo, 0, v18
	v_cmp_neq_f32_e64 s1, 0, v19
	s_or_b32 s1, vcc_lo, s1
	s_delay_alu instid0(SALU_CYCLE_1)
	s_and_b32 exec_lo, exec_lo, s1
	s_cbranch_execz .LBB101_305
; %bb.300:
	v_cmp_ngt_f32_e64 s1, |v18|, |v19|
                                        ; implicit-def: $vgpr28_vgpr29
	s_and_saveexec_b32 s4, s1
	s_delay_alu instid0(SALU_CYCLE_1)
	s_xor_b32 s1, exec_lo, s4
	s_cbranch_execz .LBB101_302
; %bb.301:
	v_div_scale_f32 v28, null, v19, v19, v18
	v_div_scale_f32 v31, vcc_lo, v18, v19, v18
	s_delay_alu instid0(VALU_DEP_2) | instskip(SKIP_1) | instid1(TRANS32_DEP_1)
	v_rcp_f32_e32 v29, v28
	v_nop
	v_fma_f32 v30, -v28, v29, 1.0
	s_delay_alu instid0(VALU_DEP_1) | instskip(NEXT) | instid1(VALU_DEP_1)
	v_fmac_f32_e32 v29, v30, v29
	v_mul_f32_e32 v30, v31, v29
	s_delay_alu instid0(VALU_DEP_1) | instskip(NEXT) | instid1(VALU_DEP_1)
	v_fma_f32 v32, -v28, v30, v31
	v_fmac_f32_e32 v30, v32, v29
	s_delay_alu instid0(VALU_DEP_1) | instskip(NEXT) | instid1(VALU_DEP_1)
	v_fma_f32 v28, -v28, v30, v31
	v_div_fmas_f32 v28, v28, v29, v30
	s_delay_alu instid0(VALU_DEP_1) | instskip(NEXT) | instid1(VALU_DEP_1)
	v_div_fixup_f32 v28, v28, v19, v18
	v_fmac_f32_e32 v19, v18, v28
	s_delay_alu instid0(VALU_DEP_1) | instskip(SKIP_1) | instid1(VALU_DEP_2)
	v_div_scale_f32 v18, null, v19, v19, 1.0
	v_div_scale_f32 v31, vcc_lo, 1.0, v19, 1.0
	v_rcp_f32_e32 v29, v18
	v_nop
	s_delay_alu instid0(TRANS32_DEP_1) | instskip(NEXT) | instid1(VALU_DEP_1)
	v_fma_f32 v30, -v18, v29, 1.0
	v_fmac_f32_e32 v29, v30, v29
	s_delay_alu instid0(VALU_DEP_1) | instskip(NEXT) | instid1(VALU_DEP_1)
	v_mul_f32_e32 v30, v31, v29
	v_fma_f32 v32, -v18, v30, v31
	s_delay_alu instid0(VALU_DEP_1) | instskip(NEXT) | instid1(VALU_DEP_1)
	v_fmac_f32_e32 v30, v32, v29
	v_fma_f32 v18, -v18, v30, v31
	s_delay_alu instid0(VALU_DEP_1) | instskip(NEXT) | instid1(VALU_DEP_1)
	v_div_fmas_f32 v18, v18, v29, v30
	v_div_fixup_f32 v18, v18, v19, 1.0
	s_delay_alu instid0(VALU_DEP_1)
	v_mul_f32_e32 v28, v28, v18
	v_xor_b32_e32 v29, 0x80000000, v18
                                        ; implicit-def: $vgpr18_vgpr19
.LBB101_302:
	s_and_not1_saveexec_b32 s1, s1
	s_cbranch_execz .LBB101_304
; %bb.303:
	v_div_scale_f32 v28, null, v18, v18, v19
	v_div_scale_f32 v31, vcc_lo, v19, v18, v19
	s_delay_alu instid0(VALU_DEP_2) | instskip(SKIP_1) | instid1(TRANS32_DEP_1)
	v_rcp_f32_e32 v29, v28
	v_nop
	v_fma_f32 v30, -v28, v29, 1.0
	s_delay_alu instid0(VALU_DEP_1) | instskip(NEXT) | instid1(VALU_DEP_1)
	v_fmac_f32_e32 v29, v30, v29
	v_mul_f32_e32 v30, v31, v29
	s_delay_alu instid0(VALU_DEP_1) | instskip(NEXT) | instid1(VALU_DEP_1)
	v_fma_f32 v32, -v28, v30, v31
	v_fmac_f32_e32 v30, v32, v29
	s_delay_alu instid0(VALU_DEP_1) | instskip(NEXT) | instid1(VALU_DEP_1)
	v_fma_f32 v28, -v28, v30, v31
	v_div_fmas_f32 v28, v28, v29, v30
	s_delay_alu instid0(VALU_DEP_1) | instskip(NEXT) | instid1(VALU_DEP_1)
	v_div_fixup_f32 v29, v28, v18, v19
	v_fmac_f32_e32 v18, v19, v29
	s_delay_alu instid0(VALU_DEP_1) | instskip(NEXT) | instid1(VALU_DEP_1)
	v_div_scale_f32 v19, null, v18, v18, 1.0
	v_rcp_f32_e32 v28, v19
	v_nop
	s_delay_alu instid0(TRANS32_DEP_1) | instskip(NEXT) | instid1(VALU_DEP_1)
	v_fma_f32 v30, -v19, v28, 1.0
	v_fmac_f32_e32 v28, v30, v28
	v_div_scale_f32 v30, vcc_lo, 1.0, v18, 1.0
	s_delay_alu instid0(VALU_DEP_1) | instskip(NEXT) | instid1(VALU_DEP_1)
	v_mul_f32_e32 v31, v30, v28
	v_fma_f32 v32, -v19, v31, v30
	s_delay_alu instid0(VALU_DEP_1) | instskip(NEXT) | instid1(VALU_DEP_1)
	v_fmac_f32_e32 v31, v32, v28
	v_fma_f32 v19, -v19, v31, v30
	s_delay_alu instid0(VALU_DEP_1) | instskip(NEXT) | instid1(VALU_DEP_1)
	v_div_fmas_f32 v19, v19, v28, v31
	v_div_fixup_f32 v28, v19, v18, 1.0
	s_delay_alu instid0(VALU_DEP_1)
	v_mul_f32_e64 v29, v29, -v28
.LBB101_304:
	s_or_b32 exec_lo, exec_lo, s1
	ds_store_b64 v103, v[28:29]
.LBB101_305:
	s_or_b32 exec_lo, exec_lo, s2
	s_wait_dscnt 0x0
	s_barrier_signal -1
	s_barrier_wait -1
	ds_load_b64 v[18:19], v103
	s_mov_b32 s1, exec_lo
	v_cmpx_lt_u32_e32 33, v102
	s_cbranch_execz .LBB101_307
; %bb.306:
	ds_load_2addr_b64 v[46:49], v104 offset0:34 offset1:35
	s_wait_dscnt 0x1
	v_pk_mul_f32 v[30:31], v[18:19], v[142:143] op_sel:[1,1] op_sel_hi:[0,1]
	s_delay_alu instid0(VALU_DEP_1) | instskip(SKIP_1) | instid1(VALU_DEP_1)
	v_pk_fma_f32 v[28:29], v[18:19], v[142:143], v[30:31] op_sel_hi:[1,0,1] neg_lo:[0,0,1] neg_hi:[0,0,1]
	v_pk_fma_f32 v[30:31], v[18:19], v[142:143], v[30:31] op_sel_hi:[1,0,1]
	v_dual_mov_b32 v142, v28 :: v_dual_mov_b32 v143, v31
	s_wait_dscnt 0x0
	s_delay_alu instid0(VALU_DEP_2) | instskip(NEXT) | instid1(VALU_DEP_1)
	v_pk_mul_f32 v[32:33], v[46:47], v[30:31] op_sel:[0,1]
	v_pk_fma_f32 v[42:43], v[46:47], v[28:29], v[32:33] op_sel:[0,0,1] op_sel_hi:[1,1,0] neg_lo:[0,0,1] neg_hi:[0,0,1]
	v_pk_fma_f32 v[32:33], v[46:47], v[28:29], v[32:33] op_sel:[0,0,1] op_sel_hi:[1,0,0]
	s_delay_alu instid0(VALU_DEP_1) | instskip(SKIP_1) | instid1(VALU_DEP_2)
	v_mov_b32_e32 v43, v33
	v_pk_mul_f32 v[32:33], v[48:49], v[30:31] op_sel:[0,1]
	v_pk_add_f32 v[144:145], v[144:145], v[42:43] neg_lo:[0,1] neg_hi:[0,1]
	s_delay_alu instid0(VALU_DEP_2) | instskip(SKIP_3) | instid1(VALU_DEP_1)
	v_pk_fma_f32 v[42:43], v[48:49], v[28:29], v[32:33] op_sel:[0,0,1] op_sel_hi:[1,1,0] neg_lo:[0,0,1] neg_hi:[0,0,1]
	v_pk_fma_f32 v[32:33], v[48:49], v[28:29], v[32:33] op_sel:[0,0,1] op_sel_hi:[1,0,0]
	ds_load_2addr_b64 v[46:49], v104 offset0:36 offset1:37
	v_mov_b32_e32 v43, v33
	v_pk_add_f32 v[140:141], v[140:141], v[42:43] neg_lo:[0,1] neg_hi:[0,1]
	s_wait_dscnt 0x0
	v_pk_mul_f32 v[32:33], v[46:47], v[30:31] op_sel:[0,1]
	s_delay_alu instid0(VALU_DEP_1) | instskip(SKIP_2) | instid1(VALU_DEP_2)
	v_pk_fma_f32 v[42:43], v[46:47], v[28:29], v[32:33] op_sel:[0,0,1] op_sel_hi:[1,1,0] neg_lo:[0,0,1] neg_hi:[0,0,1]
	v_pk_fma_f32 v[32:33], v[46:47], v[28:29], v[32:33] op_sel:[0,0,1] op_sel_hi:[1,0,0]
	v_dual_mov_b32 v32, v49 :: v_dual_mul_f32 v46, v49, v28
	v_dual_mov_b32 v43, v33 :: v_dual_mov_b32 v33, v48
	s_delay_alu instid0(VALU_DEP_1) | instskip(SKIP_1) | instid1(VALU_DEP_3)
	v_pk_add_f32 v[162:163], v[162:163], v[42:43] neg_lo:[0,1] neg_hi:[0,1]
	v_mul_f32_e32 v42, v49, v31
	v_pk_fma_f32 v[32:33], v[32:33], v[142:143], v[46:47] op_sel_hi:[1,1,0]
	s_delay_alu instid0(VALU_DEP_2) | instskip(SKIP_2) | instid1(VALU_DEP_1)
	v_pk_fma_f32 v[42:43], v[48:49], v[142:143], v[42:43] op_sel_hi:[1,1,0] neg_lo:[0,0,1] neg_hi:[0,0,1]
	ds_load_2addr_b64 v[46:49], v104 offset0:38 offset1:39
	v_mov_b32_e32 v43, v33
	v_pk_add_f32 v[158:159], v[158:159], v[42:43] neg_lo:[0,1] neg_hi:[0,1]
	s_wait_dscnt 0x0
	v_pk_mul_f32 v[32:33], v[46:47], v[30:31] op_sel:[0,1]
	s_delay_alu instid0(VALU_DEP_1) | instskip(SKIP_1) | instid1(VALU_DEP_1)
	v_pk_fma_f32 v[42:43], v[46:47], v[28:29], v[32:33] op_sel:[0,0,1] op_sel_hi:[1,1,0] neg_lo:[0,0,1] neg_hi:[0,0,1]
	v_pk_fma_f32 v[32:33], v[46:47], v[28:29], v[32:33] op_sel:[0,0,1] op_sel_hi:[1,0,0]
	v_mov_b32_e32 v43, v33
	v_pk_mul_f32 v[32:33], v[48:49], v[30:31] op_sel:[0,1]
	s_delay_alu instid0(VALU_DEP_2) | instskip(NEXT) | instid1(VALU_DEP_2)
	v_pk_add_f32 v[160:161], v[160:161], v[42:43] neg_lo:[0,1] neg_hi:[0,1]
	v_pk_fma_f32 v[42:43], v[48:49], v[28:29], v[32:33] op_sel:[0,0,1] op_sel_hi:[1,1,0] neg_lo:[0,0,1] neg_hi:[0,0,1]
	v_pk_fma_f32 v[32:33], v[48:49], v[28:29], v[32:33] op_sel:[0,0,1] op_sel_hi:[1,0,0]
	ds_load_2addr_b64 v[46:49], v104 offset0:40 offset1:41
	v_mov_b32_e32 v43, v33
	s_delay_alu instid0(VALU_DEP_1) | instskip(SKIP_2) | instid1(VALU_DEP_1)
	v_pk_add_f32 v[156:157], v[156:157], v[42:43] neg_lo:[0,1] neg_hi:[0,1]
	s_wait_dscnt 0x0
	v_pk_mul_f32 v[32:33], v[46:47], v[30:31] op_sel:[0,1]
	v_pk_fma_f32 v[42:43], v[46:47], v[28:29], v[32:33] op_sel:[0,0,1] op_sel_hi:[1,1,0] neg_lo:[0,0,1] neg_hi:[0,0,1]
	v_pk_fma_f32 v[32:33], v[46:47], v[28:29], v[32:33] op_sel:[0,0,1] op_sel_hi:[1,0,0]
	s_delay_alu instid0(VALU_DEP_1) | instskip(SKIP_1) | instid1(VALU_DEP_2)
	v_mov_b32_e32 v43, v33
	v_pk_mul_f32 v[32:33], v[48:49], v[30:31] op_sel:[0,1]
	v_pk_add_f32 v[180:181], v[180:181], v[42:43] neg_lo:[0,1] neg_hi:[0,1]
	s_delay_alu instid0(VALU_DEP_2) | instskip(SKIP_3) | instid1(VALU_DEP_1)
	v_pk_fma_f32 v[42:43], v[48:49], v[28:29], v[32:33] op_sel:[0,0,1] op_sel_hi:[1,1,0] neg_lo:[0,0,1] neg_hi:[0,0,1]
	v_pk_fma_f32 v[32:33], v[48:49], v[28:29], v[32:33] op_sel:[0,0,1] op_sel_hi:[1,0,0]
	ds_load_2addr_b64 v[46:49], v104 offset0:42 offset1:43
	v_mov_b32_e32 v43, v33
	v_pk_add_f32 v[176:177], v[176:177], v[42:43] neg_lo:[0,1] neg_hi:[0,1]
	s_wait_dscnt 0x0
	v_dual_mul_f32 v42, v47, v28 :: v_dual_mul_f32 v32, v47, v31
	s_delay_alu instid0(VALU_DEP_1) | instskip(NEXT) | instid1(VALU_DEP_2)
	v_pk_fma_f32 v[42:43], v[46:47], v[142:143], v[42:43] op_sel:[1,0,0] op_sel_hi:[0,1,0]
	v_pk_fma_f32 v[32:33], v[46:47], v[142:143], v[32:33] op_sel_hi:[1,1,0] neg_lo:[0,0,1] neg_hi:[0,0,1]
	s_delay_alu instid0(VALU_DEP_2) | instskip(NEXT) | instid1(VALU_DEP_1)
	v_mov_b32_e32 v33, v43
	v_pk_add_f32 v[178:179], v[178:179], v[32:33] neg_lo:[0,1] neg_hi:[0,1]
	v_pk_mul_f32 v[32:33], v[48:49], v[30:31] op_sel:[0,1]
	s_delay_alu instid0(VALU_DEP_1) | instskip(SKIP_3) | instid1(VALU_DEP_1)
	v_pk_fma_f32 v[42:43], v[48:49], v[28:29], v[32:33] op_sel:[0,0,1] op_sel_hi:[1,1,0] neg_lo:[0,0,1] neg_hi:[0,0,1]
	v_pk_fma_f32 v[32:33], v[48:49], v[28:29], v[32:33] op_sel:[0,0,1] op_sel_hi:[1,0,0]
	ds_load_2addr_b64 v[46:49], v104 offset0:44 offset1:45
	v_mov_b32_e32 v43, v33
	v_pk_add_f32 v[174:175], v[174:175], v[42:43] neg_lo:[0,1] neg_hi:[0,1]
	s_wait_dscnt 0x0
	v_pk_mul_f32 v[32:33], v[46:47], v[30:31] op_sel:[0,1]
	s_delay_alu instid0(VALU_DEP_1) | instskip(SKIP_1) | instid1(VALU_DEP_1)
	v_pk_fma_f32 v[42:43], v[46:47], v[28:29], v[32:33] op_sel:[0,0,1] op_sel_hi:[1,1,0] neg_lo:[0,0,1] neg_hi:[0,0,1]
	v_pk_fma_f32 v[32:33], v[46:47], v[28:29], v[32:33] op_sel:[0,0,1] op_sel_hi:[1,0,0]
	v_mov_b32_e32 v43, v33
	v_pk_mul_f32 v[32:33], v[48:49], v[30:31] op_sel:[0,1]
	s_delay_alu instid0(VALU_DEP_2) | instskip(NEXT) | instid1(VALU_DEP_2)
	v_pk_add_f32 v[200:201], v[200:201], v[42:43] neg_lo:[0,1] neg_hi:[0,1]
	v_pk_fma_f32 v[42:43], v[48:49], v[28:29], v[32:33] op_sel:[0,0,1] op_sel_hi:[1,1,0] neg_lo:[0,0,1] neg_hi:[0,0,1]
	v_pk_fma_f32 v[32:33], v[48:49], v[28:29], v[32:33] op_sel:[0,0,1] op_sel_hi:[1,0,0]
	ds_load_2addr_b64 v[46:49], v104 offset0:46 offset1:47
	v_mov_b32_e32 v43, v33
	s_delay_alu instid0(VALU_DEP_1) | instskip(SKIP_2) | instid1(VALU_DEP_1)
	v_pk_add_f32 v[194:195], v[194:195], v[42:43] neg_lo:[0,1] neg_hi:[0,1]
	s_wait_dscnt 0x0
	v_pk_mul_f32 v[32:33], v[46:47], v[30:31] op_sel:[0,1]
	v_pk_fma_f32 v[42:43], v[46:47], v[28:29], v[32:33] op_sel:[0,0,1] op_sel_hi:[1,1,0] neg_lo:[0,0,1] neg_hi:[0,0,1]
	v_pk_fma_f32 v[32:33], v[46:47], v[28:29], v[32:33] op_sel:[0,0,1] op_sel_hi:[1,0,0]
	v_dual_mov_b32 v32, v49 :: v_dual_mul_f32 v46, v49, v28
	s_delay_alu instid0(VALU_DEP_2) | instskip(NEXT) | instid1(VALU_DEP_1)
	v_dual_mov_b32 v43, v33 :: v_dual_mov_b32 v33, v48
	v_pk_add_f32 v[198:199], v[198:199], v[42:43] neg_lo:[0,1] neg_hi:[0,1]
	v_mul_f32_e32 v42, v49, v31
	s_delay_alu instid0(VALU_DEP_3) | instskip(NEXT) | instid1(VALU_DEP_2)
	v_pk_fma_f32 v[32:33], v[32:33], v[142:143], v[46:47] op_sel_hi:[1,1,0]
	v_pk_fma_f32 v[42:43], v[48:49], v[142:143], v[42:43] op_sel_hi:[1,1,0] neg_lo:[0,0,1] neg_hi:[0,0,1]
	ds_load_2addr_b64 v[46:49], v104 offset0:48 offset1:49
	v_mov_b32_e32 v43, v33
	s_delay_alu instid0(VALU_DEP_1) | instskip(SKIP_2) | instid1(VALU_DEP_1)
	v_pk_add_f32 v[192:193], v[192:193], v[42:43] neg_lo:[0,1] neg_hi:[0,1]
	s_wait_dscnt 0x0
	v_pk_mul_f32 v[32:33], v[46:47], v[30:31] op_sel:[0,1]
	v_pk_fma_f32 v[42:43], v[46:47], v[28:29], v[32:33] op_sel:[0,0,1] op_sel_hi:[1,1,0] neg_lo:[0,0,1] neg_hi:[0,0,1]
	v_pk_fma_f32 v[32:33], v[46:47], v[28:29], v[32:33] op_sel:[0,0,1] op_sel_hi:[1,0,0]
	s_delay_alu instid0(VALU_DEP_1) | instskip(SKIP_1) | instid1(VALU_DEP_2)
	v_mov_b32_e32 v43, v33
	v_pk_mul_f32 v[32:33], v[48:49], v[30:31] op_sel:[0,1]
	v_pk_add_f32 v[196:197], v[196:197], v[42:43] neg_lo:[0,1] neg_hi:[0,1]
	s_delay_alu instid0(VALU_DEP_2) | instskip(SKIP_1) | instid1(VALU_DEP_1)
	v_pk_fma_f32 v[42:43], v[48:49], v[28:29], v[32:33] op_sel:[0,0,1] op_sel_hi:[1,1,0] neg_lo:[0,0,1] neg_hi:[0,0,1]
	v_pk_fma_f32 v[32:33], v[48:49], v[28:29], v[32:33] op_sel:[0,0,1] op_sel_hi:[1,0,0]
	v_mov_b32_e32 v43, v33
	ds_load_b64 v[32:33], v104 offset:400
	v_pk_add_f32 v[202:203], v[202:203], v[42:43] neg_lo:[0,1] neg_hi:[0,1]
	s_wait_dscnt 0x0
	v_pk_mul_f32 v[30:31], v[32:33], v[30:31] op_sel:[0,1]
	s_delay_alu instid0(VALU_DEP_1) | instskip(SKIP_1) | instid1(VALU_DEP_1)
	v_pk_fma_f32 v[42:43], v[32:33], v[28:29], v[30:31] op_sel:[0,0,1] op_sel_hi:[1,1,0] neg_lo:[0,0,1] neg_hi:[0,0,1]
	v_pk_fma_f32 v[28:29], v[32:33], v[28:29], v[30:31] op_sel:[0,0,1] op_sel_hi:[1,0,0]
	v_mov_b32_e32 v43, v29
	s_delay_alu instid0(VALU_DEP_1)
	v_pk_add_f32 v[204:205], v[204:205], v[42:43] neg_lo:[0,1] neg_hi:[0,1]
.LBB101_307:
	s_or_b32 exec_lo, exec_lo, s1
	s_delay_alu instid0(SALU_CYCLE_1)
	s_mov_b32 s2, exec_lo
	s_wait_dscnt 0x0
	s_barrier_signal -1
	s_barrier_wait -1
	v_cmpx_eq_u32_e32 34, v102
	s_cbranch_execz .LBB101_314
; %bb.308:
	ds_store_b64 v103, v[144:145]
	ds_store_2addr_b64 v104, v[140:141], v[162:163] offset0:35 offset1:36
	ds_store_2addr_b64 v104, v[158:159], v[160:161] offset0:37 offset1:38
	;; [unrolled: 1-line block ×8, first 2 shown]
	ds_load_b64 v[28:29], v103
	s_wait_dscnt 0x0
	v_cmp_neq_f32_e32 vcc_lo, 0, v28
	v_cmp_neq_f32_e64 s1, 0, v29
	s_or_b32 s1, vcc_lo, s1
	s_delay_alu instid0(SALU_CYCLE_1)
	s_and_b32 exec_lo, exec_lo, s1
	s_cbranch_execz .LBB101_314
; %bb.309:
	v_cmp_ngt_f32_e64 s1, |v28|, |v29|
                                        ; implicit-def: $vgpr30_vgpr31
	s_and_saveexec_b32 s4, s1
	s_delay_alu instid0(SALU_CYCLE_1)
	s_xor_b32 s1, exec_lo, s4
	s_cbranch_execz .LBB101_311
; %bb.310:
	v_div_scale_f32 v30, null, v29, v29, v28
	v_div_scale_f32 v33, vcc_lo, v28, v29, v28
	s_delay_alu instid0(VALU_DEP_2) | instskip(SKIP_1) | instid1(TRANS32_DEP_1)
	v_rcp_f32_e32 v31, v30
	v_nop
	v_fma_f32 v32, -v30, v31, 1.0
	s_delay_alu instid0(VALU_DEP_1) | instskip(NEXT) | instid1(VALU_DEP_1)
	v_fmac_f32_e32 v31, v32, v31
	v_mul_f32_e32 v32, v33, v31
	s_delay_alu instid0(VALU_DEP_1) | instskip(NEXT) | instid1(VALU_DEP_1)
	v_fma_f32 v42, -v30, v32, v33
	v_fmac_f32_e32 v32, v42, v31
	s_delay_alu instid0(VALU_DEP_1) | instskip(NEXT) | instid1(VALU_DEP_1)
	v_fma_f32 v30, -v30, v32, v33
	v_div_fmas_f32 v30, v30, v31, v32
	s_delay_alu instid0(VALU_DEP_1) | instskip(NEXT) | instid1(VALU_DEP_1)
	v_div_fixup_f32 v30, v30, v29, v28
	v_fmac_f32_e32 v29, v28, v30
	s_delay_alu instid0(VALU_DEP_1) | instskip(SKIP_1) | instid1(VALU_DEP_2)
	v_div_scale_f32 v28, null, v29, v29, 1.0
	v_div_scale_f32 v33, vcc_lo, 1.0, v29, 1.0
	v_rcp_f32_e32 v31, v28
	v_nop
	s_delay_alu instid0(TRANS32_DEP_1) | instskip(NEXT) | instid1(VALU_DEP_1)
	v_fma_f32 v32, -v28, v31, 1.0
	v_fmac_f32_e32 v31, v32, v31
	s_delay_alu instid0(VALU_DEP_1) | instskip(NEXT) | instid1(VALU_DEP_1)
	v_mul_f32_e32 v32, v33, v31
	v_fma_f32 v42, -v28, v32, v33
	s_delay_alu instid0(VALU_DEP_1) | instskip(NEXT) | instid1(VALU_DEP_1)
	v_fmac_f32_e32 v32, v42, v31
	v_fma_f32 v28, -v28, v32, v33
	s_delay_alu instid0(VALU_DEP_1) | instskip(NEXT) | instid1(VALU_DEP_1)
	v_div_fmas_f32 v28, v28, v31, v32
	v_div_fixup_f32 v28, v28, v29, 1.0
	s_delay_alu instid0(VALU_DEP_1)
	v_mul_f32_e32 v30, v30, v28
	v_xor_b32_e32 v31, 0x80000000, v28
                                        ; implicit-def: $vgpr28_vgpr29
.LBB101_311:
	s_and_not1_saveexec_b32 s1, s1
	s_cbranch_execz .LBB101_313
; %bb.312:
	v_div_scale_f32 v30, null, v28, v28, v29
	v_div_scale_f32 v33, vcc_lo, v29, v28, v29
	s_delay_alu instid0(VALU_DEP_2) | instskip(SKIP_1) | instid1(TRANS32_DEP_1)
	v_rcp_f32_e32 v31, v30
	v_nop
	v_fma_f32 v32, -v30, v31, 1.0
	s_delay_alu instid0(VALU_DEP_1) | instskip(NEXT) | instid1(VALU_DEP_1)
	v_fmac_f32_e32 v31, v32, v31
	v_mul_f32_e32 v32, v33, v31
	s_delay_alu instid0(VALU_DEP_1) | instskip(NEXT) | instid1(VALU_DEP_1)
	v_fma_f32 v42, -v30, v32, v33
	v_fmac_f32_e32 v32, v42, v31
	s_delay_alu instid0(VALU_DEP_1) | instskip(NEXT) | instid1(VALU_DEP_1)
	v_fma_f32 v30, -v30, v32, v33
	v_div_fmas_f32 v30, v30, v31, v32
	s_delay_alu instid0(VALU_DEP_1) | instskip(NEXT) | instid1(VALU_DEP_1)
	v_div_fixup_f32 v31, v30, v28, v29
	v_fmac_f32_e32 v28, v29, v31
	s_delay_alu instid0(VALU_DEP_1) | instskip(NEXT) | instid1(VALU_DEP_1)
	v_div_scale_f32 v29, null, v28, v28, 1.0
	v_rcp_f32_e32 v30, v29
	v_nop
	s_delay_alu instid0(TRANS32_DEP_1) | instskip(NEXT) | instid1(VALU_DEP_1)
	v_fma_f32 v32, -v29, v30, 1.0
	v_fmac_f32_e32 v30, v32, v30
	v_div_scale_f32 v32, vcc_lo, 1.0, v28, 1.0
	s_delay_alu instid0(VALU_DEP_1) | instskip(NEXT) | instid1(VALU_DEP_1)
	v_mul_f32_e32 v33, v32, v30
	v_fma_f32 v42, -v29, v33, v32
	s_delay_alu instid0(VALU_DEP_1) | instskip(NEXT) | instid1(VALU_DEP_1)
	v_fmac_f32_e32 v33, v42, v30
	v_fma_f32 v29, -v29, v33, v32
	s_delay_alu instid0(VALU_DEP_1) | instskip(NEXT) | instid1(VALU_DEP_1)
	v_div_fmas_f32 v29, v29, v30, v33
	v_div_fixup_f32 v30, v29, v28, 1.0
	s_delay_alu instid0(VALU_DEP_1)
	v_mul_f32_e64 v31, v31, -v30
.LBB101_313:
	s_or_b32 exec_lo, exec_lo, s1
	ds_store_b64 v103, v[30:31]
.LBB101_314:
	s_or_b32 exec_lo, exec_lo, s2
	s_wait_dscnt 0x0
	s_barrier_signal -1
	s_barrier_wait -1
	ds_load_b64 v[28:29], v103
	s_mov_b32 s1, exec_lo
	v_cmpx_lt_u32_e32 34, v102
	s_cbranch_execz .LBB101_316
; %bb.315:
	ds_load_2addr_b64 v[46:49], v104 offset0:35 offset1:36
	s_wait_dscnt 0x1
	v_pk_mul_f32 v[32:33], v[28:29], v[144:145] op_sel:[1,1] op_sel_hi:[0,1]
	s_delay_alu instid0(VALU_DEP_1) | instskip(SKIP_1) | instid1(VALU_DEP_1)
	v_pk_fma_f32 v[30:31], v[28:29], v[144:145], v[32:33] op_sel_hi:[1,0,1] neg_lo:[0,0,1] neg_hi:[0,0,1]
	v_pk_fma_f32 v[32:33], v[28:29], v[144:145], v[32:33] op_sel_hi:[1,0,1]
	v_dual_mov_b32 v144, v30 :: v_dual_mov_b32 v145, v33
	s_wait_dscnt 0x0
	s_delay_alu instid0(VALU_DEP_2) | instskip(NEXT) | instid1(VALU_DEP_1)
	v_pk_mul_f32 v[42:43], v[46:47], v[32:33] op_sel:[0,1]
	v_pk_fma_f32 v[50:51], v[46:47], v[30:31], v[42:43] op_sel:[0,0,1] op_sel_hi:[1,1,0] neg_lo:[0,0,1] neg_hi:[0,0,1]
	v_pk_fma_f32 v[42:43], v[46:47], v[30:31], v[42:43] op_sel:[0,0,1] op_sel_hi:[1,0,0]
	s_delay_alu instid0(VALU_DEP_1) | instskip(SKIP_1) | instid1(VALU_DEP_1)
	v_mov_b32_e32 v51, v43
	v_pk_mul_f32 v[42:43], v[48:49], v[32:33] op_sel:[0,1]
	v_pk_fma_f32 v[46:47], v[48:49], v[30:31], v[42:43] op_sel:[0,0,1] op_sel_hi:[1,1,0] neg_lo:[0,0,1] neg_hi:[0,0,1]
	v_pk_fma_f32 v[42:43], v[48:49], v[30:31], v[42:43] op_sel:[0,0,1] op_sel_hi:[1,0,0]
	s_delay_alu instid0(VALU_DEP_1) | instskip(SKIP_1) | instid1(VALU_DEP_2)
	v_mov_b32_e32 v47, v43
	v_pk_add_f32 v[140:141], v[140:141], v[50:51] neg_lo:[0,1] neg_hi:[0,1]
	v_pk_add_f32 v[162:163], v[162:163], v[46:47] neg_lo:[0,1] neg_hi:[0,1]
	ds_load_2addr_b64 v[46:49], v104 offset0:37 offset1:38
	s_wait_dscnt 0x0
	v_pk_mul_f32 v[42:43], v[46:47], v[32:33] op_sel:[0,1]
	s_delay_alu instid0(VALU_DEP_1) | instskip(SKIP_2) | instid1(VALU_DEP_2)
	v_pk_fma_f32 v[50:51], v[46:47], v[30:31], v[42:43] op_sel:[0,0,1] op_sel_hi:[1,1,0] neg_lo:[0,0,1] neg_hi:[0,0,1]
	v_pk_fma_f32 v[42:43], v[46:47], v[30:31], v[42:43] op_sel:[0,0,1] op_sel_hi:[1,0,0]
	v_dual_mul_f32 v46, v49, v33 :: v_dual_mov_b32 v42, v49
	v_dual_mov_b32 v51, v43 :: v_dual_mov_b32 v43, v48
	s_delay_alu instid0(VALU_DEP_2) | instskip(SKIP_1) | instid1(VALU_DEP_3)
	v_pk_fma_f32 v[46:47], v[48:49], v[144:145], v[46:47] op_sel_hi:[1,1,0] neg_lo:[0,0,1] neg_hi:[0,0,1]
	v_mul_f32_e32 v48, v49, v30
	v_pk_add_f32 v[158:159], v[158:159], v[50:51] neg_lo:[0,1] neg_hi:[0,1]
	s_delay_alu instid0(VALU_DEP_2) | instskip(NEXT) | instid1(VALU_DEP_1)
	v_pk_fma_f32 v[42:43], v[42:43], v[144:145], v[48:49] op_sel_hi:[1,1,0]
	v_mov_b32_e32 v47, v43
	s_delay_alu instid0(VALU_DEP_1) | instskip(SKIP_3) | instid1(VALU_DEP_1)
	v_pk_add_f32 v[160:161], v[160:161], v[46:47] neg_lo:[0,1] neg_hi:[0,1]
	ds_load_2addr_b64 v[46:49], v104 offset0:39 offset1:40
	s_wait_dscnt 0x0
	v_pk_mul_f32 v[42:43], v[46:47], v[32:33] op_sel:[0,1]
	v_pk_fma_f32 v[50:51], v[46:47], v[30:31], v[42:43] op_sel:[0,0,1] op_sel_hi:[1,1,0] neg_lo:[0,0,1] neg_hi:[0,0,1]
	v_pk_fma_f32 v[42:43], v[46:47], v[30:31], v[42:43] op_sel:[0,0,1] op_sel_hi:[1,0,0]
	s_delay_alu instid0(VALU_DEP_1) | instskip(SKIP_1) | instid1(VALU_DEP_1)
	v_mov_b32_e32 v51, v43
	v_pk_mul_f32 v[42:43], v[48:49], v[32:33] op_sel:[0,1]
	v_pk_fma_f32 v[46:47], v[48:49], v[30:31], v[42:43] op_sel:[0,0,1] op_sel_hi:[1,1,0] neg_lo:[0,0,1] neg_hi:[0,0,1]
	v_pk_fma_f32 v[42:43], v[48:49], v[30:31], v[42:43] op_sel:[0,0,1] op_sel_hi:[1,0,0]
	s_delay_alu instid0(VALU_DEP_1) | instskip(SKIP_1) | instid1(VALU_DEP_2)
	v_mov_b32_e32 v47, v43
	v_pk_add_f32 v[156:157], v[156:157], v[50:51] neg_lo:[0,1] neg_hi:[0,1]
	v_pk_add_f32 v[180:181], v[180:181], v[46:47] neg_lo:[0,1] neg_hi:[0,1]
	ds_load_2addr_b64 v[46:49], v104 offset0:41 offset1:42
	s_wait_dscnt 0x0
	v_pk_mul_f32 v[42:43], v[46:47], v[32:33] op_sel:[0,1]
	s_delay_alu instid0(VALU_DEP_1) | instskip(SKIP_1) | instid1(VALU_DEP_1)
	v_pk_fma_f32 v[50:51], v[46:47], v[30:31], v[42:43] op_sel:[0,0,1] op_sel_hi:[1,1,0] neg_lo:[0,0,1] neg_hi:[0,0,1]
	v_pk_fma_f32 v[42:43], v[46:47], v[30:31], v[42:43] op_sel:[0,0,1] op_sel_hi:[1,0,0]
	v_mov_b32_e32 v51, v43
	v_pk_mul_f32 v[42:43], v[48:49], v[32:33] op_sel:[0,1]
	s_delay_alu instid0(VALU_DEP_1) | instskip(SKIP_1) | instid1(VALU_DEP_1)
	v_pk_fma_f32 v[46:47], v[48:49], v[30:31], v[42:43] op_sel:[0,0,1] op_sel_hi:[1,1,0] neg_lo:[0,0,1] neg_hi:[0,0,1]
	v_pk_fma_f32 v[42:43], v[48:49], v[30:31], v[42:43] op_sel:[0,0,1] op_sel_hi:[1,0,0]
	v_mov_b32_e32 v47, v43
	v_pk_add_f32 v[176:177], v[176:177], v[50:51] neg_lo:[0,1] neg_hi:[0,1]
	s_delay_alu instid0(VALU_DEP_2) | instskip(SKIP_3) | instid1(VALU_DEP_1)
	v_pk_add_f32 v[178:179], v[178:179], v[46:47] neg_lo:[0,1] neg_hi:[0,1]
	ds_load_2addr_b64 v[46:49], v104 offset0:43 offset1:44
	s_wait_dscnt 0x0
	v_dual_mul_f32 v42, v47, v33 :: v_dual_mul_f32 v50, v47, v30
	v_pk_fma_f32 v[42:43], v[46:47], v[144:145], v[42:43] op_sel_hi:[1,1,0] neg_lo:[0,0,1] neg_hi:[0,0,1]
	s_delay_alu instid0(VALU_DEP_2) | instskip(NEXT) | instid1(VALU_DEP_1)
	v_pk_fma_f32 v[46:47], v[46:47], v[144:145], v[50:51] op_sel:[1,0,0] op_sel_hi:[0,1,0]
	v_mov_b32_e32 v43, v47
	s_delay_alu instid0(VALU_DEP_1) | instskip(SKIP_1) | instid1(VALU_DEP_1)
	v_pk_add_f32 v[174:175], v[174:175], v[42:43] neg_lo:[0,1] neg_hi:[0,1]
	v_pk_mul_f32 v[42:43], v[48:49], v[32:33] op_sel:[0,1]
	v_pk_fma_f32 v[46:47], v[48:49], v[30:31], v[42:43] op_sel:[0,0,1] op_sel_hi:[1,1,0] neg_lo:[0,0,1] neg_hi:[0,0,1]
	v_pk_fma_f32 v[42:43], v[48:49], v[30:31], v[42:43] op_sel:[0,0,1] op_sel_hi:[1,0,0]
	s_delay_alu instid0(VALU_DEP_1) | instskip(NEXT) | instid1(VALU_DEP_1)
	v_mov_b32_e32 v47, v43
	v_pk_add_f32 v[200:201], v[200:201], v[46:47] neg_lo:[0,1] neg_hi:[0,1]
	ds_load_2addr_b64 v[46:49], v104 offset0:45 offset1:46
	s_wait_dscnt 0x0
	v_pk_mul_f32 v[42:43], v[46:47], v[32:33] op_sel:[0,1]
	s_delay_alu instid0(VALU_DEP_1) | instskip(SKIP_1) | instid1(VALU_DEP_1)
	v_pk_fma_f32 v[50:51], v[46:47], v[30:31], v[42:43] op_sel:[0,0,1] op_sel_hi:[1,1,0] neg_lo:[0,0,1] neg_hi:[0,0,1]
	v_pk_fma_f32 v[42:43], v[46:47], v[30:31], v[42:43] op_sel:[0,0,1] op_sel_hi:[1,0,0]
	v_mov_b32_e32 v51, v43
	v_pk_mul_f32 v[42:43], v[48:49], v[32:33] op_sel:[0,1]
	s_delay_alu instid0(VALU_DEP_2) | instskip(NEXT) | instid1(VALU_DEP_2)
	v_pk_add_f32 v[194:195], v[194:195], v[50:51] neg_lo:[0,1] neg_hi:[0,1]
	v_pk_fma_f32 v[46:47], v[48:49], v[30:31], v[42:43] op_sel:[0,0,1] op_sel_hi:[1,1,0] neg_lo:[0,0,1] neg_hi:[0,0,1]
	v_pk_fma_f32 v[42:43], v[48:49], v[30:31], v[42:43] op_sel:[0,0,1] op_sel_hi:[1,0,0]
	s_delay_alu instid0(VALU_DEP_1) | instskip(NEXT) | instid1(VALU_DEP_1)
	v_mov_b32_e32 v47, v43
	v_pk_add_f32 v[198:199], v[198:199], v[46:47] neg_lo:[0,1] neg_hi:[0,1]
	ds_load_2addr_b64 v[46:49], v104 offset0:47 offset1:48
	s_wait_dscnt 0x0
	v_pk_mul_f32 v[42:43], v[46:47], v[32:33] op_sel:[0,1]
	s_delay_alu instid0(VALU_DEP_1) | instskip(SKIP_2) | instid1(VALU_DEP_2)
	v_pk_fma_f32 v[50:51], v[46:47], v[30:31], v[42:43] op_sel:[0,0,1] op_sel_hi:[1,1,0] neg_lo:[0,0,1] neg_hi:[0,0,1]
	v_pk_fma_f32 v[42:43], v[46:47], v[30:31], v[42:43] op_sel:[0,0,1] op_sel_hi:[1,0,0]
	v_dual_mul_f32 v46, v49, v33 :: v_dual_mov_b32 v42, v49
	v_dual_mov_b32 v51, v43 :: v_dual_mov_b32 v43, v48
	s_delay_alu instid0(VALU_DEP_2) | instskip(SKIP_1) | instid1(VALU_DEP_3)
	v_pk_fma_f32 v[46:47], v[48:49], v[144:145], v[46:47] op_sel_hi:[1,1,0] neg_lo:[0,0,1] neg_hi:[0,0,1]
	v_mul_f32_e32 v48, v49, v30
	v_pk_add_f32 v[192:193], v[192:193], v[50:51] neg_lo:[0,1] neg_hi:[0,1]
	s_delay_alu instid0(VALU_DEP_2) | instskip(NEXT) | instid1(VALU_DEP_1)
	v_pk_fma_f32 v[42:43], v[42:43], v[144:145], v[48:49] op_sel_hi:[1,1,0]
	v_mov_b32_e32 v47, v43
	s_delay_alu instid0(VALU_DEP_1) | instskip(SKIP_4) | instid1(VALU_DEP_2)
	v_pk_add_f32 v[196:197], v[196:197], v[46:47] neg_lo:[0,1] neg_hi:[0,1]
	ds_load_2addr_b64 v[46:49], v104 offset0:49 offset1:50
	s_wait_dscnt 0x0
	v_pk_mul_f32 v[42:43], v[46:47], v[32:33] op_sel:[0,1]
	v_pk_mul_f32 v[32:33], v[48:49], v[32:33] op_sel:[0,1]
	v_pk_fma_f32 v[50:51], v[46:47], v[30:31], v[42:43] op_sel:[0,0,1] op_sel_hi:[1,1,0] neg_lo:[0,0,1] neg_hi:[0,0,1]
	v_pk_fma_f32 v[42:43], v[46:47], v[30:31], v[42:43] op_sel:[0,0,1] op_sel_hi:[1,0,0]
	s_delay_alu instid0(VALU_DEP_1) | instskip(NEXT) | instid1(VALU_DEP_4)
	v_mov_b32_e32 v51, v43
	v_pk_fma_f32 v[42:43], v[48:49], v[30:31], v[32:33] op_sel:[0,0,1] op_sel_hi:[1,1,0] neg_lo:[0,0,1] neg_hi:[0,0,1]
	v_pk_fma_f32 v[30:31], v[48:49], v[30:31], v[32:33] op_sel:[0,0,1] op_sel_hi:[1,0,0]
	s_delay_alu instid0(VALU_DEP_1) | instskip(NEXT) | instid1(VALU_DEP_4)
	v_mov_b32_e32 v43, v31
	v_pk_add_f32 v[202:203], v[202:203], v[50:51] neg_lo:[0,1] neg_hi:[0,1]
	s_delay_alu instid0(VALU_DEP_2)
	v_pk_add_f32 v[204:205], v[204:205], v[42:43] neg_lo:[0,1] neg_hi:[0,1]
.LBB101_316:
	s_or_b32 exec_lo, exec_lo, s1
	s_delay_alu instid0(SALU_CYCLE_1)
	s_mov_b32 s2, exec_lo
	s_wait_dscnt 0x0
	s_barrier_signal -1
	s_barrier_wait -1
	v_cmpx_eq_u32_e32 35, v102
	s_cbranch_execz .LBB101_323
; %bb.317:
	v_dual_mov_b32 v30, v162 :: v_dual_mov_b32 v31, v163
	v_dual_mov_b32 v32, v158 :: v_dual_mov_b32 v33, v159
	ds_store_b64 v103, v[140:141]
	ds_store_2addr_b64 v104, v[30:31], v[32:33] offset0:36 offset1:37
	v_dual_mov_b32 v30, v160 :: v_dual_mov_b32 v31, v161
	v_dual_mov_b32 v32, v156 :: v_dual_mov_b32 v33, v157
	ds_store_2addr_b64 v104, v[30:31], v[32:33] offset0:38 offset1:39
	v_dual_mov_b32 v30, v180 :: v_dual_mov_b32 v31, v181
	v_dual_mov_b32 v32, v176 :: v_dual_mov_b32 v33, v177
	;; [unrolled: 3-line block ×6, first 2 shown]
	ds_store_2addr_b64 v104, v[30:31], v[32:33] offset0:48 offset1:49
	ds_store_b64 v104, v[204:205] offset:400
	ds_load_b64 v[30:31], v103
	s_wait_dscnt 0x0
	v_cmp_neq_f32_e32 vcc_lo, 0, v30
	v_cmp_neq_f32_e64 s1, 0, v31
	s_or_b32 s1, vcc_lo, s1
	s_delay_alu instid0(SALU_CYCLE_1)
	s_and_b32 exec_lo, exec_lo, s1
	s_cbranch_execz .LBB101_323
; %bb.318:
	v_cmp_ngt_f32_e64 s1, |v30|, |v31|
                                        ; implicit-def: $vgpr32_vgpr33
	s_and_saveexec_b32 s4, s1
	s_delay_alu instid0(SALU_CYCLE_1)
	s_xor_b32 s1, exec_lo, s4
	s_cbranch_execz .LBB101_320
; %bb.319:
	v_div_scale_f32 v32, null, v31, v31, v30
	v_div_scale_f32 v43, vcc_lo, v30, v31, v30
	s_delay_alu instid0(VALU_DEP_2) | instskip(SKIP_1) | instid1(TRANS32_DEP_1)
	v_rcp_f32_e32 v33, v32
	v_nop
	v_fma_f32 v42, -v32, v33, 1.0
	s_delay_alu instid0(VALU_DEP_1) | instskip(NEXT) | instid1(VALU_DEP_1)
	v_fmac_f32_e32 v33, v42, v33
	v_mul_f32_e32 v42, v43, v33
	s_delay_alu instid0(VALU_DEP_1) | instskip(NEXT) | instid1(VALU_DEP_1)
	v_fma_f32 v46, -v32, v42, v43
	v_fmac_f32_e32 v42, v46, v33
	s_delay_alu instid0(VALU_DEP_1) | instskip(NEXT) | instid1(VALU_DEP_1)
	v_fma_f32 v32, -v32, v42, v43
	v_div_fmas_f32 v32, v32, v33, v42
	s_delay_alu instid0(VALU_DEP_1) | instskip(NEXT) | instid1(VALU_DEP_1)
	v_div_fixup_f32 v32, v32, v31, v30
	v_fmac_f32_e32 v31, v30, v32
	s_delay_alu instid0(VALU_DEP_1) | instskip(SKIP_1) | instid1(VALU_DEP_2)
	v_div_scale_f32 v30, null, v31, v31, 1.0
	v_div_scale_f32 v43, vcc_lo, 1.0, v31, 1.0
	v_rcp_f32_e32 v33, v30
	v_nop
	s_delay_alu instid0(TRANS32_DEP_1) | instskip(NEXT) | instid1(VALU_DEP_1)
	v_fma_f32 v42, -v30, v33, 1.0
	v_fmac_f32_e32 v33, v42, v33
	s_delay_alu instid0(VALU_DEP_1) | instskip(NEXT) | instid1(VALU_DEP_1)
	v_mul_f32_e32 v42, v43, v33
	v_fma_f32 v46, -v30, v42, v43
	s_delay_alu instid0(VALU_DEP_1) | instskip(NEXT) | instid1(VALU_DEP_1)
	v_fmac_f32_e32 v42, v46, v33
	v_fma_f32 v30, -v30, v42, v43
	s_delay_alu instid0(VALU_DEP_1) | instskip(NEXT) | instid1(VALU_DEP_1)
	v_div_fmas_f32 v30, v30, v33, v42
	v_div_fixup_f32 v30, v30, v31, 1.0
	s_delay_alu instid0(VALU_DEP_1)
	v_mul_f32_e32 v32, v32, v30
	v_xor_b32_e32 v33, 0x80000000, v30
                                        ; implicit-def: $vgpr30_vgpr31
.LBB101_320:
	s_and_not1_saveexec_b32 s1, s1
	s_cbranch_execz .LBB101_322
; %bb.321:
	v_div_scale_f32 v32, null, v30, v30, v31
	v_div_scale_f32 v43, vcc_lo, v31, v30, v31
	s_delay_alu instid0(VALU_DEP_2) | instskip(SKIP_1) | instid1(TRANS32_DEP_1)
	v_rcp_f32_e32 v33, v32
	v_nop
	v_fma_f32 v42, -v32, v33, 1.0
	s_delay_alu instid0(VALU_DEP_1) | instskip(NEXT) | instid1(VALU_DEP_1)
	v_fmac_f32_e32 v33, v42, v33
	v_mul_f32_e32 v42, v43, v33
	s_delay_alu instid0(VALU_DEP_1) | instskip(NEXT) | instid1(VALU_DEP_1)
	v_fma_f32 v46, -v32, v42, v43
	v_fmac_f32_e32 v42, v46, v33
	s_delay_alu instid0(VALU_DEP_1) | instskip(NEXT) | instid1(VALU_DEP_1)
	v_fma_f32 v32, -v32, v42, v43
	v_div_fmas_f32 v32, v32, v33, v42
	s_delay_alu instid0(VALU_DEP_1) | instskip(NEXT) | instid1(VALU_DEP_1)
	v_div_fixup_f32 v33, v32, v30, v31
	v_fmac_f32_e32 v30, v31, v33
	s_delay_alu instid0(VALU_DEP_1) | instskip(NEXT) | instid1(VALU_DEP_1)
	v_div_scale_f32 v31, null, v30, v30, 1.0
	v_rcp_f32_e32 v32, v31
	v_nop
	s_delay_alu instid0(TRANS32_DEP_1) | instskip(NEXT) | instid1(VALU_DEP_1)
	v_fma_f32 v42, -v31, v32, 1.0
	v_fmac_f32_e32 v32, v42, v32
	v_div_scale_f32 v42, vcc_lo, 1.0, v30, 1.0
	s_delay_alu instid0(VALU_DEP_1) | instskip(NEXT) | instid1(VALU_DEP_1)
	v_mul_f32_e32 v43, v42, v32
	v_fma_f32 v46, -v31, v43, v42
	s_delay_alu instid0(VALU_DEP_1) | instskip(NEXT) | instid1(VALU_DEP_1)
	v_fmac_f32_e32 v43, v46, v32
	v_fma_f32 v31, -v31, v43, v42
	s_delay_alu instid0(VALU_DEP_1) | instskip(NEXT) | instid1(VALU_DEP_1)
	v_div_fmas_f32 v31, v31, v32, v43
	v_div_fixup_f32 v32, v31, v30, 1.0
	s_delay_alu instid0(VALU_DEP_1)
	v_mul_f32_e64 v33, v33, -v32
.LBB101_322:
	s_or_b32 exec_lo, exec_lo, s1
	ds_store_b64 v103, v[32:33]
.LBB101_323:
	s_or_b32 exec_lo, exec_lo, s2
	s_wait_dscnt 0x0
	s_barrier_signal -1
	s_barrier_wait -1
	ds_load_b64 v[30:31], v103
	s_mov_b32 s1, exec_lo
	v_cmpx_lt_u32_e32 35, v102
	s_cbranch_execz .LBB101_325
; %bb.324:
	ds_load_2addr_b64 v[46:49], v104 offset0:36 offset1:37
	s_wait_dscnt 0x1
	v_pk_mul_f32 v[42:43], v[30:31], v[140:141] op_sel:[1,1] op_sel_hi:[0,1]
	s_delay_alu instid0(VALU_DEP_1) | instskip(SKIP_1) | instid1(VALU_DEP_1)
	v_pk_fma_f32 v[32:33], v[30:31], v[140:141], v[42:43] op_sel_hi:[1,0,1] neg_lo:[0,0,1] neg_hi:[0,0,1]
	v_pk_fma_f32 v[42:43], v[30:31], v[140:141], v[42:43] op_sel_hi:[1,0,1]
	v_dual_mov_b32 v140, v32 :: v_dual_mov_b32 v141, v43
	s_wait_dscnt 0x0
	s_delay_alu instid0(VALU_DEP_2) | instskip(NEXT) | instid1(VALU_DEP_1)
	v_pk_mul_f32 v[50:51], v[46:47], v[42:43] op_sel:[0,1]
	v_pk_fma_f32 v[60:61], v[46:47], v[32:33], v[50:51] op_sel:[0,0,1] op_sel_hi:[1,1,0] neg_lo:[0,0,1] neg_hi:[0,0,1]
	v_pk_fma_f32 v[46:47], v[46:47], v[32:33], v[50:51] op_sel:[0,0,1] op_sel_hi:[1,0,0]
	s_delay_alu instid0(VALU_DEP_1) | instskip(SKIP_1) | instid1(VALU_DEP_1)
	v_mov_b32_e32 v61, v47
	v_pk_mul_f32 v[46:47], v[48:49], v[42:43] op_sel:[0,1]
	v_pk_fma_f32 v[50:51], v[48:49], v[32:33], v[46:47] op_sel:[0,0,1] op_sel_hi:[1,1,0] neg_lo:[0,0,1] neg_hi:[0,0,1]
	v_pk_fma_f32 v[46:47], v[48:49], v[32:33], v[46:47] op_sel:[0,0,1] op_sel_hi:[1,0,0]
	s_delay_alu instid0(VALU_DEP_1)
	v_mov_b32_e32 v51, v47
	ds_load_2addr_b64 v[46:49], v104 offset0:38 offset1:39
	v_pk_add_f32 v[162:163], v[162:163], v[60:61] neg_lo:[0,1] neg_hi:[0,1]
	v_pk_add_f32 v[158:159], v[158:159], v[50:51] neg_lo:[0,1] neg_hi:[0,1]
	s_wait_dscnt 0x0
	v_pk_mul_f32 v[50:51], v[46:47], v[42:43] op_sel:[0,1]
	s_delay_alu instid0(VALU_DEP_1) | instskip(SKIP_2) | instid1(VALU_DEP_2)
	v_pk_fma_f32 v[60:61], v[46:47], v[32:33], v[50:51] op_sel:[0,0,1] op_sel_hi:[1,1,0] neg_lo:[0,0,1] neg_hi:[0,0,1]
	v_pk_fma_f32 v[46:47], v[46:47], v[32:33], v[50:51] op_sel:[0,0,1] op_sel_hi:[1,0,0]
	v_dual_mul_f32 v50, v49, v43 :: v_dual_mov_b32 v46, v49
	v_dual_mov_b32 v61, v47 :: v_dual_mov_b32 v47, v48
	s_delay_alu instid0(VALU_DEP_2) | instskip(SKIP_1) | instid1(VALU_DEP_3)
	v_pk_fma_f32 v[50:51], v[48:49], v[140:141], v[50:51] op_sel_hi:[1,1,0] neg_lo:[0,0,1] neg_hi:[0,0,1]
	v_mul_f32_e32 v48, v49, v32
	v_pk_add_f32 v[160:161], v[160:161], v[60:61] neg_lo:[0,1] neg_hi:[0,1]
	s_delay_alu instid0(VALU_DEP_2) | instskip(NEXT) | instid1(VALU_DEP_1)
	v_pk_fma_f32 v[46:47], v[46:47], v[140:141], v[48:49] op_sel_hi:[1,1,0]
	v_mov_b32_e32 v51, v47
	ds_load_2addr_b64 v[46:49], v104 offset0:40 offset1:41
	v_pk_add_f32 v[156:157], v[156:157], v[50:51] neg_lo:[0,1] neg_hi:[0,1]
	s_wait_dscnt 0x0
	v_pk_mul_f32 v[50:51], v[46:47], v[42:43] op_sel:[0,1]
	s_delay_alu instid0(VALU_DEP_1) | instskip(SKIP_1) | instid1(VALU_DEP_1)
	v_pk_fma_f32 v[60:61], v[46:47], v[32:33], v[50:51] op_sel:[0,0,1] op_sel_hi:[1,1,0] neg_lo:[0,0,1] neg_hi:[0,0,1]
	v_pk_fma_f32 v[46:47], v[46:47], v[32:33], v[50:51] op_sel:[0,0,1] op_sel_hi:[1,0,0]
	v_mov_b32_e32 v61, v47
	v_pk_mul_f32 v[46:47], v[48:49], v[42:43] op_sel:[0,1]
	s_delay_alu instid0(VALU_DEP_1) | instskip(SKIP_1) | instid1(VALU_DEP_1)
	v_pk_fma_f32 v[50:51], v[48:49], v[32:33], v[46:47] op_sel:[0,0,1] op_sel_hi:[1,1,0] neg_lo:[0,0,1] neg_hi:[0,0,1]
	v_pk_fma_f32 v[46:47], v[48:49], v[32:33], v[46:47] op_sel:[0,0,1] op_sel_hi:[1,0,0]
	v_mov_b32_e32 v51, v47
	ds_load_2addr_b64 v[46:49], v104 offset0:42 offset1:43
	v_pk_add_f32 v[180:181], v[180:181], v[60:61] neg_lo:[0,1] neg_hi:[0,1]
	v_pk_add_f32 v[176:177], v[176:177], v[50:51] neg_lo:[0,1] neg_hi:[0,1]
	s_wait_dscnt 0x0
	v_pk_mul_f32 v[50:51], v[46:47], v[42:43] op_sel:[0,1]
	s_delay_alu instid0(VALU_DEP_1) | instskip(SKIP_1) | instid1(VALU_DEP_1)
	v_pk_fma_f32 v[60:61], v[46:47], v[32:33], v[50:51] op_sel:[0,0,1] op_sel_hi:[1,1,0] neg_lo:[0,0,1] neg_hi:[0,0,1]
	v_pk_fma_f32 v[46:47], v[46:47], v[32:33], v[50:51] op_sel:[0,0,1] op_sel_hi:[1,0,0]
	v_mov_b32_e32 v61, v47
	v_pk_mul_f32 v[46:47], v[48:49], v[42:43] op_sel:[0,1]
	s_delay_alu instid0(VALU_DEP_1) | instskip(SKIP_1) | instid1(VALU_DEP_1)
	v_pk_fma_f32 v[50:51], v[48:49], v[32:33], v[46:47] op_sel:[0,0,1] op_sel_hi:[1,1,0] neg_lo:[0,0,1] neg_hi:[0,0,1]
	v_pk_fma_f32 v[46:47], v[48:49], v[32:33], v[46:47] op_sel:[0,0,1] op_sel_hi:[1,0,0]
	v_mov_b32_e32 v51, v47
	ds_load_2addr_b64 v[46:49], v104 offset0:44 offset1:45
	v_pk_add_f32 v[178:179], v[178:179], v[60:61] neg_lo:[0,1] neg_hi:[0,1]
	v_pk_add_f32 v[174:175], v[174:175], v[50:51] neg_lo:[0,1] neg_hi:[0,1]
	s_wait_dscnt 0x0
	v_dual_mul_f32 v50, v47, v43 :: v_dual_mul_f32 v60, v47, v32
	s_delay_alu instid0(VALU_DEP_1) | instskip(NEXT) | instid1(VALU_DEP_2)
	v_pk_fma_f32 v[50:51], v[46:47], v[140:141], v[50:51] op_sel_hi:[1,1,0] neg_lo:[0,0,1] neg_hi:[0,0,1]
	v_pk_fma_f32 v[46:47], v[46:47], v[140:141], v[60:61] op_sel:[1,0,0] op_sel_hi:[0,1,0]
	s_delay_alu instid0(VALU_DEP_1) | instskip(SKIP_1) | instid1(VALU_DEP_2)
	v_mov_b32_e32 v51, v47
	v_pk_mul_f32 v[46:47], v[48:49], v[42:43] op_sel:[0,1]
	v_pk_add_f32 v[200:201], v[200:201], v[50:51] neg_lo:[0,1] neg_hi:[0,1]
	s_delay_alu instid0(VALU_DEP_2) | instskip(SKIP_1) | instid1(VALU_DEP_1)
	v_pk_fma_f32 v[50:51], v[48:49], v[32:33], v[46:47] op_sel:[0,0,1] op_sel_hi:[1,1,0] neg_lo:[0,0,1] neg_hi:[0,0,1]
	v_pk_fma_f32 v[46:47], v[48:49], v[32:33], v[46:47] op_sel:[0,0,1] op_sel_hi:[1,0,0]
	v_mov_b32_e32 v51, v47
	ds_load_2addr_b64 v[46:49], v104 offset0:46 offset1:47
	v_pk_add_f32 v[194:195], v[194:195], v[50:51] neg_lo:[0,1] neg_hi:[0,1]
	s_wait_dscnt 0x0
	v_pk_mul_f32 v[50:51], v[46:47], v[42:43] op_sel:[0,1]
	s_delay_alu instid0(VALU_DEP_1) | instskip(SKIP_1) | instid1(VALU_DEP_1)
	v_pk_fma_f32 v[60:61], v[46:47], v[32:33], v[50:51] op_sel:[0,0,1] op_sel_hi:[1,1,0] neg_lo:[0,0,1] neg_hi:[0,0,1]
	v_pk_fma_f32 v[46:47], v[46:47], v[32:33], v[50:51] op_sel:[0,0,1] op_sel_hi:[1,0,0]
	v_mov_b32_e32 v61, v47
	v_pk_mul_f32 v[46:47], v[48:49], v[42:43] op_sel:[0,1]
	s_delay_alu instid0(VALU_DEP_2) | instskip(NEXT) | instid1(VALU_DEP_2)
	v_pk_add_f32 v[198:199], v[198:199], v[60:61] neg_lo:[0,1] neg_hi:[0,1]
	v_pk_fma_f32 v[50:51], v[48:49], v[32:33], v[46:47] op_sel:[0,0,1] op_sel_hi:[1,1,0] neg_lo:[0,0,1] neg_hi:[0,0,1]
	v_pk_fma_f32 v[46:47], v[48:49], v[32:33], v[46:47] op_sel:[0,0,1] op_sel_hi:[1,0,0]
	s_delay_alu instid0(VALU_DEP_1) | instskip(SKIP_4) | instid1(VALU_DEP_1)
	v_mov_b32_e32 v51, v47
	ds_load_2addr_b64 v[46:49], v104 offset0:48 offset1:49
	v_pk_add_f32 v[192:193], v[192:193], v[50:51] neg_lo:[0,1] neg_hi:[0,1]
	s_wait_dscnt 0x0
	v_pk_mul_f32 v[50:51], v[46:47], v[42:43] op_sel:[0,1]
	v_pk_fma_f32 v[60:61], v[46:47], v[32:33], v[50:51] op_sel:[0,0,1] op_sel_hi:[1,1,0] neg_lo:[0,0,1] neg_hi:[0,0,1]
	v_pk_fma_f32 v[46:47], v[46:47], v[32:33], v[50:51] op_sel:[0,0,1] op_sel_hi:[1,0,0]
	v_dual_mul_f32 v50, v49, v43 :: v_dual_mov_b32 v46, v49
	s_delay_alu instid0(VALU_DEP_2) | instskip(NEXT) | instid1(VALU_DEP_2)
	v_dual_mov_b32 v61, v47 :: v_dual_mov_b32 v47, v48
	v_pk_fma_f32 v[50:51], v[48:49], v[140:141], v[50:51] op_sel_hi:[1,1,0] neg_lo:[0,0,1] neg_hi:[0,0,1]
	v_mul_f32_e32 v48, v49, v32
	s_delay_alu instid0(VALU_DEP_3) | instskip(NEXT) | instid1(VALU_DEP_2)
	v_pk_add_f32 v[196:197], v[196:197], v[60:61] neg_lo:[0,1] neg_hi:[0,1]
	v_pk_fma_f32 v[46:47], v[46:47], v[140:141], v[48:49] op_sel_hi:[1,1,0]
	s_delay_alu instid0(VALU_DEP_1) | instskip(SKIP_4) | instid1(VALU_DEP_1)
	v_mov_b32_e32 v51, v47
	ds_load_b64 v[46:47], v104 offset:400
	v_pk_add_f32 v[202:203], v[202:203], v[50:51] neg_lo:[0,1] neg_hi:[0,1]
	s_wait_dscnt 0x0
	v_pk_mul_f32 v[42:43], v[46:47], v[42:43] op_sel:[0,1]
	v_pk_fma_f32 v[48:49], v[46:47], v[32:33], v[42:43] op_sel:[0,0,1] op_sel_hi:[1,1,0] neg_lo:[0,0,1] neg_hi:[0,0,1]
	v_pk_fma_f32 v[32:33], v[46:47], v[32:33], v[42:43] op_sel:[0,0,1] op_sel_hi:[1,0,0]
	s_delay_alu instid0(VALU_DEP_1) | instskip(NEXT) | instid1(VALU_DEP_1)
	v_mov_b32_e32 v49, v33
	v_pk_add_f32 v[204:205], v[204:205], v[48:49] neg_lo:[0,1] neg_hi:[0,1]
.LBB101_325:
	s_or_b32 exec_lo, exec_lo, s1
	s_delay_alu instid0(SALU_CYCLE_1)
	s_mov_b32 s2, exec_lo
	s_wait_dscnt 0x0
	s_barrier_signal -1
	s_barrier_wait -1
	v_cmpx_eq_u32_e32 36, v102
	s_cbranch_execz .LBB101_332
; %bb.326:
	ds_store_b64 v103, v[162:163]
	ds_store_2addr_b64 v104, v[158:159], v[160:161] offset0:37 offset1:38
	ds_store_2addr_b64 v104, v[156:157], v[180:181] offset0:39 offset1:40
	ds_store_2addr_b64 v104, v[176:177], v[178:179] offset0:41 offset1:42
	ds_store_2addr_b64 v104, v[174:175], v[200:201] offset0:43 offset1:44
	ds_store_2addr_b64 v104, v[194:195], v[198:199] offset0:45 offset1:46
	ds_store_2addr_b64 v104, v[192:193], v[196:197] offset0:47 offset1:48
	ds_store_2addr_b64 v104, v[202:203], v[204:205] offset0:49 offset1:50
	ds_load_b64 v[32:33], v103
	s_wait_dscnt 0x0
	v_cmp_neq_f32_e32 vcc_lo, 0, v32
	v_cmp_neq_f32_e64 s1, 0, v33
	s_or_b32 s1, vcc_lo, s1
	s_delay_alu instid0(SALU_CYCLE_1)
	s_and_b32 exec_lo, exec_lo, s1
	s_cbranch_execz .LBB101_332
; %bb.327:
	v_cmp_ngt_f32_e64 s1, |v32|, |v33|
                                        ; implicit-def: $vgpr42_vgpr43
	s_and_saveexec_b32 s4, s1
	s_delay_alu instid0(SALU_CYCLE_1)
	s_xor_b32 s1, exec_lo, s4
	s_cbranch_execz .LBB101_329
; %bb.328:
	v_div_scale_f32 v42, null, v33, v33, v32
	v_div_scale_f32 v47, vcc_lo, v32, v33, v32
	s_delay_alu instid0(VALU_DEP_2) | instskip(SKIP_1) | instid1(TRANS32_DEP_1)
	v_rcp_f32_e32 v43, v42
	v_nop
	v_fma_f32 v46, -v42, v43, 1.0
	s_delay_alu instid0(VALU_DEP_1) | instskip(NEXT) | instid1(VALU_DEP_1)
	v_fmac_f32_e32 v43, v46, v43
	v_mul_f32_e32 v46, v47, v43
	s_delay_alu instid0(VALU_DEP_1) | instskip(NEXT) | instid1(VALU_DEP_1)
	v_fma_f32 v48, -v42, v46, v47
	v_fmac_f32_e32 v46, v48, v43
	s_delay_alu instid0(VALU_DEP_1) | instskip(NEXT) | instid1(VALU_DEP_1)
	v_fma_f32 v42, -v42, v46, v47
	v_div_fmas_f32 v42, v42, v43, v46
	s_delay_alu instid0(VALU_DEP_1) | instskip(NEXT) | instid1(VALU_DEP_1)
	v_div_fixup_f32 v42, v42, v33, v32
	v_fmac_f32_e32 v33, v32, v42
	s_delay_alu instid0(VALU_DEP_1) | instskip(SKIP_1) | instid1(VALU_DEP_2)
	v_div_scale_f32 v32, null, v33, v33, 1.0
	v_div_scale_f32 v47, vcc_lo, 1.0, v33, 1.0
	v_rcp_f32_e32 v43, v32
	v_nop
	s_delay_alu instid0(TRANS32_DEP_1) | instskip(NEXT) | instid1(VALU_DEP_1)
	v_fma_f32 v46, -v32, v43, 1.0
	v_fmac_f32_e32 v43, v46, v43
	s_delay_alu instid0(VALU_DEP_1) | instskip(NEXT) | instid1(VALU_DEP_1)
	v_mul_f32_e32 v46, v47, v43
	v_fma_f32 v48, -v32, v46, v47
	s_delay_alu instid0(VALU_DEP_1) | instskip(NEXT) | instid1(VALU_DEP_1)
	v_fmac_f32_e32 v46, v48, v43
	v_fma_f32 v32, -v32, v46, v47
	s_delay_alu instid0(VALU_DEP_1) | instskip(NEXT) | instid1(VALU_DEP_1)
	v_div_fmas_f32 v32, v32, v43, v46
	v_div_fixup_f32 v32, v32, v33, 1.0
	s_delay_alu instid0(VALU_DEP_1)
	v_mul_f32_e32 v42, v42, v32
	v_xor_b32_e32 v43, 0x80000000, v32
                                        ; implicit-def: $vgpr32_vgpr33
.LBB101_329:
	s_and_not1_saveexec_b32 s1, s1
	s_cbranch_execz .LBB101_331
; %bb.330:
	v_div_scale_f32 v42, null, v32, v32, v33
	v_div_scale_f32 v47, vcc_lo, v33, v32, v33
	s_delay_alu instid0(VALU_DEP_2) | instskip(SKIP_1) | instid1(TRANS32_DEP_1)
	v_rcp_f32_e32 v43, v42
	v_nop
	v_fma_f32 v46, -v42, v43, 1.0
	s_delay_alu instid0(VALU_DEP_1) | instskip(NEXT) | instid1(VALU_DEP_1)
	v_fmac_f32_e32 v43, v46, v43
	v_mul_f32_e32 v46, v47, v43
	s_delay_alu instid0(VALU_DEP_1) | instskip(NEXT) | instid1(VALU_DEP_1)
	v_fma_f32 v48, -v42, v46, v47
	v_fmac_f32_e32 v46, v48, v43
	s_delay_alu instid0(VALU_DEP_1) | instskip(NEXT) | instid1(VALU_DEP_1)
	v_fma_f32 v42, -v42, v46, v47
	v_div_fmas_f32 v42, v42, v43, v46
	s_delay_alu instid0(VALU_DEP_1) | instskip(NEXT) | instid1(VALU_DEP_1)
	v_div_fixup_f32 v43, v42, v32, v33
	v_fmac_f32_e32 v32, v33, v43
	s_delay_alu instid0(VALU_DEP_1) | instskip(NEXT) | instid1(VALU_DEP_1)
	v_div_scale_f32 v33, null, v32, v32, 1.0
	v_rcp_f32_e32 v42, v33
	v_nop
	s_delay_alu instid0(TRANS32_DEP_1) | instskip(NEXT) | instid1(VALU_DEP_1)
	v_fma_f32 v46, -v33, v42, 1.0
	v_fmac_f32_e32 v42, v46, v42
	v_div_scale_f32 v46, vcc_lo, 1.0, v32, 1.0
	s_delay_alu instid0(VALU_DEP_1) | instskip(NEXT) | instid1(VALU_DEP_1)
	v_mul_f32_e32 v47, v46, v42
	v_fma_f32 v48, -v33, v47, v46
	s_delay_alu instid0(VALU_DEP_1) | instskip(NEXT) | instid1(VALU_DEP_1)
	v_fmac_f32_e32 v47, v48, v42
	v_fma_f32 v33, -v33, v47, v46
	s_delay_alu instid0(VALU_DEP_1) | instskip(NEXT) | instid1(VALU_DEP_1)
	v_div_fmas_f32 v33, v33, v42, v47
	v_div_fixup_f32 v42, v33, v32, 1.0
	s_delay_alu instid0(VALU_DEP_1)
	v_mul_f32_e64 v43, v43, -v42
.LBB101_331:
	s_or_b32 exec_lo, exec_lo, s1
	ds_store_b64 v103, v[42:43]
.LBB101_332:
	s_or_b32 exec_lo, exec_lo, s2
	s_wait_dscnt 0x0
	s_barrier_signal -1
	s_barrier_wait -1
	ds_load_b64 v[32:33], v103
	s_mov_b32 s1, exec_lo
	v_cmpx_lt_u32_e32 36, v102
	s_cbranch_execz .LBB101_334
; %bb.333:
	ds_load_2addr_b64 v[48:51], v104 offset0:37 offset1:38
	s_wait_dscnt 0x1
	v_pk_mul_f32 v[46:47], v[32:33], v[162:163] op_sel:[1,1] op_sel_hi:[0,1]
	s_delay_alu instid0(VALU_DEP_1) | instskip(SKIP_1) | instid1(VALU_DEP_1)
	v_pk_fma_f32 v[42:43], v[32:33], v[162:163], v[46:47] op_sel_hi:[1,0,1] neg_lo:[0,0,1] neg_hi:[0,0,1]
	v_pk_fma_f32 v[46:47], v[32:33], v[162:163], v[46:47] op_sel_hi:[1,0,1]
	v_dual_mov_b32 v162, v42 :: v_dual_mov_b32 v163, v47
	s_wait_dscnt 0x0
	s_delay_alu instid0(VALU_DEP_2) | instskip(NEXT) | instid1(VALU_DEP_1)
	v_pk_mul_f32 v[60:61], v[48:49], v[46:47] op_sel:[0,1]
	v_pk_fma_f32 v[62:63], v[48:49], v[42:43], v[60:61] op_sel:[0,0,1] op_sel_hi:[1,1,0] neg_lo:[0,0,1] neg_hi:[0,0,1]
	v_pk_fma_f32 v[48:49], v[48:49], v[42:43], v[60:61] op_sel:[0,0,1] op_sel_hi:[1,0,0]
	s_delay_alu instid0(VALU_DEP_1) | instskip(SKIP_1) | instid1(VALU_DEP_1)
	v_mov_b32_e32 v63, v49
	v_pk_mul_f32 v[48:49], v[50:51], v[46:47] op_sel:[0,1]
	v_pk_fma_f32 v[60:61], v[50:51], v[42:43], v[48:49] op_sel:[0,0,1] op_sel_hi:[1,1,0] neg_lo:[0,0,1] neg_hi:[0,0,1]
	v_pk_fma_f32 v[48:49], v[50:51], v[42:43], v[48:49] op_sel:[0,0,1] op_sel_hi:[1,0,0]
	s_delay_alu instid0(VALU_DEP_1)
	v_mov_b32_e32 v61, v49
	ds_load_2addr_b64 v[48:51], v104 offset0:39 offset1:40
	v_pk_add_f32 v[158:159], v[158:159], v[62:63] neg_lo:[0,1] neg_hi:[0,1]
	v_pk_add_f32 v[160:161], v[160:161], v[60:61] neg_lo:[0,1] neg_hi:[0,1]
	s_wait_dscnt 0x0
	v_pk_mul_f32 v[60:61], v[48:49], v[46:47] op_sel:[0,1]
	s_delay_alu instid0(VALU_DEP_1) | instskip(SKIP_2) | instid1(VALU_DEP_2)
	v_pk_fma_f32 v[62:63], v[48:49], v[42:43], v[60:61] op_sel:[0,0,1] op_sel_hi:[1,1,0] neg_lo:[0,0,1] neg_hi:[0,0,1]
	v_pk_fma_f32 v[48:49], v[48:49], v[42:43], v[60:61] op_sel:[0,0,1] op_sel_hi:[1,0,0]
	v_dual_mul_f32 v60, v51, v47 :: v_dual_mov_b32 v48, v51
	v_dual_mov_b32 v63, v49 :: v_dual_mov_b32 v49, v50
	s_delay_alu instid0(VALU_DEP_2) | instskip(SKIP_1) | instid1(VALU_DEP_3)
	v_pk_fma_f32 v[60:61], v[50:51], v[162:163], v[60:61] op_sel_hi:[1,1,0] neg_lo:[0,0,1] neg_hi:[0,0,1]
	v_mul_f32_e32 v50, v51, v42
	v_pk_add_f32 v[156:157], v[156:157], v[62:63] neg_lo:[0,1] neg_hi:[0,1]
	s_delay_alu instid0(VALU_DEP_2) | instskip(NEXT) | instid1(VALU_DEP_1)
	v_pk_fma_f32 v[48:49], v[48:49], v[162:163], v[50:51] op_sel_hi:[1,1,0]
	v_mov_b32_e32 v61, v49
	ds_load_2addr_b64 v[48:51], v104 offset0:41 offset1:42
	v_pk_add_f32 v[180:181], v[180:181], v[60:61] neg_lo:[0,1] neg_hi:[0,1]
	s_wait_dscnt 0x0
	v_pk_mul_f32 v[60:61], v[48:49], v[46:47] op_sel:[0,1]
	s_delay_alu instid0(VALU_DEP_1) | instskip(SKIP_1) | instid1(VALU_DEP_1)
	v_pk_fma_f32 v[62:63], v[48:49], v[42:43], v[60:61] op_sel:[0,0,1] op_sel_hi:[1,1,0] neg_lo:[0,0,1] neg_hi:[0,0,1]
	v_pk_fma_f32 v[48:49], v[48:49], v[42:43], v[60:61] op_sel:[0,0,1] op_sel_hi:[1,0,0]
	v_mov_b32_e32 v63, v49
	v_pk_mul_f32 v[48:49], v[50:51], v[46:47] op_sel:[0,1]
	s_delay_alu instid0(VALU_DEP_1) | instskip(SKIP_1) | instid1(VALU_DEP_1)
	v_pk_fma_f32 v[60:61], v[50:51], v[42:43], v[48:49] op_sel:[0,0,1] op_sel_hi:[1,1,0] neg_lo:[0,0,1] neg_hi:[0,0,1]
	v_pk_fma_f32 v[48:49], v[50:51], v[42:43], v[48:49] op_sel:[0,0,1] op_sel_hi:[1,0,0]
	v_mov_b32_e32 v61, v49
	ds_load_2addr_b64 v[48:51], v104 offset0:43 offset1:44
	v_pk_add_f32 v[176:177], v[176:177], v[62:63] neg_lo:[0,1] neg_hi:[0,1]
	v_pk_add_f32 v[178:179], v[178:179], v[60:61] neg_lo:[0,1] neg_hi:[0,1]
	s_wait_dscnt 0x0
	v_pk_mul_f32 v[60:61], v[48:49], v[46:47] op_sel:[0,1]
	s_delay_alu instid0(VALU_DEP_1) | instskip(SKIP_1) | instid1(VALU_DEP_1)
	v_pk_fma_f32 v[62:63], v[48:49], v[42:43], v[60:61] op_sel:[0,0,1] op_sel_hi:[1,1,0] neg_lo:[0,0,1] neg_hi:[0,0,1]
	v_pk_fma_f32 v[48:49], v[48:49], v[42:43], v[60:61] op_sel:[0,0,1] op_sel_hi:[1,0,0]
	v_mov_b32_e32 v63, v49
	v_pk_mul_f32 v[48:49], v[50:51], v[46:47] op_sel:[0,1]
	s_delay_alu instid0(VALU_DEP_1) | instskip(SKIP_1) | instid1(VALU_DEP_1)
	v_pk_fma_f32 v[60:61], v[50:51], v[42:43], v[48:49] op_sel:[0,0,1] op_sel_hi:[1,1,0] neg_lo:[0,0,1] neg_hi:[0,0,1]
	v_pk_fma_f32 v[48:49], v[50:51], v[42:43], v[48:49] op_sel:[0,0,1] op_sel_hi:[1,0,0]
	v_mov_b32_e32 v61, v49
	ds_load_2addr_b64 v[48:51], v104 offset0:45 offset1:46
	v_pk_add_f32 v[174:175], v[174:175], v[62:63] neg_lo:[0,1] neg_hi:[0,1]
	v_pk_add_f32 v[200:201], v[200:201], v[60:61] neg_lo:[0,1] neg_hi:[0,1]
	s_wait_dscnt 0x0
	v_dual_mul_f32 v60, v49, v47 :: v_dual_mul_f32 v62, v49, v42
	s_delay_alu instid0(VALU_DEP_1) | instskip(NEXT) | instid1(VALU_DEP_2)
	v_pk_fma_f32 v[60:61], v[48:49], v[162:163], v[60:61] op_sel_hi:[1,1,0] neg_lo:[0,0,1] neg_hi:[0,0,1]
	v_pk_fma_f32 v[48:49], v[48:49], v[162:163], v[62:63] op_sel:[1,0,0] op_sel_hi:[0,1,0]
	s_delay_alu instid0(VALU_DEP_1) | instskip(SKIP_1) | instid1(VALU_DEP_2)
	v_mov_b32_e32 v61, v49
	v_pk_mul_f32 v[48:49], v[50:51], v[46:47] op_sel:[0,1]
	v_pk_add_f32 v[194:195], v[194:195], v[60:61] neg_lo:[0,1] neg_hi:[0,1]
	s_delay_alu instid0(VALU_DEP_2) | instskip(SKIP_1) | instid1(VALU_DEP_1)
	v_pk_fma_f32 v[60:61], v[50:51], v[42:43], v[48:49] op_sel:[0,0,1] op_sel_hi:[1,1,0] neg_lo:[0,0,1] neg_hi:[0,0,1]
	v_pk_fma_f32 v[48:49], v[50:51], v[42:43], v[48:49] op_sel:[0,0,1] op_sel_hi:[1,0,0]
	v_mov_b32_e32 v61, v49
	ds_load_2addr_b64 v[48:51], v104 offset0:47 offset1:48
	v_pk_add_f32 v[198:199], v[198:199], v[60:61] neg_lo:[0,1] neg_hi:[0,1]
	s_wait_dscnt 0x0
	v_pk_mul_f32 v[60:61], v[48:49], v[46:47] op_sel:[0,1]
	s_delay_alu instid0(VALU_DEP_1) | instskip(SKIP_1) | instid1(VALU_DEP_1)
	v_pk_fma_f32 v[62:63], v[48:49], v[42:43], v[60:61] op_sel:[0,0,1] op_sel_hi:[1,1,0] neg_lo:[0,0,1] neg_hi:[0,0,1]
	v_pk_fma_f32 v[48:49], v[48:49], v[42:43], v[60:61] op_sel:[0,0,1] op_sel_hi:[1,0,0]
	v_mov_b32_e32 v63, v49
	v_pk_mul_f32 v[48:49], v[50:51], v[46:47] op_sel:[0,1]
	s_delay_alu instid0(VALU_DEP_2) | instskip(NEXT) | instid1(VALU_DEP_2)
	v_pk_add_f32 v[192:193], v[192:193], v[62:63] neg_lo:[0,1] neg_hi:[0,1]
	v_pk_fma_f32 v[60:61], v[50:51], v[42:43], v[48:49] op_sel:[0,0,1] op_sel_hi:[1,1,0] neg_lo:[0,0,1] neg_hi:[0,0,1]
	v_pk_fma_f32 v[48:49], v[50:51], v[42:43], v[48:49] op_sel:[0,0,1] op_sel_hi:[1,0,0]
	s_delay_alu instid0(VALU_DEP_1)
	v_mov_b32_e32 v61, v49
	ds_load_2addr_b64 v[48:51], v104 offset0:49 offset1:50
	v_pk_add_f32 v[196:197], v[196:197], v[60:61] neg_lo:[0,1] neg_hi:[0,1]
	s_wait_dscnt 0x0
	v_pk_mul_f32 v[60:61], v[48:49], v[46:47] op_sel:[0,1]
	v_pk_mul_f32 v[46:47], v[50:51], v[46:47] op_sel:[0,1]
	s_delay_alu instid0(VALU_DEP_2) | instskip(SKIP_1) | instid1(VALU_DEP_1)
	v_pk_fma_f32 v[62:63], v[48:49], v[42:43], v[60:61] op_sel:[0,0,1] op_sel_hi:[1,1,0] neg_lo:[0,0,1] neg_hi:[0,0,1]
	v_pk_fma_f32 v[48:49], v[48:49], v[42:43], v[60:61] op_sel:[0,0,1] op_sel_hi:[1,0,0]
	v_mov_b32_e32 v63, v49
	s_delay_alu instid0(VALU_DEP_4) | instskip(SKIP_1) | instid1(VALU_DEP_3)
	v_pk_fma_f32 v[48:49], v[50:51], v[42:43], v[46:47] op_sel:[0,0,1] op_sel_hi:[1,1,0] neg_lo:[0,0,1] neg_hi:[0,0,1]
	v_pk_fma_f32 v[42:43], v[50:51], v[42:43], v[46:47] op_sel:[0,0,1] op_sel_hi:[1,0,0]
	v_pk_add_f32 v[202:203], v[202:203], v[62:63] neg_lo:[0,1] neg_hi:[0,1]
	s_delay_alu instid0(VALU_DEP_2) | instskip(NEXT) | instid1(VALU_DEP_1)
	v_mov_b32_e32 v49, v43
	v_pk_add_f32 v[204:205], v[204:205], v[48:49] neg_lo:[0,1] neg_hi:[0,1]
.LBB101_334:
	s_or_b32 exec_lo, exec_lo, s1
	s_delay_alu instid0(SALU_CYCLE_1)
	s_mov_b32 s2, exec_lo
	s_wait_dscnt 0x0
	s_barrier_signal -1
	s_barrier_wait -1
	v_cmpx_eq_u32_e32 37, v102
	s_cbranch_execz .LBB101_341
; %bb.335:
	v_dual_mov_b32 v42, v160 :: v_dual_mov_b32 v43, v161
	v_dual_mov_b32 v46, v156 :: v_dual_mov_b32 v47, v157
	ds_store_b64 v103, v[158:159]
	ds_store_2addr_b64 v104, v[42:43], v[46:47] offset0:38 offset1:39
	v_dual_mov_b32 v42, v180 :: v_dual_mov_b32 v43, v181
	v_dual_mov_b32 v46, v176 :: v_dual_mov_b32 v47, v177
	ds_store_2addr_b64 v104, v[42:43], v[46:47] offset0:40 offset1:41
	v_dual_mov_b32 v42, v178 :: v_dual_mov_b32 v43, v179
	v_dual_mov_b32 v46, v174 :: v_dual_mov_b32 v47, v175
	;; [unrolled: 3-line block ×5, first 2 shown]
	ds_store_2addr_b64 v104, v[42:43], v[46:47] offset0:48 offset1:49
	ds_store_b64 v104, v[204:205] offset:400
	ds_load_b64 v[42:43], v103
	s_wait_dscnt 0x0
	v_cmp_neq_f32_e32 vcc_lo, 0, v42
	v_cmp_neq_f32_e64 s1, 0, v43
	s_or_b32 s1, vcc_lo, s1
	s_delay_alu instid0(SALU_CYCLE_1)
	s_and_b32 exec_lo, exec_lo, s1
	s_cbranch_execz .LBB101_341
; %bb.336:
	v_cmp_ngt_f32_e64 s1, |v42|, |v43|
                                        ; implicit-def: $vgpr46_vgpr47
	s_and_saveexec_b32 s4, s1
	s_delay_alu instid0(SALU_CYCLE_1)
	s_xor_b32 s1, exec_lo, s4
	s_cbranch_execz .LBB101_338
; %bb.337:
	v_div_scale_f32 v46, null, v43, v43, v42
	v_div_scale_f32 v49, vcc_lo, v42, v43, v42
	s_delay_alu instid0(VALU_DEP_2) | instskip(SKIP_1) | instid1(TRANS32_DEP_1)
	v_rcp_f32_e32 v47, v46
	v_nop
	v_fma_f32 v48, -v46, v47, 1.0
	s_delay_alu instid0(VALU_DEP_1) | instskip(NEXT) | instid1(VALU_DEP_1)
	v_fmac_f32_e32 v47, v48, v47
	v_mul_f32_e32 v48, v49, v47
	s_delay_alu instid0(VALU_DEP_1) | instskip(NEXT) | instid1(VALU_DEP_1)
	v_fma_f32 v50, -v46, v48, v49
	v_fmac_f32_e32 v48, v50, v47
	s_delay_alu instid0(VALU_DEP_1) | instskip(NEXT) | instid1(VALU_DEP_1)
	v_fma_f32 v46, -v46, v48, v49
	v_div_fmas_f32 v46, v46, v47, v48
	s_delay_alu instid0(VALU_DEP_1) | instskip(NEXT) | instid1(VALU_DEP_1)
	v_div_fixup_f32 v46, v46, v43, v42
	v_fmac_f32_e32 v43, v42, v46
	s_delay_alu instid0(VALU_DEP_1) | instskip(SKIP_1) | instid1(VALU_DEP_2)
	v_div_scale_f32 v42, null, v43, v43, 1.0
	v_div_scale_f32 v49, vcc_lo, 1.0, v43, 1.0
	v_rcp_f32_e32 v47, v42
	v_nop
	s_delay_alu instid0(TRANS32_DEP_1) | instskip(NEXT) | instid1(VALU_DEP_1)
	v_fma_f32 v48, -v42, v47, 1.0
	v_fmac_f32_e32 v47, v48, v47
	s_delay_alu instid0(VALU_DEP_1) | instskip(NEXT) | instid1(VALU_DEP_1)
	v_mul_f32_e32 v48, v49, v47
	v_fma_f32 v50, -v42, v48, v49
	s_delay_alu instid0(VALU_DEP_1) | instskip(NEXT) | instid1(VALU_DEP_1)
	v_fmac_f32_e32 v48, v50, v47
	v_fma_f32 v42, -v42, v48, v49
	s_delay_alu instid0(VALU_DEP_1) | instskip(NEXT) | instid1(VALU_DEP_1)
	v_div_fmas_f32 v42, v42, v47, v48
	v_div_fixup_f32 v42, v42, v43, 1.0
	s_delay_alu instid0(VALU_DEP_1)
	v_mul_f32_e32 v46, v46, v42
	v_xor_b32_e32 v47, 0x80000000, v42
                                        ; implicit-def: $vgpr42_vgpr43
.LBB101_338:
	s_and_not1_saveexec_b32 s1, s1
	s_cbranch_execz .LBB101_340
; %bb.339:
	v_div_scale_f32 v46, null, v42, v42, v43
	v_div_scale_f32 v49, vcc_lo, v43, v42, v43
	s_delay_alu instid0(VALU_DEP_2) | instskip(SKIP_1) | instid1(TRANS32_DEP_1)
	v_rcp_f32_e32 v47, v46
	v_nop
	v_fma_f32 v48, -v46, v47, 1.0
	s_delay_alu instid0(VALU_DEP_1) | instskip(NEXT) | instid1(VALU_DEP_1)
	v_fmac_f32_e32 v47, v48, v47
	v_mul_f32_e32 v48, v49, v47
	s_delay_alu instid0(VALU_DEP_1) | instskip(NEXT) | instid1(VALU_DEP_1)
	v_fma_f32 v50, -v46, v48, v49
	v_fmac_f32_e32 v48, v50, v47
	s_delay_alu instid0(VALU_DEP_1) | instskip(NEXT) | instid1(VALU_DEP_1)
	v_fma_f32 v46, -v46, v48, v49
	v_div_fmas_f32 v46, v46, v47, v48
	s_delay_alu instid0(VALU_DEP_1) | instskip(NEXT) | instid1(VALU_DEP_1)
	v_div_fixup_f32 v47, v46, v42, v43
	v_fmac_f32_e32 v42, v43, v47
	s_delay_alu instid0(VALU_DEP_1) | instskip(NEXT) | instid1(VALU_DEP_1)
	v_div_scale_f32 v43, null, v42, v42, 1.0
	v_rcp_f32_e32 v46, v43
	v_nop
	s_delay_alu instid0(TRANS32_DEP_1) | instskip(NEXT) | instid1(VALU_DEP_1)
	v_fma_f32 v48, -v43, v46, 1.0
	v_fmac_f32_e32 v46, v48, v46
	v_div_scale_f32 v48, vcc_lo, 1.0, v42, 1.0
	s_delay_alu instid0(VALU_DEP_1) | instskip(NEXT) | instid1(VALU_DEP_1)
	v_mul_f32_e32 v49, v48, v46
	v_fma_f32 v50, -v43, v49, v48
	s_delay_alu instid0(VALU_DEP_1) | instskip(NEXT) | instid1(VALU_DEP_1)
	v_fmac_f32_e32 v49, v50, v46
	v_fma_f32 v43, -v43, v49, v48
	s_delay_alu instid0(VALU_DEP_1) | instskip(NEXT) | instid1(VALU_DEP_1)
	v_div_fmas_f32 v43, v43, v46, v49
	v_div_fixup_f32 v46, v43, v42, 1.0
	s_delay_alu instid0(VALU_DEP_1)
	v_mul_f32_e64 v47, v47, -v46
.LBB101_340:
	s_or_b32 exec_lo, exec_lo, s1
	ds_store_b64 v103, v[46:47]
.LBB101_341:
	s_or_b32 exec_lo, exec_lo, s2
	s_wait_dscnt 0x0
	s_barrier_signal -1
	s_barrier_wait -1
	ds_load_b64 v[42:43], v103
	s_mov_b32 s1, exec_lo
	v_cmpx_lt_u32_e32 37, v102
	s_cbranch_execz .LBB101_343
; %bb.342:
	ds_load_2addr_b64 v[60:63], v104 offset0:38 offset1:39
	s_wait_dscnt 0x1
	v_pk_mul_f32 v[48:49], v[42:43], v[158:159] op_sel:[1,1] op_sel_hi:[0,1]
	s_delay_alu instid0(VALU_DEP_1) | instskip(SKIP_1) | instid1(VALU_DEP_1)
	v_pk_fma_f32 v[46:47], v[42:43], v[158:159], v[48:49] op_sel_hi:[1,0,1] neg_lo:[0,0,1] neg_hi:[0,0,1]
	v_pk_fma_f32 v[48:49], v[42:43], v[158:159], v[48:49] op_sel_hi:[1,0,1]
	v_dual_mov_b32 v158, v46 :: v_dual_mov_b32 v159, v49
	s_wait_dscnt 0x0
	s_delay_alu instid0(VALU_DEP_2) | instskip(NEXT) | instid1(VALU_DEP_1)
	v_pk_mul_f32 v[50:51], v[60:61], v[48:49] op_sel:[0,1]
	v_pk_fma_f32 v[64:65], v[60:61], v[46:47], v[50:51] op_sel:[0,0,1] op_sel_hi:[1,1,0] neg_lo:[0,0,1] neg_hi:[0,0,1]
	v_pk_fma_f32 v[50:51], v[60:61], v[46:47], v[50:51] op_sel:[0,0,1] op_sel_hi:[1,0,0]
	s_delay_alu instid0(VALU_DEP_1) | instskip(SKIP_1) | instid1(VALU_DEP_1)
	v_mov_b32_e32 v65, v51
	v_pk_mul_f32 v[50:51], v[62:63], v[48:49] op_sel:[0,1]
	v_pk_fma_f32 v[60:61], v[62:63], v[46:47], v[50:51] op_sel:[0,0,1] op_sel_hi:[1,1,0] neg_lo:[0,0,1] neg_hi:[0,0,1]
	v_pk_fma_f32 v[50:51], v[62:63], v[46:47], v[50:51] op_sel:[0,0,1] op_sel_hi:[1,0,0]
	s_delay_alu instid0(VALU_DEP_1) | instskip(SKIP_1) | instid1(VALU_DEP_2)
	v_mov_b32_e32 v61, v51
	v_pk_add_f32 v[160:161], v[160:161], v[64:65] neg_lo:[0,1] neg_hi:[0,1]
	v_pk_add_f32 v[156:157], v[156:157], v[60:61] neg_lo:[0,1] neg_hi:[0,1]
	ds_load_2addr_b64 v[60:63], v104 offset0:40 offset1:41
	s_wait_dscnt 0x0
	v_pk_mul_f32 v[50:51], v[60:61], v[48:49] op_sel:[0,1]
	s_delay_alu instid0(VALU_DEP_1) | instskip(SKIP_2) | instid1(VALU_DEP_2)
	v_pk_fma_f32 v[64:65], v[60:61], v[46:47], v[50:51] op_sel:[0,0,1] op_sel_hi:[1,1,0] neg_lo:[0,0,1] neg_hi:[0,0,1]
	v_pk_fma_f32 v[50:51], v[60:61], v[46:47], v[50:51] op_sel:[0,0,1] op_sel_hi:[1,0,0]
	v_dual_mul_f32 v60, v63, v49 :: v_dual_mov_b32 v50, v63
	v_dual_mov_b32 v65, v51 :: v_dual_mov_b32 v51, v62
	s_delay_alu instid0(VALU_DEP_2) | instskip(SKIP_1) | instid1(VALU_DEP_3)
	v_pk_fma_f32 v[60:61], v[62:63], v[158:159], v[60:61] op_sel_hi:[1,1,0] neg_lo:[0,0,1] neg_hi:[0,0,1]
	v_mul_f32_e32 v62, v63, v46
	v_pk_add_f32 v[180:181], v[180:181], v[64:65] neg_lo:[0,1] neg_hi:[0,1]
	s_delay_alu instid0(VALU_DEP_2) | instskip(NEXT) | instid1(VALU_DEP_1)
	v_pk_fma_f32 v[50:51], v[50:51], v[158:159], v[62:63] op_sel_hi:[1,1,0]
	v_mov_b32_e32 v61, v51
	s_delay_alu instid0(VALU_DEP_1) | instskip(SKIP_3) | instid1(VALU_DEP_1)
	v_pk_add_f32 v[176:177], v[176:177], v[60:61] neg_lo:[0,1] neg_hi:[0,1]
	ds_load_2addr_b64 v[60:63], v104 offset0:42 offset1:43
	s_wait_dscnt 0x0
	v_pk_mul_f32 v[50:51], v[60:61], v[48:49] op_sel:[0,1]
	v_pk_fma_f32 v[64:65], v[60:61], v[46:47], v[50:51] op_sel:[0,0,1] op_sel_hi:[1,1,0] neg_lo:[0,0,1] neg_hi:[0,0,1]
	v_pk_fma_f32 v[50:51], v[60:61], v[46:47], v[50:51] op_sel:[0,0,1] op_sel_hi:[1,0,0]
	s_delay_alu instid0(VALU_DEP_1) | instskip(SKIP_1) | instid1(VALU_DEP_2)
	v_mov_b32_e32 v65, v51
	v_pk_mul_f32 v[50:51], v[62:63], v[48:49] op_sel:[0,1]
	v_pk_add_f32 v[178:179], v[178:179], v[64:65] neg_lo:[0,1] neg_hi:[0,1]
	s_delay_alu instid0(VALU_DEP_2) | instskip(SKIP_1) | instid1(VALU_DEP_1)
	v_pk_fma_f32 v[60:61], v[62:63], v[46:47], v[50:51] op_sel:[0,0,1] op_sel_hi:[1,1,0] neg_lo:[0,0,1] neg_hi:[0,0,1]
	v_pk_fma_f32 v[50:51], v[62:63], v[46:47], v[50:51] op_sel:[0,0,1] op_sel_hi:[1,0,0]
	v_mov_b32_e32 v61, v51
	s_delay_alu instid0(VALU_DEP_1) | instskip(SKIP_3) | instid1(VALU_DEP_1)
	v_pk_add_f32 v[174:175], v[174:175], v[60:61] neg_lo:[0,1] neg_hi:[0,1]
	ds_load_2addr_b64 v[60:63], v104 offset0:44 offset1:45
	s_wait_dscnt 0x0
	v_pk_mul_f32 v[50:51], v[60:61], v[48:49] op_sel:[0,1]
	v_pk_fma_f32 v[64:65], v[60:61], v[46:47], v[50:51] op_sel:[0,0,1] op_sel_hi:[1,1,0] neg_lo:[0,0,1] neg_hi:[0,0,1]
	v_pk_fma_f32 v[50:51], v[60:61], v[46:47], v[50:51] op_sel:[0,0,1] op_sel_hi:[1,0,0]
	s_delay_alu instid0(VALU_DEP_1) | instskip(SKIP_1) | instid1(VALU_DEP_2)
	v_mov_b32_e32 v65, v51
	v_pk_mul_f32 v[50:51], v[62:63], v[48:49] op_sel:[0,1]
	v_pk_add_f32 v[200:201], v[200:201], v[64:65] neg_lo:[0,1] neg_hi:[0,1]
	s_delay_alu instid0(VALU_DEP_2) | instskip(SKIP_1) | instid1(VALU_DEP_1)
	v_pk_fma_f32 v[60:61], v[62:63], v[46:47], v[50:51] op_sel:[0,0,1] op_sel_hi:[1,1,0] neg_lo:[0,0,1] neg_hi:[0,0,1]
	v_pk_fma_f32 v[50:51], v[62:63], v[46:47], v[50:51] op_sel:[0,0,1] op_sel_hi:[1,0,0]
	v_mov_b32_e32 v61, v51
	s_delay_alu instid0(VALU_DEP_1) | instskip(SKIP_3) | instid1(VALU_DEP_1)
	v_pk_add_f32 v[194:195], v[194:195], v[60:61] neg_lo:[0,1] neg_hi:[0,1]
	ds_load_2addr_b64 v[60:63], v104 offset0:46 offset1:47
	s_wait_dscnt 0x0
	v_dual_mul_f32 v50, v61, v49 :: v_dual_mul_f32 v64, v61, v46
	v_pk_fma_f32 v[50:51], v[60:61], v[158:159], v[50:51] op_sel_hi:[1,1,0] neg_lo:[0,0,1] neg_hi:[0,0,1]
	s_delay_alu instid0(VALU_DEP_2) | instskip(NEXT) | instid1(VALU_DEP_1)
	v_pk_fma_f32 v[60:61], v[60:61], v[158:159], v[64:65] op_sel:[1,0,0] op_sel_hi:[0,1,0]
	v_mov_b32_e32 v51, v61
	s_delay_alu instid0(VALU_DEP_1) | instskip(SKIP_1) | instid1(VALU_DEP_1)
	v_pk_add_f32 v[198:199], v[198:199], v[50:51] neg_lo:[0,1] neg_hi:[0,1]
	v_pk_mul_f32 v[50:51], v[62:63], v[48:49] op_sel:[0,1]
	v_pk_fma_f32 v[60:61], v[62:63], v[46:47], v[50:51] op_sel:[0,0,1] op_sel_hi:[1,1,0] neg_lo:[0,0,1] neg_hi:[0,0,1]
	v_pk_fma_f32 v[50:51], v[62:63], v[46:47], v[50:51] op_sel:[0,0,1] op_sel_hi:[1,0,0]
	s_delay_alu instid0(VALU_DEP_1) | instskip(NEXT) | instid1(VALU_DEP_1)
	v_mov_b32_e32 v61, v51
	v_pk_add_f32 v[192:193], v[192:193], v[60:61] neg_lo:[0,1] neg_hi:[0,1]
	ds_load_2addr_b64 v[60:63], v104 offset0:48 offset1:49
	s_wait_dscnt 0x0
	v_pk_mul_f32 v[50:51], v[60:61], v[48:49] op_sel:[0,1]
	s_delay_alu instid0(VALU_DEP_1) | instskip(SKIP_1) | instid1(VALU_DEP_1)
	v_pk_fma_f32 v[64:65], v[60:61], v[46:47], v[50:51] op_sel:[0,0,1] op_sel_hi:[1,1,0] neg_lo:[0,0,1] neg_hi:[0,0,1]
	v_pk_fma_f32 v[50:51], v[60:61], v[46:47], v[50:51] op_sel:[0,0,1] op_sel_hi:[1,0,0]
	v_mov_b32_e32 v65, v51
	v_pk_mul_f32 v[50:51], v[62:63], v[48:49] op_sel:[0,1]
	s_delay_alu instid0(VALU_DEP_2) | instskip(NEXT) | instid1(VALU_DEP_2)
	v_pk_add_f32 v[196:197], v[196:197], v[64:65] neg_lo:[0,1] neg_hi:[0,1]
	v_pk_fma_f32 v[60:61], v[62:63], v[46:47], v[50:51] op_sel:[0,0,1] op_sel_hi:[1,1,0] neg_lo:[0,0,1] neg_hi:[0,0,1]
	v_pk_fma_f32 v[50:51], v[62:63], v[46:47], v[50:51] op_sel:[0,0,1] op_sel_hi:[1,0,0]
	s_delay_alu instid0(VALU_DEP_1) | instskip(SKIP_4) | instid1(VALU_DEP_1)
	v_mov_b32_e32 v61, v51
	ds_load_b64 v[50:51], v104 offset:400
	v_pk_add_f32 v[202:203], v[202:203], v[60:61] neg_lo:[0,1] neg_hi:[0,1]
	s_wait_dscnt 0x0
	v_pk_mul_f32 v[48:49], v[50:51], v[48:49] op_sel:[0,1]
	v_pk_fma_f32 v[60:61], v[50:51], v[46:47], v[48:49] op_sel:[0,0,1] op_sel_hi:[1,1,0] neg_lo:[0,0,1] neg_hi:[0,0,1]
	v_pk_fma_f32 v[46:47], v[50:51], v[46:47], v[48:49] op_sel:[0,0,1] op_sel_hi:[1,0,0]
	s_delay_alu instid0(VALU_DEP_1) | instskip(NEXT) | instid1(VALU_DEP_1)
	v_mov_b32_e32 v61, v47
	v_pk_add_f32 v[204:205], v[204:205], v[60:61] neg_lo:[0,1] neg_hi:[0,1]
.LBB101_343:
	s_or_b32 exec_lo, exec_lo, s1
	s_delay_alu instid0(SALU_CYCLE_1)
	s_mov_b32 s2, exec_lo
	s_wait_dscnt 0x0
	s_barrier_signal -1
	s_barrier_wait -1
	v_cmpx_eq_u32_e32 38, v102
	s_cbranch_execz .LBB101_350
; %bb.344:
	ds_store_b64 v103, v[160:161]
	ds_store_2addr_b64 v104, v[156:157], v[180:181] offset0:39 offset1:40
	ds_store_2addr_b64 v104, v[176:177], v[178:179] offset0:41 offset1:42
	;; [unrolled: 1-line block ×6, first 2 shown]
	ds_load_b64 v[46:47], v103
	s_wait_dscnt 0x0
	v_cmp_neq_f32_e32 vcc_lo, 0, v46
	v_cmp_neq_f32_e64 s1, 0, v47
	s_or_b32 s1, vcc_lo, s1
	s_delay_alu instid0(SALU_CYCLE_1)
	s_and_b32 exec_lo, exec_lo, s1
	s_cbranch_execz .LBB101_350
; %bb.345:
	v_cmp_ngt_f32_e64 s1, |v46|, |v47|
                                        ; implicit-def: $vgpr48_vgpr49
	s_and_saveexec_b32 s4, s1
	s_delay_alu instid0(SALU_CYCLE_1)
	s_xor_b32 s1, exec_lo, s4
	s_cbranch_execz .LBB101_347
; %bb.346:
	v_div_scale_f32 v48, null, v47, v47, v46
	v_div_scale_f32 v51, vcc_lo, v46, v47, v46
	s_delay_alu instid0(VALU_DEP_2) | instskip(SKIP_1) | instid1(TRANS32_DEP_1)
	v_rcp_f32_e32 v49, v48
	v_nop
	v_fma_f32 v50, -v48, v49, 1.0
	s_delay_alu instid0(VALU_DEP_1) | instskip(NEXT) | instid1(VALU_DEP_1)
	v_fmac_f32_e32 v49, v50, v49
	v_mul_f32_e32 v50, v51, v49
	s_delay_alu instid0(VALU_DEP_1) | instskip(NEXT) | instid1(VALU_DEP_1)
	v_fma_f32 v60, -v48, v50, v51
	v_fmac_f32_e32 v50, v60, v49
	s_delay_alu instid0(VALU_DEP_1) | instskip(NEXT) | instid1(VALU_DEP_1)
	v_fma_f32 v48, -v48, v50, v51
	v_div_fmas_f32 v48, v48, v49, v50
	s_delay_alu instid0(VALU_DEP_1) | instskip(NEXT) | instid1(VALU_DEP_1)
	v_div_fixup_f32 v48, v48, v47, v46
	v_fmac_f32_e32 v47, v46, v48
	s_delay_alu instid0(VALU_DEP_1) | instskip(SKIP_1) | instid1(VALU_DEP_2)
	v_div_scale_f32 v46, null, v47, v47, 1.0
	v_div_scale_f32 v51, vcc_lo, 1.0, v47, 1.0
	v_rcp_f32_e32 v49, v46
	v_nop
	s_delay_alu instid0(TRANS32_DEP_1) | instskip(NEXT) | instid1(VALU_DEP_1)
	v_fma_f32 v50, -v46, v49, 1.0
	v_fmac_f32_e32 v49, v50, v49
	s_delay_alu instid0(VALU_DEP_1) | instskip(NEXT) | instid1(VALU_DEP_1)
	v_mul_f32_e32 v50, v51, v49
	v_fma_f32 v60, -v46, v50, v51
	s_delay_alu instid0(VALU_DEP_1) | instskip(NEXT) | instid1(VALU_DEP_1)
	v_fmac_f32_e32 v50, v60, v49
	v_fma_f32 v46, -v46, v50, v51
	s_delay_alu instid0(VALU_DEP_1) | instskip(NEXT) | instid1(VALU_DEP_1)
	v_div_fmas_f32 v46, v46, v49, v50
	v_div_fixup_f32 v46, v46, v47, 1.0
	s_delay_alu instid0(VALU_DEP_1)
	v_mul_f32_e32 v48, v48, v46
	v_xor_b32_e32 v49, 0x80000000, v46
                                        ; implicit-def: $vgpr46_vgpr47
.LBB101_347:
	s_and_not1_saveexec_b32 s1, s1
	s_cbranch_execz .LBB101_349
; %bb.348:
	v_div_scale_f32 v48, null, v46, v46, v47
	v_div_scale_f32 v51, vcc_lo, v47, v46, v47
	s_delay_alu instid0(VALU_DEP_2) | instskip(SKIP_1) | instid1(TRANS32_DEP_1)
	v_rcp_f32_e32 v49, v48
	v_nop
	v_fma_f32 v50, -v48, v49, 1.0
	s_delay_alu instid0(VALU_DEP_1) | instskip(NEXT) | instid1(VALU_DEP_1)
	v_fmac_f32_e32 v49, v50, v49
	v_mul_f32_e32 v50, v51, v49
	s_delay_alu instid0(VALU_DEP_1) | instskip(NEXT) | instid1(VALU_DEP_1)
	v_fma_f32 v60, -v48, v50, v51
	v_fmac_f32_e32 v50, v60, v49
	s_delay_alu instid0(VALU_DEP_1) | instskip(NEXT) | instid1(VALU_DEP_1)
	v_fma_f32 v48, -v48, v50, v51
	v_div_fmas_f32 v48, v48, v49, v50
	s_delay_alu instid0(VALU_DEP_1) | instskip(NEXT) | instid1(VALU_DEP_1)
	v_div_fixup_f32 v49, v48, v46, v47
	v_fmac_f32_e32 v46, v47, v49
	s_delay_alu instid0(VALU_DEP_1) | instskip(NEXT) | instid1(VALU_DEP_1)
	v_div_scale_f32 v47, null, v46, v46, 1.0
	v_rcp_f32_e32 v48, v47
	v_nop
	s_delay_alu instid0(TRANS32_DEP_1) | instskip(NEXT) | instid1(VALU_DEP_1)
	v_fma_f32 v50, -v47, v48, 1.0
	v_fmac_f32_e32 v48, v50, v48
	v_div_scale_f32 v50, vcc_lo, 1.0, v46, 1.0
	s_delay_alu instid0(VALU_DEP_1) | instskip(NEXT) | instid1(VALU_DEP_1)
	v_mul_f32_e32 v51, v50, v48
	v_fma_f32 v60, -v47, v51, v50
	s_delay_alu instid0(VALU_DEP_1) | instskip(NEXT) | instid1(VALU_DEP_1)
	v_fmac_f32_e32 v51, v60, v48
	v_fma_f32 v47, -v47, v51, v50
	s_delay_alu instid0(VALU_DEP_1) | instskip(NEXT) | instid1(VALU_DEP_1)
	v_div_fmas_f32 v47, v47, v48, v51
	v_div_fixup_f32 v48, v47, v46, 1.0
	s_delay_alu instid0(VALU_DEP_1)
	v_mul_f32_e64 v49, v49, -v48
.LBB101_349:
	s_or_b32 exec_lo, exec_lo, s1
	ds_store_b64 v103, v[48:49]
.LBB101_350:
	s_or_b32 exec_lo, exec_lo, s2
	s_wait_dscnt 0x0
	s_barrier_signal -1
	s_barrier_wait -1
	ds_load_b64 v[46:47], v103
	s_mov_b32 s1, exec_lo
	v_cmpx_lt_u32_e32 38, v102
	s_cbranch_execz .LBB101_352
; %bb.351:
	ds_load_2addr_b64 v[60:63], v104 offset0:39 offset1:40
	s_wait_dscnt 0x1
	v_pk_mul_f32 v[50:51], v[46:47], v[160:161] op_sel:[1,1] op_sel_hi:[0,1]
	s_delay_alu instid0(VALU_DEP_1) | instskip(SKIP_1) | instid1(VALU_DEP_1)
	v_pk_fma_f32 v[48:49], v[46:47], v[160:161], v[50:51] op_sel_hi:[1,0,1] neg_lo:[0,0,1] neg_hi:[0,0,1]
	v_pk_fma_f32 v[50:51], v[46:47], v[160:161], v[50:51] op_sel_hi:[1,0,1]
	v_dual_mov_b32 v160, v48 :: v_dual_mov_b32 v161, v51
	s_wait_dscnt 0x0
	s_delay_alu instid0(VALU_DEP_2) | instskip(NEXT) | instid1(VALU_DEP_1)
	v_pk_mul_f32 v[64:65], v[60:61], v[50:51] op_sel:[0,1]
	v_pk_fma_f32 v[66:67], v[60:61], v[48:49], v[64:65] op_sel:[0,0,1] op_sel_hi:[1,1,0] neg_lo:[0,0,1] neg_hi:[0,0,1]
	v_pk_fma_f32 v[60:61], v[60:61], v[48:49], v[64:65] op_sel:[0,0,1] op_sel_hi:[1,0,0]
	s_delay_alu instid0(VALU_DEP_1) | instskip(SKIP_1) | instid1(VALU_DEP_1)
	v_mov_b32_e32 v67, v61
	v_pk_mul_f32 v[60:61], v[62:63], v[50:51] op_sel:[0,1]
	v_pk_fma_f32 v[64:65], v[62:63], v[48:49], v[60:61] op_sel:[0,0,1] op_sel_hi:[1,1,0] neg_lo:[0,0,1] neg_hi:[0,0,1]
	v_pk_fma_f32 v[60:61], v[62:63], v[48:49], v[60:61] op_sel:[0,0,1] op_sel_hi:[1,0,0]
	s_delay_alu instid0(VALU_DEP_1)
	v_mov_b32_e32 v65, v61
	ds_load_2addr_b64 v[60:63], v104 offset0:41 offset1:42
	v_pk_add_f32 v[156:157], v[156:157], v[66:67] neg_lo:[0,1] neg_hi:[0,1]
	v_pk_add_f32 v[180:181], v[180:181], v[64:65] neg_lo:[0,1] neg_hi:[0,1]
	s_wait_dscnt 0x0
	v_pk_mul_f32 v[64:65], v[60:61], v[50:51] op_sel:[0,1]
	s_delay_alu instid0(VALU_DEP_1) | instskip(SKIP_2) | instid1(VALU_DEP_2)
	v_pk_fma_f32 v[66:67], v[60:61], v[48:49], v[64:65] op_sel:[0,0,1] op_sel_hi:[1,1,0] neg_lo:[0,0,1] neg_hi:[0,0,1]
	v_pk_fma_f32 v[60:61], v[60:61], v[48:49], v[64:65] op_sel:[0,0,1] op_sel_hi:[1,0,0]
	v_dual_mul_f32 v64, v63, v51 :: v_dual_mov_b32 v60, v63
	v_dual_mov_b32 v67, v61 :: v_dual_mov_b32 v61, v62
	s_delay_alu instid0(VALU_DEP_2) | instskip(SKIP_1) | instid1(VALU_DEP_3)
	v_pk_fma_f32 v[64:65], v[62:63], v[160:161], v[64:65] op_sel_hi:[1,1,0] neg_lo:[0,0,1] neg_hi:[0,0,1]
	v_mul_f32_e32 v62, v63, v48
	v_pk_add_f32 v[176:177], v[176:177], v[66:67] neg_lo:[0,1] neg_hi:[0,1]
	s_delay_alu instid0(VALU_DEP_2) | instskip(NEXT) | instid1(VALU_DEP_1)
	v_pk_fma_f32 v[60:61], v[60:61], v[160:161], v[62:63] op_sel_hi:[1,1,0]
	v_mov_b32_e32 v65, v61
	ds_load_2addr_b64 v[60:63], v104 offset0:43 offset1:44
	v_pk_add_f32 v[178:179], v[178:179], v[64:65] neg_lo:[0,1] neg_hi:[0,1]
	s_wait_dscnt 0x0
	v_pk_mul_f32 v[64:65], v[60:61], v[50:51] op_sel:[0,1]
	s_delay_alu instid0(VALU_DEP_1) | instskip(SKIP_1) | instid1(VALU_DEP_1)
	v_pk_fma_f32 v[66:67], v[60:61], v[48:49], v[64:65] op_sel:[0,0,1] op_sel_hi:[1,1,0] neg_lo:[0,0,1] neg_hi:[0,0,1]
	v_pk_fma_f32 v[60:61], v[60:61], v[48:49], v[64:65] op_sel:[0,0,1] op_sel_hi:[1,0,0]
	v_mov_b32_e32 v67, v61
	v_pk_mul_f32 v[60:61], v[62:63], v[50:51] op_sel:[0,1]
	s_delay_alu instid0(VALU_DEP_1) | instskip(SKIP_1) | instid1(VALU_DEP_1)
	v_pk_fma_f32 v[64:65], v[62:63], v[48:49], v[60:61] op_sel:[0,0,1] op_sel_hi:[1,1,0] neg_lo:[0,0,1] neg_hi:[0,0,1]
	v_pk_fma_f32 v[60:61], v[62:63], v[48:49], v[60:61] op_sel:[0,0,1] op_sel_hi:[1,0,0]
	v_mov_b32_e32 v65, v61
	ds_load_2addr_b64 v[60:63], v104 offset0:45 offset1:46
	v_pk_add_f32 v[174:175], v[174:175], v[66:67] neg_lo:[0,1] neg_hi:[0,1]
	v_pk_add_f32 v[200:201], v[200:201], v[64:65] neg_lo:[0,1] neg_hi:[0,1]
	s_wait_dscnt 0x0
	v_pk_mul_f32 v[64:65], v[60:61], v[50:51] op_sel:[0,1]
	s_delay_alu instid0(VALU_DEP_1) | instskip(SKIP_1) | instid1(VALU_DEP_1)
	v_pk_fma_f32 v[66:67], v[60:61], v[48:49], v[64:65] op_sel:[0,0,1] op_sel_hi:[1,1,0] neg_lo:[0,0,1] neg_hi:[0,0,1]
	v_pk_fma_f32 v[60:61], v[60:61], v[48:49], v[64:65] op_sel:[0,0,1] op_sel_hi:[1,0,0]
	v_mov_b32_e32 v67, v61
	v_pk_mul_f32 v[60:61], v[62:63], v[50:51] op_sel:[0,1]
	s_delay_alu instid0(VALU_DEP_1) | instskip(SKIP_1) | instid1(VALU_DEP_1)
	v_pk_fma_f32 v[64:65], v[62:63], v[48:49], v[60:61] op_sel:[0,0,1] op_sel_hi:[1,1,0] neg_lo:[0,0,1] neg_hi:[0,0,1]
	v_pk_fma_f32 v[60:61], v[62:63], v[48:49], v[60:61] op_sel:[0,0,1] op_sel_hi:[1,0,0]
	v_mov_b32_e32 v65, v61
	ds_load_2addr_b64 v[60:63], v104 offset0:47 offset1:48
	v_pk_add_f32 v[194:195], v[194:195], v[66:67] neg_lo:[0,1] neg_hi:[0,1]
	v_pk_add_f32 v[198:199], v[198:199], v[64:65] neg_lo:[0,1] neg_hi:[0,1]
	s_wait_dscnt 0x0
	v_dual_mul_f32 v64, v61, v51 :: v_dual_mul_f32 v66, v61, v48
	s_delay_alu instid0(VALU_DEP_1) | instskip(NEXT) | instid1(VALU_DEP_2)
	v_pk_fma_f32 v[64:65], v[60:61], v[160:161], v[64:65] op_sel_hi:[1,1,0] neg_lo:[0,0,1] neg_hi:[0,0,1]
	v_pk_fma_f32 v[60:61], v[60:61], v[160:161], v[66:67] op_sel:[1,0,0] op_sel_hi:[0,1,0]
	s_delay_alu instid0(VALU_DEP_1) | instskip(SKIP_1) | instid1(VALU_DEP_2)
	v_mov_b32_e32 v65, v61
	v_pk_mul_f32 v[60:61], v[62:63], v[50:51] op_sel:[0,1]
	v_pk_add_f32 v[192:193], v[192:193], v[64:65] neg_lo:[0,1] neg_hi:[0,1]
	s_delay_alu instid0(VALU_DEP_2) | instskip(SKIP_1) | instid1(VALU_DEP_1)
	v_pk_fma_f32 v[64:65], v[62:63], v[48:49], v[60:61] op_sel:[0,0,1] op_sel_hi:[1,1,0] neg_lo:[0,0,1] neg_hi:[0,0,1]
	v_pk_fma_f32 v[60:61], v[62:63], v[48:49], v[60:61] op_sel:[0,0,1] op_sel_hi:[1,0,0]
	v_mov_b32_e32 v65, v61
	ds_load_2addr_b64 v[60:63], v104 offset0:49 offset1:50
	v_pk_add_f32 v[196:197], v[196:197], v[64:65] neg_lo:[0,1] neg_hi:[0,1]
	s_wait_dscnt 0x0
	v_pk_mul_f32 v[64:65], v[60:61], v[50:51] op_sel:[0,1]
	v_mul_f32_e32 v50, v63, v51
	s_delay_alu instid0(VALU_DEP_2) | instskip(SKIP_2) | instid1(VALU_DEP_4)
	v_pk_fma_f32 v[66:67], v[60:61], v[48:49], v[64:65] op_sel:[0,0,1] op_sel_hi:[1,1,0] neg_lo:[0,0,1] neg_hi:[0,0,1]
	v_pk_fma_f32 v[60:61], v[60:61], v[48:49], v[64:65] op_sel:[0,0,1] op_sel_hi:[1,0,0]
	v_dual_mov_b32 v60, v63 :: v_dual_mul_f32 v48, v63, v48
	v_pk_fma_f32 v[50:51], v[62:63], v[160:161], v[50:51] op_sel_hi:[1,1,0] neg_lo:[0,0,1] neg_hi:[0,0,1]
	s_delay_alu instid0(VALU_DEP_3) | instskip(NEXT) | instid1(VALU_DEP_1)
	v_dual_mov_b32 v67, v61 :: v_dual_mov_b32 v61, v62
	v_pk_add_f32 v[202:203], v[202:203], v[66:67] neg_lo:[0,1] neg_hi:[0,1]
	s_delay_alu instid0(VALU_DEP_2) | instskip(NEXT) | instid1(VALU_DEP_1)
	v_pk_fma_f32 v[48:49], v[60:61], v[160:161], v[48:49] op_sel_hi:[1,1,0]
	v_mov_b32_e32 v51, v49
	s_delay_alu instid0(VALU_DEP_1)
	v_pk_add_f32 v[204:205], v[204:205], v[50:51] neg_lo:[0,1] neg_hi:[0,1]
.LBB101_352:
	s_or_b32 exec_lo, exec_lo, s1
	s_delay_alu instid0(SALU_CYCLE_1)
	s_mov_b32 s2, exec_lo
	s_wait_dscnt 0x0
	s_barrier_signal -1
	s_barrier_wait -1
	v_cmpx_eq_u32_e32 39, v102
	s_cbranch_execz .LBB101_359
; %bb.353:
	v_dual_mov_b32 v48, v180 :: v_dual_mov_b32 v49, v181
	v_dual_mov_b32 v50, v176 :: v_dual_mov_b32 v51, v177
	ds_store_b64 v103, v[156:157]
	ds_store_2addr_b64 v104, v[48:49], v[50:51] offset0:40 offset1:41
	v_dual_mov_b32 v48, v178 :: v_dual_mov_b32 v49, v179
	v_dual_mov_b32 v50, v174 :: v_dual_mov_b32 v51, v175
	ds_store_2addr_b64 v104, v[48:49], v[50:51] offset0:42 offset1:43
	v_dual_mov_b32 v48, v200 :: v_dual_mov_b32 v49, v201
	v_dual_mov_b32 v50, v194 :: v_dual_mov_b32 v51, v195
	;; [unrolled: 3-line block ×4, first 2 shown]
	ds_store_2addr_b64 v104, v[48:49], v[50:51] offset0:48 offset1:49
	ds_store_b64 v104, v[204:205] offset:400
	ds_load_b64 v[48:49], v103
	s_wait_dscnt 0x0
	v_cmp_neq_f32_e32 vcc_lo, 0, v48
	v_cmp_neq_f32_e64 s1, 0, v49
	s_or_b32 s1, vcc_lo, s1
	s_delay_alu instid0(SALU_CYCLE_1)
	s_and_b32 exec_lo, exec_lo, s1
	s_cbranch_execz .LBB101_359
; %bb.354:
	v_cmp_ngt_f32_e64 s1, |v48|, |v49|
                                        ; implicit-def: $vgpr50_vgpr51
	s_and_saveexec_b32 s4, s1
	s_delay_alu instid0(SALU_CYCLE_1)
	s_xor_b32 s1, exec_lo, s4
	s_cbranch_execz .LBB101_356
; %bb.355:
	v_div_scale_f32 v50, null, v49, v49, v48
	v_div_scale_f32 v61, vcc_lo, v48, v49, v48
	s_delay_alu instid0(VALU_DEP_2) | instskip(SKIP_1) | instid1(TRANS32_DEP_1)
	v_rcp_f32_e32 v51, v50
	v_nop
	v_fma_f32 v60, -v50, v51, 1.0
	s_delay_alu instid0(VALU_DEP_1) | instskip(NEXT) | instid1(VALU_DEP_1)
	v_fmac_f32_e32 v51, v60, v51
	v_mul_f32_e32 v60, v61, v51
	s_delay_alu instid0(VALU_DEP_1) | instskip(NEXT) | instid1(VALU_DEP_1)
	v_fma_f32 v62, -v50, v60, v61
	v_fmac_f32_e32 v60, v62, v51
	s_delay_alu instid0(VALU_DEP_1) | instskip(NEXT) | instid1(VALU_DEP_1)
	v_fma_f32 v50, -v50, v60, v61
	v_div_fmas_f32 v50, v50, v51, v60
	s_delay_alu instid0(VALU_DEP_1) | instskip(NEXT) | instid1(VALU_DEP_1)
	v_div_fixup_f32 v50, v50, v49, v48
	v_fmac_f32_e32 v49, v48, v50
	s_delay_alu instid0(VALU_DEP_1) | instskip(SKIP_1) | instid1(VALU_DEP_2)
	v_div_scale_f32 v48, null, v49, v49, 1.0
	v_div_scale_f32 v61, vcc_lo, 1.0, v49, 1.0
	v_rcp_f32_e32 v51, v48
	v_nop
	s_delay_alu instid0(TRANS32_DEP_1) | instskip(NEXT) | instid1(VALU_DEP_1)
	v_fma_f32 v60, -v48, v51, 1.0
	v_fmac_f32_e32 v51, v60, v51
	s_delay_alu instid0(VALU_DEP_1) | instskip(NEXT) | instid1(VALU_DEP_1)
	v_mul_f32_e32 v60, v61, v51
	v_fma_f32 v62, -v48, v60, v61
	s_delay_alu instid0(VALU_DEP_1) | instskip(NEXT) | instid1(VALU_DEP_1)
	v_fmac_f32_e32 v60, v62, v51
	v_fma_f32 v48, -v48, v60, v61
	s_delay_alu instid0(VALU_DEP_1) | instskip(NEXT) | instid1(VALU_DEP_1)
	v_div_fmas_f32 v48, v48, v51, v60
	v_div_fixup_f32 v48, v48, v49, 1.0
	s_delay_alu instid0(VALU_DEP_1)
	v_mul_f32_e32 v50, v50, v48
	v_xor_b32_e32 v51, 0x80000000, v48
                                        ; implicit-def: $vgpr48_vgpr49
.LBB101_356:
	s_and_not1_saveexec_b32 s1, s1
	s_cbranch_execz .LBB101_358
; %bb.357:
	v_div_scale_f32 v50, null, v48, v48, v49
	v_div_scale_f32 v61, vcc_lo, v49, v48, v49
	s_delay_alu instid0(VALU_DEP_2) | instskip(SKIP_1) | instid1(TRANS32_DEP_1)
	v_rcp_f32_e32 v51, v50
	v_nop
	v_fma_f32 v60, -v50, v51, 1.0
	s_delay_alu instid0(VALU_DEP_1) | instskip(NEXT) | instid1(VALU_DEP_1)
	v_fmac_f32_e32 v51, v60, v51
	v_mul_f32_e32 v60, v61, v51
	s_delay_alu instid0(VALU_DEP_1) | instskip(NEXT) | instid1(VALU_DEP_1)
	v_fma_f32 v62, -v50, v60, v61
	v_fmac_f32_e32 v60, v62, v51
	s_delay_alu instid0(VALU_DEP_1) | instskip(NEXT) | instid1(VALU_DEP_1)
	v_fma_f32 v50, -v50, v60, v61
	v_div_fmas_f32 v50, v50, v51, v60
	s_delay_alu instid0(VALU_DEP_1) | instskip(NEXT) | instid1(VALU_DEP_1)
	v_div_fixup_f32 v51, v50, v48, v49
	v_fmac_f32_e32 v48, v49, v51
	s_delay_alu instid0(VALU_DEP_1) | instskip(NEXT) | instid1(VALU_DEP_1)
	v_div_scale_f32 v49, null, v48, v48, 1.0
	v_rcp_f32_e32 v50, v49
	v_nop
	s_delay_alu instid0(TRANS32_DEP_1) | instskip(NEXT) | instid1(VALU_DEP_1)
	v_fma_f32 v60, -v49, v50, 1.0
	v_fmac_f32_e32 v50, v60, v50
	v_div_scale_f32 v60, vcc_lo, 1.0, v48, 1.0
	s_delay_alu instid0(VALU_DEP_1) | instskip(NEXT) | instid1(VALU_DEP_1)
	v_mul_f32_e32 v61, v60, v50
	v_fma_f32 v62, -v49, v61, v60
	s_delay_alu instid0(VALU_DEP_1) | instskip(NEXT) | instid1(VALU_DEP_1)
	v_fmac_f32_e32 v61, v62, v50
	v_fma_f32 v49, -v49, v61, v60
	s_delay_alu instid0(VALU_DEP_1) | instskip(NEXT) | instid1(VALU_DEP_1)
	v_div_fmas_f32 v49, v49, v50, v61
	v_div_fixup_f32 v50, v49, v48, 1.0
	s_delay_alu instid0(VALU_DEP_1)
	v_mul_f32_e64 v51, v51, -v50
.LBB101_358:
	s_or_b32 exec_lo, exec_lo, s1
	ds_store_b64 v103, v[50:51]
.LBB101_359:
	s_or_b32 exec_lo, exec_lo, s2
	s_wait_dscnt 0x0
	s_barrier_signal -1
	s_barrier_wait -1
	ds_load_b64 v[48:49], v103
	s_mov_b32 s1, exec_lo
	v_cmpx_lt_u32_e32 39, v102
	s_cbranch_execz .LBB101_361
; %bb.360:
	ds_load_2addr_b64 v[62:65], v104 offset0:40 offset1:41
	s_wait_dscnt 0x1
	v_pk_mul_f32 v[60:61], v[48:49], v[156:157] op_sel:[1,1] op_sel_hi:[0,1]
	s_delay_alu instid0(VALU_DEP_1) | instskip(SKIP_1) | instid1(VALU_DEP_1)
	v_pk_fma_f32 v[50:51], v[48:49], v[156:157], v[60:61] op_sel_hi:[1,0,1] neg_lo:[0,0,1] neg_hi:[0,0,1]
	v_pk_fma_f32 v[60:61], v[48:49], v[156:157], v[60:61] op_sel_hi:[1,0,1]
	v_dual_mov_b32 v156, v50 :: v_dual_mov_b32 v157, v61
	s_wait_dscnt 0x0
	s_delay_alu instid0(VALU_DEP_2) | instskip(NEXT) | instid1(VALU_DEP_1)
	v_pk_mul_f32 v[66:67], v[62:63], v[60:61] op_sel:[0,1]
	v_pk_fma_f32 v[78:79], v[62:63], v[50:51], v[66:67] op_sel:[0,0,1] op_sel_hi:[1,1,0] neg_lo:[0,0,1] neg_hi:[0,0,1]
	v_pk_fma_f32 v[62:63], v[62:63], v[50:51], v[66:67] op_sel:[0,0,1] op_sel_hi:[1,0,0]
	s_delay_alu instid0(VALU_DEP_1) | instskip(SKIP_1) | instid1(VALU_DEP_1)
	v_mov_b32_e32 v79, v63
	v_pk_mul_f32 v[62:63], v[64:65], v[60:61] op_sel:[0,1]
	v_pk_fma_f32 v[66:67], v[64:65], v[50:51], v[62:63] op_sel:[0,0,1] op_sel_hi:[1,1,0] neg_lo:[0,0,1] neg_hi:[0,0,1]
	v_pk_fma_f32 v[62:63], v[64:65], v[50:51], v[62:63] op_sel:[0,0,1] op_sel_hi:[1,0,0]
	s_delay_alu instid0(VALU_DEP_1)
	v_mov_b32_e32 v67, v63
	ds_load_2addr_b64 v[62:65], v104 offset0:42 offset1:43
	v_pk_add_f32 v[180:181], v[180:181], v[78:79] neg_lo:[0,1] neg_hi:[0,1]
	v_pk_add_f32 v[176:177], v[176:177], v[66:67] neg_lo:[0,1] neg_hi:[0,1]
	s_wait_dscnt 0x0
	v_pk_mul_f32 v[66:67], v[62:63], v[60:61] op_sel:[0,1]
	s_delay_alu instid0(VALU_DEP_1) | instskip(SKIP_2) | instid1(VALU_DEP_2)
	v_pk_fma_f32 v[78:79], v[62:63], v[50:51], v[66:67] op_sel:[0,0,1] op_sel_hi:[1,1,0] neg_lo:[0,0,1] neg_hi:[0,0,1]
	v_pk_fma_f32 v[62:63], v[62:63], v[50:51], v[66:67] op_sel:[0,0,1] op_sel_hi:[1,0,0]
	v_dual_mul_f32 v66, v65, v61 :: v_dual_mov_b32 v62, v65
	v_dual_mov_b32 v79, v63 :: v_dual_mov_b32 v63, v64
	s_delay_alu instid0(VALU_DEP_2) | instskip(SKIP_1) | instid1(VALU_DEP_3)
	v_pk_fma_f32 v[66:67], v[64:65], v[156:157], v[66:67] op_sel_hi:[1,1,0] neg_lo:[0,0,1] neg_hi:[0,0,1]
	v_mul_f32_e32 v64, v65, v50
	v_pk_add_f32 v[178:179], v[178:179], v[78:79] neg_lo:[0,1] neg_hi:[0,1]
	s_delay_alu instid0(VALU_DEP_2) | instskip(NEXT) | instid1(VALU_DEP_1)
	v_pk_fma_f32 v[62:63], v[62:63], v[156:157], v[64:65] op_sel_hi:[1,1,0]
	v_mov_b32_e32 v67, v63
	ds_load_2addr_b64 v[62:65], v104 offset0:44 offset1:45
	v_pk_add_f32 v[174:175], v[174:175], v[66:67] neg_lo:[0,1] neg_hi:[0,1]
	s_wait_dscnt 0x0
	v_pk_mul_f32 v[66:67], v[62:63], v[60:61] op_sel:[0,1]
	s_delay_alu instid0(VALU_DEP_1) | instskip(SKIP_1) | instid1(VALU_DEP_1)
	v_pk_fma_f32 v[78:79], v[62:63], v[50:51], v[66:67] op_sel:[0,0,1] op_sel_hi:[1,1,0] neg_lo:[0,0,1] neg_hi:[0,0,1]
	v_pk_fma_f32 v[62:63], v[62:63], v[50:51], v[66:67] op_sel:[0,0,1] op_sel_hi:[1,0,0]
	v_mov_b32_e32 v79, v63
	v_pk_mul_f32 v[62:63], v[64:65], v[60:61] op_sel:[0,1]
	s_delay_alu instid0(VALU_DEP_1) | instskip(SKIP_1) | instid1(VALU_DEP_1)
	v_pk_fma_f32 v[66:67], v[64:65], v[50:51], v[62:63] op_sel:[0,0,1] op_sel_hi:[1,1,0] neg_lo:[0,0,1] neg_hi:[0,0,1]
	v_pk_fma_f32 v[62:63], v[64:65], v[50:51], v[62:63] op_sel:[0,0,1] op_sel_hi:[1,0,0]
	v_mov_b32_e32 v67, v63
	ds_load_2addr_b64 v[62:65], v104 offset0:46 offset1:47
	v_pk_add_f32 v[200:201], v[200:201], v[78:79] neg_lo:[0,1] neg_hi:[0,1]
	v_pk_add_f32 v[194:195], v[194:195], v[66:67] neg_lo:[0,1] neg_hi:[0,1]
	s_wait_dscnt 0x0
	v_pk_mul_f32 v[66:67], v[62:63], v[60:61] op_sel:[0,1]
	s_delay_alu instid0(VALU_DEP_1) | instskip(SKIP_1) | instid1(VALU_DEP_1)
	v_pk_fma_f32 v[78:79], v[62:63], v[50:51], v[66:67] op_sel:[0,0,1] op_sel_hi:[1,1,0] neg_lo:[0,0,1] neg_hi:[0,0,1]
	v_pk_fma_f32 v[62:63], v[62:63], v[50:51], v[66:67] op_sel:[0,0,1] op_sel_hi:[1,0,0]
	v_mov_b32_e32 v79, v63
	v_pk_mul_f32 v[62:63], v[64:65], v[60:61] op_sel:[0,1]
	s_delay_alu instid0(VALU_DEP_1) | instskip(SKIP_1) | instid1(VALU_DEP_1)
	v_pk_fma_f32 v[66:67], v[64:65], v[50:51], v[62:63] op_sel:[0,0,1] op_sel_hi:[1,1,0] neg_lo:[0,0,1] neg_hi:[0,0,1]
	v_pk_fma_f32 v[62:63], v[64:65], v[50:51], v[62:63] op_sel:[0,0,1] op_sel_hi:[1,0,0]
	v_mov_b32_e32 v67, v63
	ds_load_2addr_b64 v[62:65], v104 offset0:48 offset1:49
	v_pk_add_f32 v[198:199], v[198:199], v[78:79] neg_lo:[0,1] neg_hi:[0,1]
	v_pk_add_f32 v[192:193], v[192:193], v[66:67] neg_lo:[0,1] neg_hi:[0,1]
	s_wait_dscnt 0x0
	v_dual_mul_f32 v66, v63, v61 :: v_dual_mul_f32 v78, v63, v50
	s_delay_alu instid0(VALU_DEP_1) | instskip(NEXT) | instid1(VALU_DEP_2)
	v_pk_fma_f32 v[66:67], v[62:63], v[156:157], v[66:67] op_sel_hi:[1,1,0] neg_lo:[0,0,1] neg_hi:[0,0,1]
	v_pk_fma_f32 v[62:63], v[62:63], v[156:157], v[78:79] op_sel:[1,0,0] op_sel_hi:[0,1,0]
	s_delay_alu instid0(VALU_DEP_1) | instskip(SKIP_1) | instid1(VALU_DEP_2)
	v_mov_b32_e32 v67, v63
	v_pk_mul_f32 v[62:63], v[64:65], v[60:61] op_sel:[0,1]
	v_pk_add_f32 v[196:197], v[196:197], v[66:67] neg_lo:[0,1] neg_hi:[0,1]
	s_delay_alu instid0(VALU_DEP_2) | instskip(SKIP_1) | instid1(VALU_DEP_1)
	v_pk_fma_f32 v[66:67], v[64:65], v[50:51], v[62:63] op_sel:[0,0,1] op_sel_hi:[1,1,0] neg_lo:[0,0,1] neg_hi:[0,0,1]
	v_pk_fma_f32 v[62:63], v[64:65], v[50:51], v[62:63] op_sel:[0,0,1] op_sel_hi:[1,0,0]
	v_mov_b32_e32 v67, v63
	ds_load_b64 v[62:63], v104 offset:400
	v_pk_add_f32 v[202:203], v[202:203], v[66:67] neg_lo:[0,1] neg_hi:[0,1]
	s_wait_dscnt 0x0
	v_pk_mul_f32 v[60:61], v[62:63], v[60:61] op_sel:[0,1]
	s_delay_alu instid0(VALU_DEP_1) | instskip(SKIP_1) | instid1(VALU_DEP_1)
	v_pk_fma_f32 v[64:65], v[62:63], v[50:51], v[60:61] op_sel:[0,0,1] op_sel_hi:[1,1,0] neg_lo:[0,0,1] neg_hi:[0,0,1]
	v_pk_fma_f32 v[50:51], v[62:63], v[50:51], v[60:61] op_sel:[0,0,1] op_sel_hi:[1,0,0]
	v_mov_b32_e32 v65, v51
	s_delay_alu instid0(VALU_DEP_1)
	v_pk_add_f32 v[204:205], v[204:205], v[64:65] neg_lo:[0,1] neg_hi:[0,1]
.LBB101_361:
	s_or_b32 exec_lo, exec_lo, s1
	s_delay_alu instid0(SALU_CYCLE_1)
	s_mov_b32 s2, exec_lo
	s_wait_dscnt 0x0
	s_barrier_signal -1
	s_barrier_wait -1
	v_cmpx_eq_u32_e32 40, v102
	s_cbranch_execz .LBB101_368
; %bb.362:
	ds_store_b64 v103, v[180:181]
	ds_store_2addr_b64 v104, v[176:177], v[178:179] offset0:41 offset1:42
	ds_store_2addr_b64 v104, v[174:175], v[200:201] offset0:43 offset1:44
	;; [unrolled: 1-line block ×5, first 2 shown]
	ds_load_b64 v[50:51], v103
	s_wait_dscnt 0x0
	v_cmp_neq_f32_e32 vcc_lo, 0, v50
	v_cmp_neq_f32_e64 s1, 0, v51
	s_or_b32 s1, vcc_lo, s1
	s_delay_alu instid0(SALU_CYCLE_1)
	s_and_b32 exec_lo, exec_lo, s1
	s_cbranch_execz .LBB101_368
; %bb.363:
	v_cmp_ngt_f32_e64 s1, |v50|, |v51|
                                        ; implicit-def: $vgpr60_vgpr61
	s_and_saveexec_b32 s4, s1
	s_delay_alu instid0(SALU_CYCLE_1)
	s_xor_b32 s1, exec_lo, s4
	s_cbranch_execz .LBB101_365
; %bb.364:
	v_div_scale_f32 v60, null, v51, v51, v50
	v_div_scale_f32 v63, vcc_lo, v50, v51, v50
	s_delay_alu instid0(VALU_DEP_2) | instskip(SKIP_1) | instid1(TRANS32_DEP_1)
	v_rcp_f32_e32 v61, v60
	v_nop
	v_fma_f32 v62, -v60, v61, 1.0
	s_delay_alu instid0(VALU_DEP_1) | instskip(NEXT) | instid1(VALU_DEP_1)
	v_fmac_f32_e32 v61, v62, v61
	v_mul_f32_e32 v62, v63, v61
	s_delay_alu instid0(VALU_DEP_1) | instskip(NEXT) | instid1(VALU_DEP_1)
	v_fma_f32 v64, -v60, v62, v63
	v_fmac_f32_e32 v62, v64, v61
	s_delay_alu instid0(VALU_DEP_1) | instskip(NEXT) | instid1(VALU_DEP_1)
	v_fma_f32 v60, -v60, v62, v63
	v_div_fmas_f32 v60, v60, v61, v62
	s_delay_alu instid0(VALU_DEP_1) | instskip(NEXT) | instid1(VALU_DEP_1)
	v_div_fixup_f32 v60, v60, v51, v50
	v_fmac_f32_e32 v51, v50, v60
	s_delay_alu instid0(VALU_DEP_1) | instskip(SKIP_1) | instid1(VALU_DEP_2)
	v_div_scale_f32 v50, null, v51, v51, 1.0
	v_div_scale_f32 v63, vcc_lo, 1.0, v51, 1.0
	v_rcp_f32_e32 v61, v50
	v_nop
	s_delay_alu instid0(TRANS32_DEP_1) | instskip(NEXT) | instid1(VALU_DEP_1)
	v_fma_f32 v62, -v50, v61, 1.0
	v_fmac_f32_e32 v61, v62, v61
	s_delay_alu instid0(VALU_DEP_1) | instskip(NEXT) | instid1(VALU_DEP_1)
	v_mul_f32_e32 v62, v63, v61
	v_fma_f32 v64, -v50, v62, v63
	s_delay_alu instid0(VALU_DEP_1) | instskip(NEXT) | instid1(VALU_DEP_1)
	v_fmac_f32_e32 v62, v64, v61
	v_fma_f32 v50, -v50, v62, v63
	s_delay_alu instid0(VALU_DEP_1) | instskip(NEXT) | instid1(VALU_DEP_1)
	v_div_fmas_f32 v50, v50, v61, v62
	v_div_fixup_f32 v50, v50, v51, 1.0
	s_delay_alu instid0(VALU_DEP_1)
	v_mul_f32_e32 v60, v60, v50
	v_xor_b32_e32 v61, 0x80000000, v50
                                        ; implicit-def: $vgpr50_vgpr51
.LBB101_365:
	s_and_not1_saveexec_b32 s1, s1
	s_cbranch_execz .LBB101_367
; %bb.366:
	v_div_scale_f32 v60, null, v50, v50, v51
	v_div_scale_f32 v63, vcc_lo, v51, v50, v51
	s_delay_alu instid0(VALU_DEP_2) | instskip(SKIP_1) | instid1(TRANS32_DEP_1)
	v_rcp_f32_e32 v61, v60
	v_nop
	v_fma_f32 v62, -v60, v61, 1.0
	s_delay_alu instid0(VALU_DEP_1) | instskip(NEXT) | instid1(VALU_DEP_1)
	v_fmac_f32_e32 v61, v62, v61
	v_mul_f32_e32 v62, v63, v61
	s_delay_alu instid0(VALU_DEP_1) | instskip(NEXT) | instid1(VALU_DEP_1)
	v_fma_f32 v64, -v60, v62, v63
	v_fmac_f32_e32 v62, v64, v61
	s_delay_alu instid0(VALU_DEP_1) | instskip(NEXT) | instid1(VALU_DEP_1)
	v_fma_f32 v60, -v60, v62, v63
	v_div_fmas_f32 v60, v60, v61, v62
	s_delay_alu instid0(VALU_DEP_1) | instskip(NEXT) | instid1(VALU_DEP_1)
	v_div_fixup_f32 v61, v60, v50, v51
	v_fmac_f32_e32 v50, v51, v61
	s_delay_alu instid0(VALU_DEP_1) | instskip(NEXT) | instid1(VALU_DEP_1)
	v_div_scale_f32 v51, null, v50, v50, 1.0
	v_rcp_f32_e32 v60, v51
	v_nop
	s_delay_alu instid0(TRANS32_DEP_1) | instskip(NEXT) | instid1(VALU_DEP_1)
	v_fma_f32 v62, -v51, v60, 1.0
	v_fmac_f32_e32 v60, v62, v60
	v_div_scale_f32 v62, vcc_lo, 1.0, v50, 1.0
	s_delay_alu instid0(VALU_DEP_1) | instskip(NEXT) | instid1(VALU_DEP_1)
	v_mul_f32_e32 v63, v62, v60
	v_fma_f32 v64, -v51, v63, v62
	s_delay_alu instid0(VALU_DEP_1) | instskip(NEXT) | instid1(VALU_DEP_1)
	v_fmac_f32_e32 v63, v64, v60
	v_fma_f32 v51, -v51, v63, v62
	s_delay_alu instid0(VALU_DEP_1) | instskip(NEXT) | instid1(VALU_DEP_1)
	v_div_fmas_f32 v51, v51, v60, v63
	v_div_fixup_f32 v60, v51, v50, 1.0
	s_delay_alu instid0(VALU_DEP_1)
	v_mul_f32_e64 v61, v61, -v60
.LBB101_367:
	s_or_b32 exec_lo, exec_lo, s1
	ds_store_b64 v103, v[60:61]
.LBB101_368:
	s_or_b32 exec_lo, exec_lo, s2
	s_wait_dscnt 0x0
	s_barrier_signal -1
	s_barrier_wait -1
	ds_load_b64 v[50:51], v103
	s_mov_b32 s1, exec_lo
	v_cmpx_lt_u32_e32 40, v102
	s_cbranch_execz .LBB101_370
; %bb.369:
	ds_load_2addr_b64 v[64:67], v104 offset0:41 offset1:42
	s_wait_dscnt 0x1
	v_pk_mul_f32 v[62:63], v[50:51], v[180:181] op_sel:[1,1] op_sel_hi:[0,1]
	s_delay_alu instid0(VALU_DEP_1) | instskip(SKIP_1) | instid1(VALU_DEP_1)
	v_pk_fma_f32 v[60:61], v[50:51], v[180:181], v[62:63] op_sel_hi:[1,0,1] neg_lo:[0,0,1] neg_hi:[0,0,1]
	v_pk_fma_f32 v[62:63], v[50:51], v[180:181], v[62:63] op_sel_hi:[1,0,1]
	v_dual_mov_b32 v180, v60 :: v_dual_mov_b32 v181, v63
	s_wait_dscnt 0x0
	s_delay_alu instid0(VALU_DEP_2) | instskip(NEXT) | instid1(VALU_DEP_1)
	v_pk_mul_f32 v[78:79], v[64:65], v[62:63] op_sel:[0,1]
	v_pk_fma_f32 v[80:81], v[64:65], v[60:61], v[78:79] op_sel:[0,0,1] op_sel_hi:[1,1,0] neg_lo:[0,0,1] neg_hi:[0,0,1]
	v_pk_fma_f32 v[64:65], v[64:65], v[60:61], v[78:79] op_sel:[0,0,1] op_sel_hi:[1,0,0]
	s_delay_alu instid0(VALU_DEP_1) | instskip(SKIP_1) | instid1(VALU_DEP_1)
	v_mov_b32_e32 v81, v65
	v_pk_mul_f32 v[64:65], v[66:67], v[62:63] op_sel:[0,1]
	v_pk_fma_f32 v[78:79], v[66:67], v[60:61], v[64:65] op_sel:[0,0,1] op_sel_hi:[1,1,0] neg_lo:[0,0,1] neg_hi:[0,0,1]
	v_pk_fma_f32 v[64:65], v[66:67], v[60:61], v[64:65] op_sel:[0,0,1] op_sel_hi:[1,0,0]
	s_delay_alu instid0(VALU_DEP_1)
	v_mov_b32_e32 v79, v65
	ds_load_2addr_b64 v[64:67], v104 offset0:43 offset1:44
	v_pk_add_f32 v[176:177], v[176:177], v[80:81] neg_lo:[0,1] neg_hi:[0,1]
	v_pk_add_f32 v[178:179], v[178:179], v[78:79] neg_lo:[0,1] neg_hi:[0,1]
	s_wait_dscnt 0x0
	v_pk_mul_f32 v[78:79], v[64:65], v[62:63] op_sel:[0,1]
	s_delay_alu instid0(VALU_DEP_1) | instskip(SKIP_2) | instid1(VALU_DEP_2)
	v_pk_fma_f32 v[80:81], v[64:65], v[60:61], v[78:79] op_sel:[0,0,1] op_sel_hi:[1,1,0] neg_lo:[0,0,1] neg_hi:[0,0,1]
	v_pk_fma_f32 v[64:65], v[64:65], v[60:61], v[78:79] op_sel:[0,0,1] op_sel_hi:[1,0,0]
	v_dual_mul_f32 v78, v67, v63 :: v_dual_mov_b32 v64, v67
	v_dual_mov_b32 v81, v65 :: v_dual_mov_b32 v65, v66
	s_delay_alu instid0(VALU_DEP_2) | instskip(SKIP_1) | instid1(VALU_DEP_3)
	v_pk_fma_f32 v[78:79], v[66:67], v[180:181], v[78:79] op_sel_hi:[1,1,0] neg_lo:[0,0,1] neg_hi:[0,0,1]
	v_mul_f32_e32 v66, v67, v60
	v_pk_add_f32 v[174:175], v[174:175], v[80:81] neg_lo:[0,1] neg_hi:[0,1]
	s_delay_alu instid0(VALU_DEP_2) | instskip(NEXT) | instid1(VALU_DEP_1)
	v_pk_fma_f32 v[64:65], v[64:65], v[180:181], v[66:67] op_sel_hi:[1,1,0]
	v_mov_b32_e32 v79, v65
	ds_load_2addr_b64 v[64:67], v104 offset0:45 offset1:46
	v_pk_add_f32 v[200:201], v[200:201], v[78:79] neg_lo:[0,1] neg_hi:[0,1]
	s_wait_dscnt 0x0
	v_pk_mul_f32 v[78:79], v[64:65], v[62:63] op_sel:[0,1]
	s_delay_alu instid0(VALU_DEP_1) | instskip(SKIP_1) | instid1(VALU_DEP_1)
	v_pk_fma_f32 v[80:81], v[64:65], v[60:61], v[78:79] op_sel:[0,0,1] op_sel_hi:[1,1,0] neg_lo:[0,0,1] neg_hi:[0,0,1]
	v_pk_fma_f32 v[64:65], v[64:65], v[60:61], v[78:79] op_sel:[0,0,1] op_sel_hi:[1,0,0]
	v_mov_b32_e32 v81, v65
	v_pk_mul_f32 v[64:65], v[66:67], v[62:63] op_sel:[0,1]
	s_delay_alu instid0(VALU_DEP_1) | instskip(SKIP_1) | instid1(VALU_DEP_1)
	v_pk_fma_f32 v[78:79], v[66:67], v[60:61], v[64:65] op_sel:[0,0,1] op_sel_hi:[1,1,0] neg_lo:[0,0,1] neg_hi:[0,0,1]
	v_pk_fma_f32 v[64:65], v[66:67], v[60:61], v[64:65] op_sel:[0,0,1] op_sel_hi:[1,0,0]
	v_mov_b32_e32 v79, v65
	ds_load_2addr_b64 v[64:67], v104 offset0:47 offset1:48
	v_pk_add_f32 v[194:195], v[194:195], v[80:81] neg_lo:[0,1] neg_hi:[0,1]
	v_pk_add_f32 v[198:199], v[198:199], v[78:79] neg_lo:[0,1] neg_hi:[0,1]
	s_wait_dscnt 0x0
	v_pk_mul_f32 v[78:79], v[64:65], v[62:63] op_sel:[0,1]
	s_delay_alu instid0(VALU_DEP_1) | instskip(SKIP_1) | instid1(VALU_DEP_1)
	v_pk_fma_f32 v[80:81], v[64:65], v[60:61], v[78:79] op_sel:[0,0,1] op_sel_hi:[1,1,0] neg_lo:[0,0,1] neg_hi:[0,0,1]
	v_pk_fma_f32 v[64:65], v[64:65], v[60:61], v[78:79] op_sel:[0,0,1] op_sel_hi:[1,0,0]
	v_mov_b32_e32 v81, v65
	v_pk_mul_f32 v[64:65], v[66:67], v[62:63] op_sel:[0,1]
	s_delay_alu instid0(VALU_DEP_1) | instskip(SKIP_1) | instid1(VALU_DEP_1)
	v_pk_fma_f32 v[78:79], v[66:67], v[60:61], v[64:65] op_sel:[0,0,1] op_sel_hi:[1,1,0] neg_lo:[0,0,1] neg_hi:[0,0,1]
	v_pk_fma_f32 v[64:65], v[66:67], v[60:61], v[64:65] op_sel:[0,0,1] op_sel_hi:[1,0,0]
	v_mov_b32_e32 v79, v65
	ds_load_2addr_b64 v[64:67], v104 offset0:49 offset1:50
	v_pk_add_f32 v[192:193], v[192:193], v[80:81] neg_lo:[0,1] neg_hi:[0,1]
	v_pk_add_f32 v[196:197], v[196:197], v[78:79] neg_lo:[0,1] neg_hi:[0,1]
	s_wait_dscnt 0x0
	v_dual_mul_f32 v78, v65, v63 :: v_dual_mul_f32 v80, v65, v60
	v_pk_mul_f32 v[62:63], v[66:67], v[62:63] op_sel:[0,1]
	s_delay_alu instid0(VALU_DEP_2) | instskip(NEXT) | instid1(VALU_DEP_3)
	v_pk_fma_f32 v[78:79], v[64:65], v[180:181], v[78:79] op_sel_hi:[1,1,0] neg_lo:[0,0,1] neg_hi:[0,0,1]
	v_pk_fma_f32 v[64:65], v[64:65], v[180:181], v[80:81] op_sel:[1,0,0] op_sel_hi:[0,1,0]
	s_delay_alu instid0(VALU_DEP_1) | instskip(NEXT) | instid1(VALU_DEP_4)
	v_mov_b32_e32 v79, v65
	v_pk_fma_f32 v[64:65], v[66:67], v[60:61], v[62:63] op_sel:[0,0,1] op_sel_hi:[1,1,0] neg_lo:[0,0,1] neg_hi:[0,0,1]
	v_pk_fma_f32 v[60:61], v[66:67], v[60:61], v[62:63] op_sel:[0,0,1] op_sel_hi:[1,0,0]
	s_delay_alu instid0(VALU_DEP_1) | instskip(NEXT) | instid1(VALU_DEP_4)
	v_mov_b32_e32 v65, v61
	v_pk_add_f32 v[202:203], v[202:203], v[78:79] neg_lo:[0,1] neg_hi:[0,1]
	s_delay_alu instid0(VALU_DEP_2)
	v_pk_add_f32 v[204:205], v[204:205], v[64:65] neg_lo:[0,1] neg_hi:[0,1]
.LBB101_370:
	s_or_b32 exec_lo, exec_lo, s1
	s_delay_alu instid0(SALU_CYCLE_1)
	s_mov_b32 s2, exec_lo
	s_wait_dscnt 0x0
	s_barrier_signal -1
	s_barrier_wait -1
	v_cmpx_eq_u32_e32 41, v102
	s_cbranch_execz .LBB101_377
; %bb.371:
	v_dual_mov_b32 v60, v178 :: v_dual_mov_b32 v61, v179
	v_dual_mov_b32 v62, v174 :: v_dual_mov_b32 v63, v175
	ds_store_b64 v103, v[176:177]
	ds_store_2addr_b64 v104, v[60:61], v[62:63] offset0:42 offset1:43
	v_dual_mov_b32 v60, v200 :: v_dual_mov_b32 v61, v201
	v_dual_mov_b32 v62, v194 :: v_dual_mov_b32 v63, v195
	ds_store_2addr_b64 v104, v[60:61], v[62:63] offset0:44 offset1:45
	v_dual_mov_b32 v60, v198 :: v_dual_mov_b32 v61, v199
	v_dual_mov_b32 v62, v192 :: v_dual_mov_b32 v63, v193
	;; [unrolled: 3-line block ×3, first 2 shown]
	ds_store_2addr_b64 v104, v[60:61], v[62:63] offset0:48 offset1:49
	ds_store_b64 v104, v[204:205] offset:400
	ds_load_b64 v[60:61], v103
	s_wait_dscnt 0x0
	v_cmp_neq_f32_e32 vcc_lo, 0, v60
	v_cmp_neq_f32_e64 s1, 0, v61
	s_or_b32 s1, vcc_lo, s1
	s_delay_alu instid0(SALU_CYCLE_1)
	s_and_b32 exec_lo, exec_lo, s1
	s_cbranch_execz .LBB101_377
; %bb.372:
	v_cmp_ngt_f32_e64 s1, |v60|, |v61|
                                        ; implicit-def: $vgpr62_vgpr63
	s_and_saveexec_b32 s4, s1
	s_delay_alu instid0(SALU_CYCLE_1)
	s_xor_b32 s1, exec_lo, s4
	s_cbranch_execz .LBB101_374
; %bb.373:
	v_div_scale_f32 v62, null, v61, v61, v60
	v_div_scale_f32 v65, vcc_lo, v60, v61, v60
	s_delay_alu instid0(VALU_DEP_2) | instskip(SKIP_1) | instid1(TRANS32_DEP_1)
	v_rcp_f32_e32 v63, v62
	v_nop
	v_fma_f32 v64, -v62, v63, 1.0
	s_delay_alu instid0(VALU_DEP_1) | instskip(NEXT) | instid1(VALU_DEP_1)
	v_fmac_f32_e32 v63, v64, v63
	v_mul_f32_e32 v64, v65, v63
	s_delay_alu instid0(VALU_DEP_1) | instskip(NEXT) | instid1(VALU_DEP_1)
	v_fma_f32 v66, -v62, v64, v65
	v_fmac_f32_e32 v64, v66, v63
	s_delay_alu instid0(VALU_DEP_1) | instskip(NEXT) | instid1(VALU_DEP_1)
	v_fma_f32 v62, -v62, v64, v65
	v_div_fmas_f32 v62, v62, v63, v64
	s_delay_alu instid0(VALU_DEP_1) | instskip(NEXT) | instid1(VALU_DEP_1)
	v_div_fixup_f32 v62, v62, v61, v60
	v_fmac_f32_e32 v61, v60, v62
	s_delay_alu instid0(VALU_DEP_1) | instskip(SKIP_1) | instid1(VALU_DEP_2)
	v_div_scale_f32 v60, null, v61, v61, 1.0
	v_div_scale_f32 v65, vcc_lo, 1.0, v61, 1.0
	v_rcp_f32_e32 v63, v60
	v_nop
	s_delay_alu instid0(TRANS32_DEP_1) | instskip(NEXT) | instid1(VALU_DEP_1)
	v_fma_f32 v64, -v60, v63, 1.0
	v_fmac_f32_e32 v63, v64, v63
	s_delay_alu instid0(VALU_DEP_1) | instskip(NEXT) | instid1(VALU_DEP_1)
	v_mul_f32_e32 v64, v65, v63
	v_fma_f32 v66, -v60, v64, v65
	s_delay_alu instid0(VALU_DEP_1) | instskip(NEXT) | instid1(VALU_DEP_1)
	v_fmac_f32_e32 v64, v66, v63
	v_fma_f32 v60, -v60, v64, v65
	s_delay_alu instid0(VALU_DEP_1) | instskip(NEXT) | instid1(VALU_DEP_1)
	v_div_fmas_f32 v60, v60, v63, v64
	v_div_fixup_f32 v60, v60, v61, 1.0
	s_delay_alu instid0(VALU_DEP_1)
	v_mul_f32_e32 v62, v62, v60
	v_xor_b32_e32 v63, 0x80000000, v60
                                        ; implicit-def: $vgpr60_vgpr61
.LBB101_374:
	s_and_not1_saveexec_b32 s1, s1
	s_cbranch_execz .LBB101_376
; %bb.375:
	v_div_scale_f32 v62, null, v60, v60, v61
	v_div_scale_f32 v65, vcc_lo, v61, v60, v61
	s_delay_alu instid0(VALU_DEP_2) | instskip(SKIP_1) | instid1(TRANS32_DEP_1)
	v_rcp_f32_e32 v63, v62
	v_nop
	v_fma_f32 v64, -v62, v63, 1.0
	s_delay_alu instid0(VALU_DEP_1) | instskip(NEXT) | instid1(VALU_DEP_1)
	v_fmac_f32_e32 v63, v64, v63
	v_mul_f32_e32 v64, v65, v63
	s_delay_alu instid0(VALU_DEP_1) | instskip(NEXT) | instid1(VALU_DEP_1)
	v_fma_f32 v66, -v62, v64, v65
	v_fmac_f32_e32 v64, v66, v63
	s_delay_alu instid0(VALU_DEP_1) | instskip(NEXT) | instid1(VALU_DEP_1)
	v_fma_f32 v62, -v62, v64, v65
	v_div_fmas_f32 v62, v62, v63, v64
	s_delay_alu instid0(VALU_DEP_1) | instskip(NEXT) | instid1(VALU_DEP_1)
	v_div_fixup_f32 v63, v62, v60, v61
	v_fmac_f32_e32 v60, v61, v63
	s_delay_alu instid0(VALU_DEP_1) | instskip(NEXT) | instid1(VALU_DEP_1)
	v_div_scale_f32 v61, null, v60, v60, 1.0
	v_rcp_f32_e32 v62, v61
	v_nop
	s_delay_alu instid0(TRANS32_DEP_1) | instskip(NEXT) | instid1(VALU_DEP_1)
	v_fma_f32 v64, -v61, v62, 1.0
	v_fmac_f32_e32 v62, v64, v62
	v_div_scale_f32 v64, vcc_lo, 1.0, v60, 1.0
	s_delay_alu instid0(VALU_DEP_1) | instskip(NEXT) | instid1(VALU_DEP_1)
	v_mul_f32_e32 v65, v64, v62
	v_fma_f32 v66, -v61, v65, v64
	s_delay_alu instid0(VALU_DEP_1) | instskip(NEXT) | instid1(VALU_DEP_1)
	v_fmac_f32_e32 v65, v66, v62
	v_fma_f32 v61, -v61, v65, v64
	s_delay_alu instid0(VALU_DEP_1) | instskip(NEXT) | instid1(VALU_DEP_1)
	v_div_fmas_f32 v61, v61, v62, v65
	v_div_fixup_f32 v62, v61, v60, 1.0
	s_delay_alu instid0(VALU_DEP_1)
	v_mul_f32_e64 v63, v63, -v62
.LBB101_376:
	s_or_b32 exec_lo, exec_lo, s1
	ds_store_b64 v103, v[62:63]
.LBB101_377:
	s_or_b32 exec_lo, exec_lo, s2
	s_wait_dscnt 0x0
	s_barrier_signal -1
	s_barrier_wait -1
	ds_load_b64 v[60:61], v103
	s_mov_b32 s1, exec_lo
	v_cmpx_lt_u32_e32 41, v102
	s_cbranch_execz .LBB101_379
; %bb.378:
	ds_load_2addr_b64 v[78:81], v104 offset0:42 offset1:43
	s_wait_dscnt 0x1
	v_pk_mul_f32 v[64:65], v[60:61], v[176:177] op_sel:[1,1] op_sel_hi:[0,1]
	s_delay_alu instid0(VALU_DEP_1) | instskip(SKIP_1) | instid1(VALU_DEP_1)
	v_pk_fma_f32 v[62:63], v[60:61], v[176:177], v[64:65] op_sel_hi:[1,0,1] neg_lo:[0,0,1] neg_hi:[0,0,1]
	v_pk_fma_f32 v[64:65], v[60:61], v[176:177], v[64:65] op_sel_hi:[1,0,1]
	v_dual_mov_b32 v176, v62 :: v_dual_mov_b32 v177, v65
	s_wait_dscnt 0x0
	s_delay_alu instid0(VALU_DEP_2) | instskip(NEXT) | instid1(VALU_DEP_1)
	v_pk_mul_f32 v[66:67], v[78:79], v[64:65] op_sel:[0,1]
	v_pk_fma_f32 v[82:83], v[78:79], v[62:63], v[66:67] op_sel:[0,0,1] op_sel_hi:[1,1,0] neg_lo:[0,0,1] neg_hi:[0,0,1]
	v_pk_fma_f32 v[66:67], v[78:79], v[62:63], v[66:67] op_sel:[0,0,1] op_sel_hi:[1,0,0]
	s_delay_alu instid0(VALU_DEP_1) | instskip(SKIP_1) | instid1(VALU_DEP_1)
	v_mov_b32_e32 v83, v67
	v_pk_mul_f32 v[66:67], v[80:81], v[64:65] op_sel:[0,1]
	v_pk_fma_f32 v[78:79], v[80:81], v[62:63], v[66:67] op_sel:[0,0,1] op_sel_hi:[1,1,0] neg_lo:[0,0,1] neg_hi:[0,0,1]
	v_pk_fma_f32 v[66:67], v[80:81], v[62:63], v[66:67] op_sel:[0,0,1] op_sel_hi:[1,0,0]
	s_delay_alu instid0(VALU_DEP_1) | instskip(SKIP_1) | instid1(VALU_DEP_2)
	v_mov_b32_e32 v79, v67
	v_pk_add_f32 v[178:179], v[178:179], v[82:83] neg_lo:[0,1] neg_hi:[0,1]
	v_pk_add_f32 v[174:175], v[174:175], v[78:79] neg_lo:[0,1] neg_hi:[0,1]
	ds_load_2addr_b64 v[78:81], v104 offset0:44 offset1:45
	s_wait_dscnt 0x0
	v_pk_mul_f32 v[66:67], v[78:79], v[64:65] op_sel:[0,1]
	s_delay_alu instid0(VALU_DEP_1) | instskip(SKIP_2) | instid1(VALU_DEP_2)
	v_pk_fma_f32 v[82:83], v[78:79], v[62:63], v[66:67] op_sel:[0,0,1] op_sel_hi:[1,1,0] neg_lo:[0,0,1] neg_hi:[0,0,1]
	v_pk_fma_f32 v[66:67], v[78:79], v[62:63], v[66:67] op_sel:[0,0,1] op_sel_hi:[1,0,0]
	v_dual_mul_f32 v78, v81, v65 :: v_dual_mov_b32 v66, v81
	v_dual_mov_b32 v83, v67 :: v_dual_mov_b32 v67, v80
	s_delay_alu instid0(VALU_DEP_2) | instskip(SKIP_1) | instid1(VALU_DEP_3)
	v_pk_fma_f32 v[78:79], v[80:81], v[176:177], v[78:79] op_sel_hi:[1,1,0] neg_lo:[0,0,1] neg_hi:[0,0,1]
	v_mul_f32_e32 v80, v81, v62
	v_pk_add_f32 v[200:201], v[200:201], v[82:83] neg_lo:[0,1] neg_hi:[0,1]
	s_delay_alu instid0(VALU_DEP_2) | instskip(NEXT) | instid1(VALU_DEP_1)
	v_pk_fma_f32 v[66:67], v[66:67], v[176:177], v[80:81] op_sel_hi:[1,1,0]
	v_mov_b32_e32 v79, v67
	s_delay_alu instid0(VALU_DEP_1) | instskip(SKIP_3) | instid1(VALU_DEP_1)
	v_pk_add_f32 v[194:195], v[194:195], v[78:79] neg_lo:[0,1] neg_hi:[0,1]
	ds_load_2addr_b64 v[78:81], v104 offset0:46 offset1:47
	s_wait_dscnt 0x0
	v_pk_mul_f32 v[66:67], v[78:79], v[64:65] op_sel:[0,1]
	v_pk_fma_f32 v[82:83], v[78:79], v[62:63], v[66:67] op_sel:[0,0,1] op_sel_hi:[1,1,0] neg_lo:[0,0,1] neg_hi:[0,0,1]
	v_pk_fma_f32 v[66:67], v[78:79], v[62:63], v[66:67] op_sel:[0,0,1] op_sel_hi:[1,0,0]
	s_delay_alu instid0(VALU_DEP_1) | instskip(SKIP_1) | instid1(VALU_DEP_1)
	v_mov_b32_e32 v83, v67
	v_pk_mul_f32 v[66:67], v[80:81], v[64:65] op_sel:[0,1]
	v_pk_fma_f32 v[78:79], v[80:81], v[62:63], v[66:67] op_sel:[0,0,1] op_sel_hi:[1,1,0] neg_lo:[0,0,1] neg_hi:[0,0,1]
	v_pk_fma_f32 v[66:67], v[80:81], v[62:63], v[66:67] op_sel:[0,0,1] op_sel_hi:[1,0,0]
	s_delay_alu instid0(VALU_DEP_1) | instskip(SKIP_1) | instid1(VALU_DEP_2)
	v_mov_b32_e32 v79, v67
	v_pk_add_f32 v[198:199], v[198:199], v[82:83] neg_lo:[0,1] neg_hi:[0,1]
	v_pk_add_f32 v[192:193], v[192:193], v[78:79] neg_lo:[0,1] neg_hi:[0,1]
	ds_load_2addr_b64 v[78:81], v104 offset0:48 offset1:49
	s_wait_dscnt 0x0
	v_pk_mul_f32 v[66:67], v[78:79], v[64:65] op_sel:[0,1]
	s_delay_alu instid0(VALU_DEP_1) | instskip(SKIP_1) | instid1(VALU_DEP_1)
	v_pk_fma_f32 v[82:83], v[78:79], v[62:63], v[66:67] op_sel:[0,0,1] op_sel_hi:[1,1,0] neg_lo:[0,0,1] neg_hi:[0,0,1]
	v_pk_fma_f32 v[66:67], v[78:79], v[62:63], v[66:67] op_sel:[0,0,1] op_sel_hi:[1,0,0]
	v_mov_b32_e32 v83, v67
	v_pk_mul_f32 v[66:67], v[80:81], v[64:65] op_sel:[0,1]
	s_delay_alu instid0(VALU_DEP_1) | instskip(SKIP_1) | instid1(VALU_DEP_1)
	v_pk_fma_f32 v[78:79], v[80:81], v[62:63], v[66:67] op_sel:[0,0,1] op_sel_hi:[1,1,0] neg_lo:[0,0,1] neg_hi:[0,0,1]
	v_pk_fma_f32 v[66:67], v[80:81], v[62:63], v[66:67] op_sel:[0,0,1] op_sel_hi:[1,0,0]
	v_mov_b32_e32 v79, v67
	ds_load_b64 v[66:67], v104 offset:400
	v_pk_add_f32 v[196:197], v[196:197], v[82:83] neg_lo:[0,1] neg_hi:[0,1]
	v_pk_add_f32 v[202:203], v[202:203], v[78:79] neg_lo:[0,1] neg_hi:[0,1]
	s_wait_dscnt 0x0
	v_pk_mul_f32 v[64:65], v[66:67], v[64:65] op_sel:[0,1]
	s_delay_alu instid0(VALU_DEP_1) | instskip(SKIP_1) | instid1(VALU_DEP_1)
	v_pk_fma_f32 v[78:79], v[66:67], v[62:63], v[64:65] op_sel:[0,0,1] op_sel_hi:[1,1,0] neg_lo:[0,0,1] neg_hi:[0,0,1]
	v_pk_fma_f32 v[62:63], v[66:67], v[62:63], v[64:65] op_sel:[0,0,1] op_sel_hi:[1,0,0]
	v_mov_b32_e32 v79, v63
	s_delay_alu instid0(VALU_DEP_1)
	v_pk_add_f32 v[204:205], v[204:205], v[78:79] neg_lo:[0,1] neg_hi:[0,1]
.LBB101_379:
	s_or_b32 exec_lo, exec_lo, s1
	s_delay_alu instid0(SALU_CYCLE_1)
	s_mov_b32 s2, exec_lo
	s_wait_dscnt 0x0
	s_barrier_signal -1
	s_barrier_wait -1
	v_cmpx_eq_u32_e32 42, v102
	s_cbranch_execz .LBB101_386
; %bb.380:
	ds_store_b64 v103, v[178:179]
	ds_store_2addr_b64 v104, v[174:175], v[200:201] offset0:43 offset1:44
	ds_store_2addr_b64 v104, v[194:195], v[198:199] offset0:45 offset1:46
	;; [unrolled: 1-line block ×4, first 2 shown]
	ds_load_b64 v[62:63], v103
	s_wait_dscnt 0x0
	v_cmp_neq_f32_e32 vcc_lo, 0, v62
	v_cmp_neq_f32_e64 s1, 0, v63
	s_or_b32 s1, vcc_lo, s1
	s_delay_alu instid0(SALU_CYCLE_1)
	s_and_b32 exec_lo, exec_lo, s1
	s_cbranch_execz .LBB101_386
; %bb.381:
	v_cmp_ngt_f32_e64 s1, |v62|, |v63|
                                        ; implicit-def: $vgpr64_vgpr65
	s_and_saveexec_b32 s4, s1
	s_delay_alu instid0(SALU_CYCLE_1)
	s_xor_b32 s1, exec_lo, s4
	s_cbranch_execz .LBB101_383
; %bb.382:
	v_div_scale_f32 v64, null, v63, v63, v62
	v_div_scale_f32 v67, vcc_lo, v62, v63, v62
	s_delay_alu instid0(VALU_DEP_2) | instskip(SKIP_1) | instid1(TRANS32_DEP_1)
	v_rcp_f32_e32 v65, v64
	v_nop
	v_fma_f32 v66, -v64, v65, 1.0
	s_delay_alu instid0(VALU_DEP_1) | instskip(NEXT) | instid1(VALU_DEP_1)
	v_fmac_f32_e32 v65, v66, v65
	v_mul_f32_e32 v66, v67, v65
	s_delay_alu instid0(VALU_DEP_1) | instskip(NEXT) | instid1(VALU_DEP_1)
	v_fma_f32 v78, -v64, v66, v67
	v_fmac_f32_e32 v66, v78, v65
	s_delay_alu instid0(VALU_DEP_1) | instskip(NEXT) | instid1(VALU_DEP_1)
	v_fma_f32 v64, -v64, v66, v67
	v_div_fmas_f32 v64, v64, v65, v66
	s_delay_alu instid0(VALU_DEP_1) | instskip(NEXT) | instid1(VALU_DEP_1)
	v_div_fixup_f32 v64, v64, v63, v62
	v_fmac_f32_e32 v63, v62, v64
	s_delay_alu instid0(VALU_DEP_1) | instskip(SKIP_1) | instid1(VALU_DEP_2)
	v_div_scale_f32 v62, null, v63, v63, 1.0
	v_div_scale_f32 v67, vcc_lo, 1.0, v63, 1.0
	v_rcp_f32_e32 v65, v62
	v_nop
	s_delay_alu instid0(TRANS32_DEP_1) | instskip(NEXT) | instid1(VALU_DEP_1)
	v_fma_f32 v66, -v62, v65, 1.0
	v_fmac_f32_e32 v65, v66, v65
	s_delay_alu instid0(VALU_DEP_1) | instskip(NEXT) | instid1(VALU_DEP_1)
	v_mul_f32_e32 v66, v67, v65
	v_fma_f32 v78, -v62, v66, v67
	s_delay_alu instid0(VALU_DEP_1) | instskip(NEXT) | instid1(VALU_DEP_1)
	v_fmac_f32_e32 v66, v78, v65
	v_fma_f32 v62, -v62, v66, v67
	s_delay_alu instid0(VALU_DEP_1) | instskip(NEXT) | instid1(VALU_DEP_1)
	v_div_fmas_f32 v62, v62, v65, v66
	v_div_fixup_f32 v62, v62, v63, 1.0
	s_delay_alu instid0(VALU_DEP_1)
	v_mul_f32_e32 v64, v64, v62
	v_xor_b32_e32 v65, 0x80000000, v62
                                        ; implicit-def: $vgpr62_vgpr63
.LBB101_383:
	s_and_not1_saveexec_b32 s1, s1
	s_cbranch_execz .LBB101_385
; %bb.384:
	v_div_scale_f32 v64, null, v62, v62, v63
	v_div_scale_f32 v67, vcc_lo, v63, v62, v63
	s_delay_alu instid0(VALU_DEP_2) | instskip(SKIP_1) | instid1(TRANS32_DEP_1)
	v_rcp_f32_e32 v65, v64
	v_nop
	v_fma_f32 v66, -v64, v65, 1.0
	s_delay_alu instid0(VALU_DEP_1) | instskip(NEXT) | instid1(VALU_DEP_1)
	v_fmac_f32_e32 v65, v66, v65
	v_mul_f32_e32 v66, v67, v65
	s_delay_alu instid0(VALU_DEP_1) | instskip(NEXT) | instid1(VALU_DEP_1)
	v_fma_f32 v78, -v64, v66, v67
	v_fmac_f32_e32 v66, v78, v65
	s_delay_alu instid0(VALU_DEP_1) | instskip(NEXT) | instid1(VALU_DEP_1)
	v_fma_f32 v64, -v64, v66, v67
	v_div_fmas_f32 v64, v64, v65, v66
	s_delay_alu instid0(VALU_DEP_1) | instskip(NEXT) | instid1(VALU_DEP_1)
	v_div_fixup_f32 v65, v64, v62, v63
	v_fmac_f32_e32 v62, v63, v65
	s_delay_alu instid0(VALU_DEP_1) | instskip(NEXT) | instid1(VALU_DEP_1)
	v_div_scale_f32 v63, null, v62, v62, 1.0
	v_rcp_f32_e32 v64, v63
	v_nop
	s_delay_alu instid0(TRANS32_DEP_1) | instskip(NEXT) | instid1(VALU_DEP_1)
	v_fma_f32 v66, -v63, v64, 1.0
	v_fmac_f32_e32 v64, v66, v64
	v_div_scale_f32 v66, vcc_lo, 1.0, v62, 1.0
	s_delay_alu instid0(VALU_DEP_1) | instskip(NEXT) | instid1(VALU_DEP_1)
	v_mul_f32_e32 v67, v66, v64
	v_fma_f32 v78, -v63, v67, v66
	s_delay_alu instid0(VALU_DEP_1) | instskip(NEXT) | instid1(VALU_DEP_1)
	v_fmac_f32_e32 v67, v78, v64
	v_fma_f32 v63, -v63, v67, v66
	s_delay_alu instid0(VALU_DEP_1) | instskip(NEXT) | instid1(VALU_DEP_1)
	v_div_fmas_f32 v63, v63, v64, v67
	v_div_fixup_f32 v64, v63, v62, 1.0
	s_delay_alu instid0(VALU_DEP_1)
	v_mul_f32_e64 v65, v65, -v64
.LBB101_385:
	s_or_b32 exec_lo, exec_lo, s1
	ds_store_b64 v103, v[64:65]
.LBB101_386:
	s_or_b32 exec_lo, exec_lo, s2
	s_wait_dscnt 0x0
	s_barrier_signal -1
	s_barrier_wait -1
	ds_load_b64 v[62:63], v103
	s_mov_b32 s1, exec_lo
	v_cmpx_lt_u32_e32 42, v102
	s_cbranch_execz .LBB101_388
; %bb.387:
	ds_load_2addr_b64 v[78:81], v104 offset0:43 offset1:44
	s_wait_dscnt 0x1
	v_pk_mul_f32 v[66:67], v[62:63], v[178:179] op_sel:[1,1] op_sel_hi:[0,1]
	s_delay_alu instid0(VALU_DEP_1) | instskip(SKIP_1) | instid1(VALU_DEP_1)
	v_pk_fma_f32 v[64:65], v[62:63], v[178:179], v[66:67] op_sel_hi:[1,0,1] neg_lo:[0,0,1] neg_hi:[0,0,1]
	v_pk_fma_f32 v[66:67], v[62:63], v[178:179], v[66:67] op_sel_hi:[1,0,1]
	v_dual_mov_b32 v178, v64 :: v_dual_mov_b32 v179, v67
	s_wait_dscnt 0x0
	s_delay_alu instid0(VALU_DEP_2) | instskip(NEXT) | instid1(VALU_DEP_1)
	v_pk_mul_f32 v[82:83], v[78:79], v[66:67] op_sel:[0,1]
	v_pk_fma_f32 v[84:85], v[78:79], v[64:65], v[82:83] op_sel:[0,0,1] op_sel_hi:[1,1,0] neg_lo:[0,0,1] neg_hi:[0,0,1]
	v_pk_fma_f32 v[78:79], v[78:79], v[64:65], v[82:83] op_sel:[0,0,1] op_sel_hi:[1,0,0]
	s_delay_alu instid0(VALU_DEP_1) | instskip(SKIP_1) | instid1(VALU_DEP_1)
	v_mov_b32_e32 v85, v79
	v_pk_mul_f32 v[78:79], v[80:81], v[66:67] op_sel:[0,1]
	v_pk_fma_f32 v[82:83], v[80:81], v[64:65], v[78:79] op_sel:[0,0,1] op_sel_hi:[1,1,0] neg_lo:[0,0,1] neg_hi:[0,0,1]
	v_pk_fma_f32 v[78:79], v[80:81], v[64:65], v[78:79] op_sel:[0,0,1] op_sel_hi:[1,0,0]
	s_delay_alu instid0(VALU_DEP_1)
	v_mov_b32_e32 v83, v79
	ds_load_2addr_b64 v[78:81], v104 offset0:45 offset1:46
	v_pk_add_f32 v[174:175], v[174:175], v[84:85] neg_lo:[0,1] neg_hi:[0,1]
	v_pk_add_f32 v[200:201], v[200:201], v[82:83] neg_lo:[0,1] neg_hi:[0,1]
	s_wait_dscnt 0x0
	v_pk_mul_f32 v[82:83], v[78:79], v[66:67] op_sel:[0,1]
	s_delay_alu instid0(VALU_DEP_1) | instskip(SKIP_2) | instid1(VALU_DEP_2)
	v_pk_fma_f32 v[84:85], v[78:79], v[64:65], v[82:83] op_sel:[0,0,1] op_sel_hi:[1,1,0] neg_lo:[0,0,1] neg_hi:[0,0,1]
	v_pk_fma_f32 v[78:79], v[78:79], v[64:65], v[82:83] op_sel:[0,0,1] op_sel_hi:[1,0,0]
	v_dual_mul_f32 v82, v81, v67 :: v_dual_mov_b32 v78, v81
	v_dual_mov_b32 v85, v79 :: v_dual_mov_b32 v79, v80
	s_delay_alu instid0(VALU_DEP_2) | instskip(SKIP_1) | instid1(VALU_DEP_3)
	v_pk_fma_f32 v[82:83], v[80:81], v[178:179], v[82:83] op_sel_hi:[1,1,0] neg_lo:[0,0,1] neg_hi:[0,0,1]
	v_mul_f32_e32 v80, v81, v64
	v_pk_add_f32 v[194:195], v[194:195], v[84:85] neg_lo:[0,1] neg_hi:[0,1]
	s_delay_alu instid0(VALU_DEP_2) | instskip(NEXT) | instid1(VALU_DEP_1)
	v_pk_fma_f32 v[78:79], v[78:79], v[178:179], v[80:81] op_sel_hi:[1,1,0]
	v_mov_b32_e32 v83, v79
	ds_load_2addr_b64 v[78:81], v104 offset0:47 offset1:48
	v_pk_add_f32 v[198:199], v[198:199], v[82:83] neg_lo:[0,1] neg_hi:[0,1]
	s_wait_dscnt 0x0
	v_pk_mul_f32 v[82:83], v[78:79], v[66:67] op_sel:[0,1]
	s_delay_alu instid0(VALU_DEP_1) | instskip(SKIP_1) | instid1(VALU_DEP_1)
	v_pk_fma_f32 v[84:85], v[78:79], v[64:65], v[82:83] op_sel:[0,0,1] op_sel_hi:[1,1,0] neg_lo:[0,0,1] neg_hi:[0,0,1]
	v_pk_fma_f32 v[78:79], v[78:79], v[64:65], v[82:83] op_sel:[0,0,1] op_sel_hi:[1,0,0]
	v_mov_b32_e32 v85, v79
	v_pk_mul_f32 v[78:79], v[80:81], v[66:67] op_sel:[0,1]
	s_delay_alu instid0(VALU_DEP_1) | instskip(SKIP_1) | instid1(VALU_DEP_1)
	v_pk_fma_f32 v[82:83], v[80:81], v[64:65], v[78:79] op_sel:[0,0,1] op_sel_hi:[1,1,0] neg_lo:[0,0,1] neg_hi:[0,0,1]
	v_pk_fma_f32 v[78:79], v[80:81], v[64:65], v[78:79] op_sel:[0,0,1] op_sel_hi:[1,0,0]
	v_mov_b32_e32 v83, v79
	ds_load_2addr_b64 v[78:81], v104 offset0:49 offset1:50
	v_pk_add_f32 v[192:193], v[192:193], v[84:85] neg_lo:[0,1] neg_hi:[0,1]
	v_pk_add_f32 v[196:197], v[196:197], v[82:83] neg_lo:[0,1] neg_hi:[0,1]
	s_wait_dscnt 0x0
	v_pk_mul_f32 v[82:83], v[78:79], v[66:67] op_sel:[0,1]
	v_pk_mul_f32 v[66:67], v[80:81], v[66:67] op_sel:[0,1]
	s_delay_alu instid0(VALU_DEP_2) | instskip(SKIP_1) | instid1(VALU_DEP_1)
	v_pk_fma_f32 v[84:85], v[78:79], v[64:65], v[82:83] op_sel:[0,0,1] op_sel_hi:[1,1,0] neg_lo:[0,0,1] neg_hi:[0,0,1]
	v_pk_fma_f32 v[78:79], v[78:79], v[64:65], v[82:83] op_sel:[0,0,1] op_sel_hi:[1,0,0]
	v_mov_b32_e32 v85, v79
	s_delay_alu instid0(VALU_DEP_4) | instskip(SKIP_1) | instid1(VALU_DEP_1)
	v_pk_fma_f32 v[78:79], v[80:81], v[64:65], v[66:67] op_sel:[0,0,1] op_sel_hi:[1,1,0] neg_lo:[0,0,1] neg_hi:[0,0,1]
	v_pk_fma_f32 v[64:65], v[80:81], v[64:65], v[66:67] op_sel:[0,0,1] op_sel_hi:[1,0,0]
	v_mov_b32_e32 v79, v65
	s_delay_alu instid0(VALU_DEP_4) | instskip(NEXT) | instid1(VALU_DEP_2)
	v_pk_add_f32 v[202:203], v[202:203], v[84:85] neg_lo:[0,1] neg_hi:[0,1]
	v_pk_add_f32 v[204:205], v[204:205], v[78:79] neg_lo:[0,1] neg_hi:[0,1]
.LBB101_388:
	s_or_b32 exec_lo, exec_lo, s1
	s_delay_alu instid0(SALU_CYCLE_1)
	s_mov_b32 s2, exec_lo
	s_wait_dscnt 0x0
	s_barrier_signal -1
	s_barrier_wait -1
	v_cmpx_eq_u32_e32 43, v102
	s_cbranch_execz .LBB101_395
; %bb.389:
	v_dual_mov_b32 v64, v200 :: v_dual_mov_b32 v65, v201
	v_dual_mov_b32 v66, v194 :: v_dual_mov_b32 v67, v195
	ds_store_b64 v103, v[174:175]
	ds_store_2addr_b64 v104, v[64:65], v[66:67] offset0:44 offset1:45
	v_dual_mov_b32 v64, v198 :: v_dual_mov_b32 v65, v199
	v_dual_mov_b32 v66, v192 :: v_dual_mov_b32 v67, v193
	ds_store_2addr_b64 v104, v[64:65], v[66:67] offset0:46 offset1:47
	v_dual_mov_b32 v64, v196 :: v_dual_mov_b32 v65, v197
	v_dual_mov_b32 v66, v202 :: v_dual_mov_b32 v67, v203
	ds_store_2addr_b64 v104, v[64:65], v[66:67] offset0:48 offset1:49
	ds_store_b64 v104, v[204:205] offset:400
	ds_load_b64 v[64:65], v103
	s_wait_dscnt 0x0
	v_cmp_neq_f32_e32 vcc_lo, 0, v64
	v_cmp_neq_f32_e64 s1, 0, v65
	s_or_b32 s1, vcc_lo, s1
	s_delay_alu instid0(SALU_CYCLE_1)
	s_and_b32 exec_lo, exec_lo, s1
	s_cbranch_execz .LBB101_395
; %bb.390:
	v_cmp_ngt_f32_e64 s1, |v64|, |v65|
                                        ; implicit-def: $vgpr66_vgpr67
	s_and_saveexec_b32 s4, s1
	s_delay_alu instid0(SALU_CYCLE_1)
	s_xor_b32 s1, exec_lo, s4
	s_cbranch_execz .LBB101_392
; %bb.391:
	v_div_scale_f32 v66, null, v65, v65, v64
	v_div_scale_f32 v79, vcc_lo, v64, v65, v64
	s_delay_alu instid0(VALU_DEP_2) | instskip(SKIP_1) | instid1(TRANS32_DEP_1)
	v_rcp_f32_e32 v67, v66
	v_nop
	v_fma_f32 v78, -v66, v67, 1.0
	s_delay_alu instid0(VALU_DEP_1) | instskip(NEXT) | instid1(VALU_DEP_1)
	v_fmac_f32_e32 v67, v78, v67
	v_mul_f32_e32 v78, v79, v67
	s_delay_alu instid0(VALU_DEP_1) | instskip(NEXT) | instid1(VALU_DEP_1)
	v_fma_f32 v80, -v66, v78, v79
	v_fmac_f32_e32 v78, v80, v67
	s_delay_alu instid0(VALU_DEP_1) | instskip(NEXT) | instid1(VALU_DEP_1)
	v_fma_f32 v66, -v66, v78, v79
	v_div_fmas_f32 v66, v66, v67, v78
	s_delay_alu instid0(VALU_DEP_1) | instskip(NEXT) | instid1(VALU_DEP_1)
	v_div_fixup_f32 v66, v66, v65, v64
	v_fmac_f32_e32 v65, v64, v66
	s_delay_alu instid0(VALU_DEP_1) | instskip(SKIP_1) | instid1(VALU_DEP_2)
	v_div_scale_f32 v64, null, v65, v65, 1.0
	v_div_scale_f32 v79, vcc_lo, 1.0, v65, 1.0
	v_rcp_f32_e32 v67, v64
	v_nop
	s_delay_alu instid0(TRANS32_DEP_1) | instskip(NEXT) | instid1(VALU_DEP_1)
	v_fma_f32 v78, -v64, v67, 1.0
	v_fmac_f32_e32 v67, v78, v67
	s_delay_alu instid0(VALU_DEP_1) | instskip(NEXT) | instid1(VALU_DEP_1)
	v_mul_f32_e32 v78, v79, v67
	v_fma_f32 v80, -v64, v78, v79
	s_delay_alu instid0(VALU_DEP_1) | instskip(NEXT) | instid1(VALU_DEP_1)
	v_fmac_f32_e32 v78, v80, v67
	v_fma_f32 v64, -v64, v78, v79
	s_delay_alu instid0(VALU_DEP_1) | instskip(NEXT) | instid1(VALU_DEP_1)
	v_div_fmas_f32 v64, v64, v67, v78
	v_div_fixup_f32 v64, v64, v65, 1.0
	s_delay_alu instid0(VALU_DEP_1)
	v_mul_f32_e32 v66, v66, v64
	v_xor_b32_e32 v67, 0x80000000, v64
                                        ; implicit-def: $vgpr64_vgpr65
.LBB101_392:
	s_and_not1_saveexec_b32 s1, s1
	s_cbranch_execz .LBB101_394
; %bb.393:
	v_div_scale_f32 v66, null, v64, v64, v65
	v_div_scale_f32 v79, vcc_lo, v65, v64, v65
	s_delay_alu instid0(VALU_DEP_2) | instskip(SKIP_1) | instid1(TRANS32_DEP_1)
	v_rcp_f32_e32 v67, v66
	v_nop
	v_fma_f32 v78, -v66, v67, 1.0
	s_delay_alu instid0(VALU_DEP_1) | instskip(NEXT) | instid1(VALU_DEP_1)
	v_fmac_f32_e32 v67, v78, v67
	v_mul_f32_e32 v78, v79, v67
	s_delay_alu instid0(VALU_DEP_1) | instskip(NEXT) | instid1(VALU_DEP_1)
	v_fma_f32 v80, -v66, v78, v79
	v_fmac_f32_e32 v78, v80, v67
	s_delay_alu instid0(VALU_DEP_1) | instskip(NEXT) | instid1(VALU_DEP_1)
	v_fma_f32 v66, -v66, v78, v79
	v_div_fmas_f32 v66, v66, v67, v78
	s_delay_alu instid0(VALU_DEP_1) | instskip(NEXT) | instid1(VALU_DEP_1)
	v_div_fixup_f32 v67, v66, v64, v65
	v_fmac_f32_e32 v64, v65, v67
	s_delay_alu instid0(VALU_DEP_1) | instskip(NEXT) | instid1(VALU_DEP_1)
	v_div_scale_f32 v65, null, v64, v64, 1.0
	v_rcp_f32_e32 v66, v65
	v_nop
	s_delay_alu instid0(TRANS32_DEP_1) | instskip(NEXT) | instid1(VALU_DEP_1)
	v_fma_f32 v78, -v65, v66, 1.0
	v_fmac_f32_e32 v66, v78, v66
	v_div_scale_f32 v78, vcc_lo, 1.0, v64, 1.0
	s_delay_alu instid0(VALU_DEP_1) | instskip(NEXT) | instid1(VALU_DEP_1)
	v_mul_f32_e32 v79, v78, v66
	v_fma_f32 v80, -v65, v79, v78
	s_delay_alu instid0(VALU_DEP_1) | instskip(NEXT) | instid1(VALU_DEP_1)
	v_fmac_f32_e32 v79, v80, v66
	v_fma_f32 v65, -v65, v79, v78
	s_delay_alu instid0(VALU_DEP_1) | instskip(NEXT) | instid1(VALU_DEP_1)
	v_div_fmas_f32 v65, v65, v66, v79
	v_div_fixup_f32 v66, v65, v64, 1.0
	s_delay_alu instid0(VALU_DEP_1)
	v_mul_f32_e64 v67, v67, -v66
.LBB101_394:
	s_or_b32 exec_lo, exec_lo, s1
	ds_store_b64 v103, v[66:67]
.LBB101_395:
	s_or_b32 exec_lo, exec_lo, s2
	s_wait_dscnt 0x0
	s_barrier_signal -1
	s_barrier_wait -1
	ds_load_b64 v[64:65], v103
	s_mov_b32 s1, exec_lo
	v_cmpx_lt_u32_e32 43, v102
	s_cbranch_execz .LBB101_397
; %bb.396:
	s_wait_dscnt 0x0
	v_pk_mul_f32 v[78:79], v[64:65], v[174:175] op_sel:[1,1] op_sel_hi:[0,1]
	s_delay_alu instid0(VALU_DEP_1)
	v_pk_fma_f32 v[66:67], v[64:65], v[174:175], v[78:79] op_sel_hi:[1,0,1] neg_lo:[0,0,1] neg_hi:[0,0,1]
	v_pk_fma_f32 v[82:83], v[64:65], v[174:175], v[78:79] op_sel_hi:[1,0,1]
	ds_load_2addr_b64 v[78:81], v104 offset0:44 offset1:45
	v_dual_mov_b32 v174, v66 :: v_dual_mov_b32 v175, v83
	s_wait_dscnt 0x0
	v_pk_mul_f32 v[84:85], v[78:79], v[82:83] op_sel:[0,1]
	s_delay_alu instid0(VALU_DEP_1) | instskip(SKIP_1) | instid1(VALU_DEP_1)
	v_pk_fma_f32 v[96:97], v[78:79], v[66:67], v[84:85] op_sel:[0,0,1] op_sel_hi:[1,1,0] neg_lo:[0,0,1] neg_hi:[0,0,1]
	v_pk_fma_f32 v[78:79], v[78:79], v[66:67], v[84:85] op_sel:[0,0,1] op_sel_hi:[1,0,0]
	v_mov_b32_e32 v97, v79
	v_pk_mul_f32 v[78:79], v[80:81], v[82:83] op_sel:[0,1]
	s_delay_alu instid0(VALU_DEP_1) | instskip(SKIP_1) | instid1(VALU_DEP_1)
	v_pk_fma_f32 v[84:85], v[80:81], v[66:67], v[78:79] op_sel:[0,0,1] op_sel_hi:[1,1,0] neg_lo:[0,0,1] neg_hi:[0,0,1]
	v_pk_fma_f32 v[78:79], v[80:81], v[66:67], v[78:79] op_sel:[0,0,1] op_sel_hi:[1,0,0]
	v_mov_b32_e32 v85, v79
	ds_load_2addr_b64 v[78:81], v104 offset0:46 offset1:47
	v_pk_add_f32 v[200:201], v[200:201], v[96:97] neg_lo:[0,1] neg_hi:[0,1]
	v_pk_add_f32 v[194:195], v[194:195], v[84:85] neg_lo:[0,1] neg_hi:[0,1]
	s_wait_dscnt 0x0
	v_pk_mul_f32 v[84:85], v[78:79], v[82:83] op_sel:[0,1]
	s_delay_alu instid0(VALU_DEP_1) | instskip(SKIP_2) | instid1(VALU_DEP_2)
	v_pk_fma_f32 v[96:97], v[78:79], v[66:67], v[84:85] op_sel:[0,0,1] op_sel_hi:[1,1,0] neg_lo:[0,0,1] neg_hi:[0,0,1]
	v_pk_fma_f32 v[78:79], v[78:79], v[66:67], v[84:85] op_sel:[0,0,1] op_sel_hi:[1,0,0]
	v_dual_mul_f32 v84, v81, v83 :: v_dual_mov_b32 v78, v81
	v_dual_mov_b32 v97, v79 :: v_dual_mov_b32 v79, v80
	s_delay_alu instid0(VALU_DEP_2) | instskip(SKIP_1) | instid1(VALU_DEP_3)
	v_pk_fma_f32 v[84:85], v[80:81], v[174:175], v[84:85] op_sel_hi:[1,1,0] neg_lo:[0,0,1] neg_hi:[0,0,1]
	v_mul_f32_e32 v80, v81, v66
	v_pk_add_f32 v[198:199], v[198:199], v[96:97] neg_lo:[0,1] neg_hi:[0,1]
	s_delay_alu instid0(VALU_DEP_2) | instskip(NEXT) | instid1(VALU_DEP_1)
	v_pk_fma_f32 v[78:79], v[78:79], v[174:175], v[80:81] op_sel_hi:[1,1,0]
	v_mov_b32_e32 v85, v79
	ds_load_2addr_b64 v[78:81], v104 offset0:48 offset1:49
	v_pk_add_f32 v[192:193], v[192:193], v[84:85] neg_lo:[0,1] neg_hi:[0,1]
	s_wait_dscnt 0x0
	v_pk_mul_f32 v[84:85], v[78:79], v[82:83] op_sel:[0,1]
	s_delay_alu instid0(VALU_DEP_1) | instskip(SKIP_1) | instid1(VALU_DEP_1)
	v_pk_fma_f32 v[96:97], v[78:79], v[66:67], v[84:85] op_sel:[0,0,1] op_sel_hi:[1,1,0] neg_lo:[0,0,1] neg_hi:[0,0,1]
	v_pk_fma_f32 v[78:79], v[78:79], v[66:67], v[84:85] op_sel:[0,0,1] op_sel_hi:[1,0,0]
	v_mov_b32_e32 v97, v79
	v_pk_mul_f32 v[78:79], v[80:81], v[82:83] op_sel:[0,1]
	s_delay_alu instid0(VALU_DEP_1) | instskip(SKIP_1) | instid1(VALU_DEP_1)
	v_pk_fma_f32 v[84:85], v[80:81], v[66:67], v[78:79] op_sel:[0,0,1] op_sel_hi:[1,1,0] neg_lo:[0,0,1] neg_hi:[0,0,1]
	v_pk_fma_f32 v[78:79], v[80:81], v[66:67], v[78:79] op_sel:[0,0,1] op_sel_hi:[1,0,0]
	v_mov_b32_e32 v85, v79
	ds_load_b64 v[78:79], v104 offset:400
	v_pk_add_f32 v[196:197], v[196:197], v[96:97] neg_lo:[0,1] neg_hi:[0,1]
	v_pk_add_f32 v[202:203], v[202:203], v[84:85] neg_lo:[0,1] neg_hi:[0,1]
	s_wait_dscnt 0x0
	v_pk_mul_f32 v[80:81], v[78:79], v[82:83] op_sel:[0,1]
	s_delay_alu instid0(VALU_DEP_1) | instskip(SKIP_1) | instid1(VALU_DEP_1)
	v_pk_fma_f32 v[82:83], v[78:79], v[66:67], v[80:81] op_sel:[0,0,1] op_sel_hi:[1,1,0] neg_lo:[0,0,1] neg_hi:[0,0,1]
	v_pk_fma_f32 v[66:67], v[78:79], v[66:67], v[80:81] op_sel:[0,0,1] op_sel_hi:[1,0,0]
	v_mov_b32_e32 v83, v67
	s_delay_alu instid0(VALU_DEP_1)
	v_pk_add_f32 v[204:205], v[204:205], v[82:83] neg_lo:[0,1] neg_hi:[0,1]
.LBB101_397:
	s_or_b32 exec_lo, exec_lo, s1
	s_delay_alu instid0(SALU_CYCLE_1)
	s_mov_b32 s2, exec_lo
	s_wait_dscnt 0x0
	s_barrier_signal -1
	s_barrier_wait -1
	v_cmpx_eq_u32_e32 44, v102
	s_cbranch_execz .LBB101_404
; %bb.398:
	ds_store_b64 v103, v[200:201]
	ds_store_2addr_b64 v104, v[194:195], v[198:199] offset0:45 offset1:46
	ds_store_2addr_b64 v104, v[192:193], v[196:197] offset0:47 offset1:48
	;; [unrolled: 1-line block ×3, first 2 shown]
	ds_load_b64 v[66:67], v103
	s_wait_dscnt 0x0
	v_cmp_neq_f32_e32 vcc_lo, 0, v66
	v_cmp_neq_f32_e64 s1, 0, v67
	s_or_b32 s1, vcc_lo, s1
	s_delay_alu instid0(SALU_CYCLE_1)
	s_and_b32 exec_lo, exec_lo, s1
	s_cbranch_execz .LBB101_404
; %bb.399:
	v_cmp_ngt_f32_e64 s1, |v66|, |v67|
                                        ; implicit-def: $vgpr78_vgpr79
	s_and_saveexec_b32 s4, s1
	s_delay_alu instid0(SALU_CYCLE_1)
	s_xor_b32 s1, exec_lo, s4
	s_cbranch_execz .LBB101_401
; %bb.400:
	v_div_scale_f32 v78, null, v67, v67, v66
	v_div_scale_f32 v81, vcc_lo, v66, v67, v66
	s_delay_alu instid0(VALU_DEP_2) | instskip(SKIP_1) | instid1(TRANS32_DEP_1)
	v_rcp_f32_e32 v79, v78
	v_nop
	v_fma_f32 v80, -v78, v79, 1.0
	s_delay_alu instid0(VALU_DEP_1) | instskip(NEXT) | instid1(VALU_DEP_1)
	v_fmac_f32_e32 v79, v80, v79
	v_mul_f32_e32 v80, v81, v79
	s_delay_alu instid0(VALU_DEP_1) | instskip(NEXT) | instid1(VALU_DEP_1)
	v_fma_f32 v82, -v78, v80, v81
	v_fmac_f32_e32 v80, v82, v79
	s_delay_alu instid0(VALU_DEP_1) | instskip(NEXT) | instid1(VALU_DEP_1)
	v_fma_f32 v78, -v78, v80, v81
	v_div_fmas_f32 v78, v78, v79, v80
	s_delay_alu instid0(VALU_DEP_1) | instskip(NEXT) | instid1(VALU_DEP_1)
	v_div_fixup_f32 v78, v78, v67, v66
	v_fmac_f32_e32 v67, v66, v78
	s_delay_alu instid0(VALU_DEP_1) | instskip(SKIP_1) | instid1(VALU_DEP_2)
	v_div_scale_f32 v66, null, v67, v67, 1.0
	v_div_scale_f32 v81, vcc_lo, 1.0, v67, 1.0
	v_rcp_f32_e32 v79, v66
	v_nop
	s_delay_alu instid0(TRANS32_DEP_1) | instskip(NEXT) | instid1(VALU_DEP_1)
	v_fma_f32 v80, -v66, v79, 1.0
	v_fmac_f32_e32 v79, v80, v79
	s_delay_alu instid0(VALU_DEP_1) | instskip(NEXT) | instid1(VALU_DEP_1)
	v_mul_f32_e32 v80, v81, v79
	v_fma_f32 v82, -v66, v80, v81
	s_delay_alu instid0(VALU_DEP_1) | instskip(NEXT) | instid1(VALU_DEP_1)
	v_fmac_f32_e32 v80, v82, v79
	v_fma_f32 v66, -v66, v80, v81
	s_delay_alu instid0(VALU_DEP_1) | instskip(NEXT) | instid1(VALU_DEP_1)
	v_div_fmas_f32 v66, v66, v79, v80
	v_div_fixup_f32 v66, v66, v67, 1.0
	s_delay_alu instid0(VALU_DEP_1)
	v_mul_f32_e32 v78, v78, v66
	v_xor_b32_e32 v79, 0x80000000, v66
                                        ; implicit-def: $vgpr66_vgpr67
.LBB101_401:
	s_and_not1_saveexec_b32 s1, s1
	s_cbranch_execz .LBB101_403
; %bb.402:
	v_div_scale_f32 v78, null, v66, v66, v67
	v_div_scale_f32 v81, vcc_lo, v67, v66, v67
	s_delay_alu instid0(VALU_DEP_2) | instskip(SKIP_1) | instid1(TRANS32_DEP_1)
	v_rcp_f32_e32 v79, v78
	v_nop
	v_fma_f32 v80, -v78, v79, 1.0
	s_delay_alu instid0(VALU_DEP_1) | instskip(NEXT) | instid1(VALU_DEP_1)
	v_fmac_f32_e32 v79, v80, v79
	v_mul_f32_e32 v80, v81, v79
	s_delay_alu instid0(VALU_DEP_1) | instskip(NEXT) | instid1(VALU_DEP_1)
	v_fma_f32 v82, -v78, v80, v81
	v_fmac_f32_e32 v80, v82, v79
	s_delay_alu instid0(VALU_DEP_1) | instskip(NEXT) | instid1(VALU_DEP_1)
	v_fma_f32 v78, -v78, v80, v81
	v_div_fmas_f32 v78, v78, v79, v80
	s_delay_alu instid0(VALU_DEP_1) | instskip(NEXT) | instid1(VALU_DEP_1)
	v_div_fixup_f32 v79, v78, v66, v67
	v_fmac_f32_e32 v66, v67, v79
	s_delay_alu instid0(VALU_DEP_1) | instskip(NEXT) | instid1(VALU_DEP_1)
	v_div_scale_f32 v67, null, v66, v66, 1.0
	v_rcp_f32_e32 v78, v67
	v_nop
	s_delay_alu instid0(TRANS32_DEP_1) | instskip(NEXT) | instid1(VALU_DEP_1)
	v_fma_f32 v80, -v67, v78, 1.0
	v_fmac_f32_e32 v78, v80, v78
	v_div_scale_f32 v80, vcc_lo, 1.0, v66, 1.0
	s_delay_alu instid0(VALU_DEP_1) | instskip(NEXT) | instid1(VALU_DEP_1)
	v_mul_f32_e32 v81, v80, v78
	v_fma_f32 v82, -v67, v81, v80
	s_delay_alu instid0(VALU_DEP_1) | instskip(NEXT) | instid1(VALU_DEP_1)
	v_fmac_f32_e32 v81, v82, v78
	v_fma_f32 v67, -v67, v81, v80
	s_delay_alu instid0(VALU_DEP_1) | instskip(NEXT) | instid1(VALU_DEP_1)
	v_div_fmas_f32 v67, v67, v78, v81
	v_div_fixup_f32 v78, v67, v66, 1.0
	s_delay_alu instid0(VALU_DEP_1)
	v_mul_f32_e64 v79, v79, -v78
.LBB101_403:
	s_or_b32 exec_lo, exec_lo, s1
	ds_store_b64 v103, v[78:79]
.LBB101_404:
	s_or_b32 exec_lo, exec_lo, s2
	s_wait_dscnt 0x0
	s_barrier_signal -1
	s_barrier_wait -1
	ds_load_b64 v[66:67], v103
	s_mov_b32 s1, exec_lo
	v_cmpx_lt_u32_e32 44, v102
	s_cbranch_execz .LBB101_406
; %bb.405:
	s_wait_dscnt 0x0
	v_pk_mul_f32 v[78:79], v[66:67], v[200:201] op_sel:[1,1] op_sel_hi:[0,1]
	s_delay_alu instid0(VALU_DEP_1)
	v_pk_fma_f32 v[82:83], v[66:67], v[200:201], v[78:79] op_sel_hi:[1,0,1] neg_lo:[0,0,1] neg_hi:[0,0,1]
	v_pk_fma_f32 v[84:85], v[66:67], v[200:201], v[78:79] op_sel_hi:[1,0,1]
	ds_load_2addr_b64 v[78:81], v104 offset0:45 offset1:46
	v_dual_mov_b32 v200, v82 :: v_dual_mov_b32 v201, v85
	s_wait_dscnt 0x0
	v_pk_mul_f32 v[96:97], v[78:79], v[84:85] op_sel:[0,1]
	s_delay_alu instid0(VALU_DEP_1) | instskip(SKIP_1) | instid1(VALU_DEP_1)
	v_pk_fma_f32 v[100:101], v[78:79], v[82:83], v[96:97] op_sel:[0,0,1] op_sel_hi:[1,1,0] neg_lo:[0,0,1] neg_hi:[0,0,1]
	v_pk_fma_f32 v[78:79], v[78:79], v[82:83], v[96:97] op_sel:[0,0,1] op_sel_hi:[1,0,0]
	v_mov_b32_e32 v101, v79
	v_pk_mul_f32 v[78:79], v[80:81], v[84:85] op_sel:[0,1]
	s_delay_alu instid0(VALU_DEP_1) | instskip(SKIP_1) | instid1(VALU_DEP_1)
	v_pk_fma_f32 v[96:97], v[80:81], v[82:83], v[78:79] op_sel:[0,0,1] op_sel_hi:[1,1,0] neg_lo:[0,0,1] neg_hi:[0,0,1]
	v_pk_fma_f32 v[78:79], v[80:81], v[82:83], v[78:79] op_sel:[0,0,1] op_sel_hi:[1,0,0]
	v_mov_b32_e32 v97, v79
	ds_load_2addr_b64 v[78:81], v104 offset0:47 offset1:48
	v_pk_add_f32 v[194:195], v[194:195], v[100:101] neg_lo:[0,1] neg_hi:[0,1]
	v_pk_add_f32 v[198:199], v[198:199], v[96:97] neg_lo:[0,1] neg_hi:[0,1]
	s_wait_dscnt 0x0
	v_pk_mul_f32 v[96:97], v[78:79], v[84:85] op_sel:[0,1]
	s_delay_alu instid0(VALU_DEP_1) | instskip(SKIP_2) | instid1(VALU_DEP_2)
	v_pk_fma_f32 v[100:101], v[78:79], v[82:83], v[96:97] op_sel:[0,0,1] op_sel_hi:[1,1,0] neg_lo:[0,0,1] neg_hi:[0,0,1]
	v_pk_fma_f32 v[78:79], v[78:79], v[82:83], v[96:97] op_sel:[0,0,1] op_sel_hi:[1,0,0]
	v_dual_mul_f32 v96, v81, v85 :: v_dual_mov_b32 v78, v81
	v_dual_mov_b32 v101, v79 :: v_dual_mov_b32 v79, v80
	s_delay_alu instid0(VALU_DEP_2) | instskip(SKIP_1) | instid1(VALU_DEP_3)
	v_pk_fma_f32 v[96:97], v[80:81], v[200:201], v[96:97] op_sel_hi:[1,1,0] neg_lo:[0,0,1] neg_hi:[0,0,1]
	v_mul_f32_e32 v80, v81, v82
	v_pk_add_f32 v[192:193], v[192:193], v[100:101] neg_lo:[0,1] neg_hi:[0,1]
	s_delay_alu instid0(VALU_DEP_2) | instskip(NEXT) | instid1(VALU_DEP_1)
	v_pk_fma_f32 v[78:79], v[78:79], v[200:201], v[80:81] op_sel_hi:[1,1,0]
	v_mov_b32_e32 v97, v79
	ds_load_2addr_b64 v[78:81], v104 offset0:49 offset1:50
	v_pk_add_f32 v[196:197], v[196:197], v[96:97] neg_lo:[0,1] neg_hi:[0,1]
	s_wait_dscnt 0x0
	v_pk_mul_f32 v[96:97], v[78:79], v[84:85] op_sel:[0,1]
	v_mul_f32_e32 v84, v81, v85
	s_delay_alu instid0(VALU_DEP_2) | instskip(SKIP_2) | instid1(VALU_DEP_4)
	v_pk_fma_f32 v[100:101], v[78:79], v[82:83], v[96:97] op_sel:[0,0,1] op_sel_hi:[1,1,0] neg_lo:[0,0,1] neg_hi:[0,0,1]
	v_pk_fma_f32 v[78:79], v[78:79], v[82:83], v[96:97] op_sel:[0,0,1] op_sel_hi:[1,0,0]
	v_mov_b32_e32 v78, v81
	v_pk_fma_f32 v[84:85], v[80:81], v[200:201], v[84:85] op_sel_hi:[1,1,0] neg_lo:[0,0,1] neg_hi:[0,0,1]
	s_delay_alu instid0(VALU_DEP_3) | instskip(SKIP_1) | instid1(VALU_DEP_2)
	v_dual_mov_b32 v101, v79 :: v_dual_mov_b32 v79, v80
	v_mul_f32_e32 v80, v81, v82
	v_pk_add_f32 v[202:203], v[202:203], v[100:101] neg_lo:[0,1] neg_hi:[0,1]
	s_delay_alu instid0(VALU_DEP_2) | instskip(NEXT) | instid1(VALU_DEP_1)
	v_pk_fma_f32 v[78:79], v[78:79], v[200:201], v[80:81] op_sel_hi:[1,1,0]
	v_mov_b32_e32 v85, v79
	s_delay_alu instid0(VALU_DEP_1)
	v_pk_add_f32 v[204:205], v[204:205], v[84:85] neg_lo:[0,1] neg_hi:[0,1]
.LBB101_406:
	s_or_b32 exec_lo, exec_lo, s1
	s_delay_alu instid0(SALU_CYCLE_1)
	s_mov_b32 s2, exec_lo
	s_wait_dscnt 0x0
	s_barrier_signal -1
	s_barrier_wait -1
	v_cmpx_eq_u32_e32 45, v102
	s_cbranch_execz .LBB101_413
; %bb.407:
	v_dual_mov_b32 v78, v198 :: v_dual_mov_b32 v79, v199
	v_dual_mov_b32 v80, v192 :: v_dual_mov_b32 v81, v193
	ds_store_b64 v103, v[194:195]
	ds_store_2addr_b64 v104, v[78:79], v[80:81] offset0:46 offset1:47
	v_dual_mov_b32 v78, v196 :: v_dual_mov_b32 v79, v197
	v_dual_mov_b32 v80, v202 :: v_dual_mov_b32 v81, v203
	ds_store_2addr_b64 v104, v[78:79], v[80:81] offset0:48 offset1:49
	ds_store_b64 v104, v[204:205] offset:400
	ds_load_b64 v[78:79], v103
	s_wait_dscnt 0x0
	v_cmp_neq_f32_e32 vcc_lo, 0, v78
	v_cmp_neq_f32_e64 s1, 0, v79
	s_or_b32 s1, vcc_lo, s1
	s_delay_alu instid0(SALU_CYCLE_1)
	s_and_b32 exec_lo, exec_lo, s1
	s_cbranch_execz .LBB101_413
; %bb.408:
	v_cmp_ngt_f32_e64 s1, |v78|, |v79|
                                        ; implicit-def: $vgpr80_vgpr81
	s_and_saveexec_b32 s4, s1
	s_delay_alu instid0(SALU_CYCLE_1)
	s_xor_b32 s1, exec_lo, s4
	s_cbranch_execz .LBB101_410
; %bb.409:
	v_div_scale_f32 v80, null, v79, v79, v78
	v_div_scale_f32 v83, vcc_lo, v78, v79, v78
	s_delay_alu instid0(VALU_DEP_2) | instskip(SKIP_1) | instid1(TRANS32_DEP_1)
	v_rcp_f32_e32 v81, v80
	v_nop
	v_fma_f32 v82, -v80, v81, 1.0
	s_delay_alu instid0(VALU_DEP_1) | instskip(NEXT) | instid1(VALU_DEP_1)
	v_fmac_f32_e32 v81, v82, v81
	v_mul_f32_e32 v82, v83, v81
	s_delay_alu instid0(VALU_DEP_1) | instskip(NEXT) | instid1(VALU_DEP_1)
	v_fma_f32 v84, -v80, v82, v83
	v_fmac_f32_e32 v82, v84, v81
	s_delay_alu instid0(VALU_DEP_1) | instskip(NEXT) | instid1(VALU_DEP_1)
	v_fma_f32 v80, -v80, v82, v83
	v_div_fmas_f32 v80, v80, v81, v82
	s_delay_alu instid0(VALU_DEP_1) | instskip(NEXT) | instid1(VALU_DEP_1)
	v_div_fixup_f32 v80, v80, v79, v78
	v_fmac_f32_e32 v79, v78, v80
	s_delay_alu instid0(VALU_DEP_1) | instskip(SKIP_1) | instid1(VALU_DEP_2)
	v_div_scale_f32 v78, null, v79, v79, 1.0
	v_div_scale_f32 v83, vcc_lo, 1.0, v79, 1.0
	v_rcp_f32_e32 v81, v78
	v_nop
	s_delay_alu instid0(TRANS32_DEP_1) | instskip(NEXT) | instid1(VALU_DEP_1)
	v_fma_f32 v82, -v78, v81, 1.0
	v_fmac_f32_e32 v81, v82, v81
	s_delay_alu instid0(VALU_DEP_1) | instskip(NEXT) | instid1(VALU_DEP_1)
	v_mul_f32_e32 v82, v83, v81
	v_fma_f32 v84, -v78, v82, v83
	s_delay_alu instid0(VALU_DEP_1) | instskip(NEXT) | instid1(VALU_DEP_1)
	v_fmac_f32_e32 v82, v84, v81
	v_fma_f32 v78, -v78, v82, v83
	s_delay_alu instid0(VALU_DEP_1) | instskip(NEXT) | instid1(VALU_DEP_1)
	v_div_fmas_f32 v78, v78, v81, v82
	v_div_fixup_f32 v78, v78, v79, 1.0
	s_delay_alu instid0(VALU_DEP_1)
	v_mul_f32_e32 v80, v80, v78
	v_xor_b32_e32 v81, 0x80000000, v78
                                        ; implicit-def: $vgpr78_vgpr79
.LBB101_410:
	s_and_not1_saveexec_b32 s1, s1
	s_cbranch_execz .LBB101_412
; %bb.411:
	v_div_scale_f32 v80, null, v78, v78, v79
	v_div_scale_f32 v83, vcc_lo, v79, v78, v79
	s_delay_alu instid0(VALU_DEP_2) | instskip(SKIP_1) | instid1(TRANS32_DEP_1)
	v_rcp_f32_e32 v81, v80
	v_nop
	v_fma_f32 v82, -v80, v81, 1.0
	s_delay_alu instid0(VALU_DEP_1) | instskip(NEXT) | instid1(VALU_DEP_1)
	v_fmac_f32_e32 v81, v82, v81
	v_mul_f32_e32 v82, v83, v81
	s_delay_alu instid0(VALU_DEP_1) | instskip(NEXT) | instid1(VALU_DEP_1)
	v_fma_f32 v84, -v80, v82, v83
	v_fmac_f32_e32 v82, v84, v81
	s_delay_alu instid0(VALU_DEP_1) | instskip(NEXT) | instid1(VALU_DEP_1)
	v_fma_f32 v80, -v80, v82, v83
	v_div_fmas_f32 v80, v80, v81, v82
	s_delay_alu instid0(VALU_DEP_1) | instskip(NEXT) | instid1(VALU_DEP_1)
	v_div_fixup_f32 v81, v80, v78, v79
	v_fmac_f32_e32 v78, v79, v81
	s_delay_alu instid0(VALU_DEP_1) | instskip(NEXT) | instid1(VALU_DEP_1)
	v_div_scale_f32 v79, null, v78, v78, 1.0
	v_rcp_f32_e32 v80, v79
	v_nop
	s_delay_alu instid0(TRANS32_DEP_1) | instskip(NEXT) | instid1(VALU_DEP_1)
	v_fma_f32 v82, -v79, v80, 1.0
	v_fmac_f32_e32 v80, v82, v80
	v_div_scale_f32 v82, vcc_lo, 1.0, v78, 1.0
	s_delay_alu instid0(VALU_DEP_1) | instskip(NEXT) | instid1(VALU_DEP_1)
	v_mul_f32_e32 v83, v82, v80
	v_fma_f32 v84, -v79, v83, v82
	s_delay_alu instid0(VALU_DEP_1) | instskip(NEXT) | instid1(VALU_DEP_1)
	v_fmac_f32_e32 v83, v84, v80
	v_fma_f32 v79, -v79, v83, v82
	s_delay_alu instid0(VALU_DEP_1) | instskip(NEXT) | instid1(VALU_DEP_1)
	v_div_fmas_f32 v79, v79, v80, v83
	v_div_fixup_f32 v80, v79, v78, 1.0
	s_delay_alu instid0(VALU_DEP_1)
	v_mul_f32_e64 v81, v81, -v80
.LBB101_412:
	s_or_b32 exec_lo, exec_lo, s1
	ds_store_b64 v103, v[80:81]
.LBB101_413:
	s_or_b32 exec_lo, exec_lo, s2
	s_wait_dscnt 0x0
	s_barrier_signal -1
	s_barrier_wait -1
	ds_load_b64 v[78:79], v103
	s_mov_b32 s1, exec_lo
	v_cmpx_lt_u32_e32 45, v102
	s_cbranch_execz .LBB101_415
; %bb.414:
	s_wait_dscnt 0x0
	v_pk_mul_f32 v[80:81], v[78:79], v[194:195] op_sel:[1,1] op_sel_hi:[0,1]
	s_delay_alu instid0(VALU_DEP_1)
	v_pk_fma_f32 v[84:85], v[78:79], v[194:195], v[80:81] op_sel_hi:[1,0,1] neg_lo:[0,0,1] neg_hi:[0,0,1]
	v_pk_fma_f32 v[96:97], v[78:79], v[194:195], v[80:81] op_sel_hi:[1,0,1]
	ds_load_2addr_b64 v[80:83], v104 offset0:46 offset1:47
	v_dual_mov_b32 v194, v84 :: v_dual_mov_b32 v195, v97
	s_wait_dscnt 0x0
	v_pk_mul_f32 v[100:101], v[80:81], v[96:97] op_sel:[0,1]
	s_delay_alu instid0(VALU_DEP_1) | instskip(SKIP_1) | instid1(VALU_DEP_1)
	v_pk_fma_f32 v[114:115], v[80:81], v[84:85], v[100:101] op_sel:[0,0,1] op_sel_hi:[1,1,0] neg_lo:[0,0,1] neg_hi:[0,0,1]
	v_pk_fma_f32 v[80:81], v[80:81], v[84:85], v[100:101] op_sel:[0,0,1] op_sel_hi:[1,0,0]
	v_mov_b32_e32 v115, v81
	v_pk_mul_f32 v[80:81], v[82:83], v[96:97] op_sel:[0,1]
	s_delay_alu instid0(VALU_DEP_1) | instskip(SKIP_1) | instid1(VALU_DEP_1)
	v_pk_fma_f32 v[100:101], v[82:83], v[84:85], v[80:81] op_sel:[0,0,1] op_sel_hi:[1,1,0] neg_lo:[0,0,1] neg_hi:[0,0,1]
	v_pk_fma_f32 v[80:81], v[82:83], v[84:85], v[80:81] op_sel:[0,0,1] op_sel_hi:[1,0,0]
	v_mov_b32_e32 v101, v81
	ds_load_2addr_b64 v[80:83], v104 offset0:48 offset1:49
	v_pk_add_f32 v[198:199], v[198:199], v[114:115] neg_lo:[0,1] neg_hi:[0,1]
	v_pk_add_f32 v[192:193], v[192:193], v[100:101] neg_lo:[0,1] neg_hi:[0,1]
	s_wait_dscnt 0x0
	v_pk_mul_f32 v[100:101], v[80:81], v[96:97] op_sel:[0,1]
	s_delay_alu instid0(VALU_DEP_1) | instskip(SKIP_2) | instid1(VALU_DEP_2)
	v_pk_fma_f32 v[114:115], v[80:81], v[84:85], v[100:101] op_sel:[0,0,1] op_sel_hi:[1,1,0] neg_lo:[0,0,1] neg_hi:[0,0,1]
	v_pk_fma_f32 v[80:81], v[80:81], v[84:85], v[100:101] op_sel:[0,0,1] op_sel_hi:[1,0,0]
	v_dual_mul_f32 v100, v83, v97 :: v_dual_mov_b32 v80, v83
	v_dual_mov_b32 v115, v81 :: v_dual_mov_b32 v81, v82
	s_delay_alu instid0(VALU_DEP_2) | instskip(SKIP_1) | instid1(VALU_DEP_3)
	v_pk_fma_f32 v[100:101], v[82:83], v[194:195], v[100:101] op_sel_hi:[1,1,0] neg_lo:[0,0,1] neg_hi:[0,0,1]
	v_mul_f32_e32 v82, v83, v84
	v_pk_add_f32 v[196:197], v[196:197], v[114:115] neg_lo:[0,1] neg_hi:[0,1]
	s_delay_alu instid0(VALU_DEP_2) | instskip(NEXT) | instid1(VALU_DEP_1)
	v_pk_fma_f32 v[80:81], v[80:81], v[194:195], v[82:83] op_sel_hi:[1,1,0]
	v_mov_b32_e32 v101, v81
	ds_load_b64 v[80:81], v104 offset:400
	v_pk_add_f32 v[202:203], v[202:203], v[100:101] neg_lo:[0,1] neg_hi:[0,1]
	s_wait_dscnt 0x0
	v_pk_mul_f32 v[82:83], v[80:81], v[96:97] op_sel:[0,1]
	s_delay_alu instid0(VALU_DEP_1) | instskip(SKIP_1) | instid1(VALU_DEP_1)
	v_pk_fma_f32 v[96:97], v[80:81], v[84:85], v[82:83] op_sel:[0,0,1] op_sel_hi:[1,1,0] neg_lo:[0,0,1] neg_hi:[0,0,1]
	v_pk_fma_f32 v[80:81], v[80:81], v[84:85], v[82:83] op_sel:[0,0,1] op_sel_hi:[1,0,0]
	v_mov_b32_e32 v97, v81
	s_delay_alu instid0(VALU_DEP_1)
	v_pk_add_f32 v[204:205], v[204:205], v[96:97] neg_lo:[0,1] neg_hi:[0,1]
.LBB101_415:
	s_or_b32 exec_lo, exec_lo, s1
	s_delay_alu instid0(SALU_CYCLE_1)
	s_mov_b32 s2, exec_lo
	s_wait_dscnt 0x0
	s_barrier_signal -1
	s_barrier_wait -1
	v_cmpx_eq_u32_e32 46, v102
	s_cbranch_execz .LBB101_422
; %bb.416:
	ds_store_b64 v103, v[198:199]
	ds_store_2addr_b64 v104, v[192:193], v[196:197] offset0:47 offset1:48
	ds_store_2addr_b64 v104, v[202:203], v[204:205] offset0:49 offset1:50
	ds_load_b64 v[80:81], v103
	s_wait_dscnt 0x0
	v_cmp_neq_f32_e32 vcc_lo, 0, v80
	v_cmp_neq_f32_e64 s1, 0, v81
	s_or_b32 s1, vcc_lo, s1
	s_delay_alu instid0(SALU_CYCLE_1)
	s_and_b32 exec_lo, exec_lo, s1
	s_cbranch_execz .LBB101_422
; %bb.417:
	v_cmp_ngt_f32_e64 s1, |v80|, |v81|
                                        ; implicit-def: $vgpr82_vgpr83
	s_and_saveexec_b32 s4, s1
	s_delay_alu instid0(SALU_CYCLE_1)
	s_xor_b32 s1, exec_lo, s4
	s_cbranch_execz .LBB101_419
; %bb.418:
	v_div_scale_f32 v82, null, v81, v81, v80
	v_div_scale_f32 v85, vcc_lo, v80, v81, v80
	s_delay_alu instid0(VALU_DEP_2) | instskip(SKIP_1) | instid1(TRANS32_DEP_1)
	v_rcp_f32_e32 v83, v82
	v_nop
	v_fma_f32 v84, -v82, v83, 1.0
	s_delay_alu instid0(VALU_DEP_1) | instskip(NEXT) | instid1(VALU_DEP_1)
	v_fmac_f32_e32 v83, v84, v83
	v_mul_f32_e32 v84, v85, v83
	s_delay_alu instid0(VALU_DEP_1) | instskip(NEXT) | instid1(VALU_DEP_1)
	v_fma_f32 v96, -v82, v84, v85
	v_fmac_f32_e32 v84, v96, v83
	s_delay_alu instid0(VALU_DEP_1) | instskip(NEXT) | instid1(VALU_DEP_1)
	v_fma_f32 v82, -v82, v84, v85
	v_div_fmas_f32 v82, v82, v83, v84
	s_delay_alu instid0(VALU_DEP_1) | instskip(NEXT) | instid1(VALU_DEP_1)
	v_div_fixup_f32 v82, v82, v81, v80
	v_fmac_f32_e32 v81, v80, v82
	s_delay_alu instid0(VALU_DEP_1) | instskip(SKIP_1) | instid1(VALU_DEP_2)
	v_div_scale_f32 v80, null, v81, v81, 1.0
	v_div_scale_f32 v85, vcc_lo, 1.0, v81, 1.0
	v_rcp_f32_e32 v83, v80
	v_nop
	s_delay_alu instid0(TRANS32_DEP_1) | instskip(NEXT) | instid1(VALU_DEP_1)
	v_fma_f32 v84, -v80, v83, 1.0
	v_fmac_f32_e32 v83, v84, v83
	s_delay_alu instid0(VALU_DEP_1) | instskip(NEXT) | instid1(VALU_DEP_1)
	v_mul_f32_e32 v84, v85, v83
	v_fma_f32 v96, -v80, v84, v85
	s_delay_alu instid0(VALU_DEP_1) | instskip(NEXT) | instid1(VALU_DEP_1)
	v_fmac_f32_e32 v84, v96, v83
	v_fma_f32 v80, -v80, v84, v85
	s_delay_alu instid0(VALU_DEP_1) | instskip(NEXT) | instid1(VALU_DEP_1)
	v_div_fmas_f32 v80, v80, v83, v84
	v_div_fixup_f32 v80, v80, v81, 1.0
	s_delay_alu instid0(VALU_DEP_1)
	v_mul_f32_e32 v82, v82, v80
	v_xor_b32_e32 v83, 0x80000000, v80
                                        ; implicit-def: $vgpr80_vgpr81
.LBB101_419:
	s_and_not1_saveexec_b32 s1, s1
	s_cbranch_execz .LBB101_421
; %bb.420:
	v_div_scale_f32 v82, null, v80, v80, v81
	v_div_scale_f32 v85, vcc_lo, v81, v80, v81
	s_delay_alu instid0(VALU_DEP_2) | instskip(SKIP_1) | instid1(TRANS32_DEP_1)
	v_rcp_f32_e32 v83, v82
	v_nop
	v_fma_f32 v84, -v82, v83, 1.0
	s_delay_alu instid0(VALU_DEP_1) | instskip(NEXT) | instid1(VALU_DEP_1)
	v_fmac_f32_e32 v83, v84, v83
	v_mul_f32_e32 v84, v85, v83
	s_delay_alu instid0(VALU_DEP_1) | instskip(NEXT) | instid1(VALU_DEP_1)
	v_fma_f32 v96, -v82, v84, v85
	v_fmac_f32_e32 v84, v96, v83
	s_delay_alu instid0(VALU_DEP_1) | instskip(NEXT) | instid1(VALU_DEP_1)
	v_fma_f32 v82, -v82, v84, v85
	v_div_fmas_f32 v82, v82, v83, v84
	s_delay_alu instid0(VALU_DEP_1) | instskip(NEXT) | instid1(VALU_DEP_1)
	v_div_fixup_f32 v83, v82, v80, v81
	v_fmac_f32_e32 v80, v81, v83
	s_delay_alu instid0(VALU_DEP_1) | instskip(NEXT) | instid1(VALU_DEP_1)
	v_div_scale_f32 v81, null, v80, v80, 1.0
	v_rcp_f32_e32 v82, v81
	v_nop
	s_delay_alu instid0(TRANS32_DEP_1) | instskip(NEXT) | instid1(VALU_DEP_1)
	v_fma_f32 v84, -v81, v82, 1.0
	v_fmac_f32_e32 v82, v84, v82
	v_div_scale_f32 v84, vcc_lo, 1.0, v80, 1.0
	s_delay_alu instid0(VALU_DEP_1) | instskip(NEXT) | instid1(VALU_DEP_1)
	v_mul_f32_e32 v85, v84, v82
	v_fma_f32 v96, -v81, v85, v84
	s_delay_alu instid0(VALU_DEP_1) | instskip(NEXT) | instid1(VALU_DEP_1)
	v_fmac_f32_e32 v85, v96, v82
	v_fma_f32 v81, -v81, v85, v84
	s_delay_alu instid0(VALU_DEP_1) | instskip(NEXT) | instid1(VALU_DEP_1)
	v_div_fmas_f32 v81, v81, v82, v85
	v_div_fixup_f32 v82, v81, v80, 1.0
	s_delay_alu instid0(VALU_DEP_1)
	v_mul_f32_e64 v83, v83, -v82
.LBB101_421:
	s_or_b32 exec_lo, exec_lo, s1
	ds_store_b64 v103, v[82:83]
.LBB101_422:
	s_or_b32 exec_lo, exec_lo, s2
	s_wait_dscnt 0x0
	s_barrier_signal -1
	s_barrier_wait -1
	ds_load_b64 v[82:83], v103
	s_mov_b32 s1, exec_lo
	v_cmpx_lt_u32_e32 46, v102
	s_cbranch_execz .LBB101_424
; %bb.423:
	ds_load_2addr_b64 v[114:117], v104 offset0:47 offset1:48
	s_wait_dscnt 0x1
	v_pk_mul_f32 v[80:81], v[82:83], v[198:199] op_sel:[1,1] op_sel_hi:[0,1]
	s_delay_alu instid0(VALU_DEP_1) | instskip(SKIP_1) | instid1(VALU_DEP_1)
	v_pk_fma_f32 v[84:85], v[82:83], v[198:199], v[80:81] op_sel_hi:[1,0,1] neg_lo:[0,0,1] neg_hi:[0,0,1]
	v_pk_fma_f32 v[80:81], v[82:83], v[198:199], v[80:81] op_sel_hi:[1,0,1]
	v_dual_mov_b32 v198, v84 :: v_dual_mov_b32 v199, v81
	s_wait_dscnt 0x0
	s_delay_alu instid0(VALU_DEP_2) | instskip(NEXT) | instid1(VALU_DEP_1)
	v_pk_mul_f32 v[96:97], v[114:115], v[80:81] op_sel:[0,1]
	v_pk_fma_f32 v[100:101], v[114:115], v[84:85], v[96:97] op_sel:[0,0,1] op_sel_hi:[1,1,0] neg_lo:[0,0,1] neg_hi:[0,0,1]
	v_pk_fma_f32 v[96:97], v[114:115], v[84:85], v[96:97] op_sel:[0,0,1] op_sel_hi:[1,0,0]
	s_delay_alu instid0(VALU_DEP_1) | instskip(SKIP_1) | instid1(VALU_DEP_2)
	v_mov_b32_e32 v101, v97
	v_pk_mul_f32 v[96:97], v[116:117], v[80:81] op_sel:[0,1]
	v_pk_add_f32 v[192:193], v[192:193], v[100:101] neg_lo:[0,1] neg_hi:[0,1]
	s_delay_alu instid0(VALU_DEP_2) | instskip(SKIP_3) | instid1(VALU_DEP_1)
	v_pk_fma_f32 v[100:101], v[116:117], v[84:85], v[96:97] op_sel:[0,0,1] op_sel_hi:[1,1,0] neg_lo:[0,0,1] neg_hi:[0,0,1]
	v_pk_fma_f32 v[96:97], v[116:117], v[84:85], v[96:97] op_sel:[0,0,1] op_sel_hi:[1,0,0]
	ds_load_2addr_b64 v[114:117], v104 offset0:49 offset1:50
	v_mov_b32_e32 v101, v97
	v_pk_add_f32 v[196:197], v[196:197], v[100:101] neg_lo:[0,1] neg_hi:[0,1]
	s_wait_dscnt 0x0
	v_pk_mul_f32 v[96:97], v[114:115], v[80:81] op_sel:[0,1]
	s_delay_alu instid0(VALU_DEP_1) | instskip(SKIP_1) | instid1(VALU_DEP_1)
	v_pk_fma_f32 v[100:101], v[114:115], v[84:85], v[96:97] op_sel:[0,0,1] op_sel_hi:[1,1,0] neg_lo:[0,0,1] neg_hi:[0,0,1]
	v_pk_fma_f32 v[96:97], v[114:115], v[84:85], v[96:97] op_sel:[0,0,1] op_sel_hi:[1,0,0]
	v_dual_mov_b32 v96, v117 :: v_dual_mov_b32 v101, v97
	v_mov_b32_e32 v97, v116
	s_delay_alu instid0(VALU_DEP_1) | instskip(NEXT) | instid1(VALU_DEP_1)
	v_pk_mul_f32 v[80:81], v[96:97], v[80:81] op_sel:[0,1]
	v_pk_fma_f32 v[96:97], v[116:117], v[84:85], v[80:81] neg_lo:[0,0,1] neg_hi:[0,0,1]
	v_pk_fma_f32 v[80:81], v[116:117], v[84:85], v[80:81] op_sel_hi:[1,0,1]
	s_delay_alu instid0(VALU_DEP_1) | instskip(SKIP_1) | instid1(VALU_DEP_2)
	v_mov_b32_e32 v97, v81
	v_pk_add_f32 v[202:203], v[202:203], v[100:101] neg_lo:[0,1] neg_hi:[0,1]
	v_pk_add_f32 v[204:205], v[204:205], v[96:97] neg_lo:[0,1] neg_hi:[0,1]
.LBB101_424:
	s_or_b32 exec_lo, exec_lo, s1
	s_delay_alu instid0(SALU_CYCLE_1)
	s_mov_b32 s2, exec_lo
	s_wait_dscnt 0x0
	s_barrier_signal -1
	s_barrier_wait -1
	v_cmpx_eq_u32_e32 47, v102
	s_cbranch_execz .LBB101_431
; %bb.425:
	v_dual_mov_b32 v80, v196 :: v_dual_mov_b32 v81, v197
	v_dual_mov_b32 v84, v202 :: v_dual_mov_b32 v85, v203
	ds_store_b64 v103, v[192:193]
	ds_store_2addr_b64 v104, v[80:81], v[84:85] offset0:48 offset1:49
	ds_store_b64 v104, v[204:205] offset:400
	ds_load_b64 v[80:81], v103
	s_wait_dscnt 0x0
	v_cmp_neq_f32_e32 vcc_lo, 0, v80
	v_cmp_neq_f32_e64 s1, 0, v81
	s_or_b32 s1, vcc_lo, s1
	s_delay_alu instid0(SALU_CYCLE_1)
	s_and_b32 exec_lo, exec_lo, s1
	s_cbranch_execz .LBB101_431
; %bb.426:
	v_cmp_ngt_f32_e64 s1, |v80|, |v81|
                                        ; implicit-def: $vgpr84_vgpr85
	s_and_saveexec_b32 s4, s1
	s_delay_alu instid0(SALU_CYCLE_1)
	s_xor_b32 s1, exec_lo, s4
	s_cbranch_execz .LBB101_428
; %bb.427:
	v_div_scale_f32 v84, null, v81, v81, v80
	v_div_scale_f32 v97, vcc_lo, v80, v81, v80
	s_delay_alu instid0(VALU_DEP_2) | instskip(SKIP_1) | instid1(TRANS32_DEP_1)
	v_rcp_f32_e32 v85, v84
	v_nop
	v_fma_f32 v96, -v84, v85, 1.0
	s_delay_alu instid0(VALU_DEP_1) | instskip(NEXT) | instid1(VALU_DEP_1)
	v_fmac_f32_e32 v85, v96, v85
	v_mul_f32_e32 v96, v97, v85
	s_delay_alu instid0(VALU_DEP_1) | instskip(NEXT) | instid1(VALU_DEP_1)
	v_fma_f32 v100, -v84, v96, v97
	v_fmac_f32_e32 v96, v100, v85
	s_delay_alu instid0(VALU_DEP_1) | instskip(NEXT) | instid1(VALU_DEP_1)
	v_fma_f32 v84, -v84, v96, v97
	v_div_fmas_f32 v84, v84, v85, v96
	s_delay_alu instid0(VALU_DEP_1) | instskip(NEXT) | instid1(VALU_DEP_1)
	v_div_fixup_f32 v84, v84, v81, v80
	v_fmac_f32_e32 v81, v80, v84
	s_delay_alu instid0(VALU_DEP_1) | instskip(SKIP_1) | instid1(VALU_DEP_2)
	v_div_scale_f32 v80, null, v81, v81, 1.0
	v_div_scale_f32 v97, vcc_lo, 1.0, v81, 1.0
	v_rcp_f32_e32 v85, v80
	v_nop
	s_delay_alu instid0(TRANS32_DEP_1) | instskip(NEXT) | instid1(VALU_DEP_1)
	v_fma_f32 v96, -v80, v85, 1.0
	v_fmac_f32_e32 v85, v96, v85
	s_delay_alu instid0(VALU_DEP_1) | instskip(NEXT) | instid1(VALU_DEP_1)
	v_mul_f32_e32 v96, v97, v85
	v_fma_f32 v100, -v80, v96, v97
	s_delay_alu instid0(VALU_DEP_1) | instskip(NEXT) | instid1(VALU_DEP_1)
	v_fmac_f32_e32 v96, v100, v85
	v_fma_f32 v80, -v80, v96, v97
	s_delay_alu instid0(VALU_DEP_1) | instskip(NEXT) | instid1(VALU_DEP_1)
	v_div_fmas_f32 v80, v80, v85, v96
	v_div_fixup_f32 v80, v80, v81, 1.0
	s_delay_alu instid0(VALU_DEP_1)
	v_mul_f32_e32 v84, v84, v80
	v_xor_b32_e32 v85, 0x80000000, v80
                                        ; implicit-def: $vgpr80_vgpr81
.LBB101_428:
	s_and_not1_saveexec_b32 s1, s1
	s_cbranch_execz .LBB101_430
; %bb.429:
	v_div_scale_f32 v84, null, v80, v80, v81
	v_div_scale_f32 v97, vcc_lo, v81, v80, v81
	s_delay_alu instid0(VALU_DEP_2) | instskip(SKIP_1) | instid1(TRANS32_DEP_1)
	v_rcp_f32_e32 v85, v84
	v_nop
	v_fma_f32 v96, -v84, v85, 1.0
	s_delay_alu instid0(VALU_DEP_1) | instskip(NEXT) | instid1(VALU_DEP_1)
	v_fmac_f32_e32 v85, v96, v85
	v_mul_f32_e32 v96, v97, v85
	s_delay_alu instid0(VALU_DEP_1) | instskip(NEXT) | instid1(VALU_DEP_1)
	v_fma_f32 v100, -v84, v96, v97
	v_fmac_f32_e32 v96, v100, v85
	s_delay_alu instid0(VALU_DEP_1) | instskip(NEXT) | instid1(VALU_DEP_1)
	v_fma_f32 v84, -v84, v96, v97
	v_div_fmas_f32 v84, v84, v85, v96
	s_delay_alu instid0(VALU_DEP_1) | instskip(NEXT) | instid1(VALU_DEP_1)
	v_div_fixup_f32 v85, v84, v80, v81
	v_fmac_f32_e32 v80, v81, v85
	s_delay_alu instid0(VALU_DEP_1) | instskip(NEXT) | instid1(VALU_DEP_1)
	v_div_scale_f32 v81, null, v80, v80, 1.0
	v_rcp_f32_e32 v84, v81
	v_nop
	s_delay_alu instid0(TRANS32_DEP_1) | instskip(NEXT) | instid1(VALU_DEP_1)
	v_fma_f32 v96, -v81, v84, 1.0
	v_fmac_f32_e32 v84, v96, v84
	v_div_scale_f32 v96, vcc_lo, 1.0, v80, 1.0
	s_delay_alu instid0(VALU_DEP_1) | instskip(NEXT) | instid1(VALU_DEP_1)
	v_mul_f32_e32 v97, v96, v84
	v_fma_f32 v100, -v81, v97, v96
	s_delay_alu instid0(VALU_DEP_1) | instskip(NEXT) | instid1(VALU_DEP_1)
	v_fmac_f32_e32 v97, v100, v84
	v_fma_f32 v81, -v81, v97, v96
	s_delay_alu instid0(VALU_DEP_1) | instskip(NEXT) | instid1(VALU_DEP_1)
	v_div_fmas_f32 v81, v81, v84, v97
	v_div_fixup_f32 v84, v81, v80, 1.0
	s_delay_alu instid0(VALU_DEP_1)
	v_mul_f32_e64 v85, v85, -v84
.LBB101_430:
	s_or_b32 exec_lo, exec_lo, s1
	ds_store_b64 v103, v[84:85]
.LBB101_431:
	s_or_b32 exec_lo, exec_lo, s2
	s_wait_dscnt 0x0
	s_barrier_signal -1
	s_barrier_wait -1
	ds_load_b64 v[84:85], v103
	s_mov_b32 s1, exec_lo
	v_cmpx_lt_u32_e32 47, v102
	s_cbranch_execz .LBB101_433
; %bb.432:
	ds_load_2addr_b64 v[114:117], v104 offset0:48 offset1:49
	s_wait_dscnt 0x1
	v_pk_mul_f32 v[80:81], v[84:85], v[192:193] op_sel:[1,1] op_sel_hi:[0,1]
	s_delay_alu instid0(VALU_DEP_1) | instskip(SKIP_1) | instid1(VALU_DEP_1)
	v_pk_fma_f32 v[96:97], v[84:85], v[192:193], v[80:81] op_sel_hi:[1,0,1] neg_lo:[0,0,1] neg_hi:[0,0,1]
	v_pk_fma_f32 v[80:81], v[84:85], v[192:193], v[80:81] op_sel_hi:[1,0,1]
	v_dual_mov_b32 v192, v96 :: v_dual_mov_b32 v193, v81
	s_wait_dscnt 0x0
	s_delay_alu instid0(VALU_DEP_2) | instskip(NEXT) | instid1(VALU_DEP_1)
	v_pk_mul_f32 v[100:101], v[114:115], v[80:81] op_sel:[0,1]
	v_pk_fma_f32 v[118:119], v[114:115], v[96:97], v[100:101] op_sel:[0,0,1] op_sel_hi:[1,1,0] neg_lo:[0,0,1] neg_hi:[0,0,1]
	v_pk_fma_f32 v[100:101], v[114:115], v[96:97], v[100:101] op_sel:[0,0,1] op_sel_hi:[1,0,0]
	s_delay_alu instid0(VALU_DEP_1) | instskip(SKIP_1) | instid1(VALU_DEP_1)
	v_mov_b32_e32 v119, v101
	v_pk_mul_f32 v[100:101], v[116:117], v[80:81] op_sel:[0,1]
	v_pk_fma_f32 v[114:115], v[116:117], v[96:97], v[100:101] op_sel:[0,0,1] op_sel_hi:[1,1,0] neg_lo:[0,0,1] neg_hi:[0,0,1]
	v_pk_fma_f32 v[100:101], v[116:117], v[96:97], v[100:101] op_sel:[0,0,1] op_sel_hi:[1,0,0]
	s_delay_alu instid0(VALU_DEP_1)
	v_mov_b32_e32 v115, v101
	ds_load_b64 v[100:101], v104 offset:400
	v_pk_add_f32 v[196:197], v[196:197], v[118:119] neg_lo:[0,1] neg_hi:[0,1]
	v_pk_add_f32 v[202:203], v[202:203], v[114:115] neg_lo:[0,1] neg_hi:[0,1]
	s_wait_dscnt 0x0
	v_pk_mul_f32 v[80:81], v[100:101], v[80:81] op_sel:[1,1] op_sel_hi:[0,1]
	s_delay_alu instid0(VALU_DEP_1) | instskip(SKIP_1) | instid1(VALU_DEP_1)
	v_pk_fma_f32 v[114:115], v[100:101], v[96:97], v[80:81] neg_lo:[0,0,1] neg_hi:[0,0,1]
	v_pk_fma_f32 v[80:81], v[100:101], v[96:97], v[80:81] op_sel_hi:[1,0,1]
	v_mov_b32_e32 v115, v81
	s_delay_alu instid0(VALU_DEP_1)
	v_pk_add_f32 v[204:205], v[204:205], v[114:115] neg_lo:[0,1] neg_hi:[0,1]
.LBB101_433:
	s_or_b32 exec_lo, exec_lo, s1
	s_delay_alu instid0(SALU_CYCLE_1)
	s_mov_b32 s2, exec_lo
	s_wait_dscnt 0x0
	s_barrier_signal -1
	s_barrier_wait -1
	v_cmpx_eq_u32_e32 48, v102
	s_cbranch_execz .LBB101_440
; %bb.434:
	ds_store_b64 v103, v[196:197]
	ds_store_2addr_b64 v104, v[202:203], v[204:205] offset0:49 offset1:50
	ds_load_b64 v[80:81], v103
	s_wait_dscnt 0x0
	v_cmp_neq_f32_e32 vcc_lo, 0, v80
	v_cmp_neq_f32_e64 s1, 0, v81
	s_or_b32 s1, vcc_lo, s1
	s_delay_alu instid0(SALU_CYCLE_1)
	s_and_b32 exec_lo, exec_lo, s1
	s_cbranch_execz .LBB101_440
; %bb.435:
	v_cmp_ngt_f32_e64 s1, |v80|, |v81|
                                        ; implicit-def: $vgpr96_vgpr97
	s_and_saveexec_b32 s4, s1
	s_delay_alu instid0(SALU_CYCLE_1)
	s_xor_b32 s1, exec_lo, s4
	s_cbranch_execz .LBB101_437
; %bb.436:
	v_div_scale_f32 v96, null, v81, v81, v80
	v_div_scale_f32 v101, vcc_lo, v80, v81, v80
	s_delay_alu instid0(VALU_DEP_2) | instskip(SKIP_1) | instid1(TRANS32_DEP_1)
	v_rcp_f32_e32 v97, v96
	v_nop
	v_fma_f32 v100, -v96, v97, 1.0
	s_delay_alu instid0(VALU_DEP_1) | instskip(NEXT) | instid1(VALU_DEP_1)
	v_fmac_f32_e32 v97, v100, v97
	v_mul_f32_e32 v100, v101, v97
	s_delay_alu instid0(VALU_DEP_1) | instskip(NEXT) | instid1(VALU_DEP_1)
	v_fma_f32 v105, -v96, v100, v101
	v_fmac_f32_e32 v100, v105, v97
	s_delay_alu instid0(VALU_DEP_1) | instskip(NEXT) | instid1(VALU_DEP_1)
	v_fma_f32 v96, -v96, v100, v101
	v_div_fmas_f32 v96, v96, v97, v100
	s_delay_alu instid0(VALU_DEP_1) | instskip(NEXT) | instid1(VALU_DEP_1)
	v_div_fixup_f32 v96, v96, v81, v80
	v_fmac_f32_e32 v81, v80, v96
	s_delay_alu instid0(VALU_DEP_1) | instskip(SKIP_1) | instid1(VALU_DEP_2)
	v_div_scale_f32 v80, null, v81, v81, 1.0
	v_div_scale_f32 v101, vcc_lo, 1.0, v81, 1.0
	v_rcp_f32_e32 v97, v80
	v_nop
	s_delay_alu instid0(TRANS32_DEP_1) | instskip(NEXT) | instid1(VALU_DEP_1)
	v_fma_f32 v100, -v80, v97, 1.0
	v_fmac_f32_e32 v97, v100, v97
	s_delay_alu instid0(VALU_DEP_1) | instskip(NEXT) | instid1(VALU_DEP_1)
	v_mul_f32_e32 v100, v101, v97
	v_fma_f32 v105, -v80, v100, v101
	s_delay_alu instid0(VALU_DEP_1) | instskip(NEXT) | instid1(VALU_DEP_1)
	v_fmac_f32_e32 v100, v105, v97
	v_fma_f32 v80, -v80, v100, v101
	s_delay_alu instid0(VALU_DEP_1) | instskip(NEXT) | instid1(VALU_DEP_1)
	v_div_fmas_f32 v80, v80, v97, v100
	v_div_fixup_f32 v80, v80, v81, 1.0
	s_delay_alu instid0(VALU_DEP_1)
	v_mul_f32_e32 v96, v96, v80
	v_xor_b32_e32 v97, 0x80000000, v80
                                        ; implicit-def: $vgpr80_vgpr81
.LBB101_437:
	s_and_not1_saveexec_b32 s1, s1
	s_cbranch_execz .LBB101_439
; %bb.438:
	v_div_scale_f32 v96, null, v80, v80, v81
	v_div_scale_f32 v101, vcc_lo, v81, v80, v81
	s_delay_alu instid0(VALU_DEP_2) | instskip(SKIP_1) | instid1(TRANS32_DEP_1)
	v_rcp_f32_e32 v97, v96
	v_nop
	v_fma_f32 v100, -v96, v97, 1.0
	s_delay_alu instid0(VALU_DEP_1) | instskip(NEXT) | instid1(VALU_DEP_1)
	v_fmac_f32_e32 v97, v100, v97
	v_mul_f32_e32 v100, v101, v97
	s_delay_alu instid0(VALU_DEP_1) | instskip(NEXT) | instid1(VALU_DEP_1)
	v_fma_f32 v105, -v96, v100, v101
	v_fmac_f32_e32 v100, v105, v97
	s_delay_alu instid0(VALU_DEP_1) | instskip(NEXT) | instid1(VALU_DEP_1)
	v_fma_f32 v96, -v96, v100, v101
	v_div_fmas_f32 v96, v96, v97, v100
	s_delay_alu instid0(VALU_DEP_1) | instskip(NEXT) | instid1(VALU_DEP_1)
	v_div_fixup_f32 v97, v96, v80, v81
	v_fmac_f32_e32 v80, v81, v97
	s_delay_alu instid0(VALU_DEP_1) | instskip(NEXT) | instid1(VALU_DEP_1)
	v_div_scale_f32 v81, null, v80, v80, 1.0
	v_rcp_f32_e32 v96, v81
	v_nop
	s_delay_alu instid0(TRANS32_DEP_1) | instskip(NEXT) | instid1(VALU_DEP_1)
	v_fma_f32 v100, -v81, v96, 1.0
	v_fmac_f32_e32 v96, v100, v96
	v_div_scale_f32 v100, vcc_lo, 1.0, v80, 1.0
	s_delay_alu instid0(VALU_DEP_1) | instskip(NEXT) | instid1(VALU_DEP_1)
	v_mul_f32_e32 v101, v100, v96
	v_fma_f32 v105, -v81, v101, v100
	s_delay_alu instid0(VALU_DEP_1) | instskip(NEXT) | instid1(VALU_DEP_1)
	v_fmac_f32_e32 v101, v105, v96
	v_fma_f32 v81, -v81, v101, v100
	s_delay_alu instid0(VALU_DEP_1) | instskip(NEXT) | instid1(VALU_DEP_1)
	v_div_fmas_f32 v81, v81, v96, v101
	v_div_fixup_f32 v96, v81, v80, 1.0
	s_delay_alu instid0(VALU_DEP_1)
	v_mul_f32_e64 v97, v97, -v96
.LBB101_439:
	s_or_b32 exec_lo, exec_lo, s1
	ds_store_b64 v103, v[96:97]
.LBB101_440:
	s_or_b32 exec_lo, exec_lo, s2
	s_wait_dscnt 0x0
	s_barrier_signal -1
	s_barrier_wait -1
	ds_load_b64 v[96:97], v103
	s_mov_b32 s1, exec_lo
	v_cmpx_lt_u32_e32 48, v102
	s_cbranch_execz .LBB101_442
; %bb.441:
	ds_load_2addr_b64 v[114:117], v104 offset0:49 offset1:50
	s_wait_dscnt 0x1
	v_pk_mul_f32 v[80:81], v[96:97], v[196:197] op_sel:[1,1] op_sel_hi:[0,1]
	v_mov_b64_e32 v[0:1], v[254:255]
	v_mov_b64_e32 v[254:255], v[252:253]
	;; [unrolled: 1-line block ×4, first 2 shown]
	v_pk_fma_f32 v[100:101], v[96:97], v[196:197], v[80:81] op_sel_hi:[1,0,1] neg_lo:[0,0,1] neg_hi:[0,0,1]
	v_pk_fma_f32 v[80:81], v[96:97], v[196:197], v[80:81] op_sel_hi:[1,0,1]
	v_mov_b64_e32 v[248:249], v[246:247]
	v_mov_b64_e32 v[246:247], v[244:245]
	;; [unrolled: 1-line block ×12, first 2 shown]
	s_wait_dscnt 0x0
	v_pk_mul_f32 v[118:119], v[114:115], v[80:81] op_sel:[0,1]
	v_mov_b64_e32 v[226:227], v[224:225]
	v_mov_b64_e32 v[224:225], v[222:223]
	;; [unrolled: 1-line block ×30, first 2 shown]
	v_pk_fma_f32 v[120:121], v[114:115], v[100:101], v[118:119] op_sel:[0,0,1] op_sel_hi:[1,1,0] neg_lo:[0,0,1] neg_hi:[0,0,1]
	v_pk_fma_f32 v[114:115], v[114:115], v[100:101], v[118:119] op_sel:[0,0,1] op_sel_hi:[1,0,0]
	v_dual_mov_b32 v114, v117 :: v_dual_mov_b32 v196, v100
	s_delay_alu instid0(VALU_DEP_2) | instskip(SKIP_1) | instid1(VALU_DEP_2)
	v_dual_mov_b32 v197, v81 :: v_dual_mov_b32 v121, v115
	v_mov_b32_e32 v115, v116
	v_pk_add_f32 v[202:203], v[202:203], v[120:121] neg_lo:[0,1] neg_hi:[0,1]
	s_delay_alu instid0(VALU_DEP_2)
	v_pk_mul_f32 v[80:81], v[114:115], v[80:81] op_sel:[0,1]
	v_mov_b64_e32 v[120:121], v[130:131]
	v_mov_b64_e32 v[130:131], v[132:133]
	v_mov_b64_e32 v[132:133], v[134:135]
	v_mov_b64_e32 v[134:135], v[136:137]
	v_pk_fma_f32 v[114:115], v[116:117], v[100:101], v[80:81] neg_lo:[0,0,1] neg_hi:[0,0,1]
	v_pk_fma_f32 v[80:81], v[116:117], v[100:101], v[80:81] op_sel_hi:[1,0,1]
	v_mov_b64_e32 v[136:137], v[148:149]
	v_mov_b64_e32 v[148:149], v[150:151]
	;; [unrolled: 1-line block ×4, first 2 shown]
	v_mov_b32_e32 v115, v81
	v_mov_b64_e32 v[154:155], v[164:165]
	v_mov_b64_e32 v[164:165], v[166:167]
	;; [unrolled: 1-line block ×38, first 2 shown]
	v_pk_add_f32 v[204:205], v[204:205], v[114:115] neg_lo:[0,1] neg_hi:[0,1]
.LBB101_442:
	s_or_b32 exec_lo, exec_lo, s1
	s_delay_alu instid0(SALU_CYCLE_1)
	s_mov_b32 s2, exec_lo
	s_wait_dscnt 0x0
	s_barrier_signal -1
	s_barrier_wait -1
	v_cmpx_eq_u32_e32 49, v102
	s_cbranch_execz .LBB101_449
; %bb.443:
	ds_store_b64 v103, v[202:203]
	ds_store_b64 v104, v[204:205] offset:400
	ds_load_b64 v[80:81], v103
	s_wait_dscnt 0x0
	v_cmp_neq_f32_e32 vcc_lo, 0, v80
	v_cmp_neq_f32_e64 s1, 0, v81
	s_or_b32 s1, vcc_lo, s1
	s_delay_alu instid0(SALU_CYCLE_1)
	s_and_b32 exec_lo, exec_lo, s1
	s_cbranch_execz .LBB101_449
; %bb.444:
	v_cmp_ngt_f32_e64 s1, |v80|, |v81|
                                        ; implicit-def: $vgpr100_vgpr101
	s_and_saveexec_b32 s4, s1
	s_delay_alu instid0(SALU_CYCLE_1)
	s_xor_b32 s1, exec_lo, s4
	s_cbranch_execz .LBB101_446
; %bb.445:
	v_div_scale_f32 v100, null, v81, v81, v80
	v_div_scale_f32 v114, vcc_lo, v80, v81, v80
	s_delay_alu instid0(VALU_DEP_2) | instskip(SKIP_1) | instid1(TRANS32_DEP_1)
	v_rcp_f32_e32 v101, v100
	v_nop
	v_fma_f32 v105, -v100, v101, 1.0
	s_delay_alu instid0(VALU_DEP_1) | instskip(NEXT) | instid1(VALU_DEP_1)
	v_fmac_f32_e32 v101, v105, v101
	v_mul_f32_e32 v105, v114, v101
	s_delay_alu instid0(VALU_DEP_1) | instskip(NEXT) | instid1(VALU_DEP_1)
	v_fma_f32 v115, -v100, v105, v114
	v_fmac_f32_e32 v105, v115, v101
	s_delay_alu instid0(VALU_DEP_1) | instskip(NEXT) | instid1(VALU_DEP_1)
	v_fma_f32 v100, -v100, v105, v114
	v_div_fmas_f32 v100, v100, v101, v105
	s_delay_alu instid0(VALU_DEP_1) | instskip(NEXT) | instid1(VALU_DEP_1)
	v_div_fixup_f32 v100, v100, v81, v80
	v_fmac_f32_e32 v81, v80, v100
	s_delay_alu instid0(VALU_DEP_1) | instskip(SKIP_1) | instid1(VALU_DEP_2)
	v_div_scale_f32 v80, null, v81, v81, 1.0
	v_div_scale_f32 v114, vcc_lo, 1.0, v81, 1.0
	v_rcp_f32_e32 v101, v80
	v_nop
	s_delay_alu instid0(TRANS32_DEP_1) | instskip(NEXT) | instid1(VALU_DEP_1)
	v_fma_f32 v105, -v80, v101, 1.0
	v_fmac_f32_e32 v101, v105, v101
	s_delay_alu instid0(VALU_DEP_1) | instskip(NEXT) | instid1(VALU_DEP_1)
	v_mul_f32_e32 v105, v114, v101
	v_fma_f32 v115, -v80, v105, v114
	s_delay_alu instid0(VALU_DEP_1) | instskip(NEXT) | instid1(VALU_DEP_1)
	v_fmac_f32_e32 v105, v115, v101
	v_fma_f32 v80, -v80, v105, v114
	s_delay_alu instid0(VALU_DEP_1) | instskip(NEXT) | instid1(VALU_DEP_1)
	v_div_fmas_f32 v80, v80, v101, v105
	v_div_fixup_f32 v80, v80, v81, 1.0
	s_delay_alu instid0(VALU_DEP_1)
	v_mul_f32_e32 v100, v100, v80
	v_xor_b32_e32 v101, 0x80000000, v80
                                        ; implicit-def: $vgpr80_vgpr81
.LBB101_446:
	s_and_not1_saveexec_b32 s1, s1
	s_cbranch_execz .LBB101_448
; %bb.447:
	v_div_scale_f32 v100, null, v80, v80, v81
	v_div_scale_f32 v114, vcc_lo, v81, v80, v81
	s_delay_alu instid0(VALU_DEP_2) | instskip(SKIP_1) | instid1(TRANS32_DEP_1)
	v_rcp_f32_e32 v101, v100
	v_nop
	v_fma_f32 v105, -v100, v101, 1.0
	s_delay_alu instid0(VALU_DEP_1) | instskip(NEXT) | instid1(VALU_DEP_1)
	v_fmac_f32_e32 v101, v105, v101
	v_mul_f32_e32 v105, v114, v101
	s_delay_alu instid0(VALU_DEP_1) | instskip(NEXT) | instid1(VALU_DEP_1)
	v_fma_f32 v115, -v100, v105, v114
	v_fmac_f32_e32 v105, v115, v101
	s_delay_alu instid0(VALU_DEP_1) | instskip(NEXT) | instid1(VALU_DEP_1)
	v_fma_f32 v100, -v100, v105, v114
	v_div_fmas_f32 v100, v100, v101, v105
	s_delay_alu instid0(VALU_DEP_1) | instskip(NEXT) | instid1(VALU_DEP_1)
	v_div_fixup_f32 v101, v100, v80, v81
	v_fmac_f32_e32 v80, v81, v101
	s_delay_alu instid0(VALU_DEP_1) | instskip(NEXT) | instid1(VALU_DEP_1)
	v_div_scale_f32 v81, null, v80, v80, 1.0
	v_rcp_f32_e32 v100, v81
	v_nop
	s_delay_alu instid0(TRANS32_DEP_1) | instskip(NEXT) | instid1(VALU_DEP_1)
	v_fma_f32 v105, -v81, v100, 1.0
	v_fmac_f32_e32 v100, v105, v100
	v_div_scale_f32 v105, vcc_lo, 1.0, v80, 1.0
	s_delay_alu instid0(VALU_DEP_1) | instskip(NEXT) | instid1(VALU_DEP_1)
	v_mul_f32_e32 v114, v105, v100
	v_fma_f32 v115, -v81, v114, v105
	s_delay_alu instid0(VALU_DEP_1) | instskip(NEXT) | instid1(VALU_DEP_1)
	v_fmac_f32_e32 v114, v115, v100
	v_fma_f32 v81, -v81, v114, v105
	s_delay_alu instid0(VALU_DEP_1) | instskip(NEXT) | instid1(VALU_DEP_1)
	v_div_fmas_f32 v81, v81, v100, v114
	v_div_fixup_f32 v100, v81, v80, 1.0
	s_delay_alu instid0(VALU_DEP_1)
	v_mul_f32_e64 v101, v101, -v100
.LBB101_448:
	s_or_b32 exec_lo, exec_lo, s1
	ds_store_b64 v103, v[100:101]
.LBB101_449:
	s_or_b32 exec_lo, exec_lo, s2
	s_wait_dscnt 0x0
	s_barrier_signal -1
	s_barrier_wait -1
	ds_load_b64 v[100:101], v103
	s_mov_b32 s1, exec_lo
	v_cmpx_lt_u32_e32 49, v102
	s_cbranch_execz .LBB101_451
; %bb.450:
	ds_load_b64 v[80:81], v104 offset:400
	s_wait_dscnt 0x1
	v_pk_mul_f32 v[104:105], v[100:101], v[202:203] op_sel:[1,1] op_sel_hi:[0,1]
	s_delay_alu instid0(VALU_DEP_1) | instskip(SKIP_2) | instid1(VALU_DEP_2)
	v_pk_fma_f32 v[114:115], v[100:101], v[202:203], v[104:105] op_sel_hi:[1,0,1]
	v_pk_fma_f32 v[202:203], v[100:101], v[202:203], v[104:105] op_sel_hi:[1,0,1] neg_lo:[0,0,1] neg_hi:[0,0,1]
	s_wait_dscnt 0x0
	v_pk_mul_f32 v[104:105], v[80:81], v[114:115] op_sel:[1,1] op_sel_hi:[0,1]
	s_delay_alu instid0(VALU_DEP_1) | instskip(SKIP_1) | instid1(VALU_DEP_2)
	v_pk_fma_f32 v[116:117], v[80:81], v[202:203], v[104:105] op_sel_hi:[1,0,1]
	v_pk_fma_f32 v[80:81], v[80:81], v[202:203], v[104:105] neg_lo:[0,0,1] neg_hi:[0,0,1]
	v_dual_mov_b32 v203, v115 :: v_dual_mov_b32 v81, v117
	s_delay_alu instid0(VALU_DEP_1)
	v_pk_add_f32 v[204:205], v[204:205], v[80:81] neg_lo:[0,1] neg_hi:[0,1]
.LBB101_451:
	s_or_b32 exec_lo, exec_lo, s1
	s_delay_alu instid0(SALU_CYCLE_1)
	s_mov_b32 s2, exec_lo
	s_wait_dscnt 0x0
	s_barrier_signal -1
	s_barrier_wait -1
	v_cmpx_eq_u32_e32 50, v102
	s_cbranch_execz .LBB101_458
; %bb.452:
	v_cmp_neq_f32_e32 vcc_lo, 0, v204
	v_cmp_neq_f32_e64 s1, 0, v205
	ds_store_b64 v103, v[204:205]
	s_or_b32 s1, vcc_lo, s1
	s_delay_alu instid0(SALU_CYCLE_1)
	s_and_b32 exec_lo, exec_lo, s1
	s_cbranch_execz .LBB101_458
; %bb.453:
	v_cmp_ngt_f32_e64 s1, |v204|, |v205|
                                        ; implicit-def: $vgpr80_vgpr81
	s_and_saveexec_b32 s4, s1
	s_delay_alu instid0(SALU_CYCLE_1)
	s_xor_b32 s1, exec_lo, s4
	s_cbranch_execz .LBB101_455
; %bb.454:
	v_div_scale_f32 v80, null, v205, v205, v204
	v_div_scale_f32 v105, vcc_lo, v204, v205, v204
	s_delay_alu instid0(VALU_DEP_2) | instskip(SKIP_1) | instid1(TRANS32_DEP_1)
	v_rcp_f32_e32 v81, v80
	v_nop
	v_fma_f32 v104, -v80, v81, 1.0
	s_delay_alu instid0(VALU_DEP_1) | instskip(NEXT) | instid1(VALU_DEP_1)
	v_fmac_f32_e32 v81, v104, v81
	v_mul_f32_e32 v104, v105, v81
	s_delay_alu instid0(VALU_DEP_1) | instskip(NEXT) | instid1(VALU_DEP_1)
	v_fma_f32 v114, -v80, v104, v105
	v_fmac_f32_e32 v104, v114, v81
	s_delay_alu instid0(VALU_DEP_1) | instskip(NEXT) | instid1(VALU_DEP_1)
	v_fma_f32 v80, -v80, v104, v105
	v_div_fmas_f32 v80, v80, v81, v104
	s_delay_alu instid0(VALU_DEP_1) | instskip(NEXT) | instid1(VALU_DEP_1)
	v_div_fixup_f32 v80, v80, v205, v204
	v_fma_f32 v81, v204, v80, v205
	s_delay_alu instid0(VALU_DEP_1) | instskip(SKIP_1) | instid1(VALU_DEP_2)
	v_div_scale_f32 v104, null, v81, v81, 1.0
	v_div_scale_f32 v115, vcc_lo, 1.0, v81, 1.0
	v_rcp_f32_e32 v105, v104
	v_nop
	s_delay_alu instid0(TRANS32_DEP_1) | instskip(NEXT) | instid1(VALU_DEP_1)
	v_fma_f32 v114, -v104, v105, 1.0
	v_fmac_f32_e32 v105, v114, v105
	s_delay_alu instid0(VALU_DEP_1) | instskip(NEXT) | instid1(VALU_DEP_1)
	v_mul_f32_e32 v114, v115, v105
	v_fma_f32 v116, -v104, v114, v115
	s_delay_alu instid0(VALU_DEP_1) | instskip(NEXT) | instid1(VALU_DEP_1)
	v_fmac_f32_e32 v114, v116, v105
	v_fma_f32 v104, -v104, v114, v115
	s_delay_alu instid0(VALU_DEP_1) | instskip(NEXT) | instid1(VALU_DEP_1)
	v_div_fmas_f32 v104, v104, v105, v114
	v_div_fixup_f32 v81, v104, v81, 1.0
	s_delay_alu instid0(VALU_DEP_1)
	v_mul_f32_e32 v80, v80, v81
	v_xor_b32_e32 v81, 0x80000000, v81
.LBB101_455:
	s_and_not1_saveexec_b32 s1, s1
	s_cbranch_execz .LBB101_457
; %bb.456:
	v_div_scale_f32 v80, null, v204, v204, v205
	v_div_scale_f32 v105, vcc_lo, v205, v204, v205
	s_delay_alu instid0(VALU_DEP_2) | instskip(SKIP_1) | instid1(TRANS32_DEP_1)
	v_rcp_f32_e32 v81, v80
	v_nop
	v_fma_f32 v104, -v80, v81, 1.0
	s_delay_alu instid0(VALU_DEP_1) | instskip(NEXT) | instid1(VALU_DEP_1)
	v_fmac_f32_e32 v81, v104, v81
	v_mul_f32_e32 v104, v105, v81
	s_delay_alu instid0(VALU_DEP_1) | instskip(NEXT) | instid1(VALU_DEP_1)
	v_fma_f32 v114, -v80, v104, v105
	v_fmac_f32_e32 v104, v114, v81
	s_delay_alu instid0(VALU_DEP_1) | instskip(NEXT) | instid1(VALU_DEP_1)
	v_fma_f32 v80, -v80, v104, v105
	v_div_fmas_f32 v80, v80, v81, v104
	s_delay_alu instid0(VALU_DEP_1) | instskip(NEXT) | instid1(VALU_DEP_1)
	v_div_fixup_f32 v81, v80, v204, v205
	v_fma_f32 v80, v205, v81, v204
	s_delay_alu instid0(VALU_DEP_1) | instskip(NEXT) | instid1(VALU_DEP_1)
	v_div_scale_f32 v104, null, v80, v80, 1.0
	v_rcp_f32_e32 v105, v104
	v_nop
	s_delay_alu instid0(TRANS32_DEP_1) | instskip(NEXT) | instid1(VALU_DEP_1)
	v_fma_f32 v114, -v104, v105, 1.0
	v_fmac_f32_e32 v105, v114, v105
	v_div_scale_f32 v114, vcc_lo, 1.0, v80, 1.0
	s_delay_alu instid0(VALU_DEP_1) | instskip(NEXT) | instid1(VALU_DEP_1)
	v_mul_f32_e32 v115, v114, v105
	v_fma_f32 v116, -v104, v115, v114
	s_delay_alu instid0(VALU_DEP_1) | instskip(NEXT) | instid1(VALU_DEP_1)
	v_fmac_f32_e32 v115, v116, v105
	v_fma_f32 v104, -v104, v115, v114
	s_delay_alu instid0(VALU_DEP_1) | instskip(NEXT) | instid1(VALU_DEP_1)
	v_div_fmas_f32 v104, v104, v105, v115
	v_div_fixup_f32 v80, v104, v80, 1.0
	s_delay_alu instid0(VALU_DEP_1)
	v_mul_f32_e64 v81, v81, -v80
.LBB101_457:
	s_or_b32 exec_lo, exec_lo, s1
	ds_store_b64 v103, v[80:81]
.LBB101_458:
	s_or_b32 exec_lo, exec_lo, s2
	s_wait_dscnt 0x0
	s_barrier_signal -1
	s_barrier_wait -1
	ds_load_b64 v[80:81], v103
	s_wait_dscnt 0x0
	s_barrier_signal -1
	s_barrier_wait -1
	s_and_saveexec_b32 s2, s0
	s_cbranch_execz .LBB101_461
; %bb.459:
	scratch_load_b64 v[0:1], off, off offset:48 th:TH_LOAD_LU ; 8-byte Folded Reload
	s_wait_loadcnt 0x0
	v_cmp_eq_f32_e32 vcc_lo, 0, v0
	v_cmp_eq_f32_e64 s0, 0, v1
	scratch_load_b64 v[0:1], off, off offset:56 th:TH_LOAD_LU ; 8-byte Folded Reload
	s_and_b32 s1, vcc_lo, s0
	s_delay_alu instid0(SALU_CYCLE_1)
	v_cndmask_b32_e64 v103, 0, 1, s1
	s_wait_loadcnt 0x0
	v_cmp_neq_f32_e32 vcc_lo, 0, v0
	v_cmp_neq_f32_e64 s0, 0, v1
	scratch_load_b64 v[0:1], off, off offset:64 th:TH_LOAD_LU ; 8-byte Folded Reload
	s_or_b32 s0, vcc_lo, s0
	s_delay_alu instid0(SALU_CYCLE_1)
	s_or_b32 vcc_lo, s0, s1
	v_cmp_eq_f32_e64 s1, 0, v81
	v_cndmask_b32_e32 v103, 2, v103, vcc_lo
	s_wait_loadcnt 0x0
	v_cmp_eq_f32_e32 vcc_lo, 0, v0
	v_cmp_eq_f32_e64 s0, 0, v1
	scratch_load_b64 v[0:1], off, off offset:72 th:TH_LOAD_LU ; 8-byte Folded Reload
	s_and_b32 s0, vcc_lo, s0
	v_cmp_eq_u32_e32 vcc_lo, 0, v103
	s_and_b32 s0, s0, vcc_lo
	s_delay_alu instid0(SALU_CYCLE_1)
	v_cndmask_b32_e64 v103, v103, 3, s0
	s_wait_loadcnt 0x0
	v_cmp_eq_f32_e32 vcc_lo, 0, v0
	v_cmp_eq_f32_e64 s0, 0, v1
	scratch_load_b64 v[0:1], off, off offset:80 th:TH_LOAD_LU ; 8-byte Folded Reload
	s_and_b32 s0, vcc_lo, s0
	v_cmp_eq_u32_e32 vcc_lo, 0, v103
	s_and_b32 s0, s0, vcc_lo
	s_delay_alu instid0(SALU_CYCLE_1)
	v_cndmask_b32_e64 v103, v103, 4, s0
	;; [unrolled: 9-line block ×23, first 2 shown]
	s_wait_loadcnt 0x0
	v_cmp_eq_f32_e32 vcc_lo, 0, v0
	v_cmp_eq_f32_e64 s0, 0, v1
	s_and_b32 s0, vcc_lo, s0
	v_cmp_eq_u32_e32 vcc_lo, 0, v103
	s_and_b32 s0, s0, vcc_lo
	v_cmp_eq_f32_e32 vcc_lo, 0, v2
	v_cndmask_b32_e64 v0, v103, 26, s0
	v_cmp_eq_f32_e64 s0, 0, v3
	s_and_b32 s0, vcc_lo, s0
	v_cmp_eq_u32_e32 vcc_lo, 0, v0
	s_and_b32 s0, s0, vcc_lo
	v_cmp_eq_f32_e32 vcc_lo, 0, v4
	v_cndmask_b32_e64 v0, v0, 27, s0
	;; [unrolled: 6-line block ×24, first 2 shown]
	v_cmp_eq_f32_e64 s0, 0, v101
	s_and_b32 s0, vcc_lo, s0
	v_cmp_eq_u32_e32 vcc_lo, 0, v0
	s_and_b32 s0, s0, vcc_lo
	s_delay_alu instid0(SALU_CYCLE_1) | instskip(SKIP_1) | instid1(VALU_DEP_2)
	v_cndmask_b32_e64 v0, v0, 50, s0
	v_cmp_eq_f32_e64 s0, 0, v80
	v_cmp_eq_u32_e32 vcc_lo, 0, v0
	s_and_b32 s0, s0, s1
	s_delay_alu instid0(SALU_CYCLE_1) | instskip(NEXT) | instid1(SALU_CYCLE_1)
	s_and_b32 s0, s0, vcc_lo
	v_cndmask_b32_e64 v2, v0, 51, s0
	v_lshl_add_u64 v[0:1], v[138:139], 2, s[6:7]
	s_delay_alu instid0(VALU_DEP_2) | instskip(SKIP_4) | instid1(SALU_CYCLE_1)
	v_cmp_ne_u32_e64 s0, 0, v2
	global_load_b32 v3, v[0:1], off
	s_wait_loadcnt 0x0
	v_cmp_eq_u32_e32 vcc_lo, 0, v3
	s_and_b32 s0, vcc_lo, s0
	s_and_b32 exec_lo, exec_lo, s0
	s_cbranch_execz .LBB101_461
; %bb.460:
	v_add_nc_u32_e32 v2, s3, v2
	global_store_b32 v[0:1], v2, off
.LBB101_461:
	s_wait_xcnt 0x0
	s_or_b32 exec_lo, exec_lo, s2
	v_pk_mul_f32 v[0:1], v[80:81], v[204:205] op_sel:[1,1] op_sel_hi:[0,1]
	v_cmp_lt_u32_e32 vcc_lo, 50, v102
	s_clause 0x2c
	global_store_b64 v[16:17], v[98:99], off
	global_store_b64 v[168:169], v[68:69], off
	;; [unrolled: 1-line block ×45, first 2 shown]
	v_pk_fma_f32 v[2:3], v[80:81], v[204:205], v[0:1] op_sel_hi:[1,0,1]
	v_pk_fma_f32 v[0:1], v[80:81], v[204:205], v[0:1] neg_lo:[0,0,1] neg_hi:[0,0,1]
	s_delay_alu instid0(VALU_DEP_1)
	v_dual_cndmask_b32 v1, v205, v3 :: v_dual_cndmask_b32 v0, v204, v0
	scratch_load_b64 v[2:3], off, off th:TH_LOAD_LU ; 8-byte Folded Reload
	s_wait_loadcnt 0x0
	global_store_b64 v[2:3], v[194:195], off
	scratch_load_b64 v[2:3], off, off offset:16 th:TH_LOAD_LU ; 8-byte Folded Reload
	s_wait_loadcnt 0x0
	global_store_b64 v[2:3], v[198:199], off
	scratch_load_b64 v[2:3], off, off offset:24 th:TH_LOAD_LU ; 8-byte Folded Reload
	;; [unrolled: 3-line block ×5, first 2 shown]
	s_wait_loadcnt 0x0
	global_store_b64 v[2:3], v[0:1], off
.LBB101_462:
	s_sendmsg sendmsg(MSG_DEALLOC_VGPRS)
	s_endpgm
	.section	.rodata,"a",@progbits
	.p2align	6, 0x0
	.amdhsa_kernel _ZN9rocsolver6v33100L23getf2_npvt_small_kernelILi51E19rocblas_complex_numIfEiiPS3_EEvT1_T3_lS5_lPT2_S5_S5_
		.amdhsa_group_segment_fixed_size 0
		.amdhsa_private_segment_fixed_size 260
		.amdhsa_kernarg_size 312
		.amdhsa_user_sgpr_count 2
		.amdhsa_user_sgpr_dispatch_ptr 0
		.amdhsa_user_sgpr_queue_ptr 0
		.amdhsa_user_sgpr_kernarg_segment_ptr 1
		.amdhsa_user_sgpr_dispatch_id 0
		.amdhsa_user_sgpr_kernarg_preload_length 0
		.amdhsa_user_sgpr_kernarg_preload_offset 0
		.amdhsa_user_sgpr_private_segment_size 0
		.amdhsa_wavefront_size32 1
		.amdhsa_uses_dynamic_stack 0
		.amdhsa_enable_private_segment 1
		.amdhsa_system_sgpr_workgroup_id_x 1
		.amdhsa_system_sgpr_workgroup_id_y 1
		.amdhsa_system_sgpr_workgroup_id_z 0
		.amdhsa_system_sgpr_workgroup_info 0
		.amdhsa_system_vgpr_workitem_id 1
		.amdhsa_next_free_vgpr 256
		.amdhsa_next_free_sgpr 15
		.amdhsa_named_barrier_count 0
		.amdhsa_reserve_vcc 1
		.amdhsa_float_round_mode_32 0
		.amdhsa_float_round_mode_16_64 0
		.amdhsa_float_denorm_mode_32 3
		.amdhsa_float_denorm_mode_16_64 3
		.amdhsa_fp16_overflow 0
		.amdhsa_memory_ordered 1
		.amdhsa_forward_progress 1
		.amdhsa_inst_pref_size 255
		.amdhsa_round_robin_scheduling 0
		.amdhsa_exception_fp_ieee_invalid_op 0
		.amdhsa_exception_fp_denorm_src 0
		.amdhsa_exception_fp_ieee_div_zero 0
		.amdhsa_exception_fp_ieee_overflow 0
		.amdhsa_exception_fp_ieee_underflow 0
		.amdhsa_exception_fp_ieee_inexact 0
		.amdhsa_exception_int_div_zero 0
	.end_amdhsa_kernel
	.section	.text._ZN9rocsolver6v33100L23getf2_npvt_small_kernelILi51E19rocblas_complex_numIfEiiPS3_EEvT1_T3_lS5_lPT2_S5_S5_,"axG",@progbits,_ZN9rocsolver6v33100L23getf2_npvt_small_kernelILi51E19rocblas_complex_numIfEiiPS3_EEvT1_T3_lS5_lPT2_S5_S5_,comdat
.Lfunc_end101:
	.size	_ZN9rocsolver6v33100L23getf2_npvt_small_kernelILi51E19rocblas_complex_numIfEiiPS3_EEvT1_T3_lS5_lPT2_S5_S5_, .Lfunc_end101-_ZN9rocsolver6v33100L23getf2_npvt_small_kernelILi51E19rocblas_complex_numIfEiiPS3_EEvT1_T3_lS5_lPT2_S5_S5_
                                        ; -- End function
	.set _ZN9rocsolver6v33100L23getf2_npvt_small_kernelILi51E19rocblas_complex_numIfEiiPS3_EEvT1_T3_lS5_lPT2_S5_S5_.num_vgpr, 256
	.set _ZN9rocsolver6v33100L23getf2_npvt_small_kernelILi51E19rocblas_complex_numIfEiiPS3_EEvT1_T3_lS5_lPT2_S5_S5_.num_agpr, 0
	.set _ZN9rocsolver6v33100L23getf2_npvt_small_kernelILi51E19rocblas_complex_numIfEiiPS3_EEvT1_T3_lS5_lPT2_S5_S5_.numbered_sgpr, 15
	.set _ZN9rocsolver6v33100L23getf2_npvt_small_kernelILi51E19rocblas_complex_numIfEiiPS3_EEvT1_T3_lS5_lPT2_S5_S5_.num_named_barrier, 0
	.set _ZN9rocsolver6v33100L23getf2_npvt_small_kernelILi51E19rocblas_complex_numIfEiiPS3_EEvT1_T3_lS5_lPT2_S5_S5_.private_seg_size, 260
	.set _ZN9rocsolver6v33100L23getf2_npvt_small_kernelILi51E19rocblas_complex_numIfEiiPS3_EEvT1_T3_lS5_lPT2_S5_S5_.uses_vcc, 1
	.set _ZN9rocsolver6v33100L23getf2_npvt_small_kernelILi51E19rocblas_complex_numIfEiiPS3_EEvT1_T3_lS5_lPT2_S5_S5_.uses_flat_scratch, 1
	.set _ZN9rocsolver6v33100L23getf2_npvt_small_kernelILi51E19rocblas_complex_numIfEiiPS3_EEvT1_T3_lS5_lPT2_S5_S5_.has_dyn_sized_stack, 0
	.set _ZN9rocsolver6v33100L23getf2_npvt_small_kernelILi51E19rocblas_complex_numIfEiiPS3_EEvT1_T3_lS5_lPT2_S5_S5_.has_recursion, 0
	.set _ZN9rocsolver6v33100L23getf2_npvt_small_kernelILi51E19rocblas_complex_numIfEiiPS3_EEvT1_T3_lS5_lPT2_S5_S5_.has_indirect_call, 0
	.section	.AMDGPU.csdata,"",@progbits
; Kernel info:
; codeLenInByte = 110344
; TotalNumSgprs: 17
; NumVgprs: 256
; ScratchSize: 260
; MemoryBound: 0
; FloatMode: 240
; IeeeMode: 1
; LDSByteSize: 0 bytes/workgroup (compile time only)
; SGPRBlocks: 0
; VGPRBlocks: 15
; NumSGPRsForWavesPerEU: 17
; NumVGPRsForWavesPerEU: 256
; NamedBarCnt: 0
; Occupancy: 4
; WaveLimiterHint : 0
; COMPUTE_PGM_RSRC2:SCRATCH_EN: 1
; COMPUTE_PGM_RSRC2:USER_SGPR: 2
; COMPUTE_PGM_RSRC2:TRAP_HANDLER: 0
; COMPUTE_PGM_RSRC2:TGID_X_EN: 1
; COMPUTE_PGM_RSRC2:TGID_Y_EN: 1
; COMPUTE_PGM_RSRC2:TGID_Z_EN: 0
; COMPUTE_PGM_RSRC2:TIDIG_COMP_CNT: 1
	.section	.text._ZN9rocsolver6v33100L18getf2_small_kernelILi52E19rocblas_complex_numIfEiiPS3_EEvT1_T3_lS5_lPS5_llPT2_S5_S5_S7_l,"axG",@progbits,_ZN9rocsolver6v33100L18getf2_small_kernelILi52E19rocblas_complex_numIfEiiPS3_EEvT1_T3_lS5_lPS5_llPT2_S5_S5_S7_l,comdat
	.globl	_ZN9rocsolver6v33100L18getf2_small_kernelILi52E19rocblas_complex_numIfEiiPS3_EEvT1_T3_lS5_lPS5_llPT2_S5_S5_S7_l ; -- Begin function _ZN9rocsolver6v33100L18getf2_small_kernelILi52E19rocblas_complex_numIfEiiPS3_EEvT1_T3_lS5_lPS5_llPT2_S5_S5_S7_l
	.p2align	8
	.type	_ZN9rocsolver6v33100L18getf2_small_kernelILi52E19rocblas_complex_numIfEiiPS3_EEvT1_T3_lS5_lPS5_llPT2_S5_S5_S7_l,@function
_ZN9rocsolver6v33100L18getf2_small_kernelILi52E19rocblas_complex_numIfEiiPS3_EEvT1_T3_lS5_lPS5_llPT2_S5_S5_S7_l: ; @_ZN9rocsolver6v33100L18getf2_small_kernelILi52E19rocblas_complex_numIfEiiPS3_EEvT1_T3_lS5_lPS5_llPT2_S5_S5_S7_l
; %bb.0:
	s_clause 0x1
	s_load_u16 s2, s[0:1], 0x6e
	s_load_b64 s[16:17], s[0:1], 0x48
	s_bfe_u32 s3, ttmp6, 0x40010
	s_bfe_u32 s4, ttmp6, 0x40004
	s_add_co_i32 s3, s3, 1
	s_getreg_b32 s5, hwreg(HW_REG_IB_STS2, 6, 4)
	s_mul_i32 s3, ttmp7, s3
	v_bfe_u32 v112, v0, 10, 10
	s_add_co_i32 s4, s4, s3
	s_cmp_eq_u32 s5, 0
	s_cselect_b32 s3, ttmp7, s4
	s_wait_kmcnt 0x0
	v_mad_u32 v2, s3, s2, v112
	s_mov_b32 s2, exec_lo
	s_delay_alu instid0(VALU_DEP_1)
	v_cmpx_gt_i32_e64 s16, v2
	s_cbranch_execz .LBB102_1093
; %bb.1:
	s_load_b128 s[4:7], s[0:1], 0x50
	v_mov_b64_e32 v[4:5], 0
	v_ashrrev_i32_e32 v3, 31, v2
	s_wait_kmcnt 0x0
	s_cmp_eq_u64 s[4:5], 0
	s_cselect_b32 s16, -1, 0
	s_delay_alu instid0(SALU_CYCLE_1)
	s_and_b32 vcc_lo, exec_lo, s16
	s_cbranch_vccnz .LBB102_3
; %bb.2:
	v_mul_u64_e32 v[4:5], s[6:7], v[2:3]
	s_delay_alu instid0(VALU_DEP_1)
	v_lshl_add_u64 v[4:5], v[4:5], 2, s[4:5]
.LBB102_3:
	s_clause 0x2
	s_load_b32 s2, s[0:1], 0x18
	s_load_b128 s[12:15], s[0:1], 0x8
	s_load_b32 s18, s[0:1], 0x0
	v_and_b32_e32 v117, 0x3ff, v0
	s_load_b256 s[4:11], s[0:1], 0x20
	s_delay_alu instid0(VALU_DEP_1) | instskip(SKIP_4) | instid1(VALU_DEP_2)
	v_dual_mov_b32 v111, 0 :: v_dual_lshlrev_b32 v110, 3, v117
	s_wait_kmcnt 0x0
	v_add3_u32 v6, s2, s2, v117
	s_ashr_i32 s3, s2, 31
	v_mul_u64_e32 v[0:1], s[4:5], v[2:3]
	v_add_nc_u32_e32 v8, s2, v6
	s_max_i32 s4, s18, 52
	s_cmp_lt_i32 s18, 2
	s_delay_alu instid0(VALU_DEP_1) | instskip(NEXT) | instid1(VALU_DEP_1)
	v_add_nc_u32_e32 v10, s2, v8
	v_add_nc_u32_e32 v12, s2, v10
	s_delay_alu instid0(VALU_DEP_1) | instskip(NEXT) | instid1(VALU_DEP_1)
	v_add_nc_u32_e32 v14, s2, v12
	v_dual_ashrrev_i32 v9, 31, v8 :: v_dual_add_nc_u32 v16, s2, v14
	s_delay_alu instid0(VALU_DEP_1) | instskip(SKIP_1) | instid1(VALU_DEP_1)
	v_dual_ashrrev_i32 v15, 31, v14 :: v_dual_ashrrev_i32 v17, 31, v16
	v_dual_add_nc_u32 v18, s2, v16 :: v_dual_ashrrev_i32 v11, 31, v10
	v_dual_ashrrev_i32 v13, 31, v12 :: v_dual_add_nc_u32 v20, s2, v18
	v_lshl_add_u64 v[0:1], v[0:1], 3, s[12:13]
	s_delay_alu instid0(VALU_DEP_2) | instskip(NEXT) | instid1(VALU_DEP_2)
	v_add_nc_u32_e32 v22, s2, v20
	v_lshl_add_u64 v[0:1], s[14:15], 3, v[0:1]
	s_delay_alu instid0(VALU_DEP_2) | instskip(NEXT) | instid1(VALU_DEP_2)
	v_add_nc_u32_e32 v24, s2, v22
	v_lshl_add_u64 v[10:11], v[10:11], 3, v[0:1]
	v_add_nc_u64_e32 v[38:39], v[0:1], v[110:111]
	v_lshl_add_u64 v[12:13], v[12:13], 3, v[0:1]
	v_lshl_add_u64 v[14:15], v[14:15], 3, v[0:1]
	v_add_nc_u32_e32 v28, s2, v24
	v_lshl_add_u64 v[16:17], v[16:17], 3, v[0:1]
	s_clause 0x3
	global_load_b64 v[86:87], v[10:11], off
	global_load_b64 v[82:83], v[12:13], off
	;; [unrolled: 1-line block ×4, first 2 shown]
	s_wait_xcnt 0x3
	v_lshl_add_u64 v[10:11], s[2:3], 3, v[38:39]
	v_add_nc_u32_e32 v30, s2, v28
	v_lshl_add_u64 v[8:9], v[8:9], 3, v[0:1]
	v_ashrrev_i32_e32 v21, 31, v20
	v_ashrrev_i32_e32 v25, 31, v24
	s_delay_alu instid0(VALU_DEP_4) | instskip(SKIP_1) | instid1(VALU_DEP_4)
	v_dual_ashrrev_i32 v29, 31, v28 :: v_dual_add_nc_u32 v32, s2, v30
	v_ashrrev_i32_e32 v31, 31, v30
	v_lshl_add_u64 v[20:21], v[20:21], 3, v[0:1]
	s_delay_alu instid0(VALU_DEP_3) | instskip(SKIP_1) | instid1(VALU_DEP_3)
	v_dual_add_nc_u32 v34, s2, v32 :: v_dual_ashrrev_i32 v33, 31, v32
	s_wait_xcnt 0x0
	v_lshl_add_u64 v[16:17], v[30:31], 3, v[0:1]
	s_delay_alu instid0(VALU_DEP_2) | instskip(NEXT) | instid1(VALU_DEP_1)
	v_add_nc_u32_e32 v36, s2, v34
	v_add_nc_u32_e32 v40, s2, v36
	s_delay_alu instid0(VALU_DEP_1) | instskip(NEXT) | instid1(VALU_DEP_1)
	v_dual_add_nc_u32 v42, s2, v40 :: v_dual_ashrrev_i32 v35, 31, v34
	v_dual_ashrrev_i32 v37, 31, v36 :: v_dual_add_nc_u32 v44, s2, v42
	v_ashrrev_i32_e32 v7, 31, v6
	s_delay_alu instid0(VALU_DEP_2) | instskip(NEXT) | instid1(VALU_DEP_2)
	v_dual_ashrrev_i32 v43, 31, v42 :: v_dual_add_nc_u32 v46, s2, v44
	v_lshl_add_u64 v[6:7], v[6:7], 3, v[0:1]
	s_clause 0x3
	global_load_b64 v[102:103], v[6:7], off
	global_load_b64 v[100:101], v[8:9], off
	;; [unrolled: 1-line block ×4, first 2 shown]
	v_add_nc_u32_e32 v48, s2, v46
	v_ashrrev_i32_e32 v19, 31, v18
	s_wait_xcnt 0x3
	v_lshl_add_u64 v[6:7], v[24:25], 3, v[0:1]
	s_wait_xcnt 0x0
	v_lshl_add_u64 v[10:11], v[28:29], 3, v[0:1]
	v_dual_ashrrev_i32 v45, 31, v44 :: v_dual_ashrrev_i32 v47, 31, v46
	v_add_nc_u32_e32 v50, s2, v48
	v_lshl_add_u64 v[18:19], v[18:19], 3, v[0:1]
	v_ashrrev_i32_e32 v49, 31, v48
	s_delay_alu instid0(VALU_DEP_4) | instskip(NEXT) | instid1(VALU_DEP_4)
	v_lshl_add_u64 v[30:31], v[44:45], 3, v[0:1]
	v_add_nc_u32_e32 v52, s2, v50
	s_delay_alu instid0(VALU_DEP_1) | instskip(NEXT) | instid1(VALU_DEP_1)
	v_dual_ashrrev_i32 v23, 31, v22 :: v_dual_add_nc_u32 v54, s2, v52
	v_lshl_add_u64 v[12:13], v[22:23], 3, v[0:1]
	s_clause 0x3
	global_load_b64 v[98:99], v[18:19], off
	global_load_b64 v[94:95], v[20:21], off
	;; [unrolled: 1-line block ×4, first 2 shown]
	v_add_nc_u32_e32 v14, s2, v54
	s_wait_xcnt 0x3
	v_lshl_add_u64 v[18:19], v[32:33], 3, v[0:1]
	s_wait_xcnt 0x2
	v_lshl_add_u64 v[20:21], v[34:35], 3, v[0:1]
	s_clause 0x3
	global_load_b64 v[92:93], v[10:11], off
	global_load_b64 v[88:89], v[16:17], off
	;; [unrolled: 1-line block ×4, first 2 shown]
	v_add_nc_u32_e32 v8, s2, v14
	s_wait_xcnt 0x2
	v_lshl_add_u64 v[16:17], v[36:37], 3, v[0:1]
	v_lshl_add_u64 v[22:23], v[42:43], 3, v[0:1]
	v_ashrrev_i32_e32 v53, 31, v52
	v_lshl_add_u64 v[36:37], v[48:49], 3, v[0:1]
	v_dual_add_nc_u32 v6, s2, v8 :: v_dual_ashrrev_i32 v9, 31, v8
	s_delay_alu instid0(VALU_DEP_3) | instskip(NEXT) | instid1(VALU_DEP_2)
	v_lshl_add_u64 v[42:43], v[52:53], 3, v[0:1]
	v_add_nc_u32_e32 v12, s2, v6
	s_delay_alu instid0(VALU_DEP_3) | instskip(NEXT) | instid1(VALU_DEP_2)
	v_lshl_add_u64 v[8:9], v[8:9], 3, v[0:1]
	v_add_nc_u32_e32 v28, s2, v12
	s_delay_alu instid0(VALU_DEP_1) | instskip(SKIP_3) | instid1(VALU_DEP_3)
	v_add_nc_u32_e32 v10, s2, v28
	v_dual_ashrrev_i32 v41, 31, v40 :: v_dual_ashrrev_i32 v7, 31, v6
	v_ashrrev_i32_e32 v13, 31, v12
	s_wait_xcnt 0x1
	v_dual_ashrrev_i32 v29, 31, v28 :: v_dual_add_nc_u32 v18, s2, v10
	s_wait_xcnt 0x0
	v_lshl_add_u64 v[20:21], v[40:41], 3, v[0:1]
	s_clause 0x3
	global_load_b64 v[80:81], v[16:17], off
	global_load_b64 v[76:77], v[20:21], off
	;; [unrolled: 1-line block ×4, first 2 shown]
	v_add_nc_u32_e32 v34, s2, v18
	s_wait_xcnt 0x2
	v_lshl_add_u64 v[20:21], v[46:47], 3, v[0:1]
	v_lshl_add_u64 v[6:7], v[6:7], 3, v[0:1]
	s_delay_alu instid0(VALU_DEP_3) | instskip(SKIP_1) | instid1(VALU_DEP_2)
	v_add_nc_u32_e32 v16, s2, v34
	v_ashrrev_i32_e32 v51, 31, v50
	v_dual_ashrrev_i32 v11, 31, v10 :: v_dual_ashrrev_i32 v17, 31, v16
	s_wait_xcnt 0x0
	v_add_nc_u32_e32 v30, s2, v16
	s_delay_alu instid0(VALU_DEP_3)
	v_lshl_add_u64 v[40:41], v[50:51], 3, v[0:1]
	s_clause 0x3
	global_load_b64 v[74:75], v[20:21], off
	global_load_b64 v[70:71], v[36:37], off
	;; [unrolled: 1-line block ×4, first 2 shown]
	v_add_nc_u32_e32 v44, s2, v30
	v_ashrrev_i32_e32 v55, 31, v54
	v_ashrrev_i32_e32 v19, 31, v18
	v_lshl_add_u64 v[10:11], v[10:11], 3, v[0:1]
	v_lshl_add_u64 v[16:17], v[16:17], 3, v[0:1]
	s_wait_xcnt 0x2
	v_dual_add_nc_u32 v36, s2, v44 :: v_dual_ashrrev_i32 v15, 31, v14
	s_wait_xcnt 0x1
	v_lshl_add_u64 v[40:41], v[54:55], 3, v[0:1]
	v_dual_ashrrev_i32 v45, 31, v44 :: v_dual_ashrrev_i32 v35, 31, v34
	s_wait_xcnt 0x0
	v_dual_ashrrev_i32 v37, 31, v36 :: v_dual_add_nc_u32 v42, s2, v36
	v_lshl_add_u64 v[14:15], v[14:15], 3, v[0:1]
	s_clause 0x3
	global_load_b64 v[68:69], v[40:41], off
	global_load_b64 v[64:65], v[14:15], off
	;; [unrolled: 1-line block ×4, first 2 shown]
	v_add_nc_u32_e32 v46, s2, v42
	s_wait_xcnt 0x1
	v_lshl_add_u64 v[8:9], v[12:13], 3, v[0:1]
	v_lshl_add_u64 v[12:13], v[28:29], 3, v[0:1]
	;; [unrolled: 1-line block ×3, first 2 shown]
	s_clause 0x3
	global_load_b64 v[62:63], v[8:9], off
	global_load_b64 v[58:59], v[12:13], off
	;; [unrolled: 1-line block ×4, first 2 shown]
	s_wait_xcnt 0x4
	v_add_nc_u32_e32 v6, s2, v46
	s_wait_xcnt 0x1
	v_lshl_add_u64 v[10:11], v[34:35], 3, v[0:1]
	v_lshl_add_u64 v[34:35], v[44:45], 3, v[0:1]
	s_delay_alu instid0(VALU_DEP_3) | instskip(NEXT) | instid1(VALU_DEP_1)
	v_add_nc_u32_e32 v14, s2, v6
	v_add_nc_u32_e32 v40, s2, v14
	s_delay_alu instid0(VALU_DEP_1) | instskip(SKIP_1) | instid1(VALU_DEP_1)
	v_dual_add_nc_u32 v8, s2, v40 :: v_dual_ashrrev_i32 v7, 31, v6
	s_wait_xcnt 0x0
	v_dual_ashrrev_i32 v9, 31, v8 :: v_dual_add_nc_u32 v28, s2, v8
	s_delay_alu instid0(VALU_DEP_2) | instskip(SKIP_1) | instid1(VALU_DEP_3)
	v_lshl_add_u64 v[6:7], v[6:7], 3, v[0:1]
	v_ashrrev_i32_e32 v15, 31, v14
	v_lshl_add_u64 v[8:9], v[8:9], 3, v[0:1]
	s_delay_alu instid0(VALU_DEP_4) | instskip(SKIP_3) | instid1(VALU_DEP_4)
	v_dual_add_nc_u32 v108, s2, v28 :: v_dual_ashrrev_i32 v31, 31, v30
	v_dual_ashrrev_i32 v47, 31, v46 :: v_dual_ashrrev_i32 v41, 31, v40
	v_ashrrev_i32_e32 v29, 31, v28
	v_lshl_add_u64 v[14:15], v[14:15], 3, v[0:1]
	v_lshl_add_u64 v[30:31], v[30:31], 3, v[0:1]
	s_clause 0x3
	global_load_b64 v[56:57], v[10:11], off
	global_load_b64 v[52:53], v[16:17], off
	;; [unrolled: 1-line block ×4, first 2 shown]
	s_wait_xcnt 0x2
	v_dual_add_nc_u32 v16, s2, v108 :: v_dual_ashrrev_i32 v43, 31, v42
	s_wait_xcnt 0x1
	v_lshl_add_u64 v[30:31], v[36:37], 3, v[0:1]
	v_ashrrev_i32_e32 v109, 31, v108
	v_lshl_add_u64 v[28:29], v[28:29], 3, v[0:1]
	s_wait_xcnt 0x0
	v_add_nc_u32_e32 v34, s2, v16
	v_lshl_add_u64 v[36:37], v[42:43], 3, v[0:1]
	v_lshl_add_u64 v[42:43], v[46:47], 3, v[0:1]
	s_clause 0x3
	global_load_b64 v[50:51], v[30:31], off
	global_load_b64 v[46:47], v[36:37], off
	global_load_b64 v[48:49], v[42:43], off
	global_load_b64 v[10:11], v[6:7], off
	v_dual_add_nc_u32 v114, s2, v34 :: v_dual_ashrrev_i32 v17, 31, v16
	s_wait_xcnt 0x2
	v_lshl_add_u64 v[36:37], v[40:41], 3, v[0:1]
	s_clause 0x3
	global_load_b64 v[44:45], v[14:15], off
	global_load_b64 v[40:41], v[36:37], off
	;; [unrolled: 1-line block ×4, first 2 shown]
	v_add_nc_u32_e32 v30, s2, v114
	v_lshl_add_u64 v[108:109], v[108:109], 3, v[0:1]
	v_lshl_add_u64 v[122:123], v[16:17], 3, v[0:1]
	s_delay_alu instid0(VALU_DEP_3) | instskip(NEXT) | instid1(VALU_DEP_1)
	v_dual_add_nc_u32 v118, s2, v30 :: v_dual_ashrrev_i32 v31, 31, v30
	v_add_nc_u32_e32 v120, s2, v118
	s_delay_alu instid0(VALU_DEP_2) | instskip(SKIP_1) | instid1(VALU_DEP_2)
	v_lshl_add_u64 v[126:127], v[30:31], 3, v[0:1]
	s_wait_xcnt 0x1
	v_dual_add_nc_u32 v8, s2, v120 :: v_dual_ashrrev_i32 v119, 31, v118
	v_dual_ashrrev_i32 v35, 31, v34 :: v_dual_ashrrev_i32 v121, 31, v120
	s_delay_alu instid0(VALU_DEP_2) | instskip(NEXT) | instid1(VALU_DEP_3)
	v_dual_ashrrev_i32 v115, 31, v114 :: v_dual_ashrrev_i32 v9, 31, v8
	v_lshl_add_u64 v[118:119], v[118:119], 3, v[0:1]
	s_delay_alu instid0(VALU_DEP_3) | instskip(NEXT) | instid1(VALU_DEP_4)
	v_lshl_add_u64 v[124:125], v[34:35], 3, v[0:1]
	v_lshl_add_u64 v[120:121], v[120:121], 3, v[0:1]
	s_delay_alu instid0(VALU_DEP_4)
	v_lshl_add_u64 v[114:115], v[114:115], 3, v[0:1]
	v_lshl_add_u64 v[128:129], v[8:9], 3, v[0:1]
	s_clause 0x7
	global_load_b64 v[36:37], v[108:109], off
	global_load_b64 v[30:31], v[122:123], off
	global_load_b64 v[34:35], v[124:125], off
	global_load_b64 v[8:9], v[114:115], off
	global_load_b64 v[28:29], v[126:127], off
	global_load_b64 v[16:17], v[118:119], off
	global_load_b64 v[14:15], v[120:121], off
	; meta instruction
	; meta instruction
	;; [unrolled: 1-line block ×7, first 2 shown]
	global_load_b64 v[108:109], v[128:129], off
	s_wait_xcnt 0x4
	v_mul_lo_u32 v115, s4, v112
	s_load_b64 s[4:5], s[0:1], 0x40
	s_delay_alu instid0(VALU_DEP_1) | instskip(NEXT) | instid1(VALU_DEP_1)
	v_lshl_add_u32 v114, v115, 3, 0
	v_dual_lshlrev_b32 v115, 3, v115 :: v_dual_add_nc_u32 v110, v114, v110
	s_wait_loadcnt 0x2d
	ds_store_b64 v110, v[106:107]
	s_wait_loadcnt_dscnt 0x0
	s_barrier_signal -1
	s_barrier_wait -1
	ds_load_b64 v[112:113], v114
	s_cbranch_scc1 .LBB102_6
; %bb.4:
	v_add3_u32 v110, v115, 0, 8
	v_mov_b32_e32 v111, 0
	s_wait_xcnt 0x0
	s_mov_b32 s0, 1
.LBB102_5:                              ; =>This Inner Loop Header: Depth=1
	ds_load_b64 v[118:119], v110
	s_wait_dscnt 0x1
	v_cmp_gt_f32_e32 vcc_lo, 0, v112
	v_cndmask_b32_e64 v120, v112, -v112, vcc_lo
	v_cmp_gt_f32_e32 vcc_lo, 0, v113
	v_cndmask_b32_e64 v122, v113, -v113, vcc_lo
	s_wait_dscnt 0x0
	v_cmp_gt_f32_e32 vcc_lo, 0, v118
	v_cndmask_b32_e64 v121, v118, -v118, vcc_lo
	v_cmp_gt_f32_e32 vcc_lo, 0, v119
	v_cndmask_b32_e64 v123, v119, -v119, vcc_lo
	s_delay_alu instid0(VALU_DEP_1) | instskip(NEXT) | instid1(VALU_DEP_1)
	v_pk_add_f32 v[120:121], v[120:121], v[122:123]
	v_cmp_lt_f32_e32 vcc_lo, v120, v121
	v_dual_cndmask_b32 v113, v113, v119 :: v_dual_add_nc_u32 v110, 8, v110
	v_cndmask_b32_e32 v112, v112, v118, vcc_lo
	v_cndmask_b32_e64 v111, v111, s0, vcc_lo
	s_add_co_i32 s0, s0, 1
	s_delay_alu instid0(SALU_CYCLE_1)
	s_cmp_eq_u32 s18, s0
	s_cbranch_scc0 .LBB102_5
.LBB102_6:
	s_wait_dscnt 0x0
	v_cmp_neq_f32_e32 vcc_lo, 0, v112
	s_wait_xcnt 0x0
	v_cmp_neq_f32_e64 s0, 0, v113
	v_dual_mov_b32 v116, 1 :: v_dual_mov_b32 v119, 1
	s_or_b32 s1, vcc_lo, s0
	s_delay_alu instid0(SALU_CYCLE_1)
	s_and_saveexec_b32 s0, s1
	s_cbranch_execz .LBB102_12
; %bb.7:
	v_cmp_ngt_f32_e64 s1, |v112|, |v113|
	s_and_saveexec_b32 s12, s1
	s_delay_alu instid0(SALU_CYCLE_1)
	s_xor_b32 s1, exec_lo, s12
	s_cbranch_execz .LBB102_9
; %bb.8:
	v_div_scale_f32 v110, null, v113, v113, v112
	v_div_scale_f32 v119, vcc_lo, v112, v113, v112
	s_delay_alu instid0(VALU_DEP_2) | instskip(SKIP_1) | instid1(TRANS32_DEP_1)
	v_rcp_f32_e32 v116, v110
	v_nop
	v_fma_f32 v118, -v110, v116, 1.0
	s_delay_alu instid0(VALU_DEP_1) | instskip(NEXT) | instid1(VALU_DEP_1)
	v_fmac_f32_e32 v116, v118, v116
	v_mul_f32_e32 v118, v119, v116
	s_delay_alu instid0(VALU_DEP_1) | instskip(NEXT) | instid1(VALU_DEP_1)
	v_fma_f32 v120, -v110, v118, v119
	v_fmac_f32_e32 v118, v120, v116
	s_delay_alu instid0(VALU_DEP_1) | instskip(NEXT) | instid1(VALU_DEP_1)
	v_fma_f32 v110, -v110, v118, v119
	v_div_fmas_f32 v110, v110, v116, v118
	s_delay_alu instid0(VALU_DEP_1) | instskip(NEXT) | instid1(VALU_DEP_1)
	v_div_fixup_f32 v110, v110, v113, v112
	v_fmac_f32_e32 v113, v112, v110
	s_delay_alu instid0(VALU_DEP_1) | instskip(SKIP_1) | instid1(VALU_DEP_2)
	v_div_scale_f32 v112, null, v113, v113, 1.0
	v_div_scale_f32 v119, vcc_lo, 1.0, v113, 1.0
	v_rcp_f32_e32 v116, v112
	v_nop
	s_delay_alu instid0(TRANS32_DEP_1) | instskip(NEXT) | instid1(VALU_DEP_1)
	v_fma_f32 v118, -v112, v116, 1.0
	v_fmac_f32_e32 v116, v118, v116
	s_delay_alu instid0(VALU_DEP_1) | instskip(NEXT) | instid1(VALU_DEP_1)
	v_mul_f32_e32 v118, v119, v116
	v_fma_f32 v120, -v112, v118, v119
	s_delay_alu instid0(VALU_DEP_1) | instskip(NEXT) | instid1(VALU_DEP_1)
	v_fmac_f32_e32 v118, v120, v116
	v_fma_f32 v112, -v112, v118, v119
	s_delay_alu instid0(VALU_DEP_1) | instskip(NEXT) | instid1(VALU_DEP_1)
	v_div_fmas_f32 v112, v112, v116, v118
	v_div_fixup_f32 v113, v112, v113, 1.0
	s_delay_alu instid0(VALU_DEP_1)
	v_mul_f32_e32 v112, v110, v113
	v_xor_b32_e32 v113, 0x80000000, v113
.LBB102_9:
	s_and_not1_saveexec_b32 s1, s1
	s_cbranch_execz .LBB102_11
; %bb.10:
	s_delay_alu instid0(VALU_DEP_1) | instskip(SKIP_1) | instid1(VALU_DEP_2)
	v_div_scale_f32 v110, null, v112, v112, v113
	v_div_scale_f32 v119, vcc_lo, v113, v112, v113
	v_rcp_f32_e32 v116, v110
	v_nop
	s_delay_alu instid0(TRANS32_DEP_1) | instskip(NEXT) | instid1(VALU_DEP_1)
	v_fma_f32 v118, -v110, v116, 1.0
	v_fmac_f32_e32 v116, v118, v116
	s_delay_alu instid0(VALU_DEP_1) | instskip(NEXT) | instid1(VALU_DEP_1)
	v_mul_f32_e32 v118, v119, v116
	v_fma_f32 v120, -v110, v118, v119
	s_delay_alu instid0(VALU_DEP_1) | instskip(NEXT) | instid1(VALU_DEP_1)
	v_fmac_f32_e32 v118, v120, v116
	v_fma_f32 v110, -v110, v118, v119
	s_delay_alu instid0(VALU_DEP_1) | instskip(NEXT) | instid1(VALU_DEP_1)
	v_div_fmas_f32 v110, v110, v116, v118
	v_div_fixup_f32 v110, v110, v112, v113
	s_delay_alu instid0(VALU_DEP_1) | instskip(NEXT) | instid1(VALU_DEP_1)
	v_fmac_f32_e32 v112, v113, v110
	v_div_scale_f32 v113, null, v112, v112, 1.0
	s_delay_alu instid0(VALU_DEP_1) | instskip(SKIP_1) | instid1(TRANS32_DEP_1)
	v_rcp_f32_e32 v116, v113
	v_nop
	v_fma_f32 v118, -v113, v116, 1.0
	s_delay_alu instid0(VALU_DEP_1) | instskip(SKIP_1) | instid1(VALU_DEP_1)
	v_fmac_f32_e32 v116, v118, v116
	v_div_scale_f32 v118, vcc_lo, 1.0, v112, 1.0
	v_mul_f32_e32 v119, v118, v116
	s_delay_alu instid0(VALU_DEP_1) | instskip(NEXT) | instid1(VALU_DEP_1)
	v_fma_f32 v120, -v113, v119, v118
	v_fmac_f32_e32 v119, v120, v116
	s_delay_alu instid0(VALU_DEP_1) | instskip(NEXT) | instid1(VALU_DEP_1)
	v_fma_f32 v113, -v113, v119, v118
	v_div_fmas_f32 v113, v113, v116, v119
	s_delay_alu instid0(VALU_DEP_1) | instskip(NEXT) | instid1(VALU_DEP_1)
	v_div_fixup_f32 v112, v113, v112, 1.0
	v_mul_f32_e64 v113, v110, -v112
.LBB102_11:
	s_or_b32 exec_lo, exec_lo, s1
	v_dual_mov_b32 v119, 0 :: v_dual_mov_b32 v116, 2
.LBB102_12:
	s_or_b32 exec_lo, exec_lo, s0
	s_delay_alu instid0(SALU_CYCLE_1)
	s_mov_b32 s0, exec_lo
	v_cmpx_ne_u32_e64 v117, v111
	s_xor_b32 s0, exec_lo, s0
	s_cbranch_execz .LBB102_18
; %bb.13:
	s_mov_b32 s1, exec_lo
	v_cmpx_eq_u32_e32 0, v117
	s_cbranch_execz .LBB102_17
; %bb.14:
	v_cmp_ne_u32_e32 vcc_lo, 0, v111
	s_xor_b32 s12, s16, -1
	s_delay_alu instid0(SALU_CYCLE_1) | instskip(NEXT) | instid1(SALU_CYCLE_1)
	s_and_b32 s13, s12, vcc_lo
	s_and_saveexec_b32 s12, s13
	s_cbranch_execz .LBB102_16
; %bb.15:
	v_dual_mov_b32 v120, v111 :: v_dual_ashrrev_i32 v121, 31, v111
	s_delay_alu instid0(VALU_DEP_1)
	v_lshl_add_u64 v[120:121], v[120:121], 2, v[4:5]
	s_clause 0x1
	global_load_b32 v110, v[120:121], off
	global_load_b32 v117, v[4:5], off
	s_wait_loadcnt 0x1
	global_store_b32 v[4:5], v110, off
	s_wait_loadcnt 0x0
	global_store_b32 v[120:121], v117, off
.LBB102_16:
	s_wait_xcnt 0x0
	s_or_b32 exec_lo, exec_lo, s12
	v_mov_b32_e32 v117, v111
.LBB102_17:
	s_or_b32 exec_lo, exec_lo, s1
.LBB102_18:
	s_or_saveexec_b32 s0, s0
	s_delay_alu instid0(VALU_DEP_1)
	v_mov_b32_e32 v118, v117
	s_xor_b32 exec_lo, exec_lo, s0
	s_cbranch_execz .LBB102_20
; %bb.19:
	v_mov_b32_e32 v118, 0
	ds_store_2addr_b64 v114, v[104:105], v[102:103] offset0:1 offset1:2
	ds_store_2addr_b64 v114, v[100:101], v[86:87] offset0:3 offset1:4
	;; [unrolled: 1-line block ×25, first 2 shown]
	ds_store_b64 v114, v[108:109] offset:408
.LBB102_20:
	s_or_b32 exec_lo, exec_lo, s0
	s_delay_alu instid0(SALU_CYCLE_1)
	s_mov_b32 s0, exec_lo
	s_wait_storecnt_dscnt 0x0
	s_barrier_signal -1
	s_barrier_wait -1
	v_cmpx_lt_i32_e32 0, v118
	s_cbranch_execz .LBB102_22
; %bb.21:
	v_pk_mul_f32 v[120:121], v[112:113], v[106:107] op_sel:[1,1] op_sel_hi:[0,1]
	s_delay_alu instid0(VALU_DEP_1)
	v_pk_fma_f32 v[110:111], v[112:113], v[106:107], v[120:121] op_sel_hi:[1,0,1] neg_lo:[0,0,1] neg_hi:[0,0,1]
	v_pk_fma_f32 v[112:113], v[112:113], v[106:107], v[120:121] op_sel_hi:[1,0,1]
	ds_load_2addr_b64 v[120:123], v114 offset0:1 offset1:2
	v_dual_mov_b32 v106, v110 :: v_dual_mov_b32 v107, v113
	s_wait_dscnt 0x0
	v_pk_mul_f32 v[124:125], v[120:121], v[112:113] op_sel:[0,1]
	s_delay_alu instid0(VALU_DEP_1) | instskip(SKIP_1) | instid1(VALU_DEP_1)
	v_pk_fma_f32 v[126:127], v[120:121], v[110:111], v[124:125] op_sel:[0,0,1] op_sel_hi:[1,1,0] neg_lo:[0,0,1] neg_hi:[0,0,1]
	v_pk_fma_f32 v[120:121], v[120:121], v[110:111], v[124:125] op_sel:[0,0,1] op_sel_hi:[1,0,0]
	v_mov_b32_e32 v127, v121
	v_pk_mul_f32 v[120:121], v[122:123], v[112:113] op_sel:[0,1]
	s_delay_alu instid0(VALU_DEP_1) | instskip(SKIP_1) | instid1(VALU_DEP_1)
	v_pk_fma_f32 v[124:125], v[122:123], v[110:111], v[120:121] op_sel:[0,0,1] op_sel_hi:[1,1,0] neg_lo:[0,0,1] neg_hi:[0,0,1]
	v_pk_fma_f32 v[120:121], v[122:123], v[110:111], v[120:121] op_sel:[0,0,1] op_sel_hi:[1,0,0]
	v_mov_b32_e32 v125, v121
	ds_load_2addr_b64 v[120:123], v114 offset0:3 offset1:4
	v_pk_add_f32 v[104:105], v[104:105], v[126:127] neg_lo:[0,1] neg_hi:[0,1]
	v_pk_add_f32 v[102:103], v[102:103], v[124:125] neg_lo:[0,1] neg_hi:[0,1]
	s_wait_dscnt 0x0
	v_pk_mul_f32 v[124:125], v[120:121], v[112:113] op_sel:[0,1]
	s_delay_alu instid0(VALU_DEP_1) | instskip(SKIP_2) | instid1(VALU_DEP_2)
	v_pk_fma_f32 v[126:127], v[120:121], v[110:111], v[124:125] op_sel:[0,0,1] op_sel_hi:[1,1,0] neg_lo:[0,0,1] neg_hi:[0,0,1]
	v_pk_fma_f32 v[120:121], v[120:121], v[110:111], v[124:125] op_sel:[0,0,1] op_sel_hi:[1,0,0]
	v_dual_mul_f32 v124, v123, v113 :: v_dual_mov_b32 v120, v123
	v_dual_mov_b32 v127, v121 :: v_dual_mov_b32 v121, v122
	s_delay_alu instid0(VALU_DEP_2) | instskip(SKIP_1) | instid1(VALU_DEP_3)
	v_pk_fma_f32 v[124:125], v[122:123], v[106:107], v[124:125] op_sel_hi:[1,1,0] neg_lo:[0,0,1] neg_hi:[0,0,1]
	v_mul_f32_e32 v122, v123, v110
	v_pk_add_f32 v[100:101], v[100:101], v[126:127] neg_lo:[0,1] neg_hi:[0,1]
	s_delay_alu instid0(VALU_DEP_2) | instskip(NEXT) | instid1(VALU_DEP_1)
	v_pk_fma_f32 v[120:121], v[120:121], v[106:107], v[122:123] op_sel_hi:[1,1,0]
	v_mov_b32_e32 v125, v121
	ds_load_2addr_b64 v[120:123], v114 offset0:5 offset1:6
	v_pk_add_f32 v[86:87], v[86:87], v[124:125] neg_lo:[0,1] neg_hi:[0,1]
	s_wait_dscnt 0x0
	v_pk_mul_f32 v[124:125], v[120:121], v[112:113] op_sel:[0,1]
	s_delay_alu instid0(VALU_DEP_1) | instskip(SKIP_1) | instid1(VALU_DEP_1)
	v_pk_fma_f32 v[126:127], v[120:121], v[110:111], v[124:125] op_sel:[0,0,1] op_sel_hi:[1,1,0] neg_lo:[0,0,1] neg_hi:[0,0,1]
	v_pk_fma_f32 v[120:121], v[120:121], v[110:111], v[124:125] op_sel:[0,0,1] op_sel_hi:[1,0,0]
	v_mov_b32_e32 v127, v121
	v_pk_mul_f32 v[120:121], v[122:123], v[112:113] op_sel:[0,1]
	s_delay_alu instid0(VALU_DEP_1) | instskip(SKIP_1) | instid1(VALU_DEP_1)
	v_pk_fma_f32 v[124:125], v[122:123], v[110:111], v[120:121] op_sel:[0,0,1] op_sel_hi:[1,1,0] neg_lo:[0,0,1] neg_hi:[0,0,1]
	v_pk_fma_f32 v[120:121], v[122:123], v[110:111], v[120:121] op_sel:[0,0,1] op_sel_hi:[1,0,0]
	v_mov_b32_e32 v125, v121
	ds_load_2addr_b64 v[120:123], v114 offset0:7 offset1:8
	v_pk_add_f32 v[82:83], v[82:83], v[126:127] neg_lo:[0,1] neg_hi:[0,1]
	v_pk_add_f32 v[84:85], v[84:85], v[124:125] neg_lo:[0,1] neg_hi:[0,1]
	s_wait_dscnt 0x0
	v_pk_mul_f32 v[124:125], v[120:121], v[112:113] op_sel:[0,1]
	s_delay_alu instid0(VALU_DEP_1) | instskip(SKIP_1) | instid1(VALU_DEP_1)
	v_pk_fma_f32 v[126:127], v[120:121], v[110:111], v[124:125] op_sel:[0,0,1] op_sel_hi:[1,1,0] neg_lo:[0,0,1] neg_hi:[0,0,1]
	v_pk_fma_f32 v[120:121], v[120:121], v[110:111], v[124:125] op_sel:[0,0,1] op_sel_hi:[1,0,0]
	v_mov_b32_e32 v127, v121
	v_pk_mul_f32 v[120:121], v[122:123], v[112:113] op_sel:[0,1]
	s_delay_alu instid0(VALU_DEP_1) | instskip(SKIP_1) | instid1(VALU_DEP_1)
	v_pk_fma_f32 v[124:125], v[122:123], v[110:111], v[120:121] op_sel:[0,0,1] op_sel_hi:[1,1,0] neg_lo:[0,0,1] neg_hi:[0,0,1]
	v_pk_fma_f32 v[120:121], v[122:123], v[110:111], v[120:121] op_sel:[0,0,1] op_sel_hi:[1,0,0]
	v_mov_b32_e32 v125, v121
	ds_load_2addr_b64 v[120:123], v114 offset0:9 offset1:10
	v_pk_add_f32 v[26:27], v[26:27], v[126:127] neg_lo:[0,1] neg_hi:[0,1]
	v_pk_add_f32 v[98:99], v[98:99], v[124:125] neg_lo:[0,1] neg_hi:[0,1]
	s_wait_dscnt 0x0
	v_dual_mul_f32 v124, v121, v113 :: v_dual_mul_f32 v126, v121, v110
	s_delay_alu instid0(VALU_DEP_1) | instskip(NEXT) | instid1(VALU_DEP_2)
	v_pk_fma_f32 v[124:125], v[120:121], v[106:107], v[124:125] op_sel_hi:[1,1,0] neg_lo:[0,0,1] neg_hi:[0,0,1]
	v_pk_fma_f32 v[120:121], v[120:121], v[106:107], v[126:127] op_sel:[1,0,0] op_sel_hi:[0,1,0]
	s_delay_alu instid0(VALU_DEP_1) | instskip(SKIP_1) | instid1(VALU_DEP_2)
	v_mov_b32_e32 v125, v121
	v_pk_mul_f32 v[120:121], v[122:123], v[112:113] op_sel:[0,1]
	v_pk_add_f32 v[94:95], v[94:95], v[124:125] neg_lo:[0,1] neg_hi:[0,1]
	s_delay_alu instid0(VALU_DEP_2) | instskip(SKIP_1) | instid1(VALU_DEP_1)
	v_pk_fma_f32 v[124:125], v[122:123], v[110:111], v[120:121] op_sel:[0,0,1] op_sel_hi:[1,1,0] neg_lo:[0,0,1] neg_hi:[0,0,1]
	v_pk_fma_f32 v[120:121], v[122:123], v[110:111], v[120:121] op_sel:[0,0,1] op_sel_hi:[1,0,0]
	v_mov_b32_e32 v125, v121
	ds_load_2addr_b64 v[120:123], v114 offset0:11 offset1:12
	v_pk_add_f32 v[96:97], v[96:97], v[124:125] neg_lo:[0,1] neg_hi:[0,1]
	s_wait_dscnt 0x0
	v_pk_mul_f32 v[124:125], v[120:121], v[112:113] op_sel:[0,1]
	s_delay_alu instid0(VALU_DEP_1) | instskip(SKIP_1) | instid1(VALU_DEP_1)
	v_pk_fma_f32 v[126:127], v[120:121], v[110:111], v[124:125] op_sel:[0,0,1] op_sel_hi:[1,1,0] neg_lo:[0,0,1] neg_hi:[0,0,1]
	v_pk_fma_f32 v[120:121], v[120:121], v[110:111], v[124:125] op_sel:[0,0,1] op_sel_hi:[1,0,0]
	v_mov_b32_e32 v127, v121
	v_pk_mul_f32 v[120:121], v[122:123], v[112:113] op_sel:[0,1]
	s_delay_alu instid0(VALU_DEP_2) | instskip(NEXT) | instid1(VALU_DEP_2)
	v_pk_add_f32 v[38:39], v[38:39], v[126:127] neg_lo:[0,1] neg_hi:[0,1]
	v_pk_fma_f32 v[124:125], v[122:123], v[110:111], v[120:121] op_sel:[0,0,1] op_sel_hi:[1,1,0] neg_lo:[0,0,1] neg_hi:[0,0,1]
	v_pk_fma_f32 v[120:121], v[122:123], v[110:111], v[120:121] op_sel:[0,0,1] op_sel_hi:[1,0,0]
	s_delay_alu instid0(VALU_DEP_1) | instskip(SKIP_4) | instid1(VALU_DEP_1)
	v_mov_b32_e32 v125, v121
	ds_load_2addr_b64 v[120:123], v114 offset0:13 offset1:14
	v_pk_add_f32 v[92:93], v[92:93], v[124:125] neg_lo:[0,1] neg_hi:[0,1]
	s_wait_dscnt 0x0
	v_pk_mul_f32 v[124:125], v[120:121], v[112:113] op_sel:[0,1]
	v_pk_fma_f32 v[126:127], v[120:121], v[110:111], v[124:125] op_sel:[0,0,1] op_sel_hi:[1,1,0] neg_lo:[0,0,1] neg_hi:[0,0,1]
	v_pk_fma_f32 v[120:121], v[120:121], v[110:111], v[124:125] op_sel:[0,0,1] op_sel_hi:[1,0,0]
	v_dual_mul_f32 v124, v123, v113 :: v_dual_mov_b32 v120, v123
	s_delay_alu instid0(VALU_DEP_2) | instskip(NEXT) | instid1(VALU_DEP_2)
	v_dual_mov_b32 v127, v121 :: v_dual_mov_b32 v121, v122
	v_pk_fma_f32 v[124:125], v[122:123], v[106:107], v[124:125] op_sel_hi:[1,1,0] neg_lo:[0,0,1] neg_hi:[0,0,1]
	v_mul_f32_e32 v122, v123, v110
	s_delay_alu instid0(VALU_DEP_3) | instskip(NEXT) | instid1(VALU_DEP_2)
	v_pk_add_f32 v[88:89], v[88:89], v[126:127] neg_lo:[0,1] neg_hi:[0,1]
	v_pk_fma_f32 v[120:121], v[120:121], v[106:107], v[122:123] op_sel_hi:[1,1,0]
	s_delay_alu instid0(VALU_DEP_1) | instskip(SKIP_4) | instid1(VALU_DEP_1)
	v_mov_b32_e32 v125, v121
	ds_load_2addr_b64 v[120:123], v114 offset0:15 offset1:16
	v_pk_add_f32 v[90:91], v[90:91], v[124:125] neg_lo:[0,1] neg_hi:[0,1]
	s_wait_dscnt 0x0
	v_pk_mul_f32 v[124:125], v[120:121], v[112:113] op_sel:[0,1]
	v_pk_fma_f32 v[126:127], v[120:121], v[110:111], v[124:125] op_sel:[0,0,1] op_sel_hi:[1,1,0] neg_lo:[0,0,1] neg_hi:[0,0,1]
	v_pk_fma_f32 v[120:121], v[120:121], v[110:111], v[124:125] op_sel:[0,0,1] op_sel_hi:[1,0,0]
	s_delay_alu instid0(VALU_DEP_1) | instskip(SKIP_1) | instid1(VALU_DEP_1)
	v_mov_b32_e32 v127, v121
	v_pk_mul_f32 v[120:121], v[122:123], v[112:113] op_sel:[0,1]
	v_pk_fma_f32 v[124:125], v[122:123], v[110:111], v[120:121] op_sel:[0,0,1] op_sel_hi:[1,1,0] neg_lo:[0,0,1] neg_hi:[0,0,1]
	v_pk_fma_f32 v[120:121], v[122:123], v[110:111], v[120:121] op_sel:[0,0,1] op_sel_hi:[1,0,0]
	s_delay_alu instid0(VALU_DEP_1)
	v_mov_b32_e32 v125, v121
	ds_load_2addr_b64 v[120:123], v114 offset0:17 offset1:18
	v_pk_add_f32 v[32:33], v[32:33], v[126:127] neg_lo:[0,1] neg_hi:[0,1]
	v_pk_add_f32 v[80:81], v[80:81], v[124:125] neg_lo:[0,1] neg_hi:[0,1]
	s_wait_dscnt 0x0
	v_pk_mul_f32 v[124:125], v[120:121], v[112:113] op_sel:[0,1]
	s_delay_alu instid0(VALU_DEP_1) | instskip(SKIP_1) | instid1(VALU_DEP_1)
	v_pk_fma_f32 v[126:127], v[120:121], v[110:111], v[124:125] op_sel:[0,0,1] op_sel_hi:[1,1,0] neg_lo:[0,0,1] neg_hi:[0,0,1]
	v_pk_fma_f32 v[120:121], v[120:121], v[110:111], v[124:125] op_sel:[0,0,1] op_sel_hi:[1,0,0]
	v_mov_b32_e32 v127, v121
	v_pk_mul_f32 v[120:121], v[122:123], v[112:113] op_sel:[0,1]
	s_delay_alu instid0(VALU_DEP_1) | instskip(SKIP_1) | instid1(VALU_DEP_1)
	v_pk_fma_f32 v[124:125], v[122:123], v[110:111], v[120:121] op_sel:[0,0,1] op_sel_hi:[1,1,0] neg_lo:[0,0,1] neg_hi:[0,0,1]
	v_pk_fma_f32 v[120:121], v[122:123], v[110:111], v[120:121] op_sel:[0,0,1] op_sel_hi:[1,0,0]
	v_mov_b32_e32 v125, v121
	ds_load_2addr_b64 v[120:123], v114 offset0:19 offset1:20
	v_pk_add_f32 v[76:77], v[76:77], v[126:127] neg_lo:[0,1] neg_hi:[0,1]
	v_pk_add_f32 v[78:79], v[78:79], v[124:125] neg_lo:[0,1] neg_hi:[0,1]
	s_wait_dscnt 0x0
	v_dual_mul_f32 v124, v121, v113 :: v_dual_mul_f32 v126, v121, v110
	s_delay_alu instid0(VALU_DEP_1) | instskip(NEXT) | instid1(VALU_DEP_2)
	v_pk_fma_f32 v[124:125], v[120:121], v[106:107], v[124:125] op_sel_hi:[1,1,0] neg_lo:[0,0,1] neg_hi:[0,0,1]
	v_pk_fma_f32 v[120:121], v[120:121], v[106:107], v[126:127] op_sel:[1,0,0] op_sel_hi:[0,1,0]
	s_delay_alu instid0(VALU_DEP_1) | instskip(SKIP_1) | instid1(VALU_DEP_2)
	v_mov_b32_e32 v125, v121
	v_pk_mul_f32 v[120:121], v[122:123], v[112:113] op_sel:[0,1]
	v_pk_add_f32 v[24:25], v[24:25], v[124:125] neg_lo:[0,1] neg_hi:[0,1]
	s_delay_alu instid0(VALU_DEP_2) | instskip(SKIP_1) | instid1(VALU_DEP_1)
	v_pk_fma_f32 v[124:125], v[122:123], v[110:111], v[120:121] op_sel:[0,0,1] op_sel_hi:[1,1,0] neg_lo:[0,0,1] neg_hi:[0,0,1]
	v_pk_fma_f32 v[120:121], v[122:123], v[110:111], v[120:121] op_sel:[0,0,1] op_sel_hi:[1,0,0]
	v_mov_b32_e32 v125, v121
	ds_load_2addr_b64 v[120:123], v114 offset0:21 offset1:22
	v_pk_add_f32 v[74:75], v[74:75], v[124:125] neg_lo:[0,1] neg_hi:[0,1]
	s_wait_dscnt 0x0
	v_pk_mul_f32 v[124:125], v[120:121], v[112:113] op_sel:[0,1]
	s_delay_alu instid0(VALU_DEP_1) | instskip(SKIP_1) | instid1(VALU_DEP_1)
	v_pk_fma_f32 v[126:127], v[120:121], v[110:111], v[124:125] op_sel:[0,0,1] op_sel_hi:[1,1,0] neg_lo:[0,0,1] neg_hi:[0,0,1]
	v_pk_fma_f32 v[120:121], v[120:121], v[110:111], v[124:125] op_sel:[0,0,1] op_sel_hi:[1,0,0]
	v_mov_b32_e32 v127, v121
	v_pk_mul_f32 v[120:121], v[122:123], v[112:113] op_sel:[0,1]
	s_delay_alu instid0(VALU_DEP_2) | instskip(NEXT) | instid1(VALU_DEP_2)
	v_pk_add_f32 v[70:71], v[70:71], v[126:127] neg_lo:[0,1] neg_hi:[0,1]
	v_pk_fma_f32 v[124:125], v[122:123], v[110:111], v[120:121] op_sel:[0,0,1] op_sel_hi:[1,1,0] neg_lo:[0,0,1] neg_hi:[0,0,1]
	v_pk_fma_f32 v[120:121], v[122:123], v[110:111], v[120:121] op_sel:[0,0,1] op_sel_hi:[1,0,0]
	s_delay_alu instid0(VALU_DEP_1) | instskip(SKIP_4) | instid1(VALU_DEP_1)
	v_mov_b32_e32 v125, v121
	ds_load_2addr_b64 v[120:123], v114 offset0:23 offset1:24
	v_pk_add_f32 v[72:73], v[72:73], v[124:125] neg_lo:[0,1] neg_hi:[0,1]
	s_wait_dscnt 0x0
	v_pk_mul_f32 v[124:125], v[120:121], v[112:113] op_sel:[0,1]
	v_pk_fma_f32 v[126:127], v[120:121], v[110:111], v[124:125] op_sel:[0,0,1] op_sel_hi:[1,1,0] neg_lo:[0,0,1] neg_hi:[0,0,1]
	v_pk_fma_f32 v[120:121], v[120:121], v[110:111], v[124:125] op_sel:[0,0,1] op_sel_hi:[1,0,0]
	v_dual_mul_f32 v124, v123, v113 :: v_dual_mov_b32 v120, v123
	s_delay_alu instid0(VALU_DEP_2) | instskip(NEXT) | instid1(VALU_DEP_2)
	v_dual_mov_b32 v127, v121 :: v_dual_mov_b32 v121, v122
	v_pk_fma_f32 v[124:125], v[122:123], v[106:107], v[124:125] op_sel_hi:[1,1,0] neg_lo:[0,0,1] neg_hi:[0,0,1]
	v_mul_f32_e32 v122, v123, v110
	s_delay_alu instid0(VALU_DEP_3) | instskip(NEXT) | instid1(VALU_DEP_2)
	v_pk_add_f32 v[22:23], v[22:23], v[126:127] neg_lo:[0,1] neg_hi:[0,1]
	v_pk_fma_f32 v[120:121], v[120:121], v[106:107], v[122:123] op_sel_hi:[1,1,0]
	s_delay_alu instid0(VALU_DEP_1) | instskip(SKIP_4) | instid1(VALU_DEP_1)
	v_mov_b32_e32 v125, v121
	ds_load_2addr_b64 v[120:123], v114 offset0:25 offset1:26
	v_pk_add_f32 v[68:69], v[68:69], v[124:125] neg_lo:[0,1] neg_hi:[0,1]
	s_wait_dscnt 0x0
	v_pk_mul_f32 v[124:125], v[120:121], v[112:113] op_sel:[0,1]
	v_pk_fma_f32 v[126:127], v[120:121], v[110:111], v[124:125] op_sel:[0,0,1] op_sel_hi:[1,1,0] neg_lo:[0,0,1] neg_hi:[0,0,1]
	v_pk_fma_f32 v[120:121], v[120:121], v[110:111], v[124:125] op_sel:[0,0,1] op_sel_hi:[1,0,0]
	s_delay_alu instid0(VALU_DEP_1) | instskip(SKIP_1) | instid1(VALU_DEP_1)
	v_mov_b32_e32 v127, v121
	v_pk_mul_f32 v[120:121], v[122:123], v[112:113] op_sel:[0,1]
	v_pk_fma_f32 v[124:125], v[122:123], v[110:111], v[120:121] op_sel:[0,0,1] op_sel_hi:[1,1,0] neg_lo:[0,0,1] neg_hi:[0,0,1]
	v_pk_fma_f32 v[120:121], v[122:123], v[110:111], v[120:121] op_sel:[0,0,1] op_sel_hi:[1,0,0]
	s_delay_alu instid0(VALU_DEP_1)
	v_mov_b32_e32 v125, v121
	ds_load_2addr_b64 v[120:123], v114 offset0:27 offset1:28
	v_pk_add_f32 v[64:65], v[64:65], v[126:127] neg_lo:[0,1] neg_hi:[0,1]
	v_pk_add_f32 v[66:67], v[66:67], v[124:125] neg_lo:[0,1] neg_hi:[0,1]
	s_wait_dscnt 0x0
	v_pk_mul_f32 v[124:125], v[120:121], v[112:113] op_sel:[0,1]
	s_delay_alu instid0(VALU_DEP_1) | instskip(SKIP_1) | instid1(VALU_DEP_1)
	v_pk_fma_f32 v[126:127], v[120:121], v[110:111], v[124:125] op_sel:[0,0,1] op_sel_hi:[1,1,0] neg_lo:[0,0,1] neg_hi:[0,0,1]
	v_pk_fma_f32 v[120:121], v[120:121], v[110:111], v[124:125] op_sel:[0,0,1] op_sel_hi:[1,0,0]
	v_mov_b32_e32 v127, v121
	v_pk_mul_f32 v[120:121], v[122:123], v[112:113] op_sel:[0,1]
	s_delay_alu instid0(VALU_DEP_1) | instskip(SKIP_1) | instid1(VALU_DEP_1)
	v_pk_fma_f32 v[124:125], v[122:123], v[110:111], v[120:121] op_sel:[0,0,1] op_sel_hi:[1,1,0] neg_lo:[0,0,1] neg_hi:[0,0,1]
	v_pk_fma_f32 v[120:121], v[122:123], v[110:111], v[120:121] op_sel:[0,0,1] op_sel_hi:[1,0,0]
	v_mov_b32_e32 v125, v121
	ds_load_2addr_b64 v[120:123], v114 offset0:29 offset1:30
	v_pk_add_f32 v[20:21], v[20:21], v[126:127] neg_lo:[0,1] neg_hi:[0,1]
	v_pk_add_f32 v[62:63], v[62:63], v[124:125] neg_lo:[0,1] neg_hi:[0,1]
	s_wait_dscnt 0x0
	v_dual_mul_f32 v124, v121, v113 :: v_dual_mul_f32 v126, v121, v110
	s_delay_alu instid0(VALU_DEP_1) | instskip(NEXT) | instid1(VALU_DEP_2)
	v_pk_fma_f32 v[124:125], v[120:121], v[106:107], v[124:125] op_sel_hi:[1,1,0] neg_lo:[0,0,1] neg_hi:[0,0,1]
	v_pk_fma_f32 v[120:121], v[120:121], v[106:107], v[126:127] op_sel:[1,0,0] op_sel_hi:[0,1,0]
	s_delay_alu instid0(VALU_DEP_1) | instskip(SKIP_1) | instid1(VALU_DEP_2)
	v_mov_b32_e32 v125, v121
	v_pk_mul_f32 v[120:121], v[122:123], v[112:113] op_sel:[0,1]
	v_pk_add_f32 v[58:59], v[58:59], v[124:125] neg_lo:[0,1] neg_hi:[0,1]
	s_delay_alu instid0(VALU_DEP_2) | instskip(SKIP_1) | instid1(VALU_DEP_1)
	v_pk_fma_f32 v[124:125], v[122:123], v[110:111], v[120:121] op_sel:[0,0,1] op_sel_hi:[1,1,0] neg_lo:[0,0,1] neg_hi:[0,0,1]
	v_pk_fma_f32 v[120:121], v[122:123], v[110:111], v[120:121] op_sel:[0,0,1] op_sel_hi:[1,0,0]
	v_mov_b32_e32 v125, v121
	ds_load_2addr_b64 v[120:123], v114 offset0:31 offset1:32
	v_pk_add_f32 v[60:61], v[60:61], v[124:125] neg_lo:[0,1] neg_hi:[0,1]
	s_wait_dscnt 0x0
	v_pk_mul_f32 v[124:125], v[120:121], v[112:113] op_sel:[0,1]
	s_delay_alu instid0(VALU_DEP_1) | instskip(SKIP_1) | instid1(VALU_DEP_1)
	v_pk_fma_f32 v[126:127], v[120:121], v[110:111], v[124:125] op_sel:[0,0,1] op_sel_hi:[1,1,0] neg_lo:[0,0,1] neg_hi:[0,0,1]
	v_pk_fma_f32 v[120:121], v[120:121], v[110:111], v[124:125] op_sel:[0,0,1] op_sel_hi:[1,0,0]
	v_mov_b32_e32 v127, v121
	v_pk_mul_f32 v[120:121], v[122:123], v[112:113] op_sel:[0,1]
	s_delay_alu instid0(VALU_DEP_2) | instskip(NEXT) | instid1(VALU_DEP_2)
	v_pk_add_f32 v[18:19], v[18:19], v[126:127] neg_lo:[0,1] neg_hi:[0,1]
	v_pk_fma_f32 v[124:125], v[122:123], v[110:111], v[120:121] op_sel:[0,0,1] op_sel_hi:[1,1,0] neg_lo:[0,0,1] neg_hi:[0,0,1]
	v_pk_fma_f32 v[120:121], v[122:123], v[110:111], v[120:121] op_sel:[0,0,1] op_sel_hi:[1,0,0]
	s_delay_alu instid0(VALU_DEP_1) | instskip(SKIP_4) | instid1(VALU_DEP_1)
	v_mov_b32_e32 v125, v121
	ds_load_2addr_b64 v[120:123], v114 offset0:33 offset1:34
	v_pk_add_f32 v[56:57], v[56:57], v[124:125] neg_lo:[0,1] neg_hi:[0,1]
	s_wait_dscnt 0x0
	v_pk_mul_f32 v[124:125], v[120:121], v[112:113] op_sel:[0,1]
	v_pk_fma_f32 v[126:127], v[120:121], v[110:111], v[124:125] op_sel:[0,0,1] op_sel_hi:[1,1,0] neg_lo:[0,0,1] neg_hi:[0,0,1]
	v_pk_fma_f32 v[120:121], v[120:121], v[110:111], v[124:125] op_sel:[0,0,1] op_sel_hi:[1,0,0]
	v_dual_mul_f32 v124, v123, v113 :: v_dual_mov_b32 v120, v123
	s_delay_alu instid0(VALU_DEP_2) | instskip(NEXT) | instid1(VALU_DEP_2)
	v_dual_mov_b32 v127, v121 :: v_dual_mov_b32 v121, v122
	v_pk_fma_f32 v[124:125], v[122:123], v[106:107], v[124:125] op_sel_hi:[1,1,0] neg_lo:[0,0,1] neg_hi:[0,0,1]
	v_mul_f32_e32 v122, v123, v110
	s_delay_alu instid0(VALU_DEP_3) | instskip(NEXT) | instid1(VALU_DEP_2)
	v_pk_add_f32 v[52:53], v[52:53], v[126:127] neg_lo:[0,1] neg_hi:[0,1]
	v_pk_fma_f32 v[120:121], v[120:121], v[106:107], v[122:123] op_sel_hi:[1,1,0]
	s_delay_alu instid0(VALU_DEP_1) | instskip(SKIP_4) | instid1(VALU_DEP_1)
	v_mov_b32_e32 v125, v121
	ds_load_2addr_b64 v[120:123], v114 offset0:35 offset1:36
	v_pk_add_f32 v[54:55], v[54:55], v[124:125] neg_lo:[0,1] neg_hi:[0,1]
	s_wait_dscnt 0x0
	v_pk_mul_f32 v[124:125], v[120:121], v[112:113] op_sel:[0,1]
	v_pk_fma_f32 v[126:127], v[120:121], v[110:111], v[124:125] op_sel:[0,0,1] op_sel_hi:[1,1,0] neg_lo:[0,0,1] neg_hi:[0,0,1]
	v_pk_fma_f32 v[120:121], v[120:121], v[110:111], v[124:125] op_sel:[0,0,1] op_sel_hi:[1,0,0]
	s_delay_alu instid0(VALU_DEP_1) | instskip(SKIP_1) | instid1(VALU_DEP_1)
	v_mov_b32_e32 v127, v121
	v_pk_mul_f32 v[120:121], v[122:123], v[112:113] op_sel:[0,1]
	v_pk_fma_f32 v[124:125], v[122:123], v[110:111], v[120:121] op_sel:[0,0,1] op_sel_hi:[1,1,0] neg_lo:[0,0,1] neg_hi:[0,0,1]
	v_pk_fma_f32 v[120:121], v[122:123], v[110:111], v[120:121] op_sel:[0,0,1] op_sel_hi:[1,0,0]
	s_delay_alu instid0(VALU_DEP_1)
	v_mov_b32_e32 v125, v121
	ds_load_2addr_b64 v[120:123], v114 offset0:37 offset1:38
	v_pk_add_f32 v[12:13], v[12:13], v[126:127] neg_lo:[0,1] neg_hi:[0,1]
	v_pk_add_f32 v[50:51], v[50:51], v[124:125] neg_lo:[0,1] neg_hi:[0,1]
	s_wait_dscnt 0x0
	v_pk_mul_f32 v[124:125], v[120:121], v[112:113] op_sel:[0,1]
	s_delay_alu instid0(VALU_DEP_1) | instskip(SKIP_1) | instid1(VALU_DEP_1)
	v_pk_fma_f32 v[126:127], v[120:121], v[110:111], v[124:125] op_sel:[0,0,1] op_sel_hi:[1,1,0] neg_lo:[0,0,1] neg_hi:[0,0,1]
	v_pk_fma_f32 v[120:121], v[120:121], v[110:111], v[124:125] op_sel:[0,0,1] op_sel_hi:[1,0,0]
	v_mov_b32_e32 v127, v121
	v_pk_mul_f32 v[120:121], v[122:123], v[112:113] op_sel:[0,1]
	s_delay_alu instid0(VALU_DEP_1) | instskip(SKIP_1) | instid1(VALU_DEP_1)
	v_pk_fma_f32 v[124:125], v[122:123], v[110:111], v[120:121] op_sel:[0,0,1] op_sel_hi:[1,1,0] neg_lo:[0,0,1] neg_hi:[0,0,1]
	v_pk_fma_f32 v[120:121], v[122:123], v[110:111], v[120:121] op_sel:[0,0,1] op_sel_hi:[1,0,0]
	v_mov_b32_e32 v125, v121
	ds_load_2addr_b64 v[120:123], v114 offset0:39 offset1:40
	v_pk_add_f32 v[46:47], v[46:47], v[126:127] neg_lo:[0,1] neg_hi:[0,1]
	v_pk_add_f32 v[48:49], v[48:49], v[124:125] neg_lo:[0,1] neg_hi:[0,1]
	s_wait_dscnt 0x0
	v_dual_mul_f32 v124, v121, v113 :: v_dual_mul_f32 v126, v121, v110
	s_delay_alu instid0(VALU_DEP_1) | instskip(NEXT) | instid1(VALU_DEP_2)
	v_pk_fma_f32 v[124:125], v[120:121], v[106:107], v[124:125] op_sel_hi:[1,1,0] neg_lo:[0,0,1] neg_hi:[0,0,1]
	v_pk_fma_f32 v[120:121], v[120:121], v[106:107], v[126:127] op_sel:[1,0,0] op_sel_hi:[0,1,0]
	s_delay_alu instid0(VALU_DEP_1) | instskip(SKIP_1) | instid1(VALU_DEP_2)
	v_mov_b32_e32 v125, v121
	v_pk_mul_f32 v[120:121], v[122:123], v[112:113] op_sel:[0,1]
	v_pk_add_f32 v[10:11], v[10:11], v[124:125] neg_lo:[0,1] neg_hi:[0,1]
	s_delay_alu instid0(VALU_DEP_2) | instskip(SKIP_1) | instid1(VALU_DEP_1)
	v_pk_fma_f32 v[124:125], v[122:123], v[110:111], v[120:121] op_sel:[0,0,1] op_sel_hi:[1,1,0] neg_lo:[0,0,1] neg_hi:[0,0,1]
	v_pk_fma_f32 v[120:121], v[122:123], v[110:111], v[120:121] op_sel:[0,0,1] op_sel_hi:[1,0,0]
	v_mov_b32_e32 v125, v121
	ds_load_2addr_b64 v[120:123], v114 offset0:41 offset1:42
	v_pk_add_f32 v[44:45], v[44:45], v[124:125] neg_lo:[0,1] neg_hi:[0,1]
	s_wait_dscnt 0x0
	v_pk_mul_f32 v[124:125], v[120:121], v[112:113] op_sel:[0,1]
	s_delay_alu instid0(VALU_DEP_1) | instskip(SKIP_1) | instid1(VALU_DEP_1)
	v_pk_fma_f32 v[126:127], v[120:121], v[110:111], v[124:125] op_sel:[0,0,1] op_sel_hi:[1,1,0] neg_lo:[0,0,1] neg_hi:[0,0,1]
	v_pk_fma_f32 v[120:121], v[120:121], v[110:111], v[124:125] op_sel:[0,0,1] op_sel_hi:[1,0,0]
	v_mov_b32_e32 v127, v121
	v_pk_mul_f32 v[120:121], v[122:123], v[112:113] op_sel:[0,1]
	s_delay_alu instid0(VALU_DEP_2) | instskip(NEXT) | instid1(VALU_DEP_2)
	v_pk_add_f32 v[40:41], v[40:41], v[126:127] neg_lo:[0,1] neg_hi:[0,1]
	v_pk_fma_f32 v[124:125], v[122:123], v[110:111], v[120:121] op_sel:[0,0,1] op_sel_hi:[1,1,0] neg_lo:[0,0,1] neg_hi:[0,0,1]
	v_pk_fma_f32 v[120:121], v[122:123], v[110:111], v[120:121] op_sel:[0,0,1] op_sel_hi:[1,0,0]
	s_delay_alu instid0(VALU_DEP_1) | instskip(SKIP_4) | instid1(VALU_DEP_1)
	v_mov_b32_e32 v125, v121
	ds_load_2addr_b64 v[120:123], v114 offset0:43 offset1:44
	v_pk_add_f32 v[42:43], v[42:43], v[124:125] neg_lo:[0,1] neg_hi:[0,1]
	s_wait_dscnt 0x0
	v_pk_mul_f32 v[124:125], v[120:121], v[112:113] op_sel:[0,1]
	v_pk_fma_f32 v[126:127], v[120:121], v[110:111], v[124:125] op_sel:[0,0,1] op_sel_hi:[1,1,0] neg_lo:[0,0,1] neg_hi:[0,0,1]
	v_pk_fma_f32 v[120:121], v[120:121], v[110:111], v[124:125] op_sel:[0,0,1] op_sel_hi:[1,0,0]
	v_dual_mul_f32 v124, v123, v113 :: v_dual_mov_b32 v120, v123
	s_delay_alu instid0(VALU_DEP_2) | instskip(NEXT) | instid1(VALU_DEP_2)
	v_dual_mov_b32 v127, v121 :: v_dual_mov_b32 v121, v122
	v_pk_fma_f32 v[124:125], v[122:123], v[106:107], v[124:125] op_sel_hi:[1,1,0] neg_lo:[0,0,1] neg_hi:[0,0,1]
	v_mul_f32_e32 v122, v123, v110
	s_delay_alu instid0(VALU_DEP_3) | instskip(NEXT) | instid1(VALU_DEP_2)
	v_pk_add_f32 v[6:7], v[6:7], v[126:127] neg_lo:[0,1] neg_hi:[0,1]
	v_pk_fma_f32 v[120:121], v[120:121], v[106:107], v[122:123] op_sel_hi:[1,1,0]
	s_delay_alu instid0(VALU_DEP_1) | instskip(SKIP_4) | instid1(VALU_DEP_1)
	v_mov_b32_e32 v125, v121
	ds_load_2addr_b64 v[120:123], v114 offset0:45 offset1:46
	v_pk_add_f32 v[36:37], v[36:37], v[124:125] neg_lo:[0,1] neg_hi:[0,1]
	s_wait_dscnt 0x0
	v_pk_mul_f32 v[124:125], v[120:121], v[112:113] op_sel:[0,1]
	v_pk_fma_f32 v[126:127], v[120:121], v[110:111], v[124:125] op_sel:[0,0,1] op_sel_hi:[1,1,0] neg_lo:[0,0,1] neg_hi:[0,0,1]
	v_pk_fma_f32 v[120:121], v[120:121], v[110:111], v[124:125] op_sel:[0,0,1] op_sel_hi:[1,0,0]
	s_delay_alu instid0(VALU_DEP_1) | instskip(SKIP_1) | instid1(VALU_DEP_1)
	v_mov_b32_e32 v127, v121
	v_pk_mul_f32 v[120:121], v[122:123], v[112:113] op_sel:[0,1]
	v_pk_fma_f32 v[124:125], v[122:123], v[110:111], v[120:121] op_sel:[0,0,1] op_sel_hi:[1,1,0] neg_lo:[0,0,1] neg_hi:[0,0,1]
	v_pk_fma_f32 v[120:121], v[122:123], v[110:111], v[120:121] op_sel:[0,0,1] op_sel_hi:[1,0,0]
	s_delay_alu instid0(VALU_DEP_1)
	v_mov_b32_e32 v125, v121
	ds_load_2addr_b64 v[120:123], v114 offset0:47 offset1:48
	v_pk_add_f32 v[30:31], v[30:31], v[126:127] neg_lo:[0,1] neg_hi:[0,1]
	v_pk_add_f32 v[34:35], v[34:35], v[124:125] neg_lo:[0,1] neg_hi:[0,1]
	s_wait_dscnt 0x0
	v_pk_mul_f32 v[124:125], v[120:121], v[112:113] op_sel:[0,1]
	s_delay_alu instid0(VALU_DEP_1) | instskip(SKIP_1) | instid1(VALU_DEP_1)
	v_pk_fma_f32 v[126:127], v[120:121], v[110:111], v[124:125] op_sel:[0,0,1] op_sel_hi:[1,1,0] neg_lo:[0,0,1] neg_hi:[0,0,1]
	v_pk_fma_f32 v[120:121], v[120:121], v[110:111], v[124:125] op_sel:[0,0,1] op_sel_hi:[1,0,0]
	v_mov_b32_e32 v127, v121
	v_pk_mul_f32 v[120:121], v[122:123], v[112:113] op_sel:[0,1]
	s_delay_alu instid0(VALU_DEP_1) | instskip(SKIP_1) | instid1(VALU_DEP_1)
	v_pk_fma_f32 v[124:125], v[122:123], v[110:111], v[120:121] op_sel:[0,0,1] op_sel_hi:[1,1,0] neg_lo:[0,0,1] neg_hi:[0,0,1]
	v_pk_fma_f32 v[120:121], v[122:123], v[110:111], v[120:121] op_sel:[0,0,1] op_sel_hi:[1,0,0]
	v_mov_b32_e32 v125, v121
	ds_load_2addr_b64 v[120:123], v114 offset0:49 offset1:50
	v_pk_add_f32 v[8:9], v[8:9], v[126:127] neg_lo:[0,1] neg_hi:[0,1]
	v_pk_add_f32 v[28:29], v[28:29], v[124:125] neg_lo:[0,1] neg_hi:[0,1]
	s_wait_dscnt 0x0
	v_dual_mul_f32 v124, v121, v113 :: v_dual_mul_f32 v126, v121, v110
	s_delay_alu instid0(VALU_DEP_1) | instskip(NEXT) | instid1(VALU_DEP_2)
	v_pk_fma_f32 v[124:125], v[120:121], v[106:107], v[124:125] op_sel_hi:[1,1,0] neg_lo:[0,0,1] neg_hi:[0,0,1]
	v_pk_fma_f32 v[120:121], v[120:121], v[106:107], v[126:127] op_sel:[1,0,0] op_sel_hi:[0,1,0]
	s_delay_alu instid0(VALU_DEP_1) | instskip(SKIP_1) | instid1(VALU_DEP_2)
	v_mov_b32_e32 v125, v121
	v_pk_mul_f32 v[120:121], v[122:123], v[112:113] op_sel:[0,1]
	v_pk_add_f32 v[16:17], v[16:17], v[124:125] neg_lo:[0,1] neg_hi:[0,1]
	s_delay_alu instid0(VALU_DEP_2) | instskip(SKIP_1) | instid1(VALU_DEP_1)
	v_pk_fma_f32 v[124:125], v[122:123], v[110:111], v[120:121] op_sel:[0,0,1] op_sel_hi:[1,1,0] neg_lo:[0,0,1] neg_hi:[0,0,1]
	v_pk_fma_f32 v[120:121], v[122:123], v[110:111], v[120:121] op_sel:[0,0,1] op_sel_hi:[1,0,0]
	v_mov_b32_e32 v125, v121
	ds_load_b64 v[120:121], v114 offset:408
	v_pk_add_f32 v[14:15], v[14:15], v[124:125] neg_lo:[0,1] neg_hi:[0,1]
	s_wait_dscnt 0x0
	v_pk_mul_f32 v[112:113], v[120:121], v[112:113] op_sel:[0,1]
	s_delay_alu instid0(VALU_DEP_1) | instskip(SKIP_1) | instid1(VALU_DEP_1)
	v_pk_fma_f32 v[122:123], v[120:121], v[110:111], v[112:113] op_sel:[0,0,1] op_sel_hi:[1,1,0] neg_lo:[0,0,1] neg_hi:[0,0,1]
	v_pk_fma_f32 v[110:111], v[120:121], v[110:111], v[112:113] op_sel:[0,0,1] op_sel_hi:[1,0,0]
	v_mov_b32_e32 v123, v111
	s_delay_alu instid0(VALU_DEP_1)
	v_pk_add_f32 v[108:109], v[108:109], v[122:123] neg_lo:[0,1] neg_hi:[0,1]
.LBB102_22:
	s_or_b32 exec_lo, exec_lo, s0
	v_lshl_add_u32 v110, v118, 3, v114
	s_barrier_signal -1
	s_barrier_wait -1
	ds_store_b64 v110, v[104:105]
	s_wait_dscnt 0x0
	s_barrier_signal -1
	s_barrier_wait -1
	ds_load_b64 v[112:113], v114 offset:8
	v_mov_b32_e32 v110, 1
	s_cmp_lt_i32 s18, 3
	s_cbranch_scc1 .LBB102_25
; %bb.23:
	v_add3_u32 v111, v115, 0, 16
	v_mov_b32_e32 v110, 1
	s_mov_b32 s0, 2
.LBB102_24:                             ; =>This Inner Loop Header: Depth=1
	ds_load_b64 v[120:121], v111
	s_wait_dscnt 0x1
	v_cmp_gt_f32_e32 vcc_lo, 0, v112
	v_cndmask_b32_e64 v122, v112, -v112, vcc_lo
	v_cmp_gt_f32_e32 vcc_lo, 0, v113
	v_cndmask_b32_e64 v124, v113, -v113, vcc_lo
	s_wait_dscnt 0x0
	v_cmp_gt_f32_e32 vcc_lo, 0, v120
	v_cndmask_b32_e64 v123, v120, -v120, vcc_lo
	v_cmp_gt_f32_e32 vcc_lo, 0, v121
	v_cndmask_b32_e64 v125, v121, -v121, vcc_lo
	s_delay_alu instid0(VALU_DEP_1) | instskip(NEXT) | instid1(VALU_DEP_1)
	v_pk_add_f32 v[122:123], v[122:123], v[124:125]
	v_cmp_lt_f32_e32 vcc_lo, v122, v123
	v_dual_add_nc_u32 v111, 8, v111 :: v_dual_cndmask_b32 v113, v113, v121, vcc_lo
	v_cndmask_b32_e32 v112, v112, v120, vcc_lo
	v_cndmask_b32_e64 v110, v110, s0, vcc_lo
	s_add_co_i32 s0, s0, 1
	s_delay_alu instid0(SALU_CYCLE_1)
	s_cmp_lg_u32 s18, s0
	s_cbranch_scc1 .LBB102_24
.LBB102_25:
	s_wait_dscnt 0x0
	v_cmp_neq_f32_e32 vcc_lo, 0, v112
	v_cmp_neq_f32_e64 s0, 0, v113
	s_or_b32 s1, vcc_lo, s0
	s_delay_alu instid0(SALU_CYCLE_1)
	s_and_saveexec_b32 s0, s1
	s_cbranch_execz .LBB102_31
; %bb.26:
	v_cmp_ngt_f32_e64 s1, |v112|, |v113|
	s_and_saveexec_b32 s12, s1
	s_delay_alu instid0(SALU_CYCLE_1)
	s_xor_b32 s1, exec_lo, s12
	s_cbranch_execz .LBB102_28
; %bb.27:
	v_div_scale_f32 v111, null, v113, v113, v112
	v_div_scale_f32 v121, vcc_lo, v112, v113, v112
	s_delay_alu instid0(VALU_DEP_2) | instskip(SKIP_1) | instid1(TRANS32_DEP_1)
	v_rcp_f32_e32 v116, v111
	v_nop
	v_fma_f32 v120, -v111, v116, 1.0
	s_delay_alu instid0(VALU_DEP_1) | instskip(NEXT) | instid1(VALU_DEP_1)
	v_fmac_f32_e32 v116, v120, v116
	v_mul_f32_e32 v120, v121, v116
	s_delay_alu instid0(VALU_DEP_1) | instskip(NEXT) | instid1(VALU_DEP_1)
	v_fma_f32 v122, -v111, v120, v121
	v_fmac_f32_e32 v120, v122, v116
	s_delay_alu instid0(VALU_DEP_1) | instskip(NEXT) | instid1(VALU_DEP_1)
	v_fma_f32 v111, -v111, v120, v121
	v_div_fmas_f32 v111, v111, v116, v120
	s_delay_alu instid0(VALU_DEP_1) | instskip(NEXT) | instid1(VALU_DEP_1)
	v_div_fixup_f32 v111, v111, v113, v112
	v_fmac_f32_e32 v113, v112, v111
	s_delay_alu instid0(VALU_DEP_1) | instskip(SKIP_1) | instid1(VALU_DEP_2)
	v_div_scale_f32 v112, null, v113, v113, 1.0
	v_div_scale_f32 v121, vcc_lo, 1.0, v113, 1.0
	v_rcp_f32_e32 v116, v112
	v_nop
	s_delay_alu instid0(TRANS32_DEP_1) | instskip(NEXT) | instid1(VALU_DEP_1)
	v_fma_f32 v120, -v112, v116, 1.0
	v_fmac_f32_e32 v116, v120, v116
	s_delay_alu instid0(VALU_DEP_1) | instskip(NEXT) | instid1(VALU_DEP_1)
	v_mul_f32_e32 v120, v121, v116
	v_fma_f32 v122, -v112, v120, v121
	s_delay_alu instid0(VALU_DEP_1) | instskip(NEXT) | instid1(VALU_DEP_1)
	v_fmac_f32_e32 v120, v122, v116
	v_fma_f32 v112, -v112, v120, v121
	s_delay_alu instid0(VALU_DEP_1) | instskip(NEXT) | instid1(VALU_DEP_1)
	v_div_fmas_f32 v112, v112, v116, v120
	v_div_fixup_f32 v113, v112, v113, 1.0
	s_delay_alu instid0(VALU_DEP_1)
	v_mul_f32_e32 v112, v111, v113
	v_xor_b32_e32 v113, 0x80000000, v113
.LBB102_28:
	s_and_not1_saveexec_b32 s1, s1
	s_cbranch_execz .LBB102_30
; %bb.29:
	s_delay_alu instid0(VALU_DEP_1) | instskip(SKIP_1) | instid1(VALU_DEP_2)
	v_div_scale_f32 v111, null, v112, v112, v113
	v_div_scale_f32 v121, vcc_lo, v113, v112, v113
	v_rcp_f32_e32 v116, v111
	v_nop
	s_delay_alu instid0(TRANS32_DEP_1) | instskip(NEXT) | instid1(VALU_DEP_1)
	v_fma_f32 v120, -v111, v116, 1.0
	v_fmac_f32_e32 v116, v120, v116
	s_delay_alu instid0(VALU_DEP_1) | instskip(NEXT) | instid1(VALU_DEP_1)
	v_mul_f32_e32 v120, v121, v116
	v_fma_f32 v122, -v111, v120, v121
	s_delay_alu instid0(VALU_DEP_1) | instskip(NEXT) | instid1(VALU_DEP_1)
	v_fmac_f32_e32 v120, v122, v116
	v_fma_f32 v111, -v111, v120, v121
	s_delay_alu instid0(VALU_DEP_1) | instskip(NEXT) | instid1(VALU_DEP_1)
	v_div_fmas_f32 v111, v111, v116, v120
	v_div_fixup_f32 v111, v111, v112, v113
	s_delay_alu instid0(VALU_DEP_1) | instskip(NEXT) | instid1(VALU_DEP_1)
	v_fmac_f32_e32 v112, v113, v111
	v_div_scale_f32 v113, null, v112, v112, 1.0
	s_delay_alu instid0(VALU_DEP_1) | instskip(SKIP_1) | instid1(TRANS32_DEP_1)
	v_rcp_f32_e32 v116, v113
	v_nop
	v_fma_f32 v120, -v113, v116, 1.0
	s_delay_alu instid0(VALU_DEP_1) | instskip(SKIP_1) | instid1(VALU_DEP_1)
	v_fmac_f32_e32 v116, v120, v116
	v_div_scale_f32 v120, vcc_lo, 1.0, v112, 1.0
	v_mul_f32_e32 v121, v120, v116
	s_delay_alu instid0(VALU_DEP_1) | instskip(NEXT) | instid1(VALU_DEP_1)
	v_fma_f32 v122, -v113, v121, v120
	v_fmac_f32_e32 v121, v122, v116
	s_delay_alu instid0(VALU_DEP_1) | instskip(NEXT) | instid1(VALU_DEP_1)
	v_fma_f32 v113, -v113, v121, v120
	v_div_fmas_f32 v113, v113, v116, v121
	s_delay_alu instid0(VALU_DEP_1) | instskip(NEXT) | instid1(VALU_DEP_1)
	v_div_fixup_f32 v112, v113, v112, 1.0
	v_mul_f32_e64 v113, v111, -v112
.LBB102_30:
	s_or_b32 exec_lo, exec_lo, s1
	v_mov_b32_e32 v116, v119
.LBB102_31:
	s_or_b32 exec_lo, exec_lo, s0
	s_delay_alu instid0(SALU_CYCLE_1)
	s_mov_b32 s0, exec_lo
	v_cmpx_ne_u32_e64 v118, v110
	s_xor_b32 s0, exec_lo, s0
	s_cbranch_execz .LBB102_37
; %bb.32:
	s_mov_b32 s1, exec_lo
	v_cmpx_eq_u32_e32 1, v118
	s_cbranch_execz .LBB102_36
; %bb.33:
	v_cmp_ne_u32_e32 vcc_lo, 1, v110
	s_xor_b32 s12, s16, -1
	s_delay_alu instid0(SALU_CYCLE_1) | instskip(NEXT) | instid1(SALU_CYCLE_1)
	s_and_b32 s13, s12, vcc_lo
	s_and_saveexec_b32 s12, s13
	s_cbranch_execz .LBB102_35
; %bb.34:
	v_ashrrev_i32_e32 v111, 31, v110
	s_delay_alu instid0(VALU_DEP_1)
	v_lshl_add_u64 v[118:119], v[110:111], 2, v[4:5]
	s_clause 0x1
	global_load_b32 v111, v[118:119], off
	global_load_b32 v117, v[4:5], off offset:4
	s_wait_loadcnt 0x1
	global_store_b32 v[4:5], v111, off offset:4
	s_wait_loadcnt 0x0
	global_store_b32 v[118:119], v117, off
.LBB102_35:
	s_wait_xcnt 0x0
	s_or_b32 exec_lo, exec_lo, s12
	v_dual_mov_b32 v118, v110 :: v_dual_mov_b32 v117, v110
.LBB102_36:
	s_or_b32 exec_lo, exec_lo, s1
.LBB102_37:
	s_and_not1_saveexec_b32 s0, s0
	s_cbranch_execz .LBB102_39
; %bb.38:
	v_dual_mov_b32 v110, v102 :: v_dual_mov_b32 v111, v103
	v_dual_mov_b32 v118, v100 :: v_dual_mov_b32 v119, v101
	v_dual_mov_b32 v120, v86 :: v_dual_mov_b32 v121, v87
	v_dual_mov_b32 v122, v82 :: v_dual_mov_b32 v123, v83
	ds_store_2addr_b64 v114, v[110:111], v[118:119] offset0:2 offset1:3
	ds_store_2addr_b64 v114, v[120:121], v[122:123] offset0:4 offset1:5
	v_dual_mov_b32 v110, v84 :: v_dual_mov_b32 v111, v85
	v_dual_mov_b32 v118, v26 :: v_dual_mov_b32 v119, v27
	v_dual_mov_b32 v120, v98 :: v_dual_mov_b32 v121, v99
	v_dual_mov_b32 v122, v94 :: v_dual_mov_b32 v123, v95
	v_dual_mov_b32 v124, v96 :: v_dual_mov_b32 v125, v97
	v_dual_mov_b32 v126, v38 :: v_dual_mov_b32 v127, v39
	v_dual_mov_b32 v128, v92 :: v_dual_mov_b32 v129, v93
	v_dual_mov_b32 v130, v88 :: v_dual_mov_b32 v131, v89
	v_dual_mov_b32 v132, v90 :: v_dual_mov_b32 v133, v91
	v_dual_mov_b32 v134, v32 :: v_dual_mov_b32 v135, v33
	v_dual_mov_b32 v136, v80 :: v_dual_mov_b32 v137, v81
	v_dual_mov_b32 v138, v76 :: v_dual_mov_b32 v139, v77
	ds_store_2addr_b64 v114, v[110:111], v[118:119] offset0:6 offset1:7
	ds_store_2addr_b64 v114, v[120:121], v[122:123] offset0:8 offset1:9
	ds_store_2addr_b64 v114, v[124:125], v[126:127] offset0:10 offset1:11
	ds_store_2addr_b64 v114, v[128:129], v[130:131] offset0:12 offset1:13
	ds_store_2addr_b64 v114, v[132:133], v[134:135] offset0:14 offset1:15
	ds_store_2addr_b64 v114, v[136:137], v[138:139] offset0:16 offset1:17
	v_dual_mov_b32 v110, v78 :: v_dual_mov_b32 v111, v79
	v_dual_mov_b32 v118, v24 :: v_dual_mov_b32 v119, v25
	v_dual_mov_b32 v120, v74 :: v_dual_mov_b32 v121, v75
	v_dual_mov_b32 v122, v70 :: v_dual_mov_b32 v123, v71
	v_dual_mov_b32 v124, v72 :: v_dual_mov_b32 v125, v73
	v_dual_mov_b32 v126, v22 :: v_dual_mov_b32 v127, v23
	v_dual_mov_b32 v128, v68 :: v_dual_mov_b32 v129, v69
	v_dual_mov_b32 v130, v64 :: v_dual_mov_b32 v131, v65
	v_dual_mov_b32 v132, v66 :: v_dual_mov_b32 v133, v67
	v_dual_mov_b32 v134, v20 :: v_dual_mov_b32 v135, v21
	v_dual_mov_b32 v136, v62 :: v_dual_mov_b32 v137, v63
	v_dual_mov_b32 v138, v58 :: v_dual_mov_b32 v139, v59
	ds_store_2addr_b64 v114, v[110:111], v[118:119] offset0:18 offset1:19
	ds_store_2addr_b64 v114, v[120:121], v[122:123] offset0:20 offset1:21
	ds_store_2addr_b64 v114, v[124:125], v[126:127] offset0:22 offset1:23
	ds_store_2addr_b64 v114, v[128:129], v[130:131] offset0:24 offset1:25
	;; [unrolled: 18-line block ×3, first 2 shown]
	ds_store_2addr_b64 v114, v[132:133], v[134:135] offset0:38 offset1:39
	ds_store_2addr_b64 v114, v[136:137], v[138:139] offset0:40 offset1:41
	v_dual_mov_b32 v110, v42 :: v_dual_mov_b32 v111, v43
	v_dual_mov_b32 v120, v6 :: v_dual_mov_b32 v121, v7
	;; [unrolled: 1-line block ×9, first 2 shown]
	v_mov_b32_e32 v135, v15
	ds_store_2addr_b64 v114, v[110:111], v[120:121] offset0:42 offset1:43
	ds_store_2addr_b64 v114, v[122:123], v[124:125] offset0:44 offset1:45
	ds_store_2addr_b64 v114, v[126:127], v[128:129] offset0:46 offset1:47
	ds_store_2addr_b64 v114, v[130:131], v[132:133] offset0:48 offset1:49
	ds_store_2addr_b64 v114, v[134:135], v[108:109] offset0:50 offset1:51
.LBB102_39:
	s_or_b32 exec_lo, exec_lo, s0
	s_delay_alu instid0(SALU_CYCLE_1)
	s_mov_b32 s0, exec_lo
	s_wait_storecnt_dscnt 0x0
	s_barrier_signal -1
	s_barrier_wait -1
	v_cmpx_lt_i32_e32 1, v118
	s_cbranch_execz .LBB102_41
; %bb.40:
	v_pk_mul_f32 v[120:121], v[112:113], v[104:105] op_sel:[1,1] op_sel_hi:[0,1]
	s_delay_alu instid0(VALU_DEP_1)
	v_pk_fma_f32 v[110:111], v[112:113], v[104:105], v[120:121] op_sel_hi:[1,0,1] neg_lo:[0,0,1] neg_hi:[0,0,1]
	v_pk_fma_f32 v[112:113], v[112:113], v[104:105], v[120:121] op_sel_hi:[1,0,1]
	ds_load_2addr_b64 v[120:123], v114 offset0:2 offset1:3
	v_dual_mov_b32 v104, v110 :: v_dual_mov_b32 v105, v113
	s_wait_dscnt 0x0
	v_pk_mul_f32 v[124:125], v[120:121], v[112:113] op_sel:[0,1]
	s_delay_alu instid0(VALU_DEP_1) | instskip(SKIP_1) | instid1(VALU_DEP_1)
	v_pk_fma_f32 v[126:127], v[120:121], v[110:111], v[124:125] op_sel:[0,0,1] op_sel_hi:[1,1,0] neg_lo:[0,0,1] neg_hi:[0,0,1]
	v_pk_fma_f32 v[120:121], v[120:121], v[110:111], v[124:125] op_sel:[0,0,1] op_sel_hi:[1,0,0]
	v_mov_b32_e32 v127, v121
	v_pk_mul_f32 v[120:121], v[122:123], v[112:113] op_sel:[0,1]
	s_delay_alu instid0(VALU_DEP_1) | instskip(SKIP_1) | instid1(VALU_DEP_1)
	v_pk_fma_f32 v[124:125], v[122:123], v[110:111], v[120:121] op_sel:[0,0,1] op_sel_hi:[1,1,0] neg_lo:[0,0,1] neg_hi:[0,0,1]
	v_pk_fma_f32 v[120:121], v[122:123], v[110:111], v[120:121] op_sel:[0,0,1] op_sel_hi:[1,0,0]
	v_mov_b32_e32 v125, v121
	ds_load_2addr_b64 v[120:123], v114 offset0:4 offset1:5
	v_pk_add_f32 v[102:103], v[102:103], v[126:127] neg_lo:[0,1] neg_hi:[0,1]
	v_pk_add_f32 v[100:101], v[100:101], v[124:125] neg_lo:[0,1] neg_hi:[0,1]
	s_wait_dscnt 0x0
	v_pk_mul_f32 v[124:125], v[120:121], v[112:113] op_sel:[0,1]
	s_delay_alu instid0(VALU_DEP_1) | instskip(SKIP_2) | instid1(VALU_DEP_2)
	v_pk_fma_f32 v[126:127], v[120:121], v[110:111], v[124:125] op_sel:[0,0,1] op_sel_hi:[1,1,0] neg_lo:[0,0,1] neg_hi:[0,0,1]
	v_pk_fma_f32 v[120:121], v[120:121], v[110:111], v[124:125] op_sel:[0,0,1] op_sel_hi:[1,0,0]
	v_dual_mul_f32 v124, v123, v113 :: v_dual_mov_b32 v120, v123
	v_dual_mov_b32 v127, v121 :: v_dual_mov_b32 v121, v122
	s_delay_alu instid0(VALU_DEP_2) | instskip(SKIP_1) | instid1(VALU_DEP_3)
	v_pk_fma_f32 v[124:125], v[122:123], v[104:105], v[124:125] op_sel_hi:[1,1,0] neg_lo:[0,0,1] neg_hi:[0,0,1]
	v_mul_f32_e32 v122, v123, v110
	v_pk_add_f32 v[86:87], v[86:87], v[126:127] neg_lo:[0,1] neg_hi:[0,1]
	s_delay_alu instid0(VALU_DEP_2) | instskip(NEXT) | instid1(VALU_DEP_1)
	v_pk_fma_f32 v[120:121], v[120:121], v[104:105], v[122:123] op_sel_hi:[1,1,0]
	v_mov_b32_e32 v125, v121
	ds_load_2addr_b64 v[120:123], v114 offset0:6 offset1:7
	v_pk_add_f32 v[82:83], v[82:83], v[124:125] neg_lo:[0,1] neg_hi:[0,1]
	s_wait_dscnt 0x0
	v_pk_mul_f32 v[124:125], v[120:121], v[112:113] op_sel:[0,1]
	s_delay_alu instid0(VALU_DEP_1) | instskip(SKIP_1) | instid1(VALU_DEP_1)
	v_pk_fma_f32 v[126:127], v[120:121], v[110:111], v[124:125] op_sel:[0,0,1] op_sel_hi:[1,1,0] neg_lo:[0,0,1] neg_hi:[0,0,1]
	v_pk_fma_f32 v[120:121], v[120:121], v[110:111], v[124:125] op_sel:[0,0,1] op_sel_hi:[1,0,0]
	v_mov_b32_e32 v127, v121
	v_pk_mul_f32 v[120:121], v[122:123], v[112:113] op_sel:[0,1]
	s_delay_alu instid0(VALU_DEP_1) | instskip(SKIP_1) | instid1(VALU_DEP_1)
	v_pk_fma_f32 v[124:125], v[122:123], v[110:111], v[120:121] op_sel:[0,0,1] op_sel_hi:[1,1,0] neg_lo:[0,0,1] neg_hi:[0,0,1]
	v_pk_fma_f32 v[120:121], v[122:123], v[110:111], v[120:121] op_sel:[0,0,1] op_sel_hi:[1,0,0]
	v_mov_b32_e32 v125, v121
	ds_load_2addr_b64 v[120:123], v114 offset0:8 offset1:9
	v_pk_add_f32 v[84:85], v[84:85], v[126:127] neg_lo:[0,1] neg_hi:[0,1]
	v_pk_add_f32 v[26:27], v[26:27], v[124:125] neg_lo:[0,1] neg_hi:[0,1]
	s_wait_dscnt 0x0
	v_pk_mul_f32 v[124:125], v[120:121], v[112:113] op_sel:[0,1]
	s_delay_alu instid0(VALU_DEP_1) | instskip(SKIP_1) | instid1(VALU_DEP_1)
	v_pk_fma_f32 v[126:127], v[120:121], v[110:111], v[124:125] op_sel:[0,0,1] op_sel_hi:[1,1,0] neg_lo:[0,0,1] neg_hi:[0,0,1]
	v_pk_fma_f32 v[120:121], v[120:121], v[110:111], v[124:125] op_sel:[0,0,1] op_sel_hi:[1,0,0]
	v_mov_b32_e32 v127, v121
	v_pk_mul_f32 v[120:121], v[122:123], v[112:113] op_sel:[0,1]
	s_delay_alu instid0(VALU_DEP_1) | instskip(SKIP_1) | instid1(VALU_DEP_1)
	v_pk_fma_f32 v[124:125], v[122:123], v[110:111], v[120:121] op_sel:[0,0,1] op_sel_hi:[1,1,0] neg_lo:[0,0,1] neg_hi:[0,0,1]
	v_pk_fma_f32 v[120:121], v[122:123], v[110:111], v[120:121] op_sel:[0,0,1] op_sel_hi:[1,0,0]
	v_mov_b32_e32 v125, v121
	ds_load_2addr_b64 v[120:123], v114 offset0:10 offset1:11
	v_pk_add_f32 v[98:99], v[98:99], v[126:127] neg_lo:[0,1] neg_hi:[0,1]
	v_pk_add_f32 v[94:95], v[94:95], v[124:125] neg_lo:[0,1] neg_hi:[0,1]
	s_wait_dscnt 0x0
	v_dual_mul_f32 v124, v121, v113 :: v_dual_mul_f32 v126, v121, v110
	s_delay_alu instid0(VALU_DEP_1) | instskip(NEXT) | instid1(VALU_DEP_2)
	v_pk_fma_f32 v[124:125], v[120:121], v[104:105], v[124:125] op_sel_hi:[1,1,0] neg_lo:[0,0,1] neg_hi:[0,0,1]
	v_pk_fma_f32 v[120:121], v[120:121], v[104:105], v[126:127] op_sel:[1,0,0] op_sel_hi:[0,1,0]
	s_delay_alu instid0(VALU_DEP_1) | instskip(SKIP_1) | instid1(VALU_DEP_2)
	v_mov_b32_e32 v125, v121
	v_pk_mul_f32 v[120:121], v[122:123], v[112:113] op_sel:[0,1]
	v_pk_add_f32 v[96:97], v[96:97], v[124:125] neg_lo:[0,1] neg_hi:[0,1]
	s_delay_alu instid0(VALU_DEP_2) | instskip(SKIP_1) | instid1(VALU_DEP_1)
	v_pk_fma_f32 v[124:125], v[122:123], v[110:111], v[120:121] op_sel:[0,0,1] op_sel_hi:[1,1,0] neg_lo:[0,0,1] neg_hi:[0,0,1]
	v_pk_fma_f32 v[120:121], v[122:123], v[110:111], v[120:121] op_sel:[0,0,1] op_sel_hi:[1,0,0]
	v_mov_b32_e32 v125, v121
	ds_load_2addr_b64 v[120:123], v114 offset0:12 offset1:13
	v_pk_add_f32 v[38:39], v[38:39], v[124:125] neg_lo:[0,1] neg_hi:[0,1]
	s_wait_dscnt 0x0
	v_pk_mul_f32 v[124:125], v[120:121], v[112:113] op_sel:[0,1]
	s_delay_alu instid0(VALU_DEP_1) | instskip(SKIP_1) | instid1(VALU_DEP_1)
	v_pk_fma_f32 v[126:127], v[120:121], v[110:111], v[124:125] op_sel:[0,0,1] op_sel_hi:[1,1,0] neg_lo:[0,0,1] neg_hi:[0,0,1]
	v_pk_fma_f32 v[120:121], v[120:121], v[110:111], v[124:125] op_sel:[0,0,1] op_sel_hi:[1,0,0]
	v_mov_b32_e32 v127, v121
	v_pk_mul_f32 v[120:121], v[122:123], v[112:113] op_sel:[0,1]
	s_delay_alu instid0(VALU_DEP_2) | instskip(NEXT) | instid1(VALU_DEP_2)
	v_pk_add_f32 v[92:93], v[92:93], v[126:127] neg_lo:[0,1] neg_hi:[0,1]
	v_pk_fma_f32 v[124:125], v[122:123], v[110:111], v[120:121] op_sel:[0,0,1] op_sel_hi:[1,1,0] neg_lo:[0,0,1] neg_hi:[0,0,1]
	v_pk_fma_f32 v[120:121], v[122:123], v[110:111], v[120:121] op_sel:[0,0,1] op_sel_hi:[1,0,0]
	s_delay_alu instid0(VALU_DEP_1) | instskip(SKIP_4) | instid1(VALU_DEP_1)
	v_mov_b32_e32 v125, v121
	ds_load_2addr_b64 v[120:123], v114 offset0:14 offset1:15
	v_pk_add_f32 v[88:89], v[88:89], v[124:125] neg_lo:[0,1] neg_hi:[0,1]
	s_wait_dscnt 0x0
	v_pk_mul_f32 v[124:125], v[120:121], v[112:113] op_sel:[0,1]
	v_pk_fma_f32 v[126:127], v[120:121], v[110:111], v[124:125] op_sel:[0,0,1] op_sel_hi:[1,1,0] neg_lo:[0,0,1] neg_hi:[0,0,1]
	v_pk_fma_f32 v[120:121], v[120:121], v[110:111], v[124:125] op_sel:[0,0,1] op_sel_hi:[1,0,0]
	v_dual_mul_f32 v124, v123, v113 :: v_dual_mov_b32 v120, v123
	s_delay_alu instid0(VALU_DEP_2) | instskip(NEXT) | instid1(VALU_DEP_2)
	v_dual_mov_b32 v127, v121 :: v_dual_mov_b32 v121, v122
	v_pk_fma_f32 v[124:125], v[122:123], v[104:105], v[124:125] op_sel_hi:[1,1,0] neg_lo:[0,0,1] neg_hi:[0,0,1]
	v_mul_f32_e32 v122, v123, v110
	s_delay_alu instid0(VALU_DEP_3) | instskip(NEXT) | instid1(VALU_DEP_2)
	v_pk_add_f32 v[90:91], v[90:91], v[126:127] neg_lo:[0,1] neg_hi:[0,1]
	v_pk_fma_f32 v[120:121], v[120:121], v[104:105], v[122:123] op_sel_hi:[1,1,0]
	s_delay_alu instid0(VALU_DEP_1) | instskip(SKIP_4) | instid1(VALU_DEP_1)
	v_mov_b32_e32 v125, v121
	ds_load_2addr_b64 v[120:123], v114 offset0:16 offset1:17
	v_pk_add_f32 v[32:33], v[32:33], v[124:125] neg_lo:[0,1] neg_hi:[0,1]
	s_wait_dscnt 0x0
	v_pk_mul_f32 v[124:125], v[120:121], v[112:113] op_sel:[0,1]
	v_pk_fma_f32 v[126:127], v[120:121], v[110:111], v[124:125] op_sel:[0,0,1] op_sel_hi:[1,1,0] neg_lo:[0,0,1] neg_hi:[0,0,1]
	v_pk_fma_f32 v[120:121], v[120:121], v[110:111], v[124:125] op_sel:[0,0,1] op_sel_hi:[1,0,0]
	s_delay_alu instid0(VALU_DEP_1) | instskip(SKIP_1) | instid1(VALU_DEP_1)
	v_mov_b32_e32 v127, v121
	v_pk_mul_f32 v[120:121], v[122:123], v[112:113] op_sel:[0,1]
	v_pk_fma_f32 v[124:125], v[122:123], v[110:111], v[120:121] op_sel:[0,0,1] op_sel_hi:[1,1,0] neg_lo:[0,0,1] neg_hi:[0,0,1]
	v_pk_fma_f32 v[120:121], v[122:123], v[110:111], v[120:121] op_sel:[0,0,1] op_sel_hi:[1,0,0]
	s_delay_alu instid0(VALU_DEP_1)
	v_mov_b32_e32 v125, v121
	ds_load_2addr_b64 v[120:123], v114 offset0:18 offset1:19
	v_pk_add_f32 v[80:81], v[80:81], v[126:127] neg_lo:[0,1] neg_hi:[0,1]
	v_pk_add_f32 v[76:77], v[76:77], v[124:125] neg_lo:[0,1] neg_hi:[0,1]
	s_wait_dscnt 0x0
	v_pk_mul_f32 v[124:125], v[120:121], v[112:113] op_sel:[0,1]
	s_delay_alu instid0(VALU_DEP_1) | instskip(SKIP_1) | instid1(VALU_DEP_1)
	v_pk_fma_f32 v[126:127], v[120:121], v[110:111], v[124:125] op_sel:[0,0,1] op_sel_hi:[1,1,0] neg_lo:[0,0,1] neg_hi:[0,0,1]
	v_pk_fma_f32 v[120:121], v[120:121], v[110:111], v[124:125] op_sel:[0,0,1] op_sel_hi:[1,0,0]
	v_mov_b32_e32 v127, v121
	v_pk_mul_f32 v[120:121], v[122:123], v[112:113] op_sel:[0,1]
	s_delay_alu instid0(VALU_DEP_1) | instskip(SKIP_1) | instid1(VALU_DEP_1)
	v_pk_fma_f32 v[124:125], v[122:123], v[110:111], v[120:121] op_sel:[0,0,1] op_sel_hi:[1,1,0] neg_lo:[0,0,1] neg_hi:[0,0,1]
	v_pk_fma_f32 v[120:121], v[122:123], v[110:111], v[120:121] op_sel:[0,0,1] op_sel_hi:[1,0,0]
	v_mov_b32_e32 v125, v121
	ds_load_2addr_b64 v[120:123], v114 offset0:20 offset1:21
	v_pk_add_f32 v[78:79], v[78:79], v[126:127] neg_lo:[0,1] neg_hi:[0,1]
	v_pk_add_f32 v[24:25], v[24:25], v[124:125] neg_lo:[0,1] neg_hi:[0,1]
	s_wait_dscnt 0x0
	v_dual_mul_f32 v124, v121, v113 :: v_dual_mul_f32 v126, v121, v110
	s_delay_alu instid0(VALU_DEP_1) | instskip(NEXT) | instid1(VALU_DEP_2)
	v_pk_fma_f32 v[124:125], v[120:121], v[104:105], v[124:125] op_sel_hi:[1,1,0] neg_lo:[0,0,1] neg_hi:[0,0,1]
	v_pk_fma_f32 v[120:121], v[120:121], v[104:105], v[126:127] op_sel:[1,0,0] op_sel_hi:[0,1,0]
	s_delay_alu instid0(VALU_DEP_1) | instskip(SKIP_1) | instid1(VALU_DEP_2)
	v_mov_b32_e32 v125, v121
	v_pk_mul_f32 v[120:121], v[122:123], v[112:113] op_sel:[0,1]
	v_pk_add_f32 v[74:75], v[74:75], v[124:125] neg_lo:[0,1] neg_hi:[0,1]
	s_delay_alu instid0(VALU_DEP_2) | instskip(SKIP_1) | instid1(VALU_DEP_1)
	v_pk_fma_f32 v[124:125], v[122:123], v[110:111], v[120:121] op_sel:[0,0,1] op_sel_hi:[1,1,0] neg_lo:[0,0,1] neg_hi:[0,0,1]
	v_pk_fma_f32 v[120:121], v[122:123], v[110:111], v[120:121] op_sel:[0,0,1] op_sel_hi:[1,0,0]
	v_mov_b32_e32 v125, v121
	ds_load_2addr_b64 v[120:123], v114 offset0:22 offset1:23
	v_pk_add_f32 v[70:71], v[70:71], v[124:125] neg_lo:[0,1] neg_hi:[0,1]
	s_wait_dscnt 0x0
	v_pk_mul_f32 v[124:125], v[120:121], v[112:113] op_sel:[0,1]
	s_delay_alu instid0(VALU_DEP_1) | instskip(SKIP_1) | instid1(VALU_DEP_1)
	v_pk_fma_f32 v[126:127], v[120:121], v[110:111], v[124:125] op_sel:[0,0,1] op_sel_hi:[1,1,0] neg_lo:[0,0,1] neg_hi:[0,0,1]
	v_pk_fma_f32 v[120:121], v[120:121], v[110:111], v[124:125] op_sel:[0,0,1] op_sel_hi:[1,0,0]
	v_mov_b32_e32 v127, v121
	v_pk_mul_f32 v[120:121], v[122:123], v[112:113] op_sel:[0,1]
	s_delay_alu instid0(VALU_DEP_2) | instskip(NEXT) | instid1(VALU_DEP_2)
	v_pk_add_f32 v[72:73], v[72:73], v[126:127] neg_lo:[0,1] neg_hi:[0,1]
	v_pk_fma_f32 v[124:125], v[122:123], v[110:111], v[120:121] op_sel:[0,0,1] op_sel_hi:[1,1,0] neg_lo:[0,0,1] neg_hi:[0,0,1]
	v_pk_fma_f32 v[120:121], v[122:123], v[110:111], v[120:121] op_sel:[0,0,1] op_sel_hi:[1,0,0]
	s_delay_alu instid0(VALU_DEP_1) | instskip(SKIP_4) | instid1(VALU_DEP_1)
	v_mov_b32_e32 v125, v121
	ds_load_2addr_b64 v[120:123], v114 offset0:24 offset1:25
	v_pk_add_f32 v[22:23], v[22:23], v[124:125] neg_lo:[0,1] neg_hi:[0,1]
	s_wait_dscnt 0x0
	v_pk_mul_f32 v[124:125], v[120:121], v[112:113] op_sel:[0,1]
	v_pk_fma_f32 v[126:127], v[120:121], v[110:111], v[124:125] op_sel:[0,0,1] op_sel_hi:[1,1,0] neg_lo:[0,0,1] neg_hi:[0,0,1]
	v_pk_fma_f32 v[120:121], v[120:121], v[110:111], v[124:125] op_sel:[0,0,1] op_sel_hi:[1,0,0]
	v_dual_mul_f32 v124, v123, v113 :: v_dual_mov_b32 v120, v123
	s_delay_alu instid0(VALU_DEP_2) | instskip(NEXT) | instid1(VALU_DEP_2)
	v_dual_mov_b32 v127, v121 :: v_dual_mov_b32 v121, v122
	v_pk_fma_f32 v[124:125], v[122:123], v[104:105], v[124:125] op_sel_hi:[1,1,0] neg_lo:[0,0,1] neg_hi:[0,0,1]
	v_mul_f32_e32 v122, v123, v110
	s_delay_alu instid0(VALU_DEP_3) | instskip(NEXT) | instid1(VALU_DEP_2)
	v_pk_add_f32 v[68:69], v[68:69], v[126:127] neg_lo:[0,1] neg_hi:[0,1]
	v_pk_fma_f32 v[120:121], v[120:121], v[104:105], v[122:123] op_sel_hi:[1,1,0]
	s_delay_alu instid0(VALU_DEP_1) | instskip(SKIP_4) | instid1(VALU_DEP_1)
	v_mov_b32_e32 v125, v121
	ds_load_2addr_b64 v[120:123], v114 offset0:26 offset1:27
	v_pk_add_f32 v[64:65], v[64:65], v[124:125] neg_lo:[0,1] neg_hi:[0,1]
	s_wait_dscnt 0x0
	v_pk_mul_f32 v[124:125], v[120:121], v[112:113] op_sel:[0,1]
	v_pk_fma_f32 v[126:127], v[120:121], v[110:111], v[124:125] op_sel:[0,0,1] op_sel_hi:[1,1,0] neg_lo:[0,0,1] neg_hi:[0,0,1]
	v_pk_fma_f32 v[120:121], v[120:121], v[110:111], v[124:125] op_sel:[0,0,1] op_sel_hi:[1,0,0]
	s_delay_alu instid0(VALU_DEP_1) | instskip(SKIP_1) | instid1(VALU_DEP_1)
	v_mov_b32_e32 v127, v121
	v_pk_mul_f32 v[120:121], v[122:123], v[112:113] op_sel:[0,1]
	v_pk_fma_f32 v[124:125], v[122:123], v[110:111], v[120:121] op_sel:[0,0,1] op_sel_hi:[1,1,0] neg_lo:[0,0,1] neg_hi:[0,0,1]
	v_pk_fma_f32 v[120:121], v[122:123], v[110:111], v[120:121] op_sel:[0,0,1] op_sel_hi:[1,0,0]
	s_delay_alu instid0(VALU_DEP_1)
	v_mov_b32_e32 v125, v121
	ds_load_2addr_b64 v[120:123], v114 offset0:28 offset1:29
	v_pk_add_f32 v[66:67], v[66:67], v[126:127] neg_lo:[0,1] neg_hi:[0,1]
	v_pk_add_f32 v[20:21], v[20:21], v[124:125] neg_lo:[0,1] neg_hi:[0,1]
	s_wait_dscnt 0x0
	v_pk_mul_f32 v[124:125], v[120:121], v[112:113] op_sel:[0,1]
	s_delay_alu instid0(VALU_DEP_1) | instskip(SKIP_1) | instid1(VALU_DEP_1)
	v_pk_fma_f32 v[126:127], v[120:121], v[110:111], v[124:125] op_sel:[0,0,1] op_sel_hi:[1,1,0] neg_lo:[0,0,1] neg_hi:[0,0,1]
	v_pk_fma_f32 v[120:121], v[120:121], v[110:111], v[124:125] op_sel:[0,0,1] op_sel_hi:[1,0,0]
	v_mov_b32_e32 v127, v121
	v_pk_mul_f32 v[120:121], v[122:123], v[112:113] op_sel:[0,1]
	s_delay_alu instid0(VALU_DEP_1) | instskip(SKIP_1) | instid1(VALU_DEP_1)
	v_pk_fma_f32 v[124:125], v[122:123], v[110:111], v[120:121] op_sel:[0,0,1] op_sel_hi:[1,1,0] neg_lo:[0,0,1] neg_hi:[0,0,1]
	v_pk_fma_f32 v[120:121], v[122:123], v[110:111], v[120:121] op_sel:[0,0,1] op_sel_hi:[1,0,0]
	v_mov_b32_e32 v125, v121
	ds_load_2addr_b64 v[120:123], v114 offset0:30 offset1:31
	v_pk_add_f32 v[62:63], v[62:63], v[126:127] neg_lo:[0,1] neg_hi:[0,1]
	v_pk_add_f32 v[58:59], v[58:59], v[124:125] neg_lo:[0,1] neg_hi:[0,1]
	s_wait_dscnt 0x0
	v_dual_mul_f32 v124, v121, v113 :: v_dual_mul_f32 v126, v121, v110
	s_delay_alu instid0(VALU_DEP_1) | instskip(NEXT) | instid1(VALU_DEP_2)
	v_pk_fma_f32 v[124:125], v[120:121], v[104:105], v[124:125] op_sel_hi:[1,1,0] neg_lo:[0,0,1] neg_hi:[0,0,1]
	v_pk_fma_f32 v[120:121], v[120:121], v[104:105], v[126:127] op_sel:[1,0,0] op_sel_hi:[0,1,0]
	s_delay_alu instid0(VALU_DEP_1) | instskip(SKIP_1) | instid1(VALU_DEP_2)
	v_mov_b32_e32 v125, v121
	v_pk_mul_f32 v[120:121], v[122:123], v[112:113] op_sel:[0,1]
	v_pk_add_f32 v[60:61], v[60:61], v[124:125] neg_lo:[0,1] neg_hi:[0,1]
	s_delay_alu instid0(VALU_DEP_2) | instskip(SKIP_1) | instid1(VALU_DEP_1)
	v_pk_fma_f32 v[124:125], v[122:123], v[110:111], v[120:121] op_sel:[0,0,1] op_sel_hi:[1,1,0] neg_lo:[0,0,1] neg_hi:[0,0,1]
	v_pk_fma_f32 v[120:121], v[122:123], v[110:111], v[120:121] op_sel:[0,0,1] op_sel_hi:[1,0,0]
	v_mov_b32_e32 v125, v121
	ds_load_2addr_b64 v[120:123], v114 offset0:32 offset1:33
	v_pk_add_f32 v[18:19], v[18:19], v[124:125] neg_lo:[0,1] neg_hi:[0,1]
	s_wait_dscnt 0x0
	v_pk_mul_f32 v[124:125], v[120:121], v[112:113] op_sel:[0,1]
	s_delay_alu instid0(VALU_DEP_1) | instskip(SKIP_1) | instid1(VALU_DEP_1)
	v_pk_fma_f32 v[126:127], v[120:121], v[110:111], v[124:125] op_sel:[0,0,1] op_sel_hi:[1,1,0] neg_lo:[0,0,1] neg_hi:[0,0,1]
	v_pk_fma_f32 v[120:121], v[120:121], v[110:111], v[124:125] op_sel:[0,0,1] op_sel_hi:[1,0,0]
	v_mov_b32_e32 v127, v121
	v_pk_mul_f32 v[120:121], v[122:123], v[112:113] op_sel:[0,1]
	s_delay_alu instid0(VALU_DEP_2) | instskip(NEXT) | instid1(VALU_DEP_2)
	v_pk_add_f32 v[56:57], v[56:57], v[126:127] neg_lo:[0,1] neg_hi:[0,1]
	v_pk_fma_f32 v[124:125], v[122:123], v[110:111], v[120:121] op_sel:[0,0,1] op_sel_hi:[1,1,0] neg_lo:[0,0,1] neg_hi:[0,0,1]
	v_pk_fma_f32 v[120:121], v[122:123], v[110:111], v[120:121] op_sel:[0,0,1] op_sel_hi:[1,0,0]
	s_delay_alu instid0(VALU_DEP_1) | instskip(SKIP_4) | instid1(VALU_DEP_1)
	v_mov_b32_e32 v125, v121
	ds_load_2addr_b64 v[120:123], v114 offset0:34 offset1:35
	v_pk_add_f32 v[52:53], v[52:53], v[124:125] neg_lo:[0,1] neg_hi:[0,1]
	s_wait_dscnt 0x0
	v_pk_mul_f32 v[124:125], v[120:121], v[112:113] op_sel:[0,1]
	v_pk_fma_f32 v[126:127], v[120:121], v[110:111], v[124:125] op_sel:[0,0,1] op_sel_hi:[1,1,0] neg_lo:[0,0,1] neg_hi:[0,0,1]
	v_pk_fma_f32 v[120:121], v[120:121], v[110:111], v[124:125] op_sel:[0,0,1] op_sel_hi:[1,0,0]
	v_dual_mul_f32 v124, v123, v113 :: v_dual_mov_b32 v120, v123
	s_delay_alu instid0(VALU_DEP_2) | instskip(NEXT) | instid1(VALU_DEP_2)
	v_dual_mov_b32 v127, v121 :: v_dual_mov_b32 v121, v122
	v_pk_fma_f32 v[124:125], v[122:123], v[104:105], v[124:125] op_sel_hi:[1,1,0] neg_lo:[0,0,1] neg_hi:[0,0,1]
	v_mul_f32_e32 v122, v123, v110
	s_delay_alu instid0(VALU_DEP_3) | instskip(NEXT) | instid1(VALU_DEP_2)
	v_pk_add_f32 v[54:55], v[54:55], v[126:127] neg_lo:[0,1] neg_hi:[0,1]
	v_pk_fma_f32 v[120:121], v[120:121], v[104:105], v[122:123] op_sel_hi:[1,1,0]
	s_delay_alu instid0(VALU_DEP_1) | instskip(SKIP_4) | instid1(VALU_DEP_1)
	v_mov_b32_e32 v125, v121
	ds_load_2addr_b64 v[120:123], v114 offset0:36 offset1:37
	v_pk_add_f32 v[12:13], v[12:13], v[124:125] neg_lo:[0,1] neg_hi:[0,1]
	s_wait_dscnt 0x0
	v_pk_mul_f32 v[124:125], v[120:121], v[112:113] op_sel:[0,1]
	v_pk_fma_f32 v[126:127], v[120:121], v[110:111], v[124:125] op_sel:[0,0,1] op_sel_hi:[1,1,0] neg_lo:[0,0,1] neg_hi:[0,0,1]
	v_pk_fma_f32 v[120:121], v[120:121], v[110:111], v[124:125] op_sel:[0,0,1] op_sel_hi:[1,0,0]
	s_delay_alu instid0(VALU_DEP_1) | instskip(SKIP_1) | instid1(VALU_DEP_1)
	v_mov_b32_e32 v127, v121
	v_pk_mul_f32 v[120:121], v[122:123], v[112:113] op_sel:[0,1]
	v_pk_fma_f32 v[124:125], v[122:123], v[110:111], v[120:121] op_sel:[0,0,1] op_sel_hi:[1,1,0] neg_lo:[0,0,1] neg_hi:[0,0,1]
	v_pk_fma_f32 v[120:121], v[122:123], v[110:111], v[120:121] op_sel:[0,0,1] op_sel_hi:[1,0,0]
	s_delay_alu instid0(VALU_DEP_1)
	v_mov_b32_e32 v125, v121
	ds_load_2addr_b64 v[120:123], v114 offset0:38 offset1:39
	v_pk_add_f32 v[50:51], v[50:51], v[126:127] neg_lo:[0,1] neg_hi:[0,1]
	v_pk_add_f32 v[46:47], v[46:47], v[124:125] neg_lo:[0,1] neg_hi:[0,1]
	s_wait_dscnt 0x0
	v_pk_mul_f32 v[124:125], v[120:121], v[112:113] op_sel:[0,1]
	s_delay_alu instid0(VALU_DEP_1) | instskip(SKIP_1) | instid1(VALU_DEP_1)
	v_pk_fma_f32 v[126:127], v[120:121], v[110:111], v[124:125] op_sel:[0,0,1] op_sel_hi:[1,1,0] neg_lo:[0,0,1] neg_hi:[0,0,1]
	v_pk_fma_f32 v[120:121], v[120:121], v[110:111], v[124:125] op_sel:[0,0,1] op_sel_hi:[1,0,0]
	v_mov_b32_e32 v127, v121
	v_pk_mul_f32 v[120:121], v[122:123], v[112:113] op_sel:[0,1]
	s_delay_alu instid0(VALU_DEP_1) | instskip(SKIP_1) | instid1(VALU_DEP_1)
	v_pk_fma_f32 v[124:125], v[122:123], v[110:111], v[120:121] op_sel:[0,0,1] op_sel_hi:[1,1,0] neg_lo:[0,0,1] neg_hi:[0,0,1]
	v_pk_fma_f32 v[120:121], v[122:123], v[110:111], v[120:121] op_sel:[0,0,1] op_sel_hi:[1,0,0]
	v_mov_b32_e32 v125, v121
	ds_load_2addr_b64 v[120:123], v114 offset0:40 offset1:41
	v_pk_add_f32 v[48:49], v[48:49], v[126:127] neg_lo:[0,1] neg_hi:[0,1]
	v_pk_add_f32 v[10:11], v[10:11], v[124:125] neg_lo:[0,1] neg_hi:[0,1]
	s_wait_dscnt 0x0
	v_dual_mul_f32 v124, v121, v113 :: v_dual_mul_f32 v126, v121, v110
	s_delay_alu instid0(VALU_DEP_1) | instskip(NEXT) | instid1(VALU_DEP_2)
	v_pk_fma_f32 v[124:125], v[120:121], v[104:105], v[124:125] op_sel_hi:[1,1,0] neg_lo:[0,0,1] neg_hi:[0,0,1]
	v_pk_fma_f32 v[120:121], v[120:121], v[104:105], v[126:127] op_sel:[1,0,0] op_sel_hi:[0,1,0]
	s_delay_alu instid0(VALU_DEP_1) | instskip(SKIP_1) | instid1(VALU_DEP_2)
	v_mov_b32_e32 v125, v121
	v_pk_mul_f32 v[120:121], v[122:123], v[112:113] op_sel:[0,1]
	v_pk_add_f32 v[44:45], v[44:45], v[124:125] neg_lo:[0,1] neg_hi:[0,1]
	s_delay_alu instid0(VALU_DEP_2) | instskip(SKIP_1) | instid1(VALU_DEP_1)
	v_pk_fma_f32 v[124:125], v[122:123], v[110:111], v[120:121] op_sel:[0,0,1] op_sel_hi:[1,1,0] neg_lo:[0,0,1] neg_hi:[0,0,1]
	v_pk_fma_f32 v[120:121], v[122:123], v[110:111], v[120:121] op_sel:[0,0,1] op_sel_hi:[1,0,0]
	v_mov_b32_e32 v125, v121
	ds_load_2addr_b64 v[120:123], v114 offset0:42 offset1:43
	v_pk_add_f32 v[40:41], v[40:41], v[124:125] neg_lo:[0,1] neg_hi:[0,1]
	s_wait_dscnt 0x0
	v_pk_mul_f32 v[124:125], v[120:121], v[112:113] op_sel:[0,1]
	s_delay_alu instid0(VALU_DEP_1) | instskip(SKIP_1) | instid1(VALU_DEP_1)
	v_pk_fma_f32 v[126:127], v[120:121], v[110:111], v[124:125] op_sel:[0,0,1] op_sel_hi:[1,1,0] neg_lo:[0,0,1] neg_hi:[0,0,1]
	v_pk_fma_f32 v[120:121], v[120:121], v[110:111], v[124:125] op_sel:[0,0,1] op_sel_hi:[1,0,0]
	v_mov_b32_e32 v127, v121
	v_pk_mul_f32 v[120:121], v[122:123], v[112:113] op_sel:[0,1]
	s_delay_alu instid0(VALU_DEP_2) | instskip(NEXT) | instid1(VALU_DEP_2)
	v_pk_add_f32 v[42:43], v[42:43], v[126:127] neg_lo:[0,1] neg_hi:[0,1]
	v_pk_fma_f32 v[124:125], v[122:123], v[110:111], v[120:121] op_sel:[0,0,1] op_sel_hi:[1,1,0] neg_lo:[0,0,1] neg_hi:[0,0,1]
	v_pk_fma_f32 v[120:121], v[122:123], v[110:111], v[120:121] op_sel:[0,0,1] op_sel_hi:[1,0,0]
	s_delay_alu instid0(VALU_DEP_1) | instskip(SKIP_4) | instid1(VALU_DEP_1)
	v_mov_b32_e32 v125, v121
	ds_load_2addr_b64 v[120:123], v114 offset0:44 offset1:45
	v_pk_add_f32 v[6:7], v[6:7], v[124:125] neg_lo:[0,1] neg_hi:[0,1]
	s_wait_dscnt 0x0
	v_pk_mul_f32 v[124:125], v[120:121], v[112:113] op_sel:[0,1]
	v_pk_fma_f32 v[126:127], v[120:121], v[110:111], v[124:125] op_sel:[0,0,1] op_sel_hi:[1,1,0] neg_lo:[0,0,1] neg_hi:[0,0,1]
	v_pk_fma_f32 v[120:121], v[120:121], v[110:111], v[124:125] op_sel:[0,0,1] op_sel_hi:[1,0,0]
	v_dual_mul_f32 v124, v123, v113 :: v_dual_mov_b32 v120, v123
	s_delay_alu instid0(VALU_DEP_2) | instskip(NEXT) | instid1(VALU_DEP_2)
	v_dual_mov_b32 v127, v121 :: v_dual_mov_b32 v121, v122
	v_pk_fma_f32 v[124:125], v[122:123], v[104:105], v[124:125] op_sel_hi:[1,1,0] neg_lo:[0,0,1] neg_hi:[0,0,1]
	v_mul_f32_e32 v122, v123, v110
	s_delay_alu instid0(VALU_DEP_3) | instskip(NEXT) | instid1(VALU_DEP_2)
	v_pk_add_f32 v[36:37], v[36:37], v[126:127] neg_lo:[0,1] neg_hi:[0,1]
	v_pk_fma_f32 v[120:121], v[120:121], v[104:105], v[122:123] op_sel_hi:[1,1,0]
	s_delay_alu instid0(VALU_DEP_1) | instskip(SKIP_4) | instid1(VALU_DEP_1)
	v_mov_b32_e32 v125, v121
	ds_load_2addr_b64 v[120:123], v114 offset0:46 offset1:47
	v_pk_add_f32 v[30:31], v[30:31], v[124:125] neg_lo:[0,1] neg_hi:[0,1]
	s_wait_dscnt 0x0
	v_pk_mul_f32 v[124:125], v[120:121], v[112:113] op_sel:[0,1]
	v_pk_fma_f32 v[126:127], v[120:121], v[110:111], v[124:125] op_sel:[0,0,1] op_sel_hi:[1,1,0] neg_lo:[0,0,1] neg_hi:[0,0,1]
	v_pk_fma_f32 v[120:121], v[120:121], v[110:111], v[124:125] op_sel:[0,0,1] op_sel_hi:[1,0,0]
	s_delay_alu instid0(VALU_DEP_1) | instskip(SKIP_1) | instid1(VALU_DEP_1)
	v_mov_b32_e32 v127, v121
	v_pk_mul_f32 v[120:121], v[122:123], v[112:113] op_sel:[0,1]
	v_pk_fma_f32 v[124:125], v[122:123], v[110:111], v[120:121] op_sel:[0,0,1] op_sel_hi:[1,1,0] neg_lo:[0,0,1] neg_hi:[0,0,1]
	v_pk_fma_f32 v[120:121], v[122:123], v[110:111], v[120:121] op_sel:[0,0,1] op_sel_hi:[1,0,0]
	s_delay_alu instid0(VALU_DEP_1)
	v_mov_b32_e32 v125, v121
	ds_load_2addr_b64 v[120:123], v114 offset0:48 offset1:49
	v_pk_add_f32 v[34:35], v[34:35], v[126:127] neg_lo:[0,1] neg_hi:[0,1]
	v_pk_add_f32 v[8:9], v[8:9], v[124:125] neg_lo:[0,1] neg_hi:[0,1]
	s_wait_dscnt 0x0
	v_pk_mul_f32 v[124:125], v[120:121], v[112:113] op_sel:[0,1]
	s_delay_alu instid0(VALU_DEP_1) | instskip(SKIP_1) | instid1(VALU_DEP_1)
	v_pk_fma_f32 v[126:127], v[120:121], v[110:111], v[124:125] op_sel:[0,0,1] op_sel_hi:[1,1,0] neg_lo:[0,0,1] neg_hi:[0,0,1]
	v_pk_fma_f32 v[120:121], v[120:121], v[110:111], v[124:125] op_sel:[0,0,1] op_sel_hi:[1,0,0]
	v_mov_b32_e32 v127, v121
	v_pk_mul_f32 v[120:121], v[122:123], v[112:113] op_sel:[0,1]
	s_delay_alu instid0(VALU_DEP_1) | instskip(SKIP_1) | instid1(VALU_DEP_1)
	v_pk_fma_f32 v[124:125], v[122:123], v[110:111], v[120:121] op_sel:[0,0,1] op_sel_hi:[1,1,0] neg_lo:[0,0,1] neg_hi:[0,0,1]
	v_pk_fma_f32 v[120:121], v[122:123], v[110:111], v[120:121] op_sel:[0,0,1] op_sel_hi:[1,0,0]
	v_mov_b32_e32 v125, v121
	ds_load_2addr_b64 v[120:123], v114 offset0:50 offset1:51
	v_pk_add_f32 v[28:29], v[28:29], v[126:127] neg_lo:[0,1] neg_hi:[0,1]
	v_pk_add_f32 v[16:17], v[16:17], v[124:125] neg_lo:[0,1] neg_hi:[0,1]
	s_wait_dscnt 0x0
	v_dual_mul_f32 v124, v121, v113 :: v_dual_mul_f32 v126, v121, v110
	v_pk_mul_f32 v[112:113], v[122:123], v[112:113] op_sel:[0,1]
	s_delay_alu instid0(VALU_DEP_2) | instskip(NEXT) | instid1(VALU_DEP_3)
	v_pk_fma_f32 v[124:125], v[120:121], v[104:105], v[124:125] op_sel_hi:[1,1,0] neg_lo:[0,0,1] neg_hi:[0,0,1]
	v_pk_fma_f32 v[120:121], v[120:121], v[104:105], v[126:127] op_sel:[1,0,0] op_sel_hi:[0,1,0]
	s_delay_alu instid0(VALU_DEP_1) | instskip(NEXT) | instid1(VALU_DEP_4)
	v_mov_b32_e32 v125, v121
	v_pk_fma_f32 v[120:121], v[122:123], v[110:111], v[112:113] op_sel:[0,0,1] op_sel_hi:[1,1,0] neg_lo:[0,0,1] neg_hi:[0,0,1]
	v_pk_fma_f32 v[110:111], v[122:123], v[110:111], v[112:113] op_sel:[0,0,1] op_sel_hi:[1,0,0]
	s_delay_alu instid0(VALU_DEP_1) | instskip(NEXT) | instid1(VALU_DEP_4)
	v_mov_b32_e32 v121, v111
	v_pk_add_f32 v[14:15], v[14:15], v[124:125] neg_lo:[0,1] neg_hi:[0,1]
	s_delay_alu instid0(VALU_DEP_2)
	v_pk_add_f32 v[108:109], v[108:109], v[120:121] neg_lo:[0,1] neg_hi:[0,1]
.LBB102_41:
	s_or_b32 exec_lo, exec_lo, s0
	v_lshl_add_u32 v110, v118, 3, v114
	s_barrier_signal -1
	s_barrier_wait -1
	ds_store_b64 v110, v[102:103]
	s_wait_dscnt 0x0
	s_barrier_signal -1
	s_barrier_wait -1
	ds_load_b64 v[112:113], v114 offset:16
	v_mov_b32_e32 v110, 2
	s_cmp_lt_i32 s18, 4
	s_mov_b32 s0, 3
	s_cbranch_scc1 .LBB102_44
; %bb.42:
	v_add3_u32 v111, v115, 0, 24
	v_mov_b32_e32 v110, 2
.LBB102_43:                             ; =>This Inner Loop Header: Depth=1
	ds_load_b64 v[120:121], v111
	s_wait_dscnt 0x1
	v_cmp_gt_f32_e32 vcc_lo, 0, v112
	v_cndmask_b32_e64 v122, v112, -v112, vcc_lo
	v_cmp_gt_f32_e32 vcc_lo, 0, v113
	v_cndmask_b32_e64 v124, v113, -v113, vcc_lo
	s_wait_dscnt 0x0
	v_cmp_gt_f32_e32 vcc_lo, 0, v120
	v_cndmask_b32_e64 v123, v120, -v120, vcc_lo
	v_cmp_gt_f32_e32 vcc_lo, 0, v121
	v_cndmask_b32_e64 v125, v121, -v121, vcc_lo
	s_delay_alu instid0(VALU_DEP_1) | instskip(NEXT) | instid1(VALU_DEP_1)
	v_pk_add_f32 v[122:123], v[122:123], v[124:125]
	v_cmp_lt_f32_e32 vcc_lo, v122, v123
	v_dual_add_nc_u32 v111, 8, v111 :: v_dual_cndmask_b32 v113, v113, v121, vcc_lo
	v_cndmask_b32_e32 v112, v112, v120, vcc_lo
	v_cndmask_b32_e64 v110, v110, s0, vcc_lo
	s_add_co_i32 s0, s0, 1
	s_delay_alu instid0(SALU_CYCLE_1)
	s_cmp_lg_u32 s18, s0
	s_cbranch_scc1 .LBB102_43
.LBB102_44:
	s_wait_dscnt 0x0
	v_cmp_eq_f32_e32 vcc_lo, 0, v112
	v_cmp_eq_f32_e64 s0, 0, v113
	s_and_b32 s0, vcc_lo, s0
	s_delay_alu instid0(SALU_CYCLE_1) | instskip(NEXT) | instid1(SALU_CYCLE_1)
	s_and_saveexec_b32 s1, s0
	s_xor_b32 s0, exec_lo, s1
; %bb.45:
	v_cmp_ne_u32_e32 vcc_lo, 0, v116
	v_cndmask_b32_e32 v116, 3, v116, vcc_lo
; %bb.46:
	s_and_not1_saveexec_b32 s0, s0
	s_cbranch_execz .LBB102_52
; %bb.47:
	v_cmp_ngt_f32_e64 s1, |v112|, |v113|
	s_and_saveexec_b32 s12, s1
	s_delay_alu instid0(SALU_CYCLE_1)
	s_xor_b32 s1, exec_lo, s12
	s_cbranch_execz .LBB102_49
; %bb.48:
	v_div_scale_f32 v111, null, v113, v113, v112
	v_div_scale_f32 v121, vcc_lo, v112, v113, v112
	s_delay_alu instid0(VALU_DEP_2) | instskip(SKIP_1) | instid1(TRANS32_DEP_1)
	v_rcp_f32_e32 v119, v111
	v_nop
	v_fma_f32 v120, -v111, v119, 1.0
	s_delay_alu instid0(VALU_DEP_1) | instskip(NEXT) | instid1(VALU_DEP_1)
	v_fmac_f32_e32 v119, v120, v119
	v_mul_f32_e32 v120, v121, v119
	s_delay_alu instid0(VALU_DEP_1) | instskip(NEXT) | instid1(VALU_DEP_1)
	v_fma_f32 v122, -v111, v120, v121
	v_fmac_f32_e32 v120, v122, v119
	s_delay_alu instid0(VALU_DEP_1) | instskip(NEXT) | instid1(VALU_DEP_1)
	v_fma_f32 v111, -v111, v120, v121
	v_div_fmas_f32 v111, v111, v119, v120
	s_delay_alu instid0(VALU_DEP_1) | instskip(NEXT) | instid1(VALU_DEP_1)
	v_div_fixup_f32 v111, v111, v113, v112
	v_fmac_f32_e32 v113, v112, v111
	s_delay_alu instid0(VALU_DEP_1) | instskip(SKIP_1) | instid1(VALU_DEP_2)
	v_div_scale_f32 v112, null, v113, v113, 1.0
	v_div_scale_f32 v121, vcc_lo, 1.0, v113, 1.0
	v_rcp_f32_e32 v119, v112
	v_nop
	s_delay_alu instid0(TRANS32_DEP_1) | instskip(NEXT) | instid1(VALU_DEP_1)
	v_fma_f32 v120, -v112, v119, 1.0
	v_fmac_f32_e32 v119, v120, v119
	s_delay_alu instid0(VALU_DEP_1) | instskip(NEXT) | instid1(VALU_DEP_1)
	v_mul_f32_e32 v120, v121, v119
	v_fma_f32 v122, -v112, v120, v121
	s_delay_alu instid0(VALU_DEP_1) | instskip(NEXT) | instid1(VALU_DEP_1)
	v_fmac_f32_e32 v120, v122, v119
	v_fma_f32 v112, -v112, v120, v121
	s_delay_alu instid0(VALU_DEP_1) | instskip(NEXT) | instid1(VALU_DEP_1)
	v_div_fmas_f32 v112, v112, v119, v120
	v_div_fixup_f32 v113, v112, v113, 1.0
	s_delay_alu instid0(VALU_DEP_1)
	v_mul_f32_e32 v112, v111, v113
	v_xor_b32_e32 v113, 0x80000000, v113
.LBB102_49:
	s_and_not1_saveexec_b32 s1, s1
	s_cbranch_execz .LBB102_51
; %bb.50:
	s_delay_alu instid0(VALU_DEP_1) | instskip(SKIP_1) | instid1(VALU_DEP_2)
	v_div_scale_f32 v111, null, v112, v112, v113
	v_div_scale_f32 v121, vcc_lo, v113, v112, v113
	v_rcp_f32_e32 v119, v111
	v_nop
	s_delay_alu instid0(TRANS32_DEP_1) | instskip(NEXT) | instid1(VALU_DEP_1)
	v_fma_f32 v120, -v111, v119, 1.0
	v_fmac_f32_e32 v119, v120, v119
	s_delay_alu instid0(VALU_DEP_1) | instskip(NEXT) | instid1(VALU_DEP_1)
	v_mul_f32_e32 v120, v121, v119
	v_fma_f32 v122, -v111, v120, v121
	s_delay_alu instid0(VALU_DEP_1) | instskip(NEXT) | instid1(VALU_DEP_1)
	v_fmac_f32_e32 v120, v122, v119
	v_fma_f32 v111, -v111, v120, v121
	s_delay_alu instid0(VALU_DEP_1) | instskip(NEXT) | instid1(VALU_DEP_1)
	v_div_fmas_f32 v111, v111, v119, v120
	v_div_fixup_f32 v111, v111, v112, v113
	s_delay_alu instid0(VALU_DEP_1) | instskip(NEXT) | instid1(VALU_DEP_1)
	v_fmac_f32_e32 v112, v113, v111
	v_div_scale_f32 v113, null, v112, v112, 1.0
	s_delay_alu instid0(VALU_DEP_1) | instskip(SKIP_1) | instid1(TRANS32_DEP_1)
	v_rcp_f32_e32 v119, v113
	v_nop
	v_fma_f32 v120, -v113, v119, 1.0
	s_delay_alu instid0(VALU_DEP_1) | instskip(SKIP_1) | instid1(VALU_DEP_1)
	v_fmac_f32_e32 v119, v120, v119
	v_div_scale_f32 v120, vcc_lo, 1.0, v112, 1.0
	v_mul_f32_e32 v121, v120, v119
	s_delay_alu instid0(VALU_DEP_1) | instskip(NEXT) | instid1(VALU_DEP_1)
	v_fma_f32 v122, -v113, v121, v120
	v_fmac_f32_e32 v121, v122, v119
	s_delay_alu instid0(VALU_DEP_1) | instskip(NEXT) | instid1(VALU_DEP_1)
	v_fma_f32 v113, -v113, v121, v120
	v_div_fmas_f32 v113, v113, v119, v121
	s_delay_alu instid0(VALU_DEP_1) | instskip(NEXT) | instid1(VALU_DEP_1)
	v_div_fixup_f32 v112, v113, v112, 1.0
	v_mul_f32_e64 v113, v111, -v112
.LBB102_51:
	s_or_b32 exec_lo, exec_lo, s1
.LBB102_52:
	s_delay_alu instid0(SALU_CYCLE_1) | instskip(NEXT) | instid1(SALU_CYCLE_1)
	s_or_b32 exec_lo, exec_lo, s0
	s_mov_b32 s0, exec_lo
	v_cmpx_ne_u32_e64 v118, v110
	s_xor_b32 s0, exec_lo, s0
	s_cbranch_execz .LBB102_58
; %bb.53:
	s_mov_b32 s1, exec_lo
	v_cmpx_eq_u32_e32 2, v118
	s_cbranch_execz .LBB102_57
; %bb.54:
	v_cmp_ne_u32_e32 vcc_lo, 2, v110
	s_xor_b32 s12, s16, -1
	s_delay_alu instid0(SALU_CYCLE_1) | instskip(NEXT) | instid1(SALU_CYCLE_1)
	s_and_b32 s13, s12, vcc_lo
	s_and_saveexec_b32 s12, s13
	s_cbranch_execz .LBB102_56
; %bb.55:
	v_ashrrev_i32_e32 v111, 31, v110
	s_delay_alu instid0(VALU_DEP_1)
	v_lshl_add_u64 v[118:119], v[110:111], 2, v[4:5]
	s_clause 0x1
	global_load_b32 v111, v[118:119], off
	global_load_b32 v117, v[4:5], off offset:8
	s_wait_loadcnt 0x1
	global_store_b32 v[4:5], v111, off offset:8
	s_wait_loadcnt 0x0
	global_store_b32 v[118:119], v117, off
.LBB102_56:
	s_wait_xcnt 0x0
	s_or_b32 exec_lo, exec_lo, s12
	v_dual_mov_b32 v118, v110 :: v_dual_mov_b32 v117, v110
.LBB102_57:
	s_or_b32 exec_lo, exec_lo, s1
.LBB102_58:
	s_and_not1_saveexec_b32 s0, s0
	s_cbranch_execz .LBB102_60
; %bb.59:
	v_mov_b32_e32 v118, 2
	ds_store_2addr_b64 v114, v[100:101], v[86:87] offset0:3 offset1:4
	ds_store_2addr_b64 v114, v[82:83], v[84:85] offset0:5 offset1:6
	;; [unrolled: 1-line block ×24, first 2 shown]
	ds_store_b64 v114, v[108:109] offset:408
.LBB102_60:
	s_or_b32 exec_lo, exec_lo, s0
	s_delay_alu instid0(SALU_CYCLE_1)
	s_mov_b32 s0, exec_lo
	s_wait_storecnt_dscnt 0x0
	s_barrier_signal -1
	s_barrier_wait -1
	v_cmpx_lt_i32_e32 2, v118
	s_cbranch_execz .LBB102_62
; %bb.61:
	v_pk_mul_f32 v[120:121], v[112:113], v[102:103] op_sel:[1,1] op_sel_hi:[0,1]
	s_delay_alu instid0(VALU_DEP_1)
	v_pk_fma_f32 v[110:111], v[112:113], v[102:103], v[120:121] op_sel_hi:[1,0,1] neg_lo:[0,0,1] neg_hi:[0,0,1]
	v_pk_fma_f32 v[112:113], v[112:113], v[102:103], v[120:121] op_sel_hi:[1,0,1]
	ds_load_2addr_b64 v[120:123], v114 offset0:3 offset1:4
	v_dual_mov_b32 v102, v110 :: v_dual_mov_b32 v103, v113
	s_wait_dscnt 0x0
	v_pk_mul_f32 v[124:125], v[120:121], v[112:113] op_sel:[0,1]
	s_delay_alu instid0(VALU_DEP_1) | instskip(SKIP_1) | instid1(VALU_DEP_1)
	v_pk_fma_f32 v[126:127], v[120:121], v[110:111], v[124:125] op_sel:[0,0,1] op_sel_hi:[1,1,0] neg_lo:[0,0,1] neg_hi:[0,0,1]
	v_pk_fma_f32 v[120:121], v[120:121], v[110:111], v[124:125] op_sel:[0,0,1] op_sel_hi:[1,0,0]
	v_mov_b32_e32 v127, v121
	v_pk_mul_f32 v[120:121], v[122:123], v[112:113] op_sel:[0,1]
	s_delay_alu instid0(VALU_DEP_1) | instskip(SKIP_1) | instid1(VALU_DEP_1)
	v_pk_fma_f32 v[124:125], v[122:123], v[110:111], v[120:121] op_sel:[0,0,1] op_sel_hi:[1,1,0] neg_lo:[0,0,1] neg_hi:[0,0,1]
	v_pk_fma_f32 v[120:121], v[122:123], v[110:111], v[120:121] op_sel:[0,0,1] op_sel_hi:[1,0,0]
	v_mov_b32_e32 v125, v121
	ds_load_2addr_b64 v[120:123], v114 offset0:5 offset1:6
	v_pk_add_f32 v[100:101], v[100:101], v[126:127] neg_lo:[0,1] neg_hi:[0,1]
	v_pk_add_f32 v[86:87], v[86:87], v[124:125] neg_lo:[0,1] neg_hi:[0,1]
	s_wait_dscnt 0x0
	v_pk_mul_f32 v[124:125], v[120:121], v[112:113] op_sel:[0,1]
	s_delay_alu instid0(VALU_DEP_1) | instskip(SKIP_2) | instid1(VALU_DEP_2)
	v_pk_fma_f32 v[126:127], v[120:121], v[110:111], v[124:125] op_sel:[0,0,1] op_sel_hi:[1,1,0] neg_lo:[0,0,1] neg_hi:[0,0,1]
	v_pk_fma_f32 v[120:121], v[120:121], v[110:111], v[124:125] op_sel:[0,0,1] op_sel_hi:[1,0,0]
	v_dual_mul_f32 v124, v123, v113 :: v_dual_mov_b32 v120, v123
	v_dual_mov_b32 v127, v121 :: v_dual_mov_b32 v121, v122
	s_delay_alu instid0(VALU_DEP_2) | instskip(SKIP_1) | instid1(VALU_DEP_3)
	v_pk_fma_f32 v[124:125], v[122:123], v[102:103], v[124:125] op_sel_hi:[1,1,0] neg_lo:[0,0,1] neg_hi:[0,0,1]
	v_mul_f32_e32 v122, v123, v110
	v_pk_add_f32 v[82:83], v[82:83], v[126:127] neg_lo:[0,1] neg_hi:[0,1]
	s_delay_alu instid0(VALU_DEP_2) | instskip(NEXT) | instid1(VALU_DEP_1)
	v_pk_fma_f32 v[120:121], v[120:121], v[102:103], v[122:123] op_sel_hi:[1,1,0]
	v_mov_b32_e32 v125, v121
	ds_load_2addr_b64 v[120:123], v114 offset0:7 offset1:8
	v_pk_add_f32 v[84:85], v[84:85], v[124:125] neg_lo:[0,1] neg_hi:[0,1]
	s_wait_dscnt 0x0
	v_pk_mul_f32 v[124:125], v[120:121], v[112:113] op_sel:[0,1]
	s_delay_alu instid0(VALU_DEP_1) | instskip(SKIP_1) | instid1(VALU_DEP_1)
	v_pk_fma_f32 v[126:127], v[120:121], v[110:111], v[124:125] op_sel:[0,0,1] op_sel_hi:[1,1,0] neg_lo:[0,0,1] neg_hi:[0,0,1]
	v_pk_fma_f32 v[120:121], v[120:121], v[110:111], v[124:125] op_sel:[0,0,1] op_sel_hi:[1,0,0]
	v_mov_b32_e32 v127, v121
	v_pk_mul_f32 v[120:121], v[122:123], v[112:113] op_sel:[0,1]
	s_delay_alu instid0(VALU_DEP_1) | instskip(SKIP_1) | instid1(VALU_DEP_1)
	v_pk_fma_f32 v[124:125], v[122:123], v[110:111], v[120:121] op_sel:[0,0,1] op_sel_hi:[1,1,0] neg_lo:[0,0,1] neg_hi:[0,0,1]
	v_pk_fma_f32 v[120:121], v[122:123], v[110:111], v[120:121] op_sel:[0,0,1] op_sel_hi:[1,0,0]
	v_mov_b32_e32 v125, v121
	ds_load_2addr_b64 v[120:123], v114 offset0:9 offset1:10
	v_pk_add_f32 v[26:27], v[26:27], v[126:127] neg_lo:[0,1] neg_hi:[0,1]
	v_pk_add_f32 v[98:99], v[98:99], v[124:125] neg_lo:[0,1] neg_hi:[0,1]
	s_wait_dscnt 0x0
	v_pk_mul_f32 v[124:125], v[120:121], v[112:113] op_sel:[0,1]
	s_delay_alu instid0(VALU_DEP_1) | instskip(SKIP_1) | instid1(VALU_DEP_1)
	v_pk_fma_f32 v[126:127], v[120:121], v[110:111], v[124:125] op_sel:[0,0,1] op_sel_hi:[1,1,0] neg_lo:[0,0,1] neg_hi:[0,0,1]
	v_pk_fma_f32 v[120:121], v[120:121], v[110:111], v[124:125] op_sel:[0,0,1] op_sel_hi:[1,0,0]
	v_mov_b32_e32 v127, v121
	v_pk_mul_f32 v[120:121], v[122:123], v[112:113] op_sel:[0,1]
	s_delay_alu instid0(VALU_DEP_1) | instskip(SKIP_1) | instid1(VALU_DEP_1)
	v_pk_fma_f32 v[124:125], v[122:123], v[110:111], v[120:121] op_sel:[0,0,1] op_sel_hi:[1,1,0] neg_lo:[0,0,1] neg_hi:[0,0,1]
	v_pk_fma_f32 v[120:121], v[122:123], v[110:111], v[120:121] op_sel:[0,0,1] op_sel_hi:[1,0,0]
	v_mov_b32_e32 v125, v121
	ds_load_2addr_b64 v[120:123], v114 offset0:11 offset1:12
	v_pk_add_f32 v[94:95], v[94:95], v[126:127] neg_lo:[0,1] neg_hi:[0,1]
	v_pk_add_f32 v[96:97], v[96:97], v[124:125] neg_lo:[0,1] neg_hi:[0,1]
	s_wait_dscnt 0x0
	v_dual_mul_f32 v124, v121, v113 :: v_dual_mul_f32 v126, v121, v110
	s_delay_alu instid0(VALU_DEP_1) | instskip(NEXT) | instid1(VALU_DEP_2)
	v_pk_fma_f32 v[124:125], v[120:121], v[102:103], v[124:125] op_sel_hi:[1,1,0] neg_lo:[0,0,1] neg_hi:[0,0,1]
	v_pk_fma_f32 v[120:121], v[120:121], v[102:103], v[126:127] op_sel:[1,0,0] op_sel_hi:[0,1,0]
	s_delay_alu instid0(VALU_DEP_1) | instskip(SKIP_1) | instid1(VALU_DEP_2)
	v_mov_b32_e32 v125, v121
	v_pk_mul_f32 v[120:121], v[122:123], v[112:113] op_sel:[0,1]
	v_pk_add_f32 v[38:39], v[38:39], v[124:125] neg_lo:[0,1] neg_hi:[0,1]
	s_delay_alu instid0(VALU_DEP_2) | instskip(SKIP_1) | instid1(VALU_DEP_1)
	v_pk_fma_f32 v[124:125], v[122:123], v[110:111], v[120:121] op_sel:[0,0,1] op_sel_hi:[1,1,0] neg_lo:[0,0,1] neg_hi:[0,0,1]
	v_pk_fma_f32 v[120:121], v[122:123], v[110:111], v[120:121] op_sel:[0,0,1] op_sel_hi:[1,0,0]
	v_mov_b32_e32 v125, v121
	ds_load_2addr_b64 v[120:123], v114 offset0:13 offset1:14
	v_pk_add_f32 v[92:93], v[92:93], v[124:125] neg_lo:[0,1] neg_hi:[0,1]
	s_wait_dscnt 0x0
	v_pk_mul_f32 v[124:125], v[120:121], v[112:113] op_sel:[0,1]
	s_delay_alu instid0(VALU_DEP_1) | instskip(SKIP_1) | instid1(VALU_DEP_1)
	v_pk_fma_f32 v[126:127], v[120:121], v[110:111], v[124:125] op_sel:[0,0,1] op_sel_hi:[1,1,0] neg_lo:[0,0,1] neg_hi:[0,0,1]
	v_pk_fma_f32 v[120:121], v[120:121], v[110:111], v[124:125] op_sel:[0,0,1] op_sel_hi:[1,0,0]
	v_mov_b32_e32 v127, v121
	v_pk_mul_f32 v[120:121], v[122:123], v[112:113] op_sel:[0,1]
	s_delay_alu instid0(VALU_DEP_2) | instskip(NEXT) | instid1(VALU_DEP_2)
	v_pk_add_f32 v[88:89], v[88:89], v[126:127] neg_lo:[0,1] neg_hi:[0,1]
	v_pk_fma_f32 v[124:125], v[122:123], v[110:111], v[120:121] op_sel:[0,0,1] op_sel_hi:[1,1,0] neg_lo:[0,0,1] neg_hi:[0,0,1]
	v_pk_fma_f32 v[120:121], v[122:123], v[110:111], v[120:121] op_sel:[0,0,1] op_sel_hi:[1,0,0]
	s_delay_alu instid0(VALU_DEP_1) | instskip(SKIP_4) | instid1(VALU_DEP_1)
	v_mov_b32_e32 v125, v121
	ds_load_2addr_b64 v[120:123], v114 offset0:15 offset1:16
	v_pk_add_f32 v[90:91], v[90:91], v[124:125] neg_lo:[0,1] neg_hi:[0,1]
	s_wait_dscnt 0x0
	v_pk_mul_f32 v[124:125], v[120:121], v[112:113] op_sel:[0,1]
	v_pk_fma_f32 v[126:127], v[120:121], v[110:111], v[124:125] op_sel:[0,0,1] op_sel_hi:[1,1,0] neg_lo:[0,0,1] neg_hi:[0,0,1]
	v_pk_fma_f32 v[120:121], v[120:121], v[110:111], v[124:125] op_sel:[0,0,1] op_sel_hi:[1,0,0]
	v_dual_mul_f32 v124, v123, v113 :: v_dual_mov_b32 v120, v123
	s_delay_alu instid0(VALU_DEP_2) | instskip(NEXT) | instid1(VALU_DEP_2)
	v_dual_mov_b32 v127, v121 :: v_dual_mov_b32 v121, v122
	v_pk_fma_f32 v[124:125], v[122:123], v[102:103], v[124:125] op_sel_hi:[1,1,0] neg_lo:[0,0,1] neg_hi:[0,0,1]
	v_mul_f32_e32 v122, v123, v110
	s_delay_alu instid0(VALU_DEP_3) | instskip(NEXT) | instid1(VALU_DEP_2)
	v_pk_add_f32 v[32:33], v[32:33], v[126:127] neg_lo:[0,1] neg_hi:[0,1]
	v_pk_fma_f32 v[120:121], v[120:121], v[102:103], v[122:123] op_sel_hi:[1,1,0]
	s_delay_alu instid0(VALU_DEP_1) | instskip(SKIP_4) | instid1(VALU_DEP_1)
	v_mov_b32_e32 v125, v121
	ds_load_2addr_b64 v[120:123], v114 offset0:17 offset1:18
	v_pk_add_f32 v[80:81], v[80:81], v[124:125] neg_lo:[0,1] neg_hi:[0,1]
	s_wait_dscnt 0x0
	v_pk_mul_f32 v[124:125], v[120:121], v[112:113] op_sel:[0,1]
	v_pk_fma_f32 v[126:127], v[120:121], v[110:111], v[124:125] op_sel:[0,0,1] op_sel_hi:[1,1,0] neg_lo:[0,0,1] neg_hi:[0,0,1]
	v_pk_fma_f32 v[120:121], v[120:121], v[110:111], v[124:125] op_sel:[0,0,1] op_sel_hi:[1,0,0]
	s_delay_alu instid0(VALU_DEP_1) | instskip(SKIP_1) | instid1(VALU_DEP_1)
	v_mov_b32_e32 v127, v121
	v_pk_mul_f32 v[120:121], v[122:123], v[112:113] op_sel:[0,1]
	v_pk_fma_f32 v[124:125], v[122:123], v[110:111], v[120:121] op_sel:[0,0,1] op_sel_hi:[1,1,0] neg_lo:[0,0,1] neg_hi:[0,0,1]
	v_pk_fma_f32 v[120:121], v[122:123], v[110:111], v[120:121] op_sel:[0,0,1] op_sel_hi:[1,0,0]
	s_delay_alu instid0(VALU_DEP_1)
	v_mov_b32_e32 v125, v121
	ds_load_2addr_b64 v[120:123], v114 offset0:19 offset1:20
	v_pk_add_f32 v[76:77], v[76:77], v[126:127] neg_lo:[0,1] neg_hi:[0,1]
	v_pk_add_f32 v[78:79], v[78:79], v[124:125] neg_lo:[0,1] neg_hi:[0,1]
	s_wait_dscnt 0x0
	v_pk_mul_f32 v[124:125], v[120:121], v[112:113] op_sel:[0,1]
	s_delay_alu instid0(VALU_DEP_1) | instskip(SKIP_1) | instid1(VALU_DEP_1)
	v_pk_fma_f32 v[126:127], v[120:121], v[110:111], v[124:125] op_sel:[0,0,1] op_sel_hi:[1,1,0] neg_lo:[0,0,1] neg_hi:[0,0,1]
	v_pk_fma_f32 v[120:121], v[120:121], v[110:111], v[124:125] op_sel:[0,0,1] op_sel_hi:[1,0,0]
	v_mov_b32_e32 v127, v121
	v_pk_mul_f32 v[120:121], v[122:123], v[112:113] op_sel:[0,1]
	s_delay_alu instid0(VALU_DEP_1) | instskip(SKIP_1) | instid1(VALU_DEP_1)
	v_pk_fma_f32 v[124:125], v[122:123], v[110:111], v[120:121] op_sel:[0,0,1] op_sel_hi:[1,1,0] neg_lo:[0,0,1] neg_hi:[0,0,1]
	v_pk_fma_f32 v[120:121], v[122:123], v[110:111], v[120:121] op_sel:[0,0,1] op_sel_hi:[1,0,0]
	v_mov_b32_e32 v125, v121
	ds_load_2addr_b64 v[120:123], v114 offset0:21 offset1:22
	v_pk_add_f32 v[24:25], v[24:25], v[126:127] neg_lo:[0,1] neg_hi:[0,1]
	v_pk_add_f32 v[74:75], v[74:75], v[124:125] neg_lo:[0,1] neg_hi:[0,1]
	s_wait_dscnt 0x0
	v_dual_mul_f32 v124, v121, v113 :: v_dual_mul_f32 v126, v121, v110
	s_delay_alu instid0(VALU_DEP_1) | instskip(NEXT) | instid1(VALU_DEP_2)
	v_pk_fma_f32 v[124:125], v[120:121], v[102:103], v[124:125] op_sel_hi:[1,1,0] neg_lo:[0,0,1] neg_hi:[0,0,1]
	v_pk_fma_f32 v[120:121], v[120:121], v[102:103], v[126:127] op_sel:[1,0,0] op_sel_hi:[0,1,0]
	s_delay_alu instid0(VALU_DEP_1) | instskip(SKIP_1) | instid1(VALU_DEP_2)
	v_mov_b32_e32 v125, v121
	v_pk_mul_f32 v[120:121], v[122:123], v[112:113] op_sel:[0,1]
	v_pk_add_f32 v[70:71], v[70:71], v[124:125] neg_lo:[0,1] neg_hi:[0,1]
	s_delay_alu instid0(VALU_DEP_2) | instskip(SKIP_1) | instid1(VALU_DEP_1)
	v_pk_fma_f32 v[124:125], v[122:123], v[110:111], v[120:121] op_sel:[0,0,1] op_sel_hi:[1,1,0] neg_lo:[0,0,1] neg_hi:[0,0,1]
	v_pk_fma_f32 v[120:121], v[122:123], v[110:111], v[120:121] op_sel:[0,0,1] op_sel_hi:[1,0,0]
	v_mov_b32_e32 v125, v121
	ds_load_2addr_b64 v[120:123], v114 offset0:23 offset1:24
	v_pk_add_f32 v[72:73], v[72:73], v[124:125] neg_lo:[0,1] neg_hi:[0,1]
	s_wait_dscnt 0x0
	v_pk_mul_f32 v[124:125], v[120:121], v[112:113] op_sel:[0,1]
	s_delay_alu instid0(VALU_DEP_1) | instskip(SKIP_1) | instid1(VALU_DEP_1)
	v_pk_fma_f32 v[126:127], v[120:121], v[110:111], v[124:125] op_sel:[0,0,1] op_sel_hi:[1,1,0] neg_lo:[0,0,1] neg_hi:[0,0,1]
	v_pk_fma_f32 v[120:121], v[120:121], v[110:111], v[124:125] op_sel:[0,0,1] op_sel_hi:[1,0,0]
	v_mov_b32_e32 v127, v121
	v_pk_mul_f32 v[120:121], v[122:123], v[112:113] op_sel:[0,1]
	s_delay_alu instid0(VALU_DEP_2) | instskip(NEXT) | instid1(VALU_DEP_2)
	v_pk_add_f32 v[22:23], v[22:23], v[126:127] neg_lo:[0,1] neg_hi:[0,1]
	v_pk_fma_f32 v[124:125], v[122:123], v[110:111], v[120:121] op_sel:[0,0,1] op_sel_hi:[1,1,0] neg_lo:[0,0,1] neg_hi:[0,0,1]
	v_pk_fma_f32 v[120:121], v[122:123], v[110:111], v[120:121] op_sel:[0,0,1] op_sel_hi:[1,0,0]
	s_delay_alu instid0(VALU_DEP_1) | instskip(SKIP_4) | instid1(VALU_DEP_1)
	v_mov_b32_e32 v125, v121
	ds_load_2addr_b64 v[120:123], v114 offset0:25 offset1:26
	v_pk_add_f32 v[68:69], v[68:69], v[124:125] neg_lo:[0,1] neg_hi:[0,1]
	s_wait_dscnt 0x0
	v_pk_mul_f32 v[124:125], v[120:121], v[112:113] op_sel:[0,1]
	v_pk_fma_f32 v[126:127], v[120:121], v[110:111], v[124:125] op_sel:[0,0,1] op_sel_hi:[1,1,0] neg_lo:[0,0,1] neg_hi:[0,0,1]
	v_pk_fma_f32 v[120:121], v[120:121], v[110:111], v[124:125] op_sel:[0,0,1] op_sel_hi:[1,0,0]
	v_dual_mul_f32 v124, v123, v113 :: v_dual_mov_b32 v120, v123
	s_delay_alu instid0(VALU_DEP_2) | instskip(NEXT) | instid1(VALU_DEP_2)
	v_dual_mov_b32 v127, v121 :: v_dual_mov_b32 v121, v122
	v_pk_fma_f32 v[124:125], v[122:123], v[102:103], v[124:125] op_sel_hi:[1,1,0] neg_lo:[0,0,1] neg_hi:[0,0,1]
	v_mul_f32_e32 v122, v123, v110
	s_delay_alu instid0(VALU_DEP_3) | instskip(NEXT) | instid1(VALU_DEP_2)
	v_pk_add_f32 v[64:65], v[64:65], v[126:127] neg_lo:[0,1] neg_hi:[0,1]
	v_pk_fma_f32 v[120:121], v[120:121], v[102:103], v[122:123] op_sel_hi:[1,1,0]
	s_delay_alu instid0(VALU_DEP_1) | instskip(SKIP_4) | instid1(VALU_DEP_1)
	v_mov_b32_e32 v125, v121
	ds_load_2addr_b64 v[120:123], v114 offset0:27 offset1:28
	v_pk_add_f32 v[66:67], v[66:67], v[124:125] neg_lo:[0,1] neg_hi:[0,1]
	s_wait_dscnt 0x0
	v_pk_mul_f32 v[124:125], v[120:121], v[112:113] op_sel:[0,1]
	v_pk_fma_f32 v[126:127], v[120:121], v[110:111], v[124:125] op_sel:[0,0,1] op_sel_hi:[1,1,0] neg_lo:[0,0,1] neg_hi:[0,0,1]
	v_pk_fma_f32 v[120:121], v[120:121], v[110:111], v[124:125] op_sel:[0,0,1] op_sel_hi:[1,0,0]
	s_delay_alu instid0(VALU_DEP_1) | instskip(SKIP_1) | instid1(VALU_DEP_1)
	v_mov_b32_e32 v127, v121
	v_pk_mul_f32 v[120:121], v[122:123], v[112:113] op_sel:[0,1]
	v_pk_fma_f32 v[124:125], v[122:123], v[110:111], v[120:121] op_sel:[0,0,1] op_sel_hi:[1,1,0] neg_lo:[0,0,1] neg_hi:[0,0,1]
	v_pk_fma_f32 v[120:121], v[122:123], v[110:111], v[120:121] op_sel:[0,0,1] op_sel_hi:[1,0,0]
	s_delay_alu instid0(VALU_DEP_1)
	v_mov_b32_e32 v125, v121
	ds_load_2addr_b64 v[120:123], v114 offset0:29 offset1:30
	v_pk_add_f32 v[20:21], v[20:21], v[126:127] neg_lo:[0,1] neg_hi:[0,1]
	v_pk_add_f32 v[62:63], v[62:63], v[124:125] neg_lo:[0,1] neg_hi:[0,1]
	s_wait_dscnt 0x0
	v_pk_mul_f32 v[124:125], v[120:121], v[112:113] op_sel:[0,1]
	s_delay_alu instid0(VALU_DEP_1) | instskip(SKIP_1) | instid1(VALU_DEP_1)
	v_pk_fma_f32 v[126:127], v[120:121], v[110:111], v[124:125] op_sel:[0,0,1] op_sel_hi:[1,1,0] neg_lo:[0,0,1] neg_hi:[0,0,1]
	v_pk_fma_f32 v[120:121], v[120:121], v[110:111], v[124:125] op_sel:[0,0,1] op_sel_hi:[1,0,0]
	v_mov_b32_e32 v127, v121
	v_pk_mul_f32 v[120:121], v[122:123], v[112:113] op_sel:[0,1]
	s_delay_alu instid0(VALU_DEP_1) | instskip(SKIP_1) | instid1(VALU_DEP_1)
	v_pk_fma_f32 v[124:125], v[122:123], v[110:111], v[120:121] op_sel:[0,0,1] op_sel_hi:[1,1,0] neg_lo:[0,0,1] neg_hi:[0,0,1]
	v_pk_fma_f32 v[120:121], v[122:123], v[110:111], v[120:121] op_sel:[0,0,1] op_sel_hi:[1,0,0]
	v_mov_b32_e32 v125, v121
	ds_load_2addr_b64 v[120:123], v114 offset0:31 offset1:32
	v_pk_add_f32 v[58:59], v[58:59], v[126:127] neg_lo:[0,1] neg_hi:[0,1]
	v_pk_add_f32 v[60:61], v[60:61], v[124:125] neg_lo:[0,1] neg_hi:[0,1]
	s_wait_dscnt 0x0
	v_dual_mul_f32 v124, v121, v113 :: v_dual_mul_f32 v126, v121, v110
	s_delay_alu instid0(VALU_DEP_1) | instskip(NEXT) | instid1(VALU_DEP_2)
	v_pk_fma_f32 v[124:125], v[120:121], v[102:103], v[124:125] op_sel_hi:[1,1,0] neg_lo:[0,0,1] neg_hi:[0,0,1]
	v_pk_fma_f32 v[120:121], v[120:121], v[102:103], v[126:127] op_sel:[1,0,0] op_sel_hi:[0,1,0]
	s_delay_alu instid0(VALU_DEP_1) | instskip(SKIP_1) | instid1(VALU_DEP_2)
	v_mov_b32_e32 v125, v121
	v_pk_mul_f32 v[120:121], v[122:123], v[112:113] op_sel:[0,1]
	v_pk_add_f32 v[18:19], v[18:19], v[124:125] neg_lo:[0,1] neg_hi:[0,1]
	s_delay_alu instid0(VALU_DEP_2) | instskip(SKIP_1) | instid1(VALU_DEP_1)
	v_pk_fma_f32 v[124:125], v[122:123], v[110:111], v[120:121] op_sel:[0,0,1] op_sel_hi:[1,1,0] neg_lo:[0,0,1] neg_hi:[0,0,1]
	v_pk_fma_f32 v[120:121], v[122:123], v[110:111], v[120:121] op_sel:[0,0,1] op_sel_hi:[1,0,0]
	v_mov_b32_e32 v125, v121
	ds_load_2addr_b64 v[120:123], v114 offset0:33 offset1:34
	v_pk_add_f32 v[56:57], v[56:57], v[124:125] neg_lo:[0,1] neg_hi:[0,1]
	s_wait_dscnt 0x0
	v_pk_mul_f32 v[124:125], v[120:121], v[112:113] op_sel:[0,1]
	s_delay_alu instid0(VALU_DEP_1) | instskip(SKIP_1) | instid1(VALU_DEP_1)
	v_pk_fma_f32 v[126:127], v[120:121], v[110:111], v[124:125] op_sel:[0,0,1] op_sel_hi:[1,1,0] neg_lo:[0,0,1] neg_hi:[0,0,1]
	v_pk_fma_f32 v[120:121], v[120:121], v[110:111], v[124:125] op_sel:[0,0,1] op_sel_hi:[1,0,0]
	v_mov_b32_e32 v127, v121
	v_pk_mul_f32 v[120:121], v[122:123], v[112:113] op_sel:[0,1]
	s_delay_alu instid0(VALU_DEP_2) | instskip(NEXT) | instid1(VALU_DEP_2)
	v_pk_add_f32 v[52:53], v[52:53], v[126:127] neg_lo:[0,1] neg_hi:[0,1]
	v_pk_fma_f32 v[124:125], v[122:123], v[110:111], v[120:121] op_sel:[0,0,1] op_sel_hi:[1,1,0] neg_lo:[0,0,1] neg_hi:[0,0,1]
	v_pk_fma_f32 v[120:121], v[122:123], v[110:111], v[120:121] op_sel:[0,0,1] op_sel_hi:[1,0,0]
	s_delay_alu instid0(VALU_DEP_1) | instskip(SKIP_4) | instid1(VALU_DEP_1)
	v_mov_b32_e32 v125, v121
	ds_load_2addr_b64 v[120:123], v114 offset0:35 offset1:36
	v_pk_add_f32 v[54:55], v[54:55], v[124:125] neg_lo:[0,1] neg_hi:[0,1]
	s_wait_dscnt 0x0
	v_pk_mul_f32 v[124:125], v[120:121], v[112:113] op_sel:[0,1]
	v_pk_fma_f32 v[126:127], v[120:121], v[110:111], v[124:125] op_sel:[0,0,1] op_sel_hi:[1,1,0] neg_lo:[0,0,1] neg_hi:[0,0,1]
	v_pk_fma_f32 v[120:121], v[120:121], v[110:111], v[124:125] op_sel:[0,0,1] op_sel_hi:[1,0,0]
	v_dual_mul_f32 v124, v123, v113 :: v_dual_mov_b32 v120, v123
	s_delay_alu instid0(VALU_DEP_2) | instskip(NEXT) | instid1(VALU_DEP_2)
	v_dual_mov_b32 v127, v121 :: v_dual_mov_b32 v121, v122
	v_pk_fma_f32 v[124:125], v[122:123], v[102:103], v[124:125] op_sel_hi:[1,1,0] neg_lo:[0,0,1] neg_hi:[0,0,1]
	v_mul_f32_e32 v122, v123, v110
	s_delay_alu instid0(VALU_DEP_3) | instskip(NEXT) | instid1(VALU_DEP_2)
	v_pk_add_f32 v[12:13], v[12:13], v[126:127] neg_lo:[0,1] neg_hi:[0,1]
	v_pk_fma_f32 v[120:121], v[120:121], v[102:103], v[122:123] op_sel_hi:[1,1,0]
	s_delay_alu instid0(VALU_DEP_1) | instskip(SKIP_4) | instid1(VALU_DEP_1)
	v_mov_b32_e32 v125, v121
	ds_load_2addr_b64 v[120:123], v114 offset0:37 offset1:38
	v_pk_add_f32 v[50:51], v[50:51], v[124:125] neg_lo:[0,1] neg_hi:[0,1]
	s_wait_dscnt 0x0
	v_pk_mul_f32 v[124:125], v[120:121], v[112:113] op_sel:[0,1]
	v_pk_fma_f32 v[126:127], v[120:121], v[110:111], v[124:125] op_sel:[0,0,1] op_sel_hi:[1,1,0] neg_lo:[0,0,1] neg_hi:[0,0,1]
	v_pk_fma_f32 v[120:121], v[120:121], v[110:111], v[124:125] op_sel:[0,0,1] op_sel_hi:[1,0,0]
	s_delay_alu instid0(VALU_DEP_1) | instskip(SKIP_1) | instid1(VALU_DEP_1)
	v_mov_b32_e32 v127, v121
	v_pk_mul_f32 v[120:121], v[122:123], v[112:113] op_sel:[0,1]
	v_pk_fma_f32 v[124:125], v[122:123], v[110:111], v[120:121] op_sel:[0,0,1] op_sel_hi:[1,1,0] neg_lo:[0,0,1] neg_hi:[0,0,1]
	v_pk_fma_f32 v[120:121], v[122:123], v[110:111], v[120:121] op_sel:[0,0,1] op_sel_hi:[1,0,0]
	s_delay_alu instid0(VALU_DEP_1)
	v_mov_b32_e32 v125, v121
	ds_load_2addr_b64 v[120:123], v114 offset0:39 offset1:40
	v_pk_add_f32 v[46:47], v[46:47], v[126:127] neg_lo:[0,1] neg_hi:[0,1]
	v_pk_add_f32 v[48:49], v[48:49], v[124:125] neg_lo:[0,1] neg_hi:[0,1]
	s_wait_dscnt 0x0
	v_pk_mul_f32 v[124:125], v[120:121], v[112:113] op_sel:[0,1]
	s_delay_alu instid0(VALU_DEP_1) | instskip(SKIP_1) | instid1(VALU_DEP_1)
	v_pk_fma_f32 v[126:127], v[120:121], v[110:111], v[124:125] op_sel:[0,0,1] op_sel_hi:[1,1,0] neg_lo:[0,0,1] neg_hi:[0,0,1]
	v_pk_fma_f32 v[120:121], v[120:121], v[110:111], v[124:125] op_sel:[0,0,1] op_sel_hi:[1,0,0]
	v_mov_b32_e32 v127, v121
	v_pk_mul_f32 v[120:121], v[122:123], v[112:113] op_sel:[0,1]
	s_delay_alu instid0(VALU_DEP_1) | instskip(SKIP_1) | instid1(VALU_DEP_1)
	v_pk_fma_f32 v[124:125], v[122:123], v[110:111], v[120:121] op_sel:[0,0,1] op_sel_hi:[1,1,0] neg_lo:[0,0,1] neg_hi:[0,0,1]
	v_pk_fma_f32 v[120:121], v[122:123], v[110:111], v[120:121] op_sel:[0,0,1] op_sel_hi:[1,0,0]
	v_mov_b32_e32 v125, v121
	ds_load_2addr_b64 v[120:123], v114 offset0:41 offset1:42
	v_pk_add_f32 v[10:11], v[10:11], v[126:127] neg_lo:[0,1] neg_hi:[0,1]
	v_pk_add_f32 v[44:45], v[44:45], v[124:125] neg_lo:[0,1] neg_hi:[0,1]
	s_wait_dscnt 0x0
	v_dual_mul_f32 v124, v121, v113 :: v_dual_mul_f32 v126, v121, v110
	s_delay_alu instid0(VALU_DEP_1) | instskip(NEXT) | instid1(VALU_DEP_2)
	v_pk_fma_f32 v[124:125], v[120:121], v[102:103], v[124:125] op_sel_hi:[1,1,0] neg_lo:[0,0,1] neg_hi:[0,0,1]
	v_pk_fma_f32 v[120:121], v[120:121], v[102:103], v[126:127] op_sel:[1,0,0] op_sel_hi:[0,1,0]
	s_delay_alu instid0(VALU_DEP_1) | instskip(SKIP_1) | instid1(VALU_DEP_2)
	v_mov_b32_e32 v125, v121
	v_pk_mul_f32 v[120:121], v[122:123], v[112:113] op_sel:[0,1]
	v_pk_add_f32 v[40:41], v[40:41], v[124:125] neg_lo:[0,1] neg_hi:[0,1]
	s_delay_alu instid0(VALU_DEP_2) | instskip(SKIP_1) | instid1(VALU_DEP_1)
	v_pk_fma_f32 v[124:125], v[122:123], v[110:111], v[120:121] op_sel:[0,0,1] op_sel_hi:[1,1,0] neg_lo:[0,0,1] neg_hi:[0,0,1]
	v_pk_fma_f32 v[120:121], v[122:123], v[110:111], v[120:121] op_sel:[0,0,1] op_sel_hi:[1,0,0]
	v_mov_b32_e32 v125, v121
	ds_load_2addr_b64 v[120:123], v114 offset0:43 offset1:44
	v_pk_add_f32 v[42:43], v[42:43], v[124:125] neg_lo:[0,1] neg_hi:[0,1]
	s_wait_dscnt 0x0
	v_pk_mul_f32 v[124:125], v[120:121], v[112:113] op_sel:[0,1]
	s_delay_alu instid0(VALU_DEP_1) | instskip(SKIP_1) | instid1(VALU_DEP_1)
	v_pk_fma_f32 v[126:127], v[120:121], v[110:111], v[124:125] op_sel:[0,0,1] op_sel_hi:[1,1,0] neg_lo:[0,0,1] neg_hi:[0,0,1]
	v_pk_fma_f32 v[120:121], v[120:121], v[110:111], v[124:125] op_sel:[0,0,1] op_sel_hi:[1,0,0]
	v_mov_b32_e32 v127, v121
	v_pk_mul_f32 v[120:121], v[122:123], v[112:113] op_sel:[0,1]
	s_delay_alu instid0(VALU_DEP_2) | instskip(NEXT) | instid1(VALU_DEP_2)
	v_pk_add_f32 v[6:7], v[6:7], v[126:127] neg_lo:[0,1] neg_hi:[0,1]
	v_pk_fma_f32 v[124:125], v[122:123], v[110:111], v[120:121] op_sel:[0,0,1] op_sel_hi:[1,1,0] neg_lo:[0,0,1] neg_hi:[0,0,1]
	v_pk_fma_f32 v[120:121], v[122:123], v[110:111], v[120:121] op_sel:[0,0,1] op_sel_hi:[1,0,0]
	s_delay_alu instid0(VALU_DEP_1) | instskip(SKIP_4) | instid1(VALU_DEP_1)
	v_mov_b32_e32 v125, v121
	ds_load_2addr_b64 v[120:123], v114 offset0:45 offset1:46
	v_pk_add_f32 v[36:37], v[36:37], v[124:125] neg_lo:[0,1] neg_hi:[0,1]
	s_wait_dscnt 0x0
	v_pk_mul_f32 v[124:125], v[120:121], v[112:113] op_sel:[0,1]
	v_pk_fma_f32 v[126:127], v[120:121], v[110:111], v[124:125] op_sel:[0,0,1] op_sel_hi:[1,1,0] neg_lo:[0,0,1] neg_hi:[0,0,1]
	v_pk_fma_f32 v[120:121], v[120:121], v[110:111], v[124:125] op_sel:[0,0,1] op_sel_hi:[1,0,0]
	v_dual_mul_f32 v124, v123, v113 :: v_dual_mov_b32 v120, v123
	s_delay_alu instid0(VALU_DEP_2) | instskip(NEXT) | instid1(VALU_DEP_2)
	v_dual_mov_b32 v127, v121 :: v_dual_mov_b32 v121, v122
	v_pk_fma_f32 v[124:125], v[122:123], v[102:103], v[124:125] op_sel_hi:[1,1,0] neg_lo:[0,0,1] neg_hi:[0,0,1]
	v_mul_f32_e32 v122, v123, v110
	s_delay_alu instid0(VALU_DEP_3) | instskip(NEXT) | instid1(VALU_DEP_2)
	v_pk_add_f32 v[30:31], v[30:31], v[126:127] neg_lo:[0,1] neg_hi:[0,1]
	v_pk_fma_f32 v[120:121], v[120:121], v[102:103], v[122:123] op_sel_hi:[1,1,0]
	s_delay_alu instid0(VALU_DEP_1) | instskip(SKIP_4) | instid1(VALU_DEP_1)
	v_mov_b32_e32 v125, v121
	ds_load_2addr_b64 v[120:123], v114 offset0:47 offset1:48
	v_pk_add_f32 v[34:35], v[34:35], v[124:125] neg_lo:[0,1] neg_hi:[0,1]
	s_wait_dscnt 0x0
	v_pk_mul_f32 v[124:125], v[120:121], v[112:113] op_sel:[0,1]
	v_pk_fma_f32 v[126:127], v[120:121], v[110:111], v[124:125] op_sel:[0,0,1] op_sel_hi:[1,1,0] neg_lo:[0,0,1] neg_hi:[0,0,1]
	v_pk_fma_f32 v[120:121], v[120:121], v[110:111], v[124:125] op_sel:[0,0,1] op_sel_hi:[1,0,0]
	s_delay_alu instid0(VALU_DEP_1) | instskip(SKIP_1) | instid1(VALU_DEP_1)
	v_mov_b32_e32 v127, v121
	v_pk_mul_f32 v[120:121], v[122:123], v[112:113] op_sel:[0,1]
	v_pk_fma_f32 v[124:125], v[122:123], v[110:111], v[120:121] op_sel:[0,0,1] op_sel_hi:[1,1,0] neg_lo:[0,0,1] neg_hi:[0,0,1]
	v_pk_fma_f32 v[120:121], v[122:123], v[110:111], v[120:121] op_sel:[0,0,1] op_sel_hi:[1,0,0]
	s_delay_alu instid0(VALU_DEP_1)
	v_mov_b32_e32 v125, v121
	ds_load_2addr_b64 v[120:123], v114 offset0:49 offset1:50
	v_pk_add_f32 v[8:9], v[8:9], v[126:127] neg_lo:[0,1] neg_hi:[0,1]
	v_pk_add_f32 v[28:29], v[28:29], v[124:125] neg_lo:[0,1] neg_hi:[0,1]
	s_wait_dscnt 0x0
	v_pk_mul_f32 v[124:125], v[120:121], v[112:113] op_sel:[0,1]
	s_delay_alu instid0(VALU_DEP_1) | instskip(SKIP_1) | instid1(VALU_DEP_1)
	v_pk_fma_f32 v[126:127], v[120:121], v[110:111], v[124:125] op_sel:[0,0,1] op_sel_hi:[1,1,0] neg_lo:[0,0,1] neg_hi:[0,0,1]
	v_pk_fma_f32 v[120:121], v[120:121], v[110:111], v[124:125] op_sel:[0,0,1] op_sel_hi:[1,0,0]
	v_mov_b32_e32 v127, v121
	v_pk_mul_f32 v[120:121], v[122:123], v[112:113] op_sel:[0,1]
	s_delay_alu instid0(VALU_DEP_1) | instskip(SKIP_1) | instid1(VALU_DEP_1)
	v_pk_fma_f32 v[124:125], v[122:123], v[110:111], v[120:121] op_sel:[0,0,1] op_sel_hi:[1,1,0] neg_lo:[0,0,1] neg_hi:[0,0,1]
	v_pk_fma_f32 v[120:121], v[122:123], v[110:111], v[120:121] op_sel:[0,0,1] op_sel_hi:[1,0,0]
	v_mov_b32_e32 v125, v121
	ds_load_b64 v[120:121], v114 offset:408
	v_pk_add_f32 v[16:17], v[16:17], v[126:127] neg_lo:[0,1] neg_hi:[0,1]
	v_pk_add_f32 v[14:15], v[14:15], v[124:125] neg_lo:[0,1] neg_hi:[0,1]
	s_wait_dscnt 0x0
	v_pk_mul_f32 v[112:113], v[120:121], v[112:113] op_sel:[0,1]
	s_delay_alu instid0(VALU_DEP_1) | instskip(SKIP_1) | instid1(VALU_DEP_1)
	v_pk_fma_f32 v[122:123], v[120:121], v[110:111], v[112:113] op_sel:[0,0,1] op_sel_hi:[1,1,0] neg_lo:[0,0,1] neg_hi:[0,0,1]
	v_pk_fma_f32 v[110:111], v[120:121], v[110:111], v[112:113] op_sel:[0,0,1] op_sel_hi:[1,0,0]
	v_mov_b32_e32 v123, v111
	s_delay_alu instid0(VALU_DEP_1)
	v_pk_add_f32 v[108:109], v[108:109], v[122:123] neg_lo:[0,1] neg_hi:[0,1]
.LBB102_62:
	s_or_b32 exec_lo, exec_lo, s0
	v_lshl_add_u32 v110, v118, 3, v114
	s_barrier_signal -1
	s_barrier_wait -1
	ds_store_b64 v110, v[100:101]
	s_wait_dscnt 0x0
	s_barrier_signal -1
	s_barrier_wait -1
	ds_load_b64 v[112:113], v114 offset:24
	v_mov_b32_e32 v110, 3
	s_cmp_lt_i32 s18, 5
	s_cbranch_scc1 .LBB102_65
; %bb.63:
	v_mov_b32_e32 v110, 3
	v_add3_u32 v111, v115, 0, 32
	s_mov_b32 s0, 4
.LBB102_64:                             ; =>This Inner Loop Header: Depth=1
	ds_load_b64 v[120:121], v111
	s_wait_dscnt 0x1
	v_cmp_gt_f32_e32 vcc_lo, 0, v112
	v_cndmask_b32_e64 v122, v112, -v112, vcc_lo
	v_cmp_gt_f32_e32 vcc_lo, 0, v113
	v_cndmask_b32_e64 v124, v113, -v113, vcc_lo
	s_wait_dscnt 0x0
	v_cmp_gt_f32_e32 vcc_lo, 0, v120
	v_cndmask_b32_e64 v123, v120, -v120, vcc_lo
	v_cmp_gt_f32_e32 vcc_lo, 0, v121
	v_cndmask_b32_e64 v125, v121, -v121, vcc_lo
	s_delay_alu instid0(VALU_DEP_1) | instskip(NEXT) | instid1(VALU_DEP_1)
	v_pk_add_f32 v[122:123], v[122:123], v[124:125]
	v_cmp_lt_f32_e32 vcc_lo, v122, v123
	v_dual_add_nc_u32 v111, 8, v111 :: v_dual_cndmask_b32 v113, v113, v121, vcc_lo
	v_cndmask_b32_e32 v112, v112, v120, vcc_lo
	v_cndmask_b32_e64 v110, v110, s0, vcc_lo
	s_add_co_i32 s0, s0, 1
	s_delay_alu instid0(SALU_CYCLE_1)
	s_cmp_lg_u32 s18, s0
	s_cbranch_scc1 .LBB102_64
.LBB102_65:
	s_wait_dscnt 0x0
	v_cmp_eq_f32_e32 vcc_lo, 0, v112
	v_cmp_eq_f32_e64 s0, 0, v113
	s_and_b32 s0, vcc_lo, s0
	s_delay_alu instid0(SALU_CYCLE_1) | instskip(NEXT) | instid1(SALU_CYCLE_1)
	s_and_saveexec_b32 s1, s0
	s_xor_b32 s0, exec_lo, s1
; %bb.66:
	v_cmp_ne_u32_e32 vcc_lo, 0, v116
	v_cndmask_b32_e32 v116, 4, v116, vcc_lo
; %bb.67:
	s_and_not1_saveexec_b32 s0, s0
	s_cbranch_execz .LBB102_73
; %bb.68:
	v_cmp_ngt_f32_e64 s1, |v112|, |v113|
	s_and_saveexec_b32 s12, s1
	s_delay_alu instid0(SALU_CYCLE_1)
	s_xor_b32 s1, exec_lo, s12
	s_cbranch_execz .LBB102_70
; %bb.69:
	v_div_scale_f32 v111, null, v113, v113, v112
	v_div_scale_f32 v121, vcc_lo, v112, v113, v112
	s_delay_alu instid0(VALU_DEP_2) | instskip(SKIP_1) | instid1(TRANS32_DEP_1)
	v_rcp_f32_e32 v119, v111
	v_nop
	v_fma_f32 v120, -v111, v119, 1.0
	s_delay_alu instid0(VALU_DEP_1) | instskip(NEXT) | instid1(VALU_DEP_1)
	v_fmac_f32_e32 v119, v120, v119
	v_mul_f32_e32 v120, v121, v119
	s_delay_alu instid0(VALU_DEP_1) | instskip(NEXT) | instid1(VALU_DEP_1)
	v_fma_f32 v122, -v111, v120, v121
	v_fmac_f32_e32 v120, v122, v119
	s_delay_alu instid0(VALU_DEP_1) | instskip(NEXT) | instid1(VALU_DEP_1)
	v_fma_f32 v111, -v111, v120, v121
	v_div_fmas_f32 v111, v111, v119, v120
	s_delay_alu instid0(VALU_DEP_1) | instskip(NEXT) | instid1(VALU_DEP_1)
	v_div_fixup_f32 v111, v111, v113, v112
	v_fmac_f32_e32 v113, v112, v111
	s_delay_alu instid0(VALU_DEP_1) | instskip(SKIP_1) | instid1(VALU_DEP_2)
	v_div_scale_f32 v112, null, v113, v113, 1.0
	v_div_scale_f32 v121, vcc_lo, 1.0, v113, 1.0
	v_rcp_f32_e32 v119, v112
	v_nop
	s_delay_alu instid0(TRANS32_DEP_1) | instskip(NEXT) | instid1(VALU_DEP_1)
	v_fma_f32 v120, -v112, v119, 1.0
	v_fmac_f32_e32 v119, v120, v119
	s_delay_alu instid0(VALU_DEP_1) | instskip(NEXT) | instid1(VALU_DEP_1)
	v_mul_f32_e32 v120, v121, v119
	v_fma_f32 v122, -v112, v120, v121
	s_delay_alu instid0(VALU_DEP_1) | instskip(NEXT) | instid1(VALU_DEP_1)
	v_fmac_f32_e32 v120, v122, v119
	v_fma_f32 v112, -v112, v120, v121
	s_delay_alu instid0(VALU_DEP_1) | instskip(NEXT) | instid1(VALU_DEP_1)
	v_div_fmas_f32 v112, v112, v119, v120
	v_div_fixup_f32 v113, v112, v113, 1.0
	s_delay_alu instid0(VALU_DEP_1)
	v_mul_f32_e32 v112, v111, v113
	v_xor_b32_e32 v113, 0x80000000, v113
.LBB102_70:
	s_and_not1_saveexec_b32 s1, s1
	s_cbranch_execz .LBB102_72
; %bb.71:
	s_delay_alu instid0(VALU_DEP_1) | instskip(SKIP_1) | instid1(VALU_DEP_2)
	v_div_scale_f32 v111, null, v112, v112, v113
	v_div_scale_f32 v121, vcc_lo, v113, v112, v113
	v_rcp_f32_e32 v119, v111
	v_nop
	s_delay_alu instid0(TRANS32_DEP_1) | instskip(NEXT) | instid1(VALU_DEP_1)
	v_fma_f32 v120, -v111, v119, 1.0
	v_fmac_f32_e32 v119, v120, v119
	s_delay_alu instid0(VALU_DEP_1) | instskip(NEXT) | instid1(VALU_DEP_1)
	v_mul_f32_e32 v120, v121, v119
	v_fma_f32 v122, -v111, v120, v121
	s_delay_alu instid0(VALU_DEP_1) | instskip(NEXT) | instid1(VALU_DEP_1)
	v_fmac_f32_e32 v120, v122, v119
	v_fma_f32 v111, -v111, v120, v121
	s_delay_alu instid0(VALU_DEP_1) | instskip(NEXT) | instid1(VALU_DEP_1)
	v_div_fmas_f32 v111, v111, v119, v120
	v_div_fixup_f32 v111, v111, v112, v113
	s_delay_alu instid0(VALU_DEP_1) | instskip(NEXT) | instid1(VALU_DEP_1)
	v_fmac_f32_e32 v112, v113, v111
	v_div_scale_f32 v113, null, v112, v112, 1.0
	s_delay_alu instid0(VALU_DEP_1) | instskip(SKIP_1) | instid1(TRANS32_DEP_1)
	v_rcp_f32_e32 v119, v113
	v_nop
	v_fma_f32 v120, -v113, v119, 1.0
	s_delay_alu instid0(VALU_DEP_1) | instskip(SKIP_1) | instid1(VALU_DEP_1)
	v_fmac_f32_e32 v119, v120, v119
	v_div_scale_f32 v120, vcc_lo, 1.0, v112, 1.0
	v_mul_f32_e32 v121, v120, v119
	s_delay_alu instid0(VALU_DEP_1) | instskip(NEXT) | instid1(VALU_DEP_1)
	v_fma_f32 v122, -v113, v121, v120
	v_fmac_f32_e32 v121, v122, v119
	s_delay_alu instid0(VALU_DEP_1) | instskip(NEXT) | instid1(VALU_DEP_1)
	v_fma_f32 v113, -v113, v121, v120
	v_div_fmas_f32 v113, v113, v119, v121
	s_delay_alu instid0(VALU_DEP_1) | instskip(NEXT) | instid1(VALU_DEP_1)
	v_div_fixup_f32 v112, v113, v112, 1.0
	v_mul_f32_e64 v113, v111, -v112
.LBB102_72:
	s_or_b32 exec_lo, exec_lo, s1
.LBB102_73:
	s_delay_alu instid0(SALU_CYCLE_1) | instskip(NEXT) | instid1(SALU_CYCLE_1)
	s_or_b32 exec_lo, exec_lo, s0
	s_mov_b32 s0, exec_lo
	v_cmpx_ne_u32_e64 v118, v110
	s_xor_b32 s0, exec_lo, s0
	s_cbranch_execz .LBB102_79
; %bb.74:
	s_mov_b32 s1, exec_lo
	v_cmpx_eq_u32_e32 3, v118
	s_cbranch_execz .LBB102_78
; %bb.75:
	v_cmp_ne_u32_e32 vcc_lo, 3, v110
	s_xor_b32 s12, s16, -1
	s_delay_alu instid0(SALU_CYCLE_1) | instskip(NEXT) | instid1(SALU_CYCLE_1)
	s_and_b32 s13, s12, vcc_lo
	s_and_saveexec_b32 s12, s13
	s_cbranch_execz .LBB102_77
; %bb.76:
	v_ashrrev_i32_e32 v111, 31, v110
	s_delay_alu instid0(VALU_DEP_1)
	v_lshl_add_u64 v[118:119], v[110:111], 2, v[4:5]
	s_clause 0x1
	global_load_b32 v111, v[118:119], off
	global_load_b32 v117, v[4:5], off offset:12
	s_wait_loadcnt 0x1
	global_store_b32 v[4:5], v111, off offset:12
	s_wait_loadcnt 0x0
	global_store_b32 v[118:119], v117, off
.LBB102_77:
	s_wait_xcnt 0x0
	s_or_b32 exec_lo, exec_lo, s12
	v_dual_mov_b32 v118, v110 :: v_dual_mov_b32 v117, v110
.LBB102_78:
	s_or_b32 exec_lo, exec_lo, s1
.LBB102_79:
	s_and_not1_saveexec_b32 s0, s0
	s_cbranch_execz .LBB102_81
; %bb.80:
	v_dual_mov_b32 v110, v86 :: v_dual_mov_b32 v111, v87
	v_dual_mov_b32 v118, v82 :: v_dual_mov_b32 v119, v83
	;; [unrolled: 1-line block ×4, first 2 shown]
	ds_store_2addr_b64 v114, v[110:111], v[118:119] offset0:4 offset1:5
	ds_store_2addr_b64 v114, v[120:121], v[122:123] offset0:6 offset1:7
	v_dual_mov_b32 v110, v98 :: v_dual_mov_b32 v111, v99
	v_dual_mov_b32 v118, v94 :: v_dual_mov_b32 v119, v95
	v_dual_mov_b32 v120, v96 :: v_dual_mov_b32 v121, v97
	v_dual_mov_b32 v122, v38 :: v_dual_mov_b32 v123, v39
	v_dual_mov_b32 v124, v92 :: v_dual_mov_b32 v125, v93
	v_dual_mov_b32 v126, v88 :: v_dual_mov_b32 v127, v89
	v_dual_mov_b32 v128, v90 :: v_dual_mov_b32 v129, v91
	v_dual_mov_b32 v130, v32 :: v_dual_mov_b32 v131, v33
	v_dual_mov_b32 v132, v80 :: v_dual_mov_b32 v133, v81
	v_dual_mov_b32 v134, v76 :: v_dual_mov_b32 v135, v77
	v_dual_mov_b32 v136, v78 :: v_dual_mov_b32 v137, v79
	v_dual_mov_b32 v138, v24 :: v_dual_mov_b32 v139, v25
	ds_store_2addr_b64 v114, v[110:111], v[118:119] offset0:8 offset1:9
	ds_store_2addr_b64 v114, v[120:121], v[122:123] offset0:10 offset1:11
	ds_store_2addr_b64 v114, v[124:125], v[126:127] offset0:12 offset1:13
	ds_store_2addr_b64 v114, v[128:129], v[130:131] offset0:14 offset1:15
	ds_store_2addr_b64 v114, v[132:133], v[134:135] offset0:16 offset1:17
	ds_store_2addr_b64 v114, v[136:137], v[138:139] offset0:18 offset1:19
	v_dual_mov_b32 v110, v74 :: v_dual_mov_b32 v111, v75
	v_dual_mov_b32 v118, v70 :: v_dual_mov_b32 v119, v71
	v_dual_mov_b32 v120, v72 :: v_dual_mov_b32 v121, v73
	v_dual_mov_b32 v122, v22 :: v_dual_mov_b32 v123, v23
	v_dual_mov_b32 v124, v68 :: v_dual_mov_b32 v125, v69
	v_dual_mov_b32 v126, v64 :: v_dual_mov_b32 v127, v65
	v_dual_mov_b32 v128, v66 :: v_dual_mov_b32 v129, v67
	v_dual_mov_b32 v130, v20 :: v_dual_mov_b32 v131, v21
	v_dual_mov_b32 v132, v62 :: v_dual_mov_b32 v133, v63
	v_dual_mov_b32 v134, v58 :: v_dual_mov_b32 v135, v59
	v_dual_mov_b32 v136, v60 :: v_dual_mov_b32 v137, v61
	v_dual_mov_b32 v138, v18 :: v_dual_mov_b32 v139, v19
	ds_store_2addr_b64 v114, v[110:111], v[118:119] offset0:20 offset1:21
	ds_store_2addr_b64 v114, v[120:121], v[122:123] offset0:22 offset1:23
	ds_store_2addr_b64 v114, v[124:125], v[126:127] offset0:24 offset1:25
	ds_store_2addr_b64 v114, v[128:129], v[130:131] offset0:26 offset1:27
	ds_store_2addr_b64 v114, v[132:133], v[134:135] offset0:28 offset1:29
	ds_store_2addr_b64 v114, v[136:137], v[138:139] offset0:30 offset1:31
	v_dual_mov_b32 v110, v56 :: v_dual_mov_b32 v111, v57
	v_dual_mov_b32 v118, v52 :: v_dual_mov_b32 v119, v53
	v_dual_mov_b32 v120, v54 :: v_dual_mov_b32 v121, v55
	v_dual_mov_b32 v122, v12 :: v_dual_mov_b32 v123, v13
	v_dual_mov_b32 v124, v50 :: v_dual_mov_b32 v125, v51
	v_dual_mov_b32 v126, v46 :: v_dual_mov_b32 v127, v47
	v_dual_mov_b32 v128, v48 :: v_dual_mov_b32 v129, v49
	v_dual_mov_b32 v130, v10 :: v_dual_mov_b32 v131, v11
	v_dual_mov_b32 v132, v44 :: v_dual_mov_b32 v133, v45
	v_dual_mov_b32 v134, v40 :: v_dual_mov_b32 v135, v41
	v_dual_mov_b32 v136, v42 :: v_dual_mov_b32 v137, v43
	v_dual_mov_b32 v138, v6 :: v_dual_mov_b32 v139, v7
	ds_store_2addr_b64 v114, v[110:111], v[118:119] offset0:32 offset1:33
	ds_store_2addr_b64 v114, v[120:121], v[122:123] offset0:34 offset1:35
	ds_store_2addr_b64 v114, v[124:125], v[126:127] offset0:36 offset1:37
	ds_store_2addr_b64 v114, v[128:129], v[130:131] offset0:38 offset1:39
	ds_store_2addr_b64 v114, v[132:133], v[134:135] offset0:40 offset1:41
	ds_store_2addr_b64 v114, v[136:137], v[138:139] offset0:42 offset1:43
	v_dual_mov_b32 v110, v36 :: v_dual_mov_b32 v111, v37
	v_dual_mov_b32 v120, v30 :: v_dual_mov_b32 v121, v31
	;; [unrolled: 1-line block ×7, first 2 shown]
	v_mov_b32_e32 v131, v15
	ds_store_2addr_b64 v114, v[110:111], v[120:121] offset0:44 offset1:45
	ds_store_2addr_b64 v114, v[122:123], v[124:125] offset0:46 offset1:47
	;; [unrolled: 1-line block ×4, first 2 shown]
.LBB102_81:
	s_or_b32 exec_lo, exec_lo, s0
	s_delay_alu instid0(SALU_CYCLE_1)
	s_mov_b32 s0, exec_lo
	s_wait_storecnt_dscnt 0x0
	s_barrier_signal -1
	s_barrier_wait -1
	v_cmpx_lt_i32_e32 3, v118
	s_cbranch_execz .LBB102_83
; %bb.82:
	v_pk_mul_f32 v[120:121], v[112:113], v[100:101] op_sel:[1,1] op_sel_hi:[0,1]
	s_delay_alu instid0(VALU_DEP_1)
	v_pk_fma_f32 v[110:111], v[112:113], v[100:101], v[120:121] op_sel_hi:[1,0,1] neg_lo:[0,0,1] neg_hi:[0,0,1]
	v_pk_fma_f32 v[112:113], v[112:113], v[100:101], v[120:121] op_sel_hi:[1,0,1]
	ds_load_2addr_b64 v[120:123], v114 offset0:4 offset1:5
	v_dual_mov_b32 v100, v110 :: v_dual_mov_b32 v101, v113
	s_wait_dscnt 0x0
	v_pk_mul_f32 v[124:125], v[120:121], v[112:113] op_sel:[0,1]
	s_delay_alu instid0(VALU_DEP_1) | instskip(SKIP_1) | instid1(VALU_DEP_1)
	v_pk_fma_f32 v[126:127], v[120:121], v[110:111], v[124:125] op_sel:[0,0,1] op_sel_hi:[1,1,0] neg_lo:[0,0,1] neg_hi:[0,0,1]
	v_pk_fma_f32 v[120:121], v[120:121], v[110:111], v[124:125] op_sel:[0,0,1] op_sel_hi:[1,0,0]
	v_mov_b32_e32 v127, v121
	v_pk_mul_f32 v[120:121], v[122:123], v[112:113] op_sel:[0,1]
	s_delay_alu instid0(VALU_DEP_1) | instskip(SKIP_1) | instid1(VALU_DEP_1)
	v_pk_fma_f32 v[124:125], v[122:123], v[110:111], v[120:121] op_sel:[0,0,1] op_sel_hi:[1,1,0] neg_lo:[0,0,1] neg_hi:[0,0,1]
	v_pk_fma_f32 v[120:121], v[122:123], v[110:111], v[120:121] op_sel:[0,0,1] op_sel_hi:[1,0,0]
	v_mov_b32_e32 v125, v121
	ds_load_2addr_b64 v[120:123], v114 offset0:6 offset1:7
	v_pk_add_f32 v[86:87], v[86:87], v[126:127] neg_lo:[0,1] neg_hi:[0,1]
	v_pk_add_f32 v[82:83], v[82:83], v[124:125] neg_lo:[0,1] neg_hi:[0,1]
	s_wait_dscnt 0x0
	v_pk_mul_f32 v[124:125], v[120:121], v[112:113] op_sel:[0,1]
	s_delay_alu instid0(VALU_DEP_1) | instskip(SKIP_2) | instid1(VALU_DEP_2)
	v_pk_fma_f32 v[126:127], v[120:121], v[110:111], v[124:125] op_sel:[0,0,1] op_sel_hi:[1,1,0] neg_lo:[0,0,1] neg_hi:[0,0,1]
	v_pk_fma_f32 v[120:121], v[120:121], v[110:111], v[124:125] op_sel:[0,0,1] op_sel_hi:[1,0,0]
	v_dual_mul_f32 v124, v123, v113 :: v_dual_mov_b32 v120, v123
	v_dual_mov_b32 v127, v121 :: v_dual_mov_b32 v121, v122
	s_delay_alu instid0(VALU_DEP_2) | instskip(SKIP_1) | instid1(VALU_DEP_3)
	v_pk_fma_f32 v[124:125], v[122:123], v[100:101], v[124:125] op_sel_hi:[1,1,0] neg_lo:[0,0,1] neg_hi:[0,0,1]
	v_mul_f32_e32 v122, v123, v110
	v_pk_add_f32 v[84:85], v[84:85], v[126:127] neg_lo:[0,1] neg_hi:[0,1]
	s_delay_alu instid0(VALU_DEP_2) | instskip(NEXT) | instid1(VALU_DEP_1)
	v_pk_fma_f32 v[120:121], v[120:121], v[100:101], v[122:123] op_sel_hi:[1,1,0]
	v_mov_b32_e32 v125, v121
	ds_load_2addr_b64 v[120:123], v114 offset0:8 offset1:9
	v_pk_add_f32 v[26:27], v[26:27], v[124:125] neg_lo:[0,1] neg_hi:[0,1]
	s_wait_dscnt 0x0
	v_pk_mul_f32 v[124:125], v[120:121], v[112:113] op_sel:[0,1]
	s_delay_alu instid0(VALU_DEP_1) | instskip(SKIP_1) | instid1(VALU_DEP_1)
	v_pk_fma_f32 v[126:127], v[120:121], v[110:111], v[124:125] op_sel:[0,0,1] op_sel_hi:[1,1,0] neg_lo:[0,0,1] neg_hi:[0,0,1]
	v_pk_fma_f32 v[120:121], v[120:121], v[110:111], v[124:125] op_sel:[0,0,1] op_sel_hi:[1,0,0]
	v_mov_b32_e32 v127, v121
	v_pk_mul_f32 v[120:121], v[122:123], v[112:113] op_sel:[0,1]
	s_delay_alu instid0(VALU_DEP_1) | instskip(SKIP_1) | instid1(VALU_DEP_1)
	v_pk_fma_f32 v[124:125], v[122:123], v[110:111], v[120:121] op_sel:[0,0,1] op_sel_hi:[1,1,0] neg_lo:[0,0,1] neg_hi:[0,0,1]
	v_pk_fma_f32 v[120:121], v[122:123], v[110:111], v[120:121] op_sel:[0,0,1] op_sel_hi:[1,0,0]
	v_mov_b32_e32 v125, v121
	ds_load_2addr_b64 v[120:123], v114 offset0:10 offset1:11
	v_pk_add_f32 v[98:99], v[98:99], v[126:127] neg_lo:[0,1] neg_hi:[0,1]
	v_pk_add_f32 v[94:95], v[94:95], v[124:125] neg_lo:[0,1] neg_hi:[0,1]
	s_wait_dscnt 0x0
	v_pk_mul_f32 v[124:125], v[120:121], v[112:113] op_sel:[0,1]
	s_delay_alu instid0(VALU_DEP_1) | instskip(SKIP_1) | instid1(VALU_DEP_1)
	v_pk_fma_f32 v[126:127], v[120:121], v[110:111], v[124:125] op_sel:[0,0,1] op_sel_hi:[1,1,0] neg_lo:[0,0,1] neg_hi:[0,0,1]
	v_pk_fma_f32 v[120:121], v[120:121], v[110:111], v[124:125] op_sel:[0,0,1] op_sel_hi:[1,0,0]
	v_mov_b32_e32 v127, v121
	v_pk_mul_f32 v[120:121], v[122:123], v[112:113] op_sel:[0,1]
	s_delay_alu instid0(VALU_DEP_1) | instskip(SKIP_1) | instid1(VALU_DEP_1)
	v_pk_fma_f32 v[124:125], v[122:123], v[110:111], v[120:121] op_sel:[0,0,1] op_sel_hi:[1,1,0] neg_lo:[0,0,1] neg_hi:[0,0,1]
	v_pk_fma_f32 v[120:121], v[122:123], v[110:111], v[120:121] op_sel:[0,0,1] op_sel_hi:[1,0,0]
	v_mov_b32_e32 v125, v121
	ds_load_2addr_b64 v[120:123], v114 offset0:12 offset1:13
	v_pk_add_f32 v[96:97], v[96:97], v[126:127] neg_lo:[0,1] neg_hi:[0,1]
	v_pk_add_f32 v[38:39], v[38:39], v[124:125] neg_lo:[0,1] neg_hi:[0,1]
	s_wait_dscnt 0x0
	v_dual_mul_f32 v124, v121, v113 :: v_dual_mul_f32 v126, v121, v110
	s_delay_alu instid0(VALU_DEP_1) | instskip(NEXT) | instid1(VALU_DEP_2)
	v_pk_fma_f32 v[124:125], v[120:121], v[100:101], v[124:125] op_sel_hi:[1,1,0] neg_lo:[0,0,1] neg_hi:[0,0,1]
	v_pk_fma_f32 v[120:121], v[120:121], v[100:101], v[126:127] op_sel:[1,0,0] op_sel_hi:[0,1,0]
	s_delay_alu instid0(VALU_DEP_1) | instskip(SKIP_1) | instid1(VALU_DEP_2)
	v_mov_b32_e32 v125, v121
	v_pk_mul_f32 v[120:121], v[122:123], v[112:113] op_sel:[0,1]
	v_pk_add_f32 v[92:93], v[92:93], v[124:125] neg_lo:[0,1] neg_hi:[0,1]
	s_delay_alu instid0(VALU_DEP_2) | instskip(SKIP_1) | instid1(VALU_DEP_1)
	v_pk_fma_f32 v[124:125], v[122:123], v[110:111], v[120:121] op_sel:[0,0,1] op_sel_hi:[1,1,0] neg_lo:[0,0,1] neg_hi:[0,0,1]
	v_pk_fma_f32 v[120:121], v[122:123], v[110:111], v[120:121] op_sel:[0,0,1] op_sel_hi:[1,0,0]
	v_mov_b32_e32 v125, v121
	ds_load_2addr_b64 v[120:123], v114 offset0:14 offset1:15
	v_pk_add_f32 v[88:89], v[88:89], v[124:125] neg_lo:[0,1] neg_hi:[0,1]
	s_wait_dscnt 0x0
	v_pk_mul_f32 v[124:125], v[120:121], v[112:113] op_sel:[0,1]
	s_delay_alu instid0(VALU_DEP_1) | instskip(SKIP_1) | instid1(VALU_DEP_1)
	v_pk_fma_f32 v[126:127], v[120:121], v[110:111], v[124:125] op_sel:[0,0,1] op_sel_hi:[1,1,0] neg_lo:[0,0,1] neg_hi:[0,0,1]
	v_pk_fma_f32 v[120:121], v[120:121], v[110:111], v[124:125] op_sel:[0,0,1] op_sel_hi:[1,0,0]
	v_mov_b32_e32 v127, v121
	v_pk_mul_f32 v[120:121], v[122:123], v[112:113] op_sel:[0,1]
	s_delay_alu instid0(VALU_DEP_2) | instskip(NEXT) | instid1(VALU_DEP_2)
	v_pk_add_f32 v[90:91], v[90:91], v[126:127] neg_lo:[0,1] neg_hi:[0,1]
	v_pk_fma_f32 v[124:125], v[122:123], v[110:111], v[120:121] op_sel:[0,0,1] op_sel_hi:[1,1,0] neg_lo:[0,0,1] neg_hi:[0,0,1]
	v_pk_fma_f32 v[120:121], v[122:123], v[110:111], v[120:121] op_sel:[0,0,1] op_sel_hi:[1,0,0]
	s_delay_alu instid0(VALU_DEP_1) | instskip(SKIP_4) | instid1(VALU_DEP_1)
	v_mov_b32_e32 v125, v121
	ds_load_2addr_b64 v[120:123], v114 offset0:16 offset1:17
	v_pk_add_f32 v[32:33], v[32:33], v[124:125] neg_lo:[0,1] neg_hi:[0,1]
	s_wait_dscnt 0x0
	v_pk_mul_f32 v[124:125], v[120:121], v[112:113] op_sel:[0,1]
	v_pk_fma_f32 v[126:127], v[120:121], v[110:111], v[124:125] op_sel:[0,0,1] op_sel_hi:[1,1,0] neg_lo:[0,0,1] neg_hi:[0,0,1]
	v_pk_fma_f32 v[120:121], v[120:121], v[110:111], v[124:125] op_sel:[0,0,1] op_sel_hi:[1,0,0]
	v_dual_mul_f32 v124, v123, v113 :: v_dual_mov_b32 v120, v123
	s_delay_alu instid0(VALU_DEP_2) | instskip(NEXT) | instid1(VALU_DEP_2)
	v_dual_mov_b32 v127, v121 :: v_dual_mov_b32 v121, v122
	v_pk_fma_f32 v[124:125], v[122:123], v[100:101], v[124:125] op_sel_hi:[1,1,0] neg_lo:[0,0,1] neg_hi:[0,0,1]
	v_mul_f32_e32 v122, v123, v110
	s_delay_alu instid0(VALU_DEP_3) | instskip(NEXT) | instid1(VALU_DEP_2)
	v_pk_add_f32 v[80:81], v[80:81], v[126:127] neg_lo:[0,1] neg_hi:[0,1]
	v_pk_fma_f32 v[120:121], v[120:121], v[100:101], v[122:123] op_sel_hi:[1,1,0]
	s_delay_alu instid0(VALU_DEP_1) | instskip(SKIP_4) | instid1(VALU_DEP_1)
	v_mov_b32_e32 v125, v121
	ds_load_2addr_b64 v[120:123], v114 offset0:18 offset1:19
	v_pk_add_f32 v[76:77], v[76:77], v[124:125] neg_lo:[0,1] neg_hi:[0,1]
	s_wait_dscnt 0x0
	v_pk_mul_f32 v[124:125], v[120:121], v[112:113] op_sel:[0,1]
	v_pk_fma_f32 v[126:127], v[120:121], v[110:111], v[124:125] op_sel:[0,0,1] op_sel_hi:[1,1,0] neg_lo:[0,0,1] neg_hi:[0,0,1]
	v_pk_fma_f32 v[120:121], v[120:121], v[110:111], v[124:125] op_sel:[0,0,1] op_sel_hi:[1,0,0]
	s_delay_alu instid0(VALU_DEP_1) | instskip(SKIP_1) | instid1(VALU_DEP_1)
	v_mov_b32_e32 v127, v121
	v_pk_mul_f32 v[120:121], v[122:123], v[112:113] op_sel:[0,1]
	v_pk_fma_f32 v[124:125], v[122:123], v[110:111], v[120:121] op_sel:[0,0,1] op_sel_hi:[1,1,0] neg_lo:[0,0,1] neg_hi:[0,0,1]
	v_pk_fma_f32 v[120:121], v[122:123], v[110:111], v[120:121] op_sel:[0,0,1] op_sel_hi:[1,0,0]
	s_delay_alu instid0(VALU_DEP_1)
	v_mov_b32_e32 v125, v121
	ds_load_2addr_b64 v[120:123], v114 offset0:20 offset1:21
	v_pk_add_f32 v[78:79], v[78:79], v[126:127] neg_lo:[0,1] neg_hi:[0,1]
	v_pk_add_f32 v[24:25], v[24:25], v[124:125] neg_lo:[0,1] neg_hi:[0,1]
	s_wait_dscnt 0x0
	v_pk_mul_f32 v[124:125], v[120:121], v[112:113] op_sel:[0,1]
	s_delay_alu instid0(VALU_DEP_1) | instskip(SKIP_1) | instid1(VALU_DEP_1)
	v_pk_fma_f32 v[126:127], v[120:121], v[110:111], v[124:125] op_sel:[0,0,1] op_sel_hi:[1,1,0] neg_lo:[0,0,1] neg_hi:[0,0,1]
	v_pk_fma_f32 v[120:121], v[120:121], v[110:111], v[124:125] op_sel:[0,0,1] op_sel_hi:[1,0,0]
	v_mov_b32_e32 v127, v121
	v_pk_mul_f32 v[120:121], v[122:123], v[112:113] op_sel:[0,1]
	s_delay_alu instid0(VALU_DEP_1) | instskip(SKIP_1) | instid1(VALU_DEP_1)
	v_pk_fma_f32 v[124:125], v[122:123], v[110:111], v[120:121] op_sel:[0,0,1] op_sel_hi:[1,1,0] neg_lo:[0,0,1] neg_hi:[0,0,1]
	v_pk_fma_f32 v[120:121], v[122:123], v[110:111], v[120:121] op_sel:[0,0,1] op_sel_hi:[1,0,0]
	v_mov_b32_e32 v125, v121
	ds_load_2addr_b64 v[120:123], v114 offset0:22 offset1:23
	v_pk_add_f32 v[74:75], v[74:75], v[126:127] neg_lo:[0,1] neg_hi:[0,1]
	v_pk_add_f32 v[70:71], v[70:71], v[124:125] neg_lo:[0,1] neg_hi:[0,1]
	s_wait_dscnt 0x0
	v_dual_mul_f32 v124, v121, v113 :: v_dual_mul_f32 v126, v121, v110
	s_delay_alu instid0(VALU_DEP_1) | instskip(NEXT) | instid1(VALU_DEP_2)
	v_pk_fma_f32 v[124:125], v[120:121], v[100:101], v[124:125] op_sel_hi:[1,1,0] neg_lo:[0,0,1] neg_hi:[0,0,1]
	v_pk_fma_f32 v[120:121], v[120:121], v[100:101], v[126:127] op_sel:[1,0,0] op_sel_hi:[0,1,0]
	s_delay_alu instid0(VALU_DEP_1) | instskip(SKIP_1) | instid1(VALU_DEP_2)
	v_mov_b32_e32 v125, v121
	v_pk_mul_f32 v[120:121], v[122:123], v[112:113] op_sel:[0,1]
	v_pk_add_f32 v[72:73], v[72:73], v[124:125] neg_lo:[0,1] neg_hi:[0,1]
	s_delay_alu instid0(VALU_DEP_2) | instskip(SKIP_1) | instid1(VALU_DEP_1)
	v_pk_fma_f32 v[124:125], v[122:123], v[110:111], v[120:121] op_sel:[0,0,1] op_sel_hi:[1,1,0] neg_lo:[0,0,1] neg_hi:[0,0,1]
	v_pk_fma_f32 v[120:121], v[122:123], v[110:111], v[120:121] op_sel:[0,0,1] op_sel_hi:[1,0,0]
	v_mov_b32_e32 v125, v121
	ds_load_2addr_b64 v[120:123], v114 offset0:24 offset1:25
	v_pk_add_f32 v[22:23], v[22:23], v[124:125] neg_lo:[0,1] neg_hi:[0,1]
	s_wait_dscnt 0x0
	v_pk_mul_f32 v[124:125], v[120:121], v[112:113] op_sel:[0,1]
	s_delay_alu instid0(VALU_DEP_1) | instskip(SKIP_1) | instid1(VALU_DEP_1)
	v_pk_fma_f32 v[126:127], v[120:121], v[110:111], v[124:125] op_sel:[0,0,1] op_sel_hi:[1,1,0] neg_lo:[0,0,1] neg_hi:[0,0,1]
	v_pk_fma_f32 v[120:121], v[120:121], v[110:111], v[124:125] op_sel:[0,0,1] op_sel_hi:[1,0,0]
	v_mov_b32_e32 v127, v121
	v_pk_mul_f32 v[120:121], v[122:123], v[112:113] op_sel:[0,1]
	s_delay_alu instid0(VALU_DEP_2) | instskip(NEXT) | instid1(VALU_DEP_2)
	v_pk_add_f32 v[68:69], v[68:69], v[126:127] neg_lo:[0,1] neg_hi:[0,1]
	v_pk_fma_f32 v[124:125], v[122:123], v[110:111], v[120:121] op_sel:[0,0,1] op_sel_hi:[1,1,0] neg_lo:[0,0,1] neg_hi:[0,0,1]
	v_pk_fma_f32 v[120:121], v[122:123], v[110:111], v[120:121] op_sel:[0,0,1] op_sel_hi:[1,0,0]
	s_delay_alu instid0(VALU_DEP_1) | instskip(SKIP_4) | instid1(VALU_DEP_1)
	v_mov_b32_e32 v125, v121
	ds_load_2addr_b64 v[120:123], v114 offset0:26 offset1:27
	v_pk_add_f32 v[64:65], v[64:65], v[124:125] neg_lo:[0,1] neg_hi:[0,1]
	s_wait_dscnt 0x0
	v_pk_mul_f32 v[124:125], v[120:121], v[112:113] op_sel:[0,1]
	v_pk_fma_f32 v[126:127], v[120:121], v[110:111], v[124:125] op_sel:[0,0,1] op_sel_hi:[1,1,0] neg_lo:[0,0,1] neg_hi:[0,0,1]
	v_pk_fma_f32 v[120:121], v[120:121], v[110:111], v[124:125] op_sel:[0,0,1] op_sel_hi:[1,0,0]
	v_dual_mul_f32 v124, v123, v113 :: v_dual_mov_b32 v120, v123
	s_delay_alu instid0(VALU_DEP_2) | instskip(NEXT) | instid1(VALU_DEP_2)
	v_dual_mov_b32 v127, v121 :: v_dual_mov_b32 v121, v122
	v_pk_fma_f32 v[124:125], v[122:123], v[100:101], v[124:125] op_sel_hi:[1,1,0] neg_lo:[0,0,1] neg_hi:[0,0,1]
	v_mul_f32_e32 v122, v123, v110
	s_delay_alu instid0(VALU_DEP_3) | instskip(NEXT) | instid1(VALU_DEP_2)
	v_pk_add_f32 v[66:67], v[66:67], v[126:127] neg_lo:[0,1] neg_hi:[0,1]
	v_pk_fma_f32 v[120:121], v[120:121], v[100:101], v[122:123] op_sel_hi:[1,1,0]
	s_delay_alu instid0(VALU_DEP_1) | instskip(SKIP_4) | instid1(VALU_DEP_1)
	v_mov_b32_e32 v125, v121
	ds_load_2addr_b64 v[120:123], v114 offset0:28 offset1:29
	v_pk_add_f32 v[20:21], v[20:21], v[124:125] neg_lo:[0,1] neg_hi:[0,1]
	s_wait_dscnt 0x0
	v_pk_mul_f32 v[124:125], v[120:121], v[112:113] op_sel:[0,1]
	v_pk_fma_f32 v[126:127], v[120:121], v[110:111], v[124:125] op_sel:[0,0,1] op_sel_hi:[1,1,0] neg_lo:[0,0,1] neg_hi:[0,0,1]
	v_pk_fma_f32 v[120:121], v[120:121], v[110:111], v[124:125] op_sel:[0,0,1] op_sel_hi:[1,0,0]
	s_delay_alu instid0(VALU_DEP_1) | instskip(SKIP_1) | instid1(VALU_DEP_1)
	v_mov_b32_e32 v127, v121
	v_pk_mul_f32 v[120:121], v[122:123], v[112:113] op_sel:[0,1]
	v_pk_fma_f32 v[124:125], v[122:123], v[110:111], v[120:121] op_sel:[0,0,1] op_sel_hi:[1,1,0] neg_lo:[0,0,1] neg_hi:[0,0,1]
	v_pk_fma_f32 v[120:121], v[122:123], v[110:111], v[120:121] op_sel:[0,0,1] op_sel_hi:[1,0,0]
	s_delay_alu instid0(VALU_DEP_1)
	v_mov_b32_e32 v125, v121
	ds_load_2addr_b64 v[120:123], v114 offset0:30 offset1:31
	v_pk_add_f32 v[62:63], v[62:63], v[126:127] neg_lo:[0,1] neg_hi:[0,1]
	v_pk_add_f32 v[58:59], v[58:59], v[124:125] neg_lo:[0,1] neg_hi:[0,1]
	s_wait_dscnt 0x0
	v_pk_mul_f32 v[124:125], v[120:121], v[112:113] op_sel:[0,1]
	s_delay_alu instid0(VALU_DEP_1) | instskip(SKIP_1) | instid1(VALU_DEP_1)
	v_pk_fma_f32 v[126:127], v[120:121], v[110:111], v[124:125] op_sel:[0,0,1] op_sel_hi:[1,1,0] neg_lo:[0,0,1] neg_hi:[0,0,1]
	v_pk_fma_f32 v[120:121], v[120:121], v[110:111], v[124:125] op_sel:[0,0,1] op_sel_hi:[1,0,0]
	v_mov_b32_e32 v127, v121
	v_pk_mul_f32 v[120:121], v[122:123], v[112:113] op_sel:[0,1]
	s_delay_alu instid0(VALU_DEP_1) | instskip(SKIP_1) | instid1(VALU_DEP_1)
	v_pk_fma_f32 v[124:125], v[122:123], v[110:111], v[120:121] op_sel:[0,0,1] op_sel_hi:[1,1,0] neg_lo:[0,0,1] neg_hi:[0,0,1]
	v_pk_fma_f32 v[120:121], v[122:123], v[110:111], v[120:121] op_sel:[0,0,1] op_sel_hi:[1,0,0]
	v_mov_b32_e32 v125, v121
	ds_load_2addr_b64 v[120:123], v114 offset0:32 offset1:33
	v_pk_add_f32 v[60:61], v[60:61], v[126:127] neg_lo:[0,1] neg_hi:[0,1]
	v_pk_add_f32 v[18:19], v[18:19], v[124:125] neg_lo:[0,1] neg_hi:[0,1]
	s_wait_dscnt 0x0
	v_dual_mul_f32 v124, v121, v113 :: v_dual_mul_f32 v126, v121, v110
	s_delay_alu instid0(VALU_DEP_1) | instskip(NEXT) | instid1(VALU_DEP_2)
	v_pk_fma_f32 v[124:125], v[120:121], v[100:101], v[124:125] op_sel_hi:[1,1,0] neg_lo:[0,0,1] neg_hi:[0,0,1]
	v_pk_fma_f32 v[120:121], v[120:121], v[100:101], v[126:127] op_sel:[1,0,0] op_sel_hi:[0,1,0]
	s_delay_alu instid0(VALU_DEP_1) | instskip(SKIP_1) | instid1(VALU_DEP_2)
	v_mov_b32_e32 v125, v121
	v_pk_mul_f32 v[120:121], v[122:123], v[112:113] op_sel:[0,1]
	v_pk_add_f32 v[56:57], v[56:57], v[124:125] neg_lo:[0,1] neg_hi:[0,1]
	s_delay_alu instid0(VALU_DEP_2) | instskip(SKIP_1) | instid1(VALU_DEP_1)
	v_pk_fma_f32 v[124:125], v[122:123], v[110:111], v[120:121] op_sel:[0,0,1] op_sel_hi:[1,1,0] neg_lo:[0,0,1] neg_hi:[0,0,1]
	v_pk_fma_f32 v[120:121], v[122:123], v[110:111], v[120:121] op_sel:[0,0,1] op_sel_hi:[1,0,0]
	v_mov_b32_e32 v125, v121
	ds_load_2addr_b64 v[120:123], v114 offset0:34 offset1:35
	v_pk_add_f32 v[52:53], v[52:53], v[124:125] neg_lo:[0,1] neg_hi:[0,1]
	s_wait_dscnt 0x0
	v_pk_mul_f32 v[124:125], v[120:121], v[112:113] op_sel:[0,1]
	s_delay_alu instid0(VALU_DEP_1) | instskip(SKIP_1) | instid1(VALU_DEP_1)
	v_pk_fma_f32 v[126:127], v[120:121], v[110:111], v[124:125] op_sel:[0,0,1] op_sel_hi:[1,1,0] neg_lo:[0,0,1] neg_hi:[0,0,1]
	v_pk_fma_f32 v[120:121], v[120:121], v[110:111], v[124:125] op_sel:[0,0,1] op_sel_hi:[1,0,0]
	v_mov_b32_e32 v127, v121
	v_pk_mul_f32 v[120:121], v[122:123], v[112:113] op_sel:[0,1]
	s_delay_alu instid0(VALU_DEP_2) | instskip(NEXT) | instid1(VALU_DEP_2)
	v_pk_add_f32 v[54:55], v[54:55], v[126:127] neg_lo:[0,1] neg_hi:[0,1]
	v_pk_fma_f32 v[124:125], v[122:123], v[110:111], v[120:121] op_sel:[0,0,1] op_sel_hi:[1,1,0] neg_lo:[0,0,1] neg_hi:[0,0,1]
	v_pk_fma_f32 v[120:121], v[122:123], v[110:111], v[120:121] op_sel:[0,0,1] op_sel_hi:[1,0,0]
	s_delay_alu instid0(VALU_DEP_1) | instskip(SKIP_4) | instid1(VALU_DEP_1)
	v_mov_b32_e32 v125, v121
	ds_load_2addr_b64 v[120:123], v114 offset0:36 offset1:37
	v_pk_add_f32 v[12:13], v[12:13], v[124:125] neg_lo:[0,1] neg_hi:[0,1]
	s_wait_dscnt 0x0
	v_pk_mul_f32 v[124:125], v[120:121], v[112:113] op_sel:[0,1]
	v_pk_fma_f32 v[126:127], v[120:121], v[110:111], v[124:125] op_sel:[0,0,1] op_sel_hi:[1,1,0] neg_lo:[0,0,1] neg_hi:[0,0,1]
	v_pk_fma_f32 v[120:121], v[120:121], v[110:111], v[124:125] op_sel:[0,0,1] op_sel_hi:[1,0,0]
	v_dual_mul_f32 v124, v123, v113 :: v_dual_mov_b32 v120, v123
	s_delay_alu instid0(VALU_DEP_2) | instskip(NEXT) | instid1(VALU_DEP_2)
	v_dual_mov_b32 v127, v121 :: v_dual_mov_b32 v121, v122
	v_pk_fma_f32 v[124:125], v[122:123], v[100:101], v[124:125] op_sel_hi:[1,1,0] neg_lo:[0,0,1] neg_hi:[0,0,1]
	v_mul_f32_e32 v122, v123, v110
	s_delay_alu instid0(VALU_DEP_3) | instskip(NEXT) | instid1(VALU_DEP_2)
	v_pk_add_f32 v[50:51], v[50:51], v[126:127] neg_lo:[0,1] neg_hi:[0,1]
	v_pk_fma_f32 v[120:121], v[120:121], v[100:101], v[122:123] op_sel_hi:[1,1,0]
	s_delay_alu instid0(VALU_DEP_1) | instskip(SKIP_4) | instid1(VALU_DEP_1)
	v_mov_b32_e32 v125, v121
	ds_load_2addr_b64 v[120:123], v114 offset0:38 offset1:39
	v_pk_add_f32 v[46:47], v[46:47], v[124:125] neg_lo:[0,1] neg_hi:[0,1]
	s_wait_dscnt 0x0
	v_pk_mul_f32 v[124:125], v[120:121], v[112:113] op_sel:[0,1]
	v_pk_fma_f32 v[126:127], v[120:121], v[110:111], v[124:125] op_sel:[0,0,1] op_sel_hi:[1,1,0] neg_lo:[0,0,1] neg_hi:[0,0,1]
	v_pk_fma_f32 v[120:121], v[120:121], v[110:111], v[124:125] op_sel:[0,0,1] op_sel_hi:[1,0,0]
	s_delay_alu instid0(VALU_DEP_1) | instskip(SKIP_1) | instid1(VALU_DEP_1)
	v_mov_b32_e32 v127, v121
	v_pk_mul_f32 v[120:121], v[122:123], v[112:113] op_sel:[0,1]
	v_pk_fma_f32 v[124:125], v[122:123], v[110:111], v[120:121] op_sel:[0,0,1] op_sel_hi:[1,1,0] neg_lo:[0,0,1] neg_hi:[0,0,1]
	v_pk_fma_f32 v[120:121], v[122:123], v[110:111], v[120:121] op_sel:[0,0,1] op_sel_hi:[1,0,0]
	s_delay_alu instid0(VALU_DEP_1)
	v_mov_b32_e32 v125, v121
	ds_load_2addr_b64 v[120:123], v114 offset0:40 offset1:41
	v_pk_add_f32 v[48:49], v[48:49], v[126:127] neg_lo:[0,1] neg_hi:[0,1]
	v_pk_add_f32 v[10:11], v[10:11], v[124:125] neg_lo:[0,1] neg_hi:[0,1]
	s_wait_dscnt 0x0
	v_pk_mul_f32 v[124:125], v[120:121], v[112:113] op_sel:[0,1]
	s_delay_alu instid0(VALU_DEP_1) | instskip(SKIP_1) | instid1(VALU_DEP_1)
	v_pk_fma_f32 v[126:127], v[120:121], v[110:111], v[124:125] op_sel:[0,0,1] op_sel_hi:[1,1,0] neg_lo:[0,0,1] neg_hi:[0,0,1]
	v_pk_fma_f32 v[120:121], v[120:121], v[110:111], v[124:125] op_sel:[0,0,1] op_sel_hi:[1,0,0]
	v_mov_b32_e32 v127, v121
	v_pk_mul_f32 v[120:121], v[122:123], v[112:113] op_sel:[0,1]
	s_delay_alu instid0(VALU_DEP_1) | instskip(SKIP_1) | instid1(VALU_DEP_1)
	v_pk_fma_f32 v[124:125], v[122:123], v[110:111], v[120:121] op_sel:[0,0,1] op_sel_hi:[1,1,0] neg_lo:[0,0,1] neg_hi:[0,0,1]
	v_pk_fma_f32 v[120:121], v[122:123], v[110:111], v[120:121] op_sel:[0,0,1] op_sel_hi:[1,0,0]
	v_mov_b32_e32 v125, v121
	ds_load_2addr_b64 v[120:123], v114 offset0:42 offset1:43
	v_pk_add_f32 v[44:45], v[44:45], v[126:127] neg_lo:[0,1] neg_hi:[0,1]
	v_pk_add_f32 v[40:41], v[40:41], v[124:125] neg_lo:[0,1] neg_hi:[0,1]
	s_wait_dscnt 0x0
	v_dual_mul_f32 v124, v121, v113 :: v_dual_mul_f32 v126, v121, v110
	s_delay_alu instid0(VALU_DEP_1) | instskip(NEXT) | instid1(VALU_DEP_2)
	v_pk_fma_f32 v[124:125], v[120:121], v[100:101], v[124:125] op_sel_hi:[1,1,0] neg_lo:[0,0,1] neg_hi:[0,0,1]
	v_pk_fma_f32 v[120:121], v[120:121], v[100:101], v[126:127] op_sel:[1,0,0] op_sel_hi:[0,1,0]
	s_delay_alu instid0(VALU_DEP_1) | instskip(SKIP_1) | instid1(VALU_DEP_2)
	v_mov_b32_e32 v125, v121
	v_pk_mul_f32 v[120:121], v[122:123], v[112:113] op_sel:[0,1]
	v_pk_add_f32 v[42:43], v[42:43], v[124:125] neg_lo:[0,1] neg_hi:[0,1]
	s_delay_alu instid0(VALU_DEP_2) | instskip(SKIP_1) | instid1(VALU_DEP_1)
	v_pk_fma_f32 v[124:125], v[122:123], v[110:111], v[120:121] op_sel:[0,0,1] op_sel_hi:[1,1,0] neg_lo:[0,0,1] neg_hi:[0,0,1]
	v_pk_fma_f32 v[120:121], v[122:123], v[110:111], v[120:121] op_sel:[0,0,1] op_sel_hi:[1,0,0]
	v_mov_b32_e32 v125, v121
	ds_load_2addr_b64 v[120:123], v114 offset0:44 offset1:45
	v_pk_add_f32 v[6:7], v[6:7], v[124:125] neg_lo:[0,1] neg_hi:[0,1]
	s_wait_dscnt 0x0
	v_pk_mul_f32 v[124:125], v[120:121], v[112:113] op_sel:[0,1]
	s_delay_alu instid0(VALU_DEP_1) | instskip(SKIP_1) | instid1(VALU_DEP_1)
	v_pk_fma_f32 v[126:127], v[120:121], v[110:111], v[124:125] op_sel:[0,0,1] op_sel_hi:[1,1,0] neg_lo:[0,0,1] neg_hi:[0,0,1]
	v_pk_fma_f32 v[120:121], v[120:121], v[110:111], v[124:125] op_sel:[0,0,1] op_sel_hi:[1,0,0]
	v_mov_b32_e32 v127, v121
	v_pk_mul_f32 v[120:121], v[122:123], v[112:113] op_sel:[0,1]
	s_delay_alu instid0(VALU_DEP_2) | instskip(NEXT) | instid1(VALU_DEP_2)
	v_pk_add_f32 v[36:37], v[36:37], v[126:127] neg_lo:[0,1] neg_hi:[0,1]
	v_pk_fma_f32 v[124:125], v[122:123], v[110:111], v[120:121] op_sel:[0,0,1] op_sel_hi:[1,1,0] neg_lo:[0,0,1] neg_hi:[0,0,1]
	v_pk_fma_f32 v[120:121], v[122:123], v[110:111], v[120:121] op_sel:[0,0,1] op_sel_hi:[1,0,0]
	s_delay_alu instid0(VALU_DEP_1) | instskip(SKIP_4) | instid1(VALU_DEP_1)
	v_mov_b32_e32 v125, v121
	ds_load_2addr_b64 v[120:123], v114 offset0:46 offset1:47
	v_pk_add_f32 v[30:31], v[30:31], v[124:125] neg_lo:[0,1] neg_hi:[0,1]
	s_wait_dscnt 0x0
	v_pk_mul_f32 v[124:125], v[120:121], v[112:113] op_sel:[0,1]
	v_pk_fma_f32 v[126:127], v[120:121], v[110:111], v[124:125] op_sel:[0,0,1] op_sel_hi:[1,1,0] neg_lo:[0,0,1] neg_hi:[0,0,1]
	v_pk_fma_f32 v[120:121], v[120:121], v[110:111], v[124:125] op_sel:[0,0,1] op_sel_hi:[1,0,0]
	v_dual_mul_f32 v124, v123, v113 :: v_dual_mov_b32 v120, v123
	s_delay_alu instid0(VALU_DEP_2) | instskip(NEXT) | instid1(VALU_DEP_2)
	v_dual_mov_b32 v127, v121 :: v_dual_mov_b32 v121, v122
	v_pk_fma_f32 v[124:125], v[122:123], v[100:101], v[124:125] op_sel_hi:[1,1,0] neg_lo:[0,0,1] neg_hi:[0,0,1]
	v_mul_f32_e32 v122, v123, v110
	s_delay_alu instid0(VALU_DEP_3) | instskip(NEXT) | instid1(VALU_DEP_2)
	v_pk_add_f32 v[34:35], v[34:35], v[126:127] neg_lo:[0,1] neg_hi:[0,1]
	v_pk_fma_f32 v[120:121], v[120:121], v[100:101], v[122:123] op_sel_hi:[1,1,0]
	s_delay_alu instid0(VALU_DEP_1) | instskip(SKIP_4) | instid1(VALU_DEP_1)
	v_mov_b32_e32 v125, v121
	ds_load_2addr_b64 v[120:123], v114 offset0:48 offset1:49
	v_pk_add_f32 v[8:9], v[8:9], v[124:125] neg_lo:[0,1] neg_hi:[0,1]
	s_wait_dscnt 0x0
	v_pk_mul_f32 v[124:125], v[120:121], v[112:113] op_sel:[0,1]
	v_pk_fma_f32 v[126:127], v[120:121], v[110:111], v[124:125] op_sel:[0,0,1] op_sel_hi:[1,1,0] neg_lo:[0,0,1] neg_hi:[0,0,1]
	v_pk_fma_f32 v[120:121], v[120:121], v[110:111], v[124:125] op_sel:[0,0,1] op_sel_hi:[1,0,0]
	s_delay_alu instid0(VALU_DEP_1) | instskip(SKIP_1) | instid1(VALU_DEP_1)
	v_mov_b32_e32 v127, v121
	v_pk_mul_f32 v[120:121], v[122:123], v[112:113] op_sel:[0,1]
	v_pk_fma_f32 v[124:125], v[122:123], v[110:111], v[120:121] op_sel:[0,0,1] op_sel_hi:[1,1,0] neg_lo:[0,0,1] neg_hi:[0,0,1]
	v_pk_fma_f32 v[120:121], v[122:123], v[110:111], v[120:121] op_sel:[0,0,1] op_sel_hi:[1,0,0]
	s_delay_alu instid0(VALU_DEP_1)
	v_mov_b32_e32 v125, v121
	ds_load_2addr_b64 v[120:123], v114 offset0:50 offset1:51
	v_pk_add_f32 v[28:29], v[28:29], v[126:127] neg_lo:[0,1] neg_hi:[0,1]
	v_pk_add_f32 v[16:17], v[16:17], v[124:125] neg_lo:[0,1] neg_hi:[0,1]
	s_wait_dscnt 0x0
	v_pk_mul_f32 v[124:125], v[120:121], v[112:113] op_sel:[0,1]
	v_mul_f32_e32 v112, v123, v113
	s_delay_alu instid0(VALU_DEP_2) | instskip(SKIP_2) | instid1(VALU_DEP_4)
	v_pk_fma_f32 v[126:127], v[120:121], v[110:111], v[124:125] op_sel:[0,0,1] op_sel_hi:[1,1,0] neg_lo:[0,0,1] neg_hi:[0,0,1]
	v_pk_fma_f32 v[120:121], v[120:121], v[110:111], v[124:125] op_sel:[0,0,1] op_sel_hi:[1,0,0]
	v_dual_mov_b32 v120, v123 :: v_dual_mul_f32 v110, v123, v110
	v_pk_fma_f32 v[112:113], v[122:123], v[100:101], v[112:113] op_sel_hi:[1,1,0] neg_lo:[0,0,1] neg_hi:[0,0,1]
	s_delay_alu instid0(VALU_DEP_3) | instskip(NEXT) | instid1(VALU_DEP_1)
	v_dual_mov_b32 v127, v121 :: v_dual_mov_b32 v121, v122
	v_pk_add_f32 v[14:15], v[14:15], v[126:127] neg_lo:[0,1] neg_hi:[0,1]
	s_delay_alu instid0(VALU_DEP_2) | instskip(NEXT) | instid1(VALU_DEP_1)
	v_pk_fma_f32 v[110:111], v[120:121], v[100:101], v[110:111] op_sel_hi:[1,1,0]
	v_mov_b32_e32 v113, v111
	s_delay_alu instid0(VALU_DEP_1)
	v_pk_add_f32 v[108:109], v[108:109], v[112:113] neg_lo:[0,1] neg_hi:[0,1]
.LBB102_83:
	s_or_b32 exec_lo, exec_lo, s0
	v_lshl_add_u32 v110, v118, 3, v114
	s_barrier_signal -1
	s_barrier_wait -1
	ds_store_b64 v110, v[86:87]
	s_wait_dscnt 0x0
	s_barrier_signal -1
	s_barrier_wait -1
	ds_load_b64 v[112:113], v114 offset:32
	v_mov_b32_e32 v110, 4
	s_cmp_lt_i32 s18, 6
	s_cbranch_scc1 .LBB102_86
; %bb.84:
	v_add3_u32 v111, v115, 0, 40
	v_mov_b32_e32 v110, 4
	s_mov_b32 s0, 5
.LBB102_85:                             ; =>This Inner Loop Header: Depth=1
	ds_load_b64 v[120:121], v111
	s_wait_dscnt 0x1
	v_cmp_gt_f32_e32 vcc_lo, 0, v112
	v_cndmask_b32_e64 v122, v112, -v112, vcc_lo
	v_cmp_gt_f32_e32 vcc_lo, 0, v113
	v_cndmask_b32_e64 v124, v113, -v113, vcc_lo
	s_wait_dscnt 0x0
	v_cmp_gt_f32_e32 vcc_lo, 0, v120
	v_cndmask_b32_e64 v123, v120, -v120, vcc_lo
	v_cmp_gt_f32_e32 vcc_lo, 0, v121
	v_cndmask_b32_e64 v125, v121, -v121, vcc_lo
	s_delay_alu instid0(VALU_DEP_1) | instskip(NEXT) | instid1(VALU_DEP_1)
	v_pk_add_f32 v[122:123], v[122:123], v[124:125]
	v_cmp_lt_f32_e32 vcc_lo, v122, v123
	v_dual_add_nc_u32 v111, 8, v111 :: v_dual_cndmask_b32 v113, v113, v121, vcc_lo
	v_cndmask_b32_e32 v112, v112, v120, vcc_lo
	v_cndmask_b32_e64 v110, v110, s0, vcc_lo
	s_add_co_i32 s0, s0, 1
	s_delay_alu instid0(SALU_CYCLE_1)
	s_cmp_lg_u32 s18, s0
	s_cbranch_scc1 .LBB102_85
.LBB102_86:
	s_wait_dscnt 0x0
	v_cmp_eq_f32_e32 vcc_lo, 0, v112
	v_cmp_eq_f32_e64 s0, 0, v113
	s_and_b32 s0, vcc_lo, s0
	s_delay_alu instid0(SALU_CYCLE_1) | instskip(NEXT) | instid1(SALU_CYCLE_1)
	s_and_saveexec_b32 s1, s0
	s_xor_b32 s0, exec_lo, s1
; %bb.87:
	v_cmp_ne_u32_e32 vcc_lo, 0, v116
	v_cndmask_b32_e32 v116, 5, v116, vcc_lo
; %bb.88:
	s_and_not1_saveexec_b32 s0, s0
	s_cbranch_execz .LBB102_94
; %bb.89:
	v_cmp_ngt_f32_e64 s1, |v112|, |v113|
	s_and_saveexec_b32 s12, s1
	s_delay_alu instid0(SALU_CYCLE_1)
	s_xor_b32 s1, exec_lo, s12
	s_cbranch_execz .LBB102_91
; %bb.90:
	v_div_scale_f32 v111, null, v113, v113, v112
	v_div_scale_f32 v121, vcc_lo, v112, v113, v112
	s_delay_alu instid0(VALU_DEP_2) | instskip(SKIP_1) | instid1(TRANS32_DEP_1)
	v_rcp_f32_e32 v119, v111
	v_nop
	v_fma_f32 v120, -v111, v119, 1.0
	s_delay_alu instid0(VALU_DEP_1) | instskip(NEXT) | instid1(VALU_DEP_1)
	v_fmac_f32_e32 v119, v120, v119
	v_mul_f32_e32 v120, v121, v119
	s_delay_alu instid0(VALU_DEP_1) | instskip(NEXT) | instid1(VALU_DEP_1)
	v_fma_f32 v122, -v111, v120, v121
	v_fmac_f32_e32 v120, v122, v119
	s_delay_alu instid0(VALU_DEP_1) | instskip(NEXT) | instid1(VALU_DEP_1)
	v_fma_f32 v111, -v111, v120, v121
	v_div_fmas_f32 v111, v111, v119, v120
	s_delay_alu instid0(VALU_DEP_1) | instskip(NEXT) | instid1(VALU_DEP_1)
	v_div_fixup_f32 v111, v111, v113, v112
	v_fmac_f32_e32 v113, v112, v111
	s_delay_alu instid0(VALU_DEP_1) | instskip(SKIP_1) | instid1(VALU_DEP_2)
	v_div_scale_f32 v112, null, v113, v113, 1.0
	v_div_scale_f32 v121, vcc_lo, 1.0, v113, 1.0
	v_rcp_f32_e32 v119, v112
	v_nop
	s_delay_alu instid0(TRANS32_DEP_1) | instskip(NEXT) | instid1(VALU_DEP_1)
	v_fma_f32 v120, -v112, v119, 1.0
	v_fmac_f32_e32 v119, v120, v119
	s_delay_alu instid0(VALU_DEP_1) | instskip(NEXT) | instid1(VALU_DEP_1)
	v_mul_f32_e32 v120, v121, v119
	v_fma_f32 v122, -v112, v120, v121
	s_delay_alu instid0(VALU_DEP_1) | instskip(NEXT) | instid1(VALU_DEP_1)
	v_fmac_f32_e32 v120, v122, v119
	v_fma_f32 v112, -v112, v120, v121
	s_delay_alu instid0(VALU_DEP_1) | instskip(NEXT) | instid1(VALU_DEP_1)
	v_div_fmas_f32 v112, v112, v119, v120
	v_div_fixup_f32 v113, v112, v113, 1.0
	s_delay_alu instid0(VALU_DEP_1)
	v_mul_f32_e32 v112, v111, v113
	v_xor_b32_e32 v113, 0x80000000, v113
.LBB102_91:
	s_and_not1_saveexec_b32 s1, s1
	s_cbranch_execz .LBB102_93
; %bb.92:
	s_delay_alu instid0(VALU_DEP_1) | instskip(SKIP_1) | instid1(VALU_DEP_2)
	v_div_scale_f32 v111, null, v112, v112, v113
	v_div_scale_f32 v121, vcc_lo, v113, v112, v113
	v_rcp_f32_e32 v119, v111
	v_nop
	s_delay_alu instid0(TRANS32_DEP_1) | instskip(NEXT) | instid1(VALU_DEP_1)
	v_fma_f32 v120, -v111, v119, 1.0
	v_fmac_f32_e32 v119, v120, v119
	s_delay_alu instid0(VALU_DEP_1) | instskip(NEXT) | instid1(VALU_DEP_1)
	v_mul_f32_e32 v120, v121, v119
	v_fma_f32 v122, -v111, v120, v121
	s_delay_alu instid0(VALU_DEP_1) | instskip(NEXT) | instid1(VALU_DEP_1)
	v_fmac_f32_e32 v120, v122, v119
	v_fma_f32 v111, -v111, v120, v121
	s_delay_alu instid0(VALU_DEP_1) | instskip(NEXT) | instid1(VALU_DEP_1)
	v_div_fmas_f32 v111, v111, v119, v120
	v_div_fixup_f32 v111, v111, v112, v113
	s_delay_alu instid0(VALU_DEP_1) | instskip(NEXT) | instid1(VALU_DEP_1)
	v_fmac_f32_e32 v112, v113, v111
	v_div_scale_f32 v113, null, v112, v112, 1.0
	s_delay_alu instid0(VALU_DEP_1) | instskip(SKIP_1) | instid1(TRANS32_DEP_1)
	v_rcp_f32_e32 v119, v113
	v_nop
	v_fma_f32 v120, -v113, v119, 1.0
	s_delay_alu instid0(VALU_DEP_1) | instskip(SKIP_1) | instid1(VALU_DEP_1)
	v_fmac_f32_e32 v119, v120, v119
	v_div_scale_f32 v120, vcc_lo, 1.0, v112, 1.0
	v_mul_f32_e32 v121, v120, v119
	s_delay_alu instid0(VALU_DEP_1) | instskip(NEXT) | instid1(VALU_DEP_1)
	v_fma_f32 v122, -v113, v121, v120
	v_fmac_f32_e32 v121, v122, v119
	s_delay_alu instid0(VALU_DEP_1) | instskip(NEXT) | instid1(VALU_DEP_1)
	v_fma_f32 v113, -v113, v121, v120
	v_div_fmas_f32 v113, v113, v119, v121
	s_delay_alu instid0(VALU_DEP_1) | instskip(NEXT) | instid1(VALU_DEP_1)
	v_div_fixup_f32 v112, v113, v112, 1.0
	v_mul_f32_e64 v113, v111, -v112
.LBB102_93:
	s_or_b32 exec_lo, exec_lo, s1
.LBB102_94:
	s_delay_alu instid0(SALU_CYCLE_1) | instskip(NEXT) | instid1(SALU_CYCLE_1)
	s_or_b32 exec_lo, exec_lo, s0
	s_mov_b32 s0, exec_lo
	v_cmpx_ne_u32_e64 v118, v110
	s_xor_b32 s0, exec_lo, s0
	s_cbranch_execz .LBB102_100
; %bb.95:
	s_mov_b32 s1, exec_lo
	v_cmpx_eq_u32_e32 4, v118
	s_cbranch_execz .LBB102_99
; %bb.96:
	v_cmp_ne_u32_e32 vcc_lo, 4, v110
	s_xor_b32 s12, s16, -1
	s_delay_alu instid0(SALU_CYCLE_1) | instskip(NEXT) | instid1(SALU_CYCLE_1)
	s_and_b32 s13, s12, vcc_lo
	s_and_saveexec_b32 s12, s13
	s_cbranch_execz .LBB102_98
; %bb.97:
	v_ashrrev_i32_e32 v111, 31, v110
	s_delay_alu instid0(VALU_DEP_1)
	v_lshl_add_u64 v[118:119], v[110:111], 2, v[4:5]
	s_clause 0x1
	global_load_b32 v111, v[118:119], off
	global_load_b32 v117, v[4:5], off offset:16
	s_wait_loadcnt 0x1
	global_store_b32 v[4:5], v111, off offset:16
	s_wait_loadcnt 0x0
	global_store_b32 v[118:119], v117, off
.LBB102_98:
	s_wait_xcnt 0x0
	s_or_b32 exec_lo, exec_lo, s12
	v_dual_mov_b32 v118, v110 :: v_dual_mov_b32 v117, v110
.LBB102_99:
	s_or_b32 exec_lo, exec_lo, s1
.LBB102_100:
	s_and_not1_saveexec_b32 s0, s0
	s_cbranch_execz .LBB102_102
; %bb.101:
	v_mov_b32_e32 v118, 4
	ds_store_2addr_b64 v114, v[82:83], v[84:85] offset0:5 offset1:6
	ds_store_2addr_b64 v114, v[26:27], v[98:99] offset0:7 offset1:8
	;; [unrolled: 1-line block ×23, first 2 shown]
	ds_store_b64 v114, v[108:109] offset:408
.LBB102_102:
	s_or_b32 exec_lo, exec_lo, s0
	s_delay_alu instid0(SALU_CYCLE_1)
	s_mov_b32 s0, exec_lo
	s_wait_storecnt_dscnt 0x0
	s_barrier_signal -1
	s_barrier_wait -1
	v_cmpx_lt_i32_e32 4, v118
	s_cbranch_execz .LBB102_104
; %bb.103:
	v_pk_mul_f32 v[120:121], v[112:113], v[86:87] op_sel:[1,1] op_sel_hi:[0,1]
	s_delay_alu instid0(VALU_DEP_1)
	v_pk_fma_f32 v[110:111], v[112:113], v[86:87], v[120:121] op_sel_hi:[1,0,1] neg_lo:[0,0,1] neg_hi:[0,0,1]
	v_pk_fma_f32 v[112:113], v[112:113], v[86:87], v[120:121] op_sel_hi:[1,0,1]
	ds_load_2addr_b64 v[120:123], v114 offset0:5 offset1:6
	v_dual_mov_b32 v86, v110 :: v_dual_mov_b32 v87, v113
	s_wait_dscnt 0x0
	v_pk_mul_f32 v[124:125], v[120:121], v[112:113] op_sel:[0,1]
	s_delay_alu instid0(VALU_DEP_1) | instskip(SKIP_1) | instid1(VALU_DEP_1)
	v_pk_fma_f32 v[126:127], v[120:121], v[110:111], v[124:125] op_sel:[0,0,1] op_sel_hi:[1,1,0] neg_lo:[0,0,1] neg_hi:[0,0,1]
	v_pk_fma_f32 v[120:121], v[120:121], v[110:111], v[124:125] op_sel:[0,0,1] op_sel_hi:[1,0,0]
	v_mov_b32_e32 v127, v121
	v_pk_mul_f32 v[120:121], v[122:123], v[112:113] op_sel:[0,1]
	s_delay_alu instid0(VALU_DEP_1) | instskip(SKIP_1) | instid1(VALU_DEP_1)
	v_pk_fma_f32 v[124:125], v[122:123], v[110:111], v[120:121] op_sel:[0,0,1] op_sel_hi:[1,1,0] neg_lo:[0,0,1] neg_hi:[0,0,1]
	v_pk_fma_f32 v[120:121], v[122:123], v[110:111], v[120:121] op_sel:[0,0,1] op_sel_hi:[1,0,0]
	v_mov_b32_e32 v125, v121
	ds_load_2addr_b64 v[120:123], v114 offset0:7 offset1:8
	v_pk_add_f32 v[82:83], v[82:83], v[126:127] neg_lo:[0,1] neg_hi:[0,1]
	v_pk_add_f32 v[84:85], v[84:85], v[124:125] neg_lo:[0,1] neg_hi:[0,1]
	s_wait_dscnt 0x0
	v_pk_mul_f32 v[124:125], v[120:121], v[112:113] op_sel:[0,1]
	s_delay_alu instid0(VALU_DEP_1) | instskip(SKIP_2) | instid1(VALU_DEP_2)
	v_pk_fma_f32 v[126:127], v[120:121], v[110:111], v[124:125] op_sel:[0,0,1] op_sel_hi:[1,1,0] neg_lo:[0,0,1] neg_hi:[0,0,1]
	v_pk_fma_f32 v[120:121], v[120:121], v[110:111], v[124:125] op_sel:[0,0,1] op_sel_hi:[1,0,0]
	v_dual_mul_f32 v124, v123, v113 :: v_dual_mov_b32 v120, v123
	v_dual_mov_b32 v127, v121 :: v_dual_mov_b32 v121, v122
	s_delay_alu instid0(VALU_DEP_2) | instskip(SKIP_1) | instid1(VALU_DEP_3)
	v_pk_fma_f32 v[124:125], v[122:123], v[86:87], v[124:125] op_sel_hi:[1,1,0] neg_lo:[0,0,1] neg_hi:[0,0,1]
	v_mul_f32_e32 v122, v123, v110
	v_pk_add_f32 v[26:27], v[26:27], v[126:127] neg_lo:[0,1] neg_hi:[0,1]
	s_delay_alu instid0(VALU_DEP_2) | instskip(NEXT) | instid1(VALU_DEP_1)
	v_pk_fma_f32 v[120:121], v[120:121], v[86:87], v[122:123] op_sel_hi:[1,1,0]
	v_mov_b32_e32 v125, v121
	ds_load_2addr_b64 v[120:123], v114 offset0:9 offset1:10
	v_pk_add_f32 v[98:99], v[98:99], v[124:125] neg_lo:[0,1] neg_hi:[0,1]
	s_wait_dscnt 0x0
	v_pk_mul_f32 v[124:125], v[120:121], v[112:113] op_sel:[0,1]
	s_delay_alu instid0(VALU_DEP_1) | instskip(SKIP_1) | instid1(VALU_DEP_1)
	v_pk_fma_f32 v[126:127], v[120:121], v[110:111], v[124:125] op_sel:[0,0,1] op_sel_hi:[1,1,0] neg_lo:[0,0,1] neg_hi:[0,0,1]
	v_pk_fma_f32 v[120:121], v[120:121], v[110:111], v[124:125] op_sel:[0,0,1] op_sel_hi:[1,0,0]
	v_mov_b32_e32 v127, v121
	v_pk_mul_f32 v[120:121], v[122:123], v[112:113] op_sel:[0,1]
	s_delay_alu instid0(VALU_DEP_1) | instskip(SKIP_1) | instid1(VALU_DEP_1)
	v_pk_fma_f32 v[124:125], v[122:123], v[110:111], v[120:121] op_sel:[0,0,1] op_sel_hi:[1,1,0] neg_lo:[0,0,1] neg_hi:[0,0,1]
	v_pk_fma_f32 v[120:121], v[122:123], v[110:111], v[120:121] op_sel:[0,0,1] op_sel_hi:[1,0,0]
	v_mov_b32_e32 v125, v121
	ds_load_2addr_b64 v[120:123], v114 offset0:11 offset1:12
	v_pk_add_f32 v[94:95], v[94:95], v[126:127] neg_lo:[0,1] neg_hi:[0,1]
	v_pk_add_f32 v[96:97], v[96:97], v[124:125] neg_lo:[0,1] neg_hi:[0,1]
	s_wait_dscnt 0x0
	v_pk_mul_f32 v[124:125], v[120:121], v[112:113] op_sel:[0,1]
	s_delay_alu instid0(VALU_DEP_1) | instskip(SKIP_1) | instid1(VALU_DEP_1)
	v_pk_fma_f32 v[126:127], v[120:121], v[110:111], v[124:125] op_sel:[0,0,1] op_sel_hi:[1,1,0] neg_lo:[0,0,1] neg_hi:[0,0,1]
	v_pk_fma_f32 v[120:121], v[120:121], v[110:111], v[124:125] op_sel:[0,0,1] op_sel_hi:[1,0,0]
	v_mov_b32_e32 v127, v121
	v_pk_mul_f32 v[120:121], v[122:123], v[112:113] op_sel:[0,1]
	s_delay_alu instid0(VALU_DEP_1) | instskip(SKIP_1) | instid1(VALU_DEP_1)
	v_pk_fma_f32 v[124:125], v[122:123], v[110:111], v[120:121] op_sel:[0,0,1] op_sel_hi:[1,1,0] neg_lo:[0,0,1] neg_hi:[0,0,1]
	v_pk_fma_f32 v[120:121], v[122:123], v[110:111], v[120:121] op_sel:[0,0,1] op_sel_hi:[1,0,0]
	v_mov_b32_e32 v125, v121
	ds_load_2addr_b64 v[120:123], v114 offset0:13 offset1:14
	v_pk_add_f32 v[38:39], v[38:39], v[126:127] neg_lo:[0,1] neg_hi:[0,1]
	v_pk_add_f32 v[92:93], v[92:93], v[124:125] neg_lo:[0,1] neg_hi:[0,1]
	s_wait_dscnt 0x0
	v_dual_mul_f32 v124, v121, v113 :: v_dual_mul_f32 v126, v121, v110
	s_delay_alu instid0(VALU_DEP_1) | instskip(NEXT) | instid1(VALU_DEP_2)
	v_pk_fma_f32 v[124:125], v[120:121], v[86:87], v[124:125] op_sel_hi:[1,1,0] neg_lo:[0,0,1] neg_hi:[0,0,1]
	v_pk_fma_f32 v[120:121], v[120:121], v[86:87], v[126:127] op_sel:[1,0,0] op_sel_hi:[0,1,0]
	s_delay_alu instid0(VALU_DEP_1) | instskip(SKIP_1) | instid1(VALU_DEP_2)
	v_mov_b32_e32 v125, v121
	v_pk_mul_f32 v[120:121], v[122:123], v[112:113] op_sel:[0,1]
	v_pk_add_f32 v[88:89], v[88:89], v[124:125] neg_lo:[0,1] neg_hi:[0,1]
	s_delay_alu instid0(VALU_DEP_2) | instskip(SKIP_1) | instid1(VALU_DEP_1)
	v_pk_fma_f32 v[124:125], v[122:123], v[110:111], v[120:121] op_sel:[0,0,1] op_sel_hi:[1,1,0] neg_lo:[0,0,1] neg_hi:[0,0,1]
	v_pk_fma_f32 v[120:121], v[122:123], v[110:111], v[120:121] op_sel:[0,0,1] op_sel_hi:[1,0,0]
	v_mov_b32_e32 v125, v121
	ds_load_2addr_b64 v[120:123], v114 offset0:15 offset1:16
	v_pk_add_f32 v[90:91], v[90:91], v[124:125] neg_lo:[0,1] neg_hi:[0,1]
	s_wait_dscnt 0x0
	v_pk_mul_f32 v[124:125], v[120:121], v[112:113] op_sel:[0,1]
	s_delay_alu instid0(VALU_DEP_1) | instskip(SKIP_1) | instid1(VALU_DEP_1)
	v_pk_fma_f32 v[126:127], v[120:121], v[110:111], v[124:125] op_sel:[0,0,1] op_sel_hi:[1,1,0] neg_lo:[0,0,1] neg_hi:[0,0,1]
	v_pk_fma_f32 v[120:121], v[120:121], v[110:111], v[124:125] op_sel:[0,0,1] op_sel_hi:[1,0,0]
	v_mov_b32_e32 v127, v121
	v_pk_mul_f32 v[120:121], v[122:123], v[112:113] op_sel:[0,1]
	s_delay_alu instid0(VALU_DEP_2) | instskip(NEXT) | instid1(VALU_DEP_2)
	v_pk_add_f32 v[32:33], v[32:33], v[126:127] neg_lo:[0,1] neg_hi:[0,1]
	v_pk_fma_f32 v[124:125], v[122:123], v[110:111], v[120:121] op_sel:[0,0,1] op_sel_hi:[1,1,0] neg_lo:[0,0,1] neg_hi:[0,0,1]
	v_pk_fma_f32 v[120:121], v[122:123], v[110:111], v[120:121] op_sel:[0,0,1] op_sel_hi:[1,0,0]
	s_delay_alu instid0(VALU_DEP_1) | instskip(SKIP_4) | instid1(VALU_DEP_1)
	v_mov_b32_e32 v125, v121
	ds_load_2addr_b64 v[120:123], v114 offset0:17 offset1:18
	v_pk_add_f32 v[80:81], v[80:81], v[124:125] neg_lo:[0,1] neg_hi:[0,1]
	s_wait_dscnt 0x0
	v_pk_mul_f32 v[124:125], v[120:121], v[112:113] op_sel:[0,1]
	v_pk_fma_f32 v[126:127], v[120:121], v[110:111], v[124:125] op_sel:[0,0,1] op_sel_hi:[1,1,0] neg_lo:[0,0,1] neg_hi:[0,0,1]
	v_pk_fma_f32 v[120:121], v[120:121], v[110:111], v[124:125] op_sel:[0,0,1] op_sel_hi:[1,0,0]
	v_dual_mul_f32 v124, v123, v113 :: v_dual_mov_b32 v120, v123
	s_delay_alu instid0(VALU_DEP_2) | instskip(NEXT) | instid1(VALU_DEP_2)
	v_dual_mov_b32 v127, v121 :: v_dual_mov_b32 v121, v122
	v_pk_fma_f32 v[124:125], v[122:123], v[86:87], v[124:125] op_sel_hi:[1,1,0] neg_lo:[0,0,1] neg_hi:[0,0,1]
	v_mul_f32_e32 v122, v123, v110
	s_delay_alu instid0(VALU_DEP_3) | instskip(NEXT) | instid1(VALU_DEP_2)
	v_pk_add_f32 v[76:77], v[76:77], v[126:127] neg_lo:[0,1] neg_hi:[0,1]
	v_pk_fma_f32 v[120:121], v[120:121], v[86:87], v[122:123] op_sel_hi:[1,1,0]
	s_delay_alu instid0(VALU_DEP_1) | instskip(SKIP_4) | instid1(VALU_DEP_1)
	v_mov_b32_e32 v125, v121
	ds_load_2addr_b64 v[120:123], v114 offset0:19 offset1:20
	v_pk_add_f32 v[78:79], v[78:79], v[124:125] neg_lo:[0,1] neg_hi:[0,1]
	s_wait_dscnt 0x0
	v_pk_mul_f32 v[124:125], v[120:121], v[112:113] op_sel:[0,1]
	v_pk_fma_f32 v[126:127], v[120:121], v[110:111], v[124:125] op_sel:[0,0,1] op_sel_hi:[1,1,0] neg_lo:[0,0,1] neg_hi:[0,0,1]
	v_pk_fma_f32 v[120:121], v[120:121], v[110:111], v[124:125] op_sel:[0,0,1] op_sel_hi:[1,0,0]
	s_delay_alu instid0(VALU_DEP_1) | instskip(SKIP_1) | instid1(VALU_DEP_1)
	v_mov_b32_e32 v127, v121
	v_pk_mul_f32 v[120:121], v[122:123], v[112:113] op_sel:[0,1]
	v_pk_fma_f32 v[124:125], v[122:123], v[110:111], v[120:121] op_sel:[0,0,1] op_sel_hi:[1,1,0] neg_lo:[0,0,1] neg_hi:[0,0,1]
	v_pk_fma_f32 v[120:121], v[122:123], v[110:111], v[120:121] op_sel:[0,0,1] op_sel_hi:[1,0,0]
	s_delay_alu instid0(VALU_DEP_1)
	v_mov_b32_e32 v125, v121
	ds_load_2addr_b64 v[120:123], v114 offset0:21 offset1:22
	v_pk_add_f32 v[24:25], v[24:25], v[126:127] neg_lo:[0,1] neg_hi:[0,1]
	v_pk_add_f32 v[74:75], v[74:75], v[124:125] neg_lo:[0,1] neg_hi:[0,1]
	s_wait_dscnt 0x0
	v_pk_mul_f32 v[124:125], v[120:121], v[112:113] op_sel:[0,1]
	s_delay_alu instid0(VALU_DEP_1) | instskip(SKIP_1) | instid1(VALU_DEP_1)
	v_pk_fma_f32 v[126:127], v[120:121], v[110:111], v[124:125] op_sel:[0,0,1] op_sel_hi:[1,1,0] neg_lo:[0,0,1] neg_hi:[0,0,1]
	v_pk_fma_f32 v[120:121], v[120:121], v[110:111], v[124:125] op_sel:[0,0,1] op_sel_hi:[1,0,0]
	v_mov_b32_e32 v127, v121
	v_pk_mul_f32 v[120:121], v[122:123], v[112:113] op_sel:[0,1]
	s_delay_alu instid0(VALU_DEP_1) | instskip(SKIP_1) | instid1(VALU_DEP_1)
	v_pk_fma_f32 v[124:125], v[122:123], v[110:111], v[120:121] op_sel:[0,0,1] op_sel_hi:[1,1,0] neg_lo:[0,0,1] neg_hi:[0,0,1]
	v_pk_fma_f32 v[120:121], v[122:123], v[110:111], v[120:121] op_sel:[0,0,1] op_sel_hi:[1,0,0]
	v_mov_b32_e32 v125, v121
	ds_load_2addr_b64 v[120:123], v114 offset0:23 offset1:24
	v_pk_add_f32 v[70:71], v[70:71], v[126:127] neg_lo:[0,1] neg_hi:[0,1]
	v_pk_add_f32 v[72:73], v[72:73], v[124:125] neg_lo:[0,1] neg_hi:[0,1]
	s_wait_dscnt 0x0
	v_dual_mul_f32 v124, v121, v113 :: v_dual_mul_f32 v126, v121, v110
	s_delay_alu instid0(VALU_DEP_1) | instskip(NEXT) | instid1(VALU_DEP_2)
	v_pk_fma_f32 v[124:125], v[120:121], v[86:87], v[124:125] op_sel_hi:[1,1,0] neg_lo:[0,0,1] neg_hi:[0,0,1]
	v_pk_fma_f32 v[120:121], v[120:121], v[86:87], v[126:127] op_sel:[1,0,0] op_sel_hi:[0,1,0]
	s_delay_alu instid0(VALU_DEP_1) | instskip(SKIP_1) | instid1(VALU_DEP_2)
	v_mov_b32_e32 v125, v121
	v_pk_mul_f32 v[120:121], v[122:123], v[112:113] op_sel:[0,1]
	v_pk_add_f32 v[22:23], v[22:23], v[124:125] neg_lo:[0,1] neg_hi:[0,1]
	s_delay_alu instid0(VALU_DEP_2) | instskip(SKIP_1) | instid1(VALU_DEP_1)
	v_pk_fma_f32 v[124:125], v[122:123], v[110:111], v[120:121] op_sel:[0,0,1] op_sel_hi:[1,1,0] neg_lo:[0,0,1] neg_hi:[0,0,1]
	v_pk_fma_f32 v[120:121], v[122:123], v[110:111], v[120:121] op_sel:[0,0,1] op_sel_hi:[1,0,0]
	v_mov_b32_e32 v125, v121
	ds_load_2addr_b64 v[120:123], v114 offset0:25 offset1:26
	v_pk_add_f32 v[68:69], v[68:69], v[124:125] neg_lo:[0,1] neg_hi:[0,1]
	s_wait_dscnt 0x0
	v_pk_mul_f32 v[124:125], v[120:121], v[112:113] op_sel:[0,1]
	s_delay_alu instid0(VALU_DEP_1) | instskip(SKIP_1) | instid1(VALU_DEP_1)
	v_pk_fma_f32 v[126:127], v[120:121], v[110:111], v[124:125] op_sel:[0,0,1] op_sel_hi:[1,1,0] neg_lo:[0,0,1] neg_hi:[0,0,1]
	v_pk_fma_f32 v[120:121], v[120:121], v[110:111], v[124:125] op_sel:[0,0,1] op_sel_hi:[1,0,0]
	v_mov_b32_e32 v127, v121
	v_pk_mul_f32 v[120:121], v[122:123], v[112:113] op_sel:[0,1]
	s_delay_alu instid0(VALU_DEP_2) | instskip(NEXT) | instid1(VALU_DEP_2)
	v_pk_add_f32 v[64:65], v[64:65], v[126:127] neg_lo:[0,1] neg_hi:[0,1]
	v_pk_fma_f32 v[124:125], v[122:123], v[110:111], v[120:121] op_sel:[0,0,1] op_sel_hi:[1,1,0] neg_lo:[0,0,1] neg_hi:[0,0,1]
	v_pk_fma_f32 v[120:121], v[122:123], v[110:111], v[120:121] op_sel:[0,0,1] op_sel_hi:[1,0,0]
	s_delay_alu instid0(VALU_DEP_1) | instskip(SKIP_4) | instid1(VALU_DEP_1)
	v_mov_b32_e32 v125, v121
	ds_load_2addr_b64 v[120:123], v114 offset0:27 offset1:28
	v_pk_add_f32 v[66:67], v[66:67], v[124:125] neg_lo:[0,1] neg_hi:[0,1]
	s_wait_dscnt 0x0
	v_pk_mul_f32 v[124:125], v[120:121], v[112:113] op_sel:[0,1]
	v_pk_fma_f32 v[126:127], v[120:121], v[110:111], v[124:125] op_sel:[0,0,1] op_sel_hi:[1,1,0] neg_lo:[0,0,1] neg_hi:[0,0,1]
	v_pk_fma_f32 v[120:121], v[120:121], v[110:111], v[124:125] op_sel:[0,0,1] op_sel_hi:[1,0,0]
	v_dual_mul_f32 v124, v123, v113 :: v_dual_mov_b32 v120, v123
	s_delay_alu instid0(VALU_DEP_2) | instskip(NEXT) | instid1(VALU_DEP_2)
	v_dual_mov_b32 v127, v121 :: v_dual_mov_b32 v121, v122
	v_pk_fma_f32 v[124:125], v[122:123], v[86:87], v[124:125] op_sel_hi:[1,1,0] neg_lo:[0,0,1] neg_hi:[0,0,1]
	v_mul_f32_e32 v122, v123, v110
	s_delay_alu instid0(VALU_DEP_3) | instskip(NEXT) | instid1(VALU_DEP_2)
	v_pk_add_f32 v[20:21], v[20:21], v[126:127] neg_lo:[0,1] neg_hi:[0,1]
	v_pk_fma_f32 v[120:121], v[120:121], v[86:87], v[122:123] op_sel_hi:[1,1,0]
	s_delay_alu instid0(VALU_DEP_1) | instskip(SKIP_4) | instid1(VALU_DEP_1)
	v_mov_b32_e32 v125, v121
	ds_load_2addr_b64 v[120:123], v114 offset0:29 offset1:30
	v_pk_add_f32 v[62:63], v[62:63], v[124:125] neg_lo:[0,1] neg_hi:[0,1]
	s_wait_dscnt 0x0
	v_pk_mul_f32 v[124:125], v[120:121], v[112:113] op_sel:[0,1]
	v_pk_fma_f32 v[126:127], v[120:121], v[110:111], v[124:125] op_sel:[0,0,1] op_sel_hi:[1,1,0] neg_lo:[0,0,1] neg_hi:[0,0,1]
	v_pk_fma_f32 v[120:121], v[120:121], v[110:111], v[124:125] op_sel:[0,0,1] op_sel_hi:[1,0,0]
	s_delay_alu instid0(VALU_DEP_1) | instskip(SKIP_1) | instid1(VALU_DEP_1)
	v_mov_b32_e32 v127, v121
	v_pk_mul_f32 v[120:121], v[122:123], v[112:113] op_sel:[0,1]
	v_pk_fma_f32 v[124:125], v[122:123], v[110:111], v[120:121] op_sel:[0,0,1] op_sel_hi:[1,1,0] neg_lo:[0,0,1] neg_hi:[0,0,1]
	v_pk_fma_f32 v[120:121], v[122:123], v[110:111], v[120:121] op_sel:[0,0,1] op_sel_hi:[1,0,0]
	s_delay_alu instid0(VALU_DEP_1)
	v_mov_b32_e32 v125, v121
	ds_load_2addr_b64 v[120:123], v114 offset0:31 offset1:32
	v_pk_add_f32 v[58:59], v[58:59], v[126:127] neg_lo:[0,1] neg_hi:[0,1]
	v_pk_add_f32 v[60:61], v[60:61], v[124:125] neg_lo:[0,1] neg_hi:[0,1]
	s_wait_dscnt 0x0
	v_pk_mul_f32 v[124:125], v[120:121], v[112:113] op_sel:[0,1]
	s_delay_alu instid0(VALU_DEP_1) | instskip(SKIP_1) | instid1(VALU_DEP_1)
	v_pk_fma_f32 v[126:127], v[120:121], v[110:111], v[124:125] op_sel:[0,0,1] op_sel_hi:[1,1,0] neg_lo:[0,0,1] neg_hi:[0,0,1]
	v_pk_fma_f32 v[120:121], v[120:121], v[110:111], v[124:125] op_sel:[0,0,1] op_sel_hi:[1,0,0]
	v_mov_b32_e32 v127, v121
	v_pk_mul_f32 v[120:121], v[122:123], v[112:113] op_sel:[0,1]
	s_delay_alu instid0(VALU_DEP_1) | instskip(SKIP_1) | instid1(VALU_DEP_1)
	v_pk_fma_f32 v[124:125], v[122:123], v[110:111], v[120:121] op_sel:[0,0,1] op_sel_hi:[1,1,0] neg_lo:[0,0,1] neg_hi:[0,0,1]
	v_pk_fma_f32 v[120:121], v[122:123], v[110:111], v[120:121] op_sel:[0,0,1] op_sel_hi:[1,0,0]
	v_mov_b32_e32 v125, v121
	ds_load_2addr_b64 v[120:123], v114 offset0:33 offset1:34
	v_pk_add_f32 v[18:19], v[18:19], v[126:127] neg_lo:[0,1] neg_hi:[0,1]
	v_pk_add_f32 v[56:57], v[56:57], v[124:125] neg_lo:[0,1] neg_hi:[0,1]
	s_wait_dscnt 0x0
	v_dual_mul_f32 v124, v121, v113 :: v_dual_mul_f32 v126, v121, v110
	s_delay_alu instid0(VALU_DEP_1) | instskip(NEXT) | instid1(VALU_DEP_2)
	v_pk_fma_f32 v[124:125], v[120:121], v[86:87], v[124:125] op_sel_hi:[1,1,0] neg_lo:[0,0,1] neg_hi:[0,0,1]
	v_pk_fma_f32 v[120:121], v[120:121], v[86:87], v[126:127] op_sel:[1,0,0] op_sel_hi:[0,1,0]
	s_delay_alu instid0(VALU_DEP_1) | instskip(SKIP_1) | instid1(VALU_DEP_2)
	v_mov_b32_e32 v125, v121
	v_pk_mul_f32 v[120:121], v[122:123], v[112:113] op_sel:[0,1]
	v_pk_add_f32 v[52:53], v[52:53], v[124:125] neg_lo:[0,1] neg_hi:[0,1]
	s_delay_alu instid0(VALU_DEP_2) | instskip(SKIP_1) | instid1(VALU_DEP_1)
	v_pk_fma_f32 v[124:125], v[122:123], v[110:111], v[120:121] op_sel:[0,0,1] op_sel_hi:[1,1,0] neg_lo:[0,0,1] neg_hi:[0,0,1]
	v_pk_fma_f32 v[120:121], v[122:123], v[110:111], v[120:121] op_sel:[0,0,1] op_sel_hi:[1,0,0]
	v_mov_b32_e32 v125, v121
	ds_load_2addr_b64 v[120:123], v114 offset0:35 offset1:36
	v_pk_add_f32 v[54:55], v[54:55], v[124:125] neg_lo:[0,1] neg_hi:[0,1]
	s_wait_dscnt 0x0
	v_pk_mul_f32 v[124:125], v[120:121], v[112:113] op_sel:[0,1]
	s_delay_alu instid0(VALU_DEP_1) | instskip(SKIP_1) | instid1(VALU_DEP_1)
	v_pk_fma_f32 v[126:127], v[120:121], v[110:111], v[124:125] op_sel:[0,0,1] op_sel_hi:[1,1,0] neg_lo:[0,0,1] neg_hi:[0,0,1]
	v_pk_fma_f32 v[120:121], v[120:121], v[110:111], v[124:125] op_sel:[0,0,1] op_sel_hi:[1,0,0]
	v_mov_b32_e32 v127, v121
	v_pk_mul_f32 v[120:121], v[122:123], v[112:113] op_sel:[0,1]
	s_delay_alu instid0(VALU_DEP_2) | instskip(NEXT) | instid1(VALU_DEP_2)
	v_pk_add_f32 v[12:13], v[12:13], v[126:127] neg_lo:[0,1] neg_hi:[0,1]
	v_pk_fma_f32 v[124:125], v[122:123], v[110:111], v[120:121] op_sel:[0,0,1] op_sel_hi:[1,1,0] neg_lo:[0,0,1] neg_hi:[0,0,1]
	v_pk_fma_f32 v[120:121], v[122:123], v[110:111], v[120:121] op_sel:[0,0,1] op_sel_hi:[1,0,0]
	s_delay_alu instid0(VALU_DEP_1) | instskip(SKIP_4) | instid1(VALU_DEP_1)
	v_mov_b32_e32 v125, v121
	ds_load_2addr_b64 v[120:123], v114 offset0:37 offset1:38
	v_pk_add_f32 v[50:51], v[50:51], v[124:125] neg_lo:[0,1] neg_hi:[0,1]
	s_wait_dscnt 0x0
	v_pk_mul_f32 v[124:125], v[120:121], v[112:113] op_sel:[0,1]
	v_pk_fma_f32 v[126:127], v[120:121], v[110:111], v[124:125] op_sel:[0,0,1] op_sel_hi:[1,1,0] neg_lo:[0,0,1] neg_hi:[0,0,1]
	v_pk_fma_f32 v[120:121], v[120:121], v[110:111], v[124:125] op_sel:[0,0,1] op_sel_hi:[1,0,0]
	v_dual_mul_f32 v124, v123, v113 :: v_dual_mov_b32 v120, v123
	s_delay_alu instid0(VALU_DEP_2) | instskip(NEXT) | instid1(VALU_DEP_2)
	v_dual_mov_b32 v127, v121 :: v_dual_mov_b32 v121, v122
	v_pk_fma_f32 v[124:125], v[122:123], v[86:87], v[124:125] op_sel_hi:[1,1,0] neg_lo:[0,0,1] neg_hi:[0,0,1]
	v_mul_f32_e32 v122, v123, v110
	s_delay_alu instid0(VALU_DEP_3) | instskip(NEXT) | instid1(VALU_DEP_2)
	v_pk_add_f32 v[46:47], v[46:47], v[126:127] neg_lo:[0,1] neg_hi:[0,1]
	v_pk_fma_f32 v[120:121], v[120:121], v[86:87], v[122:123] op_sel_hi:[1,1,0]
	s_delay_alu instid0(VALU_DEP_1) | instskip(SKIP_4) | instid1(VALU_DEP_1)
	v_mov_b32_e32 v125, v121
	ds_load_2addr_b64 v[120:123], v114 offset0:39 offset1:40
	v_pk_add_f32 v[48:49], v[48:49], v[124:125] neg_lo:[0,1] neg_hi:[0,1]
	s_wait_dscnt 0x0
	v_pk_mul_f32 v[124:125], v[120:121], v[112:113] op_sel:[0,1]
	v_pk_fma_f32 v[126:127], v[120:121], v[110:111], v[124:125] op_sel:[0,0,1] op_sel_hi:[1,1,0] neg_lo:[0,0,1] neg_hi:[0,0,1]
	v_pk_fma_f32 v[120:121], v[120:121], v[110:111], v[124:125] op_sel:[0,0,1] op_sel_hi:[1,0,0]
	s_delay_alu instid0(VALU_DEP_1) | instskip(SKIP_1) | instid1(VALU_DEP_1)
	v_mov_b32_e32 v127, v121
	v_pk_mul_f32 v[120:121], v[122:123], v[112:113] op_sel:[0,1]
	v_pk_fma_f32 v[124:125], v[122:123], v[110:111], v[120:121] op_sel:[0,0,1] op_sel_hi:[1,1,0] neg_lo:[0,0,1] neg_hi:[0,0,1]
	v_pk_fma_f32 v[120:121], v[122:123], v[110:111], v[120:121] op_sel:[0,0,1] op_sel_hi:[1,0,0]
	s_delay_alu instid0(VALU_DEP_1)
	v_mov_b32_e32 v125, v121
	ds_load_2addr_b64 v[120:123], v114 offset0:41 offset1:42
	v_pk_add_f32 v[10:11], v[10:11], v[126:127] neg_lo:[0,1] neg_hi:[0,1]
	v_pk_add_f32 v[44:45], v[44:45], v[124:125] neg_lo:[0,1] neg_hi:[0,1]
	s_wait_dscnt 0x0
	v_pk_mul_f32 v[124:125], v[120:121], v[112:113] op_sel:[0,1]
	s_delay_alu instid0(VALU_DEP_1) | instskip(SKIP_1) | instid1(VALU_DEP_1)
	v_pk_fma_f32 v[126:127], v[120:121], v[110:111], v[124:125] op_sel:[0,0,1] op_sel_hi:[1,1,0] neg_lo:[0,0,1] neg_hi:[0,0,1]
	v_pk_fma_f32 v[120:121], v[120:121], v[110:111], v[124:125] op_sel:[0,0,1] op_sel_hi:[1,0,0]
	v_mov_b32_e32 v127, v121
	v_pk_mul_f32 v[120:121], v[122:123], v[112:113] op_sel:[0,1]
	s_delay_alu instid0(VALU_DEP_1) | instskip(SKIP_1) | instid1(VALU_DEP_1)
	v_pk_fma_f32 v[124:125], v[122:123], v[110:111], v[120:121] op_sel:[0,0,1] op_sel_hi:[1,1,0] neg_lo:[0,0,1] neg_hi:[0,0,1]
	v_pk_fma_f32 v[120:121], v[122:123], v[110:111], v[120:121] op_sel:[0,0,1] op_sel_hi:[1,0,0]
	v_mov_b32_e32 v125, v121
	ds_load_2addr_b64 v[120:123], v114 offset0:43 offset1:44
	v_pk_add_f32 v[40:41], v[40:41], v[126:127] neg_lo:[0,1] neg_hi:[0,1]
	v_pk_add_f32 v[42:43], v[42:43], v[124:125] neg_lo:[0,1] neg_hi:[0,1]
	s_wait_dscnt 0x0
	v_dual_mul_f32 v124, v121, v113 :: v_dual_mul_f32 v126, v121, v110
	s_delay_alu instid0(VALU_DEP_1) | instskip(NEXT) | instid1(VALU_DEP_2)
	v_pk_fma_f32 v[124:125], v[120:121], v[86:87], v[124:125] op_sel_hi:[1,1,0] neg_lo:[0,0,1] neg_hi:[0,0,1]
	v_pk_fma_f32 v[120:121], v[120:121], v[86:87], v[126:127] op_sel:[1,0,0] op_sel_hi:[0,1,0]
	s_delay_alu instid0(VALU_DEP_1) | instskip(SKIP_1) | instid1(VALU_DEP_2)
	v_mov_b32_e32 v125, v121
	v_pk_mul_f32 v[120:121], v[122:123], v[112:113] op_sel:[0,1]
	v_pk_add_f32 v[6:7], v[6:7], v[124:125] neg_lo:[0,1] neg_hi:[0,1]
	s_delay_alu instid0(VALU_DEP_2) | instskip(SKIP_1) | instid1(VALU_DEP_1)
	v_pk_fma_f32 v[124:125], v[122:123], v[110:111], v[120:121] op_sel:[0,0,1] op_sel_hi:[1,1,0] neg_lo:[0,0,1] neg_hi:[0,0,1]
	v_pk_fma_f32 v[120:121], v[122:123], v[110:111], v[120:121] op_sel:[0,0,1] op_sel_hi:[1,0,0]
	v_mov_b32_e32 v125, v121
	ds_load_2addr_b64 v[120:123], v114 offset0:45 offset1:46
	v_pk_add_f32 v[36:37], v[36:37], v[124:125] neg_lo:[0,1] neg_hi:[0,1]
	s_wait_dscnt 0x0
	v_pk_mul_f32 v[124:125], v[120:121], v[112:113] op_sel:[0,1]
	s_delay_alu instid0(VALU_DEP_1) | instskip(SKIP_1) | instid1(VALU_DEP_1)
	v_pk_fma_f32 v[126:127], v[120:121], v[110:111], v[124:125] op_sel:[0,0,1] op_sel_hi:[1,1,0] neg_lo:[0,0,1] neg_hi:[0,0,1]
	v_pk_fma_f32 v[120:121], v[120:121], v[110:111], v[124:125] op_sel:[0,0,1] op_sel_hi:[1,0,0]
	v_mov_b32_e32 v127, v121
	v_pk_mul_f32 v[120:121], v[122:123], v[112:113] op_sel:[0,1]
	s_delay_alu instid0(VALU_DEP_2) | instskip(NEXT) | instid1(VALU_DEP_2)
	v_pk_add_f32 v[30:31], v[30:31], v[126:127] neg_lo:[0,1] neg_hi:[0,1]
	v_pk_fma_f32 v[124:125], v[122:123], v[110:111], v[120:121] op_sel:[0,0,1] op_sel_hi:[1,1,0] neg_lo:[0,0,1] neg_hi:[0,0,1]
	v_pk_fma_f32 v[120:121], v[122:123], v[110:111], v[120:121] op_sel:[0,0,1] op_sel_hi:[1,0,0]
	s_delay_alu instid0(VALU_DEP_1) | instskip(SKIP_4) | instid1(VALU_DEP_1)
	v_mov_b32_e32 v125, v121
	ds_load_2addr_b64 v[120:123], v114 offset0:47 offset1:48
	v_pk_add_f32 v[34:35], v[34:35], v[124:125] neg_lo:[0,1] neg_hi:[0,1]
	s_wait_dscnt 0x0
	v_pk_mul_f32 v[124:125], v[120:121], v[112:113] op_sel:[0,1]
	v_pk_fma_f32 v[126:127], v[120:121], v[110:111], v[124:125] op_sel:[0,0,1] op_sel_hi:[1,1,0] neg_lo:[0,0,1] neg_hi:[0,0,1]
	v_pk_fma_f32 v[120:121], v[120:121], v[110:111], v[124:125] op_sel:[0,0,1] op_sel_hi:[1,0,0]
	v_dual_mul_f32 v124, v123, v113 :: v_dual_mov_b32 v120, v123
	s_delay_alu instid0(VALU_DEP_2) | instskip(NEXT) | instid1(VALU_DEP_2)
	v_dual_mov_b32 v127, v121 :: v_dual_mov_b32 v121, v122
	v_pk_fma_f32 v[124:125], v[122:123], v[86:87], v[124:125] op_sel_hi:[1,1,0] neg_lo:[0,0,1] neg_hi:[0,0,1]
	v_mul_f32_e32 v122, v123, v110
	s_delay_alu instid0(VALU_DEP_3) | instskip(NEXT) | instid1(VALU_DEP_2)
	v_pk_add_f32 v[8:9], v[8:9], v[126:127] neg_lo:[0,1] neg_hi:[0,1]
	v_pk_fma_f32 v[120:121], v[120:121], v[86:87], v[122:123] op_sel_hi:[1,1,0]
	s_delay_alu instid0(VALU_DEP_1) | instskip(SKIP_4) | instid1(VALU_DEP_1)
	v_mov_b32_e32 v125, v121
	ds_load_2addr_b64 v[120:123], v114 offset0:49 offset1:50
	v_pk_add_f32 v[28:29], v[28:29], v[124:125] neg_lo:[0,1] neg_hi:[0,1]
	s_wait_dscnt 0x0
	v_pk_mul_f32 v[124:125], v[120:121], v[112:113] op_sel:[0,1]
	v_pk_fma_f32 v[126:127], v[120:121], v[110:111], v[124:125] op_sel:[0,0,1] op_sel_hi:[1,1,0] neg_lo:[0,0,1] neg_hi:[0,0,1]
	v_pk_fma_f32 v[120:121], v[120:121], v[110:111], v[124:125] op_sel:[0,0,1] op_sel_hi:[1,0,0]
	s_delay_alu instid0(VALU_DEP_1) | instskip(SKIP_1) | instid1(VALU_DEP_1)
	v_mov_b32_e32 v127, v121
	v_pk_mul_f32 v[120:121], v[122:123], v[112:113] op_sel:[0,1]
	v_pk_fma_f32 v[124:125], v[122:123], v[110:111], v[120:121] op_sel:[0,0,1] op_sel_hi:[1,1,0] neg_lo:[0,0,1] neg_hi:[0,0,1]
	v_pk_fma_f32 v[120:121], v[122:123], v[110:111], v[120:121] op_sel:[0,0,1] op_sel_hi:[1,0,0]
	s_delay_alu instid0(VALU_DEP_1)
	v_mov_b32_e32 v125, v121
	ds_load_b64 v[120:121], v114 offset:408
	v_pk_add_f32 v[16:17], v[16:17], v[126:127] neg_lo:[0,1] neg_hi:[0,1]
	v_pk_add_f32 v[14:15], v[14:15], v[124:125] neg_lo:[0,1] neg_hi:[0,1]
	s_wait_dscnt 0x0
	v_pk_mul_f32 v[112:113], v[120:121], v[112:113] op_sel:[0,1]
	s_delay_alu instid0(VALU_DEP_1) | instskip(SKIP_1) | instid1(VALU_DEP_1)
	v_pk_fma_f32 v[122:123], v[120:121], v[110:111], v[112:113] op_sel:[0,0,1] op_sel_hi:[1,1,0] neg_lo:[0,0,1] neg_hi:[0,0,1]
	v_pk_fma_f32 v[110:111], v[120:121], v[110:111], v[112:113] op_sel:[0,0,1] op_sel_hi:[1,0,0]
	v_mov_b32_e32 v123, v111
	s_delay_alu instid0(VALU_DEP_1)
	v_pk_add_f32 v[108:109], v[108:109], v[122:123] neg_lo:[0,1] neg_hi:[0,1]
.LBB102_104:
	s_or_b32 exec_lo, exec_lo, s0
	v_lshl_add_u32 v110, v118, 3, v114
	s_barrier_signal -1
	s_barrier_wait -1
	ds_store_b64 v110, v[82:83]
	s_wait_dscnt 0x0
	s_barrier_signal -1
	s_barrier_wait -1
	ds_load_b64 v[112:113], v114 offset:40
	v_mov_b32_e32 v110, 5
	s_cmp_lt_i32 s18, 7
	s_cbranch_scc1 .LBB102_107
; %bb.105:
	v_add3_u32 v111, v115, 0, 48
	v_mov_b32_e32 v110, 5
	s_mov_b32 s0, 6
.LBB102_106:                            ; =>This Inner Loop Header: Depth=1
	ds_load_b64 v[120:121], v111
	s_wait_dscnt 0x1
	v_cmp_gt_f32_e32 vcc_lo, 0, v112
	v_cndmask_b32_e64 v122, v112, -v112, vcc_lo
	v_cmp_gt_f32_e32 vcc_lo, 0, v113
	v_cndmask_b32_e64 v124, v113, -v113, vcc_lo
	s_wait_dscnt 0x0
	v_cmp_gt_f32_e32 vcc_lo, 0, v120
	v_cndmask_b32_e64 v123, v120, -v120, vcc_lo
	v_cmp_gt_f32_e32 vcc_lo, 0, v121
	v_cndmask_b32_e64 v125, v121, -v121, vcc_lo
	s_delay_alu instid0(VALU_DEP_1) | instskip(NEXT) | instid1(VALU_DEP_1)
	v_pk_add_f32 v[122:123], v[122:123], v[124:125]
	v_cmp_lt_f32_e32 vcc_lo, v122, v123
	v_dual_add_nc_u32 v111, 8, v111 :: v_dual_cndmask_b32 v113, v113, v121, vcc_lo
	v_cndmask_b32_e32 v112, v112, v120, vcc_lo
	v_cndmask_b32_e64 v110, v110, s0, vcc_lo
	s_add_co_i32 s0, s0, 1
	s_delay_alu instid0(SALU_CYCLE_1)
	s_cmp_lg_u32 s18, s0
	s_cbranch_scc1 .LBB102_106
.LBB102_107:
	s_wait_dscnt 0x0
	v_cmp_eq_f32_e32 vcc_lo, 0, v112
	v_cmp_eq_f32_e64 s0, 0, v113
	s_and_b32 s0, vcc_lo, s0
	s_delay_alu instid0(SALU_CYCLE_1) | instskip(NEXT) | instid1(SALU_CYCLE_1)
	s_and_saveexec_b32 s1, s0
	s_xor_b32 s0, exec_lo, s1
; %bb.108:
	v_cmp_ne_u32_e32 vcc_lo, 0, v116
	v_cndmask_b32_e32 v116, 6, v116, vcc_lo
; %bb.109:
	s_and_not1_saveexec_b32 s0, s0
	s_cbranch_execz .LBB102_115
; %bb.110:
	v_cmp_ngt_f32_e64 s1, |v112|, |v113|
	s_and_saveexec_b32 s12, s1
	s_delay_alu instid0(SALU_CYCLE_1)
	s_xor_b32 s1, exec_lo, s12
	s_cbranch_execz .LBB102_112
; %bb.111:
	v_div_scale_f32 v111, null, v113, v113, v112
	v_div_scale_f32 v121, vcc_lo, v112, v113, v112
	s_delay_alu instid0(VALU_DEP_2) | instskip(SKIP_1) | instid1(TRANS32_DEP_1)
	v_rcp_f32_e32 v119, v111
	v_nop
	v_fma_f32 v120, -v111, v119, 1.0
	s_delay_alu instid0(VALU_DEP_1) | instskip(NEXT) | instid1(VALU_DEP_1)
	v_fmac_f32_e32 v119, v120, v119
	v_mul_f32_e32 v120, v121, v119
	s_delay_alu instid0(VALU_DEP_1) | instskip(NEXT) | instid1(VALU_DEP_1)
	v_fma_f32 v122, -v111, v120, v121
	v_fmac_f32_e32 v120, v122, v119
	s_delay_alu instid0(VALU_DEP_1) | instskip(NEXT) | instid1(VALU_DEP_1)
	v_fma_f32 v111, -v111, v120, v121
	v_div_fmas_f32 v111, v111, v119, v120
	s_delay_alu instid0(VALU_DEP_1) | instskip(NEXT) | instid1(VALU_DEP_1)
	v_div_fixup_f32 v111, v111, v113, v112
	v_fmac_f32_e32 v113, v112, v111
	s_delay_alu instid0(VALU_DEP_1) | instskip(SKIP_1) | instid1(VALU_DEP_2)
	v_div_scale_f32 v112, null, v113, v113, 1.0
	v_div_scale_f32 v121, vcc_lo, 1.0, v113, 1.0
	v_rcp_f32_e32 v119, v112
	v_nop
	s_delay_alu instid0(TRANS32_DEP_1) | instskip(NEXT) | instid1(VALU_DEP_1)
	v_fma_f32 v120, -v112, v119, 1.0
	v_fmac_f32_e32 v119, v120, v119
	s_delay_alu instid0(VALU_DEP_1) | instskip(NEXT) | instid1(VALU_DEP_1)
	v_mul_f32_e32 v120, v121, v119
	v_fma_f32 v122, -v112, v120, v121
	s_delay_alu instid0(VALU_DEP_1) | instskip(NEXT) | instid1(VALU_DEP_1)
	v_fmac_f32_e32 v120, v122, v119
	v_fma_f32 v112, -v112, v120, v121
	s_delay_alu instid0(VALU_DEP_1) | instskip(NEXT) | instid1(VALU_DEP_1)
	v_div_fmas_f32 v112, v112, v119, v120
	v_div_fixup_f32 v113, v112, v113, 1.0
	s_delay_alu instid0(VALU_DEP_1)
	v_mul_f32_e32 v112, v111, v113
	v_xor_b32_e32 v113, 0x80000000, v113
.LBB102_112:
	s_and_not1_saveexec_b32 s1, s1
	s_cbranch_execz .LBB102_114
; %bb.113:
	s_delay_alu instid0(VALU_DEP_1) | instskip(SKIP_1) | instid1(VALU_DEP_2)
	v_div_scale_f32 v111, null, v112, v112, v113
	v_div_scale_f32 v121, vcc_lo, v113, v112, v113
	v_rcp_f32_e32 v119, v111
	v_nop
	s_delay_alu instid0(TRANS32_DEP_1) | instskip(NEXT) | instid1(VALU_DEP_1)
	v_fma_f32 v120, -v111, v119, 1.0
	v_fmac_f32_e32 v119, v120, v119
	s_delay_alu instid0(VALU_DEP_1) | instskip(NEXT) | instid1(VALU_DEP_1)
	v_mul_f32_e32 v120, v121, v119
	v_fma_f32 v122, -v111, v120, v121
	s_delay_alu instid0(VALU_DEP_1) | instskip(NEXT) | instid1(VALU_DEP_1)
	v_fmac_f32_e32 v120, v122, v119
	v_fma_f32 v111, -v111, v120, v121
	s_delay_alu instid0(VALU_DEP_1) | instskip(NEXT) | instid1(VALU_DEP_1)
	v_div_fmas_f32 v111, v111, v119, v120
	v_div_fixup_f32 v111, v111, v112, v113
	s_delay_alu instid0(VALU_DEP_1) | instskip(NEXT) | instid1(VALU_DEP_1)
	v_fmac_f32_e32 v112, v113, v111
	v_div_scale_f32 v113, null, v112, v112, 1.0
	s_delay_alu instid0(VALU_DEP_1) | instskip(SKIP_1) | instid1(TRANS32_DEP_1)
	v_rcp_f32_e32 v119, v113
	v_nop
	v_fma_f32 v120, -v113, v119, 1.0
	s_delay_alu instid0(VALU_DEP_1) | instskip(SKIP_1) | instid1(VALU_DEP_1)
	v_fmac_f32_e32 v119, v120, v119
	v_div_scale_f32 v120, vcc_lo, 1.0, v112, 1.0
	v_mul_f32_e32 v121, v120, v119
	s_delay_alu instid0(VALU_DEP_1) | instskip(NEXT) | instid1(VALU_DEP_1)
	v_fma_f32 v122, -v113, v121, v120
	v_fmac_f32_e32 v121, v122, v119
	s_delay_alu instid0(VALU_DEP_1) | instskip(NEXT) | instid1(VALU_DEP_1)
	v_fma_f32 v113, -v113, v121, v120
	v_div_fmas_f32 v113, v113, v119, v121
	s_delay_alu instid0(VALU_DEP_1) | instskip(NEXT) | instid1(VALU_DEP_1)
	v_div_fixup_f32 v112, v113, v112, 1.0
	v_mul_f32_e64 v113, v111, -v112
.LBB102_114:
	s_or_b32 exec_lo, exec_lo, s1
.LBB102_115:
	s_delay_alu instid0(SALU_CYCLE_1) | instskip(NEXT) | instid1(SALU_CYCLE_1)
	s_or_b32 exec_lo, exec_lo, s0
	s_mov_b32 s0, exec_lo
	v_cmpx_ne_u32_e64 v118, v110
	s_xor_b32 s0, exec_lo, s0
	s_cbranch_execz .LBB102_121
; %bb.116:
	s_mov_b32 s1, exec_lo
	v_cmpx_eq_u32_e32 5, v118
	s_cbranch_execz .LBB102_120
; %bb.117:
	v_cmp_ne_u32_e32 vcc_lo, 5, v110
	s_xor_b32 s12, s16, -1
	s_delay_alu instid0(SALU_CYCLE_1) | instskip(NEXT) | instid1(SALU_CYCLE_1)
	s_and_b32 s13, s12, vcc_lo
	s_and_saveexec_b32 s12, s13
	s_cbranch_execz .LBB102_119
; %bb.118:
	v_ashrrev_i32_e32 v111, 31, v110
	s_delay_alu instid0(VALU_DEP_1)
	v_lshl_add_u64 v[118:119], v[110:111], 2, v[4:5]
	s_clause 0x1
	global_load_b32 v111, v[118:119], off
	global_load_b32 v117, v[4:5], off offset:20
	s_wait_loadcnt 0x1
	global_store_b32 v[4:5], v111, off offset:20
	s_wait_loadcnt 0x0
	global_store_b32 v[118:119], v117, off
.LBB102_119:
	s_wait_xcnt 0x0
	s_or_b32 exec_lo, exec_lo, s12
	v_dual_mov_b32 v118, v110 :: v_dual_mov_b32 v117, v110
.LBB102_120:
	s_or_b32 exec_lo, exec_lo, s1
.LBB102_121:
	s_and_not1_saveexec_b32 s0, s0
	s_cbranch_execz .LBB102_123
; %bb.122:
	v_dual_mov_b32 v110, v84 :: v_dual_mov_b32 v111, v85
	v_dual_mov_b32 v118, v26 :: v_dual_mov_b32 v119, v27
	v_dual_mov_b32 v120, v98 :: v_dual_mov_b32 v121, v99
	v_dual_mov_b32 v122, v94 :: v_dual_mov_b32 v123, v95
	v_dual_mov_b32 v124, v96 :: v_dual_mov_b32 v125, v97
	v_dual_mov_b32 v126, v38 :: v_dual_mov_b32 v127, v39
	v_dual_mov_b32 v128, v92 :: v_dual_mov_b32 v129, v93
	v_dual_mov_b32 v130, v88 :: v_dual_mov_b32 v131, v89
	v_dual_mov_b32 v132, v90 :: v_dual_mov_b32 v133, v91
	v_dual_mov_b32 v134, v32 :: v_dual_mov_b32 v135, v33
	v_dual_mov_b32 v136, v80 :: v_dual_mov_b32 v137, v81
	v_dual_mov_b32 v138, v76 :: v_dual_mov_b32 v139, v77
	ds_store_2addr_b64 v114, v[110:111], v[118:119] offset0:6 offset1:7
	ds_store_2addr_b64 v114, v[120:121], v[122:123] offset0:8 offset1:9
	ds_store_2addr_b64 v114, v[124:125], v[126:127] offset0:10 offset1:11
	ds_store_2addr_b64 v114, v[128:129], v[130:131] offset0:12 offset1:13
	ds_store_2addr_b64 v114, v[132:133], v[134:135] offset0:14 offset1:15
	ds_store_2addr_b64 v114, v[136:137], v[138:139] offset0:16 offset1:17
	v_dual_mov_b32 v110, v78 :: v_dual_mov_b32 v111, v79
	v_dual_mov_b32 v118, v24 :: v_dual_mov_b32 v119, v25
	v_dual_mov_b32 v120, v74 :: v_dual_mov_b32 v121, v75
	v_dual_mov_b32 v122, v70 :: v_dual_mov_b32 v123, v71
	v_dual_mov_b32 v124, v72 :: v_dual_mov_b32 v125, v73
	v_dual_mov_b32 v126, v22 :: v_dual_mov_b32 v127, v23
	v_dual_mov_b32 v128, v68 :: v_dual_mov_b32 v129, v69
	v_dual_mov_b32 v130, v64 :: v_dual_mov_b32 v131, v65
	v_dual_mov_b32 v132, v66 :: v_dual_mov_b32 v133, v67
	v_dual_mov_b32 v134, v20 :: v_dual_mov_b32 v135, v21
	v_dual_mov_b32 v136, v62 :: v_dual_mov_b32 v137, v63
	v_dual_mov_b32 v138, v58 :: v_dual_mov_b32 v139, v59
	ds_store_2addr_b64 v114, v[110:111], v[118:119] offset0:18 offset1:19
	ds_store_2addr_b64 v114, v[120:121], v[122:123] offset0:20 offset1:21
	ds_store_2addr_b64 v114, v[124:125], v[126:127] offset0:22 offset1:23
	ds_store_2addr_b64 v114, v[128:129], v[130:131] offset0:24 offset1:25
	ds_store_2addr_b64 v114, v[132:133], v[134:135] offset0:26 offset1:27
	ds_store_2addr_b64 v114, v[136:137], v[138:139] offset0:28 offset1:29
	;; [unrolled: 18-line block ×3, first 2 shown]
	v_dual_mov_b32 v110, v42 :: v_dual_mov_b32 v111, v43
	v_dual_mov_b32 v120, v6 :: v_dual_mov_b32 v121, v7
	;; [unrolled: 1-line block ×9, first 2 shown]
	v_mov_b32_e32 v135, v15
	ds_store_2addr_b64 v114, v[110:111], v[120:121] offset0:42 offset1:43
	ds_store_2addr_b64 v114, v[122:123], v[124:125] offset0:44 offset1:45
	;; [unrolled: 1-line block ×5, first 2 shown]
.LBB102_123:
	s_or_b32 exec_lo, exec_lo, s0
	s_delay_alu instid0(SALU_CYCLE_1)
	s_mov_b32 s0, exec_lo
	s_wait_storecnt_dscnt 0x0
	s_barrier_signal -1
	s_barrier_wait -1
	v_cmpx_lt_i32_e32 5, v118
	s_cbranch_execz .LBB102_125
; %bb.124:
	v_pk_mul_f32 v[120:121], v[112:113], v[82:83] op_sel:[1,1] op_sel_hi:[0,1]
	s_delay_alu instid0(VALU_DEP_1)
	v_pk_fma_f32 v[110:111], v[112:113], v[82:83], v[120:121] op_sel_hi:[1,0,1] neg_lo:[0,0,1] neg_hi:[0,0,1]
	v_pk_fma_f32 v[112:113], v[112:113], v[82:83], v[120:121] op_sel_hi:[1,0,1]
	ds_load_2addr_b64 v[120:123], v114 offset0:6 offset1:7
	v_dual_mov_b32 v82, v110 :: v_dual_mov_b32 v83, v113
	s_wait_dscnt 0x0
	v_pk_mul_f32 v[124:125], v[120:121], v[112:113] op_sel:[0,1]
	s_delay_alu instid0(VALU_DEP_1) | instskip(SKIP_1) | instid1(VALU_DEP_1)
	v_pk_fma_f32 v[126:127], v[120:121], v[110:111], v[124:125] op_sel:[0,0,1] op_sel_hi:[1,1,0] neg_lo:[0,0,1] neg_hi:[0,0,1]
	v_pk_fma_f32 v[120:121], v[120:121], v[110:111], v[124:125] op_sel:[0,0,1] op_sel_hi:[1,0,0]
	v_mov_b32_e32 v127, v121
	v_pk_mul_f32 v[120:121], v[122:123], v[112:113] op_sel:[0,1]
	s_delay_alu instid0(VALU_DEP_1) | instskip(SKIP_1) | instid1(VALU_DEP_1)
	v_pk_fma_f32 v[124:125], v[122:123], v[110:111], v[120:121] op_sel:[0,0,1] op_sel_hi:[1,1,0] neg_lo:[0,0,1] neg_hi:[0,0,1]
	v_pk_fma_f32 v[120:121], v[122:123], v[110:111], v[120:121] op_sel:[0,0,1] op_sel_hi:[1,0,0]
	v_mov_b32_e32 v125, v121
	ds_load_2addr_b64 v[120:123], v114 offset0:8 offset1:9
	v_pk_add_f32 v[84:85], v[84:85], v[126:127] neg_lo:[0,1] neg_hi:[0,1]
	v_pk_add_f32 v[26:27], v[26:27], v[124:125] neg_lo:[0,1] neg_hi:[0,1]
	s_wait_dscnt 0x0
	v_pk_mul_f32 v[124:125], v[120:121], v[112:113] op_sel:[0,1]
	s_delay_alu instid0(VALU_DEP_1) | instskip(SKIP_2) | instid1(VALU_DEP_2)
	v_pk_fma_f32 v[126:127], v[120:121], v[110:111], v[124:125] op_sel:[0,0,1] op_sel_hi:[1,1,0] neg_lo:[0,0,1] neg_hi:[0,0,1]
	v_pk_fma_f32 v[120:121], v[120:121], v[110:111], v[124:125] op_sel:[0,0,1] op_sel_hi:[1,0,0]
	v_dual_mul_f32 v124, v123, v113 :: v_dual_mov_b32 v120, v123
	v_dual_mov_b32 v127, v121 :: v_dual_mov_b32 v121, v122
	s_delay_alu instid0(VALU_DEP_2) | instskip(SKIP_1) | instid1(VALU_DEP_3)
	v_pk_fma_f32 v[124:125], v[122:123], v[82:83], v[124:125] op_sel_hi:[1,1,0] neg_lo:[0,0,1] neg_hi:[0,0,1]
	v_mul_f32_e32 v122, v123, v110
	v_pk_add_f32 v[98:99], v[98:99], v[126:127] neg_lo:[0,1] neg_hi:[0,1]
	s_delay_alu instid0(VALU_DEP_2) | instskip(NEXT) | instid1(VALU_DEP_1)
	v_pk_fma_f32 v[120:121], v[120:121], v[82:83], v[122:123] op_sel_hi:[1,1,0]
	v_mov_b32_e32 v125, v121
	ds_load_2addr_b64 v[120:123], v114 offset0:10 offset1:11
	v_pk_add_f32 v[94:95], v[94:95], v[124:125] neg_lo:[0,1] neg_hi:[0,1]
	s_wait_dscnt 0x0
	v_pk_mul_f32 v[124:125], v[120:121], v[112:113] op_sel:[0,1]
	s_delay_alu instid0(VALU_DEP_1) | instskip(SKIP_1) | instid1(VALU_DEP_1)
	v_pk_fma_f32 v[126:127], v[120:121], v[110:111], v[124:125] op_sel:[0,0,1] op_sel_hi:[1,1,0] neg_lo:[0,0,1] neg_hi:[0,0,1]
	v_pk_fma_f32 v[120:121], v[120:121], v[110:111], v[124:125] op_sel:[0,0,1] op_sel_hi:[1,0,0]
	v_mov_b32_e32 v127, v121
	v_pk_mul_f32 v[120:121], v[122:123], v[112:113] op_sel:[0,1]
	s_delay_alu instid0(VALU_DEP_1) | instskip(SKIP_1) | instid1(VALU_DEP_1)
	v_pk_fma_f32 v[124:125], v[122:123], v[110:111], v[120:121] op_sel:[0,0,1] op_sel_hi:[1,1,0] neg_lo:[0,0,1] neg_hi:[0,0,1]
	v_pk_fma_f32 v[120:121], v[122:123], v[110:111], v[120:121] op_sel:[0,0,1] op_sel_hi:[1,0,0]
	v_mov_b32_e32 v125, v121
	ds_load_2addr_b64 v[120:123], v114 offset0:12 offset1:13
	v_pk_add_f32 v[96:97], v[96:97], v[126:127] neg_lo:[0,1] neg_hi:[0,1]
	v_pk_add_f32 v[38:39], v[38:39], v[124:125] neg_lo:[0,1] neg_hi:[0,1]
	s_wait_dscnt 0x0
	v_pk_mul_f32 v[124:125], v[120:121], v[112:113] op_sel:[0,1]
	s_delay_alu instid0(VALU_DEP_1) | instskip(SKIP_1) | instid1(VALU_DEP_1)
	v_pk_fma_f32 v[126:127], v[120:121], v[110:111], v[124:125] op_sel:[0,0,1] op_sel_hi:[1,1,0] neg_lo:[0,0,1] neg_hi:[0,0,1]
	v_pk_fma_f32 v[120:121], v[120:121], v[110:111], v[124:125] op_sel:[0,0,1] op_sel_hi:[1,0,0]
	v_mov_b32_e32 v127, v121
	v_pk_mul_f32 v[120:121], v[122:123], v[112:113] op_sel:[0,1]
	s_delay_alu instid0(VALU_DEP_1) | instskip(SKIP_1) | instid1(VALU_DEP_1)
	v_pk_fma_f32 v[124:125], v[122:123], v[110:111], v[120:121] op_sel:[0,0,1] op_sel_hi:[1,1,0] neg_lo:[0,0,1] neg_hi:[0,0,1]
	v_pk_fma_f32 v[120:121], v[122:123], v[110:111], v[120:121] op_sel:[0,0,1] op_sel_hi:[1,0,0]
	v_mov_b32_e32 v125, v121
	ds_load_2addr_b64 v[120:123], v114 offset0:14 offset1:15
	v_pk_add_f32 v[92:93], v[92:93], v[126:127] neg_lo:[0,1] neg_hi:[0,1]
	v_pk_add_f32 v[88:89], v[88:89], v[124:125] neg_lo:[0,1] neg_hi:[0,1]
	s_wait_dscnt 0x0
	v_dual_mul_f32 v124, v121, v113 :: v_dual_mul_f32 v126, v121, v110
	s_delay_alu instid0(VALU_DEP_1) | instskip(NEXT) | instid1(VALU_DEP_2)
	v_pk_fma_f32 v[124:125], v[120:121], v[82:83], v[124:125] op_sel_hi:[1,1,0] neg_lo:[0,0,1] neg_hi:[0,0,1]
	v_pk_fma_f32 v[120:121], v[120:121], v[82:83], v[126:127] op_sel:[1,0,0] op_sel_hi:[0,1,0]
	s_delay_alu instid0(VALU_DEP_1) | instskip(SKIP_1) | instid1(VALU_DEP_2)
	v_mov_b32_e32 v125, v121
	v_pk_mul_f32 v[120:121], v[122:123], v[112:113] op_sel:[0,1]
	v_pk_add_f32 v[90:91], v[90:91], v[124:125] neg_lo:[0,1] neg_hi:[0,1]
	s_delay_alu instid0(VALU_DEP_2) | instskip(SKIP_1) | instid1(VALU_DEP_1)
	v_pk_fma_f32 v[124:125], v[122:123], v[110:111], v[120:121] op_sel:[0,0,1] op_sel_hi:[1,1,0] neg_lo:[0,0,1] neg_hi:[0,0,1]
	v_pk_fma_f32 v[120:121], v[122:123], v[110:111], v[120:121] op_sel:[0,0,1] op_sel_hi:[1,0,0]
	v_mov_b32_e32 v125, v121
	ds_load_2addr_b64 v[120:123], v114 offset0:16 offset1:17
	v_pk_add_f32 v[32:33], v[32:33], v[124:125] neg_lo:[0,1] neg_hi:[0,1]
	s_wait_dscnt 0x0
	v_pk_mul_f32 v[124:125], v[120:121], v[112:113] op_sel:[0,1]
	s_delay_alu instid0(VALU_DEP_1) | instskip(SKIP_1) | instid1(VALU_DEP_1)
	v_pk_fma_f32 v[126:127], v[120:121], v[110:111], v[124:125] op_sel:[0,0,1] op_sel_hi:[1,1,0] neg_lo:[0,0,1] neg_hi:[0,0,1]
	v_pk_fma_f32 v[120:121], v[120:121], v[110:111], v[124:125] op_sel:[0,0,1] op_sel_hi:[1,0,0]
	v_mov_b32_e32 v127, v121
	v_pk_mul_f32 v[120:121], v[122:123], v[112:113] op_sel:[0,1]
	s_delay_alu instid0(VALU_DEP_2) | instskip(NEXT) | instid1(VALU_DEP_2)
	v_pk_add_f32 v[80:81], v[80:81], v[126:127] neg_lo:[0,1] neg_hi:[0,1]
	v_pk_fma_f32 v[124:125], v[122:123], v[110:111], v[120:121] op_sel:[0,0,1] op_sel_hi:[1,1,0] neg_lo:[0,0,1] neg_hi:[0,0,1]
	v_pk_fma_f32 v[120:121], v[122:123], v[110:111], v[120:121] op_sel:[0,0,1] op_sel_hi:[1,0,0]
	s_delay_alu instid0(VALU_DEP_1) | instskip(SKIP_4) | instid1(VALU_DEP_1)
	v_mov_b32_e32 v125, v121
	ds_load_2addr_b64 v[120:123], v114 offset0:18 offset1:19
	v_pk_add_f32 v[76:77], v[76:77], v[124:125] neg_lo:[0,1] neg_hi:[0,1]
	s_wait_dscnt 0x0
	v_pk_mul_f32 v[124:125], v[120:121], v[112:113] op_sel:[0,1]
	v_pk_fma_f32 v[126:127], v[120:121], v[110:111], v[124:125] op_sel:[0,0,1] op_sel_hi:[1,1,0] neg_lo:[0,0,1] neg_hi:[0,0,1]
	v_pk_fma_f32 v[120:121], v[120:121], v[110:111], v[124:125] op_sel:[0,0,1] op_sel_hi:[1,0,0]
	v_dual_mul_f32 v124, v123, v113 :: v_dual_mov_b32 v120, v123
	s_delay_alu instid0(VALU_DEP_2) | instskip(NEXT) | instid1(VALU_DEP_2)
	v_dual_mov_b32 v127, v121 :: v_dual_mov_b32 v121, v122
	v_pk_fma_f32 v[124:125], v[122:123], v[82:83], v[124:125] op_sel_hi:[1,1,0] neg_lo:[0,0,1] neg_hi:[0,0,1]
	v_mul_f32_e32 v122, v123, v110
	s_delay_alu instid0(VALU_DEP_3) | instskip(NEXT) | instid1(VALU_DEP_2)
	v_pk_add_f32 v[78:79], v[78:79], v[126:127] neg_lo:[0,1] neg_hi:[0,1]
	v_pk_fma_f32 v[120:121], v[120:121], v[82:83], v[122:123] op_sel_hi:[1,1,0]
	s_delay_alu instid0(VALU_DEP_1) | instskip(SKIP_4) | instid1(VALU_DEP_1)
	v_mov_b32_e32 v125, v121
	ds_load_2addr_b64 v[120:123], v114 offset0:20 offset1:21
	v_pk_add_f32 v[24:25], v[24:25], v[124:125] neg_lo:[0,1] neg_hi:[0,1]
	s_wait_dscnt 0x0
	v_pk_mul_f32 v[124:125], v[120:121], v[112:113] op_sel:[0,1]
	v_pk_fma_f32 v[126:127], v[120:121], v[110:111], v[124:125] op_sel:[0,0,1] op_sel_hi:[1,1,0] neg_lo:[0,0,1] neg_hi:[0,0,1]
	v_pk_fma_f32 v[120:121], v[120:121], v[110:111], v[124:125] op_sel:[0,0,1] op_sel_hi:[1,0,0]
	s_delay_alu instid0(VALU_DEP_1) | instskip(SKIP_1) | instid1(VALU_DEP_1)
	v_mov_b32_e32 v127, v121
	v_pk_mul_f32 v[120:121], v[122:123], v[112:113] op_sel:[0,1]
	v_pk_fma_f32 v[124:125], v[122:123], v[110:111], v[120:121] op_sel:[0,0,1] op_sel_hi:[1,1,0] neg_lo:[0,0,1] neg_hi:[0,0,1]
	v_pk_fma_f32 v[120:121], v[122:123], v[110:111], v[120:121] op_sel:[0,0,1] op_sel_hi:[1,0,0]
	s_delay_alu instid0(VALU_DEP_1)
	v_mov_b32_e32 v125, v121
	ds_load_2addr_b64 v[120:123], v114 offset0:22 offset1:23
	v_pk_add_f32 v[74:75], v[74:75], v[126:127] neg_lo:[0,1] neg_hi:[0,1]
	v_pk_add_f32 v[70:71], v[70:71], v[124:125] neg_lo:[0,1] neg_hi:[0,1]
	s_wait_dscnt 0x0
	v_pk_mul_f32 v[124:125], v[120:121], v[112:113] op_sel:[0,1]
	s_delay_alu instid0(VALU_DEP_1) | instskip(SKIP_1) | instid1(VALU_DEP_1)
	v_pk_fma_f32 v[126:127], v[120:121], v[110:111], v[124:125] op_sel:[0,0,1] op_sel_hi:[1,1,0] neg_lo:[0,0,1] neg_hi:[0,0,1]
	v_pk_fma_f32 v[120:121], v[120:121], v[110:111], v[124:125] op_sel:[0,0,1] op_sel_hi:[1,0,0]
	v_mov_b32_e32 v127, v121
	v_pk_mul_f32 v[120:121], v[122:123], v[112:113] op_sel:[0,1]
	s_delay_alu instid0(VALU_DEP_1) | instskip(SKIP_1) | instid1(VALU_DEP_1)
	v_pk_fma_f32 v[124:125], v[122:123], v[110:111], v[120:121] op_sel:[0,0,1] op_sel_hi:[1,1,0] neg_lo:[0,0,1] neg_hi:[0,0,1]
	v_pk_fma_f32 v[120:121], v[122:123], v[110:111], v[120:121] op_sel:[0,0,1] op_sel_hi:[1,0,0]
	v_mov_b32_e32 v125, v121
	ds_load_2addr_b64 v[120:123], v114 offset0:24 offset1:25
	v_pk_add_f32 v[72:73], v[72:73], v[126:127] neg_lo:[0,1] neg_hi:[0,1]
	v_pk_add_f32 v[22:23], v[22:23], v[124:125] neg_lo:[0,1] neg_hi:[0,1]
	s_wait_dscnt 0x0
	v_dual_mul_f32 v124, v121, v113 :: v_dual_mul_f32 v126, v121, v110
	s_delay_alu instid0(VALU_DEP_1) | instskip(NEXT) | instid1(VALU_DEP_2)
	v_pk_fma_f32 v[124:125], v[120:121], v[82:83], v[124:125] op_sel_hi:[1,1,0] neg_lo:[0,0,1] neg_hi:[0,0,1]
	v_pk_fma_f32 v[120:121], v[120:121], v[82:83], v[126:127] op_sel:[1,0,0] op_sel_hi:[0,1,0]
	s_delay_alu instid0(VALU_DEP_1) | instskip(SKIP_1) | instid1(VALU_DEP_2)
	v_mov_b32_e32 v125, v121
	v_pk_mul_f32 v[120:121], v[122:123], v[112:113] op_sel:[0,1]
	v_pk_add_f32 v[68:69], v[68:69], v[124:125] neg_lo:[0,1] neg_hi:[0,1]
	s_delay_alu instid0(VALU_DEP_2) | instskip(SKIP_1) | instid1(VALU_DEP_1)
	v_pk_fma_f32 v[124:125], v[122:123], v[110:111], v[120:121] op_sel:[0,0,1] op_sel_hi:[1,1,0] neg_lo:[0,0,1] neg_hi:[0,0,1]
	v_pk_fma_f32 v[120:121], v[122:123], v[110:111], v[120:121] op_sel:[0,0,1] op_sel_hi:[1,0,0]
	v_mov_b32_e32 v125, v121
	ds_load_2addr_b64 v[120:123], v114 offset0:26 offset1:27
	v_pk_add_f32 v[64:65], v[64:65], v[124:125] neg_lo:[0,1] neg_hi:[0,1]
	s_wait_dscnt 0x0
	v_pk_mul_f32 v[124:125], v[120:121], v[112:113] op_sel:[0,1]
	s_delay_alu instid0(VALU_DEP_1) | instskip(SKIP_1) | instid1(VALU_DEP_1)
	v_pk_fma_f32 v[126:127], v[120:121], v[110:111], v[124:125] op_sel:[0,0,1] op_sel_hi:[1,1,0] neg_lo:[0,0,1] neg_hi:[0,0,1]
	v_pk_fma_f32 v[120:121], v[120:121], v[110:111], v[124:125] op_sel:[0,0,1] op_sel_hi:[1,0,0]
	v_mov_b32_e32 v127, v121
	v_pk_mul_f32 v[120:121], v[122:123], v[112:113] op_sel:[0,1]
	s_delay_alu instid0(VALU_DEP_2) | instskip(NEXT) | instid1(VALU_DEP_2)
	v_pk_add_f32 v[66:67], v[66:67], v[126:127] neg_lo:[0,1] neg_hi:[0,1]
	v_pk_fma_f32 v[124:125], v[122:123], v[110:111], v[120:121] op_sel:[0,0,1] op_sel_hi:[1,1,0] neg_lo:[0,0,1] neg_hi:[0,0,1]
	v_pk_fma_f32 v[120:121], v[122:123], v[110:111], v[120:121] op_sel:[0,0,1] op_sel_hi:[1,0,0]
	s_delay_alu instid0(VALU_DEP_1) | instskip(SKIP_4) | instid1(VALU_DEP_1)
	v_mov_b32_e32 v125, v121
	ds_load_2addr_b64 v[120:123], v114 offset0:28 offset1:29
	v_pk_add_f32 v[20:21], v[20:21], v[124:125] neg_lo:[0,1] neg_hi:[0,1]
	s_wait_dscnt 0x0
	v_pk_mul_f32 v[124:125], v[120:121], v[112:113] op_sel:[0,1]
	v_pk_fma_f32 v[126:127], v[120:121], v[110:111], v[124:125] op_sel:[0,0,1] op_sel_hi:[1,1,0] neg_lo:[0,0,1] neg_hi:[0,0,1]
	v_pk_fma_f32 v[120:121], v[120:121], v[110:111], v[124:125] op_sel:[0,0,1] op_sel_hi:[1,0,0]
	v_dual_mul_f32 v124, v123, v113 :: v_dual_mov_b32 v120, v123
	s_delay_alu instid0(VALU_DEP_2) | instskip(NEXT) | instid1(VALU_DEP_2)
	v_dual_mov_b32 v127, v121 :: v_dual_mov_b32 v121, v122
	v_pk_fma_f32 v[124:125], v[122:123], v[82:83], v[124:125] op_sel_hi:[1,1,0] neg_lo:[0,0,1] neg_hi:[0,0,1]
	v_mul_f32_e32 v122, v123, v110
	s_delay_alu instid0(VALU_DEP_3) | instskip(NEXT) | instid1(VALU_DEP_2)
	v_pk_add_f32 v[62:63], v[62:63], v[126:127] neg_lo:[0,1] neg_hi:[0,1]
	v_pk_fma_f32 v[120:121], v[120:121], v[82:83], v[122:123] op_sel_hi:[1,1,0]
	s_delay_alu instid0(VALU_DEP_1) | instskip(SKIP_4) | instid1(VALU_DEP_1)
	v_mov_b32_e32 v125, v121
	ds_load_2addr_b64 v[120:123], v114 offset0:30 offset1:31
	v_pk_add_f32 v[58:59], v[58:59], v[124:125] neg_lo:[0,1] neg_hi:[0,1]
	s_wait_dscnt 0x0
	v_pk_mul_f32 v[124:125], v[120:121], v[112:113] op_sel:[0,1]
	v_pk_fma_f32 v[126:127], v[120:121], v[110:111], v[124:125] op_sel:[0,0,1] op_sel_hi:[1,1,0] neg_lo:[0,0,1] neg_hi:[0,0,1]
	v_pk_fma_f32 v[120:121], v[120:121], v[110:111], v[124:125] op_sel:[0,0,1] op_sel_hi:[1,0,0]
	s_delay_alu instid0(VALU_DEP_1) | instskip(SKIP_1) | instid1(VALU_DEP_1)
	v_mov_b32_e32 v127, v121
	v_pk_mul_f32 v[120:121], v[122:123], v[112:113] op_sel:[0,1]
	v_pk_fma_f32 v[124:125], v[122:123], v[110:111], v[120:121] op_sel:[0,0,1] op_sel_hi:[1,1,0] neg_lo:[0,0,1] neg_hi:[0,0,1]
	v_pk_fma_f32 v[120:121], v[122:123], v[110:111], v[120:121] op_sel:[0,0,1] op_sel_hi:[1,0,0]
	s_delay_alu instid0(VALU_DEP_1)
	v_mov_b32_e32 v125, v121
	ds_load_2addr_b64 v[120:123], v114 offset0:32 offset1:33
	v_pk_add_f32 v[60:61], v[60:61], v[126:127] neg_lo:[0,1] neg_hi:[0,1]
	v_pk_add_f32 v[18:19], v[18:19], v[124:125] neg_lo:[0,1] neg_hi:[0,1]
	s_wait_dscnt 0x0
	v_pk_mul_f32 v[124:125], v[120:121], v[112:113] op_sel:[0,1]
	s_delay_alu instid0(VALU_DEP_1) | instskip(SKIP_1) | instid1(VALU_DEP_1)
	v_pk_fma_f32 v[126:127], v[120:121], v[110:111], v[124:125] op_sel:[0,0,1] op_sel_hi:[1,1,0] neg_lo:[0,0,1] neg_hi:[0,0,1]
	v_pk_fma_f32 v[120:121], v[120:121], v[110:111], v[124:125] op_sel:[0,0,1] op_sel_hi:[1,0,0]
	v_mov_b32_e32 v127, v121
	v_pk_mul_f32 v[120:121], v[122:123], v[112:113] op_sel:[0,1]
	s_delay_alu instid0(VALU_DEP_1) | instskip(SKIP_1) | instid1(VALU_DEP_1)
	v_pk_fma_f32 v[124:125], v[122:123], v[110:111], v[120:121] op_sel:[0,0,1] op_sel_hi:[1,1,0] neg_lo:[0,0,1] neg_hi:[0,0,1]
	v_pk_fma_f32 v[120:121], v[122:123], v[110:111], v[120:121] op_sel:[0,0,1] op_sel_hi:[1,0,0]
	v_mov_b32_e32 v125, v121
	ds_load_2addr_b64 v[120:123], v114 offset0:34 offset1:35
	v_pk_add_f32 v[56:57], v[56:57], v[126:127] neg_lo:[0,1] neg_hi:[0,1]
	v_pk_add_f32 v[52:53], v[52:53], v[124:125] neg_lo:[0,1] neg_hi:[0,1]
	s_wait_dscnt 0x0
	v_dual_mul_f32 v124, v121, v113 :: v_dual_mul_f32 v126, v121, v110
	s_delay_alu instid0(VALU_DEP_1) | instskip(NEXT) | instid1(VALU_DEP_2)
	v_pk_fma_f32 v[124:125], v[120:121], v[82:83], v[124:125] op_sel_hi:[1,1,0] neg_lo:[0,0,1] neg_hi:[0,0,1]
	v_pk_fma_f32 v[120:121], v[120:121], v[82:83], v[126:127] op_sel:[1,0,0] op_sel_hi:[0,1,0]
	s_delay_alu instid0(VALU_DEP_1) | instskip(SKIP_1) | instid1(VALU_DEP_2)
	v_mov_b32_e32 v125, v121
	v_pk_mul_f32 v[120:121], v[122:123], v[112:113] op_sel:[0,1]
	v_pk_add_f32 v[54:55], v[54:55], v[124:125] neg_lo:[0,1] neg_hi:[0,1]
	s_delay_alu instid0(VALU_DEP_2) | instskip(SKIP_1) | instid1(VALU_DEP_1)
	v_pk_fma_f32 v[124:125], v[122:123], v[110:111], v[120:121] op_sel:[0,0,1] op_sel_hi:[1,1,0] neg_lo:[0,0,1] neg_hi:[0,0,1]
	v_pk_fma_f32 v[120:121], v[122:123], v[110:111], v[120:121] op_sel:[0,0,1] op_sel_hi:[1,0,0]
	v_mov_b32_e32 v125, v121
	ds_load_2addr_b64 v[120:123], v114 offset0:36 offset1:37
	v_pk_add_f32 v[12:13], v[12:13], v[124:125] neg_lo:[0,1] neg_hi:[0,1]
	s_wait_dscnt 0x0
	v_pk_mul_f32 v[124:125], v[120:121], v[112:113] op_sel:[0,1]
	s_delay_alu instid0(VALU_DEP_1) | instskip(SKIP_1) | instid1(VALU_DEP_1)
	v_pk_fma_f32 v[126:127], v[120:121], v[110:111], v[124:125] op_sel:[0,0,1] op_sel_hi:[1,1,0] neg_lo:[0,0,1] neg_hi:[0,0,1]
	v_pk_fma_f32 v[120:121], v[120:121], v[110:111], v[124:125] op_sel:[0,0,1] op_sel_hi:[1,0,0]
	v_mov_b32_e32 v127, v121
	v_pk_mul_f32 v[120:121], v[122:123], v[112:113] op_sel:[0,1]
	s_delay_alu instid0(VALU_DEP_2) | instskip(NEXT) | instid1(VALU_DEP_2)
	v_pk_add_f32 v[50:51], v[50:51], v[126:127] neg_lo:[0,1] neg_hi:[0,1]
	v_pk_fma_f32 v[124:125], v[122:123], v[110:111], v[120:121] op_sel:[0,0,1] op_sel_hi:[1,1,0] neg_lo:[0,0,1] neg_hi:[0,0,1]
	v_pk_fma_f32 v[120:121], v[122:123], v[110:111], v[120:121] op_sel:[0,0,1] op_sel_hi:[1,0,0]
	s_delay_alu instid0(VALU_DEP_1) | instskip(SKIP_4) | instid1(VALU_DEP_1)
	v_mov_b32_e32 v125, v121
	ds_load_2addr_b64 v[120:123], v114 offset0:38 offset1:39
	v_pk_add_f32 v[46:47], v[46:47], v[124:125] neg_lo:[0,1] neg_hi:[0,1]
	s_wait_dscnt 0x0
	v_pk_mul_f32 v[124:125], v[120:121], v[112:113] op_sel:[0,1]
	v_pk_fma_f32 v[126:127], v[120:121], v[110:111], v[124:125] op_sel:[0,0,1] op_sel_hi:[1,1,0] neg_lo:[0,0,1] neg_hi:[0,0,1]
	v_pk_fma_f32 v[120:121], v[120:121], v[110:111], v[124:125] op_sel:[0,0,1] op_sel_hi:[1,0,0]
	v_dual_mul_f32 v124, v123, v113 :: v_dual_mov_b32 v120, v123
	s_delay_alu instid0(VALU_DEP_2) | instskip(NEXT) | instid1(VALU_DEP_2)
	v_dual_mov_b32 v127, v121 :: v_dual_mov_b32 v121, v122
	v_pk_fma_f32 v[124:125], v[122:123], v[82:83], v[124:125] op_sel_hi:[1,1,0] neg_lo:[0,0,1] neg_hi:[0,0,1]
	v_mul_f32_e32 v122, v123, v110
	s_delay_alu instid0(VALU_DEP_3) | instskip(NEXT) | instid1(VALU_DEP_2)
	v_pk_add_f32 v[48:49], v[48:49], v[126:127] neg_lo:[0,1] neg_hi:[0,1]
	v_pk_fma_f32 v[120:121], v[120:121], v[82:83], v[122:123] op_sel_hi:[1,1,0]
	s_delay_alu instid0(VALU_DEP_1) | instskip(SKIP_4) | instid1(VALU_DEP_1)
	v_mov_b32_e32 v125, v121
	ds_load_2addr_b64 v[120:123], v114 offset0:40 offset1:41
	v_pk_add_f32 v[10:11], v[10:11], v[124:125] neg_lo:[0,1] neg_hi:[0,1]
	s_wait_dscnt 0x0
	v_pk_mul_f32 v[124:125], v[120:121], v[112:113] op_sel:[0,1]
	v_pk_fma_f32 v[126:127], v[120:121], v[110:111], v[124:125] op_sel:[0,0,1] op_sel_hi:[1,1,0] neg_lo:[0,0,1] neg_hi:[0,0,1]
	v_pk_fma_f32 v[120:121], v[120:121], v[110:111], v[124:125] op_sel:[0,0,1] op_sel_hi:[1,0,0]
	s_delay_alu instid0(VALU_DEP_1) | instskip(SKIP_1) | instid1(VALU_DEP_1)
	v_mov_b32_e32 v127, v121
	v_pk_mul_f32 v[120:121], v[122:123], v[112:113] op_sel:[0,1]
	v_pk_fma_f32 v[124:125], v[122:123], v[110:111], v[120:121] op_sel:[0,0,1] op_sel_hi:[1,1,0] neg_lo:[0,0,1] neg_hi:[0,0,1]
	v_pk_fma_f32 v[120:121], v[122:123], v[110:111], v[120:121] op_sel:[0,0,1] op_sel_hi:[1,0,0]
	s_delay_alu instid0(VALU_DEP_1)
	v_mov_b32_e32 v125, v121
	ds_load_2addr_b64 v[120:123], v114 offset0:42 offset1:43
	v_pk_add_f32 v[44:45], v[44:45], v[126:127] neg_lo:[0,1] neg_hi:[0,1]
	v_pk_add_f32 v[40:41], v[40:41], v[124:125] neg_lo:[0,1] neg_hi:[0,1]
	s_wait_dscnt 0x0
	v_pk_mul_f32 v[124:125], v[120:121], v[112:113] op_sel:[0,1]
	s_delay_alu instid0(VALU_DEP_1) | instskip(SKIP_1) | instid1(VALU_DEP_1)
	v_pk_fma_f32 v[126:127], v[120:121], v[110:111], v[124:125] op_sel:[0,0,1] op_sel_hi:[1,1,0] neg_lo:[0,0,1] neg_hi:[0,0,1]
	v_pk_fma_f32 v[120:121], v[120:121], v[110:111], v[124:125] op_sel:[0,0,1] op_sel_hi:[1,0,0]
	v_mov_b32_e32 v127, v121
	v_pk_mul_f32 v[120:121], v[122:123], v[112:113] op_sel:[0,1]
	s_delay_alu instid0(VALU_DEP_1) | instskip(SKIP_1) | instid1(VALU_DEP_1)
	v_pk_fma_f32 v[124:125], v[122:123], v[110:111], v[120:121] op_sel:[0,0,1] op_sel_hi:[1,1,0] neg_lo:[0,0,1] neg_hi:[0,0,1]
	v_pk_fma_f32 v[120:121], v[122:123], v[110:111], v[120:121] op_sel:[0,0,1] op_sel_hi:[1,0,0]
	v_mov_b32_e32 v125, v121
	ds_load_2addr_b64 v[120:123], v114 offset0:44 offset1:45
	v_pk_add_f32 v[42:43], v[42:43], v[126:127] neg_lo:[0,1] neg_hi:[0,1]
	v_pk_add_f32 v[6:7], v[6:7], v[124:125] neg_lo:[0,1] neg_hi:[0,1]
	s_wait_dscnt 0x0
	v_dual_mul_f32 v124, v121, v113 :: v_dual_mul_f32 v126, v121, v110
	s_delay_alu instid0(VALU_DEP_1) | instskip(NEXT) | instid1(VALU_DEP_2)
	v_pk_fma_f32 v[124:125], v[120:121], v[82:83], v[124:125] op_sel_hi:[1,1,0] neg_lo:[0,0,1] neg_hi:[0,0,1]
	v_pk_fma_f32 v[120:121], v[120:121], v[82:83], v[126:127] op_sel:[1,0,0] op_sel_hi:[0,1,0]
	s_delay_alu instid0(VALU_DEP_1) | instskip(SKIP_1) | instid1(VALU_DEP_2)
	v_mov_b32_e32 v125, v121
	v_pk_mul_f32 v[120:121], v[122:123], v[112:113] op_sel:[0,1]
	v_pk_add_f32 v[36:37], v[36:37], v[124:125] neg_lo:[0,1] neg_hi:[0,1]
	s_delay_alu instid0(VALU_DEP_2) | instskip(SKIP_1) | instid1(VALU_DEP_1)
	v_pk_fma_f32 v[124:125], v[122:123], v[110:111], v[120:121] op_sel:[0,0,1] op_sel_hi:[1,1,0] neg_lo:[0,0,1] neg_hi:[0,0,1]
	v_pk_fma_f32 v[120:121], v[122:123], v[110:111], v[120:121] op_sel:[0,0,1] op_sel_hi:[1,0,0]
	v_mov_b32_e32 v125, v121
	ds_load_2addr_b64 v[120:123], v114 offset0:46 offset1:47
	v_pk_add_f32 v[30:31], v[30:31], v[124:125] neg_lo:[0,1] neg_hi:[0,1]
	s_wait_dscnt 0x0
	v_pk_mul_f32 v[124:125], v[120:121], v[112:113] op_sel:[0,1]
	s_delay_alu instid0(VALU_DEP_1) | instskip(SKIP_1) | instid1(VALU_DEP_1)
	v_pk_fma_f32 v[126:127], v[120:121], v[110:111], v[124:125] op_sel:[0,0,1] op_sel_hi:[1,1,0] neg_lo:[0,0,1] neg_hi:[0,0,1]
	v_pk_fma_f32 v[120:121], v[120:121], v[110:111], v[124:125] op_sel:[0,0,1] op_sel_hi:[1,0,0]
	v_mov_b32_e32 v127, v121
	v_pk_mul_f32 v[120:121], v[122:123], v[112:113] op_sel:[0,1]
	s_delay_alu instid0(VALU_DEP_2) | instskip(NEXT) | instid1(VALU_DEP_2)
	v_pk_add_f32 v[34:35], v[34:35], v[126:127] neg_lo:[0,1] neg_hi:[0,1]
	v_pk_fma_f32 v[124:125], v[122:123], v[110:111], v[120:121] op_sel:[0,0,1] op_sel_hi:[1,1,0] neg_lo:[0,0,1] neg_hi:[0,0,1]
	v_pk_fma_f32 v[120:121], v[122:123], v[110:111], v[120:121] op_sel:[0,0,1] op_sel_hi:[1,0,0]
	s_delay_alu instid0(VALU_DEP_1) | instskip(SKIP_4) | instid1(VALU_DEP_1)
	v_mov_b32_e32 v125, v121
	ds_load_2addr_b64 v[120:123], v114 offset0:48 offset1:49
	v_pk_add_f32 v[8:9], v[8:9], v[124:125] neg_lo:[0,1] neg_hi:[0,1]
	s_wait_dscnt 0x0
	v_pk_mul_f32 v[124:125], v[120:121], v[112:113] op_sel:[0,1]
	v_pk_fma_f32 v[126:127], v[120:121], v[110:111], v[124:125] op_sel:[0,0,1] op_sel_hi:[1,1,0] neg_lo:[0,0,1] neg_hi:[0,0,1]
	v_pk_fma_f32 v[120:121], v[120:121], v[110:111], v[124:125] op_sel:[0,0,1] op_sel_hi:[1,0,0]
	v_dual_mul_f32 v124, v123, v113 :: v_dual_mov_b32 v120, v123
	s_delay_alu instid0(VALU_DEP_2) | instskip(NEXT) | instid1(VALU_DEP_2)
	v_dual_mov_b32 v127, v121 :: v_dual_mov_b32 v121, v122
	v_pk_fma_f32 v[124:125], v[122:123], v[82:83], v[124:125] op_sel_hi:[1,1,0] neg_lo:[0,0,1] neg_hi:[0,0,1]
	v_mul_f32_e32 v122, v123, v110
	s_delay_alu instid0(VALU_DEP_3) | instskip(NEXT) | instid1(VALU_DEP_2)
	v_pk_add_f32 v[28:29], v[28:29], v[126:127] neg_lo:[0,1] neg_hi:[0,1]
	v_pk_fma_f32 v[120:121], v[120:121], v[82:83], v[122:123] op_sel_hi:[1,1,0]
	s_delay_alu instid0(VALU_DEP_1)
	v_mov_b32_e32 v125, v121
	ds_load_2addr_b64 v[120:123], v114 offset0:50 offset1:51
	v_pk_add_f32 v[16:17], v[16:17], v[124:125] neg_lo:[0,1] neg_hi:[0,1]
	s_wait_dscnt 0x0
	v_pk_mul_f32 v[124:125], v[120:121], v[112:113] op_sel:[0,1]
	v_pk_mul_f32 v[112:113], v[122:123], v[112:113] op_sel:[0,1]
	s_delay_alu instid0(VALU_DEP_2) | instskip(SKIP_1) | instid1(VALU_DEP_1)
	v_pk_fma_f32 v[126:127], v[120:121], v[110:111], v[124:125] op_sel:[0,0,1] op_sel_hi:[1,1,0] neg_lo:[0,0,1] neg_hi:[0,0,1]
	v_pk_fma_f32 v[120:121], v[120:121], v[110:111], v[124:125] op_sel:[0,0,1] op_sel_hi:[1,0,0]
	v_mov_b32_e32 v127, v121
	s_delay_alu instid0(VALU_DEP_4) | instskip(SKIP_1) | instid1(VALU_DEP_1)
	v_pk_fma_f32 v[120:121], v[122:123], v[110:111], v[112:113] op_sel:[0,0,1] op_sel_hi:[1,1,0] neg_lo:[0,0,1] neg_hi:[0,0,1]
	v_pk_fma_f32 v[110:111], v[122:123], v[110:111], v[112:113] op_sel:[0,0,1] op_sel_hi:[1,0,0]
	v_mov_b32_e32 v121, v111
	s_delay_alu instid0(VALU_DEP_4) | instskip(NEXT) | instid1(VALU_DEP_2)
	v_pk_add_f32 v[14:15], v[14:15], v[126:127] neg_lo:[0,1] neg_hi:[0,1]
	v_pk_add_f32 v[108:109], v[108:109], v[120:121] neg_lo:[0,1] neg_hi:[0,1]
.LBB102_125:
	s_or_b32 exec_lo, exec_lo, s0
	v_lshl_add_u32 v110, v118, 3, v114
	s_barrier_signal -1
	s_barrier_wait -1
	ds_store_b64 v110, v[84:85]
	s_wait_dscnt 0x0
	s_barrier_signal -1
	s_barrier_wait -1
	ds_load_b64 v[112:113], v114 offset:48
	v_mov_b32_e32 v110, 6
	s_cmp_lt_i32 s18, 8
	s_cbranch_scc1 .LBB102_128
; %bb.126:
	v_add3_u32 v111, v115, 0, 56
	v_mov_b32_e32 v110, 6
	s_mov_b32 s0, 7
.LBB102_127:                            ; =>This Inner Loop Header: Depth=1
	ds_load_b64 v[120:121], v111
	s_wait_dscnt 0x1
	v_cmp_gt_f32_e32 vcc_lo, 0, v112
	v_cndmask_b32_e64 v122, v112, -v112, vcc_lo
	v_cmp_gt_f32_e32 vcc_lo, 0, v113
	v_cndmask_b32_e64 v124, v113, -v113, vcc_lo
	s_wait_dscnt 0x0
	v_cmp_gt_f32_e32 vcc_lo, 0, v120
	v_cndmask_b32_e64 v123, v120, -v120, vcc_lo
	v_cmp_gt_f32_e32 vcc_lo, 0, v121
	v_cndmask_b32_e64 v125, v121, -v121, vcc_lo
	s_delay_alu instid0(VALU_DEP_1) | instskip(NEXT) | instid1(VALU_DEP_1)
	v_pk_add_f32 v[122:123], v[122:123], v[124:125]
	v_cmp_lt_f32_e32 vcc_lo, v122, v123
	v_dual_add_nc_u32 v111, 8, v111 :: v_dual_cndmask_b32 v113, v113, v121, vcc_lo
	v_cndmask_b32_e32 v112, v112, v120, vcc_lo
	v_cndmask_b32_e64 v110, v110, s0, vcc_lo
	s_add_co_i32 s0, s0, 1
	s_delay_alu instid0(SALU_CYCLE_1)
	s_cmp_lg_u32 s18, s0
	s_cbranch_scc1 .LBB102_127
.LBB102_128:
	s_wait_dscnt 0x0
	v_cmp_eq_f32_e32 vcc_lo, 0, v112
	v_cmp_eq_f32_e64 s0, 0, v113
	s_and_b32 s0, vcc_lo, s0
	s_delay_alu instid0(SALU_CYCLE_1) | instskip(NEXT) | instid1(SALU_CYCLE_1)
	s_and_saveexec_b32 s1, s0
	s_xor_b32 s0, exec_lo, s1
; %bb.129:
	v_cmp_ne_u32_e32 vcc_lo, 0, v116
	v_cndmask_b32_e32 v116, 7, v116, vcc_lo
; %bb.130:
	s_and_not1_saveexec_b32 s0, s0
	s_cbranch_execz .LBB102_136
; %bb.131:
	v_cmp_ngt_f32_e64 s1, |v112|, |v113|
	s_and_saveexec_b32 s12, s1
	s_delay_alu instid0(SALU_CYCLE_1)
	s_xor_b32 s1, exec_lo, s12
	s_cbranch_execz .LBB102_133
; %bb.132:
	v_div_scale_f32 v111, null, v113, v113, v112
	v_div_scale_f32 v121, vcc_lo, v112, v113, v112
	s_delay_alu instid0(VALU_DEP_2) | instskip(SKIP_1) | instid1(TRANS32_DEP_1)
	v_rcp_f32_e32 v119, v111
	v_nop
	v_fma_f32 v120, -v111, v119, 1.0
	s_delay_alu instid0(VALU_DEP_1) | instskip(NEXT) | instid1(VALU_DEP_1)
	v_fmac_f32_e32 v119, v120, v119
	v_mul_f32_e32 v120, v121, v119
	s_delay_alu instid0(VALU_DEP_1) | instskip(NEXT) | instid1(VALU_DEP_1)
	v_fma_f32 v122, -v111, v120, v121
	v_fmac_f32_e32 v120, v122, v119
	s_delay_alu instid0(VALU_DEP_1) | instskip(NEXT) | instid1(VALU_DEP_1)
	v_fma_f32 v111, -v111, v120, v121
	v_div_fmas_f32 v111, v111, v119, v120
	s_delay_alu instid0(VALU_DEP_1) | instskip(NEXT) | instid1(VALU_DEP_1)
	v_div_fixup_f32 v111, v111, v113, v112
	v_fmac_f32_e32 v113, v112, v111
	s_delay_alu instid0(VALU_DEP_1) | instskip(SKIP_1) | instid1(VALU_DEP_2)
	v_div_scale_f32 v112, null, v113, v113, 1.0
	v_div_scale_f32 v121, vcc_lo, 1.0, v113, 1.0
	v_rcp_f32_e32 v119, v112
	v_nop
	s_delay_alu instid0(TRANS32_DEP_1) | instskip(NEXT) | instid1(VALU_DEP_1)
	v_fma_f32 v120, -v112, v119, 1.0
	v_fmac_f32_e32 v119, v120, v119
	s_delay_alu instid0(VALU_DEP_1) | instskip(NEXT) | instid1(VALU_DEP_1)
	v_mul_f32_e32 v120, v121, v119
	v_fma_f32 v122, -v112, v120, v121
	s_delay_alu instid0(VALU_DEP_1) | instskip(NEXT) | instid1(VALU_DEP_1)
	v_fmac_f32_e32 v120, v122, v119
	v_fma_f32 v112, -v112, v120, v121
	s_delay_alu instid0(VALU_DEP_1) | instskip(NEXT) | instid1(VALU_DEP_1)
	v_div_fmas_f32 v112, v112, v119, v120
	v_div_fixup_f32 v113, v112, v113, 1.0
	s_delay_alu instid0(VALU_DEP_1)
	v_mul_f32_e32 v112, v111, v113
	v_xor_b32_e32 v113, 0x80000000, v113
.LBB102_133:
	s_and_not1_saveexec_b32 s1, s1
	s_cbranch_execz .LBB102_135
; %bb.134:
	s_delay_alu instid0(VALU_DEP_1) | instskip(SKIP_1) | instid1(VALU_DEP_2)
	v_div_scale_f32 v111, null, v112, v112, v113
	v_div_scale_f32 v121, vcc_lo, v113, v112, v113
	v_rcp_f32_e32 v119, v111
	v_nop
	s_delay_alu instid0(TRANS32_DEP_1) | instskip(NEXT) | instid1(VALU_DEP_1)
	v_fma_f32 v120, -v111, v119, 1.0
	v_fmac_f32_e32 v119, v120, v119
	s_delay_alu instid0(VALU_DEP_1) | instskip(NEXT) | instid1(VALU_DEP_1)
	v_mul_f32_e32 v120, v121, v119
	v_fma_f32 v122, -v111, v120, v121
	s_delay_alu instid0(VALU_DEP_1) | instskip(NEXT) | instid1(VALU_DEP_1)
	v_fmac_f32_e32 v120, v122, v119
	v_fma_f32 v111, -v111, v120, v121
	s_delay_alu instid0(VALU_DEP_1) | instskip(NEXT) | instid1(VALU_DEP_1)
	v_div_fmas_f32 v111, v111, v119, v120
	v_div_fixup_f32 v111, v111, v112, v113
	s_delay_alu instid0(VALU_DEP_1) | instskip(NEXT) | instid1(VALU_DEP_1)
	v_fmac_f32_e32 v112, v113, v111
	v_div_scale_f32 v113, null, v112, v112, 1.0
	s_delay_alu instid0(VALU_DEP_1) | instskip(SKIP_1) | instid1(TRANS32_DEP_1)
	v_rcp_f32_e32 v119, v113
	v_nop
	v_fma_f32 v120, -v113, v119, 1.0
	s_delay_alu instid0(VALU_DEP_1) | instskip(SKIP_1) | instid1(VALU_DEP_1)
	v_fmac_f32_e32 v119, v120, v119
	v_div_scale_f32 v120, vcc_lo, 1.0, v112, 1.0
	v_mul_f32_e32 v121, v120, v119
	s_delay_alu instid0(VALU_DEP_1) | instskip(NEXT) | instid1(VALU_DEP_1)
	v_fma_f32 v122, -v113, v121, v120
	v_fmac_f32_e32 v121, v122, v119
	s_delay_alu instid0(VALU_DEP_1) | instskip(NEXT) | instid1(VALU_DEP_1)
	v_fma_f32 v113, -v113, v121, v120
	v_div_fmas_f32 v113, v113, v119, v121
	s_delay_alu instid0(VALU_DEP_1) | instskip(NEXT) | instid1(VALU_DEP_1)
	v_div_fixup_f32 v112, v113, v112, 1.0
	v_mul_f32_e64 v113, v111, -v112
.LBB102_135:
	s_or_b32 exec_lo, exec_lo, s1
.LBB102_136:
	s_delay_alu instid0(SALU_CYCLE_1) | instskip(NEXT) | instid1(SALU_CYCLE_1)
	s_or_b32 exec_lo, exec_lo, s0
	s_mov_b32 s0, exec_lo
	v_cmpx_ne_u32_e64 v118, v110
	s_xor_b32 s0, exec_lo, s0
	s_cbranch_execz .LBB102_142
; %bb.137:
	s_mov_b32 s1, exec_lo
	v_cmpx_eq_u32_e32 6, v118
	s_cbranch_execz .LBB102_141
; %bb.138:
	v_cmp_ne_u32_e32 vcc_lo, 6, v110
	s_xor_b32 s12, s16, -1
	s_delay_alu instid0(SALU_CYCLE_1) | instskip(NEXT) | instid1(SALU_CYCLE_1)
	s_and_b32 s13, s12, vcc_lo
	s_and_saveexec_b32 s12, s13
	s_cbranch_execz .LBB102_140
; %bb.139:
	v_ashrrev_i32_e32 v111, 31, v110
	s_delay_alu instid0(VALU_DEP_1)
	v_lshl_add_u64 v[118:119], v[110:111], 2, v[4:5]
	s_clause 0x1
	global_load_b32 v111, v[118:119], off
	global_load_b32 v117, v[4:5], off offset:24
	s_wait_loadcnt 0x1
	global_store_b32 v[4:5], v111, off offset:24
	s_wait_loadcnt 0x0
	global_store_b32 v[118:119], v117, off
.LBB102_140:
	s_wait_xcnt 0x0
	s_or_b32 exec_lo, exec_lo, s12
	v_dual_mov_b32 v118, v110 :: v_dual_mov_b32 v117, v110
.LBB102_141:
	s_or_b32 exec_lo, exec_lo, s1
.LBB102_142:
	s_and_not1_saveexec_b32 s0, s0
	s_cbranch_execz .LBB102_144
; %bb.143:
	v_mov_b32_e32 v118, 6
	ds_store_2addr_b64 v114, v[26:27], v[98:99] offset0:7 offset1:8
	ds_store_2addr_b64 v114, v[94:95], v[96:97] offset0:9 offset1:10
	;; [unrolled: 1-line block ×22, first 2 shown]
	ds_store_b64 v114, v[108:109] offset:408
.LBB102_144:
	s_or_b32 exec_lo, exec_lo, s0
	s_delay_alu instid0(SALU_CYCLE_1)
	s_mov_b32 s0, exec_lo
	s_wait_storecnt_dscnt 0x0
	s_barrier_signal -1
	s_barrier_wait -1
	v_cmpx_lt_i32_e32 6, v118
	s_cbranch_execz .LBB102_146
; %bb.145:
	v_pk_mul_f32 v[120:121], v[112:113], v[84:85] op_sel:[1,1] op_sel_hi:[0,1]
	s_delay_alu instid0(VALU_DEP_1)
	v_pk_fma_f32 v[110:111], v[112:113], v[84:85], v[120:121] op_sel_hi:[1,0,1] neg_lo:[0,0,1] neg_hi:[0,0,1]
	v_pk_fma_f32 v[112:113], v[112:113], v[84:85], v[120:121] op_sel_hi:[1,0,1]
	ds_load_2addr_b64 v[120:123], v114 offset0:7 offset1:8
	v_dual_mov_b32 v84, v110 :: v_dual_mov_b32 v85, v113
	s_wait_dscnt 0x0
	v_pk_mul_f32 v[124:125], v[120:121], v[112:113] op_sel:[0,1]
	s_delay_alu instid0(VALU_DEP_1) | instskip(SKIP_1) | instid1(VALU_DEP_1)
	v_pk_fma_f32 v[126:127], v[120:121], v[110:111], v[124:125] op_sel:[0,0,1] op_sel_hi:[1,1,0] neg_lo:[0,0,1] neg_hi:[0,0,1]
	v_pk_fma_f32 v[120:121], v[120:121], v[110:111], v[124:125] op_sel:[0,0,1] op_sel_hi:[1,0,0]
	v_mov_b32_e32 v127, v121
	v_pk_mul_f32 v[120:121], v[122:123], v[112:113] op_sel:[0,1]
	s_delay_alu instid0(VALU_DEP_1) | instskip(SKIP_1) | instid1(VALU_DEP_1)
	v_pk_fma_f32 v[124:125], v[122:123], v[110:111], v[120:121] op_sel:[0,0,1] op_sel_hi:[1,1,0] neg_lo:[0,0,1] neg_hi:[0,0,1]
	v_pk_fma_f32 v[120:121], v[122:123], v[110:111], v[120:121] op_sel:[0,0,1] op_sel_hi:[1,0,0]
	v_mov_b32_e32 v125, v121
	ds_load_2addr_b64 v[120:123], v114 offset0:9 offset1:10
	v_pk_add_f32 v[26:27], v[26:27], v[126:127] neg_lo:[0,1] neg_hi:[0,1]
	v_pk_add_f32 v[98:99], v[98:99], v[124:125] neg_lo:[0,1] neg_hi:[0,1]
	s_wait_dscnt 0x0
	v_pk_mul_f32 v[124:125], v[120:121], v[112:113] op_sel:[0,1]
	s_delay_alu instid0(VALU_DEP_1) | instskip(SKIP_2) | instid1(VALU_DEP_2)
	v_pk_fma_f32 v[126:127], v[120:121], v[110:111], v[124:125] op_sel:[0,0,1] op_sel_hi:[1,1,0] neg_lo:[0,0,1] neg_hi:[0,0,1]
	v_pk_fma_f32 v[120:121], v[120:121], v[110:111], v[124:125] op_sel:[0,0,1] op_sel_hi:[1,0,0]
	v_dual_mul_f32 v124, v123, v113 :: v_dual_mov_b32 v120, v123
	v_dual_mov_b32 v127, v121 :: v_dual_mov_b32 v121, v122
	s_delay_alu instid0(VALU_DEP_2) | instskip(SKIP_1) | instid1(VALU_DEP_3)
	v_pk_fma_f32 v[124:125], v[122:123], v[84:85], v[124:125] op_sel_hi:[1,1,0] neg_lo:[0,0,1] neg_hi:[0,0,1]
	v_mul_f32_e32 v122, v123, v110
	v_pk_add_f32 v[94:95], v[94:95], v[126:127] neg_lo:[0,1] neg_hi:[0,1]
	s_delay_alu instid0(VALU_DEP_2) | instskip(NEXT) | instid1(VALU_DEP_1)
	v_pk_fma_f32 v[120:121], v[120:121], v[84:85], v[122:123] op_sel_hi:[1,1,0]
	v_mov_b32_e32 v125, v121
	ds_load_2addr_b64 v[120:123], v114 offset0:11 offset1:12
	v_pk_add_f32 v[96:97], v[96:97], v[124:125] neg_lo:[0,1] neg_hi:[0,1]
	s_wait_dscnt 0x0
	v_pk_mul_f32 v[124:125], v[120:121], v[112:113] op_sel:[0,1]
	s_delay_alu instid0(VALU_DEP_1) | instskip(SKIP_1) | instid1(VALU_DEP_1)
	v_pk_fma_f32 v[126:127], v[120:121], v[110:111], v[124:125] op_sel:[0,0,1] op_sel_hi:[1,1,0] neg_lo:[0,0,1] neg_hi:[0,0,1]
	v_pk_fma_f32 v[120:121], v[120:121], v[110:111], v[124:125] op_sel:[0,0,1] op_sel_hi:[1,0,0]
	v_mov_b32_e32 v127, v121
	v_pk_mul_f32 v[120:121], v[122:123], v[112:113] op_sel:[0,1]
	s_delay_alu instid0(VALU_DEP_1) | instskip(SKIP_1) | instid1(VALU_DEP_1)
	v_pk_fma_f32 v[124:125], v[122:123], v[110:111], v[120:121] op_sel:[0,0,1] op_sel_hi:[1,1,0] neg_lo:[0,0,1] neg_hi:[0,0,1]
	v_pk_fma_f32 v[120:121], v[122:123], v[110:111], v[120:121] op_sel:[0,0,1] op_sel_hi:[1,0,0]
	v_mov_b32_e32 v125, v121
	ds_load_2addr_b64 v[120:123], v114 offset0:13 offset1:14
	v_pk_add_f32 v[38:39], v[38:39], v[126:127] neg_lo:[0,1] neg_hi:[0,1]
	v_pk_add_f32 v[92:93], v[92:93], v[124:125] neg_lo:[0,1] neg_hi:[0,1]
	s_wait_dscnt 0x0
	v_pk_mul_f32 v[124:125], v[120:121], v[112:113] op_sel:[0,1]
	s_delay_alu instid0(VALU_DEP_1) | instskip(SKIP_1) | instid1(VALU_DEP_1)
	v_pk_fma_f32 v[126:127], v[120:121], v[110:111], v[124:125] op_sel:[0,0,1] op_sel_hi:[1,1,0] neg_lo:[0,0,1] neg_hi:[0,0,1]
	v_pk_fma_f32 v[120:121], v[120:121], v[110:111], v[124:125] op_sel:[0,0,1] op_sel_hi:[1,0,0]
	v_mov_b32_e32 v127, v121
	v_pk_mul_f32 v[120:121], v[122:123], v[112:113] op_sel:[0,1]
	s_delay_alu instid0(VALU_DEP_1) | instskip(SKIP_1) | instid1(VALU_DEP_1)
	v_pk_fma_f32 v[124:125], v[122:123], v[110:111], v[120:121] op_sel:[0,0,1] op_sel_hi:[1,1,0] neg_lo:[0,0,1] neg_hi:[0,0,1]
	v_pk_fma_f32 v[120:121], v[122:123], v[110:111], v[120:121] op_sel:[0,0,1] op_sel_hi:[1,0,0]
	v_mov_b32_e32 v125, v121
	ds_load_2addr_b64 v[120:123], v114 offset0:15 offset1:16
	v_pk_add_f32 v[88:89], v[88:89], v[126:127] neg_lo:[0,1] neg_hi:[0,1]
	v_pk_add_f32 v[90:91], v[90:91], v[124:125] neg_lo:[0,1] neg_hi:[0,1]
	s_wait_dscnt 0x0
	v_dual_mul_f32 v124, v121, v113 :: v_dual_mul_f32 v126, v121, v110
	s_delay_alu instid0(VALU_DEP_1) | instskip(NEXT) | instid1(VALU_DEP_2)
	v_pk_fma_f32 v[124:125], v[120:121], v[84:85], v[124:125] op_sel_hi:[1,1,0] neg_lo:[0,0,1] neg_hi:[0,0,1]
	v_pk_fma_f32 v[120:121], v[120:121], v[84:85], v[126:127] op_sel:[1,0,0] op_sel_hi:[0,1,0]
	s_delay_alu instid0(VALU_DEP_1) | instskip(SKIP_1) | instid1(VALU_DEP_2)
	v_mov_b32_e32 v125, v121
	v_pk_mul_f32 v[120:121], v[122:123], v[112:113] op_sel:[0,1]
	v_pk_add_f32 v[32:33], v[32:33], v[124:125] neg_lo:[0,1] neg_hi:[0,1]
	s_delay_alu instid0(VALU_DEP_2) | instskip(SKIP_1) | instid1(VALU_DEP_1)
	v_pk_fma_f32 v[124:125], v[122:123], v[110:111], v[120:121] op_sel:[0,0,1] op_sel_hi:[1,1,0] neg_lo:[0,0,1] neg_hi:[0,0,1]
	v_pk_fma_f32 v[120:121], v[122:123], v[110:111], v[120:121] op_sel:[0,0,1] op_sel_hi:[1,0,0]
	v_mov_b32_e32 v125, v121
	ds_load_2addr_b64 v[120:123], v114 offset0:17 offset1:18
	v_pk_add_f32 v[80:81], v[80:81], v[124:125] neg_lo:[0,1] neg_hi:[0,1]
	s_wait_dscnt 0x0
	v_pk_mul_f32 v[124:125], v[120:121], v[112:113] op_sel:[0,1]
	s_delay_alu instid0(VALU_DEP_1) | instskip(SKIP_1) | instid1(VALU_DEP_1)
	v_pk_fma_f32 v[126:127], v[120:121], v[110:111], v[124:125] op_sel:[0,0,1] op_sel_hi:[1,1,0] neg_lo:[0,0,1] neg_hi:[0,0,1]
	v_pk_fma_f32 v[120:121], v[120:121], v[110:111], v[124:125] op_sel:[0,0,1] op_sel_hi:[1,0,0]
	v_mov_b32_e32 v127, v121
	v_pk_mul_f32 v[120:121], v[122:123], v[112:113] op_sel:[0,1]
	s_delay_alu instid0(VALU_DEP_2) | instskip(NEXT) | instid1(VALU_DEP_2)
	v_pk_add_f32 v[76:77], v[76:77], v[126:127] neg_lo:[0,1] neg_hi:[0,1]
	v_pk_fma_f32 v[124:125], v[122:123], v[110:111], v[120:121] op_sel:[0,0,1] op_sel_hi:[1,1,0] neg_lo:[0,0,1] neg_hi:[0,0,1]
	v_pk_fma_f32 v[120:121], v[122:123], v[110:111], v[120:121] op_sel:[0,0,1] op_sel_hi:[1,0,0]
	s_delay_alu instid0(VALU_DEP_1) | instskip(SKIP_4) | instid1(VALU_DEP_1)
	v_mov_b32_e32 v125, v121
	ds_load_2addr_b64 v[120:123], v114 offset0:19 offset1:20
	v_pk_add_f32 v[78:79], v[78:79], v[124:125] neg_lo:[0,1] neg_hi:[0,1]
	s_wait_dscnt 0x0
	v_pk_mul_f32 v[124:125], v[120:121], v[112:113] op_sel:[0,1]
	v_pk_fma_f32 v[126:127], v[120:121], v[110:111], v[124:125] op_sel:[0,0,1] op_sel_hi:[1,1,0] neg_lo:[0,0,1] neg_hi:[0,0,1]
	v_pk_fma_f32 v[120:121], v[120:121], v[110:111], v[124:125] op_sel:[0,0,1] op_sel_hi:[1,0,0]
	v_dual_mul_f32 v124, v123, v113 :: v_dual_mov_b32 v120, v123
	s_delay_alu instid0(VALU_DEP_2) | instskip(NEXT) | instid1(VALU_DEP_2)
	v_dual_mov_b32 v127, v121 :: v_dual_mov_b32 v121, v122
	v_pk_fma_f32 v[124:125], v[122:123], v[84:85], v[124:125] op_sel_hi:[1,1,0] neg_lo:[0,0,1] neg_hi:[0,0,1]
	v_mul_f32_e32 v122, v123, v110
	s_delay_alu instid0(VALU_DEP_3) | instskip(NEXT) | instid1(VALU_DEP_2)
	v_pk_add_f32 v[24:25], v[24:25], v[126:127] neg_lo:[0,1] neg_hi:[0,1]
	v_pk_fma_f32 v[120:121], v[120:121], v[84:85], v[122:123] op_sel_hi:[1,1,0]
	s_delay_alu instid0(VALU_DEP_1) | instskip(SKIP_4) | instid1(VALU_DEP_1)
	v_mov_b32_e32 v125, v121
	ds_load_2addr_b64 v[120:123], v114 offset0:21 offset1:22
	v_pk_add_f32 v[74:75], v[74:75], v[124:125] neg_lo:[0,1] neg_hi:[0,1]
	s_wait_dscnt 0x0
	v_pk_mul_f32 v[124:125], v[120:121], v[112:113] op_sel:[0,1]
	v_pk_fma_f32 v[126:127], v[120:121], v[110:111], v[124:125] op_sel:[0,0,1] op_sel_hi:[1,1,0] neg_lo:[0,0,1] neg_hi:[0,0,1]
	v_pk_fma_f32 v[120:121], v[120:121], v[110:111], v[124:125] op_sel:[0,0,1] op_sel_hi:[1,0,0]
	s_delay_alu instid0(VALU_DEP_1) | instskip(SKIP_1) | instid1(VALU_DEP_1)
	v_mov_b32_e32 v127, v121
	v_pk_mul_f32 v[120:121], v[122:123], v[112:113] op_sel:[0,1]
	v_pk_fma_f32 v[124:125], v[122:123], v[110:111], v[120:121] op_sel:[0,0,1] op_sel_hi:[1,1,0] neg_lo:[0,0,1] neg_hi:[0,0,1]
	v_pk_fma_f32 v[120:121], v[122:123], v[110:111], v[120:121] op_sel:[0,0,1] op_sel_hi:[1,0,0]
	s_delay_alu instid0(VALU_DEP_1)
	v_mov_b32_e32 v125, v121
	ds_load_2addr_b64 v[120:123], v114 offset0:23 offset1:24
	v_pk_add_f32 v[70:71], v[70:71], v[126:127] neg_lo:[0,1] neg_hi:[0,1]
	v_pk_add_f32 v[72:73], v[72:73], v[124:125] neg_lo:[0,1] neg_hi:[0,1]
	s_wait_dscnt 0x0
	v_pk_mul_f32 v[124:125], v[120:121], v[112:113] op_sel:[0,1]
	s_delay_alu instid0(VALU_DEP_1) | instskip(SKIP_1) | instid1(VALU_DEP_1)
	v_pk_fma_f32 v[126:127], v[120:121], v[110:111], v[124:125] op_sel:[0,0,1] op_sel_hi:[1,1,0] neg_lo:[0,0,1] neg_hi:[0,0,1]
	v_pk_fma_f32 v[120:121], v[120:121], v[110:111], v[124:125] op_sel:[0,0,1] op_sel_hi:[1,0,0]
	v_mov_b32_e32 v127, v121
	v_pk_mul_f32 v[120:121], v[122:123], v[112:113] op_sel:[0,1]
	s_delay_alu instid0(VALU_DEP_1) | instskip(SKIP_1) | instid1(VALU_DEP_1)
	v_pk_fma_f32 v[124:125], v[122:123], v[110:111], v[120:121] op_sel:[0,0,1] op_sel_hi:[1,1,0] neg_lo:[0,0,1] neg_hi:[0,0,1]
	v_pk_fma_f32 v[120:121], v[122:123], v[110:111], v[120:121] op_sel:[0,0,1] op_sel_hi:[1,0,0]
	v_mov_b32_e32 v125, v121
	ds_load_2addr_b64 v[120:123], v114 offset0:25 offset1:26
	v_pk_add_f32 v[22:23], v[22:23], v[126:127] neg_lo:[0,1] neg_hi:[0,1]
	v_pk_add_f32 v[68:69], v[68:69], v[124:125] neg_lo:[0,1] neg_hi:[0,1]
	s_wait_dscnt 0x0
	v_dual_mul_f32 v124, v121, v113 :: v_dual_mul_f32 v126, v121, v110
	s_delay_alu instid0(VALU_DEP_1) | instskip(NEXT) | instid1(VALU_DEP_2)
	v_pk_fma_f32 v[124:125], v[120:121], v[84:85], v[124:125] op_sel_hi:[1,1,0] neg_lo:[0,0,1] neg_hi:[0,0,1]
	v_pk_fma_f32 v[120:121], v[120:121], v[84:85], v[126:127] op_sel:[1,0,0] op_sel_hi:[0,1,0]
	s_delay_alu instid0(VALU_DEP_1) | instskip(SKIP_1) | instid1(VALU_DEP_2)
	v_mov_b32_e32 v125, v121
	v_pk_mul_f32 v[120:121], v[122:123], v[112:113] op_sel:[0,1]
	v_pk_add_f32 v[64:65], v[64:65], v[124:125] neg_lo:[0,1] neg_hi:[0,1]
	s_delay_alu instid0(VALU_DEP_2) | instskip(SKIP_1) | instid1(VALU_DEP_1)
	v_pk_fma_f32 v[124:125], v[122:123], v[110:111], v[120:121] op_sel:[0,0,1] op_sel_hi:[1,1,0] neg_lo:[0,0,1] neg_hi:[0,0,1]
	v_pk_fma_f32 v[120:121], v[122:123], v[110:111], v[120:121] op_sel:[0,0,1] op_sel_hi:[1,0,0]
	v_mov_b32_e32 v125, v121
	ds_load_2addr_b64 v[120:123], v114 offset0:27 offset1:28
	v_pk_add_f32 v[66:67], v[66:67], v[124:125] neg_lo:[0,1] neg_hi:[0,1]
	s_wait_dscnt 0x0
	v_pk_mul_f32 v[124:125], v[120:121], v[112:113] op_sel:[0,1]
	s_delay_alu instid0(VALU_DEP_1) | instskip(SKIP_1) | instid1(VALU_DEP_1)
	v_pk_fma_f32 v[126:127], v[120:121], v[110:111], v[124:125] op_sel:[0,0,1] op_sel_hi:[1,1,0] neg_lo:[0,0,1] neg_hi:[0,0,1]
	v_pk_fma_f32 v[120:121], v[120:121], v[110:111], v[124:125] op_sel:[0,0,1] op_sel_hi:[1,0,0]
	v_mov_b32_e32 v127, v121
	v_pk_mul_f32 v[120:121], v[122:123], v[112:113] op_sel:[0,1]
	s_delay_alu instid0(VALU_DEP_2) | instskip(NEXT) | instid1(VALU_DEP_2)
	v_pk_add_f32 v[20:21], v[20:21], v[126:127] neg_lo:[0,1] neg_hi:[0,1]
	v_pk_fma_f32 v[124:125], v[122:123], v[110:111], v[120:121] op_sel:[0,0,1] op_sel_hi:[1,1,0] neg_lo:[0,0,1] neg_hi:[0,0,1]
	v_pk_fma_f32 v[120:121], v[122:123], v[110:111], v[120:121] op_sel:[0,0,1] op_sel_hi:[1,0,0]
	s_delay_alu instid0(VALU_DEP_1) | instskip(SKIP_4) | instid1(VALU_DEP_1)
	v_mov_b32_e32 v125, v121
	ds_load_2addr_b64 v[120:123], v114 offset0:29 offset1:30
	v_pk_add_f32 v[62:63], v[62:63], v[124:125] neg_lo:[0,1] neg_hi:[0,1]
	s_wait_dscnt 0x0
	v_pk_mul_f32 v[124:125], v[120:121], v[112:113] op_sel:[0,1]
	v_pk_fma_f32 v[126:127], v[120:121], v[110:111], v[124:125] op_sel:[0,0,1] op_sel_hi:[1,1,0] neg_lo:[0,0,1] neg_hi:[0,0,1]
	v_pk_fma_f32 v[120:121], v[120:121], v[110:111], v[124:125] op_sel:[0,0,1] op_sel_hi:[1,0,0]
	v_dual_mul_f32 v124, v123, v113 :: v_dual_mov_b32 v120, v123
	s_delay_alu instid0(VALU_DEP_2) | instskip(NEXT) | instid1(VALU_DEP_2)
	v_dual_mov_b32 v127, v121 :: v_dual_mov_b32 v121, v122
	v_pk_fma_f32 v[124:125], v[122:123], v[84:85], v[124:125] op_sel_hi:[1,1,0] neg_lo:[0,0,1] neg_hi:[0,0,1]
	v_mul_f32_e32 v122, v123, v110
	s_delay_alu instid0(VALU_DEP_3) | instskip(NEXT) | instid1(VALU_DEP_2)
	v_pk_add_f32 v[58:59], v[58:59], v[126:127] neg_lo:[0,1] neg_hi:[0,1]
	v_pk_fma_f32 v[120:121], v[120:121], v[84:85], v[122:123] op_sel_hi:[1,1,0]
	s_delay_alu instid0(VALU_DEP_1) | instskip(SKIP_4) | instid1(VALU_DEP_1)
	v_mov_b32_e32 v125, v121
	ds_load_2addr_b64 v[120:123], v114 offset0:31 offset1:32
	v_pk_add_f32 v[60:61], v[60:61], v[124:125] neg_lo:[0,1] neg_hi:[0,1]
	s_wait_dscnt 0x0
	v_pk_mul_f32 v[124:125], v[120:121], v[112:113] op_sel:[0,1]
	v_pk_fma_f32 v[126:127], v[120:121], v[110:111], v[124:125] op_sel:[0,0,1] op_sel_hi:[1,1,0] neg_lo:[0,0,1] neg_hi:[0,0,1]
	v_pk_fma_f32 v[120:121], v[120:121], v[110:111], v[124:125] op_sel:[0,0,1] op_sel_hi:[1,0,0]
	s_delay_alu instid0(VALU_DEP_1) | instskip(SKIP_1) | instid1(VALU_DEP_1)
	v_mov_b32_e32 v127, v121
	v_pk_mul_f32 v[120:121], v[122:123], v[112:113] op_sel:[0,1]
	v_pk_fma_f32 v[124:125], v[122:123], v[110:111], v[120:121] op_sel:[0,0,1] op_sel_hi:[1,1,0] neg_lo:[0,0,1] neg_hi:[0,0,1]
	v_pk_fma_f32 v[120:121], v[122:123], v[110:111], v[120:121] op_sel:[0,0,1] op_sel_hi:[1,0,0]
	s_delay_alu instid0(VALU_DEP_1)
	v_mov_b32_e32 v125, v121
	ds_load_2addr_b64 v[120:123], v114 offset0:33 offset1:34
	v_pk_add_f32 v[18:19], v[18:19], v[126:127] neg_lo:[0,1] neg_hi:[0,1]
	v_pk_add_f32 v[56:57], v[56:57], v[124:125] neg_lo:[0,1] neg_hi:[0,1]
	s_wait_dscnt 0x0
	v_pk_mul_f32 v[124:125], v[120:121], v[112:113] op_sel:[0,1]
	s_delay_alu instid0(VALU_DEP_1) | instskip(SKIP_1) | instid1(VALU_DEP_1)
	v_pk_fma_f32 v[126:127], v[120:121], v[110:111], v[124:125] op_sel:[0,0,1] op_sel_hi:[1,1,0] neg_lo:[0,0,1] neg_hi:[0,0,1]
	v_pk_fma_f32 v[120:121], v[120:121], v[110:111], v[124:125] op_sel:[0,0,1] op_sel_hi:[1,0,0]
	v_mov_b32_e32 v127, v121
	v_pk_mul_f32 v[120:121], v[122:123], v[112:113] op_sel:[0,1]
	s_delay_alu instid0(VALU_DEP_1) | instskip(SKIP_1) | instid1(VALU_DEP_1)
	v_pk_fma_f32 v[124:125], v[122:123], v[110:111], v[120:121] op_sel:[0,0,1] op_sel_hi:[1,1,0] neg_lo:[0,0,1] neg_hi:[0,0,1]
	v_pk_fma_f32 v[120:121], v[122:123], v[110:111], v[120:121] op_sel:[0,0,1] op_sel_hi:[1,0,0]
	v_mov_b32_e32 v125, v121
	ds_load_2addr_b64 v[120:123], v114 offset0:35 offset1:36
	v_pk_add_f32 v[52:53], v[52:53], v[126:127] neg_lo:[0,1] neg_hi:[0,1]
	v_pk_add_f32 v[54:55], v[54:55], v[124:125] neg_lo:[0,1] neg_hi:[0,1]
	s_wait_dscnt 0x0
	v_dual_mul_f32 v124, v121, v113 :: v_dual_mul_f32 v126, v121, v110
	s_delay_alu instid0(VALU_DEP_1) | instskip(NEXT) | instid1(VALU_DEP_2)
	v_pk_fma_f32 v[124:125], v[120:121], v[84:85], v[124:125] op_sel_hi:[1,1,0] neg_lo:[0,0,1] neg_hi:[0,0,1]
	v_pk_fma_f32 v[120:121], v[120:121], v[84:85], v[126:127] op_sel:[1,0,0] op_sel_hi:[0,1,0]
	s_delay_alu instid0(VALU_DEP_1) | instskip(SKIP_1) | instid1(VALU_DEP_2)
	v_mov_b32_e32 v125, v121
	v_pk_mul_f32 v[120:121], v[122:123], v[112:113] op_sel:[0,1]
	v_pk_add_f32 v[12:13], v[12:13], v[124:125] neg_lo:[0,1] neg_hi:[0,1]
	s_delay_alu instid0(VALU_DEP_2) | instskip(SKIP_1) | instid1(VALU_DEP_1)
	v_pk_fma_f32 v[124:125], v[122:123], v[110:111], v[120:121] op_sel:[0,0,1] op_sel_hi:[1,1,0] neg_lo:[0,0,1] neg_hi:[0,0,1]
	v_pk_fma_f32 v[120:121], v[122:123], v[110:111], v[120:121] op_sel:[0,0,1] op_sel_hi:[1,0,0]
	v_mov_b32_e32 v125, v121
	ds_load_2addr_b64 v[120:123], v114 offset0:37 offset1:38
	v_pk_add_f32 v[50:51], v[50:51], v[124:125] neg_lo:[0,1] neg_hi:[0,1]
	s_wait_dscnt 0x0
	v_pk_mul_f32 v[124:125], v[120:121], v[112:113] op_sel:[0,1]
	s_delay_alu instid0(VALU_DEP_1) | instskip(SKIP_1) | instid1(VALU_DEP_1)
	v_pk_fma_f32 v[126:127], v[120:121], v[110:111], v[124:125] op_sel:[0,0,1] op_sel_hi:[1,1,0] neg_lo:[0,0,1] neg_hi:[0,0,1]
	v_pk_fma_f32 v[120:121], v[120:121], v[110:111], v[124:125] op_sel:[0,0,1] op_sel_hi:[1,0,0]
	v_mov_b32_e32 v127, v121
	v_pk_mul_f32 v[120:121], v[122:123], v[112:113] op_sel:[0,1]
	s_delay_alu instid0(VALU_DEP_2) | instskip(NEXT) | instid1(VALU_DEP_2)
	v_pk_add_f32 v[46:47], v[46:47], v[126:127] neg_lo:[0,1] neg_hi:[0,1]
	v_pk_fma_f32 v[124:125], v[122:123], v[110:111], v[120:121] op_sel:[0,0,1] op_sel_hi:[1,1,0] neg_lo:[0,0,1] neg_hi:[0,0,1]
	v_pk_fma_f32 v[120:121], v[122:123], v[110:111], v[120:121] op_sel:[0,0,1] op_sel_hi:[1,0,0]
	s_delay_alu instid0(VALU_DEP_1) | instskip(SKIP_4) | instid1(VALU_DEP_1)
	v_mov_b32_e32 v125, v121
	ds_load_2addr_b64 v[120:123], v114 offset0:39 offset1:40
	v_pk_add_f32 v[48:49], v[48:49], v[124:125] neg_lo:[0,1] neg_hi:[0,1]
	s_wait_dscnt 0x0
	v_pk_mul_f32 v[124:125], v[120:121], v[112:113] op_sel:[0,1]
	v_pk_fma_f32 v[126:127], v[120:121], v[110:111], v[124:125] op_sel:[0,0,1] op_sel_hi:[1,1,0] neg_lo:[0,0,1] neg_hi:[0,0,1]
	v_pk_fma_f32 v[120:121], v[120:121], v[110:111], v[124:125] op_sel:[0,0,1] op_sel_hi:[1,0,0]
	v_dual_mul_f32 v124, v123, v113 :: v_dual_mov_b32 v120, v123
	s_delay_alu instid0(VALU_DEP_2) | instskip(NEXT) | instid1(VALU_DEP_2)
	v_dual_mov_b32 v127, v121 :: v_dual_mov_b32 v121, v122
	v_pk_fma_f32 v[124:125], v[122:123], v[84:85], v[124:125] op_sel_hi:[1,1,0] neg_lo:[0,0,1] neg_hi:[0,0,1]
	v_mul_f32_e32 v122, v123, v110
	s_delay_alu instid0(VALU_DEP_3) | instskip(NEXT) | instid1(VALU_DEP_2)
	v_pk_add_f32 v[10:11], v[10:11], v[126:127] neg_lo:[0,1] neg_hi:[0,1]
	v_pk_fma_f32 v[120:121], v[120:121], v[84:85], v[122:123] op_sel_hi:[1,1,0]
	s_delay_alu instid0(VALU_DEP_1) | instskip(SKIP_4) | instid1(VALU_DEP_1)
	v_mov_b32_e32 v125, v121
	ds_load_2addr_b64 v[120:123], v114 offset0:41 offset1:42
	v_pk_add_f32 v[44:45], v[44:45], v[124:125] neg_lo:[0,1] neg_hi:[0,1]
	s_wait_dscnt 0x0
	v_pk_mul_f32 v[124:125], v[120:121], v[112:113] op_sel:[0,1]
	v_pk_fma_f32 v[126:127], v[120:121], v[110:111], v[124:125] op_sel:[0,0,1] op_sel_hi:[1,1,0] neg_lo:[0,0,1] neg_hi:[0,0,1]
	v_pk_fma_f32 v[120:121], v[120:121], v[110:111], v[124:125] op_sel:[0,0,1] op_sel_hi:[1,0,0]
	s_delay_alu instid0(VALU_DEP_1) | instskip(SKIP_1) | instid1(VALU_DEP_1)
	v_mov_b32_e32 v127, v121
	v_pk_mul_f32 v[120:121], v[122:123], v[112:113] op_sel:[0,1]
	v_pk_fma_f32 v[124:125], v[122:123], v[110:111], v[120:121] op_sel:[0,0,1] op_sel_hi:[1,1,0] neg_lo:[0,0,1] neg_hi:[0,0,1]
	v_pk_fma_f32 v[120:121], v[122:123], v[110:111], v[120:121] op_sel:[0,0,1] op_sel_hi:[1,0,0]
	s_delay_alu instid0(VALU_DEP_1)
	v_mov_b32_e32 v125, v121
	ds_load_2addr_b64 v[120:123], v114 offset0:43 offset1:44
	v_pk_add_f32 v[40:41], v[40:41], v[126:127] neg_lo:[0,1] neg_hi:[0,1]
	v_pk_add_f32 v[42:43], v[42:43], v[124:125] neg_lo:[0,1] neg_hi:[0,1]
	s_wait_dscnt 0x0
	v_pk_mul_f32 v[124:125], v[120:121], v[112:113] op_sel:[0,1]
	s_delay_alu instid0(VALU_DEP_1) | instskip(SKIP_1) | instid1(VALU_DEP_1)
	v_pk_fma_f32 v[126:127], v[120:121], v[110:111], v[124:125] op_sel:[0,0,1] op_sel_hi:[1,1,0] neg_lo:[0,0,1] neg_hi:[0,0,1]
	v_pk_fma_f32 v[120:121], v[120:121], v[110:111], v[124:125] op_sel:[0,0,1] op_sel_hi:[1,0,0]
	v_mov_b32_e32 v127, v121
	v_pk_mul_f32 v[120:121], v[122:123], v[112:113] op_sel:[0,1]
	s_delay_alu instid0(VALU_DEP_1) | instskip(SKIP_1) | instid1(VALU_DEP_1)
	v_pk_fma_f32 v[124:125], v[122:123], v[110:111], v[120:121] op_sel:[0,0,1] op_sel_hi:[1,1,0] neg_lo:[0,0,1] neg_hi:[0,0,1]
	v_pk_fma_f32 v[120:121], v[122:123], v[110:111], v[120:121] op_sel:[0,0,1] op_sel_hi:[1,0,0]
	v_mov_b32_e32 v125, v121
	ds_load_2addr_b64 v[120:123], v114 offset0:45 offset1:46
	v_pk_add_f32 v[6:7], v[6:7], v[126:127] neg_lo:[0,1] neg_hi:[0,1]
	v_pk_add_f32 v[36:37], v[36:37], v[124:125] neg_lo:[0,1] neg_hi:[0,1]
	s_wait_dscnt 0x0
	v_dual_mul_f32 v124, v121, v113 :: v_dual_mul_f32 v126, v121, v110
	s_delay_alu instid0(VALU_DEP_1) | instskip(NEXT) | instid1(VALU_DEP_2)
	v_pk_fma_f32 v[124:125], v[120:121], v[84:85], v[124:125] op_sel_hi:[1,1,0] neg_lo:[0,0,1] neg_hi:[0,0,1]
	v_pk_fma_f32 v[120:121], v[120:121], v[84:85], v[126:127] op_sel:[1,0,0] op_sel_hi:[0,1,0]
	s_delay_alu instid0(VALU_DEP_1) | instskip(SKIP_1) | instid1(VALU_DEP_2)
	v_mov_b32_e32 v125, v121
	v_pk_mul_f32 v[120:121], v[122:123], v[112:113] op_sel:[0,1]
	v_pk_add_f32 v[30:31], v[30:31], v[124:125] neg_lo:[0,1] neg_hi:[0,1]
	s_delay_alu instid0(VALU_DEP_2) | instskip(SKIP_1) | instid1(VALU_DEP_1)
	v_pk_fma_f32 v[124:125], v[122:123], v[110:111], v[120:121] op_sel:[0,0,1] op_sel_hi:[1,1,0] neg_lo:[0,0,1] neg_hi:[0,0,1]
	v_pk_fma_f32 v[120:121], v[122:123], v[110:111], v[120:121] op_sel:[0,0,1] op_sel_hi:[1,0,0]
	v_mov_b32_e32 v125, v121
	ds_load_2addr_b64 v[120:123], v114 offset0:47 offset1:48
	v_pk_add_f32 v[34:35], v[34:35], v[124:125] neg_lo:[0,1] neg_hi:[0,1]
	s_wait_dscnt 0x0
	v_pk_mul_f32 v[124:125], v[120:121], v[112:113] op_sel:[0,1]
	s_delay_alu instid0(VALU_DEP_1) | instskip(SKIP_1) | instid1(VALU_DEP_1)
	v_pk_fma_f32 v[126:127], v[120:121], v[110:111], v[124:125] op_sel:[0,0,1] op_sel_hi:[1,1,0] neg_lo:[0,0,1] neg_hi:[0,0,1]
	v_pk_fma_f32 v[120:121], v[120:121], v[110:111], v[124:125] op_sel:[0,0,1] op_sel_hi:[1,0,0]
	v_mov_b32_e32 v127, v121
	v_pk_mul_f32 v[120:121], v[122:123], v[112:113] op_sel:[0,1]
	s_delay_alu instid0(VALU_DEP_2) | instskip(NEXT) | instid1(VALU_DEP_2)
	v_pk_add_f32 v[8:9], v[8:9], v[126:127] neg_lo:[0,1] neg_hi:[0,1]
	v_pk_fma_f32 v[124:125], v[122:123], v[110:111], v[120:121] op_sel:[0,0,1] op_sel_hi:[1,1,0] neg_lo:[0,0,1] neg_hi:[0,0,1]
	v_pk_fma_f32 v[120:121], v[122:123], v[110:111], v[120:121] op_sel:[0,0,1] op_sel_hi:[1,0,0]
	s_delay_alu instid0(VALU_DEP_1) | instskip(SKIP_4) | instid1(VALU_DEP_1)
	v_mov_b32_e32 v125, v121
	ds_load_2addr_b64 v[120:123], v114 offset0:49 offset1:50
	v_pk_add_f32 v[28:29], v[28:29], v[124:125] neg_lo:[0,1] neg_hi:[0,1]
	s_wait_dscnt 0x0
	v_pk_mul_f32 v[124:125], v[120:121], v[112:113] op_sel:[0,1]
	v_pk_fma_f32 v[126:127], v[120:121], v[110:111], v[124:125] op_sel:[0,0,1] op_sel_hi:[1,1,0] neg_lo:[0,0,1] neg_hi:[0,0,1]
	v_pk_fma_f32 v[120:121], v[120:121], v[110:111], v[124:125] op_sel:[0,0,1] op_sel_hi:[1,0,0]
	v_dual_mul_f32 v124, v123, v113 :: v_dual_mov_b32 v120, v123
	s_delay_alu instid0(VALU_DEP_2) | instskip(NEXT) | instid1(VALU_DEP_2)
	v_dual_mov_b32 v127, v121 :: v_dual_mov_b32 v121, v122
	v_pk_fma_f32 v[124:125], v[122:123], v[84:85], v[124:125] op_sel_hi:[1,1,0] neg_lo:[0,0,1] neg_hi:[0,0,1]
	v_mul_f32_e32 v122, v123, v110
	s_delay_alu instid0(VALU_DEP_3) | instskip(NEXT) | instid1(VALU_DEP_2)
	v_pk_add_f32 v[16:17], v[16:17], v[126:127] neg_lo:[0,1] neg_hi:[0,1]
	v_pk_fma_f32 v[120:121], v[120:121], v[84:85], v[122:123] op_sel_hi:[1,1,0]
	s_delay_alu instid0(VALU_DEP_1) | instskip(SKIP_4) | instid1(VALU_DEP_1)
	v_mov_b32_e32 v125, v121
	ds_load_b64 v[120:121], v114 offset:408
	v_pk_add_f32 v[14:15], v[14:15], v[124:125] neg_lo:[0,1] neg_hi:[0,1]
	s_wait_dscnt 0x0
	v_pk_mul_f32 v[112:113], v[120:121], v[112:113] op_sel:[0,1]
	v_pk_fma_f32 v[122:123], v[120:121], v[110:111], v[112:113] op_sel:[0,0,1] op_sel_hi:[1,1,0] neg_lo:[0,0,1] neg_hi:[0,0,1]
	v_pk_fma_f32 v[110:111], v[120:121], v[110:111], v[112:113] op_sel:[0,0,1] op_sel_hi:[1,0,0]
	s_delay_alu instid0(VALU_DEP_1) | instskip(NEXT) | instid1(VALU_DEP_1)
	v_mov_b32_e32 v123, v111
	v_pk_add_f32 v[108:109], v[108:109], v[122:123] neg_lo:[0,1] neg_hi:[0,1]
.LBB102_146:
	s_or_b32 exec_lo, exec_lo, s0
	v_lshl_add_u32 v110, v118, 3, v114
	s_barrier_signal -1
	s_barrier_wait -1
	ds_store_b64 v110, v[26:27]
	s_wait_dscnt 0x0
	s_barrier_signal -1
	s_barrier_wait -1
	ds_load_b64 v[112:113], v114 offset:56
	v_mov_b32_e32 v110, 7
	s_cmp_lt_i32 s18, 9
	s_cbranch_scc1 .LBB102_149
; %bb.147:
	v_add3_u32 v111, v115, 0, 64
	v_mov_b32_e32 v110, 7
	s_mov_b32 s0, 8
.LBB102_148:                            ; =>This Inner Loop Header: Depth=1
	ds_load_b64 v[120:121], v111
	s_wait_dscnt 0x1
	v_cmp_gt_f32_e32 vcc_lo, 0, v112
	v_cndmask_b32_e64 v122, v112, -v112, vcc_lo
	v_cmp_gt_f32_e32 vcc_lo, 0, v113
	v_cndmask_b32_e64 v124, v113, -v113, vcc_lo
	s_wait_dscnt 0x0
	v_cmp_gt_f32_e32 vcc_lo, 0, v120
	v_cndmask_b32_e64 v123, v120, -v120, vcc_lo
	v_cmp_gt_f32_e32 vcc_lo, 0, v121
	v_cndmask_b32_e64 v125, v121, -v121, vcc_lo
	s_delay_alu instid0(VALU_DEP_1) | instskip(NEXT) | instid1(VALU_DEP_1)
	v_pk_add_f32 v[122:123], v[122:123], v[124:125]
	v_cmp_lt_f32_e32 vcc_lo, v122, v123
	v_dual_add_nc_u32 v111, 8, v111 :: v_dual_cndmask_b32 v113, v113, v121, vcc_lo
	v_cndmask_b32_e32 v112, v112, v120, vcc_lo
	v_cndmask_b32_e64 v110, v110, s0, vcc_lo
	s_add_co_i32 s0, s0, 1
	s_delay_alu instid0(SALU_CYCLE_1)
	s_cmp_lg_u32 s18, s0
	s_cbranch_scc1 .LBB102_148
.LBB102_149:
	s_wait_dscnt 0x0
	v_cmp_eq_f32_e32 vcc_lo, 0, v112
	v_cmp_eq_f32_e64 s0, 0, v113
	s_and_b32 s0, vcc_lo, s0
	s_delay_alu instid0(SALU_CYCLE_1) | instskip(NEXT) | instid1(SALU_CYCLE_1)
	s_and_saveexec_b32 s1, s0
	s_xor_b32 s0, exec_lo, s1
; %bb.150:
	v_cmp_ne_u32_e32 vcc_lo, 0, v116
	v_cndmask_b32_e32 v116, 8, v116, vcc_lo
; %bb.151:
	s_and_not1_saveexec_b32 s0, s0
	s_cbranch_execz .LBB102_157
; %bb.152:
	v_cmp_ngt_f32_e64 s1, |v112|, |v113|
	s_and_saveexec_b32 s12, s1
	s_delay_alu instid0(SALU_CYCLE_1)
	s_xor_b32 s1, exec_lo, s12
	s_cbranch_execz .LBB102_154
; %bb.153:
	v_div_scale_f32 v111, null, v113, v113, v112
	v_div_scale_f32 v121, vcc_lo, v112, v113, v112
	s_delay_alu instid0(VALU_DEP_2) | instskip(SKIP_1) | instid1(TRANS32_DEP_1)
	v_rcp_f32_e32 v119, v111
	v_nop
	v_fma_f32 v120, -v111, v119, 1.0
	s_delay_alu instid0(VALU_DEP_1) | instskip(NEXT) | instid1(VALU_DEP_1)
	v_fmac_f32_e32 v119, v120, v119
	v_mul_f32_e32 v120, v121, v119
	s_delay_alu instid0(VALU_DEP_1) | instskip(NEXT) | instid1(VALU_DEP_1)
	v_fma_f32 v122, -v111, v120, v121
	v_fmac_f32_e32 v120, v122, v119
	s_delay_alu instid0(VALU_DEP_1) | instskip(NEXT) | instid1(VALU_DEP_1)
	v_fma_f32 v111, -v111, v120, v121
	v_div_fmas_f32 v111, v111, v119, v120
	s_delay_alu instid0(VALU_DEP_1) | instskip(NEXT) | instid1(VALU_DEP_1)
	v_div_fixup_f32 v111, v111, v113, v112
	v_fmac_f32_e32 v113, v112, v111
	s_delay_alu instid0(VALU_DEP_1) | instskip(SKIP_1) | instid1(VALU_DEP_2)
	v_div_scale_f32 v112, null, v113, v113, 1.0
	v_div_scale_f32 v121, vcc_lo, 1.0, v113, 1.0
	v_rcp_f32_e32 v119, v112
	v_nop
	s_delay_alu instid0(TRANS32_DEP_1) | instskip(NEXT) | instid1(VALU_DEP_1)
	v_fma_f32 v120, -v112, v119, 1.0
	v_fmac_f32_e32 v119, v120, v119
	s_delay_alu instid0(VALU_DEP_1) | instskip(NEXT) | instid1(VALU_DEP_1)
	v_mul_f32_e32 v120, v121, v119
	v_fma_f32 v122, -v112, v120, v121
	s_delay_alu instid0(VALU_DEP_1) | instskip(NEXT) | instid1(VALU_DEP_1)
	v_fmac_f32_e32 v120, v122, v119
	v_fma_f32 v112, -v112, v120, v121
	s_delay_alu instid0(VALU_DEP_1) | instskip(NEXT) | instid1(VALU_DEP_1)
	v_div_fmas_f32 v112, v112, v119, v120
	v_div_fixup_f32 v113, v112, v113, 1.0
	s_delay_alu instid0(VALU_DEP_1)
	v_mul_f32_e32 v112, v111, v113
	v_xor_b32_e32 v113, 0x80000000, v113
.LBB102_154:
	s_and_not1_saveexec_b32 s1, s1
	s_cbranch_execz .LBB102_156
; %bb.155:
	s_delay_alu instid0(VALU_DEP_1) | instskip(SKIP_1) | instid1(VALU_DEP_2)
	v_div_scale_f32 v111, null, v112, v112, v113
	v_div_scale_f32 v121, vcc_lo, v113, v112, v113
	v_rcp_f32_e32 v119, v111
	v_nop
	s_delay_alu instid0(TRANS32_DEP_1) | instskip(NEXT) | instid1(VALU_DEP_1)
	v_fma_f32 v120, -v111, v119, 1.0
	v_fmac_f32_e32 v119, v120, v119
	s_delay_alu instid0(VALU_DEP_1) | instskip(NEXT) | instid1(VALU_DEP_1)
	v_mul_f32_e32 v120, v121, v119
	v_fma_f32 v122, -v111, v120, v121
	s_delay_alu instid0(VALU_DEP_1) | instskip(NEXT) | instid1(VALU_DEP_1)
	v_fmac_f32_e32 v120, v122, v119
	v_fma_f32 v111, -v111, v120, v121
	s_delay_alu instid0(VALU_DEP_1) | instskip(NEXT) | instid1(VALU_DEP_1)
	v_div_fmas_f32 v111, v111, v119, v120
	v_div_fixup_f32 v111, v111, v112, v113
	s_delay_alu instid0(VALU_DEP_1) | instskip(NEXT) | instid1(VALU_DEP_1)
	v_fmac_f32_e32 v112, v113, v111
	v_div_scale_f32 v113, null, v112, v112, 1.0
	s_delay_alu instid0(VALU_DEP_1) | instskip(SKIP_1) | instid1(TRANS32_DEP_1)
	v_rcp_f32_e32 v119, v113
	v_nop
	v_fma_f32 v120, -v113, v119, 1.0
	s_delay_alu instid0(VALU_DEP_1) | instskip(SKIP_1) | instid1(VALU_DEP_1)
	v_fmac_f32_e32 v119, v120, v119
	v_div_scale_f32 v120, vcc_lo, 1.0, v112, 1.0
	v_mul_f32_e32 v121, v120, v119
	s_delay_alu instid0(VALU_DEP_1) | instskip(NEXT) | instid1(VALU_DEP_1)
	v_fma_f32 v122, -v113, v121, v120
	v_fmac_f32_e32 v121, v122, v119
	s_delay_alu instid0(VALU_DEP_1) | instskip(NEXT) | instid1(VALU_DEP_1)
	v_fma_f32 v113, -v113, v121, v120
	v_div_fmas_f32 v113, v113, v119, v121
	s_delay_alu instid0(VALU_DEP_1) | instskip(NEXT) | instid1(VALU_DEP_1)
	v_div_fixup_f32 v112, v113, v112, 1.0
	v_mul_f32_e64 v113, v111, -v112
.LBB102_156:
	s_or_b32 exec_lo, exec_lo, s1
.LBB102_157:
	s_delay_alu instid0(SALU_CYCLE_1) | instskip(NEXT) | instid1(SALU_CYCLE_1)
	s_or_b32 exec_lo, exec_lo, s0
	s_mov_b32 s0, exec_lo
	v_cmpx_ne_u32_e64 v118, v110
	s_xor_b32 s0, exec_lo, s0
	s_cbranch_execz .LBB102_163
; %bb.158:
	s_mov_b32 s1, exec_lo
	v_cmpx_eq_u32_e32 7, v118
	s_cbranch_execz .LBB102_162
; %bb.159:
	v_cmp_ne_u32_e32 vcc_lo, 7, v110
	s_xor_b32 s12, s16, -1
	s_delay_alu instid0(SALU_CYCLE_1) | instskip(NEXT) | instid1(SALU_CYCLE_1)
	s_and_b32 s13, s12, vcc_lo
	s_and_saveexec_b32 s12, s13
	s_cbranch_execz .LBB102_161
; %bb.160:
	v_ashrrev_i32_e32 v111, 31, v110
	s_delay_alu instid0(VALU_DEP_1)
	v_lshl_add_u64 v[118:119], v[110:111], 2, v[4:5]
	s_clause 0x1
	global_load_b32 v111, v[118:119], off
	global_load_b32 v117, v[4:5], off offset:28
	s_wait_loadcnt 0x1
	global_store_b32 v[4:5], v111, off offset:28
	s_wait_loadcnt 0x0
	global_store_b32 v[118:119], v117, off
.LBB102_161:
	s_wait_xcnt 0x0
	s_or_b32 exec_lo, exec_lo, s12
	v_dual_mov_b32 v118, v110 :: v_dual_mov_b32 v117, v110
.LBB102_162:
	s_or_b32 exec_lo, exec_lo, s1
.LBB102_163:
	s_and_not1_saveexec_b32 s0, s0
	s_cbranch_execz .LBB102_165
; %bb.164:
	v_dual_mov_b32 v110, v98 :: v_dual_mov_b32 v111, v99
	v_dual_mov_b32 v118, v94 :: v_dual_mov_b32 v119, v95
	v_dual_mov_b32 v120, v96 :: v_dual_mov_b32 v121, v97
	v_dual_mov_b32 v122, v38 :: v_dual_mov_b32 v123, v39
	v_dual_mov_b32 v124, v92 :: v_dual_mov_b32 v125, v93
	v_dual_mov_b32 v126, v88 :: v_dual_mov_b32 v127, v89
	v_dual_mov_b32 v128, v90 :: v_dual_mov_b32 v129, v91
	v_dual_mov_b32 v130, v32 :: v_dual_mov_b32 v131, v33
	v_dual_mov_b32 v132, v80 :: v_dual_mov_b32 v133, v81
	v_dual_mov_b32 v134, v76 :: v_dual_mov_b32 v135, v77
	v_dual_mov_b32 v136, v78 :: v_dual_mov_b32 v137, v79
	v_dual_mov_b32 v138, v24 :: v_dual_mov_b32 v139, v25
	ds_store_2addr_b64 v114, v[110:111], v[118:119] offset0:8 offset1:9
	ds_store_2addr_b64 v114, v[120:121], v[122:123] offset0:10 offset1:11
	ds_store_2addr_b64 v114, v[124:125], v[126:127] offset0:12 offset1:13
	ds_store_2addr_b64 v114, v[128:129], v[130:131] offset0:14 offset1:15
	ds_store_2addr_b64 v114, v[132:133], v[134:135] offset0:16 offset1:17
	ds_store_2addr_b64 v114, v[136:137], v[138:139] offset0:18 offset1:19
	v_dual_mov_b32 v110, v74 :: v_dual_mov_b32 v111, v75
	v_dual_mov_b32 v118, v70 :: v_dual_mov_b32 v119, v71
	v_dual_mov_b32 v120, v72 :: v_dual_mov_b32 v121, v73
	v_dual_mov_b32 v122, v22 :: v_dual_mov_b32 v123, v23
	v_dual_mov_b32 v124, v68 :: v_dual_mov_b32 v125, v69
	v_dual_mov_b32 v126, v64 :: v_dual_mov_b32 v127, v65
	v_dual_mov_b32 v128, v66 :: v_dual_mov_b32 v129, v67
	v_dual_mov_b32 v130, v20 :: v_dual_mov_b32 v131, v21
	v_dual_mov_b32 v132, v62 :: v_dual_mov_b32 v133, v63
	v_dual_mov_b32 v134, v58 :: v_dual_mov_b32 v135, v59
	v_dual_mov_b32 v136, v60 :: v_dual_mov_b32 v137, v61
	v_dual_mov_b32 v138, v18 :: v_dual_mov_b32 v139, v19
	ds_store_2addr_b64 v114, v[110:111], v[118:119] offset0:20 offset1:21
	ds_store_2addr_b64 v114, v[120:121], v[122:123] offset0:22 offset1:23
	ds_store_2addr_b64 v114, v[124:125], v[126:127] offset0:24 offset1:25
	ds_store_2addr_b64 v114, v[128:129], v[130:131] offset0:26 offset1:27
	ds_store_2addr_b64 v114, v[132:133], v[134:135] offset0:28 offset1:29
	ds_store_2addr_b64 v114, v[136:137], v[138:139] offset0:30 offset1:31
	;; [unrolled: 18-line block ×3, first 2 shown]
	v_dual_mov_b32 v110, v36 :: v_dual_mov_b32 v111, v37
	v_dual_mov_b32 v120, v30 :: v_dual_mov_b32 v121, v31
	;; [unrolled: 1-line block ×7, first 2 shown]
	v_mov_b32_e32 v131, v15
	ds_store_2addr_b64 v114, v[110:111], v[120:121] offset0:44 offset1:45
	ds_store_2addr_b64 v114, v[122:123], v[124:125] offset0:46 offset1:47
	;; [unrolled: 1-line block ×4, first 2 shown]
.LBB102_165:
	s_or_b32 exec_lo, exec_lo, s0
	s_delay_alu instid0(SALU_CYCLE_1)
	s_mov_b32 s0, exec_lo
	s_wait_storecnt_dscnt 0x0
	s_barrier_signal -1
	s_barrier_wait -1
	v_cmpx_lt_i32_e32 7, v118
	s_cbranch_execz .LBB102_167
; %bb.166:
	v_pk_mul_f32 v[120:121], v[112:113], v[26:27] op_sel:[1,1] op_sel_hi:[0,1]
	s_delay_alu instid0(VALU_DEP_1)
	v_pk_fma_f32 v[110:111], v[112:113], v[26:27], v[120:121] op_sel_hi:[1,0,1] neg_lo:[0,0,1] neg_hi:[0,0,1]
	v_pk_fma_f32 v[112:113], v[112:113], v[26:27], v[120:121] op_sel_hi:[1,0,1]
	ds_load_2addr_b64 v[120:123], v114 offset0:8 offset1:9
	v_dual_mov_b32 v26, v110 :: v_dual_mov_b32 v27, v113
	s_wait_dscnt 0x0
	v_pk_mul_f32 v[124:125], v[120:121], v[112:113] op_sel:[0,1]
	s_delay_alu instid0(VALU_DEP_1) | instskip(SKIP_1) | instid1(VALU_DEP_1)
	v_pk_fma_f32 v[126:127], v[120:121], v[110:111], v[124:125] op_sel:[0,0,1] op_sel_hi:[1,1,0] neg_lo:[0,0,1] neg_hi:[0,0,1]
	v_pk_fma_f32 v[120:121], v[120:121], v[110:111], v[124:125] op_sel:[0,0,1] op_sel_hi:[1,0,0]
	v_mov_b32_e32 v127, v121
	v_pk_mul_f32 v[120:121], v[122:123], v[112:113] op_sel:[0,1]
	s_delay_alu instid0(VALU_DEP_1) | instskip(SKIP_1) | instid1(VALU_DEP_1)
	v_pk_fma_f32 v[124:125], v[122:123], v[110:111], v[120:121] op_sel:[0,0,1] op_sel_hi:[1,1,0] neg_lo:[0,0,1] neg_hi:[0,0,1]
	v_pk_fma_f32 v[120:121], v[122:123], v[110:111], v[120:121] op_sel:[0,0,1] op_sel_hi:[1,0,0]
	v_mov_b32_e32 v125, v121
	ds_load_2addr_b64 v[120:123], v114 offset0:10 offset1:11
	v_pk_add_f32 v[98:99], v[98:99], v[126:127] neg_lo:[0,1] neg_hi:[0,1]
	v_pk_add_f32 v[94:95], v[94:95], v[124:125] neg_lo:[0,1] neg_hi:[0,1]
	s_wait_dscnt 0x0
	v_pk_mul_f32 v[124:125], v[120:121], v[112:113] op_sel:[0,1]
	s_delay_alu instid0(VALU_DEP_1) | instskip(SKIP_2) | instid1(VALU_DEP_2)
	v_pk_fma_f32 v[126:127], v[120:121], v[110:111], v[124:125] op_sel:[0,0,1] op_sel_hi:[1,1,0] neg_lo:[0,0,1] neg_hi:[0,0,1]
	v_pk_fma_f32 v[120:121], v[120:121], v[110:111], v[124:125] op_sel:[0,0,1] op_sel_hi:[1,0,0]
	v_dual_mul_f32 v124, v123, v113 :: v_dual_mov_b32 v120, v123
	v_dual_mov_b32 v127, v121 :: v_dual_mov_b32 v121, v122
	s_delay_alu instid0(VALU_DEP_2) | instskip(SKIP_1) | instid1(VALU_DEP_3)
	v_pk_fma_f32 v[124:125], v[122:123], v[26:27], v[124:125] op_sel_hi:[1,1,0] neg_lo:[0,0,1] neg_hi:[0,0,1]
	v_mul_f32_e32 v122, v123, v110
	v_pk_add_f32 v[96:97], v[96:97], v[126:127] neg_lo:[0,1] neg_hi:[0,1]
	s_delay_alu instid0(VALU_DEP_2) | instskip(NEXT) | instid1(VALU_DEP_1)
	v_pk_fma_f32 v[120:121], v[120:121], v[26:27], v[122:123] op_sel_hi:[1,1,0]
	v_mov_b32_e32 v125, v121
	ds_load_2addr_b64 v[120:123], v114 offset0:12 offset1:13
	v_pk_add_f32 v[38:39], v[38:39], v[124:125] neg_lo:[0,1] neg_hi:[0,1]
	s_wait_dscnt 0x0
	v_pk_mul_f32 v[124:125], v[120:121], v[112:113] op_sel:[0,1]
	s_delay_alu instid0(VALU_DEP_1) | instskip(SKIP_1) | instid1(VALU_DEP_1)
	v_pk_fma_f32 v[126:127], v[120:121], v[110:111], v[124:125] op_sel:[0,0,1] op_sel_hi:[1,1,0] neg_lo:[0,0,1] neg_hi:[0,0,1]
	v_pk_fma_f32 v[120:121], v[120:121], v[110:111], v[124:125] op_sel:[0,0,1] op_sel_hi:[1,0,0]
	v_mov_b32_e32 v127, v121
	v_pk_mul_f32 v[120:121], v[122:123], v[112:113] op_sel:[0,1]
	s_delay_alu instid0(VALU_DEP_1) | instskip(SKIP_1) | instid1(VALU_DEP_1)
	v_pk_fma_f32 v[124:125], v[122:123], v[110:111], v[120:121] op_sel:[0,0,1] op_sel_hi:[1,1,0] neg_lo:[0,0,1] neg_hi:[0,0,1]
	v_pk_fma_f32 v[120:121], v[122:123], v[110:111], v[120:121] op_sel:[0,0,1] op_sel_hi:[1,0,0]
	v_mov_b32_e32 v125, v121
	ds_load_2addr_b64 v[120:123], v114 offset0:14 offset1:15
	v_pk_add_f32 v[92:93], v[92:93], v[126:127] neg_lo:[0,1] neg_hi:[0,1]
	v_pk_add_f32 v[88:89], v[88:89], v[124:125] neg_lo:[0,1] neg_hi:[0,1]
	s_wait_dscnt 0x0
	v_pk_mul_f32 v[124:125], v[120:121], v[112:113] op_sel:[0,1]
	s_delay_alu instid0(VALU_DEP_1) | instskip(SKIP_1) | instid1(VALU_DEP_1)
	v_pk_fma_f32 v[126:127], v[120:121], v[110:111], v[124:125] op_sel:[0,0,1] op_sel_hi:[1,1,0] neg_lo:[0,0,1] neg_hi:[0,0,1]
	v_pk_fma_f32 v[120:121], v[120:121], v[110:111], v[124:125] op_sel:[0,0,1] op_sel_hi:[1,0,0]
	v_mov_b32_e32 v127, v121
	v_pk_mul_f32 v[120:121], v[122:123], v[112:113] op_sel:[0,1]
	s_delay_alu instid0(VALU_DEP_1) | instskip(SKIP_1) | instid1(VALU_DEP_1)
	v_pk_fma_f32 v[124:125], v[122:123], v[110:111], v[120:121] op_sel:[0,0,1] op_sel_hi:[1,1,0] neg_lo:[0,0,1] neg_hi:[0,0,1]
	v_pk_fma_f32 v[120:121], v[122:123], v[110:111], v[120:121] op_sel:[0,0,1] op_sel_hi:[1,0,0]
	v_mov_b32_e32 v125, v121
	ds_load_2addr_b64 v[120:123], v114 offset0:16 offset1:17
	v_pk_add_f32 v[90:91], v[90:91], v[126:127] neg_lo:[0,1] neg_hi:[0,1]
	v_pk_add_f32 v[32:33], v[32:33], v[124:125] neg_lo:[0,1] neg_hi:[0,1]
	s_wait_dscnt 0x0
	v_dual_mul_f32 v124, v121, v113 :: v_dual_mul_f32 v126, v121, v110
	s_delay_alu instid0(VALU_DEP_1) | instskip(NEXT) | instid1(VALU_DEP_2)
	v_pk_fma_f32 v[124:125], v[120:121], v[26:27], v[124:125] op_sel_hi:[1,1,0] neg_lo:[0,0,1] neg_hi:[0,0,1]
	v_pk_fma_f32 v[120:121], v[120:121], v[26:27], v[126:127] op_sel:[1,0,0] op_sel_hi:[0,1,0]
	s_delay_alu instid0(VALU_DEP_1) | instskip(SKIP_1) | instid1(VALU_DEP_2)
	v_mov_b32_e32 v125, v121
	v_pk_mul_f32 v[120:121], v[122:123], v[112:113] op_sel:[0,1]
	v_pk_add_f32 v[80:81], v[80:81], v[124:125] neg_lo:[0,1] neg_hi:[0,1]
	s_delay_alu instid0(VALU_DEP_2) | instskip(SKIP_1) | instid1(VALU_DEP_1)
	v_pk_fma_f32 v[124:125], v[122:123], v[110:111], v[120:121] op_sel:[0,0,1] op_sel_hi:[1,1,0] neg_lo:[0,0,1] neg_hi:[0,0,1]
	v_pk_fma_f32 v[120:121], v[122:123], v[110:111], v[120:121] op_sel:[0,0,1] op_sel_hi:[1,0,0]
	v_mov_b32_e32 v125, v121
	ds_load_2addr_b64 v[120:123], v114 offset0:18 offset1:19
	v_pk_add_f32 v[76:77], v[76:77], v[124:125] neg_lo:[0,1] neg_hi:[0,1]
	s_wait_dscnt 0x0
	v_pk_mul_f32 v[124:125], v[120:121], v[112:113] op_sel:[0,1]
	s_delay_alu instid0(VALU_DEP_1) | instskip(SKIP_1) | instid1(VALU_DEP_1)
	v_pk_fma_f32 v[126:127], v[120:121], v[110:111], v[124:125] op_sel:[0,0,1] op_sel_hi:[1,1,0] neg_lo:[0,0,1] neg_hi:[0,0,1]
	v_pk_fma_f32 v[120:121], v[120:121], v[110:111], v[124:125] op_sel:[0,0,1] op_sel_hi:[1,0,0]
	v_mov_b32_e32 v127, v121
	v_pk_mul_f32 v[120:121], v[122:123], v[112:113] op_sel:[0,1]
	s_delay_alu instid0(VALU_DEP_2) | instskip(NEXT) | instid1(VALU_DEP_2)
	v_pk_add_f32 v[78:79], v[78:79], v[126:127] neg_lo:[0,1] neg_hi:[0,1]
	v_pk_fma_f32 v[124:125], v[122:123], v[110:111], v[120:121] op_sel:[0,0,1] op_sel_hi:[1,1,0] neg_lo:[0,0,1] neg_hi:[0,0,1]
	v_pk_fma_f32 v[120:121], v[122:123], v[110:111], v[120:121] op_sel:[0,0,1] op_sel_hi:[1,0,0]
	s_delay_alu instid0(VALU_DEP_1) | instskip(SKIP_4) | instid1(VALU_DEP_1)
	v_mov_b32_e32 v125, v121
	ds_load_2addr_b64 v[120:123], v114 offset0:20 offset1:21
	v_pk_add_f32 v[24:25], v[24:25], v[124:125] neg_lo:[0,1] neg_hi:[0,1]
	s_wait_dscnt 0x0
	v_pk_mul_f32 v[124:125], v[120:121], v[112:113] op_sel:[0,1]
	v_pk_fma_f32 v[126:127], v[120:121], v[110:111], v[124:125] op_sel:[0,0,1] op_sel_hi:[1,1,0] neg_lo:[0,0,1] neg_hi:[0,0,1]
	v_pk_fma_f32 v[120:121], v[120:121], v[110:111], v[124:125] op_sel:[0,0,1] op_sel_hi:[1,0,0]
	v_dual_mul_f32 v124, v123, v113 :: v_dual_mov_b32 v120, v123
	s_delay_alu instid0(VALU_DEP_2) | instskip(NEXT) | instid1(VALU_DEP_2)
	v_dual_mov_b32 v127, v121 :: v_dual_mov_b32 v121, v122
	v_pk_fma_f32 v[124:125], v[122:123], v[26:27], v[124:125] op_sel_hi:[1,1,0] neg_lo:[0,0,1] neg_hi:[0,0,1]
	v_mul_f32_e32 v122, v123, v110
	s_delay_alu instid0(VALU_DEP_3) | instskip(NEXT) | instid1(VALU_DEP_2)
	v_pk_add_f32 v[74:75], v[74:75], v[126:127] neg_lo:[0,1] neg_hi:[0,1]
	v_pk_fma_f32 v[120:121], v[120:121], v[26:27], v[122:123] op_sel_hi:[1,1,0]
	s_delay_alu instid0(VALU_DEP_1) | instskip(SKIP_4) | instid1(VALU_DEP_1)
	v_mov_b32_e32 v125, v121
	ds_load_2addr_b64 v[120:123], v114 offset0:22 offset1:23
	v_pk_add_f32 v[70:71], v[70:71], v[124:125] neg_lo:[0,1] neg_hi:[0,1]
	s_wait_dscnt 0x0
	v_pk_mul_f32 v[124:125], v[120:121], v[112:113] op_sel:[0,1]
	v_pk_fma_f32 v[126:127], v[120:121], v[110:111], v[124:125] op_sel:[0,0,1] op_sel_hi:[1,1,0] neg_lo:[0,0,1] neg_hi:[0,0,1]
	v_pk_fma_f32 v[120:121], v[120:121], v[110:111], v[124:125] op_sel:[0,0,1] op_sel_hi:[1,0,0]
	s_delay_alu instid0(VALU_DEP_1) | instskip(SKIP_1) | instid1(VALU_DEP_1)
	v_mov_b32_e32 v127, v121
	v_pk_mul_f32 v[120:121], v[122:123], v[112:113] op_sel:[0,1]
	v_pk_fma_f32 v[124:125], v[122:123], v[110:111], v[120:121] op_sel:[0,0,1] op_sel_hi:[1,1,0] neg_lo:[0,0,1] neg_hi:[0,0,1]
	v_pk_fma_f32 v[120:121], v[122:123], v[110:111], v[120:121] op_sel:[0,0,1] op_sel_hi:[1,0,0]
	s_delay_alu instid0(VALU_DEP_1)
	v_mov_b32_e32 v125, v121
	ds_load_2addr_b64 v[120:123], v114 offset0:24 offset1:25
	v_pk_add_f32 v[72:73], v[72:73], v[126:127] neg_lo:[0,1] neg_hi:[0,1]
	v_pk_add_f32 v[22:23], v[22:23], v[124:125] neg_lo:[0,1] neg_hi:[0,1]
	s_wait_dscnt 0x0
	v_pk_mul_f32 v[124:125], v[120:121], v[112:113] op_sel:[0,1]
	s_delay_alu instid0(VALU_DEP_1) | instskip(SKIP_1) | instid1(VALU_DEP_1)
	v_pk_fma_f32 v[126:127], v[120:121], v[110:111], v[124:125] op_sel:[0,0,1] op_sel_hi:[1,1,0] neg_lo:[0,0,1] neg_hi:[0,0,1]
	v_pk_fma_f32 v[120:121], v[120:121], v[110:111], v[124:125] op_sel:[0,0,1] op_sel_hi:[1,0,0]
	v_mov_b32_e32 v127, v121
	v_pk_mul_f32 v[120:121], v[122:123], v[112:113] op_sel:[0,1]
	s_delay_alu instid0(VALU_DEP_1) | instskip(SKIP_1) | instid1(VALU_DEP_1)
	v_pk_fma_f32 v[124:125], v[122:123], v[110:111], v[120:121] op_sel:[0,0,1] op_sel_hi:[1,1,0] neg_lo:[0,0,1] neg_hi:[0,0,1]
	v_pk_fma_f32 v[120:121], v[122:123], v[110:111], v[120:121] op_sel:[0,0,1] op_sel_hi:[1,0,0]
	v_mov_b32_e32 v125, v121
	ds_load_2addr_b64 v[120:123], v114 offset0:26 offset1:27
	v_pk_add_f32 v[68:69], v[68:69], v[126:127] neg_lo:[0,1] neg_hi:[0,1]
	v_pk_add_f32 v[64:65], v[64:65], v[124:125] neg_lo:[0,1] neg_hi:[0,1]
	s_wait_dscnt 0x0
	v_dual_mul_f32 v124, v121, v113 :: v_dual_mul_f32 v126, v121, v110
	s_delay_alu instid0(VALU_DEP_1) | instskip(NEXT) | instid1(VALU_DEP_2)
	v_pk_fma_f32 v[124:125], v[120:121], v[26:27], v[124:125] op_sel_hi:[1,1,0] neg_lo:[0,0,1] neg_hi:[0,0,1]
	v_pk_fma_f32 v[120:121], v[120:121], v[26:27], v[126:127] op_sel:[1,0,0] op_sel_hi:[0,1,0]
	s_delay_alu instid0(VALU_DEP_1) | instskip(SKIP_1) | instid1(VALU_DEP_2)
	v_mov_b32_e32 v125, v121
	v_pk_mul_f32 v[120:121], v[122:123], v[112:113] op_sel:[0,1]
	v_pk_add_f32 v[66:67], v[66:67], v[124:125] neg_lo:[0,1] neg_hi:[0,1]
	s_delay_alu instid0(VALU_DEP_2) | instskip(SKIP_1) | instid1(VALU_DEP_1)
	v_pk_fma_f32 v[124:125], v[122:123], v[110:111], v[120:121] op_sel:[0,0,1] op_sel_hi:[1,1,0] neg_lo:[0,0,1] neg_hi:[0,0,1]
	v_pk_fma_f32 v[120:121], v[122:123], v[110:111], v[120:121] op_sel:[0,0,1] op_sel_hi:[1,0,0]
	v_mov_b32_e32 v125, v121
	ds_load_2addr_b64 v[120:123], v114 offset0:28 offset1:29
	v_pk_add_f32 v[20:21], v[20:21], v[124:125] neg_lo:[0,1] neg_hi:[0,1]
	s_wait_dscnt 0x0
	v_pk_mul_f32 v[124:125], v[120:121], v[112:113] op_sel:[0,1]
	s_delay_alu instid0(VALU_DEP_1) | instskip(SKIP_1) | instid1(VALU_DEP_1)
	v_pk_fma_f32 v[126:127], v[120:121], v[110:111], v[124:125] op_sel:[0,0,1] op_sel_hi:[1,1,0] neg_lo:[0,0,1] neg_hi:[0,0,1]
	v_pk_fma_f32 v[120:121], v[120:121], v[110:111], v[124:125] op_sel:[0,0,1] op_sel_hi:[1,0,0]
	v_mov_b32_e32 v127, v121
	v_pk_mul_f32 v[120:121], v[122:123], v[112:113] op_sel:[0,1]
	s_delay_alu instid0(VALU_DEP_2) | instskip(NEXT) | instid1(VALU_DEP_2)
	v_pk_add_f32 v[62:63], v[62:63], v[126:127] neg_lo:[0,1] neg_hi:[0,1]
	v_pk_fma_f32 v[124:125], v[122:123], v[110:111], v[120:121] op_sel:[0,0,1] op_sel_hi:[1,1,0] neg_lo:[0,0,1] neg_hi:[0,0,1]
	v_pk_fma_f32 v[120:121], v[122:123], v[110:111], v[120:121] op_sel:[0,0,1] op_sel_hi:[1,0,0]
	s_delay_alu instid0(VALU_DEP_1) | instskip(SKIP_4) | instid1(VALU_DEP_1)
	v_mov_b32_e32 v125, v121
	ds_load_2addr_b64 v[120:123], v114 offset0:30 offset1:31
	v_pk_add_f32 v[58:59], v[58:59], v[124:125] neg_lo:[0,1] neg_hi:[0,1]
	s_wait_dscnt 0x0
	v_pk_mul_f32 v[124:125], v[120:121], v[112:113] op_sel:[0,1]
	v_pk_fma_f32 v[126:127], v[120:121], v[110:111], v[124:125] op_sel:[0,0,1] op_sel_hi:[1,1,0] neg_lo:[0,0,1] neg_hi:[0,0,1]
	v_pk_fma_f32 v[120:121], v[120:121], v[110:111], v[124:125] op_sel:[0,0,1] op_sel_hi:[1,0,0]
	v_dual_mul_f32 v124, v123, v113 :: v_dual_mov_b32 v120, v123
	s_delay_alu instid0(VALU_DEP_2) | instskip(NEXT) | instid1(VALU_DEP_2)
	v_dual_mov_b32 v127, v121 :: v_dual_mov_b32 v121, v122
	v_pk_fma_f32 v[124:125], v[122:123], v[26:27], v[124:125] op_sel_hi:[1,1,0] neg_lo:[0,0,1] neg_hi:[0,0,1]
	v_mul_f32_e32 v122, v123, v110
	s_delay_alu instid0(VALU_DEP_3) | instskip(NEXT) | instid1(VALU_DEP_2)
	v_pk_add_f32 v[60:61], v[60:61], v[126:127] neg_lo:[0,1] neg_hi:[0,1]
	v_pk_fma_f32 v[120:121], v[120:121], v[26:27], v[122:123] op_sel_hi:[1,1,0]
	s_delay_alu instid0(VALU_DEP_1) | instskip(SKIP_4) | instid1(VALU_DEP_1)
	v_mov_b32_e32 v125, v121
	ds_load_2addr_b64 v[120:123], v114 offset0:32 offset1:33
	v_pk_add_f32 v[18:19], v[18:19], v[124:125] neg_lo:[0,1] neg_hi:[0,1]
	s_wait_dscnt 0x0
	v_pk_mul_f32 v[124:125], v[120:121], v[112:113] op_sel:[0,1]
	v_pk_fma_f32 v[126:127], v[120:121], v[110:111], v[124:125] op_sel:[0,0,1] op_sel_hi:[1,1,0] neg_lo:[0,0,1] neg_hi:[0,0,1]
	v_pk_fma_f32 v[120:121], v[120:121], v[110:111], v[124:125] op_sel:[0,0,1] op_sel_hi:[1,0,0]
	s_delay_alu instid0(VALU_DEP_1) | instskip(SKIP_1) | instid1(VALU_DEP_1)
	v_mov_b32_e32 v127, v121
	v_pk_mul_f32 v[120:121], v[122:123], v[112:113] op_sel:[0,1]
	v_pk_fma_f32 v[124:125], v[122:123], v[110:111], v[120:121] op_sel:[0,0,1] op_sel_hi:[1,1,0] neg_lo:[0,0,1] neg_hi:[0,0,1]
	v_pk_fma_f32 v[120:121], v[122:123], v[110:111], v[120:121] op_sel:[0,0,1] op_sel_hi:[1,0,0]
	s_delay_alu instid0(VALU_DEP_1)
	v_mov_b32_e32 v125, v121
	ds_load_2addr_b64 v[120:123], v114 offset0:34 offset1:35
	v_pk_add_f32 v[56:57], v[56:57], v[126:127] neg_lo:[0,1] neg_hi:[0,1]
	v_pk_add_f32 v[52:53], v[52:53], v[124:125] neg_lo:[0,1] neg_hi:[0,1]
	s_wait_dscnt 0x0
	v_pk_mul_f32 v[124:125], v[120:121], v[112:113] op_sel:[0,1]
	s_delay_alu instid0(VALU_DEP_1) | instskip(SKIP_1) | instid1(VALU_DEP_1)
	v_pk_fma_f32 v[126:127], v[120:121], v[110:111], v[124:125] op_sel:[0,0,1] op_sel_hi:[1,1,0] neg_lo:[0,0,1] neg_hi:[0,0,1]
	v_pk_fma_f32 v[120:121], v[120:121], v[110:111], v[124:125] op_sel:[0,0,1] op_sel_hi:[1,0,0]
	v_mov_b32_e32 v127, v121
	v_pk_mul_f32 v[120:121], v[122:123], v[112:113] op_sel:[0,1]
	s_delay_alu instid0(VALU_DEP_1) | instskip(SKIP_1) | instid1(VALU_DEP_1)
	v_pk_fma_f32 v[124:125], v[122:123], v[110:111], v[120:121] op_sel:[0,0,1] op_sel_hi:[1,1,0] neg_lo:[0,0,1] neg_hi:[0,0,1]
	v_pk_fma_f32 v[120:121], v[122:123], v[110:111], v[120:121] op_sel:[0,0,1] op_sel_hi:[1,0,0]
	v_mov_b32_e32 v125, v121
	ds_load_2addr_b64 v[120:123], v114 offset0:36 offset1:37
	v_pk_add_f32 v[54:55], v[54:55], v[126:127] neg_lo:[0,1] neg_hi:[0,1]
	v_pk_add_f32 v[12:13], v[12:13], v[124:125] neg_lo:[0,1] neg_hi:[0,1]
	s_wait_dscnt 0x0
	v_dual_mul_f32 v124, v121, v113 :: v_dual_mul_f32 v126, v121, v110
	s_delay_alu instid0(VALU_DEP_1) | instskip(NEXT) | instid1(VALU_DEP_2)
	v_pk_fma_f32 v[124:125], v[120:121], v[26:27], v[124:125] op_sel_hi:[1,1,0] neg_lo:[0,0,1] neg_hi:[0,0,1]
	v_pk_fma_f32 v[120:121], v[120:121], v[26:27], v[126:127] op_sel:[1,0,0] op_sel_hi:[0,1,0]
	s_delay_alu instid0(VALU_DEP_1) | instskip(SKIP_1) | instid1(VALU_DEP_2)
	v_mov_b32_e32 v125, v121
	v_pk_mul_f32 v[120:121], v[122:123], v[112:113] op_sel:[0,1]
	v_pk_add_f32 v[50:51], v[50:51], v[124:125] neg_lo:[0,1] neg_hi:[0,1]
	s_delay_alu instid0(VALU_DEP_2) | instskip(SKIP_1) | instid1(VALU_DEP_1)
	v_pk_fma_f32 v[124:125], v[122:123], v[110:111], v[120:121] op_sel:[0,0,1] op_sel_hi:[1,1,0] neg_lo:[0,0,1] neg_hi:[0,0,1]
	v_pk_fma_f32 v[120:121], v[122:123], v[110:111], v[120:121] op_sel:[0,0,1] op_sel_hi:[1,0,0]
	v_mov_b32_e32 v125, v121
	ds_load_2addr_b64 v[120:123], v114 offset0:38 offset1:39
	v_pk_add_f32 v[46:47], v[46:47], v[124:125] neg_lo:[0,1] neg_hi:[0,1]
	s_wait_dscnt 0x0
	v_pk_mul_f32 v[124:125], v[120:121], v[112:113] op_sel:[0,1]
	s_delay_alu instid0(VALU_DEP_1) | instskip(SKIP_1) | instid1(VALU_DEP_1)
	v_pk_fma_f32 v[126:127], v[120:121], v[110:111], v[124:125] op_sel:[0,0,1] op_sel_hi:[1,1,0] neg_lo:[0,0,1] neg_hi:[0,0,1]
	v_pk_fma_f32 v[120:121], v[120:121], v[110:111], v[124:125] op_sel:[0,0,1] op_sel_hi:[1,0,0]
	v_mov_b32_e32 v127, v121
	v_pk_mul_f32 v[120:121], v[122:123], v[112:113] op_sel:[0,1]
	s_delay_alu instid0(VALU_DEP_2) | instskip(NEXT) | instid1(VALU_DEP_2)
	v_pk_add_f32 v[48:49], v[48:49], v[126:127] neg_lo:[0,1] neg_hi:[0,1]
	v_pk_fma_f32 v[124:125], v[122:123], v[110:111], v[120:121] op_sel:[0,0,1] op_sel_hi:[1,1,0] neg_lo:[0,0,1] neg_hi:[0,0,1]
	v_pk_fma_f32 v[120:121], v[122:123], v[110:111], v[120:121] op_sel:[0,0,1] op_sel_hi:[1,0,0]
	s_delay_alu instid0(VALU_DEP_1) | instskip(SKIP_4) | instid1(VALU_DEP_1)
	v_mov_b32_e32 v125, v121
	ds_load_2addr_b64 v[120:123], v114 offset0:40 offset1:41
	v_pk_add_f32 v[10:11], v[10:11], v[124:125] neg_lo:[0,1] neg_hi:[0,1]
	s_wait_dscnt 0x0
	v_pk_mul_f32 v[124:125], v[120:121], v[112:113] op_sel:[0,1]
	v_pk_fma_f32 v[126:127], v[120:121], v[110:111], v[124:125] op_sel:[0,0,1] op_sel_hi:[1,1,0] neg_lo:[0,0,1] neg_hi:[0,0,1]
	v_pk_fma_f32 v[120:121], v[120:121], v[110:111], v[124:125] op_sel:[0,0,1] op_sel_hi:[1,0,0]
	v_dual_mul_f32 v124, v123, v113 :: v_dual_mov_b32 v120, v123
	s_delay_alu instid0(VALU_DEP_2) | instskip(NEXT) | instid1(VALU_DEP_2)
	v_dual_mov_b32 v127, v121 :: v_dual_mov_b32 v121, v122
	v_pk_fma_f32 v[124:125], v[122:123], v[26:27], v[124:125] op_sel_hi:[1,1,0] neg_lo:[0,0,1] neg_hi:[0,0,1]
	v_mul_f32_e32 v122, v123, v110
	s_delay_alu instid0(VALU_DEP_3) | instskip(NEXT) | instid1(VALU_DEP_2)
	v_pk_add_f32 v[44:45], v[44:45], v[126:127] neg_lo:[0,1] neg_hi:[0,1]
	v_pk_fma_f32 v[120:121], v[120:121], v[26:27], v[122:123] op_sel_hi:[1,1,0]
	s_delay_alu instid0(VALU_DEP_1) | instskip(SKIP_4) | instid1(VALU_DEP_1)
	v_mov_b32_e32 v125, v121
	ds_load_2addr_b64 v[120:123], v114 offset0:42 offset1:43
	v_pk_add_f32 v[40:41], v[40:41], v[124:125] neg_lo:[0,1] neg_hi:[0,1]
	s_wait_dscnt 0x0
	v_pk_mul_f32 v[124:125], v[120:121], v[112:113] op_sel:[0,1]
	v_pk_fma_f32 v[126:127], v[120:121], v[110:111], v[124:125] op_sel:[0,0,1] op_sel_hi:[1,1,0] neg_lo:[0,0,1] neg_hi:[0,0,1]
	v_pk_fma_f32 v[120:121], v[120:121], v[110:111], v[124:125] op_sel:[0,0,1] op_sel_hi:[1,0,0]
	s_delay_alu instid0(VALU_DEP_1) | instskip(SKIP_1) | instid1(VALU_DEP_1)
	v_mov_b32_e32 v127, v121
	v_pk_mul_f32 v[120:121], v[122:123], v[112:113] op_sel:[0,1]
	v_pk_fma_f32 v[124:125], v[122:123], v[110:111], v[120:121] op_sel:[0,0,1] op_sel_hi:[1,1,0] neg_lo:[0,0,1] neg_hi:[0,0,1]
	v_pk_fma_f32 v[120:121], v[122:123], v[110:111], v[120:121] op_sel:[0,0,1] op_sel_hi:[1,0,0]
	s_delay_alu instid0(VALU_DEP_1)
	v_mov_b32_e32 v125, v121
	ds_load_2addr_b64 v[120:123], v114 offset0:44 offset1:45
	v_pk_add_f32 v[42:43], v[42:43], v[126:127] neg_lo:[0,1] neg_hi:[0,1]
	v_pk_add_f32 v[6:7], v[6:7], v[124:125] neg_lo:[0,1] neg_hi:[0,1]
	s_wait_dscnt 0x0
	v_pk_mul_f32 v[124:125], v[120:121], v[112:113] op_sel:[0,1]
	s_delay_alu instid0(VALU_DEP_1) | instskip(SKIP_1) | instid1(VALU_DEP_1)
	v_pk_fma_f32 v[126:127], v[120:121], v[110:111], v[124:125] op_sel:[0,0,1] op_sel_hi:[1,1,0] neg_lo:[0,0,1] neg_hi:[0,0,1]
	v_pk_fma_f32 v[120:121], v[120:121], v[110:111], v[124:125] op_sel:[0,0,1] op_sel_hi:[1,0,0]
	v_mov_b32_e32 v127, v121
	v_pk_mul_f32 v[120:121], v[122:123], v[112:113] op_sel:[0,1]
	s_delay_alu instid0(VALU_DEP_1) | instskip(SKIP_1) | instid1(VALU_DEP_1)
	v_pk_fma_f32 v[124:125], v[122:123], v[110:111], v[120:121] op_sel:[0,0,1] op_sel_hi:[1,1,0] neg_lo:[0,0,1] neg_hi:[0,0,1]
	v_pk_fma_f32 v[120:121], v[122:123], v[110:111], v[120:121] op_sel:[0,0,1] op_sel_hi:[1,0,0]
	v_mov_b32_e32 v125, v121
	ds_load_2addr_b64 v[120:123], v114 offset0:46 offset1:47
	v_pk_add_f32 v[36:37], v[36:37], v[126:127] neg_lo:[0,1] neg_hi:[0,1]
	v_pk_add_f32 v[30:31], v[30:31], v[124:125] neg_lo:[0,1] neg_hi:[0,1]
	s_wait_dscnt 0x0
	v_dual_mul_f32 v124, v121, v113 :: v_dual_mul_f32 v126, v121, v110
	s_delay_alu instid0(VALU_DEP_1) | instskip(NEXT) | instid1(VALU_DEP_2)
	v_pk_fma_f32 v[124:125], v[120:121], v[26:27], v[124:125] op_sel_hi:[1,1,0] neg_lo:[0,0,1] neg_hi:[0,0,1]
	v_pk_fma_f32 v[120:121], v[120:121], v[26:27], v[126:127] op_sel:[1,0,0] op_sel_hi:[0,1,0]
	s_delay_alu instid0(VALU_DEP_1) | instskip(SKIP_1) | instid1(VALU_DEP_2)
	v_mov_b32_e32 v125, v121
	v_pk_mul_f32 v[120:121], v[122:123], v[112:113] op_sel:[0,1]
	v_pk_add_f32 v[34:35], v[34:35], v[124:125] neg_lo:[0,1] neg_hi:[0,1]
	s_delay_alu instid0(VALU_DEP_2) | instskip(SKIP_1) | instid1(VALU_DEP_1)
	v_pk_fma_f32 v[124:125], v[122:123], v[110:111], v[120:121] op_sel:[0,0,1] op_sel_hi:[1,1,0] neg_lo:[0,0,1] neg_hi:[0,0,1]
	v_pk_fma_f32 v[120:121], v[122:123], v[110:111], v[120:121] op_sel:[0,0,1] op_sel_hi:[1,0,0]
	v_mov_b32_e32 v125, v121
	ds_load_2addr_b64 v[120:123], v114 offset0:48 offset1:49
	v_pk_add_f32 v[8:9], v[8:9], v[124:125] neg_lo:[0,1] neg_hi:[0,1]
	s_wait_dscnt 0x0
	v_pk_mul_f32 v[124:125], v[120:121], v[112:113] op_sel:[0,1]
	s_delay_alu instid0(VALU_DEP_1) | instskip(SKIP_1) | instid1(VALU_DEP_1)
	v_pk_fma_f32 v[126:127], v[120:121], v[110:111], v[124:125] op_sel:[0,0,1] op_sel_hi:[1,1,0] neg_lo:[0,0,1] neg_hi:[0,0,1]
	v_pk_fma_f32 v[120:121], v[120:121], v[110:111], v[124:125] op_sel:[0,0,1] op_sel_hi:[1,0,0]
	v_mov_b32_e32 v127, v121
	v_pk_mul_f32 v[120:121], v[122:123], v[112:113] op_sel:[0,1]
	s_delay_alu instid0(VALU_DEP_2) | instskip(NEXT) | instid1(VALU_DEP_2)
	v_pk_add_f32 v[28:29], v[28:29], v[126:127] neg_lo:[0,1] neg_hi:[0,1]
	v_pk_fma_f32 v[124:125], v[122:123], v[110:111], v[120:121] op_sel:[0,0,1] op_sel_hi:[1,1,0] neg_lo:[0,0,1] neg_hi:[0,0,1]
	v_pk_fma_f32 v[120:121], v[122:123], v[110:111], v[120:121] op_sel:[0,0,1] op_sel_hi:[1,0,0]
	s_delay_alu instid0(VALU_DEP_1)
	v_mov_b32_e32 v125, v121
	ds_load_2addr_b64 v[120:123], v114 offset0:50 offset1:51
	v_pk_add_f32 v[16:17], v[16:17], v[124:125] neg_lo:[0,1] neg_hi:[0,1]
	s_wait_dscnt 0x0
	v_pk_mul_f32 v[124:125], v[120:121], v[112:113] op_sel:[0,1]
	v_pk_mul_f32 v[112:113], v[122:123], v[112:113] op_sel:[0,1]
	s_delay_alu instid0(VALU_DEP_2) | instskip(SKIP_1) | instid1(VALU_DEP_1)
	v_pk_fma_f32 v[126:127], v[120:121], v[110:111], v[124:125] op_sel:[0,0,1] op_sel_hi:[1,1,0] neg_lo:[0,0,1] neg_hi:[0,0,1]
	v_pk_fma_f32 v[120:121], v[120:121], v[110:111], v[124:125] op_sel:[0,0,1] op_sel_hi:[1,0,0]
	v_mov_b32_e32 v127, v121
	s_delay_alu instid0(VALU_DEP_4) | instskip(SKIP_1) | instid1(VALU_DEP_3)
	v_pk_fma_f32 v[120:121], v[122:123], v[110:111], v[112:113] op_sel:[0,0,1] op_sel_hi:[1,1,0] neg_lo:[0,0,1] neg_hi:[0,0,1]
	v_pk_fma_f32 v[110:111], v[122:123], v[110:111], v[112:113] op_sel:[0,0,1] op_sel_hi:[1,0,0]
	v_pk_add_f32 v[14:15], v[14:15], v[126:127] neg_lo:[0,1] neg_hi:[0,1]
	s_delay_alu instid0(VALU_DEP_2) | instskip(NEXT) | instid1(VALU_DEP_1)
	v_mov_b32_e32 v121, v111
	v_pk_add_f32 v[108:109], v[108:109], v[120:121] neg_lo:[0,1] neg_hi:[0,1]
.LBB102_167:
	s_or_b32 exec_lo, exec_lo, s0
	v_lshl_add_u32 v110, v118, 3, v114
	s_barrier_signal -1
	s_barrier_wait -1
	ds_store_b64 v110, v[98:99]
	s_wait_dscnt 0x0
	s_barrier_signal -1
	s_barrier_wait -1
	ds_load_b64 v[112:113], v114 offset:64
	v_mov_b32_e32 v110, 8
	s_cmp_lt_i32 s18, 10
	s_cbranch_scc1 .LBB102_170
; %bb.168:
	v_add3_u32 v111, v115, 0, 0x48
	v_mov_b32_e32 v110, 8
	s_mov_b32 s0, 9
.LBB102_169:                            ; =>This Inner Loop Header: Depth=1
	ds_load_b64 v[120:121], v111
	s_wait_dscnt 0x1
	v_cmp_gt_f32_e32 vcc_lo, 0, v112
	v_cndmask_b32_e64 v122, v112, -v112, vcc_lo
	v_cmp_gt_f32_e32 vcc_lo, 0, v113
	v_cndmask_b32_e64 v124, v113, -v113, vcc_lo
	s_wait_dscnt 0x0
	v_cmp_gt_f32_e32 vcc_lo, 0, v120
	v_cndmask_b32_e64 v123, v120, -v120, vcc_lo
	v_cmp_gt_f32_e32 vcc_lo, 0, v121
	v_cndmask_b32_e64 v125, v121, -v121, vcc_lo
	s_delay_alu instid0(VALU_DEP_1) | instskip(NEXT) | instid1(VALU_DEP_1)
	v_pk_add_f32 v[122:123], v[122:123], v[124:125]
	v_cmp_lt_f32_e32 vcc_lo, v122, v123
	v_dual_add_nc_u32 v111, 8, v111 :: v_dual_cndmask_b32 v113, v113, v121, vcc_lo
	v_cndmask_b32_e32 v112, v112, v120, vcc_lo
	v_cndmask_b32_e64 v110, v110, s0, vcc_lo
	s_add_co_i32 s0, s0, 1
	s_delay_alu instid0(SALU_CYCLE_1)
	s_cmp_lg_u32 s18, s0
	s_cbranch_scc1 .LBB102_169
.LBB102_170:
	s_wait_dscnt 0x0
	v_cmp_eq_f32_e32 vcc_lo, 0, v112
	v_cmp_eq_f32_e64 s0, 0, v113
	s_and_b32 s0, vcc_lo, s0
	s_delay_alu instid0(SALU_CYCLE_1) | instskip(NEXT) | instid1(SALU_CYCLE_1)
	s_and_saveexec_b32 s1, s0
	s_xor_b32 s0, exec_lo, s1
; %bb.171:
	v_cmp_ne_u32_e32 vcc_lo, 0, v116
	v_cndmask_b32_e32 v116, 9, v116, vcc_lo
; %bb.172:
	s_and_not1_saveexec_b32 s0, s0
	s_cbranch_execz .LBB102_178
; %bb.173:
	v_cmp_ngt_f32_e64 s1, |v112|, |v113|
	s_and_saveexec_b32 s12, s1
	s_delay_alu instid0(SALU_CYCLE_1)
	s_xor_b32 s1, exec_lo, s12
	s_cbranch_execz .LBB102_175
; %bb.174:
	v_div_scale_f32 v111, null, v113, v113, v112
	v_div_scale_f32 v121, vcc_lo, v112, v113, v112
	s_delay_alu instid0(VALU_DEP_2) | instskip(SKIP_1) | instid1(TRANS32_DEP_1)
	v_rcp_f32_e32 v119, v111
	v_nop
	v_fma_f32 v120, -v111, v119, 1.0
	s_delay_alu instid0(VALU_DEP_1) | instskip(NEXT) | instid1(VALU_DEP_1)
	v_fmac_f32_e32 v119, v120, v119
	v_mul_f32_e32 v120, v121, v119
	s_delay_alu instid0(VALU_DEP_1) | instskip(NEXT) | instid1(VALU_DEP_1)
	v_fma_f32 v122, -v111, v120, v121
	v_fmac_f32_e32 v120, v122, v119
	s_delay_alu instid0(VALU_DEP_1) | instskip(NEXT) | instid1(VALU_DEP_1)
	v_fma_f32 v111, -v111, v120, v121
	v_div_fmas_f32 v111, v111, v119, v120
	s_delay_alu instid0(VALU_DEP_1) | instskip(NEXT) | instid1(VALU_DEP_1)
	v_div_fixup_f32 v111, v111, v113, v112
	v_fmac_f32_e32 v113, v112, v111
	s_delay_alu instid0(VALU_DEP_1) | instskip(SKIP_1) | instid1(VALU_DEP_2)
	v_div_scale_f32 v112, null, v113, v113, 1.0
	v_div_scale_f32 v121, vcc_lo, 1.0, v113, 1.0
	v_rcp_f32_e32 v119, v112
	v_nop
	s_delay_alu instid0(TRANS32_DEP_1) | instskip(NEXT) | instid1(VALU_DEP_1)
	v_fma_f32 v120, -v112, v119, 1.0
	v_fmac_f32_e32 v119, v120, v119
	s_delay_alu instid0(VALU_DEP_1) | instskip(NEXT) | instid1(VALU_DEP_1)
	v_mul_f32_e32 v120, v121, v119
	v_fma_f32 v122, -v112, v120, v121
	s_delay_alu instid0(VALU_DEP_1) | instskip(NEXT) | instid1(VALU_DEP_1)
	v_fmac_f32_e32 v120, v122, v119
	v_fma_f32 v112, -v112, v120, v121
	s_delay_alu instid0(VALU_DEP_1) | instskip(NEXT) | instid1(VALU_DEP_1)
	v_div_fmas_f32 v112, v112, v119, v120
	v_div_fixup_f32 v113, v112, v113, 1.0
	s_delay_alu instid0(VALU_DEP_1)
	v_mul_f32_e32 v112, v111, v113
	v_xor_b32_e32 v113, 0x80000000, v113
.LBB102_175:
	s_and_not1_saveexec_b32 s1, s1
	s_cbranch_execz .LBB102_177
; %bb.176:
	s_delay_alu instid0(VALU_DEP_1) | instskip(SKIP_1) | instid1(VALU_DEP_2)
	v_div_scale_f32 v111, null, v112, v112, v113
	v_div_scale_f32 v121, vcc_lo, v113, v112, v113
	v_rcp_f32_e32 v119, v111
	v_nop
	s_delay_alu instid0(TRANS32_DEP_1) | instskip(NEXT) | instid1(VALU_DEP_1)
	v_fma_f32 v120, -v111, v119, 1.0
	v_fmac_f32_e32 v119, v120, v119
	s_delay_alu instid0(VALU_DEP_1) | instskip(NEXT) | instid1(VALU_DEP_1)
	v_mul_f32_e32 v120, v121, v119
	v_fma_f32 v122, -v111, v120, v121
	s_delay_alu instid0(VALU_DEP_1) | instskip(NEXT) | instid1(VALU_DEP_1)
	v_fmac_f32_e32 v120, v122, v119
	v_fma_f32 v111, -v111, v120, v121
	s_delay_alu instid0(VALU_DEP_1) | instskip(NEXT) | instid1(VALU_DEP_1)
	v_div_fmas_f32 v111, v111, v119, v120
	v_div_fixup_f32 v111, v111, v112, v113
	s_delay_alu instid0(VALU_DEP_1) | instskip(NEXT) | instid1(VALU_DEP_1)
	v_fmac_f32_e32 v112, v113, v111
	v_div_scale_f32 v113, null, v112, v112, 1.0
	s_delay_alu instid0(VALU_DEP_1) | instskip(SKIP_1) | instid1(TRANS32_DEP_1)
	v_rcp_f32_e32 v119, v113
	v_nop
	v_fma_f32 v120, -v113, v119, 1.0
	s_delay_alu instid0(VALU_DEP_1) | instskip(SKIP_1) | instid1(VALU_DEP_1)
	v_fmac_f32_e32 v119, v120, v119
	v_div_scale_f32 v120, vcc_lo, 1.0, v112, 1.0
	v_mul_f32_e32 v121, v120, v119
	s_delay_alu instid0(VALU_DEP_1) | instskip(NEXT) | instid1(VALU_DEP_1)
	v_fma_f32 v122, -v113, v121, v120
	v_fmac_f32_e32 v121, v122, v119
	s_delay_alu instid0(VALU_DEP_1) | instskip(NEXT) | instid1(VALU_DEP_1)
	v_fma_f32 v113, -v113, v121, v120
	v_div_fmas_f32 v113, v113, v119, v121
	s_delay_alu instid0(VALU_DEP_1) | instskip(NEXT) | instid1(VALU_DEP_1)
	v_div_fixup_f32 v112, v113, v112, 1.0
	v_mul_f32_e64 v113, v111, -v112
.LBB102_177:
	s_or_b32 exec_lo, exec_lo, s1
.LBB102_178:
	s_delay_alu instid0(SALU_CYCLE_1) | instskip(NEXT) | instid1(SALU_CYCLE_1)
	s_or_b32 exec_lo, exec_lo, s0
	s_mov_b32 s0, exec_lo
	v_cmpx_ne_u32_e64 v118, v110
	s_xor_b32 s0, exec_lo, s0
	s_cbranch_execz .LBB102_184
; %bb.179:
	s_mov_b32 s1, exec_lo
	v_cmpx_eq_u32_e32 8, v118
	s_cbranch_execz .LBB102_183
; %bb.180:
	v_cmp_ne_u32_e32 vcc_lo, 8, v110
	s_xor_b32 s12, s16, -1
	s_delay_alu instid0(SALU_CYCLE_1) | instskip(NEXT) | instid1(SALU_CYCLE_1)
	s_and_b32 s13, s12, vcc_lo
	s_and_saveexec_b32 s12, s13
	s_cbranch_execz .LBB102_182
; %bb.181:
	v_ashrrev_i32_e32 v111, 31, v110
	s_delay_alu instid0(VALU_DEP_1)
	v_lshl_add_u64 v[118:119], v[110:111], 2, v[4:5]
	s_clause 0x1
	global_load_b32 v111, v[118:119], off
	global_load_b32 v117, v[4:5], off offset:32
	s_wait_loadcnt 0x1
	global_store_b32 v[4:5], v111, off offset:32
	s_wait_loadcnt 0x0
	global_store_b32 v[118:119], v117, off
.LBB102_182:
	s_wait_xcnt 0x0
	s_or_b32 exec_lo, exec_lo, s12
	v_dual_mov_b32 v118, v110 :: v_dual_mov_b32 v117, v110
.LBB102_183:
	s_or_b32 exec_lo, exec_lo, s1
.LBB102_184:
	s_and_not1_saveexec_b32 s0, s0
	s_cbranch_execz .LBB102_186
; %bb.185:
	v_mov_b32_e32 v118, 8
	ds_store_2addr_b64 v114, v[94:95], v[96:97] offset0:9 offset1:10
	ds_store_2addr_b64 v114, v[38:39], v[92:93] offset0:11 offset1:12
	;; [unrolled: 1-line block ×21, first 2 shown]
	ds_store_b64 v114, v[108:109] offset:408
.LBB102_186:
	s_or_b32 exec_lo, exec_lo, s0
	s_delay_alu instid0(SALU_CYCLE_1)
	s_mov_b32 s0, exec_lo
	s_wait_storecnt_dscnt 0x0
	s_barrier_signal -1
	s_barrier_wait -1
	v_cmpx_lt_i32_e32 8, v118
	s_cbranch_execz .LBB102_188
; %bb.187:
	v_pk_mul_f32 v[120:121], v[112:113], v[98:99] op_sel:[1,1] op_sel_hi:[0,1]
	s_delay_alu instid0(VALU_DEP_1)
	v_pk_fma_f32 v[110:111], v[112:113], v[98:99], v[120:121] op_sel_hi:[1,0,1] neg_lo:[0,0,1] neg_hi:[0,0,1]
	v_pk_fma_f32 v[112:113], v[112:113], v[98:99], v[120:121] op_sel_hi:[1,0,1]
	ds_load_2addr_b64 v[120:123], v114 offset0:9 offset1:10
	v_dual_mov_b32 v98, v110 :: v_dual_mov_b32 v99, v113
	s_wait_dscnt 0x0
	v_pk_mul_f32 v[124:125], v[120:121], v[112:113] op_sel:[0,1]
	s_delay_alu instid0(VALU_DEP_1) | instskip(SKIP_1) | instid1(VALU_DEP_1)
	v_pk_fma_f32 v[126:127], v[120:121], v[110:111], v[124:125] op_sel:[0,0,1] op_sel_hi:[1,1,0] neg_lo:[0,0,1] neg_hi:[0,0,1]
	v_pk_fma_f32 v[120:121], v[120:121], v[110:111], v[124:125] op_sel:[0,0,1] op_sel_hi:[1,0,0]
	v_mov_b32_e32 v127, v121
	v_pk_mul_f32 v[120:121], v[122:123], v[112:113] op_sel:[0,1]
	s_delay_alu instid0(VALU_DEP_1) | instskip(SKIP_1) | instid1(VALU_DEP_1)
	v_pk_fma_f32 v[124:125], v[122:123], v[110:111], v[120:121] op_sel:[0,0,1] op_sel_hi:[1,1,0] neg_lo:[0,0,1] neg_hi:[0,0,1]
	v_pk_fma_f32 v[120:121], v[122:123], v[110:111], v[120:121] op_sel:[0,0,1] op_sel_hi:[1,0,0]
	v_mov_b32_e32 v125, v121
	ds_load_2addr_b64 v[120:123], v114 offset0:11 offset1:12
	v_pk_add_f32 v[94:95], v[94:95], v[126:127] neg_lo:[0,1] neg_hi:[0,1]
	v_pk_add_f32 v[96:97], v[96:97], v[124:125] neg_lo:[0,1] neg_hi:[0,1]
	s_wait_dscnt 0x0
	v_pk_mul_f32 v[124:125], v[120:121], v[112:113] op_sel:[0,1]
	s_delay_alu instid0(VALU_DEP_1) | instskip(SKIP_2) | instid1(VALU_DEP_2)
	v_pk_fma_f32 v[126:127], v[120:121], v[110:111], v[124:125] op_sel:[0,0,1] op_sel_hi:[1,1,0] neg_lo:[0,0,1] neg_hi:[0,0,1]
	v_pk_fma_f32 v[120:121], v[120:121], v[110:111], v[124:125] op_sel:[0,0,1] op_sel_hi:[1,0,0]
	v_dual_mul_f32 v124, v123, v113 :: v_dual_mov_b32 v120, v123
	v_dual_mov_b32 v127, v121 :: v_dual_mov_b32 v121, v122
	s_delay_alu instid0(VALU_DEP_2) | instskip(SKIP_1) | instid1(VALU_DEP_3)
	v_pk_fma_f32 v[124:125], v[122:123], v[98:99], v[124:125] op_sel_hi:[1,1,0] neg_lo:[0,0,1] neg_hi:[0,0,1]
	v_mul_f32_e32 v122, v123, v110
	v_pk_add_f32 v[38:39], v[38:39], v[126:127] neg_lo:[0,1] neg_hi:[0,1]
	s_delay_alu instid0(VALU_DEP_2) | instskip(NEXT) | instid1(VALU_DEP_1)
	v_pk_fma_f32 v[120:121], v[120:121], v[98:99], v[122:123] op_sel_hi:[1,1,0]
	v_mov_b32_e32 v125, v121
	ds_load_2addr_b64 v[120:123], v114 offset0:13 offset1:14
	v_pk_add_f32 v[92:93], v[92:93], v[124:125] neg_lo:[0,1] neg_hi:[0,1]
	s_wait_dscnt 0x0
	v_pk_mul_f32 v[124:125], v[120:121], v[112:113] op_sel:[0,1]
	s_delay_alu instid0(VALU_DEP_1) | instskip(SKIP_1) | instid1(VALU_DEP_1)
	v_pk_fma_f32 v[126:127], v[120:121], v[110:111], v[124:125] op_sel:[0,0,1] op_sel_hi:[1,1,0] neg_lo:[0,0,1] neg_hi:[0,0,1]
	v_pk_fma_f32 v[120:121], v[120:121], v[110:111], v[124:125] op_sel:[0,0,1] op_sel_hi:[1,0,0]
	v_mov_b32_e32 v127, v121
	v_pk_mul_f32 v[120:121], v[122:123], v[112:113] op_sel:[0,1]
	s_delay_alu instid0(VALU_DEP_1) | instskip(SKIP_1) | instid1(VALU_DEP_1)
	v_pk_fma_f32 v[124:125], v[122:123], v[110:111], v[120:121] op_sel:[0,0,1] op_sel_hi:[1,1,0] neg_lo:[0,0,1] neg_hi:[0,0,1]
	v_pk_fma_f32 v[120:121], v[122:123], v[110:111], v[120:121] op_sel:[0,0,1] op_sel_hi:[1,0,0]
	v_mov_b32_e32 v125, v121
	ds_load_2addr_b64 v[120:123], v114 offset0:15 offset1:16
	v_pk_add_f32 v[88:89], v[88:89], v[126:127] neg_lo:[0,1] neg_hi:[0,1]
	v_pk_add_f32 v[90:91], v[90:91], v[124:125] neg_lo:[0,1] neg_hi:[0,1]
	s_wait_dscnt 0x0
	v_pk_mul_f32 v[124:125], v[120:121], v[112:113] op_sel:[0,1]
	s_delay_alu instid0(VALU_DEP_1) | instskip(SKIP_1) | instid1(VALU_DEP_1)
	v_pk_fma_f32 v[126:127], v[120:121], v[110:111], v[124:125] op_sel:[0,0,1] op_sel_hi:[1,1,0] neg_lo:[0,0,1] neg_hi:[0,0,1]
	v_pk_fma_f32 v[120:121], v[120:121], v[110:111], v[124:125] op_sel:[0,0,1] op_sel_hi:[1,0,0]
	v_mov_b32_e32 v127, v121
	v_pk_mul_f32 v[120:121], v[122:123], v[112:113] op_sel:[0,1]
	s_delay_alu instid0(VALU_DEP_1) | instskip(SKIP_1) | instid1(VALU_DEP_1)
	v_pk_fma_f32 v[124:125], v[122:123], v[110:111], v[120:121] op_sel:[0,0,1] op_sel_hi:[1,1,0] neg_lo:[0,0,1] neg_hi:[0,0,1]
	v_pk_fma_f32 v[120:121], v[122:123], v[110:111], v[120:121] op_sel:[0,0,1] op_sel_hi:[1,0,0]
	v_mov_b32_e32 v125, v121
	ds_load_2addr_b64 v[120:123], v114 offset0:17 offset1:18
	v_pk_add_f32 v[32:33], v[32:33], v[126:127] neg_lo:[0,1] neg_hi:[0,1]
	v_pk_add_f32 v[80:81], v[80:81], v[124:125] neg_lo:[0,1] neg_hi:[0,1]
	s_wait_dscnt 0x0
	v_dual_mul_f32 v124, v121, v113 :: v_dual_mul_f32 v126, v121, v110
	s_delay_alu instid0(VALU_DEP_1) | instskip(NEXT) | instid1(VALU_DEP_2)
	v_pk_fma_f32 v[124:125], v[120:121], v[98:99], v[124:125] op_sel_hi:[1,1,0] neg_lo:[0,0,1] neg_hi:[0,0,1]
	v_pk_fma_f32 v[120:121], v[120:121], v[98:99], v[126:127] op_sel:[1,0,0] op_sel_hi:[0,1,0]
	s_delay_alu instid0(VALU_DEP_1) | instskip(SKIP_1) | instid1(VALU_DEP_2)
	v_mov_b32_e32 v125, v121
	v_pk_mul_f32 v[120:121], v[122:123], v[112:113] op_sel:[0,1]
	v_pk_add_f32 v[76:77], v[76:77], v[124:125] neg_lo:[0,1] neg_hi:[0,1]
	s_delay_alu instid0(VALU_DEP_2) | instskip(SKIP_1) | instid1(VALU_DEP_1)
	v_pk_fma_f32 v[124:125], v[122:123], v[110:111], v[120:121] op_sel:[0,0,1] op_sel_hi:[1,1,0] neg_lo:[0,0,1] neg_hi:[0,0,1]
	v_pk_fma_f32 v[120:121], v[122:123], v[110:111], v[120:121] op_sel:[0,0,1] op_sel_hi:[1,0,0]
	v_mov_b32_e32 v125, v121
	ds_load_2addr_b64 v[120:123], v114 offset0:19 offset1:20
	v_pk_add_f32 v[78:79], v[78:79], v[124:125] neg_lo:[0,1] neg_hi:[0,1]
	s_wait_dscnt 0x0
	v_pk_mul_f32 v[124:125], v[120:121], v[112:113] op_sel:[0,1]
	s_delay_alu instid0(VALU_DEP_1) | instskip(SKIP_1) | instid1(VALU_DEP_1)
	v_pk_fma_f32 v[126:127], v[120:121], v[110:111], v[124:125] op_sel:[0,0,1] op_sel_hi:[1,1,0] neg_lo:[0,0,1] neg_hi:[0,0,1]
	v_pk_fma_f32 v[120:121], v[120:121], v[110:111], v[124:125] op_sel:[0,0,1] op_sel_hi:[1,0,0]
	v_mov_b32_e32 v127, v121
	v_pk_mul_f32 v[120:121], v[122:123], v[112:113] op_sel:[0,1]
	s_delay_alu instid0(VALU_DEP_2) | instskip(NEXT) | instid1(VALU_DEP_2)
	v_pk_add_f32 v[24:25], v[24:25], v[126:127] neg_lo:[0,1] neg_hi:[0,1]
	v_pk_fma_f32 v[124:125], v[122:123], v[110:111], v[120:121] op_sel:[0,0,1] op_sel_hi:[1,1,0] neg_lo:[0,0,1] neg_hi:[0,0,1]
	v_pk_fma_f32 v[120:121], v[122:123], v[110:111], v[120:121] op_sel:[0,0,1] op_sel_hi:[1,0,0]
	s_delay_alu instid0(VALU_DEP_1) | instskip(SKIP_4) | instid1(VALU_DEP_1)
	v_mov_b32_e32 v125, v121
	ds_load_2addr_b64 v[120:123], v114 offset0:21 offset1:22
	v_pk_add_f32 v[74:75], v[74:75], v[124:125] neg_lo:[0,1] neg_hi:[0,1]
	s_wait_dscnt 0x0
	v_pk_mul_f32 v[124:125], v[120:121], v[112:113] op_sel:[0,1]
	v_pk_fma_f32 v[126:127], v[120:121], v[110:111], v[124:125] op_sel:[0,0,1] op_sel_hi:[1,1,0] neg_lo:[0,0,1] neg_hi:[0,0,1]
	v_pk_fma_f32 v[120:121], v[120:121], v[110:111], v[124:125] op_sel:[0,0,1] op_sel_hi:[1,0,0]
	v_dual_mul_f32 v124, v123, v113 :: v_dual_mov_b32 v120, v123
	s_delay_alu instid0(VALU_DEP_2) | instskip(NEXT) | instid1(VALU_DEP_2)
	v_dual_mov_b32 v127, v121 :: v_dual_mov_b32 v121, v122
	v_pk_fma_f32 v[124:125], v[122:123], v[98:99], v[124:125] op_sel_hi:[1,1,0] neg_lo:[0,0,1] neg_hi:[0,0,1]
	v_mul_f32_e32 v122, v123, v110
	s_delay_alu instid0(VALU_DEP_3) | instskip(NEXT) | instid1(VALU_DEP_2)
	v_pk_add_f32 v[70:71], v[70:71], v[126:127] neg_lo:[0,1] neg_hi:[0,1]
	v_pk_fma_f32 v[120:121], v[120:121], v[98:99], v[122:123] op_sel_hi:[1,1,0]
	s_delay_alu instid0(VALU_DEP_1) | instskip(SKIP_4) | instid1(VALU_DEP_1)
	v_mov_b32_e32 v125, v121
	ds_load_2addr_b64 v[120:123], v114 offset0:23 offset1:24
	v_pk_add_f32 v[72:73], v[72:73], v[124:125] neg_lo:[0,1] neg_hi:[0,1]
	s_wait_dscnt 0x0
	v_pk_mul_f32 v[124:125], v[120:121], v[112:113] op_sel:[0,1]
	v_pk_fma_f32 v[126:127], v[120:121], v[110:111], v[124:125] op_sel:[0,0,1] op_sel_hi:[1,1,0] neg_lo:[0,0,1] neg_hi:[0,0,1]
	v_pk_fma_f32 v[120:121], v[120:121], v[110:111], v[124:125] op_sel:[0,0,1] op_sel_hi:[1,0,0]
	s_delay_alu instid0(VALU_DEP_1) | instskip(SKIP_1) | instid1(VALU_DEP_1)
	v_mov_b32_e32 v127, v121
	v_pk_mul_f32 v[120:121], v[122:123], v[112:113] op_sel:[0,1]
	v_pk_fma_f32 v[124:125], v[122:123], v[110:111], v[120:121] op_sel:[0,0,1] op_sel_hi:[1,1,0] neg_lo:[0,0,1] neg_hi:[0,0,1]
	v_pk_fma_f32 v[120:121], v[122:123], v[110:111], v[120:121] op_sel:[0,0,1] op_sel_hi:[1,0,0]
	s_delay_alu instid0(VALU_DEP_1)
	v_mov_b32_e32 v125, v121
	ds_load_2addr_b64 v[120:123], v114 offset0:25 offset1:26
	v_pk_add_f32 v[22:23], v[22:23], v[126:127] neg_lo:[0,1] neg_hi:[0,1]
	v_pk_add_f32 v[68:69], v[68:69], v[124:125] neg_lo:[0,1] neg_hi:[0,1]
	s_wait_dscnt 0x0
	v_pk_mul_f32 v[124:125], v[120:121], v[112:113] op_sel:[0,1]
	s_delay_alu instid0(VALU_DEP_1) | instskip(SKIP_1) | instid1(VALU_DEP_1)
	v_pk_fma_f32 v[126:127], v[120:121], v[110:111], v[124:125] op_sel:[0,0,1] op_sel_hi:[1,1,0] neg_lo:[0,0,1] neg_hi:[0,0,1]
	v_pk_fma_f32 v[120:121], v[120:121], v[110:111], v[124:125] op_sel:[0,0,1] op_sel_hi:[1,0,0]
	v_mov_b32_e32 v127, v121
	v_pk_mul_f32 v[120:121], v[122:123], v[112:113] op_sel:[0,1]
	s_delay_alu instid0(VALU_DEP_1) | instskip(SKIP_1) | instid1(VALU_DEP_1)
	v_pk_fma_f32 v[124:125], v[122:123], v[110:111], v[120:121] op_sel:[0,0,1] op_sel_hi:[1,1,0] neg_lo:[0,0,1] neg_hi:[0,0,1]
	v_pk_fma_f32 v[120:121], v[122:123], v[110:111], v[120:121] op_sel:[0,0,1] op_sel_hi:[1,0,0]
	v_mov_b32_e32 v125, v121
	ds_load_2addr_b64 v[120:123], v114 offset0:27 offset1:28
	v_pk_add_f32 v[64:65], v[64:65], v[126:127] neg_lo:[0,1] neg_hi:[0,1]
	v_pk_add_f32 v[66:67], v[66:67], v[124:125] neg_lo:[0,1] neg_hi:[0,1]
	s_wait_dscnt 0x0
	v_dual_mul_f32 v124, v121, v113 :: v_dual_mul_f32 v126, v121, v110
	s_delay_alu instid0(VALU_DEP_1) | instskip(NEXT) | instid1(VALU_DEP_2)
	v_pk_fma_f32 v[124:125], v[120:121], v[98:99], v[124:125] op_sel_hi:[1,1,0] neg_lo:[0,0,1] neg_hi:[0,0,1]
	v_pk_fma_f32 v[120:121], v[120:121], v[98:99], v[126:127] op_sel:[1,0,0] op_sel_hi:[0,1,0]
	s_delay_alu instid0(VALU_DEP_1) | instskip(SKIP_1) | instid1(VALU_DEP_2)
	v_mov_b32_e32 v125, v121
	v_pk_mul_f32 v[120:121], v[122:123], v[112:113] op_sel:[0,1]
	v_pk_add_f32 v[20:21], v[20:21], v[124:125] neg_lo:[0,1] neg_hi:[0,1]
	s_delay_alu instid0(VALU_DEP_2) | instskip(SKIP_1) | instid1(VALU_DEP_1)
	v_pk_fma_f32 v[124:125], v[122:123], v[110:111], v[120:121] op_sel:[0,0,1] op_sel_hi:[1,1,0] neg_lo:[0,0,1] neg_hi:[0,0,1]
	v_pk_fma_f32 v[120:121], v[122:123], v[110:111], v[120:121] op_sel:[0,0,1] op_sel_hi:[1,0,0]
	v_mov_b32_e32 v125, v121
	ds_load_2addr_b64 v[120:123], v114 offset0:29 offset1:30
	v_pk_add_f32 v[62:63], v[62:63], v[124:125] neg_lo:[0,1] neg_hi:[0,1]
	s_wait_dscnt 0x0
	v_pk_mul_f32 v[124:125], v[120:121], v[112:113] op_sel:[0,1]
	s_delay_alu instid0(VALU_DEP_1) | instskip(SKIP_1) | instid1(VALU_DEP_1)
	v_pk_fma_f32 v[126:127], v[120:121], v[110:111], v[124:125] op_sel:[0,0,1] op_sel_hi:[1,1,0] neg_lo:[0,0,1] neg_hi:[0,0,1]
	v_pk_fma_f32 v[120:121], v[120:121], v[110:111], v[124:125] op_sel:[0,0,1] op_sel_hi:[1,0,0]
	v_mov_b32_e32 v127, v121
	v_pk_mul_f32 v[120:121], v[122:123], v[112:113] op_sel:[0,1]
	s_delay_alu instid0(VALU_DEP_2) | instskip(NEXT) | instid1(VALU_DEP_2)
	v_pk_add_f32 v[58:59], v[58:59], v[126:127] neg_lo:[0,1] neg_hi:[0,1]
	v_pk_fma_f32 v[124:125], v[122:123], v[110:111], v[120:121] op_sel:[0,0,1] op_sel_hi:[1,1,0] neg_lo:[0,0,1] neg_hi:[0,0,1]
	v_pk_fma_f32 v[120:121], v[122:123], v[110:111], v[120:121] op_sel:[0,0,1] op_sel_hi:[1,0,0]
	s_delay_alu instid0(VALU_DEP_1) | instskip(SKIP_4) | instid1(VALU_DEP_1)
	v_mov_b32_e32 v125, v121
	ds_load_2addr_b64 v[120:123], v114 offset0:31 offset1:32
	v_pk_add_f32 v[60:61], v[60:61], v[124:125] neg_lo:[0,1] neg_hi:[0,1]
	s_wait_dscnt 0x0
	v_pk_mul_f32 v[124:125], v[120:121], v[112:113] op_sel:[0,1]
	v_pk_fma_f32 v[126:127], v[120:121], v[110:111], v[124:125] op_sel:[0,0,1] op_sel_hi:[1,1,0] neg_lo:[0,0,1] neg_hi:[0,0,1]
	v_pk_fma_f32 v[120:121], v[120:121], v[110:111], v[124:125] op_sel:[0,0,1] op_sel_hi:[1,0,0]
	v_dual_mul_f32 v124, v123, v113 :: v_dual_mov_b32 v120, v123
	s_delay_alu instid0(VALU_DEP_2) | instskip(NEXT) | instid1(VALU_DEP_2)
	v_dual_mov_b32 v127, v121 :: v_dual_mov_b32 v121, v122
	v_pk_fma_f32 v[124:125], v[122:123], v[98:99], v[124:125] op_sel_hi:[1,1,0] neg_lo:[0,0,1] neg_hi:[0,0,1]
	v_mul_f32_e32 v122, v123, v110
	s_delay_alu instid0(VALU_DEP_3) | instskip(NEXT) | instid1(VALU_DEP_2)
	v_pk_add_f32 v[18:19], v[18:19], v[126:127] neg_lo:[0,1] neg_hi:[0,1]
	v_pk_fma_f32 v[120:121], v[120:121], v[98:99], v[122:123] op_sel_hi:[1,1,0]
	s_delay_alu instid0(VALU_DEP_1) | instskip(SKIP_4) | instid1(VALU_DEP_1)
	v_mov_b32_e32 v125, v121
	ds_load_2addr_b64 v[120:123], v114 offset0:33 offset1:34
	v_pk_add_f32 v[56:57], v[56:57], v[124:125] neg_lo:[0,1] neg_hi:[0,1]
	s_wait_dscnt 0x0
	v_pk_mul_f32 v[124:125], v[120:121], v[112:113] op_sel:[0,1]
	v_pk_fma_f32 v[126:127], v[120:121], v[110:111], v[124:125] op_sel:[0,0,1] op_sel_hi:[1,1,0] neg_lo:[0,0,1] neg_hi:[0,0,1]
	v_pk_fma_f32 v[120:121], v[120:121], v[110:111], v[124:125] op_sel:[0,0,1] op_sel_hi:[1,0,0]
	s_delay_alu instid0(VALU_DEP_1) | instskip(SKIP_1) | instid1(VALU_DEP_1)
	v_mov_b32_e32 v127, v121
	v_pk_mul_f32 v[120:121], v[122:123], v[112:113] op_sel:[0,1]
	v_pk_fma_f32 v[124:125], v[122:123], v[110:111], v[120:121] op_sel:[0,0,1] op_sel_hi:[1,1,0] neg_lo:[0,0,1] neg_hi:[0,0,1]
	v_pk_fma_f32 v[120:121], v[122:123], v[110:111], v[120:121] op_sel:[0,0,1] op_sel_hi:[1,0,0]
	s_delay_alu instid0(VALU_DEP_1)
	v_mov_b32_e32 v125, v121
	ds_load_2addr_b64 v[120:123], v114 offset0:35 offset1:36
	v_pk_add_f32 v[52:53], v[52:53], v[126:127] neg_lo:[0,1] neg_hi:[0,1]
	v_pk_add_f32 v[54:55], v[54:55], v[124:125] neg_lo:[0,1] neg_hi:[0,1]
	s_wait_dscnt 0x0
	v_pk_mul_f32 v[124:125], v[120:121], v[112:113] op_sel:[0,1]
	s_delay_alu instid0(VALU_DEP_1) | instskip(SKIP_1) | instid1(VALU_DEP_1)
	v_pk_fma_f32 v[126:127], v[120:121], v[110:111], v[124:125] op_sel:[0,0,1] op_sel_hi:[1,1,0] neg_lo:[0,0,1] neg_hi:[0,0,1]
	v_pk_fma_f32 v[120:121], v[120:121], v[110:111], v[124:125] op_sel:[0,0,1] op_sel_hi:[1,0,0]
	v_mov_b32_e32 v127, v121
	v_pk_mul_f32 v[120:121], v[122:123], v[112:113] op_sel:[0,1]
	s_delay_alu instid0(VALU_DEP_1) | instskip(SKIP_1) | instid1(VALU_DEP_1)
	v_pk_fma_f32 v[124:125], v[122:123], v[110:111], v[120:121] op_sel:[0,0,1] op_sel_hi:[1,1,0] neg_lo:[0,0,1] neg_hi:[0,0,1]
	v_pk_fma_f32 v[120:121], v[122:123], v[110:111], v[120:121] op_sel:[0,0,1] op_sel_hi:[1,0,0]
	v_mov_b32_e32 v125, v121
	ds_load_2addr_b64 v[120:123], v114 offset0:37 offset1:38
	v_pk_add_f32 v[12:13], v[12:13], v[126:127] neg_lo:[0,1] neg_hi:[0,1]
	v_pk_add_f32 v[50:51], v[50:51], v[124:125] neg_lo:[0,1] neg_hi:[0,1]
	s_wait_dscnt 0x0
	v_dual_mul_f32 v124, v121, v113 :: v_dual_mul_f32 v126, v121, v110
	s_delay_alu instid0(VALU_DEP_1) | instskip(NEXT) | instid1(VALU_DEP_2)
	v_pk_fma_f32 v[124:125], v[120:121], v[98:99], v[124:125] op_sel_hi:[1,1,0] neg_lo:[0,0,1] neg_hi:[0,0,1]
	v_pk_fma_f32 v[120:121], v[120:121], v[98:99], v[126:127] op_sel:[1,0,0] op_sel_hi:[0,1,0]
	s_delay_alu instid0(VALU_DEP_1) | instskip(SKIP_1) | instid1(VALU_DEP_2)
	v_mov_b32_e32 v125, v121
	v_pk_mul_f32 v[120:121], v[122:123], v[112:113] op_sel:[0,1]
	v_pk_add_f32 v[46:47], v[46:47], v[124:125] neg_lo:[0,1] neg_hi:[0,1]
	s_delay_alu instid0(VALU_DEP_2) | instskip(SKIP_1) | instid1(VALU_DEP_1)
	v_pk_fma_f32 v[124:125], v[122:123], v[110:111], v[120:121] op_sel:[0,0,1] op_sel_hi:[1,1,0] neg_lo:[0,0,1] neg_hi:[0,0,1]
	v_pk_fma_f32 v[120:121], v[122:123], v[110:111], v[120:121] op_sel:[0,0,1] op_sel_hi:[1,0,0]
	v_mov_b32_e32 v125, v121
	ds_load_2addr_b64 v[120:123], v114 offset0:39 offset1:40
	v_pk_add_f32 v[48:49], v[48:49], v[124:125] neg_lo:[0,1] neg_hi:[0,1]
	s_wait_dscnt 0x0
	v_pk_mul_f32 v[124:125], v[120:121], v[112:113] op_sel:[0,1]
	s_delay_alu instid0(VALU_DEP_1) | instskip(SKIP_1) | instid1(VALU_DEP_1)
	v_pk_fma_f32 v[126:127], v[120:121], v[110:111], v[124:125] op_sel:[0,0,1] op_sel_hi:[1,1,0] neg_lo:[0,0,1] neg_hi:[0,0,1]
	v_pk_fma_f32 v[120:121], v[120:121], v[110:111], v[124:125] op_sel:[0,0,1] op_sel_hi:[1,0,0]
	v_mov_b32_e32 v127, v121
	v_pk_mul_f32 v[120:121], v[122:123], v[112:113] op_sel:[0,1]
	s_delay_alu instid0(VALU_DEP_2) | instskip(NEXT) | instid1(VALU_DEP_2)
	v_pk_add_f32 v[10:11], v[10:11], v[126:127] neg_lo:[0,1] neg_hi:[0,1]
	v_pk_fma_f32 v[124:125], v[122:123], v[110:111], v[120:121] op_sel:[0,0,1] op_sel_hi:[1,1,0] neg_lo:[0,0,1] neg_hi:[0,0,1]
	v_pk_fma_f32 v[120:121], v[122:123], v[110:111], v[120:121] op_sel:[0,0,1] op_sel_hi:[1,0,0]
	s_delay_alu instid0(VALU_DEP_1) | instskip(SKIP_4) | instid1(VALU_DEP_1)
	v_mov_b32_e32 v125, v121
	ds_load_2addr_b64 v[120:123], v114 offset0:41 offset1:42
	v_pk_add_f32 v[44:45], v[44:45], v[124:125] neg_lo:[0,1] neg_hi:[0,1]
	s_wait_dscnt 0x0
	v_pk_mul_f32 v[124:125], v[120:121], v[112:113] op_sel:[0,1]
	v_pk_fma_f32 v[126:127], v[120:121], v[110:111], v[124:125] op_sel:[0,0,1] op_sel_hi:[1,1,0] neg_lo:[0,0,1] neg_hi:[0,0,1]
	v_pk_fma_f32 v[120:121], v[120:121], v[110:111], v[124:125] op_sel:[0,0,1] op_sel_hi:[1,0,0]
	v_dual_mul_f32 v124, v123, v113 :: v_dual_mov_b32 v120, v123
	s_delay_alu instid0(VALU_DEP_2) | instskip(NEXT) | instid1(VALU_DEP_2)
	v_dual_mov_b32 v127, v121 :: v_dual_mov_b32 v121, v122
	v_pk_fma_f32 v[124:125], v[122:123], v[98:99], v[124:125] op_sel_hi:[1,1,0] neg_lo:[0,0,1] neg_hi:[0,0,1]
	v_mul_f32_e32 v122, v123, v110
	s_delay_alu instid0(VALU_DEP_3) | instskip(NEXT) | instid1(VALU_DEP_2)
	v_pk_add_f32 v[40:41], v[40:41], v[126:127] neg_lo:[0,1] neg_hi:[0,1]
	v_pk_fma_f32 v[120:121], v[120:121], v[98:99], v[122:123] op_sel_hi:[1,1,0]
	s_delay_alu instid0(VALU_DEP_1) | instskip(SKIP_4) | instid1(VALU_DEP_1)
	v_mov_b32_e32 v125, v121
	ds_load_2addr_b64 v[120:123], v114 offset0:43 offset1:44
	v_pk_add_f32 v[42:43], v[42:43], v[124:125] neg_lo:[0,1] neg_hi:[0,1]
	s_wait_dscnt 0x0
	v_pk_mul_f32 v[124:125], v[120:121], v[112:113] op_sel:[0,1]
	v_pk_fma_f32 v[126:127], v[120:121], v[110:111], v[124:125] op_sel:[0,0,1] op_sel_hi:[1,1,0] neg_lo:[0,0,1] neg_hi:[0,0,1]
	v_pk_fma_f32 v[120:121], v[120:121], v[110:111], v[124:125] op_sel:[0,0,1] op_sel_hi:[1,0,0]
	s_delay_alu instid0(VALU_DEP_1) | instskip(SKIP_1) | instid1(VALU_DEP_1)
	v_mov_b32_e32 v127, v121
	v_pk_mul_f32 v[120:121], v[122:123], v[112:113] op_sel:[0,1]
	v_pk_fma_f32 v[124:125], v[122:123], v[110:111], v[120:121] op_sel:[0,0,1] op_sel_hi:[1,1,0] neg_lo:[0,0,1] neg_hi:[0,0,1]
	v_pk_fma_f32 v[120:121], v[122:123], v[110:111], v[120:121] op_sel:[0,0,1] op_sel_hi:[1,0,0]
	s_delay_alu instid0(VALU_DEP_1)
	v_mov_b32_e32 v125, v121
	ds_load_2addr_b64 v[120:123], v114 offset0:45 offset1:46
	v_pk_add_f32 v[6:7], v[6:7], v[126:127] neg_lo:[0,1] neg_hi:[0,1]
	v_pk_add_f32 v[36:37], v[36:37], v[124:125] neg_lo:[0,1] neg_hi:[0,1]
	s_wait_dscnt 0x0
	v_pk_mul_f32 v[124:125], v[120:121], v[112:113] op_sel:[0,1]
	s_delay_alu instid0(VALU_DEP_1) | instskip(SKIP_1) | instid1(VALU_DEP_1)
	v_pk_fma_f32 v[126:127], v[120:121], v[110:111], v[124:125] op_sel:[0,0,1] op_sel_hi:[1,1,0] neg_lo:[0,0,1] neg_hi:[0,0,1]
	v_pk_fma_f32 v[120:121], v[120:121], v[110:111], v[124:125] op_sel:[0,0,1] op_sel_hi:[1,0,0]
	v_mov_b32_e32 v127, v121
	v_pk_mul_f32 v[120:121], v[122:123], v[112:113] op_sel:[0,1]
	s_delay_alu instid0(VALU_DEP_1) | instskip(SKIP_1) | instid1(VALU_DEP_1)
	v_pk_fma_f32 v[124:125], v[122:123], v[110:111], v[120:121] op_sel:[0,0,1] op_sel_hi:[1,1,0] neg_lo:[0,0,1] neg_hi:[0,0,1]
	v_pk_fma_f32 v[120:121], v[122:123], v[110:111], v[120:121] op_sel:[0,0,1] op_sel_hi:[1,0,0]
	v_mov_b32_e32 v125, v121
	ds_load_2addr_b64 v[120:123], v114 offset0:47 offset1:48
	v_pk_add_f32 v[30:31], v[30:31], v[126:127] neg_lo:[0,1] neg_hi:[0,1]
	v_pk_add_f32 v[34:35], v[34:35], v[124:125] neg_lo:[0,1] neg_hi:[0,1]
	s_wait_dscnt 0x0
	v_dual_mul_f32 v124, v121, v113 :: v_dual_mul_f32 v126, v121, v110
	s_delay_alu instid0(VALU_DEP_1) | instskip(NEXT) | instid1(VALU_DEP_2)
	v_pk_fma_f32 v[124:125], v[120:121], v[98:99], v[124:125] op_sel_hi:[1,1,0] neg_lo:[0,0,1] neg_hi:[0,0,1]
	v_pk_fma_f32 v[120:121], v[120:121], v[98:99], v[126:127] op_sel:[1,0,0] op_sel_hi:[0,1,0]
	s_delay_alu instid0(VALU_DEP_1) | instskip(SKIP_1) | instid1(VALU_DEP_2)
	v_mov_b32_e32 v125, v121
	v_pk_mul_f32 v[120:121], v[122:123], v[112:113] op_sel:[0,1]
	v_pk_add_f32 v[8:9], v[8:9], v[124:125] neg_lo:[0,1] neg_hi:[0,1]
	s_delay_alu instid0(VALU_DEP_2) | instskip(SKIP_1) | instid1(VALU_DEP_1)
	v_pk_fma_f32 v[124:125], v[122:123], v[110:111], v[120:121] op_sel:[0,0,1] op_sel_hi:[1,1,0] neg_lo:[0,0,1] neg_hi:[0,0,1]
	v_pk_fma_f32 v[120:121], v[122:123], v[110:111], v[120:121] op_sel:[0,0,1] op_sel_hi:[1,0,0]
	v_mov_b32_e32 v125, v121
	ds_load_2addr_b64 v[120:123], v114 offset0:49 offset1:50
	v_pk_add_f32 v[28:29], v[28:29], v[124:125] neg_lo:[0,1] neg_hi:[0,1]
	s_wait_dscnt 0x0
	v_pk_mul_f32 v[124:125], v[120:121], v[112:113] op_sel:[0,1]
	s_delay_alu instid0(VALU_DEP_1) | instskip(SKIP_1) | instid1(VALU_DEP_1)
	v_pk_fma_f32 v[126:127], v[120:121], v[110:111], v[124:125] op_sel:[0,0,1] op_sel_hi:[1,1,0] neg_lo:[0,0,1] neg_hi:[0,0,1]
	v_pk_fma_f32 v[120:121], v[120:121], v[110:111], v[124:125] op_sel:[0,0,1] op_sel_hi:[1,0,0]
	v_mov_b32_e32 v127, v121
	v_pk_mul_f32 v[120:121], v[122:123], v[112:113] op_sel:[0,1]
	s_delay_alu instid0(VALU_DEP_2) | instskip(NEXT) | instid1(VALU_DEP_2)
	v_pk_add_f32 v[16:17], v[16:17], v[126:127] neg_lo:[0,1] neg_hi:[0,1]
	v_pk_fma_f32 v[124:125], v[122:123], v[110:111], v[120:121] op_sel:[0,0,1] op_sel_hi:[1,1,0] neg_lo:[0,0,1] neg_hi:[0,0,1]
	v_pk_fma_f32 v[120:121], v[122:123], v[110:111], v[120:121] op_sel:[0,0,1] op_sel_hi:[1,0,0]
	s_delay_alu instid0(VALU_DEP_1) | instskip(SKIP_4) | instid1(VALU_DEP_1)
	v_mov_b32_e32 v125, v121
	ds_load_b64 v[120:121], v114 offset:408
	v_pk_add_f32 v[14:15], v[14:15], v[124:125] neg_lo:[0,1] neg_hi:[0,1]
	s_wait_dscnt 0x0
	v_pk_mul_f32 v[112:113], v[120:121], v[112:113] op_sel:[0,1]
	v_pk_fma_f32 v[122:123], v[120:121], v[110:111], v[112:113] op_sel:[0,0,1] op_sel_hi:[1,1,0] neg_lo:[0,0,1] neg_hi:[0,0,1]
	v_pk_fma_f32 v[110:111], v[120:121], v[110:111], v[112:113] op_sel:[0,0,1] op_sel_hi:[1,0,0]
	s_delay_alu instid0(VALU_DEP_1) | instskip(NEXT) | instid1(VALU_DEP_1)
	v_mov_b32_e32 v123, v111
	v_pk_add_f32 v[108:109], v[108:109], v[122:123] neg_lo:[0,1] neg_hi:[0,1]
.LBB102_188:
	s_or_b32 exec_lo, exec_lo, s0
	v_lshl_add_u32 v110, v118, 3, v114
	s_barrier_signal -1
	s_barrier_wait -1
	ds_store_b64 v110, v[94:95]
	s_wait_dscnt 0x0
	s_barrier_signal -1
	s_barrier_wait -1
	ds_load_b64 v[112:113], v114 offset:72
	v_mov_b32_e32 v110, 9
	s_cmp_lt_i32 s18, 11
	s_cbranch_scc1 .LBB102_191
; %bb.189:
	v_add3_u32 v111, v115, 0, 0x50
	v_mov_b32_e32 v110, 9
	s_mov_b32 s0, 10
.LBB102_190:                            ; =>This Inner Loop Header: Depth=1
	ds_load_b64 v[120:121], v111
	s_wait_dscnt 0x1
	v_cmp_gt_f32_e32 vcc_lo, 0, v112
	v_cndmask_b32_e64 v122, v112, -v112, vcc_lo
	v_cmp_gt_f32_e32 vcc_lo, 0, v113
	v_cndmask_b32_e64 v124, v113, -v113, vcc_lo
	s_wait_dscnt 0x0
	v_cmp_gt_f32_e32 vcc_lo, 0, v120
	v_cndmask_b32_e64 v123, v120, -v120, vcc_lo
	v_cmp_gt_f32_e32 vcc_lo, 0, v121
	v_cndmask_b32_e64 v125, v121, -v121, vcc_lo
	s_delay_alu instid0(VALU_DEP_1) | instskip(NEXT) | instid1(VALU_DEP_1)
	v_pk_add_f32 v[122:123], v[122:123], v[124:125]
	v_cmp_lt_f32_e32 vcc_lo, v122, v123
	v_dual_add_nc_u32 v111, 8, v111 :: v_dual_cndmask_b32 v113, v113, v121, vcc_lo
	v_cndmask_b32_e32 v112, v112, v120, vcc_lo
	v_cndmask_b32_e64 v110, v110, s0, vcc_lo
	s_add_co_i32 s0, s0, 1
	s_delay_alu instid0(SALU_CYCLE_1)
	s_cmp_lg_u32 s18, s0
	s_cbranch_scc1 .LBB102_190
.LBB102_191:
	s_wait_dscnt 0x0
	v_cmp_eq_f32_e32 vcc_lo, 0, v112
	v_cmp_eq_f32_e64 s0, 0, v113
	s_and_b32 s0, vcc_lo, s0
	s_delay_alu instid0(SALU_CYCLE_1) | instskip(NEXT) | instid1(SALU_CYCLE_1)
	s_and_saveexec_b32 s1, s0
	s_xor_b32 s0, exec_lo, s1
; %bb.192:
	v_cmp_ne_u32_e32 vcc_lo, 0, v116
	v_cndmask_b32_e32 v116, 10, v116, vcc_lo
; %bb.193:
	s_and_not1_saveexec_b32 s0, s0
	s_cbranch_execz .LBB102_199
; %bb.194:
	v_cmp_ngt_f32_e64 s1, |v112|, |v113|
	s_and_saveexec_b32 s12, s1
	s_delay_alu instid0(SALU_CYCLE_1)
	s_xor_b32 s1, exec_lo, s12
	s_cbranch_execz .LBB102_196
; %bb.195:
	v_div_scale_f32 v111, null, v113, v113, v112
	v_div_scale_f32 v121, vcc_lo, v112, v113, v112
	s_delay_alu instid0(VALU_DEP_2) | instskip(SKIP_1) | instid1(TRANS32_DEP_1)
	v_rcp_f32_e32 v119, v111
	v_nop
	v_fma_f32 v120, -v111, v119, 1.0
	s_delay_alu instid0(VALU_DEP_1) | instskip(NEXT) | instid1(VALU_DEP_1)
	v_fmac_f32_e32 v119, v120, v119
	v_mul_f32_e32 v120, v121, v119
	s_delay_alu instid0(VALU_DEP_1) | instskip(NEXT) | instid1(VALU_DEP_1)
	v_fma_f32 v122, -v111, v120, v121
	v_fmac_f32_e32 v120, v122, v119
	s_delay_alu instid0(VALU_DEP_1) | instskip(NEXT) | instid1(VALU_DEP_1)
	v_fma_f32 v111, -v111, v120, v121
	v_div_fmas_f32 v111, v111, v119, v120
	s_delay_alu instid0(VALU_DEP_1) | instskip(NEXT) | instid1(VALU_DEP_1)
	v_div_fixup_f32 v111, v111, v113, v112
	v_fmac_f32_e32 v113, v112, v111
	s_delay_alu instid0(VALU_DEP_1) | instskip(SKIP_1) | instid1(VALU_DEP_2)
	v_div_scale_f32 v112, null, v113, v113, 1.0
	v_div_scale_f32 v121, vcc_lo, 1.0, v113, 1.0
	v_rcp_f32_e32 v119, v112
	v_nop
	s_delay_alu instid0(TRANS32_DEP_1) | instskip(NEXT) | instid1(VALU_DEP_1)
	v_fma_f32 v120, -v112, v119, 1.0
	v_fmac_f32_e32 v119, v120, v119
	s_delay_alu instid0(VALU_DEP_1) | instskip(NEXT) | instid1(VALU_DEP_1)
	v_mul_f32_e32 v120, v121, v119
	v_fma_f32 v122, -v112, v120, v121
	s_delay_alu instid0(VALU_DEP_1) | instskip(NEXT) | instid1(VALU_DEP_1)
	v_fmac_f32_e32 v120, v122, v119
	v_fma_f32 v112, -v112, v120, v121
	s_delay_alu instid0(VALU_DEP_1) | instskip(NEXT) | instid1(VALU_DEP_1)
	v_div_fmas_f32 v112, v112, v119, v120
	v_div_fixup_f32 v113, v112, v113, 1.0
	s_delay_alu instid0(VALU_DEP_1)
	v_mul_f32_e32 v112, v111, v113
	v_xor_b32_e32 v113, 0x80000000, v113
.LBB102_196:
	s_and_not1_saveexec_b32 s1, s1
	s_cbranch_execz .LBB102_198
; %bb.197:
	s_delay_alu instid0(VALU_DEP_1) | instskip(SKIP_1) | instid1(VALU_DEP_2)
	v_div_scale_f32 v111, null, v112, v112, v113
	v_div_scale_f32 v121, vcc_lo, v113, v112, v113
	v_rcp_f32_e32 v119, v111
	v_nop
	s_delay_alu instid0(TRANS32_DEP_1) | instskip(NEXT) | instid1(VALU_DEP_1)
	v_fma_f32 v120, -v111, v119, 1.0
	v_fmac_f32_e32 v119, v120, v119
	s_delay_alu instid0(VALU_DEP_1) | instskip(NEXT) | instid1(VALU_DEP_1)
	v_mul_f32_e32 v120, v121, v119
	v_fma_f32 v122, -v111, v120, v121
	s_delay_alu instid0(VALU_DEP_1) | instskip(NEXT) | instid1(VALU_DEP_1)
	v_fmac_f32_e32 v120, v122, v119
	v_fma_f32 v111, -v111, v120, v121
	s_delay_alu instid0(VALU_DEP_1) | instskip(NEXT) | instid1(VALU_DEP_1)
	v_div_fmas_f32 v111, v111, v119, v120
	v_div_fixup_f32 v111, v111, v112, v113
	s_delay_alu instid0(VALU_DEP_1) | instskip(NEXT) | instid1(VALU_DEP_1)
	v_fmac_f32_e32 v112, v113, v111
	v_div_scale_f32 v113, null, v112, v112, 1.0
	s_delay_alu instid0(VALU_DEP_1) | instskip(SKIP_1) | instid1(TRANS32_DEP_1)
	v_rcp_f32_e32 v119, v113
	v_nop
	v_fma_f32 v120, -v113, v119, 1.0
	s_delay_alu instid0(VALU_DEP_1) | instskip(SKIP_1) | instid1(VALU_DEP_1)
	v_fmac_f32_e32 v119, v120, v119
	v_div_scale_f32 v120, vcc_lo, 1.0, v112, 1.0
	v_mul_f32_e32 v121, v120, v119
	s_delay_alu instid0(VALU_DEP_1) | instskip(NEXT) | instid1(VALU_DEP_1)
	v_fma_f32 v122, -v113, v121, v120
	v_fmac_f32_e32 v121, v122, v119
	s_delay_alu instid0(VALU_DEP_1) | instskip(NEXT) | instid1(VALU_DEP_1)
	v_fma_f32 v113, -v113, v121, v120
	v_div_fmas_f32 v113, v113, v119, v121
	s_delay_alu instid0(VALU_DEP_1) | instskip(NEXT) | instid1(VALU_DEP_1)
	v_div_fixup_f32 v112, v113, v112, 1.0
	v_mul_f32_e64 v113, v111, -v112
.LBB102_198:
	s_or_b32 exec_lo, exec_lo, s1
.LBB102_199:
	s_delay_alu instid0(SALU_CYCLE_1) | instskip(NEXT) | instid1(SALU_CYCLE_1)
	s_or_b32 exec_lo, exec_lo, s0
	s_mov_b32 s0, exec_lo
	v_cmpx_ne_u32_e64 v118, v110
	s_xor_b32 s0, exec_lo, s0
	s_cbranch_execz .LBB102_205
; %bb.200:
	s_mov_b32 s1, exec_lo
	v_cmpx_eq_u32_e32 9, v118
	s_cbranch_execz .LBB102_204
; %bb.201:
	v_cmp_ne_u32_e32 vcc_lo, 9, v110
	s_xor_b32 s12, s16, -1
	s_delay_alu instid0(SALU_CYCLE_1) | instskip(NEXT) | instid1(SALU_CYCLE_1)
	s_and_b32 s13, s12, vcc_lo
	s_and_saveexec_b32 s12, s13
	s_cbranch_execz .LBB102_203
; %bb.202:
	v_ashrrev_i32_e32 v111, 31, v110
	s_delay_alu instid0(VALU_DEP_1)
	v_lshl_add_u64 v[118:119], v[110:111], 2, v[4:5]
	s_clause 0x1
	global_load_b32 v111, v[118:119], off
	global_load_b32 v117, v[4:5], off offset:36
	s_wait_loadcnt 0x1
	global_store_b32 v[4:5], v111, off offset:36
	s_wait_loadcnt 0x0
	global_store_b32 v[118:119], v117, off
.LBB102_203:
	s_wait_xcnt 0x0
	s_or_b32 exec_lo, exec_lo, s12
	v_dual_mov_b32 v118, v110 :: v_dual_mov_b32 v117, v110
.LBB102_204:
	s_or_b32 exec_lo, exec_lo, s1
.LBB102_205:
	s_and_not1_saveexec_b32 s0, s0
	s_cbranch_execz .LBB102_207
; %bb.206:
	v_dual_mov_b32 v110, v96 :: v_dual_mov_b32 v111, v97
	v_dual_mov_b32 v118, v38 :: v_dual_mov_b32 v119, v39
	;; [unrolled: 1-line block ×8, first 2 shown]
	ds_store_2addr_b64 v114, v[110:111], v[118:119] offset0:10 offset1:11
	ds_store_2addr_b64 v114, v[120:121], v[122:123] offset0:12 offset1:13
	;; [unrolled: 1-line block ×4, first 2 shown]
	v_dual_mov_b32 v110, v78 :: v_dual_mov_b32 v111, v79
	v_dual_mov_b32 v118, v24 :: v_dual_mov_b32 v119, v25
	;; [unrolled: 1-line block ×12, first 2 shown]
	ds_store_2addr_b64 v114, v[110:111], v[118:119] offset0:18 offset1:19
	ds_store_2addr_b64 v114, v[120:121], v[122:123] offset0:20 offset1:21
	;; [unrolled: 1-line block ×6, first 2 shown]
	v_dual_mov_b32 v110, v60 :: v_dual_mov_b32 v111, v61
	v_dual_mov_b32 v118, v18 :: v_dual_mov_b32 v119, v19
	v_dual_mov_b32 v120, v56 :: v_dual_mov_b32 v121, v57
	v_dual_mov_b32 v122, v52 :: v_dual_mov_b32 v123, v53
	v_dual_mov_b32 v124, v54 :: v_dual_mov_b32 v125, v55
	v_dual_mov_b32 v126, v12 :: v_dual_mov_b32 v127, v13
	v_dual_mov_b32 v128, v50 :: v_dual_mov_b32 v129, v51
	v_dual_mov_b32 v130, v46 :: v_dual_mov_b32 v131, v47
	v_dual_mov_b32 v132, v48 :: v_dual_mov_b32 v133, v49
	v_dual_mov_b32 v134, v10 :: v_dual_mov_b32 v135, v11
	v_dual_mov_b32 v136, v44 :: v_dual_mov_b32 v137, v45
	v_dual_mov_b32 v138, v40 :: v_dual_mov_b32 v139, v41
	ds_store_2addr_b64 v114, v[110:111], v[118:119] offset0:30 offset1:31
	ds_store_2addr_b64 v114, v[120:121], v[122:123] offset0:32 offset1:33
	;; [unrolled: 1-line block ×6, first 2 shown]
	v_dual_mov_b32 v110, v42 :: v_dual_mov_b32 v111, v43
	v_dual_mov_b32 v120, v6 :: v_dual_mov_b32 v121, v7
	;; [unrolled: 1-line block ×9, first 2 shown]
	v_mov_b32_e32 v135, v15
	ds_store_2addr_b64 v114, v[110:111], v[120:121] offset0:42 offset1:43
	ds_store_2addr_b64 v114, v[122:123], v[124:125] offset0:44 offset1:45
	;; [unrolled: 1-line block ×5, first 2 shown]
.LBB102_207:
	s_or_b32 exec_lo, exec_lo, s0
	s_delay_alu instid0(SALU_CYCLE_1)
	s_mov_b32 s0, exec_lo
	s_wait_storecnt_dscnt 0x0
	s_barrier_signal -1
	s_barrier_wait -1
	v_cmpx_lt_i32_e32 9, v118
	s_cbranch_execz .LBB102_209
; %bb.208:
	v_pk_mul_f32 v[120:121], v[112:113], v[94:95] op_sel:[1,1] op_sel_hi:[0,1]
	s_delay_alu instid0(VALU_DEP_1)
	v_pk_fma_f32 v[110:111], v[112:113], v[94:95], v[120:121] op_sel_hi:[1,0,1] neg_lo:[0,0,1] neg_hi:[0,0,1]
	v_pk_fma_f32 v[112:113], v[112:113], v[94:95], v[120:121] op_sel_hi:[1,0,1]
	ds_load_2addr_b64 v[120:123], v114 offset0:10 offset1:11
	v_dual_mov_b32 v94, v110 :: v_dual_mov_b32 v95, v113
	s_wait_dscnt 0x0
	v_pk_mul_f32 v[124:125], v[120:121], v[112:113] op_sel:[0,1]
	s_delay_alu instid0(VALU_DEP_1) | instskip(SKIP_1) | instid1(VALU_DEP_1)
	v_pk_fma_f32 v[126:127], v[120:121], v[110:111], v[124:125] op_sel:[0,0,1] op_sel_hi:[1,1,0] neg_lo:[0,0,1] neg_hi:[0,0,1]
	v_pk_fma_f32 v[120:121], v[120:121], v[110:111], v[124:125] op_sel:[0,0,1] op_sel_hi:[1,0,0]
	v_mov_b32_e32 v127, v121
	v_pk_mul_f32 v[120:121], v[122:123], v[112:113] op_sel:[0,1]
	s_delay_alu instid0(VALU_DEP_1) | instskip(SKIP_1) | instid1(VALU_DEP_1)
	v_pk_fma_f32 v[124:125], v[122:123], v[110:111], v[120:121] op_sel:[0,0,1] op_sel_hi:[1,1,0] neg_lo:[0,0,1] neg_hi:[0,0,1]
	v_pk_fma_f32 v[120:121], v[122:123], v[110:111], v[120:121] op_sel:[0,0,1] op_sel_hi:[1,0,0]
	v_mov_b32_e32 v125, v121
	ds_load_2addr_b64 v[120:123], v114 offset0:12 offset1:13
	v_pk_add_f32 v[96:97], v[96:97], v[126:127] neg_lo:[0,1] neg_hi:[0,1]
	v_pk_add_f32 v[38:39], v[38:39], v[124:125] neg_lo:[0,1] neg_hi:[0,1]
	s_wait_dscnt 0x0
	v_pk_mul_f32 v[124:125], v[120:121], v[112:113] op_sel:[0,1]
	s_delay_alu instid0(VALU_DEP_1) | instskip(SKIP_2) | instid1(VALU_DEP_2)
	v_pk_fma_f32 v[126:127], v[120:121], v[110:111], v[124:125] op_sel:[0,0,1] op_sel_hi:[1,1,0] neg_lo:[0,0,1] neg_hi:[0,0,1]
	v_pk_fma_f32 v[120:121], v[120:121], v[110:111], v[124:125] op_sel:[0,0,1] op_sel_hi:[1,0,0]
	v_dual_mul_f32 v124, v123, v113 :: v_dual_mov_b32 v120, v123
	v_dual_mov_b32 v127, v121 :: v_dual_mov_b32 v121, v122
	s_delay_alu instid0(VALU_DEP_2) | instskip(SKIP_1) | instid1(VALU_DEP_3)
	v_pk_fma_f32 v[124:125], v[122:123], v[94:95], v[124:125] op_sel_hi:[1,1,0] neg_lo:[0,0,1] neg_hi:[0,0,1]
	v_mul_f32_e32 v122, v123, v110
	v_pk_add_f32 v[92:93], v[92:93], v[126:127] neg_lo:[0,1] neg_hi:[0,1]
	s_delay_alu instid0(VALU_DEP_2) | instskip(NEXT) | instid1(VALU_DEP_1)
	v_pk_fma_f32 v[120:121], v[120:121], v[94:95], v[122:123] op_sel_hi:[1,1,0]
	v_mov_b32_e32 v125, v121
	ds_load_2addr_b64 v[120:123], v114 offset0:14 offset1:15
	v_pk_add_f32 v[88:89], v[88:89], v[124:125] neg_lo:[0,1] neg_hi:[0,1]
	s_wait_dscnt 0x0
	v_pk_mul_f32 v[124:125], v[120:121], v[112:113] op_sel:[0,1]
	s_delay_alu instid0(VALU_DEP_1) | instskip(SKIP_1) | instid1(VALU_DEP_1)
	v_pk_fma_f32 v[126:127], v[120:121], v[110:111], v[124:125] op_sel:[0,0,1] op_sel_hi:[1,1,0] neg_lo:[0,0,1] neg_hi:[0,0,1]
	v_pk_fma_f32 v[120:121], v[120:121], v[110:111], v[124:125] op_sel:[0,0,1] op_sel_hi:[1,0,0]
	v_mov_b32_e32 v127, v121
	v_pk_mul_f32 v[120:121], v[122:123], v[112:113] op_sel:[0,1]
	s_delay_alu instid0(VALU_DEP_1) | instskip(SKIP_1) | instid1(VALU_DEP_1)
	v_pk_fma_f32 v[124:125], v[122:123], v[110:111], v[120:121] op_sel:[0,0,1] op_sel_hi:[1,1,0] neg_lo:[0,0,1] neg_hi:[0,0,1]
	v_pk_fma_f32 v[120:121], v[122:123], v[110:111], v[120:121] op_sel:[0,0,1] op_sel_hi:[1,0,0]
	v_mov_b32_e32 v125, v121
	ds_load_2addr_b64 v[120:123], v114 offset0:16 offset1:17
	v_pk_add_f32 v[90:91], v[90:91], v[126:127] neg_lo:[0,1] neg_hi:[0,1]
	v_pk_add_f32 v[32:33], v[32:33], v[124:125] neg_lo:[0,1] neg_hi:[0,1]
	s_wait_dscnt 0x0
	v_pk_mul_f32 v[124:125], v[120:121], v[112:113] op_sel:[0,1]
	s_delay_alu instid0(VALU_DEP_1) | instskip(SKIP_1) | instid1(VALU_DEP_1)
	v_pk_fma_f32 v[126:127], v[120:121], v[110:111], v[124:125] op_sel:[0,0,1] op_sel_hi:[1,1,0] neg_lo:[0,0,1] neg_hi:[0,0,1]
	v_pk_fma_f32 v[120:121], v[120:121], v[110:111], v[124:125] op_sel:[0,0,1] op_sel_hi:[1,0,0]
	v_mov_b32_e32 v127, v121
	v_pk_mul_f32 v[120:121], v[122:123], v[112:113] op_sel:[0,1]
	s_delay_alu instid0(VALU_DEP_1) | instskip(SKIP_1) | instid1(VALU_DEP_1)
	v_pk_fma_f32 v[124:125], v[122:123], v[110:111], v[120:121] op_sel:[0,0,1] op_sel_hi:[1,1,0] neg_lo:[0,0,1] neg_hi:[0,0,1]
	v_pk_fma_f32 v[120:121], v[122:123], v[110:111], v[120:121] op_sel:[0,0,1] op_sel_hi:[1,0,0]
	v_mov_b32_e32 v125, v121
	ds_load_2addr_b64 v[120:123], v114 offset0:18 offset1:19
	v_pk_add_f32 v[80:81], v[80:81], v[126:127] neg_lo:[0,1] neg_hi:[0,1]
	v_pk_add_f32 v[76:77], v[76:77], v[124:125] neg_lo:[0,1] neg_hi:[0,1]
	s_wait_dscnt 0x0
	v_dual_mul_f32 v124, v121, v113 :: v_dual_mul_f32 v126, v121, v110
	s_delay_alu instid0(VALU_DEP_1) | instskip(NEXT) | instid1(VALU_DEP_2)
	v_pk_fma_f32 v[124:125], v[120:121], v[94:95], v[124:125] op_sel_hi:[1,1,0] neg_lo:[0,0,1] neg_hi:[0,0,1]
	v_pk_fma_f32 v[120:121], v[120:121], v[94:95], v[126:127] op_sel:[1,0,0] op_sel_hi:[0,1,0]
	s_delay_alu instid0(VALU_DEP_1) | instskip(SKIP_1) | instid1(VALU_DEP_2)
	v_mov_b32_e32 v125, v121
	v_pk_mul_f32 v[120:121], v[122:123], v[112:113] op_sel:[0,1]
	v_pk_add_f32 v[78:79], v[78:79], v[124:125] neg_lo:[0,1] neg_hi:[0,1]
	s_delay_alu instid0(VALU_DEP_2) | instskip(SKIP_1) | instid1(VALU_DEP_1)
	v_pk_fma_f32 v[124:125], v[122:123], v[110:111], v[120:121] op_sel:[0,0,1] op_sel_hi:[1,1,0] neg_lo:[0,0,1] neg_hi:[0,0,1]
	v_pk_fma_f32 v[120:121], v[122:123], v[110:111], v[120:121] op_sel:[0,0,1] op_sel_hi:[1,0,0]
	v_mov_b32_e32 v125, v121
	ds_load_2addr_b64 v[120:123], v114 offset0:20 offset1:21
	v_pk_add_f32 v[24:25], v[24:25], v[124:125] neg_lo:[0,1] neg_hi:[0,1]
	s_wait_dscnt 0x0
	v_pk_mul_f32 v[124:125], v[120:121], v[112:113] op_sel:[0,1]
	s_delay_alu instid0(VALU_DEP_1) | instskip(SKIP_1) | instid1(VALU_DEP_1)
	v_pk_fma_f32 v[126:127], v[120:121], v[110:111], v[124:125] op_sel:[0,0,1] op_sel_hi:[1,1,0] neg_lo:[0,0,1] neg_hi:[0,0,1]
	v_pk_fma_f32 v[120:121], v[120:121], v[110:111], v[124:125] op_sel:[0,0,1] op_sel_hi:[1,0,0]
	v_mov_b32_e32 v127, v121
	v_pk_mul_f32 v[120:121], v[122:123], v[112:113] op_sel:[0,1]
	s_delay_alu instid0(VALU_DEP_2) | instskip(NEXT) | instid1(VALU_DEP_2)
	v_pk_add_f32 v[74:75], v[74:75], v[126:127] neg_lo:[0,1] neg_hi:[0,1]
	v_pk_fma_f32 v[124:125], v[122:123], v[110:111], v[120:121] op_sel:[0,0,1] op_sel_hi:[1,1,0] neg_lo:[0,0,1] neg_hi:[0,0,1]
	v_pk_fma_f32 v[120:121], v[122:123], v[110:111], v[120:121] op_sel:[0,0,1] op_sel_hi:[1,0,0]
	s_delay_alu instid0(VALU_DEP_1) | instskip(SKIP_4) | instid1(VALU_DEP_1)
	v_mov_b32_e32 v125, v121
	ds_load_2addr_b64 v[120:123], v114 offset0:22 offset1:23
	v_pk_add_f32 v[70:71], v[70:71], v[124:125] neg_lo:[0,1] neg_hi:[0,1]
	s_wait_dscnt 0x0
	v_pk_mul_f32 v[124:125], v[120:121], v[112:113] op_sel:[0,1]
	v_pk_fma_f32 v[126:127], v[120:121], v[110:111], v[124:125] op_sel:[0,0,1] op_sel_hi:[1,1,0] neg_lo:[0,0,1] neg_hi:[0,0,1]
	v_pk_fma_f32 v[120:121], v[120:121], v[110:111], v[124:125] op_sel:[0,0,1] op_sel_hi:[1,0,0]
	v_dual_mul_f32 v124, v123, v113 :: v_dual_mov_b32 v120, v123
	s_delay_alu instid0(VALU_DEP_2) | instskip(NEXT) | instid1(VALU_DEP_2)
	v_dual_mov_b32 v127, v121 :: v_dual_mov_b32 v121, v122
	v_pk_fma_f32 v[124:125], v[122:123], v[94:95], v[124:125] op_sel_hi:[1,1,0] neg_lo:[0,0,1] neg_hi:[0,0,1]
	v_mul_f32_e32 v122, v123, v110
	s_delay_alu instid0(VALU_DEP_3) | instskip(NEXT) | instid1(VALU_DEP_2)
	v_pk_add_f32 v[72:73], v[72:73], v[126:127] neg_lo:[0,1] neg_hi:[0,1]
	v_pk_fma_f32 v[120:121], v[120:121], v[94:95], v[122:123] op_sel_hi:[1,1,0]
	s_delay_alu instid0(VALU_DEP_1) | instskip(SKIP_4) | instid1(VALU_DEP_1)
	v_mov_b32_e32 v125, v121
	ds_load_2addr_b64 v[120:123], v114 offset0:24 offset1:25
	v_pk_add_f32 v[22:23], v[22:23], v[124:125] neg_lo:[0,1] neg_hi:[0,1]
	s_wait_dscnt 0x0
	v_pk_mul_f32 v[124:125], v[120:121], v[112:113] op_sel:[0,1]
	v_pk_fma_f32 v[126:127], v[120:121], v[110:111], v[124:125] op_sel:[0,0,1] op_sel_hi:[1,1,0] neg_lo:[0,0,1] neg_hi:[0,0,1]
	v_pk_fma_f32 v[120:121], v[120:121], v[110:111], v[124:125] op_sel:[0,0,1] op_sel_hi:[1,0,0]
	s_delay_alu instid0(VALU_DEP_1) | instskip(SKIP_1) | instid1(VALU_DEP_1)
	v_mov_b32_e32 v127, v121
	v_pk_mul_f32 v[120:121], v[122:123], v[112:113] op_sel:[0,1]
	v_pk_fma_f32 v[124:125], v[122:123], v[110:111], v[120:121] op_sel:[0,0,1] op_sel_hi:[1,1,0] neg_lo:[0,0,1] neg_hi:[0,0,1]
	v_pk_fma_f32 v[120:121], v[122:123], v[110:111], v[120:121] op_sel:[0,0,1] op_sel_hi:[1,0,0]
	s_delay_alu instid0(VALU_DEP_1)
	v_mov_b32_e32 v125, v121
	ds_load_2addr_b64 v[120:123], v114 offset0:26 offset1:27
	v_pk_add_f32 v[68:69], v[68:69], v[126:127] neg_lo:[0,1] neg_hi:[0,1]
	v_pk_add_f32 v[64:65], v[64:65], v[124:125] neg_lo:[0,1] neg_hi:[0,1]
	s_wait_dscnt 0x0
	v_pk_mul_f32 v[124:125], v[120:121], v[112:113] op_sel:[0,1]
	s_delay_alu instid0(VALU_DEP_1) | instskip(SKIP_1) | instid1(VALU_DEP_1)
	v_pk_fma_f32 v[126:127], v[120:121], v[110:111], v[124:125] op_sel:[0,0,1] op_sel_hi:[1,1,0] neg_lo:[0,0,1] neg_hi:[0,0,1]
	v_pk_fma_f32 v[120:121], v[120:121], v[110:111], v[124:125] op_sel:[0,0,1] op_sel_hi:[1,0,0]
	v_mov_b32_e32 v127, v121
	v_pk_mul_f32 v[120:121], v[122:123], v[112:113] op_sel:[0,1]
	s_delay_alu instid0(VALU_DEP_1) | instskip(SKIP_1) | instid1(VALU_DEP_1)
	v_pk_fma_f32 v[124:125], v[122:123], v[110:111], v[120:121] op_sel:[0,0,1] op_sel_hi:[1,1,0] neg_lo:[0,0,1] neg_hi:[0,0,1]
	v_pk_fma_f32 v[120:121], v[122:123], v[110:111], v[120:121] op_sel:[0,0,1] op_sel_hi:[1,0,0]
	v_mov_b32_e32 v125, v121
	ds_load_2addr_b64 v[120:123], v114 offset0:28 offset1:29
	v_pk_add_f32 v[66:67], v[66:67], v[126:127] neg_lo:[0,1] neg_hi:[0,1]
	v_pk_add_f32 v[20:21], v[20:21], v[124:125] neg_lo:[0,1] neg_hi:[0,1]
	s_wait_dscnt 0x0
	v_dual_mul_f32 v124, v121, v113 :: v_dual_mul_f32 v126, v121, v110
	s_delay_alu instid0(VALU_DEP_1) | instskip(NEXT) | instid1(VALU_DEP_2)
	v_pk_fma_f32 v[124:125], v[120:121], v[94:95], v[124:125] op_sel_hi:[1,1,0] neg_lo:[0,0,1] neg_hi:[0,0,1]
	v_pk_fma_f32 v[120:121], v[120:121], v[94:95], v[126:127] op_sel:[1,0,0] op_sel_hi:[0,1,0]
	s_delay_alu instid0(VALU_DEP_1) | instskip(SKIP_1) | instid1(VALU_DEP_2)
	v_mov_b32_e32 v125, v121
	v_pk_mul_f32 v[120:121], v[122:123], v[112:113] op_sel:[0,1]
	v_pk_add_f32 v[62:63], v[62:63], v[124:125] neg_lo:[0,1] neg_hi:[0,1]
	s_delay_alu instid0(VALU_DEP_2) | instskip(SKIP_1) | instid1(VALU_DEP_1)
	v_pk_fma_f32 v[124:125], v[122:123], v[110:111], v[120:121] op_sel:[0,0,1] op_sel_hi:[1,1,0] neg_lo:[0,0,1] neg_hi:[0,0,1]
	v_pk_fma_f32 v[120:121], v[122:123], v[110:111], v[120:121] op_sel:[0,0,1] op_sel_hi:[1,0,0]
	v_mov_b32_e32 v125, v121
	ds_load_2addr_b64 v[120:123], v114 offset0:30 offset1:31
	v_pk_add_f32 v[58:59], v[58:59], v[124:125] neg_lo:[0,1] neg_hi:[0,1]
	s_wait_dscnt 0x0
	v_pk_mul_f32 v[124:125], v[120:121], v[112:113] op_sel:[0,1]
	s_delay_alu instid0(VALU_DEP_1) | instskip(SKIP_1) | instid1(VALU_DEP_1)
	v_pk_fma_f32 v[126:127], v[120:121], v[110:111], v[124:125] op_sel:[0,0,1] op_sel_hi:[1,1,0] neg_lo:[0,0,1] neg_hi:[0,0,1]
	v_pk_fma_f32 v[120:121], v[120:121], v[110:111], v[124:125] op_sel:[0,0,1] op_sel_hi:[1,0,0]
	v_mov_b32_e32 v127, v121
	v_pk_mul_f32 v[120:121], v[122:123], v[112:113] op_sel:[0,1]
	s_delay_alu instid0(VALU_DEP_2) | instskip(NEXT) | instid1(VALU_DEP_2)
	v_pk_add_f32 v[60:61], v[60:61], v[126:127] neg_lo:[0,1] neg_hi:[0,1]
	v_pk_fma_f32 v[124:125], v[122:123], v[110:111], v[120:121] op_sel:[0,0,1] op_sel_hi:[1,1,0] neg_lo:[0,0,1] neg_hi:[0,0,1]
	v_pk_fma_f32 v[120:121], v[122:123], v[110:111], v[120:121] op_sel:[0,0,1] op_sel_hi:[1,0,0]
	s_delay_alu instid0(VALU_DEP_1) | instskip(SKIP_4) | instid1(VALU_DEP_1)
	v_mov_b32_e32 v125, v121
	ds_load_2addr_b64 v[120:123], v114 offset0:32 offset1:33
	v_pk_add_f32 v[18:19], v[18:19], v[124:125] neg_lo:[0,1] neg_hi:[0,1]
	s_wait_dscnt 0x0
	v_pk_mul_f32 v[124:125], v[120:121], v[112:113] op_sel:[0,1]
	v_pk_fma_f32 v[126:127], v[120:121], v[110:111], v[124:125] op_sel:[0,0,1] op_sel_hi:[1,1,0] neg_lo:[0,0,1] neg_hi:[0,0,1]
	v_pk_fma_f32 v[120:121], v[120:121], v[110:111], v[124:125] op_sel:[0,0,1] op_sel_hi:[1,0,0]
	v_dual_mul_f32 v124, v123, v113 :: v_dual_mov_b32 v120, v123
	s_delay_alu instid0(VALU_DEP_2) | instskip(NEXT) | instid1(VALU_DEP_2)
	v_dual_mov_b32 v127, v121 :: v_dual_mov_b32 v121, v122
	v_pk_fma_f32 v[124:125], v[122:123], v[94:95], v[124:125] op_sel_hi:[1,1,0] neg_lo:[0,0,1] neg_hi:[0,0,1]
	v_mul_f32_e32 v122, v123, v110
	s_delay_alu instid0(VALU_DEP_3) | instskip(NEXT) | instid1(VALU_DEP_2)
	v_pk_add_f32 v[56:57], v[56:57], v[126:127] neg_lo:[0,1] neg_hi:[0,1]
	v_pk_fma_f32 v[120:121], v[120:121], v[94:95], v[122:123] op_sel_hi:[1,1,0]
	s_delay_alu instid0(VALU_DEP_1) | instskip(SKIP_4) | instid1(VALU_DEP_1)
	v_mov_b32_e32 v125, v121
	ds_load_2addr_b64 v[120:123], v114 offset0:34 offset1:35
	v_pk_add_f32 v[52:53], v[52:53], v[124:125] neg_lo:[0,1] neg_hi:[0,1]
	s_wait_dscnt 0x0
	v_pk_mul_f32 v[124:125], v[120:121], v[112:113] op_sel:[0,1]
	v_pk_fma_f32 v[126:127], v[120:121], v[110:111], v[124:125] op_sel:[0,0,1] op_sel_hi:[1,1,0] neg_lo:[0,0,1] neg_hi:[0,0,1]
	v_pk_fma_f32 v[120:121], v[120:121], v[110:111], v[124:125] op_sel:[0,0,1] op_sel_hi:[1,0,0]
	s_delay_alu instid0(VALU_DEP_1) | instskip(SKIP_1) | instid1(VALU_DEP_1)
	v_mov_b32_e32 v127, v121
	v_pk_mul_f32 v[120:121], v[122:123], v[112:113] op_sel:[0,1]
	v_pk_fma_f32 v[124:125], v[122:123], v[110:111], v[120:121] op_sel:[0,0,1] op_sel_hi:[1,1,0] neg_lo:[0,0,1] neg_hi:[0,0,1]
	v_pk_fma_f32 v[120:121], v[122:123], v[110:111], v[120:121] op_sel:[0,0,1] op_sel_hi:[1,0,0]
	s_delay_alu instid0(VALU_DEP_1)
	v_mov_b32_e32 v125, v121
	ds_load_2addr_b64 v[120:123], v114 offset0:36 offset1:37
	v_pk_add_f32 v[54:55], v[54:55], v[126:127] neg_lo:[0,1] neg_hi:[0,1]
	v_pk_add_f32 v[12:13], v[12:13], v[124:125] neg_lo:[0,1] neg_hi:[0,1]
	s_wait_dscnt 0x0
	v_pk_mul_f32 v[124:125], v[120:121], v[112:113] op_sel:[0,1]
	s_delay_alu instid0(VALU_DEP_1) | instskip(SKIP_1) | instid1(VALU_DEP_1)
	v_pk_fma_f32 v[126:127], v[120:121], v[110:111], v[124:125] op_sel:[0,0,1] op_sel_hi:[1,1,0] neg_lo:[0,0,1] neg_hi:[0,0,1]
	v_pk_fma_f32 v[120:121], v[120:121], v[110:111], v[124:125] op_sel:[0,0,1] op_sel_hi:[1,0,0]
	v_mov_b32_e32 v127, v121
	v_pk_mul_f32 v[120:121], v[122:123], v[112:113] op_sel:[0,1]
	s_delay_alu instid0(VALU_DEP_1) | instskip(SKIP_1) | instid1(VALU_DEP_1)
	v_pk_fma_f32 v[124:125], v[122:123], v[110:111], v[120:121] op_sel:[0,0,1] op_sel_hi:[1,1,0] neg_lo:[0,0,1] neg_hi:[0,0,1]
	v_pk_fma_f32 v[120:121], v[122:123], v[110:111], v[120:121] op_sel:[0,0,1] op_sel_hi:[1,0,0]
	v_mov_b32_e32 v125, v121
	ds_load_2addr_b64 v[120:123], v114 offset0:38 offset1:39
	v_pk_add_f32 v[50:51], v[50:51], v[126:127] neg_lo:[0,1] neg_hi:[0,1]
	v_pk_add_f32 v[46:47], v[46:47], v[124:125] neg_lo:[0,1] neg_hi:[0,1]
	s_wait_dscnt 0x0
	v_dual_mul_f32 v124, v121, v113 :: v_dual_mul_f32 v126, v121, v110
	s_delay_alu instid0(VALU_DEP_1) | instskip(NEXT) | instid1(VALU_DEP_2)
	v_pk_fma_f32 v[124:125], v[120:121], v[94:95], v[124:125] op_sel_hi:[1,1,0] neg_lo:[0,0,1] neg_hi:[0,0,1]
	v_pk_fma_f32 v[120:121], v[120:121], v[94:95], v[126:127] op_sel:[1,0,0] op_sel_hi:[0,1,0]
	s_delay_alu instid0(VALU_DEP_1) | instskip(SKIP_1) | instid1(VALU_DEP_2)
	v_mov_b32_e32 v125, v121
	v_pk_mul_f32 v[120:121], v[122:123], v[112:113] op_sel:[0,1]
	v_pk_add_f32 v[48:49], v[48:49], v[124:125] neg_lo:[0,1] neg_hi:[0,1]
	s_delay_alu instid0(VALU_DEP_2) | instskip(SKIP_1) | instid1(VALU_DEP_1)
	v_pk_fma_f32 v[124:125], v[122:123], v[110:111], v[120:121] op_sel:[0,0,1] op_sel_hi:[1,1,0] neg_lo:[0,0,1] neg_hi:[0,0,1]
	v_pk_fma_f32 v[120:121], v[122:123], v[110:111], v[120:121] op_sel:[0,0,1] op_sel_hi:[1,0,0]
	v_mov_b32_e32 v125, v121
	ds_load_2addr_b64 v[120:123], v114 offset0:40 offset1:41
	v_pk_add_f32 v[10:11], v[10:11], v[124:125] neg_lo:[0,1] neg_hi:[0,1]
	s_wait_dscnt 0x0
	v_pk_mul_f32 v[124:125], v[120:121], v[112:113] op_sel:[0,1]
	s_delay_alu instid0(VALU_DEP_1) | instskip(SKIP_1) | instid1(VALU_DEP_1)
	v_pk_fma_f32 v[126:127], v[120:121], v[110:111], v[124:125] op_sel:[0,0,1] op_sel_hi:[1,1,0] neg_lo:[0,0,1] neg_hi:[0,0,1]
	v_pk_fma_f32 v[120:121], v[120:121], v[110:111], v[124:125] op_sel:[0,0,1] op_sel_hi:[1,0,0]
	v_mov_b32_e32 v127, v121
	v_pk_mul_f32 v[120:121], v[122:123], v[112:113] op_sel:[0,1]
	s_delay_alu instid0(VALU_DEP_2) | instskip(NEXT) | instid1(VALU_DEP_2)
	v_pk_add_f32 v[44:45], v[44:45], v[126:127] neg_lo:[0,1] neg_hi:[0,1]
	v_pk_fma_f32 v[124:125], v[122:123], v[110:111], v[120:121] op_sel:[0,0,1] op_sel_hi:[1,1,0] neg_lo:[0,0,1] neg_hi:[0,0,1]
	v_pk_fma_f32 v[120:121], v[122:123], v[110:111], v[120:121] op_sel:[0,0,1] op_sel_hi:[1,0,0]
	s_delay_alu instid0(VALU_DEP_1) | instskip(SKIP_4) | instid1(VALU_DEP_1)
	v_mov_b32_e32 v125, v121
	ds_load_2addr_b64 v[120:123], v114 offset0:42 offset1:43
	v_pk_add_f32 v[40:41], v[40:41], v[124:125] neg_lo:[0,1] neg_hi:[0,1]
	s_wait_dscnt 0x0
	v_pk_mul_f32 v[124:125], v[120:121], v[112:113] op_sel:[0,1]
	v_pk_fma_f32 v[126:127], v[120:121], v[110:111], v[124:125] op_sel:[0,0,1] op_sel_hi:[1,1,0] neg_lo:[0,0,1] neg_hi:[0,0,1]
	v_pk_fma_f32 v[120:121], v[120:121], v[110:111], v[124:125] op_sel:[0,0,1] op_sel_hi:[1,0,0]
	v_dual_mul_f32 v124, v123, v113 :: v_dual_mov_b32 v120, v123
	s_delay_alu instid0(VALU_DEP_2) | instskip(NEXT) | instid1(VALU_DEP_2)
	v_dual_mov_b32 v127, v121 :: v_dual_mov_b32 v121, v122
	v_pk_fma_f32 v[124:125], v[122:123], v[94:95], v[124:125] op_sel_hi:[1,1,0] neg_lo:[0,0,1] neg_hi:[0,0,1]
	v_mul_f32_e32 v122, v123, v110
	s_delay_alu instid0(VALU_DEP_3) | instskip(NEXT) | instid1(VALU_DEP_2)
	v_pk_add_f32 v[42:43], v[42:43], v[126:127] neg_lo:[0,1] neg_hi:[0,1]
	v_pk_fma_f32 v[120:121], v[120:121], v[94:95], v[122:123] op_sel_hi:[1,1,0]
	s_delay_alu instid0(VALU_DEP_1) | instskip(SKIP_4) | instid1(VALU_DEP_1)
	v_mov_b32_e32 v125, v121
	ds_load_2addr_b64 v[120:123], v114 offset0:44 offset1:45
	v_pk_add_f32 v[6:7], v[6:7], v[124:125] neg_lo:[0,1] neg_hi:[0,1]
	s_wait_dscnt 0x0
	v_pk_mul_f32 v[124:125], v[120:121], v[112:113] op_sel:[0,1]
	v_pk_fma_f32 v[126:127], v[120:121], v[110:111], v[124:125] op_sel:[0,0,1] op_sel_hi:[1,1,0] neg_lo:[0,0,1] neg_hi:[0,0,1]
	v_pk_fma_f32 v[120:121], v[120:121], v[110:111], v[124:125] op_sel:[0,0,1] op_sel_hi:[1,0,0]
	s_delay_alu instid0(VALU_DEP_1) | instskip(SKIP_1) | instid1(VALU_DEP_1)
	v_mov_b32_e32 v127, v121
	v_pk_mul_f32 v[120:121], v[122:123], v[112:113] op_sel:[0,1]
	v_pk_fma_f32 v[124:125], v[122:123], v[110:111], v[120:121] op_sel:[0,0,1] op_sel_hi:[1,1,0] neg_lo:[0,0,1] neg_hi:[0,0,1]
	v_pk_fma_f32 v[120:121], v[122:123], v[110:111], v[120:121] op_sel:[0,0,1] op_sel_hi:[1,0,0]
	s_delay_alu instid0(VALU_DEP_1)
	v_mov_b32_e32 v125, v121
	ds_load_2addr_b64 v[120:123], v114 offset0:46 offset1:47
	v_pk_add_f32 v[36:37], v[36:37], v[126:127] neg_lo:[0,1] neg_hi:[0,1]
	v_pk_add_f32 v[30:31], v[30:31], v[124:125] neg_lo:[0,1] neg_hi:[0,1]
	s_wait_dscnt 0x0
	v_pk_mul_f32 v[124:125], v[120:121], v[112:113] op_sel:[0,1]
	s_delay_alu instid0(VALU_DEP_1) | instskip(SKIP_1) | instid1(VALU_DEP_1)
	v_pk_fma_f32 v[126:127], v[120:121], v[110:111], v[124:125] op_sel:[0,0,1] op_sel_hi:[1,1,0] neg_lo:[0,0,1] neg_hi:[0,0,1]
	v_pk_fma_f32 v[120:121], v[120:121], v[110:111], v[124:125] op_sel:[0,0,1] op_sel_hi:[1,0,0]
	v_mov_b32_e32 v127, v121
	v_pk_mul_f32 v[120:121], v[122:123], v[112:113] op_sel:[0,1]
	s_delay_alu instid0(VALU_DEP_1) | instskip(SKIP_1) | instid1(VALU_DEP_1)
	v_pk_fma_f32 v[124:125], v[122:123], v[110:111], v[120:121] op_sel:[0,0,1] op_sel_hi:[1,1,0] neg_lo:[0,0,1] neg_hi:[0,0,1]
	v_pk_fma_f32 v[120:121], v[122:123], v[110:111], v[120:121] op_sel:[0,0,1] op_sel_hi:[1,0,0]
	v_mov_b32_e32 v125, v121
	ds_load_2addr_b64 v[120:123], v114 offset0:48 offset1:49
	v_pk_add_f32 v[34:35], v[34:35], v[126:127] neg_lo:[0,1] neg_hi:[0,1]
	v_pk_add_f32 v[8:9], v[8:9], v[124:125] neg_lo:[0,1] neg_hi:[0,1]
	s_wait_dscnt 0x0
	v_dual_mul_f32 v124, v121, v113 :: v_dual_mul_f32 v126, v121, v110
	s_delay_alu instid0(VALU_DEP_1) | instskip(NEXT) | instid1(VALU_DEP_2)
	v_pk_fma_f32 v[124:125], v[120:121], v[94:95], v[124:125] op_sel_hi:[1,1,0] neg_lo:[0,0,1] neg_hi:[0,0,1]
	v_pk_fma_f32 v[120:121], v[120:121], v[94:95], v[126:127] op_sel:[1,0,0] op_sel_hi:[0,1,0]
	s_delay_alu instid0(VALU_DEP_1) | instskip(SKIP_1) | instid1(VALU_DEP_2)
	v_mov_b32_e32 v125, v121
	v_pk_mul_f32 v[120:121], v[122:123], v[112:113] op_sel:[0,1]
	v_pk_add_f32 v[28:29], v[28:29], v[124:125] neg_lo:[0,1] neg_hi:[0,1]
	s_delay_alu instid0(VALU_DEP_2) | instskip(SKIP_1) | instid1(VALU_DEP_1)
	v_pk_fma_f32 v[124:125], v[122:123], v[110:111], v[120:121] op_sel:[0,0,1] op_sel_hi:[1,1,0] neg_lo:[0,0,1] neg_hi:[0,0,1]
	v_pk_fma_f32 v[120:121], v[122:123], v[110:111], v[120:121] op_sel:[0,0,1] op_sel_hi:[1,0,0]
	v_mov_b32_e32 v125, v121
	ds_load_2addr_b64 v[120:123], v114 offset0:50 offset1:51
	v_pk_add_f32 v[16:17], v[16:17], v[124:125] neg_lo:[0,1] neg_hi:[0,1]
	s_wait_dscnt 0x0
	v_pk_mul_f32 v[124:125], v[120:121], v[112:113] op_sel:[0,1]
	v_mul_f32_e32 v112, v123, v113
	s_delay_alu instid0(VALU_DEP_2) | instskip(SKIP_2) | instid1(VALU_DEP_4)
	v_pk_fma_f32 v[126:127], v[120:121], v[110:111], v[124:125] op_sel:[0,0,1] op_sel_hi:[1,1,0] neg_lo:[0,0,1] neg_hi:[0,0,1]
	v_pk_fma_f32 v[120:121], v[120:121], v[110:111], v[124:125] op_sel:[0,0,1] op_sel_hi:[1,0,0]
	v_dual_mov_b32 v120, v123 :: v_dual_mul_f32 v110, v123, v110
	v_pk_fma_f32 v[112:113], v[122:123], v[94:95], v[112:113] op_sel_hi:[1,1,0] neg_lo:[0,0,1] neg_hi:[0,0,1]
	s_delay_alu instid0(VALU_DEP_3) | instskip(NEXT) | instid1(VALU_DEP_1)
	v_dual_mov_b32 v127, v121 :: v_dual_mov_b32 v121, v122
	v_pk_add_f32 v[14:15], v[14:15], v[126:127] neg_lo:[0,1] neg_hi:[0,1]
	s_delay_alu instid0(VALU_DEP_2) | instskip(NEXT) | instid1(VALU_DEP_1)
	v_pk_fma_f32 v[110:111], v[120:121], v[94:95], v[110:111] op_sel_hi:[1,1,0]
	v_mov_b32_e32 v113, v111
	s_delay_alu instid0(VALU_DEP_1)
	v_pk_add_f32 v[108:109], v[108:109], v[112:113] neg_lo:[0,1] neg_hi:[0,1]
.LBB102_209:
	s_or_b32 exec_lo, exec_lo, s0
	v_lshl_add_u32 v110, v118, 3, v114
	s_barrier_signal -1
	s_barrier_wait -1
	ds_store_b64 v110, v[96:97]
	s_wait_dscnt 0x0
	s_barrier_signal -1
	s_barrier_wait -1
	ds_load_b64 v[112:113], v114 offset:80
	v_mov_b32_e32 v110, 10
	s_cmp_lt_i32 s18, 12
	s_cbranch_scc1 .LBB102_212
; %bb.210:
	v_add3_u32 v111, v115, 0, 0x58
	v_mov_b32_e32 v110, 10
	s_mov_b32 s0, 11
.LBB102_211:                            ; =>This Inner Loop Header: Depth=1
	ds_load_b64 v[120:121], v111
	s_wait_dscnt 0x1
	v_cmp_gt_f32_e32 vcc_lo, 0, v112
	v_cndmask_b32_e64 v122, v112, -v112, vcc_lo
	v_cmp_gt_f32_e32 vcc_lo, 0, v113
	v_cndmask_b32_e64 v124, v113, -v113, vcc_lo
	s_wait_dscnt 0x0
	v_cmp_gt_f32_e32 vcc_lo, 0, v120
	v_cndmask_b32_e64 v123, v120, -v120, vcc_lo
	v_cmp_gt_f32_e32 vcc_lo, 0, v121
	v_cndmask_b32_e64 v125, v121, -v121, vcc_lo
	s_delay_alu instid0(VALU_DEP_1) | instskip(NEXT) | instid1(VALU_DEP_1)
	v_pk_add_f32 v[122:123], v[122:123], v[124:125]
	v_cmp_lt_f32_e32 vcc_lo, v122, v123
	v_dual_add_nc_u32 v111, 8, v111 :: v_dual_cndmask_b32 v113, v113, v121, vcc_lo
	v_cndmask_b32_e32 v112, v112, v120, vcc_lo
	v_cndmask_b32_e64 v110, v110, s0, vcc_lo
	s_add_co_i32 s0, s0, 1
	s_delay_alu instid0(SALU_CYCLE_1)
	s_cmp_lg_u32 s18, s0
	s_cbranch_scc1 .LBB102_211
.LBB102_212:
	s_wait_dscnt 0x0
	v_cmp_eq_f32_e32 vcc_lo, 0, v112
	v_cmp_eq_f32_e64 s0, 0, v113
	s_and_b32 s0, vcc_lo, s0
	s_delay_alu instid0(SALU_CYCLE_1) | instskip(NEXT) | instid1(SALU_CYCLE_1)
	s_and_saveexec_b32 s1, s0
	s_xor_b32 s0, exec_lo, s1
; %bb.213:
	v_cmp_ne_u32_e32 vcc_lo, 0, v116
	v_cndmask_b32_e32 v116, 11, v116, vcc_lo
; %bb.214:
	s_and_not1_saveexec_b32 s0, s0
	s_cbranch_execz .LBB102_220
; %bb.215:
	v_cmp_ngt_f32_e64 s1, |v112|, |v113|
	s_and_saveexec_b32 s12, s1
	s_delay_alu instid0(SALU_CYCLE_1)
	s_xor_b32 s1, exec_lo, s12
	s_cbranch_execz .LBB102_217
; %bb.216:
	v_div_scale_f32 v111, null, v113, v113, v112
	v_div_scale_f32 v121, vcc_lo, v112, v113, v112
	s_delay_alu instid0(VALU_DEP_2) | instskip(SKIP_1) | instid1(TRANS32_DEP_1)
	v_rcp_f32_e32 v119, v111
	v_nop
	v_fma_f32 v120, -v111, v119, 1.0
	s_delay_alu instid0(VALU_DEP_1) | instskip(NEXT) | instid1(VALU_DEP_1)
	v_fmac_f32_e32 v119, v120, v119
	v_mul_f32_e32 v120, v121, v119
	s_delay_alu instid0(VALU_DEP_1) | instskip(NEXT) | instid1(VALU_DEP_1)
	v_fma_f32 v122, -v111, v120, v121
	v_fmac_f32_e32 v120, v122, v119
	s_delay_alu instid0(VALU_DEP_1) | instskip(NEXT) | instid1(VALU_DEP_1)
	v_fma_f32 v111, -v111, v120, v121
	v_div_fmas_f32 v111, v111, v119, v120
	s_delay_alu instid0(VALU_DEP_1) | instskip(NEXT) | instid1(VALU_DEP_1)
	v_div_fixup_f32 v111, v111, v113, v112
	v_fmac_f32_e32 v113, v112, v111
	s_delay_alu instid0(VALU_DEP_1) | instskip(SKIP_1) | instid1(VALU_DEP_2)
	v_div_scale_f32 v112, null, v113, v113, 1.0
	v_div_scale_f32 v121, vcc_lo, 1.0, v113, 1.0
	v_rcp_f32_e32 v119, v112
	v_nop
	s_delay_alu instid0(TRANS32_DEP_1) | instskip(NEXT) | instid1(VALU_DEP_1)
	v_fma_f32 v120, -v112, v119, 1.0
	v_fmac_f32_e32 v119, v120, v119
	s_delay_alu instid0(VALU_DEP_1) | instskip(NEXT) | instid1(VALU_DEP_1)
	v_mul_f32_e32 v120, v121, v119
	v_fma_f32 v122, -v112, v120, v121
	s_delay_alu instid0(VALU_DEP_1) | instskip(NEXT) | instid1(VALU_DEP_1)
	v_fmac_f32_e32 v120, v122, v119
	v_fma_f32 v112, -v112, v120, v121
	s_delay_alu instid0(VALU_DEP_1) | instskip(NEXT) | instid1(VALU_DEP_1)
	v_div_fmas_f32 v112, v112, v119, v120
	v_div_fixup_f32 v113, v112, v113, 1.0
	s_delay_alu instid0(VALU_DEP_1)
	v_mul_f32_e32 v112, v111, v113
	v_xor_b32_e32 v113, 0x80000000, v113
.LBB102_217:
	s_and_not1_saveexec_b32 s1, s1
	s_cbranch_execz .LBB102_219
; %bb.218:
	s_delay_alu instid0(VALU_DEP_1) | instskip(SKIP_1) | instid1(VALU_DEP_2)
	v_div_scale_f32 v111, null, v112, v112, v113
	v_div_scale_f32 v121, vcc_lo, v113, v112, v113
	v_rcp_f32_e32 v119, v111
	v_nop
	s_delay_alu instid0(TRANS32_DEP_1) | instskip(NEXT) | instid1(VALU_DEP_1)
	v_fma_f32 v120, -v111, v119, 1.0
	v_fmac_f32_e32 v119, v120, v119
	s_delay_alu instid0(VALU_DEP_1) | instskip(NEXT) | instid1(VALU_DEP_1)
	v_mul_f32_e32 v120, v121, v119
	v_fma_f32 v122, -v111, v120, v121
	s_delay_alu instid0(VALU_DEP_1) | instskip(NEXT) | instid1(VALU_DEP_1)
	v_fmac_f32_e32 v120, v122, v119
	v_fma_f32 v111, -v111, v120, v121
	s_delay_alu instid0(VALU_DEP_1) | instskip(NEXT) | instid1(VALU_DEP_1)
	v_div_fmas_f32 v111, v111, v119, v120
	v_div_fixup_f32 v111, v111, v112, v113
	s_delay_alu instid0(VALU_DEP_1) | instskip(NEXT) | instid1(VALU_DEP_1)
	v_fmac_f32_e32 v112, v113, v111
	v_div_scale_f32 v113, null, v112, v112, 1.0
	s_delay_alu instid0(VALU_DEP_1) | instskip(SKIP_1) | instid1(TRANS32_DEP_1)
	v_rcp_f32_e32 v119, v113
	v_nop
	v_fma_f32 v120, -v113, v119, 1.0
	s_delay_alu instid0(VALU_DEP_1) | instskip(SKIP_1) | instid1(VALU_DEP_1)
	v_fmac_f32_e32 v119, v120, v119
	v_div_scale_f32 v120, vcc_lo, 1.0, v112, 1.0
	v_mul_f32_e32 v121, v120, v119
	s_delay_alu instid0(VALU_DEP_1) | instskip(NEXT) | instid1(VALU_DEP_1)
	v_fma_f32 v122, -v113, v121, v120
	v_fmac_f32_e32 v121, v122, v119
	s_delay_alu instid0(VALU_DEP_1) | instskip(NEXT) | instid1(VALU_DEP_1)
	v_fma_f32 v113, -v113, v121, v120
	v_div_fmas_f32 v113, v113, v119, v121
	s_delay_alu instid0(VALU_DEP_1) | instskip(NEXT) | instid1(VALU_DEP_1)
	v_div_fixup_f32 v112, v113, v112, 1.0
	v_mul_f32_e64 v113, v111, -v112
.LBB102_219:
	s_or_b32 exec_lo, exec_lo, s1
.LBB102_220:
	s_delay_alu instid0(SALU_CYCLE_1) | instskip(NEXT) | instid1(SALU_CYCLE_1)
	s_or_b32 exec_lo, exec_lo, s0
	s_mov_b32 s0, exec_lo
	v_cmpx_ne_u32_e64 v118, v110
	s_xor_b32 s0, exec_lo, s0
	s_cbranch_execz .LBB102_226
; %bb.221:
	s_mov_b32 s1, exec_lo
	v_cmpx_eq_u32_e32 10, v118
	s_cbranch_execz .LBB102_225
; %bb.222:
	v_cmp_ne_u32_e32 vcc_lo, 10, v110
	s_xor_b32 s12, s16, -1
	s_delay_alu instid0(SALU_CYCLE_1) | instskip(NEXT) | instid1(SALU_CYCLE_1)
	s_and_b32 s13, s12, vcc_lo
	s_and_saveexec_b32 s12, s13
	s_cbranch_execz .LBB102_224
; %bb.223:
	v_ashrrev_i32_e32 v111, 31, v110
	s_delay_alu instid0(VALU_DEP_1)
	v_lshl_add_u64 v[118:119], v[110:111], 2, v[4:5]
	s_clause 0x1
	global_load_b32 v111, v[118:119], off
	global_load_b32 v117, v[4:5], off offset:40
	s_wait_loadcnt 0x1
	global_store_b32 v[4:5], v111, off offset:40
	s_wait_loadcnt 0x0
	global_store_b32 v[118:119], v117, off
.LBB102_224:
	s_wait_xcnt 0x0
	s_or_b32 exec_lo, exec_lo, s12
	v_dual_mov_b32 v118, v110 :: v_dual_mov_b32 v117, v110
.LBB102_225:
	s_or_b32 exec_lo, exec_lo, s1
.LBB102_226:
	s_and_not1_saveexec_b32 s0, s0
	s_cbranch_execz .LBB102_228
; %bb.227:
	v_mov_b32_e32 v118, 10
	ds_store_2addr_b64 v114, v[38:39], v[92:93] offset0:11 offset1:12
	ds_store_2addr_b64 v114, v[88:89], v[90:91] offset0:13 offset1:14
	;; [unrolled: 1-line block ×20, first 2 shown]
	ds_store_b64 v114, v[108:109] offset:408
.LBB102_228:
	s_or_b32 exec_lo, exec_lo, s0
	s_delay_alu instid0(SALU_CYCLE_1)
	s_mov_b32 s0, exec_lo
	s_wait_storecnt_dscnt 0x0
	s_barrier_signal -1
	s_barrier_wait -1
	v_cmpx_lt_i32_e32 10, v118
	s_cbranch_execz .LBB102_230
; %bb.229:
	v_pk_mul_f32 v[120:121], v[112:113], v[96:97] op_sel:[1,1] op_sel_hi:[0,1]
	s_delay_alu instid0(VALU_DEP_1)
	v_pk_fma_f32 v[110:111], v[112:113], v[96:97], v[120:121] op_sel_hi:[1,0,1] neg_lo:[0,0,1] neg_hi:[0,0,1]
	v_pk_fma_f32 v[112:113], v[112:113], v[96:97], v[120:121] op_sel_hi:[1,0,1]
	ds_load_2addr_b64 v[120:123], v114 offset0:11 offset1:12
	v_dual_mov_b32 v96, v110 :: v_dual_mov_b32 v97, v113
	s_wait_dscnt 0x0
	v_pk_mul_f32 v[124:125], v[120:121], v[112:113] op_sel:[0,1]
	s_delay_alu instid0(VALU_DEP_1) | instskip(SKIP_1) | instid1(VALU_DEP_1)
	v_pk_fma_f32 v[126:127], v[120:121], v[110:111], v[124:125] op_sel:[0,0,1] op_sel_hi:[1,1,0] neg_lo:[0,0,1] neg_hi:[0,0,1]
	v_pk_fma_f32 v[120:121], v[120:121], v[110:111], v[124:125] op_sel:[0,0,1] op_sel_hi:[1,0,0]
	v_mov_b32_e32 v127, v121
	v_pk_mul_f32 v[120:121], v[122:123], v[112:113] op_sel:[0,1]
	s_delay_alu instid0(VALU_DEP_1) | instskip(SKIP_1) | instid1(VALU_DEP_1)
	v_pk_fma_f32 v[124:125], v[122:123], v[110:111], v[120:121] op_sel:[0,0,1] op_sel_hi:[1,1,0] neg_lo:[0,0,1] neg_hi:[0,0,1]
	v_pk_fma_f32 v[120:121], v[122:123], v[110:111], v[120:121] op_sel:[0,0,1] op_sel_hi:[1,0,0]
	v_mov_b32_e32 v125, v121
	ds_load_2addr_b64 v[120:123], v114 offset0:13 offset1:14
	v_pk_add_f32 v[38:39], v[38:39], v[126:127] neg_lo:[0,1] neg_hi:[0,1]
	v_pk_add_f32 v[92:93], v[92:93], v[124:125] neg_lo:[0,1] neg_hi:[0,1]
	s_wait_dscnt 0x0
	v_pk_mul_f32 v[124:125], v[120:121], v[112:113] op_sel:[0,1]
	s_delay_alu instid0(VALU_DEP_1) | instskip(SKIP_2) | instid1(VALU_DEP_2)
	v_pk_fma_f32 v[126:127], v[120:121], v[110:111], v[124:125] op_sel:[0,0,1] op_sel_hi:[1,1,0] neg_lo:[0,0,1] neg_hi:[0,0,1]
	v_pk_fma_f32 v[120:121], v[120:121], v[110:111], v[124:125] op_sel:[0,0,1] op_sel_hi:[1,0,0]
	v_dual_mul_f32 v124, v123, v113 :: v_dual_mov_b32 v120, v123
	v_dual_mov_b32 v127, v121 :: v_dual_mov_b32 v121, v122
	s_delay_alu instid0(VALU_DEP_2) | instskip(SKIP_1) | instid1(VALU_DEP_3)
	v_pk_fma_f32 v[124:125], v[122:123], v[96:97], v[124:125] op_sel_hi:[1,1,0] neg_lo:[0,0,1] neg_hi:[0,0,1]
	v_mul_f32_e32 v122, v123, v110
	v_pk_add_f32 v[88:89], v[88:89], v[126:127] neg_lo:[0,1] neg_hi:[0,1]
	s_delay_alu instid0(VALU_DEP_2) | instskip(NEXT) | instid1(VALU_DEP_1)
	v_pk_fma_f32 v[120:121], v[120:121], v[96:97], v[122:123] op_sel_hi:[1,1,0]
	v_mov_b32_e32 v125, v121
	ds_load_2addr_b64 v[120:123], v114 offset0:15 offset1:16
	v_pk_add_f32 v[90:91], v[90:91], v[124:125] neg_lo:[0,1] neg_hi:[0,1]
	s_wait_dscnt 0x0
	v_pk_mul_f32 v[124:125], v[120:121], v[112:113] op_sel:[0,1]
	s_delay_alu instid0(VALU_DEP_1) | instskip(SKIP_1) | instid1(VALU_DEP_1)
	v_pk_fma_f32 v[126:127], v[120:121], v[110:111], v[124:125] op_sel:[0,0,1] op_sel_hi:[1,1,0] neg_lo:[0,0,1] neg_hi:[0,0,1]
	v_pk_fma_f32 v[120:121], v[120:121], v[110:111], v[124:125] op_sel:[0,0,1] op_sel_hi:[1,0,0]
	v_mov_b32_e32 v127, v121
	v_pk_mul_f32 v[120:121], v[122:123], v[112:113] op_sel:[0,1]
	s_delay_alu instid0(VALU_DEP_1) | instskip(SKIP_1) | instid1(VALU_DEP_1)
	v_pk_fma_f32 v[124:125], v[122:123], v[110:111], v[120:121] op_sel:[0,0,1] op_sel_hi:[1,1,0] neg_lo:[0,0,1] neg_hi:[0,0,1]
	v_pk_fma_f32 v[120:121], v[122:123], v[110:111], v[120:121] op_sel:[0,0,1] op_sel_hi:[1,0,0]
	v_mov_b32_e32 v125, v121
	ds_load_2addr_b64 v[120:123], v114 offset0:17 offset1:18
	v_pk_add_f32 v[32:33], v[32:33], v[126:127] neg_lo:[0,1] neg_hi:[0,1]
	v_pk_add_f32 v[80:81], v[80:81], v[124:125] neg_lo:[0,1] neg_hi:[0,1]
	s_wait_dscnt 0x0
	v_pk_mul_f32 v[124:125], v[120:121], v[112:113] op_sel:[0,1]
	s_delay_alu instid0(VALU_DEP_1) | instskip(SKIP_1) | instid1(VALU_DEP_1)
	v_pk_fma_f32 v[126:127], v[120:121], v[110:111], v[124:125] op_sel:[0,0,1] op_sel_hi:[1,1,0] neg_lo:[0,0,1] neg_hi:[0,0,1]
	v_pk_fma_f32 v[120:121], v[120:121], v[110:111], v[124:125] op_sel:[0,0,1] op_sel_hi:[1,0,0]
	v_mov_b32_e32 v127, v121
	v_pk_mul_f32 v[120:121], v[122:123], v[112:113] op_sel:[0,1]
	s_delay_alu instid0(VALU_DEP_1) | instskip(SKIP_1) | instid1(VALU_DEP_1)
	v_pk_fma_f32 v[124:125], v[122:123], v[110:111], v[120:121] op_sel:[0,0,1] op_sel_hi:[1,1,0] neg_lo:[0,0,1] neg_hi:[0,0,1]
	v_pk_fma_f32 v[120:121], v[122:123], v[110:111], v[120:121] op_sel:[0,0,1] op_sel_hi:[1,0,0]
	v_mov_b32_e32 v125, v121
	ds_load_2addr_b64 v[120:123], v114 offset0:19 offset1:20
	v_pk_add_f32 v[76:77], v[76:77], v[126:127] neg_lo:[0,1] neg_hi:[0,1]
	v_pk_add_f32 v[78:79], v[78:79], v[124:125] neg_lo:[0,1] neg_hi:[0,1]
	s_wait_dscnt 0x0
	v_dual_mul_f32 v124, v121, v113 :: v_dual_mul_f32 v126, v121, v110
	s_delay_alu instid0(VALU_DEP_1) | instskip(NEXT) | instid1(VALU_DEP_2)
	v_pk_fma_f32 v[124:125], v[120:121], v[96:97], v[124:125] op_sel_hi:[1,1,0] neg_lo:[0,0,1] neg_hi:[0,0,1]
	v_pk_fma_f32 v[120:121], v[120:121], v[96:97], v[126:127] op_sel:[1,0,0] op_sel_hi:[0,1,0]
	s_delay_alu instid0(VALU_DEP_1) | instskip(SKIP_1) | instid1(VALU_DEP_2)
	v_mov_b32_e32 v125, v121
	v_pk_mul_f32 v[120:121], v[122:123], v[112:113] op_sel:[0,1]
	v_pk_add_f32 v[24:25], v[24:25], v[124:125] neg_lo:[0,1] neg_hi:[0,1]
	s_delay_alu instid0(VALU_DEP_2) | instskip(SKIP_1) | instid1(VALU_DEP_1)
	v_pk_fma_f32 v[124:125], v[122:123], v[110:111], v[120:121] op_sel:[0,0,1] op_sel_hi:[1,1,0] neg_lo:[0,0,1] neg_hi:[0,0,1]
	v_pk_fma_f32 v[120:121], v[122:123], v[110:111], v[120:121] op_sel:[0,0,1] op_sel_hi:[1,0,0]
	v_mov_b32_e32 v125, v121
	ds_load_2addr_b64 v[120:123], v114 offset0:21 offset1:22
	v_pk_add_f32 v[74:75], v[74:75], v[124:125] neg_lo:[0,1] neg_hi:[0,1]
	s_wait_dscnt 0x0
	v_pk_mul_f32 v[124:125], v[120:121], v[112:113] op_sel:[0,1]
	s_delay_alu instid0(VALU_DEP_1) | instskip(SKIP_1) | instid1(VALU_DEP_1)
	v_pk_fma_f32 v[126:127], v[120:121], v[110:111], v[124:125] op_sel:[0,0,1] op_sel_hi:[1,1,0] neg_lo:[0,0,1] neg_hi:[0,0,1]
	v_pk_fma_f32 v[120:121], v[120:121], v[110:111], v[124:125] op_sel:[0,0,1] op_sel_hi:[1,0,0]
	v_mov_b32_e32 v127, v121
	v_pk_mul_f32 v[120:121], v[122:123], v[112:113] op_sel:[0,1]
	s_delay_alu instid0(VALU_DEP_2) | instskip(NEXT) | instid1(VALU_DEP_2)
	v_pk_add_f32 v[70:71], v[70:71], v[126:127] neg_lo:[0,1] neg_hi:[0,1]
	v_pk_fma_f32 v[124:125], v[122:123], v[110:111], v[120:121] op_sel:[0,0,1] op_sel_hi:[1,1,0] neg_lo:[0,0,1] neg_hi:[0,0,1]
	v_pk_fma_f32 v[120:121], v[122:123], v[110:111], v[120:121] op_sel:[0,0,1] op_sel_hi:[1,0,0]
	s_delay_alu instid0(VALU_DEP_1) | instskip(SKIP_4) | instid1(VALU_DEP_1)
	v_mov_b32_e32 v125, v121
	ds_load_2addr_b64 v[120:123], v114 offset0:23 offset1:24
	v_pk_add_f32 v[72:73], v[72:73], v[124:125] neg_lo:[0,1] neg_hi:[0,1]
	s_wait_dscnt 0x0
	v_pk_mul_f32 v[124:125], v[120:121], v[112:113] op_sel:[0,1]
	v_pk_fma_f32 v[126:127], v[120:121], v[110:111], v[124:125] op_sel:[0,0,1] op_sel_hi:[1,1,0] neg_lo:[0,0,1] neg_hi:[0,0,1]
	v_pk_fma_f32 v[120:121], v[120:121], v[110:111], v[124:125] op_sel:[0,0,1] op_sel_hi:[1,0,0]
	v_dual_mul_f32 v124, v123, v113 :: v_dual_mov_b32 v120, v123
	s_delay_alu instid0(VALU_DEP_2) | instskip(NEXT) | instid1(VALU_DEP_2)
	v_dual_mov_b32 v127, v121 :: v_dual_mov_b32 v121, v122
	v_pk_fma_f32 v[124:125], v[122:123], v[96:97], v[124:125] op_sel_hi:[1,1,0] neg_lo:[0,0,1] neg_hi:[0,0,1]
	v_mul_f32_e32 v122, v123, v110
	s_delay_alu instid0(VALU_DEP_3) | instskip(NEXT) | instid1(VALU_DEP_2)
	v_pk_add_f32 v[22:23], v[22:23], v[126:127] neg_lo:[0,1] neg_hi:[0,1]
	v_pk_fma_f32 v[120:121], v[120:121], v[96:97], v[122:123] op_sel_hi:[1,1,0]
	s_delay_alu instid0(VALU_DEP_1) | instskip(SKIP_4) | instid1(VALU_DEP_1)
	v_mov_b32_e32 v125, v121
	ds_load_2addr_b64 v[120:123], v114 offset0:25 offset1:26
	v_pk_add_f32 v[68:69], v[68:69], v[124:125] neg_lo:[0,1] neg_hi:[0,1]
	s_wait_dscnt 0x0
	v_pk_mul_f32 v[124:125], v[120:121], v[112:113] op_sel:[0,1]
	v_pk_fma_f32 v[126:127], v[120:121], v[110:111], v[124:125] op_sel:[0,0,1] op_sel_hi:[1,1,0] neg_lo:[0,0,1] neg_hi:[0,0,1]
	v_pk_fma_f32 v[120:121], v[120:121], v[110:111], v[124:125] op_sel:[0,0,1] op_sel_hi:[1,0,0]
	s_delay_alu instid0(VALU_DEP_1) | instskip(SKIP_1) | instid1(VALU_DEP_1)
	v_mov_b32_e32 v127, v121
	v_pk_mul_f32 v[120:121], v[122:123], v[112:113] op_sel:[0,1]
	v_pk_fma_f32 v[124:125], v[122:123], v[110:111], v[120:121] op_sel:[0,0,1] op_sel_hi:[1,1,0] neg_lo:[0,0,1] neg_hi:[0,0,1]
	v_pk_fma_f32 v[120:121], v[122:123], v[110:111], v[120:121] op_sel:[0,0,1] op_sel_hi:[1,0,0]
	s_delay_alu instid0(VALU_DEP_1)
	v_mov_b32_e32 v125, v121
	ds_load_2addr_b64 v[120:123], v114 offset0:27 offset1:28
	v_pk_add_f32 v[64:65], v[64:65], v[126:127] neg_lo:[0,1] neg_hi:[0,1]
	v_pk_add_f32 v[66:67], v[66:67], v[124:125] neg_lo:[0,1] neg_hi:[0,1]
	s_wait_dscnt 0x0
	v_pk_mul_f32 v[124:125], v[120:121], v[112:113] op_sel:[0,1]
	s_delay_alu instid0(VALU_DEP_1) | instskip(SKIP_1) | instid1(VALU_DEP_1)
	v_pk_fma_f32 v[126:127], v[120:121], v[110:111], v[124:125] op_sel:[0,0,1] op_sel_hi:[1,1,0] neg_lo:[0,0,1] neg_hi:[0,0,1]
	v_pk_fma_f32 v[120:121], v[120:121], v[110:111], v[124:125] op_sel:[0,0,1] op_sel_hi:[1,0,0]
	v_mov_b32_e32 v127, v121
	v_pk_mul_f32 v[120:121], v[122:123], v[112:113] op_sel:[0,1]
	s_delay_alu instid0(VALU_DEP_1) | instskip(SKIP_1) | instid1(VALU_DEP_1)
	v_pk_fma_f32 v[124:125], v[122:123], v[110:111], v[120:121] op_sel:[0,0,1] op_sel_hi:[1,1,0] neg_lo:[0,0,1] neg_hi:[0,0,1]
	v_pk_fma_f32 v[120:121], v[122:123], v[110:111], v[120:121] op_sel:[0,0,1] op_sel_hi:[1,0,0]
	v_mov_b32_e32 v125, v121
	ds_load_2addr_b64 v[120:123], v114 offset0:29 offset1:30
	v_pk_add_f32 v[20:21], v[20:21], v[126:127] neg_lo:[0,1] neg_hi:[0,1]
	v_pk_add_f32 v[62:63], v[62:63], v[124:125] neg_lo:[0,1] neg_hi:[0,1]
	s_wait_dscnt 0x0
	v_dual_mul_f32 v124, v121, v113 :: v_dual_mul_f32 v126, v121, v110
	s_delay_alu instid0(VALU_DEP_1) | instskip(NEXT) | instid1(VALU_DEP_2)
	v_pk_fma_f32 v[124:125], v[120:121], v[96:97], v[124:125] op_sel_hi:[1,1,0] neg_lo:[0,0,1] neg_hi:[0,0,1]
	v_pk_fma_f32 v[120:121], v[120:121], v[96:97], v[126:127] op_sel:[1,0,0] op_sel_hi:[0,1,0]
	s_delay_alu instid0(VALU_DEP_1) | instskip(SKIP_1) | instid1(VALU_DEP_2)
	v_mov_b32_e32 v125, v121
	v_pk_mul_f32 v[120:121], v[122:123], v[112:113] op_sel:[0,1]
	v_pk_add_f32 v[58:59], v[58:59], v[124:125] neg_lo:[0,1] neg_hi:[0,1]
	s_delay_alu instid0(VALU_DEP_2) | instskip(SKIP_1) | instid1(VALU_DEP_1)
	v_pk_fma_f32 v[124:125], v[122:123], v[110:111], v[120:121] op_sel:[0,0,1] op_sel_hi:[1,1,0] neg_lo:[0,0,1] neg_hi:[0,0,1]
	v_pk_fma_f32 v[120:121], v[122:123], v[110:111], v[120:121] op_sel:[0,0,1] op_sel_hi:[1,0,0]
	v_mov_b32_e32 v125, v121
	ds_load_2addr_b64 v[120:123], v114 offset0:31 offset1:32
	v_pk_add_f32 v[60:61], v[60:61], v[124:125] neg_lo:[0,1] neg_hi:[0,1]
	s_wait_dscnt 0x0
	v_pk_mul_f32 v[124:125], v[120:121], v[112:113] op_sel:[0,1]
	s_delay_alu instid0(VALU_DEP_1) | instskip(SKIP_1) | instid1(VALU_DEP_1)
	v_pk_fma_f32 v[126:127], v[120:121], v[110:111], v[124:125] op_sel:[0,0,1] op_sel_hi:[1,1,0] neg_lo:[0,0,1] neg_hi:[0,0,1]
	v_pk_fma_f32 v[120:121], v[120:121], v[110:111], v[124:125] op_sel:[0,0,1] op_sel_hi:[1,0,0]
	v_mov_b32_e32 v127, v121
	v_pk_mul_f32 v[120:121], v[122:123], v[112:113] op_sel:[0,1]
	s_delay_alu instid0(VALU_DEP_2) | instskip(NEXT) | instid1(VALU_DEP_2)
	v_pk_add_f32 v[18:19], v[18:19], v[126:127] neg_lo:[0,1] neg_hi:[0,1]
	v_pk_fma_f32 v[124:125], v[122:123], v[110:111], v[120:121] op_sel:[0,0,1] op_sel_hi:[1,1,0] neg_lo:[0,0,1] neg_hi:[0,0,1]
	v_pk_fma_f32 v[120:121], v[122:123], v[110:111], v[120:121] op_sel:[0,0,1] op_sel_hi:[1,0,0]
	s_delay_alu instid0(VALU_DEP_1) | instskip(SKIP_4) | instid1(VALU_DEP_1)
	v_mov_b32_e32 v125, v121
	ds_load_2addr_b64 v[120:123], v114 offset0:33 offset1:34
	v_pk_add_f32 v[56:57], v[56:57], v[124:125] neg_lo:[0,1] neg_hi:[0,1]
	s_wait_dscnt 0x0
	v_pk_mul_f32 v[124:125], v[120:121], v[112:113] op_sel:[0,1]
	v_pk_fma_f32 v[126:127], v[120:121], v[110:111], v[124:125] op_sel:[0,0,1] op_sel_hi:[1,1,0] neg_lo:[0,0,1] neg_hi:[0,0,1]
	v_pk_fma_f32 v[120:121], v[120:121], v[110:111], v[124:125] op_sel:[0,0,1] op_sel_hi:[1,0,0]
	v_dual_mul_f32 v124, v123, v113 :: v_dual_mov_b32 v120, v123
	s_delay_alu instid0(VALU_DEP_2) | instskip(NEXT) | instid1(VALU_DEP_2)
	v_dual_mov_b32 v127, v121 :: v_dual_mov_b32 v121, v122
	v_pk_fma_f32 v[124:125], v[122:123], v[96:97], v[124:125] op_sel_hi:[1,1,0] neg_lo:[0,0,1] neg_hi:[0,0,1]
	v_mul_f32_e32 v122, v123, v110
	s_delay_alu instid0(VALU_DEP_3) | instskip(NEXT) | instid1(VALU_DEP_2)
	v_pk_add_f32 v[52:53], v[52:53], v[126:127] neg_lo:[0,1] neg_hi:[0,1]
	v_pk_fma_f32 v[120:121], v[120:121], v[96:97], v[122:123] op_sel_hi:[1,1,0]
	s_delay_alu instid0(VALU_DEP_1) | instskip(SKIP_4) | instid1(VALU_DEP_1)
	v_mov_b32_e32 v125, v121
	ds_load_2addr_b64 v[120:123], v114 offset0:35 offset1:36
	v_pk_add_f32 v[54:55], v[54:55], v[124:125] neg_lo:[0,1] neg_hi:[0,1]
	s_wait_dscnt 0x0
	v_pk_mul_f32 v[124:125], v[120:121], v[112:113] op_sel:[0,1]
	v_pk_fma_f32 v[126:127], v[120:121], v[110:111], v[124:125] op_sel:[0,0,1] op_sel_hi:[1,1,0] neg_lo:[0,0,1] neg_hi:[0,0,1]
	v_pk_fma_f32 v[120:121], v[120:121], v[110:111], v[124:125] op_sel:[0,0,1] op_sel_hi:[1,0,0]
	s_delay_alu instid0(VALU_DEP_1) | instskip(SKIP_1) | instid1(VALU_DEP_1)
	v_mov_b32_e32 v127, v121
	v_pk_mul_f32 v[120:121], v[122:123], v[112:113] op_sel:[0,1]
	v_pk_fma_f32 v[124:125], v[122:123], v[110:111], v[120:121] op_sel:[0,0,1] op_sel_hi:[1,1,0] neg_lo:[0,0,1] neg_hi:[0,0,1]
	v_pk_fma_f32 v[120:121], v[122:123], v[110:111], v[120:121] op_sel:[0,0,1] op_sel_hi:[1,0,0]
	s_delay_alu instid0(VALU_DEP_1)
	v_mov_b32_e32 v125, v121
	ds_load_2addr_b64 v[120:123], v114 offset0:37 offset1:38
	v_pk_add_f32 v[12:13], v[12:13], v[126:127] neg_lo:[0,1] neg_hi:[0,1]
	v_pk_add_f32 v[50:51], v[50:51], v[124:125] neg_lo:[0,1] neg_hi:[0,1]
	s_wait_dscnt 0x0
	v_pk_mul_f32 v[124:125], v[120:121], v[112:113] op_sel:[0,1]
	s_delay_alu instid0(VALU_DEP_1) | instskip(SKIP_1) | instid1(VALU_DEP_1)
	v_pk_fma_f32 v[126:127], v[120:121], v[110:111], v[124:125] op_sel:[0,0,1] op_sel_hi:[1,1,0] neg_lo:[0,0,1] neg_hi:[0,0,1]
	v_pk_fma_f32 v[120:121], v[120:121], v[110:111], v[124:125] op_sel:[0,0,1] op_sel_hi:[1,0,0]
	v_mov_b32_e32 v127, v121
	v_pk_mul_f32 v[120:121], v[122:123], v[112:113] op_sel:[0,1]
	s_delay_alu instid0(VALU_DEP_1) | instskip(SKIP_1) | instid1(VALU_DEP_1)
	v_pk_fma_f32 v[124:125], v[122:123], v[110:111], v[120:121] op_sel:[0,0,1] op_sel_hi:[1,1,0] neg_lo:[0,0,1] neg_hi:[0,0,1]
	v_pk_fma_f32 v[120:121], v[122:123], v[110:111], v[120:121] op_sel:[0,0,1] op_sel_hi:[1,0,0]
	v_mov_b32_e32 v125, v121
	ds_load_2addr_b64 v[120:123], v114 offset0:39 offset1:40
	v_pk_add_f32 v[46:47], v[46:47], v[126:127] neg_lo:[0,1] neg_hi:[0,1]
	v_pk_add_f32 v[48:49], v[48:49], v[124:125] neg_lo:[0,1] neg_hi:[0,1]
	s_wait_dscnt 0x0
	v_dual_mul_f32 v124, v121, v113 :: v_dual_mul_f32 v126, v121, v110
	s_delay_alu instid0(VALU_DEP_1) | instskip(NEXT) | instid1(VALU_DEP_2)
	v_pk_fma_f32 v[124:125], v[120:121], v[96:97], v[124:125] op_sel_hi:[1,1,0] neg_lo:[0,0,1] neg_hi:[0,0,1]
	v_pk_fma_f32 v[120:121], v[120:121], v[96:97], v[126:127] op_sel:[1,0,0] op_sel_hi:[0,1,0]
	s_delay_alu instid0(VALU_DEP_1) | instskip(SKIP_1) | instid1(VALU_DEP_2)
	v_mov_b32_e32 v125, v121
	v_pk_mul_f32 v[120:121], v[122:123], v[112:113] op_sel:[0,1]
	v_pk_add_f32 v[10:11], v[10:11], v[124:125] neg_lo:[0,1] neg_hi:[0,1]
	s_delay_alu instid0(VALU_DEP_2) | instskip(SKIP_1) | instid1(VALU_DEP_1)
	v_pk_fma_f32 v[124:125], v[122:123], v[110:111], v[120:121] op_sel:[0,0,1] op_sel_hi:[1,1,0] neg_lo:[0,0,1] neg_hi:[0,0,1]
	v_pk_fma_f32 v[120:121], v[122:123], v[110:111], v[120:121] op_sel:[0,0,1] op_sel_hi:[1,0,0]
	v_mov_b32_e32 v125, v121
	ds_load_2addr_b64 v[120:123], v114 offset0:41 offset1:42
	v_pk_add_f32 v[44:45], v[44:45], v[124:125] neg_lo:[0,1] neg_hi:[0,1]
	s_wait_dscnt 0x0
	v_pk_mul_f32 v[124:125], v[120:121], v[112:113] op_sel:[0,1]
	s_delay_alu instid0(VALU_DEP_1) | instskip(SKIP_1) | instid1(VALU_DEP_1)
	v_pk_fma_f32 v[126:127], v[120:121], v[110:111], v[124:125] op_sel:[0,0,1] op_sel_hi:[1,1,0] neg_lo:[0,0,1] neg_hi:[0,0,1]
	v_pk_fma_f32 v[120:121], v[120:121], v[110:111], v[124:125] op_sel:[0,0,1] op_sel_hi:[1,0,0]
	v_mov_b32_e32 v127, v121
	v_pk_mul_f32 v[120:121], v[122:123], v[112:113] op_sel:[0,1]
	s_delay_alu instid0(VALU_DEP_2) | instskip(NEXT) | instid1(VALU_DEP_2)
	v_pk_add_f32 v[40:41], v[40:41], v[126:127] neg_lo:[0,1] neg_hi:[0,1]
	v_pk_fma_f32 v[124:125], v[122:123], v[110:111], v[120:121] op_sel:[0,0,1] op_sel_hi:[1,1,0] neg_lo:[0,0,1] neg_hi:[0,0,1]
	v_pk_fma_f32 v[120:121], v[122:123], v[110:111], v[120:121] op_sel:[0,0,1] op_sel_hi:[1,0,0]
	s_delay_alu instid0(VALU_DEP_1) | instskip(SKIP_4) | instid1(VALU_DEP_1)
	v_mov_b32_e32 v125, v121
	ds_load_2addr_b64 v[120:123], v114 offset0:43 offset1:44
	v_pk_add_f32 v[42:43], v[42:43], v[124:125] neg_lo:[0,1] neg_hi:[0,1]
	s_wait_dscnt 0x0
	v_pk_mul_f32 v[124:125], v[120:121], v[112:113] op_sel:[0,1]
	v_pk_fma_f32 v[126:127], v[120:121], v[110:111], v[124:125] op_sel:[0,0,1] op_sel_hi:[1,1,0] neg_lo:[0,0,1] neg_hi:[0,0,1]
	v_pk_fma_f32 v[120:121], v[120:121], v[110:111], v[124:125] op_sel:[0,0,1] op_sel_hi:[1,0,0]
	v_dual_mul_f32 v124, v123, v113 :: v_dual_mov_b32 v120, v123
	s_delay_alu instid0(VALU_DEP_2) | instskip(NEXT) | instid1(VALU_DEP_2)
	v_dual_mov_b32 v127, v121 :: v_dual_mov_b32 v121, v122
	v_pk_fma_f32 v[124:125], v[122:123], v[96:97], v[124:125] op_sel_hi:[1,1,0] neg_lo:[0,0,1] neg_hi:[0,0,1]
	v_mul_f32_e32 v122, v123, v110
	s_delay_alu instid0(VALU_DEP_3) | instskip(NEXT) | instid1(VALU_DEP_2)
	v_pk_add_f32 v[6:7], v[6:7], v[126:127] neg_lo:[0,1] neg_hi:[0,1]
	v_pk_fma_f32 v[120:121], v[120:121], v[96:97], v[122:123] op_sel_hi:[1,1,0]
	s_delay_alu instid0(VALU_DEP_1) | instskip(SKIP_4) | instid1(VALU_DEP_1)
	v_mov_b32_e32 v125, v121
	ds_load_2addr_b64 v[120:123], v114 offset0:45 offset1:46
	v_pk_add_f32 v[36:37], v[36:37], v[124:125] neg_lo:[0,1] neg_hi:[0,1]
	s_wait_dscnt 0x0
	v_pk_mul_f32 v[124:125], v[120:121], v[112:113] op_sel:[0,1]
	v_pk_fma_f32 v[126:127], v[120:121], v[110:111], v[124:125] op_sel:[0,0,1] op_sel_hi:[1,1,0] neg_lo:[0,0,1] neg_hi:[0,0,1]
	v_pk_fma_f32 v[120:121], v[120:121], v[110:111], v[124:125] op_sel:[0,0,1] op_sel_hi:[1,0,0]
	s_delay_alu instid0(VALU_DEP_1) | instskip(SKIP_1) | instid1(VALU_DEP_1)
	v_mov_b32_e32 v127, v121
	v_pk_mul_f32 v[120:121], v[122:123], v[112:113] op_sel:[0,1]
	v_pk_fma_f32 v[124:125], v[122:123], v[110:111], v[120:121] op_sel:[0,0,1] op_sel_hi:[1,1,0] neg_lo:[0,0,1] neg_hi:[0,0,1]
	v_pk_fma_f32 v[120:121], v[122:123], v[110:111], v[120:121] op_sel:[0,0,1] op_sel_hi:[1,0,0]
	s_delay_alu instid0(VALU_DEP_1)
	v_mov_b32_e32 v125, v121
	ds_load_2addr_b64 v[120:123], v114 offset0:47 offset1:48
	v_pk_add_f32 v[30:31], v[30:31], v[126:127] neg_lo:[0,1] neg_hi:[0,1]
	v_pk_add_f32 v[34:35], v[34:35], v[124:125] neg_lo:[0,1] neg_hi:[0,1]
	s_wait_dscnt 0x0
	v_pk_mul_f32 v[124:125], v[120:121], v[112:113] op_sel:[0,1]
	s_delay_alu instid0(VALU_DEP_1) | instskip(SKIP_1) | instid1(VALU_DEP_1)
	v_pk_fma_f32 v[126:127], v[120:121], v[110:111], v[124:125] op_sel:[0,0,1] op_sel_hi:[1,1,0] neg_lo:[0,0,1] neg_hi:[0,0,1]
	v_pk_fma_f32 v[120:121], v[120:121], v[110:111], v[124:125] op_sel:[0,0,1] op_sel_hi:[1,0,0]
	v_mov_b32_e32 v127, v121
	v_pk_mul_f32 v[120:121], v[122:123], v[112:113] op_sel:[0,1]
	s_delay_alu instid0(VALU_DEP_1) | instskip(SKIP_1) | instid1(VALU_DEP_1)
	v_pk_fma_f32 v[124:125], v[122:123], v[110:111], v[120:121] op_sel:[0,0,1] op_sel_hi:[1,1,0] neg_lo:[0,0,1] neg_hi:[0,0,1]
	v_pk_fma_f32 v[120:121], v[122:123], v[110:111], v[120:121] op_sel:[0,0,1] op_sel_hi:[1,0,0]
	v_mov_b32_e32 v125, v121
	ds_load_2addr_b64 v[120:123], v114 offset0:49 offset1:50
	v_pk_add_f32 v[8:9], v[8:9], v[126:127] neg_lo:[0,1] neg_hi:[0,1]
	v_pk_add_f32 v[28:29], v[28:29], v[124:125] neg_lo:[0,1] neg_hi:[0,1]
	s_wait_dscnt 0x0
	v_dual_mul_f32 v124, v121, v113 :: v_dual_mul_f32 v126, v121, v110
	s_delay_alu instid0(VALU_DEP_1) | instskip(NEXT) | instid1(VALU_DEP_2)
	v_pk_fma_f32 v[124:125], v[120:121], v[96:97], v[124:125] op_sel_hi:[1,1,0] neg_lo:[0,0,1] neg_hi:[0,0,1]
	v_pk_fma_f32 v[120:121], v[120:121], v[96:97], v[126:127] op_sel:[1,0,0] op_sel_hi:[0,1,0]
	s_delay_alu instid0(VALU_DEP_1) | instskip(SKIP_1) | instid1(VALU_DEP_2)
	v_mov_b32_e32 v125, v121
	v_pk_mul_f32 v[120:121], v[122:123], v[112:113] op_sel:[0,1]
	v_pk_add_f32 v[16:17], v[16:17], v[124:125] neg_lo:[0,1] neg_hi:[0,1]
	s_delay_alu instid0(VALU_DEP_2) | instskip(SKIP_1) | instid1(VALU_DEP_1)
	v_pk_fma_f32 v[124:125], v[122:123], v[110:111], v[120:121] op_sel:[0,0,1] op_sel_hi:[1,1,0] neg_lo:[0,0,1] neg_hi:[0,0,1]
	v_pk_fma_f32 v[120:121], v[122:123], v[110:111], v[120:121] op_sel:[0,0,1] op_sel_hi:[1,0,0]
	v_mov_b32_e32 v125, v121
	ds_load_b64 v[120:121], v114 offset:408
	v_pk_add_f32 v[14:15], v[14:15], v[124:125] neg_lo:[0,1] neg_hi:[0,1]
	s_wait_dscnt 0x0
	v_pk_mul_f32 v[112:113], v[120:121], v[112:113] op_sel:[0,1]
	s_delay_alu instid0(VALU_DEP_1) | instskip(SKIP_1) | instid1(VALU_DEP_1)
	v_pk_fma_f32 v[122:123], v[120:121], v[110:111], v[112:113] op_sel:[0,0,1] op_sel_hi:[1,1,0] neg_lo:[0,0,1] neg_hi:[0,0,1]
	v_pk_fma_f32 v[110:111], v[120:121], v[110:111], v[112:113] op_sel:[0,0,1] op_sel_hi:[1,0,0]
	v_mov_b32_e32 v123, v111
	s_delay_alu instid0(VALU_DEP_1)
	v_pk_add_f32 v[108:109], v[108:109], v[122:123] neg_lo:[0,1] neg_hi:[0,1]
.LBB102_230:
	s_or_b32 exec_lo, exec_lo, s0
	v_lshl_add_u32 v110, v118, 3, v114
	s_barrier_signal -1
	s_barrier_wait -1
	ds_store_b64 v110, v[38:39]
	s_wait_dscnt 0x0
	s_barrier_signal -1
	s_barrier_wait -1
	ds_load_b64 v[112:113], v114 offset:88
	v_mov_b32_e32 v110, 11
	s_cmp_lt_i32 s18, 13
	s_cbranch_scc1 .LBB102_233
; %bb.231:
	v_add3_u32 v111, v115, 0, 0x60
	v_mov_b32_e32 v110, 11
	s_mov_b32 s0, 12
.LBB102_232:                            ; =>This Inner Loop Header: Depth=1
	ds_load_b64 v[120:121], v111
	s_wait_dscnt 0x1
	v_cmp_gt_f32_e32 vcc_lo, 0, v112
	v_cndmask_b32_e64 v122, v112, -v112, vcc_lo
	v_cmp_gt_f32_e32 vcc_lo, 0, v113
	v_cndmask_b32_e64 v124, v113, -v113, vcc_lo
	s_wait_dscnt 0x0
	v_cmp_gt_f32_e32 vcc_lo, 0, v120
	v_cndmask_b32_e64 v123, v120, -v120, vcc_lo
	v_cmp_gt_f32_e32 vcc_lo, 0, v121
	v_cndmask_b32_e64 v125, v121, -v121, vcc_lo
	s_delay_alu instid0(VALU_DEP_1) | instskip(NEXT) | instid1(VALU_DEP_1)
	v_pk_add_f32 v[122:123], v[122:123], v[124:125]
	v_cmp_lt_f32_e32 vcc_lo, v122, v123
	v_dual_add_nc_u32 v111, 8, v111 :: v_dual_cndmask_b32 v113, v113, v121, vcc_lo
	v_cndmask_b32_e32 v112, v112, v120, vcc_lo
	v_cndmask_b32_e64 v110, v110, s0, vcc_lo
	s_add_co_i32 s0, s0, 1
	s_delay_alu instid0(SALU_CYCLE_1)
	s_cmp_lg_u32 s18, s0
	s_cbranch_scc1 .LBB102_232
.LBB102_233:
	s_wait_dscnt 0x0
	v_cmp_eq_f32_e32 vcc_lo, 0, v112
	v_cmp_eq_f32_e64 s0, 0, v113
	s_and_b32 s0, vcc_lo, s0
	s_delay_alu instid0(SALU_CYCLE_1) | instskip(NEXT) | instid1(SALU_CYCLE_1)
	s_and_saveexec_b32 s1, s0
	s_xor_b32 s0, exec_lo, s1
; %bb.234:
	v_cmp_ne_u32_e32 vcc_lo, 0, v116
	v_cndmask_b32_e32 v116, 12, v116, vcc_lo
; %bb.235:
	s_and_not1_saveexec_b32 s0, s0
	s_cbranch_execz .LBB102_241
; %bb.236:
	v_cmp_ngt_f32_e64 s1, |v112|, |v113|
	s_and_saveexec_b32 s12, s1
	s_delay_alu instid0(SALU_CYCLE_1)
	s_xor_b32 s1, exec_lo, s12
	s_cbranch_execz .LBB102_238
; %bb.237:
	v_div_scale_f32 v111, null, v113, v113, v112
	v_div_scale_f32 v121, vcc_lo, v112, v113, v112
	s_delay_alu instid0(VALU_DEP_2) | instskip(SKIP_1) | instid1(TRANS32_DEP_1)
	v_rcp_f32_e32 v119, v111
	v_nop
	v_fma_f32 v120, -v111, v119, 1.0
	s_delay_alu instid0(VALU_DEP_1) | instskip(NEXT) | instid1(VALU_DEP_1)
	v_fmac_f32_e32 v119, v120, v119
	v_mul_f32_e32 v120, v121, v119
	s_delay_alu instid0(VALU_DEP_1) | instskip(NEXT) | instid1(VALU_DEP_1)
	v_fma_f32 v122, -v111, v120, v121
	v_fmac_f32_e32 v120, v122, v119
	s_delay_alu instid0(VALU_DEP_1) | instskip(NEXT) | instid1(VALU_DEP_1)
	v_fma_f32 v111, -v111, v120, v121
	v_div_fmas_f32 v111, v111, v119, v120
	s_delay_alu instid0(VALU_DEP_1) | instskip(NEXT) | instid1(VALU_DEP_1)
	v_div_fixup_f32 v111, v111, v113, v112
	v_fmac_f32_e32 v113, v112, v111
	s_delay_alu instid0(VALU_DEP_1) | instskip(SKIP_1) | instid1(VALU_DEP_2)
	v_div_scale_f32 v112, null, v113, v113, 1.0
	v_div_scale_f32 v121, vcc_lo, 1.0, v113, 1.0
	v_rcp_f32_e32 v119, v112
	v_nop
	s_delay_alu instid0(TRANS32_DEP_1) | instskip(NEXT) | instid1(VALU_DEP_1)
	v_fma_f32 v120, -v112, v119, 1.0
	v_fmac_f32_e32 v119, v120, v119
	s_delay_alu instid0(VALU_DEP_1) | instskip(NEXT) | instid1(VALU_DEP_1)
	v_mul_f32_e32 v120, v121, v119
	v_fma_f32 v122, -v112, v120, v121
	s_delay_alu instid0(VALU_DEP_1) | instskip(NEXT) | instid1(VALU_DEP_1)
	v_fmac_f32_e32 v120, v122, v119
	v_fma_f32 v112, -v112, v120, v121
	s_delay_alu instid0(VALU_DEP_1) | instskip(NEXT) | instid1(VALU_DEP_1)
	v_div_fmas_f32 v112, v112, v119, v120
	v_div_fixup_f32 v113, v112, v113, 1.0
	s_delay_alu instid0(VALU_DEP_1)
	v_mul_f32_e32 v112, v111, v113
	v_xor_b32_e32 v113, 0x80000000, v113
.LBB102_238:
	s_and_not1_saveexec_b32 s1, s1
	s_cbranch_execz .LBB102_240
; %bb.239:
	s_delay_alu instid0(VALU_DEP_1) | instskip(SKIP_1) | instid1(VALU_DEP_2)
	v_div_scale_f32 v111, null, v112, v112, v113
	v_div_scale_f32 v121, vcc_lo, v113, v112, v113
	v_rcp_f32_e32 v119, v111
	v_nop
	s_delay_alu instid0(TRANS32_DEP_1) | instskip(NEXT) | instid1(VALU_DEP_1)
	v_fma_f32 v120, -v111, v119, 1.0
	v_fmac_f32_e32 v119, v120, v119
	s_delay_alu instid0(VALU_DEP_1) | instskip(NEXT) | instid1(VALU_DEP_1)
	v_mul_f32_e32 v120, v121, v119
	v_fma_f32 v122, -v111, v120, v121
	s_delay_alu instid0(VALU_DEP_1) | instskip(NEXT) | instid1(VALU_DEP_1)
	v_fmac_f32_e32 v120, v122, v119
	v_fma_f32 v111, -v111, v120, v121
	s_delay_alu instid0(VALU_DEP_1) | instskip(NEXT) | instid1(VALU_DEP_1)
	v_div_fmas_f32 v111, v111, v119, v120
	v_div_fixup_f32 v111, v111, v112, v113
	s_delay_alu instid0(VALU_DEP_1) | instskip(NEXT) | instid1(VALU_DEP_1)
	v_fmac_f32_e32 v112, v113, v111
	v_div_scale_f32 v113, null, v112, v112, 1.0
	s_delay_alu instid0(VALU_DEP_1) | instskip(SKIP_1) | instid1(TRANS32_DEP_1)
	v_rcp_f32_e32 v119, v113
	v_nop
	v_fma_f32 v120, -v113, v119, 1.0
	s_delay_alu instid0(VALU_DEP_1) | instskip(SKIP_1) | instid1(VALU_DEP_1)
	v_fmac_f32_e32 v119, v120, v119
	v_div_scale_f32 v120, vcc_lo, 1.0, v112, 1.0
	v_mul_f32_e32 v121, v120, v119
	s_delay_alu instid0(VALU_DEP_1) | instskip(NEXT) | instid1(VALU_DEP_1)
	v_fma_f32 v122, -v113, v121, v120
	v_fmac_f32_e32 v121, v122, v119
	s_delay_alu instid0(VALU_DEP_1) | instskip(NEXT) | instid1(VALU_DEP_1)
	v_fma_f32 v113, -v113, v121, v120
	v_div_fmas_f32 v113, v113, v119, v121
	s_delay_alu instid0(VALU_DEP_1) | instskip(NEXT) | instid1(VALU_DEP_1)
	v_div_fixup_f32 v112, v113, v112, 1.0
	v_mul_f32_e64 v113, v111, -v112
.LBB102_240:
	s_or_b32 exec_lo, exec_lo, s1
.LBB102_241:
	s_delay_alu instid0(SALU_CYCLE_1) | instskip(NEXT) | instid1(SALU_CYCLE_1)
	s_or_b32 exec_lo, exec_lo, s0
	s_mov_b32 s0, exec_lo
	v_cmpx_ne_u32_e64 v118, v110
	s_xor_b32 s0, exec_lo, s0
	s_cbranch_execz .LBB102_247
; %bb.242:
	s_mov_b32 s1, exec_lo
	v_cmpx_eq_u32_e32 11, v118
	s_cbranch_execz .LBB102_246
; %bb.243:
	v_cmp_ne_u32_e32 vcc_lo, 11, v110
	s_xor_b32 s12, s16, -1
	s_delay_alu instid0(SALU_CYCLE_1) | instskip(NEXT) | instid1(SALU_CYCLE_1)
	s_and_b32 s13, s12, vcc_lo
	s_and_saveexec_b32 s12, s13
	s_cbranch_execz .LBB102_245
; %bb.244:
	v_ashrrev_i32_e32 v111, 31, v110
	s_delay_alu instid0(VALU_DEP_1)
	v_lshl_add_u64 v[118:119], v[110:111], 2, v[4:5]
	s_clause 0x1
	global_load_b32 v111, v[118:119], off
	global_load_b32 v117, v[4:5], off offset:44
	s_wait_loadcnt 0x1
	global_store_b32 v[4:5], v111, off offset:44
	s_wait_loadcnt 0x0
	global_store_b32 v[118:119], v117, off
.LBB102_245:
	s_wait_xcnt 0x0
	s_or_b32 exec_lo, exec_lo, s12
	v_dual_mov_b32 v118, v110 :: v_dual_mov_b32 v117, v110
.LBB102_246:
	s_or_b32 exec_lo, exec_lo, s1
.LBB102_247:
	s_and_not1_saveexec_b32 s0, s0
	s_cbranch_execz .LBB102_249
; %bb.248:
	v_dual_mov_b32 v110, v92 :: v_dual_mov_b32 v111, v93
	v_dual_mov_b32 v118, v88 :: v_dual_mov_b32 v119, v89
	;; [unrolled: 1-line block ×8, first 2 shown]
	ds_store_2addr_b64 v114, v[110:111], v[118:119] offset0:12 offset1:13
	ds_store_2addr_b64 v114, v[120:121], v[122:123] offset0:14 offset1:15
	;; [unrolled: 1-line block ×4, first 2 shown]
	v_dual_mov_b32 v110, v74 :: v_dual_mov_b32 v111, v75
	v_dual_mov_b32 v118, v70 :: v_dual_mov_b32 v119, v71
	;; [unrolled: 1-line block ×12, first 2 shown]
	ds_store_2addr_b64 v114, v[110:111], v[118:119] offset0:20 offset1:21
	ds_store_2addr_b64 v114, v[120:121], v[122:123] offset0:22 offset1:23
	ds_store_2addr_b64 v114, v[124:125], v[126:127] offset0:24 offset1:25
	ds_store_2addr_b64 v114, v[128:129], v[130:131] offset0:26 offset1:27
	ds_store_2addr_b64 v114, v[132:133], v[134:135] offset0:28 offset1:29
	ds_store_2addr_b64 v114, v[136:137], v[138:139] offset0:30 offset1:31
	v_dual_mov_b32 v110, v56 :: v_dual_mov_b32 v111, v57
	v_dual_mov_b32 v118, v52 :: v_dual_mov_b32 v119, v53
	v_dual_mov_b32 v120, v54 :: v_dual_mov_b32 v121, v55
	v_dual_mov_b32 v122, v12 :: v_dual_mov_b32 v123, v13
	v_dual_mov_b32 v124, v50 :: v_dual_mov_b32 v125, v51
	v_dual_mov_b32 v126, v46 :: v_dual_mov_b32 v127, v47
	v_dual_mov_b32 v128, v48 :: v_dual_mov_b32 v129, v49
	v_dual_mov_b32 v130, v10 :: v_dual_mov_b32 v131, v11
	v_dual_mov_b32 v132, v44 :: v_dual_mov_b32 v133, v45
	v_dual_mov_b32 v134, v40 :: v_dual_mov_b32 v135, v41
	v_dual_mov_b32 v136, v42 :: v_dual_mov_b32 v137, v43
	v_dual_mov_b32 v138, v6 :: v_dual_mov_b32 v139, v7
	ds_store_2addr_b64 v114, v[110:111], v[118:119] offset0:32 offset1:33
	ds_store_2addr_b64 v114, v[120:121], v[122:123] offset0:34 offset1:35
	ds_store_2addr_b64 v114, v[124:125], v[126:127] offset0:36 offset1:37
	ds_store_2addr_b64 v114, v[128:129], v[130:131] offset0:38 offset1:39
	ds_store_2addr_b64 v114, v[132:133], v[134:135] offset0:40 offset1:41
	ds_store_2addr_b64 v114, v[136:137], v[138:139] offset0:42 offset1:43
	v_dual_mov_b32 v110, v36 :: v_dual_mov_b32 v111, v37
	v_dual_mov_b32 v120, v30 :: v_dual_mov_b32 v121, v31
	;; [unrolled: 1-line block ×7, first 2 shown]
	v_mov_b32_e32 v131, v15
	ds_store_2addr_b64 v114, v[110:111], v[120:121] offset0:44 offset1:45
	ds_store_2addr_b64 v114, v[122:123], v[124:125] offset0:46 offset1:47
	ds_store_2addr_b64 v114, v[126:127], v[128:129] offset0:48 offset1:49
	ds_store_2addr_b64 v114, v[130:131], v[108:109] offset0:50 offset1:51
.LBB102_249:
	s_or_b32 exec_lo, exec_lo, s0
	s_delay_alu instid0(SALU_CYCLE_1)
	s_mov_b32 s0, exec_lo
	s_wait_storecnt_dscnt 0x0
	s_barrier_signal -1
	s_barrier_wait -1
	v_cmpx_lt_i32_e32 11, v118
	s_cbranch_execz .LBB102_251
; %bb.250:
	v_pk_mul_f32 v[120:121], v[112:113], v[38:39] op_sel:[1,1] op_sel_hi:[0,1]
	s_delay_alu instid0(VALU_DEP_1)
	v_pk_fma_f32 v[110:111], v[112:113], v[38:39], v[120:121] op_sel_hi:[1,0,1] neg_lo:[0,0,1] neg_hi:[0,0,1]
	v_pk_fma_f32 v[112:113], v[112:113], v[38:39], v[120:121] op_sel_hi:[1,0,1]
	ds_load_2addr_b64 v[120:123], v114 offset0:12 offset1:13
	v_dual_mov_b32 v38, v110 :: v_dual_mov_b32 v39, v113
	s_wait_dscnt 0x0
	v_pk_mul_f32 v[124:125], v[120:121], v[112:113] op_sel:[0,1]
	s_delay_alu instid0(VALU_DEP_1) | instskip(SKIP_1) | instid1(VALU_DEP_1)
	v_pk_fma_f32 v[126:127], v[120:121], v[110:111], v[124:125] op_sel:[0,0,1] op_sel_hi:[1,1,0] neg_lo:[0,0,1] neg_hi:[0,0,1]
	v_pk_fma_f32 v[120:121], v[120:121], v[110:111], v[124:125] op_sel:[0,0,1] op_sel_hi:[1,0,0]
	v_mov_b32_e32 v127, v121
	v_pk_mul_f32 v[120:121], v[122:123], v[112:113] op_sel:[0,1]
	s_delay_alu instid0(VALU_DEP_1) | instskip(SKIP_1) | instid1(VALU_DEP_1)
	v_pk_fma_f32 v[124:125], v[122:123], v[110:111], v[120:121] op_sel:[0,0,1] op_sel_hi:[1,1,0] neg_lo:[0,0,1] neg_hi:[0,0,1]
	v_pk_fma_f32 v[120:121], v[122:123], v[110:111], v[120:121] op_sel:[0,0,1] op_sel_hi:[1,0,0]
	v_mov_b32_e32 v125, v121
	ds_load_2addr_b64 v[120:123], v114 offset0:14 offset1:15
	v_pk_add_f32 v[92:93], v[92:93], v[126:127] neg_lo:[0,1] neg_hi:[0,1]
	v_pk_add_f32 v[88:89], v[88:89], v[124:125] neg_lo:[0,1] neg_hi:[0,1]
	s_wait_dscnt 0x0
	v_pk_mul_f32 v[124:125], v[120:121], v[112:113] op_sel:[0,1]
	s_delay_alu instid0(VALU_DEP_1) | instskip(SKIP_2) | instid1(VALU_DEP_2)
	v_pk_fma_f32 v[126:127], v[120:121], v[110:111], v[124:125] op_sel:[0,0,1] op_sel_hi:[1,1,0] neg_lo:[0,0,1] neg_hi:[0,0,1]
	v_pk_fma_f32 v[120:121], v[120:121], v[110:111], v[124:125] op_sel:[0,0,1] op_sel_hi:[1,0,0]
	v_dual_mul_f32 v124, v123, v113 :: v_dual_mov_b32 v120, v123
	v_dual_mov_b32 v127, v121 :: v_dual_mov_b32 v121, v122
	s_delay_alu instid0(VALU_DEP_2) | instskip(SKIP_1) | instid1(VALU_DEP_3)
	v_pk_fma_f32 v[124:125], v[122:123], v[38:39], v[124:125] op_sel_hi:[1,1,0] neg_lo:[0,0,1] neg_hi:[0,0,1]
	v_mul_f32_e32 v122, v123, v110
	v_pk_add_f32 v[90:91], v[90:91], v[126:127] neg_lo:[0,1] neg_hi:[0,1]
	s_delay_alu instid0(VALU_DEP_2) | instskip(NEXT) | instid1(VALU_DEP_1)
	v_pk_fma_f32 v[120:121], v[120:121], v[38:39], v[122:123] op_sel_hi:[1,1,0]
	v_mov_b32_e32 v125, v121
	ds_load_2addr_b64 v[120:123], v114 offset0:16 offset1:17
	v_pk_add_f32 v[32:33], v[32:33], v[124:125] neg_lo:[0,1] neg_hi:[0,1]
	s_wait_dscnt 0x0
	v_pk_mul_f32 v[124:125], v[120:121], v[112:113] op_sel:[0,1]
	s_delay_alu instid0(VALU_DEP_1) | instskip(SKIP_1) | instid1(VALU_DEP_1)
	v_pk_fma_f32 v[126:127], v[120:121], v[110:111], v[124:125] op_sel:[0,0,1] op_sel_hi:[1,1,0] neg_lo:[0,0,1] neg_hi:[0,0,1]
	v_pk_fma_f32 v[120:121], v[120:121], v[110:111], v[124:125] op_sel:[0,0,1] op_sel_hi:[1,0,0]
	v_mov_b32_e32 v127, v121
	v_pk_mul_f32 v[120:121], v[122:123], v[112:113] op_sel:[0,1]
	s_delay_alu instid0(VALU_DEP_1) | instskip(SKIP_1) | instid1(VALU_DEP_1)
	v_pk_fma_f32 v[124:125], v[122:123], v[110:111], v[120:121] op_sel:[0,0,1] op_sel_hi:[1,1,0] neg_lo:[0,0,1] neg_hi:[0,0,1]
	v_pk_fma_f32 v[120:121], v[122:123], v[110:111], v[120:121] op_sel:[0,0,1] op_sel_hi:[1,0,0]
	v_mov_b32_e32 v125, v121
	ds_load_2addr_b64 v[120:123], v114 offset0:18 offset1:19
	v_pk_add_f32 v[80:81], v[80:81], v[126:127] neg_lo:[0,1] neg_hi:[0,1]
	v_pk_add_f32 v[76:77], v[76:77], v[124:125] neg_lo:[0,1] neg_hi:[0,1]
	s_wait_dscnt 0x0
	v_pk_mul_f32 v[124:125], v[120:121], v[112:113] op_sel:[0,1]
	s_delay_alu instid0(VALU_DEP_1) | instskip(SKIP_1) | instid1(VALU_DEP_1)
	v_pk_fma_f32 v[126:127], v[120:121], v[110:111], v[124:125] op_sel:[0,0,1] op_sel_hi:[1,1,0] neg_lo:[0,0,1] neg_hi:[0,0,1]
	v_pk_fma_f32 v[120:121], v[120:121], v[110:111], v[124:125] op_sel:[0,0,1] op_sel_hi:[1,0,0]
	v_mov_b32_e32 v127, v121
	v_pk_mul_f32 v[120:121], v[122:123], v[112:113] op_sel:[0,1]
	s_delay_alu instid0(VALU_DEP_1) | instskip(SKIP_1) | instid1(VALU_DEP_1)
	v_pk_fma_f32 v[124:125], v[122:123], v[110:111], v[120:121] op_sel:[0,0,1] op_sel_hi:[1,1,0] neg_lo:[0,0,1] neg_hi:[0,0,1]
	v_pk_fma_f32 v[120:121], v[122:123], v[110:111], v[120:121] op_sel:[0,0,1] op_sel_hi:[1,0,0]
	v_mov_b32_e32 v125, v121
	ds_load_2addr_b64 v[120:123], v114 offset0:20 offset1:21
	v_pk_add_f32 v[78:79], v[78:79], v[126:127] neg_lo:[0,1] neg_hi:[0,1]
	v_pk_add_f32 v[24:25], v[24:25], v[124:125] neg_lo:[0,1] neg_hi:[0,1]
	s_wait_dscnt 0x0
	v_dual_mul_f32 v124, v121, v113 :: v_dual_mul_f32 v126, v121, v110
	s_delay_alu instid0(VALU_DEP_1) | instskip(NEXT) | instid1(VALU_DEP_2)
	v_pk_fma_f32 v[124:125], v[120:121], v[38:39], v[124:125] op_sel_hi:[1,1,0] neg_lo:[0,0,1] neg_hi:[0,0,1]
	v_pk_fma_f32 v[120:121], v[120:121], v[38:39], v[126:127] op_sel:[1,0,0] op_sel_hi:[0,1,0]
	s_delay_alu instid0(VALU_DEP_1) | instskip(SKIP_1) | instid1(VALU_DEP_2)
	v_mov_b32_e32 v125, v121
	v_pk_mul_f32 v[120:121], v[122:123], v[112:113] op_sel:[0,1]
	v_pk_add_f32 v[74:75], v[74:75], v[124:125] neg_lo:[0,1] neg_hi:[0,1]
	s_delay_alu instid0(VALU_DEP_2) | instskip(SKIP_1) | instid1(VALU_DEP_1)
	v_pk_fma_f32 v[124:125], v[122:123], v[110:111], v[120:121] op_sel:[0,0,1] op_sel_hi:[1,1,0] neg_lo:[0,0,1] neg_hi:[0,0,1]
	v_pk_fma_f32 v[120:121], v[122:123], v[110:111], v[120:121] op_sel:[0,0,1] op_sel_hi:[1,0,0]
	v_mov_b32_e32 v125, v121
	ds_load_2addr_b64 v[120:123], v114 offset0:22 offset1:23
	v_pk_add_f32 v[70:71], v[70:71], v[124:125] neg_lo:[0,1] neg_hi:[0,1]
	s_wait_dscnt 0x0
	v_pk_mul_f32 v[124:125], v[120:121], v[112:113] op_sel:[0,1]
	s_delay_alu instid0(VALU_DEP_1) | instskip(SKIP_1) | instid1(VALU_DEP_1)
	v_pk_fma_f32 v[126:127], v[120:121], v[110:111], v[124:125] op_sel:[0,0,1] op_sel_hi:[1,1,0] neg_lo:[0,0,1] neg_hi:[0,0,1]
	v_pk_fma_f32 v[120:121], v[120:121], v[110:111], v[124:125] op_sel:[0,0,1] op_sel_hi:[1,0,0]
	v_mov_b32_e32 v127, v121
	v_pk_mul_f32 v[120:121], v[122:123], v[112:113] op_sel:[0,1]
	s_delay_alu instid0(VALU_DEP_2) | instskip(NEXT) | instid1(VALU_DEP_2)
	v_pk_add_f32 v[72:73], v[72:73], v[126:127] neg_lo:[0,1] neg_hi:[0,1]
	v_pk_fma_f32 v[124:125], v[122:123], v[110:111], v[120:121] op_sel:[0,0,1] op_sel_hi:[1,1,0] neg_lo:[0,0,1] neg_hi:[0,0,1]
	v_pk_fma_f32 v[120:121], v[122:123], v[110:111], v[120:121] op_sel:[0,0,1] op_sel_hi:[1,0,0]
	s_delay_alu instid0(VALU_DEP_1) | instskip(SKIP_4) | instid1(VALU_DEP_1)
	v_mov_b32_e32 v125, v121
	ds_load_2addr_b64 v[120:123], v114 offset0:24 offset1:25
	v_pk_add_f32 v[22:23], v[22:23], v[124:125] neg_lo:[0,1] neg_hi:[0,1]
	s_wait_dscnt 0x0
	v_pk_mul_f32 v[124:125], v[120:121], v[112:113] op_sel:[0,1]
	v_pk_fma_f32 v[126:127], v[120:121], v[110:111], v[124:125] op_sel:[0,0,1] op_sel_hi:[1,1,0] neg_lo:[0,0,1] neg_hi:[0,0,1]
	v_pk_fma_f32 v[120:121], v[120:121], v[110:111], v[124:125] op_sel:[0,0,1] op_sel_hi:[1,0,0]
	v_dual_mul_f32 v124, v123, v113 :: v_dual_mov_b32 v120, v123
	s_delay_alu instid0(VALU_DEP_2) | instskip(NEXT) | instid1(VALU_DEP_2)
	v_dual_mov_b32 v127, v121 :: v_dual_mov_b32 v121, v122
	v_pk_fma_f32 v[124:125], v[122:123], v[38:39], v[124:125] op_sel_hi:[1,1,0] neg_lo:[0,0,1] neg_hi:[0,0,1]
	v_mul_f32_e32 v122, v123, v110
	s_delay_alu instid0(VALU_DEP_3) | instskip(NEXT) | instid1(VALU_DEP_2)
	v_pk_add_f32 v[68:69], v[68:69], v[126:127] neg_lo:[0,1] neg_hi:[0,1]
	v_pk_fma_f32 v[120:121], v[120:121], v[38:39], v[122:123] op_sel_hi:[1,1,0]
	s_delay_alu instid0(VALU_DEP_1) | instskip(SKIP_4) | instid1(VALU_DEP_1)
	v_mov_b32_e32 v125, v121
	ds_load_2addr_b64 v[120:123], v114 offset0:26 offset1:27
	v_pk_add_f32 v[64:65], v[64:65], v[124:125] neg_lo:[0,1] neg_hi:[0,1]
	s_wait_dscnt 0x0
	v_pk_mul_f32 v[124:125], v[120:121], v[112:113] op_sel:[0,1]
	v_pk_fma_f32 v[126:127], v[120:121], v[110:111], v[124:125] op_sel:[0,0,1] op_sel_hi:[1,1,0] neg_lo:[0,0,1] neg_hi:[0,0,1]
	v_pk_fma_f32 v[120:121], v[120:121], v[110:111], v[124:125] op_sel:[0,0,1] op_sel_hi:[1,0,0]
	s_delay_alu instid0(VALU_DEP_1) | instskip(SKIP_1) | instid1(VALU_DEP_1)
	v_mov_b32_e32 v127, v121
	v_pk_mul_f32 v[120:121], v[122:123], v[112:113] op_sel:[0,1]
	v_pk_fma_f32 v[124:125], v[122:123], v[110:111], v[120:121] op_sel:[0,0,1] op_sel_hi:[1,1,0] neg_lo:[0,0,1] neg_hi:[0,0,1]
	v_pk_fma_f32 v[120:121], v[122:123], v[110:111], v[120:121] op_sel:[0,0,1] op_sel_hi:[1,0,0]
	s_delay_alu instid0(VALU_DEP_1)
	v_mov_b32_e32 v125, v121
	ds_load_2addr_b64 v[120:123], v114 offset0:28 offset1:29
	v_pk_add_f32 v[66:67], v[66:67], v[126:127] neg_lo:[0,1] neg_hi:[0,1]
	v_pk_add_f32 v[20:21], v[20:21], v[124:125] neg_lo:[0,1] neg_hi:[0,1]
	s_wait_dscnt 0x0
	v_pk_mul_f32 v[124:125], v[120:121], v[112:113] op_sel:[0,1]
	s_delay_alu instid0(VALU_DEP_1) | instskip(SKIP_1) | instid1(VALU_DEP_1)
	v_pk_fma_f32 v[126:127], v[120:121], v[110:111], v[124:125] op_sel:[0,0,1] op_sel_hi:[1,1,0] neg_lo:[0,0,1] neg_hi:[0,0,1]
	v_pk_fma_f32 v[120:121], v[120:121], v[110:111], v[124:125] op_sel:[0,0,1] op_sel_hi:[1,0,0]
	v_mov_b32_e32 v127, v121
	v_pk_mul_f32 v[120:121], v[122:123], v[112:113] op_sel:[0,1]
	s_delay_alu instid0(VALU_DEP_1) | instskip(SKIP_1) | instid1(VALU_DEP_1)
	v_pk_fma_f32 v[124:125], v[122:123], v[110:111], v[120:121] op_sel:[0,0,1] op_sel_hi:[1,1,0] neg_lo:[0,0,1] neg_hi:[0,0,1]
	v_pk_fma_f32 v[120:121], v[122:123], v[110:111], v[120:121] op_sel:[0,0,1] op_sel_hi:[1,0,0]
	v_mov_b32_e32 v125, v121
	ds_load_2addr_b64 v[120:123], v114 offset0:30 offset1:31
	v_pk_add_f32 v[62:63], v[62:63], v[126:127] neg_lo:[0,1] neg_hi:[0,1]
	v_pk_add_f32 v[58:59], v[58:59], v[124:125] neg_lo:[0,1] neg_hi:[0,1]
	s_wait_dscnt 0x0
	v_dual_mul_f32 v124, v121, v113 :: v_dual_mul_f32 v126, v121, v110
	s_delay_alu instid0(VALU_DEP_1) | instskip(NEXT) | instid1(VALU_DEP_2)
	v_pk_fma_f32 v[124:125], v[120:121], v[38:39], v[124:125] op_sel_hi:[1,1,0] neg_lo:[0,0,1] neg_hi:[0,0,1]
	v_pk_fma_f32 v[120:121], v[120:121], v[38:39], v[126:127] op_sel:[1,0,0] op_sel_hi:[0,1,0]
	s_delay_alu instid0(VALU_DEP_1) | instskip(SKIP_1) | instid1(VALU_DEP_2)
	v_mov_b32_e32 v125, v121
	v_pk_mul_f32 v[120:121], v[122:123], v[112:113] op_sel:[0,1]
	v_pk_add_f32 v[60:61], v[60:61], v[124:125] neg_lo:[0,1] neg_hi:[0,1]
	s_delay_alu instid0(VALU_DEP_2) | instskip(SKIP_1) | instid1(VALU_DEP_1)
	v_pk_fma_f32 v[124:125], v[122:123], v[110:111], v[120:121] op_sel:[0,0,1] op_sel_hi:[1,1,0] neg_lo:[0,0,1] neg_hi:[0,0,1]
	v_pk_fma_f32 v[120:121], v[122:123], v[110:111], v[120:121] op_sel:[0,0,1] op_sel_hi:[1,0,0]
	v_mov_b32_e32 v125, v121
	ds_load_2addr_b64 v[120:123], v114 offset0:32 offset1:33
	v_pk_add_f32 v[18:19], v[18:19], v[124:125] neg_lo:[0,1] neg_hi:[0,1]
	s_wait_dscnt 0x0
	v_pk_mul_f32 v[124:125], v[120:121], v[112:113] op_sel:[0,1]
	s_delay_alu instid0(VALU_DEP_1) | instskip(SKIP_1) | instid1(VALU_DEP_1)
	v_pk_fma_f32 v[126:127], v[120:121], v[110:111], v[124:125] op_sel:[0,0,1] op_sel_hi:[1,1,0] neg_lo:[0,0,1] neg_hi:[0,0,1]
	v_pk_fma_f32 v[120:121], v[120:121], v[110:111], v[124:125] op_sel:[0,0,1] op_sel_hi:[1,0,0]
	v_mov_b32_e32 v127, v121
	v_pk_mul_f32 v[120:121], v[122:123], v[112:113] op_sel:[0,1]
	s_delay_alu instid0(VALU_DEP_2) | instskip(NEXT) | instid1(VALU_DEP_2)
	v_pk_add_f32 v[56:57], v[56:57], v[126:127] neg_lo:[0,1] neg_hi:[0,1]
	v_pk_fma_f32 v[124:125], v[122:123], v[110:111], v[120:121] op_sel:[0,0,1] op_sel_hi:[1,1,0] neg_lo:[0,0,1] neg_hi:[0,0,1]
	v_pk_fma_f32 v[120:121], v[122:123], v[110:111], v[120:121] op_sel:[0,0,1] op_sel_hi:[1,0,0]
	s_delay_alu instid0(VALU_DEP_1) | instskip(SKIP_4) | instid1(VALU_DEP_1)
	v_mov_b32_e32 v125, v121
	ds_load_2addr_b64 v[120:123], v114 offset0:34 offset1:35
	v_pk_add_f32 v[52:53], v[52:53], v[124:125] neg_lo:[0,1] neg_hi:[0,1]
	s_wait_dscnt 0x0
	v_pk_mul_f32 v[124:125], v[120:121], v[112:113] op_sel:[0,1]
	v_pk_fma_f32 v[126:127], v[120:121], v[110:111], v[124:125] op_sel:[0,0,1] op_sel_hi:[1,1,0] neg_lo:[0,0,1] neg_hi:[0,0,1]
	v_pk_fma_f32 v[120:121], v[120:121], v[110:111], v[124:125] op_sel:[0,0,1] op_sel_hi:[1,0,0]
	v_dual_mul_f32 v124, v123, v113 :: v_dual_mov_b32 v120, v123
	s_delay_alu instid0(VALU_DEP_2) | instskip(NEXT) | instid1(VALU_DEP_2)
	v_dual_mov_b32 v127, v121 :: v_dual_mov_b32 v121, v122
	v_pk_fma_f32 v[124:125], v[122:123], v[38:39], v[124:125] op_sel_hi:[1,1,0] neg_lo:[0,0,1] neg_hi:[0,0,1]
	v_mul_f32_e32 v122, v123, v110
	s_delay_alu instid0(VALU_DEP_3) | instskip(NEXT) | instid1(VALU_DEP_2)
	v_pk_add_f32 v[54:55], v[54:55], v[126:127] neg_lo:[0,1] neg_hi:[0,1]
	v_pk_fma_f32 v[120:121], v[120:121], v[38:39], v[122:123] op_sel_hi:[1,1,0]
	s_delay_alu instid0(VALU_DEP_1) | instskip(SKIP_4) | instid1(VALU_DEP_1)
	v_mov_b32_e32 v125, v121
	ds_load_2addr_b64 v[120:123], v114 offset0:36 offset1:37
	v_pk_add_f32 v[12:13], v[12:13], v[124:125] neg_lo:[0,1] neg_hi:[0,1]
	s_wait_dscnt 0x0
	v_pk_mul_f32 v[124:125], v[120:121], v[112:113] op_sel:[0,1]
	v_pk_fma_f32 v[126:127], v[120:121], v[110:111], v[124:125] op_sel:[0,0,1] op_sel_hi:[1,1,0] neg_lo:[0,0,1] neg_hi:[0,0,1]
	v_pk_fma_f32 v[120:121], v[120:121], v[110:111], v[124:125] op_sel:[0,0,1] op_sel_hi:[1,0,0]
	s_delay_alu instid0(VALU_DEP_1) | instskip(SKIP_1) | instid1(VALU_DEP_1)
	v_mov_b32_e32 v127, v121
	v_pk_mul_f32 v[120:121], v[122:123], v[112:113] op_sel:[0,1]
	v_pk_fma_f32 v[124:125], v[122:123], v[110:111], v[120:121] op_sel:[0,0,1] op_sel_hi:[1,1,0] neg_lo:[0,0,1] neg_hi:[0,0,1]
	v_pk_fma_f32 v[120:121], v[122:123], v[110:111], v[120:121] op_sel:[0,0,1] op_sel_hi:[1,0,0]
	s_delay_alu instid0(VALU_DEP_1)
	v_mov_b32_e32 v125, v121
	ds_load_2addr_b64 v[120:123], v114 offset0:38 offset1:39
	v_pk_add_f32 v[50:51], v[50:51], v[126:127] neg_lo:[0,1] neg_hi:[0,1]
	v_pk_add_f32 v[46:47], v[46:47], v[124:125] neg_lo:[0,1] neg_hi:[0,1]
	s_wait_dscnt 0x0
	v_pk_mul_f32 v[124:125], v[120:121], v[112:113] op_sel:[0,1]
	s_delay_alu instid0(VALU_DEP_1) | instskip(SKIP_1) | instid1(VALU_DEP_1)
	v_pk_fma_f32 v[126:127], v[120:121], v[110:111], v[124:125] op_sel:[0,0,1] op_sel_hi:[1,1,0] neg_lo:[0,0,1] neg_hi:[0,0,1]
	v_pk_fma_f32 v[120:121], v[120:121], v[110:111], v[124:125] op_sel:[0,0,1] op_sel_hi:[1,0,0]
	v_mov_b32_e32 v127, v121
	v_pk_mul_f32 v[120:121], v[122:123], v[112:113] op_sel:[0,1]
	s_delay_alu instid0(VALU_DEP_1) | instskip(SKIP_1) | instid1(VALU_DEP_1)
	v_pk_fma_f32 v[124:125], v[122:123], v[110:111], v[120:121] op_sel:[0,0,1] op_sel_hi:[1,1,0] neg_lo:[0,0,1] neg_hi:[0,0,1]
	v_pk_fma_f32 v[120:121], v[122:123], v[110:111], v[120:121] op_sel:[0,0,1] op_sel_hi:[1,0,0]
	v_mov_b32_e32 v125, v121
	ds_load_2addr_b64 v[120:123], v114 offset0:40 offset1:41
	v_pk_add_f32 v[48:49], v[48:49], v[126:127] neg_lo:[0,1] neg_hi:[0,1]
	v_pk_add_f32 v[10:11], v[10:11], v[124:125] neg_lo:[0,1] neg_hi:[0,1]
	s_wait_dscnt 0x0
	v_dual_mul_f32 v124, v121, v113 :: v_dual_mul_f32 v126, v121, v110
	s_delay_alu instid0(VALU_DEP_1) | instskip(NEXT) | instid1(VALU_DEP_2)
	v_pk_fma_f32 v[124:125], v[120:121], v[38:39], v[124:125] op_sel_hi:[1,1,0] neg_lo:[0,0,1] neg_hi:[0,0,1]
	v_pk_fma_f32 v[120:121], v[120:121], v[38:39], v[126:127] op_sel:[1,0,0] op_sel_hi:[0,1,0]
	s_delay_alu instid0(VALU_DEP_1) | instskip(SKIP_1) | instid1(VALU_DEP_2)
	v_mov_b32_e32 v125, v121
	v_pk_mul_f32 v[120:121], v[122:123], v[112:113] op_sel:[0,1]
	v_pk_add_f32 v[44:45], v[44:45], v[124:125] neg_lo:[0,1] neg_hi:[0,1]
	s_delay_alu instid0(VALU_DEP_2) | instskip(SKIP_1) | instid1(VALU_DEP_1)
	v_pk_fma_f32 v[124:125], v[122:123], v[110:111], v[120:121] op_sel:[0,0,1] op_sel_hi:[1,1,0] neg_lo:[0,0,1] neg_hi:[0,0,1]
	v_pk_fma_f32 v[120:121], v[122:123], v[110:111], v[120:121] op_sel:[0,0,1] op_sel_hi:[1,0,0]
	v_mov_b32_e32 v125, v121
	ds_load_2addr_b64 v[120:123], v114 offset0:42 offset1:43
	v_pk_add_f32 v[40:41], v[40:41], v[124:125] neg_lo:[0,1] neg_hi:[0,1]
	s_wait_dscnt 0x0
	v_pk_mul_f32 v[124:125], v[120:121], v[112:113] op_sel:[0,1]
	s_delay_alu instid0(VALU_DEP_1) | instskip(SKIP_1) | instid1(VALU_DEP_1)
	v_pk_fma_f32 v[126:127], v[120:121], v[110:111], v[124:125] op_sel:[0,0,1] op_sel_hi:[1,1,0] neg_lo:[0,0,1] neg_hi:[0,0,1]
	v_pk_fma_f32 v[120:121], v[120:121], v[110:111], v[124:125] op_sel:[0,0,1] op_sel_hi:[1,0,0]
	v_mov_b32_e32 v127, v121
	v_pk_mul_f32 v[120:121], v[122:123], v[112:113] op_sel:[0,1]
	s_delay_alu instid0(VALU_DEP_2) | instskip(NEXT) | instid1(VALU_DEP_2)
	v_pk_add_f32 v[42:43], v[42:43], v[126:127] neg_lo:[0,1] neg_hi:[0,1]
	v_pk_fma_f32 v[124:125], v[122:123], v[110:111], v[120:121] op_sel:[0,0,1] op_sel_hi:[1,1,0] neg_lo:[0,0,1] neg_hi:[0,0,1]
	v_pk_fma_f32 v[120:121], v[122:123], v[110:111], v[120:121] op_sel:[0,0,1] op_sel_hi:[1,0,0]
	s_delay_alu instid0(VALU_DEP_1) | instskip(SKIP_4) | instid1(VALU_DEP_1)
	v_mov_b32_e32 v125, v121
	ds_load_2addr_b64 v[120:123], v114 offset0:44 offset1:45
	v_pk_add_f32 v[6:7], v[6:7], v[124:125] neg_lo:[0,1] neg_hi:[0,1]
	s_wait_dscnt 0x0
	v_pk_mul_f32 v[124:125], v[120:121], v[112:113] op_sel:[0,1]
	v_pk_fma_f32 v[126:127], v[120:121], v[110:111], v[124:125] op_sel:[0,0,1] op_sel_hi:[1,1,0] neg_lo:[0,0,1] neg_hi:[0,0,1]
	v_pk_fma_f32 v[120:121], v[120:121], v[110:111], v[124:125] op_sel:[0,0,1] op_sel_hi:[1,0,0]
	v_dual_mul_f32 v124, v123, v113 :: v_dual_mov_b32 v120, v123
	s_delay_alu instid0(VALU_DEP_2) | instskip(NEXT) | instid1(VALU_DEP_2)
	v_dual_mov_b32 v127, v121 :: v_dual_mov_b32 v121, v122
	v_pk_fma_f32 v[124:125], v[122:123], v[38:39], v[124:125] op_sel_hi:[1,1,0] neg_lo:[0,0,1] neg_hi:[0,0,1]
	v_mul_f32_e32 v122, v123, v110
	s_delay_alu instid0(VALU_DEP_3) | instskip(NEXT) | instid1(VALU_DEP_2)
	v_pk_add_f32 v[36:37], v[36:37], v[126:127] neg_lo:[0,1] neg_hi:[0,1]
	v_pk_fma_f32 v[120:121], v[120:121], v[38:39], v[122:123] op_sel_hi:[1,1,0]
	s_delay_alu instid0(VALU_DEP_1) | instskip(SKIP_4) | instid1(VALU_DEP_1)
	v_mov_b32_e32 v125, v121
	ds_load_2addr_b64 v[120:123], v114 offset0:46 offset1:47
	v_pk_add_f32 v[30:31], v[30:31], v[124:125] neg_lo:[0,1] neg_hi:[0,1]
	s_wait_dscnt 0x0
	v_pk_mul_f32 v[124:125], v[120:121], v[112:113] op_sel:[0,1]
	v_pk_fma_f32 v[126:127], v[120:121], v[110:111], v[124:125] op_sel:[0,0,1] op_sel_hi:[1,1,0] neg_lo:[0,0,1] neg_hi:[0,0,1]
	v_pk_fma_f32 v[120:121], v[120:121], v[110:111], v[124:125] op_sel:[0,0,1] op_sel_hi:[1,0,0]
	s_delay_alu instid0(VALU_DEP_1) | instskip(SKIP_1) | instid1(VALU_DEP_1)
	v_mov_b32_e32 v127, v121
	v_pk_mul_f32 v[120:121], v[122:123], v[112:113] op_sel:[0,1]
	v_pk_fma_f32 v[124:125], v[122:123], v[110:111], v[120:121] op_sel:[0,0,1] op_sel_hi:[1,1,0] neg_lo:[0,0,1] neg_hi:[0,0,1]
	v_pk_fma_f32 v[120:121], v[122:123], v[110:111], v[120:121] op_sel:[0,0,1] op_sel_hi:[1,0,0]
	s_delay_alu instid0(VALU_DEP_1)
	v_mov_b32_e32 v125, v121
	ds_load_2addr_b64 v[120:123], v114 offset0:48 offset1:49
	v_pk_add_f32 v[34:35], v[34:35], v[126:127] neg_lo:[0,1] neg_hi:[0,1]
	v_pk_add_f32 v[8:9], v[8:9], v[124:125] neg_lo:[0,1] neg_hi:[0,1]
	s_wait_dscnt 0x0
	v_pk_mul_f32 v[124:125], v[120:121], v[112:113] op_sel:[0,1]
	s_delay_alu instid0(VALU_DEP_1) | instskip(SKIP_1) | instid1(VALU_DEP_1)
	v_pk_fma_f32 v[126:127], v[120:121], v[110:111], v[124:125] op_sel:[0,0,1] op_sel_hi:[1,1,0] neg_lo:[0,0,1] neg_hi:[0,0,1]
	v_pk_fma_f32 v[120:121], v[120:121], v[110:111], v[124:125] op_sel:[0,0,1] op_sel_hi:[1,0,0]
	v_mov_b32_e32 v127, v121
	v_pk_mul_f32 v[120:121], v[122:123], v[112:113] op_sel:[0,1]
	s_delay_alu instid0(VALU_DEP_1) | instskip(SKIP_1) | instid1(VALU_DEP_1)
	v_pk_fma_f32 v[124:125], v[122:123], v[110:111], v[120:121] op_sel:[0,0,1] op_sel_hi:[1,1,0] neg_lo:[0,0,1] neg_hi:[0,0,1]
	v_pk_fma_f32 v[120:121], v[122:123], v[110:111], v[120:121] op_sel:[0,0,1] op_sel_hi:[1,0,0]
	v_mov_b32_e32 v125, v121
	ds_load_2addr_b64 v[120:123], v114 offset0:50 offset1:51
	v_pk_add_f32 v[28:29], v[28:29], v[126:127] neg_lo:[0,1] neg_hi:[0,1]
	v_pk_add_f32 v[16:17], v[16:17], v[124:125] neg_lo:[0,1] neg_hi:[0,1]
	s_wait_dscnt 0x0
	v_dual_mul_f32 v124, v121, v113 :: v_dual_mul_f32 v126, v121, v110
	v_pk_mul_f32 v[112:113], v[122:123], v[112:113] op_sel:[0,1]
	s_delay_alu instid0(VALU_DEP_2) | instskip(NEXT) | instid1(VALU_DEP_3)
	v_pk_fma_f32 v[124:125], v[120:121], v[38:39], v[124:125] op_sel_hi:[1,1,0] neg_lo:[0,0,1] neg_hi:[0,0,1]
	v_pk_fma_f32 v[120:121], v[120:121], v[38:39], v[126:127] op_sel:[1,0,0] op_sel_hi:[0,1,0]
	s_delay_alu instid0(VALU_DEP_1) | instskip(NEXT) | instid1(VALU_DEP_4)
	v_mov_b32_e32 v125, v121
	v_pk_fma_f32 v[120:121], v[122:123], v[110:111], v[112:113] op_sel:[0,0,1] op_sel_hi:[1,1,0] neg_lo:[0,0,1] neg_hi:[0,0,1]
	v_pk_fma_f32 v[110:111], v[122:123], v[110:111], v[112:113] op_sel:[0,0,1] op_sel_hi:[1,0,0]
	s_delay_alu instid0(VALU_DEP_1) | instskip(NEXT) | instid1(VALU_DEP_4)
	v_mov_b32_e32 v121, v111
	v_pk_add_f32 v[14:15], v[14:15], v[124:125] neg_lo:[0,1] neg_hi:[0,1]
	s_delay_alu instid0(VALU_DEP_2)
	v_pk_add_f32 v[108:109], v[108:109], v[120:121] neg_lo:[0,1] neg_hi:[0,1]
.LBB102_251:
	s_or_b32 exec_lo, exec_lo, s0
	v_lshl_add_u32 v110, v118, 3, v114
	s_barrier_signal -1
	s_barrier_wait -1
	ds_store_b64 v110, v[92:93]
	s_wait_dscnt 0x0
	s_barrier_signal -1
	s_barrier_wait -1
	ds_load_b64 v[112:113], v114 offset:96
	v_mov_b32_e32 v110, 12
	s_cmp_lt_i32 s18, 14
	s_cbranch_scc1 .LBB102_254
; %bb.252:
	v_add3_u32 v111, v115, 0, 0x68
	v_mov_b32_e32 v110, 12
	s_mov_b32 s0, 13
.LBB102_253:                            ; =>This Inner Loop Header: Depth=1
	ds_load_b64 v[120:121], v111
	s_wait_dscnt 0x1
	v_cmp_gt_f32_e32 vcc_lo, 0, v112
	v_cndmask_b32_e64 v122, v112, -v112, vcc_lo
	v_cmp_gt_f32_e32 vcc_lo, 0, v113
	v_cndmask_b32_e64 v124, v113, -v113, vcc_lo
	s_wait_dscnt 0x0
	v_cmp_gt_f32_e32 vcc_lo, 0, v120
	v_cndmask_b32_e64 v123, v120, -v120, vcc_lo
	v_cmp_gt_f32_e32 vcc_lo, 0, v121
	v_cndmask_b32_e64 v125, v121, -v121, vcc_lo
	s_delay_alu instid0(VALU_DEP_1) | instskip(NEXT) | instid1(VALU_DEP_1)
	v_pk_add_f32 v[122:123], v[122:123], v[124:125]
	v_cmp_lt_f32_e32 vcc_lo, v122, v123
	v_dual_add_nc_u32 v111, 8, v111 :: v_dual_cndmask_b32 v113, v113, v121, vcc_lo
	v_cndmask_b32_e32 v112, v112, v120, vcc_lo
	v_cndmask_b32_e64 v110, v110, s0, vcc_lo
	s_add_co_i32 s0, s0, 1
	s_delay_alu instid0(SALU_CYCLE_1)
	s_cmp_lg_u32 s18, s0
	s_cbranch_scc1 .LBB102_253
.LBB102_254:
	s_wait_dscnt 0x0
	v_cmp_eq_f32_e32 vcc_lo, 0, v112
	v_cmp_eq_f32_e64 s0, 0, v113
	s_and_b32 s0, vcc_lo, s0
	s_delay_alu instid0(SALU_CYCLE_1) | instskip(NEXT) | instid1(SALU_CYCLE_1)
	s_and_saveexec_b32 s1, s0
	s_xor_b32 s0, exec_lo, s1
; %bb.255:
	v_cmp_ne_u32_e32 vcc_lo, 0, v116
	v_cndmask_b32_e32 v116, 13, v116, vcc_lo
; %bb.256:
	s_and_not1_saveexec_b32 s0, s0
	s_cbranch_execz .LBB102_262
; %bb.257:
	v_cmp_ngt_f32_e64 s1, |v112|, |v113|
	s_and_saveexec_b32 s12, s1
	s_delay_alu instid0(SALU_CYCLE_1)
	s_xor_b32 s1, exec_lo, s12
	s_cbranch_execz .LBB102_259
; %bb.258:
	v_div_scale_f32 v111, null, v113, v113, v112
	v_div_scale_f32 v121, vcc_lo, v112, v113, v112
	s_delay_alu instid0(VALU_DEP_2) | instskip(SKIP_1) | instid1(TRANS32_DEP_1)
	v_rcp_f32_e32 v119, v111
	v_nop
	v_fma_f32 v120, -v111, v119, 1.0
	s_delay_alu instid0(VALU_DEP_1) | instskip(NEXT) | instid1(VALU_DEP_1)
	v_fmac_f32_e32 v119, v120, v119
	v_mul_f32_e32 v120, v121, v119
	s_delay_alu instid0(VALU_DEP_1) | instskip(NEXT) | instid1(VALU_DEP_1)
	v_fma_f32 v122, -v111, v120, v121
	v_fmac_f32_e32 v120, v122, v119
	s_delay_alu instid0(VALU_DEP_1) | instskip(NEXT) | instid1(VALU_DEP_1)
	v_fma_f32 v111, -v111, v120, v121
	v_div_fmas_f32 v111, v111, v119, v120
	s_delay_alu instid0(VALU_DEP_1) | instskip(NEXT) | instid1(VALU_DEP_1)
	v_div_fixup_f32 v111, v111, v113, v112
	v_fmac_f32_e32 v113, v112, v111
	s_delay_alu instid0(VALU_DEP_1) | instskip(SKIP_1) | instid1(VALU_DEP_2)
	v_div_scale_f32 v112, null, v113, v113, 1.0
	v_div_scale_f32 v121, vcc_lo, 1.0, v113, 1.0
	v_rcp_f32_e32 v119, v112
	v_nop
	s_delay_alu instid0(TRANS32_DEP_1) | instskip(NEXT) | instid1(VALU_DEP_1)
	v_fma_f32 v120, -v112, v119, 1.0
	v_fmac_f32_e32 v119, v120, v119
	s_delay_alu instid0(VALU_DEP_1) | instskip(NEXT) | instid1(VALU_DEP_1)
	v_mul_f32_e32 v120, v121, v119
	v_fma_f32 v122, -v112, v120, v121
	s_delay_alu instid0(VALU_DEP_1) | instskip(NEXT) | instid1(VALU_DEP_1)
	v_fmac_f32_e32 v120, v122, v119
	v_fma_f32 v112, -v112, v120, v121
	s_delay_alu instid0(VALU_DEP_1) | instskip(NEXT) | instid1(VALU_DEP_1)
	v_div_fmas_f32 v112, v112, v119, v120
	v_div_fixup_f32 v113, v112, v113, 1.0
	s_delay_alu instid0(VALU_DEP_1)
	v_mul_f32_e32 v112, v111, v113
	v_xor_b32_e32 v113, 0x80000000, v113
.LBB102_259:
	s_and_not1_saveexec_b32 s1, s1
	s_cbranch_execz .LBB102_261
; %bb.260:
	s_delay_alu instid0(VALU_DEP_1) | instskip(SKIP_1) | instid1(VALU_DEP_2)
	v_div_scale_f32 v111, null, v112, v112, v113
	v_div_scale_f32 v121, vcc_lo, v113, v112, v113
	v_rcp_f32_e32 v119, v111
	v_nop
	s_delay_alu instid0(TRANS32_DEP_1) | instskip(NEXT) | instid1(VALU_DEP_1)
	v_fma_f32 v120, -v111, v119, 1.0
	v_fmac_f32_e32 v119, v120, v119
	s_delay_alu instid0(VALU_DEP_1) | instskip(NEXT) | instid1(VALU_DEP_1)
	v_mul_f32_e32 v120, v121, v119
	v_fma_f32 v122, -v111, v120, v121
	s_delay_alu instid0(VALU_DEP_1) | instskip(NEXT) | instid1(VALU_DEP_1)
	v_fmac_f32_e32 v120, v122, v119
	v_fma_f32 v111, -v111, v120, v121
	s_delay_alu instid0(VALU_DEP_1) | instskip(NEXT) | instid1(VALU_DEP_1)
	v_div_fmas_f32 v111, v111, v119, v120
	v_div_fixup_f32 v111, v111, v112, v113
	s_delay_alu instid0(VALU_DEP_1) | instskip(NEXT) | instid1(VALU_DEP_1)
	v_fmac_f32_e32 v112, v113, v111
	v_div_scale_f32 v113, null, v112, v112, 1.0
	s_delay_alu instid0(VALU_DEP_1) | instskip(SKIP_1) | instid1(TRANS32_DEP_1)
	v_rcp_f32_e32 v119, v113
	v_nop
	v_fma_f32 v120, -v113, v119, 1.0
	s_delay_alu instid0(VALU_DEP_1) | instskip(SKIP_1) | instid1(VALU_DEP_1)
	v_fmac_f32_e32 v119, v120, v119
	v_div_scale_f32 v120, vcc_lo, 1.0, v112, 1.0
	v_mul_f32_e32 v121, v120, v119
	s_delay_alu instid0(VALU_DEP_1) | instskip(NEXT) | instid1(VALU_DEP_1)
	v_fma_f32 v122, -v113, v121, v120
	v_fmac_f32_e32 v121, v122, v119
	s_delay_alu instid0(VALU_DEP_1) | instskip(NEXT) | instid1(VALU_DEP_1)
	v_fma_f32 v113, -v113, v121, v120
	v_div_fmas_f32 v113, v113, v119, v121
	s_delay_alu instid0(VALU_DEP_1) | instskip(NEXT) | instid1(VALU_DEP_1)
	v_div_fixup_f32 v112, v113, v112, 1.0
	v_mul_f32_e64 v113, v111, -v112
.LBB102_261:
	s_or_b32 exec_lo, exec_lo, s1
.LBB102_262:
	s_delay_alu instid0(SALU_CYCLE_1) | instskip(NEXT) | instid1(SALU_CYCLE_1)
	s_or_b32 exec_lo, exec_lo, s0
	s_mov_b32 s0, exec_lo
	v_cmpx_ne_u32_e64 v118, v110
	s_xor_b32 s0, exec_lo, s0
	s_cbranch_execz .LBB102_268
; %bb.263:
	s_mov_b32 s1, exec_lo
	v_cmpx_eq_u32_e32 12, v118
	s_cbranch_execz .LBB102_267
; %bb.264:
	v_cmp_ne_u32_e32 vcc_lo, 12, v110
	s_xor_b32 s12, s16, -1
	s_delay_alu instid0(SALU_CYCLE_1) | instskip(NEXT) | instid1(SALU_CYCLE_1)
	s_and_b32 s13, s12, vcc_lo
	s_and_saveexec_b32 s12, s13
	s_cbranch_execz .LBB102_266
; %bb.265:
	v_ashrrev_i32_e32 v111, 31, v110
	s_delay_alu instid0(VALU_DEP_1)
	v_lshl_add_u64 v[118:119], v[110:111], 2, v[4:5]
	s_clause 0x1
	global_load_b32 v111, v[118:119], off
	global_load_b32 v117, v[4:5], off offset:48
	s_wait_loadcnt 0x1
	global_store_b32 v[4:5], v111, off offset:48
	s_wait_loadcnt 0x0
	global_store_b32 v[118:119], v117, off
.LBB102_266:
	s_wait_xcnt 0x0
	s_or_b32 exec_lo, exec_lo, s12
	v_dual_mov_b32 v118, v110 :: v_dual_mov_b32 v117, v110
.LBB102_267:
	s_or_b32 exec_lo, exec_lo, s1
.LBB102_268:
	s_and_not1_saveexec_b32 s0, s0
	s_cbranch_execz .LBB102_270
; %bb.269:
	v_mov_b32_e32 v118, 12
	ds_store_2addr_b64 v114, v[88:89], v[90:91] offset0:13 offset1:14
	ds_store_2addr_b64 v114, v[32:33], v[80:81] offset0:15 offset1:16
	;; [unrolled: 1-line block ×19, first 2 shown]
	ds_store_b64 v114, v[108:109] offset:408
.LBB102_270:
	s_or_b32 exec_lo, exec_lo, s0
	s_delay_alu instid0(SALU_CYCLE_1)
	s_mov_b32 s0, exec_lo
	s_wait_storecnt_dscnt 0x0
	s_barrier_signal -1
	s_barrier_wait -1
	v_cmpx_lt_i32_e32 12, v118
	s_cbranch_execz .LBB102_272
; %bb.271:
	v_pk_mul_f32 v[120:121], v[112:113], v[92:93] op_sel:[1,1] op_sel_hi:[0,1]
	s_delay_alu instid0(VALU_DEP_1)
	v_pk_fma_f32 v[110:111], v[112:113], v[92:93], v[120:121] op_sel_hi:[1,0,1] neg_lo:[0,0,1] neg_hi:[0,0,1]
	v_pk_fma_f32 v[112:113], v[112:113], v[92:93], v[120:121] op_sel_hi:[1,0,1]
	ds_load_2addr_b64 v[120:123], v114 offset0:13 offset1:14
	v_dual_mov_b32 v92, v110 :: v_dual_mov_b32 v93, v113
	s_wait_dscnt 0x0
	v_pk_mul_f32 v[124:125], v[120:121], v[112:113] op_sel:[0,1]
	s_delay_alu instid0(VALU_DEP_1) | instskip(SKIP_1) | instid1(VALU_DEP_1)
	v_pk_fma_f32 v[126:127], v[120:121], v[110:111], v[124:125] op_sel:[0,0,1] op_sel_hi:[1,1,0] neg_lo:[0,0,1] neg_hi:[0,0,1]
	v_pk_fma_f32 v[120:121], v[120:121], v[110:111], v[124:125] op_sel:[0,0,1] op_sel_hi:[1,0,0]
	v_mov_b32_e32 v127, v121
	v_pk_mul_f32 v[120:121], v[122:123], v[112:113] op_sel:[0,1]
	s_delay_alu instid0(VALU_DEP_1) | instskip(SKIP_1) | instid1(VALU_DEP_1)
	v_pk_fma_f32 v[124:125], v[122:123], v[110:111], v[120:121] op_sel:[0,0,1] op_sel_hi:[1,1,0] neg_lo:[0,0,1] neg_hi:[0,0,1]
	v_pk_fma_f32 v[120:121], v[122:123], v[110:111], v[120:121] op_sel:[0,0,1] op_sel_hi:[1,0,0]
	v_mov_b32_e32 v125, v121
	ds_load_2addr_b64 v[120:123], v114 offset0:15 offset1:16
	v_pk_add_f32 v[88:89], v[88:89], v[126:127] neg_lo:[0,1] neg_hi:[0,1]
	v_pk_add_f32 v[90:91], v[90:91], v[124:125] neg_lo:[0,1] neg_hi:[0,1]
	s_wait_dscnt 0x0
	v_pk_mul_f32 v[124:125], v[120:121], v[112:113] op_sel:[0,1]
	s_delay_alu instid0(VALU_DEP_1) | instskip(SKIP_2) | instid1(VALU_DEP_2)
	v_pk_fma_f32 v[126:127], v[120:121], v[110:111], v[124:125] op_sel:[0,0,1] op_sel_hi:[1,1,0] neg_lo:[0,0,1] neg_hi:[0,0,1]
	v_pk_fma_f32 v[120:121], v[120:121], v[110:111], v[124:125] op_sel:[0,0,1] op_sel_hi:[1,0,0]
	v_dual_mul_f32 v124, v123, v113 :: v_dual_mov_b32 v120, v123
	v_dual_mov_b32 v127, v121 :: v_dual_mov_b32 v121, v122
	s_delay_alu instid0(VALU_DEP_2) | instskip(SKIP_1) | instid1(VALU_DEP_3)
	v_pk_fma_f32 v[124:125], v[122:123], v[92:93], v[124:125] op_sel_hi:[1,1,0] neg_lo:[0,0,1] neg_hi:[0,0,1]
	v_mul_f32_e32 v122, v123, v110
	v_pk_add_f32 v[32:33], v[32:33], v[126:127] neg_lo:[0,1] neg_hi:[0,1]
	s_delay_alu instid0(VALU_DEP_2) | instskip(NEXT) | instid1(VALU_DEP_1)
	v_pk_fma_f32 v[120:121], v[120:121], v[92:93], v[122:123] op_sel_hi:[1,1,0]
	v_mov_b32_e32 v125, v121
	ds_load_2addr_b64 v[120:123], v114 offset0:17 offset1:18
	v_pk_add_f32 v[80:81], v[80:81], v[124:125] neg_lo:[0,1] neg_hi:[0,1]
	s_wait_dscnt 0x0
	v_pk_mul_f32 v[124:125], v[120:121], v[112:113] op_sel:[0,1]
	s_delay_alu instid0(VALU_DEP_1) | instskip(SKIP_1) | instid1(VALU_DEP_1)
	v_pk_fma_f32 v[126:127], v[120:121], v[110:111], v[124:125] op_sel:[0,0,1] op_sel_hi:[1,1,0] neg_lo:[0,0,1] neg_hi:[0,0,1]
	v_pk_fma_f32 v[120:121], v[120:121], v[110:111], v[124:125] op_sel:[0,0,1] op_sel_hi:[1,0,0]
	v_mov_b32_e32 v127, v121
	v_pk_mul_f32 v[120:121], v[122:123], v[112:113] op_sel:[0,1]
	s_delay_alu instid0(VALU_DEP_1) | instskip(SKIP_1) | instid1(VALU_DEP_1)
	v_pk_fma_f32 v[124:125], v[122:123], v[110:111], v[120:121] op_sel:[0,0,1] op_sel_hi:[1,1,0] neg_lo:[0,0,1] neg_hi:[0,0,1]
	v_pk_fma_f32 v[120:121], v[122:123], v[110:111], v[120:121] op_sel:[0,0,1] op_sel_hi:[1,0,0]
	v_mov_b32_e32 v125, v121
	ds_load_2addr_b64 v[120:123], v114 offset0:19 offset1:20
	v_pk_add_f32 v[76:77], v[76:77], v[126:127] neg_lo:[0,1] neg_hi:[0,1]
	v_pk_add_f32 v[78:79], v[78:79], v[124:125] neg_lo:[0,1] neg_hi:[0,1]
	s_wait_dscnt 0x0
	v_pk_mul_f32 v[124:125], v[120:121], v[112:113] op_sel:[0,1]
	s_delay_alu instid0(VALU_DEP_1) | instskip(SKIP_1) | instid1(VALU_DEP_1)
	v_pk_fma_f32 v[126:127], v[120:121], v[110:111], v[124:125] op_sel:[0,0,1] op_sel_hi:[1,1,0] neg_lo:[0,0,1] neg_hi:[0,0,1]
	v_pk_fma_f32 v[120:121], v[120:121], v[110:111], v[124:125] op_sel:[0,0,1] op_sel_hi:[1,0,0]
	v_mov_b32_e32 v127, v121
	v_pk_mul_f32 v[120:121], v[122:123], v[112:113] op_sel:[0,1]
	s_delay_alu instid0(VALU_DEP_1) | instskip(SKIP_1) | instid1(VALU_DEP_1)
	v_pk_fma_f32 v[124:125], v[122:123], v[110:111], v[120:121] op_sel:[0,0,1] op_sel_hi:[1,1,0] neg_lo:[0,0,1] neg_hi:[0,0,1]
	v_pk_fma_f32 v[120:121], v[122:123], v[110:111], v[120:121] op_sel:[0,0,1] op_sel_hi:[1,0,0]
	v_mov_b32_e32 v125, v121
	ds_load_2addr_b64 v[120:123], v114 offset0:21 offset1:22
	v_pk_add_f32 v[24:25], v[24:25], v[126:127] neg_lo:[0,1] neg_hi:[0,1]
	v_pk_add_f32 v[74:75], v[74:75], v[124:125] neg_lo:[0,1] neg_hi:[0,1]
	s_wait_dscnt 0x0
	v_dual_mul_f32 v124, v121, v113 :: v_dual_mul_f32 v126, v121, v110
	s_delay_alu instid0(VALU_DEP_1) | instskip(NEXT) | instid1(VALU_DEP_2)
	v_pk_fma_f32 v[124:125], v[120:121], v[92:93], v[124:125] op_sel_hi:[1,1,0] neg_lo:[0,0,1] neg_hi:[0,0,1]
	v_pk_fma_f32 v[120:121], v[120:121], v[92:93], v[126:127] op_sel:[1,0,0] op_sel_hi:[0,1,0]
	s_delay_alu instid0(VALU_DEP_1) | instskip(SKIP_1) | instid1(VALU_DEP_2)
	v_mov_b32_e32 v125, v121
	v_pk_mul_f32 v[120:121], v[122:123], v[112:113] op_sel:[0,1]
	v_pk_add_f32 v[70:71], v[70:71], v[124:125] neg_lo:[0,1] neg_hi:[0,1]
	s_delay_alu instid0(VALU_DEP_2) | instskip(SKIP_1) | instid1(VALU_DEP_1)
	v_pk_fma_f32 v[124:125], v[122:123], v[110:111], v[120:121] op_sel:[0,0,1] op_sel_hi:[1,1,0] neg_lo:[0,0,1] neg_hi:[0,0,1]
	v_pk_fma_f32 v[120:121], v[122:123], v[110:111], v[120:121] op_sel:[0,0,1] op_sel_hi:[1,0,0]
	v_mov_b32_e32 v125, v121
	ds_load_2addr_b64 v[120:123], v114 offset0:23 offset1:24
	v_pk_add_f32 v[72:73], v[72:73], v[124:125] neg_lo:[0,1] neg_hi:[0,1]
	s_wait_dscnt 0x0
	v_pk_mul_f32 v[124:125], v[120:121], v[112:113] op_sel:[0,1]
	s_delay_alu instid0(VALU_DEP_1) | instskip(SKIP_1) | instid1(VALU_DEP_1)
	v_pk_fma_f32 v[126:127], v[120:121], v[110:111], v[124:125] op_sel:[0,0,1] op_sel_hi:[1,1,0] neg_lo:[0,0,1] neg_hi:[0,0,1]
	v_pk_fma_f32 v[120:121], v[120:121], v[110:111], v[124:125] op_sel:[0,0,1] op_sel_hi:[1,0,0]
	v_mov_b32_e32 v127, v121
	v_pk_mul_f32 v[120:121], v[122:123], v[112:113] op_sel:[0,1]
	s_delay_alu instid0(VALU_DEP_2) | instskip(NEXT) | instid1(VALU_DEP_2)
	v_pk_add_f32 v[22:23], v[22:23], v[126:127] neg_lo:[0,1] neg_hi:[0,1]
	v_pk_fma_f32 v[124:125], v[122:123], v[110:111], v[120:121] op_sel:[0,0,1] op_sel_hi:[1,1,0] neg_lo:[0,0,1] neg_hi:[0,0,1]
	v_pk_fma_f32 v[120:121], v[122:123], v[110:111], v[120:121] op_sel:[0,0,1] op_sel_hi:[1,0,0]
	s_delay_alu instid0(VALU_DEP_1) | instskip(SKIP_4) | instid1(VALU_DEP_1)
	v_mov_b32_e32 v125, v121
	ds_load_2addr_b64 v[120:123], v114 offset0:25 offset1:26
	v_pk_add_f32 v[68:69], v[68:69], v[124:125] neg_lo:[0,1] neg_hi:[0,1]
	s_wait_dscnt 0x0
	v_pk_mul_f32 v[124:125], v[120:121], v[112:113] op_sel:[0,1]
	v_pk_fma_f32 v[126:127], v[120:121], v[110:111], v[124:125] op_sel:[0,0,1] op_sel_hi:[1,1,0] neg_lo:[0,0,1] neg_hi:[0,0,1]
	v_pk_fma_f32 v[120:121], v[120:121], v[110:111], v[124:125] op_sel:[0,0,1] op_sel_hi:[1,0,0]
	v_dual_mul_f32 v124, v123, v113 :: v_dual_mov_b32 v120, v123
	s_delay_alu instid0(VALU_DEP_2) | instskip(NEXT) | instid1(VALU_DEP_2)
	v_dual_mov_b32 v127, v121 :: v_dual_mov_b32 v121, v122
	v_pk_fma_f32 v[124:125], v[122:123], v[92:93], v[124:125] op_sel_hi:[1,1,0] neg_lo:[0,0,1] neg_hi:[0,0,1]
	v_mul_f32_e32 v122, v123, v110
	s_delay_alu instid0(VALU_DEP_3) | instskip(NEXT) | instid1(VALU_DEP_2)
	v_pk_add_f32 v[64:65], v[64:65], v[126:127] neg_lo:[0,1] neg_hi:[0,1]
	v_pk_fma_f32 v[120:121], v[120:121], v[92:93], v[122:123] op_sel_hi:[1,1,0]
	s_delay_alu instid0(VALU_DEP_1) | instskip(SKIP_4) | instid1(VALU_DEP_1)
	v_mov_b32_e32 v125, v121
	ds_load_2addr_b64 v[120:123], v114 offset0:27 offset1:28
	v_pk_add_f32 v[66:67], v[66:67], v[124:125] neg_lo:[0,1] neg_hi:[0,1]
	s_wait_dscnt 0x0
	v_pk_mul_f32 v[124:125], v[120:121], v[112:113] op_sel:[0,1]
	v_pk_fma_f32 v[126:127], v[120:121], v[110:111], v[124:125] op_sel:[0,0,1] op_sel_hi:[1,1,0] neg_lo:[0,0,1] neg_hi:[0,0,1]
	v_pk_fma_f32 v[120:121], v[120:121], v[110:111], v[124:125] op_sel:[0,0,1] op_sel_hi:[1,0,0]
	s_delay_alu instid0(VALU_DEP_1) | instskip(SKIP_1) | instid1(VALU_DEP_1)
	v_mov_b32_e32 v127, v121
	v_pk_mul_f32 v[120:121], v[122:123], v[112:113] op_sel:[0,1]
	v_pk_fma_f32 v[124:125], v[122:123], v[110:111], v[120:121] op_sel:[0,0,1] op_sel_hi:[1,1,0] neg_lo:[0,0,1] neg_hi:[0,0,1]
	v_pk_fma_f32 v[120:121], v[122:123], v[110:111], v[120:121] op_sel:[0,0,1] op_sel_hi:[1,0,0]
	s_delay_alu instid0(VALU_DEP_1)
	v_mov_b32_e32 v125, v121
	ds_load_2addr_b64 v[120:123], v114 offset0:29 offset1:30
	v_pk_add_f32 v[20:21], v[20:21], v[126:127] neg_lo:[0,1] neg_hi:[0,1]
	v_pk_add_f32 v[62:63], v[62:63], v[124:125] neg_lo:[0,1] neg_hi:[0,1]
	s_wait_dscnt 0x0
	v_pk_mul_f32 v[124:125], v[120:121], v[112:113] op_sel:[0,1]
	s_delay_alu instid0(VALU_DEP_1) | instskip(SKIP_1) | instid1(VALU_DEP_1)
	v_pk_fma_f32 v[126:127], v[120:121], v[110:111], v[124:125] op_sel:[0,0,1] op_sel_hi:[1,1,0] neg_lo:[0,0,1] neg_hi:[0,0,1]
	v_pk_fma_f32 v[120:121], v[120:121], v[110:111], v[124:125] op_sel:[0,0,1] op_sel_hi:[1,0,0]
	v_mov_b32_e32 v127, v121
	v_pk_mul_f32 v[120:121], v[122:123], v[112:113] op_sel:[0,1]
	s_delay_alu instid0(VALU_DEP_1) | instskip(SKIP_1) | instid1(VALU_DEP_1)
	v_pk_fma_f32 v[124:125], v[122:123], v[110:111], v[120:121] op_sel:[0,0,1] op_sel_hi:[1,1,0] neg_lo:[0,0,1] neg_hi:[0,0,1]
	v_pk_fma_f32 v[120:121], v[122:123], v[110:111], v[120:121] op_sel:[0,0,1] op_sel_hi:[1,0,0]
	v_mov_b32_e32 v125, v121
	ds_load_2addr_b64 v[120:123], v114 offset0:31 offset1:32
	v_pk_add_f32 v[58:59], v[58:59], v[126:127] neg_lo:[0,1] neg_hi:[0,1]
	v_pk_add_f32 v[60:61], v[60:61], v[124:125] neg_lo:[0,1] neg_hi:[0,1]
	s_wait_dscnt 0x0
	v_dual_mul_f32 v124, v121, v113 :: v_dual_mul_f32 v126, v121, v110
	s_delay_alu instid0(VALU_DEP_1) | instskip(NEXT) | instid1(VALU_DEP_2)
	v_pk_fma_f32 v[124:125], v[120:121], v[92:93], v[124:125] op_sel_hi:[1,1,0] neg_lo:[0,0,1] neg_hi:[0,0,1]
	v_pk_fma_f32 v[120:121], v[120:121], v[92:93], v[126:127] op_sel:[1,0,0] op_sel_hi:[0,1,0]
	s_delay_alu instid0(VALU_DEP_1) | instskip(SKIP_1) | instid1(VALU_DEP_2)
	v_mov_b32_e32 v125, v121
	v_pk_mul_f32 v[120:121], v[122:123], v[112:113] op_sel:[0,1]
	v_pk_add_f32 v[18:19], v[18:19], v[124:125] neg_lo:[0,1] neg_hi:[0,1]
	s_delay_alu instid0(VALU_DEP_2) | instskip(SKIP_1) | instid1(VALU_DEP_1)
	v_pk_fma_f32 v[124:125], v[122:123], v[110:111], v[120:121] op_sel:[0,0,1] op_sel_hi:[1,1,0] neg_lo:[0,0,1] neg_hi:[0,0,1]
	v_pk_fma_f32 v[120:121], v[122:123], v[110:111], v[120:121] op_sel:[0,0,1] op_sel_hi:[1,0,0]
	v_mov_b32_e32 v125, v121
	ds_load_2addr_b64 v[120:123], v114 offset0:33 offset1:34
	v_pk_add_f32 v[56:57], v[56:57], v[124:125] neg_lo:[0,1] neg_hi:[0,1]
	s_wait_dscnt 0x0
	v_pk_mul_f32 v[124:125], v[120:121], v[112:113] op_sel:[0,1]
	s_delay_alu instid0(VALU_DEP_1) | instskip(SKIP_1) | instid1(VALU_DEP_1)
	v_pk_fma_f32 v[126:127], v[120:121], v[110:111], v[124:125] op_sel:[0,0,1] op_sel_hi:[1,1,0] neg_lo:[0,0,1] neg_hi:[0,0,1]
	v_pk_fma_f32 v[120:121], v[120:121], v[110:111], v[124:125] op_sel:[0,0,1] op_sel_hi:[1,0,0]
	v_mov_b32_e32 v127, v121
	v_pk_mul_f32 v[120:121], v[122:123], v[112:113] op_sel:[0,1]
	s_delay_alu instid0(VALU_DEP_2) | instskip(NEXT) | instid1(VALU_DEP_2)
	v_pk_add_f32 v[52:53], v[52:53], v[126:127] neg_lo:[0,1] neg_hi:[0,1]
	v_pk_fma_f32 v[124:125], v[122:123], v[110:111], v[120:121] op_sel:[0,0,1] op_sel_hi:[1,1,0] neg_lo:[0,0,1] neg_hi:[0,0,1]
	v_pk_fma_f32 v[120:121], v[122:123], v[110:111], v[120:121] op_sel:[0,0,1] op_sel_hi:[1,0,0]
	s_delay_alu instid0(VALU_DEP_1) | instskip(SKIP_4) | instid1(VALU_DEP_1)
	v_mov_b32_e32 v125, v121
	ds_load_2addr_b64 v[120:123], v114 offset0:35 offset1:36
	v_pk_add_f32 v[54:55], v[54:55], v[124:125] neg_lo:[0,1] neg_hi:[0,1]
	s_wait_dscnt 0x0
	v_pk_mul_f32 v[124:125], v[120:121], v[112:113] op_sel:[0,1]
	v_pk_fma_f32 v[126:127], v[120:121], v[110:111], v[124:125] op_sel:[0,0,1] op_sel_hi:[1,1,0] neg_lo:[0,0,1] neg_hi:[0,0,1]
	v_pk_fma_f32 v[120:121], v[120:121], v[110:111], v[124:125] op_sel:[0,0,1] op_sel_hi:[1,0,0]
	v_dual_mul_f32 v124, v123, v113 :: v_dual_mov_b32 v120, v123
	s_delay_alu instid0(VALU_DEP_2) | instskip(NEXT) | instid1(VALU_DEP_2)
	v_dual_mov_b32 v127, v121 :: v_dual_mov_b32 v121, v122
	v_pk_fma_f32 v[124:125], v[122:123], v[92:93], v[124:125] op_sel_hi:[1,1,0] neg_lo:[0,0,1] neg_hi:[0,0,1]
	v_mul_f32_e32 v122, v123, v110
	s_delay_alu instid0(VALU_DEP_3) | instskip(NEXT) | instid1(VALU_DEP_2)
	v_pk_add_f32 v[12:13], v[12:13], v[126:127] neg_lo:[0,1] neg_hi:[0,1]
	v_pk_fma_f32 v[120:121], v[120:121], v[92:93], v[122:123] op_sel_hi:[1,1,0]
	s_delay_alu instid0(VALU_DEP_1) | instskip(SKIP_4) | instid1(VALU_DEP_1)
	v_mov_b32_e32 v125, v121
	ds_load_2addr_b64 v[120:123], v114 offset0:37 offset1:38
	v_pk_add_f32 v[50:51], v[50:51], v[124:125] neg_lo:[0,1] neg_hi:[0,1]
	s_wait_dscnt 0x0
	v_pk_mul_f32 v[124:125], v[120:121], v[112:113] op_sel:[0,1]
	v_pk_fma_f32 v[126:127], v[120:121], v[110:111], v[124:125] op_sel:[0,0,1] op_sel_hi:[1,1,0] neg_lo:[0,0,1] neg_hi:[0,0,1]
	v_pk_fma_f32 v[120:121], v[120:121], v[110:111], v[124:125] op_sel:[0,0,1] op_sel_hi:[1,0,0]
	s_delay_alu instid0(VALU_DEP_1) | instskip(SKIP_1) | instid1(VALU_DEP_1)
	v_mov_b32_e32 v127, v121
	v_pk_mul_f32 v[120:121], v[122:123], v[112:113] op_sel:[0,1]
	v_pk_fma_f32 v[124:125], v[122:123], v[110:111], v[120:121] op_sel:[0,0,1] op_sel_hi:[1,1,0] neg_lo:[0,0,1] neg_hi:[0,0,1]
	v_pk_fma_f32 v[120:121], v[122:123], v[110:111], v[120:121] op_sel:[0,0,1] op_sel_hi:[1,0,0]
	s_delay_alu instid0(VALU_DEP_1)
	v_mov_b32_e32 v125, v121
	ds_load_2addr_b64 v[120:123], v114 offset0:39 offset1:40
	v_pk_add_f32 v[46:47], v[46:47], v[126:127] neg_lo:[0,1] neg_hi:[0,1]
	v_pk_add_f32 v[48:49], v[48:49], v[124:125] neg_lo:[0,1] neg_hi:[0,1]
	s_wait_dscnt 0x0
	v_pk_mul_f32 v[124:125], v[120:121], v[112:113] op_sel:[0,1]
	s_delay_alu instid0(VALU_DEP_1) | instskip(SKIP_1) | instid1(VALU_DEP_1)
	v_pk_fma_f32 v[126:127], v[120:121], v[110:111], v[124:125] op_sel:[0,0,1] op_sel_hi:[1,1,0] neg_lo:[0,0,1] neg_hi:[0,0,1]
	v_pk_fma_f32 v[120:121], v[120:121], v[110:111], v[124:125] op_sel:[0,0,1] op_sel_hi:[1,0,0]
	v_mov_b32_e32 v127, v121
	v_pk_mul_f32 v[120:121], v[122:123], v[112:113] op_sel:[0,1]
	s_delay_alu instid0(VALU_DEP_1) | instskip(SKIP_1) | instid1(VALU_DEP_1)
	v_pk_fma_f32 v[124:125], v[122:123], v[110:111], v[120:121] op_sel:[0,0,1] op_sel_hi:[1,1,0] neg_lo:[0,0,1] neg_hi:[0,0,1]
	v_pk_fma_f32 v[120:121], v[122:123], v[110:111], v[120:121] op_sel:[0,0,1] op_sel_hi:[1,0,0]
	v_mov_b32_e32 v125, v121
	ds_load_2addr_b64 v[120:123], v114 offset0:41 offset1:42
	v_pk_add_f32 v[10:11], v[10:11], v[126:127] neg_lo:[0,1] neg_hi:[0,1]
	v_pk_add_f32 v[44:45], v[44:45], v[124:125] neg_lo:[0,1] neg_hi:[0,1]
	s_wait_dscnt 0x0
	v_dual_mul_f32 v124, v121, v113 :: v_dual_mul_f32 v126, v121, v110
	s_delay_alu instid0(VALU_DEP_1) | instskip(NEXT) | instid1(VALU_DEP_2)
	v_pk_fma_f32 v[124:125], v[120:121], v[92:93], v[124:125] op_sel_hi:[1,1,0] neg_lo:[0,0,1] neg_hi:[0,0,1]
	v_pk_fma_f32 v[120:121], v[120:121], v[92:93], v[126:127] op_sel:[1,0,0] op_sel_hi:[0,1,0]
	s_delay_alu instid0(VALU_DEP_1) | instskip(SKIP_1) | instid1(VALU_DEP_2)
	v_mov_b32_e32 v125, v121
	v_pk_mul_f32 v[120:121], v[122:123], v[112:113] op_sel:[0,1]
	v_pk_add_f32 v[40:41], v[40:41], v[124:125] neg_lo:[0,1] neg_hi:[0,1]
	s_delay_alu instid0(VALU_DEP_2) | instskip(SKIP_1) | instid1(VALU_DEP_1)
	v_pk_fma_f32 v[124:125], v[122:123], v[110:111], v[120:121] op_sel:[0,0,1] op_sel_hi:[1,1,0] neg_lo:[0,0,1] neg_hi:[0,0,1]
	v_pk_fma_f32 v[120:121], v[122:123], v[110:111], v[120:121] op_sel:[0,0,1] op_sel_hi:[1,0,0]
	v_mov_b32_e32 v125, v121
	ds_load_2addr_b64 v[120:123], v114 offset0:43 offset1:44
	v_pk_add_f32 v[42:43], v[42:43], v[124:125] neg_lo:[0,1] neg_hi:[0,1]
	s_wait_dscnt 0x0
	v_pk_mul_f32 v[124:125], v[120:121], v[112:113] op_sel:[0,1]
	s_delay_alu instid0(VALU_DEP_1) | instskip(SKIP_1) | instid1(VALU_DEP_1)
	v_pk_fma_f32 v[126:127], v[120:121], v[110:111], v[124:125] op_sel:[0,0,1] op_sel_hi:[1,1,0] neg_lo:[0,0,1] neg_hi:[0,0,1]
	v_pk_fma_f32 v[120:121], v[120:121], v[110:111], v[124:125] op_sel:[0,0,1] op_sel_hi:[1,0,0]
	v_mov_b32_e32 v127, v121
	v_pk_mul_f32 v[120:121], v[122:123], v[112:113] op_sel:[0,1]
	s_delay_alu instid0(VALU_DEP_2) | instskip(NEXT) | instid1(VALU_DEP_2)
	v_pk_add_f32 v[6:7], v[6:7], v[126:127] neg_lo:[0,1] neg_hi:[0,1]
	v_pk_fma_f32 v[124:125], v[122:123], v[110:111], v[120:121] op_sel:[0,0,1] op_sel_hi:[1,1,0] neg_lo:[0,0,1] neg_hi:[0,0,1]
	v_pk_fma_f32 v[120:121], v[122:123], v[110:111], v[120:121] op_sel:[0,0,1] op_sel_hi:[1,0,0]
	s_delay_alu instid0(VALU_DEP_1) | instskip(SKIP_4) | instid1(VALU_DEP_1)
	v_mov_b32_e32 v125, v121
	ds_load_2addr_b64 v[120:123], v114 offset0:45 offset1:46
	v_pk_add_f32 v[36:37], v[36:37], v[124:125] neg_lo:[0,1] neg_hi:[0,1]
	s_wait_dscnt 0x0
	v_pk_mul_f32 v[124:125], v[120:121], v[112:113] op_sel:[0,1]
	v_pk_fma_f32 v[126:127], v[120:121], v[110:111], v[124:125] op_sel:[0,0,1] op_sel_hi:[1,1,0] neg_lo:[0,0,1] neg_hi:[0,0,1]
	v_pk_fma_f32 v[120:121], v[120:121], v[110:111], v[124:125] op_sel:[0,0,1] op_sel_hi:[1,0,0]
	v_dual_mul_f32 v124, v123, v113 :: v_dual_mov_b32 v120, v123
	s_delay_alu instid0(VALU_DEP_2) | instskip(NEXT) | instid1(VALU_DEP_2)
	v_dual_mov_b32 v127, v121 :: v_dual_mov_b32 v121, v122
	v_pk_fma_f32 v[124:125], v[122:123], v[92:93], v[124:125] op_sel_hi:[1,1,0] neg_lo:[0,0,1] neg_hi:[0,0,1]
	v_mul_f32_e32 v122, v123, v110
	s_delay_alu instid0(VALU_DEP_3) | instskip(NEXT) | instid1(VALU_DEP_2)
	v_pk_add_f32 v[30:31], v[30:31], v[126:127] neg_lo:[0,1] neg_hi:[0,1]
	v_pk_fma_f32 v[120:121], v[120:121], v[92:93], v[122:123] op_sel_hi:[1,1,0]
	s_delay_alu instid0(VALU_DEP_1) | instskip(SKIP_4) | instid1(VALU_DEP_1)
	v_mov_b32_e32 v125, v121
	ds_load_2addr_b64 v[120:123], v114 offset0:47 offset1:48
	v_pk_add_f32 v[34:35], v[34:35], v[124:125] neg_lo:[0,1] neg_hi:[0,1]
	s_wait_dscnt 0x0
	v_pk_mul_f32 v[124:125], v[120:121], v[112:113] op_sel:[0,1]
	v_pk_fma_f32 v[126:127], v[120:121], v[110:111], v[124:125] op_sel:[0,0,1] op_sel_hi:[1,1,0] neg_lo:[0,0,1] neg_hi:[0,0,1]
	v_pk_fma_f32 v[120:121], v[120:121], v[110:111], v[124:125] op_sel:[0,0,1] op_sel_hi:[1,0,0]
	s_delay_alu instid0(VALU_DEP_1) | instskip(SKIP_1) | instid1(VALU_DEP_1)
	v_mov_b32_e32 v127, v121
	v_pk_mul_f32 v[120:121], v[122:123], v[112:113] op_sel:[0,1]
	v_pk_fma_f32 v[124:125], v[122:123], v[110:111], v[120:121] op_sel:[0,0,1] op_sel_hi:[1,1,0] neg_lo:[0,0,1] neg_hi:[0,0,1]
	v_pk_fma_f32 v[120:121], v[122:123], v[110:111], v[120:121] op_sel:[0,0,1] op_sel_hi:[1,0,0]
	s_delay_alu instid0(VALU_DEP_1)
	v_mov_b32_e32 v125, v121
	ds_load_2addr_b64 v[120:123], v114 offset0:49 offset1:50
	v_pk_add_f32 v[8:9], v[8:9], v[126:127] neg_lo:[0,1] neg_hi:[0,1]
	v_pk_add_f32 v[28:29], v[28:29], v[124:125] neg_lo:[0,1] neg_hi:[0,1]
	s_wait_dscnt 0x0
	v_pk_mul_f32 v[124:125], v[120:121], v[112:113] op_sel:[0,1]
	s_delay_alu instid0(VALU_DEP_1) | instskip(SKIP_1) | instid1(VALU_DEP_1)
	v_pk_fma_f32 v[126:127], v[120:121], v[110:111], v[124:125] op_sel:[0,0,1] op_sel_hi:[1,1,0] neg_lo:[0,0,1] neg_hi:[0,0,1]
	v_pk_fma_f32 v[120:121], v[120:121], v[110:111], v[124:125] op_sel:[0,0,1] op_sel_hi:[1,0,0]
	v_mov_b32_e32 v127, v121
	v_pk_mul_f32 v[120:121], v[122:123], v[112:113] op_sel:[0,1]
	s_delay_alu instid0(VALU_DEP_1) | instskip(SKIP_1) | instid1(VALU_DEP_1)
	v_pk_fma_f32 v[124:125], v[122:123], v[110:111], v[120:121] op_sel:[0,0,1] op_sel_hi:[1,1,0] neg_lo:[0,0,1] neg_hi:[0,0,1]
	v_pk_fma_f32 v[120:121], v[122:123], v[110:111], v[120:121] op_sel:[0,0,1] op_sel_hi:[1,0,0]
	v_mov_b32_e32 v125, v121
	ds_load_b64 v[120:121], v114 offset:408
	v_pk_add_f32 v[16:17], v[16:17], v[126:127] neg_lo:[0,1] neg_hi:[0,1]
	v_pk_add_f32 v[14:15], v[14:15], v[124:125] neg_lo:[0,1] neg_hi:[0,1]
	s_wait_dscnt 0x0
	v_pk_mul_f32 v[112:113], v[120:121], v[112:113] op_sel:[0,1]
	s_delay_alu instid0(VALU_DEP_1) | instskip(SKIP_1) | instid1(VALU_DEP_1)
	v_pk_fma_f32 v[122:123], v[120:121], v[110:111], v[112:113] op_sel:[0,0,1] op_sel_hi:[1,1,0] neg_lo:[0,0,1] neg_hi:[0,0,1]
	v_pk_fma_f32 v[110:111], v[120:121], v[110:111], v[112:113] op_sel:[0,0,1] op_sel_hi:[1,0,0]
	v_mov_b32_e32 v123, v111
	s_delay_alu instid0(VALU_DEP_1)
	v_pk_add_f32 v[108:109], v[108:109], v[122:123] neg_lo:[0,1] neg_hi:[0,1]
.LBB102_272:
	s_or_b32 exec_lo, exec_lo, s0
	v_lshl_add_u32 v110, v118, 3, v114
	s_barrier_signal -1
	s_barrier_wait -1
	ds_store_b64 v110, v[88:89]
	s_wait_dscnt 0x0
	s_barrier_signal -1
	s_barrier_wait -1
	ds_load_b64 v[112:113], v114 offset:104
	v_mov_b32_e32 v110, 13
	s_cmp_lt_i32 s18, 15
	s_cbranch_scc1 .LBB102_275
; %bb.273:
	v_add3_u32 v111, v115, 0, 0x70
	v_mov_b32_e32 v110, 13
	s_mov_b32 s0, 14
.LBB102_274:                            ; =>This Inner Loop Header: Depth=1
	ds_load_b64 v[120:121], v111
	s_wait_dscnt 0x1
	v_cmp_gt_f32_e32 vcc_lo, 0, v112
	v_cndmask_b32_e64 v122, v112, -v112, vcc_lo
	v_cmp_gt_f32_e32 vcc_lo, 0, v113
	v_cndmask_b32_e64 v124, v113, -v113, vcc_lo
	s_wait_dscnt 0x0
	v_cmp_gt_f32_e32 vcc_lo, 0, v120
	v_cndmask_b32_e64 v123, v120, -v120, vcc_lo
	v_cmp_gt_f32_e32 vcc_lo, 0, v121
	v_cndmask_b32_e64 v125, v121, -v121, vcc_lo
	s_delay_alu instid0(VALU_DEP_1) | instskip(NEXT) | instid1(VALU_DEP_1)
	v_pk_add_f32 v[122:123], v[122:123], v[124:125]
	v_cmp_lt_f32_e32 vcc_lo, v122, v123
	v_dual_add_nc_u32 v111, 8, v111 :: v_dual_cndmask_b32 v113, v113, v121, vcc_lo
	v_cndmask_b32_e32 v112, v112, v120, vcc_lo
	v_cndmask_b32_e64 v110, v110, s0, vcc_lo
	s_add_co_i32 s0, s0, 1
	s_delay_alu instid0(SALU_CYCLE_1)
	s_cmp_lg_u32 s18, s0
	s_cbranch_scc1 .LBB102_274
.LBB102_275:
	s_wait_dscnt 0x0
	v_cmp_eq_f32_e32 vcc_lo, 0, v112
	v_cmp_eq_f32_e64 s0, 0, v113
	s_and_b32 s0, vcc_lo, s0
	s_delay_alu instid0(SALU_CYCLE_1) | instskip(NEXT) | instid1(SALU_CYCLE_1)
	s_and_saveexec_b32 s1, s0
	s_xor_b32 s0, exec_lo, s1
; %bb.276:
	v_cmp_ne_u32_e32 vcc_lo, 0, v116
	v_cndmask_b32_e32 v116, 14, v116, vcc_lo
; %bb.277:
	s_and_not1_saveexec_b32 s0, s0
	s_cbranch_execz .LBB102_283
; %bb.278:
	v_cmp_ngt_f32_e64 s1, |v112|, |v113|
	s_and_saveexec_b32 s12, s1
	s_delay_alu instid0(SALU_CYCLE_1)
	s_xor_b32 s1, exec_lo, s12
	s_cbranch_execz .LBB102_280
; %bb.279:
	v_div_scale_f32 v111, null, v113, v113, v112
	v_div_scale_f32 v121, vcc_lo, v112, v113, v112
	s_delay_alu instid0(VALU_DEP_2) | instskip(SKIP_1) | instid1(TRANS32_DEP_1)
	v_rcp_f32_e32 v119, v111
	v_nop
	v_fma_f32 v120, -v111, v119, 1.0
	s_delay_alu instid0(VALU_DEP_1) | instskip(NEXT) | instid1(VALU_DEP_1)
	v_fmac_f32_e32 v119, v120, v119
	v_mul_f32_e32 v120, v121, v119
	s_delay_alu instid0(VALU_DEP_1) | instskip(NEXT) | instid1(VALU_DEP_1)
	v_fma_f32 v122, -v111, v120, v121
	v_fmac_f32_e32 v120, v122, v119
	s_delay_alu instid0(VALU_DEP_1) | instskip(NEXT) | instid1(VALU_DEP_1)
	v_fma_f32 v111, -v111, v120, v121
	v_div_fmas_f32 v111, v111, v119, v120
	s_delay_alu instid0(VALU_DEP_1) | instskip(NEXT) | instid1(VALU_DEP_1)
	v_div_fixup_f32 v111, v111, v113, v112
	v_fmac_f32_e32 v113, v112, v111
	s_delay_alu instid0(VALU_DEP_1) | instskip(SKIP_1) | instid1(VALU_DEP_2)
	v_div_scale_f32 v112, null, v113, v113, 1.0
	v_div_scale_f32 v121, vcc_lo, 1.0, v113, 1.0
	v_rcp_f32_e32 v119, v112
	v_nop
	s_delay_alu instid0(TRANS32_DEP_1) | instskip(NEXT) | instid1(VALU_DEP_1)
	v_fma_f32 v120, -v112, v119, 1.0
	v_fmac_f32_e32 v119, v120, v119
	s_delay_alu instid0(VALU_DEP_1) | instskip(NEXT) | instid1(VALU_DEP_1)
	v_mul_f32_e32 v120, v121, v119
	v_fma_f32 v122, -v112, v120, v121
	s_delay_alu instid0(VALU_DEP_1) | instskip(NEXT) | instid1(VALU_DEP_1)
	v_fmac_f32_e32 v120, v122, v119
	v_fma_f32 v112, -v112, v120, v121
	s_delay_alu instid0(VALU_DEP_1) | instskip(NEXT) | instid1(VALU_DEP_1)
	v_div_fmas_f32 v112, v112, v119, v120
	v_div_fixup_f32 v113, v112, v113, 1.0
	s_delay_alu instid0(VALU_DEP_1)
	v_mul_f32_e32 v112, v111, v113
	v_xor_b32_e32 v113, 0x80000000, v113
.LBB102_280:
	s_and_not1_saveexec_b32 s1, s1
	s_cbranch_execz .LBB102_282
; %bb.281:
	s_delay_alu instid0(VALU_DEP_1) | instskip(SKIP_1) | instid1(VALU_DEP_2)
	v_div_scale_f32 v111, null, v112, v112, v113
	v_div_scale_f32 v121, vcc_lo, v113, v112, v113
	v_rcp_f32_e32 v119, v111
	v_nop
	s_delay_alu instid0(TRANS32_DEP_1) | instskip(NEXT) | instid1(VALU_DEP_1)
	v_fma_f32 v120, -v111, v119, 1.0
	v_fmac_f32_e32 v119, v120, v119
	s_delay_alu instid0(VALU_DEP_1) | instskip(NEXT) | instid1(VALU_DEP_1)
	v_mul_f32_e32 v120, v121, v119
	v_fma_f32 v122, -v111, v120, v121
	s_delay_alu instid0(VALU_DEP_1) | instskip(NEXT) | instid1(VALU_DEP_1)
	v_fmac_f32_e32 v120, v122, v119
	v_fma_f32 v111, -v111, v120, v121
	s_delay_alu instid0(VALU_DEP_1) | instskip(NEXT) | instid1(VALU_DEP_1)
	v_div_fmas_f32 v111, v111, v119, v120
	v_div_fixup_f32 v111, v111, v112, v113
	s_delay_alu instid0(VALU_DEP_1) | instskip(NEXT) | instid1(VALU_DEP_1)
	v_fmac_f32_e32 v112, v113, v111
	v_div_scale_f32 v113, null, v112, v112, 1.0
	s_delay_alu instid0(VALU_DEP_1) | instskip(SKIP_1) | instid1(TRANS32_DEP_1)
	v_rcp_f32_e32 v119, v113
	v_nop
	v_fma_f32 v120, -v113, v119, 1.0
	s_delay_alu instid0(VALU_DEP_1) | instskip(SKIP_1) | instid1(VALU_DEP_1)
	v_fmac_f32_e32 v119, v120, v119
	v_div_scale_f32 v120, vcc_lo, 1.0, v112, 1.0
	v_mul_f32_e32 v121, v120, v119
	s_delay_alu instid0(VALU_DEP_1) | instskip(NEXT) | instid1(VALU_DEP_1)
	v_fma_f32 v122, -v113, v121, v120
	v_fmac_f32_e32 v121, v122, v119
	s_delay_alu instid0(VALU_DEP_1) | instskip(NEXT) | instid1(VALU_DEP_1)
	v_fma_f32 v113, -v113, v121, v120
	v_div_fmas_f32 v113, v113, v119, v121
	s_delay_alu instid0(VALU_DEP_1) | instskip(NEXT) | instid1(VALU_DEP_1)
	v_div_fixup_f32 v112, v113, v112, 1.0
	v_mul_f32_e64 v113, v111, -v112
.LBB102_282:
	s_or_b32 exec_lo, exec_lo, s1
.LBB102_283:
	s_delay_alu instid0(SALU_CYCLE_1) | instskip(NEXT) | instid1(SALU_CYCLE_1)
	s_or_b32 exec_lo, exec_lo, s0
	s_mov_b32 s0, exec_lo
	v_cmpx_ne_u32_e64 v118, v110
	s_xor_b32 s0, exec_lo, s0
	s_cbranch_execz .LBB102_289
; %bb.284:
	s_mov_b32 s1, exec_lo
	v_cmpx_eq_u32_e32 13, v118
	s_cbranch_execz .LBB102_288
; %bb.285:
	v_cmp_ne_u32_e32 vcc_lo, 13, v110
	s_xor_b32 s12, s16, -1
	s_delay_alu instid0(SALU_CYCLE_1) | instskip(NEXT) | instid1(SALU_CYCLE_1)
	s_and_b32 s13, s12, vcc_lo
	s_and_saveexec_b32 s12, s13
	s_cbranch_execz .LBB102_287
; %bb.286:
	v_ashrrev_i32_e32 v111, 31, v110
	s_delay_alu instid0(VALU_DEP_1)
	v_lshl_add_u64 v[118:119], v[110:111], 2, v[4:5]
	s_clause 0x1
	global_load_b32 v111, v[118:119], off
	global_load_b32 v117, v[4:5], off offset:52
	s_wait_loadcnt 0x1
	global_store_b32 v[4:5], v111, off offset:52
	s_wait_loadcnt 0x0
	global_store_b32 v[118:119], v117, off
.LBB102_287:
	s_wait_xcnt 0x0
	s_or_b32 exec_lo, exec_lo, s12
	v_dual_mov_b32 v118, v110 :: v_dual_mov_b32 v117, v110
.LBB102_288:
	s_or_b32 exec_lo, exec_lo, s1
.LBB102_289:
	s_and_not1_saveexec_b32 s0, s0
	s_cbranch_execz .LBB102_291
; %bb.290:
	v_dual_mov_b32 v110, v90 :: v_dual_mov_b32 v111, v91
	v_dual_mov_b32 v118, v32 :: v_dual_mov_b32 v119, v33
	;; [unrolled: 1-line block ×4, first 2 shown]
	ds_store_2addr_b64 v114, v[110:111], v[118:119] offset0:14 offset1:15
	ds_store_2addr_b64 v114, v[120:121], v[122:123] offset0:16 offset1:17
	v_dual_mov_b32 v110, v78 :: v_dual_mov_b32 v111, v79
	v_dual_mov_b32 v118, v24 :: v_dual_mov_b32 v119, v25
	;; [unrolled: 1-line block ×12, first 2 shown]
	ds_store_2addr_b64 v114, v[110:111], v[118:119] offset0:18 offset1:19
	ds_store_2addr_b64 v114, v[120:121], v[122:123] offset0:20 offset1:21
	;; [unrolled: 1-line block ×6, first 2 shown]
	v_dual_mov_b32 v110, v60 :: v_dual_mov_b32 v111, v61
	v_dual_mov_b32 v118, v18 :: v_dual_mov_b32 v119, v19
	v_dual_mov_b32 v120, v56 :: v_dual_mov_b32 v121, v57
	v_dual_mov_b32 v122, v52 :: v_dual_mov_b32 v123, v53
	v_dual_mov_b32 v124, v54 :: v_dual_mov_b32 v125, v55
	v_dual_mov_b32 v126, v12 :: v_dual_mov_b32 v127, v13
	v_dual_mov_b32 v128, v50 :: v_dual_mov_b32 v129, v51
	v_dual_mov_b32 v130, v46 :: v_dual_mov_b32 v131, v47
	v_dual_mov_b32 v132, v48 :: v_dual_mov_b32 v133, v49
	v_dual_mov_b32 v134, v10 :: v_dual_mov_b32 v135, v11
	v_dual_mov_b32 v136, v44 :: v_dual_mov_b32 v137, v45
	v_dual_mov_b32 v138, v40 :: v_dual_mov_b32 v139, v41
	ds_store_2addr_b64 v114, v[110:111], v[118:119] offset0:30 offset1:31
	ds_store_2addr_b64 v114, v[120:121], v[122:123] offset0:32 offset1:33
	;; [unrolled: 1-line block ×6, first 2 shown]
	v_dual_mov_b32 v110, v42 :: v_dual_mov_b32 v111, v43
	v_dual_mov_b32 v120, v6 :: v_dual_mov_b32 v121, v7
	;; [unrolled: 1-line block ×9, first 2 shown]
	v_mov_b32_e32 v135, v15
	ds_store_2addr_b64 v114, v[110:111], v[120:121] offset0:42 offset1:43
	ds_store_2addr_b64 v114, v[122:123], v[124:125] offset0:44 offset1:45
	;; [unrolled: 1-line block ×5, first 2 shown]
.LBB102_291:
	s_or_b32 exec_lo, exec_lo, s0
	s_delay_alu instid0(SALU_CYCLE_1)
	s_mov_b32 s0, exec_lo
	s_wait_storecnt_dscnt 0x0
	s_barrier_signal -1
	s_barrier_wait -1
	v_cmpx_lt_i32_e32 13, v118
	s_cbranch_execz .LBB102_293
; %bb.292:
	v_pk_mul_f32 v[120:121], v[112:113], v[88:89] op_sel:[1,1] op_sel_hi:[0,1]
	s_delay_alu instid0(VALU_DEP_1)
	v_pk_fma_f32 v[110:111], v[112:113], v[88:89], v[120:121] op_sel_hi:[1,0,1] neg_lo:[0,0,1] neg_hi:[0,0,1]
	v_pk_fma_f32 v[112:113], v[112:113], v[88:89], v[120:121] op_sel_hi:[1,0,1]
	ds_load_2addr_b64 v[120:123], v114 offset0:14 offset1:15
	v_dual_mov_b32 v88, v110 :: v_dual_mov_b32 v89, v113
	s_wait_dscnt 0x0
	v_pk_mul_f32 v[124:125], v[120:121], v[112:113] op_sel:[0,1]
	s_delay_alu instid0(VALU_DEP_1) | instskip(SKIP_1) | instid1(VALU_DEP_1)
	v_pk_fma_f32 v[126:127], v[120:121], v[110:111], v[124:125] op_sel:[0,0,1] op_sel_hi:[1,1,0] neg_lo:[0,0,1] neg_hi:[0,0,1]
	v_pk_fma_f32 v[120:121], v[120:121], v[110:111], v[124:125] op_sel:[0,0,1] op_sel_hi:[1,0,0]
	v_mov_b32_e32 v127, v121
	v_pk_mul_f32 v[120:121], v[122:123], v[112:113] op_sel:[0,1]
	s_delay_alu instid0(VALU_DEP_1) | instskip(SKIP_1) | instid1(VALU_DEP_1)
	v_pk_fma_f32 v[124:125], v[122:123], v[110:111], v[120:121] op_sel:[0,0,1] op_sel_hi:[1,1,0] neg_lo:[0,0,1] neg_hi:[0,0,1]
	v_pk_fma_f32 v[120:121], v[122:123], v[110:111], v[120:121] op_sel:[0,0,1] op_sel_hi:[1,0,0]
	v_mov_b32_e32 v125, v121
	ds_load_2addr_b64 v[120:123], v114 offset0:16 offset1:17
	v_pk_add_f32 v[90:91], v[90:91], v[126:127] neg_lo:[0,1] neg_hi:[0,1]
	v_pk_add_f32 v[32:33], v[32:33], v[124:125] neg_lo:[0,1] neg_hi:[0,1]
	s_wait_dscnt 0x0
	v_pk_mul_f32 v[124:125], v[120:121], v[112:113] op_sel:[0,1]
	s_delay_alu instid0(VALU_DEP_1) | instskip(SKIP_2) | instid1(VALU_DEP_2)
	v_pk_fma_f32 v[126:127], v[120:121], v[110:111], v[124:125] op_sel:[0,0,1] op_sel_hi:[1,1,0] neg_lo:[0,0,1] neg_hi:[0,0,1]
	v_pk_fma_f32 v[120:121], v[120:121], v[110:111], v[124:125] op_sel:[0,0,1] op_sel_hi:[1,0,0]
	v_dual_mul_f32 v124, v123, v113 :: v_dual_mov_b32 v120, v123
	v_dual_mov_b32 v127, v121 :: v_dual_mov_b32 v121, v122
	s_delay_alu instid0(VALU_DEP_2) | instskip(SKIP_1) | instid1(VALU_DEP_3)
	v_pk_fma_f32 v[124:125], v[122:123], v[88:89], v[124:125] op_sel_hi:[1,1,0] neg_lo:[0,0,1] neg_hi:[0,0,1]
	v_mul_f32_e32 v122, v123, v110
	v_pk_add_f32 v[80:81], v[80:81], v[126:127] neg_lo:[0,1] neg_hi:[0,1]
	s_delay_alu instid0(VALU_DEP_2) | instskip(NEXT) | instid1(VALU_DEP_1)
	v_pk_fma_f32 v[120:121], v[120:121], v[88:89], v[122:123] op_sel_hi:[1,1,0]
	v_mov_b32_e32 v125, v121
	ds_load_2addr_b64 v[120:123], v114 offset0:18 offset1:19
	v_pk_add_f32 v[76:77], v[76:77], v[124:125] neg_lo:[0,1] neg_hi:[0,1]
	s_wait_dscnt 0x0
	v_pk_mul_f32 v[124:125], v[120:121], v[112:113] op_sel:[0,1]
	s_delay_alu instid0(VALU_DEP_1) | instskip(SKIP_1) | instid1(VALU_DEP_1)
	v_pk_fma_f32 v[126:127], v[120:121], v[110:111], v[124:125] op_sel:[0,0,1] op_sel_hi:[1,1,0] neg_lo:[0,0,1] neg_hi:[0,0,1]
	v_pk_fma_f32 v[120:121], v[120:121], v[110:111], v[124:125] op_sel:[0,0,1] op_sel_hi:[1,0,0]
	v_mov_b32_e32 v127, v121
	v_pk_mul_f32 v[120:121], v[122:123], v[112:113] op_sel:[0,1]
	s_delay_alu instid0(VALU_DEP_1) | instskip(SKIP_1) | instid1(VALU_DEP_1)
	v_pk_fma_f32 v[124:125], v[122:123], v[110:111], v[120:121] op_sel:[0,0,1] op_sel_hi:[1,1,0] neg_lo:[0,0,1] neg_hi:[0,0,1]
	v_pk_fma_f32 v[120:121], v[122:123], v[110:111], v[120:121] op_sel:[0,0,1] op_sel_hi:[1,0,0]
	v_mov_b32_e32 v125, v121
	ds_load_2addr_b64 v[120:123], v114 offset0:20 offset1:21
	v_pk_add_f32 v[78:79], v[78:79], v[126:127] neg_lo:[0,1] neg_hi:[0,1]
	v_pk_add_f32 v[24:25], v[24:25], v[124:125] neg_lo:[0,1] neg_hi:[0,1]
	s_wait_dscnt 0x0
	v_pk_mul_f32 v[124:125], v[120:121], v[112:113] op_sel:[0,1]
	s_delay_alu instid0(VALU_DEP_1) | instskip(SKIP_1) | instid1(VALU_DEP_1)
	v_pk_fma_f32 v[126:127], v[120:121], v[110:111], v[124:125] op_sel:[0,0,1] op_sel_hi:[1,1,0] neg_lo:[0,0,1] neg_hi:[0,0,1]
	v_pk_fma_f32 v[120:121], v[120:121], v[110:111], v[124:125] op_sel:[0,0,1] op_sel_hi:[1,0,0]
	v_mov_b32_e32 v127, v121
	v_pk_mul_f32 v[120:121], v[122:123], v[112:113] op_sel:[0,1]
	s_delay_alu instid0(VALU_DEP_1) | instskip(SKIP_1) | instid1(VALU_DEP_1)
	v_pk_fma_f32 v[124:125], v[122:123], v[110:111], v[120:121] op_sel:[0,0,1] op_sel_hi:[1,1,0] neg_lo:[0,0,1] neg_hi:[0,0,1]
	v_pk_fma_f32 v[120:121], v[122:123], v[110:111], v[120:121] op_sel:[0,0,1] op_sel_hi:[1,0,0]
	v_mov_b32_e32 v125, v121
	ds_load_2addr_b64 v[120:123], v114 offset0:22 offset1:23
	v_pk_add_f32 v[74:75], v[74:75], v[126:127] neg_lo:[0,1] neg_hi:[0,1]
	v_pk_add_f32 v[70:71], v[70:71], v[124:125] neg_lo:[0,1] neg_hi:[0,1]
	s_wait_dscnt 0x0
	v_dual_mul_f32 v124, v121, v113 :: v_dual_mul_f32 v126, v121, v110
	s_delay_alu instid0(VALU_DEP_1) | instskip(NEXT) | instid1(VALU_DEP_2)
	v_pk_fma_f32 v[124:125], v[120:121], v[88:89], v[124:125] op_sel_hi:[1,1,0] neg_lo:[0,0,1] neg_hi:[0,0,1]
	v_pk_fma_f32 v[120:121], v[120:121], v[88:89], v[126:127] op_sel:[1,0,0] op_sel_hi:[0,1,0]
	s_delay_alu instid0(VALU_DEP_1) | instskip(SKIP_1) | instid1(VALU_DEP_2)
	v_mov_b32_e32 v125, v121
	v_pk_mul_f32 v[120:121], v[122:123], v[112:113] op_sel:[0,1]
	v_pk_add_f32 v[72:73], v[72:73], v[124:125] neg_lo:[0,1] neg_hi:[0,1]
	s_delay_alu instid0(VALU_DEP_2) | instskip(SKIP_1) | instid1(VALU_DEP_1)
	v_pk_fma_f32 v[124:125], v[122:123], v[110:111], v[120:121] op_sel:[0,0,1] op_sel_hi:[1,1,0] neg_lo:[0,0,1] neg_hi:[0,0,1]
	v_pk_fma_f32 v[120:121], v[122:123], v[110:111], v[120:121] op_sel:[0,0,1] op_sel_hi:[1,0,0]
	v_mov_b32_e32 v125, v121
	ds_load_2addr_b64 v[120:123], v114 offset0:24 offset1:25
	v_pk_add_f32 v[22:23], v[22:23], v[124:125] neg_lo:[0,1] neg_hi:[0,1]
	s_wait_dscnt 0x0
	v_pk_mul_f32 v[124:125], v[120:121], v[112:113] op_sel:[0,1]
	s_delay_alu instid0(VALU_DEP_1) | instskip(SKIP_1) | instid1(VALU_DEP_1)
	v_pk_fma_f32 v[126:127], v[120:121], v[110:111], v[124:125] op_sel:[0,0,1] op_sel_hi:[1,1,0] neg_lo:[0,0,1] neg_hi:[0,0,1]
	v_pk_fma_f32 v[120:121], v[120:121], v[110:111], v[124:125] op_sel:[0,0,1] op_sel_hi:[1,0,0]
	v_mov_b32_e32 v127, v121
	v_pk_mul_f32 v[120:121], v[122:123], v[112:113] op_sel:[0,1]
	s_delay_alu instid0(VALU_DEP_2) | instskip(NEXT) | instid1(VALU_DEP_2)
	v_pk_add_f32 v[68:69], v[68:69], v[126:127] neg_lo:[0,1] neg_hi:[0,1]
	v_pk_fma_f32 v[124:125], v[122:123], v[110:111], v[120:121] op_sel:[0,0,1] op_sel_hi:[1,1,0] neg_lo:[0,0,1] neg_hi:[0,0,1]
	v_pk_fma_f32 v[120:121], v[122:123], v[110:111], v[120:121] op_sel:[0,0,1] op_sel_hi:[1,0,0]
	s_delay_alu instid0(VALU_DEP_1) | instskip(SKIP_4) | instid1(VALU_DEP_1)
	v_mov_b32_e32 v125, v121
	ds_load_2addr_b64 v[120:123], v114 offset0:26 offset1:27
	v_pk_add_f32 v[64:65], v[64:65], v[124:125] neg_lo:[0,1] neg_hi:[0,1]
	s_wait_dscnt 0x0
	v_pk_mul_f32 v[124:125], v[120:121], v[112:113] op_sel:[0,1]
	v_pk_fma_f32 v[126:127], v[120:121], v[110:111], v[124:125] op_sel:[0,0,1] op_sel_hi:[1,1,0] neg_lo:[0,0,1] neg_hi:[0,0,1]
	v_pk_fma_f32 v[120:121], v[120:121], v[110:111], v[124:125] op_sel:[0,0,1] op_sel_hi:[1,0,0]
	v_dual_mul_f32 v124, v123, v113 :: v_dual_mov_b32 v120, v123
	s_delay_alu instid0(VALU_DEP_2) | instskip(NEXT) | instid1(VALU_DEP_2)
	v_dual_mov_b32 v127, v121 :: v_dual_mov_b32 v121, v122
	v_pk_fma_f32 v[124:125], v[122:123], v[88:89], v[124:125] op_sel_hi:[1,1,0] neg_lo:[0,0,1] neg_hi:[0,0,1]
	v_mul_f32_e32 v122, v123, v110
	s_delay_alu instid0(VALU_DEP_3) | instskip(NEXT) | instid1(VALU_DEP_2)
	v_pk_add_f32 v[66:67], v[66:67], v[126:127] neg_lo:[0,1] neg_hi:[0,1]
	v_pk_fma_f32 v[120:121], v[120:121], v[88:89], v[122:123] op_sel_hi:[1,1,0]
	s_delay_alu instid0(VALU_DEP_1) | instskip(SKIP_4) | instid1(VALU_DEP_1)
	v_mov_b32_e32 v125, v121
	ds_load_2addr_b64 v[120:123], v114 offset0:28 offset1:29
	v_pk_add_f32 v[20:21], v[20:21], v[124:125] neg_lo:[0,1] neg_hi:[0,1]
	s_wait_dscnt 0x0
	v_pk_mul_f32 v[124:125], v[120:121], v[112:113] op_sel:[0,1]
	v_pk_fma_f32 v[126:127], v[120:121], v[110:111], v[124:125] op_sel:[0,0,1] op_sel_hi:[1,1,0] neg_lo:[0,0,1] neg_hi:[0,0,1]
	v_pk_fma_f32 v[120:121], v[120:121], v[110:111], v[124:125] op_sel:[0,0,1] op_sel_hi:[1,0,0]
	s_delay_alu instid0(VALU_DEP_1) | instskip(SKIP_1) | instid1(VALU_DEP_1)
	v_mov_b32_e32 v127, v121
	v_pk_mul_f32 v[120:121], v[122:123], v[112:113] op_sel:[0,1]
	v_pk_fma_f32 v[124:125], v[122:123], v[110:111], v[120:121] op_sel:[0,0,1] op_sel_hi:[1,1,0] neg_lo:[0,0,1] neg_hi:[0,0,1]
	v_pk_fma_f32 v[120:121], v[122:123], v[110:111], v[120:121] op_sel:[0,0,1] op_sel_hi:[1,0,0]
	s_delay_alu instid0(VALU_DEP_1)
	v_mov_b32_e32 v125, v121
	ds_load_2addr_b64 v[120:123], v114 offset0:30 offset1:31
	v_pk_add_f32 v[62:63], v[62:63], v[126:127] neg_lo:[0,1] neg_hi:[0,1]
	v_pk_add_f32 v[58:59], v[58:59], v[124:125] neg_lo:[0,1] neg_hi:[0,1]
	s_wait_dscnt 0x0
	v_pk_mul_f32 v[124:125], v[120:121], v[112:113] op_sel:[0,1]
	s_delay_alu instid0(VALU_DEP_1) | instskip(SKIP_1) | instid1(VALU_DEP_1)
	v_pk_fma_f32 v[126:127], v[120:121], v[110:111], v[124:125] op_sel:[0,0,1] op_sel_hi:[1,1,0] neg_lo:[0,0,1] neg_hi:[0,0,1]
	v_pk_fma_f32 v[120:121], v[120:121], v[110:111], v[124:125] op_sel:[0,0,1] op_sel_hi:[1,0,0]
	v_mov_b32_e32 v127, v121
	v_pk_mul_f32 v[120:121], v[122:123], v[112:113] op_sel:[0,1]
	s_delay_alu instid0(VALU_DEP_1) | instskip(SKIP_1) | instid1(VALU_DEP_1)
	v_pk_fma_f32 v[124:125], v[122:123], v[110:111], v[120:121] op_sel:[0,0,1] op_sel_hi:[1,1,0] neg_lo:[0,0,1] neg_hi:[0,0,1]
	v_pk_fma_f32 v[120:121], v[122:123], v[110:111], v[120:121] op_sel:[0,0,1] op_sel_hi:[1,0,0]
	v_mov_b32_e32 v125, v121
	ds_load_2addr_b64 v[120:123], v114 offset0:32 offset1:33
	v_pk_add_f32 v[60:61], v[60:61], v[126:127] neg_lo:[0,1] neg_hi:[0,1]
	v_pk_add_f32 v[18:19], v[18:19], v[124:125] neg_lo:[0,1] neg_hi:[0,1]
	s_wait_dscnt 0x0
	v_dual_mul_f32 v124, v121, v113 :: v_dual_mul_f32 v126, v121, v110
	s_delay_alu instid0(VALU_DEP_1) | instskip(NEXT) | instid1(VALU_DEP_2)
	v_pk_fma_f32 v[124:125], v[120:121], v[88:89], v[124:125] op_sel_hi:[1,1,0] neg_lo:[0,0,1] neg_hi:[0,0,1]
	v_pk_fma_f32 v[120:121], v[120:121], v[88:89], v[126:127] op_sel:[1,0,0] op_sel_hi:[0,1,0]
	s_delay_alu instid0(VALU_DEP_1) | instskip(SKIP_1) | instid1(VALU_DEP_2)
	v_mov_b32_e32 v125, v121
	v_pk_mul_f32 v[120:121], v[122:123], v[112:113] op_sel:[0,1]
	v_pk_add_f32 v[56:57], v[56:57], v[124:125] neg_lo:[0,1] neg_hi:[0,1]
	s_delay_alu instid0(VALU_DEP_2) | instskip(SKIP_1) | instid1(VALU_DEP_1)
	v_pk_fma_f32 v[124:125], v[122:123], v[110:111], v[120:121] op_sel:[0,0,1] op_sel_hi:[1,1,0] neg_lo:[0,0,1] neg_hi:[0,0,1]
	v_pk_fma_f32 v[120:121], v[122:123], v[110:111], v[120:121] op_sel:[0,0,1] op_sel_hi:[1,0,0]
	v_mov_b32_e32 v125, v121
	ds_load_2addr_b64 v[120:123], v114 offset0:34 offset1:35
	v_pk_add_f32 v[52:53], v[52:53], v[124:125] neg_lo:[0,1] neg_hi:[0,1]
	s_wait_dscnt 0x0
	v_pk_mul_f32 v[124:125], v[120:121], v[112:113] op_sel:[0,1]
	s_delay_alu instid0(VALU_DEP_1) | instskip(SKIP_1) | instid1(VALU_DEP_1)
	v_pk_fma_f32 v[126:127], v[120:121], v[110:111], v[124:125] op_sel:[0,0,1] op_sel_hi:[1,1,0] neg_lo:[0,0,1] neg_hi:[0,0,1]
	v_pk_fma_f32 v[120:121], v[120:121], v[110:111], v[124:125] op_sel:[0,0,1] op_sel_hi:[1,0,0]
	v_mov_b32_e32 v127, v121
	v_pk_mul_f32 v[120:121], v[122:123], v[112:113] op_sel:[0,1]
	s_delay_alu instid0(VALU_DEP_2) | instskip(NEXT) | instid1(VALU_DEP_2)
	v_pk_add_f32 v[54:55], v[54:55], v[126:127] neg_lo:[0,1] neg_hi:[0,1]
	v_pk_fma_f32 v[124:125], v[122:123], v[110:111], v[120:121] op_sel:[0,0,1] op_sel_hi:[1,1,0] neg_lo:[0,0,1] neg_hi:[0,0,1]
	v_pk_fma_f32 v[120:121], v[122:123], v[110:111], v[120:121] op_sel:[0,0,1] op_sel_hi:[1,0,0]
	s_delay_alu instid0(VALU_DEP_1) | instskip(SKIP_4) | instid1(VALU_DEP_1)
	v_mov_b32_e32 v125, v121
	ds_load_2addr_b64 v[120:123], v114 offset0:36 offset1:37
	v_pk_add_f32 v[12:13], v[12:13], v[124:125] neg_lo:[0,1] neg_hi:[0,1]
	s_wait_dscnt 0x0
	v_pk_mul_f32 v[124:125], v[120:121], v[112:113] op_sel:[0,1]
	v_pk_fma_f32 v[126:127], v[120:121], v[110:111], v[124:125] op_sel:[0,0,1] op_sel_hi:[1,1,0] neg_lo:[0,0,1] neg_hi:[0,0,1]
	v_pk_fma_f32 v[120:121], v[120:121], v[110:111], v[124:125] op_sel:[0,0,1] op_sel_hi:[1,0,0]
	v_dual_mul_f32 v124, v123, v113 :: v_dual_mov_b32 v120, v123
	s_delay_alu instid0(VALU_DEP_2) | instskip(NEXT) | instid1(VALU_DEP_2)
	v_dual_mov_b32 v127, v121 :: v_dual_mov_b32 v121, v122
	v_pk_fma_f32 v[124:125], v[122:123], v[88:89], v[124:125] op_sel_hi:[1,1,0] neg_lo:[0,0,1] neg_hi:[0,0,1]
	v_mul_f32_e32 v122, v123, v110
	s_delay_alu instid0(VALU_DEP_3) | instskip(NEXT) | instid1(VALU_DEP_2)
	v_pk_add_f32 v[50:51], v[50:51], v[126:127] neg_lo:[0,1] neg_hi:[0,1]
	v_pk_fma_f32 v[120:121], v[120:121], v[88:89], v[122:123] op_sel_hi:[1,1,0]
	s_delay_alu instid0(VALU_DEP_1) | instskip(SKIP_4) | instid1(VALU_DEP_1)
	v_mov_b32_e32 v125, v121
	ds_load_2addr_b64 v[120:123], v114 offset0:38 offset1:39
	v_pk_add_f32 v[46:47], v[46:47], v[124:125] neg_lo:[0,1] neg_hi:[0,1]
	s_wait_dscnt 0x0
	v_pk_mul_f32 v[124:125], v[120:121], v[112:113] op_sel:[0,1]
	v_pk_fma_f32 v[126:127], v[120:121], v[110:111], v[124:125] op_sel:[0,0,1] op_sel_hi:[1,1,0] neg_lo:[0,0,1] neg_hi:[0,0,1]
	v_pk_fma_f32 v[120:121], v[120:121], v[110:111], v[124:125] op_sel:[0,0,1] op_sel_hi:[1,0,0]
	s_delay_alu instid0(VALU_DEP_1) | instskip(SKIP_1) | instid1(VALU_DEP_1)
	v_mov_b32_e32 v127, v121
	v_pk_mul_f32 v[120:121], v[122:123], v[112:113] op_sel:[0,1]
	v_pk_fma_f32 v[124:125], v[122:123], v[110:111], v[120:121] op_sel:[0,0,1] op_sel_hi:[1,1,0] neg_lo:[0,0,1] neg_hi:[0,0,1]
	v_pk_fma_f32 v[120:121], v[122:123], v[110:111], v[120:121] op_sel:[0,0,1] op_sel_hi:[1,0,0]
	s_delay_alu instid0(VALU_DEP_1)
	v_mov_b32_e32 v125, v121
	ds_load_2addr_b64 v[120:123], v114 offset0:40 offset1:41
	v_pk_add_f32 v[48:49], v[48:49], v[126:127] neg_lo:[0,1] neg_hi:[0,1]
	v_pk_add_f32 v[10:11], v[10:11], v[124:125] neg_lo:[0,1] neg_hi:[0,1]
	s_wait_dscnt 0x0
	v_pk_mul_f32 v[124:125], v[120:121], v[112:113] op_sel:[0,1]
	s_delay_alu instid0(VALU_DEP_1) | instskip(SKIP_1) | instid1(VALU_DEP_1)
	v_pk_fma_f32 v[126:127], v[120:121], v[110:111], v[124:125] op_sel:[0,0,1] op_sel_hi:[1,1,0] neg_lo:[0,0,1] neg_hi:[0,0,1]
	v_pk_fma_f32 v[120:121], v[120:121], v[110:111], v[124:125] op_sel:[0,0,1] op_sel_hi:[1,0,0]
	v_mov_b32_e32 v127, v121
	v_pk_mul_f32 v[120:121], v[122:123], v[112:113] op_sel:[0,1]
	s_delay_alu instid0(VALU_DEP_1) | instskip(SKIP_1) | instid1(VALU_DEP_1)
	v_pk_fma_f32 v[124:125], v[122:123], v[110:111], v[120:121] op_sel:[0,0,1] op_sel_hi:[1,1,0] neg_lo:[0,0,1] neg_hi:[0,0,1]
	v_pk_fma_f32 v[120:121], v[122:123], v[110:111], v[120:121] op_sel:[0,0,1] op_sel_hi:[1,0,0]
	v_mov_b32_e32 v125, v121
	ds_load_2addr_b64 v[120:123], v114 offset0:42 offset1:43
	v_pk_add_f32 v[44:45], v[44:45], v[126:127] neg_lo:[0,1] neg_hi:[0,1]
	v_pk_add_f32 v[40:41], v[40:41], v[124:125] neg_lo:[0,1] neg_hi:[0,1]
	s_wait_dscnt 0x0
	v_dual_mul_f32 v124, v121, v113 :: v_dual_mul_f32 v126, v121, v110
	s_delay_alu instid0(VALU_DEP_1) | instskip(NEXT) | instid1(VALU_DEP_2)
	v_pk_fma_f32 v[124:125], v[120:121], v[88:89], v[124:125] op_sel_hi:[1,1,0] neg_lo:[0,0,1] neg_hi:[0,0,1]
	v_pk_fma_f32 v[120:121], v[120:121], v[88:89], v[126:127] op_sel:[1,0,0] op_sel_hi:[0,1,0]
	s_delay_alu instid0(VALU_DEP_1) | instskip(SKIP_1) | instid1(VALU_DEP_2)
	v_mov_b32_e32 v125, v121
	v_pk_mul_f32 v[120:121], v[122:123], v[112:113] op_sel:[0,1]
	v_pk_add_f32 v[42:43], v[42:43], v[124:125] neg_lo:[0,1] neg_hi:[0,1]
	s_delay_alu instid0(VALU_DEP_2) | instskip(SKIP_1) | instid1(VALU_DEP_1)
	v_pk_fma_f32 v[124:125], v[122:123], v[110:111], v[120:121] op_sel:[0,0,1] op_sel_hi:[1,1,0] neg_lo:[0,0,1] neg_hi:[0,0,1]
	v_pk_fma_f32 v[120:121], v[122:123], v[110:111], v[120:121] op_sel:[0,0,1] op_sel_hi:[1,0,0]
	v_mov_b32_e32 v125, v121
	ds_load_2addr_b64 v[120:123], v114 offset0:44 offset1:45
	v_pk_add_f32 v[6:7], v[6:7], v[124:125] neg_lo:[0,1] neg_hi:[0,1]
	s_wait_dscnt 0x0
	v_pk_mul_f32 v[124:125], v[120:121], v[112:113] op_sel:[0,1]
	s_delay_alu instid0(VALU_DEP_1) | instskip(SKIP_1) | instid1(VALU_DEP_1)
	v_pk_fma_f32 v[126:127], v[120:121], v[110:111], v[124:125] op_sel:[0,0,1] op_sel_hi:[1,1,0] neg_lo:[0,0,1] neg_hi:[0,0,1]
	v_pk_fma_f32 v[120:121], v[120:121], v[110:111], v[124:125] op_sel:[0,0,1] op_sel_hi:[1,0,0]
	v_mov_b32_e32 v127, v121
	v_pk_mul_f32 v[120:121], v[122:123], v[112:113] op_sel:[0,1]
	s_delay_alu instid0(VALU_DEP_2) | instskip(NEXT) | instid1(VALU_DEP_2)
	v_pk_add_f32 v[36:37], v[36:37], v[126:127] neg_lo:[0,1] neg_hi:[0,1]
	v_pk_fma_f32 v[124:125], v[122:123], v[110:111], v[120:121] op_sel:[0,0,1] op_sel_hi:[1,1,0] neg_lo:[0,0,1] neg_hi:[0,0,1]
	v_pk_fma_f32 v[120:121], v[122:123], v[110:111], v[120:121] op_sel:[0,0,1] op_sel_hi:[1,0,0]
	s_delay_alu instid0(VALU_DEP_1) | instskip(SKIP_4) | instid1(VALU_DEP_1)
	v_mov_b32_e32 v125, v121
	ds_load_2addr_b64 v[120:123], v114 offset0:46 offset1:47
	v_pk_add_f32 v[30:31], v[30:31], v[124:125] neg_lo:[0,1] neg_hi:[0,1]
	s_wait_dscnt 0x0
	v_pk_mul_f32 v[124:125], v[120:121], v[112:113] op_sel:[0,1]
	v_pk_fma_f32 v[126:127], v[120:121], v[110:111], v[124:125] op_sel:[0,0,1] op_sel_hi:[1,1,0] neg_lo:[0,0,1] neg_hi:[0,0,1]
	v_pk_fma_f32 v[120:121], v[120:121], v[110:111], v[124:125] op_sel:[0,0,1] op_sel_hi:[1,0,0]
	v_dual_mul_f32 v124, v123, v113 :: v_dual_mov_b32 v120, v123
	s_delay_alu instid0(VALU_DEP_2) | instskip(NEXT) | instid1(VALU_DEP_2)
	v_dual_mov_b32 v127, v121 :: v_dual_mov_b32 v121, v122
	v_pk_fma_f32 v[124:125], v[122:123], v[88:89], v[124:125] op_sel_hi:[1,1,0] neg_lo:[0,0,1] neg_hi:[0,0,1]
	v_mul_f32_e32 v122, v123, v110
	s_delay_alu instid0(VALU_DEP_3) | instskip(NEXT) | instid1(VALU_DEP_2)
	v_pk_add_f32 v[34:35], v[34:35], v[126:127] neg_lo:[0,1] neg_hi:[0,1]
	v_pk_fma_f32 v[120:121], v[120:121], v[88:89], v[122:123] op_sel_hi:[1,1,0]
	s_delay_alu instid0(VALU_DEP_1) | instskip(SKIP_4) | instid1(VALU_DEP_1)
	v_mov_b32_e32 v125, v121
	ds_load_2addr_b64 v[120:123], v114 offset0:48 offset1:49
	v_pk_add_f32 v[8:9], v[8:9], v[124:125] neg_lo:[0,1] neg_hi:[0,1]
	s_wait_dscnt 0x0
	v_pk_mul_f32 v[124:125], v[120:121], v[112:113] op_sel:[0,1]
	v_pk_fma_f32 v[126:127], v[120:121], v[110:111], v[124:125] op_sel:[0,0,1] op_sel_hi:[1,1,0] neg_lo:[0,0,1] neg_hi:[0,0,1]
	v_pk_fma_f32 v[120:121], v[120:121], v[110:111], v[124:125] op_sel:[0,0,1] op_sel_hi:[1,0,0]
	s_delay_alu instid0(VALU_DEP_1) | instskip(SKIP_1) | instid1(VALU_DEP_1)
	v_mov_b32_e32 v127, v121
	v_pk_mul_f32 v[120:121], v[122:123], v[112:113] op_sel:[0,1]
	v_pk_fma_f32 v[124:125], v[122:123], v[110:111], v[120:121] op_sel:[0,0,1] op_sel_hi:[1,1,0] neg_lo:[0,0,1] neg_hi:[0,0,1]
	v_pk_fma_f32 v[120:121], v[122:123], v[110:111], v[120:121] op_sel:[0,0,1] op_sel_hi:[1,0,0]
	s_delay_alu instid0(VALU_DEP_1)
	v_mov_b32_e32 v125, v121
	ds_load_2addr_b64 v[120:123], v114 offset0:50 offset1:51
	v_pk_add_f32 v[28:29], v[28:29], v[126:127] neg_lo:[0,1] neg_hi:[0,1]
	v_pk_add_f32 v[16:17], v[16:17], v[124:125] neg_lo:[0,1] neg_hi:[0,1]
	s_wait_dscnt 0x0
	v_pk_mul_f32 v[124:125], v[120:121], v[112:113] op_sel:[0,1]
	v_pk_mul_f32 v[112:113], v[122:123], v[112:113] op_sel:[0,1]
	s_delay_alu instid0(VALU_DEP_2) | instskip(SKIP_1) | instid1(VALU_DEP_1)
	v_pk_fma_f32 v[126:127], v[120:121], v[110:111], v[124:125] op_sel:[0,0,1] op_sel_hi:[1,1,0] neg_lo:[0,0,1] neg_hi:[0,0,1]
	v_pk_fma_f32 v[120:121], v[120:121], v[110:111], v[124:125] op_sel:[0,0,1] op_sel_hi:[1,0,0]
	v_mov_b32_e32 v127, v121
	s_delay_alu instid0(VALU_DEP_4) | instskip(SKIP_1) | instid1(VALU_DEP_1)
	v_pk_fma_f32 v[120:121], v[122:123], v[110:111], v[112:113] op_sel:[0,0,1] op_sel_hi:[1,1,0] neg_lo:[0,0,1] neg_hi:[0,0,1]
	v_pk_fma_f32 v[110:111], v[122:123], v[110:111], v[112:113] op_sel:[0,0,1] op_sel_hi:[1,0,0]
	v_mov_b32_e32 v121, v111
	s_delay_alu instid0(VALU_DEP_4) | instskip(NEXT) | instid1(VALU_DEP_2)
	v_pk_add_f32 v[14:15], v[14:15], v[126:127] neg_lo:[0,1] neg_hi:[0,1]
	v_pk_add_f32 v[108:109], v[108:109], v[120:121] neg_lo:[0,1] neg_hi:[0,1]
.LBB102_293:
	s_or_b32 exec_lo, exec_lo, s0
	v_lshl_add_u32 v110, v118, 3, v114
	s_barrier_signal -1
	s_barrier_wait -1
	ds_store_b64 v110, v[90:91]
	s_wait_dscnt 0x0
	s_barrier_signal -1
	s_barrier_wait -1
	ds_load_b64 v[112:113], v114 offset:112
	v_mov_b32_e32 v110, 14
	s_cmp_lt_i32 s18, 16
	s_cbranch_scc1 .LBB102_296
; %bb.294:
	v_add3_u32 v111, v115, 0, 0x78
	v_mov_b32_e32 v110, 14
	s_mov_b32 s0, 15
.LBB102_295:                            ; =>This Inner Loop Header: Depth=1
	ds_load_b64 v[120:121], v111
	s_wait_dscnt 0x1
	v_cmp_gt_f32_e32 vcc_lo, 0, v112
	v_cndmask_b32_e64 v122, v112, -v112, vcc_lo
	v_cmp_gt_f32_e32 vcc_lo, 0, v113
	v_cndmask_b32_e64 v124, v113, -v113, vcc_lo
	s_wait_dscnt 0x0
	v_cmp_gt_f32_e32 vcc_lo, 0, v120
	v_cndmask_b32_e64 v123, v120, -v120, vcc_lo
	v_cmp_gt_f32_e32 vcc_lo, 0, v121
	v_cndmask_b32_e64 v125, v121, -v121, vcc_lo
	s_delay_alu instid0(VALU_DEP_1) | instskip(NEXT) | instid1(VALU_DEP_1)
	v_pk_add_f32 v[122:123], v[122:123], v[124:125]
	v_cmp_lt_f32_e32 vcc_lo, v122, v123
	v_dual_add_nc_u32 v111, 8, v111 :: v_dual_cndmask_b32 v113, v113, v121, vcc_lo
	v_cndmask_b32_e32 v112, v112, v120, vcc_lo
	v_cndmask_b32_e64 v110, v110, s0, vcc_lo
	s_add_co_i32 s0, s0, 1
	s_delay_alu instid0(SALU_CYCLE_1)
	s_cmp_lg_u32 s18, s0
	s_cbranch_scc1 .LBB102_295
.LBB102_296:
	s_wait_dscnt 0x0
	v_cmp_eq_f32_e32 vcc_lo, 0, v112
	v_cmp_eq_f32_e64 s0, 0, v113
	s_and_b32 s0, vcc_lo, s0
	s_delay_alu instid0(SALU_CYCLE_1) | instskip(NEXT) | instid1(SALU_CYCLE_1)
	s_and_saveexec_b32 s1, s0
	s_xor_b32 s0, exec_lo, s1
; %bb.297:
	v_cmp_ne_u32_e32 vcc_lo, 0, v116
	v_cndmask_b32_e32 v116, 15, v116, vcc_lo
; %bb.298:
	s_and_not1_saveexec_b32 s0, s0
	s_cbranch_execz .LBB102_304
; %bb.299:
	v_cmp_ngt_f32_e64 s1, |v112|, |v113|
	s_and_saveexec_b32 s12, s1
	s_delay_alu instid0(SALU_CYCLE_1)
	s_xor_b32 s1, exec_lo, s12
	s_cbranch_execz .LBB102_301
; %bb.300:
	v_div_scale_f32 v111, null, v113, v113, v112
	v_div_scale_f32 v121, vcc_lo, v112, v113, v112
	s_delay_alu instid0(VALU_DEP_2) | instskip(SKIP_1) | instid1(TRANS32_DEP_1)
	v_rcp_f32_e32 v119, v111
	v_nop
	v_fma_f32 v120, -v111, v119, 1.0
	s_delay_alu instid0(VALU_DEP_1) | instskip(NEXT) | instid1(VALU_DEP_1)
	v_fmac_f32_e32 v119, v120, v119
	v_mul_f32_e32 v120, v121, v119
	s_delay_alu instid0(VALU_DEP_1) | instskip(NEXT) | instid1(VALU_DEP_1)
	v_fma_f32 v122, -v111, v120, v121
	v_fmac_f32_e32 v120, v122, v119
	s_delay_alu instid0(VALU_DEP_1) | instskip(NEXT) | instid1(VALU_DEP_1)
	v_fma_f32 v111, -v111, v120, v121
	v_div_fmas_f32 v111, v111, v119, v120
	s_delay_alu instid0(VALU_DEP_1) | instskip(NEXT) | instid1(VALU_DEP_1)
	v_div_fixup_f32 v111, v111, v113, v112
	v_fmac_f32_e32 v113, v112, v111
	s_delay_alu instid0(VALU_DEP_1) | instskip(SKIP_1) | instid1(VALU_DEP_2)
	v_div_scale_f32 v112, null, v113, v113, 1.0
	v_div_scale_f32 v121, vcc_lo, 1.0, v113, 1.0
	v_rcp_f32_e32 v119, v112
	v_nop
	s_delay_alu instid0(TRANS32_DEP_1) | instskip(NEXT) | instid1(VALU_DEP_1)
	v_fma_f32 v120, -v112, v119, 1.0
	v_fmac_f32_e32 v119, v120, v119
	s_delay_alu instid0(VALU_DEP_1) | instskip(NEXT) | instid1(VALU_DEP_1)
	v_mul_f32_e32 v120, v121, v119
	v_fma_f32 v122, -v112, v120, v121
	s_delay_alu instid0(VALU_DEP_1) | instskip(NEXT) | instid1(VALU_DEP_1)
	v_fmac_f32_e32 v120, v122, v119
	v_fma_f32 v112, -v112, v120, v121
	s_delay_alu instid0(VALU_DEP_1) | instskip(NEXT) | instid1(VALU_DEP_1)
	v_div_fmas_f32 v112, v112, v119, v120
	v_div_fixup_f32 v113, v112, v113, 1.0
	s_delay_alu instid0(VALU_DEP_1)
	v_mul_f32_e32 v112, v111, v113
	v_xor_b32_e32 v113, 0x80000000, v113
.LBB102_301:
	s_and_not1_saveexec_b32 s1, s1
	s_cbranch_execz .LBB102_303
; %bb.302:
	s_delay_alu instid0(VALU_DEP_1) | instskip(SKIP_1) | instid1(VALU_DEP_2)
	v_div_scale_f32 v111, null, v112, v112, v113
	v_div_scale_f32 v121, vcc_lo, v113, v112, v113
	v_rcp_f32_e32 v119, v111
	v_nop
	s_delay_alu instid0(TRANS32_DEP_1) | instskip(NEXT) | instid1(VALU_DEP_1)
	v_fma_f32 v120, -v111, v119, 1.0
	v_fmac_f32_e32 v119, v120, v119
	s_delay_alu instid0(VALU_DEP_1) | instskip(NEXT) | instid1(VALU_DEP_1)
	v_mul_f32_e32 v120, v121, v119
	v_fma_f32 v122, -v111, v120, v121
	s_delay_alu instid0(VALU_DEP_1) | instskip(NEXT) | instid1(VALU_DEP_1)
	v_fmac_f32_e32 v120, v122, v119
	v_fma_f32 v111, -v111, v120, v121
	s_delay_alu instid0(VALU_DEP_1) | instskip(NEXT) | instid1(VALU_DEP_1)
	v_div_fmas_f32 v111, v111, v119, v120
	v_div_fixup_f32 v111, v111, v112, v113
	s_delay_alu instid0(VALU_DEP_1) | instskip(NEXT) | instid1(VALU_DEP_1)
	v_fmac_f32_e32 v112, v113, v111
	v_div_scale_f32 v113, null, v112, v112, 1.0
	s_delay_alu instid0(VALU_DEP_1) | instskip(SKIP_1) | instid1(TRANS32_DEP_1)
	v_rcp_f32_e32 v119, v113
	v_nop
	v_fma_f32 v120, -v113, v119, 1.0
	s_delay_alu instid0(VALU_DEP_1) | instskip(SKIP_1) | instid1(VALU_DEP_1)
	v_fmac_f32_e32 v119, v120, v119
	v_div_scale_f32 v120, vcc_lo, 1.0, v112, 1.0
	v_mul_f32_e32 v121, v120, v119
	s_delay_alu instid0(VALU_DEP_1) | instskip(NEXT) | instid1(VALU_DEP_1)
	v_fma_f32 v122, -v113, v121, v120
	v_fmac_f32_e32 v121, v122, v119
	s_delay_alu instid0(VALU_DEP_1) | instskip(NEXT) | instid1(VALU_DEP_1)
	v_fma_f32 v113, -v113, v121, v120
	v_div_fmas_f32 v113, v113, v119, v121
	s_delay_alu instid0(VALU_DEP_1) | instskip(NEXT) | instid1(VALU_DEP_1)
	v_div_fixup_f32 v112, v113, v112, 1.0
	v_mul_f32_e64 v113, v111, -v112
.LBB102_303:
	s_or_b32 exec_lo, exec_lo, s1
.LBB102_304:
	s_delay_alu instid0(SALU_CYCLE_1) | instskip(NEXT) | instid1(SALU_CYCLE_1)
	s_or_b32 exec_lo, exec_lo, s0
	s_mov_b32 s0, exec_lo
	v_cmpx_ne_u32_e64 v118, v110
	s_xor_b32 s0, exec_lo, s0
	s_cbranch_execz .LBB102_310
; %bb.305:
	s_mov_b32 s1, exec_lo
	v_cmpx_eq_u32_e32 14, v118
	s_cbranch_execz .LBB102_309
; %bb.306:
	v_cmp_ne_u32_e32 vcc_lo, 14, v110
	s_xor_b32 s12, s16, -1
	s_delay_alu instid0(SALU_CYCLE_1) | instskip(NEXT) | instid1(SALU_CYCLE_1)
	s_and_b32 s13, s12, vcc_lo
	s_and_saveexec_b32 s12, s13
	s_cbranch_execz .LBB102_308
; %bb.307:
	v_ashrrev_i32_e32 v111, 31, v110
	s_delay_alu instid0(VALU_DEP_1)
	v_lshl_add_u64 v[118:119], v[110:111], 2, v[4:5]
	s_clause 0x1
	global_load_b32 v111, v[118:119], off
	global_load_b32 v117, v[4:5], off offset:56
	s_wait_loadcnt 0x1
	global_store_b32 v[4:5], v111, off offset:56
	s_wait_loadcnt 0x0
	global_store_b32 v[118:119], v117, off
.LBB102_308:
	s_wait_xcnt 0x0
	s_or_b32 exec_lo, exec_lo, s12
	v_dual_mov_b32 v118, v110 :: v_dual_mov_b32 v117, v110
.LBB102_309:
	s_or_b32 exec_lo, exec_lo, s1
.LBB102_310:
	s_and_not1_saveexec_b32 s0, s0
	s_cbranch_execz .LBB102_312
; %bb.311:
	v_mov_b32_e32 v118, 14
	ds_store_2addr_b64 v114, v[32:33], v[80:81] offset0:15 offset1:16
	ds_store_2addr_b64 v114, v[76:77], v[78:79] offset0:17 offset1:18
	;; [unrolled: 1-line block ×18, first 2 shown]
	ds_store_b64 v114, v[108:109] offset:408
.LBB102_312:
	s_or_b32 exec_lo, exec_lo, s0
	s_delay_alu instid0(SALU_CYCLE_1)
	s_mov_b32 s0, exec_lo
	s_wait_storecnt_dscnt 0x0
	s_barrier_signal -1
	s_barrier_wait -1
	v_cmpx_lt_i32_e32 14, v118
	s_cbranch_execz .LBB102_314
; %bb.313:
	v_pk_mul_f32 v[120:121], v[112:113], v[90:91] op_sel:[1,1] op_sel_hi:[0,1]
	s_delay_alu instid0(VALU_DEP_1)
	v_pk_fma_f32 v[110:111], v[112:113], v[90:91], v[120:121] op_sel_hi:[1,0,1] neg_lo:[0,0,1] neg_hi:[0,0,1]
	v_pk_fma_f32 v[112:113], v[112:113], v[90:91], v[120:121] op_sel_hi:[1,0,1]
	ds_load_2addr_b64 v[120:123], v114 offset0:15 offset1:16
	v_dual_mov_b32 v90, v110 :: v_dual_mov_b32 v91, v113
	s_wait_dscnt 0x0
	v_pk_mul_f32 v[124:125], v[120:121], v[112:113] op_sel:[0,1]
	s_delay_alu instid0(VALU_DEP_1) | instskip(SKIP_1) | instid1(VALU_DEP_1)
	v_pk_fma_f32 v[126:127], v[120:121], v[110:111], v[124:125] op_sel:[0,0,1] op_sel_hi:[1,1,0] neg_lo:[0,0,1] neg_hi:[0,0,1]
	v_pk_fma_f32 v[120:121], v[120:121], v[110:111], v[124:125] op_sel:[0,0,1] op_sel_hi:[1,0,0]
	v_mov_b32_e32 v127, v121
	v_pk_mul_f32 v[120:121], v[122:123], v[112:113] op_sel:[0,1]
	s_delay_alu instid0(VALU_DEP_1) | instskip(SKIP_1) | instid1(VALU_DEP_1)
	v_pk_fma_f32 v[124:125], v[122:123], v[110:111], v[120:121] op_sel:[0,0,1] op_sel_hi:[1,1,0] neg_lo:[0,0,1] neg_hi:[0,0,1]
	v_pk_fma_f32 v[120:121], v[122:123], v[110:111], v[120:121] op_sel:[0,0,1] op_sel_hi:[1,0,0]
	v_mov_b32_e32 v125, v121
	ds_load_2addr_b64 v[120:123], v114 offset0:17 offset1:18
	v_pk_add_f32 v[32:33], v[32:33], v[126:127] neg_lo:[0,1] neg_hi:[0,1]
	v_pk_add_f32 v[80:81], v[80:81], v[124:125] neg_lo:[0,1] neg_hi:[0,1]
	s_wait_dscnt 0x0
	v_pk_mul_f32 v[124:125], v[120:121], v[112:113] op_sel:[0,1]
	s_delay_alu instid0(VALU_DEP_1) | instskip(SKIP_2) | instid1(VALU_DEP_2)
	v_pk_fma_f32 v[126:127], v[120:121], v[110:111], v[124:125] op_sel:[0,0,1] op_sel_hi:[1,1,0] neg_lo:[0,0,1] neg_hi:[0,0,1]
	v_pk_fma_f32 v[120:121], v[120:121], v[110:111], v[124:125] op_sel:[0,0,1] op_sel_hi:[1,0,0]
	v_dual_mul_f32 v124, v123, v113 :: v_dual_mov_b32 v120, v123
	v_dual_mov_b32 v127, v121 :: v_dual_mov_b32 v121, v122
	s_delay_alu instid0(VALU_DEP_2) | instskip(SKIP_1) | instid1(VALU_DEP_3)
	v_pk_fma_f32 v[124:125], v[122:123], v[90:91], v[124:125] op_sel_hi:[1,1,0] neg_lo:[0,0,1] neg_hi:[0,0,1]
	v_mul_f32_e32 v122, v123, v110
	v_pk_add_f32 v[76:77], v[76:77], v[126:127] neg_lo:[0,1] neg_hi:[0,1]
	s_delay_alu instid0(VALU_DEP_2) | instskip(NEXT) | instid1(VALU_DEP_1)
	v_pk_fma_f32 v[120:121], v[120:121], v[90:91], v[122:123] op_sel_hi:[1,1,0]
	v_mov_b32_e32 v125, v121
	ds_load_2addr_b64 v[120:123], v114 offset0:19 offset1:20
	v_pk_add_f32 v[78:79], v[78:79], v[124:125] neg_lo:[0,1] neg_hi:[0,1]
	s_wait_dscnt 0x0
	v_pk_mul_f32 v[124:125], v[120:121], v[112:113] op_sel:[0,1]
	s_delay_alu instid0(VALU_DEP_1) | instskip(SKIP_1) | instid1(VALU_DEP_1)
	v_pk_fma_f32 v[126:127], v[120:121], v[110:111], v[124:125] op_sel:[0,0,1] op_sel_hi:[1,1,0] neg_lo:[0,0,1] neg_hi:[0,0,1]
	v_pk_fma_f32 v[120:121], v[120:121], v[110:111], v[124:125] op_sel:[0,0,1] op_sel_hi:[1,0,0]
	v_mov_b32_e32 v127, v121
	v_pk_mul_f32 v[120:121], v[122:123], v[112:113] op_sel:[0,1]
	s_delay_alu instid0(VALU_DEP_1) | instskip(SKIP_1) | instid1(VALU_DEP_1)
	v_pk_fma_f32 v[124:125], v[122:123], v[110:111], v[120:121] op_sel:[0,0,1] op_sel_hi:[1,1,0] neg_lo:[0,0,1] neg_hi:[0,0,1]
	v_pk_fma_f32 v[120:121], v[122:123], v[110:111], v[120:121] op_sel:[0,0,1] op_sel_hi:[1,0,0]
	v_mov_b32_e32 v125, v121
	ds_load_2addr_b64 v[120:123], v114 offset0:21 offset1:22
	v_pk_add_f32 v[24:25], v[24:25], v[126:127] neg_lo:[0,1] neg_hi:[0,1]
	v_pk_add_f32 v[74:75], v[74:75], v[124:125] neg_lo:[0,1] neg_hi:[0,1]
	s_wait_dscnt 0x0
	v_pk_mul_f32 v[124:125], v[120:121], v[112:113] op_sel:[0,1]
	s_delay_alu instid0(VALU_DEP_1) | instskip(SKIP_1) | instid1(VALU_DEP_1)
	v_pk_fma_f32 v[126:127], v[120:121], v[110:111], v[124:125] op_sel:[0,0,1] op_sel_hi:[1,1,0] neg_lo:[0,0,1] neg_hi:[0,0,1]
	v_pk_fma_f32 v[120:121], v[120:121], v[110:111], v[124:125] op_sel:[0,0,1] op_sel_hi:[1,0,0]
	v_mov_b32_e32 v127, v121
	v_pk_mul_f32 v[120:121], v[122:123], v[112:113] op_sel:[0,1]
	s_delay_alu instid0(VALU_DEP_1) | instskip(SKIP_1) | instid1(VALU_DEP_1)
	v_pk_fma_f32 v[124:125], v[122:123], v[110:111], v[120:121] op_sel:[0,0,1] op_sel_hi:[1,1,0] neg_lo:[0,0,1] neg_hi:[0,0,1]
	v_pk_fma_f32 v[120:121], v[122:123], v[110:111], v[120:121] op_sel:[0,0,1] op_sel_hi:[1,0,0]
	v_mov_b32_e32 v125, v121
	ds_load_2addr_b64 v[120:123], v114 offset0:23 offset1:24
	v_pk_add_f32 v[70:71], v[70:71], v[126:127] neg_lo:[0,1] neg_hi:[0,1]
	v_pk_add_f32 v[72:73], v[72:73], v[124:125] neg_lo:[0,1] neg_hi:[0,1]
	s_wait_dscnt 0x0
	v_dual_mul_f32 v124, v121, v113 :: v_dual_mul_f32 v126, v121, v110
	s_delay_alu instid0(VALU_DEP_1) | instskip(NEXT) | instid1(VALU_DEP_2)
	v_pk_fma_f32 v[124:125], v[120:121], v[90:91], v[124:125] op_sel_hi:[1,1,0] neg_lo:[0,0,1] neg_hi:[0,0,1]
	v_pk_fma_f32 v[120:121], v[120:121], v[90:91], v[126:127] op_sel:[1,0,0] op_sel_hi:[0,1,0]
	s_delay_alu instid0(VALU_DEP_1) | instskip(SKIP_1) | instid1(VALU_DEP_2)
	v_mov_b32_e32 v125, v121
	v_pk_mul_f32 v[120:121], v[122:123], v[112:113] op_sel:[0,1]
	v_pk_add_f32 v[22:23], v[22:23], v[124:125] neg_lo:[0,1] neg_hi:[0,1]
	s_delay_alu instid0(VALU_DEP_2) | instskip(SKIP_1) | instid1(VALU_DEP_1)
	v_pk_fma_f32 v[124:125], v[122:123], v[110:111], v[120:121] op_sel:[0,0,1] op_sel_hi:[1,1,0] neg_lo:[0,0,1] neg_hi:[0,0,1]
	v_pk_fma_f32 v[120:121], v[122:123], v[110:111], v[120:121] op_sel:[0,0,1] op_sel_hi:[1,0,0]
	v_mov_b32_e32 v125, v121
	ds_load_2addr_b64 v[120:123], v114 offset0:25 offset1:26
	v_pk_add_f32 v[68:69], v[68:69], v[124:125] neg_lo:[0,1] neg_hi:[0,1]
	s_wait_dscnt 0x0
	v_pk_mul_f32 v[124:125], v[120:121], v[112:113] op_sel:[0,1]
	s_delay_alu instid0(VALU_DEP_1) | instskip(SKIP_1) | instid1(VALU_DEP_1)
	v_pk_fma_f32 v[126:127], v[120:121], v[110:111], v[124:125] op_sel:[0,0,1] op_sel_hi:[1,1,0] neg_lo:[0,0,1] neg_hi:[0,0,1]
	v_pk_fma_f32 v[120:121], v[120:121], v[110:111], v[124:125] op_sel:[0,0,1] op_sel_hi:[1,0,0]
	v_mov_b32_e32 v127, v121
	v_pk_mul_f32 v[120:121], v[122:123], v[112:113] op_sel:[0,1]
	s_delay_alu instid0(VALU_DEP_2) | instskip(NEXT) | instid1(VALU_DEP_2)
	v_pk_add_f32 v[64:65], v[64:65], v[126:127] neg_lo:[0,1] neg_hi:[0,1]
	v_pk_fma_f32 v[124:125], v[122:123], v[110:111], v[120:121] op_sel:[0,0,1] op_sel_hi:[1,1,0] neg_lo:[0,0,1] neg_hi:[0,0,1]
	v_pk_fma_f32 v[120:121], v[122:123], v[110:111], v[120:121] op_sel:[0,0,1] op_sel_hi:[1,0,0]
	s_delay_alu instid0(VALU_DEP_1) | instskip(SKIP_4) | instid1(VALU_DEP_1)
	v_mov_b32_e32 v125, v121
	ds_load_2addr_b64 v[120:123], v114 offset0:27 offset1:28
	v_pk_add_f32 v[66:67], v[66:67], v[124:125] neg_lo:[0,1] neg_hi:[0,1]
	s_wait_dscnt 0x0
	v_pk_mul_f32 v[124:125], v[120:121], v[112:113] op_sel:[0,1]
	v_pk_fma_f32 v[126:127], v[120:121], v[110:111], v[124:125] op_sel:[0,0,1] op_sel_hi:[1,1,0] neg_lo:[0,0,1] neg_hi:[0,0,1]
	v_pk_fma_f32 v[120:121], v[120:121], v[110:111], v[124:125] op_sel:[0,0,1] op_sel_hi:[1,0,0]
	v_dual_mul_f32 v124, v123, v113 :: v_dual_mov_b32 v120, v123
	s_delay_alu instid0(VALU_DEP_2) | instskip(NEXT) | instid1(VALU_DEP_2)
	v_dual_mov_b32 v127, v121 :: v_dual_mov_b32 v121, v122
	v_pk_fma_f32 v[124:125], v[122:123], v[90:91], v[124:125] op_sel_hi:[1,1,0] neg_lo:[0,0,1] neg_hi:[0,0,1]
	v_mul_f32_e32 v122, v123, v110
	s_delay_alu instid0(VALU_DEP_3) | instskip(NEXT) | instid1(VALU_DEP_2)
	v_pk_add_f32 v[20:21], v[20:21], v[126:127] neg_lo:[0,1] neg_hi:[0,1]
	v_pk_fma_f32 v[120:121], v[120:121], v[90:91], v[122:123] op_sel_hi:[1,1,0]
	s_delay_alu instid0(VALU_DEP_1) | instskip(SKIP_4) | instid1(VALU_DEP_1)
	v_mov_b32_e32 v125, v121
	ds_load_2addr_b64 v[120:123], v114 offset0:29 offset1:30
	v_pk_add_f32 v[62:63], v[62:63], v[124:125] neg_lo:[0,1] neg_hi:[0,1]
	s_wait_dscnt 0x0
	v_pk_mul_f32 v[124:125], v[120:121], v[112:113] op_sel:[0,1]
	v_pk_fma_f32 v[126:127], v[120:121], v[110:111], v[124:125] op_sel:[0,0,1] op_sel_hi:[1,1,0] neg_lo:[0,0,1] neg_hi:[0,0,1]
	v_pk_fma_f32 v[120:121], v[120:121], v[110:111], v[124:125] op_sel:[0,0,1] op_sel_hi:[1,0,0]
	s_delay_alu instid0(VALU_DEP_1) | instskip(SKIP_1) | instid1(VALU_DEP_1)
	v_mov_b32_e32 v127, v121
	v_pk_mul_f32 v[120:121], v[122:123], v[112:113] op_sel:[0,1]
	v_pk_fma_f32 v[124:125], v[122:123], v[110:111], v[120:121] op_sel:[0,0,1] op_sel_hi:[1,1,0] neg_lo:[0,0,1] neg_hi:[0,0,1]
	v_pk_fma_f32 v[120:121], v[122:123], v[110:111], v[120:121] op_sel:[0,0,1] op_sel_hi:[1,0,0]
	s_delay_alu instid0(VALU_DEP_1)
	v_mov_b32_e32 v125, v121
	ds_load_2addr_b64 v[120:123], v114 offset0:31 offset1:32
	v_pk_add_f32 v[58:59], v[58:59], v[126:127] neg_lo:[0,1] neg_hi:[0,1]
	v_pk_add_f32 v[60:61], v[60:61], v[124:125] neg_lo:[0,1] neg_hi:[0,1]
	s_wait_dscnt 0x0
	v_pk_mul_f32 v[124:125], v[120:121], v[112:113] op_sel:[0,1]
	s_delay_alu instid0(VALU_DEP_1) | instskip(SKIP_1) | instid1(VALU_DEP_1)
	v_pk_fma_f32 v[126:127], v[120:121], v[110:111], v[124:125] op_sel:[0,0,1] op_sel_hi:[1,1,0] neg_lo:[0,0,1] neg_hi:[0,0,1]
	v_pk_fma_f32 v[120:121], v[120:121], v[110:111], v[124:125] op_sel:[0,0,1] op_sel_hi:[1,0,0]
	v_mov_b32_e32 v127, v121
	v_pk_mul_f32 v[120:121], v[122:123], v[112:113] op_sel:[0,1]
	s_delay_alu instid0(VALU_DEP_1) | instskip(SKIP_1) | instid1(VALU_DEP_1)
	v_pk_fma_f32 v[124:125], v[122:123], v[110:111], v[120:121] op_sel:[0,0,1] op_sel_hi:[1,1,0] neg_lo:[0,0,1] neg_hi:[0,0,1]
	v_pk_fma_f32 v[120:121], v[122:123], v[110:111], v[120:121] op_sel:[0,0,1] op_sel_hi:[1,0,0]
	v_mov_b32_e32 v125, v121
	ds_load_2addr_b64 v[120:123], v114 offset0:33 offset1:34
	v_pk_add_f32 v[18:19], v[18:19], v[126:127] neg_lo:[0,1] neg_hi:[0,1]
	v_pk_add_f32 v[56:57], v[56:57], v[124:125] neg_lo:[0,1] neg_hi:[0,1]
	s_wait_dscnt 0x0
	v_dual_mul_f32 v124, v121, v113 :: v_dual_mul_f32 v126, v121, v110
	s_delay_alu instid0(VALU_DEP_1) | instskip(NEXT) | instid1(VALU_DEP_2)
	v_pk_fma_f32 v[124:125], v[120:121], v[90:91], v[124:125] op_sel_hi:[1,1,0] neg_lo:[0,0,1] neg_hi:[0,0,1]
	v_pk_fma_f32 v[120:121], v[120:121], v[90:91], v[126:127] op_sel:[1,0,0] op_sel_hi:[0,1,0]
	s_delay_alu instid0(VALU_DEP_1) | instskip(SKIP_1) | instid1(VALU_DEP_2)
	v_mov_b32_e32 v125, v121
	v_pk_mul_f32 v[120:121], v[122:123], v[112:113] op_sel:[0,1]
	v_pk_add_f32 v[52:53], v[52:53], v[124:125] neg_lo:[0,1] neg_hi:[0,1]
	s_delay_alu instid0(VALU_DEP_2) | instskip(SKIP_1) | instid1(VALU_DEP_1)
	v_pk_fma_f32 v[124:125], v[122:123], v[110:111], v[120:121] op_sel:[0,0,1] op_sel_hi:[1,1,0] neg_lo:[0,0,1] neg_hi:[0,0,1]
	v_pk_fma_f32 v[120:121], v[122:123], v[110:111], v[120:121] op_sel:[0,0,1] op_sel_hi:[1,0,0]
	v_mov_b32_e32 v125, v121
	ds_load_2addr_b64 v[120:123], v114 offset0:35 offset1:36
	v_pk_add_f32 v[54:55], v[54:55], v[124:125] neg_lo:[0,1] neg_hi:[0,1]
	s_wait_dscnt 0x0
	v_pk_mul_f32 v[124:125], v[120:121], v[112:113] op_sel:[0,1]
	s_delay_alu instid0(VALU_DEP_1) | instskip(SKIP_1) | instid1(VALU_DEP_1)
	v_pk_fma_f32 v[126:127], v[120:121], v[110:111], v[124:125] op_sel:[0,0,1] op_sel_hi:[1,1,0] neg_lo:[0,0,1] neg_hi:[0,0,1]
	v_pk_fma_f32 v[120:121], v[120:121], v[110:111], v[124:125] op_sel:[0,0,1] op_sel_hi:[1,0,0]
	v_mov_b32_e32 v127, v121
	v_pk_mul_f32 v[120:121], v[122:123], v[112:113] op_sel:[0,1]
	s_delay_alu instid0(VALU_DEP_2) | instskip(NEXT) | instid1(VALU_DEP_2)
	v_pk_add_f32 v[12:13], v[12:13], v[126:127] neg_lo:[0,1] neg_hi:[0,1]
	v_pk_fma_f32 v[124:125], v[122:123], v[110:111], v[120:121] op_sel:[0,0,1] op_sel_hi:[1,1,0] neg_lo:[0,0,1] neg_hi:[0,0,1]
	v_pk_fma_f32 v[120:121], v[122:123], v[110:111], v[120:121] op_sel:[0,0,1] op_sel_hi:[1,0,0]
	s_delay_alu instid0(VALU_DEP_1) | instskip(SKIP_4) | instid1(VALU_DEP_1)
	v_mov_b32_e32 v125, v121
	ds_load_2addr_b64 v[120:123], v114 offset0:37 offset1:38
	v_pk_add_f32 v[50:51], v[50:51], v[124:125] neg_lo:[0,1] neg_hi:[0,1]
	s_wait_dscnt 0x0
	v_pk_mul_f32 v[124:125], v[120:121], v[112:113] op_sel:[0,1]
	v_pk_fma_f32 v[126:127], v[120:121], v[110:111], v[124:125] op_sel:[0,0,1] op_sel_hi:[1,1,0] neg_lo:[0,0,1] neg_hi:[0,0,1]
	v_pk_fma_f32 v[120:121], v[120:121], v[110:111], v[124:125] op_sel:[0,0,1] op_sel_hi:[1,0,0]
	v_dual_mul_f32 v124, v123, v113 :: v_dual_mov_b32 v120, v123
	s_delay_alu instid0(VALU_DEP_2) | instskip(NEXT) | instid1(VALU_DEP_2)
	v_dual_mov_b32 v127, v121 :: v_dual_mov_b32 v121, v122
	v_pk_fma_f32 v[124:125], v[122:123], v[90:91], v[124:125] op_sel_hi:[1,1,0] neg_lo:[0,0,1] neg_hi:[0,0,1]
	v_mul_f32_e32 v122, v123, v110
	s_delay_alu instid0(VALU_DEP_3) | instskip(NEXT) | instid1(VALU_DEP_2)
	v_pk_add_f32 v[46:47], v[46:47], v[126:127] neg_lo:[0,1] neg_hi:[0,1]
	v_pk_fma_f32 v[120:121], v[120:121], v[90:91], v[122:123] op_sel_hi:[1,1,0]
	s_delay_alu instid0(VALU_DEP_1) | instskip(SKIP_4) | instid1(VALU_DEP_1)
	v_mov_b32_e32 v125, v121
	ds_load_2addr_b64 v[120:123], v114 offset0:39 offset1:40
	v_pk_add_f32 v[48:49], v[48:49], v[124:125] neg_lo:[0,1] neg_hi:[0,1]
	s_wait_dscnt 0x0
	v_pk_mul_f32 v[124:125], v[120:121], v[112:113] op_sel:[0,1]
	v_pk_fma_f32 v[126:127], v[120:121], v[110:111], v[124:125] op_sel:[0,0,1] op_sel_hi:[1,1,0] neg_lo:[0,0,1] neg_hi:[0,0,1]
	v_pk_fma_f32 v[120:121], v[120:121], v[110:111], v[124:125] op_sel:[0,0,1] op_sel_hi:[1,0,0]
	s_delay_alu instid0(VALU_DEP_1) | instskip(SKIP_1) | instid1(VALU_DEP_1)
	v_mov_b32_e32 v127, v121
	v_pk_mul_f32 v[120:121], v[122:123], v[112:113] op_sel:[0,1]
	v_pk_fma_f32 v[124:125], v[122:123], v[110:111], v[120:121] op_sel:[0,0,1] op_sel_hi:[1,1,0] neg_lo:[0,0,1] neg_hi:[0,0,1]
	v_pk_fma_f32 v[120:121], v[122:123], v[110:111], v[120:121] op_sel:[0,0,1] op_sel_hi:[1,0,0]
	s_delay_alu instid0(VALU_DEP_1)
	v_mov_b32_e32 v125, v121
	ds_load_2addr_b64 v[120:123], v114 offset0:41 offset1:42
	v_pk_add_f32 v[10:11], v[10:11], v[126:127] neg_lo:[0,1] neg_hi:[0,1]
	v_pk_add_f32 v[44:45], v[44:45], v[124:125] neg_lo:[0,1] neg_hi:[0,1]
	s_wait_dscnt 0x0
	v_pk_mul_f32 v[124:125], v[120:121], v[112:113] op_sel:[0,1]
	s_delay_alu instid0(VALU_DEP_1) | instskip(SKIP_1) | instid1(VALU_DEP_1)
	v_pk_fma_f32 v[126:127], v[120:121], v[110:111], v[124:125] op_sel:[0,0,1] op_sel_hi:[1,1,0] neg_lo:[0,0,1] neg_hi:[0,0,1]
	v_pk_fma_f32 v[120:121], v[120:121], v[110:111], v[124:125] op_sel:[0,0,1] op_sel_hi:[1,0,0]
	v_mov_b32_e32 v127, v121
	v_pk_mul_f32 v[120:121], v[122:123], v[112:113] op_sel:[0,1]
	s_delay_alu instid0(VALU_DEP_1) | instskip(SKIP_1) | instid1(VALU_DEP_1)
	v_pk_fma_f32 v[124:125], v[122:123], v[110:111], v[120:121] op_sel:[0,0,1] op_sel_hi:[1,1,0] neg_lo:[0,0,1] neg_hi:[0,0,1]
	v_pk_fma_f32 v[120:121], v[122:123], v[110:111], v[120:121] op_sel:[0,0,1] op_sel_hi:[1,0,0]
	v_mov_b32_e32 v125, v121
	ds_load_2addr_b64 v[120:123], v114 offset0:43 offset1:44
	v_pk_add_f32 v[40:41], v[40:41], v[126:127] neg_lo:[0,1] neg_hi:[0,1]
	v_pk_add_f32 v[42:43], v[42:43], v[124:125] neg_lo:[0,1] neg_hi:[0,1]
	s_wait_dscnt 0x0
	v_dual_mul_f32 v124, v121, v113 :: v_dual_mul_f32 v126, v121, v110
	s_delay_alu instid0(VALU_DEP_1) | instskip(NEXT) | instid1(VALU_DEP_2)
	v_pk_fma_f32 v[124:125], v[120:121], v[90:91], v[124:125] op_sel_hi:[1,1,0] neg_lo:[0,0,1] neg_hi:[0,0,1]
	v_pk_fma_f32 v[120:121], v[120:121], v[90:91], v[126:127] op_sel:[1,0,0] op_sel_hi:[0,1,0]
	s_delay_alu instid0(VALU_DEP_1) | instskip(SKIP_1) | instid1(VALU_DEP_2)
	v_mov_b32_e32 v125, v121
	v_pk_mul_f32 v[120:121], v[122:123], v[112:113] op_sel:[0,1]
	v_pk_add_f32 v[6:7], v[6:7], v[124:125] neg_lo:[0,1] neg_hi:[0,1]
	s_delay_alu instid0(VALU_DEP_2) | instskip(SKIP_1) | instid1(VALU_DEP_1)
	v_pk_fma_f32 v[124:125], v[122:123], v[110:111], v[120:121] op_sel:[0,0,1] op_sel_hi:[1,1,0] neg_lo:[0,0,1] neg_hi:[0,0,1]
	v_pk_fma_f32 v[120:121], v[122:123], v[110:111], v[120:121] op_sel:[0,0,1] op_sel_hi:[1,0,0]
	v_mov_b32_e32 v125, v121
	ds_load_2addr_b64 v[120:123], v114 offset0:45 offset1:46
	v_pk_add_f32 v[36:37], v[36:37], v[124:125] neg_lo:[0,1] neg_hi:[0,1]
	s_wait_dscnt 0x0
	v_pk_mul_f32 v[124:125], v[120:121], v[112:113] op_sel:[0,1]
	s_delay_alu instid0(VALU_DEP_1) | instskip(SKIP_1) | instid1(VALU_DEP_1)
	v_pk_fma_f32 v[126:127], v[120:121], v[110:111], v[124:125] op_sel:[0,0,1] op_sel_hi:[1,1,0] neg_lo:[0,0,1] neg_hi:[0,0,1]
	v_pk_fma_f32 v[120:121], v[120:121], v[110:111], v[124:125] op_sel:[0,0,1] op_sel_hi:[1,0,0]
	v_mov_b32_e32 v127, v121
	v_pk_mul_f32 v[120:121], v[122:123], v[112:113] op_sel:[0,1]
	s_delay_alu instid0(VALU_DEP_2) | instskip(NEXT) | instid1(VALU_DEP_2)
	v_pk_add_f32 v[30:31], v[30:31], v[126:127] neg_lo:[0,1] neg_hi:[0,1]
	v_pk_fma_f32 v[124:125], v[122:123], v[110:111], v[120:121] op_sel:[0,0,1] op_sel_hi:[1,1,0] neg_lo:[0,0,1] neg_hi:[0,0,1]
	v_pk_fma_f32 v[120:121], v[122:123], v[110:111], v[120:121] op_sel:[0,0,1] op_sel_hi:[1,0,0]
	s_delay_alu instid0(VALU_DEP_1) | instskip(SKIP_4) | instid1(VALU_DEP_1)
	v_mov_b32_e32 v125, v121
	ds_load_2addr_b64 v[120:123], v114 offset0:47 offset1:48
	v_pk_add_f32 v[34:35], v[34:35], v[124:125] neg_lo:[0,1] neg_hi:[0,1]
	s_wait_dscnt 0x0
	v_pk_mul_f32 v[124:125], v[120:121], v[112:113] op_sel:[0,1]
	v_pk_fma_f32 v[126:127], v[120:121], v[110:111], v[124:125] op_sel:[0,0,1] op_sel_hi:[1,1,0] neg_lo:[0,0,1] neg_hi:[0,0,1]
	v_pk_fma_f32 v[120:121], v[120:121], v[110:111], v[124:125] op_sel:[0,0,1] op_sel_hi:[1,0,0]
	v_dual_mul_f32 v124, v123, v113 :: v_dual_mov_b32 v120, v123
	s_delay_alu instid0(VALU_DEP_2) | instskip(NEXT) | instid1(VALU_DEP_2)
	v_dual_mov_b32 v127, v121 :: v_dual_mov_b32 v121, v122
	v_pk_fma_f32 v[124:125], v[122:123], v[90:91], v[124:125] op_sel_hi:[1,1,0] neg_lo:[0,0,1] neg_hi:[0,0,1]
	v_mul_f32_e32 v122, v123, v110
	s_delay_alu instid0(VALU_DEP_3) | instskip(NEXT) | instid1(VALU_DEP_2)
	v_pk_add_f32 v[8:9], v[8:9], v[126:127] neg_lo:[0,1] neg_hi:[0,1]
	v_pk_fma_f32 v[120:121], v[120:121], v[90:91], v[122:123] op_sel_hi:[1,1,0]
	s_delay_alu instid0(VALU_DEP_1) | instskip(SKIP_4) | instid1(VALU_DEP_1)
	v_mov_b32_e32 v125, v121
	ds_load_2addr_b64 v[120:123], v114 offset0:49 offset1:50
	v_pk_add_f32 v[28:29], v[28:29], v[124:125] neg_lo:[0,1] neg_hi:[0,1]
	s_wait_dscnt 0x0
	v_pk_mul_f32 v[124:125], v[120:121], v[112:113] op_sel:[0,1]
	v_pk_fma_f32 v[126:127], v[120:121], v[110:111], v[124:125] op_sel:[0,0,1] op_sel_hi:[1,1,0] neg_lo:[0,0,1] neg_hi:[0,0,1]
	v_pk_fma_f32 v[120:121], v[120:121], v[110:111], v[124:125] op_sel:[0,0,1] op_sel_hi:[1,0,0]
	s_delay_alu instid0(VALU_DEP_1) | instskip(SKIP_1) | instid1(VALU_DEP_1)
	v_mov_b32_e32 v127, v121
	v_pk_mul_f32 v[120:121], v[122:123], v[112:113] op_sel:[0,1]
	v_pk_fma_f32 v[124:125], v[122:123], v[110:111], v[120:121] op_sel:[0,0,1] op_sel_hi:[1,1,0] neg_lo:[0,0,1] neg_hi:[0,0,1]
	v_pk_fma_f32 v[120:121], v[122:123], v[110:111], v[120:121] op_sel:[0,0,1] op_sel_hi:[1,0,0]
	s_delay_alu instid0(VALU_DEP_1)
	v_mov_b32_e32 v125, v121
	ds_load_b64 v[120:121], v114 offset:408
	v_pk_add_f32 v[16:17], v[16:17], v[126:127] neg_lo:[0,1] neg_hi:[0,1]
	v_pk_add_f32 v[14:15], v[14:15], v[124:125] neg_lo:[0,1] neg_hi:[0,1]
	s_wait_dscnt 0x0
	v_pk_mul_f32 v[112:113], v[120:121], v[112:113] op_sel:[0,1]
	s_delay_alu instid0(VALU_DEP_1) | instskip(SKIP_1) | instid1(VALU_DEP_1)
	v_pk_fma_f32 v[122:123], v[120:121], v[110:111], v[112:113] op_sel:[0,0,1] op_sel_hi:[1,1,0] neg_lo:[0,0,1] neg_hi:[0,0,1]
	v_pk_fma_f32 v[110:111], v[120:121], v[110:111], v[112:113] op_sel:[0,0,1] op_sel_hi:[1,0,0]
	v_mov_b32_e32 v123, v111
	s_delay_alu instid0(VALU_DEP_1)
	v_pk_add_f32 v[108:109], v[108:109], v[122:123] neg_lo:[0,1] neg_hi:[0,1]
.LBB102_314:
	s_or_b32 exec_lo, exec_lo, s0
	v_lshl_add_u32 v110, v118, 3, v114
	s_barrier_signal -1
	s_barrier_wait -1
	ds_store_b64 v110, v[32:33]
	s_wait_dscnt 0x0
	s_barrier_signal -1
	s_barrier_wait -1
	ds_load_b64 v[112:113], v114 offset:120
	v_mov_b32_e32 v110, 15
	s_cmp_lt_i32 s18, 17
	s_cbranch_scc1 .LBB102_317
; %bb.315:
	v_add3_u32 v111, v115, 0, 0x80
	v_mov_b32_e32 v110, 15
	s_mov_b32 s0, 16
.LBB102_316:                            ; =>This Inner Loop Header: Depth=1
	ds_load_b64 v[120:121], v111
	s_wait_dscnt 0x1
	v_cmp_gt_f32_e32 vcc_lo, 0, v112
	v_cndmask_b32_e64 v122, v112, -v112, vcc_lo
	v_cmp_gt_f32_e32 vcc_lo, 0, v113
	v_cndmask_b32_e64 v124, v113, -v113, vcc_lo
	s_wait_dscnt 0x0
	v_cmp_gt_f32_e32 vcc_lo, 0, v120
	v_cndmask_b32_e64 v123, v120, -v120, vcc_lo
	v_cmp_gt_f32_e32 vcc_lo, 0, v121
	v_cndmask_b32_e64 v125, v121, -v121, vcc_lo
	s_delay_alu instid0(VALU_DEP_1) | instskip(NEXT) | instid1(VALU_DEP_1)
	v_pk_add_f32 v[122:123], v[122:123], v[124:125]
	v_cmp_lt_f32_e32 vcc_lo, v122, v123
	v_dual_add_nc_u32 v111, 8, v111 :: v_dual_cndmask_b32 v113, v113, v121, vcc_lo
	v_cndmask_b32_e32 v112, v112, v120, vcc_lo
	v_cndmask_b32_e64 v110, v110, s0, vcc_lo
	s_add_co_i32 s0, s0, 1
	s_delay_alu instid0(SALU_CYCLE_1)
	s_cmp_lg_u32 s18, s0
	s_cbranch_scc1 .LBB102_316
.LBB102_317:
	s_wait_dscnt 0x0
	v_cmp_eq_f32_e32 vcc_lo, 0, v112
	v_cmp_eq_f32_e64 s0, 0, v113
	s_and_b32 s0, vcc_lo, s0
	s_delay_alu instid0(SALU_CYCLE_1) | instskip(NEXT) | instid1(SALU_CYCLE_1)
	s_and_saveexec_b32 s1, s0
	s_xor_b32 s0, exec_lo, s1
; %bb.318:
	v_cmp_ne_u32_e32 vcc_lo, 0, v116
	v_cndmask_b32_e32 v116, 16, v116, vcc_lo
; %bb.319:
	s_and_not1_saveexec_b32 s0, s0
	s_cbranch_execz .LBB102_325
; %bb.320:
	v_cmp_ngt_f32_e64 s1, |v112|, |v113|
	s_and_saveexec_b32 s12, s1
	s_delay_alu instid0(SALU_CYCLE_1)
	s_xor_b32 s1, exec_lo, s12
	s_cbranch_execz .LBB102_322
; %bb.321:
	v_div_scale_f32 v111, null, v113, v113, v112
	v_div_scale_f32 v121, vcc_lo, v112, v113, v112
	s_delay_alu instid0(VALU_DEP_2) | instskip(SKIP_1) | instid1(TRANS32_DEP_1)
	v_rcp_f32_e32 v119, v111
	v_nop
	v_fma_f32 v120, -v111, v119, 1.0
	s_delay_alu instid0(VALU_DEP_1) | instskip(NEXT) | instid1(VALU_DEP_1)
	v_fmac_f32_e32 v119, v120, v119
	v_mul_f32_e32 v120, v121, v119
	s_delay_alu instid0(VALU_DEP_1) | instskip(NEXT) | instid1(VALU_DEP_1)
	v_fma_f32 v122, -v111, v120, v121
	v_fmac_f32_e32 v120, v122, v119
	s_delay_alu instid0(VALU_DEP_1) | instskip(NEXT) | instid1(VALU_DEP_1)
	v_fma_f32 v111, -v111, v120, v121
	v_div_fmas_f32 v111, v111, v119, v120
	s_delay_alu instid0(VALU_DEP_1) | instskip(NEXT) | instid1(VALU_DEP_1)
	v_div_fixup_f32 v111, v111, v113, v112
	v_fmac_f32_e32 v113, v112, v111
	s_delay_alu instid0(VALU_DEP_1) | instskip(SKIP_1) | instid1(VALU_DEP_2)
	v_div_scale_f32 v112, null, v113, v113, 1.0
	v_div_scale_f32 v121, vcc_lo, 1.0, v113, 1.0
	v_rcp_f32_e32 v119, v112
	v_nop
	s_delay_alu instid0(TRANS32_DEP_1) | instskip(NEXT) | instid1(VALU_DEP_1)
	v_fma_f32 v120, -v112, v119, 1.0
	v_fmac_f32_e32 v119, v120, v119
	s_delay_alu instid0(VALU_DEP_1) | instskip(NEXT) | instid1(VALU_DEP_1)
	v_mul_f32_e32 v120, v121, v119
	v_fma_f32 v122, -v112, v120, v121
	s_delay_alu instid0(VALU_DEP_1) | instskip(NEXT) | instid1(VALU_DEP_1)
	v_fmac_f32_e32 v120, v122, v119
	v_fma_f32 v112, -v112, v120, v121
	s_delay_alu instid0(VALU_DEP_1) | instskip(NEXT) | instid1(VALU_DEP_1)
	v_div_fmas_f32 v112, v112, v119, v120
	v_div_fixup_f32 v113, v112, v113, 1.0
	s_delay_alu instid0(VALU_DEP_1)
	v_mul_f32_e32 v112, v111, v113
	v_xor_b32_e32 v113, 0x80000000, v113
.LBB102_322:
	s_and_not1_saveexec_b32 s1, s1
	s_cbranch_execz .LBB102_324
; %bb.323:
	s_delay_alu instid0(VALU_DEP_1) | instskip(SKIP_1) | instid1(VALU_DEP_2)
	v_div_scale_f32 v111, null, v112, v112, v113
	v_div_scale_f32 v121, vcc_lo, v113, v112, v113
	v_rcp_f32_e32 v119, v111
	v_nop
	s_delay_alu instid0(TRANS32_DEP_1) | instskip(NEXT) | instid1(VALU_DEP_1)
	v_fma_f32 v120, -v111, v119, 1.0
	v_fmac_f32_e32 v119, v120, v119
	s_delay_alu instid0(VALU_DEP_1) | instskip(NEXT) | instid1(VALU_DEP_1)
	v_mul_f32_e32 v120, v121, v119
	v_fma_f32 v122, -v111, v120, v121
	s_delay_alu instid0(VALU_DEP_1) | instskip(NEXT) | instid1(VALU_DEP_1)
	v_fmac_f32_e32 v120, v122, v119
	v_fma_f32 v111, -v111, v120, v121
	s_delay_alu instid0(VALU_DEP_1) | instskip(NEXT) | instid1(VALU_DEP_1)
	v_div_fmas_f32 v111, v111, v119, v120
	v_div_fixup_f32 v111, v111, v112, v113
	s_delay_alu instid0(VALU_DEP_1) | instskip(NEXT) | instid1(VALU_DEP_1)
	v_fmac_f32_e32 v112, v113, v111
	v_div_scale_f32 v113, null, v112, v112, 1.0
	s_delay_alu instid0(VALU_DEP_1) | instskip(SKIP_1) | instid1(TRANS32_DEP_1)
	v_rcp_f32_e32 v119, v113
	v_nop
	v_fma_f32 v120, -v113, v119, 1.0
	s_delay_alu instid0(VALU_DEP_1) | instskip(SKIP_1) | instid1(VALU_DEP_1)
	v_fmac_f32_e32 v119, v120, v119
	v_div_scale_f32 v120, vcc_lo, 1.0, v112, 1.0
	v_mul_f32_e32 v121, v120, v119
	s_delay_alu instid0(VALU_DEP_1) | instskip(NEXT) | instid1(VALU_DEP_1)
	v_fma_f32 v122, -v113, v121, v120
	v_fmac_f32_e32 v121, v122, v119
	s_delay_alu instid0(VALU_DEP_1) | instskip(NEXT) | instid1(VALU_DEP_1)
	v_fma_f32 v113, -v113, v121, v120
	v_div_fmas_f32 v113, v113, v119, v121
	s_delay_alu instid0(VALU_DEP_1) | instskip(NEXT) | instid1(VALU_DEP_1)
	v_div_fixup_f32 v112, v113, v112, 1.0
	v_mul_f32_e64 v113, v111, -v112
.LBB102_324:
	s_or_b32 exec_lo, exec_lo, s1
.LBB102_325:
	s_delay_alu instid0(SALU_CYCLE_1) | instskip(NEXT) | instid1(SALU_CYCLE_1)
	s_or_b32 exec_lo, exec_lo, s0
	s_mov_b32 s0, exec_lo
	v_cmpx_ne_u32_e64 v118, v110
	s_xor_b32 s0, exec_lo, s0
	s_cbranch_execz .LBB102_331
; %bb.326:
	s_mov_b32 s1, exec_lo
	v_cmpx_eq_u32_e32 15, v118
	s_cbranch_execz .LBB102_330
; %bb.327:
	v_cmp_ne_u32_e32 vcc_lo, 15, v110
	s_xor_b32 s12, s16, -1
	s_delay_alu instid0(SALU_CYCLE_1) | instskip(NEXT) | instid1(SALU_CYCLE_1)
	s_and_b32 s13, s12, vcc_lo
	s_and_saveexec_b32 s12, s13
	s_cbranch_execz .LBB102_329
; %bb.328:
	v_ashrrev_i32_e32 v111, 31, v110
	s_delay_alu instid0(VALU_DEP_1)
	v_lshl_add_u64 v[118:119], v[110:111], 2, v[4:5]
	s_clause 0x1
	global_load_b32 v111, v[118:119], off
	global_load_b32 v117, v[4:5], off offset:60
	s_wait_loadcnt 0x1
	global_store_b32 v[4:5], v111, off offset:60
	s_wait_loadcnt 0x0
	global_store_b32 v[118:119], v117, off
.LBB102_329:
	s_wait_xcnt 0x0
	s_or_b32 exec_lo, exec_lo, s12
	v_dual_mov_b32 v118, v110 :: v_dual_mov_b32 v117, v110
.LBB102_330:
	s_or_b32 exec_lo, exec_lo, s1
.LBB102_331:
	s_and_not1_saveexec_b32 s0, s0
	s_cbranch_execz .LBB102_333
; %bb.332:
	v_dual_mov_b32 v110, v80 :: v_dual_mov_b32 v111, v81
	v_dual_mov_b32 v118, v76 :: v_dual_mov_b32 v119, v77
	;; [unrolled: 1-line block ×4, first 2 shown]
	ds_store_2addr_b64 v114, v[110:111], v[118:119] offset0:16 offset1:17
	ds_store_2addr_b64 v114, v[120:121], v[122:123] offset0:18 offset1:19
	v_dual_mov_b32 v110, v74 :: v_dual_mov_b32 v111, v75
	v_dual_mov_b32 v118, v70 :: v_dual_mov_b32 v119, v71
	;; [unrolled: 1-line block ×12, first 2 shown]
	ds_store_2addr_b64 v114, v[110:111], v[118:119] offset0:20 offset1:21
	ds_store_2addr_b64 v114, v[120:121], v[122:123] offset0:22 offset1:23
	;; [unrolled: 1-line block ×6, first 2 shown]
	v_dual_mov_b32 v110, v56 :: v_dual_mov_b32 v111, v57
	v_dual_mov_b32 v118, v52 :: v_dual_mov_b32 v119, v53
	;; [unrolled: 1-line block ×12, first 2 shown]
	ds_store_2addr_b64 v114, v[110:111], v[118:119] offset0:32 offset1:33
	ds_store_2addr_b64 v114, v[120:121], v[122:123] offset0:34 offset1:35
	;; [unrolled: 1-line block ×6, first 2 shown]
	v_dual_mov_b32 v110, v36 :: v_dual_mov_b32 v111, v37
	v_dual_mov_b32 v120, v30 :: v_dual_mov_b32 v121, v31
	;; [unrolled: 1-line block ×7, first 2 shown]
	v_mov_b32_e32 v131, v15
	ds_store_2addr_b64 v114, v[110:111], v[120:121] offset0:44 offset1:45
	ds_store_2addr_b64 v114, v[122:123], v[124:125] offset0:46 offset1:47
	;; [unrolled: 1-line block ×4, first 2 shown]
.LBB102_333:
	s_or_b32 exec_lo, exec_lo, s0
	s_delay_alu instid0(SALU_CYCLE_1)
	s_mov_b32 s0, exec_lo
	s_wait_storecnt_dscnt 0x0
	s_barrier_signal -1
	s_barrier_wait -1
	v_cmpx_lt_i32_e32 15, v118
	s_cbranch_execz .LBB102_335
; %bb.334:
	v_pk_mul_f32 v[120:121], v[112:113], v[32:33] op_sel:[1,1] op_sel_hi:[0,1]
	s_delay_alu instid0(VALU_DEP_1)
	v_pk_fma_f32 v[110:111], v[112:113], v[32:33], v[120:121] op_sel_hi:[1,0,1] neg_lo:[0,0,1] neg_hi:[0,0,1]
	v_pk_fma_f32 v[112:113], v[112:113], v[32:33], v[120:121] op_sel_hi:[1,0,1]
	ds_load_2addr_b64 v[120:123], v114 offset0:16 offset1:17
	v_dual_mov_b32 v32, v110 :: v_dual_mov_b32 v33, v113
	s_wait_dscnt 0x0
	v_pk_mul_f32 v[124:125], v[120:121], v[112:113] op_sel:[0,1]
	s_delay_alu instid0(VALU_DEP_1) | instskip(SKIP_1) | instid1(VALU_DEP_1)
	v_pk_fma_f32 v[126:127], v[120:121], v[110:111], v[124:125] op_sel:[0,0,1] op_sel_hi:[1,1,0] neg_lo:[0,0,1] neg_hi:[0,0,1]
	v_pk_fma_f32 v[120:121], v[120:121], v[110:111], v[124:125] op_sel:[0,0,1] op_sel_hi:[1,0,0]
	v_mov_b32_e32 v127, v121
	v_pk_mul_f32 v[120:121], v[122:123], v[112:113] op_sel:[0,1]
	s_delay_alu instid0(VALU_DEP_1) | instskip(SKIP_1) | instid1(VALU_DEP_1)
	v_pk_fma_f32 v[124:125], v[122:123], v[110:111], v[120:121] op_sel:[0,0,1] op_sel_hi:[1,1,0] neg_lo:[0,0,1] neg_hi:[0,0,1]
	v_pk_fma_f32 v[120:121], v[122:123], v[110:111], v[120:121] op_sel:[0,0,1] op_sel_hi:[1,0,0]
	v_mov_b32_e32 v125, v121
	ds_load_2addr_b64 v[120:123], v114 offset0:18 offset1:19
	v_pk_add_f32 v[80:81], v[80:81], v[126:127] neg_lo:[0,1] neg_hi:[0,1]
	v_pk_add_f32 v[76:77], v[76:77], v[124:125] neg_lo:[0,1] neg_hi:[0,1]
	s_wait_dscnt 0x0
	v_pk_mul_f32 v[124:125], v[120:121], v[112:113] op_sel:[0,1]
	s_delay_alu instid0(VALU_DEP_1) | instskip(SKIP_2) | instid1(VALU_DEP_2)
	v_pk_fma_f32 v[126:127], v[120:121], v[110:111], v[124:125] op_sel:[0,0,1] op_sel_hi:[1,1,0] neg_lo:[0,0,1] neg_hi:[0,0,1]
	v_pk_fma_f32 v[120:121], v[120:121], v[110:111], v[124:125] op_sel:[0,0,1] op_sel_hi:[1,0,0]
	v_dual_mul_f32 v124, v123, v113 :: v_dual_mov_b32 v120, v123
	v_dual_mov_b32 v127, v121 :: v_dual_mov_b32 v121, v122
	s_delay_alu instid0(VALU_DEP_2) | instskip(SKIP_1) | instid1(VALU_DEP_3)
	v_pk_fma_f32 v[124:125], v[122:123], v[32:33], v[124:125] op_sel_hi:[1,1,0] neg_lo:[0,0,1] neg_hi:[0,0,1]
	v_mul_f32_e32 v122, v123, v110
	v_pk_add_f32 v[78:79], v[78:79], v[126:127] neg_lo:[0,1] neg_hi:[0,1]
	s_delay_alu instid0(VALU_DEP_2) | instskip(NEXT) | instid1(VALU_DEP_1)
	v_pk_fma_f32 v[120:121], v[120:121], v[32:33], v[122:123] op_sel_hi:[1,1,0]
	v_mov_b32_e32 v125, v121
	ds_load_2addr_b64 v[120:123], v114 offset0:20 offset1:21
	v_pk_add_f32 v[24:25], v[24:25], v[124:125] neg_lo:[0,1] neg_hi:[0,1]
	s_wait_dscnt 0x0
	v_pk_mul_f32 v[124:125], v[120:121], v[112:113] op_sel:[0,1]
	s_delay_alu instid0(VALU_DEP_1) | instskip(SKIP_1) | instid1(VALU_DEP_1)
	v_pk_fma_f32 v[126:127], v[120:121], v[110:111], v[124:125] op_sel:[0,0,1] op_sel_hi:[1,1,0] neg_lo:[0,0,1] neg_hi:[0,0,1]
	v_pk_fma_f32 v[120:121], v[120:121], v[110:111], v[124:125] op_sel:[0,0,1] op_sel_hi:[1,0,0]
	v_mov_b32_e32 v127, v121
	v_pk_mul_f32 v[120:121], v[122:123], v[112:113] op_sel:[0,1]
	s_delay_alu instid0(VALU_DEP_1) | instskip(SKIP_1) | instid1(VALU_DEP_1)
	v_pk_fma_f32 v[124:125], v[122:123], v[110:111], v[120:121] op_sel:[0,0,1] op_sel_hi:[1,1,0] neg_lo:[0,0,1] neg_hi:[0,0,1]
	v_pk_fma_f32 v[120:121], v[122:123], v[110:111], v[120:121] op_sel:[0,0,1] op_sel_hi:[1,0,0]
	v_mov_b32_e32 v125, v121
	ds_load_2addr_b64 v[120:123], v114 offset0:22 offset1:23
	v_pk_add_f32 v[74:75], v[74:75], v[126:127] neg_lo:[0,1] neg_hi:[0,1]
	v_pk_add_f32 v[70:71], v[70:71], v[124:125] neg_lo:[0,1] neg_hi:[0,1]
	s_wait_dscnt 0x0
	v_pk_mul_f32 v[124:125], v[120:121], v[112:113] op_sel:[0,1]
	s_delay_alu instid0(VALU_DEP_1) | instskip(SKIP_1) | instid1(VALU_DEP_1)
	v_pk_fma_f32 v[126:127], v[120:121], v[110:111], v[124:125] op_sel:[0,0,1] op_sel_hi:[1,1,0] neg_lo:[0,0,1] neg_hi:[0,0,1]
	v_pk_fma_f32 v[120:121], v[120:121], v[110:111], v[124:125] op_sel:[0,0,1] op_sel_hi:[1,0,0]
	v_mov_b32_e32 v127, v121
	v_pk_mul_f32 v[120:121], v[122:123], v[112:113] op_sel:[0,1]
	s_delay_alu instid0(VALU_DEP_1) | instskip(SKIP_1) | instid1(VALU_DEP_1)
	v_pk_fma_f32 v[124:125], v[122:123], v[110:111], v[120:121] op_sel:[0,0,1] op_sel_hi:[1,1,0] neg_lo:[0,0,1] neg_hi:[0,0,1]
	v_pk_fma_f32 v[120:121], v[122:123], v[110:111], v[120:121] op_sel:[0,0,1] op_sel_hi:[1,0,0]
	v_mov_b32_e32 v125, v121
	ds_load_2addr_b64 v[120:123], v114 offset0:24 offset1:25
	v_pk_add_f32 v[72:73], v[72:73], v[126:127] neg_lo:[0,1] neg_hi:[0,1]
	v_pk_add_f32 v[22:23], v[22:23], v[124:125] neg_lo:[0,1] neg_hi:[0,1]
	s_wait_dscnt 0x0
	v_dual_mul_f32 v124, v121, v113 :: v_dual_mul_f32 v126, v121, v110
	s_delay_alu instid0(VALU_DEP_1) | instskip(NEXT) | instid1(VALU_DEP_2)
	v_pk_fma_f32 v[124:125], v[120:121], v[32:33], v[124:125] op_sel_hi:[1,1,0] neg_lo:[0,0,1] neg_hi:[0,0,1]
	v_pk_fma_f32 v[120:121], v[120:121], v[32:33], v[126:127] op_sel:[1,0,0] op_sel_hi:[0,1,0]
	s_delay_alu instid0(VALU_DEP_1) | instskip(SKIP_1) | instid1(VALU_DEP_2)
	v_mov_b32_e32 v125, v121
	v_pk_mul_f32 v[120:121], v[122:123], v[112:113] op_sel:[0,1]
	v_pk_add_f32 v[68:69], v[68:69], v[124:125] neg_lo:[0,1] neg_hi:[0,1]
	s_delay_alu instid0(VALU_DEP_2) | instskip(SKIP_1) | instid1(VALU_DEP_1)
	v_pk_fma_f32 v[124:125], v[122:123], v[110:111], v[120:121] op_sel:[0,0,1] op_sel_hi:[1,1,0] neg_lo:[0,0,1] neg_hi:[0,0,1]
	v_pk_fma_f32 v[120:121], v[122:123], v[110:111], v[120:121] op_sel:[0,0,1] op_sel_hi:[1,0,0]
	v_mov_b32_e32 v125, v121
	ds_load_2addr_b64 v[120:123], v114 offset0:26 offset1:27
	v_pk_add_f32 v[64:65], v[64:65], v[124:125] neg_lo:[0,1] neg_hi:[0,1]
	s_wait_dscnt 0x0
	v_pk_mul_f32 v[124:125], v[120:121], v[112:113] op_sel:[0,1]
	s_delay_alu instid0(VALU_DEP_1) | instskip(SKIP_1) | instid1(VALU_DEP_1)
	v_pk_fma_f32 v[126:127], v[120:121], v[110:111], v[124:125] op_sel:[0,0,1] op_sel_hi:[1,1,0] neg_lo:[0,0,1] neg_hi:[0,0,1]
	v_pk_fma_f32 v[120:121], v[120:121], v[110:111], v[124:125] op_sel:[0,0,1] op_sel_hi:[1,0,0]
	v_mov_b32_e32 v127, v121
	v_pk_mul_f32 v[120:121], v[122:123], v[112:113] op_sel:[0,1]
	s_delay_alu instid0(VALU_DEP_2) | instskip(NEXT) | instid1(VALU_DEP_2)
	v_pk_add_f32 v[66:67], v[66:67], v[126:127] neg_lo:[0,1] neg_hi:[0,1]
	v_pk_fma_f32 v[124:125], v[122:123], v[110:111], v[120:121] op_sel:[0,0,1] op_sel_hi:[1,1,0] neg_lo:[0,0,1] neg_hi:[0,0,1]
	v_pk_fma_f32 v[120:121], v[122:123], v[110:111], v[120:121] op_sel:[0,0,1] op_sel_hi:[1,0,0]
	s_delay_alu instid0(VALU_DEP_1) | instskip(SKIP_4) | instid1(VALU_DEP_1)
	v_mov_b32_e32 v125, v121
	ds_load_2addr_b64 v[120:123], v114 offset0:28 offset1:29
	v_pk_add_f32 v[20:21], v[20:21], v[124:125] neg_lo:[0,1] neg_hi:[0,1]
	s_wait_dscnt 0x0
	v_pk_mul_f32 v[124:125], v[120:121], v[112:113] op_sel:[0,1]
	v_pk_fma_f32 v[126:127], v[120:121], v[110:111], v[124:125] op_sel:[0,0,1] op_sel_hi:[1,1,0] neg_lo:[0,0,1] neg_hi:[0,0,1]
	v_pk_fma_f32 v[120:121], v[120:121], v[110:111], v[124:125] op_sel:[0,0,1] op_sel_hi:[1,0,0]
	v_dual_mul_f32 v124, v123, v113 :: v_dual_mov_b32 v120, v123
	s_delay_alu instid0(VALU_DEP_2) | instskip(NEXT) | instid1(VALU_DEP_2)
	v_dual_mov_b32 v127, v121 :: v_dual_mov_b32 v121, v122
	v_pk_fma_f32 v[124:125], v[122:123], v[32:33], v[124:125] op_sel_hi:[1,1,0] neg_lo:[0,0,1] neg_hi:[0,0,1]
	v_mul_f32_e32 v122, v123, v110
	s_delay_alu instid0(VALU_DEP_3) | instskip(NEXT) | instid1(VALU_DEP_2)
	v_pk_add_f32 v[62:63], v[62:63], v[126:127] neg_lo:[0,1] neg_hi:[0,1]
	v_pk_fma_f32 v[120:121], v[120:121], v[32:33], v[122:123] op_sel_hi:[1,1,0]
	s_delay_alu instid0(VALU_DEP_1) | instskip(SKIP_4) | instid1(VALU_DEP_1)
	v_mov_b32_e32 v125, v121
	ds_load_2addr_b64 v[120:123], v114 offset0:30 offset1:31
	v_pk_add_f32 v[58:59], v[58:59], v[124:125] neg_lo:[0,1] neg_hi:[0,1]
	s_wait_dscnt 0x0
	v_pk_mul_f32 v[124:125], v[120:121], v[112:113] op_sel:[0,1]
	v_pk_fma_f32 v[126:127], v[120:121], v[110:111], v[124:125] op_sel:[0,0,1] op_sel_hi:[1,1,0] neg_lo:[0,0,1] neg_hi:[0,0,1]
	v_pk_fma_f32 v[120:121], v[120:121], v[110:111], v[124:125] op_sel:[0,0,1] op_sel_hi:[1,0,0]
	s_delay_alu instid0(VALU_DEP_1) | instskip(SKIP_1) | instid1(VALU_DEP_1)
	v_mov_b32_e32 v127, v121
	v_pk_mul_f32 v[120:121], v[122:123], v[112:113] op_sel:[0,1]
	v_pk_fma_f32 v[124:125], v[122:123], v[110:111], v[120:121] op_sel:[0,0,1] op_sel_hi:[1,1,0] neg_lo:[0,0,1] neg_hi:[0,0,1]
	v_pk_fma_f32 v[120:121], v[122:123], v[110:111], v[120:121] op_sel:[0,0,1] op_sel_hi:[1,0,0]
	s_delay_alu instid0(VALU_DEP_1)
	v_mov_b32_e32 v125, v121
	ds_load_2addr_b64 v[120:123], v114 offset0:32 offset1:33
	v_pk_add_f32 v[60:61], v[60:61], v[126:127] neg_lo:[0,1] neg_hi:[0,1]
	v_pk_add_f32 v[18:19], v[18:19], v[124:125] neg_lo:[0,1] neg_hi:[0,1]
	s_wait_dscnt 0x0
	v_pk_mul_f32 v[124:125], v[120:121], v[112:113] op_sel:[0,1]
	s_delay_alu instid0(VALU_DEP_1) | instskip(SKIP_1) | instid1(VALU_DEP_1)
	v_pk_fma_f32 v[126:127], v[120:121], v[110:111], v[124:125] op_sel:[0,0,1] op_sel_hi:[1,1,0] neg_lo:[0,0,1] neg_hi:[0,0,1]
	v_pk_fma_f32 v[120:121], v[120:121], v[110:111], v[124:125] op_sel:[0,0,1] op_sel_hi:[1,0,0]
	v_mov_b32_e32 v127, v121
	v_pk_mul_f32 v[120:121], v[122:123], v[112:113] op_sel:[0,1]
	s_delay_alu instid0(VALU_DEP_1) | instskip(SKIP_1) | instid1(VALU_DEP_1)
	v_pk_fma_f32 v[124:125], v[122:123], v[110:111], v[120:121] op_sel:[0,0,1] op_sel_hi:[1,1,0] neg_lo:[0,0,1] neg_hi:[0,0,1]
	v_pk_fma_f32 v[120:121], v[122:123], v[110:111], v[120:121] op_sel:[0,0,1] op_sel_hi:[1,0,0]
	v_mov_b32_e32 v125, v121
	ds_load_2addr_b64 v[120:123], v114 offset0:34 offset1:35
	v_pk_add_f32 v[56:57], v[56:57], v[126:127] neg_lo:[0,1] neg_hi:[0,1]
	v_pk_add_f32 v[52:53], v[52:53], v[124:125] neg_lo:[0,1] neg_hi:[0,1]
	s_wait_dscnt 0x0
	v_dual_mul_f32 v124, v121, v113 :: v_dual_mul_f32 v126, v121, v110
	s_delay_alu instid0(VALU_DEP_1) | instskip(NEXT) | instid1(VALU_DEP_2)
	v_pk_fma_f32 v[124:125], v[120:121], v[32:33], v[124:125] op_sel_hi:[1,1,0] neg_lo:[0,0,1] neg_hi:[0,0,1]
	v_pk_fma_f32 v[120:121], v[120:121], v[32:33], v[126:127] op_sel:[1,0,0] op_sel_hi:[0,1,0]
	s_delay_alu instid0(VALU_DEP_1) | instskip(SKIP_1) | instid1(VALU_DEP_2)
	v_mov_b32_e32 v125, v121
	v_pk_mul_f32 v[120:121], v[122:123], v[112:113] op_sel:[0,1]
	v_pk_add_f32 v[54:55], v[54:55], v[124:125] neg_lo:[0,1] neg_hi:[0,1]
	s_delay_alu instid0(VALU_DEP_2) | instskip(SKIP_1) | instid1(VALU_DEP_1)
	v_pk_fma_f32 v[124:125], v[122:123], v[110:111], v[120:121] op_sel:[0,0,1] op_sel_hi:[1,1,0] neg_lo:[0,0,1] neg_hi:[0,0,1]
	v_pk_fma_f32 v[120:121], v[122:123], v[110:111], v[120:121] op_sel:[0,0,1] op_sel_hi:[1,0,0]
	v_mov_b32_e32 v125, v121
	ds_load_2addr_b64 v[120:123], v114 offset0:36 offset1:37
	v_pk_add_f32 v[12:13], v[12:13], v[124:125] neg_lo:[0,1] neg_hi:[0,1]
	s_wait_dscnt 0x0
	v_pk_mul_f32 v[124:125], v[120:121], v[112:113] op_sel:[0,1]
	s_delay_alu instid0(VALU_DEP_1) | instskip(SKIP_1) | instid1(VALU_DEP_1)
	v_pk_fma_f32 v[126:127], v[120:121], v[110:111], v[124:125] op_sel:[0,0,1] op_sel_hi:[1,1,0] neg_lo:[0,0,1] neg_hi:[0,0,1]
	v_pk_fma_f32 v[120:121], v[120:121], v[110:111], v[124:125] op_sel:[0,0,1] op_sel_hi:[1,0,0]
	v_mov_b32_e32 v127, v121
	v_pk_mul_f32 v[120:121], v[122:123], v[112:113] op_sel:[0,1]
	s_delay_alu instid0(VALU_DEP_2) | instskip(NEXT) | instid1(VALU_DEP_2)
	v_pk_add_f32 v[50:51], v[50:51], v[126:127] neg_lo:[0,1] neg_hi:[0,1]
	v_pk_fma_f32 v[124:125], v[122:123], v[110:111], v[120:121] op_sel:[0,0,1] op_sel_hi:[1,1,0] neg_lo:[0,0,1] neg_hi:[0,0,1]
	v_pk_fma_f32 v[120:121], v[122:123], v[110:111], v[120:121] op_sel:[0,0,1] op_sel_hi:[1,0,0]
	s_delay_alu instid0(VALU_DEP_1) | instskip(SKIP_4) | instid1(VALU_DEP_1)
	v_mov_b32_e32 v125, v121
	ds_load_2addr_b64 v[120:123], v114 offset0:38 offset1:39
	v_pk_add_f32 v[46:47], v[46:47], v[124:125] neg_lo:[0,1] neg_hi:[0,1]
	s_wait_dscnt 0x0
	v_pk_mul_f32 v[124:125], v[120:121], v[112:113] op_sel:[0,1]
	v_pk_fma_f32 v[126:127], v[120:121], v[110:111], v[124:125] op_sel:[0,0,1] op_sel_hi:[1,1,0] neg_lo:[0,0,1] neg_hi:[0,0,1]
	v_pk_fma_f32 v[120:121], v[120:121], v[110:111], v[124:125] op_sel:[0,0,1] op_sel_hi:[1,0,0]
	v_dual_mul_f32 v124, v123, v113 :: v_dual_mov_b32 v120, v123
	s_delay_alu instid0(VALU_DEP_2) | instskip(NEXT) | instid1(VALU_DEP_2)
	v_dual_mov_b32 v127, v121 :: v_dual_mov_b32 v121, v122
	v_pk_fma_f32 v[124:125], v[122:123], v[32:33], v[124:125] op_sel_hi:[1,1,0] neg_lo:[0,0,1] neg_hi:[0,0,1]
	v_mul_f32_e32 v122, v123, v110
	s_delay_alu instid0(VALU_DEP_3) | instskip(NEXT) | instid1(VALU_DEP_2)
	v_pk_add_f32 v[48:49], v[48:49], v[126:127] neg_lo:[0,1] neg_hi:[0,1]
	v_pk_fma_f32 v[120:121], v[120:121], v[32:33], v[122:123] op_sel_hi:[1,1,0]
	s_delay_alu instid0(VALU_DEP_1) | instskip(SKIP_4) | instid1(VALU_DEP_1)
	v_mov_b32_e32 v125, v121
	ds_load_2addr_b64 v[120:123], v114 offset0:40 offset1:41
	v_pk_add_f32 v[10:11], v[10:11], v[124:125] neg_lo:[0,1] neg_hi:[0,1]
	s_wait_dscnt 0x0
	v_pk_mul_f32 v[124:125], v[120:121], v[112:113] op_sel:[0,1]
	v_pk_fma_f32 v[126:127], v[120:121], v[110:111], v[124:125] op_sel:[0,0,1] op_sel_hi:[1,1,0] neg_lo:[0,0,1] neg_hi:[0,0,1]
	v_pk_fma_f32 v[120:121], v[120:121], v[110:111], v[124:125] op_sel:[0,0,1] op_sel_hi:[1,0,0]
	s_delay_alu instid0(VALU_DEP_1) | instskip(SKIP_1) | instid1(VALU_DEP_1)
	v_mov_b32_e32 v127, v121
	v_pk_mul_f32 v[120:121], v[122:123], v[112:113] op_sel:[0,1]
	v_pk_fma_f32 v[124:125], v[122:123], v[110:111], v[120:121] op_sel:[0,0,1] op_sel_hi:[1,1,0] neg_lo:[0,0,1] neg_hi:[0,0,1]
	v_pk_fma_f32 v[120:121], v[122:123], v[110:111], v[120:121] op_sel:[0,0,1] op_sel_hi:[1,0,0]
	s_delay_alu instid0(VALU_DEP_1)
	v_mov_b32_e32 v125, v121
	ds_load_2addr_b64 v[120:123], v114 offset0:42 offset1:43
	v_pk_add_f32 v[44:45], v[44:45], v[126:127] neg_lo:[0,1] neg_hi:[0,1]
	v_pk_add_f32 v[40:41], v[40:41], v[124:125] neg_lo:[0,1] neg_hi:[0,1]
	s_wait_dscnt 0x0
	v_pk_mul_f32 v[124:125], v[120:121], v[112:113] op_sel:[0,1]
	s_delay_alu instid0(VALU_DEP_1) | instskip(SKIP_1) | instid1(VALU_DEP_1)
	v_pk_fma_f32 v[126:127], v[120:121], v[110:111], v[124:125] op_sel:[0,0,1] op_sel_hi:[1,1,0] neg_lo:[0,0,1] neg_hi:[0,0,1]
	v_pk_fma_f32 v[120:121], v[120:121], v[110:111], v[124:125] op_sel:[0,0,1] op_sel_hi:[1,0,0]
	v_mov_b32_e32 v127, v121
	v_pk_mul_f32 v[120:121], v[122:123], v[112:113] op_sel:[0,1]
	s_delay_alu instid0(VALU_DEP_1) | instskip(SKIP_1) | instid1(VALU_DEP_1)
	v_pk_fma_f32 v[124:125], v[122:123], v[110:111], v[120:121] op_sel:[0,0,1] op_sel_hi:[1,1,0] neg_lo:[0,0,1] neg_hi:[0,0,1]
	v_pk_fma_f32 v[120:121], v[122:123], v[110:111], v[120:121] op_sel:[0,0,1] op_sel_hi:[1,0,0]
	v_mov_b32_e32 v125, v121
	ds_load_2addr_b64 v[120:123], v114 offset0:44 offset1:45
	v_pk_add_f32 v[42:43], v[42:43], v[126:127] neg_lo:[0,1] neg_hi:[0,1]
	v_pk_add_f32 v[6:7], v[6:7], v[124:125] neg_lo:[0,1] neg_hi:[0,1]
	s_wait_dscnt 0x0
	v_dual_mul_f32 v124, v121, v113 :: v_dual_mul_f32 v126, v121, v110
	s_delay_alu instid0(VALU_DEP_1) | instskip(NEXT) | instid1(VALU_DEP_2)
	v_pk_fma_f32 v[124:125], v[120:121], v[32:33], v[124:125] op_sel_hi:[1,1,0] neg_lo:[0,0,1] neg_hi:[0,0,1]
	v_pk_fma_f32 v[120:121], v[120:121], v[32:33], v[126:127] op_sel:[1,0,0] op_sel_hi:[0,1,0]
	s_delay_alu instid0(VALU_DEP_1) | instskip(SKIP_1) | instid1(VALU_DEP_2)
	v_mov_b32_e32 v125, v121
	v_pk_mul_f32 v[120:121], v[122:123], v[112:113] op_sel:[0,1]
	v_pk_add_f32 v[36:37], v[36:37], v[124:125] neg_lo:[0,1] neg_hi:[0,1]
	s_delay_alu instid0(VALU_DEP_2) | instskip(SKIP_1) | instid1(VALU_DEP_1)
	v_pk_fma_f32 v[124:125], v[122:123], v[110:111], v[120:121] op_sel:[0,0,1] op_sel_hi:[1,1,0] neg_lo:[0,0,1] neg_hi:[0,0,1]
	v_pk_fma_f32 v[120:121], v[122:123], v[110:111], v[120:121] op_sel:[0,0,1] op_sel_hi:[1,0,0]
	v_mov_b32_e32 v125, v121
	ds_load_2addr_b64 v[120:123], v114 offset0:46 offset1:47
	v_pk_add_f32 v[30:31], v[30:31], v[124:125] neg_lo:[0,1] neg_hi:[0,1]
	s_wait_dscnt 0x0
	v_pk_mul_f32 v[124:125], v[120:121], v[112:113] op_sel:[0,1]
	s_delay_alu instid0(VALU_DEP_1) | instskip(SKIP_1) | instid1(VALU_DEP_1)
	v_pk_fma_f32 v[126:127], v[120:121], v[110:111], v[124:125] op_sel:[0,0,1] op_sel_hi:[1,1,0] neg_lo:[0,0,1] neg_hi:[0,0,1]
	v_pk_fma_f32 v[120:121], v[120:121], v[110:111], v[124:125] op_sel:[0,0,1] op_sel_hi:[1,0,0]
	v_mov_b32_e32 v127, v121
	v_pk_mul_f32 v[120:121], v[122:123], v[112:113] op_sel:[0,1]
	s_delay_alu instid0(VALU_DEP_2) | instskip(NEXT) | instid1(VALU_DEP_2)
	v_pk_add_f32 v[34:35], v[34:35], v[126:127] neg_lo:[0,1] neg_hi:[0,1]
	v_pk_fma_f32 v[124:125], v[122:123], v[110:111], v[120:121] op_sel:[0,0,1] op_sel_hi:[1,1,0] neg_lo:[0,0,1] neg_hi:[0,0,1]
	v_pk_fma_f32 v[120:121], v[122:123], v[110:111], v[120:121] op_sel:[0,0,1] op_sel_hi:[1,0,0]
	s_delay_alu instid0(VALU_DEP_1) | instskip(SKIP_4) | instid1(VALU_DEP_1)
	v_mov_b32_e32 v125, v121
	ds_load_2addr_b64 v[120:123], v114 offset0:48 offset1:49
	v_pk_add_f32 v[8:9], v[8:9], v[124:125] neg_lo:[0,1] neg_hi:[0,1]
	s_wait_dscnt 0x0
	v_pk_mul_f32 v[124:125], v[120:121], v[112:113] op_sel:[0,1]
	v_pk_fma_f32 v[126:127], v[120:121], v[110:111], v[124:125] op_sel:[0,0,1] op_sel_hi:[1,1,0] neg_lo:[0,0,1] neg_hi:[0,0,1]
	v_pk_fma_f32 v[120:121], v[120:121], v[110:111], v[124:125] op_sel:[0,0,1] op_sel_hi:[1,0,0]
	v_dual_mul_f32 v124, v123, v113 :: v_dual_mov_b32 v120, v123
	s_delay_alu instid0(VALU_DEP_2) | instskip(NEXT) | instid1(VALU_DEP_2)
	v_dual_mov_b32 v127, v121 :: v_dual_mov_b32 v121, v122
	v_pk_fma_f32 v[124:125], v[122:123], v[32:33], v[124:125] op_sel_hi:[1,1,0] neg_lo:[0,0,1] neg_hi:[0,0,1]
	v_mul_f32_e32 v122, v123, v110
	s_delay_alu instid0(VALU_DEP_3) | instskip(NEXT) | instid1(VALU_DEP_2)
	v_pk_add_f32 v[28:29], v[28:29], v[126:127] neg_lo:[0,1] neg_hi:[0,1]
	v_pk_fma_f32 v[120:121], v[120:121], v[32:33], v[122:123] op_sel_hi:[1,1,0]
	s_delay_alu instid0(VALU_DEP_1)
	v_mov_b32_e32 v125, v121
	ds_load_2addr_b64 v[120:123], v114 offset0:50 offset1:51
	v_pk_add_f32 v[16:17], v[16:17], v[124:125] neg_lo:[0,1] neg_hi:[0,1]
	s_wait_dscnt 0x0
	v_pk_mul_f32 v[124:125], v[120:121], v[112:113] op_sel:[0,1]
	v_mul_f32_e32 v112, v123, v113
	s_delay_alu instid0(VALU_DEP_2) | instskip(SKIP_2) | instid1(VALU_DEP_4)
	v_pk_fma_f32 v[126:127], v[120:121], v[110:111], v[124:125] op_sel:[0,0,1] op_sel_hi:[1,1,0] neg_lo:[0,0,1] neg_hi:[0,0,1]
	v_pk_fma_f32 v[120:121], v[120:121], v[110:111], v[124:125] op_sel:[0,0,1] op_sel_hi:[1,0,0]
	v_dual_mov_b32 v120, v123 :: v_dual_mul_f32 v110, v123, v110
	v_pk_fma_f32 v[112:113], v[122:123], v[32:33], v[112:113] op_sel_hi:[1,1,0] neg_lo:[0,0,1] neg_hi:[0,0,1]
	s_delay_alu instid0(VALU_DEP_3) | instskip(NEXT) | instid1(VALU_DEP_1)
	v_dual_mov_b32 v127, v121 :: v_dual_mov_b32 v121, v122
	v_pk_add_f32 v[14:15], v[14:15], v[126:127] neg_lo:[0,1] neg_hi:[0,1]
	s_delay_alu instid0(VALU_DEP_2) | instskip(NEXT) | instid1(VALU_DEP_1)
	v_pk_fma_f32 v[110:111], v[120:121], v[32:33], v[110:111] op_sel_hi:[1,1,0]
	v_mov_b32_e32 v113, v111
	s_delay_alu instid0(VALU_DEP_1)
	v_pk_add_f32 v[108:109], v[108:109], v[112:113] neg_lo:[0,1] neg_hi:[0,1]
.LBB102_335:
	s_or_b32 exec_lo, exec_lo, s0
	v_lshl_add_u32 v110, v118, 3, v114
	s_barrier_signal -1
	s_barrier_wait -1
	ds_store_b64 v110, v[80:81]
	s_wait_dscnt 0x0
	s_barrier_signal -1
	s_barrier_wait -1
	ds_load_b64 v[112:113], v114 offset:128
	v_mov_b32_e32 v110, 16
	s_cmp_lt_i32 s18, 18
	s_cbranch_scc1 .LBB102_338
; %bb.336:
	v_add3_u32 v111, v115, 0, 0x88
	v_mov_b32_e32 v110, 16
	s_mov_b32 s0, 17
.LBB102_337:                            ; =>This Inner Loop Header: Depth=1
	ds_load_b64 v[120:121], v111
	s_wait_dscnt 0x1
	v_cmp_gt_f32_e32 vcc_lo, 0, v112
	v_cndmask_b32_e64 v122, v112, -v112, vcc_lo
	v_cmp_gt_f32_e32 vcc_lo, 0, v113
	v_cndmask_b32_e64 v124, v113, -v113, vcc_lo
	s_wait_dscnt 0x0
	v_cmp_gt_f32_e32 vcc_lo, 0, v120
	v_cndmask_b32_e64 v123, v120, -v120, vcc_lo
	v_cmp_gt_f32_e32 vcc_lo, 0, v121
	v_cndmask_b32_e64 v125, v121, -v121, vcc_lo
	s_delay_alu instid0(VALU_DEP_1) | instskip(NEXT) | instid1(VALU_DEP_1)
	v_pk_add_f32 v[122:123], v[122:123], v[124:125]
	v_cmp_lt_f32_e32 vcc_lo, v122, v123
	v_dual_add_nc_u32 v111, 8, v111 :: v_dual_cndmask_b32 v113, v113, v121, vcc_lo
	v_cndmask_b32_e32 v112, v112, v120, vcc_lo
	v_cndmask_b32_e64 v110, v110, s0, vcc_lo
	s_add_co_i32 s0, s0, 1
	s_delay_alu instid0(SALU_CYCLE_1)
	s_cmp_lg_u32 s18, s0
	s_cbranch_scc1 .LBB102_337
.LBB102_338:
	s_wait_dscnt 0x0
	v_cmp_eq_f32_e32 vcc_lo, 0, v112
	v_cmp_eq_f32_e64 s0, 0, v113
	s_and_b32 s0, vcc_lo, s0
	s_delay_alu instid0(SALU_CYCLE_1) | instskip(NEXT) | instid1(SALU_CYCLE_1)
	s_and_saveexec_b32 s1, s0
	s_xor_b32 s0, exec_lo, s1
; %bb.339:
	v_cmp_ne_u32_e32 vcc_lo, 0, v116
	v_cndmask_b32_e32 v116, 17, v116, vcc_lo
; %bb.340:
	s_and_not1_saveexec_b32 s0, s0
	s_cbranch_execz .LBB102_346
; %bb.341:
	v_cmp_ngt_f32_e64 s1, |v112|, |v113|
	s_and_saveexec_b32 s12, s1
	s_delay_alu instid0(SALU_CYCLE_1)
	s_xor_b32 s1, exec_lo, s12
	s_cbranch_execz .LBB102_343
; %bb.342:
	v_div_scale_f32 v111, null, v113, v113, v112
	v_div_scale_f32 v121, vcc_lo, v112, v113, v112
	s_delay_alu instid0(VALU_DEP_2) | instskip(SKIP_1) | instid1(TRANS32_DEP_1)
	v_rcp_f32_e32 v119, v111
	v_nop
	v_fma_f32 v120, -v111, v119, 1.0
	s_delay_alu instid0(VALU_DEP_1) | instskip(NEXT) | instid1(VALU_DEP_1)
	v_fmac_f32_e32 v119, v120, v119
	v_mul_f32_e32 v120, v121, v119
	s_delay_alu instid0(VALU_DEP_1) | instskip(NEXT) | instid1(VALU_DEP_1)
	v_fma_f32 v122, -v111, v120, v121
	v_fmac_f32_e32 v120, v122, v119
	s_delay_alu instid0(VALU_DEP_1) | instskip(NEXT) | instid1(VALU_DEP_1)
	v_fma_f32 v111, -v111, v120, v121
	v_div_fmas_f32 v111, v111, v119, v120
	s_delay_alu instid0(VALU_DEP_1) | instskip(NEXT) | instid1(VALU_DEP_1)
	v_div_fixup_f32 v111, v111, v113, v112
	v_fmac_f32_e32 v113, v112, v111
	s_delay_alu instid0(VALU_DEP_1) | instskip(SKIP_1) | instid1(VALU_DEP_2)
	v_div_scale_f32 v112, null, v113, v113, 1.0
	v_div_scale_f32 v121, vcc_lo, 1.0, v113, 1.0
	v_rcp_f32_e32 v119, v112
	v_nop
	s_delay_alu instid0(TRANS32_DEP_1) | instskip(NEXT) | instid1(VALU_DEP_1)
	v_fma_f32 v120, -v112, v119, 1.0
	v_fmac_f32_e32 v119, v120, v119
	s_delay_alu instid0(VALU_DEP_1) | instskip(NEXT) | instid1(VALU_DEP_1)
	v_mul_f32_e32 v120, v121, v119
	v_fma_f32 v122, -v112, v120, v121
	s_delay_alu instid0(VALU_DEP_1) | instskip(NEXT) | instid1(VALU_DEP_1)
	v_fmac_f32_e32 v120, v122, v119
	v_fma_f32 v112, -v112, v120, v121
	s_delay_alu instid0(VALU_DEP_1) | instskip(NEXT) | instid1(VALU_DEP_1)
	v_div_fmas_f32 v112, v112, v119, v120
	v_div_fixup_f32 v113, v112, v113, 1.0
	s_delay_alu instid0(VALU_DEP_1)
	v_mul_f32_e32 v112, v111, v113
	v_xor_b32_e32 v113, 0x80000000, v113
.LBB102_343:
	s_and_not1_saveexec_b32 s1, s1
	s_cbranch_execz .LBB102_345
; %bb.344:
	s_delay_alu instid0(VALU_DEP_1) | instskip(SKIP_1) | instid1(VALU_DEP_2)
	v_div_scale_f32 v111, null, v112, v112, v113
	v_div_scale_f32 v121, vcc_lo, v113, v112, v113
	v_rcp_f32_e32 v119, v111
	v_nop
	s_delay_alu instid0(TRANS32_DEP_1) | instskip(NEXT) | instid1(VALU_DEP_1)
	v_fma_f32 v120, -v111, v119, 1.0
	v_fmac_f32_e32 v119, v120, v119
	s_delay_alu instid0(VALU_DEP_1) | instskip(NEXT) | instid1(VALU_DEP_1)
	v_mul_f32_e32 v120, v121, v119
	v_fma_f32 v122, -v111, v120, v121
	s_delay_alu instid0(VALU_DEP_1) | instskip(NEXT) | instid1(VALU_DEP_1)
	v_fmac_f32_e32 v120, v122, v119
	v_fma_f32 v111, -v111, v120, v121
	s_delay_alu instid0(VALU_DEP_1) | instskip(NEXT) | instid1(VALU_DEP_1)
	v_div_fmas_f32 v111, v111, v119, v120
	v_div_fixup_f32 v111, v111, v112, v113
	s_delay_alu instid0(VALU_DEP_1) | instskip(NEXT) | instid1(VALU_DEP_1)
	v_fmac_f32_e32 v112, v113, v111
	v_div_scale_f32 v113, null, v112, v112, 1.0
	s_delay_alu instid0(VALU_DEP_1) | instskip(SKIP_1) | instid1(TRANS32_DEP_1)
	v_rcp_f32_e32 v119, v113
	v_nop
	v_fma_f32 v120, -v113, v119, 1.0
	s_delay_alu instid0(VALU_DEP_1) | instskip(SKIP_1) | instid1(VALU_DEP_1)
	v_fmac_f32_e32 v119, v120, v119
	v_div_scale_f32 v120, vcc_lo, 1.0, v112, 1.0
	v_mul_f32_e32 v121, v120, v119
	s_delay_alu instid0(VALU_DEP_1) | instskip(NEXT) | instid1(VALU_DEP_1)
	v_fma_f32 v122, -v113, v121, v120
	v_fmac_f32_e32 v121, v122, v119
	s_delay_alu instid0(VALU_DEP_1) | instskip(NEXT) | instid1(VALU_DEP_1)
	v_fma_f32 v113, -v113, v121, v120
	v_div_fmas_f32 v113, v113, v119, v121
	s_delay_alu instid0(VALU_DEP_1) | instskip(NEXT) | instid1(VALU_DEP_1)
	v_div_fixup_f32 v112, v113, v112, 1.0
	v_mul_f32_e64 v113, v111, -v112
.LBB102_345:
	s_or_b32 exec_lo, exec_lo, s1
.LBB102_346:
	s_delay_alu instid0(SALU_CYCLE_1) | instskip(NEXT) | instid1(SALU_CYCLE_1)
	s_or_b32 exec_lo, exec_lo, s0
	s_mov_b32 s0, exec_lo
	v_cmpx_ne_u32_e64 v118, v110
	s_xor_b32 s0, exec_lo, s0
	s_cbranch_execz .LBB102_352
; %bb.347:
	s_mov_b32 s1, exec_lo
	v_cmpx_eq_u32_e32 16, v118
	s_cbranch_execz .LBB102_351
; %bb.348:
	v_cmp_ne_u32_e32 vcc_lo, 16, v110
	s_xor_b32 s12, s16, -1
	s_delay_alu instid0(SALU_CYCLE_1) | instskip(NEXT) | instid1(SALU_CYCLE_1)
	s_and_b32 s13, s12, vcc_lo
	s_and_saveexec_b32 s12, s13
	s_cbranch_execz .LBB102_350
; %bb.349:
	v_ashrrev_i32_e32 v111, 31, v110
	s_delay_alu instid0(VALU_DEP_1)
	v_lshl_add_u64 v[118:119], v[110:111], 2, v[4:5]
	s_clause 0x1
	global_load_b32 v111, v[118:119], off
	global_load_b32 v117, v[4:5], off offset:64
	s_wait_loadcnt 0x1
	global_store_b32 v[4:5], v111, off offset:64
	s_wait_loadcnt 0x0
	global_store_b32 v[118:119], v117, off
.LBB102_350:
	s_wait_xcnt 0x0
	s_or_b32 exec_lo, exec_lo, s12
	v_dual_mov_b32 v118, v110 :: v_dual_mov_b32 v117, v110
.LBB102_351:
	s_or_b32 exec_lo, exec_lo, s1
.LBB102_352:
	s_and_not1_saveexec_b32 s0, s0
	s_cbranch_execz .LBB102_354
; %bb.353:
	v_mov_b32_e32 v118, 16
	ds_store_2addr_b64 v114, v[76:77], v[78:79] offset0:17 offset1:18
	ds_store_2addr_b64 v114, v[24:25], v[74:75] offset0:19 offset1:20
	;; [unrolled: 1-line block ×17, first 2 shown]
	ds_store_b64 v114, v[108:109] offset:408
.LBB102_354:
	s_or_b32 exec_lo, exec_lo, s0
	s_delay_alu instid0(SALU_CYCLE_1)
	s_mov_b32 s0, exec_lo
	s_wait_storecnt_dscnt 0x0
	s_barrier_signal -1
	s_barrier_wait -1
	v_cmpx_lt_i32_e32 16, v118
	s_cbranch_execz .LBB102_356
; %bb.355:
	v_pk_mul_f32 v[120:121], v[112:113], v[80:81] op_sel:[1,1] op_sel_hi:[0,1]
	s_delay_alu instid0(VALU_DEP_1)
	v_pk_fma_f32 v[110:111], v[112:113], v[80:81], v[120:121] op_sel_hi:[1,0,1] neg_lo:[0,0,1] neg_hi:[0,0,1]
	v_pk_fma_f32 v[112:113], v[112:113], v[80:81], v[120:121] op_sel_hi:[1,0,1]
	ds_load_2addr_b64 v[120:123], v114 offset0:17 offset1:18
	v_dual_mov_b32 v80, v110 :: v_dual_mov_b32 v81, v113
	s_wait_dscnt 0x0
	v_pk_mul_f32 v[124:125], v[120:121], v[112:113] op_sel:[0,1]
	s_delay_alu instid0(VALU_DEP_1) | instskip(SKIP_1) | instid1(VALU_DEP_1)
	v_pk_fma_f32 v[126:127], v[120:121], v[110:111], v[124:125] op_sel:[0,0,1] op_sel_hi:[1,1,0] neg_lo:[0,0,1] neg_hi:[0,0,1]
	v_pk_fma_f32 v[120:121], v[120:121], v[110:111], v[124:125] op_sel:[0,0,1] op_sel_hi:[1,0,0]
	v_mov_b32_e32 v127, v121
	v_pk_mul_f32 v[120:121], v[122:123], v[112:113] op_sel:[0,1]
	s_delay_alu instid0(VALU_DEP_1) | instskip(SKIP_1) | instid1(VALU_DEP_1)
	v_pk_fma_f32 v[124:125], v[122:123], v[110:111], v[120:121] op_sel:[0,0,1] op_sel_hi:[1,1,0] neg_lo:[0,0,1] neg_hi:[0,0,1]
	v_pk_fma_f32 v[120:121], v[122:123], v[110:111], v[120:121] op_sel:[0,0,1] op_sel_hi:[1,0,0]
	v_mov_b32_e32 v125, v121
	ds_load_2addr_b64 v[120:123], v114 offset0:19 offset1:20
	v_pk_add_f32 v[76:77], v[76:77], v[126:127] neg_lo:[0,1] neg_hi:[0,1]
	v_pk_add_f32 v[78:79], v[78:79], v[124:125] neg_lo:[0,1] neg_hi:[0,1]
	s_wait_dscnt 0x0
	v_pk_mul_f32 v[124:125], v[120:121], v[112:113] op_sel:[0,1]
	s_delay_alu instid0(VALU_DEP_1) | instskip(SKIP_2) | instid1(VALU_DEP_2)
	v_pk_fma_f32 v[126:127], v[120:121], v[110:111], v[124:125] op_sel:[0,0,1] op_sel_hi:[1,1,0] neg_lo:[0,0,1] neg_hi:[0,0,1]
	v_pk_fma_f32 v[120:121], v[120:121], v[110:111], v[124:125] op_sel:[0,0,1] op_sel_hi:[1,0,0]
	v_dual_mul_f32 v124, v123, v113 :: v_dual_mov_b32 v120, v123
	v_dual_mov_b32 v127, v121 :: v_dual_mov_b32 v121, v122
	s_delay_alu instid0(VALU_DEP_2) | instskip(SKIP_1) | instid1(VALU_DEP_3)
	v_pk_fma_f32 v[124:125], v[122:123], v[80:81], v[124:125] op_sel_hi:[1,1,0] neg_lo:[0,0,1] neg_hi:[0,0,1]
	v_mul_f32_e32 v122, v123, v110
	v_pk_add_f32 v[24:25], v[24:25], v[126:127] neg_lo:[0,1] neg_hi:[0,1]
	s_delay_alu instid0(VALU_DEP_2) | instskip(NEXT) | instid1(VALU_DEP_1)
	v_pk_fma_f32 v[120:121], v[120:121], v[80:81], v[122:123] op_sel_hi:[1,1,0]
	v_mov_b32_e32 v125, v121
	ds_load_2addr_b64 v[120:123], v114 offset0:21 offset1:22
	v_pk_add_f32 v[74:75], v[74:75], v[124:125] neg_lo:[0,1] neg_hi:[0,1]
	s_wait_dscnt 0x0
	v_pk_mul_f32 v[124:125], v[120:121], v[112:113] op_sel:[0,1]
	s_delay_alu instid0(VALU_DEP_1) | instskip(SKIP_1) | instid1(VALU_DEP_1)
	v_pk_fma_f32 v[126:127], v[120:121], v[110:111], v[124:125] op_sel:[0,0,1] op_sel_hi:[1,1,0] neg_lo:[0,0,1] neg_hi:[0,0,1]
	v_pk_fma_f32 v[120:121], v[120:121], v[110:111], v[124:125] op_sel:[0,0,1] op_sel_hi:[1,0,0]
	v_mov_b32_e32 v127, v121
	v_pk_mul_f32 v[120:121], v[122:123], v[112:113] op_sel:[0,1]
	s_delay_alu instid0(VALU_DEP_1) | instskip(SKIP_1) | instid1(VALU_DEP_1)
	v_pk_fma_f32 v[124:125], v[122:123], v[110:111], v[120:121] op_sel:[0,0,1] op_sel_hi:[1,1,0] neg_lo:[0,0,1] neg_hi:[0,0,1]
	v_pk_fma_f32 v[120:121], v[122:123], v[110:111], v[120:121] op_sel:[0,0,1] op_sel_hi:[1,0,0]
	v_mov_b32_e32 v125, v121
	ds_load_2addr_b64 v[120:123], v114 offset0:23 offset1:24
	v_pk_add_f32 v[70:71], v[70:71], v[126:127] neg_lo:[0,1] neg_hi:[0,1]
	v_pk_add_f32 v[72:73], v[72:73], v[124:125] neg_lo:[0,1] neg_hi:[0,1]
	s_wait_dscnt 0x0
	v_pk_mul_f32 v[124:125], v[120:121], v[112:113] op_sel:[0,1]
	s_delay_alu instid0(VALU_DEP_1) | instskip(SKIP_1) | instid1(VALU_DEP_1)
	v_pk_fma_f32 v[126:127], v[120:121], v[110:111], v[124:125] op_sel:[0,0,1] op_sel_hi:[1,1,0] neg_lo:[0,0,1] neg_hi:[0,0,1]
	v_pk_fma_f32 v[120:121], v[120:121], v[110:111], v[124:125] op_sel:[0,0,1] op_sel_hi:[1,0,0]
	v_mov_b32_e32 v127, v121
	v_pk_mul_f32 v[120:121], v[122:123], v[112:113] op_sel:[0,1]
	s_delay_alu instid0(VALU_DEP_1) | instskip(SKIP_1) | instid1(VALU_DEP_1)
	v_pk_fma_f32 v[124:125], v[122:123], v[110:111], v[120:121] op_sel:[0,0,1] op_sel_hi:[1,1,0] neg_lo:[0,0,1] neg_hi:[0,0,1]
	v_pk_fma_f32 v[120:121], v[122:123], v[110:111], v[120:121] op_sel:[0,0,1] op_sel_hi:[1,0,0]
	v_mov_b32_e32 v125, v121
	ds_load_2addr_b64 v[120:123], v114 offset0:25 offset1:26
	v_pk_add_f32 v[22:23], v[22:23], v[126:127] neg_lo:[0,1] neg_hi:[0,1]
	v_pk_add_f32 v[68:69], v[68:69], v[124:125] neg_lo:[0,1] neg_hi:[0,1]
	s_wait_dscnt 0x0
	v_dual_mul_f32 v124, v121, v113 :: v_dual_mul_f32 v126, v121, v110
	s_delay_alu instid0(VALU_DEP_1) | instskip(NEXT) | instid1(VALU_DEP_2)
	v_pk_fma_f32 v[124:125], v[120:121], v[80:81], v[124:125] op_sel_hi:[1,1,0] neg_lo:[0,0,1] neg_hi:[0,0,1]
	v_pk_fma_f32 v[120:121], v[120:121], v[80:81], v[126:127] op_sel:[1,0,0] op_sel_hi:[0,1,0]
	s_delay_alu instid0(VALU_DEP_1) | instskip(SKIP_1) | instid1(VALU_DEP_2)
	v_mov_b32_e32 v125, v121
	v_pk_mul_f32 v[120:121], v[122:123], v[112:113] op_sel:[0,1]
	v_pk_add_f32 v[64:65], v[64:65], v[124:125] neg_lo:[0,1] neg_hi:[0,1]
	s_delay_alu instid0(VALU_DEP_2) | instskip(SKIP_1) | instid1(VALU_DEP_1)
	v_pk_fma_f32 v[124:125], v[122:123], v[110:111], v[120:121] op_sel:[0,0,1] op_sel_hi:[1,1,0] neg_lo:[0,0,1] neg_hi:[0,0,1]
	v_pk_fma_f32 v[120:121], v[122:123], v[110:111], v[120:121] op_sel:[0,0,1] op_sel_hi:[1,0,0]
	v_mov_b32_e32 v125, v121
	ds_load_2addr_b64 v[120:123], v114 offset0:27 offset1:28
	v_pk_add_f32 v[66:67], v[66:67], v[124:125] neg_lo:[0,1] neg_hi:[0,1]
	s_wait_dscnt 0x0
	v_pk_mul_f32 v[124:125], v[120:121], v[112:113] op_sel:[0,1]
	s_delay_alu instid0(VALU_DEP_1) | instskip(SKIP_1) | instid1(VALU_DEP_1)
	v_pk_fma_f32 v[126:127], v[120:121], v[110:111], v[124:125] op_sel:[0,0,1] op_sel_hi:[1,1,0] neg_lo:[0,0,1] neg_hi:[0,0,1]
	v_pk_fma_f32 v[120:121], v[120:121], v[110:111], v[124:125] op_sel:[0,0,1] op_sel_hi:[1,0,0]
	v_mov_b32_e32 v127, v121
	v_pk_mul_f32 v[120:121], v[122:123], v[112:113] op_sel:[0,1]
	s_delay_alu instid0(VALU_DEP_2) | instskip(NEXT) | instid1(VALU_DEP_2)
	v_pk_add_f32 v[20:21], v[20:21], v[126:127] neg_lo:[0,1] neg_hi:[0,1]
	v_pk_fma_f32 v[124:125], v[122:123], v[110:111], v[120:121] op_sel:[0,0,1] op_sel_hi:[1,1,0] neg_lo:[0,0,1] neg_hi:[0,0,1]
	v_pk_fma_f32 v[120:121], v[122:123], v[110:111], v[120:121] op_sel:[0,0,1] op_sel_hi:[1,0,0]
	s_delay_alu instid0(VALU_DEP_1) | instskip(SKIP_4) | instid1(VALU_DEP_1)
	v_mov_b32_e32 v125, v121
	ds_load_2addr_b64 v[120:123], v114 offset0:29 offset1:30
	v_pk_add_f32 v[62:63], v[62:63], v[124:125] neg_lo:[0,1] neg_hi:[0,1]
	s_wait_dscnt 0x0
	v_pk_mul_f32 v[124:125], v[120:121], v[112:113] op_sel:[0,1]
	v_pk_fma_f32 v[126:127], v[120:121], v[110:111], v[124:125] op_sel:[0,0,1] op_sel_hi:[1,1,0] neg_lo:[0,0,1] neg_hi:[0,0,1]
	v_pk_fma_f32 v[120:121], v[120:121], v[110:111], v[124:125] op_sel:[0,0,1] op_sel_hi:[1,0,0]
	v_dual_mul_f32 v124, v123, v113 :: v_dual_mov_b32 v120, v123
	s_delay_alu instid0(VALU_DEP_2) | instskip(NEXT) | instid1(VALU_DEP_2)
	v_dual_mov_b32 v127, v121 :: v_dual_mov_b32 v121, v122
	v_pk_fma_f32 v[124:125], v[122:123], v[80:81], v[124:125] op_sel_hi:[1,1,0] neg_lo:[0,0,1] neg_hi:[0,0,1]
	v_mul_f32_e32 v122, v123, v110
	s_delay_alu instid0(VALU_DEP_3) | instskip(NEXT) | instid1(VALU_DEP_2)
	v_pk_add_f32 v[58:59], v[58:59], v[126:127] neg_lo:[0,1] neg_hi:[0,1]
	v_pk_fma_f32 v[120:121], v[120:121], v[80:81], v[122:123] op_sel_hi:[1,1,0]
	s_delay_alu instid0(VALU_DEP_1) | instskip(SKIP_4) | instid1(VALU_DEP_1)
	v_mov_b32_e32 v125, v121
	ds_load_2addr_b64 v[120:123], v114 offset0:31 offset1:32
	v_pk_add_f32 v[60:61], v[60:61], v[124:125] neg_lo:[0,1] neg_hi:[0,1]
	s_wait_dscnt 0x0
	v_pk_mul_f32 v[124:125], v[120:121], v[112:113] op_sel:[0,1]
	v_pk_fma_f32 v[126:127], v[120:121], v[110:111], v[124:125] op_sel:[0,0,1] op_sel_hi:[1,1,0] neg_lo:[0,0,1] neg_hi:[0,0,1]
	v_pk_fma_f32 v[120:121], v[120:121], v[110:111], v[124:125] op_sel:[0,0,1] op_sel_hi:[1,0,0]
	s_delay_alu instid0(VALU_DEP_1) | instskip(SKIP_1) | instid1(VALU_DEP_1)
	v_mov_b32_e32 v127, v121
	v_pk_mul_f32 v[120:121], v[122:123], v[112:113] op_sel:[0,1]
	v_pk_fma_f32 v[124:125], v[122:123], v[110:111], v[120:121] op_sel:[0,0,1] op_sel_hi:[1,1,0] neg_lo:[0,0,1] neg_hi:[0,0,1]
	v_pk_fma_f32 v[120:121], v[122:123], v[110:111], v[120:121] op_sel:[0,0,1] op_sel_hi:[1,0,0]
	s_delay_alu instid0(VALU_DEP_1)
	v_mov_b32_e32 v125, v121
	ds_load_2addr_b64 v[120:123], v114 offset0:33 offset1:34
	v_pk_add_f32 v[18:19], v[18:19], v[126:127] neg_lo:[0,1] neg_hi:[0,1]
	v_pk_add_f32 v[56:57], v[56:57], v[124:125] neg_lo:[0,1] neg_hi:[0,1]
	s_wait_dscnt 0x0
	v_pk_mul_f32 v[124:125], v[120:121], v[112:113] op_sel:[0,1]
	s_delay_alu instid0(VALU_DEP_1) | instskip(SKIP_1) | instid1(VALU_DEP_1)
	v_pk_fma_f32 v[126:127], v[120:121], v[110:111], v[124:125] op_sel:[0,0,1] op_sel_hi:[1,1,0] neg_lo:[0,0,1] neg_hi:[0,0,1]
	v_pk_fma_f32 v[120:121], v[120:121], v[110:111], v[124:125] op_sel:[0,0,1] op_sel_hi:[1,0,0]
	v_mov_b32_e32 v127, v121
	v_pk_mul_f32 v[120:121], v[122:123], v[112:113] op_sel:[0,1]
	s_delay_alu instid0(VALU_DEP_1) | instskip(SKIP_1) | instid1(VALU_DEP_1)
	v_pk_fma_f32 v[124:125], v[122:123], v[110:111], v[120:121] op_sel:[0,0,1] op_sel_hi:[1,1,0] neg_lo:[0,0,1] neg_hi:[0,0,1]
	v_pk_fma_f32 v[120:121], v[122:123], v[110:111], v[120:121] op_sel:[0,0,1] op_sel_hi:[1,0,0]
	v_mov_b32_e32 v125, v121
	ds_load_2addr_b64 v[120:123], v114 offset0:35 offset1:36
	v_pk_add_f32 v[52:53], v[52:53], v[126:127] neg_lo:[0,1] neg_hi:[0,1]
	v_pk_add_f32 v[54:55], v[54:55], v[124:125] neg_lo:[0,1] neg_hi:[0,1]
	s_wait_dscnt 0x0
	v_dual_mul_f32 v124, v121, v113 :: v_dual_mul_f32 v126, v121, v110
	s_delay_alu instid0(VALU_DEP_1) | instskip(NEXT) | instid1(VALU_DEP_2)
	v_pk_fma_f32 v[124:125], v[120:121], v[80:81], v[124:125] op_sel_hi:[1,1,0] neg_lo:[0,0,1] neg_hi:[0,0,1]
	v_pk_fma_f32 v[120:121], v[120:121], v[80:81], v[126:127] op_sel:[1,0,0] op_sel_hi:[0,1,0]
	s_delay_alu instid0(VALU_DEP_1) | instskip(SKIP_1) | instid1(VALU_DEP_2)
	v_mov_b32_e32 v125, v121
	v_pk_mul_f32 v[120:121], v[122:123], v[112:113] op_sel:[0,1]
	v_pk_add_f32 v[12:13], v[12:13], v[124:125] neg_lo:[0,1] neg_hi:[0,1]
	s_delay_alu instid0(VALU_DEP_2) | instskip(SKIP_1) | instid1(VALU_DEP_1)
	v_pk_fma_f32 v[124:125], v[122:123], v[110:111], v[120:121] op_sel:[0,0,1] op_sel_hi:[1,1,0] neg_lo:[0,0,1] neg_hi:[0,0,1]
	v_pk_fma_f32 v[120:121], v[122:123], v[110:111], v[120:121] op_sel:[0,0,1] op_sel_hi:[1,0,0]
	v_mov_b32_e32 v125, v121
	ds_load_2addr_b64 v[120:123], v114 offset0:37 offset1:38
	v_pk_add_f32 v[50:51], v[50:51], v[124:125] neg_lo:[0,1] neg_hi:[0,1]
	s_wait_dscnt 0x0
	v_pk_mul_f32 v[124:125], v[120:121], v[112:113] op_sel:[0,1]
	s_delay_alu instid0(VALU_DEP_1) | instskip(SKIP_1) | instid1(VALU_DEP_1)
	v_pk_fma_f32 v[126:127], v[120:121], v[110:111], v[124:125] op_sel:[0,0,1] op_sel_hi:[1,1,0] neg_lo:[0,0,1] neg_hi:[0,0,1]
	v_pk_fma_f32 v[120:121], v[120:121], v[110:111], v[124:125] op_sel:[0,0,1] op_sel_hi:[1,0,0]
	v_mov_b32_e32 v127, v121
	v_pk_mul_f32 v[120:121], v[122:123], v[112:113] op_sel:[0,1]
	s_delay_alu instid0(VALU_DEP_2) | instskip(NEXT) | instid1(VALU_DEP_2)
	v_pk_add_f32 v[46:47], v[46:47], v[126:127] neg_lo:[0,1] neg_hi:[0,1]
	v_pk_fma_f32 v[124:125], v[122:123], v[110:111], v[120:121] op_sel:[0,0,1] op_sel_hi:[1,1,0] neg_lo:[0,0,1] neg_hi:[0,0,1]
	v_pk_fma_f32 v[120:121], v[122:123], v[110:111], v[120:121] op_sel:[0,0,1] op_sel_hi:[1,0,0]
	s_delay_alu instid0(VALU_DEP_1) | instskip(SKIP_4) | instid1(VALU_DEP_1)
	v_mov_b32_e32 v125, v121
	ds_load_2addr_b64 v[120:123], v114 offset0:39 offset1:40
	v_pk_add_f32 v[48:49], v[48:49], v[124:125] neg_lo:[0,1] neg_hi:[0,1]
	s_wait_dscnt 0x0
	v_pk_mul_f32 v[124:125], v[120:121], v[112:113] op_sel:[0,1]
	v_pk_fma_f32 v[126:127], v[120:121], v[110:111], v[124:125] op_sel:[0,0,1] op_sel_hi:[1,1,0] neg_lo:[0,0,1] neg_hi:[0,0,1]
	v_pk_fma_f32 v[120:121], v[120:121], v[110:111], v[124:125] op_sel:[0,0,1] op_sel_hi:[1,0,0]
	v_dual_mul_f32 v124, v123, v113 :: v_dual_mov_b32 v120, v123
	s_delay_alu instid0(VALU_DEP_2) | instskip(NEXT) | instid1(VALU_DEP_2)
	v_dual_mov_b32 v127, v121 :: v_dual_mov_b32 v121, v122
	v_pk_fma_f32 v[124:125], v[122:123], v[80:81], v[124:125] op_sel_hi:[1,1,0] neg_lo:[0,0,1] neg_hi:[0,0,1]
	v_mul_f32_e32 v122, v123, v110
	s_delay_alu instid0(VALU_DEP_3) | instskip(NEXT) | instid1(VALU_DEP_2)
	v_pk_add_f32 v[10:11], v[10:11], v[126:127] neg_lo:[0,1] neg_hi:[0,1]
	v_pk_fma_f32 v[120:121], v[120:121], v[80:81], v[122:123] op_sel_hi:[1,1,0]
	s_delay_alu instid0(VALU_DEP_1) | instskip(SKIP_4) | instid1(VALU_DEP_1)
	v_mov_b32_e32 v125, v121
	ds_load_2addr_b64 v[120:123], v114 offset0:41 offset1:42
	v_pk_add_f32 v[44:45], v[44:45], v[124:125] neg_lo:[0,1] neg_hi:[0,1]
	s_wait_dscnt 0x0
	v_pk_mul_f32 v[124:125], v[120:121], v[112:113] op_sel:[0,1]
	v_pk_fma_f32 v[126:127], v[120:121], v[110:111], v[124:125] op_sel:[0,0,1] op_sel_hi:[1,1,0] neg_lo:[0,0,1] neg_hi:[0,0,1]
	v_pk_fma_f32 v[120:121], v[120:121], v[110:111], v[124:125] op_sel:[0,0,1] op_sel_hi:[1,0,0]
	s_delay_alu instid0(VALU_DEP_1) | instskip(SKIP_1) | instid1(VALU_DEP_1)
	v_mov_b32_e32 v127, v121
	v_pk_mul_f32 v[120:121], v[122:123], v[112:113] op_sel:[0,1]
	v_pk_fma_f32 v[124:125], v[122:123], v[110:111], v[120:121] op_sel:[0,0,1] op_sel_hi:[1,1,0] neg_lo:[0,0,1] neg_hi:[0,0,1]
	v_pk_fma_f32 v[120:121], v[122:123], v[110:111], v[120:121] op_sel:[0,0,1] op_sel_hi:[1,0,0]
	s_delay_alu instid0(VALU_DEP_1)
	v_mov_b32_e32 v125, v121
	ds_load_2addr_b64 v[120:123], v114 offset0:43 offset1:44
	v_pk_add_f32 v[40:41], v[40:41], v[126:127] neg_lo:[0,1] neg_hi:[0,1]
	v_pk_add_f32 v[42:43], v[42:43], v[124:125] neg_lo:[0,1] neg_hi:[0,1]
	s_wait_dscnt 0x0
	v_pk_mul_f32 v[124:125], v[120:121], v[112:113] op_sel:[0,1]
	s_delay_alu instid0(VALU_DEP_1) | instskip(SKIP_1) | instid1(VALU_DEP_1)
	v_pk_fma_f32 v[126:127], v[120:121], v[110:111], v[124:125] op_sel:[0,0,1] op_sel_hi:[1,1,0] neg_lo:[0,0,1] neg_hi:[0,0,1]
	v_pk_fma_f32 v[120:121], v[120:121], v[110:111], v[124:125] op_sel:[0,0,1] op_sel_hi:[1,0,0]
	v_mov_b32_e32 v127, v121
	v_pk_mul_f32 v[120:121], v[122:123], v[112:113] op_sel:[0,1]
	s_delay_alu instid0(VALU_DEP_1) | instskip(SKIP_1) | instid1(VALU_DEP_1)
	v_pk_fma_f32 v[124:125], v[122:123], v[110:111], v[120:121] op_sel:[0,0,1] op_sel_hi:[1,1,0] neg_lo:[0,0,1] neg_hi:[0,0,1]
	v_pk_fma_f32 v[120:121], v[122:123], v[110:111], v[120:121] op_sel:[0,0,1] op_sel_hi:[1,0,0]
	v_mov_b32_e32 v125, v121
	ds_load_2addr_b64 v[120:123], v114 offset0:45 offset1:46
	v_pk_add_f32 v[6:7], v[6:7], v[126:127] neg_lo:[0,1] neg_hi:[0,1]
	v_pk_add_f32 v[36:37], v[36:37], v[124:125] neg_lo:[0,1] neg_hi:[0,1]
	s_wait_dscnt 0x0
	v_dual_mul_f32 v124, v121, v113 :: v_dual_mul_f32 v126, v121, v110
	s_delay_alu instid0(VALU_DEP_1) | instskip(NEXT) | instid1(VALU_DEP_2)
	v_pk_fma_f32 v[124:125], v[120:121], v[80:81], v[124:125] op_sel_hi:[1,1,0] neg_lo:[0,0,1] neg_hi:[0,0,1]
	v_pk_fma_f32 v[120:121], v[120:121], v[80:81], v[126:127] op_sel:[1,0,0] op_sel_hi:[0,1,0]
	s_delay_alu instid0(VALU_DEP_1) | instskip(SKIP_1) | instid1(VALU_DEP_2)
	v_mov_b32_e32 v125, v121
	v_pk_mul_f32 v[120:121], v[122:123], v[112:113] op_sel:[0,1]
	v_pk_add_f32 v[30:31], v[30:31], v[124:125] neg_lo:[0,1] neg_hi:[0,1]
	s_delay_alu instid0(VALU_DEP_2) | instskip(SKIP_1) | instid1(VALU_DEP_1)
	v_pk_fma_f32 v[124:125], v[122:123], v[110:111], v[120:121] op_sel:[0,0,1] op_sel_hi:[1,1,0] neg_lo:[0,0,1] neg_hi:[0,0,1]
	v_pk_fma_f32 v[120:121], v[122:123], v[110:111], v[120:121] op_sel:[0,0,1] op_sel_hi:[1,0,0]
	v_mov_b32_e32 v125, v121
	ds_load_2addr_b64 v[120:123], v114 offset0:47 offset1:48
	v_pk_add_f32 v[34:35], v[34:35], v[124:125] neg_lo:[0,1] neg_hi:[0,1]
	s_wait_dscnt 0x0
	v_pk_mul_f32 v[124:125], v[120:121], v[112:113] op_sel:[0,1]
	s_delay_alu instid0(VALU_DEP_1) | instskip(SKIP_1) | instid1(VALU_DEP_1)
	v_pk_fma_f32 v[126:127], v[120:121], v[110:111], v[124:125] op_sel:[0,0,1] op_sel_hi:[1,1,0] neg_lo:[0,0,1] neg_hi:[0,0,1]
	v_pk_fma_f32 v[120:121], v[120:121], v[110:111], v[124:125] op_sel:[0,0,1] op_sel_hi:[1,0,0]
	v_mov_b32_e32 v127, v121
	v_pk_mul_f32 v[120:121], v[122:123], v[112:113] op_sel:[0,1]
	s_delay_alu instid0(VALU_DEP_2) | instskip(NEXT) | instid1(VALU_DEP_2)
	v_pk_add_f32 v[8:9], v[8:9], v[126:127] neg_lo:[0,1] neg_hi:[0,1]
	v_pk_fma_f32 v[124:125], v[122:123], v[110:111], v[120:121] op_sel:[0,0,1] op_sel_hi:[1,1,0] neg_lo:[0,0,1] neg_hi:[0,0,1]
	v_pk_fma_f32 v[120:121], v[122:123], v[110:111], v[120:121] op_sel:[0,0,1] op_sel_hi:[1,0,0]
	s_delay_alu instid0(VALU_DEP_1) | instskip(SKIP_4) | instid1(VALU_DEP_1)
	v_mov_b32_e32 v125, v121
	ds_load_2addr_b64 v[120:123], v114 offset0:49 offset1:50
	v_pk_add_f32 v[28:29], v[28:29], v[124:125] neg_lo:[0,1] neg_hi:[0,1]
	s_wait_dscnt 0x0
	v_pk_mul_f32 v[124:125], v[120:121], v[112:113] op_sel:[0,1]
	v_pk_fma_f32 v[126:127], v[120:121], v[110:111], v[124:125] op_sel:[0,0,1] op_sel_hi:[1,1,0] neg_lo:[0,0,1] neg_hi:[0,0,1]
	v_pk_fma_f32 v[120:121], v[120:121], v[110:111], v[124:125] op_sel:[0,0,1] op_sel_hi:[1,0,0]
	v_dual_mul_f32 v124, v123, v113 :: v_dual_mov_b32 v120, v123
	s_delay_alu instid0(VALU_DEP_2) | instskip(NEXT) | instid1(VALU_DEP_2)
	v_dual_mov_b32 v127, v121 :: v_dual_mov_b32 v121, v122
	v_pk_fma_f32 v[124:125], v[122:123], v[80:81], v[124:125] op_sel_hi:[1,1,0] neg_lo:[0,0,1] neg_hi:[0,0,1]
	v_mul_f32_e32 v122, v123, v110
	s_delay_alu instid0(VALU_DEP_3) | instskip(NEXT) | instid1(VALU_DEP_2)
	v_pk_add_f32 v[16:17], v[16:17], v[126:127] neg_lo:[0,1] neg_hi:[0,1]
	v_pk_fma_f32 v[120:121], v[120:121], v[80:81], v[122:123] op_sel_hi:[1,1,0]
	s_delay_alu instid0(VALU_DEP_1) | instskip(SKIP_4) | instid1(VALU_DEP_1)
	v_mov_b32_e32 v125, v121
	ds_load_b64 v[120:121], v114 offset:408
	v_pk_add_f32 v[14:15], v[14:15], v[124:125] neg_lo:[0,1] neg_hi:[0,1]
	s_wait_dscnt 0x0
	v_pk_mul_f32 v[112:113], v[120:121], v[112:113] op_sel:[0,1]
	v_pk_fma_f32 v[122:123], v[120:121], v[110:111], v[112:113] op_sel:[0,0,1] op_sel_hi:[1,1,0] neg_lo:[0,0,1] neg_hi:[0,0,1]
	v_pk_fma_f32 v[110:111], v[120:121], v[110:111], v[112:113] op_sel:[0,0,1] op_sel_hi:[1,0,0]
	s_delay_alu instid0(VALU_DEP_1) | instskip(NEXT) | instid1(VALU_DEP_1)
	v_mov_b32_e32 v123, v111
	v_pk_add_f32 v[108:109], v[108:109], v[122:123] neg_lo:[0,1] neg_hi:[0,1]
.LBB102_356:
	s_or_b32 exec_lo, exec_lo, s0
	v_lshl_add_u32 v110, v118, 3, v114
	s_barrier_signal -1
	s_barrier_wait -1
	ds_store_b64 v110, v[76:77]
	s_wait_dscnt 0x0
	s_barrier_signal -1
	s_barrier_wait -1
	ds_load_b64 v[112:113], v114 offset:136
	v_mov_b32_e32 v110, 17
	s_cmp_lt_i32 s18, 19
	s_cbranch_scc1 .LBB102_359
; %bb.357:
	v_add3_u32 v111, v115, 0, 0x90
	v_mov_b32_e32 v110, 17
	s_mov_b32 s0, 18
.LBB102_358:                            ; =>This Inner Loop Header: Depth=1
	ds_load_b64 v[120:121], v111
	s_wait_dscnt 0x1
	v_cmp_gt_f32_e32 vcc_lo, 0, v112
	v_cndmask_b32_e64 v122, v112, -v112, vcc_lo
	v_cmp_gt_f32_e32 vcc_lo, 0, v113
	v_cndmask_b32_e64 v124, v113, -v113, vcc_lo
	s_wait_dscnt 0x0
	v_cmp_gt_f32_e32 vcc_lo, 0, v120
	v_cndmask_b32_e64 v123, v120, -v120, vcc_lo
	v_cmp_gt_f32_e32 vcc_lo, 0, v121
	v_cndmask_b32_e64 v125, v121, -v121, vcc_lo
	s_delay_alu instid0(VALU_DEP_1) | instskip(NEXT) | instid1(VALU_DEP_1)
	v_pk_add_f32 v[122:123], v[122:123], v[124:125]
	v_cmp_lt_f32_e32 vcc_lo, v122, v123
	v_dual_add_nc_u32 v111, 8, v111 :: v_dual_cndmask_b32 v113, v113, v121, vcc_lo
	v_cndmask_b32_e32 v112, v112, v120, vcc_lo
	v_cndmask_b32_e64 v110, v110, s0, vcc_lo
	s_add_co_i32 s0, s0, 1
	s_delay_alu instid0(SALU_CYCLE_1)
	s_cmp_lg_u32 s18, s0
	s_cbranch_scc1 .LBB102_358
.LBB102_359:
	s_wait_dscnt 0x0
	v_cmp_eq_f32_e32 vcc_lo, 0, v112
	v_cmp_eq_f32_e64 s0, 0, v113
	s_and_b32 s0, vcc_lo, s0
	s_delay_alu instid0(SALU_CYCLE_1) | instskip(NEXT) | instid1(SALU_CYCLE_1)
	s_and_saveexec_b32 s1, s0
	s_xor_b32 s0, exec_lo, s1
; %bb.360:
	v_cmp_ne_u32_e32 vcc_lo, 0, v116
	v_cndmask_b32_e32 v116, 18, v116, vcc_lo
; %bb.361:
	s_and_not1_saveexec_b32 s0, s0
	s_cbranch_execz .LBB102_367
; %bb.362:
	v_cmp_ngt_f32_e64 s1, |v112|, |v113|
	s_and_saveexec_b32 s12, s1
	s_delay_alu instid0(SALU_CYCLE_1)
	s_xor_b32 s1, exec_lo, s12
	s_cbranch_execz .LBB102_364
; %bb.363:
	v_div_scale_f32 v111, null, v113, v113, v112
	v_div_scale_f32 v121, vcc_lo, v112, v113, v112
	s_delay_alu instid0(VALU_DEP_2) | instskip(SKIP_1) | instid1(TRANS32_DEP_1)
	v_rcp_f32_e32 v119, v111
	v_nop
	v_fma_f32 v120, -v111, v119, 1.0
	s_delay_alu instid0(VALU_DEP_1) | instskip(NEXT) | instid1(VALU_DEP_1)
	v_fmac_f32_e32 v119, v120, v119
	v_mul_f32_e32 v120, v121, v119
	s_delay_alu instid0(VALU_DEP_1) | instskip(NEXT) | instid1(VALU_DEP_1)
	v_fma_f32 v122, -v111, v120, v121
	v_fmac_f32_e32 v120, v122, v119
	s_delay_alu instid0(VALU_DEP_1) | instskip(NEXT) | instid1(VALU_DEP_1)
	v_fma_f32 v111, -v111, v120, v121
	v_div_fmas_f32 v111, v111, v119, v120
	s_delay_alu instid0(VALU_DEP_1) | instskip(NEXT) | instid1(VALU_DEP_1)
	v_div_fixup_f32 v111, v111, v113, v112
	v_fmac_f32_e32 v113, v112, v111
	s_delay_alu instid0(VALU_DEP_1) | instskip(SKIP_1) | instid1(VALU_DEP_2)
	v_div_scale_f32 v112, null, v113, v113, 1.0
	v_div_scale_f32 v121, vcc_lo, 1.0, v113, 1.0
	v_rcp_f32_e32 v119, v112
	v_nop
	s_delay_alu instid0(TRANS32_DEP_1) | instskip(NEXT) | instid1(VALU_DEP_1)
	v_fma_f32 v120, -v112, v119, 1.0
	v_fmac_f32_e32 v119, v120, v119
	s_delay_alu instid0(VALU_DEP_1) | instskip(NEXT) | instid1(VALU_DEP_1)
	v_mul_f32_e32 v120, v121, v119
	v_fma_f32 v122, -v112, v120, v121
	s_delay_alu instid0(VALU_DEP_1) | instskip(NEXT) | instid1(VALU_DEP_1)
	v_fmac_f32_e32 v120, v122, v119
	v_fma_f32 v112, -v112, v120, v121
	s_delay_alu instid0(VALU_DEP_1) | instskip(NEXT) | instid1(VALU_DEP_1)
	v_div_fmas_f32 v112, v112, v119, v120
	v_div_fixup_f32 v113, v112, v113, 1.0
	s_delay_alu instid0(VALU_DEP_1)
	v_mul_f32_e32 v112, v111, v113
	v_xor_b32_e32 v113, 0x80000000, v113
.LBB102_364:
	s_and_not1_saveexec_b32 s1, s1
	s_cbranch_execz .LBB102_366
; %bb.365:
	s_delay_alu instid0(VALU_DEP_1) | instskip(SKIP_1) | instid1(VALU_DEP_2)
	v_div_scale_f32 v111, null, v112, v112, v113
	v_div_scale_f32 v121, vcc_lo, v113, v112, v113
	v_rcp_f32_e32 v119, v111
	v_nop
	s_delay_alu instid0(TRANS32_DEP_1) | instskip(NEXT) | instid1(VALU_DEP_1)
	v_fma_f32 v120, -v111, v119, 1.0
	v_fmac_f32_e32 v119, v120, v119
	s_delay_alu instid0(VALU_DEP_1) | instskip(NEXT) | instid1(VALU_DEP_1)
	v_mul_f32_e32 v120, v121, v119
	v_fma_f32 v122, -v111, v120, v121
	s_delay_alu instid0(VALU_DEP_1) | instskip(NEXT) | instid1(VALU_DEP_1)
	v_fmac_f32_e32 v120, v122, v119
	v_fma_f32 v111, -v111, v120, v121
	s_delay_alu instid0(VALU_DEP_1) | instskip(NEXT) | instid1(VALU_DEP_1)
	v_div_fmas_f32 v111, v111, v119, v120
	v_div_fixup_f32 v111, v111, v112, v113
	s_delay_alu instid0(VALU_DEP_1) | instskip(NEXT) | instid1(VALU_DEP_1)
	v_fmac_f32_e32 v112, v113, v111
	v_div_scale_f32 v113, null, v112, v112, 1.0
	s_delay_alu instid0(VALU_DEP_1) | instskip(SKIP_1) | instid1(TRANS32_DEP_1)
	v_rcp_f32_e32 v119, v113
	v_nop
	v_fma_f32 v120, -v113, v119, 1.0
	s_delay_alu instid0(VALU_DEP_1) | instskip(SKIP_1) | instid1(VALU_DEP_1)
	v_fmac_f32_e32 v119, v120, v119
	v_div_scale_f32 v120, vcc_lo, 1.0, v112, 1.0
	v_mul_f32_e32 v121, v120, v119
	s_delay_alu instid0(VALU_DEP_1) | instskip(NEXT) | instid1(VALU_DEP_1)
	v_fma_f32 v122, -v113, v121, v120
	v_fmac_f32_e32 v121, v122, v119
	s_delay_alu instid0(VALU_DEP_1) | instskip(NEXT) | instid1(VALU_DEP_1)
	v_fma_f32 v113, -v113, v121, v120
	v_div_fmas_f32 v113, v113, v119, v121
	s_delay_alu instid0(VALU_DEP_1) | instskip(NEXT) | instid1(VALU_DEP_1)
	v_div_fixup_f32 v112, v113, v112, 1.0
	v_mul_f32_e64 v113, v111, -v112
.LBB102_366:
	s_or_b32 exec_lo, exec_lo, s1
.LBB102_367:
	s_delay_alu instid0(SALU_CYCLE_1) | instskip(NEXT) | instid1(SALU_CYCLE_1)
	s_or_b32 exec_lo, exec_lo, s0
	s_mov_b32 s0, exec_lo
	v_cmpx_ne_u32_e64 v118, v110
	s_xor_b32 s0, exec_lo, s0
	s_cbranch_execz .LBB102_373
; %bb.368:
	s_mov_b32 s1, exec_lo
	v_cmpx_eq_u32_e32 17, v118
	s_cbranch_execz .LBB102_372
; %bb.369:
	v_cmp_ne_u32_e32 vcc_lo, 17, v110
	s_xor_b32 s12, s16, -1
	s_delay_alu instid0(SALU_CYCLE_1) | instskip(NEXT) | instid1(SALU_CYCLE_1)
	s_and_b32 s13, s12, vcc_lo
	s_and_saveexec_b32 s12, s13
	s_cbranch_execz .LBB102_371
; %bb.370:
	v_ashrrev_i32_e32 v111, 31, v110
	s_delay_alu instid0(VALU_DEP_1)
	v_lshl_add_u64 v[118:119], v[110:111], 2, v[4:5]
	s_clause 0x1
	global_load_b32 v111, v[118:119], off
	global_load_b32 v117, v[4:5], off offset:68
	s_wait_loadcnt 0x1
	global_store_b32 v[4:5], v111, off offset:68
	s_wait_loadcnt 0x0
	global_store_b32 v[118:119], v117, off
.LBB102_371:
	s_wait_xcnt 0x0
	s_or_b32 exec_lo, exec_lo, s12
	v_dual_mov_b32 v118, v110 :: v_dual_mov_b32 v117, v110
.LBB102_372:
	s_or_b32 exec_lo, exec_lo, s1
.LBB102_373:
	s_and_not1_saveexec_b32 s0, s0
	s_cbranch_execz .LBB102_375
; %bb.374:
	v_dual_mov_b32 v110, v78 :: v_dual_mov_b32 v111, v79
	v_dual_mov_b32 v118, v24 :: v_dual_mov_b32 v119, v25
	;; [unrolled: 1-line block ×12, first 2 shown]
	ds_store_2addr_b64 v114, v[110:111], v[118:119] offset0:18 offset1:19
	ds_store_2addr_b64 v114, v[120:121], v[122:123] offset0:20 offset1:21
	;; [unrolled: 1-line block ×6, first 2 shown]
	v_dual_mov_b32 v110, v60 :: v_dual_mov_b32 v111, v61
	v_dual_mov_b32 v118, v18 :: v_dual_mov_b32 v119, v19
	;; [unrolled: 1-line block ×12, first 2 shown]
	ds_store_2addr_b64 v114, v[110:111], v[118:119] offset0:30 offset1:31
	ds_store_2addr_b64 v114, v[120:121], v[122:123] offset0:32 offset1:33
	;; [unrolled: 1-line block ×6, first 2 shown]
	v_dual_mov_b32 v110, v42 :: v_dual_mov_b32 v111, v43
	v_dual_mov_b32 v120, v6 :: v_dual_mov_b32 v121, v7
	;; [unrolled: 1-line block ×9, first 2 shown]
	v_mov_b32_e32 v135, v15
	ds_store_2addr_b64 v114, v[110:111], v[120:121] offset0:42 offset1:43
	ds_store_2addr_b64 v114, v[122:123], v[124:125] offset0:44 offset1:45
	;; [unrolled: 1-line block ×5, first 2 shown]
.LBB102_375:
	s_or_b32 exec_lo, exec_lo, s0
	s_delay_alu instid0(SALU_CYCLE_1)
	s_mov_b32 s0, exec_lo
	s_wait_storecnt_dscnt 0x0
	s_barrier_signal -1
	s_barrier_wait -1
	v_cmpx_lt_i32_e32 17, v118
	s_cbranch_execz .LBB102_377
; %bb.376:
	v_pk_mul_f32 v[120:121], v[112:113], v[76:77] op_sel:[1,1] op_sel_hi:[0,1]
	s_delay_alu instid0(VALU_DEP_1)
	v_pk_fma_f32 v[110:111], v[112:113], v[76:77], v[120:121] op_sel_hi:[1,0,1] neg_lo:[0,0,1] neg_hi:[0,0,1]
	v_pk_fma_f32 v[112:113], v[112:113], v[76:77], v[120:121] op_sel_hi:[1,0,1]
	ds_load_2addr_b64 v[120:123], v114 offset0:18 offset1:19
	v_dual_mov_b32 v76, v110 :: v_dual_mov_b32 v77, v113
	s_wait_dscnt 0x0
	v_pk_mul_f32 v[124:125], v[120:121], v[112:113] op_sel:[0,1]
	s_delay_alu instid0(VALU_DEP_1) | instskip(SKIP_1) | instid1(VALU_DEP_1)
	v_pk_fma_f32 v[126:127], v[120:121], v[110:111], v[124:125] op_sel:[0,0,1] op_sel_hi:[1,1,0] neg_lo:[0,0,1] neg_hi:[0,0,1]
	v_pk_fma_f32 v[120:121], v[120:121], v[110:111], v[124:125] op_sel:[0,0,1] op_sel_hi:[1,0,0]
	v_mov_b32_e32 v127, v121
	v_pk_mul_f32 v[120:121], v[122:123], v[112:113] op_sel:[0,1]
	s_delay_alu instid0(VALU_DEP_1) | instskip(SKIP_1) | instid1(VALU_DEP_1)
	v_pk_fma_f32 v[124:125], v[122:123], v[110:111], v[120:121] op_sel:[0,0,1] op_sel_hi:[1,1,0] neg_lo:[0,0,1] neg_hi:[0,0,1]
	v_pk_fma_f32 v[120:121], v[122:123], v[110:111], v[120:121] op_sel:[0,0,1] op_sel_hi:[1,0,0]
	v_mov_b32_e32 v125, v121
	ds_load_2addr_b64 v[120:123], v114 offset0:20 offset1:21
	v_pk_add_f32 v[78:79], v[78:79], v[126:127] neg_lo:[0,1] neg_hi:[0,1]
	v_pk_add_f32 v[24:25], v[24:25], v[124:125] neg_lo:[0,1] neg_hi:[0,1]
	s_wait_dscnt 0x0
	v_pk_mul_f32 v[124:125], v[120:121], v[112:113] op_sel:[0,1]
	s_delay_alu instid0(VALU_DEP_1) | instskip(SKIP_2) | instid1(VALU_DEP_2)
	v_pk_fma_f32 v[126:127], v[120:121], v[110:111], v[124:125] op_sel:[0,0,1] op_sel_hi:[1,1,0] neg_lo:[0,0,1] neg_hi:[0,0,1]
	v_pk_fma_f32 v[120:121], v[120:121], v[110:111], v[124:125] op_sel:[0,0,1] op_sel_hi:[1,0,0]
	v_dual_mul_f32 v124, v123, v113 :: v_dual_mov_b32 v120, v123
	v_dual_mov_b32 v127, v121 :: v_dual_mov_b32 v121, v122
	s_delay_alu instid0(VALU_DEP_2) | instskip(SKIP_1) | instid1(VALU_DEP_3)
	v_pk_fma_f32 v[124:125], v[122:123], v[76:77], v[124:125] op_sel_hi:[1,1,0] neg_lo:[0,0,1] neg_hi:[0,0,1]
	v_mul_f32_e32 v122, v123, v110
	v_pk_add_f32 v[74:75], v[74:75], v[126:127] neg_lo:[0,1] neg_hi:[0,1]
	s_delay_alu instid0(VALU_DEP_2) | instskip(NEXT) | instid1(VALU_DEP_1)
	v_pk_fma_f32 v[120:121], v[120:121], v[76:77], v[122:123] op_sel_hi:[1,1,0]
	v_mov_b32_e32 v125, v121
	ds_load_2addr_b64 v[120:123], v114 offset0:22 offset1:23
	v_pk_add_f32 v[70:71], v[70:71], v[124:125] neg_lo:[0,1] neg_hi:[0,1]
	s_wait_dscnt 0x0
	v_pk_mul_f32 v[124:125], v[120:121], v[112:113] op_sel:[0,1]
	s_delay_alu instid0(VALU_DEP_1) | instskip(SKIP_1) | instid1(VALU_DEP_1)
	v_pk_fma_f32 v[126:127], v[120:121], v[110:111], v[124:125] op_sel:[0,0,1] op_sel_hi:[1,1,0] neg_lo:[0,0,1] neg_hi:[0,0,1]
	v_pk_fma_f32 v[120:121], v[120:121], v[110:111], v[124:125] op_sel:[0,0,1] op_sel_hi:[1,0,0]
	v_mov_b32_e32 v127, v121
	v_pk_mul_f32 v[120:121], v[122:123], v[112:113] op_sel:[0,1]
	s_delay_alu instid0(VALU_DEP_1) | instskip(SKIP_1) | instid1(VALU_DEP_1)
	v_pk_fma_f32 v[124:125], v[122:123], v[110:111], v[120:121] op_sel:[0,0,1] op_sel_hi:[1,1,0] neg_lo:[0,0,1] neg_hi:[0,0,1]
	v_pk_fma_f32 v[120:121], v[122:123], v[110:111], v[120:121] op_sel:[0,0,1] op_sel_hi:[1,0,0]
	v_mov_b32_e32 v125, v121
	ds_load_2addr_b64 v[120:123], v114 offset0:24 offset1:25
	v_pk_add_f32 v[72:73], v[72:73], v[126:127] neg_lo:[0,1] neg_hi:[0,1]
	v_pk_add_f32 v[22:23], v[22:23], v[124:125] neg_lo:[0,1] neg_hi:[0,1]
	s_wait_dscnt 0x0
	v_pk_mul_f32 v[124:125], v[120:121], v[112:113] op_sel:[0,1]
	s_delay_alu instid0(VALU_DEP_1) | instskip(SKIP_1) | instid1(VALU_DEP_1)
	v_pk_fma_f32 v[126:127], v[120:121], v[110:111], v[124:125] op_sel:[0,0,1] op_sel_hi:[1,1,0] neg_lo:[0,0,1] neg_hi:[0,0,1]
	v_pk_fma_f32 v[120:121], v[120:121], v[110:111], v[124:125] op_sel:[0,0,1] op_sel_hi:[1,0,0]
	v_mov_b32_e32 v127, v121
	v_pk_mul_f32 v[120:121], v[122:123], v[112:113] op_sel:[0,1]
	s_delay_alu instid0(VALU_DEP_1) | instskip(SKIP_1) | instid1(VALU_DEP_1)
	v_pk_fma_f32 v[124:125], v[122:123], v[110:111], v[120:121] op_sel:[0,0,1] op_sel_hi:[1,1,0] neg_lo:[0,0,1] neg_hi:[0,0,1]
	v_pk_fma_f32 v[120:121], v[122:123], v[110:111], v[120:121] op_sel:[0,0,1] op_sel_hi:[1,0,0]
	v_mov_b32_e32 v125, v121
	ds_load_2addr_b64 v[120:123], v114 offset0:26 offset1:27
	v_pk_add_f32 v[68:69], v[68:69], v[126:127] neg_lo:[0,1] neg_hi:[0,1]
	v_pk_add_f32 v[64:65], v[64:65], v[124:125] neg_lo:[0,1] neg_hi:[0,1]
	s_wait_dscnt 0x0
	v_dual_mul_f32 v124, v121, v113 :: v_dual_mul_f32 v126, v121, v110
	s_delay_alu instid0(VALU_DEP_1) | instskip(NEXT) | instid1(VALU_DEP_2)
	v_pk_fma_f32 v[124:125], v[120:121], v[76:77], v[124:125] op_sel_hi:[1,1,0] neg_lo:[0,0,1] neg_hi:[0,0,1]
	v_pk_fma_f32 v[120:121], v[120:121], v[76:77], v[126:127] op_sel:[1,0,0] op_sel_hi:[0,1,0]
	s_delay_alu instid0(VALU_DEP_1) | instskip(SKIP_1) | instid1(VALU_DEP_2)
	v_mov_b32_e32 v125, v121
	v_pk_mul_f32 v[120:121], v[122:123], v[112:113] op_sel:[0,1]
	v_pk_add_f32 v[66:67], v[66:67], v[124:125] neg_lo:[0,1] neg_hi:[0,1]
	s_delay_alu instid0(VALU_DEP_2) | instskip(SKIP_1) | instid1(VALU_DEP_1)
	v_pk_fma_f32 v[124:125], v[122:123], v[110:111], v[120:121] op_sel:[0,0,1] op_sel_hi:[1,1,0] neg_lo:[0,0,1] neg_hi:[0,0,1]
	v_pk_fma_f32 v[120:121], v[122:123], v[110:111], v[120:121] op_sel:[0,0,1] op_sel_hi:[1,0,0]
	v_mov_b32_e32 v125, v121
	ds_load_2addr_b64 v[120:123], v114 offset0:28 offset1:29
	v_pk_add_f32 v[20:21], v[20:21], v[124:125] neg_lo:[0,1] neg_hi:[0,1]
	s_wait_dscnt 0x0
	v_pk_mul_f32 v[124:125], v[120:121], v[112:113] op_sel:[0,1]
	s_delay_alu instid0(VALU_DEP_1) | instskip(SKIP_1) | instid1(VALU_DEP_1)
	v_pk_fma_f32 v[126:127], v[120:121], v[110:111], v[124:125] op_sel:[0,0,1] op_sel_hi:[1,1,0] neg_lo:[0,0,1] neg_hi:[0,0,1]
	v_pk_fma_f32 v[120:121], v[120:121], v[110:111], v[124:125] op_sel:[0,0,1] op_sel_hi:[1,0,0]
	v_mov_b32_e32 v127, v121
	v_pk_mul_f32 v[120:121], v[122:123], v[112:113] op_sel:[0,1]
	s_delay_alu instid0(VALU_DEP_2) | instskip(NEXT) | instid1(VALU_DEP_2)
	v_pk_add_f32 v[62:63], v[62:63], v[126:127] neg_lo:[0,1] neg_hi:[0,1]
	v_pk_fma_f32 v[124:125], v[122:123], v[110:111], v[120:121] op_sel:[0,0,1] op_sel_hi:[1,1,0] neg_lo:[0,0,1] neg_hi:[0,0,1]
	v_pk_fma_f32 v[120:121], v[122:123], v[110:111], v[120:121] op_sel:[0,0,1] op_sel_hi:[1,0,0]
	s_delay_alu instid0(VALU_DEP_1) | instskip(SKIP_4) | instid1(VALU_DEP_1)
	v_mov_b32_e32 v125, v121
	ds_load_2addr_b64 v[120:123], v114 offset0:30 offset1:31
	v_pk_add_f32 v[58:59], v[58:59], v[124:125] neg_lo:[0,1] neg_hi:[0,1]
	s_wait_dscnt 0x0
	v_pk_mul_f32 v[124:125], v[120:121], v[112:113] op_sel:[0,1]
	v_pk_fma_f32 v[126:127], v[120:121], v[110:111], v[124:125] op_sel:[0,0,1] op_sel_hi:[1,1,0] neg_lo:[0,0,1] neg_hi:[0,0,1]
	v_pk_fma_f32 v[120:121], v[120:121], v[110:111], v[124:125] op_sel:[0,0,1] op_sel_hi:[1,0,0]
	v_dual_mul_f32 v124, v123, v113 :: v_dual_mov_b32 v120, v123
	s_delay_alu instid0(VALU_DEP_2) | instskip(NEXT) | instid1(VALU_DEP_2)
	v_dual_mov_b32 v127, v121 :: v_dual_mov_b32 v121, v122
	v_pk_fma_f32 v[124:125], v[122:123], v[76:77], v[124:125] op_sel_hi:[1,1,0] neg_lo:[0,0,1] neg_hi:[0,0,1]
	v_mul_f32_e32 v122, v123, v110
	s_delay_alu instid0(VALU_DEP_3) | instskip(NEXT) | instid1(VALU_DEP_2)
	v_pk_add_f32 v[60:61], v[60:61], v[126:127] neg_lo:[0,1] neg_hi:[0,1]
	v_pk_fma_f32 v[120:121], v[120:121], v[76:77], v[122:123] op_sel_hi:[1,1,0]
	s_delay_alu instid0(VALU_DEP_1) | instskip(SKIP_4) | instid1(VALU_DEP_1)
	v_mov_b32_e32 v125, v121
	ds_load_2addr_b64 v[120:123], v114 offset0:32 offset1:33
	v_pk_add_f32 v[18:19], v[18:19], v[124:125] neg_lo:[0,1] neg_hi:[0,1]
	s_wait_dscnt 0x0
	v_pk_mul_f32 v[124:125], v[120:121], v[112:113] op_sel:[0,1]
	v_pk_fma_f32 v[126:127], v[120:121], v[110:111], v[124:125] op_sel:[0,0,1] op_sel_hi:[1,1,0] neg_lo:[0,0,1] neg_hi:[0,0,1]
	v_pk_fma_f32 v[120:121], v[120:121], v[110:111], v[124:125] op_sel:[0,0,1] op_sel_hi:[1,0,0]
	s_delay_alu instid0(VALU_DEP_1) | instskip(SKIP_1) | instid1(VALU_DEP_1)
	v_mov_b32_e32 v127, v121
	v_pk_mul_f32 v[120:121], v[122:123], v[112:113] op_sel:[0,1]
	v_pk_fma_f32 v[124:125], v[122:123], v[110:111], v[120:121] op_sel:[0,0,1] op_sel_hi:[1,1,0] neg_lo:[0,0,1] neg_hi:[0,0,1]
	v_pk_fma_f32 v[120:121], v[122:123], v[110:111], v[120:121] op_sel:[0,0,1] op_sel_hi:[1,0,0]
	s_delay_alu instid0(VALU_DEP_1)
	v_mov_b32_e32 v125, v121
	ds_load_2addr_b64 v[120:123], v114 offset0:34 offset1:35
	v_pk_add_f32 v[56:57], v[56:57], v[126:127] neg_lo:[0,1] neg_hi:[0,1]
	v_pk_add_f32 v[52:53], v[52:53], v[124:125] neg_lo:[0,1] neg_hi:[0,1]
	s_wait_dscnt 0x0
	v_pk_mul_f32 v[124:125], v[120:121], v[112:113] op_sel:[0,1]
	s_delay_alu instid0(VALU_DEP_1) | instskip(SKIP_1) | instid1(VALU_DEP_1)
	v_pk_fma_f32 v[126:127], v[120:121], v[110:111], v[124:125] op_sel:[0,0,1] op_sel_hi:[1,1,0] neg_lo:[0,0,1] neg_hi:[0,0,1]
	v_pk_fma_f32 v[120:121], v[120:121], v[110:111], v[124:125] op_sel:[0,0,1] op_sel_hi:[1,0,0]
	v_mov_b32_e32 v127, v121
	v_pk_mul_f32 v[120:121], v[122:123], v[112:113] op_sel:[0,1]
	s_delay_alu instid0(VALU_DEP_1) | instskip(SKIP_1) | instid1(VALU_DEP_1)
	v_pk_fma_f32 v[124:125], v[122:123], v[110:111], v[120:121] op_sel:[0,0,1] op_sel_hi:[1,1,0] neg_lo:[0,0,1] neg_hi:[0,0,1]
	v_pk_fma_f32 v[120:121], v[122:123], v[110:111], v[120:121] op_sel:[0,0,1] op_sel_hi:[1,0,0]
	v_mov_b32_e32 v125, v121
	ds_load_2addr_b64 v[120:123], v114 offset0:36 offset1:37
	v_pk_add_f32 v[54:55], v[54:55], v[126:127] neg_lo:[0,1] neg_hi:[0,1]
	v_pk_add_f32 v[12:13], v[12:13], v[124:125] neg_lo:[0,1] neg_hi:[0,1]
	s_wait_dscnt 0x0
	v_dual_mul_f32 v124, v121, v113 :: v_dual_mul_f32 v126, v121, v110
	s_delay_alu instid0(VALU_DEP_1) | instskip(NEXT) | instid1(VALU_DEP_2)
	v_pk_fma_f32 v[124:125], v[120:121], v[76:77], v[124:125] op_sel_hi:[1,1,0] neg_lo:[0,0,1] neg_hi:[0,0,1]
	v_pk_fma_f32 v[120:121], v[120:121], v[76:77], v[126:127] op_sel:[1,0,0] op_sel_hi:[0,1,0]
	s_delay_alu instid0(VALU_DEP_1) | instskip(SKIP_1) | instid1(VALU_DEP_2)
	v_mov_b32_e32 v125, v121
	v_pk_mul_f32 v[120:121], v[122:123], v[112:113] op_sel:[0,1]
	v_pk_add_f32 v[50:51], v[50:51], v[124:125] neg_lo:[0,1] neg_hi:[0,1]
	s_delay_alu instid0(VALU_DEP_2) | instskip(SKIP_1) | instid1(VALU_DEP_1)
	v_pk_fma_f32 v[124:125], v[122:123], v[110:111], v[120:121] op_sel:[0,0,1] op_sel_hi:[1,1,0] neg_lo:[0,0,1] neg_hi:[0,0,1]
	v_pk_fma_f32 v[120:121], v[122:123], v[110:111], v[120:121] op_sel:[0,0,1] op_sel_hi:[1,0,0]
	v_mov_b32_e32 v125, v121
	ds_load_2addr_b64 v[120:123], v114 offset0:38 offset1:39
	v_pk_add_f32 v[46:47], v[46:47], v[124:125] neg_lo:[0,1] neg_hi:[0,1]
	s_wait_dscnt 0x0
	v_pk_mul_f32 v[124:125], v[120:121], v[112:113] op_sel:[0,1]
	s_delay_alu instid0(VALU_DEP_1) | instskip(SKIP_1) | instid1(VALU_DEP_1)
	v_pk_fma_f32 v[126:127], v[120:121], v[110:111], v[124:125] op_sel:[0,0,1] op_sel_hi:[1,1,0] neg_lo:[0,0,1] neg_hi:[0,0,1]
	v_pk_fma_f32 v[120:121], v[120:121], v[110:111], v[124:125] op_sel:[0,0,1] op_sel_hi:[1,0,0]
	v_mov_b32_e32 v127, v121
	v_pk_mul_f32 v[120:121], v[122:123], v[112:113] op_sel:[0,1]
	s_delay_alu instid0(VALU_DEP_2) | instskip(NEXT) | instid1(VALU_DEP_2)
	v_pk_add_f32 v[48:49], v[48:49], v[126:127] neg_lo:[0,1] neg_hi:[0,1]
	v_pk_fma_f32 v[124:125], v[122:123], v[110:111], v[120:121] op_sel:[0,0,1] op_sel_hi:[1,1,0] neg_lo:[0,0,1] neg_hi:[0,0,1]
	v_pk_fma_f32 v[120:121], v[122:123], v[110:111], v[120:121] op_sel:[0,0,1] op_sel_hi:[1,0,0]
	s_delay_alu instid0(VALU_DEP_1) | instskip(SKIP_4) | instid1(VALU_DEP_1)
	v_mov_b32_e32 v125, v121
	ds_load_2addr_b64 v[120:123], v114 offset0:40 offset1:41
	v_pk_add_f32 v[10:11], v[10:11], v[124:125] neg_lo:[0,1] neg_hi:[0,1]
	s_wait_dscnt 0x0
	v_pk_mul_f32 v[124:125], v[120:121], v[112:113] op_sel:[0,1]
	v_pk_fma_f32 v[126:127], v[120:121], v[110:111], v[124:125] op_sel:[0,0,1] op_sel_hi:[1,1,0] neg_lo:[0,0,1] neg_hi:[0,0,1]
	v_pk_fma_f32 v[120:121], v[120:121], v[110:111], v[124:125] op_sel:[0,0,1] op_sel_hi:[1,0,0]
	v_dual_mul_f32 v124, v123, v113 :: v_dual_mov_b32 v120, v123
	s_delay_alu instid0(VALU_DEP_2) | instskip(NEXT) | instid1(VALU_DEP_2)
	v_dual_mov_b32 v127, v121 :: v_dual_mov_b32 v121, v122
	v_pk_fma_f32 v[124:125], v[122:123], v[76:77], v[124:125] op_sel_hi:[1,1,0] neg_lo:[0,0,1] neg_hi:[0,0,1]
	v_mul_f32_e32 v122, v123, v110
	s_delay_alu instid0(VALU_DEP_3) | instskip(NEXT) | instid1(VALU_DEP_2)
	v_pk_add_f32 v[44:45], v[44:45], v[126:127] neg_lo:[0,1] neg_hi:[0,1]
	v_pk_fma_f32 v[120:121], v[120:121], v[76:77], v[122:123] op_sel_hi:[1,1,0]
	s_delay_alu instid0(VALU_DEP_1) | instskip(SKIP_4) | instid1(VALU_DEP_1)
	v_mov_b32_e32 v125, v121
	ds_load_2addr_b64 v[120:123], v114 offset0:42 offset1:43
	v_pk_add_f32 v[40:41], v[40:41], v[124:125] neg_lo:[0,1] neg_hi:[0,1]
	s_wait_dscnt 0x0
	v_pk_mul_f32 v[124:125], v[120:121], v[112:113] op_sel:[0,1]
	v_pk_fma_f32 v[126:127], v[120:121], v[110:111], v[124:125] op_sel:[0,0,1] op_sel_hi:[1,1,0] neg_lo:[0,0,1] neg_hi:[0,0,1]
	v_pk_fma_f32 v[120:121], v[120:121], v[110:111], v[124:125] op_sel:[0,0,1] op_sel_hi:[1,0,0]
	s_delay_alu instid0(VALU_DEP_1) | instskip(SKIP_1) | instid1(VALU_DEP_1)
	v_mov_b32_e32 v127, v121
	v_pk_mul_f32 v[120:121], v[122:123], v[112:113] op_sel:[0,1]
	v_pk_fma_f32 v[124:125], v[122:123], v[110:111], v[120:121] op_sel:[0,0,1] op_sel_hi:[1,1,0] neg_lo:[0,0,1] neg_hi:[0,0,1]
	v_pk_fma_f32 v[120:121], v[122:123], v[110:111], v[120:121] op_sel:[0,0,1] op_sel_hi:[1,0,0]
	s_delay_alu instid0(VALU_DEP_1)
	v_mov_b32_e32 v125, v121
	ds_load_2addr_b64 v[120:123], v114 offset0:44 offset1:45
	v_pk_add_f32 v[42:43], v[42:43], v[126:127] neg_lo:[0,1] neg_hi:[0,1]
	v_pk_add_f32 v[6:7], v[6:7], v[124:125] neg_lo:[0,1] neg_hi:[0,1]
	s_wait_dscnt 0x0
	v_pk_mul_f32 v[124:125], v[120:121], v[112:113] op_sel:[0,1]
	s_delay_alu instid0(VALU_DEP_1) | instskip(SKIP_1) | instid1(VALU_DEP_1)
	v_pk_fma_f32 v[126:127], v[120:121], v[110:111], v[124:125] op_sel:[0,0,1] op_sel_hi:[1,1,0] neg_lo:[0,0,1] neg_hi:[0,0,1]
	v_pk_fma_f32 v[120:121], v[120:121], v[110:111], v[124:125] op_sel:[0,0,1] op_sel_hi:[1,0,0]
	v_mov_b32_e32 v127, v121
	v_pk_mul_f32 v[120:121], v[122:123], v[112:113] op_sel:[0,1]
	s_delay_alu instid0(VALU_DEP_1) | instskip(SKIP_1) | instid1(VALU_DEP_1)
	v_pk_fma_f32 v[124:125], v[122:123], v[110:111], v[120:121] op_sel:[0,0,1] op_sel_hi:[1,1,0] neg_lo:[0,0,1] neg_hi:[0,0,1]
	v_pk_fma_f32 v[120:121], v[122:123], v[110:111], v[120:121] op_sel:[0,0,1] op_sel_hi:[1,0,0]
	v_mov_b32_e32 v125, v121
	ds_load_2addr_b64 v[120:123], v114 offset0:46 offset1:47
	v_pk_add_f32 v[36:37], v[36:37], v[126:127] neg_lo:[0,1] neg_hi:[0,1]
	v_pk_add_f32 v[30:31], v[30:31], v[124:125] neg_lo:[0,1] neg_hi:[0,1]
	s_wait_dscnt 0x0
	v_dual_mul_f32 v124, v121, v113 :: v_dual_mul_f32 v126, v121, v110
	s_delay_alu instid0(VALU_DEP_1) | instskip(NEXT) | instid1(VALU_DEP_2)
	v_pk_fma_f32 v[124:125], v[120:121], v[76:77], v[124:125] op_sel_hi:[1,1,0] neg_lo:[0,0,1] neg_hi:[0,0,1]
	v_pk_fma_f32 v[120:121], v[120:121], v[76:77], v[126:127] op_sel:[1,0,0] op_sel_hi:[0,1,0]
	s_delay_alu instid0(VALU_DEP_1) | instskip(SKIP_1) | instid1(VALU_DEP_2)
	v_mov_b32_e32 v125, v121
	v_pk_mul_f32 v[120:121], v[122:123], v[112:113] op_sel:[0,1]
	v_pk_add_f32 v[34:35], v[34:35], v[124:125] neg_lo:[0,1] neg_hi:[0,1]
	s_delay_alu instid0(VALU_DEP_2) | instskip(SKIP_1) | instid1(VALU_DEP_1)
	v_pk_fma_f32 v[124:125], v[122:123], v[110:111], v[120:121] op_sel:[0,0,1] op_sel_hi:[1,1,0] neg_lo:[0,0,1] neg_hi:[0,0,1]
	v_pk_fma_f32 v[120:121], v[122:123], v[110:111], v[120:121] op_sel:[0,0,1] op_sel_hi:[1,0,0]
	v_mov_b32_e32 v125, v121
	ds_load_2addr_b64 v[120:123], v114 offset0:48 offset1:49
	v_pk_add_f32 v[8:9], v[8:9], v[124:125] neg_lo:[0,1] neg_hi:[0,1]
	s_wait_dscnt 0x0
	v_pk_mul_f32 v[124:125], v[120:121], v[112:113] op_sel:[0,1]
	s_delay_alu instid0(VALU_DEP_1) | instskip(SKIP_1) | instid1(VALU_DEP_1)
	v_pk_fma_f32 v[126:127], v[120:121], v[110:111], v[124:125] op_sel:[0,0,1] op_sel_hi:[1,1,0] neg_lo:[0,0,1] neg_hi:[0,0,1]
	v_pk_fma_f32 v[120:121], v[120:121], v[110:111], v[124:125] op_sel:[0,0,1] op_sel_hi:[1,0,0]
	v_mov_b32_e32 v127, v121
	v_pk_mul_f32 v[120:121], v[122:123], v[112:113] op_sel:[0,1]
	s_delay_alu instid0(VALU_DEP_2) | instskip(NEXT) | instid1(VALU_DEP_2)
	v_pk_add_f32 v[28:29], v[28:29], v[126:127] neg_lo:[0,1] neg_hi:[0,1]
	v_pk_fma_f32 v[124:125], v[122:123], v[110:111], v[120:121] op_sel:[0,0,1] op_sel_hi:[1,1,0] neg_lo:[0,0,1] neg_hi:[0,0,1]
	v_pk_fma_f32 v[120:121], v[122:123], v[110:111], v[120:121] op_sel:[0,0,1] op_sel_hi:[1,0,0]
	s_delay_alu instid0(VALU_DEP_1)
	v_mov_b32_e32 v125, v121
	ds_load_2addr_b64 v[120:123], v114 offset0:50 offset1:51
	v_pk_add_f32 v[16:17], v[16:17], v[124:125] neg_lo:[0,1] neg_hi:[0,1]
	s_wait_dscnt 0x0
	v_pk_mul_f32 v[124:125], v[120:121], v[112:113] op_sel:[0,1]
	v_pk_mul_f32 v[112:113], v[122:123], v[112:113] op_sel:[0,1]
	s_delay_alu instid0(VALU_DEP_2) | instskip(SKIP_1) | instid1(VALU_DEP_1)
	v_pk_fma_f32 v[126:127], v[120:121], v[110:111], v[124:125] op_sel:[0,0,1] op_sel_hi:[1,1,0] neg_lo:[0,0,1] neg_hi:[0,0,1]
	v_pk_fma_f32 v[120:121], v[120:121], v[110:111], v[124:125] op_sel:[0,0,1] op_sel_hi:[1,0,0]
	v_mov_b32_e32 v127, v121
	s_delay_alu instid0(VALU_DEP_4) | instskip(SKIP_1) | instid1(VALU_DEP_3)
	v_pk_fma_f32 v[120:121], v[122:123], v[110:111], v[112:113] op_sel:[0,0,1] op_sel_hi:[1,1,0] neg_lo:[0,0,1] neg_hi:[0,0,1]
	v_pk_fma_f32 v[110:111], v[122:123], v[110:111], v[112:113] op_sel:[0,0,1] op_sel_hi:[1,0,0]
	v_pk_add_f32 v[14:15], v[14:15], v[126:127] neg_lo:[0,1] neg_hi:[0,1]
	s_delay_alu instid0(VALU_DEP_2) | instskip(NEXT) | instid1(VALU_DEP_1)
	v_mov_b32_e32 v121, v111
	v_pk_add_f32 v[108:109], v[108:109], v[120:121] neg_lo:[0,1] neg_hi:[0,1]
.LBB102_377:
	s_or_b32 exec_lo, exec_lo, s0
	v_lshl_add_u32 v110, v118, 3, v114
	s_barrier_signal -1
	s_barrier_wait -1
	ds_store_b64 v110, v[78:79]
	s_wait_dscnt 0x0
	s_barrier_signal -1
	s_barrier_wait -1
	ds_load_b64 v[112:113], v114 offset:144
	v_mov_b32_e32 v110, 18
	s_cmp_lt_i32 s18, 20
	s_cbranch_scc1 .LBB102_380
; %bb.378:
	v_add3_u32 v111, v115, 0, 0x98
	v_mov_b32_e32 v110, 18
	s_mov_b32 s0, 19
.LBB102_379:                            ; =>This Inner Loop Header: Depth=1
	ds_load_b64 v[120:121], v111
	s_wait_dscnt 0x1
	v_cmp_gt_f32_e32 vcc_lo, 0, v112
	v_cndmask_b32_e64 v122, v112, -v112, vcc_lo
	v_cmp_gt_f32_e32 vcc_lo, 0, v113
	v_cndmask_b32_e64 v124, v113, -v113, vcc_lo
	s_wait_dscnt 0x0
	v_cmp_gt_f32_e32 vcc_lo, 0, v120
	v_cndmask_b32_e64 v123, v120, -v120, vcc_lo
	v_cmp_gt_f32_e32 vcc_lo, 0, v121
	v_cndmask_b32_e64 v125, v121, -v121, vcc_lo
	s_delay_alu instid0(VALU_DEP_1) | instskip(NEXT) | instid1(VALU_DEP_1)
	v_pk_add_f32 v[122:123], v[122:123], v[124:125]
	v_cmp_lt_f32_e32 vcc_lo, v122, v123
	v_dual_add_nc_u32 v111, 8, v111 :: v_dual_cndmask_b32 v113, v113, v121, vcc_lo
	v_cndmask_b32_e32 v112, v112, v120, vcc_lo
	v_cndmask_b32_e64 v110, v110, s0, vcc_lo
	s_add_co_i32 s0, s0, 1
	s_delay_alu instid0(SALU_CYCLE_1)
	s_cmp_lg_u32 s18, s0
	s_cbranch_scc1 .LBB102_379
.LBB102_380:
	s_wait_dscnt 0x0
	v_cmp_eq_f32_e32 vcc_lo, 0, v112
	v_cmp_eq_f32_e64 s0, 0, v113
	s_and_b32 s0, vcc_lo, s0
	s_delay_alu instid0(SALU_CYCLE_1) | instskip(NEXT) | instid1(SALU_CYCLE_1)
	s_and_saveexec_b32 s1, s0
	s_xor_b32 s0, exec_lo, s1
; %bb.381:
	v_cmp_ne_u32_e32 vcc_lo, 0, v116
	v_cndmask_b32_e32 v116, 19, v116, vcc_lo
; %bb.382:
	s_and_not1_saveexec_b32 s0, s0
	s_cbranch_execz .LBB102_388
; %bb.383:
	v_cmp_ngt_f32_e64 s1, |v112|, |v113|
	s_and_saveexec_b32 s12, s1
	s_delay_alu instid0(SALU_CYCLE_1)
	s_xor_b32 s1, exec_lo, s12
	s_cbranch_execz .LBB102_385
; %bb.384:
	v_div_scale_f32 v111, null, v113, v113, v112
	v_div_scale_f32 v121, vcc_lo, v112, v113, v112
	s_delay_alu instid0(VALU_DEP_2) | instskip(SKIP_1) | instid1(TRANS32_DEP_1)
	v_rcp_f32_e32 v119, v111
	v_nop
	v_fma_f32 v120, -v111, v119, 1.0
	s_delay_alu instid0(VALU_DEP_1) | instskip(NEXT) | instid1(VALU_DEP_1)
	v_fmac_f32_e32 v119, v120, v119
	v_mul_f32_e32 v120, v121, v119
	s_delay_alu instid0(VALU_DEP_1) | instskip(NEXT) | instid1(VALU_DEP_1)
	v_fma_f32 v122, -v111, v120, v121
	v_fmac_f32_e32 v120, v122, v119
	s_delay_alu instid0(VALU_DEP_1) | instskip(NEXT) | instid1(VALU_DEP_1)
	v_fma_f32 v111, -v111, v120, v121
	v_div_fmas_f32 v111, v111, v119, v120
	s_delay_alu instid0(VALU_DEP_1) | instskip(NEXT) | instid1(VALU_DEP_1)
	v_div_fixup_f32 v111, v111, v113, v112
	v_fmac_f32_e32 v113, v112, v111
	s_delay_alu instid0(VALU_DEP_1) | instskip(SKIP_1) | instid1(VALU_DEP_2)
	v_div_scale_f32 v112, null, v113, v113, 1.0
	v_div_scale_f32 v121, vcc_lo, 1.0, v113, 1.0
	v_rcp_f32_e32 v119, v112
	v_nop
	s_delay_alu instid0(TRANS32_DEP_1) | instskip(NEXT) | instid1(VALU_DEP_1)
	v_fma_f32 v120, -v112, v119, 1.0
	v_fmac_f32_e32 v119, v120, v119
	s_delay_alu instid0(VALU_DEP_1) | instskip(NEXT) | instid1(VALU_DEP_1)
	v_mul_f32_e32 v120, v121, v119
	v_fma_f32 v122, -v112, v120, v121
	s_delay_alu instid0(VALU_DEP_1) | instskip(NEXT) | instid1(VALU_DEP_1)
	v_fmac_f32_e32 v120, v122, v119
	v_fma_f32 v112, -v112, v120, v121
	s_delay_alu instid0(VALU_DEP_1) | instskip(NEXT) | instid1(VALU_DEP_1)
	v_div_fmas_f32 v112, v112, v119, v120
	v_div_fixup_f32 v113, v112, v113, 1.0
	s_delay_alu instid0(VALU_DEP_1)
	v_mul_f32_e32 v112, v111, v113
	v_xor_b32_e32 v113, 0x80000000, v113
.LBB102_385:
	s_and_not1_saveexec_b32 s1, s1
	s_cbranch_execz .LBB102_387
; %bb.386:
	s_delay_alu instid0(VALU_DEP_1) | instskip(SKIP_1) | instid1(VALU_DEP_2)
	v_div_scale_f32 v111, null, v112, v112, v113
	v_div_scale_f32 v121, vcc_lo, v113, v112, v113
	v_rcp_f32_e32 v119, v111
	v_nop
	s_delay_alu instid0(TRANS32_DEP_1) | instskip(NEXT) | instid1(VALU_DEP_1)
	v_fma_f32 v120, -v111, v119, 1.0
	v_fmac_f32_e32 v119, v120, v119
	s_delay_alu instid0(VALU_DEP_1) | instskip(NEXT) | instid1(VALU_DEP_1)
	v_mul_f32_e32 v120, v121, v119
	v_fma_f32 v122, -v111, v120, v121
	s_delay_alu instid0(VALU_DEP_1) | instskip(NEXT) | instid1(VALU_DEP_1)
	v_fmac_f32_e32 v120, v122, v119
	v_fma_f32 v111, -v111, v120, v121
	s_delay_alu instid0(VALU_DEP_1) | instskip(NEXT) | instid1(VALU_DEP_1)
	v_div_fmas_f32 v111, v111, v119, v120
	v_div_fixup_f32 v111, v111, v112, v113
	s_delay_alu instid0(VALU_DEP_1) | instskip(NEXT) | instid1(VALU_DEP_1)
	v_fmac_f32_e32 v112, v113, v111
	v_div_scale_f32 v113, null, v112, v112, 1.0
	s_delay_alu instid0(VALU_DEP_1) | instskip(SKIP_1) | instid1(TRANS32_DEP_1)
	v_rcp_f32_e32 v119, v113
	v_nop
	v_fma_f32 v120, -v113, v119, 1.0
	s_delay_alu instid0(VALU_DEP_1) | instskip(SKIP_1) | instid1(VALU_DEP_1)
	v_fmac_f32_e32 v119, v120, v119
	v_div_scale_f32 v120, vcc_lo, 1.0, v112, 1.0
	v_mul_f32_e32 v121, v120, v119
	s_delay_alu instid0(VALU_DEP_1) | instskip(NEXT) | instid1(VALU_DEP_1)
	v_fma_f32 v122, -v113, v121, v120
	v_fmac_f32_e32 v121, v122, v119
	s_delay_alu instid0(VALU_DEP_1) | instskip(NEXT) | instid1(VALU_DEP_1)
	v_fma_f32 v113, -v113, v121, v120
	v_div_fmas_f32 v113, v113, v119, v121
	s_delay_alu instid0(VALU_DEP_1) | instskip(NEXT) | instid1(VALU_DEP_1)
	v_div_fixup_f32 v112, v113, v112, 1.0
	v_mul_f32_e64 v113, v111, -v112
.LBB102_387:
	s_or_b32 exec_lo, exec_lo, s1
.LBB102_388:
	s_delay_alu instid0(SALU_CYCLE_1) | instskip(NEXT) | instid1(SALU_CYCLE_1)
	s_or_b32 exec_lo, exec_lo, s0
	s_mov_b32 s0, exec_lo
	v_cmpx_ne_u32_e64 v118, v110
	s_xor_b32 s0, exec_lo, s0
	s_cbranch_execz .LBB102_394
; %bb.389:
	s_mov_b32 s1, exec_lo
	v_cmpx_eq_u32_e32 18, v118
	s_cbranch_execz .LBB102_393
; %bb.390:
	v_cmp_ne_u32_e32 vcc_lo, 18, v110
	s_xor_b32 s12, s16, -1
	s_delay_alu instid0(SALU_CYCLE_1) | instskip(NEXT) | instid1(SALU_CYCLE_1)
	s_and_b32 s13, s12, vcc_lo
	s_and_saveexec_b32 s12, s13
	s_cbranch_execz .LBB102_392
; %bb.391:
	v_ashrrev_i32_e32 v111, 31, v110
	s_delay_alu instid0(VALU_DEP_1)
	v_lshl_add_u64 v[118:119], v[110:111], 2, v[4:5]
	s_clause 0x1
	global_load_b32 v111, v[118:119], off
	global_load_b32 v117, v[4:5], off offset:72
	s_wait_loadcnt 0x1
	global_store_b32 v[4:5], v111, off offset:72
	s_wait_loadcnt 0x0
	global_store_b32 v[118:119], v117, off
.LBB102_392:
	s_wait_xcnt 0x0
	s_or_b32 exec_lo, exec_lo, s12
	v_dual_mov_b32 v118, v110 :: v_dual_mov_b32 v117, v110
.LBB102_393:
	s_or_b32 exec_lo, exec_lo, s1
.LBB102_394:
	s_and_not1_saveexec_b32 s0, s0
	s_cbranch_execz .LBB102_396
; %bb.395:
	v_mov_b32_e32 v118, 18
	ds_store_2addr_b64 v114, v[24:25], v[74:75] offset0:19 offset1:20
	ds_store_2addr_b64 v114, v[70:71], v[72:73] offset0:21 offset1:22
	;; [unrolled: 1-line block ×16, first 2 shown]
	ds_store_b64 v114, v[108:109] offset:408
.LBB102_396:
	s_or_b32 exec_lo, exec_lo, s0
	s_delay_alu instid0(SALU_CYCLE_1)
	s_mov_b32 s0, exec_lo
	s_wait_storecnt_dscnt 0x0
	s_barrier_signal -1
	s_barrier_wait -1
	v_cmpx_lt_i32_e32 18, v118
	s_cbranch_execz .LBB102_398
; %bb.397:
	v_pk_mul_f32 v[120:121], v[112:113], v[78:79] op_sel:[1,1] op_sel_hi:[0,1]
	s_delay_alu instid0(VALU_DEP_1)
	v_pk_fma_f32 v[110:111], v[112:113], v[78:79], v[120:121] op_sel_hi:[1,0,1] neg_lo:[0,0,1] neg_hi:[0,0,1]
	v_pk_fma_f32 v[112:113], v[112:113], v[78:79], v[120:121] op_sel_hi:[1,0,1]
	ds_load_2addr_b64 v[120:123], v114 offset0:19 offset1:20
	v_dual_mov_b32 v78, v110 :: v_dual_mov_b32 v79, v113
	s_wait_dscnt 0x0
	v_pk_mul_f32 v[124:125], v[120:121], v[112:113] op_sel:[0,1]
	s_delay_alu instid0(VALU_DEP_1) | instskip(SKIP_1) | instid1(VALU_DEP_1)
	v_pk_fma_f32 v[126:127], v[120:121], v[110:111], v[124:125] op_sel:[0,0,1] op_sel_hi:[1,1,0] neg_lo:[0,0,1] neg_hi:[0,0,1]
	v_pk_fma_f32 v[120:121], v[120:121], v[110:111], v[124:125] op_sel:[0,0,1] op_sel_hi:[1,0,0]
	v_mov_b32_e32 v127, v121
	v_pk_mul_f32 v[120:121], v[122:123], v[112:113] op_sel:[0,1]
	s_delay_alu instid0(VALU_DEP_1) | instskip(SKIP_1) | instid1(VALU_DEP_1)
	v_pk_fma_f32 v[124:125], v[122:123], v[110:111], v[120:121] op_sel:[0,0,1] op_sel_hi:[1,1,0] neg_lo:[0,0,1] neg_hi:[0,0,1]
	v_pk_fma_f32 v[120:121], v[122:123], v[110:111], v[120:121] op_sel:[0,0,1] op_sel_hi:[1,0,0]
	v_mov_b32_e32 v125, v121
	ds_load_2addr_b64 v[120:123], v114 offset0:21 offset1:22
	v_pk_add_f32 v[24:25], v[24:25], v[126:127] neg_lo:[0,1] neg_hi:[0,1]
	v_pk_add_f32 v[74:75], v[74:75], v[124:125] neg_lo:[0,1] neg_hi:[0,1]
	s_wait_dscnt 0x0
	v_pk_mul_f32 v[124:125], v[120:121], v[112:113] op_sel:[0,1]
	s_delay_alu instid0(VALU_DEP_1) | instskip(SKIP_2) | instid1(VALU_DEP_2)
	v_pk_fma_f32 v[126:127], v[120:121], v[110:111], v[124:125] op_sel:[0,0,1] op_sel_hi:[1,1,0] neg_lo:[0,0,1] neg_hi:[0,0,1]
	v_pk_fma_f32 v[120:121], v[120:121], v[110:111], v[124:125] op_sel:[0,0,1] op_sel_hi:[1,0,0]
	v_dual_mul_f32 v124, v123, v113 :: v_dual_mov_b32 v120, v123
	v_dual_mov_b32 v127, v121 :: v_dual_mov_b32 v121, v122
	s_delay_alu instid0(VALU_DEP_2) | instskip(SKIP_1) | instid1(VALU_DEP_3)
	v_pk_fma_f32 v[124:125], v[122:123], v[78:79], v[124:125] op_sel_hi:[1,1,0] neg_lo:[0,0,1] neg_hi:[0,0,1]
	v_mul_f32_e32 v122, v123, v110
	v_pk_add_f32 v[70:71], v[70:71], v[126:127] neg_lo:[0,1] neg_hi:[0,1]
	s_delay_alu instid0(VALU_DEP_2) | instskip(NEXT) | instid1(VALU_DEP_1)
	v_pk_fma_f32 v[120:121], v[120:121], v[78:79], v[122:123] op_sel_hi:[1,1,0]
	v_mov_b32_e32 v125, v121
	ds_load_2addr_b64 v[120:123], v114 offset0:23 offset1:24
	v_pk_add_f32 v[72:73], v[72:73], v[124:125] neg_lo:[0,1] neg_hi:[0,1]
	s_wait_dscnt 0x0
	v_pk_mul_f32 v[124:125], v[120:121], v[112:113] op_sel:[0,1]
	s_delay_alu instid0(VALU_DEP_1) | instskip(SKIP_1) | instid1(VALU_DEP_1)
	v_pk_fma_f32 v[126:127], v[120:121], v[110:111], v[124:125] op_sel:[0,0,1] op_sel_hi:[1,1,0] neg_lo:[0,0,1] neg_hi:[0,0,1]
	v_pk_fma_f32 v[120:121], v[120:121], v[110:111], v[124:125] op_sel:[0,0,1] op_sel_hi:[1,0,0]
	v_mov_b32_e32 v127, v121
	v_pk_mul_f32 v[120:121], v[122:123], v[112:113] op_sel:[0,1]
	s_delay_alu instid0(VALU_DEP_1) | instskip(SKIP_1) | instid1(VALU_DEP_1)
	v_pk_fma_f32 v[124:125], v[122:123], v[110:111], v[120:121] op_sel:[0,0,1] op_sel_hi:[1,1,0] neg_lo:[0,0,1] neg_hi:[0,0,1]
	v_pk_fma_f32 v[120:121], v[122:123], v[110:111], v[120:121] op_sel:[0,0,1] op_sel_hi:[1,0,0]
	v_mov_b32_e32 v125, v121
	ds_load_2addr_b64 v[120:123], v114 offset0:25 offset1:26
	v_pk_add_f32 v[22:23], v[22:23], v[126:127] neg_lo:[0,1] neg_hi:[0,1]
	v_pk_add_f32 v[68:69], v[68:69], v[124:125] neg_lo:[0,1] neg_hi:[0,1]
	s_wait_dscnt 0x0
	v_pk_mul_f32 v[124:125], v[120:121], v[112:113] op_sel:[0,1]
	s_delay_alu instid0(VALU_DEP_1) | instskip(SKIP_1) | instid1(VALU_DEP_1)
	v_pk_fma_f32 v[126:127], v[120:121], v[110:111], v[124:125] op_sel:[0,0,1] op_sel_hi:[1,1,0] neg_lo:[0,0,1] neg_hi:[0,0,1]
	v_pk_fma_f32 v[120:121], v[120:121], v[110:111], v[124:125] op_sel:[0,0,1] op_sel_hi:[1,0,0]
	v_mov_b32_e32 v127, v121
	v_pk_mul_f32 v[120:121], v[122:123], v[112:113] op_sel:[0,1]
	s_delay_alu instid0(VALU_DEP_1) | instskip(SKIP_1) | instid1(VALU_DEP_1)
	v_pk_fma_f32 v[124:125], v[122:123], v[110:111], v[120:121] op_sel:[0,0,1] op_sel_hi:[1,1,0] neg_lo:[0,0,1] neg_hi:[0,0,1]
	v_pk_fma_f32 v[120:121], v[122:123], v[110:111], v[120:121] op_sel:[0,0,1] op_sel_hi:[1,0,0]
	v_mov_b32_e32 v125, v121
	ds_load_2addr_b64 v[120:123], v114 offset0:27 offset1:28
	v_pk_add_f32 v[64:65], v[64:65], v[126:127] neg_lo:[0,1] neg_hi:[0,1]
	v_pk_add_f32 v[66:67], v[66:67], v[124:125] neg_lo:[0,1] neg_hi:[0,1]
	s_wait_dscnt 0x0
	v_dual_mul_f32 v124, v121, v113 :: v_dual_mul_f32 v126, v121, v110
	s_delay_alu instid0(VALU_DEP_1) | instskip(NEXT) | instid1(VALU_DEP_2)
	v_pk_fma_f32 v[124:125], v[120:121], v[78:79], v[124:125] op_sel_hi:[1,1,0] neg_lo:[0,0,1] neg_hi:[0,0,1]
	v_pk_fma_f32 v[120:121], v[120:121], v[78:79], v[126:127] op_sel:[1,0,0] op_sel_hi:[0,1,0]
	s_delay_alu instid0(VALU_DEP_1) | instskip(SKIP_1) | instid1(VALU_DEP_2)
	v_mov_b32_e32 v125, v121
	v_pk_mul_f32 v[120:121], v[122:123], v[112:113] op_sel:[0,1]
	v_pk_add_f32 v[20:21], v[20:21], v[124:125] neg_lo:[0,1] neg_hi:[0,1]
	s_delay_alu instid0(VALU_DEP_2) | instskip(SKIP_1) | instid1(VALU_DEP_1)
	v_pk_fma_f32 v[124:125], v[122:123], v[110:111], v[120:121] op_sel:[0,0,1] op_sel_hi:[1,1,0] neg_lo:[0,0,1] neg_hi:[0,0,1]
	v_pk_fma_f32 v[120:121], v[122:123], v[110:111], v[120:121] op_sel:[0,0,1] op_sel_hi:[1,0,0]
	v_mov_b32_e32 v125, v121
	ds_load_2addr_b64 v[120:123], v114 offset0:29 offset1:30
	v_pk_add_f32 v[62:63], v[62:63], v[124:125] neg_lo:[0,1] neg_hi:[0,1]
	s_wait_dscnt 0x0
	v_pk_mul_f32 v[124:125], v[120:121], v[112:113] op_sel:[0,1]
	s_delay_alu instid0(VALU_DEP_1) | instskip(SKIP_1) | instid1(VALU_DEP_1)
	v_pk_fma_f32 v[126:127], v[120:121], v[110:111], v[124:125] op_sel:[0,0,1] op_sel_hi:[1,1,0] neg_lo:[0,0,1] neg_hi:[0,0,1]
	v_pk_fma_f32 v[120:121], v[120:121], v[110:111], v[124:125] op_sel:[0,0,1] op_sel_hi:[1,0,0]
	v_mov_b32_e32 v127, v121
	v_pk_mul_f32 v[120:121], v[122:123], v[112:113] op_sel:[0,1]
	s_delay_alu instid0(VALU_DEP_2) | instskip(NEXT) | instid1(VALU_DEP_2)
	v_pk_add_f32 v[58:59], v[58:59], v[126:127] neg_lo:[0,1] neg_hi:[0,1]
	v_pk_fma_f32 v[124:125], v[122:123], v[110:111], v[120:121] op_sel:[0,0,1] op_sel_hi:[1,1,0] neg_lo:[0,0,1] neg_hi:[0,0,1]
	v_pk_fma_f32 v[120:121], v[122:123], v[110:111], v[120:121] op_sel:[0,0,1] op_sel_hi:[1,0,0]
	s_delay_alu instid0(VALU_DEP_1) | instskip(SKIP_4) | instid1(VALU_DEP_1)
	v_mov_b32_e32 v125, v121
	ds_load_2addr_b64 v[120:123], v114 offset0:31 offset1:32
	v_pk_add_f32 v[60:61], v[60:61], v[124:125] neg_lo:[0,1] neg_hi:[0,1]
	s_wait_dscnt 0x0
	v_pk_mul_f32 v[124:125], v[120:121], v[112:113] op_sel:[0,1]
	v_pk_fma_f32 v[126:127], v[120:121], v[110:111], v[124:125] op_sel:[0,0,1] op_sel_hi:[1,1,0] neg_lo:[0,0,1] neg_hi:[0,0,1]
	v_pk_fma_f32 v[120:121], v[120:121], v[110:111], v[124:125] op_sel:[0,0,1] op_sel_hi:[1,0,0]
	v_dual_mul_f32 v124, v123, v113 :: v_dual_mov_b32 v120, v123
	s_delay_alu instid0(VALU_DEP_2) | instskip(NEXT) | instid1(VALU_DEP_2)
	v_dual_mov_b32 v127, v121 :: v_dual_mov_b32 v121, v122
	v_pk_fma_f32 v[124:125], v[122:123], v[78:79], v[124:125] op_sel_hi:[1,1,0] neg_lo:[0,0,1] neg_hi:[0,0,1]
	v_mul_f32_e32 v122, v123, v110
	s_delay_alu instid0(VALU_DEP_3) | instskip(NEXT) | instid1(VALU_DEP_2)
	v_pk_add_f32 v[18:19], v[18:19], v[126:127] neg_lo:[0,1] neg_hi:[0,1]
	v_pk_fma_f32 v[120:121], v[120:121], v[78:79], v[122:123] op_sel_hi:[1,1,0]
	s_delay_alu instid0(VALU_DEP_1) | instskip(SKIP_4) | instid1(VALU_DEP_1)
	v_mov_b32_e32 v125, v121
	ds_load_2addr_b64 v[120:123], v114 offset0:33 offset1:34
	v_pk_add_f32 v[56:57], v[56:57], v[124:125] neg_lo:[0,1] neg_hi:[0,1]
	s_wait_dscnt 0x0
	v_pk_mul_f32 v[124:125], v[120:121], v[112:113] op_sel:[0,1]
	v_pk_fma_f32 v[126:127], v[120:121], v[110:111], v[124:125] op_sel:[0,0,1] op_sel_hi:[1,1,0] neg_lo:[0,0,1] neg_hi:[0,0,1]
	v_pk_fma_f32 v[120:121], v[120:121], v[110:111], v[124:125] op_sel:[0,0,1] op_sel_hi:[1,0,0]
	s_delay_alu instid0(VALU_DEP_1) | instskip(SKIP_1) | instid1(VALU_DEP_1)
	v_mov_b32_e32 v127, v121
	v_pk_mul_f32 v[120:121], v[122:123], v[112:113] op_sel:[0,1]
	v_pk_fma_f32 v[124:125], v[122:123], v[110:111], v[120:121] op_sel:[0,0,1] op_sel_hi:[1,1,0] neg_lo:[0,0,1] neg_hi:[0,0,1]
	v_pk_fma_f32 v[120:121], v[122:123], v[110:111], v[120:121] op_sel:[0,0,1] op_sel_hi:[1,0,0]
	s_delay_alu instid0(VALU_DEP_1)
	v_mov_b32_e32 v125, v121
	ds_load_2addr_b64 v[120:123], v114 offset0:35 offset1:36
	v_pk_add_f32 v[52:53], v[52:53], v[126:127] neg_lo:[0,1] neg_hi:[0,1]
	v_pk_add_f32 v[54:55], v[54:55], v[124:125] neg_lo:[0,1] neg_hi:[0,1]
	s_wait_dscnt 0x0
	v_pk_mul_f32 v[124:125], v[120:121], v[112:113] op_sel:[0,1]
	s_delay_alu instid0(VALU_DEP_1) | instskip(SKIP_1) | instid1(VALU_DEP_1)
	v_pk_fma_f32 v[126:127], v[120:121], v[110:111], v[124:125] op_sel:[0,0,1] op_sel_hi:[1,1,0] neg_lo:[0,0,1] neg_hi:[0,0,1]
	v_pk_fma_f32 v[120:121], v[120:121], v[110:111], v[124:125] op_sel:[0,0,1] op_sel_hi:[1,0,0]
	v_mov_b32_e32 v127, v121
	v_pk_mul_f32 v[120:121], v[122:123], v[112:113] op_sel:[0,1]
	s_delay_alu instid0(VALU_DEP_1) | instskip(SKIP_1) | instid1(VALU_DEP_1)
	v_pk_fma_f32 v[124:125], v[122:123], v[110:111], v[120:121] op_sel:[0,0,1] op_sel_hi:[1,1,0] neg_lo:[0,0,1] neg_hi:[0,0,1]
	v_pk_fma_f32 v[120:121], v[122:123], v[110:111], v[120:121] op_sel:[0,0,1] op_sel_hi:[1,0,0]
	v_mov_b32_e32 v125, v121
	ds_load_2addr_b64 v[120:123], v114 offset0:37 offset1:38
	v_pk_add_f32 v[12:13], v[12:13], v[126:127] neg_lo:[0,1] neg_hi:[0,1]
	v_pk_add_f32 v[50:51], v[50:51], v[124:125] neg_lo:[0,1] neg_hi:[0,1]
	s_wait_dscnt 0x0
	v_dual_mul_f32 v124, v121, v113 :: v_dual_mul_f32 v126, v121, v110
	s_delay_alu instid0(VALU_DEP_1) | instskip(NEXT) | instid1(VALU_DEP_2)
	v_pk_fma_f32 v[124:125], v[120:121], v[78:79], v[124:125] op_sel_hi:[1,1,0] neg_lo:[0,0,1] neg_hi:[0,0,1]
	v_pk_fma_f32 v[120:121], v[120:121], v[78:79], v[126:127] op_sel:[1,0,0] op_sel_hi:[0,1,0]
	s_delay_alu instid0(VALU_DEP_1) | instskip(SKIP_1) | instid1(VALU_DEP_2)
	v_mov_b32_e32 v125, v121
	v_pk_mul_f32 v[120:121], v[122:123], v[112:113] op_sel:[0,1]
	v_pk_add_f32 v[46:47], v[46:47], v[124:125] neg_lo:[0,1] neg_hi:[0,1]
	s_delay_alu instid0(VALU_DEP_2) | instskip(SKIP_1) | instid1(VALU_DEP_1)
	v_pk_fma_f32 v[124:125], v[122:123], v[110:111], v[120:121] op_sel:[0,0,1] op_sel_hi:[1,1,0] neg_lo:[0,0,1] neg_hi:[0,0,1]
	v_pk_fma_f32 v[120:121], v[122:123], v[110:111], v[120:121] op_sel:[0,0,1] op_sel_hi:[1,0,0]
	v_mov_b32_e32 v125, v121
	ds_load_2addr_b64 v[120:123], v114 offset0:39 offset1:40
	v_pk_add_f32 v[48:49], v[48:49], v[124:125] neg_lo:[0,1] neg_hi:[0,1]
	s_wait_dscnt 0x0
	v_pk_mul_f32 v[124:125], v[120:121], v[112:113] op_sel:[0,1]
	s_delay_alu instid0(VALU_DEP_1) | instskip(SKIP_1) | instid1(VALU_DEP_1)
	v_pk_fma_f32 v[126:127], v[120:121], v[110:111], v[124:125] op_sel:[0,0,1] op_sel_hi:[1,1,0] neg_lo:[0,0,1] neg_hi:[0,0,1]
	v_pk_fma_f32 v[120:121], v[120:121], v[110:111], v[124:125] op_sel:[0,0,1] op_sel_hi:[1,0,0]
	v_mov_b32_e32 v127, v121
	v_pk_mul_f32 v[120:121], v[122:123], v[112:113] op_sel:[0,1]
	s_delay_alu instid0(VALU_DEP_2) | instskip(NEXT) | instid1(VALU_DEP_2)
	v_pk_add_f32 v[10:11], v[10:11], v[126:127] neg_lo:[0,1] neg_hi:[0,1]
	v_pk_fma_f32 v[124:125], v[122:123], v[110:111], v[120:121] op_sel:[0,0,1] op_sel_hi:[1,1,0] neg_lo:[0,0,1] neg_hi:[0,0,1]
	v_pk_fma_f32 v[120:121], v[122:123], v[110:111], v[120:121] op_sel:[0,0,1] op_sel_hi:[1,0,0]
	s_delay_alu instid0(VALU_DEP_1) | instskip(SKIP_4) | instid1(VALU_DEP_1)
	v_mov_b32_e32 v125, v121
	ds_load_2addr_b64 v[120:123], v114 offset0:41 offset1:42
	v_pk_add_f32 v[44:45], v[44:45], v[124:125] neg_lo:[0,1] neg_hi:[0,1]
	s_wait_dscnt 0x0
	v_pk_mul_f32 v[124:125], v[120:121], v[112:113] op_sel:[0,1]
	v_pk_fma_f32 v[126:127], v[120:121], v[110:111], v[124:125] op_sel:[0,0,1] op_sel_hi:[1,1,0] neg_lo:[0,0,1] neg_hi:[0,0,1]
	v_pk_fma_f32 v[120:121], v[120:121], v[110:111], v[124:125] op_sel:[0,0,1] op_sel_hi:[1,0,0]
	v_dual_mul_f32 v124, v123, v113 :: v_dual_mov_b32 v120, v123
	s_delay_alu instid0(VALU_DEP_2) | instskip(NEXT) | instid1(VALU_DEP_2)
	v_dual_mov_b32 v127, v121 :: v_dual_mov_b32 v121, v122
	v_pk_fma_f32 v[124:125], v[122:123], v[78:79], v[124:125] op_sel_hi:[1,1,0] neg_lo:[0,0,1] neg_hi:[0,0,1]
	v_mul_f32_e32 v122, v123, v110
	s_delay_alu instid0(VALU_DEP_3) | instskip(NEXT) | instid1(VALU_DEP_2)
	v_pk_add_f32 v[40:41], v[40:41], v[126:127] neg_lo:[0,1] neg_hi:[0,1]
	v_pk_fma_f32 v[120:121], v[120:121], v[78:79], v[122:123] op_sel_hi:[1,1,0]
	s_delay_alu instid0(VALU_DEP_1) | instskip(SKIP_4) | instid1(VALU_DEP_1)
	v_mov_b32_e32 v125, v121
	ds_load_2addr_b64 v[120:123], v114 offset0:43 offset1:44
	v_pk_add_f32 v[42:43], v[42:43], v[124:125] neg_lo:[0,1] neg_hi:[0,1]
	s_wait_dscnt 0x0
	v_pk_mul_f32 v[124:125], v[120:121], v[112:113] op_sel:[0,1]
	v_pk_fma_f32 v[126:127], v[120:121], v[110:111], v[124:125] op_sel:[0,0,1] op_sel_hi:[1,1,0] neg_lo:[0,0,1] neg_hi:[0,0,1]
	v_pk_fma_f32 v[120:121], v[120:121], v[110:111], v[124:125] op_sel:[0,0,1] op_sel_hi:[1,0,0]
	s_delay_alu instid0(VALU_DEP_1) | instskip(SKIP_1) | instid1(VALU_DEP_1)
	v_mov_b32_e32 v127, v121
	v_pk_mul_f32 v[120:121], v[122:123], v[112:113] op_sel:[0,1]
	v_pk_fma_f32 v[124:125], v[122:123], v[110:111], v[120:121] op_sel:[0,0,1] op_sel_hi:[1,1,0] neg_lo:[0,0,1] neg_hi:[0,0,1]
	v_pk_fma_f32 v[120:121], v[122:123], v[110:111], v[120:121] op_sel:[0,0,1] op_sel_hi:[1,0,0]
	s_delay_alu instid0(VALU_DEP_1)
	v_mov_b32_e32 v125, v121
	ds_load_2addr_b64 v[120:123], v114 offset0:45 offset1:46
	v_pk_add_f32 v[6:7], v[6:7], v[126:127] neg_lo:[0,1] neg_hi:[0,1]
	v_pk_add_f32 v[36:37], v[36:37], v[124:125] neg_lo:[0,1] neg_hi:[0,1]
	s_wait_dscnt 0x0
	v_pk_mul_f32 v[124:125], v[120:121], v[112:113] op_sel:[0,1]
	s_delay_alu instid0(VALU_DEP_1) | instskip(SKIP_1) | instid1(VALU_DEP_1)
	v_pk_fma_f32 v[126:127], v[120:121], v[110:111], v[124:125] op_sel:[0,0,1] op_sel_hi:[1,1,0] neg_lo:[0,0,1] neg_hi:[0,0,1]
	v_pk_fma_f32 v[120:121], v[120:121], v[110:111], v[124:125] op_sel:[0,0,1] op_sel_hi:[1,0,0]
	v_mov_b32_e32 v127, v121
	v_pk_mul_f32 v[120:121], v[122:123], v[112:113] op_sel:[0,1]
	s_delay_alu instid0(VALU_DEP_1) | instskip(SKIP_1) | instid1(VALU_DEP_1)
	v_pk_fma_f32 v[124:125], v[122:123], v[110:111], v[120:121] op_sel:[0,0,1] op_sel_hi:[1,1,0] neg_lo:[0,0,1] neg_hi:[0,0,1]
	v_pk_fma_f32 v[120:121], v[122:123], v[110:111], v[120:121] op_sel:[0,0,1] op_sel_hi:[1,0,0]
	v_mov_b32_e32 v125, v121
	ds_load_2addr_b64 v[120:123], v114 offset0:47 offset1:48
	v_pk_add_f32 v[30:31], v[30:31], v[126:127] neg_lo:[0,1] neg_hi:[0,1]
	v_pk_add_f32 v[34:35], v[34:35], v[124:125] neg_lo:[0,1] neg_hi:[0,1]
	s_wait_dscnt 0x0
	v_dual_mul_f32 v124, v121, v113 :: v_dual_mul_f32 v126, v121, v110
	s_delay_alu instid0(VALU_DEP_1) | instskip(NEXT) | instid1(VALU_DEP_2)
	v_pk_fma_f32 v[124:125], v[120:121], v[78:79], v[124:125] op_sel_hi:[1,1,0] neg_lo:[0,0,1] neg_hi:[0,0,1]
	v_pk_fma_f32 v[120:121], v[120:121], v[78:79], v[126:127] op_sel:[1,0,0] op_sel_hi:[0,1,0]
	s_delay_alu instid0(VALU_DEP_1) | instskip(SKIP_1) | instid1(VALU_DEP_2)
	v_mov_b32_e32 v125, v121
	v_pk_mul_f32 v[120:121], v[122:123], v[112:113] op_sel:[0,1]
	v_pk_add_f32 v[8:9], v[8:9], v[124:125] neg_lo:[0,1] neg_hi:[0,1]
	s_delay_alu instid0(VALU_DEP_2) | instskip(SKIP_1) | instid1(VALU_DEP_1)
	v_pk_fma_f32 v[124:125], v[122:123], v[110:111], v[120:121] op_sel:[0,0,1] op_sel_hi:[1,1,0] neg_lo:[0,0,1] neg_hi:[0,0,1]
	v_pk_fma_f32 v[120:121], v[122:123], v[110:111], v[120:121] op_sel:[0,0,1] op_sel_hi:[1,0,0]
	v_mov_b32_e32 v125, v121
	ds_load_2addr_b64 v[120:123], v114 offset0:49 offset1:50
	v_pk_add_f32 v[28:29], v[28:29], v[124:125] neg_lo:[0,1] neg_hi:[0,1]
	s_wait_dscnt 0x0
	v_pk_mul_f32 v[124:125], v[120:121], v[112:113] op_sel:[0,1]
	s_delay_alu instid0(VALU_DEP_1) | instskip(SKIP_1) | instid1(VALU_DEP_1)
	v_pk_fma_f32 v[126:127], v[120:121], v[110:111], v[124:125] op_sel:[0,0,1] op_sel_hi:[1,1,0] neg_lo:[0,0,1] neg_hi:[0,0,1]
	v_pk_fma_f32 v[120:121], v[120:121], v[110:111], v[124:125] op_sel:[0,0,1] op_sel_hi:[1,0,0]
	v_mov_b32_e32 v127, v121
	v_pk_mul_f32 v[120:121], v[122:123], v[112:113] op_sel:[0,1]
	s_delay_alu instid0(VALU_DEP_2) | instskip(NEXT) | instid1(VALU_DEP_2)
	v_pk_add_f32 v[16:17], v[16:17], v[126:127] neg_lo:[0,1] neg_hi:[0,1]
	v_pk_fma_f32 v[124:125], v[122:123], v[110:111], v[120:121] op_sel:[0,0,1] op_sel_hi:[1,1,0] neg_lo:[0,0,1] neg_hi:[0,0,1]
	v_pk_fma_f32 v[120:121], v[122:123], v[110:111], v[120:121] op_sel:[0,0,1] op_sel_hi:[1,0,0]
	s_delay_alu instid0(VALU_DEP_1) | instskip(SKIP_4) | instid1(VALU_DEP_1)
	v_mov_b32_e32 v125, v121
	ds_load_b64 v[120:121], v114 offset:408
	v_pk_add_f32 v[14:15], v[14:15], v[124:125] neg_lo:[0,1] neg_hi:[0,1]
	s_wait_dscnt 0x0
	v_pk_mul_f32 v[112:113], v[120:121], v[112:113] op_sel:[0,1]
	v_pk_fma_f32 v[122:123], v[120:121], v[110:111], v[112:113] op_sel:[0,0,1] op_sel_hi:[1,1,0] neg_lo:[0,0,1] neg_hi:[0,0,1]
	v_pk_fma_f32 v[110:111], v[120:121], v[110:111], v[112:113] op_sel:[0,0,1] op_sel_hi:[1,0,0]
	s_delay_alu instid0(VALU_DEP_1) | instskip(NEXT) | instid1(VALU_DEP_1)
	v_mov_b32_e32 v123, v111
	v_pk_add_f32 v[108:109], v[108:109], v[122:123] neg_lo:[0,1] neg_hi:[0,1]
.LBB102_398:
	s_or_b32 exec_lo, exec_lo, s0
	v_lshl_add_u32 v110, v118, 3, v114
	s_barrier_signal -1
	s_barrier_wait -1
	ds_store_b64 v110, v[24:25]
	s_wait_dscnt 0x0
	s_barrier_signal -1
	s_barrier_wait -1
	ds_load_b64 v[112:113], v114 offset:152
	v_mov_b32_e32 v110, 19
	s_cmp_lt_i32 s18, 21
	s_cbranch_scc1 .LBB102_401
; %bb.399:
	v_add3_u32 v111, v115, 0, 0xa0
	v_mov_b32_e32 v110, 19
	s_mov_b32 s0, 20
.LBB102_400:                            ; =>This Inner Loop Header: Depth=1
	ds_load_b64 v[120:121], v111
	s_wait_dscnt 0x1
	v_cmp_gt_f32_e32 vcc_lo, 0, v112
	v_cndmask_b32_e64 v122, v112, -v112, vcc_lo
	v_cmp_gt_f32_e32 vcc_lo, 0, v113
	v_cndmask_b32_e64 v124, v113, -v113, vcc_lo
	s_wait_dscnt 0x0
	v_cmp_gt_f32_e32 vcc_lo, 0, v120
	v_cndmask_b32_e64 v123, v120, -v120, vcc_lo
	v_cmp_gt_f32_e32 vcc_lo, 0, v121
	v_cndmask_b32_e64 v125, v121, -v121, vcc_lo
	s_delay_alu instid0(VALU_DEP_1) | instskip(NEXT) | instid1(VALU_DEP_1)
	v_pk_add_f32 v[122:123], v[122:123], v[124:125]
	v_cmp_lt_f32_e32 vcc_lo, v122, v123
	v_dual_add_nc_u32 v111, 8, v111 :: v_dual_cndmask_b32 v113, v113, v121, vcc_lo
	v_cndmask_b32_e32 v112, v112, v120, vcc_lo
	v_cndmask_b32_e64 v110, v110, s0, vcc_lo
	s_add_co_i32 s0, s0, 1
	s_delay_alu instid0(SALU_CYCLE_1)
	s_cmp_lg_u32 s18, s0
	s_cbranch_scc1 .LBB102_400
.LBB102_401:
	s_wait_dscnt 0x0
	v_cmp_eq_f32_e32 vcc_lo, 0, v112
	v_cmp_eq_f32_e64 s0, 0, v113
	s_and_b32 s0, vcc_lo, s0
	s_delay_alu instid0(SALU_CYCLE_1) | instskip(NEXT) | instid1(SALU_CYCLE_1)
	s_and_saveexec_b32 s1, s0
	s_xor_b32 s0, exec_lo, s1
; %bb.402:
	v_cmp_ne_u32_e32 vcc_lo, 0, v116
	v_cndmask_b32_e32 v116, 20, v116, vcc_lo
; %bb.403:
	s_and_not1_saveexec_b32 s0, s0
	s_cbranch_execz .LBB102_409
; %bb.404:
	v_cmp_ngt_f32_e64 s1, |v112|, |v113|
	s_and_saveexec_b32 s12, s1
	s_delay_alu instid0(SALU_CYCLE_1)
	s_xor_b32 s1, exec_lo, s12
	s_cbranch_execz .LBB102_406
; %bb.405:
	v_div_scale_f32 v111, null, v113, v113, v112
	v_div_scale_f32 v121, vcc_lo, v112, v113, v112
	s_delay_alu instid0(VALU_DEP_2) | instskip(SKIP_1) | instid1(TRANS32_DEP_1)
	v_rcp_f32_e32 v119, v111
	v_nop
	v_fma_f32 v120, -v111, v119, 1.0
	s_delay_alu instid0(VALU_DEP_1) | instskip(NEXT) | instid1(VALU_DEP_1)
	v_fmac_f32_e32 v119, v120, v119
	v_mul_f32_e32 v120, v121, v119
	s_delay_alu instid0(VALU_DEP_1) | instskip(NEXT) | instid1(VALU_DEP_1)
	v_fma_f32 v122, -v111, v120, v121
	v_fmac_f32_e32 v120, v122, v119
	s_delay_alu instid0(VALU_DEP_1) | instskip(NEXT) | instid1(VALU_DEP_1)
	v_fma_f32 v111, -v111, v120, v121
	v_div_fmas_f32 v111, v111, v119, v120
	s_delay_alu instid0(VALU_DEP_1) | instskip(NEXT) | instid1(VALU_DEP_1)
	v_div_fixup_f32 v111, v111, v113, v112
	v_fmac_f32_e32 v113, v112, v111
	s_delay_alu instid0(VALU_DEP_1) | instskip(SKIP_1) | instid1(VALU_DEP_2)
	v_div_scale_f32 v112, null, v113, v113, 1.0
	v_div_scale_f32 v121, vcc_lo, 1.0, v113, 1.0
	v_rcp_f32_e32 v119, v112
	v_nop
	s_delay_alu instid0(TRANS32_DEP_1) | instskip(NEXT) | instid1(VALU_DEP_1)
	v_fma_f32 v120, -v112, v119, 1.0
	v_fmac_f32_e32 v119, v120, v119
	s_delay_alu instid0(VALU_DEP_1) | instskip(NEXT) | instid1(VALU_DEP_1)
	v_mul_f32_e32 v120, v121, v119
	v_fma_f32 v122, -v112, v120, v121
	s_delay_alu instid0(VALU_DEP_1) | instskip(NEXT) | instid1(VALU_DEP_1)
	v_fmac_f32_e32 v120, v122, v119
	v_fma_f32 v112, -v112, v120, v121
	s_delay_alu instid0(VALU_DEP_1) | instskip(NEXT) | instid1(VALU_DEP_1)
	v_div_fmas_f32 v112, v112, v119, v120
	v_div_fixup_f32 v113, v112, v113, 1.0
	s_delay_alu instid0(VALU_DEP_1)
	v_mul_f32_e32 v112, v111, v113
	v_xor_b32_e32 v113, 0x80000000, v113
.LBB102_406:
	s_and_not1_saveexec_b32 s1, s1
	s_cbranch_execz .LBB102_408
; %bb.407:
	s_delay_alu instid0(VALU_DEP_1) | instskip(SKIP_1) | instid1(VALU_DEP_2)
	v_div_scale_f32 v111, null, v112, v112, v113
	v_div_scale_f32 v121, vcc_lo, v113, v112, v113
	v_rcp_f32_e32 v119, v111
	v_nop
	s_delay_alu instid0(TRANS32_DEP_1) | instskip(NEXT) | instid1(VALU_DEP_1)
	v_fma_f32 v120, -v111, v119, 1.0
	v_fmac_f32_e32 v119, v120, v119
	s_delay_alu instid0(VALU_DEP_1) | instskip(NEXT) | instid1(VALU_DEP_1)
	v_mul_f32_e32 v120, v121, v119
	v_fma_f32 v122, -v111, v120, v121
	s_delay_alu instid0(VALU_DEP_1) | instskip(NEXT) | instid1(VALU_DEP_1)
	v_fmac_f32_e32 v120, v122, v119
	v_fma_f32 v111, -v111, v120, v121
	s_delay_alu instid0(VALU_DEP_1) | instskip(NEXT) | instid1(VALU_DEP_1)
	v_div_fmas_f32 v111, v111, v119, v120
	v_div_fixup_f32 v111, v111, v112, v113
	s_delay_alu instid0(VALU_DEP_1) | instskip(NEXT) | instid1(VALU_DEP_1)
	v_fmac_f32_e32 v112, v113, v111
	v_div_scale_f32 v113, null, v112, v112, 1.0
	s_delay_alu instid0(VALU_DEP_1) | instskip(SKIP_1) | instid1(TRANS32_DEP_1)
	v_rcp_f32_e32 v119, v113
	v_nop
	v_fma_f32 v120, -v113, v119, 1.0
	s_delay_alu instid0(VALU_DEP_1) | instskip(SKIP_1) | instid1(VALU_DEP_1)
	v_fmac_f32_e32 v119, v120, v119
	v_div_scale_f32 v120, vcc_lo, 1.0, v112, 1.0
	v_mul_f32_e32 v121, v120, v119
	s_delay_alu instid0(VALU_DEP_1) | instskip(NEXT) | instid1(VALU_DEP_1)
	v_fma_f32 v122, -v113, v121, v120
	v_fmac_f32_e32 v121, v122, v119
	s_delay_alu instid0(VALU_DEP_1) | instskip(NEXT) | instid1(VALU_DEP_1)
	v_fma_f32 v113, -v113, v121, v120
	v_div_fmas_f32 v113, v113, v119, v121
	s_delay_alu instid0(VALU_DEP_1) | instskip(NEXT) | instid1(VALU_DEP_1)
	v_div_fixup_f32 v112, v113, v112, 1.0
	v_mul_f32_e64 v113, v111, -v112
.LBB102_408:
	s_or_b32 exec_lo, exec_lo, s1
.LBB102_409:
	s_delay_alu instid0(SALU_CYCLE_1) | instskip(NEXT) | instid1(SALU_CYCLE_1)
	s_or_b32 exec_lo, exec_lo, s0
	s_mov_b32 s0, exec_lo
	v_cmpx_ne_u32_e64 v118, v110
	s_xor_b32 s0, exec_lo, s0
	s_cbranch_execz .LBB102_415
; %bb.410:
	s_mov_b32 s1, exec_lo
	v_cmpx_eq_u32_e32 19, v118
	s_cbranch_execz .LBB102_414
; %bb.411:
	v_cmp_ne_u32_e32 vcc_lo, 19, v110
	s_xor_b32 s12, s16, -1
	s_delay_alu instid0(SALU_CYCLE_1) | instskip(NEXT) | instid1(SALU_CYCLE_1)
	s_and_b32 s13, s12, vcc_lo
	s_and_saveexec_b32 s12, s13
	s_cbranch_execz .LBB102_413
; %bb.412:
	v_ashrrev_i32_e32 v111, 31, v110
	s_delay_alu instid0(VALU_DEP_1)
	v_lshl_add_u64 v[118:119], v[110:111], 2, v[4:5]
	s_clause 0x1
	global_load_b32 v111, v[118:119], off
	global_load_b32 v117, v[4:5], off offset:76
	s_wait_loadcnt 0x1
	global_store_b32 v[4:5], v111, off offset:76
	s_wait_loadcnt 0x0
	global_store_b32 v[118:119], v117, off
.LBB102_413:
	s_wait_xcnt 0x0
	s_or_b32 exec_lo, exec_lo, s12
	v_dual_mov_b32 v118, v110 :: v_dual_mov_b32 v117, v110
.LBB102_414:
	s_or_b32 exec_lo, exec_lo, s1
.LBB102_415:
	s_and_not1_saveexec_b32 s0, s0
	s_cbranch_execz .LBB102_417
; %bb.416:
	v_dual_mov_b32 v110, v74 :: v_dual_mov_b32 v111, v75
	v_dual_mov_b32 v118, v70 :: v_dual_mov_b32 v119, v71
	;; [unrolled: 1-line block ×12, first 2 shown]
	ds_store_2addr_b64 v114, v[110:111], v[118:119] offset0:20 offset1:21
	ds_store_2addr_b64 v114, v[120:121], v[122:123] offset0:22 offset1:23
	;; [unrolled: 1-line block ×6, first 2 shown]
	v_dual_mov_b32 v110, v56 :: v_dual_mov_b32 v111, v57
	v_dual_mov_b32 v118, v52 :: v_dual_mov_b32 v119, v53
	;; [unrolled: 1-line block ×12, first 2 shown]
	ds_store_2addr_b64 v114, v[110:111], v[118:119] offset0:32 offset1:33
	ds_store_2addr_b64 v114, v[120:121], v[122:123] offset0:34 offset1:35
	;; [unrolled: 1-line block ×6, first 2 shown]
	v_dual_mov_b32 v110, v36 :: v_dual_mov_b32 v111, v37
	v_dual_mov_b32 v120, v30 :: v_dual_mov_b32 v121, v31
	;; [unrolled: 1-line block ×7, first 2 shown]
	v_mov_b32_e32 v131, v15
	ds_store_2addr_b64 v114, v[110:111], v[120:121] offset0:44 offset1:45
	ds_store_2addr_b64 v114, v[122:123], v[124:125] offset0:46 offset1:47
	;; [unrolled: 1-line block ×4, first 2 shown]
.LBB102_417:
	s_or_b32 exec_lo, exec_lo, s0
	s_delay_alu instid0(SALU_CYCLE_1)
	s_mov_b32 s0, exec_lo
	s_wait_storecnt_dscnt 0x0
	s_barrier_signal -1
	s_barrier_wait -1
	v_cmpx_lt_i32_e32 19, v118
	s_cbranch_execz .LBB102_419
; %bb.418:
	v_pk_mul_f32 v[120:121], v[112:113], v[24:25] op_sel:[1,1] op_sel_hi:[0,1]
	s_delay_alu instid0(VALU_DEP_1)
	v_pk_fma_f32 v[110:111], v[112:113], v[24:25], v[120:121] op_sel_hi:[1,0,1] neg_lo:[0,0,1] neg_hi:[0,0,1]
	v_pk_fma_f32 v[112:113], v[112:113], v[24:25], v[120:121] op_sel_hi:[1,0,1]
	ds_load_2addr_b64 v[120:123], v114 offset0:20 offset1:21
	v_dual_mov_b32 v24, v110 :: v_dual_mov_b32 v25, v113
	s_wait_dscnt 0x0
	v_pk_mul_f32 v[124:125], v[120:121], v[112:113] op_sel:[0,1]
	s_delay_alu instid0(VALU_DEP_1) | instskip(SKIP_1) | instid1(VALU_DEP_1)
	v_pk_fma_f32 v[126:127], v[120:121], v[110:111], v[124:125] op_sel:[0,0,1] op_sel_hi:[1,1,0] neg_lo:[0,0,1] neg_hi:[0,0,1]
	v_pk_fma_f32 v[120:121], v[120:121], v[110:111], v[124:125] op_sel:[0,0,1] op_sel_hi:[1,0,0]
	v_mov_b32_e32 v127, v121
	v_pk_mul_f32 v[120:121], v[122:123], v[112:113] op_sel:[0,1]
	s_delay_alu instid0(VALU_DEP_1) | instskip(SKIP_1) | instid1(VALU_DEP_1)
	v_pk_fma_f32 v[124:125], v[122:123], v[110:111], v[120:121] op_sel:[0,0,1] op_sel_hi:[1,1,0] neg_lo:[0,0,1] neg_hi:[0,0,1]
	v_pk_fma_f32 v[120:121], v[122:123], v[110:111], v[120:121] op_sel:[0,0,1] op_sel_hi:[1,0,0]
	v_mov_b32_e32 v125, v121
	ds_load_2addr_b64 v[120:123], v114 offset0:22 offset1:23
	v_pk_add_f32 v[74:75], v[74:75], v[126:127] neg_lo:[0,1] neg_hi:[0,1]
	v_pk_add_f32 v[70:71], v[70:71], v[124:125] neg_lo:[0,1] neg_hi:[0,1]
	s_wait_dscnt 0x0
	v_pk_mul_f32 v[124:125], v[120:121], v[112:113] op_sel:[0,1]
	s_delay_alu instid0(VALU_DEP_1) | instskip(SKIP_2) | instid1(VALU_DEP_2)
	v_pk_fma_f32 v[126:127], v[120:121], v[110:111], v[124:125] op_sel:[0,0,1] op_sel_hi:[1,1,0] neg_lo:[0,0,1] neg_hi:[0,0,1]
	v_pk_fma_f32 v[120:121], v[120:121], v[110:111], v[124:125] op_sel:[0,0,1] op_sel_hi:[1,0,0]
	v_dual_mul_f32 v124, v123, v113 :: v_dual_mov_b32 v120, v123
	v_dual_mov_b32 v127, v121 :: v_dual_mov_b32 v121, v122
	s_delay_alu instid0(VALU_DEP_2) | instskip(SKIP_1) | instid1(VALU_DEP_3)
	v_pk_fma_f32 v[124:125], v[122:123], v[24:25], v[124:125] op_sel_hi:[1,1,0] neg_lo:[0,0,1] neg_hi:[0,0,1]
	v_mul_f32_e32 v122, v123, v110
	v_pk_add_f32 v[72:73], v[72:73], v[126:127] neg_lo:[0,1] neg_hi:[0,1]
	s_delay_alu instid0(VALU_DEP_2) | instskip(NEXT) | instid1(VALU_DEP_1)
	v_pk_fma_f32 v[120:121], v[120:121], v[24:25], v[122:123] op_sel_hi:[1,1,0]
	v_mov_b32_e32 v125, v121
	ds_load_2addr_b64 v[120:123], v114 offset0:24 offset1:25
	v_pk_add_f32 v[22:23], v[22:23], v[124:125] neg_lo:[0,1] neg_hi:[0,1]
	s_wait_dscnt 0x0
	v_pk_mul_f32 v[124:125], v[120:121], v[112:113] op_sel:[0,1]
	s_delay_alu instid0(VALU_DEP_1) | instskip(SKIP_1) | instid1(VALU_DEP_1)
	v_pk_fma_f32 v[126:127], v[120:121], v[110:111], v[124:125] op_sel:[0,0,1] op_sel_hi:[1,1,0] neg_lo:[0,0,1] neg_hi:[0,0,1]
	v_pk_fma_f32 v[120:121], v[120:121], v[110:111], v[124:125] op_sel:[0,0,1] op_sel_hi:[1,0,0]
	v_mov_b32_e32 v127, v121
	v_pk_mul_f32 v[120:121], v[122:123], v[112:113] op_sel:[0,1]
	s_delay_alu instid0(VALU_DEP_1) | instskip(SKIP_1) | instid1(VALU_DEP_1)
	v_pk_fma_f32 v[124:125], v[122:123], v[110:111], v[120:121] op_sel:[0,0,1] op_sel_hi:[1,1,0] neg_lo:[0,0,1] neg_hi:[0,0,1]
	v_pk_fma_f32 v[120:121], v[122:123], v[110:111], v[120:121] op_sel:[0,0,1] op_sel_hi:[1,0,0]
	v_mov_b32_e32 v125, v121
	ds_load_2addr_b64 v[120:123], v114 offset0:26 offset1:27
	v_pk_add_f32 v[68:69], v[68:69], v[126:127] neg_lo:[0,1] neg_hi:[0,1]
	v_pk_add_f32 v[64:65], v[64:65], v[124:125] neg_lo:[0,1] neg_hi:[0,1]
	s_wait_dscnt 0x0
	v_pk_mul_f32 v[124:125], v[120:121], v[112:113] op_sel:[0,1]
	s_delay_alu instid0(VALU_DEP_1) | instskip(SKIP_1) | instid1(VALU_DEP_1)
	v_pk_fma_f32 v[126:127], v[120:121], v[110:111], v[124:125] op_sel:[0,0,1] op_sel_hi:[1,1,0] neg_lo:[0,0,1] neg_hi:[0,0,1]
	v_pk_fma_f32 v[120:121], v[120:121], v[110:111], v[124:125] op_sel:[0,0,1] op_sel_hi:[1,0,0]
	v_mov_b32_e32 v127, v121
	v_pk_mul_f32 v[120:121], v[122:123], v[112:113] op_sel:[0,1]
	s_delay_alu instid0(VALU_DEP_1) | instskip(SKIP_1) | instid1(VALU_DEP_1)
	v_pk_fma_f32 v[124:125], v[122:123], v[110:111], v[120:121] op_sel:[0,0,1] op_sel_hi:[1,1,0] neg_lo:[0,0,1] neg_hi:[0,0,1]
	v_pk_fma_f32 v[120:121], v[122:123], v[110:111], v[120:121] op_sel:[0,0,1] op_sel_hi:[1,0,0]
	v_mov_b32_e32 v125, v121
	ds_load_2addr_b64 v[120:123], v114 offset0:28 offset1:29
	v_pk_add_f32 v[66:67], v[66:67], v[126:127] neg_lo:[0,1] neg_hi:[0,1]
	v_pk_add_f32 v[20:21], v[20:21], v[124:125] neg_lo:[0,1] neg_hi:[0,1]
	s_wait_dscnt 0x0
	v_dual_mul_f32 v124, v121, v113 :: v_dual_mul_f32 v126, v121, v110
	s_delay_alu instid0(VALU_DEP_1) | instskip(NEXT) | instid1(VALU_DEP_2)
	v_pk_fma_f32 v[124:125], v[120:121], v[24:25], v[124:125] op_sel_hi:[1,1,0] neg_lo:[0,0,1] neg_hi:[0,0,1]
	v_pk_fma_f32 v[120:121], v[120:121], v[24:25], v[126:127] op_sel:[1,0,0] op_sel_hi:[0,1,0]
	s_delay_alu instid0(VALU_DEP_1) | instskip(SKIP_1) | instid1(VALU_DEP_2)
	v_mov_b32_e32 v125, v121
	v_pk_mul_f32 v[120:121], v[122:123], v[112:113] op_sel:[0,1]
	v_pk_add_f32 v[62:63], v[62:63], v[124:125] neg_lo:[0,1] neg_hi:[0,1]
	s_delay_alu instid0(VALU_DEP_2) | instskip(SKIP_1) | instid1(VALU_DEP_1)
	v_pk_fma_f32 v[124:125], v[122:123], v[110:111], v[120:121] op_sel:[0,0,1] op_sel_hi:[1,1,0] neg_lo:[0,0,1] neg_hi:[0,0,1]
	v_pk_fma_f32 v[120:121], v[122:123], v[110:111], v[120:121] op_sel:[0,0,1] op_sel_hi:[1,0,0]
	v_mov_b32_e32 v125, v121
	ds_load_2addr_b64 v[120:123], v114 offset0:30 offset1:31
	v_pk_add_f32 v[58:59], v[58:59], v[124:125] neg_lo:[0,1] neg_hi:[0,1]
	s_wait_dscnt 0x0
	v_pk_mul_f32 v[124:125], v[120:121], v[112:113] op_sel:[0,1]
	s_delay_alu instid0(VALU_DEP_1) | instskip(SKIP_1) | instid1(VALU_DEP_1)
	v_pk_fma_f32 v[126:127], v[120:121], v[110:111], v[124:125] op_sel:[0,0,1] op_sel_hi:[1,1,0] neg_lo:[0,0,1] neg_hi:[0,0,1]
	v_pk_fma_f32 v[120:121], v[120:121], v[110:111], v[124:125] op_sel:[0,0,1] op_sel_hi:[1,0,0]
	v_mov_b32_e32 v127, v121
	v_pk_mul_f32 v[120:121], v[122:123], v[112:113] op_sel:[0,1]
	s_delay_alu instid0(VALU_DEP_2) | instskip(NEXT) | instid1(VALU_DEP_2)
	v_pk_add_f32 v[60:61], v[60:61], v[126:127] neg_lo:[0,1] neg_hi:[0,1]
	v_pk_fma_f32 v[124:125], v[122:123], v[110:111], v[120:121] op_sel:[0,0,1] op_sel_hi:[1,1,0] neg_lo:[0,0,1] neg_hi:[0,0,1]
	v_pk_fma_f32 v[120:121], v[122:123], v[110:111], v[120:121] op_sel:[0,0,1] op_sel_hi:[1,0,0]
	s_delay_alu instid0(VALU_DEP_1) | instskip(SKIP_4) | instid1(VALU_DEP_1)
	v_mov_b32_e32 v125, v121
	ds_load_2addr_b64 v[120:123], v114 offset0:32 offset1:33
	v_pk_add_f32 v[18:19], v[18:19], v[124:125] neg_lo:[0,1] neg_hi:[0,1]
	s_wait_dscnt 0x0
	v_pk_mul_f32 v[124:125], v[120:121], v[112:113] op_sel:[0,1]
	v_pk_fma_f32 v[126:127], v[120:121], v[110:111], v[124:125] op_sel:[0,0,1] op_sel_hi:[1,1,0] neg_lo:[0,0,1] neg_hi:[0,0,1]
	v_pk_fma_f32 v[120:121], v[120:121], v[110:111], v[124:125] op_sel:[0,0,1] op_sel_hi:[1,0,0]
	v_dual_mul_f32 v124, v123, v113 :: v_dual_mov_b32 v120, v123
	s_delay_alu instid0(VALU_DEP_2) | instskip(NEXT) | instid1(VALU_DEP_2)
	v_dual_mov_b32 v127, v121 :: v_dual_mov_b32 v121, v122
	v_pk_fma_f32 v[124:125], v[122:123], v[24:25], v[124:125] op_sel_hi:[1,1,0] neg_lo:[0,0,1] neg_hi:[0,0,1]
	v_mul_f32_e32 v122, v123, v110
	s_delay_alu instid0(VALU_DEP_3) | instskip(NEXT) | instid1(VALU_DEP_2)
	v_pk_add_f32 v[56:57], v[56:57], v[126:127] neg_lo:[0,1] neg_hi:[0,1]
	v_pk_fma_f32 v[120:121], v[120:121], v[24:25], v[122:123] op_sel_hi:[1,1,0]
	s_delay_alu instid0(VALU_DEP_1) | instskip(SKIP_4) | instid1(VALU_DEP_1)
	v_mov_b32_e32 v125, v121
	ds_load_2addr_b64 v[120:123], v114 offset0:34 offset1:35
	v_pk_add_f32 v[52:53], v[52:53], v[124:125] neg_lo:[0,1] neg_hi:[0,1]
	s_wait_dscnt 0x0
	v_pk_mul_f32 v[124:125], v[120:121], v[112:113] op_sel:[0,1]
	v_pk_fma_f32 v[126:127], v[120:121], v[110:111], v[124:125] op_sel:[0,0,1] op_sel_hi:[1,1,0] neg_lo:[0,0,1] neg_hi:[0,0,1]
	v_pk_fma_f32 v[120:121], v[120:121], v[110:111], v[124:125] op_sel:[0,0,1] op_sel_hi:[1,0,0]
	s_delay_alu instid0(VALU_DEP_1) | instskip(SKIP_1) | instid1(VALU_DEP_1)
	v_mov_b32_e32 v127, v121
	v_pk_mul_f32 v[120:121], v[122:123], v[112:113] op_sel:[0,1]
	v_pk_fma_f32 v[124:125], v[122:123], v[110:111], v[120:121] op_sel:[0,0,1] op_sel_hi:[1,1,0] neg_lo:[0,0,1] neg_hi:[0,0,1]
	v_pk_fma_f32 v[120:121], v[122:123], v[110:111], v[120:121] op_sel:[0,0,1] op_sel_hi:[1,0,0]
	s_delay_alu instid0(VALU_DEP_1)
	v_mov_b32_e32 v125, v121
	ds_load_2addr_b64 v[120:123], v114 offset0:36 offset1:37
	v_pk_add_f32 v[54:55], v[54:55], v[126:127] neg_lo:[0,1] neg_hi:[0,1]
	v_pk_add_f32 v[12:13], v[12:13], v[124:125] neg_lo:[0,1] neg_hi:[0,1]
	s_wait_dscnt 0x0
	v_pk_mul_f32 v[124:125], v[120:121], v[112:113] op_sel:[0,1]
	s_delay_alu instid0(VALU_DEP_1) | instskip(SKIP_1) | instid1(VALU_DEP_1)
	v_pk_fma_f32 v[126:127], v[120:121], v[110:111], v[124:125] op_sel:[0,0,1] op_sel_hi:[1,1,0] neg_lo:[0,0,1] neg_hi:[0,0,1]
	v_pk_fma_f32 v[120:121], v[120:121], v[110:111], v[124:125] op_sel:[0,0,1] op_sel_hi:[1,0,0]
	v_mov_b32_e32 v127, v121
	v_pk_mul_f32 v[120:121], v[122:123], v[112:113] op_sel:[0,1]
	s_delay_alu instid0(VALU_DEP_1) | instskip(SKIP_1) | instid1(VALU_DEP_1)
	v_pk_fma_f32 v[124:125], v[122:123], v[110:111], v[120:121] op_sel:[0,0,1] op_sel_hi:[1,1,0] neg_lo:[0,0,1] neg_hi:[0,0,1]
	v_pk_fma_f32 v[120:121], v[122:123], v[110:111], v[120:121] op_sel:[0,0,1] op_sel_hi:[1,0,0]
	v_mov_b32_e32 v125, v121
	ds_load_2addr_b64 v[120:123], v114 offset0:38 offset1:39
	v_pk_add_f32 v[50:51], v[50:51], v[126:127] neg_lo:[0,1] neg_hi:[0,1]
	v_pk_add_f32 v[46:47], v[46:47], v[124:125] neg_lo:[0,1] neg_hi:[0,1]
	s_wait_dscnt 0x0
	v_dual_mul_f32 v124, v121, v113 :: v_dual_mul_f32 v126, v121, v110
	s_delay_alu instid0(VALU_DEP_1) | instskip(NEXT) | instid1(VALU_DEP_2)
	v_pk_fma_f32 v[124:125], v[120:121], v[24:25], v[124:125] op_sel_hi:[1,1,0] neg_lo:[0,0,1] neg_hi:[0,0,1]
	v_pk_fma_f32 v[120:121], v[120:121], v[24:25], v[126:127] op_sel:[1,0,0] op_sel_hi:[0,1,0]
	s_delay_alu instid0(VALU_DEP_1) | instskip(SKIP_1) | instid1(VALU_DEP_2)
	v_mov_b32_e32 v125, v121
	v_pk_mul_f32 v[120:121], v[122:123], v[112:113] op_sel:[0,1]
	v_pk_add_f32 v[48:49], v[48:49], v[124:125] neg_lo:[0,1] neg_hi:[0,1]
	s_delay_alu instid0(VALU_DEP_2) | instskip(SKIP_1) | instid1(VALU_DEP_1)
	v_pk_fma_f32 v[124:125], v[122:123], v[110:111], v[120:121] op_sel:[0,0,1] op_sel_hi:[1,1,0] neg_lo:[0,0,1] neg_hi:[0,0,1]
	v_pk_fma_f32 v[120:121], v[122:123], v[110:111], v[120:121] op_sel:[0,0,1] op_sel_hi:[1,0,0]
	v_mov_b32_e32 v125, v121
	ds_load_2addr_b64 v[120:123], v114 offset0:40 offset1:41
	v_pk_add_f32 v[10:11], v[10:11], v[124:125] neg_lo:[0,1] neg_hi:[0,1]
	s_wait_dscnt 0x0
	v_pk_mul_f32 v[124:125], v[120:121], v[112:113] op_sel:[0,1]
	s_delay_alu instid0(VALU_DEP_1) | instskip(SKIP_1) | instid1(VALU_DEP_1)
	v_pk_fma_f32 v[126:127], v[120:121], v[110:111], v[124:125] op_sel:[0,0,1] op_sel_hi:[1,1,0] neg_lo:[0,0,1] neg_hi:[0,0,1]
	v_pk_fma_f32 v[120:121], v[120:121], v[110:111], v[124:125] op_sel:[0,0,1] op_sel_hi:[1,0,0]
	v_mov_b32_e32 v127, v121
	v_pk_mul_f32 v[120:121], v[122:123], v[112:113] op_sel:[0,1]
	s_delay_alu instid0(VALU_DEP_2) | instskip(NEXT) | instid1(VALU_DEP_2)
	v_pk_add_f32 v[44:45], v[44:45], v[126:127] neg_lo:[0,1] neg_hi:[0,1]
	v_pk_fma_f32 v[124:125], v[122:123], v[110:111], v[120:121] op_sel:[0,0,1] op_sel_hi:[1,1,0] neg_lo:[0,0,1] neg_hi:[0,0,1]
	v_pk_fma_f32 v[120:121], v[122:123], v[110:111], v[120:121] op_sel:[0,0,1] op_sel_hi:[1,0,0]
	s_delay_alu instid0(VALU_DEP_1) | instskip(SKIP_4) | instid1(VALU_DEP_1)
	v_mov_b32_e32 v125, v121
	ds_load_2addr_b64 v[120:123], v114 offset0:42 offset1:43
	v_pk_add_f32 v[40:41], v[40:41], v[124:125] neg_lo:[0,1] neg_hi:[0,1]
	s_wait_dscnt 0x0
	v_pk_mul_f32 v[124:125], v[120:121], v[112:113] op_sel:[0,1]
	v_pk_fma_f32 v[126:127], v[120:121], v[110:111], v[124:125] op_sel:[0,0,1] op_sel_hi:[1,1,0] neg_lo:[0,0,1] neg_hi:[0,0,1]
	v_pk_fma_f32 v[120:121], v[120:121], v[110:111], v[124:125] op_sel:[0,0,1] op_sel_hi:[1,0,0]
	v_dual_mul_f32 v124, v123, v113 :: v_dual_mov_b32 v120, v123
	s_delay_alu instid0(VALU_DEP_2) | instskip(NEXT) | instid1(VALU_DEP_2)
	v_dual_mov_b32 v127, v121 :: v_dual_mov_b32 v121, v122
	v_pk_fma_f32 v[124:125], v[122:123], v[24:25], v[124:125] op_sel_hi:[1,1,0] neg_lo:[0,0,1] neg_hi:[0,0,1]
	v_mul_f32_e32 v122, v123, v110
	s_delay_alu instid0(VALU_DEP_3) | instskip(NEXT) | instid1(VALU_DEP_2)
	v_pk_add_f32 v[42:43], v[42:43], v[126:127] neg_lo:[0,1] neg_hi:[0,1]
	v_pk_fma_f32 v[120:121], v[120:121], v[24:25], v[122:123] op_sel_hi:[1,1,0]
	s_delay_alu instid0(VALU_DEP_1) | instskip(SKIP_4) | instid1(VALU_DEP_1)
	v_mov_b32_e32 v125, v121
	ds_load_2addr_b64 v[120:123], v114 offset0:44 offset1:45
	v_pk_add_f32 v[6:7], v[6:7], v[124:125] neg_lo:[0,1] neg_hi:[0,1]
	s_wait_dscnt 0x0
	v_pk_mul_f32 v[124:125], v[120:121], v[112:113] op_sel:[0,1]
	v_pk_fma_f32 v[126:127], v[120:121], v[110:111], v[124:125] op_sel:[0,0,1] op_sel_hi:[1,1,0] neg_lo:[0,0,1] neg_hi:[0,0,1]
	v_pk_fma_f32 v[120:121], v[120:121], v[110:111], v[124:125] op_sel:[0,0,1] op_sel_hi:[1,0,0]
	s_delay_alu instid0(VALU_DEP_1) | instskip(SKIP_1) | instid1(VALU_DEP_1)
	v_mov_b32_e32 v127, v121
	v_pk_mul_f32 v[120:121], v[122:123], v[112:113] op_sel:[0,1]
	v_pk_fma_f32 v[124:125], v[122:123], v[110:111], v[120:121] op_sel:[0,0,1] op_sel_hi:[1,1,0] neg_lo:[0,0,1] neg_hi:[0,0,1]
	v_pk_fma_f32 v[120:121], v[122:123], v[110:111], v[120:121] op_sel:[0,0,1] op_sel_hi:[1,0,0]
	s_delay_alu instid0(VALU_DEP_1)
	v_mov_b32_e32 v125, v121
	ds_load_2addr_b64 v[120:123], v114 offset0:46 offset1:47
	v_pk_add_f32 v[36:37], v[36:37], v[126:127] neg_lo:[0,1] neg_hi:[0,1]
	v_pk_add_f32 v[30:31], v[30:31], v[124:125] neg_lo:[0,1] neg_hi:[0,1]
	s_wait_dscnt 0x0
	v_pk_mul_f32 v[124:125], v[120:121], v[112:113] op_sel:[0,1]
	s_delay_alu instid0(VALU_DEP_1) | instskip(SKIP_1) | instid1(VALU_DEP_1)
	v_pk_fma_f32 v[126:127], v[120:121], v[110:111], v[124:125] op_sel:[0,0,1] op_sel_hi:[1,1,0] neg_lo:[0,0,1] neg_hi:[0,0,1]
	v_pk_fma_f32 v[120:121], v[120:121], v[110:111], v[124:125] op_sel:[0,0,1] op_sel_hi:[1,0,0]
	v_mov_b32_e32 v127, v121
	v_pk_mul_f32 v[120:121], v[122:123], v[112:113] op_sel:[0,1]
	s_delay_alu instid0(VALU_DEP_1) | instskip(SKIP_1) | instid1(VALU_DEP_1)
	v_pk_fma_f32 v[124:125], v[122:123], v[110:111], v[120:121] op_sel:[0,0,1] op_sel_hi:[1,1,0] neg_lo:[0,0,1] neg_hi:[0,0,1]
	v_pk_fma_f32 v[120:121], v[122:123], v[110:111], v[120:121] op_sel:[0,0,1] op_sel_hi:[1,0,0]
	v_mov_b32_e32 v125, v121
	ds_load_2addr_b64 v[120:123], v114 offset0:48 offset1:49
	v_pk_add_f32 v[34:35], v[34:35], v[126:127] neg_lo:[0,1] neg_hi:[0,1]
	v_pk_add_f32 v[8:9], v[8:9], v[124:125] neg_lo:[0,1] neg_hi:[0,1]
	s_wait_dscnt 0x0
	v_dual_mul_f32 v124, v121, v113 :: v_dual_mul_f32 v126, v121, v110
	s_delay_alu instid0(VALU_DEP_1) | instskip(NEXT) | instid1(VALU_DEP_2)
	v_pk_fma_f32 v[124:125], v[120:121], v[24:25], v[124:125] op_sel_hi:[1,1,0] neg_lo:[0,0,1] neg_hi:[0,0,1]
	v_pk_fma_f32 v[120:121], v[120:121], v[24:25], v[126:127] op_sel:[1,0,0] op_sel_hi:[0,1,0]
	s_delay_alu instid0(VALU_DEP_1) | instskip(SKIP_1) | instid1(VALU_DEP_2)
	v_mov_b32_e32 v125, v121
	v_pk_mul_f32 v[120:121], v[122:123], v[112:113] op_sel:[0,1]
	v_pk_add_f32 v[28:29], v[28:29], v[124:125] neg_lo:[0,1] neg_hi:[0,1]
	s_delay_alu instid0(VALU_DEP_2) | instskip(SKIP_1) | instid1(VALU_DEP_1)
	v_pk_fma_f32 v[124:125], v[122:123], v[110:111], v[120:121] op_sel:[0,0,1] op_sel_hi:[1,1,0] neg_lo:[0,0,1] neg_hi:[0,0,1]
	v_pk_fma_f32 v[120:121], v[122:123], v[110:111], v[120:121] op_sel:[0,0,1] op_sel_hi:[1,0,0]
	v_mov_b32_e32 v125, v121
	ds_load_2addr_b64 v[120:123], v114 offset0:50 offset1:51
	v_pk_add_f32 v[16:17], v[16:17], v[124:125] neg_lo:[0,1] neg_hi:[0,1]
	s_wait_dscnt 0x0
	v_pk_mul_f32 v[124:125], v[120:121], v[112:113] op_sel:[0,1]
	v_pk_mul_f32 v[112:113], v[122:123], v[112:113] op_sel:[0,1]
	s_delay_alu instid0(VALU_DEP_2) | instskip(SKIP_1) | instid1(VALU_DEP_1)
	v_pk_fma_f32 v[126:127], v[120:121], v[110:111], v[124:125] op_sel:[0,0,1] op_sel_hi:[1,1,0] neg_lo:[0,0,1] neg_hi:[0,0,1]
	v_pk_fma_f32 v[120:121], v[120:121], v[110:111], v[124:125] op_sel:[0,0,1] op_sel_hi:[1,0,0]
	v_mov_b32_e32 v127, v121
	s_delay_alu instid0(VALU_DEP_4) | instskip(SKIP_1) | instid1(VALU_DEP_3)
	v_pk_fma_f32 v[120:121], v[122:123], v[110:111], v[112:113] op_sel:[0,0,1] op_sel_hi:[1,1,0] neg_lo:[0,0,1] neg_hi:[0,0,1]
	v_pk_fma_f32 v[110:111], v[122:123], v[110:111], v[112:113] op_sel:[0,0,1] op_sel_hi:[1,0,0]
	v_pk_add_f32 v[14:15], v[14:15], v[126:127] neg_lo:[0,1] neg_hi:[0,1]
	s_delay_alu instid0(VALU_DEP_2) | instskip(NEXT) | instid1(VALU_DEP_1)
	v_mov_b32_e32 v121, v111
	v_pk_add_f32 v[108:109], v[108:109], v[120:121] neg_lo:[0,1] neg_hi:[0,1]
.LBB102_419:
	s_or_b32 exec_lo, exec_lo, s0
	v_lshl_add_u32 v110, v118, 3, v114
	s_barrier_signal -1
	s_barrier_wait -1
	ds_store_b64 v110, v[74:75]
	s_wait_dscnt 0x0
	s_barrier_signal -1
	s_barrier_wait -1
	ds_load_b64 v[112:113], v114 offset:160
	v_mov_b32_e32 v110, 20
	s_cmp_lt_i32 s18, 22
	s_cbranch_scc1 .LBB102_422
; %bb.420:
	v_add3_u32 v111, v115, 0, 0xa8
	v_mov_b32_e32 v110, 20
	s_mov_b32 s0, 21
.LBB102_421:                            ; =>This Inner Loop Header: Depth=1
	ds_load_b64 v[120:121], v111
	s_wait_dscnt 0x1
	v_cmp_gt_f32_e32 vcc_lo, 0, v112
	v_cndmask_b32_e64 v122, v112, -v112, vcc_lo
	v_cmp_gt_f32_e32 vcc_lo, 0, v113
	v_cndmask_b32_e64 v124, v113, -v113, vcc_lo
	s_wait_dscnt 0x0
	v_cmp_gt_f32_e32 vcc_lo, 0, v120
	v_cndmask_b32_e64 v123, v120, -v120, vcc_lo
	v_cmp_gt_f32_e32 vcc_lo, 0, v121
	v_cndmask_b32_e64 v125, v121, -v121, vcc_lo
	s_delay_alu instid0(VALU_DEP_1) | instskip(NEXT) | instid1(VALU_DEP_1)
	v_pk_add_f32 v[122:123], v[122:123], v[124:125]
	v_cmp_lt_f32_e32 vcc_lo, v122, v123
	v_dual_add_nc_u32 v111, 8, v111 :: v_dual_cndmask_b32 v113, v113, v121, vcc_lo
	v_cndmask_b32_e32 v112, v112, v120, vcc_lo
	v_cndmask_b32_e64 v110, v110, s0, vcc_lo
	s_add_co_i32 s0, s0, 1
	s_delay_alu instid0(SALU_CYCLE_1)
	s_cmp_lg_u32 s18, s0
	s_cbranch_scc1 .LBB102_421
.LBB102_422:
	s_wait_dscnt 0x0
	v_cmp_eq_f32_e32 vcc_lo, 0, v112
	v_cmp_eq_f32_e64 s0, 0, v113
	s_and_b32 s0, vcc_lo, s0
	s_delay_alu instid0(SALU_CYCLE_1) | instskip(NEXT) | instid1(SALU_CYCLE_1)
	s_and_saveexec_b32 s1, s0
	s_xor_b32 s0, exec_lo, s1
; %bb.423:
	v_cmp_ne_u32_e32 vcc_lo, 0, v116
	v_cndmask_b32_e32 v116, 21, v116, vcc_lo
; %bb.424:
	s_and_not1_saveexec_b32 s0, s0
	s_cbranch_execz .LBB102_430
; %bb.425:
	v_cmp_ngt_f32_e64 s1, |v112|, |v113|
	s_and_saveexec_b32 s12, s1
	s_delay_alu instid0(SALU_CYCLE_1)
	s_xor_b32 s1, exec_lo, s12
	s_cbranch_execz .LBB102_427
; %bb.426:
	v_div_scale_f32 v111, null, v113, v113, v112
	v_div_scale_f32 v121, vcc_lo, v112, v113, v112
	s_delay_alu instid0(VALU_DEP_2) | instskip(SKIP_1) | instid1(TRANS32_DEP_1)
	v_rcp_f32_e32 v119, v111
	v_nop
	v_fma_f32 v120, -v111, v119, 1.0
	s_delay_alu instid0(VALU_DEP_1) | instskip(NEXT) | instid1(VALU_DEP_1)
	v_fmac_f32_e32 v119, v120, v119
	v_mul_f32_e32 v120, v121, v119
	s_delay_alu instid0(VALU_DEP_1) | instskip(NEXT) | instid1(VALU_DEP_1)
	v_fma_f32 v122, -v111, v120, v121
	v_fmac_f32_e32 v120, v122, v119
	s_delay_alu instid0(VALU_DEP_1) | instskip(NEXT) | instid1(VALU_DEP_1)
	v_fma_f32 v111, -v111, v120, v121
	v_div_fmas_f32 v111, v111, v119, v120
	s_delay_alu instid0(VALU_DEP_1) | instskip(NEXT) | instid1(VALU_DEP_1)
	v_div_fixup_f32 v111, v111, v113, v112
	v_fmac_f32_e32 v113, v112, v111
	s_delay_alu instid0(VALU_DEP_1) | instskip(SKIP_1) | instid1(VALU_DEP_2)
	v_div_scale_f32 v112, null, v113, v113, 1.0
	v_div_scale_f32 v121, vcc_lo, 1.0, v113, 1.0
	v_rcp_f32_e32 v119, v112
	v_nop
	s_delay_alu instid0(TRANS32_DEP_1) | instskip(NEXT) | instid1(VALU_DEP_1)
	v_fma_f32 v120, -v112, v119, 1.0
	v_fmac_f32_e32 v119, v120, v119
	s_delay_alu instid0(VALU_DEP_1) | instskip(NEXT) | instid1(VALU_DEP_1)
	v_mul_f32_e32 v120, v121, v119
	v_fma_f32 v122, -v112, v120, v121
	s_delay_alu instid0(VALU_DEP_1) | instskip(NEXT) | instid1(VALU_DEP_1)
	v_fmac_f32_e32 v120, v122, v119
	v_fma_f32 v112, -v112, v120, v121
	s_delay_alu instid0(VALU_DEP_1) | instskip(NEXT) | instid1(VALU_DEP_1)
	v_div_fmas_f32 v112, v112, v119, v120
	v_div_fixup_f32 v113, v112, v113, 1.0
	s_delay_alu instid0(VALU_DEP_1)
	v_mul_f32_e32 v112, v111, v113
	v_xor_b32_e32 v113, 0x80000000, v113
.LBB102_427:
	s_and_not1_saveexec_b32 s1, s1
	s_cbranch_execz .LBB102_429
; %bb.428:
	s_delay_alu instid0(VALU_DEP_1) | instskip(SKIP_1) | instid1(VALU_DEP_2)
	v_div_scale_f32 v111, null, v112, v112, v113
	v_div_scale_f32 v121, vcc_lo, v113, v112, v113
	v_rcp_f32_e32 v119, v111
	v_nop
	s_delay_alu instid0(TRANS32_DEP_1) | instskip(NEXT) | instid1(VALU_DEP_1)
	v_fma_f32 v120, -v111, v119, 1.0
	v_fmac_f32_e32 v119, v120, v119
	s_delay_alu instid0(VALU_DEP_1) | instskip(NEXT) | instid1(VALU_DEP_1)
	v_mul_f32_e32 v120, v121, v119
	v_fma_f32 v122, -v111, v120, v121
	s_delay_alu instid0(VALU_DEP_1) | instskip(NEXT) | instid1(VALU_DEP_1)
	v_fmac_f32_e32 v120, v122, v119
	v_fma_f32 v111, -v111, v120, v121
	s_delay_alu instid0(VALU_DEP_1) | instskip(NEXT) | instid1(VALU_DEP_1)
	v_div_fmas_f32 v111, v111, v119, v120
	v_div_fixup_f32 v111, v111, v112, v113
	s_delay_alu instid0(VALU_DEP_1) | instskip(NEXT) | instid1(VALU_DEP_1)
	v_fmac_f32_e32 v112, v113, v111
	v_div_scale_f32 v113, null, v112, v112, 1.0
	s_delay_alu instid0(VALU_DEP_1) | instskip(SKIP_1) | instid1(TRANS32_DEP_1)
	v_rcp_f32_e32 v119, v113
	v_nop
	v_fma_f32 v120, -v113, v119, 1.0
	s_delay_alu instid0(VALU_DEP_1) | instskip(SKIP_1) | instid1(VALU_DEP_1)
	v_fmac_f32_e32 v119, v120, v119
	v_div_scale_f32 v120, vcc_lo, 1.0, v112, 1.0
	v_mul_f32_e32 v121, v120, v119
	s_delay_alu instid0(VALU_DEP_1) | instskip(NEXT) | instid1(VALU_DEP_1)
	v_fma_f32 v122, -v113, v121, v120
	v_fmac_f32_e32 v121, v122, v119
	s_delay_alu instid0(VALU_DEP_1) | instskip(NEXT) | instid1(VALU_DEP_1)
	v_fma_f32 v113, -v113, v121, v120
	v_div_fmas_f32 v113, v113, v119, v121
	s_delay_alu instid0(VALU_DEP_1) | instskip(NEXT) | instid1(VALU_DEP_1)
	v_div_fixup_f32 v112, v113, v112, 1.0
	v_mul_f32_e64 v113, v111, -v112
.LBB102_429:
	s_or_b32 exec_lo, exec_lo, s1
.LBB102_430:
	s_delay_alu instid0(SALU_CYCLE_1) | instskip(NEXT) | instid1(SALU_CYCLE_1)
	s_or_b32 exec_lo, exec_lo, s0
	s_mov_b32 s0, exec_lo
	v_cmpx_ne_u32_e64 v118, v110
	s_xor_b32 s0, exec_lo, s0
	s_cbranch_execz .LBB102_436
; %bb.431:
	s_mov_b32 s1, exec_lo
	v_cmpx_eq_u32_e32 20, v118
	s_cbranch_execz .LBB102_435
; %bb.432:
	v_cmp_ne_u32_e32 vcc_lo, 20, v110
	s_xor_b32 s12, s16, -1
	s_delay_alu instid0(SALU_CYCLE_1) | instskip(NEXT) | instid1(SALU_CYCLE_1)
	s_and_b32 s13, s12, vcc_lo
	s_and_saveexec_b32 s12, s13
	s_cbranch_execz .LBB102_434
; %bb.433:
	v_ashrrev_i32_e32 v111, 31, v110
	s_delay_alu instid0(VALU_DEP_1)
	v_lshl_add_u64 v[118:119], v[110:111], 2, v[4:5]
	s_clause 0x1
	global_load_b32 v111, v[118:119], off
	global_load_b32 v117, v[4:5], off offset:80
	s_wait_loadcnt 0x1
	global_store_b32 v[4:5], v111, off offset:80
	s_wait_loadcnt 0x0
	global_store_b32 v[118:119], v117, off
.LBB102_434:
	s_wait_xcnt 0x0
	s_or_b32 exec_lo, exec_lo, s12
	v_dual_mov_b32 v118, v110 :: v_dual_mov_b32 v117, v110
.LBB102_435:
	s_or_b32 exec_lo, exec_lo, s1
.LBB102_436:
	s_and_not1_saveexec_b32 s0, s0
	s_cbranch_execz .LBB102_438
; %bb.437:
	v_mov_b32_e32 v118, 20
	ds_store_2addr_b64 v114, v[70:71], v[72:73] offset0:21 offset1:22
	ds_store_2addr_b64 v114, v[22:23], v[68:69] offset0:23 offset1:24
	;; [unrolled: 1-line block ×15, first 2 shown]
	ds_store_b64 v114, v[108:109] offset:408
.LBB102_438:
	s_or_b32 exec_lo, exec_lo, s0
	s_delay_alu instid0(SALU_CYCLE_1)
	s_mov_b32 s0, exec_lo
	s_wait_storecnt_dscnt 0x0
	s_barrier_signal -1
	s_barrier_wait -1
	v_cmpx_lt_i32_e32 20, v118
	s_cbranch_execz .LBB102_440
; %bb.439:
	v_pk_mul_f32 v[120:121], v[112:113], v[74:75] op_sel:[1,1] op_sel_hi:[0,1]
	s_delay_alu instid0(VALU_DEP_1)
	v_pk_fma_f32 v[110:111], v[112:113], v[74:75], v[120:121] op_sel_hi:[1,0,1] neg_lo:[0,0,1] neg_hi:[0,0,1]
	v_pk_fma_f32 v[112:113], v[112:113], v[74:75], v[120:121] op_sel_hi:[1,0,1]
	ds_load_2addr_b64 v[120:123], v114 offset0:21 offset1:22
	v_dual_mov_b32 v74, v110 :: v_dual_mov_b32 v75, v113
	s_wait_dscnt 0x0
	v_pk_mul_f32 v[124:125], v[120:121], v[112:113] op_sel:[0,1]
	s_delay_alu instid0(VALU_DEP_1) | instskip(SKIP_1) | instid1(VALU_DEP_1)
	v_pk_fma_f32 v[126:127], v[120:121], v[110:111], v[124:125] op_sel:[0,0,1] op_sel_hi:[1,1,0] neg_lo:[0,0,1] neg_hi:[0,0,1]
	v_pk_fma_f32 v[120:121], v[120:121], v[110:111], v[124:125] op_sel:[0,0,1] op_sel_hi:[1,0,0]
	v_mov_b32_e32 v127, v121
	v_pk_mul_f32 v[120:121], v[122:123], v[112:113] op_sel:[0,1]
	s_delay_alu instid0(VALU_DEP_1) | instskip(SKIP_1) | instid1(VALU_DEP_1)
	v_pk_fma_f32 v[124:125], v[122:123], v[110:111], v[120:121] op_sel:[0,0,1] op_sel_hi:[1,1,0] neg_lo:[0,0,1] neg_hi:[0,0,1]
	v_pk_fma_f32 v[120:121], v[122:123], v[110:111], v[120:121] op_sel:[0,0,1] op_sel_hi:[1,0,0]
	v_mov_b32_e32 v125, v121
	ds_load_2addr_b64 v[120:123], v114 offset0:23 offset1:24
	v_pk_add_f32 v[70:71], v[70:71], v[126:127] neg_lo:[0,1] neg_hi:[0,1]
	v_pk_add_f32 v[72:73], v[72:73], v[124:125] neg_lo:[0,1] neg_hi:[0,1]
	s_wait_dscnt 0x0
	v_pk_mul_f32 v[124:125], v[120:121], v[112:113] op_sel:[0,1]
	s_delay_alu instid0(VALU_DEP_1) | instskip(SKIP_2) | instid1(VALU_DEP_2)
	v_pk_fma_f32 v[126:127], v[120:121], v[110:111], v[124:125] op_sel:[0,0,1] op_sel_hi:[1,1,0] neg_lo:[0,0,1] neg_hi:[0,0,1]
	v_pk_fma_f32 v[120:121], v[120:121], v[110:111], v[124:125] op_sel:[0,0,1] op_sel_hi:[1,0,0]
	v_dual_mul_f32 v124, v123, v113 :: v_dual_mov_b32 v120, v123
	v_dual_mov_b32 v127, v121 :: v_dual_mov_b32 v121, v122
	s_delay_alu instid0(VALU_DEP_2) | instskip(SKIP_1) | instid1(VALU_DEP_3)
	v_pk_fma_f32 v[124:125], v[122:123], v[74:75], v[124:125] op_sel_hi:[1,1,0] neg_lo:[0,0,1] neg_hi:[0,0,1]
	v_mul_f32_e32 v122, v123, v110
	v_pk_add_f32 v[22:23], v[22:23], v[126:127] neg_lo:[0,1] neg_hi:[0,1]
	s_delay_alu instid0(VALU_DEP_2) | instskip(NEXT) | instid1(VALU_DEP_1)
	v_pk_fma_f32 v[120:121], v[120:121], v[74:75], v[122:123] op_sel_hi:[1,1,0]
	v_mov_b32_e32 v125, v121
	ds_load_2addr_b64 v[120:123], v114 offset0:25 offset1:26
	v_pk_add_f32 v[68:69], v[68:69], v[124:125] neg_lo:[0,1] neg_hi:[0,1]
	s_wait_dscnt 0x0
	v_pk_mul_f32 v[124:125], v[120:121], v[112:113] op_sel:[0,1]
	s_delay_alu instid0(VALU_DEP_1) | instskip(SKIP_1) | instid1(VALU_DEP_1)
	v_pk_fma_f32 v[126:127], v[120:121], v[110:111], v[124:125] op_sel:[0,0,1] op_sel_hi:[1,1,0] neg_lo:[0,0,1] neg_hi:[0,0,1]
	v_pk_fma_f32 v[120:121], v[120:121], v[110:111], v[124:125] op_sel:[0,0,1] op_sel_hi:[1,0,0]
	v_mov_b32_e32 v127, v121
	v_pk_mul_f32 v[120:121], v[122:123], v[112:113] op_sel:[0,1]
	s_delay_alu instid0(VALU_DEP_1) | instskip(SKIP_1) | instid1(VALU_DEP_1)
	v_pk_fma_f32 v[124:125], v[122:123], v[110:111], v[120:121] op_sel:[0,0,1] op_sel_hi:[1,1,0] neg_lo:[0,0,1] neg_hi:[0,0,1]
	v_pk_fma_f32 v[120:121], v[122:123], v[110:111], v[120:121] op_sel:[0,0,1] op_sel_hi:[1,0,0]
	v_mov_b32_e32 v125, v121
	ds_load_2addr_b64 v[120:123], v114 offset0:27 offset1:28
	v_pk_add_f32 v[64:65], v[64:65], v[126:127] neg_lo:[0,1] neg_hi:[0,1]
	v_pk_add_f32 v[66:67], v[66:67], v[124:125] neg_lo:[0,1] neg_hi:[0,1]
	s_wait_dscnt 0x0
	v_pk_mul_f32 v[124:125], v[120:121], v[112:113] op_sel:[0,1]
	s_delay_alu instid0(VALU_DEP_1) | instskip(SKIP_1) | instid1(VALU_DEP_1)
	v_pk_fma_f32 v[126:127], v[120:121], v[110:111], v[124:125] op_sel:[0,0,1] op_sel_hi:[1,1,0] neg_lo:[0,0,1] neg_hi:[0,0,1]
	v_pk_fma_f32 v[120:121], v[120:121], v[110:111], v[124:125] op_sel:[0,0,1] op_sel_hi:[1,0,0]
	v_mov_b32_e32 v127, v121
	v_pk_mul_f32 v[120:121], v[122:123], v[112:113] op_sel:[0,1]
	s_delay_alu instid0(VALU_DEP_1) | instskip(SKIP_1) | instid1(VALU_DEP_1)
	v_pk_fma_f32 v[124:125], v[122:123], v[110:111], v[120:121] op_sel:[0,0,1] op_sel_hi:[1,1,0] neg_lo:[0,0,1] neg_hi:[0,0,1]
	v_pk_fma_f32 v[120:121], v[122:123], v[110:111], v[120:121] op_sel:[0,0,1] op_sel_hi:[1,0,0]
	v_mov_b32_e32 v125, v121
	ds_load_2addr_b64 v[120:123], v114 offset0:29 offset1:30
	v_pk_add_f32 v[20:21], v[20:21], v[126:127] neg_lo:[0,1] neg_hi:[0,1]
	v_pk_add_f32 v[62:63], v[62:63], v[124:125] neg_lo:[0,1] neg_hi:[0,1]
	s_wait_dscnt 0x0
	v_dual_mul_f32 v124, v121, v113 :: v_dual_mul_f32 v126, v121, v110
	s_delay_alu instid0(VALU_DEP_1) | instskip(NEXT) | instid1(VALU_DEP_2)
	v_pk_fma_f32 v[124:125], v[120:121], v[74:75], v[124:125] op_sel_hi:[1,1,0] neg_lo:[0,0,1] neg_hi:[0,0,1]
	v_pk_fma_f32 v[120:121], v[120:121], v[74:75], v[126:127] op_sel:[1,0,0] op_sel_hi:[0,1,0]
	s_delay_alu instid0(VALU_DEP_1) | instskip(SKIP_1) | instid1(VALU_DEP_2)
	v_mov_b32_e32 v125, v121
	v_pk_mul_f32 v[120:121], v[122:123], v[112:113] op_sel:[0,1]
	v_pk_add_f32 v[58:59], v[58:59], v[124:125] neg_lo:[0,1] neg_hi:[0,1]
	s_delay_alu instid0(VALU_DEP_2) | instskip(SKIP_1) | instid1(VALU_DEP_1)
	v_pk_fma_f32 v[124:125], v[122:123], v[110:111], v[120:121] op_sel:[0,0,1] op_sel_hi:[1,1,0] neg_lo:[0,0,1] neg_hi:[0,0,1]
	v_pk_fma_f32 v[120:121], v[122:123], v[110:111], v[120:121] op_sel:[0,0,1] op_sel_hi:[1,0,0]
	v_mov_b32_e32 v125, v121
	ds_load_2addr_b64 v[120:123], v114 offset0:31 offset1:32
	v_pk_add_f32 v[60:61], v[60:61], v[124:125] neg_lo:[0,1] neg_hi:[0,1]
	s_wait_dscnt 0x0
	v_pk_mul_f32 v[124:125], v[120:121], v[112:113] op_sel:[0,1]
	s_delay_alu instid0(VALU_DEP_1) | instskip(SKIP_1) | instid1(VALU_DEP_1)
	v_pk_fma_f32 v[126:127], v[120:121], v[110:111], v[124:125] op_sel:[0,0,1] op_sel_hi:[1,1,0] neg_lo:[0,0,1] neg_hi:[0,0,1]
	v_pk_fma_f32 v[120:121], v[120:121], v[110:111], v[124:125] op_sel:[0,0,1] op_sel_hi:[1,0,0]
	v_mov_b32_e32 v127, v121
	v_pk_mul_f32 v[120:121], v[122:123], v[112:113] op_sel:[0,1]
	s_delay_alu instid0(VALU_DEP_2) | instskip(NEXT) | instid1(VALU_DEP_2)
	v_pk_add_f32 v[18:19], v[18:19], v[126:127] neg_lo:[0,1] neg_hi:[0,1]
	v_pk_fma_f32 v[124:125], v[122:123], v[110:111], v[120:121] op_sel:[0,0,1] op_sel_hi:[1,1,0] neg_lo:[0,0,1] neg_hi:[0,0,1]
	v_pk_fma_f32 v[120:121], v[122:123], v[110:111], v[120:121] op_sel:[0,0,1] op_sel_hi:[1,0,0]
	s_delay_alu instid0(VALU_DEP_1) | instskip(SKIP_4) | instid1(VALU_DEP_1)
	v_mov_b32_e32 v125, v121
	ds_load_2addr_b64 v[120:123], v114 offset0:33 offset1:34
	v_pk_add_f32 v[56:57], v[56:57], v[124:125] neg_lo:[0,1] neg_hi:[0,1]
	s_wait_dscnt 0x0
	v_pk_mul_f32 v[124:125], v[120:121], v[112:113] op_sel:[0,1]
	v_pk_fma_f32 v[126:127], v[120:121], v[110:111], v[124:125] op_sel:[0,0,1] op_sel_hi:[1,1,0] neg_lo:[0,0,1] neg_hi:[0,0,1]
	v_pk_fma_f32 v[120:121], v[120:121], v[110:111], v[124:125] op_sel:[0,0,1] op_sel_hi:[1,0,0]
	v_dual_mul_f32 v124, v123, v113 :: v_dual_mov_b32 v120, v123
	s_delay_alu instid0(VALU_DEP_2) | instskip(NEXT) | instid1(VALU_DEP_2)
	v_dual_mov_b32 v127, v121 :: v_dual_mov_b32 v121, v122
	v_pk_fma_f32 v[124:125], v[122:123], v[74:75], v[124:125] op_sel_hi:[1,1,0] neg_lo:[0,0,1] neg_hi:[0,0,1]
	v_mul_f32_e32 v122, v123, v110
	s_delay_alu instid0(VALU_DEP_3) | instskip(NEXT) | instid1(VALU_DEP_2)
	v_pk_add_f32 v[52:53], v[52:53], v[126:127] neg_lo:[0,1] neg_hi:[0,1]
	v_pk_fma_f32 v[120:121], v[120:121], v[74:75], v[122:123] op_sel_hi:[1,1,0]
	s_delay_alu instid0(VALU_DEP_1) | instskip(SKIP_4) | instid1(VALU_DEP_1)
	v_mov_b32_e32 v125, v121
	ds_load_2addr_b64 v[120:123], v114 offset0:35 offset1:36
	v_pk_add_f32 v[54:55], v[54:55], v[124:125] neg_lo:[0,1] neg_hi:[0,1]
	s_wait_dscnt 0x0
	v_pk_mul_f32 v[124:125], v[120:121], v[112:113] op_sel:[0,1]
	v_pk_fma_f32 v[126:127], v[120:121], v[110:111], v[124:125] op_sel:[0,0,1] op_sel_hi:[1,1,0] neg_lo:[0,0,1] neg_hi:[0,0,1]
	v_pk_fma_f32 v[120:121], v[120:121], v[110:111], v[124:125] op_sel:[0,0,1] op_sel_hi:[1,0,0]
	s_delay_alu instid0(VALU_DEP_1) | instskip(SKIP_1) | instid1(VALU_DEP_1)
	v_mov_b32_e32 v127, v121
	v_pk_mul_f32 v[120:121], v[122:123], v[112:113] op_sel:[0,1]
	v_pk_fma_f32 v[124:125], v[122:123], v[110:111], v[120:121] op_sel:[0,0,1] op_sel_hi:[1,1,0] neg_lo:[0,0,1] neg_hi:[0,0,1]
	v_pk_fma_f32 v[120:121], v[122:123], v[110:111], v[120:121] op_sel:[0,0,1] op_sel_hi:[1,0,0]
	s_delay_alu instid0(VALU_DEP_1)
	v_mov_b32_e32 v125, v121
	ds_load_2addr_b64 v[120:123], v114 offset0:37 offset1:38
	v_pk_add_f32 v[12:13], v[12:13], v[126:127] neg_lo:[0,1] neg_hi:[0,1]
	v_pk_add_f32 v[50:51], v[50:51], v[124:125] neg_lo:[0,1] neg_hi:[0,1]
	s_wait_dscnt 0x0
	v_pk_mul_f32 v[124:125], v[120:121], v[112:113] op_sel:[0,1]
	s_delay_alu instid0(VALU_DEP_1) | instskip(SKIP_1) | instid1(VALU_DEP_1)
	v_pk_fma_f32 v[126:127], v[120:121], v[110:111], v[124:125] op_sel:[0,0,1] op_sel_hi:[1,1,0] neg_lo:[0,0,1] neg_hi:[0,0,1]
	v_pk_fma_f32 v[120:121], v[120:121], v[110:111], v[124:125] op_sel:[0,0,1] op_sel_hi:[1,0,0]
	v_mov_b32_e32 v127, v121
	v_pk_mul_f32 v[120:121], v[122:123], v[112:113] op_sel:[0,1]
	s_delay_alu instid0(VALU_DEP_1) | instskip(SKIP_1) | instid1(VALU_DEP_1)
	v_pk_fma_f32 v[124:125], v[122:123], v[110:111], v[120:121] op_sel:[0,0,1] op_sel_hi:[1,1,0] neg_lo:[0,0,1] neg_hi:[0,0,1]
	v_pk_fma_f32 v[120:121], v[122:123], v[110:111], v[120:121] op_sel:[0,0,1] op_sel_hi:[1,0,0]
	v_mov_b32_e32 v125, v121
	ds_load_2addr_b64 v[120:123], v114 offset0:39 offset1:40
	v_pk_add_f32 v[46:47], v[46:47], v[126:127] neg_lo:[0,1] neg_hi:[0,1]
	v_pk_add_f32 v[48:49], v[48:49], v[124:125] neg_lo:[0,1] neg_hi:[0,1]
	s_wait_dscnt 0x0
	v_dual_mul_f32 v124, v121, v113 :: v_dual_mul_f32 v126, v121, v110
	s_delay_alu instid0(VALU_DEP_1) | instskip(NEXT) | instid1(VALU_DEP_2)
	v_pk_fma_f32 v[124:125], v[120:121], v[74:75], v[124:125] op_sel_hi:[1,1,0] neg_lo:[0,0,1] neg_hi:[0,0,1]
	v_pk_fma_f32 v[120:121], v[120:121], v[74:75], v[126:127] op_sel:[1,0,0] op_sel_hi:[0,1,0]
	s_delay_alu instid0(VALU_DEP_1) | instskip(SKIP_1) | instid1(VALU_DEP_2)
	v_mov_b32_e32 v125, v121
	v_pk_mul_f32 v[120:121], v[122:123], v[112:113] op_sel:[0,1]
	v_pk_add_f32 v[10:11], v[10:11], v[124:125] neg_lo:[0,1] neg_hi:[0,1]
	s_delay_alu instid0(VALU_DEP_2) | instskip(SKIP_1) | instid1(VALU_DEP_1)
	v_pk_fma_f32 v[124:125], v[122:123], v[110:111], v[120:121] op_sel:[0,0,1] op_sel_hi:[1,1,0] neg_lo:[0,0,1] neg_hi:[0,0,1]
	v_pk_fma_f32 v[120:121], v[122:123], v[110:111], v[120:121] op_sel:[0,0,1] op_sel_hi:[1,0,0]
	v_mov_b32_e32 v125, v121
	ds_load_2addr_b64 v[120:123], v114 offset0:41 offset1:42
	v_pk_add_f32 v[44:45], v[44:45], v[124:125] neg_lo:[0,1] neg_hi:[0,1]
	s_wait_dscnt 0x0
	v_pk_mul_f32 v[124:125], v[120:121], v[112:113] op_sel:[0,1]
	s_delay_alu instid0(VALU_DEP_1) | instskip(SKIP_1) | instid1(VALU_DEP_1)
	v_pk_fma_f32 v[126:127], v[120:121], v[110:111], v[124:125] op_sel:[0,0,1] op_sel_hi:[1,1,0] neg_lo:[0,0,1] neg_hi:[0,0,1]
	v_pk_fma_f32 v[120:121], v[120:121], v[110:111], v[124:125] op_sel:[0,0,1] op_sel_hi:[1,0,0]
	v_mov_b32_e32 v127, v121
	v_pk_mul_f32 v[120:121], v[122:123], v[112:113] op_sel:[0,1]
	s_delay_alu instid0(VALU_DEP_2) | instskip(NEXT) | instid1(VALU_DEP_2)
	v_pk_add_f32 v[40:41], v[40:41], v[126:127] neg_lo:[0,1] neg_hi:[0,1]
	v_pk_fma_f32 v[124:125], v[122:123], v[110:111], v[120:121] op_sel:[0,0,1] op_sel_hi:[1,1,0] neg_lo:[0,0,1] neg_hi:[0,0,1]
	v_pk_fma_f32 v[120:121], v[122:123], v[110:111], v[120:121] op_sel:[0,0,1] op_sel_hi:[1,0,0]
	s_delay_alu instid0(VALU_DEP_1) | instskip(SKIP_4) | instid1(VALU_DEP_1)
	v_mov_b32_e32 v125, v121
	ds_load_2addr_b64 v[120:123], v114 offset0:43 offset1:44
	v_pk_add_f32 v[42:43], v[42:43], v[124:125] neg_lo:[0,1] neg_hi:[0,1]
	s_wait_dscnt 0x0
	v_pk_mul_f32 v[124:125], v[120:121], v[112:113] op_sel:[0,1]
	v_pk_fma_f32 v[126:127], v[120:121], v[110:111], v[124:125] op_sel:[0,0,1] op_sel_hi:[1,1,0] neg_lo:[0,0,1] neg_hi:[0,0,1]
	v_pk_fma_f32 v[120:121], v[120:121], v[110:111], v[124:125] op_sel:[0,0,1] op_sel_hi:[1,0,0]
	v_dual_mul_f32 v124, v123, v113 :: v_dual_mov_b32 v120, v123
	s_delay_alu instid0(VALU_DEP_2) | instskip(NEXT) | instid1(VALU_DEP_2)
	v_dual_mov_b32 v127, v121 :: v_dual_mov_b32 v121, v122
	v_pk_fma_f32 v[124:125], v[122:123], v[74:75], v[124:125] op_sel_hi:[1,1,0] neg_lo:[0,0,1] neg_hi:[0,0,1]
	v_mul_f32_e32 v122, v123, v110
	s_delay_alu instid0(VALU_DEP_3) | instskip(NEXT) | instid1(VALU_DEP_2)
	v_pk_add_f32 v[6:7], v[6:7], v[126:127] neg_lo:[0,1] neg_hi:[0,1]
	v_pk_fma_f32 v[120:121], v[120:121], v[74:75], v[122:123] op_sel_hi:[1,1,0]
	s_delay_alu instid0(VALU_DEP_1) | instskip(SKIP_4) | instid1(VALU_DEP_1)
	v_mov_b32_e32 v125, v121
	ds_load_2addr_b64 v[120:123], v114 offset0:45 offset1:46
	v_pk_add_f32 v[36:37], v[36:37], v[124:125] neg_lo:[0,1] neg_hi:[0,1]
	s_wait_dscnt 0x0
	v_pk_mul_f32 v[124:125], v[120:121], v[112:113] op_sel:[0,1]
	v_pk_fma_f32 v[126:127], v[120:121], v[110:111], v[124:125] op_sel:[0,0,1] op_sel_hi:[1,1,0] neg_lo:[0,0,1] neg_hi:[0,0,1]
	v_pk_fma_f32 v[120:121], v[120:121], v[110:111], v[124:125] op_sel:[0,0,1] op_sel_hi:[1,0,0]
	s_delay_alu instid0(VALU_DEP_1) | instskip(SKIP_1) | instid1(VALU_DEP_1)
	v_mov_b32_e32 v127, v121
	v_pk_mul_f32 v[120:121], v[122:123], v[112:113] op_sel:[0,1]
	v_pk_fma_f32 v[124:125], v[122:123], v[110:111], v[120:121] op_sel:[0,0,1] op_sel_hi:[1,1,0] neg_lo:[0,0,1] neg_hi:[0,0,1]
	v_pk_fma_f32 v[120:121], v[122:123], v[110:111], v[120:121] op_sel:[0,0,1] op_sel_hi:[1,0,0]
	s_delay_alu instid0(VALU_DEP_1)
	v_mov_b32_e32 v125, v121
	ds_load_2addr_b64 v[120:123], v114 offset0:47 offset1:48
	v_pk_add_f32 v[30:31], v[30:31], v[126:127] neg_lo:[0,1] neg_hi:[0,1]
	v_pk_add_f32 v[34:35], v[34:35], v[124:125] neg_lo:[0,1] neg_hi:[0,1]
	s_wait_dscnt 0x0
	v_pk_mul_f32 v[124:125], v[120:121], v[112:113] op_sel:[0,1]
	s_delay_alu instid0(VALU_DEP_1) | instskip(SKIP_1) | instid1(VALU_DEP_1)
	v_pk_fma_f32 v[126:127], v[120:121], v[110:111], v[124:125] op_sel:[0,0,1] op_sel_hi:[1,1,0] neg_lo:[0,0,1] neg_hi:[0,0,1]
	v_pk_fma_f32 v[120:121], v[120:121], v[110:111], v[124:125] op_sel:[0,0,1] op_sel_hi:[1,0,0]
	v_mov_b32_e32 v127, v121
	v_pk_mul_f32 v[120:121], v[122:123], v[112:113] op_sel:[0,1]
	s_delay_alu instid0(VALU_DEP_1) | instskip(SKIP_1) | instid1(VALU_DEP_1)
	v_pk_fma_f32 v[124:125], v[122:123], v[110:111], v[120:121] op_sel:[0,0,1] op_sel_hi:[1,1,0] neg_lo:[0,0,1] neg_hi:[0,0,1]
	v_pk_fma_f32 v[120:121], v[122:123], v[110:111], v[120:121] op_sel:[0,0,1] op_sel_hi:[1,0,0]
	v_mov_b32_e32 v125, v121
	ds_load_2addr_b64 v[120:123], v114 offset0:49 offset1:50
	v_pk_add_f32 v[8:9], v[8:9], v[126:127] neg_lo:[0,1] neg_hi:[0,1]
	v_pk_add_f32 v[28:29], v[28:29], v[124:125] neg_lo:[0,1] neg_hi:[0,1]
	s_wait_dscnt 0x0
	v_dual_mul_f32 v124, v121, v113 :: v_dual_mul_f32 v126, v121, v110
	s_delay_alu instid0(VALU_DEP_1) | instskip(NEXT) | instid1(VALU_DEP_2)
	v_pk_fma_f32 v[124:125], v[120:121], v[74:75], v[124:125] op_sel_hi:[1,1,0] neg_lo:[0,0,1] neg_hi:[0,0,1]
	v_pk_fma_f32 v[120:121], v[120:121], v[74:75], v[126:127] op_sel:[1,0,0] op_sel_hi:[0,1,0]
	s_delay_alu instid0(VALU_DEP_1) | instskip(SKIP_1) | instid1(VALU_DEP_2)
	v_mov_b32_e32 v125, v121
	v_pk_mul_f32 v[120:121], v[122:123], v[112:113] op_sel:[0,1]
	v_pk_add_f32 v[16:17], v[16:17], v[124:125] neg_lo:[0,1] neg_hi:[0,1]
	s_delay_alu instid0(VALU_DEP_2) | instskip(SKIP_1) | instid1(VALU_DEP_1)
	v_pk_fma_f32 v[124:125], v[122:123], v[110:111], v[120:121] op_sel:[0,0,1] op_sel_hi:[1,1,0] neg_lo:[0,0,1] neg_hi:[0,0,1]
	v_pk_fma_f32 v[120:121], v[122:123], v[110:111], v[120:121] op_sel:[0,0,1] op_sel_hi:[1,0,0]
	v_mov_b32_e32 v125, v121
	ds_load_b64 v[120:121], v114 offset:408
	v_pk_add_f32 v[14:15], v[14:15], v[124:125] neg_lo:[0,1] neg_hi:[0,1]
	s_wait_dscnt 0x0
	v_pk_mul_f32 v[112:113], v[120:121], v[112:113] op_sel:[0,1]
	s_delay_alu instid0(VALU_DEP_1) | instskip(SKIP_1) | instid1(VALU_DEP_1)
	v_pk_fma_f32 v[122:123], v[120:121], v[110:111], v[112:113] op_sel:[0,0,1] op_sel_hi:[1,1,0] neg_lo:[0,0,1] neg_hi:[0,0,1]
	v_pk_fma_f32 v[110:111], v[120:121], v[110:111], v[112:113] op_sel:[0,0,1] op_sel_hi:[1,0,0]
	v_mov_b32_e32 v123, v111
	s_delay_alu instid0(VALU_DEP_1)
	v_pk_add_f32 v[108:109], v[108:109], v[122:123] neg_lo:[0,1] neg_hi:[0,1]
.LBB102_440:
	s_or_b32 exec_lo, exec_lo, s0
	v_lshl_add_u32 v110, v118, 3, v114
	s_barrier_signal -1
	s_barrier_wait -1
	ds_store_b64 v110, v[70:71]
	s_wait_dscnt 0x0
	s_barrier_signal -1
	s_barrier_wait -1
	ds_load_b64 v[112:113], v114 offset:168
	v_mov_b32_e32 v110, 21
	s_cmp_lt_i32 s18, 23
	s_cbranch_scc1 .LBB102_443
; %bb.441:
	v_add3_u32 v111, v115, 0, 0xb0
	v_mov_b32_e32 v110, 21
	s_mov_b32 s0, 22
.LBB102_442:                            ; =>This Inner Loop Header: Depth=1
	ds_load_b64 v[120:121], v111
	s_wait_dscnt 0x1
	v_cmp_gt_f32_e32 vcc_lo, 0, v112
	v_cndmask_b32_e64 v122, v112, -v112, vcc_lo
	v_cmp_gt_f32_e32 vcc_lo, 0, v113
	v_cndmask_b32_e64 v124, v113, -v113, vcc_lo
	s_wait_dscnt 0x0
	v_cmp_gt_f32_e32 vcc_lo, 0, v120
	v_cndmask_b32_e64 v123, v120, -v120, vcc_lo
	v_cmp_gt_f32_e32 vcc_lo, 0, v121
	v_cndmask_b32_e64 v125, v121, -v121, vcc_lo
	s_delay_alu instid0(VALU_DEP_1) | instskip(NEXT) | instid1(VALU_DEP_1)
	v_pk_add_f32 v[122:123], v[122:123], v[124:125]
	v_cmp_lt_f32_e32 vcc_lo, v122, v123
	v_dual_add_nc_u32 v111, 8, v111 :: v_dual_cndmask_b32 v113, v113, v121, vcc_lo
	v_cndmask_b32_e32 v112, v112, v120, vcc_lo
	v_cndmask_b32_e64 v110, v110, s0, vcc_lo
	s_add_co_i32 s0, s0, 1
	s_delay_alu instid0(SALU_CYCLE_1)
	s_cmp_lg_u32 s18, s0
	s_cbranch_scc1 .LBB102_442
.LBB102_443:
	s_wait_dscnt 0x0
	v_cmp_eq_f32_e32 vcc_lo, 0, v112
	v_cmp_eq_f32_e64 s0, 0, v113
	s_and_b32 s0, vcc_lo, s0
	s_delay_alu instid0(SALU_CYCLE_1) | instskip(NEXT) | instid1(SALU_CYCLE_1)
	s_and_saveexec_b32 s1, s0
	s_xor_b32 s0, exec_lo, s1
; %bb.444:
	v_cmp_ne_u32_e32 vcc_lo, 0, v116
	v_cndmask_b32_e32 v116, 22, v116, vcc_lo
; %bb.445:
	s_and_not1_saveexec_b32 s0, s0
	s_cbranch_execz .LBB102_451
; %bb.446:
	v_cmp_ngt_f32_e64 s1, |v112|, |v113|
	s_and_saveexec_b32 s12, s1
	s_delay_alu instid0(SALU_CYCLE_1)
	s_xor_b32 s1, exec_lo, s12
	s_cbranch_execz .LBB102_448
; %bb.447:
	v_div_scale_f32 v111, null, v113, v113, v112
	v_div_scale_f32 v121, vcc_lo, v112, v113, v112
	s_delay_alu instid0(VALU_DEP_2) | instskip(SKIP_1) | instid1(TRANS32_DEP_1)
	v_rcp_f32_e32 v119, v111
	v_nop
	v_fma_f32 v120, -v111, v119, 1.0
	s_delay_alu instid0(VALU_DEP_1) | instskip(NEXT) | instid1(VALU_DEP_1)
	v_fmac_f32_e32 v119, v120, v119
	v_mul_f32_e32 v120, v121, v119
	s_delay_alu instid0(VALU_DEP_1) | instskip(NEXT) | instid1(VALU_DEP_1)
	v_fma_f32 v122, -v111, v120, v121
	v_fmac_f32_e32 v120, v122, v119
	s_delay_alu instid0(VALU_DEP_1) | instskip(NEXT) | instid1(VALU_DEP_1)
	v_fma_f32 v111, -v111, v120, v121
	v_div_fmas_f32 v111, v111, v119, v120
	s_delay_alu instid0(VALU_DEP_1) | instskip(NEXT) | instid1(VALU_DEP_1)
	v_div_fixup_f32 v111, v111, v113, v112
	v_fmac_f32_e32 v113, v112, v111
	s_delay_alu instid0(VALU_DEP_1) | instskip(SKIP_1) | instid1(VALU_DEP_2)
	v_div_scale_f32 v112, null, v113, v113, 1.0
	v_div_scale_f32 v121, vcc_lo, 1.0, v113, 1.0
	v_rcp_f32_e32 v119, v112
	v_nop
	s_delay_alu instid0(TRANS32_DEP_1) | instskip(NEXT) | instid1(VALU_DEP_1)
	v_fma_f32 v120, -v112, v119, 1.0
	v_fmac_f32_e32 v119, v120, v119
	s_delay_alu instid0(VALU_DEP_1) | instskip(NEXT) | instid1(VALU_DEP_1)
	v_mul_f32_e32 v120, v121, v119
	v_fma_f32 v122, -v112, v120, v121
	s_delay_alu instid0(VALU_DEP_1) | instskip(NEXT) | instid1(VALU_DEP_1)
	v_fmac_f32_e32 v120, v122, v119
	v_fma_f32 v112, -v112, v120, v121
	s_delay_alu instid0(VALU_DEP_1) | instskip(NEXT) | instid1(VALU_DEP_1)
	v_div_fmas_f32 v112, v112, v119, v120
	v_div_fixup_f32 v113, v112, v113, 1.0
	s_delay_alu instid0(VALU_DEP_1)
	v_mul_f32_e32 v112, v111, v113
	v_xor_b32_e32 v113, 0x80000000, v113
.LBB102_448:
	s_and_not1_saveexec_b32 s1, s1
	s_cbranch_execz .LBB102_450
; %bb.449:
	s_delay_alu instid0(VALU_DEP_1) | instskip(SKIP_1) | instid1(VALU_DEP_2)
	v_div_scale_f32 v111, null, v112, v112, v113
	v_div_scale_f32 v121, vcc_lo, v113, v112, v113
	v_rcp_f32_e32 v119, v111
	v_nop
	s_delay_alu instid0(TRANS32_DEP_1) | instskip(NEXT) | instid1(VALU_DEP_1)
	v_fma_f32 v120, -v111, v119, 1.0
	v_fmac_f32_e32 v119, v120, v119
	s_delay_alu instid0(VALU_DEP_1) | instskip(NEXT) | instid1(VALU_DEP_1)
	v_mul_f32_e32 v120, v121, v119
	v_fma_f32 v122, -v111, v120, v121
	s_delay_alu instid0(VALU_DEP_1) | instskip(NEXT) | instid1(VALU_DEP_1)
	v_fmac_f32_e32 v120, v122, v119
	v_fma_f32 v111, -v111, v120, v121
	s_delay_alu instid0(VALU_DEP_1) | instskip(NEXT) | instid1(VALU_DEP_1)
	v_div_fmas_f32 v111, v111, v119, v120
	v_div_fixup_f32 v111, v111, v112, v113
	s_delay_alu instid0(VALU_DEP_1) | instskip(NEXT) | instid1(VALU_DEP_1)
	v_fmac_f32_e32 v112, v113, v111
	v_div_scale_f32 v113, null, v112, v112, 1.0
	s_delay_alu instid0(VALU_DEP_1) | instskip(SKIP_1) | instid1(TRANS32_DEP_1)
	v_rcp_f32_e32 v119, v113
	v_nop
	v_fma_f32 v120, -v113, v119, 1.0
	s_delay_alu instid0(VALU_DEP_1) | instskip(SKIP_1) | instid1(VALU_DEP_1)
	v_fmac_f32_e32 v119, v120, v119
	v_div_scale_f32 v120, vcc_lo, 1.0, v112, 1.0
	v_mul_f32_e32 v121, v120, v119
	s_delay_alu instid0(VALU_DEP_1) | instskip(NEXT) | instid1(VALU_DEP_1)
	v_fma_f32 v122, -v113, v121, v120
	v_fmac_f32_e32 v121, v122, v119
	s_delay_alu instid0(VALU_DEP_1) | instskip(NEXT) | instid1(VALU_DEP_1)
	v_fma_f32 v113, -v113, v121, v120
	v_div_fmas_f32 v113, v113, v119, v121
	s_delay_alu instid0(VALU_DEP_1) | instskip(NEXT) | instid1(VALU_DEP_1)
	v_div_fixup_f32 v112, v113, v112, 1.0
	v_mul_f32_e64 v113, v111, -v112
.LBB102_450:
	s_or_b32 exec_lo, exec_lo, s1
.LBB102_451:
	s_delay_alu instid0(SALU_CYCLE_1) | instskip(NEXT) | instid1(SALU_CYCLE_1)
	s_or_b32 exec_lo, exec_lo, s0
	s_mov_b32 s0, exec_lo
	v_cmpx_ne_u32_e64 v118, v110
	s_xor_b32 s0, exec_lo, s0
	s_cbranch_execz .LBB102_457
; %bb.452:
	s_mov_b32 s1, exec_lo
	v_cmpx_eq_u32_e32 21, v118
	s_cbranch_execz .LBB102_456
; %bb.453:
	v_cmp_ne_u32_e32 vcc_lo, 21, v110
	s_xor_b32 s12, s16, -1
	s_delay_alu instid0(SALU_CYCLE_1) | instskip(NEXT) | instid1(SALU_CYCLE_1)
	s_and_b32 s13, s12, vcc_lo
	s_and_saveexec_b32 s12, s13
	s_cbranch_execz .LBB102_455
; %bb.454:
	v_ashrrev_i32_e32 v111, 31, v110
	s_delay_alu instid0(VALU_DEP_1)
	v_lshl_add_u64 v[118:119], v[110:111], 2, v[4:5]
	s_clause 0x1
	global_load_b32 v111, v[118:119], off
	global_load_b32 v117, v[4:5], off offset:84
	s_wait_loadcnt 0x1
	global_store_b32 v[4:5], v111, off offset:84
	s_wait_loadcnt 0x0
	global_store_b32 v[118:119], v117, off
.LBB102_455:
	s_wait_xcnt 0x0
	s_or_b32 exec_lo, exec_lo, s12
	v_dual_mov_b32 v118, v110 :: v_dual_mov_b32 v117, v110
.LBB102_456:
	s_or_b32 exec_lo, exec_lo, s1
.LBB102_457:
	s_and_not1_saveexec_b32 s0, s0
	s_cbranch_execz .LBB102_459
; %bb.458:
	v_dual_mov_b32 v110, v72 :: v_dual_mov_b32 v111, v73
	v_dual_mov_b32 v118, v22 :: v_dual_mov_b32 v119, v23
	;; [unrolled: 1-line block ×8, first 2 shown]
	ds_store_2addr_b64 v114, v[110:111], v[118:119] offset0:22 offset1:23
	ds_store_2addr_b64 v114, v[120:121], v[122:123] offset0:24 offset1:25
	;; [unrolled: 1-line block ×4, first 2 shown]
	v_dual_mov_b32 v110, v60 :: v_dual_mov_b32 v111, v61
	v_dual_mov_b32 v118, v18 :: v_dual_mov_b32 v119, v19
	;; [unrolled: 1-line block ×12, first 2 shown]
	ds_store_2addr_b64 v114, v[110:111], v[118:119] offset0:30 offset1:31
	ds_store_2addr_b64 v114, v[120:121], v[122:123] offset0:32 offset1:33
	;; [unrolled: 1-line block ×6, first 2 shown]
	v_dual_mov_b32 v110, v42 :: v_dual_mov_b32 v111, v43
	v_dual_mov_b32 v120, v6 :: v_dual_mov_b32 v121, v7
	;; [unrolled: 1-line block ×9, first 2 shown]
	v_mov_b32_e32 v135, v15
	ds_store_2addr_b64 v114, v[110:111], v[120:121] offset0:42 offset1:43
	ds_store_2addr_b64 v114, v[122:123], v[124:125] offset0:44 offset1:45
	;; [unrolled: 1-line block ×5, first 2 shown]
.LBB102_459:
	s_or_b32 exec_lo, exec_lo, s0
	s_delay_alu instid0(SALU_CYCLE_1)
	s_mov_b32 s0, exec_lo
	s_wait_storecnt_dscnt 0x0
	s_barrier_signal -1
	s_barrier_wait -1
	v_cmpx_lt_i32_e32 21, v118
	s_cbranch_execz .LBB102_461
; %bb.460:
	v_pk_mul_f32 v[120:121], v[112:113], v[70:71] op_sel:[1,1] op_sel_hi:[0,1]
	s_delay_alu instid0(VALU_DEP_1)
	v_pk_fma_f32 v[110:111], v[112:113], v[70:71], v[120:121] op_sel_hi:[1,0,1] neg_lo:[0,0,1] neg_hi:[0,0,1]
	v_pk_fma_f32 v[112:113], v[112:113], v[70:71], v[120:121] op_sel_hi:[1,0,1]
	ds_load_2addr_b64 v[120:123], v114 offset0:22 offset1:23
	v_dual_mov_b32 v70, v110 :: v_dual_mov_b32 v71, v113
	s_wait_dscnt 0x0
	v_pk_mul_f32 v[124:125], v[120:121], v[112:113] op_sel:[0,1]
	s_delay_alu instid0(VALU_DEP_1) | instskip(SKIP_1) | instid1(VALU_DEP_1)
	v_pk_fma_f32 v[126:127], v[120:121], v[110:111], v[124:125] op_sel:[0,0,1] op_sel_hi:[1,1,0] neg_lo:[0,0,1] neg_hi:[0,0,1]
	v_pk_fma_f32 v[120:121], v[120:121], v[110:111], v[124:125] op_sel:[0,0,1] op_sel_hi:[1,0,0]
	v_mov_b32_e32 v127, v121
	v_pk_mul_f32 v[120:121], v[122:123], v[112:113] op_sel:[0,1]
	s_delay_alu instid0(VALU_DEP_1) | instskip(SKIP_1) | instid1(VALU_DEP_1)
	v_pk_fma_f32 v[124:125], v[122:123], v[110:111], v[120:121] op_sel:[0,0,1] op_sel_hi:[1,1,0] neg_lo:[0,0,1] neg_hi:[0,0,1]
	v_pk_fma_f32 v[120:121], v[122:123], v[110:111], v[120:121] op_sel:[0,0,1] op_sel_hi:[1,0,0]
	v_mov_b32_e32 v125, v121
	ds_load_2addr_b64 v[120:123], v114 offset0:24 offset1:25
	v_pk_add_f32 v[72:73], v[72:73], v[126:127] neg_lo:[0,1] neg_hi:[0,1]
	v_pk_add_f32 v[22:23], v[22:23], v[124:125] neg_lo:[0,1] neg_hi:[0,1]
	s_wait_dscnt 0x0
	v_pk_mul_f32 v[124:125], v[120:121], v[112:113] op_sel:[0,1]
	s_delay_alu instid0(VALU_DEP_1) | instskip(SKIP_2) | instid1(VALU_DEP_2)
	v_pk_fma_f32 v[126:127], v[120:121], v[110:111], v[124:125] op_sel:[0,0,1] op_sel_hi:[1,1,0] neg_lo:[0,0,1] neg_hi:[0,0,1]
	v_pk_fma_f32 v[120:121], v[120:121], v[110:111], v[124:125] op_sel:[0,0,1] op_sel_hi:[1,0,0]
	v_dual_mul_f32 v124, v123, v113 :: v_dual_mov_b32 v120, v123
	v_dual_mov_b32 v127, v121 :: v_dual_mov_b32 v121, v122
	s_delay_alu instid0(VALU_DEP_2) | instskip(SKIP_1) | instid1(VALU_DEP_3)
	v_pk_fma_f32 v[124:125], v[122:123], v[70:71], v[124:125] op_sel_hi:[1,1,0] neg_lo:[0,0,1] neg_hi:[0,0,1]
	v_mul_f32_e32 v122, v123, v110
	v_pk_add_f32 v[68:69], v[68:69], v[126:127] neg_lo:[0,1] neg_hi:[0,1]
	s_delay_alu instid0(VALU_DEP_2) | instskip(NEXT) | instid1(VALU_DEP_1)
	v_pk_fma_f32 v[120:121], v[120:121], v[70:71], v[122:123] op_sel_hi:[1,1,0]
	v_mov_b32_e32 v125, v121
	ds_load_2addr_b64 v[120:123], v114 offset0:26 offset1:27
	v_pk_add_f32 v[64:65], v[64:65], v[124:125] neg_lo:[0,1] neg_hi:[0,1]
	s_wait_dscnt 0x0
	v_pk_mul_f32 v[124:125], v[120:121], v[112:113] op_sel:[0,1]
	s_delay_alu instid0(VALU_DEP_1) | instskip(SKIP_1) | instid1(VALU_DEP_1)
	v_pk_fma_f32 v[126:127], v[120:121], v[110:111], v[124:125] op_sel:[0,0,1] op_sel_hi:[1,1,0] neg_lo:[0,0,1] neg_hi:[0,0,1]
	v_pk_fma_f32 v[120:121], v[120:121], v[110:111], v[124:125] op_sel:[0,0,1] op_sel_hi:[1,0,0]
	v_mov_b32_e32 v127, v121
	v_pk_mul_f32 v[120:121], v[122:123], v[112:113] op_sel:[0,1]
	s_delay_alu instid0(VALU_DEP_1) | instskip(SKIP_1) | instid1(VALU_DEP_1)
	v_pk_fma_f32 v[124:125], v[122:123], v[110:111], v[120:121] op_sel:[0,0,1] op_sel_hi:[1,1,0] neg_lo:[0,0,1] neg_hi:[0,0,1]
	v_pk_fma_f32 v[120:121], v[122:123], v[110:111], v[120:121] op_sel:[0,0,1] op_sel_hi:[1,0,0]
	v_mov_b32_e32 v125, v121
	ds_load_2addr_b64 v[120:123], v114 offset0:28 offset1:29
	v_pk_add_f32 v[66:67], v[66:67], v[126:127] neg_lo:[0,1] neg_hi:[0,1]
	v_pk_add_f32 v[20:21], v[20:21], v[124:125] neg_lo:[0,1] neg_hi:[0,1]
	s_wait_dscnt 0x0
	v_pk_mul_f32 v[124:125], v[120:121], v[112:113] op_sel:[0,1]
	s_delay_alu instid0(VALU_DEP_1) | instskip(SKIP_1) | instid1(VALU_DEP_1)
	v_pk_fma_f32 v[126:127], v[120:121], v[110:111], v[124:125] op_sel:[0,0,1] op_sel_hi:[1,1,0] neg_lo:[0,0,1] neg_hi:[0,0,1]
	v_pk_fma_f32 v[120:121], v[120:121], v[110:111], v[124:125] op_sel:[0,0,1] op_sel_hi:[1,0,0]
	v_mov_b32_e32 v127, v121
	v_pk_mul_f32 v[120:121], v[122:123], v[112:113] op_sel:[0,1]
	s_delay_alu instid0(VALU_DEP_1) | instskip(SKIP_1) | instid1(VALU_DEP_1)
	v_pk_fma_f32 v[124:125], v[122:123], v[110:111], v[120:121] op_sel:[0,0,1] op_sel_hi:[1,1,0] neg_lo:[0,0,1] neg_hi:[0,0,1]
	v_pk_fma_f32 v[120:121], v[122:123], v[110:111], v[120:121] op_sel:[0,0,1] op_sel_hi:[1,0,0]
	v_mov_b32_e32 v125, v121
	ds_load_2addr_b64 v[120:123], v114 offset0:30 offset1:31
	v_pk_add_f32 v[62:63], v[62:63], v[126:127] neg_lo:[0,1] neg_hi:[0,1]
	v_pk_add_f32 v[58:59], v[58:59], v[124:125] neg_lo:[0,1] neg_hi:[0,1]
	s_wait_dscnt 0x0
	v_dual_mul_f32 v124, v121, v113 :: v_dual_mul_f32 v126, v121, v110
	s_delay_alu instid0(VALU_DEP_1) | instskip(NEXT) | instid1(VALU_DEP_2)
	v_pk_fma_f32 v[124:125], v[120:121], v[70:71], v[124:125] op_sel_hi:[1,1,0] neg_lo:[0,0,1] neg_hi:[0,0,1]
	v_pk_fma_f32 v[120:121], v[120:121], v[70:71], v[126:127] op_sel:[1,0,0] op_sel_hi:[0,1,0]
	s_delay_alu instid0(VALU_DEP_1) | instskip(SKIP_1) | instid1(VALU_DEP_2)
	v_mov_b32_e32 v125, v121
	v_pk_mul_f32 v[120:121], v[122:123], v[112:113] op_sel:[0,1]
	v_pk_add_f32 v[60:61], v[60:61], v[124:125] neg_lo:[0,1] neg_hi:[0,1]
	s_delay_alu instid0(VALU_DEP_2) | instskip(SKIP_1) | instid1(VALU_DEP_1)
	v_pk_fma_f32 v[124:125], v[122:123], v[110:111], v[120:121] op_sel:[0,0,1] op_sel_hi:[1,1,0] neg_lo:[0,0,1] neg_hi:[0,0,1]
	v_pk_fma_f32 v[120:121], v[122:123], v[110:111], v[120:121] op_sel:[0,0,1] op_sel_hi:[1,0,0]
	v_mov_b32_e32 v125, v121
	ds_load_2addr_b64 v[120:123], v114 offset0:32 offset1:33
	v_pk_add_f32 v[18:19], v[18:19], v[124:125] neg_lo:[0,1] neg_hi:[0,1]
	s_wait_dscnt 0x0
	v_pk_mul_f32 v[124:125], v[120:121], v[112:113] op_sel:[0,1]
	s_delay_alu instid0(VALU_DEP_1) | instskip(SKIP_1) | instid1(VALU_DEP_1)
	v_pk_fma_f32 v[126:127], v[120:121], v[110:111], v[124:125] op_sel:[0,0,1] op_sel_hi:[1,1,0] neg_lo:[0,0,1] neg_hi:[0,0,1]
	v_pk_fma_f32 v[120:121], v[120:121], v[110:111], v[124:125] op_sel:[0,0,1] op_sel_hi:[1,0,0]
	v_mov_b32_e32 v127, v121
	v_pk_mul_f32 v[120:121], v[122:123], v[112:113] op_sel:[0,1]
	s_delay_alu instid0(VALU_DEP_2) | instskip(NEXT) | instid1(VALU_DEP_2)
	v_pk_add_f32 v[56:57], v[56:57], v[126:127] neg_lo:[0,1] neg_hi:[0,1]
	v_pk_fma_f32 v[124:125], v[122:123], v[110:111], v[120:121] op_sel:[0,0,1] op_sel_hi:[1,1,0] neg_lo:[0,0,1] neg_hi:[0,0,1]
	v_pk_fma_f32 v[120:121], v[122:123], v[110:111], v[120:121] op_sel:[0,0,1] op_sel_hi:[1,0,0]
	s_delay_alu instid0(VALU_DEP_1) | instskip(SKIP_4) | instid1(VALU_DEP_1)
	v_mov_b32_e32 v125, v121
	ds_load_2addr_b64 v[120:123], v114 offset0:34 offset1:35
	v_pk_add_f32 v[52:53], v[52:53], v[124:125] neg_lo:[0,1] neg_hi:[0,1]
	s_wait_dscnt 0x0
	v_pk_mul_f32 v[124:125], v[120:121], v[112:113] op_sel:[0,1]
	v_pk_fma_f32 v[126:127], v[120:121], v[110:111], v[124:125] op_sel:[0,0,1] op_sel_hi:[1,1,0] neg_lo:[0,0,1] neg_hi:[0,0,1]
	v_pk_fma_f32 v[120:121], v[120:121], v[110:111], v[124:125] op_sel:[0,0,1] op_sel_hi:[1,0,0]
	v_dual_mul_f32 v124, v123, v113 :: v_dual_mov_b32 v120, v123
	s_delay_alu instid0(VALU_DEP_2) | instskip(NEXT) | instid1(VALU_DEP_2)
	v_dual_mov_b32 v127, v121 :: v_dual_mov_b32 v121, v122
	v_pk_fma_f32 v[124:125], v[122:123], v[70:71], v[124:125] op_sel_hi:[1,1,0] neg_lo:[0,0,1] neg_hi:[0,0,1]
	v_mul_f32_e32 v122, v123, v110
	s_delay_alu instid0(VALU_DEP_3) | instskip(NEXT) | instid1(VALU_DEP_2)
	v_pk_add_f32 v[54:55], v[54:55], v[126:127] neg_lo:[0,1] neg_hi:[0,1]
	v_pk_fma_f32 v[120:121], v[120:121], v[70:71], v[122:123] op_sel_hi:[1,1,0]
	s_delay_alu instid0(VALU_DEP_1) | instskip(SKIP_4) | instid1(VALU_DEP_1)
	v_mov_b32_e32 v125, v121
	ds_load_2addr_b64 v[120:123], v114 offset0:36 offset1:37
	v_pk_add_f32 v[12:13], v[12:13], v[124:125] neg_lo:[0,1] neg_hi:[0,1]
	s_wait_dscnt 0x0
	v_pk_mul_f32 v[124:125], v[120:121], v[112:113] op_sel:[0,1]
	v_pk_fma_f32 v[126:127], v[120:121], v[110:111], v[124:125] op_sel:[0,0,1] op_sel_hi:[1,1,0] neg_lo:[0,0,1] neg_hi:[0,0,1]
	v_pk_fma_f32 v[120:121], v[120:121], v[110:111], v[124:125] op_sel:[0,0,1] op_sel_hi:[1,0,0]
	s_delay_alu instid0(VALU_DEP_1) | instskip(SKIP_1) | instid1(VALU_DEP_1)
	v_mov_b32_e32 v127, v121
	v_pk_mul_f32 v[120:121], v[122:123], v[112:113] op_sel:[0,1]
	v_pk_fma_f32 v[124:125], v[122:123], v[110:111], v[120:121] op_sel:[0,0,1] op_sel_hi:[1,1,0] neg_lo:[0,0,1] neg_hi:[0,0,1]
	v_pk_fma_f32 v[120:121], v[122:123], v[110:111], v[120:121] op_sel:[0,0,1] op_sel_hi:[1,0,0]
	s_delay_alu instid0(VALU_DEP_1)
	v_mov_b32_e32 v125, v121
	ds_load_2addr_b64 v[120:123], v114 offset0:38 offset1:39
	v_pk_add_f32 v[50:51], v[50:51], v[126:127] neg_lo:[0,1] neg_hi:[0,1]
	v_pk_add_f32 v[46:47], v[46:47], v[124:125] neg_lo:[0,1] neg_hi:[0,1]
	s_wait_dscnt 0x0
	v_pk_mul_f32 v[124:125], v[120:121], v[112:113] op_sel:[0,1]
	s_delay_alu instid0(VALU_DEP_1) | instskip(SKIP_1) | instid1(VALU_DEP_1)
	v_pk_fma_f32 v[126:127], v[120:121], v[110:111], v[124:125] op_sel:[0,0,1] op_sel_hi:[1,1,0] neg_lo:[0,0,1] neg_hi:[0,0,1]
	v_pk_fma_f32 v[120:121], v[120:121], v[110:111], v[124:125] op_sel:[0,0,1] op_sel_hi:[1,0,0]
	v_mov_b32_e32 v127, v121
	v_pk_mul_f32 v[120:121], v[122:123], v[112:113] op_sel:[0,1]
	s_delay_alu instid0(VALU_DEP_1) | instskip(SKIP_1) | instid1(VALU_DEP_1)
	v_pk_fma_f32 v[124:125], v[122:123], v[110:111], v[120:121] op_sel:[0,0,1] op_sel_hi:[1,1,0] neg_lo:[0,0,1] neg_hi:[0,0,1]
	v_pk_fma_f32 v[120:121], v[122:123], v[110:111], v[120:121] op_sel:[0,0,1] op_sel_hi:[1,0,0]
	v_mov_b32_e32 v125, v121
	ds_load_2addr_b64 v[120:123], v114 offset0:40 offset1:41
	v_pk_add_f32 v[48:49], v[48:49], v[126:127] neg_lo:[0,1] neg_hi:[0,1]
	v_pk_add_f32 v[10:11], v[10:11], v[124:125] neg_lo:[0,1] neg_hi:[0,1]
	s_wait_dscnt 0x0
	v_dual_mul_f32 v124, v121, v113 :: v_dual_mul_f32 v126, v121, v110
	s_delay_alu instid0(VALU_DEP_1) | instskip(NEXT) | instid1(VALU_DEP_2)
	v_pk_fma_f32 v[124:125], v[120:121], v[70:71], v[124:125] op_sel_hi:[1,1,0] neg_lo:[0,0,1] neg_hi:[0,0,1]
	v_pk_fma_f32 v[120:121], v[120:121], v[70:71], v[126:127] op_sel:[1,0,0] op_sel_hi:[0,1,0]
	s_delay_alu instid0(VALU_DEP_1) | instskip(SKIP_1) | instid1(VALU_DEP_2)
	v_mov_b32_e32 v125, v121
	v_pk_mul_f32 v[120:121], v[122:123], v[112:113] op_sel:[0,1]
	v_pk_add_f32 v[44:45], v[44:45], v[124:125] neg_lo:[0,1] neg_hi:[0,1]
	s_delay_alu instid0(VALU_DEP_2) | instskip(SKIP_1) | instid1(VALU_DEP_1)
	v_pk_fma_f32 v[124:125], v[122:123], v[110:111], v[120:121] op_sel:[0,0,1] op_sel_hi:[1,1,0] neg_lo:[0,0,1] neg_hi:[0,0,1]
	v_pk_fma_f32 v[120:121], v[122:123], v[110:111], v[120:121] op_sel:[0,0,1] op_sel_hi:[1,0,0]
	v_mov_b32_e32 v125, v121
	ds_load_2addr_b64 v[120:123], v114 offset0:42 offset1:43
	v_pk_add_f32 v[40:41], v[40:41], v[124:125] neg_lo:[0,1] neg_hi:[0,1]
	s_wait_dscnt 0x0
	v_pk_mul_f32 v[124:125], v[120:121], v[112:113] op_sel:[0,1]
	s_delay_alu instid0(VALU_DEP_1) | instskip(SKIP_1) | instid1(VALU_DEP_1)
	v_pk_fma_f32 v[126:127], v[120:121], v[110:111], v[124:125] op_sel:[0,0,1] op_sel_hi:[1,1,0] neg_lo:[0,0,1] neg_hi:[0,0,1]
	v_pk_fma_f32 v[120:121], v[120:121], v[110:111], v[124:125] op_sel:[0,0,1] op_sel_hi:[1,0,0]
	v_mov_b32_e32 v127, v121
	v_pk_mul_f32 v[120:121], v[122:123], v[112:113] op_sel:[0,1]
	s_delay_alu instid0(VALU_DEP_2) | instskip(NEXT) | instid1(VALU_DEP_2)
	v_pk_add_f32 v[42:43], v[42:43], v[126:127] neg_lo:[0,1] neg_hi:[0,1]
	v_pk_fma_f32 v[124:125], v[122:123], v[110:111], v[120:121] op_sel:[0,0,1] op_sel_hi:[1,1,0] neg_lo:[0,0,1] neg_hi:[0,0,1]
	v_pk_fma_f32 v[120:121], v[122:123], v[110:111], v[120:121] op_sel:[0,0,1] op_sel_hi:[1,0,0]
	s_delay_alu instid0(VALU_DEP_1) | instskip(SKIP_4) | instid1(VALU_DEP_1)
	v_mov_b32_e32 v125, v121
	ds_load_2addr_b64 v[120:123], v114 offset0:44 offset1:45
	v_pk_add_f32 v[6:7], v[6:7], v[124:125] neg_lo:[0,1] neg_hi:[0,1]
	s_wait_dscnt 0x0
	v_pk_mul_f32 v[124:125], v[120:121], v[112:113] op_sel:[0,1]
	v_pk_fma_f32 v[126:127], v[120:121], v[110:111], v[124:125] op_sel:[0,0,1] op_sel_hi:[1,1,0] neg_lo:[0,0,1] neg_hi:[0,0,1]
	v_pk_fma_f32 v[120:121], v[120:121], v[110:111], v[124:125] op_sel:[0,0,1] op_sel_hi:[1,0,0]
	v_dual_mul_f32 v124, v123, v113 :: v_dual_mov_b32 v120, v123
	s_delay_alu instid0(VALU_DEP_2) | instskip(NEXT) | instid1(VALU_DEP_2)
	v_dual_mov_b32 v127, v121 :: v_dual_mov_b32 v121, v122
	v_pk_fma_f32 v[124:125], v[122:123], v[70:71], v[124:125] op_sel_hi:[1,1,0] neg_lo:[0,0,1] neg_hi:[0,0,1]
	v_mul_f32_e32 v122, v123, v110
	s_delay_alu instid0(VALU_DEP_3) | instskip(NEXT) | instid1(VALU_DEP_2)
	v_pk_add_f32 v[36:37], v[36:37], v[126:127] neg_lo:[0,1] neg_hi:[0,1]
	v_pk_fma_f32 v[120:121], v[120:121], v[70:71], v[122:123] op_sel_hi:[1,1,0]
	s_delay_alu instid0(VALU_DEP_1) | instskip(SKIP_4) | instid1(VALU_DEP_1)
	v_mov_b32_e32 v125, v121
	ds_load_2addr_b64 v[120:123], v114 offset0:46 offset1:47
	v_pk_add_f32 v[30:31], v[30:31], v[124:125] neg_lo:[0,1] neg_hi:[0,1]
	s_wait_dscnt 0x0
	v_pk_mul_f32 v[124:125], v[120:121], v[112:113] op_sel:[0,1]
	v_pk_fma_f32 v[126:127], v[120:121], v[110:111], v[124:125] op_sel:[0,0,1] op_sel_hi:[1,1,0] neg_lo:[0,0,1] neg_hi:[0,0,1]
	v_pk_fma_f32 v[120:121], v[120:121], v[110:111], v[124:125] op_sel:[0,0,1] op_sel_hi:[1,0,0]
	s_delay_alu instid0(VALU_DEP_1) | instskip(SKIP_1) | instid1(VALU_DEP_1)
	v_mov_b32_e32 v127, v121
	v_pk_mul_f32 v[120:121], v[122:123], v[112:113] op_sel:[0,1]
	v_pk_fma_f32 v[124:125], v[122:123], v[110:111], v[120:121] op_sel:[0,0,1] op_sel_hi:[1,1,0] neg_lo:[0,0,1] neg_hi:[0,0,1]
	v_pk_fma_f32 v[120:121], v[122:123], v[110:111], v[120:121] op_sel:[0,0,1] op_sel_hi:[1,0,0]
	s_delay_alu instid0(VALU_DEP_1)
	v_mov_b32_e32 v125, v121
	ds_load_2addr_b64 v[120:123], v114 offset0:48 offset1:49
	v_pk_add_f32 v[34:35], v[34:35], v[126:127] neg_lo:[0,1] neg_hi:[0,1]
	v_pk_add_f32 v[8:9], v[8:9], v[124:125] neg_lo:[0,1] neg_hi:[0,1]
	s_wait_dscnt 0x0
	v_pk_mul_f32 v[124:125], v[120:121], v[112:113] op_sel:[0,1]
	s_delay_alu instid0(VALU_DEP_1) | instskip(SKIP_1) | instid1(VALU_DEP_1)
	v_pk_fma_f32 v[126:127], v[120:121], v[110:111], v[124:125] op_sel:[0,0,1] op_sel_hi:[1,1,0] neg_lo:[0,0,1] neg_hi:[0,0,1]
	v_pk_fma_f32 v[120:121], v[120:121], v[110:111], v[124:125] op_sel:[0,0,1] op_sel_hi:[1,0,0]
	v_mov_b32_e32 v127, v121
	v_pk_mul_f32 v[120:121], v[122:123], v[112:113] op_sel:[0,1]
	s_delay_alu instid0(VALU_DEP_1) | instskip(SKIP_1) | instid1(VALU_DEP_1)
	v_pk_fma_f32 v[124:125], v[122:123], v[110:111], v[120:121] op_sel:[0,0,1] op_sel_hi:[1,1,0] neg_lo:[0,0,1] neg_hi:[0,0,1]
	v_pk_fma_f32 v[120:121], v[122:123], v[110:111], v[120:121] op_sel:[0,0,1] op_sel_hi:[1,0,0]
	v_mov_b32_e32 v125, v121
	ds_load_2addr_b64 v[120:123], v114 offset0:50 offset1:51
	v_pk_add_f32 v[28:29], v[28:29], v[126:127] neg_lo:[0,1] neg_hi:[0,1]
	v_pk_add_f32 v[16:17], v[16:17], v[124:125] neg_lo:[0,1] neg_hi:[0,1]
	s_wait_dscnt 0x0
	v_mul_f32_e32 v112, v121, v113
	s_delay_alu instid0(VALU_DEP_1) | instskip(SKIP_1) | instid1(VALU_DEP_1)
	v_pk_fma_f32 v[124:125], v[120:121], v[70:71], v[112:113] op_sel_hi:[1,1,0] neg_lo:[0,0,1] neg_hi:[0,0,1]
	v_dual_mul_f32 v112, v121, v110 :: v_dual_mul_f32 v110, v123, v110
	v_pk_fma_f32 v[120:121], v[120:121], v[70:71], v[112:113] op_sel:[1,0,0] op_sel_hi:[0,1,0]
	v_dual_mov_b32 v120, v123 :: v_dual_mul_f32 v112, v123, v113
	s_delay_alu instid0(VALU_DEP_2) | instskip(NEXT) | instid1(VALU_DEP_2)
	v_dual_mov_b32 v125, v121 :: v_dual_mov_b32 v121, v122
	v_pk_fma_f32 v[112:113], v[122:123], v[70:71], v[112:113] op_sel_hi:[1,1,0] neg_lo:[0,0,1] neg_hi:[0,0,1]
	s_delay_alu instid0(VALU_DEP_2) | instskip(NEXT) | instid1(VALU_DEP_3)
	v_pk_add_f32 v[14:15], v[14:15], v[124:125] neg_lo:[0,1] neg_hi:[0,1]
	v_pk_fma_f32 v[110:111], v[120:121], v[70:71], v[110:111] op_sel_hi:[1,1,0]
	s_delay_alu instid0(VALU_DEP_1) | instskip(NEXT) | instid1(VALU_DEP_1)
	v_mov_b32_e32 v113, v111
	v_pk_add_f32 v[108:109], v[108:109], v[112:113] neg_lo:[0,1] neg_hi:[0,1]
.LBB102_461:
	s_or_b32 exec_lo, exec_lo, s0
	v_lshl_add_u32 v110, v118, 3, v114
	s_barrier_signal -1
	s_barrier_wait -1
	ds_store_b64 v110, v[72:73]
	s_wait_dscnt 0x0
	s_barrier_signal -1
	s_barrier_wait -1
	ds_load_b64 v[112:113], v114 offset:176
	v_mov_b32_e32 v110, 22
	s_cmp_lt_i32 s18, 24
	s_cbranch_scc1 .LBB102_464
; %bb.462:
	v_add3_u32 v111, v115, 0, 0xb8
	v_mov_b32_e32 v110, 22
	s_mov_b32 s0, 23
.LBB102_463:                            ; =>This Inner Loop Header: Depth=1
	ds_load_b64 v[120:121], v111
	s_wait_dscnt 0x1
	v_cmp_gt_f32_e32 vcc_lo, 0, v112
	v_cndmask_b32_e64 v122, v112, -v112, vcc_lo
	v_cmp_gt_f32_e32 vcc_lo, 0, v113
	v_cndmask_b32_e64 v124, v113, -v113, vcc_lo
	s_wait_dscnt 0x0
	v_cmp_gt_f32_e32 vcc_lo, 0, v120
	v_cndmask_b32_e64 v123, v120, -v120, vcc_lo
	v_cmp_gt_f32_e32 vcc_lo, 0, v121
	v_cndmask_b32_e64 v125, v121, -v121, vcc_lo
	s_delay_alu instid0(VALU_DEP_1) | instskip(NEXT) | instid1(VALU_DEP_1)
	v_pk_add_f32 v[122:123], v[122:123], v[124:125]
	v_cmp_lt_f32_e32 vcc_lo, v122, v123
	v_dual_add_nc_u32 v111, 8, v111 :: v_dual_cndmask_b32 v113, v113, v121, vcc_lo
	v_cndmask_b32_e32 v112, v112, v120, vcc_lo
	v_cndmask_b32_e64 v110, v110, s0, vcc_lo
	s_add_co_i32 s0, s0, 1
	s_delay_alu instid0(SALU_CYCLE_1)
	s_cmp_lg_u32 s18, s0
	s_cbranch_scc1 .LBB102_463
.LBB102_464:
	s_wait_dscnt 0x0
	v_cmp_eq_f32_e32 vcc_lo, 0, v112
	v_cmp_eq_f32_e64 s0, 0, v113
	s_and_b32 s0, vcc_lo, s0
	s_delay_alu instid0(SALU_CYCLE_1) | instskip(NEXT) | instid1(SALU_CYCLE_1)
	s_and_saveexec_b32 s1, s0
	s_xor_b32 s0, exec_lo, s1
; %bb.465:
	v_cmp_ne_u32_e32 vcc_lo, 0, v116
	v_cndmask_b32_e32 v116, 23, v116, vcc_lo
; %bb.466:
	s_and_not1_saveexec_b32 s0, s0
	s_cbranch_execz .LBB102_472
; %bb.467:
	v_cmp_ngt_f32_e64 s1, |v112|, |v113|
	s_and_saveexec_b32 s12, s1
	s_delay_alu instid0(SALU_CYCLE_1)
	s_xor_b32 s1, exec_lo, s12
	s_cbranch_execz .LBB102_469
; %bb.468:
	v_div_scale_f32 v111, null, v113, v113, v112
	v_div_scale_f32 v121, vcc_lo, v112, v113, v112
	s_delay_alu instid0(VALU_DEP_2) | instskip(SKIP_1) | instid1(TRANS32_DEP_1)
	v_rcp_f32_e32 v119, v111
	v_nop
	v_fma_f32 v120, -v111, v119, 1.0
	s_delay_alu instid0(VALU_DEP_1) | instskip(NEXT) | instid1(VALU_DEP_1)
	v_fmac_f32_e32 v119, v120, v119
	v_mul_f32_e32 v120, v121, v119
	s_delay_alu instid0(VALU_DEP_1) | instskip(NEXT) | instid1(VALU_DEP_1)
	v_fma_f32 v122, -v111, v120, v121
	v_fmac_f32_e32 v120, v122, v119
	s_delay_alu instid0(VALU_DEP_1) | instskip(NEXT) | instid1(VALU_DEP_1)
	v_fma_f32 v111, -v111, v120, v121
	v_div_fmas_f32 v111, v111, v119, v120
	s_delay_alu instid0(VALU_DEP_1) | instskip(NEXT) | instid1(VALU_DEP_1)
	v_div_fixup_f32 v111, v111, v113, v112
	v_fmac_f32_e32 v113, v112, v111
	s_delay_alu instid0(VALU_DEP_1) | instskip(SKIP_1) | instid1(VALU_DEP_2)
	v_div_scale_f32 v112, null, v113, v113, 1.0
	v_div_scale_f32 v121, vcc_lo, 1.0, v113, 1.0
	v_rcp_f32_e32 v119, v112
	v_nop
	s_delay_alu instid0(TRANS32_DEP_1) | instskip(NEXT) | instid1(VALU_DEP_1)
	v_fma_f32 v120, -v112, v119, 1.0
	v_fmac_f32_e32 v119, v120, v119
	s_delay_alu instid0(VALU_DEP_1) | instskip(NEXT) | instid1(VALU_DEP_1)
	v_mul_f32_e32 v120, v121, v119
	v_fma_f32 v122, -v112, v120, v121
	s_delay_alu instid0(VALU_DEP_1) | instskip(NEXT) | instid1(VALU_DEP_1)
	v_fmac_f32_e32 v120, v122, v119
	v_fma_f32 v112, -v112, v120, v121
	s_delay_alu instid0(VALU_DEP_1) | instskip(NEXT) | instid1(VALU_DEP_1)
	v_div_fmas_f32 v112, v112, v119, v120
	v_div_fixup_f32 v113, v112, v113, 1.0
	s_delay_alu instid0(VALU_DEP_1)
	v_mul_f32_e32 v112, v111, v113
	v_xor_b32_e32 v113, 0x80000000, v113
.LBB102_469:
	s_and_not1_saveexec_b32 s1, s1
	s_cbranch_execz .LBB102_471
; %bb.470:
	s_delay_alu instid0(VALU_DEP_1) | instskip(SKIP_1) | instid1(VALU_DEP_2)
	v_div_scale_f32 v111, null, v112, v112, v113
	v_div_scale_f32 v121, vcc_lo, v113, v112, v113
	v_rcp_f32_e32 v119, v111
	v_nop
	s_delay_alu instid0(TRANS32_DEP_1) | instskip(NEXT) | instid1(VALU_DEP_1)
	v_fma_f32 v120, -v111, v119, 1.0
	v_fmac_f32_e32 v119, v120, v119
	s_delay_alu instid0(VALU_DEP_1) | instskip(NEXT) | instid1(VALU_DEP_1)
	v_mul_f32_e32 v120, v121, v119
	v_fma_f32 v122, -v111, v120, v121
	s_delay_alu instid0(VALU_DEP_1) | instskip(NEXT) | instid1(VALU_DEP_1)
	v_fmac_f32_e32 v120, v122, v119
	v_fma_f32 v111, -v111, v120, v121
	s_delay_alu instid0(VALU_DEP_1) | instskip(NEXT) | instid1(VALU_DEP_1)
	v_div_fmas_f32 v111, v111, v119, v120
	v_div_fixup_f32 v111, v111, v112, v113
	s_delay_alu instid0(VALU_DEP_1) | instskip(NEXT) | instid1(VALU_DEP_1)
	v_fmac_f32_e32 v112, v113, v111
	v_div_scale_f32 v113, null, v112, v112, 1.0
	s_delay_alu instid0(VALU_DEP_1) | instskip(SKIP_1) | instid1(TRANS32_DEP_1)
	v_rcp_f32_e32 v119, v113
	v_nop
	v_fma_f32 v120, -v113, v119, 1.0
	s_delay_alu instid0(VALU_DEP_1) | instskip(SKIP_1) | instid1(VALU_DEP_1)
	v_fmac_f32_e32 v119, v120, v119
	v_div_scale_f32 v120, vcc_lo, 1.0, v112, 1.0
	v_mul_f32_e32 v121, v120, v119
	s_delay_alu instid0(VALU_DEP_1) | instskip(NEXT) | instid1(VALU_DEP_1)
	v_fma_f32 v122, -v113, v121, v120
	v_fmac_f32_e32 v121, v122, v119
	s_delay_alu instid0(VALU_DEP_1) | instskip(NEXT) | instid1(VALU_DEP_1)
	v_fma_f32 v113, -v113, v121, v120
	v_div_fmas_f32 v113, v113, v119, v121
	s_delay_alu instid0(VALU_DEP_1) | instskip(NEXT) | instid1(VALU_DEP_1)
	v_div_fixup_f32 v112, v113, v112, 1.0
	v_mul_f32_e64 v113, v111, -v112
.LBB102_471:
	s_or_b32 exec_lo, exec_lo, s1
.LBB102_472:
	s_delay_alu instid0(SALU_CYCLE_1) | instskip(NEXT) | instid1(SALU_CYCLE_1)
	s_or_b32 exec_lo, exec_lo, s0
	s_mov_b32 s0, exec_lo
	v_cmpx_ne_u32_e64 v118, v110
	s_xor_b32 s0, exec_lo, s0
	s_cbranch_execz .LBB102_478
; %bb.473:
	s_mov_b32 s1, exec_lo
	v_cmpx_eq_u32_e32 22, v118
	s_cbranch_execz .LBB102_477
; %bb.474:
	v_cmp_ne_u32_e32 vcc_lo, 22, v110
	s_xor_b32 s12, s16, -1
	s_delay_alu instid0(SALU_CYCLE_1) | instskip(NEXT) | instid1(SALU_CYCLE_1)
	s_and_b32 s13, s12, vcc_lo
	s_and_saveexec_b32 s12, s13
	s_cbranch_execz .LBB102_476
; %bb.475:
	v_ashrrev_i32_e32 v111, 31, v110
	s_delay_alu instid0(VALU_DEP_1)
	v_lshl_add_u64 v[118:119], v[110:111], 2, v[4:5]
	s_clause 0x1
	global_load_b32 v111, v[118:119], off
	global_load_b32 v117, v[4:5], off offset:88
	s_wait_loadcnt 0x1
	global_store_b32 v[4:5], v111, off offset:88
	s_wait_loadcnt 0x0
	global_store_b32 v[118:119], v117, off
.LBB102_476:
	s_wait_xcnt 0x0
	s_or_b32 exec_lo, exec_lo, s12
	v_dual_mov_b32 v118, v110 :: v_dual_mov_b32 v117, v110
.LBB102_477:
	s_or_b32 exec_lo, exec_lo, s1
.LBB102_478:
	s_and_not1_saveexec_b32 s0, s0
	s_cbranch_execz .LBB102_480
; %bb.479:
	v_mov_b32_e32 v118, 22
	ds_store_2addr_b64 v114, v[22:23], v[68:69] offset0:23 offset1:24
	ds_store_2addr_b64 v114, v[64:65], v[66:67] offset0:25 offset1:26
	;; [unrolled: 1-line block ×14, first 2 shown]
	ds_store_b64 v114, v[108:109] offset:408
.LBB102_480:
	s_or_b32 exec_lo, exec_lo, s0
	s_delay_alu instid0(SALU_CYCLE_1)
	s_mov_b32 s0, exec_lo
	s_wait_storecnt_dscnt 0x0
	s_barrier_signal -1
	s_barrier_wait -1
	v_cmpx_lt_i32_e32 22, v118
	s_cbranch_execz .LBB102_482
; %bb.481:
	v_pk_mul_f32 v[120:121], v[112:113], v[72:73] op_sel:[1,1] op_sel_hi:[0,1]
	s_delay_alu instid0(VALU_DEP_1)
	v_pk_fma_f32 v[110:111], v[112:113], v[72:73], v[120:121] op_sel_hi:[1,0,1] neg_lo:[0,0,1] neg_hi:[0,0,1]
	v_pk_fma_f32 v[112:113], v[112:113], v[72:73], v[120:121] op_sel_hi:[1,0,1]
	ds_load_2addr_b64 v[120:123], v114 offset0:23 offset1:24
	v_dual_mov_b32 v72, v110 :: v_dual_mov_b32 v73, v113
	s_wait_dscnt 0x0
	v_pk_mul_f32 v[124:125], v[120:121], v[112:113] op_sel:[0,1]
	s_delay_alu instid0(VALU_DEP_1) | instskip(SKIP_1) | instid1(VALU_DEP_1)
	v_pk_fma_f32 v[126:127], v[120:121], v[110:111], v[124:125] op_sel:[0,0,1] op_sel_hi:[1,1,0] neg_lo:[0,0,1] neg_hi:[0,0,1]
	v_pk_fma_f32 v[120:121], v[120:121], v[110:111], v[124:125] op_sel:[0,0,1] op_sel_hi:[1,0,0]
	v_mov_b32_e32 v127, v121
	v_pk_mul_f32 v[120:121], v[122:123], v[112:113] op_sel:[0,1]
	s_delay_alu instid0(VALU_DEP_1) | instskip(SKIP_1) | instid1(VALU_DEP_1)
	v_pk_fma_f32 v[124:125], v[122:123], v[110:111], v[120:121] op_sel:[0,0,1] op_sel_hi:[1,1,0] neg_lo:[0,0,1] neg_hi:[0,0,1]
	v_pk_fma_f32 v[120:121], v[122:123], v[110:111], v[120:121] op_sel:[0,0,1] op_sel_hi:[1,0,0]
	v_mov_b32_e32 v125, v121
	ds_load_2addr_b64 v[120:123], v114 offset0:25 offset1:26
	v_pk_add_f32 v[22:23], v[22:23], v[126:127] neg_lo:[0,1] neg_hi:[0,1]
	v_pk_add_f32 v[68:69], v[68:69], v[124:125] neg_lo:[0,1] neg_hi:[0,1]
	s_wait_dscnt 0x0
	v_pk_mul_f32 v[124:125], v[120:121], v[112:113] op_sel:[0,1]
	s_delay_alu instid0(VALU_DEP_1) | instskip(SKIP_2) | instid1(VALU_DEP_2)
	v_pk_fma_f32 v[126:127], v[120:121], v[110:111], v[124:125] op_sel:[0,0,1] op_sel_hi:[1,1,0] neg_lo:[0,0,1] neg_hi:[0,0,1]
	v_pk_fma_f32 v[120:121], v[120:121], v[110:111], v[124:125] op_sel:[0,0,1] op_sel_hi:[1,0,0]
	v_dual_mul_f32 v124, v123, v113 :: v_dual_mov_b32 v120, v123
	v_dual_mov_b32 v127, v121 :: v_dual_mov_b32 v121, v122
	s_delay_alu instid0(VALU_DEP_2) | instskip(SKIP_1) | instid1(VALU_DEP_3)
	v_pk_fma_f32 v[124:125], v[122:123], v[72:73], v[124:125] op_sel_hi:[1,1,0] neg_lo:[0,0,1] neg_hi:[0,0,1]
	v_mul_f32_e32 v122, v123, v110
	v_pk_add_f32 v[64:65], v[64:65], v[126:127] neg_lo:[0,1] neg_hi:[0,1]
	s_delay_alu instid0(VALU_DEP_2) | instskip(NEXT) | instid1(VALU_DEP_1)
	v_pk_fma_f32 v[120:121], v[120:121], v[72:73], v[122:123] op_sel_hi:[1,1,0]
	v_mov_b32_e32 v125, v121
	ds_load_2addr_b64 v[120:123], v114 offset0:27 offset1:28
	v_pk_add_f32 v[66:67], v[66:67], v[124:125] neg_lo:[0,1] neg_hi:[0,1]
	s_wait_dscnt 0x0
	v_pk_mul_f32 v[124:125], v[120:121], v[112:113] op_sel:[0,1]
	s_delay_alu instid0(VALU_DEP_1) | instskip(SKIP_1) | instid1(VALU_DEP_1)
	v_pk_fma_f32 v[126:127], v[120:121], v[110:111], v[124:125] op_sel:[0,0,1] op_sel_hi:[1,1,0] neg_lo:[0,0,1] neg_hi:[0,0,1]
	v_pk_fma_f32 v[120:121], v[120:121], v[110:111], v[124:125] op_sel:[0,0,1] op_sel_hi:[1,0,0]
	v_mov_b32_e32 v127, v121
	v_pk_mul_f32 v[120:121], v[122:123], v[112:113] op_sel:[0,1]
	s_delay_alu instid0(VALU_DEP_1) | instskip(SKIP_1) | instid1(VALU_DEP_1)
	v_pk_fma_f32 v[124:125], v[122:123], v[110:111], v[120:121] op_sel:[0,0,1] op_sel_hi:[1,1,0] neg_lo:[0,0,1] neg_hi:[0,0,1]
	v_pk_fma_f32 v[120:121], v[122:123], v[110:111], v[120:121] op_sel:[0,0,1] op_sel_hi:[1,0,0]
	v_mov_b32_e32 v125, v121
	ds_load_2addr_b64 v[120:123], v114 offset0:29 offset1:30
	v_pk_add_f32 v[20:21], v[20:21], v[126:127] neg_lo:[0,1] neg_hi:[0,1]
	v_pk_add_f32 v[62:63], v[62:63], v[124:125] neg_lo:[0,1] neg_hi:[0,1]
	s_wait_dscnt 0x0
	v_pk_mul_f32 v[124:125], v[120:121], v[112:113] op_sel:[0,1]
	s_delay_alu instid0(VALU_DEP_1) | instskip(SKIP_1) | instid1(VALU_DEP_1)
	v_pk_fma_f32 v[126:127], v[120:121], v[110:111], v[124:125] op_sel:[0,0,1] op_sel_hi:[1,1,0] neg_lo:[0,0,1] neg_hi:[0,0,1]
	v_pk_fma_f32 v[120:121], v[120:121], v[110:111], v[124:125] op_sel:[0,0,1] op_sel_hi:[1,0,0]
	v_mov_b32_e32 v127, v121
	v_pk_mul_f32 v[120:121], v[122:123], v[112:113] op_sel:[0,1]
	s_delay_alu instid0(VALU_DEP_1) | instskip(SKIP_1) | instid1(VALU_DEP_1)
	v_pk_fma_f32 v[124:125], v[122:123], v[110:111], v[120:121] op_sel:[0,0,1] op_sel_hi:[1,1,0] neg_lo:[0,0,1] neg_hi:[0,0,1]
	v_pk_fma_f32 v[120:121], v[122:123], v[110:111], v[120:121] op_sel:[0,0,1] op_sel_hi:[1,0,0]
	v_mov_b32_e32 v125, v121
	ds_load_2addr_b64 v[120:123], v114 offset0:31 offset1:32
	v_pk_add_f32 v[58:59], v[58:59], v[126:127] neg_lo:[0,1] neg_hi:[0,1]
	v_pk_add_f32 v[60:61], v[60:61], v[124:125] neg_lo:[0,1] neg_hi:[0,1]
	s_wait_dscnt 0x0
	v_dual_mul_f32 v124, v121, v113 :: v_dual_mul_f32 v126, v121, v110
	s_delay_alu instid0(VALU_DEP_1) | instskip(NEXT) | instid1(VALU_DEP_2)
	v_pk_fma_f32 v[124:125], v[120:121], v[72:73], v[124:125] op_sel_hi:[1,1,0] neg_lo:[0,0,1] neg_hi:[0,0,1]
	v_pk_fma_f32 v[120:121], v[120:121], v[72:73], v[126:127] op_sel:[1,0,0] op_sel_hi:[0,1,0]
	s_delay_alu instid0(VALU_DEP_1) | instskip(SKIP_1) | instid1(VALU_DEP_2)
	v_mov_b32_e32 v125, v121
	v_pk_mul_f32 v[120:121], v[122:123], v[112:113] op_sel:[0,1]
	v_pk_add_f32 v[18:19], v[18:19], v[124:125] neg_lo:[0,1] neg_hi:[0,1]
	s_delay_alu instid0(VALU_DEP_2) | instskip(SKIP_1) | instid1(VALU_DEP_1)
	v_pk_fma_f32 v[124:125], v[122:123], v[110:111], v[120:121] op_sel:[0,0,1] op_sel_hi:[1,1,0] neg_lo:[0,0,1] neg_hi:[0,0,1]
	v_pk_fma_f32 v[120:121], v[122:123], v[110:111], v[120:121] op_sel:[0,0,1] op_sel_hi:[1,0,0]
	v_mov_b32_e32 v125, v121
	ds_load_2addr_b64 v[120:123], v114 offset0:33 offset1:34
	v_pk_add_f32 v[56:57], v[56:57], v[124:125] neg_lo:[0,1] neg_hi:[0,1]
	s_wait_dscnt 0x0
	v_pk_mul_f32 v[124:125], v[120:121], v[112:113] op_sel:[0,1]
	s_delay_alu instid0(VALU_DEP_1) | instskip(SKIP_1) | instid1(VALU_DEP_1)
	v_pk_fma_f32 v[126:127], v[120:121], v[110:111], v[124:125] op_sel:[0,0,1] op_sel_hi:[1,1,0] neg_lo:[0,0,1] neg_hi:[0,0,1]
	v_pk_fma_f32 v[120:121], v[120:121], v[110:111], v[124:125] op_sel:[0,0,1] op_sel_hi:[1,0,0]
	v_mov_b32_e32 v127, v121
	v_pk_mul_f32 v[120:121], v[122:123], v[112:113] op_sel:[0,1]
	s_delay_alu instid0(VALU_DEP_2) | instskip(NEXT) | instid1(VALU_DEP_2)
	v_pk_add_f32 v[52:53], v[52:53], v[126:127] neg_lo:[0,1] neg_hi:[0,1]
	v_pk_fma_f32 v[124:125], v[122:123], v[110:111], v[120:121] op_sel:[0,0,1] op_sel_hi:[1,1,0] neg_lo:[0,0,1] neg_hi:[0,0,1]
	v_pk_fma_f32 v[120:121], v[122:123], v[110:111], v[120:121] op_sel:[0,0,1] op_sel_hi:[1,0,0]
	s_delay_alu instid0(VALU_DEP_1) | instskip(SKIP_4) | instid1(VALU_DEP_1)
	v_mov_b32_e32 v125, v121
	ds_load_2addr_b64 v[120:123], v114 offset0:35 offset1:36
	v_pk_add_f32 v[54:55], v[54:55], v[124:125] neg_lo:[0,1] neg_hi:[0,1]
	s_wait_dscnt 0x0
	v_pk_mul_f32 v[124:125], v[120:121], v[112:113] op_sel:[0,1]
	v_pk_fma_f32 v[126:127], v[120:121], v[110:111], v[124:125] op_sel:[0,0,1] op_sel_hi:[1,1,0] neg_lo:[0,0,1] neg_hi:[0,0,1]
	v_pk_fma_f32 v[120:121], v[120:121], v[110:111], v[124:125] op_sel:[0,0,1] op_sel_hi:[1,0,0]
	v_dual_mul_f32 v124, v123, v113 :: v_dual_mov_b32 v120, v123
	s_delay_alu instid0(VALU_DEP_2) | instskip(NEXT) | instid1(VALU_DEP_2)
	v_dual_mov_b32 v127, v121 :: v_dual_mov_b32 v121, v122
	v_pk_fma_f32 v[124:125], v[122:123], v[72:73], v[124:125] op_sel_hi:[1,1,0] neg_lo:[0,0,1] neg_hi:[0,0,1]
	v_mul_f32_e32 v122, v123, v110
	s_delay_alu instid0(VALU_DEP_3) | instskip(NEXT) | instid1(VALU_DEP_2)
	v_pk_add_f32 v[12:13], v[12:13], v[126:127] neg_lo:[0,1] neg_hi:[0,1]
	v_pk_fma_f32 v[120:121], v[120:121], v[72:73], v[122:123] op_sel_hi:[1,1,0]
	s_delay_alu instid0(VALU_DEP_1) | instskip(SKIP_4) | instid1(VALU_DEP_1)
	v_mov_b32_e32 v125, v121
	ds_load_2addr_b64 v[120:123], v114 offset0:37 offset1:38
	v_pk_add_f32 v[50:51], v[50:51], v[124:125] neg_lo:[0,1] neg_hi:[0,1]
	s_wait_dscnt 0x0
	v_pk_mul_f32 v[124:125], v[120:121], v[112:113] op_sel:[0,1]
	v_pk_fma_f32 v[126:127], v[120:121], v[110:111], v[124:125] op_sel:[0,0,1] op_sel_hi:[1,1,0] neg_lo:[0,0,1] neg_hi:[0,0,1]
	v_pk_fma_f32 v[120:121], v[120:121], v[110:111], v[124:125] op_sel:[0,0,1] op_sel_hi:[1,0,0]
	s_delay_alu instid0(VALU_DEP_1) | instskip(SKIP_1) | instid1(VALU_DEP_1)
	v_mov_b32_e32 v127, v121
	v_pk_mul_f32 v[120:121], v[122:123], v[112:113] op_sel:[0,1]
	v_pk_fma_f32 v[124:125], v[122:123], v[110:111], v[120:121] op_sel:[0,0,1] op_sel_hi:[1,1,0] neg_lo:[0,0,1] neg_hi:[0,0,1]
	v_pk_fma_f32 v[120:121], v[122:123], v[110:111], v[120:121] op_sel:[0,0,1] op_sel_hi:[1,0,0]
	s_delay_alu instid0(VALU_DEP_1)
	v_mov_b32_e32 v125, v121
	ds_load_2addr_b64 v[120:123], v114 offset0:39 offset1:40
	v_pk_add_f32 v[46:47], v[46:47], v[126:127] neg_lo:[0,1] neg_hi:[0,1]
	v_pk_add_f32 v[48:49], v[48:49], v[124:125] neg_lo:[0,1] neg_hi:[0,1]
	s_wait_dscnt 0x0
	v_pk_mul_f32 v[124:125], v[120:121], v[112:113] op_sel:[0,1]
	s_delay_alu instid0(VALU_DEP_1) | instskip(SKIP_1) | instid1(VALU_DEP_1)
	v_pk_fma_f32 v[126:127], v[120:121], v[110:111], v[124:125] op_sel:[0,0,1] op_sel_hi:[1,1,0] neg_lo:[0,0,1] neg_hi:[0,0,1]
	v_pk_fma_f32 v[120:121], v[120:121], v[110:111], v[124:125] op_sel:[0,0,1] op_sel_hi:[1,0,0]
	v_mov_b32_e32 v127, v121
	v_pk_mul_f32 v[120:121], v[122:123], v[112:113] op_sel:[0,1]
	s_delay_alu instid0(VALU_DEP_1) | instskip(SKIP_1) | instid1(VALU_DEP_1)
	v_pk_fma_f32 v[124:125], v[122:123], v[110:111], v[120:121] op_sel:[0,0,1] op_sel_hi:[1,1,0] neg_lo:[0,0,1] neg_hi:[0,0,1]
	v_pk_fma_f32 v[120:121], v[122:123], v[110:111], v[120:121] op_sel:[0,0,1] op_sel_hi:[1,0,0]
	v_mov_b32_e32 v125, v121
	ds_load_2addr_b64 v[120:123], v114 offset0:41 offset1:42
	v_pk_add_f32 v[10:11], v[10:11], v[126:127] neg_lo:[0,1] neg_hi:[0,1]
	v_pk_add_f32 v[44:45], v[44:45], v[124:125] neg_lo:[0,1] neg_hi:[0,1]
	s_wait_dscnt 0x0
	v_dual_mul_f32 v124, v121, v113 :: v_dual_mul_f32 v126, v121, v110
	s_delay_alu instid0(VALU_DEP_1) | instskip(NEXT) | instid1(VALU_DEP_2)
	v_pk_fma_f32 v[124:125], v[120:121], v[72:73], v[124:125] op_sel_hi:[1,1,0] neg_lo:[0,0,1] neg_hi:[0,0,1]
	v_pk_fma_f32 v[120:121], v[120:121], v[72:73], v[126:127] op_sel:[1,0,0] op_sel_hi:[0,1,0]
	s_delay_alu instid0(VALU_DEP_1) | instskip(SKIP_1) | instid1(VALU_DEP_2)
	v_mov_b32_e32 v125, v121
	v_pk_mul_f32 v[120:121], v[122:123], v[112:113] op_sel:[0,1]
	v_pk_add_f32 v[40:41], v[40:41], v[124:125] neg_lo:[0,1] neg_hi:[0,1]
	s_delay_alu instid0(VALU_DEP_2) | instskip(SKIP_1) | instid1(VALU_DEP_1)
	v_pk_fma_f32 v[124:125], v[122:123], v[110:111], v[120:121] op_sel:[0,0,1] op_sel_hi:[1,1,0] neg_lo:[0,0,1] neg_hi:[0,0,1]
	v_pk_fma_f32 v[120:121], v[122:123], v[110:111], v[120:121] op_sel:[0,0,1] op_sel_hi:[1,0,0]
	v_mov_b32_e32 v125, v121
	ds_load_2addr_b64 v[120:123], v114 offset0:43 offset1:44
	v_pk_add_f32 v[42:43], v[42:43], v[124:125] neg_lo:[0,1] neg_hi:[0,1]
	s_wait_dscnt 0x0
	v_pk_mul_f32 v[124:125], v[120:121], v[112:113] op_sel:[0,1]
	s_delay_alu instid0(VALU_DEP_1) | instskip(SKIP_1) | instid1(VALU_DEP_1)
	v_pk_fma_f32 v[126:127], v[120:121], v[110:111], v[124:125] op_sel:[0,0,1] op_sel_hi:[1,1,0] neg_lo:[0,0,1] neg_hi:[0,0,1]
	v_pk_fma_f32 v[120:121], v[120:121], v[110:111], v[124:125] op_sel:[0,0,1] op_sel_hi:[1,0,0]
	v_mov_b32_e32 v127, v121
	v_pk_mul_f32 v[120:121], v[122:123], v[112:113] op_sel:[0,1]
	s_delay_alu instid0(VALU_DEP_2) | instskip(NEXT) | instid1(VALU_DEP_2)
	v_pk_add_f32 v[6:7], v[6:7], v[126:127] neg_lo:[0,1] neg_hi:[0,1]
	v_pk_fma_f32 v[124:125], v[122:123], v[110:111], v[120:121] op_sel:[0,0,1] op_sel_hi:[1,1,0] neg_lo:[0,0,1] neg_hi:[0,0,1]
	v_pk_fma_f32 v[120:121], v[122:123], v[110:111], v[120:121] op_sel:[0,0,1] op_sel_hi:[1,0,0]
	s_delay_alu instid0(VALU_DEP_1) | instskip(SKIP_4) | instid1(VALU_DEP_1)
	v_mov_b32_e32 v125, v121
	ds_load_2addr_b64 v[120:123], v114 offset0:45 offset1:46
	v_pk_add_f32 v[36:37], v[36:37], v[124:125] neg_lo:[0,1] neg_hi:[0,1]
	s_wait_dscnt 0x0
	v_pk_mul_f32 v[124:125], v[120:121], v[112:113] op_sel:[0,1]
	v_pk_fma_f32 v[126:127], v[120:121], v[110:111], v[124:125] op_sel:[0,0,1] op_sel_hi:[1,1,0] neg_lo:[0,0,1] neg_hi:[0,0,1]
	v_pk_fma_f32 v[120:121], v[120:121], v[110:111], v[124:125] op_sel:[0,0,1] op_sel_hi:[1,0,0]
	v_dual_mul_f32 v124, v123, v113 :: v_dual_mov_b32 v120, v123
	s_delay_alu instid0(VALU_DEP_2) | instskip(NEXT) | instid1(VALU_DEP_2)
	v_dual_mov_b32 v127, v121 :: v_dual_mov_b32 v121, v122
	v_pk_fma_f32 v[124:125], v[122:123], v[72:73], v[124:125] op_sel_hi:[1,1,0] neg_lo:[0,0,1] neg_hi:[0,0,1]
	v_mul_f32_e32 v122, v123, v110
	s_delay_alu instid0(VALU_DEP_3) | instskip(NEXT) | instid1(VALU_DEP_2)
	v_pk_add_f32 v[30:31], v[30:31], v[126:127] neg_lo:[0,1] neg_hi:[0,1]
	v_pk_fma_f32 v[120:121], v[120:121], v[72:73], v[122:123] op_sel_hi:[1,1,0]
	s_delay_alu instid0(VALU_DEP_1) | instskip(SKIP_4) | instid1(VALU_DEP_1)
	v_mov_b32_e32 v125, v121
	ds_load_2addr_b64 v[120:123], v114 offset0:47 offset1:48
	v_pk_add_f32 v[34:35], v[34:35], v[124:125] neg_lo:[0,1] neg_hi:[0,1]
	s_wait_dscnt 0x0
	v_pk_mul_f32 v[124:125], v[120:121], v[112:113] op_sel:[0,1]
	v_pk_fma_f32 v[126:127], v[120:121], v[110:111], v[124:125] op_sel:[0,0,1] op_sel_hi:[1,1,0] neg_lo:[0,0,1] neg_hi:[0,0,1]
	v_pk_fma_f32 v[120:121], v[120:121], v[110:111], v[124:125] op_sel:[0,0,1] op_sel_hi:[1,0,0]
	s_delay_alu instid0(VALU_DEP_1) | instskip(SKIP_1) | instid1(VALU_DEP_1)
	v_mov_b32_e32 v127, v121
	v_pk_mul_f32 v[120:121], v[122:123], v[112:113] op_sel:[0,1]
	v_pk_fma_f32 v[124:125], v[122:123], v[110:111], v[120:121] op_sel:[0,0,1] op_sel_hi:[1,1,0] neg_lo:[0,0,1] neg_hi:[0,0,1]
	v_pk_fma_f32 v[120:121], v[122:123], v[110:111], v[120:121] op_sel:[0,0,1] op_sel_hi:[1,0,0]
	s_delay_alu instid0(VALU_DEP_1)
	v_mov_b32_e32 v125, v121
	ds_load_2addr_b64 v[120:123], v114 offset0:49 offset1:50
	v_pk_add_f32 v[8:9], v[8:9], v[126:127] neg_lo:[0,1] neg_hi:[0,1]
	v_pk_add_f32 v[28:29], v[28:29], v[124:125] neg_lo:[0,1] neg_hi:[0,1]
	s_wait_dscnt 0x0
	v_pk_mul_f32 v[124:125], v[120:121], v[112:113] op_sel:[0,1]
	s_delay_alu instid0(VALU_DEP_1) | instskip(SKIP_1) | instid1(VALU_DEP_1)
	v_pk_fma_f32 v[126:127], v[120:121], v[110:111], v[124:125] op_sel:[0,0,1] op_sel_hi:[1,1,0] neg_lo:[0,0,1] neg_hi:[0,0,1]
	v_pk_fma_f32 v[120:121], v[120:121], v[110:111], v[124:125] op_sel:[0,0,1] op_sel_hi:[1,0,0]
	v_mov_b32_e32 v127, v121
	v_pk_mul_f32 v[120:121], v[122:123], v[112:113] op_sel:[0,1]
	s_delay_alu instid0(VALU_DEP_1) | instskip(SKIP_1) | instid1(VALU_DEP_1)
	v_pk_fma_f32 v[124:125], v[122:123], v[110:111], v[120:121] op_sel:[0,0,1] op_sel_hi:[1,1,0] neg_lo:[0,0,1] neg_hi:[0,0,1]
	v_pk_fma_f32 v[120:121], v[122:123], v[110:111], v[120:121] op_sel:[0,0,1] op_sel_hi:[1,0,0]
	v_mov_b32_e32 v125, v121
	ds_load_b64 v[120:121], v114 offset:408
	v_pk_add_f32 v[16:17], v[16:17], v[126:127] neg_lo:[0,1] neg_hi:[0,1]
	v_pk_add_f32 v[14:15], v[14:15], v[124:125] neg_lo:[0,1] neg_hi:[0,1]
	s_wait_dscnt 0x0
	v_pk_mul_f32 v[112:113], v[120:121], v[112:113] op_sel:[0,1]
	s_delay_alu instid0(VALU_DEP_1) | instskip(SKIP_1) | instid1(VALU_DEP_1)
	v_pk_fma_f32 v[122:123], v[120:121], v[110:111], v[112:113] op_sel:[0,0,1] op_sel_hi:[1,1,0] neg_lo:[0,0,1] neg_hi:[0,0,1]
	v_pk_fma_f32 v[110:111], v[120:121], v[110:111], v[112:113] op_sel:[0,0,1] op_sel_hi:[1,0,0]
	v_mov_b32_e32 v123, v111
	s_delay_alu instid0(VALU_DEP_1)
	v_pk_add_f32 v[108:109], v[108:109], v[122:123] neg_lo:[0,1] neg_hi:[0,1]
.LBB102_482:
	s_or_b32 exec_lo, exec_lo, s0
	v_lshl_add_u32 v110, v118, 3, v114
	s_barrier_signal -1
	s_barrier_wait -1
	ds_store_b64 v110, v[22:23]
	s_wait_dscnt 0x0
	s_barrier_signal -1
	s_barrier_wait -1
	ds_load_b64 v[112:113], v114 offset:184
	v_mov_b32_e32 v110, 23
	s_cmp_lt_i32 s18, 25
	s_cbranch_scc1 .LBB102_485
; %bb.483:
	v_add3_u32 v111, v115, 0, 0xc0
	v_mov_b32_e32 v110, 23
	s_mov_b32 s0, 24
.LBB102_484:                            ; =>This Inner Loop Header: Depth=1
	ds_load_b64 v[120:121], v111
	s_wait_dscnt 0x1
	v_cmp_gt_f32_e32 vcc_lo, 0, v112
	v_cndmask_b32_e64 v122, v112, -v112, vcc_lo
	v_cmp_gt_f32_e32 vcc_lo, 0, v113
	v_cndmask_b32_e64 v124, v113, -v113, vcc_lo
	s_wait_dscnt 0x0
	v_cmp_gt_f32_e32 vcc_lo, 0, v120
	v_cndmask_b32_e64 v123, v120, -v120, vcc_lo
	v_cmp_gt_f32_e32 vcc_lo, 0, v121
	v_cndmask_b32_e64 v125, v121, -v121, vcc_lo
	s_delay_alu instid0(VALU_DEP_1) | instskip(NEXT) | instid1(VALU_DEP_1)
	v_pk_add_f32 v[122:123], v[122:123], v[124:125]
	v_cmp_lt_f32_e32 vcc_lo, v122, v123
	v_dual_add_nc_u32 v111, 8, v111 :: v_dual_cndmask_b32 v113, v113, v121, vcc_lo
	v_cndmask_b32_e32 v112, v112, v120, vcc_lo
	v_cndmask_b32_e64 v110, v110, s0, vcc_lo
	s_add_co_i32 s0, s0, 1
	s_delay_alu instid0(SALU_CYCLE_1)
	s_cmp_lg_u32 s18, s0
	s_cbranch_scc1 .LBB102_484
.LBB102_485:
	s_wait_dscnt 0x0
	v_cmp_eq_f32_e32 vcc_lo, 0, v112
	v_cmp_eq_f32_e64 s0, 0, v113
	s_and_b32 s0, vcc_lo, s0
	s_delay_alu instid0(SALU_CYCLE_1) | instskip(NEXT) | instid1(SALU_CYCLE_1)
	s_and_saveexec_b32 s1, s0
	s_xor_b32 s0, exec_lo, s1
; %bb.486:
	v_cmp_ne_u32_e32 vcc_lo, 0, v116
	v_cndmask_b32_e32 v116, 24, v116, vcc_lo
; %bb.487:
	s_and_not1_saveexec_b32 s0, s0
	s_cbranch_execz .LBB102_493
; %bb.488:
	v_cmp_ngt_f32_e64 s1, |v112|, |v113|
	s_and_saveexec_b32 s12, s1
	s_delay_alu instid0(SALU_CYCLE_1)
	s_xor_b32 s1, exec_lo, s12
	s_cbranch_execz .LBB102_490
; %bb.489:
	v_div_scale_f32 v111, null, v113, v113, v112
	v_div_scale_f32 v121, vcc_lo, v112, v113, v112
	s_delay_alu instid0(VALU_DEP_2) | instskip(SKIP_1) | instid1(TRANS32_DEP_1)
	v_rcp_f32_e32 v119, v111
	v_nop
	v_fma_f32 v120, -v111, v119, 1.0
	s_delay_alu instid0(VALU_DEP_1) | instskip(NEXT) | instid1(VALU_DEP_1)
	v_fmac_f32_e32 v119, v120, v119
	v_mul_f32_e32 v120, v121, v119
	s_delay_alu instid0(VALU_DEP_1) | instskip(NEXT) | instid1(VALU_DEP_1)
	v_fma_f32 v122, -v111, v120, v121
	v_fmac_f32_e32 v120, v122, v119
	s_delay_alu instid0(VALU_DEP_1) | instskip(NEXT) | instid1(VALU_DEP_1)
	v_fma_f32 v111, -v111, v120, v121
	v_div_fmas_f32 v111, v111, v119, v120
	s_delay_alu instid0(VALU_DEP_1) | instskip(NEXT) | instid1(VALU_DEP_1)
	v_div_fixup_f32 v111, v111, v113, v112
	v_fmac_f32_e32 v113, v112, v111
	s_delay_alu instid0(VALU_DEP_1) | instskip(SKIP_1) | instid1(VALU_DEP_2)
	v_div_scale_f32 v112, null, v113, v113, 1.0
	v_div_scale_f32 v121, vcc_lo, 1.0, v113, 1.0
	v_rcp_f32_e32 v119, v112
	v_nop
	s_delay_alu instid0(TRANS32_DEP_1) | instskip(NEXT) | instid1(VALU_DEP_1)
	v_fma_f32 v120, -v112, v119, 1.0
	v_fmac_f32_e32 v119, v120, v119
	s_delay_alu instid0(VALU_DEP_1) | instskip(NEXT) | instid1(VALU_DEP_1)
	v_mul_f32_e32 v120, v121, v119
	v_fma_f32 v122, -v112, v120, v121
	s_delay_alu instid0(VALU_DEP_1) | instskip(NEXT) | instid1(VALU_DEP_1)
	v_fmac_f32_e32 v120, v122, v119
	v_fma_f32 v112, -v112, v120, v121
	s_delay_alu instid0(VALU_DEP_1) | instskip(NEXT) | instid1(VALU_DEP_1)
	v_div_fmas_f32 v112, v112, v119, v120
	v_div_fixup_f32 v113, v112, v113, 1.0
	s_delay_alu instid0(VALU_DEP_1)
	v_mul_f32_e32 v112, v111, v113
	v_xor_b32_e32 v113, 0x80000000, v113
.LBB102_490:
	s_and_not1_saveexec_b32 s1, s1
	s_cbranch_execz .LBB102_492
; %bb.491:
	s_delay_alu instid0(VALU_DEP_1) | instskip(SKIP_1) | instid1(VALU_DEP_2)
	v_div_scale_f32 v111, null, v112, v112, v113
	v_div_scale_f32 v121, vcc_lo, v113, v112, v113
	v_rcp_f32_e32 v119, v111
	v_nop
	s_delay_alu instid0(TRANS32_DEP_1) | instskip(NEXT) | instid1(VALU_DEP_1)
	v_fma_f32 v120, -v111, v119, 1.0
	v_fmac_f32_e32 v119, v120, v119
	s_delay_alu instid0(VALU_DEP_1) | instskip(NEXT) | instid1(VALU_DEP_1)
	v_mul_f32_e32 v120, v121, v119
	v_fma_f32 v122, -v111, v120, v121
	s_delay_alu instid0(VALU_DEP_1) | instskip(NEXT) | instid1(VALU_DEP_1)
	v_fmac_f32_e32 v120, v122, v119
	v_fma_f32 v111, -v111, v120, v121
	s_delay_alu instid0(VALU_DEP_1) | instskip(NEXT) | instid1(VALU_DEP_1)
	v_div_fmas_f32 v111, v111, v119, v120
	v_div_fixup_f32 v111, v111, v112, v113
	s_delay_alu instid0(VALU_DEP_1) | instskip(NEXT) | instid1(VALU_DEP_1)
	v_fmac_f32_e32 v112, v113, v111
	v_div_scale_f32 v113, null, v112, v112, 1.0
	s_delay_alu instid0(VALU_DEP_1) | instskip(SKIP_1) | instid1(TRANS32_DEP_1)
	v_rcp_f32_e32 v119, v113
	v_nop
	v_fma_f32 v120, -v113, v119, 1.0
	s_delay_alu instid0(VALU_DEP_1) | instskip(SKIP_1) | instid1(VALU_DEP_1)
	v_fmac_f32_e32 v119, v120, v119
	v_div_scale_f32 v120, vcc_lo, 1.0, v112, 1.0
	v_mul_f32_e32 v121, v120, v119
	s_delay_alu instid0(VALU_DEP_1) | instskip(NEXT) | instid1(VALU_DEP_1)
	v_fma_f32 v122, -v113, v121, v120
	v_fmac_f32_e32 v121, v122, v119
	s_delay_alu instid0(VALU_DEP_1) | instskip(NEXT) | instid1(VALU_DEP_1)
	v_fma_f32 v113, -v113, v121, v120
	v_div_fmas_f32 v113, v113, v119, v121
	s_delay_alu instid0(VALU_DEP_1) | instskip(NEXT) | instid1(VALU_DEP_1)
	v_div_fixup_f32 v112, v113, v112, 1.0
	v_mul_f32_e64 v113, v111, -v112
.LBB102_492:
	s_or_b32 exec_lo, exec_lo, s1
.LBB102_493:
	s_delay_alu instid0(SALU_CYCLE_1) | instskip(NEXT) | instid1(SALU_CYCLE_1)
	s_or_b32 exec_lo, exec_lo, s0
	s_mov_b32 s0, exec_lo
	v_cmpx_ne_u32_e64 v118, v110
	s_xor_b32 s0, exec_lo, s0
	s_cbranch_execz .LBB102_499
; %bb.494:
	s_mov_b32 s1, exec_lo
	v_cmpx_eq_u32_e32 23, v118
	s_cbranch_execz .LBB102_498
; %bb.495:
	v_cmp_ne_u32_e32 vcc_lo, 23, v110
	s_xor_b32 s12, s16, -1
	s_delay_alu instid0(SALU_CYCLE_1) | instskip(NEXT) | instid1(SALU_CYCLE_1)
	s_and_b32 s13, s12, vcc_lo
	s_and_saveexec_b32 s12, s13
	s_cbranch_execz .LBB102_497
; %bb.496:
	v_ashrrev_i32_e32 v111, 31, v110
	s_delay_alu instid0(VALU_DEP_1)
	v_lshl_add_u64 v[118:119], v[110:111], 2, v[4:5]
	s_clause 0x1
	global_load_b32 v111, v[118:119], off
	global_load_b32 v117, v[4:5], off offset:92
	s_wait_loadcnt 0x1
	global_store_b32 v[4:5], v111, off offset:92
	s_wait_loadcnt 0x0
	global_store_b32 v[118:119], v117, off
.LBB102_497:
	s_wait_xcnt 0x0
	s_or_b32 exec_lo, exec_lo, s12
	v_dual_mov_b32 v118, v110 :: v_dual_mov_b32 v117, v110
.LBB102_498:
	s_or_b32 exec_lo, exec_lo, s1
.LBB102_499:
	s_and_not1_saveexec_b32 s0, s0
	s_cbranch_execz .LBB102_501
; %bb.500:
	v_dual_mov_b32 v110, v68 :: v_dual_mov_b32 v111, v69
	v_dual_mov_b32 v118, v64 :: v_dual_mov_b32 v119, v65
	;; [unrolled: 1-line block ×8, first 2 shown]
	ds_store_2addr_b64 v114, v[110:111], v[118:119] offset0:24 offset1:25
	ds_store_2addr_b64 v114, v[120:121], v[122:123] offset0:26 offset1:27
	;; [unrolled: 1-line block ×4, first 2 shown]
	v_dual_mov_b32 v110, v56 :: v_dual_mov_b32 v111, v57
	v_dual_mov_b32 v118, v52 :: v_dual_mov_b32 v119, v53
	;; [unrolled: 1-line block ×12, first 2 shown]
	ds_store_2addr_b64 v114, v[110:111], v[118:119] offset0:32 offset1:33
	ds_store_2addr_b64 v114, v[120:121], v[122:123] offset0:34 offset1:35
	;; [unrolled: 1-line block ×6, first 2 shown]
	v_dual_mov_b32 v110, v36 :: v_dual_mov_b32 v111, v37
	v_dual_mov_b32 v120, v30 :: v_dual_mov_b32 v121, v31
	;; [unrolled: 1-line block ×7, first 2 shown]
	v_mov_b32_e32 v131, v15
	ds_store_2addr_b64 v114, v[110:111], v[120:121] offset0:44 offset1:45
	ds_store_2addr_b64 v114, v[122:123], v[124:125] offset0:46 offset1:47
	;; [unrolled: 1-line block ×4, first 2 shown]
.LBB102_501:
	s_or_b32 exec_lo, exec_lo, s0
	s_delay_alu instid0(SALU_CYCLE_1)
	s_mov_b32 s0, exec_lo
	s_wait_storecnt_dscnt 0x0
	s_barrier_signal -1
	s_barrier_wait -1
	v_cmpx_lt_i32_e32 23, v118
	s_cbranch_execz .LBB102_503
; %bb.502:
	v_pk_mul_f32 v[120:121], v[112:113], v[22:23] op_sel:[1,1] op_sel_hi:[0,1]
	s_delay_alu instid0(VALU_DEP_1)
	v_pk_fma_f32 v[110:111], v[112:113], v[22:23], v[120:121] op_sel_hi:[1,0,1] neg_lo:[0,0,1] neg_hi:[0,0,1]
	v_pk_fma_f32 v[112:113], v[112:113], v[22:23], v[120:121] op_sel_hi:[1,0,1]
	ds_load_2addr_b64 v[120:123], v114 offset0:24 offset1:25
	v_dual_mov_b32 v22, v110 :: v_dual_mov_b32 v23, v113
	s_wait_dscnt 0x0
	v_pk_mul_f32 v[124:125], v[120:121], v[112:113] op_sel:[0,1]
	s_delay_alu instid0(VALU_DEP_1) | instskip(SKIP_1) | instid1(VALU_DEP_1)
	v_pk_fma_f32 v[126:127], v[120:121], v[110:111], v[124:125] op_sel:[0,0,1] op_sel_hi:[1,1,0] neg_lo:[0,0,1] neg_hi:[0,0,1]
	v_pk_fma_f32 v[120:121], v[120:121], v[110:111], v[124:125] op_sel:[0,0,1] op_sel_hi:[1,0,0]
	v_mov_b32_e32 v127, v121
	v_pk_mul_f32 v[120:121], v[122:123], v[112:113] op_sel:[0,1]
	s_delay_alu instid0(VALU_DEP_1) | instskip(SKIP_1) | instid1(VALU_DEP_1)
	v_pk_fma_f32 v[124:125], v[122:123], v[110:111], v[120:121] op_sel:[0,0,1] op_sel_hi:[1,1,0] neg_lo:[0,0,1] neg_hi:[0,0,1]
	v_pk_fma_f32 v[120:121], v[122:123], v[110:111], v[120:121] op_sel:[0,0,1] op_sel_hi:[1,0,0]
	v_mov_b32_e32 v125, v121
	ds_load_2addr_b64 v[120:123], v114 offset0:26 offset1:27
	v_pk_add_f32 v[68:69], v[68:69], v[126:127] neg_lo:[0,1] neg_hi:[0,1]
	v_pk_add_f32 v[64:65], v[64:65], v[124:125] neg_lo:[0,1] neg_hi:[0,1]
	s_wait_dscnt 0x0
	v_pk_mul_f32 v[124:125], v[120:121], v[112:113] op_sel:[0,1]
	s_delay_alu instid0(VALU_DEP_1) | instskip(SKIP_2) | instid1(VALU_DEP_2)
	v_pk_fma_f32 v[126:127], v[120:121], v[110:111], v[124:125] op_sel:[0,0,1] op_sel_hi:[1,1,0] neg_lo:[0,0,1] neg_hi:[0,0,1]
	v_pk_fma_f32 v[120:121], v[120:121], v[110:111], v[124:125] op_sel:[0,0,1] op_sel_hi:[1,0,0]
	v_dual_mul_f32 v124, v123, v113 :: v_dual_mov_b32 v120, v123
	v_dual_mov_b32 v127, v121 :: v_dual_mov_b32 v121, v122
	s_delay_alu instid0(VALU_DEP_2) | instskip(SKIP_1) | instid1(VALU_DEP_3)
	v_pk_fma_f32 v[124:125], v[122:123], v[22:23], v[124:125] op_sel_hi:[1,1,0] neg_lo:[0,0,1] neg_hi:[0,0,1]
	v_mul_f32_e32 v122, v123, v110
	v_pk_add_f32 v[66:67], v[66:67], v[126:127] neg_lo:[0,1] neg_hi:[0,1]
	s_delay_alu instid0(VALU_DEP_2) | instskip(NEXT) | instid1(VALU_DEP_1)
	v_pk_fma_f32 v[120:121], v[120:121], v[22:23], v[122:123] op_sel_hi:[1,1,0]
	v_mov_b32_e32 v125, v121
	ds_load_2addr_b64 v[120:123], v114 offset0:28 offset1:29
	v_pk_add_f32 v[20:21], v[20:21], v[124:125] neg_lo:[0,1] neg_hi:[0,1]
	s_wait_dscnt 0x0
	v_pk_mul_f32 v[124:125], v[120:121], v[112:113] op_sel:[0,1]
	s_delay_alu instid0(VALU_DEP_1) | instskip(SKIP_1) | instid1(VALU_DEP_1)
	v_pk_fma_f32 v[126:127], v[120:121], v[110:111], v[124:125] op_sel:[0,0,1] op_sel_hi:[1,1,0] neg_lo:[0,0,1] neg_hi:[0,0,1]
	v_pk_fma_f32 v[120:121], v[120:121], v[110:111], v[124:125] op_sel:[0,0,1] op_sel_hi:[1,0,0]
	v_mov_b32_e32 v127, v121
	v_pk_mul_f32 v[120:121], v[122:123], v[112:113] op_sel:[0,1]
	s_delay_alu instid0(VALU_DEP_1) | instskip(SKIP_1) | instid1(VALU_DEP_1)
	v_pk_fma_f32 v[124:125], v[122:123], v[110:111], v[120:121] op_sel:[0,0,1] op_sel_hi:[1,1,0] neg_lo:[0,0,1] neg_hi:[0,0,1]
	v_pk_fma_f32 v[120:121], v[122:123], v[110:111], v[120:121] op_sel:[0,0,1] op_sel_hi:[1,0,0]
	v_mov_b32_e32 v125, v121
	ds_load_2addr_b64 v[120:123], v114 offset0:30 offset1:31
	v_pk_add_f32 v[62:63], v[62:63], v[126:127] neg_lo:[0,1] neg_hi:[0,1]
	v_pk_add_f32 v[58:59], v[58:59], v[124:125] neg_lo:[0,1] neg_hi:[0,1]
	s_wait_dscnt 0x0
	v_pk_mul_f32 v[124:125], v[120:121], v[112:113] op_sel:[0,1]
	s_delay_alu instid0(VALU_DEP_1) | instskip(SKIP_1) | instid1(VALU_DEP_1)
	v_pk_fma_f32 v[126:127], v[120:121], v[110:111], v[124:125] op_sel:[0,0,1] op_sel_hi:[1,1,0] neg_lo:[0,0,1] neg_hi:[0,0,1]
	v_pk_fma_f32 v[120:121], v[120:121], v[110:111], v[124:125] op_sel:[0,0,1] op_sel_hi:[1,0,0]
	v_mov_b32_e32 v127, v121
	v_pk_mul_f32 v[120:121], v[122:123], v[112:113] op_sel:[0,1]
	s_delay_alu instid0(VALU_DEP_1) | instskip(SKIP_1) | instid1(VALU_DEP_1)
	v_pk_fma_f32 v[124:125], v[122:123], v[110:111], v[120:121] op_sel:[0,0,1] op_sel_hi:[1,1,0] neg_lo:[0,0,1] neg_hi:[0,0,1]
	v_pk_fma_f32 v[120:121], v[122:123], v[110:111], v[120:121] op_sel:[0,0,1] op_sel_hi:[1,0,0]
	v_mov_b32_e32 v125, v121
	ds_load_2addr_b64 v[120:123], v114 offset0:32 offset1:33
	v_pk_add_f32 v[60:61], v[60:61], v[126:127] neg_lo:[0,1] neg_hi:[0,1]
	v_pk_add_f32 v[18:19], v[18:19], v[124:125] neg_lo:[0,1] neg_hi:[0,1]
	s_wait_dscnt 0x0
	v_dual_mul_f32 v124, v121, v113 :: v_dual_mul_f32 v126, v121, v110
	s_delay_alu instid0(VALU_DEP_1) | instskip(NEXT) | instid1(VALU_DEP_2)
	v_pk_fma_f32 v[124:125], v[120:121], v[22:23], v[124:125] op_sel_hi:[1,1,0] neg_lo:[0,0,1] neg_hi:[0,0,1]
	v_pk_fma_f32 v[120:121], v[120:121], v[22:23], v[126:127] op_sel:[1,0,0] op_sel_hi:[0,1,0]
	s_delay_alu instid0(VALU_DEP_1) | instskip(SKIP_1) | instid1(VALU_DEP_2)
	v_mov_b32_e32 v125, v121
	v_pk_mul_f32 v[120:121], v[122:123], v[112:113] op_sel:[0,1]
	v_pk_add_f32 v[56:57], v[56:57], v[124:125] neg_lo:[0,1] neg_hi:[0,1]
	s_delay_alu instid0(VALU_DEP_2) | instskip(SKIP_1) | instid1(VALU_DEP_1)
	v_pk_fma_f32 v[124:125], v[122:123], v[110:111], v[120:121] op_sel:[0,0,1] op_sel_hi:[1,1,0] neg_lo:[0,0,1] neg_hi:[0,0,1]
	v_pk_fma_f32 v[120:121], v[122:123], v[110:111], v[120:121] op_sel:[0,0,1] op_sel_hi:[1,0,0]
	v_mov_b32_e32 v125, v121
	ds_load_2addr_b64 v[120:123], v114 offset0:34 offset1:35
	v_pk_add_f32 v[52:53], v[52:53], v[124:125] neg_lo:[0,1] neg_hi:[0,1]
	s_wait_dscnt 0x0
	v_pk_mul_f32 v[124:125], v[120:121], v[112:113] op_sel:[0,1]
	s_delay_alu instid0(VALU_DEP_1) | instskip(SKIP_1) | instid1(VALU_DEP_1)
	v_pk_fma_f32 v[126:127], v[120:121], v[110:111], v[124:125] op_sel:[0,0,1] op_sel_hi:[1,1,0] neg_lo:[0,0,1] neg_hi:[0,0,1]
	v_pk_fma_f32 v[120:121], v[120:121], v[110:111], v[124:125] op_sel:[0,0,1] op_sel_hi:[1,0,0]
	v_mov_b32_e32 v127, v121
	v_pk_mul_f32 v[120:121], v[122:123], v[112:113] op_sel:[0,1]
	s_delay_alu instid0(VALU_DEP_2) | instskip(NEXT) | instid1(VALU_DEP_2)
	v_pk_add_f32 v[54:55], v[54:55], v[126:127] neg_lo:[0,1] neg_hi:[0,1]
	v_pk_fma_f32 v[124:125], v[122:123], v[110:111], v[120:121] op_sel:[0,0,1] op_sel_hi:[1,1,0] neg_lo:[0,0,1] neg_hi:[0,0,1]
	v_pk_fma_f32 v[120:121], v[122:123], v[110:111], v[120:121] op_sel:[0,0,1] op_sel_hi:[1,0,0]
	s_delay_alu instid0(VALU_DEP_1) | instskip(SKIP_4) | instid1(VALU_DEP_1)
	v_mov_b32_e32 v125, v121
	ds_load_2addr_b64 v[120:123], v114 offset0:36 offset1:37
	v_pk_add_f32 v[12:13], v[12:13], v[124:125] neg_lo:[0,1] neg_hi:[0,1]
	s_wait_dscnt 0x0
	v_pk_mul_f32 v[124:125], v[120:121], v[112:113] op_sel:[0,1]
	v_pk_fma_f32 v[126:127], v[120:121], v[110:111], v[124:125] op_sel:[0,0,1] op_sel_hi:[1,1,0] neg_lo:[0,0,1] neg_hi:[0,0,1]
	v_pk_fma_f32 v[120:121], v[120:121], v[110:111], v[124:125] op_sel:[0,0,1] op_sel_hi:[1,0,0]
	v_dual_mul_f32 v124, v123, v113 :: v_dual_mov_b32 v120, v123
	s_delay_alu instid0(VALU_DEP_2) | instskip(NEXT) | instid1(VALU_DEP_2)
	v_dual_mov_b32 v127, v121 :: v_dual_mov_b32 v121, v122
	v_pk_fma_f32 v[124:125], v[122:123], v[22:23], v[124:125] op_sel_hi:[1,1,0] neg_lo:[0,0,1] neg_hi:[0,0,1]
	v_mul_f32_e32 v122, v123, v110
	s_delay_alu instid0(VALU_DEP_3) | instskip(NEXT) | instid1(VALU_DEP_2)
	v_pk_add_f32 v[50:51], v[50:51], v[126:127] neg_lo:[0,1] neg_hi:[0,1]
	v_pk_fma_f32 v[120:121], v[120:121], v[22:23], v[122:123] op_sel_hi:[1,1,0]
	s_delay_alu instid0(VALU_DEP_1) | instskip(SKIP_4) | instid1(VALU_DEP_1)
	v_mov_b32_e32 v125, v121
	ds_load_2addr_b64 v[120:123], v114 offset0:38 offset1:39
	v_pk_add_f32 v[46:47], v[46:47], v[124:125] neg_lo:[0,1] neg_hi:[0,1]
	s_wait_dscnt 0x0
	v_pk_mul_f32 v[124:125], v[120:121], v[112:113] op_sel:[0,1]
	v_pk_fma_f32 v[126:127], v[120:121], v[110:111], v[124:125] op_sel:[0,0,1] op_sel_hi:[1,1,0] neg_lo:[0,0,1] neg_hi:[0,0,1]
	v_pk_fma_f32 v[120:121], v[120:121], v[110:111], v[124:125] op_sel:[0,0,1] op_sel_hi:[1,0,0]
	s_delay_alu instid0(VALU_DEP_1) | instskip(SKIP_1) | instid1(VALU_DEP_1)
	v_mov_b32_e32 v127, v121
	v_pk_mul_f32 v[120:121], v[122:123], v[112:113] op_sel:[0,1]
	v_pk_fma_f32 v[124:125], v[122:123], v[110:111], v[120:121] op_sel:[0,0,1] op_sel_hi:[1,1,0] neg_lo:[0,0,1] neg_hi:[0,0,1]
	v_pk_fma_f32 v[120:121], v[122:123], v[110:111], v[120:121] op_sel:[0,0,1] op_sel_hi:[1,0,0]
	s_delay_alu instid0(VALU_DEP_1)
	v_mov_b32_e32 v125, v121
	ds_load_2addr_b64 v[120:123], v114 offset0:40 offset1:41
	v_pk_add_f32 v[48:49], v[48:49], v[126:127] neg_lo:[0,1] neg_hi:[0,1]
	v_pk_add_f32 v[10:11], v[10:11], v[124:125] neg_lo:[0,1] neg_hi:[0,1]
	s_wait_dscnt 0x0
	v_pk_mul_f32 v[124:125], v[120:121], v[112:113] op_sel:[0,1]
	s_delay_alu instid0(VALU_DEP_1) | instskip(SKIP_1) | instid1(VALU_DEP_1)
	v_pk_fma_f32 v[126:127], v[120:121], v[110:111], v[124:125] op_sel:[0,0,1] op_sel_hi:[1,1,0] neg_lo:[0,0,1] neg_hi:[0,0,1]
	v_pk_fma_f32 v[120:121], v[120:121], v[110:111], v[124:125] op_sel:[0,0,1] op_sel_hi:[1,0,0]
	v_mov_b32_e32 v127, v121
	v_pk_mul_f32 v[120:121], v[122:123], v[112:113] op_sel:[0,1]
	s_delay_alu instid0(VALU_DEP_1) | instskip(SKIP_1) | instid1(VALU_DEP_1)
	v_pk_fma_f32 v[124:125], v[122:123], v[110:111], v[120:121] op_sel:[0,0,1] op_sel_hi:[1,1,0] neg_lo:[0,0,1] neg_hi:[0,0,1]
	v_pk_fma_f32 v[120:121], v[122:123], v[110:111], v[120:121] op_sel:[0,0,1] op_sel_hi:[1,0,0]
	v_mov_b32_e32 v125, v121
	ds_load_2addr_b64 v[120:123], v114 offset0:42 offset1:43
	v_pk_add_f32 v[44:45], v[44:45], v[126:127] neg_lo:[0,1] neg_hi:[0,1]
	v_pk_add_f32 v[40:41], v[40:41], v[124:125] neg_lo:[0,1] neg_hi:[0,1]
	s_wait_dscnt 0x0
	v_dual_mul_f32 v124, v121, v113 :: v_dual_mul_f32 v126, v121, v110
	s_delay_alu instid0(VALU_DEP_1) | instskip(NEXT) | instid1(VALU_DEP_2)
	v_pk_fma_f32 v[124:125], v[120:121], v[22:23], v[124:125] op_sel_hi:[1,1,0] neg_lo:[0,0,1] neg_hi:[0,0,1]
	v_pk_fma_f32 v[120:121], v[120:121], v[22:23], v[126:127] op_sel:[1,0,0] op_sel_hi:[0,1,0]
	s_delay_alu instid0(VALU_DEP_1) | instskip(SKIP_1) | instid1(VALU_DEP_2)
	v_mov_b32_e32 v125, v121
	v_pk_mul_f32 v[120:121], v[122:123], v[112:113] op_sel:[0,1]
	v_pk_add_f32 v[42:43], v[42:43], v[124:125] neg_lo:[0,1] neg_hi:[0,1]
	s_delay_alu instid0(VALU_DEP_2) | instskip(SKIP_1) | instid1(VALU_DEP_1)
	v_pk_fma_f32 v[124:125], v[122:123], v[110:111], v[120:121] op_sel:[0,0,1] op_sel_hi:[1,1,0] neg_lo:[0,0,1] neg_hi:[0,0,1]
	v_pk_fma_f32 v[120:121], v[122:123], v[110:111], v[120:121] op_sel:[0,0,1] op_sel_hi:[1,0,0]
	v_mov_b32_e32 v125, v121
	ds_load_2addr_b64 v[120:123], v114 offset0:44 offset1:45
	v_pk_add_f32 v[6:7], v[6:7], v[124:125] neg_lo:[0,1] neg_hi:[0,1]
	s_wait_dscnt 0x0
	v_pk_mul_f32 v[124:125], v[120:121], v[112:113] op_sel:[0,1]
	s_delay_alu instid0(VALU_DEP_1) | instskip(SKIP_1) | instid1(VALU_DEP_1)
	v_pk_fma_f32 v[126:127], v[120:121], v[110:111], v[124:125] op_sel:[0,0,1] op_sel_hi:[1,1,0] neg_lo:[0,0,1] neg_hi:[0,0,1]
	v_pk_fma_f32 v[120:121], v[120:121], v[110:111], v[124:125] op_sel:[0,0,1] op_sel_hi:[1,0,0]
	v_mov_b32_e32 v127, v121
	v_pk_mul_f32 v[120:121], v[122:123], v[112:113] op_sel:[0,1]
	s_delay_alu instid0(VALU_DEP_2) | instskip(NEXT) | instid1(VALU_DEP_2)
	v_pk_add_f32 v[36:37], v[36:37], v[126:127] neg_lo:[0,1] neg_hi:[0,1]
	v_pk_fma_f32 v[124:125], v[122:123], v[110:111], v[120:121] op_sel:[0,0,1] op_sel_hi:[1,1,0] neg_lo:[0,0,1] neg_hi:[0,0,1]
	v_pk_fma_f32 v[120:121], v[122:123], v[110:111], v[120:121] op_sel:[0,0,1] op_sel_hi:[1,0,0]
	s_delay_alu instid0(VALU_DEP_1) | instskip(SKIP_4) | instid1(VALU_DEP_1)
	v_mov_b32_e32 v125, v121
	ds_load_2addr_b64 v[120:123], v114 offset0:46 offset1:47
	v_pk_add_f32 v[30:31], v[30:31], v[124:125] neg_lo:[0,1] neg_hi:[0,1]
	s_wait_dscnt 0x0
	v_pk_mul_f32 v[124:125], v[120:121], v[112:113] op_sel:[0,1]
	v_pk_fma_f32 v[126:127], v[120:121], v[110:111], v[124:125] op_sel:[0,0,1] op_sel_hi:[1,1,0] neg_lo:[0,0,1] neg_hi:[0,0,1]
	v_pk_fma_f32 v[120:121], v[120:121], v[110:111], v[124:125] op_sel:[0,0,1] op_sel_hi:[1,0,0]
	v_dual_mul_f32 v124, v123, v113 :: v_dual_mov_b32 v120, v123
	s_delay_alu instid0(VALU_DEP_2) | instskip(NEXT) | instid1(VALU_DEP_2)
	v_dual_mov_b32 v127, v121 :: v_dual_mov_b32 v121, v122
	v_pk_fma_f32 v[124:125], v[122:123], v[22:23], v[124:125] op_sel_hi:[1,1,0] neg_lo:[0,0,1] neg_hi:[0,0,1]
	v_mul_f32_e32 v122, v123, v110
	s_delay_alu instid0(VALU_DEP_3) | instskip(NEXT) | instid1(VALU_DEP_2)
	v_pk_add_f32 v[34:35], v[34:35], v[126:127] neg_lo:[0,1] neg_hi:[0,1]
	v_pk_fma_f32 v[120:121], v[120:121], v[22:23], v[122:123] op_sel_hi:[1,1,0]
	s_delay_alu instid0(VALU_DEP_1) | instskip(SKIP_4) | instid1(VALU_DEP_1)
	v_mov_b32_e32 v125, v121
	ds_load_2addr_b64 v[120:123], v114 offset0:48 offset1:49
	v_pk_add_f32 v[8:9], v[8:9], v[124:125] neg_lo:[0,1] neg_hi:[0,1]
	s_wait_dscnt 0x0
	v_pk_mul_f32 v[124:125], v[120:121], v[112:113] op_sel:[0,1]
	v_pk_fma_f32 v[126:127], v[120:121], v[110:111], v[124:125] op_sel:[0,0,1] op_sel_hi:[1,1,0] neg_lo:[0,0,1] neg_hi:[0,0,1]
	v_pk_fma_f32 v[120:121], v[120:121], v[110:111], v[124:125] op_sel:[0,0,1] op_sel_hi:[1,0,0]
	s_delay_alu instid0(VALU_DEP_1) | instskip(SKIP_1) | instid1(VALU_DEP_1)
	v_mov_b32_e32 v127, v121
	v_pk_mul_f32 v[120:121], v[122:123], v[112:113] op_sel:[0,1]
	v_pk_fma_f32 v[124:125], v[122:123], v[110:111], v[120:121] op_sel:[0,0,1] op_sel_hi:[1,1,0] neg_lo:[0,0,1] neg_hi:[0,0,1]
	v_pk_fma_f32 v[120:121], v[122:123], v[110:111], v[120:121] op_sel:[0,0,1] op_sel_hi:[1,0,0]
	s_delay_alu instid0(VALU_DEP_1)
	v_mov_b32_e32 v125, v121
	ds_load_2addr_b64 v[120:123], v114 offset0:50 offset1:51
	v_pk_add_f32 v[28:29], v[28:29], v[126:127] neg_lo:[0,1] neg_hi:[0,1]
	v_pk_add_f32 v[16:17], v[16:17], v[124:125] neg_lo:[0,1] neg_hi:[0,1]
	s_wait_dscnt 0x0
	v_pk_mul_f32 v[124:125], v[120:121], v[112:113] op_sel:[0,1]
	v_pk_mul_f32 v[112:113], v[122:123], v[112:113] op_sel:[0,1]
	s_delay_alu instid0(VALU_DEP_2) | instskip(SKIP_1) | instid1(VALU_DEP_1)
	v_pk_fma_f32 v[126:127], v[120:121], v[110:111], v[124:125] op_sel:[0,0,1] op_sel_hi:[1,1,0] neg_lo:[0,0,1] neg_hi:[0,0,1]
	v_pk_fma_f32 v[120:121], v[120:121], v[110:111], v[124:125] op_sel:[0,0,1] op_sel_hi:[1,0,0]
	v_mov_b32_e32 v127, v121
	s_delay_alu instid0(VALU_DEP_4) | instskip(SKIP_1) | instid1(VALU_DEP_1)
	v_pk_fma_f32 v[120:121], v[122:123], v[110:111], v[112:113] op_sel:[0,0,1] op_sel_hi:[1,1,0] neg_lo:[0,0,1] neg_hi:[0,0,1]
	v_pk_fma_f32 v[110:111], v[122:123], v[110:111], v[112:113] op_sel:[0,0,1] op_sel_hi:[1,0,0]
	v_mov_b32_e32 v121, v111
	s_delay_alu instid0(VALU_DEP_4) | instskip(NEXT) | instid1(VALU_DEP_2)
	v_pk_add_f32 v[14:15], v[14:15], v[126:127] neg_lo:[0,1] neg_hi:[0,1]
	v_pk_add_f32 v[108:109], v[108:109], v[120:121] neg_lo:[0,1] neg_hi:[0,1]
.LBB102_503:
	s_or_b32 exec_lo, exec_lo, s0
	v_lshl_add_u32 v110, v118, 3, v114
	s_barrier_signal -1
	s_barrier_wait -1
	ds_store_b64 v110, v[68:69]
	s_wait_dscnt 0x0
	s_barrier_signal -1
	s_barrier_wait -1
	ds_load_b64 v[112:113], v114 offset:192
	v_mov_b32_e32 v110, 24
	s_cmp_lt_i32 s18, 26
	s_cbranch_scc1 .LBB102_506
; %bb.504:
	v_add3_u32 v111, v115, 0, 0xc8
	v_mov_b32_e32 v110, 24
	s_mov_b32 s0, 25
.LBB102_505:                            ; =>This Inner Loop Header: Depth=1
	ds_load_b64 v[120:121], v111
	s_wait_dscnt 0x1
	v_cmp_gt_f32_e32 vcc_lo, 0, v112
	v_cndmask_b32_e64 v122, v112, -v112, vcc_lo
	v_cmp_gt_f32_e32 vcc_lo, 0, v113
	v_cndmask_b32_e64 v124, v113, -v113, vcc_lo
	s_wait_dscnt 0x0
	v_cmp_gt_f32_e32 vcc_lo, 0, v120
	v_cndmask_b32_e64 v123, v120, -v120, vcc_lo
	v_cmp_gt_f32_e32 vcc_lo, 0, v121
	v_cndmask_b32_e64 v125, v121, -v121, vcc_lo
	s_delay_alu instid0(VALU_DEP_1) | instskip(NEXT) | instid1(VALU_DEP_1)
	v_pk_add_f32 v[122:123], v[122:123], v[124:125]
	v_cmp_lt_f32_e32 vcc_lo, v122, v123
	v_dual_add_nc_u32 v111, 8, v111 :: v_dual_cndmask_b32 v113, v113, v121, vcc_lo
	v_cndmask_b32_e32 v112, v112, v120, vcc_lo
	v_cndmask_b32_e64 v110, v110, s0, vcc_lo
	s_add_co_i32 s0, s0, 1
	s_delay_alu instid0(SALU_CYCLE_1)
	s_cmp_lg_u32 s18, s0
	s_cbranch_scc1 .LBB102_505
.LBB102_506:
	s_wait_dscnt 0x0
	v_cmp_eq_f32_e32 vcc_lo, 0, v112
	v_cmp_eq_f32_e64 s0, 0, v113
	s_and_b32 s0, vcc_lo, s0
	s_delay_alu instid0(SALU_CYCLE_1) | instskip(NEXT) | instid1(SALU_CYCLE_1)
	s_and_saveexec_b32 s1, s0
	s_xor_b32 s0, exec_lo, s1
; %bb.507:
	v_cmp_ne_u32_e32 vcc_lo, 0, v116
	v_cndmask_b32_e32 v116, 25, v116, vcc_lo
; %bb.508:
	s_and_not1_saveexec_b32 s0, s0
	s_cbranch_execz .LBB102_514
; %bb.509:
	v_cmp_ngt_f32_e64 s1, |v112|, |v113|
	s_and_saveexec_b32 s12, s1
	s_delay_alu instid0(SALU_CYCLE_1)
	s_xor_b32 s1, exec_lo, s12
	s_cbranch_execz .LBB102_511
; %bb.510:
	v_div_scale_f32 v111, null, v113, v113, v112
	v_div_scale_f32 v121, vcc_lo, v112, v113, v112
	s_delay_alu instid0(VALU_DEP_2) | instskip(SKIP_1) | instid1(TRANS32_DEP_1)
	v_rcp_f32_e32 v119, v111
	v_nop
	v_fma_f32 v120, -v111, v119, 1.0
	s_delay_alu instid0(VALU_DEP_1) | instskip(NEXT) | instid1(VALU_DEP_1)
	v_fmac_f32_e32 v119, v120, v119
	v_mul_f32_e32 v120, v121, v119
	s_delay_alu instid0(VALU_DEP_1) | instskip(NEXT) | instid1(VALU_DEP_1)
	v_fma_f32 v122, -v111, v120, v121
	v_fmac_f32_e32 v120, v122, v119
	s_delay_alu instid0(VALU_DEP_1) | instskip(NEXT) | instid1(VALU_DEP_1)
	v_fma_f32 v111, -v111, v120, v121
	v_div_fmas_f32 v111, v111, v119, v120
	s_delay_alu instid0(VALU_DEP_1) | instskip(NEXT) | instid1(VALU_DEP_1)
	v_div_fixup_f32 v111, v111, v113, v112
	v_fmac_f32_e32 v113, v112, v111
	s_delay_alu instid0(VALU_DEP_1) | instskip(SKIP_1) | instid1(VALU_DEP_2)
	v_div_scale_f32 v112, null, v113, v113, 1.0
	v_div_scale_f32 v121, vcc_lo, 1.0, v113, 1.0
	v_rcp_f32_e32 v119, v112
	v_nop
	s_delay_alu instid0(TRANS32_DEP_1) | instskip(NEXT) | instid1(VALU_DEP_1)
	v_fma_f32 v120, -v112, v119, 1.0
	v_fmac_f32_e32 v119, v120, v119
	s_delay_alu instid0(VALU_DEP_1) | instskip(NEXT) | instid1(VALU_DEP_1)
	v_mul_f32_e32 v120, v121, v119
	v_fma_f32 v122, -v112, v120, v121
	s_delay_alu instid0(VALU_DEP_1) | instskip(NEXT) | instid1(VALU_DEP_1)
	v_fmac_f32_e32 v120, v122, v119
	v_fma_f32 v112, -v112, v120, v121
	s_delay_alu instid0(VALU_DEP_1) | instskip(NEXT) | instid1(VALU_DEP_1)
	v_div_fmas_f32 v112, v112, v119, v120
	v_div_fixup_f32 v113, v112, v113, 1.0
	s_delay_alu instid0(VALU_DEP_1)
	v_mul_f32_e32 v112, v111, v113
	v_xor_b32_e32 v113, 0x80000000, v113
.LBB102_511:
	s_and_not1_saveexec_b32 s1, s1
	s_cbranch_execz .LBB102_513
; %bb.512:
	s_delay_alu instid0(VALU_DEP_1) | instskip(SKIP_1) | instid1(VALU_DEP_2)
	v_div_scale_f32 v111, null, v112, v112, v113
	v_div_scale_f32 v121, vcc_lo, v113, v112, v113
	v_rcp_f32_e32 v119, v111
	v_nop
	s_delay_alu instid0(TRANS32_DEP_1) | instskip(NEXT) | instid1(VALU_DEP_1)
	v_fma_f32 v120, -v111, v119, 1.0
	v_fmac_f32_e32 v119, v120, v119
	s_delay_alu instid0(VALU_DEP_1) | instskip(NEXT) | instid1(VALU_DEP_1)
	v_mul_f32_e32 v120, v121, v119
	v_fma_f32 v122, -v111, v120, v121
	s_delay_alu instid0(VALU_DEP_1) | instskip(NEXT) | instid1(VALU_DEP_1)
	v_fmac_f32_e32 v120, v122, v119
	v_fma_f32 v111, -v111, v120, v121
	s_delay_alu instid0(VALU_DEP_1) | instskip(NEXT) | instid1(VALU_DEP_1)
	v_div_fmas_f32 v111, v111, v119, v120
	v_div_fixup_f32 v111, v111, v112, v113
	s_delay_alu instid0(VALU_DEP_1) | instskip(NEXT) | instid1(VALU_DEP_1)
	v_fmac_f32_e32 v112, v113, v111
	v_div_scale_f32 v113, null, v112, v112, 1.0
	s_delay_alu instid0(VALU_DEP_1) | instskip(SKIP_1) | instid1(TRANS32_DEP_1)
	v_rcp_f32_e32 v119, v113
	v_nop
	v_fma_f32 v120, -v113, v119, 1.0
	s_delay_alu instid0(VALU_DEP_1) | instskip(SKIP_1) | instid1(VALU_DEP_1)
	v_fmac_f32_e32 v119, v120, v119
	v_div_scale_f32 v120, vcc_lo, 1.0, v112, 1.0
	v_mul_f32_e32 v121, v120, v119
	s_delay_alu instid0(VALU_DEP_1) | instskip(NEXT) | instid1(VALU_DEP_1)
	v_fma_f32 v122, -v113, v121, v120
	v_fmac_f32_e32 v121, v122, v119
	s_delay_alu instid0(VALU_DEP_1) | instskip(NEXT) | instid1(VALU_DEP_1)
	v_fma_f32 v113, -v113, v121, v120
	v_div_fmas_f32 v113, v113, v119, v121
	s_delay_alu instid0(VALU_DEP_1) | instskip(NEXT) | instid1(VALU_DEP_1)
	v_div_fixup_f32 v112, v113, v112, 1.0
	v_mul_f32_e64 v113, v111, -v112
.LBB102_513:
	s_or_b32 exec_lo, exec_lo, s1
.LBB102_514:
	s_delay_alu instid0(SALU_CYCLE_1) | instskip(NEXT) | instid1(SALU_CYCLE_1)
	s_or_b32 exec_lo, exec_lo, s0
	s_mov_b32 s0, exec_lo
	v_cmpx_ne_u32_e64 v118, v110
	s_xor_b32 s0, exec_lo, s0
	s_cbranch_execz .LBB102_520
; %bb.515:
	s_mov_b32 s1, exec_lo
	v_cmpx_eq_u32_e32 24, v118
	s_cbranch_execz .LBB102_519
; %bb.516:
	v_cmp_ne_u32_e32 vcc_lo, 24, v110
	s_xor_b32 s12, s16, -1
	s_delay_alu instid0(SALU_CYCLE_1) | instskip(NEXT) | instid1(SALU_CYCLE_1)
	s_and_b32 s13, s12, vcc_lo
	s_and_saveexec_b32 s12, s13
	s_cbranch_execz .LBB102_518
; %bb.517:
	v_ashrrev_i32_e32 v111, 31, v110
	s_delay_alu instid0(VALU_DEP_1)
	v_lshl_add_u64 v[118:119], v[110:111], 2, v[4:5]
	s_clause 0x1
	global_load_b32 v111, v[118:119], off
	global_load_b32 v117, v[4:5], off offset:96
	s_wait_loadcnt 0x1
	global_store_b32 v[4:5], v111, off offset:96
	s_wait_loadcnt 0x0
	global_store_b32 v[118:119], v117, off
.LBB102_518:
	s_wait_xcnt 0x0
	s_or_b32 exec_lo, exec_lo, s12
	v_dual_mov_b32 v118, v110 :: v_dual_mov_b32 v117, v110
.LBB102_519:
	s_or_b32 exec_lo, exec_lo, s1
.LBB102_520:
	s_and_not1_saveexec_b32 s0, s0
	s_cbranch_execz .LBB102_522
; %bb.521:
	v_mov_b32_e32 v118, 24
	ds_store_2addr_b64 v114, v[64:65], v[66:67] offset0:25 offset1:26
	ds_store_2addr_b64 v114, v[20:21], v[62:63] offset0:27 offset1:28
	;; [unrolled: 1-line block ×13, first 2 shown]
	ds_store_b64 v114, v[108:109] offset:408
.LBB102_522:
	s_or_b32 exec_lo, exec_lo, s0
	s_delay_alu instid0(SALU_CYCLE_1)
	s_mov_b32 s0, exec_lo
	s_wait_storecnt_dscnt 0x0
	s_barrier_signal -1
	s_barrier_wait -1
	v_cmpx_lt_i32_e32 24, v118
	s_cbranch_execz .LBB102_524
; %bb.523:
	v_pk_mul_f32 v[120:121], v[112:113], v[68:69] op_sel:[1,1] op_sel_hi:[0,1]
	s_delay_alu instid0(VALU_DEP_1)
	v_pk_fma_f32 v[110:111], v[112:113], v[68:69], v[120:121] op_sel_hi:[1,0,1] neg_lo:[0,0,1] neg_hi:[0,0,1]
	v_pk_fma_f32 v[112:113], v[112:113], v[68:69], v[120:121] op_sel_hi:[1,0,1]
	ds_load_2addr_b64 v[120:123], v114 offset0:25 offset1:26
	v_dual_mov_b32 v68, v110 :: v_dual_mov_b32 v69, v113
	s_wait_dscnt 0x0
	v_pk_mul_f32 v[124:125], v[120:121], v[112:113] op_sel:[0,1]
	s_delay_alu instid0(VALU_DEP_1) | instskip(SKIP_1) | instid1(VALU_DEP_1)
	v_pk_fma_f32 v[126:127], v[120:121], v[110:111], v[124:125] op_sel:[0,0,1] op_sel_hi:[1,1,0] neg_lo:[0,0,1] neg_hi:[0,0,1]
	v_pk_fma_f32 v[120:121], v[120:121], v[110:111], v[124:125] op_sel:[0,0,1] op_sel_hi:[1,0,0]
	v_mov_b32_e32 v127, v121
	v_pk_mul_f32 v[120:121], v[122:123], v[112:113] op_sel:[0,1]
	s_delay_alu instid0(VALU_DEP_1) | instskip(SKIP_1) | instid1(VALU_DEP_1)
	v_pk_fma_f32 v[124:125], v[122:123], v[110:111], v[120:121] op_sel:[0,0,1] op_sel_hi:[1,1,0] neg_lo:[0,0,1] neg_hi:[0,0,1]
	v_pk_fma_f32 v[120:121], v[122:123], v[110:111], v[120:121] op_sel:[0,0,1] op_sel_hi:[1,0,0]
	v_mov_b32_e32 v125, v121
	ds_load_2addr_b64 v[120:123], v114 offset0:27 offset1:28
	v_pk_add_f32 v[64:65], v[64:65], v[126:127] neg_lo:[0,1] neg_hi:[0,1]
	v_pk_add_f32 v[66:67], v[66:67], v[124:125] neg_lo:[0,1] neg_hi:[0,1]
	s_wait_dscnt 0x0
	v_pk_mul_f32 v[124:125], v[120:121], v[112:113] op_sel:[0,1]
	s_delay_alu instid0(VALU_DEP_1) | instskip(SKIP_2) | instid1(VALU_DEP_2)
	v_pk_fma_f32 v[126:127], v[120:121], v[110:111], v[124:125] op_sel:[0,0,1] op_sel_hi:[1,1,0] neg_lo:[0,0,1] neg_hi:[0,0,1]
	v_pk_fma_f32 v[120:121], v[120:121], v[110:111], v[124:125] op_sel:[0,0,1] op_sel_hi:[1,0,0]
	v_dual_mul_f32 v124, v123, v113 :: v_dual_mov_b32 v120, v123
	v_dual_mov_b32 v127, v121 :: v_dual_mov_b32 v121, v122
	s_delay_alu instid0(VALU_DEP_2) | instskip(SKIP_1) | instid1(VALU_DEP_3)
	v_pk_fma_f32 v[124:125], v[122:123], v[68:69], v[124:125] op_sel_hi:[1,1,0] neg_lo:[0,0,1] neg_hi:[0,0,1]
	v_mul_f32_e32 v122, v123, v110
	v_pk_add_f32 v[20:21], v[20:21], v[126:127] neg_lo:[0,1] neg_hi:[0,1]
	s_delay_alu instid0(VALU_DEP_2) | instskip(NEXT) | instid1(VALU_DEP_1)
	v_pk_fma_f32 v[120:121], v[120:121], v[68:69], v[122:123] op_sel_hi:[1,1,0]
	v_mov_b32_e32 v125, v121
	ds_load_2addr_b64 v[120:123], v114 offset0:29 offset1:30
	v_pk_add_f32 v[62:63], v[62:63], v[124:125] neg_lo:[0,1] neg_hi:[0,1]
	s_wait_dscnt 0x0
	v_pk_mul_f32 v[124:125], v[120:121], v[112:113] op_sel:[0,1]
	s_delay_alu instid0(VALU_DEP_1) | instskip(SKIP_1) | instid1(VALU_DEP_1)
	v_pk_fma_f32 v[126:127], v[120:121], v[110:111], v[124:125] op_sel:[0,0,1] op_sel_hi:[1,1,0] neg_lo:[0,0,1] neg_hi:[0,0,1]
	v_pk_fma_f32 v[120:121], v[120:121], v[110:111], v[124:125] op_sel:[0,0,1] op_sel_hi:[1,0,0]
	v_mov_b32_e32 v127, v121
	v_pk_mul_f32 v[120:121], v[122:123], v[112:113] op_sel:[0,1]
	s_delay_alu instid0(VALU_DEP_1) | instskip(SKIP_1) | instid1(VALU_DEP_1)
	v_pk_fma_f32 v[124:125], v[122:123], v[110:111], v[120:121] op_sel:[0,0,1] op_sel_hi:[1,1,0] neg_lo:[0,0,1] neg_hi:[0,0,1]
	v_pk_fma_f32 v[120:121], v[122:123], v[110:111], v[120:121] op_sel:[0,0,1] op_sel_hi:[1,0,0]
	v_mov_b32_e32 v125, v121
	ds_load_2addr_b64 v[120:123], v114 offset0:31 offset1:32
	v_pk_add_f32 v[58:59], v[58:59], v[126:127] neg_lo:[0,1] neg_hi:[0,1]
	v_pk_add_f32 v[60:61], v[60:61], v[124:125] neg_lo:[0,1] neg_hi:[0,1]
	s_wait_dscnt 0x0
	v_pk_mul_f32 v[124:125], v[120:121], v[112:113] op_sel:[0,1]
	s_delay_alu instid0(VALU_DEP_1) | instskip(SKIP_1) | instid1(VALU_DEP_1)
	v_pk_fma_f32 v[126:127], v[120:121], v[110:111], v[124:125] op_sel:[0,0,1] op_sel_hi:[1,1,0] neg_lo:[0,0,1] neg_hi:[0,0,1]
	v_pk_fma_f32 v[120:121], v[120:121], v[110:111], v[124:125] op_sel:[0,0,1] op_sel_hi:[1,0,0]
	v_mov_b32_e32 v127, v121
	v_pk_mul_f32 v[120:121], v[122:123], v[112:113] op_sel:[0,1]
	s_delay_alu instid0(VALU_DEP_1) | instskip(SKIP_1) | instid1(VALU_DEP_1)
	v_pk_fma_f32 v[124:125], v[122:123], v[110:111], v[120:121] op_sel:[0,0,1] op_sel_hi:[1,1,0] neg_lo:[0,0,1] neg_hi:[0,0,1]
	v_pk_fma_f32 v[120:121], v[122:123], v[110:111], v[120:121] op_sel:[0,0,1] op_sel_hi:[1,0,0]
	v_mov_b32_e32 v125, v121
	ds_load_2addr_b64 v[120:123], v114 offset0:33 offset1:34
	v_pk_add_f32 v[18:19], v[18:19], v[126:127] neg_lo:[0,1] neg_hi:[0,1]
	v_pk_add_f32 v[56:57], v[56:57], v[124:125] neg_lo:[0,1] neg_hi:[0,1]
	s_wait_dscnt 0x0
	v_dual_mul_f32 v124, v121, v113 :: v_dual_mul_f32 v126, v121, v110
	s_delay_alu instid0(VALU_DEP_1) | instskip(NEXT) | instid1(VALU_DEP_2)
	v_pk_fma_f32 v[124:125], v[120:121], v[68:69], v[124:125] op_sel_hi:[1,1,0] neg_lo:[0,0,1] neg_hi:[0,0,1]
	v_pk_fma_f32 v[120:121], v[120:121], v[68:69], v[126:127] op_sel:[1,0,0] op_sel_hi:[0,1,0]
	s_delay_alu instid0(VALU_DEP_1) | instskip(SKIP_1) | instid1(VALU_DEP_2)
	v_mov_b32_e32 v125, v121
	v_pk_mul_f32 v[120:121], v[122:123], v[112:113] op_sel:[0,1]
	v_pk_add_f32 v[52:53], v[52:53], v[124:125] neg_lo:[0,1] neg_hi:[0,1]
	s_delay_alu instid0(VALU_DEP_2) | instskip(SKIP_1) | instid1(VALU_DEP_1)
	v_pk_fma_f32 v[124:125], v[122:123], v[110:111], v[120:121] op_sel:[0,0,1] op_sel_hi:[1,1,0] neg_lo:[0,0,1] neg_hi:[0,0,1]
	v_pk_fma_f32 v[120:121], v[122:123], v[110:111], v[120:121] op_sel:[0,0,1] op_sel_hi:[1,0,0]
	v_mov_b32_e32 v125, v121
	ds_load_2addr_b64 v[120:123], v114 offset0:35 offset1:36
	v_pk_add_f32 v[54:55], v[54:55], v[124:125] neg_lo:[0,1] neg_hi:[0,1]
	s_wait_dscnt 0x0
	v_pk_mul_f32 v[124:125], v[120:121], v[112:113] op_sel:[0,1]
	s_delay_alu instid0(VALU_DEP_1) | instskip(SKIP_1) | instid1(VALU_DEP_1)
	v_pk_fma_f32 v[126:127], v[120:121], v[110:111], v[124:125] op_sel:[0,0,1] op_sel_hi:[1,1,0] neg_lo:[0,0,1] neg_hi:[0,0,1]
	v_pk_fma_f32 v[120:121], v[120:121], v[110:111], v[124:125] op_sel:[0,0,1] op_sel_hi:[1,0,0]
	v_mov_b32_e32 v127, v121
	v_pk_mul_f32 v[120:121], v[122:123], v[112:113] op_sel:[0,1]
	s_delay_alu instid0(VALU_DEP_2) | instskip(NEXT) | instid1(VALU_DEP_2)
	v_pk_add_f32 v[12:13], v[12:13], v[126:127] neg_lo:[0,1] neg_hi:[0,1]
	v_pk_fma_f32 v[124:125], v[122:123], v[110:111], v[120:121] op_sel:[0,0,1] op_sel_hi:[1,1,0] neg_lo:[0,0,1] neg_hi:[0,0,1]
	v_pk_fma_f32 v[120:121], v[122:123], v[110:111], v[120:121] op_sel:[0,0,1] op_sel_hi:[1,0,0]
	s_delay_alu instid0(VALU_DEP_1) | instskip(SKIP_4) | instid1(VALU_DEP_1)
	v_mov_b32_e32 v125, v121
	ds_load_2addr_b64 v[120:123], v114 offset0:37 offset1:38
	v_pk_add_f32 v[50:51], v[50:51], v[124:125] neg_lo:[0,1] neg_hi:[0,1]
	s_wait_dscnt 0x0
	v_pk_mul_f32 v[124:125], v[120:121], v[112:113] op_sel:[0,1]
	v_pk_fma_f32 v[126:127], v[120:121], v[110:111], v[124:125] op_sel:[0,0,1] op_sel_hi:[1,1,0] neg_lo:[0,0,1] neg_hi:[0,0,1]
	v_pk_fma_f32 v[120:121], v[120:121], v[110:111], v[124:125] op_sel:[0,0,1] op_sel_hi:[1,0,0]
	v_dual_mul_f32 v124, v123, v113 :: v_dual_mov_b32 v120, v123
	s_delay_alu instid0(VALU_DEP_2) | instskip(NEXT) | instid1(VALU_DEP_2)
	v_dual_mov_b32 v127, v121 :: v_dual_mov_b32 v121, v122
	v_pk_fma_f32 v[124:125], v[122:123], v[68:69], v[124:125] op_sel_hi:[1,1,0] neg_lo:[0,0,1] neg_hi:[0,0,1]
	v_mul_f32_e32 v122, v123, v110
	s_delay_alu instid0(VALU_DEP_3) | instskip(NEXT) | instid1(VALU_DEP_2)
	v_pk_add_f32 v[46:47], v[46:47], v[126:127] neg_lo:[0,1] neg_hi:[0,1]
	v_pk_fma_f32 v[120:121], v[120:121], v[68:69], v[122:123] op_sel_hi:[1,1,0]
	s_delay_alu instid0(VALU_DEP_1) | instskip(SKIP_4) | instid1(VALU_DEP_1)
	v_mov_b32_e32 v125, v121
	ds_load_2addr_b64 v[120:123], v114 offset0:39 offset1:40
	v_pk_add_f32 v[48:49], v[48:49], v[124:125] neg_lo:[0,1] neg_hi:[0,1]
	s_wait_dscnt 0x0
	v_pk_mul_f32 v[124:125], v[120:121], v[112:113] op_sel:[0,1]
	v_pk_fma_f32 v[126:127], v[120:121], v[110:111], v[124:125] op_sel:[0,0,1] op_sel_hi:[1,1,0] neg_lo:[0,0,1] neg_hi:[0,0,1]
	v_pk_fma_f32 v[120:121], v[120:121], v[110:111], v[124:125] op_sel:[0,0,1] op_sel_hi:[1,0,0]
	s_delay_alu instid0(VALU_DEP_1) | instskip(SKIP_1) | instid1(VALU_DEP_1)
	v_mov_b32_e32 v127, v121
	v_pk_mul_f32 v[120:121], v[122:123], v[112:113] op_sel:[0,1]
	v_pk_fma_f32 v[124:125], v[122:123], v[110:111], v[120:121] op_sel:[0,0,1] op_sel_hi:[1,1,0] neg_lo:[0,0,1] neg_hi:[0,0,1]
	v_pk_fma_f32 v[120:121], v[122:123], v[110:111], v[120:121] op_sel:[0,0,1] op_sel_hi:[1,0,0]
	s_delay_alu instid0(VALU_DEP_1)
	v_mov_b32_e32 v125, v121
	ds_load_2addr_b64 v[120:123], v114 offset0:41 offset1:42
	v_pk_add_f32 v[10:11], v[10:11], v[126:127] neg_lo:[0,1] neg_hi:[0,1]
	v_pk_add_f32 v[44:45], v[44:45], v[124:125] neg_lo:[0,1] neg_hi:[0,1]
	s_wait_dscnt 0x0
	v_pk_mul_f32 v[124:125], v[120:121], v[112:113] op_sel:[0,1]
	s_delay_alu instid0(VALU_DEP_1) | instskip(SKIP_1) | instid1(VALU_DEP_1)
	v_pk_fma_f32 v[126:127], v[120:121], v[110:111], v[124:125] op_sel:[0,0,1] op_sel_hi:[1,1,0] neg_lo:[0,0,1] neg_hi:[0,0,1]
	v_pk_fma_f32 v[120:121], v[120:121], v[110:111], v[124:125] op_sel:[0,0,1] op_sel_hi:[1,0,0]
	v_mov_b32_e32 v127, v121
	v_pk_mul_f32 v[120:121], v[122:123], v[112:113] op_sel:[0,1]
	s_delay_alu instid0(VALU_DEP_1) | instskip(SKIP_1) | instid1(VALU_DEP_1)
	v_pk_fma_f32 v[124:125], v[122:123], v[110:111], v[120:121] op_sel:[0,0,1] op_sel_hi:[1,1,0] neg_lo:[0,0,1] neg_hi:[0,0,1]
	v_pk_fma_f32 v[120:121], v[122:123], v[110:111], v[120:121] op_sel:[0,0,1] op_sel_hi:[1,0,0]
	v_mov_b32_e32 v125, v121
	ds_load_2addr_b64 v[120:123], v114 offset0:43 offset1:44
	v_pk_add_f32 v[40:41], v[40:41], v[126:127] neg_lo:[0,1] neg_hi:[0,1]
	v_pk_add_f32 v[42:43], v[42:43], v[124:125] neg_lo:[0,1] neg_hi:[0,1]
	s_wait_dscnt 0x0
	v_dual_mul_f32 v124, v121, v113 :: v_dual_mul_f32 v126, v121, v110
	s_delay_alu instid0(VALU_DEP_1) | instskip(NEXT) | instid1(VALU_DEP_2)
	v_pk_fma_f32 v[124:125], v[120:121], v[68:69], v[124:125] op_sel_hi:[1,1,0] neg_lo:[0,0,1] neg_hi:[0,0,1]
	v_pk_fma_f32 v[120:121], v[120:121], v[68:69], v[126:127] op_sel:[1,0,0] op_sel_hi:[0,1,0]
	s_delay_alu instid0(VALU_DEP_1) | instskip(SKIP_1) | instid1(VALU_DEP_2)
	v_mov_b32_e32 v125, v121
	v_pk_mul_f32 v[120:121], v[122:123], v[112:113] op_sel:[0,1]
	v_pk_add_f32 v[6:7], v[6:7], v[124:125] neg_lo:[0,1] neg_hi:[0,1]
	s_delay_alu instid0(VALU_DEP_2) | instskip(SKIP_1) | instid1(VALU_DEP_1)
	v_pk_fma_f32 v[124:125], v[122:123], v[110:111], v[120:121] op_sel:[0,0,1] op_sel_hi:[1,1,0] neg_lo:[0,0,1] neg_hi:[0,0,1]
	v_pk_fma_f32 v[120:121], v[122:123], v[110:111], v[120:121] op_sel:[0,0,1] op_sel_hi:[1,0,0]
	v_mov_b32_e32 v125, v121
	ds_load_2addr_b64 v[120:123], v114 offset0:45 offset1:46
	v_pk_add_f32 v[36:37], v[36:37], v[124:125] neg_lo:[0,1] neg_hi:[0,1]
	s_wait_dscnt 0x0
	v_pk_mul_f32 v[124:125], v[120:121], v[112:113] op_sel:[0,1]
	s_delay_alu instid0(VALU_DEP_1) | instskip(SKIP_1) | instid1(VALU_DEP_1)
	v_pk_fma_f32 v[126:127], v[120:121], v[110:111], v[124:125] op_sel:[0,0,1] op_sel_hi:[1,1,0] neg_lo:[0,0,1] neg_hi:[0,0,1]
	v_pk_fma_f32 v[120:121], v[120:121], v[110:111], v[124:125] op_sel:[0,0,1] op_sel_hi:[1,0,0]
	v_mov_b32_e32 v127, v121
	v_pk_mul_f32 v[120:121], v[122:123], v[112:113] op_sel:[0,1]
	s_delay_alu instid0(VALU_DEP_2) | instskip(NEXT) | instid1(VALU_DEP_2)
	v_pk_add_f32 v[30:31], v[30:31], v[126:127] neg_lo:[0,1] neg_hi:[0,1]
	v_pk_fma_f32 v[124:125], v[122:123], v[110:111], v[120:121] op_sel:[0,0,1] op_sel_hi:[1,1,0] neg_lo:[0,0,1] neg_hi:[0,0,1]
	v_pk_fma_f32 v[120:121], v[122:123], v[110:111], v[120:121] op_sel:[0,0,1] op_sel_hi:[1,0,0]
	s_delay_alu instid0(VALU_DEP_1) | instskip(SKIP_4) | instid1(VALU_DEP_1)
	v_mov_b32_e32 v125, v121
	ds_load_2addr_b64 v[120:123], v114 offset0:47 offset1:48
	v_pk_add_f32 v[34:35], v[34:35], v[124:125] neg_lo:[0,1] neg_hi:[0,1]
	s_wait_dscnt 0x0
	v_pk_mul_f32 v[124:125], v[120:121], v[112:113] op_sel:[0,1]
	v_pk_fma_f32 v[126:127], v[120:121], v[110:111], v[124:125] op_sel:[0,0,1] op_sel_hi:[1,1,0] neg_lo:[0,0,1] neg_hi:[0,0,1]
	v_pk_fma_f32 v[120:121], v[120:121], v[110:111], v[124:125] op_sel:[0,0,1] op_sel_hi:[1,0,0]
	v_dual_mul_f32 v124, v123, v113 :: v_dual_mov_b32 v120, v123
	s_delay_alu instid0(VALU_DEP_2) | instskip(NEXT) | instid1(VALU_DEP_2)
	v_dual_mov_b32 v127, v121 :: v_dual_mov_b32 v121, v122
	v_pk_fma_f32 v[124:125], v[122:123], v[68:69], v[124:125] op_sel_hi:[1,1,0] neg_lo:[0,0,1] neg_hi:[0,0,1]
	v_mul_f32_e32 v122, v123, v110
	s_delay_alu instid0(VALU_DEP_3) | instskip(NEXT) | instid1(VALU_DEP_2)
	v_pk_add_f32 v[8:9], v[8:9], v[126:127] neg_lo:[0,1] neg_hi:[0,1]
	v_pk_fma_f32 v[120:121], v[120:121], v[68:69], v[122:123] op_sel_hi:[1,1,0]
	s_delay_alu instid0(VALU_DEP_1) | instskip(SKIP_4) | instid1(VALU_DEP_1)
	v_mov_b32_e32 v125, v121
	ds_load_2addr_b64 v[120:123], v114 offset0:49 offset1:50
	v_pk_add_f32 v[28:29], v[28:29], v[124:125] neg_lo:[0,1] neg_hi:[0,1]
	s_wait_dscnt 0x0
	v_pk_mul_f32 v[124:125], v[120:121], v[112:113] op_sel:[0,1]
	v_pk_fma_f32 v[126:127], v[120:121], v[110:111], v[124:125] op_sel:[0,0,1] op_sel_hi:[1,1,0] neg_lo:[0,0,1] neg_hi:[0,0,1]
	v_pk_fma_f32 v[120:121], v[120:121], v[110:111], v[124:125] op_sel:[0,0,1] op_sel_hi:[1,0,0]
	s_delay_alu instid0(VALU_DEP_1) | instskip(SKIP_1) | instid1(VALU_DEP_1)
	v_mov_b32_e32 v127, v121
	v_pk_mul_f32 v[120:121], v[122:123], v[112:113] op_sel:[0,1]
	v_pk_fma_f32 v[124:125], v[122:123], v[110:111], v[120:121] op_sel:[0,0,1] op_sel_hi:[1,1,0] neg_lo:[0,0,1] neg_hi:[0,0,1]
	v_pk_fma_f32 v[120:121], v[122:123], v[110:111], v[120:121] op_sel:[0,0,1] op_sel_hi:[1,0,0]
	s_delay_alu instid0(VALU_DEP_1)
	v_mov_b32_e32 v125, v121
	ds_load_b64 v[120:121], v114 offset:408
	v_pk_add_f32 v[16:17], v[16:17], v[126:127] neg_lo:[0,1] neg_hi:[0,1]
	v_pk_add_f32 v[14:15], v[14:15], v[124:125] neg_lo:[0,1] neg_hi:[0,1]
	s_wait_dscnt 0x0
	v_pk_mul_f32 v[112:113], v[120:121], v[112:113] op_sel:[0,1]
	s_delay_alu instid0(VALU_DEP_1) | instskip(SKIP_1) | instid1(VALU_DEP_1)
	v_pk_fma_f32 v[122:123], v[120:121], v[110:111], v[112:113] op_sel:[0,0,1] op_sel_hi:[1,1,0] neg_lo:[0,0,1] neg_hi:[0,0,1]
	v_pk_fma_f32 v[110:111], v[120:121], v[110:111], v[112:113] op_sel:[0,0,1] op_sel_hi:[1,0,0]
	v_mov_b32_e32 v123, v111
	s_delay_alu instid0(VALU_DEP_1)
	v_pk_add_f32 v[108:109], v[108:109], v[122:123] neg_lo:[0,1] neg_hi:[0,1]
.LBB102_524:
	s_or_b32 exec_lo, exec_lo, s0
	v_lshl_add_u32 v110, v118, 3, v114
	s_barrier_signal -1
	s_barrier_wait -1
	ds_store_b64 v110, v[64:65]
	s_wait_dscnt 0x0
	s_barrier_signal -1
	s_barrier_wait -1
	ds_load_b64 v[112:113], v114 offset:200
	v_mov_b32_e32 v110, 25
	s_cmp_lt_i32 s18, 27
	s_cbranch_scc1 .LBB102_527
; %bb.525:
	v_add3_u32 v111, v115, 0, 0xd0
	v_mov_b32_e32 v110, 25
	s_mov_b32 s0, 26
.LBB102_526:                            ; =>This Inner Loop Header: Depth=1
	ds_load_b64 v[120:121], v111
	s_wait_dscnt 0x1
	v_cmp_gt_f32_e32 vcc_lo, 0, v112
	v_cndmask_b32_e64 v122, v112, -v112, vcc_lo
	v_cmp_gt_f32_e32 vcc_lo, 0, v113
	v_cndmask_b32_e64 v124, v113, -v113, vcc_lo
	s_wait_dscnt 0x0
	v_cmp_gt_f32_e32 vcc_lo, 0, v120
	v_cndmask_b32_e64 v123, v120, -v120, vcc_lo
	v_cmp_gt_f32_e32 vcc_lo, 0, v121
	v_cndmask_b32_e64 v125, v121, -v121, vcc_lo
	s_delay_alu instid0(VALU_DEP_1) | instskip(NEXT) | instid1(VALU_DEP_1)
	v_pk_add_f32 v[122:123], v[122:123], v[124:125]
	v_cmp_lt_f32_e32 vcc_lo, v122, v123
	v_dual_add_nc_u32 v111, 8, v111 :: v_dual_cndmask_b32 v113, v113, v121, vcc_lo
	v_cndmask_b32_e32 v112, v112, v120, vcc_lo
	v_cndmask_b32_e64 v110, v110, s0, vcc_lo
	s_add_co_i32 s0, s0, 1
	s_delay_alu instid0(SALU_CYCLE_1)
	s_cmp_lg_u32 s18, s0
	s_cbranch_scc1 .LBB102_526
.LBB102_527:
	s_wait_dscnt 0x0
	v_cmp_eq_f32_e32 vcc_lo, 0, v112
	v_cmp_eq_f32_e64 s0, 0, v113
	s_and_b32 s0, vcc_lo, s0
	s_delay_alu instid0(SALU_CYCLE_1) | instskip(NEXT) | instid1(SALU_CYCLE_1)
	s_and_saveexec_b32 s1, s0
	s_xor_b32 s0, exec_lo, s1
; %bb.528:
	v_cmp_ne_u32_e32 vcc_lo, 0, v116
	v_cndmask_b32_e32 v116, 26, v116, vcc_lo
; %bb.529:
	s_and_not1_saveexec_b32 s0, s0
	s_cbranch_execz .LBB102_535
; %bb.530:
	v_cmp_ngt_f32_e64 s1, |v112|, |v113|
	s_and_saveexec_b32 s12, s1
	s_delay_alu instid0(SALU_CYCLE_1)
	s_xor_b32 s1, exec_lo, s12
	s_cbranch_execz .LBB102_532
; %bb.531:
	v_div_scale_f32 v111, null, v113, v113, v112
	v_div_scale_f32 v121, vcc_lo, v112, v113, v112
	s_delay_alu instid0(VALU_DEP_2) | instskip(SKIP_1) | instid1(TRANS32_DEP_1)
	v_rcp_f32_e32 v119, v111
	v_nop
	v_fma_f32 v120, -v111, v119, 1.0
	s_delay_alu instid0(VALU_DEP_1) | instskip(NEXT) | instid1(VALU_DEP_1)
	v_fmac_f32_e32 v119, v120, v119
	v_mul_f32_e32 v120, v121, v119
	s_delay_alu instid0(VALU_DEP_1) | instskip(NEXT) | instid1(VALU_DEP_1)
	v_fma_f32 v122, -v111, v120, v121
	v_fmac_f32_e32 v120, v122, v119
	s_delay_alu instid0(VALU_DEP_1) | instskip(NEXT) | instid1(VALU_DEP_1)
	v_fma_f32 v111, -v111, v120, v121
	v_div_fmas_f32 v111, v111, v119, v120
	s_delay_alu instid0(VALU_DEP_1) | instskip(NEXT) | instid1(VALU_DEP_1)
	v_div_fixup_f32 v111, v111, v113, v112
	v_fmac_f32_e32 v113, v112, v111
	s_delay_alu instid0(VALU_DEP_1) | instskip(SKIP_1) | instid1(VALU_DEP_2)
	v_div_scale_f32 v112, null, v113, v113, 1.0
	v_div_scale_f32 v121, vcc_lo, 1.0, v113, 1.0
	v_rcp_f32_e32 v119, v112
	v_nop
	s_delay_alu instid0(TRANS32_DEP_1) | instskip(NEXT) | instid1(VALU_DEP_1)
	v_fma_f32 v120, -v112, v119, 1.0
	v_fmac_f32_e32 v119, v120, v119
	s_delay_alu instid0(VALU_DEP_1) | instskip(NEXT) | instid1(VALU_DEP_1)
	v_mul_f32_e32 v120, v121, v119
	v_fma_f32 v122, -v112, v120, v121
	s_delay_alu instid0(VALU_DEP_1) | instskip(NEXT) | instid1(VALU_DEP_1)
	v_fmac_f32_e32 v120, v122, v119
	v_fma_f32 v112, -v112, v120, v121
	s_delay_alu instid0(VALU_DEP_1) | instskip(NEXT) | instid1(VALU_DEP_1)
	v_div_fmas_f32 v112, v112, v119, v120
	v_div_fixup_f32 v113, v112, v113, 1.0
	s_delay_alu instid0(VALU_DEP_1)
	v_mul_f32_e32 v112, v111, v113
	v_xor_b32_e32 v113, 0x80000000, v113
.LBB102_532:
	s_and_not1_saveexec_b32 s1, s1
	s_cbranch_execz .LBB102_534
; %bb.533:
	s_delay_alu instid0(VALU_DEP_1) | instskip(SKIP_1) | instid1(VALU_DEP_2)
	v_div_scale_f32 v111, null, v112, v112, v113
	v_div_scale_f32 v121, vcc_lo, v113, v112, v113
	v_rcp_f32_e32 v119, v111
	v_nop
	s_delay_alu instid0(TRANS32_DEP_1) | instskip(NEXT) | instid1(VALU_DEP_1)
	v_fma_f32 v120, -v111, v119, 1.0
	v_fmac_f32_e32 v119, v120, v119
	s_delay_alu instid0(VALU_DEP_1) | instskip(NEXT) | instid1(VALU_DEP_1)
	v_mul_f32_e32 v120, v121, v119
	v_fma_f32 v122, -v111, v120, v121
	s_delay_alu instid0(VALU_DEP_1) | instskip(NEXT) | instid1(VALU_DEP_1)
	v_fmac_f32_e32 v120, v122, v119
	v_fma_f32 v111, -v111, v120, v121
	s_delay_alu instid0(VALU_DEP_1) | instskip(NEXT) | instid1(VALU_DEP_1)
	v_div_fmas_f32 v111, v111, v119, v120
	v_div_fixup_f32 v111, v111, v112, v113
	s_delay_alu instid0(VALU_DEP_1) | instskip(NEXT) | instid1(VALU_DEP_1)
	v_fmac_f32_e32 v112, v113, v111
	v_div_scale_f32 v113, null, v112, v112, 1.0
	s_delay_alu instid0(VALU_DEP_1) | instskip(SKIP_1) | instid1(TRANS32_DEP_1)
	v_rcp_f32_e32 v119, v113
	v_nop
	v_fma_f32 v120, -v113, v119, 1.0
	s_delay_alu instid0(VALU_DEP_1) | instskip(SKIP_1) | instid1(VALU_DEP_1)
	v_fmac_f32_e32 v119, v120, v119
	v_div_scale_f32 v120, vcc_lo, 1.0, v112, 1.0
	v_mul_f32_e32 v121, v120, v119
	s_delay_alu instid0(VALU_DEP_1) | instskip(NEXT) | instid1(VALU_DEP_1)
	v_fma_f32 v122, -v113, v121, v120
	v_fmac_f32_e32 v121, v122, v119
	s_delay_alu instid0(VALU_DEP_1) | instskip(NEXT) | instid1(VALU_DEP_1)
	v_fma_f32 v113, -v113, v121, v120
	v_div_fmas_f32 v113, v113, v119, v121
	s_delay_alu instid0(VALU_DEP_1) | instskip(NEXT) | instid1(VALU_DEP_1)
	v_div_fixup_f32 v112, v113, v112, 1.0
	v_mul_f32_e64 v113, v111, -v112
.LBB102_534:
	s_or_b32 exec_lo, exec_lo, s1
.LBB102_535:
	s_delay_alu instid0(SALU_CYCLE_1) | instskip(NEXT) | instid1(SALU_CYCLE_1)
	s_or_b32 exec_lo, exec_lo, s0
	s_mov_b32 s0, exec_lo
	v_cmpx_ne_u32_e64 v118, v110
	s_xor_b32 s0, exec_lo, s0
	s_cbranch_execz .LBB102_541
; %bb.536:
	s_mov_b32 s1, exec_lo
	v_cmpx_eq_u32_e32 25, v118
	s_cbranch_execz .LBB102_540
; %bb.537:
	v_cmp_ne_u32_e32 vcc_lo, 25, v110
	s_xor_b32 s12, s16, -1
	s_delay_alu instid0(SALU_CYCLE_1) | instskip(NEXT) | instid1(SALU_CYCLE_1)
	s_and_b32 s13, s12, vcc_lo
	s_and_saveexec_b32 s12, s13
	s_cbranch_execz .LBB102_539
; %bb.538:
	v_ashrrev_i32_e32 v111, 31, v110
	s_delay_alu instid0(VALU_DEP_1)
	v_lshl_add_u64 v[118:119], v[110:111], 2, v[4:5]
	s_clause 0x1
	global_load_b32 v111, v[118:119], off
	global_load_b32 v117, v[4:5], off offset:100
	s_wait_loadcnt 0x1
	global_store_b32 v[4:5], v111, off offset:100
	s_wait_loadcnt 0x0
	global_store_b32 v[118:119], v117, off
.LBB102_539:
	s_wait_xcnt 0x0
	s_or_b32 exec_lo, exec_lo, s12
	v_dual_mov_b32 v118, v110 :: v_dual_mov_b32 v117, v110
.LBB102_540:
	s_or_b32 exec_lo, exec_lo, s1
.LBB102_541:
	s_and_not1_saveexec_b32 s0, s0
	s_cbranch_execz .LBB102_543
; %bb.542:
	v_dual_mov_b32 v110, v66 :: v_dual_mov_b32 v111, v67
	v_dual_mov_b32 v118, v20 :: v_dual_mov_b32 v119, v21
	;; [unrolled: 1-line block ×4, first 2 shown]
	ds_store_2addr_b64 v114, v[110:111], v[118:119] offset0:26 offset1:27
	ds_store_2addr_b64 v114, v[120:121], v[122:123] offset0:28 offset1:29
	v_dual_mov_b32 v110, v60 :: v_dual_mov_b32 v111, v61
	v_dual_mov_b32 v118, v18 :: v_dual_mov_b32 v119, v19
	;; [unrolled: 1-line block ×12, first 2 shown]
	ds_store_2addr_b64 v114, v[110:111], v[118:119] offset0:30 offset1:31
	ds_store_2addr_b64 v114, v[120:121], v[122:123] offset0:32 offset1:33
	ds_store_2addr_b64 v114, v[124:125], v[126:127] offset0:34 offset1:35
	ds_store_2addr_b64 v114, v[128:129], v[130:131] offset0:36 offset1:37
	ds_store_2addr_b64 v114, v[132:133], v[134:135] offset0:38 offset1:39
	ds_store_2addr_b64 v114, v[136:137], v[138:139] offset0:40 offset1:41
	v_dual_mov_b32 v110, v42 :: v_dual_mov_b32 v111, v43
	v_dual_mov_b32 v120, v6 :: v_dual_mov_b32 v121, v7
	;; [unrolled: 1-line block ×9, first 2 shown]
	v_mov_b32_e32 v135, v15
	ds_store_2addr_b64 v114, v[110:111], v[120:121] offset0:42 offset1:43
	ds_store_2addr_b64 v114, v[122:123], v[124:125] offset0:44 offset1:45
	;; [unrolled: 1-line block ×5, first 2 shown]
.LBB102_543:
	s_or_b32 exec_lo, exec_lo, s0
	s_delay_alu instid0(SALU_CYCLE_1)
	s_mov_b32 s0, exec_lo
	s_wait_storecnt_dscnt 0x0
	s_barrier_signal -1
	s_barrier_wait -1
	v_cmpx_lt_i32_e32 25, v118
	s_cbranch_execz .LBB102_545
; %bb.544:
	v_pk_mul_f32 v[120:121], v[112:113], v[64:65] op_sel:[1,1] op_sel_hi:[0,1]
	s_delay_alu instid0(VALU_DEP_1)
	v_pk_fma_f32 v[110:111], v[112:113], v[64:65], v[120:121] op_sel_hi:[1,0,1] neg_lo:[0,0,1] neg_hi:[0,0,1]
	v_pk_fma_f32 v[112:113], v[112:113], v[64:65], v[120:121] op_sel_hi:[1,0,1]
	ds_load_2addr_b64 v[120:123], v114 offset0:26 offset1:27
	v_dual_mov_b32 v64, v110 :: v_dual_mov_b32 v65, v113
	s_wait_dscnt 0x0
	v_pk_mul_f32 v[124:125], v[120:121], v[112:113] op_sel:[0,1]
	s_delay_alu instid0(VALU_DEP_1) | instskip(SKIP_1) | instid1(VALU_DEP_1)
	v_pk_fma_f32 v[126:127], v[120:121], v[110:111], v[124:125] op_sel:[0,0,1] op_sel_hi:[1,1,0] neg_lo:[0,0,1] neg_hi:[0,0,1]
	v_pk_fma_f32 v[120:121], v[120:121], v[110:111], v[124:125] op_sel:[0,0,1] op_sel_hi:[1,0,0]
	v_mov_b32_e32 v127, v121
	v_pk_mul_f32 v[120:121], v[122:123], v[112:113] op_sel:[0,1]
	s_delay_alu instid0(VALU_DEP_1) | instskip(SKIP_1) | instid1(VALU_DEP_1)
	v_pk_fma_f32 v[124:125], v[122:123], v[110:111], v[120:121] op_sel:[0,0,1] op_sel_hi:[1,1,0] neg_lo:[0,0,1] neg_hi:[0,0,1]
	v_pk_fma_f32 v[120:121], v[122:123], v[110:111], v[120:121] op_sel:[0,0,1] op_sel_hi:[1,0,0]
	v_mov_b32_e32 v125, v121
	ds_load_2addr_b64 v[120:123], v114 offset0:28 offset1:29
	v_pk_add_f32 v[66:67], v[66:67], v[126:127] neg_lo:[0,1] neg_hi:[0,1]
	v_pk_add_f32 v[20:21], v[20:21], v[124:125] neg_lo:[0,1] neg_hi:[0,1]
	s_wait_dscnt 0x0
	v_pk_mul_f32 v[124:125], v[120:121], v[112:113] op_sel:[0,1]
	s_delay_alu instid0(VALU_DEP_1) | instskip(SKIP_2) | instid1(VALU_DEP_2)
	v_pk_fma_f32 v[126:127], v[120:121], v[110:111], v[124:125] op_sel:[0,0,1] op_sel_hi:[1,1,0] neg_lo:[0,0,1] neg_hi:[0,0,1]
	v_pk_fma_f32 v[120:121], v[120:121], v[110:111], v[124:125] op_sel:[0,0,1] op_sel_hi:[1,0,0]
	v_dual_mul_f32 v124, v123, v113 :: v_dual_mov_b32 v120, v123
	v_dual_mov_b32 v127, v121 :: v_dual_mov_b32 v121, v122
	s_delay_alu instid0(VALU_DEP_2) | instskip(SKIP_1) | instid1(VALU_DEP_3)
	v_pk_fma_f32 v[124:125], v[122:123], v[64:65], v[124:125] op_sel_hi:[1,1,0] neg_lo:[0,0,1] neg_hi:[0,0,1]
	v_mul_f32_e32 v122, v123, v110
	v_pk_add_f32 v[62:63], v[62:63], v[126:127] neg_lo:[0,1] neg_hi:[0,1]
	s_delay_alu instid0(VALU_DEP_2) | instskip(NEXT) | instid1(VALU_DEP_1)
	v_pk_fma_f32 v[120:121], v[120:121], v[64:65], v[122:123] op_sel_hi:[1,1,0]
	v_mov_b32_e32 v125, v121
	ds_load_2addr_b64 v[120:123], v114 offset0:30 offset1:31
	v_pk_add_f32 v[58:59], v[58:59], v[124:125] neg_lo:[0,1] neg_hi:[0,1]
	s_wait_dscnt 0x0
	v_pk_mul_f32 v[124:125], v[120:121], v[112:113] op_sel:[0,1]
	s_delay_alu instid0(VALU_DEP_1) | instskip(SKIP_1) | instid1(VALU_DEP_1)
	v_pk_fma_f32 v[126:127], v[120:121], v[110:111], v[124:125] op_sel:[0,0,1] op_sel_hi:[1,1,0] neg_lo:[0,0,1] neg_hi:[0,0,1]
	v_pk_fma_f32 v[120:121], v[120:121], v[110:111], v[124:125] op_sel:[0,0,1] op_sel_hi:[1,0,0]
	v_mov_b32_e32 v127, v121
	v_pk_mul_f32 v[120:121], v[122:123], v[112:113] op_sel:[0,1]
	s_delay_alu instid0(VALU_DEP_1) | instskip(SKIP_1) | instid1(VALU_DEP_1)
	v_pk_fma_f32 v[124:125], v[122:123], v[110:111], v[120:121] op_sel:[0,0,1] op_sel_hi:[1,1,0] neg_lo:[0,0,1] neg_hi:[0,0,1]
	v_pk_fma_f32 v[120:121], v[122:123], v[110:111], v[120:121] op_sel:[0,0,1] op_sel_hi:[1,0,0]
	v_mov_b32_e32 v125, v121
	ds_load_2addr_b64 v[120:123], v114 offset0:32 offset1:33
	v_pk_add_f32 v[60:61], v[60:61], v[126:127] neg_lo:[0,1] neg_hi:[0,1]
	v_pk_add_f32 v[18:19], v[18:19], v[124:125] neg_lo:[0,1] neg_hi:[0,1]
	s_wait_dscnt 0x0
	v_pk_mul_f32 v[124:125], v[120:121], v[112:113] op_sel:[0,1]
	s_delay_alu instid0(VALU_DEP_1) | instskip(SKIP_1) | instid1(VALU_DEP_1)
	v_pk_fma_f32 v[126:127], v[120:121], v[110:111], v[124:125] op_sel:[0,0,1] op_sel_hi:[1,1,0] neg_lo:[0,0,1] neg_hi:[0,0,1]
	v_pk_fma_f32 v[120:121], v[120:121], v[110:111], v[124:125] op_sel:[0,0,1] op_sel_hi:[1,0,0]
	v_mov_b32_e32 v127, v121
	v_pk_mul_f32 v[120:121], v[122:123], v[112:113] op_sel:[0,1]
	s_delay_alu instid0(VALU_DEP_1) | instskip(SKIP_1) | instid1(VALU_DEP_1)
	v_pk_fma_f32 v[124:125], v[122:123], v[110:111], v[120:121] op_sel:[0,0,1] op_sel_hi:[1,1,0] neg_lo:[0,0,1] neg_hi:[0,0,1]
	v_pk_fma_f32 v[120:121], v[122:123], v[110:111], v[120:121] op_sel:[0,0,1] op_sel_hi:[1,0,0]
	v_mov_b32_e32 v125, v121
	ds_load_2addr_b64 v[120:123], v114 offset0:34 offset1:35
	v_pk_add_f32 v[56:57], v[56:57], v[126:127] neg_lo:[0,1] neg_hi:[0,1]
	v_pk_add_f32 v[52:53], v[52:53], v[124:125] neg_lo:[0,1] neg_hi:[0,1]
	s_wait_dscnt 0x0
	v_dual_mul_f32 v124, v121, v113 :: v_dual_mul_f32 v126, v121, v110
	s_delay_alu instid0(VALU_DEP_1) | instskip(NEXT) | instid1(VALU_DEP_2)
	v_pk_fma_f32 v[124:125], v[120:121], v[64:65], v[124:125] op_sel_hi:[1,1,0] neg_lo:[0,0,1] neg_hi:[0,0,1]
	v_pk_fma_f32 v[120:121], v[120:121], v[64:65], v[126:127] op_sel:[1,0,0] op_sel_hi:[0,1,0]
	s_delay_alu instid0(VALU_DEP_1) | instskip(SKIP_1) | instid1(VALU_DEP_2)
	v_mov_b32_e32 v125, v121
	v_pk_mul_f32 v[120:121], v[122:123], v[112:113] op_sel:[0,1]
	v_pk_add_f32 v[54:55], v[54:55], v[124:125] neg_lo:[0,1] neg_hi:[0,1]
	s_delay_alu instid0(VALU_DEP_2) | instskip(SKIP_1) | instid1(VALU_DEP_1)
	v_pk_fma_f32 v[124:125], v[122:123], v[110:111], v[120:121] op_sel:[0,0,1] op_sel_hi:[1,1,0] neg_lo:[0,0,1] neg_hi:[0,0,1]
	v_pk_fma_f32 v[120:121], v[122:123], v[110:111], v[120:121] op_sel:[0,0,1] op_sel_hi:[1,0,0]
	v_mov_b32_e32 v125, v121
	ds_load_2addr_b64 v[120:123], v114 offset0:36 offset1:37
	v_pk_add_f32 v[12:13], v[12:13], v[124:125] neg_lo:[0,1] neg_hi:[0,1]
	s_wait_dscnt 0x0
	v_pk_mul_f32 v[124:125], v[120:121], v[112:113] op_sel:[0,1]
	s_delay_alu instid0(VALU_DEP_1) | instskip(SKIP_1) | instid1(VALU_DEP_1)
	v_pk_fma_f32 v[126:127], v[120:121], v[110:111], v[124:125] op_sel:[0,0,1] op_sel_hi:[1,1,0] neg_lo:[0,0,1] neg_hi:[0,0,1]
	v_pk_fma_f32 v[120:121], v[120:121], v[110:111], v[124:125] op_sel:[0,0,1] op_sel_hi:[1,0,0]
	v_mov_b32_e32 v127, v121
	v_pk_mul_f32 v[120:121], v[122:123], v[112:113] op_sel:[0,1]
	s_delay_alu instid0(VALU_DEP_2) | instskip(NEXT) | instid1(VALU_DEP_2)
	v_pk_add_f32 v[50:51], v[50:51], v[126:127] neg_lo:[0,1] neg_hi:[0,1]
	v_pk_fma_f32 v[124:125], v[122:123], v[110:111], v[120:121] op_sel:[0,0,1] op_sel_hi:[1,1,0] neg_lo:[0,0,1] neg_hi:[0,0,1]
	v_pk_fma_f32 v[120:121], v[122:123], v[110:111], v[120:121] op_sel:[0,0,1] op_sel_hi:[1,0,0]
	s_delay_alu instid0(VALU_DEP_1) | instskip(SKIP_4) | instid1(VALU_DEP_1)
	v_mov_b32_e32 v125, v121
	ds_load_2addr_b64 v[120:123], v114 offset0:38 offset1:39
	v_pk_add_f32 v[46:47], v[46:47], v[124:125] neg_lo:[0,1] neg_hi:[0,1]
	s_wait_dscnt 0x0
	v_pk_mul_f32 v[124:125], v[120:121], v[112:113] op_sel:[0,1]
	v_pk_fma_f32 v[126:127], v[120:121], v[110:111], v[124:125] op_sel:[0,0,1] op_sel_hi:[1,1,0] neg_lo:[0,0,1] neg_hi:[0,0,1]
	v_pk_fma_f32 v[120:121], v[120:121], v[110:111], v[124:125] op_sel:[0,0,1] op_sel_hi:[1,0,0]
	v_dual_mul_f32 v124, v123, v113 :: v_dual_mov_b32 v120, v123
	s_delay_alu instid0(VALU_DEP_2) | instskip(NEXT) | instid1(VALU_DEP_2)
	v_dual_mov_b32 v127, v121 :: v_dual_mov_b32 v121, v122
	v_pk_fma_f32 v[124:125], v[122:123], v[64:65], v[124:125] op_sel_hi:[1,1,0] neg_lo:[0,0,1] neg_hi:[0,0,1]
	v_mul_f32_e32 v122, v123, v110
	s_delay_alu instid0(VALU_DEP_3) | instskip(NEXT) | instid1(VALU_DEP_2)
	v_pk_add_f32 v[48:49], v[48:49], v[126:127] neg_lo:[0,1] neg_hi:[0,1]
	v_pk_fma_f32 v[120:121], v[120:121], v[64:65], v[122:123] op_sel_hi:[1,1,0]
	s_delay_alu instid0(VALU_DEP_1) | instskip(SKIP_4) | instid1(VALU_DEP_1)
	v_mov_b32_e32 v125, v121
	ds_load_2addr_b64 v[120:123], v114 offset0:40 offset1:41
	v_pk_add_f32 v[10:11], v[10:11], v[124:125] neg_lo:[0,1] neg_hi:[0,1]
	s_wait_dscnt 0x0
	v_pk_mul_f32 v[124:125], v[120:121], v[112:113] op_sel:[0,1]
	v_pk_fma_f32 v[126:127], v[120:121], v[110:111], v[124:125] op_sel:[0,0,1] op_sel_hi:[1,1,0] neg_lo:[0,0,1] neg_hi:[0,0,1]
	v_pk_fma_f32 v[120:121], v[120:121], v[110:111], v[124:125] op_sel:[0,0,1] op_sel_hi:[1,0,0]
	s_delay_alu instid0(VALU_DEP_1) | instskip(SKIP_1) | instid1(VALU_DEP_1)
	v_mov_b32_e32 v127, v121
	v_pk_mul_f32 v[120:121], v[122:123], v[112:113] op_sel:[0,1]
	v_pk_fma_f32 v[124:125], v[122:123], v[110:111], v[120:121] op_sel:[0,0,1] op_sel_hi:[1,1,0] neg_lo:[0,0,1] neg_hi:[0,0,1]
	v_pk_fma_f32 v[120:121], v[122:123], v[110:111], v[120:121] op_sel:[0,0,1] op_sel_hi:[1,0,0]
	s_delay_alu instid0(VALU_DEP_1)
	v_mov_b32_e32 v125, v121
	ds_load_2addr_b64 v[120:123], v114 offset0:42 offset1:43
	v_pk_add_f32 v[44:45], v[44:45], v[126:127] neg_lo:[0,1] neg_hi:[0,1]
	v_pk_add_f32 v[40:41], v[40:41], v[124:125] neg_lo:[0,1] neg_hi:[0,1]
	s_wait_dscnt 0x0
	v_pk_mul_f32 v[124:125], v[120:121], v[112:113] op_sel:[0,1]
	s_delay_alu instid0(VALU_DEP_1) | instskip(SKIP_1) | instid1(VALU_DEP_1)
	v_pk_fma_f32 v[126:127], v[120:121], v[110:111], v[124:125] op_sel:[0,0,1] op_sel_hi:[1,1,0] neg_lo:[0,0,1] neg_hi:[0,0,1]
	v_pk_fma_f32 v[120:121], v[120:121], v[110:111], v[124:125] op_sel:[0,0,1] op_sel_hi:[1,0,0]
	v_mov_b32_e32 v127, v121
	v_pk_mul_f32 v[120:121], v[122:123], v[112:113] op_sel:[0,1]
	s_delay_alu instid0(VALU_DEP_1) | instskip(SKIP_1) | instid1(VALU_DEP_1)
	v_pk_fma_f32 v[124:125], v[122:123], v[110:111], v[120:121] op_sel:[0,0,1] op_sel_hi:[1,1,0] neg_lo:[0,0,1] neg_hi:[0,0,1]
	v_pk_fma_f32 v[120:121], v[122:123], v[110:111], v[120:121] op_sel:[0,0,1] op_sel_hi:[1,0,0]
	v_mov_b32_e32 v125, v121
	ds_load_2addr_b64 v[120:123], v114 offset0:44 offset1:45
	v_pk_add_f32 v[42:43], v[42:43], v[126:127] neg_lo:[0,1] neg_hi:[0,1]
	v_pk_add_f32 v[6:7], v[6:7], v[124:125] neg_lo:[0,1] neg_hi:[0,1]
	s_wait_dscnt 0x0
	v_dual_mul_f32 v124, v121, v113 :: v_dual_mul_f32 v126, v121, v110
	s_delay_alu instid0(VALU_DEP_1) | instskip(NEXT) | instid1(VALU_DEP_2)
	v_pk_fma_f32 v[124:125], v[120:121], v[64:65], v[124:125] op_sel_hi:[1,1,0] neg_lo:[0,0,1] neg_hi:[0,0,1]
	v_pk_fma_f32 v[120:121], v[120:121], v[64:65], v[126:127] op_sel:[1,0,0] op_sel_hi:[0,1,0]
	s_delay_alu instid0(VALU_DEP_1) | instskip(SKIP_1) | instid1(VALU_DEP_2)
	v_mov_b32_e32 v125, v121
	v_pk_mul_f32 v[120:121], v[122:123], v[112:113] op_sel:[0,1]
	v_pk_add_f32 v[36:37], v[36:37], v[124:125] neg_lo:[0,1] neg_hi:[0,1]
	s_delay_alu instid0(VALU_DEP_2) | instskip(SKIP_1) | instid1(VALU_DEP_1)
	v_pk_fma_f32 v[124:125], v[122:123], v[110:111], v[120:121] op_sel:[0,0,1] op_sel_hi:[1,1,0] neg_lo:[0,0,1] neg_hi:[0,0,1]
	v_pk_fma_f32 v[120:121], v[122:123], v[110:111], v[120:121] op_sel:[0,0,1] op_sel_hi:[1,0,0]
	v_mov_b32_e32 v125, v121
	ds_load_2addr_b64 v[120:123], v114 offset0:46 offset1:47
	v_pk_add_f32 v[30:31], v[30:31], v[124:125] neg_lo:[0,1] neg_hi:[0,1]
	s_wait_dscnt 0x0
	v_pk_mul_f32 v[124:125], v[120:121], v[112:113] op_sel:[0,1]
	s_delay_alu instid0(VALU_DEP_1) | instskip(SKIP_1) | instid1(VALU_DEP_1)
	v_pk_fma_f32 v[126:127], v[120:121], v[110:111], v[124:125] op_sel:[0,0,1] op_sel_hi:[1,1,0] neg_lo:[0,0,1] neg_hi:[0,0,1]
	v_pk_fma_f32 v[120:121], v[120:121], v[110:111], v[124:125] op_sel:[0,0,1] op_sel_hi:[1,0,0]
	v_mov_b32_e32 v127, v121
	v_pk_mul_f32 v[120:121], v[122:123], v[112:113] op_sel:[0,1]
	s_delay_alu instid0(VALU_DEP_2) | instskip(NEXT) | instid1(VALU_DEP_2)
	v_pk_add_f32 v[34:35], v[34:35], v[126:127] neg_lo:[0,1] neg_hi:[0,1]
	v_pk_fma_f32 v[124:125], v[122:123], v[110:111], v[120:121] op_sel:[0,0,1] op_sel_hi:[1,1,0] neg_lo:[0,0,1] neg_hi:[0,0,1]
	v_pk_fma_f32 v[120:121], v[122:123], v[110:111], v[120:121] op_sel:[0,0,1] op_sel_hi:[1,0,0]
	s_delay_alu instid0(VALU_DEP_1) | instskip(SKIP_4) | instid1(VALU_DEP_1)
	v_mov_b32_e32 v125, v121
	ds_load_2addr_b64 v[120:123], v114 offset0:48 offset1:49
	v_pk_add_f32 v[8:9], v[8:9], v[124:125] neg_lo:[0,1] neg_hi:[0,1]
	s_wait_dscnt 0x0
	v_pk_mul_f32 v[124:125], v[120:121], v[112:113] op_sel:[0,1]
	v_pk_fma_f32 v[126:127], v[120:121], v[110:111], v[124:125] op_sel:[0,0,1] op_sel_hi:[1,1,0] neg_lo:[0,0,1] neg_hi:[0,0,1]
	v_pk_fma_f32 v[120:121], v[120:121], v[110:111], v[124:125] op_sel:[0,0,1] op_sel_hi:[1,0,0]
	v_dual_mul_f32 v124, v123, v113 :: v_dual_mov_b32 v120, v123
	s_delay_alu instid0(VALU_DEP_2) | instskip(NEXT) | instid1(VALU_DEP_2)
	v_dual_mov_b32 v127, v121 :: v_dual_mov_b32 v121, v122
	v_pk_fma_f32 v[124:125], v[122:123], v[64:65], v[124:125] op_sel_hi:[1,1,0] neg_lo:[0,0,1] neg_hi:[0,0,1]
	v_mul_f32_e32 v122, v123, v110
	s_delay_alu instid0(VALU_DEP_3) | instskip(NEXT) | instid1(VALU_DEP_2)
	v_pk_add_f32 v[28:29], v[28:29], v[126:127] neg_lo:[0,1] neg_hi:[0,1]
	v_pk_fma_f32 v[120:121], v[120:121], v[64:65], v[122:123] op_sel_hi:[1,1,0]
	s_delay_alu instid0(VALU_DEP_1)
	v_mov_b32_e32 v125, v121
	ds_load_2addr_b64 v[120:123], v114 offset0:50 offset1:51
	v_pk_add_f32 v[16:17], v[16:17], v[124:125] neg_lo:[0,1] neg_hi:[0,1]
	s_wait_dscnt 0x0
	v_pk_mul_f32 v[124:125], v[120:121], v[112:113] op_sel:[0,1]
	v_pk_mul_f32 v[112:113], v[122:123], v[112:113] op_sel:[0,1]
	s_delay_alu instid0(VALU_DEP_2) | instskip(SKIP_1) | instid1(VALU_DEP_1)
	v_pk_fma_f32 v[126:127], v[120:121], v[110:111], v[124:125] op_sel:[0,0,1] op_sel_hi:[1,1,0] neg_lo:[0,0,1] neg_hi:[0,0,1]
	v_pk_fma_f32 v[120:121], v[120:121], v[110:111], v[124:125] op_sel:[0,0,1] op_sel_hi:[1,0,0]
	v_mov_b32_e32 v127, v121
	s_delay_alu instid0(VALU_DEP_4) | instskip(SKIP_1) | instid1(VALU_DEP_1)
	v_pk_fma_f32 v[120:121], v[122:123], v[110:111], v[112:113] op_sel:[0,0,1] op_sel_hi:[1,1,0] neg_lo:[0,0,1] neg_hi:[0,0,1]
	v_pk_fma_f32 v[110:111], v[122:123], v[110:111], v[112:113] op_sel:[0,0,1] op_sel_hi:[1,0,0]
	v_mov_b32_e32 v121, v111
	s_delay_alu instid0(VALU_DEP_4) | instskip(NEXT) | instid1(VALU_DEP_2)
	v_pk_add_f32 v[14:15], v[14:15], v[126:127] neg_lo:[0,1] neg_hi:[0,1]
	v_pk_add_f32 v[108:109], v[108:109], v[120:121] neg_lo:[0,1] neg_hi:[0,1]
.LBB102_545:
	s_or_b32 exec_lo, exec_lo, s0
	v_lshl_add_u32 v110, v118, 3, v114
	s_barrier_signal -1
	s_barrier_wait -1
	ds_store_b64 v110, v[66:67]
	s_wait_dscnt 0x0
	s_barrier_signal -1
	s_barrier_wait -1
	ds_load_b64 v[112:113], v114 offset:208
	v_mov_b32_e32 v110, 26
	s_cmp_lt_i32 s18, 28
	s_cbranch_scc1 .LBB102_548
; %bb.546:
	v_add3_u32 v111, v115, 0, 0xd8
	v_mov_b32_e32 v110, 26
	s_mov_b32 s0, 27
.LBB102_547:                            ; =>This Inner Loop Header: Depth=1
	ds_load_b64 v[120:121], v111
	s_wait_dscnt 0x1
	v_cmp_gt_f32_e32 vcc_lo, 0, v112
	v_cndmask_b32_e64 v122, v112, -v112, vcc_lo
	v_cmp_gt_f32_e32 vcc_lo, 0, v113
	v_cndmask_b32_e64 v124, v113, -v113, vcc_lo
	s_wait_dscnt 0x0
	v_cmp_gt_f32_e32 vcc_lo, 0, v120
	v_cndmask_b32_e64 v123, v120, -v120, vcc_lo
	v_cmp_gt_f32_e32 vcc_lo, 0, v121
	v_cndmask_b32_e64 v125, v121, -v121, vcc_lo
	s_delay_alu instid0(VALU_DEP_1) | instskip(NEXT) | instid1(VALU_DEP_1)
	v_pk_add_f32 v[122:123], v[122:123], v[124:125]
	v_cmp_lt_f32_e32 vcc_lo, v122, v123
	v_dual_add_nc_u32 v111, 8, v111 :: v_dual_cndmask_b32 v113, v113, v121, vcc_lo
	v_cndmask_b32_e32 v112, v112, v120, vcc_lo
	v_cndmask_b32_e64 v110, v110, s0, vcc_lo
	s_add_co_i32 s0, s0, 1
	s_delay_alu instid0(SALU_CYCLE_1)
	s_cmp_lg_u32 s18, s0
	s_cbranch_scc1 .LBB102_547
.LBB102_548:
	s_wait_dscnt 0x0
	v_cmp_eq_f32_e32 vcc_lo, 0, v112
	v_cmp_eq_f32_e64 s0, 0, v113
	s_and_b32 s0, vcc_lo, s0
	s_delay_alu instid0(SALU_CYCLE_1) | instskip(NEXT) | instid1(SALU_CYCLE_1)
	s_and_saveexec_b32 s1, s0
	s_xor_b32 s0, exec_lo, s1
; %bb.549:
	v_cmp_ne_u32_e32 vcc_lo, 0, v116
	v_cndmask_b32_e32 v116, 27, v116, vcc_lo
; %bb.550:
	s_and_not1_saveexec_b32 s0, s0
	s_cbranch_execz .LBB102_556
; %bb.551:
	v_cmp_ngt_f32_e64 s1, |v112|, |v113|
	s_and_saveexec_b32 s12, s1
	s_delay_alu instid0(SALU_CYCLE_1)
	s_xor_b32 s1, exec_lo, s12
	s_cbranch_execz .LBB102_553
; %bb.552:
	v_div_scale_f32 v111, null, v113, v113, v112
	v_div_scale_f32 v121, vcc_lo, v112, v113, v112
	s_delay_alu instid0(VALU_DEP_2) | instskip(SKIP_1) | instid1(TRANS32_DEP_1)
	v_rcp_f32_e32 v119, v111
	v_nop
	v_fma_f32 v120, -v111, v119, 1.0
	s_delay_alu instid0(VALU_DEP_1) | instskip(NEXT) | instid1(VALU_DEP_1)
	v_fmac_f32_e32 v119, v120, v119
	v_mul_f32_e32 v120, v121, v119
	s_delay_alu instid0(VALU_DEP_1) | instskip(NEXT) | instid1(VALU_DEP_1)
	v_fma_f32 v122, -v111, v120, v121
	v_fmac_f32_e32 v120, v122, v119
	s_delay_alu instid0(VALU_DEP_1) | instskip(NEXT) | instid1(VALU_DEP_1)
	v_fma_f32 v111, -v111, v120, v121
	v_div_fmas_f32 v111, v111, v119, v120
	s_delay_alu instid0(VALU_DEP_1) | instskip(NEXT) | instid1(VALU_DEP_1)
	v_div_fixup_f32 v111, v111, v113, v112
	v_fmac_f32_e32 v113, v112, v111
	s_delay_alu instid0(VALU_DEP_1) | instskip(SKIP_1) | instid1(VALU_DEP_2)
	v_div_scale_f32 v112, null, v113, v113, 1.0
	v_div_scale_f32 v121, vcc_lo, 1.0, v113, 1.0
	v_rcp_f32_e32 v119, v112
	v_nop
	s_delay_alu instid0(TRANS32_DEP_1) | instskip(NEXT) | instid1(VALU_DEP_1)
	v_fma_f32 v120, -v112, v119, 1.0
	v_fmac_f32_e32 v119, v120, v119
	s_delay_alu instid0(VALU_DEP_1) | instskip(NEXT) | instid1(VALU_DEP_1)
	v_mul_f32_e32 v120, v121, v119
	v_fma_f32 v122, -v112, v120, v121
	s_delay_alu instid0(VALU_DEP_1) | instskip(NEXT) | instid1(VALU_DEP_1)
	v_fmac_f32_e32 v120, v122, v119
	v_fma_f32 v112, -v112, v120, v121
	s_delay_alu instid0(VALU_DEP_1) | instskip(NEXT) | instid1(VALU_DEP_1)
	v_div_fmas_f32 v112, v112, v119, v120
	v_div_fixup_f32 v113, v112, v113, 1.0
	s_delay_alu instid0(VALU_DEP_1)
	v_mul_f32_e32 v112, v111, v113
	v_xor_b32_e32 v113, 0x80000000, v113
.LBB102_553:
	s_and_not1_saveexec_b32 s1, s1
	s_cbranch_execz .LBB102_555
; %bb.554:
	s_delay_alu instid0(VALU_DEP_1) | instskip(SKIP_1) | instid1(VALU_DEP_2)
	v_div_scale_f32 v111, null, v112, v112, v113
	v_div_scale_f32 v121, vcc_lo, v113, v112, v113
	v_rcp_f32_e32 v119, v111
	v_nop
	s_delay_alu instid0(TRANS32_DEP_1) | instskip(NEXT) | instid1(VALU_DEP_1)
	v_fma_f32 v120, -v111, v119, 1.0
	v_fmac_f32_e32 v119, v120, v119
	s_delay_alu instid0(VALU_DEP_1) | instskip(NEXT) | instid1(VALU_DEP_1)
	v_mul_f32_e32 v120, v121, v119
	v_fma_f32 v122, -v111, v120, v121
	s_delay_alu instid0(VALU_DEP_1) | instskip(NEXT) | instid1(VALU_DEP_1)
	v_fmac_f32_e32 v120, v122, v119
	v_fma_f32 v111, -v111, v120, v121
	s_delay_alu instid0(VALU_DEP_1) | instskip(NEXT) | instid1(VALU_DEP_1)
	v_div_fmas_f32 v111, v111, v119, v120
	v_div_fixup_f32 v111, v111, v112, v113
	s_delay_alu instid0(VALU_DEP_1) | instskip(NEXT) | instid1(VALU_DEP_1)
	v_fmac_f32_e32 v112, v113, v111
	v_div_scale_f32 v113, null, v112, v112, 1.0
	s_delay_alu instid0(VALU_DEP_1) | instskip(SKIP_1) | instid1(TRANS32_DEP_1)
	v_rcp_f32_e32 v119, v113
	v_nop
	v_fma_f32 v120, -v113, v119, 1.0
	s_delay_alu instid0(VALU_DEP_1) | instskip(SKIP_1) | instid1(VALU_DEP_1)
	v_fmac_f32_e32 v119, v120, v119
	v_div_scale_f32 v120, vcc_lo, 1.0, v112, 1.0
	v_mul_f32_e32 v121, v120, v119
	s_delay_alu instid0(VALU_DEP_1) | instskip(NEXT) | instid1(VALU_DEP_1)
	v_fma_f32 v122, -v113, v121, v120
	v_fmac_f32_e32 v121, v122, v119
	s_delay_alu instid0(VALU_DEP_1) | instskip(NEXT) | instid1(VALU_DEP_1)
	v_fma_f32 v113, -v113, v121, v120
	v_div_fmas_f32 v113, v113, v119, v121
	s_delay_alu instid0(VALU_DEP_1) | instskip(NEXT) | instid1(VALU_DEP_1)
	v_div_fixup_f32 v112, v113, v112, 1.0
	v_mul_f32_e64 v113, v111, -v112
.LBB102_555:
	s_or_b32 exec_lo, exec_lo, s1
.LBB102_556:
	s_delay_alu instid0(SALU_CYCLE_1) | instskip(NEXT) | instid1(SALU_CYCLE_1)
	s_or_b32 exec_lo, exec_lo, s0
	s_mov_b32 s0, exec_lo
	v_cmpx_ne_u32_e64 v118, v110
	s_xor_b32 s0, exec_lo, s0
	s_cbranch_execz .LBB102_562
; %bb.557:
	s_mov_b32 s1, exec_lo
	v_cmpx_eq_u32_e32 26, v118
	s_cbranch_execz .LBB102_561
; %bb.558:
	v_cmp_ne_u32_e32 vcc_lo, 26, v110
	s_xor_b32 s12, s16, -1
	s_delay_alu instid0(SALU_CYCLE_1) | instskip(NEXT) | instid1(SALU_CYCLE_1)
	s_and_b32 s13, s12, vcc_lo
	s_and_saveexec_b32 s12, s13
	s_cbranch_execz .LBB102_560
; %bb.559:
	v_ashrrev_i32_e32 v111, 31, v110
	s_delay_alu instid0(VALU_DEP_1)
	v_lshl_add_u64 v[118:119], v[110:111], 2, v[4:5]
	s_clause 0x1
	global_load_b32 v111, v[118:119], off
	global_load_b32 v117, v[4:5], off offset:104
	s_wait_loadcnt 0x1
	global_store_b32 v[4:5], v111, off offset:104
	s_wait_loadcnt 0x0
	global_store_b32 v[118:119], v117, off
.LBB102_560:
	s_wait_xcnt 0x0
	s_or_b32 exec_lo, exec_lo, s12
	v_dual_mov_b32 v118, v110 :: v_dual_mov_b32 v117, v110
.LBB102_561:
	s_or_b32 exec_lo, exec_lo, s1
.LBB102_562:
	s_and_not1_saveexec_b32 s0, s0
	s_cbranch_execz .LBB102_564
; %bb.563:
	v_mov_b32_e32 v118, 26
	ds_store_2addr_b64 v114, v[20:21], v[62:63] offset0:27 offset1:28
	ds_store_2addr_b64 v114, v[58:59], v[60:61] offset0:29 offset1:30
	;; [unrolled: 1-line block ×12, first 2 shown]
	ds_store_b64 v114, v[108:109] offset:408
.LBB102_564:
	s_or_b32 exec_lo, exec_lo, s0
	s_delay_alu instid0(SALU_CYCLE_1)
	s_mov_b32 s0, exec_lo
	s_wait_storecnt_dscnt 0x0
	s_barrier_signal -1
	s_barrier_wait -1
	v_cmpx_lt_i32_e32 26, v118
	s_cbranch_execz .LBB102_566
; %bb.565:
	v_pk_mul_f32 v[120:121], v[112:113], v[66:67] op_sel:[1,1] op_sel_hi:[0,1]
	s_delay_alu instid0(VALU_DEP_1)
	v_pk_fma_f32 v[110:111], v[112:113], v[66:67], v[120:121] op_sel_hi:[1,0,1] neg_lo:[0,0,1] neg_hi:[0,0,1]
	v_pk_fma_f32 v[112:113], v[112:113], v[66:67], v[120:121] op_sel_hi:[1,0,1]
	ds_load_2addr_b64 v[120:123], v114 offset0:27 offset1:28
	v_dual_mov_b32 v66, v110 :: v_dual_mov_b32 v67, v113
	s_wait_dscnt 0x0
	v_pk_mul_f32 v[124:125], v[120:121], v[112:113] op_sel:[0,1]
	s_delay_alu instid0(VALU_DEP_1) | instskip(SKIP_1) | instid1(VALU_DEP_1)
	v_pk_fma_f32 v[126:127], v[120:121], v[110:111], v[124:125] op_sel:[0,0,1] op_sel_hi:[1,1,0] neg_lo:[0,0,1] neg_hi:[0,0,1]
	v_pk_fma_f32 v[120:121], v[120:121], v[110:111], v[124:125] op_sel:[0,0,1] op_sel_hi:[1,0,0]
	v_mov_b32_e32 v127, v121
	v_pk_mul_f32 v[120:121], v[122:123], v[112:113] op_sel:[0,1]
	s_delay_alu instid0(VALU_DEP_1) | instskip(SKIP_1) | instid1(VALU_DEP_1)
	v_pk_fma_f32 v[124:125], v[122:123], v[110:111], v[120:121] op_sel:[0,0,1] op_sel_hi:[1,1,0] neg_lo:[0,0,1] neg_hi:[0,0,1]
	v_pk_fma_f32 v[120:121], v[122:123], v[110:111], v[120:121] op_sel:[0,0,1] op_sel_hi:[1,0,0]
	v_mov_b32_e32 v125, v121
	ds_load_2addr_b64 v[120:123], v114 offset0:29 offset1:30
	v_pk_add_f32 v[20:21], v[20:21], v[126:127] neg_lo:[0,1] neg_hi:[0,1]
	v_pk_add_f32 v[62:63], v[62:63], v[124:125] neg_lo:[0,1] neg_hi:[0,1]
	s_wait_dscnt 0x0
	v_pk_mul_f32 v[124:125], v[120:121], v[112:113] op_sel:[0,1]
	s_delay_alu instid0(VALU_DEP_1) | instskip(SKIP_2) | instid1(VALU_DEP_2)
	v_pk_fma_f32 v[126:127], v[120:121], v[110:111], v[124:125] op_sel:[0,0,1] op_sel_hi:[1,1,0] neg_lo:[0,0,1] neg_hi:[0,0,1]
	v_pk_fma_f32 v[120:121], v[120:121], v[110:111], v[124:125] op_sel:[0,0,1] op_sel_hi:[1,0,0]
	v_dual_mul_f32 v124, v123, v113 :: v_dual_mov_b32 v120, v123
	v_dual_mov_b32 v127, v121 :: v_dual_mov_b32 v121, v122
	s_delay_alu instid0(VALU_DEP_2) | instskip(SKIP_1) | instid1(VALU_DEP_3)
	v_pk_fma_f32 v[124:125], v[122:123], v[66:67], v[124:125] op_sel_hi:[1,1,0] neg_lo:[0,0,1] neg_hi:[0,0,1]
	v_mul_f32_e32 v122, v123, v110
	v_pk_add_f32 v[58:59], v[58:59], v[126:127] neg_lo:[0,1] neg_hi:[0,1]
	s_delay_alu instid0(VALU_DEP_2) | instskip(NEXT) | instid1(VALU_DEP_1)
	v_pk_fma_f32 v[120:121], v[120:121], v[66:67], v[122:123] op_sel_hi:[1,1,0]
	v_mov_b32_e32 v125, v121
	ds_load_2addr_b64 v[120:123], v114 offset0:31 offset1:32
	v_pk_add_f32 v[60:61], v[60:61], v[124:125] neg_lo:[0,1] neg_hi:[0,1]
	s_wait_dscnt 0x0
	v_pk_mul_f32 v[124:125], v[120:121], v[112:113] op_sel:[0,1]
	s_delay_alu instid0(VALU_DEP_1) | instskip(SKIP_1) | instid1(VALU_DEP_1)
	v_pk_fma_f32 v[126:127], v[120:121], v[110:111], v[124:125] op_sel:[0,0,1] op_sel_hi:[1,1,0] neg_lo:[0,0,1] neg_hi:[0,0,1]
	v_pk_fma_f32 v[120:121], v[120:121], v[110:111], v[124:125] op_sel:[0,0,1] op_sel_hi:[1,0,0]
	v_mov_b32_e32 v127, v121
	v_pk_mul_f32 v[120:121], v[122:123], v[112:113] op_sel:[0,1]
	s_delay_alu instid0(VALU_DEP_1) | instskip(SKIP_1) | instid1(VALU_DEP_1)
	v_pk_fma_f32 v[124:125], v[122:123], v[110:111], v[120:121] op_sel:[0,0,1] op_sel_hi:[1,1,0] neg_lo:[0,0,1] neg_hi:[0,0,1]
	v_pk_fma_f32 v[120:121], v[122:123], v[110:111], v[120:121] op_sel:[0,0,1] op_sel_hi:[1,0,0]
	v_mov_b32_e32 v125, v121
	ds_load_2addr_b64 v[120:123], v114 offset0:33 offset1:34
	v_pk_add_f32 v[18:19], v[18:19], v[126:127] neg_lo:[0,1] neg_hi:[0,1]
	v_pk_add_f32 v[56:57], v[56:57], v[124:125] neg_lo:[0,1] neg_hi:[0,1]
	s_wait_dscnt 0x0
	v_pk_mul_f32 v[124:125], v[120:121], v[112:113] op_sel:[0,1]
	s_delay_alu instid0(VALU_DEP_1) | instskip(SKIP_1) | instid1(VALU_DEP_1)
	v_pk_fma_f32 v[126:127], v[120:121], v[110:111], v[124:125] op_sel:[0,0,1] op_sel_hi:[1,1,0] neg_lo:[0,0,1] neg_hi:[0,0,1]
	v_pk_fma_f32 v[120:121], v[120:121], v[110:111], v[124:125] op_sel:[0,0,1] op_sel_hi:[1,0,0]
	v_mov_b32_e32 v127, v121
	v_pk_mul_f32 v[120:121], v[122:123], v[112:113] op_sel:[0,1]
	s_delay_alu instid0(VALU_DEP_1) | instskip(SKIP_1) | instid1(VALU_DEP_1)
	v_pk_fma_f32 v[124:125], v[122:123], v[110:111], v[120:121] op_sel:[0,0,1] op_sel_hi:[1,1,0] neg_lo:[0,0,1] neg_hi:[0,0,1]
	v_pk_fma_f32 v[120:121], v[122:123], v[110:111], v[120:121] op_sel:[0,0,1] op_sel_hi:[1,0,0]
	v_mov_b32_e32 v125, v121
	ds_load_2addr_b64 v[120:123], v114 offset0:35 offset1:36
	v_pk_add_f32 v[52:53], v[52:53], v[126:127] neg_lo:[0,1] neg_hi:[0,1]
	v_pk_add_f32 v[54:55], v[54:55], v[124:125] neg_lo:[0,1] neg_hi:[0,1]
	s_wait_dscnt 0x0
	v_dual_mul_f32 v124, v121, v113 :: v_dual_mul_f32 v126, v121, v110
	s_delay_alu instid0(VALU_DEP_1) | instskip(NEXT) | instid1(VALU_DEP_2)
	v_pk_fma_f32 v[124:125], v[120:121], v[66:67], v[124:125] op_sel_hi:[1,1,0] neg_lo:[0,0,1] neg_hi:[0,0,1]
	v_pk_fma_f32 v[120:121], v[120:121], v[66:67], v[126:127] op_sel:[1,0,0] op_sel_hi:[0,1,0]
	s_delay_alu instid0(VALU_DEP_1) | instskip(SKIP_1) | instid1(VALU_DEP_2)
	v_mov_b32_e32 v125, v121
	v_pk_mul_f32 v[120:121], v[122:123], v[112:113] op_sel:[0,1]
	v_pk_add_f32 v[12:13], v[12:13], v[124:125] neg_lo:[0,1] neg_hi:[0,1]
	s_delay_alu instid0(VALU_DEP_2) | instskip(SKIP_1) | instid1(VALU_DEP_1)
	v_pk_fma_f32 v[124:125], v[122:123], v[110:111], v[120:121] op_sel:[0,0,1] op_sel_hi:[1,1,0] neg_lo:[0,0,1] neg_hi:[0,0,1]
	v_pk_fma_f32 v[120:121], v[122:123], v[110:111], v[120:121] op_sel:[0,0,1] op_sel_hi:[1,0,0]
	v_mov_b32_e32 v125, v121
	ds_load_2addr_b64 v[120:123], v114 offset0:37 offset1:38
	v_pk_add_f32 v[50:51], v[50:51], v[124:125] neg_lo:[0,1] neg_hi:[0,1]
	s_wait_dscnt 0x0
	v_pk_mul_f32 v[124:125], v[120:121], v[112:113] op_sel:[0,1]
	s_delay_alu instid0(VALU_DEP_1) | instskip(SKIP_1) | instid1(VALU_DEP_1)
	v_pk_fma_f32 v[126:127], v[120:121], v[110:111], v[124:125] op_sel:[0,0,1] op_sel_hi:[1,1,0] neg_lo:[0,0,1] neg_hi:[0,0,1]
	v_pk_fma_f32 v[120:121], v[120:121], v[110:111], v[124:125] op_sel:[0,0,1] op_sel_hi:[1,0,0]
	v_mov_b32_e32 v127, v121
	v_pk_mul_f32 v[120:121], v[122:123], v[112:113] op_sel:[0,1]
	s_delay_alu instid0(VALU_DEP_2) | instskip(NEXT) | instid1(VALU_DEP_2)
	v_pk_add_f32 v[46:47], v[46:47], v[126:127] neg_lo:[0,1] neg_hi:[0,1]
	v_pk_fma_f32 v[124:125], v[122:123], v[110:111], v[120:121] op_sel:[0,0,1] op_sel_hi:[1,1,0] neg_lo:[0,0,1] neg_hi:[0,0,1]
	v_pk_fma_f32 v[120:121], v[122:123], v[110:111], v[120:121] op_sel:[0,0,1] op_sel_hi:[1,0,0]
	s_delay_alu instid0(VALU_DEP_1) | instskip(SKIP_4) | instid1(VALU_DEP_1)
	v_mov_b32_e32 v125, v121
	ds_load_2addr_b64 v[120:123], v114 offset0:39 offset1:40
	v_pk_add_f32 v[48:49], v[48:49], v[124:125] neg_lo:[0,1] neg_hi:[0,1]
	s_wait_dscnt 0x0
	v_pk_mul_f32 v[124:125], v[120:121], v[112:113] op_sel:[0,1]
	v_pk_fma_f32 v[126:127], v[120:121], v[110:111], v[124:125] op_sel:[0,0,1] op_sel_hi:[1,1,0] neg_lo:[0,0,1] neg_hi:[0,0,1]
	v_pk_fma_f32 v[120:121], v[120:121], v[110:111], v[124:125] op_sel:[0,0,1] op_sel_hi:[1,0,0]
	v_dual_mul_f32 v124, v123, v113 :: v_dual_mov_b32 v120, v123
	s_delay_alu instid0(VALU_DEP_2) | instskip(NEXT) | instid1(VALU_DEP_2)
	v_dual_mov_b32 v127, v121 :: v_dual_mov_b32 v121, v122
	v_pk_fma_f32 v[124:125], v[122:123], v[66:67], v[124:125] op_sel_hi:[1,1,0] neg_lo:[0,0,1] neg_hi:[0,0,1]
	v_mul_f32_e32 v122, v123, v110
	s_delay_alu instid0(VALU_DEP_3) | instskip(NEXT) | instid1(VALU_DEP_2)
	v_pk_add_f32 v[10:11], v[10:11], v[126:127] neg_lo:[0,1] neg_hi:[0,1]
	v_pk_fma_f32 v[120:121], v[120:121], v[66:67], v[122:123] op_sel_hi:[1,1,0]
	s_delay_alu instid0(VALU_DEP_1) | instskip(SKIP_4) | instid1(VALU_DEP_1)
	v_mov_b32_e32 v125, v121
	ds_load_2addr_b64 v[120:123], v114 offset0:41 offset1:42
	v_pk_add_f32 v[44:45], v[44:45], v[124:125] neg_lo:[0,1] neg_hi:[0,1]
	s_wait_dscnt 0x0
	v_pk_mul_f32 v[124:125], v[120:121], v[112:113] op_sel:[0,1]
	v_pk_fma_f32 v[126:127], v[120:121], v[110:111], v[124:125] op_sel:[0,0,1] op_sel_hi:[1,1,0] neg_lo:[0,0,1] neg_hi:[0,0,1]
	v_pk_fma_f32 v[120:121], v[120:121], v[110:111], v[124:125] op_sel:[0,0,1] op_sel_hi:[1,0,0]
	s_delay_alu instid0(VALU_DEP_1) | instskip(SKIP_1) | instid1(VALU_DEP_1)
	v_mov_b32_e32 v127, v121
	v_pk_mul_f32 v[120:121], v[122:123], v[112:113] op_sel:[0,1]
	v_pk_fma_f32 v[124:125], v[122:123], v[110:111], v[120:121] op_sel:[0,0,1] op_sel_hi:[1,1,0] neg_lo:[0,0,1] neg_hi:[0,0,1]
	v_pk_fma_f32 v[120:121], v[122:123], v[110:111], v[120:121] op_sel:[0,0,1] op_sel_hi:[1,0,0]
	s_delay_alu instid0(VALU_DEP_1)
	v_mov_b32_e32 v125, v121
	ds_load_2addr_b64 v[120:123], v114 offset0:43 offset1:44
	v_pk_add_f32 v[40:41], v[40:41], v[126:127] neg_lo:[0,1] neg_hi:[0,1]
	v_pk_add_f32 v[42:43], v[42:43], v[124:125] neg_lo:[0,1] neg_hi:[0,1]
	s_wait_dscnt 0x0
	v_pk_mul_f32 v[124:125], v[120:121], v[112:113] op_sel:[0,1]
	s_delay_alu instid0(VALU_DEP_1) | instskip(SKIP_1) | instid1(VALU_DEP_1)
	v_pk_fma_f32 v[126:127], v[120:121], v[110:111], v[124:125] op_sel:[0,0,1] op_sel_hi:[1,1,0] neg_lo:[0,0,1] neg_hi:[0,0,1]
	v_pk_fma_f32 v[120:121], v[120:121], v[110:111], v[124:125] op_sel:[0,0,1] op_sel_hi:[1,0,0]
	v_mov_b32_e32 v127, v121
	v_pk_mul_f32 v[120:121], v[122:123], v[112:113] op_sel:[0,1]
	s_delay_alu instid0(VALU_DEP_1) | instskip(SKIP_1) | instid1(VALU_DEP_1)
	v_pk_fma_f32 v[124:125], v[122:123], v[110:111], v[120:121] op_sel:[0,0,1] op_sel_hi:[1,1,0] neg_lo:[0,0,1] neg_hi:[0,0,1]
	v_pk_fma_f32 v[120:121], v[122:123], v[110:111], v[120:121] op_sel:[0,0,1] op_sel_hi:[1,0,0]
	v_mov_b32_e32 v125, v121
	ds_load_2addr_b64 v[120:123], v114 offset0:45 offset1:46
	v_pk_add_f32 v[6:7], v[6:7], v[126:127] neg_lo:[0,1] neg_hi:[0,1]
	v_pk_add_f32 v[36:37], v[36:37], v[124:125] neg_lo:[0,1] neg_hi:[0,1]
	s_wait_dscnt 0x0
	v_dual_mul_f32 v124, v121, v113 :: v_dual_mul_f32 v126, v121, v110
	s_delay_alu instid0(VALU_DEP_1) | instskip(NEXT) | instid1(VALU_DEP_2)
	v_pk_fma_f32 v[124:125], v[120:121], v[66:67], v[124:125] op_sel_hi:[1,1,0] neg_lo:[0,0,1] neg_hi:[0,0,1]
	v_pk_fma_f32 v[120:121], v[120:121], v[66:67], v[126:127] op_sel:[1,0,0] op_sel_hi:[0,1,0]
	s_delay_alu instid0(VALU_DEP_1) | instskip(SKIP_1) | instid1(VALU_DEP_2)
	v_mov_b32_e32 v125, v121
	v_pk_mul_f32 v[120:121], v[122:123], v[112:113] op_sel:[0,1]
	v_pk_add_f32 v[30:31], v[30:31], v[124:125] neg_lo:[0,1] neg_hi:[0,1]
	s_delay_alu instid0(VALU_DEP_2) | instskip(SKIP_1) | instid1(VALU_DEP_1)
	v_pk_fma_f32 v[124:125], v[122:123], v[110:111], v[120:121] op_sel:[0,0,1] op_sel_hi:[1,1,0] neg_lo:[0,0,1] neg_hi:[0,0,1]
	v_pk_fma_f32 v[120:121], v[122:123], v[110:111], v[120:121] op_sel:[0,0,1] op_sel_hi:[1,0,0]
	v_mov_b32_e32 v125, v121
	ds_load_2addr_b64 v[120:123], v114 offset0:47 offset1:48
	v_pk_add_f32 v[34:35], v[34:35], v[124:125] neg_lo:[0,1] neg_hi:[0,1]
	s_wait_dscnt 0x0
	v_pk_mul_f32 v[124:125], v[120:121], v[112:113] op_sel:[0,1]
	s_delay_alu instid0(VALU_DEP_1) | instskip(SKIP_1) | instid1(VALU_DEP_1)
	v_pk_fma_f32 v[126:127], v[120:121], v[110:111], v[124:125] op_sel:[0,0,1] op_sel_hi:[1,1,0] neg_lo:[0,0,1] neg_hi:[0,0,1]
	v_pk_fma_f32 v[120:121], v[120:121], v[110:111], v[124:125] op_sel:[0,0,1] op_sel_hi:[1,0,0]
	v_mov_b32_e32 v127, v121
	v_pk_mul_f32 v[120:121], v[122:123], v[112:113] op_sel:[0,1]
	s_delay_alu instid0(VALU_DEP_2) | instskip(NEXT) | instid1(VALU_DEP_2)
	v_pk_add_f32 v[8:9], v[8:9], v[126:127] neg_lo:[0,1] neg_hi:[0,1]
	v_pk_fma_f32 v[124:125], v[122:123], v[110:111], v[120:121] op_sel:[0,0,1] op_sel_hi:[1,1,0] neg_lo:[0,0,1] neg_hi:[0,0,1]
	v_pk_fma_f32 v[120:121], v[122:123], v[110:111], v[120:121] op_sel:[0,0,1] op_sel_hi:[1,0,0]
	s_delay_alu instid0(VALU_DEP_1) | instskip(SKIP_4) | instid1(VALU_DEP_1)
	v_mov_b32_e32 v125, v121
	ds_load_2addr_b64 v[120:123], v114 offset0:49 offset1:50
	v_pk_add_f32 v[28:29], v[28:29], v[124:125] neg_lo:[0,1] neg_hi:[0,1]
	s_wait_dscnt 0x0
	v_pk_mul_f32 v[124:125], v[120:121], v[112:113] op_sel:[0,1]
	v_pk_fma_f32 v[126:127], v[120:121], v[110:111], v[124:125] op_sel:[0,0,1] op_sel_hi:[1,1,0] neg_lo:[0,0,1] neg_hi:[0,0,1]
	v_pk_fma_f32 v[120:121], v[120:121], v[110:111], v[124:125] op_sel:[0,0,1] op_sel_hi:[1,0,0]
	v_dual_mul_f32 v124, v123, v113 :: v_dual_mov_b32 v120, v123
	s_delay_alu instid0(VALU_DEP_2) | instskip(NEXT) | instid1(VALU_DEP_2)
	v_dual_mov_b32 v127, v121 :: v_dual_mov_b32 v121, v122
	v_pk_fma_f32 v[124:125], v[122:123], v[66:67], v[124:125] op_sel_hi:[1,1,0] neg_lo:[0,0,1] neg_hi:[0,0,1]
	v_mul_f32_e32 v122, v123, v110
	s_delay_alu instid0(VALU_DEP_3) | instskip(NEXT) | instid1(VALU_DEP_2)
	v_pk_add_f32 v[16:17], v[16:17], v[126:127] neg_lo:[0,1] neg_hi:[0,1]
	v_pk_fma_f32 v[120:121], v[120:121], v[66:67], v[122:123] op_sel_hi:[1,1,0]
	s_delay_alu instid0(VALU_DEP_1) | instskip(SKIP_4) | instid1(VALU_DEP_1)
	v_mov_b32_e32 v125, v121
	ds_load_b64 v[120:121], v114 offset:408
	v_pk_add_f32 v[14:15], v[14:15], v[124:125] neg_lo:[0,1] neg_hi:[0,1]
	s_wait_dscnt 0x0
	v_pk_mul_f32 v[112:113], v[120:121], v[112:113] op_sel:[0,1]
	v_pk_fma_f32 v[122:123], v[120:121], v[110:111], v[112:113] op_sel:[0,0,1] op_sel_hi:[1,1,0] neg_lo:[0,0,1] neg_hi:[0,0,1]
	v_pk_fma_f32 v[110:111], v[120:121], v[110:111], v[112:113] op_sel:[0,0,1] op_sel_hi:[1,0,0]
	s_delay_alu instid0(VALU_DEP_1) | instskip(NEXT) | instid1(VALU_DEP_1)
	v_mov_b32_e32 v123, v111
	v_pk_add_f32 v[108:109], v[108:109], v[122:123] neg_lo:[0,1] neg_hi:[0,1]
.LBB102_566:
	s_or_b32 exec_lo, exec_lo, s0
	v_lshl_add_u32 v110, v118, 3, v114
	s_barrier_signal -1
	s_barrier_wait -1
	ds_store_b64 v110, v[20:21]
	s_wait_dscnt 0x0
	s_barrier_signal -1
	s_barrier_wait -1
	ds_load_b64 v[112:113], v114 offset:216
	v_mov_b32_e32 v110, 27
	s_cmp_lt_i32 s18, 29
	s_cbranch_scc1 .LBB102_569
; %bb.567:
	v_add3_u32 v111, v115, 0, 0xe0
	v_mov_b32_e32 v110, 27
	s_mov_b32 s0, 28
.LBB102_568:                            ; =>This Inner Loop Header: Depth=1
	ds_load_b64 v[120:121], v111
	s_wait_dscnt 0x1
	v_cmp_gt_f32_e32 vcc_lo, 0, v112
	v_cndmask_b32_e64 v122, v112, -v112, vcc_lo
	v_cmp_gt_f32_e32 vcc_lo, 0, v113
	v_cndmask_b32_e64 v124, v113, -v113, vcc_lo
	s_wait_dscnt 0x0
	v_cmp_gt_f32_e32 vcc_lo, 0, v120
	v_cndmask_b32_e64 v123, v120, -v120, vcc_lo
	v_cmp_gt_f32_e32 vcc_lo, 0, v121
	v_cndmask_b32_e64 v125, v121, -v121, vcc_lo
	s_delay_alu instid0(VALU_DEP_1) | instskip(NEXT) | instid1(VALU_DEP_1)
	v_pk_add_f32 v[122:123], v[122:123], v[124:125]
	v_cmp_lt_f32_e32 vcc_lo, v122, v123
	v_dual_add_nc_u32 v111, 8, v111 :: v_dual_cndmask_b32 v113, v113, v121, vcc_lo
	v_cndmask_b32_e32 v112, v112, v120, vcc_lo
	v_cndmask_b32_e64 v110, v110, s0, vcc_lo
	s_add_co_i32 s0, s0, 1
	s_delay_alu instid0(SALU_CYCLE_1)
	s_cmp_lg_u32 s18, s0
	s_cbranch_scc1 .LBB102_568
.LBB102_569:
	s_wait_dscnt 0x0
	v_cmp_eq_f32_e32 vcc_lo, 0, v112
	v_cmp_eq_f32_e64 s0, 0, v113
	s_and_b32 s0, vcc_lo, s0
	s_delay_alu instid0(SALU_CYCLE_1) | instskip(NEXT) | instid1(SALU_CYCLE_1)
	s_and_saveexec_b32 s1, s0
	s_xor_b32 s0, exec_lo, s1
; %bb.570:
	v_cmp_ne_u32_e32 vcc_lo, 0, v116
	v_cndmask_b32_e32 v116, 28, v116, vcc_lo
; %bb.571:
	s_and_not1_saveexec_b32 s0, s0
	s_cbranch_execz .LBB102_577
; %bb.572:
	v_cmp_ngt_f32_e64 s1, |v112|, |v113|
	s_and_saveexec_b32 s12, s1
	s_delay_alu instid0(SALU_CYCLE_1)
	s_xor_b32 s1, exec_lo, s12
	s_cbranch_execz .LBB102_574
; %bb.573:
	v_div_scale_f32 v111, null, v113, v113, v112
	v_div_scale_f32 v121, vcc_lo, v112, v113, v112
	s_delay_alu instid0(VALU_DEP_2) | instskip(SKIP_1) | instid1(TRANS32_DEP_1)
	v_rcp_f32_e32 v119, v111
	v_nop
	v_fma_f32 v120, -v111, v119, 1.0
	s_delay_alu instid0(VALU_DEP_1) | instskip(NEXT) | instid1(VALU_DEP_1)
	v_fmac_f32_e32 v119, v120, v119
	v_mul_f32_e32 v120, v121, v119
	s_delay_alu instid0(VALU_DEP_1) | instskip(NEXT) | instid1(VALU_DEP_1)
	v_fma_f32 v122, -v111, v120, v121
	v_fmac_f32_e32 v120, v122, v119
	s_delay_alu instid0(VALU_DEP_1) | instskip(NEXT) | instid1(VALU_DEP_1)
	v_fma_f32 v111, -v111, v120, v121
	v_div_fmas_f32 v111, v111, v119, v120
	s_delay_alu instid0(VALU_DEP_1) | instskip(NEXT) | instid1(VALU_DEP_1)
	v_div_fixup_f32 v111, v111, v113, v112
	v_fmac_f32_e32 v113, v112, v111
	s_delay_alu instid0(VALU_DEP_1) | instskip(SKIP_1) | instid1(VALU_DEP_2)
	v_div_scale_f32 v112, null, v113, v113, 1.0
	v_div_scale_f32 v121, vcc_lo, 1.0, v113, 1.0
	v_rcp_f32_e32 v119, v112
	v_nop
	s_delay_alu instid0(TRANS32_DEP_1) | instskip(NEXT) | instid1(VALU_DEP_1)
	v_fma_f32 v120, -v112, v119, 1.0
	v_fmac_f32_e32 v119, v120, v119
	s_delay_alu instid0(VALU_DEP_1) | instskip(NEXT) | instid1(VALU_DEP_1)
	v_mul_f32_e32 v120, v121, v119
	v_fma_f32 v122, -v112, v120, v121
	s_delay_alu instid0(VALU_DEP_1) | instskip(NEXT) | instid1(VALU_DEP_1)
	v_fmac_f32_e32 v120, v122, v119
	v_fma_f32 v112, -v112, v120, v121
	s_delay_alu instid0(VALU_DEP_1) | instskip(NEXT) | instid1(VALU_DEP_1)
	v_div_fmas_f32 v112, v112, v119, v120
	v_div_fixup_f32 v113, v112, v113, 1.0
	s_delay_alu instid0(VALU_DEP_1)
	v_mul_f32_e32 v112, v111, v113
	v_xor_b32_e32 v113, 0x80000000, v113
.LBB102_574:
	s_and_not1_saveexec_b32 s1, s1
	s_cbranch_execz .LBB102_576
; %bb.575:
	s_delay_alu instid0(VALU_DEP_1) | instskip(SKIP_1) | instid1(VALU_DEP_2)
	v_div_scale_f32 v111, null, v112, v112, v113
	v_div_scale_f32 v121, vcc_lo, v113, v112, v113
	v_rcp_f32_e32 v119, v111
	v_nop
	s_delay_alu instid0(TRANS32_DEP_1) | instskip(NEXT) | instid1(VALU_DEP_1)
	v_fma_f32 v120, -v111, v119, 1.0
	v_fmac_f32_e32 v119, v120, v119
	s_delay_alu instid0(VALU_DEP_1) | instskip(NEXT) | instid1(VALU_DEP_1)
	v_mul_f32_e32 v120, v121, v119
	v_fma_f32 v122, -v111, v120, v121
	s_delay_alu instid0(VALU_DEP_1) | instskip(NEXT) | instid1(VALU_DEP_1)
	v_fmac_f32_e32 v120, v122, v119
	v_fma_f32 v111, -v111, v120, v121
	s_delay_alu instid0(VALU_DEP_1) | instskip(NEXT) | instid1(VALU_DEP_1)
	v_div_fmas_f32 v111, v111, v119, v120
	v_div_fixup_f32 v111, v111, v112, v113
	s_delay_alu instid0(VALU_DEP_1) | instskip(NEXT) | instid1(VALU_DEP_1)
	v_fmac_f32_e32 v112, v113, v111
	v_div_scale_f32 v113, null, v112, v112, 1.0
	s_delay_alu instid0(VALU_DEP_1) | instskip(SKIP_1) | instid1(TRANS32_DEP_1)
	v_rcp_f32_e32 v119, v113
	v_nop
	v_fma_f32 v120, -v113, v119, 1.0
	s_delay_alu instid0(VALU_DEP_1) | instskip(SKIP_1) | instid1(VALU_DEP_1)
	v_fmac_f32_e32 v119, v120, v119
	v_div_scale_f32 v120, vcc_lo, 1.0, v112, 1.0
	v_mul_f32_e32 v121, v120, v119
	s_delay_alu instid0(VALU_DEP_1) | instskip(NEXT) | instid1(VALU_DEP_1)
	v_fma_f32 v122, -v113, v121, v120
	v_fmac_f32_e32 v121, v122, v119
	s_delay_alu instid0(VALU_DEP_1) | instskip(NEXT) | instid1(VALU_DEP_1)
	v_fma_f32 v113, -v113, v121, v120
	v_div_fmas_f32 v113, v113, v119, v121
	s_delay_alu instid0(VALU_DEP_1) | instskip(NEXT) | instid1(VALU_DEP_1)
	v_div_fixup_f32 v112, v113, v112, 1.0
	v_mul_f32_e64 v113, v111, -v112
.LBB102_576:
	s_or_b32 exec_lo, exec_lo, s1
.LBB102_577:
	s_delay_alu instid0(SALU_CYCLE_1) | instskip(NEXT) | instid1(SALU_CYCLE_1)
	s_or_b32 exec_lo, exec_lo, s0
	s_mov_b32 s0, exec_lo
	v_cmpx_ne_u32_e64 v118, v110
	s_xor_b32 s0, exec_lo, s0
	s_cbranch_execz .LBB102_583
; %bb.578:
	s_mov_b32 s1, exec_lo
	v_cmpx_eq_u32_e32 27, v118
	s_cbranch_execz .LBB102_582
; %bb.579:
	v_cmp_ne_u32_e32 vcc_lo, 27, v110
	s_xor_b32 s12, s16, -1
	s_delay_alu instid0(SALU_CYCLE_1) | instskip(NEXT) | instid1(SALU_CYCLE_1)
	s_and_b32 s13, s12, vcc_lo
	s_and_saveexec_b32 s12, s13
	s_cbranch_execz .LBB102_581
; %bb.580:
	v_ashrrev_i32_e32 v111, 31, v110
	s_delay_alu instid0(VALU_DEP_1)
	v_lshl_add_u64 v[118:119], v[110:111], 2, v[4:5]
	s_clause 0x1
	global_load_b32 v111, v[118:119], off
	global_load_b32 v117, v[4:5], off offset:108
	s_wait_loadcnt 0x1
	global_store_b32 v[4:5], v111, off offset:108
	s_wait_loadcnt 0x0
	global_store_b32 v[118:119], v117, off
.LBB102_581:
	s_wait_xcnt 0x0
	s_or_b32 exec_lo, exec_lo, s12
	v_dual_mov_b32 v118, v110 :: v_dual_mov_b32 v117, v110
.LBB102_582:
	s_or_b32 exec_lo, exec_lo, s1
.LBB102_583:
	s_and_not1_saveexec_b32 s0, s0
	s_cbranch_execz .LBB102_585
; %bb.584:
	v_dual_mov_b32 v110, v62 :: v_dual_mov_b32 v111, v63
	v_dual_mov_b32 v118, v58 :: v_dual_mov_b32 v119, v59
	;; [unrolled: 1-line block ×4, first 2 shown]
	ds_store_2addr_b64 v114, v[110:111], v[118:119] offset0:28 offset1:29
	ds_store_2addr_b64 v114, v[120:121], v[122:123] offset0:30 offset1:31
	v_dual_mov_b32 v110, v56 :: v_dual_mov_b32 v111, v57
	v_dual_mov_b32 v118, v52 :: v_dual_mov_b32 v119, v53
	v_dual_mov_b32 v120, v54 :: v_dual_mov_b32 v121, v55
	v_dual_mov_b32 v122, v12 :: v_dual_mov_b32 v123, v13
	v_dual_mov_b32 v124, v50 :: v_dual_mov_b32 v125, v51
	v_dual_mov_b32 v126, v46 :: v_dual_mov_b32 v127, v47
	v_dual_mov_b32 v128, v48 :: v_dual_mov_b32 v129, v49
	v_dual_mov_b32 v130, v10 :: v_dual_mov_b32 v131, v11
	v_dual_mov_b32 v132, v44 :: v_dual_mov_b32 v133, v45
	v_dual_mov_b32 v134, v40 :: v_dual_mov_b32 v135, v41
	v_dual_mov_b32 v136, v42 :: v_dual_mov_b32 v137, v43
	v_dual_mov_b32 v138, v6 :: v_dual_mov_b32 v139, v7
	ds_store_2addr_b64 v114, v[110:111], v[118:119] offset0:32 offset1:33
	ds_store_2addr_b64 v114, v[120:121], v[122:123] offset0:34 offset1:35
	;; [unrolled: 1-line block ×6, first 2 shown]
	v_dual_mov_b32 v110, v36 :: v_dual_mov_b32 v111, v37
	v_dual_mov_b32 v120, v30 :: v_dual_mov_b32 v121, v31
	;; [unrolled: 1-line block ×7, first 2 shown]
	v_mov_b32_e32 v131, v15
	ds_store_2addr_b64 v114, v[110:111], v[120:121] offset0:44 offset1:45
	ds_store_2addr_b64 v114, v[122:123], v[124:125] offset0:46 offset1:47
	ds_store_2addr_b64 v114, v[126:127], v[128:129] offset0:48 offset1:49
	ds_store_2addr_b64 v114, v[130:131], v[108:109] offset0:50 offset1:51
.LBB102_585:
	s_or_b32 exec_lo, exec_lo, s0
	s_delay_alu instid0(SALU_CYCLE_1)
	s_mov_b32 s0, exec_lo
	s_wait_storecnt_dscnt 0x0
	s_barrier_signal -1
	s_barrier_wait -1
	v_cmpx_lt_i32_e32 27, v118
	s_cbranch_execz .LBB102_587
; %bb.586:
	v_pk_mul_f32 v[120:121], v[112:113], v[20:21] op_sel:[1,1] op_sel_hi:[0,1]
	s_delay_alu instid0(VALU_DEP_1)
	v_pk_fma_f32 v[110:111], v[112:113], v[20:21], v[120:121] op_sel_hi:[1,0,1] neg_lo:[0,0,1] neg_hi:[0,0,1]
	v_pk_fma_f32 v[112:113], v[112:113], v[20:21], v[120:121] op_sel_hi:[1,0,1]
	ds_load_2addr_b64 v[120:123], v114 offset0:28 offset1:29
	v_dual_mov_b32 v20, v110 :: v_dual_mov_b32 v21, v113
	s_wait_dscnt 0x0
	v_pk_mul_f32 v[124:125], v[120:121], v[112:113] op_sel:[0,1]
	s_delay_alu instid0(VALU_DEP_1) | instskip(SKIP_1) | instid1(VALU_DEP_1)
	v_pk_fma_f32 v[126:127], v[120:121], v[110:111], v[124:125] op_sel:[0,0,1] op_sel_hi:[1,1,0] neg_lo:[0,0,1] neg_hi:[0,0,1]
	v_pk_fma_f32 v[120:121], v[120:121], v[110:111], v[124:125] op_sel:[0,0,1] op_sel_hi:[1,0,0]
	v_mov_b32_e32 v127, v121
	v_pk_mul_f32 v[120:121], v[122:123], v[112:113] op_sel:[0,1]
	s_delay_alu instid0(VALU_DEP_1) | instskip(SKIP_1) | instid1(VALU_DEP_1)
	v_pk_fma_f32 v[124:125], v[122:123], v[110:111], v[120:121] op_sel:[0,0,1] op_sel_hi:[1,1,0] neg_lo:[0,0,1] neg_hi:[0,0,1]
	v_pk_fma_f32 v[120:121], v[122:123], v[110:111], v[120:121] op_sel:[0,0,1] op_sel_hi:[1,0,0]
	v_mov_b32_e32 v125, v121
	ds_load_2addr_b64 v[120:123], v114 offset0:30 offset1:31
	v_pk_add_f32 v[62:63], v[62:63], v[126:127] neg_lo:[0,1] neg_hi:[0,1]
	v_pk_add_f32 v[58:59], v[58:59], v[124:125] neg_lo:[0,1] neg_hi:[0,1]
	s_wait_dscnt 0x0
	v_pk_mul_f32 v[124:125], v[120:121], v[112:113] op_sel:[0,1]
	s_delay_alu instid0(VALU_DEP_1) | instskip(SKIP_2) | instid1(VALU_DEP_2)
	v_pk_fma_f32 v[126:127], v[120:121], v[110:111], v[124:125] op_sel:[0,0,1] op_sel_hi:[1,1,0] neg_lo:[0,0,1] neg_hi:[0,0,1]
	v_pk_fma_f32 v[120:121], v[120:121], v[110:111], v[124:125] op_sel:[0,0,1] op_sel_hi:[1,0,0]
	v_dual_mul_f32 v124, v123, v113 :: v_dual_mov_b32 v120, v123
	v_dual_mov_b32 v127, v121 :: v_dual_mov_b32 v121, v122
	s_delay_alu instid0(VALU_DEP_2) | instskip(SKIP_1) | instid1(VALU_DEP_3)
	v_pk_fma_f32 v[124:125], v[122:123], v[20:21], v[124:125] op_sel_hi:[1,1,0] neg_lo:[0,0,1] neg_hi:[0,0,1]
	v_mul_f32_e32 v122, v123, v110
	v_pk_add_f32 v[60:61], v[60:61], v[126:127] neg_lo:[0,1] neg_hi:[0,1]
	s_delay_alu instid0(VALU_DEP_2) | instskip(NEXT) | instid1(VALU_DEP_1)
	v_pk_fma_f32 v[120:121], v[120:121], v[20:21], v[122:123] op_sel_hi:[1,1,0]
	v_mov_b32_e32 v125, v121
	ds_load_2addr_b64 v[120:123], v114 offset0:32 offset1:33
	v_pk_add_f32 v[18:19], v[18:19], v[124:125] neg_lo:[0,1] neg_hi:[0,1]
	s_wait_dscnt 0x0
	v_pk_mul_f32 v[124:125], v[120:121], v[112:113] op_sel:[0,1]
	s_delay_alu instid0(VALU_DEP_1) | instskip(SKIP_1) | instid1(VALU_DEP_1)
	v_pk_fma_f32 v[126:127], v[120:121], v[110:111], v[124:125] op_sel:[0,0,1] op_sel_hi:[1,1,0] neg_lo:[0,0,1] neg_hi:[0,0,1]
	v_pk_fma_f32 v[120:121], v[120:121], v[110:111], v[124:125] op_sel:[0,0,1] op_sel_hi:[1,0,0]
	v_mov_b32_e32 v127, v121
	v_pk_mul_f32 v[120:121], v[122:123], v[112:113] op_sel:[0,1]
	s_delay_alu instid0(VALU_DEP_1) | instskip(SKIP_1) | instid1(VALU_DEP_1)
	v_pk_fma_f32 v[124:125], v[122:123], v[110:111], v[120:121] op_sel:[0,0,1] op_sel_hi:[1,1,0] neg_lo:[0,0,1] neg_hi:[0,0,1]
	v_pk_fma_f32 v[120:121], v[122:123], v[110:111], v[120:121] op_sel:[0,0,1] op_sel_hi:[1,0,0]
	v_mov_b32_e32 v125, v121
	ds_load_2addr_b64 v[120:123], v114 offset0:34 offset1:35
	v_pk_add_f32 v[56:57], v[56:57], v[126:127] neg_lo:[0,1] neg_hi:[0,1]
	v_pk_add_f32 v[52:53], v[52:53], v[124:125] neg_lo:[0,1] neg_hi:[0,1]
	s_wait_dscnt 0x0
	v_pk_mul_f32 v[124:125], v[120:121], v[112:113] op_sel:[0,1]
	s_delay_alu instid0(VALU_DEP_1) | instskip(SKIP_1) | instid1(VALU_DEP_1)
	v_pk_fma_f32 v[126:127], v[120:121], v[110:111], v[124:125] op_sel:[0,0,1] op_sel_hi:[1,1,0] neg_lo:[0,0,1] neg_hi:[0,0,1]
	v_pk_fma_f32 v[120:121], v[120:121], v[110:111], v[124:125] op_sel:[0,0,1] op_sel_hi:[1,0,0]
	v_mov_b32_e32 v127, v121
	v_pk_mul_f32 v[120:121], v[122:123], v[112:113] op_sel:[0,1]
	s_delay_alu instid0(VALU_DEP_1) | instskip(SKIP_1) | instid1(VALU_DEP_1)
	v_pk_fma_f32 v[124:125], v[122:123], v[110:111], v[120:121] op_sel:[0,0,1] op_sel_hi:[1,1,0] neg_lo:[0,0,1] neg_hi:[0,0,1]
	v_pk_fma_f32 v[120:121], v[122:123], v[110:111], v[120:121] op_sel:[0,0,1] op_sel_hi:[1,0,0]
	v_mov_b32_e32 v125, v121
	ds_load_2addr_b64 v[120:123], v114 offset0:36 offset1:37
	v_pk_add_f32 v[54:55], v[54:55], v[126:127] neg_lo:[0,1] neg_hi:[0,1]
	v_pk_add_f32 v[12:13], v[12:13], v[124:125] neg_lo:[0,1] neg_hi:[0,1]
	s_wait_dscnt 0x0
	v_dual_mul_f32 v124, v121, v113 :: v_dual_mul_f32 v126, v121, v110
	s_delay_alu instid0(VALU_DEP_1) | instskip(NEXT) | instid1(VALU_DEP_2)
	v_pk_fma_f32 v[124:125], v[120:121], v[20:21], v[124:125] op_sel_hi:[1,1,0] neg_lo:[0,0,1] neg_hi:[0,0,1]
	v_pk_fma_f32 v[120:121], v[120:121], v[20:21], v[126:127] op_sel:[1,0,0] op_sel_hi:[0,1,0]
	s_delay_alu instid0(VALU_DEP_1) | instskip(SKIP_1) | instid1(VALU_DEP_2)
	v_mov_b32_e32 v125, v121
	v_pk_mul_f32 v[120:121], v[122:123], v[112:113] op_sel:[0,1]
	v_pk_add_f32 v[50:51], v[50:51], v[124:125] neg_lo:[0,1] neg_hi:[0,1]
	s_delay_alu instid0(VALU_DEP_2) | instskip(SKIP_1) | instid1(VALU_DEP_1)
	v_pk_fma_f32 v[124:125], v[122:123], v[110:111], v[120:121] op_sel:[0,0,1] op_sel_hi:[1,1,0] neg_lo:[0,0,1] neg_hi:[0,0,1]
	v_pk_fma_f32 v[120:121], v[122:123], v[110:111], v[120:121] op_sel:[0,0,1] op_sel_hi:[1,0,0]
	v_mov_b32_e32 v125, v121
	ds_load_2addr_b64 v[120:123], v114 offset0:38 offset1:39
	v_pk_add_f32 v[46:47], v[46:47], v[124:125] neg_lo:[0,1] neg_hi:[0,1]
	s_wait_dscnt 0x0
	v_pk_mul_f32 v[124:125], v[120:121], v[112:113] op_sel:[0,1]
	s_delay_alu instid0(VALU_DEP_1) | instskip(SKIP_1) | instid1(VALU_DEP_1)
	v_pk_fma_f32 v[126:127], v[120:121], v[110:111], v[124:125] op_sel:[0,0,1] op_sel_hi:[1,1,0] neg_lo:[0,0,1] neg_hi:[0,0,1]
	v_pk_fma_f32 v[120:121], v[120:121], v[110:111], v[124:125] op_sel:[0,0,1] op_sel_hi:[1,0,0]
	v_mov_b32_e32 v127, v121
	v_pk_mul_f32 v[120:121], v[122:123], v[112:113] op_sel:[0,1]
	s_delay_alu instid0(VALU_DEP_2) | instskip(NEXT) | instid1(VALU_DEP_2)
	v_pk_add_f32 v[48:49], v[48:49], v[126:127] neg_lo:[0,1] neg_hi:[0,1]
	v_pk_fma_f32 v[124:125], v[122:123], v[110:111], v[120:121] op_sel:[0,0,1] op_sel_hi:[1,1,0] neg_lo:[0,0,1] neg_hi:[0,0,1]
	v_pk_fma_f32 v[120:121], v[122:123], v[110:111], v[120:121] op_sel:[0,0,1] op_sel_hi:[1,0,0]
	s_delay_alu instid0(VALU_DEP_1) | instskip(SKIP_4) | instid1(VALU_DEP_1)
	v_mov_b32_e32 v125, v121
	ds_load_2addr_b64 v[120:123], v114 offset0:40 offset1:41
	v_pk_add_f32 v[10:11], v[10:11], v[124:125] neg_lo:[0,1] neg_hi:[0,1]
	s_wait_dscnt 0x0
	v_pk_mul_f32 v[124:125], v[120:121], v[112:113] op_sel:[0,1]
	v_pk_fma_f32 v[126:127], v[120:121], v[110:111], v[124:125] op_sel:[0,0,1] op_sel_hi:[1,1,0] neg_lo:[0,0,1] neg_hi:[0,0,1]
	v_pk_fma_f32 v[120:121], v[120:121], v[110:111], v[124:125] op_sel:[0,0,1] op_sel_hi:[1,0,0]
	v_dual_mul_f32 v124, v123, v113 :: v_dual_mov_b32 v120, v123
	s_delay_alu instid0(VALU_DEP_2) | instskip(NEXT) | instid1(VALU_DEP_2)
	v_dual_mov_b32 v127, v121 :: v_dual_mov_b32 v121, v122
	v_pk_fma_f32 v[124:125], v[122:123], v[20:21], v[124:125] op_sel_hi:[1,1,0] neg_lo:[0,0,1] neg_hi:[0,0,1]
	v_mul_f32_e32 v122, v123, v110
	s_delay_alu instid0(VALU_DEP_3) | instskip(NEXT) | instid1(VALU_DEP_2)
	v_pk_add_f32 v[44:45], v[44:45], v[126:127] neg_lo:[0,1] neg_hi:[0,1]
	v_pk_fma_f32 v[120:121], v[120:121], v[20:21], v[122:123] op_sel_hi:[1,1,0]
	s_delay_alu instid0(VALU_DEP_1) | instskip(SKIP_4) | instid1(VALU_DEP_1)
	v_mov_b32_e32 v125, v121
	ds_load_2addr_b64 v[120:123], v114 offset0:42 offset1:43
	v_pk_add_f32 v[40:41], v[40:41], v[124:125] neg_lo:[0,1] neg_hi:[0,1]
	s_wait_dscnt 0x0
	v_pk_mul_f32 v[124:125], v[120:121], v[112:113] op_sel:[0,1]
	v_pk_fma_f32 v[126:127], v[120:121], v[110:111], v[124:125] op_sel:[0,0,1] op_sel_hi:[1,1,0] neg_lo:[0,0,1] neg_hi:[0,0,1]
	v_pk_fma_f32 v[120:121], v[120:121], v[110:111], v[124:125] op_sel:[0,0,1] op_sel_hi:[1,0,0]
	s_delay_alu instid0(VALU_DEP_1) | instskip(SKIP_1) | instid1(VALU_DEP_1)
	v_mov_b32_e32 v127, v121
	v_pk_mul_f32 v[120:121], v[122:123], v[112:113] op_sel:[0,1]
	v_pk_fma_f32 v[124:125], v[122:123], v[110:111], v[120:121] op_sel:[0,0,1] op_sel_hi:[1,1,0] neg_lo:[0,0,1] neg_hi:[0,0,1]
	v_pk_fma_f32 v[120:121], v[122:123], v[110:111], v[120:121] op_sel:[0,0,1] op_sel_hi:[1,0,0]
	s_delay_alu instid0(VALU_DEP_1)
	v_mov_b32_e32 v125, v121
	ds_load_2addr_b64 v[120:123], v114 offset0:44 offset1:45
	v_pk_add_f32 v[42:43], v[42:43], v[126:127] neg_lo:[0,1] neg_hi:[0,1]
	v_pk_add_f32 v[6:7], v[6:7], v[124:125] neg_lo:[0,1] neg_hi:[0,1]
	s_wait_dscnt 0x0
	v_pk_mul_f32 v[124:125], v[120:121], v[112:113] op_sel:[0,1]
	s_delay_alu instid0(VALU_DEP_1) | instskip(SKIP_1) | instid1(VALU_DEP_1)
	v_pk_fma_f32 v[126:127], v[120:121], v[110:111], v[124:125] op_sel:[0,0,1] op_sel_hi:[1,1,0] neg_lo:[0,0,1] neg_hi:[0,0,1]
	v_pk_fma_f32 v[120:121], v[120:121], v[110:111], v[124:125] op_sel:[0,0,1] op_sel_hi:[1,0,0]
	v_mov_b32_e32 v127, v121
	v_pk_mul_f32 v[120:121], v[122:123], v[112:113] op_sel:[0,1]
	s_delay_alu instid0(VALU_DEP_1) | instskip(SKIP_1) | instid1(VALU_DEP_1)
	v_pk_fma_f32 v[124:125], v[122:123], v[110:111], v[120:121] op_sel:[0,0,1] op_sel_hi:[1,1,0] neg_lo:[0,0,1] neg_hi:[0,0,1]
	v_pk_fma_f32 v[120:121], v[122:123], v[110:111], v[120:121] op_sel:[0,0,1] op_sel_hi:[1,0,0]
	v_mov_b32_e32 v125, v121
	ds_load_2addr_b64 v[120:123], v114 offset0:46 offset1:47
	v_pk_add_f32 v[36:37], v[36:37], v[126:127] neg_lo:[0,1] neg_hi:[0,1]
	v_pk_add_f32 v[30:31], v[30:31], v[124:125] neg_lo:[0,1] neg_hi:[0,1]
	s_wait_dscnt 0x0
	v_dual_mul_f32 v124, v121, v113 :: v_dual_mul_f32 v126, v121, v110
	s_delay_alu instid0(VALU_DEP_1) | instskip(NEXT) | instid1(VALU_DEP_2)
	v_pk_fma_f32 v[124:125], v[120:121], v[20:21], v[124:125] op_sel_hi:[1,1,0] neg_lo:[0,0,1] neg_hi:[0,0,1]
	v_pk_fma_f32 v[120:121], v[120:121], v[20:21], v[126:127] op_sel:[1,0,0] op_sel_hi:[0,1,0]
	s_delay_alu instid0(VALU_DEP_1) | instskip(SKIP_1) | instid1(VALU_DEP_2)
	v_mov_b32_e32 v125, v121
	v_pk_mul_f32 v[120:121], v[122:123], v[112:113] op_sel:[0,1]
	v_pk_add_f32 v[34:35], v[34:35], v[124:125] neg_lo:[0,1] neg_hi:[0,1]
	s_delay_alu instid0(VALU_DEP_2) | instskip(SKIP_1) | instid1(VALU_DEP_1)
	v_pk_fma_f32 v[124:125], v[122:123], v[110:111], v[120:121] op_sel:[0,0,1] op_sel_hi:[1,1,0] neg_lo:[0,0,1] neg_hi:[0,0,1]
	v_pk_fma_f32 v[120:121], v[122:123], v[110:111], v[120:121] op_sel:[0,0,1] op_sel_hi:[1,0,0]
	v_mov_b32_e32 v125, v121
	ds_load_2addr_b64 v[120:123], v114 offset0:48 offset1:49
	v_pk_add_f32 v[8:9], v[8:9], v[124:125] neg_lo:[0,1] neg_hi:[0,1]
	s_wait_dscnt 0x0
	v_pk_mul_f32 v[124:125], v[120:121], v[112:113] op_sel:[0,1]
	s_delay_alu instid0(VALU_DEP_1) | instskip(SKIP_1) | instid1(VALU_DEP_1)
	v_pk_fma_f32 v[126:127], v[120:121], v[110:111], v[124:125] op_sel:[0,0,1] op_sel_hi:[1,1,0] neg_lo:[0,0,1] neg_hi:[0,0,1]
	v_pk_fma_f32 v[120:121], v[120:121], v[110:111], v[124:125] op_sel:[0,0,1] op_sel_hi:[1,0,0]
	v_mov_b32_e32 v127, v121
	v_pk_mul_f32 v[120:121], v[122:123], v[112:113] op_sel:[0,1]
	s_delay_alu instid0(VALU_DEP_2) | instskip(NEXT) | instid1(VALU_DEP_2)
	v_pk_add_f32 v[28:29], v[28:29], v[126:127] neg_lo:[0,1] neg_hi:[0,1]
	v_pk_fma_f32 v[124:125], v[122:123], v[110:111], v[120:121] op_sel:[0,0,1] op_sel_hi:[1,1,0] neg_lo:[0,0,1] neg_hi:[0,0,1]
	v_pk_fma_f32 v[120:121], v[122:123], v[110:111], v[120:121] op_sel:[0,0,1] op_sel_hi:[1,0,0]
	s_delay_alu instid0(VALU_DEP_1)
	v_mov_b32_e32 v125, v121
	ds_load_2addr_b64 v[120:123], v114 offset0:50 offset1:51
	v_pk_add_f32 v[16:17], v[16:17], v[124:125] neg_lo:[0,1] neg_hi:[0,1]
	s_wait_dscnt 0x0
	v_pk_mul_f32 v[124:125], v[120:121], v[112:113] op_sel:[0,1]
	v_mul_f32_e32 v112, v123, v113
	s_delay_alu instid0(VALU_DEP_2) | instskip(SKIP_2) | instid1(VALU_DEP_4)
	v_pk_fma_f32 v[126:127], v[120:121], v[110:111], v[124:125] op_sel:[0,0,1] op_sel_hi:[1,1,0] neg_lo:[0,0,1] neg_hi:[0,0,1]
	v_pk_fma_f32 v[120:121], v[120:121], v[110:111], v[124:125] op_sel:[0,0,1] op_sel_hi:[1,0,0]
	v_dual_mov_b32 v120, v123 :: v_dual_mul_f32 v110, v123, v110
	v_pk_fma_f32 v[112:113], v[122:123], v[20:21], v[112:113] op_sel_hi:[1,1,0] neg_lo:[0,0,1] neg_hi:[0,0,1]
	s_delay_alu instid0(VALU_DEP_3) | instskip(NEXT) | instid1(VALU_DEP_1)
	v_dual_mov_b32 v127, v121 :: v_dual_mov_b32 v121, v122
	v_pk_add_f32 v[14:15], v[14:15], v[126:127] neg_lo:[0,1] neg_hi:[0,1]
	s_delay_alu instid0(VALU_DEP_2) | instskip(NEXT) | instid1(VALU_DEP_1)
	v_pk_fma_f32 v[110:111], v[120:121], v[20:21], v[110:111] op_sel_hi:[1,1,0]
	v_mov_b32_e32 v113, v111
	s_delay_alu instid0(VALU_DEP_1)
	v_pk_add_f32 v[108:109], v[108:109], v[112:113] neg_lo:[0,1] neg_hi:[0,1]
.LBB102_587:
	s_or_b32 exec_lo, exec_lo, s0
	v_lshl_add_u32 v110, v118, 3, v114
	s_barrier_signal -1
	s_barrier_wait -1
	ds_store_b64 v110, v[62:63]
	s_wait_dscnt 0x0
	s_barrier_signal -1
	s_barrier_wait -1
	ds_load_b64 v[112:113], v114 offset:224
	v_mov_b32_e32 v110, 28
	s_cmp_lt_i32 s18, 30
	s_cbranch_scc1 .LBB102_590
; %bb.588:
	v_add3_u32 v111, v115, 0, 0xe8
	v_mov_b32_e32 v110, 28
	s_mov_b32 s0, 29
.LBB102_589:                            ; =>This Inner Loop Header: Depth=1
	ds_load_b64 v[120:121], v111
	s_wait_dscnt 0x1
	v_cmp_gt_f32_e32 vcc_lo, 0, v112
	v_cndmask_b32_e64 v122, v112, -v112, vcc_lo
	v_cmp_gt_f32_e32 vcc_lo, 0, v113
	v_cndmask_b32_e64 v124, v113, -v113, vcc_lo
	s_wait_dscnt 0x0
	v_cmp_gt_f32_e32 vcc_lo, 0, v120
	v_cndmask_b32_e64 v123, v120, -v120, vcc_lo
	v_cmp_gt_f32_e32 vcc_lo, 0, v121
	v_cndmask_b32_e64 v125, v121, -v121, vcc_lo
	s_delay_alu instid0(VALU_DEP_1) | instskip(NEXT) | instid1(VALU_DEP_1)
	v_pk_add_f32 v[122:123], v[122:123], v[124:125]
	v_cmp_lt_f32_e32 vcc_lo, v122, v123
	v_dual_add_nc_u32 v111, 8, v111 :: v_dual_cndmask_b32 v113, v113, v121, vcc_lo
	v_cndmask_b32_e32 v112, v112, v120, vcc_lo
	v_cndmask_b32_e64 v110, v110, s0, vcc_lo
	s_add_co_i32 s0, s0, 1
	s_delay_alu instid0(SALU_CYCLE_1)
	s_cmp_lg_u32 s18, s0
	s_cbranch_scc1 .LBB102_589
.LBB102_590:
	s_wait_dscnt 0x0
	v_cmp_eq_f32_e32 vcc_lo, 0, v112
	v_cmp_eq_f32_e64 s0, 0, v113
	s_and_b32 s0, vcc_lo, s0
	s_delay_alu instid0(SALU_CYCLE_1) | instskip(NEXT) | instid1(SALU_CYCLE_1)
	s_and_saveexec_b32 s1, s0
	s_xor_b32 s0, exec_lo, s1
; %bb.591:
	v_cmp_ne_u32_e32 vcc_lo, 0, v116
	v_cndmask_b32_e32 v116, 29, v116, vcc_lo
; %bb.592:
	s_and_not1_saveexec_b32 s0, s0
	s_cbranch_execz .LBB102_598
; %bb.593:
	v_cmp_ngt_f32_e64 s1, |v112|, |v113|
	s_and_saveexec_b32 s12, s1
	s_delay_alu instid0(SALU_CYCLE_1)
	s_xor_b32 s1, exec_lo, s12
	s_cbranch_execz .LBB102_595
; %bb.594:
	v_div_scale_f32 v111, null, v113, v113, v112
	v_div_scale_f32 v121, vcc_lo, v112, v113, v112
	s_delay_alu instid0(VALU_DEP_2) | instskip(SKIP_1) | instid1(TRANS32_DEP_1)
	v_rcp_f32_e32 v119, v111
	v_nop
	v_fma_f32 v120, -v111, v119, 1.0
	s_delay_alu instid0(VALU_DEP_1) | instskip(NEXT) | instid1(VALU_DEP_1)
	v_fmac_f32_e32 v119, v120, v119
	v_mul_f32_e32 v120, v121, v119
	s_delay_alu instid0(VALU_DEP_1) | instskip(NEXT) | instid1(VALU_DEP_1)
	v_fma_f32 v122, -v111, v120, v121
	v_fmac_f32_e32 v120, v122, v119
	s_delay_alu instid0(VALU_DEP_1) | instskip(NEXT) | instid1(VALU_DEP_1)
	v_fma_f32 v111, -v111, v120, v121
	v_div_fmas_f32 v111, v111, v119, v120
	s_delay_alu instid0(VALU_DEP_1) | instskip(NEXT) | instid1(VALU_DEP_1)
	v_div_fixup_f32 v111, v111, v113, v112
	v_fmac_f32_e32 v113, v112, v111
	s_delay_alu instid0(VALU_DEP_1) | instskip(SKIP_1) | instid1(VALU_DEP_2)
	v_div_scale_f32 v112, null, v113, v113, 1.0
	v_div_scale_f32 v121, vcc_lo, 1.0, v113, 1.0
	v_rcp_f32_e32 v119, v112
	v_nop
	s_delay_alu instid0(TRANS32_DEP_1) | instskip(NEXT) | instid1(VALU_DEP_1)
	v_fma_f32 v120, -v112, v119, 1.0
	v_fmac_f32_e32 v119, v120, v119
	s_delay_alu instid0(VALU_DEP_1) | instskip(NEXT) | instid1(VALU_DEP_1)
	v_mul_f32_e32 v120, v121, v119
	v_fma_f32 v122, -v112, v120, v121
	s_delay_alu instid0(VALU_DEP_1) | instskip(NEXT) | instid1(VALU_DEP_1)
	v_fmac_f32_e32 v120, v122, v119
	v_fma_f32 v112, -v112, v120, v121
	s_delay_alu instid0(VALU_DEP_1) | instskip(NEXT) | instid1(VALU_DEP_1)
	v_div_fmas_f32 v112, v112, v119, v120
	v_div_fixup_f32 v113, v112, v113, 1.0
	s_delay_alu instid0(VALU_DEP_1)
	v_mul_f32_e32 v112, v111, v113
	v_xor_b32_e32 v113, 0x80000000, v113
.LBB102_595:
	s_and_not1_saveexec_b32 s1, s1
	s_cbranch_execz .LBB102_597
; %bb.596:
	s_delay_alu instid0(VALU_DEP_1) | instskip(SKIP_1) | instid1(VALU_DEP_2)
	v_div_scale_f32 v111, null, v112, v112, v113
	v_div_scale_f32 v121, vcc_lo, v113, v112, v113
	v_rcp_f32_e32 v119, v111
	v_nop
	s_delay_alu instid0(TRANS32_DEP_1) | instskip(NEXT) | instid1(VALU_DEP_1)
	v_fma_f32 v120, -v111, v119, 1.0
	v_fmac_f32_e32 v119, v120, v119
	s_delay_alu instid0(VALU_DEP_1) | instskip(NEXT) | instid1(VALU_DEP_1)
	v_mul_f32_e32 v120, v121, v119
	v_fma_f32 v122, -v111, v120, v121
	s_delay_alu instid0(VALU_DEP_1) | instskip(NEXT) | instid1(VALU_DEP_1)
	v_fmac_f32_e32 v120, v122, v119
	v_fma_f32 v111, -v111, v120, v121
	s_delay_alu instid0(VALU_DEP_1) | instskip(NEXT) | instid1(VALU_DEP_1)
	v_div_fmas_f32 v111, v111, v119, v120
	v_div_fixup_f32 v111, v111, v112, v113
	s_delay_alu instid0(VALU_DEP_1) | instskip(NEXT) | instid1(VALU_DEP_1)
	v_fmac_f32_e32 v112, v113, v111
	v_div_scale_f32 v113, null, v112, v112, 1.0
	s_delay_alu instid0(VALU_DEP_1) | instskip(SKIP_1) | instid1(TRANS32_DEP_1)
	v_rcp_f32_e32 v119, v113
	v_nop
	v_fma_f32 v120, -v113, v119, 1.0
	s_delay_alu instid0(VALU_DEP_1) | instskip(SKIP_1) | instid1(VALU_DEP_1)
	v_fmac_f32_e32 v119, v120, v119
	v_div_scale_f32 v120, vcc_lo, 1.0, v112, 1.0
	v_mul_f32_e32 v121, v120, v119
	s_delay_alu instid0(VALU_DEP_1) | instskip(NEXT) | instid1(VALU_DEP_1)
	v_fma_f32 v122, -v113, v121, v120
	v_fmac_f32_e32 v121, v122, v119
	s_delay_alu instid0(VALU_DEP_1) | instskip(NEXT) | instid1(VALU_DEP_1)
	v_fma_f32 v113, -v113, v121, v120
	v_div_fmas_f32 v113, v113, v119, v121
	s_delay_alu instid0(VALU_DEP_1) | instskip(NEXT) | instid1(VALU_DEP_1)
	v_div_fixup_f32 v112, v113, v112, 1.0
	v_mul_f32_e64 v113, v111, -v112
.LBB102_597:
	s_or_b32 exec_lo, exec_lo, s1
.LBB102_598:
	s_delay_alu instid0(SALU_CYCLE_1) | instskip(NEXT) | instid1(SALU_CYCLE_1)
	s_or_b32 exec_lo, exec_lo, s0
	s_mov_b32 s0, exec_lo
	v_cmpx_ne_u32_e64 v118, v110
	s_xor_b32 s0, exec_lo, s0
	s_cbranch_execz .LBB102_604
; %bb.599:
	s_mov_b32 s1, exec_lo
	v_cmpx_eq_u32_e32 28, v118
	s_cbranch_execz .LBB102_603
; %bb.600:
	v_cmp_ne_u32_e32 vcc_lo, 28, v110
	s_xor_b32 s12, s16, -1
	s_delay_alu instid0(SALU_CYCLE_1) | instskip(NEXT) | instid1(SALU_CYCLE_1)
	s_and_b32 s13, s12, vcc_lo
	s_and_saveexec_b32 s12, s13
	s_cbranch_execz .LBB102_602
; %bb.601:
	v_ashrrev_i32_e32 v111, 31, v110
	s_delay_alu instid0(VALU_DEP_1)
	v_lshl_add_u64 v[118:119], v[110:111], 2, v[4:5]
	s_clause 0x1
	global_load_b32 v111, v[118:119], off
	global_load_b32 v117, v[4:5], off offset:112
	s_wait_loadcnt 0x1
	global_store_b32 v[4:5], v111, off offset:112
	s_wait_loadcnt 0x0
	global_store_b32 v[118:119], v117, off
.LBB102_602:
	s_wait_xcnt 0x0
	s_or_b32 exec_lo, exec_lo, s12
	v_dual_mov_b32 v118, v110 :: v_dual_mov_b32 v117, v110
.LBB102_603:
	s_or_b32 exec_lo, exec_lo, s1
.LBB102_604:
	s_and_not1_saveexec_b32 s0, s0
	s_cbranch_execz .LBB102_606
; %bb.605:
	v_mov_b32_e32 v118, 28
	ds_store_2addr_b64 v114, v[58:59], v[60:61] offset0:29 offset1:30
	ds_store_2addr_b64 v114, v[18:19], v[56:57] offset0:31 offset1:32
	;; [unrolled: 1-line block ×11, first 2 shown]
	ds_store_b64 v114, v[108:109] offset:408
.LBB102_606:
	s_or_b32 exec_lo, exec_lo, s0
	s_delay_alu instid0(SALU_CYCLE_1)
	s_mov_b32 s0, exec_lo
	s_wait_storecnt_dscnt 0x0
	s_barrier_signal -1
	s_barrier_wait -1
	v_cmpx_lt_i32_e32 28, v118
	s_cbranch_execz .LBB102_608
; %bb.607:
	v_pk_mul_f32 v[120:121], v[112:113], v[62:63] op_sel:[1,1] op_sel_hi:[0,1]
	s_delay_alu instid0(VALU_DEP_1)
	v_pk_fma_f32 v[110:111], v[112:113], v[62:63], v[120:121] op_sel_hi:[1,0,1] neg_lo:[0,0,1] neg_hi:[0,0,1]
	v_pk_fma_f32 v[112:113], v[112:113], v[62:63], v[120:121] op_sel_hi:[1,0,1]
	ds_load_2addr_b64 v[120:123], v114 offset0:29 offset1:30
	v_dual_mov_b32 v62, v110 :: v_dual_mov_b32 v63, v113
	s_wait_dscnt 0x0
	v_pk_mul_f32 v[124:125], v[120:121], v[112:113] op_sel:[0,1]
	s_delay_alu instid0(VALU_DEP_1) | instskip(SKIP_1) | instid1(VALU_DEP_1)
	v_pk_fma_f32 v[126:127], v[120:121], v[110:111], v[124:125] op_sel:[0,0,1] op_sel_hi:[1,1,0] neg_lo:[0,0,1] neg_hi:[0,0,1]
	v_pk_fma_f32 v[120:121], v[120:121], v[110:111], v[124:125] op_sel:[0,0,1] op_sel_hi:[1,0,0]
	v_mov_b32_e32 v127, v121
	v_pk_mul_f32 v[120:121], v[122:123], v[112:113] op_sel:[0,1]
	s_delay_alu instid0(VALU_DEP_1) | instskip(SKIP_1) | instid1(VALU_DEP_1)
	v_pk_fma_f32 v[124:125], v[122:123], v[110:111], v[120:121] op_sel:[0,0,1] op_sel_hi:[1,1,0] neg_lo:[0,0,1] neg_hi:[0,0,1]
	v_pk_fma_f32 v[120:121], v[122:123], v[110:111], v[120:121] op_sel:[0,0,1] op_sel_hi:[1,0,0]
	v_mov_b32_e32 v125, v121
	ds_load_2addr_b64 v[120:123], v114 offset0:31 offset1:32
	v_pk_add_f32 v[58:59], v[58:59], v[126:127] neg_lo:[0,1] neg_hi:[0,1]
	v_pk_add_f32 v[60:61], v[60:61], v[124:125] neg_lo:[0,1] neg_hi:[0,1]
	s_wait_dscnt 0x0
	v_pk_mul_f32 v[124:125], v[120:121], v[112:113] op_sel:[0,1]
	s_delay_alu instid0(VALU_DEP_1) | instskip(SKIP_2) | instid1(VALU_DEP_2)
	v_pk_fma_f32 v[126:127], v[120:121], v[110:111], v[124:125] op_sel:[0,0,1] op_sel_hi:[1,1,0] neg_lo:[0,0,1] neg_hi:[0,0,1]
	v_pk_fma_f32 v[120:121], v[120:121], v[110:111], v[124:125] op_sel:[0,0,1] op_sel_hi:[1,0,0]
	v_dual_mul_f32 v124, v123, v113 :: v_dual_mov_b32 v120, v123
	v_dual_mov_b32 v127, v121 :: v_dual_mov_b32 v121, v122
	s_delay_alu instid0(VALU_DEP_2) | instskip(SKIP_1) | instid1(VALU_DEP_3)
	v_pk_fma_f32 v[124:125], v[122:123], v[62:63], v[124:125] op_sel_hi:[1,1,0] neg_lo:[0,0,1] neg_hi:[0,0,1]
	v_mul_f32_e32 v122, v123, v110
	v_pk_add_f32 v[18:19], v[18:19], v[126:127] neg_lo:[0,1] neg_hi:[0,1]
	s_delay_alu instid0(VALU_DEP_2) | instskip(NEXT) | instid1(VALU_DEP_1)
	v_pk_fma_f32 v[120:121], v[120:121], v[62:63], v[122:123] op_sel_hi:[1,1,0]
	v_mov_b32_e32 v125, v121
	ds_load_2addr_b64 v[120:123], v114 offset0:33 offset1:34
	v_pk_add_f32 v[56:57], v[56:57], v[124:125] neg_lo:[0,1] neg_hi:[0,1]
	s_wait_dscnt 0x0
	v_pk_mul_f32 v[124:125], v[120:121], v[112:113] op_sel:[0,1]
	s_delay_alu instid0(VALU_DEP_1) | instskip(SKIP_1) | instid1(VALU_DEP_1)
	v_pk_fma_f32 v[126:127], v[120:121], v[110:111], v[124:125] op_sel:[0,0,1] op_sel_hi:[1,1,0] neg_lo:[0,0,1] neg_hi:[0,0,1]
	v_pk_fma_f32 v[120:121], v[120:121], v[110:111], v[124:125] op_sel:[0,0,1] op_sel_hi:[1,0,0]
	v_mov_b32_e32 v127, v121
	v_pk_mul_f32 v[120:121], v[122:123], v[112:113] op_sel:[0,1]
	s_delay_alu instid0(VALU_DEP_1) | instskip(SKIP_1) | instid1(VALU_DEP_1)
	v_pk_fma_f32 v[124:125], v[122:123], v[110:111], v[120:121] op_sel:[0,0,1] op_sel_hi:[1,1,0] neg_lo:[0,0,1] neg_hi:[0,0,1]
	v_pk_fma_f32 v[120:121], v[122:123], v[110:111], v[120:121] op_sel:[0,0,1] op_sel_hi:[1,0,0]
	v_mov_b32_e32 v125, v121
	ds_load_2addr_b64 v[120:123], v114 offset0:35 offset1:36
	v_pk_add_f32 v[52:53], v[52:53], v[126:127] neg_lo:[0,1] neg_hi:[0,1]
	v_pk_add_f32 v[54:55], v[54:55], v[124:125] neg_lo:[0,1] neg_hi:[0,1]
	s_wait_dscnt 0x0
	v_pk_mul_f32 v[124:125], v[120:121], v[112:113] op_sel:[0,1]
	s_delay_alu instid0(VALU_DEP_1) | instskip(SKIP_1) | instid1(VALU_DEP_1)
	v_pk_fma_f32 v[126:127], v[120:121], v[110:111], v[124:125] op_sel:[0,0,1] op_sel_hi:[1,1,0] neg_lo:[0,0,1] neg_hi:[0,0,1]
	v_pk_fma_f32 v[120:121], v[120:121], v[110:111], v[124:125] op_sel:[0,0,1] op_sel_hi:[1,0,0]
	v_mov_b32_e32 v127, v121
	v_pk_mul_f32 v[120:121], v[122:123], v[112:113] op_sel:[0,1]
	s_delay_alu instid0(VALU_DEP_1) | instskip(SKIP_1) | instid1(VALU_DEP_1)
	v_pk_fma_f32 v[124:125], v[122:123], v[110:111], v[120:121] op_sel:[0,0,1] op_sel_hi:[1,1,0] neg_lo:[0,0,1] neg_hi:[0,0,1]
	v_pk_fma_f32 v[120:121], v[122:123], v[110:111], v[120:121] op_sel:[0,0,1] op_sel_hi:[1,0,0]
	v_mov_b32_e32 v125, v121
	ds_load_2addr_b64 v[120:123], v114 offset0:37 offset1:38
	v_pk_add_f32 v[12:13], v[12:13], v[126:127] neg_lo:[0,1] neg_hi:[0,1]
	v_pk_add_f32 v[50:51], v[50:51], v[124:125] neg_lo:[0,1] neg_hi:[0,1]
	s_wait_dscnt 0x0
	v_dual_mul_f32 v124, v121, v113 :: v_dual_mul_f32 v126, v121, v110
	s_delay_alu instid0(VALU_DEP_1) | instskip(NEXT) | instid1(VALU_DEP_2)
	v_pk_fma_f32 v[124:125], v[120:121], v[62:63], v[124:125] op_sel_hi:[1,1,0] neg_lo:[0,0,1] neg_hi:[0,0,1]
	v_pk_fma_f32 v[120:121], v[120:121], v[62:63], v[126:127] op_sel:[1,0,0] op_sel_hi:[0,1,0]
	s_delay_alu instid0(VALU_DEP_1) | instskip(SKIP_1) | instid1(VALU_DEP_2)
	v_mov_b32_e32 v125, v121
	v_pk_mul_f32 v[120:121], v[122:123], v[112:113] op_sel:[0,1]
	v_pk_add_f32 v[46:47], v[46:47], v[124:125] neg_lo:[0,1] neg_hi:[0,1]
	s_delay_alu instid0(VALU_DEP_2) | instskip(SKIP_1) | instid1(VALU_DEP_1)
	v_pk_fma_f32 v[124:125], v[122:123], v[110:111], v[120:121] op_sel:[0,0,1] op_sel_hi:[1,1,0] neg_lo:[0,0,1] neg_hi:[0,0,1]
	v_pk_fma_f32 v[120:121], v[122:123], v[110:111], v[120:121] op_sel:[0,0,1] op_sel_hi:[1,0,0]
	v_mov_b32_e32 v125, v121
	ds_load_2addr_b64 v[120:123], v114 offset0:39 offset1:40
	v_pk_add_f32 v[48:49], v[48:49], v[124:125] neg_lo:[0,1] neg_hi:[0,1]
	s_wait_dscnt 0x0
	v_pk_mul_f32 v[124:125], v[120:121], v[112:113] op_sel:[0,1]
	s_delay_alu instid0(VALU_DEP_1) | instskip(SKIP_1) | instid1(VALU_DEP_1)
	v_pk_fma_f32 v[126:127], v[120:121], v[110:111], v[124:125] op_sel:[0,0,1] op_sel_hi:[1,1,0] neg_lo:[0,0,1] neg_hi:[0,0,1]
	v_pk_fma_f32 v[120:121], v[120:121], v[110:111], v[124:125] op_sel:[0,0,1] op_sel_hi:[1,0,0]
	v_mov_b32_e32 v127, v121
	v_pk_mul_f32 v[120:121], v[122:123], v[112:113] op_sel:[0,1]
	s_delay_alu instid0(VALU_DEP_2) | instskip(NEXT) | instid1(VALU_DEP_2)
	v_pk_add_f32 v[10:11], v[10:11], v[126:127] neg_lo:[0,1] neg_hi:[0,1]
	v_pk_fma_f32 v[124:125], v[122:123], v[110:111], v[120:121] op_sel:[0,0,1] op_sel_hi:[1,1,0] neg_lo:[0,0,1] neg_hi:[0,0,1]
	v_pk_fma_f32 v[120:121], v[122:123], v[110:111], v[120:121] op_sel:[0,0,1] op_sel_hi:[1,0,0]
	s_delay_alu instid0(VALU_DEP_1) | instskip(SKIP_4) | instid1(VALU_DEP_1)
	v_mov_b32_e32 v125, v121
	ds_load_2addr_b64 v[120:123], v114 offset0:41 offset1:42
	v_pk_add_f32 v[44:45], v[44:45], v[124:125] neg_lo:[0,1] neg_hi:[0,1]
	s_wait_dscnt 0x0
	v_pk_mul_f32 v[124:125], v[120:121], v[112:113] op_sel:[0,1]
	v_pk_fma_f32 v[126:127], v[120:121], v[110:111], v[124:125] op_sel:[0,0,1] op_sel_hi:[1,1,0] neg_lo:[0,0,1] neg_hi:[0,0,1]
	v_pk_fma_f32 v[120:121], v[120:121], v[110:111], v[124:125] op_sel:[0,0,1] op_sel_hi:[1,0,0]
	v_dual_mul_f32 v124, v123, v113 :: v_dual_mov_b32 v120, v123
	s_delay_alu instid0(VALU_DEP_2) | instskip(NEXT) | instid1(VALU_DEP_2)
	v_dual_mov_b32 v127, v121 :: v_dual_mov_b32 v121, v122
	v_pk_fma_f32 v[124:125], v[122:123], v[62:63], v[124:125] op_sel_hi:[1,1,0] neg_lo:[0,0,1] neg_hi:[0,0,1]
	v_mul_f32_e32 v122, v123, v110
	s_delay_alu instid0(VALU_DEP_3) | instskip(NEXT) | instid1(VALU_DEP_2)
	v_pk_add_f32 v[40:41], v[40:41], v[126:127] neg_lo:[0,1] neg_hi:[0,1]
	v_pk_fma_f32 v[120:121], v[120:121], v[62:63], v[122:123] op_sel_hi:[1,1,0]
	s_delay_alu instid0(VALU_DEP_1) | instskip(SKIP_4) | instid1(VALU_DEP_1)
	v_mov_b32_e32 v125, v121
	ds_load_2addr_b64 v[120:123], v114 offset0:43 offset1:44
	v_pk_add_f32 v[42:43], v[42:43], v[124:125] neg_lo:[0,1] neg_hi:[0,1]
	s_wait_dscnt 0x0
	v_pk_mul_f32 v[124:125], v[120:121], v[112:113] op_sel:[0,1]
	v_pk_fma_f32 v[126:127], v[120:121], v[110:111], v[124:125] op_sel:[0,0,1] op_sel_hi:[1,1,0] neg_lo:[0,0,1] neg_hi:[0,0,1]
	v_pk_fma_f32 v[120:121], v[120:121], v[110:111], v[124:125] op_sel:[0,0,1] op_sel_hi:[1,0,0]
	s_delay_alu instid0(VALU_DEP_1) | instskip(SKIP_1) | instid1(VALU_DEP_1)
	v_mov_b32_e32 v127, v121
	v_pk_mul_f32 v[120:121], v[122:123], v[112:113] op_sel:[0,1]
	v_pk_fma_f32 v[124:125], v[122:123], v[110:111], v[120:121] op_sel:[0,0,1] op_sel_hi:[1,1,0] neg_lo:[0,0,1] neg_hi:[0,0,1]
	v_pk_fma_f32 v[120:121], v[122:123], v[110:111], v[120:121] op_sel:[0,0,1] op_sel_hi:[1,0,0]
	s_delay_alu instid0(VALU_DEP_1)
	v_mov_b32_e32 v125, v121
	ds_load_2addr_b64 v[120:123], v114 offset0:45 offset1:46
	v_pk_add_f32 v[6:7], v[6:7], v[126:127] neg_lo:[0,1] neg_hi:[0,1]
	v_pk_add_f32 v[36:37], v[36:37], v[124:125] neg_lo:[0,1] neg_hi:[0,1]
	s_wait_dscnt 0x0
	v_pk_mul_f32 v[124:125], v[120:121], v[112:113] op_sel:[0,1]
	s_delay_alu instid0(VALU_DEP_1) | instskip(SKIP_1) | instid1(VALU_DEP_1)
	v_pk_fma_f32 v[126:127], v[120:121], v[110:111], v[124:125] op_sel:[0,0,1] op_sel_hi:[1,1,0] neg_lo:[0,0,1] neg_hi:[0,0,1]
	v_pk_fma_f32 v[120:121], v[120:121], v[110:111], v[124:125] op_sel:[0,0,1] op_sel_hi:[1,0,0]
	v_mov_b32_e32 v127, v121
	v_pk_mul_f32 v[120:121], v[122:123], v[112:113] op_sel:[0,1]
	s_delay_alu instid0(VALU_DEP_1) | instskip(SKIP_1) | instid1(VALU_DEP_1)
	v_pk_fma_f32 v[124:125], v[122:123], v[110:111], v[120:121] op_sel:[0,0,1] op_sel_hi:[1,1,0] neg_lo:[0,0,1] neg_hi:[0,0,1]
	v_pk_fma_f32 v[120:121], v[122:123], v[110:111], v[120:121] op_sel:[0,0,1] op_sel_hi:[1,0,0]
	v_mov_b32_e32 v125, v121
	ds_load_2addr_b64 v[120:123], v114 offset0:47 offset1:48
	v_pk_add_f32 v[30:31], v[30:31], v[126:127] neg_lo:[0,1] neg_hi:[0,1]
	v_pk_add_f32 v[34:35], v[34:35], v[124:125] neg_lo:[0,1] neg_hi:[0,1]
	s_wait_dscnt 0x0
	v_dual_mul_f32 v124, v121, v113 :: v_dual_mul_f32 v126, v121, v110
	s_delay_alu instid0(VALU_DEP_1) | instskip(NEXT) | instid1(VALU_DEP_2)
	v_pk_fma_f32 v[124:125], v[120:121], v[62:63], v[124:125] op_sel_hi:[1,1,0] neg_lo:[0,0,1] neg_hi:[0,0,1]
	v_pk_fma_f32 v[120:121], v[120:121], v[62:63], v[126:127] op_sel:[1,0,0] op_sel_hi:[0,1,0]
	s_delay_alu instid0(VALU_DEP_1) | instskip(SKIP_1) | instid1(VALU_DEP_2)
	v_mov_b32_e32 v125, v121
	v_pk_mul_f32 v[120:121], v[122:123], v[112:113] op_sel:[0,1]
	v_pk_add_f32 v[8:9], v[8:9], v[124:125] neg_lo:[0,1] neg_hi:[0,1]
	s_delay_alu instid0(VALU_DEP_2) | instskip(SKIP_1) | instid1(VALU_DEP_1)
	v_pk_fma_f32 v[124:125], v[122:123], v[110:111], v[120:121] op_sel:[0,0,1] op_sel_hi:[1,1,0] neg_lo:[0,0,1] neg_hi:[0,0,1]
	v_pk_fma_f32 v[120:121], v[122:123], v[110:111], v[120:121] op_sel:[0,0,1] op_sel_hi:[1,0,0]
	v_mov_b32_e32 v125, v121
	ds_load_2addr_b64 v[120:123], v114 offset0:49 offset1:50
	v_pk_add_f32 v[28:29], v[28:29], v[124:125] neg_lo:[0,1] neg_hi:[0,1]
	s_wait_dscnt 0x0
	v_pk_mul_f32 v[124:125], v[120:121], v[112:113] op_sel:[0,1]
	s_delay_alu instid0(VALU_DEP_1) | instskip(SKIP_1) | instid1(VALU_DEP_1)
	v_pk_fma_f32 v[126:127], v[120:121], v[110:111], v[124:125] op_sel:[0,0,1] op_sel_hi:[1,1,0] neg_lo:[0,0,1] neg_hi:[0,0,1]
	v_pk_fma_f32 v[120:121], v[120:121], v[110:111], v[124:125] op_sel:[0,0,1] op_sel_hi:[1,0,0]
	v_mov_b32_e32 v127, v121
	v_pk_mul_f32 v[120:121], v[122:123], v[112:113] op_sel:[0,1]
	s_delay_alu instid0(VALU_DEP_2) | instskip(NEXT) | instid1(VALU_DEP_2)
	v_pk_add_f32 v[16:17], v[16:17], v[126:127] neg_lo:[0,1] neg_hi:[0,1]
	v_pk_fma_f32 v[124:125], v[122:123], v[110:111], v[120:121] op_sel:[0,0,1] op_sel_hi:[1,1,0] neg_lo:[0,0,1] neg_hi:[0,0,1]
	v_pk_fma_f32 v[120:121], v[122:123], v[110:111], v[120:121] op_sel:[0,0,1] op_sel_hi:[1,0,0]
	s_delay_alu instid0(VALU_DEP_1) | instskip(SKIP_4) | instid1(VALU_DEP_1)
	v_mov_b32_e32 v125, v121
	ds_load_b64 v[120:121], v114 offset:408
	v_pk_add_f32 v[14:15], v[14:15], v[124:125] neg_lo:[0,1] neg_hi:[0,1]
	s_wait_dscnt 0x0
	v_pk_mul_f32 v[112:113], v[120:121], v[112:113] op_sel:[0,1]
	v_pk_fma_f32 v[122:123], v[120:121], v[110:111], v[112:113] op_sel:[0,0,1] op_sel_hi:[1,1,0] neg_lo:[0,0,1] neg_hi:[0,0,1]
	v_pk_fma_f32 v[110:111], v[120:121], v[110:111], v[112:113] op_sel:[0,0,1] op_sel_hi:[1,0,0]
	s_delay_alu instid0(VALU_DEP_1) | instskip(NEXT) | instid1(VALU_DEP_1)
	v_mov_b32_e32 v123, v111
	v_pk_add_f32 v[108:109], v[108:109], v[122:123] neg_lo:[0,1] neg_hi:[0,1]
.LBB102_608:
	s_or_b32 exec_lo, exec_lo, s0
	v_lshl_add_u32 v110, v118, 3, v114
	s_barrier_signal -1
	s_barrier_wait -1
	ds_store_b64 v110, v[58:59]
	s_wait_dscnt 0x0
	s_barrier_signal -1
	s_barrier_wait -1
	ds_load_b64 v[112:113], v114 offset:232
	v_mov_b32_e32 v110, 29
	s_cmp_lt_i32 s18, 31
	s_cbranch_scc1 .LBB102_611
; %bb.609:
	v_add3_u32 v111, v115, 0, 0xf0
	v_mov_b32_e32 v110, 29
	s_mov_b32 s0, 30
.LBB102_610:                            ; =>This Inner Loop Header: Depth=1
	ds_load_b64 v[120:121], v111
	s_wait_dscnt 0x1
	v_cmp_gt_f32_e32 vcc_lo, 0, v112
	v_cndmask_b32_e64 v122, v112, -v112, vcc_lo
	v_cmp_gt_f32_e32 vcc_lo, 0, v113
	v_cndmask_b32_e64 v124, v113, -v113, vcc_lo
	s_wait_dscnt 0x0
	v_cmp_gt_f32_e32 vcc_lo, 0, v120
	v_cndmask_b32_e64 v123, v120, -v120, vcc_lo
	v_cmp_gt_f32_e32 vcc_lo, 0, v121
	v_cndmask_b32_e64 v125, v121, -v121, vcc_lo
	s_delay_alu instid0(VALU_DEP_1) | instskip(NEXT) | instid1(VALU_DEP_1)
	v_pk_add_f32 v[122:123], v[122:123], v[124:125]
	v_cmp_lt_f32_e32 vcc_lo, v122, v123
	v_dual_add_nc_u32 v111, 8, v111 :: v_dual_cndmask_b32 v113, v113, v121, vcc_lo
	v_cndmask_b32_e32 v112, v112, v120, vcc_lo
	v_cndmask_b32_e64 v110, v110, s0, vcc_lo
	s_add_co_i32 s0, s0, 1
	s_delay_alu instid0(SALU_CYCLE_1)
	s_cmp_lg_u32 s18, s0
	s_cbranch_scc1 .LBB102_610
.LBB102_611:
	s_wait_dscnt 0x0
	v_cmp_eq_f32_e32 vcc_lo, 0, v112
	v_cmp_eq_f32_e64 s0, 0, v113
	s_and_b32 s0, vcc_lo, s0
	s_delay_alu instid0(SALU_CYCLE_1) | instskip(NEXT) | instid1(SALU_CYCLE_1)
	s_and_saveexec_b32 s1, s0
	s_xor_b32 s0, exec_lo, s1
; %bb.612:
	v_cmp_ne_u32_e32 vcc_lo, 0, v116
	v_cndmask_b32_e32 v116, 30, v116, vcc_lo
; %bb.613:
	s_and_not1_saveexec_b32 s0, s0
	s_cbranch_execz .LBB102_619
; %bb.614:
	v_cmp_ngt_f32_e64 s1, |v112|, |v113|
	s_and_saveexec_b32 s12, s1
	s_delay_alu instid0(SALU_CYCLE_1)
	s_xor_b32 s1, exec_lo, s12
	s_cbranch_execz .LBB102_616
; %bb.615:
	v_div_scale_f32 v111, null, v113, v113, v112
	v_div_scale_f32 v121, vcc_lo, v112, v113, v112
	s_delay_alu instid0(VALU_DEP_2) | instskip(SKIP_1) | instid1(TRANS32_DEP_1)
	v_rcp_f32_e32 v119, v111
	v_nop
	v_fma_f32 v120, -v111, v119, 1.0
	s_delay_alu instid0(VALU_DEP_1) | instskip(NEXT) | instid1(VALU_DEP_1)
	v_fmac_f32_e32 v119, v120, v119
	v_mul_f32_e32 v120, v121, v119
	s_delay_alu instid0(VALU_DEP_1) | instskip(NEXT) | instid1(VALU_DEP_1)
	v_fma_f32 v122, -v111, v120, v121
	v_fmac_f32_e32 v120, v122, v119
	s_delay_alu instid0(VALU_DEP_1) | instskip(NEXT) | instid1(VALU_DEP_1)
	v_fma_f32 v111, -v111, v120, v121
	v_div_fmas_f32 v111, v111, v119, v120
	s_delay_alu instid0(VALU_DEP_1) | instskip(NEXT) | instid1(VALU_DEP_1)
	v_div_fixup_f32 v111, v111, v113, v112
	v_fmac_f32_e32 v113, v112, v111
	s_delay_alu instid0(VALU_DEP_1) | instskip(SKIP_1) | instid1(VALU_DEP_2)
	v_div_scale_f32 v112, null, v113, v113, 1.0
	v_div_scale_f32 v121, vcc_lo, 1.0, v113, 1.0
	v_rcp_f32_e32 v119, v112
	v_nop
	s_delay_alu instid0(TRANS32_DEP_1) | instskip(NEXT) | instid1(VALU_DEP_1)
	v_fma_f32 v120, -v112, v119, 1.0
	v_fmac_f32_e32 v119, v120, v119
	s_delay_alu instid0(VALU_DEP_1) | instskip(NEXT) | instid1(VALU_DEP_1)
	v_mul_f32_e32 v120, v121, v119
	v_fma_f32 v122, -v112, v120, v121
	s_delay_alu instid0(VALU_DEP_1) | instskip(NEXT) | instid1(VALU_DEP_1)
	v_fmac_f32_e32 v120, v122, v119
	v_fma_f32 v112, -v112, v120, v121
	s_delay_alu instid0(VALU_DEP_1) | instskip(NEXT) | instid1(VALU_DEP_1)
	v_div_fmas_f32 v112, v112, v119, v120
	v_div_fixup_f32 v113, v112, v113, 1.0
	s_delay_alu instid0(VALU_DEP_1)
	v_mul_f32_e32 v112, v111, v113
	v_xor_b32_e32 v113, 0x80000000, v113
.LBB102_616:
	s_and_not1_saveexec_b32 s1, s1
	s_cbranch_execz .LBB102_618
; %bb.617:
	s_delay_alu instid0(VALU_DEP_1) | instskip(SKIP_1) | instid1(VALU_DEP_2)
	v_div_scale_f32 v111, null, v112, v112, v113
	v_div_scale_f32 v121, vcc_lo, v113, v112, v113
	v_rcp_f32_e32 v119, v111
	v_nop
	s_delay_alu instid0(TRANS32_DEP_1) | instskip(NEXT) | instid1(VALU_DEP_1)
	v_fma_f32 v120, -v111, v119, 1.0
	v_fmac_f32_e32 v119, v120, v119
	s_delay_alu instid0(VALU_DEP_1) | instskip(NEXT) | instid1(VALU_DEP_1)
	v_mul_f32_e32 v120, v121, v119
	v_fma_f32 v122, -v111, v120, v121
	s_delay_alu instid0(VALU_DEP_1) | instskip(NEXT) | instid1(VALU_DEP_1)
	v_fmac_f32_e32 v120, v122, v119
	v_fma_f32 v111, -v111, v120, v121
	s_delay_alu instid0(VALU_DEP_1) | instskip(NEXT) | instid1(VALU_DEP_1)
	v_div_fmas_f32 v111, v111, v119, v120
	v_div_fixup_f32 v111, v111, v112, v113
	s_delay_alu instid0(VALU_DEP_1) | instskip(NEXT) | instid1(VALU_DEP_1)
	v_fmac_f32_e32 v112, v113, v111
	v_div_scale_f32 v113, null, v112, v112, 1.0
	s_delay_alu instid0(VALU_DEP_1) | instskip(SKIP_1) | instid1(TRANS32_DEP_1)
	v_rcp_f32_e32 v119, v113
	v_nop
	v_fma_f32 v120, -v113, v119, 1.0
	s_delay_alu instid0(VALU_DEP_1) | instskip(SKIP_1) | instid1(VALU_DEP_1)
	v_fmac_f32_e32 v119, v120, v119
	v_div_scale_f32 v120, vcc_lo, 1.0, v112, 1.0
	v_mul_f32_e32 v121, v120, v119
	s_delay_alu instid0(VALU_DEP_1) | instskip(NEXT) | instid1(VALU_DEP_1)
	v_fma_f32 v122, -v113, v121, v120
	v_fmac_f32_e32 v121, v122, v119
	s_delay_alu instid0(VALU_DEP_1) | instskip(NEXT) | instid1(VALU_DEP_1)
	v_fma_f32 v113, -v113, v121, v120
	v_div_fmas_f32 v113, v113, v119, v121
	s_delay_alu instid0(VALU_DEP_1) | instskip(NEXT) | instid1(VALU_DEP_1)
	v_div_fixup_f32 v112, v113, v112, 1.0
	v_mul_f32_e64 v113, v111, -v112
.LBB102_618:
	s_or_b32 exec_lo, exec_lo, s1
.LBB102_619:
	s_delay_alu instid0(SALU_CYCLE_1) | instskip(NEXT) | instid1(SALU_CYCLE_1)
	s_or_b32 exec_lo, exec_lo, s0
	s_mov_b32 s0, exec_lo
	v_cmpx_ne_u32_e64 v118, v110
	s_xor_b32 s0, exec_lo, s0
	s_cbranch_execz .LBB102_625
; %bb.620:
	s_mov_b32 s1, exec_lo
	v_cmpx_eq_u32_e32 29, v118
	s_cbranch_execz .LBB102_624
; %bb.621:
	v_cmp_ne_u32_e32 vcc_lo, 29, v110
	s_xor_b32 s12, s16, -1
	s_delay_alu instid0(SALU_CYCLE_1) | instskip(NEXT) | instid1(SALU_CYCLE_1)
	s_and_b32 s13, s12, vcc_lo
	s_and_saveexec_b32 s12, s13
	s_cbranch_execz .LBB102_623
; %bb.622:
	v_ashrrev_i32_e32 v111, 31, v110
	s_delay_alu instid0(VALU_DEP_1)
	v_lshl_add_u64 v[118:119], v[110:111], 2, v[4:5]
	s_clause 0x1
	global_load_b32 v111, v[118:119], off
	global_load_b32 v117, v[4:5], off offset:116
	s_wait_loadcnt 0x1
	global_store_b32 v[4:5], v111, off offset:116
	s_wait_loadcnt 0x0
	global_store_b32 v[118:119], v117, off
.LBB102_623:
	s_wait_xcnt 0x0
	s_or_b32 exec_lo, exec_lo, s12
	v_dual_mov_b32 v118, v110 :: v_dual_mov_b32 v117, v110
.LBB102_624:
	s_or_b32 exec_lo, exec_lo, s1
.LBB102_625:
	s_and_not1_saveexec_b32 s0, s0
	s_cbranch_execz .LBB102_627
; %bb.626:
	v_dual_mov_b32 v110, v60 :: v_dual_mov_b32 v111, v61
	v_dual_mov_b32 v118, v18 :: v_dual_mov_b32 v119, v19
	;; [unrolled: 1-line block ×12, first 2 shown]
	ds_store_2addr_b64 v114, v[110:111], v[118:119] offset0:30 offset1:31
	ds_store_2addr_b64 v114, v[120:121], v[122:123] offset0:32 offset1:33
	;; [unrolled: 1-line block ×6, first 2 shown]
	v_dual_mov_b32 v110, v42 :: v_dual_mov_b32 v111, v43
	v_dual_mov_b32 v120, v6 :: v_dual_mov_b32 v121, v7
	;; [unrolled: 1-line block ×9, first 2 shown]
	v_mov_b32_e32 v135, v15
	ds_store_2addr_b64 v114, v[110:111], v[120:121] offset0:42 offset1:43
	ds_store_2addr_b64 v114, v[122:123], v[124:125] offset0:44 offset1:45
	;; [unrolled: 1-line block ×5, first 2 shown]
.LBB102_627:
	s_or_b32 exec_lo, exec_lo, s0
	s_delay_alu instid0(SALU_CYCLE_1)
	s_mov_b32 s0, exec_lo
	s_wait_storecnt_dscnt 0x0
	s_barrier_signal -1
	s_barrier_wait -1
	v_cmpx_lt_i32_e32 29, v118
	s_cbranch_execz .LBB102_629
; %bb.628:
	v_pk_mul_f32 v[120:121], v[112:113], v[58:59] op_sel:[1,1] op_sel_hi:[0,1]
	s_delay_alu instid0(VALU_DEP_1)
	v_pk_fma_f32 v[110:111], v[112:113], v[58:59], v[120:121] op_sel_hi:[1,0,1] neg_lo:[0,0,1] neg_hi:[0,0,1]
	v_pk_fma_f32 v[112:113], v[112:113], v[58:59], v[120:121] op_sel_hi:[1,0,1]
	ds_load_2addr_b64 v[120:123], v114 offset0:30 offset1:31
	v_dual_mov_b32 v58, v110 :: v_dual_mov_b32 v59, v113
	s_wait_dscnt 0x0
	v_pk_mul_f32 v[124:125], v[120:121], v[112:113] op_sel:[0,1]
	s_delay_alu instid0(VALU_DEP_1) | instskip(SKIP_1) | instid1(VALU_DEP_1)
	v_pk_fma_f32 v[126:127], v[120:121], v[110:111], v[124:125] op_sel:[0,0,1] op_sel_hi:[1,1,0] neg_lo:[0,0,1] neg_hi:[0,0,1]
	v_pk_fma_f32 v[120:121], v[120:121], v[110:111], v[124:125] op_sel:[0,0,1] op_sel_hi:[1,0,0]
	v_mov_b32_e32 v127, v121
	v_pk_mul_f32 v[120:121], v[122:123], v[112:113] op_sel:[0,1]
	s_delay_alu instid0(VALU_DEP_1) | instskip(SKIP_1) | instid1(VALU_DEP_1)
	v_pk_fma_f32 v[124:125], v[122:123], v[110:111], v[120:121] op_sel:[0,0,1] op_sel_hi:[1,1,0] neg_lo:[0,0,1] neg_hi:[0,0,1]
	v_pk_fma_f32 v[120:121], v[122:123], v[110:111], v[120:121] op_sel:[0,0,1] op_sel_hi:[1,0,0]
	v_mov_b32_e32 v125, v121
	ds_load_2addr_b64 v[120:123], v114 offset0:32 offset1:33
	v_pk_add_f32 v[60:61], v[60:61], v[126:127] neg_lo:[0,1] neg_hi:[0,1]
	v_pk_add_f32 v[18:19], v[18:19], v[124:125] neg_lo:[0,1] neg_hi:[0,1]
	s_wait_dscnt 0x0
	v_pk_mul_f32 v[124:125], v[120:121], v[112:113] op_sel:[0,1]
	s_delay_alu instid0(VALU_DEP_1) | instskip(SKIP_2) | instid1(VALU_DEP_2)
	v_pk_fma_f32 v[126:127], v[120:121], v[110:111], v[124:125] op_sel:[0,0,1] op_sel_hi:[1,1,0] neg_lo:[0,0,1] neg_hi:[0,0,1]
	v_pk_fma_f32 v[120:121], v[120:121], v[110:111], v[124:125] op_sel:[0,0,1] op_sel_hi:[1,0,0]
	v_dual_mul_f32 v124, v123, v113 :: v_dual_mov_b32 v120, v123
	v_dual_mov_b32 v127, v121 :: v_dual_mov_b32 v121, v122
	s_delay_alu instid0(VALU_DEP_2) | instskip(SKIP_1) | instid1(VALU_DEP_3)
	v_pk_fma_f32 v[124:125], v[122:123], v[58:59], v[124:125] op_sel_hi:[1,1,0] neg_lo:[0,0,1] neg_hi:[0,0,1]
	v_mul_f32_e32 v122, v123, v110
	v_pk_add_f32 v[56:57], v[56:57], v[126:127] neg_lo:[0,1] neg_hi:[0,1]
	s_delay_alu instid0(VALU_DEP_2) | instskip(NEXT) | instid1(VALU_DEP_1)
	v_pk_fma_f32 v[120:121], v[120:121], v[58:59], v[122:123] op_sel_hi:[1,1,0]
	v_mov_b32_e32 v125, v121
	ds_load_2addr_b64 v[120:123], v114 offset0:34 offset1:35
	v_pk_add_f32 v[52:53], v[52:53], v[124:125] neg_lo:[0,1] neg_hi:[0,1]
	s_wait_dscnt 0x0
	v_pk_mul_f32 v[124:125], v[120:121], v[112:113] op_sel:[0,1]
	s_delay_alu instid0(VALU_DEP_1) | instskip(SKIP_1) | instid1(VALU_DEP_1)
	v_pk_fma_f32 v[126:127], v[120:121], v[110:111], v[124:125] op_sel:[0,0,1] op_sel_hi:[1,1,0] neg_lo:[0,0,1] neg_hi:[0,0,1]
	v_pk_fma_f32 v[120:121], v[120:121], v[110:111], v[124:125] op_sel:[0,0,1] op_sel_hi:[1,0,0]
	v_mov_b32_e32 v127, v121
	v_pk_mul_f32 v[120:121], v[122:123], v[112:113] op_sel:[0,1]
	s_delay_alu instid0(VALU_DEP_1) | instskip(SKIP_1) | instid1(VALU_DEP_1)
	v_pk_fma_f32 v[124:125], v[122:123], v[110:111], v[120:121] op_sel:[0,0,1] op_sel_hi:[1,1,0] neg_lo:[0,0,1] neg_hi:[0,0,1]
	v_pk_fma_f32 v[120:121], v[122:123], v[110:111], v[120:121] op_sel:[0,0,1] op_sel_hi:[1,0,0]
	v_mov_b32_e32 v125, v121
	ds_load_2addr_b64 v[120:123], v114 offset0:36 offset1:37
	v_pk_add_f32 v[54:55], v[54:55], v[126:127] neg_lo:[0,1] neg_hi:[0,1]
	v_pk_add_f32 v[12:13], v[12:13], v[124:125] neg_lo:[0,1] neg_hi:[0,1]
	s_wait_dscnt 0x0
	v_pk_mul_f32 v[124:125], v[120:121], v[112:113] op_sel:[0,1]
	s_delay_alu instid0(VALU_DEP_1) | instskip(SKIP_1) | instid1(VALU_DEP_1)
	v_pk_fma_f32 v[126:127], v[120:121], v[110:111], v[124:125] op_sel:[0,0,1] op_sel_hi:[1,1,0] neg_lo:[0,0,1] neg_hi:[0,0,1]
	v_pk_fma_f32 v[120:121], v[120:121], v[110:111], v[124:125] op_sel:[0,0,1] op_sel_hi:[1,0,0]
	v_mov_b32_e32 v127, v121
	v_pk_mul_f32 v[120:121], v[122:123], v[112:113] op_sel:[0,1]
	s_delay_alu instid0(VALU_DEP_1) | instskip(SKIP_1) | instid1(VALU_DEP_1)
	v_pk_fma_f32 v[124:125], v[122:123], v[110:111], v[120:121] op_sel:[0,0,1] op_sel_hi:[1,1,0] neg_lo:[0,0,1] neg_hi:[0,0,1]
	v_pk_fma_f32 v[120:121], v[122:123], v[110:111], v[120:121] op_sel:[0,0,1] op_sel_hi:[1,0,0]
	v_mov_b32_e32 v125, v121
	ds_load_2addr_b64 v[120:123], v114 offset0:38 offset1:39
	v_pk_add_f32 v[50:51], v[50:51], v[126:127] neg_lo:[0,1] neg_hi:[0,1]
	v_pk_add_f32 v[46:47], v[46:47], v[124:125] neg_lo:[0,1] neg_hi:[0,1]
	s_wait_dscnt 0x0
	v_dual_mul_f32 v124, v121, v113 :: v_dual_mul_f32 v126, v121, v110
	s_delay_alu instid0(VALU_DEP_1) | instskip(NEXT) | instid1(VALU_DEP_2)
	v_pk_fma_f32 v[124:125], v[120:121], v[58:59], v[124:125] op_sel_hi:[1,1,0] neg_lo:[0,0,1] neg_hi:[0,0,1]
	v_pk_fma_f32 v[120:121], v[120:121], v[58:59], v[126:127] op_sel:[1,0,0] op_sel_hi:[0,1,0]
	s_delay_alu instid0(VALU_DEP_1) | instskip(SKIP_1) | instid1(VALU_DEP_2)
	v_mov_b32_e32 v125, v121
	v_pk_mul_f32 v[120:121], v[122:123], v[112:113] op_sel:[0,1]
	v_pk_add_f32 v[48:49], v[48:49], v[124:125] neg_lo:[0,1] neg_hi:[0,1]
	s_delay_alu instid0(VALU_DEP_2) | instskip(SKIP_1) | instid1(VALU_DEP_1)
	v_pk_fma_f32 v[124:125], v[122:123], v[110:111], v[120:121] op_sel:[0,0,1] op_sel_hi:[1,1,0] neg_lo:[0,0,1] neg_hi:[0,0,1]
	v_pk_fma_f32 v[120:121], v[122:123], v[110:111], v[120:121] op_sel:[0,0,1] op_sel_hi:[1,0,0]
	v_mov_b32_e32 v125, v121
	ds_load_2addr_b64 v[120:123], v114 offset0:40 offset1:41
	v_pk_add_f32 v[10:11], v[10:11], v[124:125] neg_lo:[0,1] neg_hi:[0,1]
	s_wait_dscnt 0x0
	v_pk_mul_f32 v[124:125], v[120:121], v[112:113] op_sel:[0,1]
	s_delay_alu instid0(VALU_DEP_1) | instskip(SKIP_1) | instid1(VALU_DEP_1)
	v_pk_fma_f32 v[126:127], v[120:121], v[110:111], v[124:125] op_sel:[0,0,1] op_sel_hi:[1,1,0] neg_lo:[0,0,1] neg_hi:[0,0,1]
	v_pk_fma_f32 v[120:121], v[120:121], v[110:111], v[124:125] op_sel:[0,0,1] op_sel_hi:[1,0,0]
	v_mov_b32_e32 v127, v121
	v_pk_mul_f32 v[120:121], v[122:123], v[112:113] op_sel:[0,1]
	s_delay_alu instid0(VALU_DEP_2) | instskip(NEXT) | instid1(VALU_DEP_2)
	v_pk_add_f32 v[44:45], v[44:45], v[126:127] neg_lo:[0,1] neg_hi:[0,1]
	v_pk_fma_f32 v[124:125], v[122:123], v[110:111], v[120:121] op_sel:[0,0,1] op_sel_hi:[1,1,0] neg_lo:[0,0,1] neg_hi:[0,0,1]
	v_pk_fma_f32 v[120:121], v[122:123], v[110:111], v[120:121] op_sel:[0,0,1] op_sel_hi:[1,0,0]
	s_delay_alu instid0(VALU_DEP_1) | instskip(SKIP_4) | instid1(VALU_DEP_1)
	v_mov_b32_e32 v125, v121
	ds_load_2addr_b64 v[120:123], v114 offset0:42 offset1:43
	v_pk_add_f32 v[40:41], v[40:41], v[124:125] neg_lo:[0,1] neg_hi:[0,1]
	s_wait_dscnt 0x0
	v_pk_mul_f32 v[124:125], v[120:121], v[112:113] op_sel:[0,1]
	v_pk_fma_f32 v[126:127], v[120:121], v[110:111], v[124:125] op_sel:[0,0,1] op_sel_hi:[1,1,0] neg_lo:[0,0,1] neg_hi:[0,0,1]
	v_pk_fma_f32 v[120:121], v[120:121], v[110:111], v[124:125] op_sel:[0,0,1] op_sel_hi:[1,0,0]
	v_dual_mul_f32 v124, v123, v113 :: v_dual_mov_b32 v120, v123
	s_delay_alu instid0(VALU_DEP_2) | instskip(NEXT) | instid1(VALU_DEP_2)
	v_dual_mov_b32 v127, v121 :: v_dual_mov_b32 v121, v122
	v_pk_fma_f32 v[124:125], v[122:123], v[58:59], v[124:125] op_sel_hi:[1,1,0] neg_lo:[0,0,1] neg_hi:[0,0,1]
	v_mul_f32_e32 v122, v123, v110
	s_delay_alu instid0(VALU_DEP_3) | instskip(NEXT) | instid1(VALU_DEP_2)
	v_pk_add_f32 v[42:43], v[42:43], v[126:127] neg_lo:[0,1] neg_hi:[0,1]
	v_pk_fma_f32 v[120:121], v[120:121], v[58:59], v[122:123] op_sel_hi:[1,1,0]
	s_delay_alu instid0(VALU_DEP_1) | instskip(SKIP_4) | instid1(VALU_DEP_1)
	v_mov_b32_e32 v125, v121
	ds_load_2addr_b64 v[120:123], v114 offset0:44 offset1:45
	v_pk_add_f32 v[6:7], v[6:7], v[124:125] neg_lo:[0,1] neg_hi:[0,1]
	s_wait_dscnt 0x0
	v_pk_mul_f32 v[124:125], v[120:121], v[112:113] op_sel:[0,1]
	v_pk_fma_f32 v[126:127], v[120:121], v[110:111], v[124:125] op_sel:[0,0,1] op_sel_hi:[1,1,0] neg_lo:[0,0,1] neg_hi:[0,0,1]
	v_pk_fma_f32 v[120:121], v[120:121], v[110:111], v[124:125] op_sel:[0,0,1] op_sel_hi:[1,0,0]
	s_delay_alu instid0(VALU_DEP_1) | instskip(SKIP_1) | instid1(VALU_DEP_1)
	v_mov_b32_e32 v127, v121
	v_pk_mul_f32 v[120:121], v[122:123], v[112:113] op_sel:[0,1]
	v_pk_fma_f32 v[124:125], v[122:123], v[110:111], v[120:121] op_sel:[0,0,1] op_sel_hi:[1,1,0] neg_lo:[0,0,1] neg_hi:[0,0,1]
	v_pk_fma_f32 v[120:121], v[122:123], v[110:111], v[120:121] op_sel:[0,0,1] op_sel_hi:[1,0,0]
	s_delay_alu instid0(VALU_DEP_1)
	v_mov_b32_e32 v125, v121
	ds_load_2addr_b64 v[120:123], v114 offset0:46 offset1:47
	v_pk_add_f32 v[36:37], v[36:37], v[126:127] neg_lo:[0,1] neg_hi:[0,1]
	v_pk_add_f32 v[30:31], v[30:31], v[124:125] neg_lo:[0,1] neg_hi:[0,1]
	s_wait_dscnt 0x0
	v_pk_mul_f32 v[124:125], v[120:121], v[112:113] op_sel:[0,1]
	s_delay_alu instid0(VALU_DEP_1) | instskip(SKIP_1) | instid1(VALU_DEP_1)
	v_pk_fma_f32 v[126:127], v[120:121], v[110:111], v[124:125] op_sel:[0,0,1] op_sel_hi:[1,1,0] neg_lo:[0,0,1] neg_hi:[0,0,1]
	v_pk_fma_f32 v[120:121], v[120:121], v[110:111], v[124:125] op_sel:[0,0,1] op_sel_hi:[1,0,0]
	v_mov_b32_e32 v127, v121
	v_pk_mul_f32 v[120:121], v[122:123], v[112:113] op_sel:[0,1]
	s_delay_alu instid0(VALU_DEP_1) | instskip(SKIP_1) | instid1(VALU_DEP_1)
	v_pk_fma_f32 v[124:125], v[122:123], v[110:111], v[120:121] op_sel:[0,0,1] op_sel_hi:[1,1,0] neg_lo:[0,0,1] neg_hi:[0,0,1]
	v_pk_fma_f32 v[120:121], v[122:123], v[110:111], v[120:121] op_sel:[0,0,1] op_sel_hi:[1,0,0]
	v_mov_b32_e32 v125, v121
	ds_load_2addr_b64 v[120:123], v114 offset0:48 offset1:49
	v_pk_add_f32 v[34:35], v[34:35], v[126:127] neg_lo:[0,1] neg_hi:[0,1]
	v_pk_add_f32 v[8:9], v[8:9], v[124:125] neg_lo:[0,1] neg_hi:[0,1]
	s_wait_dscnt 0x0
	v_dual_mul_f32 v124, v121, v113 :: v_dual_mul_f32 v126, v121, v110
	s_delay_alu instid0(VALU_DEP_1) | instskip(NEXT) | instid1(VALU_DEP_2)
	v_pk_fma_f32 v[124:125], v[120:121], v[58:59], v[124:125] op_sel_hi:[1,1,0] neg_lo:[0,0,1] neg_hi:[0,0,1]
	v_pk_fma_f32 v[120:121], v[120:121], v[58:59], v[126:127] op_sel:[1,0,0] op_sel_hi:[0,1,0]
	s_delay_alu instid0(VALU_DEP_1) | instskip(SKIP_1) | instid1(VALU_DEP_2)
	v_mov_b32_e32 v125, v121
	v_pk_mul_f32 v[120:121], v[122:123], v[112:113] op_sel:[0,1]
	v_pk_add_f32 v[28:29], v[28:29], v[124:125] neg_lo:[0,1] neg_hi:[0,1]
	s_delay_alu instid0(VALU_DEP_2) | instskip(SKIP_1) | instid1(VALU_DEP_1)
	v_pk_fma_f32 v[124:125], v[122:123], v[110:111], v[120:121] op_sel:[0,0,1] op_sel_hi:[1,1,0] neg_lo:[0,0,1] neg_hi:[0,0,1]
	v_pk_fma_f32 v[120:121], v[122:123], v[110:111], v[120:121] op_sel:[0,0,1] op_sel_hi:[1,0,0]
	v_mov_b32_e32 v125, v121
	ds_load_2addr_b64 v[120:123], v114 offset0:50 offset1:51
	v_pk_add_f32 v[16:17], v[16:17], v[124:125] neg_lo:[0,1] neg_hi:[0,1]
	s_wait_dscnt 0x0
	v_pk_mul_f32 v[124:125], v[120:121], v[112:113] op_sel:[0,1]
	v_pk_mul_f32 v[112:113], v[122:123], v[112:113] op_sel:[0,1]
	s_delay_alu instid0(VALU_DEP_2) | instskip(SKIP_1) | instid1(VALU_DEP_1)
	v_pk_fma_f32 v[126:127], v[120:121], v[110:111], v[124:125] op_sel:[0,0,1] op_sel_hi:[1,1,0] neg_lo:[0,0,1] neg_hi:[0,0,1]
	v_pk_fma_f32 v[120:121], v[120:121], v[110:111], v[124:125] op_sel:[0,0,1] op_sel_hi:[1,0,0]
	v_mov_b32_e32 v127, v121
	s_delay_alu instid0(VALU_DEP_4) | instskip(SKIP_1) | instid1(VALU_DEP_3)
	v_pk_fma_f32 v[120:121], v[122:123], v[110:111], v[112:113] op_sel:[0,0,1] op_sel_hi:[1,1,0] neg_lo:[0,0,1] neg_hi:[0,0,1]
	v_pk_fma_f32 v[110:111], v[122:123], v[110:111], v[112:113] op_sel:[0,0,1] op_sel_hi:[1,0,0]
	v_pk_add_f32 v[14:15], v[14:15], v[126:127] neg_lo:[0,1] neg_hi:[0,1]
	s_delay_alu instid0(VALU_DEP_2) | instskip(NEXT) | instid1(VALU_DEP_1)
	v_mov_b32_e32 v121, v111
	v_pk_add_f32 v[108:109], v[108:109], v[120:121] neg_lo:[0,1] neg_hi:[0,1]
.LBB102_629:
	s_or_b32 exec_lo, exec_lo, s0
	v_lshl_add_u32 v110, v118, 3, v114
	s_barrier_signal -1
	s_barrier_wait -1
	ds_store_b64 v110, v[60:61]
	s_wait_dscnt 0x0
	s_barrier_signal -1
	s_barrier_wait -1
	ds_load_b64 v[112:113], v114 offset:240
	v_mov_b32_e32 v110, 30
	s_cmp_lt_i32 s18, 32
	s_cbranch_scc1 .LBB102_632
; %bb.630:
	v_add3_u32 v111, v115, 0, 0xf8
	v_mov_b32_e32 v110, 30
	s_mov_b32 s0, 31
.LBB102_631:                            ; =>This Inner Loop Header: Depth=1
	ds_load_b64 v[120:121], v111
	s_wait_dscnt 0x1
	v_cmp_gt_f32_e32 vcc_lo, 0, v112
	v_cndmask_b32_e64 v122, v112, -v112, vcc_lo
	v_cmp_gt_f32_e32 vcc_lo, 0, v113
	v_cndmask_b32_e64 v124, v113, -v113, vcc_lo
	s_wait_dscnt 0x0
	v_cmp_gt_f32_e32 vcc_lo, 0, v120
	v_cndmask_b32_e64 v123, v120, -v120, vcc_lo
	v_cmp_gt_f32_e32 vcc_lo, 0, v121
	v_cndmask_b32_e64 v125, v121, -v121, vcc_lo
	s_delay_alu instid0(VALU_DEP_1) | instskip(NEXT) | instid1(VALU_DEP_1)
	v_pk_add_f32 v[122:123], v[122:123], v[124:125]
	v_cmp_lt_f32_e32 vcc_lo, v122, v123
	v_dual_add_nc_u32 v111, 8, v111 :: v_dual_cndmask_b32 v113, v113, v121, vcc_lo
	v_cndmask_b32_e32 v112, v112, v120, vcc_lo
	v_cndmask_b32_e64 v110, v110, s0, vcc_lo
	s_add_co_i32 s0, s0, 1
	s_delay_alu instid0(SALU_CYCLE_1)
	s_cmp_lg_u32 s18, s0
	s_cbranch_scc1 .LBB102_631
.LBB102_632:
	s_wait_dscnt 0x0
	v_cmp_eq_f32_e32 vcc_lo, 0, v112
	v_cmp_eq_f32_e64 s0, 0, v113
	s_and_b32 s0, vcc_lo, s0
	s_delay_alu instid0(SALU_CYCLE_1) | instskip(NEXT) | instid1(SALU_CYCLE_1)
	s_and_saveexec_b32 s1, s0
	s_xor_b32 s0, exec_lo, s1
; %bb.633:
	v_cmp_ne_u32_e32 vcc_lo, 0, v116
	v_cndmask_b32_e32 v116, 31, v116, vcc_lo
; %bb.634:
	s_and_not1_saveexec_b32 s0, s0
	s_cbranch_execz .LBB102_640
; %bb.635:
	v_cmp_ngt_f32_e64 s1, |v112|, |v113|
	s_and_saveexec_b32 s12, s1
	s_delay_alu instid0(SALU_CYCLE_1)
	s_xor_b32 s1, exec_lo, s12
	s_cbranch_execz .LBB102_637
; %bb.636:
	v_div_scale_f32 v111, null, v113, v113, v112
	v_div_scale_f32 v121, vcc_lo, v112, v113, v112
	s_delay_alu instid0(VALU_DEP_2) | instskip(SKIP_1) | instid1(TRANS32_DEP_1)
	v_rcp_f32_e32 v119, v111
	v_nop
	v_fma_f32 v120, -v111, v119, 1.0
	s_delay_alu instid0(VALU_DEP_1) | instskip(NEXT) | instid1(VALU_DEP_1)
	v_fmac_f32_e32 v119, v120, v119
	v_mul_f32_e32 v120, v121, v119
	s_delay_alu instid0(VALU_DEP_1) | instskip(NEXT) | instid1(VALU_DEP_1)
	v_fma_f32 v122, -v111, v120, v121
	v_fmac_f32_e32 v120, v122, v119
	s_delay_alu instid0(VALU_DEP_1) | instskip(NEXT) | instid1(VALU_DEP_1)
	v_fma_f32 v111, -v111, v120, v121
	v_div_fmas_f32 v111, v111, v119, v120
	s_delay_alu instid0(VALU_DEP_1) | instskip(NEXT) | instid1(VALU_DEP_1)
	v_div_fixup_f32 v111, v111, v113, v112
	v_fmac_f32_e32 v113, v112, v111
	s_delay_alu instid0(VALU_DEP_1) | instskip(SKIP_1) | instid1(VALU_DEP_2)
	v_div_scale_f32 v112, null, v113, v113, 1.0
	v_div_scale_f32 v121, vcc_lo, 1.0, v113, 1.0
	v_rcp_f32_e32 v119, v112
	v_nop
	s_delay_alu instid0(TRANS32_DEP_1) | instskip(NEXT) | instid1(VALU_DEP_1)
	v_fma_f32 v120, -v112, v119, 1.0
	v_fmac_f32_e32 v119, v120, v119
	s_delay_alu instid0(VALU_DEP_1) | instskip(NEXT) | instid1(VALU_DEP_1)
	v_mul_f32_e32 v120, v121, v119
	v_fma_f32 v122, -v112, v120, v121
	s_delay_alu instid0(VALU_DEP_1) | instskip(NEXT) | instid1(VALU_DEP_1)
	v_fmac_f32_e32 v120, v122, v119
	v_fma_f32 v112, -v112, v120, v121
	s_delay_alu instid0(VALU_DEP_1) | instskip(NEXT) | instid1(VALU_DEP_1)
	v_div_fmas_f32 v112, v112, v119, v120
	v_div_fixup_f32 v113, v112, v113, 1.0
	s_delay_alu instid0(VALU_DEP_1)
	v_mul_f32_e32 v112, v111, v113
	v_xor_b32_e32 v113, 0x80000000, v113
.LBB102_637:
	s_and_not1_saveexec_b32 s1, s1
	s_cbranch_execz .LBB102_639
; %bb.638:
	s_delay_alu instid0(VALU_DEP_1) | instskip(SKIP_1) | instid1(VALU_DEP_2)
	v_div_scale_f32 v111, null, v112, v112, v113
	v_div_scale_f32 v121, vcc_lo, v113, v112, v113
	v_rcp_f32_e32 v119, v111
	v_nop
	s_delay_alu instid0(TRANS32_DEP_1) | instskip(NEXT) | instid1(VALU_DEP_1)
	v_fma_f32 v120, -v111, v119, 1.0
	v_fmac_f32_e32 v119, v120, v119
	s_delay_alu instid0(VALU_DEP_1) | instskip(NEXT) | instid1(VALU_DEP_1)
	v_mul_f32_e32 v120, v121, v119
	v_fma_f32 v122, -v111, v120, v121
	s_delay_alu instid0(VALU_DEP_1) | instskip(NEXT) | instid1(VALU_DEP_1)
	v_fmac_f32_e32 v120, v122, v119
	v_fma_f32 v111, -v111, v120, v121
	s_delay_alu instid0(VALU_DEP_1) | instskip(NEXT) | instid1(VALU_DEP_1)
	v_div_fmas_f32 v111, v111, v119, v120
	v_div_fixup_f32 v111, v111, v112, v113
	s_delay_alu instid0(VALU_DEP_1) | instskip(NEXT) | instid1(VALU_DEP_1)
	v_fmac_f32_e32 v112, v113, v111
	v_div_scale_f32 v113, null, v112, v112, 1.0
	s_delay_alu instid0(VALU_DEP_1) | instskip(SKIP_1) | instid1(TRANS32_DEP_1)
	v_rcp_f32_e32 v119, v113
	v_nop
	v_fma_f32 v120, -v113, v119, 1.0
	s_delay_alu instid0(VALU_DEP_1) | instskip(SKIP_1) | instid1(VALU_DEP_1)
	v_fmac_f32_e32 v119, v120, v119
	v_div_scale_f32 v120, vcc_lo, 1.0, v112, 1.0
	v_mul_f32_e32 v121, v120, v119
	s_delay_alu instid0(VALU_DEP_1) | instskip(NEXT) | instid1(VALU_DEP_1)
	v_fma_f32 v122, -v113, v121, v120
	v_fmac_f32_e32 v121, v122, v119
	s_delay_alu instid0(VALU_DEP_1) | instskip(NEXT) | instid1(VALU_DEP_1)
	v_fma_f32 v113, -v113, v121, v120
	v_div_fmas_f32 v113, v113, v119, v121
	s_delay_alu instid0(VALU_DEP_1) | instskip(NEXT) | instid1(VALU_DEP_1)
	v_div_fixup_f32 v112, v113, v112, 1.0
	v_mul_f32_e64 v113, v111, -v112
.LBB102_639:
	s_or_b32 exec_lo, exec_lo, s1
.LBB102_640:
	s_delay_alu instid0(SALU_CYCLE_1) | instskip(NEXT) | instid1(SALU_CYCLE_1)
	s_or_b32 exec_lo, exec_lo, s0
	s_mov_b32 s0, exec_lo
	v_cmpx_ne_u32_e64 v118, v110
	s_xor_b32 s0, exec_lo, s0
	s_cbranch_execz .LBB102_646
; %bb.641:
	s_mov_b32 s1, exec_lo
	v_cmpx_eq_u32_e32 30, v118
	s_cbranch_execz .LBB102_645
; %bb.642:
	v_cmp_ne_u32_e32 vcc_lo, 30, v110
	s_xor_b32 s12, s16, -1
	s_delay_alu instid0(SALU_CYCLE_1) | instskip(NEXT) | instid1(SALU_CYCLE_1)
	s_and_b32 s13, s12, vcc_lo
	s_and_saveexec_b32 s12, s13
	s_cbranch_execz .LBB102_644
; %bb.643:
	v_ashrrev_i32_e32 v111, 31, v110
	s_delay_alu instid0(VALU_DEP_1)
	v_lshl_add_u64 v[118:119], v[110:111], 2, v[4:5]
	s_clause 0x1
	global_load_b32 v111, v[118:119], off
	global_load_b32 v117, v[4:5], off offset:120
	s_wait_loadcnt 0x1
	global_store_b32 v[4:5], v111, off offset:120
	s_wait_loadcnt 0x0
	global_store_b32 v[118:119], v117, off
.LBB102_644:
	s_wait_xcnt 0x0
	s_or_b32 exec_lo, exec_lo, s12
	v_dual_mov_b32 v118, v110 :: v_dual_mov_b32 v117, v110
.LBB102_645:
	s_or_b32 exec_lo, exec_lo, s1
.LBB102_646:
	s_and_not1_saveexec_b32 s0, s0
	s_cbranch_execz .LBB102_648
; %bb.647:
	v_mov_b32_e32 v118, 30
	ds_store_2addr_b64 v114, v[18:19], v[56:57] offset0:31 offset1:32
	ds_store_2addr_b64 v114, v[52:53], v[54:55] offset0:33 offset1:34
	;; [unrolled: 1-line block ×10, first 2 shown]
	ds_store_b64 v114, v[108:109] offset:408
.LBB102_648:
	s_or_b32 exec_lo, exec_lo, s0
	s_delay_alu instid0(SALU_CYCLE_1)
	s_mov_b32 s0, exec_lo
	s_wait_storecnt_dscnt 0x0
	s_barrier_signal -1
	s_barrier_wait -1
	v_cmpx_lt_i32_e32 30, v118
	s_cbranch_execz .LBB102_650
; %bb.649:
	v_pk_mul_f32 v[120:121], v[112:113], v[60:61] op_sel:[1,1] op_sel_hi:[0,1]
	s_delay_alu instid0(VALU_DEP_1)
	v_pk_fma_f32 v[110:111], v[112:113], v[60:61], v[120:121] op_sel_hi:[1,0,1] neg_lo:[0,0,1] neg_hi:[0,0,1]
	v_pk_fma_f32 v[112:113], v[112:113], v[60:61], v[120:121] op_sel_hi:[1,0,1]
	ds_load_2addr_b64 v[120:123], v114 offset0:31 offset1:32
	v_dual_mov_b32 v60, v110 :: v_dual_mov_b32 v61, v113
	s_wait_dscnt 0x0
	v_pk_mul_f32 v[124:125], v[120:121], v[112:113] op_sel:[0,1]
	s_delay_alu instid0(VALU_DEP_1) | instskip(SKIP_1) | instid1(VALU_DEP_1)
	v_pk_fma_f32 v[126:127], v[120:121], v[110:111], v[124:125] op_sel:[0,0,1] op_sel_hi:[1,1,0] neg_lo:[0,0,1] neg_hi:[0,0,1]
	v_pk_fma_f32 v[120:121], v[120:121], v[110:111], v[124:125] op_sel:[0,0,1] op_sel_hi:[1,0,0]
	v_mov_b32_e32 v127, v121
	v_pk_mul_f32 v[120:121], v[122:123], v[112:113] op_sel:[0,1]
	s_delay_alu instid0(VALU_DEP_1) | instskip(SKIP_1) | instid1(VALU_DEP_1)
	v_pk_fma_f32 v[124:125], v[122:123], v[110:111], v[120:121] op_sel:[0,0,1] op_sel_hi:[1,1,0] neg_lo:[0,0,1] neg_hi:[0,0,1]
	v_pk_fma_f32 v[120:121], v[122:123], v[110:111], v[120:121] op_sel:[0,0,1] op_sel_hi:[1,0,0]
	v_mov_b32_e32 v125, v121
	ds_load_2addr_b64 v[120:123], v114 offset0:33 offset1:34
	v_pk_add_f32 v[18:19], v[18:19], v[126:127] neg_lo:[0,1] neg_hi:[0,1]
	v_pk_add_f32 v[56:57], v[56:57], v[124:125] neg_lo:[0,1] neg_hi:[0,1]
	s_wait_dscnt 0x0
	v_pk_mul_f32 v[124:125], v[120:121], v[112:113] op_sel:[0,1]
	s_delay_alu instid0(VALU_DEP_1) | instskip(SKIP_2) | instid1(VALU_DEP_2)
	v_pk_fma_f32 v[126:127], v[120:121], v[110:111], v[124:125] op_sel:[0,0,1] op_sel_hi:[1,1,0] neg_lo:[0,0,1] neg_hi:[0,0,1]
	v_pk_fma_f32 v[120:121], v[120:121], v[110:111], v[124:125] op_sel:[0,0,1] op_sel_hi:[1,0,0]
	v_dual_mul_f32 v124, v123, v113 :: v_dual_mov_b32 v120, v123
	v_dual_mov_b32 v127, v121 :: v_dual_mov_b32 v121, v122
	s_delay_alu instid0(VALU_DEP_2) | instskip(SKIP_1) | instid1(VALU_DEP_3)
	v_pk_fma_f32 v[124:125], v[122:123], v[60:61], v[124:125] op_sel_hi:[1,1,0] neg_lo:[0,0,1] neg_hi:[0,0,1]
	v_mul_f32_e32 v122, v123, v110
	v_pk_add_f32 v[52:53], v[52:53], v[126:127] neg_lo:[0,1] neg_hi:[0,1]
	s_delay_alu instid0(VALU_DEP_2) | instskip(NEXT) | instid1(VALU_DEP_1)
	v_pk_fma_f32 v[120:121], v[120:121], v[60:61], v[122:123] op_sel_hi:[1,1,0]
	v_mov_b32_e32 v125, v121
	ds_load_2addr_b64 v[120:123], v114 offset0:35 offset1:36
	v_pk_add_f32 v[54:55], v[54:55], v[124:125] neg_lo:[0,1] neg_hi:[0,1]
	s_wait_dscnt 0x0
	v_pk_mul_f32 v[124:125], v[120:121], v[112:113] op_sel:[0,1]
	s_delay_alu instid0(VALU_DEP_1) | instskip(SKIP_1) | instid1(VALU_DEP_1)
	v_pk_fma_f32 v[126:127], v[120:121], v[110:111], v[124:125] op_sel:[0,0,1] op_sel_hi:[1,1,0] neg_lo:[0,0,1] neg_hi:[0,0,1]
	v_pk_fma_f32 v[120:121], v[120:121], v[110:111], v[124:125] op_sel:[0,0,1] op_sel_hi:[1,0,0]
	v_mov_b32_e32 v127, v121
	v_pk_mul_f32 v[120:121], v[122:123], v[112:113] op_sel:[0,1]
	s_delay_alu instid0(VALU_DEP_1) | instskip(SKIP_1) | instid1(VALU_DEP_1)
	v_pk_fma_f32 v[124:125], v[122:123], v[110:111], v[120:121] op_sel:[0,0,1] op_sel_hi:[1,1,0] neg_lo:[0,0,1] neg_hi:[0,0,1]
	v_pk_fma_f32 v[120:121], v[122:123], v[110:111], v[120:121] op_sel:[0,0,1] op_sel_hi:[1,0,0]
	v_mov_b32_e32 v125, v121
	ds_load_2addr_b64 v[120:123], v114 offset0:37 offset1:38
	v_pk_add_f32 v[12:13], v[12:13], v[126:127] neg_lo:[0,1] neg_hi:[0,1]
	v_pk_add_f32 v[50:51], v[50:51], v[124:125] neg_lo:[0,1] neg_hi:[0,1]
	s_wait_dscnt 0x0
	v_pk_mul_f32 v[124:125], v[120:121], v[112:113] op_sel:[0,1]
	s_delay_alu instid0(VALU_DEP_1) | instskip(SKIP_1) | instid1(VALU_DEP_1)
	v_pk_fma_f32 v[126:127], v[120:121], v[110:111], v[124:125] op_sel:[0,0,1] op_sel_hi:[1,1,0] neg_lo:[0,0,1] neg_hi:[0,0,1]
	v_pk_fma_f32 v[120:121], v[120:121], v[110:111], v[124:125] op_sel:[0,0,1] op_sel_hi:[1,0,0]
	v_mov_b32_e32 v127, v121
	v_pk_mul_f32 v[120:121], v[122:123], v[112:113] op_sel:[0,1]
	s_delay_alu instid0(VALU_DEP_1) | instskip(SKIP_1) | instid1(VALU_DEP_1)
	v_pk_fma_f32 v[124:125], v[122:123], v[110:111], v[120:121] op_sel:[0,0,1] op_sel_hi:[1,1,0] neg_lo:[0,0,1] neg_hi:[0,0,1]
	v_pk_fma_f32 v[120:121], v[122:123], v[110:111], v[120:121] op_sel:[0,0,1] op_sel_hi:[1,0,0]
	v_mov_b32_e32 v125, v121
	ds_load_2addr_b64 v[120:123], v114 offset0:39 offset1:40
	v_pk_add_f32 v[46:47], v[46:47], v[126:127] neg_lo:[0,1] neg_hi:[0,1]
	v_pk_add_f32 v[48:49], v[48:49], v[124:125] neg_lo:[0,1] neg_hi:[0,1]
	s_wait_dscnt 0x0
	v_dual_mul_f32 v124, v121, v113 :: v_dual_mul_f32 v126, v121, v110
	s_delay_alu instid0(VALU_DEP_1) | instskip(NEXT) | instid1(VALU_DEP_2)
	v_pk_fma_f32 v[124:125], v[120:121], v[60:61], v[124:125] op_sel_hi:[1,1,0] neg_lo:[0,0,1] neg_hi:[0,0,1]
	v_pk_fma_f32 v[120:121], v[120:121], v[60:61], v[126:127] op_sel:[1,0,0] op_sel_hi:[0,1,0]
	s_delay_alu instid0(VALU_DEP_1) | instskip(SKIP_1) | instid1(VALU_DEP_2)
	v_mov_b32_e32 v125, v121
	v_pk_mul_f32 v[120:121], v[122:123], v[112:113] op_sel:[0,1]
	v_pk_add_f32 v[10:11], v[10:11], v[124:125] neg_lo:[0,1] neg_hi:[0,1]
	s_delay_alu instid0(VALU_DEP_2) | instskip(SKIP_1) | instid1(VALU_DEP_1)
	v_pk_fma_f32 v[124:125], v[122:123], v[110:111], v[120:121] op_sel:[0,0,1] op_sel_hi:[1,1,0] neg_lo:[0,0,1] neg_hi:[0,0,1]
	v_pk_fma_f32 v[120:121], v[122:123], v[110:111], v[120:121] op_sel:[0,0,1] op_sel_hi:[1,0,0]
	v_mov_b32_e32 v125, v121
	ds_load_2addr_b64 v[120:123], v114 offset0:41 offset1:42
	v_pk_add_f32 v[44:45], v[44:45], v[124:125] neg_lo:[0,1] neg_hi:[0,1]
	s_wait_dscnt 0x0
	v_pk_mul_f32 v[124:125], v[120:121], v[112:113] op_sel:[0,1]
	s_delay_alu instid0(VALU_DEP_1) | instskip(SKIP_1) | instid1(VALU_DEP_1)
	v_pk_fma_f32 v[126:127], v[120:121], v[110:111], v[124:125] op_sel:[0,0,1] op_sel_hi:[1,1,0] neg_lo:[0,0,1] neg_hi:[0,0,1]
	v_pk_fma_f32 v[120:121], v[120:121], v[110:111], v[124:125] op_sel:[0,0,1] op_sel_hi:[1,0,0]
	v_mov_b32_e32 v127, v121
	v_pk_mul_f32 v[120:121], v[122:123], v[112:113] op_sel:[0,1]
	s_delay_alu instid0(VALU_DEP_2) | instskip(NEXT) | instid1(VALU_DEP_2)
	v_pk_add_f32 v[40:41], v[40:41], v[126:127] neg_lo:[0,1] neg_hi:[0,1]
	v_pk_fma_f32 v[124:125], v[122:123], v[110:111], v[120:121] op_sel:[0,0,1] op_sel_hi:[1,1,0] neg_lo:[0,0,1] neg_hi:[0,0,1]
	v_pk_fma_f32 v[120:121], v[122:123], v[110:111], v[120:121] op_sel:[0,0,1] op_sel_hi:[1,0,0]
	s_delay_alu instid0(VALU_DEP_1) | instskip(SKIP_4) | instid1(VALU_DEP_1)
	v_mov_b32_e32 v125, v121
	ds_load_2addr_b64 v[120:123], v114 offset0:43 offset1:44
	v_pk_add_f32 v[42:43], v[42:43], v[124:125] neg_lo:[0,1] neg_hi:[0,1]
	s_wait_dscnt 0x0
	v_pk_mul_f32 v[124:125], v[120:121], v[112:113] op_sel:[0,1]
	v_pk_fma_f32 v[126:127], v[120:121], v[110:111], v[124:125] op_sel:[0,0,1] op_sel_hi:[1,1,0] neg_lo:[0,0,1] neg_hi:[0,0,1]
	v_pk_fma_f32 v[120:121], v[120:121], v[110:111], v[124:125] op_sel:[0,0,1] op_sel_hi:[1,0,0]
	v_dual_mul_f32 v124, v123, v113 :: v_dual_mov_b32 v120, v123
	s_delay_alu instid0(VALU_DEP_2) | instskip(NEXT) | instid1(VALU_DEP_2)
	v_dual_mov_b32 v127, v121 :: v_dual_mov_b32 v121, v122
	v_pk_fma_f32 v[124:125], v[122:123], v[60:61], v[124:125] op_sel_hi:[1,1,0] neg_lo:[0,0,1] neg_hi:[0,0,1]
	v_mul_f32_e32 v122, v123, v110
	s_delay_alu instid0(VALU_DEP_3) | instskip(NEXT) | instid1(VALU_DEP_2)
	v_pk_add_f32 v[6:7], v[6:7], v[126:127] neg_lo:[0,1] neg_hi:[0,1]
	v_pk_fma_f32 v[120:121], v[120:121], v[60:61], v[122:123] op_sel_hi:[1,1,0]
	s_delay_alu instid0(VALU_DEP_1) | instskip(SKIP_4) | instid1(VALU_DEP_1)
	v_mov_b32_e32 v125, v121
	ds_load_2addr_b64 v[120:123], v114 offset0:45 offset1:46
	v_pk_add_f32 v[36:37], v[36:37], v[124:125] neg_lo:[0,1] neg_hi:[0,1]
	s_wait_dscnt 0x0
	v_pk_mul_f32 v[124:125], v[120:121], v[112:113] op_sel:[0,1]
	v_pk_fma_f32 v[126:127], v[120:121], v[110:111], v[124:125] op_sel:[0,0,1] op_sel_hi:[1,1,0] neg_lo:[0,0,1] neg_hi:[0,0,1]
	v_pk_fma_f32 v[120:121], v[120:121], v[110:111], v[124:125] op_sel:[0,0,1] op_sel_hi:[1,0,0]
	s_delay_alu instid0(VALU_DEP_1) | instskip(SKIP_1) | instid1(VALU_DEP_1)
	v_mov_b32_e32 v127, v121
	v_pk_mul_f32 v[120:121], v[122:123], v[112:113] op_sel:[0,1]
	v_pk_fma_f32 v[124:125], v[122:123], v[110:111], v[120:121] op_sel:[0,0,1] op_sel_hi:[1,1,0] neg_lo:[0,0,1] neg_hi:[0,0,1]
	v_pk_fma_f32 v[120:121], v[122:123], v[110:111], v[120:121] op_sel:[0,0,1] op_sel_hi:[1,0,0]
	s_delay_alu instid0(VALU_DEP_1)
	v_mov_b32_e32 v125, v121
	ds_load_2addr_b64 v[120:123], v114 offset0:47 offset1:48
	v_pk_add_f32 v[30:31], v[30:31], v[126:127] neg_lo:[0,1] neg_hi:[0,1]
	v_pk_add_f32 v[34:35], v[34:35], v[124:125] neg_lo:[0,1] neg_hi:[0,1]
	s_wait_dscnt 0x0
	v_pk_mul_f32 v[124:125], v[120:121], v[112:113] op_sel:[0,1]
	s_delay_alu instid0(VALU_DEP_1) | instskip(SKIP_1) | instid1(VALU_DEP_1)
	v_pk_fma_f32 v[126:127], v[120:121], v[110:111], v[124:125] op_sel:[0,0,1] op_sel_hi:[1,1,0] neg_lo:[0,0,1] neg_hi:[0,0,1]
	v_pk_fma_f32 v[120:121], v[120:121], v[110:111], v[124:125] op_sel:[0,0,1] op_sel_hi:[1,0,0]
	v_mov_b32_e32 v127, v121
	v_pk_mul_f32 v[120:121], v[122:123], v[112:113] op_sel:[0,1]
	s_delay_alu instid0(VALU_DEP_1) | instskip(SKIP_1) | instid1(VALU_DEP_1)
	v_pk_fma_f32 v[124:125], v[122:123], v[110:111], v[120:121] op_sel:[0,0,1] op_sel_hi:[1,1,0] neg_lo:[0,0,1] neg_hi:[0,0,1]
	v_pk_fma_f32 v[120:121], v[122:123], v[110:111], v[120:121] op_sel:[0,0,1] op_sel_hi:[1,0,0]
	v_mov_b32_e32 v125, v121
	ds_load_2addr_b64 v[120:123], v114 offset0:49 offset1:50
	v_pk_add_f32 v[8:9], v[8:9], v[126:127] neg_lo:[0,1] neg_hi:[0,1]
	v_pk_add_f32 v[28:29], v[28:29], v[124:125] neg_lo:[0,1] neg_hi:[0,1]
	s_wait_dscnt 0x0
	v_dual_mul_f32 v124, v121, v113 :: v_dual_mul_f32 v126, v121, v110
	s_delay_alu instid0(VALU_DEP_1) | instskip(NEXT) | instid1(VALU_DEP_2)
	v_pk_fma_f32 v[124:125], v[120:121], v[60:61], v[124:125] op_sel_hi:[1,1,0] neg_lo:[0,0,1] neg_hi:[0,0,1]
	v_pk_fma_f32 v[120:121], v[120:121], v[60:61], v[126:127] op_sel:[1,0,0] op_sel_hi:[0,1,0]
	s_delay_alu instid0(VALU_DEP_1) | instskip(SKIP_1) | instid1(VALU_DEP_2)
	v_mov_b32_e32 v125, v121
	v_pk_mul_f32 v[120:121], v[122:123], v[112:113] op_sel:[0,1]
	v_pk_add_f32 v[16:17], v[16:17], v[124:125] neg_lo:[0,1] neg_hi:[0,1]
	s_delay_alu instid0(VALU_DEP_2) | instskip(SKIP_1) | instid1(VALU_DEP_1)
	v_pk_fma_f32 v[124:125], v[122:123], v[110:111], v[120:121] op_sel:[0,0,1] op_sel_hi:[1,1,0] neg_lo:[0,0,1] neg_hi:[0,0,1]
	v_pk_fma_f32 v[120:121], v[122:123], v[110:111], v[120:121] op_sel:[0,0,1] op_sel_hi:[1,0,0]
	v_mov_b32_e32 v125, v121
	ds_load_b64 v[120:121], v114 offset:408
	v_pk_add_f32 v[14:15], v[14:15], v[124:125] neg_lo:[0,1] neg_hi:[0,1]
	s_wait_dscnt 0x0
	v_pk_mul_f32 v[112:113], v[120:121], v[112:113] op_sel:[0,1]
	s_delay_alu instid0(VALU_DEP_1) | instskip(SKIP_1) | instid1(VALU_DEP_1)
	v_pk_fma_f32 v[122:123], v[120:121], v[110:111], v[112:113] op_sel:[0,0,1] op_sel_hi:[1,1,0] neg_lo:[0,0,1] neg_hi:[0,0,1]
	v_pk_fma_f32 v[110:111], v[120:121], v[110:111], v[112:113] op_sel:[0,0,1] op_sel_hi:[1,0,0]
	v_mov_b32_e32 v123, v111
	s_delay_alu instid0(VALU_DEP_1)
	v_pk_add_f32 v[108:109], v[108:109], v[122:123] neg_lo:[0,1] neg_hi:[0,1]
.LBB102_650:
	s_or_b32 exec_lo, exec_lo, s0
	v_lshl_add_u32 v110, v118, 3, v114
	s_barrier_signal -1
	s_barrier_wait -1
	ds_store_b64 v110, v[18:19]
	s_wait_dscnt 0x0
	s_barrier_signal -1
	s_barrier_wait -1
	ds_load_b64 v[112:113], v114 offset:248
	v_mov_b32_e32 v110, 31
	s_cmp_lt_i32 s18, 33
	s_cbranch_scc1 .LBB102_653
; %bb.651:
	v_add3_u32 v111, v115, 0, 0x100
	v_mov_b32_e32 v110, 31
	s_mov_b32 s0, 32
.LBB102_652:                            ; =>This Inner Loop Header: Depth=1
	ds_load_b64 v[120:121], v111
	s_wait_dscnt 0x1
	v_cmp_gt_f32_e32 vcc_lo, 0, v112
	v_cndmask_b32_e64 v122, v112, -v112, vcc_lo
	v_cmp_gt_f32_e32 vcc_lo, 0, v113
	v_cndmask_b32_e64 v124, v113, -v113, vcc_lo
	s_wait_dscnt 0x0
	v_cmp_gt_f32_e32 vcc_lo, 0, v120
	v_cndmask_b32_e64 v123, v120, -v120, vcc_lo
	v_cmp_gt_f32_e32 vcc_lo, 0, v121
	v_cndmask_b32_e64 v125, v121, -v121, vcc_lo
	s_delay_alu instid0(VALU_DEP_1) | instskip(NEXT) | instid1(VALU_DEP_1)
	v_pk_add_f32 v[122:123], v[122:123], v[124:125]
	v_cmp_lt_f32_e32 vcc_lo, v122, v123
	v_dual_add_nc_u32 v111, 8, v111 :: v_dual_cndmask_b32 v113, v113, v121, vcc_lo
	v_cndmask_b32_e32 v112, v112, v120, vcc_lo
	v_cndmask_b32_e64 v110, v110, s0, vcc_lo
	s_add_co_i32 s0, s0, 1
	s_delay_alu instid0(SALU_CYCLE_1)
	s_cmp_lg_u32 s18, s0
	s_cbranch_scc1 .LBB102_652
.LBB102_653:
	s_wait_dscnt 0x0
	v_cmp_eq_f32_e32 vcc_lo, 0, v112
	v_cmp_eq_f32_e64 s0, 0, v113
	s_and_b32 s0, vcc_lo, s0
	s_delay_alu instid0(SALU_CYCLE_1) | instskip(NEXT) | instid1(SALU_CYCLE_1)
	s_and_saveexec_b32 s1, s0
	s_xor_b32 s0, exec_lo, s1
; %bb.654:
	v_cmp_ne_u32_e32 vcc_lo, 0, v116
	v_cndmask_b32_e32 v116, 32, v116, vcc_lo
; %bb.655:
	s_and_not1_saveexec_b32 s0, s0
	s_cbranch_execz .LBB102_661
; %bb.656:
	v_cmp_ngt_f32_e64 s1, |v112|, |v113|
	s_and_saveexec_b32 s12, s1
	s_delay_alu instid0(SALU_CYCLE_1)
	s_xor_b32 s1, exec_lo, s12
	s_cbranch_execz .LBB102_658
; %bb.657:
	v_div_scale_f32 v111, null, v113, v113, v112
	v_div_scale_f32 v121, vcc_lo, v112, v113, v112
	s_delay_alu instid0(VALU_DEP_2) | instskip(SKIP_1) | instid1(TRANS32_DEP_1)
	v_rcp_f32_e32 v119, v111
	v_nop
	v_fma_f32 v120, -v111, v119, 1.0
	s_delay_alu instid0(VALU_DEP_1) | instskip(NEXT) | instid1(VALU_DEP_1)
	v_fmac_f32_e32 v119, v120, v119
	v_mul_f32_e32 v120, v121, v119
	s_delay_alu instid0(VALU_DEP_1) | instskip(NEXT) | instid1(VALU_DEP_1)
	v_fma_f32 v122, -v111, v120, v121
	v_fmac_f32_e32 v120, v122, v119
	s_delay_alu instid0(VALU_DEP_1) | instskip(NEXT) | instid1(VALU_DEP_1)
	v_fma_f32 v111, -v111, v120, v121
	v_div_fmas_f32 v111, v111, v119, v120
	s_delay_alu instid0(VALU_DEP_1) | instskip(NEXT) | instid1(VALU_DEP_1)
	v_div_fixup_f32 v111, v111, v113, v112
	v_fmac_f32_e32 v113, v112, v111
	s_delay_alu instid0(VALU_DEP_1) | instskip(SKIP_1) | instid1(VALU_DEP_2)
	v_div_scale_f32 v112, null, v113, v113, 1.0
	v_div_scale_f32 v121, vcc_lo, 1.0, v113, 1.0
	v_rcp_f32_e32 v119, v112
	v_nop
	s_delay_alu instid0(TRANS32_DEP_1) | instskip(NEXT) | instid1(VALU_DEP_1)
	v_fma_f32 v120, -v112, v119, 1.0
	v_fmac_f32_e32 v119, v120, v119
	s_delay_alu instid0(VALU_DEP_1) | instskip(NEXT) | instid1(VALU_DEP_1)
	v_mul_f32_e32 v120, v121, v119
	v_fma_f32 v122, -v112, v120, v121
	s_delay_alu instid0(VALU_DEP_1) | instskip(NEXT) | instid1(VALU_DEP_1)
	v_fmac_f32_e32 v120, v122, v119
	v_fma_f32 v112, -v112, v120, v121
	s_delay_alu instid0(VALU_DEP_1) | instskip(NEXT) | instid1(VALU_DEP_1)
	v_div_fmas_f32 v112, v112, v119, v120
	v_div_fixup_f32 v113, v112, v113, 1.0
	s_delay_alu instid0(VALU_DEP_1)
	v_mul_f32_e32 v112, v111, v113
	v_xor_b32_e32 v113, 0x80000000, v113
.LBB102_658:
	s_and_not1_saveexec_b32 s1, s1
	s_cbranch_execz .LBB102_660
; %bb.659:
	s_delay_alu instid0(VALU_DEP_1) | instskip(SKIP_1) | instid1(VALU_DEP_2)
	v_div_scale_f32 v111, null, v112, v112, v113
	v_div_scale_f32 v121, vcc_lo, v113, v112, v113
	v_rcp_f32_e32 v119, v111
	v_nop
	s_delay_alu instid0(TRANS32_DEP_1) | instskip(NEXT) | instid1(VALU_DEP_1)
	v_fma_f32 v120, -v111, v119, 1.0
	v_fmac_f32_e32 v119, v120, v119
	s_delay_alu instid0(VALU_DEP_1) | instskip(NEXT) | instid1(VALU_DEP_1)
	v_mul_f32_e32 v120, v121, v119
	v_fma_f32 v122, -v111, v120, v121
	s_delay_alu instid0(VALU_DEP_1) | instskip(NEXT) | instid1(VALU_DEP_1)
	v_fmac_f32_e32 v120, v122, v119
	v_fma_f32 v111, -v111, v120, v121
	s_delay_alu instid0(VALU_DEP_1) | instskip(NEXT) | instid1(VALU_DEP_1)
	v_div_fmas_f32 v111, v111, v119, v120
	v_div_fixup_f32 v111, v111, v112, v113
	s_delay_alu instid0(VALU_DEP_1) | instskip(NEXT) | instid1(VALU_DEP_1)
	v_fmac_f32_e32 v112, v113, v111
	v_div_scale_f32 v113, null, v112, v112, 1.0
	s_delay_alu instid0(VALU_DEP_1) | instskip(SKIP_1) | instid1(TRANS32_DEP_1)
	v_rcp_f32_e32 v119, v113
	v_nop
	v_fma_f32 v120, -v113, v119, 1.0
	s_delay_alu instid0(VALU_DEP_1) | instskip(SKIP_1) | instid1(VALU_DEP_1)
	v_fmac_f32_e32 v119, v120, v119
	v_div_scale_f32 v120, vcc_lo, 1.0, v112, 1.0
	v_mul_f32_e32 v121, v120, v119
	s_delay_alu instid0(VALU_DEP_1) | instskip(NEXT) | instid1(VALU_DEP_1)
	v_fma_f32 v122, -v113, v121, v120
	v_fmac_f32_e32 v121, v122, v119
	s_delay_alu instid0(VALU_DEP_1) | instskip(NEXT) | instid1(VALU_DEP_1)
	v_fma_f32 v113, -v113, v121, v120
	v_div_fmas_f32 v113, v113, v119, v121
	s_delay_alu instid0(VALU_DEP_1) | instskip(NEXT) | instid1(VALU_DEP_1)
	v_div_fixup_f32 v112, v113, v112, 1.0
	v_mul_f32_e64 v113, v111, -v112
.LBB102_660:
	s_or_b32 exec_lo, exec_lo, s1
.LBB102_661:
	s_delay_alu instid0(SALU_CYCLE_1) | instskip(NEXT) | instid1(SALU_CYCLE_1)
	s_or_b32 exec_lo, exec_lo, s0
	s_mov_b32 s0, exec_lo
	v_cmpx_ne_u32_e64 v118, v110
	s_xor_b32 s0, exec_lo, s0
	s_cbranch_execz .LBB102_667
; %bb.662:
	s_mov_b32 s1, exec_lo
	v_cmpx_eq_u32_e32 31, v118
	s_cbranch_execz .LBB102_666
; %bb.663:
	v_cmp_ne_u32_e32 vcc_lo, 31, v110
	s_xor_b32 s12, s16, -1
	s_delay_alu instid0(SALU_CYCLE_1) | instskip(NEXT) | instid1(SALU_CYCLE_1)
	s_and_b32 s13, s12, vcc_lo
	s_and_saveexec_b32 s12, s13
	s_cbranch_execz .LBB102_665
; %bb.664:
	v_ashrrev_i32_e32 v111, 31, v110
	s_delay_alu instid0(VALU_DEP_1)
	v_lshl_add_u64 v[118:119], v[110:111], 2, v[4:5]
	s_clause 0x1
	global_load_b32 v111, v[118:119], off
	global_load_b32 v117, v[4:5], off offset:124
	s_wait_loadcnt 0x1
	global_store_b32 v[4:5], v111, off offset:124
	s_wait_loadcnt 0x0
	global_store_b32 v[118:119], v117, off
.LBB102_665:
	s_wait_xcnt 0x0
	s_or_b32 exec_lo, exec_lo, s12
	v_dual_mov_b32 v118, v110 :: v_dual_mov_b32 v117, v110
.LBB102_666:
	s_or_b32 exec_lo, exec_lo, s1
.LBB102_667:
	s_and_not1_saveexec_b32 s0, s0
	s_cbranch_execz .LBB102_669
; %bb.668:
	v_dual_mov_b32 v110, v56 :: v_dual_mov_b32 v111, v57
	v_dual_mov_b32 v118, v52 :: v_dual_mov_b32 v119, v53
	;; [unrolled: 1-line block ×12, first 2 shown]
	ds_store_2addr_b64 v114, v[110:111], v[118:119] offset0:32 offset1:33
	ds_store_2addr_b64 v114, v[120:121], v[122:123] offset0:34 offset1:35
	;; [unrolled: 1-line block ×6, first 2 shown]
	v_dual_mov_b32 v110, v36 :: v_dual_mov_b32 v111, v37
	v_dual_mov_b32 v120, v30 :: v_dual_mov_b32 v121, v31
	;; [unrolled: 1-line block ×7, first 2 shown]
	v_mov_b32_e32 v131, v15
	ds_store_2addr_b64 v114, v[110:111], v[120:121] offset0:44 offset1:45
	ds_store_2addr_b64 v114, v[122:123], v[124:125] offset0:46 offset1:47
	;; [unrolled: 1-line block ×4, first 2 shown]
.LBB102_669:
	s_or_b32 exec_lo, exec_lo, s0
	s_delay_alu instid0(SALU_CYCLE_1)
	s_mov_b32 s0, exec_lo
	s_wait_storecnt_dscnt 0x0
	s_barrier_signal -1
	s_barrier_wait -1
	v_cmpx_lt_i32_e32 31, v118
	s_cbranch_execz .LBB102_671
; %bb.670:
	v_pk_mul_f32 v[120:121], v[112:113], v[18:19] op_sel:[1,1] op_sel_hi:[0,1]
	s_delay_alu instid0(VALU_DEP_1)
	v_pk_fma_f32 v[110:111], v[112:113], v[18:19], v[120:121] op_sel_hi:[1,0,1] neg_lo:[0,0,1] neg_hi:[0,0,1]
	v_pk_fma_f32 v[112:113], v[112:113], v[18:19], v[120:121] op_sel_hi:[1,0,1]
	ds_load_2addr_b64 v[120:123], v114 offset0:32 offset1:33
	v_dual_mov_b32 v18, v110 :: v_dual_mov_b32 v19, v113
	s_wait_dscnt 0x0
	v_pk_mul_f32 v[124:125], v[120:121], v[112:113] op_sel:[0,1]
	s_delay_alu instid0(VALU_DEP_1) | instskip(SKIP_1) | instid1(VALU_DEP_1)
	v_pk_fma_f32 v[126:127], v[120:121], v[110:111], v[124:125] op_sel:[0,0,1] op_sel_hi:[1,1,0] neg_lo:[0,0,1] neg_hi:[0,0,1]
	v_pk_fma_f32 v[120:121], v[120:121], v[110:111], v[124:125] op_sel:[0,0,1] op_sel_hi:[1,0,0]
	v_mov_b32_e32 v127, v121
	v_pk_mul_f32 v[120:121], v[122:123], v[112:113] op_sel:[0,1]
	s_delay_alu instid0(VALU_DEP_1) | instskip(SKIP_1) | instid1(VALU_DEP_1)
	v_pk_fma_f32 v[124:125], v[122:123], v[110:111], v[120:121] op_sel:[0,0,1] op_sel_hi:[1,1,0] neg_lo:[0,0,1] neg_hi:[0,0,1]
	v_pk_fma_f32 v[120:121], v[122:123], v[110:111], v[120:121] op_sel:[0,0,1] op_sel_hi:[1,0,0]
	v_mov_b32_e32 v125, v121
	ds_load_2addr_b64 v[120:123], v114 offset0:34 offset1:35
	v_pk_add_f32 v[56:57], v[56:57], v[126:127] neg_lo:[0,1] neg_hi:[0,1]
	v_pk_add_f32 v[52:53], v[52:53], v[124:125] neg_lo:[0,1] neg_hi:[0,1]
	s_wait_dscnt 0x0
	v_pk_mul_f32 v[124:125], v[120:121], v[112:113] op_sel:[0,1]
	s_delay_alu instid0(VALU_DEP_1) | instskip(SKIP_2) | instid1(VALU_DEP_2)
	v_pk_fma_f32 v[126:127], v[120:121], v[110:111], v[124:125] op_sel:[0,0,1] op_sel_hi:[1,1,0] neg_lo:[0,0,1] neg_hi:[0,0,1]
	v_pk_fma_f32 v[120:121], v[120:121], v[110:111], v[124:125] op_sel:[0,0,1] op_sel_hi:[1,0,0]
	v_dual_mul_f32 v124, v123, v113 :: v_dual_mov_b32 v120, v123
	v_dual_mov_b32 v127, v121 :: v_dual_mov_b32 v121, v122
	s_delay_alu instid0(VALU_DEP_2) | instskip(SKIP_1) | instid1(VALU_DEP_3)
	v_pk_fma_f32 v[124:125], v[122:123], v[18:19], v[124:125] op_sel_hi:[1,1,0] neg_lo:[0,0,1] neg_hi:[0,0,1]
	v_mul_f32_e32 v122, v123, v110
	v_pk_add_f32 v[54:55], v[54:55], v[126:127] neg_lo:[0,1] neg_hi:[0,1]
	s_delay_alu instid0(VALU_DEP_2) | instskip(NEXT) | instid1(VALU_DEP_1)
	v_pk_fma_f32 v[120:121], v[120:121], v[18:19], v[122:123] op_sel_hi:[1,1,0]
	v_mov_b32_e32 v125, v121
	ds_load_2addr_b64 v[120:123], v114 offset0:36 offset1:37
	v_pk_add_f32 v[12:13], v[12:13], v[124:125] neg_lo:[0,1] neg_hi:[0,1]
	s_wait_dscnt 0x0
	v_pk_mul_f32 v[124:125], v[120:121], v[112:113] op_sel:[0,1]
	s_delay_alu instid0(VALU_DEP_1) | instskip(SKIP_1) | instid1(VALU_DEP_1)
	v_pk_fma_f32 v[126:127], v[120:121], v[110:111], v[124:125] op_sel:[0,0,1] op_sel_hi:[1,1,0] neg_lo:[0,0,1] neg_hi:[0,0,1]
	v_pk_fma_f32 v[120:121], v[120:121], v[110:111], v[124:125] op_sel:[0,0,1] op_sel_hi:[1,0,0]
	v_mov_b32_e32 v127, v121
	v_pk_mul_f32 v[120:121], v[122:123], v[112:113] op_sel:[0,1]
	s_delay_alu instid0(VALU_DEP_1) | instskip(SKIP_1) | instid1(VALU_DEP_1)
	v_pk_fma_f32 v[124:125], v[122:123], v[110:111], v[120:121] op_sel:[0,0,1] op_sel_hi:[1,1,0] neg_lo:[0,0,1] neg_hi:[0,0,1]
	v_pk_fma_f32 v[120:121], v[122:123], v[110:111], v[120:121] op_sel:[0,0,1] op_sel_hi:[1,0,0]
	v_mov_b32_e32 v125, v121
	ds_load_2addr_b64 v[120:123], v114 offset0:38 offset1:39
	v_pk_add_f32 v[50:51], v[50:51], v[126:127] neg_lo:[0,1] neg_hi:[0,1]
	v_pk_add_f32 v[46:47], v[46:47], v[124:125] neg_lo:[0,1] neg_hi:[0,1]
	s_wait_dscnt 0x0
	v_pk_mul_f32 v[124:125], v[120:121], v[112:113] op_sel:[0,1]
	s_delay_alu instid0(VALU_DEP_1) | instskip(SKIP_1) | instid1(VALU_DEP_1)
	v_pk_fma_f32 v[126:127], v[120:121], v[110:111], v[124:125] op_sel:[0,0,1] op_sel_hi:[1,1,0] neg_lo:[0,0,1] neg_hi:[0,0,1]
	v_pk_fma_f32 v[120:121], v[120:121], v[110:111], v[124:125] op_sel:[0,0,1] op_sel_hi:[1,0,0]
	v_mov_b32_e32 v127, v121
	v_pk_mul_f32 v[120:121], v[122:123], v[112:113] op_sel:[0,1]
	s_delay_alu instid0(VALU_DEP_1) | instskip(SKIP_1) | instid1(VALU_DEP_1)
	v_pk_fma_f32 v[124:125], v[122:123], v[110:111], v[120:121] op_sel:[0,0,1] op_sel_hi:[1,1,0] neg_lo:[0,0,1] neg_hi:[0,0,1]
	v_pk_fma_f32 v[120:121], v[122:123], v[110:111], v[120:121] op_sel:[0,0,1] op_sel_hi:[1,0,0]
	v_mov_b32_e32 v125, v121
	ds_load_2addr_b64 v[120:123], v114 offset0:40 offset1:41
	v_pk_add_f32 v[48:49], v[48:49], v[126:127] neg_lo:[0,1] neg_hi:[0,1]
	v_pk_add_f32 v[10:11], v[10:11], v[124:125] neg_lo:[0,1] neg_hi:[0,1]
	s_wait_dscnt 0x0
	v_dual_mul_f32 v124, v121, v113 :: v_dual_mul_f32 v126, v121, v110
	s_delay_alu instid0(VALU_DEP_1) | instskip(NEXT) | instid1(VALU_DEP_2)
	v_pk_fma_f32 v[124:125], v[120:121], v[18:19], v[124:125] op_sel_hi:[1,1,0] neg_lo:[0,0,1] neg_hi:[0,0,1]
	v_pk_fma_f32 v[120:121], v[120:121], v[18:19], v[126:127] op_sel:[1,0,0] op_sel_hi:[0,1,0]
	s_delay_alu instid0(VALU_DEP_1) | instskip(SKIP_1) | instid1(VALU_DEP_2)
	v_mov_b32_e32 v125, v121
	v_pk_mul_f32 v[120:121], v[122:123], v[112:113] op_sel:[0,1]
	v_pk_add_f32 v[44:45], v[44:45], v[124:125] neg_lo:[0,1] neg_hi:[0,1]
	s_delay_alu instid0(VALU_DEP_2) | instskip(SKIP_1) | instid1(VALU_DEP_1)
	v_pk_fma_f32 v[124:125], v[122:123], v[110:111], v[120:121] op_sel:[0,0,1] op_sel_hi:[1,1,0] neg_lo:[0,0,1] neg_hi:[0,0,1]
	v_pk_fma_f32 v[120:121], v[122:123], v[110:111], v[120:121] op_sel:[0,0,1] op_sel_hi:[1,0,0]
	v_mov_b32_e32 v125, v121
	ds_load_2addr_b64 v[120:123], v114 offset0:42 offset1:43
	v_pk_add_f32 v[40:41], v[40:41], v[124:125] neg_lo:[0,1] neg_hi:[0,1]
	s_wait_dscnt 0x0
	v_pk_mul_f32 v[124:125], v[120:121], v[112:113] op_sel:[0,1]
	s_delay_alu instid0(VALU_DEP_1) | instskip(SKIP_1) | instid1(VALU_DEP_1)
	v_pk_fma_f32 v[126:127], v[120:121], v[110:111], v[124:125] op_sel:[0,0,1] op_sel_hi:[1,1,0] neg_lo:[0,0,1] neg_hi:[0,0,1]
	v_pk_fma_f32 v[120:121], v[120:121], v[110:111], v[124:125] op_sel:[0,0,1] op_sel_hi:[1,0,0]
	v_mov_b32_e32 v127, v121
	v_pk_mul_f32 v[120:121], v[122:123], v[112:113] op_sel:[0,1]
	s_delay_alu instid0(VALU_DEP_2) | instskip(NEXT) | instid1(VALU_DEP_2)
	v_pk_add_f32 v[42:43], v[42:43], v[126:127] neg_lo:[0,1] neg_hi:[0,1]
	v_pk_fma_f32 v[124:125], v[122:123], v[110:111], v[120:121] op_sel:[0,0,1] op_sel_hi:[1,1,0] neg_lo:[0,0,1] neg_hi:[0,0,1]
	v_pk_fma_f32 v[120:121], v[122:123], v[110:111], v[120:121] op_sel:[0,0,1] op_sel_hi:[1,0,0]
	s_delay_alu instid0(VALU_DEP_1) | instskip(SKIP_4) | instid1(VALU_DEP_1)
	v_mov_b32_e32 v125, v121
	ds_load_2addr_b64 v[120:123], v114 offset0:44 offset1:45
	v_pk_add_f32 v[6:7], v[6:7], v[124:125] neg_lo:[0,1] neg_hi:[0,1]
	s_wait_dscnt 0x0
	v_pk_mul_f32 v[124:125], v[120:121], v[112:113] op_sel:[0,1]
	v_pk_fma_f32 v[126:127], v[120:121], v[110:111], v[124:125] op_sel:[0,0,1] op_sel_hi:[1,1,0] neg_lo:[0,0,1] neg_hi:[0,0,1]
	v_pk_fma_f32 v[120:121], v[120:121], v[110:111], v[124:125] op_sel:[0,0,1] op_sel_hi:[1,0,0]
	v_dual_mul_f32 v124, v123, v113 :: v_dual_mov_b32 v120, v123
	s_delay_alu instid0(VALU_DEP_2) | instskip(NEXT) | instid1(VALU_DEP_2)
	v_dual_mov_b32 v127, v121 :: v_dual_mov_b32 v121, v122
	v_pk_fma_f32 v[124:125], v[122:123], v[18:19], v[124:125] op_sel_hi:[1,1,0] neg_lo:[0,0,1] neg_hi:[0,0,1]
	v_mul_f32_e32 v122, v123, v110
	s_delay_alu instid0(VALU_DEP_3) | instskip(NEXT) | instid1(VALU_DEP_2)
	v_pk_add_f32 v[36:37], v[36:37], v[126:127] neg_lo:[0,1] neg_hi:[0,1]
	v_pk_fma_f32 v[120:121], v[120:121], v[18:19], v[122:123] op_sel_hi:[1,1,0]
	s_delay_alu instid0(VALU_DEP_1) | instskip(SKIP_4) | instid1(VALU_DEP_1)
	v_mov_b32_e32 v125, v121
	ds_load_2addr_b64 v[120:123], v114 offset0:46 offset1:47
	v_pk_add_f32 v[30:31], v[30:31], v[124:125] neg_lo:[0,1] neg_hi:[0,1]
	s_wait_dscnt 0x0
	v_pk_mul_f32 v[124:125], v[120:121], v[112:113] op_sel:[0,1]
	v_pk_fma_f32 v[126:127], v[120:121], v[110:111], v[124:125] op_sel:[0,0,1] op_sel_hi:[1,1,0] neg_lo:[0,0,1] neg_hi:[0,0,1]
	v_pk_fma_f32 v[120:121], v[120:121], v[110:111], v[124:125] op_sel:[0,0,1] op_sel_hi:[1,0,0]
	s_delay_alu instid0(VALU_DEP_1) | instskip(SKIP_1) | instid1(VALU_DEP_1)
	v_mov_b32_e32 v127, v121
	v_pk_mul_f32 v[120:121], v[122:123], v[112:113] op_sel:[0,1]
	v_pk_fma_f32 v[124:125], v[122:123], v[110:111], v[120:121] op_sel:[0,0,1] op_sel_hi:[1,1,0] neg_lo:[0,0,1] neg_hi:[0,0,1]
	v_pk_fma_f32 v[120:121], v[122:123], v[110:111], v[120:121] op_sel:[0,0,1] op_sel_hi:[1,0,0]
	s_delay_alu instid0(VALU_DEP_1)
	v_mov_b32_e32 v125, v121
	ds_load_2addr_b64 v[120:123], v114 offset0:48 offset1:49
	v_pk_add_f32 v[34:35], v[34:35], v[126:127] neg_lo:[0,1] neg_hi:[0,1]
	v_pk_add_f32 v[8:9], v[8:9], v[124:125] neg_lo:[0,1] neg_hi:[0,1]
	s_wait_dscnt 0x0
	v_pk_mul_f32 v[124:125], v[120:121], v[112:113] op_sel:[0,1]
	s_delay_alu instid0(VALU_DEP_1) | instskip(SKIP_1) | instid1(VALU_DEP_1)
	v_pk_fma_f32 v[126:127], v[120:121], v[110:111], v[124:125] op_sel:[0,0,1] op_sel_hi:[1,1,0] neg_lo:[0,0,1] neg_hi:[0,0,1]
	v_pk_fma_f32 v[120:121], v[120:121], v[110:111], v[124:125] op_sel:[0,0,1] op_sel_hi:[1,0,0]
	v_mov_b32_e32 v127, v121
	v_pk_mul_f32 v[120:121], v[122:123], v[112:113] op_sel:[0,1]
	s_delay_alu instid0(VALU_DEP_1) | instskip(SKIP_1) | instid1(VALU_DEP_1)
	v_pk_fma_f32 v[124:125], v[122:123], v[110:111], v[120:121] op_sel:[0,0,1] op_sel_hi:[1,1,0] neg_lo:[0,0,1] neg_hi:[0,0,1]
	v_pk_fma_f32 v[120:121], v[122:123], v[110:111], v[120:121] op_sel:[0,0,1] op_sel_hi:[1,0,0]
	v_mov_b32_e32 v125, v121
	ds_load_2addr_b64 v[120:123], v114 offset0:50 offset1:51
	v_pk_add_f32 v[28:29], v[28:29], v[126:127] neg_lo:[0,1] neg_hi:[0,1]
	v_pk_add_f32 v[16:17], v[16:17], v[124:125] neg_lo:[0,1] neg_hi:[0,1]
	s_wait_dscnt 0x0
	v_dual_mul_f32 v124, v121, v113 :: v_dual_mul_f32 v126, v121, v110
	v_pk_mul_f32 v[112:113], v[122:123], v[112:113] op_sel:[0,1]
	s_delay_alu instid0(VALU_DEP_2) | instskip(NEXT) | instid1(VALU_DEP_3)
	v_pk_fma_f32 v[124:125], v[120:121], v[18:19], v[124:125] op_sel_hi:[1,1,0] neg_lo:[0,0,1] neg_hi:[0,0,1]
	v_pk_fma_f32 v[120:121], v[120:121], v[18:19], v[126:127] op_sel:[1,0,0] op_sel_hi:[0,1,0]
	s_delay_alu instid0(VALU_DEP_1) | instskip(NEXT) | instid1(VALU_DEP_4)
	v_mov_b32_e32 v125, v121
	v_pk_fma_f32 v[120:121], v[122:123], v[110:111], v[112:113] op_sel:[0,0,1] op_sel_hi:[1,1,0] neg_lo:[0,0,1] neg_hi:[0,0,1]
	v_pk_fma_f32 v[110:111], v[122:123], v[110:111], v[112:113] op_sel:[0,0,1] op_sel_hi:[1,0,0]
	s_delay_alu instid0(VALU_DEP_1) | instskip(NEXT) | instid1(VALU_DEP_4)
	v_mov_b32_e32 v121, v111
	v_pk_add_f32 v[14:15], v[14:15], v[124:125] neg_lo:[0,1] neg_hi:[0,1]
	s_delay_alu instid0(VALU_DEP_2)
	v_pk_add_f32 v[108:109], v[108:109], v[120:121] neg_lo:[0,1] neg_hi:[0,1]
.LBB102_671:
	s_or_b32 exec_lo, exec_lo, s0
	v_lshl_add_u32 v110, v118, 3, v114
	s_barrier_signal -1
	s_barrier_wait -1
	ds_store_b64 v110, v[56:57]
	s_wait_dscnt 0x0
	s_barrier_signal -1
	s_barrier_wait -1
	ds_load_b64 v[112:113], v114 offset:256
	v_mov_b32_e32 v110, 32
	s_cmp_lt_i32 s18, 34
	s_cbranch_scc1 .LBB102_674
; %bb.672:
	v_add3_u32 v111, v115, 0, 0x108
	v_mov_b32_e32 v110, 32
	s_mov_b32 s0, 33
.LBB102_673:                            ; =>This Inner Loop Header: Depth=1
	ds_load_b64 v[120:121], v111
	s_wait_dscnt 0x1
	v_cmp_gt_f32_e32 vcc_lo, 0, v112
	v_cndmask_b32_e64 v122, v112, -v112, vcc_lo
	v_cmp_gt_f32_e32 vcc_lo, 0, v113
	v_cndmask_b32_e64 v124, v113, -v113, vcc_lo
	s_wait_dscnt 0x0
	v_cmp_gt_f32_e32 vcc_lo, 0, v120
	v_cndmask_b32_e64 v123, v120, -v120, vcc_lo
	v_cmp_gt_f32_e32 vcc_lo, 0, v121
	v_cndmask_b32_e64 v125, v121, -v121, vcc_lo
	s_delay_alu instid0(VALU_DEP_1) | instskip(NEXT) | instid1(VALU_DEP_1)
	v_pk_add_f32 v[122:123], v[122:123], v[124:125]
	v_cmp_lt_f32_e32 vcc_lo, v122, v123
	v_dual_add_nc_u32 v111, 8, v111 :: v_dual_cndmask_b32 v113, v113, v121, vcc_lo
	v_cndmask_b32_e32 v112, v112, v120, vcc_lo
	v_cndmask_b32_e64 v110, v110, s0, vcc_lo
	s_add_co_i32 s0, s0, 1
	s_delay_alu instid0(SALU_CYCLE_1)
	s_cmp_lg_u32 s18, s0
	s_cbranch_scc1 .LBB102_673
.LBB102_674:
	s_wait_dscnt 0x0
	v_cmp_eq_f32_e32 vcc_lo, 0, v112
	v_cmp_eq_f32_e64 s0, 0, v113
	s_and_b32 s0, vcc_lo, s0
	s_delay_alu instid0(SALU_CYCLE_1) | instskip(NEXT) | instid1(SALU_CYCLE_1)
	s_and_saveexec_b32 s1, s0
	s_xor_b32 s0, exec_lo, s1
; %bb.675:
	v_cmp_ne_u32_e32 vcc_lo, 0, v116
	v_cndmask_b32_e32 v116, 33, v116, vcc_lo
; %bb.676:
	s_and_not1_saveexec_b32 s0, s0
	s_cbranch_execz .LBB102_682
; %bb.677:
	v_cmp_ngt_f32_e64 s1, |v112|, |v113|
	s_and_saveexec_b32 s12, s1
	s_delay_alu instid0(SALU_CYCLE_1)
	s_xor_b32 s1, exec_lo, s12
	s_cbranch_execz .LBB102_679
; %bb.678:
	v_div_scale_f32 v111, null, v113, v113, v112
	v_div_scale_f32 v121, vcc_lo, v112, v113, v112
	s_delay_alu instid0(VALU_DEP_2) | instskip(SKIP_1) | instid1(TRANS32_DEP_1)
	v_rcp_f32_e32 v119, v111
	v_nop
	v_fma_f32 v120, -v111, v119, 1.0
	s_delay_alu instid0(VALU_DEP_1) | instskip(NEXT) | instid1(VALU_DEP_1)
	v_fmac_f32_e32 v119, v120, v119
	v_mul_f32_e32 v120, v121, v119
	s_delay_alu instid0(VALU_DEP_1) | instskip(NEXT) | instid1(VALU_DEP_1)
	v_fma_f32 v122, -v111, v120, v121
	v_fmac_f32_e32 v120, v122, v119
	s_delay_alu instid0(VALU_DEP_1) | instskip(NEXT) | instid1(VALU_DEP_1)
	v_fma_f32 v111, -v111, v120, v121
	v_div_fmas_f32 v111, v111, v119, v120
	s_delay_alu instid0(VALU_DEP_1) | instskip(NEXT) | instid1(VALU_DEP_1)
	v_div_fixup_f32 v111, v111, v113, v112
	v_fmac_f32_e32 v113, v112, v111
	s_delay_alu instid0(VALU_DEP_1) | instskip(SKIP_1) | instid1(VALU_DEP_2)
	v_div_scale_f32 v112, null, v113, v113, 1.0
	v_div_scale_f32 v121, vcc_lo, 1.0, v113, 1.0
	v_rcp_f32_e32 v119, v112
	v_nop
	s_delay_alu instid0(TRANS32_DEP_1) | instskip(NEXT) | instid1(VALU_DEP_1)
	v_fma_f32 v120, -v112, v119, 1.0
	v_fmac_f32_e32 v119, v120, v119
	s_delay_alu instid0(VALU_DEP_1) | instskip(NEXT) | instid1(VALU_DEP_1)
	v_mul_f32_e32 v120, v121, v119
	v_fma_f32 v122, -v112, v120, v121
	s_delay_alu instid0(VALU_DEP_1) | instskip(NEXT) | instid1(VALU_DEP_1)
	v_fmac_f32_e32 v120, v122, v119
	v_fma_f32 v112, -v112, v120, v121
	s_delay_alu instid0(VALU_DEP_1) | instskip(NEXT) | instid1(VALU_DEP_1)
	v_div_fmas_f32 v112, v112, v119, v120
	v_div_fixup_f32 v113, v112, v113, 1.0
	s_delay_alu instid0(VALU_DEP_1)
	v_mul_f32_e32 v112, v111, v113
	v_xor_b32_e32 v113, 0x80000000, v113
.LBB102_679:
	s_and_not1_saveexec_b32 s1, s1
	s_cbranch_execz .LBB102_681
; %bb.680:
	s_delay_alu instid0(VALU_DEP_1) | instskip(SKIP_1) | instid1(VALU_DEP_2)
	v_div_scale_f32 v111, null, v112, v112, v113
	v_div_scale_f32 v121, vcc_lo, v113, v112, v113
	v_rcp_f32_e32 v119, v111
	v_nop
	s_delay_alu instid0(TRANS32_DEP_1) | instskip(NEXT) | instid1(VALU_DEP_1)
	v_fma_f32 v120, -v111, v119, 1.0
	v_fmac_f32_e32 v119, v120, v119
	s_delay_alu instid0(VALU_DEP_1) | instskip(NEXT) | instid1(VALU_DEP_1)
	v_mul_f32_e32 v120, v121, v119
	v_fma_f32 v122, -v111, v120, v121
	s_delay_alu instid0(VALU_DEP_1) | instskip(NEXT) | instid1(VALU_DEP_1)
	v_fmac_f32_e32 v120, v122, v119
	v_fma_f32 v111, -v111, v120, v121
	s_delay_alu instid0(VALU_DEP_1) | instskip(NEXT) | instid1(VALU_DEP_1)
	v_div_fmas_f32 v111, v111, v119, v120
	v_div_fixup_f32 v111, v111, v112, v113
	s_delay_alu instid0(VALU_DEP_1) | instskip(NEXT) | instid1(VALU_DEP_1)
	v_fmac_f32_e32 v112, v113, v111
	v_div_scale_f32 v113, null, v112, v112, 1.0
	s_delay_alu instid0(VALU_DEP_1) | instskip(SKIP_1) | instid1(TRANS32_DEP_1)
	v_rcp_f32_e32 v119, v113
	v_nop
	v_fma_f32 v120, -v113, v119, 1.0
	s_delay_alu instid0(VALU_DEP_1) | instskip(SKIP_1) | instid1(VALU_DEP_1)
	v_fmac_f32_e32 v119, v120, v119
	v_div_scale_f32 v120, vcc_lo, 1.0, v112, 1.0
	v_mul_f32_e32 v121, v120, v119
	s_delay_alu instid0(VALU_DEP_1) | instskip(NEXT) | instid1(VALU_DEP_1)
	v_fma_f32 v122, -v113, v121, v120
	v_fmac_f32_e32 v121, v122, v119
	s_delay_alu instid0(VALU_DEP_1) | instskip(NEXT) | instid1(VALU_DEP_1)
	v_fma_f32 v113, -v113, v121, v120
	v_div_fmas_f32 v113, v113, v119, v121
	s_delay_alu instid0(VALU_DEP_1) | instskip(NEXT) | instid1(VALU_DEP_1)
	v_div_fixup_f32 v112, v113, v112, 1.0
	v_mul_f32_e64 v113, v111, -v112
.LBB102_681:
	s_or_b32 exec_lo, exec_lo, s1
.LBB102_682:
	s_delay_alu instid0(SALU_CYCLE_1) | instskip(NEXT) | instid1(SALU_CYCLE_1)
	s_or_b32 exec_lo, exec_lo, s0
	s_mov_b32 s0, exec_lo
	v_cmpx_ne_u32_e64 v118, v110
	s_xor_b32 s0, exec_lo, s0
	s_cbranch_execz .LBB102_688
; %bb.683:
	s_mov_b32 s1, exec_lo
	v_cmpx_eq_u32_e32 32, v118
	s_cbranch_execz .LBB102_687
; %bb.684:
	v_cmp_ne_u32_e32 vcc_lo, 32, v110
	s_xor_b32 s12, s16, -1
	s_delay_alu instid0(SALU_CYCLE_1) | instskip(NEXT) | instid1(SALU_CYCLE_1)
	s_and_b32 s13, s12, vcc_lo
	s_and_saveexec_b32 s12, s13
	s_cbranch_execz .LBB102_686
; %bb.685:
	v_ashrrev_i32_e32 v111, 31, v110
	s_delay_alu instid0(VALU_DEP_1)
	v_lshl_add_u64 v[118:119], v[110:111], 2, v[4:5]
	s_clause 0x1
	global_load_b32 v111, v[118:119], off
	global_load_b32 v117, v[4:5], off offset:128
	s_wait_loadcnt 0x1
	global_store_b32 v[4:5], v111, off offset:128
	s_wait_loadcnt 0x0
	global_store_b32 v[118:119], v117, off
.LBB102_686:
	s_wait_xcnt 0x0
	s_or_b32 exec_lo, exec_lo, s12
	v_dual_mov_b32 v118, v110 :: v_dual_mov_b32 v117, v110
.LBB102_687:
	s_or_b32 exec_lo, exec_lo, s1
.LBB102_688:
	s_and_not1_saveexec_b32 s0, s0
	s_cbranch_execz .LBB102_690
; %bb.689:
	v_mov_b32_e32 v118, 32
	ds_store_2addr_b64 v114, v[52:53], v[54:55] offset0:33 offset1:34
	ds_store_2addr_b64 v114, v[12:13], v[50:51] offset0:35 offset1:36
	ds_store_2addr_b64 v114, v[46:47], v[48:49] offset0:37 offset1:38
	ds_store_2addr_b64 v114, v[10:11], v[44:45] offset0:39 offset1:40
	ds_store_2addr_b64 v114, v[40:41], v[42:43] offset0:41 offset1:42
	ds_store_2addr_b64 v114, v[6:7], v[36:37] offset0:43 offset1:44
	ds_store_2addr_b64 v114, v[30:31], v[34:35] offset0:45 offset1:46
	ds_store_2addr_b64 v114, v[8:9], v[28:29] offset0:47 offset1:48
	ds_store_2addr_b64 v114, v[16:17], v[14:15] offset0:49 offset1:50
	ds_store_b64 v114, v[108:109] offset:408
.LBB102_690:
	s_or_b32 exec_lo, exec_lo, s0
	s_delay_alu instid0(SALU_CYCLE_1)
	s_mov_b32 s0, exec_lo
	s_wait_storecnt_dscnt 0x0
	s_barrier_signal -1
	s_barrier_wait -1
	v_cmpx_lt_i32_e32 32, v118
	s_cbranch_execz .LBB102_692
; %bb.691:
	v_pk_mul_f32 v[120:121], v[112:113], v[56:57] op_sel:[1,1] op_sel_hi:[0,1]
	s_delay_alu instid0(VALU_DEP_1)
	v_pk_fma_f32 v[110:111], v[112:113], v[56:57], v[120:121] op_sel_hi:[1,0,1] neg_lo:[0,0,1] neg_hi:[0,0,1]
	v_pk_fma_f32 v[112:113], v[112:113], v[56:57], v[120:121] op_sel_hi:[1,0,1]
	ds_load_2addr_b64 v[120:123], v114 offset0:33 offset1:34
	v_dual_mov_b32 v56, v110 :: v_dual_mov_b32 v57, v113
	s_wait_dscnt 0x0
	v_pk_mul_f32 v[124:125], v[120:121], v[112:113] op_sel:[0,1]
	s_delay_alu instid0(VALU_DEP_1) | instskip(SKIP_1) | instid1(VALU_DEP_1)
	v_pk_fma_f32 v[126:127], v[120:121], v[110:111], v[124:125] op_sel:[0,0,1] op_sel_hi:[1,1,0] neg_lo:[0,0,1] neg_hi:[0,0,1]
	v_pk_fma_f32 v[120:121], v[120:121], v[110:111], v[124:125] op_sel:[0,0,1] op_sel_hi:[1,0,0]
	v_mov_b32_e32 v127, v121
	v_pk_mul_f32 v[120:121], v[122:123], v[112:113] op_sel:[0,1]
	s_delay_alu instid0(VALU_DEP_1) | instskip(SKIP_1) | instid1(VALU_DEP_1)
	v_pk_fma_f32 v[124:125], v[122:123], v[110:111], v[120:121] op_sel:[0,0,1] op_sel_hi:[1,1,0] neg_lo:[0,0,1] neg_hi:[0,0,1]
	v_pk_fma_f32 v[120:121], v[122:123], v[110:111], v[120:121] op_sel:[0,0,1] op_sel_hi:[1,0,0]
	v_mov_b32_e32 v125, v121
	ds_load_2addr_b64 v[120:123], v114 offset0:35 offset1:36
	v_pk_add_f32 v[52:53], v[52:53], v[126:127] neg_lo:[0,1] neg_hi:[0,1]
	v_pk_add_f32 v[54:55], v[54:55], v[124:125] neg_lo:[0,1] neg_hi:[0,1]
	s_wait_dscnt 0x0
	v_pk_mul_f32 v[124:125], v[120:121], v[112:113] op_sel:[0,1]
	s_delay_alu instid0(VALU_DEP_1) | instskip(SKIP_2) | instid1(VALU_DEP_2)
	v_pk_fma_f32 v[126:127], v[120:121], v[110:111], v[124:125] op_sel:[0,0,1] op_sel_hi:[1,1,0] neg_lo:[0,0,1] neg_hi:[0,0,1]
	v_pk_fma_f32 v[120:121], v[120:121], v[110:111], v[124:125] op_sel:[0,0,1] op_sel_hi:[1,0,0]
	v_dual_mul_f32 v124, v123, v113 :: v_dual_mov_b32 v120, v123
	v_dual_mov_b32 v127, v121 :: v_dual_mov_b32 v121, v122
	s_delay_alu instid0(VALU_DEP_2) | instskip(SKIP_1) | instid1(VALU_DEP_3)
	v_pk_fma_f32 v[124:125], v[122:123], v[56:57], v[124:125] op_sel_hi:[1,1,0] neg_lo:[0,0,1] neg_hi:[0,0,1]
	v_mul_f32_e32 v122, v123, v110
	v_pk_add_f32 v[12:13], v[12:13], v[126:127] neg_lo:[0,1] neg_hi:[0,1]
	s_delay_alu instid0(VALU_DEP_2) | instskip(NEXT) | instid1(VALU_DEP_1)
	v_pk_fma_f32 v[120:121], v[120:121], v[56:57], v[122:123] op_sel_hi:[1,1,0]
	v_mov_b32_e32 v125, v121
	ds_load_2addr_b64 v[120:123], v114 offset0:37 offset1:38
	v_pk_add_f32 v[50:51], v[50:51], v[124:125] neg_lo:[0,1] neg_hi:[0,1]
	s_wait_dscnt 0x0
	v_pk_mul_f32 v[124:125], v[120:121], v[112:113] op_sel:[0,1]
	s_delay_alu instid0(VALU_DEP_1) | instskip(SKIP_1) | instid1(VALU_DEP_1)
	v_pk_fma_f32 v[126:127], v[120:121], v[110:111], v[124:125] op_sel:[0,0,1] op_sel_hi:[1,1,0] neg_lo:[0,0,1] neg_hi:[0,0,1]
	v_pk_fma_f32 v[120:121], v[120:121], v[110:111], v[124:125] op_sel:[0,0,1] op_sel_hi:[1,0,0]
	v_mov_b32_e32 v127, v121
	v_pk_mul_f32 v[120:121], v[122:123], v[112:113] op_sel:[0,1]
	s_delay_alu instid0(VALU_DEP_1) | instskip(SKIP_1) | instid1(VALU_DEP_1)
	v_pk_fma_f32 v[124:125], v[122:123], v[110:111], v[120:121] op_sel:[0,0,1] op_sel_hi:[1,1,0] neg_lo:[0,0,1] neg_hi:[0,0,1]
	v_pk_fma_f32 v[120:121], v[122:123], v[110:111], v[120:121] op_sel:[0,0,1] op_sel_hi:[1,0,0]
	v_mov_b32_e32 v125, v121
	ds_load_2addr_b64 v[120:123], v114 offset0:39 offset1:40
	v_pk_add_f32 v[46:47], v[46:47], v[126:127] neg_lo:[0,1] neg_hi:[0,1]
	v_pk_add_f32 v[48:49], v[48:49], v[124:125] neg_lo:[0,1] neg_hi:[0,1]
	s_wait_dscnt 0x0
	v_pk_mul_f32 v[124:125], v[120:121], v[112:113] op_sel:[0,1]
	s_delay_alu instid0(VALU_DEP_1) | instskip(SKIP_1) | instid1(VALU_DEP_1)
	v_pk_fma_f32 v[126:127], v[120:121], v[110:111], v[124:125] op_sel:[0,0,1] op_sel_hi:[1,1,0] neg_lo:[0,0,1] neg_hi:[0,0,1]
	v_pk_fma_f32 v[120:121], v[120:121], v[110:111], v[124:125] op_sel:[0,0,1] op_sel_hi:[1,0,0]
	v_mov_b32_e32 v127, v121
	v_pk_mul_f32 v[120:121], v[122:123], v[112:113] op_sel:[0,1]
	s_delay_alu instid0(VALU_DEP_1) | instskip(SKIP_1) | instid1(VALU_DEP_1)
	v_pk_fma_f32 v[124:125], v[122:123], v[110:111], v[120:121] op_sel:[0,0,1] op_sel_hi:[1,1,0] neg_lo:[0,0,1] neg_hi:[0,0,1]
	v_pk_fma_f32 v[120:121], v[122:123], v[110:111], v[120:121] op_sel:[0,0,1] op_sel_hi:[1,0,0]
	v_mov_b32_e32 v125, v121
	ds_load_2addr_b64 v[120:123], v114 offset0:41 offset1:42
	v_pk_add_f32 v[10:11], v[10:11], v[126:127] neg_lo:[0,1] neg_hi:[0,1]
	v_pk_add_f32 v[44:45], v[44:45], v[124:125] neg_lo:[0,1] neg_hi:[0,1]
	s_wait_dscnt 0x0
	v_dual_mul_f32 v124, v121, v113 :: v_dual_mul_f32 v126, v121, v110
	s_delay_alu instid0(VALU_DEP_1) | instskip(NEXT) | instid1(VALU_DEP_2)
	v_pk_fma_f32 v[124:125], v[120:121], v[56:57], v[124:125] op_sel_hi:[1,1,0] neg_lo:[0,0,1] neg_hi:[0,0,1]
	v_pk_fma_f32 v[120:121], v[120:121], v[56:57], v[126:127] op_sel:[1,0,0] op_sel_hi:[0,1,0]
	s_delay_alu instid0(VALU_DEP_1) | instskip(SKIP_1) | instid1(VALU_DEP_2)
	v_mov_b32_e32 v125, v121
	v_pk_mul_f32 v[120:121], v[122:123], v[112:113] op_sel:[0,1]
	v_pk_add_f32 v[40:41], v[40:41], v[124:125] neg_lo:[0,1] neg_hi:[0,1]
	s_delay_alu instid0(VALU_DEP_2) | instskip(SKIP_1) | instid1(VALU_DEP_1)
	v_pk_fma_f32 v[124:125], v[122:123], v[110:111], v[120:121] op_sel:[0,0,1] op_sel_hi:[1,1,0] neg_lo:[0,0,1] neg_hi:[0,0,1]
	v_pk_fma_f32 v[120:121], v[122:123], v[110:111], v[120:121] op_sel:[0,0,1] op_sel_hi:[1,0,0]
	v_mov_b32_e32 v125, v121
	ds_load_2addr_b64 v[120:123], v114 offset0:43 offset1:44
	v_pk_add_f32 v[42:43], v[42:43], v[124:125] neg_lo:[0,1] neg_hi:[0,1]
	s_wait_dscnt 0x0
	v_pk_mul_f32 v[124:125], v[120:121], v[112:113] op_sel:[0,1]
	s_delay_alu instid0(VALU_DEP_1) | instskip(SKIP_1) | instid1(VALU_DEP_1)
	v_pk_fma_f32 v[126:127], v[120:121], v[110:111], v[124:125] op_sel:[0,0,1] op_sel_hi:[1,1,0] neg_lo:[0,0,1] neg_hi:[0,0,1]
	v_pk_fma_f32 v[120:121], v[120:121], v[110:111], v[124:125] op_sel:[0,0,1] op_sel_hi:[1,0,0]
	v_mov_b32_e32 v127, v121
	v_pk_mul_f32 v[120:121], v[122:123], v[112:113] op_sel:[0,1]
	s_delay_alu instid0(VALU_DEP_2) | instskip(NEXT) | instid1(VALU_DEP_2)
	v_pk_add_f32 v[6:7], v[6:7], v[126:127] neg_lo:[0,1] neg_hi:[0,1]
	v_pk_fma_f32 v[124:125], v[122:123], v[110:111], v[120:121] op_sel:[0,0,1] op_sel_hi:[1,1,0] neg_lo:[0,0,1] neg_hi:[0,0,1]
	v_pk_fma_f32 v[120:121], v[122:123], v[110:111], v[120:121] op_sel:[0,0,1] op_sel_hi:[1,0,0]
	s_delay_alu instid0(VALU_DEP_1) | instskip(SKIP_4) | instid1(VALU_DEP_1)
	v_mov_b32_e32 v125, v121
	ds_load_2addr_b64 v[120:123], v114 offset0:45 offset1:46
	v_pk_add_f32 v[36:37], v[36:37], v[124:125] neg_lo:[0,1] neg_hi:[0,1]
	s_wait_dscnt 0x0
	v_pk_mul_f32 v[124:125], v[120:121], v[112:113] op_sel:[0,1]
	v_pk_fma_f32 v[126:127], v[120:121], v[110:111], v[124:125] op_sel:[0,0,1] op_sel_hi:[1,1,0] neg_lo:[0,0,1] neg_hi:[0,0,1]
	v_pk_fma_f32 v[120:121], v[120:121], v[110:111], v[124:125] op_sel:[0,0,1] op_sel_hi:[1,0,0]
	v_dual_mul_f32 v124, v123, v113 :: v_dual_mov_b32 v120, v123
	s_delay_alu instid0(VALU_DEP_2) | instskip(NEXT) | instid1(VALU_DEP_2)
	v_dual_mov_b32 v127, v121 :: v_dual_mov_b32 v121, v122
	v_pk_fma_f32 v[124:125], v[122:123], v[56:57], v[124:125] op_sel_hi:[1,1,0] neg_lo:[0,0,1] neg_hi:[0,0,1]
	v_mul_f32_e32 v122, v123, v110
	s_delay_alu instid0(VALU_DEP_3) | instskip(NEXT) | instid1(VALU_DEP_2)
	v_pk_add_f32 v[30:31], v[30:31], v[126:127] neg_lo:[0,1] neg_hi:[0,1]
	v_pk_fma_f32 v[120:121], v[120:121], v[56:57], v[122:123] op_sel_hi:[1,1,0]
	s_delay_alu instid0(VALU_DEP_1) | instskip(SKIP_4) | instid1(VALU_DEP_1)
	v_mov_b32_e32 v125, v121
	ds_load_2addr_b64 v[120:123], v114 offset0:47 offset1:48
	v_pk_add_f32 v[34:35], v[34:35], v[124:125] neg_lo:[0,1] neg_hi:[0,1]
	s_wait_dscnt 0x0
	v_pk_mul_f32 v[124:125], v[120:121], v[112:113] op_sel:[0,1]
	v_pk_fma_f32 v[126:127], v[120:121], v[110:111], v[124:125] op_sel:[0,0,1] op_sel_hi:[1,1,0] neg_lo:[0,0,1] neg_hi:[0,0,1]
	v_pk_fma_f32 v[120:121], v[120:121], v[110:111], v[124:125] op_sel:[0,0,1] op_sel_hi:[1,0,0]
	s_delay_alu instid0(VALU_DEP_1) | instskip(SKIP_1) | instid1(VALU_DEP_1)
	v_mov_b32_e32 v127, v121
	v_pk_mul_f32 v[120:121], v[122:123], v[112:113] op_sel:[0,1]
	v_pk_fma_f32 v[124:125], v[122:123], v[110:111], v[120:121] op_sel:[0,0,1] op_sel_hi:[1,1,0] neg_lo:[0,0,1] neg_hi:[0,0,1]
	v_pk_fma_f32 v[120:121], v[122:123], v[110:111], v[120:121] op_sel:[0,0,1] op_sel_hi:[1,0,0]
	s_delay_alu instid0(VALU_DEP_1)
	v_mov_b32_e32 v125, v121
	ds_load_2addr_b64 v[120:123], v114 offset0:49 offset1:50
	v_pk_add_f32 v[8:9], v[8:9], v[126:127] neg_lo:[0,1] neg_hi:[0,1]
	v_pk_add_f32 v[28:29], v[28:29], v[124:125] neg_lo:[0,1] neg_hi:[0,1]
	s_wait_dscnt 0x0
	v_pk_mul_f32 v[124:125], v[120:121], v[112:113] op_sel:[0,1]
	s_delay_alu instid0(VALU_DEP_1) | instskip(SKIP_1) | instid1(VALU_DEP_1)
	v_pk_fma_f32 v[126:127], v[120:121], v[110:111], v[124:125] op_sel:[0,0,1] op_sel_hi:[1,1,0] neg_lo:[0,0,1] neg_hi:[0,0,1]
	v_pk_fma_f32 v[120:121], v[120:121], v[110:111], v[124:125] op_sel:[0,0,1] op_sel_hi:[1,0,0]
	v_mov_b32_e32 v127, v121
	v_pk_mul_f32 v[120:121], v[122:123], v[112:113] op_sel:[0,1]
	s_delay_alu instid0(VALU_DEP_1) | instskip(SKIP_1) | instid1(VALU_DEP_1)
	v_pk_fma_f32 v[124:125], v[122:123], v[110:111], v[120:121] op_sel:[0,0,1] op_sel_hi:[1,1,0] neg_lo:[0,0,1] neg_hi:[0,0,1]
	v_pk_fma_f32 v[120:121], v[122:123], v[110:111], v[120:121] op_sel:[0,0,1] op_sel_hi:[1,0,0]
	v_mov_b32_e32 v125, v121
	ds_load_b64 v[120:121], v114 offset:408
	v_pk_add_f32 v[16:17], v[16:17], v[126:127] neg_lo:[0,1] neg_hi:[0,1]
	v_pk_add_f32 v[14:15], v[14:15], v[124:125] neg_lo:[0,1] neg_hi:[0,1]
	s_wait_dscnt 0x0
	v_pk_mul_f32 v[112:113], v[120:121], v[112:113] op_sel:[0,1]
	s_delay_alu instid0(VALU_DEP_1) | instskip(SKIP_1) | instid1(VALU_DEP_1)
	v_pk_fma_f32 v[122:123], v[120:121], v[110:111], v[112:113] op_sel:[0,0,1] op_sel_hi:[1,1,0] neg_lo:[0,0,1] neg_hi:[0,0,1]
	v_pk_fma_f32 v[110:111], v[120:121], v[110:111], v[112:113] op_sel:[0,0,1] op_sel_hi:[1,0,0]
	v_mov_b32_e32 v123, v111
	s_delay_alu instid0(VALU_DEP_1)
	v_pk_add_f32 v[108:109], v[108:109], v[122:123] neg_lo:[0,1] neg_hi:[0,1]
.LBB102_692:
	s_or_b32 exec_lo, exec_lo, s0
	v_lshl_add_u32 v110, v118, 3, v114
	s_barrier_signal -1
	s_barrier_wait -1
	ds_store_b64 v110, v[52:53]
	s_wait_dscnt 0x0
	s_barrier_signal -1
	s_barrier_wait -1
	ds_load_b64 v[110:111], v114 offset:264
	v_mov_b32_e32 v112, 33
	s_cmp_lt_i32 s18, 35
	s_cbranch_scc1 .LBB102_695
; %bb.693:
	v_add3_u32 v113, v115, 0, 0x110
	v_mov_b32_e32 v112, 33
	s_mov_b32 s0, 34
.LBB102_694:                            ; =>This Inner Loop Header: Depth=1
	ds_load_b64 v[120:121], v113
	s_wait_dscnt 0x1
	v_cmp_gt_f32_e32 vcc_lo, 0, v110
	v_cndmask_b32_e64 v122, v110, -v110, vcc_lo
	v_cmp_gt_f32_e32 vcc_lo, 0, v111
	v_cndmask_b32_e64 v124, v111, -v111, vcc_lo
	s_wait_dscnt 0x0
	v_cmp_gt_f32_e32 vcc_lo, 0, v120
	v_cndmask_b32_e64 v123, v120, -v120, vcc_lo
	v_cmp_gt_f32_e32 vcc_lo, 0, v121
	v_cndmask_b32_e64 v125, v121, -v121, vcc_lo
	s_delay_alu instid0(VALU_DEP_1) | instskip(NEXT) | instid1(VALU_DEP_1)
	v_pk_add_f32 v[122:123], v[122:123], v[124:125]
	v_cmp_lt_f32_e32 vcc_lo, v122, v123
	v_dual_cndmask_b32 v110, v110, v120 :: v_dual_add_nc_u32 v113, 8, v113
	v_cndmask_b32_e32 v111, v111, v121, vcc_lo
	v_cndmask_b32_e64 v112, v112, s0, vcc_lo
	s_add_co_i32 s0, s0, 1
	s_delay_alu instid0(SALU_CYCLE_1)
	s_cmp_lg_u32 s18, s0
	s_cbranch_scc1 .LBB102_694
.LBB102_695:
	s_wait_dscnt 0x0
	v_cmp_eq_f32_e32 vcc_lo, 0, v110
	v_cmp_eq_f32_e64 s0, 0, v111
	s_and_b32 s0, vcc_lo, s0
	s_delay_alu instid0(SALU_CYCLE_1) | instskip(NEXT) | instid1(SALU_CYCLE_1)
	s_and_saveexec_b32 s1, s0
	s_xor_b32 s0, exec_lo, s1
; %bb.696:
	v_cmp_ne_u32_e32 vcc_lo, 0, v116
	v_cndmask_b32_e32 v116, 34, v116, vcc_lo
; %bb.697:
	s_and_not1_saveexec_b32 s0, s0
	s_cbranch_execz .LBB102_703
; %bb.698:
	v_cmp_ngt_f32_e64 s1, |v110|, |v111|
	s_and_saveexec_b32 s12, s1
	s_delay_alu instid0(SALU_CYCLE_1)
	s_xor_b32 s1, exec_lo, s12
	s_cbranch_execz .LBB102_700
; %bb.699:
	v_div_scale_f32 v113, null, v111, v111, v110
	v_div_scale_f32 v121, vcc_lo, v110, v111, v110
	s_delay_alu instid0(VALU_DEP_2) | instskip(SKIP_1) | instid1(TRANS32_DEP_1)
	v_rcp_f32_e32 v119, v113
	v_nop
	v_fma_f32 v120, -v113, v119, 1.0
	s_delay_alu instid0(VALU_DEP_1) | instskip(NEXT) | instid1(VALU_DEP_1)
	v_fmac_f32_e32 v119, v120, v119
	v_mul_f32_e32 v120, v121, v119
	s_delay_alu instid0(VALU_DEP_1) | instskip(NEXT) | instid1(VALU_DEP_1)
	v_fma_f32 v122, -v113, v120, v121
	v_fmac_f32_e32 v120, v122, v119
	s_delay_alu instid0(VALU_DEP_1) | instskip(NEXT) | instid1(VALU_DEP_1)
	v_fma_f32 v113, -v113, v120, v121
	v_div_fmas_f32 v113, v113, v119, v120
	s_delay_alu instid0(VALU_DEP_1) | instskip(NEXT) | instid1(VALU_DEP_1)
	v_div_fixup_f32 v113, v113, v111, v110
	v_fmac_f32_e32 v111, v110, v113
	s_delay_alu instid0(VALU_DEP_1) | instskip(SKIP_1) | instid1(VALU_DEP_2)
	v_div_scale_f32 v110, null, v111, v111, 1.0
	v_div_scale_f32 v121, vcc_lo, 1.0, v111, 1.0
	v_rcp_f32_e32 v119, v110
	v_nop
	s_delay_alu instid0(TRANS32_DEP_1) | instskip(NEXT) | instid1(VALU_DEP_1)
	v_fma_f32 v120, -v110, v119, 1.0
	v_fmac_f32_e32 v119, v120, v119
	s_delay_alu instid0(VALU_DEP_1) | instskip(NEXT) | instid1(VALU_DEP_1)
	v_mul_f32_e32 v120, v121, v119
	v_fma_f32 v122, -v110, v120, v121
	s_delay_alu instid0(VALU_DEP_1) | instskip(NEXT) | instid1(VALU_DEP_1)
	v_fmac_f32_e32 v120, v122, v119
	v_fma_f32 v110, -v110, v120, v121
	s_delay_alu instid0(VALU_DEP_1) | instskip(NEXT) | instid1(VALU_DEP_1)
	v_div_fmas_f32 v110, v110, v119, v120
	v_div_fixup_f32 v111, v110, v111, 1.0
	s_delay_alu instid0(VALU_DEP_1)
	v_mul_f32_e32 v110, v113, v111
	v_xor_b32_e32 v111, 0x80000000, v111
.LBB102_700:
	s_and_not1_saveexec_b32 s1, s1
	s_cbranch_execz .LBB102_702
; %bb.701:
	s_delay_alu instid0(VALU_DEP_1) | instskip(SKIP_1) | instid1(VALU_DEP_2)
	v_div_scale_f32 v113, null, v110, v110, v111
	v_div_scale_f32 v121, vcc_lo, v111, v110, v111
	v_rcp_f32_e32 v119, v113
	v_nop
	s_delay_alu instid0(TRANS32_DEP_1) | instskip(NEXT) | instid1(VALU_DEP_1)
	v_fma_f32 v120, -v113, v119, 1.0
	v_fmac_f32_e32 v119, v120, v119
	s_delay_alu instid0(VALU_DEP_1) | instskip(NEXT) | instid1(VALU_DEP_1)
	v_mul_f32_e32 v120, v121, v119
	v_fma_f32 v122, -v113, v120, v121
	s_delay_alu instid0(VALU_DEP_1) | instskip(NEXT) | instid1(VALU_DEP_1)
	v_fmac_f32_e32 v120, v122, v119
	v_fma_f32 v113, -v113, v120, v121
	s_delay_alu instid0(VALU_DEP_1) | instskip(NEXT) | instid1(VALU_DEP_1)
	v_div_fmas_f32 v113, v113, v119, v120
	v_div_fixup_f32 v113, v113, v110, v111
	s_delay_alu instid0(VALU_DEP_1) | instskip(NEXT) | instid1(VALU_DEP_1)
	v_fmac_f32_e32 v110, v111, v113
	v_div_scale_f32 v111, null, v110, v110, 1.0
	s_delay_alu instid0(VALU_DEP_1) | instskip(SKIP_1) | instid1(TRANS32_DEP_1)
	v_rcp_f32_e32 v119, v111
	v_nop
	v_fma_f32 v120, -v111, v119, 1.0
	s_delay_alu instid0(VALU_DEP_1) | instskip(SKIP_1) | instid1(VALU_DEP_1)
	v_fmac_f32_e32 v119, v120, v119
	v_div_scale_f32 v120, vcc_lo, 1.0, v110, 1.0
	v_mul_f32_e32 v121, v120, v119
	s_delay_alu instid0(VALU_DEP_1) | instskip(NEXT) | instid1(VALU_DEP_1)
	v_fma_f32 v122, -v111, v121, v120
	v_fmac_f32_e32 v121, v122, v119
	s_delay_alu instid0(VALU_DEP_1) | instskip(NEXT) | instid1(VALU_DEP_1)
	v_fma_f32 v111, -v111, v121, v120
	v_div_fmas_f32 v111, v111, v119, v121
	s_delay_alu instid0(VALU_DEP_1) | instskip(NEXT) | instid1(VALU_DEP_1)
	v_div_fixup_f32 v110, v111, v110, 1.0
	v_mul_f32_e64 v111, v113, -v110
.LBB102_702:
	s_or_b32 exec_lo, exec_lo, s1
.LBB102_703:
	s_delay_alu instid0(SALU_CYCLE_1) | instskip(NEXT) | instid1(SALU_CYCLE_1)
	s_or_b32 exec_lo, exec_lo, s0
	s_mov_b32 s0, exec_lo
	v_cmpx_ne_u32_e64 v118, v112
	s_xor_b32 s0, exec_lo, s0
	s_cbranch_execz .LBB102_709
; %bb.704:
	s_mov_b32 s1, exec_lo
	v_cmpx_eq_u32_e32 33, v118
	s_cbranch_execz .LBB102_708
; %bb.705:
	v_cmp_ne_u32_e32 vcc_lo, 33, v112
	s_xor_b32 s12, s16, -1
	s_delay_alu instid0(SALU_CYCLE_1) | instskip(NEXT) | instid1(SALU_CYCLE_1)
	s_and_b32 s13, s12, vcc_lo
	s_and_saveexec_b32 s12, s13
	s_cbranch_execz .LBB102_707
; %bb.706:
	v_ashrrev_i32_e32 v113, 31, v112
	s_delay_alu instid0(VALU_DEP_1)
	v_lshl_add_u64 v[118:119], v[112:113], 2, v[4:5]
	s_clause 0x1
	global_load_b32 v113, v[118:119], off
	global_load_b32 v117, v[4:5], off offset:132
	s_wait_loadcnt 0x1
	global_store_b32 v[4:5], v113, off offset:132
	s_wait_loadcnt 0x0
	global_store_b32 v[118:119], v117, off
.LBB102_707:
	s_wait_xcnt 0x0
	s_or_b32 exec_lo, exec_lo, s12
	v_dual_mov_b32 v118, v112 :: v_dual_mov_b32 v117, v112
.LBB102_708:
	s_or_b32 exec_lo, exec_lo, s1
.LBB102_709:
	s_and_not1_saveexec_b32 s0, s0
	s_cbranch_execz .LBB102_711
; %bb.710:
	v_dual_mov_b32 v112, v54 :: v_dual_mov_b32 v113, v55
	v_dual_mov_b32 v118, v12 :: v_dual_mov_b32 v119, v13
	;; [unrolled: 1-line block ×8, first 2 shown]
	ds_store_2addr_b64 v114, v[112:113], v[118:119] offset0:34 offset1:35
	ds_store_2addr_b64 v114, v[120:121], v[122:123] offset0:36 offset1:37
	;; [unrolled: 1-line block ×4, first 2 shown]
	v_dual_mov_b32 v112, v42 :: v_dual_mov_b32 v113, v43
	v_dual_mov_b32 v120, v6 :: v_dual_mov_b32 v121, v7
	;; [unrolled: 1-line block ×9, first 2 shown]
	v_mov_b32_e32 v135, v15
	ds_store_2addr_b64 v114, v[112:113], v[120:121] offset0:42 offset1:43
	ds_store_2addr_b64 v114, v[122:123], v[124:125] offset0:44 offset1:45
	;; [unrolled: 1-line block ×5, first 2 shown]
.LBB102_711:
	s_or_b32 exec_lo, exec_lo, s0
	s_delay_alu instid0(SALU_CYCLE_1)
	s_mov_b32 s0, exec_lo
	s_wait_storecnt_dscnt 0x0
	s_barrier_signal -1
	s_barrier_wait -1
	v_cmpx_lt_i32_e32 33, v118
	s_cbranch_execz .LBB102_713
; %bb.712:
	v_pk_mul_f32 v[120:121], v[110:111], v[52:53] op_sel:[1,1] op_sel_hi:[0,1]
	s_delay_alu instid0(VALU_DEP_1)
	v_pk_fma_f32 v[112:113], v[110:111], v[52:53], v[120:121] op_sel_hi:[1,0,1] neg_lo:[0,0,1] neg_hi:[0,0,1]
	v_pk_fma_f32 v[110:111], v[110:111], v[52:53], v[120:121] op_sel_hi:[1,0,1]
	ds_load_2addr_b64 v[120:123], v114 offset0:34 offset1:35
	v_dual_mov_b32 v52, v112 :: v_dual_mov_b32 v53, v111
	s_wait_dscnt 0x0
	v_pk_mul_f32 v[124:125], v[120:121], v[110:111] op_sel:[0,1]
	s_delay_alu instid0(VALU_DEP_1) | instskip(SKIP_1) | instid1(VALU_DEP_1)
	v_pk_fma_f32 v[126:127], v[120:121], v[112:113], v[124:125] op_sel:[0,0,1] op_sel_hi:[1,1,0] neg_lo:[0,0,1] neg_hi:[0,0,1]
	v_pk_fma_f32 v[120:121], v[120:121], v[112:113], v[124:125] op_sel:[0,0,1] op_sel_hi:[1,0,0]
	v_mov_b32_e32 v127, v121
	v_pk_mul_f32 v[120:121], v[122:123], v[110:111] op_sel:[0,1]
	s_delay_alu instid0(VALU_DEP_1) | instskip(SKIP_1) | instid1(VALU_DEP_1)
	v_pk_fma_f32 v[124:125], v[122:123], v[112:113], v[120:121] op_sel:[0,0,1] op_sel_hi:[1,1,0] neg_lo:[0,0,1] neg_hi:[0,0,1]
	v_pk_fma_f32 v[120:121], v[122:123], v[112:113], v[120:121] op_sel:[0,0,1] op_sel_hi:[1,0,0]
	v_mov_b32_e32 v125, v121
	ds_load_2addr_b64 v[120:123], v114 offset0:36 offset1:37
	v_pk_add_f32 v[54:55], v[54:55], v[126:127] neg_lo:[0,1] neg_hi:[0,1]
	v_pk_add_f32 v[12:13], v[12:13], v[124:125] neg_lo:[0,1] neg_hi:[0,1]
	s_wait_dscnt 0x0
	v_pk_mul_f32 v[124:125], v[120:121], v[110:111] op_sel:[0,1]
	s_delay_alu instid0(VALU_DEP_1) | instskip(SKIP_2) | instid1(VALU_DEP_2)
	v_pk_fma_f32 v[126:127], v[120:121], v[112:113], v[124:125] op_sel:[0,0,1] op_sel_hi:[1,1,0] neg_lo:[0,0,1] neg_hi:[0,0,1]
	v_pk_fma_f32 v[120:121], v[120:121], v[112:113], v[124:125] op_sel:[0,0,1] op_sel_hi:[1,0,0]
	v_dual_mul_f32 v124, v123, v111 :: v_dual_mov_b32 v120, v123
	v_dual_mov_b32 v127, v121 :: v_dual_mov_b32 v121, v122
	s_delay_alu instid0(VALU_DEP_2) | instskip(SKIP_1) | instid1(VALU_DEP_3)
	v_pk_fma_f32 v[124:125], v[122:123], v[52:53], v[124:125] op_sel_hi:[1,1,0] neg_lo:[0,0,1] neg_hi:[0,0,1]
	v_mul_f32_e32 v122, v123, v112
	v_pk_add_f32 v[50:51], v[50:51], v[126:127] neg_lo:[0,1] neg_hi:[0,1]
	s_delay_alu instid0(VALU_DEP_2) | instskip(NEXT) | instid1(VALU_DEP_1)
	v_pk_fma_f32 v[120:121], v[120:121], v[52:53], v[122:123] op_sel_hi:[1,1,0]
	v_mov_b32_e32 v125, v121
	ds_load_2addr_b64 v[120:123], v114 offset0:38 offset1:39
	v_pk_add_f32 v[46:47], v[46:47], v[124:125] neg_lo:[0,1] neg_hi:[0,1]
	s_wait_dscnt 0x0
	v_pk_mul_f32 v[124:125], v[120:121], v[110:111] op_sel:[0,1]
	s_delay_alu instid0(VALU_DEP_1) | instskip(SKIP_1) | instid1(VALU_DEP_1)
	v_pk_fma_f32 v[126:127], v[120:121], v[112:113], v[124:125] op_sel:[0,0,1] op_sel_hi:[1,1,0] neg_lo:[0,0,1] neg_hi:[0,0,1]
	v_pk_fma_f32 v[120:121], v[120:121], v[112:113], v[124:125] op_sel:[0,0,1] op_sel_hi:[1,0,0]
	v_mov_b32_e32 v127, v121
	v_pk_mul_f32 v[120:121], v[122:123], v[110:111] op_sel:[0,1]
	s_delay_alu instid0(VALU_DEP_1) | instskip(SKIP_1) | instid1(VALU_DEP_1)
	v_pk_fma_f32 v[124:125], v[122:123], v[112:113], v[120:121] op_sel:[0,0,1] op_sel_hi:[1,1,0] neg_lo:[0,0,1] neg_hi:[0,0,1]
	v_pk_fma_f32 v[120:121], v[122:123], v[112:113], v[120:121] op_sel:[0,0,1] op_sel_hi:[1,0,0]
	v_mov_b32_e32 v125, v121
	ds_load_2addr_b64 v[120:123], v114 offset0:40 offset1:41
	v_pk_add_f32 v[48:49], v[48:49], v[126:127] neg_lo:[0,1] neg_hi:[0,1]
	v_pk_add_f32 v[10:11], v[10:11], v[124:125] neg_lo:[0,1] neg_hi:[0,1]
	s_wait_dscnt 0x0
	v_pk_mul_f32 v[124:125], v[120:121], v[110:111] op_sel:[0,1]
	s_delay_alu instid0(VALU_DEP_1) | instskip(SKIP_1) | instid1(VALU_DEP_1)
	v_pk_fma_f32 v[126:127], v[120:121], v[112:113], v[124:125] op_sel:[0,0,1] op_sel_hi:[1,1,0] neg_lo:[0,0,1] neg_hi:[0,0,1]
	v_pk_fma_f32 v[120:121], v[120:121], v[112:113], v[124:125] op_sel:[0,0,1] op_sel_hi:[1,0,0]
	v_mov_b32_e32 v127, v121
	v_pk_mul_f32 v[120:121], v[122:123], v[110:111] op_sel:[0,1]
	s_delay_alu instid0(VALU_DEP_1) | instskip(SKIP_1) | instid1(VALU_DEP_1)
	v_pk_fma_f32 v[124:125], v[122:123], v[112:113], v[120:121] op_sel:[0,0,1] op_sel_hi:[1,1,0] neg_lo:[0,0,1] neg_hi:[0,0,1]
	v_pk_fma_f32 v[120:121], v[122:123], v[112:113], v[120:121] op_sel:[0,0,1] op_sel_hi:[1,0,0]
	v_mov_b32_e32 v125, v121
	ds_load_2addr_b64 v[120:123], v114 offset0:42 offset1:43
	v_pk_add_f32 v[44:45], v[44:45], v[126:127] neg_lo:[0,1] neg_hi:[0,1]
	v_pk_add_f32 v[40:41], v[40:41], v[124:125] neg_lo:[0,1] neg_hi:[0,1]
	s_wait_dscnt 0x0
	v_dual_mul_f32 v124, v121, v111 :: v_dual_mul_f32 v126, v121, v112
	s_delay_alu instid0(VALU_DEP_1) | instskip(NEXT) | instid1(VALU_DEP_2)
	v_pk_fma_f32 v[124:125], v[120:121], v[52:53], v[124:125] op_sel_hi:[1,1,0] neg_lo:[0,0,1] neg_hi:[0,0,1]
	v_pk_fma_f32 v[120:121], v[120:121], v[52:53], v[126:127] op_sel:[1,0,0] op_sel_hi:[0,1,0]
	s_delay_alu instid0(VALU_DEP_1) | instskip(SKIP_1) | instid1(VALU_DEP_2)
	v_mov_b32_e32 v125, v121
	v_pk_mul_f32 v[120:121], v[122:123], v[110:111] op_sel:[0,1]
	v_pk_add_f32 v[42:43], v[42:43], v[124:125] neg_lo:[0,1] neg_hi:[0,1]
	s_delay_alu instid0(VALU_DEP_2) | instskip(SKIP_1) | instid1(VALU_DEP_1)
	v_pk_fma_f32 v[124:125], v[122:123], v[112:113], v[120:121] op_sel:[0,0,1] op_sel_hi:[1,1,0] neg_lo:[0,0,1] neg_hi:[0,0,1]
	v_pk_fma_f32 v[120:121], v[122:123], v[112:113], v[120:121] op_sel:[0,0,1] op_sel_hi:[1,0,0]
	v_mov_b32_e32 v125, v121
	ds_load_2addr_b64 v[120:123], v114 offset0:44 offset1:45
	v_pk_add_f32 v[6:7], v[6:7], v[124:125] neg_lo:[0,1] neg_hi:[0,1]
	s_wait_dscnt 0x0
	v_pk_mul_f32 v[124:125], v[120:121], v[110:111] op_sel:[0,1]
	s_delay_alu instid0(VALU_DEP_1) | instskip(SKIP_1) | instid1(VALU_DEP_1)
	v_pk_fma_f32 v[126:127], v[120:121], v[112:113], v[124:125] op_sel:[0,0,1] op_sel_hi:[1,1,0] neg_lo:[0,0,1] neg_hi:[0,0,1]
	v_pk_fma_f32 v[120:121], v[120:121], v[112:113], v[124:125] op_sel:[0,0,1] op_sel_hi:[1,0,0]
	v_mov_b32_e32 v127, v121
	v_pk_mul_f32 v[120:121], v[122:123], v[110:111] op_sel:[0,1]
	s_delay_alu instid0(VALU_DEP_2) | instskip(NEXT) | instid1(VALU_DEP_2)
	v_pk_add_f32 v[36:37], v[36:37], v[126:127] neg_lo:[0,1] neg_hi:[0,1]
	v_pk_fma_f32 v[124:125], v[122:123], v[112:113], v[120:121] op_sel:[0,0,1] op_sel_hi:[1,1,0] neg_lo:[0,0,1] neg_hi:[0,0,1]
	v_pk_fma_f32 v[120:121], v[122:123], v[112:113], v[120:121] op_sel:[0,0,1] op_sel_hi:[1,0,0]
	s_delay_alu instid0(VALU_DEP_1) | instskip(SKIP_4) | instid1(VALU_DEP_1)
	v_mov_b32_e32 v125, v121
	ds_load_2addr_b64 v[120:123], v114 offset0:46 offset1:47
	v_pk_add_f32 v[30:31], v[30:31], v[124:125] neg_lo:[0,1] neg_hi:[0,1]
	s_wait_dscnt 0x0
	v_pk_mul_f32 v[124:125], v[120:121], v[110:111] op_sel:[0,1]
	v_pk_fma_f32 v[126:127], v[120:121], v[112:113], v[124:125] op_sel:[0,0,1] op_sel_hi:[1,1,0] neg_lo:[0,0,1] neg_hi:[0,0,1]
	v_pk_fma_f32 v[120:121], v[120:121], v[112:113], v[124:125] op_sel:[0,0,1] op_sel_hi:[1,0,0]
	v_dual_mul_f32 v124, v123, v111 :: v_dual_mov_b32 v120, v123
	s_delay_alu instid0(VALU_DEP_2) | instskip(NEXT) | instid1(VALU_DEP_2)
	v_dual_mov_b32 v127, v121 :: v_dual_mov_b32 v121, v122
	v_pk_fma_f32 v[124:125], v[122:123], v[52:53], v[124:125] op_sel_hi:[1,1,0] neg_lo:[0,0,1] neg_hi:[0,0,1]
	v_mul_f32_e32 v122, v123, v112
	s_delay_alu instid0(VALU_DEP_3) | instskip(NEXT) | instid1(VALU_DEP_2)
	v_pk_add_f32 v[34:35], v[34:35], v[126:127] neg_lo:[0,1] neg_hi:[0,1]
	v_pk_fma_f32 v[120:121], v[120:121], v[52:53], v[122:123] op_sel_hi:[1,1,0]
	s_delay_alu instid0(VALU_DEP_1) | instskip(SKIP_4) | instid1(VALU_DEP_1)
	v_mov_b32_e32 v125, v121
	ds_load_2addr_b64 v[120:123], v114 offset0:48 offset1:49
	v_pk_add_f32 v[8:9], v[8:9], v[124:125] neg_lo:[0,1] neg_hi:[0,1]
	s_wait_dscnt 0x0
	v_pk_mul_f32 v[124:125], v[120:121], v[110:111] op_sel:[0,1]
	v_pk_fma_f32 v[126:127], v[120:121], v[112:113], v[124:125] op_sel:[0,0,1] op_sel_hi:[1,1,0] neg_lo:[0,0,1] neg_hi:[0,0,1]
	v_pk_fma_f32 v[120:121], v[120:121], v[112:113], v[124:125] op_sel:[0,0,1] op_sel_hi:[1,0,0]
	s_delay_alu instid0(VALU_DEP_1) | instskip(SKIP_1) | instid1(VALU_DEP_1)
	v_mov_b32_e32 v127, v121
	v_pk_mul_f32 v[120:121], v[122:123], v[110:111] op_sel:[0,1]
	v_pk_fma_f32 v[124:125], v[122:123], v[112:113], v[120:121] op_sel:[0,0,1] op_sel_hi:[1,1,0] neg_lo:[0,0,1] neg_hi:[0,0,1]
	v_pk_fma_f32 v[120:121], v[122:123], v[112:113], v[120:121] op_sel:[0,0,1] op_sel_hi:[1,0,0]
	s_delay_alu instid0(VALU_DEP_1)
	v_mov_b32_e32 v125, v121
	ds_load_2addr_b64 v[120:123], v114 offset0:50 offset1:51
	v_pk_add_f32 v[28:29], v[28:29], v[126:127] neg_lo:[0,1] neg_hi:[0,1]
	v_pk_add_f32 v[16:17], v[16:17], v[124:125] neg_lo:[0,1] neg_hi:[0,1]
	s_wait_dscnt 0x0
	v_pk_mul_f32 v[124:125], v[120:121], v[110:111] op_sel:[0,1]
	v_mul_f32_e32 v110, v123, v111
	s_delay_alu instid0(VALU_DEP_2) | instskip(SKIP_2) | instid1(VALU_DEP_4)
	v_pk_fma_f32 v[126:127], v[120:121], v[112:113], v[124:125] op_sel:[0,0,1] op_sel_hi:[1,1,0] neg_lo:[0,0,1] neg_hi:[0,0,1]
	v_pk_fma_f32 v[120:121], v[120:121], v[112:113], v[124:125] op_sel:[0,0,1] op_sel_hi:[1,0,0]
	v_dual_mov_b32 v120, v123 :: v_dual_mul_f32 v112, v123, v112
	v_pk_fma_f32 v[110:111], v[122:123], v[52:53], v[110:111] op_sel_hi:[1,1,0] neg_lo:[0,0,1] neg_hi:[0,0,1]
	s_delay_alu instid0(VALU_DEP_3) | instskip(NEXT) | instid1(VALU_DEP_1)
	v_dual_mov_b32 v127, v121 :: v_dual_mov_b32 v121, v122
	v_pk_add_f32 v[14:15], v[14:15], v[126:127] neg_lo:[0,1] neg_hi:[0,1]
	s_delay_alu instid0(VALU_DEP_2) | instskip(NEXT) | instid1(VALU_DEP_1)
	v_pk_fma_f32 v[112:113], v[120:121], v[52:53], v[112:113] op_sel_hi:[1,1,0]
	v_mov_b32_e32 v111, v113
	s_delay_alu instid0(VALU_DEP_1)
	v_pk_add_f32 v[108:109], v[108:109], v[110:111] neg_lo:[0,1] neg_hi:[0,1]
.LBB102_713:
	s_or_b32 exec_lo, exec_lo, s0
	v_lshl_add_u32 v110, v118, 3, v114
	s_barrier_signal -1
	s_barrier_wait -1
	ds_store_b64 v110, v[54:55]
	s_wait_dscnt 0x0
	s_barrier_signal -1
	s_barrier_wait -1
	ds_load_b64 v[110:111], v114 offset:272
	v_mov_b32_e32 v112, 34
	s_cmp_lt_i32 s18, 36
	s_cbranch_scc1 .LBB102_716
; %bb.714:
	v_add3_u32 v113, v115, 0, 0x118
	v_mov_b32_e32 v112, 34
	s_mov_b32 s0, 35
.LBB102_715:                            ; =>This Inner Loop Header: Depth=1
	ds_load_b64 v[120:121], v113
	s_wait_dscnt 0x1
	v_cmp_gt_f32_e32 vcc_lo, 0, v110
	v_cndmask_b32_e64 v122, v110, -v110, vcc_lo
	v_cmp_gt_f32_e32 vcc_lo, 0, v111
	v_cndmask_b32_e64 v124, v111, -v111, vcc_lo
	s_wait_dscnt 0x0
	v_cmp_gt_f32_e32 vcc_lo, 0, v120
	v_cndmask_b32_e64 v123, v120, -v120, vcc_lo
	v_cmp_gt_f32_e32 vcc_lo, 0, v121
	v_cndmask_b32_e64 v125, v121, -v121, vcc_lo
	s_delay_alu instid0(VALU_DEP_1) | instskip(NEXT) | instid1(VALU_DEP_1)
	v_pk_add_f32 v[122:123], v[122:123], v[124:125]
	v_cmp_lt_f32_e32 vcc_lo, v122, v123
	v_dual_cndmask_b32 v110, v110, v120 :: v_dual_add_nc_u32 v113, 8, v113
	v_cndmask_b32_e32 v111, v111, v121, vcc_lo
	v_cndmask_b32_e64 v112, v112, s0, vcc_lo
	s_add_co_i32 s0, s0, 1
	s_delay_alu instid0(SALU_CYCLE_1)
	s_cmp_lg_u32 s18, s0
	s_cbranch_scc1 .LBB102_715
.LBB102_716:
	s_wait_dscnt 0x0
	v_cmp_eq_f32_e32 vcc_lo, 0, v110
	v_cmp_eq_f32_e64 s0, 0, v111
	s_and_b32 s0, vcc_lo, s0
	s_delay_alu instid0(SALU_CYCLE_1) | instskip(NEXT) | instid1(SALU_CYCLE_1)
	s_and_saveexec_b32 s1, s0
	s_xor_b32 s0, exec_lo, s1
; %bb.717:
	v_cmp_ne_u32_e32 vcc_lo, 0, v116
	v_cndmask_b32_e32 v116, 35, v116, vcc_lo
; %bb.718:
	s_and_not1_saveexec_b32 s0, s0
	s_cbranch_execz .LBB102_724
; %bb.719:
	v_cmp_ngt_f32_e64 s1, |v110|, |v111|
	s_and_saveexec_b32 s12, s1
	s_delay_alu instid0(SALU_CYCLE_1)
	s_xor_b32 s1, exec_lo, s12
	s_cbranch_execz .LBB102_721
; %bb.720:
	v_div_scale_f32 v113, null, v111, v111, v110
	v_div_scale_f32 v121, vcc_lo, v110, v111, v110
	s_delay_alu instid0(VALU_DEP_2) | instskip(SKIP_1) | instid1(TRANS32_DEP_1)
	v_rcp_f32_e32 v119, v113
	v_nop
	v_fma_f32 v120, -v113, v119, 1.0
	s_delay_alu instid0(VALU_DEP_1) | instskip(NEXT) | instid1(VALU_DEP_1)
	v_fmac_f32_e32 v119, v120, v119
	v_mul_f32_e32 v120, v121, v119
	s_delay_alu instid0(VALU_DEP_1) | instskip(NEXT) | instid1(VALU_DEP_1)
	v_fma_f32 v122, -v113, v120, v121
	v_fmac_f32_e32 v120, v122, v119
	s_delay_alu instid0(VALU_DEP_1) | instskip(NEXT) | instid1(VALU_DEP_1)
	v_fma_f32 v113, -v113, v120, v121
	v_div_fmas_f32 v113, v113, v119, v120
	s_delay_alu instid0(VALU_DEP_1) | instskip(NEXT) | instid1(VALU_DEP_1)
	v_div_fixup_f32 v113, v113, v111, v110
	v_fmac_f32_e32 v111, v110, v113
	s_delay_alu instid0(VALU_DEP_1) | instskip(SKIP_1) | instid1(VALU_DEP_2)
	v_div_scale_f32 v110, null, v111, v111, 1.0
	v_div_scale_f32 v121, vcc_lo, 1.0, v111, 1.0
	v_rcp_f32_e32 v119, v110
	v_nop
	s_delay_alu instid0(TRANS32_DEP_1) | instskip(NEXT) | instid1(VALU_DEP_1)
	v_fma_f32 v120, -v110, v119, 1.0
	v_fmac_f32_e32 v119, v120, v119
	s_delay_alu instid0(VALU_DEP_1) | instskip(NEXT) | instid1(VALU_DEP_1)
	v_mul_f32_e32 v120, v121, v119
	v_fma_f32 v122, -v110, v120, v121
	s_delay_alu instid0(VALU_DEP_1) | instskip(NEXT) | instid1(VALU_DEP_1)
	v_fmac_f32_e32 v120, v122, v119
	v_fma_f32 v110, -v110, v120, v121
	s_delay_alu instid0(VALU_DEP_1) | instskip(NEXT) | instid1(VALU_DEP_1)
	v_div_fmas_f32 v110, v110, v119, v120
	v_div_fixup_f32 v111, v110, v111, 1.0
	s_delay_alu instid0(VALU_DEP_1)
	v_mul_f32_e32 v110, v113, v111
	v_xor_b32_e32 v111, 0x80000000, v111
.LBB102_721:
	s_and_not1_saveexec_b32 s1, s1
	s_cbranch_execz .LBB102_723
; %bb.722:
	s_delay_alu instid0(VALU_DEP_1) | instskip(SKIP_1) | instid1(VALU_DEP_2)
	v_div_scale_f32 v113, null, v110, v110, v111
	v_div_scale_f32 v121, vcc_lo, v111, v110, v111
	v_rcp_f32_e32 v119, v113
	v_nop
	s_delay_alu instid0(TRANS32_DEP_1) | instskip(NEXT) | instid1(VALU_DEP_1)
	v_fma_f32 v120, -v113, v119, 1.0
	v_fmac_f32_e32 v119, v120, v119
	s_delay_alu instid0(VALU_DEP_1) | instskip(NEXT) | instid1(VALU_DEP_1)
	v_mul_f32_e32 v120, v121, v119
	v_fma_f32 v122, -v113, v120, v121
	s_delay_alu instid0(VALU_DEP_1) | instskip(NEXT) | instid1(VALU_DEP_1)
	v_fmac_f32_e32 v120, v122, v119
	v_fma_f32 v113, -v113, v120, v121
	s_delay_alu instid0(VALU_DEP_1) | instskip(NEXT) | instid1(VALU_DEP_1)
	v_div_fmas_f32 v113, v113, v119, v120
	v_div_fixup_f32 v113, v113, v110, v111
	s_delay_alu instid0(VALU_DEP_1) | instskip(NEXT) | instid1(VALU_DEP_1)
	v_fmac_f32_e32 v110, v111, v113
	v_div_scale_f32 v111, null, v110, v110, 1.0
	s_delay_alu instid0(VALU_DEP_1) | instskip(SKIP_1) | instid1(TRANS32_DEP_1)
	v_rcp_f32_e32 v119, v111
	v_nop
	v_fma_f32 v120, -v111, v119, 1.0
	s_delay_alu instid0(VALU_DEP_1) | instskip(SKIP_1) | instid1(VALU_DEP_1)
	v_fmac_f32_e32 v119, v120, v119
	v_div_scale_f32 v120, vcc_lo, 1.0, v110, 1.0
	v_mul_f32_e32 v121, v120, v119
	s_delay_alu instid0(VALU_DEP_1) | instskip(NEXT) | instid1(VALU_DEP_1)
	v_fma_f32 v122, -v111, v121, v120
	v_fmac_f32_e32 v121, v122, v119
	s_delay_alu instid0(VALU_DEP_1) | instskip(NEXT) | instid1(VALU_DEP_1)
	v_fma_f32 v111, -v111, v121, v120
	v_div_fmas_f32 v111, v111, v119, v121
	s_delay_alu instid0(VALU_DEP_1) | instskip(NEXT) | instid1(VALU_DEP_1)
	v_div_fixup_f32 v110, v111, v110, 1.0
	v_mul_f32_e64 v111, v113, -v110
.LBB102_723:
	s_or_b32 exec_lo, exec_lo, s1
.LBB102_724:
	s_delay_alu instid0(SALU_CYCLE_1) | instskip(NEXT) | instid1(SALU_CYCLE_1)
	s_or_b32 exec_lo, exec_lo, s0
	s_mov_b32 s0, exec_lo
	v_cmpx_ne_u32_e64 v118, v112
	s_xor_b32 s0, exec_lo, s0
	s_cbranch_execz .LBB102_730
; %bb.725:
	s_mov_b32 s1, exec_lo
	v_cmpx_eq_u32_e32 34, v118
	s_cbranch_execz .LBB102_729
; %bb.726:
	v_cmp_ne_u32_e32 vcc_lo, 34, v112
	s_xor_b32 s12, s16, -1
	s_delay_alu instid0(SALU_CYCLE_1) | instskip(NEXT) | instid1(SALU_CYCLE_1)
	s_and_b32 s13, s12, vcc_lo
	s_and_saveexec_b32 s12, s13
	s_cbranch_execz .LBB102_728
; %bb.727:
	v_ashrrev_i32_e32 v113, 31, v112
	s_delay_alu instid0(VALU_DEP_1)
	v_lshl_add_u64 v[118:119], v[112:113], 2, v[4:5]
	s_clause 0x1
	global_load_b32 v113, v[118:119], off
	global_load_b32 v117, v[4:5], off offset:136
	s_wait_loadcnt 0x1
	global_store_b32 v[4:5], v113, off offset:136
	s_wait_loadcnt 0x0
	global_store_b32 v[118:119], v117, off
.LBB102_728:
	s_wait_xcnt 0x0
	s_or_b32 exec_lo, exec_lo, s12
	v_dual_mov_b32 v118, v112 :: v_dual_mov_b32 v117, v112
.LBB102_729:
	s_or_b32 exec_lo, exec_lo, s1
.LBB102_730:
	s_and_not1_saveexec_b32 s0, s0
	s_cbranch_execz .LBB102_732
; %bb.731:
	v_mov_b32_e32 v118, 34
	ds_store_2addr_b64 v114, v[12:13], v[50:51] offset0:35 offset1:36
	ds_store_2addr_b64 v114, v[46:47], v[48:49] offset0:37 offset1:38
	;; [unrolled: 1-line block ×8, first 2 shown]
	ds_store_b64 v114, v[108:109] offset:408
.LBB102_732:
	s_or_b32 exec_lo, exec_lo, s0
	s_delay_alu instid0(SALU_CYCLE_1)
	s_mov_b32 s0, exec_lo
	s_wait_storecnt_dscnt 0x0
	s_barrier_signal -1
	s_barrier_wait -1
	v_cmpx_lt_i32_e32 34, v118
	s_cbranch_execz .LBB102_734
; %bb.733:
	v_pk_mul_f32 v[120:121], v[110:111], v[54:55] op_sel:[1,1] op_sel_hi:[0,1]
	s_delay_alu instid0(VALU_DEP_1)
	v_pk_fma_f32 v[112:113], v[110:111], v[54:55], v[120:121] op_sel_hi:[1,0,1] neg_lo:[0,0,1] neg_hi:[0,0,1]
	v_pk_fma_f32 v[110:111], v[110:111], v[54:55], v[120:121] op_sel_hi:[1,0,1]
	ds_load_2addr_b64 v[120:123], v114 offset0:35 offset1:36
	v_dual_mov_b32 v54, v112 :: v_dual_mov_b32 v55, v111
	s_wait_dscnt 0x0
	v_pk_mul_f32 v[124:125], v[120:121], v[110:111] op_sel:[0,1]
	s_delay_alu instid0(VALU_DEP_1) | instskip(SKIP_1) | instid1(VALU_DEP_1)
	v_pk_fma_f32 v[126:127], v[120:121], v[112:113], v[124:125] op_sel:[0,0,1] op_sel_hi:[1,1,0] neg_lo:[0,0,1] neg_hi:[0,0,1]
	v_pk_fma_f32 v[120:121], v[120:121], v[112:113], v[124:125] op_sel:[0,0,1] op_sel_hi:[1,0,0]
	v_mov_b32_e32 v127, v121
	v_pk_mul_f32 v[120:121], v[122:123], v[110:111] op_sel:[0,1]
	s_delay_alu instid0(VALU_DEP_1) | instskip(SKIP_1) | instid1(VALU_DEP_1)
	v_pk_fma_f32 v[124:125], v[122:123], v[112:113], v[120:121] op_sel:[0,0,1] op_sel_hi:[1,1,0] neg_lo:[0,0,1] neg_hi:[0,0,1]
	v_pk_fma_f32 v[120:121], v[122:123], v[112:113], v[120:121] op_sel:[0,0,1] op_sel_hi:[1,0,0]
	v_mov_b32_e32 v125, v121
	ds_load_2addr_b64 v[120:123], v114 offset0:37 offset1:38
	v_pk_add_f32 v[12:13], v[12:13], v[126:127] neg_lo:[0,1] neg_hi:[0,1]
	v_pk_add_f32 v[50:51], v[50:51], v[124:125] neg_lo:[0,1] neg_hi:[0,1]
	s_wait_dscnt 0x0
	v_pk_mul_f32 v[124:125], v[120:121], v[110:111] op_sel:[0,1]
	s_delay_alu instid0(VALU_DEP_1) | instskip(SKIP_2) | instid1(VALU_DEP_2)
	v_pk_fma_f32 v[126:127], v[120:121], v[112:113], v[124:125] op_sel:[0,0,1] op_sel_hi:[1,1,0] neg_lo:[0,0,1] neg_hi:[0,0,1]
	v_pk_fma_f32 v[120:121], v[120:121], v[112:113], v[124:125] op_sel:[0,0,1] op_sel_hi:[1,0,0]
	v_dual_mul_f32 v124, v123, v111 :: v_dual_mov_b32 v120, v123
	v_dual_mov_b32 v127, v121 :: v_dual_mov_b32 v121, v122
	s_delay_alu instid0(VALU_DEP_2) | instskip(SKIP_1) | instid1(VALU_DEP_3)
	v_pk_fma_f32 v[124:125], v[122:123], v[54:55], v[124:125] op_sel_hi:[1,1,0] neg_lo:[0,0,1] neg_hi:[0,0,1]
	v_mul_f32_e32 v122, v123, v112
	v_pk_add_f32 v[46:47], v[46:47], v[126:127] neg_lo:[0,1] neg_hi:[0,1]
	s_delay_alu instid0(VALU_DEP_2) | instskip(NEXT) | instid1(VALU_DEP_1)
	v_pk_fma_f32 v[120:121], v[120:121], v[54:55], v[122:123] op_sel_hi:[1,1,0]
	v_mov_b32_e32 v125, v121
	ds_load_2addr_b64 v[120:123], v114 offset0:39 offset1:40
	v_pk_add_f32 v[48:49], v[48:49], v[124:125] neg_lo:[0,1] neg_hi:[0,1]
	s_wait_dscnt 0x0
	v_pk_mul_f32 v[124:125], v[120:121], v[110:111] op_sel:[0,1]
	s_delay_alu instid0(VALU_DEP_1) | instskip(SKIP_1) | instid1(VALU_DEP_1)
	v_pk_fma_f32 v[126:127], v[120:121], v[112:113], v[124:125] op_sel:[0,0,1] op_sel_hi:[1,1,0] neg_lo:[0,0,1] neg_hi:[0,0,1]
	v_pk_fma_f32 v[120:121], v[120:121], v[112:113], v[124:125] op_sel:[0,0,1] op_sel_hi:[1,0,0]
	v_mov_b32_e32 v127, v121
	v_pk_mul_f32 v[120:121], v[122:123], v[110:111] op_sel:[0,1]
	s_delay_alu instid0(VALU_DEP_1) | instskip(SKIP_1) | instid1(VALU_DEP_1)
	v_pk_fma_f32 v[124:125], v[122:123], v[112:113], v[120:121] op_sel:[0,0,1] op_sel_hi:[1,1,0] neg_lo:[0,0,1] neg_hi:[0,0,1]
	v_pk_fma_f32 v[120:121], v[122:123], v[112:113], v[120:121] op_sel:[0,0,1] op_sel_hi:[1,0,0]
	v_mov_b32_e32 v125, v121
	ds_load_2addr_b64 v[120:123], v114 offset0:41 offset1:42
	v_pk_add_f32 v[10:11], v[10:11], v[126:127] neg_lo:[0,1] neg_hi:[0,1]
	v_pk_add_f32 v[44:45], v[44:45], v[124:125] neg_lo:[0,1] neg_hi:[0,1]
	s_wait_dscnt 0x0
	v_pk_mul_f32 v[124:125], v[120:121], v[110:111] op_sel:[0,1]
	s_delay_alu instid0(VALU_DEP_1) | instskip(SKIP_1) | instid1(VALU_DEP_1)
	v_pk_fma_f32 v[126:127], v[120:121], v[112:113], v[124:125] op_sel:[0,0,1] op_sel_hi:[1,1,0] neg_lo:[0,0,1] neg_hi:[0,0,1]
	v_pk_fma_f32 v[120:121], v[120:121], v[112:113], v[124:125] op_sel:[0,0,1] op_sel_hi:[1,0,0]
	v_mov_b32_e32 v127, v121
	v_pk_mul_f32 v[120:121], v[122:123], v[110:111] op_sel:[0,1]
	s_delay_alu instid0(VALU_DEP_1) | instskip(SKIP_1) | instid1(VALU_DEP_1)
	v_pk_fma_f32 v[124:125], v[122:123], v[112:113], v[120:121] op_sel:[0,0,1] op_sel_hi:[1,1,0] neg_lo:[0,0,1] neg_hi:[0,0,1]
	v_pk_fma_f32 v[120:121], v[122:123], v[112:113], v[120:121] op_sel:[0,0,1] op_sel_hi:[1,0,0]
	v_mov_b32_e32 v125, v121
	ds_load_2addr_b64 v[120:123], v114 offset0:43 offset1:44
	v_pk_add_f32 v[40:41], v[40:41], v[126:127] neg_lo:[0,1] neg_hi:[0,1]
	v_pk_add_f32 v[42:43], v[42:43], v[124:125] neg_lo:[0,1] neg_hi:[0,1]
	s_wait_dscnt 0x0
	v_dual_mul_f32 v124, v121, v111 :: v_dual_mul_f32 v126, v121, v112
	s_delay_alu instid0(VALU_DEP_1) | instskip(NEXT) | instid1(VALU_DEP_2)
	v_pk_fma_f32 v[124:125], v[120:121], v[54:55], v[124:125] op_sel_hi:[1,1,0] neg_lo:[0,0,1] neg_hi:[0,0,1]
	v_pk_fma_f32 v[120:121], v[120:121], v[54:55], v[126:127] op_sel:[1,0,0] op_sel_hi:[0,1,0]
	s_delay_alu instid0(VALU_DEP_1) | instskip(SKIP_1) | instid1(VALU_DEP_2)
	v_mov_b32_e32 v125, v121
	v_pk_mul_f32 v[120:121], v[122:123], v[110:111] op_sel:[0,1]
	v_pk_add_f32 v[6:7], v[6:7], v[124:125] neg_lo:[0,1] neg_hi:[0,1]
	s_delay_alu instid0(VALU_DEP_2) | instskip(SKIP_1) | instid1(VALU_DEP_1)
	v_pk_fma_f32 v[124:125], v[122:123], v[112:113], v[120:121] op_sel:[0,0,1] op_sel_hi:[1,1,0] neg_lo:[0,0,1] neg_hi:[0,0,1]
	v_pk_fma_f32 v[120:121], v[122:123], v[112:113], v[120:121] op_sel:[0,0,1] op_sel_hi:[1,0,0]
	v_mov_b32_e32 v125, v121
	ds_load_2addr_b64 v[120:123], v114 offset0:45 offset1:46
	v_pk_add_f32 v[36:37], v[36:37], v[124:125] neg_lo:[0,1] neg_hi:[0,1]
	s_wait_dscnt 0x0
	v_pk_mul_f32 v[124:125], v[120:121], v[110:111] op_sel:[0,1]
	s_delay_alu instid0(VALU_DEP_1) | instskip(SKIP_1) | instid1(VALU_DEP_1)
	v_pk_fma_f32 v[126:127], v[120:121], v[112:113], v[124:125] op_sel:[0,0,1] op_sel_hi:[1,1,0] neg_lo:[0,0,1] neg_hi:[0,0,1]
	v_pk_fma_f32 v[120:121], v[120:121], v[112:113], v[124:125] op_sel:[0,0,1] op_sel_hi:[1,0,0]
	v_mov_b32_e32 v127, v121
	v_pk_mul_f32 v[120:121], v[122:123], v[110:111] op_sel:[0,1]
	s_delay_alu instid0(VALU_DEP_2) | instskip(NEXT) | instid1(VALU_DEP_2)
	v_pk_add_f32 v[30:31], v[30:31], v[126:127] neg_lo:[0,1] neg_hi:[0,1]
	v_pk_fma_f32 v[124:125], v[122:123], v[112:113], v[120:121] op_sel:[0,0,1] op_sel_hi:[1,1,0] neg_lo:[0,0,1] neg_hi:[0,0,1]
	v_pk_fma_f32 v[120:121], v[122:123], v[112:113], v[120:121] op_sel:[0,0,1] op_sel_hi:[1,0,0]
	s_delay_alu instid0(VALU_DEP_1) | instskip(SKIP_4) | instid1(VALU_DEP_1)
	v_mov_b32_e32 v125, v121
	ds_load_2addr_b64 v[120:123], v114 offset0:47 offset1:48
	v_pk_add_f32 v[34:35], v[34:35], v[124:125] neg_lo:[0,1] neg_hi:[0,1]
	s_wait_dscnt 0x0
	v_pk_mul_f32 v[124:125], v[120:121], v[110:111] op_sel:[0,1]
	v_pk_fma_f32 v[126:127], v[120:121], v[112:113], v[124:125] op_sel:[0,0,1] op_sel_hi:[1,1,0] neg_lo:[0,0,1] neg_hi:[0,0,1]
	v_pk_fma_f32 v[120:121], v[120:121], v[112:113], v[124:125] op_sel:[0,0,1] op_sel_hi:[1,0,0]
	v_dual_mul_f32 v124, v123, v111 :: v_dual_mov_b32 v120, v123
	s_delay_alu instid0(VALU_DEP_2) | instskip(NEXT) | instid1(VALU_DEP_2)
	v_dual_mov_b32 v127, v121 :: v_dual_mov_b32 v121, v122
	v_pk_fma_f32 v[124:125], v[122:123], v[54:55], v[124:125] op_sel_hi:[1,1,0] neg_lo:[0,0,1] neg_hi:[0,0,1]
	v_mul_f32_e32 v122, v123, v112
	s_delay_alu instid0(VALU_DEP_3) | instskip(NEXT) | instid1(VALU_DEP_2)
	v_pk_add_f32 v[8:9], v[8:9], v[126:127] neg_lo:[0,1] neg_hi:[0,1]
	v_pk_fma_f32 v[120:121], v[120:121], v[54:55], v[122:123] op_sel_hi:[1,1,0]
	s_delay_alu instid0(VALU_DEP_1) | instskip(SKIP_4) | instid1(VALU_DEP_1)
	v_mov_b32_e32 v125, v121
	ds_load_2addr_b64 v[120:123], v114 offset0:49 offset1:50
	v_pk_add_f32 v[28:29], v[28:29], v[124:125] neg_lo:[0,1] neg_hi:[0,1]
	s_wait_dscnt 0x0
	v_pk_mul_f32 v[124:125], v[120:121], v[110:111] op_sel:[0,1]
	v_pk_fma_f32 v[126:127], v[120:121], v[112:113], v[124:125] op_sel:[0,0,1] op_sel_hi:[1,1,0] neg_lo:[0,0,1] neg_hi:[0,0,1]
	v_pk_fma_f32 v[120:121], v[120:121], v[112:113], v[124:125] op_sel:[0,0,1] op_sel_hi:[1,0,0]
	s_delay_alu instid0(VALU_DEP_1) | instskip(SKIP_1) | instid1(VALU_DEP_1)
	v_mov_b32_e32 v127, v121
	v_pk_mul_f32 v[120:121], v[122:123], v[110:111] op_sel:[0,1]
	v_pk_fma_f32 v[124:125], v[122:123], v[112:113], v[120:121] op_sel:[0,0,1] op_sel_hi:[1,1,0] neg_lo:[0,0,1] neg_hi:[0,0,1]
	v_pk_fma_f32 v[120:121], v[122:123], v[112:113], v[120:121] op_sel:[0,0,1] op_sel_hi:[1,0,0]
	s_delay_alu instid0(VALU_DEP_1)
	v_mov_b32_e32 v125, v121
	ds_load_b64 v[120:121], v114 offset:408
	v_pk_add_f32 v[16:17], v[16:17], v[126:127] neg_lo:[0,1] neg_hi:[0,1]
	v_pk_add_f32 v[14:15], v[14:15], v[124:125] neg_lo:[0,1] neg_hi:[0,1]
	s_wait_dscnt 0x0
	v_pk_mul_f32 v[110:111], v[120:121], v[110:111] op_sel:[0,1]
	s_delay_alu instid0(VALU_DEP_1) | instskip(SKIP_1) | instid1(VALU_DEP_1)
	v_pk_fma_f32 v[122:123], v[120:121], v[112:113], v[110:111] op_sel:[0,0,1] op_sel_hi:[1,1,0] neg_lo:[0,0,1] neg_hi:[0,0,1]
	v_pk_fma_f32 v[110:111], v[120:121], v[112:113], v[110:111] op_sel:[0,0,1] op_sel_hi:[1,0,0]
	v_mov_b32_e32 v123, v111
	s_delay_alu instid0(VALU_DEP_1)
	v_pk_add_f32 v[108:109], v[108:109], v[122:123] neg_lo:[0,1] neg_hi:[0,1]
.LBB102_734:
	s_or_b32 exec_lo, exec_lo, s0
	v_lshl_add_u32 v110, v118, 3, v114
	s_barrier_signal -1
	s_barrier_wait -1
	ds_store_b64 v110, v[12:13]
	s_wait_dscnt 0x0
	s_barrier_signal -1
	s_barrier_wait -1
	ds_load_b64 v[110:111], v114 offset:280
	v_mov_b32_e32 v112, 35
	s_cmp_lt_i32 s18, 37
	s_cbranch_scc1 .LBB102_737
; %bb.735:
	v_add3_u32 v113, v115, 0, 0x120
	v_mov_b32_e32 v112, 35
	s_mov_b32 s0, 36
.LBB102_736:                            ; =>This Inner Loop Header: Depth=1
	ds_load_b64 v[120:121], v113
	s_wait_dscnt 0x1
	v_cmp_gt_f32_e32 vcc_lo, 0, v110
	v_cndmask_b32_e64 v122, v110, -v110, vcc_lo
	v_cmp_gt_f32_e32 vcc_lo, 0, v111
	v_cndmask_b32_e64 v124, v111, -v111, vcc_lo
	s_wait_dscnt 0x0
	v_cmp_gt_f32_e32 vcc_lo, 0, v120
	v_cndmask_b32_e64 v123, v120, -v120, vcc_lo
	v_cmp_gt_f32_e32 vcc_lo, 0, v121
	v_cndmask_b32_e64 v125, v121, -v121, vcc_lo
	s_delay_alu instid0(VALU_DEP_1) | instskip(NEXT) | instid1(VALU_DEP_1)
	v_pk_add_f32 v[122:123], v[122:123], v[124:125]
	v_cmp_lt_f32_e32 vcc_lo, v122, v123
	v_dual_cndmask_b32 v110, v110, v120 :: v_dual_add_nc_u32 v113, 8, v113
	v_cndmask_b32_e32 v111, v111, v121, vcc_lo
	v_cndmask_b32_e64 v112, v112, s0, vcc_lo
	s_add_co_i32 s0, s0, 1
	s_delay_alu instid0(SALU_CYCLE_1)
	s_cmp_lg_u32 s18, s0
	s_cbranch_scc1 .LBB102_736
.LBB102_737:
	s_wait_dscnt 0x0
	v_cmp_eq_f32_e32 vcc_lo, 0, v110
	v_cmp_eq_f32_e64 s0, 0, v111
	s_and_b32 s0, vcc_lo, s0
	s_delay_alu instid0(SALU_CYCLE_1) | instskip(NEXT) | instid1(SALU_CYCLE_1)
	s_and_saveexec_b32 s1, s0
	s_xor_b32 s0, exec_lo, s1
; %bb.738:
	v_cmp_ne_u32_e32 vcc_lo, 0, v116
	v_cndmask_b32_e32 v116, 36, v116, vcc_lo
; %bb.739:
	s_and_not1_saveexec_b32 s0, s0
	s_cbranch_execz .LBB102_745
; %bb.740:
	v_cmp_ngt_f32_e64 s1, |v110|, |v111|
	s_and_saveexec_b32 s12, s1
	s_delay_alu instid0(SALU_CYCLE_1)
	s_xor_b32 s1, exec_lo, s12
	s_cbranch_execz .LBB102_742
; %bb.741:
	v_div_scale_f32 v113, null, v111, v111, v110
	v_div_scale_f32 v121, vcc_lo, v110, v111, v110
	s_delay_alu instid0(VALU_DEP_2) | instskip(SKIP_1) | instid1(TRANS32_DEP_1)
	v_rcp_f32_e32 v119, v113
	v_nop
	v_fma_f32 v120, -v113, v119, 1.0
	s_delay_alu instid0(VALU_DEP_1) | instskip(NEXT) | instid1(VALU_DEP_1)
	v_fmac_f32_e32 v119, v120, v119
	v_mul_f32_e32 v120, v121, v119
	s_delay_alu instid0(VALU_DEP_1) | instskip(NEXT) | instid1(VALU_DEP_1)
	v_fma_f32 v122, -v113, v120, v121
	v_fmac_f32_e32 v120, v122, v119
	s_delay_alu instid0(VALU_DEP_1) | instskip(NEXT) | instid1(VALU_DEP_1)
	v_fma_f32 v113, -v113, v120, v121
	v_div_fmas_f32 v113, v113, v119, v120
	s_delay_alu instid0(VALU_DEP_1) | instskip(NEXT) | instid1(VALU_DEP_1)
	v_div_fixup_f32 v113, v113, v111, v110
	v_fmac_f32_e32 v111, v110, v113
	s_delay_alu instid0(VALU_DEP_1) | instskip(SKIP_1) | instid1(VALU_DEP_2)
	v_div_scale_f32 v110, null, v111, v111, 1.0
	v_div_scale_f32 v121, vcc_lo, 1.0, v111, 1.0
	v_rcp_f32_e32 v119, v110
	v_nop
	s_delay_alu instid0(TRANS32_DEP_1) | instskip(NEXT) | instid1(VALU_DEP_1)
	v_fma_f32 v120, -v110, v119, 1.0
	v_fmac_f32_e32 v119, v120, v119
	s_delay_alu instid0(VALU_DEP_1) | instskip(NEXT) | instid1(VALU_DEP_1)
	v_mul_f32_e32 v120, v121, v119
	v_fma_f32 v122, -v110, v120, v121
	s_delay_alu instid0(VALU_DEP_1) | instskip(NEXT) | instid1(VALU_DEP_1)
	v_fmac_f32_e32 v120, v122, v119
	v_fma_f32 v110, -v110, v120, v121
	s_delay_alu instid0(VALU_DEP_1) | instskip(NEXT) | instid1(VALU_DEP_1)
	v_div_fmas_f32 v110, v110, v119, v120
	v_div_fixup_f32 v111, v110, v111, 1.0
	s_delay_alu instid0(VALU_DEP_1)
	v_mul_f32_e32 v110, v113, v111
	v_xor_b32_e32 v111, 0x80000000, v111
.LBB102_742:
	s_and_not1_saveexec_b32 s1, s1
	s_cbranch_execz .LBB102_744
; %bb.743:
	s_delay_alu instid0(VALU_DEP_1) | instskip(SKIP_1) | instid1(VALU_DEP_2)
	v_div_scale_f32 v113, null, v110, v110, v111
	v_div_scale_f32 v121, vcc_lo, v111, v110, v111
	v_rcp_f32_e32 v119, v113
	v_nop
	s_delay_alu instid0(TRANS32_DEP_1) | instskip(NEXT) | instid1(VALU_DEP_1)
	v_fma_f32 v120, -v113, v119, 1.0
	v_fmac_f32_e32 v119, v120, v119
	s_delay_alu instid0(VALU_DEP_1) | instskip(NEXT) | instid1(VALU_DEP_1)
	v_mul_f32_e32 v120, v121, v119
	v_fma_f32 v122, -v113, v120, v121
	s_delay_alu instid0(VALU_DEP_1) | instskip(NEXT) | instid1(VALU_DEP_1)
	v_fmac_f32_e32 v120, v122, v119
	v_fma_f32 v113, -v113, v120, v121
	s_delay_alu instid0(VALU_DEP_1) | instskip(NEXT) | instid1(VALU_DEP_1)
	v_div_fmas_f32 v113, v113, v119, v120
	v_div_fixup_f32 v113, v113, v110, v111
	s_delay_alu instid0(VALU_DEP_1) | instskip(NEXT) | instid1(VALU_DEP_1)
	v_fmac_f32_e32 v110, v111, v113
	v_div_scale_f32 v111, null, v110, v110, 1.0
	s_delay_alu instid0(VALU_DEP_1) | instskip(SKIP_1) | instid1(TRANS32_DEP_1)
	v_rcp_f32_e32 v119, v111
	v_nop
	v_fma_f32 v120, -v111, v119, 1.0
	s_delay_alu instid0(VALU_DEP_1) | instskip(SKIP_1) | instid1(VALU_DEP_1)
	v_fmac_f32_e32 v119, v120, v119
	v_div_scale_f32 v120, vcc_lo, 1.0, v110, 1.0
	v_mul_f32_e32 v121, v120, v119
	s_delay_alu instid0(VALU_DEP_1) | instskip(NEXT) | instid1(VALU_DEP_1)
	v_fma_f32 v122, -v111, v121, v120
	v_fmac_f32_e32 v121, v122, v119
	s_delay_alu instid0(VALU_DEP_1) | instskip(NEXT) | instid1(VALU_DEP_1)
	v_fma_f32 v111, -v111, v121, v120
	v_div_fmas_f32 v111, v111, v119, v121
	s_delay_alu instid0(VALU_DEP_1) | instskip(NEXT) | instid1(VALU_DEP_1)
	v_div_fixup_f32 v110, v111, v110, 1.0
	v_mul_f32_e64 v111, v113, -v110
.LBB102_744:
	s_or_b32 exec_lo, exec_lo, s1
.LBB102_745:
	s_delay_alu instid0(SALU_CYCLE_1) | instskip(NEXT) | instid1(SALU_CYCLE_1)
	s_or_b32 exec_lo, exec_lo, s0
	s_mov_b32 s0, exec_lo
	v_cmpx_ne_u32_e64 v118, v112
	s_xor_b32 s0, exec_lo, s0
	s_cbranch_execz .LBB102_751
; %bb.746:
	s_mov_b32 s1, exec_lo
	v_cmpx_eq_u32_e32 35, v118
	s_cbranch_execz .LBB102_750
; %bb.747:
	v_cmp_ne_u32_e32 vcc_lo, 35, v112
	s_xor_b32 s12, s16, -1
	s_delay_alu instid0(SALU_CYCLE_1) | instskip(NEXT) | instid1(SALU_CYCLE_1)
	s_and_b32 s13, s12, vcc_lo
	s_and_saveexec_b32 s12, s13
	s_cbranch_execz .LBB102_749
; %bb.748:
	v_ashrrev_i32_e32 v113, 31, v112
	s_delay_alu instid0(VALU_DEP_1)
	v_lshl_add_u64 v[118:119], v[112:113], 2, v[4:5]
	s_clause 0x1
	global_load_b32 v113, v[118:119], off
	global_load_b32 v117, v[4:5], off offset:140
	s_wait_loadcnt 0x1
	global_store_b32 v[4:5], v113, off offset:140
	s_wait_loadcnt 0x0
	global_store_b32 v[118:119], v117, off
.LBB102_749:
	s_wait_xcnt 0x0
	s_or_b32 exec_lo, exec_lo, s12
	v_dual_mov_b32 v118, v112 :: v_dual_mov_b32 v117, v112
.LBB102_750:
	s_or_b32 exec_lo, exec_lo, s1
.LBB102_751:
	s_and_not1_saveexec_b32 s0, s0
	s_cbranch_execz .LBB102_753
; %bb.752:
	v_dual_mov_b32 v112, v50 :: v_dual_mov_b32 v113, v51
	v_dual_mov_b32 v118, v46 :: v_dual_mov_b32 v119, v47
	;; [unrolled: 1-line block ×8, first 2 shown]
	ds_store_2addr_b64 v114, v[112:113], v[118:119] offset0:36 offset1:37
	ds_store_2addr_b64 v114, v[120:121], v[122:123] offset0:38 offset1:39
	;; [unrolled: 1-line block ×4, first 2 shown]
	v_dual_mov_b32 v112, v36 :: v_dual_mov_b32 v113, v37
	v_dual_mov_b32 v120, v30 :: v_dual_mov_b32 v121, v31
	v_dual_mov_b32 v118, 35 :: v_dual_mov_b32 v122, v34
	v_dual_mov_b32 v123, v35 :: v_dual_mov_b32 v124, v8
	v_dual_mov_b32 v125, v9 :: v_dual_mov_b32 v126, v28
	v_dual_mov_b32 v127, v29 :: v_dual_mov_b32 v128, v16
	v_dual_mov_b32 v129, v17 :: v_dual_mov_b32 v130, v14
	v_mov_b32_e32 v131, v15
	ds_store_2addr_b64 v114, v[112:113], v[120:121] offset0:44 offset1:45
	ds_store_2addr_b64 v114, v[122:123], v[124:125] offset0:46 offset1:47
	;; [unrolled: 1-line block ×4, first 2 shown]
.LBB102_753:
	s_or_b32 exec_lo, exec_lo, s0
	s_delay_alu instid0(SALU_CYCLE_1)
	s_mov_b32 s0, exec_lo
	s_wait_storecnt_dscnt 0x0
	s_barrier_signal -1
	s_barrier_wait -1
	v_cmpx_lt_i32_e32 35, v118
	s_cbranch_execz .LBB102_755
; %bb.754:
	v_pk_mul_f32 v[120:121], v[110:111], v[12:13] op_sel:[1,1] op_sel_hi:[0,1]
	s_delay_alu instid0(VALU_DEP_1)
	v_pk_fma_f32 v[112:113], v[110:111], v[12:13], v[120:121] op_sel_hi:[1,0,1] neg_lo:[0,0,1] neg_hi:[0,0,1]
	v_pk_fma_f32 v[110:111], v[110:111], v[12:13], v[120:121] op_sel_hi:[1,0,1]
	ds_load_2addr_b64 v[120:123], v114 offset0:36 offset1:37
	v_dual_mov_b32 v12, v112 :: v_dual_mov_b32 v13, v111
	s_wait_dscnt 0x0
	v_pk_mul_f32 v[124:125], v[120:121], v[110:111] op_sel:[0,1]
	s_delay_alu instid0(VALU_DEP_1) | instskip(SKIP_1) | instid1(VALU_DEP_1)
	v_pk_fma_f32 v[126:127], v[120:121], v[112:113], v[124:125] op_sel:[0,0,1] op_sel_hi:[1,1,0] neg_lo:[0,0,1] neg_hi:[0,0,1]
	v_pk_fma_f32 v[120:121], v[120:121], v[112:113], v[124:125] op_sel:[0,0,1] op_sel_hi:[1,0,0]
	v_mov_b32_e32 v127, v121
	v_pk_mul_f32 v[120:121], v[122:123], v[110:111] op_sel:[0,1]
	s_delay_alu instid0(VALU_DEP_1) | instskip(SKIP_1) | instid1(VALU_DEP_1)
	v_pk_fma_f32 v[124:125], v[122:123], v[112:113], v[120:121] op_sel:[0,0,1] op_sel_hi:[1,1,0] neg_lo:[0,0,1] neg_hi:[0,0,1]
	v_pk_fma_f32 v[120:121], v[122:123], v[112:113], v[120:121] op_sel:[0,0,1] op_sel_hi:[1,0,0]
	v_mov_b32_e32 v125, v121
	ds_load_2addr_b64 v[120:123], v114 offset0:38 offset1:39
	v_pk_add_f32 v[50:51], v[50:51], v[126:127] neg_lo:[0,1] neg_hi:[0,1]
	v_pk_add_f32 v[46:47], v[46:47], v[124:125] neg_lo:[0,1] neg_hi:[0,1]
	s_wait_dscnt 0x0
	v_pk_mul_f32 v[124:125], v[120:121], v[110:111] op_sel:[0,1]
	s_delay_alu instid0(VALU_DEP_1) | instskip(SKIP_2) | instid1(VALU_DEP_2)
	v_pk_fma_f32 v[126:127], v[120:121], v[112:113], v[124:125] op_sel:[0,0,1] op_sel_hi:[1,1,0] neg_lo:[0,0,1] neg_hi:[0,0,1]
	v_pk_fma_f32 v[120:121], v[120:121], v[112:113], v[124:125] op_sel:[0,0,1] op_sel_hi:[1,0,0]
	v_dual_mul_f32 v124, v123, v111 :: v_dual_mov_b32 v120, v123
	v_dual_mov_b32 v127, v121 :: v_dual_mov_b32 v121, v122
	s_delay_alu instid0(VALU_DEP_2) | instskip(SKIP_1) | instid1(VALU_DEP_3)
	v_pk_fma_f32 v[124:125], v[122:123], v[12:13], v[124:125] op_sel_hi:[1,1,0] neg_lo:[0,0,1] neg_hi:[0,0,1]
	v_mul_f32_e32 v122, v123, v112
	v_pk_add_f32 v[48:49], v[48:49], v[126:127] neg_lo:[0,1] neg_hi:[0,1]
	s_delay_alu instid0(VALU_DEP_2) | instskip(NEXT) | instid1(VALU_DEP_1)
	v_pk_fma_f32 v[120:121], v[120:121], v[12:13], v[122:123] op_sel_hi:[1,1,0]
	v_mov_b32_e32 v125, v121
	ds_load_2addr_b64 v[120:123], v114 offset0:40 offset1:41
	v_pk_add_f32 v[10:11], v[10:11], v[124:125] neg_lo:[0,1] neg_hi:[0,1]
	s_wait_dscnt 0x0
	v_pk_mul_f32 v[124:125], v[120:121], v[110:111] op_sel:[0,1]
	s_delay_alu instid0(VALU_DEP_1) | instskip(SKIP_1) | instid1(VALU_DEP_1)
	v_pk_fma_f32 v[126:127], v[120:121], v[112:113], v[124:125] op_sel:[0,0,1] op_sel_hi:[1,1,0] neg_lo:[0,0,1] neg_hi:[0,0,1]
	v_pk_fma_f32 v[120:121], v[120:121], v[112:113], v[124:125] op_sel:[0,0,1] op_sel_hi:[1,0,0]
	v_mov_b32_e32 v127, v121
	v_pk_mul_f32 v[120:121], v[122:123], v[110:111] op_sel:[0,1]
	s_delay_alu instid0(VALU_DEP_1) | instskip(SKIP_1) | instid1(VALU_DEP_1)
	v_pk_fma_f32 v[124:125], v[122:123], v[112:113], v[120:121] op_sel:[0,0,1] op_sel_hi:[1,1,0] neg_lo:[0,0,1] neg_hi:[0,0,1]
	v_pk_fma_f32 v[120:121], v[122:123], v[112:113], v[120:121] op_sel:[0,0,1] op_sel_hi:[1,0,0]
	v_mov_b32_e32 v125, v121
	ds_load_2addr_b64 v[120:123], v114 offset0:42 offset1:43
	v_pk_add_f32 v[44:45], v[44:45], v[126:127] neg_lo:[0,1] neg_hi:[0,1]
	v_pk_add_f32 v[40:41], v[40:41], v[124:125] neg_lo:[0,1] neg_hi:[0,1]
	s_wait_dscnt 0x0
	v_pk_mul_f32 v[124:125], v[120:121], v[110:111] op_sel:[0,1]
	s_delay_alu instid0(VALU_DEP_1) | instskip(SKIP_1) | instid1(VALU_DEP_1)
	v_pk_fma_f32 v[126:127], v[120:121], v[112:113], v[124:125] op_sel:[0,0,1] op_sel_hi:[1,1,0] neg_lo:[0,0,1] neg_hi:[0,0,1]
	v_pk_fma_f32 v[120:121], v[120:121], v[112:113], v[124:125] op_sel:[0,0,1] op_sel_hi:[1,0,0]
	v_mov_b32_e32 v127, v121
	v_pk_mul_f32 v[120:121], v[122:123], v[110:111] op_sel:[0,1]
	s_delay_alu instid0(VALU_DEP_1) | instskip(SKIP_1) | instid1(VALU_DEP_1)
	v_pk_fma_f32 v[124:125], v[122:123], v[112:113], v[120:121] op_sel:[0,0,1] op_sel_hi:[1,1,0] neg_lo:[0,0,1] neg_hi:[0,0,1]
	v_pk_fma_f32 v[120:121], v[122:123], v[112:113], v[120:121] op_sel:[0,0,1] op_sel_hi:[1,0,0]
	v_mov_b32_e32 v125, v121
	ds_load_2addr_b64 v[120:123], v114 offset0:44 offset1:45
	v_pk_add_f32 v[42:43], v[42:43], v[126:127] neg_lo:[0,1] neg_hi:[0,1]
	v_pk_add_f32 v[6:7], v[6:7], v[124:125] neg_lo:[0,1] neg_hi:[0,1]
	s_wait_dscnt 0x0
	v_dual_mul_f32 v124, v121, v111 :: v_dual_mul_f32 v126, v121, v112
	s_delay_alu instid0(VALU_DEP_1) | instskip(NEXT) | instid1(VALU_DEP_2)
	v_pk_fma_f32 v[124:125], v[120:121], v[12:13], v[124:125] op_sel_hi:[1,1,0] neg_lo:[0,0,1] neg_hi:[0,0,1]
	v_pk_fma_f32 v[120:121], v[120:121], v[12:13], v[126:127] op_sel:[1,0,0] op_sel_hi:[0,1,0]
	s_delay_alu instid0(VALU_DEP_1) | instskip(SKIP_1) | instid1(VALU_DEP_2)
	v_mov_b32_e32 v125, v121
	v_pk_mul_f32 v[120:121], v[122:123], v[110:111] op_sel:[0,1]
	v_pk_add_f32 v[36:37], v[36:37], v[124:125] neg_lo:[0,1] neg_hi:[0,1]
	s_delay_alu instid0(VALU_DEP_2) | instskip(SKIP_1) | instid1(VALU_DEP_1)
	v_pk_fma_f32 v[124:125], v[122:123], v[112:113], v[120:121] op_sel:[0,0,1] op_sel_hi:[1,1,0] neg_lo:[0,0,1] neg_hi:[0,0,1]
	v_pk_fma_f32 v[120:121], v[122:123], v[112:113], v[120:121] op_sel:[0,0,1] op_sel_hi:[1,0,0]
	v_mov_b32_e32 v125, v121
	ds_load_2addr_b64 v[120:123], v114 offset0:46 offset1:47
	v_pk_add_f32 v[30:31], v[30:31], v[124:125] neg_lo:[0,1] neg_hi:[0,1]
	s_wait_dscnt 0x0
	v_pk_mul_f32 v[124:125], v[120:121], v[110:111] op_sel:[0,1]
	s_delay_alu instid0(VALU_DEP_1) | instskip(SKIP_1) | instid1(VALU_DEP_1)
	v_pk_fma_f32 v[126:127], v[120:121], v[112:113], v[124:125] op_sel:[0,0,1] op_sel_hi:[1,1,0] neg_lo:[0,0,1] neg_hi:[0,0,1]
	v_pk_fma_f32 v[120:121], v[120:121], v[112:113], v[124:125] op_sel:[0,0,1] op_sel_hi:[1,0,0]
	v_mov_b32_e32 v127, v121
	v_pk_mul_f32 v[120:121], v[122:123], v[110:111] op_sel:[0,1]
	s_delay_alu instid0(VALU_DEP_2) | instskip(NEXT) | instid1(VALU_DEP_2)
	v_pk_add_f32 v[34:35], v[34:35], v[126:127] neg_lo:[0,1] neg_hi:[0,1]
	v_pk_fma_f32 v[124:125], v[122:123], v[112:113], v[120:121] op_sel:[0,0,1] op_sel_hi:[1,1,0] neg_lo:[0,0,1] neg_hi:[0,0,1]
	v_pk_fma_f32 v[120:121], v[122:123], v[112:113], v[120:121] op_sel:[0,0,1] op_sel_hi:[1,0,0]
	s_delay_alu instid0(VALU_DEP_1) | instskip(SKIP_4) | instid1(VALU_DEP_1)
	v_mov_b32_e32 v125, v121
	ds_load_2addr_b64 v[120:123], v114 offset0:48 offset1:49
	v_pk_add_f32 v[8:9], v[8:9], v[124:125] neg_lo:[0,1] neg_hi:[0,1]
	s_wait_dscnt 0x0
	v_pk_mul_f32 v[124:125], v[120:121], v[110:111] op_sel:[0,1]
	v_pk_fma_f32 v[126:127], v[120:121], v[112:113], v[124:125] op_sel:[0,0,1] op_sel_hi:[1,1,0] neg_lo:[0,0,1] neg_hi:[0,0,1]
	v_pk_fma_f32 v[120:121], v[120:121], v[112:113], v[124:125] op_sel:[0,0,1] op_sel_hi:[1,0,0]
	v_dual_mul_f32 v124, v123, v111 :: v_dual_mov_b32 v120, v123
	s_delay_alu instid0(VALU_DEP_2) | instskip(NEXT) | instid1(VALU_DEP_2)
	v_dual_mov_b32 v127, v121 :: v_dual_mov_b32 v121, v122
	v_pk_fma_f32 v[124:125], v[122:123], v[12:13], v[124:125] op_sel_hi:[1,1,0] neg_lo:[0,0,1] neg_hi:[0,0,1]
	v_mul_f32_e32 v122, v123, v112
	s_delay_alu instid0(VALU_DEP_3) | instskip(NEXT) | instid1(VALU_DEP_2)
	v_pk_add_f32 v[28:29], v[28:29], v[126:127] neg_lo:[0,1] neg_hi:[0,1]
	v_pk_fma_f32 v[120:121], v[120:121], v[12:13], v[122:123] op_sel_hi:[1,1,0]
	s_delay_alu instid0(VALU_DEP_1)
	v_mov_b32_e32 v125, v121
	ds_load_2addr_b64 v[120:123], v114 offset0:50 offset1:51
	v_pk_add_f32 v[16:17], v[16:17], v[124:125] neg_lo:[0,1] neg_hi:[0,1]
	s_wait_dscnt 0x0
	v_pk_mul_f32 v[124:125], v[120:121], v[110:111] op_sel:[0,1]
	v_pk_mul_f32 v[110:111], v[122:123], v[110:111] op_sel:[0,1]
	s_delay_alu instid0(VALU_DEP_2) | instskip(SKIP_1) | instid1(VALU_DEP_1)
	v_pk_fma_f32 v[126:127], v[120:121], v[112:113], v[124:125] op_sel:[0,0,1] op_sel_hi:[1,1,0] neg_lo:[0,0,1] neg_hi:[0,0,1]
	v_pk_fma_f32 v[120:121], v[120:121], v[112:113], v[124:125] op_sel:[0,0,1] op_sel_hi:[1,0,0]
	v_mov_b32_e32 v127, v121
	s_delay_alu instid0(VALU_DEP_4) | instskip(SKIP_1) | instid1(VALU_DEP_1)
	v_pk_fma_f32 v[120:121], v[122:123], v[112:113], v[110:111] op_sel:[0,0,1] op_sel_hi:[1,1,0] neg_lo:[0,0,1] neg_hi:[0,0,1]
	v_pk_fma_f32 v[110:111], v[122:123], v[112:113], v[110:111] op_sel:[0,0,1] op_sel_hi:[1,0,0]
	v_mov_b32_e32 v121, v111
	s_delay_alu instid0(VALU_DEP_4) | instskip(NEXT) | instid1(VALU_DEP_2)
	v_pk_add_f32 v[14:15], v[14:15], v[126:127] neg_lo:[0,1] neg_hi:[0,1]
	v_pk_add_f32 v[108:109], v[108:109], v[120:121] neg_lo:[0,1] neg_hi:[0,1]
.LBB102_755:
	s_or_b32 exec_lo, exec_lo, s0
	v_lshl_add_u32 v110, v118, 3, v114
	s_barrier_signal -1
	s_barrier_wait -1
	ds_store_b64 v110, v[50:51]
	s_wait_dscnt 0x0
	s_barrier_signal -1
	s_barrier_wait -1
	ds_load_b64 v[110:111], v114 offset:288
	v_mov_b32_e32 v112, 36
	s_cmp_lt_i32 s18, 38
	s_cbranch_scc1 .LBB102_758
; %bb.756:
	v_add3_u32 v113, v115, 0, 0x128
	v_mov_b32_e32 v112, 36
	s_mov_b32 s0, 37
.LBB102_757:                            ; =>This Inner Loop Header: Depth=1
	ds_load_b64 v[120:121], v113
	s_wait_dscnt 0x1
	v_cmp_gt_f32_e32 vcc_lo, 0, v110
	v_cndmask_b32_e64 v122, v110, -v110, vcc_lo
	v_cmp_gt_f32_e32 vcc_lo, 0, v111
	v_cndmask_b32_e64 v124, v111, -v111, vcc_lo
	s_wait_dscnt 0x0
	v_cmp_gt_f32_e32 vcc_lo, 0, v120
	v_cndmask_b32_e64 v123, v120, -v120, vcc_lo
	v_cmp_gt_f32_e32 vcc_lo, 0, v121
	v_cndmask_b32_e64 v125, v121, -v121, vcc_lo
	s_delay_alu instid0(VALU_DEP_1) | instskip(NEXT) | instid1(VALU_DEP_1)
	v_pk_add_f32 v[122:123], v[122:123], v[124:125]
	v_cmp_lt_f32_e32 vcc_lo, v122, v123
	v_dual_cndmask_b32 v110, v110, v120 :: v_dual_add_nc_u32 v113, 8, v113
	v_cndmask_b32_e32 v111, v111, v121, vcc_lo
	v_cndmask_b32_e64 v112, v112, s0, vcc_lo
	s_add_co_i32 s0, s0, 1
	s_delay_alu instid0(SALU_CYCLE_1)
	s_cmp_lg_u32 s18, s0
	s_cbranch_scc1 .LBB102_757
.LBB102_758:
	s_wait_dscnt 0x0
	v_cmp_eq_f32_e32 vcc_lo, 0, v110
	v_cmp_eq_f32_e64 s0, 0, v111
	s_and_b32 s0, vcc_lo, s0
	s_delay_alu instid0(SALU_CYCLE_1) | instskip(NEXT) | instid1(SALU_CYCLE_1)
	s_and_saveexec_b32 s1, s0
	s_xor_b32 s0, exec_lo, s1
; %bb.759:
	v_cmp_ne_u32_e32 vcc_lo, 0, v116
	v_cndmask_b32_e32 v116, 37, v116, vcc_lo
; %bb.760:
	s_and_not1_saveexec_b32 s0, s0
	s_cbranch_execz .LBB102_766
; %bb.761:
	v_cmp_ngt_f32_e64 s1, |v110|, |v111|
	s_and_saveexec_b32 s12, s1
	s_delay_alu instid0(SALU_CYCLE_1)
	s_xor_b32 s1, exec_lo, s12
	s_cbranch_execz .LBB102_763
; %bb.762:
	v_div_scale_f32 v113, null, v111, v111, v110
	v_div_scale_f32 v121, vcc_lo, v110, v111, v110
	s_delay_alu instid0(VALU_DEP_2) | instskip(SKIP_1) | instid1(TRANS32_DEP_1)
	v_rcp_f32_e32 v119, v113
	v_nop
	v_fma_f32 v120, -v113, v119, 1.0
	s_delay_alu instid0(VALU_DEP_1) | instskip(NEXT) | instid1(VALU_DEP_1)
	v_fmac_f32_e32 v119, v120, v119
	v_mul_f32_e32 v120, v121, v119
	s_delay_alu instid0(VALU_DEP_1) | instskip(NEXT) | instid1(VALU_DEP_1)
	v_fma_f32 v122, -v113, v120, v121
	v_fmac_f32_e32 v120, v122, v119
	s_delay_alu instid0(VALU_DEP_1) | instskip(NEXT) | instid1(VALU_DEP_1)
	v_fma_f32 v113, -v113, v120, v121
	v_div_fmas_f32 v113, v113, v119, v120
	s_delay_alu instid0(VALU_DEP_1) | instskip(NEXT) | instid1(VALU_DEP_1)
	v_div_fixup_f32 v113, v113, v111, v110
	v_fmac_f32_e32 v111, v110, v113
	s_delay_alu instid0(VALU_DEP_1) | instskip(SKIP_1) | instid1(VALU_DEP_2)
	v_div_scale_f32 v110, null, v111, v111, 1.0
	v_div_scale_f32 v121, vcc_lo, 1.0, v111, 1.0
	v_rcp_f32_e32 v119, v110
	v_nop
	s_delay_alu instid0(TRANS32_DEP_1) | instskip(NEXT) | instid1(VALU_DEP_1)
	v_fma_f32 v120, -v110, v119, 1.0
	v_fmac_f32_e32 v119, v120, v119
	s_delay_alu instid0(VALU_DEP_1) | instskip(NEXT) | instid1(VALU_DEP_1)
	v_mul_f32_e32 v120, v121, v119
	v_fma_f32 v122, -v110, v120, v121
	s_delay_alu instid0(VALU_DEP_1) | instskip(NEXT) | instid1(VALU_DEP_1)
	v_fmac_f32_e32 v120, v122, v119
	v_fma_f32 v110, -v110, v120, v121
	s_delay_alu instid0(VALU_DEP_1) | instskip(NEXT) | instid1(VALU_DEP_1)
	v_div_fmas_f32 v110, v110, v119, v120
	v_div_fixup_f32 v111, v110, v111, 1.0
	s_delay_alu instid0(VALU_DEP_1)
	v_mul_f32_e32 v110, v113, v111
	v_xor_b32_e32 v111, 0x80000000, v111
.LBB102_763:
	s_and_not1_saveexec_b32 s1, s1
	s_cbranch_execz .LBB102_765
; %bb.764:
	s_delay_alu instid0(VALU_DEP_1) | instskip(SKIP_1) | instid1(VALU_DEP_2)
	v_div_scale_f32 v113, null, v110, v110, v111
	v_div_scale_f32 v121, vcc_lo, v111, v110, v111
	v_rcp_f32_e32 v119, v113
	v_nop
	s_delay_alu instid0(TRANS32_DEP_1) | instskip(NEXT) | instid1(VALU_DEP_1)
	v_fma_f32 v120, -v113, v119, 1.0
	v_fmac_f32_e32 v119, v120, v119
	s_delay_alu instid0(VALU_DEP_1) | instskip(NEXT) | instid1(VALU_DEP_1)
	v_mul_f32_e32 v120, v121, v119
	v_fma_f32 v122, -v113, v120, v121
	s_delay_alu instid0(VALU_DEP_1) | instskip(NEXT) | instid1(VALU_DEP_1)
	v_fmac_f32_e32 v120, v122, v119
	v_fma_f32 v113, -v113, v120, v121
	s_delay_alu instid0(VALU_DEP_1) | instskip(NEXT) | instid1(VALU_DEP_1)
	v_div_fmas_f32 v113, v113, v119, v120
	v_div_fixup_f32 v113, v113, v110, v111
	s_delay_alu instid0(VALU_DEP_1) | instskip(NEXT) | instid1(VALU_DEP_1)
	v_fmac_f32_e32 v110, v111, v113
	v_div_scale_f32 v111, null, v110, v110, 1.0
	s_delay_alu instid0(VALU_DEP_1) | instskip(SKIP_1) | instid1(TRANS32_DEP_1)
	v_rcp_f32_e32 v119, v111
	v_nop
	v_fma_f32 v120, -v111, v119, 1.0
	s_delay_alu instid0(VALU_DEP_1) | instskip(SKIP_1) | instid1(VALU_DEP_1)
	v_fmac_f32_e32 v119, v120, v119
	v_div_scale_f32 v120, vcc_lo, 1.0, v110, 1.0
	v_mul_f32_e32 v121, v120, v119
	s_delay_alu instid0(VALU_DEP_1) | instskip(NEXT) | instid1(VALU_DEP_1)
	v_fma_f32 v122, -v111, v121, v120
	v_fmac_f32_e32 v121, v122, v119
	s_delay_alu instid0(VALU_DEP_1) | instskip(NEXT) | instid1(VALU_DEP_1)
	v_fma_f32 v111, -v111, v121, v120
	v_div_fmas_f32 v111, v111, v119, v121
	s_delay_alu instid0(VALU_DEP_1) | instskip(NEXT) | instid1(VALU_DEP_1)
	v_div_fixup_f32 v110, v111, v110, 1.0
	v_mul_f32_e64 v111, v113, -v110
.LBB102_765:
	s_or_b32 exec_lo, exec_lo, s1
.LBB102_766:
	s_delay_alu instid0(SALU_CYCLE_1) | instskip(NEXT) | instid1(SALU_CYCLE_1)
	s_or_b32 exec_lo, exec_lo, s0
	s_mov_b32 s0, exec_lo
	v_cmpx_ne_u32_e64 v118, v112
	s_xor_b32 s0, exec_lo, s0
	s_cbranch_execz .LBB102_772
; %bb.767:
	s_mov_b32 s1, exec_lo
	v_cmpx_eq_u32_e32 36, v118
	s_cbranch_execz .LBB102_771
; %bb.768:
	v_cmp_ne_u32_e32 vcc_lo, 36, v112
	s_xor_b32 s12, s16, -1
	s_delay_alu instid0(SALU_CYCLE_1) | instskip(NEXT) | instid1(SALU_CYCLE_1)
	s_and_b32 s13, s12, vcc_lo
	s_and_saveexec_b32 s12, s13
	s_cbranch_execz .LBB102_770
; %bb.769:
	v_ashrrev_i32_e32 v113, 31, v112
	s_delay_alu instid0(VALU_DEP_1)
	v_lshl_add_u64 v[118:119], v[112:113], 2, v[4:5]
	s_clause 0x1
	global_load_b32 v113, v[118:119], off
	global_load_b32 v117, v[4:5], off offset:144
	s_wait_loadcnt 0x1
	global_store_b32 v[4:5], v113, off offset:144
	s_wait_loadcnt 0x0
	global_store_b32 v[118:119], v117, off
.LBB102_770:
	s_wait_xcnt 0x0
	s_or_b32 exec_lo, exec_lo, s12
	v_dual_mov_b32 v118, v112 :: v_dual_mov_b32 v117, v112
.LBB102_771:
	s_or_b32 exec_lo, exec_lo, s1
.LBB102_772:
	s_and_not1_saveexec_b32 s0, s0
	s_cbranch_execz .LBB102_774
; %bb.773:
	v_mov_b32_e32 v118, 36
	ds_store_2addr_b64 v114, v[46:47], v[48:49] offset0:37 offset1:38
	ds_store_2addr_b64 v114, v[10:11], v[44:45] offset0:39 offset1:40
	;; [unrolled: 1-line block ×7, first 2 shown]
	ds_store_b64 v114, v[108:109] offset:408
.LBB102_774:
	s_or_b32 exec_lo, exec_lo, s0
	s_delay_alu instid0(SALU_CYCLE_1)
	s_mov_b32 s0, exec_lo
	s_wait_storecnt_dscnt 0x0
	s_barrier_signal -1
	s_barrier_wait -1
	v_cmpx_lt_i32_e32 36, v118
	s_cbranch_execz .LBB102_776
; %bb.775:
	v_pk_mul_f32 v[120:121], v[110:111], v[50:51] op_sel:[1,1] op_sel_hi:[0,1]
	s_delay_alu instid0(VALU_DEP_1)
	v_pk_fma_f32 v[112:113], v[110:111], v[50:51], v[120:121] op_sel_hi:[1,0,1] neg_lo:[0,0,1] neg_hi:[0,0,1]
	v_pk_fma_f32 v[110:111], v[110:111], v[50:51], v[120:121] op_sel_hi:[1,0,1]
	ds_load_2addr_b64 v[120:123], v114 offset0:37 offset1:38
	v_dual_mov_b32 v50, v112 :: v_dual_mov_b32 v51, v111
	s_wait_dscnt 0x0
	v_pk_mul_f32 v[124:125], v[120:121], v[110:111] op_sel:[0,1]
	s_delay_alu instid0(VALU_DEP_1) | instskip(SKIP_1) | instid1(VALU_DEP_1)
	v_pk_fma_f32 v[126:127], v[120:121], v[112:113], v[124:125] op_sel:[0,0,1] op_sel_hi:[1,1,0] neg_lo:[0,0,1] neg_hi:[0,0,1]
	v_pk_fma_f32 v[120:121], v[120:121], v[112:113], v[124:125] op_sel:[0,0,1] op_sel_hi:[1,0,0]
	v_mov_b32_e32 v127, v121
	v_pk_mul_f32 v[120:121], v[122:123], v[110:111] op_sel:[0,1]
	s_delay_alu instid0(VALU_DEP_1) | instskip(SKIP_1) | instid1(VALU_DEP_1)
	v_pk_fma_f32 v[124:125], v[122:123], v[112:113], v[120:121] op_sel:[0,0,1] op_sel_hi:[1,1,0] neg_lo:[0,0,1] neg_hi:[0,0,1]
	v_pk_fma_f32 v[120:121], v[122:123], v[112:113], v[120:121] op_sel:[0,0,1] op_sel_hi:[1,0,0]
	v_mov_b32_e32 v125, v121
	ds_load_2addr_b64 v[120:123], v114 offset0:39 offset1:40
	v_pk_add_f32 v[46:47], v[46:47], v[126:127] neg_lo:[0,1] neg_hi:[0,1]
	v_pk_add_f32 v[48:49], v[48:49], v[124:125] neg_lo:[0,1] neg_hi:[0,1]
	s_wait_dscnt 0x0
	v_pk_mul_f32 v[124:125], v[120:121], v[110:111] op_sel:[0,1]
	s_delay_alu instid0(VALU_DEP_1) | instskip(SKIP_2) | instid1(VALU_DEP_2)
	v_pk_fma_f32 v[126:127], v[120:121], v[112:113], v[124:125] op_sel:[0,0,1] op_sel_hi:[1,1,0] neg_lo:[0,0,1] neg_hi:[0,0,1]
	v_pk_fma_f32 v[120:121], v[120:121], v[112:113], v[124:125] op_sel:[0,0,1] op_sel_hi:[1,0,0]
	v_dual_mul_f32 v124, v123, v111 :: v_dual_mov_b32 v120, v123
	v_dual_mov_b32 v127, v121 :: v_dual_mov_b32 v121, v122
	s_delay_alu instid0(VALU_DEP_2) | instskip(SKIP_1) | instid1(VALU_DEP_3)
	v_pk_fma_f32 v[124:125], v[122:123], v[50:51], v[124:125] op_sel_hi:[1,1,0] neg_lo:[0,0,1] neg_hi:[0,0,1]
	v_mul_f32_e32 v122, v123, v112
	v_pk_add_f32 v[10:11], v[10:11], v[126:127] neg_lo:[0,1] neg_hi:[0,1]
	s_delay_alu instid0(VALU_DEP_2) | instskip(NEXT) | instid1(VALU_DEP_1)
	v_pk_fma_f32 v[120:121], v[120:121], v[50:51], v[122:123] op_sel_hi:[1,1,0]
	v_mov_b32_e32 v125, v121
	ds_load_2addr_b64 v[120:123], v114 offset0:41 offset1:42
	v_pk_add_f32 v[44:45], v[44:45], v[124:125] neg_lo:[0,1] neg_hi:[0,1]
	s_wait_dscnt 0x0
	v_pk_mul_f32 v[124:125], v[120:121], v[110:111] op_sel:[0,1]
	s_delay_alu instid0(VALU_DEP_1) | instskip(SKIP_1) | instid1(VALU_DEP_1)
	v_pk_fma_f32 v[126:127], v[120:121], v[112:113], v[124:125] op_sel:[0,0,1] op_sel_hi:[1,1,0] neg_lo:[0,0,1] neg_hi:[0,0,1]
	v_pk_fma_f32 v[120:121], v[120:121], v[112:113], v[124:125] op_sel:[0,0,1] op_sel_hi:[1,0,0]
	v_mov_b32_e32 v127, v121
	v_pk_mul_f32 v[120:121], v[122:123], v[110:111] op_sel:[0,1]
	s_delay_alu instid0(VALU_DEP_1) | instskip(SKIP_1) | instid1(VALU_DEP_1)
	v_pk_fma_f32 v[124:125], v[122:123], v[112:113], v[120:121] op_sel:[0,0,1] op_sel_hi:[1,1,0] neg_lo:[0,0,1] neg_hi:[0,0,1]
	v_pk_fma_f32 v[120:121], v[122:123], v[112:113], v[120:121] op_sel:[0,0,1] op_sel_hi:[1,0,0]
	v_mov_b32_e32 v125, v121
	ds_load_2addr_b64 v[120:123], v114 offset0:43 offset1:44
	v_pk_add_f32 v[40:41], v[40:41], v[126:127] neg_lo:[0,1] neg_hi:[0,1]
	v_pk_add_f32 v[42:43], v[42:43], v[124:125] neg_lo:[0,1] neg_hi:[0,1]
	s_wait_dscnt 0x0
	v_pk_mul_f32 v[124:125], v[120:121], v[110:111] op_sel:[0,1]
	s_delay_alu instid0(VALU_DEP_1) | instskip(SKIP_1) | instid1(VALU_DEP_1)
	v_pk_fma_f32 v[126:127], v[120:121], v[112:113], v[124:125] op_sel:[0,0,1] op_sel_hi:[1,1,0] neg_lo:[0,0,1] neg_hi:[0,0,1]
	v_pk_fma_f32 v[120:121], v[120:121], v[112:113], v[124:125] op_sel:[0,0,1] op_sel_hi:[1,0,0]
	v_mov_b32_e32 v127, v121
	v_pk_mul_f32 v[120:121], v[122:123], v[110:111] op_sel:[0,1]
	s_delay_alu instid0(VALU_DEP_1) | instskip(SKIP_1) | instid1(VALU_DEP_1)
	v_pk_fma_f32 v[124:125], v[122:123], v[112:113], v[120:121] op_sel:[0,0,1] op_sel_hi:[1,1,0] neg_lo:[0,0,1] neg_hi:[0,0,1]
	v_pk_fma_f32 v[120:121], v[122:123], v[112:113], v[120:121] op_sel:[0,0,1] op_sel_hi:[1,0,0]
	v_mov_b32_e32 v125, v121
	ds_load_2addr_b64 v[120:123], v114 offset0:45 offset1:46
	v_pk_add_f32 v[6:7], v[6:7], v[126:127] neg_lo:[0,1] neg_hi:[0,1]
	v_pk_add_f32 v[36:37], v[36:37], v[124:125] neg_lo:[0,1] neg_hi:[0,1]
	s_wait_dscnt 0x0
	v_dual_mul_f32 v124, v121, v111 :: v_dual_mul_f32 v126, v121, v112
	s_delay_alu instid0(VALU_DEP_1) | instskip(NEXT) | instid1(VALU_DEP_2)
	v_pk_fma_f32 v[124:125], v[120:121], v[50:51], v[124:125] op_sel_hi:[1,1,0] neg_lo:[0,0,1] neg_hi:[0,0,1]
	v_pk_fma_f32 v[120:121], v[120:121], v[50:51], v[126:127] op_sel:[1,0,0] op_sel_hi:[0,1,0]
	s_delay_alu instid0(VALU_DEP_1) | instskip(SKIP_1) | instid1(VALU_DEP_2)
	v_mov_b32_e32 v125, v121
	v_pk_mul_f32 v[120:121], v[122:123], v[110:111] op_sel:[0,1]
	v_pk_add_f32 v[30:31], v[30:31], v[124:125] neg_lo:[0,1] neg_hi:[0,1]
	s_delay_alu instid0(VALU_DEP_2) | instskip(SKIP_1) | instid1(VALU_DEP_1)
	v_pk_fma_f32 v[124:125], v[122:123], v[112:113], v[120:121] op_sel:[0,0,1] op_sel_hi:[1,1,0] neg_lo:[0,0,1] neg_hi:[0,0,1]
	v_pk_fma_f32 v[120:121], v[122:123], v[112:113], v[120:121] op_sel:[0,0,1] op_sel_hi:[1,0,0]
	v_mov_b32_e32 v125, v121
	ds_load_2addr_b64 v[120:123], v114 offset0:47 offset1:48
	v_pk_add_f32 v[34:35], v[34:35], v[124:125] neg_lo:[0,1] neg_hi:[0,1]
	s_wait_dscnt 0x0
	v_pk_mul_f32 v[124:125], v[120:121], v[110:111] op_sel:[0,1]
	s_delay_alu instid0(VALU_DEP_1) | instskip(SKIP_1) | instid1(VALU_DEP_1)
	v_pk_fma_f32 v[126:127], v[120:121], v[112:113], v[124:125] op_sel:[0,0,1] op_sel_hi:[1,1,0] neg_lo:[0,0,1] neg_hi:[0,0,1]
	v_pk_fma_f32 v[120:121], v[120:121], v[112:113], v[124:125] op_sel:[0,0,1] op_sel_hi:[1,0,0]
	v_mov_b32_e32 v127, v121
	v_pk_mul_f32 v[120:121], v[122:123], v[110:111] op_sel:[0,1]
	s_delay_alu instid0(VALU_DEP_2) | instskip(NEXT) | instid1(VALU_DEP_2)
	v_pk_add_f32 v[8:9], v[8:9], v[126:127] neg_lo:[0,1] neg_hi:[0,1]
	v_pk_fma_f32 v[124:125], v[122:123], v[112:113], v[120:121] op_sel:[0,0,1] op_sel_hi:[1,1,0] neg_lo:[0,0,1] neg_hi:[0,0,1]
	v_pk_fma_f32 v[120:121], v[122:123], v[112:113], v[120:121] op_sel:[0,0,1] op_sel_hi:[1,0,0]
	s_delay_alu instid0(VALU_DEP_1) | instskip(SKIP_4) | instid1(VALU_DEP_1)
	v_mov_b32_e32 v125, v121
	ds_load_2addr_b64 v[120:123], v114 offset0:49 offset1:50
	v_pk_add_f32 v[28:29], v[28:29], v[124:125] neg_lo:[0,1] neg_hi:[0,1]
	s_wait_dscnt 0x0
	v_pk_mul_f32 v[124:125], v[120:121], v[110:111] op_sel:[0,1]
	v_pk_fma_f32 v[126:127], v[120:121], v[112:113], v[124:125] op_sel:[0,0,1] op_sel_hi:[1,1,0] neg_lo:[0,0,1] neg_hi:[0,0,1]
	v_pk_fma_f32 v[120:121], v[120:121], v[112:113], v[124:125] op_sel:[0,0,1] op_sel_hi:[1,0,0]
	v_dual_mul_f32 v124, v123, v111 :: v_dual_mov_b32 v120, v123
	s_delay_alu instid0(VALU_DEP_2) | instskip(NEXT) | instid1(VALU_DEP_2)
	v_dual_mov_b32 v127, v121 :: v_dual_mov_b32 v121, v122
	v_pk_fma_f32 v[124:125], v[122:123], v[50:51], v[124:125] op_sel_hi:[1,1,0] neg_lo:[0,0,1] neg_hi:[0,0,1]
	v_mul_f32_e32 v122, v123, v112
	s_delay_alu instid0(VALU_DEP_3) | instskip(NEXT) | instid1(VALU_DEP_2)
	v_pk_add_f32 v[16:17], v[16:17], v[126:127] neg_lo:[0,1] neg_hi:[0,1]
	v_pk_fma_f32 v[120:121], v[120:121], v[50:51], v[122:123] op_sel_hi:[1,1,0]
	s_delay_alu instid0(VALU_DEP_1) | instskip(SKIP_4) | instid1(VALU_DEP_1)
	v_mov_b32_e32 v125, v121
	ds_load_b64 v[120:121], v114 offset:408
	v_pk_add_f32 v[14:15], v[14:15], v[124:125] neg_lo:[0,1] neg_hi:[0,1]
	s_wait_dscnt 0x0
	v_pk_mul_f32 v[110:111], v[120:121], v[110:111] op_sel:[0,1]
	v_pk_fma_f32 v[122:123], v[120:121], v[112:113], v[110:111] op_sel:[0,0,1] op_sel_hi:[1,1,0] neg_lo:[0,0,1] neg_hi:[0,0,1]
	v_pk_fma_f32 v[110:111], v[120:121], v[112:113], v[110:111] op_sel:[0,0,1] op_sel_hi:[1,0,0]
	s_delay_alu instid0(VALU_DEP_1) | instskip(NEXT) | instid1(VALU_DEP_1)
	v_mov_b32_e32 v123, v111
	v_pk_add_f32 v[108:109], v[108:109], v[122:123] neg_lo:[0,1] neg_hi:[0,1]
.LBB102_776:
	s_or_b32 exec_lo, exec_lo, s0
	v_lshl_add_u32 v110, v118, 3, v114
	s_barrier_signal -1
	s_barrier_wait -1
	ds_store_b64 v110, v[46:47]
	s_wait_dscnt 0x0
	s_barrier_signal -1
	s_barrier_wait -1
	ds_load_b64 v[110:111], v114 offset:296
	v_mov_b32_e32 v112, 37
	s_cmp_lt_i32 s18, 39
	s_cbranch_scc1 .LBB102_779
; %bb.777:
	v_add3_u32 v113, v115, 0, 0x130
	v_mov_b32_e32 v112, 37
	s_mov_b32 s0, 38
.LBB102_778:                            ; =>This Inner Loop Header: Depth=1
	ds_load_b64 v[120:121], v113
	s_wait_dscnt 0x1
	v_cmp_gt_f32_e32 vcc_lo, 0, v110
	v_cndmask_b32_e64 v122, v110, -v110, vcc_lo
	v_cmp_gt_f32_e32 vcc_lo, 0, v111
	v_cndmask_b32_e64 v124, v111, -v111, vcc_lo
	s_wait_dscnt 0x0
	v_cmp_gt_f32_e32 vcc_lo, 0, v120
	v_cndmask_b32_e64 v123, v120, -v120, vcc_lo
	v_cmp_gt_f32_e32 vcc_lo, 0, v121
	v_cndmask_b32_e64 v125, v121, -v121, vcc_lo
	s_delay_alu instid0(VALU_DEP_1) | instskip(NEXT) | instid1(VALU_DEP_1)
	v_pk_add_f32 v[122:123], v[122:123], v[124:125]
	v_cmp_lt_f32_e32 vcc_lo, v122, v123
	v_dual_cndmask_b32 v110, v110, v120 :: v_dual_add_nc_u32 v113, 8, v113
	v_cndmask_b32_e32 v111, v111, v121, vcc_lo
	v_cndmask_b32_e64 v112, v112, s0, vcc_lo
	s_add_co_i32 s0, s0, 1
	s_delay_alu instid0(SALU_CYCLE_1)
	s_cmp_lg_u32 s18, s0
	s_cbranch_scc1 .LBB102_778
.LBB102_779:
	s_wait_dscnt 0x0
	v_cmp_eq_f32_e32 vcc_lo, 0, v110
	v_cmp_eq_f32_e64 s0, 0, v111
	s_and_b32 s0, vcc_lo, s0
	s_delay_alu instid0(SALU_CYCLE_1) | instskip(NEXT) | instid1(SALU_CYCLE_1)
	s_and_saveexec_b32 s1, s0
	s_xor_b32 s0, exec_lo, s1
; %bb.780:
	v_cmp_ne_u32_e32 vcc_lo, 0, v116
	v_cndmask_b32_e32 v116, 38, v116, vcc_lo
; %bb.781:
	s_and_not1_saveexec_b32 s0, s0
	s_cbranch_execz .LBB102_787
; %bb.782:
	v_cmp_ngt_f32_e64 s1, |v110|, |v111|
	s_and_saveexec_b32 s12, s1
	s_delay_alu instid0(SALU_CYCLE_1)
	s_xor_b32 s1, exec_lo, s12
	s_cbranch_execz .LBB102_784
; %bb.783:
	v_div_scale_f32 v113, null, v111, v111, v110
	v_div_scale_f32 v121, vcc_lo, v110, v111, v110
	s_delay_alu instid0(VALU_DEP_2) | instskip(SKIP_1) | instid1(TRANS32_DEP_1)
	v_rcp_f32_e32 v119, v113
	v_nop
	v_fma_f32 v120, -v113, v119, 1.0
	s_delay_alu instid0(VALU_DEP_1) | instskip(NEXT) | instid1(VALU_DEP_1)
	v_fmac_f32_e32 v119, v120, v119
	v_mul_f32_e32 v120, v121, v119
	s_delay_alu instid0(VALU_DEP_1) | instskip(NEXT) | instid1(VALU_DEP_1)
	v_fma_f32 v122, -v113, v120, v121
	v_fmac_f32_e32 v120, v122, v119
	s_delay_alu instid0(VALU_DEP_1) | instskip(NEXT) | instid1(VALU_DEP_1)
	v_fma_f32 v113, -v113, v120, v121
	v_div_fmas_f32 v113, v113, v119, v120
	s_delay_alu instid0(VALU_DEP_1) | instskip(NEXT) | instid1(VALU_DEP_1)
	v_div_fixup_f32 v113, v113, v111, v110
	v_fmac_f32_e32 v111, v110, v113
	s_delay_alu instid0(VALU_DEP_1) | instskip(SKIP_1) | instid1(VALU_DEP_2)
	v_div_scale_f32 v110, null, v111, v111, 1.0
	v_div_scale_f32 v121, vcc_lo, 1.0, v111, 1.0
	v_rcp_f32_e32 v119, v110
	v_nop
	s_delay_alu instid0(TRANS32_DEP_1) | instskip(NEXT) | instid1(VALU_DEP_1)
	v_fma_f32 v120, -v110, v119, 1.0
	v_fmac_f32_e32 v119, v120, v119
	s_delay_alu instid0(VALU_DEP_1) | instskip(NEXT) | instid1(VALU_DEP_1)
	v_mul_f32_e32 v120, v121, v119
	v_fma_f32 v122, -v110, v120, v121
	s_delay_alu instid0(VALU_DEP_1) | instskip(NEXT) | instid1(VALU_DEP_1)
	v_fmac_f32_e32 v120, v122, v119
	v_fma_f32 v110, -v110, v120, v121
	s_delay_alu instid0(VALU_DEP_1) | instskip(NEXT) | instid1(VALU_DEP_1)
	v_div_fmas_f32 v110, v110, v119, v120
	v_div_fixup_f32 v111, v110, v111, 1.0
	s_delay_alu instid0(VALU_DEP_1)
	v_mul_f32_e32 v110, v113, v111
	v_xor_b32_e32 v111, 0x80000000, v111
.LBB102_784:
	s_and_not1_saveexec_b32 s1, s1
	s_cbranch_execz .LBB102_786
; %bb.785:
	s_delay_alu instid0(VALU_DEP_1) | instskip(SKIP_1) | instid1(VALU_DEP_2)
	v_div_scale_f32 v113, null, v110, v110, v111
	v_div_scale_f32 v121, vcc_lo, v111, v110, v111
	v_rcp_f32_e32 v119, v113
	v_nop
	s_delay_alu instid0(TRANS32_DEP_1) | instskip(NEXT) | instid1(VALU_DEP_1)
	v_fma_f32 v120, -v113, v119, 1.0
	v_fmac_f32_e32 v119, v120, v119
	s_delay_alu instid0(VALU_DEP_1) | instskip(NEXT) | instid1(VALU_DEP_1)
	v_mul_f32_e32 v120, v121, v119
	v_fma_f32 v122, -v113, v120, v121
	s_delay_alu instid0(VALU_DEP_1) | instskip(NEXT) | instid1(VALU_DEP_1)
	v_fmac_f32_e32 v120, v122, v119
	v_fma_f32 v113, -v113, v120, v121
	s_delay_alu instid0(VALU_DEP_1) | instskip(NEXT) | instid1(VALU_DEP_1)
	v_div_fmas_f32 v113, v113, v119, v120
	v_div_fixup_f32 v113, v113, v110, v111
	s_delay_alu instid0(VALU_DEP_1) | instskip(NEXT) | instid1(VALU_DEP_1)
	v_fmac_f32_e32 v110, v111, v113
	v_div_scale_f32 v111, null, v110, v110, 1.0
	s_delay_alu instid0(VALU_DEP_1) | instskip(SKIP_1) | instid1(TRANS32_DEP_1)
	v_rcp_f32_e32 v119, v111
	v_nop
	v_fma_f32 v120, -v111, v119, 1.0
	s_delay_alu instid0(VALU_DEP_1) | instskip(SKIP_1) | instid1(VALU_DEP_1)
	v_fmac_f32_e32 v119, v120, v119
	v_div_scale_f32 v120, vcc_lo, 1.0, v110, 1.0
	v_mul_f32_e32 v121, v120, v119
	s_delay_alu instid0(VALU_DEP_1) | instskip(NEXT) | instid1(VALU_DEP_1)
	v_fma_f32 v122, -v111, v121, v120
	v_fmac_f32_e32 v121, v122, v119
	s_delay_alu instid0(VALU_DEP_1) | instskip(NEXT) | instid1(VALU_DEP_1)
	v_fma_f32 v111, -v111, v121, v120
	v_div_fmas_f32 v111, v111, v119, v121
	s_delay_alu instid0(VALU_DEP_1) | instskip(NEXT) | instid1(VALU_DEP_1)
	v_div_fixup_f32 v110, v111, v110, 1.0
	v_mul_f32_e64 v111, v113, -v110
.LBB102_786:
	s_or_b32 exec_lo, exec_lo, s1
.LBB102_787:
	s_delay_alu instid0(SALU_CYCLE_1) | instskip(NEXT) | instid1(SALU_CYCLE_1)
	s_or_b32 exec_lo, exec_lo, s0
	s_mov_b32 s0, exec_lo
	v_cmpx_ne_u32_e64 v118, v112
	s_xor_b32 s0, exec_lo, s0
	s_cbranch_execz .LBB102_793
; %bb.788:
	s_mov_b32 s1, exec_lo
	v_cmpx_eq_u32_e32 37, v118
	s_cbranch_execz .LBB102_792
; %bb.789:
	v_cmp_ne_u32_e32 vcc_lo, 37, v112
	s_xor_b32 s12, s16, -1
	s_delay_alu instid0(SALU_CYCLE_1) | instskip(NEXT) | instid1(SALU_CYCLE_1)
	s_and_b32 s13, s12, vcc_lo
	s_and_saveexec_b32 s12, s13
	s_cbranch_execz .LBB102_791
; %bb.790:
	v_ashrrev_i32_e32 v113, 31, v112
	s_delay_alu instid0(VALU_DEP_1)
	v_lshl_add_u64 v[118:119], v[112:113], 2, v[4:5]
	s_clause 0x1
	global_load_b32 v113, v[118:119], off
	global_load_b32 v117, v[4:5], off offset:148
	s_wait_loadcnt 0x1
	global_store_b32 v[4:5], v113, off offset:148
	s_wait_loadcnt 0x0
	global_store_b32 v[118:119], v117, off
.LBB102_791:
	s_wait_xcnt 0x0
	s_or_b32 exec_lo, exec_lo, s12
	v_dual_mov_b32 v118, v112 :: v_dual_mov_b32 v117, v112
.LBB102_792:
	s_or_b32 exec_lo, exec_lo, s1
.LBB102_793:
	s_and_not1_saveexec_b32 s0, s0
	s_cbranch_execz .LBB102_795
; %bb.794:
	v_dual_mov_b32 v112, v48 :: v_dual_mov_b32 v113, v49
	v_dual_mov_b32 v118, v10 :: v_dual_mov_b32 v119, v11
	;; [unrolled: 1-line block ×4, first 2 shown]
	ds_store_2addr_b64 v114, v[112:113], v[118:119] offset0:38 offset1:39
	ds_store_2addr_b64 v114, v[120:121], v[122:123] offset0:40 offset1:41
	v_dual_mov_b32 v112, v42 :: v_dual_mov_b32 v113, v43
	v_dual_mov_b32 v120, v6 :: v_dual_mov_b32 v121, v7
	;; [unrolled: 1-line block ×9, first 2 shown]
	v_mov_b32_e32 v135, v15
	ds_store_2addr_b64 v114, v[112:113], v[120:121] offset0:42 offset1:43
	ds_store_2addr_b64 v114, v[122:123], v[124:125] offset0:44 offset1:45
	;; [unrolled: 1-line block ×5, first 2 shown]
.LBB102_795:
	s_or_b32 exec_lo, exec_lo, s0
	s_delay_alu instid0(SALU_CYCLE_1)
	s_mov_b32 s0, exec_lo
	s_wait_storecnt_dscnt 0x0
	s_barrier_signal -1
	s_barrier_wait -1
	v_cmpx_lt_i32_e32 37, v118
	s_cbranch_execz .LBB102_797
; %bb.796:
	v_pk_mul_f32 v[112:113], v[110:111], v[46:47] op_sel:[1,1] op_sel_hi:[0,1]
	s_delay_alu instid0(VALU_DEP_1)
	v_pk_fma_f32 v[120:121], v[110:111], v[46:47], v[112:113] op_sel_hi:[1,0,1] neg_lo:[0,0,1] neg_hi:[0,0,1]
	v_pk_fma_f32 v[122:123], v[110:111], v[46:47], v[112:113] op_sel_hi:[1,0,1]
	ds_load_2addr_b64 v[110:113], v114 offset0:38 offset1:39
	v_dual_mov_b32 v46, v120 :: v_dual_mov_b32 v47, v123
	s_wait_dscnt 0x0
	v_pk_mul_f32 v[124:125], v[110:111], v[122:123] op_sel:[0,1]
	s_delay_alu instid0(VALU_DEP_1) | instskip(SKIP_1) | instid1(VALU_DEP_1)
	v_pk_fma_f32 v[126:127], v[110:111], v[120:121], v[124:125] op_sel:[0,0,1] op_sel_hi:[1,1,0] neg_lo:[0,0,1] neg_hi:[0,0,1]
	v_pk_fma_f32 v[110:111], v[110:111], v[120:121], v[124:125] op_sel:[0,0,1] op_sel_hi:[1,0,0]
	v_mov_b32_e32 v127, v111
	v_pk_mul_f32 v[110:111], v[112:113], v[122:123] op_sel:[0,1]
	s_delay_alu instid0(VALU_DEP_1) | instskip(SKIP_1) | instid1(VALU_DEP_1)
	v_pk_fma_f32 v[124:125], v[112:113], v[120:121], v[110:111] op_sel:[0,0,1] op_sel_hi:[1,1,0] neg_lo:[0,0,1] neg_hi:[0,0,1]
	v_pk_fma_f32 v[110:111], v[112:113], v[120:121], v[110:111] op_sel:[0,0,1] op_sel_hi:[1,0,0]
	v_mov_b32_e32 v125, v111
	ds_load_2addr_b64 v[110:113], v114 offset0:40 offset1:41
	v_pk_add_f32 v[48:49], v[48:49], v[126:127] neg_lo:[0,1] neg_hi:[0,1]
	v_pk_add_f32 v[10:11], v[10:11], v[124:125] neg_lo:[0,1] neg_hi:[0,1]
	s_wait_dscnt 0x0
	v_pk_mul_f32 v[124:125], v[110:111], v[122:123] op_sel:[0,1]
	s_delay_alu instid0(VALU_DEP_1) | instskip(SKIP_2) | instid1(VALU_DEP_2)
	v_pk_fma_f32 v[126:127], v[110:111], v[120:121], v[124:125] op_sel:[0,0,1] op_sel_hi:[1,1,0] neg_lo:[0,0,1] neg_hi:[0,0,1]
	v_pk_fma_f32 v[110:111], v[110:111], v[120:121], v[124:125] op_sel:[0,0,1] op_sel_hi:[1,0,0]
	v_dual_mul_f32 v124, v113, v123 :: v_dual_mov_b32 v110, v113
	v_dual_mov_b32 v127, v111 :: v_dual_mov_b32 v111, v112
	s_delay_alu instid0(VALU_DEP_2) | instskip(SKIP_1) | instid1(VALU_DEP_3)
	v_pk_fma_f32 v[124:125], v[112:113], v[46:47], v[124:125] op_sel_hi:[1,1,0] neg_lo:[0,0,1] neg_hi:[0,0,1]
	v_mul_f32_e32 v112, v113, v120
	v_pk_add_f32 v[44:45], v[44:45], v[126:127] neg_lo:[0,1] neg_hi:[0,1]
	s_delay_alu instid0(VALU_DEP_2) | instskip(NEXT) | instid1(VALU_DEP_1)
	v_pk_fma_f32 v[110:111], v[110:111], v[46:47], v[112:113] op_sel_hi:[1,1,0]
	v_mov_b32_e32 v125, v111
	ds_load_2addr_b64 v[110:113], v114 offset0:42 offset1:43
	v_pk_add_f32 v[40:41], v[40:41], v[124:125] neg_lo:[0,1] neg_hi:[0,1]
	s_wait_dscnt 0x0
	v_pk_mul_f32 v[124:125], v[110:111], v[122:123] op_sel:[0,1]
	s_delay_alu instid0(VALU_DEP_1) | instskip(SKIP_1) | instid1(VALU_DEP_1)
	v_pk_fma_f32 v[126:127], v[110:111], v[120:121], v[124:125] op_sel:[0,0,1] op_sel_hi:[1,1,0] neg_lo:[0,0,1] neg_hi:[0,0,1]
	v_pk_fma_f32 v[110:111], v[110:111], v[120:121], v[124:125] op_sel:[0,0,1] op_sel_hi:[1,0,0]
	v_mov_b32_e32 v127, v111
	v_pk_mul_f32 v[110:111], v[112:113], v[122:123] op_sel:[0,1]
	s_delay_alu instid0(VALU_DEP_1) | instskip(SKIP_1) | instid1(VALU_DEP_1)
	v_pk_fma_f32 v[124:125], v[112:113], v[120:121], v[110:111] op_sel:[0,0,1] op_sel_hi:[1,1,0] neg_lo:[0,0,1] neg_hi:[0,0,1]
	v_pk_fma_f32 v[110:111], v[112:113], v[120:121], v[110:111] op_sel:[0,0,1] op_sel_hi:[1,0,0]
	v_mov_b32_e32 v125, v111
	ds_load_2addr_b64 v[110:113], v114 offset0:44 offset1:45
	v_pk_add_f32 v[42:43], v[42:43], v[126:127] neg_lo:[0,1] neg_hi:[0,1]
	v_pk_add_f32 v[6:7], v[6:7], v[124:125] neg_lo:[0,1] neg_hi:[0,1]
	s_wait_dscnt 0x0
	v_pk_mul_f32 v[124:125], v[110:111], v[122:123] op_sel:[0,1]
	s_delay_alu instid0(VALU_DEP_1) | instskip(SKIP_1) | instid1(VALU_DEP_1)
	v_pk_fma_f32 v[126:127], v[110:111], v[120:121], v[124:125] op_sel:[0,0,1] op_sel_hi:[1,1,0] neg_lo:[0,0,1] neg_hi:[0,0,1]
	v_pk_fma_f32 v[110:111], v[110:111], v[120:121], v[124:125] op_sel:[0,0,1] op_sel_hi:[1,0,0]
	v_mov_b32_e32 v127, v111
	v_pk_mul_f32 v[110:111], v[112:113], v[122:123] op_sel:[0,1]
	s_delay_alu instid0(VALU_DEP_1) | instskip(SKIP_1) | instid1(VALU_DEP_1)
	v_pk_fma_f32 v[124:125], v[112:113], v[120:121], v[110:111] op_sel:[0,0,1] op_sel_hi:[1,1,0] neg_lo:[0,0,1] neg_hi:[0,0,1]
	v_pk_fma_f32 v[110:111], v[112:113], v[120:121], v[110:111] op_sel:[0,0,1] op_sel_hi:[1,0,0]
	v_mov_b32_e32 v125, v111
	ds_load_2addr_b64 v[110:113], v114 offset0:46 offset1:47
	v_pk_add_f32 v[36:37], v[36:37], v[126:127] neg_lo:[0,1] neg_hi:[0,1]
	v_pk_add_f32 v[30:31], v[30:31], v[124:125] neg_lo:[0,1] neg_hi:[0,1]
	s_wait_dscnt 0x0
	v_dual_mul_f32 v124, v111, v123 :: v_dual_mul_f32 v126, v111, v120
	s_delay_alu instid0(VALU_DEP_1) | instskip(NEXT) | instid1(VALU_DEP_2)
	v_pk_fma_f32 v[124:125], v[110:111], v[46:47], v[124:125] op_sel_hi:[1,1,0] neg_lo:[0,0,1] neg_hi:[0,0,1]
	v_pk_fma_f32 v[110:111], v[110:111], v[46:47], v[126:127] op_sel:[1,0,0] op_sel_hi:[0,1,0]
	s_delay_alu instid0(VALU_DEP_1) | instskip(SKIP_1) | instid1(VALU_DEP_2)
	v_mov_b32_e32 v125, v111
	v_pk_mul_f32 v[110:111], v[112:113], v[122:123] op_sel:[0,1]
	v_pk_add_f32 v[34:35], v[34:35], v[124:125] neg_lo:[0,1] neg_hi:[0,1]
	s_delay_alu instid0(VALU_DEP_2) | instskip(SKIP_1) | instid1(VALU_DEP_1)
	v_pk_fma_f32 v[124:125], v[112:113], v[120:121], v[110:111] op_sel:[0,0,1] op_sel_hi:[1,1,0] neg_lo:[0,0,1] neg_hi:[0,0,1]
	v_pk_fma_f32 v[110:111], v[112:113], v[120:121], v[110:111] op_sel:[0,0,1] op_sel_hi:[1,0,0]
	v_mov_b32_e32 v125, v111
	ds_load_2addr_b64 v[110:113], v114 offset0:48 offset1:49
	v_pk_add_f32 v[8:9], v[8:9], v[124:125] neg_lo:[0,1] neg_hi:[0,1]
	s_wait_dscnt 0x0
	v_pk_mul_f32 v[124:125], v[110:111], v[122:123] op_sel:[0,1]
	s_delay_alu instid0(VALU_DEP_1) | instskip(SKIP_1) | instid1(VALU_DEP_1)
	v_pk_fma_f32 v[126:127], v[110:111], v[120:121], v[124:125] op_sel:[0,0,1] op_sel_hi:[1,1,0] neg_lo:[0,0,1] neg_hi:[0,0,1]
	v_pk_fma_f32 v[110:111], v[110:111], v[120:121], v[124:125] op_sel:[0,0,1] op_sel_hi:[1,0,0]
	v_mov_b32_e32 v127, v111
	v_pk_mul_f32 v[110:111], v[112:113], v[122:123] op_sel:[0,1]
	s_delay_alu instid0(VALU_DEP_2) | instskip(NEXT) | instid1(VALU_DEP_2)
	v_pk_add_f32 v[28:29], v[28:29], v[126:127] neg_lo:[0,1] neg_hi:[0,1]
	v_pk_fma_f32 v[124:125], v[112:113], v[120:121], v[110:111] op_sel:[0,0,1] op_sel_hi:[1,1,0] neg_lo:[0,0,1] neg_hi:[0,0,1]
	v_pk_fma_f32 v[110:111], v[112:113], v[120:121], v[110:111] op_sel:[0,0,1] op_sel_hi:[1,0,0]
	s_delay_alu instid0(VALU_DEP_1) | instskip(SKIP_4) | instid1(VALU_DEP_1)
	v_mov_b32_e32 v125, v111
	ds_load_2addr_b64 v[110:113], v114 offset0:50 offset1:51
	v_pk_add_f32 v[16:17], v[16:17], v[124:125] neg_lo:[0,1] neg_hi:[0,1]
	s_wait_dscnt 0x0
	v_pk_mul_f32 v[124:125], v[110:111], v[122:123] op_sel:[0,1]
	v_pk_fma_f32 v[126:127], v[110:111], v[120:121], v[124:125] op_sel:[0,0,1] op_sel_hi:[1,1,0] neg_lo:[0,0,1] neg_hi:[0,0,1]
	v_pk_fma_f32 v[110:111], v[110:111], v[120:121], v[124:125] op_sel:[0,0,1] op_sel_hi:[1,0,0]
	s_delay_alu instid0(VALU_DEP_1) | instskip(SKIP_1) | instid1(VALU_DEP_2)
	v_mov_b32_e32 v127, v111
	v_pk_mul_f32 v[110:111], v[112:113], v[122:123] op_sel:[0,1]
	v_pk_add_f32 v[14:15], v[14:15], v[126:127] neg_lo:[0,1] neg_hi:[0,1]
	s_delay_alu instid0(VALU_DEP_2) | instskip(SKIP_1) | instid1(VALU_DEP_1)
	v_pk_fma_f32 v[122:123], v[112:113], v[120:121], v[110:111] op_sel:[0,0,1] op_sel_hi:[1,1,0] neg_lo:[0,0,1] neg_hi:[0,0,1]
	v_pk_fma_f32 v[110:111], v[112:113], v[120:121], v[110:111] op_sel:[0,0,1] op_sel_hi:[1,0,0]
	v_mov_b32_e32 v123, v111
	s_delay_alu instid0(VALU_DEP_1)
	v_pk_add_f32 v[108:109], v[108:109], v[122:123] neg_lo:[0,1] neg_hi:[0,1]
.LBB102_797:
	s_or_b32 exec_lo, exec_lo, s0
	v_lshl_add_u32 v110, v118, 3, v114
	s_barrier_signal -1
	s_barrier_wait -1
	ds_store_b64 v110, v[48:49]
	s_wait_dscnt 0x0
	s_barrier_signal -1
	s_barrier_wait -1
	ds_load_b64 v[110:111], v114 offset:304
	v_mov_b32_e32 v112, 38
	s_cmp_lt_i32 s18, 40
	s_cbranch_scc1 .LBB102_800
; %bb.798:
	v_add3_u32 v113, v115, 0, 0x138
	v_mov_b32_e32 v112, 38
	s_mov_b32 s0, 39
.LBB102_799:                            ; =>This Inner Loop Header: Depth=1
	ds_load_b64 v[120:121], v113
	s_wait_dscnt 0x1
	v_cmp_gt_f32_e32 vcc_lo, 0, v110
	v_cndmask_b32_e64 v122, v110, -v110, vcc_lo
	v_cmp_gt_f32_e32 vcc_lo, 0, v111
	v_cndmask_b32_e64 v124, v111, -v111, vcc_lo
	s_wait_dscnt 0x0
	v_cmp_gt_f32_e32 vcc_lo, 0, v120
	v_cndmask_b32_e64 v123, v120, -v120, vcc_lo
	v_cmp_gt_f32_e32 vcc_lo, 0, v121
	v_cndmask_b32_e64 v125, v121, -v121, vcc_lo
	s_delay_alu instid0(VALU_DEP_1) | instskip(NEXT) | instid1(VALU_DEP_1)
	v_pk_add_f32 v[122:123], v[122:123], v[124:125]
	v_cmp_lt_f32_e32 vcc_lo, v122, v123
	v_dual_cndmask_b32 v110, v110, v120 :: v_dual_add_nc_u32 v113, 8, v113
	v_cndmask_b32_e32 v111, v111, v121, vcc_lo
	v_cndmask_b32_e64 v112, v112, s0, vcc_lo
	s_add_co_i32 s0, s0, 1
	s_delay_alu instid0(SALU_CYCLE_1)
	s_cmp_lg_u32 s18, s0
	s_cbranch_scc1 .LBB102_799
.LBB102_800:
	s_wait_dscnt 0x0
	v_cmp_eq_f32_e32 vcc_lo, 0, v110
	v_cmp_eq_f32_e64 s0, 0, v111
	s_and_b32 s0, vcc_lo, s0
	s_delay_alu instid0(SALU_CYCLE_1) | instskip(NEXT) | instid1(SALU_CYCLE_1)
	s_and_saveexec_b32 s1, s0
	s_xor_b32 s0, exec_lo, s1
; %bb.801:
	v_cmp_ne_u32_e32 vcc_lo, 0, v116
	v_cndmask_b32_e32 v116, 39, v116, vcc_lo
; %bb.802:
	s_and_not1_saveexec_b32 s0, s0
	s_cbranch_execz .LBB102_808
; %bb.803:
	v_cmp_ngt_f32_e64 s1, |v110|, |v111|
	s_and_saveexec_b32 s12, s1
	s_delay_alu instid0(SALU_CYCLE_1)
	s_xor_b32 s1, exec_lo, s12
	s_cbranch_execz .LBB102_805
; %bb.804:
	v_div_scale_f32 v113, null, v111, v111, v110
	v_div_scale_f32 v121, vcc_lo, v110, v111, v110
	s_delay_alu instid0(VALU_DEP_2) | instskip(SKIP_1) | instid1(TRANS32_DEP_1)
	v_rcp_f32_e32 v119, v113
	v_nop
	v_fma_f32 v120, -v113, v119, 1.0
	s_delay_alu instid0(VALU_DEP_1) | instskip(NEXT) | instid1(VALU_DEP_1)
	v_fmac_f32_e32 v119, v120, v119
	v_mul_f32_e32 v120, v121, v119
	s_delay_alu instid0(VALU_DEP_1) | instskip(NEXT) | instid1(VALU_DEP_1)
	v_fma_f32 v122, -v113, v120, v121
	v_fmac_f32_e32 v120, v122, v119
	s_delay_alu instid0(VALU_DEP_1) | instskip(NEXT) | instid1(VALU_DEP_1)
	v_fma_f32 v113, -v113, v120, v121
	v_div_fmas_f32 v113, v113, v119, v120
	s_delay_alu instid0(VALU_DEP_1) | instskip(NEXT) | instid1(VALU_DEP_1)
	v_div_fixup_f32 v113, v113, v111, v110
	v_fmac_f32_e32 v111, v110, v113
	s_delay_alu instid0(VALU_DEP_1) | instskip(SKIP_1) | instid1(VALU_DEP_2)
	v_div_scale_f32 v110, null, v111, v111, 1.0
	v_div_scale_f32 v121, vcc_lo, 1.0, v111, 1.0
	v_rcp_f32_e32 v119, v110
	v_nop
	s_delay_alu instid0(TRANS32_DEP_1) | instskip(NEXT) | instid1(VALU_DEP_1)
	v_fma_f32 v120, -v110, v119, 1.0
	v_fmac_f32_e32 v119, v120, v119
	s_delay_alu instid0(VALU_DEP_1) | instskip(NEXT) | instid1(VALU_DEP_1)
	v_mul_f32_e32 v120, v121, v119
	v_fma_f32 v122, -v110, v120, v121
	s_delay_alu instid0(VALU_DEP_1) | instskip(NEXT) | instid1(VALU_DEP_1)
	v_fmac_f32_e32 v120, v122, v119
	v_fma_f32 v110, -v110, v120, v121
	s_delay_alu instid0(VALU_DEP_1) | instskip(NEXT) | instid1(VALU_DEP_1)
	v_div_fmas_f32 v110, v110, v119, v120
	v_div_fixup_f32 v111, v110, v111, 1.0
	s_delay_alu instid0(VALU_DEP_1)
	v_mul_f32_e32 v110, v113, v111
	v_xor_b32_e32 v111, 0x80000000, v111
.LBB102_805:
	s_and_not1_saveexec_b32 s1, s1
	s_cbranch_execz .LBB102_807
; %bb.806:
	s_delay_alu instid0(VALU_DEP_1) | instskip(SKIP_1) | instid1(VALU_DEP_2)
	v_div_scale_f32 v113, null, v110, v110, v111
	v_div_scale_f32 v121, vcc_lo, v111, v110, v111
	v_rcp_f32_e32 v119, v113
	v_nop
	s_delay_alu instid0(TRANS32_DEP_1) | instskip(NEXT) | instid1(VALU_DEP_1)
	v_fma_f32 v120, -v113, v119, 1.0
	v_fmac_f32_e32 v119, v120, v119
	s_delay_alu instid0(VALU_DEP_1) | instskip(NEXT) | instid1(VALU_DEP_1)
	v_mul_f32_e32 v120, v121, v119
	v_fma_f32 v122, -v113, v120, v121
	s_delay_alu instid0(VALU_DEP_1) | instskip(NEXT) | instid1(VALU_DEP_1)
	v_fmac_f32_e32 v120, v122, v119
	v_fma_f32 v113, -v113, v120, v121
	s_delay_alu instid0(VALU_DEP_1) | instskip(NEXT) | instid1(VALU_DEP_1)
	v_div_fmas_f32 v113, v113, v119, v120
	v_div_fixup_f32 v113, v113, v110, v111
	s_delay_alu instid0(VALU_DEP_1) | instskip(NEXT) | instid1(VALU_DEP_1)
	v_fmac_f32_e32 v110, v111, v113
	v_div_scale_f32 v111, null, v110, v110, 1.0
	s_delay_alu instid0(VALU_DEP_1) | instskip(SKIP_1) | instid1(TRANS32_DEP_1)
	v_rcp_f32_e32 v119, v111
	v_nop
	v_fma_f32 v120, -v111, v119, 1.0
	s_delay_alu instid0(VALU_DEP_1) | instskip(SKIP_1) | instid1(VALU_DEP_1)
	v_fmac_f32_e32 v119, v120, v119
	v_div_scale_f32 v120, vcc_lo, 1.0, v110, 1.0
	v_mul_f32_e32 v121, v120, v119
	s_delay_alu instid0(VALU_DEP_1) | instskip(NEXT) | instid1(VALU_DEP_1)
	v_fma_f32 v122, -v111, v121, v120
	v_fmac_f32_e32 v121, v122, v119
	s_delay_alu instid0(VALU_DEP_1) | instskip(NEXT) | instid1(VALU_DEP_1)
	v_fma_f32 v111, -v111, v121, v120
	v_div_fmas_f32 v111, v111, v119, v121
	s_delay_alu instid0(VALU_DEP_1) | instskip(NEXT) | instid1(VALU_DEP_1)
	v_div_fixup_f32 v110, v111, v110, 1.0
	v_mul_f32_e64 v111, v113, -v110
.LBB102_807:
	s_or_b32 exec_lo, exec_lo, s1
.LBB102_808:
	s_delay_alu instid0(SALU_CYCLE_1) | instskip(NEXT) | instid1(SALU_CYCLE_1)
	s_or_b32 exec_lo, exec_lo, s0
	s_mov_b32 s0, exec_lo
	v_cmpx_ne_u32_e64 v118, v112
	s_xor_b32 s0, exec_lo, s0
	s_cbranch_execz .LBB102_814
; %bb.809:
	s_mov_b32 s1, exec_lo
	v_cmpx_eq_u32_e32 38, v118
	s_cbranch_execz .LBB102_813
; %bb.810:
	v_cmp_ne_u32_e32 vcc_lo, 38, v112
	s_xor_b32 s12, s16, -1
	s_delay_alu instid0(SALU_CYCLE_1) | instskip(NEXT) | instid1(SALU_CYCLE_1)
	s_and_b32 s13, s12, vcc_lo
	s_and_saveexec_b32 s12, s13
	s_cbranch_execz .LBB102_812
; %bb.811:
	v_ashrrev_i32_e32 v113, 31, v112
	s_delay_alu instid0(VALU_DEP_1)
	v_lshl_add_u64 v[118:119], v[112:113], 2, v[4:5]
	s_clause 0x1
	global_load_b32 v113, v[118:119], off
	global_load_b32 v117, v[4:5], off offset:152
	s_wait_loadcnt 0x1
	global_store_b32 v[4:5], v113, off offset:152
	s_wait_loadcnt 0x0
	global_store_b32 v[118:119], v117, off
.LBB102_812:
	s_wait_xcnt 0x0
	s_or_b32 exec_lo, exec_lo, s12
	v_dual_mov_b32 v118, v112 :: v_dual_mov_b32 v117, v112
.LBB102_813:
	s_or_b32 exec_lo, exec_lo, s1
.LBB102_814:
	s_and_not1_saveexec_b32 s0, s0
	s_cbranch_execz .LBB102_816
; %bb.815:
	v_mov_b32_e32 v118, 38
	ds_store_2addr_b64 v114, v[10:11], v[44:45] offset0:39 offset1:40
	ds_store_2addr_b64 v114, v[40:41], v[42:43] offset0:41 offset1:42
	;; [unrolled: 1-line block ×6, first 2 shown]
	ds_store_b64 v114, v[108:109] offset:408
.LBB102_816:
	s_or_b32 exec_lo, exec_lo, s0
	s_delay_alu instid0(SALU_CYCLE_1)
	s_mov_b32 s0, exec_lo
	s_wait_storecnt_dscnt 0x0
	s_barrier_signal -1
	s_barrier_wait -1
	v_cmpx_lt_i32_e32 38, v118
	s_cbranch_execz .LBB102_818
; %bb.817:
	v_pk_mul_f32 v[112:113], v[110:111], v[48:49] op_sel:[1,1] op_sel_hi:[0,1]
	s_delay_alu instid0(VALU_DEP_1)
	v_pk_fma_f32 v[120:121], v[110:111], v[48:49], v[112:113] op_sel_hi:[1,0,1] neg_lo:[0,0,1] neg_hi:[0,0,1]
	v_pk_fma_f32 v[122:123], v[110:111], v[48:49], v[112:113] op_sel_hi:[1,0,1]
	ds_load_2addr_b64 v[110:113], v114 offset0:39 offset1:40
	v_dual_mov_b32 v48, v120 :: v_dual_mov_b32 v49, v123
	s_wait_dscnt 0x0
	v_pk_mul_f32 v[124:125], v[110:111], v[122:123] op_sel:[0,1]
	s_delay_alu instid0(VALU_DEP_1) | instskip(SKIP_1) | instid1(VALU_DEP_1)
	v_pk_fma_f32 v[126:127], v[110:111], v[120:121], v[124:125] op_sel:[0,0,1] op_sel_hi:[1,1,0] neg_lo:[0,0,1] neg_hi:[0,0,1]
	v_pk_fma_f32 v[110:111], v[110:111], v[120:121], v[124:125] op_sel:[0,0,1] op_sel_hi:[1,0,0]
	v_mov_b32_e32 v127, v111
	v_pk_mul_f32 v[110:111], v[112:113], v[122:123] op_sel:[0,1]
	s_delay_alu instid0(VALU_DEP_1) | instskip(SKIP_1) | instid1(VALU_DEP_1)
	v_pk_fma_f32 v[124:125], v[112:113], v[120:121], v[110:111] op_sel:[0,0,1] op_sel_hi:[1,1,0] neg_lo:[0,0,1] neg_hi:[0,0,1]
	v_pk_fma_f32 v[110:111], v[112:113], v[120:121], v[110:111] op_sel:[0,0,1] op_sel_hi:[1,0,0]
	v_mov_b32_e32 v125, v111
	ds_load_2addr_b64 v[110:113], v114 offset0:41 offset1:42
	v_pk_add_f32 v[10:11], v[10:11], v[126:127] neg_lo:[0,1] neg_hi:[0,1]
	v_pk_add_f32 v[44:45], v[44:45], v[124:125] neg_lo:[0,1] neg_hi:[0,1]
	s_wait_dscnt 0x0
	v_pk_mul_f32 v[124:125], v[110:111], v[122:123] op_sel:[0,1]
	s_delay_alu instid0(VALU_DEP_1) | instskip(SKIP_2) | instid1(VALU_DEP_2)
	v_pk_fma_f32 v[126:127], v[110:111], v[120:121], v[124:125] op_sel:[0,0,1] op_sel_hi:[1,1,0] neg_lo:[0,0,1] neg_hi:[0,0,1]
	v_pk_fma_f32 v[110:111], v[110:111], v[120:121], v[124:125] op_sel:[0,0,1] op_sel_hi:[1,0,0]
	v_dual_mul_f32 v124, v113, v123 :: v_dual_mov_b32 v110, v113
	v_dual_mov_b32 v127, v111 :: v_dual_mov_b32 v111, v112
	s_delay_alu instid0(VALU_DEP_2) | instskip(SKIP_1) | instid1(VALU_DEP_3)
	v_pk_fma_f32 v[124:125], v[112:113], v[48:49], v[124:125] op_sel_hi:[1,1,0] neg_lo:[0,0,1] neg_hi:[0,0,1]
	v_mul_f32_e32 v112, v113, v120
	v_pk_add_f32 v[40:41], v[40:41], v[126:127] neg_lo:[0,1] neg_hi:[0,1]
	s_delay_alu instid0(VALU_DEP_2) | instskip(NEXT) | instid1(VALU_DEP_1)
	v_pk_fma_f32 v[110:111], v[110:111], v[48:49], v[112:113] op_sel_hi:[1,1,0]
	v_mov_b32_e32 v125, v111
	ds_load_2addr_b64 v[110:113], v114 offset0:43 offset1:44
	v_pk_add_f32 v[42:43], v[42:43], v[124:125] neg_lo:[0,1] neg_hi:[0,1]
	s_wait_dscnt 0x0
	v_pk_mul_f32 v[124:125], v[110:111], v[122:123] op_sel:[0,1]
	s_delay_alu instid0(VALU_DEP_1) | instskip(SKIP_1) | instid1(VALU_DEP_1)
	v_pk_fma_f32 v[126:127], v[110:111], v[120:121], v[124:125] op_sel:[0,0,1] op_sel_hi:[1,1,0] neg_lo:[0,0,1] neg_hi:[0,0,1]
	v_pk_fma_f32 v[110:111], v[110:111], v[120:121], v[124:125] op_sel:[0,0,1] op_sel_hi:[1,0,0]
	v_mov_b32_e32 v127, v111
	v_pk_mul_f32 v[110:111], v[112:113], v[122:123] op_sel:[0,1]
	s_delay_alu instid0(VALU_DEP_1) | instskip(SKIP_1) | instid1(VALU_DEP_1)
	v_pk_fma_f32 v[124:125], v[112:113], v[120:121], v[110:111] op_sel:[0,0,1] op_sel_hi:[1,1,0] neg_lo:[0,0,1] neg_hi:[0,0,1]
	v_pk_fma_f32 v[110:111], v[112:113], v[120:121], v[110:111] op_sel:[0,0,1] op_sel_hi:[1,0,0]
	v_mov_b32_e32 v125, v111
	ds_load_2addr_b64 v[110:113], v114 offset0:45 offset1:46
	v_pk_add_f32 v[6:7], v[6:7], v[126:127] neg_lo:[0,1] neg_hi:[0,1]
	v_pk_add_f32 v[36:37], v[36:37], v[124:125] neg_lo:[0,1] neg_hi:[0,1]
	s_wait_dscnt 0x0
	v_pk_mul_f32 v[124:125], v[110:111], v[122:123] op_sel:[0,1]
	s_delay_alu instid0(VALU_DEP_1) | instskip(SKIP_1) | instid1(VALU_DEP_1)
	v_pk_fma_f32 v[126:127], v[110:111], v[120:121], v[124:125] op_sel:[0,0,1] op_sel_hi:[1,1,0] neg_lo:[0,0,1] neg_hi:[0,0,1]
	v_pk_fma_f32 v[110:111], v[110:111], v[120:121], v[124:125] op_sel:[0,0,1] op_sel_hi:[1,0,0]
	v_mov_b32_e32 v127, v111
	v_pk_mul_f32 v[110:111], v[112:113], v[122:123] op_sel:[0,1]
	s_delay_alu instid0(VALU_DEP_1) | instskip(SKIP_1) | instid1(VALU_DEP_1)
	v_pk_fma_f32 v[124:125], v[112:113], v[120:121], v[110:111] op_sel:[0,0,1] op_sel_hi:[1,1,0] neg_lo:[0,0,1] neg_hi:[0,0,1]
	v_pk_fma_f32 v[110:111], v[112:113], v[120:121], v[110:111] op_sel:[0,0,1] op_sel_hi:[1,0,0]
	v_mov_b32_e32 v125, v111
	ds_load_2addr_b64 v[110:113], v114 offset0:47 offset1:48
	v_pk_add_f32 v[30:31], v[30:31], v[126:127] neg_lo:[0,1] neg_hi:[0,1]
	v_pk_add_f32 v[34:35], v[34:35], v[124:125] neg_lo:[0,1] neg_hi:[0,1]
	s_wait_dscnt 0x0
	v_dual_mul_f32 v124, v111, v123 :: v_dual_mul_f32 v126, v111, v120
	s_delay_alu instid0(VALU_DEP_1) | instskip(NEXT) | instid1(VALU_DEP_2)
	v_pk_fma_f32 v[124:125], v[110:111], v[48:49], v[124:125] op_sel_hi:[1,1,0] neg_lo:[0,0,1] neg_hi:[0,0,1]
	v_pk_fma_f32 v[110:111], v[110:111], v[48:49], v[126:127] op_sel:[1,0,0] op_sel_hi:[0,1,0]
	s_delay_alu instid0(VALU_DEP_1) | instskip(SKIP_1) | instid1(VALU_DEP_2)
	v_mov_b32_e32 v125, v111
	v_pk_mul_f32 v[110:111], v[112:113], v[122:123] op_sel:[0,1]
	v_pk_add_f32 v[8:9], v[8:9], v[124:125] neg_lo:[0,1] neg_hi:[0,1]
	s_delay_alu instid0(VALU_DEP_2) | instskip(SKIP_1) | instid1(VALU_DEP_1)
	v_pk_fma_f32 v[124:125], v[112:113], v[120:121], v[110:111] op_sel:[0,0,1] op_sel_hi:[1,1,0] neg_lo:[0,0,1] neg_hi:[0,0,1]
	v_pk_fma_f32 v[110:111], v[112:113], v[120:121], v[110:111] op_sel:[0,0,1] op_sel_hi:[1,0,0]
	v_mov_b32_e32 v125, v111
	ds_load_2addr_b64 v[110:113], v114 offset0:49 offset1:50
	v_pk_add_f32 v[28:29], v[28:29], v[124:125] neg_lo:[0,1] neg_hi:[0,1]
	s_wait_dscnt 0x0
	v_pk_mul_f32 v[124:125], v[110:111], v[122:123] op_sel:[0,1]
	s_delay_alu instid0(VALU_DEP_1) | instskip(SKIP_1) | instid1(VALU_DEP_1)
	v_pk_fma_f32 v[126:127], v[110:111], v[120:121], v[124:125] op_sel:[0,0,1] op_sel_hi:[1,1,0] neg_lo:[0,0,1] neg_hi:[0,0,1]
	v_pk_fma_f32 v[110:111], v[110:111], v[120:121], v[124:125] op_sel:[0,0,1] op_sel_hi:[1,0,0]
	v_mov_b32_e32 v127, v111
	v_pk_mul_f32 v[110:111], v[112:113], v[122:123] op_sel:[0,1]
	s_delay_alu instid0(VALU_DEP_2) | instskip(NEXT) | instid1(VALU_DEP_2)
	v_pk_add_f32 v[16:17], v[16:17], v[126:127] neg_lo:[0,1] neg_hi:[0,1]
	v_pk_fma_f32 v[124:125], v[112:113], v[120:121], v[110:111] op_sel:[0,0,1] op_sel_hi:[1,1,0] neg_lo:[0,0,1] neg_hi:[0,0,1]
	v_pk_fma_f32 v[110:111], v[112:113], v[120:121], v[110:111] op_sel:[0,0,1] op_sel_hi:[1,0,0]
	s_delay_alu instid0(VALU_DEP_1) | instskip(SKIP_4) | instid1(VALU_DEP_1)
	v_mov_b32_e32 v125, v111
	ds_load_b64 v[110:111], v114 offset:408
	v_pk_add_f32 v[14:15], v[14:15], v[124:125] neg_lo:[0,1] neg_hi:[0,1]
	s_wait_dscnt 0x0
	v_pk_mul_f32 v[112:113], v[110:111], v[122:123] op_sel:[0,1]
	v_pk_fma_f32 v[122:123], v[110:111], v[120:121], v[112:113] op_sel:[0,0,1] op_sel_hi:[1,1,0] neg_lo:[0,0,1] neg_hi:[0,0,1]
	v_pk_fma_f32 v[110:111], v[110:111], v[120:121], v[112:113] op_sel:[0,0,1] op_sel_hi:[1,0,0]
	s_delay_alu instid0(VALU_DEP_1) | instskip(NEXT) | instid1(VALU_DEP_1)
	v_mov_b32_e32 v123, v111
	v_pk_add_f32 v[108:109], v[108:109], v[122:123] neg_lo:[0,1] neg_hi:[0,1]
.LBB102_818:
	s_or_b32 exec_lo, exec_lo, s0
	v_lshl_add_u32 v110, v118, 3, v114
	s_barrier_signal -1
	s_barrier_wait -1
	ds_store_b64 v110, v[10:11]
	s_wait_dscnt 0x0
	s_barrier_signal -1
	s_barrier_wait -1
	ds_load_b64 v[110:111], v114 offset:312
	v_mov_b32_e32 v112, 39
	s_cmp_lt_i32 s18, 41
	s_cbranch_scc1 .LBB102_821
; %bb.819:
	v_add3_u32 v113, v115, 0, 0x140
	v_mov_b32_e32 v112, 39
	s_mov_b32 s0, 40
.LBB102_820:                            ; =>This Inner Loop Header: Depth=1
	ds_load_b64 v[120:121], v113
	s_wait_dscnt 0x1
	v_cmp_gt_f32_e32 vcc_lo, 0, v110
	v_cndmask_b32_e64 v122, v110, -v110, vcc_lo
	v_cmp_gt_f32_e32 vcc_lo, 0, v111
	v_cndmask_b32_e64 v124, v111, -v111, vcc_lo
	s_wait_dscnt 0x0
	v_cmp_gt_f32_e32 vcc_lo, 0, v120
	v_cndmask_b32_e64 v123, v120, -v120, vcc_lo
	v_cmp_gt_f32_e32 vcc_lo, 0, v121
	v_cndmask_b32_e64 v125, v121, -v121, vcc_lo
	s_delay_alu instid0(VALU_DEP_1) | instskip(NEXT) | instid1(VALU_DEP_1)
	v_pk_add_f32 v[122:123], v[122:123], v[124:125]
	v_cmp_lt_f32_e32 vcc_lo, v122, v123
	v_dual_cndmask_b32 v110, v110, v120 :: v_dual_add_nc_u32 v113, 8, v113
	v_cndmask_b32_e32 v111, v111, v121, vcc_lo
	v_cndmask_b32_e64 v112, v112, s0, vcc_lo
	s_add_co_i32 s0, s0, 1
	s_delay_alu instid0(SALU_CYCLE_1)
	s_cmp_lg_u32 s18, s0
	s_cbranch_scc1 .LBB102_820
.LBB102_821:
	s_wait_dscnt 0x0
	v_cmp_eq_f32_e32 vcc_lo, 0, v110
	v_cmp_eq_f32_e64 s0, 0, v111
	s_and_b32 s0, vcc_lo, s0
	s_delay_alu instid0(SALU_CYCLE_1) | instskip(NEXT) | instid1(SALU_CYCLE_1)
	s_and_saveexec_b32 s1, s0
	s_xor_b32 s0, exec_lo, s1
; %bb.822:
	v_cmp_ne_u32_e32 vcc_lo, 0, v116
	v_cndmask_b32_e32 v116, 40, v116, vcc_lo
; %bb.823:
	s_and_not1_saveexec_b32 s0, s0
	s_cbranch_execz .LBB102_829
; %bb.824:
	v_cmp_ngt_f32_e64 s1, |v110|, |v111|
	s_and_saveexec_b32 s12, s1
	s_delay_alu instid0(SALU_CYCLE_1)
	s_xor_b32 s1, exec_lo, s12
	s_cbranch_execz .LBB102_826
; %bb.825:
	v_div_scale_f32 v113, null, v111, v111, v110
	v_div_scale_f32 v121, vcc_lo, v110, v111, v110
	s_delay_alu instid0(VALU_DEP_2) | instskip(SKIP_1) | instid1(TRANS32_DEP_1)
	v_rcp_f32_e32 v119, v113
	v_nop
	v_fma_f32 v120, -v113, v119, 1.0
	s_delay_alu instid0(VALU_DEP_1) | instskip(NEXT) | instid1(VALU_DEP_1)
	v_fmac_f32_e32 v119, v120, v119
	v_mul_f32_e32 v120, v121, v119
	s_delay_alu instid0(VALU_DEP_1) | instskip(NEXT) | instid1(VALU_DEP_1)
	v_fma_f32 v122, -v113, v120, v121
	v_fmac_f32_e32 v120, v122, v119
	s_delay_alu instid0(VALU_DEP_1) | instskip(NEXT) | instid1(VALU_DEP_1)
	v_fma_f32 v113, -v113, v120, v121
	v_div_fmas_f32 v113, v113, v119, v120
	s_delay_alu instid0(VALU_DEP_1) | instskip(NEXT) | instid1(VALU_DEP_1)
	v_div_fixup_f32 v113, v113, v111, v110
	v_fmac_f32_e32 v111, v110, v113
	s_delay_alu instid0(VALU_DEP_1) | instskip(SKIP_1) | instid1(VALU_DEP_2)
	v_div_scale_f32 v110, null, v111, v111, 1.0
	v_div_scale_f32 v121, vcc_lo, 1.0, v111, 1.0
	v_rcp_f32_e32 v119, v110
	v_nop
	s_delay_alu instid0(TRANS32_DEP_1) | instskip(NEXT) | instid1(VALU_DEP_1)
	v_fma_f32 v120, -v110, v119, 1.0
	v_fmac_f32_e32 v119, v120, v119
	s_delay_alu instid0(VALU_DEP_1) | instskip(NEXT) | instid1(VALU_DEP_1)
	v_mul_f32_e32 v120, v121, v119
	v_fma_f32 v122, -v110, v120, v121
	s_delay_alu instid0(VALU_DEP_1) | instskip(NEXT) | instid1(VALU_DEP_1)
	v_fmac_f32_e32 v120, v122, v119
	v_fma_f32 v110, -v110, v120, v121
	s_delay_alu instid0(VALU_DEP_1) | instskip(NEXT) | instid1(VALU_DEP_1)
	v_div_fmas_f32 v110, v110, v119, v120
	v_div_fixup_f32 v111, v110, v111, 1.0
	s_delay_alu instid0(VALU_DEP_1)
	v_mul_f32_e32 v110, v113, v111
	v_xor_b32_e32 v111, 0x80000000, v111
.LBB102_826:
	s_and_not1_saveexec_b32 s1, s1
	s_cbranch_execz .LBB102_828
; %bb.827:
	s_delay_alu instid0(VALU_DEP_1) | instskip(SKIP_1) | instid1(VALU_DEP_2)
	v_div_scale_f32 v113, null, v110, v110, v111
	v_div_scale_f32 v121, vcc_lo, v111, v110, v111
	v_rcp_f32_e32 v119, v113
	v_nop
	s_delay_alu instid0(TRANS32_DEP_1) | instskip(NEXT) | instid1(VALU_DEP_1)
	v_fma_f32 v120, -v113, v119, 1.0
	v_fmac_f32_e32 v119, v120, v119
	s_delay_alu instid0(VALU_DEP_1) | instskip(NEXT) | instid1(VALU_DEP_1)
	v_mul_f32_e32 v120, v121, v119
	v_fma_f32 v122, -v113, v120, v121
	s_delay_alu instid0(VALU_DEP_1) | instskip(NEXT) | instid1(VALU_DEP_1)
	v_fmac_f32_e32 v120, v122, v119
	v_fma_f32 v113, -v113, v120, v121
	s_delay_alu instid0(VALU_DEP_1) | instskip(NEXT) | instid1(VALU_DEP_1)
	v_div_fmas_f32 v113, v113, v119, v120
	v_div_fixup_f32 v113, v113, v110, v111
	s_delay_alu instid0(VALU_DEP_1) | instskip(NEXT) | instid1(VALU_DEP_1)
	v_fmac_f32_e32 v110, v111, v113
	v_div_scale_f32 v111, null, v110, v110, 1.0
	s_delay_alu instid0(VALU_DEP_1) | instskip(SKIP_1) | instid1(TRANS32_DEP_1)
	v_rcp_f32_e32 v119, v111
	v_nop
	v_fma_f32 v120, -v111, v119, 1.0
	s_delay_alu instid0(VALU_DEP_1) | instskip(SKIP_1) | instid1(VALU_DEP_1)
	v_fmac_f32_e32 v119, v120, v119
	v_div_scale_f32 v120, vcc_lo, 1.0, v110, 1.0
	v_mul_f32_e32 v121, v120, v119
	s_delay_alu instid0(VALU_DEP_1) | instskip(NEXT) | instid1(VALU_DEP_1)
	v_fma_f32 v122, -v111, v121, v120
	v_fmac_f32_e32 v121, v122, v119
	s_delay_alu instid0(VALU_DEP_1) | instskip(NEXT) | instid1(VALU_DEP_1)
	v_fma_f32 v111, -v111, v121, v120
	v_div_fmas_f32 v111, v111, v119, v121
	s_delay_alu instid0(VALU_DEP_1) | instskip(NEXT) | instid1(VALU_DEP_1)
	v_div_fixup_f32 v110, v111, v110, 1.0
	v_mul_f32_e64 v111, v113, -v110
.LBB102_828:
	s_or_b32 exec_lo, exec_lo, s1
.LBB102_829:
	s_delay_alu instid0(SALU_CYCLE_1) | instskip(NEXT) | instid1(SALU_CYCLE_1)
	s_or_b32 exec_lo, exec_lo, s0
	s_mov_b32 s0, exec_lo
	v_cmpx_ne_u32_e64 v118, v112
	s_xor_b32 s0, exec_lo, s0
	s_cbranch_execz .LBB102_835
; %bb.830:
	s_mov_b32 s1, exec_lo
	v_cmpx_eq_u32_e32 39, v118
	s_cbranch_execz .LBB102_834
; %bb.831:
	v_cmp_ne_u32_e32 vcc_lo, 39, v112
	s_xor_b32 s12, s16, -1
	s_delay_alu instid0(SALU_CYCLE_1) | instskip(NEXT) | instid1(SALU_CYCLE_1)
	s_and_b32 s13, s12, vcc_lo
	s_and_saveexec_b32 s12, s13
	s_cbranch_execz .LBB102_833
; %bb.832:
	v_ashrrev_i32_e32 v113, 31, v112
	s_delay_alu instid0(VALU_DEP_1)
	v_lshl_add_u64 v[118:119], v[112:113], 2, v[4:5]
	s_clause 0x1
	global_load_b32 v113, v[118:119], off
	global_load_b32 v117, v[4:5], off offset:156
	s_wait_loadcnt 0x1
	global_store_b32 v[4:5], v113, off offset:156
	s_wait_loadcnt 0x0
	global_store_b32 v[118:119], v117, off
.LBB102_833:
	s_wait_xcnt 0x0
	s_or_b32 exec_lo, exec_lo, s12
	v_dual_mov_b32 v118, v112 :: v_dual_mov_b32 v117, v112
.LBB102_834:
	s_or_b32 exec_lo, exec_lo, s1
.LBB102_835:
	s_and_not1_saveexec_b32 s0, s0
	s_cbranch_execz .LBB102_837
; %bb.836:
	v_dual_mov_b32 v112, v44 :: v_dual_mov_b32 v113, v45
	v_dual_mov_b32 v118, v40 :: v_dual_mov_b32 v119, v41
	;; [unrolled: 1-line block ×4, first 2 shown]
	ds_store_2addr_b64 v114, v[112:113], v[118:119] offset0:40 offset1:41
	ds_store_2addr_b64 v114, v[120:121], v[122:123] offset0:42 offset1:43
	v_dual_mov_b32 v112, v36 :: v_dual_mov_b32 v113, v37
	v_dual_mov_b32 v120, v30 :: v_dual_mov_b32 v121, v31
	;; [unrolled: 1-line block ×7, first 2 shown]
	v_mov_b32_e32 v131, v15
	ds_store_2addr_b64 v114, v[112:113], v[120:121] offset0:44 offset1:45
	ds_store_2addr_b64 v114, v[122:123], v[124:125] offset0:46 offset1:47
	;; [unrolled: 1-line block ×4, first 2 shown]
.LBB102_837:
	s_or_b32 exec_lo, exec_lo, s0
	s_delay_alu instid0(SALU_CYCLE_1)
	s_mov_b32 s0, exec_lo
	s_wait_storecnt_dscnt 0x0
	s_barrier_signal -1
	s_barrier_wait -1
	v_cmpx_lt_i32_e32 39, v118
	s_cbranch_execz .LBB102_839
; %bb.838:
	v_pk_mul_f32 v[112:113], v[110:111], v[10:11] op_sel:[1,1] op_sel_hi:[0,1]
	s_delay_alu instid0(VALU_DEP_1)
	v_pk_fma_f32 v[120:121], v[110:111], v[10:11], v[112:113] op_sel_hi:[1,0,1] neg_lo:[0,0,1] neg_hi:[0,0,1]
	v_pk_fma_f32 v[122:123], v[110:111], v[10:11], v[112:113] op_sel_hi:[1,0,1]
	ds_load_2addr_b64 v[110:113], v114 offset0:40 offset1:41
	v_dual_mov_b32 v10, v120 :: v_dual_mov_b32 v11, v123
	s_wait_dscnt 0x0
	v_pk_mul_f32 v[124:125], v[110:111], v[122:123] op_sel:[0,1]
	s_delay_alu instid0(VALU_DEP_1) | instskip(SKIP_1) | instid1(VALU_DEP_1)
	v_pk_fma_f32 v[126:127], v[110:111], v[120:121], v[124:125] op_sel:[0,0,1] op_sel_hi:[1,1,0] neg_lo:[0,0,1] neg_hi:[0,0,1]
	v_pk_fma_f32 v[110:111], v[110:111], v[120:121], v[124:125] op_sel:[0,0,1] op_sel_hi:[1,0,0]
	v_mov_b32_e32 v127, v111
	v_pk_mul_f32 v[110:111], v[112:113], v[122:123] op_sel:[0,1]
	s_delay_alu instid0(VALU_DEP_1) | instskip(SKIP_1) | instid1(VALU_DEP_1)
	v_pk_fma_f32 v[124:125], v[112:113], v[120:121], v[110:111] op_sel:[0,0,1] op_sel_hi:[1,1,0] neg_lo:[0,0,1] neg_hi:[0,0,1]
	v_pk_fma_f32 v[110:111], v[112:113], v[120:121], v[110:111] op_sel:[0,0,1] op_sel_hi:[1,0,0]
	v_mov_b32_e32 v125, v111
	ds_load_2addr_b64 v[110:113], v114 offset0:42 offset1:43
	v_pk_add_f32 v[44:45], v[44:45], v[126:127] neg_lo:[0,1] neg_hi:[0,1]
	v_pk_add_f32 v[40:41], v[40:41], v[124:125] neg_lo:[0,1] neg_hi:[0,1]
	s_wait_dscnt 0x0
	v_pk_mul_f32 v[124:125], v[110:111], v[122:123] op_sel:[0,1]
	s_delay_alu instid0(VALU_DEP_1) | instskip(SKIP_2) | instid1(VALU_DEP_2)
	v_pk_fma_f32 v[126:127], v[110:111], v[120:121], v[124:125] op_sel:[0,0,1] op_sel_hi:[1,1,0] neg_lo:[0,0,1] neg_hi:[0,0,1]
	v_pk_fma_f32 v[110:111], v[110:111], v[120:121], v[124:125] op_sel:[0,0,1] op_sel_hi:[1,0,0]
	v_dual_mul_f32 v124, v113, v123 :: v_dual_mov_b32 v110, v113
	v_dual_mov_b32 v127, v111 :: v_dual_mov_b32 v111, v112
	s_delay_alu instid0(VALU_DEP_2) | instskip(SKIP_1) | instid1(VALU_DEP_3)
	v_pk_fma_f32 v[124:125], v[112:113], v[10:11], v[124:125] op_sel_hi:[1,1,0] neg_lo:[0,0,1] neg_hi:[0,0,1]
	v_mul_f32_e32 v112, v113, v120
	v_pk_add_f32 v[42:43], v[42:43], v[126:127] neg_lo:[0,1] neg_hi:[0,1]
	s_delay_alu instid0(VALU_DEP_2) | instskip(NEXT) | instid1(VALU_DEP_1)
	v_pk_fma_f32 v[110:111], v[110:111], v[10:11], v[112:113] op_sel_hi:[1,1,0]
	v_mov_b32_e32 v125, v111
	ds_load_2addr_b64 v[110:113], v114 offset0:44 offset1:45
	v_pk_add_f32 v[6:7], v[6:7], v[124:125] neg_lo:[0,1] neg_hi:[0,1]
	s_wait_dscnt 0x0
	v_pk_mul_f32 v[124:125], v[110:111], v[122:123] op_sel:[0,1]
	s_delay_alu instid0(VALU_DEP_1) | instskip(SKIP_1) | instid1(VALU_DEP_1)
	v_pk_fma_f32 v[126:127], v[110:111], v[120:121], v[124:125] op_sel:[0,0,1] op_sel_hi:[1,1,0] neg_lo:[0,0,1] neg_hi:[0,0,1]
	v_pk_fma_f32 v[110:111], v[110:111], v[120:121], v[124:125] op_sel:[0,0,1] op_sel_hi:[1,0,0]
	v_mov_b32_e32 v127, v111
	v_pk_mul_f32 v[110:111], v[112:113], v[122:123] op_sel:[0,1]
	s_delay_alu instid0(VALU_DEP_1) | instskip(SKIP_1) | instid1(VALU_DEP_1)
	v_pk_fma_f32 v[124:125], v[112:113], v[120:121], v[110:111] op_sel:[0,0,1] op_sel_hi:[1,1,0] neg_lo:[0,0,1] neg_hi:[0,0,1]
	v_pk_fma_f32 v[110:111], v[112:113], v[120:121], v[110:111] op_sel:[0,0,1] op_sel_hi:[1,0,0]
	v_mov_b32_e32 v125, v111
	ds_load_2addr_b64 v[110:113], v114 offset0:46 offset1:47
	v_pk_add_f32 v[36:37], v[36:37], v[126:127] neg_lo:[0,1] neg_hi:[0,1]
	v_pk_add_f32 v[30:31], v[30:31], v[124:125] neg_lo:[0,1] neg_hi:[0,1]
	s_wait_dscnt 0x0
	v_pk_mul_f32 v[124:125], v[110:111], v[122:123] op_sel:[0,1]
	s_delay_alu instid0(VALU_DEP_1) | instskip(SKIP_1) | instid1(VALU_DEP_1)
	v_pk_fma_f32 v[126:127], v[110:111], v[120:121], v[124:125] op_sel:[0,0,1] op_sel_hi:[1,1,0] neg_lo:[0,0,1] neg_hi:[0,0,1]
	v_pk_fma_f32 v[110:111], v[110:111], v[120:121], v[124:125] op_sel:[0,0,1] op_sel_hi:[1,0,0]
	v_mov_b32_e32 v127, v111
	v_pk_mul_f32 v[110:111], v[112:113], v[122:123] op_sel:[0,1]
	s_delay_alu instid0(VALU_DEP_1) | instskip(SKIP_1) | instid1(VALU_DEP_1)
	v_pk_fma_f32 v[124:125], v[112:113], v[120:121], v[110:111] op_sel:[0,0,1] op_sel_hi:[1,1,0] neg_lo:[0,0,1] neg_hi:[0,0,1]
	v_pk_fma_f32 v[110:111], v[112:113], v[120:121], v[110:111] op_sel:[0,0,1] op_sel_hi:[1,0,0]
	v_mov_b32_e32 v125, v111
	ds_load_2addr_b64 v[110:113], v114 offset0:48 offset1:49
	v_pk_add_f32 v[34:35], v[34:35], v[126:127] neg_lo:[0,1] neg_hi:[0,1]
	v_pk_add_f32 v[8:9], v[8:9], v[124:125] neg_lo:[0,1] neg_hi:[0,1]
	s_wait_dscnt 0x0
	v_dual_mul_f32 v124, v111, v123 :: v_dual_mul_f32 v126, v111, v120
	s_delay_alu instid0(VALU_DEP_1) | instskip(NEXT) | instid1(VALU_DEP_2)
	v_pk_fma_f32 v[124:125], v[110:111], v[10:11], v[124:125] op_sel_hi:[1,1,0] neg_lo:[0,0,1] neg_hi:[0,0,1]
	v_pk_fma_f32 v[110:111], v[110:111], v[10:11], v[126:127] op_sel:[1,0,0] op_sel_hi:[0,1,0]
	s_delay_alu instid0(VALU_DEP_1) | instskip(SKIP_1) | instid1(VALU_DEP_2)
	v_mov_b32_e32 v125, v111
	v_pk_mul_f32 v[110:111], v[112:113], v[122:123] op_sel:[0,1]
	v_pk_add_f32 v[28:29], v[28:29], v[124:125] neg_lo:[0,1] neg_hi:[0,1]
	s_delay_alu instid0(VALU_DEP_2) | instskip(SKIP_1) | instid1(VALU_DEP_1)
	v_pk_fma_f32 v[124:125], v[112:113], v[120:121], v[110:111] op_sel:[0,0,1] op_sel_hi:[1,1,0] neg_lo:[0,0,1] neg_hi:[0,0,1]
	v_pk_fma_f32 v[110:111], v[112:113], v[120:121], v[110:111] op_sel:[0,0,1] op_sel_hi:[1,0,0]
	v_mov_b32_e32 v125, v111
	ds_load_2addr_b64 v[110:113], v114 offset0:50 offset1:51
	v_pk_add_f32 v[16:17], v[16:17], v[124:125] neg_lo:[0,1] neg_hi:[0,1]
	s_wait_dscnt 0x0
	v_pk_mul_f32 v[124:125], v[110:111], v[122:123] op_sel:[0,1]
	v_mul_f32_e32 v122, v113, v123
	s_delay_alu instid0(VALU_DEP_2) | instskip(SKIP_2) | instid1(VALU_DEP_4)
	v_pk_fma_f32 v[126:127], v[110:111], v[120:121], v[124:125] op_sel:[0,0,1] op_sel_hi:[1,1,0] neg_lo:[0,0,1] neg_hi:[0,0,1]
	v_pk_fma_f32 v[110:111], v[110:111], v[120:121], v[124:125] op_sel:[0,0,1] op_sel_hi:[1,0,0]
	v_mov_b32_e32 v110, v113
	v_pk_fma_f32 v[122:123], v[112:113], v[10:11], v[122:123] op_sel_hi:[1,1,0] neg_lo:[0,0,1] neg_hi:[0,0,1]
	s_delay_alu instid0(VALU_DEP_3) | instskip(SKIP_1) | instid1(VALU_DEP_2)
	v_dual_mov_b32 v127, v111 :: v_dual_mov_b32 v111, v112
	v_mul_f32_e32 v112, v113, v120
	v_pk_add_f32 v[14:15], v[14:15], v[126:127] neg_lo:[0,1] neg_hi:[0,1]
	s_delay_alu instid0(VALU_DEP_2) | instskip(NEXT) | instid1(VALU_DEP_1)
	v_pk_fma_f32 v[110:111], v[110:111], v[10:11], v[112:113] op_sel_hi:[1,1,0]
	v_mov_b32_e32 v123, v111
	s_delay_alu instid0(VALU_DEP_1)
	v_pk_add_f32 v[108:109], v[108:109], v[122:123] neg_lo:[0,1] neg_hi:[0,1]
.LBB102_839:
	s_or_b32 exec_lo, exec_lo, s0
	v_lshl_add_u32 v110, v118, 3, v114
	s_barrier_signal -1
	s_barrier_wait -1
	ds_store_b64 v110, v[44:45]
	s_wait_dscnt 0x0
	s_barrier_signal -1
	s_barrier_wait -1
	ds_load_b64 v[110:111], v114 offset:320
	v_mov_b32_e32 v112, 40
	s_cmp_lt_i32 s18, 42
	s_cbranch_scc1 .LBB102_842
; %bb.840:
	v_add3_u32 v113, v115, 0, 0x148
	v_mov_b32_e32 v112, 40
	s_mov_b32 s0, 41
.LBB102_841:                            ; =>This Inner Loop Header: Depth=1
	ds_load_b64 v[120:121], v113
	s_wait_dscnt 0x1
	v_cmp_gt_f32_e32 vcc_lo, 0, v110
	v_cndmask_b32_e64 v122, v110, -v110, vcc_lo
	v_cmp_gt_f32_e32 vcc_lo, 0, v111
	v_cndmask_b32_e64 v124, v111, -v111, vcc_lo
	s_wait_dscnt 0x0
	v_cmp_gt_f32_e32 vcc_lo, 0, v120
	v_cndmask_b32_e64 v123, v120, -v120, vcc_lo
	v_cmp_gt_f32_e32 vcc_lo, 0, v121
	v_cndmask_b32_e64 v125, v121, -v121, vcc_lo
	s_delay_alu instid0(VALU_DEP_1) | instskip(NEXT) | instid1(VALU_DEP_1)
	v_pk_add_f32 v[122:123], v[122:123], v[124:125]
	v_cmp_lt_f32_e32 vcc_lo, v122, v123
	v_dual_cndmask_b32 v110, v110, v120 :: v_dual_add_nc_u32 v113, 8, v113
	v_cndmask_b32_e32 v111, v111, v121, vcc_lo
	v_cndmask_b32_e64 v112, v112, s0, vcc_lo
	s_add_co_i32 s0, s0, 1
	s_delay_alu instid0(SALU_CYCLE_1)
	s_cmp_lg_u32 s18, s0
	s_cbranch_scc1 .LBB102_841
.LBB102_842:
	s_wait_dscnt 0x0
	v_cmp_eq_f32_e32 vcc_lo, 0, v110
	v_cmp_eq_f32_e64 s0, 0, v111
	s_and_b32 s0, vcc_lo, s0
	s_delay_alu instid0(SALU_CYCLE_1) | instskip(NEXT) | instid1(SALU_CYCLE_1)
	s_and_saveexec_b32 s1, s0
	s_xor_b32 s0, exec_lo, s1
; %bb.843:
	v_cmp_ne_u32_e32 vcc_lo, 0, v116
	v_cndmask_b32_e32 v116, 41, v116, vcc_lo
; %bb.844:
	s_and_not1_saveexec_b32 s0, s0
	s_cbranch_execz .LBB102_850
; %bb.845:
	v_cmp_ngt_f32_e64 s1, |v110|, |v111|
	s_and_saveexec_b32 s12, s1
	s_delay_alu instid0(SALU_CYCLE_1)
	s_xor_b32 s1, exec_lo, s12
	s_cbranch_execz .LBB102_847
; %bb.846:
	v_div_scale_f32 v113, null, v111, v111, v110
	v_div_scale_f32 v121, vcc_lo, v110, v111, v110
	s_delay_alu instid0(VALU_DEP_2) | instskip(SKIP_1) | instid1(TRANS32_DEP_1)
	v_rcp_f32_e32 v119, v113
	v_nop
	v_fma_f32 v120, -v113, v119, 1.0
	s_delay_alu instid0(VALU_DEP_1) | instskip(NEXT) | instid1(VALU_DEP_1)
	v_fmac_f32_e32 v119, v120, v119
	v_mul_f32_e32 v120, v121, v119
	s_delay_alu instid0(VALU_DEP_1) | instskip(NEXT) | instid1(VALU_DEP_1)
	v_fma_f32 v122, -v113, v120, v121
	v_fmac_f32_e32 v120, v122, v119
	s_delay_alu instid0(VALU_DEP_1) | instskip(NEXT) | instid1(VALU_DEP_1)
	v_fma_f32 v113, -v113, v120, v121
	v_div_fmas_f32 v113, v113, v119, v120
	s_delay_alu instid0(VALU_DEP_1) | instskip(NEXT) | instid1(VALU_DEP_1)
	v_div_fixup_f32 v113, v113, v111, v110
	v_fmac_f32_e32 v111, v110, v113
	s_delay_alu instid0(VALU_DEP_1) | instskip(SKIP_1) | instid1(VALU_DEP_2)
	v_div_scale_f32 v110, null, v111, v111, 1.0
	v_div_scale_f32 v121, vcc_lo, 1.0, v111, 1.0
	v_rcp_f32_e32 v119, v110
	v_nop
	s_delay_alu instid0(TRANS32_DEP_1) | instskip(NEXT) | instid1(VALU_DEP_1)
	v_fma_f32 v120, -v110, v119, 1.0
	v_fmac_f32_e32 v119, v120, v119
	s_delay_alu instid0(VALU_DEP_1) | instskip(NEXT) | instid1(VALU_DEP_1)
	v_mul_f32_e32 v120, v121, v119
	v_fma_f32 v122, -v110, v120, v121
	s_delay_alu instid0(VALU_DEP_1) | instskip(NEXT) | instid1(VALU_DEP_1)
	v_fmac_f32_e32 v120, v122, v119
	v_fma_f32 v110, -v110, v120, v121
	s_delay_alu instid0(VALU_DEP_1) | instskip(NEXT) | instid1(VALU_DEP_1)
	v_div_fmas_f32 v110, v110, v119, v120
	v_div_fixup_f32 v111, v110, v111, 1.0
	s_delay_alu instid0(VALU_DEP_1)
	v_mul_f32_e32 v110, v113, v111
	v_xor_b32_e32 v111, 0x80000000, v111
.LBB102_847:
	s_and_not1_saveexec_b32 s1, s1
	s_cbranch_execz .LBB102_849
; %bb.848:
	s_delay_alu instid0(VALU_DEP_1) | instskip(SKIP_1) | instid1(VALU_DEP_2)
	v_div_scale_f32 v113, null, v110, v110, v111
	v_div_scale_f32 v121, vcc_lo, v111, v110, v111
	v_rcp_f32_e32 v119, v113
	v_nop
	s_delay_alu instid0(TRANS32_DEP_1) | instskip(NEXT) | instid1(VALU_DEP_1)
	v_fma_f32 v120, -v113, v119, 1.0
	v_fmac_f32_e32 v119, v120, v119
	s_delay_alu instid0(VALU_DEP_1) | instskip(NEXT) | instid1(VALU_DEP_1)
	v_mul_f32_e32 v120, v121, v119
	v_fma_f32 v122, -v113, v120, v121
	s_delay_alu instid0(VALU_DEP_1) | instskip(NEXT) | instid1(VALU_DEP_1)
	v_fmac_f32_e32 v120, v122, v119
	v_fma_f32 v113, -v113, v120, v121
	s_delay_alu instid0(VALU_DEP_1) | instskip(NEXT) | instid1(VALU_DEP_1)
	v_div_fmas_f32 v113, v113, v119, v120
	v_div_fixup_f32 v113, v113, v110, v111
	s_delay_alu instid0(VALU_DEP_1) | instskip(NEXT) | instid1(VALU_DEP_1)
	v_fmac_f32_e32 v110, v111, v113
	v_div_scale_f32 v111, null, v110, v110, 1.0
	s_delay_alu instid0(VALU_DEP_1) | instskip(SKIP_1) | instid1(TRANS32_DEP_1)
	v_rcp_f32_e32 v119, v111
	v_nop
	v_fma_f32 v120, -v111, v119, 1.0
	s_delay_alu instid0(VALU_DEP_1) | instskip(SKIP_1) | instid1(VALU_DEP_1)
	v_fmac_f32_e32 v119, v120, v119
	v_div_scale_f32 v120, vcc_lo, 1.0, v110, 1.0
	v_mul_f32_e32 v121, v120, v119
	s_delay_alu instid0(VALU_DEP_1) | instskip(NEXT) | instid1(VALU_DEP_1)
	v_fma_f32 v122, -v111, v121, v120
	v_fmac_f32_e32 v121, v122, v119
	s_delay_alu instid0(VALU_DEP_1) | instskip(NEXT) | instid1(VALU_DEP_1)
	v_fma_f32 v111, -v111, v121, v120
	v_div_fmas_f32 v111, v111, v119, v121
	s_delay_alu instid0(VALU_DEP_1) | instskip(NEXT) | instid1(VALU_DEP_1)
	v_div_fixup_f32 v110, v111, v110, 1.0
	v_mul_f32_e64 v111, v113, -v110
.LBB102_849:
	s_or_b32 exec_lo, exec_lo, s1
.LBB102_850:
	s_delay_alu instid0(SALU_CYCLE_1) | instskip(NEXT) | instid1(SALU_CYCLE_1)
	s_or_b32 exec_lo, exec_lo, s0
	s_mov_b32 s0, exec_lo
	v_cmpx_ne_u32_e64 v118, v112
	s_xor_b32 s0, exec_lo, s0
	s_cbranch_execz .LBB102_856
; %bb.851:
	s_mov_b32 s1, exec_lo
	v_cmpx_eq_u32_e32 40, v118
	s_cbranch_execz .LBB102_855
; %bb.852:
	v_cmp_ne_u32_e32 vcc_lo, 40, v112
	s_xor_b32 s12, s16, -1
	s_delay_alu instid0(SALU_CYCLE_1) | instskip(NEXT) | instid1(SALU_CYCLE_1)
	s_and_b32 s13, s12, vcc_lo
	s_and_saveexec_b32 s12, s13
	s_cbranch_execz .LBB102_854
; %bb.853:
	v_ashrrev_i32_e32 v113, 31, v112
	s_delay_alu instid0(VALU_DEP_1)
	v_lshl_add_u64 v[118:119], v[112:113], 2, v[4:5]
	s_clause 0x1
	global_load_b32 v113, v[118:119], off
	global_load_b32 v117, v[4:5], off offset:160
	s_wait_loadcnt 0x1
	global_store_b32 v[4:5], v113, off offset:160
	s_wait_loadcnt 0x0
	global_store_b32 v[118:119], v117, off
.LBB102_854:
	s_wait_xcnt 0x0
	s_or_b32 exec_lo, exec_lo, s12
	v_dual_mov_b32 v118, v112 :: v_dual_mov_b32 v117, v112
.LBB102_855:
	s_or_b32 exec_lo, exec_lo, s1
.LBB102_856:
	s_and_not1_saveexec_b32 s0, s0
	s_cbranch_execz .LBB102_858
; %bb.857:
	v_mov_b32_e32 v118, 40
	ds_store_2addr_b64 v114, v[40:41], v[42:43] offset0:41 offset1:42
	ds_store_2addr_b64 v114, v[6:7], v[36:37] offset0:43 offset1:44
	;; [unrolled: 1-line block ×5, first 2 shown]
	ds_store_b64 v114, v[108:109] offset:408
.LBB102_858:
	s_or_b32 exec_lo, exec_lo, s0
	s_delay_alu instid0(SALU_CYCLE_1)
	s_mov_b32 s0, exec_lo
	s_wait_storecnt_dscnt 0x0
	s_barrier_signal -1
	s_barrier_wait -1
	v_cmpx_lt_i32_e32 40, v118
	s_cbranch_execz .LBB102_860
; %bb.859:
	v_pk_mul_f32 v[112:113], v[110:111], v[44:45] op_sel:[1,1] op_sel_hi:[0,1]
	s_delay_alu instid0(VALU_DEP_1)
	v_pk_fma_f32 v[120:121], v[110:111], v[44:45], v[112:113] op_sel_hi:[1,0,1] neg_lo:[0,0,1] neg_hi:[0,0,1]
	v_pk_fma_f32 v[122:123], v[110:111], v[44:45], v[112:113] op_sel_hi:[1,0,1]
	ds_load_2addr_b64 v[110:113], v114 offset0:41 offset1:42
	v_dual_mov_b32 v44, v120 :: v_dual_mov_b32 v45, v123
	s_wait_dscnt 0x0
	v_pk_mul_f32 v[124:125], v[110:111], v[122:123] op_sel:[0,1]
	s_delay_alu instid0(VALU_DEP_1) | instskip(SKIP_1) | instid1(VALU_DEP_1)
	v_pk_fma_f32 v[126:127], v[110:111], v[120:121], v[124:125] op_sel:[0,0,1] op_sel_hi:[1,1,0] neg_lo:[0,0,1] neg_hi:[0,0,1]
	v_pk_fma_f32 v[110:111], v[110:111], v[120:121], v[124:125] op_sel:[0,0,1] op_sel_hi:[1,0,0]
	v_mov_b32_e32 v127, v111
	v_pk_mul_f32 v[110:111], v[112:113], v[122:123] op_sel:[0,1]
	s_delay_alu instid0(VALU_DEP_1) | instskip(SKIP_1) | instid1(VALU_DEP_1)
	v_pk_fma_f32 v[124:125], v[112:113], v[120:121], v[110:111] op_sel:[0,0,1] op_sel_hi:[1,1,0] neg_lo:[0,0,1] neg_hi:[0,0,1]
	v_pk_fma_f32 v[110:111], v[112:113], v[120:121], v[110:111] op_sel:[0,0,1] op_sel_hi:[1,0,0]
	v_mov_b32_e32 v125, v111
	ds_load_2addr_b64 v[110:113], v114 offset0:43 offset1:44
	v_pk_add_f32 v[40:41], v[40:41], v[126:127] neg_lo:[0,1] neg_hi:[0,1]
	v_pk_add_f32 v[42:43], v[42:43], v[124:125] neg_lo:[0,1] neg_hi:[0,1]
	s_wait_dscnt 0x0
	v_pk_mul_f32 v[124:125], v[110:111], v[122:123] op_sel:[0,1]
	s_delay_alu instid0(VALU_DEP_1) | instskip(SKIP_2) | instid1(VALU_DEP_2)
	v_pk_fma_f32 v[126:127], v[110:111], v[120:121], v[124:125] op_sel:[0,0,1] op_sel_hi:[1,1,0] neg_lo:[0,0,1] neg_hi:[0,0,1]
	v_pk_fma_f32 v[110:111], v[110:111], v[120:121], v[124:125] op_sel:[0,0,1] op_sel_hi:[1,0,0]
	v_dual_mul_f32 v124, v113, v123 :: v_dual_mov_b32 v110, v113
	v_dual_mov_b32 v127, v111 :: v_dual_mov_b32 v111, v112
	s_delay_alu instid0(VALU_DEP_2) | instskip(SKIP_1) | instid1(VALU_DEP_3)
	v_pk_fma_f32 v[124:125], v[112:113], v[44:45], v[124:125] op_sel_hi:[1,1,0] neg_lo:[0,0,1] neg_hi:[0,0,1]
	v_mul_f32_e32 v112, v113, v120
	v_pk_add_f32 v[6:7], v[6:7], v[126:127] neg_lo:[0,1] neg_hi:[0,1]
	s_delay_alu instid0(VALU_DEP_2) | instskip(NEXT) | instid1(VALU_DEP_1)
	v_pk_fma_f32 v[110:111], v[110:111], v[44:45], v[112:113] op_sel_hi:[1,1,0]
	v_mov_b32_e32 v125, v111
	ds_load_2addr_b64 v[110:113], v114 offset0:45 offset1:46
	v_pk_add_f32 v[36:37], v[36:37], v[124:125] neg_lo:[0,1] neg_hi:[0,1]
	s_wait_dscnt 0x0
	v_pk_mul_f32 v[124:125], v[110:111], v[122:123] op_sel:[0,1]
	s_delay_alu instid0(VALU_DEP_1) | instskip(SKIP_1) | instid1(VALU_DEP_1)
	v_pk_fma_f32 v[126:127], v[110:111], v[120:121], v[124:125] op_sel:[0,0,1] op_sel_hi:[1,1,0] neg_lo:[0,0,1] neg_hi:[0,0,1]
	v_pk_fma_f32 v[110:111], v[110:111], v[120:121], v[124:125] op_sel:[0,0,1] op_sel_hi:[1,0,0]
	v_mov_b32_e32 v127, v111
	v_pk_mul_f32 v[110:111], v[112:113], v[122:123] op_sel:[0,1]
	s_delay_alu instid0(VALU_DEP_1) | instskip(SKIP_1) | instid1(VALU_DEP_1)
	v_pk_fma_f32 v[124:125], v[112:113], v[120:121], v[110:111] op_sel:[0,0,1] op_sel_hi:[1,1,0] neg_lo:[0,0,1] neg_hi:[0,0,1]
	v_pk_fma_f32 v[110:111], v[112:113], v[120:121], v[110:111] op_sel:[0,0,1] op_sel_hi:[1,0,0]
	v_mov_b32_e32 v125, v111
	ds_load_2addr_b64 v[110:113], v114 offset0:47 offset1:48
	v_pk_add_f32 v[30:31], v[30:31], v[126:127] neg_lo:[0,1] neg_hi:[0,1]
	v_pk_add_f32 v[34:35], v[34:35], v[124:125] neg_lo:[0,1] neg_hi:[0,1]
	s_wait_dscnt 0x0
	v_pk_mul_f32 v[124:125], v[110:111], v[122:123] op_sel:[0,1]
	s_delay_alu instid0(VALU_DEP_1) | instskip(SKIP_1) | instid1(VALU_DEP_1)
	v_pk_fma_f32 v[126:127], v[110:111], v[120:121], v[124:125] op_sel:[0,0,1] op_sel_hi:[1,1,0] neg_lo:[0,0,1] neg_hi:[0,0,1]
	v_pk_fma_f32 v[110:111], v[110:111], v[120:121], v[124:125] op_sel:[0,0,1] op_sel_hi:[1,0,0]
	v_mov_b32_e32 v127, v111
	v_pk_mul_f32 v[110:111], v[112:113], v[122:123] op_sel:[0,1]
	s_delay_alu instid0(VALU_DEP_1) | instskip(SKIP_1) | instid1(VALU_DEP_1)
	v_pk_fma_f32 v[124:125], v[112:113], v[120:121], v[110:111] op_sel:[0,0,1] op_sel_hi:[1,1,0] neg_lo:[0,0,1] neg_hi:[0,0,1]
	v_pk_fma_f32 v[110:111], v[112:113], v[120:121], v[110:111] op_sel:[0,0,1] op_sel_hi:[1,0,0]
	v_mov_b32_e32 v125, v111
	ds_load_2addr_b64 v[110:113], v114 offset0:49 offset1:50
	v_pk_add_f32 v[8:9], v[8:9], v[126:127] neg_lo:[0,1] neg_hi:[0,1]
	v_pk_add_f32 v[28:29], v[28:29], v[124:125] neg_lo:[0,1] neg_hi:[0,1]
	s_wait_dscnt 0x0
	v_dual_mul_f32 v124, v111, v123 :: v_dual_mul_f32 v126, v111, v120
	s_delay_alu instid0(VALU_DEP_1) | instskip(NEXT) | instid1(VALU_DEP_2)
	v_pk_fma_f32 v[124:125], v[110:111], v[44:45], v[124:125] op_sel_hi:[1,1,0] neg_lo:[0,0,1] neg_hi:[0,0,1]
	v_pk_fma_f32 v[110:111], v[110:111], v[44:45], v[126:127] op_sel:[1,0,0] op_sel_hi:[0,1,0]
	s_delay_alu instid0(VALU_DEP_1) | instskip(SKIP_1) | instid1(VALU_DEP_2)
	v_mov_b32_e32 v125, v111
	v_pk_mul_f32 v[110:111], v[112:113], v[122:123] op_sel:[0,1]
	v_pk_add_f32 v[16:17], v[16:17], v[124:125] neg_lo:[0,1] neg_hi:[0,1]
	s_delay_alu instid0(VALU_DEP_2) | instskip(SKIP_1) | instid1(VALU_DEP_1)
	v_pk_fma_f32 v[124:125], v[112:113], v[120:121], v[110:111] op_sel:[0,0,1] op_sel_hi:[1,1,0] neg_lo:[0,0,1] neg_hi:[0,0,1]
	v_pk_fma_f32 v[110:111], v[112:113], v[120:121], v[110:111] op_sel:[0,0,1] op_sel_hi:[1,0,0]
	v_mov_b32_e32 v125, v111
	ds_load_b64 v[110:111], v114 offset:408
	v_pk_add_f32 v[14:15], v[14:15], v[124:125] neg_lo:[0,1] neg_hi:[0,1]
	s_wait_dscnt 0x0
	v_pk_mul_f32 v[112:113], v[110:111], v[122:123] op_sel:[0,1]
	s_delay_alu instid0(VALU_DEP_1) | instskip(SKIP_1) | instid1(VALU_DEP_1)
	v_pk_fma_f32 v[122:123], v[110:111], v[120:121], v[112:113] op_sel:[0,0,1] op_sel_hi:[1,1,0] neg_lo:[0,0,1] neg_hi:[0,0,1]
	v_pk_fma_f32 v[110:111], v[110:111], v[120:121], v[112:113] op_sel:[0,0,1] op_sel_hi:[1,0,0]
	v_mov_b32_e32 v123, v111
	s_delay_alu instid0(VALU_DEP_1)
	v_pk_add_f32 v[108:109], v[108:109], v[122:123] neg_lo:[0,1] neg_hi:[0,1]
.LBB102_860:
	s_or_b32 exec_lo, exec_lo, s0
	v_lshl_add_u32 v110, v118, 3, v114
	s_barrier_signal -1
	s_barrier_wait -1
	ds_store_b64 v110, v[40:41]
	s_wait_dscnt 0x0
	s_barrier_signal -1
	s_barrier_wait -1
	ds_load_b64 v[110:111], v114 offset:328
	v_mov_b32_e32 v112, 41
	s_cmp_lt_i32 s18, 43
	s_cbranch_scc1 .LBB102_863
; %bb.861:
	v_add3_u32 v113, v115, 0, 0x150
	v_mov_b32_e32 v112, 41
	s_mov_b32 s0, 42
.LBB102_862:                            ; =>This Inner Loop Header: Depth=1
	ds_load_b64 v[120:121], v113
	s_wait_dscnt 0x1
	v_cmp_gt_f32_e32 vcc_lo, 0, v110
	v_cndmask_b32_e64 v122, v110, -v110, vcc_lo
	v_cmp_gt_f32_e32 vcc_lo, 0, v111
	v_cndmask_b32_e64 v124, v111, -v111, vcc_lo
	s_wait_dscnt 0x0
	v_cmp_gt_f32_e32 vcc_lo, 0, v120
	v_cndmask_b32_e64 v123, v120, -v120, vcc_lo
	v_cmp_gt_f32_e32 vcc_lo, 0, v121
	v_cndmask_b32_e64 v125, v121, -v121, vcc_lo
	s_delay_alu instid0(VALU_DEP_1) | instskip(NEXT) | instid1(VALU_DEP_1)
	v_pk_add_f32 v[122:123], v[122:123], v[124:125]
	v_cmp_lt_f32_e32 vcc_lo, v122, v123
	v_dual_cndmask_b32 v110, v110, v120 :: v_dual_add_nc_u32 v113, 8, v113
	v_cndmask_b32_e32 v111, v111, v121, vcc_lo
	v_cndmask_b32_e64 v112, v112, s0, vcc_lo
	s_add_co_i32 s0, s0, 1
	s_delay_alu instid0(SALU_CYCLE_1)
	s_cmp_lg_u32 s18, s0
	s_cbranch_scc1 .LBB102_862
.LBB102_863:
	s_wait_dscnt 0x0
	v_cmp_eq_f32_e32 vcc_lo, 0, v110
	v_cmp_eq_f32_e64 s0, 0, v111
	s_and_b32 s0, vcc_lo, s0
	s_delay_alu instid0(SALU_CYCLE_1) | instskip(NEXT) | instid1(SALU_CYCLE_1)
	s_and_saveexec_b32 s1, s0
	s_xor_b32 s0, exec_lo, s1
; %bb.864:
	v_cmp_ne_u32_e32 vcc_lo, 0, v116
	v_cndmask_b32_e32 v116, 42, v116, vcc_lo
; %bb.865:
	s_and_not1_saveexec_b32 s0, s0
	s_cbranch_execz .LBB102_871
; %bb.866:
	v_cmp_ngt_f32_e64 s1, |v110|, |v111|
	s_and_saveexec_b32 s12, s1
	s_delay_alu instid0(SALU_CYCLE_1)
	s_xor_b32 s1, exec_lo, s12
	s_cbranch_execz .LBB102_868
; %bb.867:
	v_div_scale_f32 v113, null, v111, v111, v110
	v_div_scale_f32 v121, vcc_lo, v110, v111, v110
	s_delay_alu instid0(VALU_DEP_2) | instskip(SKIP_1) | instid1(TRANS32_DEP_1)
	v_rcp_f32_e32 v119, v113
	v_nop
	v_fma_f32 v120, -v113, v119, 1.0
	s_delay_alu instid0(VALU_DEP_1) | instskip(NEXT) | instid1(VALU_DEP_1)
	v_fmac_f32_e32 v119, v120, v119
	v_mul_f32_e32 v120, v121, v119
	s_delay_alu instid0(VALU_DEP_1) | instskip(NEXT) | instid1(VALU_DEP_1)
	v_fma_f32 v122, -v113, v120, v121
	v_fmac_f32_e32 v120, v122, v119
	s_delay_alu instid0(VALU_DEP_1) | instskip(NEXT) | instid1(VALU_DEP_1)
	v_fma_f32 v113, -v113, v120, v121
	v_div_fmas_f32 v113, v113, v119, v120
	s_delay_alu instid0(VALU_DEP_1) | instskip(NEXT) | instid1(VALU_DEP_1)
	v_div_fixup_f32 v113, v113, v111, v110
	v_fmac_f32_e32 v111, v110, v113
	s_delay_alu instid0(VALU_DEP_1) | instskip(SKIP_1) | instid1(VALU_DEP_2)
	v_div_scale_f32 v110, null, v111, v111, 1.0
	v_div_scale_f32 v121, vcc_lo, 1.0, v111, 1.0
	v_rcp_f32_e32 v119, v110
	v_nop
	s_delay_alu instid0(TRANS32_DEP_1) | instskip(NEXT) | instid1(VALU_DEP_1)
	v_fma_f32 v120, -v110, v119, 1.0
	v_fmac_f32_e32 v119, v120, v119
	s_delay_alu instid0(VALU_DEP_1) | instskip(NEXT) | instid1(VALU_DEP_1)
	v_mul_f32_e32 v120, v121, v119
	v_fma_f32 v122, -v110, v120, v121
	s_delay_alu instid0(VALU_DEP_1) | instskip(NEXT) | instid1(VALU_DEP_1)
	v_fmac_f32_e32 v120, v122, v119
	v_fma_f32 v110, -v110, v120, v121
	s_delay_alu instid0(VALU_DEP_1) | instskip(NEXT) | instid1(VALU_DEP_1)
	v_div_fmas_f32 v110, v110, v119, v120
	v_div_fixup_f32 v111, v110, v111, 1.0
	s_delay_alu instid0(VALU_DEP_1)
	v_mul_f32_e32 v110, v113, v111
	v_xor_b32_e32 v111, 0x80000000, v111
.LBB102_868:
	s_and_not1_saveexec_b32 s1, s1
	s_cbranch_execz .LBB102_870
; %bb.869:
	s_delay_alu instid0(VALU_DEP_1) | instskip(SKIP_1) | instid1(VALU_DEP_2)
	v_div_scale_f32 v113, null, v110, v110, v111
	v_div_scale_f32 v121, vcc_lo, v111, v110, v111
	v_rcp_f32_e32 v119, v113
	v_nop
	s_delay_alu instid0(TRANS32_DEP_1) | instskip(NEXT) | instid1(VALU_DEP_1)
	v_fma_f32 v120, -v113, v119, 1.0
	v_fmac_f32_e32 v119, v120, v119
	s_delay_alu instid0(VALU_DEP_1) | instskip(NEXT) | instid1(VALU_DEP_1)
	v_mul_f32_e32 v120, v121, v119
	v_fma_f32 v122, -v113, v120, v121
	s_delay_alu instid0(VALU_DEP_1) | instskip(NEXT) | instid1(VALU_DEP_1)
	v_fmac_f32_e32 v120, v122, v119
	v_fma_f32 v113, -v113, v120, v121
	s_delay_alu instid0(VALU_DEP_1) | instskip(NEXT) | instid1(VALU_DEP_1)
	v_div_fmas_f32 v113, v113, v119, v120
	v_div_fixup_f32 v113, v113, v110, v111
	s_delay_alu instid0(VALU_DEP_1) | instskip(NEXT) | instid1(VALU_DEP_1)
	v_fmac_f32_e32 v110, v111, v113
	v_div_scale_f32 v111, null, v110, v110, 1.0
	s_delay_alu instid0(VALU_DEP_1) | instskip(SKIP_1) | instid1(TRANS32_DEP_1)
	v_rcp_f32_e32 v119, v111
	v_nop
	v_fma_f32 v120, -v111, v119, 1.0
	s_delay_alu instid0(VALU_DEP_1) | instskip(SKIP_1) | instid1(VALU_DEP_1)
	v_fmac_f32_e32 v119, v120, v119
	v_div_scale_f32 v120, vcc_lo, 1.0, v110, 1.0
	v_mul_f32_e32 v121, v120, v119
	s_delay_alu instid0(VALU_DEP_1) | instskip(NEXT) | instid1(VALU_DEP_1)
	v_fma_f32 v122, -v111, v121, v120
	v_fmac_f32_e32 v121, v122, v119
	s_delay_alu instid0(VALU_DEP_1) | instskip(NEXT) | instid1(VALU_DEP_1)
	v_fma_f32 v111, -v111, v121, v120
	v_div_fmas_f32 v111, v111, v119, v121
	s_delay_alu instid0(VALU_DEP_1) | instskip(NEXT) | instid1(VALU_DEP_1)
	v_div_fixup_f32 v110, v111, v110, 1.0
	v_mul_f32_e64 v111, v113, -v110
.LBB102_870:
	s_or_b32 exec_lo, exec_lo, s1
.LBB102_871:
	s_delay_alu instid0(SALU_CYCLE_1) | instskip(NEXT) | instid1(SALU_CYCLE_1)
	s_or_b32 exec_lo, exec_lo, s0
	s_mov_b32 s0, exec_lo
	v_cmpx_ne_u32_e64 v118, v112
	s_xor_b32 s0, exec_lo, s0
	s_cbranch_execz .LBB102_877
; %bb.872:
	s_mov_b32 s1, exec_lo
	v_cmpx_eq_u32_e32 41, v118
	s_cbranch_execz .LBB102_876
; %bb.873:
	v_cmp_ne_u32_e32 vcc_lo, 41, v112
	s_xor_b32 s12, s16, -1
	s_delay_alu instid0(SALU_CYCLE_1) | instskip(NEXT) | instid1(SALU_CYCLE_1)
	s_and_b32 s13, s12, vcc_lo
	s_and_saveexec_b32 s12, s13
	s_cbranch_execz .LBB102_875
; %bb.874:
	v_ashrrev_i32_e32 v113, 31, v112
	s_delay_alu instid0(VALU_DEP_1)
	v_lshl_add_u64 v[118:119], v[112:113], 2, v[4:5]
	s_clause 0x1
	global_load_b32 v113, v[118:119], off
	global_load_b32 v117, v[4:5], off offset:164
	s_wait_loadcnt 0x1
	global_store_b32 v[4:5], v113, off offset:164
	s_wait_loadcnt 0x0
	global_store_b32 v[118:119], v117, off
.LBB102_875:
	s_wait_xcnt 0x0
	s_or_b32 exec_lo, exec_lo, s12
	v_dual_mov_b32 v118, v112 :: v_dual_mov_b32 v117, v112
.LBB102_876:
	s_or_b32 exec_lo, exec_lo, s1
.LBB102_877:
	s_and_not1_saveexec_b32 s0, s0
	s_cbranch_execz .LBB102_879
; %bb.878:
	v_dual_mov_b32 v112, v42 :: v_dual_mov_b32 v113, v43
	v_dual_mov_b32 v120, v6 :: v_dual_mov_b32 v121, v7
	;; [unrolled: 1-line block ×9, first 2 shown]
	v_mov_b32_e32 v135, v15
	ds_store_2addr_b64 v114, v[112:113], v[120:121] offset0:42 offset1:43
	ds_store_2addr_b64 v114, v[122:123], v[124:125] offset0:44 offset1:45
	;; [unrolled: 1-line block ×5, first 2 shown]
.LBB102_879:
	s_or_b32 exec_lo, exec_lo, s0
	s_delay_alu instid0(SALU_CYCLE_1)
	s_mov_b32 s0, exec_lo
	s_wait_storecnt_dscnt 0x0
	s_barrier_signal -1
	s_barrier_wait -1
	v_cmpx_lt_i32_e32 41, v118
	s_cbranch_execz .LBB102_881
; %bb.880:
	v_pk_mul_f32 v[112:113], v[110:111], v[40:41] op_sel:[1,1] op_sel_hi:[0,1]
	s_delay_alu instid0(VALU_DEP_1)
	v_pk_fma_f32 v[120:121], v[110:111], v[40:41], v[112:113] op_sel_hi:[1,0,1] neg_lo:[0,0,1] neg_hi:[0,0,1]
	v_pk_fma_f32 v[122:123], v[110:111], v[40:41], v[112:113] op_sel_hi:[1,0,1]
	ds_load_2addr_b64 v[110:113], v114 offset0:42 offset1:43
	v_dual_mov_b32 v40, v120 :: v_dual_mov_b32 v41, v123
	s_wait_dscnt 0x0
	v_pk_mul_f32 v[124:125], v[110:111], v[122:123] op_sel:[0,1]
	s_delay_alu instid0(VALU_DEP_1) | instskip(SKIP_1) | instid1(VALU_DEP_1)
	v_pk_fma_f32 v[126:127], v[110:111], v[120:121], v[124:125] op_sel:[0,0,1] op_sel_hi:[1,1,0] neg_lo:[0,0,1] neg_hi:[0,0,1]
	v_pk_fma_f32 v[110:111], v[110:111], v[120:121], v[124:125] op_sel:[0,0,1] op_sel_hi:[1,0,0]
	v_mov_b32_e32 v127, v111
	v_pk_mul_f32 v[110:111], v[112:113], v[122:123] op_sel:[0,1]
	s_delay_alu instid0(VALU_DEP_1) | instskip(SKIP_1) | instid1(VALU_DEP_1)
	v_pk_fma_f32 v[124:125], v[112:113], v[120:121], v[110:111] op_sel:[0,0,1] op_sel_hi:[1,1,0] neg_lo:[0,0,1] neg_hi:[0,0,1]
	v_pk_fma_f32 v[110:111], v[112:113], v[120:121], v[110:111] op_sel:[0,0,1] op_sel_hi:[1,0,0]
	v_mov_b32_e32 v125, v111
	ds_load_2addr_b64 v[110:113], v114 offset0:44 offset1:45
	v_pk_add_f32 v[42:43], v[42:43], v[126:127] neg_lo:[0,1] neg_hi:[0,1]
	v_pk_add_f32 v[6:7], v[6:7], v[124:125] neg_lo:[0,1] neg_hi:[0,1]
	s_wait_dscnt 0x0
	v_pk_mul_f32 v[124:125], v[110:111], v[122:123] op_sel:[0,1]
	s_delay_alu instid0(VALU_DEP_1) | instskip(SKIP_2) | instid1(VALU_DEP_2)
	v_pk_fma_f32 v[126:127], v[110:111], v[120:121], v[124:125] op_sel:[0,0,1] op_sel_hi:[1,1,0] neg_lo:[0,0,1] neg_hi:[0,0,1]
	v_pk_fma_f32 v[110:111], v[110:111], v[120:121], v[124:125] op_sel:[0,0,1] op_sel_hi:[1,0,0]
	v_dual_mul_f32 v124, v113, v123 :: v_dual_mov_b32 v110, v113
	v_dual_mov_b32 v127, v111 :: v_dual_mov_b32 v111, v112
	s_delay_alu instid0(VALU_DEP_2) | instskip(SKIP_1) | instid1(VALU_DEP_3)
	v_pk_fma_f32 v[124:125], v[112:113], v[40:41], v[124:125] op_sel_hi:[1,1,0] neg_lo:[0,0,1] neg_hi:[0,0,1]
	v_mul_f32_e32 v112, v113, v120
	v_pk_add_f32 v[36:37], v[36:37], v[126:127] neg_lo:[0,1] neg_hi:[0,1]
	s_delay_alu instid0(VALU_DEP_2) | instskip(NEXT) | instid1(VALU_DEP_1)
	v_pk_fma_f32 v[110:111], v[110:111], v[40:41], v[112:113] op_sel_hi:[1,1,0]
	v_mov_b32_e32 v125, v111
	ds_load_2addr_b64 v[110:113], v114 offset0:46 offset1:47
	v_pk_add_f32 v[30:31], v[30:31], v[124:125] neg_lo:[0,1] neg_hi:[0,1]
	s_wait_dscnt 0x0
	v_pk_mul_f32 v[124:125], v[110:111], v[122:123] op_sel:[0,1]
	s_delay_alu instid0(VALU_DEP_1) | instskip(SKIP_1) | instid1(VALU_DEP_1)
	v_pk_fma_f32 v[126:127], v[110:111], v[120:121], v[124:125] op_sel:[0,0,1] op_sel_hi:[1,1,0] neg_lo:[0,0,1] neg_hi:[0,0,1]
	v_pk_fma_f32 v[110:111], v[110:111], v[120:121], v[124:125] op_sel:[0,0,1] op_sel_hi:[1,0,0]
	v_mov_b32_e32 v127, v111
	v_pk_mul_f32 v[110:111], v[112:113], v[122:123] op_sel:[0,1]
	s_delay_alu instid0(VALU_DEP_1) | instskip(SKIP_1) | instid1(VALU_DEP_1)
	v_pk_fma_f32 v[124:125], v[112:113], v[120:121], v[110:111] op_sel:[0,0,1] op_sel_hi:[1,1,0] neg_lo:[0,0,1] neg_hi:[0,0,1]
	v_pk_fma_f32 v[110:111], v[112:113], v[120:121], v[110:111] op_sel:[0,0,1] op_sel_hi:[1,0,0]
	v_mov_b32_e32 v125, v111
	ds_load_2addr_b64 v[110:113], v114 offset0:48 offset1:49
	v_pk_add_f32 v[34:35], v[34:35], v[126:127] neg_lo:[0,1] neg_hi:[0,1]
	v_pk_add_f32 v[8:9], v[8:9], v[124:125] neg_lo:[0,1] neg_hi:[0,1]
	s_wait_dscnt 0x0
	v_pk_mul_f32 v[124:125], v[110:111], v[122:123] op_sel:[0,1]
	s_delay_alu instid0(VALU_DEP_1) | instskip(SKIP_1) | instid1(VALU_DEP_1)
	v_pk_fma_f32 v[126:127], v[110:111], v[120:121], v[124:125] op_sel:[0,0,1] op_sel_hi:[1,1,0] neg_lo:[0,0,1] neg_hi:[0,0,1]
	v_pk_fma_f32 v[110:111], v[110:111], v[120:121], v[124:125] op_sel:[0,0,1] op_sel_hi:[1,0,0]
	v_mov_b32_e32 v127, v111
	v_pk_mul_f32 v[110:111], v[112:113], v[122:123] op_sel:[0,1]
	s_delay_alu instid0(VALU_DEP_1) | instskip(SKIP_1) | instid1(VALU_DEP_1)
	v_pk_fma_f32 v[124:125], v[112:113], v[120:121], v[110:111] op_sel:[0,0,1] op_sel_hi:[1,1,0] neg_lo:[0,0,1] neg_hi:[0,0,1]
	v_pk_fma_f32 v[110:111], v[112:113], v[120:121], v[110:111] op_sel:[0,0,1] op_sel_hi:[1,0,0]
	v_mov_b32_e32 v125, v111
	ds_load_2addr_b64 v[110:113], v114 offset0:50 offset1:51
	v_pk_add_f32 v[28:29], v[28:29], v[126:127] neg_lo:[0,1] neg_hi:[0,1]
	v_pk_add_f32 v[16:17], v[16:17], v[124:125] neg_lo:[0,1] neg_hi:[0,1]
	s_wait_dscnt 0x0
	v_dual_mul_f32 v124, v111, v123 :: v_dual_mul_f32 v126, v111, v120
	s_delay_alu instid0(VALU_DEP_1) | instskip(NEXT) | instid1(VALU_DEP_2)
	v_pk_fma_f32 v[124:125], v[110:111], v[40:41], v[124:125] op_sel_hi:[1,1,0] neg_lo:[0,0,1] neg_hi:[0,0,1]
	v_pk_fma_f32 v[110:111], v[110:111], v[40:41], v[126:127] op_sel:[1,0,0] op_sel_hi:[0,1,0]
	s_delay_alu instid0(VALU_DEP_1) | instskip(SKIP_1) | instid1(VALU_DEP_1)
	v_mov_b32_e32 v125, v111
	v_pk_mul_f32 v[110:111], v[112:113], v[122:123] op_sel:[0,1]
	v_pk_fma_f32 v[122:123], v[112:113], v[120:121], v[110:111] op_sel:[0,0,1] op_sel_hi:[1,1,0] neg_lo:[0,0,1] neg_hi:[0,0,1]
	v_pk_fma_f32 v[110:111], v[112:113], v[120:121], v[110:111] op_sel:[0,0,1] op_sel_hi:[1,0,0]
	s_delay_alu instid0(VALU_DEP_1) | instskip(SKIP_1) | instid1(VALU_DEP_2)
	v_mov_b32_e32 v123, v111
	v_pk_add_f32 v[14:15], v[14:15], v[124:125] neg_lo:[0,1] neg_hi:[0,1]
	v_pk_add_f32 v[108:109], v[108:109], v[122:123] neg_lo:[0,1] neg_hi:[0,1]
.LBB102_881:
	s_or_b32 exec_lo, exec_lo, s0
	v_lshl_add_u32 v110, v118, 3, v114
	s_barrier_signal -1
	s_barrier_wait -1
	ds_store_b64 v110, v[42:43]
	s_wait_dscnt 0x0
	s_barrier_signal -1
	s_barrier_wait -1
	ds_load_b64 v[110:111], v114 offset:336
	v_mov_b32_e32 v112, 42
	s_cmp_lt_i32 s18, 44
	s_cbranch_scc1 .LBB102_884
; %bb.882:
	v_add3_u32 v113, v115, 0, 0x158
	v_mov_b32_e32 v112, 42
	s_mov_b32 s0, 43
.LBB102_883:                            ; =>This Inner Loop Header: Depth=1
	ds_load_b64 v[120:121], v113
	s_wait_dscnt 0x1
	v_cmp_gt_f32_e32 vcc_lo, 0, v110
	v_cndmask_b32_e64 v122, v110, -v110, vcc_lo
	v_cmp_gt_f32_e32 vcc_lo, 0, v111
	v_cndmask_b32_e64 v124, v111, -v111, vcc_lo
	s_wait_dscnt 0x0
	v_cmp_gt_f32_e32 vcc_lo, 0, v120
	v_cndmask_b32_e64 v123, v120, -v120, vcc_lo
	v_cmp_gt_f32_e32 vcc_lo, 0, v121
	v_cndmask_b32_e64 v125, v121, -v121, vcc_lo
	s_delay_alu instid0(VALU_DEP_1) | instskip(NEXT) | instid1(VALU_DEP_1)
	v_pk_add_f32 v[122:123], v[122:123], v[124:125]
	v_cmp_lt_f32_e32 vcc_lo, v122, v123
	v_dual_cndmask_b32 v110, v110, v120 :: v_dual_add_nc_u32 v113, 8, v113
	v_cndmask_b32_e32 v111, v111, v121, vcc_lo
	v_cndmask_b32_e64 v112, v112, s0, vcc_lo
	s_add_co_i32 s0, s0, 1
	s_delay_alu instid0(SALU_CYCLE_1)
	s_cmp_lg_u32 s18, s0
	s_cbranch_scc1 .LBB102_883
.LBB102_884:
	s_wait_dscnt 0x0
	v_cmp_eq_f32_e32 vcc_lo, 0, v110
	v_cmp_eq_f32_e64 s0, 0, v111
	s_and_b32 s0, vcc_lo, s0
	s_delay_alu instid0(SALU_CYCLE_1) | instskip(NEXT) | instid1(SALU_CYCLE_1)
	s_and_saveexec_b32 s1, s0
	s_xor_b32 s0, exec_lo, s1
; %bb.885:
	v_cmp_ne_u32_e32 vcc_lo, 0, v116
	v_cndmask_b32_e32 v116, 43, v116, vcc_lo
; %bb.886:
	s_and_not1_saveexec_b32 s0, s0
	s_cbranch_execz .LBB102_892
; %bb.887:
	v_cmp_ngt_f32_e64 s1, |v110|, |v111|
	s_and_saveexec_b32 s12, s1
	s_delay_alu instid0(SALU_CYCLE_1)
	s_xor_b32 s1, exec_lo, s12
	s_cbranch_execz .LBB102_889
; %bb.888:
	v_div_scale_f32 v113, null, v111, v111, v110
	v_div_scale_f32 v121, vcc_lo, v110, v111, v110
	s_delay_alu instid0(VALU_DEP_2) | instskip(SKIP_1) | instid1(TRANS32_DEP_1)
	v_rcp_f32_e32 v119, v113
	v_nop
	v_fma_f32 v120, -v113, v119, 1.0
	s_delay_alu instid0(VALU_DEP_1) | instskip(NEXT) | instid1(VALU_DEP_1)
	v_fmac_f32_e32 v119, v120, v119
	v_mul_f32_e32 v120, v121, v119
	s_delay_alu instid0(VALU_DEP_1) | instskip(NEXT) | instid1(VALU_DEP_1)
	v_fma_f32 v122, -v113, v120, v121
	v_fmac_f32_e32 v120, v122, v119
	s_delay_alu instid0(VALU_DEP_1) | instskip(NEXT) | instid1(VALU_DEP_1)
	v_fma_f32 v113, -v113, v120, v121
	v_div_fmas_f32 v113, v113, v119, v120
	s_delay_alu instid0(VALU_DEP_1) | instskip(NEXT) | instid1(VALU_DEP_1)
	v_div_fixup_f32 v113, v113, v111, v110
	v_fmac_f32_e32 v111, v110, v113
	s_delay_alu instid0(VALU_DEP_1) | instskip(SKIP_1) | instid1(VALU_DEP_2)
	v_div_scale_f32 v110, null, v111, v111, 1.0
	v_div_scale_f32 v121, vcc_lo, 1.0, v111, 1.0
	v_rcp_f32_e32 v119, v110
	v_nop
	s_delay_alu instid0(TRANS32_DEP_1) | instskip(NEXT) | instid1(VALU_DEP_1)
	v_fma_f32 v120, -v110, v119, 1.0
	v_fmac_f32_e32 v119, v120, v119
	s_delay_alu instid0(VALU_DEP_1) | instskip(NEXT) | instid1(VALU_DEP_1)
	v_mul_f32_e32 v120, v121, v119
	v_fma_f32 v122, -v110, v120, v121
	s_delay_alu instid0(VALU_DEP_1) | instskip(NEXT) | instid1(VALU_DEP_1)
	v_fmac_f32_e32 v120, v122, v119
	v_fma_f32 v110, -v110, v120, v121
	s_delay_alu instid0(VALU_DEP_1) | instskip(NEXT) | instid1(VALU_DEP_1)
	v_div_fmas_f32 v110, v110, v119, v120
	v_div_fixup_f32 v111, v110, v111, 1.0
	s_delay_alu instid0(VALU_DEP_1)
	v_mul_f32_e32 v110, v113, v111
	v_xor_b32_e32 v111, 0x80000000, v111
.LBB102_889:
	s_and_not1_saveexec_b32 s1, s1
	s_cbranch_execz .LBB102_891
; %bb.890:
	s_delay_alu instid0(VALU_DEP_1) | instskip(SKIP_1) | instid1(VALU_DEP_2)
	v_div_scale_f32 v113, null, v110, v110, v111
	v_div_scale_f32 v121, vcc_lo, v111, v110, v111
	v_rcp_f32_e32 v119, v113
	v_nop
	s_delay_alu instid0(TRANS32_DEP_1) | instskip(NEXT) | instid1(VALU_DEP_1)
	v_fma_f32 v120, -v113, v119, 1.0
	v_fmac_f32_e32 v119, v120, v119
	s_delay_alu instid0(VALU_DEP_1) | instskip(NEXT) | instid1(VALU_DEP_1)
	v_mul_f32_e32 v120, v121, v119
	v_fma_f32 v122, -v113, v120, v121
	s_delay_alu instid0(VALU_DEP_1) | instskip(NEXT) | instid1(VALU_DEP_1)
	v_fmac_f32_e32 v120, v122, v119
	v_fma_f32 v113, -v113, v120, v121
	s_delay_alu instid0(VALU_DEP_1) | instskip(NEXT) | instid1(VALU_DEP_1)
	v_div_fmas_f32 v113, v113, v119, v120
	v_div_fixup_f32 v113, v113, v110, v111
	s_delay_alu instid0(VALU_DEP_1) | instskip(NEXT) | instid1(VALU_DEP_1)
	v_fmac_f32_e32 v110, v111, v113
	v_div_scale_f32 v111, null, v110, v110, 1.0
	s_delay_alu instid0(VALU_DEP_1) | instskip(SKIP_1) | instid1(TRANS32_DEP_1)
	v_rcp_f32_e32 v119, v111
	v_nop
	v_fma_f32 v120, -v111, v119, 1.0
	s_delay_alu instid0(VALU_DEP_1) | instskip(SKIP_1) | instid1(VALU_DEP_1)
	v_fmac_f32_e32 v119, v120, v119
	v_div_scale_f32 v120, vcc_lo, 1.0, v110, 1.0
	v_mul_f32_e32 v121, v120, v119
	s_delay_alu instid0(VALU_DEP_1) | instskip(NEXT) | instid1(VALU_DEP_1)
	v_fma_f32 v122, -v111, v121, v120
	v_fmac_f32_e32 v121, v122, v119
	s_delay_alu instid0(VALU_DEP_1) | instskip(NEXT) | instid1(VALU_DEP_1)
	v_fma_f32 v111, -v111, v121, v120
	v_div_fmas_f32 v111, v111, v119, v121
	s_delay_alu instid0(VALU_DEP_1) | instskip(NEXT) | instid1(VALU_DEP_1)
	v_div_fixup_f32 v110, v111, v110, 1.0
	v_mul_f32_e64 v111, v113, -v110
.LBB102_891:
	s_or_b32 exec_lo, exec_lo, s1
.LBB102_892:
	s_delay_alu instid0(SALU_CYCLE_1) | instskip(NEXT) | instid1(SALU_CYCLE_1)
	s_or_b32 exec_lo, exec_lo, s0
	s_mov_b32 s0, exec_lo
	v_cmpx_ne_u32_e64 v118, v112
	s_xor_b32 s0, exec_lo, s0
	s_cbranch_execz .LBB102_898
; %bb.893:
	s_mov_b32 s1, exec_lo
	v_cmpx_eq_u32_e32 42, v118
	s_cbranch_execz .LBB102_897
; %bb.894:
	v_cmp_ne_u32_e32 vcc_lo, 42, v112
	s_xor_b32 s12, s16, -1
	s_delay_alu instid0(SALU_CYCLE_1) | instskip(NEXT) | instid1(SALU_CYCLE_1)
	s_and_b32 s13, s12, vcc_lo
	s_and_saveexec_b32 s12, s13
	s_cbranch_execz .LBB102_896
; %bb.895:
	v_ashrrev_i32_e32 v113, 31, v112
	s_delay_alu instid0(VALU_DEP_1)
	v_lshl_add_u64 v[118:119], v[112:113], 2, v[4:5]
	s_clause 0x1
	global_load_b32 v113, v[118:119], off
	global_load_b32 v117, v[4:5], off offset:168
	s_wait_loadcnt 0x1
	global_store_b32 v[4:5], v113, off offset:168
	s_wait_loadcnt 0x0
	global_store_b32 v[118:119], v117, off
.LBB102_896:
	s_wait_xcnt 0x0
	s_or_b32 exec_lo, exec_lo, s12
	v_dual_mov_b32 v118, v112 :: v_dual_mov_b32 v117, v112
.LBB102_897:
	s_or_b32 exec_lo, exec_lo, s1
.LBB102_898:
	s_and_not1_saveexec_b32 s0, s0
	s_cbranch_execz .LBB102_900
; %bb.899:
	v_mov_b32_e32 v118, 42
	ds_store_2addr_b64 v114, v[6:7], v[36:37] offset0:43 offset1:44
	ds_store_2addr_b64 v114, v[30:31], v[34:35] offset0:45 offset1:46
	;; [unrolled: 1-line block ×4, first 2 shown]
	ds_store_b64 v114, v[108:109] offset:408
.LBB102_900:
	s_or_b32 exec_lo, exec_lo, s0
	s_delay_alu instid0(SALU_CYCLE_1)
	s_mov_b32 s0, exec_lo
	s_wait_storecnt_dscnt 0x0
	s_barrier_signal -1
	s_barrier_wait -1
	v_cmpx_lt_i32_e32 42, v118
	s_cbranch_execz .LBB102_902
; %bb.901:
	v_pk_mul_f32 v[112:113], v[110:111], v[42:43] op_sel:[1,1] op_sel_hi:[0,1]
	s_delay_alu instid0(VALU_DEP_1)
	v_pk_fma_f32 v[120:121], v[110:111], v[42:43], v[112:113] op_sel_hi:[1,0,1] neg_lo:[0,0,1] neg_hi:[0,0,1]
	v_pk_fma_f32 v[122:123], v[110:111], v[42:43], v[112:113] op_sel_hi:[1,0,1]
	ds_load_2addr_b64 v[110:113], v114 offset0:43 offset1:44
	v_dual_mov_b32 v42, v120 :: v_dual_mov_b32 v43, v123
	s_wait_dscnt 0x0
	v_pk_mul_f32 v[124:125], v[110:111], v[122:123] op_sel:[0,1]
	s_delay_alu instid0(VALU_DEP_1) | instskip(SKIP_1) | instid1(VALU_DEP_1)
	v_pk_fma_f32 v[126:127], v[110:111], v[120:121], v[124:125] op_sel:[0,0,1] op_sel_hi:[1,1,0] neg_lo:[0,0,1] neg_hi:[0,0,1]
	v_pk_fma_f32 v[110:111], v[110:111], v[120:121], v[124:125] op_sel:[0,0,1] op_sel_hi:[1,0,0]
	v_mov_b32_e32 v127, v111
	v_pk_mul_f32 v[110:111], v[112:113], v[122:123] op_sel:[0,1]
	s_delay_alu instid0(VALU_DEP_1) | instskip(SKIP_1) | instid1(VALU_DEP_1)
	v_pk_fma_f32 v[124:125], v[112:113], v[120:121], v[110:111] op_sel:[0,0,1] op_sel_hi:[1,1,0] neg_lo:[0,0,1] neg_hi:[0,0,1]
	v_pk_fma_f32 v[110:111], v[112:113], v[120:121], v[110:111] op_sel:[0,0,1] op_sel_hi:[1,0,0]
	v_mov_b32_e32 v125, v111
	ds_load_2addr_b64 v[110:113], v114 offset0:45 offset1:46
	v_pk_add_f32 v[6:7], v[6:7], v[126:127] neg_lo:[0,1] neg_hi:[0,1]
	v_pk_add_f32 v[36:37], v[36:37], v[124:125] neg_lo:[0,1] neg_hi:[0,1]
	s_wait_dscnt 0x0
	v_pk_mul_f32 v[124:125], v[110:111], v[122:123] op_sel:[0,1]
	s_delay_alu instid0(VALU_DEP_1) | instskip(SKIP_2) | instid1(VALU_DEP_2)
	v_pk_fma_f32 v[126:127], v[110:111], v[120:121], v[124:125] op_sel:[0,0,1] op_sel_hi:[1,1,0] neg_lo:[0,0,1] neg_hi:[0,0,1]
	v_pk_fma_f32 v[110:111], v[110:111], v[120:121], v[124:125] op_sel:[0,0,1] op_sel_hi:[1,0,0]
	v_dual_mul_f32 v124, v113, v123 :: v_dual_mov_b32 v110, v113
	v_dual_mov_b32 v127, v111 :: v_dual_mov_b32 v111, v112
	s_delay_alu instid0(VALU_DEP_2) | instskip(SKIP_1) | instid1(VALU_DEP_3)
	v_pk_fma_f32 v[124:125], v[112:113], v[42:43], v[124:125] op_sel_hi:[1,1,0] neg_lo:[0,0,1] neg_hi:[0,0,1]
	v_mul_f32_e32 v112, v113, v120
	v_pk_add_f32 v[30:31], v[30:31], v[126:127] neg_lo:[0,1] neg_hi:[0,1]
	s_delay_alu instid0(VALU_DEP_2) | instskip(NEXT) | instid1(VALU_DEP_1)
	v_pk_fma_f32 v[110:111], v[110:111], v[42:43], v[112:113] op_sel_hi:[1,1,0]
	v_mov_b32_e32 v125, v111
	ds_load_2addr_b64 v[110:113], v114 offset0:47 offset1:48
	v_pk_add_f32 v[34:35], v[34:35], v[124:125] neg_lo:[0,1] neg_hi:[0,1]
	s_wait_dscnt 0x0
	v_pk_mul_f32 v[124:125], v[110:111], v[122:123] op_sel:[0,1]
	s_delay_alu instid0(VALU_DEP_1) | instskip(SKIP_1) | instid1(VALU_DEP_1)
	v_pk_fma_f32 v[126:127], v[110:111], v[120:121], v[124:125] op_sel:[0,0,1] op_sel_hi:[1,1,0] neg_lo:[0,0,1] neg_hi:[0,0,1]
	v_pk_fma_f32 v[110:111], v[110:111], v[120:121], v[124:125] op_sel:[0,0,1] op_sel_hi:[1,0,0]
	v_mov_b32_e32 v127, v111
	v_pk_mul_f32 v[110:111], v[112:113], v[122:123] op_sel:[0,1]
	s_delay_alu instid0(VALU_DEP_1) | instskip(SKIP_1) | instid1(VALU_DEP_1)
	v_pk_fma_f32 v[124:125], v[112:113], v[120:121], v[110:111] op_sel:[0,0,1] op_sel_hi:[1,1,0] neg_lo:[0,0,1] neg_hi:[0,0,1]
	v_pk_fma_f32 v[110:111], v[112:113], v[120:121], v[110:111] op_sel:[0,0,1] op_sel_hi:[1,0,0]
	v_mov_b32_e32 v125, v111
	ds_load_2addr_b64 v[110:113], v114 offset0:49 offset1:50
	v_pk_add_f32 v[8:9], v[8:9], v[126:127] neg_lo:[0,1] neg_hi:[0,1]
	v_pk_add_f32 v[28:29], v[28:29], v[124:125] neg_lo:[0,1] neg_hi:[0,1]
	s_wait_dscnt 0x0
	v_pk_mul_f32 v[124:125], v[110:111], v[122:123] op_sel:[0,1]
	s_delay_alu instid0(VALU_DEP_1) | instskip(SKIP_1) | instid1(VALU_DEP_1)
	v_pk_fma_f32 v[126:127], v[110:111], v[120:121], v[124:125] op_sel:[0,0,1] op_sel_hi:[1,1,0] neg_lo:[0,0,1] neg_hi:[0,0,1]
	v_pk_fma_f32 v[110:111], v[110:111], v[120:121], v[124:125] op_sel:[0,0,1] op_sel_hi:[1,0,0]
	v_mov_b32_e32 v127, v111
	v_pk_mul_f32 v[110:111], v[112:113], v[122:123] op_sel:[0,1]
	s_delay_alu instid0(VALU_DEP_1) | instskip(SKIP_1) | instid1(VALU_DEP_1)
	v_pk_fma_f32 v[124:125], v[112:113], v[120:121], v[110:111] op_sel:[0,0,1] op_sel_hi:[1,1,0] neg_lo:[0,0,1] neg_hi:[0,0,1]
	v_pk_fma_f32 v[110:111], v[112:113], v[120:121], v[110:111] op_sel:[0,0,1] op_sel_hi:[1,0,0]
	v_mov_b32_e32 v125, v111
	ds_load_b64 v[110:111], v114 offset:408
	v_pk_add_f32 v[16:17], v[16:17], v[126:127] neg_lo:[0,1] neg_hi:[0,1]
	v_pk_add_f32 v[14:15], v[14:15], v[124:125] neg_lo:[0,1] neg_hi:[0,1]
	s_wait_dscnt 0x0
	v_pk_mul_f32 v[112:113], v[110:111], v[122:123] op_sel:[0,1]
	s_delay_alu instid0(VALU_DEP_1) | instskip(SKIP_1) | instid1(VALU_DEP_1)
	v_pk_fma_f32 v[122:123], v[110:111], v[120:121], v[112:113] op_sel:[0,0,1] op_sel_hi:[1,1,0] neg_lo:[0,0,1] neg_hi:[0,0,1]
	v_pk_fma_f32 v[110:111], v[110:111], v[120:121], v[112:113] op_sel:[0,0,1] op_sel_hi:[1,0,0]
	v_mov_b32_e32 v123, v111
	s_delay_alu instid0(VALU_DEP_1)
	v_pk_add_f32 v[108:109], v[108:109], v[122:123] neg_lo:[0,1] neg_hi:[0,1]
.LBB102_902:
	s_or_b32 exec_lo, exec_lo, s0
	v_lshl_add_u32 v110, v118, 3, v114
	s_barrier_signal -1
	s_barrier_wait -1
	ds_store_b64 v110, v[6:7]
	s_wait_dscnt 0x0
	s_barrier_signal -1
	s_barrier_wait -1
	ds_load_b64 v[110:111], v114 offset:344
	v_mov_b32_e32 v112, 43
	s_cmp_lt_i32 s18, 45
	s_cbranch_scc1 .LBB102_905
; %bb.903:
	v_add3_u32 v113, v115, 0, 0x160
	v_mov_b32_e32 v112, 43
	s_mov_b32 s0, 44
.LBB102_904:                            ; =>This Inner Loop Header: Depth=1
	ds_load_b64 v[120:121], v113
	s_wait_dscnt 0x1
	v_cmp_gt_f32_e32 vcc_lo, 0, v110
	v_cndmask_b32_e64 v122, v110, -v110, vcc_lo
	v_cmp_gt_f32_e32 vcc_lo, 0, v111
	v_cndmask_b32_e64 v124, v111, -v111, vcc_lo
	s_wait_dscnt 0x0
	v_cmp_gt_f32_e32 vcc_lo, 0, v120
	v_cndmask_b32_e64 v123, v120, -v120, vcc_lo
	v_cmp_gt_f32_e32 vcc_lo, 0, v121
	v_cndmask_b32_e64 v125, v121, -v121, vcc_lo
	s_delay_alu instid0(VALU_DEP_1) | instskip(NEXT) | instid1(VALU_DEP_1)
	v_pk_add_f32 v[122:123], v[122:123], v[124:125]
	v_cmp_lt_f32_e32 vcc_lo, v122, v123
	v_dual_cndmask_b32 v110, v110, v120 :: v_dual_add_nc_u32 v113, 8, v113
	v_cndmask_b32_e32 v111, v111, v121, vcc_lo
	v_cndmask_b32_e64 v112, v112, s0, vcc_lo
	s_add_co_i32 s0, s0, 1
	s_delay_alu instid0(SALU_CYCLE_1)
	s_cmp_lg_u32 s18, s0
	s_cbranch_scc1 .LBB102_904
.LBB102_905:
	s_wait_dscnt 0x0
	v_cmp_eq_f32_e32 vcc_lo, 0, v110
	v_cmp_eq_f32_e64 s0, 0, v111
	s_and_b32 s0, vcc_lo, s0
	s_delay_alu instid0(SALU_CYCLE_1) | instskip(NEXT) | instid1(SALU_CYCLE_1)
	s_and_saveexec_b32 s1, s0
	s_xor_b32 s0, exec_lo, s1
; %bb.906:
	v_cmp_ne_u32_e32 vcc_lo, 0, v116
	v_cndmask_b32_e32 v116, 44, v116, vcc_lo
; %bb.907:
	s_and_not1_saveexec_b32 s0, s0
	s_cbranch_execz .LBB102_913
; %bb.908:
	v_cmp_ngt_f32_e64 s1, |v110|, |v111|
	s_and_saveexec_b32 s12, s1
	s_delay_alu instid0(SALU_CYCLE_1)
	s_xor_b32 s1, exec_lo, s12
	s_cbranch_execz .LBB102_910
; %bb.909:
	v_div_scale_f32 v113, null, v111, v111, v110
	v_div_scale_f32 v121, vcc_lo, v110, v111, v110
	s_delay_alu instid0(VALU_DEP_2) | instskip(SKIP_1) | instid1(TRANS32_DEP_1)
	v_rcp_f32_e32 v119, v113
	v_nop
	v_fma_f32 v120, -v113, v119, 1.0
	s_delay_alu instid0(VALU_DEP_1) | instskip(NEXT) | instid1(VALU_DEP_1)
	v_fmac_f32_e32 v119, v120, v119
	v_mul_f32_e32 v120, v121, v119
	s_delay_alu instid0(VALU_DEP_1) | instskip(NEXT) | instid1(VALU_DEP_1)
	v_fma_f32 v122, -v113, v120, v121
	v_fmac_f32_e32 v120, v122, v119
	s_delay_alu instid0(VALU_DEP_1) | instskip(NEXT) | instid1(VALU_DEP_1)
	v_fma_f32 v113, -v113, v120, v121
	v_div_fmas_f32 v113, v113, v119, v120
	s_delay_alu instid0(VALU_DEP_1) | instskip(NEXT) | instid1(VALU_DEP_1)
	v_div_fixup_f32 v113, v113, v111, v110
	v_fmac_f32_e32 v111, v110, v113
	s_delay_alu instid0(VALU_DEP_1) | instskip(SKIP_1) | instid1(VALU_DEP_2)
	v_div_scale_f32 v110, null, v111, v111, 1.0
	v_div_scale_f32 v121, vcc_lo, 1.0, v111, 1.0
	v_rcp_f32_e32 v119, v110
	v_nop
	s_delay_alu instid0(TRANS32_DEP_1) | instskip(NEXT) | instid1(VALU_DEP_1)
	v_fma_f32 v120, -v110, v119, 1.0
	v_fmac_f32_e32 v119, v120, v119
	s_delay_alu instid0(VALU_DEP_1) | instskip(NEXT) | instid1(VALU_DEP_1)
	v_mul_f32_e32 v120, v121, v119
	v_fma_f32 v122, -v110, v120, v121
	s_delay_alu instid0(VALU_DEP_1) | instskip(NEXT) | instid1(VALU_DEP_1)
	v_fmac_f32_e32 v120, v122, v119
	v_fma_f32 v110, -v110, v120, v121
	s_delay_alu instid0(VALU_DEP_1) | instskip(NEXT) | instid1(VALU_DEP_1)
	v_div_fmas_f32 v110, v110, v119, v120
	v_div_fixup_f32 v111, v110, v111, 1.0
	s_delay_alu instid0(VALU_DEP_1)
	v_mul_f32_e32 v110, v113, v111
	v_xor_b32_e32 v111, 0x80000000, v111
.LBB102_910:
	s_and_not1_saveexec_b32 s1, s1
	s_cbranch_execz .LBB102_912
; %bb.911:
	s_delay_alu instid0(VALU_DEP_1) | instskip(SKIP_1) | instid1(VALU_DEP_2)
	v_div_scale_f32 v113, null, v110, v110, v111
	v_div_scale_f32 v121, vcc_lo, v111, v110, v111
	v_rcp_f32_e32 v119, v113
	v_nop
	s_delay_alu instid0(TRANS32_DEP_1) | instskip(NEXT) | instid1(VALU_DEP_1)
	v_fma_f32 v120, -v113, v119, 1.0
	v_fmac_f32_e32 v119, v120, v119
	s_delay_alu instid0(VALU_DEP_1) | instskip(NEXT) | instid1(VALU_DEP_1)
	v_mul_f32_e32 v120, v121, v119
	v_fma_f32 v122, -v113, v120, v121
	s_delay_alu instid0(VALU_DEP_1) | instskip(NEXT) | instid1(VALU_DEP_1)
	v_fmac_f32_e32 v120, v122, v119
	v_fma_f32 v113, -v113, v120, v121
	s_delay_alu instid0(VALU_DEP_1) | instskip(NEXT) | instid1(VALU_DEP_1)
	v_div_fmas_f32 v113, v113, v119, v120
	v_div_fixup_f32 v113, v113, v110, v111
	s_delay_alu instid0(VALU_DEP_1) | instskip(NEXT) | instid1(VALU_DEP_1)
	v_fmac_f32_e32 v110, v111, v113
	v_div_scale_f32 v111, null, v110, v110, 1.0
	s_delay_alu instid0(VALU_DEP_1) | instskip(SKIP_1) | instid1(TRANS32_DEP_1)
	v_rcp_f32_e32 v119, v111
	v_nop
	v_fma_f32 v120, -v111, v119, 1.0
	s_delay_alu instid0(VALU_DEP_1) | instskip(SKIP_1) | instid1(VALU_DEP_1)
	v_fmac_f32_e32 v119, v120, v119
	v_div_scale_f32 v120, vcc_lo, 1.0, v110, 1.0
	v_mul_f32_e32 v121, v120, v119
	s_delay_alu instid0(VALU_DEP_1) | instskip(NEXT) | instid1(VALU_DEP_1)
	v_fma_f32 v122, -v111, v121, v120
	v_fmac_f32_e32 v121, v122, v119
	s_delay_alu instid0(VALU_DEP_1) | instskip(NEXT) | instid1(VALU_DEP_1)
	v_fma_f32 v111, -v111, v121, v120
	v_div_fmas_f32 v111, v111, v119, v121
	s_delay_alu instid0(VALU_DEP_1) | instskip(NEXT) | instid1(VALU_DEP_1)
	v_div_fixup_f32 v110, v111, v110, 1.0
	v_mul_f32_e64 v111, v113, -v110
.LBB102_912:
	s_or_b32 exec_lo, exec_lo, s1
.LBB102_913:
	s_delay_alu instid0(SALU_CYCLE_1) | instskip(NEXT) | instid1(SALU_CYCLE_1)
	s_or_b32 exec_lo, exec_lo, s0
	s_mov_b32 s0, exec_lo
	v_cmpx_ne_u32_e64 v118, v112
	s_xor_b32 s0, exec_lo, s0
	s_cbranch_execz .LBB102_919
; %bb.914:
	s_mov_b32 s1, exec_lo
	v_cmpx_eq_u32_e32 43, v118
	s_cbranch_execz .LBB102_918
; %bb.915:
	v_cmp_ne_u32_e32 vcc_lo, 43, v112
	s_xor_b32 s12, s16, -1
	s_delay_alu instid0(SALU_CYCLE_1) | instskip(NEXT) | instid1(SALU_CYCLE_1)
	s_and_b32 s13, s12, vcc_lo
	s_and_saveexec_b32 s12, s13
	s_cbranch_execz .LBB102_917
; %bb.916:
	v_ashrrev_i32_e32 v113, 31, v112
	s_delay_alu instid0(VALU_DEP_1)
	v_lshl_add_u64 v[118:119], v[112:113], 2, v[4:5]
	s_clause 0x1
	global_load_b32 v113, v[118:119], off
	global_load_b32 v117, v[4:5], off offset:172
	s_wait_loadcnt 0x1
	global_store_b32 v[4:5], v113, off offset:172
	s_wait_loadcnt 0x0
	global_store_b32 v[118:119], v117, off
.LBB102_917:
	s_wait_xcnt 0x0
	s_or_b32 exec_lo, exec_lo, s12
	v_dual_mov_b32 v118, v112 :: v_dual_mov_b32 v117, v112
.LBB102_918:
	s_or_b32 exec_lo, exec_lo, s1
.LBB102_919:
	s_and_not1_saveexec_b32 s0, s0
	s_cbranch_execz .LBB102_921
; %bb.920:
	v_dual_mov_b32 v112, v36 :: v_dual_mov_b32 v113, v37
	v_dual_mov_b32 v120, v30 :: v_dual_mov_b32 v121, v31
	;; [unrolled: 1-line block ×7, first 2 shown]
	v_mov_b32_e32 v131, v15
	ds_store_2addr_b64 v114, v[112:113], v[120:121] offset0:44 offset1:45
	ds_store_2addr_b64 v114, v[122:123], v[124:125] offset0:46 offset1:47
	;; [unrolled: 1-line block ×4, first 2 shown]
.LBB102_921:
	s_or_b32 exec_lo, exec_lo, s0
	s_delay_alu instid0(SALU_CYCLE_1)
	s_mov_b32 s0, exec_lo
	s_wait_storecnt_dscnt 0x0
	s_barrier_signal -1
	s_barrier_wait -1
	v_cmpx_lt_i32_e32 43, v118
	s_cbranch_execz .LBB102_923
; %bb.922:
	v_pk_mul_f32 v[112:113], v[110:111], v[6:7] op_sel:[1,1] op_sel_hi:[0,1]
	s_delay_alu instid0(VALU_DEP_1)
	v_pk_fma_f32 v[120:121], v[110:111], v[6:7], v[112:113] op_sel_hi:[1,0,1] neg_lo:[0,0,1] neg_hi:[0,0,1]
	v_pk_fma_f32 v[122:123], v[110:111], v[6:7], v[112:113] op_sel_hi:[1,0,1]
	ds_load_2addr_b64 v[110:113], v114 offset0:44 offset1:45
	v_dual_mov_b32 v6, v120 :: v_dual_mov_b32 v7, v123
	s_wait_dscnt 0x0
	v_pk_mul_f32 v[124:125], v[110:111], v[122:123] op_sel:[0,1]
	s_delay_alu instid0(VALU_DEP_1) | instskip(SKIP_1) | instid1(VALU_DEP_1)
	v_pk_fma_f32 v[126:127], v[110:111], v[120:121], v[124:125] op_sel:[0,0,1] op_sel_hi:[1,1,0] neg_lo:[0,0,1] neg_hi:[0,0,1]
	v_pk_fma_f32 v[110:111], v[110:111], v[120:121], v[124:125] op_sel:[0,0,1] op_sel_hi:[1,0,0]
	v_mov_b32_e32 v127, v111
	v_pk_mul_f32 v[110:111], v[112:113], v[122:123] op_sel:[0,1]
	s_delay_alu instid0(VALU_DEP_1) | instskip(SKIP_1) | instid1(VALU_DEP_1)
	v_pk_fma_f32 v[124:125], v[112:113], v[120:121], v[110:111] op_sel:[0,0,1] op_sel_hi:[1,1,0] neg_lo:[0,0,1] neg_hi:[0,0,1]
	v_pk_fma_f32 v[110:111], v[112:113], v[120:121], v[110:111] op_sel:[0,0,1] op_sel_hi:[1,0,0]
	v_mov_b32_e32 v125, v111
	ds_load_2addr_b64 v[110:113], v114 offset0:46 offset1:47
	v_pk_add_f32 v[36:37], v[36:37], v[126:127] neg_lo:[0,1] neg_hi:[0,1]
	v_pk_add_f32 v[30:31], v[30:31], v[124:125] neg_lo:[0,1] neg_hi:[0,1]
	s_wait_dscnt 0x0
	v_pk_mul_f32 v[124:125], v[110:111], v[122:123] op_sel:[0,1]
	s_delay_alu instid0(VALU_DEP_1) | instskip(SKIP_2) | instid1(VALU_DEP_2)
	v_pk_fma_f32 v[126:127], v[110:111], v[120:121], v[124:125] op_sel:[0,0,1] op_sel_hi:[1,1,0] neg_lo:[0,0,1] neg_hi:[0,0,1]
	v_pk_fma_f32 v[110:111], v[110:111], v[120:121], v[124:125] op_sel:[0,0,1] op_sel_hi:[1,0,0]
	v_dual_mul_f32 v124, v113, v123 :: v_dual_mov_b32 v110, v113
	v_dual_mov_b32 v127, v111 :: v_dual_mov_b32 v111, v112
	s_delay_alu instid0(VALU_DEP_2) | instskip(SKIP_1) | instid1(VALU_DEP_3)
	v_pk_fma_f32 v[124:125], v[112:113], v[6:7], v[124:125] op_sel_hi:[1,1,0] neg_lo:[0,0,1] neg_hi:[0,0,1]
	v_mul_f32_e32 v112, v113, v120
	v_pk_add_f32 v[34:35], v[34:35], v[126:127] neg_lo:[0,1] neg_hi:[0,1]
	s_delay_alu instid0(VALU_DEP_2) | instskip(NEXT) | instid1(VALU_DEP_1)
	v_pk_fma_f32 v[110:111], v[110:111], v[6:7], v[112:113] op_sel_hi:[1,1,0]
	v_mov_b32_e32 v125, v111
	ds_load_2addr_b64 v[110:113], v114 offset0:48 offset1:49
	v_pk_add_f32 v[8:9], v[8:9], v[124:125] neg_lo:[0,1] neg_hi:[0,1]
	s_wait_dscnt 0x0
	v_pk_mul_f32 v[124:125], v[110:111], v[122:123] op_sel:[0,1]
	s_delay_alu instid0(VALU_DEP_1) | instskip(SKIP_1) | instid1(VALU_DEP_1)
	v_pk_fma_f32 v[126:127], v[110:111], v[120:121], v[124:125] op_sel:[0,0,1] op_sel_hi:[1,1,0] neg_lo:[0,0,1] neg_hi:[0,0,1]
	v_pk_fma_f32 v[110:111], v[110:111], v[120:121], v[124:125] op_sel:[0,0,1] op_sel_hi:[1,0,0]
	v_mov_b32_e32 v127, v111
	v_pk_mul_f32 v[110:111], v[112:113], v[122:123] op_sel:[0,1]
	s_delay_alu instid0(VALU_DEP_1) | instskip(SKIP_1) | instid1(VALU_DEP_1)
	v_pk_fma_f32 v[124:125], v[112:113], v[120:121], v[110:111] op_sel:[0,0,1] op_sel_hi:[1,1,0] neg_lo:[0,0,1] neg_hi:[0,0,1]
	v_pk_fma_f32 v[110:111], v[112:113], v[120:121], v[110:111] op_sel:[0,0,1] op_sel_hi:[1,0,0]
	v_mov_b32_e32 v125, v111
	ds_load_2addr_b64 v[110:113], v114 offset0:50 offset1:51
	v_pk_add_f32 v[28:29], v[28:29], v[126:127] neg_lo:[0,1] neg_hi:[0,1]
	v_pk_add_f32 v[16:17], v[16:17], v[124:125] neg_lo:[0,1] neg_hi:[0,1]
	s_wait_dscnt 0x0
	v_pk_mul_f32 v[124:125], v[110:111], v[122:123] op_sel:[0,1]
	s_delay_alu instid0(VALU_DEP_1) | instskip(SKIP_1) | instid1(VALU_DEP_1)
	v_pk_fma_f32 v[126:127], v[110:111], v[120:121], v[124:125] op_sel:[0,0,1] op_sel_hi:[1,1,0] neg_lo:[0,0,1] neg_hi:[0,0,1]
	v_pk_fma_f32 v[110:111], v[110:111], v[120:121], v[124:125] op_sel:[0,0,1] op_sel_hi:[1,0,0]
	v_mov_b32_e32 v127, v111
	v_pk_mul_f32 v[110:111], v[112:113], v[122:123] op_sel:[0,1]
	s_delay_alu instid0(VALU_DEP_1) | instskip(SKIP_1) | instid1(VALU_DEP_1)
	v_pk_fma_f32 v[122:123], v[112:113], v[120:121], v[110:111] op_sel:[0,0,1] op_sel_hi:[1,1,0] neg_lo:[0,0,1] neg_hi:[0,0,1]
	v_pk_fma_f32 v[110:111], v[112:113], v[120:121], v[110:111] op_sel:[0,0,1] op_sel_hi:[1,0,0]
	v_mov_b32_e32 v123, v111
	v_pk_add_f32 v[14:15], v[14:15], v[126:127] neg_lo:[0,1] neg_hi:[0,1]
	s_delay_alu instid0(VALU_DEP_2)
	v_pk_add_f32 v[108:109], v[108:109], v[122:123] neg_lo:[0,1] neg_hi:[0,1]
.LBB102_923:
	s_or_b32 exec_lo, exec_lo, s0
	v_lshl_add_u32 v110, v118, 3, v114
	s_barrier_signal -1
	s_barrier_wait -1
	ds_store_b64 v110, v[36:37]
	s_wait_dscnt 0x0
	s_barrier_signal -1
	s_barrier_wait -1
	ds_load_b64 v[110:111], v114 offset:352
	v_mov_b32_e32 v112, 44
	s_cmp_lt_i32 s18, 46
	s_cbranch_scc1 .LBB102_926
; %bb.924:
	v_add3_u32 v113, v115, 0, 0x168
	v_mov_b32_e32 v112, 44
	s_mov_b32 s0, 45
.LBB102_925:                            ; =>This Inner Loop Header: Depth=1
	ds_load_b64 v[120:121], v113
	s_wait_dscnt 0x1
	v_cmp_gt_f32_e32 vcc_lo, 0, v110
	v_cndmask_b32_e64 v122, v110, -v110, vcc_lo
	v_cmp_gt_f32_e32 vcc_lo, 0, v111
	v_cndmask_b32_e64 v124, v111, -v111, vcc_lo
	s_wait_dscnt 0x0
	v_cmp_gt_f32_e32 vcc_lo, 0, v120
	v_cndmask_b32_e64 v123, v120, -v120, vcc_lo
	v_cmp_gt_f32_e32 vcc_lo, 0, v121
	v_cndmask_b32_e64 v125, v121, -v121, vcc_lo
	s_delay_alu instid0(VALU_DEP_1) | instskip(NEXT) | instid1(VALU_DEP_1)
	v_pk_add_f32 v[122:123], v[122:123], v[124:125]
	v_cmp_lt_f32_e32 vcc_lo, v122, v123
	v_dual_cndmask_b32 v110, v110, v120 :: v_dual_add_nc_u32 v113, 8, v113
	v_cndmask_b32_e32 v111, v111, v121, vcc_lo
	v_cndmask_b32_e64 v112, v112, s0, vcc_lo
	s_add_co_i32 s0, s0, 1
	s_delay_alu instid0(SALU_CYCLE_1)
	s_cmp_lg_u32 s18, s0
	s_cbranch_scc1 .LBB102_925
.LBB102_926:
	s_wait_dscnt 0x0
	v_cmp_eq_f32_e32 vcc_lo, 0, v110
	v_cmp_eq_f32_e64 s0, 0, v111
	s_and_b32 s0, vcc_lo, s0
	s_delay_alu instid0(SALU_CYCLE_1) | instskip(NEXT) | instid1(SALU_CYCLE_1)
	s_and_saveexec_b32 s1, s0
	s_xor_b32 s0, exec_lo, s1
; %bb.927:
	v_cmp_ne_u32_e32 vcc_lo, 0, v116
	v_cndmask_b32_e32 v116, 45, v116, vcc_lo
; %bb.928:
	s_and_not1_saveexec_b32 s0, s0
	s_cbranch_execz .LBB102_934
; %bb.929:
	v_cmp_ngt_f32_e64 s1, |v110|, |v111|
	s_and_saveexec_b32 s12, s1
	s_delay_alu instid0(SALU_CYCLE_1)
	s_xor_b32 s1, exec_lo, s12
	s_cbranch_execz .LBB102_931
; %bb.930:
	v_div_scale_f32 v113, null, v111, v111, v110
	v_div_scale_f32 v121, vcc_lo, v110, v111, v110
	s_delay_alu instid0(VALU_DEP_2) | instskip(SKIP_1) | instid1(TRANS32_DEP_1)
	v_rcp_f32_e32 v119, v113
	v_nop
	v_fma_f32 v120, -v113, v119, 1.0
	s_delay_alu instid0(VALU_DEP_1) | instskip(NEXT) | instid1(VALU_DEP_1)
	v_fmac_f32_e32 v119, v120, v119
	v_mul_f32_e32 v120, v121, v119
	s_delay_alu instid0(VALU_DEP_1) | instskip(NEXT) | instid1(VALU_DEP_1)
	v_fma_f32 v122, -v113, v120, v121
	v_fmac_f32_e32 v120, v122, v119
	s_delay_alu instid0(VALU_DEP_1) | instskip(NEXT) | instid1(VALU_DEP_1)
	v_fma_f32 v113, -v113, v120, v121
	v_div_fmas_f32 v113, v113, v119, v120
	s_delay_alu instid0(VALU_DEP_1) | instskip(NEXT) | instid1(VALU_DEP_1)
	v_div_fixup_f32 v113, v113, v111, v110
	v_fmac_f32_e32 v111, v110, v113
	s_delay_alu instid0(VALU_DEP_1) | instskip(SKIP_1) | instid1(VALU_DEP_2)
	v_div_scale_f32 v110, null, v111, v111, 1.0
	v_div_scale_f32 v121, vcc_lo, 1.0, v111, 1.0
	v_rcp_f32_e32 v119, v110
	v_nop
	s_delay_alu instid0(TRANS32_DEP_1) | instskip(NEXT) | instid1(VALU_DEP_1)
	v_fma_f32 v120, -v110, v119, 1.0
	v_fmac_f32_e32 v119, v120, v119
	s_delay_alu instid0(VALU_DEP_1) | instskip(NEXT) | instid1(VALU_DEP_1)
	v_mul_f32_e32 v120, v121, v119
	v_fma_f32 v122, -v110, v120, v121
	s_delay_alu instid0(VALU_DEP_1) | instskip(NEXT) | instid1(VALU_DEP_1)
	v_fmac_f32_e32 v120, v122, v119
	v_fma_f32 v110, -v110, v120, v121
	s_delay_alu instid0(VALU_DEP_1) | instskip(NEXT) | instid1(VALU_DEP_1)
	v_div_fmas_f32 v110, v110, v119, v120
	v_div_fixup_f32 v111, v110, v111, 1.0
	s_delay_alu instid0(VALU_DEP_1)
	v_mul_f32_e32 v110, v113, v111
	v_xor_b32_e32 v111, 0x80000000, v111
.LBB102_931:
	s_and_not1_saveexec_b32 s1, s1
	s_cbranch_execz .LBB102_933
; %bb.932:
	s_delay_alu instid0(VALU_DEP_1) | instskip(SKIP_1) | instid1(VALU_DEP_2)
	v_div_scale_f32 v113, null, v110, v110, v111
	v_div_scale_f32 v121, vcc_lo, v111, v110, v111
	v_rcp_f32_e32 v119, v113
	v_nop
	s_delay_alu instid0(TRANS32_DEP_1) | instskip(NEXT) | instid1(VALU_DEP_1)
	v_fma_f32 v120, -v113, v119, 1.0
	v_fmac_f32_e32 v119, v120, v119
	s_delay_alu instid0(VALU_DEP_1) | instskip(NEXT) | instid1(VALU_DEP_1)
	v_mul_f32_e32 v120, v121, v119
	v_fma_f32 v122, -v113, v120, v121
	s_delay_alu instid0(VALU_DEP_1) | instskip(NEXT) | instid1(VALU_DEP_1)
	v_fmac_f32_e32 v120, v122, v119
	v_fma_f32 v113, -v113, v120, v121
	s_delay_alu instid0(VALU_DEP_1) | instskip(NEXT) | instid1(VALU_DEP_1)
	v_div_fmas_f32 v113, v113, v119, v120
	v_div_fixup_f32 v113, v113, v110, v111
	s_delay_alu instid0(VALU_DEP_1) | instskip(NEXT) | instid1(VALU_DEP_1)
	v_fmac_f32_e32 v110, v111, v113
	v_div_scale_f32 v111, null, v110, v110, 1.0
	s_delay_alu instid0(VALU_DEP_1) | instskip(SKIP_1) | instid1(TRANS32_DEP_1)
	v_rcp_f32_e32 v119, v111
	v_nop
	v_fma_f32 v120, -v111, v119, 1.0
	s_delay_alu instid0(VALU_DEP_1) | instskip(SKIP_1) | instid1(VALU_DEP_1)
	v_fmac_f32_e32 v119, v120, v119
	v_div_scale_f32 v120, vcc_lo, 1.0, v110, 1.0
	v_mul_f32_e32 v121, v120, v119
	s_delay_alu instid0(VALU_DEP_1) | instskip(NEXT) | instid1(VALU_DEP_1)
	v_fma_f32 v122, -v111, v121, v120
	v_fmac_f32_e32 v121, v122, v119
	s_delay_alu instid0(VALU_DEP_1) | instskip(NEXT) | instid1(VALU_DEP_1)
	v_fma_f32 v111, -v111, v121, v120
	v_div_fmas_f32 v111, v111, v119, v121
	s_delay_alu instid0(VALU_DEP_1) | instskip(NEXT) | instid1(VALU_DEP_1)
	v_div_fixup_f32 v110, v111, v110, 1.0
	v_mul_f32_e64 v111, v113, -v110
.LBB102_933:
	s_or_b32 exec_lo, exec_lo, s1
.LBB102_934:
	s_delay_alu instid0(SALU_CYCLE_1) | instskip(NEXT) | instid1(SALU_CYCLE_1)
	s_or_b32 exec_lo, exec_lo, s0
	s_mov_b32 s0, exec_lo
	v_cmpx_ne_u32_e64 v118, v112
	s_xor_b32 s0, exec_lo, s0
	s_cbranch_execz .LBB102_940
; %bb.935:
	s_mov_b32 s1, exec_lo
	v_cmpx_eq_u32_e32 44, v118
	s_cbranch_execz .LBB102_939
; %bb.936:
	v_cmp_ne_u32_e32 vcc_lo, 44, v112
	s_xor_b32 s12, s16, -1
	s_delay_alu instid0(SALU_CYCLE_1) | instskip(NEXT) | instid1(SALU_CYCLE_1)
	s_and_b32 s13, s12, vcc_lo
	s_and_saveexec_b32 s12, s13
	s_cbranch_execz .LBB102_938
; %bb.937:
	v_ashrrev_i32_e32 v113, 31, v112
	s_delay_alu instid0(VALU_DEP_1)
	v_lshl_add_u64 v[118:119], v[112:113], 2, v[4:5]
	s_clause 0x1
	global_load_b32 v113, v[118:119], off
	global_load_b32 v117, v[4:5], off offset:176
	s_wait_loadcnt 0x1
	global_store_b32 v[4:5], v113, off offset:176
	s_wait_loadcnt 0x0
	global_store_b32 v[118:119], v117, off
.LBB102_938:
	s_wait_xcnt 0x0
	s_or_b32 exec_lo, exec_lo, s12
	v_dual_mov_b32 v118, v112 :: v_dual_mov_b32 v117, v112
.LBB102_939:
	s_or_b32 exec_lo, exec_lo, s1
.LBB102_940:
	s_and_not1_saveexec_b32 s0, s0
	s_cbranch_execz .LBB102_942
; %bb.941:
	v_mov_b32_e32 v118, 44
	ds_store_2addr_b64 v114, v[30:31], v[34:35] offset0:45 offset1:46
	ds_store_2addr_b64 v114, v[8:9], v[28:29] offset0:47 offset1:48
	ds_store_2addr_b64 v114, v[16:17], v[14:15] offset0:49 offset1:50
	ds_store_b64 v114, v[108:109] offset:408
.LBB102_942:
	s_or_b32 exec_lo, exec_lo, s0
	s_delay_alu instid0(SALU_CYCLE_1)
	s_mov_b32 s0, exec_lo
	s_wait_storecnt_dscnt 0x0
	s_barrier_signal -1
	s_barrier_wait -1
	v_cmpx_lt_i32_e32 44, v118
	s_cbranch_execz .LBB102_944
; %bb.943:
	v_pk_mul_f32 v[112:113], v[110:111], v[36:37] op_sel:[1,1] op_sel_hi:[0,1]
	s_delay_alu instid0(VALU_DEP_1)
	v_pk_fma_f32 v[120:121], v[110:111], v[36:37], v[112:113] op_sel_hi:[1,0,1] neg_lo:[0,0,1] neg_hi:[0,0,1]
	v_pk_fma_f32 v[122:123], v[110:111], v[36:37], v[112:113] op_sel_hi:[1,0,1]
	ds_load_2addr_b64 v[110:113], v114 offset0:45 offset1:46
	v_dual_mov_b32 v36, v120 :: v_dual_mov_b32 v37, v123
	s_wait_dscnt 0x0
	v_pk_mul_f32 v[124:125], v[110:111], v[122:123] op_sel:[0,1]
	s_delay_alu instid0(VALU_DEP_1) | instskip(SKIP_1) | instid1(VALU_DEP_1)
	v_pk_fma_f32 v[126:127], v[110:111], v[120:121], v[124:125] op_sel:[0,0,1] op_sel_hi:[1,1,0] neg_lo:[0,0,1] neg_hi:[0,0,1]
	v_pk_fma_f32 v[110:111], v[110:111], v[120:121], v[124:125] op_sel:[0,0,1] op_sel_hi:[1,0,0]
	v_mov_b32_e32 v127, v111
	v_pk_mul_f32 v[110:111], v[112:113], v[122:123] op_sel:[0,1]
	s_delay_alu instid0(VALU_DEP_1) | instskip(SKIP_1) | instid1(VALU_DEP_1)
	v_pk_fma_f32 v[124:125], v[112:113], v[120:121], v[110:111] op_sel:[0,0,1] op_sel_hi:[1,1,0] neg_lo:[0,0,1] neg_hi:[0,0,1]
	v_pk_fma_f32 v[110:111], v[112:113], v[120:121], v[110:111] op_sel:[0,0,1] op_sel_hi:[1,0,0]
	v_mov_b32_e32 v125, v111
	ds_load_2addr_b64 v[110:113], v114 offset0:47 offset1:48
	v_pk_add_f32 v[30:31], v[30:31], v[126:127] neg_lo:[0,1] neg_hi:[0,1]
	v_pk_add_f32 v[34:35], v[34:35], v[124:125] neg_lo:[0,1] neg_hi:[0,1]
	s_wait_dscnt 0x0
	v_pk_mul_f32 v[124:125], v[110:111], v[122:123] op_sel:[0,1]
	s_delay_alu instid0(VALU_DEP_1) | instskip(SKIP_2) | instid1(VALU_DEP_2)
	v_pk_fma_f32 v[126:127], v[110:111], v[120:121], v[124:125] op_sel:[0,0,1] op_sel_hi:[1,1,0] neg_lo:[0,0,1] neg_hi:[0,0,1]
	v_pk_fma_f32 v[110:111], v[110:111], v[120:121], v[124:125] op_sel:[0,0,1] op_sel_hi:[1,0,0]
	v_dual_mul_f32 v124, v113, v123 :: v_dual_mov_b32 v110, v113
	v_dual_mov_b32 v127, v111 :: v_dual_mov_b32 v111, v112
	s_delay_alu instid0(VALU_DEP_2) | instskip(SKIP_1) | instid1(VALU_DEP_3)
	v_pk_fma_f32 v[124:125], v[112:113], v[36:37], v[124:125] op_sel_hi:[1,1,0] neg_lo:[0,0,1] neg_hi:[0,0,1]
	v_mul_f32_e32 v112, v113, v120
	v_pk_add_f32 v[8:9], v[8:9], v[126:127] neg_lo:[0,1] neg_hi:[0,1]
	s_delay_alu instid0(VALU_DEP_2) | instskip(NEXT) | instid1(VALU_DEP_1)
	v_pk_fma_f32 v[110:111], v[110:111], v[36:37], v[112:113] op_sel_hi:[1,1,0]
	v_mov_b32_e32 v125, v111
	ds_load_2addr_b64 v[110:113], v114 offset0:49 offset1:50
	v_pk_add_f32 v[28:29], v[28:29], v[124:125] neg_lo:[0,1] neg_hi:[0,1]
	s_wait_dscnt 0x0
	v_pk_mul_f32 v[124:125], v[110:111], v[122:123] op_sel:[0,1]
	s_delay_alu instid0(VALU_DEP_1) | instskip(SKIP_1) | instid1(VALU_DEP_1)
	v_pk_fma_f32 v[126:127], v[110:111], v[120:121], v[124:125] op_sel:[0,0,1] op_sel_hi:[1,1,0] neg_lo:[0,0,1] neg_hi:[0,0,1]
	v_pk_fma_f32 v[110:111], v[110:111], v[120:121], v[124:125] op_sel:[0,0,1] op_sel_hi:[1,0,0]
	v_mov_b32_e32 v127, v111
	v_pk_mul_f32 v[110:111], v[112:113], v[122:123] op_sel:[0,1]
	s_delay_alu instid0(VALU_DEP_1) | instskip(SKIP_1) | instid1(VALU_DEP_1)
	v_pk_fma_f32 v[124:125], v[112:113], v[120:121], v[110:111] op_sel:[0,0,1] op_sel_hi:[1,1,0] neg_lo:[0,0,1] neg_hi:[0,0,1]
	v_pk_fma_f32 v[110:111], v[112:113], v[120:121], v[110:111] op_sel:[0,0,1] op_sel_hi:[1,0,0]
	v_mov_b32_e32 v125, v111
	ds_load_b64 v[110:111], v114 offset:408
	v_pk_add_f32 v[16:17], v[16:17], v[126:127] neg_lo:[0,1] neg_hi:[0,1]
	v_pk_add_f32 v[14:15], v[14:15], v[124:125] neg_lo:[0,1] neg_hi:[0,1]
	s_wait_dscnt 0x0
	v_pk_mul_f32 v[112:113], v[110:111], v[122:123] op_sel:[0,1]
	s_delay_alu instid0(VALU_DEP_1) | instskip(SKIP_1) | instid1(VALU_DEP_1)
	v_pk_fma_f32 v[122:123], v[110:111], v[120:121], v[112:113] op_sel:[0,0,1] op_sel_hi:[1,1,0] neg_lo:[0,0,1] neg_hi:[0,0,1]
	v_pk_fma_f32 v[110:111], v[110:111], v[120:121], v[112:113] op_sel:[0,0,1] op_sel_hi:[1,0,0]
	v_mov_b32_e32 v123, v111
	s_delay_alu instid0(VALU_DEP_1)
	v_pk_add_f32 v[108:109], v[108:109], v[122:123] neg_lo:[0,1] neg_hi:[0,1]
.LBB102_944:
	s_or_b32 exec_lo, exec_lo, s0
	v_lshl_add_u32 v110, v118, 3, v114
	s_barrier_signal -1
	s_barrier_wait -1
	ds_store_b64 v110, v[30:31]
	s_wait_dscnt 0x0
	s_barrier_signal -1
	s_barrier_wait -1
	ds_load_b64 v[110:111], v114 offset:360
	v_mov_b32_e32 v112, 45
	s_cmp_lt_i32 s18, 47
	s_cbranch_scc1 .LBB102_947
; %bb.945:
	v_add3_u32 v113, v115, 0, 0x170
	v_mov_b32_e32 v112, 45
	s_mov_b32 s0, 46
.LBB102_946:                            ; =>This Inner Loop Header: Depth=1
	ds_load_b64 v[120:121], v113
	s_wait_dscnt 0x1
	v_cmp_gt_f32_e32 vcc_lo, 0, v110
	v_cndmask_b32_e64 v122, v110, -v110, vcc_lo
	v_cmp_gt_f32_e32 vcc_lo, 0, v111
	v_cndmask_b32_e64 v124, v111, -v111, vcc_lo
	s_wait_dscnt 0x0
	v_cmp_gt_f32_e32 vcc_lo, 0, v120
	v_cndmask_b32_e64 v123, v120, -v120, vcc_lo
	v_cmp_gt_f32_e32 vcc_lo, 0, v121
	v_cndmask_b32_e64 v125, v121, -v121, vcc_lo
	s_delay_alu instid0(VALU_DEP_1) | instskip(NEXT) | instid1(VALU_DEP_1)
	v_pk_add_f32 v[122:123], v[122:123], v[124:125]
	v_cmp_lt_f32_e32 vcc_lo, v122, v123
	v_dual_cndmask_b32 v110, v110, v120 :: v_dual_add_nc_u32 v113, 8, v113
	v_cndmask_b32_e32 v111, v111, v121, vcc_lo
	v_cndmask_b32_e64 v112, v112, s0, vcc_lo
	s_add_co_i32 s0, s0, 1
	s_delay_alu instid0(SALU_CYCLE_1)
	s_cmp_lg_u32 s18, s0
	s_cbranch_scc1 .LBB102_946
.LBB102_947:
	s_wait_dscnt 0x0
	v_cmp_eq_f32_e32 vcc_lo, 0, v110
	v_cmp_eq_f32_e64 s0, 0, v111
	s_and_b32 s0, vcc_lo, s0
	s_delay_alu instid0(SALU_CYCLE_1) | instskip(NEXT) | instid1(SALU_CYCLE_1)
	s_and_saveexec_b32 s1, s0
	s_xor_b32 s0, exec_lo, s1
; %bb.948:
	v_cmp_ne_u32_e32 vcc_lo, 0, v116
	v_cndmask_b32_e32 v116, 46, v116, vcc_lo
; %bb.949:
	s_and_not1_saveexec_b32 s0, s0
	s_cbranch_execz .LBB102_955
; %bb.950:
	v_cmp_ngt_f32_e64 s1, |v110|, |v111|
	s_and_saveexec_b32 s12, s1
	s_delay_alu instid0(SALU_CYCLE_1)
	s_xor_b32 s1, exec_lo, s12
	s_cbranch_execz .LBB102_952
; %bb.951:
	v_div_scale_f32 v113, null, v111, v111, v110
	v_div_scale_f32 v121, vcc_lo, v110, v111, v110
	s_delay_alu instid0(VALU_DEP_2) | instskip(SKIP_1) | instid1(TRANS32_DEP_1)
	v_rcp_f32_e32 v119, v113
	v_nop
	v_fma_f32 v120, -v113, v119, 1.0
	s_delay_alu instid0(VALU_DEP_1) | instskip(NEXT) | instid1(VALU_DEP_1)
	v_fmac_f32_e32 v119, v120, v119
	v_mul_f32_e32 v120, v121, v119
	s_delay_alu instid0(VALU_DEP_1) | instskip(NEXT) | instid1(VALU_DEP_1)
	v_fma_f32 v122, -v113, v120, v121
	v_fmac_f32_e32 v120, v122, v119
	s_delay_alu instid0(VALU_DEP_1) | instskip(NEXT) | instid1(VALU_DEP_1)
	v_fma_f32 v113, -v113, v120, v121
	v_div_fmas_f32 v113, v113, v119, v120
	s_delay_alu instid0(VALU_DEP_1) | instskip(NEXT) | instid1(VALU_DEP_1)
	v_div_fixup_f32 v113, v113, v111, v110
	v_fmac_f32_e32 v111, v110, v113
	s_delay_alu instid0(VALU_DEP_1) | instskip(SKIP_1) | instid1(VALU_DEP_2)
	v_div_scale_f32 v110, null, v111, v111, 1.0
	v_div_scale_f32 v121, vcc_lo, 1.0, v111, 1.0
	v_rcp_f32_e32 v119, v110
	v_nop
	s_delay_alu instid0(TRANS32_DEP_1) | instskip(NEXT) | instid1(VALU_DEP_1)
	v_fma_f32 v120, -v110, v119, 1.0
	v_fmac_f32_e32 v119, v120, v119
	s_delay_alu instid0(VALU_DEP_1) | instskip(NEXT) | instid1(VALU_DEP_1)
	v_mul_f32_e32 v120, v121, v119
	v_fma_f32 v122, -v110, v120, v121
	s_delay_alu instid0(VALU_DEP_1) | instskip(NEXT) | instid1(VALU_DEP_1)
	v_fmac_f32_e32 v120, v122, v119
	v_fma_f32 v110, -v110, v120, v121
	s_delay_alu instid0(VALU_DEP_1) | instskip(NEXT) | instid1(VALU_DEP_1)
	v_div_fmas_f32 v110, v110, v119, v120
	v_div_fixup_f32 v111, v110, v111, 1.0
	s_delay_alu instid0(VALU_DEP_1)
	v_mul_f32_e32 v110, v113, v111
	v_xor_b32_e32 v111, 0x80000000, v111
.LBB102_952:
	s_and_not1_saveexec_b32 s1, s1
	s_cbranch_execz .LBB102_954
; %bb.953:
	s_delay_alu instid0(VALU_DEP_1) | instskip(SKIP_1) | instid1(VALU_DEP_2)
	v_div_scale_f32 v113, null, v110, v110, v111
	v_div_scale_f32 v121, vcc_lo, v111, v110, v111
	v_rcp_f32_e32 v119, v113
	v_nop
	s_delay_alu instid0(TRANS32_DEP_1) | instskip(NEXT) | instid1(VALU_DEP_1)
	v_fma_f32 v120, -v113, v119, 1.0
	v_fmac_f32_e32 v119, v120, v119
	s_delay_alu instid0(VALU_DEP_1) | instskip(NEXT) | instid1(VALU_DEP_1)
	v_mul_f32_e32 v120, v121, v119
	v_fma_f32 v122, -v113, v120, v121
	s_delay_alu instid0(VALU_DEP_1) | instskip(NEXT) | instid1(VALU_DEP_1)
	v_fmac_f32_e32 v120, v122, v119
	v_fma_f32 v113, -v113, v120, v121
	s_delay_alu instid0(VALU_DEP_1) | instskip(NEXT) | instid1(VALU_DEP_1)
	v_div_fmas_f32 v113, v113, v119, v120
	v_div_fixup_f32 v113, v113, v110, v111
	s_delay_alu instid0(VALU_DEP_1) | instskip(NEXT) | instid1(VALU_DEP_1)
	v_fmac_f32_e32 v110, v111, v113
	v_div_scale_f32 v111, null, v110, v110, 1.0
	s_delay_alu instid0(VALU_DEP_1) | instskip(SKIP_1) | instid1(TRANS32_DEP_1)
	v_rcp_f32_e32 v119, v111
	v_nop
	v_fma_f32 v120, -v111, v119, 1.0
	s_delay_alu instid0(VALU_DEP_1) | instskip(SKIP_1) | instid1(VALU_DEP_1)
	v_fmac_f32_e32 v119, v120, v119
	v_div_scale_f32 v120, vcc_lo, 1.0, v110, 1.0
	v_mul_f32_e32 v121, v120, v119
	s_delay_alu instid0(VALU_DEP_1) | instskip(NEXT) | instid1(VALU_DEP_1)
	v_fma_f32 v122, -v111, v121, v120
	v_fmac_f32_e32 v121, v122, v119
	s_delay_alu instid0(VALU_DEP_1) | instskip(NEXT) | instid1(VALU_DEP_1)
	v_fma_f32 v111, -v111, v121, v120
	v_div_fmas_f32 v111, v111, v119, v121
	s_delay_alu instid0(VALU_DEP_1) | instskip(NEXT) | instid1(VALU_DEP_1)
	v_div_fixup_f32 v110, v111, v110, 1.0
	v_mul_f32_e64 v111, v113, -v110
.LBB102_954:
	s_or_b32 exec_lo, exec_lo, s1
.LBB102_955:
	s_delay_alu instid0(SALU_CYCLE_1) | instskip(NEXT) | instid1(SALU_CYCLE_1)
	s_or_b32 exec_lo, exec_lo, s0
	s_mov_b32 s0, exec_lo
	v_cmpx_ne_u32_e64 v118, v112
	s_xor_b32 s0, exec_lo, s0
	s_cbranch_execz .LBB102_961
; %bb.956:
	s_mov_b32 s1, exec_lo
	v_cmpx_eq_u32_e32 45, v118
	s_cbranch_execz .LBB102_960
; %bb.957:
	v_cmp_ne_u32_e32 vcc_lo, 45, v112
	s_xor_b32 s12, s16, -1
	s_delay_alu instid0(SALU_CYCLE_1) | instskip(NEXT) | instid1(SALU_CYCLE_1)
	s_and_b32 s13, s12, vcc_lo
	s_and_saveexec_b32 s12, s13
	s_cbranch_execz .LBB102_959
; %bb.958:
	v_ashrrev_i32_e32 v113, 31, v112
	s_delay_alu instid0(VALU_DEP_1)
	v_lshl_add_u64 v[118:119], v[112:113], 2, v[4:5]
	s_clause 0x1
	global_load_b32 v113, v[118:119], off
	global_load_b32 v117, v[4:5], off offset:180
	s_wait_loadcnt 0x1
	global_store_b32 v[4:5], v113, off offset:180
	s_wait_loadcnt 0x0
	global_store_b32 v[118:119], v117, off
.LBB102_959:
	s_wait_xcnt 0x0
	s_or_b32 exec_lo, exec_lo, s12
	v_dual_mov_b32 v118, v112 :: v_dual_mov_b32 v117, v112
.LBB102_960:
	s_or_b32 exec_lo, exec_lo, s1
.LBB102_961:
	s_and_not1_saveexec_b32 s0, s0
	s_cbranch_execz .LBB102_963
; %bb.962:
	v_dual_mov_b32 v112, v34 :: v_dual_mov_b32 v113, v35
	v_dual_mov_b32 v120, v8 :: v_dual_mov_b32 v121, v9
	;; [unrolled: 1-line block ×5, first 2 shown]
	v_mov_b32_e32 v127, v15
	ds_store_2addr_b64 v114, v[112:113], v[120:121] offset0:46 offset1:47
	ds_store_2addr_b64 v114, v[122:123], v[124:125] offset0:48 offset1:49
	;; [unrolled: 1-line block ×3, first 2 shown]
.LBB102_963:
	s_or_b32 exec_lo, exec_lo, s0
	s_delay_alu instid0(SALU_CYCLE_1)
	s_mov_b32 s0, exec_lo
	s_wait_storecnt_dscnt 0x0
	s_barrier_signal -1
	s_barrier_wait -1
	v_cmpx_lt_i32_e32 45, v118
	s_cbranch_execz .LBB102_965
; %bb.964:
	v_pk_mul_f32 v[112:113], v[110:111], v[30:31] op_sel:[1,1] op_sel_hi:[0,1]
	s_delay_alu instid0(VALU_DEP_1)
	v_pk_fma_f32 v[120:121], v[110:111], v[30:31], v[112:113] op_sel_hi:[1,0,1] neg_lo:[0,0,1] neg_hi:[0,0,1]
	v_pk_fma_f32 v[122:123], v[110:111], v[30:31], v[112:113] op_sel_hi:[1,0,1]
	ds_load_2addr_b64 v[110:113], v114 offset0:46 offset1:47
	v_dual_mov_b32 v30, v120 :: v_dual_mov_b32 v31, v123
	s_wait_dscnt 0x0
	v_pk_mul_f32 v[124:125], v[110:111], v[122:123] op_sel:[0,1]
	s_delay_alu instid0(VALU_DEP_1) | instskip(SKIP_1) | instid1(VALU_DEP_1)
	v_pk_fma_f32 v[126:127], v[110:111], v[120:121], v[124:125] op_sel:[0,0,1] op_sel_hi:[1,1,0] neg_lo:[0,0,1] neg_hi:[0,0,1]
	v_pk_fma_f32 v[110:111], v[110:111], v[120:121], v[124:125] op_sel:[0,0,1] op_sel_hi:[1,0,0]
	v_mov_b32_e32 v127, v111
	v_pk_mul_f32 v[110:111], v[112:113], v[122:123] op_sel:[0,1]
	s_delay_alu instid0(VALU_DEP_1) | instskip(SKIP_1) | instid1(VALU_DEP_1)
	v_pk_fma_f32 v[124:125], v[112:113], v[120:121], v[110:111] op_sel:[0,0,1] op_sel_hi:[1,1,0] neg_lo:[0,0,1] neg_hi:[0,0,1]
	v_pk_fma_f32 v[110:111], v[112:113], v[120:121], v[110:111] op_sel:[0,0,1] op_sel_hi:[1,0,0]
	v_mov_b32_e32 v125, v111
	ds_load_2addr_b64 v[110:113], v114 offset0:48 offset1:49
	v_pk_add_f32 v[34:35], v[34:35], v[126:127] neg_lo:[0,1] neg_hi:[0,1]
	v_pk_add_f32 v[8:9], v[8:9], v[124:125] neg_lo:[0,1] neg_hi:[0,1]
	s_wait_dscnt 0x0
	v_pk_mul_f32 v[124:125], v[110:111], v[122:123] op_sel:[0,1]
	s_delay_alu instid0(VALU_DEP_1) | instskip(SKIP_2) | instid1(VALU_DEP_2)
	v_pk_fma_f32 v[126:127], v[110:111], v[120:121], v[124:125] op_sel:[0,0,1] op_sel_hi:[1,1,0] neg_lo:[0,0,1] neg_hi:[0,0,1]
	v_pk_fma_f32 v[110:111], v[110:111], v[120:121], v[124:125] op_sel:[0,0,1] op_sel_hi:[1,0,0]
	v_dual_mul_f32 v124, v113, v123 :: v_dual_mov_b32 v110, v113
	v_dual_mov_b32 v127, v111 :: v_dual_mov_b32 v111, v112
	s_delay_alu instid0(VALU_DEP_2) | instskip(SKIP_1) | instid1(VALU_DEP_3)
	v_pk_fma_f32 v[124:125], v[112:113], v[30:31], v[124:125] op_sel_hi:[1,1,0] neg_lo:[0,0,1] neg_hi:[0,0,1]
	v_mul_f32_e32 v112, v113, v120
	v_pk_add_f32 v[28:29], v[28:29], v[126:127] neg_lo:[0,1] neg_hi:[0,1]
	s_delay_alu instid0(VALU_DEP_2) | instskip(NEXT) | instid1(VALU_DEP_1)
	v_pk_fma_f32 v[110:111], v[110:111], v[30:31], v[112:113] op_sel_hi:[1,1,0]
	v_mov_b32_e32 v125, v111
	ds_load_2addr_b64 v[110:113], v114 offset0:50 offset1:51
	v_pk_add_f32 v[16:17], v[16:17], v[124:125] neg_lo:[0,1] neg_hi:[0,1]
	s_wait_dscnt 0x0
	v_pk_mul_f32 v[124:125], v[110:111], v[122:123] op_sel:[0,1]
	v_mul_f32_e32 v122, v113, v123
	s_delay_alu instid0(VALU_DEP_2) | instskip(SKIP_2) | instid1(VALU_DEP_4)
	v_pk_fma_f32 v[126:127], v[110:111], v[120:121], v[124:125] op_sel:[0,0,1] op_sel_hi:[1,1,0] neg_lo:[0,0,1] neg_hi:[0,0,1]
	v_pk_fma_f32 v[110:111], v[110:111], v[120:121], v[124:125] op_sel:[0,0,1] op_sel_hi:[1,0,0]
	v_mov_b32_e32 v110, v113
	v_pk_fma_f32 v[122:123], v[112:113], v[30:31], v[122:123] op_sel_hi:[1,1,0] neg_lo:[0,0,1] neg_hi:[0,0,1]
	s_delay_alu instid0(VALU_DEP_3) | instskip(SKIP_1) | instid1(VALU_DEP_2)
	v_dual_mov_b32 v127, v111 :: v_dual_mov_b32 v111, v112
	v_mul_f32_e32 v112, v113, v120
	v_pk_add_f32 v[14:15], v[14:15], v[126:127] neg_lo:[0,1] neg_hi:[0,1]
	s_delay_alu instid0(VALU_DEP_2) | instskip(NEXT) | instid1(VALU_DEP_1)
	v_pk_fma_f32 v[110:111], v[110:111], v[30:31], v[112:113] op_sel_hi:[1,1,0]
	v_mov_b32_e32 v123, v111
	s_delay_alu instid0(VALU_DEP_1)
	v_pk_add_f32 v[108:109], v[108:109], v[122:123] neg_lo:[0,1] neg_hi:[0,1]
.LBB102_965:
	s_or_b32 exec_lo, exec_lo, s0
	v_lshl_add_u32 v110, v118, 3, v114
	s_barrier_signal -1
	s_barrier_wait -1
	ds_store_b64 v110, v[34:35]
	s_wait_dscnt 0x0
	s_barrier_signal -1
	s_barrier_wait -1
	ds_load_b64 v[110:111], v114 offset:368
	v_mov_b32_e32 v112, 46
	s_cmp_lt_i32 s18, 48
	s_cbranch_scc1 .LBB102_968
; %bb.966:
	v_add3_u32 v113, v115, 0, 0x178
	v_mov_b32_e32 v112, 46
	s_mov_b32 s0, 47
.LBB102_967:                            ; =>This Inner Loop Header: Depth=1
	ds_load_b64 v[120:121], v113
	s_wait_dscnt 0x1
	v_cmp_gt_f32_e32 vcc_lo, 0, v110
	v_cndmask_b32_e64 v122, v110, -v110, vcc_lo
	v_cmp_gt_f32_e32 vcc_lo, 0, v111
	v_cndmask_b32_e64 v124, v111, -v111, vcc_lo
	s_wait_dscnt 0x0
	v_cmp_gt_f32_e32 vcc_lo, 0, v120
	v_cndmask_b32_e64 v123, v120, -v120, vcc_lo
	v_cmp_gt_f32_e32 vcc_lo, 0, v121
	v_cndmask_b32_e64 v125, v121, -v121, vcc_lo
	s_delay_alu instid0(VALU_DEP_1) | instskip(NEXT) | instid1(VALU_DEP_1)
	v_pk_add_f32 v[122:123], v[122:123], v[124:125]
	v_cmp_lt_f32_e32 vcc_lo, v122, v123
	v_dual_cndmask_b32 v110, v110, v120 :: v_dual_add_nc_u32 v113, 8, v113
	v_cndmask_b32_e32 v111, v111, v121, vcc_lo
	v_cndmask_b32_e64 v112, v112, s0, vcc_lo
	s_add_co_i32 s0, s0, 1
	s_delay_alu instid0(SALU_CYCLE_1)
	s_cmp_lg_u32 s18, s0
	s_cbranch_scc1 .LBB102_967
.LBB102_968:
	s_wait_dscnt 0x0
	v_cmp_eq_f32_e32 vcc_lo, 0, v110
	v_cmp_eq_f32_e64 s0, 0, v111
	s_and_b32 s0, vcc_lo, s0
	s_delay_alu instid0(SALU_CYCLE_1) | instskip(NEXT) | instid1(SALU_CYCLE_1)
	s_and_saveexec_b32 s1, s0
	s_xor_b32 s0, exec_lo, s1
; %bb.969:
	v_cmp_ne_u32_e32 vcc_lo, 0, v116
	v_cndmask_b32_e32 v116, 47, v116, vcc_lo
; %bb.970:
	s_and_not1_saveexec_b32 s0, s0
	s_cbranch_execz .LBB102_976
; %bb.971:
	v_cmp_ngt_f32_e64 s1, |v110|, |v111|
	s_and_saveexec_b32 s12, s1
	s_delay_alu instid0(SALU_CYCLE_1)
	s_xor_b32 s1, exec_lo, s12
	s_cbranch_execz .LBB102_973
; %bb.972:
	v_div_scale_f32 v113, null, v111, v111, v110
	v_div_scale_f32 v121, vcc_lo, v110, v111, v110
	s_delay_alu instid0(VALU_DEP_2) | instskip(SKIP_1) | instid1(TRANS32_DEP_1)
	v_rcp_f32_e32 v119, v113
	v_nop
	v_fma_f32 v120, -v113, v119, 1.0
	s_delay_alu instid0(VALU_DEP_1) | instskip(NEXT) | instid1(VALU_DEP_1)
	v_fmac_f32_e32 v119, v120, v119
	v_mul_f32_e32 v120, v121, v119
	s_delay_alu instid0(VALU_DEP_1) | instskip(NEXT) | instid1(VALU_DEP_1)
	v_fma_f32 v122, -v113, v120, v121
	v_fmac_f32_e32 v120, v122, v119
	s_delay_alu instid0(VALU_DEP_1) | instskip(NEXT) | instid1(VALU_DEP_1)
	v_fma_f32 v113, -v113, v120, v121
	v_div_fmas_f32 v113, v113, v119, v120
	s_delay_alu instid0(VALU_DEP_1) | instskip(NEXT) | instid1(VALU_DEP_1)
	v_div_fixup_f32 v113, v113, v111, v110
	v_fmac_f32_e32 v111, v110, v113
	s_delay_alu instid0(VALU_DEP_1) | instskip(SKIP_1) | instid1(VALU_DEP_2)
	v_div_scale_f32 v110, null, v111, v111, 1.0
	v_div_scale_f32 v121, vcc_lo, 1.0, v111, 1.0
	v_rcp_f32_e32 v119, v110
	v_nop
	s_delay_alu instid0(TRANS32_DEP_1) | instskip(NEXT) | instid1(VALU_DEP_1)
	v_fma_f32 v120, -v110, v119, 1.0
	v_fmac_f32_e32 v119, v120, v119
	s_delay_alu instid0(VALU_DEP_1) | instskip(NEXT) | instid1(VALU_DEP_1)
	v_mul_f32_e32 v120, v121, v119
	v_fma_f32 v122, -v110, v120, v121
	s_delay_alu instid0(VALU_DEP_1) | instskip(NEXT) | instid1(VALU_DEP_1)
	v_fmac_f32_e32 v120, v122, v119
	v_fma_f32 v110, -v110, v120, v121
	s_delay_alu instid0(VALU_DEP_1) | instskip(NEXT) | instid1(VALU_DEP_1)
	v_div_fmas_f32 v110, v110, v119, v120
	v_div_fixup_f32 v111, v110, v111, 1.0
	s_delay_alu instid0(VALU_DEP_1)
	v_mul_f32_e32 v110, v113, v111
	v_xor_b32_e32 v111, 0x80000000, v111
.LBB102_973:
	s_and_not1_saveexec_b32 s1, s1
	s_cbranch_execz .LBB102_975
; %bb.974:
	s_delay_alu instid0(VALU_DEP_1) | instskip(SKIP_1) | instid1(VALU_DEP_2)
	v_div_scale_f32 v113, null, v110, v110, v111
	v_div_scale_f32 v121, vcc_lo, v111, v110, v111
	v_rcp_f32_e32 v119, v113
	v_nop
	s_delay_alu instid0(TRANS32_DEP_1) | instskip(NEXT) | instid1(VALU_DEP_1)
	v_fma_f32 v120, -v113, v119, 1.0
	v_fmac_f32_e32 v119, v120, v119
	s_delay_alu instid0(VALU_DEP_1) | instskip(NEXT) | instid1(VALU_DEP_1)
	v_mul_f32_e32 v120, v121, v119
	v_fma_f32 v122, -v113, v120, v121
	s_delay_alu instid0(VALU_DEP_1) | instskip(NEXT) | instid1(VALU_DEP_1)
	v_fmac_f32_e32 v120, v122, v119
	v_fma_f32 v113, -v113, v120, v121
	s_delay_alu instid0(VALU_DEP_1) | instskip(NEXT) | instid1(VALU_DEP_1)
	v_div_fmas_f32 v113, v113, v119, v120
	v_div_fixup_f32 v113, v113, v110, v111
	s_delay_alu instid0(VALU_DEP_1) | instskip(NEXT) | instid1(VALU_DEP_1)
	v_fmac_f32_e32 v110, v111, v113
	v_div_scale_f32 v111, null, v110, v110, 1.0
	s_delay_alu instid0(VALU_DEP_1) | instskip(SKIP_1) | instid1(TRANS32_DEP_1)
	v_rcp_f32_e32 v119, v111
	v_nop
	v_fma_f32 v120, -v111, v119, 1.0
	s_delay_alu instid0(VALU_DEP_1) | instskip(SKIP_1) | instid1(VALU_DEP_1)
	v_fmac_f32_e32 v119, v120, v119
	v_div_scale_f32 v120, vcc_lo, 1.0, v110, 1.0
	v_mul_f32_e32 v121, v120, v119
	s_delay_alu instid0(VALU_DEP_1) | instskip(NEXT) | instid1(VALU_DEP_1)
	v_fma_f32 v122, -v111, v121, v120
	v_fmac_f32_e32 v121, v122, v119
	s_delay_alu instid0(VALU_DEP_1) | instskip(NEXT) | instid1(VALU_DEP_1)
	v_fma_f32 v111, -v111, v121, v120
	v_div_fmas_f32 v111, v111, v119, v121
	s_delay_alu instid0(VALU_DEP_1) | instskip(NEXT) | instid1(VALU_DEP_1)
	v_div_fixup_f32 v110, v111, v110, 1.0
	v_mul_f32_e64 v111, v113, -v110
.LBB102_975:
	s_or_b32 exec_lo, exec_lo, s1
.LBB102_976:
	s_delay_alu instid0(SALU_CYCLE_1) | instskip(NEXT) | instid1(SALU_CYCLE_1)
	s_or_b32 exec_lo, exec_lo, s0
	s_mov_b32 s0, exec_lo
	v_cmpx_ne_u32_e64 v118, v112
	s_xor_b32 s0, exec_lo, s0
	s_cbranch_execz .LBB102_982
; %bb.977:
	s_mov_b32 s1, exec_lo
	v_cmpx_eq_u32_e32 46, v118
	s_cbranch_execz .LBB102_981
; %bb.978:
	v_cmp_ne_u32_e32 vcc_lo, 46, v112
	s_xor_b32 s12, s16, -1
	s_delay_alu instid0(SALU_CYCLE_1) | instskip(NEXT) | instid1(SALU_CYCLE_1)
	s_and_b32 s13, s12, vcc_lo
	s_and_saveexec_b32 s12, s13
	s_cbranch_execz .LBB102_980
; %bb.979:
	v_ashrrev_i32_e32 v113, 31, v112
	s_delay_alu instid0(VALU_DEP_1)
	v_lshl_add_u64 v[118:119], v[112:113], 2, v[4:5]
	s_clause 0x1
	global_load_b32 v113, v[118:119], off
	global_load_b32 v117, v[4:5], off offset:184
	s_wait_loadcnt 0x1
	global_store_b32 v[4:5], v113, off offset:184
	s_wait_loadcnt 0x0
	global_store_b32 v[118:119], v117, off
.LBB102_980:
	s_wait_xcnt 0x0
	s_or_b32 exec_lo, exec_lo, s12
	v_dual_mov_b32 v118, v112 :: v_dual_mov_b32 v117, v112
.LBB102_981:
	s_or_b32 exec_lo, exec_lo, s1
.LBB102_982:
	s_and_not1_saveexec_b32 s0, s0
	s_cbranch_execz .LBB102_984
; %bb.983:
	v_mov_b32_e32 v118, 46
	ds_store_2addr_b64 v114, v[8:9], v[28:29] offset0:47 offset1:48
	ds_store_2addr_b64 v114, v[16:17], v[14:15] offset0:49 offset1:50
	ds_store_b64 v114, v[108:109] offset:408
.LBB102_984:
	s_or_b32 exec_lo, exec_lo, s0
	s_delay_alu instid0(SALU_CYCLE_1)
	s_mov_b32 s0, exec_lo
	s_wait_storecnt_dscnt 0x0
	s_barrier_signal -1
	s_barrier_wait -1
	v_cmpx_lt_i32_e32 46, v118
	s_cbranch_execz .LBB102_986
; %bb.985:
	ds_load_2addr_b64 v[120:123], v114 offset0:47 offset1:48
	ds_load_2addr_b64 v[124:127], v114 offset0:49 offset1:50
	ds_load_b64 v[112:113], v114 offset:408
	v_pk_mul_f32 v[128:129], v[110:111], v[34:35] op_sel:[1,1] op_sel_hi:[0,1]
	s_delay_alu instid0(VALU_DEP_1) | instskip(SKIP_1) | instid1(VALU_DEP_1)
	v_pk_fma_f32 v[130:131], v[110:111], v[34:35], v[128:129] op_sel_hi:[1,0,1] neg_lo:[0,0,1] neg_hi:[0,0,1]
	v_pk_fma_f32 v[110:111], v[110:111], v[34:35], v[128:129] op_sel_hi:[1,0,1]
	v_dual_mov_b32 v34, v130 :: v_dual_mov_b32 v35, v111
	s_wait_dscnt 0x2
	s_delay_alu instid0(VALU_DEP_2)
	v_pk_mul_f32 v[128:129], v[120:121], v[110:111] op_sel:[0,1]
	v_pk_mul_f32 v[132:133], v[122:123], v[110:111] op_sel:[0,1]
	s_wait_dscnt 0x1
	v_pk_mul_f32 v[134:135], v[124:125], v[110:111] op_sel:[0,1]
	v_dual_mov_b32 v136, v127 :: v_dual_mov_b32 v137, v126
	v_dual_mul_f32 v138, v127, v111 :: v_dual_mul_f32 v140, v127, v130
	s_wait_dscnt 0x0
	v_pk_mul_f32 v[110:111], v[112:113], v[110:111] op_sel:[0,1]
	v_pk_fma_f32 v[142:143], v[120:121], v[130:131], v[128:129] op_sel:[0,0,1] op_sel_hi:[1,1,0] neg_lo:[0,0,1] neg_hi:[0,0,1]
	v_pk_fma_f32 v[120:121], v[120:121], v[130:131], v[128:129] op_sel:[0,0,1] op_sel_hi:[1,0,0]
	v_pk_fma_f32 v[128:129], v[122:123], v[130:131], v[132:133] op_sel:[0,0,1] op_sel_hi:[1,1,0] neg_lo:[0,0,1] neg_hi:[0,0,1]
	v_pk_fma_f32 v[122:123], v[122:123], v[130:131], v[132:133] op_sel:[0,0,1] op_sel_hi:[1,0,0]
	;; [unrolled: 2-line block ×3, first 2 shown]
	v_pk_fma_f32 v[134:135], v[136:137], v[34:35], v[140:141] op_sel_hi:[1,1,0]
	v_pk_fma_f32 v[136:137], v[112:113], v[130:131], v[110:111] op_sel:[0,0,1] op_sel_hi:[1,1,0] neg_lo:[0,0,1] neg_hi:[0,0,1]
	v_pk_fma_f32 v[110:111], v[112:113], v[130:131], v[110:111] op_sel:[0,0,1] op_sel_hi:[1,0,0]
	v_pk_fma_f32 v[126:127], v[126:127], v[34:35], v[138:139] op_sel_hi:[1,1,0] neg_lo:[0,0,1] neg_hi:[0,0,1]
	v_dual_mov_b32 v143, v121 :: v_dual_mov_b32 v129, v123
	v_dual_mov_b32 v133, v125 :: v_dual_mov_b32 v127, v135
	s_delay_alu instid0(VALU_DEP_4) | instskip(NEXT) | instid1(VALU_DEP_3)
	v_mov_b32_e32 v137, v111
	v_pk_add_f32 v[8:9], v[8:9], v[142:143] neg_lo:[0,1] neg_hi:[0,1]
	s_delay_alu instid0(VALU_DEP_4) | instskip(NEXT) | instid1(VALU_DEP_4)
	v_pk_add_f32 v[28:29], v[28:29], v[128:129] neg_lo:[0,1] neg_hi:[0,1]
	v_pk_add_f32 v[16:17], v[16:17], v[132:133] neg_lo:[0,1] neg_hi:[0,1]
	;; [unrolled: 1-line block ×4, first 2 shown]
.LBB102_986:
	s_or_b32 exec_lo, exec_lo, s0
	v_lshl_add_u32 v110, v118, 3, v114
	s_barrier_signal -1
	s_barrier_wait -1
	ds_store_b64 v110, v[8:9]
	s_wait_dscnt 0x0
	s_barrier_signal -1
	s_barrier_wait -1
	ds_load_b64 v[110:111], v114 offset:376
	v_mov_b32_e32 v112, 47
	s_cmp_lt_i32 s18, 49
	s_cbranch_scc1 .LBB102_989
; %bb.987:
	v_add3_u32 v113, v115, 0, 0x180
	v_mov_b32_e32 v112, 47
	s_mov_b32 s0, 48
.LBB102_988:                            ; =>This Inner Loop Header: Depth=1
	ds_load_b64 v[120:121], v113
	s_wait_dscnt 0x1
	v_cmp_gt_f32_e32 vcc_lo, 0, v110
	v_cndmask_b32_e64 v122, v110, -v110, vcc_lo
	v_cmp_gt_f32_e32 vcc_lo, 0, v111
	v_cndmask_b32_e64 v124, v111, -v111, vcc_lo
	s_wait_dscnt 0x0
	v_cmp_gt_f32_e32 vcc_lo, 0, v120
	v_cndmask_b32_e64 v123, v120, -v120, vcc_lo
	v_cmp_gt_f32_e32 vcc_lo, 0, v121
	v_cndmask_b32_e64 v125, v121, -v121, vcc_lo
	s_delay_alu instid0(VALU_DEP_1) | instskip(NEXT) | instid1(VALU_DEP_1)
	v_pk_add_f32 v[122:123], v[122:123], v[124:125]
	v_cmp_lt_f32_e32 vcc_lo, v122, v123
	v_dual_cndmask_b32 v110, v110, v120 :: v_dual_add_nc_u32 v113, 8, v113
	v_cndmask_b32_e32 v111, v111, v121, vcc_lo
	v_cndmask_b32_e64 v112, v112, s0, vcc_lo
	s_add_co_i32 s0, s0, 1
	s_delay_alu instid0(SALU_CYCLE_1)
	s_cmp_lg_u32 s18, s0
	s_cbranch_scc1 .LBB102_988
.LBB102_989:
	s_wait_dscnt 0x0
	v_cmp_eq_f32_e32 vcc_lo, 0, v110
	v_cmp_eq_f32_e64 s0, 0, v111
	s_and_b32 s0, vcc_lo, s0
	s_delay_alu instid0(SALU_CYCLE_1) | instskip(NEXT) | instid1(SALU_CYCLE_1)
	s_and_saveexec_b32 s1, s0
	s_xor_b32 s0, exec_lo, s1
; %bb.990:
	v_cmp_ne_u32_e32 vcc_lo, 0, v116
	v_cndmask_b32_e32 v116, 48, v116, vcc_lo
; %bb.991:
	s_and_not1_saveexec_b32 s0, s0
	s_cbranch_execz .LBB102_997
; %bb.992:
	v_cmp_ngt_f32_e64 s1, |v110|, |v111|
	s_and_saveexec_b32 s12, s1
	s_delay_alu instid0(SALU_CYCLE_1)
	s_xor_b32 s1, exec_lo, s12
	s_cbranch_execz .LBB102_994
; %bb.993:
	v_div_scale_f32 v113, null, v111, v111, v110
	v_div_scale_f32 v121, vcc_lo, v110, v111, v110
	s_delay_alu instid0(VALU_DEP_2) | instskip(SKIP_1) | instid1(TRANS32_DEP_1)
	v_rcp_f32_e32 v119, v113
	v_nop
	v_fma_f32 v120, -v113, v119, 1.0
	s_delay_alu instid0(VALU_DEP_1) | instskip(NEXT) | instid1(VALU_DEP_1)
	v_fmac_f32_e32 v119, v120, v119
	v_mul_f32_e32 v120, v121, v119
	s_delay_alu instid0(VALU_DEP_1) | instskip(NEXT) | instid1(VALU_DEP_1)
	v_fma_f32 v122, -v113, v120, v121
	v_fmac_f32_e32 v120, v122, v119
	s_delay_alu instid0(VALU_DEP_1) | instskip(NEXT) | instid1(VALU_DEP_1)
	v_fma_f32 v113, -v113, v120, v121
	v_div_fmas_f32 v113, v113, v119, v120
	s_delay_alu instid0(VALU_DEP_1) | instskip(NEXT) | instid1(VALU_DEP_1)
	v_div_fixup_f32 v113, v113, v111, v110
	v_fmac_f32_e32 v111, v110, v113
	s_delay_alu instid0(VALU_DEP_1) | instskip(SKIP_1) | instid1(VALU_DEP_2)
	v_div_scale_f32 v110, null, v111, v111, 1.0
	v_div_scale_f32 v121, vcc_lo, 1.0, v111, 1.0
	v_rcp_f32_e32 v119, v110
	v_nop
	s_delay_alu instid0(TRANS32_DEP_1) | instskip(NEXT) | instid1(VALU_DEP_1)
	v_fma_f32 v120, -v110, v119, 1.0
	v_fmac_f32_e32 v119, v120, v119
	s_delay_alu instid0(VALU_DEP_1) | instskip(NEXT) | instid1(VALU_DEP_1)
	v_mul_f32_e32 v120, v121, v119
	v_fma_f32 v122, -v110, v120, v121
	s_delay_alu instid0(VALU_DEP_1) | instskip(NEXT) | instid1(VALU_DEP_1)
	v_fmac_f32_e32 v120, v122, v119
	v_fma_f32 v110, -v110, v120, v121
	s_delay_alu instid0(VALU_DEP_1) | instskip(NEXT) | instid1(VALU_DEP_1)
	v_div_fmas_f32 v110, v110, v119, v120
	v_div_fixup_f32 v111, v110, v111, 1.0
	s_delay_alu instid0(VALU_DEP_1)
	v_mul_f32_e32 v110, v113, v111
	v_xor_b32_e32 v111, 0x80000000, v111
.LBB102_994:
	s_and_not1_saveexec_b32 s1, s1
	s_cbranch_execz .LBB102_996
; %bb.995:
	s_delay_alu instid0(VALU_DEP_1) | instskip(SKIP_1) | instid1(VALU_DEP_2)
	v_div_scale_f32 v113, null, v110, v110, v111
	v_div_scale_f32 v121, vcc_lo, v111, v110, v111
	v_rcp_f32_e32 v119, v113
	v_nop
	s_delay_alu instid0(TRANS32_DEP_1) | instskip(NEXT) | instid1(VALU_DEP_1)
	v_fma_f32 v120, -v113, v119, 1.0
	v_fmac_f32_e32 v119, v120, v119
	s_delay_alu instid0(VALU_DEP_1) | instskip(NEXT) | instid1(VALU_DEP_1)
	v_mul_f32_e32 v120, v121, v119
	v_fma_f32 v122, -v113, v120, v121
	s_delay_alu instid0(VALU_DEP_1) | instskip(NEXT) | instid1(VALU_DEP_1)
	v_fmac_f32_e32 v120, v122, v119
	v_fma_f32 v113, -v113, v120, v121
	s_delay_alu instid0(VALU_DEP_1) | instskip(NEXT) | instid1(VALU_DEP_1)
	v_div_fmas_f32 v113, v113, v119, v120
	v_div_fixup_f32 v113, v113, v110, v111
	s_delay_alu instid0(VALU_DEP_1) | instskip(NEXT) | instid1(VALU_DEP_1)
	v_fmac_f32_e32 v110, v111, v113
	v_div_scale_f32 v111, null, v110, v110, 1.0
	s_delay_alu instid0(VALU_DEP_1) | instskip(SKIP_1) | instid1(TRANS32_DEP_1)
	v_rcp_f32_e32 v119, v111
	v_nop
	v_fma_f32 v120, -v111, v119, 1.0
	s_delay_alu instid0(VALU_DEP_1) | instskip(SKIP_1) | instid1(VALU_DEP_1)
	v_fmac_f32_e32 v119, v120, v119
	v_div_scale_f32 v120, vcc_lo, 1.0, v110, 1.0
	v_mul_f32_e32 v121, v120, v119
	s_delay_alu instid0(VALU_DEP_1) | instskip(NEXT) | instid1(VALU_DEP_1)
	v_fma_f32 v122, -v111, v121, v120
	v_fmac_f32_e32 v121, v122, v119
	s_delay_alu instid0(VALU_DEP_1) | instskip(NEXT) | instid1(VALU_DEP_1)
	v_fma_f32 v111, -v111, v121, v120
	v_div_fmas_f32 v111, v111, v119, v121
	s_delay_alu instid0(VALU_DEP_1) | instskip(NEXT) | instid1(VALU_DEP_1)
	v_div_fixup_f32 v110, v111, v110, 1.0
	v_mul_f32_e64 v111, v113, -v110
.LBB102_996:
	s_or_b32 exec_lo, exec_lo, s1
.LBB102_997:
	s_delay_alu instid0(SALU_CYCLE_1) | instskip(NEXT) | instid1(SALU_CYCLE_1)
	s_or_b32 exec_lo, exec_lo, s0
	s_mov_b32 s0, exec_lo
	v_cmpx_ne_u32_e64 v118, v112
	s_xor_b32 s0, exec_lo, s0
	s_cbranch_execz .LBB102_1003
; %bb.998:
	s_mov_b32 s1, exec_lo
	v_cmpx_eq_u32_e32 47, v118
	s_cbranch_execz .LBB102_1002
; %bb.999:
	v_cmp_ne_u32_e32 vcc_lo, 47, v112
	s_xor_b32 s12, s16, -1
	s_delay_alu instid0(SALU_CYCLE_1) | instskip(NEXT) | instid1(SALU_CYCLE_1)
	s_and_b32 s13, s12, vcc_lo
	s_and_saveexec_b32 s12, s13
	s_cbranch_execz .LBB102_1001
; %bb.1000:
	v_ashrrev_i32_e32 v113, 31, v112
	s_delay_alu instid0(VALU_DEP_1)
	v_lshl_add_u64 v[118:119], v[112:113], 2, v[4:5]
	s_clause 0x1
	global_load_b32 v113, v[118:119], off
	global_load_b32 v117, v[4:5], off offset:188
	s_wait_loadcnt 0x1
	global_store_b32 v[4:5], v113, off offset:188
	s_wait_loadcnt 0x0
	global_store_b32 v[118:119], v117, off
.LBB102_1001:
	s_wait_xcnt 0x0
	s_or_b32 exec_lo, exec_lo, s12
	v_dual_mov_b32 v118, v112 :: v_dual_mov_b32 v117, v112
.LBB102_1002:
	s_or_b32 exec_lo, exec_lo, s1
.LBB102_1003:
	s_and_not1_saveexec_b32 s0, s0
	s_cbranch_execz .LBB102_1005
; %bb.1004:
	v_dual_mov_b32 v112, v28 :: v_dual_mov_b32 v113, v29
	v_dual_mov_b32 v120, v16 :: v_dual_mov_b32 v121, v17
	;; [unrolled: 1-line block ×3, first 2 shown]
	v_mov_b32_e32 v123, v15
	ds_store_2addr_b64 v114, v[112:113], v[120:121] offset0:48 offset1:49
	ds_store_2addr_b64 v114, v[122:123], v[108:109] offset0:50 offset1:51
.LBB102_1005:
	s_or_b32 exec_lo, exec_lo, s0
	s_delay_alu instid0(SALU_CYCLE_1)
	s_mov_b32 s0, exec_lo
	s_wait_storecnt_dscnt 0x0
	s_barrier_signal -1
	s_barrier_wait -1
	v_cmpx_lt_i32_e32 47, v118
	s_cbranch_execz .LBB102_1007
; %bb.1006:
	ds_load_2addr_b64 v[120:123], v114 offset0:48 offset1:49
	ds_load_2addr_b64 v[124:127], v114 offset0:50 offset1:51
	v_pk_mul_f32 v[112:113], v[110:111], v[8:9] op_sel:[1,1] op_sel_hi:[0,1]
	s_delay_alu instid0(VALU_DEP_1) | instskip(SKIP_1) | instid1(VALU_DEP_1)
	v_pk_fma_f32 v[128:129], v[110:111], v[8:9], v[112:113] op_sel_hi:[1,0,1] neg_lo:[0,0,1] neg_hi:[0,0,1]
	v_pk_fma_f32 v[110:111], v[110:111], v[8:9], v[112:113] op_sel_hi:[1,0,1]
	v_dual_mov_b32 v8, v128 :: v_dual_mov_b32 v9, v111
	s_wait_dscnt 0x1
	s_delay_alu instid0(VALU_DEP_2)
	v_pk_mul_f32 v[112:113], v[120:121], v[110:111] op_sel:[0,1]
	s_wait_dscnt 0x0
	v_mov_b32_e32 v130, v127
	v_pk_mul_f32 v[132:133], v[122:123], v[110:111] op_sel:[0,1]
	v_pk_mul_f32 v[134:135], v[124:125], v[110:111] op_sel:[0,1]
	v_pk_fma_f32 v[136:137], v[120:121], v[128:129], v[112:113] op_sel:[0,0,1] op_sel_hi:[1,1,0] neg_lo:[0,0,1] neg_hi:[0,0,1]
	v_pk_fma_f32 v[112:113], v[120:121], v[128:129], v[112:113] op_sel:[0,0,1] op_sel_hi:[1,0,0]
	s_delay_alu instid0(VALU_DEP_1) | instskip(NEXT) | instid1(VALU_DEP_1)
	v_dual_mov_b32 v131, v126 :: v_dual_mov_b32 v137, v113
	v_pk_mul_f32 v[120:121], v[130:131], v[110:111] op_sel:[0,1]
	v_pk_fma_f32 v[130:131], v[122:123], v[128:129], v[132:133] op_sel:[0,0,1] op_sel_hi:[1,0,0]
	v_pk_fma_f32 v[122:123], v[122:123], v[128:129], v[132:133] op_sel:[0,0,1] op_sel_hi:[1,1,0] neg_lo:[0,0,1] neg_hi:[0,0,1]
	v_pk_fma_f32 v[132:133], v[124:125], v[128:129], v[134:135] op_sel:[0,0,1] op_sel_hi:[1,0,0]
	v_pk_fma_f32 v[124:125], v[124:125], v[128:129], v[134:135] op_sel:[0,0,1] op_sel_hi:[1,1,0] neg_lo:[0,0,1] neg_hi:[0,0,1]
	v_pk_fma_f32 v[112:113], v[126:127], v[128:129], v[120:121] op_sel_hi:[1,0,1]
	v_pk_fma_f32 v[120:121], v[126:127], v[128:129], v[120:121] neg_lo:[0,0,1] neg_hi:[0,0,1]
	s_delay_alu instid0(VALU_DEP_4) | instskip(SKIP_1) | instid1(VALU_DEP_4)
	v_dual_mov_b32 v123, v131 :: v_dual_mov_b32 v125, v133
	v_pk_add_f32 v[28:29], v[28:29], v[136:137] neg_lo:[0,1] neg_hi:[0,1]
	v_mov_b32_e32 v121, v113
	s_delay_alu instid0(VALU_DEP_3) | instskip(NEXT) | instid1(VALU_DEP_4)
	v_pk_add_f32 v[16:17], v[16:17], v[122:123] neg_lo:[0,1] neg_hi:[0,1]
	v_pk_add_f32 v[14:15], v[14:15], v[124:125] neg_lo:[0,1] neg_hi:[0,1]
	s_delay_alu instid0(VALU_DEP_3)
	v_pk_add_f32 v[108:109], v[108:109], v[120:121] neg_lo:[0,1] neg_hi:[0,1]
.LBB102_1007:
	s_or_b32 exec_lo, exec_lo, s0
	v_lshl_add_u32 v110, v118, 3, v114
	s_barrier_signal -1
	s_barrier_wait -1
	ds_store_b64 v110, v[28:29]
	s_wait_dscnt 0x0
	s_barrier_signal -1
	s_barrier_wait -1
	ds_load_b64 v[110:111], v114 offset:384
	v_mov_b32_e32 v112, 48
	s_cmp_lt_i32 s18, 50
	s_cbranch_scc1 .LBB102_1010
; %bb.1008:
	v_add3_u32 v113, v115, 0, 0x188
	v_mov_b32_e32 v112, 48
	s_mov_b32 s0, 49
.LBB102_1009:                           ; =>This Inner Loop Header: Depth=1
	ds_load_b64 v[120:121], v113
	s_wait_dscnt 0x1
	v_cmp_gt_f32_e32 vcc_lo, 0, v110
	v_cndmask_b32_e64 v122, v110, -v110, vcc_lo
	v_cmp_gt_f32_e32 vcc_lo, 0, v111
	v_cndmask_b32_e64 v124, v111, -v111, vcc_lo
	s_wait_dscnt 0x0
	v_cmp_gt_f32_e32 vcc_lo, 0, v120
	v_cndmask_b32_e64 v123, v120, -v120, vcc_lo
	v_cmp_gt_f32_e32 vcc_lo, 0, v121
	v_cndmask_b32_e64 v125, v121, -v121, vcc_lo
	s_delay_alu instid0(VALU_DEP_1) | instskip(NEXT) | instid1(VALU_DEP_1)
	v_pk_add_f32 v[122:123], v[122:123], v[124:125]
	v_cmp_lt_f32_e32 vcc_lo, v122, v123
	v_dual_cndmask_b32 v110, v110, v120 :: v_dual_add_nc_u32 v113, 8, v113
	v_cndmask_b32_e32 v111, v111, v121, vcc_lo
	v_cndmask_b32_e64 v112, v112, s0, vcc_lo
	s_add_co_i32 s0, s0, 1
	s_delay_alu instid0(SALU_CYCLE_1)
	s_cmp_lg_u32 s18, s0
	s_cbranch_scc1 .LBB102_1009
.LBB102_1010:
	s_wait_dscnt 0x0
	v_cmp_eq_f32_e32 vcc_lo, 0, v110
	v_cmp_eq_f32_e64 s0, 0, v111
	s_and_b32 s0, vcc_lo, s0
	s_delay_alu instid0(SALU_CYCLE_1) | instskip(NEXT) | instid1(SALU_CYCLE_1)
	s_and_saveexec_b32 s1, s0
	s_xor_b32 s0, exec_lo, s1
; %bb.1011:
	v_cmp_ne_u32_e32 vcc_lo, 0, v116
	v_cndmask_b32_e32 v116, 49, v116, vcc_lo
; %bb.1012:
	s_and_not1_saveexec_b32 s0, s0
	s_cbranch_execz .LBB102_1018
; %bb.1013:
	v_cmp_ngt_f32_e64 s1, |v110|, |v111|
	s_and_saveexec_b32 s12, s1
	s_delay_alu instid0(SALU_CYCLE_1)
	s_xor_b32 s1, exec_lo, s12
	s_cbranch_execz .LBB102_1015
; %bb.1014:
	v_div_scale_f32 v113, null, v111, v111, v110
	v_div_scale_f32 v121, vcc_lo, v110, v111, v110
	s_delay_alu instid0(VALU_DEP_2) | instskip(SKIP_1) | instid1(TRANS32_DEP_1)
	v_rcp_f32_e32 v119, v113
	v_nop
	v_fma_f32 v120, -v113, v119, 1.0
	s_delay_alu instid0(VALU_DEP_1) | instskip(NEXT) | instid1(VALU_DEP_1)
	v_fmac_f32_e32 v119, v120, v119
	v_mul_f32_e32 v120, v121, v119
	s_delay_alu instid0(VALU_DEP_1) | instskip(NEXT) | instid1(VALU_DEP_1)
	v_fma_f32 v122, -v113, v120, v121
	v_fmac_f32_e32 v120, v122, v119
	s_delay_alu instid0(VALU_DEP_1) | instskip(NEXT) | instid1(VALU_DEP_1)
	v_fma_f32 v113, -v113, v120, v121
	v_div_fmas_f32 v113, v113, v119, v120
	s_delay_alu instid0(VALU_DEP_1) | instskip(NEXT) | instid1(VALU_DEP_1)
	v_div_fixup_f32 v113, v113, v111, v110
	v_fmac_f32_e32 v111, v110, v113
	s_delay_alu instid0(VALU_DEP_1) | instskip(SKIP_1) | instid1(VALU_DEP_2)
	v_div_scale_f32 v110, null, v111, v111, 1.0
	v_div_scale_f32 v121, vcc_lo, 1.0, v111, 1.0
	v_rcp_f32_e32 v119, v110
	v_nop
	s_delay_alu instid0(TRANS32_DEP_1) | instskip(NEXT) | instid1(VALU_DEP_1)
	v_fma_f32 v120, -v110, v119, 1.0
	v_fmac_f32_e32 v119, v120, v119
	s_delay_alu instid0(VALU_DEP_1) | instskip(NEXT) | instid1(VALU_DEP_1)
	v_mul_f32_e32 v120, v121, v119
	v_fma_f32 v122, -v110, v120, v121
	s_delay_alu instid0(VALU_DEP_1) | instskip(NEXT) | instid1(VALU_DEP_1)
	v_fmac_f32_e32 v120, v122, v119
	v_fma_f32 v110, -v110, v120, v121
	s_delay_alu instid0(VALU_DEP_1) | instskip(NEXT) | instid1(VALU_DEP_1)
	v_div_fmas_f32 v110, v110, v119, v120
	v_div_fixup_f32 v111, v110, v111, 1.0
	s_delay_alu instid0(VALU_DEP_1)
	v_mul_f32_e32 v110, v113, v111
	v_xor_b32_e32 v111, 0x80000000, v111
.LBB102_1015:
	s_and_not1_saveexec_b32 s1, s1
	s_cbranch_execz .LBB102_1017
; %bb.1016:
	s_delay_alu instid0(VALU_DEP_1) | instskip(SKIP_1) | instid1(VALU_DEP_2)
	v_div_scale_f32 v113, null, v110, v110, v111
	v_div_scale_f32 v121, vcc_lo, v111, v110, v111
	v_rcp_f32_e32 v119, v113
	v_nop
	s_delay_alu instid0(TRANS32_DEP_1) | instskip(NEXT) | instid1(VALU_DEP_1)
	v_fma_f32 v120, -v113, v119, 1.0
	v_fmac_f32_e32 v119, v120, v119
	s_delay_alu instid0(VALU_DEP_1) | instskip(NEXT) | instid1(VALU_DEP_1)
	v_mul_f32_e32 v120, v121, v119
	v_fma_f32 v122, -v113, v120, v121
	s_delay_alu instid0(VALU_DEP_1) | instskip(NEXT) | instid1(VALU_DEP_1)
	v_fmac_f32_e32 v120, v122, v119
	v_fma_f32 v113, -v113, v120, v121
	s_delay_alu instid0(VALU_DEP_1) | instskip(NEXT) | instid1(VALU_DEP_1)
	v_div_fmas_f32 v113, v113, v119, v120
	v_div_fixup_f32 v113, v113, v110, v111
	s_delay_alu instid0(VALU_DEP_1) | instskip(NEXT) | instid1(VALU_DEP_1)
	v_fmac_f32_e32 v110, v111, v113
	v_div_scale_f32 v111, null, v110, v110, 1.0
	s_delay_alu instid0(VALU_DEP_1) | instskip(SKIP_1) | instid1(TRANS32_DEP_1)
	v_rcp_f32_e32 v119, v111
	v_nop
	v_fma_f32 v120, -v111, v119, 1.0
	s_delay_alu instid0(VALU_DEP_1) | instskip(SKIP_1) | instid1(VALU_DEP_1)
	v_fmac_f32_e32 v119, v120, v119
	v_div_scale_f32 v120, vcc_lo, 1.0, v110, 1.0
	v_mul_f32_e32 v121, v120, v119
	s_delay_alu instid0(VALU_DEP_1) | instskip(NEXT) | instid1(VALU_DEP_1)
	v_fma_f32 v122, -v111, v121, v120
	v_fmac_f32_e32 v121, v122, v119
	s_delay_alu instid0(VALU_DEP_1) | instskip(NEXT) | instid1(VALU_DEP_1)
	v_fma_f32 v111, -v111, v121, v120
	v_div_fmas_f32 v111, v111, v119, v121
	s_delay_alu instid0(VALU_DEP_1) | instskip(NEXT) | instid1(VALU_DEP_1)
	v_div_fixup_f32 v110, v111, v110, 1.0
	v_mul_f32_e64 v111, v113, -v110
.LBB102_1017:
	s_or_b32 exec_lo, exec_lo, s1
.LBB102_1018:
	s_delay_alu instid0(SALU_CYCLE_1) | instskip(NEXT) | instid1(SALU_CYCLE_1)
	s_or_b32 exec_lo, exec_lo, s0
	s_mov_b32 s0, exec_lo
	v_cmpx_ne_u32_e64 v118, v112
	s_xor_b32 s0, exec_lo, s0
	s_cbranch_execz .LBB102_1024
; %bb.1019:
	s_mov_b32 s1, exec_lo
	v_cmpx_eq_u32_e32 48, v118
	s_cbranch_execz .LBB102_1023
; %bb.1020:
	v_cmp_ne_u32_e32 vcc_lo, 48, v112
	s_xor_b32 s12, s16, -1
	s_delay_alu instid0(SALU_CYCLE_1) | instskip(NEXT) | instid1(SALU_CYCLE_1)
	s_and_b32 s13, s12, vcc_lo
	s_and_saveexec_b32 s12, s13
	s_cbranch_execz .LBB102_1022
; %bb.1021:
	v_ashrrev_i32_e32 v113, 31, v112
	s_delay_alu instid0(VALU_DEP_1)
	v_lshl_add_u64 v[118:119], v[112:113], 2, v[4:5]
	s_clause 0x1
	global_load_b32 v113, v[118:119], off
	global_load_b32 v117, v[4:5], off offset:192
	s_wait_loadcnt 0x1
	global_store_b32 v[4:5], v113, off offset:192
	s_wait_loadcnt 0x0
	global_store_b32 v[118:119], v117, off
.LBB102_1022:
	s_wait_xcnt 0x0
	s_or_b32 exec_lo, exec_lo, s12
	v_dual_mov_b32 v118, v112 :: v_dual_mov_b32 v117, v112
.LBB102_1023:
	s_or_b32 exec_lo, exec_lo, s1
.LBB102_1024:
	s_and_not1_saveexec_b32 s0, s0
	s_cbranch_execz .LBB102_1026
; %bb.1025:
	v_mov_b32_e32 v118, 48
	ds_store_2addr_b64 v114, v[16:17], v[14:15] offset0:49 offset1:50
	ds_store_b64 v114, v[108:109] offset:408
.LBB102_1026:
	s_or_b32 exec_lo, exec_lo, s0
	s_delay_alu instid0(SALU_CYCLE_1)
	s_mov_b32 s0, exec_lo
	s_wait_storecnt_dscnt 0x0
	s_barrier_signal -1
	s_barrier_wait -1
	v_cmpx_lt_i32_e32 48, v118
	s_cbranch_execz .LBB102_1028
; %bb.1027:
	ds_load_2addr_b64 v[120:123], v114 offset0:49 offset1:50
	ds_load_b64 v[112:113], v114 offset:408
	v_pk_mul_f32 v[124:125], v[110:111], v[28:29] op_sel:[1,1] op_sel_hi:[0,1]
	s_delay_alu instid0(VALU_DEP_1) | instskip(SKIP_2) | instid1(VALU_DEP_2)
	v_pk_fma_f32 v[126:127], v[110:111], v[28:29], v[124:125] op_sel_hi:[1,0,1]
	v_pk_fma_f32 v[28:29], v[110:111], v[28:29], v[124:125] op_sel_hi:[1,0,1] neg_lo:[0,0,1] neg_hi:[0,0,1]
	s_wait_dscnt 0x1
	v_pk_mul_f32 v[110:111], v[120:121], v[126:127] op_sel:[0,1]
	v_pk_mul_f32 v[124:125], v[122:123], v[126:127] op_sel:[0,1]
	s_wait_dscnt 0x0
	v_pk_mul_f32 v[128:129], v[112:113], v[126:127] op_sel:[1,1] op_sel_hi:[0,1]
	s_delay_alu instid0(VALU_DEP_3) | instskip(SKIP_2) | instid1(VALU_DEP_4)
	v_pk_fma_f32 v[130:131], v[120:121], v[28:29], v[110:111] op_sel:[0,0,1] op_sel_hi:[1,1,0] neg_lo:[0,0,1] neg_hi:[0,0,1]
	v_pk_fma_f32 v[110:111], v[120:121], v[28:29], v[110:111] op_sel:[0,0,1] op_sel_hi:[1,0,0]
	v_pk_fma_f32 v[120:121], v[122:123], v[28:29], v[124:125] op_sel:[0,0,1] op_sel_hi:[1,0,0]
	v_pk_fma_f32 v[132:133], v[112:113], v[28:29], v[128:129] op_sel_hi:[1,0,1]
	v_pk_fma_f32 v[122:123], v[122:123], v[28:29], v[124:125] op_sel:[0,0,1] op_sel_hi:[1,1,0] neg_lo:[0,0,1] neg_hi:[0,0,1]
	v_pk_fma_f32 v[112:113], v[112:113], v[28:29], v[128:129] neg_lo:[0,0,1] neg_hi:[0,0,1]
	s_delay_alu instid0(VALU_DEP_4) | instskip(NEXT) | instid1(VALU_DEP_4)
	v_dual_mov_b32 v131, v111 :: v_dual_mov_b32 v123, v121
	v_dual_mov_b32 v113, v133 :: v_dual_mov_b32 v29, v127
	s_delay_alu instid0(VALU_DEP_2) | instskip(NEXT) | instid1(VALU_DEP_3)
	v_pk_add_f32 v[16:17], v[16:17], v[130:131] neg_lo:[0,1] neg_hi:[0,1]
	v_pk_add_f32 v[14:15], v[14:15], v[122:123] neg_lo:[0,1] neg_hi:[0,1]
	s_delay_alu instid0(VALU_DEP_3)
	v_pk_add_f32 v[108:109], v[108:109], v[112:113] neg_lo:[0,1] neg_hi:[0,1]
.LBB102_1028:
	s_or_b32 exec_lo, exec_lo, s0
	v_lshl_add_u32 v110, v118, 3, v114
	s_barrier_signal -1
	s_barrier_wait -1
	ds_store_b64 v110, v[16:17]
	s_wait_dscnt 0x0
	s_barrier_signal -1
	s_barrier_wait -1
	ds_load_b64 v[110:111], v114 offset:392
	v_mov_b32_e32 v112, 49
	s_cmp_lt_i32 s18, 51
	s_cbranch_scc1 .LBB102_1031
; %bb.1029:
	v_add3_u32 v113, v115, 0, 0x190
	v_mov_b32_e32 v112, 49
	s_mov_b32 s0, 50
.LBB102_1030:                           ; =>This Inner Loop Header: Depth=1
	ds_load_b64 v[120:121], v113
	s_wait_dscnt 0x1
	v_cmp_gt_f32_e32 vcc_lo, 0, v110
	v_cndmask_b32_e64 v122, v110, -v110, vcc_lo
	v_cmp_gt_f32_e32 vcc_lo, 0, v111
	v_cndmask_b32_e64 v124, v111, -v111, vcc_lo
	s_wait_dscnt 0x0
	v_cmp_gt_f32_e32 vcc_lo, 0, v120
	v_cndmask_b32_e64 v123, v120, -v120, vcc_lo
	v_cmp_gt_f32_e32 vcc_lo, 0, v121
	v_cndmask_b32_e64 v125, v121, -v121, vcc_lo
	s_delay_alu instid0(VALU_DEP_1) | instskip(NEXT) | instid1(VALU_DEP_1)
	v_pk_add_f32 v[122:123], v[122:123], v[124:125]
	v_cmp_lt_f32_e32 vcc_lo, v122, v123
	v_dual_cndmask_b32 v110, v110, v120 :: v_dual_add_nc_u32 v113, 8, v113
	v_cndmask_b32_e32 v111, v111, v121, vcc_lo
	v_cndmask_b32_e64 v112, v112, s0, vcc_lo
	s_add_co_i32 s0, s0, 1
	s_delay_alu instid0(SALU_CYCLE_1)
	s_cmp_lg_u32 s18, s0
	s_cbranch_scc1 .LBB102_1030
.LBB102_1031:
	s_wait_dscnt 0x0
	v_cmp_eq_f32_e32 vcc_lo, 0, v110
	v_cmp_eq_f32_e64 s0, 0, v111
	s_and_b32 s0, vcc_lo, s0
	s_delay_alu instid0(SALU_CYCLE_1) | instskip(NEXT) | instid1(SALU_CYCLE_1)
	s_and_saveexec_b32 s1, s0
	s_xor_b32 s0, exec_lo, s1
; %bb.1032:
	v_cmp_ne_u32_e32 vcc_lo, 0, v116
	v_cndmask_b32_e32 v116, 50, v116, vcc_lo
; %bb.1033:
	s_and_not1_saveexec_b32 s0, s0
	s_cbranch_execz .LBB102_1039
; %bb.1034:
	v_cmp_ngt_f32_e64 s1, |v110|, |v111|
	s_and_saveexec_b32 s12, s1
	s_delay_alu instid0(SALU_CYCLE_1)
	s_xor_b32 s1, exec_lo, s12
	s_cbranch_execz .LBB102_1036
; %bb.1035:
	v_div_scale_f32 v113, null, v111, v111, v110
	v_div_scale_f32 v121, vcc_lo, v110, v111, v110
	s_delay_alu instid0(VALU_DEP_2) | instskip(SKIP_1) | instid1(TRANS32_DEP_1)
	v_rcp_f32_e32 v119, v113
	v_nop
	v_fma_f32 v120, -v113, v119, 1.0
	s_delay_alu instid0(VALU_DEP_1) | instskip(NEXT) | instid1(VALU_DEP_1)
	v_fmac_f32_e32 v119, v120, v119
	v_mul_f32_e32 v120, v121, v119
	s_delay_alu instid0(VALU_DEP_1) | instskip(NEXT) | instid1(VALU_DEP_1)
	v_fma_f32 v122, -v113, v120, v121
	v_fmac_f32_e32 v120, v122, v119
	s_delay_alu instid0(VALU_DEP_1) | instskip(NEXT) | instid1(VALU_DEP_1)
	v_fma_f32 v113, -v113, v120, v121
	v_div_fmas_f32 v113, v113, v119, v120
	s_delay_alu instid0(VALU_DEP_1) | instskip(NEXT) | instid1(VALU_DEP_1)
	v_div_fixup_f32 v113, v113, v111, v110
	v_fmac_f32_e32 v111, v110, v113
	s_delay_alu instid0(VALU_DEP_1) | instskip(SKIP_1) | instid1(VALU_DEP_2)
	v_div_scale_f32 v110, null, v111, v111, 1.0
	v_div_scale_f32 v121, vcc_lo, 1.0, v111, 1.0
	v_rcp_f32_e32 v119, v110
	v_nop
	s_delay_alu instid0(TRANS32_DEP_1) | instskip(NEXT) | instid1(VALU_DEP_1)
	v_fma_f32 v120, -v110, v119, 1.0
	v_fmac_f32_e32 v119, v120, v119
	s_delay_alu instid0(VALU_DEP_1) | instskip(NEXT) | instid1(VALU_DEP_1)
	v_mul_f32_e32 v120, v121, v119
	v_fma_f32 v122, -v110, v120, v121
	s_delay_alu instid0(VALU_DEP_1) | instskip(NEXT) | instid1(VALU_DEP_1)
	v_fmac_f32_e32 v120, v122, v119
	v_fma_f32 v110, -v110, v120, v121
	s_delay_alu instid0(VALU_DEP_1) | instskip(NEXT) | instid1(VALU_DEP_1)
	v_div_fmas_f32 v110, v110, v119, v120
	v_div_fixup_f32 v111, v110, v111, 1.0
	s_delay_alu instid0(VALU_DEP_1)
	v_mul_f32_e32 v110, v113, v111
	v_xor_b32_e32 v111, 0x80000000, v111
.LBB102_1036:
	s_and_not1_saveexec_b32 s1, s1
	s_cbranch_execz .LBB102_1038
; %bb.1037:
	s_delay_alu instid0(VALU_DEP_1) | instskip(SKIP_1) | instid1(VALU_DEP_2)
	v_div_scale_f32 v113, null, v110, v110, v111
	v_div_scale_f32 v121, vcc_lo, v111, v110, v111
	v_rcp_f32_e32 v119, v113
	v_nop
	s_delay_alu instid0(TRANS32_DEP_1) | instskip(NEXT) | instid1(VALU_DEP_1)
	v_fma_f32 v120, -v113, v119, 1.0
	v_fmac_f32_e32 v119, v120, v119
	s_delay_alu instid0(VALU_DEP_1) | instskip(NEXT) | instid1(VALU_DEP_1)
	v_mul_f32_e32 v120, v121, v119
	v_fma_f32 v122, -v113, v120, v121
	s_delay_alu instid0(VALU_DEP_1) | instskip(NEXT) | instid1(VALU_DEP_1)
	v_fmac_f32_e32 v120, v122, v119
	v_fma_f32 v113, -v113, v120, v121
	s_delay_alu instid0(VALU_DEP_1) | instskip(NEXT) | instid1(VALU_DEP_1)
	v_div_fmas_f32 v113, v113, v119, v120
	v_div_fixup_f32 v113, v113, v110, v111
	s_delay_alu instid0(VALU_DEP_1) | instskip(NEXT) | instid1(VALU_DEP_1)
	v_fmac_f32_e32 v110, v111, v113
	v_div_scale_f32 v111, null, v110, v110, 1.0
	s_delay_alu instid0(VALU_DEP_1) | instskip(SKIP_1) | instid1(TRANS32_DEP_1)
	v_rcp_f32_e32 v119, v111
	v_nop
	v_fma_f32 v120, -v111, v119, 1.0
	s_delay_alu instid0(VALU_DEP_1) | instskip(SKIP_1) | instid1(VALU_DEP_1)
	v_fmac_f32_e32 v119, v120, v119
	v_div_scale_f32 v120, vcc_lo, 1.0, v110, 1.0
	v_mul_f32_e32 v121, v120, v119
	s_delay_alu instid0(VALU_DEP_1) | instskip(NEXT) | instid1(VALU_DEP_1)
	v_fma_f32 v122, -v111, v121, v120
	v_fmac_f32_e32 v121, v122, v119
	s_delay_alu instid0(VALU_DEP_1) | instskip(NEXT) | instid1(VALU_DEP_1)
	v_fma_f32 v111, -v111, v121, v120
	v_div_fmas_f32 v111, v111, v119, v121
	s_delay_alu instid0(VALU_DEP_1) | instskip(NEXT) | instid1(VALU_DEP_1)
	v_div_fixup_f32 v110, v111, v110, 1.0
	v_mul_f32_e64 v111, v113, -v110
.LBB102_1038:
	s_or_b32 exec_lo, exec_lo, s1
.LBB102_1039:
	s_delay_alu instid0(SALU_CYCLE_1) | instskip(NEXT) | instid1(SALU_CYCLE_1)
	s_or_b32 exec_lo, exec_lo, s0
	s_mov_b32 s0, exec_lo
	v_cmpx_ne_u32_e64 v118, v112
	s_xor_b32 s0, exec_lo, s0
	s_cbranch_execz .LBB102_1045
; %bb.1040:
	s_mov_b32 s1, exec_lo
	v_cmpx_eq_u32_e32 49, v118
	s_cbranch_execz .LBB102_1044
; %bb.1041:
	v_cmp_ne_u32_e32 vcc_lo, 49, v112
	s_xor_b32 s12, s16, -1
	s_delay_alu instid0(SALU_CYCLE_1) | instskip(NEXT) | instid1(SALU_CYCLE_1)
	s_and_b32 s13, s12, vcc_lo
	s_and_saveexec_b32 s12, s13
	s_cbranch_execz .LBB102_1043
; %bb.1042:
	v_ashrrev_i32_e32 v113, 31, v112
	s_delay_alu instid0(VALU_DEP_1)
	v_lshl_add_u64 v[118:119], v[112:113], 2, v[4:5]
	s_clause 0x1
	global_load_b32 v113, v[118:119], off
	global_load_b32 v117, v[4:5], off offset:196
	s_wait_loadcnt 0x1
	global_store_b32 v[4:5], v113, off offset:196
	s_wait_loadcnt 0x0
	global_store_b32 v[118:119], v117, off
.LBB102_1043:
	s_wait_xcnt 0x0
	s_or_b32 exec_lo, exec_lo, s12
	v_dual_mov_b32 v118, v112 :: v_dual_mov_b32 v117, v112
.LBB102_1044:
	s_or_b32 exec_lo, exec_lo, s1
.LBB102_1045:
	s_and_not1_saveexec_b32 s0, s0
; %bb.1046:
	v_dual_mov_b32 v112, v14 :: v_dual_mov_b32 v113, v15
	v_mov_b32_e32 v118, 49
	ds_store_2addr_b64 v114, v[112:113], v[108:109] offset0:50 offset1:51
; %bb.1047:
	s_or_b32 exec_lo, exec_lo, s0
	s_delay_alu instid0(SALU_CYCLE_1)
	s_mov_b32 s0, exec_lo
	s_wait_storecnt_dscnt 0x0
	s_barrier_signal -1
	s_barrier_wait -1
	v_cmpx_lt_i32_e32 49, v118
	s_cbranch_execz .LBB102_1049
; %bb.1048:
	ds_load_2addr_b64 v[120:123], v114 offset0:50 offset1:51
	v_pk_mul_f32 v[112:113], v[110:111], v[16:17] op_sel:[1,1] op_sel_hi:[0,1]
	s_delay_alu instid0(VALU_DEP_1) | instskip(SKIP_3) | instid1(VALU_DEP_3)
	v_pk_fma_f32 v[124:125], v[110:111], v[16:17], v[112:113] op_sel_hi:[1,0,1]
	v_pk_fma_f32 v[16:17], v[110:111], v[16:17], v[112:113] op_sel_hi:[1,0,1] neg_lo:[0,0,1] neg_hi:[0,0,1]
	s_wait_dscnt 0x0
	v_dual_mov_b32 v126, v123 :: v_dual_mov_b32 v127, v122
	v_pk_mul_f32 v[110:111], v[120:121], v[124:125] op_sel:[0,1]
	s_delay_alu instid0(VALU_DEP_2) | instskip(NEXT) | instid1(VALU_DEP_2)
	v_pk_mul_f32 v[112:113], v[126:127], v[124:125] op_sel:[0,1]
	v_pk_fma_f32 v[126:127], v[120:121], v[16:17], v[110:111] op_sel:[0,0,1] op_sel_hi:[1,0,0]
	v_pk_fma_f32 v[110:111], v[120:121], v[16:17], v[110:111] op_sel:[0,0,1] op_sel_hi:[1,1,0] neg_lo:[0,0,1] neg_hi:[0,0,1]
	s_delay_alu instid0(VALU_DEP_3) | instskip(SKIP_1) | instid1(VALU_DEP_4)
	v_pk_fma_f32 v[128:129], v[122:123], v[16:17], v[112:113] op_sel_hi:[1,0,1]
	v_pk_fma_f32 v[112:113], v[122:123], v[16:17], v[112:113] neg_lo:[0,0,1] neg_hi:[0,0,1]
	v_dual_mov_b32 v111, v127 :: v_dual_mov_b32 v17, v125
	s_delay_alu instid0(VALU_DEP_3) | instskip(NEXT) | instid1(VALU_DEP_2)
	v_mov_b32_e32 v113, v129
	v_pk_add_f32 v[14:15], v[14:15], v[110:111] neg_lo:[0,1] neg_hi:[0,1]
	s_delay_alu instid0(VALU_DEP_2)
	v_pk_add_f32 v[108:109], v[108:109], v[112:113] neg_lo:[0,1] neg_hi:[0,1]
.LBB102_1049:
	s_or_b32 exec_lo, exec_lo, s0
	v_lshl_add_u32 v110, v118, 3, v114
	s_barrier_signal -1
	s_barrier_wait -1
	ds_store_b64 v110, v[14:15]
	s_wait_dscnt 0x0
	s_barrier_signal -1
	s_barrier_wait -1
	ds_load_b64 v[110:111], v114 offset:400
	v_mov_b32_e32 v112, 50
	s_cmp_lt_i32 s18, 52
	s_cbranch_scc1 .LBB102_1052
; %bb.1050:
	v_add3_u32 v113, v115, 0, 0x198
	v_mov_b32_e32 v112, 50
	s_mov_b32 s0, 51
.LBB102_1051:                           ; =>This Inner Loop Header: Depth=1
	ds_load_b64 v[120:121], v113
	s_wait_dscnt 0x1
	v_cmp_gt_f32_e32 vcc_lo, 0, v110
	v_cndmask_b32_e64 v122, v110, -v110, vcc_lo
	v_cmp_gt_f32_e32 vcc_lo, 0, v111
	v_cndmask_b32_e64 v124, v111, -v111, vcc_lo
	s_wait_dscnt 0x0
	v_cmp_gt_f32_e32 vcc_lo, 0, v120
	v_cndmask_b32_e64 v123, v120, -v120, vcc_lo
	v_cmp_gt_f32_e32 vcc_lo, 0, v121
	v_cndmask_b32_e64 v125, v121, -v121, vcc_lo
	s_delay_alu instid0(VALU_DEP_1) | instskip(NEXT) | instid1(VALU_DEP_1)
	v_pk_add_f32 v[122:123], v[122:123], v[124:125]
	v_cmp_lt_f32_e32 vcc_lo, v122, v123
	v_dual_cndmask_b32 v110, v110, v120 :: v_dual_add_nc_u32 v113, 8, v113
	v_cndmask_b32_e32 v111, v111, v121, vcc_lo
	v_cndmask_b32_e64 v112, v112, s0, vcc_lo
	s_add_co_i32 s0, s0, 1
	s_delay_alu instid0(SALU_CYCLE_1)
	s_cmp_lg_u32 s18, s0
	s_cbranch_scc1 .LBB102_1051
.LBB102_1052:
	s_wait_dscnt 0x0
	v_cmp_eq_f32_e32 vcc_lo, 0, v110
	v_cmp_eq_f32_e64 s0, 0, v111
	s_and_b32 s0, vcc_lo, s0
	s_delay_alu instid0(SALU_CYCLE_1) | instskip(NEXT) | instid1(SALU_CYCLE_1)
	s_and_saveexec_b32 s1, s0
	s_xor_b32 s0, exec_lo, s1
; %bb.1053:
	v_cmp_ne_u32_e32 vcc_lo, 0, v116
	v_cndmask_b32_e32 v116, 51, v116, vcc_lo
; %bb.1054:
	s_and_not1_saveexec_b32 s0, s0
	s_cbranch_execz .LBB102_1060
; %bb.1055:
	v_cmp_ngt_f32_e64 s1, |v110|, |v111|
	s_and_saveexec_b32 s12, s1
	s_delay_alu instid0(SALU_CYCLE_1)
	s_xor_b32 s1, exec_lo, s12
	s_cbranch_execz .LBB102_1057
; %bb.1056:
	v_div_scale_f32 v113, null, v111, v111, v110
	v_div_scale_f32 v121, vcc_lo, v110, v111, v110
	s_delay_alu instid0(VALU_DEP_2) | instskip(SKIP_1) | instid1(TRANS32_DEP_1)
	v_rcp_f32_e32 v119, v113
	v_nop
	v_fma_f32 v120, -v113, v119, 1.0
	s_delay_alu instid0(VALU_DEP_1) | instskip(NEXT) | instid1(VALU_DEP_1)
	v_fmac_f32_e32 v119, v120, v119
	v_mul_f32_e32 v120, v121, v119
	s_delay_alu instid0(VALU_DEP_1) | instskip(NEXT) | instid1(VALU_DEP_1)
	v_fma_f32 v122, -v113, v120, v121
	v_fmac_f32_e32 v120, v122, v119
	s_delay_alu instid0(VALU_DEP_1) | instskip(NEXT) | instid1(VALU_DEP_1)
	v_fma_f32 v113, -v113, v120, v121
	v_div_fmas_f32 v113, v113, v119, v120
	s_delay_alu instid0(VALU_DEP_1) | instskip(NEXT) | instid1(VALU_DEP_1)
	v_div_fixup_f32 v113, v113, v111, v110
	v_fmac_f32_e32 v111, v110, v113
	s_delay_alu instid0(VALU_DEP_1) | instskip(SKIP_1) | instid1(VALU_DEP_2)
	v_div_scale_f32 v110, null, v111, v111, 1.0
	v_div_scale_f32 v121, vcc_lo, 1.0, v111, 1.0
	v_rcp_f32_e32 v119, v110
	v_nop
	s_delay_alu instid0(TRANS32_DEP_1) | instskip(NEXT) | instid1(VALU_DEP_1)
	v_fma_f32 v120, -v110, v119, 1.0
	v_fmac_f32_e32 v119, v120, v119
	s_delay_alu instid0(VALU_DEP_1) | instskip(NEXT) | instid1(VALU_DEP_1)
	v_mul_f32_e32 v120, v121, v119
	v_fma_f32 v122, -v110, v120, v121
	s_delay_alu instid0(VALU_DEP_1) | instskip(NEXT) | instid1(VALU_DEP_1)
	v_fmac_f32_e32 v120, v122, v119
	v_fma_f32 v110, -v110, v120, v121
	s_delay_alu instid0(VALU_DEP_1) | instskip(NEXT) | instid1(VALU_DEP_1)
	v_div_fmas_f32 v110, v110, v119, v120
	v_div_fixup_f32 v111, v110, v111, 1.0
	s_delay_alu instid0(VALU_DEP_1)
	v_mul_f32_e32 v110, v113, v111
	v_xor_b32_e32 v111, 0x80000000, v111
.LBB102_1057:
	s_and_not1_saveexec_b32 s1, s1
	s_cbranch_execz .LBB102_1059
; %bb.1058:
	s_delay_alu instid0(VALU_DEP_1) | instskip(SKIP_1) | instid1(VALU_DEP_2)
	v_div_scale_f32 v113, null, v110, v110, v111
	v_div_scale_f32 v121, vcc_lo, v111, v110, v111
	v_rcp_f32_e32 v119, v113
	v_nop
	s_delay_alu instid0(TRANS32_DEP_1) | instskip(NEXT) | instid1(VALU_DEP_1)
	v_fma_f32 v120, -v113, v119, 1.0
	v_fmac_f32_e32 v119, v120, v119
	s_delay_alu instid0(VALU_DEP_1) | instskip(NEXT) | instid1(VALU_DEP_1)
	v_mul_f32_e32 v120, v121, v119
	v_fma_f32 v122, -v113, v120, v121
	s_delay_alu instid0(VALU_DEP_1) | instskip(NEXT) | instid1(VALU_DEP_1)
	v_fmac_f32_e32 v120, v122, v119
	v_fma_f32 v113, -v113, v120, v121
	s_delay_alu instid0(VALU_DEP_1) | instskip(NEXT) | instid1(VALU_DEP_1)
	v_div_fmas_f32 v113, v113, v119, v120
	v_div_fixup_f32 v113, v113, v110, v111
	s_delay_alu instid0(VALU_DEP_1) | instskip(NEXT) | instid1(VALU_DEP_1)
	v_fmac_f32_e32 v110, v111, v113
	v_div_scale_f32 v111, null, v110, v110, 1.0
	s_delay_alu instid0(VALU_DEP_1) | instskip(SKIP_1) | instid1(TRANS32_DEP_1)
	v_rcp_f32_e32 v119, v111
	v_nop
	v_fma_f32 v120, -v111, v119, 1.0
	s_delay_alu instid0(VALU_DEP_1) | instskip(SKIP_1) | instid1(VALU_DEP_1)
	v_fmac_f32_e32 v119, v120, v119
	v_div_scale_f32 v120, vcc_lo, 1.0, v110, 1.0
	v_mul_f32_e32 v121, v120, v119
	s_delay_alu instid0(VALU_DEP_1) | instskip(NEXT) | instid1(VALU_DEP_1)
	v_fma_f32 v122, -v111, v121, v120
	v_fmac_f32_e32 v121, v122, v119
	s_delay_alu instid0(VALU_DEP_1) | instskip(NEXT) | instid1(VALU_DEP_1)
	v_fma_f32 v111, -v111, v121, v120
	v_div_fmas_f32 v111, v111, v119, v121
	s_delay_alu instid0(VALU_DEP_1) | instskip(NEXT) | instid1(VALU_DEP_1)
	v_div_fixup_f32 v110, v111, v110, 1.0
	v_mul_f32_e64 v111, v113, -v110
.LBB102_1059:
	s_or_b32 exec_lo, exec_lo, s1
.LBB102_1060:
	s_delay_alu instid0(SALU_CYCLE_1) | instskip(NEXT) | instid1(SALU_CYCLE_1)
	s_or_b32 exec_lo, exec_lo, s0
	s_mov_b32 s0, exec_lo
	v_cmpx_ne_u32_e64 v118, v112
	s_xor_b32 s0, exec_lo, s0
	s_cbranch_execz .LBB102_1066
; %bb.1061:
	s_mov_b32 s1, exec_lo
	v_cmpx_eq_u32_e32 50, v118
	s_cbranch_execz .LBB102_1065
; %bb.1062:
	v_cmp_ne_u32_e32 vcc_lo, 50, v112
	s_xor_b32 s12, s16, -1
	s_delay_alu instid0(SALU_CYCLE_1) | instskip(NEXT) | instid1(SALU_CYCLE_1)
	s_and_b32 s13, s12, vcc_lo
	s_and_saveexec_b32 s12, s13
	s_cbranch_execz .LBB102_1064
; %bb.1063:
	v_ashrrev_i32_e32 v113, 31, v112
	s_delay_alu instid0(VALU_DEP_1)
	v_lshl_add_u64 v[118:119], v[112:113], 2, v[4:5]
	s_clause 0x1
	global_load_b32 v113, v[118:119], off
	global_load_b32 v117, v[4:5], off offset:200
	s_wait_loadcnt 0x1
	global_store_b32 v[4:5], v113, off offset:200
	s_wait_loadcnt 0x0
	global_store_b32 v[118:119], v117, off
.LBB102_1064:
	s_wait_xcnt 0x0
	s_or_b32 exec_lo, exec_lo, s12
	v_dual_mov_b32 v118, v112 :: v_dual_mov_b32 v117, v112
.LBB102_1065:
	s_or_b32 exec_lo, exec_lo, s1
.LBB102_1066:
	s_and_not1_saveexec_b32 s0, s0
; %bb.1067:
	v_mov_b32_e32 v118, 50
	ds_store_b64 v114, v[108:109] offset:408
; %bb.1068:
	s_or_b32 exec_lo, exec_lo, s0
	s_delay_alu instid0(SALU_CYCLE_1)
	s_mov_b32 s0, exec_lo
	s_wait_storecnt_dscnt 0x0
	s_barrier_signal -1
	s_barrier_wait -1
	v_cmpx_lt_i32_e32 50, v118
	s_cbranch_execz .LBB102_1070
; %bb.1069:
	ds_load_b64 v[112:113], v114 offset:408
	v_pk_mul_f32 v[120:121], v[110:111], v[14:15] op_sel:[1,1] op_sel_hi:[0,1]
	s_delay_alu instid0(VALU_DEP_1) | instskip(SKIP_2) | instid1(VALU_DEP_2)
	v_pk_fma_f32 v[122:123], v[110:111], v[14:15], v[120:121] op_sel_hi:[1,0,1]
	v_pk_fma_f32 v[14:15], v[110:111], v[14:15], v[120:121] op_sel_hi:[1,0,1] neg_lo:[0,0,1] neg_hi:[0,0,1]
	s_wait_dscnt 0x0
	v_pk_mul_f32 v[110:111], v[112:113], v[122:123] op_sel:[1,1] op_sel_hi:[0,1]
	s_delay_alu instid0(VALU_DEP_1) | instskip(SKIP_1) | instid1(VALU_DEP_2)
	v_pk_fma_f32 v[120:121], v[112:113], v[14:15], v[110:111] op_sel_hi:[1,0,1]
	v_pk_fma_f32 v[110:111], v[112:113], v[14:15], v[110:111] neg_lo:[0,0,1] neg_hi:[0,0,1]
	v_dual_mov_b32 v15, v123 :: v_dual_mov_b32 v111, v121
	s_delay_alu instid0(VALU_DEP_1)
	v_pk_add_f32 v[108:109], v[108:109], v[110:111] neg_lo:[0,1] neg_hi:[0,1]
.LBB102_1070:
	s_or_b32 exec_lo, exec_lo, s0
	v_lshl_add_u32 v110, v118, 3, v114
	s_barrier_signal -1
	s_barrier_wait -1
	ds_store_b64 v110, v[108:109]
	s_wait_dscnt 0x0
	s_barrier_signal -1
	s_barrier_wait -1
	ds_load_b64 v[110:111], v114 offset:408
	v_mov_b32_e32 v112, 51
	s_cmp_lt_i32 s18, 53
	s_cbranch_scc1 .LBB102_1073
; %bb.1071:
	v_add3_u32 v113, v115, 0, 0x1a0
	v_mov_b32_e32 v112, 51
	s_mov_b32 s0, 52
.LBB102_1072:                           ; =>This Inner Loop Header: Depth=1
	ds_load_b64 v[114:115], v113
	s_wait_dscnt 0x1
	v_cmp_gt_f32_e32 vcc_lo, 0, v110
	v_cndmask_b32_e64 v120, v110, -v110, vcc_lo
	v_cmp_gt_f32_e32 vcc_lo, 0, v111
	v_cndmask_b32_e64 v122, v111, -v111, vcc_lo
	s_wait_dscnt 0x0
	v_cmp_gt_f32_e32 vcc_lo, 0, v114
	v_cndmask_b32_e64 v121, v114, -v114, vcc_lo
	v_cmp_gt_f32_e32 vcc_lo, 0, v115
	v_cndmask_b32_e64 v123, v115, -v115, vcc_lo
	s_delay_alu instid0(VALU_DEP_1) | instskip(NEXT) | instid1(VALU_DEP_1)
	v_pk_add_f32 v[120:121], v[120:121], v[122:123]
	v_cmp_lt_f32_e32 vcc_lo, v120, v121
	v_dual_add_nc_u32 v113, 8, v113 :: v_dual_cndmask_b32 v111, v111, v115, vcc_lo
	v_cndmask_b32_e32 v110, v110, v114, vcc_lo
	v_cndmask_b32_e64 v112, v112, s0, vcc_lo
	s_add_co_i32 s0, s0, 1
	s_delay_alu instid0(SALU_CYCLE_1)
	s_cmp_lg_u32 s18, s0
	s_cbranch_scc1 .LBB102_1072
.LBB102_1073:
	s_wait_dscnt 0x0
	v_cmp_eq_f32_e32 vcc_lo, 0, v110
	v_cmp_eq_f32_e64 s0, 0, v111
	s_and_b32 s0, vcc_lo, s0
	s_delay_alu instid0(SALU_CYCLE_1) | instskip(NEXT) | instid1(SALU_CYCLE_1)
	s_and_saveexec_b32 s1, s0
	s_xor_b32 s0, exec_lo, s1
; %bb.1074:
	v_cmp_ne_u32_e32 vcc_lo, 0, v116
	v_cndmask_b32_e32 v116, 52, v116, vcc_lo
; %bb.1075:
	s_and_not1_saveexec_b32 s0, s0
	s_cbranch_execz .LBB102_1081
; %bb.1076:
	v_cmp_ngt_f32_e64 s1, |v110|, |v111|
	s_and_saveexec_b32 s12, s1
	s_delay_alu instid0(SALU_CYCLE_1)
	s_xor_b32 s1, exec_lo, s12
	s_cbranch_execz .LBB102_1078
; %bb.1077:
	v_div_scale_f32 v113, null, v111, v111, v110
	v_div_scale_f32 v119, vcc_lo, v110, v111, v110
	s_delay_alu instid0(VALU_DEP_2) | instskip(SKIP_1) | instid1(TRANS32_DEP_1)
	v_rcp_f32_e32 v114, v113
	v_nop
	v_fma_f32 v115, -v113, v114, 1.0
	s_delay_alu instid0(VALU_DEP_1) | instskip(NEXT) | instid1(VALU_DEP_1)
	v_fmac_f32_e32 v114, v115, v114
	v_mul_f32_e32 v115, v119, v114
	s_delay_alu instid0(VALU_DEP_1) | instskip(NEXT) | instid1(VALU_DEP_1)
	v_fma_f32 v120, -v113, v115, v119
	v_fmac_f32_e32 v115, v120, v114
	s_delay_alu instid0(VALU_DEP_1) | instskip(NEXT) | instid1(VALU_DEP_1)
	v_fma_f32 v113, -v113, v115, v119
	v_div_fmas_f32 v113, v113, v114, v115
	s_delay_alu instid0(VALU_DEP_1) | instskip(NEXT) | instid1(VALU_DEP_1)
	v_div_fixup_f32 v113, v113, v111, v110
	v_fmac_f32_e32 v111, v110, v113
	s_delay_alu instid0(VALU_DEP_1) | instskip(SKIP_1) | instid1(VALU_DEP_2)
	v_div_scale_f32 v110, null, v111, v111, 1.0
	v_div_scale_f32 v119, vcc_lo, 1.0, v111, 1.0
	v_rcp_f32_e32 v114, v110
	v_nop
	s_delay_alu instid0(TRANS32_DEP_1) | instskip(NEXT) | instid1(VALU_DEP_1)
	v_fma_f32 v115, -v110, v114, 1.0
	v_fmac_f32_e32 v114, v115, v114
	s_delay_alu instid0(VALU_DEP_1) | instskip(NEXT) | instid1(VALU_DEP_1)
	v_mul_f32_e32 v115, v119, v114
	v_fma_f32 v120, -v110, v115, v119
	s_delay_alu instid0(VALU_DEP_1) | instskip(NEXT) | instid1(VALU_DEP_1)
	v_fmac_f32_e32 v115, v120, v114
	v_fma_f32 v110, -v110, v115, v119
	s_delay_alu instid0(VALU_DEP_1) | instskip(NEXT) | instid1(VALU_DEP_1)
	v_div_fmas_f32 v110, v110, v114, v115
	v_div_fixup_f32 v111, v110, v111, 1.0
	s_delay_alu instid0(VALU_DEP_1)
	v_mul_f32_e32 v110, v113, v111
	v_xor_b32_e32 v111, 0x80000000, v111
.LBB102_1078:
	s_and_not1_saveexec_b32 s1, s1
	s_cbranch_execz .LBB102_1080
; %bb.1079:
	s_delay_alu instid0(VALU_DEP_1) | instskip(SKIP_1) | instid1(VALU_DEP_2)
	v_div_scale_f32 v113, null, v110, v110, v111
	v_div_scale_f32 v119, vcc_lo, v111, v110, v111
	v_rcp_f32_e32 v114, v113
	v_nop
	s_delay_alu instid0(TRANS32_DEP_1) | instskip(NEXT) | instid1(VALU_DEP_1)
	v_fma_f32 v115, -v113, v114, 1.0
	v_fmac_f32_e32 v114, v115, v114
	s_delay_alu instid0(VALU_DEP_1) | instskip(NEXT) | instid1(VALU_DEP_1)
	v_mul_f32_e32 v115, v119, v114
	v_fma_f32 v120, -v113, v115, v119
	s_delay_alu instid0(VALU_DEP_1) | instskip(NEXT) | instid1(VALU_DEP_1)
	v_fmac_f32_e32 v115, v120, v114
	v_fma_f32 v113, -v113, v115, v119
	s_delay_alu instid0(VALU_DEP_1) | instskip(NEXT) | instid1(VALU_DEP_1)
	v_div_fmas_f32 v113, v113, v114, v115
	v_div_fixup_f32 v113, v113, v110, v111
	s_delay_alu instid0(VALU_DEP_1) | instskip(NEXT) | instid1(VALU_DEP_1)
	v_fmac_f32_e32 v110, v111, v113
	v_div_scale_f32 v111, null, v110, v110, 1.0
	s_delay_alu instid0(VALU_DEP_1) | instskip(SKIP_1) | instid1(TRANS32_DEP_1)
	v_rcp_f32_e32 v114, v111
	v_nop
	v_fma_f32 v115, -v111, v114, 1.0
	s_delay_alu instid0(VALU_DEP_1) | instskip(SKIP_1) | instid1(VALU_DEP_1)
	v_fmac_f32_e32 v114, v115, v114
	v_div_scale_f32 v115, vcc_lo, 1.0, v110, 1.0
	v_mul_f32_e32 v119, v115, v114
	s_delay_alu instid0(VALU_DEP_1) | instskip(NEXT) | instid1(VALU_DEP_1)
	v_fma_f32 v120, -v111, v119, v115
	v_fmac_f32_e32 v119, v120, v114
	s_delay_alu instid0(VALU_DEP_1) | instskip(NEXT) | instid1(VALU_DEP_1)
	v_fma_f32 v111, -v111, v119, v115
	v_div_fmas_f32 v111, v111, v114, v119
	s_delay_alu instid0(VALU_DEP_1) | instskip(NEXT) | instid1(VALU_DEP_1)
	v_div_fixup_f32 v110, v111, v110, 1.0
	v_mul_f32_e64 v111, v113, -v110
.LBB102_1080:
	s_or_b32 exec_lo, exec_lo, s1
.LBB102_1081:
	s_delay_alu instid0(SALU_CYCLE_1)
	s_or_b32 exec_lo, exec_lo, s0
	v_mov_b32_e32 v114, 51
	s_mov_b32 s0, exec_lo
	v_cmpx_ne_u32_e64 v118, v112
	s_cbranch_execz .LBB102_1087
; %bb.1082:
	s_mov_b32 s1, exec_lo
	v_cmpx_eq_u32_e32 51, v118
	s_cbranch_execz .LBB102_1086
; %bb.1083:
	v_cmp_ne_u32_e32 vcc_lo, 51, v112
	s_xor_b32 s12, s16, -1
	s_delay_alu instid0(SALU_CYCLE_1) | instskip(NEXT) | instid1(SALU_CYCLE_1)
	s_and_b32 s13, s12, vcc_lo
	s_and_saveexec_b32 s12, s13
	s_cbranch_execz .LBB102_1085
; %bb.1084:
	v_ashrrev_i32_e32 v113, 31, v112
	s_delay_alu instid0(VALU_DEP_1)
	v_lshl_add_u64 v[114:115], v[112:113], 2, v[4:5]
	s_clause 0x1
	global_load_b32 v113, v[114:115], off
	global_load_b32 v117, v[4:5], off offset:204
	s_wait_loadcnt 0x1
	global_store_b32 v[4:5], v113, off offset:204
	s_wait_loadcnt 0x0
	global_store_b32 v[114:115], v117, off
.LBB102_1085:
	s_wait_xcnt 0x0
	s_or_b32 exec_lo, exec_lo, s12
	v_dual_mov_b32 v118, v112 :: v_dual_mov_b32 v117, v112
.LBB102_1086:
	s_or_b32 exec_lo, exec_lo, s1
	s_delay_alu instid0(VALU_DEP_1)
	v_mov_b32_e32 v114, v118
.LBB102_1087:
	s_or_b32 exec_lo, exec_lo, s0
	s_delay_alu instid0(VALU_DEP_1)
	v_ashrrev_i32_e32 v115, 31, v114
	s_mov_b32 s0, exec_lo
	s_wait_storecnt 0x0
	s_barrier_signal -1
	s_barrier_wait -1
	s_barrier_signal -1
	s_barrier_wait -1
	v_cmpx_gt_i32_e32 52, v114
	s_cbranch_execz .LBB102_1089
; %bb.1088:
	v_mul_u64_e32 v[4:5], s[10:11], v[2:3]
	v_add3_u32 v112, v117, s17, 1
	s_delay_alu instid0(VALU_DEP_2) | instskip(NEXT) | instid1(VALU_DEP_1)
	v_lshl_add_u64 v[4:5], v[4:5], 2, s[6:7]
	v_lshl_add_u64 v[4:5], s[8:9], 2, v[4:5]
	s_delay_alu instid0(VALU_DEP_1)
	v_lshl_add_u64 v[4:5], v[114:115], 2, v[4:5]
	global_store_b32 v[4:5], v112, off
.LBB102_1089:
	s_wait_xcnt 0x0
	s_or_b32 exec_lo, exec_lo, s0
	s_delay_alu instid0(SALU_CYCLE_1)
	s_mov_b32 s1, exec_lo
	v_cmpx_eq_u32_e32 0, v114
	s_cbranch_execz .LBB102_1092
; %bb.1090:
	s_wait_kmcnt 0x0
	v_lshl_add_u64 v[2:3], v[2:3], 2, s[4:5]
	v_cmp_ne_u32_e64 s0, 0, v116
	global_load_b32 v4, v[2:3], off
	s_wait_loadcnt 0x0
	v_cmp_eq_u32_e32 vcc_lo, 0, v4
	s_and_b32 s0, vcc_lo, s0
	s_wait_xcnt 0x0
	s_and_b32 exec_lo, exec_lo, s0
	s_cbranch_execz .LBB102_1092
; %bb.1091:
	v_add_nc_u32_e32 v4, s17, v116
	global_store_b32 v[2:3], v4, off
.LBB102_1092:
	s_wait_xcnt 0x0
	s_or_b32 exec_lo, exec_lo, s1
	v_add3_u32 v4, s2, s2, v114
	v_pk_mul_f32 v[2:3], v[110:111], v[108:109] op_sel:[1,1] op_sel_hi:[0,1]
	v_cmp_lt_i32_e32 vcc_lo, 51, v114
	v_lshl_add_u64 v[114:115], v[114:115], 3, v[0:1]
	s_delay_alu instid0(VALU_DEP_4) | instskip(NEXT) | instid1(VALU_DEP_4)
	v_add_nc_u32_e32 v112, s2, v4
	v_pk_fma_f32 v[138:139], v[110:111], v[108:109], v[2:3] op_sel_hi:[1,0,1]
	v_pk_fma_f32 v[2:3], v[110:111], v[108:109], v[2:3] neg_lo:[0,0,1] neg_hi:[0,0,1]
	global_store_b64 v[114:115], v[106:107], off
	s_wait_xcnt 0x0
	v_lshl_add_u64 v[106:107], s[2:3], 3, v[114:115]
	v_dual_cndmask_b32 v3, v109, v139 :: v_dual_add_nc_u32 v116, s2, v112
	s_delay_alu instid0(VALU_DEP_1) | instskip(NEXT) | instid1(VALU_DEP_1)
	v_dual_cndmask_b32 v2, v108, v2, vcc_lo :: v_dual_add_nc_u32 v118, s2, v116
	v_add_nc_u32_e32 v120, s2, v118
	s_delay_alu instid0(VALU_DEP_1) | instskip(NEXT) | instid1(VALU_DEP_1)
	v_add_nc_u32_e32 v122, s2, v120
	v_add_nc_u32_e32 v124, s2, v122
	s_delay_alu instid0(VALU_DEP_1) | instskip(NEXT) | instid1(VALU_DEP_1)
	v_add_nc_u32_e32 v126, s2, v124
	v_add_nc_u32_e32 v128, s2, v126
	s_delay_alu instid0(VALU_DEP_1) | instskip(NEXT) | instid1(VALU_DEP_1)
	v_dual_ashrrev_i32 v119, 31, v118 :: v_dual_add_nc_u32 v130, s2, v128
	v_dual_ashrrev_i32 v129, 31, v128 :: v_dual_ashrrev_i32 v131, 31, v130
	v_dual_add_nc_u32 v132, s2, v130 :: v_dual_ashrrev_i32 v121, 31, v120
	s_delay_alu instid0(VALU_DEP_1) | instskip(NEXT) | instid1(VALU_DEP_1)
	v_dual_ashrrev_i32 v123, 31, v122 :: v_dual_add_nc_u32 v134, s2, v132
	v_add_nc_u32_e32 v136, s2, v134
	v_ashrrev_i32_e32 v127, 31, v126
	s_delay_alu instid0(VALU_DEP_2) | instskip(NEXT) | instid1(VALU_DEP_1)
	v_dual_ashrrev_i32 v135, 31, v134 :: v_dual_add_nc_u32 v110, s2, v136
	v_dual_ashrrev_i32 v5, 31, v4 :: v_dual_add_nc_u32 v108, s2, v110
	s_delay_alu instid0(VALU_DEP_1)
	v_lshl_add_u64 v[4:5], v[4:5], 3, v[0:1]
	s_clause 0x1
	global_store_b64 v[106:107], v[104:105], off
	global_store_b64 v[4:5], v[102:103], off
	v_add_nc_u32_e32 v114, s2, v108
	s_wait_xcnt 0x0
	s_delay_alu instid0(VALU_DEP_1) | instskip(SKIP_1) | instid1(VALU_DEP_2)
	v_dual_add_nc_u32 v4, s2, v114 :: v_dual_ashrrev_i32 v137, 31, v136
	v_ashrrev_i32_e32 v111, 31, v110
	v_dual_ashrrev_i32 v115, 31, v114 :: v_dual_add_nc_u32 v102, s2, v4
	v_ashrrev_i32_e32 v113, 31, v112
	s_delay_alu instid0(VALU_DEP_2) | instskip(NEXT) | instid1(VALU_DEP_2)
	v_dual_ashrrev_i32 v5, 31, v4 :: v_dual_ashrrev_i32 v103, 31, v102
	v_lshl_add_u64 v[104:105], v[112:113], 3, v[0:1]
	v_lshl_add_u64 v[112:113], v[118:119], 3, v[0:1]
	v_dual_add_nc_u32 v118, s2, v102 :: v_dual_ashrrev_i32 v117, 31, v116
	s_delay_alu instid0(VALU_DEP_4) | instskip(NEXT) | instid1(VALU_DEP_2)
	v_lshl_add_u64 v[4:5], v[4:5], 3, v[0:1]
	v_ashrrev_i32_e32 v119, 31, v118
	s_delay_alu instid0(VALU_DEP_3)
	v_lshl_add_u64 v[106:107], v[116:117], 3, v[0:1]
	v_lshl_add_u64 v[116:117], v[120:121], 3, v[0:1]
	s_clause 0x3
	global_store_b64 v[104:105], v[100:101], off
	global_store_b64 v[106:107], v[86:87], off
	;; [unrolled: 1-line block ×4, first 2 shown]
	s_wait_xcnt 0x1
	v_dual_add_nc_u32 v82, s2, v118 :: v_dual_ashrrev_i32 v125, 31, v124
	v_lshl_add_u64 v[86:87], v[122:123], 3, v[0:1]
	v_lshl_add_u64 v[104:105], v[126:127], 3, v[0:1]
	v_lshl_add_u64 v[106:107], v[128:129], 3, v[0:1]
	s_wait_xcnt 0x0
	v_add_nc_u32_e32 v84, s2, v82
	v_lshl_add_u64 v[100:101], v[124:125], 3, v[0:1]
	s_clause 0x3
	global_store_b64 v[86:87], v[26:27], off
	global_store_b64 v[100:101], v[98:99], off
	;; [unrolled: 1-line block ×4, first 2 shown]
	v_add_nc_u32_e32 v112, s2, v84
	s_wait_xcnt 0x1
	v_lshl_add_u64 v[94:95], v[130:131], 3, v[0:1]
	v_lshl_add_u64 v[98:99], v[134:135], 3, v[0:1]
	;; [unrolled: 1-line block ×3, first 2 shown]
	v_ashrrev_i32_e32 v85, 31, v84
	v_add_nc_u32_e32 v26, s2, v112
	v_dual_ashrrev_i32 v133, 31, v132 :: v_dual_ashrrev_i32 v83, 31, v82
	s_delay_alu instid0(VALU_DEP_2) | instskip(SKIP_1) | instid1(VALU_DEP_2)
	v_add_nc_u32_e32 v86, s2, v26
	s_wait_xcnt 0x0
	v_lshl_add_u64 v[96:97], v[132:133], 3, v[0:1]
	s_clause 0x3
	global_store_b64 v[94:95], v[38:39], off
	global_store_b64 v[96:97], v[92:93], off
	;; [unrolled: 1-line block ×4, first 2 shown]
	v_add_nc_u32_e32 v104, s2, v86
	s_wait_xcnt 0x0
	v_lshl_add_u64 v[90:91], v[110:111], 3, v[0:1]
	v_lshl_add_u64 v[94:95], v[114:115], 3, v[0:1]
	v_ashrrev_i32_e32 v27, 31, v26
	v_dual_ashrrev_i32 v87, 31, v86 :: v_dual_add_nc_u32 v38, s2, v104
	v_ashrrev_i32_e32 v109, 31, v108
	s_delay_alu instid0(VALU_DEP_3) | instskip(NEXT) | instid1(VALU_DEP_3)
	v_lshl_add_u64 v[26:27], v[26:27], 3, v[0:1]
	v_add_nc_u32_e32 v88, s2, v38
	s_delay_alu instid0(VALU_DEP_3)
	v_lshl_add_u64 v[92:93], v[108:109], 3, v[0:1]
	s_clause 0x3
	global_store_b64 v[90:91], v[32:33], off
	global_store_b64 v[92:93], v[80:81], off
	;; [unrolled: 1-line block ×4, first 2 shown]
	v_add_nc_u32_e32 v96, s2, v88
	s_wait_xcnt 0x1
	v_lshl_add_u64 v[76:77], v[102:103], 3, v[0:1]
	v_lshl_add_u64 v[80:81], v[82:83], 3, v[0:1]
	;; [unrolled: 1-line block ×3, first 2 shown]
	s_wait_xcnt 0x0
	v_lshl_add_u64 v[78:79], v[118:119], 3, v[0:1]
	v_add_nc_u32_e32 v4, s2, v96
	s_clause 0x3
	global_store_b64 v[76:77], v[24:25], off
	global_store_b64 v[78:79], v[74:75], off
	;; [unrolled: 1-line block ×4, first 2 shown]
	s_wait_xcnt 0x2
	v_lshl_add_u64 v[74:75], v[86:87], 3, v[0:1]
	v_dual_add_nc_u32 v32, s2, v4 :: v_dual_ashrrev_i32 v39, 31, v38
	s_delay_alu instid0(VALU_DEP_1) | instskip(NEXT) | instid1(VALU_DEP_2)
	v_add_nc_u32_e32 v84, s2, v32
	v_lshl_add_u64 v[38:39], v[38:39], 3, v[0:1]
	s_delay_alu instid0(VALU_DEP_2) | instskip(SKIP_1) | instid1(VALU_DEP_1)
	v_add_nc_u32_e32 v24, s2, v84
	s_wait_xcnt 0x1
	v_add_nc_u32_e32 v70, s2, v24
	v_ashrrev_i32_e32 v113, 31, v112
	v_ashrrev_i32_e32 v5, 31, v4
	s_delay_alu instid0(VALU_DEP_3)
	v_dual_ashrrev_i32 v25, 31, v24 :: v_dual_add_nc_u32 v78, s2, v70
	v_ashrrev_i32_e32 v105, 31, v104
	s_wait_xcnt 0x0
	v_lshl_add_u64 v[72:73], v[112:113], 3, v[0:1]
	v_ashrrev_i32_e32 v71, 31, v70
	v_lshl_add_u64 v[4:5], v[4:5], 3, v[0:1]
	v_lshl_add_u64 v[24:25], v[24:25], 3, v[0:1]
	;; [unrolled: 1-line block ×3, first 2 shown]
	s_clause 0x3
	global_store_b64 v[72:73], v[22:23], off
	global_store_b64 v[26:27], v[68:69], off
	;; [unrolled: 1-line block ×4, first 2 shown]
	s_wait_xcnt 0x3
	v_dual_add_nc_u32 v22, s2, v78 :: v_dual_ashrrev_i32 v89, 31, v88
	v_dual_ashrrev_i32 v33, 31, v32 :: v_dual_ashrrev_i32 v79, 31, v78
	s_wait_xcnt 0x2
	s_delay_alu instid0(VALU_DEP_2) | instskip(SKIP_3) | instid1(VALU_DEP_3)
	v_dual_add_nc_u32 v26, s2, v22 :: v_dual_ashrrev_i32 v97, 31, v96
	s_wait_xcnt 0x1
	v_lshl_add_u64 v[64:65], v[88:89], 3, v[0:1]
	v_dual_ashrrev_i32 v85, 31, v84 :: v_dual_ashrrev_i32 v23, 31, v22
	v_add_nc_u32_e32 v68, s2, v26
	s_wait_xcnt 0x0
	v_lshl_add_u64 v[66:67], v[96:97], 3, v[0:1]
	s_clause 0x3
	global_store_b64 v[38:39], v[20:21], off
	global_store_b64 v[64:65], v[62:63], off
	;; [unrolled: 1-line block ×4, first 2 shown]
	s_wait_xcnt 0x0
	v_add_nc_u32_e32 v4, s2, v68
	v_lshl_add_u64 v[32:33], v[32:33], 3, v[0:1]
	v_ashrrev_i32_e32 v27, 31, v26
	v_lshl_add_u64 v[38:39], v[84:85], 3, v[0:1]
	v_lshl_add_u64 v[58:59], v[70:71], 3, v[0:1]
	v_dual_add_nc_u32 v20, s2, v4 :: v_dual_ashrrev_i32 v5, 31, v4
	s_clause 0x3
	global_store_b64 v[32:33], v[18:19], off
	global_store_b64 v[38:39], v[56:57], off
	global_store_b64 v[24:25], v[52:53], off
	global_store_b64 v[58:59], v[54:55], off
	s_wait_xcnt 0x3
	v_lshl_add_u64 v[32:33], v[78:79], 3, v[0:1]
	v_lshl_add_u64 v[22:23], v[22:23], 3, v[0:1]
	v_dual_add_nc_u32 v60, s2, v20 :: v_dual_ashrrev_i32 v21, 31, v20
	v_lshl_add_u64 v[26:27], v[26:27], 3, v[0:1]
	v_lshl_add_u64 v[4:5], v[4:5], 3, v[0:1]
	s_delay_alu instid0(VALU_DEP_3) | instskip(SKIP_3) | instid1(VALU_DEP_3)
	v_dual_add_nc_u32 v18, s2, v60 :: v_dual_ashrrev_i32 v61, 31, v60
	v_ashrrev_i32_e32 v69, 31, v68
	v_lshl_add_u64 v[20:21], v[20:21], 3, v[0:1]
	s_wait_xcnt 0x1
	v_dual_add_nc_u32 v24, s2, v18 :: v_dual_ashrrev_i32 v19, 31, v18
	s_delay_alu instid0(VALU_DEP_3)
	v_lshl_add_u64 v[38:39], v[68:69], 3, v[0:1]
	s_clause 0x3
	global_store_b64 v[32:33], v[12:13], off
	global_store_b64 v[22:23], v[50:51], off
	;; [unrolled: 1-line block ×4, first 2 shown]
	v_add_nc_u32_e32 v52, s2, v24
	s_wait_xcnt 0x1
	v_lshl_add_u64 v[26:27], v[60:61], 3, v[0:1]
	v_lshl_add_u64 v[18:19], v[18:19], 3, v[0:1]
	s_clause 0x3
	global_store_b64 v[4:5], v[10:11], off
	global_store_b64 v[20:21], v[44:45], off
	;; [unrolled: 1-line block ×4, first 2 shown]
	v_add_nc_u32_e32 v12, s2, v52
	s_delay_alu instid0(VALU_DEP_1) | instskip(NEXT) | instid1(VALU_DEP_1)
	v_add_nc_u32_e32 v22, s2, v12
	v_dual_add_nc_u32 v32, s2, v22 :: v_dual_ashrrev_i32 v53, 31, v52
	v_dual_ashrrev_i32 v13, 31, v12 :: v_dual_ashrrev_i32 v23, 31, v22
	s_wait_xcnt 0x3
	s_delay_alu instid0(VALU_DEP_2)
	v_add_nc_u32_e32 v4, s2, v32
	s_wait_xcnt 0x2
	v_lshl_add_u64 v[20:21], v[52:53], 3, v[0:1]
	v_lshl_add_u64 v[12:13], v[12:13], 3, v[0:1]
	;; [unrolled: 1-line block ×3, first 2 shown]
	v_dual_add_nc_u32 v10, s2, v4 :: v_dual_ashrrev_i32 v5, 31, v4
	s_delay_alu instid0(VALU_DEP_1) | instskip(NEXT) | instid1(VALU_DEP_2)
	v_dual_ashrrev_i32 v25, 31, v24 :: v_dual_ashrrev_i32 v11, 31, v10
	v_lshl_add_u64 v[4:5], v[4:5], 3, v[0:1]
	s_wait_xcnt 0x0
	s_delay_alu instid0(VALU_DEP_2)
	v_lshl_add_u64 v[18:19], v[24:25], 3, v[0:1]
	v_add_nc_u32_e32 v24, s2, v10
	s_clause 0x3
	global_store_b64 v[18:19], v[6:7], off
	global_store_b64 v[20:21], v[36:37], off
	;; [unrolled: 1-line block ×4, first 2 shown]
	s_wait_xcnt 0x3
	v_add_nc_u32_e32 v6, s2, v24
	v_ashrrev_i32_e32 v33, 31, v32
	v_ashrrev_i32_e32 v25, 31, v24
	v_lshl_add_u64 v[10:11], v[10:11], 3, v[0:1]
	s_delay_alu instid0(VALU_DEP_4) | instskip(SKIP_3) | instid1(VALU_DEP_3)
	v_ashrrev_i32_e32 v7, 31, v6
	s_wait_xcnt 0x1
	v_lshl_add_u64 v[12:13], v[32:33], 3, v[0:1]
	v_lshl_add_u64 v[18:19], v[24:25], 3, v[0:1]
	;; [unrolled: 1-line block ×3, first 2 shown]
	s_clause 0x4
	global_store_b64 v[12:13], v[8:9], off
	global_store_b64 v[4:5], v[28:29], off
	;; [unrolled: 1-line block ×5, first 2 shown]
.LBB102_1093:
	s_sendmsg sendmsg(MSG_DEALLOC_VGPRS)
	s_endpgm
	.section	.rodata,"a",@progbits
	.p2align	6, 0x0
	.amdhsa_kernel _ZN9rocsolver6v33100L18getf2_small_kernelILi52E19rocblas_complex_numIfEiiPS3_EEvT1_T3_lS5_lPS5_llPT2_S5_S5_S7_l
		.amdhsa_group_segment_fixed_size 0
		.amdhsa_private_segment_fixed_size 0
		.amdhsa_kernarg_size 352
		.amdhsa_user_sgpr_count 2
		.amdhsa_user_sgpr_dispatch_ptr 0
		.amdhsa_user_sgpr_queue_ptr 0
		.amdhsa_user_sgpr_kernarg_segment_ptr 1
		.amdhsa_user_sgpr_dispatch_id 0
		.amdhsa_user_sgpr_kernarg_preload_length 0
		.amdhsa_user_sgpr_kernarg_preload_offset 0
		.amdhsa_user_sgpr_private_segment_size 0
		.amdhsa_wavefront_size32 1
		.amdhsa_uses_dynamic_stack 0
		.amdhsa_enable_private_segment 0
		.amdhsa_system_sgpr_workgroup_id_x 1
		.amdhsa_system_sgpr_workgroup_id_y 1
		.amdhsa_system_sgpr_workgroup_id_z 0
		.amdhsa_system_sgpr_workgroup_info 0
		.amdhsa_system_vgpr_workitem_id 1
		.amdhsa_next_free_vgpr 144
		.amdhsa_next_free_sgpr 19
		.amdhsa_named_barrier_count 0
		.amdhsa_reserve_vcc 1
		.amdhsa_float_round_mode_32 0
		.amdhsa_float_round_mode_16_64 0
		.amdhsa_float_denorm_mode_32 3
		.amdhsa_float_denorm_mode_16_64 3
		.amdhsa_fp16_overflow 0
		.amdhsa_memory_ordered 1
		.amdhsa_forward_progress 1
		.amdhsa_inst_pref_size 255
		.amdhsa_round_robin_scheduling 0
		.amdhsa_exception_fp_ieee_invalid_op 0
		.amdhsa_exception_fp_denorm_src 0
		.amdhsa_exception_fp_ieee_div_zero 0
		.amdhsa_exception_fp_ieee_overflow 0
		.amdhsa_exception_fp_ieee_underflow 0
		.amdhsa_exception_fp_ieee_inexact 0
		.amdhsa_exception_int_div_zero 0
	.end_amdhsa_kernel
	.section	.text._ZN9rocsolver6v33100L18getf2_small_kernelILi52E19rocblas_complex_numIfEiiPS3_EEvT1_T3_lS5_lPS5_llPT2_S5_S5_S7_l,"axG",@progbits,_ZN9rocsolver6v33100L18getf2_small_kernelILi52E19rocblas_complex_numIfEiiPS3_EEvT1_T3_lS5_lPS5_llPT2_S5_S5_S7_l,comdat
.Lfunc_end102:
	.size	_ZN9rocsolver6v33100L18getf2_small_kernelILi52E19rocblas_complex_numIfEiiPS3_EEvT1_T3_lS5_lPS5_llPT2_S5_S5_S7_l, .Lfunc_end102-_ZN9rocsolver6v33100L18getf2_small_kernelILi52E19rocblas_complex_numIfEiiPS3_EEvT1_T3_lS5_lPS5_llPT2_S5_S5_S7_l
                                        ; -- End function
	.set _ZN9rocsolver6v33100L18getf2_small_kernelILi52E19rocblas_complex_numIfEiiPS3_EEvT1_T3_lS5_lPS5_llPT2_S5_S5_S7_l.num_vgpr, 144
	.set _ZN9rocsolver6v33100L18getf2_small_kernelILi52E19rocblas_complex_numIfEiiPS3_EEvT1_T3_lS5_lPS5_llPT2_S5_S5_S7_l.num_agpr, 0
	.set _ZN9rocsolver6v33100L18getf2_small_kernelILi52E19rocblas_complex_numIfEiiPS3_EEvT1_T3_lS5_lPS5_llPT2_S5_S5_S7_l.numbered_sgpr, 19
	.set _ZN9rocsolver6v33100L18getf2_small_kernelILi52E19rocblas_complex_numIfEiiPS3_EEvT1_T3_lS5_lPS5_llPT2_S5_S5_S7_l.num_named_barrier, 0
	.set _ZN9rocsolver6v33100L18getf2_small_kernelILi52E19rocblas_complex_numIfEiiPS3_EEvT1_T3_lS5_lPS5_llPT2_S5_S5_S7_l.private_seg_size, 0
	.set _ZN9rocsolver6v33100L18getf2_small_kernelILi52E19rocblas_complex_numIfEiiPS3_EEvT1_T3_lS5_lPS5_llPT2_S5_S5_S7_l.uses_vcc, 1
	.set _ZN9rocsolver6v33100L18getf2_small_kernelILi52E19rocblas_complex_numIfEiiPS3_EEvT1_T3_lS5_lPS5_llPT2_S5_S5_S7_l.uses_flat_scratch, 0
	.set _ZN9rocsolver6v33100L18getf2_small_kernelILi52E19rocblas_complex_numIfEiiPS3_EEvT1_T3_lS5_lPS5_llPT2_S5_S5_S7_l.has_dyn_sized_stack, 0
	.set _ZN9rocsolver6v33100L18getf2_small_kernelILi52E19rocblas_complex_numIfEiiPS3_EEvT1_T3_lS5_lPS5_llPT2_S5_S5_S7_l.has_recursion, 0
	.set _ZN9rocsolver6v33100L18getf2_small_kernelILi52E19rocblas_complex_numIfEiiPS3_EEvT1_T3_lS5_lPS5_llPT2_S5_S5_S7_l.has_indirect_call, 0
	.section	.AMDGPU.csdata,"",@progbits
; Kernel info:
; codeLenInByte = 128988
; TotalNumSgprs: 21
; NumVgprs: 144
; ScratchSize: 0
; MemoryBound: 0
; FloatMode: 240
; IeeeMode: 1
; LDSByteSize: 0 bytes/workgroup (compile time only)
; SGPRBlocks: 0
; VGPRBlocks: 8
; NumSGPRsForWavesPerEU: 21
; NumVGPRsForWavesPerEU: 144
; NamedBarCnt: 0
; Occupancy: 7
; WaveLimiterHint : 0
; COMPUTE_PGM_RSRC2:SCRATCH_EN: 0
; COMPUTE_PGM_RSRC2:USER_SGPR: 2
; COMPUTE_PGM_RSRC2:TRAP_HANDLER: 0
; COMPUTE_PGM_RSRC2:TGID_X_EN: 1
; COMPUTE_PGM_RSRC2:TGID_Y_EN: 1
; COMPUTE_PGM_RSRC2:TGID_Z_EN: 0
; COMPUTE_PGM_RSRC2:TIDIG_COMP_CNT: 1
	.section	.text._ZN9rocsolver6v33100L23getf2_npvt_small_kernelILi52E19rocblas_complex_numIfEiiPS3_EEvT1_T3_lS5_lPT2_S5_S5_,"axG",@progbits,_ZN9rocsolver6v33100L23getf2_npvt_small_kernelILi52E19rocblas_complex_numIfEiiPS3_EEvT1_T3_lS5_lPT2_S5_S5_,comdat
	.globl	_ZN9rocsolver6v33100L23getf2_npvt_small_kernelILi52E19rocblas_complex_numIfEiiPS3_EEvT1_T3_lS5_lPT2_S5_S5_ ; -- Begin function _ZN9rocsolver6v33100L23getf2_npvt_small_kernelILi52E19rocblas_complex_numIfEiiPS3_EEvT1_T3_lS5_lPT2_S5_S5_
	.p2align	8
	.type	_ZN9rocsolver6v33100L23getf2_npvt_small_kernelILi52E19rocblas_complex_numIfEiiPS3_EEvT1_T3_lS5_lPT2_S5_S5_,@function
_ZN9rocsolver6v33100L23getf2_npvt_small_kernelILi52E19rocblas_complex_numIfEiiPS3_EEvT1_T3_lS5_lPT2_S5_S5_: ; @_ZN9rocsolver6v33100L23getf2_npvt_small_kernelILi52E19rocblas_complex_numIfEiiPS3_EEvT1_T3_lS5_lPT2_S5_S5_
; %bb.0:
	s_clause 0x1
	s_load_u16 s14, s[0:1], 0x46
	s_load_b64 s[2:3], s[0:1], 0x30
	s_bfe_u32 s4, ttmp6, 0x40010
	s_bfe_u32 s5, ttmp6, 0x40004
	s_add_co_i32 s4, s4, 1
	s_getreg_b32 s6, hwreg(HW_REG_IB_STS2, 6, 4)
	s_mul_i32 s4, ttmp7, s4
	v_bfe_u32 v42, v0, 10, 10
	s_add_co_i32 s5, s5, s4
	s_cmp_eq_u32 s6, 0
	s_cselect_b32 s4, ttmp7, s5
	s_wait_kmcnt 0x0
	v_mad_u32 v246, s4, s14, v42
	s_delay_alu instid0(VALU_DEP_1)
	v_cmp_gt_i32_e32 vcc_lo, s2, v246
	s_and_saveexec_b32 s2, vcc_lo
	s_cbranch_execz .LBB103_471
; %bb.1:
	s_clause 0x1
	s_load_b32 s12, s[0:1], 0x18
	s_load_b128 s[8:11], s[0:1], 0x8
	v_and_b32_e32 v116, 0x3ff, v0
	s_load_b128 s[4:7], s[0:1], 0x20
	s_mulk_i32 s14, 0x1a0
	v_mad_u32_u24 v118, 0x1a0, v42, 0
	v_ashrrev_i32_e32 v247, 31, v246
	s_wait_xcnt 0x0
	v_cmp_ne_u32_e64 s1, 0, v116
	v_cmp_eq_u32_e64 s0, 0, v116
	v_dual_mov_b32 v35, 0 :: v_dual_lshlrev_b32 v34, 3, v116
	s_wait_kmcnt 0x0
	v_add3_u32 v28, s12, s12, v116
	s_ashr_i32 s13, s12, 31
	v_mul_u64_e32 v[16:17], s[4:5], v[246:247]
	s_delay_alu instid0(VALU_DEP_2) | instskip(NEXT) | instid1(VALU_DEP_1)
	v_add_nc_u32_e32 v20, s12, v28
	v_add_nc_u32_e32 v22, s12, v20
	s_delay_alu instid0(VALU_DEP_1) | instskip(NEXT) | instid1(VALU_DEP_1)
	v_add_nc_u32_e32 v24, s12, v22
	v_add_nc_u32_e32 v26, s12, v24
	s_delay_alu instid0(VALU_DEP_1) | instskip(NEXT) | instid1(VALU_DEP_1)
	v_add_nc_u32_e32 v12, s12, v26
	v_dual_ashrrev_i32 v23, 31, v22 :: v_dual_add_nc_u32 v14, s12, v12
	s_delay_alu instid0(VALU_DEP_1) | instskip(SKIP_2) | instid1(VALU_DEP_3)
	v_dual_add_nc_u32 v18, s12, v14 :: v_dual_ashrrev_i32 v29, 31, v28
	v_dual_ashrrev_i32 v27, 31, v26 :: v_dual_ashrrev_i32 v25, 31, v24
	v_lshl_add_u64 v[16:17], v[16:17], 3, s[8:9]
	v_dual_add_nc_u32 v8, s12, v18 :: v_dual_ashrrev_i32 v19, 31, v18
	v_ashrrev_i32_e32 v15, 31, v14
	s_delay_alu instid0(VALU_DEP_3) | instskip(NEXT) | instid1(VALU_DEP_3)
	v_lshl_add_u64 v[52:53], s[10:11], 3, v[16:17]
	v_dual_add_nc_u32 v0, s12, v8 :: v_dual_ashrrev_i32 v9, 31, v8
	s_delay_alu instid0(VALU_DEP_2) | instskip(NEXT) | instid1(VALU_DEP_2)
	v_lshl_add_u64 v[148:149], v[28:29], 3, v[52:53]
	v_add_nc_u32_e32 v4, s12, v0
	v_lshl_add_u64 v[152:153], v[14:15], 3, v[52:53]
	s_delay_alu instid0(VALU_DEP_4)
	v_lshl_add_u64 v[168:169], v[8:9], 3, v[52:53]
	v_ashrrev_i32_e32 v1, 31, v0
	v_lshl_add_u64 v[166:167], v[18:19], 3, v[52:53]
	v_add_nc_u32_e32 v2, s12, v4
	v_add_nc_u64_e32 v[16:17], v[52:53], v[34:35]
	v_lshl_add_u64 v[164:165], v[22:23], 3, v[52:53]
	v_lshl_add_u64 v[170:171], v[0:1], 3, v[52:53]
	v_lshl_add_u64 v[134:135], v[24:25], 3, v[52:53]
	v_add_nc_u32_e32 v6, s12, v2
	v_lshl_add_u64 v[136:137], v[26:27], 3, v[52:53]
	v_lshl_add_u64 v[174:175], s[12:13], 3, v[16:17]
	s_delay_alu instid0(VALU_DEP_3) | instskip(SKIP_2) | instid1(VALU_DEP_3)
	v_dual_add_nc_u32 v10, s12, v6 :: v_dual_ashrrev_i32 v5, 31, v4
	v_ashrrev_i32_e32 v3, 31, v2
	v_ashrrev_i32_e32 v7, 31, v6
	v_dual_add_nc_u32 v30, s12, v10 :: v_dual_ashrrev_i32 v11, 31, v10
	s_delay_alu instid0(VALU_DEP_4) | instskip(NEXT) | instid1(VALU_DEP_4)
	v_lshl_add_u64 v[172:173], v[4:5], 3, v[52:53]
	v_lshl_add_u64 v[184:185], v[2:3], 3, v[52:53]
	s_delay_alu instid0(VALU_DEP_4) | instskip(NEXT) | instid1(VALU_DEP_4)
	v_lshl_add_u64 v[186:187], v[6:7], 3, v[52:53]
	v_add_nc_u32_e32 v32, s12, v30
	v_lshl_add_u64 v[188:189], v[10:11], 3, v[52:53]
	s_delay_alu instid0(VALU_DEP_2) | instskip(NEXT) | instid1(VALU_DEP_1)
	v_add_nc_u32_e32 v48, s12, v32
	v_add_nc_u32_e32 v50, s12, v48
	v_ashrrev_i32_e32 v21, 31, v20
	s_delay_alu instid0(VALU_DEP_2) | instskip(SKIP_1) | instid1(VALU_DEP_3)
	v_dual_ashrrev_i32 v49, 31, v48 :: v_dual_add_nc_u32 v64, s12, v50
	v_ashrrev_i32_e32 v51, 31, v50
	v_lshl_add_u64 v[154:155], v[20:21], 3, v[52:53]
	s_delay_alu instid0(VALU_DEP_3) | instskip(NEXT) | instid1(VALU_DEP_4)
	v_lshl_add_u64 v[210:211], v[48:49], 3, v[52:53]
	v_dual_add_nc_u32 v28, s12, v64 :: v_dual_ashrrev_i32 v65, 31, v64
	s_delay_alu instid0(VALU_DEP_4) | instskip(NEXT) | instid1(VALU_DEP_2)
	v_lshl_add_u64 v[212:213], v[50:51], 3, v[52:53]
	v_add_nc_u32_e32 v66, s12, v28
	v_ashrrev_i32_e32 v13, 31, v12
	s_delay_alu instid0(VALU_DEP_4) | instskip(NEXT) | instid1(VALU_DEP_2)
	v_lshl_add_u64 v[214:215], v[64:65], 3, v[52:53]
	v_lshl_add_u64 v[150:151], v[12:13], 3, v[52:53]
	s_delay_alu instid0(VALU_DEP_4)
	v_add_nc_u32_e32 v12, s12, v66
	s_clause 0xf
	global_load_b64 v[26:27], v[164:165], off
	global_load_b64 v[22:23], v[134:135], off
	;; [unrolled: 1-line block ×16, first 2 shown]
	v_dual_add_nc_u32 v14, s12, v12 :: v_dual_ashrrev_i32 v13, 31, v12
	s_delay_alu instid0(VALU_DEP_1) | instskip(NEXT) | instid1(VALU_DEP_2)
	v_dual_add_nc_u32 v8, s12, v14 :: v_dual_ashrrev_i32 v29, 31, v28
	v_lshl_add_u64 v[220:221], v[12:13], 3, v[52:53]
	s_delay_alu instid0(VALU_DEP_2) | instskip(NEXT) | instid1(VALU_DEP_3)
	v_add_nc_u32_e32 v0, s12, v8
	v_lshl_add_u64 v[216:217], v[28:29], 3, v[52:53]
	v_ashrrev_i32_e32 v9, 31, v8
	s_delay_alu instid0(VALU_DEP_3) | instskip(NEXT) | instid1(VALU_DEP_2)
	v_dual_add_nc_u32 v4, s12, v0 :: v_dual_ashrrev_i32 v31, 31, v30
	v_lshl_add_u64 v[224:225], v[8:9], 3, v[52:53]
	s_delay_alu instid0(VALU_DEP_2) | instskip(SKIP_1) | instid1(VALU_DEP_4)
	v_add_nc_u32_e32 v2, s12, v4
	v_ashrrev_i32_e32 v33, 31, v32
	v_lshl_add_u64 v[190:191], v[30:31], 3, v[52:53]
	s_delay_alu instid0(VALU_DEP_3) | instskip(NEXT) | instid1(VALU_DEP_3)
	v_add_nc_u32_e32 v6, s12, v2
	v_lshl_add_u64 v[192:193], v[32:33], 3, v[52:53]
	v_ashrrev_i32_e32 v5, 31, v4
	s_clause 0x3
	global_load_b64 v[78:79], v[190:191], off
	global_load_b64 v[74:75], v[192:193], off
	;; [unrolled: 1-line block ×4, first 2 shown]
	v_dual_add_nc_u32 v10, s12, v6 :: v_dual_ashrrev_i32 v7, 31, v6
	v_lshl_add_u64 v[228:229], v[4:5], 3, v[52:53]
	v_ashrrev_i32_e32 v3, 31, v2
	s_delay_alu instid0(VALU_DEP_3) | instskip(NEXT) | instid1(VALU_DEP_4)
	v_add_nc_u32_e32 v18, s12, v10
	v_lshl_add_u64 v[232:233], v[6:7], 3, v[52:53]
	v_ashrrev_i32_e32 v11, 31, v10
	s_delay_alu instid0(VALU_DEP_4) | instskip(NEXT) | instid1(VALU_DEP_4)
	v_lshl_add_u64 v[230:231], v[2:3], 3, v[52:53]
	v_dual_add_nc_u32 v30, s12, v18 :: v_dual_ashrrev_i32 v19, 31, v18
	s_delay_alu instid0(VALU_DEP_3) | instskip(NEXT) | instid1(VALU_DEP_2)
	v_lshl_add_u64 v[234:235], v[10:11], 3, v[52:53]
	v_add_nc_u32_e32 v32, s12, v30
	v_ashrrev_i32_e32 v67, 31, v66
	v_ashrrev_i32_e32 v31, 31, v30
	v_lshl_add_u64 v[236:237], v[18:19], 3, v[52:53]
	s_delay_alu instid0(VALU_DEP_4) | instskip(SKIP_1) | instid1(VALU_DEP_4)
	v_dual_add_nc_u32 v28, s12, v32 :: v_dual_ashrrev_i32 v15, 31, v14
	v_ashrrev_i32_e32 v33, 31, v32
	v_lshl_add_u64 v[238:239], v[30:31], 3, v[52:53]
	v_lshl_add_u64 v[218:219], v[66:67], 3, v[52:53]
	s_delay_alu instid0(VALU_DEP_4)
	v_add_nc_u32_e32 v12, s12, v28
	v_lshl_add_u64 v[222:223], v[14:15], 3, v[52:53]
	v_ashrrev_i32_e32 v29, 31, v28
	v_lshl_add_u64 v[240:241], v[32:33], 3, v[52:53]
	s_clause 0x3
	global_load_b64 v[94:95], v[214:215], off
	global_load_b64 v[90:91], v[216:217], off
	;; [unrolled: 1-line block ×4, first 2 shown]
	v_add_nc_u32_e32 v14, s12, v12
	v_ashrrev_i32_e32 v1, 31, v0
	v_lshl_add_u64 v[242:243], v[28:29], 3, v[52:53]
	s_delay_alu instid0(VALU_DEP_3) | instskip(NEXT) | instid1(VALU_DEP_3)
	v_dual_ashrrev_i32 v13, 31, v12 :: v_dual_add_nc_u32 v8, s12, v14
	v_lshl_add_u64 v[226:227], v[0:1], 3, v[52:53]
	v_ashrrev_i32_e32 v15, 31, v14
	s_clause 0x3
	global_load_b64 v[112:113], v[222:223], off
	global_load_b64 v[108:109], v[224:225], off
	;; [unrolled: 1-line block ×4, first 2 shown]
	v_add_nc_u32_e32 v0, s12, v8
	s_clause 0x3
	global_load_b64 v[128:129], v[230:231], off
	global_load_b64 v[124:125], v[232:233], off
	;; [unrolled: 1-line block ×4, first 2 shown]
	v_lshl_add_u64 v[138:139], v[14:15], 3, v[52:53]
	v_lshl_add_u64 v[244:245], v[12:13], 3, v[52:53]
	v_ashrrev_i32_e32 v9, 31, v8
	v_add_nc_u32_e32 v2, s12, v0
	s_clause 0x3
	global_load_b64 v[146:147], v[238:239], off
	global_load_b64 v[142:143], v[240:241], off
	;; [unrolled: 1-line block ×4, first 2 shown]
	v_ashrrev_i32_e32 v1, 31, v0
	v_lshl_add_u64 v[248:249], v[8:9], 3, v[52:53]
	v_dual_add_nc_u32 v4, s12, v2 :: v_dual_ashrrev_i32 v3, 31, v2
	s_delay_alu instid0(VALU_DEP_3) | instskip(NEXT) | instid1(VALU_DEP_2)
	v_lshl_add_u64 v[250:251], v[0:1], 3, v[52:53]
	v_add_nc_u32_e32 v6, s12, v4
	s_delay_alu instid0(VALU_DEP_3)
	v_lshl_add_u64 v[252:253], v[2:3], 3, v[52:53]
	s_clause 0x3
	global_load_b64 v[162:163], v[138:139], off
	global_load_b64 v[158:159], v[248:249], off
	;; [unrolled: 1-line block ×4, first 2 shown]
	v_add_nc_u32_e32 v10, s12, v6
	s_delay_alu instid0(VALU_DEP_1) | instskip(NEXT) | instid1(VALU_DEP_1)
	v_add_nc_u32_e32 v18, s12, v10
	v_dual_add_nc_u32 v12, s12, v18 :: v_dual_ashrrev_i32 v19, 31, v18
	s_delay_alu instid0(VALU_DEP_1) | instskip(SKIP_1) | instid1(VALU_DEP_3)
	v_dual_ashrrev_i32 v13, 31, v12 :: v_dual_add_nc_u32 v14, s12, v12
	v_ashrrev_i32_e32 v5, 31, v4
	v_lshl_add_u64 v[18:19], v[18:19], 3, v[52:53]
	s_delay_alu instid0(VALU_DEP_3) | instskip(NEXT) | instid1(VALU_DEP_4)
	v_lshl_add_u64 v[12:13], v[12:13], 3, v[52:53]
	v_add_nc_u32_e32 v8, s12, v14
	v_ashrrev_i32_e32 v7, 31, v6
	v_lshl_add_u64 v[254:255], v[4:5], 3, v[52:53]
	s_clause 0x1
	global_load_b64 v[176:177], v[18:19], off
	global_load_b64 v[204:205], v[12:13], off
	v_dual_add_nc_u32 v0, s12, v8 :: v_dual_ashrrev_i32 v11, 31, v10
	v_lshl_add_u64 v[28:29], v[6:7], 3, v[52:53]
	v_ashrrev_i32_e32 v9, 31, v8
	s_clause 0x1
	scratch_store_b64 off, v[18:19], off offset:16
	scratch_store_b64 off, v[12:13], off offset:24
	v_add_nc_u32_e32 v2, s12, v0
	v_lshl_add_u64 v[10:11], v[10:11], 3, v[52:53]
	scratch_store_b64 off, v[28:29], off    ; 8-byte Folded Spill
	s_clause 0x1
	global_load_b64 v[178:179], v[28:29], off
	global_load_b64 v[182:183], v[254:255], off
	v_add_nc_u32_e32 v4, s12, v2
	v_ashrrev_i32_e32 v15, 31, v14
	scratch_store_b64 off, v[10:11], off offset:8 ; 8-byte Folded Spill
	global_load_b64 v[180:181], v[10:11], off
	v_dual_ashrrev_i32 v3, 31, v2 :: v_dual_ashrrev_i32 v5, 31, v4
	v_add_nc_u32_e32 v6, s12, v4
	s_wait_xcnt 0x0
	v_lshl_add_u64 v[10:11], v[14:15], 3, v[52:53]
	v_lshl_add_u64 v[14:15], v[8:9], 3, v[52:53]
	v_ashrrev_i32_e32 v1, 31, v0
	v_lshl_add_u64 v[2:3], v[2:3], 3, v[52:53]
	v_dual_add_nc_u32 v8, s12, v6 :: v_dual_ashrrev_i32 v7, 31, v6
	v_lshl_add_u64 v[4:5], v[4:5], 3, v[52:53]
	s_delay_alu instid0(VALU_DEP_4)
	v_lshl_add_u64 v[18:19], v[0:1], 3, v[52:53]
	s_clause 0x1
	global_load_b64 v[198:199], v[10:11], off
	global_load_b64 v[202:203], v[14:15], off
	v_ashrrev_i32_e32 v9, 31, v8
	v_lshl_add_u64 v[6:7], v[6:7], 3, v[52:53]
	s_clause 0x2
	global_load_b64 v[196:197], v[18:19], off
	global_load_b64 v[200:201], v[2:3], off
	;; [unrolled: 1-line block ×3, first 2 shown]
	v_lshl_add_u64 v[0:1], v[8:9], 3, v[52:53]
	global_load_b64 v[206:207], v[6:7], off
	s_clause 0x3
	scratch_store_b64 off, v[10:11], off offset:32
	scratch_store_b64 off, v[14:15], off offset:40
	;; [unrolled: 1-line block ×4, first 2 shown]
	global_load_b64 v[208:209], v[0:1], off
	s_wait_xcnt 0x0
	v_lshlrev_b32_e32 v0, 3, v42
	s_clause 0x2
	scratch_store_b64 off, v[2:3], off offset:64
	scratch_store_b64 off, v[4:5], off offset:72
	;; [unrolled: 1-line block ×3, first 2 shown]
	v_add3_u32 v117, 0, s14, v0
	s_wait_xcnt 0x0
	s_and_saveexec_b32 s4, s0
	s_cbranch_execz .LBB103_8
; %bb.2:
	s_wait_loadcnt 0x2f
	ds_store_b64 v117, v[98:99]
	s_wait_loadcnt 0x2d
	ds_store_2addr_b64 v118, v[54:55], v[46:47] offset0:1 offset1:2
	s_wait_loadcnt 0x2c
	ds_store_2addr_b64 v118, v[44:45], v[26:27] offset0:3 offset1:4
	ds_store_2addr_b64 v118, v[22:23], v[24:25] offset0:5 offset1:6
	s_wait_loadcnt 0x2b
	ds_store_2addr_b64 v118, v[20:21], v[40:41] offset0:7 offset1:8
	s_wait_loadcnt 0x29
	;; [unrolled: 2-line block ×18, first 2 shown]
	ds_store_2addr_b64 v118, v[178:179], v[180:181] offset0:41 offset1:42
	ds_store_2addr_b64 v118, v[176:177], v[204:205] offset0:43 offset1:44
	s_wait_loadcnt 0x5
	ds_store_2addr_b64 v118, v[198:199], v[202:203] offset0:45 offset1:46
	s_wait_loadcnt 0x3
	;; [unrolled: 2-line block ×4, first 2 shown]
	ds_store_b64 v118, v[208:209] offset:408
	ds_load_b64 v[0:1], v117
	s_wait_dscnt 0x0
	v_cmp_neq_f32_e32 vcc_lo, 0, v0
	v_cmp_neq_f32_e64 s2, 0, v1
	s_or_b32 s2, vcc_lo, s2
	s_delay_alu instid0(SALU_CYCLE_1)
	s_and_b32 exec_lo, exec_lo, s2
	s_cbranch_execz .LBB103_8
; %bb.3:
	v_cmp_ngt_f32_e64 s2, |v0|, |v1|
                                        ; implicit-def: $vgpr2_vgpr3
	s_and_saveexec_b32 s5, s2
	s_delay_alu instid0(SALU_CYCLE_1)
	s_xor_b32 s2, exec_lo, s5
	s_cbranch_execz .LBB103_5
; %bb.4:
	v_div_scale_f32 v2, null, v1, v1, v0
	v_div_scale_f32 v5, vcc_lo, v0, v1, v0
	s_delay_alu instid0(VALU_DEP_2) | instskip(SKIP_1) | instid1(TRANS32_DEP_1)
	v_rcp_f32_e32 v3, v2
	v_nop
	v_fma_f32 v4, -v2, v3, 1.0
	s_delay_alu instid0(VALU_DEP_1) | instskip(NEXT) | instid1(VALU_DEP_1)
	v_fmac_f32_e32 v3, v4, v3
	v_mul_f32_e32 v4, v5, v3
	s_delay_alu instid0(VALU_DEP_1) | instskip(NEXT) | instid1(VALU_DEP_1)
	v_fma_f32 v6, -v2, v4, v5
	v_fmac_f32_e32 v4, v6, v3
	s_delay_alu instid0(VALU_DEP_1) | instskip(NEXT) | instid1(VALU_DEP_1)
	v_fma_f32 v2, -v2, v4, v5
	v_div_fmas_f32 v2, v2, v3, v4
	s_delay_alu instid0(VALU_DEP_1) | instskip(NEXT) | instid1(VALU_DEP_1)
	v_div_fixup_f32 v2, v2, v1, v0
	v_fmac_f32_e32 v1, v0, v2
	s_delay_alu instid0(VALU_DEP_1) | instskip(SKIP_1) | instid1(VALU_DEP_2)
	v_div_scale_f32 v0, null, v1, v1, 1.0
	v_div_scale_f32 v5, vcc_lo, 1.0, v1, 1.0
	v_rcp_f32_e32 v3, v0
	v_nop
	s_delay_alu instid0(TRANS32_DEP_1) | instskip(NEXT) | instid1(VALU_DEP_1)
	v_fma_f32 v4, -v0, v3, 1.0
	v_fmac_f32_e32 v3, v4, v3
	s_delay_alu instid0(VALU_DEP_1) | instskip(NEXT) | instid1(VALU_DEP_1)
	v_mul_f32_e32 v4, v5, v3
	v_fma_f32 v6, -v0, v4, v5
	s_delay_alu instid0(VALU_DEP_1) | instskip(NEXT) | instid1(VALU_DEP_1)
	v_fmac_f32_e32 v4, v6, v3
	v_fma_f32 v0, -v0, v4, v5
	s_delay_alu instid0(VALU_DEP_1) | instskip(NEXT) | instid1(VALU_DEP_1)
	v_div_fmas_f32 v0, v0, v3, v4
	v_div_fixup_f32 v0, v0, v1, 1.0
	s_delay_alu instid0(VALU_DEP_1)
	v_mul_f32_e32 v2, v2, v0
	v_xor_b32_e32 v3, 0x80000000, v0
                                        ; implicit-def: $vgpr0_vgpr1
.LBB103_5:
	s_and_not1_saveexec_b32 s2, s2
	s_cbranch_execz .LBB103_7
; %bb.6:
	v_div_scale_f32 v2, null, v0, v0, v1
	v_div_scale_f32 v5, vcc_lo, v1, v0, v1
	s_delay_alu instid0(VALU_DEP_2) | instskip(SKIP_1) | instid1(TRANS32_DEP_1)
	v_rcp_f32_e32 v3, v2
	v_nop
	v_fma_f32 v4, -v2, v3, 1.0
	s_delay_alu instid0(VALU_DEP_1) | instskip(NEXT) | instid1(VALU_DEP_1)
	v_fmac_f32_e32 v3, v4, v3
	v_mul_f32_e32 v4, v5, v3
	s_delay_alu instid0(VALU_DEP_1) | instskip(NEXT) | instid1(VALU_DEP_1)
	v_fma_f32 v6, -v2, v4, v5
	v_fmac_f32_e32 v4, v6, v3
	s_delay_alu instid0(VALU_DEP_1) | instskip(NEXT) | instid1(VALU_DEP_1)
	v_fma_f32 v2, -v2, v4, v5
	v_div_fmas_f32 v2, v2, v3, v4
	s_delay_alu instid0(VALU_DEP_1) | instskip(NEXT) | instid1(VALU_DEP_1)
	v_div_fixup_f32 v3, v2, v0, v1
	v_fmac_f32_e32 v0, v1, v3
	s_delay_alu instid0(VALU_DEP_1) | instskip(NEXT) | instid1(VALU_DEP_1)
	v_div_scale_f32 v1, null, v0, v0, 1.0
	v_rcp_f32_e32 v2, v1
	v_nop
	s_delay_alu instid0(TRANS32_DEP_1) | instskip(NEXT) | instid1(VALU_DEP_1)
	v_fma_f32 v4, -v1, v2, 1.0
	v_fmac_f32_e32 v2, v4, v2
	v_div_scale_f32 v4, vcc_lo, 1.0, v0, 1.0
	s_delay_alu instid0(VALU_DEP_1) | instskip(NEXT) | instid1(VALU_DEP_1)
	v_mul_f32_e32 v5, v4, v2
	v_fma_f32 v6, -v1, v5, v4
	s_delay_alu instid0(VALU_DEP_1) | instskip(NEXT) | instid1(VALU_DEP_1)
	v_fmac_f32_e32 v5, v6, v2
	v_fma_f32 v1, -v1, v5, v4
	s_delay_alu instid0(VALU_DEP_1) | instskip(NEXT) | instid1(VALU_DEP_1)
	v_div_fmas_f32 v1, v1, v2, v5
	v_div_fixup_f32 v2, v1, v0, 1.0
	s_delay_alu instid0(VALU_DEP_1)
	v_mul_f32_e64 v3, v3, -v2
.LBB103_7:
	s_or_b32 exec_lo, exec_lo, s2
	ds_store_b64 v117, v[2:3]
.LBB103_8:
	s_or_b32 exec_lo, exec_lo, s4
	s_wait_storecnt 0x0
	s_wait_loadcnt_dscnt 0x0
	s_barrier_signal -1
	s_barrier_wait -1
	ds_load_b64 v[0:1], v117
	s_wait_dscnt 0x0
	scratch_store_b64 off, v[0:1], off offset:88 ; 8-byte Folded Spill
	s_wait_xcnt 0x0
	s_and_saveexec_b32 s2, s1
	s_cbranch_execz .LBB103_10
; %bb.9:
	ds_load_2addr_b64 v[4:7], v118 offset0:1 offset1:2
	ds_load_2addr_b64 v[8:11], v118 offset0:3 offset1:4
	ds_load_2addr_b64 v[12:15], v118 offset0:5 offset1:6
	scratch_load_b64 v[18:19], off, off offset:88 ; 8-byte Folded Reload
	ds_load_2addr_b64 v[28:31], v118 offset0:7 offset1:8
	ds_load_2addr_b64 v[48:51], v118 offset0:9 offset1:10
	s_wait_dscnt 0x3
	v_dual_mov_b32 v52, v11 :: v_dual_mov_b32 v53, v10
	s_wait_loadcnt 0x0
	v_pk_mul_f32 v[2:3], v[18:19], v[98:99] op_sel:[1,1] op_sel_hi:[0,1]
	s_delay_alu instid0(VALU_DEP_1) | instskip(SKIP_1) | instid1(VALU_DEP_1)
	v_pk_fma_f32 v[0:1], v[18:19], v[98:99], v[2:3] op_sel_hi:[1,0,1] neg_lo:[0,0,1] neg_hi:[0,0,1]
	v_pk_fma_f32 v[2:3], v[18:19], v[98:99], v[2:3] op_sel_hi:[1,0,1]
	v_dual_mov_b32 v98, v0 :: v_dual_mov_b32 v99, v3
	s_delay_alu instid0(VALU_DEP_2)
	v_pk_mul_f32 v[18:19], v[4:5], v[2:3] op_sel:[0,1]
	v_pk_mul_f32 v[32:33], v[6:7], v[2:3] op_sel:[0,1]
	;; [unrolled: 1-line block ×3, first 2 shown]
	v_dual_mul_f32 v64, v11, v3 :: v_dual_mul_f32 v66, v11, v0
	s_wait_dscnt 0x2
	v_pk_mul_f32 v[68:69], v[12:13], v[2:3] op_sel:[0,1]
	v_pk_mul_f32 v[70:71], v[14:15], v[2:3] op_sel:[0,1]
	v_pk_fma_f32 v[80:81], v[4:5], v[0:1], v[18:19] op_sel:[0,0,1] op_sel_hi:[1,1,0] neg_lo:[0,0,1] neg_hi:[0,0,1]
	v_pk_fma_f32 v[4:5], v[4:5], v[0:1], v[18:19] op_sel:[0,0,1] op_sel_hi:[1,0,0]
	v_pk_fma_f32 v[18:19], v[6:7], v[0:1], v[32:33] op_sel:[0,0,1] op_sel_hi:[1,1,0] neg_lo:[0,0,1] neg_hi:[0,0,1]
	v_pk_fma_f32 v[6:7], v[6:7], v[0:1], v[32:33] op_sel:[0,0,1] op_sel_hi:[1,0,0]
	;; [unrolled: 2-line block ×3, first 2 shown]
	v_pk_fma_f32 v[42:43], v[52:53], v[98:99], v[66:67] op_sel_hi:[1,1,0]
	v_pk_fma_f32 v[52:53], v[12:13], v[0:1], v[68:69] op_sel:[0,0,1] op_sel_hi:[1,0,0]
	v_dual_mov_b32 v81, v5 :: v_dual_mov_b32 v19, v7
	v_pk_fma_f32 v[4:5], v[14:15], v[0:1], v[70:71] op_sel:[0,0,1] op_sel_hi:[1,0,0]
	v_pk_fma_f32 v[10:11], v[10:11], v[98:99], v[64:65] op_sel_hi:[1,1,0] neg_lo:[0,0,1] neg_hi:[0,0,1]
	v_dual_mov_b32 v33, v9 :: v_dual_mov_b32 v11, v43
	v_pk_fma_f32 v[8:9], v[12:13], v[0:1], v[68:69] op_sel:[0,0,1] op_sel_hi:[1,1,0] neg_lo:[0,0,1] neg_hi:[0,0,1]
	v_pk_fma_f32 v[12:13], v[14:15], v[0:1], v[70:71] op_sel:[0,0,1] op_sel_hi:[1,1,0] neg_lo:[0,0,1] neg_hi:[0,0,1]
	v_dual_mov_b32 v9, v53 :: v_dual_mov_b32 v13, v5
	ds_load_2addr_b64 v[4:7], v118 offset0:11 offset1:12
	v_pk_add_f32 v[46:47], v[46:47], v[18:19] neg_lo:[0,1] neg_hi:[0,1]
	s_wait_dscnt 0x2
	v_pk_mul_f32 v[14:15], v[28:29], v[2:3] op_sel:[0,1]
	v_pk_add_f32 v[26:27], v[26:27], v[10:11] neg_lo:[0,1] neg_hi:[0,1]
	v_pk_add_f32 v[22:23], v[22:23], v[8:9] neg_lo:[0,1] neg_hi:[0,1]
	v_pk_mul_f32 v[18:19], v[30:31], v[2:3] op_sel:[0,1]
	ds_load_2addr_b64 v[8:11], v118 offset0:13 offset1:14
	v_pk_add_f32 v[44:45], v[44:45], v[32:33] neg_lo:[0,1] neg_hi:[0,1]
	v_pk_add_f32 v[24:25], v[24:25], v[12:13] neg_lo:[0,1] neg_hi:[0,1]
	v_pk_fma_f32 v[12:13], v[28:29], v[0:1], v[14:15] op_sel:[0,0,1] op_sel_hi:[1,1,0] neg_lo:[0,0,1] neg_hi:[0,0,1]
	s_wait_dscnt 0x2
	v_mul_f32_e32 v32, v49, v0
	v_pk_fma_f32 v[14:15], v[28:29], v[0:1], v[14:15] op_sel:[0,0,1] op_sel_hi:[1,0,0]
	v_pk_fma_f32 v[28:29], v[30:31], v[0:1], v[18:19] op_sel:[0,0,1] op_sel_hi:[1,0,0]
	v_mul_f32_e32 v14, v49, v3
	v_pk_fma_f32 v[18:19], v[30:31], v[0:1], v[18:19] op_sel:[0,0,1] op_sel_hi:[1,1,0] neg_lo:[0,0,1] neg_hi:[0,0,1]
	v_pk_fma_f32 v[32:33], v[48:49], v[98:99], v[32:33] op_sel:[1,0,0] op_sel_hi:[0,1,0]
	s_delay_alu instid0(VALU_DEP_4)
	v_dual_mov_b32 v13, v15 :: v_dual_mov_b32 v19, v29
	v_pk_mul_f32 v[28:29], v[50:51], v[2:3] op_sel:[0,1]
	v_pk_fma_f32 v[14:15], v[48:49], v[98:99], v[14:15] op_sel_hi:[1,1,0] neg_lo:[0,0,1] neg_hi:[0,0,1]
	s_wait_dscnt 0x1
	v_pk_mul_f32 v[30:31], v[4:5], v[2:3] op_sel:[0,1]
	v_pk_add_f32 v[20:21], v[20:21], v[12:13] neg_lo:[0,1] neg_hi:[0,1]
	v_pk_add_f32 v[40:41], v[40:41], v[18:19] neg_lo:[0,1] neg_hi:[0,1]
	v_pk_fma_f32 v[18:19], v[50:51], v[0:1], v[28:29] op_sel:[0,0,1] op_sel_hi:[1,0,0]
	v_mov_b32_e32 v15, v33
	v_pk_fma_f32 v[32:33], v[50:51], v[0:1], v[28:29] op_sel:[0,0,1] op_sel_hi:[1,1,0] neg_lo:[0,0,1] neg_hi:[0,0,1]
	v_pk_fma_f32 v[28:29], v[4:5], v[0:1], v[30:31] op_sel:[0,0,1] op_sel_hi:[1,0,0]
	v_pk_mul_f32 v[42:43], v[6:7], v[2:3] op_sel:[0,1]
	v_mov_b32_e32 v33, v19
	v_pk_add_f32 v[36:37], v[36:37], v[14:15] neg_lo:[0,1] neg_hi:[0,1]
	ds_load_2addr_b64 v[12:15], v118 offset0:15 offset1:16
	s_wait_dscnt 0x1
	v_pk_mul_f32 v[18:19], v[8:9], v[2:3] op_sel:[0,1]
	v_pk_fma_f32 v[4:5], v[4:5], v[0:1], v[30:31] op_sel:[0,0,1] op_sel_hi:[1,1,0] neg_lo:[0,0,1] neg_hi:[0,0,1]
	v_pk_add_f32 v[38:39], v[38:39], v[32:33] neg_lo:[0,1] neg_hi:[0,1]
	v_pk_fma_f32 v[48:49], v[6:7], v[0:1], v[42:43] op_sel:[0,0,1] op_sel_hi:[1,0,0]
	v_pk_add_f32 v[54:55], v[54:55], v[80:81] neg_lo:[0,1] neg_hi:[0,1]
	v_pk_fma_f32 v[32:33], v[8:9], v[0:1], v[18:19] op_sel:[0,0,1] op_sel_hi:[1,0,0]
	v_mov_b32_e32 v5, v29
	ds_load_2addr_b64 v[28:31], v118 offset0:17 offset1:18
	v_pk_add_f32 v[34:35], v[34:35], v[4:5] neg_lo:[0,1] neg_hi:[0,1]
	v_pk_fma_f32 v[4:5], v[6:7], v[0:1], v[42:43] op_sel:[0,0,1] op_sel_hi:[1,1,0] neg_lo:[0,0,1] neg_hi:[0,0,1]
	v_mov_b32_e32 v5, v49
	v_pk_fma_f32 v[6:7], v[8:9], v[0:1], v[18:19] op_sel:[0,0,1] op_sel_hi:[1,1,0] neg_lo:[0,0,1] neg_hi:[0,0,1]
	v_dual_mov_b32 v8, v11 :: v_dual_mov_b32 v9, v10
	v_dual_mul_f32 v18, v11, v0 :: v_dual_mov_b32 v7, v33
	s_delay_alu instid0(VALU_DEP_4) | instskip(SKIP_2) | instid1(VALU_DEP_3)
	v_pk_add_f32 v[62:63], v[62:63], v[4:5] neg_lo:[0,1] neg_hi:[0,1]
	s_wait_dscnt 0x1
	v_pk_mul_f32 v[42:43], v[12:13], v[2:3] op_sel:[0,1]
	v_pk_fma_f32 v[8:9], v[8:9], v[98:99], v[18:19] op_sel_hi:[1,1,0]
	v_mul_f32_e32 v32, v11, v3
	v_pk_add_f32 v[58:59], v[58:59], v[6:7] neg_lo:[0,1] neg_hi:[0,1]
	ds_load_2addr_b64 v[4:7], v118 offset0:19 offset1:20
	s_wait_dscnt 0x1
	v_pk_mul_f32 v[48:49], v[28:29], v[2:3] op_sel:[0,1]
	v_pk_fma_f32 v[18:19], v[10:11], v[98:99], v[32:33] op_sel_hi:[1,1,0] neg_lo:[0,0,1] neg_hi:[0,0,1]
	v_pk_mul_f32 v[10:11], v[14:15], v[2:3] op_sel:[0,1]
	v_pk_fma_f32 v[32:33], v[12:13], v[0:1], v[42:43] op_sel:[0,0,1] op_sel_hi:[1,0,0]
	v_mov_b32_e32 v19, v9
	v_pk_fma_f32 v[12:13], v[12:13], v[0:1], v[42:43] op_sel:[0,0,1] op_sel_hi:[1,1,0] neg_lo:[0,0,1] neg_hi:[0,0,1]
	s_delay_alu instid0(VALU_DEP_4) | instskip(NEXT) | instid1(VALU_DEP_4)
	v_pk_fma_f32 v[42:43], v[14:15], v[0:1], v[10:11] op_sel:[0,0,1] op_sel_hi:[1,0,0]
	v_mov_b32_e32 v13, v33
	v_pk_fma_f32 v[32:33], v[28:29], v[0:1], v[48:49] op_sel:[0,0,1] op_sel_hi:[1,0,0]
	v_pk_fma_f32 v[14:15], v[14:15], v[0:1], v[10:11] op_sel:[0,0,1] op_sel_hi:[1,1,0] neg_lo:[0,0,1] neg_hi:[0,0,1]
	ds_load_2addr_b64 v[8:11], v118 offset0:21 offset1:22
	v_pk_add_f32 v[60:61], v[60:61], v[18:19] neg_lo:[0,1] neg_hi:[0,1]
	v_pk_mul_f32 v[18:19], v[30:31], v[2:3] op_sel:[0,1]
	v_pk_fma_f32 v[28:29], v[28:29], v[0:1], v[48:49] op_sel:[0,0,1] op_sel_hi:[1,1,0] neg_lo:[0,0,1] neg_hi:[0,0,1]
	v_dual_mov_b32 v29, v33 :: v_dual_mov_b32 v15, v43
	v_pk_add_f32 v[56:57], v[56:57], v[12:13] neg_lo:[0,1] neg_hi:[0,1]
	s_delay_alu instid0(VALU_DEP_4)
	v_pk_fma_f32 v[32:33], v[30:31], v[0:1], v[18:19] op_sel:[0,0,1] op_sel_hi:[1,0,0]
	v_pk_fma_f32 v[18:19], v[30:31], v[0:1], v[18:19] op_sel:[0,0,1] op_sel_hi:[1,1,0] neg_lo:[0,0,1] neg_hi:[0,0,1]
	s_wait_dscnt 0x1
	v_pk_mul_f32 v[42:43], v[6:7], v[2:3] op_sel:[0,1]
	v_pk_add_f32 v[78:79], v[78:79], v[14:15] neg_lo:[0,1] neg_hi:[0,1]
	ds_load_2addr_b64 v[12:15], v118 offset0:23 offset1:24
	v_mov_b32_e32 v19, v33
	v_pk_add_f32 v[74:75], v[74:75], v[28:29] neg_lo:[0,1] neg_hi:[0,1]
	v_dual_mul_f32 v28, v5, v0 :: v_dual_mul_f32 v32, v5, v3
	v_pk_fma_f32 v[30:31], v[6:7], v[0:1], v[42:43] op_sel:[0,0,1] op_sel_hi:[1,0,0]
	v_pk_fma_f32 v[6:7], v[6:7], v[0:1], v[42:43] op_sel:[0,0,1] op_sel_hi:[1,1,0] neg_lo:[0,0,1] neg_hi:[0,0,1]
	v_pk_add_f32 v[76:77], v[76:77], v[18:19] neg_lo:[0,1] neg_hi:[0,1]
	s_delay_alu instid0(VALU_DEP_4)
	v_pk_fma_f32 v[28:29], v[4:5], v[98:99], v[28:29] op_sel:[1,0,0] op_sel_hi:[0,1,0]
	v_pk_fma_f32 v[4:5], v[4:5], v[98:99], v[32:33] op_sel_hi:[1,1,0] neg_lo:[0,0,1] neg_hi:[0,0,1]
	v_mov_b32_e32 v7, v31
	s_wait_dscnt 0x1
	v_pk_mul_f32 v[30:31], v[10:11], v[2:3] op_sel:[0,1]
	v_mov_b32_e32 v5, v29
	v_pk_mul_f32 v[28:29], v[8:9], v[2:3] op_sel:[0,1]
	v_pk_add_f32 v[94:95], v[94:95], v[6:7] neg_lo:[0,1] neg_hi:[0,1]
	s_delay_alu instid0(VALU_DEP_3) | instskip(NEXT) | instid1(VALU_DEP_3)
	v_pk_add_f32 v[72:73], v[72:73], v[4:5] neg_lo:[0,1] neg_hi:[0,1]
	v_pk_fma_f32 v[18:19], v[8:9], v[0:1], v[28:29] op_sel:[0,0,1] op_sel_hi:[1,0,0]
	ds_load_2addr_b64 v[4:7], v118 offset0:25 offset1:26
	v_pk_fma_f32 v[28:29], v[8:9], v[0:1], v[28:29] op_sel:[0,0,1] op_sel_hi:[1,1,0] neg_lo:[0,0,1] neg_hi:[0,0,1]
	s_wait_dscnt 0x1
	v_pk_mul_f32 v[32:33], v[12:13], v[2:3] op_sel:[0,1]
	v_dual_mov_b32 v42, v15 :: v_dual_mov_b32 v29, v19
	v_pk_fma_f32 v[18:19], v[10:11], v[0:1], v[30:31] op_sel:[0,0,1] op_sel_hi:[1,1,0] neg_lo:[0,0,1] neg_hi:[0,0,1]
	v_pk_fma_f32 v[30:31], v[10:11], v[0:1], v[30:31] op_sel:[0,0,1] op_sel_hi:[1,0,0]
	ds_load_2addr_b64 v[8:11], v118 offset0:27 offset1:28
	v_dual_mov_b32 v43, v14 :: v_dual_mul_f32 v30, v15, v0
	v_pk_add_f32 v[90:91], v[90:91], v[28:29] neg_lo:[0,1] neg_hi:[0,1]
	v_mov_b32_e32 v19, v31
	v_pk_fma_f32 v[28:29], v[12:13], v[0:1], v[32:33] op_sel:[0,0,1] op_sel_hi:[1,0,0]
	v_mul_f32_e32 v28, v15, v3
	v_pk_fma_f32 v[30:31], v[42:43], v[98:99], v[30:31] op_sel_hi:[1,1,0]
	s_delay_alu instid0(VALU_DEP_4)
	v_pk_add_f32 v[92:93], v[92:93], v[18:19] neg_lo:[0,1] neg_hi:[0,1]
	v_pk_fma_f32 v[18:19], v[12:13], v[0:1], v[32:33] op_sel:[0,0,1] op_sel_hi:[1,1,0] neg_lo:[0,0,1] neg_hi:[0,0,1]
	v_mov_b32_e32 v19, v29
	v_pk_fma_f32 v[28:29], v[14:15], v[98:99], v[28:29] op_sel_hi:[1,1,0] neg_lo:[0,0,1] neg_hi:[0,0,1]
	v_mov_b32_e32 v29, v31
	s_wait_dscnt 0x1
	v_pk_mul_f32 v[32:33], v[4:5], v[2:3] op_sel:[0,1]
	v_pk_mul_f32 v[42:43], v[6:7], v[2:3] op_sel:[0,1]
	ds_load_2addr_b64 v[12:15], v118 offset0:29 offset1:30
	v_pk_add_f32 v[88:89], v[88:89], v[18:19] neg_lo:[0,1] neg_hi:[0,1]
	v_pk_add_f32 v[112:113], v[112:113], v[28:29] neg_lo:[0,1] neg_hi:[0,1]
	v_pk_fma_f32 v[18:19], v[4:5], v[0:1], v[32:33] op_sel:[0,0,1] op_sel_hi:[1,0,0]
	s_wait_dscnt 0x1
	v_pk_mul_f32 v[48:49], v[8:9], v[2:3] op_sel:[0,1]
	v_pk_fma_f32 v[50:51], v[6:7], v[0:1], v[42:43] op_sel:[0,0,1] op_sel_hi:[1,0,0]
	ds_load_2addr_b64 v[28:31], v118 offset0:31 offset1:32
	v_pk_fma_f32 v[4:5], v[4:5], v[0:1], v[32:33] op_sel:[0,0,1] op_sel_hi:[1,1,0] neg_lo:[0,0,1] neg_hi:[0,0,1]
	v_pk_fma_f32 v[6:7], v[6:7], v[0:1], v[42:43] op_sel:[0,0,1] op_sel_hi:[1,1,0] neg_lo:[0,0,1] neg_hi:[0,0,1]
	v_dual_mov_b32 v5, v19 :: v_dual_mov_b32 v7, v51
	v_pk_fma_f32 v[18:19], v[8:9], v[0:1], v[48:49] op_sel:[0,0,1] op_sel_hi:[1,0,0]
	v_pk_mul_f32 v[32:33], v[10:11], v[2:3] op_sel:[0,1]
	v_pk_fma_f32 v[8:9], v[8:9], v[0:1], v[48:49] op_sel:[0,0,1] op_sel_hi:[1,1,0] neg_lo:[0,0,1] neg_hi:[0,0,1]
	s_delay_alu instid0(VALU_DEP_4)
	v_pk_add_f32 v[108:109], v[108:109], v[4:5] neg_lo:[0,1] neg_hi:[0,1]
	v_pk_add_f32 v[110:111], v[110:111], v[6:7] neg_lo:[0,1] neg_hi:[0,1]
	v_mov_b32_e32 v9, v19
	v_pk_fma_f32 v[18:19], v[10:11], v[0:1], v[32:33] op_sel:[0,0,1] op_sel_hi:[1,0,0]
	ds_load_2addr_b64 v[4:7], v118 offset0:33 offset1:34
	v_pk_fma_f32 v[10:11], v[10:11], v[0:1], v[32:33] op_sel:[0,0,1] op_sel_hi:[1,1,0] neg_lo:[0,0,1] neg_hi:[0,0,1]
	s_wait_dscnt 0x2
	v_mul_f32_e32 v18, v13, v3
	v_pk_add_f32 v[106:107], v[106:107], v[8:9] neg_lo:[0,1] neg_hi:[0,1]
	v_dual_mul_f32 v8, v13, v0 :: v_dual_mov_b32 v11, v19
	v_pk_mul_f32 v[32:33], v[14:15], v[2:3] op_sel:[0,1]
	s_wait_dscnt 0x1
	v_pk_mul_f32 v[42:43], v[28:29], v[2:3] op_sel:[0,1]
	s_delay_alu instid0(VALU_DEP_3)
	v_pk_fma_f32 v[8:9], v[12:13], v[98:99], v[8:9] op_sel:[1,0,0] op_sel_hi:[0,1,0]
	v_pk_fma_f32 v[12:13], v[12:13], v[98:99], v[18:19] op_sel_hi:[1,1,0] neg_lo:[0,0,1] neg_hi:[0,0,1]
	v_pk_fma_f32 v[18:19], v[14:15], v[0:1], v[32:33] op_sel:[0,0,1] op_sel_hi:[1,0,0]
	v_pk_fma_f32 v[14:15], v[14:15], v[0:1], v[32:33] op_sel:[0,0,1] op_sel_hi:[1,1,0] neg_lo:[0,0,1] neg_hi:[0,0,1]
	v_pk_add_f32 v[128:129], v[128:129], v[10:11] neg_lo:[0,1] neg_hi:[0,1]
	v_mov_b32_e32 v13, v9
	v_pk_fma_f32 v[48:49], v[28:29], v[0:1], v[42:43] op_sel:[0,0,1] op_sel_hi:[1,0,0]
	ds_load_2addr_b64 v[8:11], v118 offset0:35 offset1:36
	v_mov_b32_e32 v15, v19
	v_pk_fma_f32 v[18:19], v[28:29], v[0:1], v[42:43] op_sel:[0,0,1] op_sel_hi:[1,1,0] neg_lo:[0,0,1] neg_hi:[0,0,1]
	v_pk_mul_f32 v[28:29], v[30:31], v[2:3] op_sel:[0,1]
	s_wait_dscnt 0x1
	v_pk_mul_f32 v[32:33], v[4:5], v[2:3] op_sel:[0,1]
	v_pk_add_f32 v[124:125], v[124:125], v[12:13] neg_lo:[0,1] neg_hi:[0,1]
	v_pk_add_f32 v[126:127], v[126:127], v[14:15] neg_lo:[0,1] neg_hi:[0,1]
	ds_load_2addr_b64 v[12:15], v118 offset0:37 offset1:38
	v_pk_fma_f32 v[42:43], v[30:31], v[0:1], v[28:29] op_sel:[0,0,1] op_sel_hi:[1,0,0]
	v_mov_b32_e32 v19, v49
	v_pk_fma_f32 v[28:29], v[30:31], v[0:1], v[28:29] op_sel:[0,0,1] op_sel_hi:[1,1,0] neg_lo:[0,0,1] neg_hi:[0,0,1]
	v_mul_f32_e32 v30, v7, v0
	s_delay_alu instid0(VALU_DEP_4) | instskip(NEXT) | instid1(VALU_DEP_4)
	v_mov_b32_e32 v29, v43
	v_pk_add_f32 v[122:123], v[122:123], v[18:19] neg_lo:[0,1] neg_hi:[0,1]
	v_pk_fma_f32 v[18:19], v[4:5], v[0:1], v[32:33] op_sel:[0,0,1] op_sel_hi:[1,0,0]
	v_pk_fma_f32 v[4:5], v[4:5], v[0:1], v[32:33] op_sel:[0,0,1] op_sel_hi:[1,1,0] neg_lo:[0,0,1] neg_hi:[0,0,1]
	v_mov_b32_e32 v18, v7
	v_pk_add_f32 v[146:147], v[146:147], v[28:29] neg_lo:[0,1] neg_hi:[0,1]
	s_delay_alu instid0(VALU_DEP_4) | instskip(SKIP_3) | instid1(VALU_DEP_3)
	v_dual_mov_b32 v5, v19 :: v_dual_mov_b32 v19, v6
	s_wait_dscnt 0x1
	v_pk_mul_f32 v[32:33], v[8:9], v[2:3] op_sel:[0,1]
	v_pk_mul_f32 v[48:49], v[10:11], v[2:3] op_sel:[0,1]
	v_pk_add_f32 v[142:143], v[142:143], v[4:5] neg_lo:[0,1] neg_hi:[0,1]
	v_pk_fma_f32 v[18:19], v[18:19], v[98:99], v[30:31] op_sel_hi:[1,1,0]
	ds_load_2addr_b64 v[28:31], v118 offset0:39 offset1:40
	v_mul_f32_e32 v4, v7, v3
	v_pk_fma_f32 v[42:43], v[8:9], v[0:1], v[32:33] op_sel:[0,0,1] op_sel_hi:[1,0,0]
	v_pk_fma_f32 v[8:9], v[8:9], v[0:1], v[32:33] op_sel:[0,0,1] op_sel_hi:[1,1,0] neg_lo:[0,0,1] neg_hi:[0,0,1]
	s_wait_dscnt 0x1
	v_pk_mul_f32 v[32:33], v[12:13], v[2:3] op_sel:[0,1]
	v_pk_fma_f32 v[50:51], v[6:7], v[98:99], v[4:5] op_sel_hi:[1,1,0] neg_lo:[0,0,1] neg_hi:[0,0,1]
	v_dual_mov_b32 v51, v19 :: v_dual_mov_b32 v9, v43
	v_pk_fma_f32 v[18:19], v[10:11], v[0:1], v[48:49] op_sel:[0,0,1] op_sel_hi:[1,0,0]
	s_delay_alu instid0(VALU_DEP_4)
	v_pk_fma_f32 v[42:43], v[12:13], v[0:1], v[32:33] op_sel:[0,0,1] op_sel_hi:[1,0,0]
	ds_load_2addr_b64 v[4:7], v118 offset0:41 offset1:42
	v_pk_fma_f32 v[10:11], v[10:11], v[0:1], v[48:49] op_sel:[0,0,1] op_sel_hi:[1,1,0] neg_lo:[0,0,1] neg_hi:[0,0,1]
	v_pk_fma_f32 v[12:13], v[12:13], v[0:1], v[32:33] op_sel:[0,0,1] op_sel_hi:[1,1,0] neg_lo:[0,0,1] neg_hi:[0,0,1]
	v_dual_mov_b32 v11, v19 :: v_dual_mov_b32 v13, v43
	v_pk_mul_f32 v[18:19], v[14:15], v[2:3] op_sel:[0,1]
	v_pk_add_f32 v[140:141], v[140:141], v[8:9] neg_lo:[0,1] neg_hi:[0,1]
	ds_load_b64 v[48:49], v118 offset:408
	v_pk_add_f32 v[162:163], v[162:163], v[10:11] neg_lo:[0,1] neg_hi:[0,1]
	v_pk_add_f32 v[158:159], v[158:159], v[12:13] neg_lo:[0,1] neg_hi:[0,1]
	s_wait_dscnt 0x2
	v_pk_mul_f32 v[12:13], v[30:31], v[2:3] op_sel:[0,1]
	v_pk_fma_f32 v[32:33], v[14:15], v[0:1], v[18:19] op_sel:[0,0,1] op_sel_hi:[1,0,0]
	ds_load_2addr_b64 v[8:11], v118 offset0:43 offset1:44
	v_pk_fma_f32 v[14:15], v[14:15], v[0:1], v[18:19] op_sel:[0,0,1] op_sel_hi:[1,1,0] neg_lo:[0,0,1] neg_hi:[0,0,1]
	v_mul_f32_e32 v18, v29, v0
	v_pk_fma_f32 v[42:43], v[30:31], v[0:1], v[12:13] op_sel:[0,0,1] op_sel_hi:[1,0,0]
	v_mul_f32_e32 v32, v29, v3
	v_pk_add_f32 v[144:145], v[144:145], v[50:51] neg_lo:[0,1] neg_hi:[0,1]
	s_delay_alu instid0(VALU_DEP_4) | instskip(SKIP_1) | instid1(VALU_DEP_4)
	v_pk_fma_f32 v[18:19], v[28:29], v[98:99], v[18:19] op_sel:[1,0,0] op_sel_hi:[0,1,0]
	v_mov_b32_e32 v15, v33
	v_pk_fma_f32 v[28:29], v[28:29], v[98:99], v[32:33] op_sel_hi:[1,1,0] neg_lo:[0,0,1] neg_hi:[0,0,1]
	s_wait_dscnt 0x2
	v_pk_mul_f32 v[32:33], v[6:7], v[2:3] op_sel:[0,1]
	v_mov_b32_e32 v29, v19
	v_pk_add_f32 v[160:161], v[160:161], v[14:15] neg_lo:[0,1] neg_hi:[0,1]
	v_pk_mul_f32 v[14:15], v[4:5], v[2:3] op_sel:[0,1]
	v_pk_fma_f32 v[18:19], v[30:31], v[0:1], v[12:13] op_sel:[0,0,1] op_sel_hi:[1,1,0] neg_lo:[0,0,1] neg_hi:[0,0,1]
	v_mov_b32_e32 v19, v43
	v_pk_add_f32 v[156:157], v[156:157], v[28:29] neg_lo:[0,1] neg_hi:[0,1]
	s_delay_alu instid0(VALU_DEP_4)
	v_pk_fma_f32 v[30:31], v[4:5], v[0:1], v[14:15] op_sel:[0,0,1] op_sel_hi:[1,0,0]
	v_pk_fma_f32 v[4:5], v[4:5], v[0:1], v[14:15] op_sel:[0,0,1] op_sel_hi:[1,1,0] neg_lo:[0,0,1] neg_hi:[0,0,1]
	ds_load_2addr_b64 v[12:15], v118 offset0:45 offset1:46
	v_pk_add_f32 v[182:183], v[182:183], v[18:19] neg_lo:[0,1] neg_hi:[0,1]
	v_pk_fma_f32 v[18:19], v[6:7], v[0:1], v[32:33] op_sel:[0,0,1] op_sel_hi:[1,0,0]
	v_mov_b32_e32 v5, v31
	s_wait_dscnt 0x1
	v_pk_mul_f32 v[30:31], v[8:9], v[2:3] op_sel:[0,1]
	v_pk_fma_f32 v[32:33], v[6:7], v[0:1], v[32:33] op_sel:[0,0,1] op_sel_hi:[1,1,0] neg_lo:[0,0,1] neg_hi:[0,0,1]
	v_dual_mov_b32 v18, v11 :: v_dual_mov_b32 v33, v19
	v_pk_add_f32 v[178:179], v[178:179], v[4:5] neg_lo:[0,1] neg_hi:[0,1]
	s_delay_alu instid0(VALU_DEP_4)
	v_pk_fma_f32 v[28:29], v[8:9], v[0:1], v[30:31] op_sel:[0,0,1] op_sel_hi:[1,0,0]
	ds_load_2addr_b64 v[4:7], v118 offset0:47 offset1:48
	v_pk_fma_f32 v[8:9], v[8:9], v[0:1], v[30:31] op_sel:[0,0,1] op_sel_hi:[1,1,0] neg_lo:[0,0,1] neg_hi:[0,0,1]
	v_dual_mov_b32 v19, v10 :: v_dual_mul_f32 v28, v11, v0
	v_mov_b32_e32 v9, v29
	v_pk_add_f32 v[180:181], v[180:181], v[32:33] neg_lo:[0,1] neg_hi:[0,1]
	s_delay_alu instid0(VALU_DEP_3)
	v_pk_fma_f32 v[18:19], v[18:19], v[98:99], v[28:29] op_sel_hi:[1,1,0]
	ds_load_2addr_b64 v[28:31], v118 offset0:49 offset1:50
	v_pk_add_f32 v[176:177], v[176:177], v[8:9] neg_lo:[0,1] neg_hi:[0,1]
	v_mul_f32_e32 v8, v11, v3
	s_wait_dscnt 0x2
	v_pk_mul_f32 v[32:33], v[12:13], v[2:3] op_sel:[0,1]
	v_pk_mul_f32 v[42:43], v[14:15], v[2:3] op_sel:[0,1]
	s_delay_alu instid0(VALU_DEP_3) | instskip(NEXT) | instid1(VALU_DEP_3)
	v_pk_fma_f32 v[8:9], v[10:11], v[98:99], v[8:9] op_sel_hi:[1,1,0] neg_lo:[0,0,1] neg_hi:[0,0,1]
	v_pk_fma_f32 v[10:11], v[12:13], v[0:1], v[32:33] op_sel:[0,0,1] op_sel_hi:[1,0,0]
	v_mov_b32_e32 v9, v19
	s_delay_alu instid0(VALU_DEP_4)
	v_pk_fma_f32 v[18:19], v[14:15], v[0:1], v[42:43] op_sel:[0,0,1] op_sel_hi:[1,0,0]
	v_pk_fma_f32 v[12:13], v[12:13], v[0:1], v[32:33] op_sel:[0,0,1] op_sel_hi:[1,1,0] neg_lo:[0,0,1] neg_hi:[0,0,1]
	s_wait_dscnt 0x1
	v_pk_mul_f32 v[32:33], v[4:5], v[2:3] op_sel:[0,1]
	v_mov_b32_e32 v13, v11
	v_pk_fma_f32 v[10:11], v[14:15], v[0:1], v[42:43] op_sel:[0,0,1] op_sel_hi:[1,1,0] neg_lo:[0,0,1] neg_hi:[0,0,1]
	v_mov_b32_e32 v11, v19
	v_pk_add_f32 v[204:205], v[204:205], v[8:9] neg_lo:[0,1] neg_hi:[0,1]
	v_pk_fma_f32 v[8:9], v[4:5], v[0:1], v[32:33] op_sel:[0,0,1] op_sel_hi:[1,0,0]
	v_pk_mul_f32 v[14:15], v[6:7], v[2:3] op_sel:[0,1]
	v_pk_fma_f32 v[4:5], v[4:5], v[0:1], v[32:33] op_sel:[0,0,1] op_sel_hi:[1,1,0] neg_lo:[0,0,1] neg_hi:[0,0,1]
	v_pk_add_f32 v[202:203], v[202:203], v[10:11] neg_lo:[0,1] neg_hi:[0,1]
	s_wait_dscnt 0x0
	v_mul_f32_e32 v10, v29, v0
	v_mov_b32_e32 v5, v9
	v_pk_fma_f32 v[8:9], v[6:7], v[0:1], v[14:15] op_sel:[0,0,1] op_sel_hi:[1,1,0] neg_lo:[0,0,1] neg_hi:[0,0,1]
	v_pk_fma_f32 v[6:7], v[6:7], v[0:1], v[14:15] op_sel:[0,0,1] op_sel_hi:[1,0,0]
	v_pk_add_f32 v[198:199], v[198:199], v[12:13] neg_lo:[0,1] neg_hi:[0,1]
	v_pk_mul_f32 v[12:13], v[30:31], v[2:3] op_sel:[0,1]
	v_mul_f32_e32 v6, v29, v3
	v_pk_mul_f32 v[2:3], v[48:49], v[2:3] op_sel:[0,1]
	v_pk_fma_f32 v[10:11], v[28:29], v[98:99], v[10:11] op_sel:[1,0,0] op_sel_hi:[0,1,0]
	v_mov_b32_e32 v9, v7
	v_pk_fma_f32 v[14:15], v[30:31], v[0:1], v[12:13] op_sel:[0,0,1] op_sel_hi:[1,0,0]
	v_pk_fma_f32 v[6:7], v[28:29], v[98:99], v[6:7] op_sel_hi:[1,1,0] neg_lo:[0,0,1] neg_hi:[0,0,1]
	v_pk_fma_f32 v[18:19], v[48:49], v[0:1], v[2:3] op_sel:[0,0,1] op_sel_hi:[1,0,0]
	v_mov_b32_e32 v7, v11
	v_pk_fma_f32 v[10:11], v[30:31], v[0:1], v[12:13] op_sel:[0,0,1] op_sel_hi:[1,1,0] neg_lo:[0,0,1] neg_hi:[0,0,1]
	v_pk_fma_f32 v[0:1], v[48:49], v[0:1], v[2:3] op_sel:[0,0,1] op_sel_hi:[1,1,0] neg_lo:[0,0,1] neg_hi:[0,0,1]
	s_delay_alu instid0(VALU_DEP_4) | instskip(SKIP_3) | instid1(VALU_DEP_4)
	v_dual_mov_b32 v11, v15 :: v_dual_mov_b32 v1, v19
	v_pk_add_f32 v[196:197], v[196:197], v[4:5] neg_lo:[0,1] neg_hi:[0,1]
	v_pk_add_f32 v[200:201], v[200:201], v[8:9] neg_lo:[0,1] neg_hi:[0,1]
	;; [unrolled: 1-line block ×5, first 2 shown]
.LBB103_10:
	s_wait_xcnt 0x0
	s_or_b32 exec_lo, exec_lo, s2
	s_delay_alu instid0(SALU_CYCLE_1)
	s_mov_b32 s2, exec_lo
	s_wait_storecnt 0x0
	s_barrier_signal -1
	s_barrier_wait -1
	v_cmpx_eq_u32_e32 1, v116
	s_cbranch_execz .LBB103_17
; %bb.11:
	v_dual_mov_b32 v0, v46 :: v_dual_mov_b32 v1, v47
	v_dual_mov_b32 v2, v44 :: v_dual_mov_b32 v3, v45
	;; [unrolled: 1-line block ×4, first 2 shown]
	ds_store_b64 v117, v[54:55]
	ds_store_2addr_b64 v118, v[0:1], v[2:3] offset0:2 offset1:3
	ds_store_2addr_b64 v118, v[4:5], v[6:7] offset0:4 offset1:5
	v_dual_mov_b32 v0, v24 :: v_dual_mov_b32 v1, v25
	v_dual_mov_b32 v2, v20 :: v_dual_mov_b32 v3, v21
	v_dual_mov_b32 v4, v40 :: v_dual_mov_b32 v5, v41
	v_dual_mov_b32 v6, v36 :: v_dual_mov_b32 v7, v37
	v_dual_mov_b32 v8, v38 :: v_dual_mov_b32 v9, v39
	v_dual_mov_b32 v10, v34 :: v_dual_mov_b32 v11, v35
	v_dual_mov_b32 v12, v62 :: v_dual_mov_b32 v13, v63
	v_dual_mov_b32 v14, v58 :: v_dual_mov_b32 v15, v59
	v_dual_mov_b32 v18, v60 :: v_dual_mov_b32 v19, v61
	v_dual_mov_b32 v28, v56 :: v_dual_mov_b32 v29, v57
	v_dual_mov_b32 v30, v78 :: v_dual_mov_b32 v31, v79
	v_dual_mov_b32 v32, v74 :: v_dual_mov_b32 v33, v75
	ds_store_2addr_b64 v118, v[0:1], v[2:3] offset0:6 offset1:7
	ds_store_2addr_b64 v118, v[4:5], v[6:7] offset0:8 offset1:9
	ds_store_2addr_b64 v118, v[8:9], v[10:11] offset0:10 offset1:11
	ds_store_2addr_b64 v118, v[12:13], v[14:15] offset0:12 offset1:13
	ds_store_2addr_b64 v118, v[18:19], v[28:29] offset0:14 offset1:15
	ds_store_2addr_b64 v118, v[30:31], v[32:33] offset0:16 offset1:17
	v_dual_mov_b32 v0, v76 :: v_dual_mov_b32 v1, v77
	v_dual_mov_b32 v2, v72 :: v_dual_mov_b32 v3, v73
	v_dual_mov_b32 v4, v94 :: v_dual_mov_b32 v5, v95
	v_dual_mov_b32 v6, v90 :: v_dual_mov_b32 v7, v91
	v_dual_mov_b32 v8, v92 :: v_dual_mov_b32 v9, v93
	v_dual_mov_b32 v10, v88 :: v_dual_mov_b32 v11, v89
	v_dual_mov_b32 v12, v112 :: v_dual_mov_b32 v13, v113
	v_dual_mov_b32 v14, v108 :: v_dual_mov_b32 v15, v109
	v_dual_mov_b32 v18, v110 :: v_dual_mov_b32 v19, v111
	v_dual_mov_b32 v28, v106 :: v_dual_mov_b32 v29, v107
	v_dual_mov_b32 v30, v128 :: v_dual_mov_b32 v31, v129
	v_dual_mov_b32 v32, v124 :: v_dual_mov_b32 v33, v125
	ds_store_2addr_b64 v118, v[0:1], v[2:3] offset0:18 offset1:19
	ds_store_2addr_b64 v118, v[4:5], v[6:7] offset0:20 offset1:21
	ds_store_2addr_b64 v118, v[8:9], v[10:11] offset0:22 offset1:23
	ds_store_2addr_b64 v118, v[12:13], v[14:15] offset0:24 offset1:25
	;; [unrolled: 18-line block ×3, first 2 shown]
	ds_store_2addr_b64 v118, v[18:19], v[28:29] offset0:38 offset1:39
	ds_store_2addr_b64 v118, v[30:31], v[32:33] offset0:40 offset1:41
	v_dual_mov_b32 v0, v180 :: v_dual_mov_b32 v1, v181
	v_dual_mov_b32 v2, v176 :: v_dual_mov_b32 v3, v177
	;; [unrolled: 1-line block ×9, first 2 shown]
	ds_store_2addr_b64 v118, v[0:1], v[2:3] offset0:42 offset1:43
	ds_store_2addr_b64 v118, v[4:5], v[6:7] offset0:44 offset1:45
	;; [unrolled: 1-line block ×5, first 2 shown]
	ds_load_b64 v[0:1], v117
	s_wait_dscnt 0x0
	v_cmp_neq_f32_e32 vcc_lo, 0, v0
	v_cmp_neq_f32_e64 s1, 0, v1
	s_or_b32 s1, vcc_lo, s1
	s_delay_alu instid0(SALU_CYCLE_1)
	s_and_b32 exec_lo, exec_lo, s1
	s_cbranch_execz .LBB103_17
; %bb.12:
	v_cmp_ngt_f32_e64 s1, |v0|, |v1|
                                        ; implicit-def: $vgpr2_vgpr3
	s_and_saveexec_b32 s4, s1
	s_delay_alu instid0(SALU_CYCLE_1)
	s_xor_b32 s1, exec_lo, s4
	s_cbranch_execz .LBB103_14
; %bb.13:
	v_div_scale_f32 v2, null, v1, v1, v0
	v_div_scale_f32 v5, vcc_lo, v0, v1, v0
	s_delay_alu instid0(VALU_DEP_2) | instskip(SKIP_1) | instid1(TRANS32_DEP_1)
	v_rcp_f32_e32 v3, v2
	v_nop
	v_fma_f32 v4, -v2, v3, 1.0
	s_delay_alu instid0(VALU_DEP_1) | instskip(NEXT) | instid1(VALU_DEP_1)
	v_fmac_f32_e32 v3, v4, v3
	v_mul_f32_e32 v4, v5, v3
	s_delay_alu instid0(VALU_DEP_1) | instskip(NEXT) | instid1(VALU_DEP_1)
	v_fma_f32 v6, -v2, v4, v5
	v_fmac_f32_e32 v4, v6, v3
	s_delay_alu instid0(VALU_DEP_1) | instskip(NEXT) | instid1(VALU_DEP_1)
	v_fma_f32 v2, -v2, v4, v5
	v_div_fmas_f32 v2, v2, v3, v4
	s_delay_alu instid0(VALU_DEP_1) | instskip(NEXT) | instid1(VALU_DEP_1)
	v_div_fixup_f32 v2, v2, v1, v0
	v_fmac_f32_e32 v1, v0, v2
	s_delay_alu instid0(VALU_DEP_1) | instskip(SKIP_1) | instid1(VALU_DEP_2)
	v_div_scale_f32 v0, null, v1, v1, 1.0
	v_div_scale_f32 v5, vcc_lo, 1.0, v1, 1.0
	v_rcp_f32_e32 v3, v0
	v_nop
	s_delay_alu instid0(TRANS32_DEP_1) | instskip(NEXT) | instid1(VALU_DEP_1)
	v_fma_f32 v4, -v0, v3, 1.0
	v_fmac_f32_e32 v3, v4, v3
	s_delay_alu instid0(VALU_DEP_1) | instskip(NEXT) | instid1(VALU_DEP_1)
	v_mul_f32_e32 v4, v5, v3
	v_fma_f32 v6, -v0, v4, v5
	s_delay_alu instid0(VALU_DEP_1) | instskip(NEXT) | instid1(VALU_DEP_1)
	v_fmac_f32_e32 v4, v6, v3
	v_fma_f32 v0, -v0, v4, v5
	s_delay_alu instid0(VALU_DEP_1) | instskip(NEXT) | instid1(VALU_DEP_1)
	v_div_fmas_f32 v0, v0, v3, v4
	v_div_fixup_f32 v0, v0, v1, 1.0
	s_delay_alu instid0(VALU_DEP_1)
	v_mul_f32_e32 v2, v2, v0
	v_xor_b32_e32 v3, 0x80000000, v0
                                        ; implicit-def: $vgpr0_vgpr1
.LBB103_14:
	s_and_not1_saveexec_b32 s1, s1
	s_cbranch_execz .LBB103_16
; %bb.15:
	v_div_scale_f32 v2, null, v0, v0, v1
	v_div_scale_f32 v5, vcc_lo, v1, v0, v1
	s_delay_alu instid0(VALU_DEP_2) | instskip(SKIP_1) | instid1(TRANS32_DEP_1)
	v_rcp_f32_e32 v3, v2
	v_nop
	v_fma_f32 v4, -v2, v3, 1.0
	s_delay_alu instid0(VALU_DEP_1) | instskip(NEXT) | instid1(VALU_DEP_1)
	v_fmac_f32_e32 v3, v4, v3
	v_mul_f32_e32 v4, v5, v3
	s_delay_alu instid0(VALU_DEP_1) | instskip(NEXT) | instid1(VALU_DEP_1)
	v_fma_f32 v6, -v2, v4, v5
	v_fmac_f32_e32 v4, v6, v3
	s_delay_alu instid0(VALU_DEP_1) | instskip(NEXT) | instid1(VALU_DEP_1)
	v_fma_f32 v2, -v2, v4, v5
	v_div_fmas_f32 v2, v2, v3, v4
	s_delay_alu instid0(VALU_DEP_1) | instskip(NEXT) | instid1(VALU_DEP_1)
	v_div_fixup_f32 v3, v2, v0, v1
	v_fmac_f32_e32 v0, v1, v3
	s_delay_alu instid0(VALU_DEP_1) | instskip(NEXT) | instid1(VALU_DEP_1)
	v_div_scale_f32 v1, null, v0, v0, 1.0
	v_rcp_f32_e32 v2, v1
	v_nop
	s_delay_alu instid0(TRANS32_DEP_1) | instskip(NEXT) | instid1(VALU_DEP_1)
	v_fma_f32 v4, -v1, v2, 1.0
	v_fmac_f32_e32 v2, v4, v2
	v_div_scale_f32 v4, vcc_lo, 1.0, v0, 1.0
	s_delay_alu instid0(VALU_DEP_1) | instskip(NEXT) | instid1(VALU_DEP_1)
	v_mul_f32_e32 v5, v4, v2
	v_fma_f32 v6, -v1, v5, v4
	s_delay_alu instid0(VALU_DEP_1) | instskip(NEXT) | instid1(VALU_DEP_1)
	v_fmac_f32_e32 v5, v6, v2
	v_fma_f32 v1, -v1, v5, v4
	s_delay_alu instid0(VALU_DEP_1) | instskip(NEXT) | instid1(VALU_DEP_1)
	v_div_fmas_f32 v1, v1, v2, v5
	v_div_fixup_f32 v2, v1, v0, 1.0
	s_delay_alu instid0(VALU_DEP_1)
	v_mul_f32_e64 v3, v3, -v2
.LBB103_16:
	s_or_b32 exec_lo, exec_lo, s1
	ds_store_b64 v117, v[2:3]
.LBB103_17:
	s_or_b32 exec_lo, exec_lo, s2
	s_wait_dscnt 0x0
	s_barrier_signal -1
	s_barrier_wait -1
	ds_load_b64 v[0:1], v117
	s_mov_b32 s1, exec_lo
	s_wait_dscnt 0x0
	scratch_store_b64 off, v[0:1], off offset:96 ; 8-byte Folded Spill
	s_wait_xcnt 0x0
	v_cmpx_lt_u32_e32 1, v116
	s_cbranch_execz .LBB103_19
; %bb.18:
	scratch_load_b64 v[4:5], off, off offset:96 ; 8-byte Folded Reload
	s_wait_loadcnt 0x0
	v_pk_mul_f32 v[2:3], v[4:5], v[54:55] op_sel:[1,1] op_sel_hi:[0,1]
	s_delay_alu instid0(VALU_DEP_1)
	v_pk_fma_f32 v[0:1], v[4:5], v[54:55], v[2:3] op_sel_hi:[1,0,1] neg_lo:[0,0,1] neg_hi:[0,0,1]
	v_pk_fma_f32 v[2:3], v[4:5], v[54:55], v[2:3] op_sel_hi:[1,0,1]
	ds_load_2addr_b64 v[4:7], v118 offset0:2 offset1:3
	v_dual_mov_b32 v54, v0 :: v_dual_mov_b32 v55, v3
	s_wait_dscnt 0x0
	v_pk_mul_f32 v[8:9], v[4:5], v[2:3] op_sel:[0,1]
	s_delay_alu instid0(VALU_DEP_1) | instskip(SKIP_1) | instid1(VALU_DEP_1)
	v_pk_fma_f32 v[10:11], v[4:5], v[0:1], v[8:9] op_sel:[0,0,1] op_sel_hi:[1,1,0] neg_lo:[0,0,1] neg_hi:[0,0,1]
	v_pk_fma_f32 v[4:5], v[4:5], v[0:1], v[8:9] op_sel:[0,0,1] op_sel_hi:[1,0,0]
	v_mov_b32_e32 v11, v5
	v_pk_mul_f32 v[4:5], v[6:7], v[2:3] op_sel:[0,1]
	s_delay_alu instid0(VALU_DEP_1) | instskip(SKIP_1) | instid1(VALU_DEP_1)
	v_pk_fma_f32 v[8:9], v[6:7], v[0:1], v[4:5] op_sel:[0,0,1] op_sel_hi:[1,1,0] neg_lo:[0,0,1] neg_hi:[0,0,1]
	v_pk_fma_f32 v[4:5], v[6:7], v[0:1], v[4:5] op_sel:[0,0,1] op_sel_hi:[1,0,0]
	v_mov_b32_e32 v9, v5
	ds_load_2addr_b64 v[4:7], v118 offset0:4 offset1:5
	v_pk_add_f32 v[46:47], v[46:47], v[10:11] neg_lo:[0,1] neg_hi:[0,1]
	v_pk_add_f32 v[44:45], v[44:45], v[8:9] neg_lo:[0,1] neg_hi:[0,1]
	s_wait_dscnt 0x0
	v_pk_mul_f32 v[8:9], v[4:5], v[2:3] op_sel:[0,1]
	s_delay_alu instid0(VALU_DEP_1) | instskip(SKIP_2) | instid1(VALU_DEP_2)
	v_pk_fma_f32 v[10:11], v[4:5], v[0:1], v[8:9] op_sel:[0,0,1] op_sel_hi:[1,1,0] neg_lo:[0,0,1] neg_hi:[0,0,1]
	v_pk_fma_f32 v[4:5], v[4:5], v[0:1], v[8:9] op_sel:[0,0,1] op_sel_hi:[1,0,0]
	v_dual_mul_f32 v8, v7, v3 :: v_dual_mov_b32 v4, v7
	v_dual_mov_b32 v11, v5 :: v_dual_mov_b32 v5, v6
	s_delay_alu instid0(VALU_DEP_2) | instskip(SKIP_1) | instid1(VALU_DEP_3)
	v_pk_fma_f32 v[8:9], v[6:7], v[54:55], v[8:9] op_sel_hi:[1,1,0] neg_lo:[0,0,1] neg_hi:[0,0,1]
	v_mul_f32_e32 v6, v7, v0
	v_pk_add_f32 v[26:27], v[26:27], v[10:11] neg_lo:[0,1] neg_hi:[0,1]
	s_delay_alu instid0(VALU_DEP_2) | instskip(NEXT) | instid1(VALU_DEP_1)
	v_pk_fma_f32 v[4:5], v[4:5], v[54:55], v[6:7] op_sel_hi:[1,1,0]
	v_mov_b32_e32 v9, v5
	ds_load_2addr_b64 v[4:7], v118 offset0:6 offset1:7
	v_pk_add_f32 v[22:23], v[22:23], v[8:9] neg_lo:[0,1] neg_hi:[0,1]
	s_wait_dscnt 0x0
	v_pk_mul_f32 v[8:9], v[4:5], v[2:3] op_sel:[0,1]
	s_delay_alu instid0(VALU_DEP_1) | instskip(SKIP_1) | instid1(VALU_DEP_1)
	v_pk_fma_f32 v[10:11], v[4:5], v[0:1], v[8:9] op_sel:[0,0,1] op_sel_hi:[1,1,0] neg_lo:[0,0,1] neg_hi:[0,0,1]
	v_pk_fma_f32 v[4:5], v[4:5], v[0:1], v[8:9] op_sel:[0,0,1] op_sel_hi:[1,0,0]
	v_mov_b32_e32 v11, v5
	v_pk_mul_f32 v[4:5], v[6:7], v[2:3] op_sel:[0,1]
	s_delay_alu instid0(VALU_DEP_1) | instskip(SKIP_1) | instid1(VALU_DEP_1)
	v_pk_fma_f32 v[8:9], v[6:7], v[0:1], v[4:5] op_sel:[0,0,1] op_sel_hi:[1,1,0] neg_lo:[0,0,1] neg_hi:[0,0,1]
	v_pk_fma_f32 v[4:5], v[6:7], v[0:1], v[4:5] op_sel:[0,0,1] op_sel_hi:[1,0,0]
	v_mov_b32_e32 v9, v5
	ds_load_2addr_b64 v[4:7], v118 offset0:8 offset1:9
	v_pk_add_f32 v[24:25], v[24:25], v[10:11] neg_lo:[0,1] neg_hi:[0,1]
	v_pk_add_f32 v[20:21], v[20:21], v[8:9] neg_lo:[0,1] neg_hi:[0,1]
	s_wait_dscnt 0x0
	v_pk_mul_f32 v[8:9], v[4:5], v[2:3] op_sel:[0,1]
	s_delay_alu instid0(VALU_DEP_1) | instskip(SKIP_1) | instid1(VALU_DEP_1)
	v_pk_fma_f32 v[10:11], v[4:5], v[0:1], v[8:9] op_sel:[0,0,1] op_sel_hi:[1,1,0] neg_lo:[0,0,1] neg_hi:[0,0,1]
	v_pk_fma_f32 v[4:5], v[4:5], v[0:1], v[8:9] op_sel:[0,0,1] op_sel_hi:[1,0,0]
	v_mov_b32_e32 v11, v5
	v_pk_mul_f32 v[4:5], v[6:7], v[2:3] op_sel:[0,1]
	s_delay_alu instid0(VALU_DEP_1) | instskip(SKIP_1) | instid1(VALU_DEP_1)
	v_pk_fma_f32 v[8:9], v[6:7], v[0:1], v[4:5] op_sel:[0,0,1] op_sel_hi:[1,1,0] neg_lo:[0,0,1] neg_hi:[0,0,1]
	v_pk_fma_f32 v[4:5], v[6:7], v[0:1], v[4:5] op_sel:[0,0,1] op_sel_hi:[1,0,0]
	v_mov_b32_e32 v9, v5
	ds_load_2addr_b64 v[4:7], v118 offset0:10 offset1:11
	v_pk_add_f32 v[40:41], v[40:41], v[10:11] neg_lo:[0,1] neg_hi:[0,1]
	v_pk_add_f32 v[36:37], v[36:37], v[8:9] neg_lo:[0,1] neg_hi:[0,1]
	s_wait_dscnt 0x0
	v_dual_mul_f32 v8, v5, v3 :: v_dual_mul_f32 v10, v5, v0
	s_delay_alu instid0(VALU_DEP_1) | instskip(NEXT) | instid1(VALU_DEP_2)
	v_pk_fma_f32 v[8:9], v[4:5], v[54:55], v[8:9] op_sel_hi:[1,1,0] neg_lo:[0,0,1] neg_hi:[0,0,1]
	v_pk_fma_f32 v[4:5], v[4:5], v[54:55], v[10:11] op_sel:[1,0,0] op_sel_hi:[0,1,0]
	s_delay_alu instid0(VALU_DEP_1) | instskip(SKIP_1) | instid1(VALU_DEP_2)
	v_mov_b32_e32 v9, v5
	v_pk_mul_f32 v[4:5], v[6:7], v[2:3] op_sel:[0,1]
	v_pk_add_f32 v[38:39], v[38:39], v[8:9] neg_lo:[0,1] neg_hi:[0,1]
	s_delay_alu instid0(VALU_DEP_2) | instskip(SKIP_1) | instid1(VALU_DEP_1)
	v_pk_fma_f32 v[8:9], v[6:7], v[0:1], v[4:5] op_sel:[0,0,1] op_sel_hi:[1,1,0] neg_lo:[0,0,1] neg_hi:[0,0,1]
	v_pk_fma_f32 v[4:5], v[6:7], v[0:1], v[4:5] op_sel:[0,0,1] op_sel_hi:[1,0,0]
	v_mov_b32_e32 v9, v5
	ds_load_2addr_b64 v[4:7], v118 offset0:12 offset1:13
	v_pk_add_f32 v[34:35], v[34:35], v[8:9] neg_lo:[0,1] neg_hi:[0,1]
	s_wait_dscnt 0x0
	v_pk_mul_f32 v[8:9], v[4:5], v[2:3] op_sel:[0,1]
	s_delay_alu instid0(VALU_DEP_1) | instskip(SKIP_1) | instid1(VALU_DEP_1)
	v_pk_fma_f32 v[10:11], v[4:5], v[0:1], v[8:9] op_sel:[0,0,1] op_sel_hi:[1,1,0] neg_lo:[0,0,1] neg_hi:[0,0,1]
	v_pk_fma_f32 v[4:5], v[4:5], v[0:1], v[8:9] op_sel:[0,0,1] op_sel_hi:[1,0,0]
	v_mov_b32_e32 v11, v5
	v_pk_mul_f32 v[4:5], v[6:7], v[2:3] op_sel:[0,1]
	s_delay_alu instid0(VALU_DEP_2) | instskip(NEXT) | instid1(VALU_DEP_2)
	v_pk_add_f32 v[62:63], v[62:63], v[10:11] neg_lo:[0,1] neg_hi:[0,1]
	v_pk_fma_f32 v[8:9], v[6:7], v[0:1], v[4:5] op_sel:[0,0,1] op_sel_hi:[1,1,0] neg_lo:[0,0,1] neg_hi:[0,0,1]
	v_pk_fma_f32 v[4:5], v[6:7], v[0:1], v[4:5] op_sel:[0,0,1] op_sel_hi:[1,0,0]
	s_delay_alu instid0(VALU_DEP_1) | instskip(SKIP_4) | instid1(VALU_DEP_1)
	v_mov_b32_e32 v9, v5
	ds_load_2addr_b64 v[4:7], v118 offset0:14 offset1:15
	v_pk_add_f32 v[58:59], v[58:59], v[8:9] neg_lo:[0,1] neg_hi:[0,1]
	s_wait_dscnt 0x0
	v_pk_mul_f32 v[8:9], v[4:5], v[2:3] op_sel:[0,1]
	v_pk_fma_f32 v[10:11], v[4:5], v[0:1], v[8:9] op_sel:[0,0,1] op_sel_hi:[1,1,0] neg_lo:[0,0,1] neg_hi:[0,0,1]
	v_pk_fma_f32 v[4:5], v[4:5], v[0:1], v[8:9] op_sel:[0,0,1] op_sel_hi:[1,0,0]
	v_dual_mul_f32 v8, v7, v3 :: v_dual_mov_b32 v4, v7
	s_delay_alu instid0(VALU_DEP_2) | instskip(NEXT) | instid1(VALU_DEP_2)
	v_dual_mov_b32 v11, v5 :: v_dual_mov_b32 v5, v6
	v_pk_fma_f32 v[8:9], v[6:7], v[54:55], v[8:9] op_sel_hi:[1,1,0] neg_lo:[0,0,1] neg_hi:[0,0,1]
	v_mul_f32_e32 v6, v7, v0
	s_delay_alu instid0(VALU_DEP_3) | instskip(NEXT) | instid1(VALU_DEP_2)
	v_pk_add_f32 v[60:61], v[60:61], v[10:11] neg_lo:[0,1] neg_hi:[0,1]
	v_pk_fma_f32 v[4:5], v[4:5], v[54:55], v[6:7] op_sel_hi:[1,1,0]
	s_delay_alu instid0(VALU_DEP_1) | instskip(SKIP_4) | instid1(VALU_DEP_1)
	v_mov_b32_e32 v9, v5
	ds_load_2addr_b64 v[4:7], v118 offset0:16 offset1:17
	v_pk_add_f32 v[56:57], v[56:57], v[8:9] neg_lo:[0,1] neg_hi:[0,1]
	s_wait_dscnt 0x0
	v_pk_mul_f32 v[8:9], v[4:5], v[2:3] op_sel:[0,1]
	v_pk_fma_f32 v[10:11], v[4:5], v[0:1], v[8:9] op_sel:[0,0,1] op_sel_hi:[1,1,0] neg_lo:[0,0,1] neg_hi:[0,0,1]
	v_pk_fma_f32 v[4:5], v[4:5], v[0:1], v[8:9] op_sel:[0,0,1] op_sel_hi:[1,0,0]
	s_delay_alu instid0(VALU_DEP_1) | instskip(SKIP_1) | instid1(VALU_DEP_1)
	v_mov_b32_e32 v11, v5
	v_pk_mul_f32 v[4:5], v[6:7], v[2:3] op_sel:[0,1]
	v_pk_fma_f32 v[8:9], v[6:7], v[0:1], v[4:5] op_sel:[0,0,1] op_sel_hi:[1,1,0] neg_lo:[0,0,1] neg_hi:[0,0,1]
	v_pk_fma_f32 v[4:5], v[6:7], v[0:1], v[4:5] op_sel:[0,0,1] op_sel_hi:[1,0,0]
	s_delay_alu instid0(VALU_DEP_1)
	v_mov_b32_e32 v9, v5
	ds_load_2addr_b64 v[4:7], v118 offset0:18 offset1:19
	v_pk_add_f32 v[78:79], v[78:79], v[10:11] neg_lo:[0,1] neg_hi:[0,1]
	v_pk_add_f32 v[74:75], v[74:75], v[8:9] neg_lo:[0,1] neg_hi:[0,1]
	s_wait_dscnt 0x0
	v_pk_mul_f32 v[8:9], v[4:5], v[2:3] op_sel:[0,1]
	s_delay_alu instid0(VALU_DEP_1) | instskip(SKIP_1) | instid1(VALU_DEP_1)
	v_pk_fma_f32 v[10:11], v[4:5], v[0:1], v[8:9] op_sel:[0,0,1] op_sel_hi:[1,1,0] neg_lo:[0,0,1] neg_hi:[0,0,1]
	v_pk_fma_f32 v[4:5], v[4:5], v[0:1], v[8:9] op_sel:[0,0,1] op_sel_hi:[1,0,0]
	v_mov_b32_e32 v11, v5
	v_pk_mul_f32 v[4:5], v[6:7], v[2:3] op_sel:[0,1]
	s_delay_alu instid0(VALU_DEP_1) | instskip(SKIP_1) | instid1(VALU_DEP_1)
	v_pk_fma_f32 v[8:9], v[6:7], v[0:1], v[4:5] op_sel:[0,0,1] op_sel_hi:[1,1,0] neg_lo:[0,0,1] neg_hi:[0,0,1]
	v_pk_fma_f32 v[4:5], v[6:7], v[0:1], v[4:5] op_sel:[0,0,1] op_sel_hi:[1,0,0]
	v_mov_b32_e32 v9, v5
	ds_load_2addr_b64 v[4:7], v118 offset0:20 offset1:21
	v_pk_add_f32 v[76:77], v[76:77], v[10:11] neg_lo:[0,1] neg_hi:[0,1]
	v_pk_add_f32 v[72:73], v[72:73], v[8:9] neg_lo:[0,1] neg_hi:[0,1]
	s_wait_dscnt 0x0
	v_dual_mul_f32 v8, v5, v3 :: v_dual_mul_f32 v10, v5, v0
	s_delay_alu instid0(VALU_DEP_1) | instskip(NEXT) | instid1(VALU_DEP_2)
	v_pk_fma_f32 v[8:9], v[4:5], v[54:55], v[8:9] op_sel_hi:[1,1,0] neg_lo:[0,0,1] neg_hi:[0,0,1]
	v_pk_fma_f32 v[4:5], v[4:5], v[54:55], v[10:11] op_sel:[1,0,0] op_sel_hi:[0,1,0]
	s_delay_alu instid0(VALU_DEP_1) | instskip(SKIP_1) | instid1(VALU_DEP_2)
	v_mov_b32_e32 v9, v5
	v_pk_mul_f32 v[4:5], v[6:7], v[2:3] op_sel:[0,1]
	v_pk_add_f32 v[94:95], v[94:95], v[8:9] neg_lo:[0,1] neg_hi:[0,1]
	s_delay_alu instid0(VALU_DEP_2) | instskip(SKIP_1) | instid1(VALU_DEP_1)
	v_pk_fma_f32 v[8:9], v[6:7], v[0:1], v[4:5] op_sel:[0,0,1] op_sel_hi:[1,1,0] neg_lo:[0,0,1] neg_hi:[0,0,1]
	v_pk_fma_f32 v[4:5], v[6:7], v[0:1], v[4:5] op_sel:[0,0,1] op_sel_hi:[1,0,0]
	v_mov_b32_e32 v9, v5
	ds_load_2addr_b64 v[4:7], v118 offset0:22 offset1:23
	v_pk_add_f32 v[90:91], v[90:91], v[8:9] neg_lo:[0,1] neg_hi:[0,1]
	s_wait_dscnt 0x0
	v_pk_mul_f32 v[8:9], v[4:5], v[2:3] op_sel:[0,1]
	s_delay_alu instid0(VALU_DEP_1) | instskip(SKIP_1) | instid1(VALU_DEP_1)
	v_pk_fma_f32 v[10:11], v[4:5], v[0:1], v[8:9] op_sel:[0,0,1] op_sel_hi:[1,1,0] neg_lo:[0,0,1] neg_hi:[0,0,1]
	v_pk_fma_f32 v[4:5], v[4:5], v[0:1], v[8:9] op_sel:[0,0,1] op_sel_hi:[1,0,0]
	v_mov_b32_e32 v11, v5
	v_pk_mul_f32 v[4:5], v[6:7], v[2:3] op_sel:[0,1]
	s_delay_alu instid0(VALU_DEP_2) | instskip(NEXT) | instid1(VALU_DEP_2)
	v_pk_add_f32 v[92:93], v[92:93], v[10:11] neg_lo:[0,1] neg_hi:[0,1]
	v_pk_fma_f32 v[8:9], v[6:7], v[0:1], v[4:5] op_sel:[0,0,1] op_sel_hi:[1,1,0] neg_lo:[0,0,1] neg_hi:[0,0,1]
	v_pk_fma_f32 v[4:5], v[6:7], v[0:1], v[4:5] op_sel:[0,0,1] op_sel_hi:[1,0,0]
	s_delay_alu instid0(VALU_DEP_1) | instskip(SKIP_4) | instid1(VALU_DEP_1)
	v_mov_b32_e32 v9, v5
	ds_load_2addr_b64 v[4:7], v118 offset0:24 offset1:25
	v_pk_add_f32 v[88:89], v[88:89], v[8:9] neg_lo:[0,1] neg_hi:[0,1]
	s_wait_dscnt 0x0
	v_pk_mul_f32 v[8:9], v[4:5], v[2:3] op_sel:[0,1]
	v_pk_fma_f32 v[10:11], v[4:5], v[0:1], v[8:9] op_sel:[0,0,1] op_sel_hi:[1,1,0] neg_lo:[0,0,1] neg_hi:[0,0,1]
	v_pk_fma_f32 v[4:5], v[4:5], v[0:1], v[8:9] op_sel:[0,0,1] op_sel_hi:[1,0,0]
	v_dual_mul_f32 v8, v7, v3 :: v_dual_mov_b32 v4, v7
	s_delay_alu instid0(VALU_DEP_2) | instskip(NEXT) | instid1(VALU_DEP_2)
	v_dual_mov_b32 v11, v5 :: v_dual_mov_b32 v5, v6
	v_pk_fma_f32 v[8:9], v[6:7], v[54:55], v[8:9] op_sel_hi:[1,1,0] neg_lo:[0,0,1] neg_hi:[0,0,1]
	v_mul_f32_e32 v6, v7, v0
	s_delay_alu instid0(VALU_DEP_3) | instskip(NEXT) | instid1(VALU_DEP_2)
	v_pk_add_f32 v[112:113], v[112:113], v[10:11] neg_lo:[0,1] neg_hi:[0,1]
	v_pk_fma_f32 v[4:5], v[4:5], v[54:55], v[6:7] op_sel_hi:[1,1,0]
	s_delay_alu instid0(VALU_DEP_1) | instskip(SKIP_4) | instid1(VALU_DEP_1)
	v_mov_b32_e32 v9, v5
	ds_load_2addr_b64 v[4:7], v118 offset0:26 offset1:27
	v_pk_add_f32 v[108:109], v[108:109], v[8:9] neg_lo:[0,1] neg_hi:[0,1]
	s_wait_dscnt 0x0
	v_pk_mul_f32 v[8:9], v[4:5], v[2:3] op_sel:[0,1]
	v_pk_fma_f32 v[10:11], v[4:5], v[0:1], v[8:9] op_sel:[0,0,1] op_sel_hi:[1,1,0] neg_lo:[0,0,1] neg_hi:[0,0,1]
	v_pk_fma_f32 v[4:5], v[4:5], v[0:1], v[8:9] op_sel:[0,0,1] op_sel_hi:[1,0,0]
	s_delay_alu instid0(VALU_DEP_1) | instskip(SKIP_1) | instid1(VALU_DEP_1)
	v_mov_b32_e32 v11, v5
	v_pk_mul_f32 v[4:5], v[6:7], v[2:3] op_sel:[0,1]
	v_pk_fma_f32 v[8:9], v[6:7], v[0:1], v[4:5] op_sel:[0,0,1] op_sel_hi:[1,1,0] neg_lo:[0,0,1] neg_hi:[0,0,1]
	v_pk_fma_f32 v[4:5], v[6:7], v[0:1], v[4:5] op_sel:[0,0,1] op_sel_hi:[1,0,0]
	s_delay_alu instid0(VALU_DEP_1)
	v_mov_b32_e32 v9, v5
	ds_load_2addr_b64 v[4:7], v118 offset0:28 offset1:29
	v_pk_add_f32 v[110:111], v[110:111], v[10:11] neg_lo:[0,1] neg_hi:[0,1]
	v_pk_add_f32 v[106:107], v[106:107], v[8:9] neg_lo:[0,1] neg_hi:[0,1]
	s_wait_dscnt 0x0
	v_pk_mul_f32 v[8:9], v[4:5], v[2:3] op_sel:[0,1]
	s_delay_alu instid0(VALU_DEP_1) | instskip(SKIP_1) | instid1(VALU_DEP_1)
	v_pk_fma_f32 v[10:11], v[4:5], v[0:1], v[8:9] op_sel:[0,0,1] op_sel_hi:[1,1,0] neg_lo:[0,0,1] neg_hi:[0,0,1]
	v_pk_fma_f32 v[4:5], v[4:5], v[0:1], v[8:9] op_sel:[0,0,1] op_sel_hi:[1,0,0]
	v_mov_b32_e32 v11, v5
	v_pk_mul_f32 v[4:5], v[6:7], v[2:3] op_sel:[0,1]
	s_delay_alu instid0(VALU_DEP_1) | instskip(SKIP_1) | instid1(VALU_DEP_1)
	v_pk_fma_f32 v[8:9], v[6:7], v[0:1], v[4:5] op_sel:[0,0,1] op_sel_hi:[1,1,0] neg_lo:[0,0,1] neg_hi:[0,0,1]
	v_pk_fma_f32 v[4:5], v[6:7], v[0:1], v[4:5] op_sel:[0,0,1] op_sel_hi:[1,0,0]
	v_mov_b32_e32 v9, v5
	ds_load_2addr_b64 v[4:7], v118 offset0:30 offset1:31
	v_pk_add_f32 v[128:129], v[128:129], v[10:11] neg_lo:[0,1] neg_hi:[0,1]
	v_pk_add_f32 v[124:125], v[124:125], v[8:9] neg_lo:[0,1] neg_hi:[0,1]
	s_wait_dscnt 0x0
	v_dual_mul_f32 v8, v5, v3 :: v_dual_mul_f32 v10, v5, v0
	s_delay_alu instid0(VALU_DEP_1) | instskip(NEXT) | instid1(VALU_DEP_2)
	v_pk_fma_f32 v[8:9], v[4:5], v[54:55], v[8:9] op_sel_hi:[1,1,0] neg_lo:[0,0,1] neg_hi:[0,0,1]
	v_pk_fma_f32 v[4:5], v[4:5], v[54:55], v[10:11] op_sel:[1,0,0] op_sel_hi:[0,1,0]
	s_delay_alu instid0(VALU_DEP_1) | instskip(SKIP_1) | instid1(VALU_DEP_2)
	v_mov_b32_e32 v9, v5
	v_pk_mul_f32 v[4:5], v[6:7], v[2:3] op_sel:[0,1]
	v_pk_add_f32 v[126:127], v[126:127], v[8:9] neg_lo:[0,1] neg_hi:[0,1]
	s_delay_alu instid0(VALU_DEP_2) | instskip(SKIP_1) | instid1(VALU_DEP_1)
	v_pk_fma_f32 v[8:9], v[6:7], v[0:1], v[4:5] op_sel:[0,0,1] op_sel_hi:[1,1,0] neg_lo:[0,0,1] neg_hi:[0,0,1]
	v_pk_fma_f32 v[4:5], v[6:7], v[0:1], v[4:5] op_sel:[0,0,1] op_sel_hi:[1,0,0]
	v_mov_b32_e32 v9, v5
	ds_load_2addr_b64 v[4:7], v118 offset0:32 offset1:33
	v_pk_add_f32 v[122:123], v[122:123], v[8:9] neg_lo:[0,1] neg_hi:[0,1]
	s_wait_dscnt 0x0
	v_pk_mul_f32 v[8:9], v[4:5], v[2:3] op_sel:[0,1]
	s_delay_alu instid0(VALU_DEP_1) | instskip(SKIP_1) | instid1(VALU_DEP_1)
	v_pk_fma_f32 v[10:11], v[4:5], v[0:1], v[8:9] op_sel:[0,0,1] op_sel_hi:[1,1,0] neg_lo:[0,0,1] neg_hi:[0,0,1]
	v_pk_fma_f32 v[4:5], v[4:5], v[0:1], v[8:9] op_sel:[0,0,1] op_sel_hi:[1,0,0]
	v_mov_b32_e32 v11, v5
	v_pk_mul_f32 v[4:5], v[6:7], v[2:3] op_sel:[0,1]
	s_delay_alu instid0(VALU_DEP_2) | instskip(NEXT) | instid1(VALU_DEP_2)
	v_pk_add_f32 v[146:147], v[146:147], v[10:11] neg_lo:[0,1] neg_hi:[0,1]
	v_pk_fma_f32 v[8:9], v[6:7], v[0:1], v[4:5] op_sel:[0,0,1] op_sel_hi:[1,1,0] neg_lo:[0,0,1] neg_hi:[0,0,1]
	v_pk_fma_f32 v[4:5], v[6:7], v[0:1], v[4:5] op_sel:[0,0,1] op_sel_hi:[1,0,0]
	s_delay_alu instid0(VALU_DEP_1) | instskip(SKIP_4) | instid1(VALU_DEP_1)
	v_mov_b32_e32 v9, v5
	ds_load_2addr_b64 v[4:7], v118 offset0:34 offset1:35
	v_pk_add_f32 v[142:143], v[142:143], v[8:9] neg_lo:[0,1] neg_hi:[0,1]
	s_wait_dscnt 0x0
	v_pk_mul_f32 v[8:9], v[4:5], v[2:3] op_sel:[0,1]
	v_pk_fma_f32 v[10:11], v[4:5], v[0:1], v[8:9] op_sel:[0,0,1] op_sel_hi:[1,1,0] neg_lo:[0,0,1] neg_hi:[0,0,1]
	v_pk_fma_f32 v[4:5], v[4:5], v[0:1], v[8:9] op_sel:[0,0,1] op_sel_hi:[1,0,0]
	v_dual_mul_f32 v8, v7, v3 :: v_dual_mov_b32 v4, v7
	s_delay_alu instid0(VALU_DEP_2) | instskip(NEXT) | instid1(VALU_DEP_2)
	v_dual_mov_b32 v11, v5 :: v_dual_mov_b32 v5, v6
	v_pk_fma_f32 v[8:9], v[6:7], v[54:55], v[8:9] op_sel_hi:[1,1,0] neg_lo:[0,0,1] neg_hi:[0,0,1]
	v_mul_f32_e32 v6, v7, v0
	s_delay_alu instid0(VALU_DEP_3) | instskip(NEXT) | instid1(VALU_DEP_2)
	v_pk_add_f32 v[144:145], v[144:145], v[10:11] neg_lo:[0,1] neg_hi:[0,1]
	v_pk_fma_f32 v[4:5], v[4:5], v[54:55], v[6:7] op_sel_hi:[1,1,0]
	s_delay_alu instid0(VALU_DEP_1) | instskip(SKIP_4) | instid1(VALU_DEP_1)
	v_mov_b32_e32 v9, v5
	ds_load_2addr_b64 v[4:7], v118 offset0:36 offset1:37
	v_pk_add_f32 v[140:141], v[140:141], v[8:9] neg_lo:[0,1] neg_hi:[0,1]
	s_wait_dscnt 0x0
	v_pk_mul_f32 v[8:9], v[4:5], v[2:3] op_sel:[0,1]
	v_pk_fma_f32 v[10:11], v[4:5], v[0:1], v[8:9] op_sel:[0,0,1] op_sel_hi:[1,1,0] neg_lo:[0,0,1] neg_hi:[0,0,1]
	v_pk_fma_f32 v[4:5], v[4:5], v[0:1], v[8:9] op_sel:[0,0,1] op_sel_hi:[1,0,0]
	s_delay_alu instid0(VALU_DEP_1) | instskip(SKIP_1) | instid1(VALU_DEP_1)
	v_mov_b32_e32 v11, v5
	v_pk_mul_f32 v[4:5], v[6:7], v[2:3] op_sel:[0,1]
	v_pk_fma_f32 v[8:9], v[6:7], v[0:1], v[4:5] op_sel:[0,0,1] op_sel_hi:[1,1,0] neg_lo:[0,0,1] neg_hi:[0,0,1]
	v_pk_fma_f32 v[4:5], v[6:7], v[0:1], v[4:5] op_sel:[0,0,1] op_sel_hi:[1,0,0]
	s_delay_alu instid0(VALU_DEP_1)
	v_mov_b32_e32 v9, v5
	ds_load_2addr_b64 v[4:7], v118 offset0:38 offset1:39
	v_pk_add_f32 v[162:163], v[162:163], v[10:11] neg_lo:[0,1] neg_hi:[0,1]
	v_pk_add_f32 v[158:159], v[158:159], v[8:9] neg_lo:[0,1] neg_hi:[0,1]
	s_wait_dscnt 0x0
	v_pk_mul_f32 v[8:9], v[4:5], v[2:3] op_sel:[0,1]
	s_delay_alu instid0(VALU_DEP_1) | instskip(SKIP_1) | instid1(VALU_DEP_1)
	v_pk_fma_f32 v[10:11], v[4:5], v[0:1], v[8:9] op_sel:[0,0,1] op_sel_hi:[1,1,0] neg_lo:[0,0,1] neg_hi:[0,0,1]
	v_pk_fma_f32 v[4:5], v[4:5], v[0:1], v[8:9] op_sel:[0,0,1] op_sel_hi:[1,0,0]
	v_mov_b32_e32 v11, v5
	v_pk_mul_f32 v[4:5], v[6:7], v[2:3] op_sel:[0,1]
	s_delay_alu instid0(VALU_DEP_1) | instskip(SKIP_1) | instid1(VALU_DEP_1)
	v_pk_fma_f32 v[8:9], v[6:7], v[0:1], v[4:5] op_sel:[0,0,1] op_sel_hi:[1,1,0] neg_lo:[0,0,1] neg_hi:[0,0,1]
	v_pk_fma_f32 v[4:5], v[6:7], v[0:1], v[4:5] op_sel:[0,0,1] op_sel_hi:[1,0,0]
	v_mov_b32_e32 v9, v5
	ds_load_2addr_b64 v[4:7], v118 offset0:40 offset1:41
	v_pk_add_f32 v[160:161], v[160:161], v[10:11] neg_lo:[0,1] neg_hi:[0,1]
	v_pk_add_f32 v[156:157], v[156:157], v[8:9] neg_lo:[0,1] neg_hi:[0,1]
	s_wait_dscnt 0x0
	v_dual_mul_f32 v8, v5, v3 :: v_dual_mul_f32 v10, v5, v0
	s_delay_alu instid0(VALU_DEP_1) | instskip(NEXT) | instid1(VALU_DEP_2)
	v_pk_fma_f32 v[8:9], v[4:5], v[54:55], v[8:9] op_sel_hi:[1,1,0] neg_lo:[0,0,1] neg_hi:[0,0,1]
	v_pk_fma_f32 v[4:5], v[4:5], v[54:55], v[10:11] op_sel:[1,0,0] op_sel_hi:[0,1,0]
	s_delay_alu instid0(VALU_DEP_1) | instskip(SKIP_1) | instid1(VALU_DEP_2)
	v_mov_b32_e32 v9, v5
	v_pk_mul_f32 v[4:5], v[6:7], v[2:3] op_sel:[0,1]
	v_pk_add_f32 v[182:183], v[182:183], v[8:9] neg_lo:[0,1] neg_hi:[0,1]
	s_delay_alu instid0(VALU_DEP_2) | instskip(SKIP_1) | instid1(VALU_DEP_1)
	v_pk_fma_f32 v[8:9], v[6:7], v[0:1], v[4:5] op_sel:[0,0,1] op_sel_hi:[1,1,0] neg_lo:[0,0,1] neg_hi:[0,0,1]
	v_pk_fma_f32 v[4:5], v[6:7], v[0:1], v[4:5] op_sel:[0,0,1] op_sel_hi:[1,0,0]
	v_mov_b32_e32 v9, v5
	ds_load_2addr_b64 v[4:7], v118 offset0:42 offset1:43
	v_pk_add_f32 v[178:179], v[178:179], v[8:9] neg_lo:[0,1] neg_hi:[0,1]
	s_wait_dscnt 0x0
	v_pk_mul_f32 v[8:9], v[4:5], v[2:3] op_sel:[0,1]
	s_delay_alu instid0(VALU_DEP_1) | instskip(SKIP_1) | instid1(VALU_DEP_1)
	v_pk_fma_f32 v[10:11], v[4:5], v[0:1], v[8:9] op_sel:[0,0,1] op_sel_hi:[1,1,0] neg_lo:[0,0,1] neg_hi:[0,0,1]
	v_pk_fma_f32 v[4:5], v[4:5], v[0:1], v[8:9] op_sel:[0,0,1] op_sel_hi:[1,0,0]
	v_mov_b32_e32 v11, v5
	v_pk_mul_f32 v[4:5], v[6:7], v[2:3] op_sel:[0,1]
	s_delay_alu instid0(VALU_DEP_2) | instskip(NEXT) | instid1(VALU_DEP_2)
	v_pk_add_f32 v[180:181], v[180:181], v[10:11] neg_lo:[0,1] neg_hi:[0,1]
	v_pk_fma_f32 v[8:9], v[6:7], v[0:1], v[4:5] op_sel:[0,0,1] op_sel_hi:[1,1,0] neg_lo:[0,0,1] neg_hi:[0,0,1]
	v_pk_fma_f32 v[4:5], v[6:7], v[0:1], v[4:5] op_sel:[0,0,1] op_sel_hi:[1,0,0]
	s_delay_alu instid0(VALU_DEP_1) | instskip(SKIP_4) | instid1(VALU_DEP_1)
	v_mov_b32_e32 v9, v5
	ds_load_2addr_b64 v[4:7], v118 offset0:44 offset1:45
	v_pk_add_f32 v[176:177], v[176:177], v[8:9] neg_lo:[0,1] neg_hi:[0,1]
	s_wait_dscnt 0x0
	v_pk_mul_f32 v[8:9], v[4:5], v[2:3] op_sel:[0,1]
	v_pk_fma_f32 v[10:11], v[4:5], v[0:1], v[8:9] op_sel:[0,0,1] op_sel_hi:[1,1,0] neg_lo:[0,0,1] neg_hi:[0,0,1]
	v_pk_fma_f32 v[4:5], v[4:5], v[0:1], v[8:9] op_sel:[0,0,1] op_sel_hi:[1,0,0]
	v_dual_mul_f32 v8, v7, v3 :: v_dual_mov_b32 v4, v7
	s_delay_alu instid0(VALU_DEP_2) | instskip(NEXT) | instid1(VALU_DEP_2)
	v_dual_mov_b32 v11, v5 :: v_dual_mov_b32 v5, v6
	v_pk_fma_f32 v[8:9], v[6:7], v[54:55], v[8:9] op_sel_hi:[1,1,0] neg_lo:[0,0,1] neg_hi:[0,0,1]
	v_mul_f32_e32 v6, v7, v0
	s_delay_alu instid0(VALU_DEP_3) | instskip(NEXT) | instid1(VALU_DEP_2)
	v_pk_add_f32 v[204:205], v[204:205], v[10:11] neg_lo:[0,1] neg_hi:[0,1]
	v_pk_fma_f32 v[4:5], v[4:5], v[54:55], v[6:7] op_sel_hi:[1,1,0]
	s_delay_alu instid0(VALU_DEP_1) | instskip(SKIP_4) | instid1(VALU_DEP_1)
	v_mov_b32_e32 v9, v5
	ds_load_2addr_b64 v[4:7], v118 offset0:46 offset1:47
	v_pk_add_f32 v[198:199], v[198:199], v[8:9] neg_lo:[0,1] neg_hi:[0,1]
	s_wait_dscnt 0x0
	v_pk_mul_f32 v[8:9], v[4:5], v[2:3] op_sel:[0,1]
	v_pk_fma_f32 v[10:11], v[4:5], v[0:1], v[8:9] op_sel:[0,0,1] op_sel_hi:[1,1,0] neg_lo:[0,0,1] neg_hi:[0,0,1]
	v_pk_fma_f32 v[4:5], v[4:5], v[0:1], v[8:9] op_sel:[0,0,1] op_sel_hi:[1,0,0]
	s_delay_alu instid0(VALU_DEP_1) | instskip(SKIP_1) | instid1(VALU_DEP_1)
	v_mov_b32_e32 v11, v5
	v_pk_mul_f32 v[4:5], v[6:7], v[2:3] op_sel:[0,1]
	v_pk_fma_f32 v[8:9], v[6:7], v[0:1], v[4:5] op_sel:[0,0,1] op_sel_hi:[1,1,0] neg_lo:[0,0,1] neg_hi:[0,0,1]
	v_pk_fma_f32 v[4:5], v[6:7], v[0:1], v[4:5] op_sel:[0,0,1] op_sel_hi:[1,0,0]
	s_delay_alu instid0(VALU_DEP_1)
	v_mov_b32_e32 v9, v5
	ds_load_2addr_b64 v[4:7], v118 offset0:48 offset1:49
	v_pk_add_f32 v[202:203], v[202:203], v[10:11] neg_lo:[0,1] neg_hi:[0,1]
	v_pk_add_f32 v[196:197], v[196:197], v[8:9] neg_lo:[0,1] neg_hi:[0,1]
	s_wait_dscnt 0x0
	v_pk_mul_f32 v[8:9], v[4:5], v[2:3] op_sel:[0,1]
	s_delay_alu instid0(VALU_DEP_1) | instskip(SKIP_1) | instid1(VALU_DEP_1)
	v_pk_fma_f32 v[10:11], v[4:5], v[0:1], v[8:9] op_sel:[0,0,1] op_sel_hi:[1,1,0] neg_lo:[0,0,1] neg_hi:[0,0,1]
	v_pk_fma_f32 v[4:5], v[4:5], v[0:1], v[8:9] op_sel:[0,0,1] op_sel_hi:[1,0,0]
	v_mov_b32_e32 v11, v5
	v_pk_mul_f32 v[4:5], v[6:7], v[2:3] op_sel:[0,1]
	s_delay_alu instid0(VALU_DEP_1) | instskip(SKIP_1) | instid1(VALU_DEP_1)
	v_pk_fma_f32 v[8:9], v[6:7], v[0:1], v[4:5] op_sel:[0,0,1] op_sel_hi:[1,1,0] neg_lo:[0,0,1] neg_hi:[0,0,1]
	v_pk_fma_f32 v[4:5], v[6:7], v[0:1], v[4:5] op_sel:[0,0,1] op_sel_hi:[1,0,0]
	v_mov_b32_e32 v9, v5
	ds_load_2addr_b64 v[4:7], v118 offset0:50 offset1:51
	v_pk_add_f32 v[200:201], v[200:201], v[10:11] neg_lo:[0,1] neg_hi:[0,1]
	v_pk_add_f32 v[194:195], v[194:195], v[8:9] neg_lo:[0,1] neg_hi:[0,1]
	s_wait_dscnt 0x0
	v_dual_mul_f32 v8, v5, v3 :: v_dual_mul_f32 v10, v5, v0
	v_pk_mul_f32 v[2:3], v[6:7], v[2:3] op_sel:[0,1]
	s_delay_alu instid0(VALU_DEP_2) | instskip(NEXT) | instid1(VALU_DEP_3)
	v_pk_fma_f32 v[8:9], v[4:5], v[54:55], v[8:9] op_sel_hi:[1,1,0] neg_lo:[0,0,1] neg_hi:[0,0,1]
	v_pk_fma_f32 v[4:5], v[4:5], v[54:55], v[10:11] op_sel:[1,0,0] op_sel_hi:[0,1,0]
	s_delay_alu instid0(VALU_DEP_1) | instskip(NEXT) | instid1(VALU_DEP_4)
	v_mov_b32_e32 v9, v5
	v_pk_fma_f32 v[4:5], v[6:7], v[0:1], v[2:3] op_sel:[0,0,1] op_sel_hi:[1,1,0] neg_lo:[0,0,1] neg_hi:[0,0,1]
	v_pk_fma_f32 v[0:1], v[6:7], v[0:1], v[2:3] op_sel:[0,0,1] op_sel_hi:[1,0,0]
	s_delay_alu instid0(VALU_DEP_1) | instskip(NEXT) | instid1(VALU_DEP_4)
	v_mov_b32_e32 v5, v1
	v_pk_add_f32 v[206:207], v[206:207], v[8:9] neg_lo:[0,1] neg_hi:[0,1]
	s_delay_alu instid0(VALU_DEP_2)
	v_pk_add_f32 v[208:209], v[208:209], v[4:5] neg_lo:[0,1] neg_hi:[0,1]
.LBB103_19:
	s_wait_xcnt 0x0
	s_or_b32 exec_lo, exec_lo, s1
	s_delay_alu instid0(SALU_CYCLE_1)
	s_mov_b32 s2, exec_lo
	s_wait_storecnt 0x0
	s_barrier_signal -1
	s_barrier_wait -1
	v_cmpx_eq_u32_e32 2, v116
	s_cbranch_execz .LBB103_26
; %bb.20:
	ds_store_b64 v117, v[46:47]
	ds_store_2addr_b64 v118, v[44:45], v[26:27] offset0:3 offset1:4
	ds_store_2addr_b64 v118, v[22:23], v[24:25] offset0:5 offset1:6
	;; [unrolled: 1-line block ×24, first 2 shown]
	ds_store_b64 v118, v[208:209] offset:408
	ds_load_b64 v[0:1], v117
	s_wait_dscnt 0x0
	v_cmp_neq_f32_e32 vcc_lo, 0, v0
	v_cmp_neq_f32_e64 s1, 0, v1
	s_or_b32 s1, vcc_lo, s1
	s_delay_alu instid0(SALU_CYCLE_1)
	s_and_b32 exec_lo, exec_lo, s1
	s_cbranch_execz .LBB103_26
; %bb.21:
	v_cmp_ngt_f32_e64 s1, |v0|, |v1|
                                        ; implicit-def: $vgpr2_vgpr3
	s_and_saveexec_b32 s4, s1
	s_delay_alu instid0(SALU_CYCLE_1)
	s_xor_b32 s1, exec_lo, s4
	s_cbranch_execz .LBB103_23
; %bb.22:
	v_div_scale_f32 v2, null, v1, v1, v0
	v_div_scale_f32 v5, vcc_lo, v0, v1, v0
	s_delay_alu instid0(VALU_DEP_2) | instskip(SKIP_1) | instid1(TRANS32_DEP_1)
	v_rcp_f32_e32 v3, v2
	v_nop
	v_fma_f32 v4, -v2, v3, 1.0
	s_delay_alu instid0(VALU_DEP_1) | instskip(NEXT) | instid1(VALU_DEP_1)
	v_fmac_f32_e32 v3, v4, v3
	v_mul_f32_e32 v4, v5, v3
	s_delay_alu instid0(VALU_DEP_1) | instskip(NEXT) | instid1(VALU_DEP_1)
	v_fma_f32 v6, -v2, v4, v5
	v_fmac_f32_e32 v4, v6, v3
	s_delay_alu instid0(VALU_DEP_1) | instskip(NEXT) | instid1(VALU_DEP_1)
	v_fma_f32 v2, -v2, v4, v5
	v_div_fmas_f32 v2, v2, v3, v4
	s_delay_alu instid0(VALU_DEP_1) | instskip(NEXT) | instid1(VALU_DEP_1)
	v_div_fixup_f32 v2, v2, v1, v0
	v_fmac_f32_e32 v1, v0, v2
	s_delay_alu instid0(VALU_DEP_1) | instskip(SKIP_1) | instid1(VALU_DEP_2)
	v_div_scale_f32 v0, null, v1, v1, 1.0
	v_div_scale_f32 v5, vcc_lo, 1.0, v1, 1.0
	v_rcp_f32_e32 v3, v0
	v_nop
	s_delay_alu instid0(TRANS32_DEP_1) | instskip(NEXT) | instid1(VALU_DEP_1)
	v_fma_f32 v4, -v0, v3, 1.0
	v_fmac_f32_e32 v3, v4, v3
	s_delay_alu instid0(VALU_DEP_1) | instskip(NEXT) | instid1(VALU_DEP_1)
	v_mul_f32_e32 v4, v5, v3
	v_fma_f32 v6, -v0, v4, v5
	s_delay_alu instid0(VALU_DEP_1) | instskip(NEXT) | instid1(VALU_DEP_1)
	v_fmac_f32_e32 v4, v6, v3
	v_fma_f32 v0, -v0, v4, v5
	s_delay_alu instid0(VALU_DEP_1) | instskip(NEXT) | instid1(VALU_DEP_1)
	v_div_fmas_f32 v0, v0, v3, v4
	v_div_fixup_f32 v0, v0, v1, 1.0
	s_delay_alu instid0(VALU_DEP_1)
	v_mul_f32_e32 v2, v2, v0
	v_xor_b32_e32 v3, 0x80000000, v0
                                        ; implicit-def: $vgpr0_vgpr1
.LBB103_23:
	s_and_not1_saveexec_b32 s1, s1
	s_cbranch_execz .LBB103_25
; %bb.24:
	v_div_scale_f32 v2, null, v0, v0, v1
	v_div_scale_f32 v5, vcc_lo, v1, v0, v1
	s_delay_alu instid0(VALU_DEP_2) | instskip(SKIP_1) | instid1(TRANS32_DEP_1)
	v_rcp_f32_e32 v3, v2
	v_nop
	v_fma_f32 v4, -v2, v3, 1.0
	s_delay_alu instid0(VALU_DEP_1) | instskip(NEXT) | instid1(VALU_DEP_1)
	v_fmac_f32_e32 v3, v4, v3
	v_mul_f32_e32 v4, v5, v3
	s_delay_alu instid0(VALU_DEP_1) | instskip(NEXT) | instid1(VALU_DEP_1)
	v_fma_f32 v6, -v2, v4, v5
	v_fmac_f32_e32 v4, v6, v3
	s_delay_alu instid0(VALU_DEP_1) | instskip(NEXT) | instid1(VALU_DEP_1)
	v_fma_f32 v2, -v2, v4, v5
	v_div_fmas_f32 v2, v2, v3, v4
	s_delay_alu instid0(VALU_DEP_1) | instskip(NEXT) | instid1(VALU_DEP_1)
	v_div_fixup_f32 v3, v2, v0, v1
	v_fmac_f32_e32 v0, v1, v3
	s_delay_alu instid0(VALU_DEP_1) | instskip(NEXT) | instid1(VALU_DEP_1)
	v_div_scale_f32 v1, null, v0, v0, 1.0
	v_rcp_f32_e32 v2, v1
	v_nop
	s_delay_alu instid0(TRANS32_DEP_1) | instskip(NEXT) | instid1(VALU_DEP_1)
	v_fma_f32 v4, -v1, v2, 1.0
	v_fmac_f32_e32 v2, v4, v2
	v_div_scale_f32 v4, vcc_lo, 1.0, v0, 1.0
	s_delay_alu instid0(VALU_DEP_1) | instskip(NEXT) | instid1(VALU_DEP_1)
	v_mul_f32_e32 v5, v4, v2
	v_fma_f32 v6, -v1, v5, v4
	s_delay_alu instid0(VALU_DEP_1) | instskip(NEXT) | instid1(VALU_DEP_1)
	v_fmac_f32_e32 v5, v6, v2
	v_fma_f32 v1, -v1, v5, v4
	s_delay_alu instid0(VALU_DEP_1) | instskip(NEXT) | instid1(VALU_DEP_1)
	v_div_fmas_f32 v1, v1, v2, v5
	v_div_fixup_f32 v2, v1, v0, 1.0
	s_delay_alu instid0(VALU_DEP_1)
	v_mul_f32_e64 v3, v3, -v2
.LBB103_25:
	s_or_b32 exec_lo, exec_lo, s1
	ds_store_b64 v117, v[2:3]
.LBB103_26:
	s_or_b32 exec_lo, exec_lo, s2
	s_wait_dscnt 0x0
	s_barrier_signal -1
	s_barrier_wait -1
	ds_load_b64 v[0:1], v117
	s_mov_b32 s1, exec_lo
	s_wait_dscnt 0x0
	scratch_store_b64 off, v[0:1], off offset:104 ; 8-byte Folded Spill
	s_wait_xcnt 0x0
	v_cmpx_lt_u32_e32 2, v116
	s_cbranch_execz .LBB103_28
; %bb.27:
	scratch_load_b64 v[4:5], off, off offset:104 ; 8-byte Folded Reload
	s_wait_loadcnt 0x0
	v_pk_mul_f32 v[2:3], v[4:5], v[46:47] op_sel:[1,1] op_sel_hi:[0,1]
	s_delay_alu instid0(VALU_DEP_1)
	v_pk_fma_f32 v[0:1], v[4:5], v[46:47], v[2:3] op_sel_hi:[1,0,1] neg_lo:[0,0,1] neg_hi:[0,0,1]
	v_pk_fma_f32 v[2:3], v[4:5], v[46:47], v[2:3] op_sel_hi:[1,0,1]
	ds_load_2addr_b64 v[4:7], v118 offset0:3 offset1:4
	v_dual_mov_b32 v46, v0 :: v_dual_mov_b32 v47, v3
	s_wait_dscnt 0x0
	v_pk_mul_f32 v[8:9], v[4:5], v[2:3] op_sel:[0,1]
	s_delay_alu instid0(VALU_DEP_1) | instskip(SKIP_1) | instid1(VALU_DEP_1)
	v_pk_fma_f32 v[10:11], v[4:5], v[0:1], v[8:9] op_sel:[0,0,1] op_sel_hi:[1,1,0] neg_lo:[0,0,1] neg_hi:[0,0,1]
	v_pk_fma_f32 v[4:5], v[4:5], v[0:1], v[8:9] op_sel:[0,0,1] op_sel_hi:[1,0,0]
	v_mov_b32_e32 v11, v5
	v_pk_mul_f32 v[4:5], v[6:7], v[2:3] op_sel:[0,1]
	s_delay_alu instid0(VALU_DEP_1) | instskip(SKIP_1) | instid1(VALU_DEP_1)
	v_pk_fma_f32 v[8:9], v[6:7], v[0:1], v[4:5] op_sel:[0,0,1] op_sel_hi:[1,1,0] neg_lo:[0,0,1] neg_hi:[0,0,1]
	v_pk_fma_f32 v[4:5], v[6:7], v[0:1], v[4:5] op_sel:[0,0,1] op_sel_hi:[1,0,0]
	v_mov_b32_e32 v9, v5
	ds_load_2addr_b64 v[4:7], v118 offset0:5 offset1:6
	v_pk_add_f32 v[44:45], v[44:45], v[10:11] neg_lo:[0,1] neg_hi:[0,1]
	v_pk_add_f32 v[26:27], v[26:27], v[8:9] neg_lo:[0,1] neg_hi:[0,1]
	s_wait_dscnt 0x0
	v_pk_mul_f32 v[8:9], v[4:5], v[2:3] op_sel:[0,1]
	s_delay_alu instid0(VALU_DEP_1) | instskip(SKIP_2) | instid1(VALU_DEP_2)
	v_pk_fma_f32 v[10:11], v[4:5], v[0:1], v[8:9] op_sel:[0,0,1] op_sel_hi:[1,1,0] neg_lo:[0,0,1] neg_hi:[0,0,1]
	v_pk_fma_f32 v[4:5], v[4:5], v[0:1], v[8:9] op_sel:[0,0,1] op_sel_hi:[1,0,0]
	v_dual_mul_f32 v8, v7, v3 :: v_dual_mov_b32 v4, v7
	v_dual_mov_b32 v11, v5 :: v_dual_mov_b32 v5, v6
	s_delay_alu instid0(VALU_DEP_2) | instskip(SKIP_1) | instid1(VALU_DEP_3)
	v_pk_fma_f32 v[8:9], v[6:7], v[46:47], v[8:9] op_sel_hi:[1,1,0] neg_lo:[0,0,1] neg_hi:[0,0,1]
	v_mul_f32_e32 v6, v7, v0
	v_pk_add_f32 v[22:23], v[22:23], v[10:11] neg_lo:[0,1] neg_hi:[0,1]
	s_delay_alu instid0(VALU_DEP_2) | instskip(NEXT) | instid1(VALU_DEP_1)
	v_pk_fma_f32 v[4:5], v[4:5], v[46:47], v[6:7] op_sel_hi:[1,1,0]
	v_mov_b32_e32 v9, v5
	ds_load_2addr_b64 v[4:7], v118 offset0:7 offset1:8
	v_pk_add_f32 v[24:25], v[24:25], v[8:9] neg_lo:[0,1] neg_hi:[0,1]
	s_wait_dscnt 0x0
	v_pk_mul_f32 v[8:9], v[4:5], v[2:3] op_sel:[0,1]
	s_delay_alu instid0(VALU_DEP_1) | instskip(SKIP_1) | instid1(VALU_DEP_1)
	v_pk_fma_f32 v[10:11], v[4:5], v[0:1], v[8:9] op_sel:[0,0,1] op_sel_hi:[1,1,0] neg_lo:[0,0,1] neg_hi:[0,0,1]
	v_pk_fma_f32 v[4:5], v[4:5], v[0:1], v[8:9] op_sel:[0,0,1] op_sel_hi:[1,0,0]
	v_mov_b32_e32 v11, v5
	v_pk_mul_f32 v[4:5], v[6:7], v[2:3] op_sel:[0,1]
	s_delay_alu instid0(VALU_DEP_1) | instskip(SKIP_1) | instid1(VALU_DEP_1)
	v_pk_fma_f32 v[8:9], v[6:7], v[0:1], v[4:5] op_sel:[0,0,1] op_sel_hi:[1,1,0] neg_lo:[0,0,1] neg_hi:[0,0,1]
	v_pk_fma_f32 v[4:5], v[6:7], v[0:1], v[4:5] op_sel:[0,0,1] op_sel_hi:[1,0,0]
	v_mov_b32_e32 v9, v5
	ds_load_2addr_b64 v[4:7], v118 offset0:9 offset1:10
	v_pk_add_f32 v[20:21], v[20:21], v[10:11] neg_lo:[0,1] neg_hi:[0,1]
	v_pk_add_f32 v[40:41], v[40:41], v[8:9] neg_lo:[0,1] neg_hi:[0,1]
	s_wait_dscnt 0x0
	v_pk_mul_f32 v[8:9], v[4:5], v[2:3] op_sel:[0,1]
	s_delay_alu instid0(VALU_DEP_1) | instskip(SKIP_1) | instid1(VALU_DEP_1)
	v_pk_fma_f32 v[10:11], v[4:5], v[0:1], v[8:9] op_sel:[0,0,1] op_sel_hi:[1,1,0] neg_lo:[0,0,1] neg_hi:[0,0,1]
	v_pk_fma_f32 v[4:5], v[4:5], v[0:1], v[8:9] op_sel:[0,0,1] op_sel_hi:[1,0,0]
	v_mov_b32_e32 v11, v5
	v_pk_mul_f32 v[4:5], v[6:7], v[2:3] op_sel:[0,1]
	s_delay_alu instid0(VALU_DEP_1) | instskip(SKIP_1) | instid1(VALU_DEP_1)
	v_pk_fma_f32 v[8:9], v[6:7], v[0:1], v[4:5] op_sel:[0,0,1] op_sel_hi:[1,1,0] neg_lo:[0,0,1] neg_hi:[0,0,1]
	v_pk_fma_f32 v[4:5], v[6:7], v[0:1], v[4:5] op_sel:[0,0,1] op_sel_hi:[1,0,0]
	v_mov_b32_e32 v9, v5
	ds_load_2addr_b64 v[4:7], v118 offset0:11 offset1:12
	v_pk_add_f32 v[36:37], v[36:37], v[10:11] neg_lo:[0,1] neg_hi:[0,1]
	v_pk_add_f32 v[38:39], v[38:39], v[8:9] neg_lo:[0,1] neg_hi:[0,1]
	s_wait_dscnt 0x0
	v_dual_mul_f32 v8, v5, v3 :: v_dual_mul_f32 v10, v5, v0
	s_delay_alu instid0(VALU_DEP_1) | instskip(NEXT) | instid1(VALU_DEP_2)
	v_pk_fma_f32 v[8:9], v[4:5], v[46:47], v[8:9] op_sel_hi:[1,1,0] neg_lo:[0,0,1] neg_hi:[0,0,1]
	v_pk_fma_f32 v[4:5], v[4:5], v[46:47], v[10:11] op_sel:[1,0,0] op_sel_hi:[0,1,0]
	s_delay_alu instid0(VALU_DEP_1) | instskip(SKIP_1) | instid1(VALU_DEP_2)
	v_mov_b32_e32 v9, v5
	v_pk_mul_f32 v[4:5], v[6:7], v[2:3] op_sel:[0,1]
	v_pk_add_f32 v[34:35], v[34:35], v[8:9] neg_lo:[0,1] neg_hi:[0,1]
	s_delay_alu instid0(VALU_DEP_2) | instskip(SKIP_1) | instid1(VALU_DEP_1)
	v_pk_fma_f32 v[8:9], v[6:7], v[0:1], v[4:5] op_sel:[0,0,1] op_sel_hi:[1,1,0] neg_lo:[0,0,1] neg_hi:[0,0,1]
	v_pk_fma_f32 v[4:5], v[6:7], v[0:1], v[4:5] op_sel:[0,0,1] op_sel_hi:[1,0,0]
	v_mov_b32_e32 v9, v5
	ds_load_2addr_b64 v[4:7], v118 offset0:13 offset1:14
	v_pk_add_f32 v[62:63], v[62:63], v[8:9] neg_lo:[0,1] neg_hi:[0,1]
	s_wait_dscnt 0x0
	v_pk_mul_f32 v[8:9], v[4:5], v[2:3] op_sel:[0,1]
	s_delay_alu instid0(VALU_DEP_1) | instskip(SKIP_1) | instid1(VALU_DEP_1)
	v_pk_fma_f32 v[10:11], v[4:5], v[0:1], v[8:9] op_sel:[0,0,1] op_sel_hi:[1,1,0] neg_lo:[0,0,1] neg_hi:[0,0,1]
	v_pk_fma_f32 v[4:5], v[4:5], v[0:1], v[8:9] op_sel:[0,0,1] op_sel_hi:[1,0,0]
	v_mov_b32_e32 v11, v5
	v_pk_mul_f32 v[4:5], v[6:7], v[2:3] op_sel:[0,1]
	s_delay_alu instid0(VALU_DEP_2) | instskip(NEXT) | instid1(VALU_DEP_2)
	v_pk_add_f32 v[58:59], v[58:59], v[10:11] neg_lo:[0,1] neg_hi:[0,1]
	v_pk_fma_f32 v[8:9], v[6:7], v[0:1], v[4:5] op_sel:[0,0,1] op_sel_hi:[1,1,0] neg_lo:[0,0,1] neg_hi:[0,0,1]
	v_pk_fma_f32 v[4:5], v[6:7], v[0:1], v[4:5] op_sel:[0,0,1] op_sel_hi:[1,0,0]
	s_delay_alu instid0(VALU_DEP_1) | instskip(SKIP_4) | instid1(VALU_DEP_1)
	v_mov_b32_e32 v9, v5
	ds_load_2addr_b64 v[4:7], v118 offset0:15 offset1:16
	v_pk_add_f32 v[60:61], v[60:61], v[8:9] neg_lo:[0,1] neg_hi:[0,1]
	s_wait_dscnt 0x0
	v_pk_mul_f32 v[8:9], v[4:5], v[2:3] op_sel:[0,1]
	v_pk_fma_f32 v[10:11], v[4:5], v[0:1], v[8:9] op_sel:[0,0,1] op_sel_hi:[1,1,0] neg_lo:[0,0,1] neg_hi:[0,0,1]
	v_pk_fma_f32 v[4:5], v[4:5], v[0:1], v[8:9] op_sel:[0,0,1] op_sel_hi:[1,0,0]
	v_dual_mul_f32 v8, v7, v3 :: v_dual_mov_b32 v4, v7
	s_delay_alu instid0(VALU_DEP_2) | instskip(NEXT) | instid1(VALU_DEP_2)
	v_dual_mov_b32 v11, v5 :: v_dual_mov_b32 v5, v6
	v_pk_fma_f32 v[8:9], v[6:7], v[46:47], v[8:9] op_sel_hi:[1,1,0] neg_lo:[0,0,1] neg_hi:[0,0,1]
	v_mul_f32_e32 v6, v7, v0
	s_delay_alu instid0(VALU_DEP_3) | instskip(NEXT) | instid1(VALU_DEP_2)
	v_pk_add_f32 v[56:57], v[56:57], v[10:11] neg_lo:[0,1] neg_hi:[0,1]
	v_pk_fma_f32 v[4:5], v[4:5], v[46:47], v[6:7] op_sel_hi:[1,1,0]
	s_delay_alu instid0(VALU_DEP_1) | instskip(SKIP_4) | instid1(VALU_DEP_1)
	v_mov_b32_e32 v9, v5
	ds_load_2addr_b64 v[4:7], v118 offset0:17 offset1:18
	v_pk_add_f32 v[78:79], v[78:79], v[8:9] neg_lo:[0,1] neg_hi:[0,1]
	s_wait_dscnt 0x0
	v_pk_mul_f32 v[8:9], v[4:5], v[2:3] op_sel:[0,1]
	v_pk_fma_f32 v[10:11], v[4:5], v[0:1], v[8:9] op_sel:[0,0,1] op_sel_hi:[1,1,0] neg_lo:[0,0,1] neg_hi:[0,0,1]
	v_pk_fma_f32 v[4:5], v[4:5], v[0:1], v[8:9] op_sel:[0,0,1] op_sel_hi:[1,0,0]
	s_delay_alu instid0(VALU_DEP_1) | instskip(SKIP_1) | instid1(VALU_DEP_1)
	v_mov_b32_e32 v11, v5
	v_pk_mul_f32 v[4:5], v[6:7], v[2:3] op_sel:[0,1]
	v_pk_fma_f32 v[8:9], v[6:7], v[0:1], v[4:5] op_sel:[0,0,1] op_sel_hi:[1,1,0] neg_lo:[0,0,1] neg_hi:[0,0,1]
	v_pk_fma_f32 v[4:5], v[6:7], v[0:1], v[4:5] op_sel:[0,0,1] op_sel_hi:[1,0,0]
	s_delay_alu instid0(VALU_DEP_1)
	v_mov_b32_e32 v9, v5
	ds_load_2addr_b64 v[4:7], v118 offset0:19 offset1:20
	v_pk_add_f32 v[74:75], v[74:75], v[10:11] neg_lo:[0,1] neg_hi:[0,1]
	v_pk_add_f32 v[76:77], v[76:77], v[8:9] neg_lo:[0,1] neg_hi:[0,1]
	s_wait_dscnt 0x0
	v_pk_mul_f32 v[8:9], v[4:5], v[2:3] op_sel:[0,1]
	s_delay_alu instid0(VALU_DEP_1) | instskip(SKIP_1) | instid1(VALU_DEP_1)
	v_pk_fma_f32 v[10:11], v[4:5], v[0:1], v[8:9] op_sel:[0,0,1] op_sel_hi:[1,1,0] neg_lo:[0,0,1] neg_hi:[0,0,1]
	v_pk_fma_f32 v[4:5], v[4:5], v[0:1], v[8:9] op_sel:[0,0,1] op_sel_hi:[1,0,0]
	v_mov_b32_e32 v11, v5
	v_pk_mul_f32 v[4:5], v[6:7], v[2:3] op_sel:[0,1]
	s_delay_alu instid0(VALU_DEP_1) | instskip(SKIP_1) | instid1(VALU_DEP_1)
	v_pk_fma_f32 v[8:9], v[6:7], v[0:1], v[4:5] op_sel:[0,0,1] op_sel_hi:[1,1,0] neg_lo:[0,0,1] neg_hi:[0,0,1]
	v_pk_fma_f32 v[4:5], v[6:7], v[0:1], v[4:5] op_sel:[0,0,1] op_sel_hi:[1,0,0]
	v_mov_b32_e32 v9, v5
	ds_load_2addr_b64 v[4:7], v118 offset0:21 offset1:22
	v_pk_add_f32 v[72:73], v[72:73], v[10:11] neg_lo:[0,1] neg_hi:[0,1]
	v_pk_add_f32 v[94:95], v[94:95], v[8:9] neg_lo:[0,1] neg_hi:[0,1]
	s_wait_dscnt 0x0
	v_dual_mul_f32 v8, v5, v3 :: v_dual_mul_f32 v10, v5, v0
	s_delay_alu instid0(VALU_DEP_1) | instskip(NEXT) | instid1(VALU_DEP_2)
	v_pk_fma_f32 v[8:9], v[4:5], v[46:47], v[8:9] op_sel_hi:[1,1,0] neg_lo:[0,0,1] neg_hi:[0,0,1]
	v_pk_fma_f32 v[4:5], v[4:5], v[46:47], v[10:11] op_sel:[1,0,0] op_sel_hi:[0,1,0]
	s_delay_alu instid0(VALU_DEP_1) | instskip(SKIP_1) | instid1(VALU_DEP_2)
	v_mov_b32_e32 v9, v5
	v_pk_mul_f32 v[4:5], v[6:7], v[2:3] op_sel:[0,1]
	v_pk_add_f32 v[90:91], v[90:91], v[8:9] neg_lo:[0,1] neg_hi:[0,1]
	s_delay_alu instid0(VALU_DEP_2) | instskip(SKIP_1) | instid1(VALU_DEP_1)
	v_pk_fma_f32 v[8:9], v[6:7], v[0:1], v[4:5] op_sel:[0,0,1] op_sel_hi:[1,1,0] neg_lo:[0,0,1] neg_hi:[0,0,1]
	v_pk_fma_f32 v[4:5], v[6:7], v[0:1], v[4:5] op_sel:[0,0,1] op_sel_hi:[1,0,0]
	v_mov_b32_e32 v9, v5
	ds_load_2addr_b64 v[4:7], v118 offset0:23 offset1:24
	v_pk_add_f32 v[92:93], v[92:93], v[8:9] neg_lo:[0,1] neg_hi:[0,1]
	s_wait_dscnt 0x0
	v_pk_mul_f32 v[8:9], v[4:5], v[2:3] op_sel:[0,1]
	s_delay_alu instid0(VALU_DEP_1) | instskip(SKIP_1) | instid1(VALU_DEP_1)
	v_pk_fma_f32 v[10:11], v[4:5], v[0:1], v[8:9] op_sel:[0,0,1] op_sel_hi:[1,1,0] neg_lo:[0,0,1] neg_hi:[0,0,1]
	v_pk_fma_f32 v[4:5], v[4:5], v[0:1], v[8:9] op_sel:[0,0,1] op_sel_hi:[1,0,0]
	v_mov_b32_e32 v11, v5
	v_pk_mul_f32 v[4:5], v[6:7], v[2:3] op_sel:[0,1]
	s_delay_alu instid0(VALU_DEP_2) | instskip(NEXT) | instid1(VALU_DEP_2)
	v_pk_add_f32 v[88:89], v[88:89], v[10:11] neg_lo:[0,1] neg_hi:[0,1]
	v_pk_fma_f32 v[8:9], v[6:7], v[0:1], v[4:5] op_sel:[0,0,1] op_sel_hi:[1,1,0] neg_lo:[0,0,1] neg_hi:[0,0,1]
	v_pk_fma_f32 v[4:5], v[6:7], v[0:1], v[4:5] op_sel:[0,0,1] op_sel_hi:[1,0,0]
	s_delay_alu instid0(VALU_DEP_1) | instskip(SKIP_4) | instid1(VALU_DEP_1)
	v_mov_b32_e32 v9, v5
	ds_load_2addr_b64 v[4:7], v118 offset0:25 offset1:26
	v_pk_add_f32 v[112:113], v[112:113], v[8:9] neg_lo:[0,1] neg_hi:[0,1]
	s_wait_dscnt 0x0
	v_pk_mul_f32 v[8:9], v[4:5], v[2:3] op_sel:[0,1]
	v_pk_fma_f32 v[10:11], v[4:5], v[0:1], v[8:9] op_sel:[0,0,1] op_sel_hi:[1,1,0] neg_lo:[0,0,1] neg_hi:[0,0,1]
	v_pk_fma_f32 v[4:5], v[4:5], v[0:1], v[8:9] op_sel:[0,0,1] op_sel_hi:[1,0,0]
	v_dual_mul_f32 v8, v7, v3 :: v_dual_mov_b32 v4, v7
	s_delay_alu instid0(VALU_DEP_2) | instskip(NEXT) | instid1(VALU_DEP_2)
	v_dual_mov_b32 v11, v5 :: v_dual_mov_b32 v5, v6
	v_pk_fma_f32 v[8:9], v[6:7], v[46:47], v[8:9] op_sel_hi:[1,1,0] neg_lo:[0,0,1] neg_hi:[0,0,1]
	v_mul_f32_e32 v6, v7, v0
	s_delay_alu instid0(VALU_DEP_3) | instskip(NEXT) | instid1(VALU_DEP_2)
	v_pk_add_f32 v[108:109], v[108:109], v[10:11] neg_lo:[0,1] neg_hi:[0,1]
	v_pk_fma_f32 v[4:5], v[4:5], v[46:47], v[6:7] op_sel_hi:[1,1,0]
	s_delay_alu instid0(VALU_DEP_1) | instskip(SKIP_4) | instid1(VALU_DEP_1)
	v_mov_b32_e32 v9, v5
	ds_load_2addr_b64 v[4:7], v118 offset0:27 offset1:28
	v_pk_add_f32 v[110:111], v[110:111], v[8:9] neg_lo:[0,1] neg_hi:[0,1]
	s_wait_dscnt 0x0
	v_pk_mul_f32 v[8:9], v[4:5], v[2:3] op_sel:[0,1]
	v_pk_fma_f32 v[10:11], v[4:5], v[0:1], v[8:9] op_sel:[0,0,1] op_sel_hi:[1,1,0] neg_lo:[0,0,1] neg_hi:[0,0,1]
	v_pk_fma_f32 v[4:5], v[4:5], v[0:1], v[8:9] op_sel:[0,0,1] op_sel_hi:[1,0,0]
	s_delay_alu instid0(VALU_DEP_1) | instskip(SKIP_1) | instid1(VALU_DEP_1)
	v_mov_b32_e32 v11, v5
	v_pk_mul_f32 v[4:5], v[6:7], v[2:3] op_sel:[0,1]
	v_pk_fma_f32 v[8:9], v[6:7], v[0:1], v[4:5] op_sel:[0,0,1] op_sel_hi:[1,1,0] neg_lo:[0,0,1] neg_hi:[0,0,1]
	v_pk_fma_f32 v[4:5], v[6:7], v[0:1], v[4:5] op_sel:[0,0,1] op_sel_hi:[1,0,0]
	s_delay_alu instid0(VALU_DEP_1)
	v_mov_b32_e32 v9, v5
	ds_load_2addr_b64 v[4:7], v118 offset0:29 offset1:30
	v_pk_add_f32 v[106:107], v[106:107], v[10:11] neg_lo:[0,1] neg_hi:[0,1]
	v_pk_add_f32 v[128:129], v[128:129], v[8:9] neg_lo:[0,1] neg_hi:[0,1]
	s_wait_dscnt 0x0
	v_pk_mul_f32 v[8:9], v[4:5], v[2:3] op_sel:[0,1]
	s_delay_alu instid0(VALU_DEP_1) | instskip(SKIP_1) | instid1(VALU_DEP_1)
	v_pk_fma_f32 v[10:11], v[4:5], v[0:1], v[8:9] op_sel:[0,0,1] op_sel_hi:[1,1,0] neg_lo:[0,0,1] neg_hi:[0,0,1]
	v_pk_fma_f32 v[4:5], v[4:5], v[0:1], v[8:9] op_sel:[0,0,1] op_sel_hi:[1,0,0]
	v_mov_b32_e32 v11, v5
	v_pk_mul_f32 v[4:5], v[6:7], v[2:3] op_sel:[0,1]
	s_delay_alu instid0(VALU_DEP_1) | instskip(SKIP_1) | instid1(VALU_DEP_1)
	v_pk_fma_f32 v[8:9], v[6:7], v[0:1], v[4:5] op_sel:[0,0,1] op_sel_hi:[1,1,0] neg_lo:[0,0,1] neg_hi:[0,0,1]
	v_pk_fma_f32 v[4:5], v[6:7], v[0:1], v[4:5] op_sel:[0,0,1] op_sel_hi:[1,0,0]
	v_mov_b32_e32 v9, v5
	ds_load_2addr_b64 v[4:7], v118 offset0:31 offset1:32
	v_pk_add_f32 v[124:125], v[124:125], v[10:11] neg_lo:[0,1] neg_hi:[0,1]
	v_pk_add_f32 v[126:127], v[126:127], v[8:9] neg_lo:[0,1] neg_hi:[0,1]
	s_wait_dscnt 0x0
	v_dual_mul_f32 v8, v5, v3 :: v_dual_mul_f32 v10, v5, v0
	s_delay_alu instid0(VALU_DEP_1) | instskip(NEXT) | instid1(VALU_DEP_2)
	v_pk_fma_f32 v[8:9], v[4:5], v[46:47], v[8:9] op_sel_hi:[1,1,0] neg_lo:[0,0,1] neg_hi:[0,0,1]
	v_pk_fma_f32 v[4:5], v[4:5], v[46:47], v[10:11] op_sel:[1,0,0] op_sel_hi:[0,1,0]
	s_delay_alu instid0(VALU_DEP_1) | instskip(SKIP_1) | instid1(VALU_DEP_2)
	v_mov_b32_e32 v9, v5
	v_pk_mul_f32 v[4:5], v[6:7], v[2:3] op_sel:[0,1]
	v_pk_add_f32 v[122:123], v[122:123], v[8:9] neg_lo:[0,1] neg_hi:[0,1]
	s_delay_alu instid0(VALU_DEP_2) | instskip(SKIP_1) | instid1(VALU_DEP_1)
	v_pk_fma_f32 v[8:9], v[6:7], v[0:1], v[4:5] op_sel:[0,0,1] op_sel_hi:[1,1,0] neg_lo:[0,0,1] neg_hi:[0,0,1]
	v_pk_fma_f32 v[4:5], v[6:7], v[0:1], v[4:5] op_sel:[0,0,1] op_sel_hi:[1,0,0]
	v_mov_b32_e32 v9, v5
	ds_load_2addr_b64 v[4:7], v118 offset0:33 offset1:34
	v_pk_add_f32 v[146:147], v[146:147], v[8:9] neg_lo:[0,1] neg_hi:[0,1]
	s_wait_dscnt 0x0
	v_pk_mul_f32 v[8:9], v[4:5], v[2:3] op_sel:[0,1]
	s_delay_alu instid0(VALU_DEP_1) | instskip(SKIP_1) | instid1(VALU_DEP_1)
	v_pk_fma_f32 v[10:11], v[4:5], v[0:1], v[8:9] op_sel:[0,0,1] op_sel_hi:[1,1,0] neg_lo:[0,0,1] neg_hi:[0,0,1]
	v_pk_fma_f32 v[4:5], v[4:5], v[0:1], v[8:9] op_sel:[0,0,1] op_sel_hi:[1,0,0]
	v_mov_b32_e32 v11, v5
	v_pk_mul_f32 v[4:5], v[6:7], v[2:3] op_sel:[0,1]
	s_delay_alu instid0(VALU_DEP_2) | instskip(NEXT) | instid1(VALU_DEP_2)
	v_pk_add_f32 v[142:143], v[142:143], v[10:11] neg_lo:[0,1] neg_hi:[0,1]
	v_pk_fma_f32 v[8:9], v[6:7], v[0:1], v[4:5] op_sel:[0,0,1] op_sel_hi:[1,1,0] neg_lo:[0,0,1] neg_hi:[0,0,1]
	v_pk_fma_f32 v[4:5], v[6:7], v[0:1], v[4:5] op_sel:[0,0,1] op_sel_hi:[1,0,0]
	s_delay_alu instid0(VALU_DEP_1) | instskip(SKIP_4) | instid1(VALU_DEP_1)
	v_mov_b32_e32 v9, v5
	ds_load_2addr_b64 v[4:7], v118 offset0:35 offset1:36
	v_pk_add_f32 v[144:145], v[144:145], v[8:9] neg_lo:[0,1] neg_hi:[0,1]
	s_wait_dscnt 0x0
	v_pk_mul_f32 v[8:9], v[4:5], v[2:3] op_sel:[0,1]
	v_pk_fma_f32 v[10:11], v[4:5], v[0:1], v[8:9] op_sel:[0,0,1] op_sel_hi:[1,1,0] neg_lo:[0,0,1] neg_hi:[0,0,1]
	v_pk_fma_f32 v[4:5], v[4:5], v[0:1], v[8:9] op_sel:[0,0,1] op_sel_hi:[1,0,0]
	v_dual_mul_f32 v8, v7, v3 :: v_dual_mov_b32 v4, v7
	s_delay_alu instid0(VALU_DEP_2) | instskip(NEXT) | instid1(VALU_DEP_2)
	v_dual_mov_b32 v11, v5 :: v_dual_mov_b32 v5, v6
	v_pk_fma_f32 v[8:9], v[6:7], v[46:47], v[8:9] op_sel_hi:[1,1,0] neg_lo:[0,0,1] neg_hi:[0,0,1]
	v_mul_f32_e32 v6, v7, v0
	s_delay_alu instid0(VALU_DEP_3) | instskip(NEXT) | instid1(VALU_DEP_2)
	v_pk_add_f32 v[140:141], v[140:141], v[10:11] neg_lo:[0,1] neg_hi:[0,1]
	v_pk_fma_f32 v[4:5], v[4:5], v[46:47], v[6:7] op_sel_hi:[1,1,0]
	s_delay_alu instid0(VALU_DEP_1) | instskip(SKIP_4) | instid1(VALU_DEP_1)
	v_mov_b32_e32 v9, v5
	ds_load_2addr_b64 v[4:7], v118 offset0:37 offset1:38
	v_pk_add_f32 v[162:163], v[162:163], v[8:9] neg_lo:[0,1] neg_hi:[0,1]
	s_wait_dscnt 0x0
	v_pk_mul_f32 v[8:9], v[4:5], v[2:3] op_sel:[0,1]
	v_pk_fma_f32 v[10:11], v[4:5], v[0:1], v[8:9] op_sel:[0,0,1] op_sel_hi:[1,1,0] neg_lo:[0,0,1] neg_hi:[0,0,1]
	v_pk_fma_f32 v[4:5], v[4:5], v[0:1], v[8:9] op_sel:[0,0,1] op_sel_hi:[1,0,0]
	s_delay_alu instid0(VALU_DEP_1) | instskip(SKIP_1) | instid1(VALU_DEP_1)
	v_mov_b32_e32 v11, v5
	v_pk_mul_f32 v[4:5], v[6:7], v[2:3] op_sel:[0,1]
	v_pk_fma_f32 v[8:9], v[6:7], v[0:1], v[4:5] op_sel:[0,0,1] op_sel_hi:[1,1,0] neg_lo:[0,0,1] neg_hi:[0,0,1]
	v_pk_fma_f32 v[4:5], v[6:7], v[0:1], v[4:5] op_sel:[0,0,1] op_sel_hi:[1,0,0]
	s_delay_alu instid0(VALU_DEP_1)
	v_mov_b32_e32 v9, v5
	ds_load_2addr_b64 v[4:7], v118 offset0:39 offset1:40
	v_pk_add_f32 v[158:159], v[158:159], v[10:11] neg_lo:[0,1] neg_hi:[0,1]
	v_pk_add_f32 v[160:161], v[160:161], v[8:9] neg_lo:[0,1] neg_hi:[0,1]
	s_wait_dscnt 0x0
	v_pk_mul_f32 v[8:9], v[4:5], v[2:3] op_sel:[0,1]
	s_delay_alu instid0(VALU_DEP_1) | instskip(SKIP_1) | instid1(VALU_DEP_1)
	v_pk_fma_f32 v[10:11], v[4:5], v[0:1], v[8:9] op_sel:[0,0,1] op_sel_hi:[1,1,0] neg_lo:[0,0,1] neg_hi:[0,0,1]
	v_pk_fma_f32 v[4:5], v[4:5], v[0:1], v[8:9] op_sel:[0,0,1] op_sel_hi:[1,0,0]
	v_mov_b32_e32 v11, v5
	v_pk_mul_f32 v[4:5], v[6:7], v[2:3] op_sel:[0,1]
	s_delay_alu instid0(VALU_DEP_1) | instskip(SKIP_1) | instid1(VALU_DEP_1)
	v_pk_fma_f32 v[8:9], v[6:7], v[0:1], v[4:5] op_sel:[0,0,1] op_sel_hi:[1,1,0] neg_lo:[0,0,1] neg_hi:[0,0,1]
	v_pk_fma_f32 v[4:5], v[6:7], v[0:1], v[4:5] op_sel:[0,0,1] op_sel_hi:[1,0,0]
	v_mov_b32_e32 v9, v5
	ds_load_2addr_b64 v[4:7], v118 offset0:41 offset1:42
	v_pk_add_f32 v[156:157], v[156:157], v[10:11] neg_lo:[0,1] neg_hi:[0,1]
	v_pk_add_f32 v[182:183], v[182:183], v[8:9] neg_lo:[0,1] neg_hi:[0,1]
	s_wait_dscnt 0x0
	v_dual_mul_f32 v8, v5, v3 :: v_dual_mul_f32 v10, v5, v0
	s_delay_alu instid0(VALU_DEP_1) | instskip(NEXT) | instid1(VALU_DEP_2)
	v_pk_fma_f32 v[8:9], v[4:5], v[46:47], v[8:9] op_sel_hi:[1,1,0] neg_lo:[0,0,1] neg_hi:[0,0,1]
	v_pk_fma_f32 v[4:5], v[4:5], v[46:47], v[10:11] op_sel:[1,0,0] op_sel_hi:[0,1,0]
	s_delay_alu instid0(VALU_DEP_1) | instskip(SKIP_1) | instid1(VALU_DEP_2)
	v_mov_b32_e32 v9, v5
	v_pk_mul_f32 v[4:5], v[6:7], v[2:3] op_sel:[0,1]
	v_pk_add_f32 v[178:179], v[178:179], v[8:9] neg_lo:[0,1] neg_hi:[0,1]
	s_delay_alu instid0(VALU_DEP_2) | instskip(SKIP_1) | instid1(VALU_DEP_1)
	v_pk_fma_f32 v[8:9], v[6:7], v[0:1], v[4:5] op_sel:[0,0,1] op_sel_hi:[1,1,0] neg_lo:[0,0,1] neg_hi:[0,0,1]
	v_pk_fma_f32 v[4:5], v[6:7], v[0:1], v[4:5] op_sel:[0,0,1] op_sel_hi:[1,0,0]
	v_mov_b32_e32 v9, v5
	ds_load_2addr_b64 v[4:7], v118 offset0:43 offset1:44
	v_pk_add_f32 v[180:181], v[180:181], v[8:9] neg_lo:[0,1] neg_hi:[0,1]
	s_wait_dscnt 0x0
	v_pk_mul_f32 v[8:9], v[4:5], v[2:3] op_sel:[0,1]
	s_delay_alu instid0(VALU_DEP_1) | instskip(SKIP_1) | instid1(VALU_DEP_1)
	v_pk_fma_f32 v[10:11], v[4:5], v[0:1], v[8:9] op_sel:[0,0,1] op_sel_hi:[1,1,0] neg_lo:[0,0,1] neg_hi:[0,0,1]
	v_pk_fma_f32 v[4:5], v[4:5], v[0:1], v[8:9] op_sel:[0,0,1] op_sel_hi:[1,0,0]
	v_mov_b32_e32 v11, v5
	v_pk_mul_f32 v[4:5], v[6:7], v[2:3] op_sel:[0,1]
	s_delay_alu instid0(VALU_DEP_2) | instskip(NEXT) | instid1(VALU_DEP_2)
	v_pk_add_f32 v[176:177], v[176:177], v[10:11] neg_lo:[0,1] neg_hi:[0,1]
	v_pk_fma_f32 v[8:9], v[6:7], v[0:1], v[4:5] op_sel:[0,0,1] op_sel_hi:[1,1,0] neg_lo:[0,0,1] neg_hi:[0,0,1]
	v_pk_fma_f32 v[4:5], v[6:7], v[0:1], v[4:5] op_sel:[0,0,1] op_sel_hi:[1,0,0]
	s_delay_alu instid0(VALU_DEP_1) | instskip(SKIP_4) | instid1(VALU_DEP_1)
	v_mov_b32_e32 v9, v5
	ds_load_2addr_b64 v[4:7], v118 offset0:45 offset1:46
	v_pk_add_f32 v[204:205], v[204:205], v[8:9] neg_lo:[0,1] neg_hi:[0,1]
	s_wait_dscnt 0x0
	v_pk_mul_f32 v[8:9], v[4:5], v[2:3] op_sel:[0,1]
	v_pk_fma_f32 v[10:11], v[4:5], v[0:1], v[8:9] op_sel:[0,0,1] op_sel_hi:[1,1,0] neg_lo:[0,0,1] neg_hi:[0,0,1]
	v_pk_fma_f32 v[4:5], v[4:5], v[0:1], v[8:9] op_sel:[0,0,1] op_sel_hi:[1,0,0]
	v_dual_mul_f32 v8, v7, v3 :: v_dual_mov_b32 v4, v7
	s_delay_alu instid0(VALU_DEP_2) | instskip(NEXT) | instid1(VALU_DEP_2)
	v_dual_mov_b32 v11, v5 :: v_dual_mov_b32 v5, v6
	v_pk_fma_f32 v[8:9], v[6:7], v[46:47], v[8:9] op_sel_hi:[1,1,0] neg_lo:[0,0,1] neg_hi:[0,0,1]
	v_mul_f32_e32 v6, v7, v0
	s_delay_alu instid0(VALU_DEP_3) | instskip(NEXT) | instid1(VALU_DEP_2)
	v_pk_add_f32 v[198:199], v[198:199], v[10:11] neg_lo:[0,1] neg_hi:[0,1]
	v_pk_fma_f32 v[4:5], v[4:5], v[46:47], v[6:7] op_sel_hi:[1,1,0]
	s_delay_alu instid0(VALU_DEP_1) | instskip(SKIP_4) | instid1(VALU_DEP_1)
	v_mov_b32_e32 v9, v5
	ds_load_2addr_b64 v[4:7], v118 offset0:47 offset1:48
	v_pk_add_f32 v[202:203], v[202:203], v[8:9] neg_lo:[0,1] neg_hi:[0,1]
	s_wait_dscnt 0x0
	v_pk_mul_f32 v[8:9], v[4:5], v[2:3] op_sel:[0,1]
	v_pk_fma_f32 v[10:11], v[4:5], v[0:1], v[8:9] op_sel:[0,0,1] op_sel_hi:[1,1,0] neg_lo:[0,0,1] neg_hi:[0,0,1]
	v_pk_fma_f32 v[4:5], v[4:5], v[0:1], v[8:9] op_sel:[0,0,1] op_sel_hi:[1,0,0]
	s_delay_alu instid0(VALU_DEP_1) | instskip(SKIP_1) | instid1(VALU_DEP_1)
	v_mov_b32_e32 v11, v5
	v_pk_mul_f32 v[4:5], v[6:7], v[2:3] op_sel:[0,1]
	v_pk_fma_f32 v[8:9], v[6:7], v[0:1], v[4:5] op_sel:[0,0,1] op_sel_hi:[1,1,0] neg_lo:[0,0,1] neg_hi:[0,0,1]
	v_pk_fma_f32 v[4:5], v[6:7], v[0:1], v[4:5] op_sel:[0,0,1] op_sel_hi:[1,0,0]
	s_delay_alu instid0(VALU_DEP_1)
	v_mov_b32_e32 v9, v5
	ds_load_2addr_b64 v[4:7], v118 offset0:49 offset1:50
	v_pk_add_f32 v[196:197], v[196:197], v[10:11] neg_lo:[0,1] neg_hi:[0,1]
	v_pk_add_f32 v[200:201], v[200:201], v[8:9] neg_lo:[0,1] neg_hi:[0,1]
	s_wait_dscnt 0x0
	v_pk_mul_f32 v[8:9], v[4:5], v[2:3] op_sel:[0,1]
	s_delay_alu instid0(VALU_DEP_1) | instskip(SKIP_1) | instid1(VALU_DEP_1)
	v_pk_fma_f32 v[10:11], v[4:5], v[0:1], v[8:9] op_sel:[0,0,1] op_sel_hi:[1,1,0] neg_lo:[0,0,1] neg_hi:[0,0,1]
	v_pk_fma_f32 v[4:5], v[4:5], v[0:1], v[8:9] op_sel:[0,0,1] op_sel_hi:[1,0,0]
	v_mov_b32_e32 v11, v5
	v_pk_mul_f32 v[4:5], v[6:7], v[2:3] op_sel:[0,1]
	s_delay_alu instid0(VALU_DEP_1) | instskip(SKIP_1) | instid1(VALU_DEP_1)
	v_pk_fma_f32 v[8:9], v[6:7], v[0:1], v[4:5] op_sel:[0,0,1] op_sel_hi:[1,1,0] neg_lo:[0,0,1] neg_hi:[0,0,1]
	v_pk_fma_f32 v[4:5], v[6:7], v[0:1], v[4:5] op_sel:[0,0,1] op_sel_hi:[1,0,0]
	v_mov_b32_e32 v9, v5
	ds_load_b64 v[4:5], v118 offset:408
	v_pk_add_f32 v[194:195], v[194:195], v[10:11] neg_lo:[0,1] neg_hi:[0,1]
	v_pk_add_f32 v[206:207], v[206:207], v[8:9] neg_lo:[0,1] neg_hi:[0,1]
	s_wait_dscnt 0x0
	v_pk_mul_f32 v[2:3], v[4:5], v[2:3] op_sel:[0,1]
	s_delay_alu instid0(VALU_DEP_1) | instskip(SKIP_1) | instid1(VALU_DEP_1)
	v_pk_fma_f32 v[6:7], v[4:5], v[0:1], v[2:3] op_sel:[0,0,1] op_sel_hi:[1,1,0] neg_lo:[0,0,1] neg_hi:[0,0,1]
	v_pk_fma_f32 v[0:1], v[4:5], v[0:1], v[2:3] op_sel:[0,0,1] op_sel_hi:[1,0,0]
	v_mov_b32_e32 v7, v1
	s_delay_alu instid0(VALU_DEP_1)
	v_pk_add_f32 v[208:209], v[208:209], v[6:7] neg_lo:[0,1] neg_hi:[0,1]
.LBB103_28:
	s_wait_xcnt 0x0
	s_or_b32 exec_lo, exec_lo, s1
	s_delay_alu instid0(SALU_CYCLE_1)
	s_mov_b32 s2, exec_lo
	s_wait_storecnt 0x0
	s_barrier_signal -1
	s_barrier_wait -1
	v_cmpx_eq_u32_e32 3, v116
	s_cbranch_execz .LBB103_35
; %bb.29:
	v_dual_mov_b32 v0, v26 :: v_dual_mov_b32 v1, v27
	v_dual_mov_b32 v2, v22 :: v_dual_mov_b32 v3, v23
	;; [unrolled: 1-line block ×10, first 2 shown]
	ds_store_b64 v117, v[44:45]
	v_dual_mov_b32 v30, v60 :: v_dual_mov_b32 v31, v61
	v_dual_mov_b32 v32, v56 :: v_dual_mov_b32 v33, v57
	ds_store_2addr_b64 v118, v[0:1], v[2:3] offset0:4 offset1:5
	ds_store_2addr_b64 v118, v[4:5], v[6:7] offset0:6 offset1:7
	ds_store_2addr_b64 v118, v[8:9], v[10:11] offset0:8 offset1:9
	ds_store_2addr_b64 v118, v[12:13], v[14:15] offset0:10 offset1:11
	ds_store_2addr_b64 v118, v[18:19], v[28:29] offset0:12 offset1:13
	ds_store_2addr_b64 v118, v[30:31], v[32:33] offset0:14 offset1:15
	v_dual_mov_b32 v0, v78 :: v_dual_mov_b32 v1, v79
	v_dual_mov_b32 v2, v74 :: v_dual_mov_b32 v3, v75
	v_dual_mov_b32 v4, v76 :: v_dual_mov_b32 v5, v77
	v_dual_mov_b32 v6, v72 :: v_dual_mov_b32 v7, v73
	v_dual_mov_b32 v8, v94 :: v_dual_mov_b32 v9, v95
	v_dual_mov_b32 v10, v90 :: v_dual_mov_b32 v11, v91
	v_dual_mov_b32 v12, v92 :: v_dual_mov_b32 v13, v93
	v_dual_mov_b32 v14, v88 :: v_dual_mov_b32 v15, v89
	v_dual_mov_b32 v18, v112 :: v_dual_mov_b32 v19, v113
	v_dual_mov_b32 v28, v108 :: v_dual_mov_b32 v29, v109
	v_dual_mov_b32 v30, v110 :: v_dual_mov_b32 v31, v111
	v_dual_mov_b32 v32, v106 :: v_dual_mov_b32 v33, v107
	ds_store_2addr_b64 v118, v[0:1], v[2:3] offset0:16 offset1:17
	ds_store_2addr_b64 v118, v[4:5], v[6:7] offset0:18 offset1:19
	ds_store_2addr_b64 v118, v[8:9], v[10:11] offset0:20 offset1:21
	ds_store_2addr_b64 v118, v[12:13], v[14:15] offset0:22 offset1:23
	ds_store_2addr_b64 v118, v[18:19], v[28:29] offset0:24 offset1:25
	ds_store_2addr_b64 v118, v[30:31], v[32:33] offset0:26 offset1:27
	v_dual_mov_b32 v0, v128 :: v_dual_mov_b32 v1, v129
	v_dual_mov_b32 v2, v124 :: v_dual_mov_b32 v3, v125
	v_dual_mov_b32 v4, v126 :: v_dual_mov_b32 v5, v127
	v_dual_mov_b32 v6, v122 :: v_dual_mov_b32 v7, v123
	v_dual_mov_b32 v8, v146 :: v_dual_mov_b32 v9, v147
	v_dual_mov_b32 v10, v142 :: v_dual_mov_b32 v11, v143
	v_dual_mov_b32 v12, v144 :: v_dual_mov_b32 v13, v145
	v_dual_mov_b32 v14, v140 :: v_dual_mov_b32 v15, v141
	v_dual_mov_b32 v18, v162 :: v_dual_mov_b32 v19, v163
	v_dual_mov_b32 v28, v158 :: v_dual_mov_b32 v29, v159
	;; [unrolled: 18-line block ×3, first 2 shown]
	v_dual_mov_b32 v30, v206 :: v_dual_mov_b32 v31, v207
	ds_store_2addr_b64 v118, v[0:1], v[2:3] offset0:40 offset1:41
	ds_store_2addr_b64 v118, v[4:5], v[6:7] offset0:42 offset1:43
	;; [unrolled: 1-line block ×6, first 2 shown]
	ds_load_b64 v[0:1], v117
	s_wait_dscnt 0x0
	v_cmp_neq_f32_e32 vcc_lo, 0, v0
	v_cmp_neq_f32_e64 s1, 0, v1
	s_or_b32 s1, vcc_lo, s1
	s_delay_alu instid0(SALU_CYCLE_1)
	s_and_b32 exec_lo, exec_lo, s1
	s_cbranch_execz .LBB103_35
; %bb.30:
	v_cmp_ngt_f32_e64 s1, |v0|, |v1|
                                        ; implicit-def: $vgpr2_vgpr3
	s_and_saveexec_b32 s4, s1
	s_delay_alu instid0(SALU_CYCLE_1)
	s_xor_b32 s1, exec_lo, s4
	s_cbranch_execz .LBB103_32
; %bb.31:
	v_div_scale_f32 v2, null, v1, v1, v0
	v_div_scale_f32 v5, vcc_lo, v0, v1, v0
	s_delay_alu instid0(VALU_DEP_2) | instskip(SKIP_1) | instid1(TRANS32_DEP_1)
	v_rcp_f32_e32 v3, v2
	v_nop
	v_fma_f32 v4, -v2, v3, 1.0
	s_delay_alu instid0(VALU_DEP_1) | instskip(NEXT) | instid1(VALU_DEP_1)
	v_fmac_f32_e32 v3, v4, v3
	v_mul_f32_e32 v4, v5, v3
	s_delay_alu instid0(VALU_DEP_1) | instskip(NEXT) | instid1(VALU_DEP_1)
	v_fma_f32 v6, -v2, v4, v5
	v_fmac_f32_e32 v4, v6, v3
	s_delay_alu instid0(VALU_DEP_1) | instskip(NEXT) | instid1(VALU_DEP_1)
	v_fma_f32 v2, -v2, v4, v5
	v_div_fmas_f32 v2, v2, v3, v4
	s_delay_alu instid0(VALU_DEP_1) | instskip(NEXT) | instid1(VALU_DEP_1)
	v_div_fixup_f32 v2, v2, v1, v0
	v_fmac_f32_e32 v1, v0, v2
	s_delay_alu instid0(VALU_DEP_1) | instskip(SKIP_1) | instid1(VALU_DEP_2)
	v_div_scale_f32 v0, null, v1, v1, 1.0
	v_div_scale_f32 v5, vcc_lo, 1.0, v1, 1.0
	v_rcp_f32_e32 v3, v0
	v_nop
	s_delay_alu instid0(TRANS32_DEP_1) | instskip(NEXT) | instid1(VALU_DEP_1)
	v_fma_f32 v4, -v0, v3, 1.0
	v_fmac_f32_e32 v3, v4, v3
	s_delay_alu instid0(VALU_DEP_1) | instskip(NEXT) | instid1(VALU_DEP_1)
	v_mul_f32_e32 v4, v5, v3
	v_fma_f32 v6, -v0, v4, v5
	s_delay_alu instid0(VALU_DEP_1) | instskip(NEXT) | instid1(VALU_DEP_1)
	v_fmac_f32_e32 v4, v6, v3
	v_fma_f32 v0, -v0, v4, v5
	s_delay_alu instid0(VALU_DEP_1) | instskip(NEXT) | instid1(VALU_DEP_1)
	v_div_fmas_f32 v0, v0, v3, v4
	v_div_fixup_f32 v0, v0, v1, 1.0
	s_delay_alu instid0(VALU_DEP_1)
	v_mul_f32_e32 v2, v2, v0
	v_xor_b32_e32 v3, 0x80000000, v0
                                        ; implicit-def: $vgpr0_vgpr1
.LBB103_32:
	s_and_not1_saveexec_b32 s1, s1
	s_cbranch_execz .LBB103_34
; %bb.33:
	v_div_scale_f32 v2, null, v0, v0, v1
	v_div_scale_f32 v5, vcc_lo, v1, v0, v1
	s_delay_alu instid0(VALU_DEP_2) | instskip(SKIP_1) | instid1(TRANS32_DEP_1)
	v_rcp_f32_e32 v3, v2
	v_nop
	v_fma_f32 v4, -v2, v3, 1.0
	s_delay_alu instid0(VALU_DEP_1) | instskip(NEXT) | instid1(VALU_DEP_1)
	v_fmac_f32_e32 v3, v4, v3
	v_mul_f32_e32 v4, v5, v3
	s_delay_alu instid0(VALU_DEP_1) | instskip(NEXT) | instid1(VALU_DEP_1)
	v_fma_f32 v6, -v2, v4, v5
	v_fmac_f32_e32 v4, v6, v3
	s_delay_alu instid0(VALU_DEP_1) | instskip(NEXT) | instid1(VALU_DEP_1)
	v_fma_f32 v2, -v2, v4, v5
	v_div_fmas_f32 v2, v2, v3, v4
	s_delay_alu instid0(VALU_DEP_1) | instskip(NEXT) | instid1(VALU_DEP_1)
	v_div_fixup_f32 v3, v2, v0, v1
	v_fmac_f32_e32 v0, v1, v3
	s_delay_alu instid0(VALU_DEP_1) | instskip(NEXT) | instid1(VALU_DEP_1)
	v_div_scale_f32 v1, null, v0, v0, 1.0
	v_rcp_f32_e32 v2, v1
	v_nop
	s_delay_alu instid0(TRANS32_DEP_1) | instskip(NEXT) | instid1(VALU_DEP_1)
	v_fma_f32 v4, -v1, v2, 1.0
	v_fmac_f32_e32 v2, v4, v2
	v_div_scale_f32 v4, vcc_lo, 1.0, v0, 1.0
	s_delay_alu instid0(VALU_DEP_1) | instskip(NEXT) | instid1(VALU_DEP_1)
	v_mul_f32_e32 v5, v4, v2
	v_fma_f32 v6, -v1, v5, v4
	s_delay_alu instid0(VALU_DEP_1) | instskip(NEXT) | instid1(VALU_DEP_1)
	v_fmac_f32_e32 v5, v6, v2
	v_fma_f32 v1, -v1, v5, v4
	s_delay_alu instid0(VALU_DEP_1) | instskip(NEXT) | instid1(VALU_DEP_1)
	v_div_fmas_f32 v1, v1, v2, v5
	v_div_fixup_f32 v2, v1, v0, 1.0
	s_delay_alu instid0(VALU_DEP_1)
	v_mul_f32_e64 v3, v3, -v2
.LBB103_34:
	s_or_b32 exec_lo, exec_lo, s1
	ds_store_b64 v117, v[2:3]
.LBB103_35:
	s_or_b32 exec_lo, exec_lo, s2
	s_wait_dscnt 0x0
	s_barrier_signal -1
	s_barrier_wait -1
	ds_load_b64 v[0:1], v117
	s_mov_b32 s1, exec_lo
	s_wait_dscnt 0x0
	scratch_store_b64 off, v[0:1], off offset:112 ; 8-byte Folded Spill
	s_wait_xcnt 0x0
	v_cmpx_lt_u32_e32 3, v116
	s_cbranch_execz .LBB103_37
; %bb.36:
	scratch_load_b64 v[4:5], off, off offset:112 ; 8-byte Folded Reload
	s_wait_loadcnt 0x0
	v_pk_mul_f32 v[2:3], v[4:5], v[44:45] op_sel:[1,1] op_sel_hi:[0,1]
	s_delay_alu instid0(VALU_DEP_1)
	v_pk_fma_f32 v[0:1], v[4:5], v[44:45], v[2:3] op_sel_hi:[1,0,1] neg_lo:[0,0,1] neg_hi:[0,0,1]
	v_pk_fma_f32 v[2:3], v[4:5], v[44:45], v[2:3] op_sel_hi:[1,0,1]
	ds_load_2addr_b64 v[4:7], v118 offset0:4 offset1:5
	v_dual_mov_b32 v44, v0 :: v_dual_mov_b32 v45, v3
	s_wait_dscnt 0x0
	v_pk_mul_f32 v[8:9], v[4:5], v[2:3] op_sel:[0,1]
	s_delay_alu instid0(VALU_DEP_1) | instskip(SKIP_1) | instid1(VALU_DEP_1)
	v_pk_fma_f32 v[10:11], v[4:5], v[0:1], v[8:9] op_sel:[0,0,1] op_sel_hi:[1,1,0] neg_lo:[0,0,1] neg_hi:[0,0,1]
	v_pk_fma_f32 v[4:5], v[4:5], v[0:1], v[8:9] op_sel:[0,0,1] op_sel_hi:[1,0,0]
	v_mov_b32_e32 v11, v5
	v_pk_mul_f32 v[4:5], v[6:7], v[2:3] op_sel:[0,1]
	s_delay_alu instid0(VALU_DEP_1) | instskip(SKIP_1) | instid1(VALU_DEP_1)
	v_pk_fma_f32 v[8:9], v[6:7], v[0:1], v[4:5] op_sel:[0,0,1] op_sel_hi:[1,1,0] neg_lo:[0,0,1] neg_hi:[0,0,1]
	v_pk_fma_f32 v[4:5], v[6:7], v[0:1], v[4:5] op_sel:[0,0,1] op_sel_hi:[1,0,0]
	v_mov_b32_e32 v9, v5
	ds_load_2addr_b64 v[4:7], v118 offset0:6 offset1:7
	v_pk_add_f32 v[26:27], v[26:27], v[10:11] neg_lo:[0,1] neg_hi:[0,1]
	v_pk_add_f32 v[22:23], v[22:23], v[8:9] neg_lo:[0,1] neg_hi:[0,1]
	s_wait_dscnt 0x0
	v_pk_mul_f32 v[8:9], v[4:5], v[2:3] op_sel:[0,1]
	s_delay_alu instid0(VALU_DEP_1) | instskip(SKIP_2) | instid1(VALU_DEP_2)
	v_pk_fma_f32 v[10:11], v[4:5], v[0:1], v[8:9] op_sel:[0,0,1] op_sel_hi:[1,1,0] neg_lo:[0,0,1] neg_hi:[0,0,1]
	v_pk_fma_f32 v[4:5], v[4:5], v[0:1], v[8:9] op_sel:[0,0,1] op_sel_hi:[1,0,0]
	v_dual_mul_f32 v8, v7, v3 :: v_dual_mov_b32 v4, v7
	v_dual_mov_b32 v11, v5 :: v_dual_mov_b32 v5, v6
	s_delay_alu instid0(VALU_DEP_2) | instskip(SKIP_1) | instid1(VALU_DEP_3)
	v_pk_fma_f32 v[8:9], v[6:7], v[44:45], v[8:9] op_sel_hi:[1,1,0] neg_lo:[0,0,1] neg_hi:[0,0,1]
	v_mul_f32_e32 v6, v7, v0
	v_pk_add_f32 v[24:25], v[24:25], v[10:11] neg_lo:[0,1] neg_hi:[0,1]
	s_delay_alu instid0(VALU_DEP_2) | instskip(NEXT) | instid1(VALU_DEP_1)
	v_pk_fma_f32 v[4:5], v[4:5], v[44:45], v[6:7] op_sel_hi:[1,1,0]
	v_mov_b32_e32 v9, v5
	ds_load_2addr_b64 v[4:7], v118 offset0:8 offset1:9
	v_pk_add_f32 v[20:21], v[20:21], v[8:9] neg_lo:[0,1] neg_hi:[0,1]
	s_wait_dscnt 0x0
	v_pk_mul_f32 v[8:9], v[4:5], v[2:3] op_sel:[0,1]
	s_delay_alu instid0(VALU_DEP_1) | instskip(SKIP_1) | instid1(VALU_DEP_1)
	v_pk_fma_f32 v[10:11], v[4:5], v[0:1], v[8:9] op_sel:[0,0,1] op_sel_hi:[1,1,0] neg_lo:[0,0,1] neg_hi:[0,0,1]
	v_pk_fma_f32 v[4:5], v[4:5], v[0:1], v[8:9] op_sel:[0,0,1] op_sel_hi:[1,0,0]
	v_mov_b32_e32 v11, v5
	v_pk_mul_f32 v[4:5], v[6:7], v[2:3] op_sel:[0,1]
	s_delay_alu instid0(VALU_DEP_1) | instskip(SKIP_1) | instid1(VALU_DEP_1)
	v_pk_fma_f32 v[8:9], v[6:7], v[0:1], v[4:5] op_sel:[0,0,1] op_sel_hi:[1,1,0] neg_lo:[0,0,1] neg_hi:[0,0,1]
	v_pk_fma_f32 v[4:5], v[6:7], v[0:1], v[4:5] op_sel:[0,0,1] op_sel_hi:[1,0,0]
	v_mov_b32_e32 v9, v5
	ds_load_2addr_b64 v[4:7], v118 offset0:10 offset1:11
	v_pk_add_f32 v[40:41], v[40:41], v[10:11] neg_lo:[0,1] neg_hi:[0,1]
	v_pk_add_f32 v[36:37], v[36:37], v[8:9] neg_lo:[0,1] neg_hi:[0,1]
	s_wait_dscnt 0x0
	v_pk_mul_f32 v[8:9], v[4:5], v[2:3] op_sel:[0,1]
	s_delay_alu instid0(VALU_DEP_1) | instskip(SKIP_1) | instid1(VALU_DEP_1)
	v_pk_fma_f32 v[10:11], v[4:5], v[0:1], v[8:9] op_sel:[0,0,1] op_sel_hi:[1,1,0] neg_lo:[0,0,1] neg_hi:[0,0,1]
	v_pk_fma_f32 v[4:5], v[4:5], v[0:1], v[8:9] op_sel:[0,0,1] op_sel_hi:[1,0,0]
	v_mov_b32_e32 v11, v5
	v_pk_mul_f32 v[4:5], v[6:7], v[2:3] op_sel:[0,1]
	s_delay_alu instid0(VALU_DEP_1) | instskip(SKIP_1) | instid1(VALU_DEP_1)
	v_pk_fma_f32 v[8:9], v[6:7], v[0:1], v[4:5] op_sel:[0,0,1] op_sel_hi:[1,1,0] neg_lo:[0,0,1] neg_hi:[0,0,1]
	v_pk_fma_f32 v[4:5], v[6:7], v[0:1], v[4:5] op_sel:[0,0,1] op_sel_hi:[1,0,0]
	v_mov_b32_e32 v9, v5
	ds_load_2addr_b64 v[4:7], v118 offset0:12 offset1:13
	v_pk_add_f32 v[38:39], v[38:39], v[10:11] neg_lo:[0,1] neg_hi:[0,1]
	v_pk_add_f32 v[34:35], v[34:35], v[8:9] neg_lo:[0,1] neg_hi:[0,1]
	s_wait_dscnt 0x0
	v_dual_mul_f32 v8, v5, v3 :: v_dual_mul_f32 v10, v5, v0
	s_delay_alu instid0(VALU_DEP_1) | instskip(NEXT) | instid1(VALU_DEP_2)
	v_pk_fma_f32 v[8:9], v[4:5], v[44:45], v[8:9] op_sel_hi:[1,1,0] neg_lo:[0,0,1] neg_hi:[0,0,1]
	v_pk_fma_f32 v[4:5], v[4:5], v[44:45], v[10:11] op_sel:[1,0,0] op_sel_hi:[0,1,0]
	s_delay_alu instid0(VALU_DEP_1) | instskip(SKIP_1) | instid1(VALU_DEP_2)
	v_mov_b32_e32 v9, v5
	v_pk_mul_f32 v[4:5], v[6:7], v[2:3] op_sel:[0,1]
	v_pk_add_f32 v[62:63], v[62:63], v[8:9] neg_lo:[0,1] neg_hi:[0,1]
	s_delay_alu instid0(VALU_DEP_2) | instskip(SKIP_1) | instid1(VALU_DEP_1)
	v_pk_fma_f32 v[8:9], v[6:7], v[0:1], v[4:5] op_sel:[0,0,1] op_sel_hi:[1,1,0] neg_lo:[0,0,1] neg_hi:[0,0,1]
	v_pk_fma_f32 v[4:5], v[6:7], v[0:1], v[4:5] op_sel:[0,0,1] op_sel_hi:[1,0,0]
	v_mov_b32_e32 v9, v5
	ds_load_2addr_b64 v[4:7], v118 offset0:14 offset1:15
	v_pk_add_f32 v[58:59], v[58:59], v[8:9] neg_lo:[0,1] neg_hi:[0,1]
	s_wait_dscnt 0x0
	v_pk_mul_f32 v[8:9], v[4:5], v[2:3] op_sel:[0,1]
	s_delay_alu instid0(VALU_DEP_1) | instskip(SKIP_1) | instid1(VALU_DEP_1)
	v_pk_fma_f32 v[10:11], v[4:5], v[0:1], v[8:9] op_sel:[0,0,1] op_sel_hi:[1,1,0] neg_lo:[0,0,1] neg_hi:[0,0,1]
	v_pk_fma_f32 v[4:5], v[4:5], v[0:1], v[8:9] op_sel:[0,0,1] op_sel_hi:[1,0,0]
	v_mov_b32_e32 v11, v5
	v_pk_mul_f32 v[4:5], v[6:7], v[2:3] op_sel:[0,1]
	s_delay_alu instid0(VALU_DEP_2) | instskip(NEXT) | instid1(VALU_DEP_2)
	v_pk_add_f32 v[60:61], v[60:61], v[10:11] neg_lo:[0,1] neg_hi:[0,1]
	v_pk_fma_f32 v[8:9], v[6:7], v[0:1], v[4:5] op_sel:[0,0,1] op_sel_hi:[1,1,0] neg_lo:[0,0,1] neg_hi:[0,0,1]
	v_pk_fma_f32 v[4:5], v[6:7], v[0:1], v[4:5] op_sel:[0,0,1] op_sel_hi:[1,0,0]
	s_delay_alu instid0(VALU_DEP_1) | instskip(SKIP_4) | instid1(VALU_DEP_1)
	v_mov_b32_e32 v9, v5
	ds_load_2addr_b64 v[4:7], v118 offset0:16 offset1:17
	v_pk_add_f32 v[56:57], v[56:57], v[8:9] neg_lo:[0,1] neg_hi:[0,1]
	s_wait_dscnt 0x0
	v_pk_mul_f32 v[8:9], v[4:5], v[2:3] op_sel:[0,1]
	v_pk_fma_f32 v[10:11], v[4:5], v[0:1], v[8:9] op_sel:[0,0,1] op_sel_hi:[1,1,0] neg_lo:[0,0,1] neg_hi:[0,0,1]
	v_pk_fma_f32 v[4:5], v[4:5], v[0:1], v[8:9] op_sel:[0,0,1] op_sel_hi:[1,0,0]
	v_dual_mul_f32 v8, v7, v3 :: v_dual_mov_b32 v4, v7
	s_delay_alu instid0(VALU_DEP_2) | instskip(NEXT) | instid1(VALU_DEP_2)
	v_dual_mov_b32 v11, v5 :: v_dual_mov_b32 v5, v6
	v_pk_fma_f32 v[8:9], v[6:7], v[44:45], v[8:9] op_sel_hi:[1,1,0] neg_lo:[0,0,1] neg_hi:[0,0,1]
	v_mul_f32_e32 v6, v7, v0
	s_delay_alu instid0(VALU_DEP_3) | instskip(NEXT) | instid1(VALU_DEP_2)
	v_pk_add_f32 v[78:79], v[78:79], v[10:11] neg_lo:[0,1] neg_hi:[0,1]
	v_pk_fma_f32 v[4:5], v[4:5], v[44:45], v[6:7] op_sel_hi:[1,1,0]
	s_delay_alu instid0(VALU_DEP_1) | instskip(SKIP_4) | instid1(VALU_DEP_1)
	v_mov_b32_e32 v9, v5
	ds_load_2addr_b64 v[4:7], v118 offset0:18 offset1:19
	v_pk_add_f32 v[74:75], v[74:75], v[8:9] neg_lo:[0,1] neg_hi:[0,1]
	s_wait_dscnt 0x0
	v_pk_mul_f32 v[8:9], v[4:5], v[2:3] op_sel:[0,1]
	v_pk_fma_f32 v[10:11], v[4:5], v[0:1], v[8:9] op_sel:[0,0,1] op_sel_hi:[1,1,0] neg_lo:[0,0,1] neg_hi:[0,0,1]
	v_pk_fma_f32 v[4:5], v[4:5], v[0:1], v[8:9] op_sel:[0,0,1] op_sel_hi:[1,0,0]
	s_delay_alu instid0(VALU_DEP_1) | instskip(SKIP_1) | instid1(VALU_DEP_1)
	v_mov_b32_e32 v11, v5
	v_pk_mul_f32 v[4:5], v[6:7], v[2:3] op_sel:[0,1]
	v_pk_fma_f32 v[8:9], v[6:7], v[0:1], v[4:5] op_sel:[0,0,1] op_sel_hi:[1,1,0] neg_lo:[0,0,1] neg_hi:[0,0,1]
	v_pk_fma_f32 v[4:5], v[6:7], v[0:1], v[4:5] op_sel:[0,0,1] op_sel_hi:[1,0,0]
	s_delay_alu instid0(VALU_DEP_1)
	v_mov_b32_e32 v9, v5
	ds_load_2addr_b64 v[4:7], v118 offset0:20 offset1:21
	v_pk_add_f32 v[76:77], v[76:77], v[10:11] neg_lo:[0,1] neg_hi:[0,1]
	v_pk_add_f32 v[72:73], v[72:73], v[8:9] neg_lo:[0,1] neg_hi:[0,1]
	s_wait_dscnt 0x0
	v_pk_mul_f32 v[8:9], v[4:5], v[2:3] op_sel:[0,1]
	s_delay_alu instid0(VALU_DEP_1) | instskip(SKIP_1) | instid1(VALU_DEP_1)
	v_pk_fma_f32 v[10:11], v[4:5], v[0:1], v[8:9] op_sel:[0,0,1] op_sel_hi:[1,1,0] neg_lo:[0,0,1] neg_hi:[0,0,1]
	v_pk_fma_f32 v[4:5], v[4:5], v[0:1], v[8:9] op_sel:[0,0,1] op_sel_hi:[1,0,0]
	v_mov_b32_e32 v11, v5
	v_pk_mul_f32 v[4:5], v[6:7], v[2:3] op_sel:[0,1]
	s_delay_alu instid0(VALU_DEP_1) | instskip(SKIP_1) | instid1(VALU_DEP_1)
	v_pk_fma_f32 v[8:9], v[6:7], v[0:1], v[4:5] op_sel:[0,0,1] op_sel_hi:[1,1,0] neg_lo:[0,0,1] neg_hi:[0,0,1]
	v_pk_fma_f32 v[4:5], v[6:7], v[0:1], v[4:5] op_sel:[0,0,1] op_sel_hi:[1,0,0]
	v_mov_b32_e32 v9, v5
	ds_load_2addr_b64 v[4:7], v118 offset0:22 offset1:23
	v_pk_add_f32 v[94:95], v[94:95], v[10:11] neg_lo:[0,1] neg_hi:[0,1]
	v_pk_add_f32 v[90:91], v[90:91], v[8:9] neg_lo:[0,1] neg_hi:[0,1]
	s_wait_dscnt 0x0
	v_dual_mul_f32 v8, v5, v3 :: v_dual_mul_f32 v10, v5, v0
	s_delay_alu instid0(VALU_DEP_1) | instskip(NEXT) | instid1(VALU_DEP_2)
	v_pk_fma_f32 v[8:9], v[4:5], v[44:45], v[8:9] op_sel_hi:[1,1,0] neg_lo:[0,0,1] neg_hi:[0,0,1]
	v_pk_fma_f32 v[4:5], v[4:5], v[44:45], v[10:11] op_sel:[1,0,0] op_sel_hi:[0,1,0]
	s_delay_alu instid0(VALU_DEP_1) | instskip(SKIP_1) | instid1(VALU_DEP_2)
	v_mov_b32_e32 v9, v5
	v_pk_mul_f32 v[4:5], v[6:7], v[2:3] op_sel:[0,1]
	v_pk_add_f32 v[92:93], v[92:93], v[8:9] neg_lo:[0,1] neg_hi:[0,1]
	s_delay_alu instid0(VALU_DEP_2) | instskip(SKIP_1) | instid1(VALU_DEP_1)
	v_pk_fma_f32 v[8:9], v[6:7], v[0:1], v[4:5] op_sel:[0,0,1] op_sel_hi:[1,1,0] neg_lo:[0,0,1] neg_hi:[0,0,1]
	v_pk_fma_f32 v[4:5], v[6:7], v[0:1], v[4:5] op_sel:[0,0,1] op_sel_hi:[1,0,0]
	v_mov_b32_e32 v9, v5
	ds_load_2addr_b64 v[4:7], v118 offset0:24 offset1:25
	v_pk_add_f32 v[88:89], v[88:89], v[8:9] neg_lo:[0,1] neg_hi:[0,1]
	s_wait_dscnt 0x0
	v_pk_mul_f32 v[8:9], v[4:5], v[2:3] op_sel:[0,1]
	s_delay_alu instid0(VALU_DEP_1) | instskip(SKIP_1) | instid1(VALU_DEP_1)
	v_pk_fma_f32 v[10:11], v[4:5], v[0:1], v[8:9] op_sel:[0,0,1] op_sel_hi:[1,1,0] neg_lo:[0,0,1] neg_hi:[0,0,1]
	v_pk_fma_f32 v[4:5], v[4:5], v[0:1], v[8:9] op_sel:[0,0,1] op_sel_hi:[1,0,0]
	v_mov_b32_e32 v11, v5
	v_pk_mul_f32 v[4:5], v[6:7], v[2:3] op_sel:[0,1]
	s_delay_alu instid0(VALU_DEP_2) | instskip(NEXT) | instid1(VALU_DEP_2)
	v_pk_add_f32 v[112:113], v[112:113], v[10:11] neg_lo:[0,1] neg_hi:[0,1]
	v_pk_fma_f32 v[8:9], v[6:7], v[0:1], v[4:5] op_sel:[0,0,1] op_sel_hi:[1,1,0] neg_lo:[0,0,1] neg_hi:[0,0,1]
	v_pk_fma_f32 v[4:5], v[6:7], v[0:1], v[4:5] op_sel:[0,0,1] op_sel_hi:[1,0,0]
	s_delay_alu instid0(VALU_DEP_1) | instskip(SKIP_4) | instid1(VALU_DEP_1)
	v_mov_b32_e32 v9, v5
	ds_load_2addr_b64 v[4:7], v118 offset0:26 offset1:27
	v_pk_add_f32 v[108:109], v[108:109], v[8:9] neg_lo:[0,1] neg_hi:[0,1]
	s_wait_dscnt 0x0
	v_pk_mul_f32 v[8:9], v[4:5], v[2:3] op_sel:[0,1]
	v_pk_fma_f32 v[10:11], v[4:5], v[0:1], v[8:9] op_sel:[0,0,1] op_sel_hi:[1,1,0] neg_lo:[0,0,1] neg_hi:[0,0,1]
	v_pk_fma_f32 v[4:5], v[4:5], v[0:1], v[8:9] op_sel:[0,0,1] op_sel_hi:[1,0,0]
	v_dual_mul_f32 v8, v7, v3 :: v_dual_mov_b32 v4, v7
	s_delay_alu instid0(VALU_DEP_2) | instskip(NEXT) | instid1(VALU_DEP_2)
	v_dual_mov_b32 v11, v5 :: v_dual_mov_b32 v5, v6
	v_pk_fma_f32 v[8:9], v[6:7], v[44:45], v[8:9] op_sel_hi:[1,1,0] neg_lo:[0,0,1] neg_hi:[0,0,1]
	v_mul_f32_e32 v6, v7, v0
	s_delay_alu instid0(VALU_DEP_3) | instskip(NEXT) | instid1(VALU_DEP_2)
	v_pk_add_f32 v[110:111], v[110:111], v[10:11] neg_lo:[0,1] neg_hi:[0,1]
	v_pk_fma_f32 v[4:5], v[4:5], v[44:45], v[6:7] op_sel_hi:[1,1,0]
	s_delay_alu instid0(VALU_DEP_1) | instskip(SKIP_4) | instid1(VALU_DEP_1)
	v_mov_b32_e32 v9, v5
	ds_load_2addr_b64 v[4:7], v118 offset0:28 offset1:29
	v_pk_add_f32 v[106:107], v[106:107], v[8:9] neg_lo:[0,1] neg_hi:[0,1]
	s_wait_dscnt 0x0
	v_pk_mul_f32 v[8:9], v[4:5], v[2:3] op_sel:[0,1]
	v_pk_fma_f32 v[10:11], v[4:5], v[0:1], v[8:9] op_sel:[0,0,1] op_sel_hi:[1,1,0] neg_lo:[0,0,1] neg_hi:[0,0,1]
	v_pk_fma_f32 v[4:5], v[4:5], v[0:1], v[8:9] op_sel:[0,0,1] op_sel_hi:[1,0,0]
	s_delay_alu instid0(VALU_DEP_1) | instskip(SKIP_1) | instid1(VALU_DEP_1)
	v_mov_b32_e32 v11, v5
	v_pk_mul_f32 v[4:5], v[6:7], v[2:3] op_sel:[0,1]
	v_pk_fma_f32 v[8:9], v[6:7], v[0:1], v[4:5] op_sel:[0,0,1] op_sel_hi:[1,1,0] neg_lo:[0,0,1] neg_hi:[0,0,1]
	v_pk_fma_f32 v[4:5], v[6:7], v[0:1], v[4:5] op_sel:[0,0,1] op_sel_hi:[1,0,0]
	s_delay_alu instid0(VALU_DEP_1)
	v_mov_b32_e32 v9, v5
	ds_load_2addr_b64 v[4:7], v118 offset0:30 offset1:31
	v_pk_add_f32 v[128:129], v[128:129], v[10:11] neg_lo:[0,1] neg_hi:[0,1]
	v_pk_add_f32 v[124:125], v[124:125], v[8:9] neg_lo:[0,1] neg_hi:[0,1]
	s_wait_dscnt 0x0
	v_pk_mul_f32 v[8:9], v[4:5], v[2:3] op_sel:[0,1]
	s_delay_alu instid0(VALU_DEP_1) | instskip(SKIP_1) | instid1(VALU_DEP_1)
	v_pk_fma_f32 v[10:11], v[4:5], v[0:1], v[8:9] op_sel:[0,0,1] op_sel_hi:[1,1,0] neg_lo:[0,0,1] neg_hi:[0,0,1]
	v_pk_fma_f32 v[4:5], v[4:5], v[0:1], v[8:9] op_sel:[0,0,1] op_sel_hi:[1,0,0]
	v_mov_b32_e32 v11, v5
	v_pk_mul_f32 v[4:5], v[6:7], v[2:3] op_sel:[0,1]
	s_delay_alu instid0(VALU_DEP_1) | instskip(SKIP_1) | instid1(VALU_DEP_1)
	v_pk_fma_f32 v[8:9], v[6:7], v[0:1], v[4:5] op_sel:[0,0,1] op_sel_hi:[1,1,0] neg_lo:[0,0,1] neg_hi:[0,0,1]
	v_pk_fma_f32 v[4:5], v[6:7], v[0:1], v[4:5] op_sel:[0,0,1] op_sel_hi:[1,0,0]
	v_mov_b32_e32 v9, v5
	ds_load_2addr_b64 v[4:7], v118 offset0:32 offset1:33
	v_pk_add_f32 v[126:127], v[126:127], v[10:11] neg_lo:[0,1] neg_hi:[0,1]
	v_pk_add_f32 v[122:123], v[122:123], v[8:9] neg_lo:[0,1] neg_hi:[0,1]
	s_wait_dscnt 0x0
	v_dual_mul_f32 v8, v5, v3 :: v_dual_mul_f32 v10, v5, v0
	s_delay_alu instid0(VALU_DEP_1) | instskip(NEXT) | instid1(VALU_DEP_2)
	v_pk_fma_f32 v[8:9], v[4:5], v[44:45], v[8:9] op_sel_hi:[1,1,0] neg_lo:[0,0,1] neg_hi:[0,0,1]
	v_pk_fma_f32 v[4:5], v[4:5], v[44:45], v[10:11] op_sel:[1,0,0] op_sel_hi:[0,1,0]
	s_delay_alu instid0(VALU_DEP_1) | instskip(SKIP_1) | instid1(VALU_DEP_2)
	v_mov_b32_e32 v9, v5
	v_pk_mul_f32 v[4:5], v[6:7], v[2:3] op_sel:[0,1]
	v_pk_add_f32 v[146:147], v[146:147], v[8:9] neg_lo:[0,1] neg_hi:[0,1]
	s_delay_alu instid0(VALU_DEP_2) | instskip(SKIP_1) | instid1(VALU_DEP_1)
	v_pk_fma_f32 v[8:9], v[6:7], v[0:1], v[4:5] op_sel:[0,0,1] op_sel_hi:[1,1,0] neg_lo:[0,0,1] neg_hi:[0,0,1]
	v_pk_fma_f32 v[4:5], v[6:7], v[0:1], v[4:5] op_sel:[0,0,1] op_sel_hi:[1,0,0]
	v_mov_b32_e32 v9, v5
	ds_load_2addr_b64 v[4:7], v118 offset0:34 offset1:35
	v_pk_add_f32 v[142:143], v[142:143], v[8:9] neg_lo:[0,1] neg_hi:[0,1]
	s_wait_dscnt 0x0
	v_pk_mul_f32 v[8:9], v[4:5], v[2:3] op_sel:[0,1]
	s_delay_alu instid0(VALU_DEP_1) | instskip(SKIP_1) | instid1(VALU_DEP_1)
	v_pk_fma_f32 v[10:11], v[4:5], v[0:1], v[8:9] op_sel:[0,0,1] op_sel_hi:[1,1,0] neg_lo:[0,0,1] neg_hi:[0,0,1]
	v_pk_fma_f32 v[4:5], v[4:5], v[0:1], v[8:9] op_sel:[0,0,1] op_sel_hi:[1,0,0]
	v_mov_b32_e32 v11, v5
	v_pk_mul_f32 v[4:5], v[6:7], v[2:3] op_sel:[0,1]
	s_delay_alu instid0(VALU_DEP_2) | instskip(NEXT) | instid1(VALU_DEP_2)
	v_pk_add_f32 v[144:145], v[144:145], v[10:11] neg_lo:[0,1] neg_hi:[0,1]
	v_pk_fma_f32 v[8:9], v[6:7], v[0:1], v[4:5] op_sel:[0,0,1] op_sel_hi:[1,1,0] neg_lo:[0,0,1] neg_hi:[0,0,1]
	v_pk_fma_f32 v[4:5], v[6:7], v[0:1], v[4:5] op_sel:[0,0,1] op_sel_hi:[1,0,0]
	s_delay_alu instid0(VALU_DEP_1) | instskip(SKIP_4) | instid1(VALU_DEP_1)
	v_mov_b32_e32 v9, v5
	ds_load_2addr_b64 v[4:7], v118 offset0:36 offset1:37
	v_pk_add_f32 v[140:141], v[140:141], v[8:9] neg_lo:[0,1] neg_hi:[0,1]
	s_wait_dscnt 0x0
	v_pk_mul_f32 v[8:9], v[4:5], v[2:3] op_sel:[0,1]
	v_pk_fma_f32 v[10:11], v[4:5], v[0:1], v[8:9] op_sel:[0,0,1] op_sel_hi:[1,1,0] neg_lo:[0,0,1] neg_hi:[0,0,1]
	v_pk_fma_f32 v[4:5], v[4:5], v[0:1], v[8:9] op_sel:[0,0,1] op_sel_hi:[1,0,0]
	v_dual_mul_f32 v8, v7, v3 :: v_dual_mov_b32 v4, v7
	s_delay_alu instid0(VALU_DEP_2) | instskip(NEXT) | instid1(VALU_DEP_2)
	v_dual_mov_b32 v11, v5 :: v_dual_mov_b32 v5, v6
	v_pk_fma_f32 v[8:9], v[6:7], v[44:45], v[8:9] op_sel_hi:[1,1,0] neg_lo:[0,0,1] neg_hi:[0,0,1]
	v_mul_f32_e32 v6, v7, v0
	s_delay_alu instid0(VALU_DEP_3) | instskip(NEXT) | instid1(VALU_DEP_2)
	v_pk_add_f32 v[162:163], v[162:163], v[10:11] neg_lo:[0,1] neg_hi:[0,1]
	v_pk_fma_f32 v[4:5], v[4:5], v[44:45], v[6:7] op_sel_hi:[1,1,0]
	s_delay_alu instid0(VALU_DEP_1) | instskip(SKIP_4) | instid1(VALU_DEP_1)
	v_mov_b32_e32 v9, v5
	ds_load_2addr_b64 v[4:7], v118 offset0:38 offset1:39
	v_pk_add_f32 v[158:159], v[158:159], v[8:9] neg_lo:[0,1] neg_hi:[0,1]
	s_wait_dscnt 0x0
	v_pk_mul_f32 v[8:9], v[4:5], v[2:3] op_sel:[0,1]
	v_pk_fma_f32 v[10:11], v[4:5], v[0:1], v[8:9] op_sel:[0,0,1] op_sel_hi:[1,1,0] neg_lo:[0,0,1] neg_hi:[0,0,1]
	v_pk_fma_f32 v[4:5], v[4:5], v[0:1], v[8:9] op_sel:[0,0,1] op_sel_hi:[1,0,0]
	s_delay_alu instid0(VALU_DEP_1) | instskip(SKIP_1) | instid1(VALU_DEP_1)
	v_mov_b32_e32 v11, v5
	v_pk_mul_f32 v[4:5], v[6:7], v[2:3] op_sel:[0,1]
	v_pk_fma_f32 v[8:9], v[6:7], v[0:1], v[4:5] op_sel:[0,0,1] op_sel_hi:[1,1,0] neg_lo:[0,0,1] neg_hi:[0,0,1]
	v_pk_fma_f32 v[4:5], v[6:7], v[0:1], v[4:5] op_sel:[0,0,1] op_sel_hi:[1,0,0]
	s_delay_alu instid0(VALU_DEP_1)
	v_mov_b32_e32 v9, v5
	ds_load_2addr_b64 v[4:7], v118 offset0:40 offset1:41
	v_pk_add_f32 v[160:161], v[160:161], v[10:11] neg_lo:[0,1] neg_hi:[0,1]
	v_pk_add_f32 v[156:157], v[156:157], v[8:9] neg_lo:[0,1] neg_hi:[0,1]
	s_wait_dscnt 0x0
	v_pk_mul_f32 v[8:9], v[4:5], v[2:3] op_sel:[0,1]
	s_delay_alu instid0(VALU_DEP_1) | instskip(SKIP_1) | instid1(VALU_DEP_1)
	v_pk_fma_f32 v[10:11], v[4:5], v[0:1], v[8:9] op_sel:[0,0,1] op_sel_hi:[1,1,0] neg_lo:[0,0,1] neg_hi:[0,0,1]
	v_pk_fma_f32 v[4:5], v[4:5], v[0:1], v[8:9] op_sel:[0,0,1] op_sel_hi:[1,0,0]
	v_mov_b32_e32 v11, v5
	v_pk_mul_f32 v[4:5], v[6:7], v[2:3] op_sel:[0,1]
	s_delay_alu instid0(VALU_DEP_1) | instskip(SKIP_1) | instid1(VALU_DEP_1)
	v_pk_fma_f32 v[8:9], v[6:7], v[0:1], v[4:5] op_sel:[0,0,1] op_sel_hi:[1,1,0] neg_lo:[0,0,1] neg_hi:[0,0,1]
	v_pk_fma_f32 v[4:5], v[6:7], v[0:1], v[4:5] op_sel:[0,0,1] op_sel_hi:[1,0,0]
	v_mov_b32_e32 v9, v5
	ds_load_2addr_b64 v[4:7], v118 offset0:42 offset1:43
	v_pk_add_f32 v[182:183], v[182:183], v[10:11] neg_lo:[0,1] neg_hi:[0,1]
	v_pk_add_f32 v[178:179], v[178:179], v[8:9] neg_lo:[0,1] neg_hi:[0,1]
	s_wait_dscnt 0x0
	v_dual_mul_f32 v8, v5, v3 :: v_dual_mul_f32 v10, v5, v0
	s_delay_alu instid0(VALU_DEP_1) | instskip(NEXT) | instid1(VALU_DEP_2)
	v_pk_fma_f32 v[8:9], v[4:5], v[44:45], v[8:9] op_sel_hi:[1,1,0] neg_lo:[0,0,1] neg_hi:[0,0,1]
	v_pk_fma_f32 v[4:5], v[4:5], v[44:45], v[10:11] op_sel:[1,0,0] op_sel_hi:[0,1,0]
	s_delay_alu instid0(VALU_DEP_1) | instskip(SKIP_1) | instid1(VALU_DEP_2)
	v_mov_b32_e32 v9, v5
	v_pk_mul_f32 v[4:5], v[6:7], v[2:3] op_sel:[0,1]
	v_pk_add_f32 v[180:181], v[180:181], v[8:9] neg_lo:[0,1] neg_hi:[0,1]
	s_delay_alu instid0(VALU_DEP_2) | instskip(SKIP_1) | instid1(VALU_DEP_1)
	v_pk_fma_f32 v[8:9], v[6:7], v[0:1], v[4:5] op_sel:[0,0,1] op_sel_hi:[1,1,0] neg_lo:[0,0,1] neg_hi:[0,0,1]
	v_pk_fma_f32 v[4:5], v[6:7], v[0:1], v[4:5] op_sel:[0,0,1] op_sel_hi:[1,0,0]
	v_mov_b32_e32 v9, v5
	ds_load_2addr_b64 v[4:7], v118 offset0:44 offset1:45
	v_pk_add_f32 v[176:177], v[176:177], v[8:9] neg_lo:[0,1] neg_hi:[0,1]
	s_wait_dscnt 0x0
	v_pk_mul_f32 v[8:9], v[4:5], v[2:3] op_sel:[0,1]
	s_delay_alu instid0(VALU_DEP_1) | instskip(SKIP_1) | instid1(VALU_DEP_1)
	v_pk_fma_f32 v[10:11], v[4:5], v[0:1], v[8:9] op_sel:[0,0,1] op_sel_hi:[1,1,0] neg_lo:[0,0,1] neg_hi:[0,0,1]
	v_pk_fma_f32 v[4:5], v[4:5], v[0:1], v[8:9] op_sel:[0,0,1] op_sel_hi:[1,0,0]
	v_mov_b32_e32 v11, v5
	v_pk_mul_f32 v[4:5], v[6:7], v[2:3] op_sel:[0,1]
	s_delay_alu instid0(VALU_DEP_2) | instskip(NEXT) | instid1(VALU_DEP_2)
	v_pk_add_f32 v[204:205], v[204:205], v[10:11] neg_lo:[0,1] neg_hi:[0,1]
	v_pk_fma_f32 v[8:9], v[6:7], v[0:1], v[4:5] op_sel:[0,0,1] op_sel_hi:[1,1,0] neg_lo:[0,0,1] neg_hi:[0,0,1]
	v_pk_fma_f32 v[4:5], v[6:7], v[0:1], v[4:5] op_sel:[0,0,1] op_sel_hi:[1,0,0]
	s_delay_alu instid0(VALU_DEP_1) | instskip(SKIP_4) | instid1(VALU_DEP_1)
	v_mov_b32_e32 v9, v5
	ds_load_2addr_b64 v[4:7], v118 offset0:46 offset1:47
	v_pk_add_f32 v[198:199], v[198:199], v[8:9] neg_lo:[0,1] neg_hi:[0,1]
	s_wait_dscnt 0x0
	v_pk_mul_f32 v[8:9], v[4:5], v[2:3] op_sel:[0,1]
	v_pk_fma_f32 v[10:11], v[4:5], v[0:1], v[8:9] op_sel:[0,0,1] op_sel_hi:[1,1,0] neg_lo:[0,0,1] neg_hi:[0,0,1]
	v_pk_fma_f32 v[4:5], v[4:5], v[0:1], v[8:9] op_sel:[0,0,1] op_sel_hi:[1,0,0]
	v_dual_mul_f32 v8, v7, v3 :: v_dual_mov_b32 v4, v7
	s_delay_alu instid0(VALU_DEP_2) | instskip(NEXT) | instid1(VALU_DEP_2)
	v_dual_mov_b32 v11, v5 :: v_dual_mov_b32 v5, v6
	v_pk_fma_f32 v[8:9], v[6:7], v[44:45], v[8:9] op_sel_hi:[1,1,0] neg_lo:[0,0,1] neg_hi:[0,0,1]
	v_mul_f32_e32 v6, v7, v0
	s_delay_alu instid0(VALU_DEP_3) | instskip(NEXT) | instid1(VALU_DEP_2)
	v_pk_add_f32 v[202:203], v[202:203], v[10:11] neg_lo:[0,1] neg_hi:[0,1]
	v_pk_fma_f32 v[4:5], v[4:5], v[44:45], v[6:7] op_sel_hi:[1,1,0]
	s_delay_alu instid0(VALU_DEP_1) | instskip(SKIP_4) | instid1(VALU_DEP_1)
	v_mov_b32_e32 v9, v5
	ds_load_2addr_b64 v[4:7], v118 offset0:48 offset1:49
	v_pk_add_f32 v[196:197], v[196:197], v[8:9] neg_lo:[0,1] neg_hi:[0,1]
	s_wait_dscnt 0x0
	v_pk_mul_f32 v[8:9], v[4:5], v[2:3] op_sel:[0,1]
	v_pk_fma_f32 v[10:11], v[4:5], v[0:1], v[8:9] op_sel:[0,0,1] op_sel_hi:[1,1,0] neg_lo:[0,0,1] neg_hi:[0,0,1]
	v_pk_fma_f32 v[4:5], v[4:5], v[0:1], v[8:9] op_sel:[0,0,1] op_sel_hi:[1,0,0]
	s_delay_alu instid0(VALU_DEP_1) | instskip(SKIP_1) | instid1(VALU_DEP_1)
	v_mov_b32_e32 v11, v5
	v_pk_mul_f32 v[4:5], v[6:7], v[2:3] op_sel:[0,1]
	v_pk_fma_f32 v[8:9], v[6:7], v[0:1], v[4:5] op_sel:[0,0,1] op_sel_hi:[1,1,0] neg_lo:[0,0,1] neg_hi:[0,0,1]
	v_pk_fma_f32 v[4:5], v[6:7], v[0:1], v[4:5] op_sel:[0,0,1] op_sel_hi:[1,0,0]
	s_delay_alu instid0(VALU_DEP_1)
	v_mov_b32_e32 v9, v5
	ds_load_2addr_b64 v[4:7], v118 offset0:50 offset1:51
	v_pk_add_f32 v[200:201], v[200:201], v[10:11] neg_lo:[0,1] neg_hi:[0,1]
	v_pk_add_f32 v[194:195], v[194:195], v[8:9] neg_lo:[0,1] neg_hi:[0,1]
	s_wait_dscnt 0x0
	v_pk_mul_f32 v[8:9], v[4:5], v[2:3] op_sel:[0,1]
	v_mul_f32_e32 v2, v7, v3
	s_delay_alu instid0(VALU_DEP_2) | instskip(SKIP_2) | instid1(VALU_DEP_4)
	v_pk_fma_f32 v[10:11], v[4:5], v[0:1], v[8:9] op_sel:[0,0,1] op_sel_hi:[1,1,0] neg_lo:[0,0,1] neg_hi:[0,0,1]
	v_pk_fma_f32 v[4:5], v[4:5], v[0:1], v[8:9] op_sel:[0,0,1] op_sel_hi:[1,0,0]
	v_dual_mov_b32 v4, v7 :: v_dual_mul_f32 v0, v7, v0
	v_pk_fma_f32 v[2:3], v[6:7], v[44:45], v[2:3] op_sel_hi:[1,1,0] neg_lo:[0,0,1] neg_hi:[0,0,1]
	s_delay_alu instid0(VALU_DEP_3) | instskip(NEXT) | instid1(VALU_DEP_1)
	v_dual_mov_b32 v11, v5 :: v_dual_mov_b32 v5, v6
	v_pk_add_f32 v[206:207], v[206:207], v[10:11] neg_lo:[0,1] neg_hi:[0,1]
	s_delay_alu instid0(VALU_DEP_2) | instskip(NEXT) | instid1(VALU_DEP_1)
	v_pk_fma_f32 v[0:1], v[4:5], v[44:45], v[0:1] op_sel_hi:[1,1,0]
	v_mov_b32_e32 v3, v1
	s_delay_alu instid0(VALU_DEP_1)
	v_pk_add_f32 v[208:209], v[208:209], v[2:3] neg_lo:[0,1] neg_hi:[0,1]
.LBB103_37:
	s_wait_xcnt 0x0
	s_or_b32 exec_lo, exec_lo, s1
	s_delay_alu instid0(SALU_CYCLE_1)
	s_mov_b32 s2, exec_lo
	s_wait_storecnt 0x0
	s_barrier_signal -1
	s_barrier_wait -1
	v_cmpx_eq_u32_e32 4, v116
	s_cbranch_execz .LBB103_44
; %bb.38:
	ds_store_b64 v117, v[26:27]
	ds_store_2addr_b64 v118, v[22:23], v[24:25] offset0:5 offset1:6
	ds_store_2addr_b64 v118, v[20:21], v[40:41] offset0:7 offset1:8
	;; [unrolled: 1-line block ×23, first 2 shown]
	ds_store_b64 v118, v[208:209] offset:408
	ds_load_b64 v[0:1], v117
	s_wait_dscnt 0x0
	v_cmp_neq_f32_e32 vcc_lo, 0, v0
	v_cmp_neq_f32_e64 s1, 0, v1
	s_or_b32 s1, vcc_lo, s1
	s_delay_alu instid0(SALU_CYCLE_1)
	s_and_b32 exec_lo, exec_lo, s1
	s_cbranch_execz .LBB103_44
; %bb.39:
	v_cmp_ngt_f32_e64 s1, |v0|, |v1|
                                        ; implicit-def: $vgpr2_vgpr3
	s_and_saveexec_b32 s4, s1
	s_delay_alu instid0(SALU_CYCLE_1)
	s_xor_b32 s1, exec_lo, s4
	s_cbranch_execz .LBB103_41
; %bb.40:
	v_div_scale_f32 v2, null, v1, v1, v0
	v_div_scale_f32 v5, vcc_lo, v0, v1, v0
	s_delay_alu instid0(VALU_DEP_2) | instskip(SKIP_1) | instid1(TRANS32_DEP_1)
	v_rcp_f32_e32 v3, v2
	v_nop
	v_fma_f32 v4, -v2, v3, 1.0
	s_delay_alu instid0(VALU_DEP_1) | instskip(NEXT) | instid1(VALU_DEP_1)
	v_fmac_f32_e32 v3, v4, v3
	v_mul_f32_e32 v4, v5, v3
	s_delay_alu instid0(VALU_DEP_1) | instskip(NEXT) | instid1(VALU_DEP_1)
	v_fma_f32 v6, -v2, v4, v5
	v_fmac_f32_e32 v4, v6, v3
	s_delay_alu instid0(VALU_DEP_1) | instskip(NEXT) | instid1(VALU_DEP_1)
	v_fma_f32 v2, -v2, v4, v5
	v_div_fmas_f32 v2, v2, v3, v4
	s_delay_alu instid0(VALU_DEP_1) | instskip(NEXT) | instid1(VALU_DEP_1)
	v_div_fixup_f32 v2, v2, v1, v0
	v_fmac_f32_e32 v1, v0, v2
	s_delay_alu instid0(VALU_DEP_1) | instskip(SKIP_1) | instid1(VALU_DEP_2)
	v_div_scale_f32 v0, null, v1, v1, 1.0
	v_div_scale_f32 v5, vcc_lo, 1.0, v1, 1.0
	v_rcp_f32_e32 v3, v0
	v_nop
	s_delay_alu instid0(TRANS32_DEP_1) | instskip(NEXT) | instid1(VALU_DEP_1)
	v_fma_f32 v4, -v0, v3, 1.0
	v_fmac_f32_e32 v3, v4, v3
	s_delay_alu instid0(VALU_DEP_1) | instskip(NEXT) | instid1(VALU_DEP_1)
	v_mul_f32_e32 v4, v5, v3
	v_fma_f32 v6, -v0, v4, v5
	s_delay_alu instid0(VALU_DEP_1) | instskip(NEXT) | instid1(VALU_DEP_1)
	v_fmac_f32_e32 v4, v6, v3
	v_fma_f32 v0, -v0, v4, v5
	s_delay_alu instid0(VALU_DEP_1) | instskip(NEXT) | instid1(VALU_DEP_1)
	v_div_fmas_f32 v0, v0, v3, v4
	v_div_fixup_f32 v0, v0, v1, 1.0
	s_delay_alu instid0(VALU_DEP_1)
	v_mul_f32_e32 v2, v2, v0
	v_xor_b32_e32 v3, 0x80000000, v0
                                        ; implicit-def: $vgpr0_vgpr1
.LBB103_41:
	s_and_not1_saveexec_b32 s1, s1
	s_cbranch_execz .LBB103_43
; %bb.42:
	v_div_scale_f32 v2, null, v0, v0, v1
	v_div_scale_f32 v5, vcc_lo, v1, v0, v1
	s_delay_alu instid0(VALU_DEP_2) | instskip(SKIP_1) | instid1(TRANS32_DEP_1)
	v_rcp_f32_e32 v3, v2
	v_nop
	v_fma_f32 v4, -v2, v3, 1.0
	s_delay_alu instid0(VALU_DEP_1) | instskip(NEXT) | instid1(VALU_DEP_1)
	v_fmac_f32_e32 v3, v4, v3
	v_mul_f32_e32 v4, v5, v3
	s_delay_alu instid0(VALU_DEP_1) | instskip(NEXT) | instid1(VALU_DEP_1)
	v_fma_f32 v6, -v2, v4, v5
	v_fmac_f32_e32 v4, v6, v3
	s_delay_alu instid0(VALU_DEP_1) | instskip(NEXT) | instid1(VALU_DEP_1)
	v_fma_f32 v2, -v2, v4, v5
	v_div_fmas_f32 v2, v2, v3, v4
	s_delay_alu instid0(VALU_DEP_1) | instskip(NEXT) | instid1(VALU_DEP_1)
	v_div_fixup_f32 v3, v2, v0, v1
	v_fmac_f32_e32 v0, v1, v3
	s_delay_alu instid0(VALU_DEP_1) | instskip(NEXT) | instid1(VALU_DEP_1)
	v_div_scale_f32 v1, null, v0, v0, 1.0
	v_rcp_f32_e32 v2, v1
	v_nop
	s_delay_alu instid0(TRANS32_DEP_1) | instskip(NEXT) | instid1(VALU_DEP_1)
	v_fma_f32 v4, -v1, v2, 1.0
	v_fmac_f32_e32 v2, v4, v2
	v_div_scale_f32 v4, vcc_lo, 1.0, v0, 1.0
	s_delay_alu instid0(VALU_DEP_1) | instskip(NEXT) | instid1(VALU_DEP_1)
	v_mul_f32_e32 v5, v4, v2
	v_fma_f32 v6, -v1, v5, v4
	s_delay_alu instid0(VALU_DEP_1) | instskip(NEXT) | instid1(VALU_DEP_1)
	v_fmac_f32_e32 v5, v6, v2
	v_fma_f32 v1, -v1, v5, v4
	s_delay_alu instid0(VALU_DEP_1) | instskip(NEXT) | instid1(VALU_DEP_1)
	v_div_fmas_f32 v1, v1, v2, v5
	v_div_fixup_f32 v2, v1, v0, 1.0
	s_delay_alu instid0(VALU_DEP_1)
	v_mul_f32_e64 v3, v3, -v2
.LBB103_43:
	s_or_b32 exec_lo, exec_lo, s1
	ds_store_b64 v117, v[2:3]
.LBB103_44:
	s_or_b32 exec_lo, exec_lo, s2
	s_wait_dscnt 0x0
	s_barrier_signal -1
	s_barrier_wait -1
	ds_load_b64 v[0:1], v117
	s_mov_b32 s1, exec_lo
	s_wait_dscnt 0x0
	scratch_store_b64 off, v[0:1], off offset:120 ; 8-byte Folded Spill
	s_wait_xcnt 0x0
	v_cmpx_lt_u32_e32 4, v116
	s_cbranch_execz .LBB103_46
; %bb.45:
	scratch_load_b64 v[4:5], off, off offset:120 ; 8-byte Folded Reload
	s_wait_loadcnt 0x0
	v_pk_mul_f32 v[2:3], v[4:5], v[26:27] op_sel:[1,1] op_sel_hi:[0,1]
	s_delay_alu instid0(VALU_DEP_1)
	v_pk_fma_f32 v[0:1], v[4:5], v[26:27], v[2:3] op_sel_hi:[1,0,1] neg_lo:[0,0,1] neg_hi:[0,0,1]
	v_pk_fma_f32 v[2:3], v[4:5], v[26:27], v[2:3] op_sel_hi:[1,0,1]
	ds_load_2addr_b64 v[4:7], v118 offset0:5 offset1:6
	v_dual_mov_b32 v26, v0 :: v_dual_mov_b32 v27, v3
	s_wait_dscnt 0x0
	v_pk_mul_f32 v[8:9], v[4:5], v[2:3] op_sel:[0,1]
	s_delay_alu instid0(VALU_DEP_1) | instskip(SKIP_1) | instid1(VALU_DEP_1)
	v_pk_fma_f32 v[10:11], v[4:5], v[0:1], v[8:9] op_sel:[0,0,1] op_sel_hi:[1,1,0] neg_lo:[0,0,1] neg_hi:[0,0,1]
	v_pk_fma_f32 v[4:5], v[4:5], v[0:1], v[8:9] op_sel:[0,0,1] op_sel_hi:[1,0,0]
	v_mov_b32_e32 v11, v5
	v_pk_mul_f32 v[4:5], v[6:7], v[2:3] op_sel:[0,1]
	s_delay_alu instid0(VALU_DEP_1) | instskip(SKIP_1) | instid1(VALU_DEP_1)
	v_pk_fma_f32 v[8:9], v[6:7], v[0:1], v[4:5] op_sel:[0,0,1] op_sel_hi:[1,1,0] neg_lo:[0,0,1] neg_hi:[0,0,1]
	v_pk_fma_f32 v[4:5], v[6:7], v[0:1], v[4:5] op_sel:[0,0,1] op_sel_hi:[1,0,0]
	v_mov_b32_e32 v9, v5
	ds_load_2addr_b64 v[4:7], v118 offset0:7 offset1:8
	v_pk_add_f32 v[22:23], v[22:23], v[10:11] neg_lo:[0,1] neg_hi:[0,1]
	v_pk_add_f32 v[24:25], v[24:25], v[8:9] neg_lo:[0,1] neg_hi:[0,1]
	s_wait_dscnt 0x0
	v_pk_mul_f32 v[8:9], v[4:5], v[2:3] op_sel:[0,1]
	s_delay_alu instid0(VALU_DEP_1) | instskip(SKIP_2) | instid1(VALU_DEP_2)
	v_pk_fma_f32 v[10:11], v[4:5], v[0:1], v[8:9] op_sel:[0,0,1] op_sel_hi:[1,1,0] neg_lo:[0,0,1] neg_hi:[0,0,1]
	v_pk_fma_f32 v[4:5], v[4:5], v[0:1], v[8:9] op_sel:[0,0,1] op_sel_hi:[1,0,0]
	v_dual_mul_f32 v8, v7, v3 :: v_dual_mov_b32 v4, v7
	v_dual_mov_b32 v11, v5 :: v_dual_mov_b32 v5, v6
	s_delay_alu instid0(VALU_DEP_2) | instskip(SKIP_1) | instid1(VALU_DEP_3)
	v_pk_fma_f32 v[8:9], v[6:7], v[26:27], v[8:9] op_sel_hi:[1,1,0] neg_lo:[0,0,1] neg_hi:[0,0,1]
	v_mul_f32_e32 v6, v7, v0
	v_pk_add_f32 v[20:21], v[20:21], v[10:11] neg_lo:[0,1] neg_hi:[0,1]
	s_delay_alu instid0(VALU_DEP_2) | instskip(NEXT) | instid1(VALU_DEP_1)
	v_pk_fma_f32 v[4:5], v[4:5], v[26:27], v[6:7] op_sel_hi:[1,1,0]
	v_mov_b32_e32 v9, v5
	ds_load_2addr_b64 v[4:7], v118 offset0:9 offset1:10
	v_pk_add_f32 v[40:41], v[40:41], v[8:9] neg_lo:[0,1] neg_hi:[0,1]
	s_wait_dscnt 0x0
	v_pk_mul_f32 v[8:9], v[4:5], v[2:3] op_sel:[0,1]
	s_delay_alu instid0(VALU_DEP_1) | instskip(SKIP_1) | instid1(VALU_DEP_1)
	v_pk_fma_f32 v[10:11], v[4:5], v[0:1], v[8:9] op_sel:[0,0,1] op_sel_hi:[1,1,0] neg_lo:[0,0,1] neg_hi:[0,0,1]
	v_pk_fma_f32 v[4:5], v[4:5], v[0:1], v[8:9] op_sel:[0,0,1] op_sel_hi:[1,0,0]
	v_mov_b32_e32 v11, v5
	v_pk_mul_f32 v[4:5], v[6:7], v[2:3] op_sel:[0,1]
	s_delay_alu instid0(VALU_DEP_1) | instskip(SKIP_1) | instid1(VALU_DEP_1)
	v_pk_fma_f32 v[8:9], v[6:7], v[0:1], v[4:5] op_sel:[0,0,1] op_sel_hi:[1,1,0] neg_lo:[0,0,1] neg_hi:[0,0,1]
	v_pk_fma_f32 v[4:5], v[6:7], v[0:1], v[4:5] op_sel:[0,0,1] op_sel_hi:[1,0,0]
	v_mov_b32_e32 v9, v5
	ds_load_2addr_b64 v[4:7], v118 offset0:11 offset1:12
	v_pk_add_f32 v[36:37], v[36:37], v[10:11] neg_lo:[0,1] neg_hi:[0,1]
	v_pk_add_f32 v[38:39], v[38:39], v[8:9] neg_lo:[0,1] neg_hi:[0,1]
	s_wait_dscnt 0x0
	v_pk_mul_f32 v[8:9], v[4:5], v[2:3] op_sel:[0,1]
	s_delay_alu instid0(VALU_DEP_1) | instskip(SKIP_1) | instid1(VALU_DEP_1)
	v_pk_fma_f32 v[10:11], v[4:5], v[0:1], v[8:9] op_sel:[0,0,1] op_sel_hi:[1,1,0] neg_lo:[0,0,1] neg_hi:[0,0,1]
	v_pk_fma_f32 v[4:5], v[4:5], v[0:1], v[8:9] op_sel:[0,0,1] op_sel_hi:[1,0,0]
	v_mov_b32_e32 v11, v5
	v_pk_mul_f32 v[4:5], v[6:7], v[2:3] op_sel:[0,1]
	s_delay_alu instid0(VALU_DEP_1) | instskip(SKIP_1) | instid1(VALU_DEP_1)
	v_pk_fma_f32 v[8:9], v[6:7], v[0:1], v[4:5] op_sel:[0,0,1] op_sel_hi:[1,1,0] neg_lo:[0,0,1] neg_hi:[0,0,1]
	v_pk_fma_f32 v[4:5], v[6:7], v[0:1], v[4:5] op_sel:[0,0,1] op_sel_hi:[1,0,0]
	v_mov_b32_e32 v9, v5
	ds_load_2addr_b64 v[4:7], v118 offset0:13 offset1:14
	v_pk_add_f32 v[34:35], v[34:35], v[10:11] neg_lo:[0,1] neg_hi:[0,1]
	v_pk_add_f32 v[62:63], v[62:63], v[8:9] neg_lo:[0,1] neg_hi:[0,1]
	s_wait_dscnt 0x0
	v_dual_mul_f32 v8, v5, v3 :: v_dual_mul_f32 v10, v5, v0
	s_delay_alu instid0(VALU_DEP_1) | instskip(NEXT) | instid1(VALU_DEP_2)
	v_pk_fma_f32 v[8:9], v[4:5], v[26:27], v[8:9] op_sel_hi:[1,1,0] neg_lo:[0,0,1] neg_hi:[0,0,1]
	v_pk_fma_f32 v[4:5], v[4:5], v[26:27], v[10:11] op_sel:[1,0,0] op_sel_hi:[0,1,0]
	s_delay_alu instid0(VALU_DEP_1) | instskip(SKIP_1) | instid1(VALU_DEP_2)
	v_mov_b32_e32 v9, v5
	v_pk_mul_f32 v[4:5], v[6:7], v[2:3] op_sel:[0,1]
	v_pk_add_f32 v[58:59], v[58:59], v[8:9] neg_lo:[0,1] neg_hi:[0,1]
	s_delay_alu instid0(VALU_DEP_2) | instskip(SKIP_1) | instid1(VALU_DEP_1)
	v_pk_fma_f32 v[8:9], v[6:7], v[0:1], v[4:5] op_sel:[0,0,1] op_sel_hi:[1,1,0] neg_lo:[0,0,1] neg_hi:[0,0,1]
	v_pk_fma_f32 v[4:5], v[6:7], v[0:1], v[4:5] op_sel:[0,0,1] op_sel_hi:[1,0,0]
	v_mov_b32_e32 v9, v5
	ds_load_2addr_b64 v[4:7], v118 offset0:15 offset1:16
	v_pk_add_f32 v[60:61], v[60:61], v[8:9] neg_lo:[0,1] neg_hi:[0,1]
	s_wait_dscnt 0x0
	v_pk_mul_f32 v[8:9], v[4:5], v[2:3] op_sel:[0,1]
	s_delay_alu instid0(VALU_DEP_1) | instskip(SKIP_1) | instid1(VALU_DEP_1)
	v_pk_fma_f32 v[10:11], v[4:5], v[0:1], v[8:9] op_sel:[0,0,1] op_sel_hi:[1,1,0] neg_lo:[0,0,1] neg_hi:[0,0,1]
	v_pk_fma_f32 v[4:5], v[4:5], v[0:1], v[8:9] op_sel:[0,0,1] op_sel_hi:[1,0,0]
	v_mov_b32_e32 v11, v5
	v_pk_mul_f32 v[4:5], v[6:7], v[2:3] op_sel:[0,1]
	s_delay_alu instid0(VALU_DEP_2) | instskip(NEXT) | instid1(VALU_DEP_2)
	v_pk_add_f32 v[56:57], v[56:57], v[10:11] neg_lo:[0,1] neg_hi:[0,1]
	v_pk_fma_f32 v[8:9], v[6:7], v[0:1], v[4:5] op_sel:[0,0,1] op_sel_hi:[1,1,0] neg_lo:[0,0,1] neg_hi:[0,0,1]
	v_pk_fma_f32 v[4:5], v[6:7], v[0:1], v[4:5] op_sel:[0,0,1] op_sel_hi:[1,0,0]
	s_delay_alu instid0(VALU_DEP_1) | instskip(SKIP_4) | instid1(VALU_DEP_1)
	v_mov_b32_e32 v9, v5
	ds_load_2addr_b64 v[4:7], v118 offset0:17 offset1:18
	v_pk_add_f32 v[78:79], v[78:79], v[8:9] neg_lo:[0,1] neg_hi:[0,1]
	s_wait_dscnt 0x0
	v_pk_mul_f32 v[8:9], v[4:5], v[2:3] op_sel:[0,1]
	v_pk_fma_f32 v[10:11], v[4:5], v[0:1], v[8:9] op_sel:[0,0,1] op_sel_hi:[1,1,0] neg_lo:[0,0,1] neg_hi:[0,0,1]
	v_pk_fma_f32 v[4:5], v[4:5], v[0:1], v[8:9] op_sel:[0,0,1] op_sel_hi:[1,0,0]
	v_dual_mul_f32 v8, v7, v3 :: v_dual_mov_b32 v4, v7
	s_delay_alu instid0(VALU_DEP_2) | instskip(NEXT) | instid1(VALU_DEP_2)
	v_dual_mov_b32 v11, v5 :: v_dual_mov_b32 v5, v6
	v_pk_fma_f32 v[8:9], v[6:7], v[26:27], v[8:9] op_sel_hi:[1,1,0] neg_lo:[0,0,1] neg_hi:[0,0,1]
	v_mul_f32_e32 v6, v7, v0
	s_delay_alu instid0(VALU_DEP_3) | instskip(NEXT) | instid1(VALU_DEP_2)
	v_pk_add_f32 v[74:75], v[74:75], v[10:11] neg_lo:[0,1] neg_hi:[0,1]
	v_pk_fma_f32 v[4:5], v[4:5], v[26:27], v[6:7] op_sel_hi:[1,1,0]
	s_delay_alu instid0(VALU_DEP_1) | instskip(SKIP_4) | instid1(VALU_DEP_1)
	v_mov_b32_e32 v9, v5
	ds_load_2addr_b64 v[4:7], v118 offset0:19 offset1:20
	v_pk_add_f32 v[76:77], v[76:77], v[8:9] neg_lo:[0,1] neg_hi:[0,1]
	s_wait_dscnt 0x0
	v_pk_mul_f32 v[8:9], v[4:5], v[2:3] op_sel:[0,1]
	v_pk_fma_f32 v[10:11], v[4:5], v[0:1], v[8:9] op_sel:[0,0,1] op_sel_hi:[1,1,0] neg_lo:[0,0,1] neg_hi:[0,0,1]
	v_pk_fma_f32 v[4:5], v[4:5], v[0:1], v[8:9] op_sel:[0,0,1] op_sel_hi:[1,0,0]
	s_delay_alu instid0(VALU_DEP_1) | instskip(SKIP_1) | instid1(VALU_DEP_1)
	v_mov_b32_e32 v11, v5
	v_pk_mul_f32 v[4:5], v[6:7], v[2:3] op_sel:[0,1]
	v_pk_fma_f32 v[8:9], v[6:7], v[0:1], v[4:5] op_sel:[0,0,1] op_sel_hi:[1,1,0] neg_lo:[0,0,1] neg_hi:[0,0,1]
	v_pk_fma_f32 v[4:5], v[6:7], v[0:1], v[4:5] op_sel:[0,0,1] op_sel_hi:[1,0,0]
	s_delay_alu instid0(VALU_DEP_1)
	v_mov_b32_e32 v9, v5
	ds_load_2addr_b64 v[4:7], v118 offset0:21 offset1:22
	v_pk_add_f32 v[72:73], v[72:73], v[10:11] neg_lo:[0,1] neg_hi:[0,1]
	v_pk_add_f32 v[94:95], v[94:95], v[8:9] neg_lo:[0,1] neg_hi:[0,1]
	s_wait_dscnt 0x0
	v_pk_mul_f32 v[8:9], v[4:5], v[2:3] op_sel:[0,1]
	s_delay_alu instid0(VALU_DEP_1) | instskip(SKIP_1) | instid1(VALU_DEP_1)
	v_pk_fma_f32 v[10:11], v[4:5], v[0:1], v[8:9] op_sel:[0,0,1] op_sel_hi:[1,1,0] neg_lo:[0,0,1] neg_hi:[0,0,1]
	v_pk_fma_f32 v[4:5], v[4:5], v[0:1], v[8:9] op_sel:[0,0,1] op_sel_hi:[1,0,0]
	v_mov_b32_e32 v11, v5
	v_pk_mul_f32 v[4:5], v[6:7], v[2:3] op_sel:[0,1]
	s_delay_alu instid0(VALU_DEP_1) | instskip(SKIP_1) | instid1(VALU_DEP_1)
	v_pk_fma_f32 v[8:9], v[6:7], v[0:1], v[4:5] op_sel:[0,0,1] op_sel_hi:[1,1,0] neg_lo:[0,0,1] neg_hi:[0,0,1]
	v_pk_fma_f32 v[4:5], v[6:7], v[0:1], v[4:5] op_sel:[0,0,1] op_sel_hi:[1,0,0]
	v_mov_b32_e32 v9, v5
	ds_load_2addr_b64 v[4:7], v118 offset0:23 offset1:24
	v_pk_add_f32 v[90:91], v[90:91], v[10:11] neg_lo:[0,1] neg_hi:[0,1]
	v_pk_add_f32 v[92:93], v[92:93], v[8:9] neg_lo:[0,1] neg_hi:[0,1]
	s_wait_dscnt 0x0
	v_dual_mul_f32 v8, v5, v3 :: v_dual_mul_f32 v10, v5, v0
	s_delay_alu instid0(VALU_DEP_1) | instskip(NEXT) | instid1(VALU_DEP_2)
	v_pk_fma_f32 v[8:9], v[4:5], v[26:27], v[8:9] op_sel_hi:[1,1,0] neg_lo:[0,0,1] neg_hi:[0,0,1]
	v_pk_fma_f32 v[4:5], v[4:5], v[26:27], v[10:11] op_sel:[1,0,0] op_sel_hi:[0,1,0]
	s_delay_alu instid0(VALU_DEP_1) | instskip(SKIP_1) | instid1(VALU_DEP_2)
	v_mov_b32_e32 v9, v5
	v_pk_mul_f32 v[4:5], v[6:7], v[2:3] op_sel:[0,1]
	v_pk_add_f32 v[88:89], v[88:89], v[8:9] neg_lo:[0,1] neg_hi:[0,1]
	s_delay_alu instid0(VALU_DEP_2) | instskip(SKIP_1) | instid1(VALU_DEP_1)
	v_pk_fma_f32 v[8:9], v[6:7], v[0:1], v[4:5] op_sel:[0,0,1] op_sel_hi:[1,1,0] neg_lo:[0,0,1] neg_hi:[0,0,1]
	v_pk_fma_f32 v[4:5], v[6:7], v[0:1], v[4:5] op_sel:[0,0,1] op_sel_hi:[1,0,0]
	v_mov_b32_e32 v9, v5
	ds_load_2addr_b64 v[4:7], v118 offset0:25 offset1:26
	v_pk_add_f32 v[112:113], v[112:113], v[8:9] neg_lo:[0,1] neg_hi:[0,1]
	s_wait_dscnt 0x0
	v_pk_mul_f32 v[8:9], v[4:5], v[2:3] op_sel:[0,1]
	s_delay_alu instid0(VALU_DEP_1) | instskip(SKIP_1) | instid1(VALU_DEP_1)
	v_pk_fma_f32 v[10:11], v[4:5], v[0:1], v[8:9] op_sel:[0,0,1] op_sel_hi:[1,1,0] neg_lo:[0,0,1] neg_hi:[0,0,1]
	v_pk_fma_f32 v[4:5], v[4:5], v[0:1], v[8:9] op_sel:[0,0,1] op_sel_hi:[1,0,0]
	v_mov_b32_e32 v11, v5
	v_pk_mul_f32 v[4:5], v[6:7], v[2:3] op_sel:[0,1]
	s_delay_alu instid0(VALU_DEP_2) | instskip(NEXT) | instid1(VALU_DEP_2)
	v_pk_add_f32 v[108:109], v[108:109], v[10:11] neg_lo:[0,1] neg_hi:[0,1]
	v_pk_fma_f32 v[8:9], v[6:7], v[0:1], v[4:5] op_sel:[0,0,1] op_sel_hi:[1,1,0] neg_lo:[0,0,1] neg_hi:[0,0,1]
	v_pk_fma_f32 v[4:5], v[6:7], v[0:1], v[4:5] op_sel:[0,0,1] op_sel_hi:[1,0,0]
	s_delay_alu instid0(VALU_DEP_1) | instskip(SKIP_4) | instid1(VALU_DEP_1)
	v_mov_b32_e32 v9, v5
	ds_load_2addr_b64 v[4:7], v118 offset0:27 offset1:28
	v_pk_add_f32 v[110:111], v[110:111], v[8:9] neg_lo:[0,1] neg_hi:[0,1]
	s_wait_dscnt 0x0
	v_pk_mul_f32 v[8:9], v[4:5], v[2:3] op_sel:[0,1]
	v_pk_fma_f32 v[10:11], v[4:5], v[0:1], v[8:9] op_sel:[0,0,1] op_sel_hi:[1,1,0] neg_lo:[0,0,1] neg_hi:[0,0,1]
	v_pk_fma_f32 v[4:5], v[4:5], v[0:1], v[8:9] op_sel:[0,0,1] op_sel_hi:[1,0,0]
	v_dual_mul_f32 v8, v7, v3 :: v_dual_mov_b32 v4, v7
	s_delay_alu instid0(VALU_DEP_2) | instskip(NEXT) | instid1(VALU_DEP_2)
	v_dual_mov_b32 v11, v5 :: v_dual_mov_b32 v5, v6
	v_pk_fma_f32 v[8:9], v[6:7], v[26:27], v[8:9] op_sel_hi:[1,1,0] neg_lo:[0,0,1] neg_hi:[0,0,1]
	v_mul_f32_e32 v6, v7, v0
	s_delay_alu instid0(VALU_DEP_3) | instskip(NEXT) | instid1(VALU_DEP_2)
	v_pk_add_f32 v[106:107], v[106:107], v[10:11] neg_lo:[0,1] neg_hi:[0,1]
	v_pk_fma_f32 v[4:5], v[4:5], v[26:27], v[6:7] op_sel_hi:[1,1,0]
	s_delay_alu instid0(VALU_DEP_1) | instskip(SKIP_4) | instid1(VALU_DEP_1)
	v_mov_b32_e32 v9, v5
	ds_load_2addr_b64 v[4:7], v118 offset0:29 offset1:30
	v_pk_add_f32 v[128:129], v[128:129], v[8:9] neg_lo:[0,1] neg_hi:[0,1]
	s_wait_dscnt 0x0
	v_pk_mul_f32 v[8:9], v[4:5], v[2:3] op_sel:[0,1]
	v_pk_fma_f32 v[10:11], v[4:5], v[0:1], v[8:9] op_sel:[0,0,1] op_sel_hi:[1,1,0] neg_lo:[0,0,1] neg_hi:[0,0,1]
	v_pk_fma_f32 v[4:5], v[4:5], v[0:1], v[8:9] op_sel:[0,0,1] op_sel_hi:[1,0,0]
	s_delay_alu instid0(VALU_DEP_1) | instskip(SKIP_1) | instid1(VALU_DEP_1)
	v_mov_b32_e32 v11, v5
	v_pk_mul_f32 v[4:5], v[6:7], v[2:3] op_sel:[0,1]
	v_pk_fma_f32 v[8:9], v[6:7], v[0:1], v[4:5] op_sel:[0,0,1] op_sel_hi:[1,1,0] neg_lo:[0,0,1] neg_hi:[0,0,1]
	v_pk_fma_f32 v[4:5], v[6:7], v[0:1], v[4:5] op_sel:[0,0,1] op_sel_hi:[1,0,0]
	s_delay_alu instid0(VALU_DEP_1)
	v_mov_b32_e32 v9, v5
	ds_load_2addr_b64 v[4:7], v118 offset0:31 offset1:32
	v_pk_add_f32 v[124:125], v[124:125], v[10:11] neg_lo:[0,1] neg_hi:[0,1]
	v_pk_add_f32 v[126:127], v[126:127], v[8:9] neg_lo:[0,1] neg_hi:[0,1]
	s_wait_dscnt 0x0
	v_pk_mul_f32 v[8:9], v[4:5], v[2:3] op_sel:[0,1]
	s_delay_alu instid0(VALU_DEP_1) | instskip(SKIP_1) | instid1(VALU_DEP_1)
	v_pk_fma_f32 v[10:11], v[4:5], v[0:1], v[8:9] op_sel:[0,0,1] op_sel_hi:[1,1,0] neg_lo:[0,0,1] neg_hi:[0,0,1]
	v_pk_fma_f32 v[4:5], v[4:5], v[0:1], v[8:9] op_sel:[0,0,1] op_sel_hi:[1,0,0]
	v_mov_b32_e32 v11, v5
	v_pk_mul_f32 v[4:5], v[6:7], v[2:3] op_sel:[0,1]
	s_delay_alu instid0(VALU_DEP_1) | instskip(SKIP_1) | instid1(VALU_DEP_1)
	v_pk_fma_f32 v[8:9], v[6:7], v[0:1], v[4:5] op_sel:[0,0,1] op_sel_hi:[1,1,0] neg_lo:[0,0,1] neg_hi:[0,0,1]
	v_pk_fma_f32 v[4:5], v[6:7], v[0:1], v[4:5] op_sel:[0,0,1] op_sel_hi:[1,0,0]
	v_mov_b32_e32 v9, v5
	ds_load_2addr_b64 v[4:7], v118 offset0:33 offset1:34
	v_pk_add_f32 v[122:123], v[122:123], v[10:11] neg_lo:[0,1] neg_hi:[0,1]
	v_pk_add_f32 v[146:147], v[146:147], v[8:9] neg_lo:[0,1] neg_hi:[0,1]
	s_wait_dscnt 0x0
	v_dual_mul_f32 v8, v5, v3 :: v_dual_mul_f32 v10, v5, v0
	s_delay_alu instid0(VALU_DEP_1) | instskip(NEXT) | instid1(VALU_DEP_2)
	v_pk_fma_f32 v[8:9], v[4:5], v[26:27], v[8:9] op_sel_hi:[1,1,0] neg_lo:[0,0,1] neg_hi:[0,0,1]
	v_pk_fma_f32 v[4:5], v[4:5], v[26:27], v[10:11] op_sel:[1,0,0] op_sel_hi:[0,1,0]
	s_delay_alu instid0(VALU_DEP_1) | instskip(SKIP_1) | instid1(VALU_DEP_2)
	v_mov_b32_e32 v9, v5
	v_pk_mul_f32 v[4:5], v[6:7], v[2:3] op_sel:[0,1]
	v_pk_add_f32 v[142:143], v[142:143], v[8:9] neg_lo:[0,1] neg_hi:[0,1]
	s_delay_alu instid0(VALU_DEP_2) | instskip(SKIP_1) | instid1(VALU_DEP_1)
	v_pk_fma_f32 v[8:9], v[6:7], v[0:1], v[4:5] op_sel:[0,0,1] op_sel_hi:[1,1,0] neg_lo:[0,0,1] neg_hi:[0,0,1]
	v_pk_fma_f32 v[4:5], v[6:7], v[0:1], v[4:5] op_sel:[0,0,1] op_sel_hi:[1,0,0]
	v_mov_b32_e32 v9, v5
	ds_load_2addr_b64 v[4:7], v118 offset0:35 offset1:36
	v_pk_add_f32 v[144:145], v[144:145], v[8:9] neg_lo:[0,1] neg_hi:[0,1]
	s_wait_dscnt 0x0
	v_pk_mul_f32 v[8:9], v[4:5], v[2:3] op_sel:[0,1]
	s_delay_alu instid0(VALU_DEP_1) | instskip(SKIP_1) | instid1(VALU_DEP_1)
	v_pk_fma_f32 v[10:11], v[4:5], v[0:1], v[8:9] op_sel:[0,0,1] op_sel_hi:[1,1,0] neg_lo:[0,0,1] neg_hi:[0,0,1]
	v_pk_fma_f32 v[4:5], v[4:5], v[0:1], v[8:9] op_sel:[0,0,1] op_sel_hi:[1,0,0]
	v_mov_b32_e32 v11, v5
	v_pk_mul_f32 v[4:5], v[6:7], v[2:3] op_sel:[0,1]
	s_delay_alu instid0(VALU_DEP_2) | instskip(NEXT) | instid1(VALU_DEP_2)
	v_pk_add_f32 v[140:141], v[140:141], v[10:11] neg_lo:[0,1] neg_hi:[0,1]
	v_pk_fma_f32 v[8:9], v[6:7], v[0:1], v[4:5] op_sel:[0,0,1] op_sel_hi:[1,1,0] neg_lo:[0,0,1] neg_hi:[0,0,1]
	v_pk_fma_f32 v[4:5], v[6:7], v[0:1], v[4:5] op_sel:[0,0,1] op_sel_hi:[1,0,0]
	s_delay_alu instid0(VALU_DEP_1) | instskip(SKIP_4) | instid1(VALU_DEP_1)
	v_mov_b32_e32 v9, v5
	ds_load_2addr_b64 v[4:7], v118 offset0:37 offset1:38
	v_pk_add_f32 v[162:163], v[162:163], v[8:9] neg_lo:[0,1] neg_hi:[0,1]
	s_wait_dscnt 0x0
	v_pk_mul_f32 v[8:9], v[4:5], v[2:3] op_sel:[0,1]
	v_pk_fma_f32 v[10:11], v[4:5], v[0:1], v[8:9] op_sel:[0,0,1] op_sel_hi:[1,1,0] neg_lo:[0,0,1] neg_hi:[0,0,1]
	v_pk_fma_f32 v[4:5], v[4:5], v[0:1], v[8:9] op_sel:[0,0,1] op_sel_hi:[1,0,0]
	v_dual_mul_f32 v8, v7, v3 :: v_dual_mov_b32 v4, v7
	s_delay_alu instid0(VALU_DEP_2) | instskip(NEXT) | instid1(VALU_DEP_2)
	v_dual_mov_b32 v11, v5 :: v_dual_mov_b32 v5, v6
	v_pk_fma_f32 v[8:9], v[6:7], v[26:27], v[8:9] op_sel_hi:[1,1,0] neg_lo:[0,0,1] neg_hi:[0,0,1]
	v_mul_f32_e32 v6, v7, v0
	s_delay_alu instid0(VALU_DEP_3) | instskip(NEXT) | instid1(VALU_DEP_2)
	v_pk_add_f32 v[158:159], v[158:159], v[10:11] neg_lo:[0,1] neg_hi:[0,1]
	v_pk_fma_f32 v[4:5], v[4:5], v[26:27], v[6:7] op_sel_hi:[1,1,0]
	s_delay_alu instid0(VALU_DEP_1) | instskip(SKIP_4) | instid1(VALU_DEP_1)
	v_mov_b32_e32 v9, v5
	ds_load_2addr_b64 v[4:7], v118 offset0:39 offset1:40
	v_pk_add_f32 v[160:161], v[160:161], v[8:9] neg_lo:[0,1] neg_hi:[0,1]
	s_wait_dscnt 0x0
	v_pk_mul_f32 v[8:9], v[4:5], v[2:3] op_sel:[0,1]
	v_pk_fma_f32 v[10:11], v[4:5], v[0:1], v[8:9] op_sel:[0,0,1] op_sel_hi:[1,1,0] neg_lo:[0,0,1] neg_hi:[0,0,1]
	v_pk_fma_f32 v[4:5], v[4:5], v[0:1], v[8:9] op_sel:[0,0,1] op_sel_hi:[1,0,0]
	s_delay_alu instid0(VALU_DEP_1) | instskip(SKIP_1) | instid1(VALU_DEP_1)
	v_mov_b32_e32 v11, v5
	v_pk_mul_f32 v[4:5], v[6:7], v[2:3] op_sel:[0,1]
	v_pk_fma_f32 v[8:9], v[6:7], v[0:1], v[4:5] op_sel:[0,0,1] op_sel_hi:[1,1,0] neg_lo:[0,0,1] neg_hi:[0,0,1]
	v_pk_fma_f32 v[4:5], v[6:7], v[0:1], v[4:5] op_sel:[0,0,1] op_sel_hi:[1,0,0]
	s_delay_alu instid0(VALU_DEP_1)
	v_mov_b32_e32 v9, v5
	ds_load_2addr_b64 v[4:7], v118 offset0:41 offset1:42
	v_pk_add_f32 v[156:157], v[156:157], v[10:11] neg_lo:[0,1] neg_hi:[0,1]
	v_pk_add_f32 v[182:183], v[182:183], v[8:9] neg_lo:[0,1] neg_hi:[0,1]
	s_wait_dscnt 0x0
	v_pk_mul_f32 v[8:9], v[4:5], v[2:3] op_sel:[0,1]
	s_delay_alu instid0(VALU_DEP_1) | instskip(SKIP_1) | instid1(VALU_DEP_1)
	v_pk_fma_f32 v[10:11], v[4:5], v[0:1], v[8:9] op_sel:[0,0,1] op_sel_hi:[1,1,0] neg_lo:[0,0,1] neg_hi:[0,0,1]
	v_pk_fma_f32 v[4:5], v[4:5], v[0:1], v[8:9] op_sel:[0,0,1] op_sel_hi:[1,0,0]
	v_mov_b32_e32 v11, v5
	v_pk_mul_f32 v[4:5], v[6:7], v[2:3] op_sel:[0,1]
	s_delay_alu instid0(VALU_DEP_1) | instskip(SKIP_1) | instid1(VALU_DEP_1)
	v_pk_fma_f32 v[8:9], v[6:7], v[0:1], v[4:5] op_sel:[0,0,1] op_sel_hi:[1,1,0] neg_lo:[0,0,1] neg_hi:[0,0,1]
	v_pk_fma_f32 v[4:5], v[6:7], v[0:1], v[4:5] op_sel:[0,0,1] op_sel_hi:[1,0,0]
	v_mov_b32_e32 v9, v5
	ds_load_2addr_b64 v[4:7], v118 offset0:43 offset1:44
	v_pk_add_f32 v[178:179], v[178:179], v[10:11] neg_lo:[0,1] neg_hi:[0,1]
	v_pk_add_f32 v[180:181], v[180:181], v[8:9] neg_lo:[0,1] neg_hi:[0,1]
	s_wait_dscnt 0x0
	v_dual_mul_f32 v8, v5, v3 :: v_dual_mul_f32 v10, v5, v0
	s_delay_alu instid0(VALU_DEP_1) | instskip(NEXT) | instid1(VALU_DEP_2)
	v_pk_fma_f32 v[8:9], v[4:5], v[26:27], v[8:9] op_sel_hi:[1,1,0] neg_lo:[0,0,1] neg_hi:[0,0,1]
	v_pk_fma_f32 v[4:5], v[4:5], v[26:27], v[10:11] op_sel:[1,0,0] op_sel_hi:[0,1,0]
	s_delay_alu instid0(VALU_DEP_1) | instskip(SKIP_1) | instid1(VALU_DEP_2)
	v_mov_b32_e32 v9, v5
	v_pk_mul_f32 v[4:5], v[6:7], v[2:3] op_sel:[0,1]
	v_pk_add_f32 v[176:177], v[176:177], v[8:9] neg_lo:[0,1] neg_hi:[0,1]
	s_delay_alu instid0(VALU_DEP_2) | instskip(SKIP_1) | instid1(VALU_DEP_1)
	v_pk_fma_f32 v[8:9], v[6:7], v[0:1], v[4:5] op_sel:[0,0,1] op_sel_hi:[1,1,0] neg_lo:[0,0,1] neg_hi:[0,0,1]
	v_pk_fma_f32 v[4:5], v[6:7], v[0:1], v[4:5] op_sel:[0,0,1] op_sel_hi:[1,0,0]
	v_mov_b32_e32 v9, v5
	ds_load_2addr_b64 v[4:7], v118 offset0:45 offset1:46
	v_pk_add_f32 v[204:205], v[204:205], v[8:9] neg_lo:[0,1] neg_hi:[0,1]
	s_wait_dscnt 0x0
	v_pk_mul_f32 v[8:9], v[4:5], v[2:3] op_sel:[0,1]
	s_delay_alu instid0(VALU_DEP_1) | instskip(SKIP_1) | instid1(VALU_DEP_1)
	v_pk_fma_f32 v[10:11], v[4:5], v[0:1], v[8:9] op_sel:[0,0,1] op_sel_hi:[1,1,0] neg_lo:[0,0,1] neg_hi:[0,0,1]
	v_pk_fma_f32 v[4:5], v[4:5], v[0:1], v[8:9] op_sel:[0,0,1] op_sel_hi:[1,0,0]
	v_mov_b32_e32 v11, v5
	v_pk_mul_f32 v[4:5], v[6:7], v[2:3] op_sel:[0,1]
	s_delay_alu instid0(VALU_DEP_2) | instskip(NEXT) | instid1(VALU_DEP_2)
	v_pk_add_f32 v[198:199], v[198:199], v[10:11] neg_lo:[0,1] neg_hi:[0,1]
	v_pk_fma_f32 v[8:9], v[6:7], v[0:1], v[4:5] op_sel:[0,0,1] op_sel_hi:[1,1,0] neg_lo:[0,0,1] neg_hi:[0,0,1]
	v_pk_fma_f32 v[4:5], v[6:7], v[0:1], v[4:5] op_sel:[0,0,1] op_sel_hi:[1,0,0]
	s_delay_alu instid0(VALU_DEP_1) | instskip(SKIP_4) | instid1(VALU_DEP_1)
	v_mov_b32_e32 v9, v5
	ds_load_2addr_b64 v[4:7], v118 offset0:47 offset1:48
	v_pk_add_f32 v[202:203], v[202:203], v[8:9] neg_lo:[0,1] neg_hi:[0,1]
	s_wait_dscnt 0x0
	v_pk_mul_f32 v[8:9], v[4:5], v[2:3] op_sel:[0,1]
	v_pk_fma_f32 v[10:11], v[4:5], v[0:1], v[8:9] op_sel:[0,0,1] op_sel_hi:[1,1,0] neg_lo:[0,0,1] neg_hi:[0,0,1]
	v_pk_fma_f32 v[4:5], v[4:5], v[0:1], v[8:9] op_sel:[0,0,1] op_sel_hi:[1,0,0]
	v_dual_mul_f32 v8, v7, v3 :: v_dual_mov_b32 v4, v7
	s_delay_alu instid0(VALU_DEP_2) | instskip(NEXT) | instid1(VALU_DEP_2)
	v_dual_mov_b32 v11, v5 :: v_dual_mov_b32 v5, v6
	v_pk_fma_f32 v[8:9], v[6:7], v[26:27], v[8:9] op_sel_hi:[1,1,0] neg_lo:[0,0,1] neg_hi:[0,0,1]
	v_mul_f32_e32 v6, v7, v0
	s_delay_alu instid0(VALU_DEP_3) | instskip(NEXT) | instid1(VALU_DEP_2)
	v_pk_add_f32 v[196:197], v[196:197], v[10:11] neg_lo:[0,1] neg_hi:[0,1]
	v_pk_fma_f32 v[4:5], v[4:5], v[26:27], v[6:7] op_sel_hi:[1,1,0]
	s_delay_alu instid0(VALU_DEP_1) | instskip(SKIP_4) | instid1(VALU_DEP_1)
	v_mov_b32_e32 v9, v5
	ds_load_2addr_b64 v[4:7], v118 offset0:49 offset1:50
	v_pk_add_f32 v[200:201], v[200:201], v[8:9] neg_lo:[0,1] neg_hi:[0,1]
	s_wait_dscnt 0x0
	v_pk_mul_f32 v[8:9], v[4:5], v[2:3] op_sel:[0,1]
	v_pk_fma_f32 v[10:11], v[4:5], v[0:1], v[8:9] op_sel:[0,0,1] op_sel_hi:[1,1,0] neg_lo:[0,0,1] neg_hi:[0,0,1]
	v_pk_fma_f32 v[4:5], v[4:5], v[0:1], v[8:9] op_sel:[0,0,1] op_sel_hi:[1,0,0]
	s_delay_alu instid0(VALU_DEP_1) | instskip(SKIP_1) | instid1(VALU_DEP_1)
	v_mov_b32_e32 v11, v5
	v_pk_mul_f32 v[4:5], v[6:7], v[2:3] op_sel:[0,1]
	v_pk_fma_f32 v[8:9], v[6:7], v[0:1], v[4:5] op_sel:[0,0,1] op_sel_hi:[1,1,0] neg_lo:[0,0,1] neg_hi:[0,0,1]
	v_pk_fma_f32 v[4:5], v[6:7], v[0:1], v[4:5] op_sel:[0,0,1] op_sel_hi:[1,0,0]
	s_delay_alu instid0(VALU_DEP_1)
	v_mov_b32_e32 v9, v5
	ds_load_b64 v[4:5], v118 offset:408
	v_pk_add_f32 v[194:195], v[194:195], v[10:11] neg_lo:[0,1] neg_hi:[0,1]
	v_pk_add_f32 v[206:207], v[206:207], v[8:9] neg_lo:[0,1] neg_hi:[0,1]
	s_wait_dscnt 0x0
	v_pk_mul_f32 v[2:3], v[4:5], v[2:3] op_sel:[0,1]
	s_delay_alu instid0(VALU_DEP_1) | instskip(SKIP_1) | instid1(VALU_DEP_1)
	v_pk_fma_f32 v[6:7], v[4:5], v[0:1], v[2:3] op_sel:[0,0,1] op_sel_hi:[1,1,0] neg_lo:[0,0,1] neg_hi:[0,0,1]
	v_pk_fma_f32 v[0:1], v[4:5], v[0:1], v[2:3] op_sel:[0,0,1] op_sel_hi:[1,0,0]
	v_mov_b32_e32 v7, v1
	s_delay_alu instid0(VALU_DEP_1)
	v_pk_add_f32 v[208:209], v[208:209], v[6:7] neg_lo:[0,1] neg_hi:[0,1]
.LBB103_46:
	s_wait_xcnt 0x0
	s_or_b32 exec_lo, exec_lo, s1
	s_delay_alu instid0(SALU_CYCLE_1)
	s_mov_b32 s2, exec_lo
	s_wait_storecnt 0x0
	s_barrier_signal -1
	s_barrier_wait -1
	v_cmpx_eq_u32_e32 5, v116
	s_cbranch_execz .LBB103_53
; %bb.47:
	v_dual_mov_b32 v0, v24 :: v_dual_mov_b32 v1, v25
	v_dual_mov_b32 v2, v20 :: v_dual_mov_b32 v3, v21
	;; [unrolled: 1-line block ×10, first 2 shown]
	ds_store_b64 v117, v[22:23]
	v_dual_mov_b32 v30, v78 :: v_dual_mov_b32 v31, v79
	v_dual_mov_b32 v32, v74 :: v_dual_mov_b32 v33, v75
	ds_store_2addr_b64 v118, v[0:1], v[2:3] offset0:6 offset1:7
	ds_store_2addr_b64 v118, v[4:5], v[6:7] offset0:8 offset1:9
	;; [unrolled: 1-line block ×6, first 2 shown]
	v_dual_mov_b32 v0, v76 :: v_dual_mov_b32 v1, v77
	v_dual_mov_b32 v2, v72 :: v_dual_mov_b32 v3, v73
	;; [unrolled: 1-line block ×12, first 2 shown]
	ds_store_2addr_b64 v118, v[0:1], v[2:3] offset0:18 offset1:19
	ds_store_2addr_b64 v118, v[4:5], v[6:7] offset0:20 offset1:21
	;; [unrolled: 1-line block ×6, first 2 shown]
	v_dual_mov_b32 v0, v126 :: v_dual_mov_b32 v1, v127
	v_dual_mov_b32 v2, v122 :: v_dual_mov_b32 v3, v123
	;; [unrolled: 1-line block ×12, first 2 shown]
	ds_store_2addr_b64 v118, v[0:1], v[2:3] offset0:30 offset1:31
	ds_store_2addr_b64 v118, v[4:5], v[6:7] offset0:32 offset1:33
	;; [unrolled: 1-line block ×6, first 2 shown]
	v_dual_mov_b32 v0, v180 :: v_dual_mov_b32 v1, v181
	v_dual_mov_b32 v2, v176 :: v_dual_mov_b32 v3, v177
	;; [unrolled: 1-line block ×9, first 2 shown]
	ds_store_2addr_b64 v118, v[0:1], v[2:3] offset0:42 offset1:43
	ds_store_2addr_b64 v118, v[4:5], v[6:7] offset0:44 offset1:45
	;; [unrolled: 1-line block ×5, first 2 shown]
	ds_load_b64 v[0:1], v117
	s_wait_dscnt 0x0
	v_cmp_neq_f32_e32 vcc_lo, 0, v0
	v_cmp_neq_f32_e64 s1, 0, v1
	s_or_b32 s1, vcc_lo, s1
	s_delay_alu instid0(SALU_CYCLE_1)
	s_and_b32 exec_lo, exec_lo, s1
	s_cbranch_execz .LBB103_53
; %bb.48:
	v_cmp_ngt_f32_e64 s1, |v0|, |v1|
                                        ; implicit-def: $vgpr2_vgpr3
	s_and_saveexec_b32 s4, s1
	s_delay_alu instid0(SALU_CYCLE_1)
	s_xor_b32 s1, exec_lo, s4
	s_cbranch_execz .LBB103_50
; %bb.49:
	v_div_scale_f32 v2, null, v1, v1, v0
	v_div_scale_f32 v5, vcc_lo, v0, v1, v0
	s_delay_alu instid0(VALU_DEP_2) | instskip(SKIP_1) | instid1(TRANS32_DEP_1)
	v_rcp_f32_e32 v3, v2
	v_nop
	v_fma_f32 v4, -v2, v3, 1.0
	s_delay_alu instid0(VALU_DEP_1) | instskip(NEXT) | instid1(VALU_DEP_1)
	v_fmac_f32_e32 v3, v4, v3
	v_mul_f32_e32 v4, v5, v3
	s_delay_alu instid0(VALU_DEP_1) | instskip(NEXT) | instid1(VALU_DEP_1)
	v_fma_f32 v6, -v2, v4, v5
	v_fmac_f32_e32 v4, v6, v3
	s_delay_alu instid0(VALU_DEP_1) | instskip(NEXT) | instid1(VALU_DEP_1)
	v_fma_f32 v2, -v2, v4, v5
	v_div_fmas_f32 v2, v2, v3, v4
	s_delay_alu instid0(VALU_DEP_1) | instskip(NEXT) | instid1(VALU_DEP_1)
	v_div_fixup_f32 v2, v2, v1, v0
	v_fmac_f32_e32 v1, v0, v2
	s_delay_alu instid0(VALU_DEP_1) | instskip(SKIP_1) | instid1(VALU_DEP_2)
	v_div_scale_f32 v0, null, v1, v1, 1.0
	v_div_scale_f32 v5, vcc_lo, 1.0, v1, 1.0
	v_rcp_f32_e32 v3, v0
	v_nop
	s_delay_alu instid0(TRANS32_DEP_1) | instskip(NEXT) | instid1(VALU_DEP_1)
	v_fma_f32 v4, -v0, v3, 1.0
	v_fmac_f32_e32 v3, v4, v3
	s_delay_alu instid0(VALU_DEP_1) | instskip(NEXT) | instid1(VALU_DEP_1)
	v_mul_f32_e32 v4, v5, v3
	v_fma_f32 v6, -v0, v4, v5
	s_delay_alu instid0(VALU_DEP_1) | instskip(NEXT) | instid1(VALU_DEP_1)
	v_fmac_f32_e32 v4, v6, v3
	v_fma_f32 v0, -v0, v4, v5
	s_delay_alu instid0(VALU_DEP_1) | instskip(NEXT) | instid1(VALU_DEP_1)
	v_div_fmas_f32 v0, v0, v3, v4
	v_div_fixup_f32 v0, v0, v1, 1.0
	s_delay_alu instid0(VALU_DEP_1)
	v_mul_f32_e32 v2, v2, v0
	v_xor_b32_e32 v3, 0x80000000, v0
                                        ; implicit-def: $vgpr0_vgpr1
.LBB103_50:
	s_and_not1_saveexec_b32 s1, s1
	s_cbranch_execz .LBB103_52
; %bb.51:
	v_div_scale_f32 v2, null, v0, v0, v1
	v_div_scale_f32 v5, vcc_lo, v1, v0, v1
	s_delay_alu instid0(VALU_DEP_2) | instskip(SKIP_1) | instid1(TRANS32_DEP_1)
	v_rcp_f32_e32 v3, v2
	v_nop
	v_fma_f32 v4, -v2, v3, 1.0
	s_delay_alu instid0(VALU_DEP_1) | instskip(NEXT) | instid1(VALU_DEP_1)
	v_fmac_f32_e32 v3, v4, v3
	v_mul_f32_e32 v4, v5, v3
	s_delay_alu instid0(VALU_DEP_1) | instskip(NEXT) | instid1(VALU_DEP_1)
	v_fma_f32 v6, -v2, v4, v5
	v_fmac_f32_e32 v4, v6, v3
	s_delay_alu instid0(VALU_DEP_1) | instskip(NEXT) | instid1(VALU_DEP_1)
	v_fma_f32 v2, -v2, v4, v5
	v_div_fmas_f32 v2, v2, v3, v4
	s_delay_alu instid0(VALU_DEP_1) | instskip(NEXT) | instid1(VALU_DEP_1)
	v_div_fixup_f32 v3, v2, v0, v1
	v_fmac_f32_e32 v0, v1, v3
	s_delay_alu instid0(VALU_DEP_1) | instskip(NEXT) | instid1(VALU_DEP_1)
	v_div_scale_f32 v1, null, v0, v0, 1.0
	v_rcp_f32_e32 v2, v1
	v_nop
	s_delay_alu instid0(TRANS32_DEP_1) | instskip(NEXT) | instid1(VALU_DEP_1)
	v_fma_f32 v4, -v1, v2, 1.0
	v_fmac_f32_e32 v2, v4, v2
	v_div_scale_f32 v4, vcc_lo, 1.0, v0, 1.0
	s_delay_alu instid0(VALU_DEP_1) | instskip(NEXT) | instid1(VALU_DEP_1)
	v_mul_f32_e32 v5, v4, v2
	v_fma_f32 v6, -v1, v5, v4
	s_delay_alu instid0(VALU_DEP_1) | instskip(NEXT) | instid1(VALU_DEP_1)
	v_fmac_f32_e32 v5, v6, v2
	v_fma_f32 v1, -v1, v5, v4
	s_delay_alu instid0(VALU_DEP_1) | instskip(NEXT) | instid1(VALU_DEP_1)
	v_div_fmas_f32 v1, v1, v2, v5
	v_div_fixup_f32 v2, v1, v0, 1.0
	s_delay_alu instid0(VALU_DEP_1)
	v_mul_f32_e64 v3, v3, -v2
.LBB103_52:
	s_or_b32 exec_lo, exec_lo, s1
	ds_store_b64 v117, v[2:3]
.LBB103_53:
	s_or_b32 exec_lo, exec_lo, s2
	s_wait_dscnt 0x0
	s_barrier_signal -1
	s_barrier_wait -1
	ds_load_b64 v[0:1], v117
	s_mov_b32 s1, exec_lo
	s_wait_dscnt 0x0
	scratch_store_b64 off, v[0:1], off offset:128 ; 8-byte Folded Spill
	s_wait_xcnt 0x0
	v_cmpx_lt_u32_e32 5, v116
	s_cbranch_execz .LBB103_55
; %bb.54:
	scratch_load_b64 v[4:5], off, off offset:128 ; 8-byte Folded Reload
	s_wait_loadcnt 0x0
	v_pk_mul_f32 v[2:3], v[4:5], v[22:23] op_sel:[1,1] op_sel_hi:[0,1]
	s_delay_alu instid0(VALU_DEP_1)
	v_pk_fma_f32 v[0:1], v[4:5], v[22:23], v[2:3] op_sel_hi:[1,0,1] neg_lo:[0,0,1] neg_hi:[0,0,1]
	v_pk_fma_f32 v[2:3], v[4:5], v[22:23], v[2:3] op_sel_hi:[1,0,1]
	ds_load_2addr_b64 v[4:7], v118 offset0:6 offset1:7
	v_dual_mov_b32 v22, v0 :: v_dual_mov_b32 v23, v3
	s_wait_dscnt 0x0
	v_pk_mul_f32 v[8:9], v[4:5], v[2:3] op_sel:[0,1]
	s_delay_alu instid0(VALU_DEP_1) | instskip(SKIP_1) | instid1(VALU_DEP_1)
	v_pk_fma_f32 v[10:11], v[4:5], v[0:1], v[8:9] op_sel:[0,0,1] op_sel_hi:[1,1,0] neg_lo:[0,0,1] neg_hi:[0,0,1]
	v_pk_fma_f32 v[4:5], v[4:5], v[0:1], v[8:9] op_sel:[0,0,1] op_sel_hi:[1,0,0]
	v_mov_b32_e32 v11, v5
	v_pk_mul_f32 v[4:5], v[6:7], v[2:3] op_sel:[0,1]
	s_delay_alu instid0(VALU_DEP_1) | instskip(SKIP_1) | instid1(VALU_DEP_1)
	v_pk_fma_f32 v[8:9], v[6:7], v[0:1], v[4:5] op_sel:[0,0,1] op_sel_hi:[1,1,0] neg_lo:[0,0,1] neg_hi:[0,0,1]
	v_pk_fma_f32 v[4:5], v[6:7], v[0:1], v[4:5] op_sel:[0,0,1] op_sel_hi:[1,0,0]
	v_mov_b32_e32 v9, v5
	ds_load_2addr_b64 v[4:7], v118 offset0:8 offset1:9
	v_pk_add_f32 v[24:25], v[24:25], v[10:11] neg_lo:[0,1] neg_hi:[0,1]
	v_pk_add_f32 v[20:21], v[20:21], v[8:9] neg_lo:[0,1] neg_hi:[0,1]
	s_wait_dscnt 0x0
	v_pk_mul_f32 v[8:9], v[4:5], v[2:3] op_sel:[0,1]
	s_delay_alu instid0(VALU_DEP_1) | instskip(SKIP_2) | instid1(VALU_DEP_2)
	v_pk_fma_f32 v[10:11], v[4:5], v[0:1], v[8:9] op_sel:[0,0,1] op_sel_hi:[1,1,0] neg_lo:[0,0,1] neg_hi:[0,0,1]
	v_pk_fma_f32 v[4:5], v[4:5], v[0:1], v[8:9] op_sel:[0,0,1] op_sel_hi:[1,0,0]
	v_dual_mul_f32 v8, v7, v3 :: v_dual_mov_b32 v4, v7
	v_dual_mov_b32 v11, v5 :: v_dual_mov_b32 v5, v6
	s_delay_alu instid0(VALU_DEP_2) | instskip(SKIP_1) | instid1(VALU_DEP_3)
	v_pk_fma_f32 v[8:9], v[6:7], v[22:23], v[8:9] op_sel_hi:[1,1,0] neg_lo:[0,0,1] neg_hi:[0,0,1]
	v_mul_f32_e32 v6, v7, v0
	v_pk_add_f32 v[40:41], v[40:41], v[10:11] neg_lo:[0,1] neg_hi:[0,1]
	s_delay_alu instid0(VALU_DEP_2) | instskip(NEXT) | instid1(VALU_DEP_1)
	v_pk_fma_f32 v[4:5], v[4:5], v[22:23], v[6:7] op_sel_hi:[1,1,0]
	v_mov_b32_e32 v9, v5
	ds_load_2addr_b64 v[4:7], v118 offset0:10 offset1:11
	v_pk_add_f32 v[36:37], v[36:37], v[8:9] neg_lo:[0,1] neg_hi:[0,1]
	s_wait_dscnt 0x0
	v_pk_mul_f32 v[8:9], v[4:5], v[2:3] op_sel:[0,1]
	s_delay_alu instid0(VALU_DEP_1) | instskip(SKIP_1) | instid1(VALU_DEP_1)
	v_pk_fma_f32 v[10:11], v[4:5], v[0:1], v[8:9] op_sel:[0,0,1] op_sel_hi:[1,1,0] neg_lo:[0,0,1] neg_hi:[0,0,1]
	v_pk_fma_f32 v[4:5], v[4:5], v[0:1], v[8:9] op_sel:[0,0,1] op_sel_hi:[1,0,0]
	v_mov_b32_e32 v11, v5
	v_pk_mul_f32 v[4:5], v[6:7], v[2:3] op_sel:[0,1]
	s_delay_alu instid0(VALU_DEP_1) | instskip(SKIP_1) | instid1(VALU_DEP_1)
	v_pk_fma_f32 v[8:9], v[6:7], v[0:1], v[4:5] op_sel:[0,0,1] op_sel_hi:[1,1,0] neg_lo:[0,0,1] neg_hi:[0,0,1]
	v_pk_fma_f32 v[4:5], v[6:7], v[0:1], v[4:5] op_sel:[0,0,1] op_sel_hi:[1,0,0]
	v_mov_b32_e32 v9, v5
	ds_load_2addr_b64 v[4:7], v118 offset0:12 offset1:13
	v_pk_add_f32 v[38:39], v[38:39], v[10:11] neg_lo:[0,1] neg_hi:[0,1]
	v_pk_add_f32 v[34:35], v[34:35], v[8:9] neg_lo:[0,1] neg_hi:[0,1]
	s_wait_dscnt 0x0
	v_pk_mul_f32 v[8:9], v[4:5], v[2:3] op_sel:[0,1]
	s_delay_alu instid0(VALU_DEP_1) | instskip(SKIP_1) | instid1(VALU_DEP_1)
	v_pk_fma_f32 v[10:11], v[4:5], v[0:1], v[8:9] op_sel:[0,0,1] op_sel_hi:[1,1,0] neg_lo:[0,0,1] neg_hi:[0,0,1]
	v_pk_fma_f32 v[4:5], v[4:5], v[0:1], v[8:9] op_sel:[0,0,1] op_sel_hi:[1,0,0]
	v_mov_b32_e32 v11, v5
	v_pk_mul_f32 v[4:5], v[6:7], v[2:3] op_sel:[0,1]
	s_delay_alu instid0(VALU_DEP_1) | instskip(SKIP_1) | instid1(VALU_DEP_1)
	v_pk_fma_f32 v[8:9], v[6:7], v[0:1], v[4:5] op_sel:[0,0,1] op_sel_hi:[1,1,0] neg_lo:[0,0,1] neg_hi:[0,0,1]
	v_pk_fma_f32 v[4:5], v[6:7], v[0:1], v[4:5] op_sel:[0,0,1] op_sel_hi:[1,0,0]
	v_mov_b32_e32 v9, v5
	ds_load_2addr_b64 v[4:7], v118 offset0:14 offset1:15
	v_pk_add_f32 v[62:63], v[62:63], v[10:11] neg_lo:[0,1] neg_hi:[0,1]
	v_pk_add_f32 v[58:59], v[58:59], v[8:9] neg_lo:[0,1] neg_hi:[0,1]
	s_wait_dscnt 0x0
	v_dual_mul_f32 v8, v5, v3 :: v_dual_mul_f32 v10, v5, v0
	s_delay_alu instid0(VALU_DEP_1) | instskip(NEXT) | instid1(VALU_DEP_2)
	v_pk_fma_f32 v[8:9], v[4:5], v[22:23], v[8:9] op_sel_hi:[1,1,0] neg_lo:[0,0,1] neg_hi:[0,0,1]
	v_pk_fma_f32 v[4:5], v[4:5], v[22:23], v[10:11] op_sel:[1,0,0] op_sel_hi:[0,1,0]
	s_delay_alu instid0(VALU_DEP_1) | instskip(SKIP_1) | instid1(VALU_DEP_2)
	v_mov_b32_e32 v9, v5
	v_pk_mul_f32 v[4:5], v[6:7], v[2:3] op_sel:[0,1]
	v_pk_add_f32 v[60:61], v[60:61], v[8:9] neg_lo:[0,1] neg_hi:[0,1]
	s_delay_alu instid0(VALU_DEP_2) | instskip(SKIP_1) | instid1(VALU_DEP_1)
	v_pk_fma_f32 v[8:9], v[6:7], v[0:1], v[4:5] op_sel:[0,0,1] op_sel_hi:[1,1,0] neg_lo:[0,0,1] neg_hi:[0,0,1]
	v_pk_fma_f32 v[4:5], v[6:7], v[0:1], v[4:5] op_sel:[0,0,1] op_sel_hi:[1,0,0]
	v_mov_b32_e32 v9, v5
	ds_load_2addr_b64 v[4:7], v118 offset0:16 offset1:17
	v_pk_add_f32 v[56:57], v[56:57], v[8:9] neg_lo:[0,1] neg_hi:[0,1]
	s_wait_dscnt 0x0
	v_pk_mul_f32 v[8:9], v[4:5], v[2:3] op_sel:[0,1]
	s_delay_alu instid0(VALU_DEP_1) | instskip(SKIP_1) | instid1(VALU_DEP_1)
	v_pk_fma_f32 v[10:11], v[4:5], v[0:1], v[8:9] op_sel:[0,0,1] op_sel_hi:[1,1,0] neg_lo:[0,0,1] neg_hi:[0,0,1]
	v_pk_fma_f32 v[4:5], v[4:5], v[0:1], v[8:9] op_sel:[0,0,1] op_sel_hi:[1,0,0]
	v_mov_b32_e32 v11, v5
	v_pk_mul_f32 v[4:5], v[6:7], v[2:3] op_sel:[0,1]
	s_delay_alu instid0(VALU_DEP_2) | instskip(NEXT) | instid1(VALU_DEP_2)
	v_pk_add_f32 v[78:79], v[78:79], v[10:11] neg_lo:[0,1] neg_hi:[0,1]
	v_pk_fma_f32 v[8:9], v[6:7], v[0:1], v[4:5] op_sel:[0,0,1] op_sel_hi:[1,1,0] neg_lo:[0,0,1] neg_hi:[0,0,1]
	v_pk_fma_f32 v[4:5], v[6:7], v[0:1], v[4:5] op_sel:[0,0,1] op_sel_hi:[1,0,0]
	s_delay_alu instid0(VALU_DEP_1) | instskip(SKIP_4) | instid1(VALU_DEP_1)
	v_mov_b32_e32 v9, v5
	ds_load_2addr_b64 v[4:7], v118 offset0:18 offset1:19
	v_pk_add_f32 v[74:75], v[74:75], v[8:9] neg_lo:[0,1] neg_hi:[0,1]
	s_wait_dscnt 0x0
	v_pk_mul_f32 v[8:9], v[4:5], v[2:3] op_sel:[0,1]
	v_pk_fma_f32 v[10:11], v[4:5], v[0:1], v[8:9] op_sel:[0,0,1] op_sel_hi:[1,1,0] neg_lo:[0,0,1] neg_hi:[0,0,1]
	v_pk_fma_f32 v[4:5], v[4:5], v[0:1], v[8:9] op_sel:[0,0,1] op_sel_hi:[1,0,0]
	v_dual_mul_f32 v8, v7, v3 :: v_dual_mov_b32 v4, v7
	s_delay_alu instid0(VALU_DEP_2) | instskip(NEXT) | instid1(VALU_DEP_2)
	v_dual_mov_b32 v11, v5 :: v_dual_mov_b32 v5, v6
	v_pk_fma_f32 v[8:9], v[6:7], v[22:23], v[8:9] op_sel_hi:[1,1,0] neg_lo:[0,0,1] neg_hi:[0,0,1]
	v_mul_f32_e32 v6, v7, v0
	s_delay_alu instid0(VALU_DEP_3) | instskip(NEXT) | instid1(VALU_DEP_2)
	v_pk_add_f32 v[76:77], v[76:77], v[10:11] neg_lo:[0,1] neg_hi:[0,1]
	v_pk_fma_f32 v[4:5], v[4:5], v[22:23], v[6:7] op_sel_hi:[1,1,0]
	s_delay_alu instid0(VALU_DEP_1) | instskip(SKIP_4) | instid1(VALU_DEP_1)
	v_mov_b32_e32 v9, v5
	ds_load_2addr_b64 v[4:7], v118 offset0:20 offset1:21
	v_pk_add_f32 v[72:73], v[72:73], v[8:9] neg_lo:[0,1] neg_hi:[0,1]
	s_wait_dscnt 0x0
	v_pk_mul_f32 v[8:9], v[4:5], v[2:3] op_sel:[0,1]
	v_pk_fma_f32 v[10:11], v[4:5], v[0:1], v[8:9] op_sel:[0,0,1] op_sel_hi:[1,1,0] neg_lo:[0,0,1] neg_hi:[0,0,1]
	v_pk_fma_f32 v[4:5], v[4:5], v[0:1], v[8:9] op_sel:[0,0,1] op_sel_hi:[1,0,0]
	s_delay_alu instid0(VALU_DEP_1) | instskip(SKIP_1) | instid1(VALU_DEP_1)
	v_mov_b32_e32 v11, v5
	v_pk_mul_f32 v[4:5], v[6:7], v[2:3] op_sel:[0,1]
	v_pk_fma_f32 v[8:9], v[6:7], v[0:1], v[4:5] op_sel:[0,0,1] op_sel_hi:[1,1,0] neg_lo:[0,0,1] neg_hi:[0,0,1]
	v_pk_fma_f32 v[4:5], v[6:7], v[0:1], v[4:5] op_sel:[0,0,1] op_sel_hi:[1,0,0]
	s_delay_alu instid0(VALU_DEP_1)
	v_mov_b32_e32 v9, v5
	ds_load_2addr_b64 v[4:7], v118 offset0:22 offset1:23
	v_pk_add_f32 v[94:95], v[94:95], v[10:11] neg_lo:[0,1] neg_hi:[0,1]
	v_pk_add_f32 v[90:91], v[90:91], v[8:9] neg_lo:[0,1] neg_hi:[0,1]
	s_wait_dscnt 0x0
	v_pk_mul_f32 v[8:9], v[4:5], v[2:3] op_sel:[0,1]
	s_delay_alu instid0(VALU_DEP_1) | instskip(SKIP_1) | instid1(VALU_DEP_1)
	v_pk_fma_f32 v[10:11], v[4:5], v[0:1], v[8:9] op_sel:[0,0,1] op_sel_hi:[1,1,0] neg_lo:[0,0,1] neg_hi:[0,0,1]
	v_pk_fma_f32 v[4:5], v[4:5], v[0:1], v[8:9] op_sel:[0,0,1] op_sel_hi:[1,0,0]
	v_mov_b32_e32 v11, v5
	v_pk_mul_f32 v[4:5], v[6:7], v[2:3] op_sel:[0,1]
	s_delay_alu instid0(VALU_DEP_1) | instskip(SKIP_1) | instid1(VALU_DEP_1)
	v_pk_fma_f32 v[8:9], v[6:7], v[0:1], v[4:5] op_sel:[0,0,1] op_sel_hi:[1,1,0] neg_lo:[0,0,1] neg_hi:[0,0,1]
	v_pk_fma_f32 v[4:5], v[6:7], v[0:1], v[4:5] op_sel:[0,0,1] op_sel_hi:[1,0,0]
	v_mov_b32_e32 v9, v5
	ds_load_2addr_b64 v[4:7], v118 offset0:24 offset1:25
	v_pk_add_f32 v[92:93], v[92:93], v[10:11] neg_lo:[0,1] neg_hi:[0,1]
	v_pk_add_f32 v[88:89], v[88:89], v[8:9] neg_lo:[0,1] neg_hi:[0,1]
	s_wait_dscnt 0x0
	v_dual_mul_f32 v8, v5, v3 :: v_dual_mul_f32 v10, v5, v0
	s_delay_alu instid0(VALU_DEP_1) | instskip(NEXT) | instid1(VALU_DEP_2)
	v_pk_fma_f32 v[8:9], v[4:5], v[22:23], v[8:9] op_sel_hi:[1,1,0] neg_lo:[0,0,1] neg_hi:[0,0,1]
	v_pk_fma_f32 v[4:5], v[4:5], v[22:23], v[10:11] op_sel:[1,0,0] op_sel_hi:[0,1,0]
	s_delay_alu instid0(VALU_DEP_1) | instskip(SKIP_1) | instid1(VALU_DEP_2)
	v_mov_b32_e32 v9, v5
	v_pk_mul_f32 v[4:5], v[6:7], v[2:3] op_sel:[0,1]
	v_pk_add_f32 v[112:113], v[112:113], v[8:9] neg_lo:[0,1] neg_hi:[0,1]
	s_delay_alu instid0(VALU_DEP_2) | instskip(SKIP_1) | instid1(VALU_DEP_1)
	v_pk_fma_f32 v[8:9], v[6:7], v[0:1], v[4:5] op_sel:[0,0,1] op_sel_hi:[1,1,0] neg_lo:[0,0,1] neg_hi:[0,0,1]
	v_pk_fma_f32 v[4:5], v[6:7], v[0:1], v[4:5] op_sel:[0,0,1] op_sel_hi:[1,0,0]
	v_mov_b32_e32 v9, v5
	ds_load_2addr_b64 v[4:7], v118 offset0:26 offset1:27
	v_pk_add_f32 v[108:109], v[108:109], v[8:9] neg_lo:[0,1] neg_hi:[0,1]
	s_wait_dscnt 0x0
	v_pk_mul_f32 v[8:9], v[4:5], v[2:3] op_sel:[0,1]
	s_delay_alu instid0(VALU_DEP_1) | instskip(SKIP_1) | instid1(VALU_DEP_1)
	v_pk_fma_f32 v[10:11], v[4:5], v[0:1], v[8:9] op_sel:[0,0,1] op_sel_hi:[1,1,0] neg_lo:[0,0,1] neg_hi:[0,0,1]
	v_pk_fma_f32 v[4:5], v[4:5], v[0:1], v[8:9] op_sel:[0,0,1] op_sel_hi:[1,0,0]
	v_mov_b32_e32 v11, v5
	v_pk_mul_f32 v[4:5], v[6:7], v[2:3] op_sel:[0,1]
	s_delay_alu instid0(VALU_DEP_2) | instskip(NEXT) | instid1(VALU_DEP_2)
	v_pk_add_f32 v[110:111], v[110:111], v[10:11] neg_lo:[0,1] neg_hi:[0,1]
	v_pk_fma_f32 v[8:9], v[6:7], v[0:1], v[4:5] op_sel:[0,0,1] op_sel_hi:[1,1,0] neg_lo:[0,0,1] neg_hi:[0,0,1]
	v_pk_fma_f32 v[4:5], v[6:7], v[0:1], v[4:5] op_sel:[0,0,1] op_sel_hi:[1,0,0]
	s_delay_alu instid0(VALU_DEP_1) | instskip(SKIP_4) | instid1(VALU_DEP_1)
	v_mov_b32_e32 v9, v5
	ds_load_2addr_b64 v[4:7], v118 offset0:28 offset1:29
	v_pk_add_f32 v[106:107], v[106:107], v[8:9] neg_lo:[0,1] neg_hi:[0,1]
	s_wait_dscnt 0x0
	v_pk_mul_f32 v[8:9], v[4:5], v[2:3] op_sel:[0,1]
	v_pk_fma_f32 v[10:11], v[4:5], v[0:1], v[8:9] op_sel:[0,0,1] op_sel_hi:[1,1,0] neg_lo:[0,0,1] neg_hi:[0,0,1]
	v_pk_fma_f32 v[4:5], v[4:5], v[0:1], v[8:9] op_sel:[0,0,1] op_sel_hi:[1,0,0]
	v_dual_mul_f32 v8, v7, v3 :: v_dual_mov_b32 v4, v7
	s_delay_alu instid0(VALU_DEP_2) | instskip(NEXT) | instid1(VALU_DEP_2)
	v_dual_mov_b32 v11, v5 :: v_dual_mov_b32 v5, v6
	v_pk_fma_f32 v[8:9], v[6:7], v[22:23], v[8:9] op_sel_hi:[1,1,0] neg_lo:[0,0,1] neg_hi:[0,0,1]
	v_mul_f32_e32 v6, v7, v0
	s_delay_alu instid0(VALU_DEP_3) | instskip(NEXT) | instid1(VALU_DEP_2)
	v_pk_add_f32 v[128:129], v[128:129], v[10:11] neg_lo:[0,1] neg_hi:[0,1]
	v_pk_fma_f32 v[4:5], v[4:5], v[22:23], v[6:7] op_sel_hi:[1,1,0]
	s_delay_alu instid0(VALU_DEP_1) | instskip(SKIP_4) | instid1(VALU_DEP_1)
	v_mov_b32_e32 v9, v5
	ds_load_2addr_b64 v[4:7], v118 offset0:30 offset1:31
	v_pk_add_f32 v[124:125], v[124:125], v[8:9] neg_lo:[0,1] neg_hi:[0,1]
	s_wait_dscnt 0x0
	v_pk_mul_f32 v[8:9], v[4:5], v[2:3] op_sel:[0,1]
	v_pk_fma_f32 v[10:11], v[4:5], v[0:1], v[8:9] op_sel:[0,0,1] op_sel_hi:[1,1,0] neg_lo:[0,0,1] neg_hi:[0,0,1]
	v_pk_fma_f32 v[4:5], v[4:5], v[0:1], v[8:9] op_sel:[0,0,1] op_sel_hi:[1,0,0]
	s_delay_alu instid0(VALU_DEP_1) | instskip(SKIP_1) | instid1(VALU_DEP_1)
	v_mov_b32_e32 v11, v5
	v_pk_mul_f32 v[4:5], v[6:7], v[2:3] op_sel:[0,1]
	v_pk_fma_f32 v[8:9], v[6:7], v[0:1], v[4:5] op_sel:[0,0,1] op_sel_hi:[1,1,0] neg_lo:[0,0,1] neg_hi:[0,0,1]
	v_pk_fma_f32 v[4:5], v[6:7], v[0:1], v[4:5] op_sel:[0,0,1] op_sel_hi:[1,0,0]
	s_delay_alu instid0(VALU_DEP_1)
	v_mov_b32_e32 v9, v5
	ds_load_2addr_b64 v[4:7], v118 offset0:32 offset1:33
	v_pk_add_f32 v[126:127], v[126:127], v[10:11] neg_lo:[0,1] neg_hi:[0,1]
	v_pk_add_f32 v[122:123], v[122:123], v[8:9] neg_lo:[0,1] neg_hi:[0,1]
	s_wait_dscnt 0x0
	v_pk_mul_f32 v[8:9], v[4:5], v[2:3] op_sel:[0,1]
	s_delay_alu instid0(VALU_DEP_1) | instskip(SKIP_1) | instid1(VALU_DEP_1)
	v_pk_fma_f32 v[10:11], v[4:5], v[0:1], v[8:9] op_sel:[0,0,1] op_sel_hi:[1,1,0] neg_lo:[0,0,1] neg_hi:[0,0,1]
	v_pk_fma_f32 v[4:5], v[4:5], v[0:1], v[8:9] op_sel:[0,0,1] op_sel_hi:[1,0,0]
	v_mov_b32_e32 v11, v5
	v_pk_mul_f32 v[4:5], v[6:7], v[2:3] op_sel:[0,1]
	s_delay_alu instid0(VALU_DEP_1) | instskip(SKIP_1) | instid1(VALU_DEP_1)
	v_pk_fma_f32 v[8:9], v[6:7], v[0:1], v[4:5] op_sel:[0,0,1] op_sel_hi:[1,1,0] neg_lo:[0,0,1] neg_hi:[0,0,1]
	v_pk_fma_f32 v[4:5], v[6:7], v[0:1], v[4:5] op_sel:[0,0,1] op_sel_hi:[1,0,0]
	v_mov_b32_e32 v9, v5
	ds_load_2addr_b64 v[4:7], v118 offset0:34 offset1:35
	v_pk_add_f32 v[146:147], v[146:147], v[10:11] neg_lo:[0,1] neg_hi:[0,1]
	v_pk_add_f32 v[142:143], v[142:143], v[8:9] neg_lo:[0,1] neg_hi:[0,1]
	s_wait_dscnt 0x0
	v_dual_mul_f32 v8, v5, v3 :: v_dual_mul_f32 v10, v5, v0
	s_delay_alu instid0(VALU_DEP_1) | instskip(NEXT) | instid1(VALU_DEP_2)
	v_pk_fma_f32 v[8:9], v[4:5], v[22:23], v[8:9] op_sel_hi:[1,1,0] neg_lo:[0,0,1] neg_hi:[0,0,1]
	v_pk_fma_f32 v[4:5], v[4:5], v[22:23], v[10:11] op_sel:[1,0,0] op_sel_hi:[0,1,0]
	s_delay_alu instid0(VALU_DEP_1) | instskip(SKIP_1) | instid1(VALU_DEP_2)
	v_mov_b32_e32 v9, v5
	v_pk_mul_f32 v[4:5], v[6:7], v[2:3] op_sel:[0,1]
	v_pk_add_f32 v[144:145], v[144:145], v[8:9] neg_lo:[0,1] neg_hi:[0,1]
	s_delay_alu instid0(VALU_DEP_2) | instskip(SKIP_1) | instid1(VALU_DEP_1)
	v_pk_fma_f32 v[8:9], v[6:7], v[0:1], v[4:5] op_sel:[0,0,1] op_sel_hi:[1,1,0] neg_lo:[0,0,1] neg_hi:[0,0,1]
	v_pk_fma_f32 v[4:5], v[6:7], v[0:1], v[4:5] op_sel:[0,0,1] op_sel_hi:[1,0,0]
	v_mov_b32_e32 v9, v5
	ds_load_2addr_b64 v[4:7], v118 offset0:36 offset1:37
	v_pk_add_f32 v[140:141], v[140:141], v[8:9] neg_lo:[0,1] neg_hi:[0,1]
	s_wait_dscnt 0x0
	v_pk_mul_f32 v[8:9], v[4:5], v[2:3] op_sel:[0,1]
	s_delay_alu instid0(VALU_DEP_1) | instskip(SKIP_1) | instid1(VALU_DEP_1)
	v_pk_fma_f32 v[10:11], v[4:5], v[0:1], v[8:9] op_sel:[0,0,1] op_sel_hi:[1,1,0] neg_lo:[0,0,1] neg_hi:[0,0,1]
	v_pk_fma_f32 v[4:5], v[4:5], v[0:1], v[8:9] op_sel:[0,0,1] op_sel_hi:[1,0,0]
	v_mov_b32_e32 v11, v5
	v_pk_mul_f32 v[4:5], v[6:7], v[2:3] op_sel:[0,1]
	s_delay_alu instid0(VALU_DEP_2) | instskip(NEXT) | instid1(VALU_DEP_2)
	v_pk_add_f32 v[162:163], v[162:163], v[10:11] neg_lo:[0,1] neg_hi:[0,1]
	v_pk_fma_f32 v[8:9], v[6:7], v[0:1], v[4:5] op_sel:[0,0,1] op_sel_hi:[1,1,0] neg_lo:[0,0,1] neg_hi:[0,0,1]
	v_pk_fma_f32 v[4:5], v[6:7], v[0:1], v[4:5] op_sel:[0,0,1] op_sel_hi:[1,0,0]
	s_delay_alu instid0(VALU_DEP_1) | instskip(SKIP_4) | instid1(VALU_DEP_1)
	v_mov_b32_e32 v9, v5
	ds_load_2addr_b64 v[4:7], v118 offset0:38 offset1:39
	v_pk_add_f32 v[158:159], v[158:159], v[8:9] neg_lo:[0,1] neg_hi:[0,1]
	s_wait_dscnt 0x0
	v_pk_mul_f32 v[8:9], v[4:5], v[2:3] op_sel:[0,1]
	v_pk_fma_f32 v[10:11], v[4:5], v[0:1], v[8:9] op_sel:[0,0,1] op_sel_hi:[1,1,0] neg_lo:[0,0,1] neg_hi:[0,0,1]
	v_pk_fma_f32 v[4:5], v[4:5], v[0:1], v[8:9] op_sel:[0,0,1] op_sel_hi:[1,0,0]
	v_dual_mul_f32 v8, v7, v3 :: v_dual_mov_b32 v4, v7
	s_delay_alu instid0(VALU_DEP_2) | instskip(NEXT) | instid1(VALU_DEP_2)
	v_dual_mov_b32 v11, v5 :: v_dual_mov_b32 v5, v6
	v_pk_fma_f32 v[8:9], v[6:7], v[22:23], v[8:9] op_sel_hi:[1,1,0] neg_lo:[0,0,1] neg_hi:[0,0,1]
	v_mul_f32_e32 v6, v7, v0
	s_delay_alu instid0(VALU_DEP_3) | instskip(NEXT) | instid1(VALU_DEP_2)
	v_pk_add_f32 v[160:161], v[160:161], v[10:11] neg_lo:[0,1] neg_hi:[0,1]
	v_pk_fma_f32 v[4:5], v[4:5], v[22:23], v[6:7] op_sel_hi:[1,1,0]
	s_delay_alu instid0(VALU_DEP_1) | instskip(SKIP_4) | instid1(VALU_DEP_1)
	v_mov_b32_e32 v9, v5
	ds_load_2addr_b64 v[4:7], v118 offset0:40 offset1:41
	v_pk_add_f32 v[156:157], v[156:157], v[8:9] neg_lo:[0,1] neg_hi:[0,1]
	s_wait_dscnt 0x0
	v_pk_mul_f32 v[8:9], v[4:5], v[2:3] op_sel:[0,1]
	v_pk_fma_f32 v[10:11], v[4:5], v[0:1], v[8:9] op_sel:[0,0,1] op_sel_hi:[1,1,0] neg_lo:[0,0,1] neg_hi:[0,0,1]
	v_pk_fma_f32 v[4:5], v[4:5], v[0:1], v[8:9] op_sel:[0,0,1] op_sel_hi:[1,0,0]
	s_delay_alu instid0(VALU_DEP_1) | instskip(SKIP_1) | instid1(VALU_DEP_1)
	v_mov_b32_e32 v11, v5
	v_pk_mul_f32 v[4:5], v[6:7], v[2:3] op_sel:[0,1]
	v_pk_fma_f32 v[8:9], v[6:7], v[0:1], v[4:5] op_sel:[0,0,1] op_sel_hi:[1,1,0] neg_lo:[0,0,1] neg_hi:[0,0,1]
	v_pk_fma_f32 v[4:5], v[6:7], v[0:1], v[4:5] op_sel:[0,0,1] op_sel_hi:[1,0,0]
	s_delay_alu instid0(VALU_DEP_1)
	v_mov_b32_e32 v9, v5
	ds_load_2addr_b64 v[4:7], v118 offset0:42 offset1:43
	v_pk_add_f32 v[182:183], v[182:183], v[10:11] neg_lo:[0,1] neg_hi:[0,1]
	v_pk_add_f32 v[178:179], v[178:179], v[8:9] neg_lo:[0,1] neg_hi:[0,1]
	s_wait_dscnt 0x0
	v_pk_mul_f32 v[8:9], v[4:5], v[2:3] op_sel:[0,1]
	s_delay_alu instid0(VALU_DEP_1) | instskip(SKIP_1) | instid1(VALU_DEP_1)
	v_pk_fma_f32 v[10:11], v[4:5], v[0:1], v[8:9] op_sel:[0,0,1] op_sel_hi:[1,1,0] neg_lo:[0,0,1] neg_hi:[0,0,1]
	v_pk_fma_f32 v[4:5], v[4:5], v[0:1], v[8:9] op_sel:[0,0,1] op_sel_hi:[1,0,0]
	v_mov_b32_e32 v11, v5
	v_pk_mul_f32 v[4:5], v[6:7], v[2:3] op_sel:[0,1]
	s_delay_alu instid0(VALU_DEP_1) | instskip(SKIP_1) | instid1(VALU_DEP_1)
	v_pk_fma_f32 v[8:9], v[6:7], v[0:1], v[4:5] op_sel:[0,0,1] op_sel_hi:[1,1,0] neg_lo:[0,0,1] neg_hi:[0,0,1]
	v_pk_fma_f32 v[4:5], v[6:7], v[0:1], v[4:5] op_sel:[0,0,1] op_sel_hi:[1,0,0]
	v_mov_b32_e32 v9, v5
	ds_load_2addr_b64 v[4:7], v118 offset0:44 offset1:45
	v_pk_add_f32 v[180:181], v[180:181], v[10:11] neg_lo:[0,1] neg_hi:[0,1]
	v_pk_add_f32 v[176:177], v[176:177], v[8:9] neg_lo:[0,1] neg_hi:[0,1]
	s_wait_dscnt 0x0
	v_dual_mul_f32 v8, v5, v3 :: v_dual_mul_f32 v10, v5, v0
	s_delay_alu instid0(VALU_DEP_1) | instskip(NEXT) | instid1(VALU_DEP_2)
	v_pk_fma_f32 v[8:9], v[4:5], v[22:23], v[8:9] op_sel_hi:[1,1,0] neg_lo:[0,0,1] neg_hi:[0,0,1]
	v_pk_fma_f32 v[4:5], v[4:5], v[22:23], v[10:11] op_sel:[1,0,0] op_sel_hi:[0,1,0]
	s_delay_alu instid0(VALU_DEP_1) | instskip(SKIP_1) | instid1(VALU_DEP_2)
	v_mov_b32_e32 v9, v5
	v_pk_mul_f32 v[4:5], v[6:7], v[2:3] op_sel:[0,1]
	v_pk_add_f32 v[204:205], v[204:205], v[8:9] neg_lo:[0,1] neg_hi:[0,1]
	s_delay_alu instid0(VALU_DEP_2) | instskip(SKIP_1) | instid1(VALU_DEP_1)
	v_pk_fma_f32 v[8:9], v[6:7], v[0:1], v[4:5] op_sel:[0,0,1] op_sel_hi:[1,1,0] neg_lo:[0,0,1] neg_hi:[0,0,1]
	v_pk_fma_f32 v[4:5], v[6:7], v[0:1], v[4:5] op_sel:[0,0,1] op_sel_hi:[1,0,0]
	v_mov_b32_e32 v9, v5
	ds_load_2addr_b64 v[4:7], v118 offset0:46 offset1:47
	v_pk_add_f32 v[198:199], v[198:199], v[8:9] neg_lo:[0,1] neg_hi:[0,1]
	s_wait_dscnt 0x0
	v_pk_mul_f32 v[8:9], v[4:5], v[2:3] op_sel:[0,1]
	s_delay_alu instid0(VALU_DEP_1) | instskip(SKIP_1) | instid1(VALU_DEP_1)
	v_pk_fma_f32 v[10:11], v[4:5], v[0:1], v[8:9] op_sel:[0,0,1] op_sel_hi:[1,1,0] neg_lo:[0,0,1] neg_hi:[0,0,1]
	v_pk_fma_f32 v[4:5], v[4:5], v[0:1], v[8:9] op_sel:[0,0,1] op_sel_hi:[1,0,0]
	v_mov_b32_e32 v11, v5
	v_pk_mul_f32 v[4:5], v[6:7], v[2:3] op_sel:[0,1]
	s_delay_alu instid0(VALU_DEP_2) | instskip(NEXT) | instid1(VALU_DEP_2)
	v_pk_add_f32 v[202:203], v[202:203], v[10:11] neg_lo:[0,1] neg_hi:[0,1]
	v_pk_fma_f32 v[8:9], v[6:7], v[0:1], v[4:5] op_sel:[0,0,1] op_sel_hi:[1,1,0] neg_lo:[0,0,1] neg_hi:[0,0,1]
	v_pk_fma_f32 v[4:5], v[6:7], v[0:1], v[4:5] op_sel:[0,0,1] op_sel_hi:[1,0,0]
	s_delay_alu instid0(VALU_DEP_1) | instskip(SKIP_4) | instid1(VALU_DEP_1)
	v_mov_b32_e32 v9, v5
	ds_load_2addr_b64 v[4:7], v118 offset0:48 offset1:49
	v_pk_add_f32 v[196:197], v[196:197], v[8:9] neg_lo:[0,1] neg_hi:[0,1]
	s_wait_dscnt 0x0
	v_pk_mul_f32 v[8:9], v[4:5], v[2:3] op_sel:[0,1]
	v_pk_fma_f32 v[10:11], v[4:5], v[0:1], v[8:9] op_sel:[0,0,1] op_sel_hi:[1,1,0] neg_lo:[0,0,1] neg_hi:[0,0,1]
	v_pk_fma_f32 v[4:5], v[4:5], v[0:1], v[8:9] op_sel:[0,0,1] op_sel_hi:[1,0,0]
	v_dual_mul_f32 v8, v7, v3 :: v_dual_mov_b32 v4, v7
	s_delay_alu instid0(VALU_DEP_2) | instskip(NEXT) | instid1(VALU_DEP_2)
	v_dual_mov_b32 v11, v5 :: v_dual_mov_b32 v5, v6
	v_pk_fma_f32 v[8:9], v[6:7], v[22:23], v[8:9] op_sel_hi:[1,1,0] neg_lo:[0,0,1] neg_hi:[0,0,1]
	v_mul_f32_e32 v6, v7, v0
	s_delay_alu instid0(VALU_DEP_3) | instskip(NEXT) | instid1(VALU_DEP_2)
	v_pk_add_f32 v[200:201], v[200:201], v[10:11] neg_lo:[0,1] neg_hi:[0,1]
	v_pk_fma_f32 v[4:5], v[4:5], v[22:23], v[6:7] op_sel_hi:[1,1,0]
	s_delay_alu instid0(VALU_DEP_1)
	v_mov_b32_e32 v9, v5
	ds_load_2addr_b64 v[4:7], v118 offset0:50 offset1:51
	v_pk_add_f32 v[194:195], v[194:195], v[8:9] neg_lo:[0,1] neg_hi:[0,1]
	s_wait_dscnt 0x0
	v_pk_mul_f32 v[8:9], v[4:5], v[2:3] op_sel:[0,1]
	v_pk_mul_f32 v[2:3], v[6:7], v[2:3] op_sel:[0,1]
	s_delay_alu instid0(VALU_DEP_2) | instskip(SKIP_1) | instid1(VALU_DEP_1)
	v_pk_fma_f32 v[10:11], v[4:5], v[0:1], v[8:9] op_sel:[0,0,1] op_sel_hi:[1,1,0] neg_lo:[0,0,1] neg_hi:[0,0,1]
	v_pk_fma_f32 v[4:5], v[4:5], v[0:1], v[8:9] op_sel:[0,0,1] op_sel_hi:[1,0,0]
	v_mov_b32_e32 v11, v5
	s_delay_alu instid0(VALU_DEP_4) | instskip(SKIP_1) | instid1(VALU_DEP_1)
	v_pk_fma_f32 v[4:5], v[6:7], v[0:1], v[2:3] op_sel:[0,0,1] op_sel_hi:[1,1,0] neg_lo:[0,0,1] neg_hi:[0,0,1]
	v_pk_fma_f32 v[0:1], v[6:7], v[0:1], v[2:3] op_sel:[0,0,1] op_sel_hi:[1,0,0]
	v_mov_b32_e32 v5, v1
	s_delay_alu instid0(VALU_DEP_4) | instskip(NEXT) | instid1(VALU_DEP_2)
	v_pk_add_f32 v[206:207], v[206:207], v[10:11] neg_lo:[0,1] neg_hi:[0,1]
	v_pk_add_f32 v[208:209], v[208:209], v[4:5] neg_lo:[0,1] neg_hi:[0,1]
.LBB103_55:
	s_wait_xcnt 0x0
	s_or_b32 exec_lo, exec_lo, s1
	s_delay_alu instid0(SALU_CYCLE_1)
	s_mov_b32 s2, exec_lo
	s_wait_storecnt 0x0
	s_barrier_signal -1
	s_barrier_wait -1
	v_cmpx_eq_u32_e32 6, v116
	s_cbranch_execz .LBB103_62
; %bb.56:
	ds_store_b64 v117, v[24:25]
	ds_store_2addr_b64 v118, v[20:21], v[40:41] offset0:7 offset1:8
	ds_store_2addr_b64 v118, v[36:37], v[38:39] offset0:9 offset1:10
	ds_store_2addr_b64 v118, v[34:35], v[62:63] offset0:11 offset1:12
	ds_store_2addr_b64 v118, v[58:59], v[60:61] offset0:13 offset1:14
	ds_store_2addr_b64 v118, v[56:57], v[78:79] offset0:15 offset1:16
	ds_store_2addr_b64 v118, v[74:75], v[76:77] offset0:17 offset1:18
	ds_store_2addr_b64 v118, v[72:73], v[94:95] offset0:19 offset1:20
	ds_store_2addr_b64 v118, v[90:91], v[92:93] offset0:21 offset1:22
	ds_store_2addr_b64 v118, v[88:89], v[112:113] offset0:23 offset1:24
	ds_store_2addr_b64 v118, v[108:109], v[110:111] offset0:25 offset1:26
	ds_store_2addr_b64 v118, v[106:107], v[128:129] offset0:27 offset1:28
	ds_store_2addr_b64 v118, v[124:125], v[126:127] offset0:29 offset1:30
	ds_store_2addr_b64 v118, v[122:123], v[146:147] offset0:31 offset1:32
	ds_store_2addr_b64 v118, v[142:143], v[144:145] offset0:33 offset1:34
	ds_store_2addr_b64 v118, v[140:141], v[162:163] offset0:35 offset1:36
	ds_store_2addr_b64 v118, v[158:159], v[160:161] offset0:37 offset1:38
	ds_store_2addr_b64 v118, v[156:157], v[182:183] offset0:39 offset1:40
	ds_store_2addr_b64 v118, v[178:179], v[180:181] offset0:41 offset1:42
	ds_store_2addr_b64 v118, v[176:177], v[204:205] offset0:43 offset1:44
	ds_store_2addr_b64 v118, v[198:199], v[202:203] offset0:45 offset1:46
	ds_store_2addr_b64 v118, v[196:197], v[200:201] offset0:47 offset1:48
	ds_store_2addr_b64 v118, v[194:195], v[206:207] offset0:49 offset1:50
	ds_store_b64 v118, v[208:209] offset:408
	ds_load_b64 v[0:1], v117
	s_wait_dscnt 0x0
	v_cmp_neq_f32_e32 vcc_lo, 0, v0
	v_cmp_neq_f32_e64 s1, 0, v1
	s_or_b32 s1, vcc_lo, s1
	s_delay_alu instid0(SALU_CYCLE_1)
	s_and_b32 exec_lo, exec_lo, s1
	s_cbranch_execz .LBB103_62
; %bb.57:
	v_cmp_ngt_f32_e64 s1, |v0|, |v1|
                                        ; implicit-def: $vgpr2_vgpr3
	s_and_saveexec_b32 s4, s1
	s_delay_alu instid0(SALU_CYCLE_1)
	s_xor_b32 s1, exec_lo, s4
	s_cbranch_execz .LBB103_59
; %bb.58:
	v_div_scale_f32 v2, null, v1, v1, v0
	v_div_scale_f32 v5, vcc_lo, v0, v1, v0
	s_delay_alu instid0(VALU_DEP_2) | instskip(SKIP_1) | instid1(TRANS32_DEP_1)
	v_rcp_f32_e32 v3, v2
	v_nop
	v_fma_f32 v4, -v2, v3, 1.0
	s_delay_alu instid0(VALU_DEP_1) | instskip(NEXT) | instid1(VALU_DEP_1)
	v_fmac_f32_e32 v3, v4, v3
	v_mul_f32_e32 v4, v5, v3
	s_delay_alu instid0(VALU_DEP_1) | instskip(NEXT) | instid1(VALU_DEP_1)
	v_fma_f32 v6, -v2, v4, v5
	v_fmac_f32_e32 v4, v6, v3
	s_delay_alu instid0(VALU_DEP_1) | instskip(NEXT) | instid1(VALU_DEP_1)
	v_fma_f32 v2, -v2, v4, v5
	v_div_fmas_f32 v2, v2, v3, v4
	s_delay_alu instid0(VALU_DEP_1) | instskip(NEXT) | instid1(VALU_DEP_1)
	v_div_fixup_f32 v2, v2, v1, v0
	v_fmac_f32_e32 v1, v0, v2
	s_delay_alu instid0(VALU_DEP_1) | instskip(SKIP_1) | instid1(VALU_DEP_2)
	v_div_scale_f32 v0, null, v1, v1, 1.0
	v_div_scale_f32 v5, vcc_lo, 1.0, v1, 1.0
	v_rcp_f32_e32 v3, v0
	v_nop
	s_delay_alu instid0(TRANS32_DEP_1) | instskip(NEXT) | instid1(VALU_DEP_1)
	v_fma_f32 v4, -v0, v3, 1.0
	v_fmac_f32_e32 v3, v4, v3
	s_delay_alu instid0(VALU_DEP_1) | instskip(NEXT) | instid1(VALU_DEP_1)
	v_mul_f32_e32 v4, v5, v3
	v_fma_f32 v6, -v0, v4, v5
	s_delay_alu instid0(VALU_DEP_1) | instskip(NEXT) | instid1(VALU_DEP_1)
	v_fmac_f32_e32 v4, v6, v3
	v_fma_f32 v0, -v0, v4, v5
	s_delay_alu instid0(VALU_DEP_1) | instskip(NEXT) | instid1(VALU_DEP_1)
	v_div_fmas_f32 v0, v0, v3, v4
	v_div_fixup_f32 v0, v0, v1, 1.0
	s_delay_alu instid0(VALU_DEP_1)
	v_mul_f32_e32 v2, v2, v0
	v_xor_b32_e32 v3, 0x80000000, v0
                                        ; implicit-def: $vgpr0_vgpr1
.LBB103_59:
	s_and_not1_saveexec_b32 s1, s1
	s_cbranch_execz .LBB103_61
; %bb.60:
	v_div_scale_f32 v2, null, v0, v0, v1
	v_div_scale_f32 v5, vcc_lo, v1, v0, v1
	s_delay_alu instid0(VALU_DEP_2) | instskip(SKIP_1) | instid1(TRANS32_DEP_1)
	v_rcp_f32_e32 v3, v2
	v_nop
	v_fma_f32 v4, -v2, v3, 1.0
	s_delay_alu instid0(VALU_DEP_1) | instskip(NEXT) | instid1(VALU_DEP_1)
	v_fmac_f32_e32 v3, v4, v3
	v_mul_f32_e32 v4, v5, v3
	s_delay_alu instid0(VALU_DEP_1) | instskip(NEXT) | instid1(VALU_DEP_1)
	v_fma_f32 v6, -v2, v4, v5
	v_fmac_f32_e32 v4, v6, v3
	s_delay_alu instid0(VALU_DEP_1) | instskip(NEXT) | instid1(VALU_DEP_1)
	v_fma_f32 v2, -v2, v4, v5
	v_div_fmas_f32 v2, v2, v3, v4
	s_delay_alu instid0(VALU_DEP_1) | instskip(NEXT) | instid1(VALU_DEP_1)
	v_div_fixup_f32 v3, v2, v0, v1
	v_fmac_f32_e32 v0, v1, v3
	s_delay_alu instid0(VALU_DEP_1) | instskip(NEXT) | instid1(VALU_DEP_1)
	v_div_scale_f32 v1, null, v0, v0, 1.0
	v_rcp_f32_e32 v2, v1
	v_nop
	s_delay_alu instid0(TRANS32_DEP_1) | instskip(NEXT) | instid1(VALU_DEP_1)
	v_fma_f32 v4, -v1, v2, 1.0
	v_fmac_f32_e32 v2, v4, v2
	v_div_scale_f32 v4, vcc_lo, 1.0, v0, 1.0
	s_delay_alu instid0(VALU_DEP_1) | instskip(NEXT) | instid1(VALU_DEP_1)
	v_mul_f32_e32 v5, v4, v2
	v_fma_f32 v6, -v1, v5, v4
	s_delay_alu instid0(VALU_DEP_1) | instskip(NEXT) | instid1(VALU_DEP_1)
	v_fmac_f32_e32 v5, v6, v2
	v_fma_f32 v1, -v1, v5, v4
	s_delay_alu instid0(VALU_DEP_1) | instskip(NEXT) | instid1(VALU_DEP_1)
	v_div_fmas_f32 v1, v1, v2, v5
	v_div_fixup_f32 v2, v1, v0, 1.0
	s_delay_alu instid0(VALU_DEP_1)
	v_mul_f32_e64 v3, v3, -v2
.LBB103_61:
	s_or_b32 exec_lo, exec_lo, s1
	ds_store_b64 v117, v[2:3]
.LBB103_62:
	s_or_b32 exec_lo, exec_lo, s2
	s_wait_dscnt 0x0
	s_barrier_signal -1
	s_barrier_wait -1
	ds_load_b64 v[0:1], v117
	s_mov_b32 s1, exec_lo
	s_wait_dscnt 0x0
	scratch_store_b64 off, v[0:1], off offset:136 ; 8-byte Folded Spill
	s_wait_xcnt 0x0
	v_cmpx_lt_u32_e32 6, v116
	s_cbranch_execz .LBB103_64
; %bb.63:
	scratch_load_b64 v[4:5], off, off offset:136 ; 8-byte Folded Reload
	s_wait_loadcnt 0x0
	v_pk_mul_f32 v[2:3], v[4:5], v[24:25] op_sel:[1,1] op_sel_hi:[0,1]
	s_delay_alu instid0(VALU_DEP_1)
	v_pk_fma_f32 v[0:1], v[4:5], v[24:25], v[2:3] op_sel_hi:[1,0,1] neg_lo:[0,0,1] neg_hi:[0,0,1]
	v_pk_fma_f32 v[2:3], v[4:5], v[24:25], v[2:3] op_sel_hi:[1,0,1]
	ds_load_2addr_b64 v[4:7], v118 offset0:7 offset1:8
	v_dual_mov_b32 v24, v0 :: v_dual_mov_b32 v25, v3
	s_wait_dscnt 0x0
	v_pk_mul_f32 v[8:9], v[4:5], v[2:3] op_sel:[0,1]
	s_delay_alu instid0(VALU_DEP_1) | instskip(SKIP_1) | instid1(VALU_DEP_1)
	v_pk_fma_f32 v[10:11], v[4:5], v[0:1], v[8:9] op_sel:[0,0,1] op_sel_hi:[1,1,0] neg_lo:[0,0,1] neg_hi:[0,0,1]
	v_pk_fma_f32 v[4:5], v[4:5], v[0:1], v[8:9] op_sel:[0,0,1] op_sel_hi:[1,0,0]
	v_mov_b32_e32 v11, v5
	v_pk_mul_f32 v[4:5], v[6:7], v[2:3] op_sel:[0,1]
	s_delay_alu instid0(VALU_DEP_1) | instskip(SKIP_1) | instid1(VALU_DEP_1)
	v_pk_fma_f32 v[8:9], v[6:7], v[0:1], v[4:5] op_sel:[0,0,1] op_sel_hi:[1,1,0] neg_lo:[0,0,1] neg_hi:[0,0,1]
	v_pk_fma_f32 v[4:5], v[6:7], v[0:1], v[4:5] op_sel:[0,0,1] op_sel_hi:[1,0,0]
	v_mov_b32_e32 v9, v5
	ds_load_2addr_b64 v[4:7], v118 offset0:9 offset1:10
	v_pk_add_f32 v[20:21], v[20:21], v[10:11] neg_lo:[0,1] neg_hi:[0,1]
	v_pk_add_f32 v[40:41], v[40:41], v[8:9] neg_lo:[0,1] neg_hi:[0,1]
	s_wait_dscnt 0x0
	v_pk_mul_f32 v[8:9], v[4:5], v[2:3] op_sel:[0,1]
	s_delay_alu instid0(VALU_DEP_1) | instskip(SKIP_2) | instid1(VALU_DEP_2)
	v_pk_fma_f32 v[10:11], v[4:5], v[0:1], v[8:9] op_sel:[0,0,1] op_sel_hi:[1,1,0] neg_lo:[0,0,1] neg_hi:[0,0,1]
	v_pk_fma_f32 v[4:5], v[4:5], v[0:1], v[8:9] op_sel:[0,0,1] op_sel_hi:[1,0,0]
	v_dual_mul_f32 v8, v7, v3 :: v_dual_mov_b32 v4, v7
	v_dual_mov_b32 v11, v5 :: v_dual_mov_b32 v5, v6
	s_delay_alu instid0(VALU_DEP_2) | instskip(SKIP_1) | instid1(VALU_DEP_3)
	v_pk_fma_f32 v[8:9], v[6:7], v[24:25], v[8:9] op_sel_hi:[1,1,0] neg_lo:[0,0,1] neg_hi:[0,0,1]
	v_mul_f32_e32 v6, v7, v0
	v_pk_add_f32 v[36:37], v[36:37], v[10:11] neg_lo:[0,1] neg_hi:[0,1]
	s_delay_alu instid0(VALU_DEP_2) | instskip(NEXT) | instid1(VALU_DEP_1)
	v_pk_fma_f32 v[4:5], v[4:5], v[24:25], v[6:7] op_sel_hi:[1,1,0]
	v_mov_b32_e32 v9, v5
	ds_load_2addr_b64 v[4:7], v118 offset0:11 offset1:12
	v_pk_add_f32 v[38:39], v[38:39], v[8:9] neg_lo:[0,1] neg_hi:[0,1]
	s_wait_dscnt 0x0
	v_pk_mul_f32 v[8:9], v[4:5], v[2:3] op_sel:[0,1]
	s_delay_alu instid0(VALU_DEP_1) | instskip(SKIP_1) | instid1(VALU_DEP_1)
	v_pk_fma_f32 v[10:11], v[4:5], v[0:1], v[8:9] op_sel:[0,0,1] op_sel_hi:[1,1,0] neg_lo:[0,0,1] neg_hi:[0,0,1]
	v_pk_fma_f32 v[4:5], v[4:5], v[0:1], v[8:9] op_sel:[0,0,1] op_sel_hi:[1,0,0]
	v_mov_b32_e32 v11, v5
	v_pk_mul_f32 v[4:5], v[6:7], v[2:3] op_sel:[0,1]
	s_delay_alu instid0(VALU_DEP_1) | instskip(SKIP_1) | instid1(VALU_DEP_1)
	v_pk_fma_f32 v[8:9], v[6:7], v[0:1], v[4:5] op_sel:[0,0,1] op_sel_hi:[1,1,0] neg_lo:[0,0,1] neg_hi:[0,0,1]
	v_pk_fma_f32 v[4:5], v[6:7], v[0:1], v[4:5] op_sel:[0,0,1] op_sel_hi:[1,0,0]
	v_mov_b32_e32 v9, v5
	ds_load_2addr_b64 v[4:7], v118 offset0:13 offset1:14
	v_pk_add_f32 v[34:35], v[34:35], v[10:11] neg_lo:[0,1] neg_hi:[0,1]
	v_pk_add_f32 v[62:63], v[62:63], v[8:9] neg_lo:[0,1] neg_hi:[0,1]
	s_wait_dscnt 0x0
	v_pk_mul_f32 v[8:9], v[4:5], v[2:3] op_sel:[0,1]
	s_delay_alu instid0(VALU_DEP_1) | instskip(SKIP_1) | instid1(VALU_DEP_1)
	v_pk_fma_f32 v[10:11], v[4:5], v[0:1], v[8:9] op_sel:[0,0,1] op_sel_hi:[1,1,0] neg_lo:[0,0,1] neg_hi:[0,0,1]
	v_pk_fma_f32 v[4:5], v[4:5], v[0:1], v[8:9] op_sel:[0,0,1] op_sel_hi:[1,0,0]
	v_mov_b32_e32 v11, v5
	v_pk_mul_f32 v[4:5], v[6:7], v[2:3] op_sel:[0,1]
	s_delay_alu instid0(VALU_DEP_1) | instskip(SKIP_1) | instid1(VALU_DEP_1)
	v_pk_fma_f32 v[8:9], v[6:7], v[0:1], v[4:5] op_sel:[0,0,1] op_sel_hi:[1,1,0] neg_lo:[0,0,1] neg_hi:[0,0,1]
	v_pk_fma_f32 v[4:5], v[6:7], v[0:1], v[4:5] op_sel:[0,0,1] op_sel_hi:[1,0,0]
	v_mov_b32_e32 v9, v5
	ds_load_2addr_b64 v[4:7], v118 offset0:15 offset1:16
	v_pk_add_f32 v[58:59], v[58:59], v[10:11] neg_lo:[0,1] neg_hi:[0,1]
	v_pk_add_f32 v[60:61], v[60:61], v[8:9] neg_lo:[0,1] neg_hi:[0,1]
	s_wait_dscnt 0x0
	v_dual_mul_f32 v8, v5, v3 :: v_dual_mul_f32 v10, v5, v0
	s_delay_alu instid0(VALU_DEP_1) | instskip(NEXT) | instid1(VALU_DEP_2)
	v_pk_fma_f32 v[8:9], v[4:5], v[24:25], v[8:9] op_sel_hi:[1,1,0] neg_lo:[0,0,1] neg_hi:[0,0,1]
	v_pk_fma_f32 v[4:5], v[4:5], v[24:25], v[10:11] op_sel:[1,0,0] op_sel_hi:[0,1,0]
	s_delay_alu instid0(VALU_DEP_1) | instskip(SKIP_1) | instid1(VALU_DEP_2)
	v_mov_b32_e32 v9, v5
	v_pk_mul_f32 v[4:5], v[6:7], v[2:3] op_sel:[0,1]
	v_pk_add_f32 v[56:57], v[56:57], v[8:9] neg_lo:[0,1] neg_hi:[0,1]
	s_delay_alu instid0(VALU_DEP_2) | instskip(SKIP_1) | instid1(VALU_DEP_1)
	v_pk_fma_f32 v[8:9], v[6:7], v[0:1], v[4:5] op_sel:[0,0,1] op_sel_hi:[1,1,0] neg_lo:[0,0,1] neg_hi:[0,0,1]
	v_pk_fma_f32 v[4:5], v[6:7], v[0:1], v[4:5] op_sel:[0,0,1] op_sel_hi:[1,0,0]
	v_mov_b32_e32 v9, v5
	ds_load_2addr_b64 v[4:7], v118 offset0:17 offset1:18
	v_pk_add_f32 v[78:79], v[78:79], v[8:9] neg_lo:[0,1] neg_hi:[0,1]
	s_wait_dscnt 0x0
	v_pk_mul_f32 v[8:9], v[4:5], v[2:3] op_sel:[0,1]
	s_delay_alu instid0(VALU_DEP_1) | instskip(SKIP_1) | instid1(VALU_DEP_1)
	v_pk_fma_f32 v[10:11], v[4:5], v[0:1], v[8:9] op_sel:[0,0,1] op_sel_hi:[1,1,0] neg_lo:[0,0,1] neg_hi:[0,0,1]
	v_pk_fma_f32 v[4:5], v[4:5], v[0:1], v[8:9] op_sel:[0,0,1] op_sel_hi:[1,0,0]
	v_mov_b32_e32 v11, v5
	v_pk_mul_f32 v[4:5], v[6:7], v[2:3] op_sel:[0,1]
	s_delay_alu instid0(VALU_DEP_2) | instskip(NEXT) | instid1(VALU_DEP_2)
	v_pk_add_f32 v[74:75], v[74:75], v[10:11] neg_lo:[0,1] neg_hi:[0,1]
	v_pk_fma_f32 v[8:9], v[6:7], v[0:1], v[4:5] op_sel:[0,0,1] op_sel_hi:[1,1,0] neg_lo:[0,0,1] neg_hi:[0,0,1]
	v_pk_fma_f32 v[4:5], v[6:7], v[0:1], v[4:5] op_sel:[0,0,1] op_sel_hi:[1,0,0]
	s_delay_alu instid0(VALU_DEP_1) | instskip(SKIP_4) | instid1(VALU_DEP_1)
	v_mov_b32_e32 v9, v5
	ds_load_2addr_b64 v[4:7], v118 offset0:19 offset1:20
	v_pk_add_f32 v[76:77], v[76:77], v[8:9] neg_lo:[0,1] neg_hi:[0,1]
	s_wait_dscnt 0x0
	v_pk_mul_f32 v[8:9], v[4:5], v[2:3] op_sel:[0,1]
	v_pk_fma_f32 v[10:11], v[4:5], v[0:1], v[8:9] op_sel:[0,0,1] op_sel_hi:[1,1,0] neg_lo:[0,0,1] neg_hi:[0,0,1]
	v_pk_fma_f32 v[4:5], v[4:5], v[0:1], v[8:9] op_sel:[0,0,1] op_sel_hi:[1,0,0]
	v_dual_mul_f32 v8, v7, v3 :: v_dual_mov_b32 v4, v7
	s_delay_alu instid0(VALU_DEP_2) | instskip(NEXT) | instid1(VALU_DEP_2)
	v_dual_mov_b32 v11, v5 :: v_dual_mov_b32 v5, v6
	v_pk_fma_f32 v[8:9], v[6:7], v[24:25], v[8:9] op_sel_hi:[1,1,0] neg_lo:[0,0,1] neg_hi:[0,0,1]
	v_mul_f32_e32 v6, v7, v0
	s_delay_alu instid0(VALU_DEP_3) | instskip(NEXT) | instid1(VALU_DEP_2)
	v_pk_add_f32 v[72:73], v[72:73], v[10:11] neg_lo:[0,1] neg_hi:[0,1]
	v_pk_fma_f32 v[4:5], v[4:5], v[24:25], v[6:7] op_sel_hi:[1,1,0]
	s_delay_alu instid0(VALU_DEP_1) | instskip(SKIP_4) | instid1(VALU_DEP_1)
	v_mov_b32_e32 v9, v5
	ds_load_2addr_b64 v[4:7], v118 offset0:21 offset1:22
	v_pk_add_f32 v[94:95], v[94:95], v[8:9] neg_lo:[0,1] neg_hi:[0,1]
	s_wait_dscnt 0x0
	v_pk_mul_f32 v[8:9], v[4:5], v[2:3] op_sel:[0,1]
	v_pk_fma_f32 v[10:11], v[4:5], v[0:1], v[8:9] op_sel:[0,0,1] op_sel_hi:[1,1,0] neg_lo:[0,0,1] neg_hi:[0,0,1]
	v_pk_fma_f32 v[4:5], v[4:5], v[0:1], v[8:9] op_sel:[0,0,1] op_sel_hi:[1,0,0]
	s_delay_alu instid0(VALU_DEP_1) | instskip(SKIP_1) | instid1(VALU_DEP_1)
	v_mov_b32_e32 v11, v5
	v_pk_mul_f32 v[4:5], v[6:7], v[2:3] op_sel:[0,1]
	v_pk_fma_f32 v[8:9], v[6:7], v[0:1], v[4:5] op_sel:[0,0,1] op_sel_hi:[1,1,0] neg_lo:[0,0,1] neg_hi:[0,0,1]
	v_pk_fma_f32 v[4:5], v[6:7], v[0:1], v[4:5] op_sel:[0,0,1] op_sel_hi:[1,0,0]
	s_delay_alu instid0(VALU_DEP_1)
	v_mov_b32_e32 v9, v5
	ds_load_2addr_b64 v[4:7], v118 offset0:23 offset1:24
	v_pk_add_f32 v[90:91], v[90:91], v[10:11] neg_lo:[0,1] neg_hi:[0,1]
	v_pk_add_f32 v[92:93], v[92:93], v[8:9] neg_lo:[0,1] neg_hi:[0,1]
	s_wait_dscnt 0x0
	v_pk_mul_f32 v[8:9], v[4:5], v[2:3] op_sel:[0,1]
	s_delay_alu instid0(VALU_DEP_1) | instskip(SKIP_1) | instid1(VALU_DEP_1)
	v_pk_fma_f32 v[10:11], v[4:5], v[0:1], v[8:9] op_sel:[0,0,1] op_sel_hi:[1,1,0] neg_lo:[0,0,1] neg_hi:[0,0,1]
	v_pk_fma_f32 v[4:5], v[4:5], v[0:1], v[8:9] op_sel:[0,0,1] op_sel_hi:[1,0,0]
	v_mov_b32_e32 v11, v5
	v_pk_mul_f32 v[4:5], v[6:7], v[2:3] op_sel:[0,1]
	s_delay_alu instid0(VALU_DEP_1) | instskip(SKIP_1) | instid1(VALU_DEP_1)
	v_pk_fma_f32 v[8:9], v[6:7], v[0:1], v[4:5] op_sel:[0,0,1] op_sel_hi:[1,1,0] neg_lo:[0,0,1] neg_hi:[0,0,1]
	v_pk_fma_f32 v[4:5], v[6:7], v[0:1], v[4:5] op_sel:[0,0,1] op_sel_hi:[1,0,0]
	v_mov_b32_e32 v9, v5
	ds_load_2addr_b64 v[4:7], v118 offset0:25 offset1:26
	v_pk_add_f32 v[88:89], v[88:89], v[10:11] neg_lo:[0,1] neg_hi:[0,1]
	v_pk_add_f32 v[112:113], v[112:113], v[8:9] neg_lo:[0,1] neg_hi:[0,1]
	s_wait_dscnt 0x0
	v_dual_mul_f32 v8, v5, v3 :: v_dual_mul_f32 v10, v5, v0
	s_delay_alu instid0(VALU_DEP_1) | instskip(NEXT) | instid1(VALU_DEP_2)
	v_pk_fma_f32 v[8:9], v[4:5], v[24:25], v[8:9] op_sel_hi:[1,1,0] neg_lo:[0,0,1] neg_hi:[0,0,1]
	v_pk_fma_f32 v[4:5], v[4:5], v[24:25], v[10:11] op_sel:[1,0,0] op_sel_hi:[0,1,0]
	s_delay_alu instid0(VALU_DEP_1) | instskip(SKIP_1) | instid1(VALU_DEP_2)
	v_mov_b32_e32 v9, v5
	v_pk_mul_f32 v[4:5], v[6:7], v[2:3] op_sel:[0,1]
	v_pk_add_f32 v[108:109], v[108:109], v[8:9] neg_lo:[0,1] neg_hi:[0,1]
	s_delay_alu instid0(VALU_DEP_2) | instskip(SKIP_1) | instid1(VALU_DEP_1)
	v_pk_fma_f32 v[8:9], v[6:7], v[0:1], v[4:5] op_sel:[0,0,1] op_sel_hi:[1,1,0] neg_lo:[0,0,1] neg_hi:[0,0,1]
	v_pk_fma_f32 v[4:5], v[6:7], v[0:1], v[4:5] op_sel:[0,0,1] op_sel_hi:[1,0,0]
	v_mov_b32_e32 v9, v5
	ds_load_2addr_b64 v[4:7], v118 offset0:27 offset1:28
	v_pk_add_f32 v[110:111], v[110:111], v[8:9] neg_lo:[0,1] neg_hi:[0,1]
	s_wait_dscnt 0x0
	v_pk_mul_f32 v[8:9], v[4:5], v[2:3] op_sel:[0,1]
	s_delay_alu instid0(VALU_DEP_1) | instskip(SKIP_1) | instid1(VALU_DEP_1)
	v_pk_fma_f32 v[10:11], v[4:5], v[0:1], v[8:9] op_sel:[0,0,1] op_sel_hi:[1,1,0] neg_lo:[0,0,1] neg_hi:[0,0,1]
	v_pk_fma_f32 v[4:5], v[4:5], v[0:1], v[8:9] op_sel:[0,0,1] op_sel_hi:[1,0,0]
	v_mov_b32_e32 v11, v5
	v_pk_mul_f32 v[4:5], v[6:7], v[2:3] op_sel:[0,1]
	s_delay_alu instid0(VALU_DEP_2) | instskip(NEXT) | instid1(VALU_DEP_2)
	v_pk_add_f32 v[106:107], v[106:107], v[10:11] neg_lo:[0,1] neg_hi:[0,1]
	v_pk_fma_f32 v[8:9], v[6:7], v[0:1], v[4:5] op_sel:[0,0,1] op_sel_hi:[1,1,0] neg_lo:[0,0,1] neg_hi:[0,0,1]
	v_pk_fma_f32 v[4:5], v[6:7], v[0:1], v[4:5] op_sel:[0,0,1] op_sel_hi:[1,0,0]
	s_delay_alu instid0(VALU_DEP_1) | instskip(SKIP_4) | instid1(VALU_DEP_1)
	v_mov_b32_e32 v9, v5
	ds_load_2addr_b64 v[4:7], v118 offset0:29 offset1:30
	v_pk_add_f32 v[128:129], v[128:129], v[8:9] neg_lo:[0,1] neg_hi:[0,1]
	s_wait_dscnt 0x0
	v_pk_mul_f32 v[8:9], v[4:5], v[2:3] op_sel:[0,1]
	v_pk_fma_f32 v[10:11], v[4:5], v[0:1], v[8:9] op_sel:[0,0,1] op_sel_hi:[1,1,0] neg_lo:[0,0,1] neg_hi:[0,0,1]
	v_pk_fma_f32 v[4:5], v[4:5], v[0:1], v[8:9] op_sel:[0,0,1] op_sel_hi:[1,0,0]
	v_dual_mul_f32 v8, v7, v3 :: v_dual_mov_b32 v4, v7
	s_delay_alu instid0(VALU_DEP_2) | instskip(NEXT) | instid1(VALU_DEP_2)
	v_dual_mov_b32 v11, v5 :: v_dual_mov_b32 v5, v6
	v_pk_fma_f32 v[8:9], v[6:7], v[24:25], v[8:9] op_sel_hi:[1,1,0] neg_lo:[0,0,1] neg_hi:[0,0,1]
	v_mul_f32_e32 v6, v7, v0
	s_delay_alu instid0(VALU_DEP_3) | instskip(NEXT) | instid1(VALU_DEP_2)
	v_pk_add_f32 v[124:125], v[124:125], v[10:11] neg_lo:[0,1] neg_hi:[0,1]
	v_pk_fma_f32 v[4:5], v[4:5], v[24:25], v[6:7] op_sel_hi:[1,1,0]
	s_delay_alu instid0(VALU_DEP_1) | instskip(SKIP_4) | instid1(VALU_DEP_1)
	v_mov_b32_e32 v9, v5
	ds_load_2addr_b64 v[4:7], v118 offset0:31 offset1:32
	v_pk_add_f32 v[126:127], v[126:127], v[8:9] neg_lo:[0,1] neg_hi:[0,1]
	s_wait_dscnt 0x0
	v_pk_mul_f32 v[8:9], v[4:5], v[2:3] op_sel:[0,1]
	v_pk_fma_f32 v[10:11], v[4:5], v[0:1], v[8:9] op_sel:[0,0,1] op_sel_hi:[1,1,0] neg_lo:[0,0,1] neg_hi:[0,0,1]
	v_pk_fma_f32 v[4:5], v[4:5], v[0:1], v[8:9] op_sel:[0,0,1] op_sel_hi:[1,0,0]
	s_delay_alu instid0(VALU_DEP_1) | instskip(SKIP_1) | instid1(VALU_DEP_1)
	v_mov_b32_e32 v11, v5
	v_pk_mul_f32 v[4:5], v[6:7], v[2:3] op_sel:[0,1]
	v_pk_fma_f32 v[8:9], v[6:7], v[0:1], v[4:5] op_sel:[0,0,1] op_sel_hi:[1,1,0] neg_lo:[0,0,1] neg_hi:[0,0,1]
	v_pk_fma_f32 v[4:5], v[6:7], v[0:1], v[4:5] op_sel:[0,0,1] op_sel_hi:[1,0,0]
	s_delay_alu instid0(VALU_DEP_1)
	v_mov_b32_e32 v9, v5
	ds_load_2addr_b64 v[4:7], v118 offset0:33 offset1:34
	v_pk_add_f32 v[122:123], v[122:123], v[10:11] neg_lo:[0,1] neg_hi:[0,1]
	v_pk_add_f32 v[146:147], v[146:147], v[8:9] neg_lo:[0,1] neg_hi:[0,1]
	s_wait_dscnt 0x0
	v_pk_mul_f32 v[8:9], v[4:5], v[2:3] op_sel:[0,1]
	s_delay_alu instid0(VALU_DEP_1) | instskip(SKIP_1) | instid1(VALU_DEP_1)
	v_pk_fma_f32 v[10:11], v[4:5], v[0:1], v[8:9] op_sel:[0,0,1] op_sel_hi:[1,1,0] neg_lo:[0,0,1] neg_hi:[0,0,1]
	v_pk_fma_f32 v[4:5], v[4:5], v[0:1], v[8:9] op_sel:[0,0,1] op_sel_hi:[1,0,0]
	v_mov_b32_e32 v11, v5
	v_pk_mul_f32 v[4:5], v[6:7], v[2:3] op_sel:[0,1]
	s_delay_alu instid0(VALU_DEP_1) | instskip(SKIP_1) | instid1(VALU_DEP_1)
	v_pk_fma_f32 v[8:9], v[6:7], v[0:1], v[4:5] op_sel:[0,0,1] op_sel_hi:[1,1,0] neg_lo:[0,0,1] neg_hi:[0,0,1]
	v_pk_fma_f32 v[4:5], v[6:7], v[0:1], v[4:5] op_sel:[0,0,1] op_sel_hi:[1,0,0]
	v_mov_b32_e32 v9, v5
	ds_load_2addr_b64 v[4:7], v118 offset0:35 offset1:36
	v_pk_add_f32 v[142:143], v[142:143], v[10:11] neg_lo:[0,1] neg_hi:[0,1]
	v_pk_add_f32 v[144:145], v[144:145], v[8:9] neg_lo:[0,1] neg_hi:[0,1]
	s_wait_dscnt 0x0
	v_dual_mul_f32 v8, v5, v3 :: v_dual_mul_f32 v10, v5, v0
	s_delay_alu instid0(VALU_DEP_1) | instskip(NEXT) | instid1(VALU_DEP_2)
	v_pk_fma_f32 v[8:9], v[4:5], v[24:25], v[8:9] op_sel_hi:[1,1,0] neg_lo:[0,0,1] neg_hi:[0,0,1]
	v_pk_fma_f32 v[4:5], v[4:5], v[24:25], v[10:11] op_sel:[1,0,0] op_sel_hi:[0,1,0]
	s_delay_alu instid0(VALU_DEP_1) | instskip(SKIP_1) | instid1(VALU_DEP_2)
	v_mov_b32_e32 v9, v5
	v_pk_mul_f32 v[4:5], v[6:7], v[2:3] op_sel:[0,1]
	v_pk_add_f32 v[140:141], v[140:141], v[8:9] neg_lo:[0,1] neg_hi:[0,1]
	s_delay_alu instid0(VALU_DEP_2) | instskip(SKIP_1) | instid1(VALU_DEP_1)
	v_pk_fma_f32 v[8:9], v[6:7], v[0:1], v[4:5] op_sel:[0,0,1] op_sel_hi:[1,1,0] neg_lo:[0,0,1] neg_hi:[0,0,1]
	v_pk_fma_f32 v[4:5], v[6:7], v[0:1], v[4:5] op_sel:[0,0,1] op_sel_hi:[1,0,0]
	v_mov_b32_e32 v9, v5
	ds_load_2addr_b64 v[4:7], v118 offset0:37 offset1:38
	v_pk_add_f32 v[162:163], v[162:163], v[8:9] neg_lo:[0,1] neg_hi:[0,1]
	s_wait_dscnt 0x0
	v_pk_mul_f32 v[8:9], v[4:5], v[2:3] op_sel:[0,1]
	s_delay_alu instid0(VALU_DEP_1) | instskip(SKIP_1) | instid1(VALU_DEP_1)
	v_pk_fma_f32 v[10:11], v[4:5], v[0:1], v[8:9] op_sel:[0,0,1] op_sel_hi:[1,1,0] neg_lo:[0,0,1] neg_hi:[0,0,1]
	v_pk_fma_f32 v[4:5], v[4:5], v[0:1], v[8:9] op_sel:[0,0,1] op_sel_hi:[1,0,0]
	v_mov_b32_e32 v11, v5
	v_pk_mul_f32 v[4:5], v[6:7], v[2:3] op_sel:[0,1]
	s_delay_alu instid0(VALU_DEP_2) | instskip(NEXT) | instid1(VALU_DEP_2)
	v_pk_add_f32 v[158:159], v[158:159], v[10:11] neg_lo:[0,1] neg_hi:[0,1]
	v_pk_fma_f32 v[8:9], v[6:7], v[0:1], v[4:5] op_sel:[0,0,1] op_sel_hi:[1,1,0] neg_lo:[0,0,1] neg_hi:[0,0,1]
	v_pk_fma_f32 v[4:5], v[6:7], v[0:1], v[4:5] op_sel:[0,0,1] op_sel_hi:[1,0,0]
	s_delay_alu instid0(VALU_DEP_1) | instskip(SKIP_4) | instid1(VALU_DEP_1)
	v_mov_b32_e32 v9, v5
	ds_load_2addr_b64 v[4:7], v118 offset0:39 offset1:40
	v_pk_add_f32 v[160:161], v[160:161], v[8:9] neg_lo:[0,1] neg_hi:[0,1]
	s_wait_dscnt 0x0
	v_pk_mul_f32 v[8:9], v[4:5], v[2:3] op_sel:[0,1]
	v_pk_fma_f32 v[10:11], v[4:5], v[0:1], v[8:9] op_sel:[0,0,1] op_sel_hi:[1,1,0] neg_lo:[0,0,1] neg_hi:[0,0,1]
	v_pk_fma_f32 v[4:5], v[4:5], v[0:1], v[8:9] op_sel:[0,0,1] op_sel_hi:[1,0,0]
	v_dual_mul_f32 v8, v7, v3 :: v_dual_mov_b32 v4, v7
	s_delay_alu instid0(VALU_DEP_2) | instskip(NEXT) | instid1(VALU_DEP_2)
	v_dual_mov_b32 v11, v5 :: v_dual_mov_b32 v5, v6
	v_pk_fma_f32 v[8:9], v[6:7], v[24:25], v[8:9] op_sel_hi:[1,1,0] neg_lo:[0,0,1] neg_hi:[0,0,1]
	v_mul_f32_e32 v6, v7, v0
	s_delay_alu instid0(VALU_DEP_3) | instskip(NEXT) | instid1(VALU_DEP_2)
	v_pk_add_f32 v[156:157], v[156:157], v[10:11] neg_lo:[0,1] neg_hi:[0,1]
	v_pk_fma_f32 v[4:5], v[4:5], v[24:25], v[6:7] op_sel_hi:[1,1,0]
	s_delay_alu instid0(VALU_DEP_1) | instskip(SKIP_4) | instid1(VALU_DEP_1)
	v_mov_b32_e32 v9, v5
	ds_load_2addr_b64 v[4:7], v118 offset0:41 offset1:42
	v_pk_add_f32 v[182:183], v[182:183], v[8:9] neg_lo:[0,1] neg_hi:[0,1]
	s_wait_dscnt 0x0
	v_pk_mul_f32 v[8:9], v[4:5], v[2:3] op_sel:[0,1]
	v_pk_fma_f32 v[10:11], v[4:5], v[0:1], v[8:9] op_sel:[0,0,1] op_sel_hi:[1,1,0] neg_lo:[0,0,1] neg_hi:[0,0,1]
	v_pk_fma_f32 v[4:5], v[4:5], v[0:1], v[8:9] op_sel:[0,0,1] op_sel_hi:[1,0,0]
	s_delay_alu instid0(VALU_DEP_1) | instskip(SKIP_1) | instid1(VALU_DEP_1)
	v_mov_b32_e32 v11, v5
	v_pk_mul_f32 v[4:5], v[6:7], v[2:3] op_sel:[0,1]
	v_pk_fma_f32 v[8:9], v[6:7], v[0:1], v[4:5] op_sel:[0,0,1] op_sel_hi:[1,1,0] neg_lo:[0,0,1] neg_hi:[0,0,1]
	v_pk_fma_f32 v[4:5], v[6:7], v[0:1], v[4:5] op_sel:[0,0,1] op_sel_hi:[1,0,0]
	s_delay_alu instid0(VALU_DEP_1)
	v_mov_b32_e32 v9, v5
	ds_load_2addr_b64 v[4:7], v118 offset0:43 offset1:44
	v_pk_add_f32 v[178:179], v[178:179], v[10:11] neg_lo:[0,1] neg_hi:[0,1]
	v_pk_add_f32 v[180:181], v[180:181], v[8:9] neg_lo:[0,1] neg_hi:[0,1]
	s_wait_dscnt 0x0
	v_pk_mul_f32 v[8:9], v[4:5], v[2:3] op_sel:[0,1]
	s_delay_alu instid0(VALU_DEP_1) | instskip(SKIP_1) | instid1(VALU_DEP_1)
	v_pk_fma_f32 v[10:11], v[4:5], v[0:1], v[8:9] op_sel:[0,0,1] op_sel_hi:[1,1,0] neg_lo:[0,0,1] neg_hi:[0,0,1]
	v_pk_fma_f32 v[4:5], v[4:5], v[0:1], v[8:9] op_sel:[0,0,1] op_sel_hi:[1,0,0]
	v_mov_b32_e32 v11, v5
	v_pk_mul_f32 v[4:5], v[6:7], v[2:3] op_sel:[0,1]
	s_delay_alu instid0(VALU_DEP_1) | instskip(SKIP_1) | instid1(VALU_DEP_1)
	v_pk_fma_f32 v[8:9], v[6:7], v[0:1], v[4:5] op_sel:[0,0,1] op_sel_hi:[1,1,0] neg_lo:[0,0,1] neg_hi:[0,0,1]
	v_pk_fma_f32 v[4:5], v[6:7], v[0:1], v[4:5] op_sel:[0,0,1] op_sel_hi:[1,0,0]
	v_mov_b32_e32 v9, v5
	ds_load_2addr_b64 v[4:7], v118 offset0:45 offset1:46
	v_pk_add_f32 v[176:177], v[176:177], v[10:11] neg_lo:[0,1] neg_hi:[0,1]
	v_pk_add_f32 v[204:205], v[204:205], v[8:9] neg_lo:[0,1] neg_hi:[0,1]
	s_wait_dscnt 0x0
	v_dual_mul_f32 v8, v5, v3 :: v_dual_mul_f32 v10, v5, v0
	s_delay_alu instid0(VALU_DEP_1) | instskip(NEXT) | instid1(VALU_DEP_2)
	v_pk_fma_f32 v[8:9], v[4:5], v[24:25], v[8:9] op_sel_hi:[1,1,0] neg_lo:[0,0,1] neg_hi:[0,0,1]
	v_pk_fma_f32 v[4:5], v[4:5], v[24:25], v[10:11] op_sel:[1,0,0] op_sel_hi:[0,1,0]
	s_delay_alu instid0(VALU_DEP_1) | instskip(SKIP_1) | instid1(VALU_DEP_2)
	v_mov_b32_e32 v9, v5
	v_pk_mul_f32 v[4:5], v[6:7], v[2:3] op_sel:[0,1]
	v_pk_add_f32 v[198:199], v[198:199], v[8:9] neg_lo:[0,1] neg_hi:[0,1]
	s_delay_alu instid0(VALU_DEP_2) | instskip(SKIP_1) | instid1(VALU_DEP_1)
	v_pk_fma_f32 v[8:9], v[6:7], v[0:1], v[4:5] op_sel:[0,0,1] op_sel_hi:[1,1,0] neg_lo:[0,0,1] neg_hi:[0,0,1]
	v_pk_fma_f32 v[4:5], v[6:7], v[0:1], v[4:5] op_sel:[0,0,1] op_sel_hi:[1,0,0]
	v_mov_b32_e32 v9, v5
	ds_load_2addr_b64 v[4:7], v118 offset0:47 offset1:48
	v_pk_add_f32 v[202:203], v[202:203], v[8:9] neg_lo:[0,1] neg_hi:[0,1]
	s_wait_dscnt 0x0
	v_pk_mul_f32 v[8:9], v[4:5], v[2:3] op_sel:[0,1]
	s_delay_alu instid0(VALU_DEP_1) | instskip(SKIP_1) | instid1(VALU_DEP_1)
	v_pk_fma_f32 v[10:11], v[4:5], v[0:1], v[8:9] op_sel:[0,0,1] op_sel_hi:[1,1,0] neg_lo:[0,0,1] neg_hi:[0,0,1]
	v_pk_fma_f32 v[4:5], v[4:5], v[0:1], v[8:9] op_sel:[0,0,1] op_sel_hi:[1,0,0]
	v_mov_b32_e32 v11, v5
	v_pk_mul_f32 v[4:5], v[6:7], v[2:3] op_sel:[0,1]
	s_delay_alu instid0(VALU_DEP_2) | instskip(NEXT) | instid1(VALU_DEP_2)
	v_pk_add_f32 v[196:197], v[196:197], v[10:11] neg_lo:[0,1] neg_hi:[0,1]
	v_pk_fma_f32 v[8:9], v[6:7], v[0:1], v[4:5] op_sel:[0,0,1] op_sel_hi:[1,1,0] neg_lo:[0,0,1] neg_hi:[0,0,1]
	v_pk_fma_f32 v[4:5], v[6:7], v[0:1], v[4:5] op_sel:[0,0,1] op_sel_hi:[1,0,0]
	s_delay_alu instid0(VALU_DEP_1) | instskip(SKIP_4) | instid1(VALU_DEP_1)
	v_mov_b32_e32 v9, v5
	ds_load_2addr_b64 v[4:7], v118 offset0:49 offset1:50
	v_pk_add_f32 v[200:201], v[200:201], v[8:9] neg_lo:[0,1] neg_hi:[0,1]
	s_wait_dscnt 0x0
	v_pk_mul_f32 v[8:9], v[4:5], v[2:3] op_sel:[0,1]
	v_pk_fma_f32 v[10:11], v[4:5], v[0:1], v[8:9] op_sel:[0,0,1] op_sel_hi:[1,1,0] neg_lo:[0,0,1] neg_hi:[0,0,1]
	v_pk_fma_f32 v[4:5], v[4:5], v[0:1], v[8:9] op_sel:[0,0,1] op_sel_hi:[1,0,0]
	v_dual_mul_f32 v8, v7, v3 :: v_dual_mov_b32 v4, v7
	s_delay_alu instid0(VALU_DEP_2) | instskip(NEXT) | instid1(VALU_DEP_2)
	v_dual_mov_b32 v11, v5 :: v_dual_mov_b32 v5, v6
	v_pk_fma_f32 v[8:9], v[6:7], v[24:25], v[8:9] op_sel_hi:[1,1,0] neg_lo:[0,0,1] neg_hi:[0,0,1]
	v_mul_f32_e32 v6, v7, v0
	s_delay_alu instid0(VALU_DEP_3) | instskip(NEXT) | instid1(VALU_DEP_2)
	v_pk_add_f32 v[194:195], v[194:195], v[10:11] neg_lo:[0,1] neg_hi:[0,1]
	v_pk_fma_f32 v[4:5], v[4:5], v[24:25], v[6:7] op_sel_hi:[1,1,0]
	s_delay_alu instid0(VALU_DEP_1) | instskip(SKIP_4) | instid1(VALU_DEP_1)
	v_mov_b32_e32 v9, v5
	ds_load_b64 v[4:5], v118 offset:408
	v_pk_add_f32 v[206:207], v[206:207], v[8:9] neg_lo:[0,1] neg_hi:[0,1]
	s_wait_dscnt 0x0
	v_pk_mul_f32 v[2:3], v[4:5], v[2:3] op_sel:[0,1]
	v_pk_fma_f32 v[6:7], v[4:5], v[0:1], v[2:3] op_sel:[0,0,1] op_sel_hi:[1,1,0] neg_lo:[0,0,1] neg_hi:[0,0,1]
	v_pk_fma_f32 v[0:1], v[4:5], v[0:1], v[2:3] op_sel:[0,0,1] op_sel_hi:[1,0,0]
	s_delay_alu instid0(VALU_DEP_1) | instskip(NEXT) | instid1(VALU_DEP_1)
	v_mov_b32_e32 v7, v1
	v_pk_add_f32 v[208:209], v[208:209], v[6:7] neg_lo:[0,1] neg_hi:[0,1]
.LBB103_64:
	s_wait_xcnt 0x0
	s_or_b32 exec_lo, exec_lo, s1
	s_delay_alu instid0(SALU_CYCLE_1)
	s_mov_b32 s2, exec_lo
	s_wait_storecnt 0x0
	s_barrier_signal -1
	s_barrier_wait -1
	v_cmpx_eq_u32_e32 7, v116
	s_cbranch_execz .LBB103_71
; %bb.65:
	v_dual_mov_b32 v0, v40 :: v_dual_mov_b32 v1, v41
	v_dual_mov_b32 v2, v36 :: v_dual_mov_b32 v3, v37
	v_dual_mov_b32 v4, v38 :: v_dual_mov_b32 v5, v39
	v_dual_mov_b32 v6, v34 :: v_dual_mov_b32 v7, v35
	v_dual_mov_b32 v8, v62 :: v_dual_mov_b32 v9, v63
	v_dual_mov_b32 v10, v58 :: v_dual_mov_b32 v11, v59
	v_dual_mov_b32 v12, v60 :: v_dual_mov_b32 v13, v61
	v_dual_mov_b32 v14, v56 :: v_dual_mov_b32 v15, v57
	ds_store_b64 v117, v[20:21]
	ds_store_2addr_b64 v118, v[0:1], v[2:3] offset0:8 offset1:9
	ds_store_2addr_b64 v118, v[4:5], v[6:7] offset0:10 offset1:11
	;; [unrolled: 1-line block ×4, first 2 shown]
	v_dual_mov_b32 v0, v78 :: v_dual_mov_b32 v1, v79
	v_dual_mov_b32 v2, v74 :: v_dual_mov_b32 v3, v75
	;; [unrolled: 1-line block ×12, first 2 shown]
	ds_store_2addr_b64 v118, v[0:1], v[2:3] offset0:16 offset1:17
	ds_store_2addr_b64 v118, v[4:5], v[6:7] offset0:18 offset1:19
	ds_store_2addr_b64 v118, v[8:9], v[10:11] offset0:20 offset1:21
	ds_store_2addr_b64 v118, v[12:13], v[14:15] offset0:22 offset1:23
	ds_store_2addr_b64 v118, v[18:19], v[28:29] offset0:24 offset1:25
	ds_store_2addr_b64 v118, v[30:31], v[32:33] offset0:26 offset1:27
	v_dual_mov_b32 v0, v128 :: v_dual_mov_b32 v1, v129
	v_dual_mov_b32 v2, v124 :: v_dual_mov_b32 v3, v125
	;; [unrolled: 1-line block ×12, first 2 shown]
	ds_store_2addr_b64 v118, v[0:1], v[2:3] offset0:28 offset1:29
	ds_store_2addr_b64 v118, v[4:5], v[6:7] offset0:30 offset1:31
	;; [unrolled: 1-line block ×6, first 2 shown]
	v_dual_mov_b32 v0, v182 :: v_dual_mov_b32 v1, v183
	v_dual_mov_b32 v2, v178 :: v_dual_mov_b32 v3, v179
	;; [unrolled: 1-line block ×11, first 2 shown]
	ds_store_2addr_b64 v118, v[0:1], v[2:3] offset0:40 offset1:41
	ds_store_2addr_b64 v118, v[4:5], v[6:7] offset0:42 offset1:43
	;; [unrolled: 1-line block ×6, first 2 shown]
	ds_load_b64 v[0:1], v117
	s_wait_dscnt 0x0
	v_cmp_neq_f32_e32 vcc_lo, 0, v0
	v_cmp_neq_f32_e64 s1, 0, v1
	s_or_b32 s1, vcc_lo, s1
	s_delay_alu instid0(SALU_CYCLE_1)
	s_and_b32 exec_lo, exec_lo, s1
	s_cbranch_execz .LBB103_71
; %bb.66:
	v_cmp_ngt_f32_e64 s1, |v0|, |v1|
                                        ; implicit-def: $vgpr2_vgpr3
	s_and_saveexec_b32 s4, s1
	s_delay_alu instid0(SALU_CYCLE_1)
	s_xor_b32 s1, exec_lo, s4
	s_cbranch_execz .LBB103_68
; %bb.67:
	v_div_scale_f32 v2, null, v1, v1, v0
	v_div_scale_f32 v5, vcc_lo, v0, v1, v0
	s_delay_alu instid0(VALU_DEP_2) | instskip(SKIP_1) | instid1(TRANS32_DEP_1)
	v_rcp_f32_e32 v3, v2
	v_nop
	v_fma_f32 v4, -v2, v3, 1.0
	s_delay_alu instid0(VALU_DEP_1) | instskip(NEXT) | instid1(VALU_DEP_1)
	v_fmac_f32_e32 v3, v4, v3
	v_mul_f32_e32 v4, v5, v3
	s_delay_alu instid0(VALU_DEP_1) | instskip(NEXT) | instid1(VALU_DEP_1)
	v_fma_f32 v6, -v2, v4, v5
	v_fmac_f32_e32 v4, v6, v3
	s_delay_alu instid0(VALU_DEP_1) | instskip(NEXT) | instid1(VALU_DEP_1)
	v_fma_f32 v2, -v2, v4, v5
	v_div_fmas_f32 v2, v2, v3, v4
	s_delay_alu instid0(VALU_DEP_1) | instskip(NEXT) | instid1(VALU_DEP_1)
	v_div_fixup_f32 v2, v2, v1, v0
	v_fmac_f32_e32 v1, v0, v2
	s_delay_alu instid0(VALU_DEP_1) | instskip(SKIP_1) | instid1(VALU_DEP_2)
	v_div_scale_f32 v0, null, v1, v1, 1.0
	v_div_scale_f32 v5, vcc_lo, 1.0, v1, 1.0
	v_rcp_f32_e32 v3, v0
	v_nop
	s_delay_alu instid0(TRANS32_DEP_1) | instskip(NEXT) | instid1(VALU_DEP_1)
	v_fma_f32 v4, -v0, v3, 1.0
	v_fmac_f32_e32 v3, v4, v3
	s_delay_alu instid0(VALU_DEP_1) | instskip(NEXT) | instid1(VALU_DEP_1)
	v_mul_f32_e32 v4, v5, v3
	v_fma_f32 v6, -v0, v4, v5
	s_delay_alu instid0(VALU_DEP_1) | instskip(NEXT) | instid1(VALU_DEP_1)
	v_fmac_f32_e32 v4, v6, v3
	v_fma_f32 v0, -v0, v4, v5
	s_delay_alu instid0(VALU_DEP_1) | instskip(NEXT) | instid1(VALU_DEP_1)
	v_div_fmas_f32 v0, v0, v3, v4
	v_div_fixup_f32 v0, v0, v1, 1.0
	s_delay_alu instid0(VALU_DEP_1)
	v_mul_f32_e32 v2, v2, v0
	v_xor_b32_e32 v3, 0x80000000, v0
                                        ; implicit-def: $vgpr0_vgpr1
.LBB103_68:
	s_and_not1_saveexec_b32 s1, s1
	s_cbranch_execz .LBB103_70
; %bb.69:
	v_div_scale_f32 v2, null, v0, v0, v1
	v_div_scale_f32 v5, vcc_lo, v1, v0, v1
	s_delay_alu instid0(VALU_DEP_2) | instskip(SKIP_1) | instid1(TRANS32_DEP_1)
	v_rcp_f32_e32 v3, v2
	v_nop
	v_fma_f32 v4, -v2, v3, 1.0
	s_delay_alu instid0(VALU_DEP_1) | instskip(NEXT) | instid1(VALU_DEP_1)
	v_fmac_f32_e32 v3, v4, v3
	v_mul_f32_e32 v4, v5, v3
	s_delay_alu instid0(VALU_DEP_1) | instskip(NEXT) | instid1(VALU_DEP_1)
	v_fma_f32 v6, -v2, v4, v5
	v_fmac_f32_e32 v4, v6, v3
	s_delay_alu instid0(VALU_DEP_1) | instskip(NEXT) | instid1(VALU_DEP_1)
	v_fma_f32 v2, -v2, v4, v5
	v_div_fmas_f32 v2, v2, v3, v4
	s_delay_alu instid0(VALU_DEP_1) | instskip(NEXT) | instid1(VALU_DEP_1)
	v_div_fixup_f32 v3, v2, v0, v1
	v_fmac_f32_e32 v0, v1, v3
	s_delay_alu instid0(VALU_DEP_1) | instskip(NEXT) | instid1(VALU_DEP_1)
	v_div_scale_f32 v1, null, v0, v0, 1.0
	v_rcp_f32_e32 v2, v1
	v_nop
	s_delay_alu instid0(TRANS32_DEP_1) | instskip(NEXT) | instid1(VALU_DEP_1)
	v_fma_f32 v4, -v1, v2, 1.0
	v_fmac_f32_e32 v2, v4, v2
	v_div_scale_f32 v4, vcc_lo, 1.0, v0, 1.0
	s_delay_alu instid0(VALU_DEP_1) | instskip(NEXT) | instid1(VALU_DEP_1)
	v_mul_f32_e32 v5, v4, v2
	v_fma_f32 v6, -v1, v5, v4
	s_delay_alu instid0(VALU_DEP_1) | instskip(NEXT) | instid1(VALU_DEP_1)
	v_fmac_f32_e32 v5, v6, v2
	v_fma_f32 v1, -v1, v5, v4
	s_delay_alu instid0(VALU_DEP_1) | instskip(NEXT) | instid1(VALU_DEP_1)
	v_div_fmas_f32 v1, v1, v2, v5
	v_div_fixup_f32 v2, v1, v0, 1.0
	s_delay_alu instid0(VALU_DEP_1)
	v_mul_f32_e64 v3, v3, -v2
.LBB103_70:
	s_or_b32 exec_lo, exec_lo, s1
	ds_store_b64 v117, v[2:3]
.LBB103_71:
	s_or_b32 exec_lo, exec_lo, s2
	s_wait_dscnt 0x0
	s_barrier_signal -1
	s_barrier_wait -1
	ds_load_b64 v[0:1], v117
	s_mov_b32 s1, exec_lo
	s_wait_dscnt 0x0
	scratch_store_b64 off, v[0:1], off offset:144 ; 8-byte Folded Spill
	s_wait_xcnt 0x0
	v_cmpx_lt_u32_e32 7, v116
	s_cbranch_execz .LBB103_73
; %bb.72:
	scratch_load_b64 v[4:5], off, off offset:144 ; 8-byte Folded Reload
	s_wait_loadcnt 0x0
	v_pk_mul_f32 v[2:3], v[4:5], v[20:21] op_sel:[1,1] op_sel_hi:[0,1]
	s_delay_alu instid0(VALU_DEP_1)
	v_pk_fma_f32 v[0:1], v[4:5], v[20:21], v[2:3] op_sel_hi:[1,0,1] neg_lo:[0,0,1] neg_hi:[0,0,1]
	v_pk_fma_f32 v[2:3], v[4:5], v[20:21], v[2:3] op_sel_hi:[1,0,1]
	ds_load_2addr_b64 v[4:7], v118 offset0:8 offset1:9
	v_dual_mov_b32 v20, v0 :: v_dual_mov_b32 v21, v3
	s_wait_dscnt 0x0
	v_pk_mul_f32 v[8:9], v[4:5], v[2:3] op_sel:[0,1]
	s_delay_alu instid0(VALU_DEP_1) | instskip(SKIP_1) | instid1(VALU_DEP_1)
	v_pk_fma_f32 v[10:11], v[4:5], v[0:1], v[8:9] op_sel:[0,0,1] op_sel_hi:[1,1,0] neg_lo:[0,0,1] neg_hi:[0,0,1]
	v_pk_fma_f32 v[4:5], v[4:5], v[0:1], v[8:9] op_sel:[0,0,1] op_sel_hi:[1,0,0]
	v_mov_b32_e32 v11, v5
	v_pk_mul_f32 v[4:5], v[6:7], v[2:3] op_sel:[0,1]
	s_delay_alu instid0(VALU_DEP_1) | instskip(SKIP_1) | instid1(VALU_DEP_1)
	v_pk_fma_f32 v[8:9], v[6:7], v[0:1], v[4:5] op_sel:[0,0,1] op_sel_hi:[1,1,0] neg_lo:[0,0,1] neg_hi:[0,0,1]
	v_pk_fma_f32 v[4:5], v[6:7], v[0:1], v[4:5] op_sel:[0,0,1] op_sel_hi:[1,0,0]
	v_mov_b32_e32 v9, v5
	ds_load_2addr_b64 v[4:7], v118 offset0:10 offset1:11
	v_pk_add_f32 v[40:41], v[40:41], v[10:11] neg_lo:[0,1] neg_hi:[0,1]
	v_pk_add_f32 v[36:37], v[36:37], v[8:9] neg_lo:[0,1] neg_hi:[0,1]
	s_wait_dscnt 0x0
	v_pk_mul_f32 v[8:9], v[4:5], v[2:3] op_sel:[0,1]
	s_delay_alu instid0(VALU_DEP_1) | instskip(SKIP_2) | instid1(VALU_DEP_2)
	v_pk_fma_f32 v[10:11], v[4:5], v[0:1], v[8:9] op_sel:[0,0,1] op_sel_hi:[1,1,0] neg_lo:[0,0,1] neg_hi:[0,0,1]
	v_pk_fma_f32 v[4:5], v[4:5], v[0:1], v[8:9] op_sel:[0,0,1] op_sel_hi:[1,0,0]
	v_dual_mul_f32 v8, v7, v3 :: v_dual_mov_b32 v4, v7
	v_dual_mov_b32 v11, v5 :: v_dual_mov_b32 v5, v6
	s_delay_alu instid0(VALU_DEP_2) | instskip(SKIP_1) | instid1(VALU_DEP_3)
	v_pk_fma_f32 v[8:9], v[6:7], v[20:21], v[8:9] op_sel_hi:[1,1,0] neg_lo:[0,0,1] neg_hi:[0,0,1]
	v_mul_f32_e32 v6, v7, v0
	v_pk_add_f32 v[38:39], v[38:39], v[10:11] neg_lo:[0,1] neg_hi:[0,1]
	s_delay_alu instid0(VALU_DEP_2) | instskip(NEXT) | instid1(VALU_DEP_1)
	v_pk_fma_f32 v[4:5], v[4:5], v[20:21], v[6:7] op_sel_hi:[1,1,0]
	v_mov_b32_e32 v9, v5
	ds_load_2addr_b64 v[4:7], v118 offset0:12 offset1:13
	v_pk_add_f32 v[34:35], v[34:35], v[8:9] neg_lo:[0,1] neg_hi:[0,1]
	s_wait_dscnt 0x0
	v_pk_mul_f32 v[8:9], v[4:5], v[2:3] op_sel:[0,1]
	s_delay_alu instid0(VALU_DEP_1) | instskip(SKIP_1) | instid1(VALU_DEP_1)
	v_pk_fma_f32 v[10:11], v[4:5], v[0:1], v[8:9] op_sel:[0,0,1] op_sel_hi:[1,1,0] neg_lo:[0,0,1] neg_hi:[0,0,1]
	v_pk_fma_f32 v[4:5], v[4:5], v[0:1], v[8:9] op_sel:[0,0,1] op_sel_hi:[1,0,0]
	v_mov_b32_e32 v11, v5
	v_pk_mul_f32 v[4:5], v[6:7], v[2:3] op_sel:[0,1]
	s_delay_alu instid0(VALU_DEP_1) | instskip(SKIP_1) | instid1(VALU_DEP_1)
	v_pk_fma_f32 v[8:9], v[6:7], v[0:1], v[4:5] op_sel:[0,0,1] op_sel_hi:[1,1,0] neg_lo:[0,0,1] neg_hi:[0,0,1]
	v_pk_fma_f32 v[4:5], v[6:7], v[0:1], v[4:5] op_sel:[0,0,1] op_sel_hi:[1,0,0]
	v_mov_b32_e32 v9, v5
	ds_load_2addr_b64 v[4:7], v118 offset0:14 offset1:15
	v_pk_add_f32 v[62:63], v[62:63], v[10:11] neg_lo:[0,1] neg_hi:[0,1]
	v_pk_add_f32 v[58:59], v[58:59], v[8:9] neg_lo:[0,1] neg_hi:[0,1]
	s_wait_dscnt 0x0
	v_pk_mul_f32 v[8:9], v[4:5], v[2:3] op_sel:[0,1]
	s_delay_alu instid0(VALU_DEP_1) | instskip(SKIP_1) | instid1(VALU_DEP_1)
	v_pk_fma_f32 v[10:11], v[4:5], v[0:1], v[8:9] op_sel:[0,0,1] op_sel_hi:[1,1,0] neg_lo:[0,0,1] neg_hi:[0,0,1]
	v_pk_fma_f32 v[4:5], v[4:5], v[0:1], v[8:9] op_sel:[0,0,1] op_sel_hi:[1,0,0]
	v_mov_b32_e32 v11, v5
	v_pk_mul_f32 v[4:5], v[6:7], v[2:3] op_sel:[0,1]
	s_delay_alu instid0(VALU_DEP_1) | instskip(SKIP_1) | instid1(VALU_DEP_1)
	v_pk_fma_f32 v[8:9], v[6:7], v[0:1], v[4:5] op_sel:[0,0,1] op_sel_hi:[1,1,0] neg_lo:[0,0,1] neg_hi:[0,0,1]
	v_pk_fma_f32 v[4:5], v[6:7], v[0:1], v[4:5] op_sel:[0,0,1] op_sel_hi:[1,0,0]
	v_mov_b32_e32 v9, v5
	ds_load_2addr_b64 v[4:7], v118 offset0:16 offset1:17
	v_pk_add_f32 v[60:61], v[60:61], v[10:11] neg_lo:[0,1] neg_hi:[0,1]
	v_pk_add_f32 v[56:57], v[56:57], v[8:9] neg_lo:[0,1] neg_hi:[0,1]
	s_wait_dscnt 0x0
	v_dual_mul_f32 v8, v5, v3 :: v_dual_mul_f32 v10, v5, v0
	s_delay_alu instid0(VALU_DEP_1) | instskip(NEXT) | instid1(VALU_DEP_2)
	v_pk_fma_f32 v[8:9], v[4:5], v[20:21], v[8:9] op_sel_hi:[1,1,0] neg_lo:[0,0,1] neg_hi:[0,0,1]
	v_pk_fma_f32 v[4:5], v[4:5], v[20:21], v[10:11] op_sel:[1,0,0] op_sel_hi:[0,1,0]
	s_delay_alu instid0(VALU_DEP_1) | instskip(SKIP_1) | instid1(VALU_DEP_2)
	v_mov_b32_e32 v9, v5
	v_pk_mul_f32 v[4:5], v[6:7], v[2:3] op_sel:[0,1]
	v_pk_add_f32 v[78:79], v[78:79], v[8:9] neg_lo:[0,1] neg_hi:[0,1]
	s_delay_alu instid0(VALU_DEP_2) | instskip(SKIP_1) | instid1(VALU_DEP_1)
	v_pk_fma_f32 v[8:9], v[6:7], v[0:1], v[4:5] op_sel:[0,0,1] op_sel_hi:[1,1,0] neg_lo:[0,0,1] neg_hi:[0,0,1]
	v_pk_fma_f32 v[4:5], v[6:7], v[0:1], v[4:5] op_sel:[0,0,1] op_sel_hi:[1,0,0]
	v_mov_b32_e32 v9, v5
	ds_load_2addr_b64 v[4:7], v118 offset0:18 offset1:19
	v_pk_add_f32 v[74:75], v[74:75], v[8:9] neg_lo:[0,1] neg_hi:[0,1]
	s_wait_dscnt 0x0
	v_pk_mul_f32 v[8:9], v[4:5], v[2:3] op_sel:[0,1]
	s_delay_alu instid0(VALU_DEP_1) | instskip(SKIP_1) | instid1(VALU_DEP_1)
	v_pk_fma_f32 v[10:11], v[4:5], v[0:1], v[8:9] op_sel:[0,0,1] op_sel_hi:[1,1,0] neg_lo:[0,0,1] neg_hi:[0,0,1]
	v_pk_fma_f32 v[4:5], v[4:5], v[0:1], v[8:9] op_sel:[0,0,1] op_sel_hi:[1,0,0]
	v_mov_b32_e32 v11, v5
	v_pk_mul_f32 v[4:5], v[6:7], v[2:3] op_sel:[0,1]
	s_delay_alu instid0(VALU_DEP_2) | instskip(NEXT) | instid1(VALU_DEP_2)
	v_pk_add_f32 v[76:77], v[76:77], v[10:11] neg_lo:[0,1] neg_hi:[0,1]
	v_pk_fma_f32 v[8:9], v[6:7], v[0:1], v[4:5] op_sel:[0,0,1] op_sel_hi:[1,1,0] neg_lo:[0,0,1] neg_hi:[0,0,1]
	v_pk_fma_f32 v[4:5], v[6:7], v[0:1], v[4:5] op_sel:[0,0,1] op_sel_hi:[1,0,0]
	s_delay_alu instid0(VALU_DEP_1) | instskip(SKIP_4) | instid1(VALU_DEP_1)
	v_mov_b32_e32 v9, v5
	ds_load_2addr_b64 v[4:7], v118 offset0:20 offset1:21
	v_pk_add_f32 v[72:73], v[72:73], v[8:9] neg_lo:[0,1] neg_hi:[0,1]
	s_wait_dscnt 0x0
	v_pk_mul_f32 v[8:9], v[4:5], v[2:3] op_sel:[0,1]
	v_pk_fma_f32 v[10:11], v[4:5], v[0:1], v[8:9] op_sel:[0,0,1] op_sel_hi:[1,1,0] neg_lo:[0,0,1] neg_hi:[0,0,1]
	v_pk_fma_f32 v[4:5], v[4:5], v[0:1], v[8:9] op_sel:[0,0,1] op_sel_hi:[1,0,0]
	v_dual_mul_f32 v8, v7, v3 :: v_dual_mov_b32 v4, v7
	s_delay_alu instid0(VALU_DEP_2) | instskip(NEXT) | instid1(VALU_DEP_2)
	v_dual_mov_b32 v11, v5 :: v_dual_mov_b32 v5, v6
	v_pk_fma_f32 v[8:9], v[6:7], v[20:21], v[8:9] op_sel_hi:[1,1,0] neg_lo:[0,0,1] neg_hi:[0,0,1]
	v_mul_f32_e32 v6, v7, v0
	s_delay_alu instid0(VALU_DEP_3) | instskip(NEXT) | instid1(VALU_DEP_2)
	v_pk_add_f32 v[94:95], v[94:95], v[10:11] neg_lo:[0,1] neg_hi:[0,1]
	v_pk_fma_f32 v[4:5], v[4:5], v[20:21], v[6:7] op_sel_hi:[1,1,0]
	s_delay_alu instid0(VALU_DEP_1) | instskip(SKIP_4) | instid1(VALU_DEP_1)
	v_mov_b32_e32 v9, v5
	ds_load_2addr_b64 v[4:7], v118 offset0:22 offset1:23
	v_pk_add_f32 v[90:91], v[90:91], v[8:9] neg_lo:[0,1] neg_hi:[0,1]
	s_wait_dscnt 0x0
	v_pk_mul_f32 v[8:9], v[4:5], v[2:3] op_sel:[0,1]
	v_pk_fma_f32 v[10:11], v[4:5], v[0:1], v[8:9] op_sel:[0,0,1] op_sel_hi:[1,1,0] neg_lo:[0,0,1] neg_hi:[0,0,1]
	v_pk_fma_f32 v[4:5], v[4:5], v[0:1], v[8:9] op_sel:[0,0,1] op_sel_hi:[1,0,0]
	s_delay_alu instid0(VALU_DEP_1) | instskip(SKIP_1) | instid1(VALU_DEP_1)
	v_mov_b32_e32 v11, v5
	v_pk_mul_f32 v[4:5], v[6:7], v[2:3] op_sel:[0,1]
	v_pk_fma_f32 v[8:9], v[6:7], v[0:1], v[4:5] op_sel:[0,0,1] op_sel_hi:[1,1,0] neg_lo:[0,0,1] neg_hi:[0,0,1]
	v_pk_fma_f32 v[4:5], v[6:7], v[0:1], v[4:5] op_sel:[0,0,1] op_sel_hi:[1,0,0]
	s_delay_alu instid0(VALU_DEP_1)
	v_mov_b32_e32 v9, v5
	ds_load_2addr_b64 v[4:7], v118 offset0:24 offset1:25
	v_pk_add_f32 v[92:93], v[92:93], v[10:11] neg_lo:[0,1] neg_hi:[0,1]
	v_pk_add_f32 v[88:89], v[88:89], v[8:9] neg_lo:[0,1] neg_hi:[0,1]
	s_wait_dscnt 0x0
	v_pk_mul_f32 v[8:9], v[4:5], v[2:3] op_sel:[0,1]
	s_delay_alu instid0(VALU_DEP_1) | instskip(SKIP_1) | instid1(VALU_DEP_1)
	v_pk_fma_f32 v[10:11], v[4:5], v[0:1], v[8:9] op_sel:[0,0,1] op_sel_hi:[1,1,0] neg_lo:[0,0,1] neg_hi:[0,0,1]
	v_pk_fma_f32 v[4:5], v[4:5], v[0:1], v[8:9] op_sel:[0,0,1] op_sel_hi:[1,0,0]
	v_mov_b32_e32 v11, v5
	v_pk_mul_f32 v[4:5], v[6:7], v[2:3] op_sel:[0,1]
	s_delay_alu instid0(VALU_DEP_1) | instskip(SKIP_1) | instid1(VALU_DEP_1)
	v_pk_fma_f32 v[8:9], v[6:7], v[0:1], v[4:5] op_sel:[0,0,1] op_sel_hi:[1,1,0] neg_lo:[0,0,1] neg_hi:[0,0,1]
	v_pk_fma_f32 v[4:5], v[6:7], v[0:1], v[4:5] op_sel:[0,0,1] op_sel_hi:[1,0,0]
	v_mov_b32_e32 v9, v5
	ds_load_2addr_b64 v[4:7], v118 offset0:26 offset1:27
	v_pk_add_f32 v[112:113], v[112:113], v[10:11] neg_lo:[0,1] neg_hi:[0,1]
	v_pk_add_f32 v[108:109], v[108:109], v[8:9] neg_lo:[0,1] neg_hi:[0,1]
	s_wait_dscnt 0x0
	v_dual_mul_f32 v8, v5, v3 :: v_dual_mul_f32 v10, v5, v0
	s_delay_alu instid0(VALU_DEP_1) | instskip(NEXT) | instid1(VALU_DEP_2)
	v_pk_fma_f32 v[8:9], v[4:5], v[20:21], v[8:9] op_sel_hi:[1,1,0] neg_lo:[0,0,1] neg_hi:[0,0,1]
	v_pk_fma_f32 v[4:5], v[4:5], v[20:21], v[10:11] op_sel:[1,0,0] op_sel_hi:[0,1,0]
	s_delay_alu instid0(VALU_DEP_1) | instskip(SKIP_1) | instid1(VALU_DEP_2)
	v_mov_b32_e32 v9, v5
	v_pk_mul_f32 v[4:5], v[6:7], v[2:3] op_sel:[0,1]
	v_pk_add_f32 v[110:111], v[110:111], v[8:9] neg_lo:[0,1] neg_hi:[0,1]
	s_delay_alu instid0(VALU_DEP_2) | instskip(SKIP_1) | instid1(VALU_DEP_1)
	v_pk_fma_f32 v[8:9], v[6:7], v[0:1], v[4:5] op_sel:[0,0,1] op_sel_hi:[1,1,0] neg_lo:[0,0,1] neg_hi:[0,0,1]
	v_pk_fma_f32 v[4:5], v[6:7], v[0:1], v[4:5] op_sel:[0,0,1] op_sel_hi:[1,0,0]
	v_mov_b32_e32 v9, v5
	ds_load_2addr_b64 v[4:7], v118 offset0:28 offset1:29
	v_pk_add_f32 v[106:107], v[106:107], v[8:9] neg_lo:[0,1] neg_hi:[0,1]
	s_wait_dscnt 0x0
	v_pk_mul_f32 v[8:9], v[4:5], v[2:3] op_sel:[0,1]
	s_delay_alu instid0(VALU_DEP_1) | instskip(SKIP_1) | instid1(VALU_DEP_1)
	v_pk_fma_f32 v[10:11], v[4:5], v[0:1], v[8:9] op_sel:[0,0,1] op_sel_hi:[1,1,0] neg_lo:[0,0,1] neg_hi:[0,0,1]
	v_pk_fma_f32 v[4:5], v[4:5], v[0:1], v[8:9] op_sel:[0,0,1] op_sel_hi:[1,0,0]
	v_mov_b32_e32 v11, v5
	v_pk_mul_f32 v[4:5], v[6:7], v[2:3] op_sel:[0,1]
	s_delay_alu instid0(VALU_DEP_2) | instskip(NEXT) | instid1(VALU_DEP_2)
	v_pk_add_f32 v[128:129], v[128:129], v[10:11] neg_lo:[0,1] neg_hi:[0,1]
	v_pk_fma_f32 v[8:9], v[6:7], v[0:1], v[4:5] op_sel:[0,0,1] op_sel_hi:[1,1,0] neg_lo:[0,0,1] neg_hi:[0,0,1]
	v_pk_fma_f32 v[4:5], v[6:7], v[0:1], v[4:5] op_sel:[0,0,1] op_sel_hi:[1,0,0]
	s_delay_alu instid0(VALU_DEP_1) | instskip(SKIP_4) | instid1(VALU_DEP_1)
	v_mov_b32_e32 v9, v5
	ds_load_2addr_b64 v[4:7], v118 offset0:30 offset1:31
	v_pk_add_f32 v[124:125], v[124:125], v[8:9] neg_lo:[0,1] neg_hi:[0,1]
	s_wait_dscnt 0x0
	v_pk_mul_f32 v[8:9], v[4:5], v[2:3] op_sel:[0,1]
	v_pk_fma_f32 v[10:11], v[4:5], v[0:1], v[8:9] op_sel:[0,0,1] op_sel_hi:[1,1,0] neg_lo:[0,0,1] neg_hi:[0,0,1]
	v_pk_fma_f32 v[4:5], v[4:5], v[0:1], v[8:9] op_sel:[0,0,1] op_sel_hi:[1,0,0]
	v_dual_mul_f32 v8, v7, v3 :: v_dual_mov_b32 v4, v7
	s_delay_alu instid0(VALU_DEP_2) | instskip(NEXT) | instid1(VALU_DEP_2)
	v_dual_mov_b32 v11, v5 :: v_dual_mov_b32 v5, v6
	v_pk_fma_f32 v[8:9], v[6:7], v[20:21], v[8:9] op_sel_hi:[1,1,0] neg_lo:[0,0,1] neg_hi:[0,0,1]
	v_mul_f32_e32 v6, v7, v0
	s_delay_alu instid0(VALU_DEP_3) | instskip(NEXT) | instid1(VALU_DEP_2)
	v_pk_add_f32 v[126:127], v[126:127], v[10:11] neg_lo:[0,1] neg_hi:[0,1]
	v_pk_fma_f32 v[4:5], v[4:5], v[20:21], v[6:7] op_sel_hi:[1,1,0]
	s_delay_alu instid0(VALU_DEP_1) | instskip(SKIP_4) | instid1(VALU_DEP_1)
	v_mov_b32_e32 v9, v5
	ds_load_2addr_b64 v[4:7], v118 offset0:32 offset1:33
	v_pk_add_f32 v[122:123], v[122:123], v[8:9] neg_lo:[0,1] neg_hi:[0,1]
	s_wait_dscnt 0x0
	v_pk_mul_f32 v[8:9], v[4:5], v[2:3] op_sel:[0,1]
	v_pk_fma_f32 v[10:11], v[4:5], v[0:1], v[8:9] op_sel:[0,0,1] op_sel_hi:[1,1,0] neg_lo:[0,0,1] neg_hi:[0,0,1]
	v_pk_fma_f32 v[4:5], v[4:5], v[0:1], v[8:9] op_sel:[0,0,1] op_sel_hi:[1,0,0]
	s_delay_alu instid0(VALU_DEP_1) | instskip(SKIP_1) | instid1(VALU_DEP_1)
	v_mov_b32_e32 v11, v5
	v_pk_mul_f32 v[4:5], v[6:7], v[2:3] op_sel:[0,1]
	v_pk_fma_f32 v[8:9], v[6:7], v[0:1], v[4:5] op_sel:[0,0,1] op_sel_hi:[1,1,0] neg_lo:[0,0,1] neg_hi:[0,0,1]
	v_pk_fma_f32 v[4:5], v[6:7], v[0:1], v[4:5] op_sel:[0,0,1] op_sel_hi:[1,0,0]
	s_delay_alu instid0(VALU_DEP_1)
	v_mov_b32_e32 v9, v5
	ds_load_2addr_b64 v[4:7], v118 offset0:34 offset1:35
	v_pk_add_f32 v[146:147], v[146:147], v[10:11] neg_lo:[0,1] neg_hi:[0,1]
	v_pk_add_f32 v[142:143], v[142:143], v[8:9] neg_lo:[0,1] neg_hi:[0,1]
	s_wait_dscnt 0x0
	v_pk_mul_f32 v[8:9], v[4:5], v[2:3] op_sel:[0,1]
	s_delay_alu instid0(VALU_DEP_1) | instskip(SKIP_1) | instid1(VALU_DEP_1)
	v_pk_fma_f32 v[10:11], v[4:5], v[0:1], v[8:9] op_sel:[0,0,1] op_sel_hi:[1,1,0] neg_lo:[0,0,1] neg_hi:[0,0,1]
	v_pk_fma_f32 v[4:5], v[4:5], v[0:1], v[8:9] op_sel:[0,0,1] op_sel_hi:[1,0,0]
	v_mov_b32_e32 v11, v5
	v_pk_mul_f32 v[4:5], v[6:7], v[2:3] op_sel:[0,1]
	s_delay_alu instid0(VALU_DEP_1) | instskip(SKIP_1) | instid1(VALU_DEP_1)
	v_pk_fma_f32 v[8:9], v[6:7], v[0:1], v[4:5] op_sel:[0,0,1] op_sel_hi:[1,1,0] neg_lo:[0,0,1] neg_hi:[0,0,1]
	v_pk_fma_f32 v[4:5], v[6:7], v[0:1], v[4:5] op_sel:[0,0,1] op_sel_hi:[1,0,0]
	v_mov_b32_e32 v9, v5
	ds_load_2addr_b64 v[4:7], v118 offset0:36 offset1:37
	v_pk_add_f32 v[144:145], v[144:145], v[10:11] neg_lo:[0,1] neg_hi:[0,1]
	v_pk_add_f32 v[140:141], v[140:141], v[8:9] neg_lo:[0,1] neg_hi:[0,1]
	s_wait_dscnt 0x0
	v_dual_mul_f32 v8, v5, v3 :: v_dual_mul_f32 v10, v5, v0
	s_delay_alu instid0(VALU_DEP_1) | instskip(NEXT) | instid1(VALU_DEP_2)
	v_pk_fma_f32 v[8:9], v[4:5], v[20:21], v[8:9] op_sel_hi:[1,1,0] neg_lo:[0,0,1] neg_hi:[0,0,1]
	v_pk_fma_f32 v[4:5], v[4:5], v[20:21], v[10:11] op_sel:[1,0,0] op_sel_hi:[0,1,0]
	s_delay_alu instid0(VALU_DEP_1) | instskip(SKIP_1) | instid1(VALU_DEP_2)
	v_mov_b32_e32 v9, v5
	v_pk_mul_f32 v[4:5], v[6:7], v[2:3] op_sel:[0,1]
	v_pk_add_f32 v[162:163], v[162:163], v[8:9] neg_lo:[0,1] neg_hi:[0,1]
	s_delay_alu instid0(VALU_DEP_2) | instskip(SKIP_1) | instid1(VALU_DEP_1)
	v_pk_fma_f32 v[8:9], v[6:7], v[0:1], v[4:5] op_sel:[0,0,1] op_sel_hi:[1,1,0] neg_lo:[0,0,1] neg_hi:[0,0,1]
	v_pk_fma_f32 v[4:5], v[6:7], v[0:1], v[4:5] op_sel:[0,0,1] op_sel_hi:[1,0,0]
	v_mov_b32_e32 v9, v5
	ds_load_2addr_b64 v[4:7], v118 offset0:38 offset1:39
	v_pk_add_f32 v[158:159], v[158:159], v[8:9] neg_lo:[0,1] neg_hi:[0,1]
	s_wait_dscnt 0x0
	v_pk_mul_f32 v[8:9], v[4:5], v[2:3] op_sel:[0,1]
	s_delay_alu instid0(VALU_DEP_1) | instskip(SKIP_1) | instid1(VALU_DEP_1)
	v_pk_fma_f32 v[10:11], v[4:5], v[0:1], v[8:9] op_sel:[0,0,1] op_sel_hi:[1,1,0] neg_lo:[0,0,1] neg_hi:[0,0,1]
	v_pk_fma_f32 v[4:5], v[4:5], v[0:1], v[8:9] op_sel:[0,0,1] op_sel_hi:[1,0,0]
	v_mov_b32_e32 v11, v5
	v_pk_mul_f32 v[4:5], v[6:7], v[2:3] op_sel:[0,1]
	s_delay_alu instid0(VALU_DEP_2) | instskip(NEXT) | instid1(VALU_DEP_2)
	v_pk_add_f32 v[160:161], v[160:161], v[10:11] neg_lo:[0,1] neg_hi:[0,1]
	v_pk_fma_f32 v[8:9], v[6:7], v[0:1], v[4:5] op_sel:[0,0,1] op_sel_hi:[1,1,0] neg_lo:[0,0,1] neg_hi:[0,0,1]
	v_pk_fma_f32 v[4:5], v[6:7], v[0:1], v[4:5] op_sel:[0,0,1] op_sel_hi:[1,0,0]
	s_delay_alu instid0(VALU_DEP_1) | instskip(SKIP_4) | instid1(VALU_DEP_1)
	v_mov_b32_e32 v9, v5
	ds_load_2addr_b64 v[4:7], v118 offset0:40 offset1:41
	v_pk_add_f32 v[156:157], v[156:157], v[8:9] neg_lo:[0,1] neg_hi:[0,1]
	s_wait_dscnt 0x0
	v_pk_mul_f32 v[8:9], v[4:5], v[2:3] op_sel:[0,1]
	v_pk_fma_f32 v[10:11], v[4:5], v[0:1], v[8:9] op_sel:[0,0,1] op_sel_hi:[1,1,0] neg_lo:[0,0,1] neg_hi:[0,0,1]
	v_pk_fma_f32 v[4:5], v[4:5], v[0:1], v[8:9] op_sel:[0,0,1] op_sel_hi:[1,0,0]
	v_dual_mul_f32 v8, v7, v3 :: v_dual_mov_b32 v4, v7
	s_delay_alu instid0(VALU_DEP_2) | instskip(NEXT) | instid1(VALU_DEP_2)
	v_dual_mov_b32 v11, v5 :: v_dual_mov_b32 v5, v6
	v_pk_fma_f32 v[8:9], v[6:7], v[20:21], v[8:9] op_sel_hi:[1,1,0] neg_lo:[0,0,1] neg_hi:[0,0,1]
	v_mul_f32_e32 v6, v7, v0
	s_delay_alu instid0(VALU_DEP_3) | instskip(NEXT) | instid1(VALU_DEP_2)
	v_pk_add_f32 v[182:183], v[182:183], v[10:11] neg_lo:[0,1] neg_hi:[0,1]
	v_pk_fma_f32 v[4:5], v[4:5], v[20:21], v[6:7] op_sel_hi:[1,1,0]
	s_delay_alu instid0(VALU_DEP_1) | instskip(SKIP_4) | instid1(VALU_DEP_1)
	v_mov_b32_e32 v9, v5
	ds_load_2addr_b64 v[4:7], v118 offset0:42 offset1:43
	v_pk_add_f32 v[178:179], v[178:179], v[8:9] neg_lo:[0,1] neg_hi:[0,1]
	s_wait_dscnt 0x0
	v_pk_mul_f32 v[8:9], v[4:5], v[2:3] op_sel:[0,1]
	v_pk_fma_f32 v[10:11], v[4:5], v[0:1], v[8:9] op_sel:[0,0,1] op_sel_hi:[1,1,0] neg_lo:[0,0,1] neg_hi:[0,0,1]
	v_pk_fma_f32 v[4:5], v[4:5], v[0:1], v[8:9] op_sel:[0,0,1] op_sel_hi:[1,0,0]
	s_delay_alu instid0(VALU_DEP_1) | instskip(SKIP_1) | instid1(VALU_DEP_1)
	v_mov_b32_e32 v11, v5
	v_pk_mul_f32 v[4:5], v[6:7], v[2:3] op_sel:[0,1]
	v_pk_fma_f32 v[8:9], v[6:7], v[0:1], v[4:5] op_sel:[0,0,1] op_sel_hi:[1,1,0] neg_lo:[0,0,1] neg_hi:[0,0,1]
	v_pk_fma_f32 v[4:5], v[6:7], v[0:1], v[4:5] op_sel:[0,0,1] op_sel_hi:[1,0,0]
	s_delay_alu instid0(VALU_DEP_1)
	v_mov_b32_e32 v9, v5
	ds_load_2addr_b64 v[4:7], v118 offset0:44 offset1:45
	v_pk_add_f32 v[180:181], v[180:181], v[10:11] neg_lo:[0,1] neg_hi:[0,1]
	v_pk_add_f32 v[176:177], v[176:177], v[8:9] neg_lo:[0,1] neg_hi:[0,1]
	s_wait_dscnt 0x0
	v_pk_mul_f32 v[8:9], v[4:5], v[2:3] op_sel:[0,1]
	s_delay_alu instid0(VALU_DEP_1) | instskip(SKIP_1) | instid1(VALU_DEP_1)
	v_pk_fma_f32 v[10:11], v[4:5], v[0:1], v[8:9] op_sel:[0,0,1] op_sel_hi:[1,1,0] neg_lo:[0,0,1] neg_hi:[0,0,1]
	v_pk_fma_f32 v[4:5], v[4:5], v[0:1], v[8:9] op_sel:[0,0,1] op_sel_hi:[1,0,0]
	v_mov_b32_e32 v11, v5
	v_pk_mul_f32 v[4:5], v[6:7], v[2:3] op_sel:[0,1]
	s_delay_alu instid0(VALU_DEP_1) | instskip(SKIP_1) | instid1(VALU_DEP_1)
	v_pk_fma_f32 v[8:9], v[6:7], v[0:1], v[4:5] op_sel:[0,0,1] op_sel_hi:[1,1,0] neg_lo:[0,0,1] neg_hi:[0,0,1]
	v_pk_fma_f32 v[4:5], v[6:7], v[0:1], v[4:5] op_sel:[0,0,1] op_sel_hi:[1,0,0]
	v_mov_b32_e32 v9, v5
	ds_load_2addr_b64 v[4:7], v118 offset0:46 offset1:47
	v_pk_add_f32 v[204:205], v[204:205], v[10:11] neg_lo:[0,1] neg_hi:[0,1]
	v_pk_add_f32 v[198:199], v[198:199], v[8:9] neg_lo:[0,1] neg_hi:[0,1]
	s_wait_dscnt 0x0
	v_dual_mul_f32 v8, v5, v3 :: v_dual_mul_f32 v10, v5, v0
	s_delay_alu instid0(VALU_DEP_1) | instskip(NEXT) | instid1(VALU_DEP_2)
	v_pk_fma_f32 v[8:9], v[4:5], v[20:21], v[8:9] op_sel_hi:[1,1,0] neg_lo:[0,0,1] neg_hi:[0,0,1]
	v_pk_fma_f32 v[4:5], v[4:5], v[20:21], v[10:11] op_sel:[1,0,0] op_sel_hi:[0,1,0]
	s_delay_alu instid0(VALU_DEP_1) | instskip(SKIP_1) | instid1(VALU_DEP_2)
	v_mov_b32_e32 v9, v5
	v_pk_mul_f32 v[4:5], v[6:7], v[2:3] op_sel:[0,1]
	v_pk_add_f32 v[202:203], v[202:203], v[8:9] neg_lo:[0,1] neg_hi:[0,1]
	s_delay_alu instid0(VALU_DEP_2) | instskip(SKIP_1) | instid1(VALU_DEP_1)
	v_pk_fma_f32 v[8:9], v[6:7], v[0:1], v[4:5] op_sel:[0,0,1] op_sel_hi:[1,1,0] neg_lo:[0,0,1] neg_hi:[0,0,1]
	v_pk_fma_f32 v[4:5], v[6:7], v[0:1], v[4:5] op_sel:[0,0,1] op_sel_hi:[1,0,0]
	v_mov_b32_e32 v9, v5
	ds_load_2addr_b64 v[4:7], v118 offset0:48 offset1:49
	v_pk_add_f32 v[196:197], v[196:197], v[8:9] neg_lo:[0,1] neg_hi:[0,1]
	s_wait_dscnt 0x0
	v_pk_mul_f32 v[8:9], v[4:5], v[2:3] op_sel:[0,1]
	s_delay_alu instid0(VALU_DEP_1) | instskip(SKIP_1) | instid1(VALU_DEP_1)
	v_pk_fma_f32 v[10:11], v[4:5], v[0:1], v[8:9] op_sel:[0,0,1] op_sel_hi:[1,1,0] neg_lo:[0,0,1] neg_hi:[0,0,1]
	v_pk_fma_f32 v[4:5], v[4:5], v[0:1], v[8:9] op_sel:[0,0,1] op_sel_hi:[1,0,0]
	v_mov_b32_e32 v11, v5
	v_pk_mul_f32 v[4:5], v[6:7], v[2:3] op_sel:[0,1]
	s_delay_alu instid0(VALU_DEP_2) | instskip(NEXT) | instid1(VALU_DEP_2)
	v_pk_add_f32 v[200:201], v[200:201], v[10:11] neg_lo:[0,1] neg_hi:[0,1]
	v_pk_fma_f32 v[8:9], v[6:7], v[0:1], v[4:5] op_sel:[0,0,1] op_sel_hi:[1,1,0] neg_lo:[0,0,1] neg_hi:[0,0,1]
	v_pk_fma_f32 v[4:5], v[6:7], v[0:1], v[4:5] op_sel:[0,0,1] op_sel_hi:[1,0,0]
	s_delay_alu instid0(VALU_DEP_1)
	v_mov_b32_e32 v9, v5
	ds_load_2addr_b64 v[4:7], v118 offset0:50 offset1:51
	v_pk_add_f32 v[194:195], v[194:195], v[8:9] neg_lo:[0,1] neg_hi:[0,1]
	s_wait_dscnt 0x0
	v_pk_mul_f32 v[8:9], v[4:5], v[2:3] op_sel:[0,1]
	v_pk_mul_f32 v[2:3], v[6:7], v[2:3] op_sel:[0,1]
	s_delay_alu instid0(VALU_DEP_2) | instskip(SKIP_1) | instid1(VALU_DEP_1)
	v_pk_fma_f32 v[10:11], v[4:5], v[0:1], v[8:9] op_sel:[0,0,1] op_sel_hi:[1,1,0] neg_lo:[0,0,1] neg_hi:[0,0,1]
	v_pk_fma_f32 v[4:5], v[4:5], v[0:1], v[8:9] op_sel:[0,0,1] op_sel_hi:[1,0,0]
	v_mov_b32_e32 v11, v5
	s_delay_alu instid0(VALU_DEP_4) | instskip(SKIP_1) | instid1(VALU_DEP_3)
	v_pk_fma_f32 v[4:5], v[6:7], v[0:1], v[2:3] op_sel:[0,0,1] op_sel_hi:[1,1,0] neg_lo:[0,0,1] neg_hi:[0,0,1]
	v_pk_fma_f32 v[0:1], v[6:7], v[0:1], v[2:3] op_sel:[0,0,1] op_sel_hi:[1,0,0]
	v_pk_add_f32 v[206:207], v[206:207], v[10:11] neg_lo:[0,1] neg_hi:[0,1]
	s_delay_alu instid0(VALU_DEP_2) | instskip(NEXT) | instid1(VALU_DEP_1)
	v_mov_b32_e32 v5, v1
	v_pk_add_f32 v[208:209], v[208:209], v[4:5] neg_lo:[0,1] neg_hi:[0,1]
.LBB103_73:
	s_wait_xcnt 0x0
	s_or_b32 exec_lo, exec_lo, s1
	s_delay_alu instid0(SALU_CYCLE_1)
	s_mov_b32 s2, exec_lo
	s_wait_storecnt 0x0
	s_barrier_signal -1
	s_barrier_wait -1
	v_cmpx_eq_u32_e32 8, v116
	s_cbranch_execz .LBB103_80
; %bb.74:
	ds_store_b64 v117, v[40:41]
	ds_store_2addr_b64 v118, v[36:37], v[38:39] offset0:9 offset1:10
	ds_store_2addr_b64 v118, v[34:35], v[62:63] offset0:11 offset1:12
	ds_store_2addr_b64 v118, v[58:59], v[60:61] offset0:13 offset1:14
	ds_store_2addr_b64 v118, v[56:57], v[78:79] offset0:15 offset1:16
	ds_store_2addr_b64 v118, v[74:75], v[76:77] offset0:17 offset1:18
	ds_store_2addr_b64 v118, v[72:73], v[94:95] offset0:19 offset1:20
	ds_store_2addr_b64 v118, v[90:91], v[92:93] offset0:21 offset1:22
	ds_store_2addr_b64 v118, v[88:89], v[112:113] offset0:23 offset1:24
	ds_store_2addr_b64 v118, v[108:109], v[110:111] offset0:25 offset1:26
	ds_store_2addr_b64 v118, v[106:107], v[128:129] offset0:27 offset1:28
	ds_store_2addr_b64 v118, v[124:125], v[126:127] offset0:29 offset1:30
	ds_store_2addr_b64 v118, v[122:123], v[146:147] offset0:31 offset1:32
	ds_store_2addr_b64 v118, v[142:143], v[144:145] offset0:33 offset1:34
	ds_store_2addr_b64 v118, v[140:141], v[162:163] offset0:35 offset1:36
	ds_store_2addr_b64 v118, v[158:159], v[160:161] offset0:37 offset1:38
	ds_store_2addr_b64 v118, v[156:157], v[182:183] offset0:39 offset1:40
	ds_store_2addr_b64 v118, v[178:179], v[180:181] offset0:41 offset1:42
	ds_store_2addr_b64 v118, v[176:177], v[204:205] offset0:43 offset1:44
	ds_store_2addr_b64 v118, v[198:199], v[202:203] offset0:45 offset1:46
	ds_store_2addr_b64 v118, v[196:197], v[200:201] offset0:47 offset1:48
	ds_store_2addr_b64 v118, v[194:195], v[206:207] offset0:49 offset1:50
	ds_store_b64 v118, v[208:209] offset:408
	ds_load_b64 v[0:1], v117
	s_wait_dscnt 0x0
	v_cmp_neq_f32_e32 vcc_lo, 0, v0
	v_cmp_neq_f32_e64 s1, 0, v1
	s_or_b32 s1, vcc_lo, s1
	s_delay_alu instid0(SALU_CYCLE_1)
	s_and_b32 exec_lo, exec_lo, s1
	s_cbranch_execz .LBB103_80
; %bb.75:
	v_cmp_ngt_f32_e64 s1, |v0|, |v1|
                                        ; implicit-def: $vgpr2_vgpr3
	s_and_saveexec_b32 s4, s1
	s_delay_alu instid0(SALU_CYCLE_1)
	s_xor_b32 s1, exec_lo, s4
	s_cbranch_execz .LBB103_77
; %bb.76:
	v_div_scale_f32 v2, null, v1, v1, v0
	v_div_scale_f32 v5, vcc_lo, v0, v1, v0
	s_delay_alu instid0(VALU_DEP_2) | instskip(SKIP_1) | instid1(TRANS32_DEP_1)
	v_rcp_f32_e32 v3, v2
	v_nop
	v_fma_f32 v4, -v2, v3, 1.0
	s_delay_alu instid0(VALU_DEP_1) | instskip(NEXT) | instid1(VALU_DEP_1)
	v_fmac_f32_e32 v3, v4, v3
	v_mul_f32_e32 v4, v5, v3
	s_delay_alu instid0(VALU_DEP_1) | instskip(NEXT) | instid1(VALU_DEP_1)
	v_fma_f32 v6, -v2, v4, v5
	v_fmac_f32_e32 v4, v6, v3
	s_delay_alu instid0(VALU_DEP_1) | instskip(NEXT) | instid1(VALU_DEP_1)
	v_fma_f32 v2, -v2, v4, v5
	v_div_fmas_f32 v2, v2, v3, v4
	s_delay_alu instid0(VALU_DEP_1) | instskip(NEXT) | instid1(VALU_DEP_1)
	v_div_fixup_f32 v2, v2, v1, v0
	v_fmac_f32_e32 v1, v0, v2
	s_delay_alu instid0(VALU_DEP_1) | instskip(SKIP_1) | instid1(VALU_DEP_2)
	v_div_scale_f32 v0, null, v1, v1, 1.0
	v_div_scale_f32 v5, vcc_lo, 1.0, v1, 1.0
	v_rcp_f32_e32 v3, v0
	v_nop
	s_delay_alu instid0(TRANS32_DEP_1) | instskip(NEXT) | instid1(VALU_DEP_1)
	v_fma_f32 v4, -v0, v3, 1.0
	v_fmac_f32_e32 v3, v4, v3
	s_delay_alu instid0(VALU_DEP_1) | instskip(NEXT) | instid1(VALU_DEP_1)
	v_mul_f32_e32 v4, v5, v3
	v_fma_f32 v6, -v0, v4, v5
	s_delay_alu instid0(VALU_DEP_1) | instskip(NEXT) | instid1(VALU_DEP_1)
	v_fmac_f32_e32 v4, v6, v3
	v_fma_f32 v0, -v0, v4, v5
	s_delay_alu instid0(VALU_DEP_1) | instskip(NEXT) | instid1(VALU_DEP_1)
	v_div_fmas_f32 v0, v0, v3, v4
	v_div_fixup_f32 v0, v0, v1, 1.0
	s_delay_alu instid0(VALU_DEP_1)
	v_mul_f32_e32 v2, v2, v0
	v_xor_b32_e32 v3, 0x80000000, v0
                                        ; implicit-def: $vgpr0_vgpr1
.LBB103_77:
	s_and_not1_saveexec_b32 s1, s1
	s_cbranch_execz .LBB103_79
; %bb.78:
	v_div_scale_f32 v2, null, v0, v0, v1
	v_div_scale_f32 v5, vcc_lo, v1, v0, v1
	s_delay_alu instid0(VALU_DEP_2) | instskip(SKIP_1) | instid1(TRANS32_DEP_1)
	v_rcp_f32_e32 v3, v2
	v_nop
	v_fma_f32 v4, -v2, v3, 1.0
	s_delay_alu instid0(VALU_DEP_1) | instskip(NEXT) | instid1(VALU_DEP_1)
	v_fmac_f32_e32 v3, v4, v3
	v_mul_f32_e32 v4, v5, v3
	s_delay_alu instid0(VALU_DEP_1) | instskip(NEXT) | instid1(VALU_DEP_1)
	v_fma_f32 v6, -v2, v4, v5
	v_fmac_f32_e32 v4, v6, v3
	s_delay_alu instid0(VALU_DEP_1) | instskip(NEXT) | instid1(VALU_DEP_1)
	v_fma_f32 v2, -v2, v4, v5
	v_div_fmas_f32 v2, v2, v3, v4
	s_delay_alu instid0(VALU_DEP_1) | instskip(NEXT) | instid1(VALU_DEP_1)
	v_div_fixup_f32 v3, v2, v0, v1
	v_fmac_f32_e32 v0, v1, v3
	s_delay_alu instid0(VALU_DEP_1) | instskip(NEXT) | instid1(VALU_DEP_1)
	v_div_scale_f32 v1, null, v0, v0, 1.0
	v_rcp_f32_e32 v2, v1
	v_nop
	s_delay_alu instid0(TRANS32_DEP_1) | instskip(NEXT) | instid1(VALU_DEP_1)
	v_fma_f32 v4, -v1, v2, 1.0
	v_fmac_f32_e32 v2, v4, v2
	v_div_scale_f32 v4, vcc_lo, 1.0, v0, 1.0
	s_delay_alu instid0(VALU_DEP_1) | instskip(NEXT) | instid1(VALU_DEP_1)
	v_mul_f32_e32 v5, v4, v2
	v_fma_f32 v6, -v1, v5, v4
	s_delay_alu instid0(VALU_DEP_1) | instskip(NEXT) | instid1(VALU_DEP_1)
	v_fmac_f32_e32 v5, v6, v2
	v_fma_f32 v1, -v1, v5, v4
	s_delay_alu instid0(VALU_DEP_1) | instskip(NEXT) | instid1(VALU_DEP_1)
	v_div_fmas_f32 v1, v1, v2, v5
	v_div_fixup_f32 v2, v1, v0, 1.0
	s_delay_alu instid0(VALU_DEP_1)
	v_mul_f32_e64 v3, v3, -v2
.LBB103_79:
	s_or_b32 exec_lo, exec_lo, s1
	ds_store_b64 v117, v[2:3]
.LBB103_80:
	s_or_b32 exec_lo, exec_lo, s2
	s_wait_dscnt 0x0
	s_barrier_signal -1
	s_barrier_wait -1
	ds_load_b64 v[0:1], v117
	s_mov_b32 s1, exec_lo
	s_wait_dscnt 0x0
	scratch_store_b64 off, v[0:1], off offset:152 ; 8-byte Folded Spill
	s_wait_xcnt 0x0
	v_cmpx_lt_u32_e32 8, v116
	s_cbranch_execz .LBB103_82
; %bb.81:
	scratch_load_b64 v[4:5], off, off offset:152 ; 8-byte Folded Reload
	s_wait_loadcnt 0x0
	v_pk_mul_f32 v[2:3], v[4:5], v[40:41] op_sel:[1,1] op_sel_hi:[0,1]
	s_delay_alu instid0(VALU_DEP_1)
	v_pk_fma_f32 v[0:1], v[4:5], v[40:41], v[2:3] op_sel_hi:[1,0,1] neg_lo:[0,0,1] neg_hi:[0,0,1]
	v_pk_fma_f32 v[2:3], v[4:5], v[40:41], v[2:3] op_sel_hi:[1,0,1]
	ds_load_2addr_b64 v[4:7], v118 offset0:9 offset1:10
	v_dual_mov_b32 v40, v0 :: v_dual_mov_b32 v41, v3
	s_wait_dscnt 0x0
	v_pk_mul_f32 v[8:9], v[4:5], v[2:3] op_sel:[0,1]
	s_delay_alu instid0(VALU_DEP_1) | instskip(SKIP_1) | instid1(VALU_DEP_1)
	v_pk_fma_f32 v[10:11], v[4:5], v[0:1], v[8:9] op_sel:[0,0,1] op_sel_hi:[1,1,0] neg_lo:[0,0,1] neg_hi:[0,0,1]
	v_pk_fma_f32 v[4:5], v[4:5], v[0:1], v[8:9] op_sel:[0,0,1] op_sel_hi:[1,0,0]
	v_mov_b32_e32 v11, v5
	v_pk_mul_f32 v[4:5], v[6:7], v[2:3] op_sel:[0,1]
	s_delay_alu instid0(VALU_DEP_1) | instskip(SKIP_1) | instid1(VALU_DEP_1)
	v_pk_fma_f32 v[8:9], v[6:7], v[0:1], v[4:5] op_sel:[0,0,1] op_sel_hi:[1,1,0] neg_lo:[0,0,1] neg_hi:[0,0,1]
	v_pk_fma_f32 v[4:5], v[6:7], v[0:1], v[4:5] op_sel:[0,0,1] op_sel_hi:[1,0,0]
	v_mov_b32_e32 v9, v5
	ds_load_2addr_b64 v[4:7], v118 offset0:11 offset1:12
	v_pk_add_f32 v[36:37], v[36:37], v[10:11] neg_lo:[0,1] neg_hi:[0,1]
	v_pk_add_f32 v[38:39], v[38:39], v[8:9] neg_lo:[0,1] neg_hi:[0,1]
	s_wait_dscnt 0x0
	v_pk_mul_f32 v[8:9], v[4:5], v[2:3] op_sel:[0,1]
	s_delay_alu instid0(VALU_DEP_1) | instskip(SKIP_2) | instid1(VALU_DEP_2)
	v_pk_fma_f32 v[10:11], v[4:5], v[0:1], v[8:9] op_sel:[0,0,1] op_sel_hi:[1,1,0] neg_lo:[0,0,1] neg_hi:[0,0,1]
	v_pk_fma_f32 v[4:5], v[4:5], v[0:1], v[8:9] op_sel:[0,0,1] op_sel_hi:[1,0,0]
	v_dual_mul_f32 v8, v7, v3 :: v_dual_mov_b32 v4, v7
	v_dual_mov_b32 v11, v5 :: v_dual_mov_b32 v5, v6
	s_delay_alu instid0(VALU_DEP_2) | instskip(SKIP_1) | instid1(VALU_DEP_3)
	v_pk_fma_f32 v[8:9], v[6:7], v[40:41], v[8:9] op_sel_hi:[1,1,0] neg_lo:[0,0,1] neg_hi:[0,0,1]
	v_mul_f32_e32 v6, v7, v0
	v_pk_add_f32 v[34:35], v[34:35], v[10:11] neg_lo:[0,1] neg_hi:[0,1]
	s_delay_alu instid0(VALU_DEP_2) | instskip(NEXT) | instid1(VALU_DEP_1)
	v_pk_fma_f32 v[4:5], v[4:5], v[40:41], v[6:7] op_sel_hi:[1,1,0]
	v_mov_b32_e32 v9, v5
	ds_load_2addr_b64 v[4:7], v118 offset0:13 offset1:14
	v_pk_add_f32 v[62:63], v[62:63], v[8:9] neg_lo:[0,1] neg_hi:[0,1]
	s_wait_dscnt 0x0
	v_pk_mul_f32 v[8:9], v[4:5], v[2:3] op_sel:[0,1]
	s_delay_alu instid0(VALU_DEP_1) | instskip(SKIP_1) | instid1(VALU_DEP_1)
	v_pk_fma_f32 v[10:11], v[4:5], v[0:1], v[8:9] op_sel:[0,0,1] op_sel_hi:[1,1,0] neg_lo:[0,0,1] neg_hi:[0,0,1]
	v_pk_fma_f32 v[4:5], v[4:5], v[0:1], v[8:9] op_sel:[0,0,1] op_sel_hi:[1,0,0]
	v_mov_b32_e32 v11, v5
	v_pk_mul_f32 v[4:5], v[6:7], v[2:3] op_sel:[0,1]
	s_delay_alu instid0(VALU_DEP_1) | instskip(SKIP_1) | instid1(VALU_DEP_1)
	v_pk_fma_f32 v[8:9], v[6:7], v[0:1], v[4:5] op_sel:[0,0,1] op_sel_hi:[1,1,0] neg_lo:[0,0,1] neg_hi:[0,0,1]
	v_pk_fma_f32 v[4:5], v[6:7], v[0:1], v[4:5] op_sel:[0,0,1] op_sel_hi:[1,0,0]
	v_mov_b32_e32 v9, v5
	ds_load_2addr_b64 v[4:7], v118 offset0:15 offset1:16
	v_pk_add_f32 v[58:59], v[58:59], v[10:11] neg_lo:[0,1] neg_hi:[0,1]
	v_pk_add_f32 v[60:61], v[60:61], v[8:9] neg_lo:[0,1] neg_hi:[0,1]
	s_wait_dscnt 0x0
	v_pk_mul_f32 v[8:9], v[4:5], v[2:3] op_sel:[0,1]
	s_delay_alu instid0(VALU_DEP_1) | instskip(SKIP_1) | instid1(VALU_DEP_1)
	v_pk_fma_f32 v[10:11], v[4:5], v[0:1], v[8:9] op_sel:[0,0,1] op_sel_hi:[1,1,0] neg_lo:[0,0,1] neg_hi:[0,0,1]
	v_pk_fma_f32 v[4:5], v[4:5], v[0:1], v[8:9] op_sel:[0,0,1] op_sel_hi:[1,0,0]
	v_mov_b32_e32 v11, v5
	v_pk_mul_f32 v[4:5], v[6:7], v[2:3] op_sel:[0,1]
	s_delay_alu instid0(VALU_DEP_1) | instskip(SKIP_1) | instid1(VALU_DEP_1)
	v_pk_fma_f32 v[8:9], v[6:7], v[0:1], v[4:5] op_sel:[0,0,1] op_sel_hi:[1,1,0] neg_lo:[0,0,1] neg_hi:[0,0,1]
	v_pk_fma_f32 v[4:5], v[6:7], v[0:1], v[4:5] op_sel:[0,0,1] op_sel_hi:[1,0,0]
	v_mov_b32_e32 v9, v5
	ds_load_2addr_b64 v[4:7], v118 offset0:17 offset1:18
	v_pk_add_f32 v[56:57], v[56:57], v[10:11] neg_lo:[0,1] neg_hi:[0,1]
	v_pk_add_f32 v[78:79], v[78:79], v[8:9] neg_lo:[0,1] neg_hi:[0,1]
	s_wait_dscnt 0x0
	v_dual_mul_f32 v8, v5, v3 :: v_dual_mul_f32 v10, v5, v0
	s_delay_alu instid0(VALU_DEP_1) | instskip(NEXT) | instid1(VALU_DEP_2)
	v_pk_fma_f32 v[8:9], v[4:5], v[40:41], v[8:9] op_sel_hi:[1,1,0] neg_lo:[0,0,1] neg_hi:[0,0,1]
	v_pk_fma_f32 v[4:5], v[4:5], v[40:41], v[10:11] op_sel:[1,0,0] op_sel_hi:[0,1,0]
	s_delay_alu instid0(VALU_DEP_1) | instskip(SKIP_1) | instid1(VALU_DEP_2)
	v_mov_b32_e32 v9, v5
	v_pk_mul_f32 v[4:5], v[6:7], v[2:3] op_sel:[0,1]
	v_pk_add_f32 v[74:75], v[74:75], v[8:9] neg_lo:[0,1] neg_hi:[0,1]
	s_delay_alu instid0(VALU_DEP_2) | instskip(SKIP_1) | instid1(VALU_DEP_1)
	v_pk_fma_f32 v[8:9], v[6:7], v[0:1], v[4:5] op_sel:[0,0,1] op_sel_hi:[1,1,0] neg_lo:[0,0,1] neg_hi:[0,0,1]
	v_pk_fma_f32 v[4:5], v[6:7], v[0:1], v[4:5] op_sel:[0,0,1] op_sel_hi:[1,0,0]
	v_mov_b32_e32 v9, v5
	ds_load_2addr_b64 v[4:7], v118 offset0:19 offset1:20
	v_pk_add_f32 v[76:77], v[76:77], v[8:9] neg_lo:[0,1] neg_hi:[0,1]
	s_wait_dscnt 0x0
	v_pk_mul_f32 v[8:9], v[4:5], v[2:3] op_sel:[0,1]
	s_delay_alu instid0(VALU_DEP_1) | instskip(SKIP_1) | instid1(VALU_DEP_1)
	v_pk_fma_f32 v[10:11], v[4:5], v[0:1], v[8:9] op_sel:[0,0,1] op_sel_hi:[1,1,0] neg_lo:[0,0,1] neg_hi:[0,0,1]
	v_pk_fma_f32 v[4:5], v[4:5], v[0:1], v[8:9] op_sel:[0,0,1] op_sel_hi:[1,0,0]
	v_mov_b32_e32 v11, v5
	v_pk_mul_f32 v[4:5], v[6:7], v[2:3] op_sel:[0,1]
	s_delay_alu instid0(VALU_DEP_2) | instskip(NEXT) | instid1(VALU_DEP_2)
	v_pk_add_f32 v[72:73], v[72:73], v[10:11] neg_lo:[0,1] neg_hi:[0,1]
	v_pk_fma_f32 v[8:9], v[6:7], v[0:1], v[4:5] op_sel:[0,0,1] op_sel_hi:[1,1,0] neg_lo:[0,0,1] neg_hi:[0,0,1]
	v_pk_fma_f32 v[4:5], v[6:7], v[0:1], v[4:5] op_sel:[0,0,1] op_sel_hi:[1,0,0]
	s_delay_alu instid0(VALU_DEP_1) | instskip(SKIP_4) | instid1(VALU_DEP_1)
	v_mov_b32_e32 v9, v5
	ds_load_2addr_b64 v[4:7], v118 offset0:21 offset1:22
	v_pk_add_f32 v[94:95], v[94:95], v[8:9] neg_lo:[0,1] neg_hi:[0,1]
	s_wait_dscnt 0x0
	v_pk_mul_f32 v[8:9], v[4:5], v[2:3] op_sel:[0,1]
	v_pk_fma_f32 v[10:11], v[4:5], v[0:1], v[8:9] op_sel:[0,0,1] op_sel_hi:[1,1,0] neg_lo:[0,0,1] neg_hi:[0,0,1]
	v_pk_fma_f32 v[4:5], v[4:5], v[0:1], v[8:9] op_sel:[0,0,1] op_sel_hi:[1,0,0]
	v_dual_mul_f32 v8, v7, v3 :: v_dual_mov_b32 v4, v7
	s_delay_alu instid0(VALU_DEP_2) | instskip(NEXT) | instid1(VALU_DEP_2)
	v_dual_mov_b32 v11, v5 :: v_dual_mov_b32 v5, v6
	v_pk_fma_f32 v[8:9], v[6:7], v[40:41], v[8:9] op_sel_hi:[1,1,0] neg_lo:[0,0,1] neg_hi:[0,0,1]
	v_mul_f32_e32 v6, v7, v0
	s_delay_alu instid0(VALU_DEP_3) | instskip(NEXT) | instid1(VALU_DEP_2)
	v_pk_add_f32 v[90:91], v[90:91], v[10:11] neg_lo:[0,1] neg_hi:[0,1]
	v_pk_fma_f32 v[4:5], v[4:5], v[40:41], v[6:7] op_sel_hi:[1,1,0]
	s_delay_alu instid0(VALU_DEP_1) | instskip(SKIP_4) | instid1(VALU_DEP_1)
	v_mov_b32_e32 v9, v5
	ds_load_2addr_b64 v[4:7], v118 offset0:23 offset1:24
	v_pk_add_f32 v[92:93], v[92:93], v[8:9] neg_lo:[0,1] neg_hi:[0,1]
	s_wait_dscnt 0x0
	v_pk_mul_f32 v[8:9], v[4:5], v[2:3] op_sel:[0,1]
	v_pk_fma_f32 v[10:11], v[4:5], v[0:1], v[8:9] op_sel:[0,0,1] op_sel_hi:[1,1,0] neg_lo:[0,0,1] neg_hi:[0,0,1]
	v_pk_fma_f32 v[4:5], v[4:5], v[0:1], v[8:9] op_sel:[0,0,1] op_sel_hi:[1,0,0]
	s_delay_alu instid0(VALU_DEP_1) | instskip(SKIP_1) | instid1(VALU_DEP_1)
	v_mov_b32_e32 v11, v5
	v_pk_mul_f32 v[4:5], v[6:7], v[2:3] op_sel:[0,1]
	v_pk_fma_f32 v[8:9], v[6:7], v[0:1], v[4:5] op_sel:[0,0,1] op_sel_hi:[1,1,0] neg_lo:[0,0,1] neg_hi:[0,0,1]
	v_pk_fma_f32 v[4:5], v[6:7], v[0:1], v[4:5] op_sel:[0,0,1] op_sel_hi:[1,0,0]
	s_delay_alu instid0(VALU_DEP_1)
	v_mov_b32_e32 v9, v5
	ds_load_2addr_b64 v[4:7], v118 offset0:25 offset1:26
	v_pk_add_f32 v[88:89], v[88:89], v[10:11] neg_lo:[0,1] neg_hi:[0,1]
	v_pk_add_f32 v[112:113], v[112:113], v[8:9] neg_lo:[0,1] neg_hi:[0,1]
	s_wait_dscnt 0x0
	v_pk_mul_f32 v[8:9], v[4:5], v[2:3] op_sel:[0,1]
	s_delay_alu instid0(VALU_DEP_1) | instskip(SKIP_1) | instid1(VALU_DEP_1)
	v_pk_fma_f32 v[10:11], v[4:5], v[0:1], v[8:9] op_sel:[0,0,1] op_sel_hi:[1,1,0] neg_lo:[0,0,1] neg_hi:[0,0,1]
	v_pk_fma_f32 v[4:5], v[4:5], v[0:1], v[8:9] op_sel:[0,0,1] op_sel_hi:[1,0,0]
	v_mov_b32_e32 v11, v5
	v_pk_mul_f32 v[4:5], v[6:7], v[2:3] op_sel:[0,1]
	s_delay_alu instid0(VALU_DEP_1) | instskip(SKIP_1) | instid1(VALU_DEP_1)
	v_pk_fma_f32 v[8:9], v[6:7], v[0:1], v[4:5] op_sel:[0,0,1] op_sel_hi:[1,1,0] neg_lo:[0,0,1] neg_hi:[0,0,1]
	v_pk_fma_f32 v[4:5], v[6:7], v[0:1], v[4:5] op_sel:[0,0,1] op_sel_hi:[1,0,0]
	v_mov_b32_e32 v9, v5
	ds_load_2addr_b64 v[4:7], v118 offset0:27 offset1:28
	v_pk_add_f32 v[108:109], v[108:109], v[10:11] neg_lo:[0,1] neg_hi:[0,1]
	v_pk_add_f32 v[110:111], v[110:111], v[8:9] neg_lo:[0,1] neg_hi:[0,1]
	s_wait_dscnt 0x0
	v_dual_mul_f32 v8, v5, v3 :: v_dual_mul_f32 v10, v5, v0
	s_delay_alu instid0(VALU_DEP_1) | instskip(NEXT) | instid1(VALU_DEP_2)
	v_pk_fma_f32 v[8:9], v[4:5], v[40:41], v[8:9] op_sel_hi:[1,1,0] neg_lo:[0,0,1] neg_hi:[0,0,1]
	v_pk_fma_f32 v[4:5], v[4:5], v[40:41], v[10:11] op_sel:[1,0,0] op_sel_hi:[0,1,0]
	s_delay_alu instid0(VALU_DEP_1) | instskip(SKIP_1) | instid1(VALU_DEP_2)
	v_mov_b32_e32 v9, v5
	v_pk_mul_f32 v[4:5], v[6:7], v[2:3] op_sel:[0,1]
	v_pk_add_f32 v[106:107], v[106:107], v[8:9] neg_lo:[0,1] neg_hi:[0,1]
	s_delay_alu instid0(VALU_DEP_2) | instskip(SKIP_1) | instid1(VALU_DEP_1)
	v_pk_fma_f32 v[8:9], v[6:7], v[0:1], v[4:5] op_sel:[0,0,1] op_sel_hi:[1,1,0] neg_lo:[0,0,1] neg_hi:[0,0,1]
	v_pk_fma_f32 v[4:5], v[6:7], v[0:1], v[4:5] op_sel:[0,0,1] op_sel_hi:[1,0,0]
	v_mov_b32_e32 v9, v5
	ds_load_2addr_b64 v[4:7], v118 offset0:29 offset1:30
	v_pk_add_f32 v[128:129], v[128:129], v[8:9] neg_lo:[0,1] neg_hi:[0,1]
	s_wait_dscnt 0x0
	v_pk_mul_f32 v[8:9], v[4:5], v[2:3] op_sel:[0,1]
	s_delay_alu instid0(VALU_DEP_1) | instskip(SKIP_1) | instid1(VALU_DEP_1)
	v_pk_fma_f32 v[10:11], v[4:5], v[0:1], v[8:9] op_sel:[0,0,1] op_sel_hi:[1,1,0] neg_lo:[0,0,1] neg_hi:[0,0,1]
	v_pk_fma_f32 v[4:5], v[4:5], v[0:1], v[8:9] op_sel:[0,0,1] op_sel_hi:[1,0,0]
	v_mov_b32_e32 v11, v5
	v_pk_mul_f32 v[4:5], v[6:7], v[2:3] op_sel:[0,1]
	s_delay_alu instid0(VALU_DEP_2) | instskip(NEXT) | instid1(VALU_DEP_2)
	v_pk_add_f32 v[124:125], v[124:125], v[10:11] neg_lo:[0,1] neg_hi:[0,1]
	v_pk_fma_f32 v[8:9], v[6:7], v[0:1], v[4:5] op_sel:[0,0,1] op_sel_hi:[1,1,0] neg_lo:[0,0,1] neg_hi:[0,0,1]
	v_pk_fma_f32 v[4:5], v[6:7], v[0:1], v[4:5] op_sel:[0,0,1] op_sel_hi:[1,0,0]
	s_delay_alu instid0(VALU_DEP_1) | instskip(SKIP_4) | instid1(VALU_DEP_1)
	v_mov_b32_e32 v9, v5
	ds_load_2addr_b64 v[4:7], v118 offset0:31 offset1:32
	v_pk_add_f32 v[126:127], v[126:127], v[8:9] neg_lo:[0,1] neg_hi:[0,1]
	s_wait_dscnt 0x0
	v_pk_mul_f32 v[8:9], v[4:5], v[2:3] op_sel:[0,1]
	v_pk_fma_f32 v[10:11], v[4:5], v[0:1], v[8:9] op_sel:[0,0,1] op_sel_hi:[1,1,0] neg_lo:[0,0,1] neg_hi:[0,0,1]
	v_pk_fma_f32 v[4:5], v[4:5], v[0:1], v[8:9] op_sel:[0,0,1] op_sel_hi:[1,0,0]
	v_dual_mul_f32 v8, v7, v3 :: v_dual_mov_b32 v4, v7
	s_delay_alu instid0(VALU_DEP_2) | instskip(NEXT) | instid1(VALU_DEP_2)
	v_dual_mov_b32 v11, v5 :: v_dual_mov_b32 v5, v6
	v_pk_fma_f32 v[8:9], v[6:7], v[40:41], v[8:9] op_sel_hi:[1,1,0] neg_lo:[0,0,1] neg_hi:[0,0,1]
	v_mul_f32_e32 v6, v7, v0
	s_delay_alu instid0(VALU_DEP_3) | instskip(NEXT) | instid1(VALU_DEP_2)
	v_pk_add_f32 v[122:123], v[122:123], v[10:11] neg_lo:[0,1] neg_hi:[0,1]
	v_pk_fma_f32 v[4:5], v[4:5], v[40:41], v[6:7] op_sel_hi:[1,1,0]
	s_delay_alu instid0(VALU_DEP_1) | instskip(SKIP_4) | instid1(VALU_DEP_1)
	v_mov_b32_e32 v9, v5
	ds_load_2addr_b64 v[4:7], v118 offset0:33 offset1:34
	v_pk_add_f32 v[146:147], v[146:147], v[8:9] neg_lo:[0,1] neg_hi:[0,1]
	s_wait_dscnt 0x0
	v_pk_mul_f32 v[8:9], v[4:5], v[2:3] op_sel:[0,1]
	v_pk_fma_f32 v[10:11], v[4:5], v[0:1], v[8:9] op_sel:[0,0,1] op_sel_hi:[1,1,0] neg_lo:[0,0,1] neg_hi:[0,0,1]
	v_pk_fma_f32 v[4:5], v[4:5], v[0:1], v[8:9] op_sel:[0,0,1] op_sel_hi:[1,0,0]
	s_delay_alu instid0(VALU_DEP_1) | instskip(SKIP_1) | instid1(VALU_DEP_1)
	v_mov_b32_e32 v11, v5
	v_pk_mul_f32 v[4:5], v[6:7], v[2:3] op_sel:[0,1]
	v_pk_fma_f32 v[8:9], v[6:7], v[0:1], v[4:5] op_sel:[0,0,1] op_sel_hi:[1,1,0] neg_lo:[0,0,1] neg_hi:[0,0,1]
	v_pk_fma_f32 v[4:5], v[6:7], v[0:1], v[4:5] op_sel:[0,0,1] op_sel_hi:[1,0,0]
	s_delay_alu instid0(VALU_DEP_1)
	v_mov_b32_e32 v9, v5
	ds_load_2addr_b64 v[4:7], v118 offset0:35 offset1:36
	v_pk_add_f32 v[142:143], v[142:143], v[10:11] neg_lo:[0,1] neg_hi:[0,1]
	v_pk_add_f32 v[144:145], v[144:145], v[8:9] neg_lo:[0,1] neg_hi:[0,1]
	s_wait_dscnt 0x0
	v_pk_mul_f32 v[8:9], v[4:5], v[2:3] op_sel:[0,1]
	s_delay_alu instid0(VALU_DEP_1) | instskip(SKIP_1) | instid1(VALU_DEP_1)
	v_pk_fma_f32 v[10:11], v[4:5], v[0:1], v[8:9] op_sel:[0,0,1] op_sel_hi:[1,1,0] neg_lo:[0,0,1] neg_hi:[0,0,1]
	v_pk_fma_f32 v[4:5], v[4:5], v[0:1], v[8:9] op_sel:[0,0,1] op_sel_hi:[1,0,0]
	v_mov_b32_e32 v11, v5
	v_pk_mul_f32 v[4:5], v[6:7], v[2:3] op_sel:[0,1]
	s_delay_alu instid0(VALU_DEP_1) | instskip(SKIP_1) | instid1(VALU_DEP_1)
	v_pk_fma_f32 v[8:9], v[6:7], v[0:1], v[4:5] op_sel:[0,0,1] op_sel_hi:[1,1,0] neg_lo:[0,0,1] neg_hi:[0,0,1]
	v_pk_fma_f32 v[4:5], v[6:7], v[0:1], v[4:5] op_sel:[0,0,1] op_sel_hi:[1,0,0]
	v_mov_b32_e32 v9, v5
	ds_load_2addr_b64 v[4:7], v118 offset0:37 offset1:38
	v_pk_add_f32 v[140:141], v[140:141], v[10:11] neg_lo:[0,1] neg_hi:[0,1]
	v_pk_add_f32 v[162:163], v[162:163], v[8:9] neg_lo:[0,1] neg_hi:[0,1]
	s_wait_dscnt 0x0
	v_dual_mul_f32 v8, v5, v3 :: v_dual_mul_f32 v10, v5, v0
	s_delay_alu instid0(VALU_DEP_1) | instskip(NEXT) | instid1(VALU_DEP_2)
	v_pk_fma_f32 v[8:9], v[4:5], v[40:41], v[8:9] op_sel_hi:[1,1,0] neg_lo:[0,0,1] neg_hi:[0,0,1]
	v_pk_fma_f32 v[4:5], v[4:5], v[40:41], v[10:11] op_sel:[1,0,0] op_sel_hi:[0,1,0]
	s_delay_alu instid0(VALU_DEP_1) | instskip(SKIP_1) | instid1(VALU_DEP_2)
	v_mov_b32_e32 v9, v5
	v_pk_mul_f32 v[4:5], v[6:7], v[2:3] op_sel:[0,1]
	v_pk_add_f32 v[158:159], v[158:159], v[8:9] neg_lo:[0,1] neg_hi:[0,1]
	s_delay_alu instid0(VALU_DEP_2) | instskip(SKIP_1) | instid1(VALU_DEP_1)
	v_pk_fma_f32 v[8:9], v[6:7], v[0:1], v[4:5] op_sel:[0,0,1] op_sel_hi:[1,1,0] neg_lo:[0,0,1] neg_hi:[0,0,1]
	v_pk_fma_f32 v[4:5], v[6:7], v[0:1], v[4:5] op_sel:[0,0,1] op_sel_hi:[1,0,0]
	v_mov_b32_e32 v9, v5
	ds_load_2addr_b64 v[4:7], v118 offset0:39 offset1:40
	v_pk_add_f32 v[160:161], v[160:161], v[8:9] neg_lo:[0,1] neg_hi:[0,1]
	s_wait_dscnt 0x0
	v_pk_mul_f32 v[8:9], v[4:5], v[2:3] op_sel:[0,1]
	s_delay_alu instid0(VALU_DEP_1) | instskip(SKIP_1) | instid1(VALU_DEP_1)
	v_pk_fma_f32 v[10:11], v[4:5], v[0:1], v[8:9] op_sel:[0,0,1] op_sel_hi:[1,1,0] neg_lo:[0,0,1] neg_hi:[0,0,1]
	v_pk_fma_f32 v[4:5], v[4:5], v[0:1], v[8:9] op_sel:[0,0,1] op_sel_hi:[1,0,0]
	v_mov_b32_e32 v11, v5
	v_pk_mul_f32 v[4:5], v[6:7], v[2:3] op_sel:[0,1]
	s_delay_alu instid0(VALU_DEP_2) | instskip(NEXT) | instid1(VALU_DEP_2)
	v_pk_add_f32 v[156:157], v[156:157], v[10:11] neg_lo:[0,1] neg_hi:[0,1]
	v_pk_fma_f32 v[8:9], v[6:7], v[0:1], v[4:5] op_sel:[0,0,1] op_sel_hi:[1,1,0] neg_lo:[0,0,1] neg_hi:[0,0,1]
	v_pk_fma_f32 v[4:5], v[6:7], v[0:1], v[4:5] op_sel:[0,0,1] op_sel_hi:[1,0,0]
	s_delay_alu instid0(VALU_DEP_1) | instskip(SKIP_4) | instid1(VALU_DEP_1)
	v_mov_b32_e32 v9, v5
	ds_load_2addr_b64 v[4:7], v118 offset0:41 offset1:42
	v_pk_add_f32 v[182:183], v[182:183], v[8:9] neg_lo:[0,1] neg_hi:[0,1]
	s_wait_dscnt 0x0
	v_pk_mul_f32 v[8:9], v[4:5], v[2:3] op_sel:[0,1]
	v_pk_fma_f32 v[10:11], v[4:5], v[0:1], v[8:9] op_sel:[0,0,1] op_sel_hi:[1,1,0] neg_lo:[0,0,1] neg_hi:[0,0,1]
	v_pk_fma_f32 v[4:5], v[4:5], v[0:1], v[8:9] op_sel:[0,0,1] op_sel_hi:[1,0,0]
	v_dual_mul_f32 v8, v7, v3 :: v_dual_mov_b32 v4, v7
	s_delay_alu instid0(VALU_DEP_2) | instskip(NEXT) | instid1(VALU_DEP_2)
	v_dual_mov_b32 v11, v5 :: v_dual_mov_b32 v5, v6
	v_pk_fma_f32 v[8:9], v[6:7], v[40:41], v[8:9] op_sel_hi:[1,1,0] neg_lo:[0,0,1] neg_hi:[0,0,1]
	v_mul_f32_e32 v6, v7, v0
	s_delay_alu instid0(VALU_DEP_3) | instskip(NEXT) | instid1(VALU_DEP_2)
	v_pk_add_f32 v[178:179], v[178:179], v[10:11] neg_lo:[0,1] neg_hi:[0,1]
	v_pk_fma_f32 v[4:5], v[4:5], v[40:41], v[6:7] op_sel_hi:[1,1,0]
	s_delay_alu instid0(VALU_DEP_1) | instskip(SKIP_4) | instid1(VALU_DEP_1)
	v_mov_b32_e32 v9, v5
	ds_load_2addr_b64 v[4:7], v118 offset0:43 offset1:44
	v_pk_add_f32 v[180:181], v[180:181], v[8:9] neg_lo:[0,1] neg_hi:[0,1]
	s_wait_dscnt 0x0
	v_pk_mul_f32 v[8:9], v[4:5], v[2:3] op_sel:[0,1]
	v_pk_fma_f32 v[10:11], v[4:5], v[0:1], v[8:9] op_sel:[0,0,1] op_sel_hi:[1,1,0] neg_lo:[0,0,1] neg_hi:[0,0,1]
	v_pk_fma_f32 v[4:5], v[4:5], v[0:1], v[8:9] op_sel:[0,0,1] op_sel_hi:[1,0,0]
	s_delay_alu instid0(VALU_DEP_1) | instskip(SKIP_1) | instid1(VALU_DEP_1)
	v_mov_b32_e32 v11, v5
	v_pk_mul_f32 v[4:5], v[6:7], v[2:3] op_sel:[0,1]
	v_pk_fma_f32 v[8:9], v[6:7], v[0:1], v[4:5] op_sel:[0,0,1] op_sel_hi:[1,1,0] neg_lo:[0,0,1] neg_hi:[0,0,1]
	v_pk_fma_f32 v[4:5], v[6:7], v[0:1], v[4:5] op_sel:[0,0,1] op_sel_hi:[1,0,0]
	s_delay_alu instid0(VALU_DEP_1)
	v_mov_b32_e32 v9, v5
	ds_load_2addr_b64 v[4:7], v118 offset0:45 offset1:46
	v_pk_add_f32 v[176:177], v[176:177], v[10:11] neg_lo:[0,1] neg_hi:[0,1]
	v_pk_add_f32 v[204:205], v[204:205], v[8:9] neg_lo:[0,1] neg_hi:[0,1]
	s_wait_dscnt 0x0
	v_pk_mul_f32 v[8:9], v[4:5], v[2:3] op_sel:[0,1]
	s_delay_alu instid0(VALU_DEP_1) | instskip(SKIP_1) | instid1(VALU_DEP_1)
	v_pk_fma_f32 v[10:11], v[4:5], v[0:1], v[8:9] op_sel:[0,0,1] op_sel_hi:[1,1,0] neg_lo:[0,0,1] neg_hi:[0,0,1]
	v_pk_fma_f32 v[4:5], v[4:5], v[0:1], v[8:9] op_sel:[0,0,1] op_sel_hi:[1,0,0]
	v_mov_b32_e32 v11, v5
	v_pk_mul_f32 v[4:5], v[6:7], v[2:3] op_sel:[0,1]
	s_delay_alu instid0(VALU_DEP_1) | instskip(SKIP_1) | instid1(VALU_DEP_1)
	v_pk_fma_f32 v[8:9], v[6:7], v[0:1], v[4:5] op_sel:[0,0,1] op_sel_hi:[1,1,0] neg_lo:[0,0,1] neg_hi:[0,0,1]
	v_pk_fma_f32 v[4:5], v[6:7], v[0:1], v[4:5] op_sel:[0,0,1] op_sel_hi:[1,0,0]
	v_mov_b32_e32 v9, v5
	ds_load_2addr_b64 v[4:7], v118 offset0:47 offset1:48
	v_pk_add_f32 v[198:199], v[198:199], v[10:11] neg_lo:[0,1] neg_hi:[0,1]
	v_pk_add_f32 v[202:203], v[202:203], v[8:9] neg_lo:[0,1] neg_hi:[0,1]
	s_wait_dscnt 0x0
	v_dual_mul_f32 v8, v5, v3 :: v_dual_mul_f32 v10, v5, v0
	s_delay_alu instid0(VALU_DEP_1) | instskip(NEXT) | instid1(VALU_DEP_2)
	v_pk_fma_f32 v[8:9], v[4:5], v[40:41], v[8:9] op_sel_hi:[1,1,0] neg_lo:[0,0,1] neg_hi:[0,0,1]
	v_pk_fma_f32 v[4:5], v[4:5], v[40:41], v[10:11] op_sel:[1,0,0] op_sel_hi:[0,1,0]
	s_delay_alu instid0(VALU_DEP_1) | instskip(SKIP_1) | instid1(VALU_DEP_2)
	v_mov_b32_e32 v9, v5
	v_pk_mul_f32 v[4:5], v[6:7], v[2:3] op_sel:[0,1]
	v_pk_add_f32 v[196:197], v[196:197], v[8:9] neg_lo:[0,1] neg_hi:[0,1]
	s_delay_alu instid0(VALU_DEP_2) | instskip(SKIP_1) | instid1(VALU_DEP_1)
	v_pk_fma_f32 v[8:9], v[6:7], v[0:1], v[4:5] op_sel:[0,0,1] op_sel_hi:[1,1,0] neg_lo:[0,0,1] neg_hi:[0,0,1]
	v_pk_fma_f32 v[4:5], v[6:7], v[0:1], v[4:5] op_sel:[0,0,1] op_sel_hi:[1,0,0]
	v_mov_b32_e32 v9, v5
	ds_load_2addr_b64 v[4:7], v118 offset0:49 offset1:50
	v_pk_add_f32 v[200:201], v[200:201], v[8:9] neg_lo:[0,1] neg_hi:[0,1]
	s_wait_dscnt 0x0
	v_pk_mul_f32 v[8:9], v[4:5], v[2:3] op_sel:[0,1]
	s_delay_alu instid0(VALU_DEP_1) | instskip(SKIP_1) | instid1(VALU_DEP_1)
	v_pk_fma_f32 v[10:11], v[4:5], v[0:1], v[8:9] op_sel:[0,0,1] op_sel_hi:[1,1,0] neg_lo:[0,0,1] neg_hi:[0,0,1]
	v_pk_fma_f32 v[4:5], v[4:5], v[0:1], v[8:9] op_sel:[0,0,1] op_sel_hi:[1,0,0]
	v_mov_b32_e32 v11, v5
	v_pk_mul_f32 v[4:5], v[6:7], v[2:3] op_sel:[0,1]
	s_delay_alu instid0(VALU_DEP_2) | instskip(NEXT) | instid1(VALU_DEP_2)
	v_pk_add_f32 v[194:195], v[194:195], v[10:11] neg_lo:[0,1] neg_hi:[0,1]
	v_pk_fma_f32 v[8:9], v[6:7], v[0:1], v[4:5] op_sel:[0,0,1] op_sel_hi:[1,1,0] neg_lo:[0,0,1] neg_hi:[0,0,1]
	v_pk_fma_f32 v[4:5], v[6:7], v[0:1], v[4:5] op_sel:[0,0,1] op_sel_hi:[1,0,0]
	s_delay_alu instid0(VALU_DEP_1) | instskip(SKIP_4) | instid1(VALU_DEP_1)
	v_mov_b32_e32 v9, v5
	ds_load_b64 v[4:5], v118 offset:408
	v_pk_add_f32 v[206:207], v[206:207], v[8:9] neg_lo:[0,1] neg_hi:[0,1]
	s_wait_dscnt 0x0
	v_pk_mul_f32 v[2:3], v[4:5], v[2:3] op_sel:[0,1]
	v_pk_fma_f32 v[6:7], v[4:5], v[0:1], v[2:3] op_sel:[0,0,1] op_sel_hi:[1,1,0] neg_lo:[0,0,1] neg_hi:[0,0,1]
	v_pk_fma_f32 v[0:1], v[4:5], v[0:1], v[2:3] op_sel:[0,0,1] op_sel_hi:[1,0,0]
	s_delay_alu instid0(VALU_DEP_1) | instskip(NEXT) | instid1(VALU_DEP_1)
	v_mov_b32_e32 v7, v1
	v_pk_add_f32 v[208:209], v[208:209], v[6:7] neg_lo:[0,1] neg_hi:[0,1]
.LBB103_82:
	s_wait_xcnt 0x0
	s_or_b32 exec_lo, exec_lo, s1
	s_delay_alu instid0(SALU_CYCLE_1)
	s_mov_b32 s2, exec_lo
	s_wait_storecnt 0x0
	s_barrier_signal -1
	s_barrier_wait -1
	v_cmpx_eq_u32_e32 9, v116
	s_cbranch_execz .LBB103_89
; %bb.83:
	v_dual_mov_b32 v0, v38 :: v_dual_mov_b32 v1, v39
	v_dual_mov_b32 v2, v34 :: v_dual_mov_b32 v3, v35
	;; [unrolled: 1-line block ×8, first 2 shown]
	ds_store_b64 v117, v[36:37]
	ds_store_2addr_b64 v118, v[0:1], v[2:3] offset0:10 offset1:11
	ds_store_2addr_b64 v118, v[4:5], v[6:7] offset0:12 offset1:13
	;; [unrolled: 1-line block ×4, first 2 shown]
	v_dual_mov_b32 v0, v76 :: v_dual_mov_b32 v1, v77
	v_dual_mov_b32 v2, v72 :: v_dual_mov_b32 v3, v73
	;; [unrolled: 1-line block ×12, first 2 shown]
	ds_store_2addr_b64 v118, v[0:1], v[2:3] offset0:18 offset1:19
	ds_store_2addr_b64 v118, v[4:5], v[6:7] offset0:20 offset1:21
	;; [unrolled: 1-line block ×6, first 2 shown]
	v_dual_mov_b32 v0, v126 :: v_dual_mov_b32 v1, v127
	v_dual_mov_b32 v2, v122 :: v_dual_mov_b32 v3, v123
	;; [unrolled: 1-line block ×12, first 2 shown]
	ds_store_2addr_b64 v118, v[0:1], v[2:3] offset0:30 offset1:31
	ds_store_2addr_b64 v118, v[4:5], v[6:7] offset0:32 offset1:33
	;; [unrolled: 1-line block ×6, first 2 shown]
	v_dual_mov_b32 v0, v180 :: v_dual_mov_b32 v1, v181
	v_dual_mov_b32 v2, v176 :: v_dual_mov_b32 v3, v177
	;; [unrolled: 1-line block ×9, first 2 shown]
	ds_store_2addr_b64 v118, v[0:1], v[2:3] offset0:42 offset1:43
	ds_store_2addr_b64 v118, v[4:5], v[6:7] offset0:44 offset1:45
	;; [unrolled: 1-line block ×5, first 2 shown]
	ds_load_b64 v[0:1], v117
	s_wait_dscnt 0x0
	v_cmp_neq_f32_e32 vcc_lo, 0, v0
	v_cmp_neq_f32_e64 s1, 0, v1
	s_or_b32 s1, vcc_lo, s1
	s_delay_alu instid0(SALU_CYCLE_1)
	s_and_b32 exec_lo, exec_lo, s1
	s_cbranch_execz .LBB103_89
; %bb.84:
	v_cmp_ngt_f32_e64 s1, |v0|, |v1|
                                        ; implicit-def: $vgpr2_vgpr3
	s_and_saveexec_b32 s4, s1
	s_delay_alu instid0(SALU_CYCLE_1)
	s_xor_b32 s1, exec_lo, s4
	s_cbranch_execz .LBB103_86
; %bb.85:
	v_div_scale_f32 v2, null, v1, v1, v0
	v_div_scale_f32 v5, vcc_lo, v0, v1, v0
	s_delay_alu instid0(VALU_DEP_2) | instskip(SKIP_1) | instid1(TRANS32_DEP_1)
	v_rcp_f32_e32 v3, v2
	v_nop
	v_fma_f32 v4, -v2, v3, 1.0
	s_delay_alu instid0(VALU_DEP_1) | instskip(NEXT) | instid1(VALU_DEP_1)
	v_fmac_f32_e32 v3, v4, v3
	v_mul_f32_e32 v4, v5, v3
	s_delay_alu instid0(VALU_DEP_1) | instskip(NEXT) | instid1(VALU_DEP_1)
	v_fma_f32 v6, -v2, v4, v5
	v_fmac_f32_e32 v4, v6, v3
	s_delay_alu instid0(VALU_DEP_1) | instskip(NEXT) | instid1(VALU_DEP_1)
	v_fma_f32 v2, -v2, v4, v5
	v_div_fmas_f32 v2, v2, v3, v4
	s_delay_alu instid0(VALU_DEP_1) | instskip(NEXT) | instid1(VALU_DEP_1)
	v_div_fixup_f32 v2, v2, v1, v0
	v_fmac_f32_e32 v1, v0, v2
	s_delay_alu instid0(VALU_DEP_1) | instskip(SKIP_1) | instid1(VALU_DEP_2)
	v_div_scale_f32 v0, null, v1, v1, 1.0
	v_div_scale_f32 v5, vcc_lo, 1.0, v1, 1.0
	v_rcp_f32_e32 v3, v0
	v_nop
	s_delay_alu instid0(TRANS32_DEP_1) | instskip(NEXT) | instid1(VALU_DEP_1)
	v_fma_f32 v4, -v0, v3, 1.0
	v_fmac_f32_e32 v3, v4, v3
	s_delay_alu instid0(VALU_DEP_1) | instskip(NEXT) | instid1(VALU_DEP_1)
	v_mul_f32_e32 v4, v5, v3
	v_fma_f32 v6, -v0, v4, v5
	s_delay_alu instid0(VALU_DEP_1) | instskip(NEXT) | instid1(VALU_DEP_1)
	v_fmac_f32_e32 v4, v6, v3
	v_fma_f32 v0, -v0, v4, v5
	s_delay_alu instid0(VALU_DEP_1) | instskip(NEXT) | instid1(VALU_DEP_1)
	v_div_fmas_f32 v0, v0, v3, v4
	v_div_fixup_f32 v0, v0, v1, 1.0
	s_delay_alu instid0(VALU_DEP_1)
	v_mul_f32_e32 v2, v2, v0
	v_xor_b32_e32 v3, 0x80000000, v0
                                        ; implicit-def: $vgpr0_vgpr1
.LBB103_86:
	s_and_not1_saveexec_b32 s1, s1
	s_cbranch_execz .LBB103_88
; %bb.87:
	v_div_scale_f32 v2, null, v0, v0, v1
	v_div_scale_f32 v5, vcc_lo, v1, v0, v1
	s_delay_alu instid0(VALU_DEP_2) | instskip(SKIP_1) | instid1(TRANS32_DEP_1)
	v_rcp_f32_e32 v3, v2
	v_nop
	v_fma_f32 v4, -v2, v3, 1.0
	s_delay_alu instid0(VALU_DEP_1) | instskip(NEXT) | instid1(VALU_DEP_1)
	v_fmac_f32_e32 v3, v4, v3
	v_mul_f32_e32 v4, v5, v3
	s_delay_alu instid0(VALU_DEP_1) | instskip(NEXT) | instid1(VALU_DEP_1)
	v_fma_f32 v6, -v2, v4, v5
	v_fmac_f32_e32 v4, v6, v3
	s_delay_alu instid0(VALU_DEP_1) | instskip(NEXT) | instid1(VALU_DEP_1)
	v_fma_f32 v2, -v2, v4, v5
	v_div_fmas_f32 v2, v2, v3, v4
	s_delay_alu instid0(VALU_DEP_1) | instskip(NEXT) | instid1(VALU_DEP_1)
	v_div_fixup_f32 v3, v2, v0, v1
	v_fmac_f32_e32 v0, v1, v3
	s_delay_alu instid0(VALU_DEP_1) | instskip(NEXT) | instid1(VALU_DEP_1)
	v_div_scale_f32 v1, null, v0, v0, 1.0
	v_rcp_f32_e32 v2, v1
	v_nop
	s_delay_alu instid0(TRANS32_DEP_1) | instskip(NEXT) | instid1(VALU_DEP_1)
	v_fma_f32 v4, -v1, v2, 1.0
	v_fmac_f32_e32 v2, v4, v2
	v_div_scale_f32 v4, vcc_lo, 1.0, v0, 1.0
	s_delay_alu instid0(VALU_DEP_1) | instskip(NEXT) | instid1(VALU_DEP_1)
	v_mul_f32_e32 v5, v4, v2
	v_fma_f32 v6, -v1, v5, v4
	s_delay_alu instid0(VALU_DEP_1) | instskip(NEXT) | instid1(VALU_DEP_1)
	v_fmac_f32_e32 v5, v6, v2
	v_fma_f32 v1, -v1, v5, v4
	s_delay_alu instid0(VALU_DEP_1) | instskip(NEXT) | instid1(VALU_DEP_1)
	v_div_fmas_f32 v1, v1, v2, v5
	v_div_fixup_f32 v2, v1, v0, 1.0
	s_delay_alu instid0(VALU_DEP_1)
	v_mul_f32_e64 v3, v3, -v2
.LBB103_88:
	s_or_b32 exec_lo, exec_lo, s1
	ds_store_b64 v117, v[2:3]
.LBB103_89:
	s_or_b32 exec_lo, exec_lo, s2
	s_wait_dscnt 0x0
	s_barrier_signal -1
	s_barrier_wait -1
	ds_load_b64 v[0:1], v117
	s_mov_b32 s1, exec_lo
	s_wait_dscnt 0x0
	scratch_store_b64 off, v[0:1], off offset:160 ; 8-byte Folded Spill
	s_wait_xcnt 0x0
	v_cmpx_lt_u32_e32 9, v116
	s_cbranch_execz .LBB103_91
; %bb.90:
	scratch_load_b64 v[4:5], off, off offset:160 ; 8-byte Folded Reload
	s_wait_loadcnt 0x0
	v_pk_mul_f32 v[2:3], v[4:5], v[36:37] op_sel:[1,1] op_sel_hi:[0,1]
	s_delay_alu instid0(VALU_DEP_1)
	v_pk_fma_f32 v[0:1], v[4:5], v[36:37], v[2:3] op_sel_hi:[1,0,1] neg_lo:[0,0,1] neg_hi:[0,0,1]
	v_pk_fma_f32 v[2:3], v[4:5], v[36:37], v[2:3] op_sel_hi:[1,0,1]
	ds_load_2addr_b64 v[4:7], v118 offset0:10 offset1:11
	v_dual_mov_b32 v36, v0 :: v_dual_mov_b32 v37, v3
	s_wait_dscnt 0x0
	v_pk_mul_f32 v[8:9], v[4:5], v[2:3] op_sel:[0,1]
	s_delay_alu instid0(VALU_DEP_1) | instskip(SKIP_1) | instid1(VALU_DEP_1)
	v_pk_fma_f32 v[10:11], v[4:5], v[0:1], v[8:9] op_sel:[0,0,1] op_sel_hi:[1,1,0] neg_lo:[0,0,1] neg_hi:[0,0,1]
	v_pk_fma_f32 v[4:5], v[4:5], v[0:1], v[8:9] op_sel:[0,0,1] op_sel_hi:[1,0,0]
	v_mov_b32_e32 v11, v5
	v_pk_mul_f32 v[4:5], v[6:7], v[2:3] op_sel:[0,1]
	s_delay_alu instid0(VALU_DEP_1) | instskip(SKIP_1) | instid1(VALU_DEP_1)
	v_pk_fma_f32 v[8:9], v[6:7], v[0:1], v[4:5] op_sel:[0,0,1] op_sel_hi:[1,1,0] neg_lo:[0,0,1] neg_hi:[0,0,1]
	v_pk_fma_f32 v[4:5], v[6:7], v[0:1], v[4:5] op_sel:[0,0,1] op_sel_hi:[1,0,0]
	v_mov_b32_e32 v9, v5
	ds_load_2addr_b64 v[4:7], v118 offset0:12 offset1:13
	v_pk_add_f32 v[38:39], v[38:39], v[10:11] neg_lo:[0,1] neg_hi:[0,1]
	v_pk_add_f32 v[34:35], v[34:35], v[8:9] neg_lo:[0,1] neg_hi:[0,1]
	s_wait_dscnt 0x0
	v_pk_mul_f32 v[8:9], v[4:5], v[2:3] op_sel:[0,1]
	s_delay_alu instid0(VALU_DEP_1) | instskip(SKIP_2) | instid1(VALU_DEP_2)
	v_pk_fma_f32 v[10:11], v[4:5], v[0:1], v[8:9] op_sel:[0,0,1] op_sel_hi:[1,1,0] neg_lo:[0,0,1] neg_hi:[0,0,1]
	v_pk_fma_f32 v[4:5], v[4:5], v[0:1], v[8:9] op_sel:[0,0,1] op_sel_hi:[1,0,0]
	v_dual_mul_f32 v8, v7, v3 :: v_dual_mov_b32 v4, v7
	v_dual_mov_b32 v11, v5 :: v_dual_mov_b32 v5, v6
	s_delay_alu instid0(VALU_DEP_2) | instskip(SKIP_1) | instid1(VALU_DEP_3)
	v_pk_fma_f32 v[8:9], v[6:7], v[36:37], v[8:9] op_sel_hi:[1,1,0] neg_lo:[0,0,1] neg_hi:[0,0,1]
	v_mul_f32_e32 v6, v7, v0
	v_pk_add_f32 v[62:63], v[62:63], v[10:11] neg_lo:[0,1] neg_hi:[0,1]
	s_delay_alu instid0(VALU_DEP_2) | instskip(NEXT) | instid1(VALU_DEP_1)
	v_pk_fma_f32 v[4:5], v[4:5], v[36:37], v[6:7] op_sel_hi:[1,1,0]
	v_mov_b32_e32 v9, v5
	ds_load_2addr_b64 v[4:7], v118 offset0:14 offset1:15
	v_pk_add_f32 v[58:59], v[58:59], v[8:9] neg_lo:[0,1] neg_hi:[0,1]
	s_wait_dscnt 0x0
	v_pk_mul_f32 v[8:9], v[4:5], v[2:3] op_sel:[0,1]
	s_delay_alu instid0(VALU_DEP_1) | instskip(SKIP_1) | instid1(VALU_DEP_1)
	v_pk_fma_f32 v[10:11], v[4:5], v[0:1], v[8:9] op_sel:[0,0,1] op_sel_hi:[1,1,0] neg_lo:[0,0,1] neg_hi:[0,0,1]
	v_pk_fma_f32 v[4:5], v[4:5], v[0:1], v[8:9] op_sel:[0,0,1] op_sel_hi:[1,0,0]
	v_mov_b32_e32 v11, v5
	v_pk_mul_f32 v[4:5], v[6:7], v[2:3] op_sel:[0,1]
	s_delay_alu instid0(VALU_DEP_1) | instskip(SKIP_1) | instid1(VALU_DEP_1)
	v_pk_fma_f32 v[8:9], v[6:7], v[0:1], v[4:5] op_sel:[0,0,1] op_sel_hi:[1,1,0] neg_lo:[0,0,1] neg_hi:[0,0,1]
	v_pk_fma_f32 v[4:5], v[6:7], v[0:1], v[4:5] op_sel:[0,0,1] op_sel_hi:[1,0,0]
	v_mov_b32_e32 v9, v5
	ds_load_2addr_b64 v[4:7], v118 offset0:16 offset1:17
	v_pk_add_f32 v[60:61], v[60:61], v[10:11] neg_lo:[0,1] neg_hi:[0,1]
	v_pk_add_f32 v[56:57], v[56:57], v[8:9] neg_lo:[0,1] neg_hi:[0,1]
	s_wait_dscnt 0x0
	v_pk_mul_f32 v[8:9], v[4:5], v[2:3] op_sel:[0,1]
	s_delay_alu instid0(VALU_DEP_1) | instskip(SKIP_1) | instid1(VALU_DEP_1)
	v_pk_fma_f32 v[10:11], v[4:5], v[0:1], v[8:9] op_sel:[0,0,1] op_sel_hi:[1,1,0] neg_lo:[0,0,1] neg_hi:[0,0,1]
	v_pk_fma_f32 v[4:5], v[4:5], v[0:1], v[8:9] op_sel:[0,0,1] op_sel_hi:[1,0,0]
	v_mov_b32_e32 v11, v5
	v_pk_mul_f32 v[4:5], v[6:7], v[2:3] op_sel:[0,1]
	s_delay_alu instid0(VALU_DEP_1) | instskip(SKIP_1) | instid1(VALU_DEP_1)
	v_pk_fma_f32 v[8:9], v[6:7], v[0:1], v[4:5] op_sel:[0,0,1] op_sel_hi:[1,1,0] neg_lo:[0,0,1] neg_hi:[0,0,1]
	v_pk_fma_f32 v[4:5], v[6:7], v[0:1], v[4:5] op_sel:[0,0,1] op_sel_hi:[1,0,0]
	v_mov_b32_e32 v9, v5
	ds_load_2addr_b64 v[4:7], v118 offset0:18 offset1:19
	v_pk_add_f32 v[78:79], v[78:79], v[10:11] neg_lo:[0,1] neg_hi:[0,1]
	v_pk_add_f32 v[74:75], v[74:75], v[8:9] neg_lo:[0,1] neg_hi:[0,1]
	s_wait_dscnt 0x0
	v_dual_mul_f32 v8, v5, v3 :: v_dual_mul_f32 v10, v5, v0
	s_delay_alu instid0(VALU_DEP_1) | instskip(NEXT) | instid1(VALU_DEP_2)
	v_pk_fma_f32 v[8:9], v[4:5], v[36:37], v[8:9] op_sel_hi:[1,1,0] neg_lo:[0,0,1] neg_hi:[0,0,1]
	v_pk_fma_f32 v[4:5], v[4:5], v[36:37], v[10:11] op_sel:[1,0,0] op_sel_hi:[0,1,0]
	s_delay_alu instid0(VALU_DEP_1) | instskip(SKIP_1) | instid1(VALU_DEP_2)
	v_mov_b32_e32 v9, v5
	v_pk_mul_f32 v[4:5], v[6:7], v[2:3] op_sel:[0,1]
	v_pk_add_f32 v[76:77], v[76:77], v[8:9] neg_lo:[0,1] neg_hi:[0,1]
	s_delay_alu instid0(VALU_DEP_2) | instskip(SKIP_1) | instid1(VALU_DEP_1)
	v_pk_fma_f32 v[8:9], v[6:7], v[0:1], v[4:5] op_sel:[0,0,1] op_sel_hi:[1,1,0] neg_lo:[0,0,1] neg_hi:[0,0,1]
	v_pk_fma_f32 v[4:5], v[6:7], v[0:1], v[4:5] op_sel:[0,0,1] op_sel_hi:[1,0,0]
	v_mov_b32_e32 v9, v5
	ds_load_2addr_b64 v[4:7], v118 offset0:20 offset1:21
	v_pk_add_f32 v[72:73], v[72:73], v[8:9] neg_lo:[0,1] neg_hi:[0,1]
	s_wait_dscnt 0x0
	v_pk_mul_f32 v[8:9], v[4:5], v[2:3] op_sel:[0,1]
	s_delay_alu instid0(VALU_DEP_1) | instskip(SKIP_1) | instid1(VALU_DEP_1)
	v_pk_fma_f32 v[10:11], v[4:5], v[0:1], v[8:9] op_sel:[0,0,1] op_sel_hi:[1,1,0] neg_lo:[0,0,1] neg_hi:[0,0,1]
	v_pk_fma_f32 v[4:5], v[4:5], v[0:1], v[8:9] op_sel:[0,0,1] op_sel_hi:[1,0,0]
	v_mov_b32_e32 v11, v5
	v_pk_mul_f32 v[4:5], v[6:7], v[2:3] op_sel:[0,1]
	s_delay_alu instid0(VALU_DEP_2) | instskip(NEXT) | instid1(VALU_DEP_2)
	v_pk_add_f32 v[94:95], v[94:95], v[10:11] neg_lo:[0,1] neg_hi:[0,1]
	v_pk_fma_f32 v[8:9], v[6:7], v[0:1], v[4:5] op_sel:[0,0,1] op_sel_hi:[1,1,0] neg_lo:[0,0,1] neg_hi:[0,0,1]
	v_pk_fma_f32 v[4:5], v[6:7], v[0:1], v[4:5] op_sel:[0,0,1] op_sel_hi:[1,0,0]
	s_delay_alu instid0(VALU_DEP_1) | instskip(SKIP_4) | instid1(VALU_DEP_1)
	v_mov_b32_e32 v9, v5
	ds_load_2addr_b64 v[4:7], v118 offset0:22 offset1:23
	v_pk_add_f32 v[90:91], v[90:91], v[8:9] neg_lo:[0,1] neg_hi:[0,1]
	s_wait_dscnt 0x0
	v_pk_mul_f32 v[8:9], v[4:5], v[2:3] op_sel:[0,1]
	v_pk_fma_f32 v[10:11], v[4:5], v[0:1], v[8:9] op_sel:[0,0,1] op_sel_hi:[1,1,0] neg_lo:[0,0,1] neg_hi:[0,0,1]
	v_pk_fma_f32 v[4:5], v[4:5], v[0:1], v[8:9] op_sel:[0,0,1] op_sel_hi:[1,0,0]
	v_dual_mul_f32 v8, v7, v3 :: v_dual_mov_b32 v4, v7
	s_delay_alu instid0(VALU_DEP_2) | instskip(NEXT) | instid1(VALU_DEP_2)
	v_dual_mov_b32 v11, v5 :: v_dual_mov_b32 v5, v6
	v_pk_fma_f32 v[8:9], v[6:7], v[36:37], v[8:9] op_sel_hi:[1,1,0] neg_lo:[0,0,1] neg_hi:[0,0,1]
	v_mul_f32_e32 v6, v7, v0
	s_delay_alu instid0(VALU_DEP_3) | instskip(NEXT) | instid1(VALU_DEP_2)
	v_pk_add_f32 v[92:93], v[92:93], v[10:11] neg_lo:[0,1] neg_hi:[0,1]
	v_pk_fma_f32 v[4:5], v[4:5], v[36:37], v[6:7] op_sel_hi:[1,1,0]
	s_delay_alu instid0(VALU_DEP_1) | instskip(SKIP_4) | instid1(VALU_DEP_1)
	v_mov_b32_e32 v9, v5
	ds_load_2addr_b64 v[4:7], v118 offset0:24 offset1:25
	v_pk_add_f32 v[88:89], v[88:89], v[8:9] neg_lo:[0,1] neg_hi:[0,1]
	s_wait_dscnt 0x0
	v_pk_mul_f32 v[8:9], v[4:5], v[2:3] op_sel:[0,1]
	v_pk_fma_f32 v[10:11], v[4:5], v[0:1], v[8:9] op_sel:[0,0,1] op_sel_hi:[1,1,0] neg_lo:[0,0,1] neg_hi:[0,0,1]
	v_pk_fma_f32 v[4:5], v[4:5], v[0:1], v[8:9] op_sel:[0,0,1] op_sel_hi:[1,0,0]
	s_delay_alu instid0(VALU_DEP_1) | instskip(SKIP_1) | instid1(VALU_DEP_1)
	v_mov_b32_e32 v11, v5
	v_pk_mul_f32 v[4:5], v[6:7], v[2:3] op_sel:[0,1]
	v_pk_fma_f32 v[8:9], v[6:7], v[0:1], v[4:5] op_sel:[0,0,1] op_sel_hi:[1,1,0] neg_lo:[0,0,1] neg_hi:[0,0,1]
	v_pk_fma_f32 v[4:5], v[6:7], v[0:1], v[4:5] op_sel:[0,0,1] op_sel_hi:[1,0,0]
	s_delay_alu instid0(VALU_DEP_1)
	v_mov_b32_e32 v9, v5
	ds_load_2addr_b64 v[4:7], v118 offset0:26 offset1:27
	v_pk_add_f32 v[112:113], v[112:113], v[10:11] neg_lo:[0,1] neg_hi:[0,1]
	v_pk_add_f32 v[108:109], v[108:109], v[8:9] neg_lo:[0,1] neg_hi:[0,1]
	s_wait_dscnt 0x0
	v_pk_mul_f32 v[8:9], v[4:5], v[2:3] op_sel:[0,1]
	s_delay_alu instid0(VALU_DEP_1) | instskip(SKIP_1) | instid1(VALU_DEP_1)
	v_pk_fma_f32 v[10:11], v[4:5], v[0:1], v[8:9] op_sel:[0,0,1] op_sel_hi:[1,1,0] neg_lo:[0,0,1] neg_hi:[0,0,1]
	v_pk_fma_f32 v[4:5], v[4:5], v[0:1], v[8:9] op_sel:[0,0,1] op_sel_hi:[1,0,0]
	v_mov_b32_e32 v11, v5
	v_pk_mul_f32 v[4:5], v[6:7], v[2:3] op_sel:[0,1]
	s_delay_alu instid0(VALU_DEP_1) | instskip(SKIP_1) | instid1(VALU_DEP_1)
	v_pk_fma_f32 v[8:9], v[6:7], v[0:1], v[4:5] op_sel:[0,0,1] op_sel_hi:[1,1,0] neg_lo:[0,0,1] neg_hi:[0,0,1]
	v_pk_fma_f32 v[4:5], v[6:7], v[0:1], v[4:5] op_sel:[0,0,1] op_sel_hi:[1,0,0]
	v_mov_b32_e32 v9, v5
	ds_load_2addr_b64 v[4:7], v118 offset0:28 offset1:29
	v_pk_add_f32 v[110:111], v[110:111], v[10:11] neg_lo:[0,1] neg_hi:[0,1]
	v_pk_add_f32 v[106:107], v[106:107], v[8:9] neg_lo:[0,1] neg_hi:[0,1]
	s_wait_dscnt 0x0
	v_dual_mul_f32 v8, v5, v3 :: v_dual_mul_f32 v10, v5, v0
	s_delay_alu instid0(VALU_DEP_1) | instskip(NEXT) | instid1(VALU_DEP_2)
	v_pk_fma_f32 v[8:9], v[4:5], v[36:37], v[8:9] op_sel_hi:[1,1,0] neg_lo:[0,0,1] neg_hi:[0,0,1]
	v_pk_fma_f32 v[4:5], v[4:5], v[36:37], v[10:11] op_sel:[1,0,0] op_sel_hi:[0,1,0]
	s_delay_alu instid0(VALU_DEP_1) | instskip(SKIP_1) | instid1(VALU_DEP_2)
	v_mov_b32_e32 v9, v5
	v_pk_mul_f32 v[4:5], v[6:7], v[2:3] op_sel:[0,1]
	v_pk_add_f32 v[128:129], v[128:129], v[8:9] neg_lo:[0,1] neg_hi:[0,1]
	s_delay_alu instid0(VALU_DEP_2) | instskip(SKIP_1) | instid1(VALU_DEP_1)
	v_pk_fma_f32 v[8:9], v[6:7], v[0:1], v[4:5] op_sel:[0,0,1] op_sel_hi:[1,1,0] neg_lo:[0,0,1] neg_hi:[0,0,1]
	v_pk_fma_f32 v[4:5], v[6:7], v[0:1], v[4:5] op_sel:[0,0,1] op_sel_hi:[1,0,0]
	v_mov_b32_e32 v9, v5
	ds_load_2addr_b64 v[4:7], v118 offset0:30 offset1:31
	v_pk_add_f32 v[124:125], v[124:125], v[8:9] neg_lo:[0,1] neg_hi:[0,1]
	s_wait_dscnt 0x0
	v_pk_mul_f32 v[8:9], v[4:5], v[2:3] op_sel:[0,1]
	s_delay_alu instid0(VALU_DEP_1) | instskip(SKIP_1) | instid1(VALU_DEP_1)
	v_pk_fma_f32 v[10:11], v[4:5], v[0:1], v[8:9] op_sel:[0,0,1] op_sel_hi:[1,1,0] neg_lo:[0,0,1] neg_hi:[0,0,1]
	v_pk_fma_f32 v[4:5], v[4:5], v[0:1], v[8:9] op_sel:[0,0,1] op_sel_hi:[1,0,0]
	v_mov_b32_e32 v11, v5
	v_pk_mul_f32 v[4:5], v[6:7], v[2:3] op_sel:[0,1]
	s_delay_alu instid0(VALU_DEP_2) | instskip(NEXT) | instid1(VALU_DEP_2)
	v_pk_add_f32 v[126:127], v[126:127], v[10:11] neg_lo:[0,1] neg_hi:[0,1]
	v_pk_fma_f32 v[8:9], v[6:7], v[0:1], v[4:5] op_sel:[0,0,1] op_sel_hi:[1,1,0] neg_lo:[0,0,1] neg_hi:[0,0,1]
	v_pk_fma_f32 v[4:5], v[6:7], v[0:1], v[4:5] op_sel:[0,0,1] op_sel_hi:[1,0,0]
	s_delay_alu instid0(VALU_DEP_1) | instskip(SKIP_4) | instid1(VALU_DEP_1)
	v_mov_b32_e32 v9, v5
	ds_load_2addr_b64 v[4:7], v118 offset0:32 offset1:33
	v_pk_add_f32 v[122:123], v[122:123], v[8:9] neg_lo:[0,1] neg_hi:[0,1]
	s_wait_dscnt 0x0
	v_pk_mul_f32 v[8:9], v[4:5], v[2:3] op_sel:[0,1]
	v_pk_fma_f32 v[10:11], v[4:5], v[0:1], v[8:9] op_sel:[0,0,1] op_sel_hi:[1,1,0] neg_lo:[0,0,1] neg_hi:[0,0,1]
	v_pk_fma_f32 v[4:5], v[4:5], v[0:1], v[8:9] op_sel:[0,0,1] op_sel_hi:[1,0,0]
	v_dual_mul_f32 v8, v7, v3 :: v_dual_mov_b32 v4, v7
	s_delay_alu instid0(VALU_DEP_2) | instskip(NEXT) | instid1(VALU_DEP_2)
	v_dual_mov_b32 v11, v5 :: v_dual_mov_b32 v5, v6
	v_pk_fma_f32 v[8:9], v[6:7], v[36:37], v[8:9] op_sel_hi:[1,1,0] neg_lo:[0,0,1] neg_hi:[0,0,1]
	v_mul_f32_e32 v6, v7, v0
	s_delay_alu instid0(VALU_DEP_3) | instskip(NEXT) | instid1(VALU_DEP_2)
	v_pk_add_f32 v[146:147], v[146:147], v[10:11] neg_lo:[0,1] neg_hi:[0,1]
	v_pk_fma_f32 v[4:5], v[4:5], v[36:37], v[6:7] op_sel_hi:[1,1,0]
	s_delay_alu instid0(VALU_DEP_1) | instskip(SKIP_4) | instid1(VALU_DEP_1)
	v_mov_b32_e32 v9, v5
	ds_load_2addr_b64 v[4:7], v118 offset0:34 offset1:35
	v_pk_add_f32 v[142:143], v[142:143], v[8:9] neg_lo:[0,1] neg_hi:[0,1]
	s_wait_dscnt 0x0
	v_pk_mul_f32 v[8:9], v[4:5], v[2:3] op_sel:[0,1]
	v_pk_fma_f32 v[10:11], v[4:5], v[0:1], v[8:9] op_sel:[0,0,1] op_sel_hi:[1,1,0] neg_lo:[0,0,1] neg_hi:[0,0,1]
	v_pk_fma_f32 v[4:5], v[4:5], v[0:1], v[8:9] op_sel:[0,0,1] op_sel_hi:[1,0,0]
	s_delay_alu instid0(VALU_DEP_1) | instskip(SKIP_1) | instid1(VALU_DEP_1)
	v_mov_b32_e32 v11, v5
	v_pk_mul_f32 v[4:5], v[6:7], v[2:3] op_sel:[0,1]
	v_pk_fma_f32 v[8:9], v[6:7], v[0:1], v[4:5] op_sel:[0,0,1] op_sel_hi:[1,1,0] neg_lo:[0,0,1] neg_hi:[0,0,1]
	v_pk_fma_f32 v[4:5], v[6:7], v[0:1], v[4:5] op_sel:[0,0,1] op_sel_hi:[1,0,0]
	s_delay_alu instid0(VALU_DEP_1)
	v_mov_b32_e32 v9, v5
	ds_load_2addr_b64 v[4:7], v118 offset0:36 offset1:37
	v_pk_add_f32 v[144:145], v[144:145], v[10:11] neg_lo:[0,1] neg_hi:[0,1]
	v_pk_add_f32 v[140:141], v[140:141], v[8:9] neg_lo:[0,1] neg_hi:[0,1]
	s_wait_dscnt 0x0
	v_pk_mul_f32 v[8:9], v[4:5], v[2:3] op_sel:[0,1]
	s_delay_alu instid0(VALU_DEP_1) | instskip(SKIP_1) | instid1(VALU_DEP_1)
	v_pk_fma_f32 v[10:11], v[4:5], v[0:1], v[8:9] op_sel:[0,0,1] op_sel_hi:[1,1,0] neg_lo:[0,0,1] neg_hi:[0,0,1]
	v_pk_fma_f32 v[4:5], v[4:5], v[0:1], v[8:9] op_sel:[0,0,1] op_sel_hi:[1,0,0]
	v_mov_b32_e32 v11, v5
	v_pk_mul_f32 v[4:5], v[6:7], v[2:3] op_sel:[0,1]
	s_delay_alu instid0(VALU_DEP_1) | instskip(SKIP_1) | instid1(VALU_DEP_1)
	v_pk_fma_f32 v[8:9], v[6:7], v[0:1], v[4:5] op_sel:[0,0,1] op_sel_hi:[1,1,0] neg_lo:[0,0,1] neg_hi:[0,0,1]
	v_pk_fma_f32 v[4:5], v[6:7], v[0:1], v[4:5] op_sel:[0,0,1] op_sel_hi:[1,0,0]
	v_mov_b32_e32 v9, v5
	ds_load_2addr_b64 v[4:7], v118 offset0:38 offset1:39
	v_pk_add_f32 v[162:163], v[162:163], v[10:11] neg_lo:[0,1] neg_hi:[0,1]
	v_pk_add_f32 v[158:159], v[158:159], v[8:9] neg_lo:[0,1] neg_hi:[0,1]
	s_wait_dscnt 0x0
	v_dual_mul_f32 v8, v5, v3 :: v_dual_mul_f32 v10, v5, v0
	s_delay_alu instid0(VALU_DEP_1) | instskip(NEXT) | instid1(VALU_DEP_2)
	v_pk_fma_f32 v[8:9], v[4:5], v[36:37], v[8:9] op_sel_hi:[1,1,0] neg_lo:[0,0,1] neg_hi:[0,0,1]
	v_pk_fma_f32 v[4:5], v[4:5], v[36:37], v[10:11] op_sel:[1,0,0] op_sel_hi:[0,1,0]
	s_delay_alu instid0(VALU_DEP_1) | instskip(SKIP_1) | instid1(VALU_DEP_2)
	v_mov_b32_e32 v9, v5
	v_pk_mul_f32 v[4:5], v[6:7], v[2:3] op_sel:[0,1]
	v_pk_add_f32 v[160:161], v[160:161], v[8:9] neg_lo:[0,1] neg_hi:[0,1]
	s_delay_alu instid0(VALU_DEP_2) | instskip(SKIP_1) | instid1(VALU_DEP_1)
	v_pk_fma_f32 v[8:9], v[6:7], v[0:1], v[4:5] op_sel:[0,0,1] op_sel_hi:[1,1,0] neg_lo:[0,0,1] neg_hi:[0,0,1]
	v_pk_fma_f32 v[4:5], v[6:7], v[0:1], v[4:5] op_sel:[0,0,1] op_sel_hi:[1,0,0]
	v_mov_b32_e32 v9, v5
	ds_load_2addr_b64 v[4:7], v118 offset0:40 offset1:41
	v_pk_add_f32 v[156:157], v[156:157], v[8:9] neg_lo:[0,1] neg_hi:[0,1]
	s_wait_dscnt 0x0
	v_pk_mul_f32 v[8:9], v[4:5], v[2:3] op_sel:[0,1]
	s_delay_alu instid0(VALU_DEP_1) | instskip(SKIP_1) | instid1(VALU_DEP_1)
	v_pk_fma_f32 v[10:11], v[4:5], v[0:1], v[8:9] op_sel:[0,0,1] op_sel_hi:[1,1,0] neg_lo:[0,0,1] neg_hi:[0,0,1]
	v_pk_fma_f32 v[4:5], v[4:5], v[0:1], v[8:9] op_sel:[0,0,1] op_sel_hi:[1,0,0]
	v_mov_b32_e32 v11, v5
	v_pk_mul_f32 v[4:5], v[6:7], v[2:3] op_sel:[0,1]
	s_delay_alu instid0(VALU_DEP_2) | instskip(NEXT) | instid1(VALU_DEP_2)
	v_pk_add_f32 v[182:183], v[182:183], v[10:11] neg_lo:[0,1] neg_hi:[0,1]
	v_pk_fma_f32 v[8:9], v[6:7], v[0:1], v[4:5] op_sel:[0,0,1] op_sel_hi:[1,1,0] neg_lo:[0,0,1] neg_hi:[0,0,1]
	v_pk_fma_f32 v[4:5], v[6:7], v[0:1], v[4:5] op_sel:[0,0,1] op_sel_hi:[1,0,0]
	s_delay_alu instid0(VALU_DEP_1) | instskip(SKIP_4) | instid1(VALU_DEP_1)
	v_mov_b32_e32 v9, v5
	ds_load_2addr_b64 v[4:7], v118 offset0:42 offset1:43
	v_pk_add_f32 v[178:179], v[178:179], v[8:9] neg_lo:[0,1] neg_hi:[0,1]
	s_wait_dscnt 0x0
	v_pk_mul_f32 v[8:9], v[4:5], v[2:3] op_sel:[0,1]
	v_pk_fma_f32 v[10:11], v[4:5], v[0:1], v[8:9] op_sel:[0,0,1] op_sel_hi:[1,1,0] neg_lo:[0,0,1] neg_hi:[0,0,1]
	v_pk_fma_f32 v[4:5], v[4:5], v[0:1], v[8:9] op_sel:[0,0,1] op_sel_hi:[1,0,0]
	v_dual_mul_f32 v8, v7, v3 :: v_dual_mov_b32 v4, v7
	s_delay_alu instid0(VALU_DEP_2) | instskip(NEXT) | instid1(VALU_DEP_2)
	v_dual_mov_b32 v11, v5 :: v_dual_mov_b32 v5, v6
	v_pk_fma_f32 v[8:9], v[6:7], v[36:37], v[8:9] op_sel_hi:[1,1,0] neg_lo:[0,0,1] neg_hi:[0,0,1]
	v_mul_f32_e32 v6, v7, v0
	s_delay_alu instid0(VALU_DEP_3) | instskip(NEXT) | instid1(VALU_DEP_2)
	v_pk_add_f32 v[180:181], v[180:181], v[10:11] neg_lo:[0,1] neg_hi:[0,1]
	v_pk_fma_f32 v[4:5], v[4:5], v[36:37], v[6:7] op_sel_hi:[1,1,0]
	s_delay_alu instid0(VALU_DEP_1) | instskip(SKIP_4) | instid1(VALU_DEP_1)
	v_mov_b32_e32 v9, v5
	ds_load_2addr_b64 v[4:7], v118 offset0:44 offset1:45
	v_pk_add_f32 v[176:177], v[176:177], v[8:9] neg_lo:[0,1] neg_hi:[0,1]
	s_wait_dscnt 0x0
	v_pk_mul_f32 v[8:9], v[4:5], v[2:3] op_sel:[0,1]
	v_pk_fma_f32 v[10:11], v[4:5], v[0:1], v[8:9] op_sel:[0,0,1] op_sel_hi:[1,1,0] neg_lo:[0,0,1] neg_hi:[0,0,1]
	v_pk_fma_f32 v[4:5], v[4:5], v[0:1], v[8:9] op_sel:[0,0,1] op_sel_hi:[1,0,0]
	s_delay_alu instid0(VALU_DEP_1) | instskip(SKIP_1) | instid1(VALU_DEP_1)
	v_mov_b32_e32 v11, v5
	v_pk_mul_f32 v[4:5], v[6:7], v[2:3] op_sel:[0,1]
	v_pk_fma_f32 v[8:9], v[6:7], v[0:1], v[4:5] op_sel:[0,0,1] op_sel_hi:[1,1,0] neg_lo:[0,0,1] neg_hi:[0,0,1]
	v_pk_fma_f32 v[4:5], v[6:7], v[0:1], v[4:5] op_sel:[0,0,1] op_sel_hi:[1,0,0]
	s_delay_alu instid0(VALU_DEP_1)
	v_mov_b32_e32 v9, v5
	ds_load_2addr_b64 v[4:7], v118 offset0:46 offset1:47
	v_pk_add_f32 v[204:205], v[204:205], v[10:11] neg_lo:[0,1] neg_hi:[0,1]
	v_pk_add_f32 v[198:199], v[198:199], v[8:9] neg_lo:[0,1] neg_hi:[0,1]
	s_wait_dscnt 0x0
	v_pk_mul_f32 v[8:9], v[4:5], v[2:3] op_sel:[0,1]
	s_delay_alu instid0(VALU_DEP_1) | instskip(SKIP_1) | instid1(VALU_DEP_1)
	v_pk_fma_f32 v[10:11], v[4:5], v[0:1], v[8:9] op_sel:[0,0,1] op_sel_hi:[1,1,0] neg_lo:[0,0,1] neg_hi:[0,0,1]
	v_pk_fma_f32 v[4:5], v[4:5], v[0:1], v[8:9] op_sel:[0,0,1] op_sel_hi:[1,0,0]
	v_mov_b32_e32 v11, v5
	v_pk_mul_f32 v[4:5], v[6:7], v[2:3] op_sel:[0,1]
	s_delay_alu instid0(VALU_DEP_1) | instskip(SKIP_1) | instid1(VALU_DEP_1)
	v_pk_fma_f32 v[8:9], v[6:7], v[0:1], v[4:5] op_sel:[0,0,1] op_sel_hi:[1,1,0] neg_lo:[0,0,1] neg_hi:[0,0,1]
	v_pk_fma_f32 v[4:5], v[6:7], v[0:1], v[4:5] op_sel:[0,0,1] op_sel_hi:[1,0,0]
	v_mov_b32_e32 v9, v5
	ds_load_2addr_b64 v[4:7], v118 offset0:48 offset1:49
	v_pk_add_f32 v[202:203], v[202:203], v[10:11] neg_lo:[0,1] neg_hi:[0,1]
	v_pk_add_f32 v[196:197], v[196:197], v[8:9] neg_lo:[0,1] neg_hi:[0,1]
	s_wait_dscnt 0x0
	v_dual_mul_f32 v8, v5, v3 :: v_dual_mul_f32 v10, v5, v0
	s_delay_alu instid0(VALU_DEP_1) | instskip(NEXT) | instid1(VALU_DEP_2)
	v_pk_fma_f32 v[8:9], v[4:5], v[36:37], v[8:9] op_sel_hi:[1,1,0] neg_lo:[0,0,1] neg_hi:[0,0,1]
	v_pk_fma_f32 v[4:5], v[4:5], v[36:37], v[10:11] op_sel:[1,0,0] op_sel_hi:[0,1,0]
	s_delay_alu instid0(VALU_DEP_1) | instskip(SKIP_1) | instid1(VALU_DEP_2)
	v_mov_b32_e32 v9, v5
	v_pk_mul_f32 v[4:5], v[6:7], v[2:3] op_sel:[0,1]
	v_pk_add_f32 v[200:201], v[200:201], v[8:9] neg_lo:[0,1] neg_hi:[0,1]
	s_delay_alu instid0(VALU_DEP_2) | instskip(SKIP_1) | instid1(VALU_DEP_1)
	v_pk_fma_f32 v[8:9], v[6:7], v[0:1], v[4:5] op_sel:[0,0,1] op_sel_hi:[1,1,0] neg_lo:[0,0,1] neg_hi:[0,0,1]
	v_pk_fma_f32 v[4:5], v[6:7], v[0:1], v[4:5] op_sel:[0,0,1] op_sel_hi:[1,0,0]
	v_mov_b32_e32 v9, v5
	ds_load_2addr_b64 v[4:7], v118 offset0:50 offset1:51
	v_pk_add_f32 v[194:195], v[194:195], v[8:9] neg_lo:[0,1] neg_hi:[0,1]
	s_wait_dscnt 0x0
	v_pk_mul_f32 v[8:9], v[4:5], v[2:3] op_sel:[0,1]
	v_mul_f32_e32 v2, v7, v3
	s_delay_alu instid0(VALU_DEP_2) | instskip(SKIP_2) | instid1(VALU_DEP_4)
	v_pk_fma_f32 v[10:11], v[4:5], v[0:1], v[8:9] op_sel:[0,0,1] op_sel_hi:[1,1,0] neg_lo:[0,0,1] neg_hi:[0,0,1]
	v_pk_fma_f32 v[4:5], v[4:5], v[0:1], v[8:9] op_sel:[0,0,1] op_sel_hi:[1,0,0]
	v_dual_mov_b32 v4, v7 :: v_dual_mul_f32 v0, v7, v0
	v_pk_fma_f32 v[2:3], v[6:7], v[36:37], v[2:3] op_sel_hi:[1,1,0] neg_lo:[0,0,1] neg_hi:[0,0,1]
	s_delay_alu instid0(VALU_DEP_3) | instskip(NEXT) | instid1(VALU_DEP_1)
	v_dual_mov_b32 v11, v5 :: v_dual_mov_b32 v5, v6
	v_pk_add_f32 v[206:207], v[206:207], v[10:11] neg_lo:[0,1] neg_hi:[0,1]
	s_delay_alu instid0(VALU_DEP_2) | instskip(NEXT) | instid1(VALU_DEP_1)
	v_pk_fma_f32 v[0:1], v[4:5], v[36:37], v[0:1] op_sel_hi:[1,1,0]
	v_mov_b32_e32 v3, v1
	s_delay_alu instid0(VALU_DEP_1)
	v_pk_add_f32 v[208:209], v[208:209], v[2:3] neg_lo:[0,1] neg_hi:[0,1]
.LBB103_91:
	s_wait_xcnt 0x0
	s_or_b32 exec_lo, exec_lo, s1
	s_delay_alu instid0(SALU_CYCLE_1)
	s_mov_b32 s2, exec_lo
	s_wait_storecnt 0x0
	s_barrier_signal -1
	s_barrier_wait -1
	v_cmpx_eq_u32_e32 10, v116
	s_cbranch_execz .LBB103_98
; %bb.92:
	ds_store_b64 v117, v[38:39]
	ds_store_2addr_b64 v118, v[34:35], v[62:63] offset0:11 offset1:12
	ds_store_2addr_b64 v118, v[58:59], v[60:61] offset0:13 offset1:14
	;; [unrolled: 1-line block ×20, first 2 shown]
	ds_store_b64 v118, v[208:209] offset:408
	ds_load_b64 v[0:1], v117
	s_wait_dscnt 0x0
	v_cmp_neq_f32_e32 vcc_lo, 0, v0
	v_cmp_neq_f32_e64 s1, 0, v1
	s_or_b32 s1, vcc_lo, s1
	s_delay_alu instid0(SALU_CYCLE_1)
	s_and_b32 exec_lo, exec_lo, s1
	s_cbranch_execz .LBB103_98
; %bb.93:
	v_cmp_ngt_f32_e64 s1, |v0|, |v1|
                                        ; implicit-def: $vgpr2_vgpr3
	s_and_saveexec_b32 s4, s1
	s_delay_alu instid0(SALU_CYCLE_1)
	s_xor_b32 s1, exec_lo, s4
	s_cbranch_execz .LBB103_95
; %bb.94:
	v_div_scale_f32 v2, null, v1, v1, v0
	v_div_scale_f32 v5, vcc_lo, v0, v1, v0
	s_delay_alu instid0(VALU_DEP_2) | instskip(SKIP_1) | instid1(TRANS32_DEP_1)
	v_rcp_f32_e32 v3, v2
	v_nop
	v_fma_f32 v4, -v2, v3, 1.0
	s_delay_alu instid0(VALU_DEP_1) | instskip(NEXT) | instid1(VALU_DEP_1)
	v_fmac_f32_e32 v3, v4, v3
	v_mul_f32_e32 v4, v5, v3
	s_delay_alu instid0(VALU_DEP_1) | instskip(NEXT) | instid1(VALU_DEP_1)
	v_fma_f32 v6, -v2, v4, v5
	v_fmac_f32_e32 v4, v6, v3
	s_delay_alu instid0(VALU_DEP_1) | instskip(NEXT) | instid1(VALU_DEP_1)
	v_fma_f32 v2, -v2, v4, v5
	v_div_fmas_f32 v2, v2, v3, v4
	s_delay_alu instid0(VALU_DEP_1) | instskip(NEXT) | instid1(VALU_DEP_1)
	v_div_fixup_f32 v2, v2, v1, v0
	v_fmac_f32_e32 v1, v0, v2
	s_delay_alu instid0(VALU_DEP_1) | instskip(SKIP_1) | instid1(VALU_DEP_2)
	v_div_scale_f32 v0, null, v1, v1, 1.0
	v_div_scale_f32 v5, vcc_lo, 1.0, v1, 1.0
	v_rcp_f32_e32 v3, v0
	v_nop
	s_delay_alu instid0(TRANS32_DEP_1) | instskip(NEXT) | instid1(VALU_DEP_1)
	v_fma_f32 v4, -v0, v3, 1.0
	v_fmac_f32_e32 v3, v4, v3
	s_delay_alu instid0(VALU_DEP_1) | instskip(NEXT) | instid1(VALU_DEP_1)
	v_mul_f32_e32 v4, v5, v3
	v_fma_f32 v6, -v0, v4, v5
	s_delay_alu instid0(VALU_DEP_1) | instskip(NEXT) | instid1(VALU_DEP_1)
	v_fmac_f32_e32 v4, v6, v3
	v_fma_f32 v0, -v0, v4, v5
	s_delay_alu instid0(VALU_DEP_1) | instskip(NEXT) | instid1(VALU_DEP_1)
	v_div_fmas_f32 v0, v0, v3, v4
	v_div_fixup_f32 v0, v0, v1, 1.0
	s_delay_alu instid0(VALU_DEP_1)
	v_mul_f32_e32 v2, v2, v0
	v_xor_b32_e32 v3, 0x80000000, v0
                                        ; implicit-def: $vgpr0_vgpr1
.LBB103_95:
	s_and_not1_saveexec_b32 s1, s1
	s_cbranch_execz .LBB103_97
; %bb.96:
	v_div_scale_f32 v2, null, v0, v0, v1
	v_div_scale_f32 v5, vcc_lo, v1, v0, v1
	s_delay_alu instid0(VALU_DEP_2) | instskip(SKIP_1) | instid1(TRANS32_DEP_1)
	v_rcp_f32_e32 v3, v2
	v_nop
	v_fma_f32 v4, -v2, v3, 1.0
	s_delay_alu instid0(VALU_DEP_1) | instskip(NEXT) | instid1(VALU_DEP_1)
	v_fmac_f32_e32 v3, v4, v3
	v_mul_f32_e32 v4, v5, v3
	s_delay_alu instid0(VALU_DEP_1) | instskip(NEXT) | instid1(VALU_DEP_1)
	v_fma_f32 v6, -v2, v4, v5
	v_fmac_f32_e32 v4, v6, v3
	s_delay_alu instid0(VALU_DEP_1) | instskip(NEXT) | instid1(VALU_DEP_1)
	v_fma_f32 v2, -v2, v4, v5
	v_div_fmas_f32 v2, v2, v3, v4
	s_delay_alu instid0(VALU_DEP_1) | instskip(NEXT) | instid1(VALU_DEP_1)
	v_div_fixup_f32 v3, v2, v0, v1
	v_fmac_f32_e32 v0, v1, v3
	s_delay_alu instid0(VALU_DEP_1) | instskip(NEXT) | instid1(VALU_DEP_1)
	v_div_scale_f32 v1, null, v0, v0, 1.0
	v_rcp_f32_e32 v2, v1
	v_nop
	s_delay_alu instid0(TRANS32_DEP_1) | instskip(NEXT) | instid1(VALU_DEP_1)
	v_fma_f32 v4, -v1, v2, 1.0
	v_fmac_f32_e32 v2, v4, v2
	v_div_scale_f32 v4, vcc_lo, 1.0, v0, 1.0
	s_delay_alu instid0(VALU_DEP_1) | instskip(NEXT) | instid1(VALU_DEP_1)
	v_mul_f32_e32 v5, v4, v2
	v_fma_f32 v6, -v1, v5, v4
	s_delay_alu instid0(VALU_DEP_1) | instskip(NEXT) | instid1(VALU_DEP_1)
	v_fmac_f32_e32 v5, v6, v2
	v_fma_f32 v1, -v1, v5, v4
	s_delay_alu instid0(VALU_DEP_1) | instskip(NEXT) | instid1(VALU_DEP_1)
	v_div_fmas_f32 v1, v1, v2, v5
	v_div_fixup_f32 v2, v1, v0, 1.0
	s_delay_alu instid0(VALU_DEP_1)
	v_mul_f32_e64 v3, v3, -v2
.LBB103_97:
	s_or_b32 exec_lo, exec_lo, s1
	ds_store_b64 v117, v[2:3]
.LBB103_98:
	s_or_b32 exec_lo, exec_lo, s2
	s_wait_dscnt 0x0
	s_barrier_signal -1
	s_barrier_wait -1
	ds_load_b64 v[0:1], v117
	s_mov_b32 s1, exec_lo
	s_wait_dscnt 0x0
	scratch_store_b64 off, v[0:1], off offset:168 ; 8-byte Folded Spill
	s_wait_xcnt 0x0
	v_cmpx_lt_u32_e32 10, v116
	s_cbranch_execz .LBB103_100
; %bb.99:
	scratch_load_b64 v[4:5], off, off offset:168 ; 8-byte Folded Reload
	s_wait_loadcnt 0x0
	v_pk_mul_f32 v[2:3], v[4:5], v[38:39] op_sel:[1,1] op_sel_hi:[0,1]
	s_delay_alu instid0(VALU_DEP_1)
	v_pk_fma_f32 v[0:1], v[4:5], v[38:39], v[2:3] op_sel_hi:[1,0,1] neg_lo:[0,0,1] neg_hi:[0,0,1]
	v_pk_fma_f32 v[2:3], v[4:5], v[38:39], v[2:3] op_sel_hi:[1,0,1]
	ds_load_2addr_b64 v[4:7], v118 offset0:11 offset1:12
	v_dual_mov_b32 v38, v0 :: v_dual_mov_b32 v39, v3
	s_wait_dscnt 0x0
	v_pk_mul_f32 v[8:9], v[4:5], v[2:3] op_sel:[0,1]
	s_delay_alu instid0(VALU_DEP_1) | instskip(SKIP_1) | instid1(VALU_DEP_1)
	v_pk_fma_f32 v[10:11], v[4:5], v[0:1], v[8:9] op_sel:[0,0,1] op_sel_hi:[1,1,0] neg_lo:[0,0,1] neg_hi:[0,0,1]
	v_pk_fma_f32 v[4:5], v[4:5], v[0:1], v[8:9] op_sel:[0,0,1] op_sel_hi:[1,0,0]
	v_mov_b32_e32 v11, v5
	v_pk_mul_f32 v[4:5], v[6:7], v[2:3] op_sel:[0,1]
	s_delay_alu instid0(VALU_DEP_1) | instskip(SKIP_1) | instid1(VALU_DEP_1)
	v_pk_fma_f32 v[8:9], v[6:7], v[0:1], v[4:5] op_sel:[0,0,1] op_sel_hi:[1,1,0] neg_lo:[0,0,1] neg_hi:[0,0,1]
	v_pk_fma_f32 v[4:5], v[6:7], v[0:1], v[4:5] op_sel:[0,0,1] op_sel_hi:[1,0,0]
	v_mov_b32_e32 v9, v5
	ds_load_2addr_b64 v[4:7], v118 offset0:13 offset1:14
	v_pk_add_f32 v[34:35], v[34:35], v[10:11] neg_lo:[0,1] neg_hi:[0,1]
	v_pk_add_f32 v[62:63], v[62:63], v[8:9] neg_lo:[0,1] neg_hi:[0,1]
	s_wait_dscnt 0x0
	v_pk_mul_f32 v[8:9], v[4:5], v[2:3] op_sel:[0,1]
	s_delay_alu instid0(VALU_DEP_1) | instskip(SKIP_2) | instid1(VALU_DEP_2)
	v_pk_fma_f32 v[10:11], v[4:5], v[0:1], v[8:9] op_sel:[0,0,1] op_sel_hi:[1,1,0] neg_lo:[0,0,1] neg_hi:[0,0,1]
	v_pk_fma_f32 v[4:5], v[4:5], v[0:1], v[8:9] op_sel:[0,0,1] op_sel_hi:[1,0,0]
	v_dual_mul_f32 v8, v7, v3 :: v_dual_mov_b32 v4, v7
	v_dual_mov_b32 v11, v5 :: v_dual_mov_b32 v5, v6
	s_delay_alu instid0(VALU_DEP_2) | instskip(SKIP_1) | instid1(VALU_DEP_3)
	v_pk_fma_f32 v[8:9], v[6:7], v[38:39], v[8:9] op_sel_hi:[1,1,0] neg_lo:[0,0,1] neg_hi:[0,0,1]
	v_mul_f32_e32 v6, v7, v0
	v_pk_add_f32 v[58:59], v[58:59], v[10:11] neg_lo:[0,1] neg_hi:[0,1]
	s_delay_alu instid0(VALU_DEP_2) | instskip(NEXT) | instid1(VALU_DEP_1)
	v_pk_fma_f32 v[4:5], v[4:5], v[38:39], v[6:7] op_sel_hi:[1,1,0]
	v_mov_b32_e32 v9, v5
	ds_load_2addr_b64 v[4:7], v118 offset0:15 offset1:16
	v_pk_add_f32 v[60:61], v[60:61], v[8:9] neg_lo:[0,1] neg_hi:[0,1]
	s_wait_dscnt 0x0
	v_pk_mul_f32 v[8:9], v[4:5], v[2:3] op_sel:[0,1]
	s_delay_alu instid0(VALU_DEP_1) | instskip(SKIP_1) | instid1(VALU_DEP_1)
	v_pk_fma_f32 v[10:11], v[4:5], v[0:1], v[8:9] op_sel:[0,0,1] op_sel_hi:[1,1,0] neg_lo:[0,0,1] neg_hi:[0,0,1]
	v_pk_fma_f32 v[4:5], v[4:5], v[0:1], v[8:9] op_sel:[0,0,1] op_sel_hi:[1,0,0]
	v_mov_b32_e32 v11, v5
	v_pk_mul_f32 v[4:5], v[6:7], v[2:3] op_sel:[0,1]
	s_delay_alu instid0(VALU_DEP_1) | instskip(SKIP_1) | instid1(VALU_DEP_1)
	v_pk_fma_f32 v[8:9], v[6:7], v[0:1], v[4:5] op_sel:[0,0,1] op_sel_hi:[1,1,0] neg_lo:[0,0,1] neg_hi:[0,0,1]
	v_pk_fma_f32 v[4:5], v[6:7], v[0:1], v[4:5] op_sel:[0,0,1] op_sel_hi:[1,0,0]
	v_mov_b32_e32 v9, v5
	ds_load_2addr_b64 v[4:7], v118 offset0:17 offset1:18
	v_pk_add_f32 v[56:57], v[56:57], v[10:11] neg_lo:[0,1] neg_hi:[0,1]
	v_pk_add_f32 v[78:79], v[78:79], v[8:9] neg_lo:[0,1] neg_hi:[0,1]
	s_wait_dscnt 0x0
	v_pk_mul_f32 v[8:9], v[4:5], v[2:3] op_sel:[0,1]
	s_delay_alu instid0(VALU_DEP_1) | instskip(SKIP_1) | instid1(VALU_DEP_1)
	v_pk_fma_f32 v[10:11], v[4:5], v[0:1], v[8:9] op_sel:[0,0,1] op_sel_hi:[1,1,0] neg_lo:[0,0,1] neg_hi:[0,0,1]
	v_pk_fma_f32 v[4:5], v[4:5], v[0:1], v[8:9] op_sel:[0,0,1] op_sel_hi:[1,0,0]
	v_mov_b32_e32 v11, v5
	v_pk_mul_f32 v[4:5], v[6:7], v[2:3] op_sel:[0,1]
	s_delay_alu instid0(VALU_DEP_1) | instskip(SKIP_1) | instid1(VALU_DEP_1)
	v_pk_fma_f32 v[8:9], v[6:7], v[0:1], v[4:5] op_sel:[0,0,1] op_sel_hi:[1,1,0] neg_lo:[0,0,1] neg_hi:[0,0,1]
	v_pk_fma_f32 v[4:5], v[6:7], v[0:1], v[4:5] op_sel:[0,0,1] op_sel_hi:[1,0,0]
	v_mov_b32_e32 v9, v5
	ds_load_2addr_b64 v[4:7], v118 offset0:19 offset1:20
	v_pk_add_f32 v[74:75], v[74:75], v[10:11] neg_lo:[0,1] neg_hi:[0,1]
	v_pk_add_f32 v[76:77], v[76:77], v[8:9] neg_lo:[0,1] neg_hi:[0,1]
	s_wait_dscnt 0x0
	v_dual_mul_f32 v8, v5, v3 :: v_dual_mul_f32 v10, v5, v0
	s_delay_alu instid0(VALU_DEP_1) | instskip(NEXT) | instid1(VALU_DEP_2)
	v_pk_fma_f32 v[8:9], v[4:5], v[38:39], v[8:9] op_sel_hi:[1,1,0] neg_lo:[0,0,1] neg_hi:[0,0,1]
	v_pk_fma_f32 v[4:5], v[4:5], v[38:39], v[10:11] op_sel:[1,0,0] op_sel_hi:[0,1,0]
	s_delay_alu instid0(VALU_DEP_1) | instskip(SKIP_1) | instid1(VALU_DEP_2)
	v_mov_b32_e32 v9, v5
	v_pk_mul_f32 v[4:5], v[6:7], v[2:3] op_sel:[0,1]
	v_pk_add_f32 v[72:73], v[72:73], v[8:9] neg_lo:[0,1] neg_hi:[0,1]
	s_delay_alu instid0(VALU_DEP_2) | instskip(SKIP_1) | instid1(VALU_DEP_1)
	v_pk_fma_f32 v[8:9], v[6:7], v[0:1], v[4:5] op_sel:[0,0,1] op_sel_hi:[1,1,0] neg_lo:[0,0,1] neg_hi:[0,0,1]
	v_pk_fma_f32 v[4:5], v[6:7], v[0:1], v[4:5] op_sel:[0,0,1] op_sel_hi:[1,0,0]
	v_mov_b32_e32 v9, v5
	ds_load_2addr_b64 v[4:7], v118 offset0:21 offset1:22
	v_pk_add_f32 v[94:95], v[94:95], v[8:9] neg_lo:[0,1] neg_hi:[0,1]
	s_wait_dscnt 0x0
	v_pk_mul_f32 v[8:9], v[4:5], v[2:3] op_sel:[0,1]
	s_delay_alu instid0(VALU_DEP_1) | instskip(SKIP_1) | instid1(VALU_DEP_1)
	v_pk_fma_f32 v[10:11], v[4:5], v[0:1], v[8:9] op_sel:[0,0,1] op_sel_hi:[1,1,0] neg_lo:[0,0,1] neg_hi:[0,0,1]
	v_pk_fma_f32 v[4:5], v[4:5], v[0:1], v[8:9] op_sel:[0,0,1] op_sel_hi:[1,0,0]
	v_mov_b32_e32 v11, v5
	v_pk_mul_f32 v[4:5], v[6:7], v[2:3] op_sel:[0,1]
	s_delay_alu instid0(VALU_DEP_2) | instskip(NEXT) | instid1(VALU_DEP_2)
	v_pk_add_f32 v[90:91], v[90:91], v[10:11] neg_lo:[0,1] neg_hi:[0,1]
	v_pk_fma_f32 v[8:9], v[6:7], v[0:1], v[4:5] op_sel:[0,0,1] op_sel_hi:[1,1,0] neg_lo:[0,0,1] neg_hi:[0,0,1]
	v_pk_fma_f32 v[4:5], v[6:7], v[0:1], v[4:5] op_sel:[0,0,1] op_sel_hi:[1,0,0]
	s_delay_alu instid0(VALU_DEP_1) | instskip(SKIP_4) | instid1(VALU_DEP_1)
	v_mov_b32_e32 v9, v5
	ds_load_2addr_b64 v[4:7], v118 offset0:23 offset1:24
	v_pk_add_f32 v[92:93], v[92:93], v[8:9] neg_lo:[0,1] neg_hi:[0,1]
	s_wait_dscnt 0x0
	v_pk_mul_f32 v[8:9], v[4:5], v[2:3] op_sel:[0,1]
	v_pk_fma_f32 v[10:11], v[4:5], v[0:1], v[8:9] op_sel:[0,0,1] op_sel_hi:[1,1,0] neg_lo:[0,0,1] neg_hi:[0,0,1]
	v_pk_fma_f32 v[4:5], v[4:5], v[0:1], v[8:9] op_sel:[0,0,1] op_sel_hi:[1,0,0]
	v_dual_mul_f32 v8, v7, v3 :: v_dual_mov_b32 v4, v7
	s_delay_alu instid0(VALU_DEP_2) | instskip(NEXT) | instid1(VALU_DEP_2)
	v_dual_mov_b32 v11, v5 :: v_dual_mov_b32 v5, v6
	v_pk_fma_f32 v[8:9], v[6:7], v[38:39], v[8:9] op_sel_hi:[1,1,0] neg_lo:[0,0,1] neg_hi:[0,0,1]
	v_mul_f32_e32 v6, v7, v0
	s_delay_alu instid0(VALU_DEP_3) | instskip(NEXT) | instid1(VALU_DEP_2)
	v_pk_add_f32 v[88:89], v[88:89], v[10:11] neg_lo:[0,1] neg_hi:[0,1]
	v_pk_fma_f32 v[4:5], v[4:5], v[38:39], v[6:7] op_sel_hi:[1,1,0]
	s_delay_alu instid0(VALU_DEP_1) | instskip(SKIP_4) | instid1(VALU_DEP_1)
	v_mov_b32_e32 v9, v5
	ds_load_2addr_b64 v[4:7], v118 offset0:25 offset1:26
	v_pk_add_f32 v[112:113], v[112:113], v[8:9] neg_lo:[0,1] neg_hi:[0,1]
	s_wait_dscnt 0x0
	v_pk_mul_f32 v[8:9], v[4:5], v[2:3] op_sel:[0,1]
	v_pk_fma_f32 v[10:11], v[4:5], v[0:1], v[8:9] op_sel:[0,0,1] op_sel_hi:[1,1,0] neg_lo:[0,0,1] neg_hi:[0,0,1]
	v_pk_fma_f32 v[4:5], v[4:5], v[0:1], v[8:9] op_sel:[0,0,1] op_sel_hi:[1,0,0]
	s_delay_alu instid0(VALU_DEP_1) | instskip(SKIP_1) | instid1(VALU_DEP_1)
	v_mov_b32_e32 v11, v5
	v_pk_mul_f32 v[4:5], v[6:7], v[2:3] op_sel:[0,1]
	v_pk_fma_f32 v[8:9], v[6:7], v[0:1], v[4:5] op_sel:[0,0,1] op_sel_hi:[1,1,0] neg_lo:[0,0,1] neg_hi:[0,0,1]
	v_pk_fma_f32 v[4:5], v[6:7], v[0:1], v[4:5] op_sel:[0,0,1] op_sel_hi:[1,0,0]
	s_delay_alu instid0(VALU_DEP_1)
	v_mov_b32_e32 v9, v5
	ds_load_2addr_b64 v[4:7], v118 offset0:27 offset1:28
	v_pk_add_f32 v[108:109], v[108:109], v[10:11] neg_lo:[0,1] neg_hi:[0,1]
	v_pk_add_f32 v[110:111], v[110:111], v[8:9] neg_lo:[0,1] neg_hi:[0,1]
	s_wait_dscnt 0x0
	v_pk_mul_f32 v[8:9], v[4:5], v[2:3] op_sel:[0,1]
	s_delay_alu instid0(VALU_DEP_1) | instskip(SKIP_1) | instid1(VALU_DEP_1)
	v_pk_fma_f32 v[10:11], v[4:5], v[0:1], v[8:9] op_sel:[0,0,1] op_sel_hi:[1,1,0] neg_lo:[0,0,1] neg_hi:[0,0,1]
	v_pk_fma_f32 v[4:5], v[4:5], v[0:1], v[8:9] op_sel:[0,0,1] op_sel_hi:[1,0,0]
	v_mov_b32_e32 v11, v5
	v_pk_mul_f32 v[4:5], v[6:7], v[2:3] op_sel:[0,1]
	s_delay_alu instid0(VALU_DEP_1) | instskip(SKIP_1) | instid1(VALU_DEP_1)
	v_pk_fma_f32 v[8:9], v[6:7], v[0:1], v[4:5] op_sel:[0,0,1] op_sel_hi:[1,1,0] neg_lo:[0,0,1] neg_hi:[0,0,1]
	v_pk_fma_f32 v[4:5], v[6:7], v[0:1], v[4:5] op_sel:[0,0,1] op_sel_hi:[1,0,0]
	v_mov_b32_e32 v9, v5
	ds_load_2addr_b64 v[4:7], v118 offset0:29 offset1:30
	v_pk_add_f32 v[106:107], v[106:107], v[10:11] neg_lo:[0,1] neg_hi:[0,1]
	v_pk_add_f32 v[128:129], v[128:129], v[8:9] neg_lo:[0,1] neg_hi:[0,1]
	s_wait_dscnt 0x0
	v_dual_mul_f32 v8, v5, v3 :: v_dual_mul_f32 v10, v5, v0
	s_delay_alu instid0(VALU_DEP_1) | instskip(NEXT) | instid1(VALU_DEP_2)
	v_pk_fma_f32 v[8:9], v[4:5], v[38:39], v[8:9] op_sel_hi:[1,1,0] neg_lo:[0,0,1] neg_hi:[0,0,1]
	v_pk_fma_f32 v[4:5], v[4:5], v[38:39], v[10:11] op_sel:[1,0,0] op_sel_hi:[0,1,0]
	s_delay_alu instid0(VALU_DEP_1) | instskip(SKIP_1) | instid1(VALU_DEP_2)
	v_mov_b32_e32 v9, v5
	v_pk_mul_f32 v[4:5], v[6:7], v[2:3] op_sel:[0,1]
	v_pk_add_f32 v[124:125], v[124:125], v[8:9] neg_lo:[0,1] neg_hi:[0,1]
	s_delay_alu instid0(VALU_DEP_2) | instskip(SKIP_1) | instid1(VALU_DEP_1)
	v_pk_fma_f32 v[8:9], v[6:7], v[0:1], v[4:5] op_sel:[0,0,1] op_sel_hi:[1,1,0] neg_lo:[0,0,1] neg_hi:[0,0,1]
	v_pk_fma_f32 v[4:5], v[6:7], v[0:1], v[4:5] op_sel:[0,0,1] op_sel_hi:[1,0,0]
	v_mov_b32_e32 v9, v5
	ds_load_2addr_b64 v[4:7], v118 offset0:31 offset1:32
	v_pk_add_f32 v[126:127], v[126:127], v[8:9] neg_lo:[0,1] neg_hi:[0,1]
	s_wait_dscnt 0x0
	v_pk_mul_f32 v[8:9], v[4:5], v[2:3] op_sel:[0,1]
	s_delay_alu instid0(VALU_DEP_1) | instskip(SKIP_1) | instid1(VALU_DEP_1)
	v_pk_fma_f32 v[10:11], v[4:5], v[0:1], v[8:9] op_sel:[0,0,1] op_sel_hi:[1,1,0] neg_lo:[0,0,1] neg_hi:[0,0,1]
	v_pk_fma_f32 v[4:5], v[4:5], v[0:1], v[8:9] op_sel:[0,0,1] op_sel_hi:[1,0,0]
	v_mov_b32_e32 v11, v5
	v_pk_mul_f32 v[4:5], v[6:7], v[2:3] op_sel:[0,1]
	s_delay_alu instid0(VALU_DEP_2) | instskip(NEXT) | instid1(VALU_DEP_2)
	v_pk_add_f32 v[122:123], v[122:123], v[10:11] neg_lo:[0,1] neg_hi:[0,1]
	v_pk_fma_f32 v[8:9], v[6:7], v[0:1], v[4:5] op_sel:[0,0,1] op_sel_hi:[1,1,0] neg_lo:[0,0,1] neg_hi:[0,0,1]
	v_pk_fma_f32 v[4:5], v[6:7], v[0:1], v[4:5] op_sel:[0,0,1] op_sel_hi:[1,0,0]
	s_delay_alu instid0(VALU_DEP_1) | instskip(SKIP_4) | instid1(VALU_DEP_1)
	v_mov_b32_e32 v9, v5
	ds_load_2addr_b64 v[4:7], v118 offset0:33 offset1:34
	v_pk_add_f32 v[146:147], v[146:147], v[8:9] neg_lo:[0,1] neg_hi:[0,1]
	s_wait_dscnt 0x0
	v_pk_mul_f32 v[8:9], v[4:5], v[2:3] op_sel:[0,1]
	v_pk_fma_f32 v[10:11], v[4:5], v[0:1], v[8:9] op_sel:[0,0,1] op_sel_hi:[1,1,0] neg_lo:[0,0,1] neg_hi:[0,0,1]
	v_pk_fma_f32 v[4:5], v[4:5], v[0:1], v[8:9] op_sel:[0,0,1] op_sel_hi:[1,0,0]
	v_dual_mul_f32 v8, v7, v3 :: v_dual_mov_b32 v4, v7
	s_delay_alu instid0(VALU_DEP_2) | instskip(NEXT) | instid1(VALU_DEP_2)
	v_dual_mov_b32 v11, v5 :: v_dual_mov_b32 v5, v6
	v_pk_fma_f32 v[8:9], v[6:7], v[38:39], v[8:9] op_sel_hi:[1,1,0] neg_lo:[0,0,1] neg_hi:[0,0,1]
	v_mul_f32_e32 v6, v7, v0
	s_delay_alu instid0(VALU_DEP_3) | instskip(NEXT) | instid1(VALU_DEP_2)
	v_pk_add_f32 v[142:143], v[142:143], v[10:11] neg_lo:[0,1] neg_hi:[0,1]
	v_pk_fma_f32 v[4:5], v[4:5], v[38:39], v[6:7] op_sel_hi:[1,1,0]
	s_delay_alu instid0(VALU_DEP_1) | instskip(SKIP_4) | instid1(VALU_DEP_1)
	v_mov_b32_e32 v9, v5
	ds_load_2addr_b64 v[4:7], v118 offset0:35 offset1:36
	v_pk_add_f32 v[144:145], v[144:145], v[8:9] neg_lo:[0,1] neg_hi:[0,1]
	s_wait_dscnt 0x0
	v_pk_mul_f32 v[8:9], v[4:5], v[2:3] op_sel:[0,1]
	v_pk_fma_f32 v[10:11], v[4:5], v[0:1], v[8:9] op_sel:[0,0,1] op_sel_hi:[1,1,0] neg_lo:[0,0,1] neg_hi:[0,0,1]
	v_pk_fma_f32 v[4:5], v[4:5], v[0:1], v[8:9] op_sel:[0,0,1] op_sel_hi:[1,0,0]
	s_delay_alu instid0(VALU_DEP_1) | instskip(SKIP_1) | instid1(VALU_DEP_1)
	v_mov_b32_e32 v11, v5
	v_pk_mul_f32 v[4:5], v[6:7], v[2:3] op_sel:[0,1]
	v_pk_fma_f32 v[8:9], v[6:7], v[0:1], v[4:5] op_sel:[0,0,1] op_sel_hi:[1,1,0] neg_lo:[0,0,1] neg_hi:[0,0,1]
	v_pk_fma_f32 v[4:5], v[6:7], v[0:1], v[4:5] op_sel:[0,0,1] op_sel_hi:[1,0,0]
	s_delay_alu instid0(VALU_DEP_1)
	v_mov_b32_e32 v9, v5
	ds_load_2addr_b64 v[4:7], v118 offset0:37 offset1:38
	v_pk_add_f32 v[140:141], v[140:141], v[10:11] neg_lo:[0,1] neg_hi:[0,1]
	v_pk_add_f32 v[162:163], v[162:163], v[8:9] neg_lo:[0,1] neg_hi:[0,1]
	s_wait_dscnt 0x0
	v_pk_mul_f32 v[8:9], v[4:5], v[2:3] op_sel:[0,1]
	s_delay_alu instid0(VALU_DEP_1) | instskip(SKIP_1) | instid1(VALU_DEP_1)
	v_pk_fma_f32 v[10:11], v[4:5], v[0:1], v[8:9] op_sel:[0,0,1] op_sel_hi:[1,1,0] neg_lo:[0,0,1] neg_hi:[0,0,1]
	v_pk_fma_f32 v[4:5], v[4:5], v[0:1], v[8:9] op_sel:[0,0,1] op_sel_hi:[1,0,0]
	v_mov_b32_e32 v11, v5
	v_pk_mul_f32 v[4:5], v[6:7], v[2:3] op_sel:[0,1]
	s_delay_alu instid0(VALU_DEP_1) | instskip(SKIP_1) | instid1(VALU_DEP_1)
	v_pk_fma_f32 v[8:9], v[6:7], v[0:1], v[4:5] op_sel:[0,0,1] op_sel_hi:[1,1,0] neg_lo:[0,0,1] neg_hi:[0,0,1]
	v_pk_fma_f32 v[4:5], v[6:7], v[0:1], v[4:5] op_sel:[0,0,1] op_sel_hi:[1,0,0]
	v_mov_b32_e32 v9, v5
	ds_load_2addr_b64 v[4:7], v118 offset0:39 offset1:40
	v_pk_add_f32 v[158:159], v[158:159], v[10:11] neg_lo:[0,1] neg_hi:[0,1]
	v_pk_add_f32 v[160:161], v[160:161], v[8:9] neg_lo:[0,1] neg_hi:[0,1]
	s_wait_dscnt 0x0
	v_dual_mul_f32 v8, v5, v3 :: v_dual_mul_f32 v10, v5, v0
	s_delay_alu instid0(VALU_DEP_1) | instskip(NEXT) | instid1(VALU_DEP_2)
	v_pk_fma_f32 v[8:9], v[4:5], v[38:39], v[8:9] op_sel_hi:[1,1,0] neg_lo:[0,0,1] neg_hi:[0,0,1]
	v_pk_fma_f32 v[4:5], v[4:5], v[38:39], v[10:11] op_sel:[1,0,0] op_sel_hi:[0,1,0]
	s_delay_alu instid0(VALU_DEP_1) | instskip(SKIP_1) | instid1(VALU_DEP_2)
	v_mov_b32_e32 v9, v5
	v_pk_mul_f32 v[4:5], v[6:7], v[2:3] op_sel:[0,1]
	v_pk_add_f32 v[156:157], v[156:157], v[8:9] neg_lo:[0,1] neg_hi:[0,1]
	s_delay_alu instid0(VALU_DEP_2) | instskip(SKIP_1) | instid1(VALU_DEP_1)
	v_pk_fma_f32 v[8:9], v[6:7], v[0:1], v[4:5] op_sel:[0,0,1] op_sel_hi:[1,1,0] neg_lo:[0,0,1] neg_hi:[0,0,1]
	v_pk_fma_f32 v[4:5], v[6:7], v[0:1], v[4:5] op_sel:[0,0,1] op_sel_hi:[1,0,0]
	v_mov_b32_e32 v9, v5
	ds_load_2addr_b64 v[4:7], v118 offset0:41 offset1:42
	v_pk_add_f32 v[182:183], v[182:183], v[8:9] neg_lo:[0,1] neg_hi:[0,1]
	s_wait_dscnt 0x0
	v_pk_mul_f32 v[8:9], v[4:5], v[2:3] op_sel:[0,1]
	s_delay_alu instid0(VALU_DEP_1) | instskip(SKIP_1) | instid1(VALU_DEP_1)
	v_pk_fma_f32 v[10:11], v[4:5], v[0:1], v[8:9] op_sel:[0,0,1] op_sel_hi:[1,1,0] neg_lo:[0,0,1] neg_hi:[0,0,1]
	v_pk_fma_f32 v[4:5], v[4:5], v[0:1], v[8:9] op_sel:[0,0,1] op_sel_hi:[1,0,0]
	v_mov_b32_e32 v11, v5
	v_pk_mul_f32 v[4:5], v[6:7], v[2:3] op_sel:[0,1]
	s_delay_alu instid0(VALU_DEP_2) | instskip(NEXT) | instid1(VALU_DEP_2)
	v_pk_add_f32 v[178:179], v[178:179], v[10:11] neg_lo:[0,1] neg_hi:[0,1]
	v_pk_fma_f32 v[8:9], v[6:7], v[0:1], v[4:5] op_sel:[0,0,1] op_sel_hi:[1,1,0] neg_lo:[0,0,1] neg_hi:[0,0,1]
	v_pk_fma_f32 v[4:5], v[6:7], v[0:1], v[4:5] op_sel:[0,0,1] op_sel_hi:[1,0,0]
	s_delay_alu instid0(VALU_DEP_1) | instskip(SKIP_4) | instid1(VALU_DEP_1)
	v_mov_b32_e32 v9, v5
	ds_load_2addr_b64 v[4:7], v118 offset0:43 offset1:44
	v_pk_add_f32 v[180:181], v[180:181], v[8:9] neg_lo:[0,1] neg_hi:[0,1]
	s_wait_dscnt 0x0
	v_pk_mul_f32 v[8:9], v[4:5], v[2:3] op_sel:[0,1]
	v_pk_fma_f32 v[10:11], v[4:5], v[0:1], v[8:9] op_sel:[0,0,1] op_sel_hi:[1,1,0] neg_lo:[0,0,1] neg_hi:[0,0,1]
	v_pk_fma_f32 v[4:5], v[4:5], v[0:1], v[8:9] op_sel:[0,0,1] op_sel_hi:[1,0,0]
	v_dual_mul_f32 v8, v7, v3 :: v_dual_mov_b32 v4, v7
	s_delay_alu instid0(VALU_DEP_2) | instskip(NEXT) | instid1(VALU_DEP_2)
	v_dual_mov_b32 v11, v5 :: v_dual_mov_b32 v5, v6
	v_pk_fma_f32 v[8:9], v[6:7], v[38:39], v[8:9] op_sel_hi:[1,1,0] neg_lo:[0,0,1] neg_hi:[0,0,1]
	v_mul_f32_e32 v6, v7, v0
	s_delay_alu instid0(VALU_DEP_3) | instskip(NEXT) | instid1(VALU_DEP_2)
	v_pk_add_f32 v[176:177], v[176:177], v[10:11] neg_lo:[0,1] neg_hi:[0,1]
	v_pk_fma_f32 v[4:5], v[4:5], v[38:39], v[6:7] op_sel_hi:[1,1,0]
	s_delay_alu instid0(VALU_DEP_1) | instskip(SKIP_4) | instid1(VALU_DEP_1)
	v_mov_b32_e32 v9, v5
	ds_load_2addr_b64 v[4:7], v118 offset0:45 offset1:46
	v_pk_add_f32 v[204:205], v[204:205], v[8:9] neg_lo:[0,1] neg_hi:[0,1]
	s_wait_dscnt 0x0
	v_pk_mul_f32 v[8:9], v[4:5], v[2:3] op_sel:[0,1]
	v_pk_fma_f32 v[10:11], v[4:5], v[0:1], v[8:9] op_sel:[0,0,1] op_sel_hi:[1,1,0] neg_lo:[0,0,1] neg_hi:[0,0,1]
	v_pk_fma_f32 v[4:5], v[4:5], v[0:1], v[8:9] op_sel:[0,0,1] op_sel_hi:[1,0,0]
	s_delay_alu instid0(VALU_DEP_1) | instskip(SKIP_1) | instid1(VALU_DEP_1)
	v_mov_b32_e32 v11, v5
	v_pk_mul_f32 v[4:5], v[6:7], v[2:3] op_sel:[0,1]
	v_pk_fma_f32 v[8:9], v[6:7], v[0:1], v[4:5] op_sel:[0,0,1] op_sel_hi:[1,1,0] neg_lo:[0,0,1] neg_hi:[0,0,1]
	v_pk_fma_f32 v[4:5], v[6:7], v[0:1], v[4:5] op_sel:[0,0,1] op_sel_hi:[1,0,0]
	s_delay_alu instid0(VALU_DEP_1)
	v_mov_b32_e32 v9, v5
	ds_load_2addr_b64 v[4:7], v118 offset0:47 offset1:48
	v_pk_add_f32 v[198:199], v[198:199], v[10:11] neg_lo:[0,1] neg_hi:[0,1]
	v_pk_add_f32 v[202:203], v[202:203], v[8:9] neg_lo:[0,1] neg_hi:[0,1]
	s_wait_dscnt 0x0
	v_pk_mul_f32 v[8:9], v[4:5], v[2:3] op_sel:[0,1]
	s_delay_alu instid0(VALU_DEP_1) | instskip(SKIP_1) | instid1(VALU_DEP_1)
	v_pk_fma_f32 v[10:11], v[4:5], v[0:1], v[8:9] op_sel:[0,0,1] op_sel_hi:[1,1,0] neg_lo:[0,0,1] neg_hi:[0,0,1]
	v_pk_fma_f32 v[4:5], v[4:5], v[0:1], v[8:9] op_sel:[0,0,1] op_sel_hi:[1,0,0]
	v_mov_b32_e32 v11, v5
	v_pk_mul_f32 v[4:5], v[6:7], v[2:3] op_sel:[0,1]
	s_delay_alu instid0(VALU_DEP_1) | instskip(SKIP_1) | instid1(VALU_DEP_1)
	v_pk_fma_f32 v[8:9], v[6:7], v[0:1], v[4:5] op_sel:[0,0,1] op_sel_hi:[1,1,0] neg_lo:[0,0,1] neg_hi:[0,0,1]
	v_pk_fma_f32 v[4:5], v[6:7], v[0:1], v[4:5] op_sel:[0,0,1] op_sel_hi:[1,0,0]
	v_mov_b32_e32 v9, v5
	ds_load_2addr_b64 v[4:7], v118 offset0:49 offset1:50
	v_pk_add_f32 v[196:197], v[196:197], v[10:11] neg_lo:[0,1] neg_hi:[0,1]
	v_pk_add_f32 v[200:201], v[200:201], v[8:9] neg_lo:[0,1] neg_hi:[0,1]
	s_wait_dscnt 0x0
	v_dual_mul_f32 v8, v5, v3 :: v_dual_mul_f32 v10, v5, v0
	s_delay_alu instid0(VALU_DEP_1) | instskip(NEXT) | instid1(VALU_DEP_2)
	v_pk_fma_f32 v[8:9], v[4:5], v[38:39], v[8:9] op_sel_hi:[1,1,0] neg_lo:[0,0,1] neg_hi:[0,0,1]
	v_pk_fma_f32 v[4:5], v[4:5], v[38:39], v[10:11] op_sel:[1,0,0] op_sel_hi:[0,1,0]
	s_delay_alu instid0(VALU_DEP_1) | instskip(SKIP_1) | instid1(VALU_DEP_2)
	v_mov_b32_e32 v9, v5
	v_pk_mul_f32 v[4:5], v[6:7], v[2:3] op_sel:[0,1]
	v_pk_add_f32 v[194:195], v[194:195], v[8:9] neg_lo:[0,1] neg_hi:[0,1]
	s_delay_alu instid0(VALU_DEP_2) | instskip(SKIP_1) | instid1(VALU_DEP_1)
	v_pk_fma_f32 v[8:9], v[6:7], v[0:1], v[4:5] op_sel:[0,0,1] op_sel_hi:[1,1,0] neg_lo:[0,0,1] neg_hi:[0,0,1]
	v_pk_fma_f32 v[4:5], v[6:7], v[0:1], v[4:5] op_sel:[0,0,1] op_sel_hi:[1,0,0]
	v_mov_b32_e32 v9, v5
	ds_load_b64 v[4:5], v118 offset:408
	v_pk_add_f32 v[206:207], v[206:207], v[8:9] neg_lo:[0,1] neg_hi:[0,1]
	s_wait_dscnt 0x0
	v_pk_mul_f32 v[2:3], v[4:5], v[2:3] op_sel:[0,1]
	s_delay_alu instid0(VALU_DEP_1) | instskip(SKIP_1) | instid1(VALU_DEP_1)
	v_pk_fma_f32 v[6:7], v[4:5], v[0:1], v[2:3] op_sel:[0,0,1] op_sel_hi:[1,1,0] neg_lo:[0,0,1] neg_hi:[0,0,1]
	v_pk_fma_f32 v[0:1], v[4:5], v[0:1], v[2:3] op_sel:[0,0,1] op_sel_hi:[1,0,0]
	v_mov_b32_e32 v7, v1
	s_delay_alu instid0(VALU_DEP_1)
	v_pk_add_f32 v[208:209], v[208:209], v[6:7] neg_lo:[0,1] neg_hi:[0,1]
.LBB103_100:
	s_wait_xcnt 0x0
	s_or_b32 exec_lo, exec_lo, s1
	s_delay_alu instid0(SALU_CYCLE_1)
	s_mov_b32 s2, exec_lo
	s_wait_storecnt 0x0
	s_barrier_signal -1
	s_barrier_wait -1
	v_cmpx_eq_u32_e32 11, v116
	s_cbranch_execz .LBB103_107
; %bb.101:
	v_dual_mov_b32 v0, v62 :: v_dual_mov_b32 v1, v63
	v_dual_mov_b32 v2, v58 :: v_dual_mov_b32 v3, v59
	ds_store_b64 v117, v[34:35]
	ds_store_2addr_b64 v118, v[0:1], v[2:3] offset0:12 offset1:13
	v_dual_mov_b32 v0, v60 :: v_dual_mov_b32 v1, v61
	v_dual_mov_b32 v2, v56 :: v_dual_mov_b32 v3, v57
	ds_store_2addr_b64 v118, v[0:1], v[2:3] offset0:14 offset1:15
	v_dual_mov_b32 v0, v78 :: v_dual_mov_b32 v1, v79
	v_dual_mov_b32 v2, v74 :: v_dual_mov_b32 v3, v75
	ds_store_2addr_b64 v118, v[0:1], v[2:3] offset0:16 offset1:17
	v_dual_mov_b32 v0, v76 :: v_dual_mov_b32 v1, v77
	v_dual_mov_b32 v2, v72 :: v_dual_mov_b32 v3, v73
	ds_store_2addr_b64 v118, v[0:1], v[2:3] offset0:18 offset1:19
	v_dual_mov_b32 v0, v94 :: v_dual_mov_b32 v1, v95
	v_dual_mov_b32 v2, v90 :: v_dual_mov_b32 v3, v91
	ds_store_2addr_b64 v118, v[0:1], v[2:3] offset0:20 offset1:21
	v_dual_mov_b32 v0, v92 :: v_dual_mov_b32 v1, v93
	v_dual_mov_b32 v2, v88 :: v_dual_mov_b32 v3, v89
	ds_store_2addr_b64 v118, v[0:1], v[2:3] offset0:22 offset1:23
	v_dual_mov_b32 v0, v112 :: v_dual_mov_b32 v1, v113
	v_dual_mov_b32 v2, v108 :: v_dual_mov_b32 v3, v109
	ds_store_2addr_b64 v118, v[0:1], v[2:3] offset0:24 offset1:25
	v_dual_mov_b32 v0, v110 :: v_dual_mov_b32 v1, v111
	v_dual_mov_b32 v2, v106 :: v_dual_mov_b32 v3, v107
	ds_store_2addr_b64 v118, v[0:1], v[2:3] offset0:26 offset1:27
	v_dual_mov_b32 v0, v128 :: v_dual_mov_b32 v1, v129
	v_dual_mov_b32 v2, v124 :: v_dual_mov_b32 v3, v125
	ds_store_2addr_b64 v118, v[0:1], v[2:3] offset0:28 offset1:29
	v_dual_mov_b32 v0, v126 :: v_dual_mov_b32 v1, v127
	v_dual_mov_b32 v2, v122 :: v_dual_mov_b32 v3, v123
	ds_store_2addr_b64 v118, v[0:1], v[2:3] offset0:30 offset1:31
	v_dual_mov_b32 v0, v146 :: v_dual_mov_b32 v1, v147
	v_dual_mov_b32 v2, v142 :: v_dual_mov_b32 v3, v143
	ds_store_2addr_b64 v118, v[0:1], v[2:3] offset0:32 offset1:33
	v_dual_mov_b32 v0, v144 :: v_dual_mov_b32 v1, v145
	v_dual_mov_b32 v2, v140 :: v_dual_mov_b32 v3, v141
	ds_store_2addr_b64 v118, v[0:1], v[2:3] offset0:34 offset1:35
	v_dual_mov_b32 v0, v162 :: v_dual_mov_b32 v1, v163
	v_dual_mov_b32 v2, v158 :: v_dual_mov_b32 v3, v159
	ds_store_2addr_b64 v118, v[0:1], v[2:3] offset0:36 offset1:37
	v_dual_mov_b32 v0, v160 :: v_dual_mov_b32 v1, v161
	v_dual_mov_b32 v2, v156 :: v_dual_mov_b32 v3, v157
	ds_store_2addr_b64 v118, v[0:1], v[2:3] offset0:38 offset1:39
	v_dual_mov_b32 v0, v182 :: v_dual_mov_b32 v1, v183
	v_dual_mov_b32 v2, v178 :: v_dual_mov_b32 v3, v179
	ds_store_2addr_b64 v118, v[0:1], v[2:3] offset0:40 offset1:41
	v_dual_mov_b32 v0, v180 :: v_dual_mov_b32 v1, v181
	v_dual_mov_b32 v2, v176 :: v_dual_mov_b32 v3, v177
	ds_store_2addr_b64 v118, v[0:1], v[2:3] offset0:42 offset1:43
	v_dual_mov_b32 v0, v204 :: v_dual_mov_b32 v1, v205
	v_dual_mov_b32 v2, v198 :: v_dual_mov_b32 v3, v199
	ds_store_2addr_b64 v118, v[0:1], v[2:3] offset0:44 offset1:45
	v_dual_mov_b32 v0, v202 :: v_dual_mov_b32 v1, v203
	v_dual_mov_b32 v2, v196 :: v_dual_mov_b32 v3, v197
	ds_store_2addr_b64 v118, v[0:1], v[2:3] offset0:46 offset1:47
	v_dual_mov_b32 v0, v200 :: v_dual_mov_b32 v1, v201
	v_dual_mov_b32 v2, v194 :: v_dual_mov_b32 v3, v195
	ds_store_2addr_b64 v118, v[0:1], v[2:3] offset0:48 offset1:49
	v_dual_mov_b32 v0, v206 :: v_dual_mov_b32 v1, v207
	ds_store_2addr_b64 v118, v[0:1], v[208:209] offset0:50 offset1:51
	ds_load_b64 v[0:1], v117
	s_wait_dscnt 0x0
	v_cmp_neq_f32_e32 vcc_lo, 0, v0
	v_cmp_neq_f32_e64 s1, 0, v1
	s_or_b32 s1, vcc_lo, s1
	s_delay_alu instid0(SALU_CYCLE_1)
	s_and_b32 exec_lo, exec_lo, s1
	s_cbranch_execz .LBB103_107
; %bb.102:
	v_cmp_ngt_f32_e64 s1, |v0|, |v1|
                                        ; implicit-def: $vgpr2_vgpr3
	s_and_saveexec_b32 s4, s1
	s_delay_alu instid0(SALU_CYCLE_1)
	s_xor_b32 s1, exec_lo, s4
	s_cbranch_execz .LBB103_104
; %bb.103:
	v_div_scale_f32 v2, null, v1, v1, v0
	v_div_scale_f32 v5, vcc_lo, v0, v1, v0
	s_delay_alu instid0(VALU_DEP_2) | instskip(SKIP_1) | instid1(TRANS32_DEP_1)
	v_rcp_f32_e32 v3, v2
	v_nop
	v_fma_f32 v4, -v2, v3, 1.0
	s_delay_alu instid0(VALU_DEP_1) | instskip(NEXT) | instid1(VALU_DEP_1)
	v_fmac_f32_e32 v3, v4, v3
	v_mul_f32_e32 v4, v5, v3
	s_delay_alu instid0(VALU_DEP_1) | instskip(NEXT) | instid1(VALU_DEP_1)
	v_fma_f32 v6, -v2, v4, v5
	v_fmac_f32_e32 v4, v6, v3
	s_delay_alu instid0(VALU_DEP_1) | instskip(NEXT) | instid1(VALU_DEP_1)
	v_fma_f32 v2, -v2, v4, v5
	v_div_fmas_f32 v2, v2, v3, v4
	s_delay_alu instid0(VALU_DEP_1) | instskip(NEXT) | instid1(VALU_DEP_1)
	v_div_fixup_f32 v2, v2, v1, v0
	v_fmac_f32_e32 v1, v0, v2
	s_delay_alu instid0(VALU_DEP_1) | instskip(SKIP_1) | instid1(VALU_DEP_2)
	v_div_scale_f32 v0, null, v1, v1, 1.0
	v_div_scale_f32 v5, vcc_lo, 1.0, v1, 1.0
	v_rcp_f32_e32 v3, v0
	v_nop
	s_delay_alu instid0(TRANS32_DEP_1) | instskip(NEXT) | instid1(VALU_DEP_1)
	v_fma_f32 v4, -v0, v3, 1.0
	v_fmac_f32_e32 v3, v4, v3
	s_delay_alu instid0(VALU_DEP_1) | instskip(NEXT) | instid1(VALU_DEP_1)
	v_mul_f32_e32 v4, v5, v3
	v_fma_f32 v6, -v0, v4, v5
	s_delay_alu instid0(VALU_DEP_1) | instskip(NEXT) | instid1(VALU_DEP_1)
	v_fmac_f32_e32 v4, v6, v3
	v_fma_f32 v0, -v0, v4, v5
	s_delay_alu instid0(VALU_DEP_1) | instskip(NEXT) | instid1(VALU_DEP_1)
	v_div_fmas_f32 v0, v0, v3, v4
	v_div_fixup_f32 v0, v0, v1, 1.0
	s_delay_alu instid0(VALU_DEP_1)
	v_mul_f32_e32 v2, v2, v0
	v_xor_b32_e32 v3, 0x80000000, v0
                                        ; implicit-def: $vgpr0_vgpr1
.LBB103_104:
	s_and_not1_saveexec_b32 s1, s1
	s_cbranch_execz .LBB103_106
; %bb.105:
	v_div_scale_f32 v2, null, v0, v0, v1
	v_div_scale_f32 v5, vcc_lo, v1, v0, v1
	s_delay_alu instid0(VALU_DEP_2) | instskip(SKIP_1) | instid1(TRANS32_DEP_1)
	v_rcp_f32_e32 v3, v2
	v_nop
	v_fma_f32 v4, -v2, v3, 1.0
	s_delay_alu instid0(VALU_DEP_1) | instskip(NEXT) | instid1(VALU_DEP_1)
	v_fmac_f32_e32 v3, v4, v3
	v_mul_f32_e32 v4, v5, v3
	s_delay_alu instid0(VALU_DEP_1) | instskip(NEXT) | instid1(VALU_DEP_1)
	v_fma_f32 v6, -v2, v4, v5
	v_fmac_f32_e32 v4, v6, v3
	s_delay_alu instid0(VALU_DEP_1) | instskip(NEXT) | instid1(VALU_DEP_1)
	v_fma_f32 v2, -v2, v4, v5
	v_div_fmas_f32 v2, v2, v3, v4
	s_delay_alu instid0(VALU_DEP_1) | instskip(NEXT) | instid1(VALU_DEP_1)
	v_div_fixup_f32 v3, v2, v0, v1
	v_fmac_f32_e32 v0, v1, v3
	s_delay_alu instid0(VALU_DEP_1) | instskip(NEXT) | instid1(VALU_DEP_1)
	v_div_scale_f32 v1, null, v0, v0, 1.0
	v_rcp_f32_e32 v2, v1
	v_nop
	s_delay_alu instid0(TRANS32_DEP_1) | instskip(NEXT) | instid1(VALU_DEP_1)
	v_fma_f32 v4, -v1, v2, 1.0
	v_fmac_f32_e32 v2, v4, v2
	v_div_scale_f32 v4, vcc_lo, 1.0, v0, 1.0
	s_delay_alu instid0(VALU_DEP_1) | instskip(NEXT) | instid1(VALU_DEP_1)
	v_mul_f32_e32 v5, v4, v2
	v_fma_f32 v6, -v1, v5, v4
	s_delay_alu instid0(VALU_DEP_1) | instskip(NEXT) | instid1(VALU_DEP_1)
	v_fmac_f32_e32 v5, v6, v2
	v_fma_f32 v1, -v1, v5, v4
	s_delay_alu instid0(VALU_DEP_1) | instskip(NEXT) | instid1(VALU_DEP_1)
	v_div_fmas_f32 v1, v1, v2, v5
	v_div_fixup_f32 v2, v1, v0, 1.0
	s_delay_alu instid0(VALU_DEP_1)
	v_mul_f32_e64 v3, v3, -v2
.LBB103_106:
	s_or_b32 exec_lo, exec_lo, s1
	ds_store_b64 v117, v[2:3]
.LBB103_107:
	s_or_b32 exec_lo, exec_lo, s2
	s_wait_dscnt 0x0
	s_barrier_signal -1
	s_barrier_wait -1
	ds_load_b64 v[0:1], v117
	s_mov_b32 s1, exec_lo
	s_wait_dscnt 0x0
	scratch_store_b64 off, v[0:1], off offset:176 ; 8-byte Folded Spill
	s_wait_xcnt 0x0
	v_cmpx_lt_u32_e32 11, v116
	s_cbranch_execz .LBB103_109
; %bb.108:
	scratch_load_b64 v[4:5], off, off offset:176 ; 8-byte Folded Reload
	s_wait_loadcnt 0x0
	v_pk_mul_f32 v[2:3], v[4:5], v[34:35] op_sel:[1,1] op_sel_hi:[0,1]
	s_delay_alu instid0(VALU_DEP_1)
	v_pk_fma_f32 v[0:1], v[4:5], v[34:35], v[2:3] op_sel_hi:[1,0,1] neg_lo:[0,0,1] neg_hi:[0,0,1]
	v_pk_fma_f32 v[2:3], v[4:5], v[34:35], v[2:3] op_sel_hi:[1,0,1]
	ds_load_2addr_b64 v[4:7], v118 offset0:12 offset1:13
	v_dual_mov_b32 v34, v0 :: v_dual_mov_b32 v35, v3
	s_wait_dscnt 0x0
	v_pk_mul_f32 v[8:9], v[4:5], v[2:3] op_sel:[0,1]
	s_delay_alu instid0(VALU_DEP_1) | instskip(SKIP_1) | instid1(VALU_DEP_1)
	v_pk_fma_f32 v[10:11], v[4:5], v[0:1], v[8:9] op_sel:[0,0,1] op_sel_hi:[1,1,0] neg_lo:[0,0,1] neg_hi:[0,0,1]
	v_pk_fma_f32 v[4:5], v[4:5], v[0:1], v[8:9] op_sel:[0,0,1] op_sel_hi:[1,0,0]
	v_mov_b32_e32 v11, v5
	v_pk_mul_f32 v[4:5], v[6:7], v[2:3] op_sel:[0,1]
	s_delay_alu instid0(VALU_DEP_1) | instskip(SKIP_1) | instid1(VALU_DEP_1)
	v_pk_fma_f32 v[8:9], v[6:7], v[0:1], v[4:5] op_sel:[0,0,1] op_sel_hi:[1,1,0] neg_lo:[0,0,1] neg_hi:[0,0,1]
	v_pk_fma_f32 v[4:5], v[6:7], v[0:1], v[4:5] op_sel:[0,0,1] op_sel_hi:[1,0,0]
	v_mov_b32_e32 v9, v5
	ds_load_2addr_b64 v[4:7], v118 offset0:14 offset1:15
	v_pk_add_f32 v[62:63], v[62:63], v[10:11] neg_lo:[0,1] neg_hi:[0,1]
	v_pk_add_f32 v[58:59], v[58:59], v[8:9] neg_lo:[0,1] neg_hi:[0,1]
	s_wait_dscnt 0x0
	v_pk_mul_f32 v[8:9], v[4:5], v[2:3] op_sel:[0,1]
	s_delay_alu instid0(VALU_DEP_1) | instskip(SKIP_2) | instid1(VALU_DEP_2)
	v_pk_fma_f32 v[10:11], v[4:5], v[0:1], v[8:9] op_sel:[0,0,1] op_sel_hi:[1,1,0] neg_lo:[0,0,1] neg_hi:[0,0,1]
	v_pk_fma_f32 v[4:5], v[4:5], v[0:1], v[8:9] op_sel:[0,0,1] op_sel_hi:[1,0,0]
	v_dual_mul_f32 v8, v7, v3 :: v_dual_mov_b32 v4, v7
	v_dual_mov_b32 v11, v5 :: v_dual_mov_b32 v5, v6
	s_delay_alu instid0(VALU_DEP_2) | instskip(SKIP_1) | instid1(VALU_DEP_3)
	v_pk_fma_f32 v[8:9], v[6:7], v[34:35], v[8:9] op_sel_hi:[1,1,0] neg_lo:[0,0,1] neg_hi:[0,0,1]
	v_mul_f32_e32 v6, v7, v0
	v_pk_add_f32 v[60:61], v[60:61], v[10:11] neg_lo:[0,1] neg_hi:[0,1]
	s_delay_alu instid0(VALU_DEP_2) | instskip(NEXT) | instid1(VALU_DEP_1)
	v_pk_fma_f32 v[4:5], v[4:5], v[34:35], v[6:7] op_sel_hi:[1,1,0]
	v_mov_b32_e32 v9, v5
	ds_load_2addr_b64 v[4:7], v118 offset0:16 offset1:17
	v_pk_add_f32 v[56:57], v[56:57], v[8:9] neg_lo:[0,1] neg_hi:[0,1]
	s_wait_dscnt 0x0
	v_pk_mul_f32 v[8:9], v[4:5], v[2:3] op_sel:[0,1]
	s_delay_alu instid0(VALU_DEP_1) | instskip(SKIP_1) | instid1(VALU_DEP_1)
	v_pk_fma_f32 v[10:11], v[4:5], v[0:1], v[8:9] op_sel:[0,0,1] op_sel_hi:[1,1,0] neg_lo:[0,0,1] neg_hi:[0,0,1]
	v_pk_fma_f32 v[4:5], v[4:5], v[0:1], v[8:9] op_sel:[0,0,1] op_sel_hi:[1,0,0]
	v_mov_b32_e32 v11, v5
	v_pk_mul_f32 v[4:5], v[6:7], v[2:3] op_sel:[0,1]
	s_delay_alu instid0(VALU_DEP_1) | instskip(SKIP_1) | instid1(VALU_DEP_1)
	v_pk_fma_f32 v[8:9], v[6:7], v[0:1], v[4:5] op_sel:[0,0,1] op_sel_hi:[1,1,0] neg_lo:[0,0,1] neg_hi:[0,0,1]
	v_pk_fma_f32 v[4:5], v[6:7], v[0:1], v[4:5] op_sel:[0,0,1] op_sel_hi:[1,0,0]
	v_mov_b32_e32 v9, v5
	ds_load_2addr_b64 v[4:7], v118 offset0:18 offset1:19
	v_pk_add_f32 v[78:79], v[78:79], v[10:11] neg_lo:[0,1] neg_hi:[0,1]
	v_pk_add_f32 v[74:75], v[74:75], v[8:9] neg_lo:[0,1] neg_hi:[0,1]
	s_wait_dscnt 0x0
	v_pk_mul_f32 v[8:9], v[4:5], v[2:3] op_sel:[0,1]
	s_delay_alu instid0(VALU_DEP_1) | instskip(SKIP_1) | instid1(VALU_DEP_1)
	v_pk_fma_f32 v[10:11], v[4:5], v[0:1], v[8:9] op_sel:[0,0,1] op_sel_hi:[1,1,0] neg_lo:[0,0,1] neg_hi:[0,0,1]
	v_pk_fma_f32 v[4:5], v[4:5], v[0:1], v[8:9] op_sel:[0,0,1] op_sel_hi:[1,0,0]
	v_mov_b32_e32 v11, v5
	v_pk_mul_f32 v[4:5], v[6:7], v[2:3] op_sel:[0,1]
	s_delay_alu instid0(VALU_DEP_1) | instskip(SKIP_1) | instid1(VALU_DEP_1)
	v_pk_fma_f32 v[8:9], v[6:7], v[0:1], v[4:5] op_sel:[0,0,1] op_sel_hi:[1,1,0] neg_lo:[0,0,1] neg_hi:[0,0,1]
	v_pk_fma_f32 v[4:5], v[6:7], v[0:1], v[4:5] op_sel:[0,0,1] op_sel_hi:[1,0,0]
	v_mov_b32_e32 v9, v5
	ds_load_2addr_b64 v[4:7], v118 offset0:20 offset1:21
	v_pk_add_f32 v[76:77], v[76:77], v[10:11] neg_lo:[0,1] neg_hi:[0,1]
	v_pk_add_f32 v[72:73], v[72:73], v[8:9] neg_lo:[0,1] neg_hi:[0,1]
	s_wait_dscnt 0x0
	v_dual_mul_f32 v8, v5, v3 :: v_dual_mul_f32 v10, v5, v0
	s_delay_alu instid0(VALU_DEP_1) | instskip(NEXT) | instid1(VALU_DEP_2)
	v_pk_fma_f32 v[8:9], v[4:5], v[34:35], v[8:9] op_sel_hi:[1,1,0] neg_lo:[0,0,1] neg_hi:[0,0,1]
	v_pk_fma_f32 v[4:5], v[4:5], v[34:35], v[10:11] op_sel:[1,0,0] op_sel_hi:[0,1,0]
	s_delay_alu instid0(VALU_DEP_1) | instskip(SKIP_1) | instid1(VALU_DEP_2)
	v_mov_b32_e32 v9, v5
	v_pk_mul_f32 v[4:5], v[6:7], v[2:3] op_sel:[0,1]
	v_pk_add_f32 v[94:95], v[94:95], v[8:9] neg_lo:[0,1] neg_hi:[0,1]
	s_delay_alu instid0(VALU_DEP_2) | instskip(SKIP_1) | instid1(VALU_DEP_1)
	v_pk_fma_f32 v[8:9], v[6:7], v[0:1], v[4:5] op_sel:[0,0,1] op_sel_hi:[1,1,0] neg_lo:[0,0,1] neg_hi:[0,0,1]
	v_pk_fma_f32 v[4:5], v[6:7], v[0:1], v[4:5] op_sel:[0,0,1] op_sel_hi:[1,0,0]
	v_mov_b32_e32 v9, v5
	ds_load_2addr_b64 v[4:7], v118 offset0:22 offset1:23
	v_pk_add_f32 v[90:91], v[90:91], v[8:9] neg_lo:[0,1] neg_hi:[0,1]
	s_wait_dscnt 0x0
	v_pk_mul_f32 v[8:9], v[4:5], v[2:3] op_sel:[0,1]
	s_delay_alu instid0(VALU_DEP_1) | instskip(SKIP_1) | instid1(VALU_DEP_1)
	v_pk_fma_f32 v[10:11], v[4:5], v[0:1], v[8:9] op_sel:[0,0,1] op_sel_hi:[1,1,0] neg_lo:[0,0,1] neg_hi:[0,0,1]
	v_pk_fma_f32 v[4:5], v[4:5], v[0:1], v[8:9] op_sel:[0,0,1] op_sel_hi:[1,0,0]
	v_mov_b32_e32 v11, v5
	v_pk_mul_f32 v[4:5], v[6:7], v[2:3] op_sel:[0,1]
	s_delay_alu instid0(VALU_DEP_2) | instskip(NEXT) | instid1(VALU_DEP_2)
	v_pk_add_f32 v[92:93], v[92:93], v[10:11] neg_lo:[0,1] neg_hi:[0,1]
	v_pk_fma_f32 v[8:9], v[6:7], v[0:1], v[4:5] op_sel:[0,0,1] op_sel_hi:[1,1,0] neg_lo:[0,0,1] neg_hi:[0,0,1]
	v_pk_fma_f32 v[4:5], v[6:7], v[0:1], v[4:5] op_sel:[0,0,1] op_sel_hi:[1,0,0]
	s_delay_alu instid0(VALU_DEP_1) | instskip(SKIP_4) | instid1(VALU_DEP_1)
	v_mov_b32_e32 v9, v5
	ds_load_2addr_b64 v[4:7], v118 offset0:24 offset1:25
	v_pk_add_f32 v[88:89], v[88:89], v[8:9] neg_lo:[0,1] neg_hi:[0,1]
	s_wait_dscnt 0x0
	v_pk_mul_f32 v[8:9], v[4:5], v[2:3] op_sel:[0,1]
	v_pk_fma_f32 v[10:11], v[4:5], v[0:1], v[8:9] op_sel:[0,0,1] op_sel_hi:[1,1,0] neg_lo:[0,0,1] neg_hi:[0,0,1]
	v_pk_fma_f32 v[4:5], v[4:5], v[0:1], v[8:9] op_sel:[0,0,1] op_sel_hi:[1,0,0]
	v_dual_mul_f32 v8, v7, v3 :: v_dual_mov_b32 v4, v7
	s_delay_alu instid0(VALU_DEP_2) | instskip(NEXT) | instid1(VALU_DEP_2)
	v_dual_mov_b32 v11, v5 :: v_dual_mov_b32 v5, v6
	v_pk_fma_f32 v[8:9], v[6:7], v[34:35], v[8:9] op_sel_hi:[1,1,0] neg_lo:[0,0,1] neg_hi:[0,0,1]
	v_mul_f32_e32 v6, v7, v0
	s_delay_alu instid0(VALU_DEP_3) | instskip(NEXT) | instid1(VALU_DEP_2)
	v_pk_add_f32 v[112:113], v[112:113], v[10:11] neg_lo:[0,1] neg_hi:[0,1]
	v_pk_fma_f32 v[4:5], v[4:5], v[34:35], v[6:7] op_sel_hi:[1,1,0]
	s_delay_alu instid0(VALU_DEP_1) | instskip(SKIP_4) | instid1(VALU_DEP_1)
	v_mov_b32_e32 v9, v5
	ds_load_2addr_b64 v[4:7], v118 offset0:26 offset1:27
	v_pk_add_f32 v[108:109], v[108:109], v[8:9] neg_lo:[0,1] neg_hi:[0,1]
	s_wait_dscnt 0x0
	v_pk_mul_f32 v[8:9], v[4:5], v[2:3] op_sel:[0,1]
	v_pk_fma_f32 v[10:11], v[4:5], v[0:1], v[8:9] op_sel:[0,0,1] op_sel_hi:[1,1,0] neg_lo:[0,0,1] neg_hi:[0,0,1]
	v_pk_fma_f32 v[4:5], v[4:5], v[0:1], v[8:9] op_sel:[0,0,1] op_sel_hi:[1,0,0]
	s_delay_alu instid0(VALU_DEP_1) | instskip(SKIP_1) | instid1(VALU_DEP_1)
	v_mov_b32_e32 v11, v5
	v_pk_mul_f32 v[4:5], v[6:7], v[2:3] op_sel:[0,1]
	v_pk_fma_f32 v[8:9], v[6:7], v[0:1], v[4:5] op_sel:[0,0,1] op_sel_hi:[1,1,0] neg_lo:[0,0,1] neg_hi:[0,0,1]
	v_pk_fma_f32 v[4:5], v[6:7], v[0:1], v[4:5] op_sel:[0,0,1] op_sel_hi:[1,0,0]
	s_delay_alu instid0(VALU_DEP_1)
	v_mov_b32_e32 v9, v5
	ds_load_2addr_b64 v[4:7], v118 offset0:28 offset1:29
	v_pk_add_f32 v[110:111], v[110:111], v[10:11] neg_lo:[0,1] neg_hi:[0,1]
	v_pk_add_f32 v[106:107], v[106:107], v[8:9] neg_lo:[0,1] neg_hi:[0,1]
	s_wait_dscnt 0x0
	v_pk_mul_f32 v[8:9], v[4:5], v[2:3] op_sel:[0,1]
	s_delay_alu instid0(VALU_DEP_1) | instskip(SKIP_1) | instid1(VALU_DEP_1)
	v_pk_fma_f32 v[10:11], v[4:5], v[0:1], v[8:9] op_sel:[0,0,1] op_sel_hi:[1,1,0] neg_lo:[0,0,1] neg_hi:[0,0,1]
	v_pk_fma_f32 v[4:5], v[4:5], v[0:1], v[8:9] op_sel:[0,0,1] op_sel_hi:[1,0,0]
	v_mov_b32_e32 v11, v5
	v_pk_mul_f32 v[4:5], v[6:7], v[2:3] op_sel:[0,1]
	s_delay_alu instid0(VALU_DEP_1) | instskip(SKIP_1) | instid1(VALU_DEP_1)
	v_pk_fma_f32 v[8:9], v[6:7], v[0:1], v[4:5] op_sel:[0,0,1] op_sel_hi:[1,1,0] neg_lo:[0,0,1] neg_hi:[0,0,1]
	v_pk_fma_f32 v[4:5], v[6:7], v[0:1], v[4:5] op_sel:[0,0,1] op_sel_hi:[1,0,0]
	v_mov_b32_e32 v9, v5
	ds_load_2addr_b64 v[4:7], v118 offset0:30 offset1:31
	v_pk_add_f32 v[128:129], v[128:129], v[10:11] neg_lo:[0,1] neg_hi:[0,1]
	v_pk_add_f32 v[124:125], v[124:125], v[8:9] neg_lo:[0,1] neg_hi:[0,1]
	s_wait_dscnt 0x0
	v_dual_mul_f32 v8, v5, v3 :: v_dual_mul_f32 v10, v5, v0
	s_delay_alu instid0(VALU_DEP_1) | instskip(NEXT) | instid1(VALU_DEP_2)
	v_pk_fma_f32 v[8:9], v[4:5], v[34:35], v[8:9] op_sel_hi:[1,1,0] neg_lo:[0,0,1] neg_hi:[0,0,1]
	v_pk_fma_f32 v[4:5], v[4:5], v[34:35], v[10:11] op_sel:[1,0,0] op_sel_hi:[0,1,0]
	s_delay_alu instid0(VALU_DEP_1) | instskip(SKIP_1) | instid1(VALU_DEP_2)
	v_mov_b32_e32 v9, v5
	v_pk_mul_f32 v[4:5], v[6:7], v[2:3] op_sel:[0,1]
	v_pk_add_f32 v[126:127], v[126:127], v[8:9] neg_lo:[0,1] neg_hi:[0,1]
	s_delay_alu instid0(VALU_DEP_2) | instskip(SKIP_1) | instid1(VALU_DEP_1)
	v_pk_fma_f32 v[8:9], v[6:7], v[0:1], v[4:5] op_sel:[0,0,1] op_sel_hi:[1,1,0] neg_lo:[0,0,1] neg_hi:[0,0,1]
	v_pk_fma_f32 v[4:5], v[6:7], v[0:1], v[4:5] op_sel:[0,0,1] op_sel_hi:[1,0,0]
	v_mov_b32_e32 v9, v5
	ds_load_2addr_b64 v[4:7], v118 offset0:32 offset1:33
	v_pk_add_f32 v[122:123], v[122:123], v[8:9] neg_lo:[0,1] neg_hi:[0,1]
	s_wait_dscnt 0x0
	v_pk_mul_f32 v[8:9], v[4:5], v[2:3] op_sel:[0,1]
	s_delay_alu instid0(VALU_DEP_1) | instskip(SKIP_1) | instid1(VALU_DEP_1)
	v_pk_fma_f32 v[10:11], v[4:5], v[0:1], v[8:9] op_sel:[0,0,1] op_sel_hi:[1,1,0] neg_lo:[0,0,1] neg_hi:[0,0,1]
	v_pk_fma_f32 v[4:5], v[4:5], v[0:1], v[8:9] op_sel:[0,0,1] op_sel_hi:[1,0,0]
	v_mov_b32_e32 v11, v5
	v_pk_mul_f32 v[4:5], v[6:7], v[2:3] op_sel:[0,1]
	s_delay_alu instid0(VALU_DEP_2) | instskip(NEXT) | instid1(VALU_DEP_2)
	v_pk_add_f32 v[146:147], v[146:147], v[10:11] neg_lo:[0,1] neg_hi:[0,1]
	v_pk_fma_f32 v[8:9], v[6:7], v[0:1], v[4:5] op_sel:[0,0,1] op_sel_hi:[1,1,0] neg_lo:[0,0,1] neg_hi:[0,0,1]
	v_pk_fma_f32 v[4:5], v[6:7], v[0:1], v[4:5] op_sel:[0,0,1] op_sel_hi:[1,0,0]
	s_delay_alu instid0(VALU_DEP_1) | instskip(SKIP_4) | instid1(VALU_DEP_1)
	v_mov_b32_e32 v9, v5
	ds_load_2addr_b64 v[4:7], v118 offset0:34 offset1:35
	v_pk_add_f32 v[142:143], v[142:143], v[8:9] neg_lo:[0,1] neg_hi:[0,1]
	s_wait_dscnt 0x0
	v_pk_mul_f32 v[8:9], v[4:5], v[2:3] op_sel:[0,1]
	v_pk_fma_f32 v[10:11], v[4:5], v[0:1], v[8:9] op_sel:[0,0,1] op_sel_hi:[1,1,0] neg_lo:[0,0,1] neg_hi:[0,0,1]
	v_pk_fma_f32 v[4:5], v[4:5], v[0:1], v[8:9] op_sel:[0,0,1] op_sel_hi:[1,0,0]
	v_dual_mul_f32 v8, v7, v3 :: v_dual_mov_b32 v4, v7
	s_delay_alu instid0(VALU_DEP_2) | instskip(NEXT) | instid1(VALU_DEP_2)
	v_dual_mov_b32 v11, v5 :: v_dual_mov_b32 v5, v6
	v_pk_fma_f32 v[8:9], v[6:7], v[34:35], v[8:9] op_sel_hi:[1,1,0] neg_lo:[0,0,1] neg_hi:[0,0,1]
	v_mul_f32_e32 v6, v7, v0
	s_delay_alu instid0(VALU_DEP_3) | instskip(NEXT) | instid1(VALU_DEP_2)
	v_pk_add_f32 v[144:145], v[144:145], v[10:11] neg_lo:[0,1] neg_hi:[0,1]
	v_pk_fma_f32 v[4:5], v[4:5], v[34:35], v[6:7] op_sel_hi:[1,1,0]
	s_delay_alu instid0(VALU_DEP_1) | instskip(SKIP_4) | instid1(VALU_DEP_1)
	v_mov_b32_e32 v9, v5
	ds_load_2addr_b64 v[4:7], v118 offset0:36 offset1:37
	v_pk_add_f32 v[140:141], v[140:141], v[8:9] neg_lo:[0,1] neg_hi:[0,1]
	s_wait_dscnt 0x0
	v_pk_mul_f32 v[8:9], v[4:5], v[2:3] op_sel:[0,1]
	v_pk_fma_f32 v[10:11], v[4:5], v[0:1], v[8:9] op_sel:[0,0,1] op_sel_hi:[1,1,0] neg_lo:[0,0,1] neg_hi:[0,0,1]
	v_pk_fma_f32 v[4:5], v[4:5], v[0:1], v[8:9] op_sel:[0,0,1] op_sel_hi:[1,0,0]
	s_delay_alu instid0(VALU_DEP_1) | instskip(SKIP_1) | instid1(VALU_DEP_1)
	v_mov_b32_e32 v11, v5
	v_pk_mul_f32 v[4:5], v[6:7], v[2:3] op_sel:[0,1]
	v_pk_fma_f32 v[8:9], v[6:7], v[0:1], v[4:5] op_sel:[0,0,1] op_sel_hi:[1,1,0] neg_lo:[0,0,1] neg_hi:[0,0,1]
	v_pk_fma_f32 v[4:5], v[6:7], v[0:1], v[4:5] op_sel:[0,0,1] op_sel_hi:[1,0,0]
	s_delay_alu instid0(VALU_DEP_1)
	v_mov_b32_e32 v9, v5
	ds_load_2addr_b64 v[4:7], v118 offset0:38 offset1:39
	v_pk_add_f32 v[162:163], v[162:163], v[10:11] neg_lo:[0,1] neg_hi:[0,1]
	v_pk_add_f32 v[158:159], v[158:159], v[8:9] neg_lo:[0,1] neg_hi:[0,1]
	s_wait_dscnt 0x0
	v_pk_mul_f32 v[8:9], v[4:5], v[2:3] op_sel:[0,1]
	s_delay_alu instid0(VALU_DEP_1) | instskip(SKIP_1) | instid1(VALU_DEP_1)
	v_pk_fma_f32 v[10:11], v[4:5], v[0:1], v[8:9] op_sel:[0,0,1] op_sel_hi:[1,1,0] neg_lo:[0,0,1] neg_hi:[0,0,1]
	v_pk_fma_f32 v[4:5], v[4:5], v[0:1], v[8:9] op_sel:[0,0,1] op_sel_hi:[1,0,0]
	v_mov_b32_e32 v11, v5
	v_pk_mul_f32 v[4:5], v[6:7], v[2:3] op_sel:[0,1]
	s_delay_alu instid0(VALU_DEP_1) | instskip(SKIP_1) | instid1(VALU_DEP_1)
	v_pk_fma_f32 v[8:9], v[6:7], v[0:1], v[4:5] op_sel:[0,0,1] op_sel_hi:[1,1,0] neg_lo:[0,0,1] neg_hi:[0,0,1]
	v_pk_fma_f32 v[4:5], v[6:7], v[0:1], v[4:5] op_sel:[0,0,1] op_sel_hi:[1,0,0]
	v_mov_b32_e32 v9, v5
	ds_load_2addr_b64 v[4:7], v118 offset0:40 offset1:41
	v_pk_add_f32 v[160:161], v[160:161], v[10:11] neg_lo:[0,1] neg_hi:[0,1]
	v_pk_add_f32 v[156:157], v[156:157], v[8:9] neg_lo:[0,1] neg_hi:[0,1]
	s_wait_dscnt 0x0
	v_dual_mul_f32 v8, v5, v3 :: v_dual_mul_f32 v10, v5, v0
	s_delay_alu instid0(VALU_DEP_1) | instskip(NEXT) | instid1(VALU_DEP_2)
	v_pk_fma_f32 v[8:9], v[4:5], v[34:35], v[8:9] op_sel_hi:[1,1,0] neg_lo:[0,0,1] neg_hi:[0,0,1]
	v_pk_fma_f32 v[4:5], v[4:5], v[34:35], v[10:11] op_sel:[1,0,0] op_sel_hi:[0,1,0]
	s_delay_alu instid0(VALU_DEP_1) | instskip(SKIP_1) | instid1(VALU_DEP_2)
	v_mov_b32_e32 v9, v5
	v_pk_mul_f32 v[4:5], v[6:7], v[2:3] op_sel:[0,1]
	v_pk_add_f32 v[182:183], v[182:183], v[8:9] neg_lo:[0,1] neg_hi:[0,1]
	s_delay_alu instid0(VALU_DEP_2) | instskip(SKIP_1) | instid1(VALU_DEP_1)
	v_pk_fma_f32 v[8:9], v[6:7], v[0:1], v[4:5] op_sel:[0,0,1] op_sel_hi:[1,1,0] neg_lo:[0,0,1] neg_hi:[0,0,1]
	v_pk_fma_f32 v[4:5], v[6:7], v[0:1], v[4:5] op_sel:[0,0,1] op_sel_hi:[1,0,0]
	v_mov_b32_e32 v9, v5
	ds_load_2addr_b64 v[4:7], v118 offset0:42 offset1:43
	v_pk_add_f32 v[178:179], v[178:179], v[8:9] neg_lo:[0,1] neg_hi:[0,1]
	s_wait_dscnt 0x0
	v_pk_mul_f32 v[8:9], v[4:5], v[2:3] op_sel:[0,1]
	s_delay_alu instid0(VALU_DEP_1) | instskip(SKIP_1) | instid1(VALU_DEP_1)
	v_pk_fma_f32 v[10:11], v[4:5], v[0:1], v[8:9] op_sel:[0,0,1] op_sel_hi:[1,1,0] neg_lo:[0,0,1] neg_hi:[0,0,1]
	v_pk_fma_f32 v[4:5], v[4:5], v[0:1], v[8:9] op_sel:[0,0,1] op_sel_hi:[1,0,0]
	v_mov_b32_e32 v11, v5
	v_pk_mul_f32 v[4:5], v[6:7], v[2:3] op_sel:[0,1]
	s_delay_alu instid0(VALU_DEP_2) | instskip(NEXT) | instid1(VALU_DEP_2)
	v_pk_add_f32 v[180:181], v[180:181], v[10:11] neg_lo:[0,1] neg_hi:[0,1]
	v_pk_fma_f32 v[8:9], v[6:7], v[0:1], v[4:5] op_sel:[0,0,1] op_sel_hi:[1,1,0] neg_lo:[0,0,1] neg_hi:[0,0,1]
	v_pk_fma_f32 v[4:5], v[6:7], v[0:1], v[4:5] op_sel:[0,0,1] op_sel_hi:[1,0,0]
	s_delay_alu instid0(VALU_DEP_1) | instskip(SKIP_4) | instid1(VALU_DEP_1)
	v_mov_b32_e32 v9, v5
	ds_load_2addr_b64 v[4:7], v118 offset0:44 offset1:45
	v_pk_add_f32 v[176:177], v[176:177], v[8:9] neg_lo:[0,1] neg_hi:[0,1]
	s_wait_dscnt 0x0
	v_pk_mul_f32 v[8:9], v[4:5], v[2:3] op_sel:[0,1]
	v_pk_fma_f32 v[10:11], v[4:5], v[0:1], v[8:9] op_sel:[0,0,1] op_sel_hi:[1,1,0] neg_lo:[0,0,1] neg_hi:[0,0,1]
	v_pk_fma_f32 v[4:5], v[4:5], v[0:1], v[8:9] op_sel:[0,0,1] op_sel_hi:[1,0,0]
	v_dual_mul_f32 v8, v7, v3 :: v_dual_mov_b32 v4, v7
	s_delay_alu instid0(VALU_DEP_2) | instskip(NEXT) | instid1(VALU_DEP_2)
	v_dual_mov_b32 v11, v5 :: v_dual_mov_b32 v5, v6
	v_pk_fma_f32 v[8:9], v[6:7], v[34:35], v[8:9] op_sel_hi:[1,1,0] neg_lo:[0,0,1] neg_hi:[0,0,1]
	v_mul_f32_e32 v6, v7, v0
	s_delay_alu instid0(VALU_DEP_3) | instskip(NEXT) | instid1(VALU_DEP_2)
	v_pk_add_f32 v[204:205], v[204:205], v[10:11] neg_lo:[0,1] neg_hi:[0,1]
	v_pk_fma_f32 v[4:5], v[4:5], v[34:35], v[6:7] op_sel_hi:[1,1,0]
	s_delay_alu instid0(VALU_DEP_1) | instskip(SKIP_4) | instid1(VALU_DEP_1)
	v_mov_b32_e32 v9, v5
	ds_load_2addr_b64 v[4:7], v118 offset0:46 offset1:47
	v_pk_add_f32 v[198:199], v[198:199], v[8:9] neg_lo:[0,1] neg_hi:[0,1]
	s_wait_dscnt 0x0
	v_pk_mul_f32 v[8:9], v[4:5], v[2:3] op_sel:[0,1]
	v_pk_fma_f32 v[10:11], v[4:5], v[0:1], v[8:9] op_sel:[0,0,1] op_sel_hi:[1,1,0] neg_lo:[0,0,1] neg_hi:[0,0,1]
	v_pk_fma_f32 v[4:5], v[4:5], v[0:1], v[8:9] op_sel:[0,0,1] op_sel_hi:[1,0,0]
	s_delay_alu instid0(VALU_DEP_1) | instskip(SKIP_1) | instid1(VALU_DEP_1)
	v_mov_b32_e32 v11, v5
	v_pk_mul_f32 v[4:5], v[6:7], v[2:3] op_sel:[0,1]
	v_pk_fma_f32 v[8:9], v[6:7], v[0:1], v[4:5] op_sel:[0,0,1] op_sel_hi:[1,1,0] neg_lo:[0,0,1] neg_hi:[0,0,1]
	v_pk_fma_f32 v[4:5], v[6:7], v[0:1], v[4:5] op_sel:[0,0,1] op_sel_hi:[1,0,0]
	s_delay_alu instid0(VALU_DEP_1)
	v_mov_b32_e32 v9, v5
	ds_load_2addr_b64 v[4:7], v118 offset0:48 offset1:49
	v_pk_add_f32 v[202:203], v[202:203], v[10:11] neg_lo:[0,1] neg_hi:[0,1]
	v_pk_add_f32 v[196:197], v[196:197], v[8:9] neg_lo:[0,1] neg_hi:[0,1]
	s_wait_dscnt 0x0
	v_pk_mul_f32 v[8:9], v[4:5], v[2:3] op_sel:[0,1]
	s_delay_alu instid0(VALU_DEP_1) | instskip(SKIP_1) | instid1(VALU_DEP_1)
	v_pk_fma_f32 v[10:11], v[4:5], v[0:1], v[8:9] op_sel:[0,0,1] op_sel_hi:[1,1,0] neg_lo:[0,0,1] neg_hi:[0,0,1]
	v_pk_fma_f32 v[4:5], v[4:5], v[0:1], v[8:9] op_sel:[0,0,1] op_sel_hi:[1,0,0]
	v_mov_b32_e32 v11, v5
	v_pk_mul_f32 v[4:5], v[6:7], v[2:3] op_sel:[0,1]
	s_delay_alu instid0(VALU_DEP_1) | instskip(SKIP_1) | instid1(VALU_DEP_1)
	v_pk_fma_f32 v[8:9], v[6:7], v[0:1], v[4:5] op_sel:[0,0,1] op_sel_hi:[1,1,0] neg_lo:[0,0,1] neg_hi:[0,0,1]
	v_pk_fma_f32 v[4:5], v[6:7], v[0:1], v[4:5] op_sel:[0,0,1] op_sel_hi:[1,0,0]
	v_mov_b32_e32 v9, v5
	ds_load_2addr_b64 v[4:7], v118 offset0:50 offset1:51
	v_pk_add_f32 v[200:201], v[200:201], v[10:11] neg_lo:[0,1] neg_hi:[0,1]
	v_pk_add_f32 v[194:195], v[194:195], v[8:9] neg_lo:[0,1] neg_hi:[0,1]
	s_wait_dscnt 0x0
	v_dual_mul_f32 v8, v5, v3 :: v_dual_mul_f32 v10, v5, v0
	v_pk_mul_f32 v[2:3], v[6:7], v[2:3] op_sel:[0,1]
	s_delay_alu instid0(VALU_DEP_2) | instskip(NEXT) | instid1(VALU_DEP_3)
	v_pk_fma_f32 v[8:9], v[4:5], v[34:35], v[8:9] op_sel_hi:[1,1,0] neg_lo:[0,0,1] neg_hi:[0,0,1]
	v_pk_fma_f32 v[4:5], v[4:5], v[34:35], v[10:11] op_sel:[1,0,0] op_sel_hi:[0,1,0]
	s_delay_alu instid0(VALU_DEP_1) | instskip(NEXT) | instid1(VALU_DEP_4)
	v_mov_b32_e32 v9, v5
	v_pk_fma_f32 v[4:5], v[6:7], v[0:1], v[2:3] op_sel:[0,0,1] op_sel_hi:[1,1,0] neg_lo:[0,0,1] neg_hi:[0,0,1]
	v_pk_fma_f32 v[0:1], v[6:7], v[0:1], v[2:3] op_sel:[0,0,1] op_sel_hi:[1,0,0]
	s_delay_alu instid0(VALU_DEP_1) | instskip(NEXT) | instid1(VALU_DEP_4)
	v_mov_b32_e32 v5, v1
	v_pk_add_f32 v[206:207], v[206:207], v[8:9] neg_lo:[0,1] neg_hi:[0,1]
	s_delay_alu instid0(VALU_DEP_2)
	v_pk_add_f32 v[208:209], v[208:209], v[4:5] neg_lo:[0,1] neg_hi:[0,1]
.LBB103_109:
	s_wait_xcnt 0x0
	s_or_b32 exec_lo, exec_lo, s1
	s_delay_alu instid0(SALU_CYCLE_1)
	s_mov_b32 s2, exec_lo
	s_wait_storecnt 0x0
	s_barrier_signal -1
	s_barrier_wait -1
	v_cmpx_eq_u32_e32 12, v116
	s_cbranch_execz .LBB103_116
; %bb.110:
	ds_store_b64 v117, v[62:63]
	ds_store_2addr_b64 v118, v[58:59], v[60:61] offset0:13 offset1:14
	ds_store_2addr_b64 v118, v[56:57], v[78:79] offset0:15 offset1:16
	;; [unrolled: 1-line block ×19, first 2 shown]
	ds_store_b64 v118, v[208:209] offset:408
	ds_load_b64 v[0:1], v117
	s_wait_dscnt 0x0
	v_cmp_neq_f32_e32 vcc_lo, 0, v0
	v_cmp_neq_f32_e64 s1, 0, v1
	s_or_b32 s1, vcc_lo, s1
	s_delay_alu instid0(SALU_CYCLE_1)
	s_and_b32 exec_lo, exec_lo, s1
	s_cbranch_execz .LBB103_116
; %bb.111:
	v_cmp_ngt_f32_e64 s1, |v0|, |v1|
                                        ; implicit-def: $vgpr2_vgpr3
	s_and_saveexec_b32 s4, s1
	s_delay_alu instid0(SALU_CYCLE_1)
	s_xor_b32 s1, exec_lo, s4
	s_cbranch_execz .LBB103_113
; %bb.112:
	v_div_scale_f32 v2, null, v1, v1, v0
	v_div_scale_f32 v5, vcc_lo, v0, v1, v0
	s_delay_alu instid0(VALU_DEP_2) | instskip(SKIP_1) | instid1(TRANS32_DEP_1)
	v_rcp_f32_e32 v3, v2
	v_nop
	v_fma_f32 v4, -v2, v3, 1.0
	s_delay_alu instid0(VALU_DEP_1) | instskip(NEXT) | instid1(VALU_DEP_1)
	v_fmac_f32_e32 v3, v4, v3
	v_mul_f32_e32 v4, v5, v3
	s_delay_alu instid0(VALU_DEP_1) | instskip(NEXT) | instid1(VALU_DEP_1)
	v_fma_f32 v6, -v2, v4, v5
	v_fmac_f32_e32 v4, v6, v3
	s_delay_alu instid0(VALU_DEP_1) | instskip(NEXT) | instid1(VALU_DEP_1)
	v_fma_f32 v2, -v2, v4, v5
	v_div_fmas_f32 v2, v2, v3, v4
	s_delay_alu instid0(VALU_DEP_1) | instskip(NEXT) | instid1(VALU_DEP_1)
	v_div_fixup_f32 v2, v2, v1, v0
	v_fmac_f32_e32 v1, v0, v2
	s_delay_alu instid0(VALU_DEP_1) | instskip(SKIP_1) | instid1(VALU_DEP_2)
	v_div_scale_f32 v0, null, v1, v1, 1.0
	v_div_scale_f32 v5, vcc_lo, 1.0, v1, 1.0
	v_rcp_f32_e32 v3, v0
	v_nop
	s_delay_alu instid0(TRANS32_DEP_1) | instskip(NEXT) | instid1(VALU_DEP_1)
	v_fma_f32 v4, -v0, v3, 1.0
	v_fmac_f32_e32 v3, v4, v3
	s_delay_alu instid0(VALU_DEP_1) | instskip(NEXT) | instid1(VALU_DEP_1)
	v_mul_f32_e32 v4, v5, v3
	v_fma_f32 v6, -v0, v4, v5
	s_delay_alu instid0(VALU_DEP_1) | instskip(NEXT) | instid1(VALU_DEP_1)
	v_fmac_f32_e32 v4, v6, v3
	v_fma_f32 v0, -v0, v4, v5
	s_delay_alu instid0(VALU_DEP_1) | instskip(NEXT) | instid1(VALU_DEP_1)
	v_div_fmas_f32 v0, v0, v3, v4
	v_div_fixup_f32 v0, v0, v1, 1.0
	s_delay_alu instid0(VALU_DEP_1)
	v_mul_f32_e32 v2, v2, v0
	v_xor_b32_e32 v3, 0x80000000, v0
                                        ; implicit-def: $vgpr0_vgpr1
.LBB103_113:
	s_and_not1_saveexec_b32 s1, s1
	s_cbranch_execz .LBB103_115
; %bb.114:
	v_div_scale_f32 v2, null, v0, v0, v1
	v_div_scale_f32 v5, vcc_lo, v1, v0, v1
	s_delay_alu instid0(VALU_DEP_2) | instskip(SKIP_1) | instid1(TRANS32_DEP_1)
	v_rcp_f32_e32 v3, v2
	v_nop
	v_fma_f32 v4, -v2, v3, 1.0
	s_delay_alu instid0(VALU_DEP_1) | instskip(NEXT) | instid1(VALU_DEP_1)
	v_fmac_f32_e32 v3, v4, v3
	v_mul_f32_e32 v4, v5, v3
	s_delay_alu instid0(VALU_DEP_1) | instskip(NEXT) | instid1(VALU_DEP_1)
	v_fma_f32 v6, -v2, v4, v5
	v_fmac_f32_e32 v4, v6, v3
	s_delay_alu instid0(VALU_DEP_1) | instskip(NEXT) | instid1(VALU_DEP_1)
	v_fma_f32 v2, -v2, v4, v5
	v_div_fmas_f32 v2, v2, v3, v4
	s_delay_alu instid0(VALU_DEP_1) | instskip(NEXT) | instid1(VALU_DEP_1)
	v_div_fixup_f32 v3, v2, v0, v1
	v_fmac_f32_e32 v0, v1, v3
	s_delay_alu instid0(VALU_DEP_1) | instskip(NEXT) | instid1(VALU_DEP_1)
	v_div_scale_f32 v1, null, v0, v0, 1.0
	v_rcp_f32_e32 v2, v1
	v_nop
	s_delay_alu instid0(TRANS32_DEP_1) | instskip(NEXT) | instid1(VALU_DEP_1)
	v_fma_f32 v4, -v1, v2, 1.0
	v_fmac_f32_e32 v2, v4, v2
	v_div_scale_f32 v4, vcc_lo, 1.0, v0, 1.0
	s_delay_alu instid0(VALU_DEP_1) | instskip(NEXT) | instid1(VALU_DEP_1)
	v_mul_f32_e32 v5, v4, v2
	v_fma_f32 v6, -v1, v5, v4
	s_delay_alu instid0(VALU_DEP_1) | instskip(NEXT) | instid1(VALU_DEP_1)
	v_fmac_f32_e32 v5, v6, v2
	v_fma_f32 v1, -v1, v5, v4
	s_delay_alu instid0(VALU_DEP_1) | instskip(NEXT) | instid1(VALU_DEP_1)
	v_div_fmas_f32 v1, v1, v2, v5
	v_div_fixup_f32 v2, v1, v0, 1.0
	s_delay_alu instid0(VALU_DEP_1)
	v_mul_f32_e64 v3, v3, -v2
.LBB103_115:
	s_or_b32 exec_lo, exec_lo, s1
	ds_store_b64 v117, v[2:3]
.LBB103_116:
	s_or_b32 exec_lo, exec_lo, s2
	s_wait_dscnt 0x0
	s_barrier_signal -1
	s_barrier_wait -1
	ds_load_b64 v[0:1], v117
	s_mov_b32 s1, exec_lo
	s_wait_dscnt 0x0
	scratch_store_b64 off, v[0:1], off offset:184 ; 8-byte Folded Spill
	s_wait_xcnt 0x0
	v_cmpx_lt_u32_e32 12, v116
	s_cbranch_execz .LBB103_118
; %bb.117:
	scratch_load_b64 v[4:5], off, off offset:184 ; 8-byte Folded Reload
	s_wait_loadcnt 0x0
	v_pk_mul_f32 v[2:3], v[4:5], v[62:63] op_sel:[1,1] op_sel_hi:[0,1]
	s_delay_alu instid0(VALU_DEP_1)
	v_pk_fma_f32 v[0:1], v[4:5], v[62:63], v[2:3] op_sel_hi:[1,0,1] neg_lo:[0,0,1] neg_hi:[0,0,1]
	v_pk_fma_f32 v[2:3], v[4:5], v[62:63], v[2:3] op_sel_hi:[1,0,1]
	ds_load_2addr_b64 v[4:7], v118 offset0:13 offset1:14
	v_dual_mov_b32 v62, v0 :: v_dual_mov_b32 v63, v3
	s_wait_dscnt 0x0
	v_pk_mul_f32 v[8:9], v[4:5], v[2:3] op_sel:[0,1]
	s_delay_alu instid0(VALU_DEP_1) | instskip(SKIP_1) | instid1(VALU_DEP_1)
	v_pk_fma_f32 v[10:11], v[4:5], v[0:1], v[8:9] op_sel:[0,0,1] op_sel_hi:[1,1,0] neg_lo:[0,0,1] neg_hi:[0,0,1]
	v_pk_fma_f32 v[4:5], v[4:5], v[0:1], v[8:9] op_sel:[0,0,1] op_sel_hi:[1,0,0]
	v_mov_b32_e32 v11, v5
	v_pk_mul_f32 v[4:5], v[6:7], v[2:3] op_sel:[0,1]
	s_delay_alu instid0(VALU_DEP_1) | instskip(SKIP_1) | instid1(VALU_DEP_1)
	v_pk_fma_f32 v[8:9], v[6:7], v[0:1], v[4:5] op_sel:[0,0,1] op_sel_hi:[1,1,0] neg_lo:[0,0,1] neg_hi:[0,0,1]
	v_pk_fma_f32 v[4:5], v[6:7], v[0:1], v[4:5] op_sel:[0,0,1] op_sel_hi:[1,0,0]
	v_mov_b32_e32 v9, v5
	ds_load_2addr_b64 v[4:7], v118 offset0:15 offset1:16
	v_pk_add_f32 v[58:59], v[58:59], v[10:11] neg_lo:[0,1] neg_hi:[0,1]
	v_pk_add_f32 v[60:61], v[60:61], v[8:9] neg_lo:[0,1] neg_hi:[0,1]
	s_wait_dscnt 0x0
	v_pk_mul_f32 v[8:9], v[4:5], v[2:3] op_sel:[0,1]
	s_delay_alu instid0(VALU_DEP_1) | instskip(SKIP_2) | instid1(VALU_DEP_2)
	v_pk_fma_f32 v[10:11], v[4:5], v[0:1], v[8:9] op_sel:[0,0,1] op_sel_hi:[1,1,0] neg_lo:[0,0,1] neg_hi:[0,0,1]
	v_pk_fma_f32 v[4:5], v[4:5], v[0:1], v[8:9] op_sel:[0,0,1] op_sel_hi:[1,0,0]
	v_dual_mul_f32 v8, v7, v3 :: v_dual_mov_b32 v4, v7
	v_dual_mov_b32 v11, v5 :: v_dual_mov_b32 v5, v6
	s_delay_alu instid0(VALU_DEP_2) | instskip(SKIP_1) | instid1(VALU_DEP_3)
	v_pk_fma_f32 v[8:9], v[6:7], v[62:63], v[8:9] op_sel_hi:[1,1,0] neg_lo:[0,0,1] neg_hi:[0,0,1]
	v_mul_f32_e32 v6, v7, v0
	v_pk_add_f32 v[56:57], v[56:57], v[10:11] neg_lo:[0,1] neg_hi:[0,1]
	s_delay_alu instid0(VALU_DEP_2) | instskip(NEXT) | instid1(VALU_DEP_1)
	v_pk_fma_f32 v[4:5], v[4:5], v[62:63], v[6:7] op_sel_hi:[1,1,0]
	v_mov_b32_e32 v9, v5
	ds_load_2addr_b64 v[4:7], v118 offset0:17 offset1:18
	v_pk_add_f32 v[78:79], v[78:79], v[8:9] neg_lo:[0,1] neg_hi:[0,1]
	s_wait_dscnt 0x0
	v_pk_mul_f32 v[8:9], v[4:5], v[2:3] op_sel:[0,1]
	s_delay_alu instid0(VALU_DEP_1) | instskip(SKIP_1) | instid1(VALU_DEP_1)
	v_pk_fma_f32 v[10:11], v[4:5], v[0:1], v[8:9] op_sel:[0,0,1] op_sel_hi:[1,1,0] neg_lo:[0,0,1] neg_hi:[0,0,1]
	v_pk_fma_f32 v[4:5], v[4:5], v[0:1], v[8:9] op_sel:[0,0,1] op_sel_hi:[1,0,0]
	v_mov_b32_e32 v11, v5
	v_pk_mul_f32 v[4:5], v[6:7], v[2:3] op_sel:[0,1]
	s_delay_alu instid0(VALU_DEP_1) | instskip(SKIP_1) | instid1(VALU_DEP_1)
	v_pk_fma_f32 v[8:9], v[6:7], v[0:1], v[4:5] op_sel:[0,0,1] op_sel_hi:[1,1,0] neg_lo:[0,0,1] neg_hi:[0,0,1]
	v_pk_fma_f32 v[4:5], v[6:7], v[0:1], v[4:5] op_sel:[0,0,1] op_sel_hi:[1,0,0]
	v_mov_b32_e32 v9, v5
	ds_load_2addr_b64 v[4:7], v118 offset0:19 offset1:20
	v_pk_add_f32 v[74:75], v[74:75], v[10:11] neg_lo:[0,1] neg_hi:[0,1]
	v_pk_add_f32 v[76:77], v[76:77], v[8:9] neg_lo:[0,1] neg_hi:[0,1]
	s_wait_dscnt 0x0
	v_pk_mul_f32 v[8:9], v[4:5], v[2:3] op_sel:[0,1]
	s_delay_alu instid0(VALU_DEP_1) | instskip(SKIP_1) | instid1(VALU_DEP_1)
	v_pk_fma_f32 v[10:11], v[4:5], v[0:1], v[8:9] op_sel:[0,0,1] op_sel_hi:[1,1,0] neg_lo:[0,0,1] neg_hi:[0,0,1]
	v_pk_fma_f32 v[4:5], v[4:5], v[0:1], v[8:9] op_sel:[0,0,1] op_sel_hi:[1,0,0]
	v_mov_b32_e32 v11, v5
	v_pk_mul_f32 v[4:5], v[6:7], v[2:3] op_sel:[0,1]
	s_delay_alu instid0(VALU_DEP_1) | instskip(SKIP_1) | instid1(VALU_DEP_1)
	v_pk_fma_f32 v[8:9], v[6:7], v[0:1], v[4:5] op_sel:[0,0,1] op_sel_hi:[1,1,0] neg_lo:[0,0,1] neg_hi:[0,0,1]
	v_pk_fma_f32 v[4:5], v[6:7], v[0:1], v[4:5] op_sel:[0,0,1] op_sel_hi:[1,0,0]
	v_mov_b32_e32 v9, v5
	ds_load_2addr_b64 v[4:7], v118 offset0:21 offset1:22
	v_pk_add_f32 v[72:73], v[72:73], v[10:11] neg_lo:[0,1] neg_hi:[0,1]
	v_pk_add_f32 v[94:95], v[94:95], v[8:9] neg_lo:[0,1] neg_hi:[0,1]
	s_wait_dscnt 0x0
	v_dual_mul_f32 v8, v5, v3 :: v_dual_mul_f32 v10, v5, v0
	s_delay_alu instid0(VALU_DEP_1) | instskip(NEXT) | instid1(VALU_DEP_2)
	v_pk_fma_f32 v[8:9], v[4:5], v[62:63], v[8:9] op_sel_hi:[1,1,0] neg_lo:[0,0,1] neg_hi:[0,0,1]
	v_pk_fma_f32 v[4:5], v[4:5], v[62:63], v[10:11] op_sel:[1,0,0] op_sel_hi:[0,1,0]
	s_delay_alu instid0(VALU_DEP_1) | instskip(SKIP_1) | instid1(VALU_DEP_2)
	v_mov_b32_e32 v9, v5
	v_pk_mul_f32 v[4:5], v[6:7], v[2:3] op_sel:[0,1]
	v_pk_add_f32 v[90:91], v[90:91], v[8:9] neg_lo:[0,1] neg_hi:[0,1]
	s_delay_alu instid0(VALU_DEP_2) | instskip(SKIP_1) | instid1(VALU_DEP_1)
	v_pk_fma_f32 v[8:9], v[6:7], v[0:1], v[4:5] op_sel:[0,0,1] op_sel_hi:[1,1,0] neg_lo:[0,0,1] neg_hi:[0,0,1]
	v_pk_fma_f32 v[4:5], v[6:7], v[0:1], v[4:5] op_sel:[0,0,1] op_sel_hi:[1,0,0]
	v_mov_b32_e32 v9, v5
	ds_load_2addr_b64 v[4:7], v118 offset0:23 offset1:24
	v_pk_add_f32 v[92:93], v[92:93], v[8:9] neg_lo:[0,1] neg_hi:[0,1]
	s_wait_dscnt 0x0
	v_pk_mul_f32 v[8:9], v[4:5], v[2:3] op_sel:[0,1]
	s_delay_alu instid0(VALU_DEP_1) | instskip(SKIP_1) | instid1(VALU_DEP_1)
	v_pk_fma_f32 v[10:11], v[4:5], v[0:1], v[8:9] op_sel:[0,0,1] op_sel_hi:[1,1,0] neg_lo:[0,0,1] neg_hi:[0,0,1]
	v_pk_fma_f32 v[4:5], v[4:5], v[0:1], v[8:9] op_sel:[0,0,1] op_sel_hi:[1,0,0]
	v_mov_b32_e32 v11, v5
	v_pk_mul_f32 v[4:5], v[6:7], v[2:3] op_sel:[0,1]
	s_delay_alu instid0(VALU_DEP_2) | instskip(NEXT) | instid1(VALU_DEP_2)
	v_pk_add_f32 v[88:89], v[88:89], v[10:11] neg_lo:[0,1] neg_hi:[0,1]
	v_pk_fma_f32 v[8:9], v[6:7], v[0:1], v[4:5] op_sel:[0,0,1] op_sel_hi:[1,1,0] neg_lo:[0,0,1] neg_hi:[0,0,1]
	v_pk_fma_f32 v[4:5], v[6:7], v[0:1], v[4:5] op_sel:[0,0,1] op_sel_hi:[1,0,0]
	s_delay_alu instid0(VALU_DEP_1) | instskip(SKIP_4) | instid1(VALU_DEP_1)
	v_mov_b32_e32 v9, v5
	ds_load_2addr_b64 v[4:7], v118 offset0:25 offset1:26
	v_pk_add_f32 v[112:113], v[112:113], v[8:9] neg_lo:[0,1] neg_hi:[0,1]
	s_wait_dscnt 0x0
	v_pk_mul_f32 v[8:9], v[4:5], v[2:3] op_sel:[0,1]
	v_pk_fma_f32 v[10:11], v[4:5], v[0:1], v[8:9] op_sel:[0,0,1] op_sel_hi:[1,1,0] neg_lo:[0,0,1] neg_hi:[0,0,1]
	v_pk_fma_f32 v[4:5], v[4:5], v[0:1], v[8:9] op_sel:[0,0,1] op_sel_hi:[1,0,0]
	v_dual_mul_f32 v8, v7, v3 :: v_dual_mov_b32 v4, v7
	s_delay_alu instid0(VALU_DEP_2) | instskip(NEXT) | instid1(VALU_DEP_2)
	v_dual_mov_b32 v11, v5 :: v_dual_mov_b32 v5, v6
	v_pk_fma_f32 v[8:9], v[6:7], v[62:63], v[8:9] op_sel_hi:[1,1,0] neg_lo:[0,0,1] neg_hi:[0,0,1]
	v_mul_f32_e32 v6, v7, v0
	s_delay_alu instid0(VALU_DEP_3) | instskip(NEXT) | instid1(VALU_DEP_2)
	v_pk_add_f32 v[108:109], v[108:109], v[10:11] neg_lo:[0,1] neg_hi:[0,1]
	v_pk_fma_f32 v[4:5], v[4:5], v[62:63], v[6:7] op_sel_hi:[1,1,0]
	s_delay_alu instid0(VALU_DEP_1) | instskip(SKIP_4) | instid1(VALU_DEP_1)
	v_mov_b32_e32 v9, v5
	ds_load_2addr_b64 v[4:7], v118 offset0:27 offset1:28
	v_pk_add_f32 v[110:111], v[110:111], v[8:9] neg_lo:[0,1] neg_hi:[0,1]
	s_wait_dscnt 0x0
	v_pk_mul_f32 v[8:9], v[4:5], v[2:3] op_sel:[0,1]
	v_pk_fma_f32 v[10:11], v[4:5], v[0:1], v[8:9] op_sel:[0,0,1] op_sel_hi:[1,1,0] neg_lo:[0,0,1] neg_hi:[0,0,1]
	v_pk_fma_f32 v[4:5], v[4:5], v[0:1], v[8:9] op_sel:[0,0,1] op_sel_hi:[1,0,0]
	s_delay_alu instid0(VALU_DEP_1) | instskip(SKIP_1) | instid1(VALU_DEP_1)
	v_mov_b32_e32 v11, v5
	v_pk_mul_f32 v[4:5], v[6:7], v[2:3] op_sel:[0,1]
	v_pk_fma_f32 v[8:9], v[6:7], v[0:1], v[4:5] op_sel:[0,0,1] op_sel_hi:[1,1,0] neg_lo:[0,0,1] neg_hi:[0,0,1]
	v_pk_fma_f32 v[4:5], v[6:7], v[0:1], v[4:5] op_sel:[0,0,1] op_sel_hi:[1,0,0]
	s_delay_alu instid0(VALU_DEP_1)
	v_mov_b32_e32 v9, v5
	ds_load_2addr_b64 v[4:7], v118 offset0:29 offset1:30
	v_pk_add_f32 v[106:107], v[106:107], v[10:11] neg_lo:[0,1] neg_hi:[0,1]
	v_pk_add_f32 v[128:129], v[128:129], v[8:9] neg_lo:[0,1] neg_hi:[0,1]
	s_wait_dscnt 0x0
	v_pk_mul_f32 v[8:9], v[4:5], v[2:3] op_sel:[0,1]
	s_delay_alu instid0(VALU_DEP_1) | instskip(SKIP_1) | instid1(VALU_DEP_1)
	v_pk_fma_f32 v[10:11], v[4:5], v[0:1], v[8:9] op_sel:[0,0,1] op_sel_hi:[1,1,0] neg_lo:[0,0,1] neg_hi:[0,0,1]
	v_pk_fma_f32 v[4:5], v[4:5], v[0:1], v[8:9] op_sel:[0,0,1] op_sel_hi:[1,0,0]
	v_mov_b32_e32 v11, v5
	v_pk_mul_f32 v[4:5], v[6:7], v[2:3] op_sel:[0,1]
	s_delay_alu instid0(VALU_DEP_1) | instskip(SKIP_1) | instid1(VALU_DEP_1)
	v_pk_fma_f32 v[8:9], v[6:7], v[0:1], v[4:5] op_sel:[0,0,1] op_sel_hi:[1,1,0] neg_lo:[0,0,1] neg_hi:[0,0,1]
	v_pk_fma_f32 v[4:5], v[6:7], v[0:1], v[4:5] op_sel:[0,0,1] op_sel_hi:[1,0,0]
	v_mov_b32_e32 v9, v5
	ds_load_2addr_b64 v[4:7], v118 offset0:31 offset1:32
	v_pk_add_f32 v[124:125], v[124:125], v[10:11] neg_lo:[0,1] neg_hi:[0,1]
	v_pk_add_f32 v[126:127], v[126:127], v[8:9] neg_lo:[0,1] neg_hi:[0,1]
	s_wait_dscnt 0x0
	v_dual_mul_f32 v8, v5, v3 :: v_dual_mul_f32 v10, v5, v0
	s_delay_alu instid0(VALU_DEP_1) | instskip(NEXT) | instid1(VALU_DEP_2)
	v_pk_fma_f32 v[8:9], v[4:5], v[62:63], v[8:9] op_sel_hi:[1,1,0] neg_lo:[0,0,1] neg_hi:[0,0,1]
	v_pk_fma_f32 v[4:5], v[4:5], v[62:63], v[10:11] op_sel:[1,0,0] op_sel_hi:[0,1,0]
	s_delay_alu instid0(VALU_DEP_1) | instskip(SKIP_1) | instid1(VALU_DEP_2)
	v_mov_b32_e32 v9, v5
	v_pk_mul_f32 v[4:5], v[6:7], v[2:3] op_sel:[0,1]
	v_pk_add_f32 v[122:123], v[122:123], v[8:9] neg_lo:[0,1] neg_hi:[0,1]
	s_delay_alu instid0(VALU_DEP_2) | instskip(SKIP_1) | instid1(VALU_DEP_1)
	v_pk_fma_f32 v[8:9], v[6:7], v[0:1], v[4:5] op_sel:[0,0,1] op_sel_hi:[1,1,0] neg_lo:[0,0,1] neg_hi:[0,0,1]
	v_pk_fma_f32 v[4:5], v[6:7], v[0:1], v[4:5] op_sel:[0,0,1] op_sel_hi:[1,0,0]
	v_mov_b32_e32 v9, v5
	ds_load_2addr_b64 v[4:7], v118 offset0:33 offset1:34
	v_pk_add_f32 v[146:147], v[146:147], v[8:9] neg_lo:[0,1] neg_hi:[0,1]
	s_wait_dscnt 0x0
	v_pk_mul_f32 v[8:9], v[4:5], v[2:3] op_sel:[0,1]
	s_delay_alu instid0(VALU_DEP_1) | instskip(SKIP_1) | instid1(VALU_DEP_1)
	v_pk_fma_f32 v[10:11], v[4:5], v[0:1], v[8:9] op_sel:[0,0,1] op_sel_hi:[1,1,0] neg_lo:[0,0,1] neg_hi:[0,0,1]
	v_pk_fma_f32 v[4:5], v[4:5], v[0:1], v[8:9] op_sel:[0,0,1] op_sel_hi:[1,0,0]
	v_mov_b32_e32 v11, v5
	v_pk_mul_f32 v[4:5], v[6:7], v[2:3] op_sel:[0,1]
	s_delay_alu instid0(VALU_DEP_2) | instskip(NEXT) | instid1(VALU_DEP_2)
	v_pk_add_f32 v[142:143], v[142:143], v[10:11] neg_lo:[0,1] neg_hi:[0,1]
	v_pk_fma_f32 v[8:9], v[6:7], v[0:1], v[4:5] op_sel:[0,0,1] op_sel_hi:[1,1,0] neg_lo:[0,0,1] neg_hi:[0,0,1]
	v_pk_fma_f32 v[4:5], v[6:7], v[0:1], v[4:5] op_sel:[0,0,1] op_sel_hi:[1,0,0]
	s_delay_alu instid0(VALU_DEP_1) | instskip(SKIP_4) | instid1(VALU_DEP_1)
	v_mov_b32_e32 v9, v5
	ds_load_2addr_b64 v[4:7], v118 offset0:35 offset1:36
	v_pk_add_f32 v[144:145], v[144:145], v[8:9] neg_lo:[0,1] neg_hi:[0,1]
	s_wait_dscnt 0x0
	v_pk_mul_f32 v[8:9], v[4:5], v[2:3] op_sel:[0,1]
	v_pk_fma_f32 v[10:11], v[4:5], v[0:1], v[8:9] op_sel:[0,0,1] op_sel_hi:[1,1,0] neg_lo:[0,0,1] neg_hi:[0,0,1]
	v_pk_fma_f32 v[4:5], v[4:5], v[0:1], v[8:9] op_sel:[0,0,1] op_sel_hi:[1,0,0]
	v_dual_mul_f32 v8, v7, v3 :: v_dual_mov_b32 v4, v7
	s_delay_alu instid0(VALU_DEP_2) | instskip(NEXT) | instid1(VALU_DEP_2)
	v_dual_mov_b32 v11, v5 :: v_dual_mov_b32 v5, v6
	v_pk_fma_f32 v[8:9], v[6:7], v[62:63], v[8:9] op_sel_hi:[1,1,0] neg_lo:[0,0,1] neg_hi:[0,0,1]
	v_mul_f32_e32 v6, v7, v0
	s_delay_alu instid0(VALU_DEP_3) | instskip(NEXT) | instid1(VALU_DEP_2)
	v_pk_add_f32 v[140:141], v[140:141], v[10:11] neg_lo:[0,1] neg_hi:[0,1]
	v_pk_fma_f32 v[4:5], v[4:5], v[62:63], v[6:7] op_sel_hi:[1,1,0]
	s_delay_alu instid0(VALU_DEP_1) | instskip(SKIP_4) | instid1(VALU_DEP_1)
	v_mov_b32_e32 v9, v5
	ds_load_2addr_b64 v[4:7], v118 offset0:37 offset1:38
	v_pk_add_f32 v[162:163], v[162:163], v[8:9] neg_lo:[0,1] neg_hi:[0,1]
	s_wait_dscnt 0x0
	v_pk_mul_f32 v[8:9], v[4:5], v[2:3] op_sel:[0,1]
	v_pk_fma_f32 v[10:11], v[4:5], v[0:1], v[8:9] op_sel:[0,0,1] op_sel_hi:[1,1,0] neg_lo:[0,0,1] neg_hi:[0,0,1]
	v_pk_fma_f32 v[4:5], v[4:5], v[0:1], v[8:9] op_sel:[0,0,1] op_sel_hi:[1,0,0]
	s_delay_alu instid0(VALU_DEP_1) | instskip(SKIP_1) | instid1(VALU_DEP_1)
	v_mov_b32_e32 v11, v5
	v_pk_mul_f32 v[4:5], v[6:7], v[2:3] op_sel:[0,1]
	v_pk_fma_f32 v[8:9], v[6:7], v[0:1], v[4:5] op_sel:[0,0,1] op_sel_hi:[1,1,0] neg_lo:[0,0,1] neg_hi:[0,0,1]
	v_pk_fma_f32 v[4:5], v[6:7], v[0:1], v[4:5] op_sel:[0,0,1] op_sel_hi:[1,0,0]
	s_delay_alu instid0(VALU_DEP_1)
	v_mov_b32_e32 v9, v5
	ds_load_2addr_b64 v[4:7], v118 offset0:39 offset1:40
	v_pk_add_f32 v[158:159], v[158:159], v[10:11] neg_lo:[0,1] neg_hi:[0,1]
	v_pk_add_f32 v[160:161], v[160:161], v[8:9] neg_lo:[0,1] neg_hi:[0,1]
	s_wait_dscnt 0x0
	v_pk_mul_f32 v[8:9], v[4:5], v[2:3] op_sel:[0,1]
	s_delay_alu instid0(VALU_DEP_1) | instskip(SKIP_1) | instid1(VALU_DEP_1)
	v_pk_fma_f32 v[10:11], v[4:5], v[0:1], v[8:9] op_sel:[0,0,1] op_sel_hi:[1,1,0] neg_lo:[0,0,1] neg_hi:[0,0,1]
	v_pk_fma_f32 v[4:5], v[4:5], v[0:1], v[8:9] op_sel:[0,0,1] op_sel_hi:[1,0,0]
	v_mov_b32_e32 v11, v5
	v_pk_mul_f32 v[4:5], v[6:7], v[2:3] op_sel:[0,1]
	s_delay_alu instid0(VALU_DEP_1) | instskip(SKIP_1) | instid1(VALU_DEP_1)
	v_pk_fma_f32 v[8:9], v[6:7], v[0:1], v[4:5] op_sel:[0,0,1] op_sel_hi:[1,1,0] neg_lo:[0,0,1] neg_hi:[0,0,1]
	v_pk_fma_f32 v[4:5], v[6:7], v[0:1], v[4:5] op_sel:[0,0,1] op_sel_hi:[1,0,0]
	v_mov_b32_e32 v9, v5
	ds_load_2addr_b64 v[4:7], v118 offset0:41 offset1:42
	v_pk_add_f32 v[156:157], v[156:157], v[10:11] neg_lo:[0,1] neg_hi:[0,1]
	v_pk_add_f32 v[182:183], v[182:183], v[8:9] neg_lo:[0,1] neg_hi:[0,1]
	s_wait_dscnt 0x0
	v_dual_mul_f32 v8, v5, v3 :: v_dual_mul_f32 v10, v5, v0
	s_delay_alu instid0(VALU_DEP_1) | instskip(NEXT) | instid1(VALU_DEP_2)
	v_pk_fma_f32 v[8:9], v[4:5], v[62:63], v[8:9] op_sel_hi:[1,1,0] neg_lo:[0,0,1] neg_hi:[0,0,1]
	v_pk_fma_f32 v[4:5], v[4:5], v[62:63], v[10:11] op_sel:[1,0,0] op_sel_hi:[0,1,0]
	s_delay_alu instid0(VALU_DEP_1) | instskip(SKIP_1) | instid1(VALU_DEP_2)
	v_mov_b32_e32 v9, v5
	v_pk_mul_f32 v[4:5], v[6:7], v[2:3] op_sel:[0,1]
	v_pk_add_f32 v[178:179], v[178:179], v[8:9] neg_lo:[0,1] neg_hi:[0,1]
	s_delay_alu instid0(VALU_DEP_2) | instskip(SKIP_1) | instid1(VALU_DEP_1)
	v_pk_fma_f32 v[8:9], v[6:7], v[0:1], v[4:5] op_sel:[0,0,1] op_sel_hi:[1,1,0] neg_lo:[0,0,1] neg_hi:[0,0,1]
	v_pk_fma_f32 v[4:5], v[6:7], v[0:1], v[4:5] op_sel:[0,0,1] op_sel_hi:[1,0,0]
	v_mov_b32_e32 v9, v5
	ds_load_2addr_b64 v[4:7], v118 offset0:43 offset1:44
	v_pk_add_f32 v[180:181], v[180:181], v[8:9] neg_lo:[0,1] neg_hi:[0,1]
	s_wait_dscnt 0x0
	v_pk_mul_f32 v[8:9], v[4:5], v[2:3] op_sel:[0,1]
	s_delay_alu instid0(VALU_DEP_1) | instskip(SKIP_1) | instid1(VALU_DEP_1)
	v_pk_fma_f32 v[10:11], v[4:5], v[0:1], v[8:9] op_sel:[0,0,1] op_sel_hi:[1,1,0] neg_lo:[0,0,1] neg_hi:[0,0,1]
	v_pk_fma_f32 v[4:5], v[4:5], v[0:1], v[8:9] op_sel:[0,0,1] op_sel_hi:[1,0,0]
	v_mov_b32_e32 v11, v5
	v_pk_mul_f32 v[4:5], v[6:7], v[2:3] op_sel:[0,1]
	s_delay_alu instid0(VALU_DEP_2) | instskip(NEXT) | instid1(VALU_DEP_2)
	v_pk_add_f32 v[176:177], v[176:177], v[10:11] neg_lo:[0,1] neg_hi:[0,1]
	v_pk_fma_f32 v[8:9], v[6:7], v[0:1], v[4:5] op_sel:[0,0,1] op_sel_hi:[1,1,0] neg_lo:[0,0,1] neg_hi:[0,0,1]
	v_pk_fma_f32 v[4:5], v[6:7], v[0:1], v[4:5] op_sel:[0,0,1] op_sel_hi:[1,0,0]
	s_delay_alu instid0(VALU_DEP_1) | instskip(SKIP_4) | instid1(VALU_DEP_1)
	v_mov_b32_e32 v9, v5
	ds_load_2addr_b64 v[4:7], v118 offset0:45 offset1:46
	v_pk_add_f32 v[204:205], v[204:205], v[8:9] neg_lo:[0,1] neg_hi:[0,1]
	s_wait_dscnt 0x0
	v_pk_mul_f32 v[8:9], v[4:5], v[2:3] op_sel:[0,1]
	v_pk_fma_f32 v[10:11], v[4:5], v[0:1], v[8:9] op_sel:[0,0,1] op_sel_hi:[1,1,0] neg_lo:[0,0,1] neg_hi:[0,0,1]
	v_pk_fma_f32 v[4:5], v[4:5], v[0:1], v[8:9] op_sel:[0,0,1] op_sel_hi:[1,0,0]
	v_dual_mul_f32 v8, v7, v3 :: v_dual_mov_b32 v4, v7
	s_delay_alu instid0(VALU_DEP_2) | instskip(NEXT) | instid1(VALU_DEP_2)
	v_dual_mov_b32 v11, v5 :: v_dual_mov_b32 v5, v6
	v_pk_fma_f32 v[8:9], v[6:7], v[62:63], v[8:9] op_sel_hi:[1,1,0] neg_lo:[0,0,1] neg_hi:[0,0,1]
	v_mul_f32_e32 v6, v7, v0
	s_delay_alu instid0(VALU_DEP_3) | instskip(NEXT) | instid1(VALU_DEP_2)
	v_pk_add_f32 v[198:199], v[198:199], v[10:11] neg_lo:[0,1] neg_hi:[0,1]
	v_pk_fma_f32 v[4:5], v[4:5], v[62:63], v[6:7] op_sel_hi:[1,1,0]
	s_delay_alu instid0(VALU_DEP_1) | instskip(SKIP_4) | instid1(VALU_DEP_1)
	v_mov_b32_e32 v9, v5
	ds_load_2addr_b64 v[4:7], v118 offset0:47 offset1:48
	v_pk_add_f32 v[202:203], v[202:203], v[8:9] neg_lo:[0,1] neg_hi:[0,1]
	s_wait_dscnt 0x0
	v_pk_mul_f32 v[8:9], v[4:5], v[2:3] op_sel:[0,1]
	v_pk_fma_f32 v[10:11], v[4:5], v[0:1], v[8:9] op_sel:[0,0,1] op_sel_hi:[1,1,0] neg_lo:[0,0,1] neg_hi:[0,0,1]
	v_pk_fma_f32 v[4:5], v[4:5], v[0:1], v[8:9] op_sel:[0,0,1] op_sel_hi:[1,0,0]
	s_delay_alu instid0(VALU_DEP_1) | instskip(SKIP_1) | instid1(VALU_DEP_1)
	v_mov_b32_e32 v11, v5
	v_pk_mul_f32 v[4:5], v[6:7], v[2:3] op_sel:[0,1]
	v_pk_fma_f32 v[8:9], v[6:7], v[0:1], v[4:5] op_sel:[0,0,1] op_sel_hi:[1,1,0] neg_lo:[0,0,1] neg_hi:[0,0,1]
	v_pk_fma_f32 v[4:5], v[6:7], v[0:1], v[4:5] op_sel:[0,0,1] op_sel_hi:[1,0,0]
	s_delay_alu instid0(VALU_DEP_1)
	v_mov_b32_e32 v9, v5
	ds_load_2addr_b64 v[4:7], v118 offset0:49 offset1:50
	v_pk_add_f32 v[196:197], v[196:197], v[10:11] neg_lo:[0,1] neg_hi:[0,1]
	v_pk_add_f32 v[200:201], v[200:201], v[8:9] neg_lo:[0,1] neg_hi:[0,1]
	s_wait_dscnt 0x0
	v_pk_mul_f32 v[8:9], v[4:5], v[2:3] op_sel:[0,1]
	s_delay_alu instid0(VALU_DEP_1) | instskip(SKIP_1) | instid1(VALU_DEP_1)
	v_pk_fma_f32 v[10:11], v[4:5], v[0:1], v[8:9] op_sel:[0,0,1] op_sel_hi:[1,1,0] neg_lo:[0,0,1] neg_hi:[0,0,1]
	v_pk_fma_f32 v[4:5], v[4:5], v[0:1], v[8:9] op_sel:[0,0,1] op_sel_hi:[1,0,0]
	v_mov_b32_e32 v11, v5
	v_pk_mul_f32 v[4:5], v[6:7], v[2:3] op_sel:[0,1]
	s_delay_alu instid0(VALU_DEP_1) | instskip(SKIP_1) | instid1(VALU_DEP_1)
	v_pk_fma_f32 v[8:9], v[6:7], v[0:1], v[4:5] op_sel:[0,0,1] op_sel_hi:[1,1,0] neg_lo:[0,0,1] neg_hi:[0,0,1]
	v_pk_fma_f32 v[4:5], v[6:7], v[0:1], v[4:5] op_sel:[0,0,1] op_sel_hi:[1,0,0]
	v_mov_b32_e32 v9, v5
	ds_load_b64 v[4:5], v118 offset:408
	v_pk_add_f32 v[194:195], v[194:195], v[10:11] neg_lo:[0,1] neg_hi:[0,1]
	v_pk_add_f32 v[206:207], v[206:207], v[8:9] neg_lo:[0,1] neg_hi:[0,1]
	s_wait_dscnt 0x0
	v_pk_mul_f32 v[2:3], v[4:5], v[2:3] op_sel:[0,1]
	s_delay_alu instid0(VALU_DEP_1) | instskip(SKIP_1) | instid1(VALU_DEP_1)
	v_pk_fma_f32 v[6:7], v[4:5], v[0:1], v[2:3] op_sel:[0,0,1] op_sel_hi:[1,1,0] neg_lo:[0,0,1] neg_hi:[0,0,1]
	v_pk_fma_f32 v[0:1], v[4:5], v[0:1], v[2:3] op_sel:[0,0,1] op_sel_hi:[1,0,0]
	v_mov_b32_e32 v7, v1
	s_delay_alu instid0(VALU_DEP_1)
	v_pk_add_f32 v[208:209], v[208:209], v[6:7] neg_lo:[0,1] neg_hi:[0,1]
.LBB103_118:
	s_wait_xcnt 0x0
	s_or_b32 exec_lo, exec_lo, s1
	s_delay_alu instid0(SALU_CYCLE_1)
	s_mov_b32 s2, exec_lo
	s_wait_storecnt 0x0
	s_barrier_signal -1
	s_barrier_wait -1
	v_cmpx_eq_u32_e32 13, v116
	s_cbranch_execz .LBB103_125
; %bb.119:
	v_dual_mov_b32 v0, v60 :: v_dual_mov_b32 v1, v61
	v_dual_mov_b32 v2, v56 :: v_dual_mov_b32 v3, v57
	ds_store_b64 v117, v[58:59]
	ds_store_2addr_b64 v118, v[0:1], v[2:3] offset0:14 offset1:15
	v_dual_mov_b32 v0, v78 :: v_dual_mov_b32 v1, v79
	v_dual_mov_b32 v2, v74 :: v_dual_mov_b32 v3, v75
	ds_store_2addr_b64 v118, v[0:1], v[2:3] offset0:16 offset1:17
	v_dual_mov_b32 v0, v76 :: v_dual_mov_b32 v1, v77
	v_dual_mov_b32 v2, v72 :: v_dual_mov_b32 v3, v73
	;; [unrolled: 3-line block ×17, first 2 shown]
	ds_store_2addr_b64 v118, v[0:1], v[2:3] offset0:48 offset1:49
	v_dual_mov_b32 v0, v206 :: v_dual_mov_b32 v1, v207
	ds_store_2addr_b64 v118, v[0:1], v[208:209] offset0:50 offset1:51
	ds_load_b64 v[0:1], v117
	s_wait_dscnt 0x0
	v_cmp_neq_f32_e32 vcc_lo, 0, v0
	v_cmp_neq_f32_e64 s1, 0, v1
	s_or_b32 s1, vcc_lo, s1
	s_delay_alu instid0(SALU_CYCLE_1)
	s_and_b32 exec_lo, exec_lo, s1
	s_cbranch_execz .LBB103_125
; %bb.120:
	v_cmp_ngt_f32_e64 s1, |v0|, |v1|
                                        ; implicit-def: $vgpr2_vgpr3
	s_and_saveexec_b32 s4, s1
	s_delay_alu instid0(SALU_CYCLE_1)
	s_xor_b32 s1, exec_lo, s4
	s_cbranch_execz .LBB103_122
; %bb.121:
	v_div_scale_f32 v2, null, v1, v1, v0
	v_div_scale_f32 v5, vcc_lo, v0, v1, v0
	s_delay_alu instid0(VALU_DEP_2) | instskip(SKIP_1) | instid1(TRANS32_DEP_1)
	v_rcp_f32_e32 v3, v2
	v_nop
	v_fma_f32 v4, -v2, v3, 1.0
	s_delay_alu instid0(VALU_DEP_1) | instskip(NEXT) | instid1(VALU_DEP_1)
	v_fmac_f32_e32 v3, v4, v3
	v_mul_f32_e32 v4, v5, v3
	s_delay_alu instid0(VALU_DEP_1) | instskip(NEXT) | instid1(VALU_DEP_1)
	v_fma_f32 v6, -v2, v4, v5
	v_fmac_f32_e32 v4, v6, v3
	s_delay_alu instid0(VALU_DEP_1) | instskip(NEXT) | instid1(VALU_DEP_1)
	v_fma_f32 v2, -v2, v4, v5
	v_div_fmas_f32 v2, v2, v3, v4
	s_delay_alu instid0(VALU_DEP_1) | instskip(NEXT) | instid1(VALU_DEP_1)
	v_div_fixup_f32 v2, v2, v1, v0
	v_fmac_f32_e32 v1, v0, v2
	s_delay_alu instid0(VALU_DEP_1) | instskip(SKIP_1) | instid1(VALU_DEP_2)
	v_div_scale_f32 v0, null, v1, v1, 1.0
	v_div_scale_f32 v5, vcc_lo, 1.0, v1, 1.0
	v_rcp_f32_e32 v3, v0
	v_nop
	s_delay_alu instid0(TRANS32_DEP_1) | instskip(NEXT) | instid1(VALU_DEP_1)
	v_fma_f32 v4, -v0, v3, 1.0
	v_fmac_f32_e32 v3, v4, v3
	s_delay_alu instid0(VALU_DEP_1) | instskip(NEXT) | instid1(VALU_DEP_1)
	v_mul_f32_e32 v4, v5, v3
	v_fma_f32 v6, -v0, v4, v5
	s_delay_alu instid0(VALU_DEP_1) | instskip(NEXT) | instid1(VALU_DEP_1)
	v_fmac_f32_e32 v4, v6, v3
	v_fma_f32 v0, -v0, v4, v5
	s_delay_alu instid0(VALU_DEP_1) | instskip(NEXT) | instid1(VALU_DEP_1)
	v_div_fmas_f32 v0, v0, v3, v4
	v_div_fixup_f32 v0, v0, v1, 1.0
	s_delay_alu instid0(VALU_DEP_1)
	v_mul_f32_e32 v2, v2, v0
	v_xor_b32_e32 v3, 0x80000000, v0
                                        ; implicit-def: $vgpr0_vgpr1
.LBB103_122:
	s_and_not1_saveexec_b32 s1, s1
	s_cbranch_execz .LBB103_124
; %bb.123:
	v_div_scale_f32 v2, null, v0, v0, v1
	v_div_scale_f32 v5, vcc_lo, v1, v0, v1
	s_delay_alu instid0(VALU_DEP_2) | instskip(SKIP_1) | instid1(TRANS32_DEP_1)
	v_rcp_f32_e32 v3, v2
	v_nop
	v_fma_f32 v4, -v2, v3, 1.0
	s_delay_alu instid0(VALU_DEP_1) | instskip(NEXT) | instid1(VALU_DEP_1)
	v_fmac_f32_e32 v3, v4, v3
	v_mul_f32_e32 v4, v5, v3
	s_delay_alu instid0(VALU_DEP_1) | instskip(NEXT) | instid1(VALU_DEP_1)
	v_fma_f32 v6, -v2, v4, v5
	v_fmac_f32_e32 v4, v6, v3
	s_delay_alu instid0(VALU_DEP_1) | instskip(NEXT) | instid1(VALU_DEP_1)
	v_fma_f32 v2, -v2, v4, v5
	v_div_fmas_f32 v2, v2, v3, v4
	s_delay_alu instid0(VALU_DEP_1) | instskip(NEXT) | instid1(VALU_DEP_1)
	v_div_fixup_f32 v3, v2, v0, v1
	v_fmac_f32_e32 v0, v1, v3
	s_delay_alu instid0(VALU_DEP_1) | instskip(NEXT) | instid1(VALU_DEP_1)
	v_div_scale_f32 v1, null, v0, v0, 1.0
	v_rcp_f32_e32 v2, v1
	v_nop
	s_delay_alu instid0(TRANS32_DEP_1) | instskip(NEXT) | instid1(VALU_DEP_1)
	v_fma_f32 v4, -v1, v2, 1.0
	v_fmac_f32_e32 v2, v4, v2
	v_div_scale_f32 v4, vcc_lo, 1.0, v0, 1.0
	s_delay_alu instid0(VALU_DEP_1) | instskip(NEXT) | instid1(VALU_DEP_1)
	v_mul_f32_e32 v5, v4, v2
	v_fma_f32 v6, -v1, v5, v4
	s_delay_alu instid0(VALU_DEP_1) | instskip(NEXT) | instid1(VALU_DEP_1)
	v_fmac_f32_e32 v5, v6, v2
	v_fma_f32 v1, -v1, v5, v4
	s_delay_alu instid0(VALU_DEP_1) | instskip(NEXT) | instid1(VALU_DEP_1)
	v_div_fmas_f32 v1, v1, v2, v5
	v_div_fixup_f32 v2, v1, v0, 1.0
	s_delay_alu instid0(VALU_DEP_1)
	v_mul_f32_e64 v3, v3, -v2
.LBB103_124:
	s_or_b32 exec_lo, exec_lo, s1
	ds_store_b64 v117, v[2:3]
.LBB103_125:
	s_or_b32 exec_lo, exec_lo, s2
	s_wait_dscnt 0x0
	s_barrier_signal -1
	s_barrier_wait -1
	ds_load_b64 v[0:1], v117
	s_mov_b32 s1, exec_lo
	s_wait_dscnt 0x0
	scratch_store_b64 off, v[0:1], off offset:192 ; 8-byte Folded Spill
	s_wait_xcnt 0x0
	v_cmpx_lt_u32_e32 13, v116
	s_cbranch_execz .LBB103_127
; %bb.126:
	scratch_load_b64 v[4:5], off, off offset:192 ; 8-byte Folded Reload
	s_wait_loadcnt 0x0
	v_pk_mul_f32 v[2:3], v[4:5], v[58:59] op_sel:[1,1] op_sel_hi:[0,1]
	s_delay_alu instid0(VALU_DEP_1)
	v_pk_fma_f32 v[0:1], v[4:5], v[58:59], v[2:3] op_sel_hi:[1,0,1] neg_lo:[0,0,1] neg_hi:[0,0,1]
	v_pk_fma_f32 v[2:3], v[4:5], v[58:59], v[2:3] op_sel_hi:[1,0,1]
	ds_load_2addr_b64 v[4:7], v118 offset0:14 offset1:15
	v_dual_mov_b32 v58, v0 :: v_dual_mov_b32 v59, v3
	s_wait_dscnt 0x0
	v_pk_mul_f32 v[8:9], v[4:5], v[2:3] op_sel:[0,1]
	s_delay_alu instid0(VALU_DEP_1) | instskip(SKIP_1) | instid1(VALU_DEP_1)
	v_pk_fma_f32 v[10:11], v[4:5], v[0:1], v[8:9] op_sel:[0,0,1] op_sel_hi:[1,1,0] neg_lo:[0,0,1] neg_hi:[0,0,1]
	v_pk_fma_f32 v[4:5], v[4:5], v[0:1], v[8:9] op_sel:[0,0,1] op_sel_hi:[1,0,0]
	v_mov_b32_e32 v11, v5
	v_pk_mul_f32 v[4:5], v[6:7], v[2:3] op_sel:[0,1]
	s_delay_alu instid0(VALU_DEP_1) | instskip(SKIP_1) | instid1(VALU_DEP_1)
	v_pk_fma_f32 v[8:9], v[6:7], v[0:1], v[4:5] op_sel:[0,0,1] op_sel_hi:[1,1,0] neg_lo:[0,0,1] neg_hi:[0,0,1]
	v_pk_fma_f32 v[4:5], v[6:7], v[0:1], v[4:5] op_sel:[0,0,1] op_sel_hi:[1,0,0]
	v_mov_b32_e32 v9, v5
	ds_load_2addr_b64 v[4:7], v118 offset0:16 offset1:17
	v_pk_add_f32 v[60:61], v[60:61], v[10:11] neg_lo:[0,1] neg_hi:[0,1]
	v_pk_add_f32 v[56:57], v[56:57], v[8:9] neg_lo:[0,1] neg_hi:[0,1]
	s_wait_dscnt 0x0
	v_pk_mul_f32 v[8:9], v[4:5], v[2:3] op_sel:[0,1]
	s_delay_alu instid0(VALU_DEP_1) | instskip(SKIP_2) | instid1(VALU_DEP_2)
	v_pk_fma_f32 v[10:11], v[4:5], v[0:1], v[8:9] op_sel:[0,0,1] op_sel_hi:[1,1,0] neg_lo:[0,0,1] neg_hi:[0,0,1]
	v_pk_fma_f32 v[4:5], v[4:5], v[0:1], v[8:9] op_sel:[0,0,1] op_sel_hi:[1,0,0]
	v_dual_mul_f32 v8, v7, v3 :: v_dual_mov_b32 v4, v7
	v_dual_mov_b32 v11, v5 :: v_dual_mov_b32 v5, v6
	s_delay_alu instid0(VALU_DEP_2) | instskip(SKIP_1) | instid1(VALU_DEP_3)
	v_pk_fma_f32 v[8:9], v[6:7], v[58:59], v[8:9] op_sel_hi:[1,1,0] neg_lo:[0,0,1] neg_hi:[0,0,1]
	v_mul_f32_e32 v6, v7, v0
	v_pk_add_f32 v[78:79], v[78:79], v[10:11] neg_lo:[0,1] neg_hi:[0,1]
	s_delay_alu instid0(VALU_DEP_2) | instskip(NEXT) | instid1(VALU_DEP_1)
	v_pk_fma_f32 v[4:5], v[4:5], v[58:59], v[6:7] op_sel_hi:[1,1,0]
	v_mov_b32_e32 v9, v5
	ds_load_2addr_b64 v[4:7], v118 offset0:18 offset1:19
	v_pk_add_f32 v[74:75], v[74:75], v[8:9] neg_lo:[0,1] neg_hi:[0,1]
	s_wait_dscnt 0x0
	v_pk_mul_f32 v[8:9], v[4:5], v[2:3] op_sel:[0,1]
	s_delay_alu instid0(VALU_DEP_1) | instskip(SKIP_1) | instid1(VALU_DEP_1)
	v_pk_fma_f32 v[10:11], v[4:5], v[0:1], v[8:9] op_sel:[0,0,1] op_sel_hi:[1,1,0] neg_lo:[0,0,1] neg_hi:[0,0,1]
	v_pk_fma_f32 v[4:5], v[4:5], v[0:1], v[8:9] op_sel:[0,0,1] op_sel_hi:[1,0,0]
	v_mov_b32_e32 v11, v5
	v_pk_mul_f32 v[4:5], v[6:7], v[2:3] op_sel:[0,1]
	s_delay_alu instid0(VALU_DEP_1) | instskip(SKIP_1) | instid1(VALU_DEP_1)
	v_pk_fma_f32 v[8:9], v[6:7], v[0:1], v[4:5] op_sel:[0,0,1] op_sel_hi:[1,1,0] neg_lo:[0,0,1] neg_hi:[0,0,1]
	v_pk_fma_f32 v[4:5], v[6:7], v[0:1], v[4:5] op_sel:[0,0,1] op_sel_hi:[1,0,0]
	v_mov_b32_e32 v9, v5
	ds_load_2addr_b64 v[4:7], v118 offset0:20 offset1:21
	v_pk_add_f32 v[76:77], v[76:77], v[10:11] neg_lo:[0,1] neg_hi:[0,1]
	v_pk_add_f32 v[72:73], v[72:73], v[8:9] neg_lo:[0,1] neg_hi:[0,1]
	s_wait_dscnt 0x0
	v_pk_mul_f32 v[8:9], v[4:5], v[2:3] op_sel:[0,1]
	s_delay_alu instid0(VALU_DEP_1) | instskip(SKIP_1) | instid1(VALU_DEP_1)
	v_pk_fma_f32 v[10:11], v[4:5], v[0:1], v[8:9] op_sel:[0,0,1] op_sel_hi:[1,1,0] neg_lo:[0,0,1] neg_hi:[0,0,1]
	v_pk_fma_f32 v[4:5], v[4:5], v[0:1], v[8:9] op_sel:[0,0,1] op_sel_hi:[1,0,0]
	v_mov_b32_e32 v11, v5
	v_pk_mul_f32 v[4:5], v[6:7], v[2:3] op_sel:[0,1]
	s_delay_alu instid0(VALU_DEP_1) | instskip(SKIP_1) | instid1(VALU_DEP_1)
	v_pk_fma_f32 v[8:9], v[6:7], v[0:1], v[4:5] op_sel:[0,0,1] op_sel_hi:[1,1,0] neg_lo:[0,0,1] neg_hi:[0,0,1]
	v_pk_fma_f32 v[4:5], v[6:7], v[0:1], v[4:5] op_sel:[0,0,1] op_sel_hi:[1,0,0]
	v_mov_b32_e32 v9, v5
	ds_load_2addr_b64 v[4:7], v118 offset0:22 offset1:23
	v_pk_add_f32 v[94:95], v[94:95], v[10:11] neg_lo:[0,1] neg_hi:[0,1]
	v_pk_add_f32 v[90:91], v[90:91], v[8:9] neg_lo:[0,1] neg_hi:[0,1]
	s_wait_dscnt 0x0
	v_dual_mul_f32 v8, v5, v3 :: v_dual_mul_f32 v10, v5, v0
	s_delay_alu instid0(VALU_DEP_1) | instskip(NEXT) | instid1(VALU_DEP_2)
	v_pk_fma_f32 v[8:9], v[4:5], v[58:59], v[8:9] op_sel_hi:[1,1,0] neg_lo:[0,0,1] neg_hi:[0,0,1]
	v_pk_fma_f32 v[4:5], v[4:5], v[58:59], v[10:11] op_sel:[1,0,0] op_sel_hi:[0,1,0]
	s_delay_alu instid0(VALU_DEP_1) | instskip(SKIP_1) | instid1(VALU_DEP_2)
	v_mov_b32_e32 v9, v5
	v_pk_mul_f32 v[4:5], v[6:7], v[2:3] op_sel:[0,1]
	v_pk_add_f32 v[92:93], v[92:93], v[8:9] neg_lo:[0,1] neg_hi:[0,1]
	s_delay_alu instid0(VALU_DEP_2) | instskip(SKIP_1) | instid1(VALU_DEP_1)
	v_pk_fma_f32 v[8:9], v[6:7], v[0:1], v[4:5] op_sel:[0,0,1] op_sel_hi:[1,1,0] neg_lo:[0,0,1] neg_hi:[0,0,1]
	v_pk_fma_f32 v[4:5], v[6:7], v[0:1], v[4:5] op_sel:[0,0,1] op_sel_hi:[1,0,0]
	v_mov_b32_e32 v9, v5
	ds_load_2addr_b64 v[4:7], v118 offset0:24 offset1:25
	v_pk_add_f32 v[88:89], v[88:89], v[8:9] neg_lo:[0,1] neg_hi:[0,1]
	s_wait_dscnt 0x0
	v_pk_mul_f32 v[8:9], v[4:5], v[2:3] op_sel:[0,1]
	s_delay_alu instid0(VALU_DEP_1) | instskip(SKIP_1) | instid1(VALU_DEP_1)
	v_pk_fma_f32 v[10:11], v[4:5], v[0:1], v[8:9] op_sel:[0,0,1] op_sel_hi:[1,1,0] neg_lo:[0,0,1] neg_hi:[0,0,1]
	v_pk_fma_f32 v[4:5], v[4:5], v[0:1], v[8:9] op_sel:[0,0,1] op_sel_hi:[1,0,0]
	v_mov_b32_e32 v11, v5
	v_pk_mul_f32 v[4:5], v[6:7], v[2:3] op_sel:[0,1]
	s_delay_alu instid0(VALU_DEP_2) | instskip(NEXT) | instid1(VALU_DEP_2)
	v_pk_add_f32 v[112:113], v[112:113], v[10:11] neg_lo:[0,1] neg_hi:[0,1]
	v_pk_fma_f32 v[8:9], v[6:7], v[0:1], v[4:5] op_sel:[0,0,1] op_sel_hi:[1,1,0] neg_lo:[0,0,1] neg_hi:[0,0,1]
	v_pk_fma_f32 v[4:5], v[6:7], v[0:1], v[4:5] op_sel:[0,0,1] op_sel_hi:[1,0,0]
	s_delay_alu instid0(VALU_DEP_1) | instskip(SKIP_4) | instid1(VALU_DEP_1)
	v_mov_b32_e32 v9, v5
	ds_load_2addr_b64 v[4:7], v118 offset0:26 offset1:27
	v_pk_add_f32 v[108:109], v[108:109], v[8:9] neg_lo:[0,1] neg_hi:[0,1]
	s_wait_dscnt 0x0
	v_pk_mul_f32 v[8:9], v[4:5], v[2:3] op_sel:[0,1]
	v_pk_fma_f32 v[10:11], v[4:5], v[0:1], v[8:9] op_sel:[0,0,1] op_sel_hi:[1,1,0] neg_lo:[0,0,1] neg_hi:[0,0,1]
	v_pk_fma_f32 v[4:5], v[4:5], v[0:1], v[8:9] op_sel:[0,0,1] op_sel_hi:[1,0,0]
	v_dual_mul_f32 v8, v7, v3 :: v_dual_mov_b32 v4, v7
	s_delay_alu instid0(VALU_DEP_2) | instskip(NEXT) | instid1(VALU_DEP_2)
	v_dual_mov_b32 v11, v5 :: v_dual_mov_b32 v5, v6
	v_pk_fma_f32 v[8:9], v[6:7], v[58:59], v[8:9] op_sel_hi:[1,1,0] neg_lo:[0,0,1] neg_hi:[0,0,1]
	v_mul_f32_e32 v6, v7, v0
	s_delay_alu instid0(VALU_DEP_3) | instskip(NEXT) | instid1(VALU_DEP_2)
	v_pk_add_f32 v[110:111], v[110:111], v[10:11] neg_lo:[0,1] neg_hi:[0,1]
	v_pk_fma_f32 v[4:5], v[4:5], v[58:59], v[6:7] op_sel_hi:[1,1,0]
	s_delay_alu instid0(VALU_DEP_1) | instskip(SKIP_4) | instid1(VALU_DEP_1)
	v_mov_b32_e32 v9, v5
	ds_load_2addr_b64 v[4:7], v118 offset0:28 offset1:29
	v_pk_add_f32 v[106:107], v[106:107], v[8:9] neg_lo:[0,1] neg_hi:[0,1]
	s_wait_dscnt 0x0
	v_pk_mul_f32 v[8:9], v[4:5], v[2:3] op_sel:[0,1]
	v_pk_fma_f32 v[10:11], v[4:5], v[0:1], v[8:9] op_sel:[0,0,1] op_sel_hi:[1,1,0] neg_lo:[0,0,1] neg_hi:[0,0,1]
	v_pk_fma_f32 v[4:5], v[4:5], v[0:1], v[8:9] op_sel:[0,0,1] op_sel_hi:[1,0,0]
	s_delay_alu instid0(VALU_DEP_1) | instskip(SKIP_1) | instid1(VALU_DEP_1)
	v_mov_b32_e32 v11, v5
	v_pk_mul_f32 v[4:5], v[6:7], v[2:3] op_sel:[0,1]
	v_pk_fma_f32 v[8:9], v[6:7], v[0:1], v[4:5] op_sel:[0,0,1] op_sel_hi:[1,1,0] neg_lo:[0,0,1] neg_hi:[0,0,1]
	v_pk_fma_f32 v[4:5], v[6:7], v[0:1], v[4:5] op_sel:[0,0,1] op_sel_hi:[1,0,0]
	s_delay_alu instid0(VALU_DEP_1)
	v_mov_b32_e32 v9, v5
	ds_load_2addr_b64 v[4:7], v118 offset0:30 offset1:31
	v_pk_add_f32 v[128:129], v[128:129], v[10:11] neg_lo:[0,1] neg_hi:[0,1]
	v_pk_add_f32 v[124:125], v[124:125], v[8:9] neg_lo:[0,1] neg_hi:[0,1]
	s_wait_dscnt 0x0
	v_pk_mul_f32 v[8:9], v[4:5], v[2:3] op_sel:[0,1]
	s_delay_alu instid0(VALU_DEP_1) | instskip(SKIP_1) | instid1(VALU_DEP_1)
	v_pk_fma_f32 v[10:11], v[4:5], v[0:1], v[8:9] op_sel:[0,0,1] op_sel_hi:[1,1,0] neg_lo:[0,0,1] neg_hi:[0,0,1]
	v_pk_fma_f32 v[4:5], v[4:5], v[0:1], v[8:9] op_sel:[0,0,1] op_sel_hi:[1,0,0]
	v_mov_b32_e32 v11, v5
	v_pk_mul_f32 v[4:5], v[6:7], v[2:3] op_sel:[0,1]
	s_delay_alu instid0(VALU_DEP_1) | instskip(SKIP_1) | instid1(VALU_DEP_1)
	v_pk_fma_f32 v[8:9], v[6:7], v[0:1], v[4:5] op_sel:[0,0,1] op_sel_hi:[1,1,0] neg_lo:[0,0,1] neg_hi:[0,0,1]
	v_pk_fma_f32 v[4:5], v[6:7], v[0:1], v[4:5] op_sel:[0,0,1] op_sel_hi:[1,0,0]
	v_mov_b32_e32 v9, v5
	ds_load_2addr_b64 v[4:7], v118 offset0:32 offset1:33
	v_pk_add_f32 v[126:127], v[126:127], v[10:11] neg_lo:[0,1] neg_hi:[0,1]
	v_pk_add_f32 v[122:123], v[122:123], v[8:9] neg_lo:[0,1] neg_hi:[0,1]
	s_wait_dscnt 0x0
	v_dual_mul_f32 v8, v5, v3 :: v_dual_mul_f32 v10, v5, v0
	s_delay_alu instid0(VALU_DEP_1) | instskip(NEXT) | instid1(VALU_DEP_2)
	v_pk_fma_f32 v[8:9], v[4:5], v[58:59], v[8:9] op_sel_hi:[1,1,0] neg_lo:[0,0,1] neg_hi:[0,0,1]
	v_pk_fma_f32 v[4:5], v[4:5], v[58:59], v[10:11] op_sel:[1,0,0] op_sel_hi:[0,1,0]
	s_delay_alu instid0(VALU_DEP_1) | instskip(SKIP_1) | instid1(VALU_DEP_2)
	v_mov_b32_e32 v9, v5
	v_pk_mul_f32 v[4:5], v[6:7], v[2:3] op_sel:[0,1]
	v_pk_add_f32 v[146:147], v[146:147], v[8:9] neg_lo:[0,1] neg_hi:[0,1]
	s_delay_alu instid0(VALU_DEP_2) | instskip(SKIP_1) | instid1(VALU_DEP_1)
	v_pk_fma_f32 v[8:9], v[6:7], v[0:1], v[4:5] op_sel:[0,0,1] op_sel_hi:[1,1,0] neg_lo:[0,0,1] neg_hi:[0,0,1]
	v_pk_fma_f32 v[4:5], v[6:7], v[0:1], v[4:5] op_sel:[0,0,1] op_sel_hi:[1,0,0]
	v_mov_b32_e32 v9, v5
	ds_load_2addr_b64 v[4:7], v118 offset0:34 offset1:35
	v_pk_add_f32 v[142:143], v[142:143], v[8:9] neg_lo:[0,1] neg_hi:[0,1]
	s_wait_dscnt 0x0
	v_pk_mul_f32 v[8:9], v[4:5], v[2:3] op_sel:[0,1]
	s_delay_alu instid0(VALU_DEP_1) | instskip(SKIP_1) | instid1(VALU_DEP_1)
	v_pk_fma_f32 v[10:11], v[4:5], v[0:1], v[8:9] op_sel:[0,0,1] op_sel_hi:[1,1,0] neg_lo:[0,0,1] neg_hi:[0,0,1]
	v_pk_fma_f32 v[4:5], v[4:5], v[0:1], v[8:9] op_sel:[0,0,1] op_sel_hi:[1,0,0]
	v_mov_b32_e32 v11, v5
	v_pk_mul_f32 v[4:5], v[6:7], v[2:3] op_sel:[0,1]
	s_delay_alu instid0(VALU_DEP_2) | instskip(NEXT) | instid1(VALU_DEP_2)
	v_pk_add_f32 v[144:145], v[144:145], v[10:11] neg_lo:[0,1] neg_hi:[0,1]
	v_pk_fma_f32 v[8:9], v[6:7], v[0:1], v[4:5] op_sel:[0,0,1] op_sel_hi:[1,1,0] neg_lo:[0,0,1] neg_hi:[0,0,1]
	v_pk_fma_f32 v[4:5], v[6:7], v[0:1], v[4:5] op_sel:[0,0,1] op_sel_hi:[1,0,0]
	s_delay_alu instid0(VALU_DEP_1) | instskip(SKIP_4) | instid1(VALU_DEP_1)
	v_mov_b32_e32 v9, v5
	ds_load_2addr_b64 v[4:7], v118 offset0:36 offset1:37
	v_pk_add_f32 v[140:141], v[140:141], v[8:9] neg_lo:[0,1] neg_hi:[0,1]
	s_wait_dscnt 0x0
	v_pk_mul_f32 v[8:9], v[4:5], v[2:3] op_sel:[0,1]
	v_pk_fma_f32 v[10:11], v[4:5], v[0:1], v[8:9] op_sel:[0,0,1] op_sel_hi:[1,1,0] neg_lo:[0,0,1] neg_hi:[0,0,1]
	v_pk_fma_f32 v[4:5], v[4:5], v[0:1], v[8:9] op_sel:[0,0,1] op_sel_hi:[1,0,0]
	v_dual_mul_f32 v8, v7, v3 :: v_dual_mov_b32 v4, v7
	s_delay_alu instid0(VALU_DEP_2) | instskip(NEXT) | instid1(VALU_DEP_2)
	v_dual_mov_b32 v11, v5 :: v_dual_mov_b32 v5, v6
	v_pk_fma_f32 v[8:9], v[6:7], v[58:59], v[8:9] op_sel_hi:[1,1,0] neg_lo:[0,0,1] neg_hi:[0,0,1]
	v_mul_f32_e32 v6, v7, v0
	s_delay_alu instid0(VALU_DEP_3) | instskip(NEXT) | instid1(VALU_DEP_2)
	v_pk_add_f32 v[162:163], v[162:163], v[10:11] neg_lo:[0,1] neg_hi:[0,1]
	v_pk_fma_f32 v[4:5], v[4:5], v[58:59], v[6:7] op_sel_hi:[1,1,0]
	s_delay_alu instid0(VALU_DEP_1) | instskip(SKIP_4) | instid1(VALU_DEP_1)
	v_mov_b32_e32 v9, v5
	ds_load_2addr_b64 v[4:7], v118 offset0:38 offset1:39
	v_pk_add_f32 v[158:159], v[158:159], v[8:9] neg_lo:[0,1] neg_hi:[0,1]
	s_wait_dscnt 0x0
	v_pk_mul_f32 v[8:9], v[4:5], v[2:3] op_sel:[0,1]
	v_pk_fma_f32 v[10:11], v[4:5], v[0:1], v[8:9] op_sel:[0,0,1] op_sel_hi:[1,1,0] neg_lo:[0,0,1] neg_hi:[0,0,1]
	v_pk_fma_f32 v[4:5], v[4:5], v[0:1], v[8:9] op_sel:[0,0,1] op_sel_hi:[1,0,0]
	s_delay_alu instid0(VALU_DEP_1) | instskip(SKIP_1) | instid1(VALU_DEP_1)
	v_mov_b32_e32 v11, v5
	v_pk_mul_f32 v[4:5], v[6:7], v[2:3] op_sel:[0,1]
	v_pk_fma_f32 v[8:9], v[6:7], v[0:1], v[4:5] op_sel:[0,0,1] op_sel_hi:[1,1,0] neg_lo:[0,0,1] neg_hi:[0,0,1]
	v_pk_fma_f32 v[4:5], v[6:7], v[0:1], v[4:5] op_sel:[0,0,1] op_sel_hi:[1,0,0]
	s_delay_alu instid0(VALU_DEP_1)
	v_mov_b32_e32 v9, v5
	ds_load_2addr_b64 v[4:7], v118 offset0:40 offset1:41
	v_pk_add_f32 v[160:161], v[160:161], v[10:11] neg_lo:[0,1] neg_hi:[0,1]
	v_pk_add_f32 v[156:157], v[156:157], v[8:9] neg_lo:[0,1] neg_hi:[0,1]
	s_wait_dscnt 0x0
	v_pk_mul_f32 v[8:9], v[4:5], v[2:3] op_sel:[0,1]
	s_delay_alu instid0(VALU_DEP_1) | instskip(SKIP_1) | instid1(VALU_DEP_1)
	v_pk_fma_f32 v[10:11], v[4:5], v[0:1], v[8:9] op_sel:[0,0,1] op_sel_hi:[1,1,0] neg_lo:[0,0,1] neg_hi:[0,0,1]
	v_pk_fma_f32 v[4:5], v[4:5], v[0:1], v[8:9] op_sel:[0,0,1] op_sel_hi:[1,0,0]
	v_mov_b32_e32 v11, v5
	v_pk_mul_f32 v[4:5], v[6:7], v[2:3] op_sel:[0,1]
	s_delay_alu instid0(VALU_DEP_1) | instskip(SKIP_1) | instid1(VALU_DEP_1)
	v_pk_fma_f32 v[8:9], v[6:7], v[0:1], v[4:5] op_sel:[0,0,1] op_sel_hi:[1,1,0] neg_lo:[0,0,1] neg_hi:[0,0,1]
	v_pk_fma_f32 v[4:5], v[6:7], v[0:1], v[4:5] op_sel:[0,0,1] op_sel_hi:[1,0,0]
	v_mov_b32_e32 v9, v5
	ds_load_2addr_b64 v[4:7], v118 offset0:42 offset1:43
	v_pk_add_f32 v[182:183], v[182:183], v[10:11] neg_lo:[0,1] neg_hi:[0,1]
	v_pk_add_f32 v[178:179], v[178:179], v[8:9] neg_lo:[0,1] neg_hi:[0,1]
	s_wait_dscnt 0x0
	v_dual_mul_f32 v8, v5, v3 :: v_dual_mul_f32 v10, v5, v0
	s_delay_alu instid0(VALU_DEP_1) | instskip(NEXT) | instid1(VALU_DEP_2)
	v_pk_fma_f32 v[8:9], v[4:5], v[58:59], v[8:9] op_sel_hi:[1,1,0] neg_lo:[0,0,1] neg_hi:[0,0,1]
	v_pk_fma_f32 v[4:5], v[4:5], v[58:59], v[10:11] op_sel:[1,0,0] op_sel_hi:[0,1,0]
	s_delay_alu instid0(VALU_DEP_1) | instskip(SKIP_1) | instid1(VALU_DEP_2)
	v_mov_b32_e32 v9, v5
	v_pk_mul_f32 v[4:5], v[6:7], v[2:3] op_sel:[0,1]
	v_pk_add_f32 v[180:181], v[180:181], v[8:9] neg_lo:[0,1] neg_hi:[0,1]
	s_delay_alu instid0(VALU_DEP_2) | instskip(SKIP_1) | instid1(VALU_DEP_1)
	v_pk_fma_f32 v[8:9], v[6:7], v[0:1], v[4:5] op_sel:[0,0,1] op_sel_hi:[1,1,0] neg_lo:[0,0,1] neg_hi:[0,0,1]
	v_pk_fma_f32 v[4:5], v[6:7], v[0:1], v[4:5] op_sel:[0,0,1] op_sel_hi:[1,0,0]
	v_mov_b32_e32 v9, v5
	ds_load_2addr_b64 v[4:7], v118 offset0:44 offset1:45
	v_pk_add_f32 v[176:177], v[176:177], v[8:9] neg_lo:[0,1] neg_hi:[0,1]
	s_wait_dscnt 0x0
	v_pk_mul_f32 v[8:9], v[4:5], v[2:3] op_sel:[0,1]
	s_delay_alu instid0(VALU_DEP_1) | instskip(SKIP_1) | instid1(VALU_DEP_1)
	v_pk_fma_f32 v[10:11], v[4:5], v[0:1], v[8:9] op_sel:[0,0,1] op_sel_hi:[1,1,0] neg_lo:[0,0,1] neg_hi:[0,0,1]
	v_pk_fma_f32 v[4:5], v[4:5], v[0:1], v[8:9] op_sel:[0,0,1] op_sel_hi:[1,0,0]
	v_mov_b32_e32 v11, v5
	v_pk_mul_f32 v[4:5], v[6:7], v[2:3] op_sel:[0,1]
	s_delay_alu instid0(VALU_DEP_2) | instskip(NEXT) | instid1(VALU_DEP_2)
	v_pk_add_f32 v[204:205], v[204:205], v[10:11] neg_lo:[0,1] neg_hi:[0,1]
	v_pk_fma_f32 v[8:9], v[6:7], v[0:1], v[4:5] op_sel:[0,0,1] op_sel_hi:[1,1,0] neg_lo:[0,0,1] neg_hi:[0,0,1]
	v_pk_fma_f32 v[4:5], v[6:7], v[0:1], v[4:5] op_sel:[0,0,1] op_sel_hi:[1,0,0]
	s_delay_alu instid0(VALU_DEP_1) | instskip(SKIP_4) | instid1(VALU_DEP_1)
	v_mov_b32_e32 v9, v5
	ds_load_2addr_b64 v[4:7], v118 offset0:46 offset1:47
	v_pk_add_f32 v[198:199], v[198:199], v[8:9] neg_lo:[0,1] neg_hi:[0,1]
	s_wait_dscnt 0x0
	v_pk_mul_f32 v[8:9], v[4:5], v[2:3] op_sel:[0,1]
	v_pk_fma_f32 v[10:11], v[4:5], v[0:1], v[8:9] op_sel:[0,0,1] op_sel_hi:[1,1,0] neg_lo:[0,0,1] neg_hi:[0,0,1]
	v_pk_fma_f32 v[4:5], v[4:5], v[0:1], v[8:9] op_sel:[0,0,1] op_sel_hi:[1,0,0]
	v_dual_mul_f32 v8, v7, v3 :: v_dual_mov_b32 v4, v7
	s_delay_alu instid0(VALU_DEP_2) | instskip(NEXT) | instid1(VALU_DEP_2)
	v_dual_mov_b32 v11, v5 :: v_dual_mov_b32 v5, v6
	v_pk_fma_f32 v[8:9], v[6:7], v[58:59], v[8:9] op_sel_hi:[1,1,0] neg_lo:[0,0,1] neg_hi:[0,0,1]
	v_mul_f32_e32 v6, v7, v0
	s_delay_alu instid0(VALU_DEP_3) | instskip(NEXT) | instid1(VALU_DEP_2)
	v_pk_add_f32 v[202:203], v[202:203], v[10:11] neg_lo:[0,1] neg_hi:[0,1]
	v_pk_fma_f32 v[4:5], v[4:5], v[58:59], v[6:7] op_sel_hi:[1,1,0]
	s_delay_alu instid0(VALU_DEP_1) | instskip(SKIP_4) | instid1(VALU_DEP_1)
	v_mov_b32_e32 v9, v5
	ds_load_2addr_b64 v[4:7], v118 offset0:48 offset1:49
	v_pk_add_f32 v[196:197], v[196:197], v[8:9] neg_lo:[0,1] neg_hi:[0,1]
	s_wait_dscnt 0x0
	v_pk_mul_f32 v[8:9], v[4:5], v[2:3] op_sel:[0,1]
	v_pk_fma_f32 v[10:11], v[4:5], v[0:1], v[8:9] op_sel:[0,0,1] op_sel_hi:[1,1,0] neg_lo:[0,0,1] neg_hi:[0,0,1]
	v_pk_fma_f32 v[4:5], v[4:5], v[0:1], v[8:9] op_sel:[0,0,1] op_sel_hi:[1,0,0]
	s_delay_alu instid0(VALU_DEP_1) | instskip(SKIP_1) | instid1(VALU_DEP_1)
	v_mov_b32_e32 v11, v5
	v_pk_mul_f32 v[4:5], v[6:7], v[2:3] op_sel:[0,1]
	v_pk_fma_f32 v[8:9], v[6:7], v[0:1], v[4:5] op_sel:[0,0,1] op_sel_hi:[1,1,0] neg_lo:[0,0,1] neg_hi:[0,0,1]
	v_pk_fma_f32 v[4:5], v[6:7], v[0:1], v[4:5] op_sel:[0,0,1] op_sel_hi:[1,0,0]
	s_delay_alu instid0(VALU_DEP_1)
	v_mov_b32_e32 v9, v5
	ds_load_2addr_b64 v[4:7], v118 offset0:50 offset1:51
	v_pk_add_f32 v[200:201], v[200:201], v[10:11] neg_lo:[0,1] neg_hi:[0,1]
	v_pk_add_f32 v[194:195], v[194:195], v[8:9] neg_lo:[0,1] neg_hi:[0,1]
	s_wait_dscnt 0x0
	v_pk_mul_f32 v[8:9], v[4:5], v[2:3] op_sel:[0,1]
	v_pk_mul_f32 v[2:3], v[6:7], v[2:3] op_sel:[0,1]
	s_delay_alu instid0(VALU_DEP_2) | instskip(SKIP_1) | instid1(VALU_DEP_1)
	v_pk_fma_f32 v[10:11], v[4:5], v[0:1], v[8:9] op_sel:[0,0,1] op_sel_hi:[1,1,0] neg_lo:[0,0,1] neg_hi:[0,0,1]
	v_pk_fma_f32 v[4:5], v[4:5], v[0:1], v[8:9] op_sel:[0,0,1] op_sel_hi:[1,0,0]
	v_mov_b32_e32 v11, v5
	s_delay_alu instid0(VALU_DEP_4) | instskip(SKIP_1) | instid1(VALU_DEP_1)
	v_pk_fma_f32 v[4:5], v[6:7], v[0:1], v[2:3] op_sel:[0,0,1] op_sel_hi:[1,1,0] neg_lo:[0,0,1] neg_hi:[0,0,1]
	v_pk_fma_f32 v[0:1], v[6:7], v[0:1], v[2:3] op_sel:[0,0,1] op_sel_hi:[1,0,0]
	v_mov_b32_e32 v5, v1
	s_delay_alu instid0(VALU_DEP_4) | instskip(NEXT) | instid1(VALU_DEP_2)
	v_pk_add_f32 v[206:207], v[206:207], v[10:11] neg_lo:[0,1] neg_hi:[0,1]
	v_pk_add_f32 v[208:209], v[208:209], v[4:5] neg_lo:[0,1] neg_hi:[0,1]
.LBB103_127:
	s_wait_xcnt 0x0
	s_or_b32 exec_lo, exec_lo, s1
	s_delay_alu instid0(SALU_CYCLE_1)
	s_mov_b32 s2, exec_lo
	s_wait_storecnt 0x0
	s_barrier_signal -1
	s_barrier_wait -1
	v_cmpx_eq_u32_e32 14, v116
	s_cbranch_execz .LBB103_134
; %bb.128:
	ds_store_b64 v117, v[60:61]
	ds_store_2addr_b64 v118, v[56:57], v[78:79] offset0:15 offset1:16
	ds_store_2addr_b64 v118, v[74:75], v[76:77] offset0:17 offset1:18
	;; [unrolled: 1-line block ×18, first 2 shown]
	ds_store_b64 v118, v[208:209] offset:408
	ds_load_b64 v[0:1], v117
	s_wait_dscnt 0x0
	v_cmp_neq_f32_e32 vcc_lo, 0, v0
	v_cmp_neq_f32_e64 s1, 0, v1
	s_or_b32 s1, vcc_lo, s1
	s_delay_alu instid0(SALU_CYCLE_1)
	s_and_b32 exec_lo, exec_lo, s1
	s_cbranch_execz .LBB103_134
; %bb.129:
	v_cmp_ngt_f32_e64 s1, |v0|, |v1|
                                        ; implicit-def: $vgpr2_vgpr3
	s_and_saveexec_b32 s4, s1
	s_delay_alu instid0(SALU_CYCLE_1)
	s_xor_b32 s1, exec_lo, s4
	s_cbranch_execz .LBB103_131
; %bb.130:
	v_div_scale_f32 v2, null, v1, v1, v0
	v_div_scale_f32 v5, vcc_lo, v0, v1, v0
	s_delay_alu instid0(VALU_DEP_2) | instskip(SKIP_1) | instid1(TRANS32_DEP_1)
	v_rcp_f32_e32 v3, v2
	v_nop
	v_fma_f32 v4, -v2, v3, 1.0
	s_delay_alu instid0(VALU_DEP_1) | instskip(NEXT) | instid1(VALU_DEP_1)
	v_fmac_f32_e32 v3, v4, v3
	v_mul_f32_e32 v4, v5, v3
	s_delay_alu instid0(VALU_DEP_1) | instskip(NEXT) | instid1(VALU_DEP_1)
	v_fma_f32 v6, -v2, v4, v5
	v_fmac_f32_e32 v4, v6, v3
	s_delay_alu instid0(VALU_DEP_1) | instskip(NEXT) | instid1(VALU_DEP_1)
	v_fma_f32 v2, -v2, v4, v5
	v_div_fmas_f32 v2, v2, v3, v4
	s_delay_alu instid0(VALU_DEP_1) | instskip(NEXT) | instid1(VALU_DEP_1)
	v_div_fixup_f32 v2, v2, v1, v0
	v_fmac_f32_e32 v1, v0, v2
	s_delay_alu instid0(VALU_DEP_1) | instskip(SKIP_1) | instid1(VALU_DEP_2)
	v_div_scale_f32 v0, null, v1, v1, 1.0
	v_div_scale_f32 v5, vcc_lo, 1.0, v1, 1.0
	v_rcp_f32_e32 v3, v0
	v_nop
	s_delay_alu instid0(TRANS32_DEP_1) | instskip(NEXT) | instid1(VALU_DEP_1)
	v_fma_f32 v4, -v0, v3, 1.0
	v_fmac_f32_e32 v3, v4, v3
	s_delay_alu instid0(VALU_DEP_1) | instskip(NEXT) | instid1(VALU_DEP_1)
	v_mul_f32_e32 v4, v5, v3
	v_fma_f32 v6, -v0, v4, v5
	s_delay_alu instid0(VALU_DEP_1) | instskip(NEXT) | instid1(VALU_DEP_1)
	v_fmac_f32_e32 v4, v6, v3
	v_fma_f32 v0, -v0, v4, v5
	s_delay_alu instid0(VALU_DEP_1) | instskip(NEXT) | instid1(VALU_DEP_1)
	v_div_fmas_f32 v0, v0, v3, v4
	v_div_fixup_f32 v0, v0, v1, 1.0
	s_delay_alu instid0(VALU_DEP_1)
	v_mul_f32_e32 v2, v2, v0
	v_xor_b32_e32 v3, 0x80000000, v0
                                        ; implicit-def: $vgpr0_vgpr1
.LBB103_131:
	s_and_not1_saveexec_b32 s1, s1
	s_cbranch_execz .LBB103_133
; %bb.132:
	v_div_scale_f32 v2, null, v0, v0, v1
	v_div_scale_f32 v5, vcc_lo, v1, v0, v1
	s_delay_alu instid0(VALU_DEP_2) | instskip(SKIP_1) | instid1(TRANS32_DEP_1)
	v_rcp_f32_e32 v3, v2
	v_nop
	v_fma_f32 v4, -v2, v3, 1.0
	s_delay_alu instid0(VALU_DEP_1) | instskip(NEXT) | instid1(VALU_DEP_1)
	v_fmac_f32_e32 v3, v4, v3
	v_mul_f32_e32 v4, v5, v3
	s_delay_alu instid0(VALU_DEP_1) | instskip(NEXT) | instid1(VALU_DEP_1)
	v_fma_f32 v6, -v2, v4, v5
	v_fmac_f32_e32 v4, v6, v3
	s_delay_alu instid0(VALU_DEP_1) | instskip(NEXT) | instid1(VALU_DEP_1)
	v_fma_f32 v2, -v2, v4, v5
	v_div_fmas_f32 v2, v2, v3, v4
	s_delay_alu instid0(VALU_DEP_1) | instskip(NEXT) | instid1(VALU_DEP_1)
	v_div_fixup_f32 v3, v2, v0, v1
	v_fmac_f32_e32 v0, v1, v3
	s_delay_alu instid0(VALU_DEP_1) | instskip(NEXT) | instid1(VALU_DEP_1)
	v_div_scale_f32 v1, null, v0, v0, 1.0
	v_rcp_f32_e32 v2, v1
	v_nop
	s_delay_alu instid0(TRANS32_DEP_1) | instskip(NEXT) | instid1(VALU_DEP_1)
	v_fma_f32 v4, -v1, v2, 1.0
	v_fmac_f32_e32 v2, v4, v2
	v_div_scale_f32 v4, vcc_lo, 1.0, v0, 1.0
	s_delay_alu instid0(VALU_DEP_1) | instskip(NEXT) | instid1(VALU_DEP_1)
	v_mul_f32_e32 v5, v4, v2
	v_fma_f32 v6, -v1, v5, v4
	s_delay_alu instid0(VALU_DEP_1) | instskip(NEXT) | instid1(VALU_DEP_1)
	v_fmac_f32_e32 v5, v6, v2
	v_fma_f32 v1, -v1, v5, v4
	s_delay_alu instid0(VALU_DEP_1) | instskip(NEXT) | instid1(VALU_DEP_1)
	v_div_fmas_f32 v1, v1, v2, v5
	v_div_fixup_f32 v2, v1, v0, 1.0
	s_delay_alu instid0(VALU_DEP_1)
	v_mul_f32_e64 v3, v3, -v2
.LBB103_133:
	s_or_b32 exec_lo, exec_lo, s1
	ds_store_b64 v117, v[2:3]
.LBB103_134:
	s_or_b32 exec_lo, exec_lo, s2
	s_wait_dscnt 0x0
	s_barrier_signal -1
	s_barrier_wait -1
	ds_load_b64 v[0:1], v117
	s_mov_b32 s1, exec_lo
	s_wait_dscnt 0x0
	scratch_store_b64 off, v[0:1], off offset:200 ; 8-byte Folded Spill
	s_wait_xcnt 0x0
	v_cmpx_lt_u32_e32 14, v116
	s_cbranch_execz .LBB103_136
; %bb.135:
	scratch_load_b64 v[4:5], off, off offset:200 ; 8-byte Folded Reload
	s_wait_loadcnt 0x0
	v_pk_mul_f32 v[2:3], v[4:5], v[60:61] op_sel:[1,1] op_sel_hi:[0,1]
	s_delay_alu instid0(VALU_DEP_1)
	v_pk_fma_f32 v[0:1], v[4:5], v[60:61], v[2:3] op_sel_hi:[1,0,1] neg_lo:[0,0,1] neg_hi:[0,0,1]
	v_pk_fma_f32 v[2:3], v[4:5], v[60:61], v[2:3] op_sel_hi:[1,0,1]
	ds_load_2addr_b64 v[4:7], v118 offset0:15 offset1:16
	v_dual_mov_b32 v60, v0 :: v_dual_mov_b32 v61, v3
	s_wait_dscnt 0x0
	v_pk_mul_f32 v[8:9], v[4:5], v[2:3] op_sel:[0,1]
	s_delay_alu instid0(VALU_DEP_1) | instskip(SKIP_1) | instid1(VALU_DEP_1)
	v_pk_fma_f32 v[10:11], v[4:5], v[0:1], v[8:9] op_sel:[0,0,1] op_sel_hi:[1,1,0] neg_lo:[0,0,1] neg_hi:[0,0,1]
	v_pk_fma_f32 v[4:5], v[4:5], v[0:1], v[8:9] op_sel:[0,0,1] op_sel_hi:[1,0,0]
	v_mov_b32_e32 v11, v5
	v_pk_mul_f32 v[4:5], v[6:7], v[2:3] op_sel:[0,1]
	s_delay_alu instid0(VALU_DEP_1) | instskip(SKIP_1) | instid1(VALU_DEP_1)
	v_pk_fma_f32 v[8:9], v[6:7], v[0:1], v[4:5] op_sel:[0,0,1] op_sel_hi:[1,1,0] neg_lo:[0,0,1] neg_hi:[0,0,1]
	v_pk_fma_f32 v[4:5], v[6:7], v[0:1], v[4:5] op_sel:[0,0,1] op_sel_hi:[1,0,0]
	v_mov_b32_e32 v9, v5
	ds_load_2addr_b64 v[4:7], v118 offset0:17 offset1:18
	v_pk_add_f32 v[56:57], v[56:57], v[10:11] neg_lo:[0,1] neg_hi:[0,1]
	v_pk_add_f32 v[78:79], v[78:79], v[8:9] neg_lo:[0,1] neg_hi:[0,1]
	s_wait_dscnt 0x0
	v_pk_mul_f32 v[8:9], v[4:5], v[2:3] op_sel:[0,1]
	s_delay_alu instid0(VALU_DEP_1) | instskip(SKIP_2) | instid1(VALU_DEP_2)
	v_pk_fma_f32 v[10:11], v[4:5], v[0:1], v[8:9] op_sel:[0,0,1] op_sel_hi:[1,1,0] neg_lo:[0,0,1] neg_hi:[0,0,1]
	v_pk_fma_f32 v[4:5], v[4:5], v[0:1], v[8:9] op_sel:[0,0,1] op_sel_hi:[1,0,0]
	v_dual_mul_f32 v8, v7, v3 :: v_dual_mov_b32 v4, v7
	v_dual_mov_b32 v11, v5 :: v_dual_mov_b32 v5, v6
	s_delay_alu instid0(VALU_DEP_2) | instskip(SKIP_1) | instid1(VALU_DEP_3)
	v_pk_fma_f32 v[8:9], v[6:7], v[60:61], v[8:9] op_sel_hi:[1,1,0] neg_lo:[0,0,1] neg_hi:[0,0,1]
	v_mul_f32_e32 v6, v7, v0
	v_pk_add_f32 v[74:75], v[74:75], v[10:11] neg_lo:[0,1] neg_hi:[0,1]
	s_delay_alu instid0(VALU_DEP_2) | instskip(NEXT) | instid1(VALU_DEP_1)
	v_pk_fma_f32 v[4:5], v[4:5], v[60:61], v[6:7] op_sel_hi:[1,1,0]
	v_mov_b32_e32 v9, v5
	ds_load_2addr_b64 v[4:7], v118 offset0:19 offset1:20
	v_pk_add_f32 v[76:77], v[76:77], v[8:9] neg_lo:[0,1] neg_hi:[0,1]
	s_wait_dscnt 0x0
	v_pk_mul_f32 v[8:9], v[4:5], v[2:3] op_sel:[0,1]
	s_delay_alu instid0(VALU_DEP_1) | instskip(SKIP_1) | instid1(VALU_DEP_1)
	v_pk_fma_f32 v[10:11], v[4:5], v[0:1], v[8:9] op_sel:[0,0,1] op_sel_hi:[1,1,0] neg_lo:[0,0,1] neg_hi:[0,0,1]
	v_pk_fma_f32 v[4:5], v[4:5], v[0:1], v[8:9] op_sel:[0,0,1] op_sel_hi:[1,0,0]
	v_mov_b32_e32 v11, v5
	v_pk_mul_f32 v[4:5], v[6:7], v[2:3] op_sel:[0,1]
	s_delay_alu instid0(VALU_DEP_1) | instskip(SKIP_1) | instid1(VALU_DEP_1)
	v_pk_fma_f32 v[8:9], v[6:7], v[0:1], v[4:5] op_sel:[0,0,1] op_sel_hi:[1,1,0] neg_lo:[0,0,1] neg_hi:[0,0,1]
	v_pk_fma_f32 v[4:5], v[6:7], v[0:1], v[4:5] op_sel:[0,0,1] op_sel_hi:[1,0,0]
	v_mov_b32_e32 v9, v5
	ds_load_2addr_b64 v[4:7], v118 offset0:21 offset1:22
	v_pk_add_f32 v[72:73], v[72:73], v[10:11] neg_lo:[0,1] neg_hi:[0,1]
	v_pk_add_f32 v[94:95], v[94:95], v[8:9] neg_lo:[0,1] neg_hi:[0,1]
	s_wait_dscnt 0x0
	v_pk_mul_f32 v[8:9], v[4:5], v[2:3] op_sel:[0,1]
	s_delay_alu instid0(VALU_DEP_1) | instskip(SKIP_1) | instid1(VALU_DEP_1)
	v_pk_fma_f32 v[10:11], v[4:5], v[0:1], v[8:9] op_sel:[0,0,1] op_sel_hi:[1,1,0] neg_lo:[0,0,1] neg_hi:[0,0,1]
	v_pk_fma_f32 v[4:5], v[4:5], v[0:1], v[8:9] op_sel:[0,0,1] op_sel_hi:[1,0,0]
	v_mov_b32_e32 v11, v5
	v_pk_mul_f32 v[4:5], v[6:7], v[2:3] op_sel:[0,1]
	s_delay_alu instid0(VALU_DEP_1) | instskip(SKIP_1) | instid1(VALU_DEP_1)
	v_pk_fma_f32 v[8:9], v[6:7], v[0:1], v[4:5] op_sel:[0,0,1] op_sel_hi:[1,1,0] neg_lo:[0,0,1] neg_hi:[0,0,1]
	v_pk_fma_f32 v[4:5], v[6:7], v[0:1], v[4:5] op_sel:[0,0,1] op_sel_hi:[1,0,0]
	v_mov_b32_e32 v9, v5
	ds_load_2addr_b64 v[4:7], v118 offset0:23 offset1:24
	v_pk_add_f32 v[90:91], v[90:91], v[10:11] neg_lo:[0,1] neg_hi:[0,1]
	v_pk_add_f32 v[92:93], v[92:93], v[8:9] neg_lo:[0,1] neg_hi:[0,1]
	s_wait_dscnt 0x0
	v_dual_mul_f32 v8, v5, v3 :: v_dual_mul_f32 v10, v5, v0
	s_delay_alu instid0(VALU_DEP_1) | instskip(NEXT) | instid1(VALU_DEP_2)
	v_pk_fma_f32 v[8:9], v[4:5], v[60:61], v[8:9] op_sel_hi:[1,1,0] neg_lo:[0,0,1] neg_hi:[0,0,1]
	v_pk_fma_f32 v[4:5], v[4:5], v[60:61], v[10:11] op_sel:[1,0,0] op_sel_hi:[0,1,0]
	s_delay_alu instid0(VALU_DEP_1) | instskip(SKIP_1) | instid1(VALU_DEP_2)
	v_mov_b32_e32 v9, v5
	v_pk_mul_f32 v[4:5], v[6:7], v[2:3] op_sel:[0,1]
	v_pk_add_f32 v[88:89], v[88:89], v[8:9] neg_lo:[0,1] neg_hi:[0,1]
	s_delay_alu instid0(VALU_DEP_2) | instskip(SKIP_1) | instid1(VALU_DEP_1)
	v_pk_fma_f32 v[8:9], v[6:7], v[0:1], v[4:5] op_sel:[0,0,1] op_sel_hi:[1,1,0] neg_lo:[0,0,1] neg_hi:[0,0,1]
	v_pk_fma_f32 v[4:5], v[6:7], v[0:1], v[4:5] op_sel:[0,0,1] op_sel_hi:[1,0,0]
	v_mov_b32_e32 v9, v5
	ds_load_2addr_b64 v[4:7], v118 offset0:25 offset1:26
	v_pk_add_f32 v[112:113], v[112:113], v[8:9] neg_lo:[0,1] neg_hi:[0,1]
	s_wait_dscnt 0x0
	v_pk_mul_f32 v[8:9], v[4:5], v[2:3] op_sel:[0,1]
	s_delay_alu instid0(VALU_DEP_1) | instskip(SKIP_1) | instid1(VALU_DEP_1)
	v_pk_fma_f32 v[10:11], v[4:5], v[0:1], v[8:9] op_sel:[0,0,1] op_sel_hi:[1,1,0] neg_lo:[0,0,1] neg_hi:[0,0,1]
	v_pk_fma_f32 v[4:5], v[4:5], v[0:1], v[8:9] op_sel:[0,0,1] op_sel_hi:[1,0,0]
	v_mov_b32_e32 v11, v5
	v_pk_mul_f32 v[4:5], v[6:7], v[2:3] op_sel:[0,1]
	s_delay_alu instid0(VALU_DEP_2) | instskip(NEXT) | instid1(VALU_DEP_2)
	v_pk_add_f32 v[108:109], v[108:109], v[10:11] neg_lo:[0,1] neg_hi:[0,1]
	v_pk_fma_f32 v[8:9], v[6:7], v[0:1], v[4:5] op_sel:[0,0,1] op_sel_hi:[1,1,0] neg_lo:[0,0,1] neg_hi:[0,0,1]
	v_pk_fma_f32 v[4:5], v[6:7], v[0:1], v[4:5] op_sel:[0,0,1] op_sel_hi:[1,0,0]
	s_delay_alu instid0(VALU_DEP_1) | instskip(SKIP_4) | instid1(VALU_DEP_1)
	v_mov_b32_e32 v9, v5
	ds_load_2addr_b64 v[4:7], v118 offset0:27 offset1:28
	v_pk_add_f32 v[110:111], v[110:111], v[8:9] neg_lo:[0,1] neg_hi:[0,1]
	s_wait_dscnt 0x0
	v_pk_mul_f32 v[8:9], v[4:5], v[2:3] op_sel:[0,1]
	v_pk_fma_f32 v[10:11], v[4:5], v[0:1], v[8:9] op_sel:[0,0,1] op_sel_hi:[1,1,0] neg_lo:[0,0,1] neg_hi:[0,0,1]
	v_pk_fma_f32 v[4:5], v[4:5], v[0:1], v[8:9] op_sel:[0,0,1] op_sel_hi:[1,0,0]
	v_dual_mul_f32 v8, v7, v3 :: v_dual_mov_b32 v4, v7
	s_delay_alu instid0(VALU_DEP_2) | instskip(NEXT) | instid1(VALU_DEP_2)
	v_dual_mov_b32 v11, v5 :: v_dual_mov_b32 v5, v6
	v_pk_fma_f32 v[8:9], v[6:7], v[60:61], v[8:9] op_sel_hi:[1,1,0] neg_lo:[0,0,1] neg_hi:[0,0,1]
	v_mul_f32_e32 v6, v7, v0
	s_delay_alu instid0(VALU_DEP_3) | instskip(NEXT) | instid1(VALU_DEP_2)
	v_pk_add_f32 v[106:107], v[106:107], v[10:11] neg_lo:[0,1] neg_hi:[0,1]
	v_pk_fma_f32 v[4:5], v[4:5], v[60:61], v[6:7] op_sel_hi:[1,1,0]
	s_delay_alu instid0(VALU_DEP_1) | instskip(SKIP_4) | instid1(VALU_DEP_1)
	v_mov_b32_e32 v9, v5
	ds_load_2addr_b64 v[4:7], v118 offset0:29 offset1:30
	v_pk_add_f32 v[128:129], v[128:129], v[8:9] neg_lo:[0,1] neg_hi:[0,1]
	s_wait_dscnt 0x0
	v_pk_mul_f32 v[8:9], v[4:5], v[2:3] op_sel:[0,1]
	v_pk_fma_f32 v[10:11], v[4:5], v[0:1], v[8:9] op_sel:[0,0,1] op_sel_hi:[1,1,0] neg_lo:[0,0,1] neg_hi:[0,0,1]
	v_pk_fma_f32 v[4:5], v[4:5], v[0:1], v[8:9] op_sel:[0,0,1] op_sel_hi:[1,0,0]
	s_delay_alu instid0(VALU_DEP_1) | instskip(SKIP_1) | instid1(VALU_DEP_1)
	v_mov_b32_e32 v11, v5
	v_pk_mul_f32 v[4:5], v[6:7], v[2:3] op_sel:[0,1]
	v_pk_fma_f32 v[8:9], v[6:7], v[0:1], v[4:5] op_sel:[0,0,1] op_sel_hi:[1,1,0] neg_lo:[0,0,1] neg_hi:[0,0,1]
	v_pk_fma_f32 v[4:5], v[6:7], v[0:1], v[4:5] op_sel:[0,0,1] op_sel_hi:[1,0,0]
	s_delay_alu instid0(VALU_DEP_1)
	v_mov_b32_e32 v9, v5
	ds_load_2addr_b64 v[4:7], v118 offset0:31 offset1:32
	v_pk_add_f32 v[124:125], v[124:125], v[10:11] neg_lo:[0,1] neg_hi:[0,1]
	v_pk_add_f32 v[126:127], v[126:127], v[8:9] neg_lo:[0,1] neg_hi:[0,1]
	s_wait_dscnt 0x0
	v_pk_mul_f32 v[8:9], v[4:5], v[2:3] op_sel:[0,1]
	s_delay_alu instid0(VALU_DEP_1) | instskip(SKIP_1) | instid1(VALU_DEP_1)
	v_pk_fma_f32 v[10:11], v[4:5], v[0:1], v[8:9] op_sel:[0,0,1] op_sel_hi:[1,1,0] neg_lo:[0,0,1] neg_hi:[0,0,1]
	v_pk_fma_f32 v[4:5], v[4:5], v[0:1], v[8:9] op_sel:[0,0,1] op_sel_hi:[1,0,0]
	v_mov_b32_e32 v11, v5
	v_pk_mul_f32 v[4:5], v[6:7], v[2:3] op_sel:[0,1]
	s_delay_alu instid0(VALU_DEP_1) | instskip(SKIP_1) | instid1(VALU_DEP_1)
	v_pk_fma_f32 v[8:9], v[6:7], v[0:1], v[4:5] op_sel:[0,0,1] op_sel_hi:[1,1,0] neg_lo:[0,0,1] neg_hi:[0,0,1]
	v_pk_fma_f32 v[4:5], v[6:7], v[0:1], v[4:5] op_sel:[0,0,1] op_sel_hi:[1,0,0]
	v_mov_b32_e32 v9, v5
	ds_load_2addr_b64 v[4:7], v118 offset0:33 offset1:34
	v_pk_add_f32 v[122:123], v[122:123], v[10:11] neg_lo:[0,1] neg_hi:[0,1]
	v_pk_add_f32 v[146:147], v[146:147], v[8:9] neg_lo:[0,1] neg_hi:[0,1]
	s_wait_dscnt 0x0
	v_dual_mul_f32 v8, v5, v3 :: v_dual_mul_f32 v10, v5, v0
	s_delay_alu instid0(VALU_DEP_1) | instskip(NEXT) | instid1(VALU_DEP_2)
	v_pk_fma_f32 v[8:9], v[4:5], v[60:61], v[8:9] op_sel_hi:[1,1,0] neg_lo:[0,0,1] neg_hi:[0,0,1]
	v_pk_fma_f32 v[4:5], v[4:5], v[60:61], v[10:11] op_sel:[1,0,0] op_sel_hi:[0,1,0]
	s_delay_alu instid0(VALU_DEP_1) | instskip(SKIP_1) | instid1(VALU_DEP_2)
	v_mov_b32_e32 v9, v5
	v_pk_mul_f32 v[4:5], v[6:7], v[2:3] op_sel:[0,1]
	v_pk_add_f32 v[142:143], v[142:143], v[8:9] neg_lo:[0,1] neg_hi:[0,1]
	s_delay_alu instid0(VALU_DEP_2) | instskip(SKIP_1) | instid1(VALU_DEP_1)
	v_pk_fma_f32 v[8:9], v[6:7], v[0:1], v[4:5] op_sel:[0,0,1] op_sel_hi:[1,1,0] neg_lo:[0,0,1] neg_hi:[0,0,1]
	v_pk_fma_f32 v[4:5], v[6:7], v[0:1], v[4:5] op_sel:[0,0,1] op_sel_hi:[1,0,0]
	v_mov_b32_e32 v9, v5
	ds_load_2addr_b64 v[4:7], v118 offset0:35 offset1:36
	v_pk_add_f32 v[144:145], v[144:145], v[8:9] neg_lo:[0,1] neg_hi:[0,1]
	s_wait_dscnt 0x0
	v_pk_mul_f32 v[8:9], v[4:5], v[2:3] op_sel:[0,1]
	s_delay_alu instid0(VALU_DEP_1) | instskip(SKIP_1) | instid1(VALU_DEP_1)
	v_pk_fma_f32 v[10:11], v[4:5], v[0:1], v[8:9] op_sel:[0,0,1] op_sel_hi:[1,1,0] neg_lo:[0,0,1] neg_hi:[0,0,1]
	v_pk_fma_f32 v[4:5], v[4:5], v[0:1], v[8:9] op_sel:[0,0,1] op_sel_hi:[1,0,0]
	v_mov_b32_e32 v11, v5
	v_pk_mul_f32 v[4:5], v[6:7], v[2:3] op_sel:[0,1]
	s_delay_alu instid0(VALU_DEP_2) | instskip(NEXT) | instid1(VALU_DEP_2)
	v_pk_add_f32 v[140:141], v[140:141], v[10:11] neg_lo:[0,1] neg_hi:[0,1]
	v_pk_fma_f32 v[8:9], v[6:7], v[0:1], v[4:5] op_sel:[0,0,1] op_sel_hi:[1,1,0] neg_lo:[0,0,1] neg_hi:[0,0,1]
	v_pk_fma_f32 v[4:5], v[6:7], v[0:1], v[4:5] op_sel:[0,0,1] op_sel_hi:[1,0,0]
	s_delay_alu instid0(VALU_DEP_1) | instskip(SKIP_4) | instid1(VALU_DEP_1)
	v_mov_b32_e32 v9, v5
	ds_load_2addr_b64 v[4:7], v118 offset0:37 offset1:38
	v_pk_add_f32 v[162:163], v[162:163], v[8:9] neg_lo:[0,1] neg_hi:[0,1]
	s_wait_dscnt 0x0
	v_pk_mul_f32 v[8:9], v[4:5], v[2:3] op_sel:[0,1]
	v_pk_fma_f32 v[10:11], v[4:5], v[0:1], v[8:9] op_sel:[0,0,1] op_sel_hi:[1,1,0] neg_lo:[0,0,1] neg_hi:[0,0,1]
	v_pk_fma_f32 v[4:5], v[4:5], v[0:1], v[8:9] op_sel:[0,0,1] op_sel_hi:[1,0,0]
	v_dual_mul_f32 v8, v7, v3 :: v_dual_mov_b32 v4, v7
	s_delay_alu instid0(VALU_DEP_2) | instskip(NEXT) | instid1(VALU_DEP_2)
	v_dual_mov_b32 v11, v5 :: v_dual_mov_b32 v5, v6
	v_pk_fma_f32 v[8:9], v[6:7], v[60:61], v[8:9] op_sel_hi:[1,1,0] neg_lo:[0,0,1] neg_hi:[0,0,1]
	v_mul_f32_e32 v6, v7, v0
	s_delay_alu instid0(VALU_DEP_3) | instskip(NEXT) | instid1(VALU_DEP_2)
	v_pk_add_f32 v[158:159], v[158:159], v[10:11] neg_lo:[0,1] neg_hi:[0,1]
	v_pk_fma_f32 v[4:5], v[4:5], v[60:61], v[6:7] op_sel_hi:[1,1,0]
	s_delay_alu instid0(VALU_DEP_1) | instskip(SKIP_4) | instid1(VALU_DEP_1)
	v_mov_b32_e32 v9, v5
	ds_load_2addr_b64 v[4:7], v118 offset0:39 offset1:40
	v_pk_add_f32 v[160:161], v[160:161], v[8:9] neg_lo:[0,1] neg_hi:[0,1]
	s_wait_dscnt 0x0
	v_pk_mul_f32 v[8:9], v[4:5], v[2:3] op_sel:[0,1]
	v_pk_fma_f32 v[10:11], v[4:5], v[0:1], v[8:9] op_sel:[0,0,1] op_sel_hi:[1,1,0] neg_lo:[0,0,1] neg_hi:[0,0,1]
	v_pk_fma_f32 v[4:5], v[4:5], v[0:1], v[8:9] op_sel:[0,0,1] op_sel_hi:[1,0,0]
	s_delay_alu instid0(VALU_DEP_1) | instskip(SKIP_1) | instid1(VALU_DEP_1)
	v_mov_b32_e32 v11, v5
	v_pk_mul_f32 v[4:5], v[6:7], v[2:3] op_sel:[0,1]
	v_pk_fma_f32 v[8:9], v[6:7], v[0:1], v[4:5] op_sel:[0,0,1] op_sel_hi:[1,1,0] neg_lo:[0,0,1] neg_hi:[0,0,1]
	v_pk_fma_f32 v[4:5], v[6:7], v[0:1], v[4:5] op_sel:[0,0,1] op_sel_hi:[1,0,0]
	s_delay_alu instid0(VALU_DEP_1)
	v_mov_b32_e32 v9, v5
	ds_load_2addr_b64 v[4:7], v118 offset0:41 offset1:42
	v_pk_add_f32 v[156:157], v[156:157], v[10:11] neg_lo:[0,1] neg_hi:[0,1]
	v_pk_add_f32 v[182:183], v[182:183], v[8:9] neg_lo:[0,1] neg_hi:[0,1]
	s_wait_dscnt 0x0
	v_pk_mul_f32 v[8:9], v[4:5], v[2:3] op_sel:[0,1]
	s_delay_alu instid0(VALU_DEP_1) | instskip(SKIP_1) | instid1(VALU_DEP_1)
	v_pk_fma_f32 v[10:11], v[4:5], v[0:1], v[8:9] op_sel:[0,0,1] op_sel_hi:[1,1,0] neg_lo:[0,0,1] neg_hi:[0,0,1]
	v_pk_fma_f32 v[4:5], v[4:5], v[0:1], v[8:9] op_sel:[0,0,1] op_sel_hi:[1,0,0]
	v_mov_b32_e32 v11, v5
	v_pk_mul_f32 v[4:5], v[6:7], v[2:3] op_sel:[0,1]
	s_delay_alu instid0(VALU_DEP_1) | instskip(SKIP_1) | instid1(VALU_DEP_1)
	v_pk_fma_f32 v[8:9], v[6:7], v[0:1], v[4:5] op_sel:[0,0,1] op_sel_hi:[1,1,0] neg_lo:[0,0,1] neg_hi:[0,0,1]
	v_pk_fma_f32 v[4:5], v[6:7], v[0:1], v[4:5] op_sel:[0,0,1] op_sel_hi:[1,0,0]
	v_mov_b32_e32 v9, v5
	ds_load_2addr_b64 v[4:7], v118 offset0:43 offset1:44
	v_pk_add_f32 v[178:179], v[178:179], v[10:11] neg_lo:[0,1] neg_hi:[0,1]
	v_pk_add_f32 v[180:181], v[180:181], v[8:9] neg_lo:[0,1] neg_hi:[0,1]
	s_wait_dscnt 0x0
	v_dual_mul_f32 v8, v5, v3 :: v_dual_mul_f32 v10, v5, v0
	s_delay_alu instid0(VALU_DEP_1) | instskip(NEXT) | instid1(VALU_DEP_2)
	v_pk_fma_f32 v[8:9], v[4:5], v[60:61], v[8:9] op_sel_hi:[1,1,0] neg_lo:[0,0,1] neg_hi:[0,0,1]
	v_pk_fma_f32 v[4:5], v[4:5], v[60:61], v[10:11] op_sel:[1,0,0] op_sel_hi:[0,1,0]
	s_delay_alu instid0(VALU_DEP_1) | instskip(SKIP_1) | instid1(VALU_DEP_2)
	v_mov_b32_e32 v9, v5
	v_pk_mul_f32 v[4:5], v[6:7], v[2:3] op_sel:[0,1]
	v_pk_add_f32 v[176:177], v[176:177], v[8:9] neg_lo:[0,1] neg_hi:[0,1]
	s_delay_alu instid0(VALU_DEP_2) | instskip(SKIP_1) | instid1(VALU_DEP_1)
	v_pk_fma_f32 v[8:9], v[6:7], v[0:1], v[4:5] op_sel:[0,0,1] op_sel_hi:[1,1,0] neg_lo:[0,0,1] neg_hi:[0,0,1]
	v_pk_fma_f32 v[4:5], v[6:7], v[0:1], v[4:5] op_sel:[0,0,1] op_sel_hi:[1,0,0]
	v_mov_b32_e32 v9, v5
	ds_load_2addr_b64 v[4:7], v118 offset0:45 offset1:46
	v_pk_add_f32 v[204:205], v[204:205], v[8:9] neg_lo:[0,1] neg_hi:[0,1]
	s_wait_dscnt 0x0
	v_pk_mul_f32 v[8:9], v[4:5], v[2:3] op_sel:[0,1]
	s_delay_alu instid0(VALU_DEP_1) | instskip(SKIP_1) | instid1(VALU_DEP_1)
	v_pk_fma_f32 v[10:11], v[4:5], v[0:1], v[8:9] op_sel:[0,0,1] op_sel_hi:[1,1,0] neg_lo:[0,0,1] neg_hi:[0,0,1]
	v_pk_fma_f32 v[4:5], v[4:5], v[0:1], v[8:9] op_sel:[0,0,1] op_sel_hi:[1,0,0]
	v_mov_b32_e32 v11, v5
	v_pk_mul_f32 v[4:5], v[6:7], v[2:3] op_sel:[0,1]
	s_delay_alu instid0(VALU_DEP_2) | instskip(NEXT) | instid1(VALU_DEP_2)
	v_pk_add_f32 v[198:199], v[198:199], v[10:11] neg_lo:[0,1] neg_hi:[0,1]
	v_pk_fma_f32 v[8:9], v[6:7], v[0:1], v[4:5] op_sel:[0,0,1] op_sel_hi:[1,1,0] neg_lo:[0,0,1] neg_hi:[0,0,1]
	v_pk_fma_f32 v[4:5], v[6:7], v[0:1], v[4:5] op_sel:[0,0,1] op_sel_hi:[1,0,0]
	s_delay_alu instid0(VALU_DEP_1) | instskip(SKIP_4) | instid1(VALU_DEP_1)
	v_mov_b32_e32 v9, v5
	ds_load_2addr_b64 v[4:7], v118 offset0:47 offset1:48
	v_pk_add_f32 v[202:203], v[202:203], v[8:9] neg_lo:[0,1] neg_hi:[0,1]
	s_wait_dscnt 0x0
	v_pk_mul_f32 v[8:9], v[4:5], v[2:3] op_sel:[0,1]
	v_pk_fma_f32 v[10:11], v[4:5], v[0:1], v[8:9] op_sel:[0,0,1] op_sel_hi:[1,1,0] neg_lo:[0,0,1] neg_hi:[0,0,1]
	v_pk_fma_f32 v[4:5], v[4:5], v[0:1], v[8:9] op_sel:[0,0,1] op_sel_hi:[1,0,0]
	v_dual_mul_f32 v8, v7, v3 :: v_dual_mov_b32 v4, v7
	s_delay_alu instid0(VALU_DEP_2) | instskip(NEXT) | instid1(VALU_DEP_2)
	v_dual_mov_b32 v11, v5 :: v_dual_mov_b32 v5, v6
	v_pk_fma_f32 v[8:9], v[6:7], v[60:61], v[8:9] op_sel_hi:[1,1,0] neg_lo:[0,0,1] neg_hi:[0,0,1]
	v_mul_f32_e32 v6, v7, v0
	s_delay_alu instid0(VALU_DEP_3) | instskip(NEXT) | instid1(VALU_DEP_2)
	v_pk_add_f32 v[196:197], v[196:197], v[10:11] neg_lo:[0,1] neg_hi:[0,1]
	v_pk_fma_f32 v[4:5], v[4:5], v[60:61], v[6:7] op_sel_hi:[1,1,0]
	s_delay_alu instid0(VALU_DEP_1) | instskip(SKIP_4) | instid1(VALU_DEP_1)
	v_mov_b32_e32 v9, v5
	ds_load_2addr_b64 v[4:7], v118 offset0:49 offset1:50
	v_pk_add_f32 v[200:201], v[200:201], v[8:9] neg_lo:[0,1] neg_hi:[0,1]
	s_wait_dscnt 0x0
	v_pk_mul_f32 v[8:9], v[4:5], v[2:3] op_sel:[0,1]
	v_pk_fma_f32 v[10:11], v[4:5], v[0:1], v[8:9] op_sel:[0,0,1] op_sel_hi:[1,1,0] neg_lo:[0,0,1] neg_hi:[0,0,1]
	v_pk_fma_f32 v[4:5], v[4:5], v[0:1], v[8:9] op_sel:[0,0,1] op_sel_hi:[1,0,0]
	s_delay_alu instid0(VALU_DEP_1) | instskip(SKIP_1) | instid1(VALU_DEP_1)
	v_mov_b32_e32 v11, v5
	v_pk_mul_f32 v[4:5], v[6:7], v[2:3] op_sel:[0,1]
	v_pk_fma_f32 v[8:9], v[6:7], v[0:1], v[4:5] op_sel:[0,0,1] op_sel_hi:[1,1,0] neg_lo:[0,0,1] neg_hi:[0,0,1]
	v_pk_fma_f32 v[4:5], v[6:7], v[0:1], v[4:5] op_sel:[0,0,1] op_sel_hi:[1,0,0]
	s_delay_alu instid0(VALU_DEP_1)
	v_mov_b32_e32 v9, v5
	ds_load_b64 v[4:5], v118 offset:408
	v_pk_add_f32 v[194:195], v[194:195], v[10:11] neg_lo:[0,1] neg_hi:[0,1]
	v_pk_add_f32 v[206:207], v[206:207], v[8:9] neg_lo:[0,1] neg_hi:[0,1]
	s_wait_dscnt 0x0
	v_pk_mul_f32 v[2:3], v[4:5], v[2:3] op_sel:[0,1]
	s_delay_alu instid0(VALU_DEP_1) | instskip(SKIP_1) | instid1(VALU_DEP_1)
	v_pk_fma_f32 v[6:7], v[4:5], v[0:1], v[2:3] op_sel:[0,0,1] op_sel_hi:[1,1,0] neg_lo:[0,0,1] neg_hi:[0,0,1]
	v_pk_fma_f32 v[0:1], v[4:5], v[0:1], v[2:3] op_sel:[0,0,1] op_sel_hi:[1,0,0]
	v_mov_b32_e32 v7, v1
	s_delay_alu instid0(VALU_DEP_1)
	v_pk_add_f32 v[208:209], v[208:209], v[6:7] neg_lo:[0,1] neg_hi:[0,1]
.LBB103_136:
	s_wait_xcnt 0x0
	s_or_b32 exec_lo, exec_lo, s1
	s_delay_alu instid0(SALU_CYCLE_1)
	s_mov_b32 s2, exec_lo
	s_wait_storecnt 0x0
	s_barrier_signal -1
	s_barrier_wait -1
	v_cmpx_eq_u32_e32 15, v116
	s_cbranch_execz .LBB103_143
; %bb.137:
	v_dual_mov_b32 v0, v78 :: v_dual_mov_b32 v1, v79
	v_dual_mov_b32 v2, v74 :: v_dual_mov_b32 v3, v75
	ds_store_b64 v117, v[56:57]
	ds_store_2addr_b64 v118, v[0:1], v[2:3] offset0:16 offset1:17
	v_dual_mov_b32 v0, v76 :: v_dual_mov_b32 v1, v77
	v_dual_mov_b32 v2, v72 :: v_dual_mov_b32 v3, v73
	ds_store_2addr_b64 v118, v[0:1], v[2:3] offset0:18 offset1:19
	v_dual_mov_b32 v0, v94 :: v_dual_mov_b32 v1, v95
	v_dual_mov_b32 v2, v90 :: v_dual_mov_b32 v3, v91
	;; [unrolled: 3-line block ×16, first 2 shown]
	ds_store_2addr_b64 v118, v[0:1], v[2:3] offset0:48 offset1:49
	v_dual_mov_b32 v0, v206 :: v_dual_mov_b32 v1, v207
	ds_store_2addr_b64 v118, v[0:1], v[208:209] offset0:50 offset1:51
	ds_load_b64 v[0:1], v117
	s_wait_dscnt 0x0
	v_cmp_neq_f32_e32 vcc_lo, 0, v0
	v_cmp_neq_f32_e64 s1, 0, v1
	s_or_b32 s1, vcc_lo, s1
	s_delay_alu instid0(SALU_CYCLE_1)
	s_and_b32 exec_lo, exec_lo, s1
	s_cbranch_execz .LBB103_143
; %bb.138:
	v_cmp_ngt_f32_e64 s1, |v0|, |v1|
                                        ; implicit-def: $vgpr2_vgpr3
	s_and_saveexec_b32 s4, s1
	s_delay_alu instid0(SALU_CYCLE_1)
	s_xor_b32 s1, exec_lo, s4
	s_cbranch_execz .LBB103_140
; %bb.139:
	v_div_scale_f32 v2, null, v1, v1, v0
	v_div_scale_f32 v5, vcc_lo, v0, v1, v0
	s_delay_alu instid0(VALU_DEP_2) | instskip(SKIP_1) | instid1(TRANS32_DEP_1)
	v_rcp_f32_e32 v3, v2
	v_nop
	v_fma_f32 v4, -v2, v3, 1.0
	s_delay_alu instid0(VALU_DEP_1) | instskip(NEXT) | instid1(VALU_DEP_1)
	v_fmac_f32_e32 v3, v4, v3
	v_mul_f32_e32 v4, v5, v3
	s_delay_alu instid0(VALU_DEP_1) | instskip(NEXT) | instid1(VALU_DEP_1)
	v_fma_f32 v6, -v2, v4, v5
	v_fmac_f32_e32 v4, v6, v3
	s_delay_alu instid0(VALU_DEP_1) | instskip(NEXT) | instid1(VALU_DEP_1)
	v_fma_f32 v2, -v2, v4, v5
	v_div_fmas_f32 v2, v2, v3, v4
	s_delay_alu instid0(VALU_DEP_1) | instskip(NEXT) | instid1(VALU_DEP_1)
	v_div_fixup_f32 v2, v2, v1, v0
	v_fmac_f32_e32 v1, v0, v2
	s_delay_alu instid0(VALU_DEP_1) | instskip(SKIP_1) | instid1(VALU_DEP_2)
	v_div_scale_f32 v0, null, v1, v1, 1.0
	v_div_scale_f32 v5, vcc_lo, 1.0, v1, 1.0
	v_rcp_f32_e32 v3, v0
	v_nop
	s_delay_alu instid0(TRANS32_DEP_1) | instskip(NEXT) | instid1(VALU_DEP_1)
	v_fma_f32 v4, -v0, v3, 1.0
	v_fmac_f32_e32 v3, v4, v3
	s_delay_alu instid0(VALU_DEP_1) | instskip(NEXT) | instid1(VALU_DEP_1)
	v_mul_f32_e32 v4, v5, v3
	v_fma_f32 v6, -v0, v4, v5
	s_delay_alu instid0(VALU_DEP_1) | instskip(NEXT) | instid1(VALU_DEP_1)
	v_fmac_f32_e32 v4, v6, v3
	v_fma_f32 v0, -v0, v4, v5
	s_delay_alu instid0(VALU_DEP_1) | instskip(NEXT) | instid1(VALU_DEP_1)
	v_div_fmas_f32 v0, v0, v3, v4
	v_div_fixup_f32 v0, v0, v1, 1.0
	s_delay_alu instid0(VALU_DEP_1)
	v_mul_f32_e32 v2, v2, v0
	v_xor_b32_e32 v3, 0x80000000, v0
                                        ; implicit-def: $vgpr0_vgpr1
.LBB103_140:
	s_and_not1_saveexec_b32 s1, s1
	s_cbranch_execz .LBB103_142
; %bb.141:
	v_div_scale_f32 v2, null, v0, v0, v1
	v_div_scale_f32 v5, vcc_lo, v1, v0, v1
	s_delay_alu instid0(VALU_DEP_2) | instskip(SKIP_1) | instid1(TRANS32_DEP_1)
	v_rcp_f32_e32 v3, v2
	v_nop
	v_fma_f32 v4, -v2, v3, 1.0
	s_delay_alu instid0(VALU_DEP_1) | instskip(NEXT) | instid1(VALU_DEP_1)
	v_fmac_f32_e32 v3, v4, v3
	v_mul_f32_e32 v4, v5, v3
	s_delay_alu instid0(VALU_DEP_1) | instskip(NEXT) | instid1(VALU_DEP_1)
	v_fma_f32 v6, -v2, v4, v5
	v_fmac_f32_e32 v4, v6, v3
	s_delay_alu instid0(VALU_DEP_1) | instskip(NEXT) | instid1(VALU_DEP_1)
	v_fma_f32 v2, -v2, v4, v5
	v_div_fmas_f32 v2, v2, v3, v4
	s_delay_alu instid0(VALU_DEP_1) | instskip(NEXT) | instid1(VALU_DEP_1)
	v_div_fixup_f32 v3, v2, v0, v1
	v_fmac_f32_e32 v0, v1, v3
	s_delay_alu instid0(VALU_DEP_1) | instskip(NEXT) | instid1(VALU_DEP_1)
	v_div_scale_f32 v1, null, v0, v0, 1.0
	v_rcp_f32_e32 v2, v1
	v_nop
	s_delay_alu instid0(TRANS32_DEP_1) | instskip(NEXT) | instid1(VALU_DEP_1)
	v_fma_f32 v4, -v1, v2, 1.0
	v_fmac_f32_e32 v2, v4, v2
	v_div_scale_f32 v4, vcc_lo, 1.0, v0, 1.0
	s_delay_alu instid0(VALU_DEP_1) | instskip(NEXT) | instid1(VALU_DEP_1)
	v_mul_f32_e32 v5, v4, v2
	v_fma_f32 v6, -v1, v5, v4
	s_delay_alu instid0(VALU_DEP_1) | instskip(NEXT) | instid1(VALU_DEP_1)
	v_fmac_f32_e32 v5, v6, v2
	v_fma_f32 v1, -v1, v5, v4
	s_delay_alu instid0(VALU_DEP_1) | instskip(NEXT) | instid1(VALU_DEP_1)
	v_div_fmas_f32 v1, v1, v2, v5
	v_div_fixup_f32 v2, v1, v0, 1.0
	s_delay_alu instid0(VALU_DEP_1)
	v_mul_f32_e64 v3, v3, -v2
.LBB103_142:
	s_or_b32 exec_lo, exec_lo, s1
	ds_store_b64 v117, v[2:3]
.LBB103_143:
	s_or_b32 exec_lo, exec_lo, s2
	s_wait_dscnt 0x0
	s_barrier_signal -1
	s_barrier_wait -1
	ds_load_b64 v[0:1], v117
	s_mov_b32 s1, exec_lo
	s_wait_dscnt 0x0
	scratch_store_b64 off, v[0:1], off offset:208 ; 8-byte Folded Spill
	s_wait_xcnt 0x0
	v_cmpx_lt_u32_e32 15, v116
	s_cbranch_execz .LBB103_145
; %bb.144:
	scratch_load_b64 v[4:5], off, off offset:208 ; 8-byte Folded Reload
	s_wait_loadcnt 0x0
	v_pk_mul_f32 v[2:3], v[4:5], v[56:57] op_sel:[1,1] op_sel_hi:[0,1]
	s_delay_alu instid0(VALU_DEP_1)
	v_pk_fma_f32 v[0:1], v[4:5], v[56:57], v[2:3] op_sel_hi:[1,0,1] neg_lo:[0,0,1] neg_hi:[0,0,1]
	v_pk_fma_f32 v[2:3], v[4:5], v[56:57], v[2:3] op_sel_hi:[1,0,1]
	ds_load_2addr_b64 v[4:7], v118 offset0:16 offset1:17
	v_dual_mov_b32 v56, v0 :: v_dual_mov_b32 v57, v3
	s_wait_dscnt 0x0
	v_pk_mul_f32 v[8:9], v[4:5], v[2:3] op_sel:[0,1]
	s_delay_alu instid0(VALU_DEP_1) | instskip(SKIP_1) | instid1(VALU_DEP_1)
	v_pk_fma_f32 v[10:11], v[4:5], v[0:1], v[8:9] op_sel:[0,0,1] op_sel_hi:[1,1,0] neg_lo:[0,0,1] neg_hi:[0,0,1]
	v_pk_fma_f32 v[4:5], v[4:5], v[0:1], v[8:9] op_sel:[0,0,1] op_sel_hi:[1,0,0]
	v_mov_b32_e32 v11, v5
	v_pk_mul_f32 v[4:5], v[6:7], v[2:3] op_sel:[0,1]
	s_delay_alu instid0(VALU_DEP_1) | instskip(SKIP_1) | instid1(VALU_DEP_1)
	v_pk_fma_f32 v[8:9], v[6:7], v[0:1], v[4:5] op_sel:[0,0,1] op_sel_hi:[1,1,0] neg_lo:[0,0,1] neg_hi:[0,0,1]
	v_pk_fma_f32 v[4:5], v[6:7], v[0:1], v[4:5] op_sel:[0,0,1] op_sel_hi:[1,0,0]
	v_mov_b32_e32 v9, v5
	ds_load_2addr_b64 v[4:7], v118 offset0:18 offset1:19
	v_pk_add_f32 v[78:79], v[78:79], v[10:11] neg_lo:[0,1] neg_hi:[0,1]
	v_pk_add_f32 v[74:75], v[74:75], v[8:9] neg_lo:[0,1] neg_hi:[0,1]
	s_wait_dscnt 0x0
	v_pk_mul_f32 v[8:9], v[4:5], v[2:3] op_sel:[0,1]
	s_delay_alu instid0(VALU_DEP_1) | instskip(SKIP_2) | instid1(VALU_DEP_2)
	v_pk_fma_f32 v[10:11], v[4:5], v[0:1], v[8:9] op_sel:[0,0,1] op_sel_hi:[1,1,0] neg_lo:[0,0,1] neg_hi:[0,0,1]
	v_pk_fma_f32 v[4:5], v[4:5], v[0:1], v[8:9] op_sel:[0,0,1] op_sel_hi:[1,0,0]
	v_dual_mul_f32 v8, v7, v3 :: v_dual_mov_b32 v4, v7
	v_dual_mov_b32 v11, v5 :: v_dual_mov_b32 v5, v6
	s_delay_alu instid0(VALU_DEP_2) | instskip(SKIP_1) | instid1(VALU_DEP_3)
	v_pk_fma_f32 v[8:9], v[6:7], v[56:57], v[8:9] op_sel_hi:[1,1,0] neg_lo:[0,0,1] neg_hi:[0,0,1]
	v_mul_f32_e32 v6, v7, v0
	v_pk_add_f32 v[76:77], v[76:77], v[10:11] neg_lo:[0,1] neg_hi:[0,1]
	s_delay_alu instid0(VALU_DEP_2) | instskip(NEXT) | instid1(VALU_DEP_1)
	v_pk_fma_f32 v[4:5], v[4:5], v[56:57], v[6:7] op_sel_hi:[1,1,0]
	v_mov_b32_e32 v9, v5
	ds_load_2addr_b64 v[4:7], v118 offset0:20 offset1:21
	v_pk_add_f32 v[72:73], v[72:73], v[8:9] neg_lo:[0,1] neg_hi:[0,1]
	s_wait_dscnt 0x0
	v_pk_mul_f32 v[8:9], v[4:5], v[2:3] op_sel:[0,1]
	s_delay_alu instid0(VALU_DEP_1) | instskip(SKIP_1) | instid1(VALU_DEP_1)
	v_pk_fma_f32 v[10:11], v[4:5], v[0:1], v[8:9] op_sel:[0,0,1] op_sel_hi:[1,1,0] neg_lo:[0,0,1] neg_hi:[0,0,1]
	v_pk_fma_f32 v[4:5], v[4:5], v[0:1], v[8:9] op_sel:[0,0,1] op_sel_hi:[1,0,0]
	v_mov_b32_e32 v11, v5
	v_pk_mul_f32 v[4:5], v[6:7], v[2:3] op_sel:[0,1]
	s_delay_alu instid0(VALU_DEP_1) | instskip(SKIP_1) | instid1(VALU_DEP_1)
	v_pk_fma_f32 v[8:9], v[6:7], v[0:1], v[4:5] op_sel:[0,0,1] op_sel_hi:[1,1,0] neg_lo:[0,0,1] neg_hi:[0,0,1]
	v_pk_fma_f32 v[4:5], v[6:7], v[0:1], v[4:5] op_sel:[0,0,1] op_sel_hi:[1,0,0]
	v_mov_b32_e32 v9, v5
	ds_load_2addr_b64 v[4:7], v118 offset0:22 offset1:23
	v_pk_add_f32 v[94:95], v[94:95], v[10:11] neg_lo:[0,1] neg_hi:[0,1]
	v_pk_add_f32 v[90:91], v[90:91], v[8:9] neg_lo:[0,1] neg_hi:[0,1]
	s_wait_dscnt 0x0
	v_pk_mul_f32 v[8:9], v[4:5], v[2:3] op_sel:[0,1]
	s_delay_alu instid0(VALU_DEP_1) | instskip(SKIP_1) | instid1(VALU_DEP_1)
	v_pk_fma_f32 v[10:11], v[4:5], v[0:1], v[8:9] op_sel:[0,0,1] op_sel_hi:[1,1,0] neg_lo:[0,0,1] neg_hi:[0,0,1]
	v_pk_fma_f32 v[4:5], v[4:5], v[0:1], v[8:9] op_sel:[0,0,1] op_sel_hi:[1,0,0]
	v_mov_b32_e32 v11, v5
	v_pk_mul_f32 v[4:5], v[6:7], v[2:3] op_sel:[0,1]
	s_delay_alu instid0(VALU_DEP_1) | instskip(SKIP_1) | instid1(VALU_DEP_1)
	v_pk_fma_f32 v[8:9], v[6:7], v[0:1], v[4:5] op_sel:[0,0,1] op_sel_hi:[1,1,0] neg_lo:[0,0,1] neg_hi:[0,0,1]
	v_pk_fma_f32 v[4:5], v[6:7], v[0:1], v[4:5] op_sel:[0,0,1] op_sel_hi:[1,0,0]
	v_mov_b32_e32 v9, v5
	ds_load_2addr_b64 v[4:7], v118 offset0:24 offset1:25
	v_pk_add_f32 v[92:93], v[92:93], v[10:11] neg_lo:[0,1] neg_hi:[0,1]
	v_pk_add_f32 v[88:89], v[88:89], v[8:9] neg_lo:[0,1] neg_hi:[0,1]
	s_wait_dscnt 0x0
	v_dual_mul_f32 v8, v5, v3 :: v_dual_mul_f32 v10, v5, v0
	s_delay_alu instid0(VALU_DEP_1) | instskip(NEXT) | instid1(VALU_DEP_2)
	v_pk_fma_f32 v[8:9], v[4:5], v[56:57], v[8:9] op_sel_hi:[1,1,0] neg_lo:[0,0,1] neg_hi:[0,0,1]
	v_pk_fma_f32 v[4:5], v[4:5], v[56:57], v[10:11] op_sel:[1,0,0] op_sel_hi:[0,1,0]
	s_delay_alu instid0(VALU_DEP_1) | instskip(SKIP_1) | instid1(VALU_DEP_2)
	v_mov_b32_e32 v9, v5
	v_pk_mul_f32 v[4:5], v[6:7], v[2:3] op_sel:[0,1]
	v_pk_add_f32 v[112:113], v[112:113], v[8:9] neg_lo:[0,1] neg_hi:[0,1]
	s_delay_alu instid0(VALU_DEP_2) | instskip(SKIP_1) | instid1(VALU_DEP_1)
	v_pk_fma_f32 v[8:9], v[6:7], v[0:1], v[4:5] op_sel:[0,0,1] op_sel_hi:[1,1,0] neg_lo:[0,0,1] neg_hi:[0,0,1]
	v_pk_fma_f32 v[4:5], v[6:7], v[0:1], v[4:5] op_sel:[0,0,1] op_sel_hi:[1,0,0]
	v_mov_b32_e32 v9, v5
	ds_load_2addr_b64 v[4:7], v118 offset0:26 offset1:27
	v_pk_add_f32 v[108:109], v[108:109], v[8:9] neg_lo:[0,1] neg_hi:[0,1]
	s_wait_dscnt 0x0
	v_pk_mul_f32 v[8:9], v[4:5], v[2:3] op_sel:[0,1]
	s_delay_alu instid0(VALU_DEP_1) | instskip(SKIP_1) | instid1(VALU_DEP_1)
	v_pk_fma_f32 v[10:11], v[4:5], v[0:1], v[8:9] op_sel:[0,0,1] op_sel_hi:[1,1,0] neg_lo:[0,0,1] neg_hi:[0,0,1]
	v_pk_fma_f32 v[4:5], v[4:5], v[0:1], v[8:9] op_sel:[0,0,1] op_sel_hi:[1,0,0]
	v_mov_b32_e32 v11, v5
	v_pk_mul_f32 v[4:5], v[6:7], v[2:3] op_sel:[0,1]
	s_delay_alu instid0(VALU_DEP_2) | instskip(NEXT) | instid1(VALU_DEP_2)
	v_pk_add_f32 v[110:111], v[110:111], v[10:11] neg_lo:[0,1] neg_hi:[0,1]
	v_pk_fma_f32 v[8:9], v[6:7], v[0:1], v[4:5] op_sel:[0,0,1] op_sel_hi:[1,1,0] neg_lo:[0,0,1] neg_hi:[0,0,1]
	v_pk_fma_f32 v[4:5], v[6:7], v[0:1], v[4:5] op_sel:[0,0,1] op_sel_hi:[1,0,0]
	s_delay_alu instid0(VALU_DEP_1) | instskip(SKIP_4) | instid1(VALU_DEP_1)
	v_mov_b32_e32 v9, v5
	ds_load_2addr_b64 v[4:7], v118 offset0:28 offset1:29
	v_pk_add_f32 v[106:107], v[106:107], v[8:9] neg_lo:[0,1] neg_hi:[0,1]
	s_wait_dscnt 0x0
	v_pk_mul_f32 v[8:9], v[4:5], v[2:3] op_sel:[0,1]
	v_pk_fma_f32 v[10:11], v[4:5], v[0:1], v[8:9] op_sel:[0,0,1] op_sel_hi:[1,1,0] neg_lo:[0,0,1] neg_hi:[0,0,1]
	v_pk_fma_f32 v[4:5], v[4:5], v[0:1], v[8:9] op_sel:[0,0,1] op_sel_hi:[1,0,0]
	v_dual_mul_f32 v8, v7, v3 :: v_dual_mov_b32 v4, v7
	s_delay_alu instid0(VALU_DEP_2) | instskip(NEXT) | instid1(VALU_DEP_2)
	v_dual_mov_b32 v11, v5 :: v_dual_mov_b32 v5, v6
	v_pk_fma_f32 v[8:9], v[6:7], v[56:57], v[8:9] op_sel_hi:[1,1,0] neg_lo:[0,0,1] neg_hi:[0,0,1]
	v_mul_f32_e32 v6, v7, v0
	s_delay_alu instid0(VALU_DEP_3) | instskip(NEXT) | instid1(VALU_DEP_2)
	v_pk_add_f32 v[128:129], v[128:129], v[10:11] neg_lo:[0,1] neg_hi:[0,1]
	v_pk_fma_f32 v[4:5], v[4:5], v[56:57], v[6:7] op_sel_hi:[1,1,0]
	s_delay_alu instid0(VALU_DEP_1) | instskip(SKIP_4) | instid1(VALU_DEP_1)
	v_mov_b32_e32 v9, v5
	ds_load_2addr_b64 v[4:7], v118 offset0:30 offset1:31
	v_pk_add_f32 v[124:125], v[124:125], v[8:9] neg_lo:[0,1] neg_hi:[0,1]
	s_wait_dscnt 0x0
	v_pk_mul_f32 v[8:9], v[4:5], v[2:3] op_sel:[0,1]
	v_pk_fma_f32 v[10:11], v[4:5], v[0:1], v[8:9] op_sel:[0,0,1] op_sel_hi:[1,1,0] neg_lo:[0,0,1] neg_hi:[0,0,1]
	v_pk_fma_f32 v[4:5], v[4:5], v[0:1], v[8:9] op_sel:[0,0,1] op_sel_hi:[1,0,0]
	s_delay_alu instid0(VALU_DEP_1) | instskip(SKIP_1) | instid1(VALU_DEP_1)
	v_mov_b32_e32 v11, v5
	v_pk_mul_f32 v[4:5], v[6:7], v[2:3] op_sel:[0,1]
	v_pk_fma_f32 v[8:9], v[6:7], v[0:1], v[4:5] op_sel:[0,0,1] op_sel_hi:[1,1,0] neg_lo:[0,0,1] neg_hi:[0,0,1]
	v_pk_fma_f32 v[4:5], v[6:7], v[0:1], v[4:5] op_sel:[0,0,1] op_sel_hi:[1,0,0]
	s_delay_alu instid0(VALU_DEP_1)
	v_mov_b32_e32 v9, v5
	ds_load_2addr_b64 v[4:7], v118 offset0:32 offset1:33
	v_pk_add_f32 v[126:127], v[126:127], v[10:11] neg_lo:[0,1] neg_hi:[0,1]
	v_pk_add_f32 v[122:123], v[122:123], v[8:9] neg_lo:[0,1] neg_hi:[0,1]
	s_wait_dscnt 0x0
	v_pk_mul_f32 v[8:9], v[4:5], v[2:3] op_sel:[0,1]
	s_delay_alu instid0(VALU_DEP_1) | instskip(SKIP_1) | instid1(VALU_DEP_1)
	v_pk_fma_f32 v[10:11], v[4:5], v[0:1], v[8:9] op_sel:[0,0,1] op_sel_hi:[1,1,0] neg_lo:[0,0,1] neg_hi:[0,0,1]
	v_pk_fma_f32 v[4:5], v[4:5], v[0:1], v[8:9] op_sel:[0,0,1] op_sel_hi:[1,0,0]
	v_mov_b32_e32 v11, v5
	v_pk_mul_f32 v[4:5], v[6:7], v[2:3] op_sel:[0,1]
	s_delay_alu instid0(VALU_DEP_1) | instskip(SKIP_1) | instid1(VALU_DEP_1)
	v_pk_fma_f32 v[8:9], v[6:7], v[0:1], v[4:5] op_sel:[0,0,1] op_sel_hi:[1,1,0] neg_lo:[0,0,1] neg_hi:[0,0,1]
	v_pk_fma_f32 v[4:5], v[6:7], v[0:1], v[4:5] op_sel:[0,0,1] op_sel_hi:[1,0,0]
	v_mov_b32_e32 v9, v5
	ds_load_2addr_b64 v[4:7], v118 offset0:34 offset1:35
	v_pk_add_f32 v[146:147], v[146:147], v[10:11] neg_lo:[0,1] neg_hi:[0,1]
	v_pk_add_f32 v[142:143], v[142:143], v[8:9] neg_lo:[0,1] neg_hi:[0,1]
	s_wait_dscnt 0x0
	v_dual_mul_f32 v8, v5, v3 :: v_dual_mul_f32 v10, v5, v0
	s_delay_alu instid0(VALU_DEP_1) | instskip(NEXT) | instid1(VALU_DEP_2)
	v_pk_fma_f32 v[8:9], v[4:5], v[56:57], v[8:9] op_sel_hi:[1,1,0] neg_lo:[0,0,1] neg_hi:[0,0,1]
	v_pk_fma_f32 v[4:5], v[4:5], v[56:57], v[10:11] op_sel:[1,0,0] op_sel_hi:[0,1,0]
	s_delay_alu instid0(VALU_DEP_1) | instskip(SKIP_1) | instid1(VALU_DEP_2)
	v_mov_b32_e32 v9, v5
	v_pk_mul_f32 v[4:5], v[6:7], v[2:3] op_sel:[0,1]
	v_pk_add_f32 v[144:145], v[144:145], v[8:9] neg_lo:[0,1] neg_hi:[0,1]
	s_delay_alu instid0(VALU_DEP_2) | instskip(SKIP_1) | instid1(VALU_DEP_1)
	v_pk_fma_f32 v[8:9], v[6:7], v[0:1], v[4:5] op_sel:[0,0,1] op_sel_hi:[1,1,0] neg_lo:[0,0,1] neg_hi:[0,0,1]
	v_pk_fma_f32 v[4:5], v[6:7], v[0:1], v[4:5] op_sel:[0,0,1] op_sel_hi:[1,0,0]
	v_mov_b32_e32 v9, v5
	ds_load_2addr_b64 v[4:7], v118 offset0:36 offset1:37
	v_pk_add_f32 v[140:141], v[140:141], v[8:9] neg_lo:[0,1] neg_hi:[0,1]
	s_wait_dscnt 0x0
	v_pk_mul_f32 v[8:9], v[4:5], v[2:3] op_sel:[0,1]
	s_delay_alu instid0(VALU_DEP_1) | instskip(SKIP_1) | instid1(VALU_DEP_1)
	v_pk_fma_f32 v[10:11], v[4:5], v[0:1], v[8:9] op_sel:[0,0,1] op_sel_hi:[1,1,0] neg_lo:[0,0,1] neg_hi:[0,0,1]
	v_pk_fma_f32 v[4:5], v[4:5], v[0:1], v[8:9] op_sel:[0,0,1] op_sel_hi:[1,0,0]
	v_mov_b32_e32 v11, v5
	v_pk_mul_f32 v[4:5], v[6:7], v[2:3] op_sel:[0,1]
	s_delay_alu instid0(VALU_DEP_2) | instskip(NEXT) | instid1(VALU_DEP_2)
	v_pk_add_f32 v[162:163], v[162:163], v[10:11] neg_lo:[0,1] neg_hi:[0,1]
	v_pk_fma_f32 v[8:9], v[6:7], v[0:1], v[4:5] op_sel:[0,0,1] op_sel_hi:[1,1,0] neg_lo:[0,0,1] neg_hi:[0,0,1]
	v_pk_fma_f32 v[4:5], v[6:7], v[0:1], v[4:5] op_sel:[0,0,1] op_sel_hi:[1,0,0]
	s_delay_alu instid0(VALU_DEP_1) | instskip(SKIP_4) | instid1(VALU_DEP_1)
	v_mov_b32_e32 v9, v5
	ds_load_2addr_b64 v[4:7], v118 offset0:38 offset1:39
	v_pk_add_f32 v[158:159], v[158:159], v[8:9] neg_lo:[0,1] neg_hi:[0,1]
	s_wait_dscnt 0x0
	v_pk_mul_f32 v[8:9], v[4:5], v[2:3] op_sel:[0,1]
	v_pk_fma_f32 v[10:11], v[4:5], v[0:1], v[8:9] op_sel:[0,0,1] op_sel_hi:[1,1,0] neg_lo:[0,0,1] neg_hi:[0,0,1]
	v_pk_fma_f32 v[4:5], v[4:5], v[0:1], v[8:9] op_sel:[0,0,1] op_sel_hi:[1,0,0]
	v_dual_mul_f32 v8, v7, v3 :: v_dual_mov_b32 v4, v7
	s_delay_alu instid0(VALU_DEP_2) | instskip(NEXT) | instid1(VALU_DEP_2)
	v_dual_mov_b32 v11, v5 :: v_dual_mov_b32 v5, v6
	v_pk_fma_f32 v[8:9], v[6:7], v[56:57], v[8:9] op_sel_hi:[1,1,0] neg_lo:[0,0,1] neg_hi:[0,0,1]
	v_mul_f32_e32 v6, v7, v0
	s_delay_alu instid0(VALU_DEP_3) | instskip(NEXT) | instid1(VALU_DEP_2)
	v_pk_add_f32 v[160:161], v[160:161], v[10:11] neg_lo:[0,1] neg_hi:[0,1]
	v_pk_fma_f32 v[4:5], v[4:5], v[56:57], v[6:7] op_sel_hi:[1,1,0]
	s_delay_alu instid0(VALU_DEP_1) | instskip(SKIP_4) | instid1(VALU_DEP_1)
	v_mov_b32_e32 v9, v5
	ds_load_2addr_b64 v[4:7], v118 offset0:40 offset1:41
	v_pk_add_f32 v[156:157], v[156:157], v[8:9] neg_lo:[0,1] neg_hi:[0,1]
	s_wait_dscnt 0x0
	v_pk_mul_f32 v[8:9], v[4:5], v[2:3] op_sel:[0,1]
	v_pk_fma_f32 v[10:11], v[4:5], v[0:1], v[8:9] op_sel:[0,0,1] op_sel_hi:[1,1,0] neg_lo:[0,0,1] neg_hi:[0,0,1]
	v_pk_fma_f32 v[4:5], v[4:5], v[0:1], v[8:9] op_sel:[0,0,1] op_sel_hi:[1,0,0]
	s_delay_alu instid0(VALU_DEP_1) | instskip(SKIP_1) | instid1(VALU_DEP_1)
	v_mov_b32_e32 v11, v5
	v_pk_mul_f32 v[4:5], v[6:7], v[2:3] op_sel:[0,1]
	v_pk_fma_f32 v[8:9], v[6:7], v[0:1], v[4:5] op_sel:[0,0,1] op_sel_hi:[1,1,0] neg_lo:[0,0,1] neg_hi:[0,0,1]
	v_pk_fma_f32 v[4:5], v[6:7], v[0:1], v[4:5] op_sel:[0,0,1] op_sel_hi:[1,0,0]
	s_delay_alu instid0(VALU_DEP_1)
	v_mov_b32_e32 v9, v5
	ds_load_2addr_b64 v[4:7], v118 offset0:42 offset1:43
	v_pk_add_f32 v[182:183], v[182:183], v[10:11] neg_lo:[0,1] neg_hi:[0,1]
	v_pk_add_f32 v[178:179], v[178:179], v[8:9] neg_lo:[0,1] neg_hi:[0,1]
	s_wait_dscnt 0x0
	v_pk_mul_f32 v[8:9], v[4:5], v[2:3] op_sel:[0,1]
	s_delay_alu instid0(VALU_DEP_1) | instskip(SKIP_1) | instid1(VALU_DEP_1)
	v_pk_fma_f32 v[10:11], v[4:5], v[0:1], v[8:9] op_sel:[0,0,1] op_sel_hi:[1,1,0] neg_lo:[0,0,1] neg_hi:[0,0,1]
	v_pk_fma_f32 v[4:5], v[4:5], v[0:1], v[8:9] op_sel:[0,0,1] op_sel_hi:[1,0,0]
	v_mov_b32_e32 v11, v5
	v_pk_mul_f32 v[4:5], v[6:7], v[2:3] op_sel:[0,1]
	s_delay_alu instid0(VALU_DEP_1) | instskip(SKIP_1) | instid1(VALU_DEP_1)
	v_pk_fma_f32 v[8:9], v[6:7], v[0:1], v[4:5] op_sel:[0,0,1] op_sel_hi:[1,1,0] neg_lo:[0,0,1] neg_hi:[0,0,1]
	v_pk_fma_f32 v[4:5], v[6:7], v[0:1], v[4:5] op_sel:[0,0,1] op_sel_hi:[1,0,0]
	v_mov_b32_e32 v9, v5
	ds_load_2addr_b64 v[4:7], v118 offset0:44 offset1:45
	v_pk_add_f32 v[180:181], v[180:181], v[10:11] neg_lo:[0,1] neg_hi:[0,1]
	v_pk_add_f32 v[176:177], v[176:177], v[8:9] neg_lo:[0,1] neg_hi:[0,1]
	s_wait_dscnt 0x0
	v_dual_mul_f32 v8, v5, v3 :: v_dual_mul_f32 v10, v5, v0
	s_delay_alu instid0(VALU_DEP_1) | instskip(NEXT) | instid1(VALU_DEP_2)
	v_pk_fma_f32 v[8:9], v[4:5], v[56:57], v[8:9] op_sel_hi:[1,1,0] neg_lo:[0,0,1] neg_hi:[0,0,1]
	v_pk_fma_f32 v[4:5], v[4:5], v[56:57], v[10:11] op_sel:[1,0,0] op_sel_hi:[0,1,0]
	s_delay_alu instid0(VALU_DEP_1) | instskip(SKIP_1) | instid1(VALU_DEP_2)
	v_mov_b32_e32 v9, v5
	v_pk_mul_f32 v[4:5], v[6:7], v[2:3] op_sel:[0,1]
	v_pk_add_f32 v[204:205], v[204:205], v[8:9] neg_lo:[0,1] neg_hi:[0,1]
	s_delay_alu instid0(VALU_DEP_2) | instskip(SKIP_1) | instid1(VALU_DEP_1)
	v_pk_fma_f32 v[8:9], v[6:7], v[0:1], v[4:5] op_sel:[0,0,1] op_sel_hi:[1,1,0] neg_lo:[0,0,1] neg_hi:[0,0,1]
	v_pk_fma_f32 v[4:5], v[6:7], v[0:1], v[4:5] op_sel:[0,0,1] op_sel_hi:[1,0,0]
	v_mov_b32_e32 v9, v5
	ds_load_2addr_b64 v[4:7], v118 offset0:46 offset1:47
	v_pk_add_f32 v[198:199], v[198:199], v[8:9] neg_lo:[0,1] neg_hi:[0,1]
	s_wait_dscnt 0x0
	v_pk_mul_f32 v[8:9], v[4:5], v[2:3] op_sel:[0,1]
	s_delay_alu instid0(VALU_DEP_1) | instskip(SKIP_1) | instid1(VALU_DEP_1)
	v_pk_fma_f32 v[10:11], v[4:5], v[0:1], v[8:9] op_sel:[0,0,1] op_sel_hi:[1,1,0] neg_lo:[0,0,1] neg_hi:[0,0,1]
	v_pk_fma_f32 v[4:5], v[4:5], v[0:1], v[8:9] op_sel:[0,0,1] op_sel_hi:[1,0,0]
	v_mov_b32_e32 v11, v5
	v_pk_mul_f32 v[4:5], v[6:7], v[2:3] op_sel:[0,1]
	s_delay_alu instid0(VALU_DEP_2) | instskip(NEXT) | instid1(VALU_DEP_2)
	v_pk_add_f32 v[202:203], v[202:203], v[10:11] neg_lo:[0,1] neg_hi:[0,1]
	v_pk_fma_f32 v[8:9], v[6:7], v[0:1], v[4:5] op_sel:[0,0,1] op_sel_hi:[1,1,0] neg_lo:[0,0,1] neg_hi:[0,0,1]
	v_pk_fma_f32 v[4:5], v[6:7], v[0:1], v[4:5] op_sel:[0,0,1] op_sel_hi:[1,0,0]
	s_delay_alu instid0(VALU_DEP_1) | instskip(SKIP_4) | instid1(VALU_DEP_1)
	v_mov_b32_e32 v9, v5
	ds_load_2addr_b64 v[4:7], v118 offset0:48 offset1:49
	v_pk_add_f32 v[196:197], v[196:197], v[8:9] neg_lo:[0,1] neg_hi:[0,1]
	s_wait_dscnt 0x0
	v_pk_mul_f32 v[8:9], v[4:5], v[2:3] op_sel:[0,1]
	v_pk_fma_f32 v[10:11], v[4:5], v[0:1], v[8:9] op_sel:[0,0,1] op_sel_hi:[1,1,0] neg_lo:[0,0,1] neg_hi:[0,0,1]
	v_pk_fma_f32 v[4:5], v[4:5], v[0:1], v[8:9] op_sel:[0,0,1] op_sel_hi:[1,0,0]
	v_dual_mul_f32 v8, v7, v3 :: v_dual_mov_b32 v4, v7
	s_delay_alu instid0(VALU_DEP_2) | instskip(NEXT) | instid1(VALU_DEP_2)
	v_dual_mov_b32 v11, v5 :: v_dual_mov_b32 v5, v6
	v_pk_fma_f32 v[8:9], v[6:7], v[56:57], v[8:9] op_sel_hi:[1,1,0] neg_lo:[0,0,1] neg_hi:[0,0,1]
	v_mul_f32_e32 v6, v7, v0
	s_delay_alu instid0(VALU_DEP_3) | instskip(NEXT) | instid1(VALU_DEP_2)
	v_pk_add_f32 v[200:201], v[200:201], v[10:11] neg_lo:[0,1] neg_hi:[0,1]
	v_pk_fma_f32 v[4:5], v[4:5], v[56:57], v[6:7] op_sel_hi:[1,1,0]
	s_delay_alu instid0(VALU_DEP_1)
	v_mov_b32_e32 v9, v5
	ds_load_2addr_b64 v[4:7], v118 offset0:50 offset1:51
	v_pk_add_f32 v[194:195], v[194:195], v[8:9] neg_lo:[0,1] neg_hi:[0,1]
	s_wait_dscnt 0x0
	v_pk_mul_f32 v[8:9], v[4:5], v[2:3] op_sel:[0,1]
	v_mul_f32_e32 v2, v7, v3
	s_delay_alu instid0(VALU_DEP_2) | instskip(SKIP_2) | instid1(VALU_DEP_4)
	v_pk_fma_f32 v[10:11], v[4:5], v[0:1], v[8:9] op_sel:[0,0,1] op_sel_hi:[1,1,0] neg_lo:[0,0,1] neg_hi:[0,0,1]
	v_pk_fma_f32 v[4:5], v[4:5], v[0:1], v[8:9] op_sel:[0,0,1] op_sel_hi:[1,0,0]
	v_dual_mov_b32 v4, v7 :: v_dual_mul_f32 v0, v7, v0
	v_pk_fma_f32 v[2:3], v[6:7], v[56:57], v[2:3] op_sel_hi:[1,1,0] neg_lo:[0,0,1] neg_hi:[0,0,1]
	s_delay_alu instid0(VALU_DEP_3) | instskip(NEXT) | instid1(VALU_DEP_1)
	v_dual_mov_b32 v11, v5 :: v_dual_mov_b32 v5, v6
	v_pk_add_f32 v[206:207], v[206:207], v[10:11] neg_lo:[0,1] neg_hi:[0,1]
	s_delay_alu instid0(VALU_DEP_2) | instskip(NEXT) | instid1(VALU_DEP_1)
	v_pk_fma_f32 v[0:1], v[4:5], v[56:57], v[0:1] op_sel_hi:[1,1,0]
	v_mov_b32_e32 v3, v1
	s_delay_alu instid0(VALU_DEP_1)
	v_pk_add_f32 v[208:209], v[208:209], v[2:3] neg_lo:[0,1] neg_hi:[0,1]
.LBB103_145:
	s_wait_xcnt 0x0
	s_or_b32 exec_lo, exec_lo, s1
	s_delay_alu instid0(SALU_CYCLE_1)
	s_mov_b32 s2, exec_lo
	s_wait_storecnt 0x0
	s_barrier_signal -1
	s_barrier_wait -1
	v_cmpx_eq_u32_e32 16, v116
	s_cbranch_execz .LBB103_152
; %bb.146:
	ds_store_b64 v117, v[78:79]
	ds_store_2addr_b64 v118, v[74:75], v[76:77] offset0:17 offset1:18
	ds_store_2addr_b64 v118, v[72:73], v[94:95] offset0:19 offset1:20
	;; [unrolled: 1-line block ×17, first 2 shown]
	ds_store_b64 v118, v[208:209] offset:408
	ds_load_b64 v[0:1], v117
	s_wait_dscnt 0x0
	v_cmp_neq_f32_e32 vcc_lo, 0, v0
	v_cmp_neq_f32_e64 s1, 0, v1
	s_or_b32 s1, vcc_lo, s1
	s_delay_alu instid0(SALU_CYCLE_1)
	s_and_b32 exec_lo, exec_lo, s1
	s_cbranch_execz .LBB103_152
; %bb.147:
	v_cmp_ngt_f32_e64 s1, |v0|, |v1|
                                        ; implicit-def: $vgpr2_vgpr3
	s_and_saveexec_b32 s4, s1
	s_delay_alu instid0(SALU_CYCLE_1)
	s_xor_b32 s1, exec_lo, s4
	s_cbranch_execz .LBB103_149
; %bb.148:
	v_div_scale_f32 v2, null, v1, v1, v0
	v_div_scale_f32 v5, vcc_lo, v0, v1, v0
	s_delay_alu instid0(VALU_DEP_2) | instskip(SKIP_1) | instid1(TRANS32_DEP_1)
	v_rcp_f32_e32 v3, v2
	v_nop
	v_fma_f32 v4, -v2, v3, 1.0
	s_delay_alu instid0(VALU_DEP_1) | instskip(NEXT) | instid1(VALU_DEP_1)
	v_fmac_f32_e32 v3, v4, v3
	v_mul_f32_e32 v4, v5, v3
	s_delay_alu instid0(VALU_DEP_1) | instskip(NEXT) | instid1(VALU_DEP_1)
	v_fma_f32 v6, -v2, v4, v5
	v_fmac_f32_e32 v4, v6, v3
	s_delay_alu instid0(VALU_DEP_1) | instskip(NEXT) | instid1(VALU_DEP_1)
	v_fma_f32 v2, -v2, v4, v5
	v_div_fmas_f32 v2, v2, v3, v4
	s_delay_alu instid0(VALU_DEP_1) | instskip(NEXT) | instid1(VALU_DEP_1)
	v_div_fixup_f32 v2, v2, v1, v0
	v_fmac_f32_e32 v1, v0, v2
	s_delay_alu instid0(VALU_DEP_1) | instskip(SKIP_1) | instid1(VALU_DEP_2)
	v_div_scale_f32 v0, null, v1, v1, 1.0
	v_div_scale_f32 v5, vcc_lo, 1.0, v1, 1.0
	v_rcp_f32_e32 v3, v0
	v_nop
	s_delay_alu instid0(TRANS32_DEP_1) | instskip(NEXT) | instid1(VALU_DEP_1)
	v_fma_f32 v4, -v0, v3, 1.0
	v_fmac_f32_e32 v3, v4, v3
	s_delay_alu instid0(VALU_DEP_1) | instskip(NEXT) | instid1(VALU_DEP_1)
	v_mul_f32_e32 v4, v5, v3
	v_fma_f32 v6, -v0, v4, v5
	s_delay_alu instid0(VALU_DEP_1) | instskip(NEXT) | instid1(VALU_DEP_1)
	v_fmac_f32_e32 v4, v6, v3
	v_fma_f32 v0, -v0, v4, v5
	s_delay_alu instid0(VALU_DEP_1) | instskip(NEXT) | instid1(VALU_DEP_1)
	v_div_fmas_f32 v0, v0, v3, v4
	v_div_fixup_f32 v0, v0, v1, 1.0
	s_delay_alu instid0(VALU_DEP_1)
	v_mul_f32_e32 v2, v2, v0
	v_xor_b32_e32 v3, 0x80000000, v0
                                        ; implicit-def: $vgpr0_vgpr1
.LBB103_149:
	s_and_not1_saveexec_b32 s1, s1
	s_cbranch_execz .LBB103_151
; %bb.150:
	v_div_scale_f32 v2, null, v0, v0, v1
	v_div_scale_f32 v5, vcc_lo, v1, v0, v1
	s_delay_alu instid0(VALU_DEP_2) | instskip(SKIP_1) | instid1(TRANS32_DEP_1)
	v_rcp_f32_e32 v3, v2
	v_nop
	v_fma_f32 v4, -v2, v3, 1.0
	s_delay_alu instid0(VALU_DEP_1) | instskip(NEXT) | instid1(VALU_DEP_1)
	v_fmac_f32_e32 v3, v4, v3
	v_mul_f32_e32 v4, v5, v3
	s_delay_alu instid0(VALU_DEP_1) | instskip(NEXT) | instid1(VALU_DEP_1)
	v_fma_f32 v6, -v2, v4, v5
	v_fmac_f32_e32 v4, v6, v3
	s_delay_alu instid0(VALU_DEP_1) | instskip(NEXT) | instid1(VALU_DEP_1)
	v_fma_f32 v2, -v2, v4, v5
	v_div_fmas_f32 v2, v2, v3, v4
	s_delay_alu instid0(VALU_DEP_1) | instskip(NEXT) | instid1(VALU_DEP_1)
	v_div_fixup_f32 v3, v2, v0, v1
	v_fmac_f32_e32 v0, v1, v3
	s_delay_alu instid0(VALU_DEP_1) | instskip(NEXT) | instid1(VALU_DEP_1)
	v_div_scale_f32 v1, null, v0, v0, 1.0
	v_rcp_f32_e32 v2, v1
	v_nop
	s_delay_alu instid0(TRANS32_DEP_1) | instskip(NEXT) | instid1(VALU_DEP_1)
	v_fma_f32 v4, -v1, v2, 1.0
	v_fmac_f32_e32 v2, v4, v2
	v_div_scale_f32 v4, vcc_lo, 1.0, v0, 1.0
	s_delay_alu instid0(VALU_DEP_1) | instskip(NEXT) | instid1(VALU_DEP_1)
	v_mul_f32_e32 v5, v4, v2
	v_fma_f32 v6, -v1, v5, v4
	s_delay_alu instid0(VALU_DEP_1) | instskip(NEXT) | instid1(VALU_DEP_1)
	v_fmac_f32_e32 v5, v6, v2
	v_fma_f32 v1, -v1, v5, v4
	s_delay_alu instid0(VALU_DEP_1) | instskip(NEXT) | instid1(VALU_DEP_1)
	v_div_fmas_f32 v1, v1, v2, v5
	v_div_fixup_f32 v2, v1, v0, 1.0
	s_delay_alu instid0(VALU_DEP_1)
	v_mul_f32_e64 v3, v3, -v2
.LBB103_151:
	s_or_b32 exec_lo, exec_lo, s1
	ds_store_b64 v117, v[2:3]
.LBB103_152:
	s_or_b32 exec_lo, exec_lo, s2
	s_wait_dscnt 0x0
	s_barrier_signal -1
	s_barrier_wait -1
	ds_load_b64 v[0:1], v117
	s_mov_b32 s1, exec_lo
	s_wait_dscnt 0x0
	scratch_store_b64 off, v[0:1], off offset:216 ; 8-byte Folded Spill
	s_wait_xcnt 0x0
	v_cmpx_lt_u32_e32 16, v116
	s_cbranch_execz .LBB103_154
; %bb.153:
	scratch_load_b64 v[4:5], off, off offset:216 ; 8-byte Folded Reload
	s_wait_loadcnt 0x0
	v_pk_mul_f32 v[2:3], v[4:5], v[78:79] op_sel:[1,1] op_sel_hi:[0,1]
	s_delay_alu instid0(VALU_DEP_1)
	v_pk_fma_f32 v[0:1], v[4:5], v[78:79], v[2:3] op_sel_hi:[1,0,1] neg_lo:[0,0,1] neg_hi:[0,0,1]
	v_pk_fma_f32 v[2:3], v[4:5], v[78:79], v[2:3] op_sel_hi:[1,0,1]
	ds_load_2addr_b64 v[4:7], v118 offset0:17 offset1:18
	v_dual_mov_b32 v78, v0 :: v_dual_mov_b32 v79, v3
	s_wait_dscnt 0x0
	v_pk_mul_f32 v[8:9], v[4:5], v[2:3] op_sel:[0,1]
	s_delay_alu instid0(VALU_DEP_1) | instskip(SKIP_1) | instid1(VALU_DEP_1)
	v_pk_fma_f32 v[10:11], v[4:5], v[0:1], v[8:9] op_sel:[0,0,1] op_sel_hi:[1,1,0] neg_lo:[0,0,1] neg_hi:[0,0,1]
	v_pk_fma_f32 v[4:5], v[4:5], v[0:1], v[8:9] op_sel:[0,0,1] op_sel_hi:[1,0,0]
	v_mov_b32_e32 v11, v5
	v_pk_mul_f32 v[4:5], v[6:7], v[2:3] op_sel:[0,1]
	s_delay_alu instid0(VALU_DEP_1) | instskip(SKIP_1) | instid1(VALU_DEP_1)
	v_pk_fma_f32 v[8:9], v[6:7], v[0:1], v[4:5] op_sel:[0,0,1] op_sel_hi:[1,1,0] neg_lo:[0,0,1] neg_hi:[0,0,1]
	v_pk_fma_f32 v[4:5], v[6:7], v[0:1], v[4:5] op_sel:[0,0,1] op_sel_hi:[1,0,0]
	v_mov_b32_e32 v9, v5
	ds_load_2addr_b64 v[4:7], v118 offset0:19 offset1:20
	v_pk_add_f32 v[74:75], v[74:75], v[10:11] neg_lo:[0,1] neg_hi:[0,1]
	v_pk_add_f32 v[76:77], v[76:77], v[8:9] neg_lo:[0,1] neg_hi:[0,1]
	s_wait_dscnt 0x0
	v_pk_mul_f32 v[8:9], v[4:5], v[2:3] op_sel:[0,1]
	s_delay_alu instid0(VALU_DEP_1) | instskip(SKIP_2) | instid1(VALU_DEP_2)
	v_pk_fma_f32 v[10:11], v[4:5], v[0:1], v[8:9] op_sel:[0,0,1] op_sel_hi:[1,1,0] neg_lo:[0,0,1] neg_hi:[0,0,1]
	v_pk_fma_f32 v[4:5], v[4:5], v[0:1], v[8:9] op_sel:[0,0,1] op_sel_hi:[1,0,0]
	v_dual_mul_f32 v8, v7, v3 :: v_dual_mov_b32 v4, v7
	v_dual_mov_b32 v11, v5 :: v_dual_mov_b32 v5, v6
	s_delay_alu instid0(VALU_DEP_2) | instskip(SKIP_1) | instid1(VALU_DEP_3)
	v_pk_fma_f32 v[8:9], v[6:7], v[78:79], v[8:9] op_sel_hi:[1,1,0] neg_lo:[0,0,1] neg_hi:[0,0,1]
	v_mul_f32_e32 v6, v7, v0
	v_pk_add_f32 v[72:73], v[72:73], v[10:11] neg_lo:[0,1] neg_hi:[0,1]
	s_delay_alu instid0(VALU_DEP_2) | instskip(NEXT) | instid1(VALU_DEP_1)
	v_pk_fma_f32 v[4:5], v[4:5], v[78:79], v[6:7] op_sel_hi:[1,1,0]
	v_mov_b32_e32 v9, v5
	ds_load_2addr_b64 v[4:7], v118 offset0:21 offset1:22
	v_pk_add_f32 v[94:95], v[94:95], v[8:9] neg_lo:[0,1] neg_hi:[0,1]
	s_wait_dscnt 0x0
	v_pk_mul_f32 v[8:9], v[4:5], v[2:3] op_sel:[0,1]
	s_delay_alu instid0(VALU_DEP_1) | instskip(SKIP_1) | instid1(VALU_DEP_1)
	v_pk_fma_f32 v[10:11], v[4:5], v[0:1], v[8:9] op_sel:[0,0,1] op_sel_hi:[1,1,0] neg_lo:[0,0,1] neg_hi:[0,0,1]
	v_pk_fma_f32 v[4:5], v[4:5], v[0:1], v[8:9] op_sel:[0,0,1] op_sel_hi:[1,0,0]
	v_mov_b32_e32 v11, v5
	v_pk_mul_f32 v[4:5], v[6:7], v[2:3] op_sel:[0,1]
	s_delay_alu instid0(VALU_DEP_1) | instskip(SKIP_1) | instid1(VALU_DEP_1)
	v_pk_fma_f32 v[8:9], v[6:7], v[0:1], v[4:5] op_sel:[0,0,1] op_sel_hi:[1,1,0] neg_lo:[0,0,1] neg_hi:[0,0,1]
	v_pk_fma_f32 v[4:5], v[6:7], v[0:1], v[4:5] op_sel:[0,0,1] op_sel_hi:[1,0,0]
	v_mov_b32_e32 v9, v5
	ds_load_2addr_b64 v[4:7], v118 offset0:23 offset1:24
	v_pk_add_f32 v[90:91], v[90:91], v[10:11] neg_lo:[0,1] neg_hi:[0,1]
	v_pk_add_f32 v[92:93], v[92:93], v[8:9] neg_lo:[0,1] neg_hi:[0,1]
	s_wait_dscnt 0x0
	v_pk_mul_f32 v[8:9], v[4:5], v[2:3] op_sel:[0,1]
	s_delay_alu instid0(VALU_DEP_1) | instskip(SKIP_1) | instid1(VALU_DEP_1)
	v_pk_fma_f32 v[10:11], v[4:5], v[0:1], v[8:9] op_sel:[0,0,1] op_sel_hi:[1,1,0] neg_lo:[0,0,1] neg_hi:[0,0,1]
	v_pk_fma_f32 v[4:5], v[4:5], v[0:1], v[8:9] op_sel:[0,0,1] op_sel_hi:[1,0,0]
	v_mov_b32_e32 v11, v5
	v_pk_mul_f32 v[4:5], v[6:7], v[2:3] op_sel:[0,1]
	s_delay_alu instid0(VALU_DEP_1) | instskip(SKIP_1) | instid1(VALU_DEP_1)
	v_pk_fma_f32 v[8:9], v[6:7], v[0:1], v[4:5] op_sel:[0,0,1] op_sel_hi:[1,1,0] neg_lo:[0,0,1] neg_hi:[0,0,1]
	v_pk_fma_f32 v[4:5], v[6:7], v[0:1], v[4:5] op_sel:[0,0,1] op_sel_hi:[1,0,0]
	v_mov_b32_e32 v9, v5
	ds_load_2addr_b64 v[4:7], v118 offset0:25 offset1:26
	v_pk_add_f32 v[88:89], v[88:89], v[10:11] neg_lo:[0,1] neg_hi:[0,1]
	v_pk_add_f32 v[112:113], v[112:113], v[8:9] neg_lo:[0,1] neg_hi:[0,1]
	s_wait_dscnt 0x0
	v_dual_mul_f32 v8, v5, v3 :: v_dual_mul_f32 v10, v5, v0
	s_delay_alu instid0(VALU_DEP_1) | instskip(NEXT) | instid1(VALU_DEP_2)
	v_pk_fma_f32 v[8:9], v[4:5], v[78:79], v[8:9] op_sel_hi:[1,1,0] neg_lo:[0,0,1] neg_hi:[0,0,1]
	v_pk_fma_f32 v[4:5], v[4:5], v[78:79], v[10:11] op_sel:[1,0,0] op_sel_hi:[0,1,0]
	s_delay_alu instid0(VALU_DEP_1) | instskip(SKIP_1) | instid1(VALU_DEP_2)
	v_mov_b32_e32 v9, v5
	v_pk_mul_f32 v[4:5], v[6:7], v[2:3] op_sel:[0,1]
	v_pk_add_f32 v[108:109], v[108:109], v[8:9] neg_lo:[0,1] neg_hi:[0,1]
	s_delay_alu instid0(VALU_DEP_2) | instskip(SKIP_1) | instid1(VALU_DEP_1)
	v_pk_fma_f32 v[8:9], v[6:7], v[0:1], v[4:5] op_sel:[0,0,1] op_sel_hi:[1,1,0] neg_lo:[0,0,1] neg_hi:[0,0,1]
	v_pk_fma_f32 v[4:5], v[6:7], v[0:1], v[4:5] op_sel:[0,0,1] op_sel_hi:[1,0,0]
	v_mov_b32_e32 v9, v5
	ds_load_2addr_b64 v[4:7], v118 offset0:27 offset1:28
	v_pk_add_f32 v[110:111], v[110:111], v[8:9] neg_lo:[0,1] neg_hi:[0,1]
	s_wait_dscnt 0x0
	v_pk_mul_f32 v[8:9], v[4:5], v[2:3] op_sel:[0,1]
	s_delay_alu instid0(VALU_DEP_1) | instskip(SKIP_1) | instid1(VALU_DEP_1)
	v_pk_fma_f32 v[10:11], v[4:5], v[0:1], v[8:9] op_sel:[0,0,1] op_sel_hi:[1,1,0] neg_lo:[0,0,1] neg_hi:[0,0,1]
	v_pk_fma_f32 v[4:5], v[4:5], v[0:1], v[8:9] op_sel:[0,0,1] op_sel_hi:[1,0,0]
	v_mov_b32_e32 v11, v5
	v_pk_mul_f32 v[4:5], v[6:7], v[2:3] op_sel:[0,1]
	s_delay_alu instid0(VALU_DEP_2) | instskip(NEXT) | instid1(VALU_DEP_2)
	v_pk_add_f32 v[106:107], v[106:107], v[10:11] neg_lo:[0,1] neg_hi:[0,1]
	v_pk_fma_f32 v[8:9], v[6:7], v[0:1], v[4:5] op_sel:[0,0,1] op_sel_hi:[1,1,0] neg_lo:[0,0,1] neg_hi:[0,0,1]
	v_pk_fma_f32 v[4:5], v[6:7], v[0:1], v[4:5] op_sel:[0,0,1] op_sel_hi:[1,0,0]
	s_delay_alu instid0(VALU_DEP_1) | instskip(SKIP_4) | instid1(VALU_DEP_1)
	v_mov_b32_e32 v9, v5
	ds_load_2addr_b64 v[4:7], v118 offset0:29 offset1:30
	v_pk_add_f32 v[128:129], v[128:129], v[8:9] neg_lo:[0,1] neg_hi:[0,1]
	s_wait_dscnt 0x0
	v_pk_mul_f32 v[8:9], v[4:5], v[2:3] op_sel:[0,1]
	v_pk_fma_f32 v[10:11], v[4:5], v[0:1], v[8:9] op_sel:[0,0,1] op_sel_hi:[1,1,0] neg_lo:[0,0,1] neg_hi:[0,0,1]
	v_pk_fma_f32 v[4:5], v[4:5], v[0:1], v[8:9] op_sel:[0,0,1] op_sel_hi:[1,0,0]
	v_dual_mul_f32 v8, v7, v3 :: v_dual_mov_b32 v4, v7
	s_delay_alu instid0(VALU_DEP_2) | instskip(NEXT) | instid1(VALU_DEP_2)
	v_dual_mov_b32 v11, v5 :: v_dual_mov_b32 v5, v6
	v_pk_fma_f32 v[8:9], v[6:7], v[78:79], v[8:9] op_sel_hi:[1,1,0] neg_lo:[0,0,1] neg_hi:[0,0,1]
	v_mul_f32_e32 v6, v7, v0
	s_delay_alu instid0(VALU_DEP_3) | instskip(NEXT) | instid1(VALU_DEP_2)
	v_pk_add_f32 v[124:125], v[124:125], v[10:11] neg_lo:[0,1] neg_hi:[0,1]
	v_pk_fma_f32 v[4:5], v[4:5], v[78:79], v[6:7] op_sel_hi:[1,1,0]
	s_delay_alu instid0(VALU_DEP_1) | instskip(SKIP_4) | instid1(VALU_DEP_1)
	v_mov_b32_e32 v9, v5
	ds_load_2addr_b64 v[4:7], v118 offset0:31 offset1:32
	v_pk_add_f32 v[126:127], v[126:127], v[8:9] neg_lo:[0,1] neg_hi:[0,1]
	s_wait_dscnt 0x0
	v_pk_mul_f32 v[8:9], v[4:5], v[2:3] op_sel:[0,1]
	v_pk_fma_f32 v[10:11], v[4:5], v[0:1], v[8:9] op_sel:[0,0,1] op_sel_hi:[1,1,0] neg_lo:[0,0,1] neg_hi:[0,0,1]
	v_pk_fma_f32 v[4:5], v[4:5], v[0:1], v[8:9] op_sel:[0,0,1] op_sel_hi:[1,0,0]
	s_delay_alu instid0(VALU_DEP_1) | instskip(SKIP_1) | instid1(VALU_DEP_1)
	v_mov_b32_e32 v11, v5
	v_pk_mul_f32 v[4:5], v[6:7], v[2:3] op_sel:[0,1]
	v_pk_fma_f32 v[8:9], v[6:7], v[0:1], v[4:5] op_sel:[0,0,1] op_sel_hi:[1,1,0] neg_lo:[0,0,1] neg_hi:[0,0,1]
	v_pk_fma_f32 v[4:5], v[6:7], v[0:1], v[4:5] op_sel:[0,0,1] op_sel_hi:[1,0,0]
	s_delay_alu instid0(VALU_DEP_1)
	v_mov_b32_e32 v9, v5
	ds_load_2addr_b64 v[4:7], v118 offset0:33 offset1:34
	v_pk_add_f32 v[122:123], v[122:123], v[10:11] neg_lo:[0,1] neg_hi:[0,1]
	v_pk_add_f32 v[146:147], v[146:147], v[8:9] neg_lo:[0,1] neg_hi:[0,1]
	s_wait_dscnt 0x0
	v_pk_mul_f32 v[8:9], v[4:5], v[2:3] op_sel:[0,1]
	s_delay_alu instid0(VALU_DEP_1) | instskip(SKIP_1) | instid1(VALU_DEP_1)
	v_pk_fma_f32 v[10:11], v[4:5], v[0:1], v[8:9] op_sel:[0,0,1] op_sel_hi:[1,1,0] neg_lo:[0,0,1] neg_hi:[0,0,1]
	v_pk_fma_f32 v[4:5], v[4:5], v[0:1], v[8:9] op_sel:[0,0,1] op_sel_hi:[1,0,0]
	v_mov_b32_e32 v11, v5
	v_pk_mul_f32 v[4:5], v[6:7], v[2:3] op_sel:[0,1]
	s_delay_alu instid0(VALU_DEP_1) | instskip(SKIP_1) | instid1(VALU_DEP_1)
	v_pk_fma_f32 v[8:9], v[6:7], v[0:1], v[4:5] op_sel:[0,0,1] op_sel_hi:[1,1,0] neg_lo:[0,0,1] neg_hi:[0,0,1]
	v_pk_fma_f32 v[4:5], v[6:7], v[0:1], v[4:5] op_sel:[0,0,1] op_sel_hi:[1,0,0]
	v_mov_b32_e32 v9, v5
	ds_load_2addr_b64 v[4:7], v118 offset0:35 offset1:36
	v_pk_add_f32 v[142:143], v[142:143], v[10:11] neg_lo:[0,1] neg_hi:[0,1]
	v_pk_add_f32 v[144:145], v[144:145], v[8:9] neg_lo:[0,1] neg_hi:[0,1]
	s_wait_dscnt 0x0
	v_dual_mul_f32 v8, v5, v3 :: v_dual_mul_f32 v10, v5, v0
	s_delay_alu instid0(VALU_DEP_1) | instskip(NEXT) | instid1(VALU_DEP_2)
	v_pk_fma_f32 v[8:9], v[4:5], v[78:79], v[8:9] op_sel_hi:[1,1,0] neg_lo:[0,0,1] neg_hi:[0,0,1]
	v_pk_fma_f32 v[4:5], v[4:5], v[78:79], v[10:11] op_sel:[1,0,0] op_sel_hi:[0,1,0]
	s_delay_alu instid0(VALU_DEP_1) | instskip(SKIP_1) | instid1(VALU_DEP_2)
	v_mov_b32_e32 v9, v5
	v_pk_mul_f32 v[4:5], v[6:7], v[2:3] op_sel:[0,1]
	v_pk_add_f32 v[140:141], v[140:141], v[8:9] neg_lo:[0,1] neg_hi:[0,1]
	s_delay_alu instid0(VALU_DEP_2) | instskip(SKIP_1) | instid1(VALU_DEP_1)
	v_pk_fma_f32 v[8:9], v[6:7], v[0:1], v[4:5] op_sel:[0,0,1] op_sel_hi:[1,1,0] neg_lo:[0,0,1] neg_hi:[0,0,1]
	v_pk_fma_f32 v[4:5], v[6:7], v[0:1], v[4:5] op_sel:[0,0,1] op_sel_hi:[1,0,0]
	v_mov_b32_e32 v9, v5
	ds_load_2addr_b64 v[4:7], v118 offset0:37 offset1:38
	v_pk_add_f32 v[162:163], v[162:163], v[8:9] neg_lo:[0,1] neg_hi:[0,1]
	s_wait_dscnt 0x0
	v_pk_mul_f32 v[8:9], v[4:5], v[2:3] op_sel:[0,1]
	s_delay_alu instid0(VALU_DEP_1) | instskip(SKIP_1) | instid1(VALU_DEP_1)
	v_pk_fma_f32 v[10:11], v[4:5], v[0:1], v[8:9] op_sel:[0,0,1] op_sel_hi:[1,1,0] neg_lo:[0,0,1] neg_hi:[0,0,1]
	v_pk_fma_f32 v[4:5], v[4:5], v[0:1], v[8:9] op_sel:[0,0,1] op_sel_hi:[1,0,0]
	v_mov_b32_e32 v11, v5
	v_pk_mul_f32 v[4:5], v[6:7], v[2:3] op_sel:[0,1]
	s_delay_alu instid0(VALU_DEP_2) | instskip(NEXT) | instid1(VALU_DEP_2)
	v_pk_add_f32 v[158:159], v[158:159], v[10:11] neg_lo:[0,1] neg_hi:[0,1]
	v_pk_fma_f32 v[8:9], v[6:7], v[0:1], v[4:5] op_sel:[0,0,1] op_sel_hi:[1,1,0] neg_lo:[0,0,1] neg_hi:[0,0,1]
	v_pk_fma_f32 v[4:5], v[6:7], v[0:1], v[4:5] op_sel:[0,0,1] op_sel_hi:[1,0,0]
	s_delay_alu instid0(VALU_DEP_1) | instskip(SKIP_4) | instid1(VALU_DEP_1)
	v_mov_b32_e32 v9, v5
	ds_load_2addr_b64 v[4:7], v118 offset0:39 offset1:40
	v_pk_add_f32 v[160:161], v[160:161], v[8:9] neg_lo:[0,1] neg_hi:[0,1]
	s_wait_dscnt 0x0
	v_pk_mul_f32 v[8:9], v[4:5], v[2:3] op_sel:[0,1]
	v_pk_fma_f32 v[10:11], v[4:5], v[0:1], v[8:9] op_sel:[0,0,1] op_sel_hi:[1,1,0] neg_lo:[0,0,1] neg_hi:[0,0,1]
	v_pk_fma_f32 v[4:5], v[4:5], v[0:1], v[8:9] op_sel:[0,0,1] op_sel_hi:[1,0,0]
	v_dual_mul_f32 v8, v7, v3 :: v_dual_mov_b32 v4, v7
	s_delay_alu instid0(VALU_DEP_2) | instskip(NEXT) | instid1(VALU_DEP_2)
	v_dual_mov_b32 v11, v5 :: v_dual_mov_b32 v5, v6
	v_pk_fma_f32 v[8:9], v[6:7], v[78:79], v[8:9] op_sel_hi:[1,1,0] neg_lo:[0,0,1] neg_hi:[0,0,1]
	v_mul_f32_e32 v6, v7, v0
	s_delay_alu instid0(VALU_DEP_3) | instskip(NEXT) | instid1(VALU_DEP_2)
	v_pk_add_f32 v[156:157], v[156:157], v[10:11] neg_lo:[0,1] neg_hi:[0,1]
	v_pk_fma_f32 v[4:5], v[4:5], v[78:79], v[6:7] op_sel_hi:[1,1,0]
	s_delay_alu instid0(VALU_DEP_1) | instskip(SKIP_4) | instid1(VALU_DEP_1)
	v_mov_b32_e32 v9, v5
	ds_load_2addr_b64 v[4:7], v118 offset0:41 offset1:42
	v_pk_add_f32 v[182:183], v[182:183], v[8:9] neg_lo:[0,1] neg_hi:[0,1]
	s_wait_dscnt 0x0
	v_pk_mul_f32 v[8:9], v[4:5], v[2:3] op_sel:[0,1]
	v_pk_fma_f32 v[10:11], v[4:5], v[0:1], v[8:9] op_sel:[0,0,1] op_sel_hi:[1,1,0] neg_lo:[0,0,1] neg_hi:[0,0,1]
	v_pk_fma_f32 v[4:5], v[4:5], v[0:1], v[8:9] op_sel:[0,0,1] op_sel_hi:[1,0,0]
	s_delay_alu instid0(VALU_DEP_1) | instskip(SKIP_1) | instid1(VALU_DEP_1)
	v_mov_b32_e32 v11, v5
	v_pk_mul_f32 v[4:5], v[6:7], v[2:3] op_sel:[0,1]
	v_pk_fma_f32 v[8:9], v[6:7], v[0:1], v[4:5] op_sel:[0,0,1] op_sel_hi:[1,1,0] neg_lo:[0,0,1] neg_hi:[0,0,1]
	v_pk_fma_f32 v[4:5], v[6:7], v[0:1], v[4:5] op_sel:[0,0,1] op_sel_hi:[1,0,0]
	s_delay_alu instid0(VALU_DEP_1)
	v_mov_b32_e32 v9, v5
	ds_load_2addr_b64 v[4:7], v118 offset0:43 offset1:44
	v_pk_add_f32 v[178:179], v[178:179], v[10:11] neg_lo:[0,1] neg_hi:[0,1]
	v_pk_add_f32 v[180:181], v[180:181], v[8:9] neg_lo:[0,1] neg_hi:[0,1]
	s_wait_dscnt 0x0
	v_pk_mul_f32 v[8:9], v[4:5], v[2:3] op_sel:[0,1]
	s_delay_alu instid0(VALU_DEP_1) | instskip(SKIP_1) | instid1(VALU_DEP_1)
	v_pk_fma_f32 v[10:11], v[4:5], v[0:1], v[8:9] op_sel:[0,0,1] op_sel_hi:[1,1,0] neg_lo:[0,0,1] neg_hi:[0,0,1]
	v_pk_fma_f32 v[4:5], v[4:5], v[0:1], v[8:9] op_sel:[0,0,1] op_sel_hi:[1,0,0]
	v_mov_b32_e32 v11, v5
	v_pk_mul_f32 v[4:5], v[6:7], v[2:3] op_sel:[0,1]
	s_delay_alu instid0(VALU_DEP_1) | instskip(SKIP_1) | instid1(VALU_DEP_1)
	v_pk_fma_f32 v[8:9], v[6:7], v[0:1], v[4:5] op_sel:[0,0,1] op_sel_hi:[1,1,0] neg_lo:[0,0,1] neg_hi:[0,0,1]
	v_pk_fma_f32 v[4:5], v[6:7], v[0:1], v[4:5] op_sel:[0,0,1] op_sel_hi:[1,0,0]
	v_mov_b32_e32 v9, v5
	ds_load_2addr_b64 v[4:7], v118 offset0:45 offset1:46
	v_pk_add_f32 v[176:177], v[176:177], v[10:11] neg_lo:[0,1] neg_hi:[0,1]
	v_pk_add_f32 v[204:205], v[204:205], v[8:9] neg_lo:[0,1] neg_hi:[0,1]
	s_wait_dscnt 0x0
	v_dual_mul_f32 v8, v5, v3 :: v_dual_mul_f32 v10, v5, v0
	s_delay_alu instid0(VALU_DEP_1) | instskip(NEXT) | instid1(VALU_DEP_2)
	v_pk_fma_f32 v[8:9], v[4:5], v[78:79], v[8:9] op_sel_hi:[1,1,0] neg_lo:[0,0,1] neg_hi:[0,0,1]
	v_pk_fma_f32 v[4:5], v[4:5], v[78:79], v[10:11] op_sel:[1,0,0] op_sel_hi:[0,1,0]
	s_delay_alu instid0(VALU_DEP_1) | instskip(SKIP_1) | instid1(VALU_DEP_2)
	v_mov_b32_e32 v9, v5
	v_pk_mul_f32 v[4:5], v[6:7], v[2:3] op_sel:[0,1]
	v_pk_add_f32 v[198:199], v[198:199], v[8:9] neg_lo:[0,1] neg_hi:[0,1]
	s_delay_alu instid0(VALU_DEP_2) | instskip(SKIP_1) | instid1(VALU_DEP_1)
	v_pk_fma_f32 v[8:9], v[6:7], v[0:1], v[4:5] op_sel:[0,0,1] op_sel_hi:[1,1,0] neg_lo:[0,0,1] neg_hi:[0,0,1]
	v_pk_fma_f32 v[4:5], v[6:7], v[0:1], v[4:5] op_sel:[0,0,1] op_sel_hi:[1,0,0]
	v_mov_b32_e32 v9, v5
	ds_load_2addr_b64 v[4:7], v118 offset0:47 offset1:48
	v_pk_add_f32 v[202:203], v[202:203], v[8:9] neg_lo:[0,1] neg_hi:[0,1]
	s_wait_dscnt 0x0
	v_pk_mul_f32 v[8:9], v[4:5], v[2:3] op_sel:[0,1]
	s_delay_alu instid0(VALU_DEP_1) | instskip(SKIP_1) | instid1(VALU_DEP_1)
	v_pk_fma_f32 v[10:11], v[4:5], v[0:1], v[8:9] op_sel:[0,0,1] op_sel_hi:[1,1,0] neg_lo:[0,0,1] neg_hi:[0,0,1]
	v_pk_fma_f32 v[4:5], v[4:5], v[0:1], v[8:9] op_sel:[0,0,1] op_sel_hi:[1,0,0]
	v_mov_b32_e32 v11, v5
	v_pk_mul_f32 v[4:5], v[6:7], v[2:3] op_sel:[0,1]
	s_delay_alu instid0(VALU_DEP_2) | instskip(NEXT) | instid1(VALU_DEP_2)
	v_pk_add_f32 v[196:197], v[196:197], v[10:11] neg_lo:[0,1] neg_hi:[0,1]
	v_pk_fma_f32 v[8:9], v[6:7], v[0:1], v[4:5] op_sel:[0,0,1] op_sel_hi:[1,1,0] neg_lo:[0,0,1] neg_hi:[0,0,1]
	v_pk_fma_f32 v[4:5], v[6:7], v[0:1], v[4:5] op_sel:[0,0,1] op_sel_hi:[1,0,0]
	s_delay_alu instid0(VALU_DEP_1) | instskip(SKIP_4) | instid1(VALU_DEP_1)
	v_mov_b32_e32 v9, v5
	ds_load_2addr_b64 v[4:7], v118 offset0:49 offset1:50
	v_pk_add_f32 v[200:201], v[200:201], v[8:9] neg_lo:[0,1] neg_hi:[0,1]
	s_wait_dscnt 0x0
	v_pk_mul_f32 v[8:9], v[4:5], v[2:3] op_sel:[0,1]
	v_pk_fma_f32 v[10:11], v[4:5], v[0:1], v[8:9] op_sel:[0,0,1] op_sel_hi:[1,1,0] neg_lo:[0,0,1] neg_hi:[0,0,1]
	v_pk_fma_f32 v[4:5], v[4:5], v[0:1], v[8:9] op_sel:[0,0,1] op_sel_hi:[1,0,0]
	v_dual_mul_f32 v8, v7, v3 :: v_dual_mov_b32 v4, v7
	s_delay_alu instid0(VALU_DEP_2) | instskip(NEXT) | instid1(VALU_DEP_2)
	v_dual_mov_b32 v11, v5 :: v_dual_mov_b32 v5, v6
	v_pk_fma_f32 v[8:9], v[6:7], v[78:79], v[8:9] op_sel_hi:[1,1,0] neg_lo:[0,0,1] neg_hi:[0,0,1]
	v_mul_f32_e32 v6, v7, v0
	s_delay_alu instid0(VALU_DEP_3) | instskip(NEXT) | instid1(VALU_DEP_2)
	v_pk_add_f32 v[194:195], v[194:195], v[10:11] neg_lo:[0,1] neg_hi:[0,1]
	v_pk_fma_f32 v[4:5], v[4:5], v[78:79], v[6:7] op_sel_hi:[1,1,0]
	s_delay_alu instid0(VALU_DEP_1) | instskip(SKIP_4) | instid1(VALU_DEP_1)
	v_mov_b32_e32 v9, v5
	ds_load_b64 v[4:5], v118 offset:408
	v_pk_add_f32 v[206:207], v[206:207], v[8:9] neg_lo:[0,1] neg_hi:[0,1]
	s_wait_dscnt 0x0
	v_pk_mul_f32 v[2:3], v[4:5], v[2:3] op_sel:[0,1]
	v_pk_fma_f32 v[6:7], v[4:5], v[0:1], v[2:3] op_sel:[0,0,1] op_sel_hi:[1,1,0] neg_lo:[0,0,1] neg_hi:[0,0,1]
	v_pk_fma_f32 v[0:1], v[4:5], v[0:1], v[2:3] op_sel:[0,0,1] op_sel_hi:[1,0,0]
	s_delay_alu instid0(VALU_DEP_1) | instskip(NEXT) | instid1(VALU_DEP_1)
	v_mov_b32_e32 v7, v1
	v_pk_add_f32 v[208:209], v[208:209], v[6:7] neg_lo:[0,1] neg_hi:[0,1]
.LBB103_154:
	s_wait_xcnt 0x0
	s_or_b32 exec_lo, exec_lo, s1
	s_delay_alu instid0(SALU_CYCLE_1)
	s_mov_b32 s2, exec_lo
	s_wait_storecnt 0x0
	s_barrier_signal -1
	s_barrier_wait -1
	v_cmpx_eq_u32_e32 17, v116
	s_cbranch_execz .LBB103_161
; %bb.155:
	v_dual_mov_b32 v0, v76 :: v_dual_mov_b32 v1, v77
	v_dual_mov_b32 v2, v72 :: v_dual_mov_b32 v3, v73
	ds_store_b64 v117, v[74:75]
	ds_store_2addr_b64 v118, v[0:1], v[2:3] offset0:18 offset1:19
	v_dual_mov_b32 v0, v94 :: v_dual_mov_b32 v1, v95
	v_dual_mov_b32 v2, v90 :: v_dual_mov_b32 v3, v91
	ds_store_2addr_b64 v118, v[0:1], v[2:3] offset0:20 offset1:21
	v_dual_mov_b32 v0, v92 :: v_dual_mov_b32 v1, v93
	v_dual_mov_b32 v2, v88 :: v_dual_mov_b32 v3, v89
	;; [unrolled: 3-line block ×15, first 2 shown]
	ds_store_2addr_b64 v118, v[0:1], v[2:3] offset0:48 offset1:49
	v_dual_mov_b32 v0, v206 :: v_dual_mov_b32 v1, v207
	ds_store_2addr_b64 v118, v[0:1], v[208:209] offset0:50 offset1:51
	ds_load_b64 v[0:1], v117
	s_wait_dscnt 0x0
	v_cmp_neq_f32_e32 vcc_lo, 0, v0
	v_cmp_neq_f32_e64 s1, 0, v1
	s_or_b32 s1, vcc_lo, s1
	s_delay_alu instid0(SALU_CYCLE_1)
	s_and_b32 exec_lo, exec_lo, s1
	s_cbranch_execz .LBB103_161
; %bb.156:
	v_cmp_ngt_f32_e64 s1, |v0|, |v1|
                                        ; implicit-def: $vgpr2_vgpr3
	s_and_saveexec_b32 s4, s1
	s_delay_alu instid0(SALU_CYCLE_1)
	s_xor_b32 s1, exec_lo, s4
	s_cbranch_execz .LBB103_158
; %bb.157:
	v_div_scale_f32 v2, null, v1, v1, v0
	v_div_scale_f32 v5, vcc_lo, v0, v1, v0
	s_delay_alu instid0(VALU_DEP_2) | instskip(SKIP_1) | instid1(TRANS32_DEP_1)
	v_rcp_f32_e32 v3, v2
	v_nop
	v_fma_f32 v4, -v2, v3, 1.0
	s_delay_alu instid0(VALU_DEP_1) | instskip(NEXT) | instid1(VALU_DEP_1)
	v_fmac_f32_e32 v3, v4, v3
	v_mul_f32_e32 v4, v5, v3
	s_delay_alu instid0(VALU_DEP_1) | instskip(NEXT) | instid1(VALU_DEP_1)
	v_fma_f32 v6, -v2, v4, v5
	v_fmac_f32_e32 v4, v6, v3
	s_delay_alu instid0(VALU_DEP_1) | instskip(NEXT) | instid1(VALU_DEP_1)
	v_fma_f32 v2, -v2, v4, v5
	v_div_fmas_f32 v2, v2, v3, v4
	s_delay_alu instid0(VALU_DEP_1) | instskip(NEXT) | instid1(VALU_DEP_1)
	v_div_fixup_f32 v2, v2, v1, v0
	v_fmac_f32_e32 v1, v0, v2
	s_delay_alu instid0(VALU_DEP_1) | instskip(SKIP_1) | instid1(VALU_DEP_2)
	v_div_scale_f32 v0, null, v1, v1, 1.0
	v_div_scale_f32 v5, vcc_lo, 1.0, v1, 1.0
	v_rcp_f32_e32 v3, v0
	v_nop
	s_delay_alu instid0(TRANS32_DEP_1) | instskip(NEXT) | instid1(VALU_DEP_1)
	v_fma_f32 v4, -v0, v3, 1.0
	v_fmac_f32_e32 v3, v4, v3
	s_delay_alu instid0(VALU_DEP_1) | instskip(NEXT) | instid1(VALU_DEP_1)
	v_mul_f32_e32 v4, v5, v3
	v_fma_f32 v6, -v0, v4, v5
	s_delay_alu instid0(VALU_DEP_1) | instskip(NEXT) | instid1(VALU_DEP_1)
	v_fmac_f32_e32 v4, v6, v3
	v_fma_f32 v0, -v0, v4, v5
	s_delay_alu instid0(VALU_DEP_1) | instskip(NEXT) | instid1(VALU_DEP_1)
	v_div_fmas_f32 v0, v0, v3, v4
	v_div_fixup_f32 v0, v0, v1, 1.0
	s_delay_alu instid0(VALU_DEP_1)
	v_mul_f32_e32 v2, v2, v0
	v_xor_b32_e32 v3, 0x80000000, v0
                                        ; implicit-def: $vgpr0_vgpr1
.LBB103_158:
	s_and_not1_saveexec_b32 s1, s1
	s_cbranch_execz .LBB103_160
; %bb.159:
	v_div_scale_f32 v2, null, v0, v0, v1
	v_div_scale_f32 v5, vcc_lo, v1, v0, v1
	s_delay_alu instid0(VALU_DEP_2) | instskip(SKIP_1) | instid1(TRANS32_DEP_1)
	v_rcp_f32_e32 v3, v2
	v_nop
	v_fma_f32 v4, -v2, v3, 1.0
	s_delay_alu instid0(VALU_DEP_1) | instskip(NEXT) | instid1(VALU_DEP_1)
	v_fmac_f32_e32 v3, v4, v3
	v_mul_f32_e32 v4, v5, v3
	s_delay_alu instid0(VALU_DEP_1) | instskip(NEXT) | instid1(VALU_DEP_1)
	v_fma_f32 v6, -v2, v4, v5
	v_fmac_f32_e32 v4, v6, v3
	s_delay_alu instid0(VALU_DEP_1) | instskip(NEXT) | instid1(VALU_DEP_1)
	v_fma_f32 v2, -v2, v4, v5
	v_div_fmas_f32 v2, v2, v3, v4
	s_delay_alu instid0(VALU_DEP_1) | instskip(NEXT) | instid1(VALU_DEP_1)
	v_div_fixup_f32 v3, v2, v0, v1
	v_fmac_f32_e32 v0, v1, v3
	s_delay_alu instid0(VALU_DEP_1) | instskip(NEXT) | instid1(VALU_DEP_1)
	v_div_scale_f32 v1, null, v0, v0, 1.0
	v_rcp_f32_e32 v2, v1
	v_nop
	s_delay_alu instid0(TRANS32_DEP_1) | instskip(NEXT) | instid1(VALU_DEP_1)
	v_fma_f32 v4, -v1, v2, 1.0
	v_fmac_f32_e32 v2, v4, v2
	v_div_scale_f32 v4, vcc_lo, 1.0, v0, 1.0
	s_delay_alu instid0(VALU_DEP_1) | instskip(NEXT) | instid1(VALU_DEP_1)
	v_mul_f32_e32 v5, v4, v2
	v_fma_f32 v6, -v1, v5, v4
	s_delay_alu instid0(VALU_DEP_1) | instskip(NEXT) | instid1(VALU_DEP_1)
	v_fmac_f32_e32 v5, v6, v2
	v_fma_f32 v1, -v1, v5, v4
	s_delay_alu instid0(VALU_DEP_1) | instskip(NEXT) | instid1(VALU_DEP_1)
	v_div_fmas_f32 v1, v1, v2, v5
	v_div_fixup_f32 v2, v1, v0, 1.0
	s_delay_alu instid0(VALU_DEP_1)
	v_mul_f32_e64 v3, v3, -v2
.LBB103_160:
	s_or_b32 exec_lo, exec_lo, s1
	ds_store_b64 v117, v[2:3]
.LBB103_161:
	s_or_b32 exec_lo, exec_lo, s2
	s_wait_dscnt 0x0
	s_barrier_signal -1
	s_barrier_wait -1
	ds_load_b64 v[0:1], v117
	s_mov_b32 s1, exec_lo
	s_wait_dscnt 0x0
	scratch_store_b64 off, v[0:1], off offset:224 ; 8-byte Folded Spill
	s_wait_xcnt 0x0
	v_cmpx_lt_u32_e32 17, v116
	s_cbranch_execz .LBB103_163
; %bb.162:
	scratch_load_b64 v[4:5], off, off offset:224 ; 8-byte Folded Reload
	s_wait_loadcnt 0x0
	v_pk_mul_f32 v[2:3], v[4:5], v[74:75] op_sel:[1,1] op_sel_hi:[0,1]
	s_delay_alu instid0(VALU_DEP_1)
	v_pk_fma_f32 v[0:1], v[4:5], v[74:75], v[2:3] op_sel_hi:[1,0,1] neg_lo:[0,0,1] neg_hi:[0,0,1]
	v_pk_fma_f32 v[2:3], v[4:5], v[74:75], v[2:3] op_sel_hi:[1,0,1]
	ds_load_2addr_b64 v[4:7], v118 offset0:18 offset1:19
	v_dual_mov_b32 v74, v0 :: v_dual_mov_b32 v75, v3
	s_wait_dscnt 0x0
	v_pk_mul_f32 v[8:9], v[4:5], v[2:3] op_sel:[0,1]
	s_delay_alu instid0(VALU_DEP_1) | instskip(SKIP_1) | instid1(VALU_DEP_1)
	v_pk_fma_f32 v[10:11], v[4:5], v[0:1], v[8:9] op_sel:[0,0,1] op_sel_hi:[1,1,0] neg_lo:[0,0,1] neg_hi:[0,0,1]
	v_pk_fma_f32 v[4:5], v[4:5], v[0:1], v[8:9] op_sel:[0,0,1] op_sel_hi:[1,0,0]
	v_mov_b32_e32 v11, v5
	v_pk_mul_f32 v[4:5], v[6:7], v[2:3] op_sel:[0,1]
	s_delay_alu instid0(VALU_DEP_1) | instskip(SKIP_1) | instid1(VALU_DEP_1)
	v_pk_fma_f32 v[8:9], v[6:7], v[0:1], v[4:5] op_sel:[0,0,1] op_sel_hi:[1,1,0] neg_lo:[0,0,1] neg_hi:[0,0,1]
	v_pk_fma_f32 v[4:5], v[6:7], v[0:1], v[4:5] op_sel:[0,0,1] op_sel_hi:[1,0,0]
	v_mov_b32_e32 v9, v5
	ds_load_2addr_b64 v[4:7], v118 offset0:20 offset1:21
	v_pk_add_f32 v[76:77], v[76:77], v[10:11] neg_lo:[0,1] neg_hi:[0,1]
	v_pk_add_f32 v[72:73], v[72:73], v[8:9] neg_lo:[0,1] neg_hi:[0,1]
	s_wait_dscnt 0x0
	v_pk_mul_f32 v[8:9], v[4:5], v[2:3] op_sel:[0,1]
	s_delay_alu instid0(VALU_DEP_1) | instskip(SKIP_2) | instid1(VALU_DEP_2)
	v_pk_fma_f32 v[10:11], v[4:5], v[0:1], v[8:9] op_sel:[0,0,1] op_sel_hi:[1,1,0] neg_lo:[0,0,1] neg_hi:[0,0,1]
	v_pk_fma_f32 v[4:5], v[4:5], v[0:1], v[8:9] op_sel:[0,0,1] op_sel_hi:[1,0,0]
	v_dual_mul_f32 v8, v7, v3 :: v_dual_mov_b32 v4, v7
	v_dual_mov_b32 v11, v5 :: v_dual_mov_b32 v5, v6
	s_delay_alu instid0(VALU_DEP_2) | instskip(SKIP_1) | instid1(VALU_DEP_3)
	v_pk_fma_f32 v[8:9], v[6:7], v[74:75], v[8:9] op_sel_hi:[1,1,0] neg_lo:[0,0,1] neg_hi:[0,0,1]
	v_mul_f32_e32 v6, v7, v0
	v_pk_add_f32 v[94:95], v[94:95], v[10:11] neg_lo:[0,1] neg_hi:[0,1]
	s_delay_alu instid0(VALU_DEP_2) | instskip(NEXT) | instid1(VALU_DEP_1)
	v_pk_fma_f32 v[4:5], v[4:5], v[74:75], v[6:7] op_sel_hi:[1,1,0]
	v_mov_b32_e32 v9, v5
	ds_load_2addr_b64 v[4:7], v118 offset0:22 offset1:23
	v_pk_add_f32 v[90:91], v[90:91], v[8:9] neg_lo:[0,1] neg_hi:[0,1]
	s_wait_dscnt 0x0
	v_pk_mul_f32 v[8:9], v[4:5], v[2:3] op_sel:[0,1]
	s_delay_alu instid0(VALU_DEP_1) | instskip(SKIP_1) | instid1(VALU_DEP_1)
	v_pk_fma_f32 v[10:11], v[4:5], v[0:1], v[8:9] op_sel:[0,0,1] op_sel_hi:[1,1,0] neg_lo:[0,0,1] neg_hi:[0,0,1]
	v_pk_fma_f32 v[4:5], v[4:5], v[0:1], v[8:9] op_sel:[0,0,1] op_sel_hi:[1,0,0]
	v_mov_b32_e32 v11, v5
	v_pk_mul_f32 v[4:5], v[6:7], v[2:3] op_sel:[0,1]
	s_delay_alu instid0(VALU_DEP_1) | instskip(SKIP_1) | instid1(VALU_DEP_1)
	v_pk_fma_f32 v[8:9], v[6:7], v[0:1], v[4:5] op_sel:[0,0,1] op_sel_hi:[1,1,0] neg_lo:[0,0,1] neg_hi:[0,0,1]
	v_pk_fma_f32 v[4:5], v[6:7], v[0:1], v[4:5] op_sel:[0,0,1] op_sel_hi:[1,0,0]
	v_mov_b32_e32 v9, v5
	ds_load_2addr_b64 v[4:7], v118 offset0:24 offset1:25
	v_pk_add_f32 v[92:93], v[92:93], v[10:11] neg_lo:[0,1] neg_hi:[0,1]
	v_pk_add_f32 v[88:89], v[88:89], v[8:9] neg_lo:[0,1] neg_hi:[0,1]
	s_wait_dscnt 0x0
	v_pk_mul_f32 v[8:9], v[4:5], v[2:3] op_sel:[0,1]
	s_delay_alu instid0(VALU_DEP_1) | instskip(SKIP_1) | instid1(VALU_DEP_1)
	v_pk_fma_f32 v[10:11], v[4:5], v[0:1], v[8:9] op_sel:[0,0,1] op_sel_hi:[1,1,0] neg_lo:[0,0,1] neg_hi:[0,0,1]
	v_pk_fma_f32 v[4:5], v[4:5], v[0:1], v[8:9] op_sel:[0,0,1] op_sel_hi:[1,0,0]
	v_mov_b32_e32 v11, v5
	v_pk_mul_f32 v[4:5], v[6:7], v[2:3] op_sel:[0,1]
	s_delay_alu instid0(VALU_DEP_1) | instskip(SKIP_1) | instid1(VALU_DEP_1)
	v_pk_fma_f32 v[8:9], v[6:7], v[0:1], v[4:5] op_sel:[0,0,1] op_sel_hi:[1,1,0] neg_lo:[0,0,1] neg_hi:[0,0,1]
	v_pk_fma_f32 v[4:5], v[6:7], v[0:1], v[4:5] op_sel:[0,0,1] op_sel_hi:[1,0,0]
	v_mov_b32_e32 v9, v5
	ds_load_2addr_b64 v[4:7], v118 offset0:26 offset1:27
	v_pk_add_f32 v[112:113], v[112:113], v[10:11] neg_lo:[0,1] neg_hi:[0,1]
	v_pk_add_f32 v[108:109], v[108:109], v[8:9] neg_lo:[0,1] neg_hi:[0,1]
	s_wait_dscnt 0x0
	v_dual_mul_f32 v8, v5, v3 :: v_dual_mul_f32 v10, v5, v0
	s_delay_alu instid0(VALU_DEP_1) | instskip(NEXT) | instid1(VALU_DEP_2)
	v_pk_fma_f32 v[8:9], v[4:5], v[74:75], v[8:9] op_sel_hi:[1,1,0] neg_lo:[0,0,1] neg_hi:[0,0,1]
	v_pk_fma_f32 v[4:5], v[4:5], v[74:75], v[10:11] op_sel:[1,0,0] op_sel_hi:[0,1,0]
	s_delay_alu instid0(VALU_DEP_1) | instskip(SKIP_1) | instid1(VALU_DEP_2)
	v_mov_b32_e32 v9, v5
	v_pk_mul_f32 v[4:5], v[6:7], v[2:3] op_sel:[0,1]
	v_pk_add_f32 v[110:111], v[110:111], v[8:9] neg_lo:[0,1] neg_hi:[0,1]
	s_delay_alu instid0(VALU_DEP_2) | instskip(SKIP_1) | instid1(VALU_DEP_1)
	v_pk_fma_f32 v[8:9], v[6:7], v[0:1], v[4:5] op_sel:[0,0,1] op_sel_hi:[1,1,0] neg_lo:[0,0,1] neg_hi:[0,0,1]
	v_pk_fma_f32 v[4:5], v[6:7], v[0:1], v[4:5] op_sel:[0,0,1] op_sel_hi:[1,0,0]
	v_mov_b32_e32 v9, v5
	ds_load_2addr_b64 v[4:7], v118 offset0:28 offset1:29
	v_pk_add_f32 v[106:107], v[106:107], v[8:9] neg_lo:[0,1] neg_hi:[0,1]
	s_wait_dscnt 0x0
	v_pk_mul_f32 v[8:9], v[4:5], v[2:3] op_sel:[0,1]
	s_delay_alu instid0(VALU_DEP_1) | instskip(SKIP_1) | instid1(VALU_DEP_1)
	v_pk_fma_f32 v[10:11], v[4:5], v[0:1], v[8:9] op_sel:[0,0,1] op_sel_hi:[1,1,0] neg_lo:[0,0,1] neg_hi:[0,0,1]
	v_pk_fma_f32 v[4:5], v[4:5], v[0:1], v[8:9] op_sel:[0,0,1] op_sel_hi:[1,0,0]
	v_mov_b32_e32 v11, v5
	v_pk_mul_f32 v[4:5], v[6:7], v[2:3] op_sel:[0,1]
	s_delay_alu instid0(VALU_DEP_2) | instskip(NEXT) | instid1(VALU_DEP_2)
	v_pk_add_f32 v[128:129], v[128:129], v[10:11] neg_lo:[0,1] neg_hi:[0,1]
	v_pk_fma_f32 v[8:9], v[6:7], v[0:1], v[4:5] op_sel:[0,0,1] op_sel_hi:[1,1,0] neg_lo:[0,0,1] neg_hi:[0,0,1]
	v_pk_fma_f32 v[4:5], v[6:7], v[0:1], v[4:5] op_sel:[0,0,1] op_sel_hi:[1,0,0]
	s_delay_alu instid0(VALU_DEP_1) | instskip(SKIP_4) | instid1(VALU_DEP_1)
	v_mov_b32_e32 v9, v5
	ds_load_2addr_b64 v[4:7], v118 offset0:30 offset1:31
	v_pk_add_f32 v[124:125], v[124:125], v[8:9] neg_lo:[0,1] neg_hi:[0,1]
	s_wait_dscnt 0x0
	v_pk_mul_f32 v[8:9], v[4:5], v[2:3] op_sel:[0,1]
	v_pk_fma_f32 v[10:11], v[4:5], v[0:1], v[8:9] op_sel:[0,0,1] op_sel_hi:[1,1,0] neg_lo:[0,0,1] neg_hi:[0,0,1]
	v_pk_fma_f32 v[4:5], v[4:5], v[0:1], v[8:9] op_sel:[0,0,1] op_sel_hi:[1,0,0]
	v_dual_mul_f32 v8, v7, v3 :: v_dual_mov_b32 v4, v7
	s_delay_alu instid0(VALU_DEP_2) | instskip(NEXT) | instid1(VALU_DEP_2)
	v_dual_mov_b32 v11, v5 :: v_dual_mov_b32 v5, v6
	v_pk_fma_f32 v[8:9], v[6:7], v[74:75], v[8:9] op_sel_hi:[1,1,0] neg_lo:[0,0,1] neg_hi:[0,0,1]
	v_mul_f32_e32 v6, v7, v0
	s_delay_alu instid0(VALU_DEP_3) | instskip(NEXT) | instid1(VALU_DEP_2)
	v_pk_add_f32 v[126:127], v[126:127], v[10:11] neg_lo:[0,1] neg_hi:[0,1]
	v_pk_fma_f32 v[4:5], v[4:5], v[74:75], v[6:7] op_sel_hi:[1,1,0]
	s_delay_alu instid0(VALU_DEP_1) | instskip(SKIP_4) | instid1(VALU_DEP_1)
	v_mov_b32_e32 v9, v5
	ds_load_2addr_b64 v[4:7], v118 offset0:32 offset1:33
	v_pk_add_f32 v[122:123], v[122:123], v[8:9] neg_lo:[0,1] neg_hi:[0,1]
	s_wait_dscnt 0x0
	v_pk_mul_f32 v[8:9], v[4:5], v[2:3] op_sel:[0,1]
	v_pk_fma_f32 v[10:11], v[4:5], v[0:1], v[8:9] op_sel:[0,0,1] op_sel_hi:[1,1,0] neg_lo:[0,0,1] neg_hi:[0,0,1]
	v_pk_fma_f32 v[4:5], v[4:5], v[0:1], v[8:9] op_sel:[0,0,1] op_sel_hi:[1,0,0]
	s_delay_alu instid0(VALU_DEP_1) | instskip(SKIP_1) | instid1(VALU_DEP_1)
	v_mov_b32_e32 v11, v5
	v_pk_mul_f32 v[4:5], v[6:7], v[2:3] op_sel:[0,1]
	v_pk_fma_f32 v[8:9], v[6:7], v[0:1], v[4:5] op_sel:[0,0,1] op_sel_hi:[1,1,0] neg_lo:[0,0,1] neg_hi:[0,0,1]
	v_pk_fma_f32 v[4:5], v[6:7], v[0:1], v[4:5] op_sel:[0,0,1] op_sel_hi:[1,0,0]
	s_delay_alu instid0(VALU_DEP_1)
	v_mov_b32_e32 v9, v5
	ds_load_2addr_b64 v[4:7], v118 offset0:34 offset1:35
	v_pk_add_f32 v[146:147], v[146:147], v[10:11] neg_lo:[0,1] neg_hi:[0,1]
	v_pk_add_f32 v[142:143], v[142:143], v[8:9] neg_lo:[0,1] neg_hi:[0,1]
	s_wait_dscnt 0x0
	v_pk_mul_f32 v[8:9], v[4:5], v[2:3] op_sel:[0,1]
	s_delay_alu instid0(VALU_DEP_1) | instskip(SKIP_1) | instid1(VALU_DEP_1)
	v_pk_fma_f32 v[10:11], v[4:5], v[0:1], v[8:9] op_sel:[0,0,1] op_sel_hi:[1,1,0] neg_lo:[0,0,1] neg_hi:[0,0,1]
	v_pk_fma_f32 v[4:5], v[4:5], v[0:1], v[8:9] op_sel:[0,0,1] op_sel_hi:[1,0,0]
	v_mov_b32_e32 v11, v5
	v_pk_mul_f32 v[4:5], v[6:7], v[2:3] op_sel:[0,1]
	s_delay_alu instid0(VALU_DEP_1) | instskip(SKIP_1) | instid1(VALU_DEP_1)
	v_pk_fma_f32 v[8:9], v[6:7], v[0:1], v[4:5] op_sel:[0,0,1] op_sel_hi:[1,1,0] neg_lo:[0,0,1] neg_hi:[0,0,1]
	v_pk_fma_f32 v[4:5], v[6:7], v[0:1], v[4:5] op_sel:[0,0,1] op_sel_hi:[1,0,0]
	v_mov_b32_e32 v9, v5
	ds_load_2addr_b64 v[4:7], v118 offset0:36 offset1:37
	v_pk_add_f32 v[144:145], v[144:145], v[10:11] neg_lo:[0,1] neg_hi:[0,1]
	v_pk_add_f32 v[140:141], v[140:141], v[8:9] neg_lo:[0,1] neg_hi:[0,1]
	s_wait_dscnt 0x0
	v_dual_mul_f32 v8, v5, v3 :: v_dual_mul_f32 v10, v5, v0
	s_delay_alu instid0(VALU_DEP_1) | instskip(NEXT) | instid1(VALU_DEP_2)
	v_pk_fma_f32 v[8:9], v[4:5], v[74:75], v[8:9] op_sel_hi:[1,1,0] neg_lo:[0,0,1] neg_hi:[0,0,1]
	v_pk_fma_f32 v[4:5], v[4:5], v[74:75], v[10:11] op_sel:[1,0,0] op_sel_hi:[0,1,0]
	s_delay_alu instid0(VALU_DEP_1) | instskip(SKIP_1) | instid1(VALU_DEP_2)
	v_mov_b32_e32 v9, v5
	v_pk_mul_f32 v[4:5], v[6:7], v[2:3] op_sel:[0,1]
	v_pk_add_f32 v[162:163], v[162:163], v[8:9] neg_lo:[0,1] neg_hi:[0,1]
	s_delay_alu instid0(VALU_DEP_2) | instskip(SKIP_1) | instid1(VALU_DEP_1)
	v_pk_fma_f32 v[8:9], v[6:7], v[0:1], v[4:5] op_sel:[0,0,1] op_sel_hi:[1,1,0] neg_lo:[0,0,1] neg_hi:[0,0,1]
	v_pk_fma_f32 v[4:5], v[6:7], v[0:1], v[4:5] op_sel:[0,0,1] op_sel_hi:[1,0,0]
	v_mov_b32_e32 v9, v5
	ds_load_2addr_b64 v[4:7], v118 offset0:38 offset1:39
	v_pk_add_f32 v[158:159], v[158:159], v[8:9] neg_lo:[0,1] neg_hi:[0,1]
	s_wait_dscnt 0x0
	v_pk_mul_f32 v[8:9], v[4:5], v[2:3] op_sel:[0,1]
	s_delay_alu instid0(VALU_DEP_1) | instskip(SKIP_1) | instid1(VALU_DEP_1)
	v_pk_fma_f32 v[10:11], v[4:5], v[0:1], v[8:9] op_sel:[0,0,1] op_sel_hi:[1,1,0] neg_lo:[0,0,1] neg_hi:[0,0,1]
	v_pk_fma_f32 v[4:5], v[4:5], v[0:1], v[8:9] op_sel:[0,0,1] op_sel_hi:[1,0,0]
	v_mov_b32_e32 v11, v5
	v_pk_mul_f32 v[4:5], v[6:7], v[2:3] op_sel:[0,1]
	s_delay_alu instid0(VALU_DEP_2) | instskip(NEXT) | instid1(VALU_DEP_2)
	v_pk_add_f32 v[160:161], v[160:161], v[10:11] neg_lo:[0,1] neg_hi:[0,1]
	v_pk_fma_f32 v[8:9], v[6:7], v[0:1], v[4:5] op_sel:[0,0,1] op_sel_hi:[1,1,0] neg_lo:[0,0,1] neg_hi:[0,0,1]
	v_pk_fma_f32 v[4:5], v[6:7], v[0:1], v[4:5] op_sel:[0,0,1] op_sel_hi:[1,0,0]
	s_delay_alu instid0(VALU_DEP_1) | instskip(SKIP_4) | instid1(VALU_DEP_1)
	v_mov_b32_e32 v9, v5
	ds_load_2addr_b64 v[4:7], v118 offset0:40 offset1:41
	v_pk_add_f32 v[156:157], v[156:157], v[8:9] neg_lo:[0,1] neg_hi:[0,1]
	s_wait_dscnt 0x0
	v_pk_mul_f32 v[8:9], v[4:5], v[2:3] op_sel:[0,1]
	v_pk_fma_f32 v[10:11], v[4:5], v[0:1], v[8:9] op_sel:[0,0,1] op_sel_hi:[1,1,0] neg_lo:[0,0,1] neg_hi:[0,0,1]
	v_pk_fma_f32 v[4:5], v[4:5], v[0:1], v[8:9] op_sel:[0,0,1] op_sel_hi:[1,0,0]
	v_dual_mul_f32 v8, v7, v3 :: v_dual_mov_b32 v4, v7
	s_delay_alu instid0(VALU_DEP_2) | instskip(NEXT) | instid1(VALU_DEP_2)
	v_dual_mov_b32 v11, v5 :: v_dual_mov_b32 v5, v6
	v_pk_fma_f32 v[8:9], v[6:7], v[74:75], v[8:9] op_sel_hi:[1,1,0] neg_lo:[0,0,1] neg_hi:[0,0,1]
	v_mul_f32_e32 v6, v7, v0
	s_delay_alu instid0(VALU_DEP_3) | instskip(NEXT) | instid1(VALU_DEP_2)
	v_pk_add_f32 v[182:183], v[182:183], v[10:11] neg_lo:[0,1] neg_hi:[0,1]
	v_pk_fma_f32 v[4:5], v[4:5], v[74:75], v[6:7] op_sel_hi:[1,1,0]
	s_delay_alu instid0(VALU_DEP_1) | instskip(SKIP_4) | instid1(VALU_DEP_1)
	v_mov_b32_e32 v9, v5
	ds_load_2addr_b64 v[4:7], v118 offset0:42 offset1:43
	v_pk_add_f32 v[178:179], v[178:179], v[8:9] neg_lo:[0,1] neg_hi:[0,1]
	s_wait_dscnt 0x0
	v_pk_mul_f32 v[8:9], v[4:5], v[2:3] op_sel:[0,1]
	v_pk_fma_f32 v[10:11], v[4:5], v[0:1], v[8:9] op_sel:[0,0,1] op_sel_hi:[1,1,0] neg_lo:[0,0,1] neg_hi:[0,0,1]
	v_pk_fma_f32 v[4:5], v[4:5], v[0:1], v[8:9] op_sel:[0,0,1] op_sel_hi:[1,0,0]
	s_delay_alu instid0(VALU_DEP_1) | instskip(SKIP_1) | instid1(VALU_DEP_1)
	v_mov_b32_e32 v11, v5
	v_pk_mul_f32 v[4:5], v[6:7], v[2:3] op_sel:[0,1]
	v_pk_fma_f32 v[8:9], v[6:7], v[0:1], v[4:5] op_sel:[0,0,1] op_sel_hi:[1,1,0] neg_lo:[0,0,1] neg_hi:[0,0,1]
	v_pk_fma_f32 v[4:5], v[6:7], v[0:1], v[4:5] op_sel:[0,0,1] op_sel_hi:[1,0,0]
	s_delay_alu instid0(VALU_DEP_1)
	v_mov_b32_e32 v9, v5
	ds_load_2addr_b64 v[4:7], v118 offset0:44 offset1:45
	v_pk_add_f32 v[180:181], v[180:181], v[10:11] neg_lo:[0,1] neg_hi:[0,1]
	v_pk_add_f32 v[176:177], v[176:177], v[8:9] neg_lo:[0,1] neg_hi:[0,1]
	s_wait_dscnt 0x0
	v_pk_mul_f32 v[8:9], v[4:5], v[2:3] op_sel:[0,1]
	s_delay_alu instid0(VALU_DEP_1) | instskip(SKIP_1) | instid1(VALU_DEP_1)
	v_pk_fma_f32 v[10:11], v[4:5], v[0:1], v[8:9] op_sel:[0,0,1] op_sel_hi:[1,1,0] neg_lo:[0,0,1] neg_hi:[0,0,1]
	v_pk_fma_f32 v[4:5], v[4:5], v[0:1], v[8:9] op_sel:[0,0,1] op_sel_hi:[1,0,0]
	v_mov_b32_e32 v11, v5
	v_pk_mul_f32 v[4:5], v[6:7], v[2:3] op_sel:[0,1]
	s_delay_alu instid0(VALU_DEP_1) | instskip(SKIP_1) | instid1(VALU_DEP_1)
	v_pk_fma_f32 v[8:9], v[6:7], v[0:1], v[4:5] op_sel:[0,0,1] op_sel_hi:[1,1,0] neg_lo:[0,0,1] neg_hi:[0,0,1]
	v_pk_fma_f32 v[4:5], v[6:7], v[0:1], v[4:5] op_sel:[0,0,1] op_sel_hi:[1,0,0]
	v_mov_b32_e32 v9, v5
	ds_load_2addr_b64 v[4:7], v118 offset0:46 offset1:47
	v_pk_add_f32 v[204:205], v[204:205], v[10:11] neg_lo:[0,1] neg_hi:[0,1]
	v_pk_add_f32 v[198:199], v[198:199], v[8:9] neg_lo:[0,1] neg_hi:[0,1]
	s_wait_dscnt 0x0
	v_dual_mul_f32 v8, v5, v3 :: v_dual_mul_f32 v10, v5, v0
	s_delay_alu instid0(VALU_DEP_1) | instskip(NEXT) | instid1(VALU_DEP_2)
	v_pk_fma_f32 v[8:9], v[4:5], v[74:75], v[8:9] op_sel_hi:[1,1,0] neg_lo:[0,0,1] neg_hi:[0,0,1]
	v_pk_fma_f32 v[4:5], v[4:5], v[74:75], v[10:11] op_sel:[1,0,0] op_sel_hi:[0,1,0]
	s_delay_alu instid0(VALU_DEP_1) | instskip(SKIP_1) | instid1(VALU_DEP_2)
	v_mov_b32_e32 v9, v5
	v_pk_mul_f32 v[4:5], v[6:7], v[2:3] op_sel:[0,1]
	v_pk_add_f32 v[202:203], v[202:203], v[8:9] neg_lo:[0,1] neg_hi:[0,1]
	s_delay_alu instid0(VALU_DEP_2) | instskip(SKIP_1) | instid1(VALU_DEP_1)
	v_pk_fma_f32 v[8:9], v[6:7], v[0:1], v[4:5] op_sel:[0,0,1] op_sel_hi:[1,1,0] neg_lo:[0,0,1] neg_hi:[0,0,1]
	v_pk_fma_f32 v[4:5], v[6:7], v[0:1], v[4:5] op_sel:[0,0,1] op_sel_hi:[1,0,0]
	v_mov_b32_e32 v9, v5
	ds_load_2addr_b64 v[4:7], v118 offset0:48 offset1:49
	v_pk_add_f32 v[196:197], v[196:197], v[8:9] neg_lo:[0,1] neg_hi:[0,1]
	s_wait_dscnt 0x0
	v_pk_mul_f32 v[8:9], v[4:5], v[2:3] op_sel:[0,1]
	s_delay_alu instid0(VALU_DEP_1) | instskip(SKIP_1) | instid1(VALU_DEP_1)
	v_pk_fma_f32 v[10:11], v[4:5], v[0:1], v[8:9] op_sel:[0,0,1] op_sel_hi:[1,1,0] neg_lo:[0,0,1] neg_hi:[0,0,1]
	v_pk_fma_f32 v[4:5], v[4:5], v[0:1], v[8:9] op_sel:[0,0,1] op_sel_hi:[1,0,0]
	v_mov_b32_e32 v11, v5
	v_pk_mul_f32 v[4:5], v[6:7], v[2:3] op_sel:[0,1]
	s_delay_alu instid0(VALU_DEP_2) | instskip(NEXT) | instid1(VALU_DEP_2)
	v_pk_add_f32 v[200:201], v[200:201], v[10:11] neg_lo:[0,1] neg_hi:[0,1]
	v_pk_fma_f32 v[8:9], v[6:7], v[0:1], v[4:5] op_sel:[0,0,1] op_sel_hi:[1,1,0] neg_lo:[0,0,1] neg_hi:[0,0,1]
	v_pk_fma_f32 v[4:5], v[6:7], v[0:1], v[4:5] op_sel:[0,0,1] op_sel_hi:[1,0,0]
	s_delay_alu instid0(VALU_DEP_1)
	v_mov_b32_e32 v9, v5
	ds_load_2addr_b64 v[4:7], v118 offset0:50 offset1:51
	v_pk_add_f32 v[194:195], v[194:195], v[8:9] neg_lo:[0,1] neg_hi:[0,1]
	s_wait_dscnt 0x0
	v_pk_mul_f32 v[8:9], v[4:5], v[2:3] op_sel:[0,1]
	v_pk_mul_f32 v[2:3], v[6:7], v[2:3] op_sel:[0,1]
	s_delay_alu instid0(VALU_DEP_2) | instskip(SKIP_1) | instid1(VALU_DEP_1)
	v_pk_fma_f32 v[10:11], v[4:5], v[0:1], v[8:9] op_sel:[0,0,1] op_sel_hi:[1,1,0] neg_lo:[0,0,1] neg_hi:[0,0,1]
	v_pk_fma_f32 v[4:5], v[4:5], v[0:1], v[8:9] op_sel:[0,0,1] op_sel_hi:[1,0,0]
	v_mov_b32_e32 v11, v5
	s_delay_alu instid0(VALU_DEP_4) | instskip(SKIP_1) | instid1(VALU_DEP_3)
	v_pk_fma_f32 v[4:5], v[6:7], v[0:1], v[2:3] op_sel:[0,0,1] op_sel_hi:[1,1,0] neg_lo:[0,0,1] neg_hi:[0,0,1]
	v_pk_fma_f32 v[0:1], v[6:7], v[0:1], v[2:3] op_sel:[0,0,1] op_sel_hi:[1,0,0]
	v_pk_add_f32 v[206:207], v[206:207], v[10:11] neg_lo:[0,1] neg_hi:[0,1]
	s_delay_alu instid0(VALU_DEP_2) | instskip(NEXT) | instid1(VALU_DEP_1)
	v_mov_b32_e32 v5, v1
	v_pk_add_f32 v[208:209], v[208:209], v[4:5] neg_lo:[0,1] neg_hi:[0,1]
.LBB103_163:
	s_wait_xcnt 0x0
	s_or_b32 exec_lo, exec_lo, s1
	s_delay_alu instid0(SALU_CYCLE_1)
	s_mov_b32 s2, exec_lo
	s_wait_storecnt 0x0
	s_barrier_signal -1
	s_barrier_wait -1
	v_cmpx_eq_u32_e32 18, v116
	s_cbranch_execz .LBB103_170
; %bb.164:
	ds_store_b64 v117, v[76:77]
	ds_store_2addr_b64 v118, v[72:73], v[94:95] offset0:19 offset1:20
	ds_store_2addr_b64 v118, v[90:91], v[92:93] offset0:21 offset1:22
	;; [unrolled: 1-line block ×16, first 2 shown]
	ds_store_b64 v118, v[208:209] offset:408
	ds_load_b64 v[0:1], v117
	s_wait_dscnt 0x0
	v_cmp_neq_f32_e32 vcc_lo, 0, v0
	v_cmp_neq_f32_e64 s1, 0, v1
	s_or_b32 s1, vcc_lo, s1
	s_delay_alu instid0(SALU_CYCLE_1)
	s_and_b32 exec_lo, exec_lo, s1
	s_cbranch_execz .LBB103_170
; %bb.165:
	v_cmp_ngt_f32_e64 s1, |v0|, |v1|
                                        ; implicit-def: $vgpr2_vgpr3
	s_and_saveexec_b32 s4, s1
	s_delay_alu instid0(SALU_CYCLE_1)
	s_xor_b32 s1, exec_lo, s4
	s_cbranch_execz .LBB103_167
; %bb.166:
	v_div_scale_f32 v2, null, v1, v1, v0
	v_div_scale_f32 v5, vcc_lo, v0, v1, v0
	s_delay_alu instid0(VALU_DEP_2) | instskip(SKIP_1) | instid1(TRANS32_DEP_1)
	v_rcp_f32_e32 v3, v2
	v_nop
	v_fma_f32 v4, -v2, v3, 1.0
	s_delay_alu instid0(VALU_DEP_1) | instskip(NEXT) | instid1(VALU_DEP_1)
	v_fmac_f32_e32 v3, v4, v3
	v_mul_f32_e32 v4, v5, v3
	s_delay_alu instid0(VALU_DEP_1) | instskip(NEXT) | instid1(VALU_DEP_1)
	v_fma_f32 v6, -v2, v4, v5
	v_fmac_f32_e32 v4, v6, v3
	s_delay_alu instid0(VALU_DEP_1) | instskip(NEXT) | instid1(VALU_DEP_1)
	v_fma_f32 v2, -v2, v4, v5
	v_div_fmas_f32 v2, v2, v3, v4
	s_delay_alu instid0(VALU_DEP_1) | instskip(NEXT) | instid1(VALU_DEP_1)
	v_div_fixup_f32 v2, v2, v1, v0
	v_fmac_f32_e32 v1, v0, v2
	s_delay_alu instid0(VALU_DEP_1) | instskip(SKIP_1) | instid1(VALU_DEP_2)
	v_div_scale_f32 v0, null, v1, v1, 1.0
	v_div_scale_f32 v5, vcc_lo, 1.0, v1, 1.0
	v_rcp_f32_e32 v3, v0
	v_nop
	s_delay_alu instid0(TRANS32_DEP_1) | instskip(NEXT) | instid1(VALU_DEP_1)
	v_fma_f32 v4, -v0, v3, 1.0
	v_fmac_f32_e32 v3, v4, v3
	s_delay_alu instid0(VALU_DEP_1) | instskip(NEXT) | instid1(VALU_DEP_1)
	v_mul_f32_e32 v4, v5, v3
	v_fma_f32 v6, -v0, v4, v5
	s_delay_alu instid0(VALU_DEP_1) | instskip(NEXT) | instid1(VALU_DEP_1)
	v_fmac_f32_e32 v4, v6, v3
	v_fma_f32 v0, -v0, v4, v5
	s_delay_alu instid0(VALU_DEP_1) | instskip(NEXT) | instid1(VALU_DEP_1)
	v_div_fmas_f32 v0, v0, v3, v4
	v_div_fixup_f32 v0, v0, v1, 1.0
	s_delay_alu instid0(VALU_DEP_1)
	v_mul_f32_e32 v2, v2, v0
	v_xor_b32_e32 v3, 0x80000000, v0
                                        ; implicit-def: $vgpr0_vgpr1
.LBB103_167:
	s_and_not1_saveexec_b32 s1, s1
	s_cbranch_execz .LBB103_169
; %bb.168:
	v_div_scale_f32 v2, null, v0, v0, v1
	v_div_scale_f32 v5, vcc_lo, v1, v0, v1
	s_delay_alu instid0(VALU_DEP_2) | instskip(SKIP_1) | instid1(TRANS32_DEP_1)
	v_rcp_f32_e32 v3, v2
	v_nop
	v_fma_f32 v4, -v2, v3, 1.0
	s_delay_alu instid0(VALU_DEP_1) | instskip(NEXT) | instid1(VALU_DEP_1)
	v_fmac_f32_e32 v3, v4, v3
	v_mul_f32_e32 v4, v5, v3
	s_delay_alu instid0(VALU_DEP_1) | instskip(NEXT) | instid1(VALU_DEP_1)
	v_fma_f32 v6, -v2, v4, v5
	v_fmac_f32_e32 v4, v6, v3
	s_delay_alu instid0(VALU_DEP_1) | instskip(NEXT) | instid1(VALU_DEP_1)
	v_fma_f32 v2, -v2, v4, v5
	v_div_fmas_f32 v2, v2, v3, v4
	s_delay_alu instid0(VALU_DEP_1) | instskip(NEXT) | instid1(VALU_DEP_1)
	v_div_fixup_f32 v3, v2, v0, v1
	v_fmac_f32_e32 v0, v1, v3
	s_delay_alu instid0(VALU_DEP_1) | instskip(NEXT) | instid1(VALU_DEP_1)
	v_div_scale_f32 v1, null, v0, v0, 1.0
	v_rcp_f32_e32 v2, v1
	v_nop
	s_delay_alu instid0(TRANS32_DEP_1) | instskip(NEXT) | instid1(VALU_DEP_1)
	v_fma_f32 v4, -v1, v2, 1.0
	v_fmac_f32_e32 v2, v4, v2
	v_div_scale_f32 v4, vcc_lo, 1.0, v0, 1.0
	s_delay_alu instid0(VALU_DEP_1) | instskip(NEXT) | instid1(VALU_DEP_1)
	v_mul_f32_e32 v5, v4, v2
	v_fma_f32 v6, -v1, v5, v4
	s_delay_alu instid0(VALU_DEP_1) | instskip(NEXT) | instid1(VALU_DEP_1)
	v_fmac_f32_e32 v5, v6, v2
	v_fma_f32 v1, -v1, v5, v4
	s_delay_alu instid0(VALU_DEP_1) | instskip(NEXT) | instid1(VALU_DEP_1)
	v_div_fmas_f32 v1, v1, v2, v5
	v_div_fixup_f32 v2, v1, v0, 1.0
	s_delay_alu instid0(VALU_DEP_1)
	v_mul_f32_e64 v3, v3, -v2
.LBB103_169:
	s_or_b32 exec_lo, exec_lo, s1
	ds_store_b64 v117, v[2:3]
.LBB103_170:
	s_or_b32 exec_lo, exec_lo, s2
	s_wait_dscnt 0x0
	s_barrier_signal -1
	s_barrier_wait -1
	ds_load_b64 v[0:1], v117
	s_mov_b32 s1, exec_lo
	s_wait_dscnt 0x0
	scratch_store_b64 off, v[0:1], off offset:232 ; 8-byte Folded Spill
	s_wait_xcnt 0x0
	v_cmpx_lt_u32_e32 18, v116
	s_cbranch_execz .LBB103_172
; %bb.171:
	scratch_load_b64 v[4:5], off, off offset:232 ; 8-byte Folded Reload
	s_wait_loadcnt 0x0
	v_pk_mul_f32 v[2:3], v[4:5], v[76:77] op_sel:[1,1] op_sel_hi:[0,1]
	s_delay_alu instid0(VALU_DEP_1)
	v_pk_fma_f32 v[0:1], v[4:5], v[76:77], v[2:3] op_sel_hi:[1,0,1] neg_lo:[0,0,1] neg_hi:[0,0,1]
	v_pk_fma_f32 v[2:3], v[4:5], v[76:77], v[2:3] op_sel_hi:[1,0,1]
	ds_load_2addr_b64 v[4:7], v118 offset0:19 offset1:20
	v_dual_mov_b32 v76, v0 :: v_dual_mov_b32 v77, v3
	s_wait_dscnt 0x0
	v_pk_mul_f32 v[8:9], v[4:5], v[2:3] op_sel:[0,1]
	s_delay_alu instid0(VALU_DEP_1) | instskip(SKIP_1) | instid1(VALU_DEP_1)
	v_pk_fma_f32 v[10:11], v[4:5], v[0:1], v[8:9] op_sel:[0,0,1] op_sel_hi:[1,1,0] neg_lo:[0,0,1] neg_hi:[0,0,1]
	v_pk_fma_f32 v[4:5], v[4:5], v[0:1], v[8:9] op_sel:[0,0,1] op_sel_hi:[1,0,0]
	v_mov_b32_e32 v11, v5
	v_pk_mul_f32 v[4:5], v[6:7], v[2:3] op_sel:[0,1]
	s_delay_alu instid0(VALU_DEP_1) | instskip(SKIP_1) | instid1(VALU_DEP_1)
	v_pk_fma_f32 v[8:9], v[6:7], v[0:1], v[4:5] op_sel:[0,0,1] op_sel_hi:[1,1,0] neg_lo:[0,0,1] neg_hi:[0,0,1]
	v_pk_fma_f32 v[4:5], v[6:7], v[0:1], v[4:5] op_sel:[0,0,1] op_sel_hi:[1,0,0]
	v_mov_b32_e32 v9, v5
	ds_load_2addr_b64 v[4:7], v118 offset0:21 offset1:22
	v_pk_add_f32 v[72:73], v[72:73], v[10:11] neg_lo:[0,1] neg_hi:[0,1]
	v_pk_add_f32 v[94:95], v[94:95], v[8:9] neg_lo:[0,1] neg_hi:[0,1]
	s_wait_dscnt 0x0
	v_pk_mul_f32 v[8:9], v[4:5], v[2:3] op_sel:[0,1]
	s_delay_alu instid0(VALU_DEP_1) | instskip(SKIP_2) | instid1(VALU_DEP_2)
	v_pk_fma_f32 v[10:11], v[4:5], v[0:1], v[8:9] op_sel:[0,0,1] op_sel_hi:[1,1,0] neg_lo:[0,0,1] neg_hi:[0,0,1]
	v_pk_fma_f32 v[4:5], v[4:5], v[0:1], v[8:9] op_sel:[0,0,1] op_sel_hi:[1,0,0]
	v_dual_mul_f32 v8, v7, v3 :: v_dual_mov_b32 v4, v7
	v_dual_mov_b32 v11, v5 :: v_dual_mov_b32 v5, v6
	s_delay_alu instid0(VALU_DEP_2) | instskip(SKIP_1) | instid1(VALU_DEP_3)
	v_pk_fma_f32 v[8:9], v[6:7], v[76:77], v[8:9] op_sel_hi:[1,1,0] neg_lo:[0,0,1] neg_hi:[0,0,1]
	v_mul_f32_e32 v6, v7, v0
	v_pk_add_f32 v[90:91], v[90:91], v[10:11] neg_lo:[0,1] neg_hi:[0,1]
	s_delay_alu instid0(VALU_DEP_2) | instskip(NEXT) | instid1(VALU_DEP_1)
	v_pk_fma_f32 v[4:5], v[4:5], v[76:77], v[6:7] op_sel_hi:[1,1,0]
	v_mov_b32_e32 v9, v5
	ds_load_2addr_b64 v[4:7], v118 offset0:23 offset1:24
	v_pk_add_f32 v[92:93], v[92:93], v[8:9] neg_lo:[0,1] neg_hi:[0,1]
	s_wait_dscnt 0x0
	v_pk_mul_f32 v[8:9], v[4:5], v[2:3] op_sel:[0,1]
	s_delay_alu instid0(VALU_DEP_1) | instskip(SKIP_1) | instid1(VALU_DEP_1)
	v_pk_fma_f32 v[10:11], v[4:5], v[0:1], v[8:9] op_sel:[0,0,1] op_sel_hi:[1,1,0] neg_lo:[0,0,1] neg_hi:[0,0,1]
	v_pk_fma_f32 v[4:5], v[4:5], v[0:1], v[8:9] op_sel:[0,0,1] op_sel_hi:[1,0,0]
	v_mov_b32_e32 v11, v5
	v_pk_mul_f32 v[4:5], v[6:7], v[2:3] op_sel:[0,1]
	s_delay_alu instid0(VALU_DEP_1) | instskip(SKIP_1) | instid1(VALU_DEP_1)
	v_pk_fma_f32 v[8:9], v[6:7], v[0:1], v[4:5] op_sel:[0,0,1] op_sel_hi:[1,1,0] neg_lo:[0,0,1] neg_hi:[0,0,1]
	v_pk_fma_f32 v[4:5], v[6:7], v[0:1], v[4:5] op_sel:[0,0,1] op_sel_hi:[1,0,0]
	v_mov_b32_e32 v9, v5
	ds_load_2addr_b64 v[4:7], v118 offset0:25 offset1:26
	v_pk_add_f32 v[88:89], v[88:89], v[10:11] neg_lo:[0,1] neg_hi:[0,1]
	v_pk_add_f32 v[112:113], v[112:113], v[8:9] neg_lo:[0,1] neg_hi:[0,1]
	s_wait_dscnt 0x0
	v_pk_mul_f32 v[8:9], v[4:5], v[2:3] op_sel:[0,1]
	s_delay_alu instid0(VALU_DEP_1) | instskip(SKIP_1) | instid1(VALU_DEP_1)
	v_pk_fma_f32 v[10:11], v[4:5], v[0:1], v[8:9] op_sel:[0,0,1] op_sel_hi:[1,1,0] neg_lo:[0,0,1] neg_hi:[0,0,1]
	v_pk_fma_f32 v[4:5], v[4:5], v[0:1], v[8:9] op_sel:[0,0,1] op_sel_hi:[1,0,0]
	v_mov_b32_e32 v11, v5
	v_pk_mul_f32 v[4:5], v[6:7], v[2:3] op_sel:[0,1]
	s_delay_alu instid0(VALU_DEP_1) | instskip(SKIP_1) | instid1(VALU_DEP_1)
	v_pk_fma_f32 v[8:9], v[6:7], v[0:1], v[4:5] op_sel:[0,0,1] op_sel_hi:[1,1,0] neg_lo:[0,0,1] neg_hi:[0,0,1]
	v_pk_fma_f32 v[4:5], v[6:7], v[0:1], v[4:5] op_sel:[0,0,1] op_sel_hi:[1,0,0]
	v_mov_b32_e32 v9, v5
	ds_load_2addr_b64 v[4:7], v118 offset0:27 offset1:28
	v_pk_add_f32 v[108:109], v[108:109], v[10:11] neg_lo:[0,1] neg_hi:[0,1]
	v_pk_add_f32 v[110:111], v[110:111], v[8:9] neg_lo:[0,1] neg_hi:[0,1]
	s_wait_dscnt 0x0
	v_dual_mul_f32 v8, v5, v3 :: v_dual_mul_f32 v10, v5, v0
	s_delay_alu instid0(VALU_DEP_1) | instskip(NEXT) | instid1(VALU_DEP_2)
	v_pk_fma_f32 v[8:9], v[4:5], v[76:77], v[8:9] op_sel_hi:[1,1,0] neg_lo:[0,0,1] neg_hi:[0,0,1]
	v_pk_fma_f32 v[4:5], v[4:5], v[76:77], v[10:11] op_sel:[1,0,0] op_sel_hi:[0,1,0]
	s_delay_alu instid0(VALU_DEP_1) | instskip(SKIP_1) | instid1(VALU_DEP_2)
	v_mov_b32_e32 v9, v5
	v_pk_mul_f32 v[4:5], v[6:7], v[2:3] op_sel:[0,1]
	v_pk_add_f32 v[106:107], v[106:107], v[8:9] neg_lo:[0,1] neg_hi:[0,1]
	s_delay_alu instid0(VALU_DEP_2) | instskip(SKIP_1) | instid1(VALU_DEP_1)
	v_pk_fma_f32 v[8:9], v[6:7], v[0:1], v[4:5] op_sel:[0,0,1] op_sel_hi:[1,1,0] neg_lo:[0,0,1] neg_hi:[0,0,1]
	v_pk_fma_f32 v[4:5], v[6:7], v[0:1], v[4:5] op_sel:[0,0,1] op_sel_hi:[1,0,0]
	v_mov_b32_e32 v9, v5
	ds_load_2addr_b64 v[4:7], v118 offset0:29 offset1:30
	v_pk_add_f32 v[128:129], v[128:129], v[8:9] neg_lo:[0,1] neg_hi:[0,1]
	s_wait_dscnt 0x0
	v_pk_mul_f32 v[8:9], v[4:5], v[2:3] op_sel:[0,1]
	s_delay_alu instid0(VALU_DEP_1) | instskip(SKIP_1) | instid1(VALU_DEP_1)
	v_pk_fma_f32 v[10:11], v[4:5], v[0:1], v[8:9] op_sel:[0,0,1] op_sel_hi:[1,1,0] neg_lo:[0,0,1] neg_hi:[0,0,1]
	v_pk_fma_f32 v[4:5], v[4:5], v[0:1], v[8:9] op_sel:[0,0,1] op_sel_hi:[1,0,0]
	v_mov_b32_e32 v11, v5
	v_pk_mul_f32 v[4:5], v[6:7], v[2:3] op_sel:[0,1]
	s_delay_alu instid0(VALU_DEP_2) | instskip(NEXT) | instid1(VALU_DEP_2)
	v_pk_add_f32 v[124:125], v[124:125], v[10:11] neg_lo:[0,1] neg_hi:[0,1]
	v_pk_fma_f32 v[8:9], v[6:7], v[0:1], v[4:5] op_sel:[0,0,1] op_sel_hi:[1,1,0] neg_lo:[0,0,1] neg_hi:[0,0,1]
	v_pk_fma_f32 v[4:5], v[6:7], v[0:1], v[4:5] op_sel:[0,0,1] op_sel_hi:[1,0,0]
	s_delay_alu instid0(VALU_DEP_1) | instskip(SKIP_4) | instid1(VALU_DEP_1)
	v_mov_b32_e32 v9, v5
	ds_load_2addr_b64 v[4:7], v118 offset0:31 offset1:32
	v_pk_add_f32 v[126:127], v[126:127], v[8:9] neg_lo:[0,1] neg_hi:[0,1]
	s_wait_dscnt 0x0
	v_pk_mul_f32 v[8:9], v[4:5], v[2:3] op_sel:[0,1]
	v_pk_fma_f32 v[10:11], v[4:5], v[0:1], v[8:9] op_sel:[0,0,1] op_sel_hi:[1,1,0] neg_lo:[0,0,1] neg_hi:[0,0,1]
	v_pk_fma_f32 v[4:5], v[4:5], v[0:1], v[8:9] op_sel:[0,0,1] op_sel_hi:[1,0,0]
	v_dual_mul_f32 v8, v7, v3 :: v_dual_mov_b32 v4, v7
	s_delay_alu instid0(VALU_DEP_2) | instskip(NEXT) | instid1(VALU_DEP_2)
	v_dual_mov_b32 v11, v5 :: v_dual_mov_b32 v5, v6
	v_pk_fma_f32 v[8:9], v[6:7], v[76:77], v[8:9] op_sel_hi:[1,1,0] neg_lo:[0,0,1] neg_hi:[0,0,1]
	v_mul_f32_e32 v6, v7, v0
	s_delay_alu instid0(VALU_DEP_3) | instskip(NEXT) | instid1(VALU_DEP_2)
	v_pk_add_f32 v[122:123], v[122:123], v[10:11] neg_lo:[0,1] neg_hi:[0,1]
	v_pk_fma_f32 v[4:5], v[4:5], v[76:77], v[6:7] op_sel_hi:[1,1,0]
	s_delay_alu instid0(VALU_DEP_1) | instskip(SKIP_4) | instid1(VALU_DEP_1)
	v_mov_b32_e32 v9, v5
	ds_load_2addr_b64 v[4:7], v118 offset0:33 offset1:34
	v_pk_add_f32 v[146:147], v[146:147], v[8:9] neg_lo:[0,1] neg_hi:[0,1]
	s_wait_dscnt 0x0
	v_pk_mul_f32 v[8:9], v[4:5], v[2:3] op_sel:[0,1]
	v_pk_fma_f32 v[10:11], v[4:5], v[0:1], v[8:9] op_sel:[0,0,1] op_sel_hi:[1,1,0] neg_lo:[0,0,1] neg_hi:[0,0,1]
	v_pk_fma_f32 v[4:5], v[4:5], v[0:1], v[8:9] op_sel:[0,0,1] op_sel_hi:[1,0,0]
	s_delay_alu instid0(VALU_DEP_1) | instskip(SKIP_1) | instid1(VALU_DEP_1)
	v_mov_b32_e32 v11, v5
	v_pk_mul_f32 v[4:5], v[6:7], v[2:3] op_sel:[0,1]
	v_pk_fma_f32 v[8:9], v[6:7], v[0:1], v[4:5] op_sel:[0,0,1] op_sel_hi:[1,1,0] neg_lo:[0,0,1] neg_hi:[0,0,1]
	v_pk_fma_f32 v[4:5], v[6:7], v[0:1], v[4:5] op_sel:[0,0,1] op_sel_hi:[1,0,0]
	s_delay_alu instid0(VALU_DEP_1)
	v_mov_b32_e32 v9, v5
	ds_load_2addr_b64 v[4:7], v118 offset0:35 offset1:36
	v_pk_add_f32 v[142:143], v[142:143], v[10:11] neg_lo:[0,1] neg_hi:[0,1]
	v_pk_add_f32 v[144:145], v[144:145], v[8:9] neg_lo:[0,1] neg_hi:[0,1]
	s_wait_dscnt 0x0
	v_pk_mul_f32 v[8:9], v[4:5], v[2:3] op_sel:[0,1]
	s_delay_alu instid0(VALU_DEP_1) | instskip(SKIP_1) | instid1(VALU_DEP_1)
	v_pk_fma_f32 v[10:11], v[4:5], v[0:1], v[8:9] op_sel:[0,0,1] op_sel_hi:[1,1,0] neg_lo:[0,0,1] neg_hi:[0,0,1]
	v_pk_fma_f32 v[4:5], v[4:5], v[0:1], v[8:9] op_sel:[0,0,1] op_sel_hi:[1,0,0]
	v_mov_b32_e32 v11, v5
	v_pk_mul_f32 v[4:5], v[6:7], v[2:3] op_sel:[0,1]
	s_delay_alu instid0(VALU_DEP_1) | instskip(SKIP_1) | instid1(VALU_DEP_1)
	v_pk_fma_f32 v[8:9], v[6:7], v[0:1], v[4:5] op_sel:[0,0,1] op_sel_hi:[1,1,0] neg_lo:[0,0,1] neg_hi:[0,0,1]
	v_pk_fma_f32 v[4:5], v[6:7], v[0:1], v[4:5] op_sel:[0,0,1] op_sel_hi:[1,0,0]
	v_mov_b32_e32 v9, v5
	ds_load_2addr_b64 v[4:7], v118 offset0:37 offset1:38
	v_pk_add_f32 v[140:141], v[140:141], v[10:11] neg_lo:[0,1] neg_hi:[0,1]
	v_pk_add_f32 v[162:163], v[162:163], v[8:9] neg_lo:[0,1] neg_hi:[0,1]
	s_wait_dscnt 0x0
	v_dual_mul_f32 v8, v5, v3 :: v_dual_mul_f32 v10, v5, v0
	s_delay_alu instid0(VALU_DEP_1) | instskip(NEXT) | instid1(VALU_DEP_2)
	v_pk_fma_f32 v[8:9], v[4:5], v[76:77], v[8:9] op_sel_hi:[1,1,0] neg_lo:[0,0,1] neg_hi:[0,0,1]
	v_pk_fma_f32 v[4:5], v[4:5], v[76:77], v[10:11] op_sel:[1,0,0] op_sel_hi:[0,1,0]
	s_delay_alu instid0(VALU_DEP_1) | instskip(SKIP_1) | instid1(VALU_DEP_2)
	v_mov_b32_e32 v9, v5
	v_pk_mul_f32 v[4:5], v[6:7], v[2:3] op_sel:[0,1]
	v_pk_add_f32 v[158:159], v[158:159], v[8:9] neg_lo:[0,1] neg_hi:[0,1]
	s_delay_alu instid0(VALU_DEP_2) | instskip(SKIP_1) | instid1(VALU_DEP_1)
	v_pk_fma_f32 v[8:9], v[6:7], v[0:1], v[4:5] op_sel:[0,0,1] op_sel_hi:[1,1,0] neg_lo:[0,0,1] neg_hi:[0,0,1]
	v_pk_fma_f32 v[4:5], v[6:7], v[0:1], v[4:5] op_sel:[0,0,1] op_sel_hi:[1,0,0]
	v_mov_b32_e32 v9, v5
	ds_load_2addr_b64 v[4:7], v118 offset0:39 offset1:40
	v_pk_add_f32 v[160:161], v[160:161], v[8:9] neg_lo:[0,1] neg_hi:[0,1]
	s_wait_dscnt 0x0
	v_pk_mul_f32 v[8:9], v[4:5], v[2:3] op_sel:[0,1]
	s_delay_alu instid0(VALU_DEP_1) | instskip(SKIP_1) | instid1(VALU_DEP_1)
	v_pk_fma_f32 v[10:11], v[4:5], v[0:1], v[8:9] op_sel:[0,0,1] op_sel_hi:[1,1,0] neg_lo:[0,0,1] neg_hi:[0,0,1]
	v_pk_fma_f32 v[4:5], v[4:5], v[0:1], v[8:9] op_sel:[0,0,1] op_sel_hi:[1,0,0]
	v_mov_b32_e32 v11, v5
	v_pk_mul_f32 v[4:5], v[6:7], v[2:3] op_sel:[0,1]
	s_delay_alu instid0(VALU_DEP_2) | instskip(NEXT) | instid1(VALU_DEP_2)
	v_pk_add_f32 v[156:157], v[156:157], v[10:11] neg_lo:[0,1] neg_hi:[0,1]
	v_pk_fma_f32 v[8:9], v[6:7], v[0:1], v[4:5] op_sel:[0,0,1] op_sel_hi:[1,1,0] neg_lo:[0,0,1] neg_hi:[0,0,1]
	v_pk_fma_f32 v[4:5], v[6:7], v[0:1], v[4:5] op_sel:[0,0,1] op_sel_hi:[1,0,0]
	s_delay_alu instid0(VALU_DEP_1) | instskip(SKIP_4) | instid1(VALU_DEP_1)
	v_mov_b32_e32 v9, v5
	ds_load_2addr_b64 v[4:7], v118 offset0:41 offset1:42
	v_pk_add_f32 v[182:183], v[182:183], v[8:9] neg_lo:[0,1] neg_hi:[0,1]
	s_wait_dscnt 0x0
	v_pk_mul_f32 v[8:9], v[4:5], v[2:3] op_sel:[0,1]
	v_pk_fma_f32 v[10:11], v[4:5], v[0:1], v[8:9] op_sel:[0,0,1] op_sel_hi:[1,1,0] neg_lo:[0,0,1] neg_hi:[0,0,1]
	v_pk_fma_f32 v[4:5], v[4:5], v[0:1], v[8:9] op_sel:[0,0,1] op_sel_hi:[1,0,0]
	v_dual_mul_f32 v8, v7, v3 :: v_dual_mov_b32 v4, v7
	s_delay_alu instid0(VALU_DEP_2) | instskip(NEXT) | instid1(VALU_DEP_2)
	v_dual_mov_b32 v11, v5 :: v_dual_mov_b32 v5, v6
	v_pk_fma_f32 v[8:9], v[6:7], v[76:77], v[8:9] op_sel_hi:[1,1,0] neg_lo:[0,0,1] neg_hi:[0,0,1]
	v_mul_f32_e32 v6, v7, v0
	s_delay_alu instid0(VALU_DEP_3) | instskip(NEXT) | instid1(VALU_DEP_2)
	v_pk_add_f32 v[178:179], v[178:179], v[10:11] neg_lo:[0,1] neg_hi:[0,1]
	v_pk_fma_f32 v[4:5], v[4:5], v[76:77], v[6:7] op_sel_hi:[1,1,0]
	s_delay_alu instid0(VALU_DEP_1) | instskip(SKIP_4) | instid1(VALU_DEP_1)
	v_mov_b32_e32 v9, v5
	ds_load_2addr_b64 v[4:7], v118 offset0:43 offset1:44
	v_pk_add_f32 v[180:181], v[180:181], v[8:9] neg_lo:[0,1] neg_hi:[0,1]
	s_wait_dscnt 0x0
	v_pk_mul_f32 v[8:9], v[4:5], v[2:3] op_sel:[0,1]
	v_pk_fma_f32 v[10:11], v[4:5], v[0:1], v[8:9] op_sel:[0,0,1] op_sel_hi:[1,1,0] neg_lo:[0,0,1] neg_hi:[0,0,1]
	v_pk_fma_f32 v[4:5], v[4:5], v[0:1], v[8:9] op_sel:[0,0,1] op_sel_hi:[1,0,0]
	s_delay_alu instid0(VALU_DEP_1) | instskip(SKIP_1) | instid1(VALU_DEP_1)
	v_mov_b32_e32 v11, v5
	v_pk_mul_f32 v[4:5], v[6:7], v[2:3] op_sel:[0,1]
	v_pk_fma_f32 v[8:9], v[6:7], v[0:1], v[4:5] op_sel:[0,0,1] op_sel_hi:[1,1,0] neg_lo:[0,0,1] neg_hi:[0,0,1]
	v_pk_fma_f32 v[4:5], v[6:7], v[0:1], v[4:5] op_sel:[0,0,1] op_sel_hi:[1,0,0]
	s_delay_alu instid0(VALU_DEP_1)
	v_mov_b32_e32 v9, v5
	ds_load_2addr_b64 v[4:7], v118 offset0:45 offset1:46
	v_pk_add_f32 v[176:177], v[176:177], v[10:11] neg_lo:[0,1] neg_hi:[0,1]
	v_pk_add_f32 v[204:205], v[204:205], v[8:9] neg_lo:[0,1] neg_hi:[0,1]
	s_wait_dscnt 0x0
	v_pk_mul_f32 v[8:9], v[4:5], v[2:3] op_sel:[0,1]
	s_delay_alu instid0(VALU_DEP_1) | instskip(SKIP_1) | instid1(VALU_DEP_1)
	v_pk_fma_f32 v[10:11], v[4:5], v[0:1], v[8:9] op_sel:[0,0,1] op_sel_hi:[1,1,0] neg_lo:[0,0,1] neg_hi:[0,0,1]
	v_pk_fma_f32 v[4:5], v[4:5], v[0:1], v[8:9] op_sel:[0,0,1] op_sel_hi:[1,0,0]
	v_mov_b32_e32 v11, v5
	v_pk_mul_f32 v[4:5], v[6:7], v[2:3] op_sel:[0,1]
	s_delay_alu instid0(VALU_DEP_1) | instskip(SKIP_1) | instid1(VALU_DEP_1)
	v_pk_fma_f32 v[8:9], v[6:7], v[0:1], v[4:5] op_sel:[0,0,1] op_sel_hi:[1,1,0] neg_lo:[0,0,1] neg_hi:[0,0,1]
	v_pk_fma_f32 v[4:5], v[6:7], v[0:1], v[4:5] op_sel:[0,0,1] op_sel_hi:[1,0,0]
	v_mov_b32_e32 v9, v5
	ds_load_2addr_b64 v[4:7], v118 offset0:47 offset1:48
	v_pk_add_f32 v[198:199], v[198:199], v[10:11] neg_lo:[0,1] neg_hi:[0,1]
	v_pk_add_f32 v[202:203], v[202:203], v[8:9] neg_lo:[0,1] neg_hi:[0,1]
	s_wait_dscnt 0x0
	v_dual_mul_f32 v8, v5, v3 :: v_dual_mul_f32 v10, v5, v0
	s_delay_alu instid0(VALU_DEP_1) | instskip(NEXT) | instid1(VALU_DEP_2)
	v_pk_fma_f32 v[8:9], v[4:5], v[76:77], v[8:9] op_sel_hi:[1,1,0] neg_lo:[0,0,1] neg_hi:[0,0,1]
	v_pk_fma_f32 v[4:5], v[4:5], v[76:77], v[10:11] op_sel:[1,0,0] op_sel_hi:[0,1,0]
	s_delay_alu instid0(VALU_DEP_1) | instskip(SKIP_1) | instid1(VALU_DEP_2)
	v_mov_b32_e32 v9, v5
	v_pk_mul_f32 v[4:5], v[6:7], v[2:3] op_sel:[0,1]
	v_pk_add_f32 v[196:197], v[196:197], v[8:9] neg_lo:[0,1] neg_hi:[0,1]
	s_delay_alu instid0(VALU_DEP_2) | instskip(SKIP_1) | instid1(VALU_DEP_1)
	v_pk_fma_f32 v[8:9], v[6:7], v[0:1], v[4:5] op_sel:[0,0,1] op_sel_hi:[1,1,0] neg_lo:[0,0,1] neg_hi:[0,0,1]
	v_pk_fma_f32 v[4:5], v[6:7], v[0:1], v[4:5] op_sel:[0,0,1] op_sel_hi:[1,0,0]
	v_mov_b32_e32 v9, v5
	ds_load_2addr_b64 v[4:7], v118 offset0:49 offset1:50
	v_pk_add_f32 v[200:201], v[200:201], v[8:9] neg_lo:[0,1] neg_hi:[0,1]
	s_wait_dscnt 0x0
	v_pk_mul_f32 v[8:9], v[4:5], v[2:3] op_sel:[0,1]
	s_delay_alu instid0(VALU_DEP_1) | instskip(SKIP_1) | instid1(VALU_DEP_1)
	v_pk_fma_f32 v[10:11], v[4:5], v[0:1], v[8:9] op_sel:[0,0,1] op_sel_hi:[1,1,0] neg_lo:[0,0,1] neg_hi:[0,0,1]
	v_pk_fma_f32 v[4:5], v[4:5], v[0:1], v[8:9] op_sel:[0,0,1] op_sel_hi:[1,0,0]
	v_mov_b32_e32 v11, v5
	v_pk_mul_f32 v[4:5], v[6:7], v[2:3] op_sel:[0,1]
	s_delay_alu instid0(VALU_DEP_2) | instskip(NEXT) | instid1(VALU_DEP_2)
	v_pk_add_f32 v[194:195], v[194:195], v[10:11] neg_lo:[0,1] neg_hi:[0,1]
	v_pk_fma_f32 v[8:9], v[6:7], v[0:1], v[4:5] op_sel:[0,0,1] op_sel_hi:[1,1,0] neg_lo:[0,0,1] neg_hi:[0,0,1]
	v_pk_fma_f32 v[4:5], v[6:7], v[0:1], v[4:5] op_sel:[0,0,1] op_sel_hi:[1,0,0]
	s_delay_alu instid0(VALU_DEP_1) | instskip(SKIP_4) | instid1(VALU_DEP_1)
	v_mov_b32_e32 v9, v5
	ds_load_b64 v[4:5], v118 offset:408
	v_pk_add_f32 v[206:207], v[206:207], v[8:9] neg_lo:[0,1] neg_hi:[0,1]
	s_wait_dscnt 0x0
	v_pk_mul_f32 v[2:3], v[4:5], v[2:3] op_sel:[0,1]
	v_pk_fma_f32 v[6:7], v[4:5], v[0:1], v[2:3] op_sel:[0,0,1] op_sel_hi:[1,1,0] neg_lo:[0,0,1] neg_hi:[0,0,1]
	v_pk_fma_f32 v[0:1], v[4:5], v[0:1], v[2:3] op_sel:[0,0,1] op_sel_hi:[1,0,0]
	s_delay_alu instid0(VALU_DEP_1) | instskip(NEXT) | instid1(VALU_DEP_1)
	v_mov_b32_e32 v7, v1
	v_pk_add_f32 v[208:209], v[208:209], v[6:7] neg_lo:[0,1] neg_hi:[0,1]
.LBB103_172:
	s_wait_xcnt 0x0
	s_or_b32 exec_lo, exec_lo, s1
	s_delay_alu instid0(SALU_CYCLE_1)
	s_mov_b32 s2, exec_lo
	s_wait_storecnt 0x0
	s_barrier_signal -1
	s_barrier_wait -1
	v_cmpx_eq_u32_e32 19, v116
	s_cbranch_execz .LBB103_179
; %bb.173:
	v_dual_mov_b32 v0, v94 :: v_dual_mov_b32 v1, v95
	v_dual_mov_b32 v2, v90 :: v_dual_mov_b32 v3, v91
	ds_store_b64 v117, v[72:73]
	ds_store_2addr_b64 v118, v[0:1], v[2:3] offset0:20 offset1:21
	v_dual_mov_b32 v0, v92 :: v_dual_mov_b32 v1, v93
	v_dual_mov_b32 v2, v88 :: v_dual_mov_b32 v3, v89
	ds_store_2addr_b64 v118, v[0:1], v[2:3] offset0:22 offset1:23
	v_dual_mov_b32 v0, v112 :: v_dual_mov_b32 v1, v113
	v_dual_mov_b32 v2, v108 :: v_dual_mov_b32 v3, v109
	;; [unrolled: 3-line block ×14, first 2 shown]
	ds_store_2addr_b64 v118, v[0:1], v[2:3] offset0:48 offset1:49
	v_dual_mov_b32 v0, v206 :: v_dual_mov_b32 v1, v207
	ds_store_2addr_b64 v118, v[0:1], v[208:209] offset0:50 offset1:51
	ds_load_b64 v[0:1], v117
	s_wait_dscnt 0x0
	v_cmp_neq_f32_e32 vcc_lo, 0, v0
	v_cmp_neq_f32_e64 s1, 0, v1
	s_or_b32 s1, vcc_lo, s1
	s_delay_alu instid0(SALU_CYCLE_1)
	s_and_b32 exec_lo, exec_lo, s1
	s_cbranch_execz .LBB103_179
; %bb.174:
	v_cmp_ngt_f32_e64 s1, |v0|, |v1|
                                        ; implicit-def: $vgpr2_vgpr3
	s_and_saveexec_b32 s4, s1
	s_delay_alu instid0(SALU_CYCLE_1)
	s_xor_b32 s1, exec_lo, s4
	s_cbranch_execz .LBB103_176
; %bb.175:
	v_div_scale_f32 v2, null, v1, v1, v0
	v_div_scale_f32 v5, vcc_lo, v0, v1, v0
	s_delay_alu instid0(VALU_DEP_2) | instskip(SKIP_1) | instid1(TRANS32_DEP_1)
	v_rcp_f32_e32 v3, v2
	v_nop
	v_fma_f32 v4, -v2, v3, 1.0
	s_delay_alu instid0(VALU_DEP_1) | instskip(NEXT) | instid1(VALU_DEP_1)
	v_fmac_f32_e32 v3, v4, v3
	v_mul_f32_e32 v4, v5, v3
	s_delay_alu instid0(VALU_DEP_1) | instskip(NEXT) | instid1(VALU_DEP_1)
	v_fma_f32 v6, -v2, v4, v5
	v_fmac_f32_e32 v4, v6, v3
	s_delay_alu instid0(VALU_DEP_1) | instskip(NEXT) | instid1(VALU_DEP_1)
	v_fma_f32 v2, -v2, v4, v5
	v_div_fmas_f32 v2, v2, v3, v4
	s_delay_alu instid0(VALU_DEP_1) | instskip(NEXT) | instid1(VALU_DEP_1)
	v_div_fixup_f32 v2, v2, v1, v0
	v_fmac_f32_e32 v1, v0, v2
	s_delay_alu instid0(VALU_DEP_1) | instskip(SKIP_1) | instid1(VALU_DEP_2)
	v_div_scale_f32 v0, null, v1, v1, 1.0
	v_div_scale_f32 v5, vcc_lo, 1.0, v1, 1.0
	v_rcp_f32_e32 v3, v0
	v_nop
	s_delay_alu instid0(TRANS32_DEP_1) | instskip(NEXT) | instid1(VALU_DEP_1)
	v_fma_f32 v4, -v0, v3, 1.0
	v_fmac_f32_e32 v3, v4, v3
	s_delay_alu instid0(VALU_DEP_1) | instskip(NEXT) | instid1(VALU_DEP_1)
	v_mul_f32_e32 v4, v5, v3
	v_fma_f32 v6, -v0, v4, v5
	s_delay_alu instid0(VALU_DEP_1) | instskip(NEXT) | instid1(VALU_DEP_1)
	v_fmac_f32_e32 v4, v6, v3
	v_fma_f32 v0, -v0, v4, v5
	s_delay_alu instid0(VALU_DEP_1) | instskip(NEXT) | instid1(VALU_DEP_1)
	v_div_fmas_f32 v0, v0, v3, v4
	v_div_fixup_f32 v0, v0, v1, 1.0
	s_delay_alu instid0(VALU_DEP_1)
	v_mul_f32_e32 v2, v2, v0
	v_xor_b32_e32 v3, 0x80000000, v0
                                        ; implicit-def: $vgpr0_vgpr1
.LBB103_176:
	s_and_not1_saveexec_b32 s1, s1
	s_cbranch_execz .LBB103_178
; %bb.177:
	v_div_scale_f32 v2, null, v0, v0, v1
	v_div_scale_f32 v5, vcc_lo, v1, v0, v1
	s_delay_alu instid0(VALU_DEP_2) | instskip(SKIP_1) | instid1(TRANS32_DEP_1)
	v_rcp_f32_e32 v3, v2
	v_nop
	v_fma_f32 v4, -v2, v3, 1.0
	s_delay_alu instid0(VALU_DEP_1) | instskip(NEXT) | instid1(VALU_DEP_1)
	v_fmac_f32_e32 v3, v4, v3
	v_mul_f32_e32 v4, v5, v3
	s_delay_alu instid0(VALU_DEP_1) | instskip(NEXT) | instid1(VALU_DEP_1)
	v_fma_f32 v6, -v2, v4, v5
	v_fmac_f32_e32 v4, v6, v3
	s_delay_alu instid0(VALU_DEP_1) | instskip(NEXT) | instid1(VALU_DEP_1)
	v_fma_f32 v2, -v2, v4, v5
	v_div_fmas_f32 v2, v2, v3, v4
	s_delay_alu instid0(VALU_DEP_1) | instskip(NEXT) | instid1(VALU_DEP_1)
	v_div_fixup_f32 v3, v2, v0, v1
	v_fmac_f32_e32 v0, v1, v3
	s_delay_alu instid0(VALU_DEP_1) | instskip(NEXT) | instid1(VALU_DEP_1)
	v_div_scale_f32 v1, null, v0, v0, 1.0
	v_rcp_f32_e32 v2, v1
	v_nop
	s_delay_alu instid0(TRANS32_DEP_1) | instskip(NEXT) | instid1(VALU_DEP_1)
	v_fma_f32 v4, -v1, v2, 1.0
	v_fmac_f32_e32 v2, v4, v2
	v_div_scale_f32 v4, vcc_lo, 1.0, v0, 1.0
	s_delay_alu instid0(VALU_DEP_1) | instskip(NEXT) | instid1(VALU_DEP_1)
	v_mul_f32_e32 v5, v4, v2
	v_fma_f32 v6, -v1, v5, v4
	s_delay_alu instid0(VALU_DEP_1) | instskip(NEXT) | instid1(VALU_DEP_1)
	v_fmac_f32_e32 v5, v6, v2
	v_fma_f32 v1, -v1, v5, v4
	s_delay_alu instid0(VALU_DEP_1) | instskip(NEXT) | instid1(VALU_DEP_1)
	v_div_fmas_f32 v1, v1, v2, v5
	v_div_fixup_f32 v2, v1, v0, 1.0
	s_delay_alu instid0(VALU_DEP_1)
	v_mul_f32_e64 v3, v3, -v2
.LBB103_178:
	s_or_b32 exec_lo, exec_lo, s1
	ds_store_b64 v117, v[2:3]
.LBB103_179:
	s_or_b32 exec_lo, exec_lo, s2
	s_wait_dscnt 0x0
	s_barrier_signal -1
	s_barrier_wait -1
	ds_load_b64 v[0:1], v117
	s_mov_b32 s1, exec_lo
	s_wait_dscnt 0x0
	scratch_store_b64 off, v[0:1], off offset:240 ; 8-byte Folded Spill
	s_wait_xcnt 0x0
	v_cmpx_lt_u32_e32 19, v116
	s_cbranch_execz .LBB103_181
; %bb.180:
	scratch_load_b64 v[4:5], off, off offset:240 ; 8-byte Folded Reload
	s_wait_loadcnt 0x0
	v_pk_mul_f32 v[2:3], v[4:5], v[72:73] op_sel:[1,1] op_sel_hi:[0,1]
	s_delay_alu instid0(VALU_DEP_1)
	v_pk_fma_f32 v[0:1], v[4:5], v[72:73], v[2:3] op_sel_hi:[1,0,1] neg_lo:[0,0,1] neg_hi:[0,0,1]
	v_pk_fma_f32 v[2:3], v[4:5], v[72:73], v[2:3] op_sel_hi:[1,0,1]
	ds_load_2addr_b64 v[4:7], v118 offset0:20 offset1:21
	v_dual_mov_b32 v72, v0 :: v_dual_mov_b32 v73, v3
	s_wait_dscnt 0x0
	v_pk_mul_f32 v[8:9], v[4:5], v[2:3] op_sel:[0,1]
	s_delay_alu instid0(VALU_DEP_1) | instskip(SKIP_1) | instid1(VALU_DEP_1)
	v_pk_fma_f32 v[10:11], v[4:5], v[0:1], v[8:9] op_sel:[0,0,1] op_sel_hi:[1,1,0] neg_lo:[0,0,1] neg_hi:[0,0,1]
	v_pk_fma_f32 v[4:5], v[4:5], v[0:1], v[8:9] op_sel:[0,0,1] op_sel_hi:[1,0,0]
	v_mov_b32_e32 v11, v5
	v_pk_mul_f32 v[4:5], v[6:7], v[2:3] op_sel:[0,1]
	s_delay_alu instid0(VALU_DEP_1) | instskip(SKIP_1) | instid1(VALU_DEP_1)
	v_pk_fma_f32 v[8:9], v[6:7], v[0:1], v[4:5] op_sel:[0,0,1] op_sel_hi:[1,1,0] neg_lo:[0,0,1] neg_hi:[0,0,1]
	v_pk_fma_f32 v[4:5], v[6:7], v[0:1], v[4:5] op_sel:[0,0,1] op_sel_hi:[1,0,0]
	v_mov_b32_e32 v9, v5
	ds_load_2addr_b64 v[4:7], v118 offset0:22 offset1:23
	v_pk_add_f32 v[94:95], v[94:95], v[10:11] neg_lo:[0,1] neg_hi:[0,1]
	v_pk_add_f32 v[90:91], v[90:91], v[8:9] neg_lo:[0,1] neg_hi:[0,1]
	s_wait_dscnt 0x0
	v_pk_mul_f32 v[8:9], v[4:5], v[2:3] op_sel:[0,1]
	s_delay_alu instid0(VALU_DEP_1) | instskip(SKIP_2) | instid1(VALU_DEP_2)
	v_pk_fma_f32 v[10:11], v[4:5], v[0:1], v[8:9] op_sel:[0,0,1] op_sel_hi:[1,1,0] neg_lo:[0,0,1] neg_hi:[0,0,1]
	v_pk_fma_f32 v[4:5], v[4:5], v[0:1], v[8:9] op_sel:[0,0,1] op_sel_hi:[1,0,0]
	v_dual_mul_f32 v8, v7, v3 :: v_dual_mov_b32 v4, v7
	v_dual_mov_b32 v11, v5 :: v_dual_mov_b32 v5, v6
	s_delay_alu instid0(VALU_DEP_2) | instskip(SKIP_1) | instid1(VALU_DEP_3)
	v_pk_fma_f32 v[8:9], v[6:7], v[72:73], v[8:9] op_sel_hi:[1,1,0] neg_lo:[0,0,1] neg_hi:[0,0,1]
	v_mul_f32_e32 v6, v7, v0
	v_pk_add_f32 v[92:93], v[92:93], v[10:11] neg_lo:[0,1] neg_hi:[0,1]
	s_delay_alu instid0(VALU_DEP_2) | instskip(NEXT) | instid1(VALU_DEP_1)
	v_pk_fma_f32 v[4:5], v[4:5], v[72:73], v[6:7] op_sel_hi:[1,1,0]
	v_mov_b32_e32 v9, v5
	ds_load_2addr_b64 v[4:7], v118 offset0:24 offset1:25
	v_pk_add_f32 v[88:89], v[88:89], v[8:9] neg_lo:[0,1] neg_hi:[0,1]
	s_wait_dscnt 0x0
	v_pk_mul_f32 v[8:9], v[4:5], v[2:3] op_sel:[0,1]
	s_delay_alu instid0(VALU_DEP_1) | instskip(SKIP_1) | instid1(VALU_DEP_1)
	v_pk_fma_f32 v[10:11], v[4:5], v[0:1], v[8:9] op_sel:[0,0,1] op_sel_hi:[1,1,0] neg_lo:[0,0,1] neg_hi:[0,0,1]
	v_pk_fma_f32 v[4:5], v[4:5], v[0:1], v[8:9] op_sel:[0,0,1] op_sel_hi:[1,0,0]
	v_mov_b32_e32 v11, v5
	v_pk_mul_f32 v[4:5], v[6:7], v[2:3] op_sel:[0,1]
	s_delay_alu instid0(VALU_DEP_1) | instskip(SKIP_1) | instid1(VALU_DEP_1)
	v_pk_fma_f32 v[8:9], v[6:7], v[0:1], v[4:5] op_sel:[0,0,1] op_sel_hi:[1,1,0] neg_lo:[0,0,1] neg_hi:[0,0,1]
	v_pk_fma_f32 v[4:5], v[6:7], v[0:1], v[4:5] op_sel:[0,0,1] op_sel_hi:[1,0,0]
	v_mov_b32_e32 v9, v5
	ds_load_2addr_b64 v[4:7], v118 offset0:26 offset1:27
	v_pk_add_f32 v[112:113], v[112:113], v[10:11] neg_lo:[0,1] neg_hi:[0,1]
	v_pk_add_f32 v[108:109], v[108:109], v[8:9] neg_lo:[0,1] neg_hi:[0,1]
	s_wait_dscnt 0x0
	v_pk_mul_f32 v[8:9], v[4:5], v[2:3] op_sel:[0,1]
	s_delay_alu instid0(VALU_DEP_1) | instskip(SKIP_1) | instid1(VALU_DEP_1)
	v_pk_fma_f32 v[10:11], v[4:5], v[0:1], v[8:9] op_sel:[0,0,1] op_sel_hi:[1,1,0] neg_lo:[0,0,1] neg_hi:[0,0,1]
	v_pk_fma_f32 v[4:5], v[4:5], v[0:1], v[8:9] op_sel:[0,0,1] op_sel_hi:[1,0,0]
	v_mov_b32_e32 v11, v5
	v_pk_mul_f32 v[4:5], v[6:7], v[2:3] op_sel:[0,1]
	s_delay_alu instid0(VALU_DEP_1) | instskip(SKIP_1) | instid1(VALU_DEP_1)
	v_pk_fma_f32 v[8:9], v[6:7], v[0:1], v[4:5] op_sel:[0,0,1] op_sel_hi:[1,1,0] neg_lo:[0,0,1] neg_hi:[0,0,1]
	v_pk_fma_f32 v[4:5], v[6:7], v[0:1], v[4:5] op_sel:[0,0,1] op_sel_hi:[1,0,0]
	v_mov_b32_e32 v9, v5
	ds_load_2addr_b64 v[4:7], v118 offset0:28 offset1:29
	v_pk_add_f32 v[110:111], v[110:111], v[10:11] neg_lo:[0,1] neg_hi:[0,1]
	v_pk_add_f32 v[106:107], v[106:107], v[8:9] neg_lo:[0,1] neg_hi:[0,1]
	s_wait_dscnt 0x0
	v_dual_mul_f32 v8, v5, v3 :: v_dual_mul_f32 v10, v5, v0
	s_delay_alu instid0(VALU_DEP_1) | instskip(NEXT) | instid1(VALU_DEP_2)
	v_pk_fma_f32 v[8:9], v[4:5], v[72:73], v[8:9] op_sel_hi:[1,1,0] neg_lo:[0,0,1] neg_hi:[0,0,1]
	v_pk_fma_f32 v[4:5], v[4:5], v[72:73], v[10:11] op_sel:[1,0,0] op_sel_hi:[0,1,0]
	s_delay_alu instid0(VALU_DEP_1) | instskip(SKIP_1) | instid1(VALU_DEP_2)
	v_mov_b32_e32 v9, v5
	v_pk_mul_f32 v[4:5], v[6:7], v[2:3] op_sel:[0,1]
	v_pk_add_f32 v[128:129], v[128:129], v[8:9] neg_lo:[0,1] neg_hi:[0,1]
	s_delay_alu instid0(VALU_DEP_2) | instskip(SKIP_1) | instid1(VALU_DEP_1)
	v_pk_fma_f32 v[8:9], v[6:7], v[0:1], v[4:5] op_sel:[0,0,1] op_sel_hi:[1,1,0] neg_lo:[0,0,1] neg_hi:[0,0,1]
	v_pk_fma_f32 v[4:5], v[6:7], v[0:1], v[4:5] op_sel:[0,0,1] op_sel_hi:[1,0,0]
	v_mov_b32_e32 v9, v5
	ds_load_2addr_b64 v[4:7], v118 offset0:30 offset1:31
	v_pk_add_f32 v[124:125], v[124:125], v[8:9] neg_lo:[0,1] neg_hi:[0,1]
	s_wait_dscnt 0x0
	v_pk_mul_f32 v[8:9], v[4:5], v[2:3] op_sel:[0,1]
	s_delay_alu instid0(VALU_DEP_1) | instskip(SKIP_1) | instid1(VALU_DEP_1)
	v_pk_fma_f32 v[10:11], v[4:5], v[0:1], v[8:9] op_sel:[0,0,1] op_sel_hi:[1,1,0] neg_lo:[0,0,1] neg_hi:[0,0,1]
	v_pk_fma_f32 v[4:5], v[4:5], v[0:1], v[8:9] op_sel:[0,0,1] op_sel_hi:[1,0,0]
	v_mov_b32_e32 v11, v5
	v_pk_mul_f32 v[4:5], v[6:7], v[2:3] op_sel:[0,1]
	s_delay_alu instid0(VALU_DEP_2) | instskip(NEXT) | instid1(VALU_DEP_2)
	v_pk_add_f32 v[126:127], v[126:127], v[10:11] neg_lo:[0,1] neg_hi:[0,1]
	v_pk_fma_f32 v[8:9], v[6:7], v[0:1], v[4:5] op_sel:[0,0,1] op_sel_hi:[1,1,0] neg_lo:[0,0,1] neg_hi:[0,0,1]
	v_pk_fma_f32 v[4:5], v[6:7], v[0:1], v[4:5] op_sel:[0,0,1] op_sel_hi:[1,0,0]
	s_delay_alu instid0(VALU_DEP_1) | instskip(SKIP_4) | instid1(VALU_DEP_1)
	v_mov_b32_e32 v9, v5
	ds_load_2addr_b64 v[4:7], v118 offset0:32 offset1:33
	v_pk_add_f32 v[122:123], v[122:123], v[8:9] neg_lo:[0,1] neg_hi:[0,1]
	s_wait_dscnt 0x0
	v_pk_mul_f32 v[8:9], v[4:5], v[2:3] op_sel:[0,1]
	v_pk_fma_f32 v[10:11], v[4:5], v[0:1], v[8:9] op_sel:[0,0,1] op_sel_hi:[1,1,0] neg_lo:[0,0,1] neg_hi:[0,0,1]
	v_pk_fma_f32 v[4:5], v[4:5], v[0:1], v[8:9] op_sel:[0,0,1] op_sel_hi:[1,0,0]
	v_dual_mul_f32 v8, v7, v3 :: v_dual_mov_b32 v4, v7
	s_delay_alu instid0(VALU_DEP_2) | instskip(NEXT) | instid1(VALU_DEP_2)
	v_dual_mov_b32 v11, v5 :: v_dual_mov_b32 v5, v6
	v_pk_fma_f32 v[8:9], v[6:7], v[72:73], v[8:9] op_sel_hi:[1,1,0] neg_lo:[0,0,1] neg_hi:[0,0,1]
	v_mul_f32_e32 v6, v7, v0
	s_delay_alu instid0(VALU_DEP_3) | instskip(NEXT) | instid1(VALU_DEP_2)
	v_pk_add_f32 v[146:147], v[146:147], v[10:11] neg_lo:[0,1] neg_hi:[0,1]
	v_pk_fma_f32 v[4:5], v[4:5], v[72:73], v[6:7] op_sel_hi:[1,1,0]
	s_delay_alu instid0(VALU_DEP_1) | instskip(SKIP_4) | instid1(VALU_DEP_1)
	v_mov_b32_e32 v9, v5
	ds_load_2addr_b64 v[4:7], v118 offset0:34 offset1:35
	v_pk_add_f32 v[142:143], v[142:143], v[8:9] neg_lo:[0,1] neg_hi:[0,1]
	s_wait_dscnt 0x0
	v_pk_mul_f32 v[8:9], v[4:5], v[2:3] op_sel:[0,1]
	v_pk_fma_f32 v[10:11], v[4:5], v[0:1], v[8:9] op_sel:[0,0,1] op_sel_hi:[1,1,0] neg_lo:[0,0,1] neg_hi:[0,0,1]
	v_pk_fma_f32 v[4:5], v[4:5], v[0:1], v[8:9] op_sel:[0,0,1] op_sel_hi:[1,0,0]
	s_delay_alu instid0(VALU_DEP_1) | instskip(SKIP_1) | instid1(VALU_DEP_1)
	v_mov_b32_e32 v11, v5
	v_pk_mul_f32 v[4:5], v[6:7], v[2:3] op_sel:[0,1]
	v_pk_fma_f32 v[8:9], v[6:7], v[0:1], v[4:5] op_sel:[0,0,1] op_sel_hi:[1,1,0] neg_lo:[0,0,1] neg_hi:[0,0,1]
	v_pk_fma_f32 v[4:5], v[6:7], v[0:1], v[4:5] op_sel:[0,0,1] op_sel_hi:[1,0,0]
	s_delay_alu instid0(VALU_DEP_1)
	v_mov_b32_e32 v9, v5
	ds_load_2addr_b64 v[4:7], v118 offset0:36 offset1:37
	v_pk_add_f32 v[144:145], v[144:145], v[10:11] neg_lo:[0,1] neg_hi:[0,1]
	v_pk_add_f32 v[140:141], v[140:141], v[8:9] neg_lo:[0,1] neg_hi:[0,1]
	s_wait_dscnt 0x0
	v_pk_mul_f32 v[8:9], v[4:5], v[2:3] op_sel:[0,1]
	s_delay_alu instid0(VALU_DEP_1) | instskip(SKIP_1) | instid1(VALU_DEP_1)
	v_pk_fma_f32 v[10:11], v[4:5], v[0:1], v[8:9] op_sel:[0,0,1] op_sel_hi:[1,1,0] neg_lo:[0,0,1] neg_hi:[0,0,1]
	v_pk_fma_f32 v[4:5], v[4:5], v[0:1], v[8:9] op_sel:[0,0,1] op_sel_hi:[1,0,0]
	v_mov_b32_e32 v11, v5
	v_pk_mul_f32 v[4:5], v[6:7], v[2:3] op_sel:[0,1]
	s_delay_alu instid0(VALU_DEP_1) | instskip(SKIP_1) | instid1(VALU_DEP_1)
	v_pk_fma_f32 v[8:9], v[6:7], v[0:1], v[4:5] op_sel:[0,0,1] op_sel_hi:[1,1,0] neg_lo:[0,0,1] neg_hi:[0,0,1]
	v_pk_fma_f32 v[4:5], v[6:7], v[0:1], v[4:5] op_sel:[0,0,1] op_sel_hi:[1,0,0]
	v_mov_b32_e32 v9, v5
	ds_load_2addr_b64 v[4:7], v118 offset0:38 offset1:39
	v_pk_add_f32 v[162:163], v[162:163], v[10:11] neg_lo:[0,1] neg_hi:[0,1]
	v_pk_add_f32 v[158:159], v[158:159], v[8:9] neg_lo:[0,1] neg_hi:[0,1]
	s_wait_dscnt 0x0
	v_dual_mul_f32 v8, v5, v3 :: v_dual_mul_f32 v10, v5, v0
	s_delay_alu instid0(VALU_DEP_1) | instskip(NEXT) | instid1(VALU_DEP_2)
	v_pk_fma_f32 v[8:9], v[4:5], v[72:73], v[8:9] op_sel_hi:[1,1,0] neg_lo:[0,0,1] neg_hi:[0,0,1]
	v_pk_fma_f32 v[4:5], v[4:5], v[72:73], v[10:11] op_sel:[1,0,0] op_sel_hi:[0,1,0]
	s_delay_alu instid0(VALU_DEP_1) | instskip(SKIP_1) | instid1(VALU_DEP_2)
	v_mov_b32_e32 v9, v5
	v_pk_mul_f32 v[4:5], v[6:7], v[2:3] op_sel:[0,1]
	v_pk_add_f32 v[160:161], v[160:161], v[8:9] neg_lo:[0,1] neg_hi:[0,1]
	s_delay_alu instid0(VALU_DEP_2) | instskip(SKIP_1) | instid1(VALU_DEP_1)
	v_pk_fma_f32 v[8:9], v[6:7], v[0:1], v[4:5] op_sel:[0,0,1] op_sel_hi:[1,1,0] neg_lo:[0,0,1] neg_hi:[0,0,1]
	v_pk_fma_f32 v[4:5], v[6:7], v[0:1], v[4:5] op_sel:[0,0,1] op_sel_hi:[1,0,0]
	v_mov_b32_e32 v9, v5
	ds_load_2addr_b64 v[4:7], v118 offset0:40 offset1:41
	v_pk_add_f32 v[156:157], v[156:157], v[8:9] neg_lo:[0,1] neg_hi:[0,1]
	s_wait_dscnt 0x0
	v_pk_mul_f32 v[8:9], v[4:5], v[2:3] op_sel:[0,1]
	s_delay_alu instid0(VALU_DEP_1) | instskip(SKIP_1) | instid1(VALU_DEP_1)
	v_pk_fma_f32 v[10:11], v[4:5], v[0:1], v[8:9] op_sel:[0,0,1] op_sel_hi:[1,1,0] neg_lo:[0,0,1] neg_hi:[0,0,1]
	v_pk_fma_f32 v[4:5], v[4:5], v[0:1], v[8:9] op_sel:[0,0,1] op_sel_hi:[1,0,0]
	v_mov_b32_e32 v11, v5
	v_pk_mul_f32 v[4:5], v[6:7], v[2:3] op_sel:[0,1]
	s_delay_alu instid0(VALU_DEP_2) | instskip(NEXT) | instid1(VALU_DEP_2)
	v_pk_add_f32 v[182:183], v[182:183], v[10:11] neg_lo:[0,1] neg_hi:[0,1]
	v_pk_fma_f32 v[8:9], v[6:7], v[0:1], v[4:5] op_sel:[0,0,1] op_sel_hi:[1,1,0] neg_lo:[0,0,1] neg_hi:[0,0,1]
	v_pk_fma_f32 v[4:5], v[6:7], v[0:1], v[4:5] op_sel:[0,0,1] op_sel_hi:[1,0,0]
	s_delay_alu instid0(VALU_DEP_1) | instskip(SKIP_4) | instid1(VALU_DEP_1)
	v_mov_b32_e32 v9, v5
	ds_load_2addr_b64 v[4:7], v118 offset0:42 offset1:43
	v_pk_add_f32 v[178:179], v[178:179], v[8:9] neg_lo:[0,1] neg_hi:[0,1]
	s_wait_dscnt 0x0
	v_pk_mul_f32 v[8:9], v[4:5], v[2:3] op_sel:[0,1]
	v_pk_fma_f32 v[10:11], v[4:5], v[0:1], v[8:9] op_sel:[0,0,1] op_sel_hi:[1,1,0] neg_lo:[0,0,1] neg_hi:[0,0,1]
	v_pk_fma_f32 v[4:5], v[4:5], v[0:1], v[8:9] op_sel:[0,0,1] op_sel_hi:[1,0,0]
	v_dual_mul_f32 v8, v7, v3 :: v_dual_mov_b32 v4, v7
	s_delay_alu instid0(VALU_DEP_2) | instskip(NEXT) | instid1(VALU_DEP_2)
	v_dual_mov_b32 v11, v5 :: v_dual_mov_b32 v5, v6
	v_pk_fma_f32 v[8:9], v[6:7], v[72:73], v[8:9] op_sel_hi:[1,1,0] neg_lo:[0,0,1] neg_hi:[0,0,1]
	v_mul_f32_e32 v6, v7, v0
	s_delay_alu instid0(VALU_DEP_3) | instskip(NEXT) | instid1(VALU_DEP_2)
	v_pk_add_f32 v[180:181], v[180:181], v[10:11] neg_lo:[0,1] neg_hi:[0,1]
	v_pk_fma_f32 v[4:5], v[4:5], v[72:73], v[6:7] op_sel_hi:[1,1,0]
	s_delay_alu instid0(VALU_DEP_1) | instskip(SKIP_4) | instid1(VALU_DEP_1)
	v_mov_b32_e32 v9, v5
	ds_load_2addr_b64 v[4:7], v118 offset0:44 offset1:45
	v_pk_add_f32 v[176:177], v[176:177], v[8:9] neg_lo:[0,1] neg_hi:[0,1]
	s_wait_dscnt 0x0
	v_pk_mul_f32 v[8:9], v[4:5], v[2:3] op_sel:[0,1]
	v_pk_fma_f32 v[10:11], v[4:5], v[0:1], v[8:9] op_sel:[0,0,1] op_sel_hi:[1,1,0] neg_lo:[0,0,1] neg_hi:[0,0,1]
	v_pk_fma_f32 v[4:5], v[4:5], v[0:1], v[8:9] op_sel:[0,0,1] op_sel_hi:[1,0,0]
	s_delay_alu instid0(VALU_DEP_1) | instskip(SKIP_1) | instid1(VALU_DEP_1)
	v_mov_b32_e32 v11, v5
	v_pk_mul_f32 v[4:5], v[6:7], v[2:3] op_sel:[0,1]
	v_pk_fma_f32 v[8:9], v[6:7], v[0:1], v[4:5] op_sel:[0,0,1] op_sel_hi:[1,1,0] neg_lo:[0,0,1] neg_hi:[0,0,1]
	v_pk_fma_f32 v[4:5], v[6:7], v[0:1], v[4:5] op_sel:[0,0,1] op_sel_hi:[1,0,0]
	s_delay_alu instid0(VALU_DEP_1)
	v_mov_b32_e32 v9, v5
	ds_load_2addr_b64 v[4:7], v118 offset0:46 offset1:47
	v_pk_add_f32 v[204:205], v[204:205], v[10:11] neg_lo:[0,1] neg_hi:[0,1]
	v_pk_add_f32 v[198:199], v[198:199], v[8:9] neg_lo:[0,1] neg_hi:[0,1]
	s_wait_dscnt 0x0
	v_pk_mul_f32 v[8:9], v[4:5], v[2:3] op_sel:[0,1]
	s_delay_alu instid0(VALU_DEP_1) | instskip(SKIP_1) | instid1(VALU_DEP_1)
	v_pk_fma_f32 v[10:11], v[4:5], v[0:1], v[8:9] op_sel:[0,0,1] op_sel_hi:[1,1,0] neg_lo:[0,0,1] neg_hi:[0,0,1]
	v_pk_fma_f32 v[4:5], v[4:5], v[0:1], v[8:9] op_sel:[0,0,1] op_sel_hi:[1,0,0]
	v_mov_b32_e32 v11, v5
	v_pk_mul_f32 v[4:5], v[6:7], v[2:3] op_sel:[0,1]
	s_delay_alu instid0(VALU_DEP_1) | instskip(SKIP_1) | instid1(VALU_DEP_1)
	v_pk_fma_f32 v[8:9], v[6:7], v[0:1], v[4:5] op_sel:[0,0,1] op_sel_hi:[1,1,0] neg_lo:[0,0,1] neg_hi:[0,0,1]
	v_pk_fma_f32 v[4:5], v[6:7], v[0:1], v[4:5] op_sel:[0,0,1] op_sel_hi:[1,0,0]
	v_mov_b32_e32 v9, v5
	ds_load_2addr_b64 v[4:7], v118 offset0:48 offset1:49
	v_pk_add_f32 v[202:203], v[202:203], v[10:11] neg_lo:[0,1] neg_hi:[0,1]
	v_pk_add_f32 v[196:197], v[196:197], v[8:9] neg_lo:[0,1] neg_hi:[0,1]
	s_wait_dscnt 0x0
	v_dual_mul_f32 v8, v5, v3 :: v_dual_mul_f32 v10, v5, v0
	s_delay_alu instid0(VALU_DEP_1) | instskip(NEXT) | instid1(VALU_DEP_2)
	v_pk_fma_f32 v[8:9], v[4:5], v[72:73], v[8:9] op_sel_hi:[1,1,0] neg_lo:[0,0,1] neg_hi:[0,0,1]
	v_pk_fma_f32 v[4:5], v[4:5], v[72:73], v[10:11] op_sel:[1,0,0] op_sel_hi:[0,1,0]
	s_delay_alu instid0(VALU_DEP_1) | instskip(SKIP_1) | instid1(VALU_DEP_2)
	v_mov_b32_e32 v9, v5
	v_pk_mul_f32 v[4:5], v[6:7], v[2:3] op_sel:[0,1]
	v_pk_add_f32 v[200:201], v[200:201], v[8:9] neg_lo:[0,1] neg_hi:[0,1]
	s_delay_alu instid0(VALU_DEP_2) | instskip(SKIP_1) | instid1(VALU_DEP_1)
	v_pk_fma_f32 v[8:9], v[6:7], v[0:1], v[4:5] op_sel:[0,0,1] op_sel_hi:[1,1,0] neg_lo:[0,0,1] neg_hi:[0,0,1]
	v_pk_fma_f32 v[4:5], v[6:7], v[0:1], v[4:5] op_sel:[0,0,1] op_sel_hi:[1,0,0]
	v_mov_b32_e32 v9, v5
	ds_load_2addr_b64 v[4:7], v118 offset0:50 offset1:51
	v_pk_add_f32 v[194:195], v[194:195], v[8:9] neg_lo:[0,1] neg_hi:[0,1]
	s_wait_dscnt 0x0
	v_pk_mul_f32 v[8:9], v[4:5], v[2:3] op_sel:[0,1]
	v_pk_mul_f32 v[2:3], v[6:7], v[2:3] op_sel:[0,1]
	s_delay_alu instid0(VALU_DEP_2) | instskip(SKIP_1) | instid1(VALU_DEP_1)
	v_pk_fma_f32 v[10:11], v[4:5], v[0:1], v[8:9] op_sel:[0,0,1] op_sel_hi:[1,1,0] neg_lo:[0,0,1] neg_hi:[0,0,1]
	v_pk_fma_f32 v[4:5], v[4:5], v[0:1], v[8:9] op_sel:[0,0,1] op_sel_hi:[1,0,0]
	v_mov_b32_e32 v11, v5
	s_delay_alu instid0(VALU_DEP_4) | instskip(SKIP_1) | instid1(VALU_DEP_3)
	v_pk_fma_f32 v[4:5], v[6:7], v[0:1], v[2:3] op_sel:[0,0,1] op_sel_hi:[1,1,0] neg_lo:[0,0,1] neg_hi:[0,0,1]
	v_pk_fma_f32 v[0:1], v[6:7], v[0:1], v[2:3] op_sel:[0,0,1] op_sel_hi:[1,0,0]
	v_pk_add_f32 v[206:207], v[206:207], v[10:11] neg_lo:[0,1] neg_hi:[0,1]
	s_delay_alu instid0(VALU_DEP_2) | instskip(NEXT) | instid1(VALU_DEP_1)
	v_mov_b32_e32 v5, v1
	v_pk_add_f32 v[208:209], v[208:209], v[4:5] neg_lo:[0,1] neg_hi:[0,1]
.LBB103_181:
	s_wait_xcnt 0x0
	s_or_b32 exec_lo, exec_lo, s1
	s_delay_alu instid0(SALU_CYCLE_1)
	s_mov_b32 s2, exec_lo
	s_wait_storecnt 0x0
	s_barrier_signal -1
	s_barrier_wait -1
	v_cmpx_eq_u32_e32 20, v116
	s_cbranch_execz .LBB103_188
; %bb.182:
	ds_store_b64 v117, v[94:95]
	ds_store_2addr_b64 v118, v[90:91], v[92:93] offset0:21 offset1:22
	ds_store_2addr_b64 v118, v[88:89], v[112:113] offset0:23 offset1:24
	;; [unrolled: 1-line block ×15, first 2 shown]
	ds_store_b64 v118, v[208:209] offset:408
	ds_load_b64 v[0:1], v117
	s_wait_dscnt 0x0
	v_cmp_neq_f32_e32 vcc_lo, 0, v0
	v_cmp_neq_f32_e64 s1, 0, v1
	s_or_b32 s1, vcc_lo, s1
	s_delay_alu instid0(SALU_CYCLE_1)
	s_and_b32 exec_lo, exec_lo, s1
	s_cbranch_execz .LBB103_188
; %bb.183:
	v_cmp_ngt_f32_e64 s1, |v0|, |v1|
                                        ; implicit-def: $vgpr2_vgpr3
	s_and_saveexec_b32 s4, s1
	s_delay_alu instid0(SALU_CYCLE_1)
	s_xor_b32 s1, exec_lo, s4
	s_cbranch_execz .LBB103_185
; %bb.184:
	v_div_scale_f32 v2, null, v1, v1, v0
	v_div_scale_f32 v5, vcc_lo, v0, v1, v0
	s_delay_alu instid0(VALU_DEP_2) | instskip(SKIP_1) | instid1(TRANS32_DEP_1)
	v_rcp_f32_e32 v3, v2
	v_nop
	v_fma_f32 v4, -v2, v3, 1.0
	s_delay_alu instid0(VALU_DEP_1) | instskip(NEXT) | instid1(VALU_DEP_1)
	v_fmac_f32_e32 v3, v4, v3
	v_mul_f32_e32 v4, v5, v3
	s_delay_alu instid0(VALU_DEP_1) | instskip(NEXT) | instid1(VALU_DEP_1)
	v_fma_f32 v6, -v2, v4, v5
	v_fmac_f32_e32 v4, v6, v3
	s_delay_alu instid0(VALU_DEP_1) | instskip(NEXT) | instid1(VALU_DEP_1)
	v_fma_f32 v2, -v2, v4, v5
	v_div_fmas_f32 v2, v2, v3, v4
	s_delay_alu instid0(VALU_DEP_1) | instskip(NEXT) | instid1(VALU_DEP_1)
	v_div_fixup_f32 v2, v2, v1, v0
	v_fmac_f32_e32 v1, v0, v2
	s_delay_alu instid0(VALU_DEP_1) | instskip(SKIP_1) | instid1(VALU_DEP_2)
	v_div_scale_f32 v0, null, v1, v1, 1.0
	v_div_scale_f32 v5, vcc_lo, 1.0, v1, 1.0
	v_rcp_f32_e32 v3, v0
	v_nop
	s_delay_alu instid0(TRANS32_DEP_1) | instskip(NEXT) | instid1(VALU_DEP_1)
	v_fma_f32 v4, -v0, v3, 1.0
	v_fmac_f32_e32 v3, v4, v3
	s_delay_alu instid0(VALU_DEP_1) | instskip(NEXT) | instid1(VALU_DEP_1)
	v_mul_f32_e32 v4, v5, v3
	v_fma_f32 v6, -v0, v4, v5
	s_delay_alu instid0(VALU_DEP_1) | instskip(NEXT) | instid1(VALU_DEP_1)
	v_fmac_f32_e32 v4, v6, v3
	v_fma_f32 v0, -v0, v4, v5
	s_delay_alu instid0(VALU_DEP_1) | instskip(NEXT) | instid1(VALU_DEP_1)
	v_div_fmas_f32 v0, v0, v3, v4
	v_div_fixup_f32 v0, v0, v1, 1.0
	s_delay_alu instid0(VALU_DEP_1)
	v_mul_f32_e32 v2, v2, v0
	v_xor_b32_e32 v3, 0x80000000, v0
                                        ; implicit-def: $vgpr0_vgpr1
.LBB103_185:
	s_and_not1_saveexec_b32 s1, s1
	s_cbranch_execz .LBB103_187
; %bb.186:
	v_div_scale_f32 v2, null, v0, v0, v1
	v_div_scale_f32 v5, vcc_lo, v1, v0, v1
	s_delay_alu instid0(VALU_DEP_2) | instskip(SKIP_1) | instid1(TRANS32_DEP_1)
	v_rcp_f32_e32 v3, v2
	v_nop
	v_fma_f32 v4, -v2, v3, 1.0
	s_delay_alu instid0(VALU_DEP_1) | instskip(NEXT) | instid1(VALU_DEP_1)
	v_fmac_f32_e32 v3, v4, v3
	v_mul_f32_e32 v4, v5, v3
	s_delay_alu instid0(VALU_DEP_1) | instskip(NEXT) | instid1(VALU_DEP_1)
	v_fma_f32 v6, -v2, v4, v5
	v_fmac_f32_e32 v4, v6, v3
	s_delay_alu instid0(VALU_DEP_1) | instskip(NEXT) | instid1(VALU_DEP_1)
	v_fma_f32 v2, -v2, v4, v5
	v_div_fmas_f32 v2, v2, v3, v4
	s_delay_alu instid0(VALU_DEP_1) | instskip(NEXT) | instid1(VALU_DEP_1)
	v_div_fixup_f32 v3, v2, v0, v1
	v_fmac_f32_e32 v0, v1, v3
	s_delay_alu instid0(VALU_DEP_1) | instskip(NEXT) | instid1(VALU_DEP_1)
	v_div_scale_f32 v1, null, v0, v0, 1.0
	v_rcp_f32_e32 v2, v1
	v_nop
	s_delay_alu instid0(TRANS32_DEP_1) | instskip(NEXT) | instid1(VALU_DEP_1)
	v_fma_f32 v4, -v1, v2, 1.0
	v_fmac_f32_e32 v2, v4, v2
	v_div_scale_f32 v4, vcc_lo, 1.0, v0, 1.0
	s_delay_alu instid0(VALU_DEP_1) | instskip(NEXT) | instid1(VALU_DEP_1)
	v_mul_f32_e32 v5, v4, v2
	v_fma_f32 v6, -v1, v5, v4
	s_delay_alu instid0(VALU_DEP_1) | instskip(NEXT) | instid1(VALU_DEP_1)
	v_fmac_f32_e32 v5, v6, v2
	v_fma_f32 v1, -v1, v5, v4
	s_delay_alu instid0(VALU_DEP_1) | instskip(NEXT) | instid1(VALU_DEP_1)
	v_div_fmas_f32 v1, v1, v2, v5
	v_div_fixup_f32 v2, v1, v0, 1.0
	s_delay_alu instid0(VALU_DEP_1)
	v_mul_f32_e64 v3, v3, -v2
.LBB103_187:
	s_or_b32 exec_lo, exec_lo, s1
	ds_store_b64 v117, v[2:3]
.LBB103_188:
	s_or_b32 exec_lo, exec_lo, s2
	s_wait_dscnt 0x0
	s_barrier_signal -1
	s_barrier_wait -1
	ds_load_b64 v[0:1], v117
	s_mov_b32 s1, exec_lo
	s_wait_dscnt 0x0
	scratch_store_b64 off, v[0:1], off offset:248 ; 8-byte Folded Spill
	s_wait_xcnt 0x0
	v_cmpx_lt_u32_e32 20, v116
	s_cbranch_execz .LBB103_190
; %bb.189:
	scratch_load_b64 v[4:5], off, off offset:248 ; 8-byte Folded Reload
	s_wait_loadcnt 0x0
	v_pk_mul_f32 v[2:3], v[4:5], v[94:95] op_sel:[1,1] op_sel_hi:[0,1]
	s_delay_alu instid0(VALU_DEP_1)
	v_pk_fma_f32 v[0:1], v[4:5], v[94:95], v[2:3] op_sel_hi:[1,0,1] neg_lo:[0,0,1] neg_hi:[0,0,1]
	v_pk_fma_f32 v[2:3], v[4:5], v[94:95], v[2:3] op_sel_hi:[1,0,1]
	ds_load_2addr_b64 v[4:7], v118 offset0:21 offset1:22
	v_dual_mov_b32 v94, v0 :: v_dual_mov_b32 v95, v3
	s_wait_dscnt 0x0
	v_pk_mul_f32 v[8:9], v[4:5], v[2:3] op_sel:[0,1]
	s_delay_alu instid0(VALU_DEP_1) | instskip(SKIP_1) | instid1(VALU_DEP_1)
	v_pk_fma_f32 v[10:11], v[4:5], v[0:1], v[8:9] op_sel:[0,0,1] op_sel_hi:[1,1,0] neg_lo:[0,0,1] neg_hi:[0,0,1]
	v_pk_fma_f32 v[4:5], v[4:5], v[0:1], v[8:9] op_sel:[0,0,1] op_sel_hi:[1,0,0]
	v_mov_b32_e32 v11, v5
	v_pk_mul_f32 v[4:5], v[6:7], v[2:3] op_sel:[0,1]
	s_delay_alu instid0(VALU_DEP_1) | instskip(SKIP_1) | instid1(VALU_DEP_1)
	v_pk_fma_f32 v[8:9], v[6:7], v[0:1], v[4:5] op_sel:[0,0,1] op_sel_hi:[1,1,0] neg_lo:[0,0,1] neg_hi:[0,0,1]
	v_pk_fma_f32 v[4:5], v[6:7], v[0:1], v[4:5] op_sel:[0,0,1] op_sel_hi:[1,0,0]
	v_mov_b32_e32 v9, v5
	ds_load_2addr_b64 v[4:7], v118 offset0:23 offset1:24
	v_pk_add_f32 v[90:91], v[90:91], v[10:11] neg_lo:[0,1] neg_hi:[0,1]
	v_pk_add_f32 v[92:93], v[92:93], v[8:9] neg_lo:[0,1] neg_hi:[0,1]
	s_wait_dscnt 0x0
	v_pk_mul_f32 v[8:9], v[4:5], v[2:3] op_sel:[0,1]
	s_delay_alu instid0(VALU_DEP_1) | instskip(SKIP_2) | instid1(VALU_DEP_2)
	v_pk_fma_f32 v[10:11], v[4:5], v[0:1], v[8:9] op_sel:[0,0,1] op_sel_hi:[1,1,0] neg_lo:[0,0,1] neg_hi:[0,0,1]
	v_pk_fma_f32 v[4:5], v[4:5], v[0:1], v[8:9] op_sel:[0,0,1] op_sel_hi:[1,0,0]
	v_dual_mul_f32 v8, v7, v3 :: v_dual_mov_b32 v4, v7
	v_dual_mov_b32 v11, v5 :: v_dual_mov_b32 v5, v6
	s_delay_alu instid0(VALU_DEP_2) | instskip(SKIP_1) | instid1(VALU_DEP_3)
	v_pk_fma_f32 v[8:9], v[6:7], v[94:95], v[8:9] op_sel_hi:[1,1,0] neg_lo:[0,0,1] neg_hi:[0,0,1]
	v_mul_f32_e32 v6, v7, v0
	v_pk_add_f32 v[88:89], v[88:89], v[10:11] neg_lo:[0,1] neg_hi:[0,1]
	s_delay_alu instid0(VALU_DEP_2) | instskip(NEXT) | instid1(VALU_DEP_1)
	v_pk_fma_f32 v[4:5], v[4:5], v[94:95], v[6:7] op_sel_hi:[1,1,0]
	v_mov_b32_e32 v9, v5
	ds_load_2addr_b64 v[4:7], v118 offset0:25 offset1:26
	v_pk_add_f32 v[112:113], v[112:113], v[8:9] neg_lo:[0,1] neg_hi:[0,1]
	s_wait_dscnt 0x0
	v_pk_mul_f32 v[8:9], v[4:5], v[2:3] op_sel:[0,1]
	s_delay_alu instid0(VALU_DEP_1) | instskip(SKIP_1) | instid1(VALU_DEP_1)
	v_pk_fma_f32 v[10:11], v[4:5], v[0:1], v[8:9] op_sel:[0,0,1] op_sel_hi:[1,1,0] neg_lo:[0,0,1] neg_hi:[0,0,1]
	v_pk_fma_f32 v[4:5], v[4:5], v[0:1], v[8:9] op_sel:[0,0,1] op_sel_hi:[1,0,0]
	v_mov_b32_e32 v11, v5
	v_pk_mul_f32 v[4:5], v[6:7], v[2:3] op_sel:[0,1]
	s_delay_alu instid0(VALU_DEP_1) | instskip(SKIP_1) | instid1(VALU_DEP_1)
	v_pk_fma_f32 v[8:9], v[6:7], v[0:1], v[4:5] op_sel:[0,0,1] op_sel_hi:[1,1,0] neg_lo:[0,0,1] neg_hi:[0,0,1]
	v_pk_fma_f32 v[4:5], v[6:7], v[0:1], v[4:5] op_sel:[0,0,1] op_sel_hi:[1,0,0]
	v_mov_b32_e32 v9, v5
	ds_load_2addr_b64 v[4:7], v118 offset0:27 offset1:28
	v_pk_add_f32 v[108:109], v[108:109], v[10:11] neg_lo:[0,1] neg_hi:[0,1]
	v_pk_add_f32 v[110:111], v[110:111], v[8:9] neg_lo:[0,1] neg_hi:[0,1]
	s_wait_dscnt 0x0
	v_pk_mul_f32 v[8:9], v[4:5], v[2:3] op_sel:[0,1]
	s_delay_alu instid0(VALU_DEP_1) | instskip(SKIP_1) | instid1(VALU_DEP_1)
	v_pk_fma_f32 v[10:11], v[4:5], v[0:1], v[8:9] op_sel:[0,0,1] op_sel_hi:[1,1,0] neg_lo:[0,0,1] neg_hi:[0,0,1]
	v_pk_fma_f32 v[4:5], v[4:5], v[0:1], v[8:9] op_sel:[0,0,1] op_sel_hi:[1,0,0]
	v_mov_b32_e32 v11, v5
	v_pk_mul_f32 v[4:5], v[6:7], v[2:3] op_sel:[0,1]
	s_delay_alu instid0(VALU_DEP_1) | instskip(SKIP_1) | instid1(VALU_DEP_1)
	v_pk_fma_f32 v[8:9], v[6:7], v[0:1], v[4:5] op_sel:[0,0,1] op_sel_hi:[1,1,0] neg_lo:[0,0,1] neg_hi:[0,0,1]
	v_pk_fma_f32 v[4:5], v[6:7], v[0:1], v[4:5] op_sel:[0,0,1] op_sel_hi:[1,0,0]
	v_mov_b32_e32 v9, v5
	ds_load_2addr_b64 v[4:7], v118 offset0:29 offset1:30
	v_pk_add_f32 v[106:107], v[106:107], v[10:11] neg_lo:[0,1] neg_hi:[0,1]
	v_pk_add_f32 v[128:129], v[128:129], v[8:9] neg_lo:[0,1] neg_hi:[0,1]
	s_wait_dscnt 0x0
	v_dual_mul_f32 v8, v5, v3 :: v_dual_mul_f32 v10, v5, v0
	s_delay_alu instid0(VALU_DEP_1) | instskip(NEXT) | instid1(VALU_DEP_2)
	v_pk_fma_f32 v[8:9], v[4:5], v[94:95], v[8:9] op_sel_hi:[1,1,0] neg_lo:[0,0,1] neg_hi:[0,0,1]
	v_pk_fma_f32 v[4:5], v[4:5], v[94:95], v[10:11] op_sel:[1,0,0] op_sel_hi:[0,1,0]
	s_delay_alu instid0(VALU_DEP_1) | instskip(SKIP_1) | instid1(VALU_DEP_2)
	v_mov_b32_e32 v9, v5
	v_pk_mul_f32 v[4:5], v[6:7], v[2:3] op_sel:[0,1]
	v_pk_add_f32 v[124:125], v[124:125], v[8:9] neg_lo:[0,1] neg_hi:[0,1]
	s_delay_alu instid0(VALU_DEP_2) | instskip(SKIP_1) | instid1(VALU_DEP_1)
	v_pk_fma_f32 v[8:9], v[6:7], v[0:1], v[4:5] op_sel:[0,0,1] op_sel_hi:[1,1,0] neg_lo:[0,0,1] neg_hi:[0,0,1]
	v_pk_fma_f32 v[4:5], v[6:7], v[0:1], v[4:5] op_sel:[0,0,1] op_sel_hi:[1,0,0]
	v_mov_b32_e32 v9, v5
	ds_load_2addr_b64 v[4:7], v118 offset0:31 offset1:32
	v_pk_add_f32 v[126:127], v[126:127], v[8:9] neg_lo:[0,1] neg_hi:[0,1]
	s_wait_dscnt 0x0
	v_pk_mul_f32 v[8:9], v[4:5], v[2:3] op_sel:[0,1]
	s_delay_alu instid0(VALU_DEP_1) | instskip(SKIP_1) | instid1(VALU_DEP_1)
	v_pk_fma_f32 v[10:11], v[4:5], v[0:1], v[8:9] op_sel:[0,0,1] op_sel_hi:[1,1,0] neg_lo:[0,0,1] neg_hi:[0,0,1]
	v_pk_fma_f32 v[4:5], v[4:5], v[0:1], v[8:9] op_sel:[0,0,1] op_sel_hi:[1,0,0]
	v_mov_b32_e32 v11, v5
	v_pk_mul_f32 v[4:5], v[6:7], v[2:3] op_sel:[0,1]
	s_delay_alu instid0(VALU_DEP_2) | instskip(NEXT) | instid1(VALU_DEP_2)
	v_pk_add_f32 v[122:123], v[122:123], v[10:11] neg_lo:[0,1] neg_hi:[0,1]
	v_pk_fma_f32 v[8:9], v[6:7], v[0:1], v[4:5] op_sel:[0,0,1] op_sel_hi:[1,1,0] neg_lo:[0,0,1] neg_hi:[0,0,1]
	v_pk_fma_f32 v[4:5], v[6:7], v[0:1], v[4:5] op_sel:[0,0,1] op_sel_hi:[1,0,0]
	s_delay_alu instid0(VALU_DEP_1) | instskip(SKIP_4) | instid1(VALU_DEP_1)
	v_mov_b32_e32 v9, v5
	ds_load_2addr_b64 v[4:7], v118 offset0:33 offset1:34
	v_pk_add_f32 v[146:147], v[146:147], v[8:9] neg_lo:[0,1] neg_hi:[0,1]
	s_wait_dscnt 0x0
	v_pk_mul_f32 v[8:9], v[4:5], v[2:3] op_sel:[0,1]
	v_pk_fma_f32 v[10:11], v[4:5], v[0:1], v[8:9] op_sel:[0,0,1] op_sel_hi:[1,1,0] neg_lo:[0,0,1] neg_hi:[0,0,1]
	v_pk_fma_f32 v[4:5], v[4:5], v[0:1], v[8:9] op_sel:[0,0,1] op_sel_hi:[1,0,0]
	v_dual_mul_f32 v8, v7, v3 :: v_dual_mov_b32 v4, v7
	s_delay_alu instid0(VALU_DEP_2) | instskip(NEXT) | instid1(VALU_DEP_2)
	v_dual_mov_b32 v11, v5 :: v_dual_mov_b32 v5, v6
	v_pk_fma_f32 v[8:9], v[6:7], v[94:95], v[8:9] op_sel_hi:[1,1,0] neg_lo:[0,0,1] neg_hi:[0,0,1]
	v_mul_f32_e32 v6, v7, v0
	s_delay_alu instid0(VALU_DEP_3) | instskip(NEXT) | instid1(VALU_DEP_2)
	v_pk_add_f32 v[142:143], v[142:143], v[10:11] neg_lo:[0,1] neg_hi:[0,1]
	v_pk_fma_f32 v[4:5], v[4:5], v[94:95], v[6:7] op_sel_hi:[1,1,0]
	s_delay_alu instid0(VALU_DEP_1) | instskip(SKIP_4) | instid1(VALU_DEP_1)
	v_mov_b32_e32 v9, v5
	ds_load_2addr_b64 v[4:7], v118 offset0:35 offset1:36
	v_pk_add_f32 v[144:145], v[144:145], v[8:9] neg_lo:[0,1] neg_hi:[0,1]
	s_wait_dscnt 0x0
	v_pk_mul_f32 v[8:9], v[4:5], v[2:3] op_sel:[0,1]
	v_pk_fma_f32 v[10:11], v[4:5], v[0:1], v[8:9] op_sel:[0,0,1] op_sel_hi:[1,1,0] neg_lo:[0,0,1] neg_hi:[0,0,1]
	v_pk_fma_f32 v[4:5], v[4:5], v[0:1], v[8:9] op_sel:[0,0,1] op_sel_hi:[1,0,0]
	s_delay_alu instid0(VALU_DEP_1) | instskip(SKIP_1) | instid1(VALU_DEP_1)
	v_mov_b32_e32 v11, v5
	v_pk_mul_f32 v[4:5], v[6:7], v[2:3] op_sel:[0,1]
	v_pk_fma_f32 v[8:9], v[6:7], v[0:1], v[4:5] op_sel:[0,0,1] op_sel_hi:[1,1,0] neg_lo:[0,0,1] neg_hi:[0,0,1]
	v_pk_fma_f32 v[4:5], v[6:7], v[0:1], v[4:5] op_sel:[0,0,1] op_sel_hi:[1,0,0]
	s_delay_alu instid0(VALU_DEP_1)
	v_mov_b32_e32 v9, v5
	ds_load_2addr_b64 v[4:7], v118 offset0:37 offset1:38
	v_pk_add_f32 v[140:141], v[140:141], v[10:11] neg_lo:[0,1] neg_hi:[0,1]
	v_pk_add_f32 v[162:163], v[162:163], v[8:9] neg_lo:[0,1] neg_hi:[0,1]
	s_wait_dscnt 0x0
	v_pk_mul_f32 v[8:9], v[4:5], v[2:3] op_sel:[0,1]
	s_delay_alu instid0(VALU_DEP_1) | instskip(SKIP_1) | instid1(VALU_DEP_1)
	v_pk_fma_f32 v[10:11], v[4:5], v[0:1], v[8:9] op_sel:[0,0,1] op_sel_hi:[1,1,0] neg_lo:[0,0,1] neg_hi:[0,0,1]
	v_pk_fma_f32 v[4:5], v[4:5], v[0:1], v[8:9] op_sel:[0,0,1] op_sel_hi:[1,0,0]
	v_mov_b32_e32 v11, v5
	v_pk_mul_f32 v[4:5], v[6:7], v[2:3] op_sel:[0,1]
	s_delay_alu instid0(VALU_DEP_1) | instskip(SKIP_1) | instid1(VALU_DEP_1)
	v_pk_fma_f32 v[8:9], v[6:7], v[0:1], v[4:5] op_sel:[0,0,1] op_sel_hi:[1,1,0] neg_lo:[0,0,1] neg_hi:[0,0,1]
	v_pk_fma_f32 v[4:5], v[6:7], v[0:1], v[4:5] op_sel:[0,0,1] op_sel_hi:[1,0,0]
	v_mov_b32_e32 v9, v5
	ds_load_2addr_b64 v[4:7], v118 offset0:39 offset1:40
	v_pk_add_f32 v[158:159], v[158:159], v[10:11] neg_lo:[0,1] neg_hi:[0,1]
	v_pk_add_f32 v[160:161], v[160:161], v[8:9] neg_lo:[0,1] neg_hi:[0,1]
	s_wait_dscnt 0x0
	v_dual_mul_f32 v8, v5, v3 :: v_dual_mul_f32 v10, v5, v0
	s_delay_alu instid0(VALU_DEP_1) | instskip(NEXT) | instid1(VALU_DEP_2)
	v_pk_fma_f32 v[8:9], v[4:5], v[94:95], v[8:9] op_sel_hi:[1,1,0] neg_lo:[0,0,1] neg_hi:[0,0,1]
	v_pk_fma_f32 v[4:5], v[4:5], v[94:95], v[10:11] op_sel:[1,0,0] op_sel_hi:[0,1,0]
	s_delay_alu instid0(VALU_DEP_1) | instskip(SKIP_1) | instid1(VALU_DEP_2)
	v_mov_b32_e32 v9, v5
	v_pk_mul_f32 v[4:5], v[6:7], v[2:3] op_sel:[0,1]
	v_pk_add_f32 v[156:157], v[156:157], v[8:9] neg_lo:[0,1] neg_hi:[0,1]
	s_delay_alu instid0(VALU_DEP_2) | instskip(SKIP_1) | instid1(VALU_DEP_1)
	v_pk_fma_f32 v[8:9], v[6:7], v[0:1], v[4:5] op_sel:[0,0,1] op_sel_hi:[1,1,0] neg_lo:[0,0,1] neg_hi:[0,0,1]
	v_pk_fma_f32 v[4:5], v[6:7], v[0:1], v[4:5] op_sel:[0,0,1] op_sel_hi:[1,0,0]
	v_mov_b32_e32 v9, v5
	ds_load_2addr_b64 v[4:7], v118 offset0:41 offset1:42
	v_pk_add_f32 v[182:183], v[182:183], v[8:9] neg_lo:[0,1] neg_hi:[0,1]
	s_wait_dscnt 0x0
	v_pk_mul_f32 v[8:9], v[4:5], v[2:3] op_sel:[0,1]
	s_delay_alu instid0(VALU_DEP_1) | instskip(SKIP_1) | instid1(VALU_DEP_1)
	v_pk_fma_f32 v[10:11], v[4:5], v[0:1], v[8:9] op_sel:[0,0,1] op_sel_hi:[1,1,0] neg_lo:[0,0,1] neg_hi:[0,0,1]
	v_pk_fma_f32 v[4:5], v[4:5], v[0:1], v[8:9] op_sel:[0,0,1] op_sel_hi:[1,0,0]
	v_mov_b32_e32 v11, v5
	v_pk_mul_f32 v[4:5], v[6:7], v[2:3] op_sel:[0,1]
	s_delay_alu instid0(VALU_DEP_2) | instskip(NEXT) | instid1(VALU_DEP_2)
	v_pk_add_f32 v[178:179], v[178:179], v[10:11] neg_lo:[0,1] neg_hi:[0,1]
	v_pk_fma_f32 v[8:9], v[6:7], v[0:1], v[4:5] op_sel:[0,0,1] op_sel_hi:[1,1,0] neg_lo:[0,0,1] neg_hi:[0,0,1]
	v_pk_fma_f32 v[4:5], v[6:7], v[0:1], v[4:5] op_sel:[0,0,1] op_sel_hi:[1,0,0]
	s_delay_alu instid0(VALU_DEP_1) | instskip(SKIP_4) | instid1(VALU_DEP_1)
	v_mov_b32_e32 v9, v5
	ds_load_2addr_b64 v[4:7], v118 offset0:43 offset1:44
	v_pk_add_f32 v[180:181], v[180:181], v[8:9] neg_lo:[0,1] neg_hi:[0,1]
	s_wait_dscnt 0x0
	v_pk_mul_f32 v[8:9], v[4:5], v[2:3] op_sel:[0,1]
	v_pk_fma_f32 v[10:11], v[4:5], v[0:1], v[8:9] op_sel:[0,0,1] op_sel_hi:[1,1,0] neg_lo:[0,0,1] neg_hi:[0,0,1]
	v_pk_fma_f32 v[4:5], v[4:5], v[0:1], v[8:9] op_sel:[0,0,1] op_sel_hi:[1,0,0]
	v_dual_mul_f32 v8, v7, v3 :: v_dual_mov_b32 v4, v7
	s_delay_alu instid0(VALU_DEP_2) | instskip(NEXT) | instid1(VALU_DEP_2)
	v_dual_mov_b32 v11, v5 :: v_dual_mov_b32 v5, v6
	v_pk_fma_f32 v[8:9], v[6:7], v[94:95], v[8:9] op_sel_hi:[1,1,0] neg_lo:[0,0,1] neg_hi:[0,0,1]
	v_mul_f32_e32 v6, v7, v0
	s_delay_alu instid0(VALU_DEP_3) | instskip(NEXT) | instid1(VALU_DEP_2)
	v_pk_add_f32 v[176:177], v[176:177], v[10:11] neg_lo:[0,1] neg_hi:[0,1]
	v_pk_fma_f32 v[4:5], v[4:5], v[94:95], v[6:7] op_sel_hi:[1,1,0]
	s_delay_alu instid0(VALU_DEP_1) | instskip(SKIP_4) | instid1(VALU_DEP_1)
	v_mov_b32_e32 v9, v5
	ds_load_2addr_b64 v[4:7], v118 offset0:45 offset1:46
	v_pk_add_f32 v[204:205], v[204:205], v[8:9] neg_lo:[0,1] neg_hi:[0,1]
	s_wait_dscnt 0x0
	v_pk_mul_f32 v[8:9], v[4:5], v[2:3] op_sel:[0,1]
	v_pk_fma_f32 v[10:11], v[4:5], v[0:1], v[8:9] op_sel:[0,0,1] op_sel_hi:[1,1,0] neg_lo:[0,0,1] neg_hi:[0,0,1]
	v_pk_fma_f32 v[4:5], v[4:5], v[0:1], v[8:9] op_sel:[0,0,1] op_sel_hi:[1,0,0]
	s_delay_alu instid0(VALU_DEP_1) | instskip(SKIP_1) | instid1(VALU_DEP_1)
	v_mov_b32_e32 v11, v5
	v_pk_mul_f32 v[4:5], v[6:7], v[2:3] op_sel:[0,1]
	v_pk_fma_f32 v[8:9], v[6:7], v[0:1], v[4:5] op_sel:[0,0,1] op_sel_hi:[1,1,0] neg_lo:[0,0,1] neg_hi:[0,0,1]
	v_pk_fma_f32 v[4:5], v[6:7], v[0:1], v[4:5] op_sel:[0,0,1] op_sel_hi:[1,0,0]
	s_delay_alu instid0(VALU_DEP_1)
	v_mov_b32_e32 v9, v5
	ds_load_2addr_b64 v[4:7], v118 offset0:47 offset1:48
	v_pk_add_f32 v[198:199], v[198:199], v[10:11] neg_lo:[0,1] neg_hi:[0,1]
	v_pk_add_f32 v[202:203], v[202:203], v[8:9] neg_lo:[0,1] neg_hi:[0,1]
	s_wait_dscnt 0x0
	v_pk_mul_f32 v[8:9], v[4:5], v[2:3] op_sel:[0,1]
	s_delay_alu instid0(VALU_DEP_1) | instskip(SKIP_1) | instid1(VALU_DEP_1)
	v_pk_fma_f32 v[10:11], v[4:5], v[0:1], v[8:9] op_sel:[0,0,1] op_sel_hi:[1,1,0] neg_lo:[0,0,1] neg_hi:[0,0,1]
	v_pk_fma_f32 v[4:5], v[4:5], v[0:1], v[8:9] op_sel:[0,0,1] op_sel_hi:[1,0,0]
	v_mov_b32_e32 v11, v5
	v_pk_mul_f32 v[4:5], v[6:7], v[2:3] op_sel:[0,1]
	s_delay_alu instid0(VALU_DEP_1) | instskip(SKIP_1) | instid1(VALU_DEP_1)
	v_pk_fma_f32 v[8:9], v[6:7], v[0:1], v[4:5] op_sel:[0,0,1] op_sel_hi:[1,1,0] neg_lo:[0,0,1] neg_hi:[0,0,1]
	v_pk_fma_f32 v[4:5], v[6:7], v[0:1], v[4:5] op_sel:[0,0,1] op_sel_hi:[1,0,0]
	v_mov_b32_e32 v9, v5
	ds_load_2addr_b64 v[4:7], v118 offset0:49 offset1:50
	v_pk_add_f32 v[196:197], v[196:197], v[10:11] neg_lo:[0,1] neg_hi:[0,1]
	v_pk_add_f32 v[200:201], v[200:201], v[8:9] neg_lo:[0,1] neg_hi:[0,1]
	s_wait_dscnt 0x0
	v_dual_mul_f32 v8, v5, v3 :: v_dual_mul_f32 v10, v5, v0
	s_delay_alu instid0(VALU_DEP_1) | instskip(NEXT) | instid1(VALU_DEP_2)
	v_pk_fma_f32 v[8:9], v[4:5], v[94:95], v[8:9] op_sel_hi:[1,1,0] neg_lo:[0,0,1] neg_hi:[0,0,1]
	v_pk_fma_f32 v[4:5], v[4:5], v[94:95], v[10:11] op_sel:[1,0,0] op_sel_hi:[0,1,0]
	s_delay_alu instid0(VALU_DEP_1) | instskip(SKIP_1) | instid1(VALU_DEP_2)
	v_mov_b32_e32 v9, v5
	v_pk_mul_f32 v[4:5], v[6:7], v[2:3] op_sel:[0,1]
	v_pk_add_f32 v[194:195], v[194:195], v[8:9] neg_lo:[0,1] neg_hi:[0,1]
	s_delay_alu instid0(VALU_DEP_2) | instskip(SKIP_1) | instid1(VALU_DEP_1)
	v_pk_fma_f32 v[8:9], v[6:7], v[0:1], v[4:5] op_sel:[0,0,1] op_sel_hi:[1,1,0] neg_lo:[0,0,1] neg_hi:[0,0,1]
	v_pk_fma_f32 v[4:5], v[6:7], v[0:1], v[4:5] op_sel:[0,0,1] op_sel_hi:[1,0,0]
	v_mov_b32_e32 v9, v5
	ds_load_b64 v[4:5], v118 offset:408
	v_pk_add_f32 v[206:207], v[206:207], v[8:9] neg_lo:[0,1] neg_hi:[0,1]
	s_wait_dscnt 0x0
	v_pk_mul_f32 v[2:3], v[4:5], v[2:3] op_sel:[0,1]
	s_delay_alu instid0(VALU_DEP_1) | instskip(SKIP_1) | instid1(VALU_DEP_1)
	v_pk_fma_f32 v[6:7], v[4:5], v[0:1], v[2:3] op_sel:[0,0,1] op_sel_hi:[1,1,0] neg_lo:[0,0,1] neg_hi:[0,0,1]
	v_pk_fma_f32 v[0:1], v[4:5], v[0:1], v[2:3] op_sel:[0,0,1] op_sel_hi:[1,0,0]
	v_mov_b32_e32 v7, v1
	s_delay_alu instid0(VALU_DEP_1)
	v_pk_add_f32 v[208:209], v[208:209], v[6:7] neg_lo:[0,1] neg_hi:[0,1]
.LBB103_190:
	s_wait_xcnt 0x0
	s_or_b32 exec_lo, exec_lo, s1
	s_delay_alu instid0(SALU_CYCLE_1)
	s_mov_b32 s2, exec_lo
	s_wait_storecnt 0x0
	s_barrier_signal -1
	s_barrier_wait -1
	v_cmpx_eq_u32_e32 21, v116
	s_cbranch_execz .LBB103_197
; %bb.191:
	v_dual_mov_b32 v0, v92 :: v_dual_mov_b32 v1, v93
	v_dual_mov_b32 v2, v88 :: v_dual_mov_b32 v3, v89
	ds_store_b64 v117, v[90:91]
	ds_store_2addr_b64 v118, v[0:1], v[2:3] offset0:22 offset1:23
	v_dual_mov_b32 v0, v112 :: v_dual_mov_b32 v1, v113
	v_dual_mov_b32 v2, v108 :: v_dual_mov_b32 v3, v109
	ds_store_2addr_b64 v118, v[0:1], v[2:3] offset0:24 offset1:25
	v_dual_mov_b32 v0, v110 :: v_dual_mov_b32 v1, v111
	v_dual_mov_b32 v2, v106 :: v_dual_mov_b32 v3, v107
	;; [unrolled: 3-line block ×13, first 2 shown]
	ds_store_2addr_b64 v118, v[0:1], v[2:3] offset0:48 offset1:49
	v_dual_mov_b32 v0, v206 :: v_dual_mov_b32 v1, v207
	ds_store_2addr_b64 v118, v[0:1], v[208:209] offset0:50 offset1:51
	ds_load_b64 v[0:1], v117
	s_wait_dscnt 0x0
	v_cmp_neq_f32_e32 vcc_lo, 0, v0
	v_cmp_neq_f32_e64 s1, 0, v1
	s_or_b32 s1, vcc_lo, s1
	s_delay_alu instid0(SALU_CYCLE_1)
	s_and_b32 exec_lo, exec_lo, s1
	s_cbranch_execz .LBB103_197
; %bb.192:
	v_cmp_ngt_f32_e64 s1, |v0|, |v1|
                                        ; implicit-def: $vgpr2_vgpr3
	s_and_saveexec_b32 s4, s1
	s_delay_alu instid0(SALU_CYCLE_1)
	s_xor_b32 s1, exec_lo, s4
	s_cbranch_execz .LBB103_194
; %bb.193:
	v_div_scale_f32 v2, null, v1, v1, v0
	v_div_scale_f32 v5, vcc_lo, v0, v1, v0
	s_delay_alu instid0(VALU_DEP_2) | instskip(SKIP_1) | instid1(TRANS32_DEP_1)
	v_rcp_f32_e32 v3, v2
	v_nop
	v_fma_f32 v4, -v2, v3, 1.0
	s_delay_alu instid0(VALU_DEP_1) | instskip(NEXT) | instid1(VALU_DEP_1)
	v_fmac_f32_e32 v3, v4, v3
	v_mul_f32_e32 v4, v5, v3
	s_delay_alu instid0(VALU_DEP_1) | instskip(NEXT) | instid1(VALU_DEP_1)
	v_fma_f32 v6, -v2, v4, v5
	v_fmac_f32_e32 v4, v6, v3
	s_delay_alu instid0(VALU_DEP_1) | instskip(NEXT) | instid1(VALU_DEP_1)
	v_fma_f32 v2, -v2, v4, v5
	v_div_fmas_f32 v2, v2, v3, v4
	s_delay_alu instid0(VALU_DEP_1) | instskip(NEXT) | instid1(VALU_DEP_1)
	v_div_fixup_f32 v2, v2, v1, v0
	v_fmac_f32_e32 v1, v0, v2
	s_delay_alu instid0(VALU_DEP_1) | instskip(SKIP_1) | instid1(VALU_DEP_2)
	v_div_scale_f32 v0, null, v1, v1, 1.0
	v_div_scale_f32 v5, vcc_lo, 1.0, v1, 1.0
	v_rcp_f32_e32 v3, v0
	v_nop
	s_delay_alu instid0(TRANS32_DEP_1) | instskip(NEXT) | instid1(VALU_DEP_1)
	v_fma_f32 v4, -v0, v3, 1.0
	v_fmac_f32_e32 v3, v4, v3
	s_delay_alu instid0(VALU_DEP_1) | instskip(NEXT) | instid1(VALU_DEP_1)
	v_mul_f32_e32 v4, v5, v3
	v_fma_f32 v6, -v0, v4, v5
	s_delay_alu instid0(VALU_DEP_1) | instskip(NEXT) | instid1(VALU_DEP_1)
	v_fmac_f32_e32 v4, v6, v3
	v_fma_f32 v0, -v0, v4, v5
	s_delay_alu instid0(VALU_DEP_1) | instskip(NEXT) | instid1(VALU_DEP_1)
	v_div_fmas_f32 v0, v0, v3, v4
	v_div_fixup_f32 v0, v0, v1, 1.0
	s_delay_alu instid0(VALU_DEP_1)
	v_mul_f32_e32 v2, v2, v0
	v_xor_b32_e32 v3, 0x80000000, v0
                                        ; implicit-def: $vgpr0_vgpr1
.LBB103_194:
	s_and_not1_saveexec_b32 s1, s1
	s_cbranch_execz .LBB103_196
; %bb.195:
	v_div_scale_f32 v2, null, v0, v0, v1
	v_div_scale_f32 v5, vcc_lo, v1, v0, v1
	s_delay_alu instid0(VALU_DEP_2) | instskip(SKIP_1) | instid1(TRANS32_DEP_1)
	v_rcp_f32_e32 v3, v2
	v_nop
	v_fma_f32 v4, -v2, v3, 1.0
	s_delay_alu instid0(VALU_DEP_1) | instskip(NEXT) | instid1(VALU_DEP_1)
	v_fmac_f32_e32 v3, v4, v3
	v_mul_f32_e32 v4, v5, v3
	s_delay_alu instid0(VALU_DEP_1) | instskip(NEXT) | instid1(VALU_DEP_1)
	v_fma_f32 v6, -v2, v4, v5
	v_fmac_f32_e32 v4, v6, v3
	s_delay_alu instid0(VALU_DEP_1) | instskip(NEXT) | instid1(VALU_DEP_1)
	v_fma_f32 v2, -v2, v4, v5
	v_div_fmas_f32 v2, v2, v3, v4
	s_delay_alu instid0(VALU_DEP_1) | instskip(NEXT) | instid1(VALU_DEP_1)
	v_div_fixup_f32 v3, v2, v0, v1
	v_fmac_f32_e32 v0, v1, v3
	s_delay_alu instid0(VALU_DEP_1) | instskip(NEXT) | instid1(VALU_DEP_1)
	v_div_scale_f32 v1, null, v0, v0, 1.0
	v_rcp_f32_e32 v2, v1
	v_nop
	s_delay_alu instid0(TRANS32_DEP_1) | instskip(NEXT) | instid1(VALU_DEP_1)
	v_fma_f32 v4, -v1, v2, 1.0
	v_fmac_f32_e32 v2, v4, v2
	v_div_scale_f32 v4, vcc_lo, 1.0, v0, 1.0
	s_delay_alu instid0(VALU_DEP_1) | instskip(NEXT) | instid1(VALU_DEP_1)
	v_mul_f32_e32 v5, v4, v2
	v_fma_f32 v6, -v1, v5, v4
	s_delay_alu instid0(VALU_DEP_1) | instskip(NEXT) | instid1(VALU_DEP_1)
	v_fmac_f32_e32 v5, v6, v2
	v_fma_f32 v1, -v1, v5, v4
	s_delay_alu instid0(VALU_DEP_1) | instskip(NEXT) | instid1(VALU_DEP_1)
	v_div_fmas_f32 v1, v1, v2, v5
	v_div_fixup_f32 v2, v1, v0, 1.0
	s_delay_alu instid0(VALU_DEP_1)
	v_mul_f32_e64 v3, v3, -v2
.LBB103_196:
	s_or_b32 exec_lo, exec_lo, s1
	ds_store_b64 v117, v[2:3]
.LBB103_197:
	s_or_b32 exec_lo, exec_lo, s2
	s_wait_dscnt 0x0
	s_barrier_signal -1
	s_barrier_wait -1
	ds_load_b64 v[0:1], v117
	s_mov_b32 s1, exec_lo
	s_wait_dscnt 0x0
	scratch_store_b64 off, v[0:1], off offset:256 ; 8-byte Folded Spill
	s_wait_xcnt 0x0
	v_cmpx_lt_u32_e32 21, v116
	s_cbranch_execz .LBB103_199
; %bb.198:
	scratch_load_b64 v[4:5], off, off offset:256 ; 8-byte Folded Reload
	s_wait_loadcnt 0x0
	v_pk_mul_f32 v[2:3], v[4:5], v[90:91] op_sel:[1,1] op_sel_hi:[0,1]
	s_delay_alu instid0(VALU_DEP_1)
	v_pk_fma_f32 v[0:1], v[4:5], v[90:91], v[2:3] op_sel_hi:[1,0,1] neg_lo:[0,0,1] neg_hi:[0,0,1]
	v_pk_fma_f32 v[2:3], v[4:5], v[90:91], v[2:3] op_sel_hi:[1,0,1]
	ds_load_2addr_b64 v[4:7], v118 offset0:22 offset1:23
	v_dual_mov_b32 v90, v0 :: v_dual_mov_b32 v91, v3
	s_wait_dscnt 0x0
	v_pk_mul_f32 v[8:9], v[4:5], v[2:3] op_sel:[0,1]
	s_delay_alu instid0(VALU_DEP_1) | instskip(SKIP_1) | instid1(VALU_DEP_1)
	v_pk_fma_f32 v[10:11], v[4:5], v[0:1], v[8:9] op_sel:[0,0,1] op_sel_hi:[1,1,0] neg_lo:[0,0,1] neg_hi:[0,0,1]
	v_pk_fma_f32 v[4:5], v[4:5], v[0:1], v[8:9] op_sel:[0,0,1] op_sel_hi:[1,0,0]
	v_mov_b32_e32 v11, v5
	v_pk_mul_f32 v[4:5], v[6:7], v[2:3] op_sel:[0,1]
	s_delay_alu instid0(VALU_DEP_1) | instskip(SKIP_1) | instid1(VALU_DEP_1)
	v_pk_fma_f32 v[8:9], v[6:7], v[0:1], v[4:5] op_sel:[0,0,1] op_sel_hi:[1,1,0] neg_lo:[0,0,1] neg_hi:[0,0,1]
	v_pk_fma_f32 v[4:5], v[6:7], v[0:1], v[4:5] op_sel:[0,0,1] op_sel_hi:[1,0,0]
	v_mov_b32_e32 v9, v5
	ds_load_2addr_b64 v[4:7], v118 offset0:24 offset1:25
	v_pk_add_f32 v[92:93], v[92:93], v[10:11] neg_lo:[0,1] neg_hi:[0,1]
	v_pk_add_f32 v[88:89], v[88:89], v[8:9] neg_lo:[0,1] neg_hi:[0,1]
	s_wait_dscnt 0x0
	v_pk_mul_f32 v[8:9], v[4:5], v[2:3] op_sel:[0,1]
	s_delay_alu instid0(VALU_DEP_1) | instskip(SKIP_2) | instid1(VALU_DEP_2)
	v_pk_fma_f32 v[10:11], v[4:5], v[0:1], v[8:9] op_sel:[0,0,1] op_sel_hi:[1,1,0] neg_lo:[0,0,1] neg_hi:[0,0,1]
	v_pk_fma_f32 v[4:5], v[4:5], v[0:1], v[8:9] op_sel:[0,0,1] op_sel_hi:[1,0,0]
	v_dual_mul_f32 v8, v7, v3 :: v_dual_mov_b32 v4, v7
	v_dual_mov_b32 v11, v5 :: v_dual_mov_b32 v5, v6
	s_delay_alu instid0(VALU_DEP_2) | instskip(SKIP_1) | instid1(VALU_DEP_3)
	v_pk_fma_f32 v[8:9], v[6:7], v[90:91], v[8:9] op_sel_hi:[1,1,0] neg_lo:[0,0,1] neg_hi:[0,0,1]
	v_mul_f32_e32 v6, v7, v0
	v_pk_add_f32 v[112:113], v[112:113], v[10:11] neg_lo:[0,1] neg_hi:[0,1]
	s_delay_alu instid0(VALU_DEP_2) | instskip(NEXT) | instid1(VALU_DEP_1)
	v_pk_fma_f32 v[4:5], v[4:5], v[90:91], v[6:7] op_sel_hi:[1,1,0]
	v_mov_b32_e32 v9, v5
	ds_load_2addr_b64 v[4:7], v118 offset0:26 offset1:27
	v_pk_add_f32 v[108:109], v[108:109], v[8:9] neg_lo:[0,1] neg_hi:[0,1]
	s_wait_dscnt 0x0
	v_pk_mul_f32 v[8:9], v[4:5], v[2:3] op_sel:[0,1]
	s_delay_alu instid0(VALU_DEP_1) | instskip(SKIP_1) | instid1(VALU_DEP_1)
	v_pk_fma_f32 v[10:11], v[4:5], v[0:1], v[8:9] op_sel:[0,0,1] op_sel_hi:[1,1,0] neg_lo:[0,0,1] neg_hi:[0,0,1]
	v_pk_fma_f32 v[4:5], v[4:5], v[0:1], v[8:9] op_sel:[0,0,1] op_sel_hi:[1,0,0]
	v_mov_b32_e32 v11, v5
	v_pk_mul_f32 v[4:5], v[6:7], v[2:3] op_sel:[0,1]
	s_delay_alu instid0(VALU_DEP_1) | instskip(SKIP_1) | instid1(VALU_DEP_1)
	v_pk_fma_f32 v[8:9], v[6:7], v[0:1], v[4:5] op_sel:[0,0,1] op_sel_hi:[1,1,0] neg_lo:[0,0,1] neg_hi:[0,0,1]
	v_pk_fma_f32 v[4:5], v[6:7], v[0:1], v[4:5] op_sel:[0,0,1] op_sel_hi:[1,0,0]
	v_mov_b32_e32 v9, v5
	ds_load_2addr_b64 v[4:7], v118 offset0:28 offset1:29
	v_pk_add_f32 v[110:111], v[110:111], v[10:11] neg_lo:[0,1] neg_hi:[0,1]
	v_pk_add_f32 v[106:107], v[106:107], v[8:9] neg_lo:[0,1] neg_hi:[0,1]
	s_wait_dscnt 0x0
	v_pk_mul_f32 v[8:9], v[4:5], v[2:3] op_sel:[0,1]
	s_delay_alu instid0(VALU_DEP_1) | instskip(SKIP_1) | instid1(VALU_DEP_1)
	v_pk_fma_f32 v[10:11], v[4:5], v[0:1], v[8:9] op_sel:[0,0,1] op_sel_hi:[1,1,0] neg_lo:[0,0,1] neg_hi:[0,0,1]
	v_pk_fma_f32 v[4:5], v[4:5], v[0:1], v[8:9] op_sel:[0,0,1] op_sel_hi:[1,0,0]
	v_mov_b32_e32 v11, v5
	v_pk_mul_f32 v[4:5], v[6:7], v[2:3] op_sel:[0,1]
	s_delay_alu instid0(VALU_DEP_1) | instskip(SKIP_1) | instid1(VALU_DEP_1)
	v_pk_fma_f32 v[8:9], v[6:7], v[0:1], v[4:5] op_sel:[0,0,1] op_sel_hi:[1,1,0] neg_lo:[0,0,1] neg_hi:[0,0,1]
	v_pk_fma_f32 v[4:5], v[6:7], v[0:1], v[4:5] op_sel:[0,0,1] op_sel_hi:[1,0,0]
	v_mov_b32_e32 v9, v5
	ds_load_2addr_b64 v[4:7], v118 offset0:30 offset1:31
	v_pk_add_f32 v[128:129], v[128:129], v[10:11] neg_lo:[0,1] neg_hi:[0,1]
	v_pk_add_f32 v[124:125], v[124:125], v[8:9] neg_lo:[0,1] neg_hi:[0,1]
	s_wait_dscnt 0x0
	v_dual_mul_f32 v8, v5, v3 :: v_dual_mul_f32 v10, v5, v0
	s_delay_alu instid0(VALU_DEP_1) | instskip(NEXT) | instid1(VALU_DEP_2)
	v_pk_fma_f32 v[8:9], v[4:5], v[90:91], v[8:9] op_sel_hi:[1,1,0] neg_lo:[0,0,1] neg_hi:[0,0,1]
	v_pk_fma_f32 v[4:5], v[4:5], v[90:91], v[10:11] op_sel:[1,0,0] op_sel_hi:[0,1,0]
	s_delay_alu instid0(VALU_DEP_1) | instskip(SKIP_1) | instid1(VALU_DEP_2)
	v_mov_b32_e32 v9, v5
	v_pk_mul_f32 v[4:5], v[6:7], v[2:3] op_sel:[0,1]
	v_pk_add_f32 v[126:127], v[126:127], v[8:9] neg_lo:[0,1] neg_hi:[0,1]
	s_delay_alu instid0(VALU_DEP_2) | instskip(SKIP_1) | instid1(VALU_DEP_1)
	v_pk_fma_f32 v[8:9], v[6:7], v[0:1], v[4:5] op_sel:[0,0,1] op_sel_hi:[1,1,0] neg_lo:[0,0,1] neg_hi:[0,0,1]
	v_pk_fma_f32 v[4:5], v[6:7], v[0:1], v[4:5] op_sel:[0,0,1] op_sel_hi:[1,0,0]
	v_mov_b32_e32 v9, v5
	ds_load_2addr_b64 v[4:7], v118 offset0:32 offset1:33
	v_pk_add_f32 v[122:123], v[122:123], v[8:9] neg_lo:[0,1] neg_hi:[0,1]
	s_wait_dscnt 0x0
	v_pk_mul_f32 v[8:9], v[4:5], v[2:3] op_sel:[0,1]
	s_delay_alu instid0(VALU_DEP_1) | instskip(SKIP_1) | instid1(VALU_DEP_1)
	v_pk_fma_f32 v[10:11], v[4:5], v[0:1], v[8:9] op_sel:[0,0,1] op_sel_hi:[1,1,0] neg_lo:[0,0,1] neg_hi:[0,0,1]
	v_pk_fma_f32 v[4:5], v[4:5], v[0:1], v[8:9] op_sel:[0,0,1] op_sel_hi:[1,0,0]
	v_mov_b32_e32 v11, v5
	v_pk_mul_f32 v[4:5], v[6:7], v[2:3] op_sel:[0,1]
	s_delay_alu instid0(VALU_DEP_2) | instskip(NEXT) | instid1(VALU_DEP_2)
	v_pk_add_f32 v[146:147], v[146:147], v[10:11] neg_lo:[0,1] neg_hi:[0,1]
	v_pk_fma_f32 v[8:9], v[6:7], v[0:1], v[4:5] op_sel:[0,0,1] op_sel_hi:[1,1,0] neg_lo:[0,0,1] neg_hi:[0,0,1]
	v_pk_fma_f32 v[4:5], v[6:7], v[0:1], v[4:5] op_sel:[0,0,1] op_sel_hi:[1,0,0]
	s_delay_alu instid0(VALU_DEP_1) | instskip(SKIP_4) | instid1(VALU_DEP_1)
	v_mov_b32_e32 v9, v5
	ds_load_2addr_b64 v[4:7], v118 offset0:34 offset1:35
	v_pk_add_f32 v[142:143], v[142:143], v[8:9] neg_lo:[0,1] neg_hi:[0,1]
	s_wait_dscnt 0x0
	v_pk_mul_f32 v[8:9], v[4:5], v[2:3] op_sel:[0,1]
	v_pk_fma_f32 v[10:11], v[4:5], v[0:1], v[8:9] op_sel:[0,0,1] op_sel_hi:[1,1,0] neg_lo:[0,0,1] neg_hi:[0,0,1]
	v_pk_fma_f32 v[4:5], v[4:5], v[0:1], v[8:9] op_sel:[0,0,1] op_sel_hi:[1,0,0]
	v_dual_mul_f32 v8, v7, v3 :: v_dual_mov_b32 v4, v7
	s_delay_alu instid0(VALU_DEP_2) | instskip(NEXT) | instid1(VALU_DEP_2)
	v_dual_mov_b32 v11, v5 :: v_dual_mov_b32 v5, v6
	v_pk_fma_f32 v[8:9], v[6:7], v[90:91], v[8:9] op_sel_hi:[1,1,0] neg_lo:[0,0,1] neg_hi:[0,0,1]
	v_mul_f32_e32 v6, v7, v0
	s_delay_alu instid0(VALU_DEP_3) | instskip(NEXT) | instid1(VALU_DEP_2)
	v_pk_add_f32 v[144:145], v[144:145], v[10:11] neg_lo:[0,1] neg_hi:[0,1]
	v_pk_fma_f32 v[4:5], v[4:5], v[90:91], v[6:7] op_sel_hi:[1,1,0]
	s_delay_alu instid0(VALU_DEP_1) | instskip(SKIP_4) | instid1(VALU_DEP_1)
	v_mov_b32_e32 v9, v5
	ds_load_2addr_b64 v[4:7], v118 offset0:36 offset1:37
	v_pk_add_f32 v[140:141], v[140:141], v[8:9] neg_lo:[0,1] neg_hi:[0,1]
	s_wait_dscnt 0x0
	v_pk_mul_f32 v[8:9], v[4:5], v[2:3] op_sel:[0,1]
	v_pk_fma_f32 v[10:11], v[4:5], v[0:1], v[8:9] op_sel:[0,0,1] op_sel_hi:[1,1,0] neg_lo:[0,0,1] neg_hi:[0,0,1]
	v_pk_fma_f32 v[4:5], v[4:5], v[0:1], v[8:9] op_sel:[0,0,1] op_sel_hi:[1,0,0]
	s_delay_alu instid0(VALU_DEP_1) | instskip(SKIP_1) | instid1(VALU_DEP_1)
	v_mov_b32_e32 v11, v5
	v_pk_mul_f32 v[4:5], v[6:7], v[2:3] op_sel:[0,1]
	v_pk_fma_f32 v[8:9], v[6:7], v[0:1], v[4:5] op_sel:[0,0,1] op_sel_hi:[1,1,0] neg_lo:[0,0,1] neg_hi:[0,0,1]
	v_pk_fma_f32 v[4:5], v[6:7], v[0:1], v[4:5] op_sel:[0,0,1] op_sel_hi:[1,0,0]
	s_delay_alu instid0(VALU_DEP_1)
	v_mov_b32_e32 v9, v5
	ds_load_2addr_b64 v[4:7], v118 offset0:38 offset1:39
	v_pk_add_f32 v[162:163], v[162:163], v[10:11] neg_lo:[0,1] neg_hi:[0,1]
	v_pk_add_f32 v[158:159], v[158:159], v[8:9] neg_lo:[0,1] neg_hi:[0,1]
	s_wait_dscnt 0x0
	v_pk_mul_f32 v[8:9], v[4:5], v[2:3] op_sel:[0,1]
	s_delay_alu instid0(VALU_DEP_1) | instskip(SKIP_1) | instid1(VALU_DEP_1)
	v_pk_fma_f32 v[10:11], v[4:5], v[0:1], v[8:9] op_sel:[0,0,1] op_sel_hi:[1,1,0] neg_lo:[0,0,1] neg_hi:[0,0,1]
	v_pk_fma_f32 v[4:5], v[4:5], v[0:1], v[8:9] op_sel:[0,0,1] op_sel_hi:[1,0,0]
	v_mov_b32_e32 v11, v5
	v_pk_mul_f32 v[4:5], v[6:7], v[2:3] op_sel:[0,1]
	s_delay_alu instid0(VALU_DEP_1) | instskip(SKIP_1) | instid1(VALU_DEP_1)
	v_pk_fma_f32 v[8:9], v[6:7], v[0:1], v[4:5] op_sel:[0,0,1] op_sel_hi:[1,1,0] neg_lo:[0,0,1] neg_hi:[0,0,1]
	v_pk_fma_f32 v[4:5], v[6:7], v[0:1], v[4:5] op_sel:[0,0,1] op_sel_hi:[1,0,0]
	v_mov_b32_e32 v9, v5
	ds_load_2addr_b64 v[4:7], v118 offset0:40 offset1:41
	v_pk_add_f32 v[160:161], v[160:161], v[10:11] neg_lo:[0,1] neg_hi:[0,1]
	v_pk_add_f32 v[156:157], v[156:157], v[8:9] neg_lo:[0,1] neg_hi:[0,1]
	s_wait_dscnt 0x0
	v_dual_mul_f32 v8, v5, v3 :: v_dual_mul_f32 v10, v5, v0
	s_delay_alu instid0(VALU_DEP_1) | instskip(NEXT) | instid1(VALU_DEP_2)
	v_pk_fma_f32 v[8:9], v[4:5], v[90:91], v[8:9] op_sel_hi:[1,1,0] neg_lo:[0,0,1] neg_hi:[0,0,1]
	v_pk_fma_f32 v[4:5], v[4:5], v[90:91], v[10:11] op_sel:[1,0,0] op_sel_hi:[0,1,0]
	s_delay_alu instid0(VALU_DEP_1) | instskip(SKIP_1) | instid1(VALU_DEP_2)
	v_mov_b32_e32 v9, v5
	v_pk_mul_f32 v[4:5], v[6:7], v[2:3] op_sel:[0,1]
	v_pk_add_f32 v[182:183], v[182:183], v[8:9] neg_lo:[0,1] neg_hi:[0,1]
	s_delay_alu instid0(VALU_DEP_2) | instskip(SKIP_1) | instid1(VALU_DEP_1)
	v_pk_fma_f32 v[8:9], v[6:7], v[0:1], v[4:5] op_sel:[0,0,1] op_sel_hi:[1,1,0] neg_lo:[0,0,1] neg_hi:[0,0,1]
	v_pk_fma_f32 v[4:5], v[6:7], v[0:1], v[4:5] op_sel:[0,0,1] op_sel_hi:[1,0,0]
	v_mov_b32_e32 v9, v5
	ds_load_2addr_b64 v[4:7], v118 offset0:42 offset1:43
	v_pk_add_f32 v[178:179], v[178:179], v[8:9] neg_lo:[0,1] neg_hi:[0,1]
	s_wait_dscnt 0x0
	v_pk_mul_f32 v[8:9], v[4:5], v[2:3] op_sel:[0,1]
	s_delay_alu instid0(VALU_DEP_1) | instskip(SKIP_1) | instid1(VALU_DEP_1)
	v_pk_fma_f32 v[10:11], v[4:5], v[0:1], v[8:9] op_sel:[0,0,1] op_sel_hi:[1,1,0] neg_lo:[0,0,1] neg_hi:[0,0,1]
	v_pk_fma_f32 v[4:5], v[4:5], v[0:1], v[8:9] op_sel:[0,0,1] op_sel_hi:[1,0,0]
	v_mov_b32_e32 v11, v5
	v_pk_mul_f32 v[4:5], v[6:7], v[2:3] op_sel:[0,1]
	s_delay_alu instid0(VALU_DEP_2) | instskip(NEXT) | instid1(VALU_DEP_2)
	v_pk_add_f32 v[180:181], v[180:181], v[10:11] neg_lo:[0,1] neg_hi:[0,1]
	v_pk_fma_f32 v[8:9], v[6:7], v[0:1], v[4:5] op_sel:[0,0,1] op_sel_hi:[1,1,0] neg_lo:[0,0,1] neg_hi:[0,0,1]
	v_pk_fma_f32 v[4:5], v[6:7], v[0:1], v[4:5] op_sel:[0,0,1] op_sel_hi:[1,0,0]
	s_delay_alu instid0(VALU_DEP_1) | instskip(SKIP_4) | instid1(VALU_DEP_1)
	v_mov_b32_e32 v9, v5
	ds_load_2addr_b64 v[4:7], v118 offset0:44 offset1:45
	v_pk_add_f32 v[176:177], v[176:177], v[8:9] neg_lo:[0,1] neg_hi:[0,1]
	s_wait_dscnt 0x0
	v_pk_mul_f32 v[8:9], v[4:5], v[2:3] op_sel:[0,1]
	v_pk_fma_f32 v[10:11], v[4:5], v[0:1], v[8:9] op_sel:[0,0,1] op_sel_hi:[1,1,0] neg_lo:[0,0,1] neg_hi:[0,0,1]
	v_pk_fma_f32 v[4:5], v[4:5], v[0:1], v[8:9] op_sel:[0,0,1] op_sel_hi:[1,0,0]
	v_dual_mul_f32 v8, v7, v3 :: v_dual_mov_b32 v4, v7
	s_delay_alu instid0(VALU_DEP_2) | instskip(NEXT) | instid1(VALU_DEP_2)
	v_dual_mov_b32 v11, v5 :: v_dual_mov_b32 v5, v6
	v_pk_fma_f32 v[8:9], v[6:7], v[90:91], v[8:9] op_sel_hi:[1,1,0] neg_lo:[0,0,1] neg_hi:[0,0,1]
	v_mul_f32_e32 v6, v7, v0
	s_delay_alu instid0(VALU_DEP_3) | instskip(NEXT) | instid1(VALU_DEP_2)
	v_pk_add_f32 v[204:205], v[204:205], v[10:11] neg_lo:[0,1] neg_hi:[0,1]
	v_pk_fma_f32 v[4:5], v[4:5], v[90:91], v[6:7] op_sel_hi:[1,1,0]
	s_delay_alu instid0(VALU_DEP_1) | instskip(SKIP_4) | instid1(VALU_DEP_1)
	v_mov_b32_e32 v9, v5
	ds_load_2addr_b64 v[4:7], v118 offset0:46 offset1:47
	v_pk_add_f32 v[198:199], v[198:199], v[8:9] neg_lo:[0,1] neg_hi:[0,1]
	s_wait_dscnt 0x0
	v_pk_mul_f32 v[8:9], v[4:5], v[2:3] op_sel:[0,1]
	v_pk_fma_f32 v[10:11], v[4:5], v[0:1], v[8:9] op_sel:[0,0,1] op_sel_hi:[1,1,0] neg_lo:[0,0,1] neg_hi:[0,0,1]
	v_pk_fma_f32 v[4:5], v[4:5], v[0:1], v[8:9] op_sel:[0,0,1] op_sel_hi:[1,0,0]
	s_delay_alu instid0(VALU_DEP_1) | instskip(SKIP_1) | instid1(VALU_DEP_1)
	v_mov_b32_e32 v11, v5
	v_pk_mul_f32 v[4:5], v[6:7], v[2:3] op_sel:[0,1]
	v_pk_fma_f32 v[8:9], v[6:7], v[0:1], v[4:5] op_sel:[0,0,1] op_sel_hi:[1,1,0] neg_lo:[0,0,1] neg_hi:[0,0,1]
	v_pk_fma_f32 v[4:5], v[6:7], v[0:1], v[4:5] op_sel:[0,0,1] op_sel_hi:[1,0,0]
	s_delay_alu instid0(VALU_DEP_1)
	v_mov_b32_e32 v9, v5
	ds_load_2addr_b64 v[4:7], v118 offset0:48 offset1:49
	v_pk_add_f32 v[202:203], v[202:203], v[10:11] neg_lo:[0,1] neg_hi:[0,1]
	v_pk_add_f32 v[196:197], v[196:197], v[8:9] neg_lo:[0,1] neg_hi:[0,1]
	s_wait_dscnt 0x0
	v_pk_mul_f32 v[8:9], v[4:5], v[2:3] op_sel:[0,1]
	s_delay_alu instid0(VALU_DEP_1) | instskip(SKIP_1) | instid1(VALU_DEP_1)
	v_pk_fma_f32 v[10:11], v[4:5], v[0:1], v[8:9] op_sel:[0,0,1] op_sel_hi:[1,1,0] neg_lo:[0,0,1] neg_hi:[0,0,1]
	v_pk_fma_f32 v[4:5], v[4:5], v[0:1], v[8:9] op_sel:[0,0,1] op_sel_hi:[1,0,0]
	v_mov_b32_e32 v11, v5
	v_pk_mul_f32 v[4:5], v[6:7], v[2:3] op_sel:[0,1]
	s_delay_alu instid0(VALU_DEP_1) | instskip(SKIP_1) | instid1(VALU_DEP_1)
	v_pk_fma_f32 v[8:9], v[6:7], v[0:1], v[4:5] op_sel:[0,0,1] op_sel_hi:[1,1,0] neg_lo:[0,0,1] neg_hi:[0,0,1]
	v_pk_fma_f32 v[4:5], v[6:7], v[0:1], v[4:5] op_sel:[0,0,1] op_sel_hi:[1,0,0]
	v_mov_b32_e32 v9, v5
	ds_load_2addr_b64 v[4:7], v118 offset0:50 offset1:51
	v_pk_add_f32 v[200:201], v[200:201], v[10:11] neg_lo:[0,1] neg_hi:[0,1]
	v_pk_add_f32 v[194:195], v[194:195], v[8:9] neg_lo:[0,1] neg_hi:[0,1]
	s_wait_dscnt 0x0
	v_mul_f32_e32 v2, v5, v3
	s_delay_alu instid0(VALU_DEP_1) | instskip(SKIP_1) | instid1(VALU_DEP_1)
	v_pk_fma_f32 v[8:9], v[4:5], v[90:91], v[2:3] op_sel_hi:[1,1,0] neg_lo:[0,0,1] neg_hi:[0,0,1]
	v_dual_mul_f32 v2, v5, v0 :: v_dual_mul_f32 v0, v7, v0
	v_pk_fma_f32 v[4:5], v[4:5], v[90:91], v[2:3] op_sel:[1,0,0] op_sel_hi:[0,1,0]
	v_dual_mov_b32 v4, v7 :: v_dual_mul_f32 v2, v7, v3
	s_delay_alu instid0(VALU_DEP_2) | instskip(NEXT) | instid1(VALU_DEP_2)
	v_dual_mov_b32 v9, v5 :: v_dual_mov_b32 v5, v6
	v_pk_fma_f32 v[2:3], v[6:7], v[90:91], v[2:3] op_sel_hi:[1,1,0] neg_lo:[0,0,1] neg_hi:[0,0,1]
	s_delay_alu instid0(VALU_DEP_2) | instskip(NEXT) | instid1(VALU_DEP_3)
	v_pk_add_f32 v[206:207], v[206:207], v[8:9] neg_lo:[0,1] neg_hi:[0,1]
	v_pk_fma_f32 v[0:1], v[4:5], v[90:91], v[0:1] op_sel_hi:[1,1,0]
	s_delay_alu instid0(VALU_DEP_1) | instskip(NEXT) | instid1(VALU_DEP_1)
	v_mov_b32_e32 v3, v1
	v_pk_add_f32 v[208:209], v[208:209], v[2:3] neg_lo:[0,1] neg_hi:[0,1]
.LBB103_199:
	s_wait_xcnt 0x0
	s_or_b32 exec_lo, exec_lo, s1
	s_delay_alu instid0(SALU_CYCLE_1)
	s_mov_b32 s2, exec_lo
	s_wait_storecnt 0x0
	s_barrier_signal -1
	s_barrier_wait -1
	v_cmpx_eq_u32_e32 22, v116
	s_cbranch_execz .LBB103_206
; %bb.200:
	ds_store_b64 v117, v[92:93]
	ds_store_2addr_b64 v118, v[88:89], v[112:113] offset0:23 offset1:24
	ds_store_2addr_b64 v118, v[108:109], v[110:111] offset0:25 offset1:26
	;; [unrolled: 1-line block ×14, first 2 shown]
	ds_store_b64 v118, v[208:209] offset:408
	ds_load_b64 v[0:1], v117
	s_wait_dscnt 0x0
	v_cmp_neq_f32_e32 vcc_lo, 0, v0
	v_cmp_neq_f32_e64 s1, 0, v1
	s_or_b32 s1, vcc_lo, s1
	s_delay_alu instid0(SALU_CYCLE_1)
	s_and_b32 exec_lo, exec_lo, s1
	s_cbranch_execz .LBB103_206
; %bb.201:
	v_cmp_ngt_f32_e64 s1, |v0|, |v1|
                                        ; implicit-def: $vgpr2_vgpr3
	s_and_saveexec_b32 s4, s1
	s_delay_alu instid0(SALU_CYCLE_1)
	s_xor_b32 s1, exec_lo, s4
	s_cbranch_execz .LBB103_203
; %bb.202:
	v_div_scale_f32 v2, null, v1, v1, v0
	v_div_scale_f32 v5, vcc_lo, v0, v1, v0
	s_delay_alu instid0(VALU_DEP_2) | instskip(SKIP_1) | instid1(TRANS32_DEP_1)
	v_rcp_f32_e32 v3, v2
	v_nop
	v_fma_f32 v4, -v2, v3, 1.0
	s_delay_alu instid0(VALU_DEP_1) | instskip(NEXT) | instid1(VALU_DEP_1)
	v_fmac_f32_e32 v3, v4, v3
	v_mul_f32_e32 v4, v5, v3
	s_delay_alu instid0(VALU_DEP_1) | instskip(NEXT) | instid1(VALU_DEP_1)
	v_fma_f32 v6, -v2, v4, v5
	v_fmac_f32_e32 v4, v6, v3
	s_delay_alu instid0(VALU_DEP_1) | instskip(NEXT) | instid1(VALU_DEP_1)
	v_fma_f32 v2, -v2, v4, v5
	v_div_fmas_f32 v2, v2, v3, v4
	s_delay_alu instid0(VALU_DEP_1) | instskip(NEXT) | instid1(VALU_DEP_1)
	v_div_fixup_f32 v2, v2, v1, v0
	v_fmac_f32_e32 v1, v0, v2
	s_delay_alu instid0(VALU_DEP_1) | instskip(SKIP_1) | instid1(VALU_DEP_2)
	v_div_scale_f32 v0, null, v1, v1, 1.0
	v_div_scale_f32 v5, vcc_lo, 1.0, v1, 1.0
	v_rcp_f32_e32 v3, v0
	v_nop
	s_delay_alu instid0(TRANS32_DEP_1) | instskip(NEXT) | instid1(VALU_DEP_1)
	v_fma_f32 v4, -v0, v3, 1.0
	v_fmac_f32_e32 v3, v4, v3
	s_delay_alu instid0(VALU_DEP_1) | instskip(NEXT) | instid1(VALU_DEP_1)
	v_mul_f32_e32 v4, v5, v3
	v_fma_f32 v6, -v0, v4, v5
	s_delay_alu instid0(VALU_DEP_1) | instskip(NEXT) | instid1(VALU_DEP_1)
	v_fmac_f32_e32 v4, v6, v3
	v_fma_f32 v0, -v0, v4, v5
	s_delay_alu instid0(VALU_DEP_1) | instskip(NEXT) | instid1(VALU_DEP_1)
	v_div_fmas_f32 v0, v0, v3, v4
	v_div_fixup_f32 v0, v0, v1, 1.0
	s_delay_alu instid0(VALU_DEP_1)
	v_mul_f32_e32 v2, v2, v0
	v_xor_b32_e32 v3, 0x80000000, v0
                                        ; implicit-def: $vgpr0_vgpr1
.LBB103_203:
	s_and_not1_saveexec_b32 s1, s1
	s_cbranch_execz .LBB103_205
; %bb.204:
	v_div_scale_f32 v2, null, v0, v0, v1
	v_div_scale_f32 v5, vcc_lo, v1, v0, v1
	s_delay_alu instid0(VALU_DEP_2) | instskip(SKIP_1) | instid1(TRANS32_DEP_1)
	v_rcp_f32_e32 v3, v2
	v_nop
	v_fma_f32 v4, -v2, v3, 1.0
	s_delay_alu instid0(VALU_DEP_1) | instskip(NEXT) | instid1(VALU_DEP_1)
	v_fmac_f32_e32 v3, v4, v3
	v_mul_f32_e32 v4, v5, v3
	s_delay_alu instid0(VALU_DEP_1) | instskip(NEXT) | instid1(VALU_DEP_1)
	v_fma_f32 v6, -v2, v4, v5
	v_fmac_f32_e32 v4, v6, v3
	s_delay_alu instid0(VALU_DEP_1) | instskip(NEXT) | instid1(VALU_DEP_1)
	v_fma_f32 v2, -v2, v4, v5
	v_div_fmas_f32 v2, v2, v3, v4
	s_delay_alu instid0(VALU_DEP_1) | instskip(NEXT) | instid1(VALU_DEP_1)
	v_div_fixup_f32 v3, v2, v0, v1
	v_fmac_f32_e32 v0, v1, v3
	s_delay_alu instid0(VALU_DEP_1) | instskip(NEXT) | instid1(VALU_DEP_1)
	v_div_scale_f32 v1, null, v0, v0, 1.0
	v_rcp_f32_e32 v2, v1
	v_nop
	s_delay_alu instid0(TRANS32_DEP_1) | instskip(NEXT) | instid1(VALU_DEP_1)
	v_fma_f32 v4, -v1, v2, 1.0
	v_fmac_f32_e32 v2, v4, v2
	v_div_scale_f32 v4, vcc_lo, 1.0, v0, 1.0
	s_delay_alu instid0(VALU_DEP_1) | instskip(NEXT) | instid1(VALU_DEP_1)
	v_mul_f32_e32 v5, v4, v2
	v_fma_f32 v6, -v1, v5, v4
	s_delay_alu instid0(VALU_DEP_1) | instskip(NEXT) | instid1(VALU_DEP_1)
	v_fmac_f32_e32 v5, v6, v2
	v_fma_f32 v1, -v1, v5, v4
	s_delay_alu instid0(VALU_DEP_1) | instskip(NEXT) | instid1(VALU_DEP_1)
	v_div_fmas_f32 v1, v1, v2, v5
	v_div_fixup_f32 v2, v1, v0, 1.0
	s_delay_alu instid0(VALU_DEP_1)
	v_mul_f32_e64 v3, v3, -v2
.LBB103_205:
	s_or_b32 exec_lo, exec_lo, s1
	ds_store_b64 v117, v[2:3]
.LBB103_206:
	s_or_b32 exec_lo, exec_lo, s2
	s_wait_dscnt 0x0
	s_barrier_signal -1
	s_barrier_wait -1
	ds_load_b64 v[0:1], v117
	s_mov_b32 s1, exec_lo
	s_wait_dscnt 0x0
	scratch_store_b64 off, v[0:1], off offset:264 ; 8-byte Folded Spill
	s_wait_xcnt 0x0
	v_cmpx_lt_u32_e32 22, v116
	s_cbranch_execz .LBB103_208
; %bb.207:
	scratch_load_b64 v[4:5], off, off offset:264 ; 8-byte Folded Reload
	s_wait_loadcnt 0x0
	v_pk_mul_f32 v[2:3], v[4:5], v[92:93] op_sel:[1,1] op_sel_hi:[0,1]
	s_delay_alu instid0(VALU_DEP_1)
	v_pk_fma_f32 v[0:1], v[4:5], v[92:93], v[2:3] op_sel_hi:[1,0,1] neg_lo:[0,0,1] neg_hi:[0,0,1]
	v_pk_fma_f32 v[2:3], v[4:5], v[92:93], v[2:3] op_sel_hi:[1,0,1]
	ds_load_2addr_b64 v[4:7], v118 offset0:23 offset1:24
	v_dual_mov_b32 v92, v0 :: v_dual_mov_b32 v93, v3
	s_wait_dscnt 0x0
	v_pk_mul_f32 v[8:9], v[4:5], v[2:3] op_sel:[0,1]
	s_delay_alu instid0(VALU_DEP_1) | instskip(SKIP_1) | instid1(VALU_DEP_1)
	v_pk_fma_f32 v[10:11], v[4:5], v[0:1], v[8:9] op_sel:[0,0,1] op_sel_hi:[1,1,0] neg_lo:[0,0,1] neg_hi:[0,0,1]
	v_pk_fma_f32 v[4:5], v[4:5], v[0:1], v[8:9] op_sel:[0,0,1] op_sel_hi:[1,0,0]
	v_mov_b32_e32 v11, v5
	v_pk_mul_f32 v[4:5], v[6:7], v[2:3] op_sel:[0,1]
	s_delay_alu instid0(VALU_DEP_1) | instskip(SKIP_1) | instid1(VALU_DEP_1)
	v_pk_fma_f32 v[8:9], v[6:7], v[0:1], v[4:5] op_sel:[0,0,1] op_sel_hi:[1,1,0] neg_lo:[0,0,1] neg_hi:[0,0,1]
	v_pk_fma_f32 v[4:5], v[6:7], v[0:1], v[4:5] op_sel:[0,0,1] op_sel_hi:[1,0,0]
	v_mov_b32_e32 v9, v5
	ds_load_2addr_b64 v[4:7], v118 offset0:25 offset1:26
	v_pk_add_f32 v[88:89], v[88:89], v[10:11] neg_lo:[0,1] neg_hi:[0,1]
	v_pk_add_f32 v[112:113], v[112:113], v[8:9] neg_lo:[0,1] neg_hi:[0,1]
	s_wait_dscnt 0x0
	v_pk_mul_f32 v[8:9], v[4:5], v[2:3] op_sel:[0,1]
	s_delay_alu instid0(VALU_DEP_1) | instskip(SKIP_2) | instid1(VALU_DEP_2)
	v_pk_fma_f32 v[10:11], v[4:5], v[0:1], v[8:9] op_sel:[0,0,1] op_sel_hi:[1,1,0] neg_lo:[0,0,1] neg_hi:[0,0,1]
	v_pk_fma_f32 v[4:5], v[4:5], v[0:1], v[8:9] op_sel:[0,0,1] op_sel_hi:[1,0,0]
	v_dual_mul_f32 v8, v7, v3 :: v_dual_mov_b32 v4, v7
	v_dual_mov_b32 v11, v5 :: v_dual_mov_b32 v5, v6
	s_delay_alu instid0(VALU_DEP_2) | instskip(SKIP_1) | instid1(VALU_DEP_3)
	v_pk_fma_f32 v[8:9], v[6:7], v[92:93], v[8:9] op_sel_hi:[1,1,0] neg_lo:[0,0,1] neg_hi:[0,0,1]
	v_mul_f32_e32 v6, v7, v0
	v_pk_add_f32 v[108:109], v[108:109], v[10:11] neg_lo:[0,1] neg_hi:[0,1]
	s_delay_alu instid0(VALU_DEP_2) | instskip(NEXT) | instid1(VALU_DEP_1)
	v_pk_fma_f32 v[4:5], v[4:5], v[92:93], v[6:7] op_sel_hi:[1,1,0]
	v_mov_b32_e32 v9, v5
	ds_load_2addr_b64 v[4:7], v118 offset0:27 offset1:28
	v_pk_add_f32 v[110:111], v[110:111], v[8:9] neg_lo:[0,1] neg_hi:[0,1]
	s_wait_dscnt 0x0
	v_pk_mul_f32 v[8:9], v[4:5], v[2:3] op_sel:[0,1]
	s_delay_alu instid0(VALU_DEP_1) | instskip(SKIP_1) | instid1(VALU_DEP_1)
	v_pk_fma_f32 v[10:11], v[4:5], v[0:1], v[8:9] op_sel:[0,0,1] op_sel_hi:[1,1,0] neg_lo:[0,0,1] neg_hi:[0,0,1]
	v_pk_fma_f32 v[4:5], v[4:5], v[0:1], v[8:9] op_sel:[0,0,1] op_sel_hi:[1,0,0]
	v_mov_b32_e32 v11, v5
	v_pk_mul_f32 v[4:5], v[6:7], v[2:3] op_sel:[0,1]
	s_delay_alu instid0(VALU_DEP_1) | instskip(SKIP_1) | instid1(VALU_DEP_1)
	v_pk_fma_f32 v[8:9], v[6:7], v[0:1], v[4:5] op_sel:[0,0,1] op_sel_hi:[1,1,0] neg_lo:[0,0,1] neg_hi:[0,0,1]
	v_pk_fma_f32 v[4:5], v[6:7], v[0:1], v[4:5] op_sel:[0,0,1] op_sel_hi:[1,0,0]
	v_mov_b32_e32 v9, v5
	ds_load_2addr_b64 v[4:7], v118 offset0:29 offset1:30
	v_pk_add_f32 v[106:107], v[106:107], v[10:11] neg_lo:[0,1] neg_hi:[0,1]
	v_pk_add_f32 v[128:129], v[128:129], v[8:9] neg_lo:[0,1] neg_hi:[0,1]
	s_wait_dscnt 0x0
	v_pk_mul_f32 v[8:9], v[4:5], v[2:3] op_sel:[0,1]
	s_delay_alu instid0(VALU_DEP_1) | instskip(SKIP_1) | instid1(VALU_DEP_1)
	v_pk_fma_f32 v[10:11], v[4:5], v[0:1], v[8:9] op_sel:[0,0,1] op_sel_hi:[1,1,0] neg_lo:[0,0,1] neg_hi:[0,0,1]
	v_pk_fma_f32 v[4:5], v[4:5], v[0:1], v[8:9] op_sel:[0,0,1] op_sel_hi:[1,0,0]
	v_mov_b32_e32 v11, v5
	v_pk_mul_f32 v[4:5], v[6:7], v[2:3] op_sel:[0,1]
	s_delay_alu instid0(VALU_DEP_1) | instskip(SKIP_1) | instid1(VALU_DEP_1)
	v_pk_fma_f32 v[8:9], v[6:7], v[0:1], v[4:5] op_sel:[0,0,1] op_sel_hi:[1,1,0] neg_lo:[0,0,1] neg_hi:[0,0,1]
	v_pk_fma_f32 v[4:5], v[6:7], v[0:1], v[4:5] op_sel:[0,0,1] op_sel_hi:[1,0,0]
	v_mov_b32_e32 v9, v5
	ds_load_2addr_b64 v[4:7], v118 offset0:31 offset1:32
	v_pk_add_f32 v[124:125], v[124:125], v[10:11] neg_lo:[0,1] neg_hi:[0,1]
	v_pk_add_f32 v[126:127], v[126:127], v[8:9] neg_lo:[0,1] neg_hi:[0,1]
	s_wait_dscnt 0x0
	v_dual_mul_f32 v8, v5, v3 :: v_dual_mul_f32 v10, v5, v0
	s_delay_alu instid0(VALU_DEP_1) | instskip(NEXT) | instid1(VALU_DEP_2)
	v_pk_fma_f32 v[8:9], v[4:5], v[92:93], v[8:9] op_sel_hi:[1,1,0] neg_lo:[0,0,1] neg_hi:[0,0,1]
	v_pk_fma_f32 v[4:5], v[4:5], v[92:93], v[10:11] op_sel:[1,0,0] op_sel_hi:[0,1,0]
	s_delay_alu instid0(VALU_DEP_1) | instskip(SKIP_1) | instid1(VALU_DEP_2)
	v_mov_b32_e32 v9, v5
	v_pk_mul_f32 v[4:5], v[6:7], v[2:3] op_sel:[0,1]
	v_pk_add_f32 v[122:123], v[122:123], v[8:9] neg_lo:[0,1] neg_hi:[0,1]
	s_delay_alu instid0(VALU_DEP_2) | instskip(SKIP_1) | instid1(VALU_DEP_1)
	v_pk_fma_f32 v[8:9], v[6:7], v[0:1], v[4:5] op_sel:[0,0,1] op_sel_hi:[1,1,0] neg_lo:[0,0,1] neg_hi:[0,0,1]
	v_pk_fma_f32 v[4:5], v[6:7], v[0:1], v[4:5] op_sel:[0,0,1] op_sel_hi:[1,0,0]
	v_mov_b32_e32 v9, v5
	ds_load_2addr_b64 v[4:7], v118 offset0:33 offset1:34
	v_pk_add_f32 v[146:147], v[146:147], v[8:9] neg_lo:[0,1] neg_hi:[0,1]
	s_wait_dscnt 0x0
	v_pk_mul_f32 v[8:9], v[4:5], v[2:3] op_sel:[0,1]
	s_delay_alu instid0(VALU_DEP_1) | instskip(SKIP_1) | instid1(VALU_DEP_1)
	v_pk_fma_f32 v[10:11], v[4:5], v[0:1], v[8:9] op_sel:[0,0,1] op_sel_hi:[1,1,0] neg_lo:[0,0,1] neg_hi:[0,0,1]
	v_pk_fma_f32 v[4:5], v[4:5], v[0:1], v[8:9] op_sel:[0,0,1] op_sel_hi:[1,0,0]
	v_mov_b32_e32 v11, v5
	v_pk_mul_f32 v[4:5], v[6:7], v[2:3] op_sel:[0,1]
	s_delay_alu instid0(VALU_DEP_2) | instskip(NEXT) | instid1(VALU_DEP_2)
	v_pk_add_f32 v[142:143], v[142:143], v[10:11] neg_lo:[0,1] neg_hi:[0,1]
	v_pk_fma_f32 v[8:9], v[6:7], v[0:1], v[4:5] op_sel:[0,0,1] op_sel_hi:[1,1,0] neg_lo:[0,0,1] neg_hi:[0,0,1]
	v_pk_fma_f32 v[4:5], v[6:7], v[0:1], v[4:5] op_sel:[0,0,1] op_sel_hi:[1,0,0]
	s_delay_alu instid0(VALU_DEP_1) | instskip(SKIP_4) | instid1(VALU_DEP_1)
	v_mov_b32_e32 v9, v5
	ds_load_2addr_b64 v[4:7], v118 offset0:35 offset1:36
	v_pk_add_f32 v[144:145], v[144:145], v[8:9] neg_lo:[0,1] neg_hi:[0,1]
	s_wait_dscnt 0x0
	v_pk_mul_f32 v[8:9], v[4:5], v[2:3] op_sel:[0,1]
	v_pk_fma_f32 v[10:11], v[4:5], v[0:1], v[8:9] op_sel:[0,0,1] op_sel_hi:[1,1,0] neg_lo:[0,0,1] neg_hi:[0,0,1]
	v_pk_fma_f32 v[4:5], v[4:5], v[0:1], v[8:9] op_sel:[0,0,1] op_sel_hi:[1,0,0]
	v_dual_mul_f32 v8, v7, v3 :: v_dual_mov_b32 v4, v7
	s_delay_alu instid0(VALU_DEP_2) | instskip(NEXT) | instid1(VALU_DEP_2)
	v_dual_mov_b32 v11, v5 :: v_dual_mov_b32 v5, v6
	v_pk_fma_f32 v[8:9], v[6:7], v[92:93], v[8:9] op_sel_hi:[1,1,0] neg_lo:[0,0,1] neg_hi:[0,0,1]
	v_mul_f32_e32 v6, v7, v0
	s_delay_alu instid0(VALU_DEP_3) | instskip(NEXT) | instid1(VALU_DEP_2)
	v_pk_add_f32 v[140:141], v[140:141], v[10:11] neg_lo:[0,1] neg_hi:[0,1]
	v_pk_fma_f32 v[4:5], v[4:5], v[92:93], v[6:7] op_sel_hi:[1,1,0]
	s_delay_alu instid0(VALU_DEP_1) | instskip(SKIP_4) | instid1(VALU_DEP_1)
	v_mov_b32_e32 v9, v5
	ds_load_2addr_b64 v[4:7], v118 offset0:37 offset1:38
	v_pk_add_f32 v[162:163], v[162:163], v[8:9] neg_lo:[0,1] neg_hi:[0,1]
	s_wait_dscnt 0x0
	v_pk_mul_f32 v[8:9], v[4:5], v[2:3] op_sel:[0,1]
	v_pk_fma_f32 v[10:11], v[4:5], v[0:1], v[8:9] op_sel:[0,0,1] op_sel_hi:[1,1,0] neg_lo:[0,0,1] neg_hi:[0,0,1]
	v_pk_fma_f32 v[4:5], v[4:5], v[0:1], v[8:9] op_sel:[0,0,1] op_sel_hi:[1,0,0]
	s_delay_alu instid0(VALU_DEP_1) | instskip(SKIP_1) | instid1(VALU_DEP_1)
	v_mov_b32_e32 v11, v5
	v_pk_mul_f32 v[4:5], v[6:7], v[2:3] op_sel:[0,1]
	v_pk_fma_f32 v[8:9], v[6:7], v[0:1], v[4:5] op_sel:[0,0,1] op_sel_hi:[1,1,0] neg_lo:[0,0,1] neg_hi:[0,0,1]
	v_pk_fma_f32 v[4:5], v[6:7], v[0:1], v[4:5] op_sel:[0,0,1] op_sel_hi:[1,0,0]
	s_delay_alu instid0(VALU_DEP_1)
	v_mov_b32_e32 v9, v5
	ds_load_2addr_b64 v[4:7], v118 offset0:39 offset1:40
	v_pk_add_f32 v[158:159], v[158:159], v[10:11] neg_lo:[0,1] neg_hi:[0,1]
	v_pk_add_f32 v[160:161], v[160:161], v[8:9] neg_lo:[0,1] neg_hi:[0,1]
	s_wait_dscnt 0x0
	v_pk_mul_f32 v[8:9], v[4:5], v[2:3] op_sel:[0,1]
	s_delay_alu instid0(VALU_DEP_1) | instskip(SKIP_1) | instid1(VALU_DEP_1)
	v_pk_fma_f32 v[10:11], v[4:5], v[0:1], v[8:9] op_sel:[0,0,1] op_sel_hi:[1,1,0] neg_lo:[0,0,1] neg_hi:[0,0,1]
	v_pk_fma_f32 v[4:5], v[4:5], v[0:1], v[8:9] op_sel:[0,0,1] op_sel_hi:[1,0,0]
	v_mov_b32_e32 v11, v5
	v_pk_mul_f32 v[4:5], v[6:7], v[2:3] op_sel:[0,1]
	s_delay_alu instid0(VALU_DEP_1) | instskip(SKIP_1) | instid1(VALU_DEP_1)
	v_pk_fma_f32 v[8:9], v[6:7], v[0:1], v[4:5] op_sel:[0,0,1] op_sel_hi:[1,1,0] neg_lo:[0,0,1] neg_hi:[0,0,1]
	v_pk_fma_f32 v[4:5], v[6:7], v[0:1], v[4:5] op_sel:[0,0,1] op_sel_hi:[1,0,0]
	v_mov_b32_e32 v9, v5
	ds_load_2addr_b64 v[4:7], v118 offset0:41 offset1:42
	v_pk_add_f32 v[156:157], v[156:157], v[10:11] neg_lo:[0,1] neg_hi:[0,1]
	v_pk_add_f32 v[182:183], v[182:183], v[8:9] neg_lo:[0,1] neg_hi:[0,1]
	s_wait_dscnt 0x0
	v_dual_mul_f32 v8, v5, v3 :: v_dual_mul_f32 v10, v5, v0
	s_delay_alu instid0(VALU_DEP_1) | instskip(NEXT) | instid1(VALU_DEP_2)
	v_pk_fma_f32 v[8:9], v[4:5], v[92:93], v[8:9] op_sel_hi:[1,1,0] neg_lo:[0,0,1] neg_hi:[0,0,1]
	v_pk_fma_f32 v[4:5], v[4:5], v[92:93], v[10:11] op_sel:[1,0,0] op_sel_hi:[0,1,0]
	s_delay_alu instid0(VALU_DEP_1) | instskip(SKIP_1) | instid1(VALU_DEP_2)
	v_mov_b32_e32 v9, v5
	v_pk_mul_f32 v[4:5], v[6:7], v[2:3] op_sel:[0,1]
	v_pk_add_f32 v[178:179], v[178:179], v[8:9] neg_lo:[0,1] neg_hi:[0,1]
	s_delay_alu instid0(VALU_DEP_2) | instskip(SKIP_1) | instid1(VALU_DEP_1)
	v_pk_fma_f32 v[8:9], v[6:7], v[0:1], v[4:5] op_sel:[0,0,1] op_sel_hi:[1,1,0] neg_lo:[0,0,1] neg_hi:[0,0,1]
	v_pk_fma_f32 v[4:5], v[6:7], v[0:1], v[4:5] op_sel:[0,0,1] op_sel_hi:[1,0,0]
	v_mov_b32_e32 v9, v5
	ds_load_2addr_b64 v[4:7], v118 offset0:43 offset1:44
	v_pk_add_f32 v[180:181], v[180:181], v[8:9] neg_lo:[0,1] neg_hi:[0,1]
	s_wait_dscnt 0x0
	v_pk_mul_f32 v[8:9], v[4:5], v[2:3] op_sel:[0,1]
	s_delay_alu instid0(VALU_DEP_1) | instskip(SKIP_1) | instid1(VALU_DEP_1)
	v_pk_fma_f32 v[10:11], v[4:5], v[0:1], v[8:9] op_sel:[0,0,1] op_sel_hi:[1,1,0] neg_lo:[0,0,1] neg_hi:[0,0,1]
	v_pk_fma_f32 v[4:5], v[4:5], v[0:1], v[8:9] op_sel:[0,0,1] op_sel_hi:[1,0,0]
	v_mov_b32_e32 v11, v5
	v_pk_mul_f32 v[4:5], v[6:7], v[2:3] op_sel:[0,1]
	s_delay_alu instid0(VALU_DEP_2) | instskip(NEXT) | instid1(VALU_DEP_2)
	v_pk_add_f32 v[176:177], v[176:177], v[10:11] neg_lo:[0,1] neg_hi:[0,1]
	v_pk_fma_f32 v[8:9], v[6:7], v[0:1], v[4:5] op_sel:[0,0,1] op_sel_hi:[1,1,0] neg_lo:[0,0,1] neg_hi:[0,0,1]
	v_pk_fma_f32 v[4:5], v[6:7], v[0:1], v[4:5] op_sel:[0,0,1] op_sel_hi:[1,0,0]
	s_delay_alu instid0(VALU_DEP_1) | instskip(SKIP_4) | instid1(VALU_DEP_1)
	v_mov_b32_e32 v9, v5
	ds_load_2addr_b64 v[4:7], v118 offset0:45 offset1:46
	v_pk_add_f32 v[204:205], v[204:205], v[8:9] neg_lo:[0,1] neg_hi:[0,1]
	s_wait_dscnt 0x0
	v_pk_mul_f32 v[8:9], v[4:5], v[2:3] op_sel:[0,1]
	v_pk_fma_f32 v[10:11], v[4:5], v[0:1], v[8:9] op_sel:[0,0,1] op_sel_hi:[1,1,0] neg_lo:[0,0,1] neg_hi:[0,0,1]
	v_pk_fma_f32 v[4:5], v[4:5], v[0:1], v[8:9] op_sel:[0,0,1] op_sel_hi:[1,0,0]
	v_dual_mul_f32 v8, v7, v3 :: v_dual_mov_b32 v4, v7
	s_delay_alu instid0(VALU_DEP_2) | instskip(NEXT) | instid1(VALU_DEP_2)
	v_dual_mov_b32 v11, v5 :: v_dual_mov_b32 v5, v6
	v_pk_fma_f32 v[8:9], v[6:7], v[92:93], v[8:9] op_sel_hi:[1,1,0] neg_lo:[0,0,1] neg_hi:[0,0,1]
	v_mul_f32_e32 v6, v7, v0
	s_delay_alu instid0(VALU_DEP_3) | instskip(NEXT) | instid1(VALU_DEP_2)
	v_pk_add_f32 v[198:199], v[198:199], v[10:11] neg_lo:[0,1] neg_hi:[0,1]
	v_pk_fma_f32 v[4:5], v[4:5], v[92:93], v[6:7] op_sel_hi:[1,1,0]
	s_delay_alu instid0(VALU_DEP_1) | instskip(SKIP_4) | instid1(VALU_DEP_1)
	v_mov_b32_e32 v9, v5
	ds_load_2addr_b64 v[4:7], v118 offset0:47 offset1:48
	v_pk_add_f32 v[202:203], v[202:203], v[8:9] neg_lo:[0,1] neg_hi:[0,1]
	s_wait_dscnt 0x0
	v_pk_mul_f32 v[8:9], v[4:5], v[2:3] op_sel:[0,1]
	v_pk_fma_f32 v[10:11], v[4:5], v[0:1], v[8:9] op_sel:[0,0,1] op_sel_hi:[1,1,0] neg_lo:[0,0,1] neg_hi:[0,0,1]
	v_pk_fma_f32 v[4:5], v[4:5], v[0:1], v[8:9] op_sel:[0,0,1] op_sel_hi:[1,0,0]
	s_delay_alu instid0(VALU_DEP_1) | instskip(SKIP_1) | instid1(VALU_DEP_1)
	v_mov_b32_e32 v11, v5
	v_pk_mul_f32 v[4:5], v[6:7], v[2:3] op_sel:[0,1]
	v_pk_fma_f32 v[8:9], v[6:7], v[0:1], v[4:5] op_sel:[0,0,1] op_sel_hi:[1,1,0] neg_lo:[0,0,1] neg_hi:[0,0,1]
	v_pk_fma_f32 v[4:5], v[6:7], v[0:1], v[4:5] op_sel:[0,0,1] op_sel_hi:[1,0,0]
	s_delay_alu instid0(VALU_DEP_1)
	v_mov_b32_e32 v9, v5
	ds_load_2addr_b64 v[4:7], v118 offset0:49 offset1:50
	v_pk_add_f32 v[196:197], v[196:197], v[10:11] neg_lo:[0,1] neg_hi:[0,1]
	v_pk_add_f32 v[200:201], v[200:201], v[8:9] neg_lo:[0,1] neg_hi:[0,1]
	s_wait_dscnt 0x0
	v_pk_mul_f32 v[8:9], v[4:5], v[2:3] op_sel:[0,1]
	s_delay_alu instid0(VALU_DEP_1) | instskip(SKIP_1) | instid1(VALU_DEP_1)
	v_pk_fma_f32 v[10:11], v[4:5], v[0:1], v[8:9] op_sel:[0,0,1] op_sel_hi:[1,1,0] neg_lo:[0,0,1] neg_hi:[0,0,1]
	v_pk_fma_f32 v[4:5], v[4:5], v[0:1], v[8:9] op_sel:[0,0,1] op_sel_hi:[1,0,0]
	v_mov_b32_e32 v11, v5
	v_pk_mul_f32 v[4:5], v[6:7], v[2:3] op_sel:[0,1]
	s_delay_alu instid0(VALU_DEP_1) | instskip(SKIP_1) | instid1(VALU_DEP_1)
	v_pk_fma_f32 v[8:9], v[6:7], v[0:1], v[4:5] op_sel:[0,0,1] op_sel_hi:[1,1,0] neg_lo:[0,0,1] neg_hi:[0,0,1]
	v_pk_fma_f32 v[4:5], v[6:7], v[0:1], v[4:5] op_sel:[0,0,1] op_sel_hi:[1,0,0]
	v_mov_b32_e32 v9, v5
	ds_load_b64 v[4:5], v118 offset:408
	v_pk_add_f32 v[194:195], v[194:195], v[10:11] neg_lo:[0,1] neg_hi:[0,1]
	v_pk_add_f32 v[206:207], v[206:207], v[8:9] neg_lo:[0,1] neg_hi:[0,1]
	s_wait_dscnt 0x0
	v_pk_mul_f32 v[2:3], v[4:5], v[2:3] op_sel:[0,1]
	s_delay_alu instid0(VALU_DEP_1) | instskip(SKIP_1) | instid1(VALU_DEP_1)
	v_pk_fma_f32 v[6:7], v[4:5], v[0:1], v[2:3] op_sel:[0,0,1] op_sel_hi:[1,1,0] neg_lo:[0,0,1] neg_hi:[0,0,1]
	v_pk_fma_f32 v[0:1], v[4:5], v[0:1], v[2:3] op_sel:[0,0,1] op_sel_hi:[1,0,0]
	v_mov_b32_e32 v7, v1
	s_delay_alu instid0(VALU_DEP_1)
	v_pk_add_f32 v[208:209], v[208:209], v[6:7] neg_lo:[0,1] neg_hi:[0,1]
.LBB103_208:
	s_wait_xcnt 0x0
	s_or_b32 exec_lo, exec_lo, s1
	s_delay_alu instid0(SALU_CYCLE_1)
	s_mov_b32 s2, exec_lo
	s_wait_storecnt 0x0
	s_barrier_signal -1
	s_barrier_wait -1
	v_cmpx_eq_u32_e32 23, v116
	s_cbranch_execz .LBB103_215
; %bb.209:
	v_dual_mov_b32 v0, v112 :: v_dual_mov_b32 v1, v113
	v_dual_mov_b32 v2, v108 :: v_dual_mov_b32 v3, v109
	ds_store_b64 v117, v[88:89]
	ds_store_2addr_b64 v118, v[0:1], v[2:3] offset0:24 offset1:25
	v_dual_mov_b32 v0, v110 :: v_dual_mov_b32 v1, v111
	v_dual_mov_b32 v2, v106 :: v_dual_mov_b32 v3, v107
	ds_store_2addr_b64 v118, v[0:1], v[2:3] offset0:26 offset1:27
	v_dual_mov_b32 v0, v128 :: v_dual_mov_b32 v1, v129
	v_dual_mov_b32 v2, v124 :: v_dual_mov_b32 v3, v125
	;; [unrolled: 3-line block ×12, first 2 shown]
	ds_store_2addr_b64 v118, v[0:1], v[2:3] offset0:48 offset1:49
	v_dual_mov_b32 v0, v206 :: v_dual_mov_b32 v1, v207
	ds_store_2addr_b64 v118, v[0:1], v[208:209] offset0:50 offset1:51
	ds_load_b64 v[0:1], v117
	s_wait_dscnt 0x0
	v_cmp_neq_f32_e32 vcc_lo, 0, v0
	v_cmp_neq_f32_e64 s1, 0, v1
	s_or_b32 s1, vcc_lo, s1
	s_delay_alu instid0(SALU_CYCLE_1)
	s_and_b32 exec_lo, exec_lo, s1
	s_cbranch_execz .LBB103_215
; %bb.210:
	v_cmp_ngt_f32_e64 s1, |v0|, |v1|
                                        ; implicit-def: $vgpr2_vgpr3
	s_and_saveexec_b32 s4, s1
	s_delay_alu instid0(SALU_CYCLE_1)
	s_xor_b32 s1, exec_lo, s4
	s_cbranch_execz .LBB103_212
; %bb.211:
	v_div_scale_f32 v2, null, v1, v1, v0
	v_div_scale_f32 v5, vcc_lo, v0, v1, v0
	s_delay_alu instid0(VALU_DEP_2) | instskip(SKIP_1) | instid1(TRANS32_DEP_1)
	v_rcp_f32_e32 v3, v2
	v_nop
	v_fma_f32 v4, -v2, v3, 1.0
	s_delay_alu instid0(VALU_DEP_1) | instskip(NEXT) | instid1(VALU_DEP_1)
	v_fmac_f32_e32 v3, v4, v3
	v_mul_f32_e32 v4, v5, v3
	s_delay_alu instid0(VALU_DEP_1) | instskip(NEXT) | instid1(VALU_DEP_1)
	v_fma_f32 v6, -v2, v4, v5
	v_fmac_f32_e32 v4, v6, v3
	s_delay_alu instid0(VALU_DEP_1) | instskip(NEXT) | instid1(VALU_DEP_1)
	v_fma_f32 v2, -v2, v4, v5
	v_div_fmas_f32 v2, v2, v3, v4
	s_delay_alu instid0(VALU_DEP_1) | instskip(NEXT) | instid1(VALU_DEP_1)
	v_div_fixup_f32 v2, v2, v1, v0
	v_fmac_f32_e32 v1, v0, v2
	s_delay_alu instid0(VALU_DEP_1) | instskip(SKIP_1) | instid1(VALU_DEP_2)
	v_div_scale_f32 v0, null, v1, v1, 1.0
	v_div_scale_f32 v5, vcc_lo, 1.0, v1, 1.0
	v_rcp_f32_e32 v3, v0
	v_nop
	s_delay_alu instid0(TRANS32_DEP_1) | instskip(NEXT) | instid1(VALU_DEP_1)
	v_fma_f32 v4, -v0, v3, 1.0
	v_fmac_f32_e32 v3, v4, v3
	s_delay_alu instid0(VALU_DEP_1) | instskip(NEXT) | instid1(VALU_DEP_1)
	v_mul_f32_e32 v4, v5, v3
	v_fma_f32 v6, -v0, v4, v5
	s_delay_alu instid0(VALU_DEP_1) | instskip(NEXT) | instid1(VALU_DEP_1)
	v_fmac_f32_e32 v4, v6, v3
	v_fma_f32 v0, -v0, v4, v5
	s_delay_alu instid0(VALU_DEP_1) | instskip(NEXT) | instid1(VALU_DEP_1)
	v_div_fmas_f32 v0, v0, v3, v4
	v_div_fixup_f32 v0, v0, v1, 1.0
	s_delay_alu instid0(VALU_DEP_1)
	v_mul_f32_e32 v2, v2, v0
	v_xor_b32_e32 v3, 0x80000000, v0
                                        ; implicit-def: $vgpr0_vgpr1
.LBB103_212:
	s_and_not1_saveexec_b32 s1, s1
	s_cbranch_execz .LBB103_214
; %bb.213:
	v_div_scale_f32 v2, null, v0, v0, v1
	v_div_scale_f32 v5, vcc_lo, v1, v0, v1
	s_delay_alu instid0(VALU_DEP_2) | instskip(SKIP_1) | instid1(TRANS32_DEP_1)
	v_rcp_f32_e32 v3, v2
	v_nop
	v_fma_f32 v4, -v2, v3, 1.0
	s_delay_alu instid0(VALU_DEP_1) | instskip(NEXT) | instid1(VALU_DEP_1)
	v_fmac_f32_e32 v3, v4, v3
	v_mul_f32_e32 v4, v5, v3
	s_delay_alu instid0(VALU_DEP_1) | instskip(NEXT) | instid1(VALU_DEP_1)
	v_fma_f32 v6, -v2, v4, v5
	v_fmac_f32_e32 v4, v6, v3
	s_delay_alu instid0(VALU_DEP_1) | instskip(NEXT) | instid1(VALU_DEP_1)
	v_fma_f32 v2, -v2, v4, v5
	v_div_fmas_f32 v2, v2, v3, v4
	s_delay_alu instid0(VALU_DEP_1) | instskip(NEXT) | instid1(VALU_DEP_1)
	v_div_fixup_f32 v3, v2, v0, v1
	v_fmac_f32_e32 v0, v1, v3
	s_delay_alu instid0(VALU_DEP_1) | instskip(NEXT) | instid1(VALU_DEP_1)
	v_div_scale_f32 v1, null, v0, v0, 1.0
	v_rcp_f32_e32 v2, v1
	v_nop
	s_delay_alu instid0(TRANS32_DEP_1) | instskip(NEXT) | instid1(VALU_DEP_1)
	v_fma_f32 v4, -v1, v2, 1.0
	v_fmac_f32_e32 v2, v4, v2
	v_div_scale_f32 v4, vcc_lo, 1.0, v0, 1.0
	s_delay_alu instid0(VALU_DEP_1) | instskip(NEXT) | instid1(VALU_DEP_1)
	v_mul_f32_e32 v5, v4, v2
	v_fma_f32 v6, -v1, v5, v4
	s_delay_alu instid0(VALU_DEP_1) | instskip(NEXT) | instid1(VALU_DEP_1)
	v_fmac_f32_e32 v5, v6, v2
	v_fma_f32 v1, -v1, v5, v4
	s_delay_alu instid0(VALU_DEP_1) | instskip(NEXT) | instid1(VALU_DEP_1)
	v_div_fmas_f32 v1, v1, v2, v5
	v_div_fixup_f32 v2, v1, v0, 1.0
	s_delay_alu instid0(VALU_DEP_1)
	v_mul_f32_e64 v3, v3, -v2
.LBB103_214:
	s_or_b32 exec_lo, exec_lo, s1
	ds_store_b64 v117, v[2:3]
.LBB103_215:
	s_or_b32 exec_lo, exec_lo, s2
	s_wait_dscnt 0x0
	s_barrier_signal -1
	s_barrier_wait -1
	ds_load_b64 v[0:1], v117
	s_mov_b32 s1, exec_lo
	s_wait_dscnt 0x0
	scratch_store_b64 off, v[0:1], off offset:272 ; 8-byte Folded Spill
	s_wait_xcnt 0x0
	v_cmpx_lt_u32_e32 23, v116
	s_cbranch_execz .LBB103_217
; %bb.216:
	scratch_load_b64 v[0:1], off, off offset:272 ; 8-byte Folded Reload
	ds_load_2addr_b64 v[6:9], v118 offset0:24 offset1:25
	s_wait_loadcnt 0x0
	v_pk_mul_f32 v[4:5], v[0:1], v[88:89] op_sel:[1,1] op_sel_hi:[0,1]
	s_delay_alu instid0(VALU_DEP_1) | instskip(SKIP_1) | instid1(VALU_DEP_1)
	v_pk_fma_f32 v[2:3], v[0:1], v[88:89], v[4:5] op_sel_hi:[1,0,1] neg_lo:[0,0,1] neg_hi:[0,0,1]
	v_pk_fma_f32 v[4:5], v[0:1], v[88:89], v[4:5] op_sel_hi:[1,0,1]
	v_dual_mov_b32 v88, v2 :: v_dual_mov_b32 v89, v5
	s_wait_dscnt 0x0
	s_delay_alu instid0(VALU_DEP_2) | instskip(NEXT) | instid1(VALU_DEP_1)
	v_pk_mul_f32 v[10:11], v[6:7], v[4:5] op_sel:[0,1]
	v_pk_fma_f32 v[12:13], v[6:7], v[2:3], v[10:11] op_sel:[0,0,1] op_sel_hi:[1,1,0] neg_lo:[0,0,1] neg_hi:[0,0,1]
	v_pk_fma_f32 v[6:7], v[6:7], v[2:3], v[10:11] op_sel:[0,0,1] op_sel_hi:[1,0,0]
	s_delay_alu instid0(VALU_DEP_1) | instskip(SKIP_1) | instid1(VALU_DEP_1)
	v_mov_b32_e32 v13, v7
	v_pk_mul_f32 v[6:7], v[8:9], v[4:5] op_sel:[0,1]
	v_pk_fma_f32 v[10:11], v[8:9], v[2:3], v[6:7] op_sel:[0,0,1] op_sel_hi:[1,1,0] neg_lo:[0,0,1] neg_hi:[0,0,1]
	v_pk_fma_f32 v[6:7], v[8:9], v[2:3], v[6:7] op_sel:[0,0,1] op_sel_hi:[1,0,0]
	s_delay_alu instid0(VALU_DEP_1)
	v_mov_b32_e32 v11, v7
	ds_load_2addr_b64 v[6:9], v118 offset0:26 offset1:27
	v_pk_add_f32 v[112:113], v[112:113], v[12:13] neg_lo:[0,1] neg_hi:[0,1]
	v_pk_add_f32 v[108:109], v[108:109], v[10:11] neg_lo:[0,1] neg_hi:[0,1]
	s_wait_dscnt 0x0
	v_pk_mul_f32 v[10:11], v[6:7], v[4:5] op_sel:[0,1]
	s_delay_alu instid0(VALU_DEP_1) | instskip(SKIP_2) | instid1(VALU_DEP_2)
	v_pk_fma_f32 v[12:13], v[6:7], v[2:3], v[10:11] op_sel:[0,0,1] op_sel_hi:[1,1,0] neg_lo:[0,0,1] neg_hi:[0,0,1]
	v_pk_fma_f32 v[6:7], v[6:7], v[2:3], v[10:11] op_sel:[0,0,1] op_sel_hi:[1,0,0]
	v_dual_mul_f32 v10, v9, v5 :: v_dual_mov_b32 v6, v9
	v_dual_mov_b32 v13, v7 :: v_dual_mov_b32 v7, v8
	s_delay_alu instid0(VALU_DEP_2) | instskip(SKIP_1) | instid1(VALU_DEP_3)
	v_pk_fma_f32 v[10:11], v[8:9], v[88:89], v[10:11] op_sel_hi:[1,1,0] neg_lo:[0,0,1] neg_hi:[0,0,1]
	v_mul_f32_e32 v8, v9, v2
	v_pk_add_f32 v[110:111], v[110:111], v[12:13] neg_lo:[0,1] neg_hi:[0,1]
	s_delay_alu instid0(VALU_DEP_2) | instskip(NEXT) | instid1(VALU_DEP_1)
	v_pk_fma_f32 v[6:7], v[6:7], v[88:89], v[8:9] op_sel_hi:[1,1,0]
	v_mov_b32_e32 v11, v7
	ds_load_2addr_b64 v[6:9], v118 offset0:28 offset1:29
	v_pk_add_f32 v[106:107], v[106:107], v[10:11] neg_lo:[0,1] neg_hi:[0,1]
	s_wait_dscnt 0x0
	v_pk_mul_f32 v[10:11], v[6:7], v[4:5] op_sel:[0,1]
	s_delay_alu instid0(VALU_DEP_1) | instskip(SKIP_1) | instid1(VALU_DEP_1)
	v_pk_fma_f32 v[12:13], v[6:7], v[2:3], v[10:11] op_sel:[0,0,1] op_sel_hi:[1,1,0] neg_lo:[0,0,1] neg_hi:[0,0,1]
	v_pk_fma_f32 v[6:7], v[6:7], v[2:3], v[10:11] op_sel:[0,0,1] op_sel_hi:[1,0,0]
	v_mov_b32_e32 v13, v7
	v_pk_mul_f32 v[6:7], v[8:9], v[4:5] op_sel:[0,1]
	s_delay_alu instid0(VALU_DEP_1) | instskip(SKIP_1) | instid1(VALU_DEP_1)
	v_pk_fma_f32 v[10:11], v[8:9], v[2:3], v[6:7] op_sel:[0,0,1] op_sel_hi:[1,1,0] neg_lo:[0,0,1] neg_hi:[0,0,1]
	v_pk_fma_f32 v[6:7], v[8:9], v[2:3], v[6:7] op_sel:[0,0,1] op_sel_hi:[1,0,0]
	v_mov_b32_e32 v11, v7
	ds_load_2addr_b64 v[6:9], v118 offset0:30 offset1:31
	v_pk_add_f32 v[128:129], v[128:129], v[12:13] neg_lo:[0,1] neg_hi:[0,1]
	v_pk_add_f32 v[124:125], v[124:125], v[10:11] neg_lo:[0,1] neg_hi:[0,1]
	s_wait_dscnt 0x0
	v_pk_mul_f32 v[10:11], v[6:7], v[4:5] op_sel:[0,1]
	s_delay_alu instid0(VALU_DEP_1) | instskip(SKIP_1) | instid1(VALU_DEP_1)
	v_pk_fma_f32 v[12:13], v[6:7], v[2:3], v[10:11] op_sel:[0,0,1] op_sel_hi:[1,1,0] neg_lo:[0,0,1] neg_hi:[0,0,1]
	v_pk_fma_f32 v[6:7], v[6:7], v[2:3], v[10:11] op_sel:[0,0,1] op_sel_hi:[1,0,0]
	v_mov_b32_e32 v13, v7
	v_pk_mul_f32 v[6:7], v[8:9], v[4:5] op_sel:[0,1]
	s_delay_alu instid0(VALU_DEP_1) | instskip(SKIP_1) | instid1(VALU_DEP_1)
	v_pk_fma_f32 v[10:11], v[8:9], v[2:3], v[6:7] op_sel:[0,0,1] op_sel_hi:[1,1,0] neg_lo:[0,0,1] neg_hi:[0,0,1]
	v_pk_fma_f32 v[6:7], v[8:9], v[2:3], v[6:7] op_sel:[0,0,1] op_sel_hi:[1,0,0]
	v_mov_b32_e32 v11, v7
	ds_load_2addr_b64 v[6:9], v118 offset0:32 offset1:33
	v_pk_add_f32 v[126:127], v[126:127], v[12:13] neg_lo:[0,1] neg_hi:[0,1]
	v_pk_add_f32 v[122:123], v[122:123], v[10:11] neg_lo:[0,1] neg_hi:[0,1]
	s_wait_dscnt 0x0
	v_dual_mul_f32 v10, v7, v5 :: v_dual_mul_f32 v12, v7, v2
	s_delay_alu instid0(VALU_DEP_1) | instskip(NEXT) | instid1(VALU_DEP_2)
	v_pk_fma_f32 v[10:11], v[6:7], v[88:89], v[10:11] op_sel_hi:[1,1,0] neg_lo:[0,0,1] neg_hi:[0,0,1]
	v_pk_fma_f32 v[6:7], v[6:7], v[88:89], v[12:13] op_sel:[1,0,0] op_sel_hi:[0,1,0]
	s_delay_alu instid0(VALU_DEP_1) | instskip(SKIP_1) | instid1(VALU_DEP_2)
	v_mov_b32_e32 v11, v7
	v_pk_mul_f32 v[6:7], v[8:9], v[4:5] op_sel:[0,1]
	v_pk_add_f32 v[146:147], v[146:147], v[10:11] neg_lo:[0,1] neg_hi:[0,1]
	s_delay_alu instid0(VALU_DEP_2) | instskip(SKIP_1) | instid1(VALU_DEP_1)
	v_pk_fma_f32 v[10:11], v[8:9], v[2:3], v[6:7] op_sel:[0,0,1] op_sel_hi:[1,1,0] neg_lo:[0,0,1] neg_hi:[0,0,1]
	v_pk_fma_f32 v[6:7], v[8:9], v[2:3], v[6:7] op_sel:[0,0,1] op_sel_hi:[1,0,0]
	v_mov_b32_e32 v11, v7
	ds_load_2addr_b64 v[6:9], v118 offset0:34 offset1:35
	v_pk_add_f32 v[142:143], v[142:143], v[10:11] neg_lo:[0,1] neg_hi:[0,1]
	s_wait_dscnt 0x0
	v_pk_mul_f32 v[10:11], v[6:7], v[4:5] op_sel:[0,1]
	s_delay_alu instid0(VALU_DEP_1) | instskip(SKIP_1) | instid1(VALU_DEP_1)
	v_pk_fma_f32 v[12:13], v[6:7], v[2:3], v[10:11] op_sel:[0,0,1] op_sel_hi:[1,1,0] neg_lo:[0,0,1] neg_hi:[0,0,1]
	v_pk_fma_f32 v[6:7], v[6:7], v[2:3], v[10:11] op_sel:[0,0,1] op_sel_hi:[1,0,0]
	v_mov_b32_e32 v13, v7
	v_pk_mul_f32 v[6:7], v[8:9], v[4:5] op_sel:[0,1]
	s_delay_alu instid0(VALU_DEP_2) | instskip(NEXT) | instid1(VALU_DEP_2)
	v_pk_add_f32 v[144:145], v[144:145], v[12:13] neg_lo:[0,1] neg_hi:[0,1]
	v_pk_fma_f32 v[10:11], v[8:9], v[2:3], v[6:7] op_sel:[0,0,1] op_sel_hi:[1,1,0] neg_lo:[0,0,1] neg_hi:[0,0,1]
	v_pk_fma_f32 v[6:7], v[8:9], v[2:3], v[6:7] op_sel:[0,0,1] op_sel_hi:[1,0,0]
	s_delay_alu instid0(VALU_DEP_1) | instskip(SKIP_4) | instid1(VALU_DEP_1)
	v_mov_b32_e32 v11, v7
	ds_load_2addr_b64 v[6:9], v118 offset0:36 offset1:37
	v_pk_add_f32 v[140:141], v[140:141], v[10:11] neg_lo:[0,1] neg_hi:[0,1]
	s_wait_dscnt 0x0
	v_pk_mul_f32 v[10:11], v[6:7], v[4:5] op_sel:[0,1]
	v_pk_fma_f32 v[12:13], v[6:7], v[2:3], v[10:11] op_sel:[0,0,1] op_sel_hi:[1,1,0] neg_lo:[0,0,1] neg_hi:[0,0,1]
	v_pk_fma_f32 v[6:7], v[6:7], v[2:3], v[10:11] op_sel:[0,0,1] op_sel_hi:[1,0,0]
	v_dual_mul_f32 v10, v9, v5 :: v_dual_mov_b32 v6, v9
	s_delay_alu instid0(VALU_DEP_2) | instskip(NEXT) | instid1(VALU_DEP_2)
	v_dual_mov_b32 v13, v7 :: v_dual_mov_b32 v7, v8
	v_pk_fma_f32 v[10:11], v[8:9], v[88:89], v[10:11] op_sel_hi:[1,1,0] neg_lo:[0,0,1] neg_hi:[0,0,1]
	v_mul_f32_e32 v8, v9, v2
	s_delay_alu instid0(VALU_DEP_3) | instskip(NEXT) | instid1(VALU_DEP_2)
	v_pk_add_f32 v[162:163], v[162:163], v[12:13] neg_lo:[0,1] neg_hi:[0,1]
	v_pk_fma_f32 v[6:7], v[6:7], v[88:89], v[8:9] op_sel_hi:[1,1,0]
	s_delay_alu instid0(VALU_DEP_1) | instskip(SKIP_4) | instid1(VALU_DEP_1)
	v_mov_b32_e32 v11, v7
	ds_load_2addr_b64 v[6:9], v118 offset0:38 offset1:39
	v_pk_add_f32 v[158:159], v[158:159], v[10:11] neg_lo:[0,1] neg_hi:[0,1]
	s_wait_dscnt 0x0
	v_pk_mul_f32 v[10:11], v[6:7], v[4:5] op_sel:[0,1]
	v_pk_fma_f32 v[12:13], v[6:7], v[2:3], v[10:11] op_sel:[0,0,1] op_sel_hi:[1,1,0] neg_lo:[0,0,1] neg_hi:[0,0,1]
	v_pk_fma_f32 v[6:7], v[6:7], v[2:3], v[10:11] op_sel:[0,0,1] op_sel_hi:[1,0,0]
	s_delay_alu instid0(VALU_DEP_1) | instskip(SKIP_1) | instid1(VALU_DEP_1)
	v_mov_b32_e32 v13, v7
	v_pk_mul_f32 v[6:7], v[8:9], v[4:5] op_sel:[0,1]
	v_pk_fma_f32 v[10:11], v[8:9], v[2:3], v[6:7] op_sel:[0,0,1] op_sel_hi:[1,1,0] neg_lo:[0,0,1] neg_hi:[0,0,1]
	v_pk_fma_f32 v[6:7], v[8:9], v[2:3], v[6:7] op_sel:[0,0,1] op_sel_hi:[1,0,0]
	s_delay_alu instid0(VALU_DEP_1)
	v_mov_b32_e32 v11, v7
	ds_load_2addr_b64 v[6:9], v118 offset0:40 offset1:41
	v_pk_add_f32 v[160:161], v[160:161], v[12:13] neg_lo:[0,1] neg_hi:[0,1]
	v_pk_add_f32 v[156:157], v[156:157], v[10:11] neg_lo:[0,1] neg_hi:[0,1]
	s_wait_dscnt 0x0
	v_pk_mul_f32 v[10:11], v[6:7], v[4:5] op_sel:[0,1]
	s_delay_alu instid0(VALU_DEP_1) | instskip(SKIP_1) | instid1(VALU_DEP_1)
	v_pk_fma_f32 v[12:13], v[6:7], v[2:3], v[10:11] op_sel:[0,0,1] op_sel_hi:[1,1,0] neg_lo:[0,0,1] neg_hi:[0,0,1]
	v_pk_fma_f32 v[6:7], v[6:7], v[2:3], v[10:11] op_sel:[0,0,1] op_sel_hi:[1,0,0]
	v_mov_b32_e32 v13, v7
	v_pk_mul_f32 v[6:7], v[8:9], v[4:5] op_sel:[0,1]
	s_delay_alu instid0(VALU_DEP_1) | instskip(SKIP_1) | instid1(VALU_DEP_1)
	v_pk_fma_f32 v[10:11], v[8:9], v[2:3], v[6:7] op_sel:[0,0,1] op_sel_hi:[1,1,0] neg_lo:[0,0,1] neg_hi:[0,0,1]
	v_pk_fma_f32 v[6:7], v[8:9], v[2:3], v[6:7] op_sel:[0,0,1] op_sel_hi:[1,0,0]
	v_mov_b32_e32 v11, v7
	ds_load_2addr_b64 v[6:9], v118 offset0:42 offset1:43
	v_pk_add_f32 v[182:183], v[182:183], v[12:13] neg_lo:[0,1] neg_hi:[0,1]
	v_pk_add_f32 v[178:179], v[178:179], v[10:11] neg_lo:[0,1] neg_hi:[0,1]
	s_wait_dscnt 0x0
	v_dual_mul_f32 v10, v7, v5 :: v_dual_mul_f32 v12, v7, v2
	s_delay_alu instid0(VALU_DEP_1) | instskip(NEXT) | instid1(VALU_DEP_2)
	v_pk_fma_f32 v[10:11], v[6:7], v[88:89], v[10:11] op_sel_hi:[1,1,0] neg_lo:[0,0,1] neg_hi:[0,0,1]
	v_pk_fma_f32 v[6:7], v[6:7], v[88:89], v[12:13] op_sel:[1,0,0] op_sel_hi:[0,1,0]
	s_delay_alu instid0(VALU_DEP_1) | instskip(SKIP_1) | instid1(VALU_DEP_2)
	v_mov_b32_e32 v11, v7
	v_pk_mul_f32 v[6:7], v[8:9], v[4:5] op_sel:[0,1]
	v_pk_add_f32 v[180:181], v[180:181], v[10:11] neg_lo:[0,1] neg_hi:[0,1]
	s_delay_alu instid0(VALU_DEP_2) | instskip(SKIP_1) | instid1(VALU_DEP_1)
	v_pk_fma_f32 v[10:11], v[8:9], v[2:3], v[6:7] op_sel:[0,0,1] op_sel_hi:[1,1,0] neg_lo:[0,0,1] neg_hi:[0,0,1]
	v_pk_fma_f32 v[6:7], v[8:9], v[2:3], v[6:7] op_sel:[0,0,1] op_sel_hi:[1,0,0]
	v_mov_b32_e32 v11, v7
	ds_load_2addr_b64 v[6:9], v118 offset0:44 offset1:45
	v_pk_add_f32 v[176:177], v[176:177], v[10:11] neg_lo:[0,1] neg_hi:[0,1]
	s_wait_dscnt 0x0
	v_pk_mul_f32 v[10:11], v[6:7], v[4:5] op_sel:[0,1]
	s_delay_alu instid0(VALU_DEP_1) | instskip(SKIP_1) | instid1(VALU_DEP_1)
	v_pk_fma_f32 v[12:13], v[6:7], v[2:3], v[10:11] op_sel:[0,0,1] op_sel_hi:[1,1,0] neg_lo:[0,0,1] neg_hi:[0,0,1]
	v_pk_fma_f32 v[6:7], v[6:7], v[2:3], v[10:11] op_sel:[0,0,1] op_sel_hi:[1,0,0]
	v_mov_b32_e32 v13, v7
	v_pk_mul_f32 v[6:7], v[8:9], v[4:5] op_sel:[0,1]
	s_delay_alu instid0(VALU_DEP_2) | instskip(NEXT) | instid1(VALU_DEP_2)
	v_pk_add_f32 v[204:205], v[204:205], v[12:13] neg_lo:[0,1] neg_hi:[0,1]
	v_pk_fma_f32 v[10:11], v[8:9], v[2:3], v[6:7] op_sel:[0,0,1] op_sel_hi:[1,1,0] neg_lo:[0,0,1] neg_hi:[0,0,1]
	v_pk_fma_f32 v[6:7], v[8:9], v[2:3], v[6:7] op_sel:[0,0,1] op_sel_hi:[1,0,0]
	s_delay_alu instid0(VALU_DEP_1) | instskip(SKIP_4) | instid1(VALU_DEP_1)
	v_mov_b32_e32 v11, v7
	ds_load_2addr_b64 v[6:9], v118 offset0:46 offset1:47
	v_pk_add_f32 v[198:199], v[198:199], v[10:11] neg_lo:[0,1] neg_hi:[0,1]
	s_wait_dscnt 0x0
	v_pk_mul_f32 v[10:11], v[6:7], v[4:5] op_sel:[0,1]
	v_pk_fma_f32 v[12:13], v[6:7], v[2:3], v[10:11] op_sel:[0,0,1] op_sel_hi:[1,1,0] neg_lo:[0,0,1] neg_hi:[0,0,1]
	v_pk_fma_f32 v[6:7], v[6:7], v[2:3], v[10:11] op_sel:[0,0,1] op_sel_hi:[1,0,0]
	v_dual_mul_f32 v10, v9, v5 :: v_dual_mov_b32 v6, v9
	s_delay_alu instid0(VALU_DEP_2) | instskip(NEXT) | instid1(VALU_DEP_2)
	v_dual_mov_b32 v13, v7 :: v_dual_mov_b32 v7, v8
	v_pk_fma_f32 v[10:11], v[8:9], v[88:89], v[10:11] op_sel_hi:[1,1,0] neg_lo:[0,0,1] neg_hi:[0,0,1]
	v_mul_f32_e32 v8, v9, v2
	s_delay_alu instid0(VALU_DEP_3) | instskip(NEXT) | instid1(VALU_DEP_2)
	v_pk_add_f32 v[202:203], v[202:203], v[12:13] neg_lo:[0,1] neg_hi:[0,1]
	v_pk_fma_f32 v[6:7], v[6:7], v[88:89], v[8:9] op_sel_hi:[1,1,0]
	s_delay_alu instid0(VALU_DEP_1) | instskip(SKIP_4) | instid1(VALU_DEP_1)
	v_mov_b32_e32 v11, v7
	ds_load_2addr_b64 v[6:9], v118 offset0:48 offset1:49
	v_pk_add_f32 v[196:197], v[196:197], v[10:11] neg_lo:[0,1] neg_hi:[0,1]
	s_wait_dscnt 0x0
	v_pk_mul_f32 v[10:11], v[6:7], v[4:5] op_sel:[0,1]
	v_pk_fma_f32 v[12:13], v[6:7], v[2:3], v[10:11] op_sel:[0,0,1] op_sel_hi:[1,1,0] neg_lo:[0,0,1] neg_hi:[0,0,1]
	v_pk_fma_f32 v[6:7], v[6:7], v[2:3], v[10:11] op_sel:[0,0,1] op_sel_hi:[1,0,0]
	s_delay_alu instid0(VALU_DEP_1) | instskip(SKIP_1) | instid1(VALU_DEP_1)
	v_mov_b32_e32 v13, v7
	v_pk_mul_f32 v[6:7], v[8:9], v[4:5] op_sel:[0,1]
	v_pk_fma_f32 v[10:11], v[8:9], v[2:3], v[6:7] op_sel:[0,0,1] op_sel_hi:[1,1,0] neg_lo:[0,0,1] neg_hi:[0,0,1]
	v_pk_fma_f32 v[6:7], v[8:9], v[2:3], v[6:7] op_sel:[0,0,1] op_sel_hi:[1,0,0]
	s_delay_alu instid0(VALU_DEP_1)
	v_mov_b32_e32 v11, v7
	ds_load_2addr_b64 v[6:9], v118 offset0:50 offset1:51
	v_pk_add_f32 v[200:201], v[200:201], v[12:13] neg_lo:[0,1] neg_hi:[0,1]
	v_pk_add_f32 v[194:195], v[194:195], v[10:11] neg_lo:[0,1] neg_hi:[0,1]
	s_wait_dscnt 0x0
	v_pk_mul_f32 v[10:11], v[6:7], v[4:5] op_sel:[0,1]
	v_pk_mul_f32 v[4:5], v[8:9], v[4:5] op_sel:[0,1]
	s_delay_alu instid0(VALU_DEP_2) | instskip(SKIP_1) | instid1(VALU_DEP_1)
	v_pk_fma_f32 v[12:13], v[6:7], v[2:3], v[10:11] op_sel:[0,0,1] op_sel_hi:[1,1,0] neg_lo:[0,0,1] neg_hi:[0,0,1]
	v_pk_fma_f32 v[6:7], v[6:7], v[2:3], v[10:11] op_sel:[0,0,1] op_sel_hi:[1,0,0]
	v_mov_b32_e32 v13, v7
	s_delay_alu instid0(VALU_DEP_4) | instskip(SKIP_1) | instid1(VALU_DEP_1)
	v_pk_fma_f32 v[6:7], v[8:9], v[2:3], v[4:5] op_sel:[0,0,1] op_sel_hi:[1,1,0] neg_lo:[0,0,1] neg_hi:[0,0,1]
	v_pk_fma_f32 v[2:3], v[8:9], v[2:3], v[4:5] op_sel:[0,0,1] op_sel_hi:[1,0,0]
	v_mov_b32_e32 v7, v3
	s_delay_alu instid0(VALU_DEP_4) | instskip(NEXT) | instid1(VALU_DEP_2)
	v_pk_add_f32 v[206:207], v[206:207], v[12:13] neg_lo:[0,1] neg_hi:[0,1]
	v_pk_add_f32 v[208:209], v[208:209], v[6:7] neg_lo:[0,1] neg_hi:[0,1]
.LBB103_217:
	s_wait_xcnt 0x0
	s_or_b32 exec_lo, exec_lo, s1
	s_delay_alu instid0(SALU_CYCLE_1)
	s_mov_b32 s2, exec_lo
	s_wait_storecnt 0x0
	s_barrier_signal -1
	s_barrier_wait -1
	v_cmpx_eq_u32_e32 24, v116
	s_cbranch_execz .LBB103_224
; %bb.218:
	ds_store_b64 v117, v[112:113]
	ds_store_2addr_b64 v118, v[108:109], v[110:111] offset0:25 offset1:26
	ds_store_2addr_b64 v118, v[106:107], v[128:129] offset0:27 offset1:28
	;; [unrolled: 1-line block ×13, first 2 shown]
	ds_store_b64 v118, v[208:209] offset:408
	ds_load_b64 v[2:3], v117
	s_wait_dscnt 0x0
	v_cmp_neq_f32_e32 vcc_lo, 0, v2
	v_cmp_neq_f32_e64 s1, 0, v3
	s_or_b32 s1, vcc_lo, s1
	s_delay_alu instid0(SALU_CYCLE_1)
	s_and_b32 exec_lo, exec_lo, s1
	s_cbranch_execz .LBB103_224
; %bb.219:
	v_cmp_ngt_f32_e64 s1, |v2|, |v3|
                                        ; implicit-def: $vgpr4_vgpr5
	s_and_saveexec_b32 s4, s1
	s_delay_alu instid0(SALU_CYCLE_1)
	s_xor_b32 s1, exec_lo, s4
	s_cbranch_execz .LBB103_221
; %bb.220:
	v_div_scale_f32 v4, null, v3, v3, v2
	v_div_scale_f32 v7, vcc_lo, v2, v3, v2
	s_delay_alu instid0(VALU_DEP_2) | instskip(SKIP_1) | instid1(TRANS32_DEP_1)
	v_rcp_f32_e32 v5, v4
	v_nop
	v_fma_f32 v6, -v4, v5, 1.0
	s_delay_alu instid0(VALU_DEP_1) | instskip(NEXT) | instid1(VALU_DEP_1)
	v_fmac_f32_e32 v5, v6, v5
	v_mul_f32_e32 v6, v7, v5
	s_delay_alu instid0(VALU_DEP_1) | instskip(NEXT) | instid1(VALU_DEP_1)
	v_fma_f32 v8, -v4, v6, v7
	v_fmac_f32_e32 v6, v8, v5
	s_delay_alu instid0(VALU_DEP_1) | instskip(NEXT) | instid1(VALU_DEP_1)
	v_fma_f32 v4, -v4, v6, v7
	v_div_fmas_f32 v4, v4, v5, v6
	s_delay_alu instid0(VALU_DEP_1) | instskip(NEXT) | instid1(VALU_DEP_1)
	v_div_fixup_f32 v4, v4, v3, v2
	v_fmac_f32_e32 v3, v2, v4
	s_delay_alu instid0(VALU_DEP_1) | instskip(SKIP_1) | instid1(VALU_DEP_2)
	v_div_scale_f32 v2, null, v3, v3, 1.0
	v_div_scale_f32 v7, vcc_lo, 1.0, v3, 1.0
	v_rcp_f32_e32 v5, v2
	v_nop
	s_delay_alu instid0(TRANS32_DEP_1) | instskip(NEXT) | instid1(VALU_DEP_1)
	v_fma_f32 v6, -v2, v5, 1.0
	v_fmac_f32_e32 v5, v6, v5
	s_delay_alu instid0(VALU_DEP_1) | instskip(NEXT) | instid1(VALU_DEP_1)
	v_mul_f32_e32 v6, v7, v5
	v_fma_f32 v8, -v2, v6, v7
	s_delay_alu instid0(VALU_DEP_1) | instskip(NEXT) | instid1(VALU_DEP_1)
	v_fmac_f32_e32 v6, v8, v5
	v_fma_f32 v2, -v2, v6, v7
	s_delay_alu instid0(VALU_DEP_1) | instskip(NEXT) | instid1(VALU_DEP_1)
	v_div_fmas_f32 v2, v2, v5, v6
	v_div_fixup_f32 v2, v2, v3, 1.0
	s_delay_alu instid0(VALU_DEP_1)
	v_mul_f32_e32 v4, v4, v2
	v_xor_b32_e32 v5, 0x80000000, v2
                                        ; implicit-def: $vgpr2_vgpr3
.LBB103_221:
	s_and_not1_saveexec_b32 s1, s1
	s_cbranch_execz .LBB103_223
; %bb.222:
	v_div_scale_f32 v4, null, v2, v2, v3
	v_div_scale_f32 v7, vcc_lo, v3, v2, v3
	s_delay_alu instid0(VALU_DEP_2) | instskip(SKIP_1) | instid1(TRANS32_DEP_1)
	v_rcp_f32_e32 v5, v4
	v_nop
	v_fma_f32 v6, -v4, v5, 1.0
	s_delay_alu instid0(VALU_DEP_1) | instskip(NEXT) | instid1(VALU_DEP_1)
	v_fmac_f32_e32 v5, v6, v5
	v_mul_f32_e32 v6, v7, v5
	s_delay_alu instid0(VALU_DEP_1) | instskip(NEXT) | instid1(VALU_DEP_1)
	v_fma_f32 v8, -v4, v6, v7
	v_fmac_f32_e32 v6, v8, v5
	s_delay_alu instid0(VALU_DEP_1) | instskip(NEXT) | instid1(VALU_DEP_1)
	v_fma_f32 v4, -v4, v6, v7
	v_div_fmas_f32 v4, v4, v5, v6
	s_delay_alu instid0(VALU_DEP_1) | instskip(NEXT) | instid1(VALU_DEP_1)
	v_div_fixup_f32 v5, v4, v2, v3
	v_fmac_f32_e32 v2, v3, v5
	s_delay_alu instid0(VALU_DEP_1) | instskip(NEXT) | instid1(VALU_DEP_1)
	v_div_scale_f32 v3, null, v2, v2, 1.0
	v_rcp_f32_e32 v4, v3
	v_nop
	s_delay_alu instid0(TRANS32_DEP_1) | instskip(NEXT) | instid1(VALU_DEP_1)
	v_fma_f32 v6, -v3, v4, 1.0
	v_fmac_f32_e32 v4, v6, v4
	v_div_scale_f32 v6, vcc_lo, 1.0, v2, 1.0
	s_delay_alu instid0(VALU_DEP_1) | instskip(NEXT) | instid1(VALU_DEP_1)
	v_mul_f32_e32 v7, v6, v4
	v_fma_f32 v8, -v3, v7, v6
	s_delay_alu instid0(VALU_DEP_1) | instskip(NEXT) | instid1(VALU_DEP_1)
	v_fmac_f32_e32 v7, v8, v4
	v_fma_f32 v3, -v3, v7, v6
	s_delay_alu instid0(VALU_DEP_1) | instskip(NEXT) | instid1(VALU_DEP_1)
	v_div_fmas_f32 v3, v3, v4, v7
	v_div_fixup_f32 v4, v3, v2, 1.0
	s_delay_alu instid0(VALU_DEP_1)
	v_mul_f32_e64 v5, v5, -v4
.LBB103_223:
	s_or_b32 exec_lo, exec_lo, s1
	ds_store_b64 v117, v[4:5]
.LBB103_224:
	s_or_b32 exec_lo, exec_lo, s2
	s_wait_dscnt 0x0
	s_barrier_signal -1
	s_barrier_wait -1
	ds_load_b64 v[2:3], v117
	s_mov_b32 s1, exec_lo
	v_cmpx_lt_u32_e32 24, v116
	s_cbranch_execz .LBB103_226
; %bb.225:
	ds_load_2addr_b64 v[8:11], v118 offset0:25 offset1:26
	s_wait_dscnt 0x1
	v_pk_mul_f32 v[6:7], v[2:3], v[112:113] op_sel:[1,1] op_sel_hi:[0,1]
	s_delay_alu instid0(VALU_DEP_1) | instskip(SKIP_1) | instid1(VALU_DEP_1)
	v_pk_fma_f32 v[4:5], v[2:3], v[112:113], v[6:7] op_sel_hi:[1,0,1] neg_lo:[0,0,1] neg_hi:[0,0,1]
	v_pk_fma_f32 v[6:7], v[2:3], v[112:113], v[6:7] op_sel_hi:[1,0,1]
	v_dual_mov_b32 v112, v4 :: v_dual_mov_b32 v113, v7
	s_wait_dscnt 0x0
	s_delay_alu instid0(VALU_DEP_2) | instskip(NEXT) | instid1(VALU_DEP_1)
	v_pk_mul_f32 v[12:13], v[8:9], v[6:7] op_sel:[0,1]
	v_pk_fma_f32 v[14:15], v[8:9], v[4:5], v[12:13] op_sel:[0,0,1] op_sel_hi:[1,1,0] neg_lo:[0,0,1] neg_hi:[0,0,1]
	v_pk_fma_f32 v[8:9], v[8:9], v[4:5], v[12:13] op_sel:[0,0,1] op_sel_hi:[1,0,0]
	s_delay_alu instid0(VALU_DEP_1) | instskip(SKIP_1) | instid1(VALU_DEP_1)
	v_mov_b32_e32 v15, v9
	v_pk_mul_f32 v[8:9], v[10:11], v[6:7] op_sel:[0,1]
	v_pk_fma_f32 v[12:13], v[10:11], v[4:5], v[8:9] op_sel:[0,0,1] op_sel_hi:[1,1,0] neg_lo:[0,0,1] neg_hi:[0,0,1]
	v_pk_fma_f32 v[8:9], v[10:11], v[4:5], v[8:9] op_sel:[0,0,1] op_sel_hi:[1,0,0]
	s_delay_alu instid0(VALU_DEP_1)
	v_mov_b32_e32 v13, v9
	ds_load_2addr_b64 v[8:11], v118 offset0:27 offset1:28
	v_pk_add_f32 v[108:109], v[108:109], v[14:15] neg_lo:[0,1] neg_hi:[0,1]
	v_pk_add_f32 v[110:111], v[110:111], v[12:13] neg_lo:[0,1] neg_hi:[0,1]
	s_wait_dscnt 0x0
	v_pk_mul_f32 v[12:13], v[8:9], v[6:7] op_sel:[0,1]
	s_delay_alu instid0(VALU_DEP_1) | instskip(SKIP_2) | instid1(VALU_DEP_2)
	v_pk_fma_f32 v[14:15], v[8:9], v[4:5], v[12:13] op_sel:[0,0,1] op_sel_hi:[1,1,0] neg_lo:[0,0,1] neg_hi:[0,0,1]
	v_pk_fma_f32 v[8:9], v[8:9], v[4:5], v[12:13] op_sel:[0,0,1] op_sel_hi:[1,0,0]
	v_dual_mul_f32 v12, v11, v7 :: v_dual_mov_b32 v8, v11
	v_dual_mov_b32 v15, v9 :: v_dual_mov_b32 v9, v10
	s_delay_alu instid0(VALU_DEP_2) | instskip(SKIP_1) | instid1(VALU_DEP_3)
	v_pk_fma_f32 v[12:13], v[10:11], v[112:113], v[12:13] op_sel_hi:[1,1,0] neg_lo:[0,0,1] neg_hi:[0,0,1]
	v_mul_f32_e32 v10, v11, v4
	v_pk_add_f32 v[106:107], v[106:107], v[14:15] neg_lo:[0,1] neg_hi:[0,1]
	s_delay_alu instid0(VALU_DEP_2) | instskip(NEXT) | instid1(VALU_DEP_1)
	v_pk_fma_f32 v[8:9], v[8:9], v[112:113], v[10:11] op_sel_hi:[1,1,0]
	v_mov_b32_e32 v13, v9
	ds_load_2addr_b64 v[8:11], v118 offset0:29 offset1:30
	v_pk_add_f32 v[128:129], v[128:129], v[12:13] neg_lo:[0,1] neg_hi:[0,1]
	s_wait_dscnt 0x0
	v_pk_mul_f32 v[12:13], v[8:9], v[6:7] op_sel:[0,1]
	s_delay_alu instid0(VALU_DEP_1) | instskip(SKIP_1) | instid1(VALU_DEP_1)
	v_pk_fma_f32 v[14:15], v[8:9], v[4:5], v[12:13] op_sel:[0,0,1] op_sel_hi:[1,1,0] neg_lo:[0,0,1] neg_hi:[0,0,1]
	v_pk_fma_f32 v[8:9], v[8:9], v[4:5], v[12:13] op_sel:[0,0,1] op_sel_hi:[1,0,0]
	v_mov_b32_e32 v15, v9
	v_pk_mul_f32 v[8:9], v[10:11], v[6:7] op_sel:[0,1]
	s_delay_alu instid0(VALU_DEP_1) | instskip(SKIP_1) | instid1(VALU_DEP_1)
	v_pk_fma_f32 v[12:13], v[10:11], v[4:5], v[8:9] op_sel:[0,0,1] op_sel_hi:[1,1,0] neg_lo:[0,0,1] neg_hi:[0,0,1]
	v_pk_fma_f32 v[8:9], v[10:11], v[4:5], v[8:9] op_sel:[0,0,1] op_sel_hi:[1,0,0]
	v_mov_b32_e32 v13, v9
	ds_load_2addr_b64 v[8:11], v118 offset0:31 offset1:32
	v_pk_add_f32 v[124:125], v[124:125], v[14:15] neg_lo:[0,1] neg_hi:[0,1]
	v_pk_add_f32 v[126:127], v[126:127], v[12:13] neg_lo:[0,1] neg_hi:[0,1]
	s_wait_dscnt 0x0
	v_pk_mul_f32 v[12:13], v[8:9], v[6:7] op_sel:[0,1]
	s_delay_alu instid0(VALU_DEP_1) | instskip(SKIP_1) | instid1(VALU_DEP_1)
	v_pk_fma_f32 v[14:15], v[8:9], v[4:5], v[12:13] op_sel:[0,0,1] op_sel_hi:[1,1,0] neg_lo:[0,0,1] neg_hi:[0,0,1]
	v_pk_fma_f32 v[8:9], v[8:9], v[4:5], v[12:13] op_sel:[0,0,1] op_sel_hi:[1,0,0]
	v_mov_b32_e32 v15, v9
	v_pk_mul_f32 v[8:9], v[10:11], v[6:7] op_sel:[0,1]
	s_delay_alu instid0(VALU_DEP_1) | instskip(SKIP_1) | instid1(VALU_DEP_1)
	v_pk_fma_f32 v[12:13], v[10:11], v[4:5], v[8:9] op_sel:[0,0,1] op_sel_hi:[1,1,0] neg_lo:[0,0,1] neg_hi:[0,0,1]
	v_pk_fma_f32 v[8:9], v[10:11], v[4:5], v[8:9] op_sel:[0,0,1] op_sel_hi:[1,0,0]
	v_mov_b32_e32 v13, v9
	ds_load_2addr_b64 v[8:11], v118 offset0:33 offset1:34
	v_pk_add_f32 v[122:123], v[122:123], v[14:15] neg_lo:[0,1] neg_hi:[0,1]
	v_pk_add_f32 v[146:147], v[146:147], v[12:13] neg_lo:[0,1] neg_hi:[0,1]
	s_wait_dscnt 0x0
	v_dual_mul_f32 v12, v9, v7 :: v_dual_mul_f32 v14, v9, v4
	s_delay_alu instid0(VALU_DEP_1) | instskip(NEXT) | instid1(VALU_DEP_2)
	v_pk_fma_f32 v[12:13], v[8:9], v[112:113], v[12:13] op_sel_hi:[1,1,0] neg_lo:[0,0,1] neg_hi:[0,0,1]
	v_pk_fma_f32 v[8:9], v[8:9], v[112:113], v[14:15] op_sel:[1,0,0] op_sel_hi:[0,1,0]
	s_delay_alu instid0(VALU_DEP_1) | instskip(SKIP_1) | instid1(VALU_DEP_2)
	v_mov_b32_e32 v13, v9
	v_pk_mul_f32 v[8:9], v[10:11], v[6:7] op_sel:[0,1]
	v_pk_add_f32 v[142:143], v[142:143], v[12:13] neg_lo:[0,1] neg_hi:[0,1]
	s_delay_alu instid0(VALU_DEP_2) | instskip(SKIP_1) | instid1(VALU_DEP_1)
	v_pk_fma_f32 v[12:13], v[10:11], v[4:5], v[8:9] op_sel:[0,0,1] op_sel_hi:[1,1,0] neg_lo:[0,0,1] neg_hi:[0,0,1]
	v_pk_fma_f32 v[8:9], v[10:11], v[4:5], v[8:9] op_sel:[0,0,1] op_sel_hi:[1,0,0]
	v_mov_b32_e32 v13, v9
	ds_load_2addr_b64 v[8:11], v118 offset0:35 offset1:36
	v_pk_add_f32 v[144:145], v[144:145], v[12:13] neg_lo:[0,1] neg_hi:[0,1]
	s_wait_dscnt 0x0
	v_pk_mul_f32 v[12:13], v[8:9], v[6:7] op_sel:[0,1]
	s_delay_alu instid0(VALU_DEP_1) | instskip(SKIP_1) | instid1(VALU_DEP_1)
	v_pk_fma_f32 v[14:15], v[8:9], v[4:5], v[12:13] op_sel:[0,0,1] op_sel_hi:[1,1,0] neg_lo:[0,0,1] neg_hi:[0,0,1]
	v_pk_fma_f32 v[8:9], v[8:9], v[4:5], v[12:13] op_sel:[0,0,1] op_sel_hi:[1,0,0]
	v_mov_b32_e32 v15, v9
	v_pk_mul_f32 v[8:9], v[10:11], v[6:7] op_sel:[0,1]
	s_delay_alu instid0(VALU_DEP_2) | instskip(NEXT) | instid1(VALU_DEP_2)
	v_pk_add_f32 v[140:141], v[140:141], v[14:15] neg_lo:[0,1] neg_hi:[0,1]
	v_pk_fma_f32 v[12:13], v[10:11], v[4:5], v[8:9] op_sel:[0,0,1] op_sel_hi:[1,1,0] neg_lo:[0,0,1] neg_hi:[0,0,1]
	v_pk_fma_f32 v[8:9], v[10:11], v[4:5], v[8:9] op_sel:[0,0,1] op_sel_hi:[1,0,0]
	s_delay_alu instid0(VALU_DEP_1) | instskip(SKIP_4) | instid1(VALU_DEP_1)
	v_mov_b32_e32 v13, v9
	ds_load_2addr_b64 v[8:11], v118 offset0:37 offset1:38
	v_pk_add_f32 v[162:163], v[162:163], v[12:13] neg_lo:[0,1] neg_hi:[0,1]
	s_wait_dscnt 0x0
	v_pk_mul_f32 v[12:13], v[8:9], v[6:7] op_sel:[0,1]
	v_pk_fma_f32 v[14:15], v[8:9], v[4:5], v[12:13] op_sel:[0,0,1] op_sel_hi:[1,1,0] neg_lo:[0,0,1] neg_hi:[0,0,1]
	v_pk_fma_f32 v[8:9], v[8:9], v[4:5], v[12:13] op_sel:[0,0,1] op_sel_hi:[1,0,0]
	v_dual_mul_f32 v12, v11, v7 :: v_dual_mov_b32 v8, v11
	s_delay_alu instid0(VALU_DEP_2) | instskip(NEXT) | instid1(VALU_DEP_2)
	v_dual_mov_b32 v15, v9 :: v_dual_mov_b32 v9, v10
	v_pk_fma_f32 v[12:13], v[10:11], v[112:113], v[12:13] op_sel_hi:[1,1,0] neg_lo:[0,0,1] neg_hi:[0,0,1]
	v_mul_f32_e32 v10, v11, v4
	s_delay_alu instid0(VALU_DEP_3) | instskip(NEXT) | instid1(VALU_DEP_2)
	v_pk_add_f32 v[158:159], v[158:159], v[14:15] neg_lo:[0,1] neg_hi:[0,1]
	v_pk_fma_f32 v[8:9], v[8:9], v[112:113], v[10:11] op_sel_hi:[1,1,0]
	s_delay_alu instid0(VALU_DEP_1) | instskip(SKIP_4) | instid1(VALU_DEP_1)
	v_mov_b32_e32 v13, v9
	ds_load_2addr_b64 v[8:11], v118 offset0:39 offset1:40
	v_pk_add_f32 v[160:161], v[160:161], v[12:13] neg_lo:[0,1] neg_hi:[0,1]
	s_wait_dscnt 0x0
	v_pk_mul_f32 v[12:13], v[8:9], v[6:7] op_sel:[0,1]
	v_pk_fma_f32 v[14:15], v[8:9], v[4:5], v[12:13] op_sel:[0,0,1] op_sel_hi:[1,1,0] neg_lo:[0,0,1] neg_hi:[0,0,1]
	v_pk_fma_f32 v[8:9], v[8:9], v[4:5], v[12:13] op_sel:[0,0,1] op_sel_hi:[1,0,0]
	s_delay_alu instid0(VALU_DEP_1) | instskip(SKIP_1) | instid1(VALU_DEP_1)
	v_mov_b32_e32 v15, v9
	v_pk_mul_f32 v[8:9], v[10:11], v[6:7] op_sel:[0,1]
	v_pk_fma_f32 v[12:13], v[10:11], v[4:5], v[8:9] op_sel:[0,0,1] op_sel_hi:[1,1,0] neg_lo:[0,0,1] neg_hi:[0,0,1]
	v_pk_fma_f32 v[8:9], v[10:11], v[4:5], v[8:9] op_sel:[0,0,1] op_sel_hi:[1,0,0]
	s_delay_alu instid0(VALU_DEP_1)
	v_mov_b32_e32 v13, v9
	ds_load_2addr_b64 v[8:11], v118 offset0:41 offset1:42
	v_pk_add_f32 v[156:157], v[156:157], v[14:15] neg_lo:[0,1] neg_hi:[0,1]
	v_pk_add_f32 v[182:183], v[182:183], v[12:13] neg_lo:[0,1] neg_hi:[0,1]
	s_wait_dscnt 0x0
	v_pk_mul_f32 v[12:13], v[8:9], v[6:7] op_sel:[0,1]
	s_delay_alu instid0(VALU_DEP_1) | instskip(SKIP_1) | instid1(VALU_DEP_1)
	v_pk_fma_f32 v[14:15], v[8:9], v[4:5], v[12:13] op_sel:[0,0,1] op_sel_hi:[1,1,0] neg_lo:[0,0,1] neg_hi:[0,0,1]
	v_pk_fma_f32 v[8:9], v[8:9], v[4:5], v[12:13] op_sel:[0,0,1] op_sel_hi:[1,0,0]
	v_mov_b32_e32 v15, v9
	v_pk_mul_f32 v[8:9], v[10:11], v[6:7] op_sel:[0,1]
	s_delay_alu instid0(VALU_DEP_1) | instskip(SKIP_1) | instid1(VALU_DEP_1)
	v_pk_fma_f32 v[12:13], v[10:11], v[4:5], v[8:9] op_sel:[0,0,1] op_sel_hi:[1,1,0] neg_lo:[0,0,1] neg_hi:[0,0,1]
	v_pk_fma_f32 v[8:9], v[10:11], v[4:5], v[8:9] op_sel:[0,0,1] op_sel_hi:[1,0,0]
	v_mov_b32_e32 v13, v9
	ds_load_2addr_b64 v[8:11], v118 offset0:43 offset1:44
	v_pk_add_f32 v[178:179], v[178:179], v[14:15] neg_lo:[0,1] neg_hi:[0,1]
	v_pk_add_f32 v[180:181], v[180:181], v[12:13] neg_lo:[0,1] neg_hi:[0,1]
	s_wait_dscnt 0x0
	v_dual_mul_f32 v12, v9, v7 :: v_dual_mul_f32 v14, v9, v4
	s_delay_alu instid0(VALU_DEP_1) | instskip(NEXT) | instid1(VALU_DEP_2)
	v_pk_fma_f32 v[12:13], v[8:9], v[112:113], v[12:13] op_sel_hi:[1,1,0] neg_lo:[0,0,1] neg_hi:[0,0,1]
	v_pk_fma_f32 v[8:9], v[8:9], v[112:113], v[14:15] op_sel:[1,0,0] op_sel_hi:[0,1,0]
	s_delay_alu instid0(VALU_DEP_1) | instskip(SKIP_1) | instid1(VALU_DEP_2)
	v_mov_b32_e32 v13, v9
	v_pk_mul_f32 v[8:9], v[10:11], v[6:7] op_sel:[0,1]
	v_pk_add_f32 v[176:177], v[176:177], v[12:13] neg_lo:[0,1] neg_hi:[0,1]
	s_delay_alu instid0(VALU_DEP_2) | instskip(SKIP_1) | instid1(VALU_DEP_1)
	v_pk_fma_f32 v[12:13], v[10:11], v[4:5], v[8:9] op_sel:[0,0,1] op_sel_hi:[1,1,0] neg_lo:[0,0,1] neg_hi:[0,0,1]
	v_pk_fma_f32 v[8:9], v[10:11], v[4:5], v[8:9] op_sel:[0,0,1] op_sel_hi:[1,0,0]
	v_mov_b32_e32 v13, v9
	ds_load_2addr_b64 v[8:11], v118 offset0:45 offset1:46
	v_pk_add_f32 v[204:205], v[204:205], v[12:13] neg_lo:[0,1] neg_hi:[0,1]
	s_wait_dscnt 0x0
	v_pk_mul_f32 v[12:13], v[8:9], v[6:7] op_sel:[0,1]
	s_delay_alu instid0(VALU_DEP_1) | instskip(SKIP_1) | instid1(VALU_DEP_1)
	v_pk_fma_f32 v[14:15], v[8:9], v[4:5], v[12:13] op_sel:[0,0,1] op_sel_hi:[1,1,0] neg_lo:[0,0,1] neg_hi:[0,0,1]
	v_pk_fma_f32 v[8:9], v[8:9], v[4:5], v[12:13] op_sel:[0,0,1] op_sel_hi:[1,0,0]
	v_mov_b32_e32 v15, v9
	v_pk_mul_f32 v[8:9], v[10:11], v[6:7] op_sel:[0,1]
	s_delay_alu instid0(VALU_DEP_2) | instskip(NEXT) | instid1(VALU_DEP_2)
	v_pk_add_f32 v[198:199], v[198:199], v[14:15] neg_lo:[0,1] neg_hi:[0,1]
	v_pk_fma_f32 v[12:13], v[10:11], v[4:5], v[8:9] op_sel:[0,0,1] op_sel_hi:[1,1,0] neg_lo:[0,0,1] neg_hi:[0,0,1]
	v_pk_fma_f32 v[8:9], v[10:11], v[4:5], v[8:9] op_sel:[0,0,1] op_sel_hi:[1,0,0]
	s_delay_alu instid0(VALU_DEP_1) | instskip(SKIP_4) | instid1(VALU_DEP_1)
	v_mov_b32_e32 v13, v9
	ds_load_2addr_b64 v[8:11], v118 offset0:47 offset1:48
	v_pk_add_f32 v[202:203], v[202:203], v[12:13] neg_lo:[0,1] neg_hi:[0,1]
	s_wait_dscnt 0x0
	v_pk_mul_f32 v[12:13], v[8:9], v[6:7] op_sel:[0,1]
	v_pk_fma_f32 v[14:15], v[8:9], v[4:5], v[12:13] op_sel:[0,0,1] op_sel_hi:[1,1,0] neg_lo:[0,0,1] neg_hi:[0,0,1]
	v_pk_fma_f32 v[8:9], v[8:9], v[4:5], v[12:13] op_sel:[0,0,1] op_sel_hi:[1,0,0]
	v_dual_mul_f32 v12, v11, v7 :: v_dual_mov_b32 v8, v11
	s_delay_alu instid0(VALU_DEP_2) | instskip(NEXT) | instid1(VALU_DEP_2)
	v_dual_mov_b32 v15, v9 :: v_dual_mov_b32 v9, v10
	v_pk_fma_f32 v[12:13], v[10:11], v[112:113], v[12:13] op_sel_hi:[1,1,0] neg_lo:[0,0,1] neg_hi:[0,0,1]
	v_mul_f32_e32 v10, v11, v4
	s_delay_alu instid0(VALU_DEP_3) | instskip(NEXT) | instid1(VALU_DEP_2)
	v_pk_add_f32 v[196:197], v[196:197], v[14:15] neg_lo:[0,1] neg_hi:[0,1]
	v_pk_fma_f32 v[8:9], v[8:9], v[112:113], v[10:11] op_sel_hi:[1,1,0]
	s_delay_alu instid0(VALU_DEP_1) | instskip(SKIP_4) | instid1(VALU_DEP_1)
	v_mov_b32_e32 v13, v9
	ds_load_2addr_b64 v[8:11], v118 offset0:49 offset1:50
	v_pk_add_f32 v[200:201], v[200:201], v[12:13] neg_lo:[0,1] neg_hi:[0,1]
	s_wait_dscnt 0x0
	v_pk_mul_f32 v[12:13], v[8:9], v[6:7] op_sel:[0,1]
	v_pk_fma_f32 v[14:15], v[8:9], v[4:5], v[12:13] op_sel:[0,0,1] op_sel_hi:[1,1,0] neg_lo:[0,0,1] neg_hi:[0,0,1]
	v_pk_fma_f32 v[8:9], v[8:9], v[4:5], v[12:13] op_sel:[0,0,1] op_sel_hi:[1,0,0]
	s_delay_alu instid0(VALU_DEP_1) | instskip(SKIP_1) | instid1(VALU_DEP_1)
	v_mov_b32_e32 v15, v9
	v_pk_mul_f32 v[8:9], v[10:11], v[6:7] op_sel:[0,1]
	v_pk_fma_f32 v[12:13], v[10:11], v[4:5], v[8:9] op_sel:[0,0,1] op_sel_hi:[1,1,0] neg_lo:[0,0,1] neg_hi:[0,0,1]
	v_pk_fma_f32 v[8:9], v[10:11], v[4:5], v[8:9] op_sel:[0,0,1] op_sel_hi:[1,0,0]
	s_delay_alu instid0(VALU_DEP_1)
	v_mov_b32_e32 v13, v9
	ds_load_b64 v[8:9], v118 offset:408
	v_pk_add_f32 v[194:195], v[194:195], v[14:15] neg_lo:[0,1] neg_hi:[0,1]
	v_pk_add_f32 v[206:207], v[206:207], v[12:13] neg_lo:[0,1] neg_hi:[0,1]
	s_wait_dscnt 0x0
	v_pk_mul_f32 v[6:7], v[8:9], v[6:7] op_sel:[0,1]
	s_delay_alu instid0(VALU_DEP_1) | instskip(SKIP_1) | instid1(VALU_DEP_1)
	v_pk_fma_f32 v[10:11], v[8:9], v[4:5], v[6:7] op_sel:[0,0,1] op_sel_hi:[1,1,0] neg_lo:[0,0,1] neg_hi:[0,0,1]
	v_pk_fma_f32 v[4:5], v[8:9], v[4:5], v[6:7] op_sel:[0,0,1] op_sel_hi:[1,0,0]
	v_mov_b32_e32 v11, v5
	s_delay_alu instid0(VALU_DEP_1)
	v_pk_add_f32 v[208:209], v[208:209], v[10:11] neg_lo:[0,1] neg_hi:[0,1]
.LBB103_226:
	s_or_b32 exec_lo, exec_lo, s1
	s_delay_alu instid0(SALU_CYCLE_1)
	s_mov_b32 s2, exec_lo
	s_wait_dscnt 0x0
	s_barrier_signal -1
	s_barrier_wait -1
	v_cmpx_eq_u32_e32 25, v116
	s_cbranch_execz .LBB103_233
; %bb.227:
	v_dual_mov_b32 v4, v110 :: v_dual_mov_b32 v5, v111
	v_dual_mov_b32 v6, v106 :: v_dual_mov_b32 v7, v107
	ds_store_b64 v117, v[108:109]
	ds_store_2addr_b64 v118, v[4:5], v[6:7] offset0:26 offset1:27
	v_dual_mov_b32 v4, v128 :: v_dual_mov_b32 v5, v129
	v_dual_mov_b32 v6, v124 :: v_dual_mov_b32 v7, v125
	ds_store_2addr_b64 v118, v[4:5], v[6:7] offset0:28 offset1:29
	v_dual_mov_b32 v4, v126 :: v_dual_mov_b32 v5, v127
	v_dual_mov_b32 v6, v122 :: v_dual_mov_b32 v7, v123
	;; [unrolled: 3-line block ×11, first 2 shown]
	ds_store_2addr_b64 v118, v[4:5], v[6:7] offset0:48 offset1:49
	v_dual_mov_b32 v4, v206 :: v_dual_mov_b32 v5, v207
	ds_store_2addr_b64 v118, v[4:5], v[208:209] offset0:50 offset1:51
	ds_load_b64 v[4:5], v117
	s_wait_dscnt 0x0
	v_cmp_neq_f32_e32 vcc_lo, 0, v4
	v_cmp_neq_f32_e64 s1, 0, v5
	s_or_b32 s1, vcc_lo, s1
	s_delay_alu instid0(SALU_CYCLE_1)
	s_and_b32 exec_lo, exec_lo, s1
	s_cbranch_execz .LBB103_233
; %bb.228:
	v_cmp_ngt_f32_e64 s1, |v4|, |v5|
                                        ; implicit-def: $vgpr6_vgpr7
	s_and_saveexec_b32 s4, s1
	s_delay_alu instid0(SALU_CYCLE_1)
	s_xor_b32 s1, exec_lo, s4
	s_cbranch_execz .LBB103_230
; %bb.229:
	v_div_scale_f32 v6, null, v5, v5, v4
	v_div_scale_f32 v9, vcc_lo, v4, v5, v4
	s_delay_alu instid0(VALU_DEP_2) | instskip(SKIP_1) | instid1(TRANS32_DEP_1)
	v_rcp_f32_e32 v7, v6
	v_nop
	v_fma_f32 v8, -v6, v7, 1.0
	s_delay_alu instid0(VALU_DEP_1) | instskip(NEXT) | instid1(VALU_DEP_1)
	v_fmac_f32_e32 v7, v8, v7
	v_mul_f32_e32 v8, v9, v7
	s_delay_alu instid0(VALU_DEP_1) | instskip(NEXT) | instid1(VALU_DEP_1)
	v_fma_f32 v10, -v6, v8, v9
	v_fmac_f32_e32 v8, v10, v7
	s_delay_alu instid0(VALU_DEP_1) | instskip(NEXT) | instid1(VALU_DEP_1)
	v_fma_f32 v6, -v6, v8, v9
	v_div_fmas_f32 v6, v6, v7, v8
	s_delay_alu instid0(VALU_DEP_1) | instskip(NEXT) | instid1(VALU_DEP_1)
	v_div_fixup_f32 v6, v6, v5, v4
	v_fmac_f32_e32 v5, v4, v6
	s_delay_alu instid0(VALU_DEP_1) | instskip(SKIP_1) | instid1(VALU_DEP_2)
	v_div_scale_f32 v4, null, v5, v5, 1.0
	v_div_scale_f32 v9, vcc_lo, 1.0, v5, 1.0
	v_rcp_f32_e32 v7, v4
	v_nop
	s_delay_alu instid0(TRANS32_DEP_1) | instskip(NEXT) | instid1(VALU_DEP_1)
	v_fma_f32 v8, -v4, v7, 1.0
	v_fmac_f32_e32 v7, v8, v7
	s_delay_alu instid0(VALU_DEP_1) | instskip(NEXT) | instid1(VALU_DEP_1)
	v_mul_f32_e32 v8, v9, v7
	v_fma_f32 v10, -v4, v8, v9
	s_delay_alu instid0(VALU_DEP_1) | instskip(NEXT) | instid1(VALU_DEP_1)
	v_fmac_f32_e32 v8, v10, v7
	v_fma_f32 v4, -v4, v8, v9
	s_delay_alu instid0(VALU_DEP_1) | instskip(NEXT) | instid1(VALU_DEP_1)
	v_div_fmas_f32 v4, v4, v7, v8
	v_div_fixup_f32 v4, v4, v5, 1.0
	s_delay_alu instid0(VALU_DEP_1)
	v_mul_f32_e32 v6, v6, v4
	v_xor_b32_e32 v7, 0x80000000, v4
                                        ; implicit-def: $vgpr4_vgpr5
.LBB103_230:
	s_and_not1_saveexec_b32 s1, s1
	s_cbranch_execz .LBB103_232
; %bb.231:
	v_div_scale_f32 v6, null, v4, v4, v5
	v_div_scale_f32 v9, vcc_lo, v5, v4, v5
	s_delay_alu instid0(VALU_DEP_2) | instskip(SKIP_1) | instid1(TRANS32_DEP_1)
	v_rcp_f32_e32 v7, v6
	v_nop
	v_fma_f32 v8, -v6, v7, 1.0
	s_delay_alu instid0(VALU_DEP_1) | instskip(NEXT) | instid1(VALU_DEP_1)
	v_fmac_f32_e32 v7, v8, v7
	v_mul_f32_e32 v8, v9, v7
	s_delay_alu instid0(VALU_DEP_1) | instskip(NEXT) | instid1(VALU_DEP_1)
	v_fma_f32 v10, -v6, v8, v9
	v_fmac_f32_e32 v8, v10, v7
	s_delay_alu instid0(VALU_DEP_1) | instskip(NEXT) | instid1(VALU_DEP_1)
	v_fma_f32 v6, -v6, v8, v9
	v_div_fmas_f32 v6, v6, v7, v8
	s_delay_alu instid0(VALU_DEP_1) | instskip(NEXT) | instid1(VALU_DEP_1)
	v_div_fixup_f32 v7, v6, v4, v5
	v_fmac_f32_e32 v4, v5, v7
	s_delay_alu instid0(VALU_DEP_1) | instskip(NEXT) | instid1(VALU_DEP_1)
	v_div_scale_f32 v5, null, v4, v4, 1.0
	v_rcp_f32_e32 v6, v5
	v_nop
	s_delay_alu instid0(TRANS32_DEP_1) | instskip(NEXT) | instid1(VALU_DEP_1)
	v_fma_f32 v8, -v5, v6, 1.0
	v_fmac_f32_e32 v6, v8, v6
	v_div_scale_f32 v8, vcc_lo, 1.0, v4, 1.0
	s_delay_alu instid0(VALU_DEP_1) | instskip(NEXT) | instid1(VALU_DEP_1)
	v_mul_f32_e32 v9, v8, v6
	v_fma_f32 v10, -v5, v9, v8
	s_delay_alu instid0(VALU_DEP_1) | instskip(NEXT) | instid1(VALU_DEP_1)
	v_fmac_f32_e32 v9, v10, v6
	v_fma_f32 v5, -v5, v9, v8
	s_delay_alu instid0(VALU_DEP_1) | instskip(NEXT) | instid1(VALU_DEP_1)
	v_div_fmas_f32 v5, v5, v6, v9
	v_div_fixup_f32 v6, v5, v4, 1.0
	s_delay_alu instid0(VALU_DEP_1)
	v_mul_f32_e64 v7, v7, -v6
.LBB103_232:
	s_or_b32 exec_lo, exec_lo, s1
	ds_store_b64 v117, v[6:7]
.LBB103_233:
	s_or_b32 exec_lo, exec_lo, s2
	s_wait_dscnt 0x0
	s_barrier_signal -1
	s_barrier_wait -1
	ds_load_b64 v[4:5], v117
	s_mov_b32 s1, exec_lo
	v_cmpx_lt_u32_e32 25, v116
	s_cbranch_execz .LBB103_235
; %bb.234:
	ds_load_2addr_b64 v[10:13], v118 offset0:26 offset1:27
	s_wait_dscnt 0x1
	v_pk_mul_f32 v[8:9], v[4:5], v[108:109] op_sel:[1,1] op_sel_hi:[0,1]
	s_delay_alu instid0(VALU_DEP_1) | instskip(SKIP_1) | instid1(VALU_DEP_1)
	v_pk_fma_f32 v[6:7], v[4:5], v[108:109], v[8:9] op_sel_hi:[1,0,1] neg_lo:[0,0,1] neg_hi:[0,0,1]
	v_pk_fma_f32 v[8:9], v[4:5], v[108:109], v[8:9] op_sel_hi:[1,0,1]
	v_dual_mov_b32 v108, v6 :: v_dual_mov_b32 v109, v9
	s_wait_dscnt 0x0
	s_delay_alu instid0(VALU_DEP_2) | instskip(NEXT) | instid1(VALU_DEP_1)
	v_pk_mul_f32 v[14:15], v[10:11], v[8:9] op_sel:[0,1]
	v_pk_fma_f32 v[18:19], v[10:11], v[6:7], v[14:15] op_sel:[0,0,1] op_sel_hi:[1,1,0] neg_lo:[0,0,1] neg_hi:[0,0,1]
	v_pk_fma_f32 v[10:11], v[10:11], v[6:7], v[14:15] op_sel:[0,0,1] op_sel_hi:[1,0,0]
	s_delay_alu instid0(VALU_DEP_1) | instskip(SKIP_1) | instid1(VALU_DEP_1)
	v_mov_b32_e32 v19, v11
	v_pk_mul_f32 v[10:11], v[12:13], v[8:9] op_sel:[0,1]
	v_pk_fma_f32 v[14:15], v[12:13], v[6:7], v[10:11] op_sel:[0,0,1] op_sel_hi:[1,1,0] neg_lo:[0,0,1] neg_hi:[0,0,1]
	v_pk_fma_f32 v[10:11], v[12:13], v[6:7], v[10:11] op_sel:[0,0,1] op_sel_hi:[1,0,0]
	s_delay_alu instid0(VALU_DEP_1)
	v_mov_b32_e32 v15, v11
	ds_load_2addr_b64 v[10:13], v118 offset0:28 offset1:29
	v_pk_add_f32 v[110:111], v[110:111], v[18:19] neg_lo:[0,1] neg_hi:[0,1]
	v_pk_add_f32 v[106:107], v[106:107], v[14:15] neg_lo:[0,1] neg_hi:[0,1]
	s_wait_dscnt 0x0
	v_pk_mul_f32 v[14:15], v[10:11], v[8:9] op_sel:[0,1]
	s_delay_alu instid0(VALU_DEP_1) | instskip(SKIP_2) | instid1(VALU_DEP_2)
	v_pk_fma_f32 v[18:19], v[10:11], v[6:7], v[14:15] op_sel:[0,0,1] op_sel_hi:[1,1,0] neg_lo:[0,0,1] neg_hi:[0,0,1]
	v_pk_fma_f32 v[10:11], v[10:11], v[6:7], v[14:15] op_sel:[0,0,1] op_sel_hi:[1,0,0]
	v_dual_mul_f32 v14, v13, v9 :: v_dual_mov_b32 v10, v13
	v_dual_mov_b32 v19, v11 :: v_dual_mov_b32 v11, v12
	s_delay_alu instid0(VALU_DEP_2) | instskip(SKIP_1) | instid1(VALU_DEP_3)
	v_pk_fma_f32 v[14:15], v[12:13], v[108:109], v[14:15] op_sel_hi:[1,1,0] neg_lo:[0,0,1] neg_hi:[0,0,1]
	v_mul_f32_e32 v12, v13, v6
	v_pk_add_f32 v[128:129], v[128:129], v[18:19] neg_lo:[0,1] neg_hi:[0,1]
	s_delay_alu instid0(VALU_DEP_2) | instskip(NEXT) | instid1(VALU_DEP_1)
	v_pk_fma_f32 v[10:11], v[10:11], v[108:109], v[12:13] op_sel_hi:[1,1,0]
	v_mov_b32_e32 v15, v11
	ds_load_2addr_b64 v[10:13], v118 offset0:30 offset1:31
	v_pk_add_f32 v[124:125], v[124:125], v[14:15] neg_lo:[0,1] neg_hi:[0,1]
	s_wait_dscnt 0x0
	v_pk_mul_f32 v[14:15], v[10:11], v[8:9] op_sel:[0,1]
	s_delay_alu instid0(VALU_DEP_1) | instskip(SKIP_1) | instid1(VALU_DEP_1)
	v_pk_fma_f32 v[18:19], v[10:11], v[6:7], v[14:15] op_sel:[0,0,1] op_sel_hi:[1,1,0] neg_lo:[0,0,1] neg_hi:[0,0,1]
	v_pk_fma_f32 v[10:11], v[10:11], v[6:7], v[14:15] op_sel:[0,0,1] op_sel_hi:[1,0,0]
	v_mov_b32_e32 v19, v11
	v_pk_mul_f32 v[10:11], v[12:13], v[8:9] op_sel:[0,1]
	s_delay_alu instid0(VALU_DEP_1) | instskip(SKIP_1) | instid1(VALU_DEP_1)
	v_pk_fma_f32 v[14:15], v[12:13], v[6:7], v[10:11] op_sel:[0,0,1] op_sel_hi:[1,1,0] neg_lo:[0,0,1] neg_hi:[0,0,1]
	v_pk_fma_f32 v[10:11], v[12:13], v[6:7], v[10:11] op_sel:[0,0,1] op_sel_hi:[1,0,0]
	v_mov_b32_e32 v15, v11
	ds_load_2addr_b64 v[10:13], v118 offset0:32 offset1:33
	v_pk_add_f32 v[126:127], v[126:127], v[18:19] neg_lo:[0,1] neg_hi:[0,1]
	v_pk_add_f32 v[122:123], v[122:123], v[14:15] neg_lo:[0,1] neg_hi:[0,1]
	s_wait_dscnt 0x0
	v_pk_mul_f32 v[14:15], v[10:11], v[8:9] op_sel:[0,1]
	s_delay_alu instid0(VALU_DEP_1) | instskip(SKIP_1) | instid1(VALU_DEP_1)
	v_pk_fma_f32 v[18:19], v[10:11], v[6:7], v[14:15] op_sel:[0,0,1] op_sel_hi:[1,1,0] neg_lo:[0,0,1] neg_hi:[0,0,1]
	v_pk_fma_f32 v[10:11], v[10:11], v[6:7], v[14:15] op_sel:[0,0,1] op_sel_hi:[1,0,0]
	v_mov_b32_e32 v19, v11
	v_pk_mul_f32 v[10:11], v[12:13], v[8:9] op_sel:[0,1]
	s_delay_alu instid0(VALU_DEP_1) | instskip(SKIP_1) | instid1(VALU_DEP_1)
	v_pk_fma_f32 v[14:15], v[12:13], v[6:7], v[10:11] op_sel:[0,0,1] op_sel_hi:[1,1,0] neg_lo:[0,0,1] neg_hi:[0,0,1]
	v_pk_fma_f32 v[10:11], v[12:13], v[6:7], v[10:11] op_sel:[0,0,1] op_sel_hi:[1,0,0]
	v_mov_b32_e32 v15, v11
	ds_load_2addr_b64 v[10:13], v118 offset0:34 offset1:35
	v_pk_add_f32 v[146:147], v[146:147], v[18:19] neg_lo:[0,1] neg_hi:[0,1]
	v_pk_add_f32 v[142:143], v[142:143], v[14:15] neg_lo:[0,1] neg_hi:[0,1]
	s_wait_dscnt 0x0
	v_dual_mul_f32 v14, v11, v9 :: v_dual_mul_f32 v18, v11, v6
	s_delay_alu instid0(VALU_DEP_1) | instskip(NEXT) | instid1(VALU_DEP_2)
	v_pk_fma_f32 v[14:15], v[10:11], v[108:109], v[14:15] op_sel_hi:[1,1,0] neg_lo:[0,0,1] neg_hi:[0,0,1]
	v_pk_fma_f32 v[10:11], v[10:11], v[108:109], v[18:19] op_sel:[1,0,0] op_sel_hi:[0,1,0]
	s_delay_alu instid0(VALU_DEP_1) | instskip(SKIP_1) | instid1(VALU_DEP_2)
	v_mov_b32_e32 v15, v11
	v_pk_mul_f32 v[10:11], v[12:13], v[8:9] op_sel:[0,1]
	v_pk_add_f32 v[144:145], v[144:145], v[14:15] neg_lo:[0,1] neg_hi:[0,1]
	s_delay_alu instid0(VALU_DEP_2) | instskip(SKIP_1) | instid1(VALU_DEP_1)
	v_pk_fma_f32 v[14:15], v[12:13], v[6:7], v[10:11] op_sel:[0,0,1] op_sel_hi:[1,1,0] neg_lo:[0,0,1] neg_hi:[0,0,1]
	v_pk_fma_f32 v[10:11], v[12:13], v[6:7], v[10:11] op_sel:[0,0,1] op_sel_hi:[1,0,0]
	v_mov_b32_e32 v15, v11
	ds_load_2addr_b64 v[10:13], v118 offset0:36 offset1:37
	v_pk_add_f32 v[140:141], v[140:141], v[14:15] neg_lo:[0,1] neg_hi:[0,1]
	s_wait_dscnt 0x0
	v_pk_mul_f32 v[14:15], v[10:11], v[8:9] op_sel:[0,1]
	s_delay_alu instid0(VALU_DEP_1) | instskip(SKIP_1) | instid1(VALU_DEP_1)
	v_pk_fma_f32 v[18:19], v[10:11], v[6:7], v[14:15] op_sel:[0,0,1] op_sel_hi:[1,1,0] neg_lo:[0,0,1] neg_hi:[0,0,1]
	v_pk_fma_f32 v[10:11], v[10:11], v[6:7], v[14:15] op_sel:[0,0,1] op_sel_hi:[1,0,0]
	v_mov_b32_e32 v19, v11
	v_pk_mul_f32 v[10:11], v[12:13], v[8:9] op_sel:[0,1]
	s_delay_alu instid0(VALU_DEP_2) | instskip(NEXT) | instid1(VALU_DEP_2)
	v_pk_add_f32 v[162:163], v[162:163], v[18:19] neg_lo:[0,1] neg_hi:[0,1]
	v_pk_fma_f32 v[14:15], v[12:13], v[6:7], v[10:11] op_sel:[0,0,1] op_sel_hi:[1,1,0] neg_lo:[0,0,1] neg_hi:[0,0,1]
	v_pk_fma_f32 v[10:11], v[12:13], v[6:7], v[10:11] op_sel:[0,0,1] op_sel_hi:[1,0,0]
	s_delay_alu instid0(VALU_DEP_1) | instskip(SKIP_4) | instid1(VALU_DEP_1)
	v_mov_b32_e32 v15, v11
	ds_load_2addr_b64 v[10:13], v118 offset0:38 offset1:39
	v_pk_add_f32 v[158:159], v[158:159], v[14:15] neg_lo:[0,1] neg_hi:[0,1]
	s_wait_dscnt 0x0
	v_pk_mul_f32 v[14:15], v[10:11], v[8:9] op_sel:[0,1]
	v_pk_fma_f32 v[18:19], v[10:11], v[6:7], v[14:15] op_sel:[0,0,1] op_sel_hi:[1,1,0] neg_lo:[0,0,1] neg_hi:[0,0,1]
	v_pk_fma_f32 v[10:11], v[10:11], v[6:7], v[14:15] op_sel:[0,0,1] op_sel_hi:[1,0,0]
	v_dual_mul_f32 v14, v13, v9 :: v_dual_mov_b32 v10, v13
	s_delay_alu instid0(VALU_DEP_2) | instskip(NEXT) | instid1(VALU_DEP_2)
	v_dual_mov_b32 v19, v11 :: v_dual_mov_b32 v11, v12
	v_pk_fma_f32 v[14:15], v[12:13], v[108:109], v[14:15] op_sel_hi:[1,1,0] neg_lo:[0,0,1] neg_hi:[0,0,1]
	v_mul_f32_e32 v12, v13, v6
	s_delay_alu instid0(VALU_DEP_3) | instskip(NEXT) | instid1(VALU_DEP_2)
	v_pk_add_f32 v[160:161], v[160:161], v[18:19] neg_lo:[0,1] neg_hi:[0,1]
	v_pk_fma_f32 v[10:11], v[10:11], v[108:109], v[12:13] op_sel_hi:[1,1,0]
	s_delay_alu instid0(VALU_DEP_1) | instskip(SKIP_4) | instid1(VALU_DEP_1)
	v_mov_b32_e32 v15, v11
	ds_load_2addr_b64 v[10:13], v118 offset0:40 offset1:41
	v_pk_add_f32 v[156:157], v[156:157], v[14:15] neg_lo:[0,1] neg_hi:[0,1]
	s_wait_dscnt 0x0
	v_pk_mul_f32 v[14:15], v[10:11], v[8:9] op_sel:[0,1]
	v_pk_fma_f32 v[18:19], v[10:11], v[6:7], v[14:15] op_sel:[0,0,1] op_sel_hi:[1,1,0] neg_lo:[0,0,1] neg_hi:[0,0,1]
	v_pk_fma_f32 v[10:11], v[10:11], v[6:7], v[14:15] op_sel:[0,0,1] op_sel_hi:[1,0,0]
	s_delay_alu instid0(VALU_DEP_1) | instskip(SKIP_1) | instid1(VALU_DEP_1)
	v_mov_b32_e32 v19, v11
	v_pk_mul_f32 v[10:11], v[12:13], v[8:9] op_sel:[0,1]
	v_pk_fma_f32 v[14:15], v[12:13], v[6:7], v[10:11] op_sel:[0,0,1] op_sel_hi:[1,1,0] neg_lo:[0,0,1] neg_hi:[0,0,1]
	v_pk_fma_f32 v[10:11], v[12:13], v[6:7], v[10:11] op_sel:[0,0,1] op_sel_hi:[1,0,0]
	s_delay_alu instid0(VALU_DEP_1)
	v_mov_b32_e32 v15, v11
	ds_load_2addr_b64 v[10:13], v118 offset0:42 offset1:43
	v_pk_add_f32 v[182:183], v[182:183], v[18:19] neg_lo:[0,1] neg_hi:[0,1]
	v_pk_add_f32 v[178:179], v[178:179], v[14:15] neg_lo:[0,1] neg_hi:[0,1]
	s_wait_dscnt 0x0
	v_pk_mul_f32 v[14:15], v[10:11], v[8:9] op_sel:[0,1]
	s_delay_alu instid0(VALU_DEP_1) | instskip(SKIP_1) | instid1(VALU_DEP_1)
	v_pk_fma_f32 v[18:19], v[10:11], v[6:7], v[14:15] op_sel:[0,0,1] op_sel_hi:[1,1,0] neg_lo:[0,0,1] neg_hi:[0,0,1]
	v_pk_fma_f32 v[10:11], v[10:11], v[6:7], v[14:15] op_sel:[0,0,1] op_sel_hi:[1,0,0]
	v_mov_b32_e32 v19, v11
	v_pk_mul_f32 v[10:11], v[12:13], v[8:9] op_sel:[0,1]
	s_delay_alu instid0(VALU_DEP_1) | instskip(SKIP_1) | instid1(VALU_DEP_1)
	v_pk_fma_f32 v[14:15], v[12:13], v[6:7], v[10:11] op_sel:[0,0,1] op_sel_hi:[1,1,0] neg_lo:[0,0,1] neg_hi:[0,0,1]
	v_pk_fma_f32 v[10:11], v[12:13], v[6:7], v[10:11] op_sel:[0,0,1] op_sel_hi:[1,0,0]
	v_mov_b32_e32 v15, v11
	ds_load_2addr_b64 v[10:13], v118 offset0:44 offset1:45
	v_pk_add_f32 v[180:181], v[180:181], v[18:19] neg_lo:[0,1] neg_hi:[0,1]
	v_pk_add_f32 v[176:177], v[176:177], v[14:15] neg_lo:[0,1] neg_hi:[0,1]
	s_wait_dscnt 0x0
	v_dual_mul_f32 v14, v11, v9 :: v_dual_mul_f32 v18, v11, v6
	s_delay_alu instid0(VALU_DEP_1) | instskip(NEXT) | instid1(VALU_DEP_2)
	v_pk_fma_f32 v[14:15], v[10:11], v[108:109], v[14:15] op_sel_hi:[1,1,0] neg_lo:[0,0,1] neg_hi:[0,0,1]
	v_pk_fma_f32 v[10:11], v[10:11], v[108:109], v[18:19] op_sel:[1,0,0] op_sel_hi:[0,1,0]
	s_delay_alu instid0(VALU_DEP_1) | instskip(SKIP_1) | instid1(VALU_DEP_2)
	v_mov_b32_e32 v15, v11
	v_pk_mul_f32 v[10:11], v[12:13], v[8:9] op_sel:[0,1]
	v_pk_add_f32 v[204:205], v[204:205], v[14:15] neg_lo:[0,1] neg_hi:[0,1]
	s_delay_alu instid0(VALU_DEP_2) | instskip(SKIP_1) | instid1(VALU_DEP_1)
	v_pk_fma_f32 v[14:15], v[12:13], v[6:7], v[10:11] op_sel:[0,0,1] op_sel_hi:[1,1,0] neg_lo:[0,0,1] neg_hi:[0,0,1]
	v_pk_fma_f32 v[10:11], v[12:13], v[6:7], v[10:11] op_sel:[0,0,1] op_sel_hi:[1,0,0]
	v_mov_b32_e32 v15, v11
	ds_load_2addr_b64 v[10:13], v118 offset0:46 offset1:47
	v_pk_add_f32 v[198:199], v[198:199], v[14:15] neg_lo:[0,1] neg_hi:[0,1]
	s_wait_dscnt 0x0
	v_pk_mul_f32 v[14:15], v[10:11], v[8:9] op_sel:[0,1]
	s_delay_alu instid0(VALU_DEP_1) | instskip(SKIP_1) | instid1(VALU_DEP_1)
	v_pk_fma_f32 v[18:19], v[10:11], v[6:7], v[14:15] op_sel:[0,0,1] op_sel_hi:[1,1,0] neg_lo:[0,0,1] neg_hi:[0,0,1]
	v_pk_fma_f32 v[10:11], v[10:11], v[6:7], v[14:15] op_sel:[0,0,1] op_sel_hi:[1,0,0]
	v_mov_b32_e32 v19, v11
	v_pk_mul_f32 v[10:11], v[12:13], v[8:9] op_sel:[0,1]
	s_delay_alu instid0(VALU_DEP_2) | instskip(NEXT) | instid1(VALU_DEP_2)
	v_pk_add_f32 v[202:203], v[202:203], v[18:19] neg_lo:[0,1] neg_hi:[0,1]
	v_pk_fma_f32 v[14:15], v[12:13], v[6:7], v[10:11] op_sel:[0,0,1] op_sel_hi:[1,1,0] neg_lo:[0,0,1] neg_hi:[0,0,1]
	v_pk_fma_f32 v[10:11], v[12:13], v[6:7], v[10:11] op_sel:[0,0,1] op_sel_hi:[1,0,0]
	s_delay_alu instid0(VALU_DEP_1) | instskip(SKIP_4) | instid1(VALU_DEP_1)
	v_mov_b32_e32 v15, v11
	ds_load_2addr_b64 v[10:13], v118 offset0:48 offset1:49
	v_pk_add_f32 v[196:197], v[196:197], v[14:15] neg_lo:[0,1] neg_hi:[0,1]
	s_wait_dscnt 0x0
	v_pk_mul_f32 v[14:15], v[10:11], v[8:9] op_sel:[0,1]
	v_pk_fma_f32 v[18:19], v[10:11], v[6:7], v[14:15] op_sel:[0,0,1] op_sel_hi:[1,1,0] neg_lo:[0,0,1] neg_hi:[0,0,1]
	v_pk_fma_f32 v[10:11], v[10:11], v[6:7], v[14:15] op_sel:[0,0,1] op_sel_hi:[1,0,0]
	v_dual_mul_f32 v14, v13, v9 :: v_dual_mov_b32 v10, v13
	s_delay_alu instid0(VALU_DEP_2) | instskip(NEXT) | instid1(VALU_DEP_2)
	v_dual_mov_b32 v19, v11 :: v_dual_mov_b32 v11, v12
	v_pk_fma_f32 v[14:15], v[12:13], v[108:109], v[14:15] op_sel_hi:[1,1,0] neg_lo:[0,0,1] neg_hi:[0,0,1]
	v_mul_f32_e32 v12, v13, v6
	s_delay_alu instid0(VALU_DEP_3) | instskip(NEXT) | instid1(VALU_DEP_2)
	v_pk_add_f32 v[200:201], v[200:201], v[18:19] neg_lo:[0,1] neg_hi:[0,1]
	v_pk_fma_f32 v[10:11], v[10:11], v[108:109], v[12:13] op_sel_hi:[1,1,0]
	s_delay_alu instid0(VALU_DEP_1)
	v_mov_b32_e32 v15, v11
	ds_load_2addr_b64 v[10:13], v118 offset0:50 offset1:51
	v_pk_add_f32 v[194:195], v[194:195], v[14:15] neg_lo:[0,1] neg_hi:[0,1]
	s_wait_dscnt 0x0
	v_pk_mul_f32 v[14:15], v[10:11], v[8:9] op_sel:[0,1]
	v_pk_mul_f32 v[8:9], v[12:13], v[8:9] op_sel:[0,1]
	s_delay_alu instid0(VALU_DEP_2) | instskip(SKIP_1) | instid1(VALU_DEP_1)
	v_pk_fma_f32 v[18:19], v[10:11], v[6:7], v[14:15] op_sel:[0,0,1] op_sel_hi:[1,1,0] neg_lo:[0,0,1] neg_hi:[0,0,1]
	v_pk_fma_f32 v[10:11], v[10:11], v[6:7], v[14:15] op_sel:[0,0,1] op_sel_hi:[1,0,0]
	v_mov_b32_e32 v19, v11
	s_delay_alu instid0(VALU_DEP_4) | instskip(SKIP_1) | instid1(VALU_DEP_1)
	v_pk_fma_f32 v[10:11], v[12:13], v[6:7], v[8:9] op_sel:[0,0,1] op_sel_hi:[1,1,0] neg_lo:[0,0,1] neg_hi:[0,0,1]
	v_pk_fma_f32 v[6:7], v[12:13], v[6:7], v[8:9] op_sel:[0,0,1] op_sel_hi:[1,0,0]
	v_mov_b32_e32 v11, v7
	s_delay_alu instid0(VALU_DEP_4) | instskip(NEXT) | instid1(VALU_DEP_2)
	v_pk_add_f32 v[206:207], v[206:207], v[18:19] neg_lo:[0,1] neg_hi:[0,1]
	v_pk_add_f32 v[208:209], v[208:209], v[10:11] neg_lo:[0,1] neg_hi:[0,1]
.LBB103_235:
	s_or_b32 exec_lo, exec_lo, s1
	s_delay_alu instid0(SALU_CYCLE_1)
	s_mov_b32 s2, exec_lo
	s_wait_dscnt 0x0
	s_barrier_signal -1
	s_barrier_wait -1
	v_cmpx_eq_u32_e32 26, v116
	s_cbranch_execz .LBB103_242
; %bb.236:
	ds_store_b64 v117, v[110:111]
	ds_store_2addr_b64 v118, v[106:107], v[128:129] offset0:27 offset1:28
	ds_store_2addr_b64 v118, v[124:125], v[126:127] offset0:29 offset1:30
	;; [unrolled: 1-line block ×12, first 2 shown]
	ds_store_b64 v118, v[208:209] offset:408
	ds_load_b64 v[6:7], v117
	s_wait_dscnt 0x0
	v_cmp_neq_f32_e32 vcc_lo, 0, v6
	v_cmp_neq_f32_e64 s1, 0, v7
	s_or_b32 s1, vcc_lo, s1
	s_delay_alu instid0(SALU_CYCLE_1)
	s_and_b32 exec_lo, exec_lo, s1
	s_cbranch_execz .LBB103_242
; %bb.237:
	v_cmp_ngt_f32_e64 s1, |v6|, |v7|
                                        ; implicit-def: $vgpr8_vgpr9
	s_and_saveexec_b32 s4, s1
	s_delay_alu instid0(SALU_CYCLE_1)
	s_xor_b32 s1, exec_lo, s4
	s_cbranch_execz .LBB103_239
; %bb.238:
	v_div_scale_f32 v8, null, v7, v7, v6
	v_div_scale_f32 v11, vcc_lo, v6, v7, v6
	s_delay_alu instid0(VALU_DEP_2) | instskip(SKIP_1) | instid1(TRANS32_DEP_1)
	v_rcp_f32_e32 v9, v8
	v_nop
	v_fma_f32 v10, -v8, v9, 1.0
	s_delay_alu instid0(VALU_DEP_1) | instskip(NEXT) | instid1(VALU_DEP_1)
	v_fmac_f32_e32 v9, v10, v9
	v_mul_f32_e32 v10, v11, v9
	s_delay_alu instid0(VALU_DEP_1) | instskip(NEXT) | instid1(VALU_DEP_1)
	v_fma_f32 v12, -v8, v10, v11
	v_fmac_f32_e32 v10, v12, v9
	s_delay_alu instid0(VALU_DEP_1) | instskip(NEXT) | instid1(VALU_DEP_1)
	v_fma_f32 v8, -v8, v10, v11
	v_div_fmas_f32 v8, v8, v9, v10
	s_delay_alu instid0(VALU_DEP_1) | instskip(NEXT) | instid1(VALU_DEP_1)
	v_div_fixup_f32 v8, v8, v7, v6
	v_fmac_f32_e32 v7, v6, v8
	s_delay_alu instid0(VALU_DEP_1) | instskip(SKIP_1) | instid1(VALU_DEP_2)
	v_div_scale_f32 v6, null, v7, v7, 1.0
	v_div_scale_f32 v11, vcc_lo, 1.0, v7, 1.0
	v_rcp_f32_e32 v9, v6
	v_nop
	s_delay_alu instid0(TRANS32_DEP_1) | instskip(NEXT) | instid1(VALU_DEP_1)
	v_fma_f32 v10, -v6, v9, 1.0
	v_fmac_f32_e32 v9, v10, v9
	s_delay_alu instid0(VALU_DEP_1) | instskip(NEXT) | instid1(VALU_DEP_1)
	v_mul_f32_e32 v10, v11, v9
	v_fma_f32 v12, -v6, v10, v11
	s_delay_alu instid0(VALU_DEP_1) | instskip(NEXT) | instid1(VALU_DEP_1)
	v_fmac_f32_e32 v10, v12, v9
	v_fma_f32 v6, -v6, v10, v11
	s_delay_alu instid0(VALU_DEP_1) | instskip(NEXT) | instid1(VALU_DEP_1)
	v_div_fmas_f32 v6, v6, v9, v10
	v_div_fixup_f32 v6, v6, v7, 1.0
	s_delay_alu instid0(VALU_DEP_1)
	v_mul_f32_e32 v8, v8, v6
	v_xor_b32_e32 v9, 0x80000000, v6
                                        ; implicit-def: $vgpr6_vgpr7
.LBB103_239:
	s_and_not1_saveexec_b32 s1, s1
	s_cbranch_execz .LBB103_241
; %bb.240:
	v_div_scale_f32 v8, null, v6, v6, v7
	v_div_scale_f32 v11, vcc_lo, v7, v6, v7
	s_delay_alu instid0(VALU_DEP_2) | instskip(SKIP_1) | instid1(TRANS32_DEP_1)
	v_rcp_f32_e32 v9, v8
	v_nop
	v_fma_f32 v10, -v8, v9, 1.0
	s_delay_alu instid0(VALU_DEP_1) | instskip(NEXT) | instid1(VALU_DEP_1)
	v_fmac_f32_e32 v9, v10, v9
	v_mul_f32_e32 v10, v11, v9
	s_delay_alu instid0(VALU_DEP_1) | instskip(NEXT) | instid1(VALU_DEP_1)
	v_fma_f32 v12, -v8, v10, v11
	v_fmac_f32_e32 v10, v12, v9
	s_delay_alu instid0(VALU_DEP_1) | instskip(NEXT) | instid1(VALU_DEP_1)
	v_fma_f32 v8, -v8, v10, v11
	v_div_fmas_f32 v8, v8, v9, v10
	s_delay_alu instid0(VALU_DEP_1) | instskip(NEXT) | instid1(VALU_DEP_1)
	v_div_fixup_f32 v9, v8, v6, v7
	v_fmac_f32_e32 v6, v7, v9
	s_delay_alu instid0(VALU_DEP_1) | instskip(NEXT) | instid1(VALU_DEP_1)
	v_div_scale_f32 v7, null, v6, v6, 1.0
	v_rcp_f32_e32 v8, v7
	v_nop
	s_delay_alu instid0(TRANS32_DEP_1) | instskip(NEXT) | instid1(VALU_DEP_1)
	v_fma_f32 v10, -v7, v8, 1.0
	v_fmac_f32_e32 v8, v10, v8
	v_div_scale_f32 v10, vcc_lo, 1.0, v6, 1.0
	s_delay_alu instid0(VALU_DEP_1) | instskip(NEXT) | instid1(VALU_DEP_1)
	v_mul_f32_e32 v11, v10, v8
	v_fma_f32 v12, -v7, v11, v10
	s_delay_alu instid0(VALU_DEP_1) | instskip(NEXT) | instid1(VALU_DEP_1)
	v_fmac_f32_e32 v11, v12, v8
	v_fma_f32 v7, -v7, v11, v10
	s_delay_alu instid0(VALU_DEP_1) | instskip(NEXT) | instid1(VALU_DEP_1)
	v_div_fmas_f32 v7, v7, v8, v11
	v_div_fixup_f32 v8, v7, v6, 1.0
	s_delay_alu instid0(VALU_DEP_1)
	v_mul_f32_e64 v9, v9, -v8
.LBB103_241:
	s_or_b32 exec_lo, exec_lo, s1
	ds_store_b64 v117, v[8:9]
.LBB103_242:
	s_or_b32 exec_lo, exec_lo, s2
	s_wait_dscnt 0x0
	s_barrier_signal -1
	s_barrier_wait -1
	ds_load_b64 v[6:7], v117
	s_mov_b32 s1, exec_lo
	v_cmpx_lt_u32_e32 26, v116
	s_cbranch_execz .LBB103_244
; %bb.243:
	ds_load_2addr_b64 v[12:15], v118 offset0:27 offset1:28
	s_wait_dscnt 0x1
	v_pk_mul_f32 v[10:11], v[6:7], v[110:111] op_sel:[1,1] op_sel_hi:[0,1]
	s_delay_alu instid0(VALU_DEP_1) | instskip(SKIP_1) | instid1(VALU_DEP_1)
	v_pk_fma_f32 v[8:9], v[6:7], v[110:111], v[10:11] op_sel_hi:[1,0,1] neg_lo:[0,0,1] neg_hi:[0,0,1]
	v_pk_fma_f32 v[10:11], v[6:7], v[110:111], v[10:11] op_sel_hi:[1,0,1]
	v_dual_mov_b32 v110, v8 :: v_dual_mov_b32 v111, v11
	s_wait_dscnt 0x0
	s_delay_alu instid0(VALU_DEP_2) | instskip(NEXT) | instid1(VALU_DEP_1)
	v_pk_mul_f32 v[18:19], v[12:13], v[10:11] op_sel:[0,1]
	v_pk_fma_f32 v[28:29], v[12:13], v[8:9], v[18:19] op_sel:[0,0,1] op_sel_hi:[1,1,0] neg_lo:[0,0,1] neg_hi:[0,0,1]
	v_pk_fma_f32 v[12:13], v[12:13], v[8:9], v[18:19] op_sel:[0,0,1] op_sel_hi:[1,0,0]
	s_delay_alu instid0(VALU_DEP_1) | instskip(SKIP_1) | instid1(VALU_DEP_1)
	v_mov_b32_e32 v29, v13
	v_pk_mul_f32 v[12:13], v[14:15], v[10:11] op_sel:[0,1]
	v_pk_fma_f32 v[18:19], v[14:15], v[8:9], v[12:13] op_sel:[0,0,1] op_sel_hi:[1,1,0] neg_lo:[0,0,1] neg_hi:[0,0,1]
	v_pk_fma_f32 v[12:13], v[14:15], v[8:9], v[12:13] op_sel:[0,0,1] op_sel_hi:[1,0,0]
	s_delay_alu instid0(VALU_DEP_1)
	v_mov_b32_e32 v19, v13
	ds_load_2addr_b64 v[12:15], v118 offset0:29 offset1:30
	v_pk_add_f32 v[106:107], v[106:107], v[28:29] neg_lo:[0,1] neg_hi:[0,1]
	v_pk_add_f32 v[128:129], v[128:129], v[18:19] neg_lo:[0,1] neg_hi:[0,1]
	s_wait_dscnt 0x0
	v_pk_mul_f32 v[18:19], v[12:13], v[10:11] op_sel:[0,1]
	s_delay_alu instid0(VALU_DEP_1) | instskip(SKIP_2) | instid1(VALU_DEP_2)
	v_pk_fma_f32 v[28:29], v[12:13], v[8:9], v[18:19] op_sel:[0,0,1] op_sel_hi:[1,1,0] neg_lo:[0,0,1] neg_hi:[0,0,1]
	v_pk_fma_f32 v[12:13], v[12:13], v[8:9], v[18:19] op_sel:[0,0,1] op_sel_hi:[1,0,0]
	v_dual_mul_f32 v18, v15, v11 :: v_dual_mov_b32 v12, v15
	v_dual_mov_b32 v29, v13 :: v_dual_mov_b32 v13, v14
	s_delay_alu instid0(VALU_DEP_2) | instskip(SKIP_1) | instid1(VALU_DEP_3)
	v_pk_fma_f32 v[18:19], v[14:15], v[110:111], v[18:19] op_sel_hi:[1,1,0] neg_lo:[0,0,1] neg_hi:[0,0,1]
	v_mul_f32_e32 v14, v15, v8
	v_pk_add_f32 v[124:125], v[124:125], v[28:29] neg_lo:[0,1] neg_hi:[0,1]
	s_delay_alu instid0(VALU_DEP_2) | instskip(NEXT) | instid1(VALU_DEP_1)
	v_pk_fma_f32 v[12:13], v[12:13], v[110:111], v[14:15] op_sel_hi:[1,1,0]
	v_mov_b32_e32 v19, v13
	ds_load_2addr_b64 v[12:15], v118 offset0:31 offset1:32
	v_pk_add_f32 v[126:127], v[126:127], v[18:19] neg_lo:[0,1] neg_hi:[0,1]
	s_wait_dscnt 0x0
	v_pk_mul_f32 v[18:19], v[12:13], v[10:11] op_sel:[0,1]
	s_delay_alu instid0(VALU_DEP_1) | instskip(SKIP_1) | instid1(VALU_DEP_1)
	v_pk_fma_f32 v[28:29], v[12:13], v[8:9], v[18:19] op_sel:[0,0,1] op_sel_hi:[1,1,0] neg_lo:[0,0,1] neg_hi:[0,0,1]
	v_pk_fma_f32 v[12:13], v[12:13], v[8:9], v[18:19] op_sel:[0,0,1] op_sel_hi:[1,0,0]
	v_mov_b32_e32 v29, v13
	v_pk_mul_f32 v[12:13], v[14:15], v[10:11] op_sel:[0,1]
	s_delay_alu instid0(VALU_DEP_1) | instskip(SKIP_1) | instid1(VALU_DEP_1)
	v_pk_fma_f32 v[18:19], v[14:15], v[8:9], v[12:13] op_sel:[0,0,1] op_sel_hi:[1,1,0] neg_lo:[0,0,1] neg_hi:[0,0,1]
	v_pk_fma_f32 v[12:13], v[14:15], v[8:9], v[12:13] op_sel:[0,0,1] op_sel_hi:[1,0,0]
	v_mov_b32_e32 v19, v13
	ds_load_2addr_b64 v[12:15], v118 offset0:33 offset1:34
	v_pk_add_f32 v[122:123], v[122:123], v[28:29] neg_lo:[0,1] neg_hi:[0,1]
	v_pk_add_f32 v[146:147], v[146:147], v[18:19] neg_lo:[0,1] neg_hi:[0,1]
	s_wait_dscnt 0x0
	v_pk_mul_f32 v[18:19], v[12:13], v[10:11] op_sel:[0,1]
	s_delay_alu instid0(VALU_DEP_1) | instskip(SKIP_1) | instid1(VALU_DEP_1)
	v_pk_fma_f32 v[28:29], v[12:13], v[8:9], v[18:19] op_sel:[0,0,1] op_sel_hi:[1,1,0] neg_lo:[0,0,1] neg_hi:[0,0,1]
	v_pk_fma_f32 v[12:13], v[12:13], v[8:9], v[18:19] op_sel:[0,0,1] op_sel_hi:[1,0,0]
	v_mov_b32_e32 v29, v13
	v_pk_mul_f32 v[12:13], v[14:15], v[10:11] op_sel:[0,1]
	s_delay_alu instid0(VALU_DEP_1) | instskip(SKIP_1) | instid1(VALU_DEP_1)
	v_pk_fma_f32 v[18:19], v[14:15], v[8:9], v[12:13] op_sel:[0,0,1] op_sel_hi:[1,1,0] neg_lo:[0,0,1] neg_hi:[0,0,1]
	v_pk_fma_f32 v[12:13], v[14:15], v[8:9], v[12:13] op_sel:[0,0,1] op_sel_hi:[1,0,0]
	v_mov_b32_e32 v19, v13
	ds_load_2addr_b64 v[12:15], v118 offset0:35 offset1:36
	v_pk_add_f32 v[142:143], v[142:143], v[28:29] neg_lo:[0,1] neg_hi:[0,1]
	v_pk_add_f32 v[144:145], v[144:145], v[18:19] neg_lo:[0,1] neg_hi:[0,1]
	s_wait_dscnt 0x0
	v_dual_mul_f32 v18, v13, v11 :: v_dual_mul_f32 v28, v13, v8
	s_delay_alu instid0(VALU_DEP_1) | instskip(NEXT) | instid1(VALU_DEP_2)
	v_pk_fma_f32 v[18:19], v[12:13], v[110:111], v[18:19] op_sel_hi:[1,1,0] neg_lo:[0,0,1] neg_hi:[0,0,1]
	v_pk_fma_f32 v[12:13], v[12:13], v[110:111], v[28:29] op_sel:[1,0,0] op_sel_hi:[0,1,0]
	s_delay_alu instid0(VALU_DEP_1) | instskip(SKIP_1) | instid1(VALU_DEP_2)
	v_mov_b32_e32 v19, v13
	v_pk_mul_f32 v[12:13], v[14:15], v[10:11] op_sel:[0,1]
	v_pk_add_f32 v[140:141], v[140:141], v[18:19] neg_lo:[0,1] neg_hi:[0,1]
	s_delay_alu instid0(VALU_DEP_2) | instskip(SKIP_1) | instid1(VALU_DEP_1)
	v_pk_fma_f32 v[18:19], v[14:15], v[8:9], v[12:13] op_sel:[0,0,1] op_sel_hi:[1,1,0] neg_lo:[0,0,1] neg_hi:[0,0,1]
	v_pk_fma_f32 v[12:13], v[14:15], v[8:9], v[12:13] op_sel:[0,0,1] op_sel_hi:[1,0,0]
	v_mov_b32_e32 v19, v13
	ds_load_2addr_b64 v[12:15], v118 offset0:37 offset1:38
	v_pk_add_f32 v[162:163], v[162:163], v[18:19] neg_lo:[0,1] neg_hi:[0,1]
	s_wait_dscnt 0x0
	v_pk_mul_f32 v[18:19], v[12:13], v[10:11] op_sel:[0,1]
	s_delay_alu instid0(VALU_DEP_1) | instskip(SKIP_1) | instid1(VALU_DEP_1)
	v_pk_fma_f32 v[28:29], v[12:13], v[8:9], v[18:19] op_sel:[0,0,1] op_sel_hi:[1,1,0] neg_lo:[0,0,1] neg_hi:[0,0,1]
	v_pk_fma_f32 v[12:13], v[12:13], v[8:9], v[18:19] op_sel:[0,0,1] op_sel_hi:[1,0,0]
	v_mov_b32_e32 v29, v13
	v_pk_mul_f32 v[12:13], v[14:15], v[10:11] op_sel:[0,1]
	s_delay_alu instid0(VALU_DEP_2) | instskip(NEXT) | instid1(VALU_DEP_2)
	v_pk_add_f32 v[158:159], v[158:159], v[28:29] neg_lo:[0,1] neg_hi:[0,1]
	v_pk_fma_f32 v[18:19], v[14:15], v[8:9], v[12:13] op_sel:[0,0,1] op_sel_hi:[1,1,0] neg_lo:[0,0,1] neg_hi:[0,0,1]
	v_pk_fma_f32 v[12:13], v[14:15], v[8:9], v[12:13] op_sel:[0,0,1] op_sel_hi:[1,0,0]
	s_delay_alu instid0(VALU_DEP_1) | instskip(SKIP_4) | instid1(VALU_DEP_1)
	v_mov_b32_e32 v19, v13
	ds_load_2addr_b64 v[12:15], v118 offset0:39 offset1:40
	v_pk_add_f32 v[160:161], v[160:161], v[18:19] neg_lo:[0,1] neg_hi:[0,1]
	s_wait_dscnt 0x0
	v_pk_mul_f32 v[18:19], v[12:13], v[10:11] op_sel:[0,1]
	v_pk_fma_f32 v[28:29], v[12:13], v[8:9], v[18:19] op_sel:[0,0,1] op_sel_hi:[1,1,0] neg_lo:[0,0,1] neg_hi:[0,0,1]
	v_pk_fma_f32 v[12:13], v[12:13], v[8:9], v[18:19] op_sel:[0,0,1] op_sel_hi:[1,0,0]
	v_dual_mul_f32 v18, v15, v11 :: v_dual_mov_b32 v12, v15
	s_delay_alu instid0(VALU_DEP_2) | instskip(NEXT) | instid1(VALU_DEP_2)
	v_dual_mov_b32 v29, v13 :: v_dual_mov_b32 v13, v14
	v_pk_fma_f32 v[18:19], v[14:15], v[110:111], v[18:19] op_sel_hi:[1,1,0] neg_lo:[0,0,1] neg_hi:[0,0,1]
	v_mul_f32_e32 v14, v15, v8
	s_delay_alu instid0(VALU_DEP_3) | instskip(NEXT) | instid1(VALU_DEP_2)
	v_pk_add_f32 v[156:157], v[156:157], v[28:29] neg_lo:[0,1] neg_hi:[0,1]
	v_pk_fma_f32 v[12:13], v[12:13], v[110:111], v[14:15] op_sel_hi:[1,1,0]
	s_delay_alu instid0(VALU_DEP_1) | instskip(SKIP_4) | instid1(VALU_DEP_1)
	v_mov_b32_e32 v19, v13
	ds_load_2addr_b64 v[12:15], v118 offset0:41 offset1:42
	v_pk_add_f32 v[182:183], v[182:183], v[18:19] neg_lo:[0,1] neg_hi:[0,1]
	s_wait_dscnt 0x0
	v_pk_mul_f32 v[18:19], v[12:13], v[10:11] op_sel:[0,1]
	v_pk_fma_f32 v[28:29], v[12:13], v[8:9], v[18:19] op_sel:[0,0,1] op_sel_hi:[1,1,0] neg_lo:[0,0,1] neg_hi:[0,0,1]
	v_pk_fma_f32 v[12:13], v[12:13], v[8:9], v[18:19] op_sel:[0,0,1] op_sel_hi:[1,0,0]
	s_delay_alu instid0(VALU_DEP_1) | instskip(SKIP_1) | instid1(VALU_DEP_1)
	v_mov_b32_e32 v29, v13
	v_pk_mul_f32 v[12:13], v[14:15], v[10:11] op_sel:[0,1]
	v_pk_fma_f32 v[18:19], v[14:15], v[8:9], v[12:13] op_sel:[0,0,1] op_sel_hi:[1,1,0] neg_lo:[0,0,1] neg_hi:[0,0,1]
	v_pk_fma_f32 v[12:13], v[14:15], v[8:9], v[12:13] op_sel:[0,0,1] op_sel_hi:[1,0,0]
	s_delay_alu instid0(VALU_DEP_1)
	v_mov_b32_e32 v19, v13
	ds_load_2addr_b64 v[12:15], v118 offset0:43 offset1:44
	v_pk_add_f32 v[178:179], v[178:179], v[28:29] neg_lo:[0,1] neg_hi:[0,1]
	v_pk_add_f32 v[180:181], v[180:181], v[18:19] neg_lo:[0,1] neg_hi:[0,1]
	s_wait_dscnt 0x0
	v_pk_mul_f32 v[18:19], v[12:13], v[10:11] op_sel:[0,1]
	s_delay_alu instid0(VALU_DEP_1) | instskip(SKIP_1) | instid1(VALU_DEP_1)
	v_pk_fma_f32 v[28:29], v[12:13], v[8:9], v[18:19] op_sel:[0,0,1] op_sel_hi:[1,1,0] neg_lo:[0,0,1] neg_hi:[0,0,1]
	v_pk_fma_f32 v[12:13], v[12:13], v[8:9], v[18:19] op_sel:[0,0,1] op_sel_hi:[1,0,0]
	v_mov_b32_e32 v29, v13
	v_pk_mul_f32 v[12:13], v[14:15], v[10:11] op_sel:[0,1]
	s_delay_alu instid0(VALU_DEP_1) | instskip(SKIP_1) | instid1(VALU_DEP_1)
	v_pk_fma_f32 v[18:19], v[14:15], v[8:9], v[12:13] op_sel:[0,0,1] op_sel_hi:[1,1,0] neg_lo:[0,0,1] neg_hi:[0,0,1]
	v_pk_fma_f32 v[12:13], v[14:15], v[8:9], v[12:13] op_sel:[0,0,1] op_sel_hi:[1,0,0]
	v_mov_b32_e32 v19, v13
	ds_load_2addr_b64 v[12:15], v118 offset0:45 offset1:46
	v_pk_add_f32 v[176:177], v[176:177], v[28:29] neg_lo:[0,1] neg_hi:[0,1]
	v_pk_add_f32 v[204:205], v[204:205], v[18:19] neg_lo:[0,1] neg_hi:[0,1]
	s_wait_dscnt 0x0
	v_dual_mul_f32 v18, v13, v11 :: v_dual_mul_f32 v28, v13, v8
	s_delay_alu instid0(VALU_DEP_1) | instskip(NEXT) | instid1(VALU_DEP_2)
	v_pk_fma_f32 v[18:19], v[12:13], v[110:111], v[18:19] op_sel_hi:[1,1,0] neg_lo:[0,0,1] neg_hi:[0,0,1]
	v_pk_fma_f32 v[12:13], v[12:13], v[110:111], v[28:29] op_sel:[1,0,0] op_sel_hi:[0,1,0]
	s_delay_alu instid0(VALU_DEP_1) | instskip(SKIP_1) | instid1(VALU_DEP_2)
	v_mov_b32_e32 v19, v13
	v_pk_mul_f32 v[12:13], v[14:15], v[10:11] op_sel:[0,1]
	v_pk_add_f32 v[198:199], v[198:199], v[18:19] neg_lo:[0,1] neg_hi:[0,1]
	s_delay_alu instid0(VALU_DEP_2) | instskip(SKIP_1) | instid1(VALU_DEP_1)
	v_pk_fma_f32 v[18:19], v[14:15], v[8:9], v[12:13] op_sel:[0,0,1] op_sel_hi:[1,1,0] neg_lo:[0,0,1] neg_hi:[0,0,1]
	v_pk_fma_f32 v[12:13], v[14:15], v[8:9], v[12:13] op_sel:[0,0,1] op_sel_hi:[1,0,0]
	v_mov_b32_e32 v19, v13
	ds_load_2addr_b64 v[12:15], v118 offset0:47 offset1:48
	v_pk_add_f32 v[202:203], v[202:203], v[18:19] neg_lo:[0,1] neg_hi:[0,1]
	s_wait_dscnt 0x0
	v_pk_mul_f32 v[18:19], v[12:13], v[10:11] op_sel:[0,1]
	s_delay_alu instid0(VALU_DEP_1) | instskip(SKIP_1) | instid1(VALU_DEP_1)
	v_pk_fma_f32 v[28:29], v[12:13], v[8:9], v[18:19] op_sel:[0,0,1] op_sel_hi:[1,1,0] neg_lo:[0,0,1] neg_hi:[0,0,1]
	v_pk_fma_f32 v[12:13], v[12:13], v[8:9], v[18:19] op_sel:[0,0,1] op_sel_hi:[1,0,0]
	v_mov_b32_e32 v29, v13
	v_pk_mul_f32 v[12:13], v[14:15], v[10:11] op_sel:[0,1]
	s_delay_alu instid0(VALU_DEP_2) | instskip(NEXT) | instid1(VALU_DEP_2)
	v_pk_add_f32 v[196:197], v[196:197], v[28:29] neg_lo:[0,1] neg_hi:[0,1]
	v_pk_fma_f32 v[18:19], v[14:15], v[8:9], v[12:13] op_sel:[0,0,1] op_sel_hi:[1,1,0] neg_lo:[0,0,1] neg_hi:[0,0,1]
	v_pk_fma_f32 v[12:13], v[14:15], v[8:9], v[12:13] op_sel:[0,0,1] op_sel_hi:[1,0,0]
	s_delay_alu instid0(VALU_DEP_1) | instskip(SKIP_4) | instid1(VALU_DEP_1)
	v_mov_b32_e32 v19, v13
	ds_load_2addr_b64 v[12:15], v118 offset0:49 offset1:50
	v_pk_add_f32 v[200:201], v[200:201], v[18:19] neg_lo:[0,1] neg_hi:[0,1]
	s_wait_dscnt 0x0
	v_pk_mul_f32 v[18:19], v[12:13], v[10:11] op_sel:[0,1]
	v_pk_fma_f32 v[28:29], v[12:13], v[8:9], v[18:19] op_sel:[0,0,1] op_sel_hi:[1,1,0] neg_lo:[0,0,1] neg_hi:[0,0,1]
	v_pk_fma_f32 v[12:13], v[12:13], v[8:9], v[18:19] op_sel:[0,0,1] op_sel_hi:[1,0,0]
	v_dual_mul_f32 v18, v15, v11 :: v_dual_mov_b32 v12, v15
	s_delay_alu instid0(VALU_DEP_2) | instskip(NEXT) | instid1(VALU_DEP_2)
	v_dual_mov_b32 v29, v13 :: v_dual_mov_b32 v13, v14
	v_pk_fma_f32 v[18:19], v[14:15], v[110:111], v[18:19] op_sel_hi:[1,1,0] neg_lo:[0,0,1] neg_hi:[0,0,1]
	v_mul_f32_e32 v14, v15, v8
	s_delay_alu instid0(VALU_DEP_3) | instskip(NEXT) | instid1(VALU_DEP_2)
	v_pk_add_f32 v[194:195], v[194:195], v[28:29] neg_lo:[0,1] neg_hi:[0,1]
	v_pk_fma_f32 v[12:13], v[12:13], v[110:111], v[14:15] op_sel_hi:[1,1,0]
	s_delay_alu instid0(VALU_DEP_1) | instskip(SKIP_4) | instid1(VALU_DEP_1)
	v_mov_b32_e32 v19, v13
	ds_load_b64 v[12:13], v118 offset:408
	v_pk_add_f32 v[206:207], v[206:207], v[18:19] neg_lo:[0,1] neg_hi:[0,1]
	s_wait_dscnt 0x0
	v_pk_mul_f32 v[10:11], v[12:13], v[10:11] op_sel:[0,1]
	v_pk_fma_f32 v[14:15], v[12:13], v[8:9], v[10:11] op_sel:[0,0,1] op_sel_hi:[1,1,0] neg_lo:[0,0,1] neg_hi:[0,0,1]
	v_pk_fma_f32 v[8:9], v[12:13], v[8:9], v[10:11] op_sel:[0,0,1] op_sel_hi:[1,0,0]
	s_delay_alu instid0(VALU_DEP_1) | instskip(NEXT) | instid1(VALU_DEP_1)
	v_mov_b32_e32 v15, v9
	v_pk_add_f32 v[208:209], v[208:209], v[14:15] neg_lo:[0,1] neg_hi:[0,1]
.LBB103_244:
	s_or_b32 exec_lo, exec_lo, s1
	s_delay_alu instid0(SALU_CYCLE_1)
	s_mov_b32 s2, exec_lo
	s_wait_dscnt 0x0
	s_barrier_signal -1
	s_barrier_wait -1
	v_cmpx_eq_u32_e32 27, v116
	s_cbranch_execz .LBB103_251
; %bb.245:
	v_dual_mov_b32 v8, v128 :: v_dual_mov_b32 v9, v129
	v_dual_mov_b32 v10, v124 :: v_dual_mov_b32 v11, v125
	ds_store_b64 v117, v[106:107]
	ds_store_2addr_b64 v118, v[8:9], v[10:11] offset0:28 offset1:29
	v_dual_mov_b32 v8, v126 :: v_dual_mov_b32 v9, v127
	v_dual_mov_b32 v10, v122 :: v_dual_mov_b32 v11, v123
	ds_store_2addr_b64 v118, v[8:9], v[10:11] offset0:30 offset1:31
	v_dual_mov_b32 v8, v146 :: v_dual_mov_b32 v9, v147
	v_dual_mov_b32 v10, v142 :: v_dual_mov_b32 v11, v143
	;; [unrolled: 3-line block ×10, first 2 shown]
	ds_store_2addr_b64 v118, v[8:9], v[10:11] offset0:48 offset1:49
	v_dual_mov_b32 v8, v206 :: v_dual_mov_b32 v9, v207
	ds_store_2addr_b64 v118, v[8:9], v[208:209] offset0:50 offset1:51
	ds_load_b64 v[8:9], v117
	s_wait_dscnt 0x0
	v_cmp_neq_f32_e32 vcc_lo, 0, v8
	v_cmp_neq_f32_e64 s1, 0, v9
	s_or_b32 s1, vcc_lo, s1
	s_delay_alu instid0(SALU_CYCLE_1)
	s_and_b32 exec_lo, exec_lo, s1
	s_cbranch_execz .LBB103_251
; %bb.246:
	v_cmp_ngt_f32_e64 s1, |v8|, |v9|
                                        ; implicit-def: $vgpr10_vgpr11
	s_and_saveexec_b32 s4, s1
	s_delay_alu instid0(SALU_CYCLE_1)
	s_xor_b32 s1, exec_lo, s4
	s_cbranch_execz .LBB103_248
; %bb.247:
	v_div_scale_f32 v10, null, v9, v9, v8
	v_div_scale_f32 v13, vcc_lo, v8, v9, v8
	s_delay_alu instid0(VALU_DEP_2) | instskip(SKIP_1) | instid1(TRANS32_DEP_1)
	v_rcp_f32_e32 v11, v10
	v_nop
	v_fma_f32 v12, -v10, v11, 1.0
	s_delay_alu instid0(VALU_DEP_1) | instskip(NEXT) | instid1(VALU_DEP_1)
	v_fmac_f32_e32 v11, v12, v11
	v_mul_f32_e32 v12, v13, v11
	s_delay_alu instid0(VALU_DEP_1) | instskip(NEXT) | instid1(VALU_DEP_1)
	v_fma_f32 v14, -v10, v12, v13
	v_fmac_f32_e32 v12, v14, v11
	s_delay_alu instid0(VALU_DEP_1) | instskip(NEXT) | instid1(VALU_DEP_1)
	v_fma_f32 v10, -v10, v12, v13
	v_div_fmas_f32 v10, v10, v11, v12
	s_delay_alu instid0(VALU_DEP_1) | instskip(NEXT) | instid1(VALU_DEP_1)
	v_div_fixup_f32 v10, v10, v9, v8
	v_fmac_f32_e32 v9, v8, v10
	s_delay_alu instid0(VALU_DEP_1) | instskip(SKIP_1) | instid1(VALU_DEP_2)
	v_div_scale_f32 v8, null, v9, v9, 1.0
	v_div_scale_f32 v13, vcc_lo, 1.0, v9, 1.0
	v_rcp_f32_e32 v11, v8
	v_nop
	s_delay_alu instid0(TRANS32_DEP_1) | instskip(NEXT) | instid1(VALU_DEP_1)
	v_fma_f32 v12, -v8, v11, 1.0
	v_fmac_f32_e32 v11, v12, v11
	s_delay_alu instid0(VALU_DEP_1) | instskip(NEXT) | instid1(VALU_DEP_1)
	v_mul_f32_e32 v12, v13, v11
	v_fma_f32 v14, -v8, v12, v13
	s_delay_alu instid0(VALU_DEP_1) | instskip(NEXT) | instid1(VALU_DEP_1)
	v_fmac_f32_e32 v12, v14, v11
	v_fma_f32 v8, -v8, v12, v13
	s_delay_alu instid0(VALU_DEP_1) | instskip(NEXT) | instid1(VALU_DEP_1)
	v_div_fmas_f32 v8, v8, v11, v12
	v_div_fixup_f32 v8, v8, v9, 1.0
	s_delay_alu instid0(VALU_DEP_1)
	v_mul_f32_e32 v10, v10, v8
	v_xor_b32_e32 v11, 0x80000000, v8
                                        ; implicit-def: $vgpr8_vgpr9
.LBB103_248:
	s_and_not1_saveexec_b32 s1, s1
	s_cbranch_execz .LBB103_250
; %bb.249:
	v_div_scale_f32 v10, null, v8, v8, v9
	v_div_scale_f32 v13, vcc_lo, v9, v8, v9
	s_delay_alu instid0(VALU_DEP_2) | instskip(SKIP_1) | instid1(TRANS32_DEP_1)
	v_rcp_f32_e32 v11, v10
	v_nop
	v_fma_f32 v12, -v10, v11, 1.0
	s_delay_alu instid0(VALU_DEP_1) | instskip(NEXT) | instid1(VALU_DEP_1)
	v_fmac_f32_e32 v11, v12, v11
	v_mul_f32_e32 v12, v13, v11
	s_delay_alu instid0(VALU_DEP_1) | instskip(NEXT) | instid1(VALU_DEP_1)
	v_fma_f32 v14, -v10, v12, v13
	v_fmac_f32_e32 v12, v14, v11
	s_delay_alu instid0(VALU_DEP_1) | instskip(NEXT) | instid1(VALU_DEP_1)
	v_fma_f32 v10, -v10, v12, v13
	v_div_fmas_f32 v10, v10, v11, v12
	s_delay_alu instid0(VALU_DEP_1) | instskip(NEXT) | instid1(VALU_DEP_1)
	v_div_fixup_f32 v11, v10, v8, v9
	v_fmac_f32_e32 v8, v9, v11
	s_delay_alu instid0(VALU_DEP_1) | instskip(NEXT) | instid1(VALU_DEP_1)
	v_div_scale_f32 v9, null, v8, v8, 1.0
	v_rcp_f32_e32 v10, v9
	v_nop
	s_delay_alu instid0(TRANS32_DEP_1) | instskip(NEXT) | instid1(VALU_DEP_1)
	v_fma_f32 v12, -v9, v10, 1.0
	v_fmac_f32_e32 v10, v12, v10
	v_div_scale_f32 v12, vcc_lo, 1.0, v8, 1.0
	s_delay_alu instid0(VALU_DEP_1) | instskip(NEXT) | instid1(VALU_DEP_1)
	v_mul_f32_e32 v13, v12, v10
	v_fma_f32 v14, -v9, v13, v12
	s_delay_alu instid0(VALU_DEP_1) | instskip(NEXT) | instid1(VALU_DEP_1)
	v_fmac_f32_e32 v13, v14, v10
	v_fma_f32 v9, -v9, v13, v12
	s_delay_alu instid0(VALU_DEP_1) | instskip(NEXT) | instid1(VALU_DEP_1)
	v_div_fmas_f32 v9, v9, v10, v13
	v_div_fixup_f32 v10, v9, v8, 1.0
	s_delay_alu instid0(VALU_DEP_1)
	v_mul_f32_e64 v11, v11, -v10
.LBB103_250:
	s_or_b32 exec_lo, exec_lo, s1
	ds_store_b64 v117, v[10:11]
.LBB103_251:
	s_or_b32 exec_lo, exec_lo, s2
	s_wait_dscnt 0x0
	s_barrier_signal -1
	s_barrier_wait -1
	ds_load_b64 v[8:9], v117
	s_mov_b32 s1, exec_lo
	v_cmpx_lt_u32_e32 27, v116
	s_cbranch_execz .LBB103_253
; %bb.252:
	ds_load_2addr_b64 v[28:31], v118 offset0:28 offset1:29
	s_wait_dscnt 0x1
	v_pk_mul_f32 v[12:13], v[8:9], v[106:107] op_sel:[1,1] op_sel_hi:[0,1]
	s_delay_alu instid0(VALU_DEP_1) | instskip(SKIP_1) | instid1(VALU_DEP_1)
	v_pk_fma_f32 v[10:11], v[8:9], v[106:107], v[12:13] op_sel_hi:[1,0,1] neg_lo:[0,0,1] neg_hi:[0,0,1]
	v_pk_fma_f32 v[12:13], v[8:9], v[106:107], v[12:13] op_sel_hi:[1,0,1]
	v_dual_mov_b32 v106, v10 :: v_dual_mov_b32 v107, v13
	s_wait_dscnt 0x0
	s_delay_alu instid0(VALU_DEP_2) | instskip(NEXT) | instid1(VALU_DEP_1)
	v_pk_mul_f32 v[14:15], v[28:29], v[12:13] op_sel:[0,1]
	v_pk_fma_f32 v[18:19], v[28:29], v[10:11], v[14:15] op_sel:[0,0,1] op_sel_hi:[1,1,0] neg_lo:[0,0,1] neg_hi:[0,0,1]
	v_pk_fma_f32 v[14:15], v[28:29], v[10:11], v[14:15] op_sel:[0,0,1] op_sel_hi:[1,0,0]
	s_delay_alu instid0(VALU_DEP_1) | instskip(SKIP_1) | instid1(VALU_DEP_2)
	v_mov_b32_e32 v19, v15
	v_pk_mul_f32 v[14:15], v[30:31], v[12:13] op_sel:[0,1]
	v_pk_add_f32 v[128:129], v[128:129], v[18:19] neg_lo:[0,1] neg_hi:[0,1]
	s_delay_alu instid0(VALU_DEP_2) | instskip(SKIP_3) | instid1(VALU_DEP_1)
	v_pk_fma_f32 v[18:19], v[30:31], v[10:11], v[14:15] op_sel:[0,0,1] op_sel_hi:[1,1,0] neg_lo:[0,0,1] neg_hi:[0,0,1]
	v_pk_fma_f32 v[14:15], v[30:31], v[10:11], v[14:15] op_sel:[0,0,1] op_sel_hi:[1,0,0]
	ds_load_2addr_b64 v[28:31], v118 offset0:30 offset1:31
	v_mov_b32_e32 v19, v15
	v_pk_add_f32 v[124:125], v[124:125], v[18:19] neg_lo:[0,1] neg_hi:[0,1]
	s_wait_dscnt 0x0
	v_pk_mul_f32 v[14:15], v[28:29], v[12:13] op_sel:[0,1]
	s_delay_alu instid0(VALU_DEP_1) | instskip(SKIP_2) | instid1(VALU_DEP_2)
	v_pk_fma_f32 v[18:19], v[28:29], v[10:11], v[14:15] op_sel:[0,0,1] op_sel_hi:[1,1,0] neg_lo:[0,0,1] neg_hi:[0,0,1]
	v_pk_fma_f32 v[14:15], v[28:29], v[10:11], v[14:15] op_sel:[0,0,1] op_sel_hi:[1,0,0]
	v_dual_mov_b32 v14, v31 :: v_dual_mul_f32 v28, v31, v10
	v_dual_mov_b32 v19, v15 :: v_dual_mov_b32 v15, v30
	s_delay_alu instid0(VALU_DEP_1) | instskip(SKIP_1) | instid1(VALU_DEP_3)
	v_pk_add_f32 v[126:127], v[126:127], v[18:19] neg_lo:[0,1] neg_hi:[0,1]
	v_mul_f32_e32 v18, v31, v13
	v_pk_fma_f32 v[14:15], v[14:15], v[106:107], v[28:29] op_sel_hi:[1,1,0]
	s_delay_alu instid0(VALU_DEP_2) | instskip(SKIP_2) | instid1(VALU_DEP_1)
	v_pk_fma_f32 v[18:19], v[30:31], v[106:107], v[18:19] op_sel_hi:[1,1,0] neg_lo:[0,0,1] neg_hi:[0,0,1]
	ds_load_2addr_b64 v[28:31], v118 offset0:32 offset1:33
	v_mov_b32_e32 v19, v15
	v_pk_add_f32 v[122:123], v[122:123], v[18:19] neg_lo:[0,1] neg_hi:[0,1]
	s_wait_dscnt 0x0
	v_pk_mul_f32 v[14:15], v[28:29], v[12:13] op_sel:[0,1]
	s_delay_alu instid0(VALU_DEP_1) | instskip(SKIP_1) | instid1(VALU_DEP_1)
	v_pk_fma_f32 v[18:19], v[28:29], v[10:11], v[14:15] op_sel:[0,0,1] op_sel_hi:[1,1,0] neg_lo:[0,0,1] neg_hi:[0,0,1]
	v_pk_fma_f32 v[14:15], v[28:29], v[10:11], v[14:15] op_sel:[0,0,1] op_sel_hi:[1,0,0]
	v_mov_b32_e32 v19, v15
	v_pk_mul_f32 v[14:15], v[30:31], v[12:13] op_sel:[0,1]
	s_delay_alu instid0(VALU_DEP_2) | instskip(NEXT) | instid1(VALU_DEP_2)
	v_pk_add_f32 v[146:147], v[146:147], v[18:19] neg_lo:[0,1] neg_hi:[0,1]
	v_pk_fma_f32 v[18:19], v[30:31], v[10:11], v[14:15] op_sel:[0,0,1] op_sel_hi:[1,1,0] neg_lo:[0,0,1] neg_hi:[0,0,1]
	v_pk_fma_f32 v[14:15], v[30:31], v[10:11], v[14:15] op_sel:[0,0,1] op_sel_hi:[1,0,0]
	ds_load_2addr_b64 v[28:31], v118 offset0:34 offset1:35
	v_mov_b32_e32 v19, v15
	s_delay_alu instid0(VALU_DEP_1) | instskip(SKIP_2) | instid1(VALU_DEP_1)
	v_pk_add_f32 v[142:143], v[142:143], v[18:19] neg_lo:[0,1] neg_hi:[0,1]
	s_wait_dscnt 0x0
	v_pk_mul_f32 v[14:15], v[28:29], v[12:13] op_sel:[0,1]
	v_pk_fma_f32 v[18:19], v[28:29], v[10:11], v[14:15] op_sel:[0,0,1] op_sel_hi:[1,1,0] neg_lo:[0,0,1] neg_hi:[0,0,1]
	v_pk_fma_f32 v[14:15], v[28:29], v[10:11], v[14:15] op_sel:[0,0,1] op_sel_hi:[1,0,0]
	s_delay_alu instid0(VALU_DEP_1) | instskip(SKIP_1) | instid1(VALU_DEP_2)
	v_mov_b32_e32 v19, v15
	v_pk_mul_f32 v[14:15], v[30:31], v[12:13] op_sel:[0,1]
	v_pk_add_f32 v[144:145], v[144:145], v[18:19] neg_lo:[0,1] neg_hi:[0,1]
	s_delay_alu instid0(VALU_DEP_2) | instskip(SKIP_3) | instid1(VALU_DEP_1)
	v_pk_fma_f32 v[18:19], v[30:31], v[10:11], v[14:15] op_sel:[0,0,1] op_sel_hi:[1,1,0] neg_lo:[0,0,1] neg_hi:[0,0,1]
	v_pk_fma_f32 v[14:15], v[30:31], v[10:11], v[14:15] op_sel:[0,0,1] op_sel_hi:[1,0,0]
	ds_load_2addr_b64 v[28:31], v118 offset0:36 offset1:37
	v_mov_b32_e32 v19, v15
	v_pk_add_f32 v[140:141], v[140:141], v[18:19] neg_lo:[0,1] neg_hi:[0,1]
	s_wait_dscnt 0x0
	v_dual_mul_f32 v18, v29, v10 :: v_dual_mul_f32 v14, v29, v13
	s_delay_alu instid0(VALU_DEP_1) | instskip(NEXT) | instid1(VALU_DEP_2)
	v_pk_fma_f32 v[18:19], v[28:29], v[106:107], v[18:19] op_sel:[1,0,0] op_sel_hi:[0,1,0]
	v_pk_fma_f32 v[14:15], v[28:29], v[106:107], v[14:15] op_sel_hi:[1,1,0] neg_lo:[0,0,1] neg_hi:[0,0,1]
	s_delay_alu instid0(VALU_DEP_2) | instskip(NEXT) | instid1(VALU_DEP_1)
	v_mov_b32_e32 v15, v19
	v_pk_add_f32 v[162:163], v[162:163], v[14:15] neg_lo:[0,1] neg_hi:[0,1]
	v_pk_mul_f32 v[14:15], v[30:31], v[12:13] op_sel:[0,1]
	s_delay_alu instid0(VALU_DEP_1) | instskip(SKIP_3) | instid1(VALU_DEP_1)
	v_pk_fma_f32 v[18:19], v[30:31], v[10:11], v[14:15] op_sel:[0,0,1] op_sel_hi:[1,1,0] neg_lo:[0,0,1] neg_hi:[0,0,1]
	v_pk_fma_f32 v[14:15], v[30:31], v[10:11], v[14:15] op_sel:[0,0,1] op_sel_hi:[1,0,0]
	ds_load_2addr_b64 v[28:31], v118 offset0:38 offset1:39
	v_mov_b32_e32 v19, v15
	v_pk_add_f32 v[158:159], v[158:159], v[18:19] neg_lo:[0,1] neg_hi:[0,1]
	s_wait_dscnt 0x0
	v_pk_mul_f32 v[14:15], v[28:29], v[12:13] op_sel:[0,1]
	s_delay_alu instid0(VALU_DEP_1) | instskip(SKIP_1) | instid1(VALU_DEP_1)
	v_pk_fma_f32 v[18:19], v[28:29], v[10:11], v[14:15] op_sel:[0,0,1] op_sel_hi:[1,1,0] neg_lo:[0,0,1] neg_hi:[0,0,1]
	v_pk_fma_f32 v[14:15], v[28:29], v[10:11], v[14:15] op_sel:[0,0,1] op_sel_hi:[1,0,0]
	v_mov_b32_e32 v19, v15
	v_pk_mul_f32 v[14:15], v[30:31], v[12:13] op_sel:[0,1]
	s_delay_alu instid0(VALU_DEP_2) | instskip(NEXT) | instid1(VALU_DEP_2)
	v_pk_add_f32 v[160:161], v[160:161], v[18:19] neg_lo:[0,1] neg_hi:[0,1]
	v_pk_fma_f32 v[18:19], v[30:31], v[10:11], v[14:15] op_sel:[0,0,1] op_sel_hi:[1,1,0] neg_lo:[0,0,1] neg_hi:[0,0,1]
	v_pk_fma_f32 v[14:15], v[30:31], v[10:11], v[14:15] op_sel:[0,0,1] op_sel_hi:[1,0,0]
	ds_load_2addr_b64 v[28:31], v118 offset0:40 offset1:41
	v_mov_b32_e32 v19, v15
	s_delay_alu instid0(VALU_DEP_1) | instskip(SKIP_2) | instid1(VALU_DEP_1)
	v_pk_add_f32 v[156:157], v[156:157], v[18:19] neg_lo:[0,1] neg_hi:[0,1]
	s_wait_dscnt 0x0
	v_pk_mul_f32 v[14:15], v[28:29], v[12:13] op_sel:[0,1]
	v_pk_fma_f32 v[18:19], v[28:29], v[10:11], v[14:15] op_sel:[0,0,1] op_sel_hi:[1,1,0] neg_lo:[0,0,1] neg_hi:[0,0,1]
	v_pk_fma_f32 v[14:15], v[28:29], v[10:11], v[14:15] op_sel:[0,0,1] op_sel_hi:[1,0,0]
	v_dual_mov_b32 v14, v31 :: v_dual_mul_f32 v28, v31, v10
	s_delay_alu instid0(VALU_DEP_2) | instskip(NEXT) | instid1(VALU_DEP_1)
	v_dual_mov_b32 v19, v15 :: v_dual_mov_b32 v15, v30
	v_pk_add_f32 v[182:183], v[182:183], v[18:19] neg_lo:[0,1] neg_hi:[0,1]
	v_mul_f32_e32 v18, v31, v13
	s_delay_alu instid0(VALU_DEP_3) | instskip(NEXT) | instid1(VALU_DEP_2)
	v_pk_fma_f32 v[14:15], v[14:15], v[106:107], v[28:29] op_sel_hi:[1,1,0]
	v_pk_fma_f32 v[18:19], v[30:31], v[106:107], v[18:19] op_sel_hi:[1,1,0] neg_lo:[0,0,1] neg_hi:[0,0,1]
	ds_load_2addr_b64 v[28:31], v118 offset0:42 offset1:43
	v_mov_b32_e32 v19, v15
	s_delay_alu instid0(VALU_DEP_1) | instskip(SKIP_2) | instid1(VALU_DEP_1)
	v_pk_add_f32 v[178:179], v[178:179], v[18:19] neg_lo:[0,1] neg_hi:[0,1]
	s_wait_dscnt 0x0
	v_pk_mul_f32 v[14:15], v[28:29], v[12:13] op_sel:[0,1]
	v_pk_fma_f32 v[18:19], v[28:29], v[10:11], v[14:15] op_sel:[0,0,1] op_sel_hi:[1,1,0] neg_lo:[0,0,1] neg_hi:[0,0,1]
	v_pk_fma_f32 v[14:15], v[28:29], v[10:11], v[14:15] op_sel:[0,0,1] op_sel_hi:[1,0,0]
	s_delay_alu instid0(VALU_DEP_1) | instskip(SKIP_1) | instid1(VALU_DEP_2)
	v_mov_b32_e32 v19, v15
	v_pk_mul_f32 v[14:15], v[30:31], v[12:13] op_sel:[0,1]
	v_pk_add_f32 v[180:181], v[180:181], v[18:19] neg_lo:[0,1] neg_hi:[0,1]
	s_delay_alu instid0(VALU_DEP_2) | instskip(SKIP_3) | instid1(VALU_DEP_1)
	v_pk_fma_f32 v[18:19], v[30:31], v[10:11], v[14:15] op_sel:[0,0,1] op_sel_hi:[1,1,0] neg_lo:[0,0,1] neg_hi:[0,0,1]
	v_pk_fma_f32 v[14:15], v[30:31], v[10:11], v[14:15] op_sel:[0,0,1] op_sel_hi:[1,0,0]
	ds_load_2addr_b64 v[28:31], v118 offset0:44 offset1:45
	v_mov_b32_e32 v19, v15
	v_pk_add_f32 v[176:177], v[176:177], v[18:19] neg_lo:[0,1] neg_hi:[0,1]
	s_wait_dscnt 0x0
	v_pk_mul_f32 v[14:15], v[28:29], v[12:13] op_sel:[0,1]
	s_delay_alu instid0(VALU_DEP_1) | instskip(SKIP_1) | instid1(VALU_DEP_1)
	v_pk_fma_f32 v[18:19], v[28:29], v[10:11], v[14:15] op_sel:[0,0,1] op_sel_hi:[1,1,0] neg_lo:[0,0,1] neg_hi:[0,0,1]
	v_pk_fma_f32 v[14:15], v[28:29], v[10:11], v[14:15] op_sel:[0,0,1] op_sel_hi:[1,0,0]
	v_mov_b32_e32 v19, v15
	v_pk_mul_f32 v[14:15], v[30:31], v[12:13] op_sel:[0,1]
	s_delay_alu instid0(VALU_DEP_2) | instskip(NEXT) | instid1(VALU_DEP_2)
	v_pk_add_f32 v[204:205], v[204:205], v[18:19] neg_lo:[0,1] neg_hi:[0,1]
	v_pk_fma_f32 v[18:19], v[30:31], v[10:11], v[14:15] op_sel:[0,0,1] op_sel_hi:[1,1,0] neg_lo:[0,0,1] neg_hi:[0,0,1]
	v_pk_fma_f32 v[14:15], v[30:31], v[10:11], v[14:15] op_sel:[0,0,1] op_sel_hi:[1,0,0]
	ds_load_2addr_b64 v[28:31], v118 offset0:46 offset1:47
	v_mov_b32_e32 v19, v15
	s_delay_alu instid0(VALU_DEP_1) | instskip(SKIP_2) | instid1(VALU_DEP_1)
	v_pk_add_f32 v[198:199], v[198:199], v[18:19] neg_lo:[0,1] neg_hi:[0,1]
	s_wait_dscnt 0x0
	v_dual_mul_f32 v18, v29, v10 :: v_dual_mul_f32 v14, v29, v13
	v_pk_fma_f32 v[18:19], v[28:29], v[106:107], v[18:19] op_sel:[1,0,0] op_sel_hi:[0,1,0]
	s_delay_alu instid0(VALU_DEP_2) | instskip(NEXT) | instid1(VALU_DEP_2)
	v_pk_fma_f32 v[14:15], v[28:29], v[106:107], v[14:15] op_sel_hi:[1,1,0] neg_lo:[0,0,1] neg_hi:[0,0,1]
	v_mov_b32_e32 v15, v19
	s_delay_alu instid0(VALU_DEP_1) | instskip(SKIP_1) | instid1(VALU_DEP_1)
	v_pk_add_f32 v[202:203], v[202:203], v[14:15] neg_lo:[0,1] neg_hi:[0,1]
	v_pk_mul_f32 v[14:15], v[30:31], v[12:13] op_sel:[0,1]
	v_pk_fma_f32 v[18:19], v[30:31], v[10:11], v[14:15] op_sel:[0,0,1] op_sel_hi:[1,1,0] neg_lo:[0,0,1] neg_hi:[0,0,1]
	v_pk_fma_f32 v[14:15], v[30:31], v[10:11], v[14:15] op_sel:[0,0,1] op_sel_hi:[1,0,0]
	ds_load_2addr_b64 v[28:31], v118 offset0:48 offset1:49
	v_mov_b32_e32 v19, v15
	s_delay_alu instid0(VALU_DEP_1) | instskip(SKIP_2) | instid1(VALU_DEP_1)
	v_pk_add_f32 v[196:197], v[196:197], v[18:19] neg_lo:[0,1] neg_hi:[0,1]
	s_wait_dscnt 0x0
	v_pk_mul_f32 v[14:15], v[28:29], v[12:13] op_sel:[0,1]
	v_pk_fma_f32 v[18:19], v[28:29], v[10:11], v[14:15] op_sel:[0,0,1] op_sel_hi:[1,1,0] neg_lo:[0,0,1] neg_hi:[0,0,1]
	v_pk_fma_f32 v[14:15], v[28:29], v[10:11], v[14:15] op_sel:[0,0,1] op_sel_hi:[1,0,0]
	s_delay_alu instid0(VALU_DEP_1) | instskip(SKIP_1) | instid1(VALU_DEP_2)
	v_mov_b32_e32 v19, v15
	v_pk_mul_f32 v[14:15], v[30:31], v[12:13] op_sel:[0,1]
	v_pk_add_f32 v[200:201], v[200:201], v[18:19] neg_lo:[0,1] neg_hi:[0,1]
	s_delay_alu instid0(VALU_DEP_2) | instskip(SKIP_3) | instid1(VALU_DEP_1)
	v_pk_fma_f32 v[18:19], v[30:31], v[10:11], v[14:15] op_sel:[0,0,1] op_sel_hi:[1,1,0] neg_lo:[0,0,1] neg_hi:[0,0,1]
	v_pk_fma_f32 v[14:15], v[30:31], v[10:11], v[14:15] op_sel:[0,0,1] op_sel_hi:[1,0,0]
	ds_load_2addr_b64 v[28:31], v118 offset0:50 offset1:51
	v_mov_b32_e32 v19, v15
	v_pk_add_f32 v[194:195], v[194:195], v[18:19] neg_lo:[0,1] neg_hi:[0,1]
	s_wait_dscnt 0x0
	v_pk_mul_f32 v[14:15], v[28:29], v[12:13] op_sel:[0,1]
	v_mul_f32_e32 v12, v31, v13
	s_delay_alu instid0(VALU_DEP_2) | instskip(SKIP_2) | instid1(VALU_DEP_4)
	v_pk_fma_f32 v[18:19], v[28:29], v[10:11], v[14:15] op_sel:[0,0,1] op_sel_hi:[1,1,0] neg_lo:[0,0,1] neg_hi:[0,0,1]
	v_pk_fma_f32 v[14:15], v[28:29], v[10:11], v[14:15] op_sel:[0,0,1] op_sel_hi:[1,0,0]
	v_dual_mov_b32 v14, v31 :: v_dual_mul_f32 v10, v31, v10
	v_pk_fma_f32 v[12:13], v[30:31], v[106:107], v[12:13] op_sel_hi:[1,1,0] neg_lo:[0,0,1] neg_hi:[0,0,1]
	s_delay_alu instid0(VALU_DEP_3) | instskip(NEXT) | instid1(VALU_DEP_1)
	v_dual_mov_b32 v19, v15 :: v_dual_mov_b32 v15, v30
	v_pk_add_f32 v[206:207], v[206:207], v[18:19] neg_lo:[0,1] neg_hi:[0,1]
	s_delay_alu instid0(VALU_DEP_2) | instskip(NEXT) | instid1(VALU_DEP_1)
	v_pk_fma_f32 v[10:11], v[14:15], v[106:107], v[10:11] op_sel_hi:[1,1,0]
	v_mov_b32_e32 v13, v11
	s_delay_alu instid0(VALU_DEP_1)
	v_pk_add_f32 v[208:209], v[208:209], v[12:13] neg_lo:[0,1] neg_hi:[0,1]
.LBB103_253:
	s_or_b32 exec_lo, exec_lo, s1
	s_delay_alu instid0(SALU_CYCLE_1)
	s_mov_b32 s2, exec_lo
	s_wait_dscnt 0x0
	s_barrier_signal -1
	s_barrier_wait -1
	v_cmpx_eq_u32_e32 28, v116
	s_cbranch_execz .LBB103_260
; %bb.254:
	ds_store_b64 v117, v[128:129]
	ds_store_2addr_b64 v118, v[124:125], v[126:127] offset0:29 offset1:30
	ds_store_2addr_b64 v118, v[122:123], v[146:147] offset0:31 offset1:32
	;; [unrolled: 1-line block ×11, first 2 shown]
	ds_store_b64 v118, v[208:209] offset:408
	ds_load_b64 v[10:11], v117
	s_wait_dscnt 0x0
	v_cmp_neq_f32_e32 vcc_lo, 0, v10
	v_cmp_neq_f32_e64 s1, 0, v11
	s_or_b32 s1, vcc_lo, s1
	s_delay_alu instid0(SALU_CYCLE_1)
	s_and_b32 exec_lo, exec_lo, s1
	s_cbranch_execz .LBB103_260
; %bb.255:
	v_cmp_ngt_f32_e64 s1, |v10|, |v11|
                                        ; implicit-def: $vgpr12_vgpr13
	s_and_saveexec_b32 s4, s1
	s_delay_alu instid0(SALU_CYCLE_1)
	s_xor_b32 s1, exec_lo, s4
	s_cbranch_execz .LBB103_257
; %bb.256:
	v_div_scale_f32 v12, null, v11, v11, v10
	v_div_scale_f32 v15, vcc_lo, v10, v11, v10
	s_delay_alu instid0(VALU_DEP_2) | instskip(SKIP_1) | instid1(TRANS32_DEP_1)
	v_rcp_f32_e32 v13, v12
	v_nop
	v_fma_f32 v14, -v12, v13, 1.0
	s_delay_alu instid0(VALU_DEP_1) | instskip(NEXT) | instid1(VALU_DEP_1)
	v_fmac_f32_e32 v13, v14, v13
	v_mul_f32_e32 v14, v15, v13
	s_delay_alu instid0(VALU_DEP_1) | instskip(NEXT) | instid1(VALU_DEP_1)
	v_fma_f32 v18, -v12, v14, v15
	v_fmac_f32_e32 v14, v18, v13
	s_delay_alu instid0(VALU_DEP_1) | instskip(NEXT) | instid1(VALU_DEP_1)
	v_fma_f32 v12, -v12, v14, v15
	v_div_fmas_f32 v12, v12, v13, v14
	s_delay_alu instid0(VALU_DEP_1) | instskip(NEXT) | instid1(VALU_DEP_1)
	v_div_fixup_f32 v12, v12, v11, v10
	v_fmac_f32_e32 v11, v10, v12
	s_delay_alu instid0(VALU_DEP_1) | instskip(SKIP_1) | instid1(VALU_DEP_2)
	v_div_scale_f32 v10, null, v11, v11, 1.0
	v_div_scale_f32 v15, vcc_lo, 1.0, v11, 1.0
	v_rcp_f32_e32 v13, v10
	v_nop
	s_delay_alu instid0(TRANS32_DEP_1) | instskip(NEXT) | instid1(VALU_DEP_1)
	v_fma_f32 v14, -v10, v13, 1.0
	v_fmac_f32_e32 v13, v14, v13
	s_delay_alu instid0(VALU_DEP_1) | instskip(NEXT) | instid1(VALU_DEP_1)
	v_mul_f32_e32 v14, v15, v13
	v_fma_f32 v18, -v10, v14, v15
	s_delay_alu instid0(VALU_DEP_1) | instskip(NEXT) | instid1(VALU_DEP_1)
	v_fmac_f32_e32 v14, v18, v13
	v_fma_f32 v10, -v10, v14, v15
	s_delay_alu instid0(VALU_DEP_1) | instskip(NEXT) | instid1(VALU_DEP_1)
	v_div_fmas_f32 v10, v10, v13, v14
	v_div_fixup_f32 v10, v10, v11, 1.0
	s_delay_alu instid0(VALU_DEP_1)
	v_mul_f32_e32 v12, v12, v10
	v_xor_b32_e32 v13, 0x80000000, v10
                                        ; implicit-def: $vgpr10_vgpr11
.LBB103_257:
	s_and_not1_saveexec_b32 s1, s1
	s_cbranch_execz .LBB103_259
; %bb.258:
	v_div_scale_f32 v12, null, v10, v10, v11
	v_div_scale_f32 v15, vcc_lo, v11, v10, v11
	s_delay_alu instid0(VALU_DEP_2) | instskip(SKIP_1) | instid1(TRANS32_DEP_1)
	v_rcp_f32_e32 v13, v12
	v_nop
	v_fma_f32 v14, -v12, v13, 1.0
	s_delay_alu instid0(VALU_DEP_1) | instskip(NEXT) | instid1(VALU_DEP_1)
	v_fmac_f32_e32 v13, v14, v13
	v_mul_f32_e32 v14, v15, v13
	s_delay_alu instid0(VALU_DEP_1) | instskip(NEXT) | instid1(VALU_DEP_1)
	v_fma_f32 v18, -v12, v14, v15
	v_fmac_f32_e32 v14, v18, v13
	s_delay_alu instid0(VALU_DEP_1) | instskip(NEXT) | instid1(VALU_DEP_1)
	v_fma_f32 v12, -v12, v14, v15
	v_div_fmas_f32 v12, v12, v13, v14
	s_delay_alu instid0(VALU_DEP_1) | instskip(NEXT) | instid1(VALU_DEP_1)
	v_div_fixup_f32 v13, v12, v10, v11
	v_fmac_f32_e32 v10, v11, v13
	s_delay_alu instid0(VALU_DEP_1) | instskip(NEXT) | instid1(VALU_DEP_1)
	v_div_scale_f32 v11, null, v10, v10, 1.0
	v_rcp_f32_e32 v12, v11
	v_nop
	s_delay_alu instid0(TRANS32_DEP_1) | instskip(NEXT) | instid1(VALU_DEP_1)
	v_fma_f32 v14, -v11, v12, 1.0
	v_fmac_f32_e32 v12, v14, v12
	v_div_scale_f32 v14, vcc_lo, 1.0, v10, 1.0
	s_delay_alu instid0(VALU_DEP_1) | instskip(NEXT) | instid1(VALU_DEP_1)
	v_mul_f32_e32 v15, v14, v12
	v_fma_f32 v18, -v11, v15, v14
	s_delay_alu instid0(VALU_DEP_1) | instskip(NEXT) | instid1(VALU_DEP_1)
	v_fmac_f32_e32 v15, v18, v12
	v_fma_f32 v11, -v11, v15, v14
	s_delay_alu instid0(VALU_DEP_1) | instskip(NEXT) | instid1(VALU_DEP_1)
	v_div_fmas_f32 v11, v11, v12, v15
	v_div_fixup_f32 v12, v11, v10, 1.0
	s_delay_alu instid0(VALU_DEP_1)
	v_mul_f32_e64 v13, v13, -v12
.LBB103_259:
	s_or_b32 exec_lo, exec_lo, s1
	ds_store_b64 v117, v[12:13]
.LBB103_260:
	s_or_b32 exec_lo, exec_lo, s2
	s_wait_dscnt 0x0
	s_barrier_signal -1
	s_barrier_wait -1
	ds_load_b64 v[10:11], v117
	s_mov_b32 s1, exec_lo
	v_cmpx_lt_u32_e32 28, v116
	s_cbranch_execz .LBB103_262
; %bb.261:
	ds_load_2addr_b64 v[28:31], v118 offset0:29 offset1:30
	s_wait_dscnt 0x1
	v_pk_mul_f32 v[14:15], v[10:11], v[128:129] op_sel:[1,1] op_sel_hi:[0,1]
	s_delay_alu instid0(VALU_DEP_1) | instskip(SKIP_1) | instid1(VALU_DEP_1)
	v_pk_fma_f32 v[12:13], v[10:11], v[128:129], v[14:15] op_sel_hi:[1,0,1] neg_lo:[0,0,1] neg_hi:[0,0,1]
	v_pk_fma_f32 v[14:15], v[10:11], v[128:129], v[14:15] op_sel_hi:[1,0,1]
	v_dual_mov_b32 v128, v12 :: v_dual_mov_b32 v129, v15
	s_wait_dscnt 0x0
	s_delay_alu instid0(VALU_DEP_2) | instskip(NEXT) | instid1(VALU_DEP_1)
	v_pk_mul_f32 v[18:19], v[28:29], v[14:15] op_sel:[0,1]
	v_pk_fma_f32 v[32:33], v[28:29], v[12:13], v[18:19] op_sel:[0,0,1] op_sel_hi:[1,1,0] neg_lo:[0,0,1] neg_hi:[0,0,1]
	v_pk_fma_f32 v[18:19], v[28:29], v[12:13], v[18:19] op_sel:[0,0,1] op_sel_hi:[1,0,0]
	s_delay_alu instid0(VALU_DEP_1) | instskip(SKIP_1) | instid1(VALU_DEP_1)
	v_mov_b32_e32 v33, v19
	v_pk_mul_f32 v[18:19], v[30:31], v[14:15] op_sel:[0,1]
	v_pk_fma_f32 v[28:29], v[30:31], v[12:13], v[18:19] op_sel:[0,0,1] op_sel_hi:[1,1,0] neg_lo:[0,0,1] neg_hi:[0,0,1]
	v_pk_fma_f32 v[18:19], v[30:31], v[12:13], v[18:19] op_sel:[0,0,1] op_sel_hi:[1,0,0]
	s_delay_alu instid0(VALU_DEP_1) | instskip(SKIP_1) | instid1(VALU_DEP_2)
	v_mov_b32_e32 v29, v19
	v_pk_add_f32 v[124:125], v[124:125], v[32:33] neg_lo:[0,1] neg_hi:[0,1]
	v_pk_add_f32 v[126:127], v[126:127], v[28:29] neg_lo:[0,1] neg_hi:[0,1]
	ds_load_2addr_b64 v[28:31], v118 offset0:31 offset1:32
	s_wait_dscnt 0x0
	v_pk_mul_f32 v[18:19], v[28:29], v[14:15] op_sel:[0,1]
	s_delay_alu instid0(VALU_DEP_1) | instskip(SKIP_2) | instid1(VALU_DEP_2)
	v_pk_fma_f32 v[32:33], v[28:29], v[12:13], v[18:19] op_sel:[0,0,1] op_sel_hi:[1,1,0] neg_lo:[0,0,1] neg_hi:[0,0,1]
	v_pk_fma_f32 v[18:19], v[28:29], v[12:13], v[18:19] op_sel:[0,0,1] op_sel_hi:[1,0,0]
	v_dual_mul_f32 v28, v31, v15 :: v_dual_mov_b32 v18, v31
	v_dual_mov_b32 v33, v19 :: v_dual_mov_b32 v19, v30
	s_delay_alu instid0(VALU_DEP_2) | instskip(SKIP_1) | instid1(VALU_DEP_3)
	v_pk_fma_f32 v[28:29], v[30:31], v[128:129], v[28:29] op_sel_hi:[1,1,0] neg_lo:[0,0,1] neg_hi:[0,0,1]
	v_mul_f32_e32 v30, v31, v12
	v_pk_add_f32 v[122:123], v[122:123], v[32:33] neg_lo:[0,1] neg_hi:[0,1]
	s_delay_alu instid0(VALU_DEP_2) | instskip(NEXT) | instid1(VALU_DEP_1)
	v_pk_fma_f32 v[18:19], v[18:19], v[128:129], v[30:31] op_sel_hi:[1,1,0]
	v_mov_b32_e32 v29, v19
	s_delay_alu instid0(VALU_DEP_1) | instskip(SKIP_3) | instid1(VALU_DEP_1)
	v_pk_add_f32 v[146:147], v[146:147], v[28:29] neg_lo:[0,1] neg_hi:[0,1]
	ds_load_2addr_b64 v[28:31], v118 offset0:33 offset1:34
	s_wait_dscnt 0x0
	v_pk_mul_f32 v[18:19], v[28:29], v[14:15] op_sel:[0,1]
	v_pk_fma_f32 v[32:33], v[28:29], v[12:13], v[18:19] op_sel:[0,0,1] op_sel_hi:[1,1,0] neg_lo:[0,0,1] neg_hi:[0,0,1]
	v_pk_fma_f32 v[18:19], v[28:29], v[12:13], v[18:19] op_sel:[0,0,1] op_sel_hi:[1,0,0]
	s_delay_alu instid0(VALU_DEP_1) | instskip(SKIP_1) | instid1(VALU_DEP_2)
	v_mov_b32_e32 v33, v19
	v_pk_mul_f32 v[18:19], v[30:31], v[14:15] op_sel:[0,1]
	v_pk_add_f32 v[142:143], v[142:143], v[32:33] neg_lo:[0,1] neg_hi:[0,1]
	s_delay_alu instid0(VALU_DEP_2) | instskip(SKIP_1) | instid1(VALU_DEP_1)
	v_pk_fma_f32 v[28:29], v[30:31], v[12:13], v[18:19] op_sel:[0,0,1] op_sel_hi:[1,1,0] neg_lo:[0,0,1] neg_hi:[0,0,1]
	v_pk_fma_f32 v[18:19], v[30:31], v[12:13], v[18:19] op_sel:[0,0,1] op_sel_hi:[1,0,0]
	v_mov_b32_e32 v29, v19
	s_delay_alu instid0(VALU_DEP_1) | instskip(SKIP_3) | instid1(VALU_DEP_1)
	v_pk_add_f32 v[144:145], v[144:145], v[28:29] neg_lo:[0,1] neg_hi:[0,1]
	ds_load_2addr_b64 v[28:31], v118 offset0:35 offset1:36
	s_wait_dscnt 0x0
	v_pk_mul_f32 v[18:19], v[28:29], v[14:15] op_sel:[0,1]
	v_pk_fma_f32 v[32:33], v[28:29], v[12:13], v[18:19] op_sel:[0,0,1] op_sel_hi:[1,1,0] neg_lo:[0,0,1] neg_hi:[0,0,1]
	v_pk_fma_f32 v[18:19], v[28:29], v[12:13], v[18:19] op_sel:[0,0,1] op_sel_hi:[1,0,0]
	s_delay_alu instid0(VALU_DEP_1) | instskip(SKIP_1) | instid1(VALU_DEP_2)
	v_mov_b32_e32 v33, v19
	v_pk_mul_f32 v[18:19], v[30:31], v[14:15] op_sel:[0,1]
	v_pk_add_f32 v[140:141], v[140:141], v[32:33] neg_lo:[0,1] neg_hi:[0,1]
	s_delay_alu instid0(VALU_DEP_2) | instskip(SKIP_1) | instid1(VALU_DEP_1)
	v_pk_fma_f32 v[28:29], v[30:31], v[12:13], v[18:19] op_sel:[0,0,1] op_sel_hi:[1,1,0] neg_lo:[0,0,1] neg_hi:[0,0,1]
	v_pk_fma_f32 v[18:19], v[30:31], v[12:13], v[18:19] op_sel:[0,0,1] op_sel_hi:[1,0,0]
	v_mov_b32_e32 v29, v19
	s_delay_alu instid0(VALU_DEP_1) | instskip(SKIP_3) | instid1(VALU_DEP_1)
	v_pk_add_f32 v[162:163], v[162:163], v[28:29] neg_lo:[0,1] neg_hi:[0,1]
	ds_load_2addr_b64 v[28:31], v118 offset0:37 offset1:38
	s_wait_dscnt 0x0
	v_dual_mul_f32 v18, v29, v15 :: v_dual_mul_f32 v32, v29, v12
	v_pk_fma_f32 v[18:19], v[28:29], v[128:129], v[18:19] op_sel_hi:[1,1,0] neg_lo:[0,0,1] neg_hi:[0,0,1]
	s_delay_alu instid0(VALU_DEP_2) | instskip(NEXT) | instid1(VALU_DEP_1)
	v_pk_fma_f32 v[28:29], v[28:29], v[128:129], v[32:33] op_sel:[1,0,0] op_sel_hi:[0,1,0]
	v_mov_b32_e32 v19, v29
	s_delay_alu instid0(VALU_DEP_1) | instskip(SKIP_1) | instid1(VALU_DEP_1)
	v_pk_add_f32 v[158:159], v[158:159], v[18:19] neg_lo:[0,1] neg_hi:[0,1]
	v_pk_mul_f32 v[18:19], v[30:31], v[14:15] op_sel:[0,1]
	v_pk_fma_f32 v[28:29], v[30:31], v[12:13], v[18:19] op_sel:[0,0,1] op_sel_hi:[1,1,0] neg_lo:[0,0,1] neg_hi:[0,0,1]
	v_pk_fma_f32 v[18:19], v[30:31], v[12:13], v[18:19] op_sel:[0,0,1] op_sel_hi:[1,0,0]
	s_delay_alu instid0(VALU_DEP_1) | instskip(NEXT) | instid1(VALU_DEP_1)
	v_mov_b32_e32 v29, v19
	v_pk_add_f32 v[160:161], v[160:161], v[28:29] neg_lo:[0,1] neg_hi:[0,1]
	ds_load_2addr_b64 v[28:31], v118 offset0:39 offset1:40
	s_wait_dscnt 0x0
	v_pk_mul_f32 v[18:19], v[28:29], v[14:15] op_sel:[0,1]
	s_delay_alu instid0(VALU_DEP_1) | instskip(SKIP_1) | instid1(VALU_DEP_1)
	v_pk_fma_f32 v[32:33], v[28:29], v[12:13], v[18:19] op_sel:[0,0,1] op_sel_hi:[1,1,0] neg_lo:[0,0,1] neg_hi:[0,0,1]
	v_pk_fma_f32 v[18:19], v[28:29], v[12:13], v[18:19] op_sel:[0,0,1] op_sel_hi:[1,0,0]
	v_mov_b32_e32 v33, v19
	v_pk_mul_f32 v[18:19], v[30:31], v[14:15] op_sel:[0,1]
	s_delay_alu instid0(VALU_DEP_2) | instskip(NEXT) | instid1(VALU_DEP_2)
	v_pk_add_f32 v[156:157], v[156:157], v[32:33] neg_lo:[0,1] neg_hi:[0,1]
	v_pk_fma_f32 v[28:29], v[30:31], v[12:13], v[18:19] op_sel:[0,0,1] op_sel_hi:[1,1,0] neg_lo:[0,0,1] neg_hi:[0,0,1]
	v_pk_fma_f32 v[18:19], v[30:31], v[12:13], v[18:19] op_sel:[0,0,1] op_sel_hi:[1,0,0]
	s_delay_alu instid0(VALU_DEP_1) | instskip(NEXT) | instid1(VALU_DEP_1)
	v_mov_b32_e32 v29, v19
	v_pk_add_f32 v[182:183], v[182:183], v[28:29] neg_lo:[0,1] neg_hi:[0,1]
	ds_load_2addr_b64 v[28:31], v118 offset0:41 offset1:42
	s_wait_dscnt 0x0
	v_pk_mul_f32 v[18:19], v[28:29], v[14:15] op_sel:[0,1]
	s_delay_alu instid0(VALU_DEP_1) | instskip(SKIP_2) | instid1(VALU_DEP_2)
	v_pk_fma_f32 v[32:33], v[28:29], v[12:13], v[18:19] op_sel:[0,0,1] op_sel_hi:[1,1,0] neg_lo:[0,0,1] neg_hi:[0,0,1]
	v_pk_fma_f32 v[18:19], v[28:29], v[12:13], v[18:19] op_sel:[0,0,1] op_sel_hi:[1,0,0]
	v_dual_mul_f32 v28, v31, v15 :: v_dual_mov_b32 v18, v31
	v_dual_mov_b32 v33, v19 :: v_dual_mov_b32 v19, v30
	s_delay_alu instid0(VALU_DEP_2) | instskip(SKIP_1) | instid1(VALU_DEP_3)
	v_pk_fma_f32 v[28:29], v[30:31], v[128:129], v[28:29] op_sel_hi:[1,1,0] neg_lo:[0,0,1] neg_hi:[0,0,1]
	v_mul_f32_e32 v30, v31, v12
	v_pk_add_f32 v[178:179], v[178:179], v[32:33] neg_lo:[0,1] neg_hi:[0,1]
	s_delay_alu instid0(VALU_DEP_2) | instskip(NEXT) | instid1(VALU_DEP_1)
	v_pk_fma_f32 v[18:19], v[18:19], v[128:129], v[30:31] op_sel_hi:[1,1,0]
	v_mov_b32_e32 v29, v19
	s_delay_alu instid0(VALU_DEP_1) | instskip(SKIP_3) | instid1(VALU_DEP_1)
	v_pk_add_f32 v[180:181], v[180:181], v[28:29] neg_lo:[0,1] neg_hi:[0,1]
	ds_load_2addr_b64 v[28:31], v118 offset0:43 offset1:44
	s_wait_dscnt 0x0
	v_pk_mul_f32 v[18:19], v[28:29], v[14:15] op_sel:[0,1]
	v_pk_fma_f32 v[32:33], v[28:29], v[12:13], v[18:19] op_sel:[0,0,1] op_sel_hi:[1,1,0] neg_lo:[0,0,1] neg_hi:[0,0,1]
	v_pk_fma_f32 v[18:19], v[28:29], v[12:13], v[18:19] op_sel:[0,0,1] op_sel_hi:[1,0,0]
	s_delay_alu instid0(VALU_DEP_1) | instskip(SKIP_1) | instid1(VALU_DEP_2)
	v_mov_b32_e32 v33, v19
	v_pk_mul_f32 v[18:19], v[30:31], v[14:15] op_sel:[0,1]
	v_pk_add_f32 v[176:177], v[176:177], v[32:33] neg_lo:[0,1] neg_hi:[0,1]
	s_delay_alu instid0(VALU_DEP_2) | instskip(SKIP_1) | instid1(VALU_DEP_1)
	v_pk_fma_f32 v[28:29], v[30:31], v[12:13], v[18:19] op_sel:[0,0,1] op_sel_hi:[1,1,0] neg_lo:[0,0,1] neg_hi:[0,0,1]
	v_pk_fma_f32 v[18:19], v[30:31], v[12:13], v[18:19] op_sel:[0,0,1] op_sel_hi:[1,0,0]
	v_mov_b32_e32 v29, v19
	s_delay_alu instid0(VALU_DEP_1) | instskip(SKIP_3) | instid1(VALU_DEP_1)
	v_pk_add_f32 v[204:205], v[204:205], v[28:29] neg_lo:[0,1] neg_hi:[0,1]
	ds_load_2addr_b64 v[28:31], v118 offset0:45 offset1:46
	s_wait_dscnt 0x0
	v_pk_mul_f32 v[18:19], v[28:29], v[14:15] op_sel:[0,1]
	v_pk_fma_f32 v[32:33], v[28:29], v[12:13], v[18:19] op_sel:[0,0,1] op_sel_hi:[1,1,0] neg_lo:[0,0,1] neg_hi:[0,0,1]
	v_pk_fma_f32 v[18:19], v[28:29], v[12:13], v[18:19] op_sel:[0,0,1] op_sel_hi:[1,0,0]
	s_delay_alu instid0(VALU_DEP_1) | instskip(SKIP_1) | instid1(VALU_DEP_2)
	v_mov_b32_e32 v33, v19
	v_pk_mul_f32 v[18:19], v[30:31], v[14:15] op_sel:[0,1]
	v_pk_add_f32 v[198:199], v[198:199], v[32:33] neg_lo:[0,1] neg_hi:[0,1]
	s_delay_alu instid0(VALU_DEP_2) | instskip(SKIP_1) | instid1(VALU_DEP_1)
	v_pk_fma_f32 v[28:29], v[30:31], v[12:13], v[18:19] op_sel:[0,0,1] op_sel_hi:[1,1,0] neg_lo:[0,0,1] neg_hi:[0,0,1]
	v_pk_fma_f32 v[18:19], v[30:31], v[12:13], v[18:19] op_sel:[0,0,1] op_sel_hi:[1,0,0]
	v_mov_b32_e32 v29, v19
	s_delay_alu instid0(VALU_DEP_1) | instskip(SKIP_3) | instid1(VALU_DEP_1)
	v_pk_add_f32 v[202:203], v[202:203], v[28:29] neg_lo:[0,1] neg_hi:[0,1]
	ds_load_2addr_b64 v[28:31], v118 offset0:47 offset1:48
	s_wait_dscnt 0x0
	v_dual_mul_f32 v18, v29, v15 :: v_dual_mul_f32 v32, v29, v12
	v_pk_fma_f32 v[18:19], v[28:29], v[128:129], v[18:19] op_sel_hi:[1,1,0] neg_lo:[0,0,1] neg_hi:[0,0,1]
	s_delay_alu instid0(VALU_DEP_2) | instskip(NEXT) | instid1(VALU_DEP_1)
	v_pk_fma_f32 v[28:29], v[28:29], v[128:129], v[32:33] op_sel:[1,0,0] op_sel_hi:[0,1,0]
	v_mov_b32_e32 v19, v29
	s_delay_alu instid0(VALU_DEP_1) | instskip(SKIP_1) | instid1(VALU_DEP_1)
	v_pk_add_f32 v[196:197], v[196:197], v[18:19] neg_lo:[0,1] neg_hi:[0,1]
	v_pk_mul_f32 v[18:19], v[30:31], v[14:15] op_sel:[0,1]
	v_pk_fma_f32 v[28:29], v[30:31], v[12:13], v[18:19] op_sel:[0,0,1] op_sel_hi:[1,1,0] neg_lo:[0,0,1] neg_hi:[0,0,1]
	v_pk_fma_f32 v[18:19], v[30:31], v[12:13], v[18:19] op_sel:[0,0,1] op_sel_hi:[1,0,0]
	s_delay_alu instid0(VALU_DEP_1) | instskip(NEXT) | instid1(VALU_DEP_1)
	v_mov_b32_e32 v29, v19
	v_pk_add_f32 v[200:201], v[200:201], v[28:29] neg_lo:[0,1] neg_hi:[0,1]
	ds_load_2addr_b64 v[28:31], v118 offset0:49 offset1:50
	s_wait_dscnt 0x0
	v_pk_mul_f32 v[18:19], v[28:29], v[14:15] op_sel:[0,1]
	s_delay_alu instid0(VALU_DEP_1) | instskip(SKIP_1) | instid1(VALU_DEP_1)
	v_pk_fma_f32 v[32:33], v[28:29], v[12:13], v[18:19] op_sel:[0,0,1] op_sel_hi:[1,1,0] neg_lo:[0,0,1] neg_hi:[0,0,1]
	v_pk_fma_f32 v[18:19], v[28:29], v[12:13], v[18:19] op_sel:[0,0,1] op_sel_hi:[1,0,0]
	v_mov_b32_e32 v33, v19
	v_pk_mul_f32 v[18:19], v[30:31], v[14:15] op_sel:[0,1]
	s_delay_alu instid0(VALU_DEP_2) | instskip(NEXT) | instid1(VALU_DEP_2)
	v_pk_add_f32 v[194:195], v[194:195], v[32:33] neg_lo:[0,1] neg_hi:[0,1]
	v_pk_fma_f32 v[28:29], v[30:31], v[12:13], v[18:19] op_sel:[0,0,1] op_sel_hi:[1,1,0] neg_lo:[0,0,1] neg_hi:[0,0,1]
	v_pk_fma_f32 v[18:19], v[30:31], v[12:13], v[18:19] op_sel:[0,0,1] op_sel_hi:[1,0,0]
	s_delay_alu instid0(VALU_DEP_1) | instskip(SKIP_4) | instid1(VALU_DEP_1)
	v_mov_b32_e32 v29, v19
	ds_load_b64 v[18:19], v118 offset:408
	v_pk_add_f32 v[206:207], v[206:207], v[28:29] neg_lo:[0,1] neg_hi:[0,1]
	s_wait_dscnt 0x0
	v_pk_mul_f32 v[14:15], v[18:19], v[14:15] op_sel:[0,1]
	v_pk_fma_f32 v[28:29], v[18:19], v[12:13], v[14:15] op_sel:[0,0,1] op_sel_hi:[1,1,0] neg_lo:[0,0,1] neg_hi:[0,0,1]
	v_pk_fma_f32 v[12:13], v[18:19], v[12:13], v[14:15] op_sel:[0,0,1] op_sel_hi:[1,0,0]
	s_delay_alu instid0(VALU_DEP_1) | instskip(NEXT) | instid1(VALU_DEP_1)
	v_mov_b32_e32 v29, v13
	v_pk_add_f32 v[208:209], v[208:209], v[28:29] neg_lo:[0,1] neg_hi:[0,1]
.LBB103_262:
	s_or_b32 exec_lo, exec_lo, s1
	s_delay_alu instid0(SALU_CYCLE_1)
	s_mov_b32 s2, exec_lo
	s_wait_dscnt 0x0
	s_barrier_signal -1
	s_barrier_wait -1
	v_cmpx_eq_u32_e32 29, v116
	s_cbranch_execz .LBB103_269
; %bb.263:
	v_dual_mov_b32 v12, v126 :: v_dual_mov_b32 v13, v127
	v_dual_mov_b32 v14, v122 :: v_dual_mov_b32 v15, v123
	ds_store_b64 v117, v[124:125]
	ds_store_2addr_b64 v118, v[12:13], v[14:15] offset0:30 offset1:31
	v_dual_mov_b32 v12, v146 :: v_dual_mov_b32 v13, v147
	v_dual_mov_b32 v14, v142 :: v_dual_mov_b32 v15, v143
	ds_store_2addr_b64 v118, v[12:13], v[14:15] offset0:32 offset1:33
	v_dual_mov_b32 v12, v144 :: v_dual_mov_b32 v13, v145
	v_dual_mov_b32 v14, v140 :: v_dual_mov_b32 v15, v141
	;; [unrolled: 3-line block ×9, first 2 shown]
	ds_store_2addr_b64 v118, v[12:13], v[14:15] offset0:48 offset1:49
	v_dual_mov_b32 v12, v206 :: v_dual_mov_b32 v13, v207
	ds_store_2addr_b64 v118, v[12:13], v[208:209] offset0:50 offset1:51
	ds_load_b64 v[12:13], v117
	s_wait_dscnt 0x0
	v_cmp_neq_f32_e32 vcc_lo, 0, v12
	v_cmp_neq_f32_e64 s1, 0, v13
	s_or_b32 s1, vcc_lo, s1
	s_delay_alu instid0(SALU_CYCLE_1)
	s_and_b32 exec_lo, exec_lo, s1
	s_cbranch_execz .LBB103_269
; %bb.264:
	v_cmp_ngt_f32_e64 s1, |v12|, |v13|
                                        ; implicit-def: $vgpr14_vgpr15
	s_and_saveexec_b32 s4, s1
	s_delay_alu instid0(SALU_CYCLE_1)
	s_xor_b32 s1, exec_lo, s4
	s_cbranch_execz .LBB103_266
; %bb.265:
	v_div_scale_f32 v14, null, v13, v13, v12
	v_div_scale_f32 v19, vcc_lo, v12, v13, v12
	s_delay_alu instid0(VALU_DEP_2) | instskip(SKIP_1) | instid1(TRANS32_DEP_1)
	v_rcp_f32_e32 v15, v14
	v_nop
	v_fma_f32 v18, -v14, v15, 1.0
	s_delay_alu instid0(VALU_DEP_1) | instskip(NEXT) | instid1(VALU_DEP_1)
	v_fmac_f32_e32 v15, v18, v15
	v_mul_f32_e32 v18, v19, v15
	s_delay_alu instid0(VALU_DEP_1) | instskip(NEXT) | instid1(VALU_DEP_1)
	v_fma_f32 v28, -v14, v18, v19
	v_fmac_f32_e32 v18, v28, v15
	s_delay_alu instid0(VALU_DEP_1) | instskip(NEXT) | instid1(VALU_DEP_1)
	v_fma_f32 v14, -v14, v18, v19
	v_div_fmas_f32 v14, v14, v15, v18
	s_delay_alu instid0(VALU_DEP_1) | instskip(NEXT) | instid1(VALU_DEP_1)
	v_div_fixup_f32 v14, v14, v13, v12
	v_fmac_f32_e32 v13, v12, v14
	s_delay_alu instid0(VALU_DEP_1) | instskip(SKIP_1) | instid1(VALU_DEP_2)
	v_div_scale_f32 v12, null, v13, v13, 1.0
	v_div_scale_f32 v19, vcc_lo, 1.0, v13, 1.0
	v_rcp_f32_e32 v15, v12
	v_nop
	s_delay_alu instid0(TRANS32_DEP_1) | instskip(NEXT) | instid1(VALU_DEP_1)
	v_fma_f32 v18, -v12, v15, 1.0
	v_fmac_f32_e32 v15, v18, v15
	s_delay_alu instid0(VALU_DEP_1) | instskip(NEXT) | instid1(VALU_DEP_1)
	v_mul_f32_e32 v18, v19, v15
	v_fma_f32 v28, -v12, v18, v19
	s_delay_alu instid0(VALU_DEP_1) | instskip(NEXT) | instid1(VALU_DEP_1)
	v_fmac_f32_e32 v18, v28, v15
	v_fma_f32 v12, -v12, v18, v19
	s_delay_alu instid0(VALU_DEP_1) | instskip(NEXT) | instid1(VALU_DEP_1)
	v_div_fmas_f32 v12, v12, v15, v18
	v_div_fixup_f32 v12, v12, v13, 1.0
	s_delay_alu instid0(VALU_DEP_1)
	v_mul_f32_e32 v14, v14, v12
	v_xor_b32_e32 v15, 0x80000000, v12
                                        ; implicit-def: $vgpr12_vgpr13
.LBB103_266:
	s_and_not1_saveexec_b32 s1, s1
	s_cbranch_execz .LBB103_268
; %bb.267:
	v_div_scale_f32 v14, null, v12, v12, v13
	v_div_scale_f32 v19, vcc_lo, v13, v12, v13
	s_delay_alu instid0(VALU_DEP_2) | instskip(SKIP_1) | instid1(TRANS32_DEP_1)
	v_rcp_f32_e32 v15, v14
	v_nop
	v_fma_f32 v18, -v14, v15, 1.0
	s_delay_alu instid0(VALU_DEP_1) | instskip(NEXT) | instid1(VALU_DEP_1)
	v_fmac_f32_e32 v15, v18, v15
	v_mul_f32_e32 v18, v19, v15
	s_delay_alu instid0(VALU_DEP_1) | instskip(NEXT) | instid1(VALU_DEP_1)
	v_fma_f32 v28, -v14, v18, v19
	v_fmac_f32_e32 v18, v28, v15
	s_delay_alu instid0(VALU_DEP_1) | instskip(NEXT) | instid1(VALU_DEP_1)
	v_fma_f32 v14, -v14, v18, v19
	v_div_fmas_f32 v14, v14, v15, v18
	s_delay_alu instid0(VALU_DEP_1) | instskip(NEXT) | instid1(VALU_DEP_1)
	v_div_fixup_f32 v15, v14, v12, v13
	v_fmac_f32_e32 v12, v13, v15
	s_delay_alu instid0(VALU_DEP_1) | instskip(NEXT) | instid1(VALU_DEP_1)
	v_div_scale_f32 v13, null, v12, v12, 1.0
	v_rcp_f32_e32 v14, v13
	v_nop
	s_delay_alu instid0(TRANS32_DEP_1) | instskip(NEXT) | instid1(VALU_DEP_1)
	v_fma_f32 v18, -v13, v14, 1.0
	v_fmac_f32_e32 v14, v18, v14
	v_div_scale_f32 v18, vcc_lo, 1.0, v12, 1.0
	s_delay_alu instid0(VALU_DEP_1) | instskip(NEXT) | instid1(VALU_DEP_1)
	v_mul_f32_e32 v19, v18, v14
	v_fma_f32 v28, -v13, v19, v18
	s_delay_alu instid0(VALU_DEP_1) | instskip(NEXT) | instid1(VALU_DEP_1)
	v_fmac_f32_e32 v19, v28, v14
	v_fma_f32 v13, -v13, v19, v18
	s_delay_alu instid0(VALU_DEP_1) | instskip(NEXT) | instid1(VALU_DEP_1)
	v_div_fmas_f32 v13, v13, v14, v19
	v_div_fixup_f32 v14, v13, v12, 1.0
	s_delay_alu instid0(VALU_DEP_1)
	v_mul_f32_e64 v15, v15, -v14
.LBB103_268:
	s_or_b32 exec_lo, exec_lo, s1
	ds_store_b64 v117, v[14:15]
.LBB103_269:
	s_or_b32 exec_lo, exec_lo, s2
	s_wait_dscnt 0x0
	s_barrier_signal -1
	s_barrier_wait -1
	ds_load_b64 v[12:13], v117
	s_mov_b32 s1, exec_lo
	v_cmpx_lt_u32_e32 29, v116
	s_cbranch_execz .LBB103_271
; %bb.270:
	ds_load_2addr_b64 v[28:31], v118 offset0:30 offset1:31
	s_wait_dscnt 0x1
	v_pk_mul_f32 v[18:19], v[12:13], v[124:125] op_sel:[1,1] op_sel_hi:[0,1]
	s_delay_alu instid0(VALU_DEP_1) | instskip(SKIP_1) | instid1(VALU_DEP_1)
	v_pk_fma_f32 v[14:15], v[12:13], v[124:125], v[18:19] op_sel_hi:[1,0,1] neg_lo:[0,0,1] neg_hi:[0,0,1]
	v_pk_fma_f32 v[18:19], v[12:13], v[124:125], v[18:19] op_sel_hi:[1,0,1]
	v_dual_mov_b32 v124, v14 :: v_dual_mov_b32 v125, v19
	s_wait_dscnt 0x0
	s_delay_alu instid0(VALU_DEP_2) | instskip(NEXT) | instid1(VALU_DEP_1)
	v_pk_mul_f32 v[32:33], v[28:29], v[18:19] op_sel:[0,1]
	v_pk_fma_f32 v[42:43], v[28:29], v[14:15], v[32:33] op_sel:[0,0,1] op_sel_hi:[1,1,0] neg_lo:[0,0,1] neg_hi:[0,0,1]
	v_pk_fma_f32 v[28:29], v[28:29], v[14:15], v[32:33] op_sel:[0,0,1] op_sel_hi:[1,0,0]
	s_delay_alu instid0(VALU_DEP_1) | instskip(SKIP_1) | instid1(VALU_DEP_1)
	v_mov_b32_e32 v43, v29
	v_pk_mul_f32 v[28:29], v[30:31], v[18:19] op_sel:[0,1]
	v_pk_fma_f32 v[32:33], v[30:31], v[14:15], v[28:29] op_sel:[0,0,1] op_sel_hi:[1,1,0] neg_lo:[0,0,1] neg_hi:[0,0,1]
	v_pk_fma_f32 v[28:29], v[30:31], v[14:15], v[28:29] op_sel:[0,0,1] op_sel_hi:[1,0,0]
	s_delay_alu instid0(VALU_DEP_1)
	v_mov_b32_e32 v33, v29
	ds_load_2addr_b64 v[28:31], v118 offset0:32 offset1:33
	v_pk_add_f32 v[126:127], v[126:127], v[42:43] neg_lo:[0,1] neg_hi:[0,1]
	v_pk_add_f32 v[122:123], v[122:123], v[32:33] neg_lo:[0,1] neg_hi:[0,1]
	s_wait_dscnt 0x0
	v_pk_mul_f32 v[32:33], v[28:29], v[18:19] op_sel:[0,1]
	s_delay_alu instid0(VALU_DEP_1) | instskip(SKIP_2) | instid1(VALU_DEP_2)
	v_pk_fma_f32 v[42:43], v[28:29], v[14:15], v[32:33] op_sel:[0,0,1] op_sel_hi:[1,1,0] neg_lo:[0,0,1] neg_hi:[0,0,1]
	v_pk_fma_f32 v[28:29], v[28:29], v[14:15], v[32:33] op_sel:[0,0,1] op_sel_hi:[1,0,0]
	v_dual_mul_f32 v32, v31, v19 :: v_dual_mov_b32 v28, v31
	v_dual_mov_b32 v43, v29 :: v_dual_mov_b32 v29, v30
	s_delay_alu instid0(VALU_DEP_2) | instskip(SKIP_1) | instid1(VALU_DEP_3)
	v_pk_fma_f32 v[32:33], v[30:31], v[124:125], v[32:33] op_sel_hi:[1,1,0] neg_lo:[0,0,1] neg_hi:[0,0,1]
	v_mul_f32_e32 v30, v31, v14
	v_pk_add_f32 v[146:147], v[146:147], v[42:43] neg_lo:[0,1] neg_hi:[0,1]
	s_delay_alu instid0(VALU_DEP_2) | instskip(NEXT) | instid1(VALU_DEP_1)
	v_pk_fma_f32 v[28:29], v[28:29], v[124:125], v[30:31] op_sel_hi:[1,1,0]
	v_mov_b32_e32 v33, v29
	ds_load_2addr_b64 v[28:31], v118 offset0:34 offset1:35
	v_pk_add_f32 v[142:143], v[142:143], v[32:33] neg_lo:[0,1] neg_hi:[0,1]
	s_wait_dscnt 0x0
	v_pk_mul_f32 v[32:33], v[28:29], v[18:19] op_sel:[0,1]
	s_delay_alu instid0(VALU_DEP_1) | instskip(SKIP_1) | instid1(VALU_DEP_1)
	v_pk_fma_f32 v[42:43], v[28:29], v[14:15], v[32:33] op_sel:[0,0,1] op_sel_hi:[1,1,0] neg_lo:[0,0,1] neg_hi:[0,0,1]
	v_pk_fma_f32 v[28:29], v[28:29], v[14:15], v[32:33] op_sel:[0,0,1] op_sel_hi:[1,0,0]
	v_mov_b32_e32 v43, v29
	v_pk_mul_f32 v[28:29], v[30:31], v[18:19] op_sel:[0,1]
	s_delay_alu instid0(VALU_DEP_1) | instskip(SKIP_1) | instid1(VALU_DEP_1)
	v_pk_fma_f32 v[32:33], v[30:31], v[14:15], v[28:29] op_sel:[0,0,1] op_sel_hi:[1,1,0] neg_lo:[0,0,1] neg_hi:[0,0,1]
	v_pk_fma_f32 v[28:29], v[30:31], v[14:15], v[28:29] op_sel:[0,0,1] op_sel_hi:[1,0,0]
	v_mov_b32_e32 v33, v29
	ds_load_2addr_b64 v[28:31], v118 offset0:36 offset1:37
	v_pk_add_f32 v[144:145], v[144:145], v[42:43] neg_lo:[0,1] neg_hi:[0,1]
	v_pk_add_f32 v[140:141], v[140:141], v[32:33] neg_lo:[0,1] neg_hi:[0,1]
	s_wait_dscnt 0x0
	v_pk_mul_f32 v[32:33], v[28:29], v[18:19] op_sel:[0,1]
	s_delay_alu instid0(VALU_DEP_1) | instskip(SKIP_1) | instid1(VALU_DEP_1)
	v_pk_fma_f32 v[42:43], v[28:29], v[14:15], v[32:33] op_sel:[0,0,1] op_sel_hi:[1,1,0] neg_lo:[0,0,1] neg_hi:[0,0,1]
	v_pk_fma_f32 v[28:29], v[28:29], v[14:15], v[32:33] op_sel:[0,0,1] op_sel_hi:[1,0,0]
	v_mov_b32_e32 v43, v29
	v_pk_mul_f32 v[28:29], v[30:31], v[18:19] op_sel:[0,1]
	s_delay_alu instid0(VALU_DEP_1) | instskip(SKIP_1) | instid1(VALU_DEP_1)
	v_pk_fma_f32 v[32:33], v[30:31], v[14:15], v[28:29] op_sel:[0,0,1] op_sel_hi:[1,1,0] neg_lo:[0,0,1] neg_hi:[0,0,1]
	v_pk_fma_f32 v[28:29], v[30:31], v[14:15], v[28:29] op_sel:[0,0,1] op_sel_hi:[1,0,0]
	v_mov_b32_e32 v33, v29
	ds_load_2addr_b64 v[28:31], v118 offset0:38 offset1:39
	v_pk_add_f32 v[162:163], v[162:163], v[42:43] neg_lo:[0,1] neg_hi:[0,1]
	v_pk_add_f32 v[158:159], v[158:159], v[32:33] neg_lo:[0,1] neg_hi:[0,1]
	s_wait_dscnt 0x0
	v_dual_mul_f32 v32, v29, v19 :: v_dual_mul_f32 v42, v29, v14
	s_delay_alu instid0(VALU_DEP_1) | instskip(NEXT) | instid1(VALU_DEP_2)
	v_pk_fma_f32 v[32:33], v[28:29], v[124:125], v[32:33] op_sel_hi:[1,1,0] neg_lo:[0,0,1] neg_hi:[0,0,1]
	v_pk_fma_f32 v[28:29], v[28:29], v[124:125], v[42:43] op_sel:[1,0,0] op_sel_hi:[0,1,0]
	s_delay_alu instid0(VALU_DEP_1) | instskip(SKIP_1) | instid1(VALU_DEP_2)
	v_mov_b32_e32 v33, v29
	v_pk_mul_f32 v[28:29], v[30:31], v[18:19] op_sel:[0,1]
	v_pk_add_f32 v[160:161], v[160:161], v[32:33] neg_lo:[0,1] neg_hi:[0,1]
	s_delay_alu instid0(VALU_DEP_2) | instskip(SKIP_1) | instid1(VALU_DEP_1)
	v_pk_fma_f32 v[32:33], v[30:31], v[14:15], v[28:29] op_sel:[0,0,1] op_sel_hi:[1,1,0] neg_lo:[0,0,1] neg_hi:[0,0,1]
	v_pk_fma_f32 v[28:29], v[30:31], v[14:15], v[28:29] op_sel:[0,0,1] op_sel_hi:[1,0,0]
	v_mov_b32_e32 v33, v29
	ds_load_2addr_b64 v[28:31], v118 offset0:40 offset1:41
	v_pk_add_f32 v[156:157], v[156:157], v[32:33] neg_lo:[0,1] neg_hi:[0,1]
	s_wait_dscnt 0x0
	v_pk_mul_f32 v[32:33], v[28:29], v[18:19] op_sel:[0,1]
	s_delay_alu instid0(VALU_DEP_1) | instskip(SKIP_1) | instid1(VALU_DEP_1)
	v_pk_fma_f32 v[42:43], v[28:29], v[14:15], v[32:33] op_sel:[0,0,1] op_sel_hi:[1,1,0] neg_lo:[0,0,1] neg_hi:[0,0,1]
	v_pk_fma_f32 v[28:29], v[28:29], v[14:15], v[32:33] op_sel:[0,0,1] op_sel_hi:[1,0,0]
	v_mov_b32_e32 v43, v29
	v_pk_mul_f32 v[28:29], v[30:31], v[18:19] op_sel:[0,1]
	s_delay_alu instid0(VALU_DEP_2) | instskip(NEXT) | instid1(VALU_DEP_2)
	v_pk_add_f32 v[182:183], v[182:183], v[42:43] neg_lo:[0,1] neg_hi:[0,1]
	v_pk_fma_f32 v[32:33], v[30:31], v[14:15], v[28:29] op_sel:[0,0,1] op_sel_hi:[1,1,0] neg_lo:[0,0,1] neg_hi:[0,0,1]
	v_pk_fma_f32 v[28:29], v[30:31], v[14:15], v[28:29] op_sel:[0,0,1] op_sel_hi:[1,0,0]
	s_delay_alu instid0(VALU_DEP_1) | instskip(SKIP_4) | instid1(VALU_DEP_1)
	v_mov_b32_e32 v33, v29
	ds_load_2addr_b64 v[28:31], v118 offset0:42 offset1:43
	v_pk_add_f32 v[178:179], v[178:179], v[32:33] neg_lo:[0,1] neg_hi:[0,1]
	s_wait_dscnt 0x0
	v_pk_mul_f32 v[32:33], v[28:29], v[18:19] op_sel:[0,1]
	v_pk_fma_f32 v[42:43], v[28:29], v[14:15], v[32:33] op_sel:[0,0,1] op_sel_hi:[1,1,0] neg_lo:[0,0,1] neg_hi:[0,0,1]
	v_pk_fma_f32 v[28:29], v[28:29], v[14:15], v[32:33] op_sel:[0,0,1] op_sel_hi:[1,0,0]
	v_dual_mul_f32 v32, v31, v19 :: v_dual_mov_b32 v28, v31
	s_delay_alu instid0(VALU_DEP_2) | instskip(NEXT) | instid1(VALU_DEP_2)
	v_dual_mov_b32 v43, v29 :: v_dual_mov_b32 v29, v30
	v_pk_fma_f32 v[32:33], v[30:31], v[124:125], v[32:33] op_sel_hi:[1,1,0] neg_lo:[0,0,1] neg_hi:[0,0,1]
	v_mul_f32_e32 v30, v31, v14
	s_delay_alu instid0(VALU_DEP_3) | instskip(NEXT) | instid1(VALU_DEP_2)
	v_pk_add_f32 v[180:181], v[180:181], v[42:43] neg_lo:[0,1] neg_hi:[0,1]
	v_pk_fma_f32 v[28:29], v[28:29], v[124:125], v[30:31] op_sel_hi:[1,1,0]
	s_delay_alu instid0(VALU_DEP_1) | instskip(SKIP_4) | instid1(VALU_DEP_1)
	v_mov_b32_e32 v33, v29
	ds_load_2addr_b64 v[28:31], v118 offset0:44 offset1:45
	v_pk_add_f32 v[176:177], v[176:177], v[32:33] neg_lo:[0,1] neg_hi:[0,1]
	s_wait_dscnt 0x0
	v_pk_mul_f32 v[32:33], v[28:29], v[18:19] op_sel:[0,1]
	v_pk_fma_f32 v[42:43], v[28:29], v[14:15], v[32:33] op_sel:[0,0,1] op_sel_hi:[1,1,0] neg_lo:[0,0,1] neg_hi:[0,0,1]
	v_pk_fma_f32 v[28:29], v[28:29], v[14:15], v[32:33] op_sel:[0,0,1] op_sel_hi:[1,0,0]
	s_delay_alu instid0(VALU_DEP_1) | instskip(SKIP_1) | instid1(VALU_DEP_1)
	v_mov_b32_e32 v43, v29
	v_pk_mul_f32 v[28:29], v[30:31], v[18:19] op_sel:[0,1]
	v_pk_fma_f32 v[32:33], v[30:31], v[14:15], v[28:29] op_sel:[0,0,1] op_sel_hi:[1,1,0] neg_lo:[0,0,1] neg_hi:[0,0,1]
	v_pk_fma_f32 v[28:29], v[30:31], v[14:15], v[28:29] op_sel:[0,0,1] op_sel_hi:[1,0,0]
	s_delay_alu instid0(VALU_DEP_1)
	v_mov_b32_e32 v33, v29
	ds_load_2addr_b64 v[28:31], v118 offset0:46 offset1:47
	v_pk_add_f32 v[204:205], v[204:205], v[42:43] neg_lo:[0,1] neg_hi:[0,1]
	v_pk_add_f32 v[198:199], v[198:199], v[32:33] neg_lo:[0,1] neg_hi:[0,1]
	s_wait_dscnt 0x0
	v_pk_mul_f32 v[32:33], v[28:29], v[18:19] op_sel:[0,1]
	s_delay_alu instid0(VALU_DEP_1) | instskip(SKIP_1) | instid1(VALU_DEP_1)
	v_pk_fma_f32 v[42:43], v[28:29], v[14:15], v[32:33] op_sel:[0,0,1] op_sel_hi:[1,1,0] neg_lo:[0,0,1] neg_hi:[0,0,1]
	v_pk_fma_f32 v[28:29], v[28:29], v[14:15], v[32:33] op_sel:[0,0,1] op_sel_hi:[1,0,0]
	v_mov_b32_e32 v43, v29
	v_pk_mul_f32 v[28:29], v[30:31], v[18:19] op_sel:[0,1]
	s_delay_alu instid0(VALU_DEP_1) | instskip(SKIP_1) | instid1(VALU_DEP_1)
	v_pk_fma_f32 v[32:33], v[30:31], v[14:15], v[28:29] op_sel:[0,0,1] op_sel_hi:[1,1,0] neg_lo:[0,0,1] neg_hi:[0,0,1]
	v_pk_fma_f32 v[28:29], v[30:31], v[14:15], v[28:29] op_sel:[0,0,1] op_sel_hi:[1,0,0]
	v_mov_b32_e32 v33, v29
	ds_load_2addr_b64 v[28:31], v118 offset0:48 offset1:49
	v_pk_add_f32 v[202:203], v[202:203], v[42:43] neg_lo:[0,1] neg_hi:[0,1]
	v_pk_add_f32 v[196:197], v[196:197], v[32:33] neg_lo:[0,1] neg_hi:[0,1]
	s_wait_dscnt 0x0
	v_dual_mul_f32 v32, v29, v19 :: v_dual_mul_f32 v42, v29, v14
	s_delay_alu instid0(VALU_DEP_1) | instskip(NEXT) | instid1(VALU_DEP_2)
	v_pk_fma_f32 v[32:33], v[28:29], v[124:125], v[32:33] op_sel_hi:[1,1,0] neg_lo:[0,0,1] neg_hi:[0,0,1]
	v_pk_fma_f32 v[28:29], v[28:29], v[124:125], v[42:43] op_sel:[1,0,0] op_sel_hi:[0,1,0]
	s_delay_alu instid0(VALU_DEP_1) | instskip(SKIP_1) | instid1(VALU_DEP_2)
	v_mov_b32_e32 v33, v29
	v_pk_mul_f32 v[28:29], v[30:31], v[18:19] op_sel:[0,1]
	v_pk_add_f32 v[200:201], v[200:201], v[32:33] neg_lo:[0,1] neg_hi:[0,1]
	s_delay_alu instid0(VALU_DEP_2) | instskip(SKIP_1) | instid1(VALU_DEP_1)
	v_pk_fma_f32 v[32:33], v[30:31], v[14:15], v[28:29] op_sel:[0,0,1] op_sel_hi:[1,1,0] neg_lo:[0,0,1] neg_hi:[0,0,1]
	v_pk_fma_f32 v[28:29], v[30:31], v[14:15], v[28:29] op_sel:[0,0,1] op_sel_hi:[1,0,0]
	v_mov_b32_e32 v33, v29
	ds_load_2addr_b64 v[28:31], v118 offset0:50 offset1:51
	v_pk_add_f32 v[194:195], v[194:195], v[32:33] neg_lo:[0,1] neg_hi:[0,1]
	s_wait_dscnt 0x0
	v_pk_mul_f32 v[32:33], v[28:29], v[18:19] op_sel:[0,1]
	v_pk_mul_f32 v[18:19], v[30:31], v[18:19] op_sel:[0,1]
	s_delay_alu instid0(VALU_DEP_2) | instskip(SKIP_1) | instid1(VALU_DEP_1)
	v_pk_fma_f32 v[42:43], v[28:29], v[14:15], v[32:33] op_sel:[0,0,1] op_sel_hi:[1,1,0] neg_lo:[0,0,1] neg_hi:[0,0,1]
	v_pk_fma_f32 v[28:29], v[28:29], v[14:15], v[32:33] op_sel:[0,0,1] op_sel_hi:[1,0,0]
	v_mov_b32_e32 v43, v29
	s_delay_alu instid0(VALU_DEP_4) | instskip(SKIP_1) | instid1(VALU_DEP_3)
	v_pk_fma_f32 v[28:29], v[30:31], v[14:15], v[18:19] op_sel:[0,0,1] op_sel_hi:[1,1,0] neg_lo:[0,0,1] neg_hi:[0,0,1]
	v_pk_fma_f32 v[14:15], v[30:31], v[14:15], v[18:19] op_sel:[0,0,1] op_sel_hi:[1,0,0]
	v_pk_add_f32 v[206:207], v[206:207], v[42:43] neg_lo:[0,1] neg_hi:[0,1]
	s_delay_alu instid0(VALU_DEP_2) | instskip(NEXT) | instid1(VALU_DEP_1)
	v_mov_b32_e32 v29, v15
	v_pk_add_f32 v[208:209], v[208:209], v[28:29] neg_lo:[0,1] neg_hi:[0,1]
.LBB103_271:
	s_or_b32 exec_lo, exec_lo, s1
	s_delay_alu instid0(SALU_CYCLE_1)
	s_mov_b32 s2, exec_lo
	s_wait_dscnt 0x0
	s_barrier_signal -1
	s_barrier_wait -1
	v_cmpx_eq_u32_e32 30, v116
	s_cbranch_execz .LBB103_278
; %bb.272:
	ds_store_b64 v117, v[126:127]
	ds_store_2addr_b64 v118, v[122:123], v[146:147] offset0:31 offset1:32
	ds_store_2addr_b64 v118, v[142:143], v[144:145] offset0:33 offset1:34
	;; [unrolled: 1-line block ×10, first 2 shown]
	ds_store_b64 v118, v[208:209] offset:408
	ds_load_b64 v[14:15], v117
	s_wait_dscnt 0x0
	v_cmp_neq_f32_e32 vcc_lo, 0, v14
	v_cmp_neq_f32_e64 s1, 0, v15
	s_or_b32 s1, vcc_lo, s1
	s_delay_alu instid0(SALU_CYCLE_1)
	s_and_b32 exec_lo, exec_lo, s1
	s_cbranch_execz .LBB103_278
; %bb.273:
	v_cmp_ngt_f32_e64 s1, |v14|, |v15|
                                        ; implicit-def: $vgpr18_vgpr19
	s_and_saveexec_b32 s4, s1
	s_delay_alu instid0(SALU_CYCLE_1)
	s_xor_b32 s1, exec_lo, s4
	s_cbranch_execz .LBB103_275
; %bb.274:
	v_div_scale_f32 v18, null, v15, v15, v14
	v_div_scale_f32 v29, vcc_lo, v14, v15, v14
	s_delay_alu instid0(VALU_DEP_2) | instskip(SKIP_1) | instid1(TRANS32_DEP_1)
	v_rcp_f32_e32 v19, v18
	v_nop
	v_fma_f32 v28, -v18, v19, 1.0
	s_delay_alu instid0(VALU_DEP_1) | instskip(NEXT) | instid1(VALU_DEP_1)
	v_fmac_f32_e32 v19, v28, v19
	v_mul_f32_e32 v28, v29, v19
	s_delay_alu instid0(VALU_DEP_1) | instskip(NEXT) | instid1(VALU_DEP_1)
	v_fma_f32 v30, -v18, v28, v29
	v_fmac_f32_e32 v28, v30, v19
	s_delay_alu instid0(VALU_DEP_1) | instskip(NEXT) | instid1(VALU_DEP_1)
	v_fma_f32 v18, -v18, v28, v29
	v_div_fmas_f32 v18, v18, v19, v28
	s_delay_alu instid0(VALU_DEP_1) | instskip(NEXT) | instid1(VALU_DEP_1)
	v_div_fixup_f32 v18, v18, v15, v14
	v_fmac_f32_e32 v15, v14, v18
	s_delay_alu instid0(VALU_DEP_1) | instskip(SKIP_1) | instid1(VALU_DEP_2)
	v_div_scale_f32 v14, null, v15, v15, 1.0
	v_div_scale_f32 v29, vcc_lo, 1.0, v15, 1.0
	v_rcp_f32_e32 v19, v14
	v_nop
	s_delay_alu instid0(TRANS32_DEP_1) | instskip(NEXT) | instid1(VALU_DEP_1)
	v_fma_f32 v28, -v14, v19, 1.0
	v_fmac_f32_e32 v19, v28, v19
	s_delay_alu instid0(VALU_DEP_1) | instskip(NEXT) | instid1(VALU_DEP_1)
	v_mul_f32_e32 v28, v29, v19
	v_fma_f32 v30, -v14, v28, v29
	s_delay_alu instid0(VALU_DEP_1) | instskip(NEXT) | instid1(VALU_DEP_1)
	v_fmac_f32_e32 v28, v30, v19
	v_fma_f32 v14, -v14, v28, v29
	s_delay_alu instid0(VALU_DEP_1) | instskip(NEXT) | instid1(VALU_DEP_1)
	v_div_fmas_f32 v14, v14, v19, v28
	v_div_fixup_f32 v14, v14, v15, 1.0
	s_delay_alu instid0(VALU_DEP_1)
	v_mul_f32_e32 v18, v18, v14
	v_xor_b32_e32 v19, 0x80000000, v14
                                        ; implicit-def: $vgpr14_vgpr15
.LBB103_275:
	s_and_not1_saveexec_b32 s1, s1
	s_cbranch_execz .LBB103_277
; %bb.276:
	v_div_scale_f32 v18, null, v14, v14, v15
	v_div_scale_f32 v29, vcc_lo, v15, v14, v15
	s_delay_alu instid0(VALU_DEP_2) | instskip(SKIP_1) | instid1(TRANS32_DEP_1)
	v_rcp_f32_e32 v19, v18
	v_nop
	v_fma_f32 v28, -v18, v19, 1.0
	s_delay_alu instid0(VALU_DEP_1) | instskip(NEXT) | instid1(VALU_DEP_1)
	v_fmac_f32_e32 v19, v28, v19
	v_mul_f32_e32 v28, v29, v19
	s_delay_alu instid0(VALU_DEP_1) | instskip(NEXT) | instid1(VALU_DEP_1)
	v_fma_f32 v30, -v18, v28, v29
	v_fmac_f32_e32 v28, v30, v19
	s_delay_alu instid0(VALU_DEP_1) | instskip(NEXT) | instid1(VALU_DEP_1)
	v_fma_f32 v18, -v18, v28, v29
	v_div_fmas_f32 v18, v18, v19, v28
	s_delay_alu instid0(VALU_DEP_1) | instskip(NEXT) | instid1(VALU_DEP_1)
	v_div_fixup_f32 v19, v18, v14, v15
	v_fmac_f32_e32 v14, v15, v19
	s_delay_alu instid0(VALU_DEP_1) | instskip(NEXT) | instid1(VALU_DEP_1)
	v_div_scale_f32 v15, null, v14, v14, 1.0
	v_rcp_f32_e32 v18, v15
	v_nop
	s_delay_alu instid0(TRANS32_DEP_1) | instskip(NEXT) | instid1(VALU_DEP_1)
	v_fma_f32 v28, -v15, v18, 1.0
	v_fmac_f32_e32 v18, v28, v18
	v_div_scale_f32 v28, vcc_lo, 1.0, v14, 1.0
	s_delay_alu instid0(VALU_DEP_1) | instskip(NEXT) | instid1(VALU_DEP_1)
	v_mul_f32_e32 v29, v28, v18
	v_fma_f32 v30, -v15, v29, v28
	s_delay_alu instid0(VALU_DEP_1) | instskip(NEXT) | instid1(VALU_DEP_1)
	v_fmac_f32_e32 v29, v30, v18
	v_fma_f32 v15, -v15, v29, v28
	s_delay_alu instid0(VALU_DEP_1) | instskip(NEXT) | instid1(VALU_DEP_1)
	v_div_fmas_f32 v15, v15, v18, v29
	v_div_fixup_f32 v18, v15, v14, 1.0
	s_delay_alu instid0(VALU_DEP_1)
	v_mul_f32_e64 v19, v19, -v18
.LBB103_277:
	s_or_b32 exec_lo, exec_lo, s1
	ds_store_b64 v117, v[18:19]
.LBB103_278:
	s_or_b32 exec_lo, exec_lo, s2
	s_wait_dscnt 0x0
	s_barrier_signal -1
	s_barrier_wait -1
	ds_load_b64 v[14:15], v117
	s_mov_b32 s1, exec_lo
	v_cmpx_lt_u32_e32 30, v116
	s_cbranch_execz .LBB103_280
; %bb.279:
	ds_load_2addr_b64 v[30:33], v118 offset0:31 offset1:32
	s_wait_dscnt 0x1
	v_pk_mul_f32 v[28:29], v[14:15], v[126:127] op_sel:[1,1] op_sel_hi:[0,1]
	s_delay_alu instid0(VALU_DEP_1) | instskip(SKIP_1) | instid1(VALU_DEP_1)
	v_pk_fma_f32 v[18:19], v[14:15], v[126:127], v[28:29] op_sel_hi:[1,0,1] neg_lo:[0,0,1] neg_hi:[0,0,1]
	v_pk_fma_f32 v[28:29], v[14:15], v[126:127], v[28:29] op_sel_hi:[1,0,1]
	v_dual_mov_b32 v126, v18 :: v_dual_mov_b32 v127, v29
	s_wait_dscnt 0x0
	s_delay_alu instid0(VALU_DEP_2) | instskip(NEXT) | instid1(VALU_DEP_1)
	v_pk_mul_f32 v[42:43], v[30:31], v[28:29] op_sel:[0,1]
	v_pk_fma_f32 v[48:49], v[30:31], v[18:19], v[42:43] op_sel:[0,0,1] op_sel_hi:[1,1,0] neg_lo:[0,0,1] neg_hi:[0,0,1]
	v_pk_fma_f32 v[30:31], v[30:31], v[18:19], v[42:43] op_sel:[0,0,1] op_sel_hi:[1,0,0]
	s_delay_alu instid0(VALU_DEP_1) | instskip(SKIP_1) | instid1(VALU_DEP_1)
	v_mov_b32_e32 v49, v31
	v_pk_mul_f32 v[30:31], v[32:33], v[28:29] op_sel:[0,1]
	v_pk_fma_f32 v[42:43], v[32:33], v[18:19], v[30:31] op_sel:[0,0,1] op_sel_hi:[1,1,0] neg_lo:[0,0,1] neg_hi:[0,0,1]
	v_pk_fma_f32 v[30:31], v[32:33], v[18:19], v[30:31] op_sel:[0,0,1] op_sel_hi:[1,0,0]
	s_delay_alu instid0(VALU_DEP_1)
	v_mov_b32_e32 v43, v31
	ds_load_2addr_b64 v[30:33], v118 offset0:33 offset1:34
	v_pk_add_f32 v[122:123], v[122:123], v[48:49] neg_lo:[0,1] neg_hi:[0,1]
	v_pk_add_f32 v[146:147], v[146:147], v[42:43] neg_lo:[0,1] neg_hi:[0,1]
	s_wait_dscnt 0x0
	v_pk_mul_f32 v[42:43], v[30:31], v[28:29] op_sel:[0,1]
	s_delay_alu instid0(VALU_DEP_1) | instskip(SKIP_2) | instid1(VALU_DEP_2)
	v_pk_fma_f32 v[48:49], v[30:31], v[18:19], v[42:43] op_sel:[0,0,1] op_sel_hi:[1,1,0] neg_lo:[0,0,1] neg_hi:[0,0,1]
	v_pk_fma_f32 v[30:31], v[30:31], v[18:19], v[42:43] op_sel:[0,0,1] op_sel_hi:[1,0,0]
	v_dual_mul_f32 v42, v33, v29 :: v_dual_mov_b32 v30, v33
	v_dual_mov_b32 v49, v31 :: v_dual_mov_b32 v31, v32
	s_delay_alu instid0(VALU_DEP_2) | instskip(SKIP_1) | instid1(VALU_DEP_3)
	v_pk_fma_f32 v[42:43], v[32:33], v[126:127], v[42:43] op_sel_hi:[1,1,0] neg_lo:[0,0,1] neg_hi:[0,0,1]
	v_mul_f32_e32 v32, v33, v18
	v_pk_add_f32 v[142:143], v[142:143], v[48:49] neg_lo:[0,1] neg_hi:[0,1]
	s_delay_alu instid0(VALU_DEP_2) | instskip(NEXT) | instid1(VALU_DEP_1)
	v_pk_fma_f32 v[30:31], v[30:31], v[126:127], v[32:33] op_sel_hi:[1,1,0]
	v_mov_b32_e32 v43, v31
	ds_load_2addr_b64 v[30:33], v118 offset0:35 offset1:36
	v_pk_add_f32 v[144:145], v[144:145], v[42:43] neg_lo:[0,1] neg_hi:[0,1]
	s_wait_dscnt 0x0
	v_pk_mul_f32 v[42:43], v[30:31], v[28:29] op_sel:[0,1]
	s_delay_alu instid0(VALU_DEP_1) | instskip(SKIP_1) | instid1(VALU_DEP_1)
	v_pk_fma_f32 v[48:49], v[30:31], v[18:19], v[42:43] op_sel:[0,0,1] op_sel_hi:[1,1,0] neg_lo:[0,0,1] neg_hi:[0,0,1]
	v_pk_fma_f32 v[30:31], v[30:31], v[18:19], v[42:43] op_sel:[0,0,1] op_sel_hi:[1,0,0]
	v_mov_b32_e32 v49, v31
	v_pk_mul_f32 v[30:31], v[32:33], v[28:29] op_sel:[0,1]
	s_delay_alu instid0(VALU_DEP_1) | instskip(SKIP_1) | instid1(VALU_DEP_1)
	v_pk_fma_f32 v[42:43], v[32:33], v[18:19], v[30:31] op_sel:[0,0,1] op_sel_hi:[1,1,0] neg_lo:[0,0,1] neg_hi:[0,0,1]
	v_pk_fma_f32 v[30:31], v[32:33], v[18:19], v[30:31] op_sel:[0,0,1] op_sel_hi:[1,0,0]
	v_mov_b32_e32 v43, v31
	ds_load_2addr_b64 v[30:33], v118 offset0:37 offset1:38
	v_pk_add_f32 v[140:141], v[140:141], v[48:49] neg_lo:[0,1] neg_hi:[0,1]
	v_pk_add_f32 v[162:163], v[162:163], v[42:43] neg_lo:[0,1] neg_hi:[0,1]
	s_wait_dscnt 0x0
	v_pk_mul_f32 v[42:43], v[30:31], v[28:29] op_sel:[0,1]
	s_delay_alu instid0(VALU_DEP_1) | instskip(SKIP_1) | instid1(VALU_DEP_1)
	v_pk_fma_f32 v[48:49], v[30:31], v[18:19], v[42:43] op_sel:[0,0,1] op_sel_hi:[1,1,0] neg_lo:[0,0,1] neg_hi:[0,0,1]
	v_pk_fma_f32 v[30:31], v[30:31], v[18:19], v[42:43] op_sel:[0,0,1] op_sel_hi:[1,0,0]
	v_mov_b32_e32 v49, v31
	v_pk_mul_f32 v[30:31], v[32:33], v[28:29] op_sel:[0,1]
	s_delay_alu instid0(VALU_DEP_1) | instskip(SKIP_1) | instid1(VALU_DEP_1)
	v_pk_fma_f32 v[42:43], v[32:33], v[18:19], v[30:31] op_sel:[0,0,1] op_sel_hi:[1,1,0] neg_lo:[0,0,1] neg_hi:[0,0,1]
	v_pk_fma_f32 v[30:31], v[32:33], v[18:19], v[30:31] op_sel:[0,0,1] op_sel_hi:[1,0,0]
	v_mov_b32_e32 v43, v31
	ds_load_2addr_b64 v[30:33], v118 offset0:39 offset1:40
	v_pk_add_f32 v[158:159], v[158:159], v[48:49] neg_lo:[0,1] neg_hi:[0,1]
	v_pk_add_f32 v[160:161], v[160:161], v[42:43] neg_lo:[0,1] neg_hi:[0,1]
	s_wait_dscnt 0x0
	v_dual_mul_f32 v42, v31, v29 :: v_dual_mul_f32 v48, v31, v18
	s_delay_alu instid0(VALU_DEP_1) | instskip(NEXT) | instid1(VALU_DEP_2)
	v_pk_fma_f32 v[42:43], v[30:31], v[126:127], v[42:43] op_sel_hi:[1,1,0] neg_lo:[0,0,1] neg_hi:[0,0,1]
	v_pk_fma_f32 v[30:31], v[30:31], v[126:127], v[48:49] op_sel:[1,0,0] op_sel_hi:[0,1,0]
	s_delay_alu instid0(VALU_DEP_1) | instskip(SKIP_1) | instid1(VALU_DEP_2)
	v_mov_b32_e32 v43, v31
	v_pk_mul_f32 v[30:31], v[32:33], v[28:29] op_sel:[0,1]
	v_pk_add_f32 v[156:157], v[156:157], v[42:43] neg_lo:[0,1] neg_hi:[0,1]
	s_delay_alu instid0(VALU_DEP_2) | instskip(SKIP_1) | instid1(VALU_DEP_1)
	v_pk_fma_f32 v[42:43], v[32:33], v[18:19], v[30:31] op_sel:[0,0,1] op_sel_hi:[1,1,0] neg_lo:[0,0,1] neg_hi:[0,0,1]
	v_pk_fma_f32 v[30:31], v[32:33], v[18:19], v[30:31] op_sel:[0,0,1] op_sel_hi:[1,0,0]
	v_mov_b32_e32 v43, v31
	ds_load_2addr_b64 v[30:33], v118 offset0:41 offset1:42
	v_pk_add_f32 v[182:183], v[182:183], v[42:43] neg_lo:[0,1] neg_hi:[0,1]
	s_wait_dscnt 0x0
	v_pk_mul_f32 v[42:43], v[30:31], v[28:29] op_sel:[0,1]
	s_delay_alu instid0(VALU_DEP_1) | instskip(SKIP_1) | instid1(VALU_DEP_1)
	v_pk_fma_f32 v[48:49], v[30:31], v[18:19], v[42:43] op_sel:[0,0,1] op_sel_hi:[1,1,0] neg_lo:[0,0,1] neg_hi:[0,0,1]
	v_pk_fma_f32 v[30:31], v[30:31], v[18:19], v[42:43] op_sel:[0,0,1] op_sel_hi:[1,0,0]
	v_mov_b32_e32 v49, v31
	v_pk_mul_f32 v[30:31], v[32:33], v[28:29] op_sel:[0,1]
	s_delay_alu instid0(VALU_DEP_2) | instskip(NEXT) | instid1(VALU_DEP_2)
	v_pk_add_f32 v[178:179], v[178:179], v[48:49] neg_lo:[0,1] neg_hi:[0,1]
	v_pk_fma_f32 v[42:43], v[32:33], v[18:19], v[30:31] op_sel:[0,0,1] op_sel_hi:[1,1,0] neg_lo:[0,0,1] neg_hi:[0,0,1]
	v_pk_fma_f32 v[30:31], v[32:33], v[18:19], v[30:31] op_sel:[0,0,1] op_sel_hi:[1,0,0]
	s_delay_alu instid0(VALU_DEP_1) | instskip(SKIP_4) | instid1(VALU_DEP_1)
	v_mov_b32_e32 v43, v31
	ds_load_2addr_b64 v[30:33], v118 offset0:43 offset1:44
	v_pk_add_f32 v[180:181], v[180:181], v[42:43] neg_lo:[0,1] neg_hi:[0,1]
	s_wait_dscnt 0x0
	v_pk_mul_f32 v[42:43], v[30:31], v[28:29] op_sel:[0,1]
	v_pk_fma_f32 v[48:49], v[30:31], v[18:19], v[42:43] op_sel:[0,0,1] op_sel_hi:[1,1,0] neg_lo:[0,0,1] neg_hi:[0,0,1]
	v_pk_fma_f32 v[30:31], v[30:31], v[18:19], v[42:43] op_sel:[0,0,1] op_sel_hi:[1,0,0]
	v_dual_mul_f32 v42, v33, v29 :: v_dual_mov_b32 v30, v33
	s_delay_alu instid0(VALU_DEP_2) | instskip(NEXT) | instid1(VALU_DEP_2)
	v_dual_mov_b32 v49, v31 :: v_dual_mov_b32 v31, v32
	v_pk_fma_f32 v[42:43], v[32:33], v[126:127], v[42:43] op_sel_hi:[1,1,0] neg_lo:[0,0,1] neg_hi:[0,0,1]
	v_mul_f32_e32 v32, v33, v18
	s_delay_alu instid0(VALU_DEP_3) | instskip(NEXT) | instid1(VALU_DEP_2)
	v_pk_add_f32 v[176:177], v[176:177], v[48:49] neg_lo:[0,1] neg_hi:[0,1]
	v_pk_fma_f32 v[30:31], v[30:31], v[126:127], v[32:33] op_sel_hi:[1,1,0]
	s_delay_alu instid0(VALU_DEP_1) | instskip(SKIP_4) | instid1(VALU_DEP_1)
	v_mov_b32_e32 v43, v31
	ds_load_2addr_b64 v[30:33], v118 offset0:45 offset1:46
	v_pk_add_f32 v[204:205], v[204:205], v[42:43] neg_lo:[0,1] neg_hi:[0,1]
	s_wait_dscnt 0x0
	v_pk_mul_f32 v[42:43], v[30:31], v[28:29] op_sel:[0,1]
	v_pk_fma_f32 v[48:49], v[30:31], v[18:19], v[42:43] op_sel:[0,0,1] op_sel_hi:[1,1,0] neg_lo:[0,0,1] neg_hi:[0,0,1]
	v_pk_fma_f32 v[30:31], v[30:31], v[18:19], v[42:43] op_sel:[0,0,1] op_sel_hi:[1,0,0]
	s_delay_alu instid0(VALU_DEP_1) | instskip(SKIP_1) | instid1(VALU_DEP_1)
	v_mov_b32_e32 v49, v31
	v_pk_mul_f32 v[30:31], v[32:33], v[28:29] op_sel:[0,1]
	v_pk_fma_f32 v[42:43], v[32:33], v[18:19], v[30:31] op_sel:[0,0,1] op_sel_hi:[1,1,0] neg_lo:[0,0,1] neg_hi:[0,0,1]
	v_pk_fma_f32 v[30:31], v[32:33], v[18:19], v[30:31] op_sel:[0,0,1] op_sel_hi:[1,0,0]
	s_delay_alu instid0(VALU_DEP_1)
	v_mov_b32_e32 v43, v31
	ds_load_2addr_b64 v[30:33], v118 offset0:47 offset1:48
	v_pk_add_f32 v[198:199], v[198:199], v[48:49] neg_lo:[0,1] neg_hi:[0,1]
	v_pk_add_f32 v[202:203], v[202:203], v[42:43] neg_lo:[0,1] neg_hi:[0,1]
	s_wait_dscnt 0x0
	v_pk_mul_f32 v[42:43], v[30:31], v[28:29] op_sel:[0,1]
	s_delay_alu instid0(VALU_DEP_1) | instskip(SKIP_1) | instid1(VALU_DEP_1)
	v_pk_fma_f32 v[48:49], v[30:31], v[18:19], v[42:43] op_sel:[0,0,1] op_sel_hi:[1,1,0] neg_lo:[0,0,1] neg_hi:[0,0,1]
	v_pk_fma_f32 v[30:31], v[30:31], v[18:19], v[42:43] op_sel:[0,0,1] op_sel_hi:[1,0,0]
	v_mov_b32_e32 v49, v31
	v_pk_mul_f32 v[30:31], v[32:33], v[28:29] op_sel:[0,1]
	s_delay_alu instid0(VALU_DEP_1) | instskip(SKIP_1) | instid1(VALU_DEP_1)
	v_pk_fma_f32 v[42:43], v[32:33], v[18:19], v[30:31] op_sel:[0,0,1] op_sel_hi:[1,1,0] neg_lo:[0,0,1] neg_hi:[0,0,1]
	v_pk_fma_f32 v[30:31], v[32:33], v[18:19], v[30:31] op_sel:[0,0,1] op_sel_hi:[1,0,0]
	v_mov_b32_e32 v43, v31
	ds_load_2addr_b64 v[30:33], v118 offset0:49 offset1:50
	v_pk_add_f32 v[196:197], v[196:197], v[48:49] neg_lo:[0,1] neg_hi:[0,1]
	v_pk_add_f32 v[200:201], v[200:201], v[42:43] neg_lo:[0,1] neg_hi:[0,1]
	s_wait_dscnt 0x0
	v_dual_mul_f32 v42, v31, v29 :: v_dual_mul_f32 v48, v31, v18
	s_delay_alu instid0(VALU_DEP_1) | instskip(NEXT) | instid1(VALU_DEP_2)
	v_pk_fma_f32 v[42:43], v[30:31], v[126:127], v[42:43] op_sel_hi:[1,1,0] neg_lo:[0,0,1] neg_hi:[0,0,1]
	v_pk_fma_f32 v[30:31], v[30:31], v[126:127], v[48:49] op_sel:[1,0,0] op_sel_hi:[0,1,0]
	s_delay_alu instid0(VALU_DEP_1) | instskip(SKIP_1) | instid1(VALU_DEP_2)
	v_mov_b32_e32 v43, v31
	v_pk_mul_f32 v[30:31], v[32:33], v[28:29] op_sel:[0,1]
	v_pk_add_f32 v[194:195], v[194:195], v[42:43] neg_lo:[0,1] neg_hi:[0,1]
	s_delay_alu instid0(VALU_DEP_2) | instskip(SKIP_1) | instid1(VALU_DEP_1)
	v_pk_fma_f32 v[42:43], v[32:33], v[18:19], v[30:31] op_sel:[0,0,1] op_sel_hi:[1,1,0] neg_lo:[0,0,1] neg_hi:[0,0,1]
	v_pk_fma_f32 v[30:31], v[32:33], v[18:19], v[30:31] op_sel:[0,0,1] op_sel_hi:[1,0,0]
	v_mov_b32_e32 v43, v31
	ds_load_b64 v[30:31], v118 offset:408
	v_pk_add_f32 v[206:207], v[206:207], v[42:43] neg_lo:[0,1] neg_hi:[0,1]
	s_wait_dscnt 0x0
	v_pk_mul_f32 v[28:29], v[30:31], v[28:29] op_sel:[0,1]
	s_delay_alu instid0(VALU_DEP_1) | instskip(SKIP_1) | instid1(VALU_DEP_1)
	v_pk_fma_f32 v[32:33], v[30:31], v[18:19], v[28:29] op_sel:[0,0,1] op_sel_hi:[1,1,0] neg_lo:[0,0,1] neg_hi:[0,0,1]
	v_pk_fma_f32 v[18:19], v[30:31], v[18:19], v[28:29] op_sel:[0,0,1] op_sel_hi:[1,0,0]
	v_mov_b32_e32 v33, v19
	s_delay_alu instid0(VALU_DEP_1)
	v_pk_add_f32 v[208:209], v[208:209], v[32:33] neg_lo:[0,1] neg_hi:[0,1]
.LBB103_280:
	s_or_b32 exec_lo, exec_lo, s1
	s_delay_alu instid0(SALU_CYCLE_1)
	s_mov_b32 s2, exec_lo
	s_wait_dscnt 0x0
	s_barrier_signal -1
	s_barrier_wait -1
	v_cmpx_eq_u32_e32 31, v116
	s_cbranch_execz .LBB103_287
; %bb.281:
	v_dual_mov_b32 v18, v146 :: v_dual_mov_b32 v19, v147
	v_dual_mov_b32 v28, v142 :: v_dual_mov_b32 v29, v143
	ds_store_b64 v117, v[122:123]
	ds_store_2addr_b64 v118, v[18:19], v[28:29] offset0:32 offset1:33
	v_dual_mov_b32 v18, v144 :: v_dual_mov_b32 v19, v145
	v_dual_mov_b32 v28, v140 :: v_dual_mov_b32 v29, v141
	ds_store_2addr_b64 v118, v[18:19], v[28:29] offset0:34 offset1:35
	v_dual_mov_b32 v18, v162 :: v_dual_mov_b32 v19, v163
	v_dual_mov_b32 v28, v158 :: v_dual_mov_b32 v29, v159
	ds_store_2addr_b64 v118, v[18:19], v[28:29] offset0:36 offset1:37
	v_dual_mov_b32 v18, v160 :: v_dual_mov_b32 v19, v161
	v_dual_mov_b32 v28, v156 :: v_dual_mov_b32 v29, v157
	ds_store_2addr_b64 v118, v[18:19], v[28:29] offset0:38 offset1:39
	v_dual_mov_b32 v18, v182 :: v_dual_mov_b32 v19, v183
	v_dual_mov_b32 v28, v178 :: v_dual_mov_b32 v29, v179
	ds_store_2addr_b64 v118, v[18:19], v[28:29] offset0:40 offset1:41
	v_dual_mov_b32 v18, v180 :: v_dual_mov_b32 v19, v181
	v_dual_mov_b32 v28, v176 :: v_dual_mov_b32 v29, v177
	ds_store_2addr_b64 v118, v[18:19], v[28:29] offset0:42 offset1:43
	v_dual_mov_b32 v18, v204 :: v_dual_mov_b32 v19, v205
	v_dual_mov_b32 v28, v198 :: v_dual_mov_b32 v29, v199
	ds_store_2addr_b64 v118, v[18:19], v[28:29] offset0:44 offset1:45
	v_dual_mov_b32 v18, v202 :: v_dual_mov_b32 v19, v203
	v_dual_mov_b32 v28, v196 :: v_dual_mov_b32 v29, v197
	ds_store_2addr_b64 v118, v[18:19], v[28:29] offset0:46 offset1:47
	v_dual_mov_b32 v18, v200 :: v_dual_mov_b32 v19, v201
	v_dual_mov_b32 v28, v194 :: v_dual_mov_b32 v29, v195
	ds_store_2addr_b64 v118, v[18:19], v[28:29] offset0:48 offset1:49
	v_dual_mov_b32 v18, v206 :: v_dual_mov_b32 v19, v207
	ds_store_2addr_b64 v118, v[18:19], v[208:209] offset0:50 offset1:51
	ds_load_b64 v[18:19], v117
	s_wait_dscnt 0x0
	v_cmp_neq_f32_e32 vcc_lo, 0, v18
	v_cmp_neq_f32_e64 s1, 0, v19
	s_or_b32 s1, vcc_lo, s1
	s_delay_alu instid0(SALU_CYCLE_1)
	s_and_b32 exec_lo, exec_lo, s1
	s_cbranch_execz .LBB103_287
; %bb.282:
	v_cmp_ngt_f32_e64 s1, |v18|, |v19|
                                        ; implicit-def: $vgpr28_vgpr29
	s_and_saveexec_b32 s4, s1
	s_delay_alu instid0(SALU_CYCLE_1)
	s_xor_b32 s1, exec_lo, s4
	s_cbranch_execz .LBB103_284
; %bb.283:
	v_div_scale_f32 v28, null, v19, v19, v18
	v_div_scale_f32 v31, vcc_lo, v18, v19, v18
	s_delay_alu instid0(VALU_DEP_2) | instskip(SKIP_1) | instid1(TRANS32_DEP_1)
	v_rcp_f32_e32 v29, v28
	v_nop
	v_fma_f32 v30, -v28, v29, 1.0
	s_delay_alu instid0(VALU_DEP_1) | instskip(NEXT) | instid1(VALU_DEP_1)
	v_fmac_f32_e32 v29, v30, v29
	v_mul_f32_e32 v30, v31, v29
	s_delay_alu instid0(VALU_DEP_1) | instskip(NEXT) | instid1(VALU_DEP_1)
	v_fma_f32 v32, -v28, v30, v31
	v_fmac_f32_e32 v30, v32, v29
	s_delay_alu instid0(VALU_DEP_1) | instskip(NEXT) | instid1(VALU_DEP_1)
	v_fma_f32 v28, -v28, v30, v31
	v_div_fmas_f32 v28, v28, v29, v30
	s_delay_alu instid0(VALU_DEP_1) | instskip(NEXT) | instid1(VALU_DEP_1)
	v_div_fixup_f32 v28, v28, v19, v18
	v_fmac_f32_e32 v19, v18, v28
	s_delay_alu instid0(VALU_DEP_1) | instskip(SKIP_1) | instid1(VALU_DEP_2)
	v_div_scale_f32 v18, null, v19, v19, 1.0
	v_div_scale_f32 v31, vcc_lo, 1.0, v19, 1.0
	v_rcp_f32_e32 v29, v18
	v_nop
	s_delay_alu instid0(TRANS32_DEP_1) | instskip(NEXT) | instid1(VALU_DEP_1)
	v_fma_f32 v30, -v18, v29, 1.0
	v_fmac_f32_e32 v29, v30, v29
	s_delay_alu instid0(VALU_DEP_1) | instskip(NEXT) | instid1(VALU_DEP_1)
	v_mul_f32_e32 v30, v31, v29
	v_fma_f32 v32, -v18, v30, v31
	s_delay_alu instid0(VALU_DEP_1) | instskip(NEXT) | instid1(VALU_DEP_1)
	v_fmac_f32_e32 v30, v32, v29
	v_fma_f32 v18, -v18, v30, v31
	s_delay_alu instid0(VALU_DEP_1) | instskip(NEXT) | instid1(VALU_DEP_1)
	v_div_fmas_f32 v18, v18, v29, v30
	v_div_fixup_f32 v18, v18, v19, 1.0
	s_delay_alu instid0(VALU_DEP_1)
	v_mul_f32_e32 v28, v28, v18
	v_xor_b32_e32 v29, 0x80000000, v18
                                        ; implicit-def: $vgpr18_vgpr19
.LBB103_284:
	s_and_not1_saveexec_b32 s1, s1
	s_cbranch_execz .LBB103_286
; %bb.285:
	v_div_scale_f32 v28, null, v18, v18, v19
	v_div_scale_f32 v31, vcc_lo, v19, v18, v19
	s_delay_alu instid0(VALU_DEP_2) | instskip(SKIP_1) | instid1(TRANS32_DEP_1)
	v_rcp_f32_e32 v29, v28
	v_nop
	v_fma_f32 v30, -v28, v29, 1.0
	s_delay_alu instid0(VALU_DEP_1) | instskip(NEXT) | instid1(VALU_DEP_1)
	v_fmac_f32_e32 v29, v30, v29
	v_mul_f32_e32 v30, v31, v29
	s_delay_alu instid0(VALU_DEP_1) | instskip(NEXT) | instid1(VALU_DEP_1)
	v_fma_f32 v32, -v28, v30, v31
	v_fmac_f32_e32 v30, v32, v29
	s_delay_alu instid0(VALU_DEP_1) | instskip(NEXT) | instid1(VALU_DEP_1)
	v_fma_f32 v28, -v28, v30, v31
	v_div_fmas_f32 v28, v28, v29, v30
	s_delay_alu instid0(VALU_DEP_1) | instskip(NEXT) | instid1(VALU_DEP_1)
	v_div_fixup_f32 v29, v28, v18, v19
	v_fmac_f32_e32 v18, v19, v29
	s_delay_alu instid0(VALU_DEP_1) | instskip(NEXT) | instid1(VALU_DEP_1)
	v_div_scale_f32 v19, null, v18, v18, 1.0
	v_rcp_f32_e32 v28, v19
	v_nop
	s_delay_alu instid0(TRANS32_DEP_1) | instskip(NEXT) | instid1(VALU_DEP_1)
	v_fma_f32 v30, -v19, v28, 1.0
	v_fmac_f32_e32 v28, v30, v28
	v_div_scale_f32 v30, vcc_lo, 1.0, v18, 1.0
	s_delay_alu instid0(VALU_DEP_1) | instskip(NEXT) | instid1(VALU_DEP_1)
	v_mul_f32_e32 v31, v30, v28
	v_fma_f32 v32, -v19, v31, v30
	s_delay_alu instid0(VALU_DEP_1) | instskip(NEXT) | instid1(VALU_DEP_1)
	v_fmac_f32_e32 v31, v32, v28
	v_fma_f32 v19, -v19, v31, v30
	s_delay_alu instid0(VALU_DEP_1) | instskip(NEXT) | instid1(VALU_DEP_1)
	v_div_fmas_f32 v19, v19, v28, v31
	v_div_fixup_f32 v28, v19, v18, 1.0
	s_delay_alu instid0(VALU_DEP_1)
	v_mul_f32_e64 v29, v29, -v28
.LBB103_286:
	s_or_b32 exec_lo, exec_lo, s1
	ds_store_b64 v117, v[28:29]
.LBB103_287:
	s_or_b32 exec_lo, exec_lo, s2
	s_wait_dscnt 0x0
	s_barrier_signal -1
	s_barrier_wait -1
	ds_load_b64 v[18:19], v117
	s_mov_b32 s1, exec_lo
	v_cmpx_lt_u32_e32 31, v116
	s_cbranch_execz .LBB103_289
; %bb.288:
	ds_load_2addr_b64 v[48:51], v118 offset0:32 offset1:33
	s_wait_dscnt 0x1
	v_pk_mul_f32 v[30:31], v[18:19], v[122:123] op_sel:[1,1] op_sel_hi:[0,1]
	s_delay_alu instid0(VALU_DEP_1) | instskip(SKIP_1) | instid1(VALU_DEP_1)
	v_pk_fma_f32 v[28:29], v[18:19], v[122:123], v[30:31] op_sel_hi:[1,0,1] neg_lo:[0,0,1] neg_hi:[0,0,1]
	v_pk_fma_f32 v[30:31], v[18:19], v[122:123], v[30:31] op_sel_hi:[1,0,1]
	v_dual_mov_b32 v122, v28 :: v_dual_mov_b32 v123, v31
	s_wait_dscnt 0x0
	s_delay_alu instid0(VALU_DEP_2) | instskip(NEXT) | instid1(VALU_DEP_1)
	v_pk_mul_f32 v[32:33], v[48:49], v[30:31] op_sel:[0,1]
	v_pk_fma_f32 v[42:43], v[48:49], v[28:29], v[32:33] op_sel:[0,0,1] op_sel_hi:[1,1,0] neg_lo:[0,0,1] neg_hi:[0,0,1]
	v_pk_fma_f32 v[32:33], v[48:49], v[28:29], v[32:33] op_sel:[0,0,1] op_sel_hi:[1,0,0]
	s_delay_alu instid0(VALU_DEP_1) | instskip(SKIP_1) | instid1(VALU_DEP_2)
	v_mov_b32_e32 v43, v33
	v_pk_mul_f32 v[32:33], v[50:51], v[30:31] op_sel:[0,1]
	v_pk_add_f32 v[146:147], v[146:147], v[42:43] neg_lo:[0,1] neg_hi:[0,1]
	s_delay_alu instid0(VALU_DEP_2) | instskip(SKIP_3) | instid1(VALU_DEP_1)
	v_pk_fma_f32 v[42:43], v[50:51], v[28:29], v[32:33] op_sel:[0,0,1] op_sel_hi:[1,1,0] neg_lo:[0,0,1] neg_hi:[0,0,1]
	v_pk_fma_f32 v[32:33], v[50:51], v[28:29], v[32:33] op_sel:[0,0,1] op_sel_hi:[1,0,0]
	ds_load_2addr_b64 v[48:51], v118 offset0:34 offset1:35
	v_mov_b32_e32 v43, v33
	v_pk_add_f32 v[142:143], v[142:143], v[42:43] neg_lo:[0,1] neg_hi:[0,1]
	s_wait_dscnt 0x0
	v_pk_mul_f32 v[32:33], v[48:49], v[30:31] op_sel:[0,1]
	s_delay_alu instid0(VALU_DEP_1) | instskip(SKIP_2) | instid1(VALU_DEP_2)
	v_pk_fma_f32 v[42:43], v[48:49], v[28:29], v[32:33] op_sel:[0,0,1] op_sel_hi:[1,1,0] neg_lo:[0,0,1] neg_hi:[0,0,1]
	v_pk_fma_f32 v[32:33], v[48:49], v[28:29], v[32:33] op_sel:[0,0,1] op_sel_hi:[1,0,0]
	v_dual_mov_b32 v32, v51 :: v_dual_mul_f32 v48, v51, v28
	v_dual_mov_b32 v43, v33 :: v_dual_mov_b32 v33, v50
	s_delay_alu instid0(VALU_DEP_1) | instskip(SKIP_1) | instid1(VALU_DEP_3)
	v_pk_add_f32 v[144:145], v[144:145], v[42:43] neg_lo:[0,1] neg_hi:[0,1]
	v_mul_f32_e32 v42, v51, v31
	v_pk_fma_f32 v[32:33], v[32:33], v[122:123], v[48:49] op_sel_hi:[1,1,0]
	s_delay_alu instid0(VALU_DEP_2) | instskip(SKIP_2) | instid1(VALU_DEP_1)
	v_pk_fma_f32 v[42:43], v[50:51], v[122:123], v[42:43] op_sel_hi:[1,1,0] neg_lo:[0,0,1] neg_hi:[0,0,1]
	ds_load_2addr_b64 v[48:51], v118 offset0:36 offset1:37
	v_mov_b32_e32 v43, v33
	v_pk_add_f32 v[140:141], v[140:141], v[42:43] neg_lo:[0,1] neg_hi:[0,1]
	s_wait_dscnt 0x0
	v_pk_mul_f32 v[32:33], v[48:49], v[30:31] op_sel:[0,1]
	s_delay_alu instid0(VALU_DEP_1) | instskip(SKIP_1) | instid1(VALU_DEP_1)
	v_pk_fma_f32 v[42:43], v[48:49], v[28:29], v[32:33] op_sel:[0,0,1] op_sel_hi:[1,1,0] neg_lo:[0,0,1] neg_hi:[0,0,1]
	v_pk_fma_f32 v[32:33], v[48:49], v[28:29], v[32:33] op_sel:[0,0,1] op_sel_hi:[1,0,0]
	v_mov_b32_e32 v43, v33
	v_pk_mul_f32 v[32:33], v[50:51], v[30:31] op_sel:[0,1]
	s_delay_alu instid0(VALU_DEP_2) | instskip(NEXT) | instid1(VALU_DEP_2)
	v_pk_add_f32 v[162:163], v[162:163], v[42:43] neg_lo:[0,1] neg_hi:[0,1]
	v_pk_fma_f32 v[42:43], v[50:51], v[28:29], v[32:33] op_sel:[0,0,1] op_sel_hi:[1,1,0] neg_lo:[0,0,1] neg_hi:[0,0,1]
	v_pk_fma_f32 v[32:33], v[50:51], v[28:29], v[32:33] op_sel:[0,0,1] op_sel_hi:[1,0,0]
	ds_load_2addr_b64 v[48:51], v118 offset0:38 offset1:39
	v_mov_b32_e32 v43, v33
	s_delay_alu instid0(VALU_DEP_1) | instskip(SKIP_2) | instid1(VALU_DEP_1)
	v_pk_add_f32 v[158:159], v[158:159], v[42:43] neg_lo:[0,1] neg_hi:[0,1]
	s_wait_dscnt 0x0
	v_pk_mul_f32 v[32:33], v[48:49], v[30:31] op_sel:[0,1]
	v_pk_fma_f32 v[42:43], v[48:49], v[28:29], v[32:33] op_sel:[0,0,1] op_sel_hi:[1,1,0] neg_lo:[0,0,1] neg_hi:[0,0,1]
	v_pk_fma_f32 v[32:33], v[48:49], v[28:29], v[32:33] op_sel:[0,0,1] op_sel_hi:[1,0,0]
	s_delay_alu instid0(VALU_DEP_1) | instskip(SKIP_1) | instid1(VALU_DEP_2)
	v_mov_b32_e32 v43, v33
	v_pk_mul_f32 v[32:33], v[50:51], v[30:31] op_sel:[0,1]
	v_pk_add_f32 v[160:161], v[160:161], v[42:43] neg_lo:[0,1] neg_hi:[0,1]
	s_delay_alu instid0(VALU_DEP_2) | instskip(SKIP_3) | instid1(VALU_DEP_1)
	v_pk_fma_f32 v[42:43], v[50:51], v[28:29], v[32:33] op_sel:[0,0,1] op_sel_hi:[1,1,0] neg_lo:[0,0,1] neg_hi:[0,0,1]
	v_pk_fma_f32 v[32:33], v[50:51], v[28:29], v[32:33] op_sel:[0,0,1] op_sel_hi:[1,0,0]
	ds_load_2addr_b64 v[48:51], v118 offset0:40 offset1:41
	v_mov_b32_e32 v43, v33
	v_pk_add_f32 v[156:157], v[156:157], v[42:43] neg_lo:[0,1] neg_hi:[0,1]
	s_wait_dscnt 0x0
	v_dual_mul_f32 v32, v49, v31 :: v_dual_mul_f32 v42, v49, v28
	s_delay_alu instid0(VALU_DEP_1) | instskip(NEXT) | instid1(VALU_DEP_2)
	v_pk_fma_f32 v[32:33], v[48:49], v[122:123], v[32:33] op_sel_hi:[1,1,0] neg_lo:[0,0,1] neg_hi:[0,0,1]
	v_pk_fma_f32 v[42:43], v[48:49], v[122:123], v[42:43] op_sel:[1,0,0] op_sel_hi:[0,1,0]
	s_delay_alu instid0(VALU_DEP_1) | instskip(NEXT) | instid1(VALU_DEP_1)
	v_mov_b32_e32 v33, v43
	v_pk_add_f32 v[182:183], v[182:183], v[32:33] neg_lo:[0,1] neg_hi:[0,1]
	v_pk_mul_f32 v[32:33], v[50:51], v[30:31] op_sel:[0,1]
	s_delay_alu instid0(VALU_DEP_1) | instskip(SKIP_3) | instid1(VALU_DEP_1)
	v_pk_fma_f32 v[42:43], v[50:51], v[28:29], v[32:33] op_sel:[0,0,1] op_sel_hi:[1,1,0] neg_lo:[0,0,1] neg_hi:[0,0,1]
	v_pk_fma_f32 v[32:33], v[50:51], v[28:29], v[32:33] op_sel:[0,0,1] op_sel_hi:[1,0,0]
	ds_load_2addr_b64 v[48:51], v118 offset0:42 offset1:43
	v_mov_b32_e32 v43, v33
	v_pk_add_f32 v[178:179], v[178:179], v[42:43] neg_lo:[0,1] neg_hi:[0,1]
	s_wait_dscnt 0x0
	v_pk_mul_f32 v[32:33], v[48:49], v[30:31] op_sel:[0,1]
	s_delay_alu instid0(VALU_DEP_1) | instskip(SKIP_1) | instid1(VALU_DEP_1)
	v_pk_fma_f32 v[42:43], v[48:49], v[28:29], v[32:33] op_sel:[0,0,1] op_sel_hi:[1,1,0] neg_lo:[0,0,1] neg_hi:[0,0,1]
	v_pk_fma_f32 v[32:33], v[48:49], v[28:29], v[32:33] op_sel:[0,0,1] op_sel_hi:[1,0,0]
	v_mov_b32_e32 v43, v33
	v_pk_mul_f32 v[32:33], v[50:51], v[30:31] op_sel:[0,1]
	s_delay_alu instid0(VALU_DEP_2) | instskip(NEXT) | instid1(VALU_DEP_2)
	v_pk_add_f32 v[180:181], v[180:181], v[42:43] neg_lo:[0,1] neg_hi:[0,1]
	v_pk_fma_f32 v[42:43], v[50:51], v[28:29], v[32:33] op_sel:[0,0,1] op_sel_hi:[1,1,0] neg_lo:[0,0,1] neg_hi:[0,0,1]
	v_pk_fma_f32 v[32:33], v[50:51], v[28:29], v[32:33] op_sel:[0,0,1] op_sel_hi:[1,0,0]
	ds_load_2addr_b64 v[48:51], v118 offset0:44 offset1:45
	v_mov_b32_e32 v43, v33
	s_delay_alu instid0(VALU_DEP_1) | instskip(SKIP_2) | instid1(VALU_DEP_1)
	v_pk_add_f32 v[176:177], v[176:177], v[42:43] neg_lo:[0,1] neg_hi:[0,1]
	s_wait_dscnt 0x0
	v_pk_mul_f32 v[32:33], v[48:49], v[30:31] op_sel:[0,1]
	v_pk_fma_f32 v[42:43], v[48:49], v[28:29], v[32:33] op_sel:[0,0,1] op_sel_hi:[1,1,0] neg_lo:[0,0,1] neg_hi:[0,0,1]
	v_pk_fma_f32 v[32:33], v[48:49], v[28:29], v[32:33] op_sel:[0,0,1] op_sel_hi:[1,0,0]
	v_dual_mov_b32 v32, v51 :: v_dual_mul_f32 v48, v51, v28
	s_delay_alu instid0(VALU_DEP_2) | instskip(NEXT) | instid1(VALU_DEP_1)
	v_dual_mov_b32 v43, v33 :: v_dual_mov_b32 v33, v50
	v_pk_add_f32 v[204:205], v[204:205], v[42:43] neg_lo:[0,1] neg_hi:[0,1]
	v_mul_f32_e32 v42, v51, v31
	s_delay_alu instid0(VALU_DEP_3) | instskip(NEXT) | instid1(VALU_DEP_2)
	v_pk_fma_f32 v[32:33], v[32:33], v[122:123], v[48:49] op_sel_hi:[1,1,0]
	v_pk_fma_f32 v[42:43], v[50:51], v[122:123], v[42:43] op_sel_hi:[1,1,0] neg_lo:[0,0,1] neg_hi:[0,0,1]
	ds_load_2addr_b64 v[48:51], v118 offset0:46 offset1:47
	v_mov_b32_e32 v43, v33
	s_delay_alu instid0(VALU_DEP_1) | instskip(SKIP_2) | instid1(VALU_DEP_1)
	v_pk_add_f32 v[198:199], v[198:199], v[42:43] neg_lo:[0,1] neg_hi:[0,1]
	s_wait_dscnt 0x0
	v_pk_mul_f32 v[32:33], v[48:49], v[30:31] op_sel:[0,1]
	v_pk_fma_f32 v[42:43], v[48:49], v[28:29], v[32:33] op_sel:[0,0,1] op_sel_hi:[1,1,0] neg_lo:[0,0,1] neg_hi:[0,0,1]
	v_pk_fma_f32 v[32:33], v[48:49], v[28:29], v[32:33] op_sel:[0,0,1] op_sel_hi:[1,0,0]
	s_delay_alu instid0(VALU_DEP_1) | instskip(SKIP_1) | instid1(VALU_DEP_2)
	v_mov_b32_e32 v43, v33
	v_pk_mul_f32 v[32:33], v[50:51], v[30:31] op_sel:[0,1]
	v_pk_add_f32 v[202:203], v[202:203], v[42:43] neg_lo:[0,1] neg_hi:[0,1]
	s_delay_alu instid0(VALU_DEP_2) | instskip(SKIP_3) | instid1(VALU_DEP_1)
	v_pk_fma_f32 v[42:43], v[50:51], v[28:29], v[32:33] op_sel:[0,0,1] op_sel_hi:[1,1,0] neg_lo:[0,0,1] neg_hi:[0,0,1]
	v_pk_fma_f32 v[32:33], v[50:51], v[28:29], v[32:33] op_sel:[0,0,1] op_sel_hi:[1,0,0]
	ds_load_2addr_b64 v[48:51], v118 offset0:48 offset1:49
	v_mov_b32_e32 v43, v33
	v_pk_add_f32 v[196:197], v[196:197], v[42:43] neg_lo:[0,1] neg_hi:[0,1]
	s_wait_dscnt 0x0
	v_pk_mul_f32 v[32:33], v[48:49], v[30:31] op_sel:[0,1]
	s_delay_alu instid0(VALU_DEP_1) | instskip(SKIP_1) | instid1(VALU_DEP_1)
	v_pk_fma_f32 v[42:43], v[48:49], v[28:29], v[32:33] op_sel:[0,0,1] op_sel_hi:[1,1,0] neg_lo:[0,0,1] neg_hi:[0,0,1]
	v_pk_fma_f32 v[32:33], v[48:49], v[28:29], v[32:33] op_sel:[0,0,1] op_sel_hi:[1,0,0]
	v_mov_b32_e32 v43, v33
	v_pk_mul_f32 v[32:33], v[50:51], v[30:31] op_sel:[0,1]
	s_delay_alu instid0(VALU_DEP_2) | instskip(NEXT) | instid1(VALU_DEP_2)
	v_pk_add_f32 v[200:201], v[200:201], v[42:43] neg_lo:[0,1] neg_hi:[0,1]
	v_pk_fma_f32 v[42:43], v[50:51], v[28:29], v[32:33] op_sel:[0,0,1] op_sel_hi:[1,1,0] neg_lo:[0,0,1] neg_hi:[0,0,1]
	v_pk_fma_f32 v[32:33], v[50:51], v[28:29], v[32:33] op_sel:[0,0,1] op_sel_hi:[1,0,0]
	ds_load_2addr_b64 v[48:51], v118 offset0:50 offset1:51
	v_mov_b32_e32 v43, v33
	s_delay_alu instid0(VALU_DEP_1) | instskip(SKIP_3) | instid1(VALU_DEP_2)
	v_pk_add_f32 v[194:195], v[194:195], v[42:43] neg_lo:[0,1] neg_hi:[0,1]
	s_wait_dscnt 0x0
	v_dual_mul_f32 v42, v49, v28 :: v_dual_mul_f32 v32, v49, v31
	v_pk_mul_f32 v[30:31], v[50:51], v[30:31] op_sel:[0,1]
	v_pk_fma_f32 v[42:43], v[48:49], v[122:123], v[42:43] op_sel:[1,0,0] op_sel_hi:[0,1,0]
	s_delay_alu instid0(VALU_DEP_3) | instskip(NEXT) | instid1(VALU_DEP_2)
	v_pk_fma_f32 v[32:33], v[48:49], v[122:123], v[32:33] op_sel_hi:[1,1,0] neg_lo:[0,0,1] neg_hi:[0,0,1]
	v_mov_b32_e32 v33, v43
	s_delay_alu instid0(VALU_DEP_1) | instskip(SKIP_2) | instid1(VALU_DEP_1)
	v_pk_add_f32 v[206:207], v[206:207], v[32:33] neg_lo:[0,1] neg_hi:[0,1]
	v_pk_fma_f32 v[32:33], v[50:51], v[28:29], v[30:31] op_sel:[0,0,1] op_sel_hi:[1,1,0] neg_lo:[0,0,1] neg_hi:[0,0,1]
	v_pk_fma_f32 v[28:29], v[50:51], v[28:29], v[30:31] op_sel:[0,0,1] op_sel_hi:[1,0,0]
	v_mov_b32_e32 v33, v29
	s_delay_alu instid0(VALU_DEP_1)
	v_pk_add_f32 v[208:209], v[208:209], v[32:33] neg_lo:[0,1] neg_hi:[0,1]
.LBB103_289:
	s_or_b32 exec_lo, exec_lo, s1
	s_delay_alu instid0(SALU_CYCLE_1)
	s_mov_b32 s2, exec_lo
	s_wait_dscnt 0x0
	s_barrier_signal -1
	s_barrier_wait -1
	v_cmpx_eq_u32_e32 32, v116
	s_cbranch_execz .LBB103_296
; %bb.290:
	ds_store_b64 v117, v[146:147]
	ds_store_2addr_b64 v118, v[142:143], v[144:145] offset0:33 offset1:34
	ds_store_2addr_b64 v118, v[140:141], v[162:163] offset0:35 offset1:36
	;; [unrolled: 1-line block ×9, first 2 shown]
	ds_store_b64 v118, v[208:209] offset:408
	ds_load_b64 v[28:29], v117
	s_wait_dscnt 0x0
	v_cmp_neq_f32_e32 vcc_lo, 0, v28
	v_cmp_neq_f32_e64 s1, 0, v29
	s_or_b32 s1, vcc_lo, s1
	s_delay_alu instid0(SALU_CYCLE_1)
	s_and_b32 exec_lo, exec_lo, s1
	s_cbranch_execz .LBB103_296
; %bb.291:
	v_cmp_ngt_f32_e64 s1, |v28|, |v29|
                                        ; implicit-def: $vgpr30_vgpr31
	s_and_saveexec_b32 s4, s1
	s_delay_alu instid0(SALU_CYCLE_1)
	s_xor_b32 s1, exec_lo, s4
	s_cbranch_execz .LBB103_293
; %bb.292:
	v_div_scale_f32 v30, null, v29, v29, v28
	v_div_scale_f32 v33, vcc_lo, v28, v29, v28
	s_delay_alu instid0(VALU_DEP_2) | instskip(SKIP_1) | instid1(TRANS32_DEP_1)
	v_rcp_f32_e32 v31, v30
	v_nop
	v_fma_f32 v32, -v30, v31, 1.0
	s_delay_alu instid0(VALU_DEP_1) | instskip(NEXT) | instid1(VALU_DEP_1)
	v_fmac_f32_e32 v31, v32, v31
	v_mul_f32_e32 v32, v33, v31
	s_delay_alu instid0(VALU_DEP_1) | instskip(NEXT) | instid1(VALU_DEP_1)
	v_fma_f32 v42, -v30, v32, v33
	v_fmac_f32_e32 v32, v42, v31
	s_delay_alu instid0(VALU_DEP_1) | instskip(NEXT) | instid1(VALU_DEP_1)
	v_fma_f32 v30, -v30, v32, v33
	v_div_fmas_f32 v30, v30, v31, v32
	s_delay_alu instid0(VALU_DEP_1) | instskip(NEXT) | instid1(VALU_DEP_1)
	v_div_fixup_f32 v30, v30, v29, v28
	v_fmac_f32_e32 v29, v28, v30
	s_delay_alu instid0(VALU_DEP_1) | instskip(SKIP_1) | instid1(VALU_DEP_2)
	v_div_scale_f32 v28, null, v29, v29, 1.0
	v_div_scale_f32 v33, vcc_lo, 1.0, v29, 1.0
	v_rcp_f32_e32 v31, v28
	v_nop
	s_delay_alu instid0(TRANS32_DEP_1) | instskip(NEXT) | instid1(VALU_DEP_1)
	v_fma_f32 v32, -v28, v31, 1.0
	v_fmac_f32_e32 v31, v32, v31
	s_delay_alu instid0(VALU_DEP_1) | instskip(NEXT) | instid1(VALU_DEP_1)
	v_mul_f32_e32 v32, v33, v31
	v_fma_f32 v42, -v28, v32, v33
	s_delay_alu instid0(VALU_DEP_1) | instskip(NEXT) | instid1(VALU_DEP_1)
	v_fmac_f32_e32 v32, v42, v31
	v_fma_f32 v28, -v28, v32, v33
	s_delay_alu instid0(VALU_DEP_1) | instskip(NEXT) | instid1(VALU_DEP_1)
	v_div_fmas_f32 v28, v28, v31, v32
	v_div_fixup_f32 v28, v28, v29, 1.0
	s_delay_alu instid0(VALU_DEP_1)
	v_mul_f32_e32 v30, v30, v28
	v_xor_b32_e32 v31, 0x80000000, v28
                                        ; implicit-def: $vgpr28_vgpr29
.LBB103_293:
	s_and_not1_saveexec_b32 s1, s1
	s_cbranch_execz .LBB103_295
; %bb.294:
	v_div_scale_f32 v30, null, v28, v28, v29
	v_div_scale_f32 v33, vcc_lo, v29, v28, v29
	s_delay_alu instid0(VALU_DEP_2) | instskip(SKIP_1) | instid1(TRANS32_DEP_1)
	v_rcp_f32_e32 v31, v30
	v_nop
	v_fma_f32 v32, -v30, v31, 1.0
	s_delay_alu instid0(VALU_DEP_1) | instskip(NEXT) | instid1(VALU_DEP_1)
	v_fmac_f32_e32 v31, v32, v31
	v_mul_f32_e32 v32, v33, v31
	s_delay_alu instid0(VALU_DEP_1) | instskip(NEXT) | instid1(VALU_DEP_1)
	v_fma_f32 v42, -v30, v32, v33
	v_fmac_f32_e32 v32, v42, v31
	s_delay_alu instid0(VALU_DEP_1) | instskip(NEXT) | instid1(VALU_DEP_1)
	v_fma_f32 v30, -v30, v32, v33
	v_div_fmas_f32 v30, v30, v31, v32
	s_delay_alu instid0(VALU_DEP_1) | instskip(NEXT) | instid1(VALU_DEP_1)
	v_div_fixup_f32 v31, v30, v28, v29
	v_fmac_f32_e32 v28, v29, v31
	s_delay_alu instid0(VALU_DEP_1) | instskip(NEXT) | instid1(VALU_DEP_1)
	v_div_scale_f32 v29, null, v28, v28, 1.0
	v_rcp_f32_e32 v30, v29
	v_nop
	s_delay_alu instid0(TRANS32_DEP_1) | instskip(NEXT) | instid1(VALU_DEP_1)
	v_fma_f32 v32, -v29, v30, 1.0
	v_fmac_f32_e32 v30, v32, v30
	v_div_scale_f32 v32, vcc_lo, 1.0, v28, 1.0
	s_delay_alu instid0(VALU_DEP_1) | instskip(NEXT) | instid1(VALU_DEP_1)
	v_mul_f32_e32 v33, v32, v30
	v_fma_f32 v42, -v29, v33, v32
	s_delay_alu instid0(VALU_DEP_1) | instskip(NEXT) | instid1(VALU_DEP_1)
	v_fmac_f32_e32 v33, v42, v30
	v_fma_f32 v29, -v29, v33, v32
	s_delay_alu instid0(VALU_DEP_1) | instskip(NEXT) | instid1(VALU_DEP_1)
	v_div_fmas_f32 v29, v29, v30, v33
	v_div_fixup_f32 v30, v29, v28, 1.0
	s_delay_alu instid0(VALU_DEP_1)
	v_mul_f32_e64 v31, v31, -v30
.LBB103_295:
	s_or_b32 exec_lo, exec_lo, s1
	ds_store_b64 v117, v[30:31]
.LBB103_296:
	s_or_b32 exec_lo, exec_lo, s2
	s_wait_dscnt 0x0
	s_barrier_signal -1
	s_barrier_wait -1
	ds_load_b64 v[28:29], v117
	s_mov_b32 s1, exec_lo
	v_cmpx_lt_u32_e32 32, v116
	s_cbranch_execz .LBB103_298
; %bb.297:
	ds_load_2addr_b64 v[48:51], v118 offset0:33 offset1:34
	s_wait_dscnt 0x1
	v_pk_mul_f32 v[32:33], v[28:29], v[146:147] op_sel:[1,1] op_sel_hi:[0,1]
	s_delay_alu instid0(VALU_DEP_1) | instskip(SKIP_1) | instid1(VALU_DEP_1)
	v_pk_fma_f32 v[30:31], v[28:29], v[146:147], v[32:33] op_sel_hi:[1,0,1] neg_lo:[0,0,1] neg_hi:[0,0,1]
	v_pk_fma_f32 v[32:33], v[28:29], v[146:147], v[32:33] op_sel_hi:[1,0,1]
	v_dual_mov_b32 v146, v30 :: v_dual_mov_b32 v147, v33
	s_wait_dscnt 0x0
	s_delay_alu instid0(VALU_DEP_2) | instskip(NEXT) | instid1(VALU_DEP_1)
	v_pk_mul_f32 v[42:43], v[48:49], v[32:33] op_sel:[0,1]
	v_pk_fma_f32 v[52:53], v[48:49], v[30:31], v[42:43] op_sel:[0,0,1] op_sel_hi:[1,1,0] neg_lo:[0,0,1] neg_hi:[0,0,1]
	v_pk_fma_f32 v[42:43], v[48:49], v[30:31], v[42:43] op_sel:[0,0,1] op_sel_hi:[1,0,0]
	s_delay_alu instid0(VALU_DEP_1) | instskip(SKIP_1) | instid1(VALU_DEP_1)
	v_mov_b32_e32 v53, v43
	v_pk_mul_f32 v[42:43], v[50:51], v[32:33] op_sel:[0,1]
	v_pk_fma_f32 v[48:49], v[50:51], v[30:31], v[42:43] op_sel:[0,0,1] op_sel_hi:[1,1,0] neg_lo:[0,0,1] neg_hi:[0,0,1]
	v_pk_fma_f32 v[42:43], v[50:51], v[30:31], v[42:43] op_sel:[0,0,1] op_sel_hi:[1,0,0]
	s_delay_alu instid0(VALU_DEP_1) | instskip(SKIP_1) | instid1(VALU_DEP_2)
	v_mov_b32_e32 v49, v43
	v_pk_add_f32 v[142:143], v[142:143], v[52:53] neg_lo:[0,1] neg_hi:[0,1]
	v_pk_add_f32 v[144:145], v[144:145], v[48:49] neg_lo:[0,1] neg_hi:[0,1]
	ds_load_2addr_b64 v[48:51], v118 offset0:35 offset1:36
	s_wait_dscnt 0x0
	v_pk_mul_f32 v[42:43], v[48:49], v[32:33] op_sel:[0,1]
	s_delay_alu instid0(VALU_DEP_1) | instskip(SKIP_2) | instid1(VALU_DEP_2)
	v_pk_fma_f32 v[52:53], v[48:49], v[30:31], v[42:43] op_sel:[0,0,1] op_sel_hi:[1,1,0] neg_lo:[0,0,1] neg_hi:[0,0,1]
	v_pk_fma_f32 v[42:43], v[48:49], v[30:31], v[42:43] op_sel:[0,0,1] op_sel_hi:[1,0,0]
	v_dual_mul_f32 v48, v51, v33 :: v_dual_mov_b32 v42, v51
	v_dual_mov_b32 v53, v43 :: v_dual_mov_b32 v43, v50
	s_delay_alu instid0(VALU_DEP_2) | instskip(SKIP_1) | instid1(VALU_DEP_3)
	v_pk_fma_f32 v[48:49], v[50:51], v[146:147], v[48:49] op_sel_hi:[1,1,0] neg_lo:[0,0,1] neg_hi:[0,0,1]
	v_mul_f32_e32 v50, v51, v30
	v_pk_add_f32 v[140:141], v[140:141], v[52:53] neg_lo:[0,1] neg_hi:[0,1]
	s_delay_alu instid0(VALU_DEP_2) | instskip(NEXT) | instid1(VALU_DEP_1)
	v_pk_fma_f32 v[42:43], v[42:43], v[146:147], v[50:51] op_sel_hi:[1,1,0]
	v_mov_b32_e32 v49, v43
	s_delay_alu instid0(VALU_DEP_1) | instskip(SKIP_3) | instid1(VALU_DEP_1)
	v_pk_add_f32 v[162:163], v[162:163], v[48:49] neg_lo:[0,1] neg_hi:[0,1]
	ds_load_2addr_b64 v[48:51], v118 offset0:37 offset1:38
	s_wait_dscnt 0x0
	v_pk_mul_f32 v[42:43], v[48:49], v[32:33] op_sel:[0,1]
	v_pk_fma_f32 v[52:53], v[48:49], v[30:31], v[42:43] op_sel:[0,0,1] op_sel_hi:[1,1,0] neg_lo:[0,0,1] neg_hi:[0,0,1]
	v_pk_fma_f32 v[42:43], v[48:49], v[30:31], v[42:43] op_sel:[0,0,1] op_sel_hi:[1,0,0]
	s_delay_alu instid0(VALU_DEP_1) | instskip(SKIP_1) | instid1(VALU_DEP_2)
	v_mov_b32_e32 v53, v43
	v_pk_mul_f32 v[42:43], v[50:51], v[32:33] op_sel:[0,1]
	v_pk_add_f32 v[158:159], v[158:159], v[52:53] neg_lo:[0,1] neg_hi:[0,1]
	s_delay_alu instid0(VALU_DEP_2) | instskip(SKIP_1) | instid1(VALU_DEP_1)
	v_pk_fma_f32 v[48:49], v[50:51], v[30:31], v[42:43] op_sel:[0,0,1] op_sel_hi:[1,1,0] neg_lo:[0,0,1] neg_hi:[0,0,1]
	v_pk_fma_f32 v[42:43], v[50:51], v[30:31], v[42:43] op_sel:[0,0,1] op_sel_hi:[1,0,0]
	v_mov_b32_e32 v49, v43
	s_delay_alu instid0(VALU_DEP_1) | instskip(SKIP_3) | instid1(VALU_DEP_1)
	v_pk_add_f32 v[160:161], v[160:161], v[48:49] neg_lo:[0,1] neg_hi:[0,1]
	ds_load_2addr_b64 v[48:51], v118 offset0:39 offset1:40
	s_wait_dscnt 0x0
	v_pk_mul_f32 v[42:43], v[48:49], v[32:33] op_sel:[0,1]
	v_pk_fma_f32 v[52:53], v[48:49], v[30:31], v[42:43] op_sel:[0,0,1] op_sel_hi:[1,1,0] neg_lo:[0,0,1] neg_hi:[0,0,1]
	v_pk_fma_f32 v[42:43], v[48:49], v[30:31], v[42:43] op_sel:[0,0,1] op_sel_hi:[1,0,0]
	s_delay_alu instid0(VALU_DEP_1) | instskip(SKIP_1) | instid1(VALU_DEP_2)
	v_mov_b32_e32 v53, v43
	v_pk_mul_f32 v[42:43], v[50:51], v[32:33] op_sel:[0,1]
	v_pk_add_f32 v[156:157], v[156:157], v[52:53] neg_lo:[0,1] neg_hi:[0,1]
	s_delay_alu instid0(VALU_DEP_2) | instskip(SKIP_1) | instid1(VALU_DEP_1)
	v_pk_fma_f32 v[48:49], v[50:51], v[30:31], v[42:43] op_sel:[0,0,1] op_sel_hi:[1,1,0] neg_lo:[0,0,1] neg_hi:[0,0,1]
	v_pk_fma_f32 v[42:43], v[50:51], v[30:31], v[42:43] op_sel:[0,0,1] op_sel_hi:[1,0,0]
	v_mov_b32_e32 v49, v43
	s_delay_alu instid0(VALU_DEP_1) | instskip(SKIP_3) | instid1(VALU_DEP_1)
	v_pk_add_f32 v[182:183], v[182:183], v[48:49] neg_lo:[0,1] neg_hi:[0,1]
	ds_load_2addr_b64 v[48:51], v118 offset0:41 offset1:42
	s_wait_dscnt 0x0
	v_dual_mul_f32 v42, v49, v33 :: v_dual_mul_f32 v52, v49, v30
	v_pk_fma_f32 v[42:43], v[48:49], v[146:147], v[42:43] op_sel_hi:[1,1,0] neg_lo:[0,0,1] neg_hi:[0,0,1]
	s_delay_alu instid0(VALU_DEP_2) | instskip(NEXT) | instid1(VALU_DEP_1)
	v_pk_fma_f32 v[48:49], v[48:49], v[146:147], v[52:53] op_sel:[1,0,0] op_sel_hi:[0,1,0]
	v_mov_b32_e32 v43, v49
	s_delay_alu instid0(VALU_DEP_1) | instskip(SKIP_1) | instid1(VALU_DEP_1)
	v_pk_add_f32 v[178:179], v[178:179], v[42:43] neg_lo:[0,1] neg_hi:[0,1]
	v_pk_mul_f32 v[42:43], v[50:51], v[32:33] op_sel:[0,1]
	v_pk_fma_f32 v[48:49], v[50:51], v[30:31], v[42:43] op_sel:[0,0,1] op_sel_hi:[1,1,0] neg_lo:[0,0,1] neg_hi:[0,0,1]
	v_pk_fma_f32 v[42:43], v[50:51], v[30:31], v[42:43] op_sel:[0,0,1] op_sel_hi:[1,0,0]
	s_delay_alu instid0(VALU_DEP_1) | instskip(NEXT) | instid1(VALU_DEP_1)
	v_mov_b32_e32 v49, v43
	v_pk_add_f32 v[180:181], v[180:181], v[48:49] neg_lo:[0,1] neg_hi:[0,1]
	ds_load_2addr_b64 v[48:51], v118 offset0:43 offset1:44
	s_wait_dscnt 0x0
	v_pk_mul_f32 v[42:43], v[48:49], v[32:33] op_sel:[0,1]
	s_delay_alu instid0(VALU_DEP_1) | instskip(SKIP_1) | instid1(VALU_DEP_1)
	v_pk_fma_f32 v[52:53], v[48:49], v[30:31], v[42:43] op_sel:[0,0,1] op_sel_hi:[1,1,0] neg_lo:[0,0,1] neg_hi:[0,0,1]
	v_pk_fma_f32 v[42:43], v[48:49], v[30:31], v[42:43] op_sel:[0,0,1] op_sel_hi:[1,0,0]
	v_mov_b32_e32 v53, v43
	v_pk_mul_f32 v[42:43], v[50:51], v[32:33] op_sel:[0,1]
	s_delay_alu instid0(VALU_DEP_2) | instskip(NEXT) | instid1(VALU_DEP_2)
	v_pk_add_f32 v[176:177], v[176:177], v[52:53] neg_lo:[0,1] neg_hi:[0,1]
	v_pk_fma_f32 v[48:49], v[50:51], v[30:31], v[42:43] op_sel:[0,0,1] op_sel_hi:[1,1,0] neg_lo:[0,0,1] neg_hi:[0,0,1]
	v_pk_fma_f32 v[42:43], v[50:51], v[30:31], v[42:43] op_sel:[0,0,1] op_sel_hi:[1,0,0]
	s_delay_alu instid0(VALU_DEP_1) | instskip(NEXT) | instid1(VALU_DEP_1)
	v_mov_b32_e32 v49, v43
	v_pk_add_f32 v[204:205], v[204:205], v[48:49] neg_lo:[0,1] neg_hi:[0,1]
	ds_load_2addr_b64 v[48:51], v118 offset0:45 offset1:46
	s_wait_dscnt 0x0
	v_pk_mul_f32 v[42:43], v[48:49], v[32:33] op_sel:[0,1]
	s_delay_alu instid0(VALU_DEP_1) | instskip(SKIP_2) | instid1(VALU_DEP_2)
	v_pk_fma_f32 v[52:53], v[48:49], v[30:31], v[42:43] op_sel:[0,0,1] op_sel_hi:[1,1,0] neg_lo:[0,0,1] neg_hi:[0,0,1]
	v_pk_fma_f32 v[42:43], v[48:49], v[30:31], v[42:43] op_sel:[0,0,1] op_sel_hi:[1,0,0]
	v_dual_mul_f32 v48, v51, v33 :: v_dual_mov_b32 v42, v51
	v_dual_mov_b32 v53, v43 :: v_dual_mov_b32 v43, v50
	s_delay_alu instid0(VALU_DEP_2) | instskip(SKIP_1) | instid1(VALU_DEP_3)
	v_pk_fma_f32 v[48:49], v[50:51], v[146:147], v[48:49] op_sel_hi:[1,1,0] neg_lo:[0,0,1] neg_hi:[0,0,1]
	v_mul_f32_e32 v50, v51, v30
	v_pk_add_f32 v[198:199], v[198:199], v[52:53] neg_lo:[0,1] neg_hi:[0,1]
	s_delay_alu instid0(VALU_DEP_2) | instskip(NEXT) | instid1(VALU_DEP_1)
	v_pk_fma_f32 v[42:43], v[42:43], v[146:147], v[50:51] op_sel_hi:[1,1,0]
	v_mov_b32_e32 v49, v43
	s_delay_alu instid0(VALU_DEP_1) | instskip(SKIP_3) | instid1(VALU_DEP_1)
	v_pk_add_f32 v[202:203], v[202:203], v[48:49] neg_lo:[0,1] neg_hi:[0,1]
	ds_load_2addr_b64 v[48:51], v118 offset0:47 offset1:48
	s_wait_dscnt 0x0
	v_pk_mul_f32 v[42:43], v[48:49], v[32:33] op_sel:[0,1]
	v_pk_fma_f32 v[52:53], v[48:49], v[30:31], v[42:43] op_sel:[0,0,1] op_sel_hi:[1,1,0] neg_lo:[0,0,1] neg_hi:[0,0,1]
	v_pk_fma_f32 v[42:43], v[48:49], v[30:31], v[42:43] op_sel:[0,0,1] op_sel_hi:[1,0,0]
	s_delay_alu instid0(VALU_DEP_1) | instskip(SKIP_1) | instid1(VALU_DEP_2)
	v_mov_b32_e32 v53, v43
	v_pk_mul_f32 v[42:43], v[50:51], v[32:33] op_sel:[0,1]
	v_pk_add_f32 v[196:197], v[196:197], v[52:53] neg_lo:[0,1] neg_hi:[0,1]
	s_delay_alu instid0(VALU_DEP_2) | instskip(SKIP_1) | instid1(VALU_DEP_1)
	v_pk_fma_f32 v[48:49], v[50:51], v[30:31], v[42:43] op_sel:[0,0,1] op_sel_hi:[1,1,0] neg_lo:[0,0,1] neg_hi:[0,0,1]
	v_pk_fma_f32 v[42:43], v[50:51], v[30:31], v[42:43] op_sel:[0,0,1] op_sel_hi:[1,0,0]
	v_mov_b32_e32 v49, v43
	s_delay_alu instid0(VALU_DEP_1) | instskip(SKIP_3) | instid1(VALU_DEP_1)
	v_pk_add_f32 v[200:201], v[200:201], v[48:49] neg_lo:[0,1] neg_hi:[0,1]
	ds_load_2addr_b64 v[48:51], v118 offset0:49 offset1:50
	s_wait_dscnt 0x0
	v_pk_mul_f32 v[42:43], v[48:49], v[32:33] op_sel:[0,1]
	v_pk_fma_f32 v[52:53], v[48:49], v[30:31], v[42:43] op_sel:[0,0,1] op_sel_hi:[1,1,0] neg_lo:[0,0,1] neg_hi:[0,0,1]
	v_pk_fma_f32 v[42:43], v[48:49], v[30:31], v[42:43] op_sel:[0,0,1] op_sel_hi:[1,0,0]
	s_delay_alu instid0(VALU_DEP_1) | instskip(SKIP_1) | instid1(VALU_DEP_2)
	v_mov_b32_e32 v53, v43
	v_pk_mul_f32 v[42:43], v[50:51], v[32:33] op_sel:[0,1]
	v_pk_add_f32 v[194:195], v[194:195], v[52:53] neg_lo:[0,1] neg_hi:[0,1]
	s_delay_alu instid0(VALU_DEP_2) | instskip(SKIP_1) | instid1(VALU_DEP_1)
	v_pk_fma_f32 v[48:49], v[50:51], v[30:31], v[42:43] op_sel:[0,0,1] op_sel_hi:[1,1,0] neg_lo:[0,0,1] neg_hi:[0,0,1]
	v_pk_fma_f32 v[42:43], v[50:51], v[30:31], v[42:43] op_sel:[0,0,1] op_sel_hi:[1,0,0]
	v_mov_b32_e32 v49, v43
	ds_load_b64 v[42:43], v118 offset:408
	v_pk_add_f32 v[206:207], v[206:207], v[48:49] neg_lo:[0,1] neg_hi:[0,1]
	s_wait_dscnt 0x0
	v_pk_mul_f32 v[32:33], v[42:43], v[32:33] op_sel:[0,1]
	s_delay_alu instid0(VALU_DEP_1) | instskip(SKIP_1) | instid1(VALU_DEP_1)
	v_pk_fma_f32 v[48:49], v[42:43], v[30:31], v[32:33] op_sel:[0,0,1] op_sel_hi:[1,1,0] neg_lo:[0,0,1] neg_hi:[0,0,1]
	v_pk_fma_f32 v[30:31], v[42:43], v[30:31], v[32:33] op_sel:[0,0,1] op_sel_hi:[1,0,0]
	v_mov_b32_e32 v49, v31
	s_delay_alu instid0(VALU_DEP_1)
	v_pk_add_f32 v[208:209], v[208:209], v[48:49] neg_lo:[0,1] neg_hi:[0,1]
.LBB103_298:
	s_or_b32 exec_lo, exec_lo, s1
	s_delay_alu instid0(SALU_CYCLE_1)
	s_mov_b32 s2, exec_lo
	s_wait_dscnt 0x0
	s_barrier_signal -1
	s_barrier_wait -1
	v_cmpx_eq_u32_e32 33, v116
	s_cbranch_execz .LBB103_305
; %bb.299:
	v_dual_mov_b32 v30, v144 :: v_dual_mov_b32 v31, v145
	v_dual_mov_b32 v32, v140 :: v_dual_mov_b32 v33, v141
	ds_store_b64 v117, v[142:143]
	ds_store_2addr_b64 v118, v[30:31], v[32:33] offset0:34 offset1:35
	v_dual_mov_b32 v30, v162 :: v_dual_mov_b32 v31, v163
	v_dual_mov_b32 v32, v158 :: v_dual_mov_b32 v33, v159
	ds_store_2addr_b64 v118, v[30:31], v[32:33] offset0:36 offset1:37
	v_dual_mov_b32 v30, v160 :: v_dual_mov_b32 v31, v161
	v_dual_mov_b32 v32, v156 :: v_dual_mov_b32 v33, v157
	;; [unrolled: 3-line block ×7, first 2 shown]
	ds_store_2addr_b64 v118, v[30:31], v[32:33] offset0:48 offset1:49
	v_dual_mov_b32 v30, v206 :: v_dual_mov_b32 v31, v207
	ds_store_2addr_b64 v118, v[30:31], v[208:209] offset0:50 offset1:51
	ds_load_b64 v[30:31], v117
	s_wait_dscnt 0x0
	v_cmp_neq_f32_e32 vcc_lo, 0, v30
	v_cmp_neq_f32_e64 s1, 0, v31
	s_or_b32 s1, vcc_lo, s1
	s_delay_alu instid0(SALU_CYCLE_1)
	s_and_b32 exec_lo, exec_lo, s1
	s_cbranch_execz .LBB103_305
; %bb.300:
	v_cmp_ngt_f32_e64 s1, |v30|, |v31|
                                        ; implicit-def: $vgpr32_vgpr33
	s_and_saveexec_b32 s4, s1
	s_delay_alu instid0(SALU_CYCLE_1)
	s_xor_b32 s1, exec_lo, s4
	s_cbranch_execz .LBB103_302
; %bb.301:
	v_div_scale_f32 v32, null, v31, v31, v30
	v_div_scale_f32 v43, vcc_lo, v30, v31, v30
	s_delay_alu instid0(VALU_DEP_2) | instskip(SKIP_1) | instid1(TRANS32_DEP_1)
	v_rcp_f32_e32 v33, v32
	v_nop
	v_fma_f32 v42, -v32, v33, 1.0
	s_delay_alu instid0(VALU_DEP_1) | instskip(NEXT) | instid1(VALU_DEP_1)
	v_fmac_f32_e32 v33, v42, v33
	v_mul_f32_e32 v42, v43, v33
	s_delay_alu instid0(VALU_DEP_1) | instskip(NEXT) | instid1(VALU_DEP_1)
	v_fma_f32 v48, -v32, v42, v43
	v_fmac_f32_e32 v42, v48, v33
	s_delay_alu instid0(VALU_DEP_1) | instskip(NEXT) | instid1(VALU_DEP_1)
	v_fma_f32 v32, -v32, v42, v43
	v_div_fmas_f32 v32, v32, v33, v42
	s_delay_alu instid0(VALU_DEP_1) | instskip(NEXT) | instid1(VALU_DEP_1)
	v_div_fixup_f32 v32, v32, v31, v30
	v_fmac_f32_e32 v31, v30, v32
	s_delay_alu instid0(VALU_DEP_1) | instskip(SKIP_1) | instid1(VALU_DEP_2)
	v_div_scale_f32 v30, null, v31, v31, 1.0
	v_div_scale_f32 v43, vcc_lo, 1.0, v31, 1.0
	v_rcp_f32_e32 v33, v30
	v_nop
	s_delay_alu instid0(TRANS32_DEP_1) | instskip(NEXT) | instid1(VALU_DEP_1)
	v_fma_f32 v42, -v30, v33, 1.0
	v_fmac_f32_e32 v33, v42, v33
	s_delay_alu instid0(VALU_DEP_1) | instskip(NEXT) | instid1(VALU_DEP_1)
	v_mul_f32_e32 v42, v43, v33
	v_fma_f32 v48, -v30, v42, v43
	s_delay_alu instid0(VALU_DEP_1) | instskip(NEXT) | instid1(VALU_DEP_1)
	v_fmac_f32_e32 v42, v48, v33
	v_fma_f32 v30, -v30, v42, v43
	s_delay_alu instid0(VALU_DEP_1) | instskip(NEXT) | instid1(VALU_DEP_1)
	v_div_fmas_f32 v30, v30, v33, v42
	v_div_fixup_f32 v30, v30, v31, 1.0
	s_delay_alu instid0(VALU_DEP_1)
	v_mul_f32_e32 v32, v32, v30
	v_xor_b32_e32 v33, 0x80000000, v30
                                        ; implicit-def: $vgpr30_vgpr31
.LBB103_302:
	s_and_not1_saveexec_b32 s1, s1
	s_cbranch_execz .LBB103_304
; %bb.303:
	v_div_scale_f32 v32, null, v30, v30, v31
	v_div_scale_f32 v43, vcc_lo, v31, v30, v31
	s_delay_alu instid0(VALU_DEP_2) | instskip(SKIP_1) | instid1(TRANS32_DEP_1)
	v_rcp_f32_e32 v33, v32
	v_nop
	v_fma_f32 v42, -v32, v33, 1.0
	s_delay_alu instid0(VALU_DEP_1) | instskip(NEXT) | instid1(VALU_DEP_1)
	v_fmac_f32_e32 v33, v42, v33
	v_mul_f32_e32 v42, v43, v33
	s_delay_alu instid0(VALU_DEP_1) | instskip(NEXT) | instid1(VALU_DEP_1)
	v_fma_f32 v48, -v32, v42, v43
	v_fmac_f32_e32 v42, v48, v33
	s_delay_alu instid0(VALU_DEP_1) | instskip(NEXT) | instid1(VALU_DEP_1)
	v_fma_f32 v32, -v32, v42, v43
	v_div_fmas_f32 v32, v32, v33, v42
	s_delay_alu instid0(VALU_DEP_1) | instskip(NEXT) | instid1(VALU_DEP_1)
	v_div_fixup_f32 v33, v32, v30, v31
	v_fmac_f32_e32 v30, v31, v33
	s_delay_alu instid0(VALU_DEP_1) | instskip(NEXT) | instid1(VALU_DEP_1)
	v_div_scale_f32 v31, null, v30, v30, 1.0
	v_rcp_f32_e32 v32, v31
	v_nop
	s_delay_alu instid0(TRANS32_DEP_1) | instskip(NEXT) | instid1(VALU_DEP_1)
	v_fma_f32 v42, -v31, v32, 1.0
	v_fmac_f32_e32 v32, v42, v32
	v_div_scale_f32 v42, vcc_lo, 1.0, v30, 1.0
	s_delay_alu instid0(VALU_DEP_1) | instskip(NEXT) | instid1(VALU_DEP_1)
	v_mul_f32_e32 v43, v42, v32
	v_fma_f32 v48, -v31, v43, v42
	s_delay_alu instid0(VALU_DEP_1) | instskip(NEXT) | instid1(VALU_DEP_1)
	v_fmac_f32_e32 v43, v48, v32
	v_fma_f32 v31, -v31, v43, v42
	s_delay_alu instid0(VALU_DEP_1) | instskip(NEXT) | instid1(VALU_DEP_1)
	v_div_fmas_f32 v31, v31, v32, v43
	v_div_fixup_f32 v32, v31, v30, 1.0
	s_delay_alu instid0(VALU_DEP_1)
	v_mul_f32_e64 v33, v33, -v32
.LBB103_304:
	s_or_b32 exec_lo, exec_lo, s1
	ds_store_b64 v117, v[32:33]
.LBB103_305:
	s_or_b32 exec_lo, exec_lo, s2
	s_wait_dscnt 0x0
	s_barrier_signal -1
	s_barrier_wait -1
	ds_load_b64 v[30:31], v117
	s_mov_b32 s1, exec_lo
	v_cmpx_lt_u32_e32 33, v116
	s_cbranch_execz .LBB103_307
; %bb.306:
	ds_load_2addr_b64 v[48:51], v118 offset0:34 offset1:35
	s_wait_dscnt 0x1
	v_pk_mul_f32 v[42:43], v[30:31], v[142:143] op_sel:[1,1] op_sel_hi:[0,1]
	s_delay_alu instid0(VALU_DEP_1) | instskip(SKIP_1) | instid1(VALU_DEP_1)
	v_pk_fma_f32 v[32:33], v[30:31], v[142:143], v[42:43] op_sel_hi:[1,0,1] neg_lo:[0,0,1] neg_hi:[0,0,1]
	v_pk_fma_f32 v[42:43], v[30:31], v[142:143], v[42:43] op_sel_hi:[1,0,1]
	v_dual_mov_b32 v142, v32 :: v_dual_mov_b32 v143, v43
	s_wait_dscnt 0x0
	s_delay_alu instid0(VALU_DEP_2) | instskip(NEXT) | instid1(VALU_DEP_1)
	v_pk_mul_f32 v[52:53], v[48:49], v[42:43] op_sel:[0,1]
	v_pk_fma_f32 v[64:65], v[48:49], v[32:33], v[52:53] op_sel:[0,0,1] op_sel_hi:[1,1,0] neg_lo:[0,0,1] neg_hi:[0,0,1]
	v_pk_fma_f32 v[48:49], v[48:49], v[32:33], v[52:53] op_sel:[0,0,1] op_sel_hi:[1,0,0]
	s_delay_alu instid0(VALU_DEP_1) | instskip(SKIP_1) | instid1(VALU_DEP_1)
	v_mov_b32_e32 v65, v49
	v_pk_mul_f32 v[48:49], v[50:51], v[42:43] op_sel:[0,1]
	v_pk_fma_f32 v[52:53], v[50:51], v[32:33], v[48:49] op_sel:[0,0,1] op_sel_hi:[1,1,0] neg_lo:[0,0,1] neg_hi:[0,0,1]
	v_pk_fma_f32 v[48:49], v[50:51], v[32:33], v[48:49] op_sel:[0,0,1] op_sel_hi:[1,0,0]
	s_delay_alu instid0(VALU_DEP_1)
	v_mov_b32_e32 v53, v49
	ds_load_2addr_b64 v[48:51], v118 offset0:36 offset1:37
	v_pk_add_f32 v[144:145], v[144:145], v[64:65] neg_lo:[0,1] neg_hi:[0,1]
	v_pk_add_f32 v[140:141], v[140:141], v[52:53] neg_lo:[0,1] neg_hi:[0,1]
	s_wait_dscnt 0x0
	v_pk_mul_f32 v[52:53], v[48:49], v[42:43] op_sel:[0,1]
	s_delay_alu instid0(VALU_DEP_1) | instskip(SKIP_2) | instid1(VALU_DEP_2)
	v_pk_fma_f32 v[64:65], v[48:49], v[32:33], v[52:53] op_sel:[0,0,1] op_sel_hi:[1,1,0] neg_lo:[0,0,1] neg_hi:[0,0,1]
	v_pk_fma_f32 v[48:49], v[48:49], v[32:33], v[52:53] op_sel:[0,0,1] op_sel_hi:[1,0,0]
	v_dual_mul_f32 v52, v51, v43 :: v_dual_mov_b32 v48, v51
	v_dual_mov_b32 v65, v49 :: v_dual_mov_b32 v49, v50
	s_delay_alu instid0(VALU_DEP_2) | instskip(SKIP_1) | instid1(VALU_DEP_3)
	v_pk_fma_f32 v[52:53], v[50:51], v[142:143], v[52:53] op_sel_hi:[1,1,0] neg_lo:[0,0,1] neg_hi:[0,0,1]
	v_mul_f32_e32 v50, v51, v32
	v_pk_add_f32 v[162:163], v[162:163], v[64:65] neg_lo:[0,1] neg_hi:[0,1]
	s_delay_alu instid0(VALU_DEP_2) | instskip(NEXT) | instid1(VALU_DEP_1)
	v_pk_fma_f32 v[48:49], v[48:49], v[142:143], v[50:51] op_sel_hi:[1,1,0]
	v_mov_b32_e32 v53, v49
	ds_load_2addr_b64 v[48:51], v118 offset0:38 offset1:39
	v_pk_add_f32 v[158:159], v[158:159], v[52:53] neg_lo:[0,1] neg_hi:[0,1]
	s_wait_dscnt 0x0
	v_pk_mul_f32 v[52:53], v[48:49], v[42:43] op_sel:[0,1]
	s_delay_alu instid0(VALU_DEP_1) | instskip(SKIP_1) | instid1(VALU_DEP_1)
	v_pk_fma_f32 v[64:65], v[48:49], v[32:33], v[52:53] op_sel:[0,0,1] op_sel_hi:[1,1,0] neg_lo:[0,0,1] neg_hi:[0,0,1]
	v_pk_fma_f32 v[48:49], v[48:49], v[32:33], v[52:53] op_sel:[0,0,1] op_sel_hi:[1,0,0]
	v_mov_b32_e32 v65, v49
	v_pk_mul_f32 v[48:49], v[50:51], v[42:43] op_sel:[0,1]
	s_delay_alu instid0(VALU_DEP_1) | instskip(SKIP_1) | instid1(VALU_DEP_1)
	v_pk_fma_f32 v[52:53], v[50:51], v[32:33], v[48:49] op_sel:[0,0,1] op_sel_hi:[1,1,0] neg_lo:[0,0,1] neg_hi:[0,0,1]
	v_pk_fma_f32 v[48:49], v[50:51], v[32:33], v[48:49] op_sel:[0,0,1] op_sel_hi:[1,0,0]
	v_mov_b32_e32 v53, v49
	ds_load_2addr_b64 v[48:51], v118 offset0:40 offset1:41
	v_pk_add_f32 v[160:161], v[160:161], v[64:65] neg_lo:[0,1] neg_hi:[0,1]
	v_pk_add_f32 v[156:157], v[156:157], v[52:53] neg_lo:[0,1] neg_hi:[0,1]
	s_wait_dscnt 0x0
	v_pk_mul_f32 v[52:53], v[48:49], v[42:43] op_sel:[0,1]
	s_delay_alu instid0(VALU_DEP_1) | instskip(SKIP_1) | instid1(VALU_DEP_1)
	v_pk_fma_f32 v[64:65], v[48:49], v[32:33], v[52:53] op_sel:[0,0,1] op_sel_hi:[1,1,0] neg_lo:[0,0,1] neg_hi:[0,0,1]
	v_pk_fma_f32 v[48:49], v[48:49], v[32:33], v[52:53] op_sel:[0,0,1] op_sel_hi:[1,0,0]
	v_mov_b32_e32 v65, v49
	v_pk_mul_f32 v[48:49], v[50:51], v[42:43] op_sel:[0,1]
	s_delay_alu instid0(VALU_DEP_1) | instskip(SKIP_1) | instid1(VALU_DEP_1)
	v_pk_fma_f32 v[52:53], v[50:51], v[32:33], v[48:49] op_sel:[0,0,1] op_sel_hi:[1,1,0] neg_lo:[0,0,1] neg_hi:[0,0,1]
	v_pk_fma_f32 v[48:49], v[50:51], v[32:33], v[48:49] op_sel:[0,0,1] op_sel_hi:[1,0,0]
	v_mov_b32_e32 v53, v49
	ds_load_2addr_b64 v[48:51], v118 offset0:42 offset1:43
	v_pk_add_f32 v[182:183], v[182:183], v[64:65] neg_lo:[0,1] neg_hi:[0,1]
	v_pk_add_f32 v[178:179], v[178:179], v[52:53] neg_lo:[0,1] neg_hi:[0,1]
	s_wait_dscnt 0x0
	v_dual_mul_f32 v52, v49, v43 :: v_dual_mul_f32 v64, v49, v32
	s_delay_alu instid0(VALU_DEP_1) | instskip(NEXT) | instid1(VALU_DEP_2)
	v_pk_fma_f32 v[52:53], v[48:49], v[142:143], v[52:53] op_sel_hi:[1,1,0] neg_lo:[0,0,1] neg_hi:[0,0,1]
	v_pk_fma_f32 v[48:49], v[48:49], v[142:143], v[64:65] op_sel:[1,0,0] op_sel_hi:[0,1,0]
	s_delay_alu instid0(VALU_DEP_1) | instskip(SKIP_1) | instid1(VALU_DEP_2)
	v_mov_b32_e32 v53, v49
	v_pk_mul_f32 v[48:49], v[50:51], v[42:43] op_sel:[0,1]
	v_pk_add_f32 v[180:181], v[180:181], v[52:53] neg_lo:[0,1] neg_hi:[0,1]
	s_delay_alu instid0(VALU_DEP_2) | instskip(SKIP_1) | instid1(VALU_DEP_1)
	v_pk_fma_f32 v[52:53], v[50:51], v[32:33], v[48:49] op_sel:[0,0,1] op_sel_hi:[1,1,0] neg_lo:[0,0,1] neg_hi:[0,0,1]
	v_pk_fma_f32 v[48:49], v[50:51], v[32:33], v[48:49] op_sel:[0,0,1] op_sel_hi:[1,0,0]
	v_mov_b32_e32 v53, v49
	ds_load_2addr_b64 v[48:51], v118 offset0:44 offset1:45
	v_pk_add_f32 v[176:177], v[176:177], v[52:53] neg_lo:[0,1] neg_hi:[0,1]
	s_wait_dscnt 0x0
	v_pk_mul_f32 v[52:53], v[48:49], v[42:43] op_sel:[0,1]
	s_delay_alu instid0(VALU_DEP_1) | instskip(SKIP_1) | instid1(VALU_DEP_1)
	v_pk_fma_f32 v[64:65], v[48:49], v[32:33], v[52:53] op_sel:[0,0,1] op_sel_hi:[1,1,0] neg_lo:[0,0,1] neg_hi:[0,0,1]
	v_pk_fma_f32 v[48:49], v[48:49], v[32:33], v[52:53] op_sel:[0,0,1] op_sel_hi:[1,0,0]
	v_mov_b32_e32 v65, v49
	v_pk_mul_f32 v[48:49], v[50:51], v[42:43] op_sel:[0,1]
	s_delay_alu instid0(VALU_DEP_2) | instskip(NEXT) | instid1(VALU_DEP_2)
	v_pk_add_f32 v[204:205], v[204:205], v[64:65] neg_lo:[0,1] neg_hi:[0,1]
	v_pk_fma_f32 v[52:53], v[50:51], v[32:33], v[48:49] op_sel:[0,0,1] op_sel_hi:[1,1,0] neg_lo:[0,0,1] neg_hi:[0,0,1]
	v_pk_fma_f32 v[48:49], v[50:51], v[32:33], v[48:49] op_sel:[0,0,1] op_sel_hi:[1,0,0]
	s_delay_alu instid0(VALU_DEP_1) | instskip(SKIP_4) | instid1(VALU_DEP_1)
	v_mov_b32_e32 v53, v49
	ds_load_2addr_b64 v[48:51], v118 offset0:46 offset1:47
	v_pk_add_f32 v[198:199], v[198:199], v[52:53] neg_lo:[0,1] neg_hi:[0,1]
	s_wait_dscnt 0x0
	v_pk_mul_f32 v[52:53], v[48:49], v[42:43] op_sel:[0,1]
	v_pk_fma_f32 v[64:65], v[48:49], v[32:33], v[52:53] op_sel:[0,0,1] op_sel_hi:[1,1,0] neg_lo:[0,0,1] neg_hi:[0,0,1]
	v_pk_fma_f32 v[48:49], v[48:49], v[32:33], v[52:53] op_sel:[0,0,1] op_sel_hi:[1,0,0]
	v_dual_mul_f32 v52, v51, v43 :: v_dual_mov_b32 v48, v51
	s_delay_alu instid0(VALU_DEP_2) | instskip(NEXT) | instid1(VALU_DEP_2)
	v_dual_mov_b32 v65, v49 :: v_dual_mov_b32 v49, v50
	v_pk_fma_f32 v[52:53], v[50:51], v[142:143], v[52:53] op_sel_hi:[1,1,0] neg_lo:[0,0,1] neg_hi:[0,0,1]
	v_mul_f32_e32 v50, v51, v32
	s_delay_alu instid0(VALU_DEP_3) | instskip(NEXT) | instid1(VALU_DEP_2)
	v_pk_add_f32 v[202:203], v[202:203], v[64:65] neg_lo:[0,1] neg_hi:[0,1]
	v_pk_fma_f32 v[48:49], v[48:49], v[142:143], v[50:51] op_sel_hi:[1,1,0]
	s_delay_alu instid0(VALU_DEP_1) | instskip(SKIP_4) | instid1(VALU_DEP_1)
	v_mov_b32_e32 v53, v49
	ds_load_2addr_b64 v[48:51], v118 offset0:48 offset1:49
	v_pk_add_f32 v[196:197], v[196:197], v[52:53] neg_lo:[0,1] neg_hi:[0,1]
	s_wait_dscnt 0x0
	v_pk_mul_f32 v[52:53], v[48:49], v[42:43] op_sel:[0,1]
	v_pk_fma_f32 v[64:65], v[48:49], v[32:33], v[52:53] op_sel:[0,0,1] op_sel_hi:[1,1,0] neg_lo:[0,0,1] neg_hi:[0,0,1]
	v_pk_fma_f32 v[48:49], v[48:49], v[32:33], v[52:53] op_sel:[0,0,1] op_sel_hi:[1,0,0]
	s_delay_alu instid0(VALU_DEP_1) | instskip(SKIP_1) | instid1(VALU_DEP_1)
	v_mov_b32_e32 v65, v49
	v_pk_mul_f32 v[48:49], v[50:51], v[42:43] op_sel:[0,1]
	v_pk_fma_f32 v[52:53], v[50:51], v[32:33], v[48:49] op_sel:[0,0,1] op_sel_hi:[1,1,0] neg_lo:[0,0,1] neg_hi:[0,0,1]
	v_pk_fma_f32 v[48:49], v[50:51], v[32:33], v[48:49] op_sel:[0,0,1] op_sel_hi:[1,0,0]
	s_delay_alu instid0(VALU_DEP_1)
	v_mov_b32_e32 v53, v49
	ds_load_2addr_b64 v[48:51], v118 offset0:50 offset1:51
	v_pk_add_f32 v[200:201], v[200:201], v[64:65] neg_lo:[0,1] neg_hi:[0,1]
	v_pk_add_f32 v[194:195], v[194:195], v[52:53] neg_lo:[0,1] neg_hi:[0,1]
	s_wait_dscnt 0x0
	v_pk_mul_f32 v[52:53], v[48:49], v[42:43] op_sel:[0,1]
	v_mul_f32_e32 v42, v51, v43
	s_delay_alu instid0(VALU_DEP_2) | instskip(SKIP_2) | instid1(VALU_DEP_4)
	v_pk_fma_f32 v[64:65], v[48:49], v[32:33], v[52:53] op_sel:[0,0,1] op_sel_hi:[1,1,0] neg_lo:[0,0,1] neg_hi:[0,0,1]
	v_pk_fma_f32 v[48:49], v[48:49], v[32:33], v[52:53] op_sel:[0,0,1] op_sel_hi:[1,0,0]
	v_dual_mov_b32 v48, v51 :: v_dual_mul_f32 v32, v51, v32
	v_pk_fma_f32 v[42:43], v[50:51], v[142:143], v[42:43] op_sel_hi:[1,1,0] neg_lo:[0,0,1] neg_hi:[0,0,1]
	s_delay_alu instid0(VALU_DEP_3) | instskip(NEXT) | instid1(VALU_DEP_1)
	v_dual_mov_b32 v65, v49 :: v_dual_mov_b32 v49, v50
	v_pk_add_f32 v[206:207], v[206:207], v[64:65] neg_lo:[0,1] neg_hi:[0,1]
	s_delay_alu instid0(VALU_DEP_2) | instskip(NEXT) | instid1(VALU_DEP_1)
	v_pk_fma_f32 v[32:33], v[48:49], v[142:143], v[32:33] op_sel_hi:[1,1,0]
	v_mov_b32_e32 v43, v33
	s_delay_alu instid0(VALU_DEP_1)
	v_pk_add_f32 v[208:209], v[208:209], v[42:43] neg_lo:[0,1] neg_hi:[0,1]
.LBB103_307:
	s_or_b32 exec_lo, exec_lo, s1
	s_delay_alu instid0(SALU_CYCLE_1)
	s_mov_b32 s2, exec_lo
	s_wait_dscnt 0x0
	s_barrier_signal -1
	s_barrier_wait -1
	v_cmpx_eq_u32_e32 34, v116
	s_cbranch_execz .LBB103_314
; %bb.308:
	ds_store_b64 v117, v[144:145]
	ds_store_2addr_b64 v118, v[140:141], v[162:163] offset0:35 offset1:36
	ds_store_2addr_b64 v118, v[158:159], v[160:161] offset0:37 offset1:38
	;; [unrolled: 1-line block ×8, first 2 shown]
	ds_store_b64 v118, v[208:209] offset:408
	ds_load_b64 v[32:33], v117
	s_wait_dscnt 0x0
	v_cmp_neq_f32_e32 vcc_lo, 0, v32
	v_cmp_neq_f32_e64 s1, 0, v33
	s_or_b32 s1, vcc_lo, s1
	s_delay_alu instid0(SALU_CYCLE_1)
	s_and_b32 exec_lo, exec_lo, s1
	s_cbranch_execz .LBB103_314
; %bb.309:
	v_cmp_ngt_f32_e64 s1, |v32|, |v33|
                                        ; implicit-def: $vgpr42_vgpr43
	s_and_saveexec_b32 s4, s1
	s_delay_alu instid0(SALU_CYCLE_1)
	s_xor_b32 s1, exec_lo, s4
	s_cbranch_execz .LBB103_311
; %bb.310:
	v_div_scale_f32 v42, null, v33, v33, v32
	v_div_scale_f32 v49, vcc_lo, v32, v33, v32
	s_delay_alu instid0(VALU_DEP_2) | instskip(SKIP_1) | instid1(TRANS32_DEP_1)
	v_rcp_f32_e32 v43, v42
	v_nop
	v_fma_f32 v48, -v42, v43, 1.0
	s_delay_alu instid0(VALU_DEP_1) | instskip(NEXT) | instid1(VALU_DEP_1)
	v_fmac_f32_e32 v43, v48, v43
	v_mul_f32_e32 v48, v49, v43
	s_delay_alu instid0(VALU_DEP_1) | instskip(NEXT) | instid1(VALU_DEP_1)
	v_fma_f32 v50, -v42, v48, v49
	v_fmac_f32_e32 v48, v50, v43
	s_delay_alu instid0(VALU_DEP_1) | instskip(NEXT) | instid1(VALU_DEP_1)
	v_fma_f32 v42, -v42, v48, v49
	v_div_fmas_f32 v42, v42, v43, v48
	s_delay_alu instid0(VALU_DEP_1) | instskip(NEXT) | instid1(VALU_DEP_1)
	v_div_fixup_f32 v42, v42, v33, v32
	v_fmac_f32_e32 v33, v32, v42
	s_delay_alu instid0(VALU_DEP_1) | instskip(SKIP_1) | instid1(VALU_DEP_2)
	v_div_scale_f32 v32, null, v33, v33, 1.0
	v_div_scale_f32 v49, vcc_lo, 1.0, v33, 1.0
	v_rcp_f32_e32 v43, v32
	v_nop
	s_delay_alu instid0(TRANS32_DEP_1) | instskip(NEXT) | instid1(VALU_DEP_1)
	v_fma_f32 v48, -v32, v43, 1.0
	v_fmac_f32_e32 v43, v48, v43
	s_delay_alu instid0(VALU_DEP_1) | instskip(NEXT) | instid1(VALU_DEP_1)
	v_mul_f32_e32 v48, v49, v43
	v_fma_f32 v50, -v32, v48, v49
	s_delay_alu instid0(VALU_DEP_1) | instskip(NEXT) | instid1(VALU_DEP_1)
	v_fmac_f32_e32 v48, v50, v43
	v_fma_f32 v32, -v32, v48, v49
	s_delay_alu instid0(VALU_DEP_1) | instskip(NEXT) | instid1(VALU_DEP_1)
	v_div_fmas_f32 v32, v32, v43, v48
	v_div_fixup_f32 v32, v32, v33, 1.0
	s_delay_alu instid0(VALU_DEP_1)
	v_mul_f32_e32 v42, v42, v32
	v_xor_b32_e32 v43, 0x80000000, v32
                                        ; implicit-def: $vgpr32_vgpr33
.LBB103_311:
	s_and_not1_saveexec_b32 s1, s1
	s_cbranch_execz .LBB103_313
; %bb.312:
	v_div_scale_f32 v42, null, v32, v32, v33
	v_div_scale_f32 v49, vcc_lo, v33, v32, v33
	s_delay_alu instid0(VALU_DEP_2) | instskip(SKIP_1) | instid1(TRANS32_DEP_1)
	v_rcp_f32_e32 v43, v42
	v_nop
	v_fma_f32 v48, -v42, v43, 1.0
	s_delay_alu instid0(VALU_DEP_1) | instskip(NEXT) | instid1(VALU_DEP_1)
	v_fmac_f32_e32 v43, v48, v43
	v_mul_f32_e32 v48, v49, v43
	s_delay_alu instid0(VALU_DEP_1) | instskip(NEXT) | instid1(VALU_DEP_1)
	v_fma_f32 v50, -v42, v48, v49
	v_fmac_f32_e32 v48, v50, v43
	s_delay_alu instid0(VALU_DEP_1) | instskip(NEXT) | instid1(VALU_DEP_1)
	v_fma_f32 v42, -v42, v48, v49
	v_div_fmas_f32 v42, v42, v43, v48
	s_delay_alu instid0(VALU_DEP_1) | instskip(NEXT) | instid1(VALU_DEP_1)
	v_div_fixup_f32 v43, v42, v32, v33
	v_fmac_f32_e32 v32, v33, v43
	s_delay_alu instid0(VALU_DEP_1) | instskip(NEXT) | instid1(VALU_DEP_1)
	v_div_scale_f32 v33, null, v32, v32, 1.0
	v_rcp_f32_e32 v42, v33
	v_nop
	s_delay_alu instid0(TRANS32_DEP_1) | instskip(NEXT) | instid1(VALU_DEP_1)
	v_fma_f32 v48, -v33, v42, 1.0
	v_fmac_f32_e32 v42, v48, v42
	v_div_scale_f32 v48, vcc_lo, 1.0, v32, 1.0
	s_delay_alu instid0(VALU_DEP_1) | instskip(NEXT) | instid1(VALU_DEP_1)
	v_mul_f32_e32 v49, v48, v42
	v_fma_f32 v50, -v33, v49, v48
	s_delay_alu instid0(VALU_DEP_1) | instskip(NEXT) | instid1(VALU_DEP_1)
	v_fmac_f32_e32 v49, v50, v42
	v_fma_f32 v33, -v33, v49, v48
	s_delay_alu instid0(VALU_DEP_1) | instskip(NEXT) | instid1(VALU_DEP_1)
	v_div_fmas_f32 v33, v33, v42, v49
	v_div_fixup_f32 v42, v33, v32, 1.0
	s_delay_alu instid0(VALU_DEP_1)
	v_mul_f32_e64 v43, v43, -v42
.LBB103_313:
	s_or_b32 exec_lo, exec_lo, s1
	ds_store_b64 v117, v[42:43]
.LBB103_314:
	s_or_b32 exec_lo, exec_lo, s2
	s_wait_dscnt 0x0
	s_barrier_signal -1
	s_barrier_wait -1
	ds_load_b64 v[32:33], v117
	s_mov_b32 s1, exec_lo
	v_cmpx_lt_u32_e32 34, v116
	s_cbranch_execz .LBB103_316
; %bb.315:
	ds_load_2addr_b64 v[50:53], v118 offset0:35 offset1:36
	s_wait_dscnt 0x1
	v_pk_mul_f32 v[48:49], v[32:33], v[144:145] op_sel:[1,1] op_sel_hi:[0,1]
	s_delay_alu instid0(VALU_DEP_1) | instskip(SKIP_1) | instid1(VALU_DEP_1)
	v_pk_fma_f32 v[42:43], v[32:33], v[144:145], v[48:49] op_sel_hi:[1,0,1] neg_lo:[0,0,1] neg_hi:[0,0,1]
	v_pk_fma_f32 v[48:49], v[32:33], v[144:145], v[48:49] op_sel_hi:[1,0,1]
	v_dual_mov_b32 v144, v42 :: v_dual_mov_b32 v145, v49
	s_wait_dscnt 0x0
	s_delay_alu instid0(VALU_DEP_2) | instskip(NEXT) | instid1(VALU_DEP_1)
	v_pk_mul_f32 v[64:65], v[50:51], v[48:49] op_sel:[0,1]
	v_pk_fma_f32 v[66:67], v[50:51], v[42:43], v[64:65] op_sel:[0,0,1] op_sel_hi:[1,1,0] neg_lo:[0,0,1] neg_hi:[0,0,1]
	v_pk_fma_f32 v[50:51], v[50:51], v[42:43], v[64:65] op_sel:[0,0,1] op_sel_hi:[1,0,0]
	s_delay_alu instid0(VALU_DEP_1) | instskip(SKIP_1) | instid1(VALU_DEP_1)
	v_mov_b32_e32 v67, v51
	v_pk_mul_f32 v[50:51], v[52:53], v[48:49] op_sel:[0,1]
	v_pk_fma_f32 v[64:65], v[52:53], v[42:43], v[50:51] op_sel:[0,0,1] op_sel_hi:[1,1,0] neg_lo:[0,0,1] neg_hi:[0,0,1]
	v_pk_fma_f32 v[50:51], v[52:53], v[42:43], v[50:51] op_sel:[0,0,1] op_sel_hi:[1,0,0]
	s_delay_alu instid0(VALU_DEP_1)
	v_mov_b32_e32 v65, v51
	ds_load_2addr_b64 v[50:53], v118 offset0:37 offset1:38
	v_pk_add_f32 v[140:141], v[140:141], v[66:67] neg_lo:[0,1] neg_hi:[0,1]
	v_pk_add_f32 v[162:163], v[162:163], v[64:65] neg_lo:[0,1] neg_hi:[0,1]
	s_wait_dscnt 0x0
	v_pk_mul_f32 v[64:65], v[50:51], v[48:49] op_sel:[0,1]
	s_delay_alu instid0(VALU_DEP_1) | instskip(SKIP_2) | instid1(VALU_DEP_2)
	v_pk_fma_f32 v[66:67], v[50:51], v[42:43], v[64:65] op_sel:[0,0,1] op_sel_hi:[1,1,0] neg_lo:[0,0,1] neg_hi:[0,0,1]
	v_pk_fma_f32 v[50:51], v[50:51], v[42:43], v[64:65] op_sel:[0,0,1] op_sel_hi:[1,0,0]
	v_dual_mul_f32 v64, v53, v49 :: v_dual_mov_b32 v50, v53
	v_dual_mov_b32 v67, v51 :: v_dual_mov_b32 v51, v52
	s_delay_alu instid0(VALU_DEP_2) | instskip(SKIP_1) | instid1(VALU_DEP_3)
	v_pk_fma_f32 v[64:65], v[52:53], v[144:145], v[64:65] op_sel_hi:[1,1,0] neg_lo:[0,0,1] neg_hi:[0,0,1]
	v_mul_f32_e32 v52, v53, v42
	v_pk_add_f32 v[158:159], v[158:159], v[66:67] neg_lo:[0,1] neg_hi:[0,1]
	s_delay_alu instid0(VALU_DEP_2) | instskip(NEXT) | instid1(VALU_DEP_1)
	v_pk_fma_f32 v[50:51], v[50:51], v[144:145], v[52:53] op_sel_hi:[1,1,0]
	v_mov_b32_e32 v65, v51
	ds_load_2addr_b64 v[50:53], v118 offset0:39 offset1:40
	v_pk_add_f32 v[160:161], v[160:161], v[64:65] neg_lo:[0,1] neg_hi:[0,1]
	s_wait_dscnt 0x0
	v_pk_mul_f32 v[64:65], v[50:51], v[48:49] op_sel:[0,1]
	s_delay_alu instid0(VALU_DEP_1) | instskip(SKIP_1) | instid1(VALU_DEP_1)
	v_pk_fma_f32 v[66:67], v[50:51], v[42:43], v[64:65] op_sel:[0,0,1] op_sel_hi:[1,1,0] neg_lo:[0,0,1] neg_hi:[0,0,1]
	v_pk_fma_f32 v[50:51], v[50:51], v[42:43], v[64:65] op_sel:[0,0,1] op_sel_hi:[1,0,0]
	v_mov_b32_e32 v67, v51
	v_pk_mul_f32 v[50:51], v[52:53], v[48:49] op_sel:[0,1]
	s_delay_alu instid0(VALU_DEP_1) | instskip(SKIP_1) | instid1(VALU_DEP_1)
	v_pk_fma_f32 v[64:65], v[52:53], v[42:43], v[50:51] op_sel:[0,0,1] op_sel_hi:[1,1,0] neg_lo:[0,0,1] neg_hi:[0,0,1]
	v_pk_fma_f32 v[50:51], v[52:53], v[42:43], v[50:51] op_sel:[0,0,1] op_sel_hi:[1,0,0]
	v_mov_b32_e32 v65, v51
	ds_load_2addr_b64 v[50:53], v118 offset0:41 offset1:42
	v_pk_add_f32 v[156:157], v[156:157], v[66:67] neg_lo:[0,1] neg_hi:[0,1]
	v_pk_add_f32 v[182:183], v[182:183], v[64:65] neg_lo:[0,1] neg_hi:[0,1]
	s_wait_dscnt 0x0
	v_pk_mul_f32 v[64:65], v[50:51], v[48:49] op_sel:[0,1]
	s_delay_alu instid0(VALU_DEP_1) | instskip(SKIP_1) | instid1(VALU_DEP_1)
	v_pk_fma_f32 v[66:67], v[50:51], v[42:43], v[64:65] op_sel:[0,0,1] op_sel_hi:[1,1,0] neg_lo:[0,0,1] neg_hi:[0,0,1]
	v_pk_fma_f32 v[50:51], v[50:51], v[42:43], v[64:65] op_sel:[0,0,1] op_sel_hi:[1,0,0]
	v_mov_b32_e32 v67, v51
	v_pk_mul_f32 v[50:51], v[52:53], v[48:49] op_sel:[0,1]
	s_delay_alu instid0(VALU_DEP_1) | instskip(SKIP_1) | instid1(VALU_DEP_1)
	v_pk_fma_f32 v[64:65], v[52:53], v[42:43], v[50:51] op_sel:[0,0,1] op_sel_hi:[1,1,0] neg_lo:[0,0,1] neg_hi:[0,0,1]
	v_pk_fma_f32 v[50:51], v[52:53], v[42:43], v[50:51] op_sel:[0,0,1] op_sel_hi:[1,0,0]
	v_mov_b32_e32 v65, v51
	ds_load_2addr_b64 v[50:53], v118 offset0:43 offset1:44
	v_pk_add_f32 v[178:179], v[178:179], v[66:67] neg_lo:[0,1] neg_hi:[0,1]
	v_pk_add_f32 v[180:181], v[180:181], v[64:65] neg_lo:[0,1] neg_hi:[0,1]
	s_wait_dscnt 0x0
	v_dual_mul_f32 v64, v51, v49 :: v_dual_mul_f32 v66, v51, v42
	s_delay_alu instid0(VALU_DEP_1) | instskip(NEXT) | instid1(VALU_DEP_2)
	v_pk_fma_f32 v[64:65], v[50:51], v[144:145], v[64:65] op_sel_hi:[1,1,0] neg_lo:[0,0,1] neg_hi:[0,0,1]
	v_pk_fma_f32 v[50:51], v[50:51], v[144:145], v[66:67] op_sel:[1,0,0] op_sel_hi:[0,1,0]
	s_delay_alu instid0(VALU_DEP_1) | instskip(SKIP_1) | instid1(VALU_DEP_2)
	v_mov_b32_e32 v65, v51
	v_pk_mul_f32 v[50:51], v[52:53], v[48:49] op_sel:[0,1]
	v_pk_add_f32 v[176:177], v[176:177], v[64:65] neg_lo:[0,1] neg_hi:[0,1]
	s_delay_alu instid0(VALU_DEP_2) | instskip(SKIP_1) | instid1(VALU_DEP_1)
	v_pk_fma_f32 v[64:65], v[52:53], v[42:43], v[50:51] op_sel:[0,0,1] op_sel_hi:[1,1,0] neg_lo:[0,0,1] neg_hi:[0,0,1]
	v_pk_fma_f32 v[50:51], v[52:53], v[42:43], v[50:51] op_sel:[0,0,1] op_sel_hi:[1,0,0]
	v_mov_b32_e32 v65, v51
	ds_load_2addr_b64 v[50:53], v118 offset0:45 offset1:46
	v_pk_add_f32 v[204:205], v[204:205], v[64:65] neg_lo:[0,1] neg_hi:[0,1]
	s_wait_dscnt 0x0
	v_pk_mul_f32 v[64:65], v[50:51], v[48:49] op_sel:[0,1]
	s_delay_alu instid0(VALU_DEP_1) | instskip(SKIP_1) | instid1(VALU_DEP_1)
	v_pk_fma_f32 v[66:67], v[50:51], v[42:43], v[64:65] op_sel:[0,0,1] op_sel_hi:[1,1,0] neg_lo:[0,0,1] neg_hi:[0,0,1]
	v_pk_fma_f32 v[50:51], v[50:51], v[42:43], v[64:65] op_sel:[0,0,1] op_sel_hi:[1,0,0]
	v_mov_b32_e32 v67, v51
	v_pk_mul_f32 v[50:51], v[52:53], v[48:49] op_sel:[0,1]
	s_delay_alu instid0(VALU_DEP_2) | instskip(NEXT) | instid1(VALU_DEP_2)
	v_pk_add_f32 v[198:199], v[198:199], v[66:67] neg_lo:[0,1] neg_hi:[0,1]
	v_pk_fma_f32 v[64:65], v[52:53], v[42:43], v[50:51] op_sel:[0,0,1] op_sel_hi:[1,1,0] neg_lo:[0,0,1] neg_hi:[0,0,1]
	v_pk_fma_f32 v[50:51], v[52:53], v[42:43], v[50:51] op_sel:[0,0,1] op_sel_hi:[1,0,0]
	s_delay_alu instid0(VALU_DEP_1) | instskip(SKIP_4) | instid1(VALU_DEP_1)
	v_mov_b32_e32 v65, v51
	ds_load_2addr_b64 v[50:53], v118 offset0:47 offset1:48
	v_pk_add_f32 v[202:203], v[202:203], v[64:65] neg_lo:[0,1] neg_hi:[0,1]
	s_wait_dscnt 0x0
	v_pk_mul_f32 v[64:65], v[50:51], v[48:49] op_sel:[0,1]
	v_pk_fma_f32 v[66:67], v[50:51], v[42:43], v[64:65] op_sel:[0,0,1] op_sel_hi:[1,1,0] neg_lo:[0,0,1] neg_hi:[0,0,1]
	v_pk_fma_f32 v[50:51], v[50:51], v[42:43], v[64:65] op_sel:[0,0,1] op_sel_hi:[1,0,0]
	v_dual_mul_f32 v64, v53, v49 :: v_dual_mov_b32 v50, v53
	s_delay_alu instid0(VALU_DEP_2) | instskip(NEXT) | instid1(VALU_DEP_2)
	v_dual_mov_b32 v67, v51 :: v_dual_mov_b32 v51, v52
	v_pk_fma_f32 v[64:65], v[52:53], v[144:145], v[64:65] op_sel_hi:[1,1,0] neg_lo:[0,0,1] neg_hi:[0,0,1]
	v_mul_f32_e32 v52, v53, v42
	s_delay_alu instid0(VALU_DEP_3) | instskip(NEXT) | instid1(VALU_DEP_2)
	v_pk_add_f32 v[196:197], v[196:197], v[66:67] neg_lo:[0,1] neg_hi:[0,1]
	v_pk_fma_f32 v[50:51], v[50:51], v[144:145], v[52:53] op_sel_hi:[1,1,0]
	s_delay_alu instid0(VALU_DEP_1) | instskip(SKIP_4) | instid1(VALU_DEP_1)
	v_mov_b32_e32 v65, v51
	ds_load_2addr_b64 v[50:53], v118 offset0:49 offset1:50
	v_pk_add_f32 v[200:201], v[200:201], v[64:65] neg_lo:[0,1] neg_hi:[0,1]
	s_wait_dscnt 0x0
	v_pk_mul_f32 v[64:65], v[50:51], v[48:49] op_sel:[0,1]
	v_pk_fma_f32 v[66:67], v[50:51], v[42:43], v[64:65] op_sel:[0,0,1] op_sel_hi:[1,1,0] neg_lo:[0,0,1] neg_hi:[0,0,1]
	v_pk_fma_f32 v[50:51], v[50:51], v[42:43], v[64:65] op_sel:[0,0,1] op_sel_hi:[1,0,0]
	s_delay_alu instid0(VALU_DEP_1) | instskip(SKIP_1) | instid1(VALU_DEP_1)
	v_mov_b32_e32 v67, v51
	v_pk_mul_f32 v[50:51], v[52:53], v[48:49] op_sel:[0,1]
	v_pk_fma_f32 v[64:65], v[52:53], v[42:43], v[50:51] op_sel:[0,0,1] op_sel_hi:[1,1,0] neg_lo:[0,0,1] neg_hi:[0,0,1]
	v_pk_fma_f32 v[50:51], v[52:53], v[42:43], v[50:51] op_sel:[0,0,1] op_sel_hi:[1,0,0]
	s_delay_alu instid0(VALU_DEP_1)
	v_mov_b32_e32 v65, v51
	ds_load_b64 v[50:51], v118 offset:408
	v_pk_add_f32 v[194:195], v[194:195], v[66:67] neg_lo:[0,1] neg_hi:[0,1]
	v_pk_add_f32 v[206:207], v[206:207], v[64:65] neg_lo:[0,1] neg_hi:[0,1]
	s_wait_dscnt 0x0
	v_pk_mul_f32 v[48:49], v[50:51], v[48:49] op_sel:[0,1]
	s_delay_alu instid0(VALU_DEP_1) | instskip(SKIP_1) | instid1(VALU_DEP_1)
	v_pk_fma_f32 v[52:53], v[50:51], v[42:43], v[48:49] op_sel:[0,0,1] op_sel_hi:[1,1,0] neg_lo:[0,0,1] neg_hi:[0,0,1]
	v_pk_fma_f32 v[42:43], v[50:51], v[42:43], v[48:49] op_sel:[0,0,1] op_sel_hi:[1,0,0]
	v_mov_b32_e32 v53, v43
	s_delay_alu instid0(VALU_DEP_1)
	v_pk_add_f32 v[208:209], v[208:209], v[52:53] neg_lo:[0,1] neg_hi:[0,1]
.LBB103_316:
	s_or_b32 exec_lo, exec_lo, s1
	s_delay_alu instid0(SALU_CYCLE_1)
	s_mov_b32 s2, exec_lo
	s_wait_dscnt 0x0
	s_barrier_signal -1
	s_barrier_wait -1
	v_cmpx_eq_u32_e32 35, v116
	s_cbranch_execz .LBB103_323
; %bb.317:
	v_dual_mov_b32 v42, v162 :: v_dual_mov_b32 v43, v163
	v_dual_mov_b32 v48, v158 :: v_dual_mov_b32 v49, v159
	ds_store_b64 v117, v[140:141]
	ds_store_2addr_b64 v118, v[42:43], v[48:49] offset0:36 offset1:37
	v_dual_mov_b32 v42, v160 :: v_dual_mov_b32 v43, v161
	v_dual_mov_b32 v48, v156 :: v_dual_mov_b32 v49, v157
	ds_store_2addr_b64 v118, v[42:43], v[48:49] offset0:38 offset1:39
	v_dual_mov_b32 v42, v182 :: v_dual_mov_b32 v43, v183
	v_dual_mov_b32 v48, v178 :: v_dual_mov_b32 v49, v179
	;; [unrolled: 3-line block ×6, first 2 shown]
	ds_store_2addr_b64 v118, v[42:43], v[48:49] offset0:48 offset1:49
	v_dual_mov_b32 v42, v206 :: v_dual_mov_b32 v43, v207
	ds_store_2addr_b64 v118, v[42:43], v[208:209] offset0:50 offset1:51
	ds_load_b64 v[42:43], v117
	s_wait_dscnt 0x0
	v_cmp_neq_f32_e32 vcc_lo, 0, v42
	v_cmp_neq_f32_e64 s1, 0, v43
	s_or_b32 s1, vcc_lo, s1
	s_delay_alu instid0(SALU_CYCLE_1)
	s_and_b32 exec_lo, exec_lo, s1
	s_cbranch_execz .LBB103_323
; %bb.318:
	v_cmp_ngt_f32_e64 s1, |v42|, |v43|
                                        ; implicit-def: $vgpr48_vgpr49
	s_and_saveexec_b32 s4, s1
	s_delay_alu instid0(SALU_CYCLE_1)
	s_xor_b32 s1, exec_lo, s4
	s_cbranch_execz .LBB103_320
; %bb.319:
	v_div_scale_f32 v48, null, v43, v43, v42
	v_div_scale_f32 v51, vcc_lo, v42, v43, v42
	s_delay_alu instid0(VALU_DEP_2) | instskip(SKIP_1) | instid1(TRANS32_DEP_1)
	v_rcp_f32_e32 v49, v48
	v_nop
	v_fma_f32 v50, -v48, v49, 1.0
	s_delay_alu instid0(VALU_DEP_1) | instskip(NEXT) | instid1(VALU_DEP_1)
	v_fmac_f32_e32 v49, v50, v49
	v_mul_f32_e32 v50, v51, v49
	s_delay_alu instid0(VALU_DEP_1) | instskip(NEXT) | instid1(VALU_DEP_1)
	v_fma_f32 v52, -v48, v50, v51
	v_fmac_f32_e32 v50, v52, v49
	s_delay_alu instid0(VALU_DEP_1) | instskip(NEXT) | instid1(VALU_DEP_1)
	v_fma_f32 v48, -v48, v50, v51
	v_div_fmas_f32 v48, v48, v49, v50
	s_delay_alu instid0(VALU_DEP_1) | instskip(NEXT) | instid1(VALU_DEP_1)
	v_div_fixup_f32 v48, v48, v43, v42
	v_fmac_f32_e32 v43, v42, v48
	s_delay_alu instid0(VALU_DEP_1) | instskip(SKIP_1) | instid1(VALU_DEP_2)
	v_div_scale_f32 v42, null, v43, v43, 1.0
	v_div_scale_f32 v51, vcc_lo, 1.0, v43, 1.0
	v_rcp_f32_e32 v49, v42
	v_nop
	s_delay_alu instid0(TRANS32_DEP_1) | instskip(NEXT) | instid1(VALU_DEP_1)
	v_fma_f32 v50, -v42, v49, 1.0
	v_fmac_f32_e32 v49, v50, v49
	s_delay_alu instid0(VALU_DEP_1) | instskip(NEXT) | instid1(VALU_DEP_1)
	v_mul_f32_e32 v50, v51, v49
	v_fma_f32 v52, -v42, v50, v51
	s_delay_alu instid0(VALU_DEP_1) | instskip(NEXT) | instid1(VALU_DEP_1)
	v_fmac_f32_e32 v50, v52, v49
	v_fma_f32 v42, -v42, v50, v51
	s_delay_alu instid0(VALU_DEP_1) | instskip(NEXT) | instid1(VALU_DEP_1)
	v_div_fmas_f32 v42, v42, v49, v50
	v_div_fixup_f32 v42, v42, v43, 1.0
	s_delay_alu instid0(VALU_DEP_1)
	v_mul_f32_e32 v48, v48, v42
	v_xor_b32_e32 v49, 0x80000000, v42
                                        ; implicit-def: $vgpr42_vgpr43
.LBB103_320:
	s_and_not1_saveexec_b32 s1, s1
	s_cbranch_execz .LBB103_322
; %bb.321:
	v_div_scale_f32 v48, null, v42, v42, v43
	v_div_scale_f32 v51, vcc_lo, v43, v42, v43
	s_delay_alu instid0(VALU_DEP_2) | instskip(SKIP_1) | instid1(TRANS32_DEP_1)
	v_rcp_f32_e32 v49, v48
	v_nop
	v_fma_f32 v50, -v48, v49, 1.0
	s_delay_alu instid0(VALU_DEP_1) | instskip(NEXT) | instid1(VALU_DEP_1)
	v_fmac_f32_e32 v49, v50, v49
	v_mul_f32_e32 v50, v51, v49
	s_delay_alu instid0(VALU_DEP_1) | instskip(NEXT) | instid1(VALU_DEP_1)
	v_fma_f32 v52, -v48, v50, v51
	v_fmac_f32_e32 v50, v52, v49
	s_delay_alu instid0(VALU_DEP_1) | instskip(NEXT) | instid1(VALU_DEP_1)
	v_fma_f32 v48, -v48, v50, v51
	v_div_fmas_f32 v48, v48, v49, v50
	s_delay_alu instid0(VALU_DEP_1) | instskip(NEXT) | instid1(VALU_DEP_1)
	v_div_fixup_f32 v49, v48, v42, v43
	v_fmac_f32_e32 v42, v43, v49
	s_delay_alu instid0(VALU_DEP_1) | instskip(NEXT) | instid1(VALU_DEP_1)
	v_div_scale_f32 v43, null, v42, v42, 1.0
	v_rcp_f32_e32 v48, v43
	v_nop
	s_delay_alu instid0(TRANS32_DEP_1) | instskip(NEXT) | instid1(VALU_DEP_1)
	v_fma_f32 v50, -v43, v48, 1.0
	v_fmac_f32_e32 v48, v50, v48
	v_div_scale_f32 v50, vcc_lo, 1.0, v42, 1.0
	s_delay_alu instid0(VALU_DEP_1) | instskip(NEXT) | instid1(VALU_DEP_1)
	v_mul_f32_e32 v51, v50, v48
	v_fma_f32 v52, -v43, v51, v50
	s_delay_alu instid0(VALU_DEP_1) | instskip(NEXT) | instid1(VALU_DEP_1)
	v_fmac_f32_e32 v51, v52, v48
	v_fma_f32 v43, -v43, v51, v50
	s_delay_alu instid0(VALU_DEP_1) | instskip(NEXT) | instid1(VALU_DEP_1)
	v_div_fmas_f32 v43, v43, v48, v51
	v_div_fixup_f32 v48, v43, v42, 1.0
	s_delay_alu instid0(VALU_DEP_1)
	v_mul_f32_e64 v49, v49, -v48
.LBB103_322:
	s_or_b32 exec_lo, exec_lo, s1
	ds_store_b64 v117, v[48:49]
.LBB103_323:
	s_or_b32 exec_lo, exec_lo, s2
	s_wait_dscnt 0x0
	s_barrier_signal -1
	s_barrier_wait -1
	ds_load_b64 v[42:43], v117
	s_mov_b32 s1, exec_lo
	v_cmpx_lt_u32_e32 35, v116
	s_cbranch_execz .LBB103_325
; %bb.324:
	ds_load_2addr_b64 v[64:67], v118 offset0:36 offset1:37
	s_wait_dscnt 0x1
	v_pk_mul_f32 v[50:51], v[42:43], v[140:141] op_sel:[1,1] op_sel_hi:[0,1]
	s_delay_alu instid0(VALU_DEP_1) | instskip(SKIP_1) | instid1(VALU_DEP_1)
	v_pk_fma_f32 v[48:49], v[42:43], v[140:141], v[50:51] op_sel_hi:[1,0,1] neg_lo:[0,0,1] neg_hi:[0,0,1]
	v_pk_fma_f32 v[50:51], v[42:43], v[140:141], v[50:51] op_sel_hi:[1,0,1]
	v_dual_mov_b32 v140, v48 :: v_dual_mov_b32 v141, v51
	s_wait_dscnt 0x0
	s_delay_alu instid0(VALU_DEP_2) | instskip(NEXT) | instid1(VALU_DEP_1)
	v_pk_mul_f32 v[52:53], v[64:65], v[50:51] op_sel:[0,1]
	v_pk_fma_f32 v[68:69], v[64:65], v[48:49], v[52:53] op_sel:[0,0,1] op_sel_hi:[1,1,0] neg_lo:[0,0,1] neg_hi:[0,0,1]
	v_pk_fma_f32 v[52:53], v[64:65], v[48:49], v[52:53] op_sel:[0,0,1] op_sel_hi:[1,0,0]
	s_delay_alu instid0(VALU_DEP_1) | instskip(SKIP_1) | instid1(VALU_DEP_1)
	v_mov_b32_e32 v69, v53
	v_pk_mul_f32 v[52:53], v[66:67], v[50:51] op_sel:[0,1]
	v_pk_fma_f32 v[64:65], v[66:67], v[48:49], v[52:53] op_sel:[0,0,1] op_sel_hi:[1,1,0] neg_lo:[0,0,1] neg_hi:[0,0,1]
	v_pk_fma_f32 v[52:53], v[66:67], v[48:49], v[52:53] op_sel:[0,0,1] op_sel_hi:[1,0,0]
	s_delay_alu instid0(VALU_DEP_1) | instskip(SKIP_1) | instid1(VALU_DEP_2)
	v_mov_b32_e32 v65, v53
	v_pk_add_f32 v[162:163], v[162:163], v[68:69] neg_lo:[0,1] neg_hi:[0,1]
	v_pk_add_f32 v[158:159], v[158:159], v[64:65] neg_lo:[0,1] neg_hi:[0,1]
	ds_load_2addr_b64 v[64:67], v118 offset0:38 offset1:39
	s_wait_dscnt 0x0
	v_pk_mul_f32 v[52:53], v[64:65], v[50:51] op_sel:[0,1]
	s_delay_alu instid0(VALU_DEP_1) | instskip(SKIP_2) | instid1(VALU_DEP_2)
	v_pk_fma_f32 v[68:69], v[64:65], v[48:49], v[52:53] op_sel:[0,0,1] op_sel_hi:[1,1,0] neg_lo:[0,0,1] neg_hi:[0,0,1]
	v_pk_fma_f32 v[52:53], v[64:65], v[48:49], v[52:53] op_sel:[0,0,1] op_sel_hi:[1,0,0]
	v_dual_mul_f32 v64, v67, v51 :: v_dual_mov_b32 v52, v67
	v_dual_mov_b32 v69, v53 :: v_dual_mov_b32 v53, v66
	s_delay_alu instid0(VALU_DEP_2) | instskip(SKIP_1) | instid1(VALU_DEP_3)
	v_pk_fma_f32 v[64:65], v[66:67], v[140:141], v[64:65] op_sel_hi:[1,1,0] neg_lo:[0,0,1] neg_hi:[0,0,1]
	v_mul_f32_e32 v66, v67, v48
	v_pk_add_f32 v[160:161], v[160:161], v[68:69] neg_lo:[0,1] neg_hi:[0,1]
	s_delay_alu instid0(VALU_DEP_2) | instskip(NEXT) | instid1(VALU_DEP_1)
	v_pk_fma_f32 v[52:53], v[52:53], v[140:141], v[66:67] op_sel_hi:[1,1,0]
	v_mov_b32_e32 v65, v53
	s_delay_alu instid0(VALU_DEP_1) | instskip(SKIP_3) | instid1(VALU_DEP_1)
	v_pk_add_f32 v[156:157], v[156:157], v[64:65] neg_lo:[0,1] neg_hi:[0,1]
	ds_load_2addr_b64 v[64:67], v118 offset0:40 offset1:41
	s_wait_dscnt 0x0
	v_pk_mul_f32 v[52:53], v[64:65], v[50:51] op_sel:[0,1]
	v_pk_fma_f32 v[68:69], v[64:65], v[48:49], v[52:53] op_sel:[0,0,1] op_sel_hi:[1,1,0] neg_lo:[0,0,1] neg_hi:[0,0,1]
	v_pk_fma_f32 v[52:53], v[64:65], v[48:49], v[52:53] op_sel:[0,0,1] op_sel_hi:[1,0,0]
	s_delay_alu instid0(VALU_DEP_1) | instskip(SKIP_1) | instid1(VALU_DEP_1)
	v_mov_b32_e32 v69, v53
	v_pk_mul_f32 v[52:53], v[66:67], v[50:51] op_sel:[0,1]
	v_pk_fma_f32 v[64:65], v[66:67], v[48:49], v[52:53] op_sel:[0,0,1] op_sel_hi:[1,1,0] neg_lo:[0,0,1] neg_hi:[0,0,1]
	v_pk_fma_f32 v[52:53], v[66:67], v[48:49], v[52:53] op_sel:[0,0,1] op_sel_hi:[1,0,0]
	s_delay_alu instid0(VALU_DEP_1) | instskip(SKIP_1) | instid1(VALU_DEP_2)
	v_mov_b32_e32 v65, v53
	v_pk_add_f32 v[182:183], v[182:183], v[68:69] neg_lo:[0,1] neg_hi:[0,1]
	v_pk_add_f32 v[178:179], v[178:179], v[64:65] neg_lo:[0,1] neg_hi:[0,1]
	ds_load_2addr_b64 v[64:67], v118 offset0:42 offset1:43
	s_wait_dscnt 0x0
	v_pk_mul_f32 v[52:53], v[64:65], v[50:51] op_sel:[0,1]
	s_delay_alu instid0(VALU_DEP_1) | instskip(SKIP_1) | instid1(VALU_DEP_1)
	v_pk_fma_f32 v[68:69], v[64:65], v[48:49], v[52:53] op_sel:[0,0,1] op_sel_hi:[1,1,0] neg_lo:[0,0,1] neg_hi:[0,0,1]
	v_pk_fma_f32 v[52:53], v[64:65], v[48:49], v[52:53] op_sel:[0,0,1] op_sel_hi:[1,0,0]
	v_mov_b32_e32 v69, v53
	v_pk_mul_f32 v[52:53], v[66:67], v[50:51] op_sel:[0,1]
	s_delay_alu instid0(VALU_DEP_1) | instskip(SKIP_1) | instid1(VALU_DEP_1)
	v_pk_fma_f32 v[64:65], v[66:67], v[48:49], v[52:53] op_sel:[0,0,1] op_sel_hi:[1,1,0] neg_lo:[0,0,1] neg_hi:[0,0,1]
	v_pk_fma_f32 v[52:53], v[66:67], v[48:49], v[52:53] op_sel:[0,0,1] op_sel_hi:[1,0,0]
	v_mov_b32_e32 v65, v53
	v_pk_add_f32 v[180:181], v[180:181], v[68:69] neg_lo:[0,1] neg_hi:[0,1]
	s_delay_alu instid0(VALU_DEP_2) | instskip(SKIP_3) | instid1(VALU_DEP_1)
	v_pk_add_f32 v[176:177], v[176:177], v[64:65] neg_lo:[0,1] neg_hi:[0,1]
	ds_load_2addr_b64 v[64:67], v118 offset0:44 offset1:45
	s_wait_dscnt 0x0
	v_dual_mul_f32 v52, v65, v51 :: v_dual_mul_f32 v68, v65, v48
	v_pk_fma_f32 v[52:53], v[64:65], v[140:141], v[52:53] op_sel_hi:[1,1,0] neg_lo:[0,0,1] neg_hi:[0,0,1]
	s_delay_alu instid0(VALU_DEP_2) | instskip(NEXT) | instid1(VALU_DEP_1)
	v_pk_fma_f32 v[64:65], v[64:65], v[140:141], v[68:69] op_sel:[1,0,0] op_sel_hi:[0,1,0]
	v_mov_b32_e32 v53, v65
	s_delay_alu instid0(VALU_DEP_1) | instskip(SKIP_1) | instid1(VALU_DEP_1)
	v_pk_add_f32 v[204:205], v[204:205], v[52:53] neg_lo:[0,1] neg_hi:[0,1]
	v_pk_mul_f32 v[52:53], v[66:67], v[50:51] op_sel:[0,1]
	v_pk_fma_f32 v[64:65], v[66:67], v[48:49], v[52:53] op_sel:[0,0,1] op_sel_hi:[1,1,0] neg_lo:[0,0,1] neg_hi:[0,0,1]
	v_pk_fma_f32 v[52:53], v[66:67], v[48:49], v[52:53] op_sel:[0,0,1] op_sel_hi:[1,0,0]
	s_delay_alu instid0(VALU_DEP_1) | instskip(NEXT) | instid1(VALU_DEP_1)
	v_mov_b32_e32 v65, v53
	v_pk_add_f32 v[198:199], v[198:199], v[64:65] neg_lo:[0,1] neg_hi:[0,1]
	ds_load_2addr_b64 v[64:67], v118 offset0:46 offset1:47
	s_wait_dscnt 0x0
	v_pk_mul_f32 v[52:53], v[64:65], v[50:51] op_sel:[0,1]
	s_delay_alu instid0(VALU_DEP_1) | instskip(SKIP_1) | instid1(VALU_DEP_1)
	v_pk_fma_f32 v[68:69], v[64:65], v[48:49], v[52:53] op_sel:[0,0,1] op_sel_hi:[1,1,0] neg_lo:[0,0,1] neg_hi:[0,0,1]
	v_pk_fma_f32 v[52:53], v[64:65], v[48:49], v[52:53] op_sel:[0,0,1] op_sel_hi:[1,0,0]
	v_mov_b32_e32 v69, v53
	v_pk_mul_f32 v[52:53], v[66:67], v[50:51] op_sel:[0,1]
	s_delay_alu instid0(VALU_DEP_2) | instskip(NEXT) | instid1(VALU_DEP_2)
	v_pk_add_f32 v[202:203], v[202:203], v[68:69] neg_lo:[0,1] neg_hi:[0,1]
	v_pk_fma_f32 v[64:65], v[66:67], v[48:49], v[52:53] op_sel:[0,0,1] op_sel_hi:[1,1,0] neg_lo:[0,0,1] neg_hi:[0,0,1]
	v_pk_fma_f32 v[52:53], v[66:67], v[48:49], v[52:53] op_sel:[0,0,1] op_sel_hi:[1,0,0]
	s_delay_alu instid0(VALU_DEP_1) | instskip(NEXT) | instid1(VALU_DEP_1)
	v_mov_b32_e32 v65, v53
	v_pk_add_f32 v[196:197], v[196:197], v[64:65] neg_lo:[0,1] neg_hi:[0,1]
	ds_load_2addr_b64 v[64:67], v118 offset0:48 offset1:49
	s_wait_dscnt 0x0
	v_pk_mul_f32 v[52:53], v[64:65], v[50:51] op_sel:[0,1]
	s_delay_alu instid0(VALU_DEP_1) | instskip(SKIP_2) | instid1(VALU_DEP_2)
	v_pk_fma_f32 v[68:69], v[64:65], v[48:49], v[52:53] op_sel:[0,0,1] op_sel_hi:[1,1,0] neg_lo:[0,0,1] neg_hi:[0,0,1]
	v_pk_fma_f32 v[52:53], v[64:65], v[48:49], v[52:53] op_sel:[0,0,1] op_sel_hi:[1,0,0]
	v_dual_mul_f32 v64, v67, v51 :: v_dual_mov_b32 v52, v67
	v_dual_mov_b32 v69, v53 :: v_dual_mov_b32 v53, v66
	s_delay_alu instid0(VALU_DEP_2) | instskip(SKIP_1) | instid1(VALU_DEP_3)
	v_pk_fma_f32 v[64:65], v[66:67], v[140:141], v[64:65] op_sel_hi:[1,1,0] neg_lo:[0,0,1] neg_hi:[0,0,1]
	v_mul_f32_e32 v66, v67, v48
	v_pk_add_f32 v[200:201], v[200:201], v[68:69] neg_lo:[0,1] neg_hi:[0,1]
	s_delay_alu instid0(VALU_DEP_2) | instskip(NEXT) | instid1(VALU_DEP_1)
	v_pk_fma_f32 v[52:53], v[52:53], v[140:141], v[66:67] op_sel_hi:[1,1,0]
	v_mov_b32_e32 v65, v53
	s_delay_alu instid0(VALU_DEP_1) | instskip(SKIP_4) | instid1(VALU_DEP_2)
	v_pk_add_f32 v[194:195], v[194:195], v[64:65] neg_lo:[0,1] neg_hi:[0,1]
	ds_load_2addr_b64 v[64:67], v118 offset0:50 offset1:51
	s_wait_dscnt 0x0
	v_pk_mul_f32 v[52:53], v[64:65], v[50:51] op_sel:[0,1]
	v_pk_mul_f32 v[50:51], v[66:67], v[50:51] op_sel:[0,1]
	v_pk_fma_f32 v[68:69], v[64:65], v[48:49], v[52:53] op_sel:[0,0,1] op_sel_hi:[1,1,0] neg_lo:[0,0,1] neg_hi:[0,0,1]
	v_pk_fma_f32 v[52:53], v[64:65], v[48:49], v[52:53] op_sel:[0,0,1] op_sel_hi:[1,0,0]
	s_delay_alu instid0(VALU_DEP_1) | instskip(NEXT) | instid1(VALU_DEP_4)
	v_mov_b32_e32 v69, v53
	v_pk_fma_f32 v[52:53], v[66:67], v[48:49], v[50:51] op_sel:[0,0,1] op_sel_hi:[1,1,0] neg_lo:[0,0,1] neg_hi:[0,0,1]
	v_pk_fma_f32 v[48:49], v[66:67], v[48:49], v[50:51] op_sel:[0,0,1] op_sel_hi:[1,0,0]
	s_delay_alu instid0(VALU_DEP_1) | instskip(NEXT) | instid1(VALU_DEP_4)
	v_mov_b32_e32 v53, v49
	v_pk_add_f32 v[206:207], v[206:207], v[68:69] neg_lo:[0,1] neg_hi:[0,1]
	s_delay_alu instid0(VALU_DEP_2)
	v_pk_add_f32 v[208:209], v[208:209], v[52:53] neg_lo:[0,1] neg_hi:[0,1]
.LBB103_325:
	s_or_b32 exec_lo, exec_lo, s1
	s_delay_alu instid0(SALU_CYCLE_1)
	s_mov_b32 s2, exec_lo
	s_wait_dscnt 0x0
	s_barrier_signal -1
	s_barrier_wait -1
	v_cmpx_eq_u32_e32 36, v116
	s_cbranch_execz .LBB103_332
; %bb.326:
	ds_store_b64 v117, v[162:163]
	ds_store_2addr_b64 v118, v[158:159], v[160:161] offset0:37 offset1:38
	ds_store_2addr_b64 v118, v[156:157], v[182:183] offset0:39 offset1:40
	;; [unrolled: 1-line block ×7, first 2 shown]
	ds_store_b64 v118, v[208:209] offset:408
	ds_load_b64 v[48:49], v117
	s_wait_dscnt 0x0
	v_cmp_neq_f32_e32 vcc_lo, 0, v48
	v_cmp_neq_f32_e64 s1, 0, v49
	s_or_b32 s1, vcc_lo, s1
	s_delay_alu instid0(SALU_CYCLE_1)
	s_and_b32 exec_lo, exec_lo, s1
	s_cbranch_execz .LBB103_332
; %bb.327:
	v_cmp_ngt_f32_e64 s1, |v48|, |v49|
                                        ; implicit-def: $vgpr50_vgpr51
	s_and_saveexec_b32 s4, s1
	s_delay_alu instid0(SALU_CYCLE_1)
	s_xor_b32 s1, exec_lo, s4
	s_cbranch_execz .LBB103_329
; %bb.328:
	v_div_scale_f32 v50, null, v49, v49, v48
	v_div_scale_f32 v53, vcc_lo, v48, v49, v48
	s_delay_alu instid0(VALU_DEP_2) | instskip(SKIP_1) | instid1(TRANS32_DEP_1)
	v_rcp_f32_e32 v51, v50
	v_nop
	v_fma_f32 v52, -v50, v51, 1.0
	s_delay_alu instid0(VALU_DEP_1) | instskip(NEXT) | instid1(VALU_DEP_1)
	v_fmac_f32_e32 v51, v52, v51
	v_mul_f32_e32 v52, v53, v51
	s_delay_alu instid0(VALU_DEP_1) | instskip(NEXT) | instid1(VALU_DEP_1)
	v_fma_f32 v64, -v50, v52, v53
	v_fmac_f32_e32 v52, v64, v51
	s_delay_alu instid0(VALU_DEP_1) | instskip(NEXT) | instid1(VALU_DEP_1)
	v_fma_f32 v50, -v50, v52, v53
	v_div_fmas_f32 v50, v50, v51, v52
	s_delay_alu instid0(VALU_DEP_1) | instskip(NEXT) | instid1(VALU_DEP_1)
	v_div_fixup_f32 v50, v50, v49, v48
	v_fmac_f32_e32 v49, v48, v50
	s_delay_alu instid0(VALU_DEP_1) | instskip(SKIP_1) | instid1(VALU_DEP_2)
	v_div_scale_f32 v48, null, v49, v49, 1.0
	v_div_scale_f32 v53, vcc_lo, 1.0, v49, 1.0
	v_rcp_f32_e32 v51, v48
	v_nop
	s_delay_alu instid0(TRANS32_DEP_1) | instskip(NEXT) | instid1(VALU_DEP_1)
	v_fma_f32 v52, -v48, v51, 1.0
	v_fmac_f32_e32 v51, v52, v51
	s_delay_alu instid0(VALU_DEP_1) | instskip(NEXT) | instid1(VALU_DEP_1)
	v_mul_f32_e32 v52, v53, v51
	v_fma_f32 v64, -v48, v52, v53
	s_delay_alu instid0(VALU_DEP_1) | instskip(NEXT) | instid1(VALU_DEP_1)
	v_fmac_f32_e32 v52, v64, v51
	v_fma_f32 v48, -v48, v52, v53
	s_delay_alu instid0(VALU_DEP_1) | instskip(NEXT) | instid1(VALU_DEP_1)
	v_div_fmas_f32 v48, v48, v51, v52
	v_div_fixup_f32 v48, v48, v49, 1.0
	s_delay_alu instid0(VALU_DEP_1)
	v_mul_f32_e32 v50, v50, v48
	v_xor_b32_e32 v51, 0x80000000, v48
                                        ; implicit-def: $vgpr48_vgpr49
.LBB103_329:
	s_and_not1_saveexec_b32 s1, s1
	s_cbranch_execz .LBB103_331
; %bb.330:
	v_div_scale_f32 v50, null, v48, v48, v49
	v_div_scale_f32 v53, vcc_lo, v49, v48, v49
	s_delay_alu instid0(VALU_DEP_2) | instskip(SKIP_1) | instid1(TRANS32_DEP_1)
	v_rcp_f32_e32 v51, v50
	v_nop
	v_fma_f32 v52, -v50, v51, 1.0
	s_delay_alu instid0(VALU_DEP_1) | instskip(NEXT) | instid1(VALU_DEP_1)
	v_fmac_f32_e32 v51, v52, v51
	v_mul_f32_e32 v52, v53, v51
	s_delay_alu instid0(VALU_DEP_1) | instskip(NEXT) | instid1(VALU_DEP_1)
	v_fma_f32 v64, -v50, v52, v53
	v_fmac_f32_e32 v52, v64, v51
	s_delay_alu instid0(VALU_DEP_1) | instskip(NEXT) | instid1(VALU_DEP_1)
	v_fma_f32 v50, -v50, v52, v53
	v_div_fmas_f32 v50, v50, v51, v52
	s_delay_alu instid0(VALU_DEP_1) | instskip(NEXT) | instid1(VALU_DEP_1)
	v_div_fixup_f32 v51, v50, v48, v49
	v_fmac_f32_e32 v48, v49, v51
	s_delay_alu instid0(VALU_DEP_1) | instskip(NEXT) | instid1(VALU_DEP_1)
	v_div_scale_f32 v49, null, v48, v48, 1.0
	v_rcp_f32_e32 v50, v49
	v_nop
	s_delay_alu instid0(TRANS32_DEP_1) | instskip(NEXT) | instid1(VALU_DEP_1)
	v_fma_f32 v52, -v49, v50, 1.0
	v_fmac_f32_e32 v50, v52, v50
	v_div_scale_f32 v52, vcc_lo, 1.0, v48, 1.0
	s_delay_alu instid0(VALU_DEP_1) | instskip(NEXT) | instid1(VALU_DEP_1)
	v_mul_f32_e32 v53, v52, v50
	v_fma_f32 v64, -v49, v53, v52
	s_delay_alu instid0(VALU_DEP_1) | instskip(NEXT) | instid1(VALU_DEP_1)
	v_fmac_f32_e32 v53, v64, v50
	v_fma_f32 v49, -v49, v53, v52
	s_delay_alu instid0(VALU_DEP_1) | instskip(NEXT) | instid1(VALU_DEP_1)
	v_div_fmas_f32 v49, v49, v50, v53
	v_div_fixup_f32 v50, v49, v48, 1.0
	s_delay_alu instid0(VALU_DEP_1)
	v_mul_f32_e64 v51, v51, -v50
.LBB103_331:
	s_or_b32 exec_lo, exec_lo, s1
	ds_store_b64 v117, v[50:51]
.LBB103_332:
	s_or_b32 exec_lo, exec_lo, s2
	s_wait_dscnt 0x0
	s_barrier_signal -1
	s_barrier_wait -1
	ds_load_b64 v[48:49], v117
	s_mov_b32 s1, exec_lo
	v_cmpx_lt_u32_e32 36, v116
	s_cbranch_execz .LBB103_334
; %bb.333:
	ds_load_2addr_b64 v[64:67], v118 offset0:37 offset1:38
	s_wait_dscnt 0x1
	v_pk_mul_f32 v[52:53], v[48:49], v[162:163] op_sel:[1,1] op_sel_hi:[0,1]
	s_delay_alu instid0(VALU_DEP_1) | instskip(SKIP_1) | instid1(VALU_DEP_1)
	v_pk_fma_f32 v[50:51], v[48:49], v[162:163], v[52:53] op_sel_hi:[1,0,1] neg_lo:[0,0,1] neg_hi:[0,0,1]
	v_pk_fma_f32 v[52:53], v[48:49], v[162:163], v[52:53] op_sel_hi:[1,0,1]
	v_dual_mov_b32 v162, v50 :: v_dual_mov_b32 v163, v53
	s_wait_dscnt 0x0
	s_delay_alu instid0(VALU_DEP_2) | instskip(NEXT) | instid1(VALU_DEP_1)
	v_pk_mul_f32 v[68:69], v[64:65], v[52:53] op_sel:[0,1]
	v_pk_fma_f32 v[70:71], v[64:65], v[50:51], v[68:69] op_sel:[0,0,1] op_sel_hi:[1,1,0] neg_lo:[0,0,1] neg_hi:[0,0,1]
	v_pk_fma_f32 v[64:65], v[64:65], v[50:51], v[68:69] op_sel:[0,0,1] op_sel_hi:[1,0,0]
	s_delay_alu instid0(VALU_DEP_1) | instskip(SKIP_1) | instid1(VALU_DEP_1)
	v_mov_b32_e32 v71, v65
	v_pk_mul_f32 v[64:65], v[66:67], v[52:53] op_sel:[0,1]
	v_pk_fma_f32 v[68:69], v[66:67], v[50:51], v[64:65] op_sel:[0,0,1] op_sel_hi:[1,1,0] neg_lo:[0,0,1] neg_hi:[0,0,1]
	v_pk_fma_f32 v[64:65], v[66:67], v[50:51], v[64:65] op_sel:[0,0,1] op_sel_hi:[1,0,0]
	s_delay_alu instid0(VALU_DEP_1)
	v_mov_b32_e32 v69, v65
	ds_load_2addr_b64 v[64:67], v118 offset0:39 offset1:40
	v_pk_add_f32 v[158:159], v[158:159], v[70:71] neg_lo:[0,1] neg_hi:[0,1]
	v_pk_add_f32 v[160:161], v[160:161], v[68:69] neg_lo:[0,1] neg_hi:[0,1]
	s_wait_dscnt 0x0
	v_pk_mul_f32 v[68:69], v[64:65], v[52:53] op_sel:[0,1]
	s_delay_alu instid0(VALU_DEP_1) | instskip(SKIP_2) | instid1(VALU_DEP_2)
	v_pk_fma_f32 v[70:71], v[64:65], v[50:51], v[68:69] op_sel:[0,0,1] op_sel_hi:[1,1,0] neg_lo:[0,0,1] neg_hi:[0,0,1]
	v_pk_fma_f32 v[64:65], v[64:65], v[50:51], v[68:69] op_sel:[0,0,1] op_sel_hi:[1,0,0]
	v_dual_mul_f32 v68, v67, v53 :: v_dual_mov_b32 v64, v67
	v_dual_mov_b32 v71, v65 :: v_dual_mov_b32 v65, v66
	s_delay_alu instid0(VALU_DEP_2) | instskip(SKIP_1) | instid1(VALU_DEP_3)
	v_pk_fma_f32 v[68:69], v[66:67], v[162:163], v[68:69] op_sel_hi:[1,1,0] neg_lo:[0,0,1] neg_hi:[0,0,1]
	v_mul_f32_e32 v66, v67, v50
	v_pk_add_f32 v[156:157], v[156:157], v[70:71] neg_lo:[0,1] neg_hi:[0,1]
	s_delay_alu instid0(VALU_DEP_2) | instskip(NEXT) | instid1(VALU_DEP_1)
	v_pk_fma_f32 v[64:65], v[64:65], v[162:163], v[66:67] op_sel_hi:[1,1,0]
	v_mov_b32_e32 v69, v65
	ds_load_2addr_b64 v[64:67], v118 offset0:41 offset1:42
	v_pk_add_f32 v[182:183], v[182:183], v[68:69] neg_lo:[0,1] neg_hi:[0,1]
	s_wait_dscnt 0x0
	v_pk_mul_f32 v[68:69], v[64:65], v[52:53] op_sel:[0,1]
	s_delay_alu instid0(VALU_DEP_1) | instskip(SKIP_1) | instid1(VALU_DEP_1)
	v_pk_fma_f32 v[70:71], v[64:65], v[50:51], v[68:69] op_sel:[0,0,1] op_sel_hi:[1,1,0] neg_lo:[0,0,1] neg_hi:[0,0,1]
	v_pk_fma_f32 v[64:65], v[64:65], v[50:51], v[68:69] op_sel:[0,0,1] op_sel_hi:[1,0,0]
	v_mov_b32_e32 v71, v65
	v_pk_mul_f32 v[64:65], v[66:67], v[52:53] op_sel:[0,1]
	s_delay_alu instid0(VALU_DEP_1) | instskip(SKIP_1) | instid1(VALU_DEP_1)
	v_pk_fma_f32 v[68:69], v[66:67], v[50:51], v[64:65] op_sel:[0,0,1] op_sel_hi:[1,1,0] neg_lo:[0,0,1] neg_hi:[0,0,1]
	v_pk_fma_f32 v[64:65], v[66:67], v[50:51], v[64:65] op_sel:[0,0,1] op_sel_hi:[1,0,0]
	v_mov_b32_e32 v69, v65
	ds_load_2addr_b64 v[64:67], v118 offset0:43 offset1:44
	v_pk_add_f32 v[178:179], v[178:179], v[70:71] neg_lo:[0,1] neg_hi:[0,1]
	v_pk_add_f32 v[180:181], v[180:181], v[68:69] neg_lo:[0,1] neg_hi:[0,1]
	s_wait_dscnt 0x0
	v_pk_mul_f32 v[68:69], v[64:65], v[52:53] op_sel:[0,1]
	s_delay_alu instid0(VALU_DEP_1) | instskip(SKIP_1) | instid1(VALU_DEP_1)
	v_pk_fma_f32 v[70:71], v[64:65], v[50:51], v[68:69] op_sel:[0,0,1] op_sel_hi:[1,1,0] neg_lo:[0,0,1] neg_hi:[0,0,1]
	v_pk_fma_f32 v[64:65], v[64:65], v[50:51], v[68:69] op_sel:[0,0,1] op_sel_hi:[1,0,0]
	v_mov_b32_e32 v71, v65
	v_pk_mul_f32 v[64:65], v[66:67], v[52:53] op_sel:[0,1]
	s_delay_alu instid0(VALU_DEP_1) | instskip(SKIP_1) | instid1(VALU_DEP_1)
	v_pk_fma_f32 v[68:69], v[66:67], v[50:51], v[64:65] op_sel:[0,0,1] op_sel_hi:[1,1,0] neg_lo:[0,0,1] neg_hi:[0,0,1]
	v_pk_fma_f32 v[64:65], v[66:67], v[50:51], v[64:65] op_sel:[0,0,1] op_sel_hi:[1,0,0]
	v_mov_b32_e32 v69, v65
	ds_load_2addr_b64 v[64:67], v118 offset0:45 offset1:46
	v_pk_add_f32 v[176:177], v[176:177], v[70:71] neg_lo:[0,1] neg_hi:[0,1]
	v_pk_add_f32 v[204:205], v[204:205], v[68:69] neg_lo:[0,1] neg_hi:[0,1]
	s_wait_dscnt 0x0
	v_dual_mul_f32 v68, v65, v53 :: v_dual_mul_f32 v70, v65, v50
	s_delay_alu instid0(VALU_DEP_1) | instskip(NEXT) | instid1(VALU_DEP_2)
	v_pk_fma_f32 v[68:69], v[64:65], v[162:163], v[68:69] op_sel_hi:[1,1,0] neg_lo:[0,0,1] neg_hi:[0,0,1]
	v_pk_fma_f32 v[64:65], v[64:65], v[162:163], v[70:71] op_sel:[1,0,0] op_sel_hi:[0,1,0]
	s_delay_alu instid0(VALU_DEP_1) | instskip(SKIP_1) | instid1(VALU_DEP_2)
	v_mov_b32_e32 v69, v65
	v_pk_mul_f32 v[64:65], v[66:67], v[52:53] op_sel:[0,1]
	v_pk_add_f32 v[198:199], v[198:199], v[68:69] neg_lo:[0,1] neg_hi:[0,1]
	s_delay_alu instid0(VALU_DEP_2) | instskip(SKIP_1) | instid1(VALU_DEP_1)
	v_pk_fma_f32 v[68:69], v[66:67], v[50:51], v[64:65] op_sel:[0,0,1] op_sel_hi:[1,1,0] neg_lo:[0,0,1] neg_hi:[0,0,1]
	v_pk_fma_f32 v[64:65], v[66:67], v[50:51], v[64:65] op_sel:[0,0,1] op_sel_hi:[1,0,0]
	v_mov_b32_e32 v69, v65
	ds_load_2addr_b64 v[64:67], v118 offset0:47 offset1:48
	v_pk_add_f32 v[202:203], v[202:203], v[68:69] neg_lo:[0,1] neg_hi:[0,1]
	s_wait_dscnt 0x0
	v_pk_mul_f32 v[68:69], v[64:65], v[52:53] op_sel:[0,1]
	s_delay_alu instid0(VALU_DEP_1) | instskip(SKIP_1) | instid1(VALU_DEP_1)
	v_pk_fma_f32 v[70:71], v[64:65], v[50:51], v[68:69] op_sel:[0,0,1] op_sel_hi:[1,1,0] neg_lo:[0,0,1] neg_hi:[0,0,1]
	v_pk_fma_f32 v[64:65], v[64:65], v[50:51], v[68:69] op_sel:[0,0,1] op_sel_hi:[1,0,0]
	v_mov_b32_e32 v71, v65
	v_pk_mul_f32 v[64:65], v[66:67], v[52:53] op_sel:[0,1]
	s_delay_alu instid0(VALU_DEP_2) | instskip(NEXT) | instid1(VALU_DEP_2)
	v_pk_add_f32 v[196:197], v[196:197], v[70:71] neg_lo:[0,1] neg_hi:[0,1]
	v_pk_fma_f32 v[68:69], v[66:67], v[50:51], v[64:65] op_sel:[0,0,1] op_sel_hi:[1,1,0] neg_lo:[0,0,1] neg_hi:[0,0,1]
	v_pk_fma_f32 v[64:65], v[66:67], v[50:51], v[64:65] op_sel:[0,0,1] op_sel_hi:[1,0,0]
	s_delay_alu instid0(VALU_DEP_1) | instskip(SKIP_4) | instid1(VALU_DEP_1)
	v_mov_b32_e32 v69, v65
	ds_load_2addr_b64 v[64:67], v118 offset0:49 offset1:50
	v_pk_add_f32 v[200:201], v[200:201], v[68:69] neg_lo:[0,1] neg_hi:[0,1]
	s_wait_dscnt 0x0
	v_pk_mul_f32 v[68:69], v[64:65], v[52:53] op_sel:[0,1]
	v_pk_fma_f32 v[70:71], v[64:65], v[50:51], v[68:69] op_sel:[0,0,1] op_sel_hi:[1,1,0] neg_lo:[0,0,1] neg_hi:[0,0,1]
	v_pk_fma_f32 v[64:65], v[64:65], v[50:51], v[68:69] op_sel:[0,0,1] op_sel_hi:[1,0,0]
	v_dual_mul_f32 v68, v67, v53 :: v_dual_mov_b32 v64, v67
	s_delay_alu instid0(VALU_DEP_2) | instskip(NEXT) | instid1(VALU_DEP_2)
	v_dual_mov_b32 v71, v65 :: v_dual_mov_b32 v65, v66
	v_pk_fma_f32 v[68:69], v[66:67], v[162:163], v[68:69] op_sel_hi:[1,1,0] neg_lo:[0,0,1] neg_hi:[0,0,1]
	v_mul_f32_e32 v66, v67, v50
	s_delay_alu instid0(VALU_DEP_3) | instskip(NEXT) | instid1(VALU_DEP_2)
	v_pk_add_f32 v[194:195], v[194:195], v[70:71] neg_lo:[0,1] neg_hi:[0,1]
	v_pk_fma_f32 v[64:65], v[64:65], v[162:163], v[66:67] op_sel_hi:[1,1,0]
	s_delay_alu instid0(VALU_DEP_1) | instskip(SKIP_4) | instid1(VALU_DEP_1)
	v_mov_b32_e32 v69, v65
	ds_load_b64 v[64:65], v118 offset:408
	v_pk_add_f32 v[206:207], v[206:207], v[68:69] neg_lo:[0,1] neg_hi:[0,1]
	s_wait_dscnt 0x0
	v_pk_mul_f32 v[52:53], v[64:65], v[52:53] op_sel:[0,1]
	v_pk_fma_f32 v[66:67], v[64:65], v[50:51], v[52:53] op_sel:[0,0,1] op_sel_hi:[1,1,0] neg_lo:[0,0,1] neg_hi:[0,0,1]
	v_pk_fma_f32 v[50:51], v[64:65], v[50:51], v[52:53] op_sel:[0,0,1] op_sel_hi:[1,0,0]
	s_delay_alu instid0(VALU_DEP_1) | instskip(NEXT) | instid1(VALU_DEP_1)
	v_mov_b32_e32 v67, v51
	v_pk_add_f32 v[208:209], v[208:209], v[66:67] neg_lo:[0,1] neg_hi:[0,1]
.LBB103_334:
	s_or_b32 exec_lo, exec_lo, s1
	s_delay_alu instid0(SALU_CYCLE_1)
	s_mov_b32 s2, exec_lo
	s_wait_dscnt 0x0
	s_barrier_signal -1
	s_barrier_wait -1
	v_cmpx_eq_u32_e32 37, v116
	s_cbranch_execz .LBB103_341
; %bb.335:
	v_dual_mov_b32 v50, v160 :: v_dual_mov_b32 v51, v161
	v_dual_mov_b32 v52, v156 :: v_dual_mov_b32 v53, v157
	ds_store_b64 v117, v[158:159]
	ds_store_2addr_b64 v118, v[50:51], v[52:53] offset0:38 offset1:39
	v_dual_mov_b32 v50, v182 :: v_dual_mov_b32 v51, v183
	v_dual_mov_b32 v52, v178 :: v_dual_mov_b32 v53, v179
	ds_store_2addr_b64 v118, v[50:51], v[52:53] offset0:40 offset1:41
	v_dual_mov_b32 v50, v180 :: v_dual_mov_b32 v51, v181
	v_dual_mov_b32 v52, v176 :: v_dual_mov_b32 v53, v177
	;; [unrolled: 3-line block ×5, first 2 shown]
	ds_store_2addr_b64 v118, v[50:51], v[52:53] offset0:48 offset1:49
	v_dual_mov_b32 v50, v206 :: v_dual_mov_b32 v51, v207
	ds_store_2addr_b64 v118, v[50:51], v[208:209] offset0:50 offset1:51
	ds_load_b64 v[50:51], v117
	s_wait_dscnt 0x0
	v_cmp_neq_f32_e32 vcc_lo, 0, v50
	v_cmp_neq_f32_e64 s1, 0, v51
	s_or_b32 s1, vcc_lo, s1
	s_delay_alu instid0(SALU_CYCLE_1)
	s_and_b32 exec_lo, exec_lo, s1
	s_cbranch_execz .LBB103_341
; %bb.336:
	v_cmp_ngt_f32_e64 s1, |v50|, |v51|
                                        ; implicit-def: $vgpr52_vgpr53
	s_and_saveexec_b32 s4, s1
	s_delay_alu instid0(SALU_CYCLE_1)
	s_xor_b32 s1, exec_lo, s4
	s_cbranch_execz .LBB103_338
; %bb.337:
	v_div_scale_f32 v52, null, v51, v51, v50
	v_div_scale_f32 v65, vcc_lo, v50, v51, v50
	s_delay_alu instid0(VALU_DEP_2) | instskip(SKIP_1) | instid1(TRANS32_DEP_1)
	v_rcp_f32_e32 v53, v52
	v_nop
	v_fma_f32 v64, -v52, v53, 1.0
	s_delay_alu instid0(VALU_DEP_1) | instskip(NEXT) | instid1(VALU_DEP_1)
	v_fmac_f32_e32 v53, v64, v53
	v_mul_f32_e32 v64, v65, v53
	s_delay_alu instid0(VALU_DEP_1) | instskip(NEXT) | instid1(VALU_DEP_1)
	v_fma_f32 v66, -v52, v64, v65
	v_fmac_f32_e32 v64, v66, v53
	s_delay_alu instid0(VALU_DEP_1) | instskip(NEXT) | instid1(VALU_DEP_1)
	v_fma_f32 v52, -v52, v64, v65
	v_div_fmas_f32 v52, v52, v53, v64
	s_delay_alu instid0(VALU_DEP_1) | instskip(NEXT) | instid1(VALU_DEP_1)
	v_div_fixup_f32 v52, v52, v51, v50
	v_fmac_f32_e32 v51, v50, v52
	s_delay_alu instid0(VALU_DEP_1) | instskip(SKIP_1) | instid1(VALU_DEP_2)
	v_div_scale_f32 v50, null, v51, v51, 1.0
	v_div_scale_f32 v65, vcc_lo, 1.0, v51, 1.0
	v_rcp_f32_e32 v53, v50
	v_nop
	s_delay_alu instid0(TRANS32_DEP_1) | instskip(NEXT) | instid1(VALU_DEP_1)
	v_fma_f32 v64, -v50, v53, 1.0
	v_fmac_f32_e32 v53, v64, v53
	s_delay_alu instid0(VALU_DEP_1) | instskip(NEXT) | instid1(VALU_DEP_1)
	v_mul_f32_e32 v64, v65, v53
	v_fma_f32 v66, -v50, v64, v65
	s_delay_alu instid0(VALU_DEP_1) | instskip(NEXT) | instid1(VALU_DEP_1)
	v_fmac_f32_e32 v64, v66, v53
	v_fma_f32 v50, -v50, v64, v65
	s_delay_alu instid0(VALU_DEP_1) | instskip(NEXT) | instid1(VALU_DEP_1)
	v_div_fmas_f32 v50, v50, v53, v64
	v_div_fixup_f32 v50, v50, v51, 1.0
	s_delay_alu instid0(VALU_DEP_1)
	v_mul_f32_e32 v52, v52, v50
	v_xor_b32_e32 v53, 0x80000000, v50
                                        ; implicit-def: $vgpr50_vgpr51
.LBB103_338:
	s_and_not1_saveexec_b32 s1, s1
	s_cbranch_execz .LBB103_340
; %bb.339:
	v_div_scale_f32 v52, null, v50, v50, v51
	v_div_scale_f32 v65, vcc_lo, v51, v50, v51
	s_delay_alu instid0(VALU_DEP_2) | instskip(SKIP_1) | instid1(TRANS32_DEP_1)
	v_rcp_f32_e32 v53, v52
	v_nop
	v_fma_f32 v64, -v52, v53, 1.0
	s_delay_alu instid0(VALU_DEP_1) | instskip(NEXT) | instid1(VALU_DEP_1)
	v_fmac_f32_e32 v53, v64, v53
	v_mul_f32_e32 v64, v65, v53
	s_delay_alu instid0(VALU_DEP_1) | instskip(NEXT) | instid1(VALU_DEP_1)
	v_fma_f32 v66, -v52, v64, v65
	v_fmac_f32_e32 v64, v66, v53
	s_delay_alu instid0(VALU_DEP_1) | instskip(NEXT) | instid1(VALU_DEP_1)
	v_fma_f32 v52, -v52, v64, v65
	v_div_fmas_f32 v52, v52, v53, v64
	s_delay_alu instid0(VALU_DEP_1) | instskip(NEXT) | instid1(VALU_DEP_1)
	v_div_fixup_f32 v53, v52, v50, v51
	v_fmac_f32_e32 v50, v51, v53
	s_delay_alu instid0(VALU_DEP_1) | instskip(NEXT) | instid1(VALU_DEP_1)
	v_div_scale_f32 v51, null, v50, v50, 1.0
	v_rcp_f32_e32 v52, v51
	v_nop
	s_delay_alu instid0(TRANS32_DEP_1) | instskip(NEXT) | instid1(VALU_DEP_1)
	v_fma_f32 v64, -v51, v52, 1.0
	v_fmac_f32_e32 v52, v64, v52
	v_div_scale_f32 v64, vcc_lo, 1.0, v50, 1.0
	s_delay_alu instid0(VALU_DEP_1) | instskip(NEXT) | instid1(VALU_DEP_1)
	v_mul_f32_e32 v65, v64, v52
	v_fma_f32 v66, -v51, v65, v64
	s_delay_alu instid0(VALU_DEP_1) | instskip(NEXT) | instid1(VALU_DEP_1)
	v_fmac_f32_e32 v65, v66, v52
	v_fma_f32 v51, -v51, v65, v64
	s_delay_alu instid0(VALU_DEP_1) | instskip(NEXT) | instid1(VALU_DEP_1)
	v_div_fmas_f32 v51, v51, v52, v65
	v_div_fixup_f32 v52, v51, v50, 1.0
	s_delay_alu instid0(VALU_DEP_1)
	v_mul_f32_e64 v53, v53, -v52
.LBB103_340:
	s_or_b32 exec_lo, exec_lo, s1
	ds_store_b64 v117, v[52:53]
.LBB103_341:
	s_or_b32 exec_lo, exec_lo, s2
	s_wait_dscnt 0x0
	s_barrier_signal -1
	s_barrier_wait -1
	ds_load_b64 v[50:51], v117
	s_mov_b32 s1, exec_lo
	v_cmpx_lt_u32_e32 37, v116
	s_cbranch_execz .LBB103_343
; %bb.342:
	ds_load_2addr_b64 v[66:69], v118 offset0:38 offset1:39
	s_wait_dscnt 0x1
	v_pk_mul_f32 v[64:65], v[50:51], v[158:159] op_sel:[1,1] op_sel_hi:[0,1]
	s_delay_alu instid0(VALU_DEP_1) | instskip(SKIP_1) | instid1(VALU_DEP_1)
	v_pk_fma_f32 v[52:53], v[50:51], v[158:159], v[64:65] op_sel_hi:[1,0,1] neg_lo:[0,0,1] neg_hi:[0,0,1]
	v_pk_fma_f32 v[64:65], v[50:51], v[158:159], v[64:65] op_sel_hi:[1,0,1]
	v_dual_mov_b32 v158, v52 :: v_dual_mov_b32 v159, v65
	s_wait_dscnt 0x0
	s_delay_alu instid0(VALU_DEP_2) | instskip(NEXT) | instid1(VALU_DEP_1)
	v_pk_mul_f32 v[70:71], v[66:67], v[64:65] op_sel:[0,1]
	v_pk_fma_f32 v[80:81], v[66:67], v[52:53], v[70:71] op_sel:[0,0,1] op_sel_hi:[1,1,0] neg_lo:[0,0,1] neg_hi:[0,0,1]
	v_pk_fma_f32 v[66:67], v[66:67], v[52:53], v[70:71] op_sel:[0,0,1] op_sel_hi:[1,0,0]
	s_delay_alu instid0(VALU_DEP_1) | instskip(SKIP_1) | instid1(VALU_DEP_1)
	v_mov_b32_e32 v81, v67
	v_pk_mul_f32 v[66:67], v[68:69], v[64:65] op_sel:[0,1]
	v_pk_fma_f32 v[70:71], v[68:69], v[52:53], v[66:67] op_sel:[0,0,1] op_sel_hi:[1,1,0] neg_lo:[0,0,1] neg_hi:[0,0,1]
	v_pk_fma_f32 v[66:67], v[68:69], v[52:53], v[66:67] op_sel:[0,0,1] op_sel_hi:[1,0,0]
	s_delay_alu instid0(VALU_DEP_1)
	v_mov_b32_e32 v71, v67
	ds_load_2addr_b64 v[66:69], v118 offset0:40 offset1:41
	v_pk_add_f32 v[160:161], v[160:161], v[80:81] neg_lo:[0,1] neg_hi:[0,1]
	v_pk_add_f32 v[156:157], v[156:157], v[70:71] neg_lo:[0,1] neg_hi:[0,1]
	s_wait_dscnt 0x0
	v_pk_mul_f32 v[70:71], v[66:67], v[64:65] op_sel:[0,1]
	s_delay_alu instid0(VALU_DEP_1) | instskip(SKIP_2) | instid1(VALU_DEP_2)
	v_pk_fma_f32 v[80:81], v[66:67], v[52:53], v[70:71] op_sel:[0,0,1] op_sel_hi:[1,1,0] neg_lo:[0,0,1] neg_hi:[0,0,1]
	v_pk_fma_f32 v[66:67], v[66:67], v[52:53], v[70:71] op_sel:[0,0,1] op_sel_hi:[1,0,0]
	v_dual_mul_f32 v70, v69, v65 :: v_dual_mov_b32 v66, v69
	v_dual_mov_b32 v81, v67 :: v_dual_mov_b32 v67, v68
	s_delay_alu instid0(VALU_DEP_2) | instskip(SKIP_1) | instid1(VALU_DEP_3)
	v_pk_fma_f32 v[70:71], v[68:69], v[158:159], v[70:71] op_sel_hi:[1,1,0] neg_lo:[0,0,1] neg_hi:[0,0,1]
	v_mul_f32_e32 v68, v69, v52
	v_pk_add_f32 v[182:183], v[182:183], v[80:81] neg_lo:[0,1] neg_hi:[0,1]
	s_delay_alu instid0(VALU_DEP_2) | instskip(NEXT) | instid1(VALU_DEP_1)
	v_pk_fma_f32 v[66:67], v[66:67], v[158:159], v[68:69] op_sel_hi:[1,1,0]
	v_mov_b32_e32 v71, v67
	ds_load_2addr_b64 v[66:69], v118 offset0:42 offset1:43
	v_pk_add_f32 v[178:179], v[178:179], v[70:71] neg_lo:[0,1] neg_hi:[0,1]
	s_wait_dscnt 0x0
	v_pk_mul_f32 v[70:71], v[66:67], v[64:65] op_sel:[0,1]
	s_delay_alu instid0(VALU_DEP_1) | instskip(SKIP_1) | instid1(VALU_DEP_1)
	v_pk_fma_f32 v[80:81], v[66:67], v[52:53], v[70:71] op_sel:[0,0,1] op_sel_hi:[1,1,0] neg_lo:[0,0,1] neg_hi:[0,0,1]
	v_pk_fma_f32 v[66:67], v[66:67], v[52:53], v[70:71] op_sel:[0,0,1] op_sel_hi:[1,0,0]
	v_mov_b32_e32 v81, v67
	v_pk_mul_f32 v[66:67], v[68:69], v[64:65] op_sel:[0,1]
	s_delay_alu instid0(VALU_DEP_1) | instskip(SKIP_1) | instid1(VALU_DEP_1)
	v_pk_fma_f32 v[70:71], v[68:69], v[52:53], v[66:67] op_sel:[0,0,1] op_sel_hi:[1,1,0] neg_lo:[0,0,1] neg_hi:[0,0,1]
	v_pk_fma_f32 v[66:67], v[68:69], v[52:53], v[66:67] op_sel:[0,0,1] op_sel_hi:[1,0,0]
	v_mov_b32_e32 v71, v67
	ds_load_2addr_b64 v[66:69], v118 offset0:44 offset1:45
	v_pk_add_f32 v[180:181], v[180:181], v[80:81] neg_lo:[0,1] neg_hi:[0,1]
	v_pk_add_f32 v[176:177], v[176:177], v[70:71] neg_lo:[0,1] neg_hi:[0,1]
	s_wait_dscnt 0x0
	v_pk_mul_f32 v[70:71], v[66:67], v[64:65] op_sel:[0,1]
	s_delay_alu instid0(VALU_DEP_1) | instskip(SKIP_1) | instid1(VALU_DEP_1)
	v_pk_fma_f32 v[80:81], v[66:67], v[52:53], v[70:71] op_sel:[0,0,1] op_sel_hi:[1,1,0] neg_lo:[0,0,1] neg_hi:[0,0,1]
	v_pk_fma_f32 v[66:67], v[66:67], v[52:53], v[70:71] op_sel:[0,0,1] op_sel_hi:[1,0,0]
	v_mov_b32_e32 v81, v67
	v_pk_mul_f32 v[66:67], v[68:69], v[64:65] op_sel:[0,1]
	s_delay_alu instid0(VALU_DEP_1) | instskip(SKIP_1) | instid1(VALU_DEP_1)
	v_pk_fma_f32 v[70:71], v[68:69], v[52:53], v[66:67] op_sel:[0,0,1] op_sel_hi:[1,1,0] neg_lo:[0,0,1] neg_hi:[0,0,1]
	v_pk_fma_f32 v[66:67], v[68:69], v[52:53], v[66:67] op_sel:[0,0,1] op_sel_hi:[1,0,0]
	v_mov_b32_e32 v71, v67
	ds_load_2addr_b64 v[66:69], v118 offset0:46 offset1:47
	v_pk_add_f32 v[204:205], v[204:205], v[80:81] neg_lo:[0,1] neg_hi:[0,1]
	v_pk_add_f32 v[198:199], v[198:199], v[70:71] neg_lo:[0,1] neg_hi:[0,1]
	s_wait_dscnt 0x0
	v_dual_mul_f32 v70, v67, v65 :: v_dual_mul_f32 v80, v67, v52
	s_delay_alu instid0(VALU_DEP_1) | instskip(NEXT) | instid1(VALU_DEP_2)
	v_pk_fma_f32 v[70:71], v[66:67], v[158:159], v[70:71] op_sel_hi:[1,1,0] neg_lo:[0,0,1] neg_hi:[0,0,1]
	v_pk_fma_f32 v[66:67], v[66:67], v[158:159], v[80:81] op_sel:[1,0,0] op_sel_hi:[0,1,0]
	s_delay_alu instid0(VALU_DEP_1) | instskip(SKIP_1) | instid1(VALU_DEP_2)
	v_mov_b32_e32 v71, v67
	v_pk_mul_f32 v[66:67], v[68:69], v[64:65] op_sel:[0,1]
	v_pk_add_f32 v[202:203], v[202:203], v[70:71] neg_lo:[0,1] neg_hi:[0,1]
	s_delay_alu instid0(VALU_DEP_2) | instskip(SKIP_1) | instid1(VALU_DEP_1)
	v_pk_fma_f32 v[70:71], v[68:69], v[52:53], v[66:67] op_sel:[0,0,1] op_sel_hi:[1,1,0] neg_lo:[0,0,1] neg_hi:[0,0,1]
	v_pk_fma_f32 v[66:67], v[68:69], v[52:53], v[66:67] op_sel:[0,0,1] op_sel_hi:[1,0,0]
	v_mov_b32_e32 v71, v67
	ds_load_2addr_b64 v[66:69], v118 offset0:48 offset1:49
	v_pk_add_f32 v[196:197], v[196:197], v[70:71] neg_lo:[0,1] neg_hi:[0,1]
	s_wait_dscnt 0x0
	v_pk_mul_f32 v[70:71], v[66:67], v[64:65] op_sel:[0,1]
	s_delay_alu instid0(VALU_DEP_1) | instskip(SKIP_1) | instid1(VALU_DEP_1)
	v_pk_fma_f32 v[80:81], v[66:67], v[52:53], v[70:71] op_sel:[0,0,1] op_sel_hi:[1,1,0] neg_lo:[0,0,1] neg_hi:[0,0,1]
	v_pk_fma_f32 v[66:67], v[66:67], v[52:53], v[70:71] op_sel:[0,0,1] op_sel_hi:[1,0,0]
	v_mov_b32_e32 v81, v67
	v_pk_mul_f32 v[66:67], v[68:69], v[64:65] op_sel:[0,1]
	s_delay_alu instid0(VALU_DEP_2) | instskip(NEXT) | instid1(VALU_DEP_2)
	v_pk_add_f32 v[200:201], v[200:201], v[80:81] neg_lo:[0,1] neg_hi:[0,1]
	v_pk_fma_f32 v[70:71], v[68:69], v[52:53], v[66:67] op_sel:[0,0,1] op_sel_hi:[1,1,0] neg_lo:[0,0,1] neg_hi:[0,0,1]
	v_pk_fma_f32 v[66:67], v[68:69], v[52:53], v[66:67] op_sel:[0,0,1] op_sel_hi:[1,0,0]
	s_delay_alu instid0(VALU_DEP_1)
	v_mov_b32_e32 v71, v67
	ds_load_2addr_b64 v[66:69], v118 offset0:50 offset1:51
	v_pk_add_f32 v[194:195], v[194:195], v[70:71] neg_lo:[0,1] neg_hi:[0,1]
	s_wait_dscnt 0x0
	v_pk_mul_f32 v[70:71], v[66:67], v[64:65] op_sel:[0,1]
	v_pk_mul_f32 v[64:65], v[68:69], v[64:65] op_sel:[0,1]
	s_delay_alu instid0(VALU_DEP_2) | instskip(SKIP_1) | instid1(VALU_DEP_1)
	v_pk_fma_f32 v[80:81], v[66:67], v[52:53], v[70:71] op_sel:[0,0,1] op_sel_hi:[1,1,0] neg_lo:[0,0,1] neg_hi:[0,0,1]
	v_pk_fma_f32 v[66:67], v[66:67], v[52:53], v[70:71] op_sel:[0,0,1] op_sel_hi:[1,0,0]
	v_mov_b32_e32 v81, v67
	s_delay_alu instid0(VALU_DEP_4) | instskip(SKIP_1) | instid1(VALU_DEP_3)
	v_pk_fma_f32 v[66:67], v[68:69], v[52:53], v[64:65] op_sel:[0,0,1] op_sel_hi:[1,1,0] neg_lo:[0,0,1] neg_hi:[0,0,1]
	v_pk_fma_f32 v[52:53], v[68:69], v[52:53], v[64:65] op_sel:[0,0,1] op_sel_hi:[1,0,0]
	v_pk_add_f32 v[206:207], v[206:207], v[80:81] neg_lo:[0,1] neg_hi:[0,1]
	s_delay_alu instid0(VALU_DEP_2) | instskip(NEXT) | instid1(VALU_DEP_1)
	v_mov_b32_e32 v67, v53
	v_pk_add_f32 v[208:209], v[208:209], v[66:67] neg_lo:[0,1] neg_hi:[0,1]
.LBB103_343:
	s_or_b32 exec_lo, exec_lo, s1
	s_delay_alu instid0(SALU_CYCLE_1)
	s_mov_b32 s2, exec_lo
	s_wait_dscnt 0x0
	s_barrier_signal -1
	s_barrier_wait -1
	v_cmpx_eq_u32_e32 38, v116
	s_cbranch_execz .LBB103_350
; %bb.344:
	ds_store_b64 v117, v[160:161]
	ds_store_2addr_b64 v118, v[156:157], v[182:183] offset0:39 offset1:40
	ds_store_2addr_b64 v118, v[178:179], v[180:181] offset0:41 offset1:42
	;; [unrolled: 1-line block ×6, first 2 shown]
	ds_store_b64 v118, v[208:209] offset:408
	ds_load_b64 v[52:53], v117
	s_wait_dscnt 0x0
	v_cmp_neq_f32_e32 vcc_lo, 0, v52
	v_cmp_neq_f32_e64 s1, 0, v53
	s_or_b32 s1, vcc_lo, s1
	s_delay_alu instid0(SALU_CYCLE_1)
	s_and_b32 exec_lo, exec_lo, s1
	s_cbranch_execz .LBB103_350
; %bb.345:
	v_cmp_ngt_f32_e64 s1, |v52|, |v53|
                                        ; implicit-def: $vgpr64_vgpr65
	s_and_saveexec_b32 s4, s1
	s_delay_alu instid0(SALU_CYCLE_1)
	s_xor_b32 s1, exec_lo, s4
	s_cbranch_execz .LBB103_347
; %bb.346:
	v_div_scale_f32 v64, null, v53, v53, v52
	v_div_scale_f32 v67, vcc_lo, v52, v53, v52
	s_delay_alu instid0(VALU_DEP_2) | instskip(SKIP_1) | instid1(TRANS32_DEP_1)
	v_rcp_f32_e32 v65, v64
	v_nop
	v_fma_f32 v66, -v64, v65, 1.0
	s_delay_alu instid0(VALU_DEP_1) | instskip(NEXT) | instid1(VALU_DEP_1)
	v_fmac_f32_e32 v65, v66, v65
	v_mul_f32_e32 v66, v67, v65
	s_delay_alu instid0(VALU_DEP_1) | instskip(NEXT) | instid1(VALU_DEP_1)
	v_fma_f32 v68, -v64, v66, v67
	v_fmac_f32_e32 v66, v68, v65
	s_delay_alu instid0(VALU_DEP_1) | instskip(NEXT) | instid1(VALU_DEP_1)
	v_fma_f32 v64, -v64, v66, v67
	v_div_fmas_f32 v64, v64, v65, v66
	s_delay_alu instid0(VALU_DEP_1) | instskip(NEXT) | instid1(VALU_DEP_1)
	v_div_fixup_f32 v64, v64, v53, v52
	v_fmac_f32_e32 v53, v52, v64
	s_delay_alu instid0(VALU_DEP_1) | instskip(SKIP_1) | instid1(VALU_DEP_2)
	v_div_scale_f32 v52, null, v53, v53, 1.0
	v_div_scale_f32 v67, vcc_lo, 1.0, v53, 1.0
	v_rcp_f32_e32 v65, v52
	v_nop
	s_delay_alu instid0(TRANS32_DEP_1) | instskip(NEXT) | instid1(VALU_DEP_1)
	v_fma_f32 v66, -v52, v65, 1.0
	v_fmac_f32_e32 v65, v66, v65
	s_delay_alu instid0(VALU_DEP_1) | instskip(NEXT) | instid1(VALU_DEP_1)
	v_mul_f32_e32 v66, v67, v65
	v_fma_f32 v68, -v52, v66, v67
	s_delay_alu instid0(VALU_DEP_1) | instskip(NEXT) | instid1(VALU_DEP_1)
	v_fmac_f32_e32 v66, v68, v65
	v_fma_f32 v52, -v52, v66, v67
	s_delay_alu instid0(VALU_DEP_1) | instskip(NEXT) | instid1(VALU_DEP_1)
	v_div_fmas_f32 v52, v52, v65, v66
	v_div_fixup_f32 v52, v52, v53, 1.0
	s_delay_alu instid0(VALU_DEP_1)
	v_mul_f32_e32 v64, v64, v52
	v_xor_b32_e32 v65, 0x80000000, v52
                                        ; implicit-def: $vgpr52_vgpr53
.LBB103_347:
	s_and_not1_saveexec_b32 s1, s1
	s_cbranch_execz .LBB103_349
; %bb.348:
	v_div_scale_f32 v64, null, v52, v52, v53
	v_div_scale_f32 v67, vcc_lo, v53, v52, v53
	s_delay_alu instid0(VALU_DEP_2) | instskip(SKIP_1) | instid1(TRANS32_DEP_1)
	v_rcp_f32_e32 v65, v64
	v_nop
	v_fma_f32 v66, -v64, v65, 1.0
	s_delay_alu instid0(VALU_DEP_1) | instskip(NEXT) | instid1(VALU_DEP_1)
	v_fmac_f32_e32 v65, v66, v65
	v_mul_f32_e32 v66, v67, v65
	s_delay_alu instid0(VALU_DEP_1) | instskip(NEXT) | instid1(VALU_DEP_1)
	v_fma_f32 v68, -v64, v66, v67
	v_fmac_f32_e32 v66, v68, v65
	s_delay_alu instid0(VALU_DEP_1) | instskip(NEXT) | instid1(VALU_DEP_1)
	v_fma_f32 v64, -v64, v66, v67
	v_div_fmas_f32 v64, v64, v65, v66
	s_delay_alu instid0(VALU_DEP_1) | instskip(NEXT) | instid1(VALU_DEP_1)
	v_div_fixup_f32 v65, v64, v52, v53
	v_fmac_f32_e32 v52, v53, v65
	s_delay_alu instid0(VALU_DEP_1) | instskip(NEXT) | instid1(VALU_DEP_1)
	v_div_scale_f32 v53, null, v52, v52, 1.0
	v_rcp_f32_e32 v64, v53
	v_nop
	s_delay_alu instid0(TRANS32_DEP_1) | instskip(NEXT) | instid1(VALU_DEP_1)
	v_fma_f32 v66, -v53, v64, 1.0
	v_fmac_f32_e32 v64, v66, v64
	v_div_scale_f32 v66, vcc_lo, 1.0, v52, 1.0
	s_delay_alu instid0(VALU_DEP_1) | instskip(NEXT) | instid1(VALU_DEP_1)
	v_mul_f32_e32 v67, v66, v64
	v_fma_f32 v68, -v53, v67, v66
	s_delay_alu instid0(VALU_DEP_1) | instskip(NEXT) | instid1(VALU_DEP_1)
	v_fmac_f32_e32 v67, v68, v64
	v_fma_f32 v53, -v53, v67, v66
	s_delay_alu instid0(VALU_DEP_1) | instskip(NEXT) | instid1(VALU_DEP_1)
	v_div_fmas_f32 v53, v53, v64, v67
	v_div_fixup_f32 v64, v53, v52, 1.0
	s_delay_alu instid0(VALU_DEP_1)
	v_mul_f32_e64 v65, v65, -v64
.LBB103_349:
	s_or_b32 exec_lo, exec_lo, s1
	ds_store_b64 v117, v[64:65]
.LBB103_350:
	s_or_b32 exec_lo, exec_lo, s2
	s_wait_dscnt 0x0
	s_barrier_signal -1
	s_barrier_wait -1
	ds_load_b64 v[52:53], v117
	s_mov_b32 s1, exec_lo
	v_cmpx_lt_u32_e32 38, v116
	s_cbranch_execz .LBB103_352
; %bb.351:
	ds_load_2addr_b64 v[68:71], v118 offset0:39 offset1:40
	s_wait_dscnt 0x1
	v_pk_mul_f32 v[66:67], v[52:53], v[160:161] op_sel:[1,1] op_sel_hi:[0,1]
	s_delay_alu instid0(VALU_DEP_1) | instskip(SKIP_1) | instid1(VALU_DEP_1)
	v_pk_fma_f32 v[64:65], v[52:53], v[160:161], v[66:67] op_sel_hi:[1,0,1] neg_lo:[0,0,1] neg_hi:[0,0,1]
	v_pk_fma_f32 v[66:67], v[52:53], v[160:161], v[66:67] op_sel_hi:[1,0,1]
	v_dual_mov_b32 v160, v64 :: v_dual_mov_b32 v161, v67
	s_wait_dscnt 0x0
	s_delay_alu instid0(VALU_DEP_2) | instskip(NEXT) | instid1(VALU_DEP_1)
	v_pk_mul_f32 v[80:81], v[68:69], v[66:67] op_sel:[0,1]
	v_pk_fma_f32 v[82:83], v[68:69], v[64:65], v[80:81] op_sel:[0,0,1] op_sel_hi:[1,1,0] neg_lo:[0,0,1] neg_hi:[0,0,1]
	v_pk_fma_f32 v[68:69], v[68:69], v[64:65], v[80:81] op_sel:[0,0,1] op_sel_hi:[1,0,0]
	s_delay_alu instid0(VALU_DEP_1) | instskip(SKIP_1) | instid1(VALU_DEP_1)
	v_mov_b32_e32 v83, v69
	v_pk_mul_f32 v[68:69], v[70:71], v[66:67] op_sel:[0,1]
	v_pk_fma_f32 v[80:81], v[70:71], v[64:65], v[68:69] op_sel:[0,0,1] op_sel_hi:[1,1,0] neg_lo:[0,0,1] neg_hi:[0,0,1]
	v_pk_fma_f32 v[68:69], v[70:71], v[64:65], v[68:69] op_sel:[0,0,1] op_sel_hi:[1,0,0]
	s_delay_alu instid0(VALU_DEP_1)
	v_mov_b32_e32 v81, v69
	ds_load_2addr_b64 v[68:71], v118 offset0:41 offset1:42
	v_pk_add_f32 v[156:157], v[156:157], v[82:83] neg_lo:[0,1] neg_hi:[0,1]
	v_pk_add_f32 v[182:183], v[182:183], v[80:81] neg_lo:[0,1] neg_hi:[0,1]
	s_wait_dscnt 0x0
	v_pk_mul_f32 v[80:81], v[68:69], v[66:67] op_sel:[0,1]
	s_delay_alu instid0(VALU_DEP_1) | instskip(SKIP_2) | instid1(VALU_DEP_2)
	v_pk_fma_f32 v[82:83], v[68:69], v[64:65], v[80:81] op_sel:[0,0,1] op_sel_hi:[1,1,0] neg_lo:[0,0,1] neg_hi:[0,0,1]
	v_pk_fma_f32 v[68:69], v[68:69], v[64:65], v[80:81] op_sel:[0,0,1] op_sel_hi:[1,0,0]
	v_dual_mul_f32 v80, v71, v67 :: v_dual_mov_b32 v68, v71
	v_dual_mov_b32 v83, v69 :: v_dual_mov_b32 v69, v70
	s_delay_alu instid0(VALU_DEP_2) | instskip(SKIP_1) | instid1(VALU_DEP_3)
	v_pk_fma_f32 v[80:81], v[70:71], v[160:161], v[80:81] op_sel_hi:[1,1,0] neg_lo:[0,0,1] neg_hi:[0,0,1]
	v_mul_f32_e32 v70, v71, v64
	v_pk_add_f32 v[178:179], v[178:179], v[82:83] neg_lo:[0,1] neg_hi:[0,1]
	s_delay_alu instid0(VALU_DEP_2) | instskip(NEXT) | instid1(VALU_DEP_1)
	v_pk_fma_f32 v[68:69], v[68:69], v[160:161], v[70:71] op_sel_hi:[1,1,0]
	v_mov_b32_e32 v81, v69
	ds_load_2addr_b64 v[68:71], v118 offset0:43 offset1:44
	v_pk_add_f32 v[180:181], v[180:181], v[80:81] neg_lo:[0,1] neg_hi:[0,1]
	s_wait_dscnt 0x0
	v_pk_mul_f32 v[80:81], v[68:69], v[66:67] op_sel:[0,1]
	s_delay_alu instid0(VALU_DEP_1) | instskip(SKIP_1) | instid1(VALU_DEP_1)
	v_pk_fma_f32 v[82:83], v[68:69], v[64:65], v[80:81] op_sel:[0,0,1] op_sel_hi:[1,1,0] neg_lo:[0,0,1] neg_hi:[0,0,1]
	v_pk_fma_f32 v[68:69], v[68:69], v[64:65], v[80:81] op_sel:[0,0,1] op_sel_hi:[1,0,0]
	v_mov_b32_e32 v83, v69
	v_pk_mul_f32 v[68:69], v[70:71], v[66:67] op_sel:[0,1]
	s_delay_alu instid0(VALU_DEP_1) | instskip(SKIP_1) | instid1(VALU_DEP_1)
	v_pk_fma_f32 v[80:81], v[70:71], v[64:65], v[68:69] op_sel:[0,0,1] op_sel_hi:[1,1,0] neg_lo:[0,0,1] neg_hi:[0,0,1]
	v_pk_fma_f32 v[68:69], v[70:71], v[64:65], v[68:69] op_sel:[0,0,1] op_sel_hi:[1,0,0]
	v_mov_b32_e32 v81, v69
	ds_load_2addr_b64 v[68:71], v118 offset0:45 offset1:46
	v_pk_add_f32 v[176:177], v[176:177], v[82:83] neg_lo:[0,1] neg_hi:[0,1]
	v_pk_add_f32 v[204:205], v[204:205], v[80:81] neg_lo:[0,1] neg_hi:[0,1]
	s_wait_dscnt 0x0
	v_pk_mul_f32 v[80:81], v[68:69], v[66:67] op_sel:[0,1]
	s_delay_alu instid0(VALU_DEP_1) | instskip(SKIP_1) | instid1(VALU_DEP_1)
	v_pk_fma_f32 v[82:83], v[68:69], v[64:65], v[80:81] op_sel:[0,0,1] op_sel_hi:[1,1,0] neg_lo:[0,0,1] neg_hi:[0,0,1]
	v_pk_fma_f32 v[68:69], v[68:69], v[64:65], v[80:81] op_sel:[0,0,1] op_sel_hi:[1,0,0]
	v_mov_b32_e32 v83, v69
	v_pk_mul_f32 v[68:69], v[70:71], v[66:67] op_sel:[0,1]
	s_delay_alu instid0(VALU_DEP_1) | instskip(SKIP_1) | instid1(VALU_DEP_1)
	v_pk_fma_f32 v[80:81], v[70:71], v[64:65], v[68:69] op_sel:[0,0,1] op_sel_hi:[1,1,0] neg_lo:[0,0,1] neg_hi:[0,0,1]
	v_pk_fma_f32 v[68:69], v[70:71], v[64:65], v[68:69] op_sel:[0,0,1] op_sel_hi:[1,0,0]
	v_mov_b32_e32 v81, v69
	ds_load_2addr_b64 v[68:71], v118 offset0:47 offset1:48
	v_pk_add_f32 v[198:199], v[198:199], v[82:83] neg_lo:[0,1] neg_hi:[0,1]
	v_pk_add_f32 v[202:203], v[202:203], v[80:81] neg_lo:[0,1] neg_hi:[0,1]
	s_wait_dscnt 0x0
	v_dual_mul_f32 v80, v69, v67 :: v_dual_mul_f32 v82, v69, v64
	s_delay_alu instid0(VALU_DEP_1) | instskip(NEXT) | instid1(VALU_DEP_2)
	v_pk_fma_f32 v[80:81], v[68:69], v[160:161], v[80:81] op_sel_hi:[1,1,0] neg_lo:[0,0,1] neg_hi:[0,0,1]
	v_pk_fma_f32 v[68:69], v[68:69], v[160:161], v[82:83] op_sel:[1,0,0] op_sel_hi:[0,1,0]
	s_delay_alu instid0(VALU_DEP_1) | instskip(SKIP_1) | instid1(VALU_DEP_2)
	v_mov_b32_e32 v81, v69
	v_pk_mul_f32 v[68:69], v[70:71], v[66:67] op_sel:[0,1]
	v_pk_add_f32 v[196:197], v[196:197], v[80:81] neg_lo:[0,1] neg_hi:[0,1]
	s_delay_alu instid0(VALU_DEP_2) | instskip(SKIP_1) | instid1(VALU_DEP_1)
	v_pk_fma_f32 v[80:81], v[70:71], v[64:65], v[68:69] op_sel:[0,0,1] op_sel_hi:[1,1,0] neg_lo:[0,0,1] neg_hi:[0,0,1]
	v_pk_fma_f32 v[68:69], v[70:71], v[64:65], v[68:69] op_sel:[0,0,1] op_sel_hi:[1,0,0]
	v_mov_b32_e32 v81, v69
	ds_load_2addr_b64 v[68:71], v118 offset0:49 offset1:50
	v_pk_add_f32 v[200:201], v[200:201], v[80:81] neg_lo:[0,1] neg_hi:[0,1]
	s_wait_dscnt 0x0
	v_pk_mul_f32 v[80:81], v[68:69], v[66:67] op_sel:[0,1]
	s_delay_alu instid0(VALU_DEP_1) | instskip(SKIP_1) | instid1(VALU_DEP_1)
	v_pk_fma_f32 v[82:83], v[68:69], v[64:65], v[80:81] op_sel:[0,0,1] op_sel_hi:[1,1,0] neg_lo:[0,0,1] neg_hi:[0,0,1]
	v_pk_fma_f32 v[68:69], v[68:69], v[64:65], v[80:81] op_sel:[0,0,1] op_sel_hi:[1,0,0]
	v_mov_b32_e32 v83, v69
	v_pk_mul_f32 v[68:69], v[70:71], v[66:67] op_sel:[0,1]
	s_delay_alu instid0(VALU_DEP_2) | instskip(NEXT) | instid1(VALU_DEP_2)
	v_pk_add_f32 v[194:195], v[194:195], v[82:83] neg_lo:[0,1] neg_hi:[0,1]
	v_pk_fma_f32 v[80:81], v[70:71], v[64:65], v[68:69] op_sel:[0,0,1] op_sel_hi:[1,1,0] neg_lo:[0,0,1] neg_hi:[0,0,1]
	v_pk_fma_f32 v[68:69], v[70:71], v[64:65], v[68:69] op_sel:[0,0,1] op_sel_hi:[1,0,0]
	s_delay_alu instid0(VALU_DEP_1) | instskip(SKIP_4) | instid1(VALU_DEP_1)
	v_mov_b32_e32 v81, v69
	ds_load_b64 v[68:69], v118 offset:408
	v_pk_add_f32 v[206:207], v[206:207], v[80:81] neg_lo:[0,1] neg_hi:[0,1]
	s_wait_dscnt 0x0
	v_pk_mul_f32 v[66:67], v[68:69], v[66:67] op_sel:[0,1]
	v_pk_fma_f32 v[70:71], v[68:69], v[64:65], v[66:67] op_sel:[0,0,1] op_sel_hi:[1,1,0] neg_lo:[0,0,1] neg_hi:[0,0,1]
	v_pk_fma_f32 v[64:65], v[68:69], v[64:65], v[66:67] op_sel:[0,0,1] op_sel_hi:[1,0,0]
	s_delay_alu instid0(VALU_DEP_1) | instskip(NEXT) | instid1(VALU_DEP_1)
	v_mov_b32_e32 v71, v65
	v_pk_add_f32 v[208:209], v[208:209], v[70:71] neg_lo:[0,1] neg_hi:[0,1]
.LBB103_352:
	s_or_b32 exec_lo, exec_lo, s1
	s_delay_alu instid0(SALU_CYCLE_1)
	s_mov_b32 s2, exec_lo
	s_wait_dscnt 0x0
	s_barrier_signal -1
	s_barrier_wait -1
	v_cmpx_eq_u32_e32 39, v116
	s_cbranch_execz .LBB103_359
; %bb.353:
	v_dual_mov_b32 v64, v182 :: v_dual_mov_b32 v65, v183
	v_dual_mov_b32 v66, v178 :: v_dual_mov_b32 v67, v179
	ds_store_b64 v117, v[156:157]
	ds_store_2addr_b64 v118, v[64:65], v[66:67] offset0:40 offset1:41
	v_dual_mov_b32 v64, v180 :: v_dual_mov_b32 v65, v181
	v_dual_mov_b32 v66, v176 :: v_dual_mov_b32 v67, v177
	ds_store_2addr_b64 v118, v[64:65], v[66:67] offset0:42 offset1:43
	v_dual_mov_b32 v64, v204 :: v_dual_mov_b32 v65, v205
	v_dual_mov_b32 v66, v198 :: v_dual_mov_b32 v67, v199
	;; [unrolled: 3-line block ×4, first 2 shown]
	ds_store_2addr_b64 v118, v[64:65], v[66:67] offset0:48 offset1:49
	v_dual_mov_b32 v64, v206 :: v_dual_mov_b32 v65, v207
	ds_store_2addr_b64 v118, v[64:65], v[208:209] offset0:50 offset1:51
	ds_load_b64 v[64:65], v117
	s_wait_dscnt 0x0
	v_cmp_neq_f32_e32 vcc_lo, 0, v64
	v_cmp_neq_f32_e64 s1, 0, v65
	s_or_b32 s1, vcc_lo, s1
	s_delay_alu instid0(SALU_CYCLE_1)
	s_and_b32 exec_lo, exec_lo, s1
	s_cbranch_execz .LBB103_359
; %bb.354:
	v_cmp_ngt_f32_e64 s1, |v64|, |v65|
                                        ; implicit-def: $vgpr66_vgpr67
	s_and_saveexec_b32 s4, s1
	s_delay_alu instid0(SALU_CYCLE_1)
	s_xor_b32 s1, exec_lo, s4
	s_cbranch_execz .LBB103_356
; %bb.355:
	v_div_scale_f32 v66, null, v65, v65, v64
	v_div_scale_f32 v69, vcc_lo, v64, v65, v64
	s_delay_alu instid0(VALU_DEP_2) | instskip(SKIP_1) | instid1(TRANS32_DEP_1)
	v_rcp_f32_e32 v67, v66
	v_nop
	v_fma_f32 v68, -v66, v67, 1.0
	s_delay_alu instid0(VALU_DEP_1) | instskip(NEXT) | instid1(VALU_DEP_1)
	v_fmac_f32_e32 v67, v68, v67
	v_mul_f32_e32 v68, v69, v67
	s_delay_alu instid0(VALU_DEP_1) | instskip(NEXT) | instid1(VALU_DEP_1)
	v_fma_f32 v70, -v66, v68, v69
	v_fmac_f32_e32 v68, v70, v67
	s_delay_alu instid0(VALU_DEP_1) | instskip(NEXT) | instid1(VALU_DEP_1)
	v_fma_f32 v66, -v66, v68, v69
	v_div_fmas_f32 v66, v66, v67, v68
	s_delay_alu instid0(VALU_DEP_1) | instskip(NEXT) | instid1(VALU_DEP_1)
	v_div_fixup_f32 v66, v66, v65, v64
	v_fmac_f32_e32 v65, v64, v66
	s_delay_alu instid0(VALU_DEP_1) | instskip(SKIP_1) | instid1(VALU_DEP_2)
	v_div_scale_f32 v64, null, v65, v65, 1.0
	v_div_scale_f32 v69, vcc_lo, 1.0, v65, 1.0
	v_rcp_f32_e32 v67, v64
	v_nop
	s_delay_alu instid0(TRANS32_DEP_1) | instskip(NEXT) | instid1(VALU_DEP_1)
	v_fma_f32 v68, -v64, v67, 1.0
	v_fmac_f32_e32 v67, v68, v67
	s_delay_alu instid0(VALU_DEP_1) | instskip(NEXT) | instid1(VALU_DEP_1)
	v_mul_f32_e32 v68, v69, v67
	v_fma_f32 v70, -v64, v68, v69
	s_delay_alu instid0(VALU_DEP_1) | instskip(NEXT) | instid1(VALU_DEP_1)
	v_fmac_f32_e32 v68, v70, v67
	v_fma_f32 v64, -v64, v68, v69
	s_delay_alu instid0(VALU_DEP_1) | instskip(NEXT) | instid1(VALU_DEP_1)
	v_div_fmas_f32 v64, v64, v67, v68
	v_div_fixup_f32 v64, v64, v65, 1.0
	s_delay_alu instid0(VALU_DEP_1)
	v_mul_f32_e32 v66, v66, v64
	v_xor_b32_e32 v67, 0x80000000, v64
                                        ; implicit-def: $vgpr64_vgpr65
.LBB103_356:
	s_and_not1_saveexec_b32 s1, s1
	s_cbranch_execz .LBB103_358
; %bb.357:
	v_div_scale_f32 v66, null, v64, v64, v65
	v_div_scale_f32 v69, vcc_lo, v65, v64, v65
	s_delay_alu instid0(VALU_DEP_2) | instskip(SKIP_1) | instid1(TRANS32_DEP_1)
	v_rcp_f32_e32 v67, v66
	v_nop
	v_fma_f32 v68, -v66, v67, 1.0
	s_delay_alu instid0(VALU_DEP_1) | instskip(NEXT) | instid1(VALU_DEP_1)
	v_fmac_f32_e32 v67, v68, v67
	v_mul_f32_e32 v68, v69, v67
	s_delay_alu instid0(VALU_DEP_1) | instskip(NEXT) | instid1(VALU_DEP_1)
	v_fma_f32 v70, -v66, v68, v69
	v_fmac_f32_e32 v68, v70, v67
	s_delay_alu instid0(VALU_DEP_1) | instskip(NEXT) | instid1(VALU_DEP_1)
	v_fma_f32 v66, -v66, v68, v69
	v_div_fmas_f32 v66, v66, v67, v68
	s_delay_alu instid0(VALU_DEP_1) | instskip(NEXT) | instid1(VALU_DEP_1)
	v_div_fixup_f32 v67, v66, v64, v65
	v_fmac_f32_e32 v64, v65, v67
	s_delay_alu instid0(VALU_DEP_1) | instskip(NEXT) | instid1(VALU_DEP_1)
	v_div_scale_f32 v65, null, v64, v64, 1.0
	v_rcp_f32_e32 v66, v65
	v_nop
	s_delay_alu instid0(TRANS32_DEP_1) | instskip(NEXT) | instid1(VALU_DEP_1)
	v_fma_f32 v68, -v65, v66, 1.0
	v_fmac_f32_e32 v66, v68, v66
	v_div_scale_f32 v68, vcc_lo, 1.0, v64, 1.0
	s_delay_alu instid0(VALU_DEP_1) | instskip(NEXT) | instid1(VALU_DEP_1)
	v_mul_f32_e32 v69, v68, v66
	v_fma_f32 v70, -v65, v69, v68
	s_delay_alu instid0(VALU_DEP_1) | instskip(NEXT) | instid1(VALU_DEP_1)
	v_fmac_f32_e32 v69, v70, v66
	v_fma_f32 v65, -v65, v69, v68
	s_delay_alu instid0(VALU_DEP_1) | instskip(NEXT) | instid1(VALU_DEP_1)
	v_div_fmas_f32 v65, v65, v66, v69
	v_div_fixup_f32 v66, v65, v64, 1.0
	s_delay_alu instid0(VALU_DEP_1)
	v_mul_f32_e64 v67, v67, -v66
.LBB103_358:
	s_or_b32 exec_lo, exec_lo, s1
	ds_store_b64 v117, v[66:67]
.LBB103_359:
	s_or_b32 exec_lo, exec_lo, s2
	s_wait_dscnt 0x0
	s_barrier_signal -1
	s_barrier_wait -1
	ds_load_b64 v[64:65], v117
	s_mov_b32 s1, exec_lo
	v_cmpx_lt_u32_e32 39, v116
	s_cbranch_execz .LBB103_361
; %bb.360:
	ds_load_2addr_b64 v[80:83], v118 offset0:40 offset1:41
	s_wait_dscnt 0x1
	v_pk_mul_f32 v[68:69], v[64:65], v[156:157] op_sel:[1,1] op_sel_hi:[0,1]
	s_delay_alu instid0(VALU_DEP_1) | instskip(SKIP_1) | instid1(VALU_DEP_1)
	v_pk_fma_f32 v[66:67], v[64:65], v[156:157], v[68:69] op_sel_hi:[1,0,1] neg_lo:[0,0,1] neg_hi:[0,0,1]
	v_pk_fma_f32 v[68:69], v[64:65], v[156:157], v[68:69] op_sel_hi:[1,0,1]
	v_dual_mov_b32 v156, v66 :: v_dual_mov_b32 v157, v69
	s_wait_dscnt 0x0
	s_delay_alu instid0(VALU_DEP_2) | instskip(NEXT) | instid1(VALU_DEP_1)
	v_pk_mul_f32 v[70:71], v[80:81], v[68:69] op_sel:[0,1]
	v_pk_fma_f32 v[84:85], v[80:81], v[66:67], v[70:71] op_sel:[0,0,1] op_sel_hi:[1,1,0] neg_lo:[0,0,1] neg_hi:[0,0,1]
	v_pk_fma_f32 v[70:71], v[80:81], v[66:67], v[70:71] op_sel:[0,0,1] op_sel_hi:[1,0,0]
	s_delay_alu instid0(VALU_DEP_1) | instskip(SKIP_1) | instid1(VALU_DEP_1)
	v_mov_b32_e32 v85, v71
	v_pk_mul_f32 v[70:71], v[82:83], v[68:69] op_sel:[0,1]
	v_pk_fma_f32 v[80:81], v[82:83], v[66:67], v[70:71] op_sel:[0,0,1] op_sel_hi:[1,1,0] neg_lo:[0,0,1] neg_hi:[0,0,1]
	v_pk_fma_f32 v[70:71], v[82:83], v[66:67], v[70:71] op_sel:[0,0,1] op_sel_hi:[1,0,0]
	s_delay_alu instid0(VALU_DEP_1) | instskip(SKIP_1) | instid1(VALU_DEP_2)
	v_mov_b32_e32 v81, v71
	v_pk_add_f32 v[182:183], v[182:183], v[84:85] neg_lo:[0,1] neg_hi:[0,1]
	v_pk_add_f32 v[178:179], v[178:179], v[80:81] neg_lo:[0,1] neg_hi:[0,1]
	ds_load_2addr_b64 v[80:83], v118 offset0:42 offset1:43
	s_wait_dscnt 0x0
	v_pk_mul_f32 v[70:71], v[80:81], v[68:69] op_sel:[0,1]
	s_delay_alu instid0(VALU_DEP_1) | instskip(SKIP_2) | instid1(VALU_DEP_2)
	v_pk_fma_f32 v[84:85], v[80:81], v[66:67], v[70:71] op_sel:[0,0,1] op_sel_hi:[1,1,0] neg_lo:[0,0,1] neg_hi:[0,0,1]
	v_pk_fma_f32 v[70:71], v[80:81], v[66:67], v[70:71] op_sel:[0,0,1] op_sel_hi:[1,0,0]
	v_dual_mul_f32 v80, v83, v69 :: v_dual_mov_b32 v70, v83
	v_dual_mov_b32 v85, v71 :: v_dual_mov_b32 v71, v82
	s_delay_alu instid0(VALU_DEP_2) | instskip(SKIP_1) | instid1(VALU_DEP_3)
	v_pk_fma_f32 v[80:81], v[82:83], v[156:157], v[80:81] op_sel_hi:[1,1,0] neg_lo:[0,0,1] neg_hi:[0,0,1]
	v_mul_f32_e32 v82, v83, v66
	v_pk_add_f32 v[180:181], v[180:181], v[84:85] neg_lo:[0,1] neg_hi:[0,1]
	s_delay_alu instid0(VALU_DEP_2) | instskip(NEXT) | instid1(VALU_DEP_1)
	v_pk_fma_f32 v[70:71], v[70:71], v[156:157], v[82:83] op_sel_hi:[1,1,0]
	v_mov_b32_e32 v81, v71
	s_delay_alu instid0(VALU_DEP_1) | instskip(SKIP_3) | instid1(VALU_DEP_1)
	v_pk_add_f32 v[176:177], v[176:177], v[80:81] neg_lo:[0,1] neg_hi:[0,1]
	ds_load_2addr_b64 v[80:83], v118 offset0:44 offset1:45
	s_wait_dscnt 0x0
	v_pk_mul_f32 v[70:71], v[80:81], v[68:69] op_sel:[0,1]
	v_pk_fma_f32 v[84:85], v[80:81], v[66:67], v[70:71] op_sel:[0,0,1] op_sel_hi:[1,1,0] neg_lo:[0,0,1] neg_hi:[0,0,1]
	v_pk_fma_f32 v[70:71], v[80:81], v[66:67], v[70:71] op_sel:[0,0,1] op_sel_hi:[1,0,0]
	s_delay_alu instid0(VALU_DEP_1) | instskip(SKIP_1) | instid1(VALU_DEP_2)
	v_mov_b32_e32 v85, v71
	v_pk_mul_f32 v[70:71], v[82:83], v[68:69] op_sel:[0,1]
	v_pk_add_f32 v[204:205], v[204:205], v[84:85] neg_lo:[0,1] neg_hi:[0,1]
	s_delay_alu instid0(VALU_DEP_2) | instskip(SKIP_1) | instid1(VALU_DEP_1)
	v_pk_fma_f32 v[80:81], v[82:83], v[66:67], v[70:71] op_sel:[0,0,1] op_sel_hi:[1,1,0] neg_lo:[0,0,1] neg_hi:[0,0,1]
	v_pk_fma_f32 v[70:71], v[82:83], v[66:67], v[70:71] op_sel:[0,0,1] op_sel_hi:[1,0,0]
	v_mov_b32_e32 v81, v71
	s_delay_alu instid0(VALU_DEP_1) | instskip(SKIP_3) | instid1(VALU_DEP_1)
	v_pk_add_f32 v[198:199], v[198:199], v[80:81] neg_lo:[0,1] neg_hi:[0,1]
	ds_load_2addr_b64 v[80:83], v118 offset0:46 offset1:47
	s_wait_dscnt 0x0
	v_pk_mul_f32 v[70:71], v[80:81], v[68:69] op_sel:[0,1]
	v_pk_fma_f32 v[84:85], v[80:81], v[66:67], v[70:71] op_sel:[0,0,1] op_sel_hi:[1,1,0] neg_lo:[0,0,1] neg_hi:[0,0,1]
	v_pk_fma_f32 v[70:71], v[80:81], v[66:67], v[70:71] op_sel:[0,0,1] op_sel_hi:[1,0,0]
	s_delay_alu instid0(VALU_DEP_1) | instskip(SKIP_1) | instid1(VALU_DEP_2)
	v_mov_b32_e32 v85, v71
	v_pk_mul_f32 v[70:71], v[82:83], v[68:69] op_sel:[0,1]
	v_pk_add_f32 v[202:203], v[202:203], v[84:85] neg_lo:[0,1] neg_hi:[0,1]
	s_delay_alu instid0(VALU_DEP_2) | instskip(SKIP_1) | instid1(VALU_DEP_1)
	v_pk_fma_f32 v[80:81], v[82:83], v[66:67], v[70:71] op_sel:[0,0,1] op_sel_hi:[1,1,0] neg_lo:[0,0,1] neg_hi:[0,0,1]
	v_pk_fma_f32 v[70:71], v[82:83], v[66:67], v[70:71] op_sel:[0,0,1] op_sel_hi:[1,0,0]
	v_mov_b32_e32 v81, v71
	s_delay_alu instid0(VALU_DEP_1) | instskip(SKIP_3) | instid1(VALU_DEP_1)
	v_pk_add_f32 v[196:197], v[196:197], v[80:81] neg_lo:[0,1] neg_hi:[0,1]
	ds_load_2addr_b64 v[80:83], v118 offset0:48 offset1:49
	s_wait_dscnt 0x0
	v_dual_mul_f32 v70, v81, v69 :: v_dual_mul_f32 v84, v81, v66
	v_pk_fma_f32 v[70:71], v[80:81], v[156:157], v[70:71] op_sel_hi:[1,1,0] neg_lo:[0,0,1] neg_hi:[0,0,1]
	s_delay_alu instid0(VALU_DEP_2) | instskip(NEXT) | instid1(VALU_DEP_1)
	v_pk_fma_f32 v[80:81], v[80:81], v[156:157], v[84:85] op_sel:[1,0,0] op_sel_hi:[0,1,0]
	v_mov_b32_e32 v71, v81
	s_delay_alu instid0(VALU_DEP_1) | instskip(SKIP_1) | instid1(VALU_DEP_1)
	v_pk_add_f32 v[200:201], v[200:201], v[70:71] neg_lo:[0,1] neg_hi:[0,1]
	v_pk_mul_f32 v[70:71], v[82:83], v[68:69] op_sel:[0,1]
	v_pk_fma_f32 v[80:81], v[82:83], v[66:67], v[70:71] op_sel:[0,0,1] op_sel_hi:[1,1,0] neg_lo:[0,0,1] neg_hi:[0,0,1]
	v_pk_fma_f32 v[70:71], v[82:83], v[66:67], v[70:71] op_sel:[0,0,1] op_sel_hi:[1,0,0]
	s_delay_alu instid0(VALU_DEP_1) | instskip(NEXT) | instid1(VALU_DEP_1)
	v_mov_b32_e32 v81, v71
	v_pk_add_f32 v[194:195], v[194:195], v[80:81] neg_lo:[0,1] neg_hi:[0,1]
	ds_load_2addr_b64 v[80:83], v118 offset0:50 offset1:51
	s_wait_dscnt 0x0
	v_pk_mul_f32 v[70:71], v[80:81], v[68:69] op_sel:[0,1]
	v_mul_f32_e32 v68, v83, v69
	s_delay_alu instid0(VALU_DEP_2) | instskip(SKIP_2) | instid1(VALU_DEP_4)
	v_pk_fma_f32 v[84:85], v[80:81], v[66:67], v[70:71] op_sel:[0,0,1] op_sel_hi:[1,1,0] neg_lo:[0,0,1] neg_hi:[0,0,1]
	v_pk_fma_f32 v[70:71], v[80:81], v[66:67], v[70:71] op_sel:[0,0,1] op_sel_hi:[1,0,0]
	v_dual_mov_b32 v70, v83 :: v_dual_mul_f32 v66, v83, v66
	v_pk_fma_f32 v[68:69], v[82:83], v[156:157], v[68:69] op_sel_hi:[1,1,0] neg_lo:[0,0,1] neg_hi:[0,0,1]
	s_delay_alu instid0(VALU_DEP_3) | instskip(NEXT) | instid1(VALU_DEP_1)
	v_dual_mov_b32 v85, v71 :: v_dual_mov_b32 v71, v82
	v_pk_add_f32 v[206:207], v[206:207], v[84:85] neg_lo:[0,1] neg_hi:[0,1]
	s_delay_alu instid0(VALU_DEP_2) | instskip(NEXT) | instid1(VALU_DEP_1)
	v_pk_fma_f32 v[66:67], v[70:71], v[156:157], v[66:67] op_sel_hi:[1,1,0]
	v_mov_b32_e32 v69, v67
	s_delay_alu instid0(VALU_DEP_1)
	v_pk_add_f32 v[208:209], v[208:209], v[68:69] neg_lo:[0,1] neg_hi:[0,1]
.LBB103_361:
	s_or_b32 exec_lo, exec_lo, s1
	s_delay_alu instid0(SALU_CYCLE_1)
	s_mov_b32 s2, exec_lo
	s_wait_dscnt 0x0
	s_barrier_signal -1
	s_barrier_wait -1
	v_cmpx_eq_u32_e32 40, v116
	s_cbranch_execz .LBB103_368
; %bb.362:
	ds_store_b64 v117, v[182:183]
	ds_store_2addr_b64 v118, v[178:179], v[180:181] offset0:41 offset1:42
	ds_store_2addr_b64 v118, v[176:177], v[204:205] offset0:43 offset1:44
	;; [unrolled: 1-line block ×5, first 2 shown]
	ds_store_b64 v118, v[208:209] offset:408
	ds_load_b64 v[66:67], v117
	s_wait_dscnt 0x0
	v_cmp_neq_f32_e32 vcc_lo, 0, v66
	v_cmp_neq_f32_e64 s1, 0, v67
	s_or_b32 s1, vcc_lo, s1
	s_delay_alu instid0(SALU_CYCLE_1)
	s_and_b32 exec_lo, exec_lo, s1
	s_cbranch_execz .LBB103_368
; %bb.363:
	v_cmp_ngt_f32_e64 s1, |v66|, |v67|
                                        ; implicit-def: $vgpr68_vgpr69
	s_and_saveexec_b32 s4, s1
	s_delay_alu instid0(SALU_CYCLE_1)
	s_xor_b32 s1, exec_lo, s4
	s_cbranch_execz .LBB103_365
; %bb.364:
	v_div_scale_f32 v68, null, v67, v67, v66
	v_div_scale_f32 v71, vcc_lo, v66, v67, v66
	s_delay_alu instid0(VALU_DEP_2) | instskip(SKIP_1) | instid1(TRANS32_DEP_1)
	v_rcp_f32_e32 v69, v68
	v_nop
	v_fma_f32 v70, -v68, v69, 1.0
	s_delay_alu instid0(VALU_DEP_1) | instskip(NEXT) | instid1(VALU_DEP_1)
	v_fmac_f32_e32 v69, v70, v69
	v_mul_f32_e32 v70, v71, v69
	s_delay_alu instid0(VALU_DEP_1) | instskip(NEXT) | instid1(VALU_DEP_1)
	v_fma_f32 v80, -v68, v70, v71
	v_fmac_f32_e32 v70, v80, v69
	s_delay_alu instid0(VALU_DEP_1) | instskip(NEXT) | instid1(VALU_DEP_1)
	v_fma_f32 v68, -v68, v70, v71
	v_div_fmas_f32 v68, v68, v69, v70
	s_delay_alu instid0(VALU_DEP_1) | instskip(NEXT) | instid1(VALU_DEP_1)
	v_div_fixup_f32 v68, v68, v67, v66
	v_fmac_f32_e32 v67, v66, v68
	s_delay_alu instid0(VALU_DEP_1) | instskip(SKIP_1) | instid1(VALU_DEP_2)
	v_div_scale_f32 v66, null, v67, v67, 1.0
	v_div_scale_f32 v71, vcc_lo, 1.0, v67, 1.0
	v_rcp_f32_e32 v69, v66
	v_nop
	s_delay_alu instid0(TRANS32_DEP_1) | instskip(NEXT) | instid1(VALU_DEP_1)
	v_fma_f32 v70, -v66, v69, 1.0
	v_fmac_f32_e32 v69, v70, v69
	s_delay_alu instid0(VALU_DEP_1) | instskip(NEXT) | instid1(VALU_DEP_1)
	v_mul_f32_e32 v70, v71, v69
	v_fma_f32 v80, -v66, v70, v71
	s_delay_alu instid0(VALU_DEP_1) | instskip(NEXT) | instid1(VALU_DEP_1)
	v_fmac_f32_e32 v70, v80, v69
	v_fma_f32 v66, -v66, v70, v71
	s_delay_alu instid0(VALU_DEP_1) | instskip(NEXT) | instid1(VALU_DEP_1)
	v_div_fmas_f32 v66, v66, v69, v70
	v_div_fixup_f32 v66, v66, v67, 1.0
	s_delay_alu instid0(VALU_DEP_1)
	v_mul_f32_e32 v68, v68, v66
	v_xor_b32_e32 v69, 0x80000000, v66
                                        ; implicit-def: $vgpr66_vgpr67
.LBB103_365:
	s_and_not1_saveexec_b32 s1, s1
	s_cbranch_execz .LBB103_367
; %bb.366:
	v_div_scale_f32 v68, null, v66, v66, v67
	v_div_scale_f32 v71, vcc_lo, v67, v66, v67
	s_delay_alu instid0(VALU_DEP_2) | instskip(SKIP_1) | instid1(TRANS32_DEP_1)
	v_rcp_f32_e32 v69, v68
	v_nop
	v_fma_f32 v70, -v68, v69, 1.0
	s_delay_alu instid0(VALU_DEP_1) | instskip(NEXT) | instid1(VALU_DEP_1)
	v_fmac_f32_e32 v69, v70, v69
	v_mul_f32_e32 v70, v71, v69
	s_delay_alu instid0(VALU_DEP_1) | instskip(NEXT) | instid1(VALU_DEP_1)
	v_fma_f32 v80, -v68, v70, v71
	v_fmac_f32_e32 v70, v80, v69
	s_delay_alu instid0(VALU_DEP_1) | instskip(NEXT) | instid1(VALU_DEP_1)
	v_fma_f32 v68, -v68, v70, v71
	v_div_fmas_f32 v68, v68, v69, v70
	s_delay_alu instid0(VALU_DEP_1) | instskip(NEXT) | instid1(VALU_DEP_1)
	v_div_fixup_f32 v69, v68, v66, v67
	v_fmac_f32_e32 v66, v67, v69
	s_delay_alu instid0(VALU_DEP_1) | instskip(NEXT) | instid1(VALU_DEP_1)
	v_div_scale_f32 v67, null, v66, v66, 1.0
	v_rcp_f32_e32 v68, v67
	v_nop
	s_delay_alu instid0(TRANS32_DEP_1) | instskip(NEXT) | instid1(VALU_DEP_1)
	v_fma_f32 v70, -v67, v68, 1.0
	v_fmac_f32_e32 v68, v70, v68
	v_div_scale_f32 v70, vcc_lo, 1.0, v66, 1.0
	s_delay_alu instid0(VALU_DEP_1) | instskip(NEXT) | instid1(VALU_DEP_1)
	v_mul_f32_e32 v71, v70, v68
	v_fma_f32 v80, -v67, v71, v70
	s_delay_alu instid0(VALU_DEP_1) | instskip(NEXT) | instid1(VALU_DEP_1)
	v_fmac_f32_e32 v71, v80, v68
	v_fma_f32 v67, -v67, v71, v70
	s_delay_alu instid0(VALU_DEP_1) | instskip(NEXT) | instid1(VALU_DEP_1)
	v_div_fmas_f32 v67, v67, v68, v71
	v_div_fixup_f32 v68, v67, v66, 1.0
	s_delay_alu instid0(VALU_DEP_1)
	v_mul_f32_e64 v69, v69, -v68
.LBB103_367:
	s_or_b32 exec_lo, exec_lo, s1
	ds_store_b64 v117, v[68:69]
.LBB103_368:
	s_or_b32 exec_lo, exec_lo, s2
	s_wait_dscnt 0x0
	s_barrier_signal -1
	s_barrier_wait -1
	ds_load_b64 v[66:67], v117
	s_mov_b32 s1, exec_lo
	v_cmpx_lt_u32_e32 40, v116
	s_cbranch_execz .LBB103_370
; %bb.369:
	ds_load_2addr_b64 v[80:83], v118 offset0:41 offset1:42
	s_wait_dscnt 0x1
	v_pk_mul_f32 v[70:71], v[66:67], v[182:183] op_sel:[1,1] op_sel_hi:[0,1]
	s_delay_alu instid0(VALU_DEP_1) | instskip(SKIP_1) | instid1(VALU_DEP_1)
	v_pk_fma_f32 v[68:69], v[66:67], v[182:183], v[70:71] op_sel_hi:[1,0,1] neg_lo:[0,0,1] neg_hi:[0,0,1]
	v_pk_fma_f32 v[70:71], v[66:67], v[182:183], v[70:71] op_sel_hi:[1,0,1]
	v_dual_mov_b32 v182, v68 :: v_dual_mov_b32 v183, v71
	s_wait_dscnt 0x0
	s_delay_alu instid0(VALU_DEP_2) | instskip(NEXT) | instid1(VALU_DEP_1)
	v_pk_mul_f32 v[84:85], v[80:81], v[70:71] op_sel:[0,1]
	v_pk_fma_f32 v[86:87], v[80:81], v[68:69], v[84:85] op_sel:[0,0,1] op_sel_hi:[1,1,0] neg_lo:[0,0,1] neg_hi:[0,0,1]
	v_pk_fma_f32 v[80:81], v[80:81], v[68:69], v[84:85] op_sel:[0,0,1] op_sel_hi:[1,0,0]
	s_delay_alu instid0(VALU_DEP_1) | instskip(SKIP_1) | instid1(VALU_DEP_1)
	v_mov_b32_e32 v87, v81
	v_pk_mul_f32 v[80:81], v[82:83], v[70:71] op_sel:[0,1]
	v_pk_fma_f32 v[84:85], v[82:83], v[68:69], v[80:81] op_sel:[0,0,1] op_sel_hi:[1,1,0] neg_lo:[0,0,1] neg_hi:[0,0,1]
	v_pk_fma_f32 v[80:81], v[82:83], v[68:69], v[80:81] op_sel:[0,0,1] op_sel_hi:[1,0,0]
	s_delay_alu instid0(VALU_DEP_1)
	v_mov_b32_e32 v85, v81
	ds_load_2addr_b64 v[80:83], v118 offset0:43 offset1:44
	v_pk_add_f32 v[178:179], v[178:179], v[86:87] neg_lo:[0,1] neg_hi:[0,1]
	v_pk_add_f32 v[180:181], v[180:181], v[84:85] neg_lo:[0,1] neg_hi:[0,1]
	s_wait_dscnt 0x0
	v_pk_mul_f32 v[84:85], v[80:81], v[70:71] op_sel:[0,1]
	s_delay_alu instid0(VALU_DEP_1) | instskip(SKIP_2) | instid1(VALU_DEP_2)
	v_pk_fma_f32 v[86:87], v[80:81], v[68:69], v[84:85] op_sel:[0,0,1] op_sel_hi:[1,1,0] neg_lo:[0,0,1] neg_hi:[0,0,1]
	v_pk_fma_f32 v[80:81], v[80:81], v[68:69], v[84:85] op_sel:[0,0,1] op_sel_hi:[1,0,0]
	v_dual_mul_f32 v84, v83, v71 :: v_dual_mov_b32 v80, v83
	v_dual_mov_b32 v87, v81 :: v_dual_mov_b32 v81, v82
	s_delay_alu instid0(VALU_DEP_2) | instskip(SKIP_1) | instid1(VALU_DEP_3)
	v_pk_fma_f32 v[84:85], v[82:83], v[182:183], v[84:85] op_sel_hi:[1,1,0] neg_lo:[0,0,1] neg_hi:[0,0,1]
	v_mul_f32_e32 v82, v83, v68
	v_pk_add_f32 v[176:177], v[176:177], v[86:87] neg_lo:[0,1] neg_hi:[0,1]
	s_delay_alu instid0(VALU_DEP_2) | instskip(NEXT) | instid1(VALU_DEP_1)
	v_pk_fma_f32 v[80:81], v[80:81], v[182:183], v[82:83] op_sel_hi:[1,1,0]
	v_mov_b32_e32 v85, v81
	ds_load_2addr_b64 v[80:83], v118 offset0:45 offset1:46
	v_pk_add_f32 v[204:205], v[204:205], v[84:85] neg_lo:[0,1] neg_hi:[0,1]
	s_wait_dscnt 0x0
	v_pk_mul_f32 v[84:85], v[80:81], v[70:71] op_sel:[0,1]
	s_delay_alu instid0(VALU_DEP_1) | instskip(SKIP_1) | instid1(VALU_DEP_1)
	v_pk_fma_f32 v[86:87], v[80:81], v[68:69], v[84:85] op_sel:[0,0,1] op_sel_hi:[1,1,0] neg_lo:[0,0,1] neg_hi:[0,0,1]
	v_pk_fma_f32 v[80:81], v[80:81], v[68:69], v[84:85] op_sel:[0,0,1] op_sel_hi:[1,0,0]
	v_mov_b32_e32 v87, v81
	v_pk_mul_f32 v[80:81], v[82:83], v[70:71] op_sel:[0,1]
	s_delay_alu instid0(VALU_DEP_1) | instskip(SKIP_1) | instid1(VALU_DEP_1)
	v_pk_fma_f32 v[84:85], v[82:83], v[68:69], v[80:81] op_sel:[0,0,1] op_sel_hi:[1,1,0] neg_lo:[0,0,1] neg_hi:[0,0,1]
	v_pk_fma_f32 v[80:81], v[82:83], v[68:69], v[80:81] op_sel:[0,0,1] op_sel_hi:[1,0,0]
	v_mov_b32_e32 v85, v81
	ds_load_2addr_b64 v[80:83], v118 offset0:47 offset1:48
	v_pk_add_f32 v[198:199], v[198:199], v[86:87] neg_lo:[0,1] neg_hi:[0,1]
	v_pk_add_f32 v[202:203], v[202:203], v[84:85] neg_lo:[0,1] neg_hi:[0,1]
	s_wait_dscnt 0x0
	v_pk_mul_f32 v[84:85], v[80:81], v[70:71] op_sel:[0,1]
	s_delay_alu instid0(VALU_DEP_1) | instskip(SKIP_1) | instid1(VALU_DEP_1)
	v_pk_fma_f32 v[86:87], v[80:81], v[68:69], v[84:85] op_sel:[0,0,1] op_sel_hi:[1,1,0] neg_lo:[0,0,1] neg_hi:[0,0,1]
	v_pk_fma_f32 v[80:81], v[80:81], v[68:69], v[84:85] op_sel:[0,0,1] op_sel_hi:[1,0,0]
	v_mov_b32_e32 v87, v81
	v_pk_mul_f32 v[80:81], v[82:83], v[70:71] op_sel:[0,1]
	s_delay_alu instid0(VALU_DEP_1) | instskip(SKIP_1) | instid1(VALU_DEP_1)
	v_pk_fma_f32 v[84:85], v[82:83], v[68:69], v[80:81] op_sel:[0,0,1] op_sel_hi:[1,1,0] neg_lo:[0,0,1] neg_hi:[0,0,1]
	v_pk_fma_f32 v[80:81], v[82:83], v[68:69], v[80:81] op_sel:[0,0,1] op_sel_hi:[1,0,0]
	v_mov_b32_e32 v85, v81
	ds_load_2addr_b64 v[80:83], v118 offset0:49 offset1:50
	v_pk_add_f32 v[196:197], v[196:197], v[86:87] neg_lo:[0,1] neg_hi:[0,1]
	v_pk_add_f32 v[200:201], v[200:201], v[84:85] neg_lo:[0,1] neg_hi:[0,1]
	s_wait_dscnt 0x0
	v_dual_mul_f32 v84, v81, v71 :: v_dual_mul_f32 v86, v81, v68
	s_delay_alu instid0(VALU_DEP_1) | instskip(NEXT) | instid1(VALU_DEP_2)
	v_pk_fma_f32 v[84:85], v[80:81], v[182:183], v[84:85] op_sel_hi:[1,1,0] neg_lo:[0,0,1] neg_hi:[0,0,1]
	v_pk_fma_f32 v[80:81], v[80:81], v[182:183], v[86:87] op_sel:[1,0,0] op_sel_hi:[0,1,0]
	s_delay_alu instid0(VALU_DEP_1) | instskip(SKIP_1) | instid1(VALU_DEP_2)
	v_mov_b32_e32 v85, v81
	v_pk_mul_f32 v[80:81], v[82:83], v[70:71] op_sel:[0,1]
	v_pk_add_f32 v[194:195], v[194:195], v[84:85] neg_lo:[0,1] neg_hi:[0,1]
	s_delay_alu instid0(VALU_DEP_2) | instskip(SKIP_1) | instid1(VALU_DEP_1)
	v_pk_fma_f32 v[84:85], v[82:83], v[68:69], v[80:81] op_sel:[0,0,1] op_sel_hi:[1,1,0] neg_lo:[0,0,1] neg_hi:[0,0,1]
	v_pk_fma_f32 v[80:81], v[82:83], v[68:69], v[80:81] op_sel:[0,0,1] op_sel_hi:[1,0,0]
	v_mov_b32_e32 v85, v81
	ds_load_b64 v[80:81], v118 offset:408
	v_pk_add_f32 v[206:207], v[206:207], v[84:85] neg_lo:[0,1] neg_hi:[0,1]
	s_wait_dscnt 0x0
	v_pk_mul_f32 v[70:71], v[80:81], v[70:71] op_sel:[0,1]
	s_delay_alu instid0(VALU_DEP_1) | instskip(SKIP_1) | instid1(VALU_DEP_1)
	v_pk_fma_f32 v[82:83], v[80:81], v[68:69], v[70:71] op_sel:[0,0,1] op_sel_hi:[1,1,0] neg_lo:[0,0,1] neg_hi:[0,0,1]
	v_pk_fma_f32 v[68:69], v[80:81], v[68:69], v[70:71] op_sel:[0,0,1] op_sel_hi:[1,0,0]
	v_mov_b32_e32 v83, v69
	s_delay_alu instid0(VALU_DEP_1)
	v_pk_add_f32 v[208:209], v[208:209], v[82:83] neg_lo:[0,1] neg_hi:[0,1]
.LBB103_370:
	s_or_b32 exec_lo, exec_lo, s1
	s_delay_alu instid0(SALU_CYCLE_1)
	s_mov_b32 s2, exec_lo
	s_wait_dscnt 0x0
	s_barrier_signal -1
	s_barrier_wait -1
	v_cmpx_eq_u32_e32 41, v116
	s_cbranch_execz .LBB103_377
; %bb.371:
	v_dual_mov_b32 v68, v180 :: v_dual_mov_b32 v69, v181
	v_dual_mov_b32 v70, v176 :: v_dual_mov_b32 v71, v177
	ds_store_b64 v117, v[178:179]
	ds_store_2addr_b64 v118, v[68:69], v[70:71] offset0:42 offset1:43
	v_dual_mov_b32 v68, v204 :: v_dual_mov_b32 v69, v205
	v_dual_mov_b32 v70, v198 :: v_dual_mov_b32 v71, v199
	ds_store_2addr_b64 v118, v[68:69], v[70:71] offset0:44 offset1:45
	v_dual_mov_b32 v68, v202 :: v_dual_mov_b32 v69, v203
	v_dual_mov_b32 v70, v196 :: v_dual_mov_b32 v71, v197
	;; [unrolled: 3-line block ×3, first 2 shown]
	ds_store_2addr_b64 v118, v[68:69], v[70:71] offset0:48 offset1:49
	v_dual_mov_b32 v68, v206 :: v_dual_mov_b32 v69, v207
	ds_store_2addr_b64 v118, v[68:69], v[208:209] offset0:50 offset1:51
	ds_load_b64 v[68:69], v117
	s_wait_dscnt 0x0
	v_cmp_neq_f32_e32 vcc_lo, 0, v68
	v_cmp_neq_f32_e64 s1, 0, v69
	s_or_b32 s1, vcc_lo, s1
	s_delay_alu instid0(SALU_CYCLE_1)
	s_and_b32 exec_lo, exec_lo, s1
	s_cbranch_execz .LBB103_377
; %bb.372:
	v_cmp_ngt_f32_e64 s1, |v68|, |v69|
                                        ; implicit-def: $vgpr70_vgpr71
	s_and_saveexec_b32 s4, s1
	s_delay_alu instid0(SALU_CYCLE_1)
	s_xor_b32 s1, exec_lo, s4
	s_cbranch_execz .LBB103_374
; %bb.373:
	v_div_scale_f32 v70, null, v69, v69, v68
	v_div_scale_f32 v81, vcc_lo, v68, v69, v68
	s_delay_alu instid0(VALU_DEP_2) | instskip(SKIP_1) | instid1(TRANS32_DEP_1)
	v_rcp_f32_e32 v71, v70
	v_nop
	v_fma_f32 v80, -v70, v71, 1.0
	s_delay_alu instid0(VALU_DEP_1) | instskip(NEXT) | instid1(VALU_DEP_1)
	v_fmac_f32_e32 v71, v80, v71
	v_mul_f32_e32 v80, v81, v71
	s_delay_alu instid0(VALU_DEP_1) | instskip(NEXT) | instid1(VALU_DEP_1)
	v_fma_f32 v82, -v70, v80, v81
	v_fmac_f32_e32 v80, v82, v71
	s_delay_alu instid0(VALU_DEP_1) | instskip(NEXT) | instid1(VALU_DEP_1)
	v_fma_f32 v70, -v70, v80, v81
	v_div_fmas_f32 v70, v70, v71, v80
	s_delay_alu instid0(VALU_DEP_1) | instskip(NEXT) | instid1(VALU_DEP_1)
	v_div_fixup_f32 v70, v70, v69, v68
	v_fmac_f32_e32 v69, v68, v70
	s_delay_alu instid0(VALU_DEP_1) | instskip(SKIP_1) | instid1(VALU_DEP_2)
	v_div_scale_f32 v68, null, v69, v69, 1.0
	v_div_scale_f32 v81, vcc_lo, 1.0, v69, 1.0
	v_rcp_f32_e32 v71, v68
	v_nop
	s_delay_alu instid0(TRANS32_DEP_1) | instskip(NEXT) | instid1(VALU_DEP_1)
	v_fma_f32 v80, -v68, v71, 1.0
	v_fmac_f32_e32 v71, v80, v71
	s_delay_alu instid0(VALU_DEP_1) | instskip(NEXT) | instid1(VALU_DEP_1)
	v_mul_f32_e32 v80, v81, v71
	v_fma_f32 v82, -v68, v80, v81
	s_delay_alu instid0(VALU_DEP_1) | instskip(NEXT) | instid1(VALU_DEP_1)
	v_fmac_f32_e32 v80, v82, v71
	v_fma_f32 v68, -v68, v80, v81
	s_delay_alu instid0(VALU_DEP_1) | instskip(NEXT) | instid1(VALU_DEP_1)
	v_div_fmas_f32 v68, v68, v71, v80
	v_div_fixup_f32 v68, v68, v69, 1.0
	s_delay_alu instid0(VALU_DEP_1)
	v_mul_f32_e32 v70, v70, v68
	v_xor_b32_e32 v71, 0x80000000, v68
                                        ; implicit-def: $vgpr68_vgpr69
.LBB103_374:
	s_and_not1_saveexec_b32 s1, s1
	s_cbranch_execz .LBB103_376
; %bb.375:
	v_div_scale_f32 v70, null, v68, v68, v69
	v_div_scale_f32 v81, vcc_lo, v69, v68, v69
	s_delay_alu instid0(VALU_DEP_2) | instskip(SKIP_1) | instid1(TRANS32_DEP_1)
	v_rcp_f32_e32 v71, v70
	v_nop
	v_fma_f32 v80, -v70, v71, 1.0
	s_delay_alu instid0(VALU_DEP_1) | instskip(NEXT) | instid1(VALU_DEP_1)
	v_fmac_f32_e32 v71, v80, v71
	v_mul_f32_e32 v80, v81, v71
	s_delay_alu instid0(VALU_DEP_1) | instskip(NEXT) | instid1(VALU_DEP_1)
	v_fma_f32 v82, -v70, v80, v81
	v_fmac_f32_e32 v80, v82, v71
	s_delay_alu instid0(VALU_DEP_1) | instskip(NEXT) | instid1(VALU_DEP_1)
	v_fma_f32 v70, -v70, v80, v81
	v_div_fmas_f32 v70, v70, v71, v80
	s_delay_alu instid0(VALU_DEP_1) | instskip(NEXT) | instid1(VALU_DEP_1)
	v_div_fixup_f32 v71, v70, v68, v69
	v_fmac_f32_e32 v68, v69, v71
	s_delay_alu instid0(VALU_DEP_1) | instskip(NEXT) | instid1(VALU_DEP_1)
	v_div_scale_f32 v69, null, v68, v68, 1.0
	v_rcp_f32_e32 v70, v69
	v_nop
	s_delay_alu instid0(TRANS32_DEP_1) | instskip(NEXT) | instid1(VALU_DEP_1)
	v_fma_f32 v80, -v69, v70, 1.0
	v_fmac_f32_e32 v70, v80, v70
	v_div_scale_f32 v80, vcc_lo, 1.0, v68, 1.0
	s_delay_alu instid0(VALU_DEP_1) | instskip(NEXT) | instid1(VALU_DEP_1)
	v_mul_f32_e32 v81, v80, v70
	v_fma_f32 v82, -v69, v81, v80
	s_delay_alu instid0(VALU_DEP_1) | instskip(NEXT) | instid1(VALU_DEP_1)
	v_fmac_f32_e32 v81, v82, v70
	v_fma_f32 v69, -v69, v81, v80
	s_delay_alu instid0(VALU_DEP_1) | instskip(NEXT) | instid1(VALU_DEP_1)
	v_div_fmas_f32 v69, v69, v70, v81
	v_div_fixup_f32 v70, v69, v68, 1.0
	s_delay_alu instid0(VALU_DEP_1)
	v_mul_f32_e64 v71, v71, -v70
.LBB103_376:
	s_or_b32 exec_lo, exec_lo, s1
	ds_store_b64 v117, v[70:71]
.LBB103_377:
	s_or_b32 exec_lo, exec_lo, s2
	s_wait_dscnt 0x0
	s_barrier_signal -1
	s_barrier_wait -1
	ds_load_b64 v[68:69], v117
	s_mov_b32 s1, exec_lo
	v_cmpx_lt_u32_e32 41, v116
	s_cbranch_execz .LBB103_379
; %bb.378:
	ds_load_2addr_b64 v[82:85], v118 offset0:42 offset1:43
	s_wait_dscnt 0x1
	v_pk_mul_f32 v[80:81], v[68:69], v[178:179] op_sel:[1,1] op_sel_hi:[0,1]
	s_delay_alu instid0(VALU_DEP_1) | instskip(SKIP_1) | instid1(VALU_DEP_1)
	v_pk_fma_f32 v[70:71], v[68:69], v[178:179], v[80:81] op_sel_hi:[1,0,1] neg_lo:[0,0,1] neg_hi:[0,0,1]
	v_pk_fma_f32 v[80:81], v[68:69], v[178:179], v[80:81] op_sel_hi:[1,0,1]
	v_dual_mov_b32 v178, v70 :: v_dual_mov_b32 v179, v81
	s_wait_dscnt 0x0
	s_delay_alu instid0(VALU_DEP_2) | instskip(NEXT) | instid1(VALU_DEP_1)
	v_pk_mul_f32 v[86:87], v[82:83], v[80:81] op_sel:[0,1]
	v_pk_fma_f32 v[96:97], v[82:83], v[70:71], v[86:87] op_sel:[0,0,1] op_sel_hi:[1,1,0] neg_lo:[0,0,1] neg_hi:[0,0,1]
	v_pk_fma_f32 v[82:83], v[82:83], v[70:71], v[86:87] op_sel:[0,0,1] op_sel_hi:[1,0,0]
	s_delay_alu instid0(VALU_DEP_1) | instskip(SKIP_1) | instid1(VALU_DEP_1)
	v_mov_b32_e32 v97, v83
	v_pk_mul_f32 v[82:83], v[84:85], v[80:81] op_sel:[0,1]
	v_pk_fma_f32 v[86:87], v[84:85], v[70:71], v[82:83] op_sel:[0,0,1] op_sel_hi:[1,1,0] neg_lo:[0,0,1] neg_hi:[0,0,1]
	v_pk_fma_f32 v[82:83], v[84:85], v[70:71], v[82:83] op_sel:[0,0,1] op_sel_hi:[1,0,0]
	s_delay_alu instid0(VALU_DEP_1)
	v_mov_b32_e32 v87, v83
	ds_load_2addr_b64 v[82:85], v118 offset0:44 offset1:45
	v_pk_add_f32 v[180:181], v[180:181], v[96:97] neg_lo:[0,1] neg_hi:[0,1]
	v_pk_add_f32 v[176:177], v[176:177], v[86:87] neg_lo:[0,1] neg_hi:[0,1]
	s_wait_dscnt 0x0
	v_pk_mul_f32 v[86:87], v[82:83], v[80:81] op_sel:[0,1]
	s_delay_alu instid0(VALU_DEP_1) | instskip(SKIP_2) | instid1(VALU_DEP_2)
	v_pk_fma_f32 v[96:97], v[82:83], v[70:71], v[86:87] op_sel:[0,0,1] op_sel_hi:[1,1,0] neg_lo:[0,0,1] neg_hi:[0,0,1]
	v_pk_fma_f32 v[82:83], v[82:83], v[70:71], v[86:87] op_sel:[0,0,1] op_sel_hi:[1,0,0]
	v_dual_mul_f32 v86, v85, v81 :: v_dual_mov_b32 v82, v85
	v_dual_mov_b32 v97, v83 :: v_dual_mov_b32 v83, v84
	s_delay_alu instid0(VALU_DEP_2) | instskip(SKIP_1) | instid1(VALU_DEP_3)
	v_pk_fma_f32 v[86:87], v[84:85], v[178:179], v[86:87] op_sel_hi:[1,1,0] neg_lo:[0,0,1] neg_hi:[0,0,1]
	v_mul_f32_e32 v84, v85, v70
	v_pk_add_f32 v[204:205], v[204:205], v[96:97] neg_lo:[0,1] neg_hi:[0,1]
	s_delay_alu instid0(VALU_DEP_2) | instskip(NEXT) | instid1(VALU_DEP_1)
	v_pk_fma_f32 v[82:83], v[82:83], v[178:179], v[84:85] op_sel_hi:[1,1,0]
	v_mov_b32_e32 v87, v83
	ds_load_2addr_b64 v[82:85], v118 offset0:46 offset1:47
	v_pk_add_f32 v[198:199], v[198:199], v[86:87] neg_lo:[0,1] neg_hi:[0,1]
	s_wait_dscnt 0x0
	v_pk_mul_f32 v[86:87], v[82:83], v[80:81] op_sel:[0,1]
	s_delay_alu instid0(VALU_DEP_1) | instskip(SKIP_1) | instid1(VALU_DEP_1)
	v_pk_fma_f32 v[96:97], v[82:83], v[70:71], v[86:87] op_sel:[0,0,1] op_sel_hi:[1,1,0] neg_lo:[0,0,1] neg_hi:[0,0,1]
	v_pk_fma_f32 v[82:83], v[82:83], v[70:71], v[86:87] op_sel:[0,0,1] op_sel_hi:[1,0,0]
	v_mov_b32_e32 v97, v83
	v_pk_mul_f32 v[82:83], v[84:85], v[80:81] op_sel:[0,1]
	s_delay_alu instid0(VALU_DEP_1) | instskip(SKIP_1) | instid1(VALU_DEP_1)
	v_pk_fma_f32 v[86:87], v[84:85], v[70:71], v[82:83] op_sel:[0,0,1] op_sel_hi:[1,1,0] neg_lo:[0,0,1] neg_hi:[0,0,1]
	v_pk_fma_f32 v[82:83], v[84:85], v[70:71], v[82:83] op_sel:[0,0,1] op_sel_hi:[1,0,0]
	v_mov_b32_e32 v87, v83
	ds_load_2addr_b64 v[82:85], v118 offset0:48 offset1:49
	v_pk_add_f32 v[202:203], v[202:203], v[96:97] neg_lo:[0,1] neg_hi:[0,1]
	v_pk_add_f32 v[196:197], v[196:197], v[86:87] neg_lo:[0,1] neg_hi:[0,1]
	s_wait_dscnt 0x0
	v_pk_mul_f32 v[86:87], v[82:83], v[80:81] op_sel:[0,1]
	s_delay_alu instid0(VALU_DEP_1) | instskip(SKIP_1) | instid1(VALU_DEP_1)
	v_pk_fma_f32 v[96:97], v[82:83], v[70:71], v[86:87] op_sel:[0,0,1] op_sel_hi:[1,1,0] neg_lo:[0,0,1] neg_hi:[0,0,1]
	v_pk_fma_f32 v[82:83], v[82:83], v[70:71], v[86:87] op_sel:[0,0,1] op_sel_hi:[1,0,0]
	v_mov_b32_e32 v97, v83
	v_pk_mul_f32 v[82:83], v[84:85], v[80:81] op_sel:[0,1]
	s_delay_alu instid0(VALU_DEP_1) | instskip(SKIP_1) | instid1(VALU_DEP_1)
	v_pk_fma_f32 v[86:87], v[84:85], v[70:71], v[82:83] op_sel:[0,0,1] op_sel_hi:[1,1,0] neg_lo:[0,0,1] neg_hi:[0,0,1]
	v_pk_fma_f32 v[82:83], v[84:85], v[70:71], v[82:83] op_sel:[0,0,1] op_sel_hi:[1,0,0]
	v_mov_b32_e32 v87, v83
	ds_load_2addr_b64 v[82:85], v118 offset0:50 offset1:51
	v_pk_add_f32 v[200:201], v[200:201], v[96:97] neg_lo:[0,1] neg_hi:[0,1]
	v_pk_add_f32 v[194:195], v[194:195], v[86:87] neg_lo:[0,1] neg_hi:[0,1]
	s_wait_dscnt 0x0
	v_dual_mul_f32 v86, v83, v81 :: v_dual_mul_f32 v96, v83, v70
	v_pk_mul_f32 v[80:81], v[84:85], v[80:81] op_sel:[0,1]
	s_delay_alu instid0(VALU_DEP_2) | instskip(NEXT) | instid1(VALU_DEP_3)
	v_pk_fma_f32 v[86:87], v[82:83], v[178:179], v[86:87] op_sel_hi:[1,1,0] neg_lo:[0,0,1] neg_hi:[0,0,1]
	v_pk_fma_f32 v[82:83], v[82:83], v[178:179], v[96:97] op_sel:[1,0,0] op_sel_hi:[0,1,0]
	s_delay_alu instid0(VALU_DEP_1) | instskip(NEXT) | instid1(VALU_DEP_4)
	v_mov_b32_e32 v87, v83
	v_pk_fma_f32 v[82:83], v[84:85], v[70:71], v[80:81] op_sel:[0,0,1] op_sel_hi:[1,1,0] neg_lo:[0,0,1] neg_hi:[0,0,1]
	v_pk_fma_f32 v[70:71], v[84:85], v[70:71], v[80:81] op_sel:[0,0,1] op_sel_hi:[1,0,0]
	s_delay_alu instid0(VALU_DEP_1) | instskip(NEXT) | instid1(VALU_DEP_4)
	v_mov_b32_e32 v83, v71
	v_pk_add_f32 v[206:207], v[206:207], v[86:87] neg_lo:[0,1] neg_hi:[0,1]
	s_delay_alu instid0(VALU_DEP_2)
	v_pk_add_f32 v[208:209], v[208:209], v[82:83] neg_lo:[0,1] neg_hi:[0,1]
.LBB103_379:
	s_or_b32 exec_lo, exec_lo, s1
	s_delay_alu instid0(SALU_CYCLE_1)
	s_mov_b32 s2, exec_lo
	s_wait_dscnt 0x0
	s_barrier_signal -1
	s_barrier_wait -1
	v_cmpx_eq_u32_e32 42, v116
	s_cbranch_execz .LBB103_386
; %bb.380:
	ds_store_b64 v117, v[180:181]
	ds_store_2addr_b64 v118, v[176:177], v[204:205] offset0:43 offset1:44
	ds_store_2addr_b64 v118, v[198:199], v[202:203] offset0:45 offset1:46
	;; [unrolled: 1-line block ×4, first 2 shown]
	ds_store_b64 v118, v[208:209] offset:408
	ds_load_b64 v[70:71], v117
	s_wait_dscnt 0x0
	v_cmp_neq_f32_e32 vcc_lo, 0, v70
	v_cmp_neq_f32_e64 s1, 0, v71
	s_or_b32 s1, vcc_lo, s1
	s_delay_alu instid0(SALU_CYCLE_1)
	s_and_b32 exec_lo, exec_lo, s1
	s_cbranch_execz .LBB103_386
; %bb.381:
	v_cmp_ngt_f32_e64 s1, |v70|, |v71|
                                        ; implicit-def: $vgpr80_vgpr81
	s_and_saveexec_b32 s4, s1
	s_delay_alu instid0(SALU_CYCLE_1)
	s_xor_b32 s1, exec_lo, s4
	s_cbranch_execz .LBB103_383
; %bb.382:
	v_div_scale_f32 v80, null, v71, v71, v70
	v_div_scale_f32 v83, vcc_lo, v70, v71, v70
	s_delay_alu instid0(VALU_DEP_2) | instskip(SKIP_1) | instid1(TRANS32_DEP_1)
	v_rcp_f32_e32 v81, v80
	v_nop
	v_fma_f32 v82, -v80, v81, 1.0
	s_delay_alu instid0(VALU_DEP_1) | instskip(NEXT) | instid1(VALU_DEP_1)
	v_fmac_f32_e32 v81, v82, v81
	v_mul_f32_e32 v82, v83, v81
	s_delay_alu instid0(VALU_DEP_1) | instskip(NEXT) | instid1(VALU_DEP_1)
	v_fma_f32 v84, -v80, v82, v83
	v_fmac_f32_e32 v82, v84, v81
	s_delay_alu instid0(VALU_DEP_1) | instskip(NEXT) | instid1(VALU_DEP_1)
	v_fma_f32 v80, -v80, v82, v83
	v_div_fmas_f32 v80, v80, v81, v82
	s_delay_alu instid0(VALU_DEP_1) | instskip(NEXT) | instid1(VALU_DEP_1)
	v_div_fixup_f32 v80, v80, v71, v70
	v_fmac_f32_e32 v71, v70, v80
	s_delay_alu instid0(VALU_DEP_1) | instskip(SKIP_1) | instid1(VALU_DEP_2)
	v_div_scale_f32 v70, null, v71, v71, 1.0
	v_div_scale_f32 v83, vcc_lo, 1.0, v71, 1.0
	v_rcp_f32_e32 v81, v70
	v_nop
	s_delay_alu instid0(TRANS32_DEP_1) | instskip(NEXT) | instid1(VALU_DEP_1)
	v_fma_f32 v82, -v70, v81, 1.0
	v_fmac_f32_e32 v81, v82, v81
	s_delay_alu instid0(VALU_DEP_1) | instskip(NEXT) | instid1(VALU_DEP_1)
	v_mul_f32_e32 v82, v83, v81
	v_fma_f32 v84, -v70, v82, v83
	s_delay_alu instid0(VALU_DEP_1) | instskip(NEXT) | instid1(VALU_DEP_1)
	v_fmac_f32_e32 v82, v84, v81
	v_fma_f32 v70, -v70, v82, v83
	s_delay_alu instid0(VALU_DEP_1) | instskip(NEXT) | instid1(VALU_DEP_1)
	v_div_fmas_f32 v70, v70, v81, v82
	v_div_fixup_f32 v70, v70, v71, 1.0
	s_delay_alu instid0(VALU_DEP_1)
	v_mul_f32_e32 v80, v80, v70
	v_xor_b32_e32 v81, 0x80000000, v70
                                        ; implicit-def: $vgpr70_vgpr71
.LBB103_383:
	s_and_not1_saveexec_b32 s1, s1
	s_cbranch_execz .LBB103_385
; %bb.384:
	v_div_scale_f32 v80, null, v70, v70, v71
	v_div_scale_f32 v83, vcc_lo, v71, v70, v71
	s_delay_alu instid0(VALU_DEP_2) | instskip(SKIP_1) | instid1(TRANS32_DEP_1)
	v_rcp_f32_e32 v81, v80
	v_nop
	v_fma_f32 v82, -v80, v81, 1.0
	s_delay_alu instid0(VALU_DEP_1) | instskip(NEXT) | instid1(VALU_DEP_1)
	v_fmac_f32_e32 v81, v82, v81
	v_mul_f32_e32 v82, v83, v81
	s_delay_alu instid0(VALU_DEP_1) | instskip(NEXT) | instid1(VALU_DEP_1)
	v_fma_f32 v84, -v80, v82, v83
	v_fmac_f32_e32 v82, v84, v81
	s_delay_alu instid0(VALU_DEP_1) | instskip(NEXT) | instid1(VALU_DEP_1)
	v_fma_f32 v80, -v80, v82, v83
	v_div_fmas_f32 v80, v80, v81, v82
	s_delay_alu instid0(VALU_DEP_1) | instskip(NEXT) | instid1(VALU_DEP_1)
	v_div_fixup_f32 v81, v80, v70, v71
	v_fmac_f32_e32 v70, v71, v81
	s_delay_alu instid0(VALU_DEP_1) | instskip(NEXT) | instid1(VALU_DEP_1)
	v_div_scale_f32 v71, null, v70, v70, 1.0
	v_rcp_f32_e32 v80, v71
	v_nop
	s_delay_alu instid0(TRANS32_DEP_1) | instskip(NEXT) | instid1(VALU_DEP_1)
	v_fma_f32 v82, -v71, v80, 1.0
	v_fmac_f32_e32 v80, v82, v80
	v_div_scale_f32 v82, vcc_lo, 1.0, v70, 1.0
	s_delay_alu instid0(VALU_DEP_1) | instskip(NEXT) | instid1(VALU_DEP_1)
	v_mul_f32_e32 v83, v82, v80
	v_fma_f32 v84, -v71, v83, v82
	s_delay_alu instid0(VALU_DEP_1) | instskip(NEXT) | instid1(VALU_DEP_1)
	v_fmac_f32_e32 v83, v84, v80
	v_fma_f32 v71, -v71, v83, v82
	s_delay_alu instid0(VALU_DEP_1) | instskip(NEXT) | instid1(VALU_DEP_1)
	v_div_fmas_f32 v71, v71, v80, v83
	v_div_fixup_f32 v80, v71, v70, 1.0
	s_delay_alu instid0(VALU_DEP_1)
	v_mul_f32_e64 v81, v81, -v80
.LBB103_385:
	s_or_b32 exec_lo, exec_lo, s1
	ds_store_b64 v117, v[80:81]
.LBB103_386:
	s_or_b32 exec_lo, exec_lo, s2
	s_wait_dscnt 0x0
	s_barrier_signal -1
	s_barrier_wait -1
	ds_load_b64 v[70:71], v117
	s_mov_b32 s1, exec_lo
	v_cmpx_lt_u32_e32 42, v116
	s_cbranch_execz .LBB103_388
; %bb.387:
	ds_load_2addr_b64 v[84:87], v118 offset0:43 offset1:44
	s_wait_dscnt 0x1
	v_pk_mul_f32 v[82:83], v[70:71], v[180:181] op_sel:[1,1] op_sel_hi:[0,1]
	s_delay_alu instid0(VALU_DEP_1) | instskip(SKIP_1) | instid1(VALU_DEP_1)
	v_pk_fma_f32 v[80:81], v[70:71], v[180:181], v[82:83] op_sel_hi:[1,0,1] neg_lo:[0,0,1] neg_hi:[0,0,1]
	v_pk_fma_f32 v[82:83], v[70:71], v[180:181], v[82:83] op_sel_hi:[1,0,1]
	v_dual_mov_b32 v180, v80 :: v_dual_mov_b32 v181, v83
	s_wait_dscnt 0x0
	s_delay_alu instid0(VALU_DEP_2) | instskip(NEXT) | instid1(VALU_DEP_1)
	v_pk_mul_f32 v[96:97], v[84:85], v[82:83] op_sel:[0,1]
	v_pk_fma_f32 v[100:101], v[84:85], v[80:81], v[96:97] op_sel:[0,0,1] op_sel_hi:[1,1,0] neg_lo:[0,0,1] neg_hi:[0,0,1]
	v_pk_fma_f32 v[84:85], v[84:85], v[80:81], v[96:97] op_sel:[0,0,1] op_sel_hi:[1,0,0]
	s_delay_alu instid0(VALU_DEP_1) | instskip(SKIP_1) | instid1(VALU_DEP_1)
	v_mov_b32_e32 v101, v85
	v_pk_mul_f32 v[84:85], v[86:87], v[82:83] op_sel:[0,1]
	v_pk_fma_f32 v[96:97], v[86:87], v[80:81], v[84:85] op_sel:[0,0,1] op_sel_hi:[1,1,0] neg_lo:[0,0,1] neg_hi:[0,0,1]
	v_pk_fma_f32 v[84:85], v[86:87], v[80:81], v[84:85] op_sel:[0,0,1] op_sel_hi:[1,0,0]
	s_delay_alu instid0(VALU_DEP_1)
	v_mov_b32_e32 v97, v85
	ds_load_2addr_b64 v[84:87], v118 offset0:45 offset1:46
	v_pk_add_f32 v[176:177], v[176:177], v[100:101] neg_lo:[0,1] neg_hi:[0,1]
	v_pk_add_f32 v[204:205], v[204:205], v[96:97] neg_lo:[0,1] neg_hi:[0,1]
	s_wait_dscnt 0x0
	v_pk_mul_f32 v[96:97], v[84:85], v[82:83] op_sel:[0,1]
	s_delay_alu instid0(VALU_DEP_1) | instskip(SKIP_2) | instid1(VALU_DEP_2)
	v_pk_fma_f32 v[100:101], v[84:85], v[80:81], v[96:97] op_sel:[0,0,1] op_sel_hi:[1,1,0] neg_lo:[0,0,1] neg_hi:[0,0,1]
	v_pk_fma_f32 v[84:85], v[84:85], v[80:81], v[96:97] op_sel:[0,0,1] op_sel_hi:[1,0,0]
	v_dual_mul_f32 v96, v87, v83 :: v_dual_mov_b32 v84, v87
	v_dual_mov_b32 v101, v85 :: v_dual_mov_b32 v85, v86
	s_delay_alu instid0(VALU_DEP_2) | instskip(SKIP_1) | instid1(VALU_DEP_3)
	v_pk_fma_f32 v[96:97], v[86:87], v[180:181], v[96:97] op_sel_hi:[1,1,0] neg_lo:[0,0,1] neg_hi:[0,0,1]
	v_mul_f32_e32 v86, v87, v80
	v_pk_add_f32 v[198:199], v[198:199], v[100:101] neg_lo:[0,1] neg_hi:[0,1]
	s_delay_alu instid0(VALU_DEP_2) | instskip(NEXT) | instid1(VALU_DEP_1)
	v_pk_fma_f32 v[84:85], v[84:85], v[180:181], v[86:87] op_sel_hi:[1,1,0]
	v_mov_b32_e32 v97, v85
	ds_load_2addr_b64 v[84:87], v118 offset0:47 offset1:48
	v_pk_add_f32 v[202:203], v[202:203], v[96:97] neg_lo:[0,1] neg_hi:[0,1]
	s_wait_dscnt 0x0
	v_pk_mul_f32 v[96:97], v[84:85], v[82:83] op_sel:[0,1]
	s_delay_alu instid0(VALU_DEP_1) | instskip(SKIP_1) | instid1(VALU_DEP_1)
	v_pk_fma_f32 v[100:101], v[84:85], v[80:81], v[96:97] op_sel:[0,0,1] op_sel_hi:[1,1,0] neg_lo:[0,0,1] neg_hi:[0,0,1]
	v_pk_fma_f32 v[84:85], v[84:85], v[80:81], v[96:97] op_sel:[0,0,1] op_sel_hi:[1,0,0]
	v_mov_b32_e32 v101, v85
	v_pk_mul_f32 v[84:85], v[86:87], v[82:83] op_sel:[0,1]
	s_delay_alu instid0(VALU_DEP_1) | instskip(SKIP_1) | instid1(VALU_DEP_1)
	v_pk_fma_f32 v[96:97], v[86:87], v[80:81], v[84:85] op_sel:[0,0,1] op_sel_hi:[1,1,0] neg_lo:[0,0,1] neg_hi:[0,0,1]
	v_pk_fma_f32 v[84:85], v[86:87], v[80:81], v[84:85] op_sel:[0,0,1] op_sel_hi:[1,0,0]
	v_mov_b32_e32 v97, v85
	ds_load_2addr_b64 v[84:87], v118 offset0:49 offset1:50
	v_pk_add_f32 v[196:197], v[196:197], v[100:101] neg_lo:[0,1] neg_hi:[0,1]
	v_pk_add_f32 v[200:201], v[200:201], v[96:97] neg_lo:[0,1] neg_hi:[0,1]
	s_wait_dscnt 0x0
	v_pk_mul_f32 v[96:97], v[84:85], v[82:83] op_sel:[0,1]
	s_delay_alu instid0(VALU_DEP_1) | instskip(SKIP_1) | instid1(VALU_DEP_1)
	v_pk_fma_f32 v[100:101], v[84:85], v[80:81], v[96:97] op_sel:[0,0,1] op_sel_hi:[1,1,0] neg_lo:[0,0,1] neg_hi:[0,0,1]
	v_pk_fma_f32 v[84:85], v[84:85], v[80:81], v[96:97] op_sel:[0,0,1] op_sel_hi:[1,0,0]
	v_mov_b32_e32 v101, v85
	v_pk_mul_f32 v[84:85], v[86:87], v[82:83] op_sel:[0,1]
	s_delay_alu instid0(VALU_DEP_1) | instskip(SKIP_1) | instid1(VALU_DEP_1)
	v_pk_fma_f32 v[96:97], v[86:87], v[80:81], v[84:85] op_sel:[0,0,1] op_sel_hi:[1,1,0] neg_lo:[0,0,1] neg_hi:[0,0,1]
	v_pk_fma_f32 v[84:85], v[86:87], v[80:81], v[84:85] op_sel:[0,0,1] op_sel_hi:[1,0,0]
	v_mov_b32_e32 v97, v85
	ds_load_b64 v[84:85], v118 offset:408
	v_pk_add_f32 v[194:195], v[194:195], v[100:101] neg_lo:[0,1] neg_hi:[0,1]
	v_pk_add_f32 v[206:207], v[206:207], v[96:97] neg_lo:[0,1] neg_hi:[0,1]
	s_wait_dscnt 0x0
	v_pk_mul_f32 v[82:83], v[84:85], v[82:83] op_sel:[0,1]
	s_delay_alu instid0(VALU_DEP_1) | instskip(SKIP_1) | instid1(VALU_DEP_1)
	v_pk_fma_f32 v[86:87], v[84:85], v[80:81], v[82:83] op_sel:[0,0,1] op_sel_hi:[1,1,0] neg_lo:[0,0,1] neg_hi:[0,0,1]
	v_pk_fma_f32 v[80:81], v[84:85], v[80:81], v[82:83] op_sel:[0,0,1] op_sel_hi:[1,0,0]
	v_mov_b32_e32 v87, v81
	s_delay_alu instid0(VALU_DEP_1)
	v_pk_add_f32 v[208:209], v[208:209], v[86:87] neg_lo:[0,1] neg_hi:[0,1]
.LBB103_388:
	s_or_b32 exec_lo, exec_lo, s1
	s_delay_alu instid0(SALU_CYCLE_1)
	s_mov_b32 s2, exec_lo
	s_wait_dscnt 0x0
	s_barrier_signal -1
	s_barrier_wait -1
	v_cmpx_eq_u32_e32 43, v116
	s_cbranch_execz .LBB103_395
; %bb.389:
	v_dual_mov_b32 v80, v204 :: v_dual_mov_b32 v81, v205
	v_dual_mov_b32 v82, v198 :: v_dual_mov_b32 v83, v199
	ds_store_b64 v117, v[176:177]
	ds_store_2addr_b64 v118, v[80:81], v[82:83] offset0:44 offset1:45
	v_dual_mov_b32 v80, v202 :: v_dual_mov_b32 v81, v203
	v_dual_mov_b32 v82, v196 :: v_dual_mov_b32 v83, v197
	ds_store_2addr_b64 v118, v[80:81], v[82:83] offset0:46 offset1:47
	v_dual_mov_b32 v80, v200 :: v_dual_mov_b32 v81, v201
	v_dual_mov_b32 v82, v194 :: v_dual_mov_b32 v83, v195
	ds_store_2addr_b64 v118, v[80:81], v[82:83] offset0:48 offset1:49
	v_dual_mov_b32 v80, v206 :: v_dual_mov_b32 v81, v207
	ds_store_2addr_b64 v118, v[80:81], v[208:209] offset0:50 offset1:51
	ds_load_b64 v[80:81], v117
	s_wait_dscnt 0x0
	v_cmp_neq_f32_e32 vcc_lo, 0, v80
	v_cmp_neq_f32_e64 s1, 0, v81
	s_or_b32 s1, vcc_lo, s1
	s_delay_alu instid0(SALU_CYCLE_1)
	s_and_b32 exec_lo, exec_lo, s1
	s_cbranch_execz .LBB103_395
; %bb.390:
	v_cmp_ngt_f32_e64 s1, |v80|, |v81|
                                        ; implicit-def: $vgpr82_vgpr83
	s_and_saveexec_b32 s4, s1
	s_delay_alu instid0(SALU_CYCLE_1)
	s_xor_b32 s1, exec_lo, s4
	s_cbranch_execz .LBB103_392
; %bb.391:
	v_div_scale_f32 v82, null, v81, v81, v80
	v_div_scale_f32 v85, vcc_lo, v80, v81, v80
	s_delay_alu instid0(VALU_DEP_2) | instskip(SKIP_1) | instid1(TRANS32_DEP_1)
	v_rcp_f32_e32 v83, v82
	v_nop
	v_fma_f32 v84, -v82, v83, 1.0
	s_delay_alu instid0(VALU_DEP_1) | instskip(NEXT) | instid1(VALU_DEP_1)
	v_fmac_f32_e32 v83, v84, v83
	v_mul_f32_e32 v84, v85, v83
	s_delay_alu instid0(VALU_DEP_1) | instskip(NEXT) | instid1(VALU_DEP_1)
	v_fma_f32 v86, -v82, v84, v85
	v_fmac_f32_e32 v84, v86, v83
	s_delay_alu instid0(VALU_DEP_1) | instskip(NEXT) | instid1(VALU_DEP_1)
	v_fma_f32 v82, -v82, v84, v85
	v_div_fmas_f32 v82, v82, v83, v84
	s_delay_alu instid0(VALU_DEP_1) | instskip(NEXT) | instid1(VALU_DEP_1)
	v_div_fixup_f32 v82, v82, v81, v80
	v_fmac_f32_e32 v81, v80, v82
	s_delay_alu instid0(VALU_DEP_1) | instskip(SKIP_1) | instid1(VALU_DEP_2)
	v_div_scale_f32 v80, null, v81, v81, 1.0
	v_div_scale_f32 v85, vcc_lo, 1.0, v81, 1.0
	v_rcp_f32_e32 v83, v80
	v_nop
	s_delay_alu instid0(TRANS32_DEP_1) | instskip(NEXT) | instid1(VALU_DEP_1)
	v_fma_f32 v84, -v80, v83, 1.0
	v_fmac_f32_e32 v83, v84, v83
	s_delay_alu instid0(VALU_DEP_1) | instskip(NEXT) | instid1(VALU_DEP_1)
	v_mul_f32_e32 v84, v85, v83
	v_fma_f32 v86, -v80, v84, v85
	s_delay_alu instid0(VALU_DEP_1) | instskip(NEXT) | instid1(VALU_DEP_1)
	v_fmac_f32_e32 v84, v86, v83
	v_fma_f32 v80, -v80, v84, v85
	s_delay_alu instid0(VALU_DEP_1) | instskip(NEXT) | instid1(VALU_DEP_1)
	v_div_fmas_f32 v80, v80, v83, v84
	v_div_fixup_f32 v80, v80, v81, 1.0
	s_delay_alu instid0(VALU_DEP_1)
	v_mul_f32_e32 v82, v82, v80
	v_xor_b32_e32 v83, 0x80000000, v80
                                        ; implicit-def: $vgpr80_vgpr81
.LBB103_392:
	s_and_not1_saveexec_b32 s1, s1
	s_cbranch_execz .LBB103_394
; %bb.393:
	v_div_scale_f32 v82, null, v80, v80, v81
	v_div_scale_f32 v85, vcc_lo, v81, v80, v81
	s_delay_alu instid0(VALU_DEP_2) | instskip(SKIP_1) | instid1(TRANS32_DEP_1)
	v_rcp_f32_e32 v83, v82
	v_nop
	v_fma_f32 v84, -v82, v83, 1.0
	s_delay_alu instid0(VALU_DEP_1) | instskip(NEXT) | instid1(VALU_DEP_1)
	v_fmac_f32_e32 v83, v84, v83
	v_mul_f32_e32 v84, v85, v83
	s_delay_alu instid0(VALU_DEP_1) | instskip(NEXT) | instid1(VALU_DEP_1)
	v_fma_f32 v86, -v82, v84, v85
	v_fmac_f32_e32 v84, v86, v83
	s_delay_alu instid0(VALU_DEP_1) | instskip(NEXT) | instid1(VALU_DEP_1)
	v_fma_f32 v82, -v82, v84, v85
	v_div_fmas_f32 v82, v82, v83, v84
	s_delay_alu instid0(VALU_DEP_1) | instskip(NEXT) | instid1(VALU_DEP_1)
	v_div_fixup_f32 v83, v82, v80, v81
	v_fmac_f32_e32 v80, v81, v83
	s_delay_alu instid0(VALU_DEP_1) | instskip(NEXT) | instid1(VALU_DEP_1)
	v_div_scale_f32 v81, null, v80, v80, 1.0
	v_rcp_f32_e32 v82, v81
	v_nop
	s_delay_alu instid0(TRANS32_DEP_1) | instskip(NEXT) | instid1(VALU_DEP_1)
	v_fma_f32 v84, -v81, v82, 1.0
	v_fmac_f32_e32 v82, v84, v82
	v_div_scale_f32 v84, vcc_lo, 1.0, v80, 1.0
	s_delay_alu instid0(VALU_DEP_1) | instskip(NEXT) | instid1(VALU_DEP_1)
	v_mul_f32_e32 v85, v84, v82
	v_fma_f32 v86, -v81, v85, v84
	s_delay_alu instid0(VALU_DEP_1) | instskip(NEXT) | instid1(VALU_DEP_1)
	v_fmac_f32_e32 v85, v86, v82
	v_fma_f32 v81, -v81, v85, v84
	s_delay_alu instid0(VALU_DEP_1) | instskip(NEXT) | instid1(VALU_DEP_1)
	v_div_fmas_f32 v81, v81, v82, v85
	v_div_fixup_f32 v82, v81, v80, 1.0
	s_delay_alu instid0(VALU_DEP_1)
	v_mul_f32_e64 v83, v83, -v82
.LBB103_394:
	s_or_b32 exec_lo, exec_lo, s1
	ds_store_b64 v117, v[82:83]
.LBB103_395:
	s_or_b32 exec_lo, exec_lo, s2
	s_wait_dscnt 0x0
	s_barrier_signal -1
	s_barrier_wait -1
	ds_load_b64 v[80:81], v117
	s_mov_b32 s1, exec_lo
	v_cmpx_lt_u32_e32 43, v116
	s_cbranch_execz .LBB103_397
; %bb.396:
	ds_load_2addr_b64 v[100:103], v118 offset0:44 offset1:45
	s_wait_dscnt 0x1
	v_pk_mul_f32 v[84:85], v[80:81], v[176:177] op_sel:[1,1] op_sel_hi:[0,1]
	s_delay_alu instid0(VALU_DEP_1) | instskip(SKIP_1) | instid1(VALU_DEP_1)
	v_pk_fma_f32 v[82:83], v[80:81], v[176:177], v[84:85] op_sel_hi:[1,0,1] neg_lo:[0,0,1] neg_hi:[0,0,1]
	v_pk_fma_f32 v[84:85], v[80:81], v[176:177], v[84:85] op_sel_hi:[1,0,1]
	v_dual_mov_b32 v176, v82 :: v_dual_mov_b32 v177, v85
	s_wait_dscnt 0x0
	s_delay_alu instid0(VALU_DEP_2) | instskip(NEXT) | instid1(VALU_DEP_1)
	v_pk_mul_f32 v[86:87], v[100:101], v[84:85] op_sel:[0,1]
	v_pk_fma_f32 v[96:97], v[100:101], v[82:83], v[86:87] op_sel:[0,0,1] op_sel_hi:[1,1,0] neg_lo:[0,0,1] neg_hi:[0,0,1]
	v_pk_fma_f32 v[86:87], v[100:101], v[82:83], v[86:87] op_sel:[0,0,1] op_sel_hi:[1,0,0]
	s_delay_alu instid0(VALU_DEP_1) | instskip(SKIP_1) | instid1(VALU_DEP_2)
	v_mov_b32_e32 v97, v87
	v_pk_mul_f32 v[86:87], v[102:103], v[84:85] op_sel:[0,1]
	v_pk_add_f32 v[204:205], v[204:205], v[96:97] neg_lo:[0,1] neg_hi:[0,1]
	s_delay_alu instid0(VALU_DEP_2) | instskip(SKIP_3) | instid1(VALU_DEP_1)
	v_pk_fma_f32 v[96:97], v[102:103], v[82:83], v[86:87] op_sel:[0,0,1] op_sel_hi:[1,1,0] neg_lo:[0,0,1] neg_hi:[0,0,1]
	v_pk_fma_f32 v[86:87], v[102:103], v[82:83], v[86:87] op_sel:[0,0,1] op_sel_hi:[1,0,0]
	ds_load_2addr_b64 v[100:103], v118 offset0:46 offset1:47
	v_mov_b32_e32 v97, v87
	v_pk_add_f32 v[198:199], v[198:199], v[96:97] neg_lo:[0,1] neg_hi:[0,1]
	s_wait_dscnt 0x0
	v_pk_mul_f32 v[86:87], v[100:101], v[84:85] op_sel:[0,1]
	s_delay_alu instid0(VALU_DEP_1) | instskip(SKIP_2) | instid1(VALU_DEP_2)
	v_pk_fma_f32 v[96:97], v[100:101], v[82:83], v[86:87] op_sel:[0,0,1] op_sel_hi:[1,1,0] neg_lo:[0,0,1] neg_hi:[0,0,1]
	v_pk_fma_f32 v[86:87], v[100:101], v[82:83], v[86:87] op_sel:[0,0,1] op_sel_hi:[1,0,0]
	v_dual_mov_b32 v86, v103 :: v_dual_mul_f32 v100, v103, v82
	v_dual_mov_b32 v97, v87 :: v_dual_mov_b32 v87, v102
	s_delay_alu instid0(VALU_DEP_1) | instskip(SKIP_1) | instid1(VALU_DEP_3)
	v_pk_add_f32 v[202:203], v[202:203], v[96:97] neg_lo:[0,1] neg_hi:[0,1]
	v_mul_f32_e32 v96, v103, v85
	v_pk_fma_f32 v[86:87], v[86:87], v[176:177], v[100:101] op_sel_hi:[1,1,0]
	s_delay_alu instid0(VALU_DEP_2) | instskip(SKIP_2) | instid1(VALU_DEP_1)
	v_pk_fma_f32 v[96:97], v[102:103], v[176:177], v[96:97] op_sel_hi:[1,1,0] neg_lo:[0,0,1] neg_hi:[0,0,1]
	ds_load_2addr_b64 v[100:103], v118 offset0:48 offset1:49
	v_mov_b32_e32 v97, v87
	v_pk_add_f32 v[196:197], v[196:197], v[96:97] neg_lo:[0,1] neg_hi:[0,1]
	s_wait_dscnt 0x0
	v_pk_mul_f32 v[86:87], v[100:101], v[84:85] op_sel:[0,1]
	s_delay_alu instid0(VALU_DEP_1) | instskip(SKIP_1) | instid1(VALU_DEP_1)
	v_pk_fma_f32 v[96:97], v[100:101], v[82:83], v[86:87] op_sel:[0,0,1] op_sel_hi:[1,1,0] neg_lo:[0,0,1] neg_hi:[0,0,1]
	v_pk_fma_f32 v[86:87], v[100:101], v[82:83], v[86:87] op_sel:[0,0,1] op_sel_hi:[1,0,0]
	v_mov_b32_e32 v97, v87
	v_pk_mul_f32 v[86:87], v[102:103], v[84:85] op_sel:[0,1]
	s_delay_alu instid0(VALU_DEP_2) | instskip(NEXT) | instid1(VALU_DEP_2)
	v_pk_add_f32 v[200:201], v[200:201], v[96:97] neg_lo:[0,1] neg_hi:[0,1]
	v_pk_fma_f32 v[96:97], v[102:103], v[82:83], v[86:87] op_sel:[0,0,1] op_sel_hi:[1,1,0] neg_lo:[0,0,1] neg_hi:[0,0,1]
	v_pk_fma_f32 v[86:87], v[102:103], v[82:83], v[86:87] op_sel:[0,0,1] op_sel_hi:[1,0,0]
	ds_load_2addr_b64 v[100:103], v118 offset0:50 offset1:51
	v_mov_b32_e32 v97, v87
	s_delay_alu instid0(VALU_DEP_1) | instskip(SKIP_3) | instid1(VALU_DEP_2)
	v_pk_add_f32 v[194:195], v[194:195], v[96:97] neg_lo:[0,1] neg_hi:[0,1]
	s_wait_dscnt 0x0
	v_pk_mul_f32 v[86:87], v[100:101], v[84:85] op_sel:[0,1]
	v_pk_mul_f32 v[84:85], v[102:103], v[84:85] op_sel:[0,1]
	v_pk_fma_f32 v[96:97], v[100:101], v[82:83], v[86:87] op_sel:[0,0,1] op_sel_hi:[1,1,0] neg_lo:[0,0,1] neg_hi:[0,0,1]
	v_pk_fma_f32 v[86:87], v[100:101], v[82:83], v[86:87] op_sel:[0,0,1] op_sel_hi:[1,0,0]
	s_delay_alu instid0(VALU_DEP_1) | instskip(NEXT) | instid1(VALU_DEP_4)
	v_mov_b32_e32 v97, v87
	v_pk_fma_f32 v[86:87], v[102:103], v[82:83], v[84:85] op_sel:[0,0,1] op_sel_hi:[1,1,0] neg_lo:[0,0,1] neg_hi:[0,0,1]
	v_pk_fma_f32 v[82:83], v[102:103], v[82:83], v[84:85] op_sel:[0,0,1] op_sel_hi:[1,0,0]
	s_delay_alu instid0(VALU_DEP_3) | instskip(NEXT) | instid1(VALU_DEP_2)
	v_pk_add_f32 v[206:207], v[206:207], v[96:97] neg_lo:[0,1] neg_hi:[0,1]
	v_mov_b32_e32 v87, v83
	s_delay_alu instid0(VALU_DEP_1)
	v_pk_add_f32 v[208:209], v[208:209], v[86:87] neg_lo:[0,1] neg_hi:[0,1]
.LBB103_397:
	s_or_b32 exec_lo, exec_lo, s1
	s_delay_alu instid0(SALU_CYCLE_1)
	s_mov_b32 s2, exec_lo
	s_wait_dscnt 0x0
	s_barrier_signal -1
	s_barrier_wait -1
	v_cmpx_eq_u32_e32 44, v116
	s_cbranch_execz .LBB103_404
; %bb.398:
	ds_store_b64 v117, v[204:205]
	ds_store_2addr_b64 v118, v[198:199], v[202:203] offset0:45 offset1:46
	ds_store_2addr_b64 v118, v[196:197], v[200:201] offset0:47 offset1:48
	;; [unrolled: 1-line block ×3, first 2 shown]
	ds_store_b64 v118, v[208:209] offset:408
	ds_load_b64 v[82:83], v117
	s_wait_dscnt 0x0
	v_cmp_neq_f32_e32 vcc_lo, 0, v82
	v_cmp_neq_f32_e64 s1, 0, v83
	s_or_b32 s1, vcc_lo, s1
	s_delay_alu instid0(SALU_CYCLE_1)
	s_and_b32 exec_lo, exec_lo, s1
	s_cbranch_execz .LBB103_404
; %bb.399:
	v_cmp_ngt_f32_e64 s1, |v82|, |v83|
                                        ; implicit-def: $vgpr84_vgpr85
	s_and_saveexec_b32 s4, s1
	s_delay_alu instid0(SALU_CYCLE_1)
	s_xor_b32 s1, exec_lo, s4
	s_cbranch_execz .LBB103_401
; %bb.400:
	v_div_scale_f32 v84, null, v83, v83, v82
	v_div_scale_f32 v87, vcc_lo, v82, v83, v82
	s_delay_alu instid0(VALU_DEP_2) | instskip(SKIP_1) | instid1(TRANS32_DEP_1)
	v_rcp_f32_e32 v85, v84
	v_nop
	v_fma_f32 v86, -v84, v85, 1.0
	s_delay_alu instid0(VALU_DEP_1) | instskip(NEXT) | instid1(VALU_DEP_1)
	v_fmac_f32_e32 v85, v86, v85
	v_mul_f32_e32 v86, v87, v85
	s_delay_alu instid0(VALU_DEP_1) | instskip(NEXT) | instid1(VALU_DEP_1)
	v_fma_f32 v96, -v84, v86, v87
	v_fmac_f32_e32 v86, v96, v85
	s_delay_alu instid0(VALU_DEP_1) | instskip(NEXT) | instid1(VALU_DEP_1)
	v_fma_f32 v84, -v84, v86, v87
	v_div_fmas_f32 v84, v84, v85, v86
	s_delay_alu instid0(VALU_DEP_1) | instskip(NEXT) | instid1(VALU_DEP_1)
	v_div_fixup_f32 v84, v84, v83, v82
	v_fmac_f32_e32 v83, v82, v84
	s_delay_alu instid0(VALU_DEP_1) | instskip(SKIP_1) | instid1(VALU_DEP_2)
	v_div_scale_f32 v82, null, v83, v83, 1.0
	v_div_scale_f32 v87, vcc_lo, 1.0, v83, 1.0
	v_rcp_f32_e32 v85, v82
	v_nop
	s_delay_alu instid0(TRANS32_DEP_1) | instskip(NEXT) | instid1(VALU_DEP_1)
	v_fma_f32 v86, -v82, v85, 1.0
	v_fmac_f32_e32 v85, v86, v85
	s_delay_alu instid0(VALU_DEP_1) | instskip(NEXT) | instid1(VALU_DEP_1)
	v_mul_f32_e32 v86, v87, v85
	v_fma_f32 v96, -v82, v86, v87
	s_delay_alu instid0(VALU_DEP_1) | instskip(NEXT) | instid1(VALU_DEP_1)
	v_fmac_f32_e32 v86, v96, v85
	v_fma_f32 v82, -v82, v86, v87
	s_delay_alu instid0(VALU_DEP_1) | instskip(NEXT) | instid1(VALU_DEP_1)
	v_div_fmas_f32 v82, v82, v85, v86
	v_div_fixup_f32 v82, v82, v83, 1.0
	s_delay_alu instid0(VALU_DEP_1)
	v_mul_f32_e32 v84, v84, v82
	v_xor_b32_e32 v85, 0x80000000, v82
                                        ; implicit-def: $vgpr82_vgpr83
.LBB103_401:
	s_and_not1_saveexec_b32 s1, s1
	s_cbranch_execz .LBB103_403
; %bb.402:
	v_div_scale_f32 v84, null, v82, v82, v83
	v_div_scale_f32 v87, vcc_lo, v83, v82, v83
	s_delay_alu instid0(VALU_DEP_2) | instskip(SKIP_1) | instid1(TRANS32_DEP_1)
	v_rcp_f32_e32 v85, v84
	v_nop
	v_fma_f32 v86, -v84, v85, 1.0
	s_delay_alu instid0(VALU_DEP_1) | instskip(NEXT) | instid1(VALU_DEP_1)
	v_fmac_f32_e32 v85, v86, v85
	v_mul_f32_e32 v86, v87, v85
	s_delay_alu instid0(VALU_DEP_1) | instskip(NEXT) | instid1(VALU_DEP_1)
	v_fma_f32 v96, -v84, v86, v87
	v_fmac_f32_e32 v86, v96, v85
	s_delay_alu instid0(VALU_DEP_1) | instskip(NEXT) | instid1(VALU_DEP_1)
	v_fma_f32 v84, -v84, v86, v87
	v_div_fmas_f32 v84, v84, v85, v86
	s_delay_alu instid0(VALU_DEP_1) | instskip(NEXT) | instid1(VALU_DEP_1)
	v_div_fixup_f32 v85, v84, v82, v83
	v_fmac_f32_e32 v82, v83, v85
	s_delay_alu instid0(VALU_DEP_1) | instskip(NEXT) | instid1(VALU_DEP_1)
	v_div_scale_f32 v83, null, v82, v82, 1.0
	v_rcp_f32_e32 v84, v83
	v_nop
	s_delay_alu instid0(TRANS32_DEP_1) | instskip(NEXT) | instid1(VALU_DEP_1)
	v_fma_f32 v86, -v83, v84, 1.0
	v_fmac_f32_e32 v84, v86, v84
	v_div_scale_f32 v86, vcc_lo, 1.0, v82, 1.0
	s_delay_alu instid0(VALU_DEP_1) | instskip(NEXT) | instid1(VALU_DEP_1)
	v_mul_f32_e32 v87, v86, v84
	v_fma_f32 v96, -v83, v87, v86
	s_delay_alu instid0(VALU_DEP_1) | instskip(NEXT) | instid1(VALU_DEP_1)
	v_fmac_f32_e32 v87, v96, v84
	v_fma_f32 v83, -v83, v87, v86
	s_delay_alu instid0(VALU_DEP_1) | instskip(NEXT) | instid1(VALU_DEP_1)
	v_div_fmas_f32 v83, v83, v84, v87
	v_div_fixup_f32 v84, v83, v82, 1.0
	s_delay_alu instid0(VALU_DEP_1)
	v_mul_f32_e64 v85, v85, -v84
.LBB103_403:
	s_or_b32 exec_lo, exec_lo, s1
	ds_store_b64 v117, v[84:85]
.LBB103_404:
	s_or_b32 exec_lo, exec_lo, s2
	s_wait_dscnt 0x0
	s_barrier_signal -1
	s_barrier_wait -1
	ds_load_b64 v[82:83], v117
	s_mov_b32 s1, exec_lo
	v_cmpx_lt_u32_e32 44, v116
	s_cbranch_execz .LBB103_406
; %bb.405:
	ds_load_2addr_b64 v[100:103], v118 offset0:45 offset1:46
	s_wait_dscnt 0x1
	v_pk_mul_f32 v[86:87], v[82:83], v[204:205] op_sel:[1,1] op_sel_hi:[0,1]
	s_delay_alu instid0(VALU_DEP_1) | instskip(SKIP_1) | instid1(VALU_DEP_1)
	v_pk_fma_f32 v[84:85], v[82:83], v[204:205], v[86:87] op_sel_hi:[1,0,1] neg_lo:[0,0,1] neg_hi:[0,0,1]
	v_pk_fma_f32 v[86:87], v[82:83], v[204:205], v[86:87] op_sel_hi:[1,0,1]
	v_dual_mov_b32 v204, v84 :: v_dual_mov_b32 v205, v87
	s_wait_dscnt 0x0
	s_delay_alu instid0(VALU_DEP_2) | instskip(NEXT) | instid1(VALU_DEP_1)
	v_pk_mul_f32 v[96:97], v[100:101], v[86:87] op_sel:[0,1]
	v_pk_fma_f32 v[104:105], v[100:101], v[84:85], v[96:97] op_sel:[0,0,1] op_sel_hi:[1,1,0] neg_lo:[0,0,1] neg_hi:[0,0,1]
	v_pk_fma_f32 v[96:97], v[100:101], v[84:85], v[96:97] op_sel:[0,0,1] op_sel_hi:[1,0,0]
	s_delay_alu instid0(VALU_DEP_1) | instskip(SKIP_1) | instid1(VALU_DEP_1)
	v_mov_b32_e32 v105, v97
	v_pk_mul_f32 v[96:97], v[102:103], v[86:87] op_sel:[0,1]
	v_pk_fma_f32 v[100:101], v[102:103], v[84:85], v[96:97] op_sel:[0,0,1] op_sel_hi:[1,1,0] neg_lo:[0,0,1] neg_hi:[0,0,1]
	v_pk_fma_f32 v[96:97], v[102:103], v[84:85], v[96:97] op_sel:[0,0,1] op_sel_hi:[1,0,0]
	s_delay_alu instid0(VALU_DEP_1) | instskip(SKIP_1) | instid1(VALU_DEP_2)
	v_mov_b32_e32 v101, v97
	v_pk_add_f32 v[198:199], v[198:199], v[104:105] neg_lo:[0,1] neg_hi:[0,1]
	v_pk_add_f32 v[202:203], v[202:203], v[100:101] neg_lo:[0,1] neg_hi:[0,1]
	ds_load_2addr_b64 v[100:103], v118 offset0:47 offset1:48
	s_wait_dscnt 0x0
	v_pk_mul_f32 v[96:97], v[100:101], v[86:87] op_sel:[0,1]
	s_delay_alu instid0(VALU_DEP_1) | instskip(SKIP_2) | instid1(VALU_DEP_2)
	v_pk_fma_f32 v[104:105], v[100:101], v[84:85], v[96:97] op_sel:[0,0,1] op_sel_hi:[1,1,0] neg_lo:[0,0,1] neg_hi:[0,0,1]
	v_pk_fma_f32 v[96:97], v[100:101], v[84:85], v[96:97] op_sel:[0,0,1] op_sel_hi:[1,0,0]
	v_dual_mul_f32 v100, v103, v87 :: v_dual_mov_b32 v96, v103
	v_dual_mov_b32 v105, v97 :: v_dual_mov_b32 v97, v102
	s_delay_alu instid0(VALU_DEP_2) | instskip(SKIP_1) | instid1(VALU_DEP_3)
	v_pk_fma_f32 v[100:101], v[102:103], v[204:205], v[100:101] op_sel_hi:[1,1,0] neg_lo:[0,0,1] neg_hi:[0,0,1]
	v_mul_f32_e32 v102, v103, v84
	v_pk_add_f32 v[196:197], v[196:197], v[104:105] neg_lo:[0,1] neg_hi:[0,1]
	s_delay_alu instid0(VALU_DEP_2) | instskip(NEXT) | instid1(VALU_DEP_1)
	v_pk_fma_f32 v[96:97], v[96:97], v[204:205], v[102:103] op_sel_hi:[1,1,0]
	v_mov_b32_e32 v101, v97
	s_delay_alu instid0(VALU_DEP_1) | instskip(SKIP_3) | instid1(VALU_DEP_1)
	v_pk_add_f32 v[200:201], v[200:201], v[100:101] neg_lo:[0,1] neg_hi:[0,1]
	ds_load_2addr_b64 v[100:103], v118 offset0:49 offset1:50
	s_wait_dscnt 0x0
	v_pk_mul_f32 v[96:97], v[100:101], v[86:87] op_sel:[0,1]
	v_pk_fma_f32 v[104:105], v[100:101], v[84:85], v[96:97] op_sel:[0,0,1] op_sel_hi:[1,1,0] neg_lo:[0,0,1] neg_hi:[0,0,1]
	v_pk_fma_f32 v[96:97], v[100:101], v[84:85], v[96:97] op_sel:[0,0,1] op_sel_hi:[1,0,0]
	s_delay_alu instid0(VALU_DEP_1) | instskip(SKIP_1) | instid1(VALU_DEP_1)
	v_mov_b32_e32 v105, v97
	v_pk_mul_f32 v[96:97], v[102:103], v[86:87] op_sel:[0,1]
	v_pk_fma_f32 v[100:101], v[102:103], v[84:85], v[96:97] op_sel:[0,0,1] op_sel_hi:[1,1,0] neg_lo:[0,0,1] neg_hi:[0,0,1]
	v_pk_fma_f32 v[96:97], v[102:103], v[84:85], v[96:97] op_sel:[0,0,1] op_sel_hi:[1,0,0]
	s_delay_alu instid0(VALU_DEP_1)
	v_mov_b32_e32 v101, v97
	ds_load_b64 v[96:97], v118 offset:408
	v_pk_add_f32 v[194:195], v[194:195], v[104:105] neg_lo:[0,1] neg_hi:[0,1]
	v_pk_add_f32 v[206:207], v[206:207], v[100:101] neg_lo:[0,1] neg_hi:[0,1]
	s_wait_dscnt 0x0
	v_pk_mul_f32 v[86:87], v[96:97], v[86:87] op_sel:[0,1]
	s_delay_alu instid0(VALU_DEP_1) | instskip(SKIP_1) | instid1(VALU_DEP_1)
	v_pk_fma_f32 v[100:101], v[96:97], v[84:85], v[86:87] op_sel:[0,0,1] op_sel_hi:[1,1,0] neg_lo:[0,0,1] neg_hi:[0,0,1]
	v_pk_fma_f32 v[84:85], v[96:97], v[84:85], v[86:87] op_sel:[0,0,1] op_sel_hi:[1,0,0]
	v_mov_b32_e32 v101, v85
	s_delay_alu instid0(VALU_DEP_1)
	v_pk_add_f32 v[208:209], v[208:209], v[100:101] neg_lo:[0,1] neg_hi:[0,1]
.LBB103_406:
	s_or_b32 exec_lo, exec_lo, s1
	s_delay_alu instid0(SALU_CYCLE_1)
	s_mov_b32 s2, exec_lo
	s_wait_dscnt 0x0
	s_barrier_signal -1
	s_barrier_wait -1
	v_cmpx_eq_u32_e32 45, v116
	s_cbranch_execz .LBB103_413
; %bb.407:
	v_dual_mov_b32 v84, v202 :: v_dual_mov_b32 v85, v203
	v_dual_mov_b32 v86, v196 :: v_dual_mov_b32 v87, v197
	ds_store_b64 v117, v[198:199]
	ds_store_2addr_b64 v118, v[84:85], v[86:87] offset0:46 offset1:47
	v_dual_mov_b32 v84, v200 :: v_dual_mov_b32 v85, v201
	v_dual_mov_b32 v86, v194 :: v_dual_mov_b32 v87, v195
	ds_store_2addr_b64 v118, v[84:85], v[86:87] offset0:48 offset1:49
	v_dual_mov_b32 v84, v206 :: v_dual_mov_b32 v85, v207
	ds_store_2addr_b64 v118, v[84:85], v[208:209] offset0:50 offset1:51
	ds_load_b64 v[84:85], v117
	s_wait_dscnt 0x0
	v_cmp_neq_f32_e32 vcc_lo, 0, v84
	v_cmp_neq_f32_e64 s1, 0, v85
	s_or_b32 s1, vcc_lo, s1
	s_delay_alu instid0(SALU_CYCLE_1)
	s_and_b32 exec_lo, exec_lo, s1
	s_cbranch_execz .LBB103_413
; %bb.408:
	v_cmp_ngt_f32_e64 s1, |v84|, |v85|
                                        ; implicit-def: $vgpr86_vgpr87
	s_and_saveexec_b32 s4, s1
	s_delay_alu instid0(SALU_CYCLE_1)
	s_xor_b32 s1, exec_lo, s4
	s_cbranch_execz .LBB103_410
; %bb.409:
	v_div_scale_f32 v86, null, v85, v85, v84
	v_div_scale_f32 v97, vcc_lo, v84, v85, v84
	s_delay_alu instid0(VALU_DEP_2) | instskip(SKIP_1) | instid1(TRANS32_DEP_1)
	v_rcp_f32_e32 v87, v86
	v_nop
	v_fma_f32 v96, -v86, v87, 1.0
	s_delay_alu instid0(VALU_DEP_1) | instskip(NEXT) | instid1(VALU_DEP_1)
	v_fmac_f32_e32 v87, v96, v87
	v_mul_f32_e32 v96, v97, v87
	s_delay_alu instid0(VALU_DEP_1) | instskip(NEXT) | instid1(VALU_DEP_1)
	v_fma_f32 v100, -v86, v96, v97
	v_fmac_f32_e32 v96, v100, v87
	s_delay_alu instid0(VALU_DEP_1) | instskip(NEXT) | instid1(VALU_DEP_1)
	v_fma_f32 v86, -v86, v96, v97
	v_div_fmas_f32 v86, v86, v87, v96
	s_delay_alu instid0(VALU_DEP_1) | instskip(NEXT) | instid1(VALU_DEP_1)
	v_div_fixup_f32 v86, v86, v85, v84
	v_fmac_f32_e32 v85, v84, v86
	s_delay_alu instid0(VALU_DEP_1) | instskip(SKIP_1) | instid1(VALU_DEP_2)
	v_div_scale_f32 v84, null, v85, v85, 1.0
	v_div_scale_f32 v97, vcc_lo, 1.0, v85, 1.0
	v_rcp_f32_e32 v87, v84
	v_nop
	s_delay_alu instid0(TRANS32_DEP_1) | instskip(NEXT) | instid1(VALU_DEP_1)
	v_fma_f32 v96, -v84, v87, 1.0
	v_fmac_f32_e32 v87, v96, v87
	s_delay_alu instid0(VALU_DEP_1) | instskip(NEXT) | instid1(VALU_DEP_1)
	v_mul_f32_e32 v96, v97, v87
	v_fma_f32 v100, -v84, v96, v97
	s_delay_alu instid0(VALU_DEP_1) | instskip(NEXT) | instid1(VALU_DEP_1)
	v_fmac_f32_e32 v96, v100, v87
	v_fma_f32 v84, -v84, v96, v97
	s_delay_alu instid0(VALU_DEP_1) | instskip(NEXT) | instid1(VALU_DEP_1)
	v_div_fmas_f32 v84, v84, v87, v96
	v_div_fixup_f32 v84, v84, v85, 1.0
	s_delay_alu instid0(VALU_DEP_1)
	v_mul_f32_e32 v86, v86, v84
	v_xor_b32_e32 v87, 0x80000000, v84
                                        ; implicit-def: $vgpr84_vgpr85
.LBB103_410:
	s_and_not1_saveexec_b32 s1, s1
	s_cbranch_execz .LBB103_412
; %bb.411:
	v_div_scale_f32 v86, null, v84, v84, v85
	v_div_scale_f32 v97, vcc_lo, v85, v84, v85
	s_delay_alu instid0(VALU_DEP_2) | instskip(SKIP_1) | instid1(TRANS32_DEP_1)
	v_rcp_f32_e32 v87, v86
	v_nop
	v_fma_f32 v96, -v86, v87, 1.0
	s_delay_alu instid0(VALU_DEP_1) | instskip(NEXT) | instid1(VALU_DEP_1)
	v_fmac_f32_e32 v87, v96, v87
	v_mul_f32_e32 v96, v97, v87
	s_delay_alu instid0(VALU_DEP_1) | instskip(NEXT) | instid1(VALU_DEP_1)
	v_fma_f32 v100, -v86, v96, v97
	v_fmac_f32_e32 v96, v100, v87
	s_delay_alu instid0(VALU_DEP_1) | instskip(NEXT) | instid1(VALU_DEP_1)
	v_fma_f32 v86, -v86, v96, v97
	v_div_fmas_f32 v86, v86, v87, v96
	s_delay_alu instid0(VALU_DEP_1) | instskip(NEXT) | instid1(VALU_DEP_1)
	v_div_fixup_f32 v87, v86, v84, v85
	v_fmac_f32_e32 v84, v85, v87
	s_delay_alu instid0(VALU_DEP_1) | instskip(NEXT) | instid1(VALU_DEP_1)
	v_div_scale_f32 v85, null, v84, v84, 1.0
	v_rcp_f32_e32 v86, v85
	v_nop
	s_delay_alu instid0(TRANS32_DEP_1) | instskip(NEXT) | instid1(VALU_DEP_1)
	v_fma_f32 v96, -v85, v86, 1.0
	v_fmac_f32_e32 v86, v96, v86
	v_div_scale_f32 v96, vcc_lo, 1.0, v84, 1.0
	s_delay_alu instid0(VALU_DEP_1) | instskip(NEXT) | instid1(VALU_DEP_1)
	v_mul_f32_e32 v97, v96, v86
	v_fma_f32 v100, -v85, v97, v96
	s_delay_alu instid0(VALU_DEP_1) | instskip(NEXT) | instid1(VALU_DEP_1)
	v_fmac_f32_e32 v97, v100, v86
	v_fma_f32 v85, -v85, v97, v96
	s_delay_alu instid0(VALU_DEP_1) | instskip(NEXT) | instid1(VALU_DEP_1)
	v_div_fmas_f32 v85, v85, v86, v97
	v_div_fixup_f32 v86, v85, v84, 1.0
	s_delay_alu instid0(VALU_DEP_1)
	v_mul_f32_e64 v87, v87, -v86
.LBB103_412:
	s_or_b32 exec_lo, exec_lo, s1
	ds_store_b64 v117, v[86:87]
.LBB103_413:
	s_or_b32 exec_lo, exec_lo, s2
	s_wait_dscnt 0x0
	s_barrier_signal -1
	s_barrier_wait -1
	ds_load_b64 v[84:85], v117
	s_mov_b32 s1, exec_lo
	v_cmpx_lt_u32_e32 45, v116
	s_cbranch_execz .LBB103_415
; %bb.414:
	ds_load_2addr_b64 v[100:103], v118 offset0:46 offset1:47
	s_wait_dscnt 0x1
	v_pk_mul_f32 v[86:87], v[84:85], v[198:199] op_sel:[1,1] op_sel_hi:[0,1]
	s_delay_alu instid0(VALU_DEP_1) | instskip(SKIP_1) | instid1(VALU_DEP_1)
	v_pk_fma_f32 v[96:97], v[84:85], v[198:199], v[86:87] op_sel_hi:[1,0,1] neg_lo:[0,0,1] neg_hi:[0,0,1]
	v_pk_fma_f32 v[86:87], v[84:85], v[198:199], v[86:87] op_sel_hi:[1,0,1]
	v_dual_mov_b32 v198, v96 :: v_dual_mov_b32 v199, v87
	s_wait_dscnt 0x0
	s_delay_alu instid0(VALU_DEP_2) | instskip(NEXT) | instid1(VALU_DEP_1)
	v_pk_mul_f32 v[104:105], v[100:101], v[86:87] op_sel:[0,1]
	v_pk_fma_f32 v[114:115], v[100:101], v[96:97], v[104:105] op_sel:[0,0,1] op_sel_hi:[1,1,0] neg_lo:[0,0,1] neg_hi:[0,0,1]
	v_pk_fma_f32 v[100:101], v[100:101], v[96:97], v[104:105] op_sel:[0,0,1] op_sel_hi:[1,0,0]
	s_delay_alu instid0(VALU_DEP_1) | instskip(SKIP_1) | instid1(VALU_DEP_1)
	v_mov_b32_e32 v115, v101
	v_pk_mul_f32 v[100:101], v[102:103], v[86:87] op_sel:[0,1]
	v_pk_fma_f32 v[104:105], v[102:103], v[96:97], v[100:101] op_sel:[0,0,1] op_sel_hi:[1,1,0] neg_lo:[0,0,1] neg_hi:[0,0,1]
	v_pk_fma_f32 v[100:101], v[102:103], v[96:97], v[100:101] op_sel:[0,0,1] op_sel_hi:[1,0,0]
	s_delay_alu instid0(VALU_DEP_1)
	v_mov_b32_e32 v105, v101
	ds_load_2addr_b64 v[100:103], v118 offset0:48 offset1:49
	v_pk_add_f32 v[202:203], v[202:203], v[114:115] neg_lo:[0,1] neg_hi:[0,1]
	v_pk_add_f32 v[196:197], v[196:197], v[104:105] neg_lo:[0,1] neg_hi:[0,1]
	s_wait_dscnt 0x0
	v_pk_mul_f32 v[104:105], v[100:101], v[86:87] op_sel:[0,1]
	s_delay_alu instid0(VALU_DEP_1) | instskip(SKIP_2) | instid1(VALU_DEP_2)
	v_pk_fma_f32 v[114:115], v[100:101], v[96:97], v[104:105] op_sel:[0,0,1] op_sel_hi:[1,1,0] neg_lo:[0,0,1] neg_hi:[0,0,1]
	v_pk_fma_f32 v[100:101], v[100:101], v[96:97], v[104:105] op_sel:[0,0,1] op_sel_hi:[1,0,0]
	v_dual_mul_f32 v104, v103, v87 :: v_dual_mov_b32 v100, v103
	v_dual_mov_b32 v115, v101 :: v_dual_mov_b32 v101, v102
	s_delay_alu instid0(VALU_DEP_2) | instskip(SKIP_1) | instid1(VALU_DEP_3)
	v_pk_fma_f32 v[104:105], v[102:103], v[198:199], v[104:105] op_sel_hi:[1,1,0] neg_lo:[0,0,1] neg_hi:[0,0,1]
	v_mul_f32_e32 v102, v103, v96
	v_pk_add_f32 v[200:201], v[200:201], v[114:115] neg_lo:[0,1] neg_hi:[0,1]
	s_delay_alu instid0(VALU_DEP_2) | instskip(NEXT) | instid1(VALU_DEP_1)
	v_pk_fma_f32 v[100:101], v[100:101], v[198:199], v[102:103] op_sel_hi:[1,1,0]
	v_mov_b32_e32 v105, v101
	ds_load_2addr_b64 v[100:103], v118 offset0:50 offset1:51
	v_pk_add_f32 v[194:195], v[194:195], v[104:105] neg_lo:[0,1] neg_hi:[0,1]
	s_wait_dscnt 0x0
	v_pk_mul_f32 v[104:105], v[100:101], v[86:87] op_sel:[0,1]
	v_mul_f32_e32 v86, v103, v87
	s_delay_alu instid0(VALU_DEP_2) | instskip(SKIP_2) | instid1(VALU_DEP_4)
	v_pk_fma_f32 v[114:115], v[100:101], v[96:97], v[104:105] op_sel:[0,0,1] op_sel_hi:[1,1,0] neg_lo:[0,0,1] neg_hi:[0,0,1]
	v_pk_fma_f32 v[100:101], v[100:101], v[96:97], v[104:105] op_sel:[0,0,1] op_sel_hi:[1,0,0]
	v_dual_mov_b32 v100, v103 :: v_dual_mul_f32 v96, v103, v96
	v_pk_fma_f32 v[86:87], v[102:103], v[198:199], v[86:87] op_sel_hi:[1,1,0] neg_lo:[0,0,1] neg_hi:[0,0,1]
	s_delay_alu instid0(VALU_DEP_3) | instskip(NEXT) | instid1(VALU_DEP_1)
	v_dual_mov_b32 v115, v101 :: v_dual_mov_b32 v101, v102
	v_pk_add_f32 v[206:207], v[206:207], v[114:115] neg_lo:[0,1] neg_hi:[0,1]
	s_delay_alu instid0(VALU_DEP_2) | instskip(NEXT) | instid1(VALU_DEP_1)
	v_pk_fma_f32 v[96:97], v[100:101], v[198:199], v[96:97] op_sel_hi:[1,1,0]
	v_mov_b32_e32 v87, v97
	s_delay_alu instid0(VALU_DEP_1)
	v_pk_add_f32 v[208:209], v[208:209], v[86:87] neg_lo:[0,1] neg_hi:[0,1]
.LBB103_415:
	s_or_b32 exec_lo, exec_lo, s1
	s_delay_alu instid0(SALU_CYCLE_1)
	s_mov_b32 s2, exec_lo
	s_wait_dscnt 0x0
	s_barrier_signal -1
	s_barrier_wait -1
	v_cmpx_eq_u32_e32 46, v116
	s_cbranch_execz .LBB103_422
; %bb.416:
	ds_store_b64 v117, v[202:203]
	ds_store_2addr_b64 v118, v[196:197], v[200:201] offset0:47 offset1:48
	ds_store_2addr_b64 v118, v[194:195], v[206:207] offset0:49 offset1:50
	ds_store_b64 v118, v[208:209] offset:408
	ds_load_b64 v[86:87], v117
	s_wait_dscnt 0x0
	v_cmp_neq_f32_e32 vcc_lo, 0, v86
	v_cmp_neq_f32_e64 s1, 0, v87
	s_or_b32 s1, vcc_lo, s1
	s_delay_alu instid0(SALU_CYCLE_1)
	s_and_b32 exec_lo, exec_lo, s1
	s_cbranch_execz .LBB103_422
; %bb.417:
	v_cmp_ngt_f32_e64 s1, |v86|, |v87|
                                        ; implicit-def: $vgpr96_vgpr97
	s_and_saveexec_b32 s4, s1
	s_delay_alu instid0(SALU_CYCLE_1)
	s_xor_b32 s1, exec_lo, s4
	s_cbranch_execz .LBB103_419
; %bb.418:
	v_div_scale_f32 v96, null, v87, v87, v86
	v_div_scale_f32 v101, vcc_lo, v86, v87, v86
	s_delay_alu instid0(VALU_DEP_2) | instskip(SKIP_1) | instid1(TRANS32_DEP_1)
	v_rcp_f32_e32 v97, v96
	v_nop
	v_fma_f32 v100, -v96, v97, 1.0
	s_delay_alu instid0(VALU_DEP_1) | instskip(NEXT) | instid1(VALU_DEP_1)
	v_fmac_f32_e32 v97, v100, v97
	v_mul_f32_e32 v100, v101, v97
	s_delay_alu instid0(VALU_DEP_1) | instskip(NEXT) | instid1(VALU_DEP_1)
	v_fma_f32 v102, -v96, v100, v101
	v_fmac_f32_e32 v100, v102, v97
	s_delay_alu instid0(VALU_DEP_1) | instskip(NEXT) | instid1(VALU_DEP_1)
	v_fma_f32 v96, -v96, v100, v101
	v_div_fmas_f32 v96, v96, v97, v100
	s_delay_alu instid0(VALU_DEP_1) | instskip(NEXT) | instid1(VALU_DEP_1)
	v_div_fixup_f32 v96, v96, v87, v86
	v_fmac_f32_e32 v87, v86, v96
	s_delay_alu instid0(VALU_DEP_1) | instskip(SKIP_1) | instid1(VALU_DEP_2)
	v_div_scale_f32 v86, null, v87, v87, 1.0
	v_div_scale_f32 v101, vcc_lo, 1.0, v87, 1.0
	v_rcp_f32_e32 v97, v86
	v_nop
	s_delay_alu instid0(TRANS32_DEP_1) | instskip(NEXT) | instid1(VALU_DEP_1)
	v_fma_f32 v100, -v86, v97, 1.0
	v_fmac_f32_e32 v97, v100, v97
	s_delay_alu instid0(VALU_DEP_1) | instskip(NEXT) | instid1(VALU_DEP_1)
	v_mul_f32_e32 v100, v101, v97
	v_fma_f32 v102, -v86, v100, v101
	s_delay_alu instid0(VALU_DEP_1) | instskip(NEXT) | instid1(VALU_DEP_1)
	v_fmac_f32_e32 v100, v102, v97
	v_fma_f32 v86, -v86, v100, v101
	s_delay_alu instid0(VALU_DEP_1) | instskip(NEXT) | instid1(VALU_DEP_1)
	v_div_fmas_f32 v86, v86, v97, v100
	v_div_fixup_f32 v86, v86, v87, 1.0
	s_delay_alu instid0(VALU_DEP_1)
	v_mul_f32_e32 v96, v96, v86
	v_xor_b32_e32 v97, 0x80000000, v86
                                        ; implicit-def: $vgpr86_vgpr87
.LBB103_419:
	s_and_not1_saveexec_b32 s1, s1
	s_cbranch_execz .LBB103_421
; %bb.420:
	v_div_scale_f32 v96, null, v86, v86, v87
	v_div_scale_f32 v101, vcc_lo, v87, v86, v87
	s_delay_alu instid0(VALU_DEP_2) | instskip(SKIP_1) | instid1(TRANS32_DEP_1)
	v_rcp_f32_e32 v97, v96
	v_nop
	v_fma_f32 v100, -v96, v97, 1.0
	s_delay_alu instid0(VALU_DEP_1) | instskip(NEXT) | instid1(VALU_DEP_1)
	v_fmac_f32_e32 v97, v100, v97
	v_mul_f32_e32 v100, v101, v97
	s_delay_alu instid0(VALU_DEP_1) | instskip(NEXT) | instid1(VALU_DEP_1)
	v_fma_f32 v102, -v96, v100, v101
	v_fmac_f32_e32 v100, v102, v97
	s_delay_alu instid0(VALU_DEP_1) | instskip(NEXT) | instid1(VALU_DEP_1)
	v_fma_f32 v96, -v96, v100, v101
	v_div_fmas_f32 v96, v96, v97, v100
	s_delay_alu instid0(VALU_DEP_1) | instskip(NEXT) | instid1(VALU_DEP_1)
	v_div_fixup_f32 v97, v96, v86, v87
	v_fmac_f32_e32 v86, v87, v97
	s_delay_alu instid0(VALU_DEP_1) | instskip(NEXT) | instid1(VALU_DEP_1)
	v_div_scale_f32 v87, null, v86, v86, 1.0
	v_rcp_f32_e32 v96, v87
	v_nop
	s_delay_alu instid0(TRANS32_DEP_1) | instskip(NEXT) | instid1(VALU_DEP_1)
	v_fma_f32 v100, -v87, v96, 1.0
	v_fmac_f32_e32 v96, v100, v96
	v_div_scale_f32 v100, vcc_lo, 1.0, v86, 1.0
	s_delay_alu instid0(VALU_DEP_1) | instskip(NEXT) | instid1(VALU_DEP_1)
	v_mul_f32_e32 v101, v100, v96
	v_fma_f32 v102, -v87, v101, v100
	s_delay_alu instid0(VALU_DEP_1) | instskip(NEXT) | instid1(VALU_DEP_1)
	v_fmac_f32_e32 v101, v102, v96
	v_fma_f32 v87, -v87, v101, v100
	s_delay_alu instid0(VALU_DEP_1) | instskip(NEXT) | instid1(VALU_DEP_1)
	v_div_fmas_f32 v87, v87, v96, v101
	v_div_fixup_f32 v96, v87, v86, 1.0
	s_delay_alu instid0(VALU_DEP_1)
	v_mul_f32_e64 v97, v97, -v96
.LBB103_421:
	s_or_b32 exec_lo, exec_lo, s1
	ds_store_b64 v117, v[96:97]
.LBB103_422:
	s_or_b32 exec_lo, exec_lo, s2
	s_wait_dscnt 0x0
	s_barrier_signal -1
	s_barrier_wait -1
	ds_load_b64 v[86:87], v117
	s_mov_b32 s1, exec_lo
	v_cmpx_lt_u32_e32 46, v116
	s_cbranch_execz .LBB103_424
; %bb.423:
	ds_load_2addr_b64 v[100:103], v118 offset0:47 offset1:48
	s_wait_dscnt 0x1
	v_pk_mul_f32 v[96:97], v[86:87], v[202:203] op_sel:[1,1] op_sel_hi:[0,1]
	s_delay_alu instid0(VALU_DEP_1) | instskip(SKIP_1) | instid1(VALU_DEP_1)
	v_pk_fma_f32 v[104:105], v[86:87], v[202:203], v[96:97] op_sel_hi:[1,0,1] neg_lo:[0,0,1] neg_hi:[0,0,1]
	v_pk_fma_f32 v[96:97], v[86:87], v[202:203], v[96:97] op_sel_hi:[1,0,1]
	v_dual_mov_b32 v202, v104 :: v_dual_mov_b32 v203, v97
	s_wait_dscnt 0x0
	s_delay_alu instid0(VALU_DEP_2) | instskip(NEXT) | instid1(VALU_DEP_1)
	v_pk_mul_f32 v[114:115], v[100:101], v[96:97] op_sel:[0,1]
	v_pk_fma_f32 v[130:131], v[100:101], v[104:105], v[114:115] op_sel:[0,0,1] op_sel_hi:[1,1,0] neg_lo:[0,0,1] neg_hi:[0,0,1]
	v_pk_fma_f32 v[100:101], v[100:101], v[104:105], v[114:115] op_sel:[0,0,1] op_sel_hi:[1,0,0]
	s_delay_alu instid0(VALU_DEP_1) | instskip(SKIP_1) | instid1(VALU_DEP_1)
	v_mov_b32_e32 v131, v101
	v_pk_mul_f32 v[100:101], v[102:103], v[96:97] op_sel:[0,1]
	v_pk_fma_f32 v[114:115], v[102:103], v[104:105], v[100:101] op_sel:[0,0,1] op_sel_hi:[1,1,0] neg_lo:[0,0,1] neg_hi:[0,0,1]
	v_pk_fma_f32 v[100:101], v[102:103], v[104:105], v[100:101] op_sel:[0,0,1] op_sel_hi:[1,0,0]
	s_delay_alu instid0(VALU_DEP_1)
	v_mov_b32_e32 v115, v101
	ds_load_2addr_b64 v[100:103], v118 offset0:49 offset1:50
	v_pk_add_f32 v[196:197], v[196:197], v[130:131] neg_lo:[0,1] neg_hi:[0,1]
	v_pk_add_f32 v[200:201], v[200:201], v[114:115] neg_lo:[0,1] neg_hi:[0,1]
	s_wait_dscnt 0x0
	v_pk_mul_f32 v[114:115], v[100:101], v[96:97] op_sel:[0,1]
	s_delay_alu instid0(VALU_DEP_1) | instskip(SKIP_2) | instid1(VALU_DEP_2)
	v_pk_fma_f32 v[130:131], v[100:101], v[104:105], v[114:115] op_sel:[0,0,1] op_sel_hi:[1,1,0] neg_lo:[0,0,1] neg_hi:[0,0,1]
	v_pk_fma_f32 v[100:101], v[100:101], v[104:105], v[114:115] op_sel:[0,0,1] op_sel_hi:[1,0,0]
	v_dual_mul_f32 v114, v103, v97 :: v_dual_mov_b32 v100, v103
	v_dual_mov_b32 v131, v101 :: v_dual_mov_b32 v101, v102
	s_delay_alu instid0(VALU_DEP_2) | instskip(SKIP_1) | instid1(VALU_DEP_3)
	v_pk_fma_f32 v[114:115], v[102:103], v[202:203], v[114:115] op_sel_hi:[1,1,0] neg_lo:[0,0,1] neg_hi:[0,0,1]
	v_mul_f32_e32 v102, v103, v104
	v_pk_add_f32 v[194:195], v[194:195], v[130:131] neg_lo:[0,1] neg_hi:[0,1]
	s_delay_alu instid0(VALU_DEP_2) | instskip(NEXT) | instid1(VALU_DEP_1)
	v_pk_fma_f32 v[100:101], v[100:101], v[202:203], v[102:103] op_sel_hi:[1,1,0]
	v_mov_b32_e32 v115, v101
	ds_load_b64 v[100:101], v118 offset:408
	v_pk_add_f32 v[206:207], v[206:207], v[114:115] neg_lo:[0,1] neg_hi:[0,1]
	s_wait_dscnt 0x0
	v_pk_mul_f32 v[96:97], v[100:101], v[96:97] op_sel:[0,1]
	s_delay_alu instid0(VALU_DEP_1) | instskip(SKIP_1) | instid1(VALU_DEP_1)
	v_pk_fma_f32 v[102:103], v[100:101], v[104:105], v[96:97] op_sel:[0,0,1] op_sel_hi:[1,1,0] neg_lo:[0,0,1] neg_hi:[0,0,1]
	v_pk_fma_f32 v[96:97], v[100:101], v[104:105], v[96:97] op_sel:[0,0,1] op_sel_hi:[1,0,0]
	v_mov_b32_e32 v103, v97
	s_delay_alu instid0(VALU_DEP_1)
	v_pk_add_f32 v[208:209], v[208:209], v[102:103] neg_lo:[0,1] neg_hi:[0,1]
.LBB103_424:
	s_or_b32 exec_lo, exec_lo, s1
	s_delay_alu instid0(SALU_CYCLE_1)
	s_mov_b32 s2, exec_lo
	s_wait_dscnt 0x0
	s_barrier_signal -1
	s_barrier_wait -1
	v_cmpx_eq_u32_e32 47, v116
	s_cbranch_execz .LBB103_431
; %bb.425:
	v_dual_mov_b32 v96, v200 :: v_dual_mov_b32 v97, v201
	v_dual_mov_b32 v100, v194 :: v_dual_mov_b32 v101, v195
	ds_store_b64 v117, v[196:197]
	ds_store_2addr_b64 v118, v[96:97], v[100:101] offset0:48 offset1:49
	v_dual_mov_b32 v96, v206 :: v_dual_mov_b32 v97, v207
	ds_store_2addr_b64 v118, v[96:97], v[208:209] offset0:50 offset1:51
	ds_load_b64 v[96:97], v117
	s_wait_dscnt 0x0
	v_cmp_neq_f32_e32 vcc_lo, 0, v96
	v_cmp_neq_f32_e64 s1, 0, v97
	s_or_b32 s1, vcc_lo, s1
	s_delay_alu instid0(SALU_CYCLE_1)
	s_and_b32 exec_lo, exec_lo, s1
	s_cbranch_execz .LBB103_431
; %bb.426:
	v_cmp_ngt_f32_e64 s1, |v96|, |v97|
                                        ; implicit-def: $vgpr100_vgpr101
	s_and_saveexec_b32 s4, s1
	s_delay_alu instid0(SALU_CYCLE_1)
	s_xor_b32 s1, exec_lo, s4
	s_cbranch_execz .LBB103_428
; %bb.427:
	v_div_scale_f32 v100, null, v97, v97, v96
	v_div_scale_f32 v103, vcc_lo, v96, v97, v96
	s_delay_alu instid0(VALU_DEP_2) | instskip(SKIP_1) | instid1(TRANS32_DEP_1)
	v_rcp_f32_e32 v101, v100
	v_nop
	v_fma_f32 v102, -v100, v101, 1.0
	s_delay_alu instid0(VALU_DEP_1) | instskip(NEXT) | instid1(VALU_DEP_1)
	v_fmac_f32_e32 v101, v102, v101
	v_mul_f32_e32 v102, v103, v101
	s_delay_alu instid0(VALU_DEP_1) | instskip(NEXT) | instid1(VALU_DEP_1)
	v_fma_f32 v104, -v100, v102, v103
	v_fmac_f32_e32 v102, v104, v101
	s_delay_alu instid0(VALU_DEP_1) | instskip(NEXT) | instid1(VALU_DEP_1)
	v_fma_f32 v100, -v100, v102, v103
	v_div_fmas_f32 v100, v100, v101, v102
	s_delay_alu instid0(VALU_DEP_1) | instskip(NEXT) | instid1(VALU_DEP_1)
	v_div_fixup_f32 v100, v100, v97, v96
	v_fmac_f32_e32 v97, v96, v100
	s_delay_alu instid0(VALU_DEP_1) | instskip(SKIP_1) | instid1(VALU_DEP_2)
	v_div_scale_f32 v96, null, v97, v97, 1.0
	v_div_scale_f32 v103, vcc_lo, 1.0, v97, 1.0
	v_rcp_f32_e32 v101, v96
	v_nop
	s_delay_alu instid0(TRANS32_DEP_1) | instskip(NEXT) | instid1(VALU_DEP_1)
	v_fma_f32 v102, -v96, v101, 1.0
	v_fmac_f32_e32 v101, v102, v101
	s_delay_alu instid0(VALU_DEP_1) | instskip(NEXT) | instid1(VALU_DEP_1)
	v_mul_f32_e32 v102, v103, v101
	v_fma_f32 v104, -v96, v102, v103
	s_delay_alu instid0(VALU_DEP_1) | instskip(NEXT) | instid1(VALU_DEP_1)
	v_fmac_f32_e32 v102, v104, v101
	v_fma_f32 v96, -v96, v102, v103
	s_delay_alu instid0(VALU_DEP_1) | instskip(NEXT) | instid1(VALU_DEP_1)
	v_div_fmas_f32 v96, v96, v101, v102
	v_div_fixup_f32 v96, v96, v97, 1.0
	s_delay_alu instid0(VALU_DEP_1)
	v_mul_f32_e32 v100, v100, v96
	v_xor_b32_e32 v101, 0x80000000, v96
                                        ; implicit-def: $vgpr96_vgpr97
.LBB103_428:
	s_and_not1_saveexec_b32 s1, s1
	s_cbranch_execz .LBB103_430
; %bb.429:
	v_div_scale_f32 v100, null, v96, v96, v97
	v_div_scale_f32 v103, vcc_lo, v97, v96, v97
	s_delay_alu instid0(VALU_DEP_2) | instskip(SKIP_1) | instid1(TRANS32_DEP_1)
	v_rcp_f32_e32 v101, v100
	v_nop
	v_fma_f32 v102, -v100, v101, 1.0
	s_delay_alu instid0(VALU_DEP_1) | instskip(NEXT) | instid1(VALU_DEP_1)
	v_fmac_f32_e32 v101, v102, v101
	v_mul_f32_e32 v102, v103, v101
	s_delay_alu instid0(VALU_DEP_1) | instskip(NEXT) | instid1(VALU_DEP_1)
	v_fma_f32 v104, -v100, v102, v103
	v_fmac_f32_e32 v102, v104, v101
	s_delay_alu instid0(VALU_DEP_1) | instskip(NEXT) | instid1(VALU_DEP_1)
	v_fma_f32 v100, -v100, v102, v103
	v_div_fmas_f32 v100, v100, v101, v102
	s_delay_alu instid0(VALU_DEP_1) | instskip(NEXT) | instid1(VALU_DEP_1)
	v_div_fixup_f32 v101, v100, v96, v97
	v_fmac_f32_e32 v96, v97, v101
	s_delay_alu instid0(VALU_DEP_1) | instskip(NEXT) | instid1(VALU_DEP_1)
	v_div_scale_f32 v97, null, v96, v96, 1.0
	v_rcp_f32_e32 v100, v97
	v_nop
	s_delay_alu instid0(TRANS32_DEP_1) | instskip(NEXT) | instid1(VALU_DEP_1)
	v_fma_f32 v102, -v97, v100, 1.0
	v_fmac_f32_e32 v100, v102, v100
	v_div_scale_f32 v102, vcc_lo, 1.0, v96, 1.0
	s_delay_alu instid0(VALU_DEP_1) | instskip(NEXT) | instid1(VALU_DEP_1)
	v_mul_f32_e32 v103, v102, v100
	v_fma_f32 v104, -v97, v103, v102
	s_delay_alu instid0(VALU_DEP_1) | instskip(NEXT) | instid1(VALU_DEP_1)
	v_fmac_f32_e32 v103, v104, v100
	v_fma_f32 v97, -v97, v103, v102
	s_delay_alu instid0(VALU_DEP_1) | instskip(NEXT) | instid1(VALU_DEP_1)
	v_div_fmas_f32 v97, v97, v100, v103
	v_div_fixup_f32 v100, v97, v96, 1.0
	s_delay_alu instid0(VALU_DEP_1)
	v_mul_f32_e64 v101, v101, -v100
.LBB103_430:
	s_or_b32 exec_lo, exec_lo, s1
	ds_store_b64 v117, v[100:101]
.LBB103_431:
	s_or_b32 exec_lo, exec_lo, s2
	s_wait_dscnt 0x0
	s_barrier_signal -1
	s_barrier_wait -1
	ds_load_b64 v[100:101], v117
	s_mov_b32 s1, exec_lo
	v_cmpx_lt_u32_e32 47, v116
	s_cbranch_execz .LBB103_433
; %bb.432:
	ds_load_2addr_b64 v[102:105], v118 offset0:48 offset1:49
	s_wait_dscnt 0x1
	v_pk_mul_f32 v[96:97], v[100:101], v[196:197] op_sel:[1,1] op_sel_hi:[0,1]
	s_delay_alu instid0(VALU_DEP_1) | instskip(SKIP_1) | instid1(VALU_DEP_1)
	v_pk_fma_f32 v[114:115], v[100:101], v[196:197], v[96:97] op_sel_hi:[1,0,1] neg_lo:[0,0,1] neg_hi:[0,0,1]
	v_pk_fma_f32 v[96:97], v[100:101], v[196:197], v[96:97] op_sel_hi:[1,0,1]
	v_dual_mov_b32 v196, v114 :: v_dual_mov_b32 v197, v97
	s_wait_dscnt 0x0
	s_delay_alu instid0(VALU_DEP_2) | instskip(NEXT) | instid1(VALU_DEP_1)
	v_pk_mul_f32 v[130:131], v[102:103], v[96:97] op_sel:[0,1]
	v_pk_fma_f32 v[132:133], v[102:103], v[114:115], v[130:131] op_sel:[0,0,1] op_sel_hi:[1,1,0] neg_lo:[0,0,1] neg_hi:[0,0,1]
	v_pk_fma_f32 v[102:103], v[102:103], v[114:115], v[130:131] op_sel:[0,0,1] op_sel_hi:[1,0,0]
	s_delay_alu instid0(VALU_DEP_1) | instskip(SKIP_1) | instid1(VALU_DEP_1)
	v_mov_b32_e32 v133, v103
	v_pk_mul_f32 v[102:103], v[104:105], v[96:97] op_sel:[0,1]
	v_pk_fma_f32 v[130:131], v[104:105], v[114:115], v[102:103] op_sel:[0,0,1] op_sel_hi:[1,1,0] neg_lo:[0,0,1] neg_hi:[0,0,1]
	v_pk_fma_f32 v[102:103], v[104:105], v[114:115], v[102:103] op_sel:[0,0,1] op_sel_hi:[1,0,0]
	s_delay_alu instid0(VALU_DEP_1)
	v_mov_b32_e32 v131, v103
	ds_load_2addr_b64 v[102:105], v118 offset0:50 offset1:51
	v_pk_add_f32 v[200:201], v[200:201], v[132:133] neg_lo:[0,1] neg_hi:[0,1]
	v_pk_add_f32 v[194:195], v[194:195], v[130:131] neg_lo:[0,1] neg_hi:[0,1]
	s_wait_dscnt 0x0
	v_pk_mul_f32 v[130:131], v[102:103], v[96:97] op_sel:[0,1]
	s_delay_alu instid0(VALU_DEP_1) | instskip(SKIP_1) | instid1(VALU_DEP_1)
	v_pk_fma_f32 v[132:133], v[102:103], v[114:115], v[130:131] op_sel:[0,0,1] op_sel_hi:[1,1,0] neg_lo:[0,0,1] neg_hi:[0,0,1]
	v_pk_fma_f32 v[102:103], v[102:103], v[114:115], v[130:131] op_sel:[0,0,1] op_sel_hi:[1,0,0]
	v_dual_mov_b32 v102, v105 :: v_dual_mov_b32 v133, v103
	v_mov_b32_e32 v103, v104
	s_delay_alu instid0(VALU_DEP_2) | instskip(NEXT) | instid1(VALU_DEP_2)
	v_pk_add_f32 v[206:207], v[206:207], v[132:133] neg_lo:[0,1] neg_hi:[0,1]
	v_pk_mul_f32 v[96:97], v[102:103], v[96:97] op_sel:[0,1]
	s_delay_alu instid0(VALU_DEP_1) | instskip(SKIP_1) | instid1(VALU_DEP_1)
	v_pk_fma_f32 v[102:103], v[104:105], v[114:115], v[96:97] neg_lo:[0,0,1] neg_hi:[0,0,1]
	v_pk_fma_f32 v[96:97], v[104:105], v[114:115], v[96:97] op_sel_hi:[1,0,1]
	v_mov_b32_e32 v103, v97
	s_delay_alu instid0(VALU_DEP_1)
	v_pk_add_f32 v[208:209], v[208:209], v[102:103] neg_lo:[0,1] neg_hi:[0,1]
.LBB103_433:
	s_or_b32 exec_lo, exec_lo, s1
	s_delay_alu instid0(SALU_CYCLE_1)
	s_mov_b32 s2, exec_lo
	s_wait_dscnt 0x0
	s_barrier_signal -1
	s_barrier_wait -1
	v_cmpx_eq_u32_e32 48, v116
	s_cbranch_execz .LBB103_440
; %bb.434:
	ds_store_b64 v117, v[200:201]
	ds_store_2addr_b64 v118, v[194:195], v[206:207] offset0:49 offset1:50
	ds_store_b64 v118, v[208:209] offset:408
	ds_load_b64 v[96:97], v117
	s_wait_dscnt 0x0
	v_cmp_neq_f32_e32 vcc_lo, 0, v96
	v_cmp_neq_f32_e64 s1, 0, v97
	s_or_b32 s1, vcc_lo, s1
	s_delay_alu instid0(SALU_CYCLE_1)
	s_and_b32 exec_lo, exec_lo, s1
	s_cbranch_execz .LBB103_440
; %bb.435:
	v_cmp_ngt_f32_e64 s1, |v96|, |v97|
                                        ; implicit-def: $vgpr102_vgpr103
	s_and_saveexec_b32 s4, s1
	s_delay_alu instid0(SALU_CYCLE_1)
	s_xor_b32 s1, exec_lo, s4
	s_cbranch_execz .LBB103_437
; %bb.436:
	v_div_scale_f32 v102, null, v97, v97, v96
	v_div_scale_f32 v105, vcc_lo, v96, v97, v96
	s_delay_alu instid0(VALU_DEP_2) | instskip(SKIP_1) | instid1(TRANS32_DEP_1)
	v_rcp_f32_e32 v103, v102
	v_nop
	v_fma_f32 v104, -v102, v103, 1.0
	s_delay_alu instid0(VALU_DEP_1) | instskip(NEXT) | instid1(VALU_DEP_1)
	v_fmac_f32_e32 v103, v104, v103
	v_mul_f32_e32 v104, v105, v103
	s_delay_alu instid0(VALU_DEP_1) | instskip(NEXT) | instid1(VALU_DEP_1)
	v_fma_f32 v114, -v102, v104, v105
	v_fmac_f32_e32 v104, v114, v103
	s_delay_alu instid0(VALU_DEP_1) | instskip(NEXT) | instid1(VALU_DEP_1)
	v_fma_f32 v102, -v102, v104, v105
	v_div_fmas_f32 v102, v102, v103, v104
	s_delay_alu instid0(VALU_DEP_1) | instskip(NEXT) | instid1(VALU_DEP_1)
	v_div_fixup_f32 v102, v102, v97, v96
	v_fmac_f32_e32 v97, v96, v102
	s_delay_alu instid0(VALU_DEP_1) | instskip(SKIP_1) | instid1(VALU_DEP_2)
	v_div_scale_f32 v96, null, v97, v97, 1.0
	v_div_scale_f32 v105, vcc_lo, 1.0, v97, 1.0
	v_rcp_f32_e32 v103, v96
	v_nop
	s_delay_alu instid0(TRANS32_DEP_1) | instskip(NEXT) | instid1(VALU_DEP_1)
	v_fma_f32 v104, -v96, v103, 1.0
	v_fmac_f32_e32 v103, v104, v103
	s_delay_alu instid0(VALU_DEP_1) | instskip(NEXT) | instid1(VALU_DEP_1)
	v_mul_f32_e32 v104, v105, v103
	v_fma_f32 v114, -v96, v104, v105
	s_delay_alu instid0(VALU_DEP_1) | instskip(NEXT) | instid1(VALU_DEP_1)
	v_fmac_f32_e32 v104, v114, v103
	v_fma_f32 v96, -v96, v104, v105
	s_delay_alu instid0(VALU_DEP_1) | instskip(NEXT) | instid1(VALU_DEP_1)
	v_div_fmas_f32 v96, v96, v103, v104
	v_div_fixup_f32 v96, v96, v97, 1.0
	s_delay_alu instid0(VALU_DEP_1)
	v_mul_f32_e32 v102, v102, v96
	v_xor_b32_e32 v103, 0x80000000, v96
                                        ; implicit-def: $vgpr96_vgpr97
.LBB103_437:
	s_and_not1_saveexec_b32 s1, s1
	s_cbranch_execz .LBB103_439
; %bb.438:
	v_div_scale_f32 v102, null, v96, v96, v97
	v_div_scale_f32 v105, vcc_lo, v97, v96, v97
	s_delay_alu instid0(VALU_DEP_2) | instskip(SKIP_1) | instid1(TRANS32_DEP_1)
	v_rcp_f32_e32 v103, v102
	v_nop
	v_fma_f32 v104, -v102, v103, 1.0
	s_delay_alu instid0(VALU_DEP_1) | instskip(NEXT) | instid1(VALU_DEP_1)
	v_fmac_f32_e32 v103, v104, v103
	v_mul_f32_e32 v104, v105, v103
	s_delay_alu instid0(VALU_DEP_1) | instskip(NEXT) | instid1(VALU_DEP_1)
	v_fma_f32 v114, -v102, v104, v105
	v_fmac_f32_e32 v104, v114, v103
	s_delay_alu instid0(VALU_DEP_1) | instskip(NEXT) | instid1(VALU_DEP_1)
	v_fma_f32 v102, -v102, v104, v105
	v_div_fmas_f32 v102, v102, v103, v104
	s_delay_alu instid0(VALU_DEP_1) | instskip(NEXT) | instid1(VALU_DEP_1)
	v_div_fixup_f32 v103, v102, v96, v97
	v_fmac_f32_e32 v96, v97, v103
	s_delay_alu instid0(VALU_DEP_1) | instskip(NEXT) | instid1(VALU_DEP_1)
	v_div_scale_f32 v97, null, v96, v96, 1.0
	v_rcp_f32_e32 v102, v97
	v_nop
	s_delay_alu instid0(TRANS32_DEP_1) | instskip(NEXT) | instid1(VALU_DEP_1)
	v_fma_f32 v104, -v97, v102, 1.0
	v_fmac_f32_e32 v102, v104, v102
	v_div_scale_f32 v104, vcc_lo, 1.0, v96, 1.0
	s_delay_alu instid0(VALU_DEP_1) | instskip(NEXT) | instid1(VALU_DEP_1)
	v_mul_f32_e32 v105, v104, v102
	v_fma_f32 v114, -v97, v105, v104
	s_delay_alu instid0(VALU_DEP_1) | instskip(NEXT) | instid1(VALU_DEP_1)
	v_fmac_f32_e32 v105, v114, v102
	v_fma_f32 v97, -v97, v105, v104
	s_delay_alu instid0(VALU_DEP_1) | instskip(NEXT) | instid1(VALU_DEP_1)
	v_div_fmas_f32 v97, v97, v102, v105
	v_div_fixup_f32 v102, v97, v96, 1.0
	s_delay_alu instid0(VALU_DEP_1)
	v_mul_f32_e64 v103, v103, -v102
.LBB103_439:
	s_or_b32 exec_lo, exec_lo, s1
	ds_store_b64 v117, v[102:103]
.LBB103_440:
	s_or_b32 exec_lo, exec_lo, s2
	s_wait_dscnt 0x0
	s_barrier_signal -1
	s_barrier_wait -1
	ds_load_b64 v[102:103], v117
	s_mov_b32 s1, exec_lo
	v_cmpx_lt_u32_e32 48, v116
	s_cbranch_execz .LBB103_442
; %bb.441:
	ds_load_2addr_b64 v[130:133], v118 offset0:49 offset1:50
	s_wait_dscnt 0x1
	v_pk_mul_f32 v[96:97], v[102:103], v[200:201] op_sel:[1,1] op_sel_hi:[0,1]
	s_delay_alu instid0(VALU_DEP_1) | instskip(SKIP_1) | instid1(VALU_DEP_1)
	v_pk_fma_f32 v[104:105], v[102:103], v[200:201], v[96:97] op_sel_hi:[1,0,1] neg_lo:[0,0,1] neg_hi:[0,0,1]
	v_pk_fma_f32 v[96:97], v[102:103], v[200:201], v[96:97] op_sel_hi:[1,0,1]
	v_dual_mov_b32 v200, v104 :: v_dual_mov_b32 v201, v97
	s_wait_dscnt 0x0
	s_delay_alu instid0(VALU_DEP_2) | instskip(NEXT) | instid1(VALU_DEP_1)
	v_pk_mul_f32 v[114:115], v[130:131], v[96:97] op_sel:[0,1]
	v_pk_fma_f32 v[120:121], v[130:131], v[104:105], v[114:115] op_sel:[0,0,1] op_sel_hi:[1,1,0] neg_lo:[0,0,1] neg_hi:[0,0,1]
	v_pk_fma_f32 v[114:115], v[130:131], v[104:105], v[114:115] op_sel:[0,0,1] op_sel_hi:[1,0,0]
	s_delay_alu instid0(VALU_DEP_1) | instskip(SKIP_1) | instid1(VALU_DEP_2)
	v_mov_b32_e32 v121, v115
	v_pk_mul_f32 v[114:115], v[132:133], v[96:97] op_sel:[0,1]
	v_pk_add_f32 v[194:195], v[194:195], v[120:121] neg_lo:[0,1] neg_hi:[0,1]
	s_delay_alu instid0(VALU_DEP_2) | instskip(SKIP_1) | instid1(VALU_DEP_1)
	v_pk_fma_f32 v[120:121], v[132:133], v[104:105], v[114:115] op_sel:[0,0,1] op_sel_hi:[1,1,0] neg_lo:[0,0,1] neg_hi:[0,0,1]
	v_pk_fma_f32 v[114:115], v[132:133], v[104:105], v[114:115] op_sel:[0,0,1] op_sel_hi:[1,0,0]
	v_mov_b32_e32 v121, v115
	ds_load_b64 v[114:115], v118 offset:408
	v_pk_add_f32 v[206:207], v[206:207], v[120:121] neg_lo:[0,1] neg_hi:[0,1]
	s_wait_dscnt 0x0
	v_pk_mul_f32 v[96:97], v[114:115], v[96:97] op_sel:[1,1] op_sel_hi:[0,1]
	s_delay_alu instid0(VALU_DEP_1) | instskip(SKIP_1) | instid1(VALU_DEP_1)
	v_pk_fma_f32 v[120:121], v[114:115], v[104:105], v[96:97] neg_lo:[0,0,1] neg_hi:[0,0,1]
	v_pk_fma_f32 v[96:97], v[114:115], v[104:105], v[96:97] op_sel_hi:[1,0,1]
	v_mov_b32_e32 v121, v97
	s_delay_alu instid0(VALU_DEP_1)
	v_pk_add_f32 v[208:209], v[208:209], v[120:121] neg_lo:[0,1] neg_hi:[0,1]
.LBB103_442:
	s_or_b32 exec_lo, exec_lo, s1
	s_delay_alu instid0(SALU_CYCLE_1)
	s_mov_b32 s2, exec_lo
	s_wait_dscnt 0x0
	s_barrier_signal -1
	s_barrier_wait -1
	v_cmpx_eq_u32_e32 49, v116
	s_cbranch_execz .LBB103_449
; %bb.443:
	v_dual_mov_b32 v96, v206 :: v_dual_mov_b32 v97, v207
	ds_store_b64 v117, v[194:195]
	ds_store_2addr_b64 v118, v[96:97], v[208:209] offset0:50 offset1:51
	ds_load_b64 v[96:97], v117
	s_wait_dscnt 0x0
	v_cmp_neq_f32_e32 vcc_lo, 0, v96
	v_cmp_neq_f32_e64 s1, 0, v97
	s_or_b32 s1, vcc_lo, s1
	s_delay_alu instid0(SALU_CYCLE_1)
	s_and_b32 exec_lo, exec_lo, s1
	s_cbranch_execz .LBB103_449
; %bb.444:
	v_cmp_ngt_f32_e64 s1, |v96|, |v97|
                                        ; implicit-def: $vgpr104_vgpr105
	s_and_saveexec_b32 s4, s1
	s_delay_alu instid0(SALU_CYCLE_1)
	s_xor_b32 s1, exec_lo, s4
	s_cbranch_execz .LBB103_446
; %bb.445:
	v_div_scale_f32 v104, null, v97, v97, v96
	v_div_scale_f32 v115, vcc_lo, v96, v97, v96
	s_delay_alu instid0(VALU_DEP_2) | instskip(SKIP_1) | instid1(TRANS32_DEP_1)
	v_rcp_f32_e32 v105, v104
	v_nop
	v_fma_f32 v114, -v104, v105, 1.0
	s_delay_alu instid0(VALU_DEP_1) | instskip(NEXT) | instid1(VALU_DEP_1)
	v_fmac_f32_e32 v105, v114, v105
	v_mul_f32_e32 v114, v115, v105
	s_delay_alu instid0(VALU_DEP_1) | instskip(NEXT) | instid1(VALU_DEP_1)
	v_fma_f32 v119, -v104, v114, v115
	v_fmac_f32_e32 v114, v119, v105
	s_delay_alu instid0(VALU_DEP_1) | instskip(NEXT) | instid1(VALU_DEP_1)
	v_fma_f32 v104, -v104, v114, v115
	v_div_fmas_f32 v104, v104, v105, v114
	s_delay_alu instid0(VALU_DEP_1) | instskip(NEXT) | instid1(VALU_DEP_1)
	v_div_fixup_f32 v104, v104, v97, v96
	v_fmac_f32_e32 v97, v96, v104
	s_delay_alu instid0(VALU_DEP_1) | instskip(SKIP_1) | instid1(VALU_DEP_2)
	v_div_scale_f32 v96, null, v97, v97, 1.0
	v_div_scale_f32 v115, vcc_lo, 1.0, v97, 1.0
	v_rcp_f32_e32 v105, v96
	v_nop
	s_delay_alu instid0(TRANS32_DEP_1) | instskip(NEXT) | instid1(VALU_DEP_1)
	v_fma_f32 v114, -v96, v105, 1.0
	v_fmac_f32_e32 v105, v114, v105
	s_delay_alu instid0(VALU_DEP_1) | instskip(NEXT) | instid1(VALU_DEP_1)
	v_mul_f32_e32 v114, v115, v105
	v_fma_f32 v119, -v96, v114, v115
	s_delay_alu instid0(VALU_DEP_1) | instskip(NEXT) | instid1(VALU_DEP_1)
	v_fmac_f32_e32 v114, v119, v105
	v_fma_f32 v96, -v96, v114, v115
	s_delay_alu instid0(VALU_DEP_1) | instskip(NEXT) | instid1(VALU_DEP_1)
	v_div_fmas_f32 v96, v96, v105, v114
	v_div_fixup_f32 v96, v96, v97, 1.0
	s_delay_alu instid0(VALU_DEP_1)
	v_mul_f32_e32 v104, v104, v96
	v_xor_b32_e32 v105, 0x80000000, v96
                                        ; implicit-def: $vgpr96_vgpr97
.LBB103_446:
	s_and_not1_saveexec_b32 s1, s1
	s_cbranch_execz .LBB103_448
; %bb.447:
	v_div_scale_f32 v104, null, v96, v96, v97
	v_div_scale_f32 v115, vcc_lo, v97, v96, v97
	s_delay_alu instid0(VALU_DEP_2) | instskip(SKIP_1) | instid1(TRANS32_DEP_1)
	v_rcp_f32_e32 v105, v104
	v_nop
	v_fma_f32 v114, -v104, v105, 1.0
	s_delay_alu instid0(VALU_DEP_1) | instskip(NEXT) | instid1(VALU_DEP_1)
	v_fmac_f32_e32 v105, v114, v105
	v_mul_f32_e32 v114, v115, v105
	s_delay_alu instid0(VALU_DEP_1) | instskip(NEXT) | instid1(VALU_DEP_1)
	v_fma_f32 v119, -v104, v114, v115
	v_fmac_f32_e32 v114, v119, v105
	s_delay_alu instid0(VALU_DEP_1) | instskip(NEXT) | instid1(VALU_DEP_1)
	v_fma_f32 v104, -v104, v114, v115
	v_div_fmas_f32 v104, v104, v105, v114
	s_delay_alu instid0(VALU_DEP_1) | instskip(NEXT) | instid1(VALU_DEP_1)
	v_div_fixup_f32 v105, v104, v96, v97
	v_fmac_f32_e32 v96, v97, v105
	s_delay_alu instid0(VALU_DEP_1) | instskip(NEXT) | instid1(VALU_DEP_1)
	v_div_scale_f32 v97, null, v96, v96, 1.0
	v_rcp_f32_e32 v104, v97
	v_nop
	s_delay_alu instid0(TRANS32_DEP_1) | instskip(NEXT) | instid1(VALU_DEP_1)
	v_fma_f32 v114, -v97, v104, 1.0
	v_fmac_f32_e32 v104, v114, v104
	v_div_scale_f32 v114, vcc_lo, 1.0, v96, 1.0
	s_delay_alu instid0(VALU_DEP_1) | instskip(NEXT) | instid1(VALU_DEP_1)
	v_mul_f32_e32 v115, v114, v104
	v_fma_f32 v119, -v97, v115, v114
	s_delay_alu instid0(VALU_DEP_1) | instskip(NEXT) | instid1(VALU_DEP_1)
	v_fmac_f32_e32 v115, v119, v104
	v_fma_f32 v97, -v97, v115, v114
	s_delay_alu instid0(VALU_DEP_1) | instskip(NEXT) | instid1(VALU_DEP_1)
	v_div_fmas_f32 v97, v97, v104, v115
	v_div_fixup_f32 v104, v97, v96, 1.0
	s_delay_alu instid0(VALU_DEP_1)
	v_mul_f32_e64 v105, v105, -v104
.LBB103_448:
	s_or_b32 exec_lo, exec_lo, s1
	ds_store_b64 v117, v[104:105]
.LBB103_449:
	s_or_b32 exec_lo, exec_lo, s2
	s_wait_dscnt 0x0
	s_barrier_signal -1
	s_barrier_wait -1
	ds_load_b64 v[104:105], v117
	s_mov_b32 s1, exec_lo
	v_cmpx_lt_u32_e32 49, v116
	s_cbranch_execz .LBB103_451
; %bb.450:
	ds_load_2addr_b64 v[130:133], v118 offset0:50 offset1:51
	s_wait_dscnt 0x1
	v_pk_mul_f32 v[96:97], v[104:105], v[194:195] op_sel:[1,1] op_sel_hi:[0,1]
	v_mov_b64_e32 v[0:1], v[254:255]
	v_mov_b64_e32 v[254:255], v[252:253]
	;; [unrolled: 1-line block ×4, first 2 shown]
	v_pk_fma_f32 v[114:115], v[104:105], v[194:195], v[96:97] op_sel_hi:[1,0,1] neg_lo:[0,0,1] neg_hi:[0,0,1]
	v_pk_fma_f32 v[96:97], v[104:105], v[194:195], v[96:97] op_sel_hi:[1,0,1]
	v_mov_b64_e32 v[248:249], v[246:247]
	v_mov_b64_e32 v[246:247], v[138:139]
	;; [unrolled: 1-line block ×12, first 2 shown]
	s_wait_dscnt 0x0
	v_pk_mul_f32 v[120:121], v[130:131], v[96:97] op_sel:[0,1]
	v_mov_b64_e32 v[226:227], v[224:225]
	v_mov_b64_e32 v[224:225], v[222:223]
	;; [unrolled: 1-line block ×26, first 2 shown]
	v_pk_fma_f32 v[134:135], v[130:131], v[114:115], v[120:121] op_sel:[0,0,1] op_sel_hi:[1,1,0] neg_lo:[0,0,1] neg_hi:[0,0,1]
	v_pk_fma_f32 v[120:121], v[130:131], v[114:115], v[120:121] op_sel:[0,0,1] op_sel_hi:[1,0,0]
	v_dual_mov_b32 v120, v133 :: v_dual_mov_b32 v194, v114
	s_delay_alu instid0(VALU_DEP_2) | instskip(SKIP_1) | instid1(VALU_DEP_2)
	v_dual_mov_b32 v195, v97 :: v_dual_mov_b32 v135, v121
	v_mov_b32_e32 v121, v132
	v_pk_add_f32 v[206:207], v[206:207], v[134:135] neg_lo:[0,1] neg_hi:[0,1]
	s_delay_alu instid0(VALU_DEP_2)
	v_pk_mul_f32 v[96:97], v[120:121], v[96:97] op_sel:[0,1]
	v_mov_b64_e32 v[134:135], v[136:137]
	v_mov_b64_e32 v[136:137], v[148:149]
	;; [unrolled: 1-line block ×4, first 2 shown]
	v_pk_fma_f32 v[120:121], v[132:133], v[114:115], v[96:97] neg_lo:[0,0,1] neg_hi:[0,0,1]
	v_pk_fma_f32 v[96:97], v[132:133], v[114:115], v[96:97] op_sel_hi:[1,0,1]
	v_mov_b64_e32 v[152:153], v[154:155]
	v_mov_b64_e32 v[154:155], v[164:165]
	;; [unrolled: 1-line block ×4, first 2 shown]
	v_mov_b32_e32 v121, v97
	v_mov_b64_e32 v[168:169], v[170:171]
	v_mov_b64_e32 v[170:171], v[172:173]
	;; [unrolled: 1-line block ×34, first 2 shown]
	v_pk_add_f32 v[208:209], v[208:209], v[120:121] neg_lo:[0,1] neg_hi:[0,1]
.LBB103_451:
	s_or_b32 exec_lo, exec_lo, s1
	s_delay_alu instid0(SALU_CYCLE_1)
	s_mov_b32 s2, exec_lo
	s_wait_dscnt 0x0
	s_barrier_signal -1
	s_barrier_wait -1
	v_cmpx_eq_u32_e32 50, v116
	s_cbranch_execz .LBB103_458
; %bb.452:
	ds_store_b64 v117, v[206:207]
	ds_store_b64 v118, v[208:209] offset:408
	ds_load_b64 v[96:97], v117
	s_wait_dscnt 0x0
	v_cmp_neq_f32_e32 vcc_lo, 0, v96
	v_cmp_neq_f32_e64 s1, 0, v97
	s_or_b32 s1, vcc_lo, s1
	s_delay_alu instid0(SALU_CYCLE_1)
	s_and_b32 exec_lo, exec_lo, s1
	s_cbranch_execz .LBB103_458
; %bb.453:
	v_cmp_ngt_f32_e64 s1, |v96|, |v97|
                                        ; implicit-def: $vgpr114_vgpr115
	s_and_saveexec_b32 s4, s1
	s_delay_alu instid0(SALU_CYCLE_1)
	s_xor_b32 s1, exec_lo, s4
	s_cbranch_execz .LBB103_455
; %bb.454:
	v_div_scale_f32 v114, null, v97, v97, v96
	v_div_scale_f32 v120, vcc_lo, v96, v97, v96
	s_delay_alu instid0(VALU_DEP_2) | instskip(SKIP_1) | instid1(TRANS32_DEP_1)
	v_rcp_f32_e32 v115, v114
	v_nop
	v_fma_f32 v119, -v114, v115, 1.0
	s_delay_alu instid0(VALU_DEP_1) | instskip(NEXT) | instid1(VALU_DEP_1)
	v_fmac_f32_e32 v115, v119, v115
	v_mul_f32_e32 v119, v120, v115
	s_delay_alu instid0(VALU_DEP_1) | instskip(NEXT) | instid1(VALU_DEP_1)
	v_fma_f32 v121, -v114, v119, v120
	v_fmac_f32_e32 v119, v121, v115
	s_delay_alu instid0(VALU_DEP_1) | instskip(NEXT) | instid1(VALU_DEP_1)
	v_fma_f32 v114, -v114, v119, v120
	v_div_fmas_f32 v114, v114, v115, v119
	s_delay_alu instid0(VALU_DEP_1) | instskip(NEXT) | instid1(VALU_DEP_1)
	v_div_fixup_f32 v114, v114, v97, v96
	v_fmac_f32_e32 v97, v96, v114
	s_delay_alu instid0(VALU_DEP_1) | instskip(SKIP_1) | instid1(VALU_DEP_2)
	v_div_scale_f32 v96, null, v97, v97, 1.0
	v_div_scale_f32 v120, vcc_lo, 1.0, v97, 1.0
	v_rcp_f32_e32 v115, v96
	v_nop
	s_delay_alu instid0(TRANS32_DEP_1) | instskip(NEXT) | instid1(VALU_DEP_1)
	v_fma_f32 v119, -v96, v115, 1.0
	v_fmac_f32_e32 v115, v119, v115
	s_delay_alu instid0(VALU_DEP_1) | instskip(NEXT) | instid1(VALU_DEP_1)
	v_mul_f32_e32 v119, v120, v115
	v_fma_f32 v121, -v96, v119, v120
	s_delay_alu instid0(VALU_DEP_1) | instskip(NEXT) | instid1(VALU_DEP_1)
	v_fmac_f32_e32 v119, v121, v115
	v_fma_f32 v96, -v96, v119, v120
	s_delay_alu instid0(VALU_DEP_1) | instskip(NEXT) | instid1(VALU_DEP_1)
	v_div_fmas_f32 v96, v96, v115, v119
	v_div_fixup_f32 v96, v96, v97, 1.0
	s_delay_alu instid0(VALU_DEP_1)
	v_mul_f32_e32 v114, v114, v96
	v_xor_b32_e32 v115, 0x80000000, v96
                                        ; implicit-def: $vgpr96_vgpr97
.LBB103_455:
	s_and_not1_saveexec_b32 s1, s1
	s_cbranch_execz .LBB103_457
; %bb.456:
	v_div_scale_f32 v114, null, v96, v96, v97
	v_div_scale_f32 v120, vcc_lo, v97, v96, v97
	s_delay_alu instid0(VALU_DEP_2) | instskip(SKIP_1) | instid1(TRANS32_DEP_1)
	v_rcp_f32_e32 v115, v114
	v_nop
	v_fma_f32 v119, -v114, v115, 1.0
	s_delay_alu instid0(VALU_DEP_1) | instskip(NEXT) | instid1(VALU_DEP_1)
	v_fmac_f32_e32 v115, v119, v115
	v_mul_f32_e32 v119, v120, v115
	s_delay_alu instid0(VALU_DEP_1) | instskip(NEXT) | instid1(VALU_DEP_1)
	v_fma_f32 v121, -v114, v119, v120
	v_fmac_f32_e32 v119, v121, v115
	s_delay_alu instid0(VALU_DEP_1) | instskip(NEXT) | instid1(VALU_DEP_1)
	v_fma_f32 v114, -v114, v119, v120
	v_div_fmas_f32 v114, v114, v115, v119
	s_delay_alu instid0(VALU_DEP_1) | instskip(NEXT) | instid1(VALU_DEP_1)
	v_div_fixup_f32 v115, v114, v96, v97
	v_fmac_f32_e32 v96, v97, v115
	s_delay_alu instid0(VALU_DEP_1) | instskip(NEXT) | instid1(VALU_DEP_1)
	v_div_scale_f32 v97, null, v96, v96, 1.0
	v_rcp_f32_e32 v114, v97
	v_nop
	s_delay_alu instid0(TRANS32_DEP_1) | instskip(NEXT) | instid1(VALU_DEP_1)
	v_fma_f32 v119, -v97, v114, 1.0
	v_fmac_f32_e32 v114, v119, v114
	v_div_scale_f32 v119, vcc_lo, 1.0, v96, 1.0
	s_delay_alu instid0(VALU_DEP_1) | instskip(NEXT) | instid1(VALU_DEP_1)
	v_mul_f32_e32 v120, v119, v114
	v_fma_f32 v121, -v97, v120, v119
	s_delay_alu instid0(VALU_DEP_1) | instskip(NEXT) | instid1(VALU_DEP_1)
	v_fmac_f32_e32 v120, v121, v114
	v_fma_f32 v97, -v97, v120, v119
	s_delay_alu instid0(VALU_DEP_1) | instskip(NEXT) | instid1(VALU_DEP_1)
	v_div_fmas_f32 v97, v97, v114, v120
	v_div_fixup_f32 v114, v97, v96, 1.0
	s_delay_alu instid0(VALU_DEP_1)
	v_mul_f32_e64 v115, v115, -v114
.LBB103_457:
	s_or_b32 exec_lo, exec_lo, s1
	ds_store_b64 v117, v[114:115]
.LBB103_458:
	s_or_b32 exec_lo, exec_lo, s2
	s_wait_dscnt 0x0
	s_barrier_signal -1
	s_barrier_wait -1
	ds_load_b64 v[114:115], v117
	s_mov_b32 s1, exec_lo
	v_cmpx_lt_u32_e32 50, v116
	s_cbranch_execz .LBB103_460
; %bb.459:
	ds_load_b64 v[96:97], v118 offset:408
	s_wait_dscnt 0x1
	v_pk_mul_f32 v[118:119], v[114:115], v[206:207] op_sel:[1,1] op_sel_hi:[0,1]
	s_delay_alu instid0(VALU_DEP_1) | instskip(SKIP_2) | instid1(VALU_DEP_2)
	v_pk_fma_f32 v[120:121], v[114:115], v[206:207], v[118:119] op_sel_hi:[1,0,1]
	v_pk_fma_f32 v[206:207], v[114:115], v[206:207], v[118:119] op_sel_hi:[1,0,1] neg_lo:[0,0,1] neg_hi:[0,0,1]
	s_wait_dscnt 0x0
	v_pk_mul_f32 v[118:119], v[96:97], v[120:121] op_sel:[1,1] op_sel_hi:[0,1]
	s_delay_alu instid0(VALU_DEP_1) | instskip(SKIP_1) | instid1(VALU_DEP_2)
	v_pk_fma_f32 v[130:131], v[96:97], v[206:207], v[118:119] op_sel_hi:[1,0,1]
	v_pk_fma_f32 v[96:97], v[96:97], v[206:207], v[118:119] neg_lo:[0,0,1] neg_hi:[0,0,1]
	v_dual_mov_b32 v207, v121 :: v_dual_mov_b32 v97, v131
	s_delay_alu instid0(VALU_DEP_1)
	v_pk_add_f32 v[208:209], v[208:209], v[96:97] neg_lo:[0,1] neg_hi:[0,1]
.LBB103_460:
	s_or_b32 exec_lo, exec_lo, s1
	s_delay_alu instid0(SALU_CYCLE_1)
	s_mov_b32 s2, exec_lo
	s_wait_dscnt 0x0
	s_barrier_signal -1
	s_barrier_wait -1
	v_cmpx_eq_u32_e32 51, v116
	s_cbranch_execz .LBB103_467
; %bb.461:
	v_cmp_neq_f32_e32 vcc_lo, 0, v208
	v_cmp_neq_f32_e64 s1, 0, v209
	ds_store_b64 v117, v[208:209]
	s_or_b32 s1, vcc_lo, s1
	s_delay_alu instid0(SALU_CYCLE_1)
	s_and_b32 exec_lo, exec_lo, s1
	s_cbranch_execz .LBB103_467
; %bb.462:
	v_cmp_ngt_f32_e64 s1, |v208|, |v209|
                                        ; implicit-def: $vgpr96_vgpr97
	s_and_saveexec_b32 s4, s1
	s_delay_alu instid0(SALU_CYCLE_1)
	s_xor_b32 s1, exec_lo, s4
	s_cbranch_execz .LBB103_464
; %bb.463:
	v_div_scale_f32 v96, null, v209, v209, v208
	v_div_scale_f32 v119, vcc_lo, v208, v209, v208
	s_delay_alu instid0(VALU_DEP_2) | instskip(SKIP_1) | instid1(TRANS32_DEP_1)
	v_rcp_f32_e32 v97, v96
	v_nop
	v_fma_f32 v118, -v96, v97, 1.0
	s_delay_alu instid0(VALU_DEP_1) | instskip(NEXT) | instid1(VALU_DEP_1)
	v_fmac_f32_e32 v97, v118, v97
	v_mul_f32_e32 v118, v119, v97
	s_delay_alu instid0(VALU_DEP_1) | instskip(NEXT) | instid1(VALU_DEP_1)
	v_fma_f32 v120, -v96, v118, v119
	v_fmac_f32_e32 v118, v120, v97
	s_delay_alu instid0(VALU_DEP_1) | instskip(NEXT) | instid1(VALU_DEP_1)
	v_fma_f32 v96, -v96, v118, v119
	v_div_fmas_f32 v96, v96, v97, v118
	s_delay_alu instid0(VALU_DEP_1) | instskip(NEXT) | instid1(VALU_DEP_1)
	v_div_fixup_f32 v96, v96, v209, v208
	v_fma_f32 v97, v208, v96, v209
	s_delay_alu instid0(VALU_DEP_1) | instskip(SKIP_1) | instid1(VALU_DEP_2)
	v_div_scale_f32 v118, null, v97, v97, 1.0
	v_div_scale_f32 v121, vcc_lo, 1.0, v97, 1.0
	v_rcp_f32_e32 v119, v118
	v_nop
	s_delay_alu instid0(TRANS32_DEP_1) | instskip(NEXT) | instid1(VALU_DEP_1)
	v_fma_f32 v120, -v118, v119, 1.0
	v_fmac_f32_e32 v119, v120, v119
	s_delay_alu instid0(VALU_DEP_1) | instskip(NEXT) | instid1(VALU_DEP_1)
	v_mul_f32_e32 v120, v121, v119
	v_fma_f32 v130, -v118, v120, v121
	s_delay_alu instid0(VALU_DEP_1) | instskip(NEXT) | instid1(VALU_DEP_1)
	v_fmac_f32_e32 v120, v130, v119
	v_fma_f32 v118, -v118, v120, v121
	s_delay_alu instid0(VALU_DEP_1) | instskip(NEXT) | instid1(VALU_DEP_1)
	v_div_fmas_f32 v118, v118, v119, v120
	v_div_fixup_f32 v97, v118, v97, 1.0
	s_delay_alu instid0(VALU_DEP_1)
	v_mul_f32_e32 v96, v96, v97
	v_xor_b32_e32 v97, 0x80000000, v97
.LBB103_464:
	s_and_not1_saveexec_b32 s1, s1
	s_cbranch_execz .LBB103_466
; %bb.465:
	v_div_scale_f32 v96, null, v208, v208, v209
	v_div_scale_f32 v119, vcc_lo, v209, v208, v209
	s_delay_alu instid0(VALU_DEP_2) | instskip(SKIP_1) | instid1(TRANS32_DEP_1)
	v_rcp_f32_e32 v97, v96
	v_nop
	v_fma_f32 v118, -v96, v97, 1.0
	s_delay_alu instid0(VALU_DEP_1) | instskip(NEXT) | instid1(VALU_DEP_1)
	v_fmac_f32_e32 v97, v118, v97
	v_mul_f32_e32 v118, v119, v97
	s_delay_alu instid0(VALU_DEP_1) | instskip(NEXT) | instid1(VALU_DEP_1)
	v_fma_f32 v120, -v96, v118, v119
	v_fmac_f32_e32 v118, v120, v97
	s_delay_alu instid0(VALU_DEP_1) | instskip(NEXT) | instid1(VALU_DEP_1)
	v_fma_f32 v96, -v96, v118, v119
	v_div_fmas_f32 v96, v96, v97, v118
	s_delay_alu instid0(VALU_DEP_1) | instskip(NEXT) | instid1(VALU_DEP_1)
	v_div_fixup_f32 v97, v96, v208, v209
	v_fma_f32 v96, v209, v97, v208
	s_delay_alu instid0(VALU_DEP_1) | instskip(NEXT) | instid1(VALU_DEP_1)
	v_div_scale_f32 v118, null, v96, v96, 1.0
	v_rcp_f32_e32 v119, v118
	v_nop
	s_delay_alu instid0(TRANS32_DEP_1) | instskip(NEXT) | instid1(VALU_DEP_1)
	v_fma_f32 v120, -v118, v119, 1.0
	v_fmac_f32_e32 v119, v120, v119
	v_div_scale_f32 v120, vcc_lo, 1.0, v96, 1.0
	s_delay_alu instid0(VALU_DEP_1) | instskip(NEXT) | instid1(VALU_DEP_1)
	v_mul_f32_e32 v121, v120, v119
	v_fma_f32 v130, -v118, v121, v120
	s_delay_alu instid0(VALU_DEP_1) | instskip(NEXT) | instid1(VALU_DEP_1)
	v_fmac_f32_e32 v121, v130, v119
	v_fma_f32 v118, -v118, v121, v120
	s_delay_alu instid0(VALU_DEP_1) | instskip(NEXT) | instid1(VALU_DEP_1)
	v_div_fmas_f32 v118, v118, v119, v121
	v_div_fixup_f32 v96, v118, v96, 1.0
	s_delay_alu instid0(VALU_DEP_1)
	v_mul_f32_e64 v97, v97, -v96
.LBB103_466:
	s_or_b32 exec_lo, exec_lo, s1
	ds_store_b64 v117, v[96:97]
.LBB103_467:
	s_or_b32 exec_lo, exec_lo, s2
	s_wait_dscnt 0x0
	s_barrier_signal -1
	s_barrier_wait -1
	ds_load_b64 v[96:97], v117
	s_wait_dscnt 0x0
	s_barrier_signal -1
	s_barrier_wait -1
	s_and_saveexec_b32 s2, s0
	s_cbranch_execz .LBB103_470
; %bb.468:
	scratch_load_b64 v[0:1], off, off offset:88 th:TH_LOAD_LU ; 8-byte Folded Reload
	s_wait_loadcnt 0x0
	v_cmp_eq_f32_e32 vcc_lo, 0, v0
	v_cmp_eq_f32_e64 s0, 0, v1
	scratch_load_b64 v[0:1], off, off offset:96 th:TH_LOAD_LU ; 8-byte Folded Reload
	s_and_b32 s1, vcc_lo, s0
	s_delay_alu instid0(SALU_CYCLE_1)
	v_cndmask_b32_e64 v117, 0, 1, s1
	s_wait_loadcnt 0x0
	v_cmp_neq_f32_e32 vcc_lo, 0, v0
	v_cmp_neq_f32_e64 s0, 0, v1
	scratch_load_b64 v[0:1], off, off offset:104 th:TH_LOAD_LU ; 8-byte Folded Reload
	s_or_b32 s0, vcc_lo, s0
	s_delay_alu instid0(SALU_CYCLE_1)
	s_or_b32 vcc_lo, s0, s1
	v_cmp_eq_f32_e64 s1, 0, v97
	v_cndmask_b32_e32 v117, 2, v117, vcc_lo
	s_wait_loadcnt 0x0
	v_cmp_eq_f32_e32 vcc_lo, 0, v0
	v_cmp_eq_f32_e64 s0, 0, v1
	scratch_load_b64 v[0:1], off, off offset:112 th:TH_LOAD_LU ; 8-byte Folded Reload
	s_and_b32 s0, vcc_lo, s0
	v_cmp_eq_u32_e32 vcc_lo, 0, v117
	s_and_b32 s0, s0, vcc_lo
	s_delay_alu instid0(SALU_CYCLE_1)
	v_cndmask_b32_e64 v117, v117, 3, s0
	s_wait_loadcnt 0x0
	v_cmp_eq_f32_e32 vcc_lo, 0, v0
	v_cmp_eq_f32_e64 s0, 0, v1
	scratch_load_b64 v[0:1], off, off offset:120 th:TH_LOAD_LU ; 8-byte Folded Reload
	s_and_b32 s0, vcc_lo, s0
	v_cmp_eq_u32_e32 vcc_lo, 0, v117
	s_and_b32 s0, s0, vcc_lo
	s_delay_alu instid0(SALU_CYCLE_1)
	v_cndmask_b32_e64 v117, v117, 4, s0
	;; [unrolled: 9-line block ×21, first 2 shown]
	s_wait_loadcnt 0x0
	v_cmp_eq_f32_e32 vcc_lo, 0, v0
	v_cmp_eq_f32_e64 s0, 0, v1
	s_and_b32 s0, vcc_lo, s0
	v_cmp_eq_u32_e32 vcc_lo, 0, v117
	s_and_b32 s0, s0, vcc_lo
	v_cmp_eq_f32_e32 vcc_lo, 0, v2
	v_cndmask_b32_e64 v0, v117, 24, s0
	v_cmp_eq_f32_e64 s0, 0, v3
	s_and_b32 s0, vcc_lo, s0
	v_cmp_eq_u32_e32 vcc_lo, 0, v0
	s_and_b32 s0, s0, vcc_lo
	v_cmp_eq_f32_e32 vcc_lo, 0, v4
	v_cndmask_b32_e64 v0, v0, 25, s0
	;; [unrolled: 6-line block ×27, first 2 shown]
	v_cmp_eq_f32_e64 s0, 0, v115
	s_and_b32 s0, vcc_lo, s0
	v_cmp_eq_u32_e32 vcc_lo, 0, v0
	s_and_b32 s0, s0, vcc_lo
	s_delay_alu instid0(SALU_CYCLE_1) | instskip(SKIP_1) | instid1(VALU_DEP_2)
	v_cndmask_b32_e64 v0, v0, 51, s0
	v_cmp_eq_f32_e64 s0, 0, v96
	v_cmp_eq_u32_e32 vcc_lo, 0, v0
	s_and_b32 s0, s0, s1
	s_delay_alu instid0(SALU_CYCLE_1) | instskip(NEXT) | instid1(SALU_CYCLE_1)
	s_and_b32 s0, s0, vcc_lo
	v_cndmask_b32_e64 v2, v0, 52, s0
	v_lshl_add_u64 v[0:1], v[246:247], 2, s[6:7]
	s_delay_alu instid0(VALU_DEP_2) | instskip(SKIP_4) | instid1(SALU_CYCLE_1)
	v_cmp_ne_u32_e64 s0, 0, v2
	global_load_b32 v3, v[0:1], off
	s_wait_loadcnt 0x0
	v_cmp_eq_u32_e32 vcc_lo, 0, v3
	s_and_b32 s0, vcc_lo, s0
	s_and_b32 exec_lo, exec_lo, s0
	s_cbranch_execz .LBB103_470
; %bb.469:
	v_add_nc_u32_e32 v2, s3, v2
	global_store_b32 v[0:1], v2, off
.LBB103_470:
	s_wait_xcnt 0x0
	s_or_b32 exec_lo, exec_lo, s2
	v_pk_mul_f32 v[0:1], v[96:97], v[208:209] op_sel:[1,1] op_sel_hi:[0,1]
	v_cmp_lt_u32_e32 vcc_lo, 51, v116
	s_clause 0x28
	global_store_b64 v[16:17], v[98:99], off
	global_store_b64 v[174:175], v[54:55], off
	;; [unrolled: 1-line block ×41, first 2 shown]
	v_pk_fma_f32 v[2:3], v[96:97], v[208:209], v[0:1] op_sel_hi:[1,0,1]
	v_pk_fma_f32 v[0:1], v[96:97], v[208:209], v[0:1] neg_lo:[0,0,1] neg_hi:[0,0,1]
	s_delay_alu instid0(VALU_DEP_1)
	v_dual_cndmask_b32 v1, v209, v3 :: v_dual_cndmask_b32 v0, v208, v0
	scratch_load_b64 v[2:3], off, off th:TH_LOAD_LU ; 8-byte Folded Reload
	s_wait_loadcnt 0x0
	global_store_b64 v[2:3], v[178:179], off
	scratch_load_b64 v[2:3], off, off offset:8 th:TH_LOAD_LU ; 8-byte Folded Reload
	s_wait_loadcnt 0x0
	global_store_b64 v[2:3], v[180:181], off
	scratch_load_b64 v[2:3], off, off offset:16 th:TH_LOAD_LU ; 8-byte Folded Reload
	;; [unrolled: 3-line block ×10, first 2 shown]
	s_wait_loadcnt 0x0
	global_store_b64 v[2:3], v[0:1], off
.LBB103_471:
	s_sendmsg sendmsg(MSG_DEALLOC_VGPRS)
	s_endpgm
	.section	.rodata,"a",@progbits
	.p2align	6, 0x0
	.amdhsa_kernel _ZN9rocsolver6v33100L23getf2_npvt_small_kernelILi52E19rocblas_complex_numIfEiiPS3_EEvT1_T3_lS5_lPT2_S5_S5_
		.amdhsa_group_segment_fixed_size 0
		.amdhsa_private_segment_fixed_size 284
		.amdhsa_kernarg_size 312
		.amdhsa_user_sgpr_count 2
		.amdhsa_user_sgpr_dispatch_ptr 0
		.amdhsa_user_sgpr_queue_ptr 0
		.amdhsa_user_sgpr_kernarg_segment_ptr 1
		.amdhsa_user_sgpr_dispatch_id 0
		.amdhsa_user_sgpr_kernarg_preload_length 0
		.amdhsa_user_sgpr_kernarg_preload_offset 0
		.amdhsa_user_sgpr_private_segment_size 0
		.amdhsa_wavefront_size32 1
		.amdhsa_uses_dynamic_stack 0
		.amdhsa_enable_private_segment 1
		.amdhsa_system_sgpr_workgroup_id_x 1
		.amdhsa_system_sgpr_workgroup_id_y 1
		.amdhsa_system_sgpr_workgroup_id_z 0
		.amdhsa_system_sgpr_workgroup_info 0
		.amdhsa_system_vgpr_workitem_id 1
		.amdhsa_next_free_vgpr 256
		.amdhsa_next_free_sgpr 15
		.amdhsa_named_barrier_count 0
		.amdhsa_reserve_vcc 1
		.amdhsa_float_round_mode_32 0
		.amdhsa_float_round_mode_16_64 0
		.amdhsa_float_denorm_mode_32 3
		.amdhsa_float_denorm_mode_16_64 3
		.amdhsa_fp16_overflow 0
		.amdhsa_memory_ordered 1
		.amdhsa_forward_progress 1
		.amdhsa_inst_pref_size 255
		.amdhsa_round_robin_scheduling 0
		.amdhsa_exception_fp_ieee_invalid_op 0
		.amdhsa_exception_fp_denorm_src 0
		.amdhsa_exception_fp_ieee_div_zero 0
		.amdhsa_exception_fp_ieee_overflow 0
		.amdhsa_exception_fp_ieee_underflow 0
		.amdhsa_exception_fp_ieee_inexact 0
		.amdhsa_exception_int_div_zero 0
	.end_amdhsa_kernel
	.section	.text._ZN9rocsolver6v33100L23getf2_npvt_small_kernelILi52E19rocblas_complex_numIfEiiPS3_EEvT1_T3_lS5_lPT2_S5_S5_,"axG",@progbits,_ZN9rocsolver6v33100L23getf2_npvt_small_kernelILi52E19rocblas_complex_numIfEiiPS3_EEvT1_T3_lS5_lPT2_S5_S5_,comdat
.Lfunc_end103:
	.size	_ZN9rocsolver6v33100L23getf2_npvt_small_kernelILi52E19rocblas_complex_numIfEiiPS3_EEvT1_T3_lS5_lPT2_S5_S5_, .Lfunc_end103-_ZN9rocsolver6v33100L23getf2_npvt_small_kernelILi52E19rocblas_complex_numIfEiiPS3_EEvT1_T3_lS5_lPT2_S5_S5_
                                        ; -- End function
	.set _ZN9rocsolver6v33100L23getf2_npvt_small_kernelILi52E19rocblas_complex_numIfEiiPS3_EEvT1_T3_lS5_lPT2_S5_S5_.num_vgpr, 256
	.set _ZN9rocsolver6v33100L23getf2_npvt_small_kernelILi52E19rocblas_complex_numIfEiiPS3_EEvT1_T3_lS5_lPT2_S5_S5_.num_agpr, 0
	.set _ZN9rocsolver6v33100L23getf2_npvt_small_kernelILi52E19rocblas_complex_numIfEiiPS3_EEvT1_T3_lS5_lPT2_S5_S5_.numbered_sgpr, 15
	.set _ZN9rocsolver6v33100L23getf2_npvt_small_kernelILi52E19rocblas_complex_numIfEiiPS3_EEvT1_T3_lS5_lPT2_S5_S5_.num_named_barrier, 0
	.set _ZN9rocsolver6v33100L23getf2_npvt_small_kernelILi52E19rocblas_complex_numIfEiiPS3_EEvT1_T3_lS5_lPT2_S5_S5_.private_seg_size, 284
	.set _ZN9rocsolver6v33100L23getf2_npvt_small_kernelILi52E19rocblas_complex_numIfEiiPS3_EEvT1_T3_lS5_lPT2_S5_S5_.uses_vcc, 1
	.set _ZN9rocsolver6v33100L23getf2_npvt_small_kernelILi52E19rocblas_complex_numIfEiiPS3_EEvT1_T3_lS5_lPT2_S5_S5_.uses_flat_scratch, 1
	.set _ZN9rocsolver6v33100L23getf2_npvt_small_kernelILi52E19rocblas_complex_numIfEiiPS3_EEvT1_T3_lS5_lPT2_S5_S5_.has_dyn_sized_stack, 0
	.set _ZN9rocsolver6v33100L23getf2_npvt_small_kernelILi52E19rocblas_complex_numIfEiiPS3_EEvT1_T3_lS5_lPT2_S5_S5_.has_recursion, 0
	.set _ZN9rocsolver6v33100L23getf2_npvt_small_kernelILi52E19rocblas_complex_numIfEiiPS3_EEvT1_T3_lS5_lPT2_S5_S5_.has_indirect_call, 0
	.section	.AMDGPU.csdata,"",@progbits
; Kernel info:
; codeLenInByte = 114480
; TotalNumSgprs: 17
; NumVgprs: 256
; ScratchSize: 284
; MemoryBound: 0
; FloatMode: 240
; IeeeMode: 1
; LDSByteSize: 0 bytes/workgroup (compile time only)
; SGPRBlocks: 0
; VGPRBlocks: 15
; NumSGPRsForWavesPerEU: 17
; NumVGPRsForWavesPerEU: 256
; NamedBarCnt: 0
; Occupancy: 4
; WaveLimiterHint : 0
; COMPUTE_PGM_RSRC2:SCRATCH_EN: 1
; COMPUTE_PGM_RSRC2:USER_SGPR: 2
; COMPUTE_PGM_RSRC2:TRAP_HANDLER: 0
; COMPUTE_PGM_RSRC2:TGID_X_EN: 1
; COMPUTE_PGM_RSRC2:TGID_Y_EN: 1
; COMPUTE_PGM_RSRC2:TGID_Z_EN: 0
; COMPUTE_PGM_RSRC2:TIDIG_COMP_CNT: 1
	.section	.text._ZN9rocsolver6v33100L18getf2_small_kernelILi53E19rocblas_complex_numIfEiiPS3_EEvT1_T3_lS5_lPS5_llPT2_S5_S5_S7_l,"axG",@progbits,_ZN9rocsolver6v33100L18getf2_small_kernelILi53E19rocblas_complex_numIfEiiPS3_EEvT1_T3_lS5_lPS5_llPT2_S5_S5_S7_l,comdat
	.globl	_ZN9rocsolver6v33100L18getf2_small_kernelILi53E19rocblas_complex_numIfEiiPS3_EEvT1_T3_lS5_lPS5_llPT2_S5_S5_S7_l ; -- Begin function _ZN9rocsolver6v33100L18getf2_small_kernelILi53E19rocblas_complex_numIfEiiPS3_EEvT1_T3_lS5_lPS5_llPT2_S5_S5_S7_l
	.p2align	8
	.type	_ZN9rocsolver6v33100L18getf2_small_kernelILi53E19rocblas_complex_numIfEiiPS3_EEvT1_T3_lS5_lPS5_llPT2_S5_S5_S7_l,@function
_ZN9rocsolver6v33100L18getf2_small_kernelILi53E19rocblas_complex_numIfEiiPS3_EEvT1_T3_lS5_lPS5_llPT2_S5_S5_S7_l: ; @_ZN9rocsolver6v33100L18getf2_small_kernelILi53E19rocblas_complex_numIfEiiPS3_EEvT1_T3_lS5_lPS5_llPT2_S5_S5_S7_l
; %bb.0:
	s_clause 0x1
	s_load_u16 s2, s[0:1], 0x6e
	s_load_b64 s[16:17], s[0:1], 0x48
	s_bfe_u32 s3, ttmp6, 0x40010
	s_bfe_u32 s4, ttmp6, 0x40004
	s_add_co_i32 s3, s3, 1
	s_getreg_b32 s5, hwreg(HW_REG_IB_STS2, 6, 4)
	s_mul_i32 s3, ttmp7, s3
	v_bfe_u32 v114, v0, 10, 10
	s_add_co_i32 s4, s4, s3
	s_cmp_eq_u32 s5, 0
	s_cselect_b32 s3, ttmp7, s4
	s_wait_kmcnt 0x0
	v_mad_u32 v2, s3, s2, v114
	s_mov_b32 s2, exec_lo
	s_delay_alu instid0(VALU_DEP_1)
	v_cmpx_gt_i32_e64 s16, v2
	s_cbranch_execnz .LBB104_1
; %bb.1115:
	s_add_pc_i64 .LBB104_1114-.Lpost_addpc0
.Lpost_addpc0:
.LBB104_1:
	s_load_b128 s[4:7], s[0:1], 0x50
	v_mov_b64_e32 v[4:5], 0
	v_ashrrev_i32_e32 v3, 31, v2
	s_wait_kmcnt 0x0
	s_cmp_eq_u64 s[4:5], 0
	s_cselect_b32 s16, -1, 0
	s_delay_alu instid0(SALU_CYCLE_1)
	s_and_b32 vcc_lo, exec_lo, s16
	s_cbranch_vccnz .LBB104_3
; %bb.2:
	v_mul_u64_e32 v[4:5], s[6:7], v[2:3]
	s_delay_alu instid0(VALU_DEP_1)
	v_lshl_add_u64 v[4:5], v[4:5], 2, s[4:5]
.LBB104_3:
	s_clause 0x2
	s_load_b32 s2, s[0:1], 0x18
	s_load_b128 s[12:15], s[0:1], 0x8
	s_load_b32 s18, s[0:1], 0x0
	v_and_b32_e32 v119, 0x3ff, v0
	s_load_b256 s[4:11], s[0:1], 0x20
	s_delay_alu instid0(VALU_DEP_1) | instskip(SKIP_4) | instid1(VALU_DEP_2)
	v_dual_mov_b32 v113, 0 :: v_dual_lshlrev_b32 v112, 3, v119
	s_wait_kmcnt 0x0
	v_add3_u32 v6, s2, s2, v119
	s_ashr_i32 s3, s2, 31
	v_mul_u64_e32 v[0:1], s[4:5], v[2:3]
	v_add_nc_u32_e32 v8, s2, v6
	s_max_i32 s4, s18, 53
	s_cmp_lt_i32 s18, 2
	s_delay_alu instid0(VALU_DEP_1) | instskip(NEXT) | instid1(VALU_DEP_1)
	v_dual_ashrrev_i32 v7, 31, v6 :: v_dual_add_nc_u32 v10, s2, v8
	v_add_nc_u32_e32 v12, s2, v10
	s_delay_alu instid0(VALU_DEP_1) | instskip(NEXT) | instid1(VALU_DEP_1)
	v_add_nc_u32_e32 v14, s2, v12
	v_dual_ashrrev_i32 v9, 31, v8 :: v_dual_add_nc_u32 v16, s2, v14
	s_delay_alu instid0(VALU_DEP_1) | instskip(SKIP_1) | instid1(VALU_DEP_2)
	v_dual_add_nc_u32 v18, s2, v16 :: v_dual_ashrrev_i32 v11, 31, v10
	v_ashrrev_i32_e32 v13, 31, v12
	v_dual_ashrrev_i32 v17, 31, v16 :: v_dual_add_nc_u32 v20, s2, v18
	v_lshl_add_u64 v[0:1], v[0:1], 3, s[12:13]
	s_delay_alu instid0(VALU_DEP_2) | instskip(NEXT) | instid1(VALU_DEP_2)
	v_add_nc_u32_e32 v22, s2, v20
	v_lshl_add_u64 v[0:1], s[14:15], 3, v[0:1]
	s_delay_alu instid0(VALU_DEP_2) | instskip(NEXT) | instid1(VALU_DEP_2)
	v_add_nc_u32_e32 v24, s2, v22
	v_lshl_add_u64 v[10:11], v[10:11], 3, v[0:1]
	v_add_nc_u64_e32 v[44:45], v[0:1], v[112:113]
	v_lshl_add_u64 v[12:13], v[12:13], 3, v[0:1]
	v_lshl_add_u64 v[6:7], v[6:7], 3, v[0:1]
	v_add_nc_u32_e32 v26, s2, v24
	v_lshl_add_u64 v[8:9], v[8:9], 3, v[0:1]
	v_dual_ashrrev_i32 v19, 31, v18 :: v_dual_ashrrev_i32 v21, 31, v20
	v_lshl_add_u64 v[16:17], v[16:17], 3, v[0:1]
	s_delay_alu instid0(VALU_DEP_4) | instskip(NEXT) | instid1(VALU_DEP_3)
	v_add_nc_u32_e32 v28, s2, v26
	v_lshl_add_u64 v[18:19], v[18:19], 3, v[0:1]
	s_delay_alu instid0(VALU_DEP_4) | instskip(NEXT) | instid1(VALU_DEP_3)
	v_lshl_add_u64 v[20:21], v[20:21], 3, v[0:1]
	v_add_nc_u32_e32 v30, s2, v28
	v_ashrrev_i32_e32 v25, 31, v24
	s_delay_alu instid0(VALU_DEP_2) | instskip(NEXT) | instid1(VALU_DEP_1)
	v_dual_ashrrev_i32 v29, 31, v28 :: v_dual_add_nc_u32 v32, s2, v30
	v_dual_ashrrev_i32 v27, 31, v26 :: v_dual_ashrrev_i32 v33, 31, v32
	v_add_nc_u32_e32 v34, s2, v32
	s_delay_alu instid0(VALU_DEP_1) | instskip(NEXT) | instid1(VALU_DEP_1)
	v_add_nc_u32_e32 v36, s2, v34
	v_dual_ashrrev_i32 v31, 31, v30 :: v_dual_ashrrev_i32 v37, 31, v36
	v_add_nc_u32_e32 v38, s2, v36
	s_delay_alu instid0(VALU_DEP_1) | instskip(SKIP_1) | instid1(VALU_DEP_2)
	v_add_nc_u32_e32 v40, s2, v38
	v_ashrrev_i32_e32 v15, 31, v14
	v_dual_ashrrev_i32 v39, 31, v38 :: v_dual_add_nc_u32 v42, s2, v40
	s_delay_alu instid0(VALU_DEP_2)
	v_lshl_add_u64 v[14:15], v[14:15], 3, v[0:1]
	s_clause 0x3
	global_load_b64 v[60:61], v[10:11], off
	global_load_b64 v[56:57], v[12:13], off
	;; [unrolled: 1-line block ×4, first 2 shown]
	v_add_nc_u32_e32 v46, s2, v42
	s_wait_xcnt 0x3
	v_lshl_add_u64 v[10:11], s[2:3], 3, v[44:45]
	s_clause 0x3
	global_load_b64 v[104:105], v[6:7], off
	global_load_b64 v[102:103], v[8:9], off
	;; [unrolled: 1-line block ×4, first 2 shown]
	s_wait_xcnt 0x3
	v_lshl_add_u64 v[6:7], v[24:25], 3, v[0:1]
	v_add_nc_u32_e32 v48, s2, v46
	s_wait_xcnt 0x0
	v_lshl_add_u64 v[10:11], v[26:27], 3, v[0:1]
	v_lshl_add_u64 v[24:25], v[38:39], 3, v[0:1]
	;; [unrolled: 1-line block ×3, first 2 shown]
	v_ashrrev_i32_e32 v41, 31, v40
	v_dual_add_nc_u32 v50, s2, v48 :: v_dual_ashrrev_i32 v47, 31, v46
	v_ashrrev_i32_e32 v49, 31, v48
	s_delay_alu instid0(VALU_DEP_3) | instskip(NEXT) | instid1(VALU_DEP_3)
	v_lshl_add_u64 v[26:27], v[40:41], 3, v[0:1]
	v_add_nc_u32_e32 v14, s2, v50
	s_delay_alu instid0(VALU_DEP_1) | instskip(SKIP_1) | instid1(VALU_DEP_1)
	v_add_nc_u32_e32 v8, s2, v14
	v_ashrrev_i32_e32 v23, 31, v22
	v_lshl_add_u64 v[12:13], v[22:23], 3, v[0:1]
	s_clause 0x3
	global_load_b64 v[100:101], v[18:19], off
	global_load_b64 v[96:97], v[20:21], off
	;; [unrolled: 1-line block ×4, first 2 shown]
	s_wait_xcnt 0x0
	v_add_nc_u32_e32 v6, s2, v8
	v_lshl_add_u64 v[18:19], v[30:31], 3, v[0:1]
	v_lshl_add_u64 v[20:21], v[32:33], 3, v[0:1]
	s_clause 0x3
	global_load_b64 v[92:93], v[10:11], off
	global_load_b64 v[88:89], v[16:17], off
	;; [unrolled: 1-line block ×4, first 2 shown]
	v_add_nc_u32_e32 v12, s2, v6
	s_wait_xcnt 0x0
	v_lshl_add_u64 v[20:21], v[36:37], 3, v[0:1]
	v_ashrrev_i32_e32 v7, 31, v6
	v_lshl_add_u64 v[30:31], v[48:49], 3, v[0:1]
	v_dual_add_nc_u32 v22, s2, v12 :: v_dual_ashrrev_i32 v43, 31, v42
	v_ashrrev_i32_e32 v9, 31, v8
	s_delay_alu instid0(VALU_DEP_4) | instskip(NEXT) | instid1(VALU_DEP_3)
	v_lshl_add_u64 v[6:7], v[6:7], 3, v[0:1]
	v_dual_ashrrev_i32 v13, 31, v12 :: v_dual_add_nc_u32 v10, s2, v22
	v_ashrrev_i32_e32 v23, 31, v22
	s_delay_alu instid0(VALU_DEP_4) | instskip(NEXT) | instid1(VALU_DEP_3)
	v_lshl_add_u64 v[8:9], v[8:9], 3, v[0:1]
	v_lshl_add_u64 v[12:13], v[12:13], 3, v[0:1]
	s_delay_alu instid0(VALU_DEP_4) | instskip(NEXT) | instid1(VALU_DEP_1)
	v_dual_add_nc_u32 v18, s2, v10 :: v_dual_ashrrev_i32 v11, 31, v10
	v_add_nc_u32_e32 v28, s2, v18
	v_ashrrev_i32_e32 v35, 31, v34
	v_ashrrev_i32_e32 v51, 31, v50
	s_delay_alu instid0(VALU_DEP_4) | instskip(NEXT) | instid1(VALU_DEP_4)
	v_lshl_add_u64 v[10:11], v[10:11], 3, v[0:1]
	v_ashrrev_i32_e32 v29, 31, v28
	s_delay_alu instid0(VALU_DEP_4)
	v_lshl_add_u64 v[16:17], v[34:35], 3, v[0:1]
	s_clause 0x3
	global_load_b64 v[84:85], v[16:17], off
	global_load_b64 v[80:81], v[20:21], off
	;; [unrolled: 1-line block ×4, first 2 shown]
	s_wait_xcnt 0x3
	v_add_nc_u32_e32 v16, s2, v28
	s_wait_xcnt 0x2
	v_lshl_add_u64 v[20:21], v[42:43], 3, v[0:1]
	s_wait_xcnt 0x0
	v_lshl_add_u64 v[26:27], v[46:47], 3, v[0:1]
	v_lshl_add_u64 v[32:33], v[50:51], 3, v[0:1]
	s_clause 0x3
	global_load_b64 v[76:77], v[20:21], off
	global_load_b64 v[72:73], v[26:27], off
	;; [unrolled: 1-line block ×4, first 2 shown]
	v_dual_add_nc_u32 v24, s2, v16 :: v_dual_ashrrev_i32 v15, 31, v14
	v_ashrrev_i32_e32 v17, 31, v16
	s_delay_alu instid0(VALU_DEP_2) | instskip(NEXT) | instid1(VALU_DEP_3)
	v_add_nc_u32_e32 v34, s2, v24
	v_lshl_add_u64 v[14:15], v[14:15], 3, v[0:1]
	s_clause 0x3
	global_load_b64 v[68:69], v[14:15], off
	global_load_b64 v[64:65], v[8:9], off
	;; [unrolled: 1-line block ×4, first 2 shown]
	s_wait_xcnt 0x7
	v_dual_add_nc_u32 v20, s2, v34 :: v_dual_ashrrev_i32 v25, 31, v24
	v_ashrrev_i32_e32 v19, 31, v18
	s_wait_xcnt 0x2
	v_lshl_add_u64 v[8:9], v[22:23], 3, v[0:1]
	s_delay_alu instid0(VALU_DEP_3) | instskip(NEXT) | instid1(VALU_DEP_3)
	v_add_nc_u32_e32 v26, s2, v20
	v_lshl_add_u64 v[14:15], v[18:19], 3, v[0:1]
	v_lshl_add_u64 v[18:19], v[28:29], 3, v[0:1]
	s_clause 0x3
	global_load_b64 v[52:53], v[8:9], off
	global_load_b64 v[48:49], v[10:11], off
	;; [unrolled: 1-line block ×4, first 2 shown]
	v_add_nc_u32_e32 v30, s2, v26
	s_wait_xcnt 0x2
	v_lshl_add_u64 v[10:11], v[16:17], 3, v[0:1]
	v_lshl_add_u64 v[16:17], v[24:25], 3, v[0:1]
	s_delay_alu instid0(VALU_DEP_3) | instskip(NEXT) | instid1(VALU_DEP_1)
	v_add_nc_u32_e32 v6, s2, v30
	v_add_nc_u32_e32 v12, s2, v6
	s_delay_alu instid0(VALU_DEP_1) | instskip(SKIP_3) | instid1(VALU_DEP_3)
	v_dual_ashrrev_i32 v35, 31, v34 :: v_dual_ashrrev_i32 v13, 31, v12
	v_add_nc_u32_e32 v22, s2, v12
	v_ashrrev_i32_e32 v21, 31, v20
	s_wait_xcnt 0x0
	v_lshl_add_u64 v[18:19], v[34:35], 3, v[0:1]
	v_ashrrev_i32_e32 v7, 31, v6
	v_lshl_add_u64 v[12:13], v[12:13], 3, v[0:1]
	v_add_nc_u32_e32 v8, s2, v22
	v_lshl_add_u64 v[20:21], v[20:21], 3, v[0:1]
	s_clause 0x3
	global_load_b64 v[44:45], v[10:11], off
	global_load_b64 v[40:41], v[16:17], off
	;; [unrolled: 1-line block ×4, first 2 shown]
	v_lshl_add_u64 v[6:7], v[6:7], 3, v[0:1]
	v_dual_add_nc_u32 v14, s2, v8 :: v_dual_ashrrev_i32 v9, 31, v8
	s_delay_alu instid0(VALU_DEP_1) | instskip(SKIP_1) | instid1(VALU_DEP_3)
	v_add_nc_u32_e32 v24, s2, v14
	v_ashrrev_i32_e32 v31, 31, v30
	v_lshl_add_u64 v[8:9], v[8:9], 3, v[0:1]
	s_wait_xcnt 0x3
	s_delay_alu instid0(VALU_DEP_3) | instskip(SKIP_2) | instid1(VALU_DEP_2)
	v_dual_add_nc_u32 v10, s2, v24 :: v_dual_ashrrev_i32 v25, 31, v24
	s_wait_xcnt 0x0
	v_lshl_add_u64 v[20:21], v[30:31], 3, v[0:1]
	v_dual_add_nc_u32 v18, s2, v10 :: v_dual_ashrrev_i32 v11, 31, v10
	s_delay_alu instid0(VALU_DEP_3) | instskip(NEXT) | instid1(VALU_DEP_2)
	v_lshl_add_u64 v[110:111], v[24:25], 3, v[0:1]
	v_add_nc_u32_e32 v28, s2, v18
	v_ashrrev_i32_e32 v27, 31, v26
	v_ashrrev_i32_e32 v15, 31, v14
	v_lshl_add_u64 v[120:121], v[10:11], 3, v[0:1]
	s_delay_alu instid0(VALU_DEP_3)
	v_lshl_add_u64 v[16:17], v[26:27], 3, v[0:1]
	s_clause 0x3
	global_load_b64 v[36:37], v[16:17], off
	global_load_b64 v[32:33], v[20:21], off
	;; [unrolled: 1-line block ×4, first 2 shown]
	s_wait_xcnt 0x1
	v_add_nc_u32_e32 v6, s2, v28
	v_lshl_add_u64 v[14:15], v[14:15], 3, v[0:1]
	s_delay_alu instid0(VALU_DEP_2) | instskip(SKIP_1) | instid1(VALU_DEP_2)
	v_add_nc_u32_e32 v16, s2, v6
	v_ashrrev_i32_e32 v23, 31, v22
	v_dual_ashrrev_i32 v19, 31, v18 :: v_dual_ashrrev_i32 v17, 31, v16
	v_add_nc_u32_e32 v116, s2, v16
	s_wait_xcnt 0x0
	s_delay_alu instid0(VALU_DEP_3)
	v_lshl_add_u64 v[12:13], v[22:23], 3, v[0:1]
	s_clause 0x3
	global_load_b64 v[26:27], v[12:13], off
	global_load_b64 v[22:23], v[8:9], off
	;; [unrolled: 1-line block ×4, first 2 shown]
	s_wait_xcnt 0x0
	v_add_nc_u32_e32 v110, s2, v116
	v_dual_ashrrev_i32 v29, 31, v28 :: v_dual_ashrrev_i32 v7, 31, v6
	v_ashrrev_i32_e32 v117, 31, v116
	v_lshl_add_u64 v[18:19], v[18:19], 3, v[0:1]
	s_delay_alu instid0(VALU_DEP_4) | instskip(NEXT) | instid1(VALU_DEP_4)
	v_dual_add_nc_u32 v122, s2, v110 :: v_dual_ashrrev_i32 v111, 31, v110
	v_lshl_add_u64 v[28:29], v[28:29], 3, v[0:1]
	v_lshl_add_u64 v[6:7], v[6:7], 3, v[0:1]
	s_clause 0x3
	global_load_b64 v[14:15], v[120:121], off
	global_load_b64 v[10:11], v[18:19], off
	;; [unrolled: 1-line block ×4, first 2 shown]
	v_dual_add_nc_u32 v124, s2, v122 :: v_dual_ashrrev_i32 v123, 31, v122
	s_wait_xcnt 0x3
	v_lshl_add_u64 v[120:121], v[16:17], 3, v[0:1]
	v_lshl_add_u64 v[116:117], v[116:117], 3, v[0:1]
	;; [unrolled: 1-line block ×3, first 2 shown]
	v_ashrrev_i32_e32 v125, 31, v124
	v_lshl_add_u64 v[122:123], v[122:123], 3, v[0:1]
	s_delay_alu instid0(VALU_DEP_2)
	v_lshl_add_u64 v[124:125], v[124:125], 3, v[0:1]
	s_clause 0x4
	global_load_b64 v[6:7], v[120:121], off
	global_load_b64 v[28:29], v[116:117], off
	;; [unrolled: 1-line block ×5, first 2 shown]
	s_wait_xcnt 0x3
	v_mul_lo_u32 v117, s4, v114
	s_load_b64 s[4:5], s[0:1], 0x40
	s_delay_alu instid0(VALU_DEP_1) | instskip(NEXT) | instid1(VALU_DEP_1)
	v_lshl_add_u32 v116, v117, 3, 0
	v_dual_lshlrev_b32 v117, 3, v117 :: v_dual_add_nc_u32 v112, v116, v112
	s_wait_loadcnt 0x2e
	ds_store_b64 v112, v[108:109]
	s_wait_loadcnt_dscnt 0x0
	s_barrier_signal -1
	s_barrier_wait -1
	ds_load_b64 v[114:115], v116
	s_cbranch_scc1 .LBB104_6
; %bb.4:
	v_add3_u32 v112, v117, 0, 8
	v_mov_b32_e32 v113, 0
	s_wait_xcnt 0x0
	s_mov_b32 s0, 1
.LBB104_5:                              ; =>This Inner Loop Header: Depth=1
	ds_load_b64 v[120:121], v112
	s_wait_dscnt 0x1
	v_cmp_gt_f32_e32 vcc_lo, 0, v114
	v_cndmask_b32_e64 v122, v114, -v114, vcc_lo
	v_cmp_gt_f32_e32 vcc_lo, 0, v115
	v_cndmask_b32_e64 v124, v115, -v115, vcc_lo
	s_wait_dscnt 0x0
	v_cmp_gt_f32_e32 vcc_lo, 0, v120
	v_cndmask_b32_e64 v123, v120, -v120, vcc_lo
	v_cmp_gt_f32_e32 vcc_lo, 0, v121
	v_cndmask_b32_e64 v125, v121, -v121, vcc_lo
	s_delay_alu instid0(VALU_DEP_1) | instskip(NEXT) | instid1(VALU_DEP_1)
	v_pk_add_f32 v[122:123], v[122:123], v[124:125]
	v_cmp_lt_f32_e32 vcc_lo, v122, v123
	v_dual_cndmask_b32 v115, v115, v121 :: v_dual_add_nc_u32 v112, 8, v112
	v_cndmask_b32_e32 v114, v114, v120, vcc_lo
	v_cndmask_b32_e64 v113, v113, s0, vcc_lo
	s_add_co_i32 s0, s0, 1
	s_delay_alu instid0(SALU_CYCLE_1)
	s_cmp_eq_u32 s18, s0
	s_cbranch_scc0 .LBB104_5
.LBB104_6:
	s_wait_dscnt 0x0
	v_cmp_neq_f32_e32 vcc_lo, 0, v114
	s_wait_xcnt 0x0
	v_cmp_neq_f32_e64 s0, 0, v115
	v_dual_mov_b32 v118, 1 :: v_dual_mov_b32 v121, 1
	s_or_b32 s1, vcc_lo, s0
	s_delay_alu instid0(SALU_CYCLE_1)
	s_and_saveexec_b32 s0, s1
	s_cbranch_execz .LBB104_12
; %bb.7:
	v_cmp_ngt_f32_e64 s1, |v114|, |v115|
	s_and_saveexec_b32 s12, s1
	s_delay_alu instid0(SALU_CYCLE_1)
	s_xor_b32 s1, exec_lo, s12
	s_cbranch_execz .LBB104_9
; %bb.8:
	v_div_scale_f32 v112, null, v115, v115, v114
	v_div_scale_f32 v121, vcc_lo, v114, v115, v114
	s_delay_alu instid0(VALU_DEP_2) | instskip(SKIP_1) | instid1(TRANS32_DEP_1)
	v_rcp_f32_e32 v118, v112
	v_nop
	v_fma_f32 v120, -v112, v118, 1.0
	s_delay_alu instid0(VALU_DEP_1) | instskip(NEXT) | instid1(VALU_DEP_1)
	v_fmac_f32_e32 v118, v120, v118
	v_mul_f32_e32 v120, v121, v118
	s_delay_alu instid0(VALU_DEP_1) | instskip(NEXT) | instid1(VALU_DEP_1)
	v_fma_f32 v122, -v112, v120, v121
	v_fmac_f32_e32 v120, v122, v118
	s_delay_alu instid0(VALU_DEP_1) | instskip(NEXT) | instid1(VALU_DEP_1)
	v_fma_f32 v112, -v112, v120, v121
	v_div_fmas_f32 v112, v112, v118, v120
	s_delay_alu instid0(VALU_DEP_1) | instskip(NEXT) | instid1(VALU_DEP_1)
	v_div_fixup_f32 v112, v112, v115, v114
	v_fmac_f32_e32 v115, v114, v112
	s_delay_alu instid0(VALU_DEP_1) | instskip(SKIP_1) | instid1(VALU_DEP_2)
	v_div_scale_f32 v114, null, v115, v115, 1.0
	v_div_scale_f32 v121, vcc_lo, 1.0, v115, 1.0
	v_rcp_f32_e32 v118, v114
	v_nop
	s_delay_alu instid0(TRANS32_DEP_1) | instskip(NEXT) | instid1(VALU_DEP_1)
	v_fma_f32 v120, -v114, v118, 1.0
	v_fmac_f32_e32 v118, v120, v118
	s_delay_alu instid0(VALU_DEP_1) | instskip(NEXT) | instid1(VALU_DEP_1)
	v_mul_f32_e32 v120, v121, v118
	v_fma_f32 v122, -v114, v120, v121
	s_delay_alu instid0(VALU_DEP_1) | instskip(NEXT) | instid1(VALU_DEP_1)
	v_fmac_f32_e32 v120, v122, v118
	v_fma_f32 v114, -v114, v120, v121
	s_delay_alu instid0(VALU_DEP_1) | instskip(NEXT) | instid1(VALU_DEP_1)
	v_div_fmas_f32 v114, v114, v118, v120
	v_div_fixup_f32 v115, v114, v115, 1.0
	s_delay_alu instid0(VALU_DEP_1)
	v_mul_f32_e32 v114, v112, v115
	v_xor_b32_e32 v115, 0x80000000, v115
.LBB104_9:
	s_and_not1_saveexec_b32 s1, s1
	s_cbranch_execz .LBB104_11
; %bb.10:
	s_delay_alu instid0(VALU_DEP_1) | instskip(SKIP_1) | instid1(VALU_DEP_2)
	v_div_scale_f32 v112, null, v114, v114, v115
	v_div_scale_f32 v121, vcc_lo, v115, v114, v115
	v_rcp_f32_e32 v118, v112
	v_nop
	s_delay_alu instid0(TRANS32_DEP_1) | instskip(NEXT) | instid1(VALU_DEP_1)
	v_fma_f32 v120, -v112, v118, 1.0
	v_fmac_f32_e32 v118, v120, v118
	s_delay_alu instid0(VALU_DEP_1) | instskip(NEXT) | instid1(VALU_DEP_1)
	v_mul_f32_e32 v120, v121, v118
	v_fma_f32 v122, -v112, v120, v121
	s_delay_alu instid0(VALU_DEP_1) | instskip(NEXT) | instid1(VALU_DEP_1)
	v_fmac_f32_e32 v120, v122, v118
	v_fma_f32 v112, -v112, v120, v121
	s_delay_alu instid0(VALU_DEP_1) | instskip(NEXT) | instid1(VALU_DEP_1)
	v_div_fmas_f32 v112, v112, v118, v120
	v_div_fixup_f32 v112, v112, v114, v115
	s_delay_alu instid0(VALU_DEP_1) | instskip(NEXT) | instid1(VALU_DEP_1)
	v_fmac_f32_e32 v114, v115, v112
	v_div_scale_f32 v115, null, v114, v114, 1.0
	s_delay_alu instid0(VALU_DEP_1) | instskip(SKIP_1) | instid1(TRANS32_DEP_1)
	v_rcp_f32_e32 v118, v115
	v_nop
	v_fma_f32 v120, -v115, v118, 1.0
	s_delay_alu instid0(VALU_DEP_1) | instskip(SKIP_1) | instid1(VALU_DEP_1)
	v_fmac_f32_e32 v118, v120, v118
	v_div_scale_f32 v120, vcc_lo, 1.0, v114, 1.0
	v_mul_f32_e32 v121, v120, v118
	s_delay_alu instid0(VALU_DEP_1) | instskip(NEXT) | instid1(VALU_DEP_1)
	v_fma_f32 v122, -v115, v121, v120
	v_fmac_f32_e32 v121, v122, v118
	s_delay_alu instid0(VALU_DEP_1) | instskip(NEXT) | instid1(VALU_DEP_1)
	v_fma_f32 v115, -v115, v121, v120
	v_div_fmas_f32 v115, v115, v118, v121
	s_delay_alu instid0(VALU_DEP_1) | instskip(NEXT) | instid1(VALU_DEP_1)
	v_div_fixup_f32 v114, v115, v114, 1.0
	v_mul_f32_e64 v115, v112, -v114
.LBB104_11:
	s_or_b32 exec_lo, exec_lo, s1
	v_dual_mov_b32 v121, 0 :: v_dual_mov_b32 v118, 2
.LBB104_12:
	s_or_b32 exec_lo, exec_lo, s0
	s_delay_alu instid0(SALU_CYCLE_1)
	s_mov_b32 s0, exec_lo
	v_cmpx_ne_u32_e64 v119, v113
	s_xor_b32 s0, exec_lo, s0
	s_cbranch_execz .LBB104_18
; %bb.13:
	s_mov_b32 s1, exec_lo
	v_cmpx_eq_u32_e32 0, v119
	s_cbranch_execz .LBB104_17
; %bb.14:
	v_cmp_ne_u32_e32 vcc_lo, 0, v113
	s_xor_b32 s12, s16, -1
	s_delay_alu instid0(SALU_CYCLE_1) | instskip(NEXT) | instid1(SALU_CYCLE_1)
	s_and_b32 s13, s12, vcc_lo
	s_and_saveexec_b32 s12, s13
	s_cbranch_execz .LBB104_16
; %bb.15:
	v_dual_mov_b32 v122, v113 :: v_dual_ashrrev_i32 v123, 31, v113
	s_delay_alu instid0(VALU_DEP_1)
	v_lshl_add_u64 v[122:123], v[122:123], 2, v[4:5]
	s_clause 0x1
	global_load_b32 v112, v[122:123], off
	global_load_b32 v119, v[4:5], off
	s_wait_loadcnt 0x1
	global_store_b32 v[4:5], v112, off
	s_wait_loadcnt 0x0
	global_store_b32 v[122:123], v119, off
.LBB104_16:
	s_wait_xcnt 0x0
	s_or_b32 exec_lo, exec_lo, s12
	v_mov_b32_e32 v119, v113
.LBB104_17:
	s_or_b32 exec_lo, exec_lo, s1
.LBB104_18:
	s_or_saveexec_b32 s0, s0
	s_delay_alu instid0(VALU_DEP_1)
	v_mov_b32_e32 v120, v119
	s_xor_b32 exec_lo, exec_lo, s0
	s_cbranch_execz .LBB104_20
; %bb.19:
	v_mov_b32_e32 v120, 0
	ds_store_2addr_b64 v116, v[106:107], v[104:105] offset0:1 offset1:2
	ds_store_2addr_b64 v116, v[102:103], v[60:61] offset0:3 offset1:4
	;; [unrolled: 1-line block ×26, first 2 shown]
.LBB104_20:
	s_or_b32 exec_lo, exec_lo, s0
	s_delay_alu instid0(SALU_CYCLE_1)
	s_mov_b32 s0, exec_lo
	s_wait_storecnt_dscnt 0x0
	s_barrier_signal -1
	s_barrier_wait -1
	v_cmpx_lt_i32_e32 0, v120
	s_cbranch_execz .LBB104_22
; %bb.21:
	v_pk_mul_f32 v[122:123], v[114:115], v[108:109] op_sel:[1,1] op_sel_hi:[0,1]
	s_delay_alu instid0(VALU_DEP_1)
	v_pk_fma_f32 v[112:113], v[114:115], v[108:109], v[122:123] op_sel_hi:[1,0,1] neg_lo:[0,0,1] neg_hi:[0,0,1]
	v_pk_fma_f32 v[114:115], v[114:115], v[108:109], v[122:123] op_sel_hi:[1,0,1]
	ds_load_2addr_b64 v[122:125], v116 offset0:1 offset1:2
	v_dual_mov_b32 v108, v112 :: v_dual_mov_b32 v109, v115
	s_wait_dscnt 0x0
	v_pk_mul_f32 v[126:127], v[122:123], v[114:115] op_sel:[0,1]
	s_delay_alu instid0(VALU_DEP_1) | instskip(SKIP_1) | instid1(VALU_DEP_1)
	v_pk_fma_f32 v[128:129], v[122:123], v[112:113], v[126:127] op_sel:[0,0,1] op_sel_hi:[1,1,0] neg_lo:[0,0,1] neg_hi:[0,0,1]
	v_pk_fma_f32 v[122:123], v[122:123], v[112:113], v[126:127] op_sel:[0,0,1] op_sel_hi:[1,0,0]
	v_mov_b32_e32 v129, v123
	v_pk_mul_f32 v[122:123], v[124:125], v[114:115] op_sel:[0,1]
	s_delay_alu instid0(VALU_DEP_1) | instskip(SKIP_1) | instid1(VALU_DEP_1)
	v_pk_fma_f32 v[126:127], v[124:125], v[112:113], v[122:123] op_sel:[0,0,1] op_sel_hi:[1,1,0] neg_lo:[0,0,1] neg_hi:[0,0,1]
	v_pk_fma_f32 v[122:123], v[124:125], v[112:113], v[122:123] op_sel:[0,0,1] op_sel_hi:[1,0,0]
	v_mov_b32_e32 v127, v123
	ds_load_2addr_b64 v[122:125], v116 offset0:3 offset1:4
	v_pk_add_f32 v[106:107], v[106:107], v[128:129] neg_lo:[0,1] neg_hi:[0,1]
	v_pk_add_f32 v[104:105], v[104:105], v[126:127] neg_lo:[0,1] neg_hi:[0,1]
	s_wait_dscnt 0x0
	v_pk_mul_f32 v[126:127], v[122:123], v[114:115] op_sel:[0,1]
	s_delay_alu instid0(VALU_DEP_1) | instskip(SKIP_2) | instid1(VALU_DEP_2)
	v_pk_fma_f32 v[128:129], v[122:123], v[112:113], v[126:127] op_sel:[0,0,1] op_sel_hi:[1,1,0] neg_lo:[0,0,1] neg_hi:[0,0,1]
	v_pk_fma_f32 v[122:123], v[122:123], v[112:113], v[126:127] op_sel:[0,0,1] op_sel_hi:[1,0,0]
	v_dual_mul_f32 v126, v125, v115 :: v_dual_mov_b32 v122, v125
	v_dual_mov_b32 v129, v123 :: v_dual_mov_b32 v123, v124
	s_delay_alu instid0(VALU_DEP_2) | instskip(SKIP_1) | instid1(VALU_DEP_3)
	v_pk_fma_f32 v[126:127], v[124:125], v[108:109], v[126:127] op_sel_hi:[1,1,0] neg_lo:[0,0,1] neg_hi:[0,0,1]
	v_mul_f32_e32 v124, v125, v112
	v_pk_add_f32 v[102:103], v[102:103], v[128:129] neg_lo:[0,1] neg_hi:[0,1]
	s_delay_alu instid0(VALU_DEP_2) | instskip(NEXT) | instid1(VALU_DEP_1)
	v_pk_fma_f32 v[122:123], v[122:123], v[108:109], v[124:125] op_sel_hi:[1,1,0]
	v_mov_b32_e32 v127, v123
	ds_load_2addr_b64 v[122:125], v116 offset0:5 offset1:6
	v_pk_add_f32 v[60:61], v[60:61], v[126:127] neg_lo:[0,1] neg_hi:[0,1]
	s_wait_dscnt 0x0
	v_pk_mul_f32 v[126:127], v[122:123], v[114:115] op_sel:[0,1]
	s_delay_alu instid0(VALU_DEP_1) | instskip(SKIP_1) | instid1(VALU_DEP_1)
	v_pk_fma_f32 v[128:129], v[122:123], v[112:113], v[126:127] op_sel:[0,0,1] op_sel_hi:[1,1,0] neg_lo:[0,0,1] neg_hi:[0,0,1]
	v_pk_fma_f32 v[122:123], v[122:123], v[112:113], v[126:127] op_sel:[0,0,1] op_sel_hi:[1,0,0]
	v_mov_b32_e32 v129, v123
	v_pk_mul_f32 v[122:123], v[124:125], v[114:115] op_sel:[0,1]
	s_delay_alu instid0(VALU_DEP_1) | instskip(SKIP_1) | instid1(VALU_DEP_1)
	v_pk_fma_f32 v[126:127], v[124:125], v[112:113], v[122:123] op_sel:[0,0,1] op_sel_hi:[1,1,0] neg_lo:[0,0,1] neg_hi:[0,0,1]
	v_pk_fma_f32 v[122:123], v[124:125], v[112:113], v[122:123] op_sel:[0,0,1] op_sel_hi:[1,0,0]
	v_mov_b32_e32 v127, v123
	ds_load_2addr_b64 v[122:125], v116 offset0:7 offset1:8
	v_pk_add_f32 v[56:57], v[56:57], v[128:129] neg_lo:[0,1] neg_hi:[0,1]
	v_pk_add_f32 v[58:59], v[58:59], v[126:127] neg_lo:[0,1] neg_hi:[0,1]
	s_wait_dscnt 0x0
	v_pk_mul_f32 v[126:127], v[122:123], v[114:115] op_sel:[0,1]
	s_delay_alu instid0(VALU_DEP_1) | instskip(SKIP_1) | instid1(VALU_DEP_1)
	v_pk_fma_f32 v[128:129], v[122:123], v[112:113], v[126:127] op_sel:[0,0,1] op_sel_hi:[1,1,0] neg_lo:[0,0,1] neg_hi:[0,0,1]
	v_pk_fma_f32 v[122:123], v[122:123], v[112:113], v[126:127] op_sel:[0,0,1] op_sel_hi:[1,0,0]
	v_mov_b32_e32 v129, v123
	v_pk_mul_f32 v[122:123], v[124:125], v[114:115] op_sel:[0,1]
	s_delay_alu instid0(VALU_DEP_1) | instskip(SKIP_1) | instid1(VALU_DEP_1)
	v_pk_fma_f32 v[126:127], v[124:125], v[112:113], v[122:123] op_sel:[0,0,1] op_sel_hi:[1,1,0] neg_lo:[0,0,1] neg_hi:[0,0,1]
	v_pk_fma_f32 v[122:123], v[124:125], v[112:113], v[122:123] op_sel:[0,0,1] op_sel_hi:[1,0,0]
	v_mov_b32_e32 v127, v123
	ds_load_2addr_b64 v[122:125], v116 offset0:9 offset1:10
	v_pk_add_f32 v[54:55], v[54:55], v[128:129] neg_lo:[0,1] neg_hi:[0,1]
	v_pk_add_f32 v[100:101], v[100:101], v[126:127] neg_lo:[0,1] neg_hi:[0,1]
	s_wait_dscnt 0x0
	v_dual_mul_f32 v126, v123, v115 :: v_dual_mul_f32 v128, v123, v112
	s_delay_alu instid0(VALU_DEP_1) | instskip(NEXT) | instid1(VALU_DEP_2)
	v_pk_fma_f32 v[126:127], v[122:123], v[108:109], v[126:127] op_sel_hi:[1,1,0] neg_lo:[0,0,1] neg_hi:[0,0,1]
	v_pk_fma_f32 v[122:123], v[122:123], v[108:109], v[128:129] op_sel:[1,0,0] op_sel_hi:[0,1,0]
	s_delay_alu instid0(VALU_DEP_1) | instskip(SKIP_1) | instid1(VALU_DEP_2)
	v_mov_b32_e32 v127, v123
	v_pk_mul_f32 v[122:123], v[124:125], v[114:115] op_sel:[0,1]
	v_pk_add_f32 v[96:97], v[96:97], v[126:127] neg_lo:[0,1] neg_hi:[0,1]
	s_delay_alu instid0(VALU_DEP_2) | instskip(SKIP_1) | instid1(VALU_DEP_1)
	v_pk_fma_f32 v[126:127], v[124:125], v[112:113], v[122:123] op_sel:[0,0,1] op_sel_hi:[1,1,0] neg_lo:[0,0,1] neg_hi:[0,0,1]
	v_pk_fma_f32 v[122:123], v[124:125], v[112:113], v[122:123] op_sel:[0,0,1] op_sel_hi:[1,0,0]
	v_mov_b32_e32 v127, v123
	ds_load_2addr_b64 v[122:125], v116 offset0:11 offset1:12
	v_pk_add_f32 v[98:99], v[98:99], v[126:127] neg_lo:[0,1] neg_hi:[0,1]
	s_wait_dscnt 0x0
	v_pk_mul_f32 v[126:127], v[122:123], v[114:115] op_sel:[0,1]
	s_delay_alu instid0(VALU_DEP_1) | instskip(SKIP_1) | instid1(VALU_DEP_1)
	v_pk_fma_f32 v[128:129], v[122:123], v[112:113], v[126:127] op_sel:[0,0,1] op_sel_hi:[1,1,0] neg_lo:[0,0,1] neg_hi:[0,0,1]
	v_pk_fma_f32 v[122:123], v[122:123], v[112:113], v[126:127] op_sel:[0,0,1] op_sel_hi:[1,0,0]
	v_mov_b32_e32 v129, v123
	v_pk_mul_f32 v[122:123], v[124:125], v[114:115] op_sel:[0,1]
	s_delay_alu instid0(VALU_DEP_2) | instskip(NEXT) | instid1(VALU_DEP_2)
	v_pk_add_f32 v[94:95], v[94:95], v[128:129] neg_lo:[0,1] neg_hi:[0,1]
	v_pk_fma_f32 v[126:127], v[124:125], v[112:113], v[122:123] op_sel:[0,0,1] op_sel_hi:[1,1,0] neg_lo:[0,0,1] neg_hi:[0,0,1]
	v_pk_fma_f32 v[122:123], v[124:125], v[112:113], v[122:123] op_sel:[0,0,1] op_sel_hi:[1,0,0]
	s_delay_alu instid0(VALU_DEP_1) | instskip(SKIP_4) | instid1(VALU_DEP_1)
	v_mov_b32_e32 v127, v123
	ds_load_2addr_b64 v[122:125], v116 offset0:13 offset1:14
	v_pk_add_f32 v[92:93], v[92:93], v[126:127] neg_lo:[0,1] neg_hi:[0,1]
	s_wait_dscnt 0x0
	v_pk_mul_f32 v[126:127], v[122:123], v[114:115] op_sel:[0,1]
	v_pk_fma_f32 v[128:129], v[122:123], v[112:113], v[126:127] op_sel:[0,0,1] op_sel_hi:[1,1,0] neg_lo:[0,0,1] neg_hi:[0,0,1]
	v_pk_fma_f32 v[122:123], v[122:123], v[112:113], v[126:127] op_sel:[0,0,1] op_sel_hi:[1,0,0]
	v_dual_mul_f32 v126, v125, v115 :: v_dual_mov_b32 v122, v125
	s_delay_alu instid0(VALU_DEP_2) | instskip(NEXT) | instid1(VALU_DEP_2)
	v_dual_mov_b32 v129, v123 :: v_dual_mov_b32 v123, v124
	v_pk_fma_f32 v[126:127], v[124:125], v[108:109], v[126:127] op_sel_hi:[1,1,0] neg_lo:[0,0,1] neg_hi:[0,0,1]
	v_mul_f32_e32 v124, v125, v112
	s_delay_alu instid0(VALU_DEP_3) | instskip(NEXT) | instid1(VALU_DEP_2)
	v_pk_add_f32 v[88:89], v[88:89], v[128:129] neg_lo:[0,1] neg_hi:[0,1]
	v_pk_fma_f32 v[122:123], v[122:123], v[108:109], v[124:125] op_sel_hi:[1,1,0]
	s_delay_alu instid0(VALU_DEP_1) | instskip(SKIP_4) | instid1(VALU_DEP_1)
	v_mov_b32_e32 v127, v123
	ds_load_2addr_b64 v[122:125], v116 offset0:15 offset1:16
	v_pk_add_f32 v[90:91], v[90:91], v[126:127] neg_lo:[0,1] neg_hi:[0,1]
	s_wait_dscnt 0x0
	v_pk_mul_f32 v[126:127], v[122:123], v[114:115] op_sel:[0,1]
	v_pk_fma_f32 v[128:129], v[122:123], v[112:113], v[126:127] op_sel:[0,0,1] op_sel_hi:[1,1,0] neg_lo:[0,0,1] neg_hi:[0,0,1]
	v_pk_fma_f32 v[122:123], v[122:123], v[112:113], v[126:127] op_sel:[0,0,1] op_sel_hi:[1,0,0]
	s_delay_alu instid0(VALU_DEP_1) | instskip(SKIP_1) | instid1(VALU_DEP_1)
	v_mov_b32_e32 v129, v123
	v_pk_mul_f32 v[122:123], v[124:125], v[114:115] op_sel:[0,1]
	v_pk_fma_f32 v[126:127], v[124:125], v[112:113], v[122:123] op_sel:[0,0,1] op_sel_hi:[1,1,0] neg_lo:[0,0,1] neg_hi:[0,0,1]
	v_pk_fma_f32 v[122:123], v[124:125], v[112:113], v[122:123] op_sel:[0,0,1] op_sel_hi:[1,0,0]
	s_delay_alu instid0(VALU_DEP_1)
	v_mov_b32_e32 v127, v123
	ds_load_2addr_b64 v[122:125], v116 offset0:17 offset1:18
	v_pk_add_f32 v[86:87], v[86:87], v[128:129] neg_lo:[0,1] neg_hi:[0,1]
	v_pk_add_f32 v[84:85], v[84:85], v[126:127] neg_lo:[0,1] neg_hi:[0,1]
	s_wait_dscnt 0x0
	v_pk_mul_f32 v[126:127], v[122:123], v[114:115] op_sel:[0,1]
	s_delay_alu instid0(VALU_DEP_1) | instskip(SKIP_1) | instid1(VALU_DEP_1)
	v_pk_fma_f32 v[128:129], v[122:123], v[112:113], v[126:127] op_sel:[0,0,1] op_sel_hi:[1,1,0] neg_lo:[0,0,1] neg_hi:[0,0,1]
	v_pk_fma_f32 v[122:123], v[122:123], v[112:113], v[126:127] op_sel:[0,0,1] op_sel_hi:[1,0,0]
	v_mov_b32_e32 v129, v123
	v_pk_mul_f32 v[122:123], v[124:125], v[114:115] op_sel:[0,1]
	s_delay_alu instid0(VALU_DEP_1) | instskip(SKIP_1) | instid1(VALU_DEP_1)
	v_pk_fma_f32 v[126:127], v[124:125], v[112:113], v[122:123] op_sel:[0,0,1] op_sel_hi:[1,1,0] neg_lo:[0,0,1] neg_hi:[0,0,1]
	v_pk_fma_f32 v[122:123], v[124:125], v[112:113], v[122:123] op_sel:[0,0,1] op_sel_hi:[1,0,0]
	v_mov_b32_e32 v127, v123
	ds_load_2addr_b64 v[122:125], v116 offset0:19 offset1:20
	v_pk_add_f32 v[80:81], v[80:81], v[128:129] neg_lo:[0,1] neg_hi:[0,1]
	v_pk_add_f32 v[82:83], v[82:83], v[126:127] neg_lo:[0,1] neg_hi:[0,1]
	s_wait_dscnt 0x0
	v_dual_mul_f32 v126, v123, v115 :: v_dual_mul_f32 v128, v123, v112
	s_delay_alu instid0(VALU_DEP_1) | instskip(NEXT) | instid1(VALU_DEP_2)
	v_pk_fma_f32 v[126:127], v[122:123], v[108:109], v[126:127] op_sel_hi:[1,1,0] neg_lo:[0,0,1] neg_hi:[0,0,1]
	v_pk_fma_f32 v[122:123], v[122:123], v[108:109], v[128:129] op_sel:[1,0,0] op_sel_hi:[0,1,0]
	s_delay_alu instid0(VALU_DEP_1) | instskip(SKIP_1) | instid1(VALU_DEP_2)
	v_mov_b32_e32 v127, v123
	v_pk_mul_f32 v[122:123], v[124:125], v[114:115] op_sel:[0,1]
	v_pk_add_f32 v[78:79], v[78:79], v[126:127] neg_lo:[0,1] neg_hi:[0,1]
	s_delay_alu instid0(VALU_DEP_2) | instskip(SKIP_1) | instid1(VALU_DEP_1)
	v_pk_fma_f32 v[126:127], v[124:125], v[112:113], v[122:123] op_sel:[0,0,1] op_sel_hi:[1,1,0] neg_lo:[0,0,1] neg_hi:[0,0,1]
	v_pk_fma_f32 v[122:123], v[124:125], v[112:113], v[122:123] op_sel:[0,0,1] op_sel_hi:[1,0,0]
	v_mov_b32_e32 v127, v123
	ds_load_2addr_b64 v[122:125], v116 offset0:21 offset1:22
	v_pk_add_f32 v[76:77], v[76:77], v[126:127] neg_lo:[0,1] neg_hi:[0,1]
	s_wait_dscnt 0x0
	v_pk_mul_f32 v[126:127], v[122:123], v[114:115] op_sel:[0,1]
	s_delay_alu instid0(VALU_DEP_1) | instskip(SKIP_1) | instid1(VALU_DEP_1)
	v_pk_fma_f32 v[128:129], v[122:123], v[112:113], v[126:127] op_sel:[0,0,1] op_sel_hi:[1,1,0] neg_lo:[0,0,1] neg_hi:[0,0,1]
	v_pk_fma_f32 v[122:123], v[122:123], v[112:113], v[126:127] op_sel:[0,0,1] op_sel_hi:[1,0,0]
	v_mov_b32_e32 v129, v123
	v_pk_mul_f32 v[122:123], v[124:125], v[114:115] op_sel:[0,1]
	s_delay_alu instid0(VALU_DEP_2) | instskip(NEXT) | instid1(VALU_DEP_2)
	v_pk_add_f32 v[72:73], v[72:73], v[128:129] neg_lo:[0,1] neg_hi:[0,1]
	v_pk_fma_f32 v[126:127], v[124:125], v[112:113], v[122:123] op_sel:[0,0,1] op_sel_hi:[1,1,0] neg_lo:[0,0,1] neg_hi:[0,0,1]
	v_pk_fma_f32 v[122:123], v[124:125], v[112:113], v[122:123] op_sel:[0,0,1] op_sel_hi:[1,0,0]
	s_delay_alu instid0(VALU_DEP_1) | instskip(SKIP_4) | instid1(VALU_DEP_1)
	v_mov_b32_e32 v127, v123
	ds_load_2addr_b64 v[122:125], v116 offset0:23 offset1:24
	v_pk_add_f32 v[74:75], v[74:75], v[126:127] neg_lo:[0,1] neg_hi:[0,1]
	s_wait_dscnt 0x0
	v_pk_mul_f32 v[126:127], v[122:123], v[114:115] op_sel:[0,1]
	v_pk_fma_f32 v[128:129], v[122:123], v[112:113], v[126:127] op_sel:[0,0,1] op_sel_hi:[1,1,0] neg_lo:[0,0,1] neg_hi:[0,0,1]
	v_pk_fma_f32 v[122:123], v[122:123], v[112:113], v[126:127] op_sel:[0,0,1] op_sel_hi:[1,0,0]
	v_dual_mul_f32 v126, v125, v115 :: v_dual_mov_b32 v122, v125
	s_delay_alu instid0(VALU_DEP_2) | instskip(NEXT) | instid1(VALU_DEP_2)
	v_dual_mov_b32 v129, v123 :: v_dual_mov_b32 v123, v124
	v_pk_fma_f32 v[126:127], v[124:125], v[108:109], v[126:127] op_sel_hi:[1,1,0] neg_lo:[0,0,1] neg_hi:[0,0,1]
	v_mul_f32_e32 v124, v125, v112
	s_delay_alu instid0(VALU_DEP_3) | instskip(NEXT) | instid1(VALU_DEP_2)
	v_pk_add_f32 v[70:71], v[70:71], v[128:129] neg_lo:[0,1] neg_hi:[0,1]
	v_pk_fma_f32 v[122:123], v[122:123], v[108:109], v[124:125] op_sel_hi:[1,1,0]
	s_delay_alu instid0(VALU_DEP_1) | instskip(SKIP_4) | instid1(VALU_DEP_1)
	v_mov_b32_e32 v127, v123
	ds_load_2addr_b64 v[122:125], v116 offset0:25 offset1:26
	v_pk_add_f32 v[68:69], v[68:69], v[126:127] neg_lo:[0,1] neg_hi:[0,1]
	s_wait_dscnt 0x0
	v_pk_mul_f32 v[126:127], v[122:123], v[114:115] op_sel:[0,1]
	v_pk_fma_f32 v[128:129], v[122:123], v[112:113], v[126:127] op_sel:[0,0,1] op_sel_hi:[1,1,0] neg_lo:[0,0,1] neg_hi:[0,0,1]
	v_pk_fma_f32 v[122:123], v[122:123], v[112:113], v[126:127] op_sel:[0,0,1] op_sel_hi:[1,0,0]
	s_delay_alu instid0(VALU_DEP_1) | instskip(SKIP_1) | instid1(VALU_DEP_1)
	v_mov_b32_e32 v129, v123
	v_pk_mul_f32 v[122:123], v[124:125], v[114:115] op_sel:[0,1]
	v_pk_fma_f32 v[126:127], v[124:125], v[112:113], v[122:123] op_sel:[0,0,1] op_sel_hi:[1,1,0] neg_lo:[0,0,1] neg_hi:[0,0,1]
	v_pk_fma_f32 v[122:123], v[124:125], v[112:113], v[122:123] op_sel:[0,0,1] op_sel_hi:[1,0,0]
	s_delay_alu instid0(VALU_DEP_1)
	v_mov_b32_e32 v127, v123
	ds_load_2addr_b64 v[122:125], v116 offset0:27 offset1:28
	v_pk_add_f32 v[64:65], v[64:65], v[128:129] neg_lo:[0,1] neg_hi:[0,1]
	v_pk_add_f32 v[66:67], v[66:67], v[126:127] neg_lo:[0,1] neg_hi:[0,1]
	s_wait_dscnt 0x0
	v_pk_mul_f32 v[126:127], v[122:123], v[114:115] op_sel:[0,1]
	s_delay_alu instid0(VALU_DEP_1) | instskip(SKIP_1) | instid1(VALU_DEP_1)
	v_pk_fma_f32 v[128:129], v[122:123], v[112:113], v[126:127] op_sel:[0,0,1] op_sel_hi:[1,1,0] neg_lo:[0,0,1] neg_hi:[0,0,1]
	v_pk_fma_f32 v[122:123], v[122:123], v[112:113], v[126:127] op_sel:[0,0,1] op_sel_hi:[1,0,0]
	v_mov_b32_e32 v129, v123
	v_pk_mul_f32 v[122:123], v[124:125], v[114:115] op_sel:[0,1]
	s_delay_alu instid0(VALU_DEP_1) | instskip(SKIP_1) | instid1(VALU_DEP_1)
	v_pk_fma_f32 v[126:127], v[124:125], v[112:113], v[122:123] op_sel:[0,0,1] op_sel_hi:[1,1,0] neg_lo:[0,0,1] neg_hi:[0,0,1]
	v_pk_fma_f32 v[122:123], v[124:125], v[112:113], v[122:123] op_sel:[0,0,1] op_sel_hi:[1,0,0]
	v_mov_b32_e32 v127, v123
	ds_load_2addr_b64 v[122:125], v116 offset0:29 offset1:30
	v_pk_add_f32 v[62:63], v[62:63], v[128:129] neg_lo:[0,1] neg_hi:[0,1]
	v_pk_add_f32 v[52:53], v[52:53], v[126:127] neg_lo:[0,1] neg_hi:[0,1]
	s_wait_dscnt 0x0
	v_dual_mul_f32 v126, v123, v115 :: v_dual_mul_f32 v128, v123, v112
	s_delay_alu instid0(VALU_DEP_1) | instskip(NEXT) | instid1(VALU_DEP_2)
	v_pk_fma_f32 v[126:127], v[122:123], v[108:109], v[126:127] op_sel_hi:[1,1,0] neg_lo:[0,0,1] neg_hi:[0,0,1]
	v_pk_fma_f32 v[122:123], v[122:123], v[108:109], v[128:129] op_sel:[1,0,0] op_sel_hi:[0,1,0]
	s_delay_alu instid0(VALU_DEP_1) | instskip(SKIP_1) | instid1(VALU_DEP_2)
	v_mov_b32_e32 v127, v123
	v_pk_mul_f32 v[122:123], v[124:125], v[114:115] op_sel:[0,1]
	v_pk_add_f32 v[48:49], v[48:49], v[126:127] neg_lo:[0,1] neg_hi:[0,1]
	s_delay_alu instid0(VALU_DEP_2) | instskip(SKIP_1) | instid1(VALU_DEP_1)
	v_pk_fma_f32 v[126:127], v[124:125], v[112:113], v[122:123] op_sel:[0,0,1] op_sel_hi:[1,1,0] neg_lo:[0,0,1] neg_hi:[0,0,1]
	v_pk_fma_f32 v[122:123], v[124:125], v[112:113], v[122:123] op_sel:[0,0,1] op_sel_hi:[1,0,0]
	v_mov_b32_e32 v127, v123
	ds_load_2addr_b64 v[122:125], v116 offset0:31 offset1:32
	v_pk_add_f32 v[50:51], v[50:51], v[126:127] neg_lo:[0,1] neg_hi:[0,1]
	s_wait_dscnt 0x0
	v_pk_mul_f32 v[126:127], v[122:123], v[114:115] op_sel:[0,1]
	s_delay_alu instid0(VALU_DEP_1) | instskip(SKIP_1) | instid1(VALU_DEP_1)
	v_pk_fma_f32 v[128:129], v[122:123], v[112:113], v[126:127] op_sel:[0,0,1] op_sel_hi:[1,1,0] neg_lo:[0,0,1] neg_hi:[0,0,1]
	v_pk_fma_f32 v[122:123], v[122:123], v[112:113], v[126:127] op_sel:[0,0,1] op_sel_hi:[1,0,0]
	v_mov_b32_e32 v129, v123
	v_pk_mul_f32 v[122:123], v[124:125], v[114:115] op_sel:[0,1]
	s_delay_alu instid0(VALU_DEP_2) | instskip(NEXT) | instid1(VALU_DEP_2)
	v_pk_add_f32 v[46:47], v[46:47], v[128:129] neg_lo:[0,1] neg_hi:[0,1]
	v_pk_fma_f32 v[126:127], v[124:125], v[112:113], v[122:123] op_sel:[0,0,1] op_sel_hi:[1,1,0] neg_lo:[0,0,1] neg_hi:[0,0,1]
	v_pk_fma_f32 v[122:123], v[124:125], v[112:113], v[122:123] op_sel:[0,0,1] op_sel_hi:[1,0,0]
	s_delay_alu instid0(VALU_DEP_1) | instskip(SKIP_4) | instid1(VALU_DEP_1)
	v_mov_b32_e32 v127, v123
	ds_load_2addr_b64 v[122:125], v116 offset0:33 offset1:34
	v_pk_add_f32 v[44:45], v[44:45], v[126:127] neg_lo:[0,1] neg_hi:[0,1]
	s_wait_dscnt 0x0
	v_pk_mul_f32 v[126:127], v[122:123], v[114:115] op_sel:[0,1]
	v_pk_fma_f32 v[128:129], v[122:123], v[112:113], v[126:127] op_sel:[0,0,1] op_sel_hi:[1,1,0] neg_lo:[0,0,1] neg_hi:[0,0,1]
	v_pk_fma_f32 v[122:123], v[122:123], v[112:113], v[126:127] op_sel:[0,0,1] op_sel_hi:[1,0,0]
	v_dual_mul_f32 v126, v125, v115 :: v_dual_mov_b32 v122, v125
	s_delay_alu instid0(VALU_DEP_2) | instskip(NEXT) | instid1(VALU_DEP_2)
	v_dual_mov_b32 v129, v123 :: v_dual_mov_b32 v123, v124
	v_pk_fma_f32 v[126:127], v[124:125], v[108:109], v[126:127] op_sel_hi:[1,1,0] neg_lo:[0,0,1] neg_hi:[0,0,1]
	v_mul_f32_e32 v124, v125, v112
	s_delay_alu instid0(VALU_DEP_3) | instskip(NEXT) | instid1(VALU_DEP_2)
	v_pk_add_f32 v[40:41], v[40:41], v[128:129] neg_lo:[0,1] neg_hi:[0,1]
	v_pk_fma_f32 v[122:123], v[122:123], v[108:109], v[124:125] op_sel_hi:[1,1,0]
	s_delay_alu instid0(VALU_DEP_1) | instskip(SKIP_4) | instid1(VALU_DEP_1)
	v_mov_b32_e32 v127, v123
	ds_load_2addr_b64 v[122:125], v116 offset0:35 offset1:36
	v_pk_add_f32 v[42:43], v[42:43], v[126:127] neg_lo:[0,1] neg_hi:[0,1]
	s_wait_dscnt 0x0
	v_pk_mul_f32 v[126:127], v[122:123], v[114:115] op_sel:[0,1]
	v_pk_fma_f32 v[128:129], v[122:123], v[112:113], v[126:127] op_sel:[0,0,1] op_sel_hi:[1,1,0] neg_lo:[0,0,1] neg_hi:[0,0,1]
	v_pk_fma_f32 v[122:123], v[122:123], v[112:113], v[126:127] op_sel:[0,0,1] op_sel_hi:[1,0,0]
	s_delay_alu instid0(VALU_DEP_1) | instskip(SKIP_1) | instid1(VALU_DEP_1)
	v_mov_b32_e32 v129, v123
	v_pk_mul_f32 v[122:123], v[124:125], v[114:115] op_sel:[0,1]
	v_pk_fma_f32 v[126:127], v[124:125], v[112:113], v[122:123] op_sel:[0,0,1] op_sel_hi:[1,1,0] neg_lo:[0,0,1] neg_hi:[0,0,1]
	v_pk_fma_f32 v[122:123], v[124:125], v[112:113], v[122:123] op_sel:[0,0,1] op_sel_hi:[1,0,0]
	s_delay_alu instid0(VALU_DEP_1)
	v_mov_b32_e32 v127, v123
	ds_load_2addr_b64 v[122:125], v116 offset0:37 offset1:38
	v_pk_add_f32 v[38:39], v[38:39], v[128:129] neg_lo:[0,1] neg_hi:[0,1]
	v_pk_add_f32 v[36:37], v[36:37], v[126:127] neg_lo:[0,1] neg_hi:[0,1]
	s_wait_dscnt 0x0
	v_pk_mul_f32 v[126:127], v[122:123], v[114:115] op_sel:[0,1]
	s_delay_alu instid0(VALU_DEP_1) | instskip(SKIP_1) | instid1(VALU_DEP_1)
	v_pk_fma_f32 v[128:129], v[122:123], v[112:113], v[126:127] op_sel:[0,0,1] op_sel_hi:[1,1,0] neg_lo:[0,0,1] neg_hi:[0,0,1]
	v_pk_fma_f32 v[122:123], v[122:123], v[112:113], v[126:127] op_sel:[0,0,1] op_sel_hi:[1,0,0]
	v_mov_b32_e32 v129, v123
	v_pk_mul_f32 v[122:123], v[124:125], v[114:115] op_sel:[0,1]
	s_delay_alu instid0(VALU_DEP_1) | instskip(SKIP_1) | instid1(VALU_DEP_1)
	v_pk_fma_f32 v[126:127], v[124:125], v[112:113], v[122:123] op_sel:[0,0,1] op_sel_hi:[1,1,0] neg_lo:[0,0,1] neg_hi:[0,0,1]
	v_pk_fma_f32 v[122:123], v[124:125], v[112:113], v[122:123] op_sel:[0,0,1] op_sel_hi:[1,0,0]
	v_mov_b32_e32 v127, v123
	ds_load_2addr_b64 v[122:125], v116 offset0:39 offset1:40
	v_pk_add_f32 v[32:33], v[32:33], v[128:129] neg_lo:[0,1] neg_hi:[0,1]
	v_pk_add_f32 v[34:35], v[34:35], v[126:127] neg_lo:[0,1] neg_hi:[0,1]
	s_wait_dscnt 0x0
	v_dual_mul_f32 v126, v123, v115 :: v_dual_mul_f32 v128, v123, v112
	s_delay_alu instid0(VALU_DEP_1) | instskip(NEXT) | instid1(VALU_DEP_2)
	v_pk_fma_f32 v[126:127], v[122:123], v[108:109], v[126:127] op_sel_hi:[1,1,0] neg_lo:[0,0,1] neg_hi:[0,0,1]
	v_pk_fma_f32 v[122:123], v[122:123], v[108:109], v[128:129] op_sel:[1,0,0] op_sel_hi:[0,1,0]
	s_delay_alu instid0(VALU_DEP_1) | instskip(SKIP_1) | instid1(VALU_DEP_2)
	v_mov_b32_e32 v127, v123
	v_pk_mul_f32 v[122:123], v[124:125], v[114:115] op_sel:[0,1]
	v_pk_add_f32 v[30:31], v[30:31], v[126:127] neg_lo:[0,1] neg_hi:[0,1]
	s_delay_alu instid0(VALU_DEP_2) | instskip(SKIP_1) | instid1(VALU_DEP_1)
	v_pk_fma_f32 v[126:127], v[124:125], v[112:113], v[122:123] op_sel:[0,0,1] op_sel_hi:[1,1,0] neg_lo:[0,0,1] neg_hi:[0,0,1]
	v_pk_fma_f32 v[122:123], v[124:125], v[112:113], v[122:123] op_sel:[0,0,1] op_sel_hi:[1,0,0]
	v_mov_b32_e32 v127, v123
	ds_load_2addr_b64 v[122:125], v116 offset0:41 offset1:42
	v_pk_add_f32 v[26:27], v[26:27], v[126:127] neg_lo:[0,1] neg_hi:[0,1]
	s_wait_dscnt 0x0
	v_pk_mul_f32 v[126:127], v[122:123], v[114:115] op_sel:[0,1]
	s_delay_alu instid0(VALU_DEP_1) | instskip(SKIP_1) | instid1(VALU_DEP_1)
	v_pk_fma_f32 v[128:129], v[122:123], v[112:113], v[126:127] op_sel:[0,0,1] op_sel_hi:[1,1,0] neg_lo:[0,0,1] neg_hi:[0,0,1]
	v_pk_fma_f32 v[122:123], v[122:123], v[112:113], v[126:127] op_sel:[0,0,1] op_sel_hi:[1,0,0]
	v_mov_b32_e32 v129, v123
	v_pk_mul_f32 v[122:123], v[124:125], v[114:115] op_sel:[0,1]
	s_delay_alu instid0(VALU_DEP_2) | instskip(NEXT) | instid1(VALU_DEP_2)
	v_pk_add_f32 v[22:23], v[22:23], v[128:129] neg_lo:[0,1] neg_hi:[0,1]
	v_pk_fma_f32 v[126:127], v[124:125], v[112:113], v[122:123] op_sel:[0,0,1] op_sel_hi:[1,1,0] neg_lo:[0,0,1] neg_hi:[0,0,1]
	v_pk_fma_f32 v[122:123], v[124:125], v[112:113], v[122:123] op_sel:[0,0,1] op_sel_hi:[1,0,0]
	s_delay_alu instid0(VALU_DEP_1) | instskip(SKIP_4) | instid1(VALU_DEP_1)
	v_mov_b32_e32 v127, v123
	ds_load_2addr_b64 v[122:125], v116 offset0:43 offset1:44
	v_pk_add_f32 v[24:25], v[24:25], v[126:127] neg_lo:[0,1] neg_hi:[0,1]
	s_wait_dscnt 0x0
	v_pk_mul_f32 v[126:127], v[122:123], v[114:115] op_sel:[0,1]
	v_pk_fma_f32 v[128:129], v[122:123], v[112:113], v[126:127] op_sel:[0,0,1] op_sel_hi:[1,1,0] neg_lo:[0,0,1] neg_hi:[0,0,1]
	v_pk_fma_f32 v[122:123], v[122:123], v[112:113], v[126:127] op_sel:[0,0,1] op_sel_hi:[1,0,0]
	v_dual_mul_f32 v126, v125, v115 :: v_dual_mov_b32 v122, v125
	s_delay_alu instid0(VALU_DEP_2) | instskip(NEXT) | instid1(VALU_DEP_2)
	v_dual_mov_b32 v129, v123 :: v_dual_mov_b32 v123, v124
	v_pk_fma_f32 v[126:127], v[124:125], v[108:109], v[126:127] op_sel_hi:[1,1,0] neg_lo:[0,0,1] neg_hi:[0,0,1]
	v_mul_f32_e32 v124, v125, v112
	s_delay_alu instid0(VALU_DEP_3) | instskip(NEXT) | instid1(VALU_DEP_2)
	v_pk_add_f32 v[20:21], v[20:21], v[128:129] neg_lo:[0,1] neg_hi:[0,1]
	v_pk_fma_f32 v[122:123], v[122:123], v[108:109], v[124:125] op_sel_hi:[1,1,0]
	s_delay_alu instid0(VALU_DEP_1) | instskip(SKIP_4) | instid1(VALU_DEP_1)
	v_mov_b32_e32 v127, v123
	ds_load_2addr_b64 v[122:125], v116 offset0:45 offset1:46
	v_pk_add_f32 v[14:15], v[14:15], v[126:127] neg_lo:[0,1] neg_hi:[0,1]
	s_wait_dscnt 0x0
	v_pk_mul_f32 v[126:127], v[122:123], v[114:115] op_sel:[0,1]
	v_pk_fma_f32 v[128:129], v[122:123], v[112:113], v[126:127] op_sel:[0,0,1] op_sel_hi:[1,1,0] neg_lo:[0,0,1] neg_hi:[0,0,1]
	v_pk_fma_f32 v[122:123], v[122:123], v[112:113], v[126:127] op_sel:[0,0,1] op_sel_hi:[1,0,0]
	s_delay_alu instid0(VALU_DEP_1) | instskip(SKIP_1) | instid1(VALU_DEP_1)
	v_mov_b32_e32 v129, v123
	v_pk_mul_f32 v[122:123], v[124:125], v[114:115] op_sel:[0,1]
	v_pk_fma_f32 v[126:127], v[124:125], v[112:113], v[122:123] op_sel:[0,0,1] op_sel_hi:[1,1,0] neg_lo:[0,0,1] neg_hi:[0,0,1]
	v_pk_fma_f32 v[122:123], v[124:125], v[112:113], v[122:123] op_sel:[0,0,1] op_sel_hi:[1,0,0]
	s_delay_alu instid0(VALU_DEP_1)
	v_mov_b32_e32 v127, v123
	ds_load_2addr_b64 v[122:125], v116 offset0:47 offset1:48
	v_pk_add_f32 v[10:11], v[10:11], v[128:129] neg_lo:[0,1] neg_hi:[0,1]
	v_pk_add_f32 v[12:13], v[12:13], v[126:127] neg_lo:[0,1] neg_hi:[0,1]
	s_wait_dscnt 0x0
	v_pk_mul_f32 v[126:127], v[122:123], v[114:115] op_sel:[0,1]
	s_delay_alu instid0(VALU_DEP_1) | instskip(SKIP_1) | instid1(VALU_DEP_1)
	v_pk_fma_f32 v[128:129], v[122:123], v[112:113], v[126:127] op_sel:[0,0,1] op_sel_hi:[1,1,0] neg_lo:[0,0,1] neg_hi:[0,0,1]
	v_pk_fma_f32 v[122:123], v[122:123], v[112:113], v[126:127] op_sel:[0,0,1] op_sel_hi:[1,0,0]
	v_mov_b32_e32 v129, v123
	v_pk_mul_f32 v[122:123], v[124:125], v[114:115] op_sel:[0,1]
	s_delay_alu instid0(VALU_DEP_1) | instskip(SKIP_1) | instid1(VALU_DEP_1)
	v_pk_fma_f32 v[126:127], v[124:125], v[112:113], v[122:123] op_sel:[0,0,1] op_sel_hi:[1,1,0] neg_lo:[0,0,1] neg_hi:[0,0,1]
	v_pk_fma_f32 v[122:123], v[124:125], v[112:113], v[122:123] op_sel:[0,0,1] op_sel_hi:[1,0,0]
	v_mov_b32_e32 v127, v123
	ds_load_2addr_b64 v[122:125], v116 offset0:49 offset1:50
	v_pk_add_f32 v[8:9], v[8:9], v[128:129] neg_lo:[0,1] neg_hi:[0,1]
	v_pk_add_f32 v[6:7], v[6:7], v[126:127] neg_lo:[0,1] neg_hi:[0,1]
	s_wait_dscnt 0x0
	v_dual_mul_f32 v126, v123, v115 :: v_dual_mul_f32 v128, v123, v112
	s_delay_alu instid0(VALU_DEP_1) | instskip(NEXT) | instid1(VALU_DEP_2)
	v_pk_fma_f32 v[126:127], v[122:123], v[108:109], v[126:127] op_sel_hi:[1,1,0] neg_lo:[0,0,1] neg_hi:[0,0,1]
	v_pk_fma_f32 v[122:123], v[122:123], v[108:109], v[128:129] op_sel:[1,0,0] op_sel_hi:[0,1,0]
	s_delay_alu instid0(VALU_DEP_1) | instskip(SKIP_1) | instid1(VALU_DEP_2)
	v_mov_b32_e32 v127, v123
	v_pk_mul_f32 v[122:123], v[124:125], v[114:115] op_sel:[0,1]
	v_pk_add_f32 v[28:29], v[28:29], v[126:127] neg_lo:[0,1] neg_hi:[0,1]
	s_delay_alu instid0(VALU_DEP_2) | instskip(SKIP_1) | instid1(VALU_DEP_1)
	v_pk_fma_f32 v[126:127], v[124:125], v[112:113], v[122:123] op_sel:[0,0,1] op_sel_hi:[1,1,0] neg_lo:[0,0,1] neg_hi:[0,0,1]
	v_pk_fma_f32 v[122:123], v[124:125], v[112:113], v[122:123] op_sel:[0,0,1] op_sel_hi:[1,0,0]
	v_mov_b32_e32 v127, v123
	ds_load_2addr_b64 v[122:125], v116 offset0:51 offset1:52
	v_pk_add_f32 v[18:19], v[18:19], v[126:127] neg_lo:[0,1] neg_hi:[0,1]
	s_wait_dscnt 0x0
	v_pk_mul_f32 v[126:127], v[122:123], v[114:115] op_sel:[0,1]
	s_delay_alu instid0(VALU_DEP_1) | instskip(SKIP_1) | instid1(VALU_DEP_1)
	v_pk_fma_f32 v[128:129], v[122:123], v[112:113], v[126:127] op_sel:[0,0,1] op_sel_hi:[1,1,0] neg_lo:[0,0,1] neg_hi:[0,0,1]
	v_pk_fma_f32 v[122:123], v[122:123], v[112:113], v[126:127] op_sel:[0,0,1] op_sel_hi:[1,0,0]
	v_mov_b32_e32 v129, v123
	v_pk_mul_f32 v[122:123], v[124:125], v[114:115] op_sel:[0,1]
	s_delay_alu instid0(VALU_DEP_2) | instskip(NEXT) | instid1(VALU_DEP_2)
	v_pk_add_f32 v[16:17], v[16:17], v[128:129] neg_lo:[0,1] neg_hi:[0,1]
	v_pk_fma_f32 v[114:115], v[124:125], v[112:113], v[122:123] op_sel:[0,0,1] op_sel_hi:[1,1,0] neg_lo:[0,0,1] neg_hi:[0,0,1]
	v_pk_fma_f32 v[112:113], v[124:125], v[112:113], v[122:123] op_sel:[0,0,1] op_sel_hi:[1,0,0]
	s_delay_alu instid0(VALU_DEP_1) | instskip(NEXT) | instid1(VALU_DEP_1)
	v_mov_b32_e32 v115, v113
	v_pk_add_f32 v[110:111], v[110:111], v[114:115] neg_lo:[0,1] neg_hi:[0,1]
.LBB104_22:
	s_or_b32 exec_lo, exec_lo, s0
	v_lshl_add_u32 v112, v120, 3, v116
	s_barrier_signal -1
	s_barrier_wait -1
	ds_store_b64 v112, v[106:107]
	s_wait_dscnt 0x0
	s_barrier_signal -1
	s_barrier_wait -1
	ds_load_b64 v[114:115], v116 offset:8
	v_mov_b32_e32 v112, 1
	s_cmp_lt_i32 s18, 3
	s_cbranch_scc1 .LBB104_25
; %bb.23:
	v_add3_u32 v113, v117, 0, 16
	v_mov_b32_e32 v112, 1
	s_mov_b32 s0, 2
.LBB104_24:                             ; =>This Inner Loop Header: Depth=1
	ds_load_b64 v[122:123], v113
	s_wait_dscnt 0x1
	v_cmp_gt_f32_e32 vcc_lo, 0, v114
	v_cndmask_b32_e64 v124, v114, -v114, vcc_lo
	v_cmp_gt_f32_e32 vcc_lo, 0, v115
	v_cndmask_b32_e64 v126, v115, -v115, vcc_lo
	s_wait_dscnt 0x0
	v_cmp_gt_f32_e32 vcc_lo, 0, v122
	v_cndmask_b32_e64 v125, v122, -v122, vcc_lo
	v_cmp_gt_f32_e32 vcc_lo, 0, v123
	v_cndmask_b32_e64 v127, v123, -v123, vcc_lo
	s_delay_alu instid0(VALU_DEP_1) | instskip(NEXT) | instid1(VALU_DEP_1)
	v_pk_add_f32 v[124:125], v[124:125], v[126:127]
	v_cmp_lt_f32_e32 vcc_lo, v124, v125
	v_dual_add_nc_u32 v113, 8, v113 :: v_dual_cndmask_b32 v115, v115, v123, vcc_lo
	v_cndmask_b32_e32 v114, v114, v122, vcc_lo
	v_cndmask_b32_e64 v112, v112, s0, vcc_lo
	s_add_co_i32 s0, s0, 1
	s_delay_alu instid0(SALU_CYCLE_1)
	s_cmp_lg_u32 s18, s0
	s_cbranch_scc1 .LBB104_24
.LBB104_25:
	s_wait_dscnt 0x0
	v_cmp_neq_f32_e32 vcc_lo, 0, v114
	v_cmp_neq_f32_e64 s0, 0, v115
	s_or_b32 s1, vcc_lo, s0
	s_delay_alu instid0(SALU_CYCLE_1)
	s_and_saveexec_b32 s0, s1
	s_cbranch_execz .LBB104_31
; %bb.26:
	v_cmp_ngt_f32_e64 s1, |v114|, |v115|
	s_and_saveexec_b32 s12, s1
	s_delay_alu instid0(SALU_CYCLE_1)
	s_xor_b32 s1, exec_lo, s12
	s_cbranch_execz .LBB104_28
; %bb.27:
	v_div_scale_f32 v113, null, v115, v115, v114
	v_div_scale_f32 v123, vcc_lo, v114, v115, v114
	s_delay_alu instid0(VALU_DEP_2) | instskip(SKIP_1) | instid1(TRANS32_DEP_1)
	v_rcp_f32_e32 v118, v113
	v_nop
	v_fma_f32 v122, -v113, v118, 1.0
	s_delay_alu instid0(VALU_DEP_1) | instskip(NEXT) | instid1(VALU_DEP_1)
	v_fmac_f32_e32 v118, v122, v118
	v_mul_f32_e32 v122, v123, v118
	s_delay_alu instid0(VALU_DEP_1) | instskip(NEXT) | instid1(VALU_DEP_1)
	v_fma_f32 v124, -v113, v122, v123
	v_fmac_f32_e32 v122, v124, v118
	s_delay_alu instid0(VALU_DEP_1) | instskip(NEXT) | instid1(VALU_DEP_1)
	v_fma_f32 v113, -v113, v122, v123
	v_div_fmas_f32 v113, v113, v118, v122
	s_delay_alu instid0(VALU_DEP_1) | instskip(NEXT) | instid1(VALU_DEP_1)
	v_div_fixup_f32 v113, v113, v115, v114
	v_fmac_f32_e32 v115, v114, v113
	s_delay_alu instid0(VALU_DEP_1) | instskip(SKIP_1) | instid1(VALU_DEP_2)
	v_div_scale_f32 v114, null, v115, v115, 1.0
	v_div_scale_f32 v123, vcc_lo, 1.0, v115, 1.0
	v_rcp_f32_e32 v118, v114
	v_nop
	s_delay_alu instid0(TRANS32_DEP_1) | instskip(NEXT) | instid1(VALU_DEP_1)
	v_fma_f32 v122, -v114, v118, 1.0
	v_fmac_f32_e32 v118, v122, v118
	s_delay_alu instid0(VALU_DEP_1) | instskip(NEXT) | instid1(VALU_DEP_1)
	v_mul_f32_e32 v122, v123, v118
	v_fma_f32 v124, -v114, v122, v123
	s_delay_alu instid0(VALU_DEP_1) | instskip(NEXT) | instid1(VALU_DEP_1)
	v_fmac_f32_e32 v122, v124, v118
	v_fma_f32 v114, -v114, v122, v123
	s_delay_alu instid0(VALU_DEP_1) | instskip(NEXT) | instid1(VALU_DEP_1)
	v_div_fmas_f32 v114, v114, v118, v122
	v_div_fixup_f32 v115, v114, v115, 1.0
	s_delay_alu instid0(VALU_DEP_1)
	v_mul_f32_e32 v114, v113, v115
	v_xor_b32_e32 v115, 0x80000000, v115
.LBB104_28:
	s_and_not1_saveexec_b32 s1, s1
	s_cbranch_execz .LBB104_30
; %bb.29:
	s_delay_alu instid0(VALU_DEP_1) | instskip(SKIP_1) | instid1(VALU_DEP_2)
	v_div_scale_f32 v113, null, v114, v114, v115
	v_div_scale_f32 v123, vcc_lo, v115, v114, v115
	v_rcp_f32_e32 v118, v113
	v_nop
	s_delay_alu instid0(TRANS32_DEP_1) | instskip(NEXT) | instid1(VALU_DEP_1)
	v_fma_f32 v122, -v113, v118, 1.0
	v_fmac_f32_e32 v118, v122, v118
	s_delay_alu instid0(VALU_DEP_1) | instskip(NEXT) | instid1(VALU_DEP_1)
	v_mul_f32_e32 v122, v123, v118
	v_fma_f32 v124, -v113, v122, v123
	s_delay_alu instid0(VALU_DEP_1) | instskip(NEXT) | instid1(VALU_DEP_1)
	v_fmac_f32_e32 v122, v124, v118
	v_fma_f32 v113, -v113, v122, v123
	s_delay_alu instid0(VALU_DEP_1) | instskip(NEXT) | instid1(VALU_DEP_1)
	v_div_fmas_f32 v113, v113, v118, v122
	v_div_fixup_f32 v113, v113, v114, v115
	s_delay_alu instid0(VALU_DEP_1) | instskip(NEXT) | instid1(VALU_DEP_1)
	v_fmac_f32_e32 v114, v115, v113
	v_div_scale_f32 v115, null, v114, v114, 1.0
	s_delay_alu instid0(VALU_DEP_1) | instskip(SKIP_1) | instid1(TRANS32_DEP_1)
	v_rcp_f32_e32 v118, v115
	v_nop
	v_fma_f32 v122, -v115, v118, 1.0
	s_delay_alu instid0(VALU_DEP_1) | instskip(SKIP_1) | instid1(VALU_DEP_1)
	v_fmac_f32_e32 v118, v122, v118
	v_div_scale_f32 v122, vcc_lo, 1.0, v114, 1.0
	v_mul_f32_e32 v123, v122, v118
	s_delay_alu instid0(VALU_DEP_1) | instskip(NEXT) | instid1(VALU_DEP_1)
	v_fma_f32 v124, -v115, v123, v122
	v_fmac_f32_e32 v123, v124, v118
	s_delay_alu instid0(VALU_DEP_1) | instskip(NEXT) | instid1(VALU_DEP_1)
	v_fma_f32 v115, -v115, v123, v122
	v_div_fmas_f32 v115, v115, v118, v123
	s_delay_alu instid0(VALU_DEP_1) | instskip(NEXT) | instid1(VALU_DEP_1)
	v_div_fixup_f32 v114, v115, v114, 1.0
	v_mul_f32_e64 v115, v113, -v114
.LBB104_30:
	s_or_b32 exec_lo, exec_lo, s1
	v_mov_b32_e32 v118, v121
.LBB104_31:
	s_or_b32 exec_lo, exec_lo, s0
	s_delay_alu instid0(SALU_CYCLE_1)
	s_mov_b32 s0, exec_lo
	v_cmpx_ne_u32_e64 v120, v112
	s_xor_b32 s0, exec_lo, s0
	s_cbranch_execz .LBB104_37
; %bb.32:
	s_mov_b32 s1, exec_lo
	v_cmpx_eq_u32_e32 1, v120
	s_cbranch_execz .LBB104_36
; %bb.33:
	v_cmp_ne_u32_e32 vcc_lo, 1, v112
	s_xor_b32 s12, s16, -1
	s_delay_alu instid0(SALU_CYCLE_1) | instskip(NEXT) | instid1(SALU_CYCLE_1)
	s_and_b32 s13, s12, vcc_lo
	s_and_saveexec_b32 s12, s13
	s_cbranch_execz .LBB104_35
; %bb.34:
	v_ashrrev_i32_e32 v113, 31, v112
	s_delay_alu instid0(VALU_DEP_1)
	v_lshl_add_u64 v[120:121], v[112:113], 2, v[4:5]
	s_clause 0x1
	global_load_b32 v113, v[120:121], off
	global_load_b32 v119, v[4:5], off offset:4
	s_wait_loadcnt 0x1
	global_store_b32 v[4:5], v113, off offset:4
	s_wait_loadcnt 0x0
	global_store_b32 v[120:121], v119, off
.LBB104_35:
	s_wait_xcnt 0x0
	s_or_b32 exec_lo, exec_lo, s12
	v_dual_mov_b32 v120, v112 :: v_dual_mov_b32 v119, v112
.LBB104_36:
	s_or_b32 exec_lo, exec_lo, s1
.LBB104_37:
	s_and_not1_saveexec_b32 s0, s0
	s_cbranch_execz .LBB104_39
; %bb.38:
	v_dual_mov_b32 v112, v104 :: v_dual_mov_b32 v113, v105
	v_dual_mov_b32 v120, v102 :: v_dual_mov_b32 v121, v103
	v_dual_mov_b32 v122, v60 :: v_dual_mov_b32 v123, v61
	v_dual_mov_b32 v124, v56 :: v_dual_mov_b32 v125, v57
	ds_store_2addr_b64 v116, v[112:113], v[120:121] offset0:2 offset1:3
	ds_store_2addr_b64 v116, v[122:123], v[124:125] offset0:4 offset1:5
	v_dual_mov_b32 v112, v58 :: v_dual_mov_b32 v113, v59
	v_dual_mov_b32 v120, v54 :: v_dual_mov_b32 v121, v55
	v_dual_mov_b32 v122, v100 :: v_dual_mov_b32 v123, v101
	v_dual_mov_b32 v124, v96 :: v_dual_mov_b32 v125, v97
	v_dual_mov_b32 v126, v98 :: v_dual_mov_b32 v127, v99
	v_dual_mov_b32 v128, v94 :: v_dual_mov_b32 v129, v95
	v_dual_mov_b32 v130, v92 :: v_dual_mov_b32 v131, v93
	v_dual_mov_b32 v132, v88 :: v_dual_mov_b32 v133, v89
	v_dual_mov_b32 v134, v90 :: v_dual_mov_b32 v135, v91
	v_dual_mov_b32 v136, v86 :: v_dual_mov_b32 v137, v87
	v_dual_mov_b32 v138, v84 :: v_dual_mov_b32 v139, v85
	v_dual_mov_b32 v140, v80 :: v_dual_mov_b32 v141, v81
	ds_store_2addr_b64 v116, v[112:113], v[120:121] offset0:6 offset1:7
	ds_store_2addr_b64 v116, v[122:123], v[124:125] offset0:8 offset1:9
	ds_store_2addr_b64 v116, v[126:127], v[128:129] offset0:10 offset1:11
	ds_store_2addr_b64 v116, v[130:131], v[132:133] offset0:12 offset1:13
	ds_store_2addr_b64 v116, v[134:135], v[136:137] offset0:14 offset1:15
	ds_store_2addr_b64 v116, v[138:139], v[140:141] offset0:16 offset1:17
	v_dual_mov_b32 v112, v82 :: v_dual_mov_b32 v113, v83
	v_dual_mov_b32 v120, v78 :: v_dual_mov_b32 v121, v79
	v_dual_mov_b32 v122, v76 :: v_dual_mov_b32 v123, v77
	v_dual_mov_b32 v124, v72 :: v_dual_mov_b32 v125, v73
	v_dual_mov_b32 v126, v74 :: v_dual_mov_b32 v127, v75
	v_dual_mov_b32 v128, v70 :: v_dual_mov_b32 v129, v71
	v_dual_mov_b32 v130, v68 :: v_dual_mov_b32 v131, v69
	v_dual_mov_b32 v132, v64 :: v_dual_mov_b32 v133, v65
	v_dual_mov_b32 v134, v66 :: v_dual_mov_b32 v135, v67
	v_dual_mov_b32 v136, v62 :: v_dual_mov_b32 v137, v63
	v_dual_mov_b32 v138, v52 :: v_dual_mov_b32 v139, v53
	v_dual_mov_b32 v140, v48 :: v_dual_mov_b32 v141, v49
	ds_store_2addr_b64 v116, v[112:113], v[120:121] offset0:18 offset1:19
	ds_store_2addr_b64 v116, v[122:123], v[124:125] offset0:20 offset1:21
	ds_store_2addr_b64 v116, v[126:127], v[128:129] offset0:22 offset1:23
	ds_store_2addr_b64 v116, v[130:131], v[132:133] offset0:24 offset1:25
	;; [unrolled: 18-line block ×3, first 2 shown]
	ds_store_2addr_b64 v116, v[134:135], v[136:137] offset0:38 offset1:39
	ds_store_2addr_b64 v116, v[138:139], v[140:141] offset0:40 offset1:41
	v_dual_mov_b32 v112, v24 :: v_dual_mov_b32 v113, v25
	v_dual_mov_b32 v120, v20 :: v_dual_mov_b32 v121, v21
	;; [unrolled: 1-line block ×6, first 2 shown]
	ds_store_2addr_b64 v116, v[112:113], v[120:121] offset0:42 offset1:43
	ds_store_2addr_b64 v116, v[122:123], v[124:125] offset0:44 offset1:45
	v_dual_mov_b32 v120, 1 :: v_dual_mov_b32 v130, v6
	v_dual_mov_b32 v131, v7 :: v_dual_mov_b32 v132, v28
	;; [unrolled: 1-line block ×4, first 2 shown]
	v_mov_b32_e32 v137, v17
	ds_store_2addr_b64 v116, v[126:127], v[128:129] offset0:46 offset1:47
	ds_store_2addr_b64 v116, v[130:131], v[132:133] offset0:48 offset1:49
	;; [unrolled: 1-line block ×3, first 2 shown]
	ds_store_b64 v116, v[110:111] offset:416
.LBB104_39:
	s_or_b32 exec_lo, exec_lo, s0
	s_delay_alu instid0(SALU_CYCLE_1)
	s_mov_b32 s0, exec_lo
	s_wait_storecnt_dscnt 0x0
	s_barrier_signal -1
	s_barrier_wait -1
	v_cmpx_lt_i32_e32 1, v120
	s_cbranch_execz .LBB104_41
; %bb.40:
	v_pk_mul_f32 v[122:123], v[114:115], v[106:107] op_sel:[1,1] op_sel_hi:[0,1]
	s_delay_alu instid0(VALU_DEP_1)
	v_pk_fma_f32 v[112:113], v[114:115], v[106:107], v[122:123] op_sel_hi:[1,0,1] neg_lo:[0,0,1] neg_hi:[0,0,1]
	v_pk_fma_f32 v[114:115], v[114:115], v[106:107], v[122:123] op_sel_hi:[1,0,1]
	ds_load_2addr_b64 v[122:125], v116 offset0:2 offset1:3
	v_dual_mov_b32 v106, v112 :: v_dual_mov_b32 v107, v115
	s_wait_dscnt 0x0
	v_pk_mul_f32 v[126:127], v[122:123], v[114:115] op_sel:[0,1]
	s_delay_alu instid0(VALU_DEP_1) | instskip(SKIP_1) | instid1(VALU_DEP_1)
	v_pk_fma_f32 v[128:129], v[122:123], v[112:113], v[126:127] op_sel:[0,0,1] op_sel_hi:[1,1,0] neg_lo:[0,0,1] neg_hi:[0,0,1]
	v_pk_fma_f32 v[122:123], v[122:123], v[112:113], v[126:127] op_sel:[0,0,1] op_sel_hi:[1,0,0]
	v_mov_b32_e32 v129, v123
	v_pk_mul_f32 v[122:123], v[124:125], v[114:115] op_sel:[0,1]
	s_delay_alu instid0(VALU_DEP_1) | instskip(SKIP_1) | instid1(VALU_DEP_1)
	v_pk_fma_f32 v[126:127], v[124:125], v[112:113], v[122:123] op_sel:[0,0,1] op_sel_hi:[1,1,0] neg_lo:[0,0,1] neg_hi:[0,0,1]
	v_pk_fma_f32 v[122:123], v[124:125], v[112:113], v[122:123] op_sel:[0,0,1] op_sel_hi:[1,0,0]
	v_mov_b32_e32 v127, v123
	ds_load_2addr_b64 v[122:125], v116 offset0:4 offset1:5
	v_pk_add_f32 v[104:105], v[104:105], v[128:129] neg_lo:[0,1] neg_hi:[0,1]
	v_pk_add_f32 v[102:103], v[102:103], v[126:127] neg_lo:[0,1] neg_hi:[0,1]
	s_wait_dscnt 0x0
	v_pk_mul_f32 v[126:127], v[122:123], v[114:115] op_sel:[0,1]
	s_delay_alu instid0(VALU_DEP_1) | instskip(SKIP_2) | instid1(VALU_DEP_2)
	v_pk_fma_f32 v[128:129], v[122:123], v[112:113], v[126:127] op_sel:[0,0,1] op_sel_hi:[1,1,0] neg_lo:[0,0,1] neg_hi:[0,0,1]
	v_pk_fma_f32 v[122:123], v[122:123], v[112:113], v[126:127] op_sel:[0,0,1] op_sel_hi:[1,0,0]
	v_dual_mul_f32 v126, v125, v115 :: v_dual_mov_b32 v122, v125
	v_dual_mov_b32 v129, v123 :: v_dual_mov_b32 v123, v124
	s_delay_alu instid0(VALU_DEP_2) | instskip(SKIP_1) | instid1(VALU_DEP_3)
	v_pk_fma_f32 v[126:127], v[124:125], v[106:107], v[126:127] op_sel_hi:[1,1,0] neg_lo:[0,0,1] neg_hi:[0,0,1]
	v_mul_f32_e32 v124, v125, v112
	v_pk_add_f32 v[60:61], v[60:61], v[128:129] neg_lo:[0,1] neg_hi:[0,1]
	s_delay_alu instid0(VALU_DEP_2) | instskip(NEXT) | instid1(VALU_DEP_1)
	v_pk_fma_f32 v[122:123], v[122:123], v[106:107], v[124:125] op_sel_hi:[1,1,0]
	v_mov_b32_e32 v127, v123
	ds_load_2addr_b64 v[122:125], v116 offset0:6 offset1:7
	v_pk_add_f32 v[56:57], v[56:57], v[126:127] neg_lo:[0,1] neg_hi:[0,1]
	s_wait_dscnt 0x0
	v_pk_mul_f32 v[126:127], v[122:123], v[114:115] op_sel:[0,1]
	s_delay_alu instid0(VALU_DEP_1) | instskip(SKIP_1) | instid1(VALU_DEP_1)
	v_pk_fma_f32 v[128:129], v[122:123], v[112:113], v[126:127] op_sel:[0,0,1] op_sel_hi:[1,1,0] neg_lo:[0,0,1] neg_hi:[0,0,1]
	v_pk_fma_f32 v[122:123], v[122:123], v[112:113], v[126:127] op_sel:[0,0,1] op_sel_hi:[1,0,0]
	v_mov_b32_e32 v129, v123
	v_pk_mul_f32 v[122:123], v[124:125], v[114:115] op_sel:[0,1]
	s_delay_alu instid0(VALU_DEP_1) | instskip(SKIP_1) | instid1(VALU_DEP_1)
	v_pk_fma_f32 v[126:127], v[124:125], v[112:113], v[122:123] op_sel:[0,0,1] op_sel_hi:[1,1,0] neg_lo:[0,0,1] neg_hi:[0,0,1]
	v_pk_fma_f32 v[122:123], v[124:125], v[112:113], v[122:123] op_sel:[0,0,1] op_sel_hi:[1,0,0]
	v_mov_b32_e32 v127, v123
	ds_load_2addr_b64 v[122:125], v116 offset0:8 offset1:9
	v_pk_add_f32 v[58:59], v[58:59], v[128:129] neg_lo:[0,1] neg_hi:[0,1]
	v_pk_add_f32 v[54:55], v[54:55], v[126:127] neg_lo:[0,1] neg_hi:[0,1]
	s_wait_dscnt 0x0
	v_pk_mul_f32 v[126:127], v[122:123], v[114:115] op_sel:[0,1]
	s_delay_alu instid0(VALU_DEP_1) | instskip(SKIP_1) | instid1(VALU_DEP_1)
	v_pk_fma_f32 v[128:129], v[122:123], v[112:113], v[126:127] op_sel:[0,0,1] op_sel_hi:[1,1,0] neg_lo:[0,0,1] neg_hi:[0,0,1]
	v_pk_fma_f32 v[122:123], v[122:123], v[112:113], v[126:127] op_sel:[0,0,1] op_sel_hi:[1,0,0]
	v_mov_b32_e32 v129, v123
	v_pk_mul_f32 v[122:123], v[124:125], v[114:115] op_sel:[0,1]
	s_delay_alu instid0(VALU_DEP_1) | instskip(SKIP_1) | instid1(VALU_DEP_1)
	v_pk_fma_f32 v[126:127], v[124:125], v[112:113], v[122:123] op_sel:[0,0,1] op_sel_hi:[1,1,0] neg_lo:[0,0,1] neg_hi:[0,0,1]
	v_pk_fma_f32 v[122:123], v[124:125], v[112:113], v[122:123] op_sel:[0,0,1] op_sel_hi:[1,0,0]
	v_mov_b32_e32 v127, v123
	ds_load_2addr_b64 v[122:125], v116 offset0:10 offset1:11
	v_pk_add_f32 v[100:101], v[100:101], v[128:129] neg_lo:[0,1] neg_hi:[0,1]
	v_pk_add_f32 v[96:97], v[96:97], v[126:127] neg_lo:[0,1] neg_hi:[0,1]
	s_wait_dscnt 0x0
	v_dual_mul_f32 v126, v123, v115 :: v_dual_mul_f32 v128, v123, v112
	s_delay_alu instid0(VALU_DEP_1) | instskip(NEXT) | instid1(VALU_DEP_2)
	v_pk_fma_f32 v[126:127], v[122:123], v[106:107], v[126:127] op_sel_hi:[1,1,0] neg_lo:[0,0,1] neg_hi:[0,0,1]
	v_pk_fma_f32 v[122:123], v[122:123], v[106:107], v[128:129] op_sel:[1,0,0] op_sel_hi:[0,1,0]
	s_delay_alu instid0(VALU_DEP_1) | instskip(SKIP_1) | instid1(VALU_DEP_2)
	v_mov_b32_e32 v127, v123
	v_pk_mul_f32 v[122:123], v[124:125], v[114:115] op_sel:[0,1]
	v_pk_add_f32 v[98:99], v[98:99], v[126:127] neg_lo:[0,1] neg_hi:[0,1]
	s_delay_alu instid0(VALU_DEP_2) | instskip(SKIP_1) | instid1(VALU_DEP_1)
	v_pk_fma_f32 v[126:127], v[124:125], v[112:113], v[122:123] op_sel:[0,0,1] op_sel_hi:[1,1,0] neg_lo:[0,0,1] neg_hi:[0,0,1]
	v_pk_fma_f32 v[122:123], v[124:125], v[112:113], v[122:123] op_sel:[0,0,1] op_sel_hi:[1,0,0]
	v_mov_b32_e32 v127, v123
	ds_load_2addr_b64 v[122:125], v116 offset0:12 offset1:13
	v_pk_add_f32 v[94:95], v[94:95], v[126:127] neg_lo:[0,1] neg_hi:[0,1]
	s_wait_dscnt 0x0
	v_pk_mul_f32 v[126:127], v[122:123], v[114:115] op_sel:[0,1]
	s_delay_alu instid0(VALU_DEP_1) | instskip(SKIP_1) | instid1(VALU_DEP_1)
	v_pk_fma_f32 v[128:129], v[122:123], v[112:113], v[126:127] op_sel:[0,0,1] op_sel_hi:[1,1,0] neg_lo:[0,0,1] neg_hi:[0,0,1]
	v_pk_fma_f32 v[122:123], v[122:123], v[112:113], v[126:127] op_sel:[0,0,1] op_sel_hi:[1,0,0]
	v_mov_b32_e32 v129, v123
	v_pk_mul_f32 v[122:123], v[124:125], v[114:115] op_sel:[0,1]
	s_delay_alu instid0(VALU_DEP_2) | instskip(NEXT) | instid1(VALU_DEP_2)
	v_pk_add_f32 v[92:93], v[92:93], v[128:129] neg_lo:[0,1] neg_hi:[0,1]
	v_pk_fma_f32 v[126:127], v[124:125], v[112:113], v[122:123] op_sel:[0,0,1] op_sel_hi:[1,1,0] neg_lo:[0,0,1] neg_hi:[0,0,1]
	v_pk_fma_f32 v[122:123], v[124:125], v[112:113], v[122:123] op_sel:[0,0,1] op_sel_hi:[1,0,0]
	s_delay_alu instid0(VALU_DEP_1) | instskip(SKIP_4) | instid1(VALU_DEP_1)
	v_mov_b32_e32 v127, v123
	ds_load_2addr_b64 v[122:125], v116 offset0:14 offset1:15
	v_pk_add_f32 v[88:89], v[88:89], v[126:127] neg_lo:[0,1] neg_hi:[0,1]
	s_wait_dscnt 0x0
	v_pk_mul_f32 v[126:127], v[122:123], v[114:115] op_sel:[0,1]
	v_pk_fma_f32 v[128:129], v[122:123], v[112:113], v[126:127] op_sel:[0,0,1] op_sel_hi:[1,1,0] neg_lo:[0,0,1] neg_hi:[0,0,1]
	v_pk_fma_f32 v[122:123], v[122:123], v[112:113], v[126:127] op_sel:[0,0,1] op_sel_hi:[1,0,0]
	v_dual_mul_f32 v126, v125, v115 :: v_dual_mov_b32 v122, v125
	s_delay_alu instid0(VALU_DEP_2) | instskip(NEXT) | instid1(VALU_DEP_2)
	v_dual_mov_b32 v129, v123 :: v_dual_mov_b32 v123, v124
	v_pk_fma_f32 v[126:127], v[124:125], v[106:107], v[126:127] op_sel_hi:[1,1,0] neg_lo:[0,0,1] neg_hi:[0,0,1]
	v_mul_f32_e32 v124, v125, v112
	s_delay_alu instid0(VALU_DEP_3) | instskip(NEXT) | instid1(VALU_DEP_2)
	v_pk_add_f32 v[90:91], v[90:91], v[128:129] neg_lo:[0,1] neg_hi:[0,1]
	v_pk_fma_f32 v[122:123], v[122:123], v[106:107], v[124:125] op_sel_hi:[1,1,0]
	s_delay_alu instid0(VALU_DEP_1) | instskip(SKIP_4) | instid1(VALU_DEP_1)
	v_mov_b32_e32 v127, v123
	ds_load_2addr_b64 v[122:125], v116 offset0:16 offset1:17
	v_pk_add_f32 v[86:87], v[86:87], v[126:127] neg_lo:[0,1] neg_hi:[0,1]
	s_wait_dscnt 0x0
	v_pk_mul_f32 v[126:127], v[122:123], v[114:115] op_sel:[0,1]
	v_pk_fma_f32 v[128:129], v[122:123], v[112:113], v[126:127] op_sel:[0,0,1] op_sel_hi:[1,1,0] neg_lo:[0,0,1] neg_hi:[0,0,1]
	v_pk_fma_f32 v[122:123], v[122:123], v[112:113], v[126:127] op_sel:[0,0,1] op_sel_hi:[1,0,0]
	s_delay_alu instid0(VALU_DEP_1) | instskip(SKIP_1) | instid1(VALU_DEP_1)
	v_mov_b32_e32 v129, v123
	v_pk_mul_f32 v[122:123], v[124:125], v[114:115] op_sel:[0,1]
	v_pk_fma_f32 v[126:127], v[124:125], v[112:113], v[122:123] op_sel:[0,0,1] op_sel_hi:[1,1,0] neg_lo:[0,0,1] neg_hi:[0,0,1]
	v_pk_fma_f32 v[122:123], v[124:125], v[112:113], v[122:123] op_sel:[0,0,1] op_sel_hi:[1,0,0]
	s_delay_alu instid0(VALU_DEP_1)
	v_mov_b32_e32 v127, v123
	ds_load_2addr_b64 v[122:125], v116 offset0:18 offset1:19
	v_pk_add_f32 v[84:85], v[84:85], v[128:129] neg_lo:[0,1] neg_hi:[0,1]
	v_pk_add_f32 v[80:81], v[80:81], v[126:127] neg_lo:[0,1] neg_hi:[0,1]
	s_wait_dscnt 0x0
	v_pk_mul_f32 v[126:127], v[122:123], v[114:115] op_sel:[0,1]
	s_delay_alu instid0(VALU_DEP_1) | instskip(SKIP_1) | instid1(VALU_DEP_1)
	v_pk_fma_f32 v[128:129], v[122:123], v[112:113], v[126:127] op_sel:[0,0,1] op_sel_hi:[1,1,0] neg_lo:[0,0,1] neg_hi:[0,0,1]
	v_pk_fma_f32 v[122:123], v[122:123], v[112:113], v[126:127] op_sel:[0,0,1] op_sel_hi:[1,0,0]
	v_mov_b32_e32 v129, v123
	v_pk_mul_f32 v[122:123], v[124:125], v[114:115] op_sel:[0,1]
	s_delay_alu instid0(VALU_DEP_1) | instskip(SKIP_1) | instid1(VALU_DEP_1)
	v_pk_fma_f32 v[126:127], v[124:125], v[112:113], v[122:123] op_sel:[0,0,1] op_sel_hi:[1,1,0] neg_lo:[0,0,1] neg_hi:[0,0,1]
	v_pk_fma_f32 v[122:123], v[124:125], v[112:113], v[122:123] op_sel:[0,0,1] op_sel_hi:[1,0,0]
	v_mov_b32_e32 v127, v123
	ds_load_2addr_b64 v[122:125], v116 offset0:20 offset1:21
	v_pk_add_f32 v[82:83], v[82:83], v[128:129] neg_lo:[0,1] neg_hi:[0,1]
	v_pk_add_f32 v[78:79], v[78:79], v[126:127] neg_lo:[0,1] neg_hi:[0,1]
	s_wait_dscnt 0x0
	v_dual_mul_f32 v126, v123, v115 :: v_dual_mul_f32 v128, v123, v112
	s_delay_alu instid0(VALU_DEP_1) | instskip(NEXT) | instid1(VALU_DEP_2)
	v_pk_fma_f32 v[126:127], v[122:123], v[106:107], v[126:127] op_sel_hi:[1,1,0] neg_lo:[0,0,1] neg_hi:[0,0,1]
	v_pk_fma_f32 v[122:123], v[122:123], v[106:107], v[128:129] op_sel:[1,0,0] op_sel_hi:[0,1,0]
	s_delay_alu instid0(VALU_DEP_1) | instskip(SKIP_1) | instid1(VALU_DEP_2)
	v_mov_b32_e32 v127, v123
	v_pk_mul_f32 v[122:123], v[124:125], v[114:115] op_sel:[0,1]
	v_pk_add_f32 v[76:77], v[76:77], v[126:127] neg_lo:[0,1] neg_hi:[0,1]
	s_delay_alu instid0(VALU_DEP_2) | instskip(SKIP_1) | instid1(VALU_DEP_1)
	v_pk_fma_f32 v[126:127], v[124:125], v[112:113], v[122:123] op_sel:[0,0,1] op_sel_hi:[1,1,0] neg_lo:[0,0,1] neg_hi:[0,0,1]
	v_pk_fma_f32 v[122:123], v[124:125], v[112:113], v[122:123] op_sel:[0,0,1] op_sel_hi:[1,0,0]
	v_mov_b32_e32 v127, v123
	ds_load_2addr_b64 v[122:125], v116 offset0:22 offset1:23
	v_pk_add_f32 v[72:73], v[72:73], v[126:127] neg_lo:[0,1] neg_hi:[0,1]
	s_wait_dscnt 0x0
	v_pk_mul_f32 v[126:127], v[122:123], v[114:115] op_sel:[0,1]
	s_delay_alu instid0(VALU_DEP_1) | instskip(SKIP_1) | instid1(VALU_DEP_1)
	v_pk_fma_f32 v[128:129], v[122:123], v[112:113], v[126:127] op_sel:[0,0,1] op_sel_hi:[1,1,0] neg_lo:[0,0,1] neg_hi:[0,0,1]
	v_pk_fma_f32 v[122:123], v[122:123], v[112:113], v[126:127] op_sel:[0,0,1] op_sel_hi:[1,0,0]
	v_mov_b32_e32 v129, v123
	v_pk_mul_f32 v[122:123], v[124:125], v[114:115] op_sel:[0,1]
	s_delay_alu instid0(VALU_DEP_2) | instskip(NEXT) | instid1(VALU_DEP_2)
	v_pk_add_f32 v[74:75], v[74:75], v[128:129] neg_lo:[0,1] neg_hi:[0,1]
	v_pk_fma_f32 v[126:127], v[124:125], v[112:113], v[122:123] op_sel:[0,0,1] op_sel_hi:[1,1,0] neg_lo:[0,0,1] neg_hi:[0,0,1]
	v_pk_fma_f32 v[122:123], v[124:125], v[112:113], v[122:123] op_sel:[0,0,1] op_sel_hi:[1,0,0]
	s_delay_alu instid0(VALU_DEP_1) | instskip(SKIP_4) | instid1(VALU_DEP_1)
	v_mov_b32_e32 v127, v123
	ds_load_2addr_b64 v[122:125], v116 offset0:24 offset1:25
	v_pk_add_f32 v[70:71], v[70:71], v[126:127] neg_lo:[0,1] neg_hi:[0,1]
	s_wait_dscnt 0x0
	v_pk_mul_f32 v[126:127], v[122:123], v[114:115] op_sel:[0,1]
	v_pk_fma_f32 v[128:129], v[122:123], v[112:113], v[126:127] op_sel:[0,0,1] op_sel_hi:[1,1,0] neg_lo:[0,0,1] neg_hi:[0,0,1]
	v_pk_fma_f32 v[122:123], v[122:123], v[112:113], v[126:127] op_sel:[0,0,1] op_sel_hi:[1,0,0]
	v_dual_mul_f32 v126, v125, v115 :: v_dual_mov_b32 v122, v125
	s_delay_alu instid0(VALU_DEP_2) | instskip(NEXT) | instid1(VALU_DEP_2)
	v_dual_mov_b32 v129, v123 :: v_dual_mov_b32 v123, v124
	v_pk_fma_f32 v[126:127], v[124:125], v[106:107], v[126:127] op_sel_hi:[1,1,0] neg_lo:[0,0,1] neg_hi:[0,0,1]
	v_mul_f32_e32 v124, v125, v112
	s_delay_alu instid0(VALU_DEP_3) | instskip(NEXT) | instid1(VALU_DEP_2)
	v_pk_add_f32 v[68:69], v[68:69], v[128:129] neg_lo:[0,1] neg_hi:[0,1]
	v_pk_fma_f32 v[122:123], v[122:123], v[106:107], v[124:125] op_sel_hi:[1,1,0]
	s_delay_alu instid0(VALU_DEP_1) | instskip(SKIP_4) | instid1(VALU_DEP_1)
	v_mov_b32_e32 v127, v123
	ds_load_2addr_b64 v[122:125], v116 offset0:26 offset1:27
	v_pk_add_f32 v[64:65], v[64:65], v[126:127] neg_lo:[0,1] neg_hi:[0,1]
	s_wait_dscnt 0x0
	v_pk_mul_f32 v[126:127], v[122:123], v[114:115] op_sel:[0,1]
	v_pk_fma_f32 v[128:129], v[122:123], v[112:113], v[126:127] op_sel:[0,0,1] op_sel_hi:[1,1,0] neg_lo:[0,0,1] neg_hi:[0,0,1]
	v_pk_fma_f32 v[122:123], v[122:123], v[112:113], v[126:127] op_sel:[0,0,1] op_sel_hi:[1,0,0]
	s_delay_alu instid0(VALU_DEP_1) | instskip(SKIP_1) | instid1(VALU_DEP_1)
	v_mov_b32_e32 v129, v123
	v_pk_mul_f32 v[122:123], v[124:125], v[114:115] op_sel:[0,1]
	v_pk_fma_f32 v[126:127], v[124:125], v[112:113], v[122:123] op_sel:[0,0,1] op_sel_hi:[1,1,0] neg_lo:[0,0,1] neg_hi:[0,0,1]
	v_pk_fma_f32 v[122:123], v[124:125], v[112:113], v[122:123] op_sel:[0,0,1] op_sel_hi:[1,0,0]
	s_delay_alu instid0(VALU_DEP_1)
	v_mov_b32_e32 v127, v123
	ds_load_2addr_b64 v[122:125], v116 offset0:28 offset1:29
	v_pk_add_f32 v[66:67], v[66:67], v[128:129] neg_lo:[0,1] neg_hi:[0,1]
	v_pk_add_f32 v[62:63], v[62:63], v[126:127] neg_lo:[0,1] neg_hi:[0,1]
	s_wait_dscnt 0x0
	v_pk_mul_f32 v[126:127], v[122:123], v[114:115] op_sel:[0,1]
	s_delay_alu instid0(VALU_DEP_1) | instskip(SKIP_1) | instid1(VALU_DEP_1)
	v_pk_fma_f32 v[128:129], v[122:123], v[112:113], v[126:127] op_sel:[0,0,1] op_sel_hi:[1,1,0] neg_lo:[0,0,1] neg_hi:[0,0,1]
	v_pk_fma_f32 v[122:123], v[122:123], v[112:113], v[126:127] op_sel:[0,0,1] op_sel_hi:[1,0,0]
	v_mov_b32_e32 v129, v123
	v_pk_mul_f32 v[122:123], v[124:125], v[114:115] op_sel:[0,1]
	s_delay_alu instid0(VALU_DEP_1) | instskip(SKIP_1) | instid1(VALU_DEP_1)
	v_pk_fma_f32 v[126:127], v[124:125], v[112:113], v[122:123] op_sel:[0,0,1] op_sel_hi:[1,1,0] neg_lo:[0,0,1] neg_hi:[0,0,1]
	v_pk_fma_f32 v[122:123], v[124:125], v[112:113], v[122:123] op_sel:[0,0,1] op_sel_hi:[1,0,0]
	v_mov_b32_e32 v127, v123
	ds_load_2addr_b64 v[122:125], v116 offset0:30 offset1:31
	v_pk_add_f32 v[52:53], v[52:53], v[128:129] neg_lo:[0,1] neg_hi:[0,1]
	v_pk_add_f32 v[48:49], v[48:49], v[126:127] neg_lo:[0,1] neg_hi:[0,1]
	s_wait_dscnt 0x0
	v_dual_mul_f32 v126, v123, v115 :: v_dual_mul_f32 v128, v123, v112
	s_delay_alu instid0(VALU_DEP_1) | instskip(NEXT) | instid1(VALU_DEP_2)
	v_pk_fma_f32 v[126:127], v[122:123], v[106:107], v[126:127] op_sel_hi:[1,1,0] neg_lo:[0,0,1] neg_hi:[0,0,1]
	v_pk_fma_f32 v[122:123], v[122:123], v[106:107], v[128:129] op_sel:[1,0,0] op_sel_hi:[0,1,0]
	s_delay_alu instid0(VALU_DEP_1) | instskip(SKIP_1) | instid1(VALU_DEP_2)
	v_mov_b32_e32 v127, v123
	v_pk_mul_f32 v[122:123], v[124:125], v[114:115] op_sel:[0,1]
	v_pk_add_f32 v[50:51], v[50:51], v[126:127] neg_lo:[0,1] neg_hi:[0,1]
	s_delay_alu instid0(VALU_DEP_2) | instskip(SKIP_1) | instid1(VALU_DEP_1)
	v_pk_fma_f32 v[126:127], v[124:125], v[112:113], v[122:123] op_sel:[0,0,1] op_sel_hi:[1,1,0] neg_lo:[0,0,1] neg_hi:[0,0,1]
	v_pk_fma_f32 v[122:123], v[124:125], v[112:113], v[122:123] op_sel:[0,0,1] op_sel_hi:[1,0,0]
	v_mov_b32_e32 v127, v123
	ds_load_2addr_b64 v[122:125], v116 offset0:32 offset1:33
	v_pk_add_f32 v[46:47], v[46:47], v[126:127] neg_lo:[0,1] neg_hi:[0,1]
	s_wait_dscnt 0x0
	v_pk_mul_f32 v[126:127], v[122:123], v[114:115] op_sel:[0,1]
	s_delay_alu instid0(VALU_DEP_1) | instskip(SKIP_1) | instid1(VALU_DEP_1)
	v_pk_fma_f32 v[128:129], v[122:123], v[112:113], v[126:127] op_sel:[0,0,1] op_sel_hi:[1,1,0] neg_lo:[0,0,1] neg_hi:[0,0,1]
	v_pk_fma_f32 v[122:123], v[122:123], v[112:113], v[126:127] op_sel:[0,0,1] op_sel_hi:[1,0,0]
	v_mov_b32_e32 v129, v123
	v_pk_mul_f32 v[122:123], v[124:125], v[114:115] op_sel:[0,1]
	s_delay_alu instid0(VALU_DEP_2) | instskip(NEXT) | instid1(VALU_DEP_2)
	v_pk_add_f32 v[44:45], v[44:45], v[128:129] neg_lo:[0,1] neg_hi:[0,1]
	v_pk_fma_f32 v[126:127], v[124:125], v[112:113], v[122:123] op_sel:[0,0,1] op_sel_hi:[1,1,0] neg_lo:[0,0,1] neg_hi:[0,0,1]
	v_pk_fma_f32 v[122:123], v[124:125], v[112:113], v[122:123] op_sel:[0,0,1] op_sel_hi:[1,0,0]
	s_delay_alu instid0(VALU_DEP_1) | instskip(SKIP_4) | instid1(VALU_DEP_1)
	v_mov_b32_e32 v127, v123
	ds_load_2addr_b64 v[122:125], v116 offset0:34 offset1:35
	v_pk_add_f32 v[40:41], v[40:41], v[126:127] neg_lo:[0,1] neg_hi:[0,1]
	s_wait_dscnt 0x0
	v_pk_mul_f32 v[126:127], v[122:123], v[114:115] op_sel:[0,1]
	v_pk_fma_f32 v[128:129], v[122:123], v[112:113], v[126:127] op_sel:[0,0,1] op_sel_hi:[1,1,0] neg_lo:[0,0,1] neg_hi:[0,0,1]
	v_pk_fma_f32 v[122:123], v[122:123], v[112:113], v[126:127] op_sel:[0,0,1] op_sel_hi:[1,0,0]
	v_dual_mul_f32 v126, v125, v115 :: v_dual_mov_b32 v122, v125
	s_delay_alu instid0(VALU_DEP_2) | instskip(NEXT) | instid1(VALU_DEP_2)
	v_dual_mov_b32 v129, v123 :: v_dual_mov_b32 v123, v124
	v_pk_fma_f32 v[126:127], v[124:125], v[106:107], v[126:127] op_sel_hi:[1,1,0] neg_lo:[0,0,1] neg_hi:[0,0,1]
	v_mul_f32_e32 v124, v125, v112
	s_delay_alu instid0(VALU_DEP_3) | instskip(NEXT) | instid1(VALU_DEP_2)
	v_pk_add_f32 v[42:43], v[42:43], v[128:129] neg_lo:[0,1] neg_hi:[0,1]
	v_pk_fma_f32 v[122:123], v[122:123], v[106:107], v[124:125] op_sel_hi:[1,1,0]
	s_delay_alu instid0(VALU_DEP_1) | instskip(SKIP_4) | instid1(VALU_DEP_1)
	v_mov_b32_e32 v127, v123
	ds_load_2addr_b64 v[122:125], v116 offset0:36 offset1:37
	v_pk_add_f32 v[38:39], v[38:39], v[126:127] neg_lo:[0,1] neg_hi:[0,1]
	s_wait_dscnt 0x0
	v_pk_mul_f32 v[126:127], v[122:123], v[114:115] op_sel:[0,1]
	v_pk_fma_f32 v[128:129], v[122:123], v[112:113], v[126:127] op_sel:[0,0,1] op_sel_hi:[1,1,0] neg_lo:[0,0,1] neg_hi:[0,0,1]
	v_pk_fma_f32 v[122:123], v[122:123], v[112:113], v[126:127] op_sel:[0,0,1] op_sel_hi:[1,0,0]
	s_delay_alu instid0(VALU_DEP_1) | instskip(SKIP_1) | instid1(VALU_DEP_1)
	v_mov_b32_e32 v129, v123
	v_pk_mul_f32 v[122:123], v[124:125], v[114:115] op_sel:[0,1]
	v_pk_fma_f32 v[126:127], v[124:125], v[112:113], v[122:123] op_sel:[0,0,1] op_sel_hi:[1,1,0] neg_lo:[0,0,1] neg_hi:[0,0,1]
	v_pk_fma_f32 v[122:123], v[124:125], v[112:113], v[122:123] op_sel:[0,0,1] op_sel_hi:[1,0,0]
	s_delay_alu instid0(VALU_DEP_1)
	v_mov_b32_e32 v127, v123
	ds_load_2addr_b64 v[122:125], v116 offset0:38 offset1:39
	v_pk_add_f32 v[36:37], v[36:37], v[128:129] neg_lo:[0,1] neg_hi:[0,1]
	v_pk_add_f32 v[32:33], v[32:33], v[126:127] neg_lo:[0,1] neg_hi:[0,1]
	s_wait_dscnt 0x0
	v_pk_mul_f32 v[126:127], v[122:123], v[114:115] op_sel:[0,1]
	s_delay_alu instid0(VALU_DEP_1) | instskip(SKIP_1) | instid1(VALU_DEP_1)
	v_pk_fma_f32 v[128:129], v[122:123], v[112:113], v[126:127] op_sel:[0,0,1] op_sel_hi:[1,1,0] neg_lo:[0,0,1] neg_hi:[0,0,1]
	v_pk_fma_f32 v[122:123], v[122:123], v[112:113], v[126:127] op_sel:[0,0,1] op_sel_hi:[1,0,0]
	v_mov_b32_e32 v129, v123
	v_pk_mul_f32 v[122:123], v[124:125], v[114:115] op_sel:[0,1]
	s_delay_alu instid0(VALU_DEP_1) | instskip(SKIP_1) | instid1(VALU_DEP_1)
	v_pk_fma_f32 v[126:127], v[124:125], v[112:113], v[122:123] op_sel:[0,0,1] op_sel_hi:[1,1,0] neg_lo:[0,0,1] neg_hi:[0,0,1]
	v_pk_fma_f32 v[122:123], v[124:125], v[112:113], v[122:123] op_sel:[0,0,1] op_sel_hi:[1,0,0]
	v_mov_b32_e32 v127, v123
	ds_load_2addr_b64 v[122:125], v116 offset0:40 offset1:41
	v_pk_add_f32 v[34:35], v[34:35], v[128:129] neg_lo:[0,1] neg_hi:[0,1]
	v_pk_add_f32 v[30:31], v[30:31], v[126:127] neg_lo:[0,1] neg_hi:[0,1]
	s_wait_dscnt 0x0
	v_dual_mul_f32 v126, v123, v115 :: v_dual_mul_f32 v128, v123, v112
	s_delay_alu instid0(VALU_DEP_1) | instskip(NEXT) | instid1(VALU_DEP_2)
	v_pk_fma_f32 v[126:127], v[122:123], v[106:107], v[126:127] op_sel_hi:[1,1,0] neg_lo:[0,0,1] neg_hi:[0,0,1]
	v_pk_fma_f32 v[122:123], v[122:123], v[106:107], v[128:129] op_sel:[1,0,0] op_sel_hi:[0,1,0]
	s_delay_alu instid0(VALU_DEP_1) | instskip(SKIP_1) | instid1(VALU_DEP_2)
	v_mov_b32_e32 v127, v123
	v_pk_mul_f32 v[122:123], v[124:125], v[114:115] op_sel:[0,1]
	v_pk_add_f32 v[26:27], v[26:27], v[126:127] neg_lo:[0,1] neg_hi:[0,1]
	s_delay_alu instid0(VALU_DEP_2) | instskip(SKIP_1) | instid1(VALU_DEP_1)
	v_pk_fma_f32 v[126:127], v[124:125], v[112:113], v[122:123] op_sel:[0,0,1] op_sel_hi:[1,1,0] neg_lo:[0,0,1] neg_hi:[0,0,1]
	v_pk_fma_f32 v[122:123], v[124:125], v[112:113], v[122:123] op_sel:[0,0,1] op_sel_hi:[1,0,0]
	v_mov_b32_e32 v127, v123
	ds_load_2addr_b64 v[122:125], v116 offset0:42 offset1:43
	v_pk_add_f32 v[22:23], v[22:23], v[126:127] neg_lo:[0,1] neg_hi:[0,1]
	s_wait_dscnt 0x0
	v_pk_mul_f32 v[126:127], v[122:123], v[114:115] op_sel:[0,1]
	s_delay_alu instid0(VALU_DEP_1) | instskip(SKIP_1) | instid1(VALU_DEP_1)
	v_pk_fma_f32 v[128:129], v[122:123], v[112:113], v[126:127] op_sel:[0,0,1] op_sel_hi:[1,1,0] neg_lo:[0,0,1] neg_hi:[0,0,1]
	v_pk_fma_f32 v[122:123], v[122:123], v[112:113], v[126:127] op_sel:[0,0,1] op_sel_hi:[1,0,0]
	v_mov_b32_e32 v129, v123
	v_pk_mul_f32 v[122:123], v[124:125], v[114:115] op_sel:[0,1]
	s_delay_alu instid0(VALU_DEP_2) | instskip(NEXT) | instid1(VALU_DEP_2)
	v_pk_add_f32 v[24:25], v[24:25], v[128:129] neg_lo:[0,1] neg_hi:[0,1]
	v_pk_fma_f32 v[126:127], v[124:125], v[112:113], v[122:123] op_sel:[0,0,1] op_sel_hi:[1,1,0] neg_lo:[0,0,1] neg_hi:[0,0,1]
	v_pk_fma_f32 v[122:123], v[124:125], v[112:113], v[122:123] op_sel:[0,0,1] op_sel_hi:[1,0,0]
	s_delay_alu instid0(VALU_DEP_1) | instskip(SKIP_4) | instid1(VALU_DEP_1)
	v_mov_b32_e32 v127, v123
	ds_load_2addr_b64 v[122:125], v116 offset0:44 offset1:45
	v_pk_add_f32 v[20:21], v[20:21], v[126:127] neg_lo:[0,1] neg_hi:[0,1]
	s_wait_dscnt 0x0
	v_pk_mul_f32 v[126:127], v[122:123], v[114:115] op_sel:[0,1]
	v_pk_fma_f32 v[128:129], v[122:123], v[112:113], v[126:127] op_sel:[0,0,1] op_sel_hi:[1,1,0] neg_lo:[0,0,1] neg_hi:[0,0,1]
	v_pk_fma_f32 v[122:123], v[122:123], v[112:113], v[126:127] op_sel:[0,0,1] op_sel_hi:[1,0,0]
	v_dual_mul_f32 v126, v125, v115 :: v_dual_mov_b32 v122, v125
	s_delay_alu instid0(VALU_DEP_2) | instskip(NEXT) | instid1(VALU_DEP_2)
	v_dual_mov_b32 v129, v123 :: v_dual_mov_b32 v123, v124
	v_pk_fma_f32 v[126:127], v[124:125], v[106:107], v[126:127] op_sel_hi:[1,1,0] neg_lo:[0,0,1] neg_hi:[0,0,1]
	v_mul_f32_e32 v124, v125, v112
	s_delay_alu instid0(VALU_DEP_3) | instskip(NEXT) | instid1(VALU_DEP_2)
	v_pk_add_f32 v[14:15], v[14:15], v[128:129] neg_lo:[0,1] neg_hi:[0,1]
	v_pk_fma_f32 v[122:123], v[122:123], v[106:107], v[124:125] op_sel_hi:[1,1,0]
	s_delay_alu instid0(VALU_DEP_1) | instskip(SKIP_4) | instid1(VALU_DEP_1)
	v_mov_b32_e32 v127, v123
	ds_load_2addr_b64 v[122:125], v116 offset0:46 offset1:47
	v_pk_add_f32 v[10:11], v[10:11], v[126:127] neg_lo:[0,1] neg_hi:[0,1]
	s_wait_dscnt 0x0
	v_pk_mul_f32 v[126:127], v[122:123], v[114:115] op_sel:[0,1]
	v_pk_fma_f32 v[128:129], v[122:123], v[112:113], v[126:127] op_sel:[0,0,1] op_sel_hi:[1,1,0] neg_lo:[0,0,1] neg_hi:[0,0,1]
	v_pk_fma_f32 v[122:123], v[122:123], v[112:113], v[126:127] op_sel:[0,0,1] op_sel_hi:[1,0,0]
	s_delay_alu instid0(VALU_DEP_1) | instskip(SKIP_1) | instid1(VALU_DEP_1)
	v_mov_b32_e32 v129, v123
	v_pk_mul_f32 v[122:123], v[124:125], v[114:115] op_sel:[0,1]
	v_pk_fma_f32 v[126:127], v[124:125], v[112:113], v[122:123] op_sel:[0,0,1] op_sel_hi:[1,1,0] neg_lo:[0,0,1] neg_hi:[0,0,1]
	v_pk_fma_f32 v[122:123], v[124:125], v[112:113], v[122:123] op_sel:[0,0,1] op_sel_hi:[1,0,0]
	s_delay_alu instid0(VALU_DEP_1)
	v_mov_b32_e32 v127, v123
	ds_load_2addr_b64 v[122:125], v116 offset0:48 offset1:49
	v_pk_add_f32 v[12:13], v[12:13], v[128:129] neg_lo:[0,1] neg_hi:[0,1]
	v_pk_add_f32 v[8:9], v[8:9], v[126:127] neg_lo:[0,1] neg_hi:[0,1]
	s_wait_dscnt 0x0
	v_pk_mul_f32 v[126:127], v[122:123], v[114:115] op_sel:[0,1]
	s_delay_alu instid0(VALU_DEP_1) | instskip(SKIP_1) | instid1(VALU_DEP_1)
	v_pk_fma_f32 v[128:129], v[122:123], v[112:113], v[126:127] op_sel:[0,0,1] op_sel_hi:[1,1,0] neg_lo:[0,0,1] neg_hi:[0,0,1]
	v_pk_fma_f32 v[122:123], v[122:123], v[112:113], v[126:127] op_sel:[0,0,1] op_sel_hi:[1,0,0]
	v_mov_b32_e32 v129, v123
	v_pk_mul_f32 v[122:123], v[124:125], v[114:115] op_sel:[0,1]
	s_delay_alu instid0(VALU_DEP_1) | instskip(SKIP_1) | instid1(VALU_DEP_1)
	v_pk_fma_f32 v[126:127], v[124:125], v[112:113], v[122:123] op_sel:[0,0,1] op_sel_hi:[1,1,0] neg_lo:[0,0,1] neg_hi:[0,0,1]
	v_pk_fma_f32 v[122:123], v[124:125], v[112:113], v[122:123] op_sel:[0,0,1] op_sel_hi:[1,0,0]
	v_mov_b32_e32 v127, v123
	ds_load_2addr_b64 v[122:125], v116 offset0:50 offset1:51
	v_pk_add_f32 v[6:7], v[6:7], v[128:129] neg_lo:[0,1] neg_hi:[0,1]
	v_pk_add_f32 v[28:29], v[28:29], v[126:127] neg_lo:[0,1] neg_hi:[0,1]
	s_wait_dscnt 0x0
	v_dual_mul_f32 v126, v123, v115 :: v_dual_mul_f32 v128, v123, v112
	s_delay_alu instid0(VALU_DEP_1) | instskip(NEXT) | instid1(VALU_DEP_2)
	v_pk_fma_f32 v[126:127], v[122:123], v[106:107], v[126:127] op_sel_hi:[1,1,0] neg_lo:[0,0,1] neg_hi:[0,0,1]
	v_pk_fma_f32 v[122:123], v[122:123], v[106:107], v[128:129] op_sel:[1,0,0] op_sel_hi:[0,1,0]
	s_delay_alu instid0(VALU_DEP_1) | instskip(SKIP_1) | instid1(VALU_DEP_2)
	v_mov_b32_e32 v127, v123
	v_pk_mul_f32 v[122:123], v[124:125], v[114:115] op_sel:[0,1]
	v_pk_add_f32 v[18:19], v[18:19], v[126:127] neg_lo:[0,1] neg_hi:[0,1]
	s_delay_alu instid0(VALU_DEP_2) | instskip(SKIP_1) | instid1(VALU_DEP_1)
	v_pk_fma_f32 v[126:127], v[124:125], v[112:113], v[122:123] op_sel:[0,0,1] op_sel_hi:[1,1,0] neg_lo:[0,0,1] neg_hi:[0,0,1]
	v_pk_fma_f32 v[122:123], v[124:125], v[112:113], v[122:123] op_sel:[0,0,1] op_sel_hi:[1,0,0]
	v_mov_b32_e32 v127, v123
	ds_load_b64 v[122:123], v116 offset:416
	v_pk_add_f32 v[16:17], v[16:17], v[126:127] neg_lo:[0,1] neg_hi:[0,1]
	s_wait_dscnt 0x0
	v_pk_mul_f32 v[114:115], v[122:123], v[114:115] op_sel:[0,1]
	s_delay_alu instid0(VALU_DEP_1) | instskip(SKIP_1) | instid1(VALU_DEP_1)
	v_pk_fma_f32 v[124:125], v[122:123], v[112:113], v[114:115] op_sel:[0,0,1] op_sel_hi:[1,1,0] neg_lo:[0,0,1] neg_hi:[0,0,1]
	v_pk_fma_f32 v[112:113], v[122:123], v[112:113], v[114:115] op_sel:[0,0,1] op_sel_hi:[1,0,0]
	v_mov_b32_e32 v125, v113
	s_delay_alu instid0(VALU_DEP_1)
	v_pk_add_f32 v[110:111], v[110:111], v[124:125] neg_lo:[0,1] neg_hi:[0,1]
.LBB104_41:
	s_or_b32 exec_lo, exec_lo, s0
	v_lshl_add_u32 v112, v120, 3, v116
	s_barrier_signal -1
	s_barrier_wait -1
	ds_store_b64 v112, v[104:105]
	s_wait_dscnt 0x0
	s_barrier_signal -1
	s_barrier_wait -1
	ds_load_b64 v[114:115], v116 offset:16
	v_mov_b32_e32 v112, 2
	s_cmp_lt_i32 s18, 4
	s_mov_b32 s0, 3
	s_cbranch_scc1 .LBB104_44
; %bb.42:
	v_add3_u32 v113, v117, 0, 24
	v_mov_b32_e32 v112, 2
.LBB104_43:                             ; =>This Inner Loop Header: Depth=1
	ds_load_b64 v[122:123], v113
	s_wait_dscnt 0x1
	v_cmp_gt_f32_e32 vcc_lo, 0, v114
	v_cndmask_b32_e64 v124, v114, -v114, vcc_lo
	v_cmp_gt_f32_e32 vcc_lo, 0, v115
	v_cndmask_b32_e64 v126, v115, -v115, vcc_lo
	s_wait_dscnt 0x0
	v_cmp_gt_f32_e32 vcc_lo, 0, v122
	v_cndmask_b32_e64 v125, v122, -v122, vcc_lo
	v_cmp_gt_f32_e32 vcc_lo, 0, v123
	v_cndmask_b32_e64 v127, v123, -v123, vcc_lo
	s_delay_alu instid0(VALU_DEP_1) | instskip(NEXT) | instid1(VALU_DEP_1)
	v_pk_add_f32 v[124:125], v[124:125], v[126:127]
	v_cmp_lt_f32_e32 vcc_lo, v124, v125
	v_dual_add_nc_u32 v113, 8, v113 :: v_dual_cndmask_b32 v115, v115, v123, vcc_lo
	v_cndmask_b32_e32 v114, v114, v122, vcc_lo
	v_cndmask_b32_e64 v112, v112, s0, vcc_lo
	s_add_co_i32 s0, s0, 1
	s_delay_alu instid0(SALU_CYCLE_1)
	s_cmp_lg_u32 s18, s0
	s_cbranch_scc1 .LBB104_43
.LBB104_44:
	s_wait_dscnt 0x0
	v_cmp_eq_f32_e32 vcc_lo, 0, v114
	v_cmp_eq_f32_e64 s0, 0, v115
	s_and_b32 s0, vcc_lo, s0
	s_delay_alu instid0(SALU_CYCLE_1) | instskip(NEXT) | instid1(SALU_CYCLE_1)
	s_and_saveexec_b32 s1, s0
	s_xor_b32 s0, exec_lo, s1
; %bb.45:
	v_cmp_ne_u32_e32 vcc_lo, 0, v118
	v_cndmask_b32_e32 v118, 3, v118, vcc_lo
; %bb.46:
	s_and_not1_saveexec_b32 s0, s0
	s_cbranch_execz .LBB104_52
; %bb.47:
	v_cmp_ngt_f32_e64 s1, |v114|, |v115|
	s_and_saveexec_b32 s12, s1
	s_delay_alu instid0(SALU_CYCLE_1)
	s_xor_b32 s1, exec_lo, s12
	s_cbranch_execz .LBB104_49
; %bb.48:
	v_div_scale_f32 v113, null, v115, v115, v114
	v_div_scale_f32 v123, vcc_lo, v114, v115, v114
	s_delay_alu instid0(VALU_DEP_2) | instskip(SKIP_1) | instid1(TRANS32_DEP_1)
	v_rcp_f32_e32 v121, v113
	v_nop
	v_fma_f32 v122, -v113, v121, 1.0
	s_delay_alu instid0(VALU_DEP_1) | instskip(NEXT) | instid1(VALU_DEP_1)
	v_fmac_f32_e32 v121, v122, v121
	v_mul_f32_e32 v122, v123, v121
	s_delay_alu instid0(VALU_DEP_1) | instskip(NEXT) | instid1(VALU_DEP_1)
	v_fma_f32 v124, -v113, v122, v123
	v_fmac_f32_e32 v122, v124, v121
	s_delay_alu instid0(VALU_DEP_1) | instskip(NEXT) | instid1(VALU_DEP_1)
	v_fma_f32 v113, -v113, v122, v123
	v_div_fmas_f32 v113, v113, v121, v122
	s_delay_alu instid0(VALU_DEP_1) | instskip(NEXT) | instid1(VALU_DEP_1)
	v_div_fixup_f32 v113, v113, v115, v114
	v_fmac_f32_e32 v115, v114, v113
	s_delay_alu instid0(VALU_DEP_1) | instskip(SKIP_1) | instid1(VALU_DEP_2)
	v_div_scale_f32 v114, null, v115, v115, 1.0
	v_div_scale_f32 v123, vcc_lo, 1.0, v115, 1.0
	v_rcp_f32_e32 v121, v114
	v_nop
	s_delay_alu instid0(TRANS32_DEP_1) | instskip(NEXT) | instid1(VALU_DEP_1)
	v_fma_f32 v122, -v114, v121, 1.0
	v_fmac_f32_e32 v121, v122, v121
	s_delay_alu instid0(VALU_DEP_1) | instskip(NEXT) | instid1(VALU_DEP_1)
	v_mul_f32_e32 v122, v123, v121
	v_fma_f32 v124, -v114, v122, v123
	s_delay_alu instid0(VALU_DEP_1) | instskip(NEXT) | instid1(VALU_DEP_1)
	v_fmac_f32_e32 v122, v124, v121
	v_fma_f32 v114, -v114, v122, v123
	s_delay_alu instid0(VALU_DEP_1) | instskip(NEXT) | instid1(VALU_DEP_1)
	v_div_fmas_f32 v114, v114, v121, v122
	v_div_fixup_f32 v115, v114, v115, 1.0
	s_delay_alu instid0(VALU_DEP_1)
	v_mul_f32_e32 v114, v113, v115
	v_xor_b32_e32 v115, 0x80000000, v115
.LBB104_49:
	s_and_not1_saveexec_b32 s1, s1
	s_cbranch_execz .LBB104_51
; %bb.50:
	s_delay_alu instid0(VALU_DEP_1) | instskip(SKIP_1) | instid1(VALU_DEP_2)
	v_div_scale_f32 v113, null, v114, v114, v115
	v_div_scale_f32 v123, vcc_lo, v115, v114, v115
	v_rcp_f32_e32 v121, v113
	v_nop
	s_delay_alu instid0(TRANS32_DEP_1) | instskip(NEXT) | instid1(VALU_DEP_1)
	v_fma_f32 v122, -v113, v121, 1.0
	v_fmac_f32_e32 v121, v122, v121
	s_delay_alu instid0(VALU_DEP_1) | instskip(NEXT) | instid1(VALU_DEP_1)
	v_mul_f32_e32 v122, v123, v121
	v_fma_f32 v124, -v113, v122, v123
	s_delay_alu instid0(VALU_DEP_1) | instskip(NEXT) | instid1(VALU_DEP_1)
	v_fmac_f32_e32 v122, v124, v121
	v_fma_f32 v113, -v113, v122, v123
	s_delay_alu instid0(VALU_DEP_1) | instskip(NEXT) | instid1(VALU_DEP_1)
	v_div_fmas_f32 v113, v113, v121, v122
	v_div_fixup_f32 v113, v113, v114, v115
	s_delay_alu instid0(VALU_DEP_1) | instskip(NEXT) | instid1(VALU_DEP_1)
	v_fmac_f32_e32 v114, v115, v113
	v_div_scale_f32 v115, null, v114, v114, 1.0
	s_delay_alu instid0(VALU_DEP_1) | instskip(SKIP_1) | instid1(TRANS32_DEP_1)
	v_rcp_f32_e32 v121, v115
	v_nop
	v_fma_f32 v122, -v115, v121, 1.0
	s_delay_alu instid0(VALU_DEP_1) | instskip(SKIP_1) | instid1(VALU_DEP_1)
	v_fmac_f32_e32 v121, v122, v121
	v_div_scale_f32 v122, vcc_lo, 1.0, v114, 1.0
	v_mul_f32_e32 v123, v122, v121
	s_delay_alu instid0(VALU_DEP_1) | instskip(NEXT) | instid1(VALU_DEP_1)
	v_fma_f32 v124, -v115, v123, v122
	v_fmac_f32_e32 v123, v124, v121
	s_delay_alu instid0(VALU_DEP_1) | instskip(NEXT) | instid1(VALU_DEP_1)
	v_fma_f32 v115, -v115, v123, v122
	v_div_fmas_f32 v115, v115, v121, v123
	s_delay_alu instid0(VALU_DEP_1) | instskip(NEXT) | instid1(VALU_DEP_1)
	v_div_fixup_f32 v114, v115, v114, 1.0
	v_mul_f32_e64 v115, v113, -v114
.LBB104_51:
	s_or_b32 exec_lo, exec_lo, s1
.LBB104_52:
	s_delay_alu instid0(SALU_CYCLE_1) | instskip(NEXT) | instid1(SALU_CYCLE_1)
	s_or_b32 exec_lo, exec_lo, s0
	s_mov_b32 s0, exec_lo
	v_cmpx_ne_u32_e64 v120, v112
	s_xor_b32 s0, exec_lo, s0
	s_cbranch_execz .LBB104_58
; %bb.53:
	s_mov_b32 s1, exec_lo
	v_cmpx_eq_u32_e32 2, v120
	s_cbranch_execz .LBB104_57
; %bb.54:
	v_cmp_ne_u32_e32 vcc_lo, 2, v112
	s_xor_b32 s12, s16, -1
	s_delay_alu instid0(SALU_CYCLE_1) | instskip(NEXT) | instid1(SALU_CYCLE_1)
	s_and_b32 s13, s12, vcc_lo
	s_and_saveexec_b32 s12, s13
	s_cbranch_execz .LBB104_56
; %bb.55:
	v_ashrrev_i32_e32 v113, 31, v112
	s_delay_alu instid0(VALU_DEP_1)
	v_lshl_add_u64 v[120:121], v[112:113], 2, v[4:5]
	s_clause 0x1
	global_load_b32 v113, v[120:121], off
	global_load_b32 v119, v[4:5], off offset:8
	s_wait_loadcnt 0x1
	global_store_b32 v[4:5], v113, off offset:8
	s_wait_loadcnt 0x0
	global_store_b32 v[120:121], v119, off
.LBB104_56:
	s_wait_xcnt 0x0
	s_or_b32 exec_lo, exec_lo, s12
	v_dual_mov_b32 v120, v112 :: v_dual_mov_b32 v119, v112
.LBB104_57:
	s_or_b32 exec_lo, exec_lo, s1
.LBB104_58:
	s_and_not1_saveexec_b32 s0, s0
	s_cbranch_execz .LBB104_60
; %bb.59:
	v_mov_b32_e32 v120, 2
	ds_store_2addr_b64 v116, v[102:103], v[60:61] offset0:3 offset1:4
	ds_store_2addr_b64 v116, v[56:57], v[58:59] offset0:5 offset1:6
	;; [unrolled: 1-line block ×25, first 2 shown]
.LBB104_60:
	s_or_b32 exec_lo, exec_lo, s0
	s_delay_alu instid0(SALU_CYCLE_1)
	s_mov_b32 s0, exec_lo
	s_wait_storecnt_dscnt 0x0
	s_barrier_signal -1
	s_barrier_wait -1
	v_cmpx_lt_i32_e32 2, v120
	s_cbranch_execz .LBB104_62
; %bb.61:
	v_pk_mul_f32 v[122:123], v[114:115], v[104:105] op_sel:[1,1] op_sel_hi:[0,1]
	s_delay_alu instid0(VALU_DEP_1)
	v_pk_fma_f32 v[112:113], v[114:115], v[104:105], v[122:123] op_sel_hi:[1,0,1] neg_lo:[0,0,1] neg_hi:[0,0,1]
	v_pk_fma_f32 v[114:115], v[114:115], v[104:105], v[122:123] op_sel_hi:[1,0,1]
	ds_load_2addr_b64 v[122:125], v116 offset0:3 offset1:4
	v_dual_mov_b32 v104, v112 :: v_dual_mov_b32 v105, v115
	s_wait_dscnt 0x0
	v_pk_mul_f32 v[126:127], v[122:123], v[114:115] op_sel:[0,1]
	s_delay_alu instid0(VALU_DEP_1) | instskip(SKIP_1) | instid1(VALU_DEP_1)
	v_pk_fma_f32 v[128:129], v[122:123], v[112:113], v[126:127] op_sel:[0,0,1] op_sel_hi:[1,1,0] neg_lo:[0,0,1] neg_hi:[0,0,1]
	v_pk_fma_f32 v[122:123], v[122:123], v[112:113], v[126:127] op_sel:[0,0,1] op_sel_hi:[1,0,0]
	v_mov_b32_e32 v129, v123
	v_pk_mul_f32 v[122:123], v[124:125], v[114:115] op_sel:[0,1]
	s_delay_alu instid0(VALU_DEP_1) | instskip(SKIP_1) | instid1(VALU_DEP_1)
	v_pk_fma_f32 v[126:127], v[124:125], v[112:113], v[122:123] op_sel:[0,0,1] op_sel_hi:[1,1,0] neg_lo:[0,0,1] neg_hi:[0,0,1]
	v_pk_fma_f32 v[122:123], v[124:125], v[112:113], v[122:123] op_sel:[0,0,1] op_sel_hi:[1,0,0]
	v_mov_b32_e32 v127, v123
	ds_load_2addr_b64 v[122:125], v116 offset0:5 offset1:6
	v_pk_add_f32 v[102:103], v[102:103], v[128:129] neg_lo:[0,1] neg_hi:[0,1]
	v_pk_add_f32 v[60:61], v[60:61], v[126:127] neg_lo:[0,1] neg_hi:[0,1]
	s_wait_dscnt 0x0
	v_pk_mul_f32 v[126:127], v[122:123], v[114:115] op_sel:[0,1]
	s_delay_alu instid0(VALU_DEP_1) | instskip(SKIP_2) | instid1(VALU_DEP_2)
	v_pk_fma_f32 v[128:129], v[122:123], v[112:113], v[126:127] op_sel:[0,0,1] op_sel_hi:[1,1,0] neg_lo:[0,0,1] neg_hi:[0,0,1]
	v_pk_fma_f32 v[122:123], v[122:123], v[112:113], v[126:127] op_sel:[0,0,1] op_sel_hi:[1,0,0]
	v_dual_mul_f32 v126, v125, v115 :: v_dual_mov_b32 v122, v125
	v_dual_mov_b32 v129, v123 :: v_dual_mov_b32 v123, v124
	s_delay_alu instid0(VALU_DEP_2) | instskip(SKIP_1) | instid1(VALU_DEP_3)
	v_pk_fma_f32 v[126:127], v[124:125], v[104:105], v[126:127] op_sel_hi:[1,1,0] neg_lo:[0,0,1] neg_hi:[0,0,1]
	v_mul_f32_e32 v124, v125, v112
	v_pk_add_f32 v[56:57], v[56:57], v[128:129] neg_lo:[0,1] neg_hi:[0,1]
	s_delay_alu instid0(VALU_DEP_2) | instskip(NEXT) | instid1(VALU_DEP_1)
	v_pk_fma_f32 v[122:123], v[122:123], v[104:105], v[124:125] op_sel_hi:[1,1,0]
	v_mov_b32_e32 v127, v123
	ds_load_2addr_b64 v[122:125], v116 offset0:7 offset1:8
	v_pk_add_f32 v[58:59], v[58:59], v[126:127] neg_lo:[0,1] neg_hi:[0,1]
	s_wait_dscnt 0x0
	v_pk_mul_f32 v[126:127], v[122:123], v[114:115] op_sel:[0,1]
	s_delay_alu instid0(VALU_DEP_1) | instskip(SKIP_1) | instid1(VALU_DEP_1)
	v_pk_fma_f32 v[128:129], v[122:123], v[112:113], v[126:127] op_sel:[0,0,1] op_sel_hi:[1,1,0] neg_lo:[0,0,1] neg_hi:[0,0,1]
	v_pk_fma_f32 v[122:123], v[122:123], v[112:113], v[126:127] op_sel:[0,0,1] op_sel_hi:[1,0,0]
	v_mov_b32_e32 v129, v123
	v_pk_mul_f32 v[122:123], v[124:125], v[114:115] op_sel:[0,1]
	s_delay_alu instid0(VALU_DEP_1) | instskip(SKIP_1) | instid1(VALU_DEP_1)
	v_pk_fma_f32 v[126:127], v[124:125], v[112:113], v[122:123] op_sel:[0,0,1] op_sel_hi:[1,1,0] neg_lo:[0,0,1] neg_hi:[0,0,1]
	v_pk_fma_f32 v[122:123], v[124:125], v[112:113], v[122:123] op_sel:[0,0,1] op_sel_hi:[1,0,0]
	v_mov_b32_e32 v127, v123
	ds_load_2addr_b64 v[122:125], v116 offset0:9 offset1:10
	v_pk_add_f32 v[54:55], v[54:55], v[128:129] neg_lo:[0,1] neg_hi:[0,1]
	v_pk_add_f32 v[100:101], v[100:101], v[126:127] neg_lo:[0,1] neg_hi:[0,1]
	s_wait_dscnt 0x0
	v_pk_mul_f32 v[126:127], v[122:123], v[114:115] op_sel:[0,1]
	s_delay_alu instid0(VALU_DEP_1) | instskip(SKIP_1) | instid1(VALU_DEP_1)
	v_pk_fma_f32 v[128:129], v[122:123], v[112:113], v[126:127] op_sel:[0,0,1] op_sel_hi:[1,1,0] neg_lo:[0,0,1] neg_hi:[0,0,1]
	v_pk_fma_f32 v[122:123], v[122:123], v[112:113], v[126:127] op_sel:[0,0,1] op_sel_hi:[1,0,0]
	v_mov_b32_e32 v129, v123
	v_pk_mul_f32 v[122:123], v[124:125], v[114:115] op_sel:[0,1]
	s_delay_alu instid0(VALU_DEP_1) | instskip(SKIP_1) | instid1(VALU_DEP_1)
	v_pk_fma_f32 v[126:127], v[124:125], v[112:113], v[122:123] op_sel:[0,0,1] op_sel_hi:[1,1,0] neg_lo:[0,0,1] neg_hi:[0,0,1]
	v_pk_fma_f32 v[122:123], v[124:125], v[112:113], v[122:123] op_sel:[0,0,1] op_sel_hi:[1,0,0]
	v_mov_b32_e32 v127, v123
	ds_load_2addr_b64 v[122:125], v116 offset0:11 offset1:12
	v_pk_add_f32 v[96:97], v[96:97], v[128:129] neg_lo:[0,1] neg_hi:[0,1]
	v_pk_add_f32 v[98:99], v[98:99], v[126:127] neg_lo:[0,1] neg_hi:[0,1]
	s_wait_dscnt 0x0
	v_dual_mul_f32 v126, v123, v115 :: v_dual_mul_f32 v128, v123, v112
	s_delay_alu instid0(VALU_DEP_1) | instskip(NEXT) | instid1(VALU_DEP_2)
	v_pk_fma_f32 v[126:127], v[122:123], v[104:105], v[126:127] op_sel_hi:[1,1,0] neg_lo:[0,0,1] neg_hi:[0,0,1]
	v_pk_fma_f32 v[122:123], v[122:123], v[104:105], v[128:129] op_sel:[1,0,0] op_sel_hi:[0,1,0]
	s_delay_alu instid0(VALU_DEP_1) | instskip(SKIP_1) | instid1(VALU_DEP_2)
	v_mov_b32_e32 v127, v123
	v_pk_mul_f32 v[122:123], v[124:125], v[114:115] op_sel:[0,1]
	v_pk_add_f32 v[94:95], v[94:95], v[126:127] neg_lo:[0,1] neg_hi:[0,1]
	s_delay_alu instid0(VALU_DEP_2) | instskip(SKIP_1) | instid1(VALU_DEP_1)
	v_pk_fma_f32 v[126:127], v[124:125], v[112:113], v[122:123] op_sel:[0,0,1] op_sel_hi:[1,1,0] neg_lo:[0,0,1] neg_hi:[0,0,1]
	v_pk_fma_f32 v[122:123], v[124:125], v[112:113], v[122:123] op_sel:[0,0,1] op_sel_hi:[1,0,0]
	v_mov_b32_e32 v127, v123
	ds_load_2addr_b64 v[122:125], v116 offset0:13 offset1:14
	v_pk_add_f32 v[92:93], v[92:93], v[126:127] neg_lo:[0,1] neg_hi:[0,1]
	s_wait_dscnt 0x0
	v_pk_mul_f32 v[126:127], v[122:123], v[114:115] op_sel:[0,1]
	s_delay_alu instid0(VALU_DEP_1) | instskip(SKIP_1) | instid1(VALU_DEP_1)
	v_pk_fma_f32 v[128:129], v[122:123], v[112:113], v[126:127] op_sel:[0,0,1] op_sel_hi:[1,1,0] neg_lo:[0,0,1] neg_hi:[0,0,1]
	v_pk_fma_f32 v[122:123], v[122:123], v[112:113], v[126:127] op_sel:[0,0,1] op_sel_hi:[1,0,0]
	v_mov_b32_e32 v129, v123
	v_pk_mul_f32 v[122:123], v[124:125], v[114:115] op_sel:[0,1]
	s_delay_alu instid0(VALU_DEP_2) | instskip(NEXT) | instid1(VALU_DEP_2)
	v_pk_add_f32 v[88:89], v[88:89], v[128:129] neg_lo:[0,1] neg_hi:[0,1]
	v_pk_fma_f32 v[126:127], v[124:125], v[112:113], v[122:123] op_sel:[0,0,1] op_sel_hi:[1,1,0] neg_lo:[0,0,1] neg_hi:[0,0,1]
	v_pk_fma_f32 v[122:123], v[124:125], v[112:113], v[122:123] op_sel:[0,0,1] op_sel_hi:[1,0,0]
	s_delay_alu instid0(VALU_DEP_1) | instskip(SKIP_4) | instid1(VALU_DEP_1)
	v_mov_b32_e32 v127, v123
	ds_load_2addr_b64 v[122:125], v116 offset0:15 offset1:16
	v_pk_add_f32 v[90:91], v[90:91], v[126:127] neg_lo:[0,1] neg_hi:[0,1]
	s_wait_dscnt 0x0
	v_pk_mul_f32 v[126:127], v[122:123], v[114:115] op_sel:[0,1]
	v_pk_fma_f32 v[128:129], v[122:123], v[112:113], v[126:127] op_sel:[0,0,1] op_sel_hi:[1,1,0] neg_lo:[0,0,1] neg_hi:[0,0,1]
	v_pk_fma_f32 v[122:123], v[122:123], v[112:113], v[126:127] op_sel:[0,0,1] op_sel_hi:[1,0,0]
	v_dual_mul_f32 v126, v125, v115 :: v_dual_mov_b32 v122, v125
	s_delay_alu instid0(VALU_DEP_2) | instskip(NEXT) | instid1(VALU_DEP_2)
	v_dual_mov_b32 v129, v123 :: v_dual_mov_b32 v123, v124
	v_pk_fma_f32 v[126:127], v[124:125], v[104:105], v[126:127] op_sel_hi:[1,1,0] neg_lo:[0,0,1] neg_hi:[0,0,1]
	v_mul_f32_e32 v124, v125, v112
	s_delay_alu instid0(VALU_DEP_3) | instskip(NEXT) | instid1(VALU_DEP_2)
	v_pk_add_f32 v[86:87], v[86:87], v[128:129] neg_lo:[0,1] neg_hi:[0,1]
	v_pk_fma_f32 v[122:123], v[122:123], v[104:105], v[124:125] op_sel_hi:[1,1,0]
	s_delay_alu instid0(VALU_DEP_1) | instskip(SKIP_4) | instid1(VALU_DEP_1)
	v_mov_b32_e32 v127, v123
	ds_load_2addr_b64 v[122:125], v116 offset0:17 offset1:18
	v_pk_add_f32 v[84:85], v[84:85], v[126:127] neg_lo:[0,1] neg_hi:[0,1]
	s_wait_dscnt 0x0
	v_pk_mul_f32 v[126:127], v[122:123], v[114:115] op_sel:[0,1]
	v_pk_fma_f32 v[128:129], v[122:123], v[112:113], v[126:127] op_sel:[0,0,1] op_sel_hi:[1,1,0] neg_lo:[0,0,1] neg_hi:[0,0,1]
	v_pk_fma_f32 v[122:123], v[122:123], v[112:113], v[126:127] op_sel:[0,0,1] op_sel_hi:[1,0,0]
	s_delay_alu instid0(VALU_DEP_1) | instskip(SKIP_1) | instid1(VALU_DEP_1)
	v_mov_b32_e32 v129, v123
	v_pk_mul_f32 v[122:123], v[124:125], v[114:115] op_sel:[0,1]
	v_pk_fma_f32 v[126:127], v[124:125], v[112:113], v[122:123] op_sel:[0,0,1] op_sel_hi:[1,1,0] neg_lo:[0,0,1] neg_hi:[0,0,1]
	v_pk_fma_f32 v[122:123], v[124:125], v[112:113], v[122:123] op_sel:[0,0,1] op_sel_hi:[1,0,0]
	s_delay_alu instid0(VALU_DEP_1)
	v_mov_b32_e32 v127, v123
	ds_load_2addr_b64 v[122:125], v116 offset0:19 offset1:20
	v_pk_add_f32 v[80:81], v[80:81], v[128:129] neg_lo:[0,1] neg_hi:[0,1]
	v_pk_add_f32 v[82:83], v[82:83], v[126:127] neg_lo:[0,1] neg_hi:[0,1]
	s_wait_dscnt 0x0
	v_pk_mul_f32 v[126:127], v[122:123], v[114:115] op_sel:[0,1]
	s_delay_alu instid0(VALU_DEP_1) | instskip(SKIP_1) | instid1(VALU_DEP_1)
	v_pk_fma_f32 v[128:129], v[122:123], v[112:113], v[126:127] op_sel:[0,0,1] op_sel_hi:[1,1,0] neg_lo:[0,0,1] neg_hi:[0,0,1]
	v_pk_fma_f32 v[122:123], v[122:123], v[112:113], v[126:127] op_sel:[0,0,1] op_sel_hi:[1,0,0]
	v_mov_b32_e32 v129, v123
	v_pk_mul_f32 v[122:123], v[124:125], v[114:115] op_sel:[0,1]
	s_delay_alu instid0(VALU_DEP_1) | instskip(SKIP_1) | instid1(VALU_DEP_1)
	v_pk_fma_f32 v[126:127], v[124:125], v[112:113], v[122:123] op_sel:[0,0,1] op_sel_hi:[1,1,0] neg_lo:[0,0,1] neg_hi:[0,0,1]
	v_pk_fma_f32 v[122:123], v[124:125], v[112:113], v[122:123] op_sel:[0,0,1] op_sel_hi:[1,0,0]
	v_mov_b32_e32 v127, v123
	ds_load_2addr_b64 v[122:125], v116 offset0:21 offset1:22
	v_pk_add_f32 v[78:79], v[78:79], v[128:129] neg_lo:[0,1] neg_hi:[0,1]
	v_pk_add_f32 v[76:77], v[76:77], v[126:127] neg_lo:[0,1] neg_hi:[0,1]
	s_wait_dscnt 0x0
	v_dual_mul_f32 v126, v123, v115 :: v_dual_mul_f32 v128, v123, v112
	s_delay_alu instid0(VALU_DEP_1) | instskip(NEXT) | instid1(VALU_DEP_2)
	v_pk_fma_f32 v[126:127], v[122:123], v[104:105], v[126:127] op_sel_hi:[1,1,0] neg_lo:[0,0,1] neg_hi:[0,0,1]
	v_pk_fma_f32 v[122:123], v[122:123], v[104:105], v[128:129] op_sel:[1,0,0] op_sel_hi:[0,1,0]
	s_delay_alu instid0(VALU_DEP_1) | instskip(SKIP_1) | instid1(VALU_DEP_2)
	v_mov_b32_e32 v127, v123
	v_pk_mul_f32 v[122:123], v[124:125], v[114:115] op_sel:[0,1]
	v_pk_add_f32 v[72:73], v[72:73], v[126:127] neg_lo:[0,1] neg_hi:[0,1]
	s_delay_alu instid0(VALU_DEP_2) | instskip(SKIP_1) | instid1(VALU_DEP_1)
	v_pk_fma_f32 v[126:127], v[124:125], v[112:113], v[122:123] op_sel:[0,0,1] op_sel_hi:[1,1,0] neg_lo:[0,0,1] neg_hi:[0,0,1]
	v_pk_fma_f32 v[122:123], v[124:125], v[112:113], v[122:123] op_sel:[0,0,1] op_sel_hi:[1,0,0]
	v_mov_b32_e32 v127, v123
	ds_load_2addr_b64 v[122:125], v116 offset0:23 offset1:24
	v_pk_add_f32 v[74:75], v[74:75], v[126:127] neg_lo:[0,1] neg_hi:[0,1]
	s_wait_dscnt 0x0
	v_pk_mul_f32 v[126:127], v[122:123], v[114:115] op_sel:[0,1]
	s_delay_alu instid0(VALU_DEP_1) | instskip(SKIP_1) | instid1(VALU_DEP_1)
	v_pk_fma_f32 v[128:129], v[122:123], v[112:113], v[126:127] op_sel:[0,0,1] op_sel_hi:[1,1,0] neg_lo:[0,0,1] neg_hi:[0,0,1]
	v_pk_fma_f32 v[122:123], v[122:123], v[112:113], v[126:127] op_sel:[0,0,1] op_sel_hi:[1,0,0]
	v_mov_b32_e32 v129, v123
	v_pk_mul_f32 v[122:123], v[124:125], v[114:115] op_sel:[0,1]
	s_delay_alu instid0(VALU_DEP_2) | instskip(NEXT) | instid1(VALU_DEP_2)
	v_pk_add_f32 v[70:71], v[70:71], v[128:129] neg_lo:[0,1] neg_hi:[0,1]
	v_pk_fma_f32 v[126:127], v[124:125], v[112:113], v[122:123] op_sel:[0,0,1] op_sel_hi:[1,1,0] neg_lo:[0,0,1] neg_hi:[0,0,1]
	v_pk_fma_f32 v[122:123], v[124:125], v[112:113], v[122:123] op_sel:[0,0,1] op_sel_hi:[1,0,0]
	s_delay_alu instid0(VALU_DEP_1) | instskip(SKIP_4) | instid1(VALU_DEP_1)
	v_mov_b32_e32 v127, v123
	ds_load_2addr_b64 v[122:125], v116 offset0:25 offset1:26
	v_pk_add_f32 v[68:69], v[68:69], v[126:127] neg_lo:[0,1] neg_hi:[0,1]
	s_wait_dscnt 0x0
	v_pk_mul_f32 v[126:127], v[122:123], v[114:115] op_sel:[0,1]
	v_pk_fma_f32 v[128:129], v[122:123], v[112:113], v[126:127] op_sel:[0,0,1] op_sel_hi:[1,1,0] neg_lo:[0,0,1] neg_hi:[0,0,1]
	v_pk_fma_f32 v[122:123], v[122:123], v[112:113], v[126:127] op_sel:[0,0,1] op_sel_hi:[1,0,0]
	v_dual_mul_f32 v126, v125, v115 :: v_dual_mov_b32 v122, v125
	s_delay_alu instid0(VALU_DEP_2) | instskip(NEXT) | instid1(VALU_DEP_2)
	v_dual_mov_b32 v129, v123 :: v_dual_mov_b32 v123, v124
	v_pk_fma_f32 v[126:127], v[124:125], v[104:105], v[126:127] op_sel_hi:[1,1,0] neg_lo:[0,0,1] neg_hi:[0,0,1]
	v_mul_f32_e32 v124, v125, v112
	s_delay_alu instid0(VALU_DEP_3) | instskip(NEXT) | instid1(VALU_DEP_2)
	v_pk_add_f32 v[64:65], v[64:65], v[128:129] neg_lo:[0,1] neg_hi:[0,1]
	v_pk_fma_f32 v[122:123], v[122:123], v[104:105], v[124:125] op_sel_hi:[1,1,0]
	s_delay_alu instid0(VALU_DEP_1) | instskip(SKIP_4) | instid1(VALU_DEP_1)
	v_mov_b32_e32 v127, v123
	ds_load_2addr_b64 v[122:125], v116 offset0:27 offset1:28
	v_pk_add_f32 v[66:67], v[66:67], v[126:127] neg_lo:[0,1] neg_hi:[0,1]
	s_wait_dscnt 0x0
	v_pk_mul_f32 v[126:127], v[122:123], v[114:115] op_sel:[0,1]
	v_pk_fma_f32 v[128:129], v[122:123], v[112:113], v[126:127] op_sel:[0,0,1] op_sel_hi:[1,1,0] neg_lo:[0,0,1] neg_hi:[0,0,1]
	v_pk_fma_f32 v[122:123], v[122:123], v[112:113], v[126:127] op_sel:[0,0,1] op_sel_hi:[1,0,0]
	s_delay_alu instid0(VALU_DEP_1) | instskip(SKIP_1) | instid1(VALU_DEP_1)
	v_mov_b32_e32 v129, v123
	v_pk_mul_f32 v[122:123], v[124:125], v[114:115] op_sel:[0,1]
	v_pk_fma_f32 v[126:127], v[124:125], v[112:113], v[122:123] op_sel:[0,0,1] op_sel_hi:[1,1,0] neg_lo:[0,0,1] neg_hi:[0,0,1]
	v_pk_fma_f32 v[122:123], v[124:125], v[112:113], v[122:123] op_sel:[0,0,1] op_sel_hi:[1,0,0]
	s_delay_alu instid0(VALU_DEP_1)
	v_mov_b32_e32 v127, v123
	ds_load_2addr_b64 v[122:125], v116 offset0:29 offset1:30
	v_pk_add_f32 v[62:63], v[62:63], v[128:129] neg_lo:[0,1] neg_hi:[0,1]
	v_pk_add_f32 v[52:53], v[52:53], v[126:127] neg_lo:[0,1] neg_hi:[0,1]
	s_wait_dscnt 0x0
	v_pk_mul_f32 v[126:127], v[122:123], v[114:115] op_sel:[0,1]
	s_delay_alu instid0(VALU_DEP_1) | instskip(SKIP_1) | instid1(VALU_DEP_1)
	v_pk_fma_f32 v[128:129], v[122:123], v[112:113], v[126:127] op_sel:[0,0,1] op_sel_hi:[1,1,0] neg_lo:[0,0,1] neg_hi:[0,0,1]
	v_pk_fma_f32 v[122:123], v[122:123], v[112:113], v[126:127] op_sel:[0,0,1] op_sel_hi:[1,0,0]
	v_mov_b32_e32 v129, v123
	v_pk_mul_f32 v[122:123], v[124:125], v[114:115] op_sel:[0,1]
	s_delay_alu instid0(VALU_DEP_1) | instskip(SKIP_1) | instid1(VALU_DEP_1)
	v_pk_fma_f32 v[126:127], v[124:125], v[112:113], v[122:123] op_sel:[0,0,1] op_sel_hi:[1,1,0] neg_lo:[0,0,1] neg_hi:[0,0,1]
	v_pk_fma_f32 v[122:123], v[124:125], v[112:113], v[122:123] op_sel:[0,0,1] op_sel_hi:[1,0,0]
	v_mov_b32_e32 v127, v123
	ds_load_2addr_b64 v[122:125], v116 offset0:31 offset1:32
	v_pk_add_f32 v[48:49], v[48:49], v[128:129] neg_lo:[0,1] neg_hi:[0,1]
	v_pk_add_f32 v[50:51], v[50:51], v[126:127] neg_lo:[0,1] neg_hi:[0,1]
	s_wait_dscnt 0x0
	v_dual_mul_f32 v126, v123, v115 :: v_dual_mul_f32 v128, v123, v112
	s_delay_alu instid0(VALU_DEP_1) | instskip(NEXT) | instid1(VALU_DEP_2)
	v_pk_fma_f32 v[126:127], v[122:123], v[104:105], v[126:127] op_sel_hi:[1,1,0] neg_lo:[0,0,1] neg_hi:[0,0,1]
	v_pk_fma_f32 v[122:123], v[122:123], v[104:105], v[128:129] op_sel:[1,0,0] op_sel_hi:[0,1,0]
	s_delay_alu instid0(VALU_DEP_1) | instskip(SKIP_1) | instid1(VALU_DEP_2)
	v_mov_b32_e32 v127, v123
	v_pk_mul_f32 v[122:123], v[124:125], v[114:115] op_sel:[0,1]
	v_pk_add_f32 v[46:47], v[46:47], v[126:127] neg_lo:[0,1] neg_hi:[0,1]
	s_delay_alu instid0(VALU_DEP_2) | instskip(SKIP_1) | instid1(VALU_DEP_1)
	v_pk_fma_f32 v[126:127], v[124:125], v[112:113], v[122:123] op_sel:[0,0,1] op_sel_hi:[1,1,0] neg_lo:[0,0,1] neg_hi:[0,0,1]
	v_pk_fma_f32 v[122:123], v[124:125], v[112:113], v[122:123] op_sel:[0,0,1] op_sel_hi:[1,0,0]
	v_mov_b32_e32 v127, v123
	ds_load_2addr_b64 v[122:125], v116 offset0:33 offset1:34
	v_pk_add_f32 v[44:45], v[44:45], v[126:127] neg_lo:[0,1] neg_hi:[0,1]
	s_wait_dscnt 0x0
	v_pk_mul_f32 v[126:127], v[122:123], v[114:115] op_sel:[0,1]
	s_delay_alu instid0(VALU_DEP_1) | instskip(SKIP_1) | instid1(VALU_DEP_1)
	v_pk_fma_f32 v[128:129], v[122:123], v[112:113], v[126:127] op_sel:[0,0,1] op_sel_hi:[1,1,0] neg_lo:[0,0,1] neg_hi:[0,0,1]
	v_pk_fma_f32 v[122:123], v[122:123], v[112:113], v[126:127] op_sel:[0,0,1] op_sel_hi:[1,0,0]
	v_mov_b32_e32 v129, v123
	v_pk_mul_f32 v[122:123], v[124:125], v[114:115] op_sel:[0,1]
	s_delay_alu instid0(VALU_DEP_2) | instskip(NEXT) | instid1(VALU_DEP_2)
	v_pk_add_f32 v[40:41], v[40:41], v[128:129] neg_lo:[0,1] neg_hi:[0,1]
	v_pk_fma_f32 v[126:127], v[124:125], v[112:113], v[122:123] op_sel:[0,0,1] op_sel_hi:[1,1,0] neg_lo:[0,0,1] neg_hi:[0,0,1]
	v_pk_fma_f32 v[122:123], v[124:125], v[112:113], v[122:123] op_sel:[0,0,1] op_sel_hi:[1,0,0]
	s_delay_alu instid0(VALU_DEP_1) | instskip(SKIP_4) | instid1(VALU_DEP_1)
	v_mov_b32_e32 v127, v123
	ds_load_2addr_b64 v[122:125], v116 offset0:35 offset1:36
	v_pk_add_f32 v[42:43], v[42:43], v[126:127] neg_lo:[0,1] neg_hi:[0,1]
	s_wait_dscnt 0x0
	v_pk_mul_f32 v[126:127], v[122:123], v[114:115] op_sel:[0,1]
	v_pk_fma_f32 v[128:129], v[122:123], v[112:113], v[126:127] op_sel:[0,0,1] op_sel_hi:[1,1,0] neg_lo:[0,0,1] neg_hi:[0,0,1]
	v_pk_fma_f32 v[122:123], v[122:123], v[112:113], v[126:127] op_sel:[0,0,1] op_sel_hi:[1,0,0]
	v_dual_mul_f32 v126, v125, v115 :: v_dual_mov_b32 v122, v125
	s_delay_alu instid0(VALU_DEP_2) | instskip(NEXT) | instid1(VALU_DEP_2)
	v_dual_mov_b32 v129, v123 :: v_dual_mov_b32 v123, v124
	v_pk_fma_f32 v[126:127], v[124:125], v[104:105], v[126:127] op_sel_hi:[1,1,0] neg_lo:[0,0,1] neg_hi:[0,0,1]
	v_mul_f32_e32 v124, v125, v112
	s_delay_alu instid0(VALU_DEP_3) | instskip(NEXT) | instid1(VALU_DEP_2)
	v_pk_add_f32 v[38:39], v[38:39], v[128:129] neg_lo:[0,1] neg_hi:[0,1]
	v_pk_fma_f32 v[122:123], v[122:123], v[104:105], v[124:125] op_sel_hi:[1,1,0]
	s_delay_alu instid0(VALU_DEP_1) | instskip(SKIP_4) | instid1(VALU_DEP_1)
	v_mov_b32_e32 v127, v123
	ds_load_2addr_b64 v[122:125], v116 offset0:37 offset1:38
	v_pk_add_f32 v[36:37], v[36:37], v[126:127] neg_lo:[0,1] neg_hi:[0,1]
	s_wait_dscnt 0x0
	v_pk_mul_f32 v[126:127], v[122:123], v[114:115] op_sel:[0,1]
	v_pk_fma_f32 v[128:129], v[122:123], v[112:113], v[126:127] op_sel:[0,0,1] op_sel_hi:[1,1,0] neg_lo:[0,0,1] neg_hi:[0,0,1]
	v_pk_fma_f32 v[122:123], v[122:123], v[112:113], v[126:127] op_sel:[0,0,1] op_sel_hi:[1,0,0]
	s_delay_alu instid0(VALU_DEP_1) | instskip(SKIP_1) | instid1(VALU_DEP_1)
	v_mov_b32_e32 v129, v123
	v_pk_mul_f32 v[122:123], v[124:125], v[114:115] op_sel:[0,1]
	v_pk_fma_f32 v[126:127], v[124:125], v[112:113], v[122:123] op_sel:[0,0,1] op_sel_hi:[1,1,0] neg_lo:[0,0,1] neg_hi:[0,0,1]
	v_pk_fma_f32 v[122:123], v[124:125], v[112:113], v[122:123] op_sel:[0,0,1] op_sel_hi:[1,0,0]
	s_delay_alu instid0(VALU_DEP_1)
	v_mov_b32_e32 v127, v123
	ds_load_2addr_b64 v[122:125], v116 offset0:39 offset1:40
	v_pk_add_f32 v[32:33], v[32:33], v[128:129] neg_lo:[0,1] neg_hi:[0,1]
	v_pk_add_f32 v[34:35], v[34:35], v[126:127] neg_lo:[0,1] neg_hi:[0,1]
	s_wait_dscnt 0x0
	v_pk_mul_f32 v[126:127], v[122:123], v[114:115] op_sel:[0,1]
	s_delay_alu instid0(VALU_DEP_1) | instskip(SKIP_1) | instid1(VALU_DEP_1)
	v_pk_fma_f32 v[128:129], v[122:123], v[112:113], v[126:127] op_sel:[0,0,1] op_sel_hi:[1,1,0] neg_lo:[0,0,1] neg_hi:[0,0,1]
	v_pk_fma_f32 v[122:123], v[122:123], v[112:113], v[126:127] op_sel:[0,0,1] op_sel_hi:[1,0,0]
	v_mov_b32_e32 v129, v123
	v_pk_mul_f32 v[122:123], v[124:125], v[114:115] op_sel:[0,1]
	s_delay_alu instid0(VALU_DEP_1) | instskip(SKIP_1) | instid1(VALU_DEP_1)
	v_pk_fma_f32 v[126:127], v[124:125], v[112:113], v[122:123] op_sel:[0,0,1] op_sel_hi:[1,1,0] neg_lo:[0,0,1] neg_hi:[0,0,1]
	v_pk_fma_f32 v[122:123], v[124:125], v[112:113], v[122:123] op_sel:[0,0,1] op_sel_hi:[1,0,0]
	v_mov_b32_e32 v127, v123
	ds_load_2addr_b64 v[122:125], v116 offset0:41 offset1:42
	v_pk_add_f32 v[30:31], v[30:31], v[128:129] neg_lo:[0,1] neg_hi:[0,1]
	v_pk_add_f32 v[26:27], v[26:27], v[126:127] neg_lo:[0,1] neg_hi:[0,1]
	s_wait_dscnt 0x0
	v_dual_mul_f32 v126, v123, v115 :: v_dual_mul_f32 v128, v123, v112
	s_delay_alu instid0(VALU_DEP_1) | instskip(NEXT) | instid1(VALU_DEP_2)
	v_pk_fma_f32 v[126:127], v[122:123], v[104:105], v[126:127] op_sel_hi:[1,1,0] neg_lo:[0,0,1] neg_hi:[0,0,1]
	v_pk_fma_f32 v[122:123], v[122:123], v[104:105], v[128:129] op_sel:[1,0,0] op_sel_hi:[0,1,0]
	s_delay_alu instid0(VALU_DEP_1) | instskip(SKIP_1) | instid1(VALU_DEP_2)
	v_mov_b32_e32 v127, v123
	v_pk_mul_f32 v[122:123], v[124:125], v[114:115] op_sel:[0,1]
	v_pk_add_f32 v[22:23], v[22:23], v[126:127] neg_lo:[0,1] neg_hi:[0,1]
	s_delay_alu instid0(VALU_DEP_2) | instskip(SKIP_1) | instid1(VALU_DEP_1)
	v_pk_fma_f32 v[126:127], v[124:125], v[112:113], v[122:123] op_sel:[0,0,1] op_sel_hi:[1,1,0] neg_lo:[0,0,1] neg_hi:[0,0,1]
	v_pk_fma_f32 v[122:123], v[124:125], v[112:113], v[122:123] op_sel:[0,0,1] op_sel_hi:[1,0,0]
	v_mov_b32_e32 v127, v123
	ds_load_2addr_b64 v[122:125], v116 offset0:43 offset1:44
	v_pk_add_f32 v[24:25], v[24:25], v[126:127] neg_lo:[0,1] neg_hi:[0,1]
	s_wait_dscnt 0x0
	v_pk_mul_f32 v[126:127], v[122:123], v[114:115] op_sel:[0,1]
	s_delay_alu instid0(VALU_DEP_1) | instskip(SKIP_1) | instid1(VALU_DEP_1)
	v_pk_fma_f32 v[128:129], v[122:123], v[112:113], v[126:127] op_sel:[0,0,1] op_sel_hi:[1,1,0] neg_lo:[0,0,1] neg_hi:[0,0,1]
	v_pk_fma_f32 v[122:123], v[122:123], v[112:113], v[126:127] op_sel:[0,0,1] op_sel_hi:[1,0,0]
	v_mov_b32_e32 v129, v123
	v_pk_mul_f32 v[122:123], v[124:125], v[114:115] op_sel:[0,1]
	s_delay_alu instid0(VALU_DEP_2) | instskip(NEXT) | instid1(VALU_DEP_2)
	v_pk_add_f32 v[20:21], v[20:21], v[128:129] neg_lo:[0,1] neg_hi:[0,1]
	v_pk_fma_f32 v[126:127], v[124:125], v[112:113], v[122:123] op_sel:[0,0,1] op_sel_hi:[1,1,0] neg_lo:[0,0,1] neg_hi:[0,0,1]
	v_pk_fma_f32 v[122:123], v[124:125], v[112:113], v[122:123] op_sel:[0,0,1] op_sel_hi:[1,0,0]
	s_delay_alu instid0(VALU_DEP_1) | instskip(SKIP_4) | instid1(VALU_DEP_1)
	v_mov_b32_e32 v127, v123
	ds_load_2addr_b64 v[122:125], v116 offset0:45 offset1:46
	v_pk_add_f32 v[14:15], v[14:15], v[126:127] neg_lo:[0,1] neg_hi:[0,1]
	s_wait_dscnt 0x0
	v_pk_mul_f32 v[126:127], v[122:123], v[114:115] op_sel:[0,1]
	v_pk_fma_f32 v[128:129], v[122:123], v[112:113], v[126:127] op_sel:[0,0,1] op_sel_hi:[1,1,0] neg_lo:[0,0,1] neg_hi:[0,0,1]
	v_pk_fma_f32 v[122:123], v[122:123], v[112:113], v[126:127] op_sel:[0,0,1] op_sel_hi:[1,0,0]
	v_dual_mul_f32 v126, v125, v115 :: v_dual_mov_b32 v122, v125
	s_delay_alu instid0(VALU_DEP_2) | instskip(NEXT) | instid1(VALU_DEP_2)
	v_dual_mov_b32 v129, v123 :: v_dual_mov_b32 v123, v124
	v_pk_fma_f32 v[126:127], v[124:125], v[104:105], v[126:127] op_sel_hi:[1,1,0] neg_lo:[0,0,1] neg_hi:[0,0,1]
	v_mul_f32_e32 v124, v125, v112
	s_delay_alu instid0(VALU_DEP_3) | instskip(NEXT) | instid1(VALU_DEP_2)
	v_pk_add_f32 v[10:11], v[10:11], v[128:129] neg_lo:[0,1] neg_hi:[0,1]
	v_pk_fma_f32 v[122:123], v[122:123], v[104:105], v[124:125] op_sel_hi:[1,1,0]
	s_delay_alu instid0(VALU_DEP_1) | instskip(SKIP_4) | instid1(VALU_DEP_1)
	v_mov_b32_e32 v127, v123
	ds_load_2addr_b64 v[122:125], v116 offset0:47 offset1:48
	v_pk_add_f32 v[12:13], v[12:13], v[126:127] neg_lo:[0,1] neg_hi:[0,1]
	s_wait_dscnt 0x0
	v_pk_mul_f32 v[126:127], v[122:123], v[114:115] op_sel:[0,1]
	v_pk_fma_f32 v[128:129], v[122:123], v[112:113], v[126:127] op_sel:[0,0,1] op_sel_hi:[1,1,0] neg_lo:[0,0,1] neg_hi:[0,0,1]
	v_pk_fma_f32 v[122:123], v[122:123], v[112:113], v[126:127] op_sel:[0,0,1] op_sel_hi:[1,0,0]
	s_delay_alu instid0(VALU_DEP_1) | instskip(SKIP_1) | instid1(VALU_DEP_1)
	v_mov_b32_e32 v129, v123
	v_pk_mul_f32 v[122:123], v[124:125], v[114:115] op_sel:[0,1]
	v_pk_fma_f32 v[126:127], v[124:125], v[112:113], v[122:123] op_sel:[0,0,1] op_sel_hi:[1,1,0] neg_lo:[0,0,1] neg_hi:[0,0,1]
	v_pk_fma_f32 v[122:123], v[124:125], v[112:113], v[122:123] op_sel:[0,0,1] op_sel_hi:[1,0,0]
	s_delay_alu instid0(VALU_DEP_1)
	v_mov_b32_e32 v127, v123
	ds_load_2addr_b64 v[122:125], v116 offset0:49 offset1:50
	v_pk_add_f32 v[8:9], v[8:9], v[128:129] neg_lo:[0,1] neg_hi:[0,1]
	v_pk_add_f32 v[6:7], v[6:7], v[126:127] neg_lo:[0,1] neg_hi:[0,1]
	s_wait_dscnt 0x0
	v_pk_mul_f32 v[126:127], v[122:123], v[114:115] op_sel:[0,1]
	s_delay_alu instid0(VALU_DEP_1) | instskip(SKIP_1) | instid1(VALU_DEP_1)
	v_pk_fma_f32 v[128:129], v[122:123], v[112:113], v[126:127] op_sel:[0,0,1] op_sel_hi:[1,1,0] neg_lo:[0,0,1] neg_hi:[0,0,1]
	v_pk_fma_f32 v[122:123], v[122:123], v[112:113], v[126:127] op_sel:[0,0,1] op_sel_hi:[1,0,0]
	v_mov_b32_e32 v129, v123
	v_pk_mul_f32 v[122:123], v[124:125], v[114:115] op_sel:[0,1]
	s_delay_alu instid0(VALU_DEP_1) | instskip(SKIP_1) | instid1(VALU_DEP_1)
	v_pk_fma_f32 v[126:127], v[124:125], v[112:113], v[122:123] op_sel:[0,0,1] op_sel_hi:[1,1,0] neg_lo:[0,0,1] neg_hi:[0,0,1]
	v_pk_fma_f32 v[122:123], v[124:125], v[112:113], v[122:123] op_sel:[0,0,1] op_sel_hi:[1,0,0]
	v_mov_b32_e32 v127, v123
	ds_load_2addr_b64 v[122:125], v116 offset0:51 offset1:52
	v_pk_add_f32 v[28:29], v[28:29], v[128:129] neg_lo:[0,1] neg_hi:[0,1]
	v_pk_add_f32 v[18:19], v[18:19], v[126:127] neg_lo:[0,1] neg_hi:[0,1]
	s_wait_dscnt 0x0
	v_dual_mul_f32 v126, v123, v115 :: v_dual_mul_f32 v128, v123, v112
	v_pk_mul_f32 v[114:115], v[124:125], v[114:115] op_sel:[0,1]
	s_delay_alu instid0(VALU_DEP_2) | instskip(NEXT) | instid1(VALU_DEP_3)
	v_pk_fma_f32 v[126:127], v[122:123], v[104:105], v[126:127] op_sel_hi:[1,1,0] neg_lo:[0,0,1] neg_hi:[0,0,1]
	v_pk_fma_f32 v[122:123], v[122:123], v[104:105], v[128:129] op_sel:[1,0,0] op_sel_hi:[0,1,0]
	s_delay_alu instid0(VALU_DEP_1) | instskip(NEXT) | instid1(VALU_DEP_4)
	v_mov_b32_e32 v127, v123
	v_pk_fma_f32 v[122:123], v[124:125], v[112:113], v[114:115] op_sel:[0,0,1] op_sel_hi:[1,1,0] neg_lo:[0,0,1] neg_hi:[0,0,1]
	v_pk_fma_f32 v[112:113], v[124:125], v[112:113], v[114:115] op_sel:[0,0,1] op_sel_hi:[1,0,0]
	s_delay_alu instid0(VALU_DEP_1) | instskip(NEXT) | instid1(VALU_DEP_4)
	v_mov_b32_e32 v123, v113
	v_pk_add_f32 v[16:17], v[16:17], v[126:127] neg_lo:[0,1] neg_hi:[0,1]
	s_delay_alu instid0(VALU_DEP_2)
	v_pk_add_f32 v[110:111], v[110:111], v[122:123] neg_lo:[0,1] neg_hi:[0,1]
.LBB104_62:
	s_or_b32 exec_lo, exec_lo, s0
	v_lshl_add_u32 v112, v120, 3, v116
	s_barrier_signal -1
	s_barrier_wait -1
	ds_store_b64 v112, v[102:103]
	s_wait_dscnt 0x0
	s_barrier_signal -1
	s_barrier_wait -1
	ds_load_b64 v[114:115], v116 offset:24
	v_mov_b32_e32 v112, 3
	s_cmp_lt_i32 s18, 5
	s_cbranch_scc1 .LBB104_65
; %bb.63:
	v_mov_b32_e32 v112, 3
	v_add3_u32 v113, v117, 0, 32
	s_mov_b32 s0, 4
.LBB104_64:                             ; =>This Inner Loop Header: Depth=1
	ds_load_b64 v[122:123], v113
	s_wait_dscnt 0x1
	v_cmp_gt_f32_e32 vcc_lo, 0, v114
	v_cndmask_b32_e64 v124, v114, -v114, vcc_lo
	v_cmp_gt_f32_e32 vcc_lo, 0, v115
	v_cndmask_b32_e64 v126, v115, -v115, vcc_lo
	s_wait_dscnt 0x0
	v_cmp_gt_f32_e32 vcc_lo, 0, v122
	v_cndmask_b32_e64 v125, v122, -v122, vcc_lo
	v_cmp_gt_f32_e32 vcc_lo, 0, v123
	v_cndmask_b32_e64 v127, v123, -v123, vcc_lo
	s_delay_alu instid0(VALU_DEP_1) | instskip(NEXT) | instid1(VALU_DEP_1)
	v_pk_add_f32 v[124:125], v[124:125], v[126:127]
	v_cmp_lt_f32_e32 vcc_lo, v124, v125
	v_dual_add_nc_u32 v113, 8, v113 :: v_dual_cndmask_b32 v115, v115, v123, vcc_lo
	v_cndmask_b32_e32 v114, v114, v122, vcc_lo
	v_cndmask_b32_e64 v112, v112, s0, vcc_lo
	s_add_co_i32 s0, s0, 1
	s_delay_alu instid0(SALU_CYCLE_1)
	s_cmp_lg_u32 s18, s0
	s_cbranch_scc1 .LBB104_64
.LBB104_65:
	s_wait_dscnt 0x0
	v_cmp_eq_f32_e32 vcc_lo, 0, v114
	v_cmp_eq_f32_e64 s0, 0, v115
	s_and_b32 s0, vcc_lo, s0
	s_delay_alu instid0(SALU_CYCLE_1) | instskip(NEXT) | instid1(SALU_CYCLE_1)
	s_and_saveexec_b32 s1, s0
	s_xor_b32 s0, exec_lo, s1
; %bb.66:
	v_cmp_ne_u32_e32 vcc_lo, 0, v118
	v_cndmask_b32_e32 v118, 4, v118, vcc_lo
; %bb.67:
	s_and_not1_saveexec_b32 s0, s0
	s_cbranch_execz .LBB104_73
; %bb.68:
	v_cmp_ngt_f32_e64 s1, |v114|, |v115|
	s_and_saveexec_b32 s12, s1
	s_delay_alu instid0(SALU_CYCLE_1)
	s_xor_b32 s1, exec_lo, s12
	s_cbranch_execz .LBB104_70
; %bb.69:
	v_div_scale_f32 v113, null, v115, v115, v114
	v_div_scale_f32 v123, vcc_lo, v114, v115, v114
	s_delay_alu instid0(VALU_DEP_2) | instskip(SKIP_1) | instid1(TRANS32_DEP_1)
	v_rcp_f32_e32 v121, v113
	v_nop
	v_fma_f32 v122, -v113, v121, 1.0
	s_delay_alu instid0(VALU_DEP_1) | instskip(NEXT) | instid1(VALU_DEP_1)
	v_fmac_f32_e32 v121, v122, v121
	v_mul_f32_e32 v122, v123, v121
	s_delay_alu instid0(VALU_DEP_1) | instskip(NEXT) | instid1(VALU_DEP_1)
	v_fma_f32 v124, -v113, v122, v123
	v_fmac_f32_e32 v122, v124, v121
	s_delay_alu instid0(VALU_DEP_1) | instskip(NEXT) | instid1(VALU_DEP_1)
	v_fma_f32 v113, -v113, v122, v123
	v_div_fmas_f32 v113, v113, v121, v122
	s_delay_alu instid0(VALU_DEP_1) | instskip(NEXT) | instid1(VALU_DEP_1)
	v_div_fixup_f32 v113, v113, v115, v114
	v_fmac_f32_e32 v115, v114, v113
	s_delay_alu instid0(VALU_DEP_1) | instskip(SKIP_1) | instid1(VALU_DEP_2)
	v_div_scale_f32 v114, null, v115, v115, 1.0
	v_div_scale_f32 v123, vcc_lo, 1.0, v115, 1.0
	v_rcp_f32_e32 v121, v114
	v_nop
	s_delay_alu instid0(TRANS32_DEP_1) | instskip(NEXT) | instid1(VALU_DEP_1)
	v_fma_f32 v122, -v114, v121, 1.0
	v_fmac_f32_e32 v121, v122, v121
	s_delay_alu instid0(VALU_DEP_1) | instskip(NEXT) | instid1(VALU_DEP_1)
	v_mul_f32_e32 v122, v123, v121
	v_fma_f32 v124, -v114, v122, v123
	s_delay_alu instid0(VALU_DEP_1) | instskip(NEXT) | instid1(VALU_DEP_1)
	v_fmac_f32_e32 v122, v124, v121
	v_fma_f32 v114, -v114, v122, v123
	s_delay_alu instid0(VALU_DEP_1) | instskip(NEXT) | instid1(VALU_DEP_1)
	v_div_fmas_f32 v114, v114, v121, v122
	v_div_fixup_f32 v115, v114, v115, 1.0
	s_delay_alu instid0(VALU_DEP_1)
	v_mul_f32_e32 v114, v113, v115
	v_xor_b32_e32 v115, 0x80000000, v115
.LBB104_70:
	s_and_not1_saveexec_b32 s1, s1
	s_cbranch_execz .LBB104_72
; %bb.71:
	s_delay_alu instid0(VALU_DEP_1) | instskip(SKIP_1) | instid1(VALU_DEP_2)
	v_div_scale_f32 v113, null, v114, v114, v115
	v_div_scale_f32 v123, vcc_lo, v115, v114, v115
	v_rcp_f32_e32 v121, v113
	v_nop
	s_delay_alu instid0(TRANS32_DEP_1) | instskip(NEXT) | instid1(VALU_DEP_1)
	v_fma_f32 v122, -v113, v121, 1.0
	v_fmac_f32_e32 v121, v122, v121
	s_delay_alu instid0(VALU_DEP_1) | instskip(NEXT) | instid1(VALU_DEP_1)
	v_mul_f32_e32 v122, v123, v121
	v_fma_f32 v124, -v113, v122, v123
	s_delay_alu instid0(VALU_DEP_1) | instskip(NEXT) | instid1(VALU_DEP_1)
	v_fmac_f32_e32 v122, v124, v121
	v_fma_f32 v113, -v113, v122, v123
	s_delay_alu instid0(VALU_DEP_1) | instskip(NEXT) | instid1(VALU_DEP_1)
	v_div_fmas_f32 v113, v113, v121, v122
	v_div_fixup_f32 v113, v113, v114, v115
	s_delay_alu instid0(VALU_DEP_1) | instskip(NEXT) | instid1(VALU_DEP_1)
	v_fmac_f32_e32 v114, v115, v113
	v_div_scale_f32 v115, null, v114, v114, 1.0
	s_delay_alu instid0(VALU_DEP_1) | instskip(SKIP_1) | instid1(TRANS32_DEP_1)
	v_rcp_f32_e32 v121, v115
	v_nop
	v_fma_f32 v122, -v115, v121, 1.0
	s_delay_alu instid0(VALU_DEP_1) | instskip(SKIP_1) | instid1(VALU_DEP_1)
	v_fmac_f32_e32 v121, v122, v121
	v_div_scale_f32 v122, vcc_lo, 1.0, v114, 1.0
	v_mul_f32_e32 v123, v122, v121
	s_delay_alu instid0(VALU_DEP_1) | instskip(NEXT) | instid1(VALU_DEP_1)
	v_fma_f32 v124, -v115, v123, v122
	v_fmac_f32_e32 v123, v124, v121
	s_delay_alu instid0(VALU_DEP_1) | instskip(NEXT) | instid1(VALU_DEP_1)
	v_fma_f32 v115, -v115, v123, v122
	v_div_fmas_f32 v115, v115, v121, v123
	s_delay_alu instid0(VALU_DEP_1) | instskip(NEXT) | instid1(VALU_DEP_1)
	v_div_fixup_f32 v114, v115, v114, 1.0
	v_mul_f32_e64 v115, v113, -v114
.LBB104_72:
	s_or_b32 exec_lo, exec_lo, s1
.LBB104_73:
	s_delay_alu instid0(SALU_CYCLE_1) | instskip(NEXT) | instid1(SALU_CYCLE_1)
	s_or_b32 exec_lo, exec_lo, s0
	s_mov_b32 s0, exec_lo
	v_cmpx_ne_u32_e64 v120, v112
	s_xor_b32 s0, exec_lo, s0
	s_cbranch_execz .LBB104_79
; %bb.74:
	s_mov_b32 s1, exec_lo
	v_cmpx_eq_u32_e32 3, v120
	s_cbranch_execz .LBB104_78
; %bb.75:
	v_cmp_ne_u32_e32 vcc_lo, 3, v112
	s_xor_b32 s12, s16, -1
	s_delay_alu instid0(SALU_CYCLE_1) | instskip(NEXT) | instid1(SALU_CYCLE_1)
	s_and_b32 s13, s12, vcc_lo
	s_and_saveexec_b32 s12, s13
	s_cbranch_execz .LBB104_77
; %bb.76:
	v_ashrrev_i32_e32 v113, 31, v112
	s_delay_alu instid0(VALU_DEP_1)
	v_lshl_add_u64 v[120:121], v[112:113], 2, v[4:5]
	s_clause 0x1
	global_load_b32 v113, v[120:121], off
	global_load_b32 v119, v[4:5], off offset:12
	s_wait_loadcnt 0x1
	global_store_b32 v[4:5], v113, off offset:12
	s_wait_loadcnt 0x0
	global_store_b32 v[120:121], v119, off
.LBB104_77:
	s_wait_xcnt 0x0
	s_or_b32 exec_lo, exec_lo, s12
	v_dual_mov_b32 v120, v112 :: v_dual_mov_b32 v119, v112
.LBB104_78:
	s_or_b32 exec_lo, exec_lo, s1
.LBB104_79:
	s_and_not1_saveexec_b32 s0, s0
	s_cbranch_execz .LBB104_81
; %bb.80:
	v_dual_mov_b32 v112, v60 :: v_dual_mov_b32 v113, v61
	v_dual_mov_b32 v120, v56 :: v_dual_mov_b32 v121, v57
	;; [unrolled: 1-line block ×4, first 2 shown]
	ds_store_2addr_b64 v116, v[112:113], v[120:121] offset0:4 offset1:5
	ds_store_2addr_b64 v116, v[122:123], v[124:125] offset0:6 offset1:7
	v_dual_mov_b32 v112, v100 :: v_dual_mov_b32 v113, v101
	v_dual_mov_b32 v120, v96 :: v_dual_mov_b32 v121, v97
	v_dual_mov_b32 v122, v98 :: v_dual_mov_b32 v123, v99
	v_dual_mov_b32 v124, v94 :: v_dual_mov_b32 v125, v95
	v_dual_mov_b32 v126, v92 :: v_dual_mov_b32 v127, v93
	v_dual_mov_b32 v128, v88 :: v_dual_mov_b32 v129, v89
	v_dual_mov_b32 v130, v90 :: v_dual_mov_b32 v131, v91
	v_dual_mov_b32 v132, v86 :: v_dual_mov_b32 v133, v87
	v_dual_mov_b32 v134, v84 :: v_dual_mov_b32 v135, v85
	v_dual_mov_b32 v136, v80 :: v_dual_mov_b32 v137, v81
	v_dual_mov_b32 v138, v82 :: v_dual_mov_b32 v139, v83
	v_dual_mov_b32 v140, v78 :: v_dual_mov_b32 v141, v79
	ds_store_2addr_b64 v116, v[112:113], v[120:121] offset0:8 offset1:9
	ds_store_2addr_b64 v116, v[122:123], v[124:125] offset0:10 offset1:11
	ds_store_2addr_b64 v116, v[126:127], v[128:129] offset0:12 offset1:13
	ds_store_2addr_b64 v116, v[130:131], v[132:133] offset0:14 offset1:15
	ds_store_2addr_b64 v116, v[134:135], v[136:137] offset0:16 offset1:17
	ds_store_2addr_b64 v116, v[138:139], v[140:141] offset0:18 offset1:19
	v_dual_mov_b32 v112, v76 :: v_dual_mov_b32 v113, v77
	v_dual_mov_b32 v120, v72 :: v_dual_mov_b32 v121, v73
	v_dual_mov_b32 v122, v74 :: v_dual_mov_b32 v123, v75
	v_dual_mov_b32 v124, v70 :: v_dual_mov_b32 v125, v71
	v_dual_mov_b32 v126, v68 :: v_dual_mov_b32 v127, v69
	v_dual_mov_b32 v128, v64 :: v_dual_mov_b32 v129, v65
	v_dual_mov_b32 v130, v66 :: v_dual_mov_b32 v131, v67
	v_dual_mov_b32 v132, v62 :: v_dual_mov_b32 v133, v63
	v_dual_mov_b32 v134, v52 :: v_dual_mov_b32 v135, v53
	v_dual_mov_b32 v136, v48 :: v_dual_mov_b32 v137, v49
	v_dual_mov_b32 v138, v50 :: v_dual_mov_b32 v139, v51
	v_dual_mov_b32 v140, v46 :: v_dual_mov_b32 v141, v47
	ds_store_2addr_b64 v116, v[112:113], v[120:121] offset0:20 offset1:21
	ds_store_2addr_b64 v116, v[122:123], v[124:125] offset0:22 offset1:23
	ds_store_2addr_b64 v116, v[126:127], v[128:129] offset0:24 offset1:25
	ds_store_2addr_b64 v116, v[130:131], v[132:133] offset0:26 offset1:27
	;; [unrolled: 18-line block ×3, first 2 shown]
	ds_store_2addr_b64 v116, v[134:135], v[136:137] offset0:40 offset1:41
	ds_store_2addr_b64 v116, v[138:139], v[140:141] offset0:42 offset1:43
	v_dual_mov_b32 v112, v14 :: v_dual_mov_b32 v113, v15
	v_dual_mov_b32 v122, v10 :: v_dual_mov_b32 v123, v11
	;; [unrolled: 1-line block ×8, first 2 shown]
	v_mov_b32_e32 v135, v17
	ds_store_2addr_b64 v116, v[112:113], v[122:123] offset0:44 offset1:45
	ds_store_2addr_b64 v116, v[124:125], v[126:127] offset0:46 offset1:47
	;; [unrolled: 1-line block ×4, first 2 shown]
	ds_store_b64 v116, v[110:111] offset:416
.LBB104_81:
	s_or_b32 exec_lo, exec_lo, s0
	s_delay_alu instid0(SALU_CYCLE_1)
	s_mov_b32 s0, exec_lo
	s_wait_storecnt_dscnt 0x0
	s_barrier_signal -1
	s_barrier_wait -1
	v_cmpx_lt_i32_e32 3, v120
	s_cbranch_execz .LBB104_83
; %bb.82:
	v_pk_mul_f32 v[122:123], v[114:115], v[102:103] op_sel:[1,1] op_sel_hi:[0,1]
	s_delay_alu instid0(VALU_DEP_1)
	v_pk_fma_f32 v[112:113], v[114:115], v[102:103], v[122:123] op_sel_hi:[1,0,1] neg_lo:[0,0,1] neg_hi:[0,0,1]
	v_pk_fma_f32 v[114:115], v[114:115], v[102:103], v[122:123] op_sel_hi:[1,0,1]
	ds_load_2addr_b64 v[122:125], v116 offset0:4 offset1:5
	v_dual_mov_b32 v102, v112 :: v_dual_mov_b32 v103, v115
	s_wait_dscnt 0x0
	v_pk_mul_f32 v[126:127], v[122:123], v[114:115] op_sel:[0,1]
	s_delay_alu instid0(VALU_DEP_1) | instskip(SKIP_1) | instid1(VALU_DEP_1)
	v_pk_fma_f32 v[128:129], v[122:123], v[112:113], v[126:127] op_sel:[0,0,1] op_sel_hi:[1,1,0] neg_lo:[0,0,1] neg_hi:[0,0,1]
	v_pk_fma_f32 v[122:123], v[122:123], v[112:113], v[126:127] op_sel:[0,0,1] op_sel_hi:[1,0,0]
	v_mov_b32_e32 v129, v123
	v_pk_mul_f32 v[122:123], v[124:125], v[114:115] op_sel:[0,1]
	s_delay_alu instid0(VALU_DEP_1) | instskip(SKIP_1) | instid1(VALU_DEP_1)
	v_pk_fma_f32 v[126:127], v[124:125], v[112:113], v[122:123] op_sel:[0,0,1] op_sel_hi:[1,1,0] neg_lo:[0,0,1] neg_hi:[0,0,1]
	v_pk_fma_f32 v[122:123], v[124:125], v[112:113], v[122:123] op_sel:[0,0,1] op_sel_hi:[1,0,0]
	v_mov_b32_e32 v127, v123
	ds_load_2addr_b64 v[122:125], v116 offset0:6 offset1:7
	v_pk_add_f32 v[60:61], v[60:61], v[128:129] neg_lo:[0,1] neg_hi:[0,1]
	v_pk_add_f32 v[56:57], v[56:57], v[126:127] neg_lo:[0,1] neg_hi:[0,1]
	s_wait_dscnt 0x0
	v_pk_mul_f32 v[126:127], v[122:123], v[114:115] op_sel:[0,1]
	s_delay_alu instid0(VALU_DEP_1) | instskip(SKIP_2) | instid1(VALU_DEP_2)
	v_pk_fma_f32 v[128:129], v[122:123], v[112:113], v[126:127] op_sel:[0,0,1] op_sel_hi:[1,1,0] neg_lo:[0,0,1] neg_hi:[0,0,1]
	v_pk_fma_f32 v[122:123], v[122:123], v[112:113], v[126:127] op_sel:[0,0,1] op_sel_hi:[1,0,0]
	v_dual_mul_f32 v126, v125, v115 :: v_dual_mov_b32 v122, v125
	v_dual_mov_b32 v129, v123 :: v_dual_mov_b32 v123, v124
	s_delay_alu instid0(VALU_DEP_2) | instskip(SKIP_1) | instid1(VALU_DEP_3)
	v_pk_fma_f32 v[126:127], v[124:125], v[102:103], v[126:127] op_sel_hi:[1,1,0] neg_lo:[0,0,1] neg_hi:[0,0,1]
	v_mul_f32_e32 v124, v125, v112
	v_pk_add_f32 v[58:59], v[58:59], v[128:129] neg_lo:[0,1] neg_hi:[0,1]
	s_delay_alu instid0(VALU_DEP_2) | instskip(NEXT) | instid1(VALU_DEP_1)
	v_pk_fma_f32 v[122:123], v[122:123], v[102:103], v[124:125] op_sel_hi:[1,1,0]
	v_mov_b32_e32 v127, v123
	ds_load_2addr_b64 v[122:125], v116 offset0:8 offset1:9
	v_pk_add_f32 v[54:55], v[54:55], v[126:127] neg_lo:[0,1] neg_hi:[0,1]
	s_wait_dscnt 0x0
	v_pk_mul_f32 v[126:127], v[122:123], v[114:115] op_sel:[0,1]
	s_delay_alu instid0(VALU_DEP_1) | instskip(SKIP_1) | instid1(VALU_DEP_1)
	v_pk_fma_f32 v[128:129], v[122:123], v[112:113], v[126:127] op_sel:[0,0,1] op_sel_hi:[1,1,0] neg_lo:[0,0,1] neg_hi:[0,0,1]
	v_pk_fma_f32 v[122:123], v[122:123], v[112:113], v[126:127] op_sel:[0,0,1] op_sel_hi:[1,0,0]
	v_mov_b32_e32 v129, v123
	v_pk_mul_f32 v[122:123], v[124:125], v[114:115] op_sel:[0,1]
	s_delay_alu instid0(VALU_DEP_1) | instskip(SKIP_1) | instid1(VALU_DEP_1)
	v_pk_fma_f32 v[126:127], v[124:125], v[112:113], v[122:123] op_sel:[0,0,1] op_sel_hi:[1,1,0] neg_lo:[0,0,1] neg_hi:[0,0,1]
	v_pk_fma_f32 v[122:123], v[124:125], v[112:113], v[122:123] op_sel:[0,0,1] op_sel_hi:[1,0,0]
	v_mov_b32_e32 v127, v123
	ds_load_2addr_b64 v[122:125], v116 offset0:10 offset1:11
	v_pk_add_f32 v[100:101], v[100:101], v[128:129] neg_lo:[0,1] neg_hi:[0,1]
	v_pk_add_f32 v[96:97], v[96:97], v[126:127] neg_lo:[0,1] neg_hi:[0,1]
	s_wait_dscnt 0x0
	v_pk_mul_f32 v[126:127], v[122:123], v[114:115] op_sel:[0,1]
	s_delay_alu instid0(VALU_DEP_1) | instskip(SKIP_1) | instid1(VALU_DEP_1)
	v_pk_fma_f32 v[128:129], v[122:123], v[112:113], v[126:127] op_sel:[0,0,1] op_sel_hi:[1,1,0] neg_lo:[0,0,1] neg_hi:[0,0,1]
	v_pk_fma_f32 v[122:123], v[122:123], v[112:113], v[126:127] op_sel:[0,0,1] op_sel_hi:[1,0,0]
	v_mov_b32_e32 v129, v123
	v_pk_mul_f32 v[122:123], v[124:125], v[114:115] op_sel:[0,1]
	s_delay_alu instid0(VALU_DEP_1) | instskip(SKIP_1) | instid1(VALU_DEP_1)
	v_pk_fma_f32 v[126:127], v[124:125], v[112:113], v[122:123] op_sel:[0,0,1] op_sel_hi:[1,1,0] neg_lo:[0,0,1] neg_hi:[0,0,1]
	v_pk_fma_f32 v[122:123], v[124:125], v[112:113], v[122:123] op_sel:[0,0,1] op_sel_hi:[1,0,0]
	v_mov_b32_e32 v127, v123
	ds_load_2addr_b64 v[122:125], v116 offset0:12 offset1:13
	v_pk_add_f32 v[98:99], v[98:99], v[128:129] neg_lo:[0,1] neg_hi:[0,1]
	v_pk_add_f32 v[94:95], v[94:95], v[126:127] neg_lo:[0,1] neg_hi:[0,1]
	s_wait_dscnt 0x0
	v_dual_mul_f32 v126, v123, v115 :: v_dual_mul_f32 v128, v123, v112
	s_delay_alu instid0(VALU_DEP_1) | instskip(NEXT) | instid1(VALU_DEP_2)
	v_pk_fma_f32 v[126:127], v[122:123], v[102:103], v[126:127] op_sel_hi:[1,1,0] neg_lo:[0,0,1] neg_hi:[0,0,1]
	v_pk_fma_f32 v[122:123], v[122:123], v[102:103], v[128:129] op_sel:[1,0,0] op_sel_hi:[0,1,0]
	s_delay_alu instid0(VALU_DEP_1) | instskip(SKIP_1) | instid1(VALU_DEP_2)
	v_mov_b32_e32 v127, v123
	v_pk_mul_f32 v[122:123], v[124:125], v[114:115] op_sel:[0,1]
	v_pk_add_f32 v[92:93], v[92:93], v[126:127] neg_lo:[0,1] neg_hi:[0,1]
	s_delay_alu instid0(VALU_DEP_2) | instskip(SKIP_1) | instid1(VALU_DEP_1)
	v_pk_fma_f32 v[126:127], v[124:125], v[112:113], v[122:123] op_sel:[0,0,1] op_sel_hi:[1,1,0] neg_lo:[0,0,1] neg_hi:[0,0,1]
	v_pk_fma_f32 v[122:123], v[124:125], v[112:113], v[122:123] op_sel:[0,0,1] op_sel_hi:[1,0,0]
	v_mov_b32_e32 v127, v123
	ds_load_2addr_b64 v[122:125], v116 offset0:14 offset1:15
	v_pk_add_f32 v[88:89], v[88:89], v[126:127] neg_lo:[0,1] neg_hi:[0,1]
	s_wait_dscnt 0x0
	v_pk_mul_f32 v[126:127], v[122:123], v[114:115] op_sel:[0,1]
	s_delay_alu instid0(VALU_DEP_1) | instskip(SKIP_1) | instid1(VALU_DEP_1)
	v_pk_fma_f32 v[128:129], v[122:123], v[112:113], v[126:127] op_sel:[0,0,1] op_sel_hi:[1,1,0] neg_lo:[0,0,1] neg_hi:[0,0,1]
	v_pk_fma_f32 v[122:123], v[122:123], v[112:113], v[126:127] op_sel:[0,0,1] op_sel_hi:[1,0,0]
	v_mov_b32_e32 v129, v123
	v_pk_mul_f32 v[122:123], v[124:125], v[114:115] op_sel:[0,1]
	s_delay_alu instid0(VALU_DEP_2) | instskip(NEXT) | instid1(VALU_DEP_2)
	v_pk_add_f32 v[90:91], v[90:91], v[128:129] neg_lo:[0,1] neg_hi:[0,1]
	v_pk_fma_f32 v[126:127], v[124:125], v[112:113], v[122:123] op_sel:[0,0,1] op_sel_hi:[1,1,0] neg_lo:[0,0,1] neg_hi:[0,0,1]
	v_pk_fma_f32 v[122:123], v[124:125], v[112:113], v[122:123] op_sel:[0,0,1] op_sel_hi:[1,0,0]
	s_delay_alu instid0(VALU_DEP_1) | instskip(SKIP_4) | instid1(VALU_DEP_1)
	v_mov_b32_e32 v127, v123
	ds_load_2addr_b64 v[122:125], v116 offset0:16 offset1:17
	v_pk_add_f32 v[86:87], v[86:87], v[126:127] neg_lo:[0,1] neg_hi:[0,1]
	s_wait_dscnt 0x0
	v_pk_mul_f32 v[126:127], v[122:123], v[114:115] op_sel:[0,1]
	v_pk_fma_f32 v[128:129], v[122:123], v[112:113], v[126:127] op_sel:[0,0,1] op_sel_hi:[1,1,0] neg_lo:[0,0,1] neg_hi:[0,0,1]
	v_pk_fma_f32 v[122:123], v[122:123], v[112:113], v[126:127] op_sel:[0,0,1] op_sel_hi:[1,0,0]
	v_dual_mul_f32 v126, v125, v115 :: v_dual_mov_b32 v122, v125
	s_delay_alu instid0(VALU_DEP_2) | instskip(NEXT) | instid1(VALU_DEP_2)
	v_dual_mov_b32 v129, v123 :: v_dual_mov_b32 v123, v124
	v_pk_fma_f32 v[126:127], v[124:125], v[102:103], v[126:127] op_sel_hi:[1,1,0] neg_lo:[0,0,1] neg_hi:[0,0,1]
	v_mul_f32_e32 v124, v125, v112
	s_delay_alu instid0(VALU_DEP_3) | instskip(NEXT) | instid1(VALU_DEP_2)
	v_pk_add_f32 v[84:85], v[84:85], v[128:129] neg_lo:[0,1] neg_hi:[0,1]
	v_pk_fma_f32 v[122:123], v[122:123], v[102:103], v[124:125] op_sel_hi:[1,1,0]
	s_delay_alu instid0(VALU_DEP_1) | instskip(SKIP_4) | instid1(VALU_DEP_1)
	v_mov_b32_e32 v127, v123
	ds_load_2addr_b64 v[122:125], v116 offset0:18 offset1:19
	v_pk_add_f32 v[80:81], v[80:81], v[126:127] neg_lo:[0,1] neg_hi:[0,1]
	s_wait_dscnt 0x0
	v_pk_mul_f32 v[126:127], v[122:123], v[114:115] op_sel:[0,1]
	v_pk_fma_f32 v[128:129], v[122:123], v[112:113], v[126:127] op_sel:[0,0,1] op_sel_hi:[1,1,0] neg_lo:[0,0,1] neg_hi:[0,0,1]
	v_pk_fma_f32 v[122:123], v[122:123], v[112:113], v[126:127] op_sel:[0,0,1] op_sel_hi:[1,0,0]
	s_delay_alu instid0(VALU_DEP_1) | instskip(SKIP_1) | instid1(VALU_DEP_1)
	v_mov_b32_e32 v129, v123
	v_pk_mul_f32 v[122:123], v[124:125], v[114:115] op_sel:[0,1]
	v_pk_fma_f32 v[126:127], v[124:125], v[112:113], v[122:123] op_sel:[0,0,1] op_sel_hi:[1,1,0] neg_lo:[0,0,1] neg_hi:[0,0,1]
	v_pk_fma_f32 v[122:123], v[124:125], v[112:113], v[122:123] op_sel:[0,0,1] op_sel_hi:[1,0,0]
	s_delay_alu instid0(VALU_DEP_1)
	v_mov_b32_e32 v127, v123
	ds_load_2addr_b64 v[122:125], v116 offset0:20 offset1:21
	v_pk_add_f32 v[82:83], v[82:83], v[128:129] neg_lo:[0,1] neg_hi:[0,1]
	v_pk_add_f32 v[78:79], v[78:79], v[126:127] neg_lo:[0,1] neg_hi:[0,1]
	s_wait_dscnt 0x0
	v_pk_mul_f32 v[126:127], v[122:123], v[114:115] op_sel:[0,1]
	s_delay_alu instid0(VALU_DEP_1) | instskip(SKIP_1) | instid1(VALU_DEP_1)
	v_pk_fma_f32 v[128:129], v[122:123], v[112:113], v[126:127] op_sel:[0,0,1] op_sel_hi:[1,1,0] neg_lo:[0,0,1] neg_hi:[0,0,1]
	v_pk_fma_f32 v[122:123], v[122:123], v[112:113], v[126:127] op_sel:[0,0,1] op_sel_hi:[1,0,0]
	v_mov_b32_e32 v129, v123
	v_pk_mul_f32 v[122:123], v[124:125], v[114:115] op_sel:[0,1]
	s_delay_alu instid0(VALU_DEP_1) | instskip(SKIP_1) | instid1(VALU_DEP_1)
	v_pk_fma_f32 v[126:127], v[124:125], v[112:113], v[122:123] op_sel:[0,0,1] op_sel_hi:[1,1,0] neg_lo:[0,0,1] neg_hi:[0,0,1]
	v_pk_fma_f32 v[122:123], v[124:125], v[112:113], v[122:123] op_sel:[0,0,1] op_sel_hi:[1,0,0]
	v_mov_b32_e32 v127, v123
	ds_load_2addr_b64 v[122:125], v116 offset0:22 offset1:23
	v_pk_add_f32 v[76:77], v[76:77], v[128:129] neg_lo:[0,1] neg_hi:[0,1]
	v_pk_add_f32 v[72:73], v[72:73], v[126:127] neg_lo:[0,1] neg_hi:[0,1]
	s_wait_dscnt 0x0
	v_dual_mul_f32 v126, v123, v115 :: v_dual_mul_f32 v128, v123, v112
	s_delay_alu instid0(VALU_DEP_1) | instskip(NEXT) | instid1(VALU_DEP_2)
	v_pk_fma_f32 v[126:127], v[122:123], v[102:103], v[126:127] op_sel_hi:[1,1,0] neg_lo:[0,0,1] neg_hi:[0,0,1]
	v_pk_fma_f32 v[122:123], v[122:123], v[102:103], v[128:129] op_sel:[1,0,0] op_sel_hi:[0,1,0]
	s_delay_alu instid0(VALU_DEP_1) | instskip(SKIP_1) | instid1(VALU_DEP_2)
	v_mov_b32_e32 v127, v123
	v_pk_mul_f32 v[122:123], v[124:125], v[114:115] op_sel:[0,1]
	v_pk_add_f32 v[74:75], v[74:75], v[126:127] neg_lo:[0,1] neg_hi:[0,1]
	s_delay_alu instid0(VALU_DEP_2) | instskip(SKIP_1) | instid1(VALU_DEP_1)
	v_pk_fma_f32 v[126:127], v[124:125], v[112:113], v[122:123] op_sel:[0,0,1] op_sel_hi:[1,1,0] neg_lo:[0,0,1] neg_hi:[0,0,1]
	v_pk_fma_f32 v[122:123], v[124:125], v[112:113], v[122:123] op_sel:[0,0,1] op_sel_hi:[1,0,0]
	v_mov_b32_e32 v127, v123
	ds_load_2addr_b64 v[122:125], v116 offset0:24 offset1:25
	v_pk_add_f32 v[70:71], v[70:71], v[126:127] neg_lo:[0,1] neg_hi:[0,1]
	s_wait_dscnt 0x0
	v_pk_mul_f32 v[126:127], v[122:123], v[114:115] op_sel:[0,1]
	s_delay_alu instid0(VALU_DEP_1) | instskip(SKIP_1) | instid1(VALU_DEP_1)
	v_pk_fma_f32 v[128:129], v[122:123], v[112:113], v[126:127] op_sel:[0,0,1] op_sel_hi:[1,1,0] neg_lo:[0,0,1] neg_hi:[0,0,1]
	v_pk_fma_f32 v[122:123], v[122:123], v[112:113], v[126:127] op_sel:[0,0,1] op_sel_hi:[1,0,0]
	v_mov_b32_e32 v129, v123
	v_pk_mul_f32 v[122:123], v[124:125], v[114:115] op_sel:[0,1]
	s_delay_alu instid0(VALU_DEP_2) | instskip(NEXT) | instid1(VALU_DEP_2)
	v_pk_add_f32 v[68:69], v[68:69], v[128:129] neg_lo:[0,1] neg_hi:[0,1]
	v_pk_fma_f32 v[126:127], v[124:125], v[112:113], v[122:123] op_sel:[0,0,1] op_sel_hi:[1,1,0] neg_lo:[0,0,1] neg_hi:[0,0,1]
	v_pk_fma_f32 v[122:123], v[124:125], v[112:113], v[122:123] op_sel:[0,0,1] op_sel_hi:[1,0,0]
	s_delay_alu instid0(VALU_DEP_1) | instskip(SKIP_4) | instid1(VALU_DEP_1)
	v_mov_b32_e32 v127, v123
	ds_load_2addr_b64 v[122:125], v116 offset0:26 offset1:27
	v_pk_add_f32 v[64:65], v[64:65], v[126:127] neg_lo:[0,1] neg_hi:[0,1]
	s_wait_dscnt 0x0
	v_pk_mul_f32 v[126:127], v[122:123], v[114:115] op_sel:[0,1]
	v_pk_fma_f32 v[128:129], v[122:123], v[112:113], v[126:127] op_sel:[0,0,1] op_sel_hi:[1,1,0] neg_lo:[0,0,1] neg_hi:[0,0,1]
	v_pk_fma_f32 v[122:123], v[122:123], v[112:113], v[126:127] op_sel:[0,0,1] op_sel_hi:[1,0,0]
	v_dual_mul_f32 v126, v125, v115 :: v_dual_mov_b32 v122, v125
	s_delay_alu instid0(VALU_DEP_2) | instskip(NEXT) | instid1(VALU_DEP_2)
	v_dual_mov_b32 v129, v123 :: v_dual_mov_b32 v123, v124
	v_pk_fma_f32 v[126:127], v[124:125], v[102:103], v[126:127] op_sel_hi:[1,1,0] neg_lo:[0,0,1] neg_hi:[0,0,1]
	v_mul_f32_e32 v124, v125, v112
	s_delay_alu instid0(VALU_DEP_3) | instskip(NEXT) | instid1(VALU_DEP_2)
	v_pk_add_f32 v[66:67], v[66:67], v[128:129] neg_lo:[0,1] neg_hi:[0,1]
	v_pk_fma_f32 v[122:123], v[122:123], v[102:103], v[124:125] op_sel_hi:[1,1,0]
	s_delay_alu instid0(VALU_DEP_1) | instskip(SKIP_4) | instid1(VALU_DEP_1)
	v_mov_b32_e32 v127, v123
	ds_load_2addr_b64 v[122:125], v116 offset0:28 offset1:29
	v_pk_add_f32 v[62:63], v[62:63], v[126:127] neg_lo:[0,1] neg_hi:[0,1]
	s_wait_dscnt 0x0
	v_pk_mul_f32 v[126:127], v[122:123], v[114:115] op_sel:[0,1]
	v_pk_fma_f32 v[128:129], v[122:123], v[112:113], v[126:127] op_sel:[0,0,1] op_sel_hi:[1,1,0] neg_lo:[0,0,1] neg_hi:[0,0,1]
	v_pk_fma_f32 v[122:123], v[122:123], v[112:113], v[126:127] op_sel:[0,0,1] op_sel_hi:[1,0,0]
	s_delay_alu instid0(VALU_DEP_1) | instskip(SKIP_1) | instid1(VALU_DEP_1)
	v_mov_b32_e32 v129, v123
	v_pk_mul_f32 v[122:123], v[124:125], v[114:115] op_sel:[0,1]
	v_pk_fma_f32 v[126:127], v[124:125], v[112:113], v[122:123] op_sel:[0,0,1] op_sel_hi:[1,1,0] neg_lo:[0,0,1] neg_hi:[0,0,1]
	v_pk_fma_f32 v[122:123], v[124:125], v[112:113], v[122:123] op_sel:[0,0,1] op_sel_hi:[1,0,0]
	s_delay_alu instid0(VALU_DEP_1)
	v_mov_b32_e32 v127, v123
	ds_load_2addr_b64 v[122:125], v116 offset0:30 offset1:31
	v_pk_add_f32 v[52:53], v[52:53], v[128:129] neg_lo:[0,1] neg_hi:[0,1]
	v_pk_add_f32 v[48:49], v[48:49], v[126:127] neg_lo:[0,1] neg_hi:[0,1]
	s_wait_dscnt 0x0
	v_pk_mul_f32 v[126:127], v[122:123], v[114:115] op_sel:[0,1]
	s_delay_alu instid0(VALU_DEP_1) | instskip(SKIP_1) | instid1(VALU_DEP_1)
	v_pk_fma_f32 v[128:129], v[122:123], v[112:113], v[126:127] op_sel:[0,0,1] op_sel_hi:[1,1,0] neg_lo:[0,0,1] neg_hi:[0,0,1]
	v_pk_fma_f32 v[122:123], v[122:123], v[112:113], v[126:127] op_sel:[0,0,1] op_sel_hi:[1,0,0]
	v_mov_b32_e32 v129, v123
	v_pk_mul_f32 v[122:123], v[124:125], v[114:115] op_sel:[0,1]
	s_delay_alu instid0(VALU_DEP_1) | instskip(SKIP_1) | instid1(VALU_DEP_1)
	v_pk_fma_f32 v[126:127], v[124:125], v[112:113], v[122:123] op_sel:[0,0,1] op_sel_hi:[1,1,0] neg_lo:[0,0,1] neg_hi:[0,0,1]
	v_pk_fma_f32 v[122:123], v[124:125], v[112:113], v[122:123] op_sel:[0,0,1] op_sel_hi:[1,0,0]
	v_mov_b32_e32 v127, v123
	ds_load_2addr_b64 v[122:125], v116 offset0:32 offset1:33
	v_pk_add_f32 v[50:51], v[50:51], v[128:129] neg_lo:[0,1] neg_hi:[0,1]
	v_pk_add_f32 v[46:47], v[46:47], v[126:127] neg_lo:[0,1] neg_hi:[0,1]
	s_wait_dscnt 0x0
	v_dual_mul_f32 v126, v123, v115 :: v_dual_mul_f32 v128, v123, v112
	s_delay_alu instid0(VALU_DEP_1) | instskip(NEXT) | instid1(VALU_DEP_2)
	v_pk_fma_f32 v[126:127], v[122:123], v[102:103], v[126:127] op_sel_hi:[1,1,0] neg_lo:[0,0,1] neg_hi:[0,0,1]
	v_pk_fma_f32 v[122:123], v[122:123], v[102:103], v[128:129] op_sel:[1,0,0] op_sel_hi:[0,1,0]
	s_delay_alu instid0(VALU_DEP_1) | instskip(SKIP_1) | instid1(VALU_DEP_2)
	v_mov_b32_e32 v127, v123
	v_pk_mul_f32 v[122:123], v[124:125], v[114:115] op_sel:[0,1]
	v_pk_add_f32 v[44:45], v[44:45], v[126:127] neg_lo:[0,1] neg_hi:[0,1]
	s_delay_alu instid0(VALU_DEP_2) | instskip(SKIP_1) | instid1(VALU_DEP_1)
	v_pk_fma_f32 v[126:127], v[124:125], v[112:113], v[122:123] op_sel:[0,0,1] op_sel_hi:[1,1,0] neg_lo:[0,0,1] neg_hi:[0,0,1]
	v_pk_fma_f32 v[122:123], v[124:125], v[112:113], v[122:123] op_sel:[0,0,1] op_sel_hi:[1,0,0]
	v_mov_b32_e32 v127, v123
	ds_load_2addr_b64 v[122:125], v116 offset0:34 offset1:35
	v_pk_add_f32 v[40:41], v[40:41], v[126:127] neg_lo:[0,1] neg_hi:[0,1]
	s_wait_dscnt 0x0
	v_pk_mul_f32 v[126:127], v[122:123], v[114:115] op_sel:[0,1]
	s_delay_alu instid0(VALU_DEP_1) | instskip(SKIP_1) | instid1(VALU_DEP_1)
	v_pk_fma_f32 v[128:129], v[122:123], v[112:113], v[126:127] op_sel:[0,0,1] op_sel_hi:[1,1,0] neg_lo:[0,0,1] neg_hi:[0,0,1]
	v_pk_fma_f32 v[122:123], v[122:123], v[112:113], v[126:127] op_sel:[0,0,1] op_sel_hi:[1,0,0]
	v_mov_b32_e32 v129, v123
	v_pk_mul_f32 v[122:123], v[124:125], v[114:115] op_sel:[0,1]
	s_delay_alu instid0(VALU_DEP_2) | instskip(NEXT) | instid1(VALU_DEP_2)
	v_pk_add_f32 v[42:43], v[42:43], v[128:129] neg_lo:[0,1] neg_hi:[0,1]
	v_pk_fma_f32 v[126:127], v[124:125], v[112:113], v[122:123] op_sel:[0,0,1] op_sel_hi:[1,1,0] neg_lo:[0,0,1] neg_hi:[0,0,1]
	v_pk_fma_f32 v[122:123], v[124:125], v[112:113], v[122:123] op_sel:[0,0,1] op_sel_hi:[1,0,0]
	s_delay_alu instid0(VALU_DEP_1) | instskip(SKIP_4) | instid1(VALU_DEP_1)
	v_mov_b32_e32 v127, v123
	ds_load_2addr_b64 v[122:125], v116 offset0:36 offset1:37
	v_pk_add_f32 v[38:39], v[38:39], v[126:127] neg_lo:[0,1] neg_hi:[0,1]
	s_wait_dscnt 0x0
	v_pk_mul_f32 v[126:127], v[122:123], v[114:115] op_sel:[0,1]
	v_pk_fma_f32 v[128:129], v[122:123], v[112:113], v[126:127] op_sel:[0,0,1] op_sel_hi:[1,1,0] neg_lo:[0,0,1] neg_hi:[0,0,1]
	v_pk_fma_f32 v[122:123], v[122:123], v[112:113], v[126:127] op_sel:[0,0,1] op_sel_hi:[1,0,0]
	v_dual_mul_f32 v126, v125, v115 :: v_dual_mov_b32 v122, v125
	s_delay_alu instid0(VALU_DEP_2) | instskip(NEXT) | instid1(VALU_DEP_2)
	v_dual_mov_b32 v129, v123 :: v_dual_mov_b32 v123, v124
	v_pk_fma_f32 v[126:127], v[124:125], v[102:103], v[126:127] op_sel_hi:[1,1,0] neg_lo:[0,0,1] neg_hi:[0,0,1]
	v_mul_f32_e32 v124, v125, v112
	s_delay_alu instid0(VALU_DEP_3) | instskip(NEXT) | instid1(VALU_DEP_2)
	v_pk_add_f32 v[36:37], v[36:37], v[128:129] neg_lo:[0,1] neg_hi:[0,1]
	v_pk_fma_f32 v[122:123], v[122:123], v[102:103], v[124:125] op_sel_hi:[1,1,0]
	s_delay_alu instid0(VALU_DEP_1) | instskip(SKIP_4) | instid1(VALU_DEP_1)
	v_mov_b32_e32 v127, v123
	ds_load_2addr_b64 v[122:125], v116 offset0:38 offset1:39
	v_pk_add_f32 v[32:33], v[32:33], v[126:127] neg_lo:[0,1] neg_hi:[0,1]
	s_wait_dscnt 0x0
	v_pk_mul_f32 v[126:127], v[122:123], v[114:115] op_sel:[0,1]
	v_pk_fma_f32 v[128:129], v[122:123], v[112:113], v[126:127] op_sel:[0,0,1] op_sel_hi:[1,1,0] neg_lo:[0,0,1] neg_hi:[0,0,1]
	v_pk_fma_f32 v[122:123], v[122:123], v[112:113], v[126:127] op_sel:[0,0,1] op_sel_hi:[1,0,0]
	s_delay_alu instid0(VALU_DEP_1) | instskip(SKIP_1) | instid1(VALU_DEP_1)
	v_mov_b32_e32 v129, v123
	v_pk_mul_f32 v[122:123], v[124:125], v[114:115] op_sel:[0,1]
	v_pk_fma_f32 v[126:127], v[124:125], v[112:113], v[122:123] op_sel:[0,0,1] op_sel_hi:[1,1,0] neg_lo:[0,0,1] neg_hi:[0,0,1]
	v_pk_fma_f32 v[122:123], v[124:125], v[112:113], v[122:123] op_sel:[0,0,1] op_sel_hi:[1,0,0]
	s_delay_alu instid0(VALU_DEP_1)
	v_mov_b32_e32 v127, v123
	ds_load_2addr_b64 v[122:125], v116 offset0:40 offset1:41
	v_pk_add_f32 v[34:35], v[34:35], v[128:129] neg_lo:[0,1] neg_hi:[0,1]
	v_pk_add_f32 v[30:31], v[30:31], v[126:127] neg_lo:[0,1] neg_hi:[0,1]
	s_wait_dscnt 0x0
	v_pk_mul_f32 v[126:127], v[122:123], v[114:115] op_sel:[0,1]
	s_delay_alu instid0(VALU_DEP_1) | instskip(SKIP_1) | instid1(VALU_DEP_1)
	v_pk_fma_f32 v[128:129], v[122:123], v[112:113], v[126:127] op_sel:[0,0,1] op_sel_hi:[1,1,0] neg_lo:[0,0,1] neg_hi:[0,0,1]
	v_pk_fma_f32 v[122:123], v[122:123], v[112:113], v[126:127] op_sel:[0,0,1] op_sel_hi:[1,0,0]
	v_mov_b32_e32 v129, v123
	v_pk_mul_f32 v[122:123], v[124:125], v[114:115] op_sel:[0,1]
	s_delay_alu instid0(VALU_DEP_1) | instskip(SKIP_1) | instid1(VALU_DEP_1)
	v_pk_fma_f32 v[126:127], v[124:125], v[112:113], v[122:123] op_sel:[0,0,1] op_sel_hi:[1,1,0] neg_lo:[0,0,1] neg_hi:[0,0,1]
	v_pk_fma_f32 v[122:123], v[124:125], v[112:113], v[122:123] op_sel:[0,0,1] op_sel_hi:[1,0,0]
	v_mov_b32_e32 v127, v123
	ds_load_2addr_b64 v[122:125], v116 offset0:42 offset1:43
	v_pk_add_f32 v[26:27], v[26:27], v[128:129] neg_lo:[0,1] neg_hi:[0,1]
	v_pk_add_f32 v[22:23], v[22:23], v[126:127] neg_lo:[0,1] neg_hi:[0,1]
	s_wait_dscnt 0x0
	v_dual_mul_f32 v126, v123, v115 :: v_dual_mul_f32 v128, v123, v112
	s_delay_alu instid0(VALU_DEP_1) | instskip(NEXT) | instid1(VALU_DEP_2)
	v_pk_fma_f32 v[126:127], v[122:123], v[102:103], v[126:127] op_sel_hi:[1,1,0] neg_lo:[0,0,1] neg_hi:[0,0,1]
	v_pk_fma_f32 v[122:123], v[122:123], v[102:103], v[128:129] op_sel:[1,0,0] op_sel_hi:[0,1,0]
	s_delay_alu instid0(VALU_DEP_1) | instskip(SKIP_1) | instid1(VALU_DEP_2)
	v_mov_b32_e32 v127, v123
	v_pk_mul_f32 v[122:123], v[124:125], v[114:115] op_sel:[0,1]
	v_pk_add_f32 v[24:25], v[24:25], v[126:127] neg_lo:[0,1] neg_hi:[0,1]
	s_delay_alu instid0(VALU_DEP_2) | instskip(SKIP_1) | instid1(VALU_DEP_1)
	v_pk_fma_f32 v[126:127], v[124:125], v[112:113], v[122:123] op_sel:[0,0,1] op_sel_hi:[1,1,0] neg_lo:[0,0,1] neg_hi:[0,0,1]
	v_pk_fma_f32 v[122:123], v[124:125], v[112:113], v[122:123] op_sel:[0,0,1] op_sel_hi:[1,0,0]
	v_mov_b32_e32 v127, v123
	ds_load_2addr_b64 v[122:125], v116 offset0:44 offset1:45
	v_pk_add_f32 v[20:21], v[20:21], v[126:127] neg_lo:[0,1] neg_hi:[0,1]
	s_wait_dscnt 0x0
	v_pk_mul_f32 v[126:127], v[122:123], v[114:115] op_sel:[0,1]
	s_delay_alu instid0(VALU_DEP_1) | instskip(SKIP_1) | instid1(VALU_DEP_1)
	v_pk_fma_f32 v[128:129], v[122:123], v[112:113], v[126:127] op_sel:[0,0,1] op_sel_hi:[1,1,0] neg_lo:[0,0,1] neg_hi:[0,0,1]
	v_pk_fma_f32 v[122:123], v[122:123], v[112:113], v[126:127] op_sel:[0,0,1] op_sel_hi:[1,0,0]
	v_mov_b32_e32 v129, v123
	v_pk_mul_f32 v[122:123], v[124:125], v[114:115] op_sel:[0,1]
	s_delay_alu instid0(VALU_DEP_2) | instskip(NEXT) | instid1(VALU_DEP_2)
	v_pk_add_f32 v[14:15], v[14:15], v[128:129] neg_lo:[0,1] neg_hi:[0,1]
	v_pk_fma_f32 v[126:127], v[124:125], v[112:113], v[122:123] op_sel:[0,0,1] op_sel_hi:[1,1,0] neg_lo:[0,0,1] neg_hi:[0,0,1]
	v_pk_fma_f32 v[122:123], v[124:125], v[112:113], v[122:123] op_sel:[0,0,1] op_sel_hi:[1,0,0]
	s_delay_alu instid0(VALU_DEP_1) | instskip(SKIP_4) | instid1(VALU_DEP_1)
	v_mov_b32_e32 v127, v123
	ds_load_2addr_b64 v[122:125], v116 offset0:46 offset1:47
	v_pk_add_f32 v[10:11], v[10:11], v[126:127] neg_lo:[0,1] neg_hi:[0,1]
	s_wait_dscnt 0x0
	v_pk_mul_f32 v[126:127], v[122:123], v[114:115] op_sel:[0,1]
	v_pk_fma_f32 v[128:129], v[122:123], v[112:113], v[126:127] op_sel:[0,0,1] op_sel_hi:[1,1,0] neg_lo:[0,0,1] neg_hi:[0,0,1]
	v_pk_fma_f32 v[122:123], v[122:123], v[112:113], v[126:127] op_sel:[0,0,1] op_sel_hi:[1,0,0]
	v_dual_mul_f32 v126, v125, v115 :: v_dual_mov_b32 v122, v125
	s_delay_alu instid0(VALU_DEP_2) | instskip(NEXT) | instid1(VALU_DEP_2)
	v_dual_mov_b32 v129, v123 :: v_dual_mov_b32 v123, v124
	v_pk_fma_f32 v[126:127], v[124:125], v[102:103], v[126:127] op_sel_hi:[1,1,0] neg_lo:[0,0,1] neg_hi:[0,0,1]
	v_mul_f32_e32 v124, v125, v112
	s_delay_alu instid0(VALU_DEP_3) | instskip(NEXT) | instid1(VALU_DEP_2)
	v_pk_add_f32 v[12:13], v[12:13], v[128:129] neg_lo:[0,1] neg_hi:[0,1]
	v_pk_fma_f32 v[122:123], v[122:123], v[102:103], v[124:125] op_sel_hi:[1,1,0]
	s_delay_alu instid0(VALU_DEP_1) | instskip(SKIP_4) | instid1(VALU_DEP_1)
	v_mov_b32_e32 v127, v123
	ds_load_2addr_b64 v[122:125], v116 offset0:48 offset1:49
	v_pk_add_f32 v[8:9], v[8:9], v[126:127] neg_lo:[0,1] neg_hi:[0,1]
	s_wait_dscnt 0x0
	v_pk_mul_f32 v[126:127], v[122:123], v[114:115] op_sel:[0,1]
	v_pk_fma_f32 v[128:129], v[122:123], v[112:113], v[126:127] op_sel:[0,0,1] op_sel_hi:[1,1,0] neg_lo:[0,0,1] neg_hi:[0,0,1]
	v_pk_fma_f32 v[122:123], v[122:123], v[112:113], v[126:127] op_sel:[0,0,1] op_sel_hi:[1,0,0]
	s_delay_alu instid0(VALU_DEP_1) | instskip(SKIP_1) | instid1(VALU_DEP_1)
	v_mov_b32_e32 v129, v123
	v_pk_mul_f32 v[122:123], v[124:125], v[114:115] op_sel:[0,1]
	v_pk_fma_f32 v[126:127], v[124:125], v[112:113], v[122:123] op_sel:[0,0,1] op_sel_hi:[1,1,0] neg_lo:[0,0,1] neg_hi:[0,0,1]
	v_pk_fma_f32 v[122:123], v[124:125], v[112:113], v[122:123] op_sel:[0,0,1] op_sel_hi:[1,0,0]
	s_delay_alu instid0(VALU_DEP_1)
	v_mov_b32_e32 v127, v123
	ds_load_2addr_b64 v[122:125], v116 offset0:50 offset1:51
	v_pk_add_f32 v[6:7], v[6:7], v[128:129] neg_lo:[0,1] neg_hi:[0,1]
	v_pk_add_f32 v[28:29], v[28:29], v[126:127] neg_lo:[0,1] neg_hi:[0,1]
	s_wait_dscnt 0x0
	v_pk_mul_f32 v[126:127], v[122:123], v[114:115] op_sel:[0,1]
	s_delay_alu instid0(VALU_DEP_1) | instskip(SKIP_1) | instid1(VALU_DEP_1)
	v_pk_fma_f32 v[128:129], v[122:123], v[112:113], v[126:127] op_sel:[0,0,1] op_sel_hi:[1,1,0] neg_lo:[0,0,1] neg_hi:[0,0,1]
	v_pk_fma_f32 v[122:123], v[122:123], v[112:113], v[126:127] op_sel:[0,0,1] op_sel_hi:[1,0,0]
	v_mov_b32_e32 v129, v123
	v_pk_mul_f32 v[122:123], v[124:125], v[114:115] op_sel:[0,1]
	s_delay_alu instid0(VALU_DEP_1) | instskip(SKIP_1) | instid1(VALU_DEP_1)
	v_pk_fma_f32 v[126:127], v[124:125], v[112:113], v[122:123] op_sel:[0,0,1] op_sel_hi:[1,1,0] neg_lo:[0,0,1] neg_hi:[0,0,1]
	v_pk_fma_f32 v[122:123], v[124:125], v[112:113], v[122:123] op_sel:[0,0,1] op_sel_hi:[1,0,0]
	v_mov_b32_e32 v127, v123
	ds_load_b64 v[122:123], v116 offset:416
	v_pk_add_f32 v[18:19], v[18:19], v[128:129] neg_lo:[0,1] neg_hi:[0,1]
	v_pk_add_f32 v[16:17], v[16:17], v[126:127] neg_lo:[0,1] neg_hi:[0,1]
	s_wait_dscnt 0x0
	v_pk_mul_f32 v[114:115], v[122:123], v[114:115] op_sel:[0,1]
	s_delay_alu instid0(VALU_DEP_1) | instskip(SKIP_1) | instid1(VALU_DEP_1)
	v_pk_fma_f32 v[124:125], v[122:123], v[112:113], v[114:115] op_sel:[0,0,1] op_sel_hi:[1,1,0] neg_lo:[0,0,1] neg_hi:[0,0,1]
	v_pk_fma_f32 v[112:113], v[122:123], v[112:113], v[114:115] op_sel:[0,0,1] op_sel_hi:[1,0,0]
	v_mov_b32_e32 v125, v113
	s_delay_alu instid0(VALU_DEP_1)
	v_pk_add_f32 v[110:111], v[110:111], v[124:125] neg_lo:[0,1] neg_hi:[0,1]
.LBB104_83:
	s_or_b32 exec_lo, exec_lo, s0
	v_lshl_add_u32 v112, v120, 3, v116
	s_barrier_signal -1
	s_barrier_wait -1
	ds_store_b64 v112, v[60:61]
	s_wait_dscnt 0x0
	s_barrier_signal -1
	s_barrier_wait -1
	ds_load_b64 v[114:115], v116 offset:32
	v_mov_b32_e32 v112, 4
	s_cmp_lt_i32 s18, 6
	s_cbranch_scc1 .LBB104_86
; %bb.84:
	v_add3_u32 v113, v117, 0, 40
	v_mov_b32_e32 v112, 4
	s_mov_b32 s0, 5
.LBB104_85:                             ; =>This Inner Loop Header: Depth=1
	ds_load_b64 v[122:123], v113
	s_wait_dscnt 0x1
	v_cmp_gt_f32_e32 vcc_lo, 0, v114
	v_cndmask_b32_e64 v124, v114, -v114, vcc_lo
	v_cmp_gt_f32_e32 vcc_lo, 0, v115
	v_cndmask_b32_e64 v126, v115, -v115, vcc_lo
	s_wait_dscnt 0x0
	v_cmp_gt_f32_e32 vcc_lo, 0, v122
	v_cndmask_b32_e64 v125, v122, -v122, vcc_lo
	v_cmp_gt_f32_e32 vcc_lo, 0, v123
	v_cndmask_b32_e64 v127, v123, -v123, vcc_lo
	s_delay_alu instid0(VALU_DEP_1) | instskip(NEXT) | instid1(VALU_DEP_1)
	v_pk_add_f32 v[124:125], v[124:125], v[126:127]
	v_cmp_lt_f32_e32 vcc_lo, v124, v125
	v_dual_add_nc_u32 v113, 8, v113 :: v_dual_cndmask_b32 v115, v115, v123, vcc_lo
	v_cndmask_b32_e32 v114, v114, v122, vcc_lo
	v_cndmask_b32_e64 v112, v112, s0, vcc_lo
	s_add_co_i32 s0, s0, 1
	s_delay_alu instid0(SALU_CYCLE_1)
	s_cmp_lg_u32 s18, s0
	s_cbranch_scc1 .LBB104_85
.LBB104_86:
	s_wait_dscnt 0x0
	v_cmp_eq_f32_e32 vcc_lo, 0, v114
	v_cmp_eq_f32_e64 s0, 0, v115
	s_and_b32 s0, vcc_lo, s0
	s_delay_alu instid0(SALU_CYCLE_1) | instskip(NEXT) | instid1(SALU_CYCLE_1)
	s_and_saveexec_b32 s1, s0
	s_xor_b32 s0, exec_lo, s1
; %bb.87:
	v_cmp_ne_u32_e32 vcc_lo, 0, v118
	v_cndmask_b32_e32 v118, 5, v118, vcc_lo
; %bb.88:
	s_and_not1_saveexec_b32 s0, s0
	s_cbranch_execz .LBB104_94
; %bb.89:
	v_cmp_ngt_f32_e64 s1, |v114|, |v115|
	s_and_saveexec_b32 s12, s1
	s_delay_alu instid0(SALU_CYCLE_1)
	s_xor_b32 s1, exec_lo, s12
	s_cbranch_execz .LBB104_91
; %bb.90:
	v_div_scale_f32 v113, null, v115, v115, v114
	v_div_scale_f32 v123, vcc_lo, v114, v115, v114
	s_delay_alu instid0(VALU_DEP_2) | instskip(SKIP_1) | instid1(TRANS32_DEP_1)
	v_rcp_f32_e32 v121, v113
	v_nop
	v_fma_f32 v122, -v113, v121, 1.0
	s_delay_alu instid0(VALU_DEP_1) | instskip(NEXT) | instid1(VALU_DEP_1)
	v_fmac_f32_e32 v121, v122, v121
	v_mul_f32_e32 v122, v123, v121
	s_delay_alu instid0(VALU_DEP_1) | instskip(NEXT) | instid1(VALU_DEP_1)
	v_fma_f32 v124, -v113, v122, v123
	v_fmac_f32_e32 v122, v124, v121
	s_delay_alu instid0(VALU_DEP_1) | instskip(NEXT) | instid1(VALU_DEP_1)
	v_fma_f32 v113, -v113, v122, v123
	v_div_fmas_f32 v113, v113, v121, v122
	s_delay_alu instid0(VALU_DEP_1) | instskip(NEXT) | instid1(VALU_DEP_1)
	v_div_fixup_f32 v113, v113, v115, v114
	v_fmac_f32_e32 v115, v114, v113
	s_delay_alu instid0(VALU_DEP_1) | instskip(SKIP_1) | instid1(VALU_DEP_2)
	v_div_scale_f32 v114, null, v115, v115, 1.0
	v_div_scale_f32 v123, vcc_lo, 1.0, v115, 1.0
	v_rcp_f32_e32 v121, v114
	v_nop
	s_delay_alu instid0(TRANS32_DEP_1) | instskip(NEXT) | instid1(VALU_DEP_1)
	v_fma_f32 v122, -v114, v121, 1.0
	v_fmac_f32_e32 v121, v122, v121
	s_delay_alu instid0(VALU_DEP_1) | instskip(NEXT) | instid1(VALU_DEP_1)
	v_mul_f32_e32 v122, v123, v121
	v_fma_f32 v124, -v114, v122, v123
	s_delay_alu instid0(VALU_DEP_1) | instskip(NEXT) | instid1(VALU_DEP_1)
	v_fmac_f32_e32 v122, v124, v121
	v_fma_f32 v114, -v114, v122, v123
	s_delay_alu instid0(VALU_DEP_1) | instskip(NEXT) | instid1(VALU_DEP_1)
	v_div_fmas_f32 v114, v114, v121, v122
	v_div_fixup_f32 v115, v114, v115, 1.0
	s_delay_alu instid0(VALU_DEP_1)
	v_mul_f32_e32 v114, v113, v115
	v_xor_b32_e32 v115, 0x80000000, v115
.LBB104_91:
	s_and_not1_saveexec_b32 s1, s1
	s_cbranch_execz .LBB104_93
; %bb.92:
	s_delay_alu instid0(VALU_DEP_1) | instskip(SKIP_1) | instid1(VALU_DEP_2)
	v_div_scale_f32 v113, null, v114, v114, v115
	v_div_scale_f32 v123, vcc_lo, v115, v114, v115
	v_rcp_f32_e32 v121, v113
	v_nop
	s_delay_alu instid0(TRANS32_DEP_1) | instskip(NEXT) | instid1(VALU_DEP_1)
	v_fma_f32 v122, -v113, v121, 1.0
	v_fmac_f32_e32 v121, v122, v121
	s_delay_alu instid0(VALU_DEP_1) | instskip(NEXT) | instid1(VALU_DEP_1)
	v_mul_f32_e32 v122, v123, v121
	v_fma_f32 v124, -v113, v122, v123
	s_delay_alu instid0(VALU_DEP_1) | instskip(NEXT) | instid1(VALU_DEP_1)
	v_fmac_f32_e32 v122, v124, v121
	v_fma_f32 v113, -v113, v122, v123
	s_delay_alu instid0(VALU_DEP_1) | instskip(NEXT) | instid1(VALU_DEP_1)
	v_div_fmas_f32 v113, v113, v121, v122
	v_div_fixup_f32 v113, v113, v114, v115
	s_delay_alu instid0(VALU_DEP_1) | instskip(NEXT) | instid1(VALU_DEP_1)
	v_fmac_f32_e32 v114, v115, v113
	v_div_scale_f32 v115, null, v114, v114, 1.0
	s_delay_alu instid0(VALU_DEP_1) | instskip(SKIP_1) | instid1(TRANS32_DEP_1)
	v_rcp_f32_e32 v121, v115
	v_nop
	v_fma_f32 v122, -v115, v121, 1.0
	s_delay_alu instid0(VALU_DEP_1) | instskip(SKIP_1) | instid1(VALU_DEP_1)
	v_fmac_f32_e32 v121, v122, v121
	v_div_scale_f32 v122, vcc_lo, 1.0, v114, 1.0
	v_mul_f32_e32 v123, v122, v121
	s_delay_alu instid0(VALU_DEP_1) | instskip(NEXT) | instid1(VALU_DEP_1)
	v_fma_f32 v124, -v115, v123, v122
	v_fmac_f32_e32 v123, v124, v121
	s_delay_alu instid0(VALU_DEP_1) | instskip(NEXT) | instid1(VALU_DEP_1)
	v_fma_f32 v115, -v115, v123, v122
	v_div_fmas_f32 v115, v115, v121, v123
	s_delay_alu instid0(VALU_DEP_1) | instskip(NEXT) | instid1(VALU_DEP_1)
	v_div_fixup_f32 v114, v115, v114, 1.0
	v_mul_f32_e64 v115, v113, -v114
.LBB104_93:
	s_or_b32 exec_lo, exec_lo, s1
.LBB104_94:
	s_delay_alu instid0(SALU_CYCLE_1) | instskip(NEXT) | instid1(SALU_CYCLE_1)
	s_or_b32 exec_lo, exec_lo, s0
	s_mov_b32 s0, exec_lo
	v_cmpx_ne_u32_e64 v120, v112
	s_xor_b32 s0, exec_lo, s0
	s_cbranch_execz .LBB104_100
; %bb.95:
	s_mov_b32 s1, exec_lo
	v_cmpx_eq_u32_e32 4, v120
	s_cbranch_execz .LBB104_99
; %bb.96:
	v_cmp_ne_u32_e32 vcc_lo, 4, v112
	s_xor_b32 s12, s16, -1
	s_delay_alu instid0(SALU_CYCLE_1) | instskip(NEXT) | instid1(SALU_CYCLE_1)
	s_and_b32 s13, s12, vcc_lo
	s_and_saveexec_b32 s12, s13
	s_cbranch_execz .LBB104_98
; %bb.97:
	v_ashrrev_i32_e32 v113, 31, v112
	s_delay_alu instid0(VALU_DEP_1)
	v_lshl_add_u64 v[120:121], v[112:113], 2, v[4:5]
	s_clause 0x1
	global_load_b32 v113, v[120:121], off
	global_load_b32 v119, v[4:5], off offset:16
	s_wait_loadcnt 0x1
	global_store_b32 v[4:5], v113, off offset:16
	s_wait_loadcnt 0x0
	global_store_b32 v[120:121], v119, off
.LBB104_98:
	s_wait_xcnt 0x0
	s_or_b32 exec_lo, exec_lo, s12
	v_dual_mov_b32 v120, v112 :: v_dual_mov_b32 v119, v112
.LBB104_99:
	s_or_b32 exec_lo, exec_lo, s1
.LBB104_100:
	s_and_not1_saveexec_b32 s0, s0
	s_cbranch_execz .LBB104_102
; %bb.101:
	v_mov_b32_e32 v120, 4
	ds_store_2addr_b64 v116, v[56:57], v[58:59] offset0:5 offset1:6
	ds_store_2addr_b64 v116, v[54:55], v[100:101] offset0:7 offset1:8
	;; [unrolled: 1-line block ×24, first 2 shown]
.LBB104_102:
	s_or_b32 exec_lo, exec_lo, s0
	s_delay_alu instid0(SALU_CYCLE_1)
	s_mov_b32 s0, exec_lo
	s_wait_storecnt_dscnt 0x0
	s_barrier_signal -1
	s_barrier_wait -1
	v_cmpx_lt_i32_e32 4, v120
	s_cbranch_execz .LBB104_104
; %bb.103:
	v_pk_mul_f32 v[122:123], v[114:115], v[60:61] op_sel:[1,1] op_sel_hi:[0,1]
	s_delay_alu instid0(VALU_DEP_1)
	v_pk_fma_f32 v[112:113], v[114:115], v[60:61], v[122:123] op_sel_hi:[1,0,1] neg_lo:[0,0,1] neg_hi:[0,0,1]
	v_pk_fma_f32 v[114:115], v[114:115], v[60:61], v[122:123] op_sel_hi:[1,0,1]
	ds_load_2addr_b64 v[122:125], v116 offset0:5 offset1:6
	v_dual_mov_b32 v60, v112 :: v_dual_mov_b32 v61, v115
	s_wait_dscnt 0x0
	v_pk_mul_f32 v[126:127], v[122:123], v[114:115] op_sel:[0,1]
	s_delay_alu instid0(VALU_DEP_1) | instskip(SKIP_1) | instid1(VALU_DEP_1)
	v_pk_fma_f32 v[128:129], v[122:123], v[112:113], v[126:127] op_sel:[0,0,1] op_sel_hi:[1,1,0] neg_lo:[0,0,1] neg_hi:[0,0,1]
	v_pk_fma_f32 v[122:123], v[122:123], v[112:113], v[126:127] op_sel:[0,0,1] op_sel_hi:[1,0,0]
	v_mov_b32_e32 v129, v123
	v_pk_mul_f32 v[122:123], v[124:125], v[114:115] op_sel:[0,1]
	s_delay_alu instid0(VALU_DEP_1) | instskip(SKIP_1) | instid1(VALU_DEP_1)
	v_pk_fma_f32 v[126:127], v[124:125], v[112:113], v[122:123] op_sel:[0,0,1] op_sel_hi:[1,1,0] neg_lo:[0,0,1] neg_hi:[0,0,1]
	v_pk_fma_f32 v[122:123], v[124:125], v[112:113], v[122:123] op_sel:[0,0,1] op_sel_hi:[1,0,0]
	v_mov_b32_e32 v127, v123
	ds_load_2addr_b64 v[122:125], v116 offset0:7 offset1:8
	v_pk_add_f32 v[56:57], v[56:57], v[128:129] neg_lo:[0,1] neg_hi:[0,1]
	v_pk_add_f32 v[58:59], v[58:59], v[126:127] neg_lo:[0,1] neg_hi:[0,1]
	s_wait_dscnt 0x0
	v_pk_mul_f32 v[126:127], v[122:123], v[114:115] op_sel:[0,1]
	s_delay_alu instid0(VALU_DEP_1) | instskip(SKIP_2) | instid1(VALU_DEP_2)
	v_pk_fma_f32 v[128:129], v[122:123], v[112:113], v[126:127] op_sel:[0,0,1] op_sel_hi:[1,1,0] neg_lo:[0,0,1] neg_hi:[0,0,1]
	v_pk_fma_f32 v[122:123], v[122:123], v[112:113], v[126:127] op_sel:[0,0,1] op_sel_hi:[1,0,0]
	v_dual_mul_f32 v126, v125, v115 :: v_dual_mov_b32 v122, v125
	v_dual_mov_b32 v129, v123 :: v_dual_mov_b32 v123, v124
	s_delay_alu instid0(VALU_DEP_2) | instskip(SKIP_1) | instid1(VALU_DEP_3)
	v_pk_fma_f32 v[126:127], v[124:125], v[60:61], v[126:127] op_sel_hi:[1,1,0] neg_lo:[0,0,1] neg_hi:[0,0,1]
	v_mul_f32_e32 v124, v125, v112
	v_pk_add_f32 v[54:55], v[54:55], v[128:129] neg_lo:[0,1] neg_hi:[0,1]
	s_delay_alu instid0(VALU_DEP_2) | instskip(NEXT) | instid1(VALU_DEP_1)
	v_pk_fma_f32 v[122:123], v[122:123], v[60:61], v[124:125] op_sel_hi:[1,1,0]
	v_mov_b32_e32 v127, v123
	ds_load_2addr_b64 v[122:125], v116 offset0:9 offset1:10
	v_pk_add_f32 v[100:101], v[100:101], v[126:127] neg_lo:[0,1] neg_hi:[0,1]
	s_wait_dscnt 0x0
	v_pk_mul_f32 v[126:127], v[122:123], v[114:115] op_sel:[0,1]
	s_delay_alu instid0(VALU_DEP_1) | instskip(SKIP_1) | instid1(VALU_DEP_1)
	v_pk_fma_f32 v[128:129], v[122:123], v[112:113], v[126:127] op_sel:[0,0,1] op_sel_hi:[1,1,0] neg_lo:[0,0,1] neg_hi:[0,0,1]
	v_pk_fma_f32 v[122:123], v[122:123], v[112:113], v[126:127] op_sel:[0,0,1] op_sel_hi:[1,0,0]
	v_mov_b32_e32 v129, v123
	v_pk_mul_f32 v[122:123], v[124:125], v[114:115] op_sel:[0,1]
	s_delay_alu instid0(VALU_DEP_1) | instskip(SKIP_1) | instid1(VALU_DEP_1)
	v_pk_fma_f32 v[126:127], v[124:125], v[112:113], v[122:123] op_sel:[0,0,1] op_sel_hi:[1,1,0] neg_lo:[0,0,1] neg_hi:[0,0,1]
	v_pk_fma_f32 v[122:123], v[124:125], v[112:113], v[122:123] op_sel:[0,0,1] op_sel_hi:[1,0,0]
	v_mov_b32_e32 v127, v123
	ds_load_2addr_b64 v[122:125], v116 offset0:11 offset1:12
	v_pk_add_f32 v[96:97], v[96:97], v[128:129] neg_lo:[0,1] neg_hi:[0,1]
	v_pk_add_f32 v[98:99], v[98:99], v[126:127] neg_lo:[0,1] neg_hi:[0,1]
	s_wait_dscnt 0x0
	v_pk_mul_f32 v[126:127], v[122:123], v[114:115] op_sel:[0,1]
	s_delay_alu instid0(VALU_DEP_1) | instskip(SKIP_1) | instid1(VALU_DEP_1)
	v_pk_fma_f32 v[128:129], v[122:123], v[112:113], v[126:127] op_sel:[0,0,1] op_sel_hi:[1,1,0] neg_lo:[0,0,1] neg_hi:[0,0,1]
	v_pk_fma_f32 v[122:123], v[122:123], v[112:113], v[126:127] op_sel:[0,0,1] op_sel_hi:[1,0,0]
	v_mov_b32_e32 v129, v123
	v_pk_mul_f32 v[122:123], v[124:125], v[114:115] op_sel:[0,1]
	s_delay_alu instid0(VALU_DEP_1) | instskip(SKIP_1) | instid1(VALU_DEP_1)
	v_pk_fma_f32 v[126:127], v[124:125], v[112:113], v[122:123] op_sel:[0,0,1] op_sel_hi:[1,1,0] neg_lo:[0,0,1] neg_hi:[0,0,1]
	v_pk_fma_f32 v[122:123], v[124:125], v[112:113], v[122:123] op_sel:[0,0,1] op_sel_hi:[1,0,0]
	v_mov_b32_e32 v127, v123
	ds_load_2addr_b64 v[122:125], v116 offset0:13 offset1:14
	v_pk_add_f32 v[94:95], v[94:95], v[128:129] neg_lo:[0,1] neg_hi:[0,1]
	v_pk_add_f32 v[92:93], v[92:93], v[126:127] neg_lo:[0,1] neg_hi:[0,1]
	s_wait_dscnt 0x0
	v_dual_mul_f32 v126, v123, v115 :: v_dual_mul_f32 v128, v123, v112
	s_delay_alu instid0(VALU_DEP_1) | instskip(NEXT) | instid1(VALU_DEP_2)
	v_pk_fma_f32 v[126:127], v[122:123], v[60:61], v[126:127] op_sel_hi:[1,1,0] neg_lo:[0,0,1] neg_hi:[0,0,1]
	v_pk_fma_f32 v[122:123], v[122:123], v[60:61], v[128:129] op_sel:[1,0,0] op_sel_hi:[0,1,0]
	s_delay_alu instid0(VALU_DEP_1) | instskip(SKIP_1) | instid1(VALU_DEP_2)
	v_mov_b32_e32 v127, v123
	v_pk_mul_f32 v[122:123], v[124:125], v[114:115] op_sel:[0,1]
	v_pk_add_f32 v[88:89], v[88:89], v[126:127] neg_lo:[0,1] neg_hi:[0,1]
	s_delay_alu instid0(VALU_DEP_2) | instskip(SKIP_1) | instid1(VALU_DEP_1)
	v_pk_fma_f32 v[126:127], v[124:125], v[112:113], v[122:123] op_sel:[0,0,1] op_sel_hi:[1,1,0] neg_lo:[0,0,1] neg_hi:[0,0,1]
	v_pk_fma_f32 v[122:123], v[124:125], v[112:113], v[122:123] op_sel:[0,0,1] op_sel_hi:[1,0,0]
	v_mov_b32_e32 v127, v123
	ds_load_2addr_b64 v[122:125], v116 offset0:15 offset1:16
	v_pk_add_f32 v[90:91], v[90:91], v[126:127] neg_lo:[0,1] neg_hi:[0,1]
	s_wait_dscnt 0x0
	v_pk_mul_f32 v[126:127], v[122:123], v[114:115] op_sel:[0,1]
	s_delay_alu instid0(VALU_DEP_1) | instskip(SKIP_1) | instid1(VALU_DEP_1)
	v_pk_fma_f32 v[128:129], v[122:123], v[112:113], v[126:127] op_sel:[0,0,1] op_sel_hi:[1,1,0] neg_lo:[0,0,1] neg_hi:[0,0,1]
	v_pk_fma_f32 v[122:123], v[122:123], v[112:113], v[126:127] op_sel:[0,0,1] op_sel_hi:[1,0,0]
	v_mov_b32_e32 v129, v123
	v_pk_mul_f32 v[122:123], v[124:125], v[114:115] op_sel:[0,1]
	s_delay_alu instid0(VALU_DEP_2) | instskip(NEXT) | instid1(VALU_DEP_2)
	v_pk_add_f32 v[86:87], v[86:87], v[128:129] neg_lo:[0,1] neg_hi:[0,1]
	v_pk_fma_f32 v[126:127], v[124:125], v[112:113], v[122:123] op_sel:[0,0,1] op_sel_hi:[1,1,0] neg_lo:[0,0,1] neg_hi:[0,0,1]
	v_pk_fma_f32 v[122:123], v[124:125], v[112:113], v[122:123] op_sel:[0,0,1] op_sel_hi:[1,0,0]
	s_delay_alu instid0(VALU_DEP_1) | instskip(SKIP_4) | instid1(VALU_DEP_1)
	v_mov_b32_e32 v127, v123
	ds_load_2addr_b64 v[122:125], v116 offset0:17 offset1:18
	v_pk_add_f32 v[84:85], v[84:85], v[126:127] neg_lo:[0,1] neg_hi:[0,1]
	s_wait_dscnt 0x0
	v_pk_mul_f32 v[126:127], v[122:123], v[114:115] op_sel:[0,1]
	v_pk_fma_f32 v[128:129], v[122:123], v[112:113], v[126:127] op_sel:[0,0,1] op_sel_hi:[1,1,0] neg_lo:[0,0,1] neg_hi:[0,0,1]
	v_pk_fma_f32 v[122:123], v[122:123], v[112:113], v[126:127] op_sel:[0,0,1] op_sel_hi:[1,0,0]
	v_dual_mul_f32 v126, v125, v115 :: v_dual_mov_b32 v122, v125
	s_delay_alu instid0(VALU_DEP_2) | instskip(NEXT) | instid1(VALU_DEP_2)
	v_dual_mov_b32 v129, v123 :: v_dual_mov_b32 v123, v124
	v_pk_fma_f32 v[126:127], v[124:125], v[60:61], v[126:127] op_sel_hi:[1,1,0] neg_lo:[0,0,1] neg_hi:[0,0,1]
	v_mul_f32_e32 v124, v125, v112
	s_delay_alu instid0(VALU_DEP_3) | instskip(NEXT) | instid1(VALU_DEP_2)
	v_pk_add_f32 v[80:81], v[80:81], v[128:129] neg_lo:[0,1] neg_hi:[0,1]
	v_pk_fma_f32 v[122:123], v[122:123], v[60:61], v[124:125] op_sel_hi:[1,1,0]
	s_delay_alu instid0(VALU_DEP_1) | instskip(SKIP_4) | instid1(VALU_DEP_1)
	v_mov_b32_e32 v127, v123
	ds_load_2addr_b64 v[122:125], v116 offset0:19 offset1:20
	v_pk_add_f32 v[82:83], v[82:83], v[126:127] neg_lo:[0,1] neg_hi:[0,1]
	s_wait_dscnt 0x0
	v_pk_mul_f32 v[126:127], v[122:123], v[114:115] op_sel:[0,1]
	v_pk_fma_f32 v[128:129], v[122:123], v[112:113], v[126:127] op_sel:[0,0,1] op_sel_hi:[1,1,0] neg_lo:[0,0,1] neg_hi:[0,0,1]
	v_pk_fma_f32 v[122:123], v[122:123], v[112:113], v[126:127] op_sel:[0,0,1] op_sel_hi:[1,0,0]
	s_delay_alu instid0(VALU_DEP_1) | instskip(SKIP_1) | instid1(VALU_DEP_1)
	v_mov_b32_e32 v129, v123
	v_pk_mul_f32 v[122:123], v[124:125], v[114:115] op_sel:[0,1]
	v_pk_fma_f32 v[126:127], v[124:125], v[112:113], v[122:123] op_sel:[0,0,1] op_sel_hi:[1,1,0] neg_lo:[0,0,1] neg_hi:[0,0,1]
	v_pk_fma_f32 v[122:123], v[124:125], v[112:113], v[122:123] op_sel:[0,0,1] op_sel_hi:[1,0,0]
	s_delay_alu instid0(VALU_DEP_1)
	v_mov_b32_e32 v127, v123
	ds_load_2addr_b64 v[122:125], v116 offset0:21 offset1:22
	v_pk_add_f32 v[78:79], v[78:79], v[128:129] neg_lo:[0,1] neg_hi:[0,1]
	v_pk_add_f32 v[76:77], v[76:77], v[126:127] neg_lo:[0,1] neg_hi:[0,1]
	s_wait_dscnt 0x0
	v_pk_mul_f32 v[126:127], v[122:123], v[114:115] op_sel:[0,1]
	s_delay_alu instid0(VALU_DEP_1) | instskip(SKIP_1) | instid1(VALU_DEP_1)
	v_pk_fma_f32 v[128:129], v[122:123], v[112:113], v[126:127] op_sel:[0,0,1] op_sel_hi:[1,1,0] neg_lo:[0,0,1] neg_hi:[0,0,1]
	v_pk_fma_f32 v[122:123], v[122:123], v[112:113], v[126:127] op_sel:[0,0,1] op_sel_hi:[1,0,0]
	v_mov_b32_e32 v129, v123
	v_pk_mul_f32 v[122:123], v[124:125], v[114:115] op_sel:[0,1]
	s_delay_alu instid0(VALU_DEP_1) | instskip(SKIP_1) | instid1(VALU_DEP_1)
	v_pk_fma_f32 v[126:127], v[124:125], v[112:113], v[122:123] op_sel:[0,0,1] op_sel_hi:[1,1,0] neg_lo:[0,0,1] neg_hi:[0,0,1]
	v_pk_fma_f32 v[122:123], v[124:125], v[112:113], v[122:123] op_sel:[0,0,1] op_sel_hi:[1,0,0]
	v_mov_b32_e32 v127, v123
	ds_load_2addr_b64 v[122:125], v116 offset0:23 offset1:24
	v_pk_add_f32 v[72:73], v[72:73], v[128:129] neg_lo:[0,1] neg_hi:[0,1]
	v_pk_add_f32 v[74:75], v[74:75], v[126:127] neg_lo:[0,1] neg_hi:[0,1]
	s_wait_dscnt 0x0
	v_dual_mul_f32 v126, v123, v115 :: v_dual_mul_f32 v128, v123, v112
	s_delay_alu instid0(VALU_DEP_1) | instskip(NEXT) | instid1(VALU_DEP_2)
	v_pk_fma_f32 v[126:127], v[122:123], v[60:61], v[126:127] op_sel_hi:[1,1,0] neg_lo:[0,0,1] neg_hi:[0,0,1]
	v_pk_fma_f32 v[122:123], v[122:123], v[60:61], v[128:129] op_sel:[1,0,0] op_sel_hi:[0,1,0]
	s_delay_alu instid0(VALU_DEP_1) | instskip(SKIP_1) | instid1(VALU_DEP_2)
	v_mov_b32_e32 v127, v123
	v_pk_mul_f32 v[122:123], v[124:125], v[114:115] op_sel:[0,1]
	v_pk_add_f32 v[70:71], v[70:71], v[126:127] neg_lo:[0,1] neg_hi:[0,1]
	s_delay_alu instid0(VALU_DEP_2) | instskip(SKIP_1) | instid1(VALU_DEP_1)
	v_pk_fma_f32 v[126:127], v[124:125], v[112:113], v[122:123] op_sel:[0,0,1] op_sel_hi:[1,1,0] neg_lo:[0,0,1] neg_hi:[0,0,1]
	v_pk_fma_f32 v[122:123], v[124:125], v[112:113], v[122:123] op_sel:[0,0,1] op_sel_hi:[1,0,0]
	v_mov_b32_e32 v127, v123
	ds_load_2addr_b64 v[122:125], v116 offset0:25 offset1:26
	v_pk_add_f32 v[68:69], v[68:69], v[126:127] neg_lo:[0,1] neg_hi:[0,1]
	s_wait_dscnt 0x0
	v_pk_mul_f32 v[126:127], v[122:123], v[114:115] op_sel:[0,1]
	s_delay_alu instid0(VALU_DEP_1) | instskip(SKIP_1) | instid1(VALU_DEP_1)
	v_pk_fma_f32 v[128:129], v[122:123], v[112:113], v[126:127] op_sel:[0,0,1] op_sel_hi:[1,1,0] neg_lo:[0,0,1] neg_hi:[0,0,1]
	v_pk_fma_f32 v[122:123], v[122:123], v[112:113], v[126:127] op_sel:[0,0,1] op_sel_hi:[1,0,0]
	v_mov_b32_e32 v129, v123
	v_pk_mul_f32 v[122:123], v[124:125], v[114:115] op_sel:[0,1]
	s_delay_alu instid0(VALU_DEP_2) | instskip(NEXT) | instid1(VALU_DEP_2)
	v_pk_add_f32 v[64:65], v[64:65], v[128:129] neg_lo:[0,1] neg_hi:[0,1]
	v_pk_fma_f32 v[126:127], v[124:125], v[112:113], v[122:123] op_sel:[0,0,1] op_sel_hi:[1,1,0] neg_lo:[0,0,1] neg_hi:[0,0,1]
	v_pk_fma_f32 v[122:123], v[124:125], v[112:113], v[122:123] op_sel:[0,0,1] op_sel_hi:[1,0,0]
	s_delay_alu instid0(VALU_DEP_1) | instskip(SKIP_4) | instid1(VALU_DEP_1)
	v_mov_b32_e32 v127, v123
	ds_load_2addr_b64 v[122:125], v116 offset0:27 offset1:28
	v_pk_add_f32 v[66:67], v[66:67], v[126:127] neg_lo:[0,1] neg_hi:[0,1]
	s_wait_dscnt 0x0
	v_pk_mul_f32 v[126:127], v[122:123], v[114:115] op_sel:[0,1]
	v_pk_fma_f32 v[128:129], v[122:123], v[112:113], v[126:127] op_sel:[0,0,1] op_sel_hi:[1,1,0] neg_lo:[0,0,1] neg_hi:[0,0,1]
	v_pk_fma_f32 v[122:123], v[122:123], v[112:113], v[126:127] op_sel:[0,0,1] op_sel_hi:[1,0,0]
	v_dual_mul_f32 v126, v125, v115 :: v_dual_mov_b32 v122, v125
	s_delay_alu instid0(VALU_DEP_2) | instskip(NEXT) | instid1(VALU_DEP_2)
	v_dual_mov_b32 v129, v123 :: v_dual_mov_b32 v123, v124
	v_pk_fma_f32 v[126:127], v[124:125], v[60:61], v[126:127] op_sel_hi:[1,1,0] neg_lo:[0,0,1] neg_hi:[0,0,1]
	v_mul_f32_e32 v124, v125, v112
	s_delay_alu instid0(VALU_DEP_3) | instskip(NEXT) | instid1(VALU_DEP_2)
	v_pk_add_f32 v[62:63], v[62:63], v[128:129] neg_lo:[0,1] neg_hi:[0,1]
	v_pk_fma_f32 v[122:123], v[122:123], v[60:61], v[124:125] op_sel_hi:[1,1,0]
	s_delay_alu instid0(VALU_DEP_1) | instskip(SKIP_4) | instid1(VALU_DEP_1)
	v_mov_b32_e32 v127, v123
	ds_load_2addr_b64 v[122:125], v116 offset0:29 offset1:30
	v_pk_add_f32 v[52:53], v[52:53], v[126:127] neg_lo:[0,1] neg_hi:[0,1]
	s_wait_dscnt 0x0
	v_pk_mul_f32 v[126:127], v[122:123], v[114:115] op_sel:[0,1]
	v_pk_fma_f32 v[128:129], v[122:123], v[112:113], v[126:127] op_sel:[0,0,1] op_sel_hi:[1,1,0] neg_lo:[0,0,1] neg_hi:[0,0,1]
	v_pk_fma_f32 v[122:123], v[122:123], v[112:113], v[126:127] op_sel:[0,0,1] op_sel_hi:[1,0,0]
	s_delay_alu instid0(VALU_DEP_1) | instskip(SKIP_1) | instid1(VALU_DEP_1)
	v_mov_b32_e32 v129, v123
	v_pk_mul_f32 v[122:123], v[124:125], v[114:115] op_sel:[0,1]
	v_pk_fma_f32 v[126:127], v[124:125], v[112:113], v[122:123] op_sel:[0,0,1] op_sel_hi:[1,1,0] neg_lo:[0,0,1] neg_hi:[0,0,1]
	v_pk_fma_f32 v[122:123], v[124:125], v[112:113], v[122:123] op_sel:[0,0,1] op_sel_hi:[1,0,0]
	s_delay_alu instid0(VALU_DEP_1)
	v_mov_b32_e32 v127, v123
	ds_load_2addr_b64 v[122:125], v116 offset0:31 offset1:32
	v_pk_add_f32 v[48:49], v[48:49], v[128:129] neg_lo:[0,1] neg_hi:[0,1]
	v_pk_add_f32 v[50:51], v[50:51], v[126:127] neg_lo:[0,1] neg_hi:[0,1]
	s_wait_dscnt 0x0
	v_pk_mul_f32 v[126:127], v[122:123], v[114:115] op_sel:[0,1]
	s_delay_alu instid0(VALU_DEP_1) | instskip(SKIP_1) | instid1(VALU_DEP_1)
	v_pk_fma_f32 v[128:129], v[122:123], v[112:113], v[126:127] op_sel:[0,0,1] op_sel_hi:[1,1,0] neg_lo:[0,0,1] neg_hi:[0,0,1]
	v_pk_fma_f32 v[122:123], v[122:123], v[112:113], v[126:127] op_sel:[0,0,1] op_sel_hi:[1,0,0]
	v_mov_b32_e32 v129, v123
	v_pk_mul_f32 v[122:123], v[124:125], v[114:115] op_sel:[0,1]
	s_delay_alu instid0(VALU_DEP_1) | instskip(SKIP_1) | instid1(VALU_DEP_1)
	v_pk_fma_f32 v[126:127], v[124:125], v[112:113], v[122:123] op_sel:[0,0,1] op_sel_hi:[1,1,0] neg_lo:[0,0,1] neg_hi:[0,0,1]
	v_pk_fma_f32 v[122:123], v[124:125], v[112:113], v[122:123] op_sel:[0,0,1] op_sel_hi:[1,0,0]
	v_mov_b32_e32 v127, v123
	ds_load_2addr_b64 v[122:125], v116 offset0:33 offset1:34
	v_pk_add_f32 v[46:47], v[46:47], v[128:129] neg_lo:[0,1] neg_hi:[0,1]
	v_pk_add_f32 v[44:45], v[44:45], v[126:127] neg_lo:[0,1] neg_hi:[0,1]
	s_wait_dscnt 0x0
	v_dual_mul_f32 v126, v123, v115 :: v_dual_mul_f32 v128, v123, v112
	s_delay_alu instid0(VALU_DEP_1) | instskip(NEXT) | instid1(VALU_DEP_2)
	v_pk_fma_f32 v[126:127], v[122:123], v[60:61], v[126:127] op_sel_hi:[1,1,0] neg_lo:[0,0,1] neg_hi:[0,0,1]
	v_pk_fma_f32 v[122:123], v[122:123], v[60:61], v[128:129] op_sel:[1,0,0] op_sel_hi:[0,1,0]
	s_delay_alu instid0(VALU_DEP_1) | instskip(SKIP_1) | instid1(VALU_DEP_2)
	v_mov_b32_e32 v127, v123
	v_pk_mul_f32 v[122:123], v[124:125], v[114:115] op_sel:[0,1]
	v_pk_add_f32 v[40:41], v[40:41], v[126:127] neg_lo:[0,1] neg_hi:[0,1]
	s_delay_alu instid0(VALU_DEP_2) | instskip(SKIP_1) | instid1(VALU_DEP_1)
	v_pk_fma_f32 v[126:127], v[124:125], v[112:113], v[122:123] op_sel:[0,0,1] op_sel_hi:[1,1,0] neg_lo:[0,0,1] neg_hi:[0,0,1]
	v_pk_fma_f32 v[122:123], v[124:125], v[112:113], v[122:123] op_sel:[0,0,1] op_sel_hi:[1,0,0]
	v_mov_b32_e32 v127, v123
	ds_load_2addr_b64 v[122:125], v116 offset0:35 offset1:36
	v_pk_add_f32 v[42:43], v[42:43], v[126:127] neg_lo:[0,1] neg_hi:[0,1]
	s_wait_dscnt 0x0
	v_pk_mul_f32 v[126:127], v[122:123], v[114:115] op_sel:[0,1]
	s_delay_alu instid0(VALU_DEP_1) | instskip(SKIP_1) | instid1(VALU_DEP_1)
	v_pk_fma_f32 v[128:129], v[122:123], v[112:113], v[126:127] op_sel:[0,0,1] op_sel_hi:[1,1,0] neg_lo:[0,0,1] neg_hi:[0,0,1]
	v_pk_fma_f32 v[122:123], v[122:123], v[112:113], v[126:127] op_sel:[0,0,1] op_sel_hi:[1,0,0]
	v_mov_b32_e32 v129, v123
	v_pk_mul_f32 v[122:123], v[124:125], v[114:115] op_sel:[0,1]
	s_delay_alu instid0(VALU_DEP_2) | instskip(NEXT) | instid1(VALU_DEP_2)
	v_pk_add_f32 v[38:39], v[38:39], v[128:129] neg_lo:[0,1] neg_hi:[0,1]
	v_pk_fma_f32 v[126:127], v[124:125], v[112:113], v[122:123] op_sel:[0,0,1] op_sel_hi:[1,1,0] neg_lo:[0,0,1] neg_hi:[0,0,1]
	v_pk_fma_f32 v[122:123], v[124:125], v[112:113], v[122:123] op_sel:[0,0,1] op_sel_hi:[1,0,0]
	s_delay_alu instid0(VALU_DEP_1) | instskip(SKIP_4) | instid1(VALU_DEP_1)
	v_mov_b32_e32 v127, v123
	ds_load_2addr_b64 v[122:125], v116 offset0:37 offset1:38
	v_pk_add_f32 v[36:37], v[36:37], v[126:127] neg_lo:[0,1] neg_hi:[0,1]
	s_wait_dscnt 0x0
	v_pk_mul_f32 v[126:127], v[122:123], v[114:115] op_sel:[0,1]
	v_pk_fma_f32 v[128:129], v[122:123], v[112:113], v[126:127] op_sel:[0,0,1] op_sel_hi:[1,1,0] neg_lo:[0,0,1] neg_hi:[0,0,1]
	v_pk_fma_f32 v[122:123], v[122:123], v[112:113], v[126:127] op_sel:[0,0,1] op_sel_hi:[1,0,0]
	v_dual_mul_f32 v126, v125, v115 :: v_dual_mov_b32 v122, v125
	s_delay_alu instid0(VALU_DEP_2) | instskip(NEXT) | instid1(VALU_DEP_2)
	v_dual_mov_b32 v129, v123 :: v_dual_mov_b32 v123, v124
	v_pk_fma_f32 v[126:127], v[124:125], v[60:61], v[126:127] op_sel_hi:[1,1,0] neg_lo:[0,0,1] neg_hi:[0,0,1]
	v_mul_f32_e32 v124, v125, v112
	s_delay_alu instid0(VALU_DEP_3) | instskip(NEXT) | instid1(VALU_DEP_2)
	v_pk_add_f32 v[32:33], v[32:33], v[128:129] neg_lo:[0,1] neg_hi:[0,1]
	v_pk_fma_f32 v[122:123], v[122:123], v[60:61], v[124:125] op_sel_hi:[1,1,0]
	s_delay_alu instid0(VALU_DEP_1) | instskip(SKIP_4) | instid1(VALU_DEP_1)
	v_mov_b32_e32 v127, v123
	ds_load_2addr_b64 v[122:125], v116 offset0:39 offset1:40
	v_pk_add_f32 v[34:35], v[34:35], v[126:127] neg_lo:[0,1] neg_hi:[0,1]
	s_wait_dscnt 0x0
	v_pk_mul_f32 v[126:127], v[122:123], v[114:115] op_sel:[0,1]
	v_pk_fma_f32 v[128:129], v[122:123], v[112:113], v[126:127] op_sel:[0,0,1] op_sel_hi:[1,1,0] neg_lo:[0,0,1] neg_hi:[0,0,1]
	v_pk_fma_f32 v[122:123], v[122:123], v[112:113], v[126:127] op_sel:[0,0,1] op_sel_hi:[1,0,0]
	s_delay_alu instid0(VALU_DEP_1) | instskip(SKIP_1) | instid1(VALU_DEP_1)
	v_mov_b32_e32 v129, v123
	v_pk_mul_f32 v[122:123], v[124:125], v[114:115] op_sel:[0,1]
	v_pk_fma_f32 v[126:127], v[124:125], v[112:113], v[122:123] op_sel:[0,0,1] op_sel_hi:[1,1,0] neg_lo:[0,0,1] neg_hi:[0,0,1]
	v_pk_fma_f32 v[122:123], v[124:125], v[112:113], v[122:123] op_sel:[0,0,1] op_sel_hi:[1,0,0]
	s_delay_alu instid0(VALU_DEP_1)
	v_mov_b32_e32 v127, v123
	ds_load_2addr_b64 v[122:125], v116 offset0:41 offset1:42
	v_pk_add_f32 v[30:31], v[30:31], v[128:129] neg_lo:[0,1] neg_hi:[0,1]
	v_pk_add_f32 v[26:27], v[26:27], v[126:127] neg_lo:[0,1] neg_hi:[0,1]
	s_wait_dscnt 0x0
	v_pk_mul_f32 v[126:127], v[122:123], v[114:115] op_sel:[0,1]
	s_delay_alu instid0(VALU_DEP_1) | instskip(SKIP_1) | instid1(VALU_DEP_1)
	v_pk_fma_f32 v[128:129], v[122:123], v[112:113], v[126:127] op_sel:[0,0,1] op_sel_hi:[1,1,0] neg_lo:[0,0,1] neg_hi:[0,0,1]
	v_pk_fma_f32 v[122:123], v[122:123], v[112:113], v[126:127] op_sel:[0,0,1] op_sel_hi:[1,0,0]
	v_mov_b32_e32 v129, v123
	v_pk_mul_f32 v[122:123], v[124:125], v[114:115] op_sel:[0,1]
	s_delay_alu instid0(VALU_DEP_1) | instskip(SKIP_1) | instid1(VALU_DEP_1)
	v_pk_fma_f32 v[126:127], v[124:125], v[112:113], v[122:123] op_sel:[0,0,1] op_sel_hi:[1,1,0] neg_lo:[0,0,1] neg_hi:[0,0,1]
	v_pk_fma_f32 v[122:123], v[124:125], v[112:113], v[122:123] op_sel:[0,0,1] op_sel_hi:[1,0,0]
	v_mov_b32_e32 v127, v123
	ds_load_2addr_b64 v[122:125], v116 offset0:43 offset1:44
	v_pk_add_f32 v[22:23], v[22:23], v[128:129] neg_lo:[0,1] neg_hi:[0,1]
	v_pk_add_f32 v[24:25], v[24:25], v[126:127] neg_lo:[0,1] neg_hi:[0,1]
	s_wait_dscnt 0x0
	v_dual_mul_f32 v126, v123, v115 :: v_dual_mul_f32 v128, v123, v112
	s_delay_alu instid0(VALU_DEP_1) | instskip(NEXT) | instid1(VALU_DEP_2)
	v_pk_fma_f32 v[126:127], v[122:123], v[60:61], v[126:127] op_sel_hi:[1,1,0] neg_lo:[0,0,1] neg_hi:[0,0,1]
	v_pk_fma_f32 v[122:123], v[122:123], v[60:61], v[128:129] op_sel:[1,0,0] op_sel_hi:[0,1,0]
	s_delay_alu instid0(VALU_DEP_1) | instskip(SKIP_1) | instid1(VALU_DEP_2)
	v_mov_b32_e32 v127, v123
	v_pk_mul_f32 v[122:123], v[124:125], v[114:115] op_sel:[0,1]
	v_pk_add_f32 v[20:21], v[20:21], v[126:127] neg_lo:[0,1] neg_hi:[0,1]
	s_delay_alu instid0(VALU_DEP_2) | instskip(SKIP_1) | instid1(VALU_DEP_1)
	v_pk_fma_f32 v[126:127], v[124:125], v[112:113], v[122:123] op_sel:[0,0,1] op_sel_hi:[1,1,0] neg_lo:[0,0,1] neg_hi:[0,0,1]
	v_pk_fma_f32 v[122:123], v[124:125], v[112:113], v[122:123] op_sel:[0,0,1] op_sel_hi:[1,0,0]
	v_mov_b32_e32 v127, v123
	ds_load_2addr_b64 v[122:125], v116 offset0:45 offset1:46
	v_pk_add_f32 v[14:15], v[14:15], v[126:127] neg_lo:[0,1] neg_hi:[0,1]
	s_wait_dscnt 0x0
	v_pk_mul_f32 v[126:127], v[122:123], v[114:115] op_sel:[0,1]
	s_delay_alu instid0(VALU_DEP_1) | instskip(SKIP_1) | instid1(VALU_DEP_1)
	v_pk_fma_f32 v[128:129], v[122:123], v[112:113], v[126:127] op_sel:[0,0,1] op_sel_hi:[1,1,0] neg_lo:[0,0,1] neg_hi:[0,0,1]
	v_pk_fma_f32 v[122:123], v[122:123], v[112:113], v[126:127] op_sel:[0,0,1] op_sel_hi:[1,0,0]
	v_mov_b32_e32 v129, v123
	v_pk_mul_f32 v[122:123], v[124:125], v[114:115] op_sel:[0,1]
	s_delay_alu instid0(VALU_DEP_2) | instskip(NEXT) | instid1(VALU_DEP_2)
	v_pk_add_f32 v[10:11], v[10:11], v[128:129] neg_lo:[0,1] neg_hi:[0,1]
	v_pk_fma_f32 v[126:127], v[124:125], v[112:113], v[122:123] op_sel:[0,0,1] op_sel_hi:[1,1,0] neg_lo:[0,0,1] neg_hi:[0,0,1]
	v_pk_fma_f32 v[122:123], v[124:125], v[112:113], v[122:123] op_sel:[0,0,1] op_sel_hi:[1,0,0]
	s_delay_alu instid0(VALU_DEP_1) | instskip(SKIP_4) | instid1(VALU_DEP_1)
	v_mov_b32_e32 v127, v123
	ds_load_2addr_b64 v[122:125], v116 offset0:47 offset1:48
	v_pk_add_f32 v[12:13], v[12:13], v[126:127] neg_lo:[0,1] neg_hi:[0,1]
	s_wait_dscnt 0x0
	v_pk_mul_f32 v[126:127], v[122:123], v[114:115] op_sel:[0,1]
	v_pk_fma_f32 v[128:129], v[122:123], v[112:113], v[126:127] op_sel:[0,0,1] op_sel_hi:[1,1,0] neg_lo:[0,0,1] neg_hi:[0,0,1]
	v_pk_fma_f32 v[122:123], v[122:123], v[112:113], v[126:127] op_sel:[0,0,1] op_sel_hi:[1,0,0]
	v_dual_mul_f32 v126, v125, v115 :: v_dual_mov_b32 v122, v125
	s_delay_alu instid0(VALU_DEP_2) | instskip(NEXT) | instid1(VALU_DEP_2)
	v_dual_mov_b32 v129, v123 :: v_dual_mov_b32 v123, v124
	v_pk_fma_f32 v[126:127], v[124:125], v[60:61], v[126:127] op_sel_hi:[1,1,0] neg_lo:[0,0,1] neg_hi:[0,0,1]
	v_mul_f32_e32 v124, v125, v112
	s_delay_alu instid0(VALU_DEP_3) | instskip(NEXT) | instid1(VALU_DEP_2)
	v_pk_add_f32 v[8:9], v[8:9], v[128:129] neg_lo:[0,1] neg_hi:[0,1]
	v_pk_fma_f32 v[122:123], v[122:123], v[60:61], v[124:125] op_sel_hi:[1,1,0]
	s_delay_alu instid0(VALU_DEP_1) | instskip(SKIP_4) | instid1(VALU_DEP_1)
	v_mov_b32_e32 v127, v123
	ds_load_2addr_b64 v[122:125], v116 offset0:49 offset1:50
	v_pk_add_f32 v[6:7], v[6:7], v[126:127] neg_lo:[0,1] neg_hi:[0,1]
	s_wait_dscnt 0x0
	v_pk_mul_f32 v[126:127], v[122:123], v[114:115] op_sel:[0,1]
	v_pk_fma_f32 v[128:129], v[122:123], v[112:113], v[126:127] op_sel:[0,0,1] op_sel_hi:[1,1,0] neg_lo:[0,0,1] neg_hi:[0,0,1]
	v_pk_fma_f32 v[122:123], v[122:123], v[112:113], v[126:127] op_sel:[0,0,1] op_sel_hi:[1,0,0]
	s_delay_alu instid0(VALU_DEP_1) | instskip(SKIP_1) | instid1(VALU_DEP_1)
	v_mov_b32_e32 v129, v123
	v_pk_mul_f32 v[122:123], v[124:125], v[114:115] op_sel:[0,1]
	v_pk_fma_f32 v[126:127], v[124:125], v[112:113], v[122:123] op_sel:[0,0,1] op_sel_hi:[1,1,0] neg_lo:[0,0,1] neg_hi:[0,0,1]
	v_pk_fma_f32 v[122:123], v[124:125], v[112:113], v[122:123] op_sel:[0,0,1] op_sel_hi:[1,0,0]
	s_delay_alu instid0(VALU_DEP_1)
	v_mov_b32_e32 v127, v123
	ds_load_2addr_b64 v[122:125], v116 offset0:51 offset1:52
	v_pk_add_f32 v[28:29], v[28:29], v[128:129] neg_lo:[0,1] neg_hi:[0,1]
	v_pk_add_f32 v[18:19], v[18:19], v[126:127] neg_lo:[0,1] neg_hi:[0,1]
	s_wait_dscnt 0x0
	v_pk_mul_f32 v[126:127], v[122:123], v[114:115] op_sel:[0,1]
	v_mul_f32_e32 v114, v125, v115
	s_delay_alu instid0(VALU_DEP_2) | instskip(SKIP_2) | instid1(VALU_DEP_4)
	v_pk_fma_f32 v[128:129], v[122:123], v[112:113], v[126:127] op_sel:[0,0,1] op_sel_hi:[1,1,0] neg_lo:[0,0,1] neg_hi:[0,0,1]
	v_pk_fma_f32 v[122:123], v[122:123], v[112:113], v[126:127] op_sel:[0,0,1] op_sel_hi:[1,0,0]
	v_dual_mov_b32 v122, v125 :: v_dual_mul_f32 v112, v125, v112
	v_pk_fma_f32 v[114:115], v[124:125], v[60:61], v[114:115] op_sel_hi:[1,1,0] neg_lo:[0,0,1] neg_hi:[0,0,1]
	s_delay_alu instid0(VALU_DEP_3) | instskip(NEXT) | instid1(VALU_DEP_1)
	v_dual_mov_b32 v129, v123 :: v_dual_mov_b32 v123, v124
	v_pk_add_f32 v[16:17], v[16:17], v[128:129] neg_lo:[0,1] neg_hi:[0,1]
	s_delay_alu instid0(VALU_DEP_2) | instskip(NEXT) | instid1(VALU_DEP_1)
	v_pk_fma_f32 v[112:113], v[122:123], v[60:61], v[112:113] op_sel_hi:[1,1,0]
	v_mov_b32_e32 v115, v113
	s_delay_alu instid0(VALU_DEP_1)
	v_pk_add_f32 v[110:111], v[110:111], v[114:115] neg_lo:[0,1] neg_hi:[0,1]
.LBB104_104:
	s_or_b32 exec_lo, exec_lo, s0
	v_lshl_add_u32 v112, v120, 3, v116
	s_barrier_signal -1
	s_barrier_wait -1
	ds_store_b64 v112, v[56:57]
	s_wait_dscnt 0x0
	s_barrier_signal -1
	s_barrier_wait -1
	ds_load_b64 v[114:115], v116 offset:40
	v_mov_b32_e32 v112, 5
	s_cmp_lt_i32 s18, 7
	s_cbranch_scc1 .LBB104_107
; %bb.105:
	v_add3_u32 v113, v117, 0, 48
	v_mov_b32_e32 v112, 5
	s_mov_b32 s0, 6
.LBB104_106:                            ; =>This Inner Loop Header: Depth=1
	ds_load_b64 v[122:123], v113
	s_wait_dscnt 0x1
	v_cmp_gt_f32_e32 vcc_lo, 0, v114
	v_cndmask_b32_e64 v124, v114, -v114, vcc_lo
	v_cmp_gt_f32_e32 vcc_lo, 0, v115
	v_cndmask_b32_e64 v126, v115, -v115, vcc_lo
	s_wait_dscnt 0x0
	v_cmp_gt_f32_e32 vcc_lo, 0, v122
	v_cndmask_b32_e64 v125, v122, -v122, vcc_lo
	v_cmp_gt_f32_e32 vcc_lo, 0, v123
	v_cndmask_b32_e64 v127, v123, -v123, vcc_lo
	s_delay_alu instid0(VALU_DEP_1) | instskip(NEXT) | instid1(VALU_DEP_1)
	v_pk_add_f32 v[124:125], v[124:125], v[126:127]
	v_cmp_lt_f32_e32 vcc_lo, v124, v125
	v_dual_add_nc_u32 v113, 8, v113 :: v_dual_cndmask_b32 v115, v115, v123, vcc_lo
	v_cndmask_b32_e32 v114, v114, v122, vcc_lo
	v_cndmask_b32_e64 v112, v112, s0, vcc_lo
	s_add_co_i32 s0, s0, 1
	s_delay_alu instid0(SALU_CYCLE_1)
	s_cmp_lg_u32 s18, s0
	s_cbranch_scc1 .LBB104_106
.LBB104_107:
	s_wait_dscnt 0x0
	v_cmp_eq_f32_e32 vcc_lo, 0, v114
	v_cmp_eq_f32_e64 s0, 0, v115
	s_and_b32 s0, vcc_lo, s0
	s_delay_alu instid0(SALU_CYCLE_1) | instskip(NEXT) | instid1(SALU_CYCLE_1)
	s_and_saveexec_b32 s1, s0
	s_xor_b32 s0, exec_lo, s1
; %bb.108:
	v_cmp_ne_u32_e32 vcc_lo, 0, v118
	v_cndmask_b32_e32 v118, 6, v118, vcc_lo
; %bb.109:
	s_and_not1_saveexec_b32 s0, s0
	s_cbranch_execz .LBB104_115
; %bb.110:
	v_cmp_ngt_f32_e64 s1, |v114|, |v115|
	s_and_saveexec_b32 s12, s1
	s_delay_alu instid0(SALU_CYCLE_1)
	s_xor_b32 s1, exec_lo, s12
	s_cbranch_execz .LBB104_112
; %bb.111:
	v_div_scale_f32 v113, null, v115, v115, v114
	v_div_scale_f32 v123, vcc_lo, v114, v115, v114
	s_delay_alu instid0(VALU_DEP_2) | instskip(SKIP_1) | instid1(TRANS32_DEP_1)
	v_rcp_f32_e32 v121, v113
	v_nop
	v_fma_f32 v122, -v113, v121, 1.0
	s_delay_alu instid0(VALU_DEP_1) | instskip(NEXT) | instid1(VALU_DEP_1)
	v_fmac_f32_e32 v121, v122, v121
	v_mul_f32_e32 v122, v123, v121
	s_delay_alu instid0(VALU_DEP_1) | instskip(NEXT) | instid1(VALU_DEP_1)
	v_fma_f32 v124, -v113, v122, v123
	v_fmac_f32_e32 v122, v124, v121
	s_delay_alu instid0(VALU_DEP_1) | instskip(NEXT) | instid1(VALU_DEP_1)
	v_fma_f32 v113, -v113, v122, v123
	v_div_fmas_f32 v113, v113, v121, v122
	s_delay_alu instid0(VALU_DEP_1) | instskip(NEXT) | instid1(VALU_DEP_1)
	v_div_fixup_f32 v113, v113, v115, v114
	v_fmac_f32_e32 v115, v114, v113
	s_delay_alu instid0(VALU_DEP_1) | instskip(SKIP_1) | instid1(VALU_DEP_2)
	v_div_scale_f32 v114, null, v115, v115, 1.0
	v_div_scale_f32 v123, vcc_lo, 1.0, v115, 1.0
	v_rcp_f32_e32 v121, v114
	v_nop
	s_delay_alu instid0(TRANS32_DEP_1) | instskip(NEXT) | instid1(VALU_DEP_1)
	v_fma_f32 v122, -v114, v121, 1.0
	v_fmac_f32_e32 v121, v122, v121
	s_delay_alu instid0(VALU_DEP_1) | instskip(NEXT) | instid1(VALU_DEP_1)
	v_mul_f32_e32 v122, v123, v121
	v_fma_f32 v124, -v114, v122, v123
	s_delay_alu instid0(VALU_DEP_1) | instskip(NEXT) | instid1(VALU_DEP_1)
	v_fmac_f32_e32 v122, v124, v121
	v_fma_f32 v114, -v114, v122, v123
	s_delay_alu instid0(VALU_DEP_1) | instskip(NEXT) | instid1(VALU_DEP_1)
	v_div_fmas_f32 v114, v114, v121, v122
	v_div_fixup_f32 v115, v114, v115, 1.0
	s_delay_alu instid0(VALU_DEP_1)
	v_mul_f32_e32 v114, v113, v115
	v_xor_b32_e32 v115, 0x80000000, v115
.LBB104_112:
	s_and_not1_saveexec_b32 s1, s1
	s_cbranch_execz .LBB104_114
; %bb.113:
	s_delay_alu instid0(VALU_DEP_1) | instskip(SKIP_1) | instid1(VALU_DEP_2)
	v_div_scale_f32 v113, null, v114, v114, v115
	v_div_scale_f32 v123, vcc_lo, v115, v114, v115
	v_rcp_f32_e32 v121, v113
	v_nop
	s_delay_alu instid0(TRANS32_DEP_1) | instskip(NEXT) | instid1(VALU_DEP_1)
	v_fma_f32 v122, -v113, v121, 1.0
	v_fmac_f32_e32 v121, v122, v121
	s_delay_alu instid0(VALU_DEP_1) | instskip(NEXT) | instid1(VALU_DEP_1)
	v_mul_f32_e32 v122, v123, v121
	v_fma_f32 v124, -v113, v122, v123
	s_delay_alu instid0(VALU_DEP_1) | instskip(NEXT) | instid1(VALU_DEP_1)
	v_fmac_f32_e32 v122, v124, v121
	v_fma_f32 v113, -v113, v122, v123
	s_delay_alu instid0(VALU_DEP_1) | instskip(NEXT) | instid1(VALU_DEP_1)
	v_div_fmas_f32 v113, v113, v121, v122
	v_div_fixup_f32 v113, v113, v114, v115
	s_delay_alu instid0(VALU_DEP_1) | instskip(NEXT) | instid1(VALU_DEP_1)
	v_fmac_f32_e32 v114, v115, v113
	v_div_scale_f32 v115, null, v114, v114, 1.0
	s_delay_alu instid0(VALU_DEP_1) | instskip(SKIP_1) | instid1(TRANS32_DEP_1)
	v_rcp_f32_e32 v121, v115
	v_nop
	v_fma_f32 v122, -v115, v121, 1.0
	s_delay_alu instid0(VALU_DEP_1) | instskip(SKIP_1) | instid1(VALU_DEP_1)
	v_fmac_f32_e32 v121, v122, v121
	v_div_scale_f32 v122, vcc_lo, 1.0, v114, 1.0
	v_mul_f32_e32 v123, v122, v121
	s_delay_alu instid0(VALU_DEP_1) | instskip(NEXT) | instid1(VALU_DEP_1)
	v_fma_f32 v124, -v115, v123, v122
	v_fmac_f32_e32 v123, v124, v121
	s_delay_alu instid0(VALU_DEP_1) | instskip(NEXT) | instid1(VALU_DEP_1)
	v_fma_f32 v115, -v115, v123, v122
	v_div_fmas_f32 v115, v115, v121, v123
	s_delay_alu instid0(VALU_DEP_1) | instskip(NEXT) | instid1(VALU_DEP_1)
	v_div_fixup_f32 v114, v115, v114, 1.0
	v_mul_f32_e64 v115, v113, -v114
.LBB104_114:
	s_or_b32 exec_lo, exec_lo, s1
.LBB104_115:
	s_delay_alu instid0(SALU_CYCLE_1) | instskip(NEXT) | instid1(SALU_CYCLE_1)
	s_or_b32 exec_lo, exec_lo, s0
	s_mov_b32 s0, exec_lo
	v_cmpx_ne_u32_e64 v120, v112
	s_xor_b32 s0, exec_lo, s0
	s_cbranch_execz .LBB104_121
; %bb.116:
	s_mov_b32 s1, exec_lo
	v_cmpx_eq_u32_e32 5, v120
	s_cbranch_execz .LBB104_120
; %bb.117:
	v_cmp_ne_u32_e32 vcc_lo, 5, v112
	s_xor_b32 s12, s16, -1
	s_delay_alu instid0(SALU_CYCLE_1) | instskip(NEXT) | instid1(SALU_CYCLE_1)
	s_and_b32 s13, s12, vcc_lo
	s_and_saveexec_b32 s12, s13
	s_cbranch_execz .LBB104_119
; %bb.118:
	v_ashrrev_i32_e32 v113, 31, v112
	s_delay_alu instid0(VALU_DEP_1)
	v_lshl_add_u64 v[120:121], v[112:113], 2, v[4:5]
	s_clause 0x1
	global_load_b32 v113, v[120:121], off
	global_load_b32 v119, v[4:5], off offset:20
	s_wait_loadcnt 0x1
	global_store_b32 v[4:5], v113, off offset:20
	s_wait_loadcnt 0x0
	global_store_b32 v[120:121], v119, off
.LBB104_119:
	s_wait_xcnt 0x0
	s_or_b32 exec_lo, exec_lo, s12
	v_dual_mov_b32 v120, v112 :: v_dual_mov_b32 v119, v112
.LBB104_120:
	s_or_b32 exec_lo, exec_lo, s1
.LBB104_121:
	s_and_not1_saveexec_b32 s0, s0
	s_cbranch_execz .LBB104_123
; %bb.122:
	v_dual_mov_b32 v112, v58 :: v_dual_mov_b32 v113, v59
	v_dual_mov_b32 v120, v54 :: v_dual_mov_b32 v121, v55
	v_dual_mov_b32 v122, v100 :: v_dual_mov_b32 v123, v101
	v_dual_mov_b32 v124, v96 :: v_dual_mov_b32 v125, v97
	v_dual_mov_b32 v126, v98 :: v_dual_mov_b32 v127, v99
	v_dual_mov_b32 v128, v94 :: v_dual_mov_b32 v129, v95
	v_dual_mov_b32 v130, v92 :: v_dual_mov_b32 v131, v93
	v_dual_mov_b32 v132, v88 :: v_dual_mov_b32 v133, v89
	v_dual_mov_b32 v134, v90 :: v_dual_mov_b32 v135, v91
	v_dual_mov_b32 v136, v86 :: v_dual_mov_b32 v137, v87
	v_dual_mov_b32 v138, v84 :: v_dual_mov_b32 v139, v85
	v_dual_mov_b32 v140, v80 :: v_dual_mov_b32 v141, v81
	ds_store_2addr_b64 v116, v[112:113], v[120:121] offset0:6 offset1:7
	ds_store_2addr_b64 v116, v[122:123], v[124:125] offset0:8 offset1:9
	ds_store_2addr_b64 v116, v[126:127], v[128:129] offset0:10 offset1:11
	ds_store_2addr_b64 v116, v[130:131], v[132:133] offset0:12 offset1:13
	ds_store_2addr_b64 v116, v[134:135], v[136:137] offset0:14 offset1:15
	ds_store_2addr_b64 v116, v[138:139], v[140:141] offset0:16 offset1:17
	v_dual_mov_b32 v112, v82 :: v_dual_mov_b32 v113, v83
	v_dual_mov_b32 v120, v78 :: v_dual_mov_b32 v121, v79
	v_dual_mov_b32 v122, v76 :: v_dual_mov_b32 v123, v77
	v_dual_mov_b32 v124, v72 :: v_dual_mov_b32 v125, v73
	v_dual_mov_b32 v126, v74 :: v_dual_mov_b32 v127, v75
	v_dual_mov_b32 v128, v70 :: v_dual_mov_b32 v129, v71
	v_dual_mov_b32 v130, v68 :: v_dual_mov_b32 v131, v69
	v_dual_mov_b32 v132, v64 :: v_dual_mov_b32 v133, v65
	v_dual_mov_b32 v134, v66 :: v_dual_mov_b32 v135, v67
	v_dual_mov_b32 v136, v62 :: v_dual_mov_b32 v137, v63
	v_dual_mov_b32 v138, v52 :: v_dual_mov_b32 v139, v53
	v_dual_mov_b32 v140, v48 :: v_dual_mov_b32 v141, v49
	ds_store_2addr_b64 v116, v[112:113], v[120:121] offset0:18 offset1:19
	ds_store_2addr_b64 v116, v[122:123], v[124:125] offset0:20 offset1:21
	ds_store_2addr_b64 v116, v[126:127], v[128:129] offset0:22 offset1:23
	ds_store_2addr_b64 v116, v[130:131], v[132:133] offset0:24 offset1:25
	ds_store_2addr_b64 v116, v[134:135], v[136:137] offset0:26 offset1:27
	ds_store_2addr_b64 v116, v[138:139], v[140:141] offset0:28 offset1:29
	;; [unrolled: 18-line block ×3, first 2 shown]
	v_dual_mov_b32 v112, v24 :: v_dual_mov_b32 v113, v25
	v_dual_mov_b32 v120, v20 :: v_dual_mov_b32 v121, v21
	;; [unrolled: 1-line block ×6, first 2 shown]
	ds_store_2addr_b64 v116, v[112:113], v[120:121] offset0:42 offset1:43
	ds_store_2addr_b64 v116, v[122:123], v[124:125] offset0:44 offset1:45
	v_dual_mov_b32 v120, 5 :: v_dual_mov_b32 v130, v6
	v_dual_mov_b32 v131, v7 :: v_dual_mov_b32 v132, v28
	;; [unrolled: 1-line block ×4, first 2 shown]
	v_mov_b32_e32 v137, v17
	ds_store_2addr_b64 v116, v[126:127], v[128:129] offset0:46 offset1:47
	ds_store_2addr_b64 v116, v[130:131], v[132:133] offset0:48 offset1:49
	;; [unrolled: 1-line block ×3, first 2 shown]
	ds_store_b64 v116, v[110:111] offset:416
.LBB104_123:
	s_or_b32 exec_lo, exec_lo, s0
	s_delay_alu instid0(SALU_CYCLE_1)
	s_mov_b32 s0, exec_lo
	s_wait_storecnt_dscnt 0x0
	s_barrier_signal -1
	s_barrier_wait -1
	v_cmpx_lt_i32_e32 5, v120
	s_cbranch_execz .LBB104_125
; %bb.124:
	v_pk_mul_f32 v[122:123], v[114:115], v[56:57] op_sel:[1,1] op_sel_hi:[0,1]
	s_delay_alu instid0(VALU_DEP_1)
	v_pk_fma_f32 v[112:113], v[114:115], v[56:57], v[122:123] op_sel_hi:[1,0,1] neg_lo:[0,0,1] neg_hi:[0,0,1]
	v_pk_fma_f32 v[114:115], v[114:115], v[56:57], v[122:123] op_sel_hi:[1,0,1]
	ds_load_2addr_b64 v[122:125], v116 offset0:6 offset1:7
	v_dual_mov_b32 v56, v112 :: v_dual_mov_b32 v57, v115
	s_wait_dscnt 0x0
	v_pk_mul_f32 v[126:127], v[122:123], v[114:115] op_sel:[0,1]
	s_delay_alu instid0(VALU_DEP_1) | instskip(SKIP_1) | instid1(VALU_DEP_1)
	v_pk_fma_f32 v[128:129], v[122:123], v[112:113], v[126:127] op_sel:[0,0,1] op_sel_hi:[1,1,0] neg_lo:[0,0,1] neg_hi:[0,0,1]
	v_pk_fma_f32 v[122:123], v[122:123], v[112:113], v[126:127] op_sel:[0,0,1] op_sel_hi:[1,0,0]
	v_mov_b32_e32 v129, v123
	v_pk_mul_f32 v[122:123], v[124:125], v[114:115] op_sel:[0,1]
	s_delay_alu instid0(VALU_DEP_1) | instskip(SKIP_1) | instid1(VALU_DEP_1)
	v_pk_fma_f32 v[126:127], v[124:125], v[112:113], v[122:123] op_sel:[0,0,1] op_sel_hi:[1,1,0] neg_lo:[0,0,1] neg_hi:[0,0,1]
	v_pk_fma_f32 v[122:123], v[124:125], v[112:113], v[122:123] op_sel:[0,0,1] op_sel_hi:[1,0,0]
	v_mov_b32_e32 v127, v123
	ds_load_2addr_b64 v[122:125], v116 offset0:8 offset1:9
	v_pk_add_f32 v[58:59], v[58:59], v[128:129] neg_lo:[0,1] neg_hi:[0,1]
	v_pk_add_f32 v[54:55], v[54:55], v[126:127] neg_lo:[0,1] neg_hi:[0,1]
	s_wait_dscnt 0x0
	v_pk_mul_f32 v[126:127], v[122:123], v[114:115] op_sel:[0,1]
	s_delay_alu instid0(VALU_DEP_1) | instskip(SKIP_2) | instid1(VALU_DEP_2)
	v_pk_fma_f32 v[128:129], v[122:123], v[112:113], v[126:127] op_sel:[0,0,1] op_sel_hi:[1,1,0] neg_lo:[0,0,1] neg_hi:[0,0,1]
	v_pk_fma_f32 v[122:123], v[122:123], v[112:113], v[126:127] op_sel:[0,0,1] op_sel_hi:[1,0,0]
	v_dual_mul_f32 v126, v125, v115 :: v_dual_mov_b32 v122, v125
	v_dual_mov_b32 v129, v123 :: v_dual_mov_b32 v123, v124
	s_delay_alu instid0(VALU_DEP_2) | instskip(SKIP_1) | instid1(VALU_DEP_3)
	v_pk_fma_f32 v[126:127], v[124:125], v[56:57], v[126:127] op_sel_hi:[1,1,0] neg_lo:[0,0,1] neg_hi:[0,0,1]
	v_mul_f32_e32 v124, v125, v112
	v_pk_add_f32 v[100:101], v[100:101], v[128:129] neg_lo:[0,1] neg_hi:[0,1]
	s_delay_alu instid0(VALU_DEP_2) | instskip(NEXT) | instid1(VALU_DEP_1)
	v_pk_fma_f32 v[122:123], v[122:123], v[56:57], v[124:125] op_sel_hi:[1,1,0]
	v_mov_b32_e32 v127, v123
	ds_load_2addr_b64 v[122:125], v116 offset0:10 offset1:11
	v_pk_add_f32 v[96:97], v[96:97], v[126:127] neg_lo:[0,1] neg_hi:[0,1]
	s_wait_dscnt 0x0
	v_pk_mul_f32 v[126:127], v[122:123], v[114:115] op_sel:[0,1]
	s_delay_alu instid0(VALU_DEP_1) | instskip(SKIP_1) | instid1(VALU_DEP_1)
	v_pk_fma_f32 v[128:129], v[122:123], v[112:113], v[126:127] op_sel:[0,0,1] op_sel_hi:[1,1,0] neg_lo:[0,0,1] neg_hi:[0,0,1]
	v_pk_fma_f32 v[122:123], v[122:123], v[112:113], v[126:127] op_sel:[0,0,1] op_sel_hi:[1,0,0]
	v_mov_b32_e32 v129, v123
	v_pk_mul_f32 v[122:123], v[124:125], v[114:115] op_sel:[0,1]
	s_delay_alu instid0(VALU_DEP_1) | instskip(SKIP_1) | instid1(VALU_DEP_1)
	v_pk_fma_f32 v[126:127], v[124:125], v[112:113], v[122:123] op_sel:[0,0,1] op_sel_hi:[1,1,0] neg_lo:[0,0,1] neg_hi:[0,0,1]
	v_pk_fma_f32 v[122:123], v[124:125], v[112:113], v[122:123] op_sel:[0,0,1] op_sel_hi:[1,0,0]
	v_mov_b32_e32 v127, v123
	ds_load_2addr_b64 v[122:125], v116 offset0:12 offset1:13
	v_pk_add_f32 v[98:99], v[98:99], v[128:129] neg_lo:[0,1] neg_hi:[0,1]
	v_pk_add_f32 v[94:95], v[94:95], v[126:127] neg_lo:[0,1] neg_hi:[0,1]
	s_wait_dscnt 0x0
	v_pk_mul_f32 v[126:127], v[122:123], v[114:115] op_sel:[0,1]
	s_delay_alu instid0(VALU_DEP_1) | instskip(SKIP_1) | instid1(VALU_DEP_1)
	v_pk_fma_f32 v[128:129], v[122:123], v[112:113], v[126:127] op_sel:[0,0,1] op_sel_hi:[1,1,0] neg_lo:[0,0,1] neg_hi:[0,0,1]
	v_pk_fma_f32 v[122:123], v[122:123], v[112:113], v[126:127] op_sel:[0,0,1] op_sel_hi:[1,0,0]
	v_mov_b32_e32 v129, v123
	v_pk_mul_f32 v[122:123], v[124:125], v[114:115] op_sel:[0,1]
	s_delay_alu instid0(VALU_DEP_1) | instskip(SKIP_1) | instid1(VALU_DEP_1)
	v_pk_fma_f32 v[126:127], v[124:125], v[112:113], v[122:123] op_sel:[0,0,1] op_sel_hi:[1,1,0] neg_lo:[0,0,1] neg_hi:[0,0,1]
	v_pk_fma_f32 v[122:123], v[124:125], v[112:113], v[122:123] op_sel:[0,0,1] op_sel_hi:[1,0,0]
	v_mov_b32_e32 v127, v123
	ds_load_2addr_b64 v[122:125], v116 offset0:14 offset1:15
	v_pk_add_f32 v[92:93], v[92:93], v[128:129] neg_lo:[0,1] neg_hi:[0,1]
	v_pk_add_f32 v[88:89], v[88:89], v[126:127] neg_lo:[0,1] neg_hi:[0,1]
	s_wait_dscnt 0x0
	v_dual_mul_f32 v126, v123, v115 :: v_dual_mul_f32 v128, v123, v112
	s_delay_alu instid0(VALU_DEP_1) | instskip(NEXT) | instid1(VALU_DEP_2)
	v_pk_fma_f32 v[126:127], v[122:123], v[56:57], v[126:127] op_sel_hi:[1,1,0] neg_lo:[0,0,1] neg_hi:[0,0,1]
	v_pk_fma_f32 v[122:123], v[122:123], v[56:57], v[128:129] op_sel:[1,0,0] op_sel_hi:[0,1,0]
	s_delay_alu instid0(VALU_DEP_1) | instskip(SKIP_1) | instid1(VALU_DEP_2)
	v_mov_b32_e32 v127, v123
	v_pk_mul_f32 v[122:123], v[124:125], v[114:115] op_sel:[0,1]
	v_pk_add_f32 v[90:91], v[90:91], v[126:127] neg_lo:[0,1] neg_hi:[0,1]
	s_delay_alu instid0(VALU_DEP_2) | instskip(SKIP_1) | instid1(VALU_DEP_1)
	v_pk_fma_f32 v[126:127], v[124:125], v[112:113], v[122:123] op_sel:[0,0,1] op_sel_hi:[1,1,0] neg_lo:[0,0,1] neg_hi:[0,0,1]
	v_pk_fma_f32 v[122:123], v[124:125], v[112:113], v[122:123] op_sel:[0,0,1] op_sel_hi:[1,0,0]
	v_mov_b32_e32 v127, v123
	ds_load_2addr_b64 v[122:125], v116 offset0:16 offset1:17
	v_pk_add_f32 v[86:87], v[86:87], v[126:127] neg_lo:[0,1] neg_hi:[0,1]
	s_wait_dscnt 0x0
	v_pk_mul_f32 v[126:127], v[122:123], v[114:115] op_sel:[0,1]
	s_delay_alu instid0(VALU_DEP_1) | instskip(SKIP_1) | instid1(VALU_DEP_1)
	v_pk_fma_f32 v[128:129], v[122:123], v[112:113], v[126:127] op_sel:[0,0,1] op_sel_hi:[1,1,0] neg_lo:[0,0,1] neg_hi:[0,0,1]
	v_pk_fma_f32 v[122:123], v[122:123], v[112:113], v[126:127] op_sel:[0,0,1] op_sel_hi:[1,0,0]
	v_mov_b32_e32 v129, v123
	v_pk_mul_f32 v[122:123], v[124:125], v[114:115] op_sel:[0,1]
	s_delay_alu instid0(VALU_DEP_2) | instskip(NEXT) | instid1(VALU_DEP_2)
	v_pk_add_f32 v[84:85], v[84:85], v[128:129] neg_lo:[0,1] neg_hi:[0,1]
	v_pk_fma_f32 v[126:127], v[124:125], v[112:113], v[122:123] op_sel:[0,0,1] op_sel_hi:[1,1,0] neg_lo:[0,0,1] neg_hi:[0,0,1]
	v_pk_fma_f32 v[122:123], v[124:125], v[112:113], v[122:123] op_sel:[0,0,1] op_sel_hi:[1,0,0]
	s_delay_alu instid0(VALU_DEP_1) | instskip(SKIP_4) | instid1(VALU_DEP_1)
	v_mov_b32_e32 v127, v123
	ds_load_2addr_b64 v[122:125], v116 offset0:18 offset1:19
	v_pk_add_f32 v[80:81], v[80:81], v[126:127] neg_lo:[0,1] neg_hi:[0,1]
	s_wait_dscnt 0x0
	v_pk_mul_f32 v[126:127], v[122:123], v[114:115] op_sel:[0,1]
	v_pk_fma_f32 v[128:129], v[122:123], v[112:113], v[126:127] op_sel:[0,0,1] op_sel_hi:[1,1,0] neg_lo:[0,0,1] neg_hi:[0,0,1]
	v_pk_fma_f32 v[122:123], v[122:123], v[112:113], v[126:127] op_sel:[0,0,1] op_sel_hi:[1,0,0]
	v_dual_mul_f32 v126, v125, v115 :: v_dual_mov_b32 v122, v125
	s_delay_alu instid0(VALU_DEP_2) | instskip(NEXT) | instid1(VALU_DEP_2)
	v_dual_mov_b32 v129, v123 :: v_dual_mov_b32 v123, v124
	v_pk_fma_f32 v[126:127], v[124:125], v[56:57], v[126:127] op_sel_hi:[1,1,0] neg_lo:[0,0,1] neg_hi:[0,0,1]
	v_mul_f32_e32 v124, v125, v112
	s_delay_alu instid0(VALU_DEP_3) | instskip(NEXT) | instid1(VALU_DEP_2)
	v_pk_add_f32 v[82:83], v[82:83], v[128:129] neg_lo:[0,1] neg_hi:[0,1]
	v_pk_fma_f32 v[122:123], v[122:123], v[56:57], v[124:125] op_sel_hi:[1,1,0]
	s_delay_alu instid0(VALU_DEP_1) | instskip(SKIP_4) | instid1(VALU_DEP_1)
	v_mov_b32_e32 v127, v123
	ds_load_2addr_b64 v[122:125], v116 offset0:20 offset1:21
	v_pk_add_f32 v[78:79], v[78:79], v[126:127] neg_lo:[0,1] neg_hi:[0,1]
	s_wait_dscnt 0x0
	v_pk_mul_f32 v[126:127], v[122:123], v[114:115] op_sel:[0,1]
	v_pk_fma_f32 v[128:129], v[122:123], v[112:113], v[126:127] op_sel:[0,0,1] op_sel_hi:[1,1,0] neg_lo:[0,0,1] neg_hi:[0,0,1]
	v_pk_fma_f32 v[122:123], v[122:123], v[112:113], v[126:127] op_sel:[0,0,1] op_sel_hi:[1,0,0]
	s_delay_alu instid0(VALU_DEP_1) | instskip(SKIP_1) | instid1(VALU_DEP_1)
	v_mov_b32_e32 v129, v123
	v_pk_mul_f32 v[122:123], v[124:125], v[114:115] op_sel:[0,1]
	v_pk_fma_f32 v[126:127], v[124:125], v[112:113], v[122:123] op_sel:[0,0,1] op_sel_hi:[1,1,0] neg_lo:[0,0,1] neg_hi:[0,0,1]
	v_pk_fma_f32 v[122:123], v[124:125], v[112:113], v[122:123] op_sel:[0,0,1] op_sel_hi:[1,0,0]
	s_delay_alu instid0(VALU_DEP_1)
	v_mov_b32_e32 v127, v123
	ds_load_2addr_b64 v[122:125], v116 offset0:22 offset1:23
	v_pk_add_f32 v[76:77], v[76:77], v[128:129] neg_lo:[0,1] neg_hi:[0,1]
	v_pk_add_f32 v[72:73], v[72:73], v[126:127] neg_lo:[0,1] neg_hi:[0,1]
	s_wait_dscnt 0x0
	v_pk_mul_f32 v[126:127], v[122:123], v[114:115] op_sel:[0,1]
	s_delay_alu instid0(VALU_DEP_1) | instskip(SKIP_1) | instid1(VALU_DEP_1)
	v_pk_fma_f32 v[128:129], v[122:123], v[112:113], v[126:127] op_sel:[0,0,1] op_sel_hi:[1,1,0] neg_lo:[0,0,1] neg_hi:[0,0,1]
	v_pk_fma_f32 v[122:123], v[122:123], v[112:113], v[126:127] op_sel:[0,0,1] op_sel_hi:[1,0,0]
	v_mov_b32_e32 v129, v123
	v_pk_mul_f32 v[122:123], v[124:125], v[114:115] op_sel:[0,1]
	s_delay_alu instid0(VALU_DEP_1) | instskip(SKIP_1) | instid1(VALU_DEP_1)
	v_pk_fma_f32 v[126:127], v[124:125], v[112:113], v[122:123] op_sel:[0,0,1] op_sel_hi:[1,1,0] neg_lo:[0,0,1] neg_hi:[0,0,1]
	v_pk_fma_f32 v[122:123], v[124:125], v[112:113], v[122:123] op_sel:[0,0,1] op_sel_hi:[1,0,0]
	v_mov_b32_e32 v127, v123
	ds_load_2addr_b64 v[122:125], v116 offset0:24 offset1:25
	v_pk_add_f32 v[74:75], v[74:75], v[128:129] neg_lo:[0,1] neg_hi:[0,1]
	v_pk_add_f32 v[70:71], v[70:71], v[126:127] neg_lo:[0,1] neg_hi:[0,1]
	s_wait_dscnt 0x0
	v_dual_mul_f32 v126, v123, v115 :: v_dual_mul_f32 v128, v123, v112
	s_delay_alu instid0(VALU_DEP_1) | instskip(NEXT) | instid1(VALU_DEP_2)
	v_pk_fma_f32 v[126:127], v[122:123], v[56:57], v[126:127] op_sel_hi:[1,1,0] neg_lo:[0,0,1] neg_hi:[0,0,1]
	v_pk_fma_f32 v[122:123], v[122:123], v[56:57], v[128:129] op_sel:[1,0,0] op_sel_hi:[0,1,0]
	s_delay_alu instid0(VALU_DEP_1) | instskip(SKIP_1) | instid1(VALU_DEP_2)
	v_mov_b32_e32 v127, v123
	v_pk_mul_f32 v[122:123], v[124:125], v[114:115] op_sel:[0,1]
	v_pk_add_f32 v[68:69], v[68:69], v[126:127] neg_lo:[0,1] neg_hi:[0,1]
	s_delay_alu instid0(VALU_DEP_2) | instskip(SKIP_1) | instid1(VALU_DEP_1)
	v_pk_fma_f32 v[126:127], v[124:125], v[112:113], v[122:123] op_sel:[0,0,1] op_sel_hi:[1,1,0] neg_lo:[0,0,1] neg_hi:[0,0,1]
	v_pk_fma_f32 v[122:123], v[124:125], v[112:113], v[122:123] op_sel:[0,0,1] op_sel_hi:[1,0,0]
	v_mov_b32_e32 v127, v123
	ds_load_2addr_b64 v[122:125], v116 offset0:26 offset1:27
	v_pk_add_f32 v[64:65], v[64:65], v[126:127] neg_lo:[0,1] neg_hi:[0,1]
	s_wait_dscnt 0x0
	v_pk_mul_f32 v[126:127], v[122:123], v[114:115] op_sel:[0,1]
	s_delay_alu instid0(VALU_DEP_1) | instskip(SKIP_1) | instid1(VALU_DEP_1)
	v_pk_fma_f32 v[128:129], v[122:123], v[112:113], v[126:127] op_sel:[0,0,1] op_sel_hi:[1,1,0] neg_lo:[0,0,1] neg_hi:[0,0,1]
	v_pk_fma_f32 v[122:123], v[122:123], v[112:113], v[126:127] op_sel:[0,0,1] op_sel_hi:[1,0,0]
	v_mov_b32_e32 v129, v123
	v_pk_mul_f32 v[122:123], v[124:125], v[114:115] op_sel:[0,1]
	s_delay_alu instid0(VALU_DEP_2) | instskip(NEXT) | instid1(VALU_DEP_2)
	v_pk_add_f32 v[66:67], v[66:67], v[128:129] neg_lo:[0,1] neg_hi:[0,1]
	v_pk_fma_f32 v[126:127], v[124:125], v[112:113], v[122:123] op_sel:[0,0,1] op_sel_hi:[1,1,0] neg_lo:[0,0,1] neg_hi:[0,0,1]
	v_pk_fma_f32 v[122:123], v[124:125], v[112:113], v[122:123] op_sel:[0,0,1] op_sel_hi:[1,0,0]
	s_delay_alu instid0(VALU_DEP_1) | instskip(SKIP_4) | instid1(VALU_DEP_1)
	v_mov_b32_e32 v127, v123
	ds_load_2addr_b64 v[122:125], v116 offset0:28 offset1:29
	v_pk_add_f32 v[62:63], v[62:63], v[126:127] neg_lo:[0,1] neg_hi:[0,1]
	s_wait_dscnt 0x0
	v_pk_mul_f32 v[126:127], v[122:123], v[114:115] op_sel:[0,1]
	v_pk_fma_f32 v[128:129], v[122:123], v[112:113], v[126:127] op_sel:[0,0,1] op_sel_hi:[1,1,0] neg_lo:[0,0,1] neg_hi:[0,0,1]
	v_pk_fma_f32 v[122:123], v[122:123], v[112:113], v[126:127] op_sel:[0,0,1] op_sel_hi:[1,0,0]
	v_dual_mul_f32 v126, v125, v115 :: v_dual_mov_b32 v122, v125
	s_delay_alu instid0(VALU_DEP_2) | instskip(NEXT) | instid1(VALU_DEP_2)
	v_dual_mov_b32 v129, v123 :: v_dual_mov_b32 v123, v124
	v_pk_fma_f32 v[126:127], v[124:125], v[56:57], v[126:127] op_sel_hi:[1,1,0] neg_lo:[0,0,1] neg_hi:[0,0,1]
	v_mul_f32_e32 v124, v125, v112
	s_delay_alu instid0(VALU_DEP_3) | instskip(NEXT) | instid1(VALU_DEP_2)
	v_pk_add_f32 v[52:53], v[52:53], v[128:129] neg_lo:[0,1] neg_hi:[0,1]
	v_pk_fma_f32 v[122:123], v[122:123], v[56:57], v[124:125] op_sel_hi:[1,1,0]
	s_delay_alu instid0(VALU_DEP_1) | instskip(SKIP_4) | instid1(VALU_DEP_1)
	v_mov_b32_e32 v127, v123
	ds_load_2addr_b64 v[122:125], v116 offset0:30 offset1:31
	v_pk_add_f32 v[48:49], v[48:49], v[126:127] neg_lo:[0,1] neg_hi:[0,1]
	s_wait_dscnt 0x0
	v_pk_mul_f32 v[126:127], v[122:123], v[114:115] op_sel:[0,1]
	v_pk_fma_f32 v[128:129], v[122:123], v[112:113], v[126:127] op_sel:[0,0,1] op_sel_hi:[1,1,0] neg_lo:[0,0,1] neg_hi:[0,0,1]
	v_pk_fma_f32 v[122:123], v[122:123], v[112:113], v[126:127] op_sel:[0,0,1] op_sel_hi:[1,0,0]
	s_delay_alu instid0(VALU_DEP_1) | instskip(SKIP_1) | instid1(VALU_DEP_1)
	v_mov_b32_e32 v129, v123
	v_pk_mul_f32 v[122:123], v[124:125], v[114:115] op_sel:[0,1]
	v_pk_fma_f32 v[126:127], v[124:125], v[112:113], v[122:123] op_sel:[0,0,1] op_sel_hi:[1,1,0] neg_lo:[0,0,1] neg_hi:[0,0,1]
	v_pk_fma_f32 v[122:123], v[124:125], v[112:113], v[122:123] op_sel:[0,0,1] op_sel_hi:[1,0,0]
	s_delay_alu instid0(VALU_DEP_1)
	v_mov_b32_e32 v127, v123
	ds_load_2addr_b64 v[122:125], v116 offset0:32 offset1:33
	v_pk_add_f32 v[50:51], v[50:51], v[128:129] neg_lo:[0,1] neg_hi:[0,1]
	v_pk_add_f32 v[46:47], v[46:47], v[126:127] neg_lo:[0,1] neg_hi:[0,1]
	s_wait_dscnt 0x0
	v_pk_mul_f32 v[126:127], v[122:123], v[114:115] op_sel:[0,1]
	s_delay_alu instid0(VALU_DEP_1) | instskip(SKIP_1) | instid1(VALU_DEP_1)
	v_pk_fma_f32 v[128:129], v[122:123], v[112:113], v[126:127] op_sel:[0,0,1] op_sel_hi:[1,1,0] neg_lo:[0,0,1] neg_hi:[0,0,1]
	v_pk_fma_f32 v[122:123], v[122:123], v[112:113], v[126:127] op_sel:[0,0,1] op_sel_hi:[1,0,0]
	v_mov_b32_e32 v129, v123
	v_pk_mul_f32 v[122:123], v[124:125], v[114:115] op_sel:[0,1]
	s_delay_alu instid0(VALU_DEP_1) | instskip(SKIP_1) | instid1(VALU_DEP_1)
	v_pk_fma_f32 v[126:127], v[124:125], v[112:113], v[122:123] op_sel:[0,0,1] op_sel_hi:[1,1,0] neg_lo:[0,0,1] neg_hi:[0,0,1]
	v_pk_fma_f32 v[122:123], v[124:125], v[112:113], v[122:123] op_sel:[0,0,1] op_sel_hi:[1,0,0]
	v_mov_b32_e32 v127, v123
	ds_load_2addr_b64 v[122:125], v116 offset0:34 offset1:35
	v_pk_add_f32 v[44:45], v[44:45], v[128:129] neg_lo:[0,1] neg_hi:[0,1]
	v_pk_add_f32 v[40:41], v[40:41], v[126:127] neg_lo:[0,1] neg_hi:[0,1]
	s_wait_dscnt 0x0
	v_dual_mul_f32 v126, v123, v115 :: v_dual_mul_f32 v128, v123, v112
	s_delay_alu instid0(VALU_DEP_1) | instskip(NEXT) | instid1(VALU_DEP_2)
	v_pk_fma_f32 v[126:127], v[122:123], v[56:57], v[126:127] op_sel_hi:[1,1,0] neg_lo:[0,0,1] neg_hi:[0,0,1]
	v_pk_fma_f32 v[122:123], v[122:123], v[56:57], v[128:129] op_sel:[1,0,0] op_sel_hi:[0,1,0]
	s_delay_alu instid0(VALU_DEP_1) | instskip(SKIP_1) | instid1(VALU_DEP_2)
	v_mov_b32_e32 v127, v123
	v_pk_mul_f32 v[122:123], v[124:125], v[114:115] op_sel:[0,1]
	v_pk_add_f32 v[42:43], v[42:43], v[126:127] neg_lo:[0,1] neg_hi:[0,1]
	s_delay_alu instid0(VALU_DEP_2) | instskip(SKIP_1) | instid1(VALU_DEP_1)
	v_pk_fma_f32 v[126:127], v[124:125], v[112:113], v[122:123] op_sel:[0,0,1] op_sel_hi:[1,1,0] neg_lo:[0,0,1] neg_hi:[0,0,1]
	v_pk_fma_f32 v[122:123], v[124:125], v[112:113], v[122:123] op_sel:[0,0,1] op_sel_hi:[1,0,0]
	v_mov_b32_e32 v127, v123
	ds_load_2addr_b64 v[122:125], v116 offset0:36 offset1:37
	v_pk_add_f32 v[38:39], v[38:39], v[126:127] neg_lo:[0,1] neg_hi:[0,1]
	s_wait_dscnt 0x0
	v_pk_mul_f32 v[126:127], v[122:123], v[114:115] op_sel:[0,1]
	s_delay_alu instid0(VALU_DEP_1) | instskip(SKIP_1) | instid1(VALU_DEP_1)
	v_pk_fma_f32 v[128:129], v[122:123], v[112:113], v[126:127] op_sel:[0,0,1] op_sel_hi:[1,1,0] neg_lo:[0,0,1] neg_hi:[0,0,1]
	v_pk_fma_f32 v[122:123], v[122:123], v[112:113], v[126:127] op_sel:[0,0,1] op_sel_hi:[1,0,0]
	v_mov_b32_e32 v129, v123
	v_pk_mul_f32 v[122:123], v[124:125], v[114:115] op_sel:[0,1]
	s_delay_alu instid0(VALU_DEP_2) | instskip(NEXT) | instid1(VALU_DEP_2)
	v_pk_add_f32 v[36:37], v[36:37], v[128:129] neg_lo:[0,1] neg_hi:[0,1]
	v_pk_fma_f32 v[126:127], v[124:125], v[112:113], v[122:123] op_sel:[0,0,1] op_sel_hi:[1,1,0] neg_lo:[0,0,1] neg_hi:[0,0,1]
	v_pk_fma_f32 v[122:123], v[124:125], v[112:113], v[122:123] op_sel:[0,0,1] op_sel_hi:[1,0,0]
	s_delay_alu instid0(VALU_DEP_1) | instskip(SKIP_4) | instid1(VALU_DEP_1)
	v_mov_b32_e32 v127, v123
	ds_load_2addr_b64 v[122:125], v116 offset0:38 offset1:39
	v_pk_add_f32 v[32:33], v[32:33], v[126:127] neg_lo:[0,1] neg_hi:[0,1]
	s_wait_dscnt 0x0
	v_pk_mul_f32 v[126:127], v[122:123], v[114:115] op_sel:[0,1]
	v_pk_fma_f32 v[128:129], v[122:123], v[112:113], v[126:127] op_sel:[0,0,1] op_sel_hi:[1,1,0] neg_lo:[0,0,1] neg_hi:[0,0,1]
	v_pk_fma_f32 v[122:123], v[122:123], v[112:113], v[126:127] op_sel:[0,0,1] op_sel_hi:[1,0,0]
	v_dual_mul_f32 v126, v125, v115 :: v_dual_mov_b32 v122, v125
	s_delay_alu instid0(VALU_DEP_2) | instskip(NEXT) | instid1(VALU_DEP_2)
	v_dual_mov_b32 v129, v123 :: v_dual_mov_b32 v123, v124
	v_pk_fma_f32 v[126:127], v[124:125], v[56:57], v[126:127] op_sel_hi:[1,1,0] neg_lo:[0,0,1] neg_hi:[0,0,1]
	v_mul_f32_e32 v124, v125, v112
	s_delay_alu instid0(VALU_DEP_3) | instskip(NEXT) | instid1(VALU_DEP_2)
	v_pk_add_f32 v[34:35], v[34:35], v[128:129] neg_lo:[0,1] neg_hi:[0,1]
	v_pk_fma_f32 v[122:123], v[122:123], v[56:57], v[124:125] op_sel_hi:[1,1,0]
	s_delay_alu instid0(VALU_DEP_1) | instskip(SKIP_4) | instid1(VALU_DEP_1)
	v_mov_b32_e32 v127, v123
	ds_load_2addr_b64 v[122:125], v116 offset0:40 offset1:41
	v_pk_add_f32 v[30:31], v[30:31], v[126:127] neg_lo:[0,1] neg_hi:[0,1]
	s_wait_dscnt 0x0
	v_pk_mul_f32 v[126:127], v[122:123], v[114:115] op_sel:[0,1]
	v_pk_fma_f32 v[128:129], v[122:123], v[112:113], v[126:127] op_sel:[0,0,1] op_sel_hi:[1,1,0] neg_lo:[0,0,1] neg_hi:[0,0,1]
	v_pk_fma_f32 v[122:123], v[122:123], v[112:113], v[126:127] op_sel:[0,0,1] op_sel_hi:[1,0,0]
	s_delay_alu instid0(VALU_DEP_1) | instskip(SKIP_1) | instid1(VALU_DEP_1)
	v_mov_b32_e32 v129, v123
	v_pk_mul_f32 v[122:123], v[124:125], v[114:115] op_sel:[0,1]
	v_pk_fma_f32 v[126:127], v[124:125], v[112:113], v[122:123] op_sel:[0,0,1] op_sel_hi:[1,1,0] neg_lo:[0,0,1] neg_hi:[0,0,1]
	v_pk_fma_f32 v[122:123], v[124:125], v[112:113], v[122:123] op_sel:[0,0,1] op_sel_hi:[1,0,0]
	s_delay_alu instid0(VALU_DEP_1)
	v_mov_b32_e32 v127, v123
	ds_load_2addr_b64 v[122:125], v116 offset0:42 offset1:43
	v_pk_add_f32 v[26:27], v[26:27], v[128:129] neg_lo:[0,1] neg_hi:[0,1]
	v_pk_add_f32 v[22:23], v[22:23], v[126:127] neg_lo:[0,1] neg_hi:[0,1]
	s_wait_dscnt 0x0
	v_pk_mul_f32 v[126:127], v[122:123], v[114:115] op_sel:[0,1]
	s_delay_alu instid0(VALU_DEP_1) | instskip(SKIP_1) | instid1(VALU_DEP_1)
	v_pk_fma_f32 v[128:129], v[122:123], v[112:113], v[126:127] op_sel:[0,0,1] op_sel_hi:[1,1,0] neg_lo:[0,0,1] neg_hi:[0,0,1]
	v_pk_fma_f32 v[122:123], v[122:123], v[112:113], v[126:127] op_sel:[0,0,1] op_sel_hi:[1,0,0]
	v_mov_b32_e32 v129, v123
	v_pk_mul_f32 v[122:123], v[124:125], v[114:115] op_sel:[0,1]
	s_delay_alu instid0(VALU_DEP_1) | instskip(SKIP_1) | instid1(VALU_DEP_1)
	v_pk_fma_f32 v[126:127], v[124:125], v[112:113], v[122:123] op_sel:[0,0,1] op_sel_hi:[1,1,0] neg_lo:[0,0,1] neg_hi:[0,0,1]
	v_pk_fma_f32 v[122:123], v[124:125], v[112:113], v[122:123] op_sel:[0,0,1] op_sel_hi:[1,0,0]
	v_mov_b32_e32 v127, v123
	ds_load_2addr_b64 v[122:125], v116 offset0:44 offset1:45
	v_pk_add_f32 v[24:25], v[24:25], v[128:129] neg_lo:[0,1] neg_hi:[0,1]
	v_pk_add_f32 v[20:21], v[20:21], v[126:127] neg_lo:[0,1] neg_hi:[0,1]
	s_wait_dscnt 0x0
	v_dual_mul_f32 v126, v123, v115 :: v_dual_mul_f32 v128, v123, v112
	s_delay_alu instid0(VALU_DEP_1) | instskip(NEXT) | instid1(VALU_DEP_2)
	v_pk_fma_f32 v[126:127], v[122:123], v[56:57], v[126:127] op_sel_hi:[1,1,0] neg_lo:[0,0,1] neg_hi:[0,0,1]
	v_pk_fma_f32 v[122:123], v[122:123], v[56:57], v[128:129] op_sel:[1,0,0] op_sel_hi:[0,1,0]
	s_delay_alu instid0(VALU_DEP_1) | instskip(SKIP_1) | instid1(VALU_DEP_2)
	v_mov_b32_e32 v127, v123
	v_pk_mul_f32 v[122:123], v[124:125], v[114:115] op_sel:[0,1]
	v_pk_add_f32 v[14:15], v[14:15], v[126:127] neg_lo:[0,1] neg_hi:[0,1]
	s_delay_alu instid0(VALU_DEP_2) | instskip(SKIP_1) | instid1(VALU_DEP_1)
	v_pk_fma_f32 v[126:127], v[124:125], v[112:113], v[122:123] op_sel:[0,0,1] op_sel_hi:[1,1,0] neg_lo:[0,0,1] neg_hi:[0,0,1]
	v_pk_fma_f32 v[122:123], v[124:125], v[112:113], v[122:123] op_sel:[0,0,1] op_sel_hi:[1,0,0]
	v_mov_b32_e32 v127, v123
	ds_load_2addr_b64 v[122:125], v116 offset0:46 offset1:47
	v_pk_add_f32 v[10:11], v[10:11], v[126:127] neg_lo:[0,1] neg_hi:[0,1]
	s_wait_dscnt 0x0
	v_pk_mul_f32 v[126:127], v[122:123], v[114:115] op_sel:[0,1]
	s_delay_alu instid0(VALU_DEP_1) | instskip(SKIP_1) | instid1(VALU_DEP_1)
	v_pk_fma_f32 v[128:129], v[122:123], v[112:113], v[126:127] op_sel:[0,0,1] op_sel_hi:[1,1,0] neg_lo:[0,0,1] neg_hi:[0,0,1]
	v_pk_fma_f32 v[122:123], v[122:123], v[112:113], v[126:127] op_sel:[0,0,1] op_sel_hi:[1,0,0]
	v_mov_b32_e32 v129, v123
	v_pk_mul_f32 v[122:123], v[124:125], v[114:115] op_sel:[0,1]
	s_delay_alu instid0(VALU_DEP_2) | instskip(NEXT) | instid1(VALU_DEP_2)
	v_pk_add_f32 v[12:13], v[12:13], v[128:129] neg_lo:[0,1] neg_hi:[0,1]
	v_pk_fma_f32 v[126:127], v[124:125], v[112:113], v[122:123] op_sel:[0,0,1] op_sel_hi:[1,1,0] neg_lo:[0,0,1] neg_hi:[0,0,1]
	v_pk_fma_f32 v[122:123], v[124:125], v[112:113], v[122:123] op_sel:[0,0,1] op_sel_hi:[1,0,0]
	s_delay_alu instid0(VALU_DEP_1) | instskip(SKIP_4) | instid1(VALU_DEP_1)
	v_mov_b32_e32 v127, v123
	ds_load_2addr_b64 v[122:125], v116 offset0:48 offset1:49
	v_pk_add_f32 v[8:9], v[8:9], v[126:127] neg_lo:[0,1] neg_hi:[0,1]
	s_wait_dscnt 0x0
	v_pk_mul_f32 v[126:127], v[122:123], v[114:115] op_sel:[0,1]
	v_pk_fma_f32 v[128:129], v[122:123], v[112:113], v[126:127] op_sel:[0,0,1] op_sel_hi:[1,1,0] neg_lo:[0,0,1] neg_hi:[0,0,1]
	v_pk_fma_f32 v[122:123], v[122:123], v[112:113], v[126:127] op_sel:[0,0,1] op_sel_hi:[1,0,0]
	v_dual_mul_f32 v126, v125, v115 :: v_dual_mov_b32 v122, v125
	s_delay_alu instid0(VALU_DEP_2) | instskip(NEXT) | instid1(VALU_DEP_2)
	v_dual_mov_b32 v129, v123 :: v_dual_mov_b32 v123, v124
	v_pk_fma_f32 v[126:127], v[124:125], v[56:57], v[126:127] op_sel_hi:[1,1,0] neg_lo:[0,0,1] neg_hi:[0,0,1]
	v_mul_f32_e32 v124, v125, v112
	s_delay_alu instid0(VALU_DEP_3) | instskip(NEXT) | instid1(VALU_DEP_2)
	v_pk_add_f32 v[6:7], v[6:7], v[128:129] neg_lo:[0,1] neg_hi:[0,1]
	v_pk_fma_f32 v[122:123], v[122:123], v[56:57], v[124:125] op_sel_hi:[1,1,0]
	s_delay_alu instid0(VALU_DEP_1) | instskip(SKIP_4) | instid1(VALU_DEP_1)
	v_mov_b32_e32 v127, v123
	ds_load_2addr_b64 v[122:125], v116 offset0:50 offset1:51
	v_pk_add_f32 v[28:29], v[28:29], v[126:127] neg_lo:[0,1] neg_hi:[0,1]
	s_wait_dscnt 0x0
	v_pk_mul_f32 v[126:127], v[122:123], v[114:115] op_sel:[0,1]
	v_pk_fma_f32 v[128:129], v[122:123], v[112:113], v[126:127] op_sel:[0,0,1] op_sel_hi:[1,1,0] neg_lo:[0,0,1] neg_hi:[0,0,1]
	v_pk_fma_f32 v[122:123], v[122:123], v[112:113], v[126:127] op_sel:[0,0,1] op_sel_hi:[1,0,0]
	s_delay_alu instid0(VALU_DEP_1) | instskip(SKIP_1) | instid1(VALU_DEP_1)
	v_mov_b32_e32 v129, v123
	v_pk_mul_f32 v[122:123], v[124:125], v[114:115] op_sel:[0,1]
	v_pk_fma_f32 v[126:127], v[124:125], v[112:113], v[122:123] op_sel:[0,0,1] op_sel_hi:[1,1,0] neg_lo:[0,0,1] neg_hi:[0,0,1]
	v_pk_fma_f32 v[122:123], v[124:125], v[112:113], v[122:123] op_sel:[0,0,1] op_sel_hi:[1,0,0]
	s_delay_alu instid0(VALU_DEP_1)
	v_mov_b32_e32 v127, v123
	ds_load_b64 v[122:123], v116 offset:416
	v_pk_add_f32 v[18:19], v[18:19], v[128:129] neg_lo:[0,1] neg_hi:[0,1]
	v_pk_add_f32 v[16:17], v[16:17], v[126:127] neg_lo:[0,1] neg_hi:[0,1]
	s_wait_dscnt 0x0
	v_pk_mul_f32 v[114:115], v[122:123], v[114:115] op_sel:[0,1]
	s_delay_alu instid0(VALU_DEP_1) | instskip(SKIP_1) | instid1(VALU_DEP_1)
	v_pk_fma_f32 v[124:125], v[122:123], v[112:113], v[114:115] op_sel:[0,0,1] op_sel_hi:[1,1,0] neg_lo:[0,0,1] neg_hi:[0,0,1]
	v_pk_fma_f32 v[112:113], v[122:123], v[112:113], v[114:115] op_sel:[0,0,1] op_sel_hi:[1,0,0]
	v_mov_b32_e32 v125, v113
	s_delay_alu instid0(VALU_DEP_1)
	v_pk_add_f32 v[110:111], v[110:111], v[124:125] neg_lo:[0,1] neg_hi:[0,1]
.LBB104_125:
	s_or_b32 exec_lo, exec_lo, s0
	v_lshl_add_u32 v112, v120, 3, v116
	s_barrier_signal -1
	s_barrier_wait -1
	ds_store_b64 v112, v[58:59]
	s_wait_dscnt 0x0
	s_barrier_signal -1
	s_barrier_wait -1
	ds_load_b64 v[114:115], v116 offset:48
	v_mov_b32_e32 v112, 6
	s_cmp_lt_i32 s18, 8
	s_cbranch_scc1 .LBB104_128
; %bb.126:
	v_add3_u32 v113, v117, 0, 56
	v_mov_b32_e32 v112, 6
	s_mov_b32 s0, 7
.LBB104_127:                            ; =>This Inner Loop Header: Depth=1
	ds_load_b64 v[122:123], v113
	s_wait_dscnt 0x1
	v_cmp_gt_f32_e32 vcc_lo, 0, v114
	v_cndmask_b32_e64 v124, v114, -v114, vcc_lo
	v_cmp_gt_f32_e32 vcc_lo, 0, v115
	v_cndmask_b32_e64 v126, v115, -v115, vcc_lo
	s_wait_dscnt 0x0
	v_cmp_gt_f32_e32 vcc_lo, 0, v122
	v_cndmask_b32_e64 v125, v122, -v122, vcc_lo
	v_cmp_gt_f32_e32 vcc_lo, 0, v123
	v_cndmask_b32_e64 v127, v123, -v123, vcc_lo
	s_delay_alu instid0(VALU_DEP_1) | instskip(NEXT) | instid1(VALU_DEP_1)
	v_pk_add_f32 v[124:125], v[124:125], v[126:127]
	v_cmp_lt_f32_e32 vcc_lo, v124, v125
	v_dual_add_nc_u32 v113, 8, v113 :: v_dual_cndmask_b32 v115, v115, v123, vcc_lo
	v_cndmask_b32_e32 v114, v114, v122, vcc_lo
	v_cndmask_b32_e64 v112, v112, s0, vcc_lo
	s_add_co_i32 s0, s0, 1
	s_delay_alu instid0(SALU_CYCLE_1)
	s_cmp_lg_u32 s18, s0
	s_cbranch_scc1 .LBB104_127
.LBB104_128:
	s_wait_dscnt 0x0
	v_cmp_eq_f32_e32 vcc_lo, 0, v114
	v_cmp_eq_f32_e64 s0, 0, v115
	s_and_b32 s0, vcc_lo, s0
	s_delay_alu instid0(SALU_CYCLE_1) | instskip(NEXT) | instid1(SALU_CYCLE_1)
	s_and_saveexec_b32 s1, s0
	s_xor_b32 s0, exec_lo, s1
; %bb.129:
	v_cmp_ne_u32_e32 vcc_lo, 0, v118
	v_cndmask_b32_e32 v118, 7, v118, vcc_lo
; %bb.130:
	s_and_not1_saveexec_b32 s0, s0
	s_cbranch_execz .LBB104_136
; %bb.131:
	v_cmp_ngt_f32_e64 s1, |v114|, |v115|
	s_and_saveexec_b32 s12, s1
	s_delay_alu instid0(SALU_CYCLE_1)
	s_xor_b32 s1, exec_lo, s12
	s_cbranch_execz .LBB104_133
; %bb.132:
	v_div_scale_f32 v113, null, v115, v115, v114
	v_div_scale_f32 v123, vcc_lo, v114, v115, v114
	s_delay_alu instid0(VALU_DEP_2) | instskip(SKIP_1) | instid1(TRANS32_DEP_1)
	v_rcp_f32_e32 v121, v113
	v_nop
	v_fma_f32 v122, -v113, v121, 1.0
	s_delay_alu instid0(VALU_DEP_1) | instskip(NEXT) | instid1(VALU_DEP_1)
	v_fmac_f32_e32 v121, v122, v121
	v_mul_f32_e32 v122, v123, v121
	s_delay_alu instid0(VALU_DEP_1) | instskip(NEXT) | instid1(VALU_DEP_1)
	v_fma_f32 v124, -v113, v122, v123
	v_fmac_f32_e32 v122, v124, v121
	s_delay_alu instid0(VALU_DEP_1) | instskip(NEXT) | instid1(VALU_DEP_1)
	v_fma_f32 v113, -v113, v122, v123
	v_div_fmas_f32 v113, v113, v121, v122
	s_delay_alu instid0(VALU_DEP_1) | instskip(NEXT) | instid1(VALU_DEP_1)
	v_div_fixup_f32 v113, v113, v115, v114
	v_fmac_f32_e32 v115, v114, v113
	s_delay_alu instid0(VALU_DEP_1) | instskip(SKIP_1) | instid1(VALU_DEP_2)
	v_div_scale_f32 v114, null, v115, v115, 1.0
	v_div_scale_f32 v123, vcc_lo, 1.0, v115, 1.0
	v_rcp_f32_e32 v121, v114
	v_nop
	s_delay_alu instid0(TRANS32_DEP_1) | instskip(NEXT) | instid1(VALU_DEP_1)
	v_fma_f32 v122, -v114, v121, 1.0
	v_fmac_f32_e32 v121, v122, v121
	s_delay_alu instid0(VALU_DEP_1) | instskip(NEXT) | instid1(VALU_DEP_1)
	v_mul_f32_e32 v122, v123, v121
	v_fma_f32 v124, -v114, v122, v123
	s_delay_alu instid0(VALU_DEP_1) | instskip(NEXT) | instid1(VALU_DEP_1)
	v_fmac_f32_e32 v122, v124, v121
	v_fma_f32 v114, -v114, v122, v123
	s_delay_alu instid0(VALU_DEP_1) | instskip(NEXT) | instid1(VALU_DEP_1)
	v_div_fmas_f32 v114, v114, v121, v122
	v_div_fixup_f32 v115, v114, v115, 1.0
	s_delay_alu instid0(VALU_DEP_1)
	v_mul_f32_e32 v114, v113, v115
	v_xor_b32_e32 v115, 0x80000000, v115
.LBB104_133:
	s_and_not1_saveexec_b32 s1, s1
	s_cbranch_execz .LBB104_135
; %bb.134:
	s_delay_alu instid0(VALU_DEP_1) | instskip(SKIP_1) | instid1(VALU_DEP_2)
	v_div_scale_f32 v113, null, v114, v114, v115
	v_div_scale_f32 v123, vcc_lo, v115, v114, v115
	v_rcp_f32_e32 v121, v113
	v_nop
	s_delay_alu instid0(TRANS32_DEP_1) | instskip(NEXT) | instid1(VALU_DEP_1)
	v_fma_f32 v122, -v113, v121, 1.0
	v_fmac_f32_e32 v121, v122, v121
	s_delay_alu instid0(VALU_DEP_1) | instskip(NEXT) | instid1(VALU_DEP_1)
	v_mul_f32_e32 v122, v123, v121
	v_fma_f32 v124, -v113, v122, v123
	s_delay_alu instid0(VALU_DEP_1) | instskip(NEXT) | instid1(VALU_DEP_1)
	v_fmac_f32_e32 v122, v124, v121
	v_fma_f32 v113, -v113, v122, v123
	s_delay_alu instid0(VALU_DEP_1) | instskip(NEXT) | instid1(VALU_DEP_1)
	v_div_fmas_f32 v113, v113, v121, v122
	v_div_fixup_f32 v113, v113, v114, v115
	s_delay_alu instid0(VALU_DEP_1) | instskip(NEXT) | instid1(VALU_DEP_1)
	v_fmac_f32_e32 v114, v115, v113
	v_div_scale_f32 v115, null, v114, v114, 1.0
	s_delay_alu instid0(VALU_DEP_1) | instskip(SKIP_1) | instid1(TRANS32_DEP_1)
	v_rcp_f32_e32 v121, v115
	v_nop
	v_fma_f32 v122, -v115, v121, 1.0
	s_delay_alu instid0(VALU_DEP_1) | instskip(SKIP_1) | instid1(VALU_DEP_1)
	v_fmac_f32_e32 v121, v122, v121
	v_div_scale_f32 v122, vcc_lo, 1.0, v114, 1.0
	v_mul_f32_e32 v123, v122, v121
	s_delay_alu instid0(VALU_DEP_1) | instskip(NEXT) | instid1(VALU_DEP_1)
	v_fma_f32 v124, -v115, v123, v122
	v_fmac_f32_e32 v123, v124, v121
	s_delay_alu instid0(VALU_DEP_1) | instskip(NEXT) | instid1(VALU_DEP_1)
	v_fma_f32 v115, -v115, v123, v122
	v_div_fmas_f32 v115, v115, v121, v123
	s_delay_alu instid0(VALU_DEP_1) | instskip(NEXT) | instid1(VALU_DEP_1)
	v_div_fixup_f32 v114, v115, v114, 1.0
	v_mul_f32_e64 v115, v113, -v114
.LBB104_135:
	s_or_b32 exec_lo, exec_lo, s1
.LBB104_136:
	s_delay_alu instid0(SALU_CYCLE_1) | instskip(NEXT) | instid1(SALU_CYCLE_1)
	s_or_b32 exec_lo, exec_lo, s0
	s_mov_b32 s0, exec_lo
	v_cmpx_ne_u32_e64 v120, v112
	s_xor_b32 s0, exec_lo, s0
	s_cbranch_execz .LBB104_142
; %bb.137:
	s_mov_b32 s1, exec_lo
	v_cmpx_eq_u32_e32 6, v120
	s_cbranch_execz .LBB104_141
; %bb.138:
	v_cmp_ne_u32_e32 vcc_lo, 6, v112
	s_xor_b32 s12, s16, -1
	s_delay_alu instid0(SALU_CYCLE_1) | instskip(NEXT) | instid1(SALU_CYCLE_1)
	s_and_b32 s13, s12, vcc_lo
	s_and_saveexec_b32 s12, s13
	s_cbranch_execz .LBB104_140
; %bb.139:
	v_ashrrev_i32_e32 v113, 31, v112
	s_delay_alu instid0(VALU_DEP_1)
	v_lshl_add_u64 v[120:121], v[112:113], 2, v[4:5]
	s_clause 0x1
	global_load_b32 v113, v[120:121], off
	global_load_b32 v119, v[4:5], off offset:24
	s_wait_loadcnt 0x1
	global_store_b32 v[4:5], v113, off offset:24
	s_wait_loadcnt 0x0
	global_store_b32 v[120:121], v119, off
.LBB104_140:
	s_wait_xcnt 0x0
	s_or_b32 exec_lo, exec_lo, s12
	v_dual_mov_b32 v120, v112 :: v_dual_mov_b32 v119, v112
.LBB104_141:
	s_or_b32 exec_lo, exec_lo, s1
.LBB104_142:
	s_and_not1_saveexec_b32 s0, s0
	s_cbranch_execz .LBB104_144
; %bb.143:
	v_mov_b32_e32 v120, 6
	ds_store_2addr_b64 v116, v[54:55], v[100:101] offset0:7 offset1:8
	ds_store_2addr_b64 v116, v[96:97], v[98:99] offset0:9 offset1:10
	;; [unrolled: 1-line block ×23, first 2 shown]
.LBB104_144:
	s_or_b32 exec_lo, exec_lo, s0
	s_delay_alu instid0(SALU_CYCLE_1)
	s_mov_b32 s0, exec_lo
	s_wait_storecnt_dscnt 0x0
	s_barrier_signal -1
	s_barrier_wait -1
	v_cmpx_lt_i32_e32 6, v120
	s_cbranch_execz .LBB104_146
; %bb.145:
	v_pk_mul_f32 v[122:123], v[114:115], v[58:59] op_sel:[1,1] op_sel_hi:[0,1]
	s_delay_alu instid0(VALU_DEP_1)
	v_pk_fma_f32 v[112:113], v[114:115], v[58:59], v[122:123] op_sel_hi:[1,0,1] neg_lo:[0,0,1] neg_hi:[0,0,1]
	v_pk_fma_f32 v[114:115], v[114:115], v[58:59], v[122:123] op_sel_hi:[1,0,1]
	ds_load_2addr_b64 v[122:125], v116 offset0:7 offset1:8
	v_dual_mov_b32 v58, v112 :: v_dual_mov_b32 v59, v115
	s_wait_dscnt 0x0
	v_pk_mul_f32 v[126:127], v[122:123], v[114:115] op_sel:[0,1]
	s_delay_alu instid0(VALU_DEP_1) | instskip(SKIP_1) | instid1(VALU_DEP_1)
	v_pk_fma_f32 v[128:129], v[122:123], v[112:113], v[126:127] op_sel:[0,0,1] op_sel_hi:[1,1,0] neg_lo:[0,0,1] neg_hi:[0,0,1]
	v_pk_fma_f32 v[122:123], v[122:123], v[112:113], v[126:127] op_sel:[0,0,1] op_sel_hi:[1,0,0]
	v_mov_b32_e32 v129, v123
	v_pk_mul_f32 v[122:123], v[124:125], v[114:115] op_sel:[0,1]
	s_delay_alu instid0(VALU_DEP_1) | instskip(SKIP_1) | instid1(VALU_DEP_1)
	v_pk_fma_f32 v[126:127], v[124:125], v[112:113], v[122:123] op_sel:[0,0,1] op_sel_hi:[1,1,0] neg_lo:[0,0,1] neg_hi:[0,0,1]
	v_pk_fma_f32 v[122:123], v[124:125], v[112:113], v[122:123] op_sel:[0,0,1] op_sel_hi:[1,0,0]
	v_mov_b32_e32 v127, v123
	ds_load_2addr_b64 v[122:125], v116 offset0:9 offset1:10
	v_pk_add_f32 v[54:55], v[54:55], v[128:129] neg_lo:[0,1] neg_hi:[0,1]
	v_pk_add_f32 v[100:101], v[100:101], v[126:127] neg_lo:[0,1] neg_hi:[0,1]
	s_wait_dscnt 0x0
	v_pk_mul_f32 v[126:127], v[122:123], v[114:115] op_sel:[0,1]
	s_delay_alu instid0(VALU_DEP_1) | instskip(SKIP_2) | instid1(VALU_DEP_2)
	v_pk_fma_f32 v[128:129], v[122:123], v[112:113], v[126:127] op_sel:[0,0,1] op_sel_hi:[1,1,0] neg_lo:[0,0,1] neg_hi:[0,0,1]
	v_pk_fma_f32 v[122:123], v[122:123], v[112:113], v[126:127] op_sel:[0,0,1] op_sel_hi:[1,0,0]
	v_dual_mul_f32 v126, v125, v115 :: v_dual_mov_b32 v122, v125
	v_dual_mov_b32 v129, v123 :: v_dual_mov_b32 v123, v124
	s_delay_alu instid0(VALU_DEP_2) | instskip(SKIP_1) | instid1(VALU_DEP_3)
	v_pk_fma_f32 v[126:127], v[124:125], v[58:59], v[126:127] op_sel_hi:[1,1,0] neg_lo:[0,0,1] neg_hi:[0,0,1]
	v_mul_f32_e32 v124, v125, v112
	v_pk_add_f32 v[96:97], v[96:97], v[128:129] neg_lo:[0,1] neg_hi:[0,1]
	s_delay_alu instid0(VALU_DEP_2) | instskip(NEXT) | instid1(VALU_DEP_1)
	v_pk_fma_f32 v[122:123], v[122:123], v[58:59], v[124:125] op_sel_hi:[1,1,0]
	v_mov_b32_e32 v127, v123
	ds_load_2addr_b64 v[122:125], v116 offset0:11 offset1:12
	v_pk_add_f32 v[98:99], v[98:99], v[126:127] neg_lo:[0,1] neg_hi:[0,1]
	s_wait_dscnt 0x0
	v_pk_mul_f32 v[126:127], v[122:123], v[114:115] op_sel:[0,1]
	s_delay_alu instid0(VALU_DEP_1) | instskip(SKIP_1) | instid1(VALU_DEP_1)
	v_pk_fma_f32 v[128:129], v[122:123], v[112:113], v[126:127] op_sel:[0,0,1] op_sel_hi:[1,1,0] neg_lo:[0,0,1] neg_hi:[0,0,1]
	v_pk_fma_f32 v[122:123], v[122:123], v[112:113], v[126:127] op_sel:[0,0,1] op_sel_hi:[1,0,0]
	v_mov_b32_e32 v129, v123
	v_pk_mul_f32 v[122:123], v[124:125], v[114:115] op_sel:[0,1]
	s_delay_alu instid0(VALU_DEP_1) | instskip(SKIP_1) | instid1(VALU_DEP_1)
	v_pk_fma_f32 v[126:127], v[124:125], v[112:113], v[122:123] op_sel:[0,0,1] op_sel_hi:[1,1,0] neg_lo:[0,0,1] neg_hi:[0,0,1]
	v_pk_fma_f32 v[122:123], v[124:125], v[112:113], v[122:123] op_sel:[0,0,1] op_sel_hi:[1,0,0]
	v_mov_b32_e32 v127, v123
	ds_load_2addr_b64 v[122:125], v116 offset0:13 offset1:14
	v_pk_add_f32 v[94:95], v[94:95], v[128:129] neg_lo:[0,1] neg_hi:[0,1]
	v_pk_add_f32 v[92:93], v[92:93], v[126:127] neg_lo:[0,1] neg_hi:[0,1]
	s_wait_dscnt 0x0
	v_pk_mul_f32 v[126:127], v[122:123], v[114:115] op_sel:[0,1]
	s_delay_alu instid0(VALU_DEP_1) | instskip(SKIP_1) | instid1(VALU_DEP_1)
	v_pk_fma_f32 v[128:129], v[122:123], v[112:113], v[126:127] op_sel:[0,0,1] op_sel_hi:[1,1,0] neg_lo:[0,0,1] neg_hi:[0,0,1]
	v_pk_fma_f32 v[122:123], v[122:123], v[112:113], v[126:127] op_sel:[0,0,1] op_sel_hi:[1,0,0]
	v_mov_b32_e32 v129, v123
	v_pk_mul_f32 v[122:123], v[124:125], v[114:115] op_sel:[0,1]
	s_delay_alu instid0(VALU_DEP_1) | instskip(SKIP_1) | instid1(VALU_DEP_1)
	v_pk_fma_f32 v[126:127], v[124:125], v[112:113], v[122:123] op_sel:[0,0,1] op_sel_hi:[1,1,0] neg_lo:[0,0,1] neg_hi:[0,0,1]
	v_pk_fma_f32 v[122:123], v[124:125], v[112:113], v[122:123] op_sel:[0,0,1] op_sel_hi:[1,0,0]
	v_mov_b32_e32 v127, v123
	ds_load_2addr_b64 v[122:125], v116 offset0:15 offset1:16
	v_pk_add_f32 v[88:89], v[88:89], v[128:129] neg_lo:[0,1] neg_hi:[0,1]
	v_pk_add_f32 v[90:91], v[90:91], v[126:127] neg_lo:[0,1] neg_hi:[0,1]
	s_wait_dscnt 0x0
	v_dual_mul_f32 v126, v123, v115 :: v_dual_mul_f32 v128, v123, v112
	s_delay_alu instid0(VALU_DEP_1) | instskip(NEXT) | instid1(VALU_DEP_2)
	v_pk_fma_f32 v[126:127], v[122:123], v[58:59], v[126:127] op_sel_hi:[1,1,0] neg_lo:[0,0,1] neg_hi:[0,0,1]
	v_pk_fma_f32 v[122:123], v[122:123], v[58:59], v[128:129] op_sel:[1,0,0] op_sel_hi:[0,1,0]
	s_delay_alu instid0(VALU_DEP_1) | instskip(SKIP_1) | instid1(VALU_DEP_2)
	v_mov_b32_e32 v127, v123
	v_pk_mul_f32 v[122:123], v[124:125], v[114:115] op_sel:[0,1]
	v_pk_add_f32 v[86:87], v[86:87], v[126:127] neg_lo:[0,1] neg_hi:[0,1]
	s_delay_alu instid0(VALU_DEP_2) | instskip(SKIP_1) | instid1(VALU_DEP_1)
	v_pk_fma_f32 v[126:127], v[124:125], v[112:113], v[122:123] op_sel:[0,0,1] op_sel_hi:[1,1,0] neg_lo:[0,0,1] neg_hi:[0,0,1]
	v_pk_fma_f32 v[122:123], v[124:125], v[112:113], v[122:123] op_sel:[0,0,1] op_sel_hi:[1,0,0]
	v_mov_b32_e32 v127, v123
	ds_load_2addr_b64 v[122:125], v116 offset0:17 offset1:18
	v_pk_add_f32 v[84:85], v[84:85], v[126:127] neg_lo:[0,1] neg_hi:[0,1]
	s_wait_dscnt 0x0
	v_pk_mul_f32 v[126:127], v[122:123], v[114:115] op_sel:[0,1]
	s_delay_alu instid0(VALU_DEP_1) | instskip(SKIP_1) | instid1(VALU_DEP_1)
	v_pk_fma_f32 v[128:129], v[122:123], v[112:113], v[126:127] op_sel:[0,0,1] op_sel_hi:[1,1,0] neg_lo:[0,0,1] neg_hi:[0,0,1]
	v_pk_fma_f32 v[122:123], v[122:123], v[112:113], v[126:127] op_sel:[0,0,1] op_sel_hi:[1,0,0]
	v_mov_b32_e32 v129, v123
	v_pk_mul_f32 v[122:123], v[124:125], v[114:115] op_sel:[0,1]
	s_delay_alu instid0(VALU_DEP_2) | instskip(NEXT) | instid1(VALU_DEP_2)
	v_pk_add_f32 v[80:81], v[80:81], v[128:129] neg_lo:[0,1] neg_hi:[0,1]
	v_pk_fma_f32 v[126:127], v[124:125], v[112:113], v[122:123] op_sel:[0,0,1] op_sel_hi:[1,1,0] neg_lo:[0,0,1] neg_hi:[0,0,1]
	v_pk_fma_f32 v[122:123], v[124:125], v[112:113], v[122:123] op_sel:[0,0,1] op_sel_hi:[1,0,0]
	s_delay_alu instid0(VALU_DEP_1) | instskip(SKIP_4) | instid1(VALU_DEP_1)
	v_mov_b32_e32 v127, v123
	ds_load_2addr_b64 v[122:125], v116 offset0:19 offset1:20
	v_pk_add_f32 v[82:83], v[82:83], v[126:127] neg_lo:[0,1] neg_hi:[0,1]
	s_wait_dscnt 0x0
	v_pk_mul_f32 v[126:127], v[122:123], v[114:115] op_sel:[0,1]
	v_pk_fma_f32 v[128:129], v[122:123], v[112:113], v[126:127] op_sel:[0,0,1] op_sel_hi:[1,1,0] neg_lo:[0,0,1] neg_hi:[0,0,1]
	v_pk_fma_f32 v[122:123], v[122:123], v[112:113], v[126:127] op_sel:[0,0,1] op_sel_hi:[1,0,0]
	v_dual_mul_f32 v126, v125, v115 :: v_dual_mov_b32 v122, v125
	s_delay_alu instid0(VALU_DEP_2) | instskip(NEXT) | instid1(VALU_DEP_2)
	v_dual_mov_b32 v129, v123 :: v_dual_mov_b32 v123, v124
	v_pk_fma_f32 v[126:127], v[124:125], v[58:59], v[126:127] op_sel_hi:[1,1,0] neg_lo:[0,0,1] neg_hi:[0,0,1]
	v_mul_f32_e32 v124, v125, v112
	s_delay_alu instid0(VALU_DEP_3) | instskip(NEXT) | instid1(VALU_DEP_2)
	v_pk_add_f32 v[78:79], v[78:79], v[128:129] neg_lo:[0,1] neg_hi:[0,1]
	v_pk_fma_f32 v[122:123], v[122:123], v[58:59], v[124:125] op_sel_hi:[1,1,0]
	s_delay_alu instid0(VALU_DEP_1) | instskip(SKIP_4) | instid1(VALU_DEP_1)
	v_mov_b32_e32 v127, v123
	ds_load_2addr_b64 v[122:125], v116 offset0:21 offset1:22
	v_pk_add_f32 v[76:77], v[76:77], v[126:127] neg_lo:[0,1] neg_hi:[0,1]
	s_wait_dscnt 0x0
	v_pk_mul_f32 v[126:127], v[122:123], v[114:115] op_sel:[0,1]
	v_pk_fma_f32 v[128:129], v[122:123], v[112:113], v[126:127] op_sel:[0,0,1] op_sel_hi:[1,1,0] neg_lo:[0,0,1] neg_hi:[0,0,1]
	v_pk_fma_f32 v[122:123], v[122:123], v[112:113], v[126:127] op_sel:[0,0,1] op_sel_hi:[1,0,0]
	s_delay_alu instid0(VALU_DEP_1) | instskip(SKIP_1) | instid1(VALU_DEP_1)
	v_mov_b32_e32 v129, v123
	v_pk_mul_f32 v[122:123], v[124:125], v[114:115] op_sel:[0,1]
	v_pk_fma_f32 v[126:127], v[124:125], v[112:113], v[122:123] op_sel:[0,0,1] op_sel_hi:[1,1,0] neg_lo:[0,0,1] neg_hi:[0,0,1]
	v_pk_fma_f32 v[122:123], v[124:125], v[112:113], v[122:123] op_sel:[0,0,1] op_sel_hi:[1,0,0]
	s_delay_alu instid0(VALU_DEP_1)
	v_mov_b32_e32 v127, v123
	ds_load_2addr_b64 v[122:125], v116 offset0:23 offset1:24
	v_pk_add_f32 v[72:73], v[72:73], v[128:129] neg_lo:[0,1] neg_hi:[0,1]
	v_pk_add_f32 v[74:75], v[74:75], v[126:127] neg_lo:[0,1] neg_hi:[0,1]
	s_wait_dscnt 0x0
	v_pk_mul_f32 v[126:127], v[122:123], v[114:115] op_sel:[0,1]
	s_delay_alu instid0(VALU_DEP_1) | instskip(SKIP_1) | instid1(VALU_DEP_1)
	v_pk_fma_f32 v[128:129], v[122:123], v[112:113], v[126:127] op_sel:[0,0,1] op_sel_hi:[1,1,0] neg_lo:[0,0,1] neg_hi:[0,0,1]
	v_pk_fma_f32 v[122:123], v[122:123], v[112:113], v[126:127] op_sel:[0,0,1] op_sel_hi:[1,0,0]
	v_mov_b32_e32 v129, v123
	v_pk_mul_f32 v[122:123], v[124:125], v[114:115] op_sel:[0,1]
	s_delay_alu instid0(VALU_DEP_1) | instskip(SKIP_1) | instid1(VALU_DEP_1)
	v_pk_fma_f32 v[126:127], v[124:125], v[112:113], v[122:123] op_sel:[0,0,1] op_sel_hi:[1,1,0] neg_lo:[0,0,1] neg_hi:[0,0,1]
	v_pk_fma_f32 v[122:123], v[124:125], v[112:113], v[122:123] op_sel:[0,0,1] op_sel_hi:[1,0,0]
	v_mov_b32_e32 v127, v123
	ds_load_2addr_b64 v[122:125], v116 offset0:25 offset1:26
	v_pk_add_f32 v[70:71], v[70:71], v[128:129] neg_lo:[0,1] neg_hi:[0,1]
	v_pk_add_f32 v[68:69], v[68:69], v[126:127] neg_lo:[0,1] neg_hi:[0,1]
	s_wait_dscnt 0x0
	v_dual_mul_f32 v126, v123, v115 :: v_dual_mul_f32 v128, v123, v112
	s_delay_alu instid0(VALU_DEP_1) | instskip(NEXT) | instid1(VALU_DEP_2)
	v_pk_fma_f32 v[126:127], v[122:123], v[58:59], v[126:127] op_sel_hi:[1,1,0] neg_lo:[0,0,1] neg_hi:[0,0,1]
	v_pk_fma_f32 v[122:123], v[122:123], v[58:59], v[128:129] op_sel:[1,0,0] op_sel_hi:[0,1,0]
	s_delay_alu instid0(VALU_DEP_1) | instskip(SKIP_1) | instid1(VALU_DEP_2)
	v_mov_b32_e32 v127, v123
	v_pk_mul_f32 v[122:123], v[124:125], v[114:115] op_sel:[0,1]
	v_pk_add_f32 v[64:65], v[64:65], v[126:127] neg_lo:[0,1] neg_hi:[0,1]
	s_delay_alu instid0(VALU_DEP_2) | instskip(SKIP_1) | instid1(VALU_DEP_1)
	v_pk_fma_f32 v[126:127], v[124:125], v[112:113], v[122:123] op_sel:[0,0,1] op_sel_hi:[1,1,0] neg_lo:[0,0,1] neg_hi:[0,0,1]
	v_pk_fma_f32 v[122:123], v[124:125], v[112:113], v[122:123] op_sel:[0,0,1] op_sel_hi:[1,0,0]
	v_mov_b32_e32 v127, v123
	ds_load_2addr_b64 v[122:125], v116 offset0:27 offset1:28
	v_pk_add_f32 v[66:67], v[66:67], v[126:127] neg_lo:[0,1] neg_hi:[0,1]
	s_wait_dscnt 0x0
	v_pk_mul_f32 v[126:127], v[122:123], v[114:115] op_sel:[0,1]
	s_delay_alu instid0(VALU_DEP_1) | instskip(SKIP_1) | instid1(VALU_DEP_1)
	v_pk_fma_f32 v[128:129], v[122:123], v[112:113], v[126:127] op_sel:[0,0,1] op_sel_hi:[1,1,0] neg_lo:[0,0,1] neg_hi:[0,0,1]
	v_pk_fma_f32 v[122:123], v[122:123], v[112:113], v[126:127] op_sel:[0,0,1] op_sel_hi:[1,0,0]
	v_mov_b32_e32 v129, v123
	v_pk_mul_f32 v[122:123], v[124:125], v[114:115] op_sel:[0,1]
	s_delay_alu instid0(VALU_DEP_2) | instskip(NEXT) | instid1(VALU_DEP_2)
	v_pk_add_f32 v[62:63], v[62:63], v[128:129] neg_lo:[0,1] neg_hi:[0,1]
	v_pk_fma_f32 v[126:127], v[124:125], v[112:113], v[122:123] op_sel:[0,0,1] op_sel_hi:[1,1,0] neg_lo:[0,0,1] neg_hi:[0,0,1]
	v_pk_fma_f32 v[122:123], v[124:125], v[112:113], v[122:123] op_sel:[0,0,1] op_sel_hi:[1,0,0]
	s_delay_alu instid0(VALU_DEP_1) | instskip(SKIP_4) | instid1(VALU_DEP_1)
	v_mov_b32_e32 v127, v123
	ds_load_2addr_b64 v[122:125], v116 offset0:29 offset1:30
	v_pk_add_f32 v[52:53], v[52:53], v[126:127] neg_lo:[0,1] neg_hi:[0,1]
	s_wait_dscnt 0x0
	v_pk_mul_f32 v[126:127], v[122:123], v[114:115] op_sel:[0,1]
	v_pk_fma_f32 v[128:129], v[122:123], v[112:113], v[126:127] op_sel:[0,0,1] op_sel_hi:[1,1,0] neg_lo:[0,0,1] neg_hi:[0,0,1]
	v_pk_fma_f32 v[122:123], v[122:123], v[112:113], v[126:127] op_sel:[0,0,1] op_sel_hi:[1,0,0]
	v_dual_mul_f32 v126, v125, v115 :: v_dual_mov_b32 v122, v125
	s_delay_alu instid0(VALU_DEP_2) | instskip(NEXT) | instid1(VALU_DEP_2)
	v_dual_mov_b32 v129, v123 :: v_dual_mov_b32 v123, v124
	v_pk_fma_f32 v[126:127], v[124:125], v[58:59], v[126:127] op_sel_hi:[1,1,0] neg_lo:[0,0,1] neg_hi:[0,0,1]
	v_mul_f32_e32 v124, v125, v112
	s_delay_alu instid0(VALU_DEP_3) | instskip(NEXT) | instid1(VALU_DEP_2)
	v_pk_add_f32 v[48:49], v[48:49], v[128:129] neg_lo:[0,1] neg_hi:[0,1]
	v_pk_fma_f32 v[122:123], v[122:123], v[58:59], v[124:125] op_sel_hi:[1,1,0]
	s_delay_alu instid0(VALU_DEP_1) | instskip(SKIP_4) | instid1(VALU_DEP_1)
	v_mov_b32_e32 v127, v123
	ds_load_2addr_b64 v[122:125], v116 offset0:31 offset1:32
	v_pk_add_f32 v[50:51], v[50:51], v[126:127] neg_lo:[0,1] neg_hi:[0,1]
	s_wait_dscnt 0x0
	v_pk_mul_f32 v[126:127], v[122:123], v[114:115] op_sel:[0,1]
	v_pk_fma_f32 v[128:129], v[122:123], v[112:113], v[126:127] op_sel:[0,0,1] op_sel_hi:[1,1,0] neg_lo:[0,0,1] neg_hi:[0,0,1]
	v_pk_fma_f32 v[122:123], v[122:123], v[112:113], v[126:127] op_sel:[0,0,1] op_sel_hi:[1,0,0]
	s_delay_alu instid0(VALU_DEP_1) | instskip(SKIP_1) | instid1(VALU_DEP_1)
	v_mov_b32_e32 v129, v123
	v_pk_mul_f32 v[122:123], v[124:125], v[114:115] op_sel:[0,1]
	v_pk_fma_f32 v[126:127], v[124:125], v[112:113], v[122:123] op_sel:[0,0,1] op_sel_hi:[1,1,0] neg_lo:[0,0,1] neg_hi:[0,0,1]
	v_pk_fma_f32 v[122:123], v[124:125], v[112:113], v[122:123] op_sel:[0,0,1] op_sel_hi:[1,0,0]
	s_delay_alu instid0(VALU_DEP_1)
	v_mov_b32_e32 v127, v123
	ds_load_2addr_b64 v[122:125], v116 offset0:33 offset1:34
	v_pk_add_f32 v[46:47], v[46:47], v[128:129] neg_lo:[0,1] neg_hi:[0,1]
	v_pk_add_f32 v[44:45], v[44:45], v[126:127] neg_lo:[0,1] neg_hi:[0,1]
	s_wait_dscnt 0x0
	v_pk_mul_f32 v[126:127], v[122:123], v[114:115] op_sel:[0,1]
	s_delay_alu instid0(VALU_DEP_1) | instskip(SKIP_1) | instid1(VALU_DEP_1)
	v_pk_fma_f32 v[128:129], v[122:123], v[112:113], v[126:127] op_sel:[0,0,1] op_sel_hi:[1,1,0] neg_lo:[0,0,1] neg_hi:[0,0,1]
	v_pk_fma_f32 v[122:123], v[122:123], v[112:113], v[126:127] op_sel:[0,0,1] op_sel_hi:[1,0,0]
	v_mov_b32_e32 v129, v123
	v_pk_mul_f32 v[122:123], v[124:125], v[114:115] op_sel:[0,1]
	s_delay_alu instid0(VALU_DEP_1) | instskip(SKIP_1) | instid1(VALU_DEP_1)
	v_pk_fma_f32 v[126:127], v[124:125], v[112:113], v[122:123] op_sel:[0,0,1] op_sel_hi:[1,1,0] neg_lo:[0,0,1] neg_hi:[0,0,1]
	v_pk_fma_f32 v[122:123], v[124:125], v[112:113], v[122:123] op_sel:[0,0,1] op_sel_hi:[1,0,0]
	v_mov_b32_e32 v127, v123
	ds_load_2addr_b64 v[122:125], v116 offset0:35 offset1:36
	v_pk_add_f32 v[40:41], v[40:41], v[128:129] neg_lo:[0,1] neg_hi:[0,1]
	v_pk_add_f32 v[42:43], v[42:43], v[126:127] neg_lo:[0,1] neg_hi:[0,1]
	s_wait_dscnt 0x0
	v_dual_mul_f32 v126, v123, v115 :: v_dual_mul_f32 v128, v123, v112
	s_delay_alu instid0(VALU_DEP_1) | instskip(NEXT) | instid1(VALU_DEP_2)
	v_pk_fma_f32 v[126:127], v[122:123], v[58:59], v[126:127] op_sel_hi:[1,1,0] neg_lo:[0,0,1] neg_hi:[0,0,1]
	v_pk_fma_f32 v[122:123], v[122:123], v[58:59], v[128:129] op_sel:[1,0,0] op_sel_hi:[0,1,0]
	s_delay_alu instid0(VALU_DEP_1) | instskip(SKIP_1) | instid1(VALU_DEP_2)
	v_mov_b32_e32 v127, v123
	v_pk_mul_f32 v[122:123], v[124:125], v[114:115] op_sel:[0,1]
	v_pk_add_f32 v[38:39], v[38:39], v[126:127] neg_lo:[0,1] neg_hi:[0,1]
	s_delay_alu instid0(VALU_DEP_2) | instskip(SKIP_1) | instid1(VALU_DEP_1)
	v_pk_fma_f32 v[126:127], v[124:125], v[112:113], v[122:123] op_sel:[0,0,1] op_sel_hi:[1,1,0] neg_lo:[0,0,1] neg_hi:[0,0,1]
	v_pk_fma_f32 v[122:123], v[124:125], v[112:113], v[122:123] op_sel:[0,0,1] op_sel_hi:[1,0,0]
	v_mov_b32_e32 v127, v123
	ds_load_2addr_b64 v[122:125], v116 offset0:37 offset1:38
	v_pk_add_f32 v[36:37], v[36:37], v[126:127] neg_lo:[0,1] neg_hi:[0,1]
	s_wait_dscnt 0x0
	v_pk_mul_f32 v[126:127], v[122:123], v[114:115] op_sel:[0,1]
	s_delay_alu instid0(VALU_DEP_1) | instskip(SKIP_1) | instid1(VALU_DEP_1)
	v_pk_fma_f32 v[128:129], v[122:123], v[112:113], v[126:127] op_sel:[0,0,1] op_sel_hi:[1,1,0] neg_lo:[0,0,1] neg_hi:[0,0,1]
	v_pk_fma_f32 v[122:123], v[122:123], v[112:113], v[126:127] op_sel:[0,0,1] op_sel_hi:[1,0,0]
	v_mov_b32_e32 v129, v123
	v_pk_mul_f32 v[122:123], v[124:125], v[114:115] op_sel:[0,1]
	s_delay_alu instid0(VALU_DEP_2) | instskip(NEXT) | instid1(VALU_DEP_2)
	v_pk_add_f32 v[32:33], v[32:33], v[128:129] neg_lo:[0,1] neg_hi:[0,1]
	v_pk_fma_f32 v[126:127], v[124:125], v[112:113], v[122:123] op_sel:[0,0,1] op_sel_hi:[1,1,0] neg_lo:[0,0,1] neg_hi:[0,0,1]
	v_pk_fma_f32 v[122:123], v[124:125], v[112:113], v[122:123] op_sel:[0,0,1] op_sel_hi:[1,0,0]
	s_delay_alu instid0(VALU_DEP_1) | instskip(SKIP_4) | instid1(VALU_DEP_1)
	v_mov_b32_e32 v127, v123
	ds_load_2addr_b64 v[122:125], v116 offset0:39 offset1:40
	v_pk_add_f32 v[34:35], v[34:35], v[126:127] neg_lo:[0,1] neg_hi:[0,1]
	s_wait_dscnt 0x0
	v_pk_mul_f32 v[126:127], v[122:123], v[114:115] op_sel:[0,1]
	v_pk_fma_f32 v[128:129], v[122:123], v[112:113], v[126:127] op_sel:[0,0,1] op_sel_hi:[1,1,0] neg_lo:[0,0,1] neg_hi:[0,0,1]
	v_pk_fma_f32 v[122:123], v[122:123], v[112:113], v[126:127] op_sel:[0,0,1] op_sel_hi:[1,0,0]
	v_dual_mul_f32 v126, v125, v115 :: v_dual_mov_b32 v122, v125
	s_delay_alu instid0(VALU_DEP_2) | instskip(NEXT) | instid1(VALU_DEP_2)
	v_dual_mov_b32 v129, v123 :: v_dual_mov_b32 v123, v124
	v_pk_fma_f32 v[126:127], v[124:125], v[58:59], v[126:127] op_sel_hi:[1,1,0] neg_lo:[0,0,1] neg_hi:[0,0,1]
	v_mul_f32_e32 v124, v125, v112
	s_delay_alu instid0(VALU_DEP_3) | instskip(NEXT) | instid1(VALU_DEP_2)
	v_pk_add_f32 v[30:31], v[30:31], v[128:129] neg_lo:[0,1] neg_hi:[0,1]
	v_pk_fma_f32 v[122:123], v[122:123], v[58:59], v[124:125] op_sel_hi:[1,1,0]
	s_delay_alu instid0(VALU_DEP_1) | instskip(SKIP_4) | instid1(VALU_DEP_1)
	v_mov_b32_e32 v127, v123
	ds_load_2addr_b64 v[122:125], v116 offset0:41 offset1:42
	v_pk_add_f32 v[26:27], v[26:27], v[126:127] neg_lo:[0,1] neg_hi:[0,1]
	s_wait_dscnt 0x0
	v_pk_mul_f32 v[126:127], v[122:123], v[114:115] op_sel:[0,1]
	v_pk_fma_f32 v[128:129], v[122:123], v[112:113], v[126:127] op_sel:[0,0,1] op_sel_hi:[1,1,0] neg_lo:[0,0,1] neg_hi:[0,0,1]
	v_pk_fma_f32 v[122:123], v[122:123], v[112:113], v[126:127] op_sel:[0,0,1] op_sel_hi:[1,0,0]
	s_delay_alu instid0(VALU_DEP_1) | instskip(SKIP_1) | instid1(VALU_DEP_1)
	v_mov_b32_e32 v129, v123
	v_pk_mul_f32 v[122:123], v[124:125], v[114:115] op_sel:[0,1]
	v_pk_fma_f32 v[126:127], v[124:125], v[112:113], v[122:123] op_sel:[0,0,1] op_sel_hi:[1,1,0] neg_lo:[0,0,1] neg_hi:[0,0,1]
	v_pk_fma_f32 v[122:123], v[124:125], v[112:113], v[122:123] op_sel:[0,0,1] op_sel_hi:[1,0,0]
	s_delay_alu instid0(VALU_DEP_1)
	v_mov_b32_e32 v127, v123
	ds_load_2addr_b64 v[122:125], v116 offset0:43 offset1:44
	v_pk_add_f32 v[22:23], v[22:23], v[128:129] neg_lo:[0,1] neg_hi:[0,1]
	v_pk_add_f32 v[24:25], v[24:25], v[126:127] neg_lo:[0,1] neg_hi:[0,1]
	s_wait_dscnt 0x0
	v_pk_mul_f32 v[126:127], v[122:123], v[114:115] op_sel:[0,1]
	s_delay_alu instid0(VALU_DEP_1) | instskip(SKIP_1) | instid1(VALU_DEP_1)
	v_pk_fma_f32 v[128:129], v[122:123], v[112:113], v[126:127] op_sel:[0,0,1] op_sel_hi:[1,1,0] neg_lo:[0,0,1] neg_hi:[0,0,1]
	v_pk_fma_f32 v[122:123], v[122:123], v[112:113], v[126:127] op_sel:[0,0,1] op_sel_hi:[1,0,0]
	v_mov_b32_e32 v129, v123
	v_pk_mul_f32 v[122:123], v[124:125], v[114:115] op_sel:[0,1]
	s_delay_alu instid0(VALU_DEP_1) | instskip(SKIP_1) | instid1(VALU_DEP_1)
	v_pk_fma_f32 v[126:127], v[124:125], v[112:113], v[122:123] op_sel:[0,0,1] op_sel_hi:[1,1,0] neg_lo:[0,0,1] neg_hi:[0,0,1]
	v_pk_fma_f32 v[122:123], v[124:125], v[112:113], v[122:123] op_sel:[0,0,1] op_sel_hi:[1,0,0]
	v_mov_b32_e32 v127, v123
	ds_load_2addr_b64 v[122:125], v116 offset0:45 offset1:46
	v_pk_add_f32 v[20:21], v[20:21], v[128:129] neg_lo:[0,1] neg_hi:[0,1]
	v_pk_add_f32 v[14:15], v[14:15], v[126:127] neg_lo:[0,1] neg_hi:[0,1]
	s_wait_dscnt 0x0
	v_dual_mul_f32 v126, v123, v115 :: v_dual_mul_f32 v128, v123, v112
	s_delay_alu instid0(VALU_DEP_1) | instskip(NEXT) | instid1(VALU_DEP_2)
	v_pk_fma_f32 v[126:127], v[122:123], v[58:59], v[126:127] op_sel_hi:[1,1,0] neg_lo:[0,0,1] neg_hi:[0,0,1]
	v_pk_fma_f32 v[122:123], v[122:123], v[58:59], v[128:129] op_sel:[1,0,0] op_sel_hi:[0,1,0]
	s_delay_alu instid0(VALU_DEP_1) | instskip(SKIP_1) | instid1(VALU_DEP_2)
	v_mov_b32_e32 v127, v123
	v_pk_mul_f32 v[122:123], v[124:125], v[114:115] op_sel:[0,1]
	v_pk_add_f32 v[10:11], v[10:11], v[126:127] neg_lo:[0,1] neg_hi:[0,1]
	s_delay_alu instid0(VALU_DEP_2) | instskip(SKIP_1) | instid1(VALU_DEP_1)
	v_pk_fma_f32 v[126:127], v[124:125], v[112:113], v[122:123] op_sel:[0,0,1] op_sel_hi:[1,1,0] neg_lo:[0,0,1] neg_hi:[0,0,1]
	v_pk_fma_f32 v[122:123], v[124:125], v[112:113], v[122:123] op_sel:[0,0,1] op_sel_hi:[1,0,0]
	v_mov_b32_e32 v127, v123
	ds_load_2addr_b64 v[122:125], v116 offset0:47 offset1:48
	v_pk_add_f32 v[12:13], v[12:13], v[126:127] neg_lo:[0,1] neg_hi:[0,1]
	s_wait_dscnt 0x0
	v_pk_mul_f32 v[126:127], v[122:123], v[114:115] op_sel:[0,1]
	s_delay_alu instid0(VALU_DEP_1) | instskip(SKIP_1) | instid1(VALU_DEP_1)
	v_pk_fma_f32 v[128:129], v[122:123], v[112:113], v[126:127] op_sel:[0,0,1] op_sel_hi:[1,1,0] neg_lo:[0,0,1] neg_hi:[0,0,1]
	v_pk_fma_f32 v[122:123], v[122:123], v[112:113], v[126:127] op_sel:[0,0,1] op_sel_hi:[1,0,0]
	v_mov_b32_e32 v129, v123
	v_pk_mul_f32 v[122:123], v[124:125], v[114:115] op_sel:[0,1]
	s_delay_alu instid0(VALU_DEP_2) | instskip(NEXT) | instid1(VALU_DEP_2)
	v_pk_add_f32 v[8:9], v[8:9], v[128:129] neg_lo:[0,1] neg_hi:[0,1]
	v_pk_fma_f32 v[126:127], v[124:125], v[112:113], v[122:123] op_sel:[0,0,1] op_sel_hi:[1,1,0] neg_lo:[0,0,1] neg_hi:[0,0,1]
	v_pk_fma_f32 v[122:123], v[124:125], v[112:113], v[122:123] op_sel:[0,0,1] op_sel_hi:[1,0,0]
	s_delay_alu instid0(VALU_DEP_1) | instskip(SKIP_4) | instid1(VALU_DEP_1)
	v_mov_b32_e32 v127, v123
	ds_load_2addr_b64 v[122:125], v116 offset0:49 offset1:50
	v_pk_add_f32 v[6:7], v[6:7], v[126:127] neg_lo:[0,1] neg_hi:[0,1]
	s_wait_dscnt 0x0
	v_pk_mul_f32 v[126:127], v[122:123], v[114:115] op_sel:[0,1]
	v_pk_fma_f32 v[128:129], v[122:123], v[112:113], v[126:127] op_sel:[0,0,1] op_sel_hi:[1,1,0] neg_lo:[0,0,1] neg_hi:[0,0,1]
	v_pk_fma_f32 v[122:123], v[122:123], v[112:113], v[126:127] op_sel:[0,0,1] op_sel_hi:[1,0,0]
	v_dual_mul_f32 v126, v125, v115 :: v_dual_mov_b32 v122, v125
	s_delay_alu instid0(VALU_DEP_2) | instskip(NEXT) | instid1(VALU_DEP_2)
	v_dual_mov_b32 v129, v123 :: v_dual_mov_b32 v123, v124
	v_pk_fma_f32 v[126:127], v[124:125], v[58:59], v[126:127] op_sel_hi:[1,1,0] neg_lo:[0,0,1] neg_hi:[0,0,1]
	v_mul_f32_e32 v124, v125, v112
	s_delay_alu instid0(VALU_DEP_3) | instskip(NEXT) | instid1(VALU_DEP_2)
	v_pk_add_f32 v[28:29], v[28:29], v[128:129] neg_lo:[0,1] neg_hi:[0,1]
	v_pk_fma_f32 v[122:123], v[122:123], v[58:59], v[124:125] op_sel_hi:[1,1,0]
	s_delay_alu instid0(VALU_DEP_1)
	v_mov_b32_e32 v127, v123
	ds_load_2addr_b64 v[122:125], v116 offset0:51 offset1:52
	v_pk_add_f32 v[18:19], v[18:19], v[126:127] neg_lo:[0,1] neg_hi:[0,1]
	s_wait_dscnt 0x0
	v_pk_mul_f32 v[126:127], v[122:123], v[114:115] op_sel:[0,1]
	v_pk_mul_f32 v[114:115], v[124:125], v[114:115] op_sel:[0,1]
	s_delay_alu instid0(VALU_DEP_2) | instskip(SKIP_1) | instid1(VALU_DEP_1)
	v_pk_fma_f32 v[128:129], v[122:123], v[112:113], v[126:127] op_sel:[0,0,1] op_sel_hi:[1,1,0] neg_lo:[0,0,1] neg_hi:[0,0,1]
	v_pk_fma_f32 v[122:123], v[122:123], v[112:113], v[126:127] op_sel:[0,0,1] op_sel_hi:[1,0,0]
	v_mov_b32_e32 v129, v123
	s_delay_alu instid0(VALU_DEP_4) | instskip(SKIP_1) | instid1(VALU_DEP_1)
	v_pk_fma_f32 v[122:123], v[124:125], v[112:113], v[114:115] op_sel:[0,0,1] op_sel_hi:[1,1,0] neg_lo:[0,0,1] neg_hi:[0,0,1]
	v_pk_fma_f32 v[112:113], v[124:125], v[112:113], v[114:115] op_sel:[0,0,1] op_sel_hi:[1,0,0]
	v_mov_b32_e32 v123, v113
	s_delay_alu instid0(VALU_DEP_4) | instskip(NEXT) | instid1(VALU_DEP_2)
	v_pk_add_f32 v[16:17], v[16:17], v[128:129] neg_lo:[0,1] neg_hi:[0,1]
	v_pk_add_f32 v[110:111], v[110:111], v[122:123] neg_lo:[0,1] neg_hi:[0,1]
.LBB104_146:
	s_or_b32 exec_lo, exec_lo, s0
	v_lshl_add_u32 v112, v120, 3, v116
	s_barrier_signal -1
	s_barrier_wait -1
	ds_store_b64 v112, v[54:55]
	s_wait_dscnt 0x0
	s_barrier_signal -1
	s_barrier_wait -1
	ds_load_b64 v[114:115], v116 offset:56
	v_mov_b32_e32 v112, 7
	s_cmp_lt_i32 s18, 9
	s_cbranch_scc1 .LBB104_149
; %bb.147:
	v_add3_u32 v113, v117, 0, 64
	v_mov_b32_e32 v112, 7
	s_mov_b32 s0, 8
.LBB104_148:                            ; =>This Inner Loop Header: Depth=1
	ds_load_b64 v[122:123], v113
	s_wait_dscnt 0x1
	v_cmp_gt_f32_e32 vcc_lo, 0, v114
	v_cndmask_b32_e64 v124, v114, -v114, vcc_lo
	v_cmp_gt_f32_e32 vcc_lo, 0, v115
	v_cndmask_b32_e64 v126, v115, -v115, vcc_lo
	s_wait_dscnt 0x0
	v_cmp_gt_f32_e32 vcc_lo, 0, v122
	v_cndmask_b32_e64 v125, v122, -v122, vcc_lo
	v_cmp_gt_f32_e32 vcc_lo, 0, v123
	v_cndmask_b32_e64 v127, v123, -v123, vcc_lo
	s_delay_alu instid0(VALU_DEP_1) | instskip(NEXT) | instid1(VALU_DEP_1)
	v_pk_add_f32 v[124:125], v[124:125], v[126:127]
	v_cmp_lt_f32_e32 vcc_lo, v124, v125
	v_dual_add_nc_u32 v113, 8, v113 :: v_dual_cndmask_b32 v115, v115, v123, vcc_lo
	v_cndmask_b32_e32 v114, v114, v122, vcc_lo
	v_cndmask_b32_e64 v112, v112, s0, vcc_lo
	s_add_co_i32 s0, s0, 1
	s_delay_alu instid0(SALU_CYCLE_1)
	s_cmp_lg_u32 s18, s0
	s_cbranch_scc1 .LBB104_148
.LBB104_149:
	s_wait_dscnt 0x0
	v_cmp_eq_f32_e32 vcc_lo, 0, v114
	v_cmp_eq_f32_e64 s0, 0, v115
	s_and_b32 s0, vcc_lo, s0
	s_delay_alu instid0(SALU_CYCLE_1) | instskip(NEXT) | instid1(SALU_CYCLE_1)
	s_and_saveexec_b32 s1, s0
	s_xor_b32 s0, exec_lo, s1
; %bb.150:
	v_cmp_ne_u32_e32 vcc_lo, 0, v118
	v_cndmask_b32_e32 v118, 8, v118, vcc_lo
; %bb.151:
	s_and_not1_saveexec_b32 s0, s0
	s_cbranch_execz .LBB104_157
; %bb.152:
	v_cmp_ngt_f32_e64 s1, |v114|, |v115|
	s_and_saveexec_b32 s12, s1
	s_delay_alu instid0(SALU_CYCLE_1)
	s_xor_b32 s1, exec_lo, s12
	s_cbranch_execz .LBB104_154
; %bb.153:
	v_div_scale_f32 v113, null, v115, v115, v114
	v_div_scale_f32 v123, vcc_lo, v114, v115, v114
	s_delay_alu instid0(VALU_DEP_2) | instskip(SKIP_1) | instid1(TRANS32_DEP_1)
	v_rcp_f32_e32 v121, v113
	v_nop
	v_fma_f32 v122, -v113, v121, 1.0
	s_delay_alu instid0(VALU_DEP_1) | instskip(NEXT) | instid1(VALU_DEP_1)
	v_fmac_f32_e32 v121, v122, v121
	v_mul_f32_e32 v122, v123, v121
	s_delay_alu instid0(VALU_DEP_1) | instskip(NEXT) | instid1(VALU_DEP_1)
	v_fma_f32 v124, -v113, v122, v123
	v_fmac_f32_e32 v122, v124, v121
	s_delay_alu instid0(VALU_DEP_1) | instskip(NEXT) | instid1(VALU_DEP_1)
	v_fma_f32 v113, -v113, v122, v123
	v_div_fmas_f32 v113, v113, v121, v122
	s_delay_alu instid0(VALU_DEP_1) | instskip(NEXT) | instid1(VALU_DEP_1)
	v_div_fixup_f32 v113, v113, v115, v114
	v_fmac_f32_e32 v115, v114, v113
	s_delay_alu instid0(VALU_DEP_1) | instskip(SKIP_1) | instid1(VALU_DEP_2)
	v_div_scale_f32 v114, null, v115, v115, 1.0
	v_div_scale_f32 v123, vcc_lo, 1.0, v115, 1.0
	v_rcp_f32_e32 v121, v114
	v_nop
	s_delay_alu instid0(TRANS32_DEP_1) | instskip(NEXT) | instid1(VALU_DEP_1)
	v_fma_f32 v122, -v114, v121, 1.0
	v_fmac_f32_e32 v121, v122, v121
	s_delay_alu instid0(VALU_DEP_1) | instskip(NEXT) | instid1(VALU_DEP_1)
	v_mul_f32_e32 v122, v123, v121
	v_fma_f32 v124, -v114, v122, v123
	s_delay_alu instid0(VALU_DEP_1) | instskip(NEXT) | instid1(VALU_DEP_1)
	v_fmac_f32_e32 v122, v124, v121
	v_fma_f32 v114, -v114, v122, v123
	s_delay_alu instid0(VALU_DEP_1) | instskip(NEXT) | instid1(VALU_DEP_1)
	v_div_fmas_f32 v114, v114, v121, v122
	v_div_fixup_f32 v115, v114, v115, 1.0
	s_delay_alu instid0(VALU_DEP_1)
	v_mul_f32_e32 v114, v113, v115
	v_xor_b32_e32 v115, 0x80000000, v115
.LBB104_154:
	s_and_not1_saveexec_b32 s1, s1
	s_cbranch_execz .LBB104_156
; %bb.155:
	s_delay_alu instid0(VALU_DEP_1) | instskip(SKIP_1) | instid1(VALU_DEP_2)
	v_div_scale_f32 v113, null, v114, v114, v115
	v_div_scale_f32 v123, vcc_lo, v115, v114, v115
	v_rcp_f32_e32 v121, v113
	v_nop
	s_delay_alu instid0(TRANS32_DEP_1) | instskip(NEXT) | instid1(VALU_DEP_1)
	v_fma_f32 v122, -v113, v121, 1.0
	v_fmac_f32_e32 v121, v122, v121
	s_delay_alu instid0(VALU_DEP_1) | instskip(NEXT) | instid1(VALU_DEP_1)
	v_mul_f32_e32 v122, v123, v121
	v_fma_f32 v124, -v113, v122, v123
	s_delay_alu instid0(VALU_DEP_1) | instskip(NEXT) | instid1(VALU_DEP_1)
	v_fmac_f32_e32 v122, v124, v121
	v_fma_f32 v113, -v113, v122, v123
	s_delay_alu instid0(VALU_DEP_1) | instskip(NEXT) | instid1(VALU_DEP_1)
	v_div_fmas_f32 v113, v113, v121, v122
	v_div_fixup_f32 v113, v113, v114, v115
	s_delay_alu instid0(VALU_DEP_1) | instskip(NEXT) | instid1(VALU_DEP_1)
	v_fmac_f32_e32 v114, v115, v113
	v_div_scale_f32 v115, null, v114, v114, 1.0
	s_delay_alu instid0(VALU_DEP_1) | instskip(SKIP_1) | instid1(TRANS32_DEP_1)
	v_rcp_f32_e32 v121, v115
	v_nop
	v_fma_f32 v122, -v115, v121, 1.0
	s_delay_alu instid0(VALU_DEP_1) | instskip(SKIP_1) | instid1(VALU_DEP_1)
	v_fmac_f32_e32 v121, v122, v121
	v_div_scale_f32 v122, vcc_lo, 1.0, v114, 1.0
	v_mul_f32_e32 v123, v122, v121
	s_delay_alu instid0(VALU_DEP_1) | instskip(NEXT) | instid1(VALU_DEP_1)
	v_fma_f32 v124, -v115, v123, v122
	v_fmac_f32_e32 v123, v124, v121
	s_delay_alu instid0(VALU_DEP_1) | instskip(NEXT) | instid1(VALU_DEP_1)
	v_fma_f32 v115, -v115, v123, v122
	v_div_fmas_f32 v115, v115, v121, v123
	s_delay_alu instid0(VALU_DEP_1) | instskip(NEXT) | instid1(VALU_DEP_1)
	v_div_fixup_f32 v114, v115, v114, 1.0
	v_mul_f32_e64 v115, v113, -v114
.LBB104_156:
	s_or_b32 exec_lo, exec_lo, s1
.LBB104_157:
	s_delay_alu instid0(SALU_CYCLE_1) | instskip(NEXT) | instid1(SALU_CYCLE_1)
	s_or_b32 exec_lo, exec_lo, s0
	s_mov_b32 s0, exec_lo
	v_cmpx_ne_u32_e64 v120, v112
	s_xor_b32 s0, exec_lo, s0
	s_cbranch_execz .LBB104_163
; %bb.158:
	s_mov_b32 s1, exec_lo
	v_cmpx_eq_u32_e32 7, v120
	s_cbranch_execz .LBB104_162
; %bb.159:
	v_cmp_ne_u32_e32 vcc_lo, 7, v112
	s_xor_b32 s12, s16, -1
	s_delay_alu instid0(SALU_CYCLE_1) | instskip(NEXT) | instid1(SALU_CYCLE_1)
	s_and_b32 s13, s12, vcc_lo
	s_and_saveexec_b32 s12, s13
	s_cbranch_execz .LBB104_161
; %bb.160:
	v_ashrrev_i32_e32 v113, 31, v112
	s_delay_alu instid0(VALU_DEP_1)
	v_lshl_add_u64 v[120:121], v[112:113], 2, v[4:5]
	s_clause 0x1
	global_load_b32 v113, v[120:121], off
	global_load_b32 v119, v[4:5], off offset:28
	s_wait_loadcnt 0x1
	global_store_b32 v[4:5], v113, off offset:28
	s_wait_loadcnt 0x0
	global_store_b32 v[120:121], v119, off
.LBB104_161:
	s_wait_xcnt 0x0
	s_or_b32 exec_lo, exec_lo, s12
	v_dual_mov_b32 v120, v112 :: v_dual_mov_b32 v119, v112
.LBB104_162:
	s_or_b32 exec_lo, exec_lo, s1
.LBB104_163:
	s_and_not1_saveexec_b32 s0, s0
	s_cbranch_execz .LBB104_165
; %bb.164:
	v_dual_mov_b32 v112, v100 :: v_dual_mov_b32 v113, v101
	v_dual_mov_b32 v120, v96 :: v_dual_mov_b32 v121, v97
	v_dual_mov_b32 v122, v98 :: v_dual_mov_b32 v123, v99
	v_dual_mov_b32 v124, v94 :: v_dual_mov_b32 v125, v95
	v_dual_mov_b32 v126, v92 :: v_dual_mov_b32 v127, v93
	v_dual_mov_b32 v128, v88 :: v_dual_mov_b32 v129, v89
	v_dual_mov_b32 v130, v90 :: v_dual_mov_b32 v131, v91
	v_dual_mov_b32 v132, v86 :: v_dual_mov_b32 v133, v87
	v_dual_mov_b32 v134, v84 :: v_dual_mov_b32 v135, v85
	v_dual_mov_b32 v136, v80 :: v_dual_mov_b32 v137, v81
	v_dual_mov_b32 v138, v82 :: v_dual_mov_b32 v139, v83
	v_dual_mov_b32 v140, v78 :: v_dual_mov_b32 v141, v79
	ds_store_2addr_b64 v116, v[112:113], v[120:121] offset0:8 offset1:9
	ds_store_2addr_b64 v116, v[122:123], v[124:125] offset0:10 offset1:11
	ds_store_2addr_b64 v116, v[126:127], v[128:129] offset0:12 offset1:13
	ds_store_2addr_b64 v116, v[130:131], v[132:133] offset0:14 offset1:15
	ds_store_2addr_b64 v116, v[134:135], v[136:137] offset0:16 offset1:17
	ds_store_2addr_b64 v116, v[138:139], v[140:141] offset0:18 offset1:19
	v_dual_mov_b32 v112, v76 :: v_dual_mov_b32 v113, v77
	v_dual_mov_b32 v120, v72 :: v_dual_mov_b32 v121, v73
	v_dual_mov_b32 v122, v74 :: v_dual_mov_b32 v123, v75
	v_dual_mov_b32 v124, v70 :: v_dual_mov_b32 v125, v71
	v_dual_mov_b32 v126, v68 :: v_dual_mov_b32 v127, v69
	v_dual_mov_b32 v128, v64 :: v_dual_mov_b32 v129, v65
	v_dual_mov_b32 v130, v66 :: v_dual_mov_b32 v131, v67
	v_dual_mov_b32 v132, v62 :: v_dual_mov_b32 v133, v63
	v_dual_mov_b32 v134, v52 :: v_dual_mov_b32 v135, v53
	v_dual_mov_b32 v136, v48 :: v_dual_mov_b32 v137, v49
	v_dual_mov_b32 v138, v50 :: v_dual_mov_b32 v139, v51
	v_dual_mov_b32 v140, v46 :: v_dual_mov_b32 v141, v47
	ds_store_2addr_b64 v116, v[112:113], v[120:121] offset0:20 offset1:21
	ds_store_2addr_b64 v116, v[122:123], v[124:125] offset0:22 offset1:23
	ds_store_2addr_b64 v116, v[126:127], v[128:129] offset0:24 offset1:25
	ds_store_2addr_b64 v116, v[130:131], v[132:133] offset0:26 offset1:27
	ds_store_2addr_b64 v116, v[134:135], v[136:137] offset0:28 offset1:29
	ds_store_2addr_b64 v116, v[138:139], v[140:141] offset0:30 offset1:31
	v_dual_mov_b32 v112, v44 :: v_dual_mov_b32 v113, v45
	v_dual_mov_b32 v120, v40 :: v_dual_mov_b32 v121, v41
	v_dual_mov_b32 v122, v42 :: v_dual_mov_b32 v123, v43
	v_dual_mov_b32 v124, v38 :: v_dual_mov_b32 v125, v39
	v_dual_mov_b32 v126, v36 :: v_dual_mov_b32 v127, v37
	v_dual_mov_b32 v128, v32 :: v_dual_mov_b32 v129, v33
	v_dual_mov_b32 v130, v34 :: v_dual_mov_b32 v131, v35
	v_dual_mov_b32 v132, v30 :: v_dual_mov_b32 v133, v31
	v_dual_mov_b32 v134, v26 :: v_dual_mov_b32 v135, v27
	v_dual_mov_b32 v136, v22 :: v_dual_mov_b32 v137, v23
	v_dual_mov_b32 v138, v24 :: v_dual_mov_b32 v139, v25
	v_dual_mov_b32 v140, v20 :: v_dual_mov_b32 v141, v21
	ds_store_2addr_b64 v116, v[112:113], v[120:121] offset0:32 offset1:33
	ds_store_2addr_b64 v116, v[122:123], v[124:125] offset0:34 offset1:35
	ds_store_2addr_b64 v116, v[126:127], v[128:129] offset0:36 offset1:37
	ds_store_2addr_b64 v116, v[130:131], v[132:133] offset0:38 offset1:39
	ds_store_2addr_b64 v116, v[134:135], v[136:137] offset0:40 offset1:41
	ds_store_2addr_b64 v116, v[138:139], v[140:141] offset0:42 offset1:43
	v_dual_mov_b32 v112, v14 :: v_dual_mov_b32 v113, v15
	v_dual_mov_b32 v122, v10 :: v_dual_mov_b32 v123, v11
	;; [unrolled: 1-line block ×8, first 2 shown]
	v_mov_b32_e32 v135, v17
	ds_store_2addr_b64 v116, v[112:113], v[122:123] offset0:44 offset1:45
	ds_store_2addr_b64 v116, v[124:125], v[126:127] offset0:46 offset1:47
	;; [unrolled: 1-line block ×4, first 2 shown]
	ds_store_b64 v116, v[110:111] offset:416
.LBB104_165:
	s_or_b32 exec_lo, exec_lo, s0
	s_delay_alu instid0(SALU_CYCLE_1)
	s_mov_b32 s0, exec_lo
	s_wait_storecnt_dscnt 0x0
	s_barrier_signal -1
	s_barrier_wait -1
	v_cmpx_lt_i32_e32 7, v120
	s_cbranch_execz .LBB104_167
; %bb.166:
	v_pk_mul_f32 v[122:123], v[114:115], v[54:55] op_sel:[1,1] op_sel_hi:[0,1]
	s_delay_alu instid0(VALU_DEP_1)
	v_pk_fma_f32 v[112:113], v[114:115], v[54:55], v[122:123] op_sel_hi:[1,0,1] neg_lo:[0,0,1] neg_hi:[0,0,1]
	v_pk_fma_f32 v[114:115], v[114:115], v[54:55], v[122:123] op_sel_hi:[1,0,1]
	ds_load_2addr_b64 v[122:125], v116 offset0:8 offset1:9
	v_dual_mov_b32 v54, v112 :: v_dual_mov_b32 v55, v115
	s_wait_dscnt 0x0
	v_pk_mul_f32 v[126:127], v[122:123], v[114:115] op_sel:[0,1]
	s_delay_alu instid0(VALU_DEP_1) | instskip(SKIP_1) | instid1(VALU_DEP_1)
	v_pk_fma_f32 v[128:129], v[122:123], v[112:113], v[126:127] op_sel:[0,0,1] op_sel_hi:[1,1,0] neg_lo:[0,0,1] neg_hi:[0,0,1]
	v_pk_fma_f32 v[122:123], v[122:123], v[112:113], v[126:127] op_sel:[0,0,1] op_sel_hi:[1,0,0]
	v_mov_b32_e32 v129, v123
	v_pk_mul_f32 v[122:123], v[124:125], v[114:115] op_sel:[0,1]
	s_delay_alu instid0(VALU_DEP_1) | instskip(SKIP_1) | instid1(VALU_DEP_1)
	v_pk_fma_f32 v[126:127], v[124:125], v[112:113], v[122:123] op_sel:[0,0,1] op_sel_hi:[1,1,0] neg_lo:[0,0,1] neg_hi:[0,0,1]
	v_pk_fma_f32 v[122:123], v[124:125], v[112:113], v[122:123] op_sel:[0,0,1] op_sel_hi:[1,0,0]
	v_mov_b32_e32 v127, v123
	ds_load_2addr_b64 v[122:125], v116 offset0:10 offset1:11
	v_pk_add_f32 v[100:101], v[100:101], v[128:129] neg_lo:[0,1] neg_hi:[0,1]
	v_pk_add_f32 v[96:97], v[96:97], v[126:127] neg_lo:[0,1] neg_hi:[0,1]
	s_wait_dscnt 0x0
	v_pk_mul_f32 v[126:127], v[122:123], v[114:115] op_sel:[0,1]
	s_delay_alu instid0(VALU_DEP_1) | instskip(SKIP_2) | instid1(VALU_DEP_2)
	v_pk_fma_f32 v[128:129], v[122:123], v[112:113], v[126:127] op_sel:[0,0,1] op_sel_hi:[1,1,0] neg_lo:[0,0,1] neg_hi:[0,0,1]
	v_pk_fma_f32 v[122:123], v[122:123], v[112:113], v[126:127] op_sel:[0,0,1] op_sel_hi:[1,0,0]
	v_dual_mul_f32 v126, v125, v115 :: v_dual_mov_b32 v122, v125
	v_dual_mov_b32 v129, v123 :: v_dual_mov_b32 v123, v124
	s_delay_alu instid0(VALU_DEP_2) | instskip(SKIP_1) | instid1(VALU_DEP_3)
	v_pk_fma_f32 v[126:127], v[124:125], v[54:55], v[126:127] op_sel_hi:[1,1,0] neg_lo:[0,0,1] neg_hi:[0,0,1]
	v_mul_f32_e32 v124, v125, v112
	v_pk_add_f32 v[98:99], v[98:99], v[128:129] neg_lo:[0,1] neg_hi:[0,1]
	s_delay_alu instid0(VALU_DEP_2) | instskip(NEXT) | instid1(VALU_DEP_1)
	v_pk_fma_f32 v[122:123], v[122:123], v[54:55], v[124:125] op_sel_hi:[1,1,0]
	v_mov_b32_e32 v127, v123
	ds_load_2addr_b64 v[122:125], v116 offset0:12 offset1:13
	v_pk_add_f32 v[94:95], v[94:95], v[126:127] neg_lo:[0,1] neg_hi:[0,1]
	s_wait_dscnt 0x0
	v_pk_mul_f32 v[126:127], v[122:123], v[114:115] op_sel:[0,1]
	s_delay_alu instid0(VALU_DEP_1) | instskip(SKIP_1) | instid1(VALU_DEP_1)
	v_pk_fma_f32 v[128:129], v[122:123], v[112:113], v[126:127] op_sel:[0,0,1] op_sel_hi:[1,1,0] neg_lo:[0,0,1] neg_hi:[0,0,1]
	v_pk_fma_f32 v[122:123], v[122:123], v[112:113], v[126:127] op_sel:[0,0,1] op_sel_hi:[1,0,0]
	v_mov_b32_e32 v129, v123
	v_pk_mul_f32 v[122:123], v[124:125], v[114:115] op_sel:[0,1]
	s_delay_alu instid0(VALU_DEP_1) | instskip(SKIP_1) | instid1(VALU_DEP_1)
	v_pk_fma_f32 v[126:127], v[124:125], v[112:113], v[122:123] op_sel:[0,0,1] op_sel_hi:[1,1,0] neg_lo:[0,0,1] neg_hi:[0,0,1]
	v_pk_fma_f32 v[122:123], v[124:125], v[112:113], v[122:123] op_sel:[0,0,1] op_sel_hi:[1,0,0]
	v_mov_b32_e32 v127, v123
	ds_load_2addr_b64 v[122:125], v116 offset0:14 offset1:15
	v_pk_add_f32 v[92:93], v[92:93], v[128:129] neg_lo:[0,1] neg_hi:[0,1]
	v_pk_add_f32 v[88:89], v[88:89], v[126:127] neg_lo:[0,1] neg_hi:[0,1]
	s_wait_dscnt 0x0
	v_pk_mul_f32 v[126:127], v[122:123], v[114:115] op_sel:[0,1]
	s_delay_alu instid0(VALU_DEP_1) | instskip(SKIP_1) | instid1(VALU_DEP_1)
	v_pk_fma_f32 v[128:129], v[122:123], v[112:113], v[126:127] op_sel:[0,0,1] op_sel_hi:[1,1,0] neg_lo:[0,0,1] neg_hi:[0,0,1]
	v_pk_fma_f32 v[122:123], v[122:123], v[112:113], v[126:127] op_sel:[0,0,1] op_sel_hi:[1,0,0]
	v_mov_b32_e32 v129, v123
	v_pk_mul_f32 v[122:123], v[124:125], v[114:115] op_sel:[0,1]
	s_delay_alu instid0(VALU_DEP_1) | instskip(SKIP_1) | instid1(VALU_DEP_1)
	v_pk_fma_f32 v[126:127], v[124:125], v[112:113], v[122:123] op_sel:[0,0,1] op_sel_hi:[1,1,0] neg_lo:[0,0,1] neg_hi:[0,0,1]
	v_pk_fma_f32 v[122:123], v[124:125], v[112:113], v[122:123] op_sel:[0,0,1] op_sel_hi:[1,0,0]
	v_mov_b32_e32 v127, v123
	ds_load_2addr_b64 v[122:125], v116 offset0:16 offset1:17
	v_pk_add_f32 v[90:91], v[90:91], v[128:129] neg_lo:[0,1] neg_hi:[0,1]
	v_pk_add_f32 v[86:87], v[86:87], v[126:127] neg_lo:[0,1] neg_hi:[0,1]
	s_wait_dscnt 0x0
	v_dual_mul_f32 v126, v123, v115 :: v_dual_mul_f32 v128, v123, v112
	s_delay_alu instid0(VALU_DEP_1) | instskip(NEXT) | instid1(VALU_DEP_2)
	v_pk_fma_f32 v[126:127], v[122:123], v[54:55], v[126:127] op_sel_hi:[1,1,0] neg_lo:[0,0,1] neg_hi:[0,0,1]
	v_pk_fma_f32 v[122:123], v[122:123], v[54:55], v[128:129] op_sel:[1,0,0] op_sel_hi:[0,1,0]
	s_delay_alu instid0(VALU_DEP_1) | instskip(SKIP_1) | instid1(VALU_DEP_2)
	v_mov_b32_e32 v127, v123
	v_pk_mul_f32 v[122:123], v[124:125], v[114:115] op_sel:[0,1]
	v_pk_add_f32 v[84:85], v[84:85], v[126:127] neg_lo:[0,1] neg_hi:[0,1]
	s_delay_alu instid0(VALU_DEP_2) | instskip(SKIP_1) | instid1(VALU_DEP_1)
	v_pk_fma_f32 v[126:127], v[124:125], v[112:113], v[122:123] op_sel:[0,0,1] op_sel_hi:[1,1,0] neg_lo:[0,0,1] neg_hi:[0,0,1]
	v_pk_fma_f32 v[122:123], v[124:125], v[112:113], v[122:123] op_sel:[0,0,1] op_sel_hi:[1,0,0]
	v_mov_b32_e32 v127, v123
	ds_load_2addr_b64 v[122:125], v116 offset0:18 offset1:19
	v_pk_add_f32 v[80:81], v[80:81], v[126:127] neg_lo:[0,1] neg_hi:[0,1]
	s_wait_dscnt 0x0
	v_pk_mul_f32 v[126:127], v[122:123], v[114:115] op_sel:[0,1]
	s_delay_alu instid0(VALU_DEP_1) | instskip(SKIP_1) | instid1(VALU_DEP_1)
	v_pk_fma_f32 v[128:129], v[122:123], v[112:113], v[126:127] op_sel:[0,0,1] op_sel_hi:[1,1,0] neg_lo:[0,0,1] neg_hi:[0,0,1]
	v_pk_fma_f32 v[122:123], v[122:123], v[112:113], v[126:127] op_sel:[0,0,1] op_sel_hi:[1,0,0]
	v_mov_b32_e32 v129, v123
	v_pk_mul_f32 v[122:123], v[124:125], v[114:115] op_sel:[0,1]
	s_delay_alu instid0(VALU_DEP_2) | instskip(NEXT) | instid1(VALU_DEP_2)
	v_pk_add_f32 v[82:83], v[82:83], v[128:129] neg_lo:[0,1] neg_hi:[0,1]
	v_pk_fma_f32 v[126:127], v[124:125], v[112:113], v[122:123] op_sel:[0,0,1] op_sel_hi:[1,1,0] neg_lo:[0,0,1] neg_hi:[0,0,1]
	v_pk_fma_f32 v[122:123], v[124:125], v[112:113], v[122:123] op_sel:[0,0,1] op_sel_hi:[1,0,0]
	s_delay_alu instid0(VALU_DEP_1) | instskip(SKIP_4) | instid1(VALU_DEP_1)
	v_mov_b32_e32 v127, v123
	ds_load_2addr_b64 v[122:125], v116 offset0:20 offset1:21
	v_pk_add_f32 v[78:79], v[78:79], v[126:127] neg_lo:[0,1] neg_hi:[0,1]
	s_wait_dscnt 0x0
	v_pk_mul_f32 v[126:127], v[122:123], v[114:115] op_sel:[0,1]
	v_pk_fma_f32 v[128:129], v[122:123], v[112:113], v[126:127] op_sel:[0,0,1] op_sel_hi:[1,1,0] neg_lo:[0,0,1] neg_hi:[0,0,1]
	v_pk_fma_f32 v[122:123], v[122:123], v[112:113], v[126:127] op_sel:[0,0,1] op_sel_hi:[1,0,0]
	v_dual_mul_f32 v126, v125, v115 :: v_dual_mov_b32 v122, v125
	s_delay_alu instid0(VALU_DEP_2) | instskip(NEXT) | instid1(VALU_DEP_2)
	v_dual_mov_b32 v129, v123 :: v_dual_mov_b32 v123, v124
	v_pk_fma_f32 v[126:127], v[124:125], v[54:55], v[126:127] op_sel_hi:[1,1,0] neg_lo:[0,0,1] neg_hi:[0,0,1]
	v_mul_f32_e32 v124, v125, v112
	s_delay_alu instid0(VALU_DEP_3) | instskip(NEXT) | instid1(VALU_DEP_2)
	v_pk_add_f32 v[76:77], v[76:77], v[128:129] neg_lo:[0,1] neg_hi:[0,1]
	v_pk_fma_f32 v[122:123], v[122:123], v[54:55], v[124:125] op_sel_hi:[1,1,0]
	s_delay_alu instid0(VALU_DEP_1) | instskip(SKIP_4) | instid1(VALU_DEP_1)
	v_mov_b32_e32 v127, v123
	ds_load_2addr_b64 v[122:125], v116 offset0:22 offset1:23
	v_pk_add_f32 v[72:73], v[72:73], v[126:127] neg_lo:[0,1] neg_hi:[0,1]
	s_wait_dscnt 0x0
	v_pk_mul_f32 v[126:127], v[122:123], v[114:115] op_sel:[0,1]
	v_pk_fma_f32 v[128:129], v[122:123], v[112:113], v[126:127] op_sel:[0,0,1] op_sel_hi:[1,1,0] neg_lo:[0,0,1] neg_hi:[0,0,1]
	v_pk_fma_f32 v[122:123], v[122:123], v[112:113], v[126:127] op_sel:[0,0,1] op_sel_hi:[1,0,0]
	s_delay_alu instid0(VALU_DEP_1) | instskip(SKIP_1) | instid1(VALU_DEP_1)
	v_mov_b32_e32 v129, v123
	v_pk_mul_f32 v[122:123], v[124:125], v[114:115] op_sel:[0,1]
	v_pk_fma_f32 v[126:127], v[124:125], v[112:113], v[122:123] op_sel:[0,0,1] op_sel_hi:[1,1,0] neg_lo:[0,0,1] neg_hi:[0,0,1]
	v_pk_fma_f32 v[122:123], v[124:125], v[112:113], v[122:123] op_sel:[0,0,1] op_sel_hi:[1,0,0]
	s_delay_alu instid0(VALU_DEP_1)
	v_mov_b32_e32 v127, v123
	ds_load_2addr_b64 v[122:125], v116 offset0:24 offset1:25
	v_pk_add_f32 v[74:75], v[74:75], v[128:129] neg_lo:[0,1] neg_hi:[0,1]
	v_pk_add_f32 v[70:71], v[70:71], v[126:127] neg_lo:[0,1] neg_hi:[0,1]
	s_wait_dscnt 0x0
	v_pk_mul_f32 v[126:127], v[122:123], v[114:115] op_sel:[0,1]
	s_delay_alu instid0(VALU_DEP_1) | instskip(SKIP_1) | instid1(VALU_DEP_1)
	v_pk_fma_f32 v[128:129], v[122:123], v[112:113], v[126:127] op_sel:[0,0,1] op_sel_hi:[1,1,0] neg_lo:[0,0,1] neg_hi:[0,0,1]
	v_pk_fma_f32 v[122:123], v[122:123], v[112:113], v[126:127] op_sel:[0,0,1] op_sel_hi:[1,0,0]
	v_mov_b32_e32 v129, v123
	v_pk_mul_f32 v[122:123], v[124:125], v[114:115] op_sel:[0,1]
	s_delay_alu instid0(VALU_DEP_1) | instskip(SKIP_1) | instid1(VALU_DEP_1)
	v_pk_fma_f32 v[126:127], v[124:125], v[112:113], v[122:123] op_sel:[0,0,1] op_sel_hi:[1,1,0] neg_lo:[0,0,1] neg_hi:[0,0,1]
	v_pk_fma_f32 v[122:123], v[124:125], v[112:113], v[122:123] op_sel:[0,0,1] op_sel_hi:[1,0,0]
	v_mov_b32_e32 v127, v123
	ds_load_2addr_b64 v[122:125], v116 offset0:26 offset1:27
	v_pk_add_f32 v[68:69], v[68:69], v[128:129] neg_lo:[0,1] neg_hi:[0,1]
	v_pk_add_f32 v[64:65], v[64:65], v[126:127] neg_lo:[0,1] neg_hi:[0,1]
	s_wait_dscnt 0x0
	v_dual_mul_f32 v126, v123, v115 :: v_dual_mul_f32 v128, v123, v112
	s_delay_alu instid0(VALU_DEP_1) | instskip(NEXT) | instid1(VALU_DEP_2)
	v_pk_fma_f32 v[126:127], v[122:123], v[54:55], v[126:127] op_sel_hi:[1,1,0] neg_lo:[0,0,1] neg_hi:[0,0,1]
	v_pk_fma_f32 v[122:123], v[122:123], v[54:55], v[128:129] op_sel:[1,0,0] op_sel_hi:[0,1,0]
	s_delay_alu instid0(VALU_DEP_1) | instskip(SKIP_1) | instid1(VALU_DEP_2)
	v_mov_b32_e32 v127, v123
	v_pk_mul_f32 v[122:123], v[124:125], v[114:115] op_sel:[0,1]
	v_pk_add_f32 v[66:67], v[66:67], v[126:127] neg_lo:[0,1] neg_hi:[0,1]
	s_delay_alu instid0(VALU_DEP_2) | instskip(SKIP_1) | instid1(VALU_DEP_1)
	v_pk_fma_f32 v[126:127], v[124:125], v[112:113], v[122:123] op_sel:[0,0,1] op_sel_hi:[1,1,0] neg_lo:[0,0,1] neg_hi:[0,0,1]
	v_pk_fma_f32 v[122:123], v[124:125], v[112:113], v[122:123] op_sel:[0,0,1] op_sel_hi:[1,0,0]
	v_mov_b32_e32 v127, v123
	ds_load_2addr_b64 v[122:125], v116 offset0:28 offset1:29
	v_pk_add_f32 v[62:63], v[62:63], v[126:127] neg_lo:[0,1] neg_hi:[0,1]
	s_wait_dscnt 0x0
	v_pk_mul_f32 v[126:127], v[122:123], v[114:115] op_sel:[0,1]
	s_delay_alu instid0(VALU_DEP_1) | instskip(SKIP_1) | instid1(VALU_DEP_1)
	v_pk_fma_f32 v[128:129], v[122:123], v[112:113], v[126:127] op_sel:[0,0,1] op_sel_hi:[1,1,0] neg_lo:[0,0,1] neg_hi:[0,0,1]
	v_pk_fma_f32 v[122:123], v[122:123], v[112:113], v[126:127] op_sel:[0,0,1] op_sel_hi:[1,0,0]
	v_mov_b32_e32 v129, v123
	v_pk_mul_f32 v[122:123], v[124:125], v[114:115] op_sel:[0,1]
	s_delay_alu instid0(VALU_DEP_2) | instskip(NEXT) | instid1(VALU_DEP_2)
	v_pk_add_f32 v[52:53], v[52:53], v[128:129] neg_lo:[0,1] neg_hi:[0,1]
	v_pk_fma_f32 v[126:127], v[124:125], v[112:113], v[122:123] op_sel:[0,0,1] op_sel_hi:[1,1,0] neg_lo:[0,0,1] neg_hi:[0,0,1]
	v_pk_fma_f32 v[122:123], v[124:125], v[112:113], v[122:123] op_sel:[0,0,1] op_sel_hi:[1,0,0]
	s_delay_alu instid0(VALU_DEP_1) | instskip(SKIP_4) | instid1(VALU_DEP_1)
	v_mov_b32_e32 v127, v123
	ds_load_2addr_b64 v[122:125], v116 offset0:30 offset1:31
	v_pk_add_f32 v[48:49], v[48:49], v[126:127] neg_lo:[0,1] neg_hi:[0,1]
	s_wait_dscnt 0x0
	v_pk_mul_f32 v[126:127], v[122:123], v[114:115] op_sel:[0,1]
	v_pk_fma_f32 v[128:129], v[122:123], v[112:113], v[126:127] op_sel:[0,0,1] op_sel_hi:[1,1,0] neg_lo:[0,0,1] neg_hi:[0,0,1]
	v_pk_fma_f32 v[122:123], v[122:123], v[112:113], v[126:127] op_sel:[0,0,1] op_sel_hi:[1,0,0]
	v_dual_mul_f32 v126, v125, v115 :: v_dual_mov_b32 v122, v125
	s_delay_alu instid0(VALU_DEP_2) | instskip(NEXT) | instid1(VALU_DEP_2)
	v_dual_mov_b32 v129, v123 :: v_dual_mov_b32 v123, v124
	v_pk_fma_f32 v[126:127], v[124:125], v[54:55], v[126:127] op_sel_hi:[1,1,0] neg_lo:[0,0,1] neg_hi:[0,0,1]
	v_mul_f32_e32 v124, v125, v112
	s_delay_alu instid0(VALU_DEP_3) | instskip(NEXT) | instid1(VALU_DEP_2)
	v_pk_add_f32 v[50:51], v[50:51], v[128:129] neg_lo:[0,1] neg_hi:[0,1]
	v_pk_fma_f32 v[122:123], v[122:123], v[54:55], v[124:125] op_sel_hi:[1,1,0]
	s_delay_alu instid0(VALU_DEP_1) | instskip(SKIP_4) | instid1(VALU_DEP_1)
	v_mov_b32_e32 v127, v123
	ds_load_2addr_b64 v[122:125], v116 offset0:32 offset1:33
	v_pk_add_f32 v[46:47], v[46:47], v[126:127] neg_lo:[0,1] neg_hi:[0,1]
	s_wait_dscnt 0x0
	v_pk_mul_f32 v[126:127], v[122:123], v[114:115] op_sel:[0,1]
	v_pk_fma_f32 v[128:129], v[122:123], v[112:113], v[126:127] op_sel:[0,0,1] op_sel_hi:[1,1,0] neg_lo:[0,0,1] neg_hi:[0,0,1]
	v_pk_fma_f32 v[122:123], v[122:123], v[112:113], v[126:127] op_sel:[0,0,1] op_sel_hi:[1,0,0]
	s_delay_alu instid0(VALU_DEP_1) | instskip(SKIP_1) | instid1(VALU_DEP_1)
	v_mov_b32_e32 v129, v123
	v_pk_mul_f32 v[122:123], v[124:125], v[114:115] op_sel:[0,1]
	v_pk_fma_f32 v[126:127], v[124:125], v[112:113], v[122:123] op_sel:[0,0,1] op_sel_hi:[1,1,0] neg_lo:[0,0,1] neg_hi:[0,0,1]
	v_pk_fma_f32 v[122:123], v[124:125], v[112:113], v[122:123] op_sel:[0,0,1] op_sel_hi:[1,0,0]
	s_delay_alu instid0(VALU_DEP_1)
	v_mov_b32_e32 v127, v123
	ds_load_2addr_b64 v[122:125], v116 offset0:34 offset1:35
	v_pk_add_f32 v[44:45], v[44:45], v[128:129] neg_lo:[0,1] neg_hi:[0,1]
	v_pk_add_f32 v[40:41], v[40:41], v[126:127] neg_lo:[0,1] neg_hi:[0,1]
	s_wait_dscnt 0x0
	v_pk_mul_f32 v[126:127], v[122:123], v[114:115] op_sel:[0,1]
	s_delay_alu instid0(VALU_DEP_1) | instskip(SKIP_1) | instid1(VALU_DEP_1)
	v_pk_fma_f32 v[128:129], v[122:123], v[112:113], v[126:127] op_sel:[0,0,1] op_sel_hi:[1,1,0] neg_lo:[0,0,1] neg_hi:[0,0,1]
	v_pk_fma_f32 v[122:123], v[122:123], v[112:113], v[126:127] op_sel:[0,0,1] op_sel_hi:[1,0,0]
	v_mov_b32_e32 v129, v123
	v_pk_mul_f32 v[122:123], v[124:125], v[114:115] op_sel:[0,1]
	s_delay_alu instid0(VALU_DEP_1) | instskip(SKIP_1) | instid1(VALU_DEP_1)
	v_pk_fma_f32 v[126:127], v[124:125], v[112:113], v[122:123] op_sel:[0,0,1] op_sel_hi:[1,1,0] neg_lo:[0,0,1] neg_hi:[0,0,1]
	v_pk_fma_f32 v[122:123], v[124:125], v[112:113], v[122:123] op_sel:[0,0,1] op_sel_hi:[1,0,0]
	v_mov_b32_e32 v127, v123
	ds_load_2addr_b64 v[122:125], v116 offset0:36 offset1:37
	v_pk_add_f32 v[42:43], v[42:43], v[128:129] neg_lo:[0,1] neg_hi:[0,1]
	v_pk_add_f32 v[38:39], v[38:39], v[126:127] neg_lo:[0,1] neg_hi:[0,1]
	s_wait_dscnt 0x0
	v_dual_mul_f32 v126, v123, v115 :: v_dual_mul_f32 v128, v123, v112
	s_delay_alu instid0(VALU_DEP_1) | instskip(NEXT) | instid1(VALU_DEP_2)
	v_pk_fma_f32 v[126:127], v[122:123], v[54:55], v[126:127] op_sel_hi:[1,1,0] neg_lo:[0,0,1] neg_hi:[0,0,1]
	v_pk_fma_f32 v[122:123], v[122:123], v[54:55], v[128:129] op_sel:[1,0,0] op_sel_hi:[0,1,0]
	s_delay_alu instid0(VALU_DEP_1) | instskip(SKIP_1) | instid1(VALU_DEP_2)
	v_mov_b32_e32 v127, v123
	v_pk_mul_f32 v[122:123], v[124:125], v[114:115] op_sel:[0,1]
	v_pk_add_f32 v[36:37], v[36:37], v[126:127] neg_lo:[0,1] neg_hi:[0,1]
	s_delay_alu instid0(VALU_DEP_2) | instskip(SKIP_1) | instid1(VALU_DEP_1)
	v_pk_fma_f32 v[126:127], v[124:125], v[112:113], v[122:123] op_sel:[0,0,1] op_sel_hi:[1,1,0] neg_lo:[0,0,1] neg_hi:[0,0,1]
	v_pk_fma_f32 v[122:123], v[124:125], v[112:113], v[122:123] op_sel:[0,0,1] op_sel_hi:[1,0,0]
	v_mov_b32_e32 v127, v123
	ds_load_2addr_b64 v[122:125], v116 offset0:38 offset1:39
	v_pk_add_f32 v[32:33], v[32:33], v[126:127] neg_lo:[0,1] neg_hi:[0,1]
	s_wait_dscnt 0x0
	v_pk_mul_f32 v[126:127], v[122:123], v[114:115] op_sel:[0,1]
	s_delay_alu instid0(VALU_DEP_1) | instskip(SKIP_1) | instid1(VALU_DEP_1)
	v_pk_fma_f32 v[128:129], v[122:123], v[112:113], v[126:127] op_sel:[0,0,1] op_sel_hi:[1,1,0] neg_lo:[0,0,1] neg_hi:[0,0,1]
	v_pk_fma_f32 v[122:123], v[122:123], v[112:113], v[126:127] op_sel:[0,0,1] op_sel_hi:[1,0,0]
	v_mov_b32_e32 v129, v123
	v_pk_mul_f32 v[122:123], v[124:125], v[114:115] op_sel:[0,1]
	s_delay_alu instid0(VALU_DEP_2) | instskip(NEXT) | instid1(VALU_DEP_2)
	v_pk_add_f32 v[34:35], v[34:35], v[128:129] neg_lo:[0,1] neg_hi:[0,1]
	v_pk_fma_f32 v[126:127], v[124:125], v[112:113], v[122:123] op_sel:[0,0,1] op_sel_hi:[1,1,0] neg_lo:[0,0,1] neg_hi:[0,0,1]
	v_pk_fma_f32 v[122:123], v[124:125], v[112:113], v[122:123] op_sel:[0,0,1] op_sel_hi:[1,0,0]
	s_delay_alu instid0(VALU_DEP_1) | instskip(SKIP_4) | instid1(VALU_DEP_1)
	v_mov_b32_e32 v127, v123
	ds_load_2addr_b64 v[122:125], v116 offset0:40 offset1:41
	v_pk_add_f32 v[30:31], v[30:31], v[126:127] neg_lo:[0,1] neg_hi:[0,1]
	s_wait_dscnt 0x0
	v_pk_mul_f32 v[126:127], v[122:123], v[114:115] op_sel:[0,1]
	v_pk_fma_f32 v[128:129], v[122:123], v[112:113], v[126:127] op_sel:[0,0,1] op_sel_hi:[1,1,0] neg_lo:[0,0,1] neg_hi:[0,0,1]
	v_pk_fma_f32 v[122:123], v[122:123], v[112:113], v[126:127] op_sel:[0,0,1] op_sel_hi:[1,0,0]
	v_dual_mul_f32 v126, v125, v115 :: v_dual_mov_b32 v122, v125
	s_delay_alu instid0(VALU_DEP_2) | instskip(NEXT) | instid1(VALU_DEP_2)
	v_dual_mov_b32 v129, v123 :: v_dual_mov_b32 v123, v124
	v_pk_fma_f32 v[126:127], v[124:125], v[54:55], v[126:127] op_sel_hi:[1,1,0] neg_lo:[0,0,1] neg_hi:[0,0,1]
	v_mul_f32_e32 v124, v125, v112
	s_delay_alu instid0(VALU_DEP_3) | instskip(NEXT) | instid1(VALU_DEP_2)
	v_pk_add_f32 v[26:27], v[26:27], v[128:129] neg_lo:[0,1] neg_hi:[0,1]
	v_pk_fma_f32 v[122:123], v[122:123], v[54:55], v[124:125] op_sel_hi:[1,1,0]
	s_delay_alu instid0(VALU_DEP_1) | instskip(SKIP_4) | instid1(VALU_DEP_1)
	v_mov_b32_e32 v127, v123
	ds_load_2addr_b64 v[122:125], v116 offset0:42 offset1:43
	v_pk_add_f32 v[22:23], v[22:23], v[126:127] neg_lo:[0,1] neg_hi:[0,1]
	s_wait_dscnt 0x0
	v_pk_mul_f32 v[126:127], v[122:123], v[114:115] op_sel:[0,1]
	v_pk_fma_f32 v[128:129], v[122:123], v[112:113], v[126:127] op_sel:[0,0,1] op_sel_hi:[1,1,0] neg_lo:[0,0,1] neg_hi:[0,0,1]
	v_pk_fma_f32 v[122:123], v[122:123], v[112:113], v[126:127] op_sel:[0,0,1] op_sel_hi:[1,0,0]
	s_delay_alu instid0(VALU_DEP_1) | instskip(SKIP_1) | instid1(VALU_DEP_1)
	v_mov_b32_e32 v129, v123
	v_pk_mul_f32 v[122:123], v[124:125], v[114:115] op_sel:[0,1]
	v_pk_fma_f32 v[126:127], v[124:125], v[112:113], v[122:123] op_sel:[0,0,1] op_sel_hi:[1,1,0] neg_lo:[0,0,1] neg_hi:[0,0,1]
	v_pk_fma_f32 v[122:123], v[124:125], v[112:113], v[122:123] op_sel:[0,0,1] op_sel_hi:[1,0,0]
	s_delay_alu instid0(VALU_DEP_1)
	v_mov_b32_e32 v127, v123
	ds_load_2addr_b64 v[122:125], v116 offset0:44 offset1:45
	v_pk_add_f32 v[24:25], v[24:25], v[128:129] neg_lo:[0,1] neg_hi:[0,1]
	v_pk_add_f32 v[20:21], v[20:21], v[126:127] neg_lo:[0,1] neg_hi:[0,1]
	s_wait_dscnt 0x0
	v_pk_mul_f32 v[126:127], v[122:123], v[114:115] op_sel:[0,1]
	s_delay_alu instid0(VALU_DEP_1) | instskip(SKIP_1) | instid1(VALU_DEP_1)
	v_pk_fma_f32 v[128:129], v[122:123], v[112:113], v[126:127] op_sel:[0,0,1] op_sel_hi:[1,1,0] neg_lo:[0,0,1] neg_hi:[0,0,1]
	v_pk_fma_f32 v[122:123], v[122:123], v[112:113], v[126:127] op_sel:[0,0,1] op_sel_hi:[1,0,0]
	v_mov_b32_e32 v129, v123
	v_pk_mul_f32 v[122:123], v[124:125], v[114:115] op_sel:[0,1]
	s_delay_alu instid0(VALU_DEP_1) | instskip(SKIP_1) | instid1(VALU_DEP_1)
	v_pk_fma_f32 v[126:127], v[124:125], v[112:113], v[122:123] op_sel:[0,0,1] op_sel_hi:[1,1,0] neg_lo:[0,0,1] neg_hi:[0,0,1]
	v_pk_fma_f32 v[122:123], v[124:125], v[112:113], v[122:123] op_sel:[0,0,1] op_sel_hi:[1,0,0]
	v_mov_b32_e32 v127, v123
	ds_load_2addr_b64 v[122:125], v116 offset0:46 offset1:47
	v_pk_add_f32 v[14:15], v[14:15], v[128:129] neg_lo:[0,1] neg_hi:[0,1]
	v_pk_add_f32 v[10:11], v[10:11], v[126:127] neg_lo:[0,1] neg_hi:[0,1]
	s_wait_dscnt 0x0
	v_dual_mul_f32 v126, v123, v115 :: v_dual_mul_f32 v128, v123, v112
	s_delay_alu instid0(VALU_DEP_1) | instskip(NEXT) | instid1(VALU_DEP_2)
	v_pk_fma_f32 v[126:127], v[122:123], v[54:55], v[126:127] op_sel_hi:[1,1,0] neg_lo:[0,0,1] neg_hi:[0,0,1]
	v_pk_fma_f32 v[122:123], v[122:123], v[54:55], v[128:129] op_sel:[1,0,0] op_sel_hi:[0,1,0]
	s_delay_alu instid0(VALU_DEP_1) | instskip(SKIP_1) | instid1(VALU_DEP_2)
	v_mov_b32_e32 v127, v123
	v_pk_mul_f32 v[122:123], v[124:125], v[114:115] op_sel:[0,1]
	v_pk_add_f32 v[12:13], v[12:13], v[126:127] neg_lo:[0,1] neg_hi:[0,1]
	s_delay_alu instid0(VALU_DEP_2) | instskip(SKIP_1) | instid1(VALU_DEP_1)
	v_pk_fma_f32 v[126:127], v[124:125], v[112:113], v[122:123] op_sel:[0,0,1] op_sel_hi:[1,1,0] neg_lo:[0,0,1] neg_hi:[0,0,1]
	v_pk_fma_f32 v[122:123], v[124:125], v[112:113], v[122:123] op_sel:[0,0,1] op_sel_hi:[1,0,0]
	v_mov_b32_e32 v127, v123
	ds_load_2addr_b64 v[122:125], v116 offset0:48 offset1:49
	v_pk_add_f32 v[8:9], v[8:9], v[126:127] neg_lo:[0,1] neg_hi:[0,1]
	s_wait_dscnt 0x0
	v_pk_mul_f32 v[126:127], v[122:123], v[114:115] op_sel:[0,1]
	s_delay_alu instid0(VALU_DEP_1) | instskip(SKIP_1) | instid1(VALU_DEP_1)
	v_pk_fma_f32 v[128:129], v[122:123], v[112:113], v[126:127] op_sel:[0,0,1] op_sel_hi:[1,1,0] neg_lo:[0,0,1] neg_hi:[0,0,1]
	v_pk_fma_f32 v[122:123], v[122:123], v[112:113], v[126:127] op_sel:[0,0,1] op_sel_hi:[1,0,0]
	v_mov_b32_e32 v129, v123
	v_pk_mul_f32 v[122:123], v[124:125], v[114:115] op_sel:[0,1]
	s_delay_alu instid0(VALU_DEP_2) | instskip(NEXT) | instid1(VALU_DEP_2)
	v_pk_add_f32 v[6:7], v[6:7], v[128:129] neg_lo:[0,1] neg_hi:[0,1]
	v_pk_fma_f32 v[126:127], v[124:125], v[112:113], v[122:123] op_sel:[0,0,1] op_sel_hi:[1,1,0] neg_lo:[0,0,1] neg_hi:[0,0,1]
	v_pk_fma_f32 v[122:123], v[124:125], v[112:113], v[122:123] op_sel:[0,0,1] op_sel_hi:[1,0,0]
	s_delay_alu instid0(VALU_DEP_1) | instskip(SKIP_4) | instid1(VALU_DEP_1)
	v_mov_b32_e32 v127, v123
	ds_load_2addr_b64 v[122:125], v116 offset0:50 offset1:51
	v_pk_add_f32 v[28:29], v[28:29], v[126:127] neg_lo:[0,1] neg_hi:[0,1]
	s_wait_dscnt 0x0
	v_pk_mul_f32 v[126:127], v[122:123], v[114:115] op_sel:[0,1]
	v_pk_fma_f32 v[128:129], v[122:123], v[112:113], v[126:127] op_sel:[0,0,1] op_sel_hi:[1,1,0] neg_lo:[0,0,1] neg_hi:[0,0,1]
	v_pk_fma_f32 v[122:123], v[122:123], v[112:113], v[126:127] op_sel:[0,0,1] op_sel_hi:[1,0,0]
	v_dual_mul_f32 v126, v125, v115 :: v_dual_mov_b32 v122, v125
	s_delay_alu instid0(VALU_DEP_2) | instskip(NEXT) | instid1(VALU_DEP_2)
	v_dual_mov_b32 v129, v123 :: v_dual_mov_b32 v123, v124
	v_pk_fma_f32 v[126:127], v[124:125], v[54:55], v[126:127] op_sel_hi:[1,1,0] neg_lo:[0,0,1] neg_hi:[0,0,1]
	v_mul_f32_e32 v124, v125, v112
	s_delay_alu instid0(VALU_DEP_3) | instskip(NEXT) | instid1(VALU_DEP_2)
	v_pk_add_f32 v[18:19], v[18:19], v[128:129] neg_lo:[0,1] neg_hi:[0,1]
	v_pk_fma_f32 v[122:123], v[122:123], v[54:55], v[124:125] op_sel_hi:[1,1,0]
	s_delay_alu instid0(VALU_DEP_1) | instskip(SKIP_4) | instid1(VALU_DEP_1)
	v_mov_b32_e32 v127, v123
	ds_load_b64 v[122:123], v116 offset:416
	v_pk_add_f32 v[16:17], v[16:17], v[126:127] neg_lo:[0,1] neg_hi:[0,1]
	s_wait_dscnt 0x0
	v_pk_mul_f32 v[114:115], v[122:123], v[114:115] op_sel:[0,1]
	v_pk_fma_f32 v[124:125], v[122:123], v[112:113], v[114:115] op_sel:[0,0,1] op_sel_hi:[1,1,0] neg_lo:[0,0,1] neg_hi:[0,0,1]
	v_pk_fma_f32 v[112:113], v[122:123], v[112:113], v[114:115] op_sel:[0,0,1] op_sel_hi:[1,0,0]
	s_delay_alu instid0(VALU_DEP_1) | instskip(NEXT) | instid1(VALU_DEP_1)
	v_mov_b32_e32 v125, v113
	v_pk_add_f32 v[110:111], v[110:111], v[124:125] neg_lo:[0,1] neg_hi:[0,1]
.LBB104_167:
	s_or_b32 exec_lo, exec_lo, s0
	v_lshl_add_u32 v112, v120, 3, v116
	s_barrier_signal -1
	s_barrier_wait -1
	ds_store_b64 v112, v[100:101]
	s_wait_dscnt 0x0
	s_barrier_signal -1
	s_barrier_wait -1
	ds_load_b64 v[114:115], v116 offset:64
	v_mov_b32_e32 v112, 8
	s_cmp_lt_i32 s18, 10
	s_cbranch_scc1 .LBB104_170
; %bb.168:
	v_add3_u32 v113, v117, 0, 0x48
	v_mov_b32_e32 v112, 8
	s_mov_b32 s0, 9
.LBB104_169:                            ; =>This Inner Loop Header: Depth=1
	ds_load_b64 v[122:123], v113
	s_wait_dscnt 0x1
	v_cmp_gt_f32_e32 vcc_lo, 0, v114
	v_cndmask_b32_e64 v124, v114, -v114, vcc_lo
	v_cmp_gt_f32_e32 vcc_lo, 0, v115
	v_cndmask_b32_e64 v126, v115, -v115, vcc_lo
	s_wait_dscnt 0x0
	v_cmp_gt_f32_e32 vcc_lo, 0, v122
	v_cndmask_b32_e64 v125, v122, -v122, vcc_lo
	v_cmp_gt_f32_e32 vcc_lo, 0, v123
	v_cndmask_b32_e64 v127, v123, -v123, vcc_lo
	s_delay_alu instid0(VALU_DEP_1) | instskip(NEXT) | instid1(VALU_DEP_1)
	v_pk_add_f32 v[124:125], v[124:125], v[126:127]
	v_cmp_lt_f32_e32 vcc_lo, v124, v125
	v_dual_add_nc_u32 v113, 8, v113 :: v_dual_cndmask_b32 v115, v115, v123, vcc_lo
	v_cndmask_b32_e32 v114, v114, v122, vcc_lo
	v_cndmask_b32_e64 v112, v112, s0, vcc_lo
	s_add_co_i32 s0, s0, 1
	s_delay_alu instid0(SALU_CYCLE_1)
	s_cmp_lg_u32 s18, s0
	s_cbranch_scc1 .LBB104_169
.LBB104_170:
	s_wait_dscnt 0x0
	v_cmp_eq_f32_e32 vcc_lo, 0, v114
	v_cmp_eq_f32_e64 s0, 0, v115
	s_and_b32 s0, vcc_lo, s0
	s_delay_alu instid0(SALU_CYCLE_1) | instskip(NEXT) | instid1(SALU_CYCLE_1)
	s_and_saveexec_b32 s1, s0
	s_xor_b32 s0, exec_lo, s1
; %bb.171:
	v_cmp_ne_u32_e32 vcc_lo, 0, v118
	v_cndmask_b32_e32 v118, 9, v118, vcc_lo
; %bb.172:
	s_and_not1_saveexec_b32 s0, s0
	s_cbranch_execz .LBB104_178
; %bb.173:
	v_cmp_ngt_f32_e64 s1, |v114|, |v115|
	s_and_saveexec_b32 s12, s1
	s_delay_alu instid0(SALU_CYCLE_1)
	s_xor_b32 s1, exec_lo, s12
	s_cbranch_execz .LBB104_175
; %bb.174:
	v_div_scale_f32 v113, null, v115, v115, v114
	v_div_scale_f32 v123, vcc_lo, v114, v115, v114
	s_delay_alu instid0(VALU_DEP_2) | instskip(SKIP_1) | instid1(TRANS32_DEP_1)
	v_rcp_f32_e32 v121, v113
	v_nop
	v_fma_f32 v122, -v113, v121, 1.0
	s_delay_alu instid0(VALU_DEP_1) | instskip(NEXT) | instid1(VALU_DEP_1)
	v_fmac_f32_e32 v121, v122, v121
	v_mul_f32_e32 v122, v123, v121
	s_delay_alu instid0(VALU_DEP_1) | instskip(NEXT) | instid1(VALU_DEP_1)
	v_fma_f32 v124, -v113, v122, v123
	v_fmac_f32_e32 v122, v124, v121
	s_delay_alu instid0(VALU_DEP_1) | instskip(NEXT) | instid1(VALU_DEP_1)
	v_fma_f32 v113, -v113, v122, v123
	v_div_fmas_f32 v113, v113, v121, v122
	s_delay_alu instid0(VALU_DEP_1) | instskip(NEXT) | instid1(VALU_DEP_1)
	v_div_fixup_f32 v113, v113, v115, v114
	v_fmac_f32_e32 v115, v114, v113
	s_delay_alu instid0(VALU_DEP_1) | instskip(SKIP_1) | instid1(VALU_DEP_2)
	v_div_scale_f32 v114, null, v115, v115, 1.0
	v_div_scale_f32 v123, vcc_lo, 1.0, v115, 1.0
	v_rcp_f32_e32 v121, v114
	v_nop
	s_delay_alu instid0(TRANS32_DEP_1) | instskip(NEXT) | instid1(VALU_DEP_1)
	v_fma_f32 v122, -v114, v121, 1.0
	v_fmac_f32_e32 v121, v122, v121
	s_delay_alu instid0(VALU_DEP_1) | instskip(NEXT) | instid1(VALU_DEP_1)
	v_mul_f32_e32 v122, v123, v121
	v_fma_f32 v124, -v114, v122, v123
	s_delay_alu instid0(VALU_DEP_1) | instskip(NEXT) | instid1(VALU_DEP_1)
	v_fmac_f32_e32 v122, v124, v121
	v_fma_f32 v114, -v114, v122, v123
	s_delay_alu instid0(VALU_DEP_1) | instskip(NEXT) | instid1(VALU_DEP_1)
	v_div_fmas_f32 v114, v114, v121, v122
	v_div_fixup_f32 v115, v114, v115, 1.0
	s_delay_alu instid0(VALU_DEP_1)
	v_mul_f32_e32 v114, v113, v115
	v_xor_b32_e32 v115, 0x80000000, v115
.LBB104_175:
	s_and_not1_saveexec_b32 s1, s1
	s_cbranch_execz .LBB104_177
; %bb.176:
	s_delay_alu instid0(VALU_DEP_1) | instskip(SKIP_1) | instid1(VALU_DEP_2)
	v_div_scale_f32 v113, null, v114, v114, v115
	v_div_scale_f32 v123, vcc_lo, v115, v114, v115
	v_rcp_f32_e32 v121, v113
	v_nop
	s_delay_alu instid0(TRANS32_DEP_1) | instskip(NEXT) | instid1(VALU_DEP_1)
	v_fma_f32 v122, -v113, v121, 1.0
	v_fmac_f32_e32 v121, v122, v121
	s_delay_alu instid0(VALU_DEP_1) | instskip(NEXT) | instid1(VALU_DEP_1)
	v_mul_f32_e32 v122, v123, v121
	v_fma_f32 v124, -v113, v122, v123
	s_delay_alu instid0(VALU_DEP_1) | instskip(NEXT) | instid1(VALU_DEP_1)
	v_fmac_f32_e32 v122, v124, v121
	v_fma_f32 v113, -v113, v122, v123
	s_delay_alu instid0(VALU_DEP_1) | instskip(NEXT) | instid1(VALU_DEP_1)
	v_div_fmas_f32 v113, v113, v121, v122
	v_div_fixup_f32 v113, v113, v114, v115
	s_delay_alu instid0(VALU_DEP_1) | instskip(NEXT) | instid1(VALU_DEP_1)
	v_fmac_f32_e32 v114, v115, v113
	v_div_scale_f32 v115, null, v114, v114, 1.0
	s_delay_alu instid0(VALU_DEP_1) | instskip(SKIP_1) | instid1(TRANS32_DEP_1)
	v_rcp_f32_e32 v121, v115
	v_nop
	v_fma_f32 v122, -v115, v121, 1.0
	s_delay_alu instid0(VALU_DEP_1) | instskip(SKIP_1) | instid1(VALU_DEP_1)
	v_fmac_f32_e32 v121, v122, v121
	v_div_scale_f32 v122, vcc_lo, 1.0, v114, 1.0
	v_mul_f32_e32 v123, v122, v121
	s_delay_alu instid0(VALU_DEP_1) | instskip(NEXT) | instid1(VALU_DEP_1)
	v_fma_f32 v124, -v115, v123, v122
	v_fmac_f32_e32 v123, v124, v121
	s_delay_alu instid0(VALU_DEP_1) | instskip(NEXT) | instid1(VALU_DEP_1)
	v_fma_f32 v115, -v115, v123, v122
	v_div_fmas_f32 v115, v115, v121, v123
	s_delay_alu instid0(VALU_DEP_1) | instskip(NEXT) | instid1(VALU_DEP_1)
	v_div_fixup_f32 v114, v115, v114, 1.0
	v_mul_f32_e64 v115, v113, -v114
.LBB104_177:
	s_or_b32 exec_lo, exec_lo, s1
.LBB104_178:
	s_delay_alu instid0(SALU_CYCLE_1) | instskip(NEXT) | instid1(SALU_CYCLE_1)
	s_or_b32 exec_lo, exec_lo, s0
	s_mov_b32 s0, exec_lo
	v_cmpx_ne_u32_e64 v120, v112
	s_xor_b32 s0, exec_lo, s0
	s_cbranch_execz .LBB104_184
; %bb.179:
	s_mov_b32 s1, exec_lo
	v_cmpx_eq_u32_e32 8, v120
	s_cbranch_execz .LBB104_183
; %bb.180:
	v_cmp_ne_u32_e32 vcc_lo, 8, v112
	s_xor_b32 s12, s16, -1
	s_delay_alu instid0(SALU_CYCLE_1) | instskip(NEXT) | instid1(SALU_CYCLE_1)
	s_and_b32 s13, s12, vcc_lo
	s_and_saveexec_b32 s12, s13
	s_cbranch_execz .LBB104_182
; %bb.181:
	v_ashrrev_i32_e32 v113, 31, v112
	s_delay_alu instid0(VALU_DEP_1)
	v_lshl_add_u64 v[120:121], v[112:113], 2, v[4:5]
	s_clause 0x1
	global_load_b32 v113, v[120:121], off
	global_load_b32 v119, v[4:5], off offset:32
	s_wait_loadcnt 0x1
	global_store_b32 v[4:5], v113, off offset:32
	s_wait_loadcnt 0x0
	global_store_b32 v[120:121], v119, off
.LBB104_182:
	s_wait_xcnt 0x0
	s_or_b32 exec_lo, exec_lo, s12
	v_dual_mov_b32 v120, v112 :: v_dual_mov_b32 v119, v112
.LBB104_183:
	s_or_b32 exec_lo, exec_lo, s1
.LBB104_184:
	s_and_not1_saveexec_b32 s0, s0
	s_cbranch_execz .LBB104_186
; %bb.185:
	v_mov_b32_e32 v120, 8
	ds_store_2addr_b64 v116, v[96:97], v[98:99] offset0:9 offset1:10
	ds_store_2addr_b64 v116, v[94:95], v[92:93] offset0:11 offset1:12
	;; [unrolled: 1-line block ×22, first 2 shown]
.LBB104_186:
	s_or_b32 exec_lo, exec_lo, s0
	s_delay_alu instid0(SALU_CYCLE_1)
	s_mov_b32 s0, exec_lo
	s_wait_storecnt_dscnt 0x0
	s_barrier_signal -1
	s_barrier_wait -1
	v_cmpx_lt_i32_e32 8, v120
	s_cbranch_execz .LBB104_188
; %bb.187:
	v_pk_mul_f32 v[122:123], v[114:115], v[100:101] op_sel:[1,1] op_sel_hi:[0,1]
	s_delay_alu instid0(VALU_DEP_1)
	v_pk_fma_f32 v[112:113], v[114:115], v[100:101], v[122:123] op_sel_hi:[1,0,1] neg_lo:[0,0,1] neg_hi:[0,0,1]
	v_pk_fma_f32 v[114:115], v[114:115], v[100:101], v[122:123] op_sel_hi:[1,0,1]
	ds_load_2addr_b64 v[122:125], v116 offset0:9 offset1:10
	v_dual_mov_b32 v100, v112 :: v_dual_mov_b32 v101, v115
	s_wait_dscnt 0x0
	v_pk_mul_f32 v[126:127], v[122:123], v[114:115] op_sel:[0,1]
	s_delay_alu instid0(VALU_DEP_1) | instskip(SKIP_1) | instid1(VALU_DEP_1)
	v_pk_fma_f32 v[128:129], v[122:123], v[112:113], v[126:127] op_sel:[0,0,1] op_sel_hi:[1,1,0] neg_lo:[0,0,1] neg_hi:[0,0,1]
	v_pk_fma_f32 v[122:123], v[122:123], v[112:113], v[126:127] op_sel:[0,0,1] op_sel_hi:[1,0,0]
	v_mov_b32_e32 v129, v123
	v_pk_mul_f32 v[122:123], v[124:125], v[114:115] op_sel:[0,1]
	s_delay_alu instid0(VALU_DEP_1) | instskip(SKIP_1) | instid1(VALU_DEP_1)
	v_pk_fma_f32 v[126:127], v[124:125], v[112:113], v[122:123] op_sel:[0,0,1] op_sel_hi:[1,1,0] neg_lo:[0,0,1] neg_hi:[0,0,1]
	v_pk_fma_f32 v[122:123], v[124:125], v[112:113], v[122:123] op_sel:[0,0,1] op_sel_hi:[1,0,0]
	v_mov_b32_e32 v127, v123
	ds_load_2addr_b64 v[122:125], v116 offset0:11 offset1:12
	v_pk_add_f32 v[96:97], v[96:97], v[128:129] neg_lo:[0,1] neg_hi:[0,1]
	v_pk_add_f32 v[98:99], v[98:99], v[126:127] neg_lo:[0,1] neg_hi:[0,1]
	s_wait_dscnt 0x0
	v_pk_mul_f32 v[126:127], v[122:123], v[114:115] op_sel:[0,1]
	s_delay_alu instid0(VALU_DEP_1) | instskip(SKIP_2) | instid1(VALU_DEP_2)
	v_pk_fma_f32 v[128:129], v[122:123], v[112:113], v[126:127] op_sel:[0,0,1] op_sel_hi:[1,1,0] neg_lo:[0,0,1] neg_hi:[0,0,1]
	v_pk_fma_f32 v[122:123], v[122:123], v[112:113], v[126:127] op_sel:[0,0,1] op_sel_hi:[1,0,0]
	v_dual_mul_f32 v126, v125, v115 :: v_dual_mov_b32 v122, v125
	v_dual_mov_b32 v129, v123 :: v_dual_mov_b32 v123, v124
	s_delay_alu instid0(VALU_DEP_2) | instskip(SKIP_1) | instid1(VALU_DEP_3)
	v_pk_fma_f32 v[126:127], v[124:125], v[100:101], v[126:127] op_sel_hi:[1,1,0] neg_lo:[0,0,1] neg_hi:[0,0,1]
	v_mul_f32_e32 v124, v125, v112
	v_pk_add_f32 v[94:95], v[94:95], v[128:129] neg_lo:[0,1] neg_hi:[0,1]
	s_delay_alu instid0(VALU_DEP_2) | instskip(NEXT) | instid1(VALU_DEP_1)
	v_pk_fma_f32 v[122:123], v[122:123], v[100:101], v[124:125] op_sel_hi:[1,1,0]
	v_mov_b32_e32 v127, v123
	ds_load_2addr_b64 v[122:125], v116 offset0:13 offset1:14
	v_pk_add_f32 v[92:93], v[92:93], v[126:127] neg_lo:[0,1] neg_hi:[0,1]
	s_wait_dscnt 0x0
	v_pk_mul_f32 v[126:127], v[122:123], v[114:115] op_sel:[0,1]
	s_delay_alu instid0(VALU_DEP_1) | instskip(SKIP_1) | instid1(VALU_DEP_1)
	v_pk_fma_f32 v[128:129], v[122:123], v[112:113], v[126:127] op_sel:[0,0,1] op_sel_hi:[1,1,0] neg_lo:[0,0,1] neg_hi:[0,0,1]
	v_pk_fma_f32 v[122:123], v[122:123], v[112:113], v[126:127] op_sel:[0,0,1] op_sel_hi:[1,0,0]
	v_mov_b32_e32 v129, v123
	v_pk_mul_f32 v[122:123], v[124:125], v[114:115] op_sel:[0,1]
	s_delay_alu instid0(VALU_DEP_1) | instskip(SKIP_1) | instid1(VALU_DEP_1)
	v_pk_fma_f32 v[126:127], v[124:125], v[112:113], v[122:123] op_sel:[0,0,1] op_sel_hi:[1,1,0] neg_lo:[0,0,1] neg_hi:[0,0,1]
	v_pk_fma_f32 v[122:123], v[124:125], v[112:113], v[122:123] op_sel:[0,0,1] op_sel_hi:[1,0,0]
	v_mov_b32_e32 v127, v123
	ds_load_2addr_b64 v[122:125], v116 offset0:15 offset1:16
	v_pk_add_f32 v[88:89], v[88:89], v[128:129] neg_lo:[0,1] neg_hi:[0,1]
	v_pk_add_f32 v[90:91], v[90:91], v[126:127] neg_lo:[0,1] neg_hi:[0,1]
	s_wait_dscnt 0x0
	v_pk_mul_f32 v[126:127], v[122:123], v[114:115] op_sel:[0,1]
	s_delay_alu instid0(VALU_DEP_1) | instskip(SKIP_1) | instid1(VALU_DEP_1)
	v_pk_fma_f32 v[128:129], v[122:123], v[112:113], v[126:127] op_sel:[0,0,1] op_sel_hi:[1,1,0] neg_lo:[0,0,1] neg_hi:[0,0,1]
	v_pk_fma_f32 v[122:123], v[122:123], v[112:113], v[126:127] op_sel:[0,0,1] op_sel_hi:[1,0,0]
	v_mov_b32_e32 v129, v123
	v_pk_mul_f32 v[122:123], v[124:125], v[114:115] op_sel:[0,1]
	s_delay_alu instid0(VALU_DEP_1) | instskip(SKIP_1) | instid1(VALU_DEP_1)
	v_pk_fma_f32 v[126:127], v[124:125], v[112:113], v[122:123] op_sel:[0,0,1] op_sel_hi:[1,1,0] neg_lo:[0,0,1] neg_hi:[0,0,1]
	v_pk_fma_f32 v[122:123], v[124:125], v[112:113], v[122:123] op_sel:[0,0,1] op_sel_hi:[1,0,0]
	v_mov_b32_e32 v127, v123
	ds_load_2addr_b64 v[122:125], v116 offset0:17 offset1:18
	v_pk_add_f32 v[86:87], v[86:87], v[128:129] neg_lo:[0,1] neg_hi:[0,1]
	v_pk_add_f32 v[84:85], v[84:85], v[126:127] neg_lo:[0,1] neg_hi:[0,1]
	s_wait_dscnt 0x0
	v_dual_mul_f32 v126, v123, v115 :: v_dual_mul_f32 v128, v123, v112
	s_delay_alu instid0(VALU_DEP_1) | instskip(NEXT) | instid1(VALU_DEP_2)
	v_pk_fma_f32 v[126:127], v[122:123], v[100:101], v[126:127] op_sel_hi:[1,1,0] neg_lo:[0,0,1] neg_hi:[0,0,1]
	v_pk_fma_f32 v[122:123], v[122:123], v[100:101], v[128:129] op_sel:[1,0,0] op_sel_hi:[0,1,0]
	s_delay_alu instid0(VALU_DEP_1) | instskip(SKIP_1) | instid1(VALU_DEP_2)
	v_mov_b32_e32 v127, v123
	v_pk_mul_f32 v[122:123], v[124:125], v[114:115] op_sel:[0,1]
	v_pk_add_f32 v[80:81], v[80:81], v[126:127] neg_lo:[0,1] neg_hi:[0,1]
	s_delay_alu instid0(VALU_DEP_2) | instskip(SKIP_1) | instid1(VALU_DEP_1)
	v_pk_fma_f32 v[126:127], v[124:125], v[112:113], v[122:123] op_sel:[0,0,1] op_sel_hi:[1,1,0] neg_lo:[0,0,1] neg_hi:[0,0,1]
	v_pk_fma_f32 v[122:123], v[124:125], v[112:113], v[122:123] op_sel:[0,0,1] op_sel_hi:[1,0,0]
	v_mov_b32_e32 v127, v123
	ds_load_2addr_b64 v[122:125], v116 offset0:19 offset1:20
	v_pk_add_f32 v[82:83], v[82:83], v[126:127] neg_lo:[0,1] neg_hi:[0,1]
	s_wait_dscnt 0x0
	v_pk_mul_f32 v[126:127], v[122:123], v[114:115] op_sel:[0,1]
	s_delay_alu instid0(VALU_DEP_1) | instskip(SKIP_1) | instid1(VALU_DEP_1)
	v_pk_fma_f32 v[128:129], v[122:123], v[112:113], v[126:127] op_sel:[0,0,1] op_sel_hi:[1,1,0] neg_lo:[0,0,1] neg_hi:[0,0,1]
	v_pk_fma_f32 v[122:123], v[122:123], v[112:113], v[126:127] op_sel:[0,0,1] op_sel_hi:[1,0,0]
	v_mov_b32_e32 v129, v123
	v_pk_mul_f32 v[122:123], v[124:125], v[114:115] op_sel:[0,1]
	s_delay_alu instid0(VALU_DEP_2) | instskip(NEXT) | instid1(VALU_DEP_2)
	v_pk_add_f32 v[78:79], v[78:79], v[128:129] neg_lo:[0,1] neg_hi:[0,1]
	v_pk_fma_f32 v[126:127], v[124:125], v[112:113], v[122:123] op_sel:[0,0,1] op_sel_hi:[1,1,0] neg_lo:[0,0,1] neg_hi:[0,0,1]
	v_pk_fma_f32 v[122:123], v[124:125], v[112:113], v[122:123] op_sel:[0,0,1] op_sel_hi:[1,0,0]
	s_delay_alu instid0(VALU_DEP_1) | instskip(SKIP_4) | instid1(VALU_DEP_1)
	v_mov_b32_e32 v127, v123
	ds_load_2addr_b64 v[122:125], v116 offset0:21 offset1:22
	v_pk_add_f32 v[76:77], v[76:77], v[126:127] neg_lo:[0,1] neg_hi:[0,1]
	s_wait_dscnt 0x0
	v_pk_mul_f32 v[126:127], v[122:123], v[114:115] op_sel:[0,1]
	v_pk_fma_f32 v[128:129], v[122:123], v[112:113], v[126:127] op_sel:[0,0,1] op_sel_hi:[1,1,0] neg_lo:[0,0,1] neg_hi:[0,0,1]
	v_pk_fma_f32 v[122:123], v[122:123], v[112:113], v[126:127] op_sel:[0,0,1] op_sel_hi:[1,0,0]
	v_dual_mul_f32 v126, v125, v115 :: v_dual_mov_b32 v122, v125
	s_delay_alu instid0(VALU_DEP_2) | instskip(NEXT) | instid1(VALU_DEP_2)
	v_dual_mov_b32 v129, v123 :: v_dual_mov_b32 v123, v124
	v_pk_fma_f32 v[126:127], v[124:125], v[100:101], v[126:127] op_sel_hi:[1,1,0] neg_lo:[0,0,1] neg_hi:[0,0,1]
	v_mul_f32_e32 v124, v125, v112
	s_delay_alu instid0(VALU_DEP_3) | instskip(NEXT) | instid1(VALU_DEP_2)
	v_pk_add_f32 v[72:73], v[72:73], v[128:129] neg_lo:[0,1] neg_hi:[0,1]
	v_pk_fma_f32 v[122:123], v[122:123], v[100:101], v[124:125] op_sel_hi:[1,1,0]
	s_delay_alu instid0(VALU_DEP_1) | instskip(SKIP_4) | instid1(VALU_DEP_1)
	v_mov_b32_e32 v127, v123
	ds_load_2addr_b64 v[122:125], v116 offset0:23 offset1:24
	v_pk_add_f32 v[74:75], v[74:75], v[126:127] neg_lo:[0,1] neg_hi:[0,1]
	s_wait_dscnt 0x0
	v_pk_mul_f32 v[126:127], v[122:123], v[114:115] op_sel:[0,1]
	v_pk_fma_f32 v[128:129], v[122:123], v[112:113], v[126:127] op_sel:[0,0,1] op_sel_hi:[1,1,0] neg_lo:[0,0,1] neg_hi:[0,0,1]
	v_pk_fma_f32 v[122:123], v[122:123], v[112:113], v[126:127] op_sel:[0,0,1] op_sel_hi:[1,0,0]
	s_delay_alu instid0(VALU_DEP_1) | instskip(SKIP_1) | instid1(VALU_DEP_1)
	v_mov_b32_e32 v129, v123
	v_pk_mul_f32 v[122:123], v[124:125], v[114:115] op_sel:[0,1]
	v_pk_fma_f32 v[126:127], v[124:125], v[112:113], v[122:123] op_sel:[0,0,1] op_sel_hi:[1,1,0] neg_lo:[0,0,1] neg_hi:[0,0,1]
	v_pk_fma_f32 v[122:123], v[124:125], v[112:113], v[122:123] op_sel:[0,0,1] op_sel_hi:[1,0,0]
	s_delay_alu instid0(VALU_DEP_1)
	v_mov_b32_e32 v127, v123
	ds_load_2addr_b64 v[122:125], v116 offset0:25 offset1:26
	v_pk_add_f32 v[70:71], v[70:71], v[128:129] neg_lo:[0,1] neg_hi:[0,1]
	v_pk_add_f32 v[68:69], v[68:69], v[126:127] neg_lo:[0,1] neg_hi:[0,1]
	s_wait_dscnt 0x0
	v_pk_mul_f32 v[126:127], v[122:123], v[114:115] op_sel:[0,1]
	s_delay_alu instid0(VALU_DEP_1) | instskip(SKIP_1) | instid1(VALU_DEP_1)
	v_pk_fma_f32 v[128:129], v[122:123], v[112:113], v[126:127] op_sel:[0,0,1] op_sel_hi:[1,1,0] neg_lo:[0,0,1] neg_hi:[0,0,1]
	v_pk_fma_f32 v[122:123], v[122:123], v[112:113], v[126:127] op_sel:[0,0,1] op_sel_hi:[1,0,0]
	v_mov_b32_e32 v129, v123
	v_pk_mul_f32 v[122:123], v[124:125], v[114:115] op_sel:[0,1]
	s_delay_alu instid0(VALU_DEP_1) | instskip(SKIP_1) | instid1(VALU_DEP_1)
	v_pk_fma_f32 v[126:127], v[124:125], v[112:113], v[122:123] op_sel:[0,0,1] op_sel_hi:[1,1,0] neg_lo:[0,0,1] neg_hi:[0,0,1]
	v_pk_fma_f32 v[122:123], v[124:125], v[112:113], v[122:123] op_sel:[0,0,1] op_sel_hi:[1,0,0]
	v_mov_b32_e32 v127, v123
	ds_load_2addr_b64 v[122:125], v116 offset0:27 offset1:28
	v_pk_add_f32 v[64:65], v[64:65], v[128:129] neg_lo:[0,1] neg_hi:[0,1]
	v_pk_add_f32 v[66:67], v[66:67], v[126:127] neg_lo:[0,1] neg_hi:[0,1]
	s_wait_dscnt 0x0
	v_dual_mul_f32 v126, v123, v115 :: v_dual_mul_f32 v128, v123, v112
	s_delay_alu instid0(VALU_DEP_1) | instskip(NEXT) | instid1(VALU_DEP_2)
	v_pk_fma_f32 v[126:127], v[122:123], v[100:101], v[126:127] op_sel_hi:[1,1,0] neg_lo:[0,0,1] neg_hi:[0,0,1]
	v_pk_fma_f32 v[122:123], v[122:123], v[100:101], v[128:129] op_sel:[1,0,0] op_sel_hi:[0,1,0]
	s_delay_alu instid0(VALU_DEP_1) | instskip(SKIP_1) | instid1(VALU_DEP_2)
	v_mov_b32_e32 v127, v123
	v_pk_mul_f32 v[122:123], v[124:125], v[114:115] op_sel:[0,1]
	v_pk_add_f32 v[62:63], v[62:63], v[126:127] neg_lo:[0,1] neg_hi:[0,1]
	s_delay_alu instid0(VALU_DEP_2) | instskip(SKIP_1) | instid1(VALU_DEP_1)
	v_pk_fma_f32 v[126:127], v[124:125], v[112:113], v[122:123] op_sel:[0,0,1] op_sel_hi:[1,1,0] neg_lo:[0,0,1] neg_hi:[0,0,1]
	v_pk_fma_f32 v[122:123], v[124:125], v[112:113], v[122:123] op_sel:[0,0,1] op_sel_hi:[1,0,0]
	v_mov_b32_e32 v127, v123
	ds_load_2addr_b64 v[122:125], v116 offset0:29 offset1:30
	v_pk_add_f32 v[52:53], v[52:53], v[126:127] neg_lo:[0,1] neg_hi:[0,1]
	s_wait_dscnt 0x0
	v_pk_mul_f32 v[126:127], v[122:123], v[114:115] op_sel:[0,1]
	s_delay_alu instid0(VALU_DEP_1) | instskip(SKIP_1) | instid1(VALU_DEP_1)
	v_pk_fma_f32 v[128:129], v[122:123], v[112:113], v[126:127] op_sel:[0,0,1] op_sel_hi:[1,1,0] neg_lo:[0,0,1] neg_hi:[0,0,1]
	v_pk_fma_f32 v[122:123], v[122:123], v[112:113], v[126:127] op_sel:[0,0,1] op_sel_hi:[1,0,0]
	v_mov_b32_e32 v129, v123
	v_pk_mul_f32 v[122:123], v[124:125], v[114:115] op_sel:[0,1]
	s_delay_alu instid0(VALU_DEP_2) | instskip(NEXT) | instid1(VALU_DEP_2)
	v_pk_add_f32 v[48:49], v[48:49], v[128:129] neg_lo:[0,1] neg_hi:[0,1]
	v_pk_fma_f32 v[126:127], v[124:125], v[112:113], v[122:123] op_sel:[0,0,1] op_sel_hi:[1,1,0] neg_lo:[0,0,1] neg_hi:[0,0,1]
	v_pk_fma_f32 v[122:123], v[124:125], v[112:113], v[122:123] op_sel:[0,0,1] op_sel_hi:[1,0,0]
	s_delay_alu instid0(VALU_DEP_1) | instskip(SKIP_4) | instid1(VALU_DEP_1)
	v_mov_b32_e32 v127, v123
	ds_load_2addr_b64 v[122:125], v116 offset0:31 offset1:32
	v_pk_add_f32 v[50:51], v[50:51], v[126:127] neg_lo:[0,1] neg_hi:[0,1]
	s_wait_dscnt 0x0
	v_pk_mul_f32 v[126:127], v[122:123], v[114:115] op_sel:[0,1]
	v_pk_fma_f32 v[128:129], v[122:123], v[112:113], v[126:127] op_sel:[0,0,1] op_sel_hi:[1,1,0] neg_lo:[0,0,1] neg_hi:[0,0,1]
	v_pk_fma_f32 v[122:123], v[122:123], v[112:113], v[126:127] op_sel:[0,0,1] op_sel_hi:[1,0,0]
	v_dual_mul_f32 v126, v125, v115 :: v_dual_mov_b32 v122, v125
	s_delay_alu instid0(VALU_DEP_2) | instskip(NEXT) | instid1(VALU_DEP_2)
	v_dual_mov_b32 v129, v123 :: v_dual_mov_b32 v123, v124
	v_pk_fma_f32 v[126:127], v[124:125], v[100:101], v[126:127] op_sel_hi:[1,1,0] neg_lo:[0,0,1] neg_hi:[0,0,1]
	v_mul_f32_e32 v124, v125, v112
	s_delay_alu instid0(VALU_DEP_3) | instskip(NEXT) | instid1(VALU_DEP_2)
	v_pk_add_f32 v[46:47], v[46:47], v[128:129] neg_lo:[0,1] neg_hi:[0,1]
	v_pk_fma_f32 v[122:123], v[122:123], v[100:101], v[124:125] op_sel_hi:[1,1,0]
	s_delay_alu instid0(VALU_DEP_1) | instskip(SKIP_4) | instid1(VALU_DEP_1)
	v_mov_b32_e32 v127, v123
	ds_load_2addr_b64 v[122:125], v116 offset0:33 offset1:34
	v_pk_add_f32 v[44:45], v[44:45], v[126:127] neg_lo:[0,1] neg_hi:[0,1]
	s_wait_dscnt 0x0
	v_pk_mul_f32 v[126:127], v[122:123], v[114:115] op_sel:[0,1]
	v_pk_fma_f32 v[128:129], v[122:123], v[112:113], v[126:127] op_sel:[0,0,1] op_sel_hi:[1,1,0] neg_lo:[0,0,1] neg_hi:[0,0,1]
	v_pk_fma_f32 v[122:123], v[122:123], v[112:113], v[126:127] op_sel:[0,0,1] op_sel_hi:[1,0,0]
	s_delay_alu instid0(VALU_DEP_1) | instskip(SKIP_1) | instid1(VALU_DEP_1)
	v_mov_b32_e32 v129, v123
	v_pk_mul_f32 v[122:123], v[124:125], v[114:115] op_sel:[0,1]
	v_pk_fma_f32 v[126:127], v[124:125], v[112:113], v[122:123] op_sel:[0,0,1] op_sel_hi:[1,1,0] neg_lo:[0,0,1] neg_hi:[0,0,1]
	v_pk_fma_f32 v[122:123], v[124:125], v[112:113], v[122:123] op_sel:[0,0,1] op_sel_hi:[1,0,0]
	s_delay_alu instid0(VALU_DEP_1)
	v_mov_b32_e32 v127, v123
	ds_load_2addr_b64 v[122:125], v116 offset0:35 offset1:36
	v_pk_add_f32 v[40:41], v[40:41], v[128:129] neg_lo:[0,1] neg_hi:[0,1]
	v_pk_add_f32 v[42:43], v[42:43], v[126:127] neg_lo:[0,1] neg_hi:[0,1]
	s_wait_dscnt 0x0
	v_pk_mul_f32 v[126:127], v[122:123], v[114:115] op_sel:[0,1]
	s_delay_alu instid0(VALU_DEP_1) | instskip(SKIP_1) | instid1(VALU_DEP_1)
	v_pk_fma_f32 v[128:129], v[122:123], v[112:113], v[126:127] op_sel:[0,0,1] op_sel_hi:[1,1,0] neg_lo:[0,0,1] neg_hi:[0,0,1]
	v_pk_fma_f32 v[122:123], v[122:123], v[112:113], v[126:127] op_sel:[0,0,1] op_sel_hi:[1,0,0]
	v_mov_b32_e32 v129, v123
	v_pk_mul_f32 v[122:123], v[124:125], v[114:115] op_sel:[0,1]
	s_delay_alu instid0(VALU_DEP_1) | instskip(SKIP_1) | instid1(VALU_DEP_1)
	v_pk_fma_f32 v[126:127], v[124:125], v[112:113], v[122:123] op_sel:[0,0,1] op_sel_hi:[1,1,0] neg_lo:[0,0,1] neg_hi:[0,0,1]
	v_pk_fma_f32 v[122:123], v[124:125], v[112:113], v[122:123] op_sel:[0,0,1] op_sel_hi:[1,0,0]
	v_mov_b32_e32 v127, v123
	ds_load_2addr_b64 v[122:125], v116 offset0:37 offset1:38
	v_pk_add_f32 v[38:39], v[38:39], v[128:129] neg_lo:[0,1] neg_hi:[0,1]
	v_pk_add_f32 v[36:37], v[36:37], v[126:127] neg_lo:[0,1] neg_hi:[0,1]
	s_wait_dscnt 0x0
	v_dual_mul_f32 v126, v123, v115 :: v_dual_mul_f32 v128, v123, v112
	s_delay_alu instid0(VALU_DEP_1) | instskip(NEXT) | instid1(VALU_DEP_2)
	v_pk_fma_f32 v[126:127], v[122:123], v[100:101], v[126:127] op_sel_hi:[1,1,0] neg_lo:[0,0,1] neg_hi:[0,0,1]
	v_pk_fma_f32 v[122:123], v[122:123], v[100:101], v[128:129] op_sel:[1,0,0] op_sel_hi:[0,1,0]
	s_delay_alu instid0(VALU_DEP_1) | instskip(SKIP_1) | instid1(VALU_DEP_2)
	v_mov_b32_e32 v127, v123
	v_pk_mul_f32 v[122:123], v[124:125], v[114:115] op_sel:[0,1]
	v_pk_add_f32 v[32:33], v[32:33], v[126:127] neg_lo:[0,1] neg_hi:[0,1]
	s_delay_alu instid0(VALU_DEP_2) | instskip(SKIP_1) | instid1(VALU_DEP_1)
	v_pk_fma_f32 v[126:127], v[124:125], v[112:113], v[122:123] op_sel:[0,0,1] op_sel_hi:[1,1,0] neg_lo:[0,0,1] neg_hi:[0,0,1]
	v_pk_fma_f32 v[122:123], v[124:125], v[112:113], v[122:123] op_sel:[0,0,1] op_sel_hi:[1,0,0]
	v_mov_b32_e32 v127, v123
	ds_load_2addr_b64 v[122:125], v116 offset0:39 offset1:40
	v_pk_add_f32 v[34:35], v[34:35], v[126:127] neg_lo:[0,1] neg_hi:[0,1]
	s_wait_dscnt 0x0
	v_pk_mul_f32 v[126:127], v[122:123], v[114:115] op_sel:[0,1]
	s_delay_alu instid0(VALU_DEP_1) | instskip(SKIP_1) | instid1(VALU_DEP_1)
	v_pk_fma_f32 v[128:129], v[122:123], v[112:113], v[126:127] op_sel:[0,0,1] op_sel_hi:[1,1,0] neg_lo:[0,0,1] neg_hi:[0,0,1]
	v_pk_fma_f32 v[122:123], v[122:123], v[112:113], v[126:127] op_sel:[0,0,1] op_sel_hi:[1,0,0]
	v_mov_b32_e32 v129, v123
	v_pk_mul_f32 v[122:123], v[124:125], v[114:115] op_sel:[0,1]
	s_delay_alu instid0(VALU_DEP_2) | instskip(NEXT) | instid1(VALU_DEP_2)
	v_pk_add_f32 v[30:31], v[30:31], v[128:129] neg_lo:[0,1] neg_hi:[0,1]
	v_pk_fma_f32 v[126:127], v[124:125], v[112:113], v[122:123] op_sel:[0,0,1] op_sel_hi:[1,1,0] neg_lo:[0,0,1] neg_hi:[0,0,1]
	v_pk_fma_f32 v[122:123], v[124:125], v[112:113], v[122:123] op_sel:[0,0,1] op_sel_hi:[1,0,0]
	s_delay_alu instid0(VALU_DEP_1) | instskip(SKIP_4) | instid1(VALU_DEP_1)
	v_mov_b32_e32 v127, v123
	ds_load_2addr_b64 v[122:125], v116 offset0:41 offset1:42
	v_pk_add_f32 v[26:27], v[26:27], v[126:127] neg_lo:[0,1] neg_hi:[0,1]
	s_wait_dscnt 0x0
	v_pk_mul_f32 v[126:127], v[122:123], v[114:115] op_sel:[0,1]
	v_pk_fma_f32 v[128:129], v[122:123], v[112:113], v[126:127] op_sel:[0,0,1] op_sel_hi:[1,1,0] neg_lo:[0,0,1] neg_hi:[0,0,1]
	v_pk_fma_f32 v[122:123], v[122:123], v[112:113], v[126:127] op_sel:[0,0,1] op_sel_hi:[1,0,0]
	v_dual_mul_f32 v126, v125, v115 :: v_dual_mov_b32 v122, v125
	s_delay_alu instid0(VALU_DEP_2) | instskip(NEXT) | instid1(VALU_DEP_2)
	v_dual_mov_b32 v129, v123 :: v_dual_mov_b32 v123, v124
	v_pk_fma_f32 v[126:127], v[124:125], v[100:101], v[126:127] op_sel_hi:[1,1,0] neg_lo:[0,0,1] neg_hi:[0,0,1]
	v_mul_f32_e32 v124, v125, v112
	s_delay_alu instid0(VALU_DEP_3) | instskip(NEXT) | instid1(VALU_DEP_2)
	v_pk_add_f32 v[22:23], v[22:23], v[128:129] neg_lo:[0,1] neg_hi:[0,1]
	v_pk_fma_f32 v[122:123], v[122:123], v[100:101], v[124:125] op_sel_hi:[1,1,0]
	s_delay_alu instid0(VALU_DEP_1) | instskip(SKIP_4) | instid1(VALU_DEP_1)
	v_mov_b32_e32 v127, v123
	ds_load_2addr_b64 v[122:125], v116 offset0:43 offset1:44
	v_pk_add_f32 v[24:25], v[24:25], v[126:127] neg_lo:[0,1] neg_hi:[0,1]
	s_wait_dscnt 0x0
	v_pk_mul_f32 v[126:127], v[122:123], v[114:115] op_sel:[0,1]
	v_pk_fma_f32 v[128:129], v[122:123], v[112:113], v[126:127] op_sel:[0,0,1] op_sel_hi:[1,1,0] neg_lo:[0,0,1] neg_hi:[0,0,1]
	v_pk_fma_f32 v[122:123], v[122:123], v[112:113], v[126:127] op_sel:[0,0,1] op_sel_hi:[1,0,0]
	s_delay_alu instid0(VALU_DEP_1) | instskip(SKIP_1) | instid1(VALU_DEP_1)
	v_mov_b32_e32 v129, v123
	v_pk_mul_f32 v[122:123], v[124:125], v[114:115] op_sel:[0,1]
	v_pk_fma_f32 v[126:127], v[124:125], v[112:113], v[122:123] op_sel:[0,0,1] op_sel_hi:[1,1,0] neg_lo:[0,0,1] neg_hi:[0,0,1]
	v_pk_fma_f32 v[122:123], v[124:125], v[112:113], v[122:123] op_sel:[0,0,1] op_sel_hi:[1,0,0]
	s_delay_alu instid0(VALU_DEP_1)
	v_mov_b32_e32 v127, v123
	ds_load_2addr_b64 v[122:125], v116 offset0:45 offset1:46
	v_pk_add_f32 v[20:21], v[20:21], v[128:129] neg_lo:[0,1] neg_hi:[0,1]
	v_pk_add_f32 v[14:15], v[14:15], v[126:127] neg_lo:[0,1] neg_hi:[0,1]
	s_wait_dscnt 0x0
	v_pk_mul_f32 v[126:127], v[122:123], v[114:115] op_sel:[0,1]
	s_delay_alu instid0(VALU_DEP_1) | instskip(SKIP_1) | instid1(VALU_DEP_1)
	v_pk_fma_f32 v[128:129], v[122:123], v[112:113], v[126:127] op_sel:[0,0,1] op_sel_hi:[1,1,0] neg_lo:[0,0,1] neg_hi:[0,0,1]
	v_pk_fma_f32 v[122:123], v[122:123], v[112:113], v[126:127] op_sel:[0,0,1] op_sel_hi:[1,0,0]
	v_mov_b32_e32 v129, v123
	v_pk_mul_f32 v[122:123], v[124:125], v[114:115] op_sel:[0,1]
	s_delay_alu instid0(VALU_DEP_1) | instskip(SKIP_1) | instid1(VALU_DEP_1)
	v_pk_fma_f32 v[126:127], v[124:125], v[112:113], v[122:123] op_sel:[0,0,1] op_sel_hi:[1,1,0] neg_lo:[0,0,1] neg_hi:[0,0,1]
	v_pk_fma_f32 v[122:123], v[124:125], v[112:113], v[122:123] op_sel:[0,0,1] op_sel_hi:[1,0,0]
	v_mov_b32_e32 v127, v123
	ds_load_2addr_b64 v[122:125], v116 offset0:47 offset1:48
	v_pk_add_f32 v[10:11], v[10:11], v[128:129] neg_lo:[0,1] neg_hi:[0,1]
	v_pk_add_f32 v[12:13], v[12:13], v[126:127] neg_lo:[0,1] neg_hi:[0,1]
	s_wait_dscnt 0x0
	v_dual_mul_f32 v126, v123, v115 :: v_dual_mul_f32 v128, v123, v112
	s_delay_alu instid0(VALU_DEP_1) | instskip(NEXT) | instid1(VALU_DEP_2)
	v_pk_fma_f32 v[126:127], v[122:123], v[100:101], v[126:127] op_sel_hi:[1,1,0] neg_lo:[0,0,1] neg_hi:[0,0,1]
	v_pk_fma_f32 v[122:123], v[122:123], v[100:101], v[128:129] op_sel:[1,0,0] op_sel_hi:[0,1,0]
	s_delay_alu instid0(VALU_DEP_1) | instskip(SKIP_1) | instid1(VALU_DEP_2)
	v_mov_b32_e32 v127, v123
	v_pk_mul_f32 v[122:123], v[124:125], v[114:115] op_sel:[0,1]
	v_pk_add_f32 v[8:9], v[8:9], v[126:127] neg_lo:[0,1] neg_hi:[0,1]
	s_delay_alu instid0(VALU_DEP_2) | instskip(SKIP_1) | instid1(VALU_DEP_1)
	v_pk_fma_f32 v[126:127], v[124:125], v[112:113], v[122:123] op_sel:[0,0,1] op_sel_hi:[1,1,0] neg_lo:[0,0,1] neg_hi:[0,0,1]
	v_pk_fma_f32 v[122:123], v[124:125], v[112:113], v[122:123] op_sel:[0,0,1] op_sel_hi:[1,0,0]
	v_mov_b32_e32 v127, v123
	ds_load_2addr_b64 v[122:125], v116 offset0:49 offset1:50
	v_pk_add_f32 v[6:7], v[6:7], v[126:127] neg_lo:[0,1] neg_hi:[0,1]
	s_wait_dscnt 0x0
	v_pk_mul_f32 v[126:127], v[122:123], v[114:115] op_sel:[0,1]
	s_delay_alu instid0(VALU_DEP_1) | instskip(SKIP_1) | instid1(VALU_DEP_1)
	v_pk_fma_f32 v[128:129], v[122:123], v[112:113], v[126:127] op_sel:[0,0,1] op_sel_hi:[1,1,0] neg_lo:[0,0,1] neg_hi:[0,0,1]
	v_pk_fma_f32 v[122:123], v[122:123], v[112:113], v[126:127] op_sel:[0,0,1] op_sel_hi:[1,0,0]
	v_mov_b32_e32 v129, v123
	v_pk_mul_f32 v[122:123], v[124:125], v[114:115] op_sel:[0,1]
	s_delay_alu instid0(VALU_DEP_2) | instskip(NEXT) | instid1(VALU_DEP_2)
	v_pk_add_f32 v[28:29], v[28:29], v[128:129] neg_lo:[0,1] neg_hi:[0,1]
	v_pk_fma_f32 v[126:127], v[124:125], v[112:113], v[122:123] op_sel:[0,0,1] op_sel_hi:[1,1,0] neg_lo:[0,0,1] neg_hi:[0,0,1]
	v_pk_fma_f32 v[122:123], v[124:125], v[112:113], v[122:123] op_sel:[0,0,1] op_sel_hi:[1,0,0]
	s_delay_alu instid0(VALU_DEP_1)
	v_mov_b32_e32 v127, v123
	ds_load_2addr_b64 v[122:125], v116 offset0:51 offset1:52
	v_pk_add_f32 v[18:19], v[18:19], v[126:127] neg_lo:[0,1] neg_hi:[0,1]
	s_wait_dscnt 0x0
	v_pk_mul_f32 v[126:127], v[122:123], v[114:115] op_sel:[0,1]
	v_pk_mul_f32 v[114:115], v[124:125], v[114:115] op_sel:[0,1]
	s_delay_alu instid0(VALU_DEP_2) | instskip(SKIP_1) | instid1(VALU_DEP_1)
	v_pk_fma_f32 v[128:129], v[122:123], v[112:113], v[126:127] op_sel:[0,0,1] op_sel_hi:[1,1,0] neg_lo:[0,0,1] neg_hi:[0,0,1]
	v_pk_fma_f32 v[122:123], v[122:123], v[112:113], v[126:127] op_sel:[0,0,1] op_sel_hi:[1,0,0]
	v_mov_b32_e32 v129, v123
	s_delay_alu instid0(VALU_DEP_4) | instskip(SKIP_1) | instid1(VALU_DEP_3)
	v_pk_fma_f32 v[122:123], v[124:125], v[112:113], v[114:115] op_sel:[0,0,1] op_sel_hi:[1,1,0] neg_lo:[0,0,1] neg_hi:[0,0,1]
	v_pk_fma_f32 v[112:113], v[124:125], v[112:113], v[114:115] op_sel:[0,0,1] op_sel_hi:[1,0,0]
	v_pk_add_f32 v[16:17], v[16:17], v[128:129] neg_lo:[0,1] neg_hi:[0,1]
	s_delay_alu instid0(VALU_DEP_2) | instskip(NEXT) | instid1(VALU_DEP_1)
	v_mov_b32_e32 v123, v113
	v_pk_add_f32 v[110:111], v[110:111], v[122:123] neg_lo:[0,1] neg_hi:[0,1]
.LBB104_188:
	s_or_b32 exec_lo, exec_lo, s0
	v_lshl_add_u32 v112, v120, 3, v116
	s_barrier_signal -1
	s_barrier_wait -1
	ds_store_b64 v112, v[96:97]
	s_wait_dscnt 0x0
	s_barrier_signal -1
	s_barrier_wait -1
	ds_load_b64 v[114:115], v116 offset:72
	v_mov_b32_e32 v112, 9
	s_cmp_lt_i32 s18, 11
	s_cbranch_scc1 .LBB104_191
; %bb.189:
	v_add3_u32 v113, v117, 0, 0x50
	v_mov_b32_e32 v112, 9
	s_mov_b32 s0, 10
.LBB104_190:                            ; =>This Inner Loop Header: Depth=1
	ds_load_b64 v[122:123], v113
	s_wait_dscnt 0x1
	v_cmp_gt_f32_e32 vcc_lo, 0, v114
	v_cndmask_b32_e64 v124, v114, -v114, vcc_lo
	v_cmp_gt_f32_e32 vcc_lo, 0, v115
	v_cndmask_b32_e64 v126, v115, -v115, vcc_lo
	s_wait_dscnt 0x0
	v_cmp_gt_f32_e32 vcc_lo, 0, v122
	v_cndmask_b32_e64 v125, v122, -v122, vcc_lo
	v_cmp_gt_f32_e32 vcc_lo, 0, v123
	v_cndmask_b32_e64 v127, v123, -v123, vcc_lo
	s_delay_alu instid0(VALU_DEP_1) | instskip(NEXT) | instid1(VALU_DEP_1)
	v_pk_add_f32 v[124:125], v[124:125], v[126:127]
	v_cmp_lt_f32_e32 vcc_lo, v124, v125
	v_dual_add_nc_u32 v113, 8, v113 :: v_dual_cndmask_b32 v115, v115, v123, vcc_lo
	v_cndmask_b32_e32 v114, v114, v122, vcc_lo
	v_cndmask_b32_e64 v112, v112, s0, vcc_lo
	s_add_co_i32 s0, s0, 1
	s_delay_alu instid0(SALU_CYCLE_1)
	s_cmp_lg_u32 s18, s0
	s_cbranch_scc1 .LBB104_190
.LBB104_191:
	s_wait_dscnt 0x0
	v_cmp_eq_f32_e32 vcc_lo, 0, v114
	v_cmp_eq_f32_e64 s0, 0, v115
	s_and_b32 s0, vcc_lo, s0
	s_delay_alu instid0(SALU_CYCLE_1) | instskip(NEXT) | instid1(SALU_CYCLE_1)
	s_and_saveexec_b32 s1, s0
	s_xor_b32 s0, exec_lo, s1
; %bb.192:
	v_cmp_ne_u32_e32 vcc_lo, 0, v118
	v_cndmask_b32_e32 v118, 10, v118, vcc_lo
; %bb.193:
	s_and_not1_saveexec_b32 s0, s0
	s_cbranch_execz .LBB104_199
; %bb.194:
	v_cmp_ngt_f32_e64 s1, |v114|, |v115|
	s_and_saveexec_b32 s12, s1
	s_delay_alu instid0(SALU_CYCLE_1)
	s_xor_b32 s1, exec_lo, s12
	s_cbranch_execz .LBB104_196
; %bb.195:
	v_div_scale_f32 v113, null, v115, v115, v114
	v_div_scale_f32 v123, vcc_lo, v114, v115, v114
	s_delay_alu instid0(VALU_DEP_2) | instskip(SKIP_1) | instid1(TRANS32_DEP_1)
	v_rcp_f32_e32 v121, v113
	v_nop
	v_fma_f32 v122, -v113, v121, 1.0
	s_delay_alu instid0(VALU_DEP_1) | instskip(NEXT) | instid1(VALU_DEP_1)
	v_fmac_f32_e32 v121, v122, v121
	v_mul_f32_e32 v122, v123, v121
	s_delay_alu instid0(VALU_DEP_1) | instskip(NEXT) | instid1(VALU_DEP_1)
	v_fma_f32 v124, -v113, v122, v123
	v_fmac_f32_e32 v122, v124, v121
	s_delay_alu instid0(VALU_DEP_1) | instskip(NEXT) | instid1(VALU_DEP_1)
	v_fma_f32 v113, -v113, v122, v123
	v_div_fmas_f32 v113, v113, v121, v122
	s_delay_alu instid0(VALU_DEP_1) | instskip(NEXT) | instid1(VALU_DEP_1)
	v_div_fixup_f32 v113, v113, v115, v114
	v_fmac_f32_e32 v115, v114, v113
	s_delay_alu instid0(VALU_DEP_1) | instskip(SKIP_1) | instid1(VALU_DEP_2)
	v_div_scale_f32 v114, null, v115, v115, 1.0
	v_div_scale_f32 v123, vcc_lo, 1.0, v115, 1.0
	v_rcp_f32_e32 v121, v114
	v_nop
	s_delay_alu instid0(TRANS32_DEP_1) | instskip(NEXT) | instid1(VALU_DEP_1)
	v_fma_f32 v122, -v114, v121, 1.0
	v_fmac_f32_e32 v121, v122, v121
	s_delay_alu instid0(VALU_DEP_1) | instskip(NEXT) | instid1(VALU_DEP_1)
	v_mul_f32_e32 v122, v123, v121
	v_fma_f32 v124, -v114, v122, v123
	s_delay_alu instid0(VALU_DEP_1) | instskip(NEXT) | instid1(VALU_DEP_1)
	v_fmac_f32_e32 v122, v124, v121
	v_fma_f32 v114, -v114, v122, v123
	s_delay_alu instid0(VALU_DEP_1) | instskip(NEXT) | instid1(VALU_DEP_1)
	v_div_fmas_f32 v114, v114, v121, v122
	v_div_fixup_f32 v115, v114, v115, 1.0
	s_delay_alu instid0(VALU_DEP_1)
	v_mul_f32_e32 v114, v113, v115
	v_xor_b32_e32 v115, 0x80000000, v115
.LBB104_196:
	s_and_not1_saveexec_b32 s1, s1
	s_cbranch_execz .LBB104_198
; %bb.197:
	s_delay_alu instid0(VALU_DEP_1) | instskip(SKIP_1) | instid1(VALU_DEP_2)
	v_div_scale_f32 v113, null, v114, v114, v115
	v_div_scale_f32 v123, vcc_lo, v115, v114, v115
	v_rcp_f32_e32 v121, v113
	v_nop
	s_delay_alu instid0(TRANS32_DEP_1) | instskip(NEXT) | instid1(VALU_DEP_1)
	v_fma_f32 v122, -v113, v121, 1.0
	v_fmac_f32_e32 v121, v122, v121
	s_delay_alu instid0(VALU_DEP_1) | instskip(NEXT) | instid1(VALU_DEP_1)
	v_mul_f32_e32 v122, v123, v121
	v_fma_f32 v124, -v113, v122, v123
	s_delay_alu instid0(VALU_DEP_1) | instskip(NEXT) | instid1(VALU_DEP_1)
	v_fmac_f32_e32 v122, v124, v121
	v_fma_f32 v113, -v113, v122, v123
	s_delay_alu instid0(VALU_DEP_1) | instskip(NEXT) | instid1(VALU_DEP_1)
	v_div_fmas_f32 v113, v113, v121, v122
	v_div_fixup_f32 v113, v113, v114, v115
	s_delay_alu instid0(VALU_DEP_1) | instskip(NEXT) | instid1(VALU_DEP_1)
	v_fmac_f32_e32 v114, v115, v113
	v_div_scale_f32 v115, null, v114, v114, 1.0
	s_delay_alu instid0(VALU_DEP_1) | instskip(SKIP_1) | instid1(TRANS32_DEP_1)
	v_rcp_f32_e32 v121, v115
	v_nop
	v_fma_f32 v122, -v115, v121, 1.0
	s_delay_alu instid0(VALU_DEP_1) | instskip(SKIP_1) | instid1(VALU_DEP_1)
	v_fmac_f32_e32 v121, v122, v121
	v_div_scale_f32 v122, vcc_lo, 1.0, v114, 1.0
	v_mul_f32_e32 v123, v122, v121
	s_delay_alu instid0(VALU_DEP_1) | instskip(NEXT) | instid1(VALU_DEP_1)
	v_fma_f32 v124, -v115, v123, v122
	v_fmac_f32_e32 v123, v124, v121
	s_delay_alu instid0(VALU_DEP_1) | instskip(NEXT) | instid1(VALU_DEP_1)
	v_fma_f32 v115, -v115, v123, v122
	v_div_fmas_f32 v115, v115, v121, v123
	s_delay_alu instid0(VALU_DEP_1) | instskip(NEXT) | instid1(VALU_DEP_1)
	v_div_fixup_f32 v114, v115, v114, 1.0
	v_mul_f32_e64 v115, v113, -v114
.LBB104_198:
	s_or_b32 exec_lo, exec_lo, s1
.LBB104_199:
	s_delay_alu instid0(SALU_CYCLE_1) | instskip(NEXT) | instid1(SALU_CYCLE_1)
	s_or_b32 exec_lo, exec_lo, s0
	s_mov_b32 s0, exec_lo
	v_cmpx_ne_u32_e64 v120, v112
	s_xor_b32 s0, exec_lo, s0
	s_cbranch_execz .LBB104_205
; %bb.200:
	s_mov_b32 s1, exec_lo
	v_cmpx_eq_u32_e32 9, v120
	s_cbranch_execz .LBB104_204
; %bb.201:
	v_cmp_ne_u32_e32 vcc_lo, 9, v112
	s_xor_b32 s12, s16, -1
	s_delay_alu instid0(SALU_CYCLE_1) | instskip(NEXT) | instid1(SALU_CYCLE_1)
	s_and_b32 s13, s12, vcc_lo
	s_and_saveexec_b32 s12, s13
	s_cbranch_execz .LBB104_203
; %bb.202:
	v_ashrrev_i32_e32 v113, 31, v112
	s_delay_alu instid0(VALU_DEP_1)
	v_lshl_add_u64 v[120:121], v[112:113], 2, v[4:5]
	s_clause 0x1
	global_load_b32 v113, v[120:121], off
	global_load_b32 v119, v[4:5], off offset:36
	s_wait_loadcnt 0x1
	global_store_b32 v[4:5], v113, off offset:36
	s_wait_loadcnt 0x0
	global_store_b32 v[120:121], v119, off
.LBB104_203:
	s_wait_xcnt 0x0
	s_or_b32 exec_lo, exec_lo, s12
	v_dual_mov_b32 v120, v112 :: v_dual_mov_b32 v119, v112
.LBB104_204:
	s_or_b32 exec_lo, exec_lo, s1
.LBB104_205:
	s_and_not1_saveexec_b32 s0, s0
	s_cbranch_execz .LBB104_207
; %bb.206:
	v_dual_mov_b32 v112, v98 :: v_dual_mov_b32 v113, v99
	v_dual_mov_b32 v120, v94 :: v_dual_mov_b32 v121, v95
	;; [unrolled: 1-line block ×8, first 2 shown]
	ds_store_2addr_b64 v116, v[112:113], v[120:121] offset0:10 offset1:11
	ds_store_2addr_b64 v116, v[122:123], v[124:125] offset0:12 offset1:13
	;; [unrolled: 1-line block ×4, first 2 shown]
	v_dual_mov_b32 v112, v82 :: v_dual_mov_b32 v113, v83
	v_dual_mov_b32 v120, v78 :: v_dual_mov_b32 v121, v79
	;; [unrolled: 1-line block ×12, first 2 shown]
	ds_store_2addr_b64 v116, v[112:113], v[120:121] offset0:18 offset1:19
	ds_store_2addr_b64 v116, v[122:123], v[124:125] offset0:20 offset1:21
	;; [unrolled: 1-line block ×6, first 2 shown]
	v_dual_mov_b32 v112, v50 :: v_dual_mov_b32 v113, v51
	v_dual_mov_b32 v120, v46 :: v_dual_mov_b32 v121, v47
	;; [unrolled: 1-line block ×12, first 2 shown]
	ds_store_2addr_b64 v116, v[112:113], v[120:121] offset0:30 offset1:31
	ds_store_2addr_b64 v116, v[122:123], v[124:125] offset0:32 offset1:33
	;; [unrolled: 1-line block ×6, first 2 shown]
	v_dual_mov_b32 v112, v24 :: v_dual_mov_b32 v113, v25
	v_dual_mov_b32 v120, v20 :: v_dual_mov_b32 v121, v21
	;; [unrolled: 1-line block ×6, first 2 shown]
	ds_store_2addr_b64 v116, v[112:113], v[120:121] offset0:42 offset1:43
	ds_store_2addr_b64 v116, v[122:123], v[124:125] offset0:44 offset1:45
	v_dual_mov_b32 v120, 9 :: v_dual_mov_b32 v130, v6
	v_dual_mov_b32 v131, v7 :: v_dual_mov_b32 v132, v28
	;; [unrolled: 1-line block ×4, first 2 shown]
	v_mov_b32_e32 v137, v17
	ds_store_2addr_b64 v116, v[126:127], v[128:129] offset0:46 offset1:47
	ds_store_2addr_b64 v116, v[130:131], v[132:133] offset0:48 offset1:49
	ds_store_2addr_b64 v116, v[134:135], v[136:137] offset0:50 offset1:51
	ds_store_b64 v116, v[110:111] offset:416
.LBB104_207:
	s_or_b32 exec_lo, exec_lo, s0
	s_delay_alu instid0(SALU_CYCLE_1)
	s_mov_b32 s0, exec_lo
	s_wait_storecnt_dscnt 0x0
	s_barrier_signal -1
	s_barrier_wait -1
	v_cmpx_lt_i32_e32 9, v120
	s_cbranch_execz .LBB104_209
; %bb.208:
	v_pk_mul_f32 v[122:123], v[114:115], v[96:97] op_sel:[1,1] op_sel_hi:[0,1]
	s_delay_alu instid0(VALU_DEP_1)
	v_pk_fma_f32 v[112:113], v[114:115], v[96:97], v[122:123] op_sel_hi:[1,0,1] neg_lo:[0,0,1] neg_hi:[0,0,1]
	v_pk_fma_f32 v[114:115], v[114:115], v[96:97], v[122:123] op_sel_hi:[1,0,1]
	ds_load_2addr_b64 v[122:125], v116 offset0:10 offset1:11
	v_dual_mov_b32 v96, v112 :: v_dual_mov_b32 v97, v115
	s_wait_dscnt 0x0
	v_pk_mul_f32 v[126:127], v[122:123], v[114:115] op_sel:[0,1]
	s_delay_alu instid0(VALU_DEP_1) | instskip(SKIP_1) | instid1(VALU_DEP_1)
	v_pk_fma_f32 v[128:129], v[122:123], v[112:113], v[126:127] op_sel:[0,0,1] op_sel_hi:[1,1,0] neg_lo:[0,0,1] neg_hi:[0,0,1]
	v_pk_fma_f32 v[122:123], v[122:123], v[112:113], v[126:127] op_sel:[0,0,1] op_sel_hi:[1,0,0]
	v_mov_b32_e32 v129, v123
	v_pk_mul_f32 v[122:123], v[124:125], v[114:115] op_sel:[0,1]
	s_delay_alu instid0(VALU_DEP_1) | instskip(SKIP_1) | instid1(VALU_DEP_1)
	v_pk_fma_f32 v[126:127], v[124:125], v[112:113], v[122:123] op_sel:[0,0,1] op_sel_hi:[1,1,0] neg_lo:[0,0,1] neg_hi:[0,0,1]
	v_pk_fma_f32 v[122:123], v[124:125], v[112:113], v[122:123] op_sel:[0,0,1] op_sel_hi:[1,0,0]
	v_mov_b32_e32 v127, v123
	ds_load_2addr_b64 v[122:125], v116 offset0:12 offset1:13
	v_pk_add_f32 v[98:99], v[98:99], v[128:129] neg_lo:[0,1] neg_hi:[0,1]
	v_pk_add_f32 v[94:95], v[94:95], v[126:127] neg_lo:[0,1] neg_hi:[0,1]
	s_wait_dscnt 0x0
	v_pk_mul_f32 v[126:127], v[122:123], v[114:115] op_sel:[0,1]
	s_delay_alu instid0(VALU_DEP_1) | instskip(SKIP_2) | instid1(VALU_DEP_2)
	v_pk_fma_f32 v[128:129], v[122:123], v[112:113], v[126:127] op_sel:[0,0,1] op_sel_hi:[1,1,0] neg_lo:[0,0,1] neg_hi:[0,0,1]
	v_pk_fma_f32 v[122:123], v[122:123], v[112:113], v[126:127] op_sel:[0,0,1] op_sel_hi:[1,0,0]
	v_dual_mul_f32 v126, v125, v115 :: v_dual_mov_b32 v122, v125
	v_dual_mov_b32 v129, v123 :: v_dual_mov_b32 v123, v124
	s_delay_alu instid0(VALU_DEP_2) | instskip(SKIP_1) | instid1(VALU_DEP_3)
	v_pk_fma_f32 v[126:127], v[124:125], v[96:97], v[126:127] op_sel_hi:[1,1,0] neg_lo:[0,0,1] neg_hi:[0,0,1]
	v_mul_f32_e32 v124, v125, v112
	v_pk_add_f32 v[92:93], v[92:93], v[128:129] neg_lo:[0,1] neg_hi:[0,1]
	s_delay_alu instid0(VALU_DEP_2) | instskip(NEXT) | instid1(VALU_DEP_1)
	v_pk_fma_f32 v[122:123], v[122:123], v[96:97], v[124:125] op_sel_hi:[1,1,0]
	v_mov_b32_e32 v127, v123
	ds_load_2addr_b64 v[122:125], v116 offset0:14 offset1:15
	v_pk_add_f32 v[88:89], v[88:89], v[126:127] neg_lo:[0,1] neg_hi:[0,1]
	s_wait_dscnt 0x0
	v_pk_mul_f32 v[126:127], v[122:123], v[114:115] op_sel:[0,1]
	s_delay_alu instid0(VALU_DEP_1) | instskip(SKIP_1) | instid1(VALU_DEP_1)
	v_pk_fma_f32 v[128:129], v[122:123], v[112:113], v[126:127] op_sel:[0,0,1] op_sel_hi:[1,1,0] neg_lo:[0,0,1] neg_hi:[0,0,1]
	v_pk_fma_f32 v[122:123], v[122:123], v[112:113], v[126:127] op_sel:[0,0,1] op_sel_hi:[1,0,0]
	v_mov_b32_e32 v129, v123
	v_pk_mul_f32 v[122:123], v[124:125], v[114:115] op_sel:[0,1]
	s_delay_alu instid0(VALU_DEP_1) | instskip(SKIP_1) | instid1(VALU_DEP_1)
	v_pk_fma_f32 v[126:127], v[124:125], v[112:113], v[122:123] op_sel:[0,0,1] op_sel_hi:[1,1,0] neg_lo:[0,0,1] neg_hi:[0,0,1]
	v_pk_fma_f32 v[122:123], v[124:125], v[112:113], v[122:123] op_sel:[0,0,1] op_sel_hi:[1,0,0]
	v_mov_b32_e32 v127, v123
	ds_load_2addr_b64 v[122:125], v116 offset0:16 offset1:17
	v_pk_add_f32 v[90:91], v[90:91], v[128:129] neg_lo:[0,1] neg_hi:[0,1]
	v_pk_add_f32 v[86:87], v[86:87], v[126:127] neg_lo:[0,1] neg_hi:[0,1]
	s_wait_dscnt 0x0
	v_pk_mul_f32 v[126:127], v[122:123], v[114:115] op_sel:[0,1]
	s_delay_alu instid0(VALU_DEP_1) | instskip(SKIP_1) | instid1(VALU_DEP_1)
	v_pk_fma_f32 v[128:129], v[122:123], v[112:113], v[126:127] op_sel:[0,0,1] op_sel_hi:[1,1,0] neg_lo:[0,0,1] neg_hi:[0,0,1]
	v_pk_fma_f32 v[122:123], v[122:123], v[112:113], v[126:127] op_sel:[0,0,1] op_sel_hi:[1,0,0]
	v_mov_b32_e32 v129, v123
	v_pk_mul_f32 v[122:123], v[124:125], v[114:115] op_sel:[0,1]
	s_delay_alu instid0(VALU_DEP_1) | instskip(SKIP_1) | instid1(VALU_DEP_1)
	v_pk_fma_f32 v[126:127], v[124:125], v[112:113], v[122:123] op_sel:[0,0,1] op_sel_hi:[1,1,0] neg_lo:[0,0,1] neg_hi:[0,0,1]
	v_pk_fma_f32 v[122:123], v[124:125], v[112:113], v[122:123] op_sel:[0,0,1] op_sel_hi:[1,0,0]
	v_mov_b32_e32 v127, v123
	ds_load_2addr_b64 v[122:125], v116 offset0:18 offset1:19
	v_pk_add_f32 v[84:85], v[84:85], v[128:129] neg_lo:[0,1] neg_hi:[0,1]
	v_pk_add_f32 v[80:81], v[80:81], v[126:127] neg_lo:[0,1] neg_hi:[0,1]
	s_wait_dscnt 0x0
	v_dual_mul_f32 v126, v123, v115 :: v_dual_mul_f32 v128, v123, v112
	s_delay_alu instid0(VALU_DEP_1) | instskip(NEXT) | instid1(VALU_DEP_2)
	v_pk_fma_f32 v[126:127], v[122:123], v[96:97], v[126:127] op_sel_hi:[1,1,0] neg_lo:[0,0,1] neg_hi:[0,0,1]
	v_pk_fma_f32 v[122:123], v[122:123], v[96:97], v[128:129] op_sel:[1,0,0] op_sel_hi:[0,1,0]
	s_delay_alu instid0(VALU_DEP_1) | instskip(SKIP_1) | instid1(VALU_DEP_2)
	v_mov_b32_e32 v127, v123
	v_pk_mul_f32 v[122:123], v[124:125], v[114:115] op_sel:[0,1]
	v_pk_add_f32 v[82:83], v[82:83], v[126:127] neg_lo:[0,1] neg_hi:[0,1]
	s_delay_alu instid0(VALU_DEP_2) | instskip(SKIP_1) | instid1(VALU_DEP_1)
	v_pk_fma_f32 v[126:127], v[124:125], v[112:113], v[122:123] op_sel:[0,0,1] op_sel_hi:[1,1,0] neg_lo:[0,0,1] neg_hi:[0,0,1]
	v_pk_fma_f32 v[122:123], v[124:125], v[112:113], v[122:123] op_sel:[0,0,1] op_sel_hi:[1,0,0]
	v_mov_b32_e32 v127, v123
	ds_load_2addr_b64 v[122:125], v116 offset0:20 offset1:21
	v_pk_add_f32 v[78:79], v[78:79], v[126:127] neg_lo:[0,1] neg_hi:[0,1]
	s_wait_dscnt 0x0
	v_pk_mul_f32 v[126:127], v[122:123], v[114:115] op_sel:[0,1]
	s_delay_alu instid0(VALU_DEP_1) | instskip(SKIP_1) | instid1(VALU_DEP_1)
	v_pk_fma_f32 v[128:129], v[122:123], v[112:113], v[126:127] op_sel:[0,0,1] op_sel_hi:[1,1,0] neg_lo:[0,0,1] neg_hi:[0,0,1]
	v_pk_fma_f32 v[122:123], v[122:123], v[112:113], v[126:127] op_sel:[0,0,1] op_sel_hi:[1,0,0]
	v_mov_b32_e32 v129, v123
	v_pk_mul_f32 v[122:123], v[124:125], v[114:115] op_sel:[0,1]
	s_delay_alu instid0(VALU_DEP_2) | instskip(NEXT) | instid1(VALU_DEP_2)
	v_pk_add_f32 v[76:77], v[76:77], v[128:129] neg_lo:[0,1] neg_hi:[0,1]
	v_pk_fma_f32 v[126:127], v[124:125], v[112:113], v[122:123] op_sel:[0,0,1] op_sel_hi:[1,1,0] neg_lo:[0,0,1] neg_hi:[0,0,1]
	v_pk_fma_f32 v[122:123], v[124:125], v[112:113], v[122:123] op_sel:[0,0,1] op_sel_hi:[1,0,0]
	s_delay_alu instid0(VALU_DEP_1) | instskip(SKIP_4) | instid1(VALU_DEP_1)
	v_mov_b32_e32 v127, v123
	ds_load_2addr_b64 v[122:125], v116 offset0:22 offset1:23
	v_pk_add_f32 v[72:73], v[72:73], v[126:127] neg_lo:[0,1] neg_hi:[0,1]
	s_wait_dscnt 0x0
	v_pk_mul_f32 v[126:127], v[122:123], v[114:115] op_sel:[0,1]
	v_pk_fma_f32 v[128:129], v[122:123], v[112:113], v[126:127] op_sel:[0,0,1] op_sel_hi:[1,1,0] neg_lo:[0,0,1] neg_hi:[0,0,1]
	v_pk_fma_f32 v[122:123], v[122:123], v[112:113], v[126:127] op_sel:[0,0,1] op_sel_hi:[1,0,0]
	v_dual_mul_f32 v126, v125, v115 :: v_dual_mov_b32 v122, v125
	s_delay_alu instid0(VALU_DEP_2) | instskip(NEXT) | instid1(VALU_DEP_2)
	v_dual_mov_b32 v129, v123 :: v_dual_mov_b32 v123, v124
	v_pk_fma_f32 v[126:127], v[124:125], v[96:97], v[126:127] op_sel_hi:[1,1,0] neg_lo:[0,0,1] neg_hi:[0,0,1]
	v_mul_f32_e32 v124, v125, v112
	s_delay_alu instid0(VALU_DEP_3) | instskip(NEXT) | instid1(VALU_DEP_2)
	v_pk_add_f32 v[74:75], v[74:75], v[128:129] neg_lo:[0,1] neg_hi:[0,1]
	v_pk_fma_f32 v[122:123], v[122:123], v[96:97], v[124:125] op_sel_hi:[1,1,0]
	s_delay_alu instid0(VALU_DEP_1) | instskip(SKIP_4) | instid1(VALU_DEP_1)
	v_mov_b32_e32 v127, v123
	ds_load_2addr_b64 v[122:125], v116 offset0:24 offset1:25
	v_pk_add_f32 v[70:71], v[70:71], v[126:127] neg_lo:[0,1] neg_hi:[0,1]
	s_wait_dscnt 0x0
	v_pk_mul_f32 v[126:127], v[122:123], v[114:115] op_sel:[0,1]
	v_pk_fma_f32 v[128:129], v[122:123], v[112:113], v[126:127] op_sel:[0,0,1] op_sel_hi:[1,1,0] neg_lo:[0,0,1] neg_hi:[0,0,1]
	v_pk_fma_f32 v[122:123], v[122:123], v[112:113], v[126:127] op_sel:[0,0,1] op_sel_hi:[1,0,0]
	s_delay_alu instid0(VALU_DEP_1) | instskip(SKIP_1) | instid1(VALU_DEP_1)
	v_mov_b32_e32 v129, v123
	v_pk_mul_f32 v[122:123], v[124:125], v[114:115] op_sel:[0,1]
	v_pk_fma_f32 v[126:127], v[124:125], v[112:113], v[122:123] op_sel:[0,0,1] op_sel_hi:[1,1,0] neg_lo:[0,0,1] neg_hi:[0,0,1]
	v_pk_fma_f32 v[122:123], v[124:125], v[112:113], v[122:123] op_sel:[0,0,1] op_sel_hi:[1,0,0]
	s_delay_alu instid0(VALU_DEP_1)
	v_mov_b32_e32 v127, v123
	ds_load_2addr_b64 v[122:125], v116 offset0:26 offset1:27
	v_pk_add_f32 v[68:69], v[68:69], v[128:129] neg_lo:[0,1] neg_hi:[0,1]
	v_pk_add_f32 v[64:65], v[64:65], v[126:127] neg_lo:[0,1] neg_hi:[0,1]
	s_wait_dscnt 0x0
	v_pk_mul_f32 v[126:127], v[122:123], v[114:115] op_sel:[0,1]
	s_delay_alu instid0(VALU_DEP_1) | instskip(SKIP_1) | instid1(VALU_DEP_1)
	v_pk_fma_f32 v[128:129], v[122:123], v[112:113], v[126:127] op_sel:[0,0,1] op_sel_hi:[1,1,0] neg_lo:[0,0,1] neg_hi:[0,0,1]
	v_pk_fma_f32 v[122:123], v[122:123], v[112:113], v[126:127] op_sel:[0,0,1] op_sel_hi:[1,0,0]
	v_mov_b32_e32 v129, v123
	v_pk_mul_f32 v[122:123], v[124:125], v[114:115] op_sel:[0,1]
	s_delay_alu instid0(VALU_DEP_1) | instskip(SKIP_1) | instid1(VALU_DEP_1)
	v_pk_fma_f32 v[126:127], v[124:125], v[112:113], v[122:123] op_sel:[0,0,1] op_sel_hi:[1,1,0] neg_lo:[0,0,1] neg_hi:[0,0,1]
	v_pk_fma_f32 v[122:123], v[124:125], v[112:113], v[122:123] op_sel:[0,0,1] op_sel_hi:[1,0,0]
	v_mov_b32_e32 v127, v123
	ds_load_2addr_b64 v[122:125], v116 offset0:28 offset1:29
	v_pk_add_f32 v[66:67], v[66:67], v[128:129] neg_lo:[0,1] neg_hi:[0,1]
	v_pk_add_f32 v[62:63], v[62:63], v[126:127] neg_lo:[0,1] neg_hi:[0,1]
	s_wait_dscnt 0x0
	v_dual_mul_f32 v126, v123, v115 :: v_dual_mul_f32 v128, v123, v112
	s_delay_alu instid0(VALU_DEP_1) | instskip(NEXT) | instid1(VALU_DEP_2)
	v_pk_fma_f32 v[126:127], v[122:123], v[96:97], v[126:127] op_sel_hi:[1,1,0] neg_lo:[0,0,1] neg_hi:[0,0,1]
	v_pk_fma_f32 v[122:123], v[122:123], v[96:97], v[128:129] op_sel:[1,0,0] op_sel_hi:[0,1,0]
	s_delay_alu instid0(VALU_DEP_1) | instskip(SKIP_1) | instid1(VALU_DEP_2)
	v_mov_b32_e32 v127, v123
	v_pk_mul_f32 v[122:123], v[124:125], v[114:115] op_sel:[0,1]
	v_pk_add_f32 v[52:53], v[52:53], v[126:127] neg_lo:[0,1] neg_hi:[0,1]
	s_delay_alu instid0(VALU_DEP_2) | instskip(SKIP_1) | instid1(VALU_DEP_1)
	v_pk_fma_f32 v[126:127], v[124:125], v[112:113], v[122:123] op_sel:[0,0,1] op_sel_hi:[1,1,0] neg_lo:[0,0,1] neg_hi:[0,0,1]
	v_pk_fma_f32 v[122:123], v[124:125], v[112:113], v[122:123] op_sel:[0,0,1] op_sel_hi:[1,0,0]
	v_mov_b32_e32 v127, v123
	ds_load_2addr_b64 v[122:125], v116 offset0:30 offset1:31
	v_pk_add_f32 v[48:49], v[48:49], v[126:127] neg_lo:[0,1] neg_hi:[0,1]
	s_wait_dscnt 0x0
	v_pk_mul_f32 v[126:127], v[122:123], v[114:115] op_sel:[0,1]
	s_delay_alu instid0(VALU_DEP_1) | instskip(SKIP_1) | instid1(VALU_DEP_1)
	v_pk_fma_f32 v[128:129], v[122:123], v[112:113], v[126:127] op_sel:[0,0,1] op_sel_hi:[1,1,0] neg_lo:[0,0,1] neg_hi:[0,0,1]
	v_pk_fma_f32 v[122:123], v[122:123], v[112:113], v[126:127] op_sel:[0,0,1] op_sel_hi:[1,0,0]
	v_mov_b32_e32 v129, v123
	v_pk_mul_f32 v[122:123], v[124:125], v[114:115] op_sel:[0,1]
	s_delay_alu instid0(VALU_DEP_2) | instskip(NEXT) | instid1(VALU_DEP_2)
	v_pk_add_f32 v[50:51], v[50:51], v[128:129] neg_lo:[0,1] neg_hi:[0,1]
	v_pk_fma_f32 v[126:127], v[124:125], v[112:113], v[122:123] op_sel:[0,0,1] op_sel_hi:[1,1,0] neg_lo:[0,0,1] neg_hi:[0,0,1]
	v_pk_fma_f32 v[122:123], v[124:125], v[112:113], v[122:123] op_sel:[0,0,1] op_sel_hi:[1,0,0]
	s_delay_alu instid0(VALU_DEP_1) | instskip(SKIP_4) | instid1(VALU_DEP_1)
	v_mov_b32_e32 v127, v123
	ds_load_2addr_b64 v[122:125], v116 offset0:32 offset1:33
	v_pk_add_f32 v[46:47], v[46:47], v[126:127] neg_lo:[0,1] neg_hi:[0,1]
	s_wait_dscnt 0x0
	v_pk_mul_f32 v[126:127], v[122:123], v[114:115] op_sel:[0,1]
	v_pk_fma_f32 v[128:129], v[122:123], v[112:113], v[126:127] op_sel:[0,0,1] op_sel_hi:[1,1,0] neg_lo:[0,0,1] neg_hi:[0,0,1]
	v_pk_fma_f32 v[122:123], v[122:123], v[112:113], v[126:127] op_sel:[0,0,1] op_sel_hi:[1,0,0]
	v_dual_mul_f32 v126, v125, v115 :: v_dual_mov_b32 v122, v125
	s_delay_alu instid0(VALU_DEP_2) | instskip(NEXT) | instid1(VALU_DEP_2)
	v_dual_mov_b32 v129, v123 :: v_dual_mov_b32 v123, v124
	v_pk_fma_f32 v[126:127], v[124:125], v[96:97], v[126:127] op_sel_hi:[1,1,0] neg_lo:[0,0,1] neg_hi:[0,0,1]
	v_mul_f32_e32 v124, v125, v112
	s_delay_alu instid0(VALU_DEP_3) | instskip(NEXT) | instid1(VALU_DEP_2)
	v_pk_add_f32 v[44:45], v[44:45], v[128:129] neg_lo:[0,1] neg_hi:[0,1]
	v_pk_fma_f32 v[122:123], v[122:123], v[96:97], v[124:125] op_sel_hi:[1,1,0]
	s_delay_alu instid0(VALU_DEP_1) | instskip(SKIP_4) | instid1(VALU_DEP_1)
	v_mov_b32_e32 v127, v123
	ds_load_2addr_b64 v[122:125], v116 offset0:34 offset1:35
	v_pk_add_f32 v[40:41], v[40:41], v[126:127] neg_lo:[0,1] neg_hi:[0,1]
	s_wait_dscnt 0x0
	v_pk_mul_f32 v[126:127], v[122:123], v[114:115] op_sel:[0,1]
	v_pk_fma_f32 v[128:129], v[122:123], v[112:113], v[126:127] op_sel:[0,0,1] op_sel_hi:[1,1,0] neg_lo:[0,0,1] neg_hi:[0,0,1]
	v_pk_fma_f32 v[122:123], v[122:123], v[112:113], v[126:127] op_sel:[0,0,1] op_sel_hi:[1,0,0]
	s_delay_alu instid0(VALU_DEP_1) | instskip(SKIP_1) | instid1(VALU_DEP_1)
	v_mov_b32_e32 v129, v123
	v_pk_mul_f32 v[122:123], v[124:125], v[114:115] op_sel:[0,1]
	v_pk_fma_f32 v[126:127], v[124:125], v[112:113], v[122:123] op_sel:[0,0,1] op_sel_hi:[1,1,0] neg_lo:[0,0,1] neg_hi:[0,0,1]
	v_pk_fma_f32 v[122:123], v[124:125], v[112:113], v[122:123] op_sel:[0,0,1] op_sel_hi:[1,0,0]
	s_delay_alu instid0(VALU_DEP_1)
	v_mov_b32_e32 v127, v123
	ds_load_2addr_b64 v[122:125], v116 offset0:36 offset1:37
	v_pk_add_f32 v[42:43], v[42:43], v[128:129] neg_lo:[0,1] neg_hi:[0,1]
	v_pk_add_f32 v[38:39], v[38:39], v[126:127] neg_lo:[0,1] neg_hi:[0,1]
	s_wait_dscnt 0x0
	v_pk_mul_f32 v[126:127], v[122:123], v[114:115] op_sel:[0,1]
	s_delay_alu instid0(VALU_DEP_1) | instskip(SKIP_1) | instid1(VALU_DEP_1)
	v_pk_fma_f32 v[128:129], v[122:123], v[112:113], v[126:127] op_sel:[0,0,1] op_sel_hi:[1,1,0] neg_lo:[0,0,1] neg_hi:[0,0,1]
	v_pk_fma_f32 v[122:123], v[122:123], v[112:113], v[126:127] op_sel:[0,0,1] op_sel_hi:[1,0,0]
	v_mov_b32_e32 v129, v123
	v_pk_mul_f32 v[122:123], v[124:125], v[114:115] op_sel:[0,1]
	s_delay_alu instid0(VALU_DEP_1) | instskip(SKIP_1) | instid1(VALU_DEP_1)
	v_pk_fma_f32 v[126:127], v[124:125], v[112:113], v[122:123] op_sel:[0,0,1] op_sel_hi:[1,1,0] neg_lo:[0,0,1] neg_hi:[0,0,1]
	v_pk_fma_f32 v[122:123], v[124:125], v[112:113], v[122:123] op_sel:[0,0,1] op_sel_hi:[1,0,0]
	v_mov_b32_e32 v127, v123
	ds_load_2addr_b64 v[122:125], v116 offset0:38 offset1:39
	v_pk_add_f32 v[36:37], v[36:37], v[128:129] neg_lo:[0,1] neg_hi:[0,1]
	v_pk_add_f32 v[32:33], v[32:33], v[126:127] neg_lo:[0,1] neg_hi:[0,1]
	s_wait_dscnt 0x0
	v_dual_mul_f32 v126, v123, v115 :: v_dual_mul_f32 v128, v123, v112
	s_delay_alu instid0(VALU_DEP_1) | instskip(NEXT) | instid1(VALU_DEP_2)
	v_pk_fma_f32 v[126:127], v[122:123], v[96:97], v[126:127] op_sel_hi:[1,1,0] neg_lo:[0,0,1] neg_hi:[0,0,1]
	v_pk_fma_f32 v[122:123], v[122:123], v[96:97], v[128:129] op_sel:[1,0,0] op_sel_hi:[0,1,0]
	s_delay_alu instid0(VALU_DEP_1) | instskip(SKIP_1) | instid1(VALU_DEP_2)
	v_mov_b32_e32 v127, v123
	v_pk_mul_f32 v[122:123], v[124:125], v[114:115] op_sel:[0,1]
	v_pk_add_f32 v[34:35], v[34:35], v[126:127] neg_lo:[0,1] neg_hi:[0,1]
	s_delay_alu instid0(VALU_DEP_2) | instskip(SKIP_1) | instid1(VALU_DEP_1)
	v_pk_fma_f32 v[126:127], v[124:125], v[112:113], v[122:123] op_sel:[0,0,1] op_sel_hi:[1,1,0] neg_lo:[0,0,1] neg_hi:[0,0,1]
	v_pk_fma_f32 v[122:123], v[124:125], v[112:113], v[122:123] op_sel:[0,0,1] op_sel_hi:[1,0,0]
	v_mov_b32_e32 v127, v123
	ds_load_2addr_b64 v[122:125], v116 offset0:40 offset1:41
	v_pk_add_f32 v[30:31], v[30:31], v[126:127] neg_lo:[0,1] neg_hi:[0,1]
	s_wait_dscnt 0x0
	v_pk_mul_f32 v[126:127], v[122:123], v[114:115] op_sel:[0,1]
	s_delay_alu instid0(VALU_DEP_1) | instskip(SKIP_1) | instid1(VALU_DEP_1)
	v_pk_fma_f32 v[128:129], v[122:123], v[112:113], v[126:127] op_sel:[0,0,1] op_sel_hi:[1,1,0] neg_lo:[0,0,1] neg_hi:[0,0,1]
	v_pk_fma_f32 v[122:123], v[122:123], v[112:113], v[126:127] op_sel:[0,0,1] op_sel_hi:[1,0,0]
	v_mov_b32_e32 v129, v123
	v_pk_mul_f32 v[122:123], v[124:125], v[114:115] op_sel:[0,1]
	s_delay_alu instid0(VALU_DEP_2) | instskip(NEXT) | instid1(VALU_DEP_2)
	v_pk_add_f32 v[26:27], v[26:27], v[128:129] neg_lo:[0,1] neg_hi:[0,1]
	v_pk_fma_f32 v[126:127], v[124:125], v[112:113], v[122:123] op_sel:[0,0,1] op_sel_hi:[1,1,0] neg_lo:[0,0,1] neg_hi:[0,0,1]
	v_pk_fma_f32 v[122:123], v[124:125], v[112:113], v[122:123] op_sel:[0,0,1] op_sel_hi:[1,0,0]
	s_delay_alu instid0(VALU_DEP_1) | instskip(SKIP_4) | instid1(VALU_DEP_1)
	v_mov_b32_e32 v127, v123
	ds_load_2addr_b64 v[122:125], v116 offset0:42 offset1:43
	v_pk_add_f32 v[22:23], v[22:23], v[126:127] neg_lo:[0,1] neg_hi:[0,1]
	s_wait_dscnt 0x0
	v_pk_mul_f32 v[126:127], v[122:123], v[114:115] op_sel:[0,1]
	v_pk_fma_f32 v[128:129], v[122:123], v[112:113], v[126:127] op_sel:[0,0,1] op_sel_hi:[1,1,0] neg_lo:[0,0,1] neg_hi:[0,0,1]
	v_pk_fma_f32 v[122:123], v[122:123], v[112:113], v[126:127] op_sel:[0,0,1] op_sel_hi:[1,0,0]
	v_dual_mul_f32 v126, v125, v115 :: v_dual_mov_b32 v122, v125
	s_delay_alu instid0(VALU_DEP_2) | instskip(NEXT) | instid1(VALU_DEP_2)
	v_dual_mov_b32 v129, v123 :: v_dual_mov_b32 v123, v124
	v_pk_fma_f32 v[126:127], v[124:125], v[96:97], v[126:127] op_sel_hi:[1,1,0] neg_lo:[0,0,1] neg_hi:[0,0,1]
	v_mul_f32_e32 v124, v125, v112
	s_delay_alu instid0(VALU_DEP_3) | instskip(NEXT) | instid1(VALU_DEP_2)
	v_pk_add_f32 v[24:25], v[24:25], v[128:129] neg_lo:[0,1] neg_hi:[0,1]
	v_pk_fma_f32 v[122:123], v[122:123], v[96:97], v[124:125] op_sel_hi:[1,1,0]
	s_delay_alu instid0(VALU_DEP_1) | instskip(SKIP_4) | instid1(VALU_DEP_1)
	v_mov_b32_e32 v127, v123
	ds_load_2addr_b64 v[122:125], v116 offset0:44 offset1:45
	v_pk_add_f32 v[20:21], v[20:21], v[126:127] neg_lo:[0,1] neg_hi:[0,1]
	s_wait_dscnt 0x0
	v_pk_mul_f32 v[126:127], v[122:123], v[114:115] op_sel:[0,1]
	v_pk_fma_f32 v[128:129], v[122:123], v[112:113], v[126:127] op_sel:[0,0,1] op_sel_hi:[1,1,0] neg_lo:[0,0,1] neg_hi:[0,0,1]
	v_pk_fma_f32 v[122:123], v[122:123], v[112:113], v[126:127] op_sel:[0,0,1] op_sel_hi:[1,0,0]
	s_delay_alu instid0(VALU_DEP_1) | instskip(SKIP_1) | instid1(VALU_DEP_1)
	v_mov_b32_e32 v129, v123
	v_pk_mul_f32 v[122:123], v[124:125], v[114:115] op_sel:[0,1]
	v_pk_fma_f32 v[126:127], v[124:125], v[112:113], v[122:123] op_sel:[0,0,1] op_sel_hi:[1,1,0] neg_lo:[0,0,1] neg_hi:[0,0,1]
	v_pk_fma_f32 v[122:123], v[124:125], v[112:113], v[122:123] op_sel:[0,0,1] op_sel_hi:[1,0,0]
	s_delay_alu instid0(VALU_DEP_1)
	v_mov_b32_e32 v127, v123
	ds_load_2addr_b64 v[122:125], v116 offset0:46 offset1:47
	v_pk_add_f32 v[14:15], v[14:15], v[128:129] neg_lo:[0,1] neg_hi:[0,1]
	v_pk_add_f32 v[10:11], v[10:11], v[126:127] neg_lo:[0,1] neg_hi:[0,1]
	s_wait_dscnt 0x0
	v_pk_mul_f32 v[126:127], v[122:123], v[114:115] op_sel:[0,1]
	s_delay_alu instid0(VALU_DEP_1) | instskip(SKIP_1) | instid1(VALU_DEP_1)
	v_pk_fma_f32 v[128:129], v[122:123], v[112:113], v[126:127] op_sel:[0,0,1] op_sel_hi:[1,1,0] neg_lo:[0,0,1] neg_hi:[0,0,1]
	v_pk_fma_f32 v[122:123], v[122:123], v[112:113], v[126:127] op_sel:[0,0,1] op_sel_hi:[1,0,0]
	v_mov_b32_e32 v129, v123
	v_pk_mul_f32 v[122:123], v[124:125], v[114:115] op_sel:[0,1]
	s_delay_alu instid0(VALU_DEP_1) | instskip(SKIP_1) | instid1(VALU_DEP_1)
	v_pk_fma_f32 v[126:127], v[124:125], v[112:113], v[122:123] op_sel:[0,0,1] op_sel_hi:[1,1,0] neg_lo:[0,0,1] neg_hi:[0,0,1]
	v_pk_fma_f32 v[122:123], v[124:125], v[112:113], v[122:123] op_sel:[0,0,1] op_sel_hi:[1,0,0]
	v_mov_b32_e32 v127, v123
	ds_load_2addr_b64 v[122:125], v116 offset0:48 offset1:49
	v_pk_add_f32 v[12:13], v[12:13], v[128:129] neg_lo:[0,1] neg_hi:[0,1]
	v_pk_add_f32 v[8:9], v[8:9], v[126:127] neg_lo:[0,1] neg_hi:[0,1]
	s_wait_dscnt 0x0
	v_dual_mul_f32 v126, v123, v115 :: v_dual_mul_f32 v128, v123, v112
	s_delay_alu instid0(VALU_DEP_1) | instskip(NEXT) | instid1(VALU_DEP_2)
	v_pk_fma_f32 v[126:127], v[122:123], v[96:97], v[126:127] op_sel_hi:[1,1,0] neg_lo:[0,0,1] neg_hi:[0,0,1]
	v_pk_fma_f32 v[122:123], v[122:123], v[96:97], v[128:129] op_sel:[1,0,0] op_sel_hi:[0,1,0]
	s_delay_alu instid0(VALU_DEP_1) | instskip(SKIP_1) | instid1(VALU_DEP_2)
	v_mov_b32_e32 v127, v123
	v_pk_mul_f32 v[122:123], v[124:125], v[114:115] op_sel:[0,1]
	v_pk_add_f32 v[6:7], v[6:7], v[126:127] neg_lo:[0,1] neg_hi:[0,1]
	s_delay_alu instid0(VALU_DEP_2) | instskip(SKIP_1) | instid1(VALU_DEP_1)
	v_pk_fma_f32 v[126:127], v[124:125], v[112:113], v[122:123] op_sel:[0,0,1] op_sel_hi:[1,1,0] neg_lo:[0,0,1] neg_hi:[0,0,1]
	v_pk_fma_f32 v[122:123], v[124:125], v[112:113], v[122:123] op_sel:[0,0,1] op_sel_hi:[1,0,0]
	v_mov_b32_e32 v127, v123
	ds_load_2addr_b64 v[122:125], v116 offset0:50 offset1:51
	v_pk_add_f32 v[28:29], v[28:29], v[126:127] neg_lo:[0,1] neg_hi:[0,1]
	s_wait_dscnt 0x0
	v_pk_mul_f32 v[126:127], v[122:123], v[114:115] op_sel:[0,1]
	s_delay_alu instid0(VALU_DEP_1) | instskip(SKIP_1) | instid1(VALU_DEP_1)
	v_pk_fma_f32 v[128:129], v[122:123], v[112:113], v[126:127] op_sel:[0,0,1] op_sel_hi:[1,1,0] neg_lo:[0,0,1] neg_hi:[0,0,1]
	v_pk_fma_f32 v[122:123], v[122:123], v[112:113], v[126:127] op_sel:[0,0,1] op_sel_hi:[1,0,0]
	v_mov_b32_e32 v129, v123
	v_pk_mul_f32 v[122:123], v[124:125], v[114:115] op_sel:[0,1]
	s_delay_alu instid0(VALU_DEP_2) | instskip(NEXT) | instid1(VALU_DEP_2)
	v_pk_add_f32 v[18:19], v[18:19], v[128:129] neg_lo:[0,1] neg_hi:[0,1]
	v_pk_fma_f32 v[126:127], v[124:125], v[112:113], v[122:123] op_sel:[0,0,1] op_sel_hi:[1,1,0] neg_lo:[0,0,1] neg_hi:[0,0,1]
	v_pk_fma_f32 v[122:123], v[124:125], v[112:113], v[122:123] op_sel:[0,0,1] op_sel_hi:[1,0,0]
	s_delay_alu instid0(VALU_DEP_1) | instskip(SKIP_4) | instid1(VALU_DEP_1)
	v_mov_b32_e32 v127, v123
	ds_load_b64 v[122:123], v116 offset:416
	v_pk_add_f32 v[16:17], v[16:17], v[126:127] neg_lo:[0,1] neg_hi:[0,1]
	s_wait_dscnt 0x0
	v_pk_mul_f32 v[114:115], v[122:123], v[114:115] op_sel:[0,1]
	v_pk_fma_f32 v[124:125], v[122:123], v[112:113], v[114:115] op_sel:[0,0,1] op_sel_hi:[1,1,0] neg_lo:[0,0,1] neg_hi:[0,0,1]
	v_pk_fma_f32 v[112:113], v[122:123], v[112:113], v[114:115] op_sel:[0,0,1] op_sel_hi:[1,0,0]
	s_delay_alu instid0(VALU_DEP_1) | instskip(NEXT) | instid1(VALU_DEP_1)
	v_mov_b32_e32 v125, v113
	v_pk_add_f32 v[110:111], v[110:111], v[124:125] neg_lo:[0,1] neg_hi:[0,1]
.LBB104_209:
	s_or_b32 exec_lo, exec_lo, s0
	v_lshl_add_u32 v112, v120, 3, v116
	s_barrier_signal -1
	s_barrier_wait -1
	ds_store_b64 v112, v[98:99]
	s_wait_dscnt 0x0
	s_barrier_signal -1
	s_barrier_wait -1
	ds_load_b64 v[114:115], v116 offset:80
	v_mov_b32_e32 v112, 10
	s_cmp_lt_i32 s18, 12
	s_cbranch_scc1 .LBB104_212
; %bb.210:
	v_add3_u32 v113, v117, 0, 0x58
	v_mov_b32_e32 v112, 10
	s_mov_b32 s0, 11
.LBB104_211:                            ; =>This Inner Loop Header: Depth=1
	ds_load_b64 v[122:123], v113
	s_wait_dscnt 0x1
	v_cmp_gt_f32_e32 vcc_lo, 0, v114
	v_cndmask_b32_e64 v124, v114, -v114, vcc_lo
	v_cmp_gt_f32_e32 vcc_lo, 0, v115
	v_cndmask_b32_e64 v126, v115, -v115, vcc_lo
	s_wait_dscnt 0x0
	v_cmp_gt_f32_e32 vcc_lo, 0, v122
	v_cndmask_b32_e64 v125, v122, -v122, vcc_lo
	v_cmp_gt_f32_e32 vcc_lo, 0, v123
	v_cndmask_b32_e64 v127, v123, -v123, vcc_lo
	s_delay_alu instid0(VALU_DEP_1) | instskip(NEXT) | instid1(VALU_DEP_1)
	v_pk_add_f32 v[124:125], v[124:125], v[126:127]
	v_cmp_lt_f32_e32 vcc_lo, v124, v125
	v_dual_add_nc_u32 v113, 8, v113 :: v_dual_cndmask_b32 v115, v115, v123, vcc_lo
	v_cndmask_b32_e32 v114, v114, v122, vcc_lo
	v_cndmask_b32_e64 v112, v112, s0, vcc_lo
	s_add_co_i32 s0, s0, 1
	s_delay_alu instid0(SALU_CYCLE_1)
	s_cmp_lg_u32 s18, s0
	s_cbranch_scc1 .LBB104_211
.LBB104_212:
	s_wait_dscnt 0x0
	v_cmp_eq_f32_e32 vcc_lo, 0, v114
	v_cmp_eq_f32_e64 s0, 0, v115
	s_and_b32 s0, vcc_lo, s0
	s_delay_alu instid0(SALU_CYCLE_1) | instskip(NEXT) | instid1(SALU_CYCLE_1)
	s_and_saveexec_b32 s1, s0
	s_xor_b32 s0, exec_lo, s1
; %bb.213:
	v_cmp_ne_u32_e32 vcc_lo, 0, v118
	v_cndmask_b32_e32 v118, 11, v118, vcc_lo
; %bb.214:
	s_and_not1_saveexec_b32 s0, s0
	s_cbranch_execz .LBB104_220
; %bb.215:
	v_cmp_ngt_f32_e64 s1, |v114|, |v115|
	s_and_saveexec_b32 s12, s1
	s_delay_alu instid0(SALU_CYCLE_1)
	s_xor_b32 s1, exec_lo, s12
	s_cbranch_execz .LBB104_217
; %bb.216:
	v_div_scale_f32 v113, null, v115, v115, v114
	v_div_scale_f32 v123, vcc_lo, v114, v115, v114
	s_delay_alu instid0(VALU_DEP_2) | instskip(SKIP_1) | instid1(TRANS32_DEP_1)
	v_rcp_f32_e32 v121, v113
	v_nop
	v_fma_f32 v122, -v113, v121, 1.0
	s_delay_alu instid0(VALU_DEP_1) | instskip(NEXT) | instid1(VALU_DEP_1)
	v_fmac_f32_e32 v121, v122, v121
	v_mul_f32_e32 v122, v123, v121
	s_delay_alu instid0(VALU_DEP_1) | instskip(NEXT) | instid1(VALU_DEP_1)
	v_fma_f32 v124, -v113, v122, v123
	v_fmac_f32_e32 v122, v124, v121
	s_delay_alu instid0(VALU_DEP_1) | instskip(NEXT) | instid1(VALU_DEP_1)
	v_fma_f32 v113, -v113, v122, v123
	v_div_fmas_f32 v113, v113, v121, v122
	s_delay_alu instid0(VALU_DEP_1) | instskip(NEXT) | instid1(VALU_DEP_1)
	v_div_fixup_f32 v113, v113, v115, v114
	v_fmac_f32_e32 v115, v114, v113
	s_delay_alu instid0(VALU_DEP_1) | instskip(SKIP_1) | instid1(VALU_DEP_2)
	v_div_scale_f32 v114, null, v115, v115, 1.0
	v_div_scale_f32 v123, vcc_lo, 1.0, v115, 1.0
	v_rcp_f32_e32 v121, v114
	v_nop
	s_delay_alu instid0(TRANS32_DEP_1) | instskip(NEXT) | instid1(VALU_DEP_1)
	v_fma_f32 v122, -v114, v121, 1.0
	v_fmac_f32_e32 v121, v122, v121
	s_delay_alu instid0(VALU_DEP_1) | instskip(NEXT) | instid1(VALU_DEP_1)
	v_mul_f32_e32 v122, v123, v121
	v_fma_f32 v124, -v114, v122, v123
	s_delay_alu instid0(VALU_DEP_1) | instskip(NEXT) | instid1(VALU_DEP_1)
	v_fmac_f32_e32 v122, v124, v121
	v_fma_f32 v114, -v114, v122, v123
	s_delay_alu instid0(VALU_DEP_1) | instskip(NEXT) | instid1(VALU_DEP_1)
	v_div_fmas_f32 v114, v114, v121, v122
	v_div_fixup_f32 v115, v114, v115, 1.0
	s_delay_alu instid0(VALU_DEP_1)
	v_mul_f32_e32 v114, v113, v115
	v_xor_b32_e32 v115, 0x80000000, v115
.LBB104_217:
	s_and_not1_saveexec_b32 s1, s1
	s_cbranch_execz .LBB104_219
; %bb.218:
	s_delay_alu instid0(VALU_DEP_1) | instskip(SKIP_1) | instid1(VALU_DEP_2)
	v_div_scale_f32 v113, null, v114, v114, v115
	v_div_scale_f32 v123, vcc_lo, v115, v114, v115
	v_rcp_f32_e32 v121, v113
	v_nop
	s_delay_alu instid0(TRANS32_DEP_1) | instskip(NEXT) | instid1(VALU_DEP_1)
	v_fma_f32 v122, -v113, v121, 1.0
	v_fmac_f32_e32 v121, v122, v121
	s_delay_alu instid0(VALU_DEP_1) | instskip(NEXT) | instid1(VALU_DEP_1)
	v_mul_f32_e32 v122, v123, v121
	v_fma_f32 v124, -v113, v122, v123
	s_delay_alu instid0(VALU_DEP_1) | instskip(NEXT) | instid1(VALU_DEP_1)
	v_fmac_f32_e32 v122, v124, v121
	v_fma_f32 v113, -v113, v122, v123
	s_delay_alu instid0(VALU_DEP_1) | instskip(NEXT) | instid1(VALU_DEP_1)
	v_div_fmas_f32 v113, v113, v121, v122
	v_div_fixup_f32 v113, v113, v114, v115
	s_delay_alu instid0(VALU_DEP_1) | instskip(NEXT) | instid1(VALU_DEP_1)
	v_fmac_f32_e32 v114, v115, v113
	v_div_scale_f32 v115, null, v114, v114, 1.0
	s_delay_alu instid0(VALU_DEP_1) | instskip(SKIP_1) | instid1(TRANS32_DEP_1)
	v_rcp_f32_e32 v121, v115
	v_nop
	v_fma_f32 v122, -v115, v121, 1.0
	s_delay_alu instid0(VALU_DEP_1) | instskip(SKIP_1) | instid1(VALU_DEP_1)
	v_fmac_f32_e32 v121, v122, v121
	v_div_scale_f32 v122, vcc_lo, 1.0, v114, 1.0
	v_mul_f32_e32 v123, v122, v121
	s_delay_alu instid0(VALU_DEP_1) | instskip(NEXT) | instid1(VALU_DEP_1)
	v_fma_f32 v124, -v115, v123, v122
	v_fmac_f32_e32 v123, v124, v121
	s_delay_alu instid0(VALU_DEP_1) | instskip(NEXT) | instid1(VALU_DEP_1)
	v_fma_f32 v115, -v115, v123, v122
	v_div_fmas_f32 v115, v115, v121, v123
	s_delay_alu instid0(VALU_DEP_1) | instskip(NEXT) | instid1(VALU_DEP_1)
	v_div_fixup_f32 v114, v115, v114, 1.0
	v_mul_f32_e64 v115, v113, -v114
.LBB104_219:
	s_or_b32 exec_lo, exec_lo, s1
.LBB104_220:
	s_delay_alu instid0(SALU_CYCLE_1) | instskip(NEXT) | instid1(SALU_CYCLE_1)
	s_or_b32 exec_lo, exec_lo, s0
	s_mov_b32 s0, exec_lo
	v_cmpx_ne_u32_e64 v120, v112
	s_xor_b32 s0, exec_lo, s0
	s_cbranch_execz .LBB104_226
; %bb.221:
	s_mov_b32 s1, exec_lo
	v_cmpx_eq_u32_e32 10, v120
	s_cbranch_execz .LBB104_225
; %bb.222:
	v_cmp_ne_u32_e32 vcc_lo, 10, v112
	s_xor_b32 s12, s16, -1
	s_delay_alu instid0(SALU_CYCLE_1) | instskip(NEXT) | instid1(SALU_CYCLE_1)
	s_and_b32 s13, s12, vcc_lo
	s_and_saveexec_b32 s12, s13
	s_cbranch_execz .LBB104_224
; %bb.223:
	v_ashrrev_i32_e32 v113, 31, v112
	s_delay_alu instid0(VALU_DEP_1)
	v_lshl_add_u64 v[120:121], v[112:113], 2, v[4:5]
	s_clause 0x1
	global_load_b32 v113, v[120:121], off
	global_load_b32 v119, v[4:5], off offset:40
	s_wait_loadcnt 0x1
	global_store_b32 v[4:5], v113, off offset:40
	s_wait_loadcnt 0x0
	global_store_b32 v[120:121], v119, off
.LBB104_224:
	s_wait_xcnt 0x0
	s_or_b32 exec_lo, exec_lo, s12
	v_dual_mov_b32 v120, v112 :: v_dual_mov_b32 v119, v112
.LBB104_225:
	s_or_b32 exec_lo, exec_lo, s1
.LBB104_226:
	s_and_not1_saveexec_b32 s0, s0
	s_cbranch_execz .LBB104_228
; %bb.227:
	v_mov_b32_e32 v120, 10
	ds_store_2addr_b64 v116, v[94:95], v[92:93] offset0:11 offset1:12
	ds_store_2addr_b64 v116, v[88:89], v[90:91] offset0:13 offset1:14
	;; [unrolled: 1-line block ×21, first 2 shown]
.LBB104_228:
	s_or_b32 exec_lo, exec_lo, s0
	s_delay_alu instid0(SALU_CYCLE_1)
	s_mov_b32 s0, exec_lo
	s_wait_storecnt_dscnt 0x0
	s_barrier_signal -1
	s_barrier_wait -1
	v_cmpx_lt_i32_e32 10, v120
	s_cbranch_execz .LBB104_230
; %bb.229:
	v_pk_mul_f32 v[122:123], v[114:115], v[98:99] op_sel:[1,1] op_sel_hi:[0,1]
	s_delay_alu instid0(VALU_DEP_1)
	v_pk_fma_f32 v[112:113], v[114:115], v[98:99], v[122:123] op_sel_hi:[1,0,1] neg_lo:[0,0,1] neg_hi:[0,0,1]
	v_pk_fma_f32 v[114:115], v[114:115], v[98:99], v[122:123] op_sel_hi:[1,0,1]
	ds_load_2addr_b64 v[122:125], v116 offset0:11 offset1:12
	v_dual_mov_b32 v98, v112 :: v_dual_mov_b32 v99, v115
	s_wait_dscnt 0x0
	v_pk_mul_f32 v[126:127], v[122:123], v[114:115] op_sel:[0,1]
	s_delay_alu instid0(VALU_DEP_1) | instskip(SKIP_1) | instid1(VALU_DEP_1)
	v_pk_fma_f32 v[128:129], v[122:123], v[112:113], v[126:127] op_sel:[0,0,1] op_sel_hi:[1,1,0] neg_lo:[0,0,1] neg_hi:[0,0,1]
	v_pk_fma_f32 v[122:123], v[122:123], v[112:113], v[126:127] op_sel:[0,0,1] op_sel_hi:[1,0,0]
	v_mov_b32_e32 v129, v123
	v_pk_mul_f32 v[122:123], v[124:125], v[114:115] op_sel:[0,1]
	s_delay_alu instid0(VALU_DEP_1) | instskip(SKIP_1) | instid1(VALU_DEP_1)
	v_pk_fma_f32 v[126:127], v[124:125], v[112:113], v[122:123] op_sel:[0,0,1] op_sel_hi:[1,1,0] neg_lo:[0,0,1] neg_hi:[0,0,1]
	v_pk_fma_f32 v[122:123], v[124:125], v[112:113], v[122:123] op_sel:[0,0,1] op_sel_hi:[1,0,0]
	v_mov_b32_e32 v127, v123
	ds_load_2addr_b64 v[122:125], v116 offset0:13 offset1:14
	v_pk_add_f32 v[94:95], v[94:95], v[128:129] neg_lo:[0,1] neg_hi:[0,1]
	v_pk_add_f32 v[92:93], v[92:93], v[126:127] neg_lo:[0,1] neg_hi:[0,1]
	s_wait_dscnt 0x0
	v_pk_mul_f32 v[126:127], v[122:123], v[114:115] op_sel:[0,1]
	s_delay_alu instid0(VALU_DEP_1) | instskip(SKIP_2) | instid1(VALU_DEP_2)
	v_pk_fma_f32 v[128:129], v[122:123], v[112:113], v[126:127] op_sel:[0,0,1] op_sel_hi:[1,1,0] neg_lo:[0,0,1] neg_hi:[0,0,1]
	v_pk_fma_f32 v[122:123], v[122:123], v[112:113], v[126:127] op_sel:[0,0,1] op_sel_hi:[1,0,0]
	v_dual_mul_f32 v126, v125, v115 :: v_dual_mov_b32 v122, v125
	v_dual_mov_b32 v129, v123 :: v_dual_mov_b32 v123, v124
	s_delay_alu instid0(VALU_DEP_2) | instskip(SKIP_1) | instid1(VALU_DEP_3)
	v_pk_fma_f32 v[126:127], v[124:125], v[98:99], v[126:127] op_sel_hi:[1,1,0] neg_lo:[0,0,1] neg_hi:[0,0,1]
	v_mul_f32_e32 v124, v125, v112
	v_pk_add_f32 v[88:89], v[88:89], v[128:129] neg_lo:[0,1] neg_hi:[0,1]
	s_delay_alu instid0(VALU_DEP_2) | instskip(NEXT) | instid1(VALU_DEP_1)
	v_pk_fma_f32 v[122:123], v[122:123], v[98:99], v[124:125] op_sel_hi:[1,1,0]
	v_mov_b32_e32 v127, v123
	ds_load_2addr_b64 v[122:125], v116 offset0:15 offset1:16
	v_pk_add_f32 v[90:91], v[90:91], v[126:127] neg_lo:[0,1] neg_hi:[0,1]
	s_wait_dscnt 0x0
	v_pk_mul_f32 v[126:127], v[122:123], v[114:115] op_sel:[0,1]
	s_delay_alu instid0(VALU_DEP_1) | instskip(SKIP_1) | instid1(VALU_DEP_1)
	v_pk_fma_f32 v[128:129], v[122:123], v[112:113], v[126:127] op_sel:[0,0,1] op_sel_hi:[1,1,0] neg_lo:[0,0,1] neg_hi:[0,0,1]
	v_pk_fma_f32 v[122:123], v[122:123], v[112:113], v[126:127] op_sel:[0,0,1] op_sel_hi:[1,0,0]
	v_mov_b32_e32 v129, v123
	v_pk_mul_f32 v[122:123], v[124:125], v[114:115] op_sel:[0,1]
	s_delay_alu instid0(VALU_DEP_1) | instskip(SKIP_1) | instid1(VALU_DEP_1)
	v_pk_fma_f32 v[126:127], v[124:125], v[112:113], v[122:123] op_sel:[0,0,1] op_sel_hi:[1,1,0] neg_lo:[0,0,1] neg_hi:[0,0,1]
	v_pk_fma_f32 v[122:123], v[124:125], v[112:113], v[122:123] op_sel:[0,0,1] op_sel_hi:[1,0,0]
	v_mov_b32_e32 v127, v123
	ds_load_2addr_b64 v[122:125], v116 offset0:17 offset1:18
	v_pk_add_f32 v[86:87], v[86:87], v[128:129] neg_lo:[0,1] neg_hi:[0,1]
	v_pk_add_f32 v[84:85], v[84:85], v[126:127] neg_lo:[0,1] neg_hi:[0,1]
	s_wait_dscnt 0x0
	v_pk_mul_f32 v[126:127], v[122:123], v[114:115] op_sel:[0,1]
	s_delay_alu instid0(VALU_DEP_1) | instskip(SKIP_1) | instid1(VALU_DEP_1)
	v_pk_fma_f32 v[128:129], v[122:123], v[112:113], v[126:127] op_sel:[0,0,1] op_sel_hi:[1,1,0] neg_lo:[0,0,1] neg_hi:[0,0,1]
	v_pk_fma_f32 v[122:123], v[122:123], v[112:113], v[126:127] op_sel:[0,0,1] op_sel_hi:[1,0,0]
	v_mov_b32_e32 v129, v123
	v_pk_mul_f32 v[122:123], v[124:125], v[114:115] op_sel:[0,1]
	s_delay_alu instid0(VALU_DEP_1) | instskip(SKIP_1) | instid1(VALU_DEP_1)
	v_pk_fma_f32 v[126:127], v[124:125], v[112:113], v[122:123] op_sel:[0,0,1] op_sel_hi:[1,1,0] neg_lo:[0,0,1] neg_hi:[0,0,1]
	v_pk_fma_f32 v[122:123], v[124:125], v[112:113], v[122:123] op_sel:[0,0,1] op_sel_hi:[1,0,0]
	v_mov_b32_e32 v127, v123
	ds_load_2addr_b64 v[122:125], v116 offset0:19 offset1:20
	v_pk_add_f32 v[80:81], v[80:81], v[128:129] neg_lo:[0,1] neg_hi:[0,1]
	v_pk_add_f32 v[82:83], v[82:83], v[126:127] neg_lo:[0,1] neg_hi:[0,1]
	s_wait_dscnt 0x0
	v_dual_mul_f32 v126, v123, v115 :: v_dual_mul_f32 v128, v123, v112
	s_delay_alu instid0(VALU_DEP_1) | instskip(NEXT) | instid1(VALU_DEP_2)
	v_pk_fma_f32 v[126:127], v[122:123], v[98:99], v[126:127] op_sel_hi:[1,1,0] neg_lo:[0,0,1] neg_hi:[0,0,1]
	v_pk_fma_f32 v[122:123], v[122:123], v[98:99], v[128:129] op_sel:[1,0,0] op_sel_hi:[0,1,0]
	s_delay_alu instid0(VALU_DEP_1) | instskip(SKIP_1) | instid1(VALU_DEP_2)
	v_mov_b32_e32 v127, v123
	v_pk_mul_f32 v[122:123], v[124:125], v[114:115] op_sel:[0,1]
	v_pk_add_f32 v[78:79], v[78:79], v[126:127] neg_lo:[0,1] neg_hi:[0,1]
	s_delay_alu instid0(VALU_DEP_2) | instskip(SKIP_1) | instid1(VALU_DEP_1)
	v_pk_fma_f32 v[126:127], v[124:125], v[112:113], v[122:123] op_sel:[0,0,1] op_sel_hi:[1,1,0] neg_lo:[0,0,1] neg_hi:[0,0,1]
	v_pk_fma_f32 v[122:123], v[124:125], v[112:113], v[122:123] op_sel:[0,0,1] op_sel_hi:[1,0,0]
	v_mov_b32_e32 v127, v123
	ds_load_2addr_b64 v[122:125], v116 offset0:21 offset1:22
	v_pk_add_f32 v[76:77], v[76:77], v[126:127] neg_lo:[0,1] neg_hi:[0,1]
	s_wait_dscnt 0x0
	v_pk_mul_f32 v[126:127], v[122:123], v[114:115] op_sel:[0,1]
	s_delay_alu instid0(VALU_DEP_1) | instskip(SKIP_1) | instid1(VALU_DEP_1)
	v_pk_fma_f32 v[128:129], v[122:123], v[112:113], v[126:127] op_sel:[0,0,1] op_sel_hi:[1,1,0] neg_lo:[0,0,1] neg_hi:[0,0,1]
	v_pk_fma_f32 v[122:123], v[122:123], v[112:113], v[126:127] op_sel:[0,0,1] op_sel_hi:[1,0,0]
	v_mov_b32_e32 v129, v123
	v_pk_mul_f32 v[122:123], v[124:125], v[114:115] op_sel:[0,1]
	s_delay_alu instid0(VALU_DEP_2) | instskip(NEXT) | instid1(VALU_DEP_2)
	v_pk_add_f32 v[72:73], v[72:73], v[128:129] neg_lo:[0,1] neg_hi:[0,1]
	v_pk_fma_f32 v[126:127], v[124:125], v[112:113], v[122:123] op_sel:[0,0,1] op_sel_hi:[1,1,0] neg_lo:[0,0,1] neg_hi:[0,0,1]
	v_pk_fma_f32 v[122:123], v[124:125], v[112:113], v[122:123] op_sel:[0,0,1] op_sel_hi:[1,0,0]
	s_delay_alu instid0(VALU_DEP_1) | instskip(SKIP_4) | instid1(VALU_DEP_1)
	v_mov_b32_e32 v127, v123
	ds_load_2addr_b64 v[122:125], v116 offset0:23 offset1:24
	v_pk_add_f32 v[74:75], v[74:75], v[126:127] neg_lo:[0,1] neg_hi:[0,1]
	s_wait_dscnt 0x0
	v_pk_mul_f32 v[126:127], v[122:123], v[114:115] op_sel:[0,1]
	v_pk_fma_f32 v[128:129], v[122:123], v[112:113], v[126:127] op_sel:[0,0,1] op_sel_hi:[1,1,0] neg_lo:[0,0,1] neg_hi:[0,0,1]
	v_pk_fma_f32 v[122:123], v[122:123], v[112:113], v[126:127] op_sel:[0,0,1] op_sel_hi:[1,0,0]
	v_dual_mul_f32 v126, v125, v115 :: v_dual_mov_b32 v122, v125
	s_delay_alu instid0(VALU_DEP_2) | instskip(NEXT) | instid1(VALU_DEP_2)
	v_dual_mov_b32 v129, v123 :: v_dual_mov_b32 v123, v124
	v_pk_fma_f32 v[126:127], v[124:125], v[98:99], v[126:127] op_sel_hi:[1,1,0] neg_lo:[0,0,1] neg_hi:[0,0,1]
	v_mul_f32_e32 v124, v125, v112
	s_delay_alu instid0(VALU_DEP_3) | instskip(NEXT) | instid1(VALU_DEP_2)
	v_pk_add_f32 v[70:71], v[70:71], v[128:129] neg_lo:[0,1] neg_hi:[0,1]
	v_pk_fma_f32 v[122:123], v[122:123], v[98:99], v[124:125] op_sel_hi:[1,1,0]
	s_delay_alu instid0(VALU_DEP_1) | instskip(SKIP_4) | instid1(VALU_DEP_1)
	v_mov_b32_e32 v127, v123
	ds_load_2addr_b64 v[122:125], v116 offset0:25 offset1:26
	v_pk_add_f32 v[68:69], v[68:69], v[126:127] neg_lo:[0,1] neg_hi:[0,1]
	s_wait_dscnt 0x0
	v_pk_mul_f32 v[126:127], v[122:123], v[114:115] op_sel:[0,1]
	v_pk_fma_f32 v[128:129], v[122:123], v[112:113], v[126:127] op_sel:[0,0,1] op_sel_hi:[1,1,0] neg_lo:[0,0,1] neg_hi:[0,0,1]
	v_pk_fma_f32 v[122:123], v[122:123], v[112:113], v[126:127] op_sel:[0,0,1] op_sel_hi:[1,0,0]
	s_delay_alu instid0(VALU_DEP_1) | instskip(SKIP_1) | instid1(VALU_DEP_1)
	v_mov_b32_e32 v129, v123
	v_pk_mul_f32 v[122:123], v[124:125], v[114:115] op_sel:[0,1]
	v_pk_fma_f32 v[126:127], v[124:125], v[112:113], v[122:123] op_sel:[0,0,1] op_sel_hi:[1,1,0] neg_lo:[0,0,1] neg_hi:[0,0,1]
	v_pk_fma_f32 v[122:123], v[124:125], v[112:113], v[122:123] op_sel:[0,0,1] op_sel_hi:[1,0,0]
	s_delay_alu instid0(VALU_DEP_1)
	v_mov_b32_e32 v127, v123
	ds_load_2addr_b64 v[122:125], v116 offset0:27 offset1:28
	v_pk_add_f32 v[64:65], v[64:65], v[128:129] neg_lo:[0,1] neg_hi:[0,1]
	v_pk_add_f32 v[66:67], v[66:67], v[126:127] neg_lo:[0,1] neg_hi:[0,1]
	s_wait_dscnt 0x0
	v_pk_mul_f32 v[126:127], v[122:123], v[114:115] op_sel:[0,1]
	s_delay_alu instid0(VALU_DEP_1) | instskip(SKIP_1) | instid1(VALU_DEP_1)
	v_pk_fma_f32 v[128:129], v[122:123], v[112:113], v[126:127] op_sel:[0,0,1] op_sel_hi:[1,1,0] neg_lo:[0,0,1] neg_hi:[0,0,1]
	v_pk_fma_f32 v[122:123], v[122:123], v[112:113], v[126:127] op_sel:[0,0,1] op_sel_hi:[1,0,0]
	v_mov_b32_e32 v129, v123
	v_pk_mul_f32 v[122:123], v[124:125], v[114:115] op_sel:[0,1]
	s_delay_alu instid0(VALU_DEP_1) | instskip(SKIP_1) | instid1(VALU_DEP_1)
	v_pk_fma_f32 v[126:127], v[124:125], v[112:113], v[122:123] op_sel:[0,0,1] op_sel_hi:[1,1,0] neg_lo:[0,0,1] neg_hi:[0,0,1]
	v_pk_fma_f32 v[122:123], v[124:125], v[112:113], v[122:123] op_sel:[0,0,1] op_sel_hi:[1,0,0]
	v_mov_b32_e32 v127, v123
	ds_load_2addr_b64 v[122:125], v116 offset0:29 offset1:30
	v_pk_add_f32 v[62:63], v[62:63], v[128:129] neg_lo:[0,1] neg_hi:[0,1]
	v_pk_add_f32 v[52:53], v[52:53], v[126:127] neg_lo:[0,1] neg_hi:[0,1]
	s_wait_dscnt 0x0
	v_dual_mul_f32 v126, v123, v115 :: v_dual_mul_f32 v128, v123, v112
	s_delay_alu instid0(VALU_DEP_1) | instskip(NEXT) | instid1(VALU_DEP_2)
	v_pk_fma_f32 v[126:127], v[122:123], v[98:99], v[126:127] op_sel_hi:[1,1,0] neg_lo:[0,0,1] neg_hi:[0,0,1]
	v_pk_fma_f32 v[122:123], v[122:123], v[98:99], v[128:129] op_sel:[1,0,0] op_sel_hi:[0,1,0]
	s_delay_alu instid0(VALU_DEP_1) | instskip(SKIP_1) | instid1(VALU_DEP_2)
	v_mov_b32_e32 v127, v123
	v_pk_mul_f32 v[122:123], v[124:125], v[114:115] op_sel:[0,1]
	v_pk_add_f32 v[48:49], v[48:49], v[126:127] neg_lo:[0,1] neg_hi:[0,1]
	s_delay_alu instid0(VALU_DEP_2) | instskip(SKIP_1) | instid1(VALU_DEP_1)
	v_pk_fma_f32 v[126:127], v[124:125], v[112:113], v[122:123] op_sel:[0,0,1] op_sel_hi:[1,1,0] neg_lo:[0,0,1] neg_hi:[0,0,1]
	v_pk_fma_f32 v[122:123], v[124:125], v[112:113], v[122:123] op_sel:[0,0,1] op_sel_hi:[1,0,0]
	v_mov_b32_e32 v127, v123
	ds_load_2addr_b64 v[122:125], v116 offset0:31 offset1:32
	v_pk_add_f32 v[50:51], v[50:51], v[126:127] neg_lo:[0,1] neg_hi:[0,1]
	s_wait_dscnt 0x0
	v_pk_mul_f32 v[126:127], v[122:123], v[114:115] op_sel:[0,1]
	s_delay_alu instid0(VALU_DEP_1) | instskip(SKIP_1) | instid1(VALU_DEP_1)
	v_pk_fma_f32 v[128:129], v[122:123], v[112:113], v[126:127] op_sel:[0,0,1] op_sel_hi:[1,1,0] neg_lo:[0,0,1] neg_hi:[0,0,1]
	v_pk_fma_f32 v[122:123], v[122:123], v[112:113], v[126:127] op_sel:[0,0,1] op_sel_hi:[1,0,0]
	v_mov_b32_e32 v129, v123
	v_pk_mul_f32 v[122:123], v[124:125], v[114:115] op_sel:[0,1]
	s_delay_alu instid0(VALU_DEP_2) | instskip(NEXT) | instid1(VALU_DEP_2)
	v_pk_add_f32 v[46:47], v[46:47], v[128:129] neg_lo:[0,1] neg_hi:[0,1]
	v_pk_fma_f32 v[126:127], v[124:125], v[112:113], v[122:123] op_sel:[0,0,1] op_sel_hi:[1,1,0] neg_lo:[0,0,1] neg_hi:[0,0,1]
	v_pk_fma_f32 v[122:123], v[124:125], v[112:113], v[122:123] op_sel:[0,0,1] op_sel_hi:[1,0,0]
	s_delay_alu instid0(VALU_DEP_1) | instskip(SKIP_4) | instid1(VALU_DEP_1)
	v_mov_b32_e32 v127, v123
	ds_load_2addr_b64 v[122:125], v116 offset0:33 offset1:34
	v_pk_add_f32 v[44:45], v[44:45], v[126:127] neg_lo:[0,1] neg_hi:[0,1]
	s_wait_dscnt 0x0
	v_pk_mul_f32 v[126:127], v[122:123], v[114:115] op_sel:[0,1]
	v_pk_fma_f32 v[128:129], v[122:123], v[112:113], v[126:127] op_sel:[0,0,1] op_sel_hi:[1,1,0] neg_lo:[0,0,1] neg_hi:[0,0,1]
	v_pk_fma_f32 v[122:123], v[122:123], v[112:113], v[126:127] op_sel:[0,0,1] op_sel_hi:[1,0,0]
	v_dual_mul_f32 v126, v125, v115 :: v_dual_mov_b32 v122, v125
	s_delay_alu instid0(VALU_DEP_2) | instskip(NEXT) | instid1(VALU_DEP_2)
	v_dual_mov_b32 v129, v123 :: v_dual_mov_b32 v123, v124
	v_pk_fma_f32 v[126:127], v[124:125], v[98:99], v[126:127] op_sel_hi:[1,1,0] neg_lo:[0,0,1] neg_hi:[0,0,1]
	v_mul_f32_e32 v124, v125, v112
	s_delay_alu instid0(VALU_DEP_3) | instskip(NEXT) | instid1(VALU_DEP_2)
	v_pk_add_f32 v[40:41], v[40:41], v[128:129] neg_lo:[0,1] neg_hi:[0,1]
	v_pk_fma_f32 v[122:123], v[122:123], v[98:99], v[124:125] op_sel_hi:[1,1,0]
	s_delay_alu instid0(VALU_DEP_1) | instskip(SKIP_4) | instid1(VALU_DEP_1)
	v_mov_b32_e32 v127, v123
	ds_load_2addr_b64 v[122:125], v116 offset0:35 offset1:36
	v_pk_add_f32 v[42:43], v[42:43], v[126:127] neg_lo:[0,1] neg_hi:[0,1]
	s_wait_dscnt 0x0
	v_pk_mul_f32 v[126:127], v[122:123], v[114:115] op_sel:[0,1]
	v_pk_fma_f32 v[128:129], v[122:123], v[112:113], v[126:127] op_sel:[0,0,1] op_sel_hi:[1,1,0] neg_lo:[0,0,1] neg_hi:[0,0,1]
	v_pk_fma_f32 v[122:123], v[122:123], v[112:113], v[126:127] op_sel:[0,0,1] op_sel_hi:[1,0,0]
	s_delay_alu instid0(VALU_DEP_1) | instskip(SKIP_1) | instid1(VALU_DEP_1)
	v_mov_b32_e32 v129, v123
	v_pk_mul_f32 v[122:123], v[124:125], v[114:115] op_sel:[0,1]
	v_pk_fma_f32 v[126:127], v[124:125], v[112:113], v[122:123] op_sel:[0,0,1] op_sel_hi:[1,1,0] neg_lo:[0,0,1] neg_hi:[0,0,1]
	v_pk_fma_f32 v[122:123], v[124:125], v[112:113], v[122:123] op_sel:[0,0,1] op_sel_hi:[1,0,0]
	s_delay_alu instid0(VALU_DEP_1)
	v_mov_b32_e32 v127, v123
	ds_load_2addr_b64 v[122:125], v116 offset0:37 offset1:38
	v_pk_add_f32 v[38:39], v[38:39], v[128:129] neg_lo:[0,1] neg_hi:[0,1]
	v_pk_add_f32 v[36:37], v[36:37], v[126:127] neg_lo:[0,1] neg_hi:[0,1]
	s_wait_dscnt 0x0
	v_pk_mul_f32 v[126:127], v[122:123], v[114:115] op_sel:[0,1]
	s_delay_alu instid0(VALU_DEP_1) | instskip(SKIP_1) | instid1(VALU_DEP_1)
	v_pk_fma_f32 v[128:129], v[122:123], v[112:113], v[126:127] op_sel:[0,0,1] op_sel_hi:[1,1,0] neg_lo:[0,0,1] neg_hi:[0,0,1]
	v_pk_fma_f32 v[122:123], v[122:123], v[112:113], v[126:127] op_sel:[0,0,1] op_sel_hi:[1,0,0]
	v_mov_b32_e32 v129, v123
	v_pk_mul_f32 v[122:123], v[124:125], v[114:115] op_sel:[0,1]
	s_delay_alu instid0(VALU_DEP_1) | instskip(SKIP_1) | instid1(VALU_DEP_1)
	v_pk_fma_f32 v[126:127], v[124:125], v[112:113], v[122:123] op_sel:[0,0,1] op_sel_hi:[1,1,0] neg_lo:[0,0,1] neg_hi:[0,0,1]
	v_pk_fma_f32 v[122:123], v[124:125], v[112:113], v[122:123] op_sel:[0,0,1] op_sel_hi:[1,0,0]
	v_mov_b32_e32 v127, v123
	ds_load_2addr_b64 v[122:125], v116 offset0:39 offset1:40
	v_pk_add_f32 v[32:33], v[32:33], v[128:129] neg_lo:[0,1] neg_hi:[0,1]
	v_pk_add_f32 v[34:35], v[34:35], v[126:127] neg_lo:[0,1] neg_hi:[0,1]
	s_wait_dscnt 0x0
	v_dual_mul_f32 v126, v123, v115 :: v_dual_mul_f32 v128, v123, v112
	s_delay_alu instid0(VALU_DEP_1) | instskip(NEXT) | instid1(VALU_DEP_2)
	v_pk_fma_f32 v[126:127], v[122:123], v[98:99], v[126:127] op_sel_hi:[1,1,0] neg_lo:[0,0,1] neg_hi:[0,0,1]
	v_pk_fma_f32 v[122:123], v[122:123], v[98:99], v[128:129] op_sel:[1,0,0] op_sel_hi:[0,1,0]
	s_delay_alu instid0(VALU_DEP_1) | instskip(SKIP_1) | instid1(VALU_DEP_2)
	v_mov_b32_e32 v127, v123
	v_pk_mul_f32 v[122:123], v[124:125], v[114:115] op_sel:[0,1]
	v_pk_add_f32 v[30:31], v[30:31], v[126:127] neg_lo:[0,1] neg_hi:[0,1]
	s_delay_alu instid0(VALU_DEP_2) | instskip(SKIP_1) | instid1(VALU_DEP_1)
	v_pk_fma_f32 v[126:127], v[124:125], v[112:113], v[122:123] op_sel:[0,0,1] op_sel_hi:[1,1,0] neg_lo:[0,0,1] neg_hi:[0,0,1]
	v_pk_fma_f32 v[122:123], v[124:125], v[112:113], v[122:123] op_sel:[0,0,1] op_sel_hi:[1,0,0]
	v_mov_b32_e32 v127, v123
	ds_load_2addr_b64 v[122:125], v116 offset0:41 offset1:42
	v_pk_add_f32 v[26:27], v[26:27], v[126:127] neg_lo:[0,1] neg_hi:[0,1]
	s_wait_dscnt 0x0
	v_pk_mul_f32 v[126:127], v[122:123], v[114:115] op_sel:[0,1]
	s_delay_alu instid0(VALU_DEP_1) | instskip(SKIP_1) | instid1(VALU_DEP_1)
	v_pk_fma_f32 v[128:129], v[122:123], v[112:113], v[126:127] op_sel:[0,0,1] op_sel_hi:[1,1,0] neg_lo:[0,0,1] neg_hi:[0,0,1]
	v_pk_fma_f32 v[122:123], v[122:123], v[112:113], v[126:127] op_sel:[0,0,1] op_sel_hi:[1,0,0]
	v_mov_b32_e32 v129, v123
	v_pk_mul_f32 v[122:123], v[124:125], v[114:115] op_sel:[0,1]
	s_delay_alu instid0(VALU_DEP_2) | instskip(NEXT) | instid1(VALU_DEP_2)
	v_pk_add_f32 v[22:23], v[22:23], v[128:129] neg_lo:[0,1] neg_hi:[0,1]
	v_pk_fma_f32 v[126:127], v[124:125], v[112:113], v[122:123] op_sel:[0,0,1] op_sel_hi:[1,1,0] neg_lo:[0,0,1] neg_hi:[0,0,1]
	v_pk_fma_f32 v[122:123], v[124:125], v[112:113], v[122:123] op_sel:[0,0,1] op_sel_hi:[1,0,0]
	s_delay_alu instid0(VALU_DEP_1) | instskip(SKIP_4) | instid1(VALU_DEP_1)
	v_mov_b32_e32 v127, v123
	ds_load_2addr_b64 v[122:125], v116 offset0:43 offset1:44
	v_pk_add_f32 v[24:25], v[24:25], v[126:127] neg_lo:[0,1] neg_hi:[0,1]
	s_wait_dscnt 0x0
	v_pk_mul_f32 v[126:127], v[122:123], v[114:115] op_sel:[0,1]
	v_pk_fma_f32 v[128:129], v[122:123], v[112:113], v[126:127] op_sel:[0,0,1] op_sel_hi:[1,1,0] neg_lo:[0,0,1] neg_hi:[0,0,1]
	v_pk_fma_f32 v[122:123], v[122:123], v[112:113], v[126:127] op_sel:[0,0,1] op_sel_hi:[1,0,0]
	v_dual_mul_f32 v126, v125, v115 :: v_dual_mov_b32 v122, v125
	s_delay_alu instid0(VALU_DEP_2) | instskip(NEXT) | instid1(VALU_DEP_2)
	v_dual_mov_b32 v129, v123 :: v_dual_mov_b32 v123, v124
	v_pk_fma_f32 v[126:127], v[124:125], v[98:99], v[126:127] op_sel_hi:[1,1,0] neg_lo:[0,0,1] neg_hi:[0,0,1]
	v_mul_f32_e32 v124, v125, v112
	s_delay_alu instid0(VALU_DEP_3) | instskip(NEXT) | instid1(VALU_DEP_2)
	v_pk_add_f32 v[20:21], v[20:21], v[128:129] neg_lo:[0,1] neg_hi:[0,1]
	v_pk_fma_f32 v[122:123], v[122:123], v[98:99], v[124:125] op_sel_hi:[1,1,0]
	s_delay_alu instid0(VALU_DEP_1) | instskip(SKIP_4) | instid1(VALU_DEP_1)
	v_mov_b32_e32 v127, v123
	ds_load_2addr_b64 v[122:125], v116 offset0:45 offset1:46
	v_pk_add_f32 v[14:15], v[14:15], v[126:127] neg_lo:[0,1] neg_hi:[0,1]
	s_wait_dscnt 0x0
	v_pk_mul_f32 v[126:127], v[122:123], v[114:115] op_sel:[0,1]
	v_pk_fma_f32 v[128:129], v[122:123], v[112:113], v[126:127] op_sel:[0,0,1] op_sel_hi:[1,1,0] neg_lo:[0,0,1] neg_hi:[0,0,1]
	v_pk_fma_f32 v[122:123], v[122:123], v[112:113], v[126:127] op_sel:[0,0,1] op_sel_hi:[1,0,0]
	s_delay_alu instid0(VALU_DEP_1) | instskip(SKIP_1) | instid1(VALU_DEP_1)
	v_mov_b32_e32 v129, v123
	v_pk_mul_f32 v[122:123], v[124:125], v[114:115] op_sel:[0,1]
	v_pk_fma_f32 v[126:127], v[124:125], v[112:113], v[122:123] op_sel:[0,0,1] op_sel_hi:[1,1,0] neg_lo:[0,0,1] neg_hi:[0,0,1]
	v_pk_fma_f32 v[122:123], v[124:125], v[112:113], v[122:123] op_sel:[0,0,1] op_sel_hi:[1,0,0]
	s_delay_alu instid0(VALU_DEP_1)
	v_mov_b32_e32 v127, v123
	ds_load_2addr_b64 v[122:125], v116 offset0:47 offset1:48
	v_pk_add_f32 v[10:11], v[10:11], v[128:129] neg_lo:[0,1] neg_hi:[0,1]
	v_pk_add_f32 v[12:13], v[12:13], v[126:127] neg_lo:[0,1] neg_hi:[0,1]
	s_wait_dscnt 0x0
	v_pk_mul_f32 v[126:127], v[122:123], v[114:115] op_sel:[0,1]
	s_delay_alu instid0(VALU_DEP_1) | instskip(SKIP_1) | instid1(VALU_DEP_1)
	v_pk_fma_f32 v[128:129], v[122:123], v[112:113], v[126:127] op_sel:[0,0,1] op_sel_hi:[1,1,0] neg_lo:[0,0,1] neg_hi:[0,0,1]
	v_pk_fma_f32 v[122:123], v[122:123], v[112:113], v[126:127] op_sel:[0,0,1] op_sel_hi:[1,0,0]
	v_mov_b32_e32 v129, v123
	v_pk_mul_f32 v[122:123], v[124:125], v[114:115] op_sel:[0,1]
	s_delay_alu instid0(VALU_DEP_1) | instskip(SKIP_1) | instid1(VALU_DEP_1)
	v_pk_fma_f32 v[126:127], v[124:125], v[112:113], v[122:123] op_sel:[0,0,1] op_sel_hi:[1,1,0] neg_lo:[0,0,1] neg_hi:[0,0,1]
	v_pk_fma_f32 v[122:123], v[124:125], v[112:113], v[122:123] op_sel:[0,0,1] op_sel_hi:[1,0,0]
	v_mov_b32_e32 v127, v123
	ds_load_2addr_b64 v[122:125], v116 offset0:49 offset1:50
	v_pk_add_f32 v[8:9], v[8:9], v[128:129] neg_lo:[0,1] neg_hi:[0,1]
	v_pk_add_f32 v[6:7], v[6:7], v[126:127] neg_lo:[0,1] neg_hi:[0,1]
	s_wait_dscnt 0x0
	v_dual_mul_f32 v126, v123, v115 :: v_dual_mul_f32 v128, v123, v112
	s_delay_alu instid0(VALU_DEP_1) | instskip(NEXT) | instid1(VALU_DEP_2)
	v_pk_fma_f32 v[126:127], v[122:123], v[98:99], v[126:127] op_sel_hi:[1,1,0] neg_lo:[0,0,1] neg_hi:[0,0,1]
	v_pk_fma_f32 v[122:123], v[122:123], v[98:99], v[128:129] op_sel:[1,0,0] op_sel_hi:[0,1,0]
	s_delay_alu instid0(VALU_DEP_1) | instskip(SKIP_1) | instid1(VALU_DEP_2)
	v_mov_b32_e32 v127, v123
	v_pk_mul_f32 v[122:123], v[124:125], v[114:115] op_sel:[0,1]
	v_pk_add_f32 v[28:29], v[28:29], v[126:127] neg_lo:[0,1] neg_hi:[0,1]
	s_delay_alu instid0(VALU_DEP_2) | instskip(SKIP_1) | instid1(VALU_DEP_1)
	v_pk_fma_f32 v[126:127], v[124:125], v[112:113], v[122:123] op_sel:[0,0,1] op_sel_hi:[1,1,0] neg_lo:[0,0,1] neg_hi:[0,0,1]
	v_pk_fma_f32 v[122:123], v[124:125], v[112:113], v[122:123] op_sel:[0,0,1] op_sel_hi:[1,0,0]
	v_mov_b32_e32 v127, v123
	ds_load_2addr_b64 v[122:125], v116 offset0:51 offset1:52
	v_pk_add_f32 v[18:19], v[18:19], v[126:127] neg_lo:[0,1] neg_hi:[0,1]
	s_wait_dscnt 0x0
	v_pk_mul_f32 v[126:127], v[122:123], v[114:115] op_sel:[0,1]
	v_mul_f32_e32 v114, v125, v115
	s_delay_alu instid0(VALU_DEP_2) | instskip(SKIP_2) | instid1(VALU_DEP_4)
	v_pk_fma_f32 v[128:129], v[122:123], v[112:113], v[126:127] op_sel:[0,0,1] op_sel_hi:[1,1,0] neg_lo:[0,0,1] neg_hi:[0,0,1]
	v_pk_fma_f32 v[122:123], v[122:123], v[112:113], v[126:127] op_sel:[0,0,1] op_sel_hi:[1,0,0]
	v_dual_mov_b32 v122, v125 :: v_dual_mul_f32 v112, v125, v112
	v_pk_fma_f32 v[114:115], v[124:125], v[98:99], v[114:115] op_sel_hi:[1,1,0] neg_lo:[0,0,1] neg_hi:[0,0,1]
	s_delay_alu instid0(VALU_DEP_3) | instskip(NEXT) | instid1(VALU_DEP_1)
	v_dual_mov_b32 v129, v123 :: v_dual_mov_b32 v123, v124
	v_pk_add_f32 v[16:17], v[16:17], v[128:129] neg_lo:[0,1] neg_hi:[0,1]
	s_delay_alu instid0(VALU_DEP_2) | instskip(NEXT) | instid1(VALU_DEP_1)
	v_pk_fma_f32 v[112:113], v[122:123], v[98:99], v[112:113] op_sel_hi:[1,1,0]
	v_mov_b32_e32 v115, v113
	s_delay_alu instid0(VALU_DEP_1)
	v_pk_add_f32 v[110:111], v[110:111], v[114:115] neg_lo:[0,1] neg_hi:[0,1]
.LBB104_230:
	s_or_b32 exec_lo, exec_lo, s0
	v_lshl_add_u32 v112, v120, 3, v116
	s_barrier_signal -1
	s_barrier_wait -1
	ds_store_b64 v112, v[94:95]
	s_wait_dscnt 0x0
	s_barrier_signal -1
	s_barrier_wait -1
	ds_load_b64 v[114:115], v116 offset:88
	v_mov_b32_e32 v112, 11
	s_cmp_lt_i32 s18, 13
	s_cbranch_scc1 .LBB104_233
; %bb.231:
	v_add3_u32 v113, v117, 0, 0x60
	v_mov_b32_e32 v112, 11
	s_mov_b32 s0, 12
.LBB104_232:                            ; =>This Inner Loop Header: Depth=1
	ds_load_b64 v[122:123], v113
	s_wait_dscnt 0x1
	v_cmp_gt_f32_e32 vcc_lo, 0, v114
	v_cndmask_b32_e64 v124, v114, -v114, vcc_lo
	v_cmp_gt_f32_e32 vcc_lo, 0, v115
	v_cndmask_b32_e64 v126, v115, -v115, vcc_lo
	s_wait_dscnt 0x0
	v_cmp_gt_f32_e32 vcc_lo, 0, v122
	v_cndmask_b32_e64 v125, v122, -v122, vcc_lo
	v_cmp_gt_f32_e32 vcc_lo, 0, v123
	v_cndmask_b32_e64 v127, v123, -v123, vcc_lo
	s_delay_alu instid0(VALU_DEP_1) | instskip(NEXT) | instid1(VALU_DEP_1)
	v_pk_add_f32 v[124:125], v[124:125], v[126:127]
	v_cmp_lt_f32_e32 vcc_lo, v124, v125
	v_dual_add_nc_u32 v113, 8, v113 :: v_dual_cndmask_b32 v115, v115, v123, vcc_lo
	v_cndmask_b32_e32 v114, v114, v122, vcc_lo
	v_cndmask_b32_e64 v112, v112, s0, vcc_lo
	s_add_co_i32 s0, s0, 1
	s_delay_alu instid0(SALU_CYCLE_1)
	s_cmp_lg_u32 s18, s0
	s_cbranch_scc1 .LBB104_232
.LBB104_233:
	s_wait_dscnt 0x0
	v_cmp_eq_f32_e32 vcc_lo, 0, v114
	v_cmp_eq_f32_e64 s0, 0, v115
	s_and_b32 s0, vcc_lo, s0
	s_delay_alu instid0(SALU_CYCLE_1) | instskip(NEXT) | instid1(SALU_CYCLE_1)
	s_and_saveexec_b32 s1, s0
	s_xor_b32 s0, exec_lo, s1
; %bb.234:
	v_cmp_ne_u32_e32 vcc_lo, 0, v118
	v_cndmask_b32_e32 v118, 12, v118, vcc_lo
; %bb.235:
	s_and_not1_saveexec_b32 s0, s0
	s_cbranch_execz .LBB104_241
; %bb.236:
	v_cmp_ngt_f32_e64 s1, |v114|, |v115|
	s_and_saveexec_b32 s12, s1
	s_delay_alu instid0(SALU_CYCLE_1)
	s_xor_b32 s1, exec_lo, s12
	s_cbranch_execz .LBB104_238
; %bb.237:
	v_div_scale_f32 v113, null, v115, v115, v114
	v_div_scale_f32 v123, vcc_lo, v114, v115, v114
	s_delay_alu instid0(VALU_DEP_2) | instskip(SKIP_1) | instid1(TRANS32_DEP_1)
	v_rcp_f32_e32 v121, v113
	v_nop
	v_fma_f32 v122, -v113, v121, 1.0
	s_delay_alu instid0(VALU_DEP_1) | instskip(NEXT) | instid1(VALU_DEP_1)
	v_fmac_f32_e32 v121, v122, v121
	v_mul_f32_e32 v122, v123, v121
	s_delay_alu instid0(VALU_DEP_1) | instskip(NEXT) | instid1(VALU_DEP_1)
	v_fma_f32 v124, -v113, v122, v123
	v_fmac_f32_e32 v122, v124, v121
	s_delay_alu instid0(VALU_DEP_1) | instskip(NEXT) | instid1(VALU_DEP_1)
	v_fma_f32 v113, -v113, v122, v123
	v_div_fmas_f32 v113, v113, v121, v122
	s_delay_alu instid0(VALU_DEP_1) | instskip(NEXT) | instid1(VALU_DEP_1)
	v_div_fixup_f32 v113, v113, v115, v114
	v_fmac_f32_e32 v115, v114, v113
	s_delay_alu instid0(VALU_DEP_1) | instskip(SKIP_1) | instid1(VALU_DEP_2)
	v_div_scale_f32 v114, null, v115, v115, 1.0
	v_div_scale_f32 v123, vcc_lo, 1.0, v115, 1.0
	v_rcp_f32_e32 v121, v114
	v_nop
	s_delay_alu instid0(TRANS32_DEP_1) | instskip(NEXT) | instid1(VALU_DEP_1)
	v_fma_f32 v122, -v114, v121, 1.0
	v_fmac_f32_e32 v121, v122, v121
	s_delay_alu instid0(VALU_DEP_1) | instskip(NEXT) | instid1(VALU_DEP_1)
	v_mul_f32_e32 v122, v123, v121
	v_fma_f32 v124, -v114, v122, v123
	s_delay_alu instid0(VALU_DEP_1) | instskip(NEXT) | instid1(VALU_DEP_1)
	v_fmac_f32_e32 v122, v124, v121
	v_fma_f32 v114, -v114, v122, v123
	s_delay_alu instid0(VALU_DEP_1) | instskip(NEXT) | instid1(VALU_DEP_1)
	v_div_fmas_f32 v114, v114, v121, v122
	v_div_fixup_f32 v115, v114, v115, 1.0
	s_delay_alu instid0(VALU_DEP_1)
	v_mul_f32_e32 v114, v113, v115
	v_xor_b32_e32 v115, 0x80000000, v115
.LBB104_238:
	s_and_not1_saveexec_b32 s1, s1
	s_cbranch_execz .LBB104_240
; %bb.239:
	s_delay_alu instid0(VALU_DEP_1) | instskip(SKIP_1) | instid1(VALU_DEP_2)
	v_div_scale_f32 v113, null, v114, v114, v115
	v_div_scale_f32 v123, vcc_lo, v115, v114, v115
	v_rcp_f32_e32 v121, v113
	v_nop
	s_delay_alu instid0(TRANS32_DEP_1) | instskip(NEXT) | instid1(VALU_DEP_1)
	v_fma_f32 v122, -v113, v121, 1.0
	v_fmac_f32_e32 v121, v122, v121
	s_delay_alu instid0(VALU_DEP_1) | instskip(NEXT) | instid1(VALU_DEP_1)
	v_mul_f32_e32 v122, v123, v121
	v_fma_f32 v124, -v113, v122, v123
	s_delay_alu instid0(VALU_DEP_1) | instskip(NEXT) | instid1(VALU_DEP_1)
	v_fmac_f32_e32 v122, v124, v121
	v_fma_f32 v113, -v113, v122, v123
	s_delay_alu instid0(VALU_DEP_1) | instskip(NEXT) | instid1(VALU_DEP_1)
	v_div_fmas_f32 v113, v113, v121, v122
	v_div_fixup_f32 v113, v113, v114, v115
	s_delay_alu instid0(VALU_DEP_1) | instskip(NEXT) | instid1(VALU_DEP_1)
	v_fmac_f32_e32 v114, v115, v113
	v_div_scale_f32 v115, null, v114, v114, 1.0
	s_delay_alu instid0(VALU_DEP_1) | instskip(SKIP_1) | instid1(TRANS32_DEP_1)
	v_rcp_f32_e32 v121, v115
	v_nop
	v_fma_f32 v122, -v115, v121, 1.0
	s_delay_alu instid0(VALU_DEP_1) | instskip(SKIP_1) | instid1(VALU_DEP_1)
	v_fmac_f32_e32 v121, v122, v121
	v_div_scale_f32 v122, vcc_lo, 1.0, v114, 1.0
	v_mul_f32_e32 v123, v122, v121
	s_delay_alu instid0(VALU_DEP_1) | instskip(NEXT) | instid1(VALU_DEP_1)
	v_fma_f32 v124, -v115, v123, v122
	v_fmac_f32_e32 v123, v124, v121
	s_delay_alu instid0(VALU_DEP_1) | instskip(NEXT) | instid1(VALU_DEP_1)
	v_fma_f32 v115, -v115, v123, v122
	v_div_fmas_f32 v115, v115, v121, v123
	s_delay_alu instid0(VALU_DEP_1) | instskip(NEXT) | instid1(VALU_DEP_1)
	v_div_fixup_f32 v114, v115, v114, 1.0
	v_mul_f32_e64 v115, v113, -v114
.LBB104_240:
	s_or_b32 exec_lo, exec_lo, s1
.LBB104_241:
	s_delay_alu instid0(SALU_CYCLE_1) | instskip(NEXT) | instid1(SALU_CYCLE_1)
	s_or_b32 exec_lo, exec_lo, s0
	s_mov_b32 s0, exec_lo
	v_cmpx_ne_u32_e64 v120, v112
	s_xor_b32 s0, exec_lo, s0
	s_cbranch_execz .LBB104_247
; %bb.242:
	s_mov_b32 s1, exec_lo
	v_cmpx_eq_u32_e32 11, v120
	s_cbranch_execz .LBB104_246
; %bb.243:
	v_cmp_ne_u32_e32 vcc_lo, 11, v112
	s_xor_b32 s12, s16, -1
	s_delay_alu instid0(SALU_CYCLE_1) | instskip(NEXT) | instid1(SALU_CYCLE_1)
	s_and_b32 s13, s12, vcc_lo
	s_and_saveexec_b32 s12, s13
	s_cbranch_execz .LBB104_245
; %bb.244:
	v_ashrrev_i32_e32 v113, 31, v112
	s_delay_alu instid0(VALU_DEP_1)
	v_lshl_add_u64 v[120:121], v[112:113], 2, v[4:5]
	s_clause 0x1
	global_load_b32 v113, v[120:121], off
	global_load_b32 v119, v[4:5], off offset:44
	s_wait_loadcnt 0x1
	global_store_b32 v[4:5], v113, off offset:44
	s_wait_loadcnt 0x0
	global_store_b32 v[120:121], v119, off
.LBB104_245:
	s_wait_xcnt 0x0
	s_or_b32 exec_lo, exec_lo, s12
	v_dual_mov_b32 v120, v112 :: v_dual_mov_b32 v119, v112
.LBB104_246:
	s_or_b32 exec_lo, exec_lo, s1
.LBB104_247:
	s_and_not1_saveexec_b32 s0, s0
	s_cbranch_execz .LBB104_249
; %bb.248:
	v_dual_mov_b32 v112, v92 :: v_dual_mov_b32 v113, v93
	v_dual_mov_b32 v120, v88 :: v_dual_mov_b32 v121, v89
	;; [unrolled: 1-line block ×8, first 2 shown]
	ds_store_2addr_b64 v116, v[112:113], v[120:121] offset0:12 offset1:13
	ds_store_2addr_b64 v116, v[122:123], v[124:125] offset0:14 offset1:15
	ds_store_2addr_b64 v116, v[126:127], v[128:129] offset0:16 offset1:17
	ds_store_2addr_b64 v116, v[130:131], v[132:133] offset0:18 offset1:19
	v_dual_mov_b32 v112, v76 :: v_dual_mov_b32 v113, v77
	v_dual_mov_b32 v120, v72 :: v_dual_mov_b32 v121, v73
	;; [unrolled: 1-line block ×12, first 2 shown]
	ds_store_2addr_b64 v116, v[112:113], v[120:121] offset0:20 offset1:21
	ds_store_2addr_b64 v116, v[122:123], v[124:125] offset0:22 offset1:23
	;; [unrolled: 1-line block ×6, first 2 shown]
	v_dual_mov_b32 v112, v44 :: v_dual_mov_b32 v113, v45
	v_dual_mov_b32 v120, v40 :: v_dual_mov_b32 v121, v41
	;; [unrolled: 1-line block ×12, first 2 shown]
	ds_store_2addr_b64 v116, v[112:113], v[120:121] offset0:32 offset1:33
	ds_store_2addr_b64 v116, v[122:123], v[124:125] offset0:34 offset1:35
	;; [unrolled: 1-line block ×6, first 2 shown]
	v_dual_mov_b32 v112, v14 :: v_dual_mov_b32 v113, v15
	v_dual_mov_b32 v122, v10 :: v_dual_mov_b32 v123, v11
	;; [unrolled: 1-line block ×8, first 2 shown]
	v_mov_b32_e32 v135, v17
	ds_store_2addr_b64 v116, v[112:113], v[122:123] offset0:44 offset1:45
	ds_store_2addr_b64 v116, v[124:125], v[126:127] offset0:46 offset1:47
	;; [unrolled: 1-line block ×4, first 2 shown]
	ds_store_b64 v116, v[110:111] offset:416
.LBB104_249:
	s_or_b32 exec_lo, exec_lo, s0
	s_delay_alu instid0(SALU_CYCLE_1)
	s_mov_b32 s0, exec_lo
	s_wait_storecnt_dscnt 0x0
	s_barrier_signal -1
	s_barrier_wait -1
	v_cmpx_lt_i32_e32 11, v120
	s_cbranch_execz .LBB104_251
; %bb.250:
	v_pk_mul_f32 v[122:123], v[114:115], v[94:95] op_sel:[1,1] op_sel_hi:[0,1]
	s_delay_alu instid0(VALU_DEP_1)
	v_pk_fma_f32 v[112:113], v[114:115], v[94:95], v[122:123] op_sel_hi:[1,0,1] neg_lo:[0,0,1] neg_hi:[0,0,1]
	v_pk_fma_f32 v[114:115], v[114:115], v[94:95], v[122:123] op_sel_hi:[1,0,1]
	ds_load_2addr_b64 v[122:125], v116 offset0:12 offset1:13
	v_dual_mov_b32 v94, v112 :: v_dual_mov_b32 v95, v115
	s_wait_dscnt 0x0
	v_pk_mul_f32 v[126:127], v[122:123], v[114:115] op_sel:[0,1]
	s_delay_alu instid0(VALU_DEP_1) | instskip(SKIP_1) | instid1(VALU_DEP_1)
	v_pk_fma_f32 v[128:129], v[122:123], v[112:113], v[126:127] op_sel:[0,0,1] op_sel_hi:[1,1,0] neg_lo:[0,0,1] neg_hi:[0,0,1]
	v_pk_fma_f32 v[122:123], v[122:123], v[112:113], v[126:127] op_sel:[0,0,1] op_sel_hi:[1,0,0]
	v_mov_b32_e32 v129, v123
	v_pk_mul_f32 v[122:123], v[124:125], v[114:115] op_sel:[0,1]
	s_delay_alu instid0(VALU_DEP_1) | instskip(SKIP_1) | instid1(VALU_DEP_1)
	v_pk_fma_f32 v[126:127], v[124:125], v[112:113], v[122:123] op_sel:[0,0,1] op_sel_hi:[1,1,0] neg_lo:[0,0,1] neg_hi:[0,0,1]
	v_pk_fma_f32 v[122:123], v[124:125], v[112:113], v[122:123] op_sel:[0,0,1] op_sel_hi:[1,0,0]
	v_mov_b32_e32 v127, v123
	ds_load_2addr_b64 v[122:125], v116 offset0:14 offset1:15
	v_pk_add_f32 v[92:93], v[92:93], v[128:129] neg_lo:[0,1] neg_hi:[0,1]
	v_pk_add_f32 v[88:89], v[88:89], v[126:127] neg_lo:[0,1] neg_hi:[0,1]
	s_wait_dscnt 0x0
	v_pk_mul_f32 v[126:127], v[122:123], v[114:115] op_sel:[0,1]
	s_delay_alu instid0(VALU_DEP_1) | instskip(SKIP_2) | instid1(VALU_DEP_2)
	v_pk_fma_f32 v[128:129], v[122:123], v[112:113], v[126:127] op_sel:[0,0,1] op_sel_hi:[1,1,0] neg_lo:[0,0,1] neg_hi:[0,0,1]
	v_pk_fma_f32 v[122:123], v[122:123], v[112:113], v[126:127] op_sel:[0,0,1] op_sel_hi:[1,0,0]
	v_dual_mul_f32 v126, v125, v115 :: v_dual_mov_b32 v122, v125
	v_dual_mov_b32 v129, v123 :: v_dual_mov_b32 v123, v124
	s_delay_alu instid0(VALU_DEP_2) | instskip(SKIP_1) | instid1(VALU_DEP_3)
	v_pk_fma_f32 v[126:127], v[124:125], v[94:95], v[126:127] op_sel_hi:[1,1,0] neg_lo:[0,0,1] neg_hi:[0,0,1]
	v_mul_f32_e32 v124, v125, v112
	v_pk_add_f32 v[90:91], v[90:91], v[128:129] neg_lo:[0,1] neg_hi:[0,1]
	s_delay_alu instid0(VALU_DEP_2) | instskip(NEXT) | instid1(VALU_DEP_1)
	v_pk_fma_f32 v[122:123], v[122:123], v[94:95], v[124:125] op_sel_hi:[1,1,0]
	v_mov_b32_e32 v127, v123
	ds_load_2addr_b64 v[122:125], v116 offset0:16 offset1:17
	v_pk_add_f32 v[86:87], v[86:87], v[126:127] neg_lo:[0,1] neg_hi:[0,1]
	s_wait_dscnt 0x0
	v_pk_mul_f32 v[126:127], v[122:123], v[114:115] op_sel:[0,1]
	s_delay_alu instid0(VALU_DEP_1) | instskip(SKIP_1) | instid1(VALU_DEP_1)
	v_pk_fma_f32 v[128:129], v[122:123], v[112:113], v[126:127] op_sel:[0,0,1] op_sel_hi:[1,1,0] neg_lo:[0,0,1] neg_hi:[0,0,1]
	v_pk_fma_f32 v[122:123], v[122:123], v[112:113], v[126:127] op_sel:[0,0,1] op_sel_hi:[1,0,0]
	v_mov_b32_e32 v129, v123
	v_pk_mul_f32 v[122:123], v[124:125], v[114:115] op_sel:[0,1]
	s_delay_alu instid0(VALU_DEP_1) | instskip(SKIP_1) | instid1(VALU_DEP_1)
	v_pk_fma_f32 v[126:127], v[124:125], v[112:113], v[122:123] op_sel:[0,0,1] op_sel_hi:[1,1,0] neg_lo:[0,0,1] neg_hi:[0,0,1]
	v_pk_fma_f32 v[122:123], v[124:125], v[112:113], v[122:123] op_sel:[0,0,1] op_sel_hi:[1,0,0]
	v_mov_b32_e32 v127, v123
	ds_load_2addr_b64 v[122:125], v116 offset0:18 offset1:19
	v_pk_add_f32 v[84:85], v[84:85], v[128:129] neg_lo:[0,1] neg_hi:[0,1]
	v_pk_add_f32 v[80:81], v[80:81], v[126:127] neg_lo:[0,1] neg_hi:[0,1]
	s_wait_dscnt 0x0
	v_pk_mul_f32 v[126:127], v[122:123], v[114:115] op_sel:[0,1]
	s_delay_alu instid0(VALU_DEP_1) | instskip(SKIP_1) | instid1(VALU_DEP_1)
	v_pk_fma_f32 v[128:129], v[122:123], v[112:113], v[126:127] op_sel:[0,0,1] op_sel_hi:[1,1,0] neg_lo:[0,0,1] neg_hi:[0,0,1]
	v_pk_fma_f32 v[122:123], v[122:123], v[112:113], v[126:127] op_sel:[0,0,1] op_sel_hi:[1,0,0]
	v_mov_b32_e32 v129, v123
	v_pk_mul_f32 v[122:123], v[124:125], v[114:115] op_sel:[0,1]
	s_delay_alu instid0(VALU_DEP_1) | instskip(SKIP_1) | instid1(VALU_DEP_1)
	v_pk_fma_f32 v[126:127], v[124:125], v[112:113], v[122:123] op_sel:[0,0,1] op_sel_hi:[1,1,0] neg_lo:[0,0,1] neg_hi:[0,0,1]
	v_pk_fma_f32 v[122:123], v[124:125], v[112:113], v[122:123] op_sel:[0,0,1] op_sel_hi:[1,0,0]
	v_mov_b32_e32 v127, v123
	ds_load_2addr_b64 v[122:125], v116 offset0:20 offset1:21
	v_pk_add_f32 v[82:83], v[82:83], v[128:129] neg_lo:[0,1] neg_hi:[0,1]
	v_pk_add_f32 v[78:79], v[78:79], v[126:127] neg_lo:[0,1] neg_hi:[0,1]
	s_wait_dscnt 0x0
	v_dual_mul_f32 v126, v123, v115 :: v_dual_mul_f32 v128, v123, v112
	s_delay_alu instid0(VALU_DEP_1) | instskip(NEXT) | instid1(VALU_DEP_2)
	v_pk_fma_f32 v[126:127], v[122:123], v[94:95], v[126:127] op_sel_hi:[1,1,0] neg_lo:[0,0,1] neg_hi:[0,0,1]
	v_pk_fma_f32 v[122:123], v[122:123], v[94:95], v[128:129] op_sel:[1,0,0] op_sel_hi:[0,1,0]
	s_delay_alu instid0(VALU_DEP_1) | instskip(SKIP_1) | instid1(VALU_DEP_2)
	v_mov_b32_e32 v127, v123
	v_pk_mul_f32 v[122:123], v[124:125], v[114:115] op_sel:[0,1]
	v_pk_add_f32 v[76:77], v[76:77], v[126:127] neg_lo:[0,1] neg_hi:[0,1]
	s_delay_alu instid0(VALU_DEP_2) | instskip(SKIP_1) | instid1(VALU_DEP_1)
	v_pk_fma_f32 v[126:127], v[124:125], v[112:113], v[122:123] op_sel:[0,0,1] op_sel_hi:[1,1,0] neg_lo:[0,0,1] neg_hi:[0,0,1]
	v_pk_fma_f32 v[122:123], v[124:125], v[112:113], v[122:123] op_sel:[0,0,1] op_sel_hi:[1,0,0]
	v_mov_b32_e32 v127, v123
	ds_load_2addr_b64 v[122:125], v116 offset0:22 offset1:23
	v_pk_add_f32 v[72:73], v[72:73], v[126:127] neg_lo:[0,1] neg_hi:[0,1]
	s_wait_dscnt 0x0
	v_pk_mul_f32 v[126:127], v[122:123], v[114:115] op_sel:[0,1]
	s_delay_alu instid0(VALU_DEP_1) | instskip(SKIP_1) | instid1(VALU_DEP_1)
	v_pk_fma_f32 v[128:129], v[122:123], v[112:113], v[126:127] op_sel:[0,0,1] op_sel_hi:[1,1,0] neg_lo:[0,0,1] neg_hi:[0,0,1]
	v_pk_fma_f32 v[122:123], v[122:123], v[112:113], v[126:127] op_sel:[0,0,1] op_sel_hi:[1,0,0]
	v_mov_b32_e32 v129, v123
	v_pk_mul_f32 v[122:123], v[124:125], v[114:115] op_sel:[0,1]
	s_delay_alu instid0(VALU_DEP_2) | instskip(NEXT) | instid1(VALU_DEP_2)
	v_pk_add_f32 v[74:75], v[74:75], v[128:129] neg_lo:[0,1] neg_hi:[0,1]
	v_pk_fma_f32 v[126:127], v[124:125], v[112:113], v[122:123] op_sel:[0,0,1] op_sel_hi:[1,1,0] neg_lo:[0,0,1] neg_hi:[0,0,1]
	v_pk_fma_f32 v[122:123], v[124:125], v[112:113], v[122:123] op_sel:[0,0,1] op_sel_hi:[1,0,0]
	s_delay_alu instid0(VALU_DEP_1) | instskip(SKIP_4) | instid1(VALU_DEP_1)
	v_mov_b32_e32 v127, v123
	ds_load_2addr_b64 v[122:125], v116 offset0:24 offset1:25
	v_pk_add_f32 v[70:71], v[70:71], v[126:127] neg_lo:[0,1] neg_hi:[0,1]
	s_wait_dscnt 0x0
	v_pk_mul_f32 v[126:127], v[122:123], v[114:115] op_sel:[0,1]
	v_pk_fma_f32 v[128:129], v[122:123], v[112:113], v[126:127] op_sel:[0,0,1] op_sel_hi:[1,1,0] neg_lo:[0,0,1] neg_hi:[0,0,1]
	v_pk_fma_f32 v[122:123], v[122:123], v[112:113], v[126:127] op_sel:[0,0,1] op_sel_hi:[1,0,0]
	v_dual_mul_f32 v126, v125, v115 :: v_dual_mov_b32 v122, v125
	s_delay_alu instid0(VALU_DEP_2) | instskip(NEXT) | instid1(VALU_DEP_2)
	v_dual_mov_b32 v129, v123 :: v_dual_mov_b32 v123, v124
	v_pk_fma_f32 v[126:127], v[124:125], v[94:95], v[126:127] op_sel_hi:[1,1,0] neg_lo:[0,0,1] neg_hi:[0,0,1]
	v_mul_f32_e32 v124, v125, v112
	s_delay_alu instid0(VALU_DEP_3) | instskip(NEXT) | instid1(VALU_DEP_2)
	v_pk_add_f32 v[68:69], v[68:69], v[128:129] neg_lo:[0,1] neg_hi:[0,1]
	v_pk_fma_f32 v[122:123], v[122:123], v[94:95], v[124:125] op_sel_hi:[1,1,0]
	s_delay_alu instid0(VALU_DEP_1) | instskip(SKIP_4) | instid1(VALU_DEP_1)
	v_mov_b32_e32 v127, v123
	ds_load_2addr_b64 v[122:125], v116 offset0:26 offset1:27
	v_pk_add_f32 v[64:65], v[64:65], v[126:127] neg_lo:[0,1] neg_hi:[0,1]
	s_wait_dscnt 0x0
	v_pk_mul_f32 v[126:127], v[122:123], v[114:115] op_sel:[0,1]
	v_pk_fma_f32 v[128:129], v[122:123], v[112:113], v[126:127] op_sel:[0,0,1] op_sel_hi:[1,1,0] neg_lo:[0,0,1] neg_hi:[0,0,1]
	v_pk_fma_f32 v[122:123], v[122:123], v[112:113], v[126:127] op_sel:[0,0,1] op_sel_hi:[1,0,0]
	s_delay_alu instid0(VALU_DEP_1) | instskip(SKIP_1) | instid1(VALU_DEP_1)
	v_mov_b32_e32 v129, v123
	v_pk_mul_f32 v[122:123], v[124:125], v[114:115] op_sel:[0,1]
	v_pk_fma_f32 v[126:127], v[124:125], v[112:113], v[122:123] op_sel:[0,0,1] op_sel_hi:[1,1,0] neg_lo:[0,0,1] neg_hi:[0,0,1]
	v_pk_fma_f32 v[122:123], v[124:125], v[112:113], v[122:123] op_sel:[0,0,1] op_sel_hi:[1,0,0]
	s_delay_alu instid0(VALU_DEP_1)
	v_mov_b32_e32 v127, v123
	ds_load_2addr_b64 v[122:125], v116 offset0:28 offset1:29
	v_pk_add_f32 v[66:67], v[66:67], v[128:129] neg_lo:[0,1] neg_hi:[0,1]
	v_pk_add_f32 v[62:63], v[62:63], v[126:127] neg_lo:[0,1] neg_hi:[0,1]
	s_wait_dscnt 0x0
	v_pk_mul_f32 v[126:127], v[122:123], v[114:115] op_sel:[0,1]
	s_delay_alu instid0(VALU_DEP_1) | instskip(SKIP_1) | instid1(VALU_DEP_1)
	v_pk_fma_f32 v[128:129], v[122:123], v[112:113], v[126:127] op_sel:[0,0,1] op_sel_hi:[1,1,0] neg_lo:[0,0,1] neg_hi:[0,0,1]
	v_pk_fma_f32 v[122:123], v[122:123], v[112:113], v[126:127] op_sel:[0,0,1] op_sel_hi:[1,0,0]
	v_mov_b32_e32 v129, v123
	v_pk_mul_f32 v[122:123], v[124:125], v[114:115] op_sel:[0,1]
	s_delay_alu instid0(VALU_DEP_1) | instskip(SKIP_1) | instid1(VALU_DEP_1)
	v_pk_fma_f32 v[126:127], v[124:125], v[112:113], v[122:123] op_sel:[0,0,1] op_sel_hi:[1,1,0] neg_lo:[0,0,1] neg_hi:[0,0,1]
	v_pk_fma_f32 v[122:123], v[124:125], v[112:113], v[122:123] op_sel:[0,0,1] op_sel_hi:[1,0,0]
	v_mov_b32_e32 v127, v123
	ds_load_2addr_b64 v[122:125], v116 offset0:30 offset1:31
	v_pk_add_f32 v[52:53], v[52:53], v[128:129] neg_lo:[0,1] neg_hi:[0,1]
	v_pk_add_f32 v[48:49], v[48:49], v[126:127] neg_lo:[0,1] neg_hi:[0,1]
	s_wait_dscnt 0x0
	v_dual_mul_f32 v126, v123, v115 :: v_dual_mul_f32 v128, v123, v112
	s_delay_alu instid0(VALU_DEP_1) | instskip(NEXT) | instid1(VALU_DEP_2)
	v_pk_fma_f32 v[126:127], v[122:123], v[94:95], v[126:127] op_sel_hi:[1,1,0] neg_lo:[0,0,1] neg_hi:[0,0,1]
	v_pk_fma_f32 v[122:123], v[122:123], v[94:95], v[128:129] op_sel:[1,0,0] op_sel_hi:[0,1,0]
	s_delay_alu instid0(VALU_DEP_1) | instskip(SKIP_1) | instid1(VALU_DEP_2)
	v_mov_b32_e32 v127, v123
	v_pk_mul_f32 v[122:123], v[124:125], v[114:115] op_sel:[0,1]
	v_pk_add_f32 v[50:51], v[50:51], v[126:127] neg_lo:[0,1] neg_hi:[0,1]
	s_delay_alu instid0(VALU_DEP_2) | instskip(SKIP_1) | instid1(VALU_DEP_1)
	v_pk_fma_f32 v[126:127], v[124:125], v[112:113], v[122:123] op_sel:[0,0,1] op_sel_hi:[1,1,0] neg_lo:[0,0,1] neg_hi:[0,0,1]
	v_pk_fma_f32 v[122:123], v[124:125], v[112:113], v[122:123] op_sel:[0,0,1] op_sel_hi:[1,0,0]
	v_mov_b32_e32 v127, v123
	ds_load_2addr_b64 v[122:125], v116 offset0:32 offset1:33
	v_pk_add_f32 v[46:47], v[46:47], v[126:127] neg_lo:[0,1] neg_hi:[0,1]
	s_wait_dscnt 0x0
	v_pk_mul_f32 v[126:127], v[122:123], v[114:115] op_sel:[0,1]
	s_delay_alu instid0(VALU_DEP_1) | instskip(SKIP_1) | instid1(VALU_DEP_1)
	v_pk_fma_f32 v[128:129], v[122:123], v[112:113], v[126:127] op_sel:[0,0,1] op_sel_hi:[1,1,0] neg_lo:[0,0,1] neg_hi:[0,0,1]
	v_pk_fma_f32 v[122:123], v[122:123], v[112:113], v[126:127] op_sel:[0,0,1] op_sel_hi:[1,0,0]
	v_mov_b32_e32 v129, v123
	v_pk_mul_f32 v[122:123], v[124:125], v[114:115] op_sel:[0,1]
	s_delay_alu instid0(VALU_DEP_2) | instskip(NEXT) | instid1(VALU_DEP_2)
	v_pk_add_f32 v[44:45], v[44:45], v[128:129] neg_lo:[0,1] neg_hi:[0,1]
	v_pk_fma_f32 v[126:127], v[124:125], v[112:113], v[122:123] op_sel:[0,0,1] op_sel_hi:[1,1,0] neg_lo:[0,0,1] neg_hi:[0,0,1]
	v_pk_fma_f32 v[122:123], v[124:125], v[112:113], v[122:123] op_sel:[0,0,1] op_sel_hi:[1,0,0]
	s_delay_alu instid0(VALU_DEP_1) | instskip(SKIP_4) | instid1(VALU_DEP_1)
	v_mov_b32_e32 v127, v123
	ds_load_2addr_b64 v[122:125], v116 offset0:34 offset1:35
	v_pk_add_f32 v[40:41], v[40:41], v[126:127] neg_lo:[0,1] neg_hi:[0,1]
	s_wait_dscnt 0x0
	v_pk_mul_f32 v[126:127], v[122:123], v[114:115] op_sel:[0,1]
	v_pk_fma_f32 v[128:129], v[122:123], v[112:113], v[126:127] op_sel:[0,0,1] op_sel_hi:[1,1,0] neg_lo:[0,0,1] neg_hi:[0,0,1]
	v_pk_fma_f32 v[122:123], v[122:123], v[112:113], v[126:127] op_sel:[0,0,1] op_sel_hi:[1,0,0]
	v_dual_mul_f32 v126, v125, v115 :: v_dual_mov_b32 v122, v125
	s_delay_alu instid0(VALU_DEP_2) | instskip(NEXT) | instid1(VALU_DEP_2)
	v_dual_mov_b32 v129, v123 :: v_dual_mov_b32 v123, v124
	v_pk_fma_f32 v[126:127], v[124:125], v[94:95], v[126:127] op_sel_hi:[1,1,0] neg_lo:[0,0,1] neg_hi:[0,0,1]
	v_mul_f32_e32 v124, v125, v112
	s_delay_alu instid0(VALU_DEP_3) | instskip(NEXT) | instid1(VALU_DEP_2)
	v_pk_add_f32 v[42:43], v[42:43], v[128:129] neg_lo:[0,1] neg_hi:[0,1]
	v_pk_fma_f32 v[122:123], v[122:123], v[94:95], v[124:125] op_sel_hi:[1,1,0]
	s_delay_alu instid0(VALU_DEP_1) | instskip(SKIP_4) | instid1(VALU_DEP_1)
	v_mov_b32_e32 v127, v123
	ds_load_2addr_b64 v[122:125], v116 offset0:36 offset1:37
	v_pk_add_f32 v[38:39], v[38:39], v[126:127] neg_lo:[0,1] neg_hi:[0,1]
	s_wait_dscnt 0x0
	v_pk_mul_f32 v[126:127], v[122:123], v[114:115] op_sel:[0,1]
	v_pk_fma_f32 v[128:129], v[122:123], v[112:113], v[126:127] op_sel:[0,0,1] op_sel_hi:[1,1,0] neg_lo:[0,0,1] neg_hi:[0,0,1]
	v_pk_fma_f32 v[122:123], v[122:123], v[112:113], v[126:127] op_sel:[0,0,1] op_sel_hi:[1,0,0]
	s_delay_alu instid0(VALU_DEP_1) | instskip(SKIP_1) | instid1(VALU_DEP_1)
	v_mov_b32_e32 v129, v123
	v_pk_mul_f32 v[122:123], v[124:125], v[114:115] op_sel:[0,1]
	v_pk_fma_f32 v[126:127], v[124:125], v[112:113], v[122:123] op_sel:[0,0,1] op_sel_hi:[1,1,0] neg_lo:[0,0,1] neg_hi:[0,0,1]
	v_pk_fma_f32 v[122:123], v[124:125], v[112:113], v[122:123] op_sel:[0,0,1] op_sel_hi:[1,0,0]
	s_delay_alu instid0(VALU_DEP_1)
	v_mov_b32_e32 v127, v123
	ds_load_2addr_b64 v[122:125], v116 offset0:38 offset1:39
	v_pk_add_f32 v[36:37], v[36:37], v[128:129] neg_lo:[0,1] neg_hi:[0,1]
	v_pk_add_f32 v[32:33], v[32:33], v[126:127] neg_lo:[0,1] neg_hi:[0,1]
	s_wait_dscnt 0x0
	v_pk_mul_f32 v[126:127], v[122:123], v[114:115] op_sel:[0,1]
	s_delay_alu instid0(VALU_DEP_1) | instskip(SKIP_1) | instid1(VALU_DEP_1)
	v_pk_fma_f32 v[128:129], v[122:123], v[112:113], v[126:127] op_sel:[0,0,1] op_sel_hi:[1,1,0] neg_lo:[0,0,1] neg_hi:[0,0,1]
	v_pk_fma_f32 v[122:123], v[122:123], v[112:113], v[126:127] op_sel:[0,0,1] op_sel_hi:[1,0,0]
	v_mov_b32_e32 v129, v123
	v_pk_mul_f32 v[122:123], v[124:125], v[114:115] op_sel:[0,1]
	s_delay_alu instid0(VALU_DEP_1) | instskip(SKIP_1) | instid1(VALU_DEP_1)
	v_pk_fma_f32 v[126:127], v[124:125], v[112:113], v[122:123] op_sel:[0,0,1] op_sel_hi:[1,1,0] neg_lo:[0,0,1] neg_hi:[0,0,1]
	v_pk_fma_f32 v[122:123], v[124:125], v[112:113], v[122:123] op_sel:[0,0,1] op_sel_hi:[1,0,0]
	v_mov_b32_e32 v127, v123
	ds_load_2addr_b64 v[122:125], v116 offset0:40 offset1:41
	v_pk_add_f32 v[34:35], v[34:35], v[128:129] neg_lo:[0,1] neg_hi:[0,1]
	v_pk_add_f32 v[30:31], v[30:31], v[126:127] neg_lo:[0,1] neg_hi:[0,1]
	s_wait_dscnt 0x0
	v_dual_mul_f32 v126, v123, v115 :: v_dual_mul_f32 v128, v123, v112
	s_delay_alu instid0(VALU_DEP_1) | instskip(NEXT) | instid1(VALU_DEP_2)
	v_pk_fma_f32 v[126:127], v[122:123], v[94:95], v[126:127] op_sel_hi:[1,1,0] neg_lo:[0,0,1] neg_hi:[0,0,1]
	v_pk_fma_f32 v[122:123], v[122:123], v[94:95], v[128:129] op_sel:[1,0,0] op_sel_hi:[0,1,0]
	s_delay_alu instid0(VALU_DEP_1) | instskip(SKIP_1) | instid1(VALU_DEP_2)
	v_mov_b32_e32 v127, v123
	v_pk_mul_f32 v[122:123], v[124:125], v[114:115] op_sel:[0,1]
	v_pk_add_f32 v[26:27], v[26:27], v[126:127] neg_lo:[0,1] neg_hi:[0,1]
	s_delay_alu instid0(VALU_DEP_2) | instskip(SKIP_1) | instid1(VALU_DEP_1)
	v_pk_fma_f32 v[126:127], v[124:125], v[112:113], v[122:123] op_sel:[0,0,1] op_sel_hi:[1,1,0] neg_lo:[0,0,1] neg_hi:[0,0,1]
	v_pk_fma_f32 v[122:123], v[124:125], v[112:113], v[122:123] op_sel:[0,0,1] op_sel_hi:[1,0,0]
	v_mov_b32_e32 v127, v123
	ds_load_2addr_b64 v[122:125], v116 offset0:42 offset1:43
	v_pk_add_f32 v[22:23], v[22:23], v[126:127] neg_lo:[0,1] neg_hi:[0,1]
	s_wait_dscnt 0x0
	v_pk_mul_f32 v[126:127], v[122:123], v[114:115] op_sel:[0,1]
	s_delay_alu instid0(VALU_DEP_1) | instskip(SKIP_1) | instid1(VALU_DEP_1)
	v_pk_fma_f32 v[128:129], v[122:123], v[112:113], v[126:127] op_sel:[0,0,1] op_sel_hi:[1,1,0] neg_lo:[0,0,1] neg_hi:[0,0,1]
	v_pk_fma_f32 v[122:123], v[122:123], v[112:113], v[126:127] op_sel:[0,0,1] op_sel_hi:[1,0,0]
	v_mov_b32_e32 v129, v123
	v_pk_mul_f32 v[122:123], v[124:125], v[114:115] op_sel:[0,1]
	s_delay_alu instid0(VALU_DEP_2) | instskip(NEXT) | instid1(VALU_DEP_2)
	v_pk_add_f32 v[24:25], v[24:25], v[128:129] neg_lo:[0,1] neg_hi:[0,1]
	v_pk_fma_f32 v[126:127], v[124:125], v[112:113], v[122:123] op_sel:[0,0,1] op_sel_hi:[1,1,0] neg_lo:[0,0,1] neg_hi:[0,0,1]
	v_pk_fma_f32 v[122:123], v[124:125], v[112:113], v[122:123] op_sel:[0,0,1] op_sel_hi:[1,0,0]
	s_delay_alu instid0(VALU_DEP_1) | instskip(SKIP_4) | instid1(VALU_DEP_1)
	v_mov_b32_e32 v127, v123
	ds_load_2addr_b64 v[122:125], v116 offset0:44 offset1:45
	v_pk_add_f32 v[20:21], v[20:21], v[126:127] neg_lo:[0,1] neg_hi:[0,1]
	s_wait_dscnt 0x0
	v_pk_mul_f32 v[126:127], v[122:123], v[114:115] op_sel:[0,1]
	v_pk_fma_f32 v[128:129], v[122:123], v[112:113], v[126:127] op_sel:[0,0,1] op_sel_hi:[1,1,0] neg_lo:[0,0,1] neg_hi:[0,0,1]
	v_pk_fma_f32 v[122:123], v[122:123], v[112:113], v[126:127] op_sel:[0,0,1] op_sel_hi:[1,0,0]
	v_dual_mul_f32 v126, v125, v115 :: v_dual_mov_b32 v122, v125
	s_delay_alu instid0(VALU_DEP_2) | instskip(NEXT) | instid1(VALU_DEP_2)
	v_dual_mov_b32 v129, v123 :: v_dual_mov_b32 v123, v124
	v_pk_fma_f32 v[126:127], v[124:125], v[94:95], v[126:127] op_sel_hi:[1,1,0] neg_lo:[0,0,1] neg_hi:[0,0,1]
	v_mul_f32_e32 v124, v125, v112
	s_delay_alu instid0(VALU_DEP_3) | instskip(NEXT) | instid1(VALU_DEP_2)
	v_pk_add_f32 v[14:15], v[14:15], v[128:129] neg_lo:[0,1] neg_hi:[0,1]
	v_pk_fma_f32 v[122:123], v[122:123], v[94:95], v[124:125] op_sel_hi:[1,1,0]
	s_delay_alu instid0(VALU_DEP_1) | instskip(SKIP_4) | instid1(VALU_DEP_1)
	v_mov_b32_e32 v127, v123
	ds_load_2addr_b64 v[122:125], v116 offset0:46 offset1:47
	v_pk_add_f32 v[10:11], v[10:11], v[126:127] neg_lo:[0,1] neg_hi:[0,1]
	s_wait_dscnt 0x0
	v_pk_mul_f32 v[126:127], v[122:123], v[114:115] op_sel:[0,1]
	v_pk_fma_f32 v[128:129], v[122:123], v[112:113], v[126:127] op_sel:[0,0,1] op_sel_hi:[1,1,0] neg_lo:[0,0,1] neg_hi:[0,0,1]
	v_pk_fma_f32 v[122:123], v[122:123], v[112:113], v[126:127] op_sel:[0,0,1] op_sel_hi:[1,0,0]
	s_delay_alu instid0(VALU_DEP_1) | instskip(SKIP_1) | instid1(VALU_DEP_1)
	v_mov_b32_e32 v129, v123
	v_pk_mul_f32 v[122:123], v[124:125], v[114:115] op_sel:[0,1]
	v_pk_fma_f32 v[126:127], v[124:125], v[112:113], v[122:123] op_sel:[0,0,1] op_sel_hi:[1,1,0] neg_lo:[0,0,1] neg_hi:[0,0,1]
	v_pk_fma_f32 v[122:123], v[124:125], v[112:113], v[122:123] op_sel:[0,0,1] op_sel_hi:[1,0,0]
	s_delay_alu instid0(VALU_DEP_1)
	v_mov_b32_e32 v127, v123
	ds_load_2addr_b64 v[122:125], v116 offset0:48 offset1:49
	v_pk_add_f32 v[12:13], v[12:13], v[128:129] neg_lo:[0,1] neg_hi:[0,1]
	v_pk_add_f32 v[8:9], v[8:9], v[126:127] neg_lo:[0,1] neg_hi:[0,1]
	s_wait_dscnt 0x0
	v_pk_mul_f32 v[126:127], v[122:123], v[114:115] op_sel:[0,1]
	s_delay_alu instid0(VALU_DEP_1) | instskip(SKIP_1) | instid1(VALU_DEP_1)
	v_pk_fma_f32 v[128:129], v[122:123], v[112:113], v[126:127] op_sel:[0,0,1] op_sel_hi:[1,1,0] neg_lo:[0,0,1] neg_hi:[0,0,1]
	v_pk_fma_f32 v[122:123], v[122:123], v[112:113], v[126:127] op_sel:[0,0,1] op_sel_hi:[1,0,0]
	v_mov_b32_e32 v129, v123
	v_pk_mul_f32 v[122:123], v[124:125], v[114:115] op_sel:[0,1]
	s_delay_alu instid0(VALU_DEP_1) | instskip(SKIP_1) | instid1(VALU_DEP_1)
	v_pk_fma_f32 v[126:127], v[124:125], v[112:113], v[122:123] op_sel:[0,0,1] op_sel_hi:[1,1,0] neg_lo:[0,0,1] neg_hi:[0,0,1]
	v_pk_fma_f32 v[122:123], v[124:125], v[112:113], v[122:123] op_sel:[0,0,1] op_sel_hi:[1,0,0]
	v_mov_b32_e32 v127, v123
	ds_load_2addr_b64 v[122:125], v116 offset0:50 offset1:51
	v_pk_add_f32 v[6:7], v[6:7], v[128:129] neg_lo:[0,1] neg_hi:[0,1]
	v_pk_add_f32 v[28:29], v[28:29], v[126:127] neg_lo:[0,1] neg_hi:[0,1]
	s_wait_dscnt 0x0
	v_dual_mul_f32 v126, v123, v115 :: v_dual_mul_f32 v128, v123, v112
	s_delay_alu instid0(VALU_DEP_1) | instskip(NEXT) | instid1(VALU_DEP_2)
	v_pk_fma_f32 v[126:127], v[122:123], v[94:95], v[126:127] op_sel_hi:[1,1,0] neg_lo:[0,0,1] neg_hi:[0,0,1]
	v_pk_fma_f32 v[122:123], v[122:123], v[94:95], v[128:129] op_sel:[1,0,0] op_sel_hi:[0,1,0]
	s_delay_alu instid0(VALU_DEP_1) | instskip(SKIP_1) | instid1(VALU_DEP_2)
	v_mov_b32_e32 v127, v123
	v_pk_mul_f32 v[122:123], v[124:125], v[114:115] op_sel:[0,1]
	v_pk_add_f32 v[18:19], v[18:19], v[126:127] neg_lo:[0,1] neg_hi:[0,1]
	s_delay_alu instid0(VALU_DEP_2) | instskip(SKIP_1) | instid1(VALU_DEP_1)
	v_pk_fma_f32 v[126:127], v[124:125], v[112:113], v[122:123] op_sel:[0,0,1] op_sel_hi:[1,1,0] neg_lo:[0,0,1] neg_hi:[0,0,1]
	v_pk_fma_f32 v[122:123], v[124:125], v[112:113], v[122:123] op_sel:[0,0,1] op_sel_hi:[1,0,0]
	v_mov_b32_e32 v127, v123
	ds_load_b64 v[122:123], v116 offset:416
	v_pk_add_f32 v[16:17], v[16:17], v[126:127] neg_lo:[0,1] neg_hi:[0,1]
	s_wait_dscnt 0x0
	v_pk_mul_f32 v[114:115], v[122:123], v[114:115] op_sel:[0,1]
	s_delay_alu instid0(VALU_DEP_1) | instskip(SKIP_1) | instid1(VALU_DEP_1)
	v_pk_fma_f32 v[124:125], v[122:123], v[112:113], v[114:115] op_sel:[0,0,1] op_sel_hi:[1,1,0] neg_lo:[0,0,1] neg_hi:[0,0,1]
	v_pk_fma_f32 v[112:113], v[122:123], v[112:113], v[114:115] op_sel:[0,0,1] op_sel_hi:[1,0,0]
	v_mov_b32_e32 v125, v113
	s_delay_alu instid0(VALU_DEP_1)
	v_pk_add_f32 v[110:111], v[110:111], v[124:125] neg_lo:[0,1] neg_hi:[0,1]
.LBB104_251:
	s_or_b32 exec_lo, exec_lo, s0
	v_lshl_add_u32 v112, v120, 3, v116
	s_barrier_signal -1
	s_barrier_wait -1
	ds_store_b64 v112, v[92:93]
	s_wait_dscnt 0x0
	s_barrier_signal -1
	s_barrier_wait -1
	ds_load_b64 v[114:115], v116 offset:96
	v_mov_b32_e32 v112, 12
	s_cmp_lt_i32 s18, 14
	s_cbranch_scc1 .LBB104_254
; %bb.252:
	v_add3_u32 v113, v117, 0, 0x68
	v_mov_b32_e32 v112, 12
	s_mov_b32 s0, 13
.LBB104_253:                            ; =>This Inner Loop Header: Depth=1
	ds_load_b64 v[122:123], v113
	s_wait_dscnt 0x1
	v_cmp_gt_f32_e32 vcc_lo, 0, v114
	v_cndmask_b32_e64 v124, v114, -v114, vcc_lo
	v_cmp_gt_f32_e32 vcc_lo, 0, v115
	v_cndmask_b32_e64 v126, v115, -v115, vcc_lo
	s_wait_dscnt 0x0
	v_cmp_gt_f32_e32 vcc_lo, 0, v122
	v_cndmask_b32_e64 v125, v122, -v122, vcc_lo
	v_cmp_gt_f32_e32 vcc_lo, 0, v123
	v_cndmask_b32_e64 v127, v123, -v123, vcc_lo
	s_delay_alu instid0(VALU_DEP_1) | instskip(NEXT) | instid1(VALU_DEP_1)
	v_pk_add_f32 v[124:125], v[124:125], v[126:127]
	v_cmp_lt_f32_e32 vcc_lo, v124, v125
	v_dual_add_nc_u32 v113, 8, v113 :: v_dual_cndmask_b32 v115, v115, v123, vcc_lo
	v_cndmask_b32_e32 v114, v114, v122, vcc_lo
	v_cndmask_b32_e64 v112, v112, s0, vcc_lo
	s_add_co_i32 s0, s0, 1
	s_delay_alu instid0(SALU_CYCLE_1)
	s_cmp_lg_u32 s18, s0
	s_cbranch_scc1 .LBB104_253
.LBB104_254:
	s_wait_dscnt 0x0
	v_cmp_eq_f32_e32 vcc_lo, 0, v114
	v_cmp_eq_f32_e64 s0, 0, v115
	s_and_b32 s0, vcc_lo, s0
	s_delay_alu instid0(SALU_CYCLE_1) | instskip(NEXT) | instid1(SALU_CYCLE_1)
	s_and_saveexec_b32 s1, s0
	s_xor_b32 s0, exec_lo, s1
; %bb.255:
	v_cmp_ne_u32_e32 vcc_lo, 0, v118
	v_cndmask_b32_e32 v118, 13, v118, vcc_lo
; %bb.256:
	s_and_not1_saveexec_b32 s0, s0
	s_cbranch_execz .LBB104_262
; %bb.257:
	v_cmp_ngt_f32_e64 s1, |v114|, |v115|
	s_and_saveexec_b32 s12, s1
	s_delay_alu instid0(SALU_CYCLE_1)
	s_xor_b32 s1, exec_lo, s12
	s_cbranch_execz .LBB104_259
; %bb.258:
	v_div_scale_f32 v113, null, v115, v115, v114
	v_div_scale_f32 v123, vcc_lo, v114, v115, v114
	s_delay_alu instid0(VALU_DEP_2) | instskip(SKIP_1) | instid1(TRANS32_DEP_1)
	v_rcp_f32_e32 v121, v113
	v_nop
	v_fma_f32 v122, -v113, v121, 1.0
	s_delay_alu instid0(VALU_DEP_1) | instskip(NEXT) | instid1(VALU_DEP_1)
	v_fmac_f32_e32 v121, v122, v121
	v_mul_f32_e32 v122, v123, v121
	s_delay_alu instid0(VALU_DEP_1) | instskip(NEXT) | instid1(VALU_DEP_1)
	v_fma_f32 v124, -v113, v122, v123
	v_fmac_f32_e32 v122, v124, v121
	s_delay_alu instid0(VALU_DEP_1) | instskip(NEXT) | instid1(VALU_DEP_1)
	v_fma_f32 v113, -v113, v122, v123
	v_div_fmas_f32 v113, v113, v121, v122
	s_delay_alu instid0(VALU_DEP_1) | instskip(NEXT) | instid1(VALU_DEP_1)
	v_div_fixup_f32 v113, v113, v115, v114
	v_fmac_f32_e32 v115, v114, v113
	s_delay_alu instid0(VALU_DEP_1) | instskip(SKIP_1) | instid1(VALU_DEP_2)
	v_div_scale_f32 v114, null, v115, v115, 1.0
	v_div_scale_f32 v123, vcc_lo, 1.0, v115, 1.0
	v_rcp_f32_e32 v121, v114
	v_nop
	s_delay_alu instid0(TRANS32_DEP_1) | instskip(NEXT) | instid1(VALU_DEP_1)
	v_fma_f32 v122, -v114, v121, 1.0
	v_fmac_f32_e32 v121, v122, v121
	s_delay_alu instid0(VALU_DEP_1) | instskip(NEXT) | instid1(VALU_DEP_1)
	v_mul_f32_e32 v122, v123, v121
	v_fma_f32 v124, -v114, v122, v123
	s_delay_alu instid0(VALU_DEP_1) | instskip(NEXT) | instid1(VALU_DEP_1)
	v_fmac_f32_e32 v122, v124, v121
	v_fma_f32 v114, -v114, v122, v123
	s_delay_alu instid0(VALU_DEP_1) | instskip(NEXT) | instid1(VALU_DEP_1)
	v_div_fmas_f32 v114, v114, v121, v122
	v_div_fixup_f32 v115, v114, v115, 1.0
	s_delay_alu instid0(VALU_DEP_1)
	v_mul_f32_e32 v114, v113, v115
	v_xor_b32_e32 v115, 0x80000000, v115
.LBB104_259:
	s_and_not1_saveexec_b32 s1, s1
	s_cbranch_execz .LBB104_261
; %bb.260:
	s_delay_alu instid0(VALU_DEP_1) | instskip(SKIP_1) | instid1(VALU_DEP_2)
	v_div_scale_f32 v113, null, v114, v114, v115
	v_div_scale_f32 v123, vcc_lo, v115, v114, v115
	v_rcp_f32_e32 v121, v113
	v_nop
	s_delay_alu instid0(TRANS32_DEP_1) | instskip(NEXT) | instid1(VALU_DEP_1)
	v_fma_f32 v122, -v113, v121, 1.0
	v_fmac_f32_e32 v121, v122, v121
	s_delay_alu instid0(VALU_DEP_1) | instskip(NEXT) | instid1(VALU_DEP_1)
	v_mul_f32_e32 v122, v123, v121
	v_fma_f32 v124, -v113, v122, v123
	s_delay_alu instid0(VALU_DEP_1) | instskip(NEXT) | instid1(VALU_DEP_1)
	v_fmac_f32_e32 v122, v124, v121
	v_fma_f32 v113, -v113, v122, v123
	s_delay_alu instid0(VALU_DEP_1) | instskip(NEXT) | instid1(VALU_DEP_1)
	v_div_fmas_f32 v113, v113, v121, v122
	v_div_fixup_f32 v113, v113, v114, v115
	s_delay_alu instid0(VALU_DEP_1) | instskip(NEXT) | instid1(VALU_DEP_1)
	v_fmac_f32_e32 v114, v115, v113
	v_div_scale_f32 v115, null, v114, v114, 1.0
	s_delay_alu instid0(VALU_DEP_1) | instskip(SKIP_1) | instid1(TRANS32_DEP_1)
	v_rcp_f32_e32 v121, v115
	v_nop
	v_fma_f32 v122, -v115, v121, 1.0
	s_delay_alu instid0(VALU_DEP_1) | instskip(SKIP_1) | instid1(VALU_DEP_1)
	v_fmac_f32_e32 v121, v122, v121
	v_div_scale_f32 v122, vcc_lo, 1.0, v114, 1.0
	v_mul_f32_e32 v123, v122, v121
	s_delay_alu instid0(VALU_DEP_1) | instskip(NEXT) | instid1(VALU_DEP_1)
	v_fma_f32 v124, -v115, v123, v122
	v_fmac_f32_e32 v123, v124, v121
	s_delay_alu instid0(VALU_DEP_1) | instskip(NEXT) | instid1(VALU_DEP_1)
	v_fma_f32 v115, -v115, v123, v122
	v_div_fmas_f32 v115, v115, v121, v123
	s_delay_alu instid0(VALU_DEP_1) | instskip(NEXT) | instid1(VALU_DEP_1)
	v_div_fixup_f32 v114, v115, v114, 1.0
	v_mul_f32_e64 v115, v113, -v114
.LBB104_261:
	s_or_b32 exec_lo, exec_lo, s1
.LBB104_262:
	s_delay_alu instid0(SALU_CYCLE_1) | instskip(NEXT) | instid1(SALU_CYCLE_1)
	s_or_b32 exec_lo, exec_lo, s0
	s_mov_b32 s0, exec_lo
	v_cmpx_ne_u32_e64 v120, v112
	s_xor_b32 s0, exec_lo, s0
	s_cbranch_execz .LBB104_268
; %bb.263:
	s_mov_b32 s1, exec_lo
	v_cmpx_eq_u32_e32 12, v120
	s_cbranch_execz .LBB104_267
; %bb.264:
	v_cmp_ne_u32_e32 vcc_lo, 12, v112
	s_xor_b32 s12, s16, -1
	s_delay_alu instid0(SALU_CYCLE_1) | instskip(NEXT) | instid1(SALU_CYCLE_1)
	s_and_b32 s13, s12, vcc_lo
	s_and_saveexec_b32 s12, s13
	s_cbranch_execz .LBB104_266
; %bb.265:
	v_ashrrev_i32_e32 v113, 31, v112
	s_delay_alu instid0(VALU_DEP_1)
	v_lshl_add_u64 v[120:121], v[112:113], 2, v[4:5]
	s_clause 0x1
	global_load_b32 v113, v[120:121], off
	global_load_b32 v119, v[4:5], off offset:48
	s_wait_loadcnt 0x1
	global_store_b32 v[4:5], v113, off offset:48
	s_wait_loadcnt 0x0
	global_store_b32 v[120:121], v119, off
.LBB104_266:
	s_wait_xcnt 0x0
	s_or_b32 exec_lo, exec_lo, s12
	v_dual_mov_b32 v120, v112 :: v_dual_mov_b32 v119, v112
.LBB104_267:
	s_or_b32 exec_lo, exec_lo, s1
.LBB104_268:
	s_and_not1_saveexec_b32 s0, s0
	s_cbranch_execz .LBB104_270
; %bb.269:
	v_mov_b32_e32 v120, 12
	ds_store_2addr_b64 v116, v[88:89], v[90:91] offset0:13 offset1:14
	ds_store_2addr_b64 v116, v[86:87], v[84:85] offset0:15 offset1:16
	;; [unrolled: 1-line block ×20, first 2 shown]
.LBB104_270:
	s_or_b32 exec_lo, exec_lo, s0
	s_delay_alu instid0(SALU_CYCLE_1)
	s_mov_b32 s0, exec_lo
	s_wait_storecnt_dscnt 0x0
	s_barrier_signal -1
	s_barrier_wait -1
	v_cmpx_lt_i32_e32 12, v120
	s_cbranch_execz .LBB104_272
; %bb.271:
	v_pk_mul_f32 v[122:123], v[114:115], v[92:93] op_sel:[1,1] op_sel_hi:[0,1]
	s_delay_alu instid0(VALU_DEP_1)
	v_pk_fma_f32 v[112:113], v[114:115], v[92:93], v[122:123] op_sel_hi:[1,0,1] neg_lo:[0,0,1] neg_hi:[0,0,1]
	v_pk_fma_f32 v[114:115], v[114:115], v[92:93], v[122:123] op_sel_hi:[1,0,1]
	ds_load_2addr_b64 v[122:125], v116 offset0:13 offset1:14
	v_dual_mov_b32 v92, v112 :: v_dual_mov_b32 v93, v115
	s_wait_dscnt 0x0
	v_pk_mul_f32 v[126:127], v[122:123], v[114:115] op_sel:[0,1]
	s_delay_alu instid0(VALU_DEP_1) | instskip(SKIP_1) | instid1(VALU_DEP_1)
	v_pk_fma_f32 v[128:129], v[122:123], v[112:113], v[126:127] op_sel:[0,0,1] op_sel_hi:[1,1,0] neg_lo:[0,0,1] neg_hi:[0,0,1]
	v_pk_fma_f32 v[122:123], v[122:123], v[112:113], v[126:127] op_sel:[0,0,1] op_sel_hi:[1,0,0]
	v_mov_b32_e32 v129, v123
	v_pk_mul_f32 v[122:123], v[124:125], v[114:115] op_sel:[0,1]
	s_delay_alu instid0(VALU_DEP_1) | instskip(SKIP_1) | instid1(VALU_DEP_1)
	v_pk_fma_f32 v[126:127], v[124:125], v[112:113], v[122:123] op_sel:[0,0,1] op_sel_hi:[1,1,0] neg_lo:[0,0,1] neg_hi:[0,0,1]
	v_pk_fma_f32 v[122:123], v[124:125], v[112:113], v[122:123] op_sel:[0,0,1] op_sel_hi:[1,0,0]
	v_mov_b32_e32 v127, v123
	ds_load_2addr_b64 v[122:125], v116 offset0:15 offset1:16
	v_pk_add_f32 v[88:89], v[88:89], v[128:129] neg_lo:[0,1] neg_hi:[0,1]
	v_pk_add_f32 v[90:91], v[90:91], v[126:127] neg_lo:[0,1] neg_hi:[0,1]
	s_wait_dscnt 0x0
	v_pk_mul_f32 v[126:127], v[122:123], v[114:115] op_sel:[0,1]
	s_delay_alu instid0(VALU_DEP_1) | instskip(SKIP_2) | instid1(VALU_DEP_2)
	v_pk_fma_f32 v[128:129], v[122:123], v[112:113], v[126:127] op_sel:[0,0,1] op_sel_hi:[1,1,0] neg_lo:[0,0,1] neg_hi:[0,0,1]
	v_pk_fma_f32 v[122:123], v[122:123], v[112:113], v[126:127] op_sel:[0,0,1] op_sel_hi:[1,0,0]
	v_dual_mul_f32 v126, v125, v115 :: v_dual_mov_b32 v122, v125
	v_dual_mov_b32 v129, v123 :: v_dual_mov_b32 v123, v124
	s_delay_alu instid0(VALU_DEP_2) | instskip(SKIP_1) | instid1(VALU_DEP_3)
	v_pk_fma_f32 v[126:127], v[124:125], v[92:93], v[126:127] op_sel_hi:[1,1,0] neg_lo:[0,0,1] neg_hi:[0,0,1]
	v_mul_f32_e32 v124, v125, v112
	v_pk_add_f32 v[86:87], v[86:87], v[128:129] neg_lo:[0,1] neg_hi:[0,1]
	s_delay_alu instid0(VALU_DEP_2) | instskip(NEXT) | instid1(VALU_DEP_1)
	v_pk_fma_f32 v[122:123], v[122:123], v[92:93], v[124:125] op_sel_hi:[1,1,0]
	v_mov_b32_e32 v127, v123
	ds_load_2addr_b64 v[122:125], v116 offset0:17 offset1:18
	v_pk_add_f32 v[84:85], v[84:85], v[126:127] neg_lo:[0,1] neg_hi:[0,1]
	s_wait_dscnt 0x0
	v_pk_mul_f32 v[126:127], v[122:123], v[114:115] op_sel:[0,1]
	s_delay_alu instid0(VALU_DEP_1) | instskip(SKIP_1) | instid1(VALU_DEP_1)
	v_pk_fma_f32 v[128:129], v[122:123], v[112:113], v[126:127] op_sel:[0,0,1] op_sel_hi:[1,1,0] neg_lo:[0,0,1] neg_hi:[0,0,1]
	v_pk_fma_f32 v[122:123], v[122:123], v[112:113], v[126:127] op_sel:[0,0,1] op_sel_hi:[1,0,0]
	v_mov_b32_e32 v129, v123
	v_pk_mul_f32 v[122:123], v[124:125], v[114:115] op_sel:[0,1]
	s_delay_alu instid0(VALU_DEP_1) | instskip(SKIP_1) | instid1(VALU_DEP_1)
	v_pk_fma_f32 v[126:127], v[124:125], v[112:113], v[122:123] op_sel:[0,0,1] op_sel_hi:[1,1,0] neg_lo:[0,0,1] neg_hi:[0,0,1]
	v_pk_fma_f32 v[122:123], v[124:125], v[112:113], v[122:123] op_sel:[0,0,1] op_sel_hi:[1,0,0]
	v_mov_b32_e32 v127, v123
	ds_load_2addr_b64 v[122:125], v116 offset0:19 offset1:20
	v_pk_add_f32 v[80:81], v[80:81], v[128:129] neg_lo:[0,1] neg_hi:[0,1]
	v_pk_add_f32 v[82:83], v[82:83], v[126:127] neg_lo:[0,1] neg_hi:[0,1]
	s_wait_dscnt 0x0
	v_pk_mul_f32 v[126:127], v[122:123], v[114:115] op_sel:[0,1]
	s_delay_alu instid0(VALU_DEP_1) | instskip(SKIP_1) | instid1(VALU_DEP_1)
	v_pk_fma_f32 v[128:129], v[122:123], v[112:113], v[126:127] op_sel:[0,0,1] op_sel_hi:[1,1,0] neg_lo:[0,0,1] neg_hi:[0,0,1]
	v_pk_fma_f32 v[122:123], v[122:123], v[112:113], v[126:127] op_sel:[0,0,1] op_sel_hi:[1,0,0]
	v_mov_b32_e32 v129, v123
	v_pk_mul_f32 v[122:123], v[124:125], v[114:115] op_sel:[0,1]
	s_delay_alu instid0(VALU_DEP_1) | instskip(SKIP_1) | instid1(VALU_DEP_1)
	v_pk_fma_f32 v[126:127], v[124:125], v[112:113], v[122:123] op_sel:[0,0,1] op_sel_hi:[1,1,0] neg_lo:[0,0,1] neg_hi:[0,0,1]
	v_pk_fma_f32 v[122:123], v[124:125], v[112:113], v[122:123] op_sel:[0,0,1] op_sel_hi:[1,0,0]
	v_mov_b32_e32 v127, v123
	ds_load_2addr_b64 v[122:125], v116 offset0:21 offset1:22
	v_pk_add_f32 v[78:79], v[78:79], v[128:129] neg_lo:[0,1] neg_hi:[0,1]
	v_pk_add_f32 v[76:77], v[76:77], v[126:127] neg_lo:[0,1] neg_hi:[0,1]
	s_wait_dscnt 0x0
	v_dual_mul_f32 v126, v123, v115 :: v_dual_mul_f32 v128, v123, v112
	s_delay_alu instid0(VALU_DEP_1) | instskip(NEXT) | instid1(VALU_DEP_2)
	v_pk_fma_f32 v[126:127], v[122:123], v[92:93], v[126:127] op_sel_hi:[1,1,0] neg_lo:[0,0,1] neg_hi:[0,0,1]
	v_pk_fma_f32 v[122:123], v[122:123], v[92:93], v[128:129] op_sel:[1,0,0] op_sel_hi:[0,1,0]
	s_delay_alu instid0(VALU_DEP_1) | instskip(SKIP_1) | instid1(VALU_DEP_2)
	v_mov_b32_e32 v127, v123
	v_pk_mul_f32 v[122:123], v[124:125], v[114:115] op_sel:[0,1]
	v_pk_add_f32 v[72:73], v[72:73], v[126:127] neg_lo:[0,1] neg_hi:[0,1]
	s_delay_alu instid0(VALU_DEP_2) | instskip(SKIP_1) | instid1(VALU_DEP_1)
	v_pk_fma_f32 v[126:127], v[124:125], v[112:113], v[122:123] op_sel:[0,0,1] op_sel_hi:[1,1,0] neg_lo:[0,0,1] neg_hi:[0,0,1]
	v_pk_fma_f32 v[122:123], v[124:125], v[112:113], v[122:123] op_sel:[0,0,1] op_sel_hi:[1,0,0]
	v_mov_b32_e32 v127, v123
	ds_load_2addr_b64 v[122:125], v116 offset0:23 offset1:24
	v_pk_add_f32 v[74:75], v[74:75], v[126:127] neg_lo:[0,1] neg_hi:[0,1]
	s_wait_dscnt 0x0
	v_pk_mul_f32 v[126:127], v[122:123], v[114:115] op_sel:[0,1]
	s_delay_alu instid0(VALU_DEP_1) | instskip(SKIP_1) | instid1(VALU_DEP_1)
	v_pk_fma_f32 v[128:129], v[122:123], v[112:113], v[126:127] op_sel:[0,0,1] op_sel_hi:[1,1,0] neg_lo:[0,0,1] neg_hi:[0,0,1]
	v_pk_fma_f32 v[122:123], v[122:123], v[112:113], v[126:127] op_sel:[0,0,1] op_sel_hi:[1,0,0]
	v_mov_b32_e32 v129, v123
	v_pk_mul_f32 v[122:123], v[124:125], v[114:115] op_sel:[0,1]
	s_delay_alu instid0(VALU_DEP_2) | instskip(NEXT) | instid1(VALU_DEP_2)
	v_pk_add_f32 v[70:71], v[70:71], v[128:129] neg_lo:[0,1] neg_hi:[0,1]
	v_pk_fma_f32 v[126:127], v[124:125], v[112:113], v[122:123] op_sel:[0,0,1] op_sel_hi:[1,1,0] neg_lo:[0,0,1] neg_hi:[0,0,1]
	v_pk_fma_f32 v[122:123], v[124:125], v[112:113], v[122:123] op_sel:[0,0,1] op_sel_hi:[1,0,0]
	s_delay_alu instid0(VALU_DEP_1) | instskip(SKIP_4) | instid1(VALU_DEP_1)
	v_mov_b32_e32 v127, v123
	ds_load_2addr_b64 v[122:125], v116 offset0:25 offset1:26
	v_pk_add_f32 v[68:69], v[68:69], v[126:127] neg_lo:[0,1] neg_hi:[0,1]
	s_wait_dscnt 0x0
	v_pk_mul_f32 v[126:127], v[122:123], v[114:115] op_sel:[0,1]
	v_pk_fma_f32 v[128:129], v[122:123], v[112:113], v[126:127] op_sel:[0,0,1] op_sel_hi:[1,1,0] neg_lo:[0,0,1] neg_hi:[0,0,1]
	v_pk_fma_f32 v[122:123], v[122:123], v[112:113], v[126:127] op_sel:[0,0,1] op_sel_hi:[1,0,0]
	v_dual_mul_f32 v126, v125, v115 :: v_dual_mov_b32 v122, v125
	s_delay_alu instid0(VALU_DEP_2) | instskip(NEXT) | instid1(VALU_DEP_2)
	v_dual_mov_b32 v129, v123 :: v_dual_mov_b32 v123, v124
	v_pk_fma_f32 v[126:127], v[124:125], v[92:93], v[126:127] op_sel_hi:[1,1,0] neg_lo:[0,0,1] neg_hi:[0,0,1]
	v_mul_f32_e32 v124, v125, v112
	s_delay_alu instid0(VALU_DEP_3) | instskip(NEXT) | instid1(VALU_DEP_2)
	v_pk_add_f32 v[64:65], v[64:65], v[128:129] neg_lo:[0,1] neg_hi:[0,1]
	v_pk_fma_f32 v[122:123], v[122:123], v[92:93], v[124:125] op_sel_hi:[1,1,0]
	s_delay_alu instid0(VALU_DEP_1) | instskip(SKIP_4) | instid1(VALU_DEP_1)
	v_mov_b32_e32 v127, v123
	ds_load_2addr_b64 v[122:125], v116 offset0:27 offset1:28
	v_pk_add_f32 v[66:67], v[66:67], v[126:127] neg_lo:[0,1] neg_hi:[0,1]
	s_wait_dscnt 0x0
	v_pk_mul_f32 v[126:127], v[122:123], v[114:115] op_sel:[0,1]
	v_pk_fma_f32 v[128:129], v[122:123], v[112:113], v[126:127] op_sel:[0,0,1] op_sel_hi:[1,1,0] neg_lo:[0,0,1] neg_hi:[0,0,1]
	v_pk_fma_f32 v[122:123], v[122:123], v[112:113], v[126:127] op_sel:[0,0,1] op_sel_hi:[1,0,0]
	s_delay_alu instid0(VALU_DEP_1) | instskip(SKIP_1) | instid1(VALU_DEP_1)
	v_mov_b32_e32 v129, v123
	v_pk_mul_f32 v[122:123], v[124:125], v[114:115] op_sel:[0,1]
	v_pk_fma_f32 v[126:127], v[124:125], v[112:113], v[122:123] op_sel:[0,0,1] op_sel_hi:[1,1,0] neg_lo:[0,0,1] neg_hi:[0,0,1]
	v_pk_fma_f32 v[122:123], v[124:125], v[112:113], v[122:123] op_sel:[0,0,1] op_sel_hi:[1,0,0]
	s_delay_alu instid0(VALU_DEP_1)
	v_mov_b32_e32 v127, v123
	ds_load_2addr_b64 v[122:125], v116 offset0:29 offset1:30
	v_pk_add_f32 v[62:63], v[62:63], v[128:129] neg_lo:[0,1] neg_hi:[0,1]
	v_pk_add_f32 v[52:53], v[52:53], v[126:127] neg_lo:[0,1] neg_hi:[0,1]
	s_wait_dscnt 0x0
	v_pk_mul_f32 v[126:127], v[122:123], v[114:115] op_sel:[0,1]
	s_delay_alu instid0(VALU_DEP_1) | instskip(SKIP_1) | instid1(VALU_DEP_1)
	v_pk_fma_f32 v[128:129], v[122:123], v[112:113], v[126:127] op_sel:[0,0,1] op_sel_hi:[1,1,0] neg_lo:[0,0,1] neg_hi:[0,0,1]
	v_pk_fma_f32 v[122:123], v[122:123], v[112:113], v[126:127] op_sel:[0,0,1] op_sel_hi:[1,0,0]
	v_mov_b32_e32 v129, v123
	v_pk_mul_f32 v[122:123], v[124:125], v[114:115] op_sel:[0,1]
	s_delay_alu instid0(VALU_DEP_1) | instskip(SKIP_1) | instid1(VALU_DEP_1)
	v_pk_fma_f32 v[126:127], v[124:125], v[112:113], v[122:123] op_sel:[0,0,1] op_sel_hi:[1,1,0] neg_lo:[0,0,1] neg_hi:[0,0,1]
	v_pk_fma_f32 v[122:123], v[124:125], v[112:113], v[122:123] op_sel:[0,0,1] op_sel_hi:[1,0,0]
	v_mov_b32_e32 v127, v123
	ds_load_2addr_b64 v[122:125], v116 offset0:31 offset1:32
	v_pk_add_f32 v[48:49], v[48:49], v[128:129] neg_lo:[0,1] neg_hi:[0,1]
	v_pk_add_f32 v[50:51], v[50:51], v[126:127] neg_lo:[0,1] neg_hi:[0,1]
	s_wait_dscnt 0x0
	v_dual_mul_f32 v126, v123, v115 :: v_dual_mul_f32 v128, v123, v112
	s_delay_alu instid0(VALU_DEP_1) | instskip(NEXT) | instid1(VALU_DEP_2)
	v_pk_fma_f32 v[126:127], v[122:123], v[92:93], v[126:127] op_sel_hi:[1,1,0] neg_lo:[0,0,1] neg_hi:[0,0,1]
	v_pk_fma_f32 v[122:123], v[122:123], v[92:93], v[128:129] op_sel:[1,0,0] op_sel_hi:[0,1,0]
	s_delay_alu instid0(VALU_DEP_1) | instskip(SKIP_1) | instid1(VALU_DEP_2)
	v_mov_b32_e32 v127, v123
	v_pk_mul_f32 v[122:123], v[124:125], v[114:115] op_sel:[0,1]
	v_pk_add_f32 v[46:47], v[46:47], v[126:127] neg_lo:[0,1] neg_hi:[0,1]
	s_delay_alu instid0(VALU_DEP_2) | instskip(SKIP_1) | instid1(VALU_DEP_1)
	v_pk_fma_f32 v[126:127], v[124:125], v[112:113], v[122:123] op_sel:[0,0,1] op_sel_hi:[1,1,0] neg_lo:[0,0,1] neg_hi:[0,0,1]
	v_pk_fma_f32 v[122:123], v[124:125], v[112:113], v[122:123] op_sel:[0,0,1] op_sel_hi:[1,0,0]
	v_mov_b32_e32 v127, v123
	ds_load_2addr_b64 v[122:125], v116 offset0:33 offset1:34
	v_pk_add_f32 v[44:45], v[44:45], v[126:127] neg_lo:[0,1] neg_hi:[0,1]
	s_wait_dscnt 0x0
	v_pk_mul_f32 v[126:127], v[122:123], v[114:115] op_sel:[0,1]
	s_delay_alu instid0(VALU_DEP_1) | instskip(SKIP_1) | instid1(VALU_DEP_1)
	v_pk_fma_f32 v[128:129], v[122:123], v[112:113], v[126:127] op_sel:[0,0,1] op_sel_hi:[1,1,0] neg_lo:[0,0,1] neg_hi:[0,0,1]
	v_pk_fma_f32 v[122:123], v[122:123], v[112:113], v[126:127] op_sel:[0,0,1] op_sel_hi:[1,0,0]
	v_mov_b32_e32 v129, v123
	v_pk_mul_f32 v[122:123], v[124:125], v[114:115] op_sel:[0,1]
	s_delay_alu instid0(VALU_DEP_2) | instskip(NEXT) | instid1(VALU_DEP_2)
	v_pk_add_f32 v[40:41], v[40:41], v[128:129] neg_lo:[0,1] neg_hi:[0,1]
	v_pk_fma_f32 v[126:127], v[124:125], v[112:113], v[122:123] op_sel:[0,0,1] op_sel_hi:[1,1,0] neg_lo:[0,0,1] neg_hi:[0,0,1]
	v_pk_fma_f32 v[122:123], v[124:125], v[112:113], v[122:123] op_sel:[0,0,1] op_sel_hi:[1,0,0]
	s_delay_alu instid0(VALU_DEP_1) | instskip(SKIP_4) | instid1(VALU_DEP_1)
	v_mov_b32_e32 v127, v123
	ds_load_2addr_b64 v[122:125], v116 offset0:35 offset1:36
	v_pk_add_f32 v[42:43], v[42:43], v[126:127] neg_lo:[0,1] neg_hi:[0,1]
	s_wait_dscnt 0x0
	v_pk_mul_f32 v[126:127], v[122:123], v[114:115] op_sel:[0,1]
	v_pk_fma_f32 v[128:129], v[122:123], v[112:113], v[126:127] op_sel:[0,0,1] op_sel_hi:[1,1,0] neg_lo:[0,0,1] neg_hi:[0,0,1]
	v_pk_fma_f32 v[122:123], v[122:123], v[112:113], v[126:127] op_sel:[0,0,1] op_sel_hi:[1,0,0]
	v_dual_mul_f32 v126, v125, v115 :: v_dual_mov_b32 v122, v125
	s_delay_alu instid0(VALU_DEP_2) | instskip(NEXT) | instid1(VALU_DEP_2)
	v_dual_mov_b32 v129, v123 :: v_dual_mov_b32 v123, v124
	v_pk_fma_f32 v[126:127], v[124:125], v[92:93], v[126:127] op_sel_hi:[1,1,0] neg_lo:[0,0,1] neg_hi:[0,0,1]
	v_mul_f32_e32 v124, v125, v112
	s_delay_alu instid0(VALU_DEP_3) | instskip(NEXT) | instid1(VALU_DEP_2)
	v_pk_add_f32 v[38:39], v[38:39], v[128:129] neg_lo:[0,1] neg_hi:[0,1]
	v_pk_fma_f32 v[122:123], v[122:123], v[92:93], v[124:125] op_sel_hi:[1,1,0]
	s_delay_alu instid0(VALU_DEP_1) | instskip(SKIP_4) | instid1(VALU_DEP_1)
	v_mov_b32_e32 v127, v123
	ds_load_2addr_b64 v[122:125], v116 offset0:37 offset1:38
	v_pk_add_f32 v[36:37], v[36:37], v[126:127] neg_lo:[0,1] neg_hi:[0,1]
	s_wait_dscnt 0x0
	v_pk_mul_f32 v[126:127], v[122:123], v[114:115] op_sel:[0,1]
	v_pk_fma_f32 v[128:129], v[122:123], v[112:113], v[126:127] op_sel:[0,0,1] op_sel_hi:[1,1,0] neg_lo:[0,0,1] neg_hi:[0,0,1]
	v_pk_fma_f32 v[122:123], v[122:123], v[112:113], v[126:127] op_sel:[0,0,1] op_sel_hi:[1,0,0]
	s_delay_alu instid0(VALU_DEP_1) | instskip(SKIP_1) | instid1(VALU_DEP_1)
	v_mov_b32_e32 v129, v123
	v_pk_mul_f32 v[122:123], v[124:125], v[114:115] op_sel:[0,1]
	v_pk_fma_f32 v[126:127], v[124:125], v[112:113], v[122:123] op_sel:[0,0,1] op_sel_hi:[1,1,0] neg_lo:[0,0,1] neg_hi:[0,0,1]
	v_pk_fma_f32 v[122:123], v[124:125], v[112:113], v[122:123] op_sel:[0,0,1] op_sel_hi:[1,0,0]
	s_delay_alu instid0(VALU_DEP_1)
	v_mov_b32_e32 v127, v123
	ds_load_2addr_b64 v[122:125], v116 offset0:39 offset1:40
	v_pk_add_f32 v[32:33], v[32:33], v[128:129] neg_lo:[0,1] neg_hi:[0,1]
	v_pk_add_f32 v[34:35], v[34:35], v[126:127] neg_lo:[0,1] neg_hi:[0,1]
	s_wait_dscnt 0x0
	v_pk_mul_f32 v[126:127], v[122:123], v[114:115] op_sel:[0,1]
	s_delay_alu instid0(VALU_DEP_1) | instskip(SKIP_1) | instid1(VALU_DEP_1)
	v_pk_fma_f32 v[128:129], v[122:123], v[112:113], v[126:127] op_sel:[0,0,1] op_sel_hi:[1,1,0] neg_lo:[0,0,1] neg_hi:[0,0,1]
	v_pk_fma_f32 v[122:123], v[122:123], v[112:113], v[126:127] op_sel:[0,0,1] op_sel_hi:[1,0,0]
	v_mov_b32_e32 v129, v123
	v_pk_mul_f32 v[122:123], v[124:125], v[114:115] op_sel:[0,1]
	s_delay_alu instid0(VALU_DEP_1) | instskip(SKIP_1) | instid1(VALU_DEP_1)
	v_pk_fma_f32 v[126:127], v[124:125], v[112:113], v[122:123] op_sel:[0,0,1] op_sel_hi:[1,1,0] neg_lo:[0,0,1] neg_hi:[0,0,1]
	v_pk_fma_f32 v[122:123], v[124:125], v[112:113], v[122:123] op_sel:[0,0,1] op_sel_hi:[1,0,0]
	v_mov_b32_e32 v127, v123
	ds_load_2addr_b64 v[122:125], v116 offset0:41 offset1:42
	v_pk_add_f32 v[30:31], v[30:31], v[128:129] neg_lo:[0,1] neg_hi:[0,1]
	v_pk_add_f32 v[26:27], v[26:27], v[126:127] neg_lo:[0,1] neg_hi:[0,1]
	s_wait_dscnt 0x0
	v_dual_mul_f32 v126, v123, v115 :: v_dual_mul_f32 v128, v123, v112
	s_delay_alu instid0(VALU_DEP_1) | instskip(NEXT) | instid1(VALU_DEP_2)
	v_pk_fma_f32 v[126:127], v[122:123], v[92:93], v[126:127] op_sel_hi:[1,1,0] neg_lo:[0,0,1] neg_hi:[0,0,1]
	v_pk_fma_f32 v[122:123], v[122:123], v[92:93], v[128:129] op_sel:[1,0,0] op_sel_hi:[0,1,0]
	s_delay_alu instid0(VALU_DEP_1) | instskip(SKIP_1) | instid1(VALU_DEP_2)
	v_mov_b32_e32 v127, v123
	v_pk_mul_f32 v[122:123], v[124:125], v[114:115] op_sel:[0,1]
	v_pk_add_f32 v[22:23], v[22:23], v[126:127] neg_lo:[0,1] neg_hi:[0,1]
	s_delay_alu instid0(VALU_DEP_2) | instskip(SKIP_1) | instid1(VALU_DEP_1)
	v_pk_fma_f32 v[126:127], v[124:125], v[112:113], v[122:123] op_sel:[0,0,1] op_sel_hi:[1,1,0] neg_lo:[0,0,1] neg_hi:[0,0,1]
	v_pk_fma_f32 v[122:123], v[124:125], v[112:113], v[122:123] op_sel:[0,0,1] op_sel_hi:[1,0,0]
	v_mov_b32_e32 v127, v123
	ds_load_2addr_b64 v[122:125], v116 offset0:43 offset1:44
	v_pk_add_f32 v[24:25], v[24:25], v[126:127] neg_lo:[0,1] neg_hi:[0,1]
	s_wait_dscnt 0x0
	v_pk_mul_f32 v[126:127], v[122:123], v[114:115] op_sel:[0,1]
	s_delay_alu instid0(VALU_DEP_1) | instskip(SKIP_1) | instid1(VALU_DEP_1)
	v_pk_fma_f32 v[128:129], v[122:123], v[112:113], v[126:127] op_sel:[0,0,1] op_sel_hi:[1,1,0] neg_lo:[0,0,1] neg_hi:[0,0,1]
	v_pk_fma_f32 v[122:123], v[122:123], v[112:113], v[126:127] op_sel:[0,0,1] op_sel_hi:[1,0,0]
	v_mov_b32_e32 v129, v123
	v_pk_mul_f32 v[122:123], v[124:125], v[114:115] op_sel:[0,1]
	s_delay_alu instid0(VALU_DEP_2) | instskip(NEXT) | instid1(VALU_DEP_2)
	v_pk_add_f32 v[20:21], v[20:21], v[128:129] neg_lo:[0,1] neg_hi:[0,1]
	v_pk_fma_f32 v[126:127], v[124:125], v[112:113], v[122:123] op_sel:[0,0,1] op_sel_hi:[1,1,0] neg_lo:[0,0,1] neg_hi:[0,0,1]
	v_pk_fma_f32 v[122:123], v[124:125], v[112:113], v[122:123] op_sel:[0,0,1] op_sel_hi:[1,0,0]
	s_delay_alu instid0(VALU_DEP_1) | instskip(SKIP_4) | instid1(VALU_DEP_1)
	v_mov_b32_e32 v127, v123
	ds_load_2addr_b64 v[122:125], v116 offset0:45 offset1:46
	v_pk_add_f32 v[14:15], v[14:15], v[126:127] neg_lo:[0,1] neg_hi:[0,1]
	s_wait_dscnt 0x0
	v_pk_mul_f32 v[126:127], v[122:123], v[114:115] op_sel:[0,1]
	v_pk_fma_f32 v[128:129], v[122:123], v[112:113], v[126:127] op_sel:[0,0,1] op_sel_hi:[1,1,0] neg_lo:[0,0,1] neg_hi:[0,0,1]
	v_pk_fma_f32 v[122:123], v[122:123], v[112:113], v[126:127] op_sel:[0,0,1] op_sel_hi:[1,0,0]
	v_dual_mul_f32 v126, v125, v115 :: v_dual_mov_b32 v122, v125
	s_delay_alu instid0(VALU_DEP_2) | instskip(NEXT) | instid1(VALU_DEP_2)
	v_dual_mov_b32 v129, v123 :: v_dual_mov_b32 v123, v124
	v_pk_fma_f32 v[126:127], v[124:125], v[92:93], v[126:127] op_sel_hi:[1,1,0] neg_lo:[0,0,1] neg_hi:[0,0,1]
	v_mul_f32_e32 v124, v125, v112
	s_delay_alu instid0(VALU_DEP_3) | instskip(NEXT) | instid1(VALU_DEP_2)
	v_pk_add_f32 v[10:11], v[10:11], v[128:129] neg_lo:[0,1] neg_hi:[0,1]
	v_pk_fma_f32 v[122:123], v[122:123], v[92:93], v[124:125] op_sel_hi:[1,1,0]
	s_delay_alu instid0(VALU_DEP_1) | instskip(SKIP_4) | instid1(VALU_DEP_1)
	v_mov_b32_e32 v127, v123
	ds_load_2addr_b64 v[122:125], v116 offset0:47 offset1:48
	v_pk_add_f32 v[12:13], v[12:13], v[126:127] neg_lo:[0,1] neg_hi:[0,1]
	s_wait_dscnt 0x0
	v_pk_mul_f32 v[126:127], v[122:123], v[114:115] op_sel:[0,1]
	v_pk_fma_f32 v[128:129], v[122:123], v[112:113], v[126:127] op_sel:[0,0,1] op_sel_hi:[1,1,0] neg_lo:[0,0,1] neg_hi:[0,0,1]
	v_pk_fma_f32 v[122:123], v[122:123], v[112:113], v[126:127] op_sel:[0,0,1] op_sel_hi:[1,0,0]
	s_delay_alu instid0(VALU_DEP_1) | instskip(SKIP_1) | instid1(VALU_DEP_1)
	v_mov_b32_e32 v129, v123
	v_pk_mul_f32 v[122:123], v[124:125], v[114:115] op_sel:[0,1]
	v_pk_fma_f32 v[126:127], v[124:125], v[112:113], v[122:123] op_sel:[0,0,1] op_sel_hi:[1,1,0] neg_lo:[0,0,1] neg_hi:[0,0,1]
	v_pk_fma_f32 v[122:123], v[124:125], v[112:113], v[122:123] op_sel:[0,0,1] op_sel_hi:[1,0,0]
	s_delay_alu instid0(VALU_DEP_1)
	v_mov_b32_e32 v127, v123
	ds_load_2addr_b64 v[122:125], v116 offset0:49 offset1:50
	v_pk_add_f32 v[8:9], v[8:9], v[128:129] neg_lo:[0,1] neg_hi:[0,1]
	v_pk_add_f32 v[6:7], v[6:7], v[126:127] neg_lo:[0,1] neg_hi:[0,1]
	s_wait_dscnt 0x0
	v_pk_mul_f32 v[126:127], v[122:123], v[114:115] op_sel:[0,1]
	s_delay_alu instid0(VALU_DEP_1) | instskip(SKIP_1) | instid1(VALU_DEP_1)
	v_pk_fma_f32 v[128:129], v[122:123], v[112:113], v[126:127] op_sel:[0,0,1] op_sel_hi:[1,1,0] neg_lo:[0,0,1] neg_hi:[0,0,1]
	v_pk_fma_f32 v[122:123], v[122:123], v[112:113], v[126:127] op_sel:[0,0,1] op_sel_hi:[1,0,0]
	v_mov_b32_e32 v129, v123
	v_pk_mul_f32 v[122:123], v[124:125], v[114:115] op_sel:[0,1]
	s_delay_alu instid0(VALU_DEP_1) | instskip(SKIP_1) | instid1(VALU_DEP_1)
	v_pk_fma_f32 v[126:127], v[124:125], v[112:113], v[122:123] op_sel:[0,0,1] op_sel_hi:[1,1,0] neg_lo:[0,0,1] neg_hi:[0,0,1]
	v_pk_fma_f32 v[122:123], v[124:125], v[112:113], v[122:123] op_sel:[0,0,1] op_sel_hi:[1,0,0]
	v_mov_b32_e32 v127, v123
	ds_load_2addr_b64 v[122:125], v116 offset0:51 offset1:52
	v_pk_add_f32 v[28:29], v[28:29], v[128:129] neg_lo:[0,1] neg_hi:[0,1]
	v_pk_add_f32 v[18:19], v[18:19], v[126:127] neg_lo:[0,1] neg_hi:[0,1]
	s_wait_dscnt 0x0
	v_dual_mul_f32 v126, v123, v115 :: v_dual_mul_f32 v128, v123, v112
	v_pk_mul_f32 v[114:115], v[124:125], v[114:115] op_sel:[0,1]
	s_delay_alu instid0(VALU_DEP_2) | instskip(NEXT) | instid1(VALU_DEP_3)
	v_pk_fma_f32 v[126:127], v[122:123], v[92:93], v[126:127] op_sel_hi:[1,1,0] neg_lo:[0,0,1] neg_hi:[0,0,1]
	v_pk_fma_f32 v[122:123], v[122:123], v[92:93], v[128:129] op_sel:[1,0,0] op_sel_hi:[0,1,0]
	s_delay_alu instid0(VALU_DEP_1) | instskip(NEXT) | instid1(VALU_DEP_4)
	v_mov_b32_e32 v127, v123
	v_pk_fma_f32 v[122:123], v[124:125], v[112:113], v[114:115] op_sel:[0,0,1] op_sel_hi:[1,1,0] neg_lo:[0,0,1] neg_hi:[0,0,1]
	v_pk_fma_f32 v[112:113], v[124:125], v[112:113], v[114:115] op_sel:[0,0,1] op_sel_hi:[1,0,0]
	s_delay_alu instid0(VALU_DEP_1) | instskip(NEXT) | instid1(VALU_DEP_4)
	v_mov_b32_e32 v123, v113
	v_pk_add_f32 v[16:17], v[16:17], v[126:127] neg_lo:[0,1] neg_hi:[0,1]
	s_delay_alu instid0(VALU_DEP_2)
	v_pk_add_f32 v[110:111], v[110:111], v[122:123] neg_lo:[0,1] neg_hi:[0,1]
.LBB104_272:
	s_or_b32 exec_lo, exec_lo, s0
	v_lshl_add_u32 v112, v120, 3, v116
	s_barrier_signal -1
	s_barrier_wait -1
	ds_store_b64 v112, v[88:89]
	s_wait_dscnt 0x0
	s_barrier_signal -1
	s_barrier_wait -1
	ds_load_b64 v[114:115], v116 offset:104
	v_mov_b32_e32 v112, 13
	s_cmp_lt_i32 s18, 15
	s_cbranch_scc1 .LBB104_275
; %bb.273:
	v_add3_u32 v113, v117, 0, 0x70
	v_mov_b32_e32 v112, 13
	s_mov_b32 s0, 14
.LBB104_274:                            ; =>This Inner Loop Header: Depth=1
	ds_load_b64 v[122:123], v113
	s_wait_dscnt 0x1
	v_cmp_gt_f32_e32 vcc_lo, 0, v114
	v_cndmask_b32_e64 v124, v114, -v114, vcc_lo
	v_cmp_gt_f32_e32 vcc_lo, 0, v115
	v_cndmask_b32_e64 v126, v115, -v115, vcc_lo
	s_wait_dscnt 0x0
	v_cmp_gt_f32_e32 vcc_lo, 0, v122
	v_cndmask_b32_e64 v125, v122, -v122, vcc_lo
	v_cmp_gt_f32_e32 vcc_lo, 0, v123
	v_cndmask_b32_e64 v127, v123, -v123, vcc_lo
	s_delay_alu instid0(VALU_DEP_1) | instskip(NEXT) | instid1(VALU_DEP_1)
	v_pk_add_f32 v[124:125], v[124:125], v[126:127]
	v_cmp_lt_f32_e32 vcc_lo, v124, v125
	v_dual_add_nc_u32 v113, 8, v113 :: v_dual_cndmask_b32 v115, v115, v123, vcc_lo
	v_cndmask_b32_e32 v114, v114, v122, vcc_lo
	v_cndmask_b32_e64 v112, v112, s0, vcc_lo
	s_add_co_i32 s0, s0, 1
	s_delay_alu instid0(SALU_CYCLE_1)
	s_cmp_lg_u32 s18, s0
	s_cbranch_scc1 .LBB104_274
.LBB104_275:
	s_wait_dscnt 0x0
	v_cmp_eq_f32_e32 vcc_lo, 0, v114
	v_cmp_eq_f32_e64 s0, 0, v115
	s_and_b32 s0, vcc_lo, s0
	s_delay_alu instid0(SALU_CYCLE_1) | instskip(NEXT) | instid1(SALU_CYCLE_1)
	s_and_saveexec_b32 s1, s0
	s_xor_b32 s0, exec_lo, s1
; %bb.276:
	v_cmp_ne_u32_e32 vcc_lo, 0, v118
	v_cndmask_b32_e32 v118, 14, v118, vcc_lo
; %bb.277:
	s_and_not1_saveexec_b32 s0, s0
	s_cbranch_execz .LBB104_283
; %bb.278:
	v_cmp_ngt_f32_e64 s1, |v114|, |v115|
	s_and_saveexec_b32 s12, s1
	s_delay_alu instid0(SALU_CYCLE_1)
	s_xor_b32 s1, exec_lo, s12
	s_cbranch_execz .LBB104_280
; %bb.279:
	v_div_scale_f32 v113, null, v115, v115, v114
	v_div_scale_f32 v123, vcc_lo, v114, v115, v114
	s_delay_alu instid0(VALU_DEP_2) | instskip(SKIP_1) | instid1(TRANS32_DEP_1)
	v_rcp_f32_e32 v121, v113
	v_nop
	v_fma_f32 v122, -v113, v121, 1.0
	s_delay_alu instid0(VALU_DEP_1) | instskip(NEXT) | instid1(VALU_DEP_1)
	v_fmac_f32_e32 v121, v122, v121
	v_mul_f32_e32 v122, v123, v121
	s_delay_alu instid0(VALU_DEP_1) | instskip(NEXT) | instid1(VALU_DEP_1)
	v_fma_f32 v124, -v113, v122, v123
	v_fmac_f32_e32 v122, v124, v121
	s_delay_alu instid0(VALU_DEP_1) | instskip(NEXT) | instid1(VALU_DEP_1)
	v_fma_f32 v113, -v113, v122, v123
	v_div_fmas_f32 v113, v113, v121, v122
	s_delay_alu instid0(VALU_DEP_1) | instskip(NEXT) | instid1(VALU_DEP_1)
	v_div_fixup_f32 v113, v113, v115, v114
	v_fmac_f32_e32 v115, v114, v113
	s_delay_alu instid0(VALU_DEP_1) | instskip(SKIP_1) | instid1(VALU_DEP_2)
	v_div_scale_f32 v114, null, v115, v115, 1.0
	v_div_scale_f32 v123, vcc_lo, 1.0, v115, 1.0
	v_rcp_f32_e32 v121, v114
	v_nop
	s_delay_alu instid0(TRANS32_DEP_1) | instskip(NEXT) | instid1(VALU_DEP_1)
	v_fma_f32 v122, -v114, v121, 1.0
	v_fmac_f32_e32 v121, v122, v121
	s_delay_alu instid0(VALU_DEP_1) | instskip(NEXT) | instid1(VALU_DEP_1)
	v_mul_f32_e32 v122, v123, v121
	v_fma_f32 v124, -v114, v122, v123
	s_delay_alu instid0(VALU_DEP_1) | instskip(NEXT) | instid1(VALU_DEP_1)
	v_fmac_f32_e32 v122, v124, v121
	v_fma_f32 v114, -v114, v122, v123
	s_delay_alu instid0(VALU_DEP_1) | instskip(NEXT) | instid1(VALU_DEP_1)
	v_div_fmas_f32 v114, v114, v121, v122
	v_div_fixup_f32 v115, v114, v115, 1.0
	s_delay_alu instid0(VALU_DEP_1)
	v_mul_f32_e32 v114, v113, v115
	v_xor_b32_e32 v115, 0x80000000, v115
.LBB104_280:
	s_and_not1_saveexec_b32 s1, s1
	s_cbranch_execz .LBB104_282
; %bb.281:
	s_delay_alu instid0(VALU_DEP_1) | instskip(SKIP_1) | instid1(VALU_DEP_2)
	v_div_scale_f32 v113, null, v114, v114, v115
	v_div_scale_f32 v123, vcc_lo, v115, v114, v115
	v_rcp_f32_e32 v121, v113
	v_nop
	s_delay_alu instid0(TRANS32_DEP_1) | instskip(NEXT) | instid1(VALU_DEP_1)
	v_fma_f32 v122, -v113, v121, 1.0
	v_fmac_f32_e32 v121, v122, v121
	s_delay_alu instid0(VALU_DEP_1) | instskip(NEXT) | instid1(VALU_DEP_1)
	v_mul_f32_e32 v122, v123, v121
	v_fma_f32 v124, -v113, v122, v123
	s_delay_alu instid0(VALU_DEP_1) | instskip(NEXT) | instid1(VALU_DEP_1)
	v_fmac_f32_e32 v122, v124, v121
	v_fma_f32 v113, -v113, v122, v123
	s_delay_alu instid0(VALU_DEP_1) | instskip(NEXT) | instid1(VALU_DEP_1)
	v_div_fmas_f32 v113, v113, v121, v122
	v_div_fixup_f32 v113, v113, v114, v115
	s_delay_alu instid0(VALU_DEP_1) | instskip(NEXT) | instid1(VALU_DEP_1)
	v_fmac_f32_e32 v114, v115, v113
	v_div_scale_f32 v115, null, v114, v114, 1.0
	s_delay_alu instid0(VALU_DEP_1) | instskip(SKIP_1) | instid1(TRANS32_DEP_1)
	v_rcp_f32_e32 v121, v115
	v_nop
	v_fma_f32 v122, -v115, v121, 1.0
	s_delay_alu instid0(VALU_DEP_1) | instskip(SKIP_1) | instid1(VALU_DEP_1)
	v_fmac_f32_e32 v121, v122, v121
	v_div_scale_f32 v122, vcc_lo, 1.0, v114, 1.0
	v_mul_f32_e32 v123, v122, v121
	s_delay_alu instid0(VALU_DEP_1) | instskip(NEXT) | instid1(VALU_DEP_1)
	v_fma_f32 v124, -v115, v123, v122
	v_fmac_f32_e32 v123, v124, v121
	s_delay_alu instid0(VALU_DEP_1) | instskip(NEXT) | instid1(VALU_DEP_1)
	v_fma_f32 v115, -v115, v123, v122
	v_div_fmas_f32 v115, v115, v121, v123
	s_delay_alu instid0(VALU_DEP_1) | instskip(NEXT) | instid1(VALU_DEP_1)
	v_div_fixup_f32 v114, v115, v114, 1.0
	v_mul_f32_e64 v115, v113, -v114
.LBB104_282:
	s_or_b32 exec_lo, exec_lo, s1
.LBB104_283:
	s_delay_alu instid0(SALU_CYCLE_1) | instskip(NEXT) | instid1(SALU_CYCLE_1)
	s_or_b32 exec_lo, exec_lo, s0
	s_mov_b32 s0, exec_lo
	v_cmpx_ne_u32_e64 v120, v112
	s_xor_b32 s0, exec_lo, s0
	s_cbranch_execz .LBB104_289
; %bb.284:
	s_mov_b32 s1, exec_lo
	v_cmpx_eq_u32_e32 13, v120
	s_cbranch_execz .LBB104_288
; %bb.285:
	v_cmp_ne_u32_e32 vcc_lo, 13, v112
	s_xor_b32 s12, s16, -1
	s_delay_alu instid0(SALU_CYCLE_1) | instskip(NEXT) | instid1(SALU_CYCLE_1)
	s_and_b32 s13, s12, vcc_lo
	s_and_saveexec_b32 s12, s13
	s_cbranch_execz .LBB104_287
; %bb.286:
	v_ashrrev_i32_e32 v113, 31, v112
	s_delay_alu instid0(VALU_DEP_1)
	v_lshl_add_u64 v[120:121], v[112:113], 2, v[4:5]
	s_clause 0x1
	global_load_b32 v113, v[120:121], off
	global_load_b32 v119, v[4:5], off offset:52
	s_wait_loadcnt 0x1
	global_store_b32 v[4:5], v113, off offset:52
	s_wait_loadcnt 0x0
	global_store_b32 v[120:121], v119, off
.LBB104_287:
	s_wait_xcnt 0x0
	s_or_b32 exec_lo, exec_lo, s12
	v_dual_mov_b32 v120, v112 :: v_dual_mov_b32 v119, v112
.LBB104_288:
	s_or_b32 exec_lo, exec_lo, s1
.LBB104_289:
	s_and_not1_saveexec_b32 s0, s0
	s_cbranch_execz .LBB104_291
; %bb.290:
	v_dual_mov_b32 v112, v90 :: v_dual_mov_b32 v113, v91
	v_dual_mov_b32 v120, v86 :: v_dual_mov_b32 v121, v87
	;; [unrolled: 1-line block ×4, first 2 shown]
	ds_store_2addr_b64 v116, v[112:113], v[120:121] offset0:14 offset1:15
	ds_store_2addr_b64 v116, v[122:123], v[124:125] offset0:16 offset1:17
	v_dual_mov_b32 v112, v82 :: v_dual_mov_b32 v113, v83
	v_dual_mov_b32 v120, v78 :: v_dual_mov_b32 v121, v79
	;; [unrolled: 1-line block ×12, first 2 shown]
	ds_store_2addr_b64 v116, v[112:113], v[120:121] offset0:18 offset1:19
	ds_store_2addr_b64 v116, v[122:123], v[124:125] offset0:20 offset1:21
	;; [unrolled: 1-line block ×6, first 2 shown]
	v_dual_mov_b32 v112, v50 :: v_dual_mov_b32 v113, v51
	v_dual_mov_b32 v120, v46 :: v_dual_mov_b32 v121, v47
	;; [unrolled: 1-line block ×12, first 2 shown]
	ds_store_2addr_b64 v116, v[112:113], v[120:121] offset0:30 offset1:31
	ds_store_2addr_b64 v116, v[122:123], v[124:125] offset0:32 offset1:33
	;; [unrolled: 1-line block ×6, first 2 shown]
	v_dual_mov_b32 v112, v24 :: v_dual_mov_b32 v113, v25
	v_dual_mov_b32 v120, v20 :: v_dual_mov_b32 v121, v21
	;; [unrolled: 1-line block ×6, first 2 shown]
	ds_store_2addr_b64 v116, v[112:113], v[120:121] offset0:42 offset1:43
	ds_store_2addr_b64 v116, v[122:123], v[124:125] offset0:44 offset1:45
	v_dual_mov_b32 v120, 13 :: v_dual_mov_b32 v130, v6
	v_dual_mov_b32 v131, v7 :: v_dual_mov_b32 v132, v28
	;; [unrolled: 1-line block ×4, first 2 shown]
	v_mov_b32_e32 v137, v17
	ds_store_2addr_b64 v116, v[126:127], v[128:129] offset0:46 offset1:47
	ds_store_2addr_b64 v116, v[130:131], v[132:133] offset0:48 offset1:49
	;; [unrolled: 1-line block ×3, first 2 shown]
	ds_store_b64 v116, v[110:111] offset:416
.LBB104_291:
	s_or_b32 exec_lo, exec_lo, s0
	s_delay_alu instid0(SALU_CYCLE_1)
	s_mov_b32 s0, exec_lo
	s_wait_storecnt_dscnt 0x0
	s_barrier_signal -1
	s_barrier_wait -1
	v_cmpx_lt_i32_e32 13, v120
	s_cbranch_execz .LBB104_293
; %bb.292:
	v_pk_mul_f32 v[122:123], v[114:115], v[88:89] op_sel:[1,1] op_sel_hi:[0,1]
	s_delay_alu instid0(VALU_DEP_1)
	v_pk_fma_f32 v[112:113], v[114:115], v[88:89], v[122:123] op_sel_hi:[1,0,1] neg_lo:[0,0,1] neg_hi:[0,0,1]
	v_pk_fma_f32 v[114:115], v[114:115], v[88:89], v[122:123] op_sel_hi:[1,0,1]
	ds_load_2addr_b64 v[122:125], v116 offset0:14 offset1:15
	v_dual_mov_b32 v88, v112 :: v_dual_mov_b32 v89, v115
	s_wait_dscnt 0x0
	v_pk_mul_f32 v[126:127], v[122:123], v[114:115] op_sel:[0,1]
	s_delay_alu instid0(VALU_DEP_1) | instskip(SKIP_1) | instid1(VALU_DEP_1)
	v_pk_fma_f32 v[128:129], v[122:123], v[112:113], v[126:127] op_sel:[0,0,1] op_sel_hi:[1,1,0] neg_lo:[0,0,1] neg_hi:[0,0,1]
	v_pk_fma_f32 v[122:123], v[122:123], v[112:113], v[126:127] op_sel:[0,0,1] op_sel_hi:[1,0,0]
	v_mov_b32_e32 v129, v123
	v_pk_mul_f32 v[122:123], v[124:125], v[114:115] op_sel:[0,1]
	s_delay_alu instid0(VALU_DEP_1) | instskip(SKIP_1) | instid1(VALU_DEP_1)
	v_pk_fma_f32 v[126:127], v[124:125], v[112:113], v[122:123] op_sel:[0,0,1] op_sel_hi:[1,1,0] neg_lo:[0,0,1] neg_hi:[0,0,1]
	v_pk_fma_f32 v[122:123], v[124:125], v[112:113], v[122:123] op_sel:[0,0,1] op_sel_hi:[1,0,0]
	v_mov_b32_e32 v127, v123
	ds_load_2addr_b64 v[122:125], v116 offset0:16 offset1:17
	v_pk_add_f32 v[90:91], v[90:91], v[128:129] neg_lo:[0,1] neg_hi:[0,1]
	v_pk_add_f32 v[86:87], v[86:87], v[126:127] neg_lo:[0,1] neg_hi:[0,1]
	s_wait_dscnt 0x0
	v_pk_mul_f32 v[126:127], v[122:123], v[114:115] op_sel:[0,1]
	s_delay_alu instid0(VALU_DEP_1) | instskip(SKIP_2) | instid1(VALU_DEP_2)
	v_pk_fma_f32 v[128:129], v[122:123], v[112:113], v[126:127] op_sel:[0,0,1] op_sel_hi:[1,1,0] neg_lo:[0,0,1] neg_hi:[0,0,1]
	v_pk_fma_f32 v[122:123], v[122:123], v[112:113], v[126:127] op_sel:[0,0,1] op_sel_hi:[1,0,0]
	v_dual_mul_f32 v126, v125, v115 :: v_dual_mov_b32 v122, v125
	v_dual_mov_b32 v129, v123 :: v_dual_mov_b32 v123, v124
	s_delay_alu instid0(VALU_DEP_2) | instskip(SKIP_1) | instid1(VALU_DEP_3)
	v_pk_fma_f32 v[126:127], v[124:125], v[88:89], v[126:127] op_sel_hi:[1,1,0] neg_lo:[0,0,1] neg_hi:[0,0,1]
	v_mul_f32_e32 v124, v125, v112
	v_pk_add_f32 v[84:85], v[84:85], v[128:129] neg_lo:[0,1] neg_hi:[0,1]
	s_delay_alu instid0(VALU_DEP_2) | instskip(NEXT) | instid1(VALU_DEP_1)
	v_pk_fma_f32 v[122:123], v[122:123], v[88:89], v[124:125] op_sel_hi:[1,1,0]
	v_mov_b32_e32 v127, v123
	ds_load_2addr_b64 v[122:125], v116 offset0:18 offset1:19
	v_pk_add_f32 v[80:81], v[80:81], v[126:127] neg_lo:[0,1] neg_hi:[0,1]
	s_wait_dscnt 0x0
	v_pk_mul_f32 v[126:127], v[122:123], v[114:115] op_sel:[0,1]
	s_delay_alu instid0(VALU_DEP_1) | instskip(SKIP_1) | instid1(VALU_DEP_1)
	v_pk_fma_f32 v[128:129], v[122:123], v[112:113], v[126:127] op_sel:[0,0,1] op_sel_hi:[1,1,0] neg_lo:[0,0,1] neg_hi:[0,0,1]
	v_pk_fma_f32 v[122:123], v[122:123], v[112:113], v[126:127] op_sel:[0,0,1] op_sel_hi:[1,0,0]
	v_mov_b32_e32 v129, v123
	v_pk_mul_f32 v[122:123], v[124:125], v[114:115] op_sel:[0,1]
	s_delay_alu instid0(VALU_DEP_1) | instskip(SKIP_1) | instid1(VALU_DEP_1)
	v_pk_fma_f32 v[126:127], v[124:125], v[112:113], v[122:123] op_sel:[0,0,1] op_sel_hi:[1,1,0] neg_lo:[0,0,1] neg_hi:[0,0,1]
	v_pk_fma_f32 v[122:123], v[124:125], v[112:113], v[122:123] op_sel:[0,0,1] op_sel_hi:[1,0,0]
	v_mov_b32_e32 v127, v123
	ds_load_2addr_b64 v[122:125], v116 offset0:20 offset1:21
	v_pk_add_f32 v[82:83], v[82:83], v[128:129] neg_lo:[0,1] neg_hi:[0,1]
	v_pk_add_f32 v[78:79], v[78:79], v[126:127] neg_lo:[0,1] neg_hi:[0,1]
	s_wait_dscnt 0x0
	v_pk_mul_f32 v[126:127], v[122:123], v[114:115] op_sel:[0,1]
	s_delay_alu instid0(VALU_DEP_1) | instskip(SKIP_1) | instid1(VALU_DEP_1)
	v_pk_fma_f32 v[128:129], v[122:123], v[112:113], v[126:127] op_sel:[0,0,1] op_sel_hi:[1,1,0] neg_lo:[0,0,1] neg_hi:[0,0,1]
	v_pk_fma_f32 v[122:123], v[122:123], v[112:113], v[126:127] op_sel:[0,0,1] op_sel_hi:[1,0,0]
	v_mov_b32_e32 v129, v123
	v_pk_mul_f32 v[122:123], v[124:125], v[114:115] op_sel:[0,1]
	s_delay_alu instid0(VALU_DEP_1) | instskip(SKIP_1) | instid1(VALU_DEP_1)
	v_pk_fma_f32 v[126:127], v[124:125], v[112:113], v[122:123] op_sel:[0,0,1] op_sel_hi:[1,1,0] neg_lo:[0,0,1] neg_hi:[0,0,1]
	v_pk_fma_f32 v[122:123], v[124:125], v[112:113], v[122:123] op_sel:[0,0,1] op_sel_hi:[1,0,0]
	v_mov_b32_e32 v127, v123
	ds_load_2addr_b64 v[122:125], v116 offset0:22 offset1:23
	v_pk_add_f32 v[76:77], v[76:77], v[128:129] neg_lo:[0,1] neg_hi:[0,1]
	v_pk_add_f32 v[72:73], v[72:73], v[126:127] neg_lo:[0,1] neg_hi:[0,1]
	s_wait_dscnt 0x0
	v_dual_mul_f32 v126, v123, v115 :: v_dual_mul_f32 v128, v123, v112
	s_delay_alu instid0(VALU_DEP_1) | instskip(NEXT) | instid1(VALU_DEP_2)
	v_pk_fma_f32 v[126:127], v[122:123], v[88:89], v[126:127] op_sel_hi:[1,1,0] neg_lo:[0,0,1] neg_hi:[0,0,1]
	v_pk_fma_f32 v[122:123], v[122:123], v[88:89], v[128:129] op_sel:[1,0,0] op_sel_hi:[0,1,0]
	s_delay_alu instid0(VALU_DEP_1) | instskip(SKIP_1) | instid1(VALU_DEP_2)
	v_mov_b32_e32 v127, v123
	v_pk_mul_f32 v[122:123], v[124:125], v[114:115] op_sel:[0,1]
	v_pk_add_f32 v[74:75], v[74:75], v[126:127] neg_lo:[0,1] neg_hi:[0,1]
	s_delay_alu instid0(VALU_DEP_2) | instskip(SKIP_1) | instid1(VALU_DEP_1)
	v_pk_fma_f32 v[126:127], v[124:125], v[112:113], v[122:123] op_sel:[0,0,1] op_sel_hi:[1,1,0] neg_lo:[0,0,1] neg_hi:[0,0,1]
	v_pk_fma_f32 v[122:123], v[124:125], v[112:113], v[122:123] op_sel:[0,0,1] op_sel_hi:[1,0,0]
	v_mov_b32_e32 v127, v123
	ds_load_2addr_b64 v[122:125], v116 offset0:24 offset1:25
	v_pk_add_f32 v[70:71], v[70:71], v[126:127] neg_lo:[0,1] neg_hi:[0,1]
	s_wait_dscnt 0x0
	v_pk_mul_f32 v[126:127], v[122:123], v[114:115] op_sel:[0,1]
	s_delay_alu instid0(VALU_DEP_1) | instskip(SKIP_1) | instid1(VALU_DEP_1)
	v_pk_fma_f32 v[128:129], v[122:123], v[112:113], v[126:127] op_sel:[0,0,1] op_sel_hi:[1,1,0] neg_lo:[0,0,1] neg_hi:[0,0,1]
	v_pk_fma_f32 v[122:123], v[122:123], v[112:113], v[126:127] op_sel:[0,0,1] op_sel_hi:[1,0,0]
	v_mov_b32_e32 v129, v123
	v_pk_mul_f32 v[122:123], v[124:125], v[114:115] op_sel:[0,1]
	s_delay_alu instid0(VALU_DEP_2) | instskip(NEXT) | instid1(VALU_DEP_2)
	v_pk_add_f32 v[68:69], v[68:69], v[128:129] neg_lo:[0,1] neg_hi:[0,1]
	v_pk_fma_f32 v[126:127], v[124:125], v[112:113], v[122:123] op_sel:[0,0,1] op_sel_hi:[1,1,0] neg_lo:[0,0,1] neg_hi:[0,0,1]
	v_pk_fma_f32 v[122:123], v[124:125], v[112:113], v[122:123] op_sel:[0,0,1] op_sel_hi:[1,0,0]
	s_delay_alu instid0(VALU_DEP_1) | instskip(SKIP_4) | instid1(VALU_DEP_1)
	v_mov_b32_e32 v127, v123
	ds_load_2addr_b64 v[122:125], v116 offset0:26 offset1:27
	v_pk_add_f32 v[64:65], v[64:65], v[126:127] neg_lo:[0,1] neg_hi:[0,1]
	s_wait_dscnt 0x0
	v_pk_mul_f32 v[126:127], v[122:123], v[114:115] op_sel:[0,1]
	v_pk_fma_f32 v[128:129], v[122:123], v[112:113], v[126:127] op_sel:[0,0,1] op_sel_hi:[1,1,0] neg_lo:[0,0,1] neg_hi:[0,0,1]
	v_pk_fma_f32 v[122:123], v[122:123], v[112:113], v[126:127] op_sel:[0,0,1] op_sel_hi:[1,0,0]
	v_dual_mul_f32 v126, v125, v115 :: v_dual_mov_b32 v122, v125
	s_delay_alu instid0(VALU_DEP_2) | instskip(NEXT) | instid1(VALU_DEP_2)
	v_dual_mov_b32 v129, v123 :: v_dual_mov_b32 v123, v124
	v_pk_fma_f32 v[126:127], v[124:125], v[88:89], v[126:127] op_sel_hi:[1,1,0] neg_lo:[0,0,1] neg_hi:[0,0,1]
	v_mul_f32_e32 v124, v125, v112
	s_delay_alu instid0(VALU_DEP_3) | instskip(NEXT) | instid1(VALU_DEP_2)
	v_pk_add_f32 v[66:67], v[66:67], v[128:129] neg_lo:[0,1] neg_hi:[0,1]
	v_pk_fma_f32 v[122:123], v[122:123], v[88:89], v[124:125] op_sel_hi:[1,1,0]
	s_delay_alu instid0(VALU_DEP_1) | instskip(SKIP_4) | instid1(VALU_DEP_1)
	v_mov_b32_e32 v127, v123
	ds_load_2addr_b64 v[122:125], v116 offset0:28 offset1:29
	v_pk_add_f32 v[62:63], v[62:63], v[126:127] neg_lo:[0,1] neg_hi:[0,1]
	s_wait_dscnt 0x0
	v_pk_mul_f32 v[126:127], v[122:123], v[114:115] op_sel:[0,1]
	v_pk_fma_f32 v[128:129], v[122:123], v[112:113], v[126:127] op_sel:[0,0,1] op_sel_hi:[1,1,0] neg_lo:[0,0,1] neg_hi:[0,0,1]
	v_pk_fma_f32 v[122:123], v[122:123], v[112:113], v[126:127] op_sel:[0,0,1] op_sel_hi:[1,0,0]
	s_delay_alu instid0(VALU_DEP_1) | instskip(SKIP_1) | instid1(VALU_DEP_1)
	v_mov_b32_e32 v129, v123
	v_pk_mul_f32 v[122:123], v[124:125], v[114:115] op_sel:[0,1]
	v_pk_fma_f32 v[126:127], v[124:125], v[112:113], v[122:123] op_sel:[0,0,1] op_sel_hi:[1,1,0] neg_lo:[0,0,1] neg_hi:[0,0,1]
	v_pk_fma_f32 v[122:123], v[124:125], v[112:113], v[122:123] op_sel:[0,0,1] op_sel_hi:[1,0,0]
	s_delay_alu instid0(VALU_DEP_1)
	v_mov_b32_e32 v127, v123
	ds_load_2addr_b64 v[122:125], v116 offset0:30 offset1:31
	v_pk_add_f32 v[52:53], v[52:53], v[128:129] neg_lo:[0,1] neg_hi:[0,1]
	v_pk_add_f32 v[48:49], v[48:49], v[126:127] neg_lo:[0,1] neg_hi:[0,1]
	s_wait_dscnt 0x0
	v_pk_mul_f32 v[126:127], v[122:123], v[114:115] op_sel:[0,1]
	s_delay_alu instid0(VALU_DEP_1) | instskip(SKIP_1) | instid1(VALU_DEP_1)
	v_pk_fma_f32 v[128:129], v[122:123], v[112:113], v[126:127] op_sel:[0,0,1] op_sel_hi:[1,1,0] neg_lo:[0,0,1] neg_hi:[0,0,1]
	v_pk_fma_f32 v[122:123], v[122:123], v[112:113], v[126:127] op_sel:[0,0,1] op_sel_hi:[1,0,0]
	v_mov_b32_e32 v129, v123
	v_pk_mul_f32 v[122:123], v[124:125], v[114:115] op_sel:[0,1]
	s_delay_alu instid0(VALU_DEP_1) | instskip(SKIP_1) | instid1(VALU_DEP_1)
	v_pk_fma_f32 v[126:127], v[124:125], v[112:113], v[122:123] op_sel:[0,0,1] op_sel_hi:[1,1,0] neg_lo:[0,0,1] neg_hi:[0,0,1]
	v_pk_fma_f32 v[122:123], v[124:125], v[112:113], v[122:123] op_sel:[0,0,1] op_sel_hi:[1,0,0]
	v_mov_b32_e32 v127, v123
	ds_load_2addr_b64 v[122:125], v116 offset0:32 offset1:33
	v_pk_add_f32 v[50:51], v[50:51], v[128:129] neg_lo:[0,1] neg_hi:[0,1]
	v_pk_add_f32 v[46:47], v[46:47], v[126:127] neg_lo:[0,1] neg_hi:[0,1]
	s_wait_dscnt 0x0
	v_dual_mul_f32 v126, v123, v115 :: v_dual_mul_f32 v128, v123, v112
	s_delay_alu instid0(VALU_DEP_1) | instskip(NEXT) | instid1(VALU_DEP_2)
	v_pk_fma_f32 v[126:127], v[122:123], v[88:89], v[126:127] op_sel_hi:[1,1,0] neg_lo:[0,0,1] neg_hi:[0,0,1]
	v_pk_fma_f32 v[122:123], v[122:123], v[88:89], v[128:129] op_sel:[1,0,0] op_sel_hi:[0,1,0]
	s_delay_alu instid0(VALU_DEP_1) | instskip(SKIP_1) | instid1(VALU_DEP_2)
	v_mov_b32_e32 v127, v123
	v_pk_mul_f32 v[122:123], v[124:125], v[114:115] op_sel:[0,1]
	v_pk_add_f32 v[44:45], v[44:45], v[126:127] neg_lo:[0,1] neg_hi:[0,1]
	s_delay_alu instid0(VALU_DEP_2) | instskip(SKIP_1) | instid1(VALU_DEP_1)
	v_pk_fma_f32 v[126:127], v[124:125], v[112:113], v[122:123] op_sel:[0,0,1] op_sel_hi:[1,1,0] neg_lo:[0,0,1] neg_hi:[0,0,1]
	v_pk_fma_f32 v[122:123], v[124:125], v[112:113], v[122:123] op_sel:[0,0,1] op_sel_hi:[1,0,0]
	v_mov_b32_e32 v127, v123
	ds_load_2addr_b64 v[122:125], v116 offset0:34 offset1:35
	v_pk_add_f32 v[40:41], v[40:41], v[126:127] neg_lo:[0,1] neg_hi:[0,1]
	s_wait_dscnt 0x0
	v_pk_mul_f32 v[126:127], v[122:123], v[114:115] op_sel:[0,1]
	s_delay_alu instid0(VALU_DEP_1) | instskip(SKIP_1) | instid1(VALU_DEP_1)
	v_pk_fma_f32 v[128:129], v[122:123], v[112:113], v[126:127] op_sel:[0,0,1] op_sel_hi:[1,1,0] neg_lo:[0,0,1] neg_hi:[0,0,1]
	v_pk_fma_f32 v[122:123], v[122:123], v[112:113], v[126:127] op_sel:[0,0,1] op_sel_hi:[1,0,0]
	v_mov_b32_e32 v129, v123
	v_pk_mul_f32 v[122:123], v[124:125], v[114:115] op_sel:[0,1]
	s_delay_alu instid0(VALU_DEP_2) | instskip(NEXT) | instid1(VALU_DEP_2)
	v_pk_add_f32 v[42:43], v[42:43], v[128:129] neg_lo:[0,1] neg_hi:[0,1]
	v_pk_fma_f32 v[126:127], v[124:125], v[112:113], v[122:123] op_sel:[0,0,1] op_sel_hi:[1,1,0] neg_lo:[0,0,1] neg_hi:[0,0,1]
	v_pk_fma_f32 v[122:123], v[124:125], v[112:113], v[122:123] op_sel:[0,0,1] op_sel_hi:[1,0,0]
	s_delay_alu instid0(VALU_DEP_1) | instskip(SKIP_4) | instid1(VALU_DEP_1)
	v_mov_b32_e32 v127, v123
	ds_load_2addr_b64 v[122:125], v116 offset0:36 offset1:37
	v_pk_add_f32 v[38:39], v[38:39], v[126:127] neg_lo:[0,1] neg_hi:[0,1]
	s_wait_dscnt 0x0
	v_pk_mul_f32 v[126:127], v[122:123], v[114:115] op_sel:[0,1]
	v_pk_fma_f32 v[128:129], v[122:123], v[112:113], v[126:127] op_sel:[0,0,1] op_sel_hi:[1,1,0] neg_lo:[0,0,1] neg_hi:[0,0,1]
	v_pk_fma_f32 v[122:123], v[122:123], v[112:113], v[126:127] op_sel:[0,0,1] op_sel_hi:[1,0,0]
	v_dual_mul_f32 v126, v125, v115 :: v_dual_mov_b32 v122, v125
	s_delay_alu instid0(VALU_DEP_2) | instskip(NEXT) | instid1(VALU_DEP_2)
	v_dual_mov_b32 v129, v123 :: v_dual_mov_b32 v123, v124
	v_pk_fma_f32 v[126:127], v[124:125], v[88:89], v[126:127] op_sel_hi:[1,1,0] neg_lo:[0,0,1] neg_hi:[0,0,1]
	v_mul_f32_e32 v124, v125, v112
	s_delay_alu instid0(VALU_DEP_3) | instskip(NEXT) | instid1(VALU_DEP_2)
	v_pk_add_f32 v[36:37], v[36:37], v[128:129] neg_lo:[0,1] neg_hi:[0,1]
	v_pk_fma_f32 v[122:123], v[122:123], v[88:89], v[124:125] op_sel_hi:[1,1,0]
	s_delay_alu instid0(VALU_DEP_1) | instskip(SKIP_4) | instid1(VALU_DEP_1)
	v_mov_b32_e32 v127, v123
	ds_load_2addr_b64 v[122:125], v116 offset0:38 offset1:39
	v_pk_add_f32 v[32:33], v[32:33], v[126:127] neg_lo:[0,1] neg_hi:[0,1]
	s_wait_dscnt 0x0
	v_pk_mul_f32 v[126:127], v[122:123], v[114:115] op_sel:[0,1]
	v_pk_fma_f32 v[128:129], v[122:123], v[112:113], v[126:127] op_sel:[0,0,1] op_sel_hi:[1,1,0] neg_lo:[0,0,1] neg_hi:[0,0,1]
	v_pk_fma_f32 v[122:123], v[122:123], v[112:113], v[126:127] op_sel:[0,0,1] op_sel_hi:[1,0,0]
	s_delay_alu instid0(VALU_DEP_1) | instskip(SKIP_1) | instid1(VALU_DEP_1)
	v_mov_b32_e32 v129, v123
	v_pk_mul_f32 v[122:123], v[124:125], v[114:115] op_sel:[0,1]
	v_pk_fma_f32 v[126:127], v[124:125], v[112:113], v[122:123] op_sel:[0,0,1] op_sel_hi:[1,1,0] neg_lo:[0,0,1] neg_hi:[0,0,1]
	v_pk_fma_f32 v[122:123], v[124:125], v[112:113], v[122:123] op_sel:[0,0,1] op_sel_hi:[1,0,0]
	s_delay_alu instid0(VALU_DEP_1)
	v_mov_b32_e32 v127, v123
	ds_load_2addr_b64 v[122:125], v116 offset0:40 offset1:41
	v_pk_add_f32 v[34:35], v[34:35], v[128:129] neg_lo:[0,1] neg_hi:[0,1]
	v_pk_add_f32 v[30:31], v[30:31], v[126:127] neg_lo:[0,1] neg_hi:[0,1]
	s_wait_dscnt 0x0
	v_pk_mul_f32 v[126:127], v[122:123], v[114:115] op_sel:[0,1]
	s_delay_alu instid0(VALU_DEP_1) | instskip(SKIP_1) | instid1(VALU_DEP_1)
	v_pk_fma_f32 v[128:129], v[122:123], v[112:113], v[126:127] op_sel:[0,0,1] op_sel_hi:[1,1,0] neg_lo:[0,0,1] neg_hi:[0,0,1]
	v_pk_fma_f32 v[122:123], v[122:123], v[112:113], v[126:127] op_sel:[0,0,1] op_sel_hi:[1,0,0]
	v_mov_b32_e32 v129, v123
	v_pk_mul_f32 v[122:123], v[124:125], v[114:115] op_sel:[0,1]
	s_delay_alu instid0(VALU_DEP_1) | instskip(SKIP_1) | instid1(VALU_DEP_1)
	v_pk_fma_f32 v[126:127], v[124:125], v[112:113], v[122:123] op_sel:[0,0,1] op_sel_hi:[1,1,0] neg_lo:[0,0,1] neg_hi:[0,0,1]
	v_pk_fma_f32 v[122:123], v[124:125], v[112:113], v[122:123] op_sel:[0,0,1] op_sel_hi:[1,0,0]
	v_mov_b32_e32 v127, v123
	ds_load_2addr_b64 v[122:125], v116 offset0:42 offset1:43
	v_pk_add_f32 v[26:27], v[26:27], v[128:129] neg_lo:[0,1] neg_hi:[0,1]
	v_pk_add_f32 v[22:23], v[22:23], v[126:127] neg_lo:[0,1] neg_hi:[0,1]
	s_wait_dscnt 0x0
	v_dual_mul_f32 v126, v123, v115 :: v_dual_mul_f32 v128, v123, v112
	s_delay_alu instid0(VALU_DEP_1) | instskip(NEXT) | instid1(VALU_DEP_2)
	v_pk_fma_f32 v[126:127], v[122:123], v[88:89], v[126:127] op_sel_hi:[1,1,0] neg_lo:[0,0,1] neg_hi:[0,0,1]
	v_pk_fma_f32 v[122:123], v[122:123], v[88:89], v[128:129] op_sel:[1,0,0] op_sel_hi:[0,1,0]
	s_delay_alu instid0(VALU_DEP_1) | instskip(SKIP_1) | instid1(VALU_DEP_2)
	v_mov_b32_e32 v127, v123
	v_pk_mul_f32 v[122:123], v[124:125], v[114:115] op_sel:[0,1]
	v_pk_add_f32 v[24:25], v[24:25], v[126:127] neg_lo:[0,1] neg_hi:[0,1]
	s_delay_alu instid0(VALU_DEP_2) | instskip(SKIP_1) | instid1(VALU_DEP_1)
	v_pk_fma_f32 v[126:127], v[124:125], v[112:113], v[122:123] op_sel:[0,0,1] op_sel_hi:[1,1,0] neg_lo:[0,0,1] neg_hi:[0,0,1]
	v_pk_fma_f32 v[122:123], v[124:125], v[112:113], v[122:123] op_sel:[0,0,1] op_sel_hi:[1,0,0]
	v_mov_b32_e32 v127, v123
	ds_load_2addr_b64 v[122:125], v116 offset0:44 offset1:45
	v_pk_add_f32 v[20:21], v[20:21], v[126:127] neg_lo:[0,1] neg_hi:[0,1]
	s_wait_dscnt 0x0
	v_pk_mul_f32 v[126:127], v[122:123], v[114:115] op_sel:[0,1]
	s_delay_alu instid0(VALU_DEP_1) | instskip(SKIP_1) | instid1(VALU_DEP_1)
	v_pk_fma_f32 v[128:129], v[122:123], v[112:113], v[126:127] op_sel:[0,0,1] op_sel_hi:[1,1,0] neg_lo:[0,0,1] neg_hi:[0,0,1]
	v_pk_fma_f32 v[122:123], v[122:123], v[112:113], v[126:127] op_sel:[0,0,1] op_sel_hi:[1,0,0]
	v_mov_b32_e32 v129, v123
	v_pk_mul_f32 v[122:123], v[124:125], v[114:115] op_sel:[0,1]
	s_delay_alu instid0(VALU_DEP_2) | instskip(NEXT) | instid1(VALU_DEP_2)
	v_pk_add_f32 v[14:15], v[14:15], v[128:129] neg_lo:[0,1] neg_hi:[0,1]
	v_pk_fma_f32 v[126:127], v[124:125], v[112:113], v[122:123] op_sel:[0,0,1] op_sel_hi:[1,1,0] neg_lo:[0,0,1] neg_hi:[0,0,1]
	v_pk_fma_f32 v[122:123], v[124:125], v[112:113], v[122:123] op_sel:[0,0,1] op_sel_hi:[1,0,0]
	s_delay_alu instid0(VALU_DEP_1) | instskip(SKIP_4) | instid1(VALU_DEP_1)
	v_mov_b32_e32 v127, v123
	ds_load_2addr_b64 v[122:125], v116 offset0:46 offset1:47
	v_pk_add_f32 v[10:11], v[10:11], v[126:127] neg_lo:[0,1] neg_hi:[0,1]
	s_wait_dscnt 0x0
	v_pk_mul_f32 v[126:127], v[122:123], v[114:115] op_sel:[0,1]
	v_pk_fma_f32 v[128:129], v[122:123], v[112:113], v[126:127] op_sel:[0,0,1] op_sel_hi:[1,1,0] neg_lo:[0,0,1] neg_hi:[0,0,1]
	v_pk_fma_f32 v[122:123], v[122:123], v[112:113], v[126:127] op_sel:[0,0,1] op_sel_hi:[1,0,0]
	v_dual_mul_f32 v126, v125, v115 :: v_dual_mov_b32 v122, v125
	s_delay_alu instid0(VALU_DEP_2) | instskip(NEXT) | instid1(VALU_DEP_2)
	v_dual_mov_b32 v129, v123 :: v_dual_mov_b32 v123, v124
	v_pk_fma_f32 v[126:127], v[124:125], v[88:89], v[126:127] op_sel_hi:[1,1,0] neg_lo:[0,0,1] neg_hi:[0,0,1]
	v_mul_f32_e32 v124, v125, v112
	s_delay_alu instid0(VALU_DEP_3) | instskip(NEXT) | instid1(VALU_DEP_2)
	v_pk_add_f32 v[12:13], v[12:13], v[128:129] neg_lo:[0,1] neg_hi:[0,1]
	v_pk_fma_f32 v[122:123], v[122:123], v[88:89], v[124:125] op_sel_hi:[1,1,0]
	s_delay_alu instid0(VALU_DEP_1) | instskip(SKIP_4) | instid1(VALU_DEP_1)
	v_mov_b32_e32 v127, v123
	ds_load_2addr_b64 v[122:125], v116 offset0:48 offset1:49
	v_pk_add_f32 v[8:9], v[8:9], v[126:127] neg_lo:[0,1] neg_hi:[0,1]
	s_wait_dscnt 0x0
	v_pk_mul_f32 v[126:127], v[122:123], v[114:115] op_sel:[0,1]
	v_pk_fma_f32 v[128:129], v[122:123], v[112:113], v[126:127] op_sel:[0,0,1] op_sel_hi:[1,1,0] neg_lo:[0,0,1] neg_hi:[0,0,1]
	v_pk_fma_f32 v[122:123], v[122:123], v[112:113], v[126:127] op_sel:[0,0,1] op_sel_hi:[1,0,0]
	s_delay_alu instid0(VALU_DEP_1) | instskip(SKIP_1) | instid1(VALU_DEP_1)
	v_mov_b32_e32 v129, v123
	v_pk_mul_f32 v[122:123], v[124:125], v[114:115] op_sel:[0,1]
	v_pk_fma_f32 v[126:127], v[124:125], v[112:113], v[122:123] op_sel:[0,0,1] op_sel_hi:[1,1,0] neg_lo:[0,0,1] neg_hi:[0,0,1]
	v_pk_fma_f32 v[122:123], v[124:125], v[112:113], v[122:123] op_sel:[0,0,1] op_sel_hi:[1,0,0]
	s_delay_alu instid0(VALU_DEP_1)
	v_mov_b32_e32 v127, v123
	ds_load_2addr_b64 v[122:125], v116 offset0:50 offset1:51
	v_pk_add_f32 v[6:7], v[6:7], v[128:129] neg_lo:[0,1] neg_hi:[0,1]
	v_pk_add_f32 v[28:29], v[28:29], v[126:127] neg_lo:[0,1] neg_hi:[0,1]
	s_wait_dscnt 0x0
	v_pk_mul_f32 v[126:127], v[122:123], v[114:115] op_sel:[0,1]
	s_delay_alu instid0(VALU_DEP_1) | instskip(SKIP_1) | instid1(VALU_DEP_1)
	v_pk_fma_f32 v[128:129], v[122:123], v[112:113], v[126:127] op_sel:[0,0,1] op_sel_hi:[1,1,0] neg_lo:[0,0,1] neg_hi:[0,0,1]
	v_pk_fma_f32 v[122:123], v[122:123], v[112:113], v[126:127] op_sel:[0,0,1] op_sel_hi:[1,0,0]
	v_mov_b32_e32 v129, v123
	v_pk_mul_f32 v[122:123], v[124:125], v[114:115] op_sel:[0,1]
	s_delay_alu instid0(VALU_DEP_1) | instskip(SKIP_1) | instid1(VALU_DEP_1)
	v_pk_fma_f32 v[126:127], v[124:125], v[112:113], v[122:123] op_sel:[0,0,1] op_sel_hi:[1,1,0] neg_lo:[0,0,1] neg_hi:[0,0,1]
	v_pk_fma_f32 v[122:123], v[124:125], v[112:113], v[122:123] op_sel:[0,0,1] op_sel_hi:[1,0,0]
	v_mov_b32_e32 v127, v123
	ds_load_b64 v[122:123], v116 offset:416
	v_pk_add_f32 v[18:19], v[18:19], v[128:129] neg_lo:[0,1] neg_hi:[0,1]
	v_pk_add_f32 v[16:17], v[16:17], v[126:127] neg_lo:[0,1] neg_hi:[0,1]
	s_wait_dscnt 0x0
	v_pk_mul_f32 v[114:115], v[122:123], v[114:115] op_sel:[0,1]
	s_delay_alu instid0(VALU_DEP_1) | instskip(SKIP_1) | instid1(VALU_DEP_1)
	v_pk_fma_f32 v[124:125], v[122:123], v[112:113], v[114:115] op_sel:[0,0,1] op_sel_hi:[1,1,0] neg_lo:[0,0,1] neg_hi:[0,0,1]
	v_pk_fma_f32 v[112:113], v[122:123], v[112:113], v[114:115] op_sel:[0,0,1] op_sel_hi:[1,0,0]
	v_mov_b32_e32 v125, v113
	s_delay_alu instid0(VALU_DEP_1)
	v_pk_add_f32 v[110:111], v[110:111], v[124:125] neg_lo:[0,1] neg_hi:[0,1]
.LBB104_293:
	s_or_b32 exec_lo, exec_lo, s0
	v_lshl_add_u32 v112, v120, 3, v116
	s_barrier_signal -1
	s_barrier_wait -1
	ds_store_b64 v112, v[90:91]
	s_wait_dscnt 0x0
	s_barrier_signal -1
	s_barrier_wait -1
	ds_load_b64 v[114:115], v116 offset:112
	v_mov_b32_e32 v112, 14
	s_cmp_lt_i32 s18, 16
	s_cbranch_scc1 .LBB104_296
; %bb.294:
	v_add3_u32 v113, v117, 0, 0x78
	v_mov_b32_e32 v112, 14
	s_mov_b32 s0, 15
.LBB104_295:                            ; =>This Inner Loop Header: Depth=1
	ds_load_b64 v[122:123], v113
	s_wait_dscnt 0x1
	v_cmp_gt_f32_e32 vcc_lo, 0, v114
	v_cndmask_b32_e64 v124, v114, -v114, vcc_lo
	v_cmp_gt_f32_e32 vcc_lo, 0, v115
	v_cndmask_b32_e64 v126, v115, -v115, vcc_lo
	s_wait_dscnt 0x0
	v_cmp_gt_f32_e32 vcc_lo, 0, v122
	v_cndmask_b32_e64 v125, v122, -v122, vcc_lo
	v_cmp_gt_f32_e32 vcc_lo, 0, v123
	v_cndmask_b32_e64 v127, v123, -v123, vcc_lo
	s_delay_alu instid0(VALU_DEP_1) | instskip(NEXT) | instid1(VALU_DEP_1)
	v_pk_add_f32 v[124:125], v[124:125], v[126:127]
	v_cmp_lt_f32_e32 vcc_lo, v124, v125
	v_dual_add_nc_u32 v113, 8, v113 :: v_dual_cndmask_b32 v115, v115, v123, vcc_lo
	v_cndmask_b32_e32 v114, v114, v122, vcc_lo
	v_cndmask_b32_e64 v112, v112, s0, vcc_lo
	s_add_co_i32 s0, s0, 1
	s_delay_alu instid0(SALU_CYCLE_1)
	s_cmp_lg_u32 s18, s0
	s_cbranch_scc1 .LBB104_295
.LBB104_296:
	s_wait_dscnt 0x0
	v_cmp_eq_f32_e32 vcc_lo, 0, v114
	v_cmp_eq_f32_e64 s0, 0, v115
	s_and_b32 s0, vcc_lo, s0
	s_delay_alu instid0(SALU_CYCLE_1) | instskip(NEXT) | instid1(SALU_CYCLE_1)
	s_and_saveexec_b32 s1, s0
	s_xor_b32 s0, exec_lo, s1
; %bb.297:
	v_cmp_ne_u32_e32 vcc_lo, 0, v118
	v_cndmask_b32_e32 v118, 15, v118, vcc_lo
; %bb.298:
	s_and_not1_saveexec_b32 s0, s0
	s_cbranch_execz .LBB104_304
; %bb.299:
	v_cmp_ngt_f32_e64 s1, |v114|, |v115|
	s_and_saveexec_b32 s12, s1
	s_delay_alu instid0(SALU_CYCLE_1)
	s_xor_b32 s1, exec_lo, s12
	s_cbranch_execz .LBB104_301
; %bb.300:
	v_div_scale_f32 v113, null, v115, v115, v114
	v_div_scale_f32 v123, vcc_lo, v114, v115, v114
	s_delay_alu instid0(VALU_DEP_2) | instskip(SKIP_1) | instid1(TRANS32_DEP_1)
	v_rcp_f32_e32 v121, v113
	v_nop
	v_fma_f32 v122, -v113, v121, 1.0
	s_delay_alu instid0(VALU_DEP_1) | instskip(NEXT) | instid1(VALU_DEP_1)
	v_fmac_f32_e32 v121, v122, v121
	v_mul_f32_e32 v122, v123, v121
	s_delay_alu instid0(VALU_DEP_1) | instskip(NEXT) | instid1(VALU_DEP_1)
	v_fma_f32 v124, -v113, v122, v123
	v_fmac_f32_e32 v122, v124, v121
	s_delay_alu instid0(VALU_DEP_1) | instskip(NEXT) | instid1(VALU_DEP_1)
	v_fma_f32 v113, -v113, v122, v123
	v_div_fmas_f32 v113, v113, v121, v122
	s_delay_alu instid0(VALU_DEP_1) | instskip(NEXT) | instid1(VALU_DEP_1)
	v_div_fixup_f32 v113, v113, v115, v114
	v_fmac_f32_e32 v115, v114, v113
	s_delay_alu instid0(VALU_DEP_1) | instskip(SKIP_1) | instid1(VALU_DEP_2)
	v_div_scale_f32 v114, null, v115, v115, 1.0
	v_div_scale_f32 v123, vcc_lo, 1.0, v115, 1.0
	v_rcp_f32_e32 v121, v114
	v_nop
	s_delay_alu instid0(TRANS32_DEP_1) | instskip(NEXT) | instid1(VALU_DEP_1)
	v_fma_f32 v122, -v114, v121, 1.0
	v_fmac_f32_e32 v121, v122, v121
	s_delay_alu instid0(VALU_DEP_1) | instskip(NEXT) | instid1(VALU_DEP_1)
	v_mul_f32_e32 v122, v123, v121
	v_fma_f32 v124, -v114, v122, v123
	s_delay_alu instid0(VALU_DEP_1) | instskip(NEXT) | instid1(VALU_DEP_1)
	v_fmac_f32_e32 v122, v124, v121
	v_fma_f32 v114, -v114, v122, v123
	s_delay_alu instid0(VALU_DEP_1) | instskip(NEXT) | instid1(VALU_DEP_1)
	v_div_fmas_f32 v114, v114, v121, v122
	v_div_fixup_f32 v115, v114, v115, 1.0
	s_delay_alu instid0(VALU_DEP_1)
	v_mul_f32_e32 v114, v113, v115
	v_xor_b32_e32 v115, 0x80000000, v115
.LBB104_301:
	s_and_not1_saveexec_b32 s1, s1
	s_cbranch_execz .LBB104_303
; %bb.302:
	s_delay_alu instid0(VALU_DEP_1) | instskip(SKIP_1) | instid1(VALU_DEP_2)
	v_div_scale_f32 v113, null, v114, v114, v115
	v_div_scale_f32 v123, vcc_lo, v115, v114, v115
	v_rcp_f32_e32 v121, v113
	v_nop
	s_delay_alu instid0(TRANS32_DEP_1) | instskip(NEXT) | instid1(VALU_DEP_1)
	v_fma_f32 v122, -v113, v121, 1.0
	v_fmac_f32_e32 v121, v122, v121
	s_delay_alu instid0(VALU_DEP_1) | instskip(NEXT) | instid1(VALU_DEP_1)
	v_mul_f32_e32 v122, v123, v121
	v_fma_f32 v124, -v113, v122, v123
	s_delay_alu instid0(VALU_DEP_1) | instskip(NEXT) | instid1(VALU_DEP_1)
	v_fmac_f32_e32 v122, v124, v121
	v_fma_f32 v113, -v113, v122, v123
	s_delay_alu instid0(VALU_DEP_1) | instskip(NEXT) | instid1(VALU_DEP_1)
	v_div_fmas_f32 v113, v113, v121, v122
	v_div_fixup_f32 v113, v113, v114, v115
	s_delay_alu instid0(VALU_DEP_1) | instskip(NEXT) | instid1(VALU_DEP_1)
	v_fmac_f32_e32 v114, v115, v113
	v_div_scale_f32 v115, null, v114, v114, 1.0
	s_delay_alu instid0(VALU_DEP_1) | instskip(SKIP_1) | instid1(TRANS32_DEP_1)
	v_rcp_f32_e32 v121, v115
	v_nop
	v_fma_f32 v122, -v115, v121, 1.0
	s_delay_alu instid0(VALU_DEP_1) | instskip(SKIP_1) | instid1(VALU_DEP_1)
	v_fmac_f32_e32 v121, v122, v121
	v_div_scale_f32 v122, vcc_lo, 1.0, v114, 1.0
	v_mul_f32_e32 v123, v122, v121
	s_delay_alu instid0(VALU_DEP_1) | instskip(NEXT) | instid1(VALU_DEP_1)
	v_fma_f32 v124, -v115, v123, v122
	v_fmac_f32_e32 v123, v124, v121
	s_delay_alu instid0(VALU_DEP_1) | instskip(NEXT) | instid1(VALU_DEP_1)
	v_fma_f32 v115, -v115, v123, v122
	v_div_fmas_f32 v115, v115, v121, v123
	s_delay_alu instid0(VALU_DEP_1) | instskip(NEXT) | instid1(VALU_DEP_1)
	v_div_fixup_f32 v114, v115, v114, 1.0
	v_mul_f32_e64 v115, v113, -v114
.LBB104_303:
	s_or_b32 exec_lo, exec_lo, s1
.LBB104_304:
	s_delay_alu instid0(SALU_CYCLE_1) | instskip(NEXT) | instid1(SALU_CYCLE_1)
	s_or_b32 exec_lo, exec_lo, s0
	s_mov_b32 s0, exec_lo
	v_cmpx_ne_u32_e64 v120, v112
	s_xor_b32 s0, exec_lo, s0
	s_cbranch_execz .LBB104_310
; %bb.305:
	s_mov_b32 s1, exec_lo
	v_cmpx_eq_u32_e32 14, v120
	s_cbranch_execz .LBB104_309
; %bb.306:
	v_cmp_ne_u32_e32 vcc_lo, 14, v112
	s_xor_b32 s12, s16, -1
	s_delay_alu instid0(SALU_CYCLE_1) | instskip(NEXT) | instid1(SALU_CYCLE_1)
	s_and_b32 s13, s12, vcc_lo
	s_and_saveexec_b32 s12, s13
	s_cbranch_execz .LBB104_308
; %bb.307:
	v_ashrrev_i32_e32 v113, 31, v112
	s_delay_alu instid0(VALU_DEP_1)
	v_lshl_add_u64 v[120:121], v[112:113], 2, v[4:5]
	s_clause 0x1
	global_load_b32 v113, v[120:121], off
	global_load_b32 v119, v[4:5], off offset:56
	s_wait_loadcnt 0x1
	global_store_b32 v[4:5], v113, off offset:56
	s_wait_loadcnt 0x0
	global_store_b32 v[120:121], v119, off
.LBB104_308:
	s_wait_xcnt 0x0
	s_or_b32 exec_lo, exec_lo, s12
	v_dual_mov_b32 v120, v112 :: v_dual_mov_b32 v119, v112
.LBB104_309:
	s_or_b32 exec_lo, exec_lo, s1
.LBB104_310:
	s_and_not1_saveexec_b32 s0, s0
	s_cbranch_execz .LBB104_312
; %bb.311:
	v_mov_b32_e32 v120, 14
	ds_store_2addr_b64 v116, v[86:87], v[84:85] offset0:15 offset1:16
	ds_store_2addr_b64 v116, v[80:81], v[82:83] offset0:17 offset1:18
	;; [unrolled: 1-line block ×19, first 2 shown]
.LBB104_312:
	s_or_b32 exec_lo, exec_lo, s0
	s_delay_alu instid0(SALU_CYCLE_1)
	s_mov_b32 s0, exec_lo
	s_wait_storecnt_dscnt 0x0
	s_barrier_signal -1
	s_barrier_wait -1
	v_cmpx_lt_i32_e32 14, v120
	s_cbranch_execz .LBB104_314
; %bb.313:
	v_pk_mul_f32 v[122:123], v[114:115], v[90:91] op_sel:[1,1] op_sel_hi:[0,1]
	s_delay_alu instid0(VALU_DEP_1)
	v_pk_fma_f32 v[112:113], v[114:115], v[90:91], v[122:123] op_sel_hi:[1,0,1] neg_lo:[0,0,1] neg_hi:[0,0,1]
	v_pk_fma_f32 v[114:115], v[114:115], v[90:91], v[122:123] op_sel_hi:[1,0,1]
	ds_load_2addr_b64 v[122:125], v116 offset0:15 offset1:16
	v_dual_mov_b32 v90, v112 :: v_dual_mov_b32 v91, v115
	s_wait_dscnt 0x0
	v_pk_mul_f32 v[126:127], v[122:123], v[114:115] op_sel:[0,1]
	s_delay_alu instid0(VALU_DEP_1) | instskip(SKIP_1) | instid1(VALU_DEP_1)
	v_pk_fma_f32 v[128:129], v[122:123], v[112:113], v[126:127] op_sel:[0,0,1] op_sel_hi:[1,1,0] neg_lo:[0,0,1] neg_hi:[0,0,1]
	v_pk_fma_f32 v[122:123], v[122:123], v[112:113], v[126:127] op_sel:[0,0,1] op_sel_hi:[1,0,0]
	v_mov_b32_e32 v129, v123
	v_pk_mul_f32 v[122:123], v[124:125], v[114:115] op_sel:[0,1]
	s_delay_alu instid0(VALU_DEP_1) | instskip(SKIP_1) | instid1(VALU_DEP_1)
	v_pk_fma_f32 v[126:127], v[124:125], v[112:113], v[122:123] op_sel:[0,0,1] op_sel_hi:[1,1,0] neg_lo:[0,0,1] neg_hi:[0,0,1]
	v_pk_fma_f32 v[122:123], v[124:125], v[112:113], v[122:123] op_sel:[0,0,1] op_sel_hi:[1,0,0]
	v_mov_b32_e32 v127, v123
	ds_load_2addr_b64 v[122:125], v116 offset0:17 offset1:18
	v_pk_add_f32 v[86:87], v[86:87], v[128:129] neg_lo:[0,1] neg_hi:[0,1]
	v_pk_add_f32 v[84:85], v[84:85], v[126:127] neg_lo:[0,1] neg_hi:[0,1]
	s_wait_dscnt 0x0
	v_pk_mul_f32 v[126:127], v[122:123], v[114:115] op_sel:[0,1]
	s_delay_alu instid0(VALU_DEP_1) | instskip(SKIP_2) | instid1(VALU_DEP_2)
	v_pk_fma_f32 v[128:129], v[122:123], v[112:113], v[126:127] op_sel:[0,0,1] op_sel_hi:[1,1,0] neg_lo:[0,0,1] neg_hi:[0,0,1]
	v_pk_fma_f32 v[122:123], v[122:123], v[112:113], v[126:127] op_sel:[0,0,1] op_sel_hi:[1,0,0]
	v_dual_mul_f32 v126, v125, v115 :: v_dual_mov_b32 v122, v125
	v_dual_mov_b32 v129, v123 :: v_dual_mov_b32 v123, v124
	s_delay_alu instid0(VALU_DEP_2) | instskip(SKIP_1) | instid1(VALU_DEP_3)
	v_pk_fma_f32 v[126:127], v[124:125], v[90:91], v[126:127] op_sel_hi:[1,1,0] neg_lo:[0,0,1] neg_hi:[0,0,1]
	v_mul_f32_e32 v124, v125, v112
	v_pk_add_f32 v[80:81], v[80:81], v[128:129] neg_lo:[0,1] neg_hi:[0,1]
	s_delay_alu instid0(VALU_DEP_2) | instskip(NEXT) | instid1(VALU_DEP_1)
	v_pk_fma_f32 v[122:123], v[122:123], v[90:91], v[124:125] op_sel_hi:[1,1,0]
	v_mov_b32_e32 v127, v123
	ds_load_2addr_b64 v[122:125], v116 offset0:19 offset1:20
	v_pk_add_f32 v[82:83], v[82:83], v[126:127] neg_lo:[0,1] neg_hi:[0,1]
	s_wait_dscnt 0x0
	v_pk_mul_f32 v[126:127], v[122:123], v[114:115] op_sel:[0,1]
	s_delay_alu instid0(VALU_DEP_1) | instskip(SKIP_1) | instid1(VALU_DEP_1)
	v_pk_fma_f32 v[128:129], v[122:123], v[112:113], v[126:127] op_sel:[0,0,1] op_sel_hi:[1,1,0] neg_lo:[0,0,1] neg_hi:[0,0,1]
	v_pk_fma_f32 v[122:123], v[122:123], v[112:113], v[126:127] op_sel:[0,0,1] op_sel_hi:[1,0,0]
	v_mov_b32_e32 v129, v123
	v_pk_mul_f32 v[122:123], v[124:125], v[114:115] op_sel:[0,1]
	s_delay_alu instid0(VALU_DEP_1) | instskip(SKIP_1) | instid1(VALU_DEP_1)
	v_pk_fma_f32 v[126:127], v[124:125], v[112:113], v[122:123] op_sel:[0,0,1] op_sel_hi:[1,1,0] neg_lo:[0,0,1] neg_hi:[0,0,1]
	v_pk_fma_f32 v[122:123], v[124:125], v[112:113], v[122:123] op_sel:[0,0,1] op_sel_hi:[1,0,0]
	v_mov_b32_e32 v127, v123
	ds_load_2addr_b64 v[122:125], v116 offset0:21 offset1:22
	v_pk_add_f32 v[78:79], v[78:79], v[128:129] neg_lo:[0,1] neg_hi:[0,1]
	v_pk_add_f32 v[76:77], v[76:77], v[126:127] neg_lo:[0,1] neg_hi:[0,1]
	s_wait_dscnt 0x0
	v_pk_mul_f32 v[126:127], v[122:123], v[114:115] op_sel:[0,1]
	s_delay_alu instid0(VALU_DEP_1) | instskip(SKIP_1) | instid1(VALU_DEP_1)
	v_pk_fma_f32 v[128:129], v[122:123], v[112:113], v[126:127] op_sel:[0,0,1] op_sel_hi:[1,1,0] neg_lo:[0,0,1] neg_hi:[0,0,1]
	v_pk_fma_f32 v[122:123], v[122:123], v[112:113], v[126:127] op_sel:[0,0,1] op_sel_hi:[1,0,0]
	v_mov_b32_e32 v129, v123
	v_pk_mul_f32 v[122:123], v[124:125], v[114:115] op_sel:[0,1]
	s_delay_alu instid0(VALU_DEP_1) | instskip(SKIP_1) | instid1(VALU_DEP_1)
	v_pk_fma_f32 v[126:127], v[124:125], v[112:113], v[122:123] op_sel:[0,0,1] op_sel_hi:[1,1,0] neg_lo:[0,0,1] neg_hi:[0,0,1]
	v_pk_fma_f32 v[122:123], v[124:125], v[112:113], v[122:123] op_sel:[0,0,1] op_sel_hi:[1,0,0]
	v_mov_b32_e32 v127, v123
	ds_load_2addr_b64 v[122:125], v116 offset0:23 offset1:24
	v_pk_add_f32 v[72:73], v[72:73], v[128:129] neg_lo:[0,1] neg_hi:[0,1]
	v_pk_add_f32 v[74:75], v[74:75], v[126:127] neg_lo:[0,1] neg_hi:[0,1]
	s_wait_dscnt 0x0
	v_dual_mul_f32 v126, v123, v115 :: v_dual_mul_f32 v128, v123, v112
	s_delay_alu instid0(VALU_DEP_1) | instskip(NEXT) | instid1(VALU_DEP_2)
	v_pk_fma_f32 v[126:127], v[122:123], v[90:91], v[126:127] op_sel_hi:[1,1,0] neg_lo:[0,0,1] neg_hi:[0,0,1]
	v_pk_fma_f32 v[122:123], v[122:123], v[90:91], v[128:129] op_sel:[1,0,0] op_sel_hi:[0,1,0]
	s_delay_alu instid0(VALU_DEP_1) | instskip(SKIP_1) | instid1(VALU_DEP_2)
	v_mov_b32_e32 v127, v123
	v_pk_mul_f32 v[122:123], v[124:125], v[114:115] op_sel:[0,1]
	v_pk_add_f32 v[70:71], v[70:71], v[126:127] neg_lo:[0,1] neg_hi:[0,1]
	s_delay_alu instid0(VALU_DEP_2) | instskip(SKIP_1) | instid1(VALU_DEP_1)
	v_pk_fma_f32 v[126:127], v[124:125], v[112:113], v[122:123] op_sel:[0,0,1] op_sel_hi:[1,1,0] neg_lo:[0,0,1] neg_hi:[0,0,1]
	v_pk_fma_f32 v[122:123], v[124:125], v[112:113], v[122:123] op_sel:[0,0,1] op_sel_hi:[1,0,0]
	v_mov_b32_e32 v127, v123
	ds_load_2addr_b64 v[122:125], v116 offset0:25 offset1:26
	v_pk_add_f32 v[68:69], v[68:69], v[126:127] neg_lo:[0,1] neg_hi:[0,1]
	s_wait_dscnt 0x0
	v_pk_mul_f32 v[126:127], v[122:123], v[114:115] op_sel:[0,1]
	s_delay_alu instid0(VALU_DEP_1) | instskip(SKIP_1) | instid1(VALU_DEP_1)
	v_pk_fma_f32 v[128:129], v[122:123], v[112:113], v[126:127] op_sel:[0,0,1] op_sel_hi:[1,1,0] neg_lo:[0,0,1] neg_hi:[0,0,1]
	v_pk_fma_f32 v[122:123], v[122:123], v[112:113], v[126:127] op_sel:[0,0,1] op_sel_hi:[1,0,0]
	v_mov_b32_e32 v129, v123
	v_pk_mul_f32 v[122:123], v[124:125], v[114:115] op_sel:[0,1]
	s_delay_alu instid0(VALU_DEP_2) | instskip(NEXT) | instid1(VALU_DEP_2)
	v_pk_add_f32 v[64:65], v[64:65], v[128:129] neg_lo:[0,1] neg_hi:[0,1]
	v_pk_fma_f32 v[126:127], v[124:125], v[112:113], v[122:123] op_sel:[0,0,1] op_sel_hi:[1,1,0] neg_lo:[0,0,1] neg_hi:[0,0,1]
	v_pk_fma_f32 v[122:123], v[124:125], v[112:113], v[122:123] op_sel:[0,0,1] op_sel_hi:[1,0,0]
	s_delay_alu instid0(VALU_DEP_1) | instskip(SKIP_4) | instid1(VALU_DEP_1)
	v_mov_b32_e32 v127, v123
	ds_load_2addr_b64 v[122:125], v116 offset0:27 offset1:28
	v_pk_add_f32 v[66:67], v[66:67], v[126:127] neg_lo:[0,1] neg_hi:[0,1]
	s_wait_dscnt 0x0
	v_pk_mul_f32 v[126:127], v[122:123], v[114:115] op_sel:[0,1]
	v_pk_fma_f32 v[128:129], v[122:123], v[112:113], v[126:127] op_sel:[0,0,1] op_sel_hi:[1,1,0] neg_lo:[0,0,1] neg_hi:[0,0,1]
	v_pk_fma_f32 v[122:123], v[122:123], v[112:113], v[126:127] op_sel:[0,0,1] op_sel_hi:[1,0,0]
	v_dual_mul_f32 v126, v125, v115 :: v_dual_mov_b32 v122, v125
	s_delay_alu instid0(VALU_DEP_2) | instskip(NEXT) | instid1(VALU_DEP_2)
	v_dual_mov_b32 v129, v123 :: v_dual_mov_b32 v123, v124
	v_pk_fma_f32 v[126:127], v[124:125], v[90:91], v[126:127] op_sel_hi:[1,1,0] neg_lo:[0,0,1] neg_hi:[0,0,1]
	v_mul_f32_e32 v124, v125, v112
	s_delay_alu instid0(VALU_DEP_3) | instskip(NEXT) | instid1(VALU_DEP_2)
	v_pk_add_f32 v[62:63], v[62:63], v[128:129] neg_lo:[0,1] neg_hi:[0,1]
	v_pk_fma_f32 v[122:123], v[122:123], v[90:91], v[124:125] op_sel_hi:[1,1,0]
	s_delay_alu instid0(VALU_DEP_1) | instskip(SKIP_4) | instid1(VALU_DEP_1)
	v_mov_b32_e32 v127, v123
	ds_load_2addr_b64 v[122:125], v116 offset0:29 offset1:30
	v_pk_add_f32 v[52:53], v[52:53], v[126:127] neg_lo:[0,1] neg_hi:[0,1]
	s_wait_dscnt 0x0
	v_pk_mul_f32 v[126:127], v[122:123], v[114:115] op_sel:[0,1]
	v_pk_fma_f32 v[128:129], v[122:123], v[112:113], v[126:127] op_sel:[0,0,1] op_sel_hi:[1,1,0] neg_lo:[0,0,1] neg_hi:[0,0,1]
	v_pk_fma_f32 v[122:123], v[122:123], v[112:113], v[126:127] op_sel:[0,0,1] op_sel_hi:[1,0,0]
	s_delay_alu instid0(VALU_DEP_1) | instskip(SKIP_1) | instid1(VALU_DEP_1)
	v_mov_b32_e32 v129, v123
	v_pk_mul_f32 v[122:123], v[124:125], v[114:115] op_sel:[0,1]
	v_pk_fma_f32 v[126:127], v[124:125], v[112:113], v[122:123] op_sel:[0,0,1] op_sel_hi:[1,1,0] neg_lo:[0,0,1] neg_hi:[0,0,1]
	v_pk_fma_f32 v[122:123], v[124:125], v[112:113], v[122:123] op_sel:[0,0,1] op_sel_hi:[1,0,0]
	s_delay_alu instid0(VALU_DEP_1)
	v_mov_b32_e32 v127, v123
	ds_load_2addr_b64 v[122:125], v116 offset0:31 offset1:32
	v_pk_add_f32 v[48:49], v[48:49], v[128:129] neg_lo:[0,1] neg_hi:[0,1]
	v_pk_add_f32 v[50:51], v[50:51], v[126:127] neg_lo:[0,1] neg_hi:[0,1]
	s_wait_dscnt 0x0
	v_pk_mul_f32 v[126:127], v[122:123], v[114:115] op_sel:[0,1]
	s_delay_alu instid0(VALU_DEP_1) | instskip(SKIP_1) | instid1(VALU_DEP_1)
	v_pk_fma_f32 v[128:129], v[122:123], v[112:113], v[126:127] op_sel:[0,0,1] op_sel_hi:[1,1,0] neg_lo:[0,0,1] neg_hi:[0,0,1]
	v_pk_fma_f32 v[122:123], v[122:123], v[112:113], v[126:127] op_sel:[0,0,1] op_sel_hi:[1,0,0]
	v_mov_b32_e32 v129, v123
	v_pk_mul_f32 v[122:123], v[124:125], v[114:115] op_sel:[0,1]
	s_delay_alu instid0(VALU_DEP_1) | instskip(SKIP_1) | instid1(VALU_DEP_1)
	v_pk_fma_f32 v[126:127], v[124:125], v[112:113], v[122:123] op_sel:[0,0,1] op_sel_hi:[1,1,0] neg_lo:[0,0,1] neg_hi:[0,0,1]
	v_pk_fma_f32 v[122:123], v[124:125], v[112:113], v[122:123] op_sel:[0,0,1] op_sel_hi:[1,0,0]
	v_mov_b32_e32 v127, v123
	ds_load_2addr_b64 v[122:125], v116 offset0:33 offset1:34
	v_pk_add_f32 v[46:47], v[46:47], v[128:129] neg_lo:[0,1] neg_hi:[0,1]
	v_pk_add_f32 v[44:45], v[44:45], v[126:127] neg_lo:[0,1] neg_hi:[0,1]
	s_wait_dscnt 0x0
	v_dual_mul_f32 v126, v123, v115 :: v_dual_mul_f32 v128, v123, v112
	s_delay_alu instid0(VALU_DEP_1) | instskip(NEXT) | instid1(VALU_DEP_2)
	v_pk_fma_f32 v[126:127], v[122:123], v[90:91], v[126:127] op_sel_hi:[1,1,0] neg_lo:[0,0,1] neg_hi:[0,0,1]
	v_pk_fma_f32 v[122:123], v[122:123], v[90:91], v[128:129] op_sel:[1,0,0] op_sel_hi:[0,1,0]
	s_delay_alu instid0(VALU_DEP_1) | instskip(SKIP_1) | instid1(VALU_DEP_2)
	v_mov_b32_e32 v127, v123
	v_pk_mul_f32 v[122:123], v[124:125], v[114:115] op_sel:[0,1]
	v_pk_add_f32 v[40:41], v[40:41], v[126:127] neg_lo:[0,1] neg_hi:[0,1]
	s_delay_alu instid0(VALU_DEP_2) | instskip(SKIP_1) | instid1(VALU_DEP_1)
	v_pk_fma_f32 v[126:127], v[124:125], v[112:113], v[122:123] op_sel:[0,0,1] op_sel_hi:[1,1,0] neg_lo:[0,0,1] neg_hi:[0,0,1]
	v_pk_fma_f32 v[122:123], v[124:125], v[112:113], v[122:123] op_sel:[0,0,1] op_sel_hi:[1,0,0]
	v_mov_b32_e32 v127, v123
	ds_load_2addr_b64 v[122:125], v116 offset0:35 offset1:36
	v_pk_add_f32 v[42:43], v[42:43], v[126:127] neg_lo:[0,1] neg_hi:[0,1]
	s_wait_dscnt 0x0
	v_pk_mul_f32 v[126:127], v[122:123], v[114:115] op_sel:[0,1]
	s_delay_alu instid0(VALU_DEP_1) | instskip(SKIP_1) | instid1(VALU_DEP_1)
	v_pk_fma_f32 v[128:129], v[122:123], v[112:113], v[126:127] op_sel:[0,0,1] op_sel_hi:[1,1,0] neg_lo:[0,0,1] neg_hi:[0,0,1]
	v_pk_fma_f32 v[122:123], v[122:123], v[112:113], v[126:127] op_sel:[0,0,1] op_sel_hi:[1,0,0]
	v_mov_b32_e32 v129, v123
	v_pk_mul_f32 v[122:123], v[124:125], v[114:115] op_sel:[0,1]
	s_delay_alu instid0(VALU_DEP_2) | instskip(NEXT) | instid1(VALU_DEP_2)
	v_pk_add_f32 v[38:39], v[38:39], v[128:129] neg_lo:[0,1] neg_hi:[0,1]
	v_pk_fma_f32 v[126:127], v[124:125], v[112:113], v[122:123] op_sel:[0,0,1] op_sel_hi:[1,1,0] neg_lo:[0,0,1] neg_hi:[0,0,1]
	v_pk_fma_f32 v[122:123], v[124:125], v[112:113], v[122:123] op_sel:[0,0,1] op_sel_hi:[1,0,0]
	s_delay_alu instid0(VALU_DEP_1) | instskip(SKIP_4) | instid1(VALU_DEP_1)
	v_mov_b32_e32 v127, v123
	ds_load_2addr_b64 v[122:125], v116 offset0:37 offset1:38
	v_pk_add_f32 v[36:37], v[36:37], v[126:127] neg_lo:[0,1] neg_hi:[0,1]
	s_wait_dscnt 0x0
	v_pk_mul_f32 v[126:127], v[122:123], v[114:115] op_sel:[0,1]
	v_pk_fma_f32 v[128:129], v[122:123], v[112:113], v[126:127] op_sel:[0,0,1] op_sel_hi:[1,1,0] neg_lo:[0,0,1] neg_hi:[0,0,1]
	v_pk_fma_f32 v[122:123], v[122:123], v[112:113], v[126:127] op_sel:[0,0,1] op_sel_hi:[1,0,0]
	v_dual_mul_f32 v126, v125, v115 :: v_dual_mov_b32 v122, v125
	s_delay_alu instid0(VALU_DEP_2) | instskip(NEXT) | instid1(VALU_DEP_2)
	v_dual_mov_b32 v129, v123 :: v_dual_mov_b32 v123, v124
	v_pk_fma_f32 v[126:127], v[124:125], v[90:91], v[126:127] op_sel_hi:[1,1,0] neg_lo:[0,0,1] neg_hi:[0,0,1]
	v_mul_f32_e32 v124, v125, v112
	s_delay_alu instid0(VALU_DEP_3) | instskip(NEXT) | instid1(VALU_DEP_2)
	v_pk_add_f32 v[32:33], v[32:33], v[128:129] neg_lo:[0,1] neg_hi:[0,1]
	v_pk_fma_f32 v[122:123], v[122:123], v[90:91], v[124:125] op_sel_hi:[1,1,0]
	s_delay_alu instid0(VALU_DEP_1) | instskip(SKIP_4) | instid1(VALU_DEP_1)
	v_mov_b32_e32 v127, v123
	ds_load_2addr_b64 v[122:125], v116 offset0:39 offset1:40
	v_pk_add_f32 v[34:35], v[34:35], v[126:127] neg_lo:[0,1] neg_hi:[0,1]
	s_wait_dscnt 0x0
	v_pk_mul_f32 v[126:127], v[122:123], v[114:115] op_sel:[0,1]
	v_pk_fma_f32 v[128:129], v[122:123], v[112:113], v[126:127] op_sel:[0,0,1] op_sel_hi:[1,1,0] neg_lo:[0,0,1] neg_hi:[0,0,1]
	v_pk_fma_f32 v[122:123], v[122:123], v[112:113], v[126:127] op_sel:[0,0,1] op_sel_hi:[1,0,0]
	s_delay_alu instid0(VALU_DEP_1) | instskip(SKIP_1) | instid1(VALU_DEP_1)
	v_mov_b32_e32 v129, v123
	v_pk_mul_f32 v[122:123], v[124:125], v[114:115] op_sel:[0,1]
	v_pk_fma_f32 v[126:127], v[124:125], v[112:113], v[122:123] op_sel:[0,0,1] op_sel_hi:[1,1,0] neg_lo:[0,0,1] neg_hi:[0,0,1]
	v_pk_fma_f32 v[122:123], v[124:125], v[112:113], v[122:123] op_sel:[0,0,1] op_sel_hi:[1,0,0]
	s_delay_alu instid0(VALU_DEP_1)
	v_mov_b32_e32 v127, v123
	ds_load_2addr_b64 v[122:125], v116 offset0:41 offset1:42
	v_pk_add_f32 v[30:31], v[30:31], v[128:129] neg_lo:[0,1] neg_hi:[0,1]
	v_pk_add_f32 v[26:27], v[26:27], v[126:127] neg_lo:[0,1] neg_hi:[0,1]
	s_wait_dscnt 0x0
	v_pk_mul_f32 v[126:127], v[122:123], v[114:115] op_sel:[0,1]
	s_delay_alu instid0(VALU_DEP_1) | instskip(SKIP_1) | instid1(VALU_DEP_1)
	v_pk_fma_f32 v[128:129], v[122:123], v[112:113], v[126:127] op_sel:[0,0,1] op_sel_hi:[1,1,0] neg_lo:[0,0,1] neg_hi:[0,0,1]
	v_pk_fma_f32 v[122:123], v[122:123], v[112:113], v[126:127] op_sel:[0,0,1] op_sel_hi:[1,0,0]
	v_mov_b32_e32 v129, v123
	v_pk_mul_f32 v[122:123], v[124:125], v[114:115] op_sel:[0,1]
	s_delay_alu instid0(VALU_DEP_1) | instskip(SKIP_1) | instid1(VALU_DEP_1)
	v_pk_fma_f32 v[126:127], v[124:125], v[112:113], v[122:123] op_sel:[0,0,1] op_sel_hi:[1,1,0] neg_lo:[0,0,1] neg_hi:[0,0,1]
	v_pk_fma_f32 v[122:123], v[124:125], v[112:113], v[122:123] op_sel:[0,0,1] op_sel_hi:[1,0,0]
	v_mov_b32_e32 v127, v123
	ds_load_2addr_b64 v[122:125], v116 offset0:43 offset1:44
	v_pk_add_f32 v[22:23], v[22:23], v[128:129] neg_lo:[0,1] neg_hi:[0,1]
	v_pk_add_f32 v[24:25], v[24:25], v[126:127] neg_lo:[0,1] neg_hi:[0,1]
	s_wait_dscnt 0x0
	v_dual_mul_f32 v126, v123, v115 :: v_dual_mul_f32 v128, v123, v112
	s_delay_alu instid0(VALU_DEP_1) | instskip(NEXT) | instid1(VALU_DEP_2)
	v_pk_fma_f32 v[126:127], v[122:123], v[90:91], v[126:127] op_sel_hi:[1,1,0] neg_lo:[0,0,1] neg_hi:[0,0,1]
	v_pk_fma_f32 v[122:123], v[122:123], v[90:91], v[128:129] op_sel:[1,0,0] op_sel_hi:[0,1,0]
	s_delay_alu instid0(VALU_DEP_1) | instskip(SKIP_1) | instid1(VALU_DEP_2)
	v_mov_b32_e32 v127, v123
	v_pk_mul_f32 v[122:123], v[124:125], v[114:115] op_sel:[0,1]
	v_pk_add_f32 v[20:21], v[20:21], v[126:127] neg_lo:[0,1] neg_hi:[0,1]
	s_delay_alu instid0(VALU_DEP_2) | instskip(SKIP_1) | instid1(VALU_DEP_1)
	v_pk_fma_f32 v[126:127], v[124:125], v[112:113], v[122:123] op_sel:[0,0,1] op_sel_hi:[1,1,0] neg_lo:[0,0,1] neg_hi:[0,0,1]
	v_pk_fma_f32 v[122:123], v[124:125], v[112:113], v[122:123] op_sel:[0,0,1] op_sel_hi:[1,0,0]
	v_mov_b32_e32 v127, v123
	ds_load_2addr_b64 v[122:125], v116 offset0:45 offset1:46
	v_pk_add_f32 v[14:15], v[14:15], v[126:127] neg_lo:[0,1] neg_hi:[0,1]
	s_wait_dscnt 0x0
	v_pk_mul_f32 v[126:127], v[122:123], v[114:115] op_sel:[0,1]
	s_delay_alu instid0(VALU_DEP_1) | instskip(SKIP_1) | instid1(VALU_DEP_1)
	v_pk_fma_f32 v[128:129], v[122:123], v[112:113], v[126:127] op_sel:[0,0,1] op_sel_hi:[1,1,0] neg_lo:[0,0,1] neg_hi:[0,0,1]
	v_pk_fma_f32 v[122:123], v[122:123], v[112:113], v[126:127] op_sel:[0,0,1] op_sel_hi:[1,0,0]
	v_mov_b32_e32 v129, v123
	v_pk_mul_f32 v[122:123], v[124:125], v[114:115] op_sel:[0,1]
	s_delay_alu instid0(VALU_DEP_2) | instskip(NEXT) | instid1(VALU_DEP_2)
	v_pk_add_f32 v[10:11], v[10:11], v[128:129] neg_lo:[0,1] neg_hi:[0,1]
	v_pk_fma_f32 v[126:127], v[124:125], v[112:113], v[122:123] op_sel:[0,0,1] op_sel_hi:[1,1,0] neg_lo:[0,0,1] neg_hi:[0,0,1]
	v_pk_fma_f32 v[122:123], v[124:125], v[112:113], v[122:123] op_sel:[0,0,1] op_sel_hi:[1,0,0]
	s_delay_alu instid0(VALU_DEP_1) | instskip(SKIP_4) | instid1(VALU_DEP_1)
	v_mov_b32_e32 v127, v123
	ds_load_2addr_b64 v[122:125], v116 offset0:47 offset1:48
	v_pk_add_f32 v[12:13], v[12:13], v[126:127] neg_lo:[0,1] neg_hi:[0,1]
	s_wait_dscnt 0x0
	v_pk_mul_f32 v[126:127], v[122:123], v[114:115] op_sel:[0,1]
	v_pk_fma_f32 v[128:129], v[122:123], v[112:113], v[126:127] op_sel:[0,0,1] op_sel_hi:[1,1,0] neg_lo:[0,0,1] neg_hi:[0,0,1]
	v_pk_fma_f32 v[122:123], v[122:123], v[112:113], v[126:127] op_sel:[0,0,1] op_sel_hi:[1,0,0]
	v_dual_mul_f32 v126, v125, v115 :: v_dual_mov_b32 v122, v125
	s_delay_alu instid0(VALU_DEP_2) | instskip(NEXT) | instid1(VALU_DEP_2)
	v_dual_mov_b32 v129, v123 :: v_dual_mov_b32 v123, v124
	v_pk_fma_f32 v[126:127], v[124:125], v[90:91], v[126:127] op_sel_hi:[1,1,0] neg_lo:[0,0,1] neg_hi:[0,0,1]
	v_mul_f32_e32 v124, v125, v112
	s_delay_alu instid0(VALU_DEP_3) | instskip(NEXT) | instid1(VALU_DEP_2)
	v_pk_add_f32 v[8:9], v[8:9], v[128:129] neg_lo:[0,1] neg_hi:[0,1]
	v_pk_fma_f32 v[122:123], v[122:123], v[90:91], v[124:125] op_sel_hi:[1,1,0]
	s_delay_alu instid0(VALU_DEP_1) | instskip(SKIP_4) | instid1(VALU_DEP_1)
	v_mov_b32_e32 v127, v123
	ds_load_2addr_b64 v[122:125], v116 offset0:49 offset1:50
	v_pk_add_f32 v[6:7], v[6:7], v[126:127] neg_lo:[0,1] neg_hi:[0,1]
	s_wait_dscnt 0x0
	v_pk_mul_f32 v[126:127], v[122:123], v[114:115] op_sel:[0,1]
	v_pk_fma_f32 v[128:129], v[122:123], v[112:113], v[126:127] op_sel:[0,0,1] op_sel_hi:[1,1,0] neg_lo:[0,0,1] neg_hi:[0,0,1]
	v_pk_fma_f32 v[122:123], v[122:123], v[112:113], v[126:127] op_sel:[0,0,1] op_sel_hi:[1,0,0]
	s_delay_alu instid0(VALU_DEP_1) | instskip(SKIP_1) | instid1(VALU_DEP_1)
	v_mov_b32_e32 v129, v123
	v_pk_mul_f32 v[122:123], v[124:125], v[114:115] op_sel:[0,1]
	v_pk_fma_f32 v[126:127], v[124:125], v[112:113], v[122:123] op_sel:[0,0,1] op_sel_hi:[1,1,0] neg_lo:[0,0,1] neg_hi:[0,0,1]
	v_pk_fma_f32 v[122:123], v[124:125], v[112:113], v[122:123] op_sel:[0,0,1] op_sel_hi:[1,0,0]
	s_delay_alu instid0(VALU_DEP_1)
	v_mov_b32_e32 v127, v123
	ds_load_2addr_b64 v[122:125], v116 offset0:51 offset1:52
	v_pk_add_f32 v[28:29], v[28:29], v[128:129] neg_lo:[0,1] neg_hi:[0,1]
	v_pk_add_f32 v[18:19], v[18:19], v[126:127] neg_lo:[0,1] neg_hi:[0,1]
	s_wait_dscnt 0x0
	v_pk_mul_f32 v[126:127], v[122:123], v[114:115] op_sel:[0,1]
	v_pk_mul_f32 v[114:115], v[124:125], v[114:115] op_sel:[0,1]
	s_delay_alu instid0(VALU_DEP_2) | instskip(SKIP_1) | instid1(VALU_DEP_1)
	v_pk_fma_f32 v[128:129], v[122:123], v[112:113], v[126:127] op_sel:[0,0,1] op_sel_hi:[1,1,0] neg_lo:[0,0,1] neg_hi:[0,0,1]
	v_pk_fma_f32 v[122:123], v[122:123], v[112:113], v[126:127] op_sel:[0,0,1] op_sel_hi:[1,0,0]
	v_mov_b32_e32 v129, v123
	s_delay_alu instid0(VALU_DEP_4) | instskip(SKIP_1) | instid1(VALU_DEP_1)
	v_pk_fma_f32 v[122:123], v[124:125], v[112:113], v[114:115] op_sel:[0,0,1] op_sel_hi:[1,1,0] neg_lo:[0,0,1] neg_hi:[0,0,1]
	v_pk_fma_f32 v[112:113], v[124:125], v[112:113], v[114:115] op_sel:[0,0,1] op_sel_hi:[1,0,0]
	v_mov_b32_e32 v123, v113
	s_delay_alu instid0(VALU_DEP_4) | instskip(NEXT) | instid1(VALU_DEP_2)
	v_pk_add_f32 v[16:17], v[16:17], v[128:129] neg_lo:[0,1] neg_hi:[0,1]
	v_pk_add_f32 v[110:111], v[110:111], v[122:123] neg_lo:[0,1] neg_hi:[0,1]
.LBB104_314:
	s_or_b32 exec_lo, exec_lo, s0
	v_lshl_add_u32 v112, v120, 3, v116
	s_barrier_signal -1
	s_barrier_wait -1
	ds_store_b64 v112, v[86:87]
	s_wait_dscnt 0x0
	s_barrier_signal -1
	s_barrier_wait -1
	ds_load_b64 v[114:115], v116 offset:120
	v_mov_b32_e32 v112, 15
	s_cmp_lt_i32 s18, 17
	s_cbranch_scc1 .LBB104_317
; %bb.315:
	v_add3_u32 v113, v117, 0, 0x80
	v_mov_b32_e32 v112, 15
	s_mov_b32 s0, 16
.LBB104_316:                            ; =>This Inner Loop Header: Depth=1
	ds_load_b64 v[122:123], v113
	s_wait_dscnt 0x1
	v_cmp_gt_f32_e32 vcc_lo, 0, v114
	v_cndmask_b32_e64 v124, v114, -v114, vcc_lo
	v_cmp_gt_f32_e32 vcc_lo, 0, v115
	v_cndmask_b32_e64 v126, v115, -v115, vcc_lo
	s_wait_dscnt 0x0
	v_cmp_gt_f32_e32 vcc_lo, 0, v122
	v_cndmask_b32_e64 v125, v122, -v122, vcc_lo
	v_cmp_gt_f32_e32 vcc_lo, 0, v123
	v_cndmask_b32_e64 v127, v123, -v123, vcc_lo
	s_delay_alu instid0(VALU_DEP_1) | instskip(NEXT) | instid1(VALU_DEP_1)
	v_pk_add_f32 v[124:125], v[124:125], v[126:127]
	v_cmp_lt_f32_e32 vcc_lo, v124, v125
	v_dual_add_nc_u32 v113, 8, v113 :: v_dual_cndmask_b32 v115, v115, v123, vcc_lo
	v_cndmask_b32_e32 v114, v114, v122, vcc_lo
	v_cndmask_b32_e64 v112, v112, s0, vcc_lo
	s_add_co_i32 s0, s0, 1
	s_delay_alu instid0(SALU_CYCLE_1)
	s_cmp_lg_u32 s18, s0
	s_cbranch_scc1 .LBB104_316
.LBB104_317:
	s_wait_dscnt 0x0
	v_cmp_eq_f32_e32 vcc_lo, 0, v114
	v_cmp_eq_f32_e64 s0, 0, v115
	s_and_b32 s0, vcc_lo, s0
	s_delay_alu instid0(SALU_CYCLE_1) | instskip(NEXT) | instid1(SALU_CYCLE_1)
	s_and_saveexec_b32 s1, s0
	s_xor_b32 s0, exec_lo, s1
; %bb.318:
	v_cmp_ne_u32_e32 vcc_lo, 0, v118
	v_cndmask_b32_e32 v118, 16, v118, vcc_lo
; %bb.319:
	s_and_not1_saveexec_b32 s0, s0
	s_cbranch_execz .LBB104_325
; %bb.320:
	v_cmp_ngt_f32_e64 s1, |v114|, |v115|
	s_and_saveexec_b32 s12, s1
	s_delay_alu instid0(SALU_CYCLE_1)
	s_xor_b32 s1, exec_lo, s12
	s_cbranch_execz .LBB104_322
; %bb.321:
	v_div_scale_f32 v113, null, v115, v115, v114
	v_div_scale_f32 v123, vcc_lo, v114, v115, v114
	s_delay_alu instid0(VALU_DEP_2) | instskip(SKIP_1) | instid1(TRANS32_DEP_1)
	v_rcp_f32_e32 v121, v113
	v_nop
	v_fma_f32 v122, -v113, v121, 1.0
	s_delay_alu instid0(VALU_DEP_1) | instskip(NEXT) | instid1(VALU_DEP_1)
	v_fmac_f32_e32 v121, v122, v121
	v_mul_f32_e32 v122, v123, v121
	s_delay_alu instid0(VALU_DEP_1) | instskip(NEXT) | instid1(VALU_DEP_1)
	v_fma_f32 v124, -v113, v122, v123
	v_fmac_f32_e32 v122, v124, v121
	s_delay_alu instid0(VALU_DEP_1) | instskip(NEXT) | instid1(VALU_DEP_1)
	v_fma_f32 v113, -v113, v122, v123
	v_div_fmas_f32 v113, v113, v121, v122
	s_delay_alu instid0(VALU_DEP_1) | instskip(NEXT) | instid1(VALU_DEP_1)
	v_div_fixup_f32 v113, v113, v115, v114
	v_fmac_f32_e32 v115, v114, v113
	s_delay_alu instid0(VALU_DEP_1) | instskip(SKIP_1) | instid1(VALU_DEP_2)
	v_div_scale_f32 v114, null, v115, v115, 1.0
	v_div_scale_f32 v123, vcc_lo, 1.0, v115, 1.0
	v_rcp_f32_e32 v121, v114
	v_nop
	s_delay_alu instid0(TRANS32_DEP_1) | instskip(NEXT) | instid1(VALU_DEP_1)
	v_fma_f32 v122, -v114, v121, 1.0
	v_fmac_f32_e32 v121, v122, v121
	s_delay_alu instid0(VALU_DEP_1) | instskip(NEXT) | instid1(VALU_DEP_1)
	v_mul_f32_e32 v122, v123, v121
	v_fma_f32 v124, -v114, v122, v123
	s_delay_alu instid0(VALU_DEP_1) | instskip(NEXT) | instid1(VALU_DEP_1)
	v_fmac_f32_e32 v122, v124, v121
	v_fma_f32 v114, -v114, v122, v123
	s_delay_alu instid0(VALU_DEP_1) | instskip(NEXT) | instid1(VALU_DEP_1)
	v_div_fmas_f32 v114, v114, v121, v122
	v_div_fixup_f32 v115, v114, v115, 1.0
	s_delay_alu instid0(VALU_DEP_1)
	v_mul_f32_e32 v114, v113, v115
	v_xor_b32_e32 v115, 0x80000000, v115
.LBB104_322:
	s_and_not1_saveexec_b32 s1, s1
	s_cbranch_execz .LBB104_324
; %bb.323:
	s_delay_alu instid0(VALU_DEP_1) | instskip(SKIP_1) | instid1(VALU_DEP_2)
	v_div_scale_f32 v113, null, v114, v114, v115
	v_div_scale_f32 v123, vcc_lo, v115, v114, v115
	v_rcp_f32_e32 v121, v113
	v_nop
	s_delay_alu instid0(TRANS32_DEP_1) | instskip(NEXT) | instid1(VALU_DEP_1)
	v_fma_f32 v122, -v113, v121, 1.0
	v_fmac_f32_e32 v121, v122, v121
	s_delay_alu instid0(VALU_DEP_1) | instskip(NEXT) | instid1(VALU_DEP_1)
	v_mul_f32_e32 v122, v123, v121
	v_fma_f32 v124, -v113, v122, v123
	s_delay_alu instid0(VALU_DEP_1) | instskip(NEXT) | instid1(VALU_DEP_1)
	v_fmac_f32_e32 v122, v124, v121
	v_fma_f32 v113, -v113, v122, v123
	s_delay_alu instid0(VALU_DEP_1) | instskip(NEXT) | instid1(VALU_DEP_1)
	v_div_fmas_f32 v113, v113, v121, v122
	v_div_fixup_f32 v113, v113, v114, v115
	s_delay_alu instid0(VALU_DEP_1) | instskip(NEXT) | instid1(VALU_DEP_1)
	v_fmac_f32_e32 v114, v115, v113
	v_div_scale_f32 v115, null, v114, v114, 1.0
	s_delay_alu instid0(VALU_DEP_1) | instskip(SKIP_1) | instid1(TRANS32_DEP_1)
	v_rcp_f32_e32 v121, v115
	v_nop
	v_fma_f32 v122, -v115, v121, 1.0
	s_delay_alu instid0(VALU_DEP_1) | instskip(SKIP_1) | instid1(VALU_DEP_1)
	v_fmac_f32_e32 v121, v122, v121
	v_div_scale_f32 v122, vcc_lo, 1.0, v114, 1.0
	v_mul_f32_e32 v123, v122, v121
	s_delay_alu instid0(VALU_DEP_1) | instskip(NEXT) | instid1(VALU_DEP_1)
	v_fma_f32 v124, -v115, v123, v122
	v_fmac_f32_e32 v123, v124, v121
	s_delay_alu instid0(VALU_DEP_1) | instskip(NEXT) | instid1(VALU_DEP_1)
	v_fma_f32 v115, -v115, v123, v122
	v_div_fmas_f32 v115, v115, v121, v123
	s_delay_alu instid0(VALU_DEP_1) | instskip(NEXT) | instid1(VALU_DEP_1)
	v_div_fixup_f32 v114, v115, v114, 1.0
	v_mul_f32_e64 v115, v113, -v114
.LBB104_324:
	s_or_b32 exec_lo, exec_lo, s1
.LBB104_325:
	s_delay_alu instid0(SALU_CYCLE_1) | instskip(NEXT) | instid1(SALU_CYCLE_1)
	s_or_b32 exec_lo, exec_lo, s0
	s_mov_b32 s0, exec_lo
	v_cmpx_ne_u32_e64 v120, v112
	s_xor_b32 s0, exec_lo, s0
	s_cbranch_execz .LBB104_331
; %bb.326:
	s_mov_b32 s1, exec_lo
	v_cmpx_eq_u32_e32 15, v120
	s_cbranch_execz .LBB104_330
; %bb.327:
	v_cmp_ne_u32_e32 vcc_lo, 15, v112
	s_xor_b32 s12, s16, -1
	s_delay_alu instid0(SALU_CYCLE_1) | instskip(NEXT) | instid1(SALU_CYCLE_1)
	s_and_b32 s13, s12, vcc_lo
	s_and_saveexec_b32 s12, s13
	s_cbranch_execz .LBB104_329
; %bb.328:
	v_ashrrev_i32_e32 v113, 31, v112
	s_delay_alu instid0(VALU_DEP_1)
	v_lshl_add_u64 v[120:121], v[112:113], 2, v[4:5]
	s_clause 0x1
	global_load_b32 v113, v[120:121], off
	global_load_b32 v119, v[4:5], off offset:60
	s_wait_loadcnt 0x1
	global_store_b32 v[4:5], v113, off offset:60
	s_wait_loadcnt 0x0
	global_store_b32 v[120:121], v119, off
.LBB104_329:
	s_wait_xcnt 0x0
	s_or_b32 exec_lo, exec_lo, s12
	v_dual_mov_b32 v120, v112 :: v_dual_mov_b32 v119, v112
.LBB104_330:
	s_or_b32 exec_lo, exec_lo, s1
.LBB104_331:
	s_and_not1_saveexec_b32 s0, s0
	s_cbranch_execz .LBB104_333
; %bb.332:
	v_dual_mov_b32 v112, v84 :: v_dual_mov_b32 v113, v85
	v_dual_mov_b32 v120, v80 :: v_dual_mov_b32 v121, v81
	;; [unrolled: 1-line block ×4, first 2 shown]
	ds_store_2addr_b64 v116, v[112:113], v[120:121] offset0:16 offset1:17
	ds_store_2addr_b64 v116, v[122:123], v[124:125] offset0:18 offset1:19
	v_dual_mov_b32 v112, v76 :: v_dual_mov_b32 v113, v77
	v_dual_mov_b32 v120, v72 :: v_dual_mov_b32 v121, v73
	;; [unrolled: 1-line block ×12, first 2 shown]
	ds_store_2addr_b64 v116, v[112:113], v[120:121] offset0:20 offset1:21
	ds_store_2addr_b64 v116, v[122:123], v[124:125] offset0:22 offset1:23
	;; [unrolled: 1-line block ×6, first 2 shown]
	v_dual_mov_b32 v112, v44 :: v_dual_mov_b32 v113, v45
	v_dual_mov_b32 v120, v40 :: v_dual_mov_b32 v121, v41
	;; [unrolled: 1-line block ×12, first 2 shown]
	ds_store_2addr_b64 v116, v[112:113], v[120:121] offset0:32 offset1:33
	ds_store_2addr_b64 v116, v[122:123], v[124:125] offset0:34 offset1:35
	;; [unrolled: 1-line block ×6, first 2 shown]
	v_dual_mov_b32 v112, v14 :: v_dual_mov_b32 v113, v15
	v_dual_mov_b32 v122, v10 :: v_dual_mov_b32 v123, v11
	;; [unrolled: 1-line block ×8, first 2 shown]
	v_mov_b32_e32 v135, v17
	ds_store_2addr_b64 v116, v[112:113], v[122:123] offset0:44 offset1:45
	ds_store_2addr_b64 v116, v[124:125], v[126:127] offset0:46 offset1:47
	;; [unrolled: 1-line block ×4, first 2 shown]
	ds_store_b64 v116, v[110:111] offset:416
.LBB104_333:
	s_or_b32 exec_lo, exec_lo, s0
	s_delay_alu instid0(SALU_CYCLE_1)
	s_mov_b32 s0, exec_lo
	s_wait_storecnt_dscnt 0x0
	s_barrier_signal -1
	s_barrier_wait -1
	v_cmpx_lt_i32_e32 15, v120
	s_cbranch_execz .LBB104_335
; %bb.334:
	v_pk_mul_f32 v[122:123], v[114:115], v[86:87] op_sel:[1,1] op_sel_hi:[0,1]
	s_delay_alu instid0(VALU_DEP_1)
	v_pk_fma_f32 v[112:113], v[114:115], v[86:87], v[122:123] op_sel_hi:[1,0,1] neg_lo:[0,0,1] neg_hi:[0,0,1]
	v_pk_fma_f32 v[114:115], v[114:115], v[86:87], v[122:123] op_sel_hi:[1,0,1]
	ds_load_2addr_b64 v[122:125], v116 offset0:16 offset1:17
	v_dual_mov_b32 v86, v112 :: v_dual_mov_b32 v87, v115
	s_wait_dscnt 0x0
	v_pk_mul_f32 v[126:127], v[122:123], v[114:115] op_sel:[0,1]
	s_delay_alu instid0(VALU_DEP_1) | instskip(SKIP_1) | instid1(VALU_DEP_1)
	v_pk_fma_f32 v[128:129], v[122:123], v[112:113], v[126:127] op_sel:[0,0,1] op_sel_hi:[1,1,0] neg_lo:[0,0,1] neg_hi:[0,0,1]
	v_pk_fma_f32 v[122:123], v[122:123], v[112:113], v[126:127] op_sel:[0,0,1] op_sel_hi:[1,0,0]
	v_mov_b32_e32 v129, v123
	v_pk_mul_f32 v[122:123], v[124:125], v[114:115] op_sel:[0,1]
	s_delay_alu instid0(VALU_DEP_1) | instskip(SKIP_1) | instid1(VALU_DEP_1)
	v_pk_fma_f32 v[126:127], v[124:125], v[112:113], v[122:123] op_sel:[0,0,1] op_sel_hi:[1,1,0] neg_lo:[0,0,1] neg_hi:[0,0,1]
	v_pk_fma_f32 v[122:123], v[124:125], v[112:113], v[122:123] op_sel:[0,0,1] op_sel_hi:[1,0,0]
	v_mov_b32_e32 v127, v123
	ds_load_2addr_b64 v[122:125], v116 offset0:18 offset1:19
	v_pk_add_f32 v[84:85], v[84:85], v[128:129] neg_lo:[0,1] neg_hi:[0,1]
	v_pk_add_f32 v[80:81], v[80:81], v[126:127] neg_lo:[0,1] neg_hi:[0,1]
	s_wait_dscnt 0x0
	v_pk_mul_f32 v[126:127], v[122:123], v[114:115] op_sel:[0,1]
	s_delay_alu instid0(VALU_DEP_1) | instskip(SKIP_2) | instid1(VALU_DEP_2)
	v_pk_fma_f32 v[128:129], v[122:123], v[112:113], v[126:127] op_sel:[0,0,1] op_sel_hi:[1,1,0] neg_lo:[0,0,1] neg_hi:[0,0,1]
	v_pk_fma_f32 v[122:123], v[122:123], v[112:113], v[126:127] op_sel:[0,0,1] op_sel_hi:[1,0,0]
	v_dual_mul_f32 v126, v125, v115 :: v_dual_mov_b32 v122, v125
	v_dual_mov_b32 v129, v123 :: v_dual_mov_b32 v123, v124
	s_delay_alu instid0(VALU_DEP_2) | instskip(SKIP_1) | instid1(VALU_DEP_3)
	v_pk_fma_f32 v[126:127], v[124:125], v[86:87], v[126:127] op_sel_hi:[1,1,0] neg_lo:[0,0,1] neg_hi:[0,0,1]
	v_mul_f32_e32 v124, v125, v112
	v_pk_add_f32 v[82:83], v[82:83], v[128:129] neg_lo:[0,1] neg_hi:[0,1]
	s_delay_alu instid0(VALU_DEP_2) | instskip(NEXT) | instid1(VALU_DEP_1)
	v_pk_fma_f32 v[122:123], v[122:123], v[86:87], v[124:125] op_sel_hi:[1,1,0]
	v_mov_b32_e32 v127, v123
	ds_load_2addr_b64 v[122:125], v116 offset0:20 offset1:21
	v_pk_add_f32 v[78:79], v[78:79], v[126:127] neg_lo:[0,1] neg_hi:[0,1]
	s_wait_dscnt 0x0
	v_pk_mul_f32 v[126:127], v[122:123], v[114:115] op_sel:[0,1]
	s_delay_alu instid0(VALU_DEP_1) | instskip(SKIP_1) | instid1(VALU_DEP_1)
	v_pk_fma_f32 v[128:129], v[122:123], v[112:113], v[126:127] op_sel:[0,0,1] op_sel_hi:[1,1,0] neg_lo:[0,0,1] neg_hi:[0,0,1]
	v_pk_fma_f32 v[122:123], v[122:123], v[112:113], v[126:127] op_sel:[0,0,1] op_sel_hi:[1,0,0]
	v_mov_b32_e32 v129, v123
	v_pk_mul_f32 v[122:123], v[124:125], v[114:115] op_sel:[0,1]
	s_delay_alu instid0(VALU_DEP_1) | instskip(SKIP_1) | instid1(VALU_DEP_1)
	v_pk_fma_f32 v[126:127], v[124:125], v[112:113], v[122:123] op_sel:[0,0,1] op_sel_hi:[1,1,0] neg_lo:[0,0,1] neg_hi:[0,0,1]
	v_pk_fma_f32 v[122:123], v[124:125], v[112:113], v[122:123] op_sel:[0,0,1] op_sel_hi:[1,0,0]
	v_mov_b32_e32 v127, v123
	ds_load_2addr_b64 v[122:125], v116 offset0:22 offset1:23
	v_pk_add_f32 v[76:77], v[76:77], v[128:129] neg_lo:[0,1] neg_hi:[0,1]
	v_pk_add_f32 v[72:73], v[72:73], v[126:127] neg_lo:[0,1] neg_hi:[0,1]
	s_wait_dscnt 0x0
	v_pk_mul_f32 v[126:127], v[122:123], v[114:115] op_sel:[0,1]
	s_delay_alu instid0(VALU_DEP_1) | instskip(SKIP_1) | instid1(VALU_DEP_1)
	v_pk_fma_f32 v[128:129], v[122:123], v[112:113], v[126:127] op_sel:[0,0,1] op_sel_hi:[1,1,0] neg_lo:[0,0,1] neg_hi:[0,0,1]
	v_pk_fma_f32 v[122:123], v[122:123], v[112:113], v[126:127] op_sel:[0,0,1] op_sel_hi:[1,0,0]
	v_mov_b32_e32 v129, v123
	v_pk_mul_f32 v[122:123], v[124:125], v[114:115] op_sel:[0,1]
	s_delay_alu instid0(VALU_DEP_1) | instskip(SKIP_1) | instid1(VALU_DEP_1)
	v_pk_fma_f32 v[126:127], v[124:125], v[112:113], v[122:123] op_sel:[0,0,1] op_sel_hi:[1,1,0] neg_lo:[0,0,1] neg_hi:[0,0,1]
	v_pk_fma_f32 v[122:123], v[124:125], v[112:113], v[122:123] op_sel:[0,0,1] op_sel_hi:[1,0,0]
	v_mov_b32_e32 v127, v123
	ds_load_2addr_b64 v[122:125], v116 offset0:24 offset1:25
	v_pk_add_f32 v[74:75], v[74:75], v[128:129] neg_lo:[0,1] neg_hi:[0,1]
	v_pk_add_f32 v[70:71], v[70:71], v[126:127] neg_lo:[0,1] neg_hi:[0,1]
	s_wait_dscnt 0x0
	v_dual_mul_f32 v126, v123, v115 :: v_dual_mul_f32 v128, v123, v112
	s_delay_alu instid0(VALU_DEP_1) | instskip(NEXT) | instid1(VALU_DEP_2)
	v_pk_fma_f32 v[126:127], v[122:123], v[86:87], v[126:127] op_sel_hi:[1,1,0] neg_lo:[0,0,1] neg_hi:[0,0,1]
	v_pk_fma_f32 v[122:123], v[122:123], v[86:87], v[128:129] op_sel:[1,0,0] op_sel_hi:[0,1,0]
	s_delay_alu instid0(VALU_DEP_1) | instskip(SKIP_1) | instid1(VALU_DEP_2)
	v_mov_b32_e32 v127, v123
	v_pk_mul_f32 v[122:123], v[124:125], v[114:115] op_sel:[0,1]
	v_pk_add_f32 v[68:69], v[68:69], v[126:127] neg_lo:[0,1] neg_hi:[0,1]
	s_delay_alu instid0(VALU_DEP_2) | instskip(SKIP_1) | instid1(VALU_DEP_1)
	v_pk_fma_f32 v[126:127], v[124:125], v[112:113], v[122:123] op_sel:[0,0,1] op_sel_hi:[1,1,0] neg_lo:[0,0,1] neg_hi:[0,0,1]
	v_pk_fma_f32 v[122:123], v[124:125], v[112:113], v[122:123] op_sel:[0,0,1] op_sel_hi:[1,0,0]
	v_mov_b32_e32 v127, v123
	ds_load_2addr_b64 v[122:125], v116 offset0:26 offset1:27
	v_pk_add_f32 v[64:65], v[64:65], v[126:127] neg_lo:[0,1] neg_hi:[0,1]
	s_wait_dscnt 0x0
	v_pk_mul_f32 v[126:127], v[122:123], v[114:115] op_sel:[0,1]
	s_delay_alu instid0(VALU_DEP_1) | instskip(SKIP_1) | instid1(VALU_DEP_1)
	v_pk_fma_f32 v[128:129], v[122:123], v[112:113], v[126:127] op_sel:[0,0,1] op_sel_hi:[1,1,0] neg_lo:[0,0,1] neg_hi:[0,0,1]
	v_pk_fma_f32 v[122:123], v[122:123], v[112:113], v[126:127] op_sel:[0,0,1] op_sel_hi:[1,0,0]
	v_mov_b32_e32 v129, v123
	v_pk_mul_f32 v[122:123], v[124:125], v[114:115] op_sel:[0,1]
	s_delay_alu instid0(VALU_DEP_2) | instskip(NEXT) | instid1(VALU_DEP_2)
	v_pk_add_f32 v[66:67], v[66:67], v[128:129] neg_lo:[0,1] neg_hi:[0,1]
	v_pk_fma_f32 v[126:127], v[124:125], v[112:113], v[122:123] op_sel:[0,0,1] op_sel_hi:[1,1,0] neg_lo:[0,0,1] neg_hi:[0,0,1]
	v_pk_fma_f32 v[122:123], v[124:125], v[112:113], v[122:123] op_sel:[0,0,1] op_sel_hi:[1,0,0]
	s_delay_alu instid0(VALU_DEP_1) | instskip(SKIP_4) | instid1(VALU_DEP_1)
	v_mov_b32_e32 v127, v123
	ds_load_2addr_b64 v[122:125], v116 offset0:28 offset1:29
	v_pk_add_f32 v[62:63], v[62:63], v[126:127] neg_lo:[0,1] neg_hi:[0,1]
	s_wait_dscnt 0x0
	v_pk_mul_f32 v[126:127], v[122:123], v[114:115] op_sel:[0,1]
	v_pk_fma_f32 v[128:129], v[122:123], v[112:113], v[126:127] op_sel:[0,0,1] op_sel_hi:[1,1,0] neg_lo:[0,0,1] neg_hi:[0,0,1]
	v_pk_fma_f32 v[122:123], v[122:123], v[112:113], v[126:127] op_sel:[0,0,1] op_sel_hi:[1,0,0]
	v_dual_mul_f32 v126, v125, v115 :: v_dual_mov_b32 v122, v125
	s_delay_alu instid0(VALU_DEP_2) | instskip(NEXT) | instid1(VALU_DEP_2)
	v_dual_mov_b32 v129, v123 :: v_dual_mov_b32 v123, v124
	v_pk_fma_f32 v[126:127], v[124:125], v[86:87], v[126:127] op_sel_hi:[1,1,0] neg_lo:[0,0,1] neg_hi:[0,0,1]
	v_mul_f32_e32 v124, v125, v112
	s_delay_alu instid0(VALU_DEP_3) | instskip(NEXT) | instid1(VALU_DEP_2)
	v_pk_add_f32 v[52:53], v[52:53], v[128:129] neg_lo:[0,1] neg_hi:[0,1]
	v_pk_fma_f32 v[122:123], v[122:123], v[86:87], v[124:125] op_sel_hi:[1,1,0]
	s_delay_alu instid0(VALU_DEP_1) | instskip(SKIP_4) | instid1(VALU_DEP_1)
	v_mov_b32_e32 v127, v123
	ds_load_2addr_b64 v[122:125], v116 offset0:30 offset1:31
	v_pk_add_f32 v[48:49], v[48:49], v[126:127] neg_lo:[0,1] neg_hi:[0,1]
	s_wait_dscnt 0x0
	v_pk_mul_f32 v[126:127], v[122:123], v[114:115] op_sel:[0,1]
	v_pk_fma_f32 v[128:129], v[122:123], v[112:113], v[126:127] op_sel:[0,0,1] op_sel_hi:[1,1,0] neg_lo:[0,0,1] neg_hi:[0,0,1]
	v_pk_fma_f32 v[122:123], v[122:123], v[112:113], v[126:127] op_sel:[0,0,1] op_sel_hi:[1,0,0]
	s_delay_alu instid0(VALU_DEP_1) | instskip(SKIP_1) | instid1(VALU_DEP_1)
	v_mov_b32_e32 v129, v123
	v_pk_mul_f32 v[122:123], v[124:125], v[114:115] op_sel:[0,1]
	v_pk_fma_f32 v[126:127], v[124:125], v[112:113], v[122:123] op_sel:[0,0,1] op_sel_hi:[1,1,0] neg_lo:[0,0,1] neg_hi:[0,0,1]
	v_pk_fma_f32 v[122:123], v[124:125], v[112:113], v[122:123] op_sel:[0,0,1] op_sel_hi:[1,0,0]
	s_delay_alu instid0(VALU_DEP_1)
	v_mov_b32_e32 v127, v123
	ds_load_2addr_b64 v[122:125], v116 offset0:32 offset1:33
	v_pk_add_f32 v[50:51], v[50:51], v[128:129] neg_lo:[0,1] neg_hi:[0,1]
	v_pk_add_f32 v[46:47], v[46:47], v[126:127] neg_lo:[0,1] neg_hi:[0,1]
	s_wait_dscnt 0x0
	v_pk_mul_f32 v[126:127], v[122:123], v[114:115] op_sel:[0,1]
	s_delay_alu instid0(VALU_DEP_1) | instskip(SKIP_1) | instid1(VALU_DEP_1)
	v_pk_fma_f32 v[128:129], v[122:123], v[112:113], v[126:127] op_sel:[0,0,1] op_sel_hi:[1,1,0] neg_lo:[0,0,1] neg_hi:[0,0,1]
	v_pk_fma_f32 v[122:123], v[122:123], v[112:113], v[126:127] op_sel:[0,0,1] op_sel_hi:[1,0,0]
	v_mov_b32_e32 v129, v123
	v_pk_mul_f32 v[122:123], v[124:125], v[114:115] op_sel:[0,1]
	s_delay_alu instid0(VALU_DEP_1) | instskip(SKIP_1) | instid1(VALU_DEP_1)
	v_pk_fma_f32 v[126:127], v[124:125], v[112:113], v[122:123] op_sel:[0,0,1] op_sel_hi:[1,1,0] neg_lo:[0,0,1] neg_hi:[0,0,1]
	v_pk_fma_f32 v[122:123], v[124:125], v[112:113], v[122:123] op_sel:[0,0,1] op_sel_hi:[1,0,0]
	v_mov_b32_e32 v127, v123
	ds_load_2addr_b64 v[122:125], v116 offset0:34 offset1:35
	v_pk_add_f32 v[44:45], v[44:45], v[128:129] neg_lo:[0,1] neg_hi:[0,1]
	v_pk_add_f32 v[40:41], v[40:41], v[126:127] neg_lo:[0,1] neg_hi:[0,1]
	s_wait_dscnt 0x0
	v_dual_mul_f32 v126, v123, v115 :: v_dual_mul_f32 v128, v123, v112
	s_delay_alu instid0(VALU_DEP_1) | instskip(NEXT) | instid1(VALU_DEP_2)
	v_pk_fma_f32 v[126:127], v[122:123], v[86:87], v[126:127] op_sel_hi:[1,1,0] neg_lo:[0,0,1] neg_hi:[0,0,1]
	v_pk_fma_f32 v[122:123], v[122:123], v[86:87], v[128:129] op_sel:[1,0,0] op_sel_hi:[0,1,0]
	s_delay_alu instid0(VALU_DEP_1) | instskip(SKIP_1) | instid1(VALU_DEP_2)
	v_mov_b32_e32 v127, v123
	v_pk_mul_f32 v[122:123], v[124:125], v[114:115] op_sel:[0,1]
	v_pk_add_f32 v[42:43], v[42:43], v[126:127] neg_lo:[0,1] neg_hi:[0,1]
	s_delay_alu instid0(VALU_DEP_2) | instskip(SKIP_1) | instid1(VALU_DEP_1)
	v_pk_fma_f32 v[126:127], v[124:125], v[112:113], v[122:123] op_sel:[0,0,1] op_sel_hi:[1,1,0] neg_lo:[0,0,1] neg_hi:[0,0,1]
	v_pk_fma_f32 v[122:123], v[124:125], v[112:113], v[122:123] op_sel:[0,0,1] op_sel_hi:[1,0,0]
	v_mov_b32_e32 v127, v123
	ds_load_2addr_b64 v[122:125], v116 offset0:36 offset1:37
	v_pk_add_f32 v[38:39], v[38:39], v[126:127] neg_lo:[0,1] neg_hi:[0,1]
	s_wait_dscnt 0x0
	v_pk_mul_f32 v[126:127], v[122:123], v[114:115] op_sel:[0,1]
	s_delay_alu instid0(VALU_DEP_1) | instskip(SKIP_1) | instid1(VALU_DEP_1)
	v_pk_fma_f32 v[128:129], v[122:123], v[112:113], v[126:127] op_sel:[0,0,1] op_sel_hi:[1,1,0] neg_lo:[0,0,1] neg_hi:[0,0,1]
	v_pk_fma_f32 v[122:123], v[122:123], v[112:113], v[126:127] op_sel:[0,0,1] op_sel_hi:[1,0,0]
	v_mov_b32_e32 v129, v123
	v_pk_mul_f32 v[122:123], v[124:125], v[114:115] op_sel:[0,1]
	s_delay_alu instid0(VALU_DEP_2) | instskip(NEXT) | instid1(VALU_DEP_2)
	v_pk_add_f32 v[36:37], v[36:37], v[128:129] neg_lo:[0,1] neg_hi:[0,1]
	v_pk_fma_f32 v[126:127], v[124:125], v[112:113], v[122:123] op_sel:[0,0,1] op_sel_hi:[1,1,0] neg_lo:[0,0,1] neg_hi:[0,0,1]
	v_pk_fma_f32 v[122:123], v[124:125], v[112:113], v[122:123] op_sel:[0,0,1] op_sel_hi:[1,0,0]
	s_delay_alu instid0(VALU_DEP_1) | instskip(SKIP_4) | instid1(VALU_DEP_1)
	v_mov_b32_e32 v127, v123
	ds_load_2addr_b64 v[122:125], v116 offset0:38 offset1:39
	v_pk_add_f32 v[32:33], v[32:33], v[126:127] neg_lo:[0,1] neg_hi:[0,1]
	s_wait_dscnt 0x0
	v_pk_mul_f32 v[126:127], v[122:123], v[114:115] op_sel:[0,1]
	v_pk_fma_f32 v[128:129], v[122:123], v[112:113], v[126:127] op_sel:[0,0,1] op_sel_hi:[1,1,0] neg_lo:[0,0,1] neg_hi:[0,0,1]
	v_pk_fma_f32 v[122:123], v[122:123], v[112:113], v[126:127] op_sel:[0,0,1] op_sel_hi:[1,0,0]
	v_dual_mul_f32 v126, v125, v115 :: v_dual_mov_b32 v122, v125
	s_delay_alu instid0(VALU_DEP_2) | instskip(NEXT) | instid1(VALU_DEP_2)
	v_dual_mov_b32 v129, v123 :: v_dual_mov_b32 v123, v124
	v_pk_fma_f32 v[126:127], v[124:125], v[86:87], v[126:127] op_sel_hi:[1,1,0] neg_lo:[0,0,1] neg_hi:[0,0,1]
	v_mul_f32_e32 v124, v125, v112
	s_delay_alu instid0(VALU_DEP_3) | instskip(NEXT) | instid1(VALU_DEP_2)
	v_pk_add_f32 v[34:35], v[34:35], v[128:129] neg_lo:[0,1] neg_hi:[0,1]
	v_pk_fma_f32 v[122:123], v[122:123], v[86:87], v[124:125] op_sel_hi:[1,1,0]
	s_delay_alu instid0(VALU_DEP_1) | instskip(SKIP_4) | instid1(VALU_DEP_1)
	v_mov_b32_e32 v127, v123
	ds_load_2addr_b64 v[122:125], v116 offset0:40 offset1:41
	v_pk_add_f32 v[30:31], v[30:31], v[126:127] neg_lo:[0,1] neg_hi:[0,1]
	s_wait_dscnt 0x0
	v_pk_mul_f32 v[126:127], v[122:123], v[114:115] op_sel:[0,1]
	v_pk_fma_f32 v[128:129], v[122:123], v[112:113], v[126:127] op_sel:[0,0,1] op_sel_hi:[1,1,0] neg_lo:[0,0,1] neg_hi:[0,0,1]
	v_pk_fma_f32 v[122:123], v[122:123], v[112:113], v[126:127] op_sel:[0,0,1] op_sel_hi:[1,0,0]
	s_delay_alu instid0(VALU_DEP_1) | instskip(SKIP_1) | instid1(VALU_DEP_1)
	v_mov_b32_e32 v129, v123
	v_pk_mul_f32 v[122:123], v[124:125], v[114:115] op_sel:[0,1]
	v_pk_fma_f32 v[126:127], v[124:125], v[112:113], v[122:123] op_sel:[0,0,1] op_sel_hi:[1,1,0] neg_lo:[0,0,1] neg_hi:[0,0,1]
	v_pk_fma_f32 v[122:123], v[124:125], v[112:113], v[122:123] op_sel:[0,0,1] op_sel_hi:[1,0,0]
	s_delay_alu instid0(VALU_DEP_1)
	v_mov_b32_e32 v127, v123
	ds_load_2addr_b64 v[122:125], v116 offset0:42 offset1:43
	v_pk_add_f32 v[26:27], v[26:27], v[128:129] neg_lo:[0,1] neg_hi:[0,1]
	v_pk_add_f32 v[22:23], v[22:23], v[126:127] neg_lo:[0,1] neg_hi:[0,1]
	s_wait_dscnt 0x0
	v_pk_mul_f32 v[126:127], v[122:123], v[114:115] op_sel:[0,1]
	s_delay_alu instid0(VALU_DEP_1) | instskip(SKIP_1) | instid1(VALU_DEP_1)
	v_pk_fma_f32 v[128:129], v[122:123], v[112:113], v[126:127] op_sel:[0,0,1] op_sel_hi:[1,1,0] neg_lo:[0,0,1] neg_hi:[0,0,1]
	v_pk_fma_f32 v[122:123], v[122:123], v[112:113], v[126:127] op_sel:[0,0,1] op_sel_hi:[1,0,0]
	v_mov_b32_e32 v129, v123
	v_pk_mul_f32 v[122:123], v[124:125], v[114:115] op_sel:[0,1]
	s_delay_alu instid0(VALU_DEP_1) | instskip(SKIP_1) | instid1(VALU_DEP_1)
	v_pk_fma_f32 v[126:127], v[124:125], v[112:113], v[122:123] op_sel:[0,0,1] op_sel_hi:[1,1,0] neg_lo:[0,0,1] neg_hi:[0,0,1]
	v_pk_fma_f32 v[122:123], v[124:125], v[112:113], v[122:123] op_sel:[0,0,1] op_sel_hi:[1,0,0]
	v_mov_b32_e32 v127, v123
	ds_load_2addr_b64 v[122:125], v116 offset0:44 offset1:45
	v_pk_add_f32 v[24:25], v[24:25], v[128:129] neg_lo:[0,1] neg_hi:[0,1]
	v_pk_add_f32 v[20:21], v[20:21], v[126:127] neg_lo:[0,1] neg_hi:[0,1]
	s_wait_dscnt 0x0
	v_dual_mul_f32 v126, v123, v115 :: v_dual_mul_f32 v128, v123, v112
	s_delay_alu instid0(VALU_DEP_1) | instskip(NEXT) | instid1(VALU_DEP_2)
	v_pk_fma_f32 v[126:127], v[122:123], v[86:87], v[126:127] op_sel_hi:[1,1,0] neg_lo:[0,0,1] neg_hi:[0,0,1]
	v_pk_fma_f32 v[122:123], v[122:123], v[86:87], v[128:129] op_sel:[1,0,0] op_sel_hi:[0,1,0]
	s_delay_alu instid0(VALU_DEP_1) | instskip(SKIP_1) | instid1(VALU_DEP_2)
	v_mov_b32_e32 v127, v123
	v_pk_mul_f32 v[122:123], v[124:125], v[114:115] op_sel:[0,1]
	v_pk_add_f32 v[14:15], v[14:15], v[126:127] neg_lo:[0,1] neg_hi:[0,1]
	s_delay_alu instid0(VALU_DEP_2) | instskip(SKIP_1) | instid1(VALU_DEP_1)
	v_pk_fma_f32 v[126:127], v[124:125], v[112:113], v[122:123] op_sel:[0,0,1] op_sel_hi:[1,1,0] neg_lo:[0,0,1] neg_hi:[0,0,1]
	v_pk_fma_f32 v[122:123], v[124:125], v[112:113], v[122:123] op_sel:[0,0,1] op_sel_hi:[1,0,0]
	v_mov_b32_e32 v127, v123
	ds_load_2addr_b64 v[122:125], v116 offset0:46 offset1:47
	v_pk_add_f32 v[10:11], v[10:11], v[126:127] neg_lo:[0,1] neg_hi:[0,1]
	s_wait_dscnt 0x0
	v_pk_mul_f32 v[126:127], v[122:123], v[114:115] op_sel:[0,1]
	s_delay_alu instid0(VALU_DEP_1) | instskip(SKIP_1) | instid1(VALU_DEP_1)
	v_pk_fma_f32 v[128:129], v[122:123], v[112:113], v[126:127] op_sel:[0,0,1] op_sel_hi:[1,1,0] neg_lo:[0,0,1] neg_hi:[0,0,1]
	v_pk_fma_f32 v[122:123], v[122:123], v[112:113], v[126:127] op_sel:[0,0,1] op_sel_hi:[1,0,0]
	v_mov_b32_e32 v129, v123
	v_pk_mul_f32 v[122:123], v[124:125], v[114:115] op_sel:[0,1]
	s_delay_alu instid0(VALU_DEP_2) | instskip(NEXT) | instid1(VALU_DEP_2)
	v_pk_add_f32 v[12:13], v[12:13], v[128:129] neg_lo:[0,1] neg_hi:[0,1]
	v_pk_fma_f32 v[126:127], v[124:125], v[112:113], v[122:123] op_sel:[0,0,1] op_sel_hi:[1,1,0] neg_lo:[0,0,1] neg_hi:[0,0,1]
	v_pk_fma_f32 v[122:123], v[124:125], v[112:113], v[122:123] op_sel:[0,0,1] op_sel_hi:[1,0,0]
	s_delay_alu instid0(VALU_DEP_1) | instskip(SKIP_4) | instid1(VALU_DEP_1)
	v_mov_b32_e32 v127, v123
	ds_load_2addr_b64 v[122:125], v116 offset0:48 offset1:49
	v_pk_add_f32 v[8:9], v[8:9], v[126:127] neg_lo:[0,1] neg_hi:[0,1]
	s_wait_dscnt 0x0
	v_pk_mul_f32 v[126:127], v[122:123], v[114:115] op_sel:[0,1]
	v_pk_fma_f32 v[128:129], v[122:123], v[112:113], v[126:127] op_sel:[0,0,1] op_sel_hi:[1,1,0] neg_lo:[0,0,1] neg_hi:[0,0,1]
	v_pk_fma_f32 v[122:123], v[122:123], v[112:113], v[126:127] op_sel:[0,0,1] op_sel_hi:[1,0,0]
	v_dual_mul_f32 v126, v125, v115 :: v_dual_mov_b32 v122, v125
	s_delay_alu instid0(VALU_DEP_2) | instskip(NEXT) | instid1(VALU_DEP_2)
	v_dual_mov_b32 v129, v123 :: v_dual_mov_b32 v123, v124
	v_pk_fma_f32 v[126:127], v[124:125], v[86:87], v[126:127] op_sel_hi:[1,1,0] neg_lo:[0,0,1] neg_hi:[0,0,1]
	v_mul_f32_e32 v124, v125, v112
	s_delay_alu instid0(VALU_DEP_3) | instskip(NEXT) | instid1(VALU_DEP_2)
	v_pk_add_f32 v[6:7], v[6:7], v[128:129] neg_lo:[0,1] neg_hi:[0,1]
	v_pk_fma_f32 v[122:123], v[122:123], v[86:87], v[124:125] op_sel_hi:[1,1,0]
	s_delay_alu instid0(VALU_DEP_1) | instskip(SKIP_4) | instid1(VALU_DEP_1)
	v_mov_b32_e32 v127, v123
	ds_load_2addr_b64 v[122:125], v116 offset0:50 offset1:51
	v_pk_add_f32 v[28:29], v[28:29], v[126:127] neg_lo:[0,1] neg_hi:[0,1]
	s_wait_dscnt 0x0
	v_pk_mul_f32 v[126:127], v[122:123], v[114:115] op_sel:[0,1]
	v_pk_fma_f32 v[128:129], v[122:123], v[112:113], v[126:127] op_sel:[0,0,1] op_sel_hi:[1,1,0] neg_lo:[0,0,1] neg_hi:[0,0,1]
	v_pk_fma_f32 v[122:123], v[122:123], v[112:113], v[126:127] op_sel:[0,0,1] op_sel_hi:[1,0,0]
	s_delay_alu instid0(VALU_DEP_1) | instskip(SKIP_1) | instid1(VALU_DEP_1)
	v_mov_b32_e32 v129, v123
	v_pk_mul_f32 v[122:123], v[124:125], v[114:115] op_sel:[0,1]
	v_pk_fma_f32 v[126:127], v[124:125], v[112:113], v[122:123] op_sel:[0,0,1] op_sel_hi:[1,1,0] neg_lo:[0,0,1] neg_hi:[0,0,1]
	v_pk_fma_f32 v[122:123], v[124:125], v[112:113], v[122:123] op_sel:[0,0,1] op_sel_hi:[1,0,0]
	s_delay_alu instid0(VALU_DEP_1)
	v_mov_b32_e32 v127, v123
	ds_load_b64 v[122:123], v116 offset:416
	v_pk_add_f32 v[18:19], v[18:19], v[128:129] neg_lo:[0,1] neg_hi:[0,1]
	v_pk_add_f32 v[16:17], v[16:17], v[126:127] neg_lo:[0,1] neg_hi:[0,1]
	s_wait_dscnt 0x0
	v_pk_mul_f32 v[114:115], v[122:123], v[114:115] op_sel:[0,1]
	s_delay_alu instid0(VALU_DEP_1) | instskip(SKIP_1) | instid1(VALU_DEP_1)
	v_pk_fma_f32 v[124:125], v[122:123], v[112:113], v[114:115] op_sel:[0,0,1] op_sel_hi:[1,1,0] neg_lo:[0,0,1] neg_hi:[0,0,1]
	v_pk_fma_f32 v[112:113], v[122:123], v[112:113], v[114:115] op_sel:[0,0,1] op_sel_hi:[1,0,0]
	v_mov_b32_e32 v125, v113
	s_delay_alu instid0(VALU_DEP_1)
	v_pk_add_f32 v[110:111], v[110:111], v[124:125] neg_lo:[0,1] neg_hi:[0,1]
.LBB104_335:
	s_or_b32 exec_lo, exec_lo, s0
	v_lshl_add_u32 v112, v120, 3, v116
	s_barrier_signal -1
	s_barrier_wait -1
	ds_store_b64 v112, v[84:85]
	s_wait_dscnt 0x0
	s_barrier_signal -1
	s_barrier_wait -1
	ds_load_b64 v[114:115], v116 offset:128
	v_mov_b32_e32 v112, 16
	s_cmp_lt_i32 s18, 18
	s_cbranch_scc1 .LBB104_338
; %bb.336:
	v_add3_u32 v113, v117, 0, 0x88
	v_mov_b32_e32 v112, 16
	s_mov_b32 s0, 17
.LBB104_337:                            ; =>This Inner Loop Header: Depth=1
	ds_load_b64 v[122:123], v113
	s_wait_dscnt 0x1
	v_cmp_gt_f32_e32 vcc_lo, 0, v114
	v_cndmask_b32_e64 v124, v114, -v114, vcc_lo
	v_cmp_gt_f32_e32 vcc_lo, 0, v115
	v_cndmask_b32_e64 v126, v115, -v115, vcc_lo
	s_wait_dscnt 0x0
	v_cmp_gt_f32_e32 vcc_lo, 0, v122
	v_cndmask_b32_e64 v125, v122, -v122, vcc_lo
	v_cmp_gt_f32_e32 vcc_lo, 0, v123
	v_cndmask_b32_e64 v127, v123, -v123, vcc_lo
	s_delay_alu instid0(VALU_DEP_1) | instskip(NEXT) | instid1(VALU_DEP_1)
	v_pk_add_f32 v[124:125], v[124:125], v[126:127]
	v_cmp_lt_f32_e32 vcc_lo, v124, v125
	v_dual_add_nc_u32 v113, 8, v113 :: v_dual_cndmask_b32 v115, v115, v123, vcc_lo
	v_cndmask_b32_e32 v114, v114, v122, vcc_lo
	v_cndmask_b32_e64 v112, v112, s0, vcc_lo
	s_add_co_i32 s0, s0, 1
	s_delay_alu instid0(SALU_CYCLE_1)
	s_cmp_lg_u32 s18, s0
	s_cbranch_scc1 .LBB104_337
.LBB104_338:
	s_wait_dscnt 0x0
	v_cmp_eq_f32_e32 vcc_lo, 0, v114
	v_cmp_eq_f32_e64 s0, 0, v115
	s_and_b32 s0, vcc_lo, s0
	s_delay_alu instid0(SALU_CYCLE_1) | instskip(NEXT) | instid1(SALU_CYCLE_1)
	s_and_saveexec_b32 s1, s0
	s_xor_b32 s0, exec_lo, s1
; %bb.339:
	v_cmp_ne_u32_e32 vcc_lo, 0, v118
	v_cndmask_b32_e32 v118, 17, v118, vcc_lo
; %bb.340:
	s_and_not1_saveexec_b32 s0, s0
	s_cbranch_execz .LBB104_346
; %bb.341:
	v_cmp_ngt_f32_e64 s1, |v114|, |v115|
	s_and_saveexec_b32 s12, s1
	s_delay_alu instid0(SALU_CYCLE_1)
	s_xor_b32 s1, exec_lo, s12
	s_cbranch_execz .LBB104_343
; %bb.342:
	v_div_scale_f32 v113, null, v115, v115, v114
	v_div_scale_f32 v123, vcc_lo, v114, v115, v114
	s_delay_alu instid0(VALU_DEP_2) | instskip(SKIP_1) | instid1(TRANS32_DEP_1)
	v_rcp_f32_e32 v121, v113
	v_nop
	v_fma_f32 v122, -v113, v121, 1.0
	s_delay_alu instid0(VALU_DEP_1) | instskip(NEXT) | instid1(VALU_DEP_1)
	v_fmac_f32_e32 v121, v122, v121
	v_mul_f32_e32 v122, v123, v121
	s_delay_alu instid0(VALU_DEP_1) | instskip(NEXT) | instid1(VALU_DEP_1)
	v_fma_f32 v124, -v113, v122, v123
	v_fmac_f32_e32 v122, v124, v121
	s_delay_alu instid0(VALU_DEP_1) | instskip(NEXT) | instid1(VALU_DEP_1)
	v_fma_f32 v113, -v113, v122, v123
	v_div_fmas_f32 v113, v113, v121, v122
	s_delay_alu instid0(VALU_DEP_1) | instskip(NEXT) | instid1(VALU_DEP_1)
	v_div_fixup_f32 v113, v113, v115, v114
	v_fmac_f32_e32 v115, v114, v113
	s_delay_alu instid0(VALU_DEP_1) | instskip(SKIP_1) | instid1(VALU_DEP_2)
	v_div_scale_f32 v114, null, v115, v115, 1.0
	v_div_scale_f32 v123, vcc_lo, 1.0, v115, 1.0
	v_rcp_f32_e32 v121, v114
	v_nop
	s_delay_alu instid0(TRANS32_DEP_1) | instskip(NEXT) | instid1(VALU_DEP_1)
	v_fma_f32 v122, -v114, v121, 1.0
	v_fmac_f32_e32 v121, v122, v121
	s_delay_alu instid0(VALU_DEP_1) | instskip(NEXT) | instid1(VALU_DEP_1)
	v_mul_f32_e32 v122, v123, v121
	v_fma_f32 v124, -v114, v122, v123
	s_delay_alu instid0(VALU_DEP_1) | instskip(NEXT) | instid1(VALU_DEP_1)
	v_fmac_f32_e32 v122, v124, v121
	v_fma_f32 v114, -v114, v122, v123
	s_delay_alu instid0(VALU_DEP_1) | instskip(NEXT) | instid1(VALU_DEP_1)
	v_div_fmas_f32 v114, v114, v121, v122
	v_div_fixup_f32 v115, v114, v115, 1.0
	s_delay_alu instid0(VALU_DEP_1)
	v_mul_f32_e32 v114, v113, v115
	v_xor_b32_e32 v115, 0x80000000, v115
.LBB104_343:
	s_and_not1_saveexec_b32 s1, s1
	s_cbranch_execz .LBB104_345
; %bb.344:
	s_delay_alu instid0(VALU_DEP_1) | instskip(SKIP_1) | instid1(VALU_DEP_2)
	v_div_scale_f32 v113, null, v114, v114, v115
	v_div_scale_f32 v123, vcc_lo, v115, v114, v115
	v_rcp_f32_e32 v121, v113
	v_nop
	s_delay_alu instid0(TRANS32_DEP_1) | instskip(NEXT) | instid1(VALU_DEP_1)
	v_fma_f32 v122, -v113, v121, 1.0
	v_fmac_f32_e32 v121, v122, v121
	s_delay_alu instid0(VALU_DEP_1) | instskip(NEXT) | instid1(VALU_DEP_1)
	v_mul_f32_e32 v122, v123, v121
	v_fma_f32 v124, -v113, v122, v123
	s_delay_alu instid0(VALU_DEP_1) | instskip(NEXT) | instid1(VALU_DEP_1)
	v_fmac_f32_e32 v122, v124, v121
	v_fma_f32 v113, -v113, v122, v123
	s_delay_alu instid0(VALU_DEP_1) | instskip(NEXT) | instid1(VALU_DEP_1)
	v_div_fmas_f32 v113, v113, v121, v122
	v_div_fixup_f32 v113, v113, v114, v115
	s_delay_alu instid0(VALU_DEP_1) | instskip(NEXT) | instid1(VALU_DEP_1)
	v_fmac_f32_e32 v114, v115, v113
	v_div_scale_f32 v115, null, v114, v114, 1.0
	s_delay_alu instid0(VALU_DEP_1) | instskip(SKIP_1) | instid1(TRANS32_DEP_1)
	v_rcp_f32_e32 v121, v115
	v_nop
	v_fma_f32 v122, -v115, v121, 1.0
	s_delay_alu instid0(VALU_DEP_1) | instskip(SKIP_1) | instid1(VALU_DEP_1)
	v_fmac_f32_e32 v121, v122, v121
	v_div_scale_f32 v122, vcc_lo, 1.0, v114, 1.0
	v_mul_f32_e32 v123, v122, v121
	s_delay_alu instid0(VALU_DEP_1) | instskip(NEXT) | instid1(VALU_DEP_1)
	v_fma_f32 v124, -v115, v123, v122
	v_fmac_f32_e32 v123, v124, v121
	s_delay_alu instid0(VALU_DEP_1) | instskip(NEXT) | instid1(VALU_DEP_1)
	v_fma_f32 v115, -v115, v123, v122
	v_div_fmas_f32 v115, v115, v121, v123
	s_delay_alu instid0(VALU_DEP_1) | instskip(NEXT) | instid1(VALU_DEP_1)
	v_div_fixup_f32 v114, v115, v114, 1.0
	v_mul_f32_e64 v115, v113, -v114
.LBB104_345:
	s_or_b32 exec_lo, exec_lo, s1
.LBB104_346:
	s_delay_alu instid0(SALU_CYCLE_1) | instskip(NEXT) | instid1(SALU_CYCLE_1)
	s_or_b32 exec_lo, exec_lo, s0
	s_mov_b32 s0, exec_lo
	v_cmpx_ne_u32_e64 v120, v112
	s_xor_b32 s0, exec_lo, s0
	s_cbranch_execz .LBB104_352
; %bb.347:
	s_mov_b32 s1, exec_lo
	v_cmpx_eq_u32_e32 16, v120
	s_cbranch_execz .LBB104_351
; %bb.348:
	v_cmp_ne_u32_e32 vcc_lo, 16, v112
	s_xor_b32 s12, s16, -1
	s_delay_alu instid0(SALU_CYCLE_1) | instskip(NEXT) | instid1(SALU_CYCLE_1)
	s_and_b32 s13, s12, vcc_lo
	s_and_saveexec_b32 s12, s13
	s_cbranch_execz .LBB104_350
; %bb.349:
	v_ashrrev_i32_e32 v113, 31, v112
	s_delay_alu instid0(VALU_DEP_1)
	v_lshl_add_u64 v[120:121], v[112:113], 2, v[4:5]
	s_clause 0x1
	global_load_b32 v113, v[120:121], off
	global_load_b32 v119, v[4:5], off offset:64
	s_wait_loadcnt 0x1
	global_store_b32 v[4:5], v113, off offset:64
	s_wait_loadcnt 0x0
	global_store_b32 v[120:121], v119, off
.LBB104_350:
	s_wait_xcnt 0x0
	s_or_b32 exec_lo, exec_lo, s12
	v_dual_mov_b32 v120, v112 :: v_dual_mov_b32 v119, v112
.LBB104_351:
	s_or_b32 exec_lo, exec_lo, s1
.LBB104_352:
	s_and_not1_saveexec_b32 s0, s0
	s_cbranch_execz .LBB104_354
; %bb.353:
	v_mov_b32_e32 v120, 16
	ds_store_2addr_b64 v116, v[80:81], v[82:83] offset0:17 offset1:18
	ds_store_2addr_b64 v116, v[78:79], v[76:77] offset0:19 offset1:20
	;; [unrolled: 1-line block ×18, first 2 shown]
.LBB104_354:
	s_or_b32 exec_lo, exec_lo, s0
	s_delay_alu instid0(SALU_CYCLE_1)
	s_mov_b32 s0, exec_lo
	s_wait_storecnt_dscnt 0x0
	s_barrier_signal -1
	s_barrier_wait -1
	v_cmpx_lt_i32_e32 16, v120
	s_cbranch_execz .LBB104_356
; %bb.355:
	v_pk_mul_f32 v[122:123], v[114:115], v[84:85] op_sel:[1,1] op_sel_hi:[0,1]
	s_delay_alu instid0(VALU_DEP_1)
	v_pk_fma_f32 v[112:113], v[114:115], v[84:85], v[122:123] op_sel_hi:[1,0,1] neg_lo:[0,0,1] neg_hi:[0,0,1]
	v_pk_fma_f32 v[114:115], v[114:115], v[84:85], v[122:123] op_sel_hi:[1,0,1]
	ds_load_2addr_b64 v[122:125], v116 offset0:17 offset1:18
	v_dual_mov_b32 v84, v112 :: v_dual_mov_b32 v85, v115
	s_wait_dscnt 0x0
	v_pk_mul_f32 v[126:127], v[122:123], v[114:115] op_sel:[0,1]
	s_delay_alu instid0(VALU_DEP_1) | instskip(SKIP_1) | instid1(VALU_DEP_1)
	v_pk_fma_f32 v[128:129], v[122:123], v[112:113], v[126:127] op_sel:[0,0,1] op_sel_hi:[1,1,0] neg_lo:[0,0,1] neg_hi:[0,0,1]
	v_pk_fma_f32 v[122:123], v[122:123], v[112:113], v[126:127] op_sel:[0,0,1] op_sel_hi:[1,0,0]
	v_mov_b32_e32 v129, v123
	v_pk_mul_f32 v[122:123], v[124:125], v[114:115] op_sel:[0,1]
	s_delay_alu instid0(VALU_DEP_1) | instskip(SKIP_1) | instid1(VALU_DEP_1)
	v_pk_fma_f32 v[126:127], v[124:125], v[112:113], v[122:123] op_sel:[0,0,1] op_sel_hi:[1,1,0] neg_lo:[0,0,1] neg_hi:[0,0,1]
	v_pk_fma_f32 v[122:123], v[124:125], v[112:113], v[122:123] op_sel:[0,0,1] op_sel_hi:[1,0,0]
	v_mov_b32_e32 v127, v123
	ds_load_2addr_b64 v[122:125], v116 offset0:19 offset1:20
	v_pk_add_f32 v[80:81], v[80:81], v[128:129] neg_lo:[0,1] neg_hi:[0,1]
	v_pk_add_f32 v[82:83], v[82:83], v[126:127] neg_lo:[0,1] neg_hi:[0,1]
	s_wait_dscnt 0x0
	v_pk_mul_f32 v[126:127], v[122:123], v[114:115] op_sel:[0,1]
	s_delay_alu instid0(VALU_DEP_1) | instskip(SKIP_2) | instid1(VALU_DEP_2)
	v_pk_fma_f32 v[128:129], v[122:123], v[112:113], v[126:127] op_sel:[0,0,1] op_sel_hi:[1,1,0] neg_lo:[0,0,1] neg_hi:[0,0,1]
	v_pk_fma_f32 v[122:123], v[122:123], v[112:113], v[126:127] op_sel:[0,0,1] op_sel_hi:[1,0,0]
	v_dual_mul_f32 v126, v125, v115 :: v_dual_mov_b32 v122, v125
	v_dual_mov_b32 v129, v123 :: v_dual_mov_b32 v123, v124
	s_delay_alu instid0(VALU_DEP_2) | instskip(SKIP_1) | instid1(VALU_DEP_3)
	v_pk_fma_f32 v[126:127], v[124:125], v[84:85], v[126:127] op_sel_hi:[1,1,0] neg_lo:[0,0,1] neg_hi:[0,0,1]
	v_mul_f32_e32 v124, v125, v112
	v_pk_add_f32 v[78:79], v[78:79], v[128:129] neg_lo:[0,1] neg_hi:[0,1]
	s_delay_alu instid0(VALU_DEP_2) | instskip(NEXT) | instid1(VALU_DEP_1)
	v_pk_fma_f32 v[122:123], v[122:123], v[84:85], v[124:125] op_sel_hi:[1,1,0]
	v_mov_b32_e32 v127, v123
	ds_load_2addr_b64 v[122:125], v116 offset0:21 offset1:22
	v_pk_add_f32 v[76:77], v[76:77], v[126:127] neg_lo:[0,1] neg_hi:[0,1]
	s_wait_dscnt 0x0
	v_pk_mul_f32 v[126:127], v[122:123], v[114:115] op_sel:[0,1]
	s_delay_alu instid0(VALU_DEP_1) | instskip(SKIP_1) | instid1(VALU_DEP_1)
	v_pk_fma_f32 v[128:129], v[122:123], v[112:113], v[126:127] op_sel:[0,0,1] op_sel_hi:[1,1,0] neg_lo:[0,0,1] neg_hi:[0,0,1]
	v_pk_fma_f32 v[122:123], v[122:123], v[112:113], v[126:127] op_sel:[0,0,1] op_sel_hi:[1,0,0]
	v_mov_b32_e32 v129, v123
	v_pk_mul_f32 v[122:123], v[124:125], v[114:115] op_sel:[0,1]
	s_delay_alu instid0(VALU_DEP_1) | instskip(SKIP_1) | instid1(VALU_DEP_1)
	v_pk_fma_f32 v[126:127], v[124:125], v[112:113], v[122:123] op_sel:[0,0,1] op_sel_hi:[1,1,0] neg_lo:[0,0,1] neg_hi:[0,0,1]
	v_pk_fma_f32 v[122:123], v[124:125], v[112:113], v[122:123] op_sel:[0,0,1] op_sel_hi:[1,0,0]
	v_mov_b32_e32 v127, v123
	ds_load_2addr_b64 v[122:125], v116 offset0:23 offset1:24
	v_pk_add_f32 v[72:73], v[72:73], v[128:129] neg_lo:[0,1] neg_hi:[0,1]
	v_pk_add_f32 v[74:75], v[74:75], v[126:127] neg_lo:[0,1] neg_hi:[0,1]
	s_wait_dscnt 0x0
	v_pk_mul_f32 v[126:127], v[122:123], v[114:115] op_sel:[0,1]
	s_delay_alu instid0(VALU_DEP_1) | instskip(SKIP_1) | instid1(VALU_DEP_1)
	v_pk_fma_f32 v[128:129], v[122:123], v[112:113], v[126:127] op_sel:[0,0,1] op_sel_hi:[1,1,0] neg_lo:[0,0,1] neg_hi:[0,0,1]
	v_pk_fma_f32 v[122:123], v[122:123], v[112:113], v[126:127] op_sel:[0,0,1] op_sel_hi:[1,0,0]
	v_mov_b32_e32 v129, v123
	v_pk_mul_f32 v[122:123], v[124:125], v[114:115] op_sel:[0,1]
	s_delay_alu instid0(VALU_DEP_1) | instskip(SKIP_1) | instid1(VALU_DEP_1)
	v_pk_fma_f32 v[126:127], v[124:125], v[112:113], v[122:123] op_sel:[0,0,1] op_sel_hi:[1,1,0] neg_lo:[0,0,1] neg_hi:[0,0,1]
	v_pk_fma_f32 v[122:123], v[124:125], v[112:113], v[122:123] op_sel:[0,0,1] op_sel_hi:[1,0,0]
	v_mov_b32_e32 v127, v123
	ds_load_2addr_b64 v[122:125], v116 offset0:25 offset1:26
	v_pk_add_f32 v[70:71], v[70:71], v[128:129] neg_lo:[0,1] neg_hi:[0,1]
	v_pk_add_f32 v[68:69], v[68:69], v[126:127] neg_lo:[0,1] neg_hi:[0,1]
	s_wait_dscnt 0x0
	v_dual_mul_f32 v126, v123, v115 :: v_dual_mul_f32 v128, v123, v112
	s_delay_alu instid0(VALU_DEP_1) | instskip(NEXT) | instid1(VALU_DEP_2)
	v_pk_fma_f32 v[126:127], v[122:123], v[84:85], v[126:127] op_sel_hi:[1,1,0] neg_lo:[0,0,1] neg_hi:[0,0,1]
	v_pk_fma_f32 v[122:123], v[122:123], v[84:85], v[128:129] op_sel:[1,0,0] op_sel_hi:[0,1,0]
	s_delay_alu instid0(VALU_DEP_1) | instskip(SKIP_1) | instid1(VALU_DEP_2)
	v_mov_b32_e32 v127, v123
	v_pk_mul_f32 v[122:123], v[124:125], v[114:115] op_sel:[0,1]
	v_pk_add_f32 v[64:65], v[64:65], v[126:127] neg_lo:[0,1] neg_hi:[0,1]
	s_delay_alu instid0(VALU_DEP_2) | instskip(SKIP_1) | instid1(VALU_DEP_1)
	v_pk_fma_f32 v[126:127], v[124:125], v[112:113], v[122:123] op_sel:[0,0,1] op_sel_hi:[1,1,0] neg_lo:[0,0,1] neg_hi:[0,0,1]
	v_pk_fma_f32 v[122:123], v[124:125], v[112:113], v[122:123] op_sel:[0,0,1] op_sel_hi:[1,0,0]
	v_mov_b32_e32 v127, v123
	ds_load_2addr_b64 v[122:125], v116 offset0:27 offset1:28
	v_pk_add_f32 v[66:67], v[66:67], v[126:127] neg_lo:[0,1] neg_hi:[0,1]
	s_wait_dscnt 0x0
	v_pk_mul_f32 v[126:127], v[122:123], v[114:115] op_sel:[0,1]
	s_delay_alu instid0(VALU_DEP_1) | instskip(SKIP_1) | instid1(VALU_DEP_1)
	v_pk_fma_f32 v[128:129], v[122:123], v[112:113], v[126:127] op_sel:[0,0,1] op_sel_hi:[1,1,0] neg_lo:[0,0,1] neg_hi:[0,0,1]
	v_pk_fma_f32 v[122:123], v[122:123], v[112:113], v[126:127] op_sel:[0,0,1] op_sel_hi:[1,0,0]
	v_mov_b32_e32 v129, v123
	v_pk_mul_f32 v[122:123], v[124:125], v[114:115] op_sel:[0,1]
	s_delay_alu instid0(VALU_DEP_2) | instskip(NEXT) | instid1(VALU_DEP_2)
	v_pk_add_f32 v[62:63], v[62:63], v[128:129] neg_lo:[0,1] neg_hi:[0,1]
	v_pk_fma_f32 v[126:127], v[124:125], v[112:113], v[122:123] op_sel:[0,0,1] op_sel_hi:[1,1,0] neg_lo:[0,0,1] neg_hi:[0,0,1]
	v_pk_fma_f32 v[122:123], v[124:125], v[112:113], v[122:123] op_sel:[0,0,1] op_sel_hi:[1,0,0]
	s_delay_alu instid0(VALU_DEP_1) | instskip(SKIP_4) | instid1(VALU_DEP_1)
	v_mov_b32_e32 v127, v123
	ds_load_2addr_b64 v[122:125], v116 offset0:29 offset1:30
	v_pk_add_f32 v[52:53], v[52:53], v[126:127] neg_lo:[0,1] neg_hi:[0,1]
	s_wait_dscnt 0x0
	v_pk_mul_f32 v[126:127], v[122:123], v[114:115] op_sel:[0,1]
	v_pk_fma_f32 v[128:129], v[122:123], v[112:113], v[126:127] op_sel:[0,0,1] op_sel_hi:[1,1,0] neg_lo:[0,0,1] neg_hi:[0,0,1]
	v_pk_fma_f32 v[122:123], v[122:123], v[112:113], v[126:127] op_sel:[0,0,1] op_sel_hi:[1,0,0]
	v_dual_mul_f32 v126, v125, v115 :: v_dual_mov_b32 v122, v125
	s_delay_alu instid0(VALU_DEP_2) | instskip(NEXT) | instid1(VALU_DEP_2)
	v_dual_mov_b32 v129, v123 :: v_dual_mov_b32 v123, v124
	v_pk_fma_f32 v[126:127], v[124:125], v[84:85], v[126:127] op_sel_hi:[1,1,0] neg_lo:[0,0,1] neg_hi:[0,0,1]
	v_mul_f32_e32 v124, v125, v112
	s_delay_alu instid0(VALU_DEP_3) | instskip(NEXT) | instid1(VALU_DEP_2)
	v_pk_add_f32 v[48:49], v[48:49], v[128:129] neg_lo:[0,1] neg_hi:[0,1]
	v_pk_fma_f32 v[122:123], v[122:123], v[84:85], v[124:125] op_sel_hi:[1,1,0]
	s_delay_alu instid0(VALU_DEP_1) | instskip(SKIP_4) | instid1(VALU_DEP_1)
	v_mov_b32_e32 v127, v123
	ds_load_2addr_b64 v[122:125], v116 offset0:31 offset1:32
	v_pk_add_f32 v[50:51], v[50:51], v[126:127] neg_lo:[0,1] neg_hi:[0,1]
	s_wait_dscnt 0x0
	v_pk_mul_f32 v[126:127], v[122:123], v[114:115] op_sel:[0,1]
	v_pk_fma_f32 v[128:129], v[122:123], v[112:113], v[126:127] op_sel:[0,0,1] op_sel_hi:[1,1,0] neg_lo:[0,0,1] neg_hi:[0,0,1]
	v_pk_fma_f32 v[122:123], v[122:123], v[112:113], v[126:127] op_sel:[0,0,1] op_sel_hi:[1,0,0]
	s_delay_alu instid0(VALU_DEP_1) | instskip(SKIP_1) | instid1(VALU_DEP_1)
	v_mov_b32_e32 v129, v123
	v_pk_mul_f32 v[122:123], v[124:125], v[114:115] op_sel:[0,1]
	v_pk_fma_f32 v[126:127], v[124:125], v[112:113], v[122:123] op_sel:[0,0,1] op_sel_hi:[1,1,0] neg_lo:[0,0,1] neg_hi:[0,0,1]
	v_pk_fma_f32 v[122:123], v[124:125], v[112:113], v[122:123] op_sel:[0,0,1] op_sel_hi:[1,0,0]
	s_delay_alu instid0(VALU_DEP_1)
	v_mov_b32_e32 v127, v123
	ds_load_2addr_b64 v[122:125], v116 offset0:33 offset1:34
	v_pk_add_f32 v[46:47], v[46:47], v[128:129] neg_lo:[0,1] neg_hi:[0,1]
	v_pk_add_f32 v[44:45], v[44:45], v[126:127] neg_lo:[0,1] neg_hi:[0,1]
	s_wait_dscnt 0x0
	v_pk_mul_f32 v[126:127], v[122:123], v[114:115] op_sel:[0,1]
	s_delay_alu instid0(VALU_DEP_1) | instskip(SKIP_1) | instid1(VALU_DEP_1)
	v_pk_fma_f32 v[128:129], v[122:123], v[112:113], v[126:127] op_sel:[0,0,1] op_sel_hi:[1,1,0] neg_lo:[0,0,1] neg_hi:[0,0,1]
	v_pk_fma_f32 v[122:123], v[122:123], v[112:113], v[126:127] op_sel:[0,0,1] op_sel_hi:[1,0,0]
	v_mov_b32_e32 v129, v123
	v_pk_mul_f32 v[122:123], v[124:125], v[114:115] op_sel:[0,1]
	s_delay_alu instid0(VALU_DEP_1) | instskip(SKIP_1) | instid1(VALU_DEP_1)
	v_pk_fma_f32 v[126:127], v[124:125], v[112:113], v[122:123] op_sel:[0,0,1] op_sel_hi:[1,1,0] neg_lo:[0,0,1] neg_hi:[0,0,1]
	v_pk_fma_f32 v[122:123], v[124:125], v[112:113], v[122:123] op_sel:[0,0,1] op_sel_hi:[1,0,0]
	v_mov_b32_e32 v127, v123
	ds_load_2addr_b64 v[122:125], v116 offset0:35 offset1:36
	v_pk_add_f32 v[40:41], v[40:41], v[128:129] neg_lo:[0,1] neg_hi:[0,1]
	v_pk_add_f32 v[42:43], v[42:43], v[126:127] neg_lo:[0,1] neg_hi:[0,1]
	s_wait_dscnt 0x0
	v_dual_mul_f32 v126, v123, v115 :: v_dual_mul_f32 v128, v123, v112
	s_delay_alu instid0(VALU_DEP_1) | instskip(NEXT) | instid1(VALU_DEP_2)
	v_pk_fma_f32 v[126:127], v[122:123], v[84:85], v[126:127] op_sel_hi:[1,1,0] neg_lo:[0,0,1] neg_hi:[0,0,1]
	v_pk_fma_f32 v[122:123], v[122:123], v[84:85], v[128:129] op_sel:[1,0,0] op_sel_hi:[0,1,0]
	s_delay_alu instid0(VALU_DEP_1) | instskip(SKIP_1) | instid1(VALU_DEP_2)
	v_mov_b32_e32 v127, v123
	v_pk_mul_f32 v[122:123], v[124:125], v[114:115] op_sel:[0,1]
	v_pk_add_f32 v[38:39], v[38:39], v[126:127] neg_lo:[0,1] neg_hi:[0,1]
	s_delay_alu instid0(VALU_DEP_2) | instskip(SKIP_1) | instid1(VALU_DEP_1)
	v_pk_fma_f32 v[126:127], v[124:125], v[112:113], v[122:123] op_sel:[0,0,1] op_sel_hi:[1,1,0] neg_lo:[0,0,1] neg_hi:[0,0,1]
	v_pk_fma_f32 v[122:123], v[124:125], v[112:113], v[122:123] op_sel:[0,0,1] op_sel_hi:[1,0,0]
	v_mov_b32_e32 v127, v123
	ds_load_2addr_b64 v[122:125], v116 offset0:37 offset1:38
	v_pk_add_f32 v[36:37], v[36:37], v[126:127] neg_lo:[0,1] neg_hi:[0,1]
	s_wait_dscnt 0x0
	v_pk_mul_f32 v[126:127], v[122:123], v[114:115] op_sel:[0,1]
	s_delay_alu instid0(VALU_DEP_1) | instskip(SKIP_1) | instid1(VALU_DEP_1)
	v_pk_fma_f32 v[128:129], v[122:123], v[112:113], v[126:127] op_sel:[0,0,1] op_sel_hi:[1,1,0] neg_lo:[0,0,1] neg_hi:[0,0,1]
	v_pk_fma_f32 v[122:123], v[122:123], v[112:113], v[126:127] op_sel:[0,0,1] op_sel_hi:[1,0,0]
	v_mov_b32_e32 v129, v123
	v_pk_mul_f32 v[122:123], v[124:125], v[114:115] op_sel:[0,1]
	s_delay_alu instid0(VALU_DEP_2) | instskip(NEXT) | instid1(VALU_DEP_2)
	v_pk_add_f32 v[32:33], v[32:33], v[128:129] neg_lo:[0,1] neg_hi:[0,1]
	v_pk_fma_f32 v[126:127], v[124:125], v[112:113], v[122:123] op_sel:[0,0,1] op_sel_hi:[1,1,0] neg_lo:[0,0,1] neg_hi:[0,0,1]
	v_pk_fma_f32 v[122:123], v[124:125], v[112:113], v[122:123] op_sel:[0,0,1] op_sel_hi:[1,0,0]
	s_delay_alu instid0(VALU_DEP_1) | instskip(SKIP_4) | instid1(VALU_DEP_1)
	v_mov_b32_e32 v127, v123
	ds_load_2addr_b64 v[122:125], v116 offset0:39 offset1:40
	v_pk_add_f32 v[34:35], v[34:35], v[126:127] neg_lo:[0,1] neg_hi:[0,1]
	s_wait_dscnt 0x0
	v_pk_mul_f32 v[126:127], v[122:123], v[114:115] op_sel:[0,1]
	v_pk_fma_f32 v[128:129], v[122:123], v[112:113], v[126:127] op_sel:[0,0,1] op_sel_hi:[1,1,0] neg_lo:[0,0,1] neg_hi:[0,0,1]
	v_pk_fma_f32 v[122:123], v[122:123], v[112:113], v[126:127] op_sel:[0,0,1] op_sel_hi:[1,0,0]
	v_dual_mul_f32 v126, v125, v115 :: v_dual_mov_b32 v122, v125
	s_delay_alu instid0(VALU_DEP_2) | instskip(NEXT) | instid1(VALU_DEP_2)
	v_dual_mov_b32 v129, v123 :: v_dual_mov_b32 v123, v124
	v_pk_fma_f32 v[126:127], v[124:125], v[84:85], v[126:127] op_sel_hi:[1,1,0] neg_lo:[0,0,1] neg_hi:[0,0,1]
	v_mul_f32_e32 v124, v125, v112
	s_delay_alu instid0(VALU_DEP_3) | instskip(NEXT) | instid1(VALU_DEP_2)
	v_pk_add_f32 v[30:31], v[30:31], v[128:129] neg_lo:[0,1] neg_hi:[0,1]
	v_pk_fma_f32 v[122:123], v[122:123], v[84:85], v[124:125] op_sel_hi:[1,1,0]
	s_delay_alu instid0(VALU_DEP_1) | instskip(SKIP_4) | instid1(VALU_DEP_1)
	v_mov_b32_e32 v127, v123
	ds_load_2addr_b64 v[122:125], v116 offset0:41 offset1:42
	v_pk_add_f32 v[26:27], v[26:27], v[126:127] neg_lo:[0,1] neg_hi:[0,1]
	s_wait_dscnt 0x0
	v_pk_mul_f32 v[126:127], v[122:123], v[114:115] op_sel:[0,1]
	v_pk_fma_f32 v[128:129], v[122:123], v[112:113], v[126:127] op_sel:[0,0,1] op_sel_hi:[1,1,0] neg_lo:[0,0,1] neg_hi:[0,0,1]
	v_pk_fma_f32 v[122:123], v[122:123], v[112:113], v[126:127] op_sel:[0,0,1] op_sel_hi:[1,0,0]
	s_delay_alu instid0(VALU_DEP_1) | instskip(SKIP_1) | instid1(VALU_DEP_1)
	v_mov_b32_e32 v129, v123
	v_pk_mul_f32 v[122:123], v[124:125], v[114:115] op_sel:[0,1]
	v_pk_fma_f32 v[126:127], v[124:125], v[112:113], v[122:123] op_sel:[0,0,1] op_sel_hi:[1,1,0] neg_lo:[0,0,1] neg_hi:[0,0,1]
	v_pk_fma_f32 v[122:123], v[124:125], v[112:113], v[122:123] op_sel:[0,0,1] op_sel_hi:[1,0,0]
	s_delay_alu instid0(VALU_DEP_1)
	v_mov_b32_e32 v127, v123
	ds_load_2addr_b64 v[122:125], v116 offset0:43 offset1:44
	v_pk_add_f32 v[22:23], v[22:23], v[128:129] neg_lo:[0,1] neg_hi:[0,1]
	v_pk_add_f32 v[24:25], v[24:25], v[126:127] neg_lo:[0,1] neg_hi:[0,1]
	s_wait_dscnt 0x0
	v_pk_mul_f32 v[126:127], v[122:123], v[114:115] op_sel:[0,1]
	s_delay_alu instid0(VALU_DEP_1) | instskip(SKIP_1) | instid1(VALU_DEP_1)
	v_pk_fma_f32 v[128:129], v[122:123], v[112:113], v[126:127] op_sel:[0,0,1] op_sel_hi:[1,1,0] neg_lo:[0,0,1] neg_hi:[0,0,1]
	v_pk_fma_f32 v[122:123], v[122:123], v[112:113], v[126:127] op_sel:[0,0,1] op_sel_hi:[1,0,0]
	v_mov_b32_e32 v129, v123
	v_pk_mul_f32 v[122:123], v[124:125], v[114:115] op_sel:[0,1]
	s_delay_alu instid0(VALU_DEP_1) | instskip(SKIP_1) | instid1(VALU_DEP_1)
	v_pk_fma_f32 v[126:127], v[124:125], v[112:113], v[122:123] op_sel:[0,0,1] op_sel_hi:[1,1,0] neg_lo:[0,0,1] neg_hi:[0,0,1]
	v_pk_fma_f32 v[122:123], v[124:125], v[112:113], v[122:123] op_sel:[0,0,1] op_sel_hi:[1,0,0]
	v_mov_b32_e32 v127, v123
	ds_load_2addr_b64 v[122:125], v116 offset0:45 offset1:46
	v_pk_add_f32 v[20:21], v[20:21], v[128:129] neg_lo:[0,1] neg_hi:[0,1]
	v_pk_add_f32 v[14:15], v[14:15], v[126:127] neg_lo:[0,1] neg_hi:[0,1]
	s_wait_dscnt 0x0
	v_dual_mul_f32 v126, v123, v115 :: v_dual_mul_f32 v128, v123, v112
	s_delay_alu instid0(VALU_DEP_1) | instskip(NEXT) | instid1(VALU_DEP_2)
	v_pk_fma_f32 v[126:127], v[122:123], v[84:85], v[126:127] op_sel_hi:[1,1,0] neg_lo:[0,0,1] neg_hi:[0,0,1]
	v_pk_fma_f32 v[122:123], v[122:123], v[84:85], v[128:129] op_sel:[1,0,0] op_sel_hi:[0,1,0]
	s_delay_alu instid0(VALU_DEP_1) | instskip(SKIP_1) | instid1(VALU_DEP_2)
	v_mov_b32_e32 v127, v123
	v_pk_mul_f32 v[122:123], v[124:125], v[114:115] op_sel:[0,1]
	v_pk_add_f32 v[10:11], v[10:11], v[126:127] neg_lo:[0,1] neg_hi:[0,1]
	s_delay_alu instid0(VALU_DEP_2) | instskip(SKIP_1) | instid1(VALU_DEP_1)
	v_pk_fma_f32 v[126:127], v[124:125], v[112:113], v[122:123] op_sel:[0,0,1] op_sel_hi:[1,1,0] neg_lo:[0,0,1] neg_hi:[0,0,1]
	v_pk_fma_f32 v[122:123], v[124:125], v[112:113], v[122:123] op_sel:[0,0,1] op_sel_hi:[1,0,0]
	v_mov_b32_e32 v127, v123
	ds_load_2addr_b64 v[122:125], v116 offset0:47 offset1:48
	v_pk_add_f32 v[12:13], v[12:13], v[126:127] neg_lo:[0,1] neg_hi:[0,1]
	s_wait_dscnt 0x0
	v_pk_mul_f32 v[126:127], v[122:123], v[114:115] op_sel:[0,1]
	s_delay_alu instid0(VALU_DEP_1) | instskip(SKIP_1) | instid1(VALU_DEP_1)
	v_pk_fma_f32 v[128:129], v[122:123], v[112:113], v[126:127] op_sel:[0,0,1] op_sel_hi:[1,1,0] neg_lo:[0,0,1] neg_hi:[0,0,1]
	v_pk_fma_f32 v[122:123], v[122:123], v[112:113], v[126:127] op_sel:[0,0,1] op_sel_hi:[1,0,0]
	v_mov_b32_e32 v129, v123
	v_pk_mul_f32 v[122:123], v[124:125], v[114:115] op_sel:[0,1]
	s_delay_alu instid0(VALU_DEP_2) | instskip(NEXT) | instid1(VALU_DEP_2)
	v_pk_add_f32 v[8:9], v[8:9], v[128:129] neg_lo:[0,1] neg_hi:[0,1]
	v_pk_fma_f32 v[126:127], v[124:125], v[112:113], v[122:123] op_sel:[0,0,1] op_sel_hi:[1,1,0] neg_lo:[0,0,1] neg_hi:[0,0,1]
	v_pk_fma_f32 v[122:123], v[124:125], v[112:113], v[122:123] op_sel:[0,0,1] op_sel_hi:[1,0,0]
	s_delay_alu instid0(VALU_DEP_1) | instskip(SKIP_4) | instid1(VALU_DEP_1)
	v_mov_b32_e32 v127, v123
	ds_load_2addr_b64 v[122:125], v116 offset0:49 offset1:50
	v_pk_add_f32 v[6:7], v[6:7], v[126:127] neg_lo:[0,1] neg_hi:[0,1]
	s_wait_dscnt 0x0
	v_pk_mul_f32 v[126:127], v[122:123], v[114:115] op_sel:[0,1]
	v_pk_fma_f32 v[128:129], v[122:123], v[112:113], v[126:127] op_sel:[0,0,1] op_sel_hi:[1,1,0] neg_lo:[0,0,1] neg_hi:[0,0,1]
	v_pk_fma_f32 v[122:123], v[122:123], v[112:113], v[126:127] op_sel:[0,0,1] op_sel_hi:[1,0,0]
	v_dual_mul_f32 v126, v125, v115 :: v_dual_mov_b32 v122, v125
	s_delay_alu instid0(VALU_DEP_2) | instskip(NEXT) | instid1(VALU_DEP_2)
	v_dual_mov_b32 v129, v123 :: v_dual_mov_b32 v123, v124
	v_pk_fma_f32 v[126:127], v[124:125], v[84:85], v[126:127] op_sel_hi:[1,1,0] neg_lo:[0,0,1] neg_hi:[0,0,1]
	v_mul_f32_e32 v124, v125, v112
	s_delay_alu instid0(VALU_DEP_3) | instskip(NEXT) | instid1(VALU_DEP_2)
	v_pk_add_f32 v[28:29], v[28:29], v[128:129] neg_lo:[0,1] neg_hi:[0,1]
	v_pk_fma_f32 v[122:123], v[122:123], v[84:85], v[124:125] op_sel_hi:[1,1,0]
	s_delay_alu instid0(VALU_DEP_1)
	v_mov_b32_e32 v127, v123
	ds_load_2addr_b64 v[122:125], v116 offset0:51 offset1:52
	v_pk_add_f32 v[18:19], v[18:19], v[126:127] neg_lo:[0,1] neg_hi:[0,1]
	s_wait_dscnt 0x0
	v_pk_mul_f32 v[126:127], v[122:123], v[114:115] op_sel:[0,1]
	v_mul_f32_e32 v114, v125, v115
	s_delay_alu instid0(VALU_DEP_2) | instskip(SKIP_2) | instid1(VALU_DEP_4)
	v_pk_fma_f32 v[128:129], v[122:123], v[112:113], v[126:127] op_sel:[0,0,1] op_sel_hi:[1,1,0] neg_lo:[0,0,1] neg_hi:[0,0,1]
	v_pk_fma_f32 v[122:123], v[122:123], v[112:113], v[126:127] op_sel:[0,0,1] op_sel_hi:[1,0,0]
	v_dual_mov_b32 v122, v125 :: v_dual_mul_f32 v112, v125, v112
	v_pk_fma_f32 v[114:115], v[124:125], v[84:85], v[114:115] op_sel_hi:[1,1,0] neg_lo:[0,0,1] neg_hi:[0,0,1]
	s_delay_alu instid0(VALU_DEP_3) | instskip(NEXT) | instid1(VALU_DEP_1)
	v_dual_mov_b32 v129, v123 :: v_dual_mov_b32 v123, v124
	v_pk_add_f32 v[16:17], v[16:17], v[128:129] neg_lo:[0,1] neg_hi:[0,1]
	s_delay_alu instid0(VALU_DEP_2) | instskip(NEXT) | instid1(VALU_DEP_1)
	v_pk_fma_f32 v[112:113], v[122:123], v[84:85], v[112:113] op_sel_hi:[1,1,0]
	v_mov_b32_e32 v115, v113
	s_delay_alu instid0(VALU_DEP_1)
	v_pk_add_f32 v[110:111], v[110:111], v[114:115] neg_lo:[0,1] neg_hi:[0,1]
.LBB104_356:
	s_or_b32 exec_lo, exec_lo, s0
	v_lshl_add_u32 v112, v120, 3, v116
	s_barrier_signal -1
	s_barrier_wait -1
	ds_store_b64 v112, v[80:81]
	s_wait_dscnt 0x0
	s_barrier_signal -1
	s_barrier_wait -1
	ds_load_b64 v[114:115], v116 offset:136
	v_mov_b32_e32 v112, 17
	s_cmp_lt_i32 s18, 19
	s_cbranch_scc1 .LBB104_359
; %bb.357:
	v_add3_u32 v113, v117, 0, 0x90
	v_mov_b32_e32 v112, 17
	s_mov_b32 s0, 18
.LBB104_358:                            ; =>This Inner Loop Header: Depth=1
	ds_load_b64 v[122:123], v113
	s_wait_dscnt 0x1
	v_cmp_gt_f32_e32 vcc_lo, 0, v114
	v_cndmask_b32_e64 v124, v114, -v114, vcc_lo
	v_cmp_gt_f32_e32 vcc_lo, 0, v115
	v_cndmask_b32_e64 v126, v115, -v115, vcc_lo
	s_wait_dscnt 0x0
	v_cmp_gt_f32_e32 vcc_lo, 0, v122
	v_cndmask_b32_e64 v125, v122, -v122, vcc_lo
	v_cmp_gt_f32_e32 vcc_lo, 0, v123
	v_cndmask_b32_e64 v127, v123, -v123, vcc_lo
	s_delay_alu instid0(VALU_DEP_1) | instskip(NEXT) | instid1(VALU_DEP_1)
	v_pk_add_f32 v[124:125], v[124:125], v[126:127]
	v_cmp_lt_f32_e32 vcc_lo, v124, v125
	v_dual_add_nc_u32 v113, 8, v113 :: v_dual_cndmask_b32 v115, v115, v123, vcc_lo
	v_cndmask_b32_e32 v114, v114, v122, vcc_lo
	v_cndmask_b32_e64 v112, v112, s0, vcc_lo
	s_add_co_i32 s0, s0, 1
	s_delay_alu instid0(SALU_CYCLE_1)
	s_cmp_lg_u32 s18, s0
	s_cbranch_scc1 .LBB104_358
.LBB104_359:
	s_wait_dscnt 0x0
	v_cmp_eq_f32_e32 vcc_lo, 0, v114
	v_cmp_eq_f32_e64 s0, 0, v115
	s_and_b32 s0, vcc_lo, s0
	s_delay_alu instid0(SALU_CYCLE_1) | instskip(NEXT) | instid1(SALU_CYCLE_1)
	s_and_saveexec_b32 s1, s0
	s_xor_b32 s0, exec_lo, s1
; %bb.360:
	v_cmp_ne_u32_e32 vcc_lo, 0, v118
	v_cndmask_b32_e32 v118, 18, v118, vcc_lo
; %bb.361:
	s_and_not1_saveexec_b32 s0, s0
	s_cbranch_execz .LBB104_367
; %bb.362:
	v_cmp_ngt_f32_e64 s1, |v114|, |v115|
	s_and_saveexec_b32 s12, s1
	s_delay_alu instid0(SALU_CYCLE_1)
	s_xor_b32 s1, exec_lo, s12
	s_cbranch_execz .LBB104_364
; %bb.363:
	v_div_scale_f32 v113, null, v115, v115, v114
	v_div_scale_f32 v123, vcc_lo, v114, v115, v114
	s_delay_alu instid0(VALU_DEP_2) | instskip(SKIP_1) | instid1(TRANS32_DEP_1)
	v_rcp_f32_e32 v121, v113
	v_nop
	v_fma_f32 v122, -v113, v121, 1.0
	s_delay_alu instid0(VALU_DEP_1) | instskip(NEXT) | instid1(VALU_DEP_1)
	v_fmac_f32_e32 v121, v122, v121
	v_mul_f32_e32 v122, v123, v121
	s_delay_alu instid0(VALU_DEP_1) | instskip(NEXT) | instid1(VALU_DEP_1)
	v_fma_f32 v124, -v113, v122, v123
	v_fmac_f32_e32 v122, v124, v121
	s_delay_alu instid0(VALU_DEP_1) | instskip(NEXT) | instid1(VALU_DEP_1)
	v_fma_f32 v113, -v113, v122, v123
	v_div_fmas_f32 v113, v113, v121, v122
	s_delay_alu instid0(VALU_DEP_1) | instskip(NEXT) | instid1(VALU_DEP_1)
	v_div_fixup_f32 v113, v113, v115, v114
	v_fmac_f32_e32 v115, v114, v113
	s_delay_alu instid0(VALU_DEP_1) | instskip(SKIP_1) | instid1(VALU_DEP_2)
	v_div_scale_f32 v114, null, v115, v115, 1.0
	v_div_scale_f32 v123, vcc_lo, 1.0, v115, 1.0
	v_rcp_f32_e32 v121, v114
	v_nop
	s_delay_alu instid0(TRANS32_DEP_1) | instskip(NEXT) | instid1(VALU_DEP_1)
	v_fma_f32 v122, -v114, v121, 1.0
	v_fmac_f32_e32 v121, v122, v121
	s_delay_alu instid0(VALU_DEP_1) | instskip(NEXT) | instid1(VALU_DEP_1)
	v_mul_f32_e32 v122, v123, v121
	v_fma_f32 v124, -v114, v122, v123
	s_delay_alu instid0(VALU_DEP_1) | instskip(NEXT) | instid1(VALU_DEP_1)
	v_fmac_f32_e32 v122, v124, v121
	v_fma_f32 v114, -v114, v122, v123
	s_delay_alu instid0(VALU_DEP_1) | instskip(NEXT) | instid1(VALU_DEP_1)
	v_div_fmas_f32 v114, v114, v121, v122
	v_div_fixup_f32 v115, v114, v115, 1.0
	s_delay_alu instid0(VALU_DEP_1)
	v_mul_f32_e32 v114, v113, v115
	v_xor_b32_e32 v115, 0x80000000, v115
.LBB104_364:
	s_and_not1_saveexec_b32 s1, s1
	s_cbranch_execz .LBB104_366
; %bb.365:
	s_delay_alu instid0(VALU_DEP_1) | instskip(SKIP_1) | instid1(VALU_DEP_2)
	v_div_scale_f32 v113, null, v114, v114, v115
	v_div_scale_f32 v123, vcc_lo, v115, v114, v115
	v_rcp_f32_e32 v121, v113
	v_nop
	s_delay_alu instid0(TRANS32_DEP_1) | instskip(NEXT) | instid1(VALU_DEP_1)
	v_fma_f32 v122, -v113, v121, 1.0
	v_fmac_f32_e32 v121, v122, v121
	s_delay_alu instid0(VALU_DEP_1) | instskip(NEXT) | instid1(VALU_DEP_1)
	v_mul_f32_e32 v122, v123, v121
	v_fma_f32 v124, -v113, v122, v123
	s_delay_alu instid0(VALU_DEP_1) | instskip(NEXT) | instid1(VALU_DEP_1)
	v_fmac_f32_e32 v122, v124, v121
	v_fma_f32 v113, -v113, v122, v123
	s_delay_alu instid0(VALU_DEP_1) | instskip(NEXT) | instid1(VALU_DEP_1)
	v_div_fmas_f32 v113, v113, v121, v122
	v_div_fixup_f32 v113, v113, v114, v115
	s_delay_alu instid0(VALU_DEP_1) | instskip(NEXT) | instid1(VALU_DEP_1)
	v_fmac_f32_e32 v114, v115, v113
	v_div_scale_f32 v115, null, v114, v114, 1.0
	s_delay_alu instid0(VALU_DEP_1) | instskip(SKIP_1) | instid1(TRANS32_DEP_1)
	v_rcp_f32_e32 v121, v115
	v_nop
	v_fma_f32 v122, -v115, v121, 1.0
	s_delay_alu instid0(VALU_DEP_1) | instskip(SKIP_1) | instid1(VALU_DEP_1)
	v_fmac_f32_e32 v121, v122, v121
	v_div_scale_f32 v122, vcc_lo, 1.0, v114, 1.0
	v_mul_f32_e32 v123, v122, v121
	s_delay_alu instid0(VALU_DEP_1) | instskip(NEXT) | instid1(VALU_DEP_1)
	v_fma_f32 v124, -v115, v123, v122
	v_fmac_f32_e32 v123, v124, v121
	s_delay_alu instid0(VALU_DEP_1) | instskip(NEXT) | instid1(VALU_DEP_1)
	v_fma_f32 v115, -v115, v123, v122
	v_div_fmas_f32 v115, v115, v121, v123
	s_delay_alu instid0(VALU_DEP_1) | instskip(NEXT) | instid1(VALU_DEP_1)
	v_div_fixup_f32 v114, v115, v114, 1.0
	v_mul_f32_e64 v115, v113, -v114
.LBB104_366:
	s_or_b32 exec_lo, exec_lo, s1
.LBB104_367:
	s_delay_alu instid0(SALU_CYCLE_1) | instskip(NEXT) | instid1(SALU_CYCLE_1)
	s_or_b32 exec_lo, exec_lo, s0
	s_mov_b32 s0, exec_lo
	v_cmpx_ne_u32_e64 v120, v112
	s_xor_b32 s0, exec_lo, s0
	s_cbranch_execz .LBB104_373
; %bb.368:
	s_mov_b32 s1, exec_lo
	v_cmpx_eq_u32_e32 17, v120
	s_cbranch_execz .LBB104_372
; %bb.369:
	v_cmp_ne_u32_e32 vcc_lo, 17, v112
	s_xor_b32 s12, s16, -1
	s_delay_alu instid0(SALU_CYCLE_1) | instskip(NEXT) | instid1(SALU_CYCLE_1)
	s_and_b32 s13, s12, vcc_lo
	s_and_saveexec_b32 s12, s13
	s_cbranch_execz .LBB104_371
; %bb.370:
	v_ashrrev_i32_e32 v113, 31, v112
	s_delay_alu instid0(VALU_DEP_1)
	v_lshl_add_u64 v[120:121], v[112:113], 2, v[4:5]
	s_clause 0x1
	global_load_b32 v113, v[120:121], off
	global_load_b32 v119, v[4:5], off offset:68
	s_wait_loadcnt 0x1
	global_store_b32 v[4:5], v113, off offset:68
	s_wait_loadcnt 0x0
	global_store_b32 v[120:121], v119, off
.LBB104_371:
	s_wait_xcnt 0x0
	s_or_b32 exec_lo, exec_lo, s12
	v_dual_mov_b32 v120, v112 :: v_dual_mov_b32 v119, v112
.LBB104_372:
	s_or_b32 exec_lo, exec_lo, s1
.LBB104_373:
	s_and_not1_saveexec_b32 s0, s0
	s_cbranch_execz .LBB104_375
; %bb.374:
	v_dual_mov_b32 v112, v82 :: v_dual_mov_b32 v113, v83
	v_dual_mov_b32 v120, v78 :: v_dual_mov_b32 v121, v79
	;; [unrolled: 1-line block ×12, first 2 shown]
	ds_store_2addr_b64 v116, v[112:113], v[120:121] offset0:18 offset1:19
	ds_store_2addr_b64 v116, v[122:123], v[124:125] offset0:20 offset1:21
	ds_store_2addr_b64 v116, v[126:127], v[128:129] offset0:22 offset1:23
	ds_store_2addr_b64 v116, v[130:131], v[132:133] offset0:24 offset1:25
	ds_store_2addr_b64 v116, v[134:135], v[136:137] offset0:26 offset1:27
	ds_store_2addr_b64 v116, v[138:139], v[140:141] offset0:28 offset1:29
	v_dual_mov_b32 v112, v50 :: v_dual_mov_b32 v113, v51
	v_dual_mov_b32 v120, v46 :: v_dual_mov_b32 v121, v47
	;; [unrolled: 1-line block ×12, first 2 shown]
	ds_store_2addr_b64 v116, v[112:113], v[120:121] offset0:30 offset1:31
	ds_store_2addr_b64 v116, v[122:123], v[124:125] offset0:32 offset1:33
	;; [unrolled: 1-line block ×6, first 2 shown]
	v_dual_mov_b32 v112, v24 :: v_dual_mov_b32 v113, v25
	v_dual_mov_b32 v120, v20 :: v_dual_mov_b32 v121, v21
	;; [unrolled: 1-line block ×6, first 2 shown]
	ds_store_2addr_b64 v116, v[112:113], v[120:121] offset0:42 offset1:43
	ds_store_2addr_b64 v116, v[122:123], v[124:125] offset0:44 offset1:45
	v_dual_mov_b32 v120, 17 :: v_dual_mov_b32 v130, v6
	v_dual_mov_b32 v131, v7 :: v_dual_mov_b32 v132, v28
	;; [unrolled: 1-line block ×4, first 2 shown]
	v_mov_b32_e32 v137, v17
	ds_store_2addr_b64 v116, v[126:127], v[128:129] offset0:46 offset1:47
	ds_store_2addr_b64 v116, v[130:131], v[132:133] offset0:48 offset1:49
	;; [unrolled: 1-line block ×3, first 2 shown]
	ds_store_b64 v116, v[110:111] offset:416
.LBB104_375:
	s_or_b32 exec_lo, exec_lo, s0
	s_delay_alu instid0(SALU_CYCLE_1)
	s_mov_b32 s0, exec_lo
	s_wait_storecnt_dscnt 0x0
	s_barrier_signal -1
	s_barrier_wait -1
	v_cmpx_lt_i32_e32 17, v120
	s_cbranch_execz .LBB104_377
; %bb.376:
	v_pk_mul_f32 v[122:123], v[114:115], v[80:81] op_sel:[1,1] op_sel_hi:[0,1]
	s_delay_alu instid0(VALU_DEP_1)
	v_pk_fma_f32 v[112:113], v[114:115], v[80:81], v[122:123] op_sel_hi:[1,0,1] neg_lo:[0,0,1] neg_hi:[0,0,1]
	v_pk_fma_f32 v[114:115], v[114:115], v[80:81], v[122:123] op_sel_hi:[1,0,1]
	ds_load_2addr_b64 v[122:125], v116 offset0:18 offset1:19
	v_dual_mov_b32 v80, v112 :: v_dual_mov_b32 v81, v115
	s_wait_dscnt 0x0
	v_pk_mul_f32 v[126:127], v[122:123], v[114:115] op_sel:[0,1]
	s_delay_alu instid0(VALU_DEP_1) | instskip(SKIP_1) | instid1(VALU_DEP_1)
	v_pk_fma_f32 v[128:129], v[122:123], v[112:113], v[126:127] op_sel:[0,0,1] op_sel_hi:[1,1,0] neg_lo:[0,0,1] neg_hi:[0,0,1]
	v_pk_fma_f32 v[122:123], v[122:123], v[112:113], v[126:127] op_sel:[0,0,1] op_sel_hi:[1,0,0]
	v_mov_b32_e32 v129, v123
	v_pk_mul_f32 v[122:123], v[124:125], v[114:115] op_sel:[0,1]
	s_delay_alu instid0(VALU_DEP_1) | instskip(SKIP_1) | instid1(VALU_DEP_1)
	v_pk_fma_f32 v[126:127], v[124:125], v[112:113], v[122:123] op_sel:[0,0,1] op_sel_hi:[1,1,0] neg_lo:[0,0,1] neg_hi:[0,0,1]
	v_pk_fma_f32 v[122:123], v[124:125], v[112:113], v[122:123] op_sel:[0,0,1] op_sel_hi:[1,0,0]
	v_mov_b32_e32 v127, v123
	ds_load_2addr_b64 v[122:125], v116 offset0:20 offset1:21
	v_pk_add_f32 v[82:83], v[82:83], v[128:129] neg_lo:[0,1] neg_hi:[0,1]
	v_pk_add_f32 v[78:79], v[78:79], v[126:127] neg_lo:[0,1] neg_hi:[0,1]
	s_wait_dscnt 0x0
	v_pk_mul_f32 v[126:127], v[122:123], v[114:115] op_sel:[0,1]
	s_delay_alu instid0(VALU_DEP_1) | instskip(SKIP_2) | instid1(VALU_DEP_2)
	v_pk_fma_f32 v[128:129], v[122:123], v[112:113], v[126:127] op_sel:[0,0,1] op_sel_hi:[1,1,0] neg_lo:[0,0,1] neg_hi:[0,0,1]
	v_pk_fma_f32 v[122:123], v[122:123], v[112:113], v[126:127] op_sel:[0,0,1] op_sel_hi:[1,0,0]
	v_dual_mul_f32 v126, v125, v115 :: v_dual_mov_b32 v122, v125
	v_dual_mov_b32 v129, v123 :: v_dual_mov_b32 v123, v124
	s_delay_alu instid0(VALU_DEP_2) | instskip(SKIP_1) | instid1(VALU_DEP_3)
	v_pk_fma_f32 v[126:127], v[124:125], v[80:81], v[126:127] op_sel_hi:[1,1,0] neg_lo:[0,0,1] neg_hi:[0,0,1]
	v_mul_f32_e32 v124, v125, v112
	v_pk_add_f32 v[76:77], v[76:77], v[128:129] neg_lo:[0,1] neg_hi:[0,1]
	s_delay_alu instid0(VALU_DEP_2) | instskip(NEXT) | instid1(VALU_DEP_1)
	v_pk_fma_f32 v[122:123], v[122:123], v[80:81], v[124:125] op_sel_hi:[1,1,0]
	v_mov_b32_e32 v127, v123
	ds_load_2addr_b64 v[122:125], v116 offset0:22 offset1:23
	v_pk_add_f32 v[72:73], v[72:73], v[126:127] neg_lo:[0,1] neg_hi:[0,1]
	s_wait_dscnt 0x0
	v_pk_mul_f32 v[126:127], v[122:123], v[114:115] op_sel:[0,1]
	s_delay_alu instid0(VALU_DEP_1) | instskip(SKIP_1) | instid1(VALU_DEP_1)
	v_pk_fma_f32 v[128:129], v[122:123], v[112:113], v[126:127] op_sel:[0,0,1] op_sel_hi:[1,1,0] neg_lo:[0,0,1] neg_hi:[0,0,1]
	v_pk_fma_f32 v[122:123], v[122:123], v[112:113], v[126:127] op_sel:[0,0,1] op_sel_hi:[1,0,0]
	v_mov_b32_e32 v129, v123
	v_pk_mul_f32 v[122:123], v[124:125], v[114:115] op_sel:[0,1]
	s_delay_alu instid0(VALU_DEP_1) | instskip(SKIP_1) | instid1(VALU_DEP_1)
	v_pk_fma_f32 v[126:127], v[124:125], v[112:113], v[122:123] op_sel:[0,0,1] op_sel_hi:[1,1,0] neg_lo:[0,0,1] neg_hi:[0,0,1]
	v_pk_fma_f32 v[122:123], v[124:125], v[112:113], v[122:123] op_sel:[0,0,1] op_sel_hi:[1,0,0]
	v_mov_b32_e32 v127, v123
	ds_load_2addr_b64 v[122:125], v116 offset0:24 offset1:25
	v_pk_add_f32 v[74:75], v[74:75], v[128:129] neg_lo:[0,1] neg_hi:[0,1]
	v_pk_add_f32 v[70:71], v[70:71], v[126:127] neg_lo:[0,1] neg_hi:[0,1]
	s_wait_dscnt 0x0
	v_pk_mul_f32 v[126:127], v[122:123], v[114:115] op_sel:[0,1]
	s_delay_alu instid0(VALU_DEP_1) | instskip(SKIP_1) | instid1(VALU_DEP_1)
	v_pk_fma_f32 v[128:129], v[122:123], v[112:113], v[126:127] op_sel:[0,0,1] op_sel_hi:[1,1,0] neg_lo:[0,0,1] neg_hi:[0,0,1]
	v_pk_fma_f32 v[122:123], v[122:123], v[112:113], v[126:127] op_sel:[0,0,1] op_sel_hi:[1,0,0]
	v_mov_b32_e32 v129, v123
	v_pk_mul_f32 v[122:123], v[124:125], v[114:115] op_sel:[0,1]
	s_delay_alu instid0(VALU_DEP_1) | instskip(SKIP_1) | instid1(VALU_DEP_1)
	v_pk_fma_f32 v[126:127], v[124:125], v[112:113], v[122:123] op_sel:[0,0,1] op_sel_hi:[1,1,0] neg_lo:[0,0,1] neg_hi:[0,0,1]
	v_pk_fma_f32 v[122:123], v[124:125], v[112:113], v[122:123] op_sel:[0,0,1] op_sel_hi:[1,0,0]
	v_mov_b32_e32 v127, v123
	ds_load_2addr_b64 v[122:125], v116 offset0:26 offset1:27
	v_pk_add_f32 v[68:69], v[68:69], v[128:129] neg_lo:[0,1] neg_hi:[0,1]
	v_pk_add_f32 v[64:65], v[64:65], v[126:127] neg_lo:[0,1] neg_hi:[0,1]
	s_wait_dscnt 0x0
	v_dual_mul_f32 v126, v123, v115 :: v_dual_mul_f32 v128, v123, v112
	s_delay_alu instid0(VALU_DEP_1) | instskip(NEXT) | instid1(VALU_DEP_2)
	v_pk_fma_f32 v[126:127], v[122:123], v[80:81], v[126:127] op_sel_hi:[1,1,0] neg_lo:[0,0,1] neg_hi:[0,0,1]
	v_pk_fma_f32 v[122:123], v[122:123], v[80:81], v[128:129] op_sel:[1,0,0] op_sel_hi:[0,1,0]
	s_delay_alu instid0(VALU_DEP_1) | instskip(SKIP_1) | instid1(VALU_DEP_2)
	v_mov_b32_e32 v127, v123
	v_pk_mul_f32 v[122:123], v[124:125], v[114:115] op_sel:[0,1]
	v_pk_add_f32 v[66:67], v[66:67], v[126:127] neg_lo:[0,1] neg_hi:[0,1]
	s_delay_alu instid0(VALU_DEP_2) | instskip(SKIP_1) | instid1(VALU_DEP_1)
	v_pk_fma_f32 v[126:127], v[124:125], v[112:113], v[122:123] op_sel:[0,0,1] op_sel_hi:[1,1,0] neg_lo:[0,0,1] neg_hi:[0,0,1]
	v_pk_fma_f32 v[122:123], v[124:125], v[112:113], v[122:123] op_sel:[0,0,1] op_sel_hi:[1,0,0]
	v_mov_b32_e32 v127, v123
	ds_load_2addr_b64 v[122:125], v116 offset0:28 offset1:29
	v_pk_add_f32 v[62:63], v[62:63], v[126:127] neg_lo:[0,1] neg_hi:[0,1]
	s_wait_dscnt 0x0
	v_pk_mul_f32 v[126:127], v[122:123], v[114:115] op_sel:[0,1]
	s_delay_alu instid0(VALU_DEP_1) | instskip(SKIP_1) | instid1(VALU_DEP_1)
	v_pk_fma_f32 v[128:129], v[122:123], v[112:113], v[126:127] op_sel:[0,0,1] op_sel_hi:[1,1,0] neg_lo:[0,0,1] neg_hi:[0,0,1]
	v_pk_fma_f32 v[122:123], v[122:123], v[112:113], v[126:127] op_sel:[0,0,1] op_sel_hi:[1,0,0]
	v_mov_b32_e32 v129, v123
	v_pk_mul_f32 v[122:123], v[124:125], v[114:115] op_sel:[0,1]
	s_delay_alu instid0(VALU_DEP_2) | instskip(NEXT) | instid1(VALU_DEP_2)
	v_pk_add_f32 v[52:53], v[52:53], v[128:129] neg_lo:[0,1] neg_hi:[0,1]
	v_pk_fma_f32 v[126:127], v[124:125], v[112:113], v[122:123] op_sel:[0,0,1] op_sel_hi:[1,1,0] neg_lo:[0,0,1] neg_hi:[0,0,1]
	v_pk_fma_f32 v[122:123], v[124:125], v[112:113], v[122:123] op_sel:[0,0,1] op_sel_hi:[1,0,0]
	s_delay_alu instid0(VALU_DEP_1) | instskip(SKIP_4) | instid1(VALU_DEP_1)
	v_mov_b32_e32 v127, v123
	ds_load_2addr_b64 v[122:125], v116 offset0:30 offset1:31
	v_pk_add_f32 v[48:49], v[48:49], v[126:127] neg_lo:[0,1] neg_hi:[0,1]
	s_wait_dscnt 0x0
	v_pk_mul_f32 v[126:127], v[122:123], v[114:115] op_sel:[0,1]
	v_pk_fma_f32 v[128:129], v[122:123], v[112:113], v[126:127] op_sel:[0,0,1] op_sel_hi:[1,1,0] neg_lo:[0,0,1] neg_hi:[0,0,1]
	v_pk_fma_f32 v[122:123], v[122:123], v[112:113], v[126:127] op_sel:[0,0,1] op_sel_hi:[1,0,0]
	v_dual_mul_f32 v126, v125, v115 :: v_dual_mov_b32 v122, v125
	s_delay_alu instid0(VALU_DEP_2) | instskip(NEXT) | instid1(VALU_DEP_2)
	v_dual_mov_b32 v129, v123 :: v_dual_mov_b32 v123, v124
	v_pk_fma_f32 v[126:127], v[124:125], v[80:81], v[126:127] op_sel_hi:[1,1,0] neg_lo:[0,0,1] neg_hi:[0,0,1]
	v_mul_f32_e32 v124, v125, v112
	s_delay_alu instid0(VALU_DEP_3) | instskip(NEXT) | instid1(VALU_DEP_2)
	v_pk_add_f32 v[50:51], v[50:51], v[128:129] neg_lo:[0,1] neg_hi:[0,1]
	v_pk_fma_f32 v[122:123], v[122:123], v[80:81], v[124:125] op_sel_hi:[1,1,0]
	s_delay_alu instid0(VALU_DEP_1) | instskip(SKIP_4) | instid1(VALU_DEP_1)
	v_mov_b32_e32 v127, v123
	ds_load_2addr_b64 v[122:125], v116 offset0:32 offset1:33
	v_pk_add_f32 v[46:47], v[46:47], v[126:127] neg_lo:[0,1] neg_hi:[0,1]
	s_wait_dscnt 0x0
	v_pk_mul_f32 v[126:127], v[122:123], v[114:115] op_sel:[0,1]
	v_pk_fma_f32 v[128:129], v[122:123], v[112:113], v[126:127] op_sel:[0,0,1] op_sel_hi:[1,1,0] neg_lo:[0,0,1] neg_hi:[0,0,1]
	v_pk_fma_f32 v[122:123], v[122:123], v[112:113], v[126:127] op_sel:[0,0,1] op_sel_hi:[1,0,0]
	s_delay_alu instid0(VALU_DEP_1) | instskip(SKIP_1) | instid1(VALU_DEP_1)
	v_mov_b32_e32 v129, v123
	v_pk_mul_f32 v[122:123], v[124:125], v[114:115] op_sel:[0,1]
	v_pk_fma_f32 v[126:127], v[124:125], v[112:113], v[122:123] op_sel:[0,0,1] op_sel_hi:[1,1,0] neg_lo:[0,0,1] neg_hi:[0,0,1]
	v_pk_fma_f32 v[122:123], v[124:125], v[112:113], v[122:123] op_sel:[0,0,1] op_sel_hi:[1,0,0]
	s_delay_alu instid0(VALU_DEP_1)
	v_mov_b32_e32 v127, v123
	ds_load_2addr_b64 v[122:125], v116 offset0:34 offset1:35
	v_pk_add_f32 v[44:45], v[44:45], v[128:129] neg_lo:[0,1] neg_hi:[0,1]
	v_pk_add_f32 v[40:41], v[40:41], v[126:127] neg_lo:[0,1] neg_hi:[0,1]
	s_wait_dscnt 0x0
	v_pk_mul_f32 v[126:127], v[122:123], v[114:115] op_sel:[0,1]
	s_delay_alu instid0(VALU_DEP_1) | instskip(SKIP_1) | instid1(VALU_DEP_1)
	v_pk_fma_f32 v[128:129], v[122:123], v[112:113], v[126:127] op_sel:[0,0,1] op_sel_hi:[1,1,0] neg_lo:[0,0,1] neg_hi:[0,0,1]
	v_pk_fma_f32 v[122:123], v[122:123], v[112:113], v[126:127] op_sel:[0,0,1] op_sel_hi:[1,0,0]
	v_mov_b32_e32 v129, v123
	v_pk_mul_f32 v[122:123], v[124:125], v[114:115] op_sel:[0,1]
	s_delay_alu instid0(VALU_DEP_1) | instskip(SKIP_1) | instid1(VALU_DEP_1)
	v_pk_fma_f32 v[126:127], v[124:125], v[112:113], v[122:123] op_sel:[0,0,1] op_sel_hi:[1,1,0] neg_lo:[0,0,1] neg_hi:[0,0,1]
	v_pk_fma_f32 v[122:123], v[124:125], v[112:113], v[122:123] op_sel:[0,0,1] op_sel_hi:[1,0,0]
	v_mov_b32_e32 v127, v123
	ds_load_2addr_b64 v[122:125], v116 offset0:36 offset1:37
	v_pk_add_f32 v[42:43], v[42:43], v[128:129] neg_lo:[0,1] neg_hi:[0,1]
	v_pk_add_f32 v[38:39], v[38:39], v[126:127] neg_lo:[0,1] neg_hi:[0,1]
	s_wait_dscnt 0x0
	v_dual_mul_f32 v126, v123, v115 :: v_dual_mul_f32 v128, v123, v112
	s_delay_alu instid0(VALU_DEP_1) | instskip(NEXT) | instid1(VALU_DEP_2)
	v_pk_fma_f32 v[126:127], v[122:123], v[80:81], v[126:127] op_sel_hi:[1,1,0] neg_lo:[0,0,1] neg_hi:[0,0,1]
	v_pk_fma_f32 v[122:123], v[122:123], v[80:81], v[128:129] op_sel:[1,0,0] op_sel_hi:[0,1,0]
	s_delay_alu instid0(VALU_DEP_1) | instskip(SKIP_1) | instid1(VALU_DEP_2)
	v_mov_b32_e32 v127, v123
	v_pk_mul_f32 v[122:123], v[124:125], v[114:115] op_sel:[0,1]
	v_pk_add_f32 v[36:37], v[36:37], v[126:127] neg_lo:[0,1] neg_hi:[0,1]
	s_delay_alu instid0(VALU_DEP_2) | instskip(SKIP_1) | instid1(VALU_DEP_1)
	v_pk_fma_f32 v[126:127], v[124:125], v[112:113], v[122:123] op_sel:[0,0,1] op_sel_hi:[1,1,0] neg_lo:[0,0,1] neg_hi:[0,0,1]
	v_pk_fma_f32 v[122:123], v[124:125], v[112:113], v[122:123] op_sel:[0,0,1] op_sel_hi:[1,0,0]
	v_mov_b32_e32 v127, v123
	ds_load_2addr_b64 v[122:125], v116 offset0:38 offset1:39
	v_pk_add_f32 v[32:33], v[32:33], v[126:127] neg_lo:[0,1] neg_hi:[0,1]
	s_wait_dscnt 0x0
	v_pk_mul_f32 v[126:127], v[122:123], v[114:115] op_sel:[0,1]
	s_delay_alu instid0(VALU_DEP_1) | instskip(SKIP_1) | instid1(VALU_DEP_1)
	v_pk_fma_f32 v[128:129], v[122:123], v[112:113], v[126:127] op_sel:[0,0,1] op_sel_hi:[1,1,0] neg_lo:[0,0,1] neg_hi:[0,0,1]
	v_pk_fma_f32 v[122:123], v[122:123], v[112:113], v[126:127] op_sel:[0,0,1] op_sel_hi:[1,0,0]
	v_mov_b32_e32 v129, v123
	v_pk_mul_f32 v[122:123], v[124:125], v[114:115] op_sel:[0,1]
	s_delay_alu instid0(VALU_DEP_2) | instskip(NEXT) | instid1(VALU_DEP_2)
	v_pk_add_f32 v[34:35], v[34:35], v[128:129] neg_lo:[0,1] neg_hi:[0,1]
	v_pk_fma_f32 v[126:127], v[124:125], v[112:113], v[122:123] op_sel:[0,0,1] op_sel_hi:[1,1,0] neg_lo:[0,0,1] neg_hi:[0,0,1]
	v_pk_fma_f32 v[122:123], v[124:125], v[112:113], v[122:123] op_sel:[0,0,1] op_sel_hi:[1,0,0]
	s_delay_alu instid0(VALU_DEP_1) | instskip(SKIP_4) | instid1(VALU_DEP_1)
	v_mov_b32_e32 v127, v123
	ds_load_2addr_b64 v[122:125], v116 offset0:40 offset1:41
	v_pk_add_f32 v[30:31], v[30:31], v[126:127] neg_lo:[0,1] neg_hi:[0,1]
	s_wait_dscnt 0x0
	v_pk_mul_f32 v[126:127], v[122:123], v[114:115] op_sel:[0,1]
	v_pk_fma_f32 v[128:129], v[122:123], v[112:113], v[126:127] op_sel:[0,0,1] op_sel_hi:[1,1,0] neg_lo:[0,0,1] neg_hi:[0,0,1]
	v_pk_fma_f32 v[122:123], v[122:123], v[112:113], v[126:127] op_sel:[0,0,1] op_sel_hi:[1,0,0]
	v_dual_mul_f32 v126, v125, v115 :: v_dual_mov_b32 v122, v125
	s_delay_alu instid0(VALU_DEP_2) | instskip(NEXT) | instid1(VALU_DEP_2)
	v_dual_mov_b32 v129, v123 :: v_dual_mov_b32 v123, v124
	v_pk_fma_f32 v[126:127], v[124:125], v[80:81], v[126:127] op_sel_hi:[1,1,0] neg_lo:[0,0,1] neg_hi:[0,0,1]
	v_mul_f32_e32 v124, v125, v112
	s_delay_alu instid0(VALU_DEP_3) | instskip(NEXT) | instid1(VALU_DEP_2)
	v_pk_add_f32 v[26:27], v[26:27], v[128:129] neg_lo:[0,1] neg_hi:[0,1]
	v_pk_fma_f32 v[122:123], v[122:123], v[80:81], v[124:125] op_sel_hi:[1,1,0]
	s_delay_alu instid0(VALU_DEP_1) | instskip(SKIP_4) | instid1(VALU_DEP_1)
	v_mov_b32_e32 v127, v123
	ds_load_2addr_b64 v[122:125], v116 offset0:42 offset1:43
	v_pk_add_f32 v[22:23], v[22:23], v[126:127] neg_lo:[0,1] neg_hi:[0,1]
	s_wait_dscnt 0x0
	v_pk_mul_f32 v[126:127], v[122:123], v[114:115] op_sel:[0,1]
	v_pk_fma_f32 v[128:129], v[122:123], v[112:113], v[126:127] op_sel:[0,0,1] op_sel_hi:[1,1,0] neg_lo:[0,0,1] neg_hi:[0,0,1]
	v_pk_fma_f32 v[122:123], v[122:123], v[112:113], v[126:127] op_sel:[0,0,1] op_sel_hi:[1,0,0]
	s_delay_alu instid0(VALU_DEP_1) | instskip(SKIP_1) | instid1(VALU_DEP_1)
	v_mov_b32_e32 v129, v123
	v_pk_mul_f32 v[122:123], v[124:125], v[114:115] op_sel:[0,1]
	v_pk_fma_f32 v[126:127], v[124:125], v[112:113], v[122:123] op_sel:[0,0,1] op_sel_hi:[1,1,0] neg_lo:[0,0,1] neg_hi:[0,0,1]
	v_pk_fma_f32 v[122:123], v[124:125], v[112:113], v[122:123] op_sel:[0,0,1] op_sel_hi:[1,0,0]
	s_delay_alu instid0(VALU_DEP_1)
	v_mov_b32_e32 v127, v123
	ds_load_2addr_b64 v[122:125], v116 offset0:44 offset1:45
	v_pk_add_f32 v[24:25], v[24:25], v[128:129] neg_lo:[0,1] neg_hi:[0,1]
	v_pk_add_f32 v[20:21], v[20:21], v[126:127] neg_lo:[0,1] neg_hi:[0,1]
	s_wait_dscnt 0x0
	v_pk_mul_f32 v[126:127], v[122:123], v[114:115] op_sel:[0,1]
	s_delay_alu instid0(VALU_DEP_1) | instskip(SKIP_1) | instid1(VALU_DEP_1)
	v_pk_fma_f32 v[128:129], v[122:123], v[112:113], v[126:127] op_sel:[0,0,1] op_sel_hi:[1,1,0] neg_lo:[0,0,1] neg_hi:[0,0,1]
	v_pk_fma_f32 v[122:123], v[122:123], v[112:113], v[126:127] op_sel:[0,0,1] op_sel_hi:[1,0,0]
	v_mov_b32_e32 v129, v123
	v_pk_mul_f32 v[122:123], v[124:125], v[114:115] op_sel:[0,1]
	s_delay_alu instid0(VALU_DEP_1) | instskip(SKIP_1) | instid1(VALU_DEP_1)
	v_pk_fma_f32 v[126:127], v[124:125], v[112:113], v[122:123] op_sel:[0,0,1] op_sel_hi:[1,1,0] neg_lo:[0,0,1] neg_hi:[0,0,1]
	v_pk_fma_f32 v[122:123], v[124:125], v[112:113], v[122:123] op_sel:[0,0,1] op_sel_hi:[1,0,0]
	v_mov_b32_e32 v127, v123
	ds_load_2addr_b64 v[122:125], v116 offset0:46 offset1:47
	v_pk_add_f32 v[14:15], v[14:15], v[128:129] neg_lo:[0,1] neg_hi:[0,1]
	v_pk_add_f32 v[10:11], v[10:11], v[126:127] neg_lo:[0,1] neg_hi:[0,1]
	s_wait_dscnt 0x0
	v_dual_mul_f32 v126, v123, v115 :: v_dual_mul_f32 v128, v123, v112
	s_delay_alu instid0(VALU_DEP_1) | instskip(NEXT) | instid1(VALU_DEP_2)
	v_pk_fma_f32 v[126:127], v[122:123], v[80:81], v[126:127] op_sel_hi:[1,1,0] neg_lo:[0,0,1] neg_hi:[0,0,1]
	v_pk_fma_f32 v[122:123], v[122:123], v[80:81], v[128:129] op_sel:[1,0,0] op_sel_hi:[0,1,0]
	s_delay_alu instid0(VALU_DEP_1) | instskip(SKIP_1) | instid1(VALU_DEP_2)
	v_mov_b32_e32 v127, v123
	v_pk_mul_f32 v[122:123], v[124:125], v[114:115] op_sel:[0,1]
	v_pk_add_f32 v[12:13], v[12:13], v[126:127] neg_lo:[0,1] neg_hi:[0,1]
	s_delay_alu instid0(VALU_DEP_2) | instskip(SKIP_1) | instid1(VALU_DEP_1)
	v_pk_fma_f32 v[126:127], v[124:125], v[112:113], v[122:123] op_sel:[0,0,1] op_sel_hi:[1,1,0] neg_lo:[0,0,1] neg_hi:[0,0,1]
	v_pk_fma_f32 v[122:123], v[124:125], v[112:113], v[122:123] op_sel:[0,0,1] op_sel_hi:[1,0,0]
	v_mov_b32_e32 v127, v123
	ds_load_2addr_b64 v[122:125], v116 offset0:48 offset1:49
	v_pk_add_f32 v[8:9], v[8:9], v[126:127] neg_lo:[0,1] neg_hi:[0,1]
	s_wait_dscnt 0x0
	v_pk_mul_f32 v[126:127], v[122:123], v[114:115] op_sel:[0,1]
	s_delay_alu instid0(VALU_DEP_1) | instskip(SKIP_1) | instid1(VALU_DEP_1)
	v_pk_fma_f32 v[128:129], v[122:123], v[112:113], v[126:127] op_sel:[0,0,1] op_sel_hi:[1,1,0] neg_lo:[0,0,1] neg_hi:[0,0,1]
	v_pk_fma_f32 v[122:123], v[122:123], v[112:113], v[126:127] op_sel:[0,0,1] op_sel_hi:[1,0,0]
	v_mov_b32_e32 v129, v123
	v_pk_mul_f32 v[122:123], v[124:125], v[114:115] op_sel:[0,1]
	s_delay_alu instid0(VALU_DEP_2) | instskip(NEXT) | instid1(VALU_DEP_2)
	v_pk_add_f32 v[6:7], v[6:7], v[128:129] neg_lo:[0,1] neg_hi:[0,1]
	v_pk_fma_f32 v[126:127], v[124:125], v[112:113], v[122:123] op_sel:[0,0,1] op_sel_hi:[1,1,0] neg_lo:[0,0,1] neg_hi:[0,0,1]
	v_pk_fma_f32 v[122:123], v[124:125], v[112:113], v[122:123] op_sel:[0,0,1] op_sel_hi:[1,0,0]
	s_delay_alu instid0(VALU_DEP_1) | instskip(SKIP_4) | instid1(VALU_DEP_1)
	v_mov_b32_e32 v127, v123
	ds_load_2addr_b64 v[122:125], v116 offset0:50 offset1:51
	v_pk_add_f32 v[28:29], v[28:29], v[126:127] neg_lo:[0,1] neg_hi:[0,1]
	s_wait_dscnt 0x0
	v_pk_mul_f32 v[126:127], v[122:123], v[114:115] op_sel:[0,1]
	v_pk_fma_f32 v[128:129], v[122:123], v[112:113], v[126:127] op_sel:[0,0,1] op_sel_hi:[1,1,0] neg_lo:[0,0,1] neg_hi:[0,0,1]
	v_pk_fma_f32 v[122:123], v[122:123], v[112:113], v[126:127] op_sel:[0,0,1] op_sel_hi:[1,0,0]
	v_dual_mul_f32 v126, v125, v115 :: v_dual_mov_b32 v122, v125
	s_delay_alu instid0(VALU_DEP_2) | instskip(NEXT) | instid1(VALU_DEP_2)
	v_dual_mov_b32 v129, v123 :: v_dual_mov_b32 v123, v124
	v_pk_fma_f32 v[126:127], v[124:125], v[80:81], v[126:127] op_sel_hi:[1,1,0] neg_lo:[0,0,1] neg_hi:[0,0,1]
	v_mul_f32_e32 v124, v125, v112
	s_delay_alu instid0(VALU_DEP_3) | instskip(NEXT) | instid1(VALU_DEP_2)
	v_pk_add_f32 v[18:19], v[18:19], v[128:129] neg_lo:[0,1] neg_hi:[0,1]
	v_pk_fma_f32 v[122:123], v[122:123], v[80:81], v[124:125] op_sel_hi:[1,1,0]
	s_delay_alu instid0(VALU_DEP_1) | instskip(SKIP_4) | instid1(VALU_DEP_1)
	v_mov_b32_e32 v127, v123
	ds_load_b64 v[122:123], v116 offset:416
	v_pk_add_f32 v[16:17], v[16:17], v[126:127] neg_lo:[0,1] neg_hi:[0,1]
	s_wait_dscnt 0x0
	v_pk_mul_f32 v[114:115], v[122:123], v[114:115] op_sel:[0,1]
	v_pk_fma_f32 v[124:125], v[122:123], v[112:113], v[114:115] op_sel:[0,0,1] op_sel_hi:[1,1,0] neg_lo:[0,0,1] neg_hi:[0,0,1]
	v_pk_fma_f32 v[112:113], v[122:123], v[112:113], v[114:115] op_sel:[0,0,1] op_sel_hi:[1,0,0]
	s_delay_alu instid0(VALU_DEP_1) | instskip(NEXT) | instid1(VALU_DEP_1)
	v_mov_b32_e32 v125, v113
	v_pk_add_f32 v[110:111], v[110:111], v[124:125] neg_lo:[0,1] neg_hi:[0,1]
.LBB104_377:
	s_or_b32 exec_lo, exec_lo, s0
	v_lshl_add_u32 v112, v120, 3, v116
	s_barrier_signal -1
	s_barrier_wait -1
	ds_store_b64 v112, v[82:83]
	s_wait_dscnt 0x0
	s_barrier_signal -1
	s_barrier_wait -1
	ds_load_b64 v[114:115], v116 offset:144
	v_mov_b32_e32 v112, 18
	s_cmp_lt_i32 s18, 20
	s_cbranch_scc1 .LBB104_380
; %bb.378:
	v_add3_u32 v113, v117, 0, 0x98
	v_mov_b32_e32 v112, 18
	s_mov_b32 s0, 19
.LBB104_379:                            ; =>This Inner Loop Header: Depth=1
	ds_load_b64 v[122:123], v113
	s_wait_dscnt 0x1
	v_cmp_gt_f32_e32 vcc_lo, 0, v114
	v_cndmask_b32_e64 v124, v114, -v114, vcc_lo
	v_cmp_gt_f32_e32 vcc_lo, 0, v115
	v_cndmask_b32_e64 v126, v115, -v115, vcc_lo
	s_wait_dscnt 0x0
	v_cmp_gt_f32_e32 vcc_lo, 0, v122
	v_cndmask_b32_e64 v125, v122, -v122, vcc_lo
	v_cmp_gt_f32_e32 vcc_lo, 0, v123
	v_cndmask_b32_e64 v127, v123, -v123, vcc_lo
	s_delay_alu instid0(VALU_DEP_1) | instskip(NEXT) | instid1(VALU_DEP_1)
	v_pk_add_f32 v[124:125], v[124:125], v[126:127]
	v_cmp_lt_f32_e32 vcc_lo, v124, v125
	v_dual_add_nc_u32 v113, 8, v113 :: v_dual_cndmask_b32 v115, v115, v123, vcc_lo
	v_cndmask_b32_e32 v114, v114, v122, vcc_lo
	v_cndmask_b32_e64 v112, v112, s0, vcc_lo
	s_add_co_i32 s0, s0, 1
	s_delay_alu instid0(SALU_CYCLE_1)
	s_cmp_lg_u32 s18, s0
	s_cbranch_scc1 .LBB104_379
.LBB104_380:
	s_wait_dscnt 0x0
	v_cmp_eq_f32_e32 vcc_lo, 0, v114
	v_cmp_eq_f32_e64 s0, 0, v115
	s_and_b32 s0, vcc_lo, s0
	s_delay_alu instid0(SALU_CYCLE_1) | instskip(NEXT) | instid1(SALU_CYCLE_1)
	s_and_saveexec_b32 s1, s0
	s_xor_b32 s0, exec_lo, s1
; %bb.381:
	v_cmp_ne_u32_e32 vcc_lo, 0, v118
	v_cndmask_b32_e32 v118, 19, v118, vcc_lo
; %bb.382:
	s_and_not1_saveexec_b32 s0, s0
	s_cbranch_execz .LBB104_388
; %bb.383:
	v_cmp_ngt_f32_e64 s1, |v114|, |v115|
	s_and_saveexec_b32 s12, s1
	s_delay_alu instid0(SALU_CYCLE_1)
	s_xor_b32 s1, exec_lo, s12
	s_cbranch_execz .LBB104_385
; %bb.384:
	v_div_scale_f32 v113, null, v115, v115, v114
	v_div_scale_f32 v123, vcc_lo, v114, v115, v114
	s_delay_alu instid0(VALU_DEP_2) | instskip(SKIP_1) | instid1(TRANS32_DEP_1)
	v_rcp_f32_e32 v121, v113
	v_nop
	v_fma_f32 v122, -v113, v121, 1.0
	s_delay_alu instid0(VALU_DEP_1) | instskip(NEXT) | instid1(VALU_DEP_1)
	v_fmac_f32_e32 v121, v122, v121
	v_mul_f32_e32 v122, v123, v121
	s_delay_alu instid0(VALU_DEP_1) | instskip(NEXT) | instid1(VALU_DEP_1)
	v_fma_f32 v124, -v113, v122, v123
	v_fmac_f32_e32 v122, v124, v121
	s_delay_alu instid0(VALU_DEP_1) | instskip(NEXT) | instid1(VALU_DEP_1)
	v_fma_f32 v113, -v113, v122, v123
	v_div_fmas_f32 v113, v113, v121, v122
	s_delay_alu instid0(VALU_DEP_1) | instskip(NEXT) | instid1(VALU_DEP_1)
	v_div_fixup_f32 v113, v113, v115, v114
	v_fmac_f32_e32 v115, v114, v113
	s_delay_alu instid0(VALU_DEP_1) | instskip(SKIP_1) | instid1(VALU_DEP_2)
	v_div_scale_f32 v114, null, v115, v115, 1.0
	v_div_scale_f32 v123, vcc_lo, 1.0, v115, 1.0
	v_rcp_f32_e32 v121, v114
	v_nop
	s_delay_alu instid0(TRANS32_DEP_1) | instskip(NEXT) | instid1(VALU_DEP_1)
	v_fma_f32 v122, -v114, v121, 1.0
	v_fmac_f32_e32 v121, v122, v121
	s_delay_alu instid0(VALU_DEP_1) | instskip(NEXT) | instid1(VALU_DEP_1)
	v_mul_f32_e32 v122, v123, v121
	v_fma_f32 v124, -v114, v122, v123
	s_delay_alu instid0(VALU_DEP_1) | instskip(NEXT) | instid1(VALU_DEP_1)
	v_fmac_f32_e32 v122, v124, v121
	v_fma_f32 v114, -v114, v122, v123
	s_delay_alu instid0(VALU_DEP_1) | instskip(NEXT) | instid1(VALU_DEP_1)
	v_div_fmas_f32 v114, v114, v121, v122
	v_div_fixup_f32 v115, v114, v115, 1.0
	s_delay_alu instid0(VALU_DEP_1)
	v_mul_f32_e32 v114, v113, v115
	v_xor_b32_e32 v115, 0x80000000, v115
.LBB104_385:
	s_and_not1_saveexec_b32 s1, s1
	s_cbranch_execz .LBB104_387
; %bb.386:
	s_delay_alu instid0(VALU_DEP_1) | instskip(SKIP_1) | instid1(VALU_DEP_2)
	v_div_scale_f32 v113, null, v114, v114, v115
	v_div_scale_f32 v123, vcc_lo, v115, v114, v115
	v_rcp_f32_e32 v121, v113
	v_nop
	s_delay_alu instid0(TRANS32_DEP_1) | instskip(NEXT) | instid1(VALU_DEP_1)
	v_fma_f32 v122, -v113, v121, 1.0
	v_fmac_f32_e32 v121, v122, v121
	s_delay_alu instid0(VALU_DEP_1) | instskip(NEXT) | instid1(VALU_DEP_1)
	v_mul_f32_e32 v122, v123, v121
	v_fma_f32 v124, -v113, v122, v123
	s_delay_alu instid0(VALU_DEP_1) | instskip(NEXT) | instid1(VALU_DEP_1)
	v_fmac_f32_e32 v122, v124, v121
	v_fma_f32 v113, -v113, v122, v123
	s_delay_alu instid0(VALU_DEP_1) | instskip(NEXT) | instid1(VALU_DEP_1)
	v_div_fmas_f32 v113, v113, v121, v122
	v_div_fixup_f32 v113, v113, v114, v115
	s_delay_alu instid0(VALU_DEP_1) | instskip(NEXT) | instid1(VALU_DEP_1)
	v_fmac_f32_e32 v114, v115, v113
	v_div_scale_f32 v115, null, v114, v114, 1.0
	s_delay_alu instid0(VALU_DEP_1) | instskip(SKIP_1) | instid1(TRANS32_DEP_1)
	v_rcp_f32_e32 v121, v115
	v_nop
	v_fma_f32 v122, -v115, v121, 1.0
	s_delay_alu instid0(VALU_DEP_1) | instskip(SKIP_1) | instid1(VALU_DEP_1)
	v_fmac_f32_e32 v121, v122, v121
	v_div_scale_f32 v122, vcc_lo, 1.0, v114, 1.0
	v_mul_f32_e32 v123, v122, v121
	s_delay_alu instid0(VALU_DEP_1) | instskip(NEXT) | instid1(VALU_DEP_1)
	v_fma_f32 v124, -v115, v123, v122
	v_fmac_f32_e32 v123, v124, v121
	s_delay_alu instid0(VALU_DEP_1) | instskip(NEXT) | instid1(VALU_DEP_1)
	v_fma_f32 v115, -v115, v123, v122
	v_div_fmas_f32 v115, v115, v121, v123
	s_delay_alu instid0(VALU_DEP_1) | instskip(NEXT) | instid1(VALU_DEP_1)
	v_div_fixup_f32 v114, v115, v114, 1.0
	v_mul_f32_e64 v115, v113, -v114
.LBB104_387:
	s_or_b32 exec_lo, exec_lo, s1
.LBB104_388:
	s_delay_alu instid0(SALU_CYCLE_1) | instskip(NEXT) | instid1(SALU_CYCLE_1)
	s_or_b32 exec_lo, exec_lo, s0
	s_mov_b32 s0, exec_lo
	v_cmpx_ne_u32_e64 v120, v112
	s_xor_b32 s0, exec_lo, s0
	s_cbranch_execz .LBB104_394
; %bb.389:
	s_mov_b32 s1, exec_lo
	v_cmpx_eq_u32_e32 18, v120
	s_cbranch_execz .LBB104_393
; %bb.390:
	v_cmp_ne_u32_e32 vcc_lo, 18, v112
	s_xor_b32 s12, s16, -1
	s_delay_alu instid0(SALU_CYCLE_1) | instskip(NEXT) | instid1(SALU_CYCLE_1)
	s_and_b32 s13, s12, vcc_lo
	s_and_saveexec_b32 s12, s13
	s_cbranch_execz .LBB104_392
; %bb.391:
	v_ashrrev_i32_e32 v113, 31, v112
	s_delay_alu instid0(VALU_DEP_1)
	v_lshl_add_u64 v[120:121], v[112:113], 2, v[4:5]
	s_clause 0x1
	global_load_b32 v113, v[120:121], off
	global_load_b32 v119, v[4:5], off offset:72
	s_wait_loadcnt 0x1
	global_store_b32 v[4:5], v113, off offset:72
	s_wait_loadcnt 0x0
	global_store_b32 v[120:121], v119, off
.LBB104_392:
	s_wait_xcnt 0x0
	s_or_b32 exec_lo, exec_lo, s12
	v_dual_mov_b32 v120, v112 :: v_dual_mov_b32 v119, v112
.LBB104_393:
	s_or_b32 exec_lo, exec_lo, s1
.LBB104_394:
	s_and_not1_saveexec_b32 s0, s0
	s_cbranch_execz .LBB104_396
; %bb.395:
	v_mov_b32_e32 v120, 18
	ds_store_2addr_b64 v116, v[78:79], v[76:77] offset0:19 offset1:20
	ds_store_2addr_b64 v116, v[72:73], v[74:75] offset0:21 offset1:22
	;; [unrolled: 1-line block ×17, first 2 shown]
.LBB104_396:
	s_or_b32 exec_lo, exec_lo, s0
	s_delay_alu instid0(SALU_CYCLE_1)
	s_mov_b32 s0, exec_lo
	s_wait_storecnt_dscnt 0x0
	s_barrier_signal -1
	s_barrier_wait -1
	v_cmpx_lt_i32_e32 18, v120
	s_cbranch_execz .LBB104_398
; %bb.397:
	v_pk_mul_f32 v[122:123], v[114:115], v[82:83] op_sel:[1,1] op_sel_hi:[0,1]
	s_delay_alu instid0(VALU_DEP_1)
	v_pk_fma_f32 v[112:113], v[114:115], v[82:83], v[122:123] op_sel_hi:[1,0,1] neg_lo:[0,0,1] neg_hi:[0,0,1]
	v_pk_fma_f32 v[114:115], v[114:115], v[82:83], v[122:123] op_sel_hi:[1,0,1]
	ds_load_2addr_b64 v[122:125], v116 offset0:19 offset1:20
	v_dual_mov_b32 v82, v112 :: v_dual_mov_b32 v83, v115
	s_wait_dscnt 0x0
	v_pk_mul_f32 v[126:127], v[122:123], v[114:115] op_sel:[0,1]
	s_delay_alu instid0(VALU_DEP_1) | instskip(SKIP_1) | instid1(VALU_DEP_1)
	v_pk_fma_f32 v[128:129], v[122:123], v[112:113], v[126:127] op_sel:[0,0,1] op_sel_hi:[1,1,0] neg_lo:[0,0,1] neg_hi:[0,0,1]
	v_pk_fma_f32 v[122:123], v[122:123], v[112:113], v[126:127] op_sel:[0,0,1] op_sel_hi:[1,0,0]
	v_mov_b32_e32 v129, v123
	v_pk_mul_f32 v[122:123], v[124:125], v[114:115] op_sel:[0,1]
	s_delay_alu instid0(VALU_DEP_1) | instskip(SKIP_1) | instid1(VALU_DEP_1)
	v_pk_fma_f32 v[126:127], v[124:125], v[112:113], v[122:123] op_sel:[0,0,1] op_sel_hi:[1,1,0] neg_lo:[0,0,1] neg_hi:[0,0,1]
	v_pk_fma_f32 v[122:123], v[124:125], v[112:113], v[122:123] op_sel:[0,0,1] op_sel_hi:[1,0,0]
	v_mov_b32_e32 v127, v123
	ds_load_2addr_b64 v[122:125], v116 offset0:21 offset1:22
	v_pk_add_f32 v[78:79], v[78:79], v[128:129] neg_lo:[0,1] neg_hi:[0,1]
	v_pk_add_f32 v[76:77], v[76:77], v[126:127] neg_lo:[0,1] neg_hi:[0,1]
	s_wait_dscnt 0x0
	v_pk_mul_f32 v[126:127], v[122:123], v[114:115] op_sel:[0,1]
	s_delay_alu instid0(VALU_DEP_1) | instskip(SKIP_2) | instid1(VALU_DEP_2)
	v_pk_fma_f32 v[128:129], v[122:123], v[112:113], v[126:127] op_sel:[0,0,1] op_sel_hi:[1,1,0] neg_lo:[0,0,1] neg_hi:[0,0,1]
	v_pk_fma_f32 v[122:123], v[122:123], v[112:113], v[126:127] op_sel:[0,0,1] op_sel_hi:[1,0,0]
	v_dual_mul_f32 v126, v125, v115 :: v_dual_mov_b32 v122, v125
	v_dual_mov_b32 v129, v123 :: v_dual_mov_b32 v123, v124
	s_delay_alu instid0(VALU_DEP_2) | instskip(SKIP_1) | instid1(VALU_DEP_3)
	v_pk_fma_f32 v[126:127], v[124:125], v[82:83], v[126:127] op_sel_hi:[1,1,0] neg_lo:[0,0,1] neg_hi:[0,0,1]
	v_mul_f32_e32 v124, v125, v112
	v_pk_add_f32 v[72:73], v[72:73], v[128:129] neg_lo:[0,1] neg_hi:[0,1]
	s_delay_alu instid0(VALU_DEP_2) | instskip(NEXT) | instid1(VALU_DEP_1)
	v_pk_fma_f32 v[122:123], v[122:123], v[82:83], v[124:125] op_sel_hi:[1,1,0]
	v_mov_b32_e32 v127, v123
	ds_load_2addr_b64 v[122:125], v116 offset0:23 offset1:24
	v_pk_add_f32 v[74:75], v[74:75], v[126:127] neg_lo:[0,1] neg_hi:[0,1]
	s_wait_dscnt 0x0
	v_pk_mul_f32 v[126:127], v[122:123], v[114:115] op_sel:[0,1]
	s_delay_alu instid0(VALU_DEP_1) | instskip(SKIP_1) | instid1(VALU_DEP_1)
	v_pk_fma_f32 v[128:129], v[122:123], v[112:113], v[126:127] op_sel:[0,0,1] op_sel_hi:[1,1,0] neg_lo:[0,0,1] neg_hi:[0,0,1]
	v_pk_fma_f32 v[122:123], v[122:123], v[112:113], v[126:127] op_sel:[0,0,1] op_sel_hi:[1,0,0]
	v_mov_b32_e32 v129, v123
	v_pk_mul_f32 v[122:123], v[124:125], v[114:115] op_sel:[0,1]
	s_delay_alu instid0(VALU_DEP_1) | instskip(SKIP_1) | instid1(VALU_DEP_1)
	v_pk_fma_f32 v[126:127], v[124:125], v[112:113], v[122:123] op_sel:[0,0,1] op_sel_hi:[1,1,0] neg_lo:[0,0,1] neg_hi:[0,0,1]
	v_pk_fma_f32 v[122:123], v[124:125], v[112:113], v[122:123] op_sel:[0,0,1] op_sel_hi:[1,0,0]
	v_mov_b32_e32 v127, v123
	ds_load_2addr_b64 v[122:125], v116 offset0:25 offset1:26
	v_pk_add_f32 v[70:71], v[70:71], v[128:129] neg_lo:[0,1] neg_hi:[0,1]
	v_pk_add_f32 v[68:69], v[68:69], v[126:127] neg_lo:[0,1] neg_hi:[0,1]
	s_wait_dscnt 0x0
	v_pk_mul_f32 v[126:127], v[122:123], v[114:115] op_sel:[0,1]
	s_delay_alu instid0(VALU_DEP_1) | instskip(SKIP_1) | instid1(VALU_DEP_1)
	v_pk_fma_f32 v[128:129], v[122:123], v[112:113], v[126:127] op_sel:[0,0,1] op_sel_hi:[1,1,0] neg_lo:[0,0,1] neg_hi:[0,0,1]
	v_pk_fma_f32 v[122:123], v[122:123], v[112:113], v[126:127] op_sel:[0,0,1] op_sel_hi:[1,0,0]
	v_mov_b32_e32 v129, v123
	v_pk_mul_f32 v[122:123], v[124:125], v[114:115] op_sel:[0,1]
	s_delay_alu instid0(VALU_DEP_1) | instskip(SKIP_1) | instid1(VALU_DEP_1)
	v_pk_fma_f32 v[126:127], v[124:125], v[112:113], v[122:123] op_sel:[0,0,1] op_sel_hi:[1,1,0] neg_lo:[0,0,1] neg_hi:[0,0,1]
	v_pk_fma_f32 v[122:123], v[124:125], v[112:113], v[122:123] op_sel:[0,0,1] op_sel_hi:[1,0,0]
	v_mov_b32_e32 v127, v123
	ds_load_2addr_b64 v[122:125], v116 offset0:27 offset1:28
	v_pk_add_f32 v[64:65], v[64:65], v[128:129] neg_lo:[0,1] neg_hi:[0,1]
	v_pk_add_f32 v[66:67], v[66:67], v[126:127] neg_lo:[0,1] neg_hi:[0,1]
	s_wait_dscnt 0x0
	v_dual_mul_f32 v126, v123, v115 :: v_dual_mul_f32 v128, v123, v112
	s_delay_alu instid0(VALU_DEP_1) | instskip(NEXT) | instid1(VALU_DEP_2)
	v_pk_fma_f32 v[126:127], v[122:123], v[82:83], v[126:127] op_sel_hi:[1,1,0] neg_lo:[0,0,1] neg_hi:[0,0,1]
	v_pk_fma_f32 v[122:123], v[122:123], v[82:83], v[128:129] op_sel:[1,0,0] op_sel_hi:[0,1,0]
	s_delay_alu instid0(VALU_DEP_1) | instskip(SKIP_1) | instid1(VALU_DEP_2)
	v_mov_b32_e32 v127, v123
	v_pk_mul_f32 v[122:123], v[124:125], v[114:115] op_sel:[0,1]
	v_pk_add_f32 v[62:63], v[62:63], v[126:127] neg_lo:[0,1] neg_hi:[0,1]
	s_delay_alu instid0(VALU_DEP_2) | instskip(SKIP_1) | instid1(VALU_DEP_1)
	v_pk_fma_f32 v[126:127], v[124:125], v[112:113], v[122:123] op_sel:[0,0,1] op_sel_hi:[1,1,0] neg_lo:[0,0,1] neg_hi:[0,0,1]
	v_pk_fma_f32 v[122:123], v[124:125], v[112:113], v[122:123] op_sel:[0,0,1] op_sel_hi:[1,0,0]
	v_mov_b32_e32 v127, v123
	ds_load_2addr_b64 v[122:125], v116 offset0:29 offset1:30
	v_pk_add_f32 v[52:53], v[52:53], v[126:127] neg_lo:[0,1] neg_hi:[0,1]
	s_wait_dscnt 0x0
	v_pk_mul_f32 v[126:127], v[122:123], v[114:115] op_sel:[0,1]
	s_delay_alu instid0(VALU_DEP_1) | instskip(SKIP_1) | instid1(VALU_DEP_1)
	v_pk_fma_f32 v[128:129], v[122:123], v[112:113], v[126:127] op_sel:[0,0,1] op_sel_hi:[1,1,0] neg_lo:[0,0,1] neg_hi:[0,0,1]
	v_pk_fma_f32 v[122:123], v[122:123], v[112:113], v[126:127] op_sel:[0,0,1] op_sel_hi:[1,0,0]
	v_mov_b32_e32 v129, v123
	v_pk_mul_f32 v[122:123], v[124:125], v[114:115] op_sel:[0,1]
	s_delay_alu instid0(VALU_DEP_2) | instskip(NEXT) | instid1(VALU_DEP_2)
	v_pk_add_f32 v[48:49], v[48:49], v[128:129] neg_lo:[0,1] neg_hi:[0,1]
	v_pk_fma_f32 v[126:127], v[124:125], v[112:113], v[122:123] op_sel:[0,0,1] op_sel_hi:[1,1,0] neg_lo:[0,0,1] neg_hi:[0,0,1]
	v_pk_fma_f32 v[122:123], v[124:125], v[112:113], v[122:123] op_sel:[0,0,1] op_sel_hi:[1,0,0]
	s_delay_alu instid0(VALU_DEP_1) | instskip(SKIP_4) | instid1(VALU_DEP_1)
	v_mov_b32_e32 v127, v123
	ds_load_2addr_b64 v[122:125], v116 offset0:31 offset1:32
	v_pk_add_f32 v[50:51], v[50:51], v[126:127] neg_lo:[0,1] neg_hi:[0,1]
	s_wait_dscnt 0x0
	v_pk_mul_f32 v[126:127], v[122:123], v[114:115] op_sel:[0,1]
	v_pk_fma_f32 v[128:129], v[122:123], v[112:113], v[126:127] op_sel:[0,0,1] op_sel_hi:[1,1,0] neg_lo:[0,0,1] neg_hi:[0,0,1]
	v_pk_fma_f32 v[122:123], v[122:123], v[112:113], v[126:127] op_sel:[0,0,1] op_sel_hi:[1,0,0]
	v_dual_mul_f32 v126, v125, v115 :: v_dual_mov_b32 v122, v125
	s_delay_alu instid0(VALU_DEP_2) | instskip(NEXT) | instid1(VALU_DEP_2)
	v_dual_mov_b32 v129, v123 :: v_dual_mov_b32 v123, v124
	v_pk_fma_f32 v[126:127], v[124:125], v[82:83], v[126:127] op_sel_hi:[1,1,0] neg_lo:[0,0,1] neg_hi:[0,0,1]
	v_mul_f32_e32 v124, v125, v112
	s_delay_alu instid0(VALU_DEP_3) | instskip(NEXT) | instid1(VALU_DEP_2)
	v_pk_add_f32 v[46:47], v[46:47], v[128:129] neg_lo:[0,1] neg_hi:[0,1]
	v_pk_fma_f32 v[122:123], v[122:123], v[82:83], v[124:125] op_sel_hi:[1,1,0]
	s_delay_alu instid0(VALU_DEP_1) | instskip(SKIP_4) | instid1(VALU_DEP_1)
	v_mov_b32_e32 v127, v123
	ds_load_2addr_b64 v[122:125], v116 offset0:33 offset1:34
	v_pk_add_f32 v[44:45], v[44:45], v[126:127] neg_lo:[0,1] neg_hi:[0,1]
	s_wait_dscnt 0x0
	v_pk_mul_f32 v[126:127], v[122:123], v[114:115] op_sel:[0,1]
	v_pk_fma_f32 v[128:129], v[122:123], v[112:113], v[126:127] op_sel:[0,0,1] op_sel_hi:[1,1,0] neg_lo:[0,0,1] neg_hi:[0,0,1]
	v_pk_fma_f32 v[122:123], v[122:123], v[112:113], v[126:127] op_sel:[0,0,1] op_sel_hi:[1,0,0]
	s_delay_alu instid0(VALU_DEP_1) | instskip(SKIP_1) | instid1(VALU_DEP_1)
	v_mov_b32_e32 v129, v123
	v_pk_mul_f32 v[122:123], v[124:125], v[114:115] op_sel:[0,1]
	v_pk_fma_f32 v[126:127], v[124:125], v[112:113], v[122:123] op_sel:[0,0,1] op_sel_hi:[1,1,0] neg_lo:[0,0,1] neg_hi:[0,0,1]
	v_pk_fma_f32 v[122:123], v[124:125], v[112:113], v[122:123] op_sel:[0,0,1] op_sel_hi:[1,0,0]
	s_delay_alu instid0(VALU_DEP_1)
	v_mov_b32_e32 v127, v123
	ds_load_2addr_b64 v[122:125], v116 offset0:35 offset1:36
	v_pk_add_f32 v[40:41], v[40:41], v[128:129] neg_lo:[0,1] neg_hi:[0,1]
	v_pk_add_f32 v[42:43], v[42:43], v[126:127] neg_lo:[0,1] neg_hi:[0,1]
	s_wait_dscnt 0x0
	v_pk_mul_f32 v[126:127], v[122:123], v[114:115] op_sel:[0,1]
	s_delay_alu instid0(VALU_DEP_1) | instskip(SKIP_1) | instid1(VALU_DEP_1)
	v_pk_fma_f32 v[128:129], v[122:123], v[112:113], v[126:127] op_sel:[0,0,1] op_sel_hi:[1,1,0] neg_lo:[0,0,1] neg_hi:[0,0,1]
	v_pk_fma_f32 v[122:123], v[122:123], v[112:113], v[126:127] op_sel:[0,0,1] op_sel_hi:[1,0,0]
	v_mov_b32_e32 v129, v123
	v_pk_mul_f32 v[122:123], v[124:125], v[114:115] op_sel:[0,1]
	s_delay_alu instid0(VALU_DEP_1) | instskip(SKIP_1) | instid1(VALU_DEP_1)
	v_pk_fma_f32 v[126:127], v[124:125], v[112:113], v[122:123] op_sel:[0,0,1] op_sel_hi:[1,1,0] neg_lo:[0,0,1] neg_hi:[0,0,1]
	v_pk_fma_f32 v[122:123], v[124:125], v[112:113], v[122:123] op_sel:[0,0,1] op_sel_hi:[1,0,0]
	v_mov_b32_e32 v127, v123
	ds_load_2addr_b64 v[122:125], v116 offset0:37 offset1:38
	v_pk_add_f32 v[38:39], v[38:39], v[128:129] neg_lo:[0,1] neg_hi:[0,1]
	v_pk_add_f32 v[36:37], v[36:37], v[126:127] neg_lo:[0,1] neg_hi:[0,1]
	s_wait_dscnt 0x0
	v_dual_mul_f32 v126, v123, v115 :: v_dual_mul_f32 v128, v123, v112
	s_delay_alu instid0(VALU_DEP_1) | instskip(NEXT) | instid1(VALU_DEP_2)
	v_pk_fma_f32 v[126:127], v[122:123], v[82:83], v[126:127] op_sel_hi:[1,1,0] neg_lo:[0,0,1] neg_hi:[0,0,1]
	v_pk_fma_f32 v[122:123], v[122:123], v[82:83], v[128:129] op_sel:[1,0,0] op_sel_hi:[0,1,0]
	s_delay_alu instid0(VALU_DEP_1) | instskip(SKIP_1) | instid1(VALU_DEP_2)
	v_mov_b32_e32 v127, v123
	v_pk_mul_f32 v[122:123], v[124:125], v[114:115] op_sel:[0,1]
	v_pk_add_f32 v[32:33], v[32:33], v[126:127] neg_lo:[0,1] neg_hi:[0,1]
	s_delay_alu instid0(VALU_DEP_2) | instskip(SKIP_1) | instid1(VALU_DEP_1)
	v_pk_fma_f32 v[126:127], v[124:125], v[112:113], v[122:123] op_sel:[0,0,1] op_sel_hi:[1,1,0] neg_lo:[0,0,1] neg_hi:[0,0,1]
	v_pk_fma_f32 v[122:123], v[124:125], v[112:113], v[122:123] op_sel:[0,0,1] op_sel_hi:[1,0,0]
	v_mov_b32_e32 v127, v123
	ds_load_2addr_b64 v[122:125], v116 offset0:39 offset1:40
	v_pk_add_f32 v[34:35], v[34:35], v[126:127] neg_lo:[0,1] neg_hi:[0,1]
	s_wait_dscnt 0x0
	v_pk_mul_f32 v[126:127], v[122:123], v[114:115] op_sel:[0,1]
	s_delay_alu instid0(VALU_DEP_1) | instskip(SKIP_1) | instid1(VALU_DEP_1)
	v_pk_fma_f32 v[128:129], v[122:123], v[112:113], v[126:127] op_sel:[0,0,1] op_sel_hi:[1,1,0] neg_lo:[0,0,1] neg_hi:[0,0,1]
	v_pk_fma_f32 v[122:123], v[122:123], v[112:113], v[126:127] op_sel:[0,0,1] op_sel_hi:[1,0,0]
	v_mov_b32_e32 v129, v123
	v_pk_mul_f32 v[122:123], v[124:125], v[114:115] op_sel:[0,1]
	s_delay_alu instid0(VALU_DEP_2) | instskip(NEXT) | instid1(VALU_DEP_2)
	v_pk_add_f32 v[30:31], v[30:31], v[128:129] neg_lo:[0,1] neg_hi:[0,1]
	v_pk_fma_f32 v[126:127], v[124:125], v[112:113], v[122:123] op_sel:[0,0,1] op_sel_hi:[1,1,0] neg_lo:[0,0,1] neg_hi:[0,0,1]
	v_pk_fma_f32 v[122:123], v[124:125], v[112:113], v[122:123] op_sel:[0,0,1] op_sel_hi:[1,0,0]
	s_delay_alu instid0(VALU_DEP_1) | instskip(SKIP_4) | instid1(VALU_DEP_1)
	v_mov_b32_e32 v127, v123
	ds_load_2addr_b64 v[122:125], v116 offset0:41 offset1:42
	v_pk_add_f32 v[26:27], v[26:27], v[126:127] neg_lo:[0,1] neg_hi:[0,1]
	s_wait_dscnt 0x0
	v_pk_mul_f32 v[126:127], v[122:123], v[114:115] op_sel:[0,1]
	v_pk_fma_f32 v[128:129], v[122:123], v[112:113], v[126:127] op_sel:[0,0,1] op_sel_hi:[1,1,0] neg_lo:[0,0,1] neg_hi:[0,0,1]
	v_pk_fma_f32 v[122:123], v[122:123], v[112:113], v[126:127] op_sel:[0,0,1] op_sel_hi:[1,0,0]
	v_dual_mul_f32 v126, v125, v115 :: v_dual_mov_b32 v122, v125
	s_delay_alu instid0(VALU_DEP_2) | instskip(NEXT) | instid1(VALU_DEP_2)
	v_dual_mov_b32 v129, v123 :: v_dual_mov_b32 v123, v124
	v_pk_fma_f32 v[126:127], v[124:125], v[82:83], v[126:127] op_sel_hi:[1,1,0] neg_lo:[0,0,1] neg_hi:[0,0,1]
	v_mul_f32_e32 v124, v125, v112
	s_delay_alu instid0(VALU_DEP_3) | instskip(NEXT) | instid1(VALU_DEP_2)
	v_pk_add_f32 v[22:23], v[22:23], v[128:129] neg_lo:[0,1] neg_hi:[0,1]
	v_pk_fma_f32 v[122:123], v[122:123], v[82:83], v[124:125] op_sel_hi:[1,1,0]
	s_delay_alu instid0(VALU_DEP_1) | instskip(SKIP_4) | instid1(VALU_DEP_1)
	v_mov_b32_e32 v127, v123
	ds_load_2addr_b64 v[122:125], v116 offset0:43 offset1:44
	v_pk_add_f32 v[24:25], v[24:25], v[126:127] neg_lo:[0,1] neg_hi:[0,1]
	s_wait_dscnt 0x0
	v_pk_mul_f32 v[126:127], v[122:123], v[114:115] op_sel:[0,1]
	v_pk_fma_f32 v[128:129], v[122:123], v[112:113], v[126:127] op_sel:[0,0,1] op_sel_hi:[1,1,0] neg_lo:[0,0,1] neg_hi:[0,0,1]
	v_pk_fma_f32 v[122:123], v[122:123], v[112:113], v[126:127] op_sel:[0,0,1] op_sel_hi:[1,0,0]
	s_delay_alu instid0(VALU_DEP_1) | instskip(SKIP_1) | instid1(VALU_DEP_1)
	v_mov_b32_e32 v129, v123
	v_pk_mul_f32 v[122:123], v[124:125], v[114:115] op_sel:[0,1]
	v_pk_fma_f32 v[126:127], v[124:125], v[112:113], v[122:123] op_sel:[0,0,1] op_sel_hi:[1,1,0] neg_lo:[0,0,1] neg_hi:[0,0,1]
	v_pk_fma_f32 v[122:123], v[124:125], v[112:113], v[122:123] op_sel:[0,0,1] op_sel_hi:[1,0,0]
	s_delay_alu instid0(VALU_DEP_1)
	v_mov_b32_e32 v127, v123
	ds_load_2addr_b64 v[122:125], v116 offset0:45 offset1:46
	v_pk_add_f32 v[20:21], v[20:21], v[128:129] neg_lo:[0,1] neg_hi:[0,1]
	v_pk_add_f32 v[14:15], v[14:15], v[126:127] neg_lo:[0,1] neg_hi:[0,1]
	s_wait_dscnt 0x0
	v_pk_mul_f32 v[126:127], v[122:123], v[114:115] op_sel:[0,1]
	s_delay_alu instid0(VALU_DEP_1) | instskip(SKIP_1) | instid1(VALU_DEP_1)
	v_pk_fma_f32 v[128:129], v[122:123], v[112:113], v[126:127] op_sel:[0,0,1] op_sel_hi:[1,1,0] neg_lo:[0,0,1] neg_hi:[0,0,1]
	v_pk_fma_f32 v[122:123], v[122:123], v[112:113], v[126:127] op_sel:[0,0,1] op_sel_hi:[1,0,0]
	v_mov_b32_e32 v129, v123
	v_pk_mul_f32 v[122:123], v[124:125], v[114:115] op_sel:[0,1]
	s_delay_alu instid0(VALU_DEP_1) | instskip(SKIP_1) | instid1(VALU_DEP_1)
	v_pk_fma_f32 v[126:127], v[124:125], v[112:113], v[122:123] op_sel:[0,0,1] op_sel_hi:[1,1,0] neg_lo:[0,0,1] neg_hi:[0,0,1]
	v_pk_fma_f32 v[122:123], v[124:125], v[112:113], v[122:123] op_sel:[0,0,1] op_sel_hi:[1,0,0]
	v_mov_b32_e32 v127, v123
	ds_load_2addr_b64 v[122:125], v116 offset0:47 offset1:48
	v_pk_add_f32 v[10:11], v[10:11], v[128:129] neg_lo:[0,1] neg_hi:[0,1]
	v_pk_add_f32 v[12:13], v[12:13], v[126:127] neg_lo:[0,1] neg_hi:[0,1]
	s_wait_dscnt 0x0
	v_dual_mul_f32 v126, v123, v115 :: v_dual_mul_f32 v128, v123, v112
	s_delay_alu instid0(VALU_DEP_1) | instskip(NEXT) | instid1(VALU_DEP_2)
	v_pk_fma_f32 v[126:127], v[122:123], v[82:83], v[126:127] op_sel_hi:[1,1,0] neg_lo:[0,0,1] neg_hi:[0,0,1]
	v_pk_fma_f32 v[122:123], v[122:123], v[82:83], v[128:129] op_sel:[1,0,0] op_sel_hi:[0,1,0]
	s_delay_alu instid0(VALU_DEP_1) | instskip(SKIP_1) | instid1(VALU_DEP_2)
	v_mov_b32_e32 v127, v123
	v_pk_mul_f32 v[122:123], v[124:125], v[114:115] op_sel:[0,1]
	v_pk_add_f32 v[8:9], v[8:9], v[126:127] neg_lo:[0,1] neg_hi:[0,1]
	s_delay_alu instid0(VALU_DEP_2) | instskip(SKIP_1) | instid1(VALU_DEP_1)
	v_pk_fma_f32 v[126:127], v[124:125], v[112:113], v[122:123] op_sel:[0,0,1] op_sel_hi:[1,1,0] neg_lo:[0,0,1] neg_hi:[0,0,1]
	v_pk_fma_f32 v[122:123], v[124:125], v[112:113], v[122:123] op_sel:[0,0,1] op_sel_hi:[1,0,0]
	v_mov_b32_e32 v127, v123
	ds_load_2addr_b64 v[122:125], v116 offset0:49 offset1:50
	v_pk_add_f32 v[6:7], v[6:7], v[126:127] neg_lo:[0,1] neg_hi:[0,1]
	s_wait_dscnt 0x0
	v_pk_mul_f32 v[126:127], v[122:123], v[114:115] op_sel:[0,1]
	s_delay_alu instid0(VALU_DEP_1) | instskip(SKIP_1) | instid1(VALU_DEP_1)
	v_pk_fma_f32 v[128:129], v[122:123], v[112:113], v[126:127] op_sel:[0,0,1] op_sel_hi:[1,1,0] neg_lo:[0,0,1] neg_hi:[0,0,1]
	v_pk_fma_f32 v[122:123], v[122:123], v[112:113], v[126:127] op_sel:[0,0,1] op_sel_hi:[1,0,0]
	v_mov_b32_e32 v129, v123
	v_pk_mul_f32 v[122:123], v[124:125], v[114:115] op_sel:[0,1]
	s_delay_alu instid0(VALU_DEP_2) | instskip(NEXT) | instid1(VALU_DEP_2)
	v_pk_add_f32 v[28:29], v[28:29], v[128:129] neg_lo:[0,1] neg_hi:[0,1]
	v_pk_fma_f32 v[126:127], v[124:125], v[112:113], v[122:123] op_sel:[0,0,1] op_sel_hi:[1,1,0] neg_lo:[0,0,1] neg_hi:[0,0,1]
	v_pk_fma_f32 v[122:123], v[124:125], v[112:113], v[122:123] op_sel:[0,0,1] op_sel_hi:[1,0,0]
	s_delay_alu instid0(VALU_DEP_1)
	v_mov_b32_e32 v127, v123
	ds_load_2addr_b64 v[122:125], v116 offset0:51 offset1:52
	v_pk_add_f32 v[18:19], v[18:19], v[126:127] neg_lo:[0,1] neg_hi:[0,1]
	s_wait_dscnt 0x0
	v_pk_mul_f32 v[126:127], v[122:123], v[114:115] op_sel:[0,1]
	v_pk_mul_f32 v[114:115], v[124:125], v[114:115] op_sel:[0,1]
	s_delay_alu instid0(VALU_DEP_2) | instskip(SKIP_1) | instid1(VALU_DEP_1)
	v_pk_fma_f32 v[128:129], v[122:123], v[112:113], v[126:127] op_sel:[0,0,1] op_sel_hi:[1,1,0] neg_lo:[0,0,1] neg_hi:[0,0,1]
	v_pk_fma_f32 v[122:123], v[122:123], v[112:113], v[126:127] op_sel:[0,0,1] op_sel_hi:[1,0,0]
	v_mov_b32_e32 v129, v123
	s_delay_alu instid0(VALU_DEP_4) | instskip(SKIP_1) | instid1(VALU_DEP_3)
	v_pk_fma_f32 v[122:123], v[124:125], v[112:113], v[114:115] op_sel:[0,0,1] op_sel_hi:[1,1,0] neg_lo:[0,0,1] neg_hi:[0,0,1]
	v_pk_fma_f32 v[112:113], v[124:125], v[112:113], v[114:115] op_sel:[0,0,1] op_sel_hi:[1,0,0]
	v_pk_add_f32 v[16:17], v[16:17], v[128:129] neg_lo:[0,1] neg_hi:[0,1]
	s_delay_alu instid0(VALU_DEP_2) | instskip(NEXT) | instid1(VALU_DEP_1)
	v_mov_b32_e32 v123, v113
	v_pk_add_f32 v[110:111], v[110:111], v[122:123] neg_lo:[0,1] neg_hi:[0,1]
.LBB104_398:
	s_or_b32 exec_lo, exec_lo, s0
	v_lshl_add_u32 v112, v120, 3, v116
	s_barrier_signal -1
	s_barrier_wait -1
	ds_store_b64 v112, v[78:79]
	s_wait_dscnt 0x0
	s_barrier_signal -1
	s_barrier_wait -1
	ds_load_b64 v[114:115], v116 offset:152
	v_mov_b32_e32 v112, 19
	s_cmp_lt_i32 s18, 21
	s_cbranch_scc1 .LBB104_401
; %bb.399:
	v_add3_u32 v113, v117, 0, 0xa0
	v_mov_b32_e32 v112, 19
	s_mov_b32 s0, 20
.LBB104_400:                            ; =>This Inner Loop Header: Depth=1
	ds_load_b64 v[122:123], v113
	s_wait_dscnt 0x1
	v_cmp_gt_f32_e32 vcc_lo, 0, v114
	v_cndmask_b32_e64 v124, v114, -v114, vcc_lo
	v_cmp_gt_f32_e32 vcc_lo, 0, v115
	v_cndmask_b32_e64 v126, v115, -v115, vcc_lo
	s_wait_dscnt 0x0
	v_cmp_gt_f32_e32 vcc_lo, 0, v122
	v_cndmask_b32_e64 v125, v122, -v122, vcc_lo
	v_cmp_gt_f32_e32 vcc_lo, 0, v123
	v_cndmask_b32_e64 v127, v123, -v123, vcc_lo
	s_delay_alu instid0(VALU_DEP_1) | instskip(NEXT) | instid1(VALU_DEP_1)
	v_pk_add_f32 v[124:125], v[124:125], v[126:127]
	v_cmp_lt_f32_e32 vcc_lo, v124, v125
	v_dual_add_nc_u32 v113, 8, v113 :: v_dual_cndmask_b32 v115, v115, v123, vcc_lo
	v_cndmask_b32_e32 v114, v114, v122, vcc_lo
	v_cndmask_b32_e64 v112, v112, s0, vcc_lo
	s_add_co_i32 s0, s0, 1
	s_delay_alu instid0(SALU_CYCLE_1)
	s_cmp_lg_u32 s18, s0
	s_cbranch_scc1 .LBB104_400
.LBB104_401:
	s_wait_dscnt 0x0
	v_cmp_eq_f32_e32 vcc_lo, 0, v114
	v_cmp_eq_f32_e64 s0, 0, v115
	s_and_b32 s0, vcc_lo, s0
	s_delay_alu instid0(SALU_CYCLE_1) | instskip(NEXT) | instid1(SALU_CYCLE_1)
	s_and_saveexec_b32 s1, s0
	s_xor_b32 s0, exec_lo, s1
; %bb.402:
	v_cmp_ne_u32_e32 vcc_lo, 0, v118
	v_cndmask_b32_e32 v118, 20, v118, vcc_lo
; %bb.403:
	s_and_not1_saveexec_b32 s0, s0
	s_cbranch_execz .LBB104_409
; %bb.404:
	v_cmp_ngt_f32_e64 s1, |v114|, |v115|
	s_and_saveexec_b32 s12, s1
	s_delay_alu instid0(SALU_CYCLE_1)
	s_xor_b32 s1, exec_lo, s12
	s_cbranch_execz .LBB104_406
; %bb.405:
	v_div_scale_f32 v113, null, v115, v115, v114
	v_div_scale_f32 v123, vcc_lo, v114, v115, v114
	s_delay_alu instid0(VALU_DEP_2) | instskip(SKIP_1) | instid1(TRANS32_DEP_1)
	v_rcp_f32_e32 v121, v113
	v_nop
	v_fma_f32 v122, -v113, v121, 1.0
	s_delay_alu instid0(VALU_DEP_1) | instskip(NEXT) | instid1(VALU_DEP_1)
	v_fmac_f32_e32 v121, v122, v121
	v_mul_f32_e32 v122, v123, v121
	s_delay_alu instid0(VALU_DEP_1) | instskip(NEXT) | instid1(VALU_DEP_1)
	v_fma_f32 v124, -v113, v122, v123
	v_fmac_f32_e32 v122, v124, v121
	s_delay_alu instid0(VALU_DEP_1) | instskip(NEXT) | instid1(VALU_DEP_1)
	v_fma_f32 v113, -v113, v122, v123
	v_div_fmas_f32 v113, v113, v121, v122
	s_delay_alu instid0(VALU_DEP_1) | instskip(NEXT) | instid1(VALU_DEP_1)
	v_div_fixup_f32 v113, v113, v115, v114
	v_fmac_f32_e32 v115, v114, v113
	s_delay_alu instid0(VALU_DEP_1) | instskip(SKIP_1) | instid1(VALU_DEP_2)
	v_div_scale_f32 v114, null, v115, v115, 1.0
	v_div_scale_f32 v123, vcc_lo, 1.0, v115, 1.0
	v_rcp_f32_e32 v121, v114
	v_nop
	s_delay_alu instid0(TRANS32_DEP_1) | instskip(NEXT) | instid1(VALU_DEP_1)
	v_fma_f32 v122, -v114, v121, 1.0
	v_fmac_f32_e32 v121, v122, v121
	s_delay_alu instid0(VALU_DEP_1) | instskip(NEXT) | instid1(VALU_DEP_1)
	v_mul_f32_e32 v122, v123, v121
	v_fma_f32 v124, -v114, v122, v123
	s_delay_alu instid0(VALU_DEP_1) | instskip(NEXT) | instid1(VALU_DEP_1)
	v_fmac_f32_e32 v122, v124, v121
	v_fma_f32 v114, -v114, v122, v123
	s_delay_alu instid0(VALU_DEP_1) | instskip(NEXT) | instid1(VALU_DEP_1)
	v_div_fmas_f32 v114, v114, v121, v122
	v_div_fixup_f32 v115, v114, v115, 1.0
	s_delay_alu instid0(VALU_DEP_1)
	v_mul_f32_e32 v114, v113, v115
	v_xor_b32_e32 v115, 0x80000000, v115
.LBB104_406:
	s_and_not1_saveexec_b32 s1, s1
	s_cbranch_execz .LBB104_408
; %bb.407:
	s_delay_alu instid0(VALU_DEP_1) | instskip(SKIP_1) | instid1(VALU_DEP_2)
	v_div_scale_f32 v113, null, v114, v114, v115
	v_div_scale_f32 v123, vcc_lo, v115, v114, v115
	v_rcp_f32_e32 v121, v113
	v_nop
	s_delay_alu instid0(TRANS32_DEP_1) | instskip(NEXT) | instid1(VALU_DEP_1)
	v_fma_f32 v122, -v113, v121, 1.0
	v_fmac_f32_e32 v121, v122, v121
	s_delay_alu instid0(VALU_DEP_1) | instskip(NEXT) | instid1(VALU_DEP_1)
	v_mul_f32_e32 v122, v123, v121
	v_fma_f32 v124, -v113, v122, v123
	s_delay_alu instid0(VALU_DEP_1) | instskip(NEXT) | instid1(VALU_DEP_1)
	v_fmac_f32_e32 v122, v124, v121
	v_fma_f32 v113, -v113, v122, v123
	s_delay_alu instid0(VALU_DEP_1) | instskip(NEXT) | instid1(VALU_DEP_1)
	v_div_fmas_f32 v113, v113, v121, v122
	v_div_fixup_f32 v113, v113, v114, v115
	s_delay_alu instid0(VALU_DEP_1) | instskip(NEXT) | instid1(VALU_DEP_1)
	v_fmac_f32_e32 v114, v115, v113
	v_div_scale_f32 v115, null, v114, v114, 1.0
	s_delay_alu instid0(VALU_DEP_1) | instskip(SKIP_1) | instid1(TRANS32_DEP_1)
	v_rcp_f32_e32 v121, v115
	v_nop
	v_fma_f32 v122, -v115, v121, 1.0
	s_delay_alu instid0(VALU_DEP_1) | instskip(SKIP_1) | instid1(VALU_DEP_1)
	v_fmac_f32_e32 v121, v122, v121
	v_div_scale_f32 v122, vcc_lo, 1.0, v114, 1.0
	v_mul_f32_e32 v123, v122, v121
	s_delay_alu instid0(VALU_DEP_1) | instskip(NEXT) | instid1(VALU_DEP_1)
	v_fma_f32 v124, -v115, v123, v122
	v_fmac_f32_e32 v123, v124, v121
	s_delay_alu instid0(VALU_DEP_1) | instskip(NEXT) | instid1(VALU_DEP_1)
	v_fma_f32 v115, -v115, v123, v122
	v_div_fmas_f32 v115, v115, v121, v123
	s_delay_alu instid0(VALU_DEP_1) | instskip(NEXT) | instid1(VALU_DEP_1)
	v_div_fixup_f32 v114, v115, v114, 1.0
	v_mul_f32_e64 v115, v113, -v114
.LBB104_408:
	s_or_b32 exec_lo, exec_lo, s1
.LBB104_409:
	s_delay_alu instid0(SALU_CYCLE_1) | instskip(NEXT) | instid1(SALU_CYCLE_1)
	s_or_b32 exec_lo, exec_lo, s0
	s_mov_b32 s0, exec_lo
	v_cmpx_ne_u32_e64 v120, v112
	s_xor_b32 s0, exec_lo, s0
	s_cbranch_execz .LBB104_415
; %bb.410:
	s_mov_b32 s1, exec_lo
	v_cmpx_eq_u32_e32 19, v120
	s_cbranch_execz .LBB104_414
; %bb.411:
	v_cmp_ne_u32_e32 vcc_lo, 19, v112
	s_xor_b32 s12, s16, -1
	s_delay_alu instid0(SALU_CYCLE_1) | instskip(NEXT) | instid1(SALU_CYCLE_1)
	s_and_b32 s13, s12, vcc_lo
	s_and_saveexec_b32 s12, s13
	s_cbranch_execz .LBB104_413
; %bb.412:
	v_ashrrev_i32_e32 v113, 31, v112
	s_delay_alu instid0(VALU_DEP_1)
	v_lshl_add_u64 v[120:121], v[112:113], 2, v[4:5]
	s_clause 0x1
	global_load_b32 v113, v[120:121], off
	global_load_b32 v119, v[4:5], off offset:76
	s_wait_loadcnt 0x1
	global_store_b32 v[4:5], v113, off offset:76
	s_wait_loadcnt 0x0
	global_store_b32 v[120:121], v119, off
.LBB104_413:
	s_wait_xcnt 0x0
	s_or_b32 exec_lo, exec_lo, s12
	v_dual_mov_b32 v120, v112 :: v_dual_mov_b32 v119, v112
.LBB104_414:
	s_or_b32 exec_lo, exec_lo, s1
.LBB104_415:
	s_and_not1_saveexec_b32 s0, s0
	s_cbranch_execz .LBB104_417
; %bb.416:
	v_dual_mov_b32 v112, v76 :: v_dual_mov_b32 v113, v77
	v_dual_mov_b32 v120, v72 :: v_dual_mov_b32 v121, v73
	;; [unrolled: 1-line block ×12, first 2 shown]
	ds_store_2addr_b64 v116, v[112:113], v[120:121] offset0:20 offset1:21
	ds_store_2addr_b64 v116, v[122:123], v[124:125] offset0:22 offset1:23
	;; [unrolled: 1-line block ×6, first 2 shown]
	v_dual_mov_b32 v112, v44 :: v_dual_mov_b32 v113, v45
	v_dual_mov_b32 v120, v40 :: v_dual_mov_b32 v121, v41
	v_dual_mov_b32 v122, v42 :: v_dual_mov_b32 v123, v43
	v_dual_mov_b32 v124, v38 :: v_dual_mov_b32 v125, v39
	v_dual_mov_b32 v126, v36 :: v_dual_mov_b32 v127, v37
	v_dual_mov_b32 v128, v32 :: v_dual_mov_b32 v129, v33
	v_dual_mov_b32 v130, v34 :: v_dual_mov_b32 v131, v35
	v_dual_mov_b32 v132, v30 :: v_dual_mov_b32 v133, v31
	v_dual_mov_b32 v134, v26 :: v_dual_mov_b32 v135, v27
	v_dual_mov_b32 v136, v22 :: v_dual_mov_b32 v137, v23
	v_dual_mov_b32 v138, v24 :: v_dual_mov_b32 v139, v25
	v_dual_mov_b32 v140, v20 :: v_dual_mov_b32 v141, v21
	ds_store_2addr_b64 v116, v[112:113], v[120:121] offset0:32 offset1:33
	ds_store_2addr_b64 v116, v[122:123], v[124:125] offset0:34 offset1:35
	;; [unrolled: 1-line block ×6, first 2 shown]
	v_dual_mov_b32 v112, v14 :: v_dual_mov_b32 v113, v15
	v_dual_mov_b32 v122, v10 :: v_dual_mov_b32 v123, v11
	;; [unrolled: 1-line block ×8, first 2 shown]
	v_mov_b32_e32 v135, v17
	ds_store_2addr_b64 v116, v[112:113], v[122:123] offset0:44 offset1:45
	ds_store_2addr_b64 v116, v[124:125], v[126:127] offset0:46 offset1:47
	;; [unrolled: 1-line block ×4, first 2 shown]
	ds_store_b64 v116, v[110:111] offset:416
.LBB104_417:
	s_or_b32 exec_lo, exec_lo, s0
	s_delay_alu instid0(SALU_CYCLE_1)
	s_mov_b32 s0, exec_lo
	s_wait_storecnt_dscnt 0x0
	s_barrier_signal -1
	s_barrier_wait -1
	v_cmpx_lt_i32_e32 19, v120
	s_cbranch_execz .LBB104_419
; %bb.418:
	v_pk_mul_f32 v[122:123], v[114:115], v[78:79] op_sel:[1,1] op_sel_hi:[0,1]
	s_delay_alu instid0(VALU_DEP_1)
	v_pk_fma_f32 v[112:113], v[114:115], v[78:79], v[122:123] op_sel_hi:[1,0,1] neg_lo:[0,0,1] neg_hi:[0,0,1]
	v_pk_fma_f32 v[114:115], v[114:115], v[78:79], v[122:123] op_sel_hi:[1,0,1]
	ds_load_2addr_b64 v[122:125], v116 offset0:20 offset1:21
	v_dual_mov_b32 v78, v112 :: v_dual_mov_b32 v79, v115
	s_wait_dscnt 0x0
	v_pk_mul_f32 v[126:127], v[122:123], v[114:115] op_sel:[0,1]
	s_delay_alu instid0(VALU_DEP_1) | instskip(SKIP_1) | instid1(VALU_DEP_1)
	v_pk_fma_f32 v[128:129], v[122:123], v[112:113], v[126:127] op_sel:[0,0,1] op_sel_hi:[1,1,0] neg_lo:[0,0,1] neg_hi:[0,0,1]
	v_pk_fma_f32 v[122:123], v[122:123], v[112:113], v[126:127] op_sel:[0,0,1] op_sel_hi:[1,0,0]
	v_mov_b32_e32 v129, v123
	v_pk_mul_f32 v[122:123], v[124:125], v[114:115] op_sel:[0,1]
	s_delay_alu instid0(VALU_DEP_1) | instskip(SKIP_1) | instid1(VALU_DEP_1)
	v_pk_fma_f32 v[126:127], v[124:125], v[112:113], v[122:123] op_sel:[0,0,1] op_sel_hi:[1,1,0] neg_lo:[0,0,1] neg_hi:[0,0,1]
	v_pk_fma_f32 v[122:123], v[124:125], v[112:113], v[122:123] op_sel:[0,0,1] op_sel_hi:[1,0,0]
	v_mov_b32_e32 v127, v123
	ds_load_2addr_b64 v[122:125], v116 offset0:22 offset1:23
	v_pk_add_f32 v[76:77], v[76:77], v[128:129] neg_lo:[0,1] neg_hi:[0,1]
	v_pk_add_f32 v[72:73], v[72:73], v[126:127] neg_lo:[0,1] neg_hi:[0,1]
	s_wait_dscnt 0x0
	v_pk_mul_f32 v[126:127], v[122:123], v[114:115] op_sel:[0,1]
	s_delay_alu instid0(VALU_DEP_1) | instskip(SKIP_2) | instid1(VALU_DEP_2)
	v_pk_fma_f32 v[128:129], v[122:123], v[112:113], v[126:127] op_sel:[0,0,1] op_sel_hi:[1,1,0] neg_lo:[0,0,1] neg_hi:[0,0,1]
	v_pk_fma_f32 v[122:123], v[122:123], v[112:113], v[126:127] op_sel:[0,0,1] op_sel_hi:[1,0,0]
	v_dual_mul_f32 v126, v125, v115 :: v_dual_mov_b32 v122, v125
	v_dual_mov_b32 v129, v123 :: v_dual_mov_b32 v123, v124
	s_delay_alu instid0(VALU_DEP_2) | instskip(SKIP_1) | instid1(VALU_DEP_3)
	v_pk_fma_f32 v[126:127], v[124:125], v[78:79], v[126:127] op_sel_hi:[1,1,0] neg_lo:[0,0,1] neg_hi:[0,0,1]
	v_mul_f32_e32 v124, v125, v112
	v_pk_add_f32 v[74:75], v[74:75], v[128:129] neg_lo:[0,1] neg_hi:[0,1]
	s_delay_alu instid0(VALU_DEP_2) | instskip(NEXT) | instid1(VALU_DEP_1)
	v_pk_fma_f32 v[122:123], v[122:123], v[78:79], v[124:125] op_sel_hi:[1,1,0]
	v_mov_b32_e32 v127, v123
	ds_load_2addr_b64 v[122:125], v116 offset0:24 offset1:25
	v_pk_add_f32 v[70:71], v[70:71], v[126:127] neg_lo:[0,1] neg_hi:[0,1]
	s_wait_dscnt 0x0
	v_pk_mul_f32 v[126:127], v[122:123], v[114:115] op_sel:[0,1]
	s_delay_alu instid0(VALU_DEP_1) | instskip(SKIP_1) | instid1(VALU_DEP_1)
	v_pk_fma_f32 v[128:129], v[122:123], v[112:113], v[126:127] op_sel:[0,0,1] op_sel_hi:[1,1,0] neg_lo:[0,0,1] neg_hi:[0,0,1]
	v_pk_fma_f32 v[122:123], v[122:123], v[112:113], v[126:127] op_sel:[0,0,1] op_sel_hi:[1,0,0]
	v_mov_b32_e32 v129, v123
	v_pk_mul_f32 v[122:123], v[124:125], v[114:115] op_sel:[0,1]
	s_delay_alu instid0(VALU_DEP_1) | instskip(SKIP_1) | instid1(VALU_DEP_1)
	v_pk_fma_f32 v[126:127], v[124:125], v[112:113], v[122:123] op_sel:[0,0,1] op_sel_hi:[1,1,0] neg_lo:[0,0,1] neg_hi:[0,0,1]
	v_pk_fma_f32 v[122:123], v[124:125], v[112:113], v[122:123] op_sel:[0,0,1] op_sel_hi:[1,0,0]
	v_mov_b32_e32 v127, v123
	ds_load_2addr_b64 v[122:125], v116 offset0:26 offset1:27
	v_pk_add_f32 v[68:69], v[68:69], v[128:129] neg_lo:[0,1] neg_hi:[0,1]
	v_pk_add_f32 v[64:65], v[64:65], v[126:127] neg_lo:[0,1] neg_hi:[0,1]
	s_wait_dscnt 0x0
	v_pk_mul_f32 v[126:127], v[122:123], v[114:115] op_sel:[0,1]
	s_delay_alu instid0(VALU_DEP_1) | instskip(SKIP_1) | instid1(VALU_DEP_1)
	v_pk_fma_f32 v[128:129], v[122:123], v[112:113], v[126:127] op_sel:[0,0,1] op_sel_hi:[1,1,0] neg_lo:[0,0,1] neg_hi:[0,0,1]
	v_pk_fma_f32 v[122:123], v[122:123], v[112:113], v[126:127] op_sel:[0,0,1] op_sel_hi:[1,0,0]
	v_mov_b32_e32 v129, v123
	v_pk_mul_f32 v[122:123], v[124:125], v[114:115] op_sel:[0,1]
	s_delay_alu instid0(VALU_DEP_1) | instskip(SKIP_1) | instid1(VALU_DEP_1)
	v_pk_fma_f32 v[126:127], v[124:125], v[112:113], v[122:123] op_sel:[0,0,1] op_sel_hi:[1,1,0] neg_lo:[0,0,1] neg_hi:[0,0,1]
	v_pk_fma_f32 v[122:123], v[124:125], v[112:113], v[122:123] op_sel:[0,0,1] op_sel_hi:[1,0,0]
	v_mov_b32_e32 v127, v123
	ds_load_2addr_b64 v[122:125], v116 offset0:28 offset1:29
	v_pk_add_f32 v[66:67], v[66:67], v[128:129] neg_lo:[0,1] neg_hi:[0,1]
	v_pk_add_f32 v[62:63], v[62:63], v[126:127] neg_lo:[0,1] neg_hi:[0,1]
	s_wait_dscnt 0x0
	v_dual_mul_f32 v126, v123, v115 :: v_dual_mul_f32 v128, v123, v112
	s_delay_alu instid0(VALU_DEP_1) | instskip(NEXT) | instid1(VALU_DEP_2)
	v_pk_fma_f32 v[126:127], v[122:123], v[78:79], v[126:127] op_sel_hi:[1,1,0] neg_lo:[0,0,1] neg_hi:[0,0,1]
	v_pk_fma_f32 v[122:123], v[122:123], v[78:79], v[128:129] op_sel:[1,0,0] op_sel_hi:[0,1,0]
	s_delay_alu instid0(VALU_DEP_1) | instskip(SKIP_1) | instid1(VALU_DEP_2)
	v_mov_b32_e32 v127, v123
	v_pk_mul_f32 v[122:123], v[124:125], v[114:115] op_sel:[0,1]
	v_pk_add_f32 v[52:53], v[52:53], v[126:127] neg_lo:[0,1] neg_hi:[0,1]
	s_delay_alu instid0(VALU_DEP_2) | instskip(SKIP_1) | instid1(VALU_DEP_1)
	v_pk_fma_f32 v[126:127], v[124:125], v[112:113], v[122:123] op_sel:[0,0,1] op_sel_hi:[1,1,0] neg_lo:[0,0,1] neg_hi:[0,0,1]
	v_pk_fma_f32 v[122:123], v[124:125], v[112:113], v[122:123] op_sel:[0,0,1] op_sel_hi:[1,0,0]
	v_mov_b32_e32 v127, v123
	ds_load_2addr_b64 v[122:125], v116 offset0:30 offset1:31
	v_pk_add_f32 v[48:49], v[48:49], v[126:127] neg_lo:[0,1] neg_hi:[0,1]
	s_wait_dscnt 0x0
	v_pk_mul_f32 v[126:127], v[122:123], v[114:115] op_sel:[0,1]
	s_delay_alu instid0(VALU_DEP_1) | instskip(SKIP_1) | instid1(VALU_DEP_1)
	v_pk_fma_f32 v[128:129], v[122:123], v[112:113], v[126:127] op_sel:[0,0,1] op_sel_hi:[1,1,0] neg_lo:[0,0,1] neg_hi:[0,0,1]
	v_pk_fma_f32 v[122:123], v[122:123], v[112:113], v[126:127] op_sel:[0,0,1] op_sel_hi:[1,0,0]
	v_mov_b32_e32 v129, v123
	v_pk_mul_f32 v[122:123], v[124:125], v[114:115] op_sel:[0,1]
	s_delay_alu instid0(VALU_DEP_2) | instskip(NEXT) | instid1(VALU_DEP_2)
	v_pk_add_f32 v[50:51], v[50:51], v[128:129] neg_lo:[0,1] neg_hi:[0,1]
	v_pk_fma_f32 v[126:127], v[124:125], v[112:113], v[122:123] op_sel:[0,0,1] op_sel_hi:[1,1,0] neg_lo:[0,0,1] neg_hi:[0,0,1]
	v_pk_fma_f32 v[122:123], v[124:125], v[112:113], v[122:123] op_sel:[0,0,1] op_sel_hi:[1,0,0]
	s_delay_alu instid0(VALU_DEP_1) | instskip(SKIP_4) | instid1(VALU_DEP_1)
	v_mov_b32_e32 v127, v123
	ds_load_2addr_b64 v[122:125], v116 offset0:32 offset1:33
	v_pk_add_f32 v[46:47], v[46:47], v[126:127] neg_lo:[0,1] neg_hi:[0,1]
	s_wait_dscnt 0x0
	v_pk_mul_f32 v[126:127], v[122:123], v[114:115] op_sel:[0,1]
	v_pk_fma_f32 v[128:129], v[122:123], v[112:113], v[126:127] op_sel:[0,0,1] op_sel_hi:[1,1,0] neg_lo:[0,0,1] neg_hi:[0,0,1]
	v_pk_fma_f32 v[122:123], v[122:123], v[112:113], v[126:127] op_sel:[0,0,1] op_sel_hi:[1,0,0]
	v_dual_mul_f32 v126, v125, v115 :: v_dual_mov_b32 v122, v125
	s_delay_alu instid0(VALU_DEP_2) | instskip(NEXT) | instid1(VALU_DEP_2)
	v_dual_mov_b32 v129, v123 :: v_dual_mov_b32 v123, v124
	v_pk_fma_f32 v[126:127], v[124:125], v[78:79], v[126:127] op_sel_hi:[1,1,0] neg_lo:[0,0,1] neg_hi:[0,0,1]
	v_mul_f32_e32 v124, v125, v112
	s_delay_alu instid0(VALU_DEP_3) | instskip(NEXT) | instid1(VALU_DEP_2)
	v_pk_add_f32 v[44:45], v[44:45], v[128:129] neg_lo:[0,1] neg_hi:[0,1]
	v_pk_fma_f32 v[122:123], v[122:123], v[78:79], v[124:125] op_sel_hi:[1,1,0]
	s_delay_alu instid0(VALU_DEP_1) | instskip(SKIP_4) | instid1(VALU_DEP_1)
	v_mov_b32_e32 v127, v123
	ds_load_2addr_b64 v[122:125], v116 offset0:34 offset1:35
	v_pk_add_f32 v[40:41], v[40:41], v[126:127] neg_lo:[0,1] neg_hi:[0,1]
	s_wait_dscnt 0x0
	v_pk_mul_f32 v[126:127], v[122:123], v[114:115] op_sel:[0,1]
	v_pk_fma_f32 v[128:129], v[122:123], v[112:113], v[126:127] op_sel:[0,0,1] op_sel_hi:[1,1,0] neg_lo:[0,0,1] neg_hi:[0,0,1]
	v_pk_fma_f32 v[122:123], v[122:123], v[112:113], v[126:127] op_sel:[0,0,1] op_sel_hi:[1,0,0]
	s_delay_alu instid0(VALU_DEP_1) | instskip(SKIP_1) | instid1(VALU_DEP_1)
	v_mov_b32_e32 v129, v123
	v_pk_mul_f32 v[122:123], v[124:125], v[114:115] op_sel:[0,1]
	v_pk_fma_f32 v[126:127], v[124:125], v[112:113], v[122:123] op_sel:[0,0,1] op_sel_hi:[1,1,0] neg_lo:[0,0,1] neg_hi:[0,0,1]
	v_pk_fma_f32 v[122:123], v[124:125], v[112:113], v[122:123] op_sel:[0,0,1] op_sel_hi:[1,0,0]
	s_delay_alu instid0(VALU_DEP_1)
	v_mov_b32_e32 v127, v123
	ds_load_2addr_b64 v[122:125], v116 offset0:36 offset1:37
	v_pk_add_f32 v[42:43], v[42:43], v[128:129] neg_lo:[0,1] neg_hi:[0,1]
	v_pk_add_f32 v[38:39], v[38:39], v[126:127] neg_lo:[0,1] neg_hi:[0,1]
	s_wait_dscnt 0x0
	v_pk_mul_f32 v[126:127], v[122:123], v[114:115] op_sel:[0,1]
	s_delay_alu instid0(VALU_DEP_1) | instskip(SKIP_1) | instid1(VALU_DEP_1)
	v_pk_fma_f32 v[128:129], v[122:123], v[112:113], v[126:127] op_sel:[0,0,1] op_sel_hi:[1,1,0] neg_lo:[0,0,1] neg_hi:[0,0,1]
	v_pk_fma_f32 v[122:123], v[122:123], v[112:113], v[126:127] op_sel:[0,0,1] op_sel_hi:[1,0,0]
	v_mov_b32_e32 v129, v123
	v_pk_mul_f32 v[122:123], v[124:125], v[114:115] op_sel:[0,1]
	s_delay_alu instid0(VALU_DEP_1) | instskip(SKIP_1) | instid1(VALU_DEP_1)
	v_pk_fma_f32 v[126:127], v[124:125], v[112:113], v[122:123] op_sel:[0,0,1] op_sel_hi:[1,1,0] neg_lo:[0,0,1] neg_hi:[0,0,1]
	v_pk_fma_f32 v[122:123], v[124:125], v[112:113], v[122:123] op_sel:[0,0,1] op_sel_hi:[1,0,0]
	v_mov_b32_e32 v127, v123
	ds_load_2addr_b64 v[122:125], v116 offset0:38 offset1:39
	v_pk_add_f32 v[36:37], v[36:37], v[128:129] neg_lo:[0,1] neg_hi:[0,1]
	v_pk_add_f32 v[32:33], v[32:33], v[126:127] neg_lo:[0,1] neg_hi:[0,1]
	s_wait_dscnt 0x0
	v_dual_mul_f32 v126, v123, v115 :: v_dual_mul_f32 v128, v123, v112
	s_delay_alu instid0(VALU_DEP_1) | instskip(NEXT) | instid1(VALU_DEP_2)
	v_pk_fma_f32 v[126:127], v[122:123], v[78:79], v[126:127] op_sel_hi:[1,1,0] neg_lo:[0,0,1] neg_hi:[0,0,1]
	v_pk_fma_f32 v[122:123], v[122:123], v[78:79], v[128:129] op_sel:[1,0,0] op_sel_hi:[0,1,0]
	s_delay_alu instid0(VALU_DEP_1) | instskip(SKIP_1) | instid1(VALU_DEP_2)
	v_mov_b32_e32 v127, v123
	v_pk_mul_f32 v[122:123], v[124:125], v[114:115] op_sel:[0,1]
	v_pk_add_f32 v[34:35], v[34:35], v[126:127] neg_lo:[0,1] neg_hi:[0,1]
	s_delay_alu instid0(VALU_DEP_2) | instskip(SKIP_1) | instid1(VALU_DEP_1)
	v_pk_fma_f32 v[126:127], v[124:125], v[112:113], v[122:123] op_sel:[0,0,1] op_sel_hi:[1,1,0] neg_lo:[0,0,1] neg_hi:[0,0,1]
	v_pk_fma_f32 v[122:123], v[124:125], v[112:113], v[122:123] op_sel:[0,0,1] op_sel_hi:[1,0,0]
	v_mov_b32_e32 v127, v123
	ds_load_2addr_b64 v[122:125], v116 offset0:40 offset1:41
	v_pk_add_f32 v[30:31], v[30:31], v[126:127] neg_lo:[0,1] neg_hi:[0,1]
	s_wait_dscnt 0x0
	v_pk_mul_f32 v[126:127], v[122:123], v[114:115] op_sel:[0,1]
	s_delay_alu instid0(VALU_DEP_1) | instskip(SKIP_1) | instid1(VALU_DEP_1)
	v_pk_fma_f32 v[128:129], v[122:123], v[112:113], v[126:127] op_sel:[0,0,1] op_sel_hi:[1,1,0] neg_lo:[0,0,1] neg_hi:[0,0,1]
	v_pk_fma_f32 v[122:123], v[122:123], v[112:113], v[126:127] op_sel:[0,0,1] op_sel_hi:[1,0,0]
	v_mov_b32_e32 v129, v123
	v_pk_mul_f32 v[122:123], v[124:125], v[114:115] op_sel:[0,1]
	s_delay_alu instid0(VALU_DEP_2) | instskip(NEXT) | instid1(VALU_DEP_2)
	v_pk_add_f32 v[26:27], v[26:27], v[128:129] neg_lo:[0,1] neg_hi:[0,1]
	v_pk_fma_f32 v[126:127], v[124:125], v[112:113], v[122:123] op_sel:[0,0,1] op_sel_hi:[1,1,0] neg_lo:[0,0,1] neg_hi:[0,0,1]
	v_pk_fma_f32 v[122:123], v[124:125], v[112:113], v[122:123] op_sel:[0,0,1] op_sel_hi:[1,0,0]
	s_delay_alu instid0(VALU_DEP_1) | instskip(SKIP_4) | instid1(VALU_DEP_1)
	v_mov_b32_e32 v127, v123
	ds_load_2addr_b64 v[122:125], v116 offset0:42 offset1:43
	v_pk_add_f32 v[22:23], v[22:23], v[126:127] neg_lo:[0,1] neg_hi:[0,1]
	s_wait_dscnt 0x0
	v_pk_mul_f32 v[126:127], v[122:123], v[114:115] op_sel:[0,1]
	v_pk_fma_f32 v[128:129], v[122:123], v[112:113], v[126:127] op_sel:[0,0,1] op_sel_hi:[1,1,0] neg_lo:[0,0,1] neg_hi:[0,0,1]
	v_pk_fma_f32 v[122:123], v[122:123], v[112:113], v[126:127] op_sel:[0,0,1] op_sel_hi:[1,0,0]
	v_dual_mul_f32 v126, v125, v115 :: v_dual_mov_b32 v122, v125
	s_delay_alu instid0(VALU_DEP_2) | instskip(NEXT) | instid1(VALU_DEP_2)
	v_dual_mov_b32 v129, v123 :: v_dual_mov_b32 v123, v124
	v_pk_fma_f32 v[126:127], v[124:125], v[78:79], v[126:127] op_sel_hi:[1,1,0] neg_lo:[0,0,1] neg_hi:[0,0,1]
	v_mul_f32_e32 v124, v125, v112
	s_delay_alu instid0(VALU_DEP_3) | instskip(NEXT) | instid1(VALU_DEP_2)
	v_pk_add_f32 v[24:25], v[24:25], v[128:129] neg_lo:[0,1] neg_hi:[0,1]
	v_pk_fma_f32 v[122:123], v[122:123], v[78:79], v[124:125] op_sel_hi:[1,1,0]
	s_delay_alu instid0(VALU_DEP_1) | instskip(SKIP_4) | instid1(VALU_DEP_1)
	v_mov_b32_e32 v127, v123
	ds_load_2addr_b64 v[122:125], v116 offset0:44 offset1:45
	v_pk_add_f32 v[20:21], v[20:21], v[126:127] neg_lo:[0,1] neg_hi:[0,1]
	s_wait_dscnt 0x0
	v_pk_mul_f32 v[126:127], v[122:123], v[114:115] op_sel:[0,1]
	v_pk_fma_f32 v[128:129], v[122:123], v[112:113], v[126:127] op_sel:[0,0,1] op_sel_hi:[1,1,0] neg_lo:[0,0,1] neg_hi:[0,0,1]
	v_pk_fma_f32 v[122:123], v[122:123], v[112:113], v[126:127] op_sel:[0,0,1] op_sel_hi:[1,0,0]
	s_delay_alu instid0(VALU_DEP_1) | instskip(SKIP_1) | instid1(VALU_DEP_1)
	v_mov_b32_e32 v129, v123
	v_pk_mul_f32 v[122:123], v[124:125], v[114:115] op_sel:[0,1]
	v_pk_fma_f32 v[126:127], v[124:125], v[112:113], v[122:123] op_sel:[0,0,1] op_sel_hi:[1,1,0] neg_lo:[0,0,1] neg_hi:[0,0,1]
	v_pk_fma_f32 v[122:123], v[124:125], v[112:113], v[122:123] op_sel:[0,0,1] op_sel_hi:[1,0,0]
	s_delay_alu instid0(VALU_DEP_1)
	v_mov_b32_e32 v127, v123
	ds_load_2addr_b64 v[122:125], v116 offset0:46 offset1:47
	v_pk_add_f32 v[14:15], v[14:15], v[128:129] neg_lo:[0,1] neg_hi:[0,1]
	v_pk_add_f32 v[10:11], v[10:11], v[126:127] neg_lo:[0,1] neg_hi:[0,1]
	s_wait_dscnt 0x0
	v_pk_mul_f32 v[126:127], v[122:123], v[114:115] op_sel:[0,1]
	s_delay_alu instid0(VALU_DEP_1) | instskip(SKIP_1) | instid1(VALU_DEP_1)
	v_pk_fma_f32 v[128:129], v[122:123], v[112:113], v[126:127] op_sel:[0,0,1] op_sel_hi:[1,1,0] neg_lo:[0,0,1] neg_hi:[0,0,1]
	v_pk_fma_f32 v[122:123], v[122:123], v[112:113], v[126:127] op_sel:[0,0,1] op_sel_hi:[1,0,0]
	v_mov_b32_e32 v129, v123
	v_pk_mul_f32 v[122:123], v[124:125], v[114:115] op_sel:[0,1]
	s_delay_alu instid0(VALU_DEP_1) | instskip(SKIP_1) | instid1(VALU_DEP_1)
	v_pk_fma_f32 v[126:127], v[124:125], v[112:113], v[122:123] op_sel:[0,0,1] op_sel_hi:[1,1,0] neg_lo:[0,0,1] neg_hi:[0,0,1]
	v_pk_fma_f32 v[122:123], v[124:125], v[112:113], v[122:123] op_sel:[0,0,1] op_sel_hi:[1,0,0]
	v_mov_b32_e32 v127, v123
	ds_load_2addr_b64 v[122:125], v116 offset0:48 offset1:49
	v_pk_add_f32 v[12:13], v[12:13], v[128:129] neg_lo:[0,1] neg_hi:[0,1]
	v_pk_add_f32 v[8:9], v[8:9], v[126:127] neg_lo:[0,1] neg_hi:[0,1]
	s_wait_dscnt 0x0
	v_dual_mul_f32 v126, v123, v115 :: v_dual_mul_f32 v128, v123, v112
	s_delay_alu instid0(VALU_DEP_1) | instskip(NEXT) | instid1(VALU_DEP_2)
	v_pk_fma_f32 v[126:127], v[122:123], v[78:79], v[126:127] op_sel_hi:[1,1,0] neg_lo:[0,0,1] neg_hi:[0,0,1]
	v_pk_fma_f32 v[122:123], v[122:123], v[78:79], v[128:129] op_sel:[1,0,0] op_sel_hi:[0,1,0]
	s_delay_alu instid0(VALU_DEP_1) | instskip(SKIP_1) | instid1(VALU_DEP_2)
	v_mov_b32_e32 v127, v123
	v_pk_mul_f32 v[122:123], v[124:125], v[114:115] op_sel:[0,1]
	v_pk_add_f32 v[6:7], v[6:7], v[126:127] neg_lo:[0,1] neg_hi:[0,1]
	s_delay_alu instid0(VALU_DEP_2) | instskip(SKIP_1) | instid1(VALU_DEP_1)
	v_pk_fma_f32 v[126:127], v[124:125], v[112:113], v[122:123] op_sel:[0,0,1] op_sel_hi:[1,1,0] neg_lo:[0,0,1] neg_hi:[0,0,1]
	v_pk_fma_f32 v[122:123], v[124:125], v[112:113], v[122:123] op_sel:[0,0,1] op_sel_hi:[1,0,0]
	v_mov_b32_e32 v127, v123
	ds_load_2addr_b64 v[122:125], v116 offset0:50 offset1:51
	v_pk_add_f32 v[28:29], v[28:29], v[126:127] neg_lo:[0,1] neg_hi:[0,1]
	s_wait_dscnt 0x0
	v_pk_mul_f32 v[126:127], v[122:123], v[114:115] op_sel:[0,1]
	s_delay_alu instid0(VALU_DEP_1) | instskip(SKIP_1) | instid1(VALU_DEP_1)
	v_pk_fma_f32 v[128:129], v[122:123], v[112:113], v[126:127] op_sel:[0,0,1] op_sel_hi:[1,1,0] neg_lo:[0,0,1] neg_hi:[0,0,1]
	v_pk_fma_f32 v[122:123], v[122:123], v[112:113], v[126:127] op_sel:[0,0,1] op_sel_hi:[1,0,0]
	v_mov_b32_e32 v129, v123
	v_pk_mul_f32 v[122:123], v[124:125], v[114:115] op_sel:[0,1]
	s_delay_alu instid0(VALU_DEP_2) | instskip(NEXT) | instid1(VALU_DEP_2)
	v_pk_add_f32 v[18:19], v[18:19], v[128:129] neg_lo:[0,1] neg_hi:[0,1]
	v_pk_fma_f32 v[126:127], v[124:125], v[112:113], v[122:123] op_sel:[0,0,1] op_sel_hi:[1,1,0] neg_lo:[0,0,1] neg_hi:[0,0,1]
	v_pk_fma_f32 v[122:123], v[124:125], v[112:113], v[122:123] op_sel:[0,0,1] op_sel_hi:[1,0,0]
	s_delay_alu instid0(VALU_DEP_1) | instskip(SKIP_4) | instid1(VALU_DEP_1)
	v_mov_b32_e32 v127, v123
	ds_load_b64 v[122:123], v116 offset:416
	v_pk_add_f32 v[16:17], v[16:17], v[126:127] neg_lo:[0,1] neg_hi:[0,1]
	s_wait_dscnt 0x0
	v_pk_mul_f32 v[114:115], v[122:123], v[114:115] op_sel:[0,1]
	v_pk_fma_f32 v[124:125], v[122:123], v[112:113], v[114:115] op_sel:[0,0,1] op_sel_hi:[1,1,0] neg_lo:[0,0,1] neg_hi:[0,0,1]
	v_pk_fma_f32 v[112:113], v[122:123], v[112:113], v[114:115] op_sel:[0,0,1] op_sel_hi:[1,0,0]
	s_delay_alu instid0(VALU_DEP_1) | instskip(NEXT) | instid1(VALU_DEP_1)
	v_mov_b32_e32 v125, v113
	v_pk_add_f32 v[110:111], v[110:111], v[124:125] neg_lo:[0,1] neg_hi:[0,1]
.LBB104_419:
	s_or_b32 exec_lo, exec_lo, s0
	v_lshl_add_u32 v112, v120, 3, v116
	s_barrier_signal -1
	s_barrier_wait -1
	ds_store_b64 v112, v[76:77]
	s_wait_dscnt 0x0
	s_barrier_signal -1
	s_barrier_wait -1
	ds_load_b64 v[114:115], v116 offset:160
	v_mov_b32_e32 v112, 20
	s_cmp_lt_i32 s18, 22
	s_cbranch_scc1 .LBB104_422
; %bb.420:
	v_add3_u32 v113, v117, 0, 0xa8
	v_mov_b32_e32 v112, 20
	s_mov_b32 s0, 21
.LBB104_421:                            ; =>This Inner Loop Header: Depth=1
	ds_load_b64 v[122:123], v113
	s_wait_dscnt 0x1
	v_cmp_gt_f32_e32 vcc_lo, 0, v114
	v_cndmask_b32_e64 v124, v114, -v114, vcc_lo
	v_cmp_gt_f32_e32 vcc_lo, 0, v115
	v_cndmask_b32_e64 v126, v115, -v115, vcc_lo
	s_wait_dscnt 0x0
	v_cmp_gt_f32_e32 vcc_lo, 0, v122
	v_cndmask_b32_e64 v125, v122, -v122, vcc_lo
	v_cmp_gt_f32_e32 vcc_lo, 0, v123
	v_cndmask_b32_e64 v127, v123, -v123, vcc_lo
	s_delay_alu instid0(VALU_DEP_1) | instskip(NEXT) | instid1(VALU_DEP_1)
	v_pk_add_f32 v[124:125], v[124:125], v[126:127]
	v_cmp_lt_f32_e32 vcc_lo, v124, v125
	v_dual_add_nc_u32 v113, 8, v113 :: v_dual_cndmask_b32 v115, v115, v123, vcc_lo
	v_cndmask_b32_e32 v114, v114, v122, vcc_lo
	v_cndmask_b32_e64 v112, v112, s0, vcc_lo
	s_add_co_i32 s0, s0, 1
	s_delay_alu instid0(SALU_CYCLE_1)
	s_cmp_lg_u32 s18, s0
	s_cbranch_scc1 .LBB104_421
.LBB104_422:
	s_wait_dscnt 0x0
	v_cmp_eq_f32_e32 vcc_lo, 0, v114
	v_cmp_eq_f32_e64 s0, 0, v115
	s_and_b32 s0, vcc_lo, s0
	s_delay_alu instid0(SALU_CYCLE_1) | instskip(NEXT) | instid1(SALU_CYCLE_1)
	s_and_saveexec_b32 s1, s0
	s_xor_b32 s0, exec_lo, s1
; %bb.423:
	v_cmp_ne_u32_e32 vcc_lo, 0, v118
	v_cndmask_b32_e32 v118, 21, v118, vcc_lo
; %bb.424:
	s_and_not1_saveexec_b32 s0, s0
	s_cbranch_execz .LBB104_430
; %bb.425:
	v_cmp_ngt_f32_e64 s1, |v114|, |v115|
	s_and_saveexec_b32 s12, s1
	s_delay_alu instid0(SALU_CYCLE_1)
	s_xor_b32 s1, exec_lo, s12
	s_cbranch_execz .LBB104_427
; %bb.426:
	v_div_scale_f32 v113, null, v115, v115, v114
	v_div_scale_f32 v123, vcc_lo, v114, v115, v114
	s_delay_alu instid0(VALU_DEP_2) | instskip(SKIP_1) | instid1(TRANS32_DEP_1)
	v_rcp_f32_e32 v121, v113
	v_nop
	v_fma_f32 v122, -v113, v121, 1.0
	s_delay_alu instid0(VALU_DEP_1) | instskip(NEXT) | instid1(VALU_DEP_1)
	v_fmac_f32_e32 v121, v122, v121
	v_mul_f32_e32 v122, v123, v121
	s_delay_alu instid0(VALU_DEP_1) | instskip(NEXT) | instid1(VALU_DEP_1)
	v_fma_f32 v124, -v113, v122, v123
	v_fmac_f32_e32 v122, v124, v121
	s_delay_alu instid0(VALU_DEP_1) | instskip(NEXT) | instid1(VALU_DEP_1)
	v_fma_f32 v113, -v113, v122, v123
	v_div_fmas_f32 v113, v113, v121, v122
	s_delay_alu instid0(VALU_DEP_1) | instskip(NEXT) | instid1(VALU_DEP_1)
	v_div_fixup_f32 v113, v113, v115, v114
	v_fmac_f32_e32 v115, v114, v113
	s_delay_alu instid0(VALU_DEP_1) | instskip(SKIP_1) | instid1(VALU_DEP_2)
	v_div_scale_f32 v114, null, v115, v115, 1.0
	v_div_scale_f32 v123, vcc_lo, 1.0, v115, 1.0
	v_rcp_f32_e32 v121, v114
	v_nop
	s_delay_alu instid0(TRANS32_DEP_1) | instskip(NEXT) | instid1(VALU_DEP_1)
	v_fma_f32 v122, -v114, v121, 1.0
	v_fmac_f32_e32 v121, v122, v121
	s_delay_alu instid0(VALU_DEP_1) | instskip(NEXT) | instid1(VALU_DEP_1)
	v_mul_f32_e32 v122, v123, v121
	v_fma_f32 v124, -v114, v122, v123
	s_delay_alu instid0(VALU_DEP_1) | instskip(NEXT) | instid1(VALU_DEP_1)
	v_fmac_f32_e32 v122, v124, v121
	v_fma_f32 v114, -v114, v122, v123
	s_delay_alu instid0(VALU_DEP_1) | instskip(NEXT) | instid1(VALU_DEP_1)
	v_div_fmas_f32 v114, v114, v121, v122
	v_div_fixup_f32 v115, v114, v115, 1.0
	s_delay_alu instid0(VALU_DEP_1)
	v_mul_f32_e32 v114, v113, v115
	v_xor_b32_e32 v115, 0x80000000, v115
.LBB104_427:
	s_and_not1_saveexec_b32 s1, s1
	s_cbranch_execz .LBB104_429
; %bb.428:
	s_delay_alu instid0(VALU_DEP_1) | instskip(SKIP_1) | instid1(VALU_DEP_2)
	v_div_scale_f32 v113, null, v114, v114, v115
	v_div_scale_f32 v123, vcc_lo, v115, v114, v115
	v_rcp_f32_e32 v121, v113
	v_nop
	s_delay_alu instid0(TRANS32_DEP_1) | instskip(NEXT) | instid1(VALU_DEP_1)
	v_fma_f32 v122, -v113, v121, 1.0
	v_fmac_f32_e32 v121, v122, v121
	s_delay_alu instid0(VALU_DEP_1) | instskip(NEXT) | instid1(VALU_DEP_1)
	v_mul_f32_e32 v122, v123, v121
	v_fma_f32 v124, -v113, v122, v123
	s_delay_alu instid0(VALU_DEP_1) | instskip(NEXT) | instid1(VALU_DEP_1)
	v_fmac_f32_e32 v122, v124, v121
	v_fma_f32 v113, -v113, v122, v123
	s_delay_alu instid0(VALU_DEP_1) | instskip(NEXT) | instid1(VALU_DEP_1)
	v_div_fmas_f32 v113, v113, v121, v122
	v_div_fixup_f32 v113, v113, v114, v115
	s_delay_alu instid0(VALU_DEP_1) | instskip(NEXT) | instid1(VALU_DEP_1)
	v_fmac_f32_e32 v114, v115, v113
	v_div_scale_f32 v115, null, v114, v114, 1.0
	s_delay_alu instid0(VALU_DEP_1) | instskip(SKIP_1) | instid1(TRANS32_DEP_1)
	v_rcp_f32_e32 v121, v115
	v_nop
	v_fma_f32 v122, -v115, v121, 1.0
	s_delay_alu instid0(VALU_DEP_1) | instskip(SKIP_1) | instid1(VALU_DEP_1)
	v_fmac_f32_e32 v121, v122, v121
	v_div_scale_f32 v122, vcc_lo, 1.0, v114, 1.0
	v_mul_f32_e32 v123, v122, v121
	s_delay_alu instid0(VALU_DEP_1) | instskip(NEXT) | instid1(VALU_DEP_1)
	v_fma_f32 v124, -v115, v123, v122
	v_fmac_f32_e32 v123, v124, v121
	s_delay_alu instid0(VALU_DEP_1) | instskip(NEXT) | instid1(VALU_DEP_1)
	v_fma_f32 v115, -v115, v123, v122
	v_div_fmas_f32 v115, v115, v121, v123
	s_delay_alu instid0(VALU_DEP_1) | instskip(NEXT) | instid1(VALU_DEP_1)
	v_div_fixup_f32 v114, v115, v114, 1.0
	v_mul_f32_e64 v115, v113, -v114
.LBB104_429:
	s_or_b32 exec_lo, exec_lo, s1
.LBB104_430:
	s_delay_alu instid0(SALU_CYCLE_1) | instskip(NEXT) | instid1(SALU_CYCLE_1)
	s_or_b32 exec_lo, exec_lo, s0
	s_mov_b32 s0, exec_lo
	v_cmpx_ne_u32_e64 v120, v112
	s_xor_b32 s0, exec_lo, s0
	s_cbranch_execz .LBB104_436
; %bb.431:
	s_mov_b32 s1, exec_lo
	v_cmpx_eq_u32_e32 20, v120
	s_cbranch_execz .LBB104_435
; %bb.432:
	v_cmp_ne_u32_e32 vcc_lo, 20, v112
	s_xor_b32 s12, s16, -1
	s_delay_alu instid0(SALU_CYCLE_1) | instskip(NEXT) | instid1(SALU_CYCLE_1)
	s_and_b32 s13, s12, vcc_lo
	s_and_saveexec_b32 s12, s13
	s_cbranch_execz .LBB104_434
; %bb.433:
	v_ashrrev_i32_e32 v113, 31, v112
	s_delay_alu instid0(VALU_DEP_1)
	v_lshl_add_u64 v[120:121], v[112:113], 2, v[4:5]
	s_clause 0x1
	global_load_b32 v113, v[120:121], off
	global_load_b32 v119, v[4:5], off offset:80
	s_wait_loadcnt 0x1
	global_store_b32 v[4:5], v113, off offset:80
	s_wait_loadcnt 0x0
	global_store_b32 v[120:121], v119, off
.LBB104_434:
	s_wait_xcnt 0x0
	s_or_b32 exec_lo, exec_lo, s12
	v_dual_mov_b32 v120, v112 :: v_dual_mov_b32 v119, v112
.LBB104_435:
	s_or_b32 exec_lo, exec_lo, s1
.LBB104_436:
	s_and_not1_saveexec_b32 s0, s0
	s_cbranch_execz .LBB104_438
; %bb.437:
	v_mov_b32_e32 v120, 20
	ds_store_2addr_b64 v116, v[72:73], v[74:75] offset0:21 offset1:22
	ds_store_2addr_b64 v116, v[70:71], v[68:69] offset0:23 offset1:24
	;; [unrolled: 1-line block ×16, first 2 shown]
.LBB104_438:
	s_or_b32 exec_lo, exec_lo, s0
	s_delay_alu instid0(SALU_CYCLE_1)
	s_mov_b32 s0, exec_lo
	s_wait_storecnt_dscnt 0x0
	s_barrier_signal -1
	s_barrier_wait -1
	v_cmpx_lt_i32_e32 20, v120
	s_cbranch_execz .LBB104_440
; %bb.439:
	v_pk_mul_f32 v[122:123], v[114:115], v[76:77] op_sel:[1,1] op_sel_hi:[0,1]
	s_delay_alu instid0(VALU_DEP_1)
	v_pk_fma_f32 v[112:113], v[114:115], v[76:77], v[122:123] op_sel_hi:[1,0,1] neg_lo:[0,0,1] neg_hi:[0,0,1]
	v_pk_fma_f32 v[114:115], v[114:115], v[76:77], v[122:123] op_sel_hi:[1,0,1]
	ds_load_2addr_b64 v[122:125], v116 offset0:21 offset1:22
	v_dual_mov_b32 v76, v112 :: v_dual_mov_b32 v77, v115
	s_wait_dscnt 0x0
	v_pk_mul_f32 v[126:127], v[122:123], v[114:115] op_sel:[0,1]
	s_delay_alu instid0(VALU_DEP_1) | instskip(SKIP_1) | instid1(VALU_DEP_1)
	v_pk_fma_f32 v[128:129], v[122:123], v[112:113], v[126:127] op_sel:[0,0,1] op_sel_hi:[1,1,0] neg_lo:[0,0,1] neg_hi:[0,0,1]
	v_pk_fma_f32 v[122:123], v[122:123], v[112:113], v[126:127] op_sel:[0,0,1] op_sel_hi:[1,0,0]
	v_mov_b32_e32 v129, v123
	v_pk_mul_f32 v[122:123], v[124:125], v[114:115] op_sel:[0,1]
	s_delay_alu instid0(VALU_DEP_1) | instskip(SKIP_1) | instid1(VALU_DEP_1)
	v_pk_fma_f32 v[126:127], v[124:125], v[112:113], v[122:123] op_sel:[0,0,1] op_sel_hi:[1,1,0] neg_lo:[0,0,1] neg_hi:[0,0,1]
	v_pk_fma_f32 v[122:123], v[124:125], v[112:113], v[122:123] op_sel:[0,0,1] op_sel_hi:[1,0,0]
	v_mov_b32_e32 v127, v123
	ds_load_2addr_b64 v[122:125], v116 offset0:23 offset1:24
	v_pk_add_f32 v[72:73], v[72:73], v[128:129] neg_lo:[0,1] neg_hi:[0,1]
	v_pk_add_f32 v[74:75], v[74:75], v[126:127] neg_lo:[0,1] neg_hi:[0,1]
	s_wait_dscnt 0x0
	v_pk_mul_f32 v[126:127], v[122:123], v[114:115] op_sel:[0,1]
	s_delay_alu instid0(VALU_DEP_1) | instskip(SKIP_2) | instid1(VALU_DEP_2)
	v_pk_fma_f32 v[128:129], v[122:123], v[112:113], v[126:127] op_sel:[0,0,1] op_sel_hi:[1,1,0] neg_lo:[0,0,1] neg_hi:[0,0,1]
	v_pk_fma_f32 v[122:123], v[122:123], v[112:113], v[126:127] op_sel:[0,0,1] op_sel_hi:[1,0,0]
	v_dual_mul_f32 v126, v125, v115 :: v_dual_mov_b32 v122, v125
	v_dual_mov_b32 v129, v123 :: v_dual_mov_b32 v123, v124
	s_delay_alu instid0(VALU_DEP_2) | instskip(SKIP_1) | instid1(VALU_DEP_3)
	v_pk_fma_f32 v[126:127], v[124:125], v[76:77], v[126:127] op_sel_hi:[1,1,0] neg_lo:[0,0,1] neg_hi:[0,0,1]
	v_mul_f32_e32 v124, v125, v112
	v_pk_add_f32 v[70:71], v[70:71], v[128:129] neg_lo:[0,1] neg_hi:[0,1]
	s_delay_alu instid0(VALU_DEP_2) | instskip(NEXT) | instid1(VALU_DEP_1)
	v_pk_fma_f32 v[122:123], v[122:123], v[76:77], v[124:125] op_sel_hi:[1,1,0]
	v_mov_b32_e32 v127, v123
	ds_load_2addr_b64 v[122:125], v116 offset0:25 offset1:26
	v_pk_add_f32 v[68:69], v[68:69], v[126:127] neg_lo:[0,1] neg_hi:[0,1]
	s_wait_dscnt 0x0
	v_pk_mul_f32 v[126:127], v[122:123], v[114:115] op_sel:[0,1]
	s_delay_alu instid0(VALU_DEP_1) | instskip(SKIP_1) | instid1(VALU_DEP_1)
	v_pk_fma_f32 v[128:129], v[122:123], v[112:113], v[126:127] op_sel:[0,0,1] op_sel_hi:[1,1,0] neg_lo:[0,0,1] neg_hi:[0,0,1]
	v_pk_fma_f32 v[122:123], v[122:123], v[112:113], v[126:127] op_sel:[0,0,1] op_sel_hi:[1,0,0]
	v_mov_b32_e32 v129, v123
	v_pk_mul_f32 v[122:123], v[124:125], v[114:115] op_sel:[0,1]
	s_delay_alu instid0(VALU_DEP_1) | instskip(SKIP_1) | instid1(VALU_DEP_1)
	v_pk_fma_f32 v[126:127], v[124:125], v[112:113], v[122:123] op_sel:[0,0,1] op_sel_hi:[1,1,0] neg_lo:[0,0,1] neg_hi:[0,0,1]
	v_pk_fma_f32 v[122:123], v[124:125], v[112:113], v[122:123] op_sel:[0,0,1] op_sel_hi:[1,0,0]
	v_mov_b32_e32 v127, v123
	ds_load_2addr_b64 v[122:125], v116 offset0:27 offset1:28
	v_pk_add_f32 v[64:65], v[64:65], v[128:129] neg_lo:[0,1] neg_hi:[0,1]
	v_pk_add_f32 v[66:67], v[66:67], v[126:127] neg_lo:[0,1] neg_hi:[0,1]
	s_wait_dscnt 0x0
	v_pk_mul_f32 v[126:127], v[122:123], v[114:115] op_sel:[0,1]
	s_delay_alu instid0(VALU_DEP_1) | instskip(SKIP_1) | instid1(VALU_DEP_1)
	v_pk_fma_f32 v[128:129], v[122:123], v[112:113], v[126:127] op_sel:[0,0,1] op_sel_hi:[1,1,0] neg_lo:[0,0,1] neg_hi:[0,0,1]
	v_pk_fma_f32 v[122:123], v[122:123], v[112:113], v[126:127] op_sel:[0,0,1] op_sel_hi:[1,0,0]
	v_mov_b32_e32 v129, v123
	v_pk_mul_f32 v[122:123], v[124:125], v[114:115] op_sel:[0,1]
	s_delay_alu instid0(VALU_DEP_1) | instskip(SKIP_1) | instid1(VALU_DEP_1)
	v_pk_fma_f32 v[126:127], v[124:125], v[112:113], v[122:123] op_sel:[0,0,1] op_sel_hi:[1,1,0] neg_lo:[0,0,1] neg_hi:[0,0,1]
	v_pk_fma_f32 v[122:123], v[124:125], v[112:113], v[122:123] op_sel:[0,0,1] op_sel_hi:[1,0,0]
	v_mov_b32_e32 v127, v123
	ds_load_2addr_b64 v[122:125], v116 offset0:29 offset1:30
	v_pk_add_f32 v[62:63], v[62:63], v[128:129] neg_lo:[0,1] neg_hi:[0,1]
	v_pk_add_f32 v[52:53], v[52:53], v[126:127] neg_lo:[0,1] neg_hi:[0,1]
	s_wait_dscnt 0x0
	v_dual_mul_f32 v126, v123, v115 :: v_dual_mul_f32 v128, v123, v112
	s_delay_alu instid0(VALU_DEP_1) | instskip(NEXT) | instid1(VALU_DEP_2)
	v_pk_fma_f32 v[126:127], v[122:123], v[76:77], v[126:127] op_sel_hi:[1,1,0] neg_lo:[0,0,1] neg_hi:[0,0,1]
	v_pk_fma_f32 v[122:123], v[122:123], v[76:77], v[128:129] op_sel:[1,0,0] op_sel_hi:[0,1,0]
	s_delay_alu instid0(VALU_DEP_1) | instskip(SKIP_1) | instid1(VALU_DEP_2)
	v_mov_b32_e32 v127, v123
	v_pk_mul_f32 v[122:123], v[124:125], v[114:115] op_sel:[0,1]
	v_pk_add_f32 v[48:49], v[48:49], v[126:127] neg_lo:[0,1] neg_hi:[0,1]
	s_delay_alu instid0(VALU_DEP_2) | instskip(SKIP_1) | instid1(VALU_DEP_1)
	v_pk_fma_f32 v[126:127], v[124:125], v[112:113], v[122:123] op_sel:[0,0,1] op_sel_hi:[1,1,0] neg_lo:[0,0,1] neg_hi:[0,0,1]
	v_pk_fma_f32 v[122:123], v[124:125], v[112:113], v[122:123] op_sel:[0,0,1] op_sel_hi:[1,0,0]
	v_mov_b32_e32 v127, v123
	ds_load_2addr_b64 v[122:125], v116 offset0:31 offset1:32
	v_pk_add_f32 v[50:51], v[50:51], v[126:127] neg_lo:[0,1] neg_hi:[0,1]
	s_wait_dscnt 0x0
	v_pk_mul_f32 v[126:127], v[122:123], v[114:115] op_sel:[0,1]
	s_delay_alu instid0(VALU_DEP_1) | instskip(SKIP_1) | instid1(VALU_DEP_1)
	v_pk_fma_f32 v[128:129], v[122:123], v[112:113], v[126:127] op_sel:[0,0,1] op_sel_hi:[1,1,0] neg_lo:[0,0,1] neg_hi:[0,0,1]
	v_pk_fma_f32 v[122:123], v[122:123], v[112:113], v[126:127] op_sel:[0,0,1] op_sel_hi:[1,0,0]
	v_mov_b32_e32 v129, v123
	v_pk_mul_f32 v[122:123], v[124:125], v[114:115] op_sel:[0,1]
	s_delay_alu instid0(VALU_DEP_2) | instskip(NEXT) | instid1(VALU_DEP_2)
	v_pk_add_f32 v[46:47], v[46:47], v[128:129] neg_lo:[0,1] neg_hi:[0,1]
	v_pk_fma_f32 v[126:127], v[124:125], v[112:113], v[122:123] op_sel:[0,0,1] op_sel_hi:[1,1,0] neg_lo:[0,0,1] neg_hi:[0,0,1]
	v_pk_fma_f32 v[122:123], v[124:125], v[112:113], v[122:123] op_sel:[0,0,1] op_sel_hi:[1,0,0]
	s_delay_alu instid0(VALU_DEP_1) | instskip(SKIP_4) | instid1(VALU_DEP_1)
	v_mov_b32_e32 v127, v123
	ds_load_2addr_b64 v[122:125], v116 offset0:33 offset1:34
	v_pk_add_f32 v[44:45], v[44:45], v[126:127] neg_lo:[0,1] neg_hi:[0,1]
	s_wait_dscnt 0x0
	v_pk_mul_f32 v[126:127], v[122:123], v[114:115] op_sel:[0,1]
	v_pk_fma_f32 v[128:129], v[122:123], v[112:113], v[126:127] op_sel:[0,0,1] op_sel_hi:[1,1,0] neg_lo:[0,0,1] neg_hi:[0,0,1]
	v_pk_fma_f32 v[122:123], v[122:123], v[112:113], v[126:127] op_sel:[0,0,1] op_sel_hi:[1,0,0]
	v_dual_mul_f32 v126, v125, v115 :: v_dual_mov_b32 v122, v125
	s_delay_alu instid0(VALU_DEP_2) | instskip(NEXT) | instid1(VALU_DEP_2)
	v_dual_mov_b32 v129, v123 :: v_dual_mov_b32 v123, v124
	v_pk_fma_f32 v[126:127], v[124:125], v[76:77], v[126:127] op_sel_hi:[1,1,0] neg_lo:[0,0,1] neg_hi:[0,0,1]
	v_mul_f32_e32 v124, v125, v112
	s_delay_alu instid0(VALU_DEP_3) | instskip(NEXT) | instid1(VALU_DEP_2)
	v_pk_add_f32 v[40:41], v[40:41], v[128:129] neg_lo:[0,1] neg_hi:[0,1]
	v_pk_fma_f32 v[122:123], v[122:123], v[76:77], v[124:125] op_sel_hi:[1,1,0]
	s_delay_alu instid0(VALU_DEP_1) | instskip(SKIP_4) | instid1(VALU_DEP_1)
	v_mov_b32_e32 v127, v123
	ds_load_2addr_b64 v[122:125], v116 offset0:35 offset1:36
	v_pk_add_f32 v[42:43], v[42:43], v[126:127] neg_lo:[0,1] neg_hi:[0,1]
	s_wait_dscnt 0x0
	v_pk_mul_f32 v[126:127], v[122:123], v[114:115] op_sel:[0,1]
	v_pk_fma_f32 v[128:129], v[122:123], v[112:113], v[126:127] op_sel:[0,0,1] op_sel_hi:[1,1,0] neg_lo:[0,0,1] neg_hi:[0,0,1]
	v_pk_fma_f32 v[122:123], v[122:123], v[112:113], v[126:127] op_sel:[0,0,1] op_sel_hi:[1,0,0]
	s_delay_alu instid0(VALU_DEP_1) | instskip(SKIP_1) | instid1(VALU_DEP_1)
	v_mov_b32_e32 v129, v123
	v_pk_mul_f32 v[122:123], v[124:125], v[114:115] op_sel:[0,1]
	v_pk_fma_f32 v[126:127], v[124:125], v[112:113], v[122:123] op_sel:[0,0,1] op_sel_hi:[1,1,0] neg_lo:[0,0,1] neg_hi:[0,0,1]
	v_pk_fma_f32 v[122:123], v[124:125], v[112:113], v[122:123] op_sel:[0,0,1] op_sel_hi:[1,0,0]
	s_delay_alu instid0(VALU_DEP_1)
	v_mov_b32_e32 v127, v123
	ds_load_2addr_b64 v[122:125], v116 offset0:37 offset1:38
	v_pk_add_f32 v[38:39], v[38:39], v[128:129] neg_lo:[0,1] neg_hi:[0,1]
	v_pk_add_f32 v[36:37], v[36:37], v[126:127] neg_lo:[0,1] neg_hi:[0,1]
	s_wait_dscnt 0x0
	v_pk_mul_f32 v[126:127], v[122:123], v[114:115] op_sel:[0,1]
	s_delay_alu instid0(VALU_DEP_1) | instskip(SKIP_1) | instid1(VALU_DEP_1)
	v_pk_fma_f32 v[128:129], v[122:123], v[112:113], v[126:127] op_sel:[0,0,1] op_sel_hi:[1,1,0] neg_lo:[0,0,1] neg_hi:[0,0,1]
	v_pk_fma_f32 v[122:123], v[122:123], v[112:113], v[126:127] op_sel:[0,0,1] op_sel_hi:[1,0,0]
	v_mov_b32_e32 v129, v123
	v_pk_mul_f32 v[122:123], v[124:125], v[114:115] op_sel:[0,1]
	s_delay_alu instid0(VALU_DEP_1) | instskip(SKIP_1) | instid1(VALU_DEP_1)
	v_pk_fma_f32 v[126:127], v[124:125], v[112:113], v[122:123] op_sel:[0,0,1] op_sel_hi:[1,1,0] neg_lo:[0,0,1] neg_hi:[0,0,1]
	v_pk_fma_f32 v[122:123], v[124:125], v[112:113], v[122:123] op_sel:[0,0,1] op_sel_hi:[1,0,0]
	v_mov_b32_e32 v127, v123
	ds_load_2addr_b64 v[122:125], v116 offset0:39 offset1:40
	v_pk_add_f32 v[32:33], v[32:33], v[128:129] neg_lo:[0,1] neg_hi:[0,1]
	v_pk_add_f32 v[34:35], v[34:35], v[126:127] neg_lo:[0,1] neg_hi:[0,1]
	s_wait_dscnt 0x0
	v_dual_mul_f32 v126, v123, v115 :: v_dual_mul_f32 v128, v123, v112
	s_delay_alu instid0(VALU_DEP_1) | instskip(NEXT) | instid1(VALU_DEP_2)
	v_pk_fma_f32 v[126:127], v[122:123], v[76:77], v[126:127] op_sel_hi:[1,1,0] neg_lo:[0,0,1] neg_hi:[0,0,1]
	v_pk_fma_f32 v[122:123], v[122:123], v[76:77], v[128:129] op_sel:[1,0,0] op_sel_hi:[0,1,0]
	s_delay_alu instid0(VALU_DEP_1) | instskip(SKIP_1) | instid1(VALU_DEP_2)
	v_mov_b32_e32 v127, v123
	v_pk_mul_f32 v[122:123], v[124:125], v[114:115] op_sel:[0,1]
	v_pk_add_f32 v[30:31], v[30:31], v[126:127] neg_lo:[0,1] neg_hi:[0,1]
	s_delay_alu instid0(VALU_DEP_2) | instskip(SKIP_1) | instid1(VALU_DEP_1)
	v_pk_fma_f32 v[126:127], v[124:125], v[112:113], v[122:123] op_sel:[0,0,1] op_sel_hi:[1,1,0] neg_lo:[0,0,1] neg_hi:[0,0,1]
	v_pk_fma_f32 v[122:123], v[124:125], v[112:113], v[122:123] op_sel:[0,0,1] op_sel_hi:[1,0,0]
	v_mov_b32_e32 v127, v123
	ds_load_2addr_b64 v[122:125], v116 offset0:41 offset1:42
	v_pk_add_f32 v[26:27], v[26:27], v[126:127] neg_lo:[0,1] neg_hi:[0,1]
	s_wait_dscnt 0x0
	v_pk_mul_f32 v[126:127], v[122:123], v[114:115] op_sel:[0,1]
	s_delay_alu instid0(VALU_DEP_1) | instskip(SKIP_1) | instid1(VALU_DEP_1)
	v_pk_fma_f32 v[128:129], v[122:123], v[112:113], v[126:127] op_sel:[0,0,1] op_sel_hi:[1,1,0] neg_lo:[0,0,1] neg_hi:[0,0,1]
	v_pk_fma_f32 v[122:123], v[122:123], v[112:113], v[126:127] op_sel:[0,0,1] op_sel_hi:[1,0,0]
	v_mov_b32_e32 v129, v123
	v_pk_mul_f32 v[122:123], v[124:125], v[114:115] op_sel:[0,1]
	s_delay_alu instid0(VALU_DEP_2) | instskip(NEXT) | instid1(VALU_DEP_2)
	v_pk_add_f32 v[22:23], v[22:23], v[128:129] neg_lo:[0,1] neg_hi:[0,1]
	v_pk_fma_f32 v[126:127], v[124:125], v[112:113], v[122:123] op_sel:[0,0,1] op_sel_hi:[1,1,0] neg_lo:[0,0,1] neg_hi:[0,0,1]
	v_pk_fma_f32 v[122:123], v[124:125], v[112:113], v[122:123] op_sel:[0,0,1] op_sel_hi:[1,0,0]
	s_delay_alu instid0(VALU_DEP_1) | instskip(SKIP_4) | instid1(VALU_DEP_1)
	v_mov_b32_e32 v127, v123
	ds_load_2addr_b64 v[122:125], v116 offset0:43 offset1:44
	v_pk_add_f32 v[24:25], v[24:25], v[126:127] neg_lo:[0,1] neg_hi:[0,1]
	s_wait_dscnt 0x0
	v_pk_mul_f32 v[126:127], v[122:123], v[114:115] op_sel:[0,1]
	v_pk_fma_f32 v[128:129], v[122:123], v[112:113], v[126:127] op_sel:[0,0,1] op_sel_hi:[1,1,0] neg_lo:[0,0,1] neg_hi:[0,0,1]
	v_pk_fma_f32 v[122:123], v[122:123], v[112:113], v[126:127] op_sel:[0,0,1] op_sel_hi:[1,0,0]
	v_dual_mul_f32 v126, v125, v115 :: v_dual_mov_b32 v122, v125
	s_delay_alu instid0(VALU_DEP_2) | instskip(NEXT) | instid1(VALU_DEP_2)
	v_dual_mov_b32 v129, v123 :: v_dual_mov_b32 v123, v124
	v_pk_fma_f32 v[126:127], v[124:125], v[76:77], v[126:127] op_sel_hi:[1,1,0] neg_lo:[0,0,1] neg_hi:[0,0,1]
	v_mul_f32_e32 v124, v125, v112
	s_delay_alu instid0(VALU_DEP_3) | instskip(NEXT) | instid1(VALU_DEP_2)
	v_pk_add_f32 v[20:21], v[20:21], v[128:129] neg_lo:[0,1] neg_hi:[0,1]
	v_pk_fma_f32 v[122:123], v[122:123], v[76:77], v[124:125] op_sel_hi:[1,1,0]
	s_delay_alu instid0(VALU_DEP_1) | instskip(SKIP_4) | instid1(VALU_DEP_1)
	v_mov_b32_e32 v127, v123
	ds_load_2addr_b64 v[122:125], v116 offset0:45 offset1:46
	v_pk_add_f32 v[14:15], v[14:15], v[126:127] neg_lo:[0,1] neg_hi:[0,1]
	s_wait_dscnt 0x0
	v_pk_mul_f32 v[126:127], v[122:123], v[114:115] op_sel:[0,1]
	v_pk_fma_f32 v[128:129], v[122:123], v[112:113], v[126:127] op_sel:[0,0,1] op_sel_hi:[1,1,0] neg_lo:[0,0,1] neg_hi:[0,0,1]
	v_pk_fma_f32 v[122:123], v[122:123], v[112:113], v[126:127] op_sel:[0,0,1] op_sel_hi:[1,0,0]
	s_delay_alu instid0(VALU_DEP_1) | instskip(SKIP_1) | instid1(VALU_DEP_1)
	v_mov_b32_e32 v129, v123
	v_pk_mul_f32 v[122:123], v[124:125], v[114:115] op_sel:[0,1]
	v_pk_fma_f32 v[126:127], v[124:125], v[112:113], v[122:123] op_sel:[0,0,1] op_sel_hi:[1,1,0] neg_lo:[0,0,1] neg_hi:[0,0,1]
	v_pk_fma_f32 v[122:123], v[124:125], v[112:113], v[122:123] op_sel:[0,0,1] op_sel_hi:[1,0,0]
	s_delay_alu instid0(VALU_DEP_1)
	v_mov_b32_e32 v127, v123
	ds_load_2addr_b64 v[122:125], v116 offset0:47 offset1:48
	v_pk_add_f32 v[10:11], v[10:11], v[128:129] neg_lo:[0,1] neg_hi:[0,1]
	v_pk_add_f32 v[12:13], v[12:13], v[126:127] neg_lo:[0,1] neg_hi:[0,1]
	s_wait_dscnt 0x0
	v_pk_mul_f32 v[126:127], v[122:123], v[114:115] op_sel:[0,1]
	s_delay_alu instid0(VALU_DEP_1) | instskip(SKIP_1) | instid1(VALU_DEP_1)
	v_pk_fma_f32 v[128:129], v[122:123], v[112:113], v[126:127] op_sel:[0,0,1] op_sel_hi:[1,1,0] neg_lo:[0,0,1] neg_hi:[0,0,1]
	v_pk_fma_f32 v[122:123], v[122:123], v[112:113], v[126:127] op_sel:[0,0,1] op_sel_hi:[1,0,0]
	v_mov_b32_e32 v129, v123
	v_pk_mul_f32 v[122:123], v[124:125], v[114:115] op_sel:[0,1]
	s_delay_alu instid0(VALU_DEP_1) | instskip(SKIP_1) | instid1(VALU_DEP_1)
	v_pk_fma_f32 v[126:127], v[124:125], v[112:113], v[122:123] op_sel:[0,0,1] op_sel_hi:[1,1,0] neg_lo:[0,0,1] neg_hi:[0,0,1]
	v_pk_fma_f32 v[122:123], v[124:125], v[112:113], v[122:123] op_sel:[0,0,1] op_sel_hi:[1,0,0]
	v_mov_b32_e32 v127, v123
	ds_load_2addr_b64 v[122:125], v116 offset0:49 offset1:50
	v_pk_add_f32 v[8:9], v[8:9], v[128:129] neg_lo:[0,1] neg_hi:[0,1]
	v_pk_add_f32 v[6:7], v[6:7], v[126:127] neg_lo:[0,1] neg_hi:[0,1]
	s_wait_dscnt 0x0
	v_dual_mul_f32 v126, v123, v115 :: v_dual_mul_f32 v128, v123, v112
	s_delay_alu instid0(VALU_DEP_1) | instskip(NEXT) | instid1(VALU_DEP_2)
	v_pk_fma_f32 v[126:127], v[122:123], v[76:77], v[126:127] op_sel_hi:[1,1,0] neg_lo:[0,0,1] neg_hi:[0,0,1]
	v_pk_fma_f32 v[122:123], v[122:123], v[76:77], v[128:129] op_sel:[1,0,0] op_sel_hi:[0,1,0]
	s_delay_alu instid0(VALU_DEP_1) | instskip(SKIP_1) | instid1(VALU_DEP_2)
	v_mov_b32_e32 v127, v123
	v_pk_mul_f32 v[122:123], v[124:125], v[114:115] op_sel:[0,1]
	v_pk_add_f32 v[28:29], v[28:29], v[126:127] neg_lo:[0,1] neg_hi:[0,1]
	s_delay_alu instid0(VALU_DEP_2) | instskip(SKIP_1) | instid1(VALU_DEP_1)
	v_pk_fma_f32 v[126:127], v[124:125], v[112:113], v[122:123] op_sel:[0,0,1] op_sel_hi:[1,1,0] neg_lo:[0,0,1] neg_hi:[0,0,1]
	v_pk_fma_f32 v[122:123], v[124:125], v[112:113], v[122:123] op_sel:[0,0,1] op_sel_hi:[1,0,0]
	v_mov_b32_e32 v127, v123
	ds_load_2addr_b64 v[122:125], v116 offset0:51 offset1:52
	v_pk_add_f32 v[18:19], v[18:19], v[126:127] neg_lo:[0,1] neg_hi:[0,1]
	s_wait_dscnt 0x0
	v_pk_mul_f32 v[126:127], v[122:123], v[114:115] op_sel:[0,1]
	v_pk_mul_f32 v[114:115], v[124:125], v[114:115] op_sel:[0,1]
	s_delay_alu instid0(VALU_DEP_2) | instskip(SKIP_1) | instid1(VALU_DEP_1)
	v_pk_fma_f32 v[128:129], v[122:123], v[112:113], v[126:127] op_sel:[0,0,1] op_sel_hi:[1,1,0] neg_lo:[0,0,1] neg_hi:[0,0,1]
	v_pk_fma_f32 v[122:123], v[122:123], v[112:113], v[126:127] op_sel:[0,0,1] op_sel_hi:[1,0,0]
	v_mov_b32_e32 v129, v123
	s_delay_alu instid0(VALU_DEP_4) | instskip(SKIP_1) | instid1(VALU_DEP_3)
	v_pk_fma_f32 v[122:123], v[124:125], v[112:113], v[114:115] op_sel:[0,0,1] op_sel_hi:[1,1,0] neg_lo:[0,0,1] neg_hi:[0,0,1]
	v_pk_fma_f32 v[112:113], v[124:125], v[112:113], v[114:115] op_sel:[0,0,1] op_sel_hi:[1,0,0]
	v_pk_add_f32 v[16:17], v[16:17], v[128:129] neg_lo:[0,1] neg_hi:[0,1]
	s_delay_alu instid0(VALU_DEP_2) | instskip(NEXT) | instid1(VALU_DEP_1)
	v_mov_b32_e32 v123, v113
	v_pk_add_f32 v[110:111], v[110:111], v[122:123] neg_lo:[0,1] neg_hi:[0,1]
.LBB104_440:
	s_or_b32 exec_lo, exec_lo, s0
	v_lshl_add_u32 v112, v120, 3, v116
	s_barrier_signal -1
	s_barrier_wait -1
	ds_store_b64 v112, v[72:73]
	s_wait_dscnt 0x0
	s_barrier_signal -1
	s_barrier_wait -1
	ds_load_b64 v[114:115], v116 offset:168
	v_mov_b32_e32 v112, 21
	s_cmp_lt_i32 s18, 23
	s_cbranch_scc1 .LBB104_443
; %bb.441:
	v_add3_u32 v113, v117, 0, 0xb0
	v_mov_b32_e32 v112, 21
	s_mov_b32 s0, 22
.LBB104_442:                            ; =>This Inner Loop Header: Depth=1
	ds_load_b64 v[122:123], v113
	s_wait_dscnt 0x1
	v_cmp_gt_f32_e32 vcc_lo, 0, v114
	v_cndmask_b32_e64 v124, v114, -v114, vcc_lo
	v_cmp_gt_f32_e32 vcc_lo, 0, v115
	v_cndmask_b32_e64 v126, v115, -v115, vcc_lo
	s_wait_dscnt 0x0
	v_cmp_gt_f32_e32 vcc_lo, 0, v122
	v_cndmask_b32_e64 v125, v122, -v122, vcc_lo
	v_cmp_gt_f32_e32 vcc_lo, 0, v123
	v_cndmask_b32_e64 v127, v123, -v123, vcc_lo
	s_delay_alu instid0(VALU_DEP_1) | instskip(NEXT) | instid1(VALU_DEP_1)
	v_pk_add_f32 v[124:125], v[124:125], v[126:127]
	v_cmp_lt_f32_e32 vcc_lo, v124, v125
	v_dual_add_nc_u32 v113, 8, v113 :: v_dual_cndmask_b32 v115, v115, v123, vcc_lo
	v_cndmask_b32_e32 v114, v114, v122, vcc_lo
	v_cndmask_b32_e64 v112, v112, s0, vcc_lo
	s_add_co_i32 s0, s0, 1
	s_delay_alu instid0(SALU_CYCLE_1)
	s_cmp_lg_u32 s18, s0
	s_cbranch_scc1 .LBB104_442
.LBB104_443:
	s_wait_dscnt 0x0
	v_cmp_eq_f32_e32 vcc_lo, 0, v114
	v_cmp_eq_f32_e64 s0, 0, v115
	s_and_b32 s0, vcc_lo, s0
	s_delay_alu instid0(SALU_CYCLE_1) | instskip(NEXT) | instid1(SALU_CYCLE_1)
	s_and_saveexec_b32 s1, s0
	s_xor_b32 s0, exec_lo, s1
; %bb.444:
	v_cmp_ne_u32_e32 vcc_lo, 0, v118
	v_cndmask_b32_e32 v118, 22, v118, vcc_lo
; %bb.445:
	s_and_not1_saveexec_b32 s0, s0
	s_cbranch_execz .LBB104_451
; %bb.446:
	v_cmp_ngt_f32_e64 s1, |v114|, |v115|
	s_and_saveexec_b32 s12, s1
	s_delay_alu instid0(SALU_CYCLE_1)
	s_xor_b32 s1, exec_lo, s12
	s_cbranch_execz .LBB104_448
; %bb.447:
	v_div_scale_f32 v113, null, v115, v115, v114
	v_div_scale_f32 v123, vcc_lo, v114, v115, v114
	s_delay_alu instid0(VALU_DEP_2) | instskip(SKIP_1) | instid1(TRANS32_DEP_1)
	v_rcp_f32_e32 v121, v113
	v_nop
	v_fma_f32 v122, -v113, v121, 1.0
	s_delay_alu instid0(VALU_DEP_1) | instskip(NEXT) | instid1(VALU_DEP_1)
	v_fmac_f32_e32 v121, v122, v121
	v_mul_f32_e32 v122, v123, v121
	s_delay_alu instid0(VALU_DEP_1) | instskip(NEXT) | instid1(VALU_DEP_1)
	v_fma_f32 v124, -v113, v122, v123
	v_fmac_f32_e32 v122, v124, v121
	s_delay_alu instid0(VALU_DEP_1) | instskip(NEXT) | instid1(VALU_DEP_1)
	v_fma_f32 v113, -v113, v122, v123
	v_div_fmas_f32 v113, v113, v121, v122
	s_delay_alu instid0(VALU_DEP_1) | instskip(NEXT) | instid1(VALU_DEP_1)
	v_div_fixup_f32 v113, v113, v115, v114
	v_fmac_f32_e32 v115, v114, v113
	s_delay_alu instid0(VALU_DEP_1) | instskip(SKIP_1) | instid1(VALU_DEP_2)
	v_div_scale_f32 v114, null, v115, v115, 1.0
	v_div_scale_f32 v123, vcc_lo, 1.0, v115, 1.0
	v_rcp_f32_e32 v121, v114
	v_nop
	s_delay_alu instid0(TRANS32_DEP_1) | instskip(NEXT) | instid1(VALU_DEP_1)
	v_fma_f32 v122, -v114, v121, 1.0
	v_fmac_f32_e32 v121, v122, v121
	s_delay_alu instid0(VALU_DEP_1) | instskip(NEXT) | instid1(VALU_DEP_1)
	v_mul_f32_e32 v122, v123, v121
	v_fma_f32 v124, -v114, v122, v123
	s_delay_alu instid0(VALU_DEP_1) | instskip(NEXT) | instid1(VALU_DEP_1)
	v_fmac_f32_e32 v122, v124, v121
	v_fma_f32 v114, -v114, v122, v123
	s_delay_alu instid0(VALU_DEP_1) | instskip(NEXT) | instid1(VALU_DEP_1)
	v_div_fmas_f32 v114, v114, v121, v122
	v_div_fixup_f32 v115, v114, v115, 1.0
	s_delay_alu instid0(VALU_DEP_1)
	v_mul_f32_e32 v114, v113, v115
	v_xor_b32_e32 v115, 0x80000000, v115
.LBB104_448:
	s_and_not1_saveexec_b32 s1, s1
	s_cbranch_execz .LBB104_450
; %bb.449:
	s_delay_alu instid0(VALU_DEP_1) | instskip(SKIP_1) | instid1(VALU_DEP_2)
	v_div_scale_f32 v113, null, v114, v114, v115
	v_div_scale_f32 v123, vcc_lo, v115, v114, v115
	v_rcp_f32_e32 v121, v113
	v_nop
	s_delay_alu instid0(TRANS32_DEP_1) | instskip(NEXT) | instid1(VALU_DEP_1)
	v_fma_f32 v122, -v113, v121, 1.0
	v_fmac_f32_e32 v121, v122, v121
	s_delay_alu instid0(VALU_DEP_1) | instskip(NEXT) | instid1(VALU_DEP_1)
	v_mul_f32_e32 v122, v123, v121
	v_fma_f32 v124, -v113, v122, v123
	s_delay_alu instid0(VALU_DEP_1) | instskip(NEXT) | instid1(VALU_DEP_1)
	v_fmac_f32_e32 v122, v124, v121
	v_fma_f32 v113, -v113, v122, v123
	s_delay_alu instid0(VALU_DEP_1) | instskip(NEXT) | instid1(VALU_DEP_1)
	v_div_fmas_f32 v113, v113, v121, v122
	v_div_fixup_f32 v113, v113, v114, v115
	s_delay_alu instid0(VALU_DEP_1) | instskip(NEXT) | instid1(VALU_DEP_1)
	v_fmac_f32_e32 v114, v115, v113
	v_div_scale_f32 v115, null, v114, v114, 1.0
	s_delay_alu instid0(VALU_DEP_1) | instskip(SKIP_1) | instid1(TRANS32_DEP_1)
	v_rcp_f32_e32 v121, v115
	v_nop
	v_fma_f32 v122, -v115, v121, 1.0
	s_delay_alu instid0(VALU_DEP_1) | instskip(SKIP_1) | instid1(VALU_DEP_1)
	v_fmac_f32_e32 v121, v122, v121
	v_div_scale_f32 v122, vcc_lo, 1.0, v114, 1.0
	v_mul_f32_e32 v123, v122, v121
	s_delay_alu instid0(VALU_DEP_1) | instskip(NEXT) | instid1(VALU_DEP_1)
	v_fma_f32 v124, -v115, v123, v122
	v_fmac_f32_e32 v123, v124, v121
	s_delay_alu instid0(VALU_DEP_1) | instskip(NEXT) | instid1(VALU_DEP_1)
	v_fma_f32 v115, -v115, v123, v122
	v_div_fmas_f32 v115, v115, v121, v123
	s_delay_alu instid0(VALU_DEP_1) | instskip(NEXT) | instid1(VALU_DEP_1)
	v_div_fixup_f32 v114, v115, v114, 1.0
	v_mul_f32_e64 v115, v113, -v114
.LBB104_450:
	s_or_b32 exec_lo, exec_lo, s1
.LBB104_451:
	s_delay_alu instid0(SALU_CYCLE_1) | instskip(NEXT) | instid1(SALU_CYCLE_1)
	s_or_b32 exec_lo, exec_lo, s0
	s_mov_b32 s0, exec_lo
	v_cmpx_ne_u32_e64 v120, v112
	s_xor_b32 s0, exec_lo, s0
	s_cbranch_execz .LBB104_457
; %bb.452:
	s_mov_b32 s1, exec_lo
	v_cmpx_eq_u32_e32 21, v120
	s_cbranch_execz .LBB104_456
; %bb.453:
	v_cmp_ne_u32_e32 vcc_lo, 21, v112
	s_xor_b32 s12, s16, -1
	s_delay_alu instid0(SALU_CYCLE_1) | instskip(NEXT) | instid1(SALU_CYCLE_1)
	s_and_b32 s13, s12, vcc_lo
	s_and_saveexec_b32 s12, s13
	s_cbranch_execz .LBB104_455
; %bb.454:
	v_ashrrev_i32_e32 v113, 31, v112
	s_delay_alu instid0(VALU_DEP_1)
	v_lshl_add_u64 v[120:121], v[112:113], 2, v[4:5]
	s_clause 0x1
	global_load_b32 v113, v[120:121], off
	global_load_b32 v119, v[4:5], off offset:84
	s_wait_loadcnt 0x1
	global_store_b32 v[4:5], v113, off offset:84
	s_wait_loadcnt 0x0
	global_store_b32 v[120:121], v119, off
.LBB104_455:
	s_wait_xcnt 0x0
	s_or_b32 exec_lo, exec_lo, s12
	v_dual_mov_b32 v120, v112 :: v_dual_mov_b32 v119, v112
.LBB104_456:
	s_or_b32 exec_lo, exec_lo, s1
.LBB104_457:
	s_and_not1_saveexec_b32 s0, s0
	s_cbranch_execz .LBB104_459
; %bb.458:
	v_dual_mov_b32 v112, v74 :: v_dual_mov_b32 v113, v75
	v_dual_mov_b32 v120, v70 :: v_dual_mov_b32 v121, v71
	;; [unrolled: 1-line block ×8, first 2 shown]
	ds_store_2addr_b64 v116, v[112:113], v[120:121] offset0:22 offset1:23
	ds_store_2addr_b64 v116, v[122:123], v[124:125] offset0:24 offset1:25
	;; [unrolled: 1-line block ×4, first 2 shown]
	v_dual_mov_b32 v112, v50 :: v_dual_mov_b32 v113, v51
	v_dual_mov_b32 v120, v46 :: v_dual_mov_b32 v121, v47
	;; [unrolled: 1-line block ×12, first 2 shown]
	ds_store_2addr_b64 v116, v[112:113], v[120:121] offset0:30 offset1:31
	ds_store_2addr_b64 v116, v[122:123], v[124:125] offset0:32 offset1:33
	;; [unrolled: 1-line block ×6, first 2 shown]
	v_dual_mov_b32 v112, v24 :: v_dual_mov_b32 v113, v25
	v_dual_mov_b32 v120, v20 :: v_dual_mov_b32 v121, v21
	;; [unrolled: 1-line block ×6, first 2 shown]
	ds_store_2addr_b64 v116, v[112:113], v[120:121] offset0:42 offset1:43
	ds_store_2addr_b64 v116, v[122:123], v[124:125] offset0:44 offset1:45
	v_dual_mov_b32 v120, 21 :: v_dual_mov_b32 v130, v6
	v_dual_mov_b32 v131, v7 :: v_dual_mov_b32 v132, v28
	;; [unrolled: 1-line block ×4, first 2 shown]
	v_mov_b32_e32 v137, v17
	ds_store_2addr_b64 v116, v[126:127], v[128:129] offset0:46 offset1:47
	ds_store_2addr_b64 v116, v[130:131], v[132:133] offset0:48 offset1:49
	ds_store_2addr_b64 v116, v[134:135], v[136:137] offset0:50 offset1:51
	ds_store_b64 v116, v[110:111] offset:416
.LBB104_459:
	s_or_b32 exec_lo, exec_lo, s0
	s_delay_alu instid0(SALU_CYCLE_1)
	s_mov_b32 s0, exec_lo
	s_wait_storecnt_dscnt 0x0
	s_barrier_signal -1
	s_barrier_wait -1
	v_cmpx_lt_i32_e32 21, v120
	s_cbranch_execz .LBB104_461
; %bb.460:
	v_pk_mul_f32 v[122:123], v[114:115], v[72:73] op_sel:[1,1] op_sel_hi:[0,1]
	s_delay_alu instid0(VALU_DEP_1)
	v_pk_fma_f32 v[112:113], v[114:115], v[72:73], v[122:123] op_sel_hi:[1,0,1] neg_lo:[0,0,1] neg_hi:[0,0,1]
	v_pk_fma_f32 v[114:115], v[114:115], v[72:73], v[122:123] op_sel_hi:[1,0,1]
	ds_load_2addr_b64 v[122:125], v116 offset0:22 offset1:23
	v_dual_mov_b32 v72, v112 :: v_dual_mov_b32 v73, v115
	s_wait_dscnt 0x0
	v_pk_mul_f32 v[126:127], v[122:123], v[114:115] op_sel:[0,1]
	s_delay_alu instid0(VALU_DEP_1) | instskip(SKIP_1) | instid1(VALU_DEP_1)
	v_pk_fma_f32 v[128:129], v[122:123], v[112:113], v[126:127] op_sel:[0,0,1] op_sel_hi:[1,1,0] neg_lo:[0,0,1] neg_hi:[0,0,1]
	v_pk_fma_f32 v[122:123], v[122:123], v[112:113], v[126:127] op_sel:[0,0,1] op_sel_hi:[1,0,0]
	v_mov_b32_e32 v129, v123
	v_pk_mul_f32 v[122:123], v[124:125], v[114:115] op_sel:[0,1]
	s_delay_alu instid0(VALU_DEP_1) | instskip(SKIP_1) | instid1(VALU_DEP_1)
	v_pk_fma_f32 v[126:127], v[124:125], v[112:113], v[122:123] op_sel:[0,0,1] op_sel_hi:[1,1,0] neg_lo:[0,0,1] neg_hi:[0,0,1]
	v_pk_fma_f32 v[122:123], v[124:125], v[112:113], v[122:123] op_sel:[0,0,1] op_sel_hi:[1,0,0]
	v_mov_b32_e32 v127, v123
	ds_load_2addr_b64 v[122:125], v116 offset0:24 offset1:25
	v_pk_add_f32 v[74:75], v[74:75], v[128:129] neg_lo:[0,1] neg_hi:[0,1]
	v_pk_add_f32 v[70:71], v[70:71], v[126:127] neg_lo:[0,1] neg_hi:[0,1]
	s_wait_dscnt 0x0
	v_pk_mul_f32 v[126:127], v[122:123], v[114:115] op_sel:[0,1]
	s_delay_alu instid0(VALU_DEP_1) | instskip(SKIP_2) | instid1(VALU_DEP_2)
	v_pk_fma_f32 v[128:129], v[122:123], v[112:113], v[126:127] op_sel:[0,0,1] op_sel_hi:[1,1,0] neg_lo:[0,0,1] neg_hi:[0,0,1]
	v_pk_fma_f32 v[122:123], v[122:123], v[112:113], v[126:127] op_sel:[0,0,1] op_sel_hi:[1,0,0]
	v_dual_mul_f32 v126, v125, v115 :: v_dual_mov_b32 v122, v125
	v_dual_mov_b32 v129, v123 :: v_dual_mov_b32 v123, v124
	s_delay_alu instid0(VALU_DEP_2) | instskip(SKIP_1) | instid1(VALU_DEP_3)
	v_pk_fma_f32 v[126:127], v[124:125], v[72:73], v[126:127] op_sel_hi:[1,1,0] neg_lo:[0,0,1] neg_hi:[0,0,1]
	v_mul_f32_e32 v124, v125, v112
	v_pk_add_f32 v[68:69], v[68:69], v[128:129] neg_lo:[0,1] neg_hi:[0,1]
	s_delay_alu instid0(VALU_DEP_2) | instskip(NEXT) | instid1(VALU_DEP_1)
	v_pk_fma_f32 v[122:123], v[122:123], v[72:73], v[124:125] op_sel_hi:[1,1,0]
	v_mov_b32_e32 v127, v123
	ds_load_2addr_b64 v[122:125], v116 offset0:26 offset1:27
	v_pk_add_f32 v[64:65], v[64:65], v[126:127] neg_lo:[0,1] neg_hi:[0,1]
	s_wait_dscnt 0x0
	v_pk_mul_f32 v[126:127], v[122:123], v[114:115] op_sel:[0,1]
	s_delay_alu instid0(VALU_DEP_1) | instskip(SKIP_1) | instid1(VALU_DEP_1)
	v_pk_fma_f32 v[128:129], v[122:123], v[112:113], v[126:127] op_sel:[0,0,1] op_sel_hi:[1,1,0] neg_lo:[0,0,1] neg_hi:[0,0,1]
	v_pk_fma_f32 v[122:123], v[122:123], v[112:113], v[126:127] op_sel:[0,0,1] op_sel_hi:[1,0,0]
	v_mov_b32_e32 v129, v123
	v_pk_mul_f32 v[122:123], v[124:125], v[114:115] op_sel:[0,1]
	s_delay_alu instid0(VALU_DEP_1) | instskip(SKIP_1) | instid1(VALU_DEP_1)
	v_pk_fma_f32 v[126:127], v[124:125], v[112:113], v[122:123] op_sel:[0,0,1] op_sel_hi:[1,1,0] neg_lo:[0,0,1] neg_hi:[0,0,1]
	v_pk_fma_f32 v[122:123], v[124:125], v[112:113], v[122:123] op_sel:[0,0,1] op_sel_hi:[1,0,0]
	v_mov_b32_e32 v127, v123
	ds_load_2addr_b64 v[122:125], v116 offset0:28 offset1:29
	v_pk_add_f32 v[66:67], v[66:67], v[128:129] neg_lo:[0,1] neg_hi:[0,1]
	v_pk_add_f32 v[62:63], v[62:63], v[126:127] neg_lo:[0,1] neg_hi:[0,1]
	s_wait_dscnt 0x0
	v_pk_mul_f32 v[126:127], v[122:123], v[114:115] op_sel:[0,1]
	s_delay_alu instid0(VALU_DEP_1) | instskip(SKIP_1) | instid1(VALU_DEP_1)
	v_pk_fma_f32 v[128:129], v[122:123], v[112:113], v[126:127] op_sel:[0,0,1] op_sel_hi:[1,1,0] neg_lo:[0,0,1] neg_hi:[0,0,1]
	v_pk_fma_f32 v[122:123], v[122:123], v[112:113], v[126:127] op_sel:[0,0,1] op_sel_hi:[1,0,0]
	v_mov_b32_e32 v129, v123
	v_pk_mul_f32 v[122:123], v[124:125], v[114:115] op_sel:[0,1]
	s_delay_alu instid0(VALU_DEP_1) | instskip(SKIP_1) | instid1(VALU_DEP_1)
	v_pk_fma_f32 v[126:127], v[124:125], v[112:113], v[122:123] op_sel:[0,0,1] op_sel_hi:[1,1,0] neg_lo:[0,0,1] neg_hi:[0,0,1]
	v_pk_fma_f32 v[122:123], v[124:125], v[112:113], v[122:123] op_sel:[0,0,1] op_sel_hi:[1,0,0]
	v_mov_b32_e32 v127, v123
	ds_load_2addr_b64 v[122:125], v116 offset0:30 offset1:31
	v_pk_add_f32 v[52:53], v[52:53], v[128:129] neg_lo:[0,1] neg_hi:[0,1]
	v_pk_add_f32 v[48:49], v[48:49], v[126:127] neg_lo:[0,1] neg_hi:[0,1]
	s_wait_dscnt 0x0
	v_dual_mul_f32 v126, v123, v115 :: v_dual_mul_f32 v128, v123, v112
	s_delay_alu instid0(VALU_DEP_1) | instskip(NEXT) | instid1(VALU_DEP_2)
	v_pk_fma_f32 v[126:127], v[122:123], v[72:73], v[126:127] op_sel_hi:[1,1,0] neg_lo:[0,0,1] neg_hi:[0,0,1]
	v_pk_fma_f32 v[122:123], v[122:123], v[72:73], v[128:129] op_sel:[1,0,0] op_sel_hi:[0,1,0]
	s_delay_alu instid0(VALU_DEP_1) | instskip(SKIP_1) | instid1(VALU_DEP_2)
	v_mov_b32_e32 v127, v123
	v_pk_mul_f32 v[122:123], v[124:125], v[114:115] op_sel:[0,1]
	v_pk_add_f32 v[50:51], v[50:51], v[126:127] neg_lo:[0,1] neg_hi:[0,1]
	s_delay_alu instid0(VALU_DEP_2) | instskip(SKIP_1) | instid1(VALU_DEP_1)
	v_pk_fma_f32 v[126:127], v[124:125], v[112:113], v[122:123] op_sel:[0,0,1] op_sel_hi:[1,1,0] neg_lo:[0,0,1] neg_hi:[0,0,1]
	v_pk_fma_f32 v[122:123], v[124:125], v[112:113], v[122:123] op_sel:[0,0,1] op_sel_hi:[1,0,0]
	v_mov_b32_e32 v127, v123
	ds_load_2addr_b64 v[122:125], v116 offset0:32 offset1:33
	v_pk_add_f32 v[46:47], v[46:47], v[126:127] neg_lo:[0,1] neg_hi:[0,1]
	s_wait_dscnt 0x0
	v_pk_mul_f32 v[126:127], v[122:123], v[114:115] op_sel:[0,1]
	s_delay_alu instid0(VALU_DEP_1) | instskip(SKIP_1) | instid1(VALU_DEP_1)
	v_pk_fma_f32 v[128:129], v[122:123], v[112:113], v[126:127] op_sel:[0,0,1] op_sel_hi:[1,1,0] neg_lo:[0,0,1] neg_hi:[0,0,1]
	v_pk_fma_f32 v[122:123], v[122:123], v[112:113], v[126:127] op_sel:[0,0,1] op_sel_hi:[1,0,0]
	v_mov_b32_e32 v129, v123
	v_pk_mul_f32 v[122:123], v[124:125], v[114:115] op_sel:[0,1]
	s_delay_alu instid0(VALU_DEP_2) | instskip(NEXT) | instid1(VALU_DEP_2)
	v_pk_add_f32 v[44:45], v[44:45], v[128:129] neg_lo:[0,1] neg_hi:[0,1]
	v_pk_fma_f32 v[126:127], v[124:125], v[112:113], v[122:123] op_sel:[0,0,1] op_sel_hi:[1,1,0] neg_lo:[0,0,1] neg_hi:[0,0,1]
	v_pk_fma_f32 v[122:123], v[124:125], v[112:113], v[122:123] op_sel:[0,0,1] op_sel_hi:[1,0,0]
	s_delay_alu instid0(VALU_DEP_1) | instskip(SKIP_4) | instid1(VALU_DEP_1)
	v_mov_b32_e32 v127, v123
	ds_load_2addr_b64 v[122:125], v116 offset0:34 offset1:35
	v_pk_add_f32 v[40:41], v[40:41], v[126:127] neg_lo:[0,1] neg_hi:[0,1]
	s_wait_dscnt 0x0
	v_pk_mul_f32 v[126:127], v[122:123], v[114:115] op_sel:[0,1]
	v_pk_fma_f32 v[128:129], v[122:123], v[112:113], v[126:127] op_sel:[0,0,1] op_sel_hi:[1,1,0] neg_lo:[0,0,1] neg_hi:[0,0,1]
	v_pk_fma_f32 v[122:123], v[122:123], v[112:113], v[126:127] op_sel:[0,0,1] op_sel_hi:[1,0,0]
	v_dual_mul_f32 v126, v125, v115 :: v_dual_mov_b32 v122, v125
	s_delay_alu instid0(VALU_DEP_2) | instskip(NEXT) | instid1(VALU_DEP_2)
	v_dual_mov_b32 v129, v123 :: v_dual_mov_b32 v123, v124
	v_pk_fma_f32 v[126:127], v[124:125], v[72:73], v[126:127] op_sel_hi:[1,1,0] neg_lo:[0,0,1] neg_hi:[0,0,1]
	v_mul_f32_e32 v124, v125, v112
	s_delay_alu instid0(VALU_DEP_3) | instskip(NEXT) | instid1(VALU_DEP_2)
	v_pk_add_f32 v[42:43], v[42:43], v[128:129] neg_lo:[0,1] neg_hi:[0,1]
	v_pk_fma_f32 v[122:123], v[122:123], v[72:73], v[124:125] op_sel_hi:[1,1,0]
	s_delay_alu instid0(VALU_DEP_1) | instskip(SKIP_4) | instid1(VALU_DEP_1)
	v_mov_b32_e32 v127, v123
	ds_load_2addr_b64 v[122:125], v116 offset0:36 offset1:37
	v_pk_add_f32 v[38:39], v[38:39], v[126:127] neg_lo:[0,1] neg_hi:[0,1]
	s_wait_dscnt 0x0
	v_pk_mul_f32 v[126:127], v[122:123], v[114:115] op_sel:[0,1]
	v_pk_fma_f32 v[128:129], v[122:123], v[112:113], v[126:127] op_sel:[0,0,1] op_sel_hi:[1,1,0] neg_lo:[0,0,1] neg_hi:[0,0,1]
	v_pk_fma_f32 v[122:123], v[122:123], v[112:113], v[126:127] op_sel:[0,0,1] op_sel_hi:[1,0,0]
	s_delay_alu instid0(VALU_DEP_1) | instskip(SKIP_1) | instid1(VALU_DEP_1)
	v_mov_b32_e32 v129, v123
	v_pk_mul_f32 v[122:123], v[124:125], v[114:115] op_sel:[0,1]
	v_pk_fma_f32 v[126:127], v[124:125], v[112:113], v[122:123] op_sel:[0,0,1] op_sel_hi:[1,1,0] neg_lo:[0,0,1] neg_hi:[0,0,1]
	v_pk_fma_f32 v[122:123], v[124:125], v[112:113], v[122:123] op_sel:[0,0,1] op_sel_hi:[1,0,0]
	s_delay_alu instid0(VALU_DEP_1)
	v_mov_b32_e32 v127, v123
	ds_load_2addr_b64 v[122:125], v116 offset0:38 offset1:39
	v_pk_add_f32 v[36:37], v[36:37], v[128:129] neg_lo:[0,1] neg_hi:[0,1]
	v_pk_add_f32 v[32:33], v[32:33], v[126:127] neg_lo:[0,1] neg_hi:[0,1]
	s_wait_dscnt 0x0
	v_pk_mul_f32 v[126:127], v[122:123], v[114:115] op_sel:[0,1]
	s_delay_alu instid0(VALU_DEP_1) | instskip(SKIP_1) | instid1(VALU_DEP_1)
	v_pk_fma_f32 v[128:129], v[122:123], v[112:113], v[126:127] op_sel:[0,0,1] op_sel_hi:[1,1,0] neg_lo:[0,0,1] neg_hi:[0,0,1]
	v_pk_fma_f32 v[122:123], v[122:123], v[112:113], v[126:127] op_sel:[0,0,1] op_sel_hi:[1,0,0]
	v_mov_b32_e32 v129, v123
	v_pk_mul_f32 v[122:123], v[124:125], v[114:115] op_sel:[0,1]
	s_delay_alu instid0(VALU_DEP_1) | instskip(SKIP_1) | instid1(VALU_DEP_1)
	v_pk_fma_f32 v[126:127], v[124:125], v[112:113], v[122:123] op_sel:[0,0,1] op_sel_hi:[1,1,0] neg_lo:[0,0,1] neg_hi:[0,0,1]
	v_pk_fma_f32 v[122:123], v[124:125], v[112:113], v[122:123] op_sel:[0,0,1] op_sel_hi:[1,0,0]
	v_mov_b32_e32 v127, v123
	ds_load_2addr_b64 v[122:125], v116 offset0:40 offset1:41
	v_pk_add_f32 v[34:35], v[34:35], v[128:129] neg_lo:[0,1] neg_hi:[0,1]
	v_pk_add_f32 v[30:31], v[30:31], v[126:127] neg_lo:[0,1] neg_hi:[0,1]
	s_wait_dscnt 0x0
	v_dual_mul_f32 v126, v123, v115 :: v_dual_mul_f32 v128, v123, v112
	s_delay_alu instid0(VALU_DEP_1) | instskip(NEXT) | instid1(VALU_DEP_2)
	v_pk_fma_f32 v[126:127], v[122:123], v[72:73], v[126:127] op_sel_hi:[1,1,0] neg_lo:[0,0,1] neg_hi:[0,0,1]
	v_pk_fma_f32 v[122:123], v[122:123], v[72:73], v[128:129] op_sel:[1,0,0] op_sel_hi:[0,1,0]
	s_delay_alu instid0(VALU_DEP_1) | instskip(SKIP_1) | instid1(VALU_DEP_2)
	v_mov_b32_e32 v127, v123
	v_pk_mul_f32 v[122:123], v[124:125], v[114:115] op_sel:[0,1]
	v_pk_add_f32 v[26:27], v[26:27], v[126:127] neg_lo:[0,1] neg_hi:[0,1]
	s_delay_alu instid0(VALU_DEP_2) | instskip(SKIP_1) | instid1(VALU_DEP_1)
	v_pk_fma_f32 v[126:127], v[124:125], v[112:113], v[122:123] op_sel:[0,0,1] op_sel_hi:[1,1,0] neg_lo:[0,0,1] neg_hi:[0,0,1]
	v_pk_fma_f32 v[122:123], v[124:125], v[112:113], v[122:123] op_sel:[0,0,1] op_sel_hi:[1,0,0]
	v_mov_b32_e32 v127, v123
	ds_load_2addr_b64 v[122:125], v116 offset0:42 offset1:43
	v_pk_add_f32 v[22:23], v[22:23], v[126:127] neg_lo:[0,1] neg_hi:[0,1]
	s_wait_dscnt 0x0
	v_pk_mul_f32 v[126:127], v[122:123], v[114:115] op_sel:[0,1]
	s_delay_alu instid0(VALU_DEP_1) | instskip(SKIP_1) | instid1(VALU_DEP_1)
	v_pk_fma_f32 v[128:129], v[122:123], v[112:113], v[126:127] op_sel:[0,0,1] op_sel_hi:[1,1,0] neg_lo:[0,0,1] neg_hi:[0,0,1]
	v_pk_fma_f32 v[122:123], v[122:123], v[112:113], v[126:127] op_sel:[0,0,1] op_sel_hi:[1,0,0]
	v_mov_b32_e32 v129, v123
	v_pk_mul_f32 v[122:123], v[124:125], v[114:115] op_sel:[0,1]
	s_delay_alu instid0(VALU_DEP_2) | instskip(NEXT) | instid1(VALU_DEP_2)
	v_pk_add_f32 v[24:25], v[24:25], v[128:129] neg_lo:[0,1] neg_hi:[0,1]
	v_pk_fma_f32 v[126:127], v[124:125], v[112:113], v[122:123] op_sel:[0,0,1] op_sel_hi:[1,1,0] neg_lo:[0,0,1] neg_hi:[0,0,1]
	v_pk_fma_f32 v[122:123], v[124:125], v[112:113], v[122:123] op_sel:[0,0,1] op_sel_hi:[1,0,0]
	s_delay_alu instid0(VALU_DEP_1) | instskip(SKIP_4) | instid1(VALU_DEP_1)
	v_mov_b32_e32 v127, v123
	ds_load_2addr_b64 v[122:125], v116 offset0:44 offset1:45
	v_pk_add_f32 v[20:21], v[20:21], v[126:127] neg_lo:[0,1] neg_hi:[0,1]
	s_wait_dscnt 0x0
	v_pk_mul_f32 v[126:127], v[122:123], v[114:115] op_sel:[0,1]
	v_pk_fma_f32 v[128:129], v[122:123], v[112:113], v[126:127] op_sel:[0,0,1] op_sel_hi:[1,1,0] neg_lo:[0,0,1] neg_hi:[0,0,1]
	v_pk_fma_f32 v[122:123], v[122:123], v[112:113], v[126:127] op_sel:[0,0,1] op_sel_hi:[1,0,0]
	v_dual_mul_f32 v126, v125, v115 :: v_dual_mov_b32 v122, v125
	s_delay_alu instid0(VALU_DEP_2) | instskip(NEXT) | instid1(VALU_DEP_2)
	v_dual_mov_b32 v129, v123 :: v_dual_mov_b32 v123, v124
	v_pk_fma_f32 v[126:127], v[124:125], v[72:73], v[126:127] op_sel_hi:[1,1,0] neg_lo:[0,0,1] neg_hi:[0,0,1]
	v_mul_f32_e32 v124, v125, v112
	s_delay_alu instid0(VALU_DEP_3) | instskip(NEXT) | instid1(VALU_DEP_2)
	v_pk_add_f32 v[14:15], v[14:15], v[128:129] neg_lo:[0,1] neg_hi:[0,1]
	v_pk_fma_f32 v[122:123], v[122:123], v[72:73], v[124:125] op_sel_hi:[1,1,0]
	s_delay_alu instid0(VALU_DEP_1) | instskip(SKIP_4) | instid1(VALU_DEP_1)
	v_mov_b32_e32 v127, v123
	ds_load_2addr_b64 v[122:125], v116 offset0:46 offset1:47
	v_pk_add_f32 v[10:11], v[10:11], v[126:127] neg_lo:[0,1] neg_hi:[0,1]
	s_wait_dscnt 0x0
	v_pk_mul_f32 v[126:127], v[122:123], v[114:115] op_sel:[0,1]
	v_pk_fma_f32 v[128:129], v[122:123], v[112:113], v[126:127] op_sel:[0,0,1] op_sel_hi:[1,1,0] neg_lo:[0,0,1] neg_hi:[0,0,1]
	v_pk_fma_f32 v[122:123], v[122:123], v[112:113], v[126:127] op_sel:[0,0,1] op_sel_hi:[1,0,0]
	s_delay_alu instid0(VALU_DEP_1) | instskip(SKIP_1) | instid1(VALU_DEP_1)
	v_mov_b32_e32 v129, v123
	v_pk_mul_f32 v[122:123], v[124:125], v[114:115] op_sel:[0,1]
	v_pk_fma_f32 v[126:127], v[124:125], v[112:113], v[122:123] op_sel:[0,0,1] op_sel_hi:[1,1,0] neg_lo:[0,0,1] neg_hi:[0,0,1]
	v_pk_fma_f32 v[122:123], v[124:125], v[112:113], v[122:123] op_sel:[0,0,1] op_sel_hi:[1,0,0]
	s_delay_alu instid0(VALU_DEP_1)
	v_mov_b32_e32 v127, v123
	ds_load_2addr_b64 v[122:125], v116 offset0:48 offset1:49
	v_pk_add_f32 v[12:13], v[12:13], v[128:129] neg_lo:[0,1] neg_hi:[0,1]
	v_pk_add_f32 v[8:9], v[8:9], v[126:127] neg_lo:[0,1] neg_hi:[0,1]
	s_wait_dscnt 0x0
	v_pk_mul_f32 v[126:127], v[122:123], v[114:115] op_sel:[0,1]
	s_delay_alu instid0(VALU_DEP_1) | instskip(SKIP_1) | instid1(VALU_DEP_1)
	v_pk_fma_f32 v[128:129], v[122:123], v[112:113], v[126:127] op_sel:[0,0,1] op_sel_hi:[1,1,0] neg_lo:[0,0,1] neg_hi:[0,0,1]
	v_pk_fma_f32 v[122:123], v[122:123], v[112:113], v[126:127] op_sel:[0,0,1] op_sel_hi:[1,0,0]
	v_mov_b32_e32 v129, v123
	v_pk_mul_f32 v[122:123], v[124:125], v[114:115] op_sel:[0,1]
	s_delay_alu instid0(VALU_DEP_1) | instskip(SKIP_1) | instid1(VALU_DEP_1)
	v_pk_fma_f32 v[126:127], v[124:125], v[112:113], v[122:123] op_sel:[0,0,1] op_sel_hi:[1,1,0] neg_lo:[0,0,1] neg_hi:[0,0,1]
	v_pk_fma_f32 v[122:123], v[124:125], v[112:113], v[122:123] op_sel:[0,0,1] op_sel_hi:[1,0,0]
	v_mov_b32_e32 v127, v123
	ds_load_2addr_b64 v[122:125], v116 offset0:50 offset1:51
	v_pk_add_f32 v[6:7], v[6:7], v[128:129] neg_lo:[0,1] neg_hi:[0,1]
	v_pk_add_f32 v[28:29], v[28:29], v[126:127] neg_lo:[0,1] neg_hi:[0,1]
	s_wait_dscnt 0x0
	v_dual_mul_f32 v126, v123, v115 :: v_dual_mul_f32 v128, v123, v112
	s_delay_alu instid0(VALU_DEP_1) | instskip(NEXT) | instid1(VALU_DEP_2)
	v_pk_fma_f32 v[126:127], v[122:123], v[72:73], v[126:127] op_sel_hi:[1,1,0] neg_lo:[0,0,1] neg_hi:[0,0,1]
	v_pk_fma_f32 v[122:123], v[122:123], v[72:73], v[128:129] op_sel:[1,0,0] op_sel_hi:[0,1,0]
	s_delay_alu instid0(VALU_DEP_1) | instskip(SKIP_1) | instid1(VALU_DEP_2)
	v_mov_b32_e32 v127, v123
	v_pk_mul_f32 v[122:123], v[124:125], v[114:115] op_sel:[0,1]
	v_pk_add_f32 v[18:19], v[18:19], v[126:127] neg_lo:[0,1] neg_hi:[0,1]
	s_delay_alu instid0(VALU_DEP_2) | instskip(SKIP_1) | instid1(VALU_DEP_1)
	v_pk_fma_f32 v[126:127], v[124:125], v[112:113], v[122:123] op_sel:[0,0,1] op_sel_hi:[1,1,0] neg_lo:[0,0,1] neg_hi:[0,0,1]
	v_pk_fma_f32 v[122:123], v[124:125], v[112:113], v[122:123] op_sel:[0,0,1] op_sel_hi:[1,0,0]
	v_mov_b32_e32 v127, v123
	ds_load_b64 v[122:123], v116 offset:416
	v_pk_add_f32 v[16:17], v[16:17], v[126:127] neg_lo:[0,1] neg_hi:[0,1]
	s_wait_dscnt 0x0
	v_pk_mul_f32 v[114:115], v[122:123], v[114:115] op_sel:[0,1]
	s_delay_alu instid0(VALU_DEP_1) | instskip(SKIP_1) | instid1(VALU_DEP_1)
	v_pk_fma_f32 v[124:125], v[122:123], v[112:113], v[114:115] op_sel:[0,0,1] op_sel_hi:[1,1,0] neg_lo:[0,0,1] neg_hi:[0,0,1]
	v_pk_fma_f32 v[112:113], v[122:123], v[112:113], v[114:115] op_sel:[0,0,1] op_sel_hi:[1,0,0]
	v_mov_b32_e32 v125, v113
	s_delay_alu instid0(VALU_DEP_1)
	v_pk_add_f32 v[110:111], v[110:111], v[124:125] neg_lo:[0,1] neg_hi:[0,1]
.LBB104_461:
	s_or_b32 exec_lo, exec_lo, s0
	v_lshl_add_u32 v112, v120, 3, v116
	s_barrier_signal -1
	s_barrier_wait -1
	ds_store_b64 v112, v[74:75]
	s_wait_dscnt 0x0
	s_barrier_signal -1
	s_barrier_wait -1
	ds_load_b64 v[114:115], v116 offset:176
	v_mov_b32_e32 v112, 22
	s_cmp_lt_i32 s18, 24
	s_cbranch_scc1 .LBB104_464
; %bb.462:
	v_add3_u32 v113, v117, 0, 0xb8
	v_mov_b32_e32 v112, 22
	s_mov_b32 s0, 23
.LBB104_463:                            ; =>This Inner Loop Header: Depth=1
	ds_load_b64 v[122:123], v113
	s_wait_dscnt 0x1
	v_cmp_gt_f32_e32 vcc_lo, 0, v114
	v_cndmask_b32_e64 v124, v114, -v114, vcc_lo
	v_cmp_gt_f32_e32 vcc_lo, 0, v115
	v_cndmask_b32_e64 v126, v115, -v115, vcc_lo
	s_wait_dscnt 0x0
	v_cmp_gt_f32_e32 vcc_lo, 0, v122
	v_cndmask_b32_e64 v125, v122, -v122, vcc_lo
	v_cmp_gt_f32_e32 vcc_lo, 0, v123
	v_cndmask_b32_e64 v127, v123, -v123, vcc_lo
	s_delay_alu instid0(VALU_DEP_1) | instskip(NEXT) | instid1(VALU_DEP_1)
	v_pk_add_f32 v[124:125], v[124:125], v[126:127]
	v_cmp_lt_f32_e32 vcc_lo, v124, v125
	v_dual_add_nc_u32 v113, 8, v113 :: v_dual_cndmask_b32 v115, v115, v123, vcc_lo
	v_cndmask_b32_e32 v114, v114, v122, vcc_lo
	v_cndmask_b32_e64 v112, v112, s0, vcc_lo
	s_add_co_i32 s0, s0, 1
	s_delay_alu instid0(SALU_CYCLE_1)
	s_cmp_lg_u32 s18, s0
	s_cbranch_scc1 .LBB104_463
.LBB104_464:
	s_wait_dscnt 0x0
	v_cmp_eq_f32_e32 vcc_lo, 0, v114
	v_cmp_eq_f32_e64 s0, 0, v115
	s_and_b32 s0, vcc_lo, s0
	s_delay_alu instid0(SALU_CYCLE_1) | instskip(NEXT) | instid1(SALU_CYCLE_1)
	s_and_saveexec_b32 s1, s0
	s_xor_b32 s0, exec_lo, s1
; %bb.465:
	v_cmp_ne_u32_e32 vcc_lo, 0, v118
	v_cndmask_b32_e32 v118, 23, v118, vcc_lo
; %bb.466:
	s_and_not1_saveexec_b32 s0, s0
	s_cbranch_execz .LBB104_472
; %bb.467:
	v_cmp_ngt_f32_e64 s1, |v114|, |v115|
	s_and_saveexec_b32 s12, s1
	s_delay_alu instid0(SALU_CYCLE_1)
	s_xor_b32 s1, exec_lo, s12
	s_cbranch_execz .LBB104_469
; %bb.468:
	v_div_scale_f32 v113, null, v115, v115, v114
	v_div_scale_f32 v123, vcc_lo, v114, v115, v114
	s_delay_alu instid0(VALU_DEP_2) | instskip(SKIP_1) | instid1(TRANS32_DEP_1)
	v_rcp_f32_e32 v121, v113
	v_nop
	v_fma_f32 v122, -v113, v121, 1.0
	s_delay_alu instid0(VALU_DEP_1) | instskip(NEXT) | instid1(VALU_DEP_1)
	v_fmac_f32_e32 v121, v122, v121
	v_mul_f32_e32 v122, v123, v121
	s_delay_alu instid0(VALU_DEP_1) | instskip(NEXT) | instid1(VALU_DEP_1)
	v_fma_f32 v124, -v113, v122, v123
	v_fmac_f32_e32 v122, v124, v121
	s_delay_alu instid0(VALU_DEP_1) | instskip(NEXT) | instid1(VALU_DEP_1)
	v_fma_f32 v113, -v113, v122, v123
	v_div_fmas_f32 v113, v113, v121, v122
	s_delay_alu instid0(VALU_DEP_1) | instskip(NEXT) | instid1(VALU_DEP_1)
	v_div_fixup_f32 v113, v113, v115, v114
	v_fmac_f32_e32 v115, v114, v113
	s_delay_alu instid0(VALU_DEP_1) | instskip(SKIP_1) | instid1(VALU_DEP_2)
	v_div_scale_f32 v114, null, v115, v115, 1.0
	v_div_scale_f32 v123, vcc_lo, 1.0, v115, 1.0
	v_rcp_f32_e32 v121, v114
	v_nop
	s_delay_alu instid0(TRANS32_DEP_1) | instskip(NEXT) | instid1(VALU_DEP_1)
	v_fma_f32 v122, -v114, v121, 1.0
	v_fmac_f32_e32 v121, v122, v121
	s_delay_alu instid0(VALU_DEP_1) | instskip(NEXT) | instid1(VALU_DEP_1)
	v_mul_f32_e32 v122, v123, v121
	v_fma_f32 v124, -v114, v122, v123
	s_delay_alu instid0(VALU_DEP_1) | instskip(NEXT) | instid1(VALU_DEP_1)
	v_fmac_f32_e32 v122, v124, v121
	v_fma_f32 v114, -v114, v122, v123
	s_delay_alu instid0(VALU_DEP_1) | instskip(NEXT) | instid1(VALU_DEP_1)
	v_div_fmas_f32 v114, v114, v121, v122
	v_div_fixup_f32 v115, v114, v115, 1.0
	s_delay_alu instid0(VALU_DEP_1)
	v_mul_f32_e32 v114, v113, v115
	v_xor_b32_e32 v115, 0x80000000, v115
.LBB104_469:
	s_and_not1_saveexec_b32 s1, s1
	s_cbranch_execz .LBB104_471
; %bb.470:
	s_delay_alu instid0(VALU_DEP_1) | instskip(SKIP_1) | instid1(VALU_DEP_2)
	v_div_scale_f32 v113, null, v114, v114, v115
	v_div_scale_f32 v123, vcc_lo, v115, v114, v115
	v_rcp_f32_e32 v121, v113
	v_nop
	s_delay_alu instid0(TRANS32_DEP_1) | instskip(NEXT) | instid1(VALU_DEP_1)
	v_fma_f32 v122, -v113, v121, 1.0
	v_fmac_f32_e32 v121, v122, v121
	s_delay_alu instid0(VALU_DEP_1) | instskip(NEXT) | instid1(VALU_DEP_1)
	v_mul_f32_e32 v122, v123, v121
	v_fma_f32 v124, -v113, v122, v123
	s_delay_alu instid0(VALU_DEP_1) | instskip(NEXT) | instid1(VALU_DEP_1)
	v_fmac_f32_e32 v122, v124, v121
	v_fma_f32 v113, -v113, v122, v123
	s_delay_alu instid0(VALU_DEP_1) | instskip(NEXT) | instid1(VALU_DEP_1)
	v_div_fmas_f32 v113, v113, v121, v122
	v_div_fixup_f32 v113, v113, v114, v115
	s_delay_alu instid0(VALU_DEP_1) | instskip(NEXT) | instid1(VALU_DEP_1)
	v_fmac_f32_e32 v114, v115, v113
	v_div_scale_f32 v115, null, v114, v114, 1.0
	s_delay_alu instid0(VALU_DEP_1) | instskip(SKIP_1) | instid1(TRANS32_DEP_1)
	v_rcp_f32_e32 v121, v115
	v_nop
	v_fma_f32 v122, -v115, v121, 1.0
	s_delay_alu instid0(VALU_DEP_1) | instskip(SKIP_1) | instid1(VALU_DEP_1)
	v_fmac_f32_e32 v121, v122, v121
	v_div_scale_f32 v122, vcc_lo, 1.0, v114, 1.0
	v_mul_f32_e32 v123, v122, v121
	s_delay_alu instid0(VALU_DEP_1) | instskip(NEXT) | instid1(VALU_DEP_1)
	v_fma_f32 v124, -v115, v123, v122
	v_fmac_f32_e32 v123, v124, v121
	s_delay_alu instid0(VALU_DEP_1) | instskip(NEXT) | instid1(VALU_DEP_1)
	v_fma_f32 v115, -v115, v123, v122
	v_div_fmas_f32 v115, v115, v121, v123
	s_delay_alu instid0(VALU_DEP_1) | instskip(NEXT) | instid1(VALU_DEP_1)
	v_div_fixup_f32 v114, v115, v114, 1.0
	v_mul_f32_e64 v115, v113, -v114
.LBB104_471:
	s_or_b32 exec_lo, exec_lo, s1
.LBB104_472:
	s_delay_alu instid0(SALU_CYCLE_1) | instskip(NEXT) | instid1(SALU_CYCLE_1)
	s_or_b32 exec_lo, exec_lo, s0
	s_mov_b32 s0, exec_lo
	v_cmpx_ne_u32_e64 v120, v112
	s_xor_b32 s0, exec_lo, s0
	s_cbranch_execz .LBB104_478
; %bb.473:
	s_mov_b32 s1, exec_lo
	v_cmpx_eq_u32_e32 22, v120
	s_cbranch_execz .LBB104_477
; %bb.474:
	v_cmp_ne_u32_e32 vcc_lo, 22, v112
	s_xor_b32 s12, s16, -1
	s_delay_alu instid0(SALU_CYCLE_1) | instskip(NEXT) | instid1(SALU_CYCLE_1)
	s_and_b32 s13, s12, vcc_lo
	s_and_saveexec_b32 s12, s13
	s_cbranch_execz .LBB104_476
; %bb.475:
	v_ashrrev_i32_e32 v113, 31, v112
	s_delay_alu instid0(VALU_DEP_1)
	v_lshl_add_u64 v[120:121], v[112:113], 2, v[4:5]
	s_clause 0x1
	global_load_b32 v113, v[120:121], off
	global_load_b32 v119, v[4:5], off offset:88
	s_wait_loadcnt 0x1
	global_store_b32 v[4:5], v113, off offset:88
	s_wait_loadcnt 0x0
	global_store_b32 v[120:121], v119, off
.LBB104_476:
	s_wait_xcnt 0x0
	s_or_b32 exec_lo, exec_lo, s12
	v_dual_mov_b32 v120, v112 :: v_dual_mov_b32 v119, v112
.LBB104_477:
	s_or_b32 exec_lo, exec_lo, s1
.LBB104_478:
	s_and_not1_saveexec_b32 s0, s0
	s_cbranch_execz .LBB104_480
; %bb.479:
	v_mov_b32_e32 v120, 22
	ds_store_2addr_b64 v116, v[70:71], v[68:69] offset0:23 offset1:24
	ds_store_2addr_b64 v116, v[64:65], v[66:67] offset0:25 offset1:26
	;; [unrolled: 1-line block ×15, first 2 shown]
.LBB104_480:
	s_or_b32 exec_lo, exec_lo, s0
	s_delay_alu instid0(SALU_CYCLE_1)
	s_mov_b32 s0, exec_lo
	s_wait_storecnt_dscnt 0x0
	s_barrier_signal -1
	s_barrier_wait -1
	v_cmpx_lt_i32_e32 22, v120
	s_cbranch_execz .LBB104_482
; %bb.481:
	v_pk_mul_f32 v[122:123], v[114:115], v[74:75] op_sel:[1,1] op_sel_hi:[0,1]
	s_delay_alu instid0(VALU_DEP_1)
	v_pk_fma_f32 v[112:113], v[114:115], v[74:75], v[122:123] op_sel_hi:[1,0,1] neg_lo:[0,0,1] neg_hi:[0,0,1]
	v_pk_fma_f32 v[114:115], v[114:115], v[74:75], v[122:123] op_sel_hi:[1,0,1]
	ds_load_2addr_b64 v[122:125], v116 offset0:23 offset1:24
	v_dual_mov_b32 v74, v112 :: v_dual_mov_b32 v75, v115
	s_wait_dscnt 0x0
	v_pk_mul_f32 v[126:127], v[122:123], v[114:115] op_sel:[0,1]
	s_delay_alu instid0(VALU_DEP_1) | instskip(SKIP_1) | instid1(VALU_DEP_1)
	v_pk_fma_f32 v[128:129], v[122:123], v[112:113], v[126:127] op_sel:[0,0,1] op_sel_hi:[1,1,0] neg_lo:[0,0,1] neg_hi:[0,0,1]
	v_pk_fma_f32 v[122:123], v[122:123], v[112:113], v[126:127] op_sel:[0,0,1] op_sel_hi:[1,0,0]
	v_mov_b32_e32 v129, v123
	v_pk_mul_f32 v[122:123], v[124:125], v[114:115] op_sel:[0,1]
	s_delay_alu instid0(VALU_DEP_1) | instskip(SKIP_1) | instid1(VALU_DEP_1)
	v_pk_fma_f32 v[126:127], v[124:125], v[112:113], v[122:123] op_sel:[0,0,1] op_sel_hi:[1,1,0] neg_lo:[0,0,1] neg_hi:[0,0,1]
	v_pk_fma_f32 v[122:123], v[124:125], v[112:113], v[122:123] op_sel:[0,0,1] op_sel_hi:[1,0,0]
	v_mov_b32_e32 v127, v123
	ds_load_2addr_b64 v[122:125], v116 offset0:25 offset1:26
	v_pk_add_f32 v[70:71], v[70:71], v[128:129] neg_lo:[0,1] neg_hi:[0,1]
	v_pk_add_f32 v[68:69], v[68:69], v[126:127] neg_lo:[0,1] neg_hi:[0,1]
	s_wait_dscnt 0x0
	v_pk_mul_f32 v[126:127], v[122:123], v[114:115] op_sel:[0,1]
	s_delay_alu instid0(VALU_DEP_1) | instskip(SKIP_2) | instid1(VALU_DEP_2)
	v_pk_fma_f32 v[128:129], v[122:123], v[112:113], v[126:127] op_sel:[0,0,1] op_sel_hi:[1,1,0] neg_lo:[0,0,1] neg_hi:[0,0,1]
	v_pk_fma_f32 v[122:123], v[122:123], v[112:113], v[126:127] op_sel:[0,0,1] op_sel_hi:[1,0,0]
	v_dual_mul_f32 v126, v125, v115 :: v_dual_mov_b32 v122, v125
	v_dual_mov_b32 v129, v123 :: v_dual_mov_b32 v123, v124
	s_delay_alu instid0(VALU_DEP_2) | instskip(SKIP_1) | instid1(VALU_DEP_3)
	v_pk_fma_f32 v[126:127], v[124:125], v[74:75], v[126:127] op_sel_hi:[1,1,0] neg_lo:[0,0,1] neg_hi:[0,0,1]
	v_mul_f32_e32 v124, v125, v112
	v_pk_add_f32 v[64:65], v[64:65], v[128:129] neg_lo:[0,1] neg_hi:[0,1]
	s_delay_alu instid0(VALU_DEP_2) | instskip(NEXT) | instid1(VALU_DEP_1)
	v_pk_fma_f32 v[122:123], v[122:123], v[74:75], v[124:125] op_sel_hi:[1,1,0]
	v_mov_b32_e32 v127, v123
	ds_load_2addr_b64 v[122:125], v116 offset0:27 offset1:28
	v_pk_add_f32 v[66:67], v[66:67], v[126:127] neg_lo:[0,1] neg_hi:[0,1]
	s_wait_dscnt 0x0
	v_pk_mul_f32 v[126:127], v[122:123], v[114:115] op_sel:[0,1]
	s_delay_alu instid0(VALU_DEP_1) | instskip(SKIP_1) | instid1(VALU_DEP_1)
	v_pk_fma_f32 v[128:129], v[122:123], v[112:113], v[126:127] op_sel:[0,0,1] op_sel_hi:[1,1,0] neg_lo:[0,0,1] neg_hi:[0,0,1]
	v_pk_fma_f32 v[122:123], v[122:123], v[112:113], v[126:127] op_sel:[0,0,1] op_sel_hi:[1,0,0]
	v_mov_b32_e32 v129, v123
	v_pk_mul_f32 v[122:123], v[124:125], v[114:115] op_sel:[0,1]
	s_delay_alu instid0(VALU_DEP_1) | instskip(SKIP_1) | instid1(VALU_DEP_1)
	v_pk_fma_f32 v[126:127], v[124:125], v[112:113], v[122:123] op_sel:[0,0,1] op_sel_hi:[1,1,0] neg_lo:[0,0,1] neg_hi:[0,0,1]
	v_pk_fma_f32 v[122:123], v[124:125], v[112:113], v[122:123] op_sel:[0,0,1] op_sel_hi:[1,0,0]
	v_mov_b32_e32 v127, v123
	ds_load_2addr_b64 v[122:125], v116 offset0:29 offset1:30
	v_pk_add_f32 v[62:63], v[62:63], v[128:129] neg_lo:[0,1] neg_hi:[0,1]
	v_pk_add_f32 v[52:53], v[52:53], v[126:127] neg_lo:[0,1] neg_hi:[0,1]
	s_wait_dscnt 0x0
	v_pk_mul_f32 v[126:127], v[122:123], v[114:115] op_sel:[0,1]
	s_delay_alu instid0(VALU_DEP_1) | instskip(SKIP_1) | instid1(VALU_DEP_1)
	v_pk_fma_f32 v[128:129], v[122:123], v[112:113], v[126:127] op_sel:[0,0,1] op_sel_hi:[1,1,0] neg_lo:[0,0,1] neg_hi:[0,0,1]
	v_pk_fma_f32 v[122:123], v[122:123], v[112:113], v[126:127] op_sel:[0,0,1] op_sel_hi:[1,0,0]
	v_mov_b32_e32 v129, v123
	v_pk_mul_f32 v[122:123], v[124:125], v[114:115] op_sel:[0,1]
	s_delay_alu instid0(VALU_DEP_1) | instskip(SKIP_1) | instid1(VALU_DEP_1)
	v_pk_fma_f32 v[126:127], v[124:125], v[112:113], v[122:123] op_sel:[0,0,1] op_sel_hi:[1,1,0] neg_lo:[0,0,1] neg_hi:[0,0,1]
	v_pk_fma_f32 v[122:123], v[124:125], v[112:113], v[122:123] op_sel:[0,0,1] op_sel_hi:[1,0,0]
	v_mov_b32_e32 v127, v123
	ds_load_2addr_b64 v[122:125], v116 offset0:31 offset1:32
	v_pk_add_f32 v[48:49], v[48:49], v[128:129] neg_lo:[0,1] neg_hi:[0,1]
	v_pk_add_f32 v[50:51], v[50:51], v[126:127] neg_lo:[0,1] neg_hi:[0,1]
	s_wait_dscnt 0x0
	v_dual_mul_f32 v126, v123, v115 :: v_dual_mul_f32 v128, v123, v112
	s_delay_alu instid0(VALU_DEP_1) | instskip(NEXT) | instid1(VALU_DEP_2)
	v_pk_fma_f32 v[126:127], v[122:123], v[74:75], v[126:127] op_sel_hi:[1,1,0] neg_lo:[0,0,1] neg_hi:[0,0,1]
	v_pk_fma_f32 v[122:123], v[122:123], v[74:75], v[128:129] op_sel:[1,0,0] op_sel_hi:[0,1,0]
	s_delay_alu instid0(VALU_DEP_1) | instskip(SKIP_1) | instid1(VALU_DEP_2)
	v_mov_b32_e32 v127, v123
	v_pk_mul_f32 v[122:123], v[124:125], v[114:115] op_sel:[0,1]
	v_pk_add_f32 v[46:47], v[46:47], v[126:127] neg_lo:[0,1] neg_hi:[0,1]
	s_delay_alu instid0(VALU_DEP_2) | instskip(SKIP_1) | instid1(VALU_DEP_1)
	v_pk_fma_f32 v[126:127], v[124:125], v[112:113], v[122:123] op_sel:[0,0,1] op_sel_hi:[1,1,0] neg_lo:[0,0,1] neg_hi:[0,0,1]
	v_pk_fma_f32 v[122:123], v[124:125], v[112:113], v[122:123] op_sel:[0,0,1] op_sel_hi:[1,0,0]
	v_mov_b32_e32 v127, v123
	ds_load_2addr_b64 v[122:125], v116 offset0:33 offset1:34
	v_pk_add_f32 v[44:45], v[44:45], v[126:127] neg_lo:[0,1] neg_hi:[0,1]
	s_wait_dscnt 0x0
	v_pk_mul_f32 v[126:127], v[122:123], v[114:115] op_sel:[0,1]
	s_delay_alu instid0(VALU_DEP_1) | instskip(SKIP_1) | instid1(VALU_DEP_1)
	v_pk_fma_f32 v[128:129], v[122:123], v[112:113], v[126:127] op_sel:[0,0,1] op_sel_hi:[1,1,0] neg_lo:[0,0,1] neg_hi:[0,0,1]
	v_pk_fma_f32 v[122:123], v[122:123], v[112:113], v[126:127] op_sel:[0,0,1] op_sel_hi:[1,0,0]
	v_mov_b32_e32 v129, v123
	v_pk_mul_f32 v[122:123], v[124:125], v[114:115] op_sel:[0,1]
	s_delay_alu instid0(VALU_DEP_2) | instskip(NEXT) | instid1(VALU_DEP_2)
	v_pk_add_f32 v[40:41], v[40:41], v[128:129] neg_lo:[0,1] neg_hi:[0,1]
	v_pk_fma_f32 v[126:127], v[124:125], v[112:113], v[122:123] op_sel:[0,0,1] op_sel_hi:[1,1,0] neg_lo:[0,0,1] neg_hi:[0,0,1]
	v_pk_fma_f32 v[122:123], v[124:125], v[112:113], v[122:123] op_sel:[0,0,1] op_sel_hi:[1,0,0]
	s_delay_alu instid0(VALU_DEP_1) | instskip(SKIP_4) | instid1(VALU_DEP_1)
	v_mov_b32_e32 v127, v123
	ds_load_2addr_b64 v[122:125], v116 offset0:35 offset1:36
	v_pk_add_f32 v[42:43], v[42:43], v[126:127] neg_lo:[0,1] neg_hi:[0,1]
	s_wait_dscnt 0x0
	v_pk_mul_f32 v[126:127], v[122:123], v[114:115] op_sel:[0,1]
	v_pk_fma_f32 v[128:129], v[122:123], v[112:113], v[126:127] op_sel:[0,0,1] op_sel_hi:[1,1,0] neg_lo:[0,0,1] neg_hi:[0,0,1]
	v_pk_fma_f32 v[122:123], v[122:123], v[112:113], v[126:127] op_sel:[0,0,1] op_sel_hi:[1,0,0]
	v_dual_mul_f32 v126, v125, v115 :: v_dual_mov_b32 v122, v125
	s_delay_alu instid0(VALU_DEP_2) | instskip(NEXT) | instid1(VALU_DEP_2)
	v_dual_mov_b32 v129, v123 :: v_dual_mov_b32 v123, v124
	v_pk_fma_f32 v[126:127], v[124:125], v[74:75], v[126:127] op_sel_hi:[1,1,0] neg_lo:[0,0,1] neg_hi:[0,0,1]
	v_mul_f32_e32 v124, v125, v112
	s_delay_alu instid0(VALU_DEP_3) | instskip(NEXT) | instid1(VALU_DEP_2)
	v_pk_add_f32 v[38:39], v[38:39], v[128:129] neg_lo:[0,1] neg_hi:[0,1]
	v_pk_fma_f32 v[122:123], v[122:123], v[74:75], v[124:125] op_sel_hi:[1,1,0]
	s_delay_alu instid0(VALU_DEP_1) | instskip(SKIP_4) | instid1(VALU_DEP_1)
	v_mov_b32_e32 v127, v123
	ds_load_2addr_b64 v[122:125], v116 offset0:37 offset1:38
	v_pk_add_f32 v[36:37], v[36:37], v[126:127] neg_lo:[0,1] neg_hi:[0,1]
	s_wait_dscnt 0x0
	v_pk_mul_f32 v[126:127], v[122:123], v[114:115] op_sel:[0,1]
	v_pk_fma_f32 v[128:129], v[122:123], v[112:113], v[126:127] op_sel:[0,0,1] op_sel_hi:[1,1,0] neg_lo:[0,0,1] neg_hi:[0,0,1]
	v_pk_fma_f32 v[122:123], v[122:123], v[112:113], v[126:127] op_sel:[0,0,1] op_sel_hi:[1,0,0]
	s_delay_alu instid0(VALU_DEP_1) | instskip(SKIP_1) | instid1(VALU_DEP_1)
	v_mov_b32_e32 v129, v123
	v_pk_mul_f32 v[122:123], v[124:125], v[114:115] op_sel:[0,1]
	v_pk_fma_f32 v[126:127], v[124:125], v[112:113], v[122:123] op_sel:[0,0,1] op_sel_hi:[1,1,0] neg_lo:[0,0,1] neg_hi:[0,0,1]
	v_pk_fma_f32 v[122:123], v[124:125], v[112:113], v[122:123] op_sel:[0,0,1] op_sel_hi:[1,0,0]
	s_delay_alu instid0(VALU_DEP_1)
	v_mov_b32_e32 v127, v123
	ds_load_2addr_b64 v[122:125], v116 offset0:39 offset1:40
	v_pk_add_f32 v[32:33], v[32:33], v[128:129] neg_lo:[0,1] neg_hi:[0,1]
	v_pk_add_f32 v[34:35], v[34:35], v[126:127] neg_lo:[0,1] neg_hi:[0,1]
	s_wait_dscnt 0x0
	v_pk_mul_f32 v[126:127], v[122:123], v[114:115] op_sel:[0,1]
	s_delay_alu instid0(VALU_DEP_1) | instskip(SKIP_1) | instid1(VALU_DEP_1)
	v_pk_fma_f32 v[128:129], v[122:123], v[112:113], v[126:127] op_sel:[0,0,1] op_sel_hi:[1,1,0] neg_lo:[0,0,1] neg_hi:[0,0,1]
	v_pk_fma_f32 v[122:123], v[122:123], v[112:113], v[126:127] op_sel:[0,0,1] op_sel_hi:[1,0,0]
	v_mov_b32_e32 v129, v123
	v_pk_mul_f32 v[122:123], v[124:125], v[114:115] op_sel:[0,1]
	s_delay_alu instid0(VALU_DEP_1) | instskip(SKIP_1) | instid1(VALU_DEP_1)
	v_pk_fma_f32 v[126:127], v[124:125], v[112:113], v[122:123] op_sel:[0,0,1] op_sel_hi:[1,1,0] neg_lo:[0,0,1] neg_hi:[0,0,1]
	v_pk_fma_f32 v[122:123], v[124:125], v[112:113], v[122:123] op_sel:[0,0,1] op_sel_hi:[1,0,0]
	v_mov_b32_e32 v127, v123
	ds_load_2addr_b64 v[122:125], v116 offset0:41 offset1:42
	v_pk_add_f32 v[30:31], v[30:31], v[128:129] neg_lo:[0,1] neg_hi:[0,1]
	v_pk_add_f32 v[26:27], v[26:27], v[126:127] neg_lo:[0,1] neg_hi:[0,1]
	s_wait_dscnt 0x0
	v_dual_mul_f32 v126, v123, v115 :: v_dual_mul_f32 v128, v123, v112
	s_delay_alu instid0(VALU_DEP_1) | instskip(NEXT) | instid1(VALU_DEP_2)
	v_pk_fma_f32 v[126:127], v[122:123], v[74:75], v[126:127] op_sel_hi:[1,1,0] neg_lo:[0,0,1] neg_hi:[0,0,1]
	v_pk_fma_f32 v[122:123], v[122:123], v[74:75], v[128:129] op_sel:[1,0,0] op_sel_hi:[0,1,0]
	s_delay_alu instid0(VALU_DEP_1) | instskip(SKIP_1) | instid1(VALU_DEP_2)
	v_mov_b32_e32 v127, v123
	v_pk_mul_f32 v[122:123], v[124:125], v[114:115] op_sel:[0,1]
	v_pk_add_f32 v[22:23], v[22:23], v[126:127] neg_lo:[0,1] neg_hi:[0,1]
	s_delay_alu instid0(VALU_DEP_2) | instskip(SKIP_1) | instid1(VALU_DEP_1)
	v_pk_fma_f32 v[126:127], v[124:125], v[112:113], v[122:123] op_sel:[0,0,1] op_sel_hi:[1,1,0] neg_lo:[0,0,1] neg_hi:[0,0,1]
	v_pk_fma_f32 v[122:123], v[124:125], v[112:113], v[122:123] op_sel:[0,0,1] op_sel_hi:[1,0,0]
	v_mov_b32_e32 v127, v123
	ds_load_2addr_b64 v[122:125], v116 offset0:43 offset1:44
	v_pk_add_f32 v[24:25], v[24:25], v[126:127] neg_lo:[0,1] neg_hi:[0,1]
	s_wait_dscnt 0x0
	v_pk_mul_f32 v[126:127], v[122:123], v[114:115] op_sel:[0,1]
	s_delay_alu instid0(VALU_DEP_1) | instskip(SKIP_1) | instid1(VALU_DEP_1)
	v_pk_fma_f32 v[128:129], v[122:123], v[112:113], v[126:127] op_sel:[0,0,1] op_sel_hi:[1,1,0] neg_lo:[0,0,1] neg_hi:[0,0,1]
	v_pk_fma_f32 v[122:123], v[122:123], v[112:113], v[126:127] op_sel:[0,0,1] op_sel_hi:[1,0,0]
	v_mov_b32_e32 v129, v123
	v_pk_mul_f32 v[122:123], v[124:125], v[114:115] op_sel:[0,1]
	s_delay_alu instid0(VALU_DEP_2) | instskip(NEXT) | instid1(VALU_DEP_2)
	v_pk_add_f32 v[20:21], v[20:21], v[128:129] neg_lo:[0,1] neg_hi:[0,1]
	v_pk_fma_f32 v[126:127], v[124:125], v[112:113], v[122:123] op_sel:[0,0,1] op_sel_hi:[1,1,0] neg_lo:[0,0,1] neg_hi:[0,0,1]
	v_pk_fma_f32 v[122:123], v[124:125], v[112:113], v[122:123] op_sel:[0,0,1] op_sel_hi:[1,0,0]
	s_delay_alu instid0(VALU_DEP_1) | instskip(SKIP_4) | instid1(VALU_DEP_1)
	v_mov_b32_e32 v127, v123
	ds_load_2addr_b64 v[122:125], v116 offset0:45 offset1:46
	v_pk_add_f32 v[14:15], v[14:15], v[126:127] neg_lo:[0,1] neg_hi:[0,1]
	s_wait_dscnt 0x0
	v_pk_mul_f32 v[126:127], v[122:123], v[114:115] op_sel:[0,1]
	v_pk_fma_f32 v[128:129], v[122:123], v[112:113], v[126:127] op_sel:[0,0,1] op_sel_hi:[1,1,0] neg_lo:[0,0,1] neg_hi:[0,0,1]
	v_pk_fma_f32 v[122:123], v[122:123], v[112:113], v[126:127] op_sel:[0,0,1] op_sel_hi:[1,0,0]
	v_dual_mul_f32 v126, v125, v115 :: v_dual_mov_b32 v122, v125
	s_delay_alu instid0(VALU_DEP_2) | instskip(NEXT) | instid1(VALU_DEP_2)
	v_dual_mov_b32 v129, v123 :: v_dual_mov_b32 v123, v124
	v_pk_fma_f32 v[126:127], v[124:125], v[74:75], v[126:127] op_sel_hi:[1,1,0] neg_lo:[0,0,1] neg_hi:[0,0,1]
	v_mul_f32_e32 v124, v125, v112
	s_delay_alu instid0(VALU_DEP_3) | instskip(NEXT) | instid1(VALU_DEP_2)
	v_pk_add_f32 v[10:11], v[10:11], v[128:129] neg_lo:[0,1] neg_hi:[0,1]
	v_pk_fma_f32 v[122:123], v[122:123], v[74:75], v[124:125] op_sel_hi:[1,1,0]
	s_delay_alu instid0(VALU_DEP_1) | instskip(SKIP_4) | instid1(VALU_DEP_1)
	v_mov_b32_e32 v127, v123
	ds_load_2addr_b64 v[122:125], v116 offset0:47 offset1:48
	v_pk_add_f32 v[12:13], v[12:13], v[126:127] neg_lo:[0,1] neg_hi:[0,1]
	s_wait_dscnt 0x0
	v_pk_mul_f32 v[126:127], v[122:123], v[114:115] op_sel:[0,1]
	v_pk_fma_f32 v[128:129], v[122:123], v[112:113], v[126:127] op_sel:[0,0,1] op_sel_hi:[1,1,0] neg_lo:[0,0,1] neg_hi:[0,0,1]
	v_pk_fma_f32 v[122:123], v[122:123], v[112:113], v[126:127] op_sel:[0,0,1] op_sel_hi:[1,0,0]
	s_delay_alu instid0(VALU_DEP_1) | instskip(SKIP_1) | instid1(VALU_DEP_1)
	v_mov_b32_e32 v129, v123
	v_pk_mul_f32 v[122:123], v[124:125], v[114:115] op_sel:[0,1]
	v_pk_fma_f32 v[126:127], v[124:125], v[112:113], v[122:123] op_sel:[0,0,1] op_sel_hi:[1,1,0] neg_lo:[0,0,1] neg_hi:[0,0,1]
	v_pk_fma_f32 v[122:123], v[124:125], v[112:113], v[122:123] op_sel:[0,0,1] op_sel_hi:[1,0,0]
	s_delay_alu instid0(VALU_DEP_1)
	v_mov_b32_e32 v127, v123
	ds_load_2addr_b64 v[122:125], v116 offset0:49 offset1:50
	v_pk_add_f32 v[8:9], v[8:9], v[128:129] neg_lo:[0,1] neg_hi:[0,1]
	v_pk_add_f32 v[6:7], v[6:7], v[126:127] neg_lo:[0,1] neg_hi:[0,1]
	s_wait_dscnt 0x0
	v_pk_mul_f32 v[126:127], v[122:123], v[114:115] op_sel:[0,1]
	s_delay_alu instid0(VALU_DEP_1) | instskip(SKIP_1) | instid1(VALU_DEP_1)
	v_pk_fma_f32 v[128:129], v[122:123], v[112:113], v[126:127] op_sel:[0,0,1] op_sel_hi:[1,1,0] neg_lo:[0,0,1] neg_hi:[0,0,1]
	v_pk_fma_f32 v[122:123], v[122:123], v[112:113], v[126:127] op_sel:[0,0,1] op_sel_hi:[1,0,0]
	v_mov_b32_e32 v129, v123
	v_pk_mul_f32 v[122:123], v[124:125], v[114:115] op_sel:[0,1]
	s_delay_alu instid0(VALU_DEP_1) | instskip(SKIP_1) | instid1(VALU_DEP_1)
	v_pk_fma_f32 v[126:127], v[124:125], v[112:113], v[122:123] op_sel:[0,0,1] op_sel_hi:[1,1,0] neg_lo:[0,0,1] neg_hi:[0,0,1]
	v_pk_fma_f32 v[122:123], v[124:125], v[112:113], v[122:123] op_sel:[0,0,1] op_sel_hi:[1,0,0]
	v_mov_b32_e32 v127, v123
	ds_load_2addr_b64 v[122:125], v116 offset0:51 offset1:52
	v_pk_add_f32 v[28:29], v[28:29], v[128:129] neg_lo:[0,1] neg_hi:[0,1]
	v_pk_add_f32 v[18:19], v[18:19], v[126:127] neg_lo:[0,1] neg_hi:[0,1]
	s_wait_dscnt 0x0
	v_mul_f32_e32 v114, v123, v115
	s_delay_alu instid0(VALU_DEP_1) | instskip(SKIP_1) | instid1(VALU_DEP_1)
	v_pk_fma_f32 v[126:127], v[122:123], v[74:75], v[114:115] op_sel_hi:[1,1,0] neg_lo:[0,0,1] neg_hi:[0,0,1]
	v_dual_mul_f32 v114, v123, v112 :: v_dual_mul_f32 v112, v125, v112
	v_pk_fma_f32 v[122:123], v[122:123], v[74:75], v[114:115] op_sel:[1,0,0] op_sel_hi:[0,1,0]
	v_dual_mov_b32 v122, v125 :: v_dual_mul_f32 v114, v125, v115
	s_delay_alu instid0(VALU_DEP_2) | instskip(NEXT) | instid1(VALU_DEP_2)
	v_dual_mov_b32 v127, v123 :: v_dual_mov_b32 v123, v124
	v_pk_fma_f32 v[114:115], v[124:125], v[74:75], v[114:115] op_sel_hi:[1,1,0] neg_lo:[0,0,1] neg_hi:[0,0,1]
	s_delay_alu instid0(VALU_DEP_2) | instskip(NEXT) | instid1(VALU_DEP_3)
	v_pk_add_f32 v[16:17], v[16:17], v[126:127] neg_lo:[0,1] neg_hi:[0,1]
	v_pk_fma_f32 v[112:113], v[122:123], v[74:75], v[112:113] op_sel_hi:[1,1,0]
	s_delay_alu instid0(VALU_DEP_1) | instskip(NEXT) | instid1(VALU_DEP_1)
	v_mov_b32_e32 v115, v113
	v_pk_add_f32 v[110:111], v[110:111], v[114:115] neg_lo:[0,1] neg_hi:[0,1]
.LBB104_482:
	s_or_b32 exec_lo, exec_lo, s0
	v_lshl_add_u32 v112, v120, 3, v116
	s_barrier_signal -1
	s_barrier_wait -1
	ds_store_b64 v112, v[70:71]
	s_wait_dscnt 0x0
	s_barrier_signal -1
	s_barrier_wait -1
	ds_load_b64 v[114:115], v116 offset:184
	v_mov_b32_e32 v112, 23
	s_cmp_lt_i32 s18, 25
	s_cbranch_scc1 .LBB104_485
; %bb.483:
	v_add3_u32 v113, v117, 0, 0xc0
	v_mov_b32_e32 v112, 23
	s_mov_b32 s0, 24
.LBB104_484:                            ; =>This Inner Loop Header: Depth=1
	ds_load_b64 v[122:123], v113
	s_wait_dscnt 0x1
	v_cmp_gt_f32_e32 vcc_lo, 0, v114
	v_cndmask_b32_e64 v124, v114, -v114, vcc_lo
	v_cmp_gt_f32_e32 vcc_lo, 0, v115
	v_cndmask_b32_e64 v126, v115, -v115, vcc_lo
	s_wait_dscnt 0x0
	v_cmp_gt_f32_e32 vcc_lo, 0, v122
	v_cndmask_b32_e64 v125, v122, -v122, vcc_lo
	v_cmp_gt_f32_e32 vcc_lo, 0, v123
	v_cndmask_b32_e64 v127, v123, -v123, vcc_lo
	s_delay_alu instid0(VALU_DEP_1) | instskip(NEXT) | instid1(VALU_DEP_1)
	v_pk_add_f32 v[124:125], v[124:125], v[126:127]
	v_cmp_lt_f32_e32 vcc_lo, v124, v125
	v_dual_add_nc_u32 v113, 8, v113 :: v_dual_cndmask_b32 v115, v115, v123, vcc_lo
	v_cndmask_b32_e32 v114, v114, v122, vcc_lo
	v_cndmask_b32_e64 v112, v112, s0, vcc_lo
	s_add_co_i32 s0, s0, 1
	s_delay_alu instid0(SALU_CYCLE_1)
	s_cmp_lg_u32 s18, s0
	s_cbranch_scc1 .LBB104_484
.LBB104_485:
	s_wait_dscnt 0x0
	v_cmp_eq_f32_e32 vcc_lo, 0, v114
	v_cmp_eq_f32_e64 s0, 0, v115
	s_and_b32 s0, vcc_lo, s0
	s_delay_alu instid0(SALU_CYCLE_1) | instskip(NEXT) | instid1(SALU_CYCLE_1)
	s_and_saveexec_b32 s1, s0
	s_xor_b32 s0, exec_lo, s1
; %bb.486:
	v_cmp_ne_u32_e32 vcc_lo, 0, v118
	v_cndmask_b32_e32 v118, 24, v118, vcc_lo
; %bb.487:
	s_and_not1_saveexec_b32 s0, s0
	s_cbranch_execz .LBB104_493
; %bb.488:
	v_cmp_ngt_f32_e64 s1, |v114|, |v115|
	s_and_saveexec_b32 s12, s1
	s_delay_alu instid0(SALU_CYCLE_1)
	s_xor_b32 s1, exec_lo, s12
	s_cbranch_execz .LBB104_490
; %bb.489:
	v_div_scale_f32 v113, null, v115, v115, v114
	v_div_scale_f32 v123, vcc_lo, v114, v115, v114
	s_delay_alu instid0(VALU_DEP_2) | instskip(SKIP_1) | instid1(TRANS32_DEP_1)
	v_rcp_f32_e32 v121, v113
	v_nop
	v_fma_f32 v122, -v113, v121, 1.0
	s_delay_alu instid0(VALU_DEP_1) | instskip(NEXT) | instid1(VALU_DEP_1)
	v_fmac_f32_e32 v121, v122, v121
	v_mul_f32_e32 v122, v123, v121
	s_delay_alu instid0(VALU_DEP_1) | instskip(NEXT) | instid1(VALU_DEP_1)
	v_fma_f32 v124, -v113, v122, v123
	v_fmac_f32_e32 v122, v124, v121
	s_delay_alu instid0(VALU_DEP_1) | instskip(NEXT) | instid1(VALU_DEP_1)
	v_fma_f32 v113, -v113, v122, v123
	v_div_fmas_f32 v113, v113, v121, v122
	s_delay_alu instid0(VALU_DEP_1) | instskip(NEXT) | instid1(VALU_DEP_1)
	v_div_fixup_f32 v113, v113, v115, v114
	v_fmac_f32_e32 v115, v114, v113
	s_delay_alu instid0(VALU_DEP_1) | instskip(SKIP_1) | instid1(VALU_DEP_2)
	v_div_scale_f32 v114, null, v115, v115, 1.0
	v_div_scale_f32 v123, vcc_lo, 1.0, v115, 1.0
	v_rcp_f32_e32 v121, v114
	v_nop
	s_delay_alu instid0(TRANS32_DEP_1) | instskip(NEXT) | instid1(VALU_DEP_1)
	v_fma_f32 v122, -v114, v121, 1.0
	v_fmac_f32_e32 v121, v122, v121
	s_delay_alu instid0(VALU_DEP_1) | instskip(NEXT) | instid1(VALU_DEP_1)
	v_mul_f32_e32 v122, v123, v121
	v_fma_f32 v124, -v114, v122, v123
	s_delay_alu instid0(VALU_DEP_1) | instskip(NEXT) | instid1(VALU_DEP_1)
	v_fmac_f32_e32 v122, v124, v121
	v_fma_f32 v114, -v114, v122, v123
	s_delay_alu instid0(VALU_DEP_1) | instskip(NEXT) | instid1(VALU_DEP_1)
	v_div_fmas_f32 v114, v114, v121, v122
	v_div_fixup_f32 v115, v114, v115, 1.0
	s_delay_alu instid0(VALU_DEP_1)
	v_mul_f32_e32 v114, v113, v115
	v_xor_b32_e32 v115, 0x80000000, v115
.LBB104_490:
	s_and_not1_saveexec_b32 s1, s1
	s_cbranch_execz .LBB104_492
; %bb.491:
	s_delay_alu instid0(VALU_DEP_1) | instskip(SKIP_1) | instid1(VALU_DEP_2)
	v_div_scale_f32 v113, null, v114, v114, v115
	v_div_scale_f32 v123, vcc_lo, v115, v114, v115
	v_rcp_f32_e32 v121, v113
	v_nop
	s_delay_alu instid0(TRANS32_DEP_1) | instskip(NEXT) | instid1(VALU_DEP_1)
	v_fma_f32 v122, -v113, v121, 1.0
	v_fmac_f32_e32 v121, v122, v121
	s_delay_alu instid0(VALU_DEP_1) | instskip(NEXT) | instid1(VALU_DEP_1)
	v_mul_f32_e32 v122, v123, v121
	v_fma_f32 v124, -v113, v122, v123
	s_delay_alu instid0(VALU_DEP_1) | instskip(NEXT) | instid1(VALU_DEP_1)
	v_fmac_f32_e32 v122, v124, v121
	v_fma_f32 v113, -v113, v122, v123
	s_delay_alu instid0(VALU_DEP_1) | instskip(NEXT) | instid1(VALU_DEP_1)
	v_div_fmas_f32 v113, v113, v121, v122
	v_div_fixup_f32 v113, v113, v114, v115
	s_delay_alu instid0(VALU_DEP_1) | instskip(NEXT) | instid1(VALU_DEP_1)
	v_fmac_f32_e32 v114, v115, v113
	v_div_scale_f32 v115, null, v114, v114, 1.0
	s_delay_alu instid0(VALU_DEP_1) | instskip(SKIP_1) | instid1(TRANS32_DEP_1)
	v_rcp_f32_e32 v121, v115
	v_nop
	v_fma_f32 v122, -v115, v121, 1.0
	s_delay_alu instid0(VALU_DEP_1) | instskip(SKIP_1) | instid1(VALU_DEP_1)
	v_fmac_f32_e32 v121, v122, v121
	v_div_scale_f32 v122, vcc_lo, 1.0, v114, 1.0
	v_mul_f32_e32 v123, v122, v121
	s_delay_alu instid0(VALU_DEP_1) | instskip(NEXT) | instid1(VALU_DEP_1)
	v_fma_f32 v124, -v115, v123, v122
	v_fmac_f32_e32 v123, v124, v121
	s_delay_alu instid0(VALU_DEP_1) | instskip(NEXT) | instid1(VALU_DEP_1)
	v_fma_f32 v115, -v115, v123, v122
	v_div_fmas_f32 v115, v115, v121, v123
	s_delay_alu instid0(VALU_DEP_1) | instskip(NEXT) | instid1(VALU_DEP_1)
	v_div_fixup_f32 v114, v115, v114, 1.0
	v_mul_f32_e64 v115, v113, -v114
.LBB104_492:
	s_or_b32 exec_lo, exec_lo, s1
.LBB104_493:
	s_delay_alu instid0(SALU_CYCLE_1) | instskip(NEXT) | instid1(SALU_CYCLE_1)
	s_or_b32 exec_lo, exec_lo, s0
	s_mov_b32 s0, exec_lo
	v_cmpx_ne_u32_e64 v120, v112
	s_xor_b32 s0, exec_lo, s0
	s_cbranch_execz .LBB104_499
; %bb.494:
	s_mov_b32 s1, exec_lo
	v_cmpx_eq_u32_e32 23, v120
	s_cbranch_execz .LBB104_498
; %bb.495:
	v_cmp_ne_u32_e32 vcc_lo, 23, v112
	s_xor_b32 s12, s16, -1
	s_delay_alu instid0(SALU_CYCLE_1) | instskip(NEXT) | instid1(SALU_CYCLE_1)
	s_and_b32 s13, s12, vcc_lo
	s_and_saveexec_b32 s12, s13
	s_cbranch_execz .LBB104_497
; %bb.496:
	v_ashrrev_i32_e32 v113, 31, v112
	s_delay_alu instid0(VALU_DEP_1)
	v_lshl_add_u64 v[120:121], v[112:113], 2, v[4:5]
	s_clause 0x1
	global_load_b32 v113, v[120:121], off
	global_load_b32 v119, v[4:5], off offset:92
	s_wait_loadcnt 0x1
	global_store_b32 v[4:5], v113, off offset:92
	s_wait_loadcnt 0x0
	global_store_b32 v[120:121], v119, off
.LBB104_497:
	s_wait_xcnt 0x0
	s_or_b32 exec_lo, exec_lo, s12
	v_dual_mov_b32 v120, v112 :: v_dual_mov_b32 v119, v112
.LBB104_498:
	s_or_b32 exec_lo, exec_lo, s1
.LBB104_499:
	s_and_not1_saveexec_b32 s0, s0
	s_cbranch_execz .LBB104_501
; %bb.500:
	v_dual_mov_b32 v112, v68 :: v_dual_mov_b32 v113, v69
	v_dual_mov_b32 v120, v64 :: v_dual_mov_b32 v121, v65
	;; [unrolled: 1-line block ×8, first 2 shown]
	ds_store_2addr_b64 v116, v[112:113], v[120:121] offset0:24 offset1:25
	ds_store_2addr_b64 v116, v[122:123], v[124:125] offset0:26 offset1:27
	;; [unrolled: 1-line block ×4, first 2 shown]
	v_dual_mov_b32 v112, v44 :: v_dual_mov_b32 v113, v45
	v_dual_mov_b32 v120, v40 :: v_dual_mov_b32 v121, v41
	;; [unrolled: 1-line block ×12, first 2 shown]
	ds_store_2addr_b64 v116, v[112:113], v[120:121] offset0:32 offset1:33
	ds_store_2addr_b64 v116, v[122:123], v[124:125] offset0:34 offset1:35
	;; [unrolled: 1-line block ×6, first 2 shown]
	v_dual_mov_b32 v112, v14 :: v_dual_mov_b32 v113, v15
	v_dual_mov_b32 v122, v10 :: v_dual_mov_b32 v123, v11
	;; [unrolled: 1-line block ×8, first 2 shown]
	v_mov_b32_e32 v135, v17
	ds_store_2addr_b64 v116, v[112:113], v[122:123] offset0:44 offset1:45
	ds_store_2addr_b64 v116, v[124:125], v[126:127] offset0:46 offset1:47
	;; [unrolled: 1-line block ×4, first 2 shown]
	ds_store_b64 v116, v[110:111] offset:416
.LBB104_501:
	s_or_b32 exec_lo, exec_lo, s0
	s_delay_alu instid0(SALU_CYCLE_1)
	s_mov_b32 s0, exec_lo
	s_wait_storecnt_dscnt 0x0
	s_barrier_signal -1
	s_barrier_wait -1
	v_cmpx_lt_i32_e32 23, v120
	s_cbranch_execz .LBB104_503
; %bb.502:
	v_pk_mul_f32 v[122:123], v[114:115], v[70:71] op_sel:[1,1] op_sel_hi:[0,1]
	s_delay_alu instid0(VALU_DEP_1)
	v_pk_fma_f32 v[112:113], v[114:115], v[70:71], v[122:123] op_sel_hi:[1,0,1] neg_lo:[0,0,1] neg_hi:[0,0,1]
	v_pk_fma_f32 v[114:115], v[114:115], v[70:71], v[122:123] op_sel_hi:[1,0,1]
	ds_load_2addr_b64 v[122:125], v116 offset0:24 offset1:25
	v_dual_mov_b32 v70, v112 :: v_dual_mov_b32 v71, v115
	s_wait_dscnt 0x0
	v_pk_mul_f32 v[126:127], v[122:123], v[114:115] op_sel:[0,1]
	s_delay_alu instid0(VALU_DEP_1) | instskip(SKIP_1) | instid1(VALU_DEP_1)
	v_pk_fma_f32 v[128:129], v[122:123], v[112:113], v[126:127] op_sel:[0,0,1] op_sel_hi:[1,1,0] neg_lo:[0,0,1] neg_hi:[0,0,1]
	v_pk_fma_f32 v[122:123], v[122:123], v[112:113], v[126:127] op_sel:[0,0,1] op_sel_hi:[1,0,0]
	v_mov_b32_e32 v129, v123
	v_pk_mul_f32 v[122:123], v[124:125], v[114:115] op_sel:[0,1]
	s_delay_alu instid0(VALU_DEP_1) | instskip(SKIP_1) | instid1(VALU_DEP_1)
	v_pk_fma_f32 v[126:127], v[124:125], v[112:113], v[122:123] op_sel:[0,0,1] op_sel_hi:[1,1,0] neg_lo:[0,0,1] neg_hi:[0,0,1]
	v_pk_fma_f32 v[122:123], v[124:125], v[112:113], v[122:123] op_sel:[0,0,1] op_sel_hi:[1,0,0]
	v_mov_b32_e32 v127, v123
	ds_load_2addr_b64 v[122:125], v116 offset0:26 offset1:27
	v_pk_add_f32 v[68:69], v[68:69], v[128:129] neg_lo:[0,1] neg_hi:[0,1]
	v_pk_add_f32 v[64:65], v[64:65], v[126:127] neg_lo:[0,1] neg_hi:[0,1]
	s_wait_dscnt 0x0
	v_pk_mul_f32 v[126:127], v[122:123], v[114:115] op_sel:[0,1]
	s_delay_alu instid0(VALU_DEP_1) | instskip(SKIP_2) | instid1(VALU_DEP_2)
	v_pk_fma_f32 v[128:129], v[122:123], v[112:113], v[126:127] op_sel:[0,0,1] op_sel_hi:[1,1,0] neg_lo:[0,0,1] neg_hi:[0,0,1]
	v_pk_fma_f32 v[122:123], v[122:123], v[112:113], v[126:127] op_sel:[0,0,1] op_sel_hi:[1,0,0]
	v_dual_mul_f32 v126, v125, v115 :: v_dual_mov_b32 v122, v125
	v_dual_mov_b32 v129, v123 :: v_dual_mov_b32 v123, v124
	s_delay_alu instid0(VALU_DEP_2) | instskip(SKIP_1) | instid1(VALU_DEP_3)
	v_pk_fma_f32 v[126:127], v[124:125], v[70:71], v[126:127] op_sel_hi:[1,1,0] neg_lo:[0,0,1] neg_hi:[0,0,1]
	v_mul_f32_e32 v124, v125, v112
	v_pk_add_f32 v[66:67], v[66:67], v[128:129] neg_lo:[0,1] neg_hi:[0,1]
	s_delay_alu instid0(VALU_DEP_2) | instskip(NEXT) | instid1(VALU_DEP_1)
	v_pk_fma_f32 v[122:123], v[122:123], v[70:71], v[124:125] op_sel_hi:[1,1,0]
	v_mov_b32_e32 v127, v123
	ds_load_2addr_b64 v[122:125], v116 offset0:28 offset1:29
	v_pk_add_f32 v[62:63], v[62:63], v[126:127] neg_lo:[0,1] neg_hi:[0,1]
	s_wait_dscnt 0x0
	v_pk_mul_f32 v[126:127], v[122:123], v[114:115] op_sel:[0,1]
	s_delay_alu instid0(VALU_DEP_1) | instskip(SKIP_1) | instid1(VALU_DEP_1)
	v_pk_fma_f32 v[128:129], v[122:123], v[112:113], v[126:127] op_sel:[0,0,1] op_sel_hi:[1,1,0] neg_lo:[0,0,1] neg_hi:[0,0,1]
	v_pk_fma_f32 v[122:123], v[122:123], v[112:113], v[126:127] op_sel:[0,0,1] op_sel_hi:[1,0,0]
	v_mov_b32_e32 v129, v123
	v_pk_mul_f32 v[122:123], v[124:125], v[114:115] op_sel:[0,1]
	s_delay_alu instid0(VALU_DEP_1) | instskip(SKIP_1) | instid1(VALU_DEP_1)
	v_pk_fma_f32 v[126:127], v[124:125], v[112:113], v[122:123] op_sel:[0,0,1] op_sel_hi:[1,1,0] neg_lo:[0,0,1] neg_hi:[0,0,1]
	v_pk_fma_f32 v[122:123], v[124:125], v[112:113], v[122:123] op_sel:[0,0,1] op_sel_hi:[1,0,0]
	v_mov_b32_e32 v127, v123
	ds_load_2addr_b64 v[122:125], v116 offset0:30 offset1:31
	v_pk_add_f32 v[52:53], v[52:53], v[128:129] neg_lo:[0,1] neg_hi:[0,1]
	v_pk_add_f32 v[48:49], v[48:49], v[126:127] neg_lo:[0,1] neg_hi:[0,1]
	s_wait_dscnt 0x0
	v_pk_mul_f32 v[126:127], v[122:123], v[114:115] op_sel:[0,1]
	s_delay_alu instid0(VALU_DEP_1) | instskip(SKIP_1) | instid1(VALU_DEP_1)
	v_pk_fma_f32 v[128:129], v[122:123], v[112:113], v[126:127] op_sel:[0,0,1] op_sel_hi:[1,1,0] neg_lo:[0,0,1] neg_hi:[0,0,1]
	v_pk_fma_f32 v[122:123], v[122:123], v[112:113], v[126:127] op_sel:[0,0,1] op_sel_hi:[1,0,0]
	v_mov_b32_e32 v129, v123
	v_pk_mul_f32 v[122:123], v[124:125], v[114:115] op_sel:[0,1]
	s_delay_alu instid0(VALU_DEP_1) | instskip(SKIP_1) | instid1(VALU_DEP_1)
	v_pk_fma_f32 v[126:127], v[124:125], v[112:113], v[122:123] op_sel:[0,0,1] op_sel_hi:[1,1,0] neg_lo:[0,0,1] neg_hi:[0,0,1]
	v_pk_fma_f32 v[122:123], v[124:125], v[112:113], v[122:123] op_sel:[0,0,1] op_sel_hi:[1,0,0]
	v_mov_b32_e32 v127, v123
	ds_load_2addr_b64 v[122:125], v116 offset0:32 offset1:33
	v_pk_add_f32 v[50:51], v[50:51], v[128:129] neg_lo:[0,1] neg_hi:[0,1]
	v_pk_add_f32 v[46:47], v[46:47], v[126:127] neg_lo:[0,1] neg_hi:[0,1]
	s_wait_dscnt 0x0
	v_dual_mul_f32 v126, v123, v115 :: v_dual_mul_f32 v128, v123, v112
	s_delay_alu instid0(VALU_DEP_1) | instskip(NEXT) | instid1(VALU_DEP_2)
	v_pk_fma_f32 v[126:127], v[122:123], v[70:71], v[126:127] op_sel_hi:[1,1,0] neg_lo:[0,0,1] neg_hi:[0,0,1]
	v_pk_fma_f32 v[122:123], v[122:123], v[70:71], v[128:129] op_sel:[1,0,0] op_sel_hi:[0,1,0]
	s_delay_alu instid0(VALU_DEP_1) | instskip(SKIP_1) | instid1(VALU_DEP_2)
	v_mov_b32_e32 v127, v123
	v_pk_mul_f32 v[122:123], v[124:125], v[114:115] op_sel:[0,1]
	v_pk_add_f32 v[44:45], v[44:45], v[126:127] neg_lo:[0,1] neg_hi:[0,1]
	s_delay_alu instid0(VALU_DEP_2) | instskip(SKIP_1) | instid1(VALU_DEP_1)
	v_pk_fma_f32 v[126:127], v[124:125], v[112:113], v[122:123] op_sel:[0,0,1] op_sel_hi:[1,1,0] neg_lo:[0,0,1] neg_hi:[0,0,1]
	v_pk_fma_f32 v[122:123], v[124:125], v[112:113], v[122:123] op_sel:[0,0,1] op_sel_hi:[1,0,0]
	v_mov_b32_e32 v127, v123
	ds_load_2addr_b64 v[122:125], v116 offset0:34 offset1:35
	v_pk_add_f32 v[40:41], v[40:41], v[126:127] neg_lo:[0,1] neg_hi:[0,1]
	s_wait_dscnt 0x0
	v_pk_mul_f32 v[126:127], v[122:123], v[114:115] op_sel:[0,1]
	s_delay_alu instid0(VALU_DEP_1) | instskip(SKIP_1) | instid1(VALU_DEP_1)
	v_pk_fma_f32 v[128:129], v[122:123], v[112:113], v[126:127] op_sel:[0,0,1] op_sel_hi:[1,1,0] neg_lo:[0,0,1] neg_hi:[0,0,1]
	v_pk_fma_f32 v[122:123], v[122:123], v[112:113], v[126:127] op_sel:[0,0,1] op_sel_hi:[1,0,0]
	v_mov_b32_e32 v129, v123
	v_pk_mul_f32 v[122:123], v[124:125], v[114:115] op_sel:[0,1]
	s_delay_alu instid0(VALU_DEP_2) | instskip(NEXT) | instid1(VALU_DEP_2)
	v_pk_add_f32 v[42:43], v[42:43], v[128:129] neg_lo:[0,1] neg_hi:[0,1]
	v_pk_fma_f32 v[126:127], v[124:125], v[112:113], v[122:123] op_sel:[0,0,1] op_sel_hi:[1,1,0] neg_lo:[0,0,1] neg_hi:[0,0,1]
	v_pk_fma_f32 v[122:123], v[124:125], v[112:113], v[122:123] op_sel:[0,0,1] op_sel_hi:[1,0,0]
	s_delay_alu instid0(VALU_DEP_1) | instskip(SKIP_4) | instid1(VALU_DEP_1)
	v_mov_b32_e32 v127, v123
	ds_load_2addr_b64 v[122:125], v116 offset0:36 offset1:37
	v_pk_add_f32 v[38:39], v[38:39], v[126:127] neg_lo:[0,1] neg_hi:[0,1]
	s_wait_dscnt 0x0
	v_pk_mul_f32 v[126:127], v[122:123], v[114:115] op_sel:[0,1]
	v_pk_fma_f32 v[128:129], v[122:123], v[112:113], v[126:127] op_sel:[0,0,1] op_sel_hi:[1,1,0] neg_lo:[0,0,1] neg_hi:[0,0,1]
	v_pk_fma_f32 v[122:123], v[122:123], v[112:113], v[126:127] op_sel:[0,0,1] op_sel_hi:[1,0,0]
	v_dual_mul_f32 v126, v125, v115 :: v_dual_mov_b32 v122, v125
	s_delay_alu instid0(VALU_DEP_2) | instskip(NEXT) | instid1(VALU_DEP_2)
	v_dual_mov_b32 v129, v123 :: v_dual_mov_b32 v123, v124
	v_pk_fma_f32 v[126:127], v[124:125], v[70:71], v[126:127] op_sel_hi:[1,1,0] neg_lo:[0,0,1] neg_hi:[0,0,1]
	v_mul_f32_e32 v124, v125, v112
	s_delay_alu instid0(VALU_DEP_3) | instskip(NEXT) | instid1(VALU_DEP_2)
	v_pk_add_f32 v[36:37], v[36:37], v[128:129] neg_lo:[0,1] neg_hi:[0,1]
	v_pk_fma_f32 v[122:123], v[122:123], v[70:71], v[124:125] op_sel_hi:[1,1,0]
	s_delay_alu instid0(VALU_DEP_1) | instskip(SKIP_4) | instid1(VALU_DEP_1)
	v_mov_b32_e32 v127, v123
	ds_load_2addr_b64 v[122:125], v116 offset0:38 offset1:39
	v_pk_add_f32 v[32:33], v[32:33], v[126:127] neg_lo:[0,1] neg_hi:[0,1]
	s_wait_dscnt 0x0
	v_pk_mul_f32 v[126:127], v[122:123], v[114:115] op_sel:[0,1]
	v_pk_fma_f32 v[128:129], v[122:123], v[112:113], v[126:127] op_sel:[0,0,1] op_sel_hi:[1,1,0] neg_lo:[0,0,1] neg_hi:[0,0,1]
	v_pk_fma_f32 v[122:123], v[122:123], v[112:113], v[126:127] op_sel:[0,0,1] op_sel_hi:[1,0,0]
	s_delay_alu instid0(VALU_DEP_1) | instskip(SKIP_1) | instid1(VALU_DEP_1)
	v_mov_b32_e32 v129, v123
	v_pk_mul_f32 v[122:123], v[124:125], v[114:115] op_sel:[0,1]
	v_pk_fma_f32 v[126:127], v[124:125], v[112:113], v[122:123] op_sel:[0,0,1] op_sel_hi:[1,1,0] neg_lo:[0,0,1] neg_hi:[0,0,1]
	v_pk_fma_f32 v[122:123], v[124:125], v[112:113], v[122:123] op_sel:[0,0,1] op_sel_hi:[1,0,0]
	s_delay_alu instid0(VALU_DEP_1)
	v_mov_b32_e32 v127, v123
	ds_load_2addr_b64 v[122:125], v116 offset0:40 offset1:41
	v_pk_add_f32 v[34:35], v[34:35], v[128:129] neg_lo:[0,1] neg_hi:[0,1]
	v_pk_add_f32 v[30:31], v[30:31], v[126:127] neg_lo:[0,1] neg_hi:[0,1]
	s_wait_dscnt 0x0
	v_pk_mul_f32 v[126:127], v[122:123], v[114:115] op_sel:[0,1]
	s_delay_alu instid0(VALU_DEP_1) | instskip(SKIP_1) | instid1(VALU_DEP_1)
	v_pk_fma_f32 v[128:129], v[122:123], v[112:113], v[126:127] op_sel:[0,0,1] op_sel_hi:[1,1,0] neg_lo:[0,0,1] neg_hi:[0,0,1]
	v_pk_fma_f32 v[122:123], v[122:123], v[112:113], v[126:127] op_sel:[0,0,1] op_sel_hi:[1,0,0]
	v_mov_b32_e32 v129, v123
	v_pk_mul_f32 v[122:123], v[124:125], v[114:115] op_sel:[0,1]
	s_delay_alu instid0(VALU_DEP_1) | instskip(SKIP_1) | instid1(VALU_DEP_1)
	v_pk_fma_f32 v[126:127], v[124:125], v[112:113], v[122:123] op_sel:[0,0,1] op_sel_hi:[1,1,0] neg_lo:[0,0,1] neg_hi:[0,0,1]
	v_pk_fma_f32 v[122:123], v[124:125], v[112:113], v[122:123] op_sel:[0,0,1] op_sel_hi:[1,0,0]
	v_mov_b32_e32 v127, v123
	ds_load_2addr_b64 v[122:125], v116 offset0:42 offset1:43
	v_pk_add_f32 v[26:27], v[26:27], v[128:129] neg_lo:[0,1] neg_hi:[0,1]
	v_pk_add_f32 v[22:23], v[22:23], v[126:127] neg_lo:[0,1] neg_hi:[0,1]
	s_wait_dscnt 0x0
	v_dual_mul_f32 v126, v123, v115 :: v_dual_mul_f32 v128, v123, v112
	s_delay_alu instid0(VALU_DEP_1) | instskip(NEXT) | instid1(VALU_DEP_2)
	v_pk_fma_f32 v[126:127], v[122:123], v[70:71], v[126:127] op_sel_hi:[1,1,0] neg_lo:[0,0,1] neg_hi:[0,0,1]
	v_pk_fma_f32 v[122:123], v[122:123], v[70:71], v[128:129] op_sel:[1,0,0] op_sel_hi:[0,1,0]
	s_delay_alu instid0(VALU_DEP_1) | instskip(SKIP_1) | instid1(VALU_DEP_2)
	v_mov_b32_e32 v127, v123
	v_pk_mul_f32 v[122:123], v[124:125], v[114:115] op_sel:[0,1]
	v_pk_add_f32 v[24:25], v[24:25], v[126:127] neg_lo:[0,1] neg_hi:[0,1]
	s_delay_alu instid0(VALU_DEP_2) | instskip(SKIP_1) | instid1(VALU_DEP_1)
	v_pk_fma_f32 v[126:127], v[124:125], v[112:113], v[122:123] op_sel:[0,0,1] op_sel_hi:[1,1,0] neg_lo:[0,0,1] neg_hi:[0,0,1]
	v_pk_fma_f32 v[122:123], v[124:125], v[112:113], v[122:123] op_sel:[0,0,1] op_sel_hi:[1,0,0]
	v_mov_b32_e32 v127, v123
	ds_load_2addr_b64 v[122:125], v116 offset0:44 offset1:45
	v_pk_add_f32 v[20:21], v[20:21], v[126:127] neg_lo:[0,1] neg_hi:[0,1]
	s_wait_dscnt 0x0
	v_pk_mul_f32 v[126:127], v[122:123], v[114:115] op_sel:[0,1]
	s_delay_alu instid0(VALU_DEP_1) | instskip(SKIP_1) | instid1(VALU_DEP_1)
	v_pk_fma_f32 v[128:129], v[122:123], v[112:113], v[126:127] op_sel:[0,0,1] op_sel_hi:[1,1,0] neg_lo:[0,0,1] neg_hi:[0,0,1]
	v_pk_fma_f32 v[122:123], v[122:123], v[112:113], v[126:127] op_sel:[0,0,1] op_sel_hi:[1,0,0]
	v_mov_b32_e32 v129, v123
	v_pk_mul_f32 v[122:123], v[124:125], v[114:115] op_sel:[0,1]
	s_delay_alu instid0(VALU_DEP_2) | instskip(NEXT) | instid1(VALU_DEP_2)
	v_pk_add_f32 v[14:15], v[14:15], v[128:129] neg_lo:[0,1] neg_hi:[0,1]
	v_pk_fma_f32 v[126:127], v[124:125], v[112:113], v[122:123] op_sel:[0,0,1] op_sel_hi:[1,1,0] neg_lo:[0,0,1] neg_hi:[0,0,1]
	v_pk_fma_f32 v[122:123], v[124:125], v[112:113], v[122:123] op_sel:[0,0,1] op_sel_hi:[1,0,0]
	s_delay_alu instid0(VALU_DEP_1) | instskip(SKIP_4) | instid1(VALU_DEP_1)
	v_mov_b32_e32 v127, v123
	ds_load_2addr_b64 v[122:125], v116 offset0:46 offset1:47
	v_pk_add_f32 v[10:11], v[10:11], v[126:127] neg_lo:[0,1] neg_hi:[0,1]
	s_wait_dscnt 0x0
	v_pk_mul_f32 v[126:127], v[122:123], v[114:115] op_sel:[0,1]
	v_pk_fma_f32 v[128:129], v[122:123], v[112:113], v[126:127] op_sel:[0,0,1] op_sel_hi:[1,1,0] neg_lo:[0,0,1] neg_hi:[0,0,1]
	v_pk_fma_f32 v[122:123], v[122:123], v[112:113], v[126:127] op_sel:[0,0,1] op_sel_hi:[1,0,0]
	v_dual_mul_f32 v126, v125, v115 :: v_dual_mov_b32 v122, v125
	s_delay_alu instid0(VALU_DEP_2) | instskip(NEXT) | instid1(VALU_DEP_2)
	v_dual_mov_b32 v129, v123 :: v_dual_mov_b32 v123, v124
	v_pk_fma_f32 v[126:127], v[124:125], v[70:71], v[126:127] op_sel_hi:[1,1,0] neg_lo:[0,0,1] neg_hi:[0,0,1]
	v_mul_f32_e32 v124, v125, v112
	s_delay_alu instid0(VALU_DEP_3) | instskip(NEXT) | instid1(VALU_DEP_2)
	v_pk_add_f32 v[12:13], v[12:13], v[128:129] neg_lo:[0,1] neg_hi:[0,1]
	v_pk_fma_f32 v[122:123], v[122:123], v[70:71], v[124:125] op_sel_hi:[1,1,0]
	s_delay_alu instid0(VALU_DEP_1) | instskip(SKIP_4) | instid1(VALU_DEP_1)
	v_mov_b32_e32 v127, v123
	ds_load_2addr_b64 v[122:125], v116 offset0:48 offset1:49
	v_pk_add_f32 v[8:9], v[8:9], v[126:127] neg_lo:[0,1] neg_hi:[0,1]
	s_wait_dscnt 0x0
	v_pk_mul_f32 v[126:127], v[122:123], v[114:115] op_sel:[0,1]
	v_pk_fma_f32 v[128:129], v[122:123], v[112:113], v[126:127] op_sel:[0,0,1] op_sel_hi:[1,1,0] neg_lo:[0,0,1] neg_hi:[0,0,1]
	v_pk_fma_f32 v[122:123], v[122:123], v[112:113], v[126:127] op_sel:[0,0,1] op_sel_hi:[1,0,0]
	s_delay_alu instid0(VALU_DEP_1) | instskip(SKIP_1) | instid1(VALU_DEP_1)
	v_mov_b32_e32 v129, v123
	v_pk_mul_f32 v[122:123], v[124:125], v[114:115] op_sel:[0,1]
	v_pk_fma_f32 v[126:127], v[124:125], v[112:113], v[122:123] op_sel:[0,0,1] op_sel_hi:[1,1,0] neg_lo:[0,0,1] neg_hi:[0,0,1]
	v_pk_fma_f32 v[122:123], v[124:125], v[112:113], v[122:123] op_sel:[0,0,1] op_sel_hi:[1,0,0]
	s_delay_alu instid0(VALU_DEP_1)
	v_mov_b32_e32 v127, v123
	ds_load_2addr_b64 v[122:125], v116 offset0:50 offset1:51
	v_pk_add_f32 v[6:7], v[6:7], v[128:129] neg_lo:[0,1] neg_hi:[0,1]
	v_pk_add_f32 v[28:29], v[28:29], v[126:127] neg_lo:[0,1] neg_hi:[0,1]
	s_wait_dscnt 0x0
	v_pk_mul_f32 v[126:127], v[122:123], v[114:115] op_sel:[0,1]
	s_delay_alu instid0(VALU_DEP_1) | instskip(SKIP_1) | instid1(VALU_DEP_1)
	v_pk_fma_f32 v[128:129], v[122:123], v[112:113], v[126:127] op_sel:[0,0,1] op_sel_hi:[1,1,0] neg_lo:[0,0,1] neg_hi:[0,0,1]
	v_pk_fma_f32 v[122:123], v[122:123], v[112:113], v[126:127] op_sel:[0,0,1] op_sel_hi:[1,0,0]
	v_mov_b32_e32 v129, v123
	v_pk_mul_f32 v[122:123], v[124:125], v[114:115] op_sel:[0,1]
	s_delay_alu instid0(VALU_DEP_1) | instskip(SKIP_1) | instid1(VALU_DEP_1)
	v_pk_fma_f32 v[126:127], v[124:125], v[112:113], v[122:123] op_sel:[0,0,1] op_sel_hi:[1,1,0] neg_lo:[0,0,1] neg_hi:[0,0,1]
	v_pk_fma_f32 v[122:123], v[124:125], v[112:113], v[122:123] op_sel:[0,0,1] op_sel_hi:[1,0,0]
	v_mov_b32_e32 v127, v123
	ds_load_b64 v[122:123], v116 offset:416
	v_pk_add_f32 v[18:19], v[18:19], v[128:129] neg_lo:[0,1] neg_hi:[0,1]
	v_pk_add_f32 v[16:17], v[16:17], v[126:127] neg_lo:[0,1] neg_hi:[0,1]
	s_wait_dscnt 0x0
	v_pk_mul_f32 v[114:115], v[122:123], v[114:115] op_sel:[0,1]
	s_delay_alu instid0(VALU_DEP_1) | instskip(SKIP_1) | instid1(VALU_DEP_1)
	v_pk_fma_f32 v[124:125], v[122:123], v[112:113], v[114:115] op_sel:[0,0,1] op_sel_hi:[1,1,0] neg_lo:[0,0,1] neg_hi:[0,0,1]
	v_pk_fma_f32 v[112:113], v[122:123], v[112:113], v[114:115] op_sel:[0,0,1] op_sel_hi:[1,0,0]
	v_mov_b32_e32 v125, v113
	s_delay_alu instid0(VALU_DEP_1)
	v_pk_add_f32 v[110:111], v[110:111], v[124:125] neg_lo:[0,1] neg_hi:[0,1]
.LBB104_503:
	s_or_b32 exec_lo, exec_lo, s0
	v_lshl_add_u32 v112, v120, 3, v116
	s_barrier_signal -1
	s_barrier_wait -1
	ds_store_b64 v112, v[68:69]
	s_wait_dscnt 0x0
	s_barrier_signal -1
	s_barrier_wait -1
	ds_load_b64 v[114:115], v116 offset:192
	v_mov_b32_e32 v112, 24
	s_cmp_lt_i32 s18, 26
	s_cbranch_scc1 .LBB104_506
; %bb.504:
	v_add3_u32 v113, v117, 0, 0xc8
	v_mov_b32_e32 v112, 24
	s_mov_b32 s0, 25
.LBB104_505:                            ; =>This Inner Loop Header: Depth=1
	ds_load_b64 v[122:123], v113
	s_wait_dscnt 0x1
	v_cmp_gt_f32_e32 vcc_lo, 0, v114
	v_cndmask_b32_e64 v124, v114, -v114, vcc_lo
	v_cmp_gt_f32_e32 vcc_lo, 0, v115
	v_cndmask_b32_e64 v126, v115, -v115, vcc_lo
	s_wait_dscnt 0x0
	v_cmp_gt_f32_e32 vcc_lo, 0, v122
	v_cndmask_b32_e64 v125, v122, -v122, vcc_lo
	v_cmp_gt_f32_e32 vcc_lo, 0, v123
	v_cndmask_b32_e64 v127, v123, -v123, vcc_lo
	s_delay_alu instid0(VALU_DEP_1) | instskip(NEXT) | instid1(VALU_DEP_1)
	v_pk_add_f32 v[124:125], v[124:125], v[126:127]
	v_cmp_lt_f32_e32 vcc_lo, v124, v125
	v_dual_add_nc_u32 v113, 8, v113 :: v_dual_cndmask_b32 v115, v115, v123, vcc_lo
	v_cndmask_b32_e32 v114, v114, v122, vcc_lo
	v_cndmask_b32_e64 v112, v112, s0, vcc_lo
	s_add_co_i32 s0, s0, 1
	s_delay_alu instid0(SALU_CYCLE_1)
	s_cmp_lg_u32 s18, s0
	s_cbranch_scc1 .LBB104_505
.LBB104_506:
	s_wait_dscnt 0x0
	v_cmp_eq_f32_e32 vcc_lo, 0, v114
	v_cmp_eq_f32_e64 s0, 0, v115
	s_and_b32 s0, vcc_lo, s0
	s_delay_alu instid0(SALU_CYCLE_1) | instskip(NEXT) | instid1(SALU_CYCLE_1)
	s_and_saveexec_b32 s1, s0
	s_xor_b32 s0, exec_lo, s1
; %bb.507:
	v_cmp_ne_u32_e32 vcc_lo, 0, v118
	v_cndmask_b32_e32 v118, 25, v118, vcc_lo
; %bb.508:
	s_and_not1_saveexec_b32 s0, s0
	s_cbranch_execz .LBB104_514
; %bb.509:
	v_cmp_ngt_f32_e64 s1, |v114|, |v115|
	s_and_saveexec_b32 s12, s1
	s_delay_alu instid0(SALU_CYCLE_1)
	s_xor_b32 s1, exec_lo, s12
	s_cbranch_execz .LBB104_511
; %bb.510:
	v_div_scale_f32 v113, null, v115, v115, v114
	v_div_scale_f32 v123, vcc_lo, v114, v115, v114
	s_delay_alu instid0(VALU_DEP_2) | instskip(SKIP_1) | instid1(TRANS32_DEP_1)
	v_rcp_f32_e32 v121, v113
	v_nop
	v_fma_f32 v122, -v113, v121, 1.0
	s_delay_alu instid0(VALU_DEP_1) | instskip(NEXT) | instid1(VALU_DEP_1)
	v_fmac_f32_e32 v121, v122, v121
	v_mul_f32_e32 v122, v123, v121
	s_delay_alu instid0(VALU_DEP_1) | instskip(NEXT) | instid1(VALU_DEP_1)
	v_fma_f32 v124, -v113, v122, v123
	v_fmac_f32_e32 v122, v124, v121
	s_delay_alu instid0(VALU_DEP_1) | instskip(NEXT) | instid1(VALU_DEP_1)
	v_fma_f32 v113, -v113, v122, v123
	v_div_fmas_f32 v113, v113, v121, v122
	s_delay_alu instid0(VALU_DEP_1) | instskip(NEXT) | instid1(VALU_DEP_1)
	v_div_fixup_f32 v113, v113, v115, v114
	v_fmac_f32_e32 v115, v114, v113
	s_delay_alu instid0(VALU_DEP_1) | instskip(SKIP_1) | instid1(VALU_DEP_2)
	v_div_scale_f32 v114, null, v115, v115, 1.0
	v_div_scale_f32 v123, vcc_lo, 1.0, v115, 1.0
	v_rcp_f32_e32 v121, v114
	v_nop
	s_delay_alu instid0(TRANS32_DEP_1) | instskip(NEXT) | instid1(VALU_DEP_1)
	v_fma_f32 v122, -v114, v121, 1.0
	v_fmac_f32_e32 v121, v122, v121
	s_delay_alu instid0(VALU_DEP_1) | instskip(NEXT) | instid1(VALU_DEP_1)
	v_mul_f32_e32 v122, v123, v121
	v_fma_f32 v124, -v114, v122, v123
	s_delay_alu instid0(VALU_DEP_1) | instskip(NEXT) | instid1(VALU_DEP_1)
	v_fmac_f32_e32 v122, v124, v121
	v_fma_f32 v114, -v114, v122, v123
	s_delay_alu instid0(VALU_DEP_1) | instskip(NEXT) | instid1(VALU_DEP_1)
	v_div_fmas_f32 v114, v114, v121, v122
	v_div_fixup_f32 v115, v114, v115, 1.0
	s_delay_alu instid0(VALU_DEP_1)
	v_mul_f32_e32 v114, v113, v115
	v_xor_b32_e32 v115, 0x80000000, v115
.LBB104_511:
	s_and_not1_saveexec_b32 s1, s1
	s_cbranch_execz .LBB104_513
; %bb.512:
	s_delay_alu instid0(VALU_DEP_1) | instskip(SKIP_1) | instid1(VALU_DEP_2)
	v_div_scale_f32 v113, null, v114, v114, v115
	v_div_scale_f32 v123, vcc_lo, v115, v114, v115
	v_rcp_f32_e32 v121, v113
	v_nop
	s_delay_alu instid0(TRANS32_DEP_1) | instskip(NEXT) | instid1(VALU_DEP_1)
	v_fma_f32 v122, -v113, v121, 1.0
	v_fmac_f32_e32 v121, v122, v121
	s_delay_alu instid0(VALU_DEP_1) | instskip(NEXT) | instid1(VALU_DEP_1)
	v_mul_f32_e32 v122, v123, v121
	v_fma_f32 v124, -v113, v122, v123
	s_delay_alu instid0(VALU_DEP_1) | instskip(NEXT) | instid1(VALU_DEP_1)
	v_fmac_f32_e32 v122, v124, v121
	v_fma_f32 v113, -v113, v122, v123
	s_delay_alu instid0(VALU_DEP_1) | instskip(NEXT) | instid1(VALU_DEP_1)
	v_div_fmas_f32 v113, v113, v121, v122
	v_div_fixup_f32 v113, v113, v114, v115
	s_delay_alu instid0(VALU_DEP_1) | instskip(NEXT) | instid1(VALU_DEP_1)
	v_fmac_f32_e32 v114, v115, v113
	v_div_scale_f32 v115, null, v114, v114, 1.0
	s_delay_alu instid0(VALU_DEP_1) | instskip(SKIP_1) | instid1(TRANS32_DEP_1)
	v_rcp_f32_e32 v121, v115
	v_nop
	v_fma_f32 v122, -v115, v121, 1.0
	s_delay_alu instid0(VALU_DEP_1) | instskip(SKIP_1) | instid1(VALU_DEP_1)
	v_fmac_f32_e32 v121, v122, v121
	v_div_scale_f32 v122, vcc_lo, 1.0, v114, 1.0
	v_mul_f32_e32 v123, v122, v121
	s_delay_alu instid0(VALU_DEP_1) | instskip(NEXT) | instid1(VALU_DEP_1)
	v_fma_f32 v124, -v115, v123, v122
	v_fmac_f32_e32 v123, v124, v121
	s_delay_alu instid0(VALU_DEP_1) | instskip(NEXT) | instid1(VALU_DEP_1)
	v_fma_f32 v115, -v115, v123, v122
	v_div_fmas_f32 v115, v115, v121, v123
	s_delay_alu instid0(VALU_DEP_1) | instskip(NEXT) | instid1(VALU_DEP_1)
	v_div_fixup_f32 v114, v115, v114, 1.0
	v_mul_f32_e64 v115, v113, -v114
.LBB104_513:
	s_or_b32 exec_lo, exec_lo, s1
.LBB104_514:
	s_delay_alu instid0(SALU_CYCLE_1) | instskip(NEXT) | instid1(SALU_CYCLE_1)
	s_or_b32 exec_lo, exec_lo, s0
	s_mov_b32 s0, exec_lo
	v_cmpx_ne_u32_e64 v120, v112
	s_xor_b32 s0, exec_lo, s0
	s_cbranch_execz .LBB104_520
; %bb.515:
	s_mov_b32 s1, exec_lo
	v_cmpx_eq_u32_e32 24, v120
	s_cbranch_execz .LBB104_519
; %bb.516:
	v_cmp_ne_u32_e32 vcc_lo, 24, v112
	s_xor_b32 s12, s16, -1
	s_delay_alu instid0(SALU_CYCLE_1) | instskip(NEXT) | instid1(SALU_CYCLE_1)
	s_and_b32 s13, s12, vcc_lo
	s_and_saveexec_b32 s12, s13
	s_cbranch_execz .LBB104_518
; %bb.517:
	v_ashrrev_i32_e32 v113, 31, v112
	s_delay_alu instid0(VALU_DEP_1)
	v_lshl_add_u64 v[120:121], v[112:113], 2, v[4:5]
	s_clause 0x1
	global_load_b32 v113, v[120:121], off
	global_load_b32 v119, v[4:5], off offset:96
	s_wait_loadcnt 0x1
	global_store_b32 v[4:5], v113, off offset:96
	s_wait_loadcnt 0x0
	global_store_b32 v[120:121], v119, off
.LBB104_518:
	s_wait_xcnt 0x0
	s_or_b32 exec_lo, exec_lo, s12
	v_dual_mov_b32 v120, v112 :: v_dual_mov_b32 v119, v112
.LBB104_519:
	s_or_b32 exec_lo, exec_lo, s1
.LBB104_520:
	s_and_not1_saveexec_b32 s0, s0
	s_cbranch_execz .LBB104_522
; %bb.521:
	v_mov_b32_e32 v120, 24
	ds_store_2addr_b64 v116, v[64:65], v[66:67] offset0:25 offset1:26
	ds_store_2addr_b64 v116, v[62:63], v[52:53] offset0:27 offset1:28
	ds_store_2addr_b64 v116, v[48:49], v[50:51] offset0:29 offset1:30
	ds_store_2addr_b64 v116, v[46:47], v[44:45] offset0:31 offset1:32
	ds_store_2addr_b64 v116, v[40:41], v[42:43] offset0:33 offset1:34
	ds_store_2addr_b64 v116, v[38:39], v[36:37] offset0:35 offset1:36
	ds_store_2addr_b64 v116, v[32:33], v[34:35] offset0:37 offset1:38
	ds_store_2addr_b64 v116, v[30:31], v[26:27] offset0:39 offset1:40
	ds_store_2addr_b64 v116, v[22:23], v[24:25] offset0:41 offset1:42
	ds_store_2addr_b64 v116, v[20:21], v[14:15] offset0:43 offset1:44
	ds_store_2addr_b64 v116, v[10:11], v[12:13] offset0:45 offset1:46
	ds_store_2addr_b64 v116, v[8:9], v[6:7] offset0:47 offset1:48
	ds_store_2addr_b64 v116, v[28:29], v[18:19] offset0:49 offset1:50
	ds_store_2addr_b64 v116, v[16:17], v[110:111] offset0:51 offset1:52
.LBB104_522:
	s_or_b32 exec_lo, exec_lo, s0
	s_delay_alu instid0(SALU_CYCLE_1)
	s_mov_b32 s0, exec_lo
	s_wait_storecnt_dscnt 0x0
	s_barrier_signal -1
	s_barrier_wait -1
	v_cmpx_lt_i32_e32 24, v120
	s_cbranch_execz .LBB104_524
; %bb.523:
	v_pk_mul_f32 v[122:123], v[114:115], v[68:69] op_sel:[1,1] op_sel_hi:[0,1]
	s_delay_alu instid0(VALU_DEP_1)
	v_pk_fma_f32 v[112:113], v[114:115], v[68:69], v[122:123] op_sel_hi:[1,0,1] neg_lo:[0,0,1] neg_hi:[0,0,1]
	v_pk_fma_f32 v[114:115], v[114:115], v[68:69], v[122:123] op_sel_hi:[1,0,1]
	ds_load_2addr_b64 v[122:125], v116 offset0:25 offset1:26
	v_dual_mov_b32 v68, v112 :: v_dual_mov_b32 v69, v115
	s_wait_dscnt 0x0
	v_pk_mul_f32 v[126:127], v[122:123], v[114:115] op_sel:[0,1]
	s_delay_alu instid0(VALU_DEP_1) | instskip(SKIP_1) | instid1(VALU_DEP_1)
	v_pk_fma_f32 v[128:129], v[122:123], v[112:113], v[126:127] op_sel:[0,0,1] op_sel_hi:[1,1,0] neg_lo:[0,0,1] neg_hi:[0,0,1]
	v_pk_fma_f32 v[122:123], v[122:123], v[112:113], v[126:127] op_sel:[0,0,1] op_sel_hi:[1,0,0]
	v_mov_b32_e32 v129, v123
	v_pk_mul_f32 v[122:123], v[124:125], v[114:115] op_sel:[0,1]
	s_delay_alu instid0(VALU_DEP_1) | instskip(SKIP_1) | instid1(VALU_DEP_1)
	v_pk_fma_f32 v[126:127], v[124:125], v[112:113], v[122:123] op_sel:[0,0,1] op_sel_hi:[1,1,0] neg_lo:[0,0,1] neg_hi:[0,0,1]
	v_pk_fma_f32 v[122:123], v[124:125], v[112:113], v[122:123] op_sel:[0,0,1] op_sel_hi:[1,0,0]
	v_mov_b32_e32 v127, v123
	ds_load_2addr_b64 v[122:125], v116 offset0:27 offset1:28
	v_pk_add_f32 v[64:65], v[64:65], v[128:129] neg_lo:[0,1] neg_hi:[0,1]
	v_pk_add_f32 v[66:67], v[66:67], v[126:127] neg_lo:[0,1] neg_hi:[0,1]
	s_wait_dscnt 0x0
	v_pk_mul_f32 v[126:127], v[122:123], v[114:115] op_sel:[0,1]
	s_delay_alu instid0(VALU_DEP_1) | instskip(SKIP_2) | instid1(VALU_DEP_2)
	v_pk_fma_f32 v[128:129], v[122:123], v[112:113], v[126:127] op_sel:[0,0,1] op_sel_hi:[1,1,0] neg_lo:[0,0,1] neg_hi:[0,0,1]
	v_pk_fma_f32 v[122:123], v[122:123], v[112:113], v[126:127] op_sel:[0,0,1] op_sel_hi:[1,0,0]
	v_dual_mul_f32 v126, v125, v115 :: v_dual_mov_b32 v122, v125
	v_dual_mov_b32 v129, v123 :: v_dual_mov_b32 v123, v124
	s_delay_alu instid0(VALU_DEP_2) | instskip(SKIP_1) | instid1(VALU_DEP_3)
	v_pk_fma_f32 v[126:127], v[124:125], v[68:69], v[126:127] op_sel_hi:[1,1,0] neg_lo:[0,0,1] neg_hi:[0,0,1]
	v_mul_f32_e32 v124, v125, v112
	v_pk_add_f32 v[62:63], v[62:63], v[128:129] neg_lo:[0,1] neg_hi:[0,1]
	s_delay_alu instid0(VALU_DEP_2) | instskip(NEXT) | instid1(VALU_DEP_1)
	v_pk_fma_f32 v[122:123], v[122:123], v[68:69], v[124:125] op_sel_hi:[1,1,0]
	v_mov_b32_e32 v127, v123
	ds_load_2addr_b64 v[122:125], v116 offset0:29 offset1:30
	v_pk_add_f32 v[52:53], v[52:53], v[126:127] neg_lo:[0,1] neg_hi:[0,1]
	s_wait_dscnt 0x0
	v_pk_mul_f32 v[126:127], v[122:123], v[114:115] op_sel:[0,1]
	s_delay_alu instid0(VALU_DEP_1) | instskip(SKIP_1) | instid1(VALU_DEP_1)
	v_pk_fma_f32 v[128:129], v[122:123], v[112:113], v[126:127] op_sel:[0,0,1] op_sel_hi:[1,1,0] neg_lo:[0,0,1] neg_hi:[0,0,1]
	v_pk_fma_f32 v[122:123], v[122:123], v[112:113], v[126:127] op_sel:[0,0,1] op_sel_hi:[1,0,0]
	v_mov_b32_e32 v129, v123
	v_pk_mul_f32 v[122:123], v[124:125], v[114:115] op_sel:[0,1]
	s_delay_alu instid0(VALU_DEP_1) | instskip(SKIP_1) | instid1(VALU_DEP_1)
	v_pk_fma_f32 v[126:127], v[124:125], v[112:113], v[122:123] op_sel:[0,0,1] op_sel_hi:[1,1,0] neg_lo:[0,0,1] neg_hi:[0,0,1]
	v_pk_fma_f32 v[122:123], v[124:125], v[112:113], v[122:123] op_sel:[0,0,1] op_sel_hi:[1,0,0]
	v_mov_b32_e32 v127, v123
	ds_load_2addr_b64 v[122:125], v116 offset0:31 offset1:32
	v_pk_add_f32 v[48:49], v[48:49], v[128:129] neg_lo:[0,1] neg_hi:[0,1]
	v_pk_add_f32 v[50:51], v[50:51], v[126:127] neg_lo:[0,1] neg_hi:[0,1]
	s_wait_dscnt 0x0
	v_pk_mul_f32 v[126:127], v[122:123], v[114:115] op_sel:[0,1]
	s_delay_alu instid0(VALU_DEP_1) | instskip(SKIP_1) | instid1(VALU_DEP_1)
	v_pk_fma_f32 v[128:129], v[122:123], v[112:113], v[126:127] op_sel:[0,0,1] op_sel_hi:[1,1,0] neg_lo:[0,0,1] neg_hi:[0,0,1]
	v_pk_fma_f32 v[122:123], v[122:123], v[112:113], v[126:127] op_sel:[0,0,1] op_sel_hi:[1,0,0]
	v_mov_b32_e32 v129, v123
	v_pk_mul_f32 v[122:123], v[124:125], v[114:115] op_sel:[0,1]
	s_delay_alu instid0(VALU_DEP_1) | instskip(SKIP_1) | instid1(VALU_DEP_1)
	v_pk_fma_f32 v[126:127], v[124:125], v[112:113], v[122:123] op_sel:[0,0,1] op_sel_hi:[1,1,0] neg_lo:[0,0,1] neg_hi:[0,0,1]
	v_pk_fma_f32 v[122:123], v[124:125], v[112:113], v[122:123] op_sel:[0,0,1] op_sel_hi:[1,0,0]
	v_mov_b32_e32 v127, v123
	ds_load_2addr_b64 v[122:125], v116 offset0:33 offset1:34
	v_pk_add_f32 v[46:47], v[46:47], v[128:129] neg_lo:[0,1] neg_hi:[0,1]
	v_pk_add_f32 v[44:45], v[44:45], v[126:127] neg_lo:[0,1] neg_hi:[0,1]
	s_wait_dscnt 0x0
	v_dual_mul_f32 v126, v123, v115 :: v_dual_mul_f32 v128, v123, v112
	s_delay_alu instid0(VALU_DEP_1) | instskip(NEXT) | instid1(VALU_DEP_2)
	v_pk_fma_f32 v[126:127], v[122:123], v[68:69], v[126:127] op_sel_hi:[1,1,0] neg_lo:[0,0,1] neg_hi:[0,0,1]
	v_pk_fma_f32 v[122:123], v[122:123], v[68:69], v[128:129] op_sel:[1,0,0] op_sel_hi:[0,1,0]
	s_delay_alu instid0(VALU_DEP_1) | instskip(SKIP_1) | instid1(VALU_DEP_2)
	v_mov_b32_e32 v127, v123
	v_pk_mul_f32 v[122:123], v[124:125], v[114:115] op_sel:[0,1]
	v_pk_add_f32 v[40:41], v[40:41], v[126:127] neg_lo:[0,1] neg_hi:[0,1]
	s_delay_alu instid0(VALU_DEP_2) | instskip(SKIP_1) | instid1(VALU_DEP_1)
	v_pk_fma_f32 v[126:127], v[124:125], v[112:113], v[122:123] op_sel:[0,0,1] op_sel_hi:[1,1,0] neg_lo:[0,0,1] neg_hi:[0,0,1]
	v_pk_fma_f32 v[122:123], v[124:125], v[112:113], v[122:123] op_sel:[0,0,1] op_sel_hi:[1,0,0]
	v_mov_b32_e32 v127, v123
	ds_load_2addr_b64 v[122:125], v116 offset0:35 offset1:36
	v_pk_add_f32 v[42:43], v[42:43], v[126:127] neg_lo:[0,1] neg_hi:[0,1]
	s_wait_dscnt 0x0
	v_pk_mul_f32 v[126:127], v[122:123], v[114:115] op_sel:[0,1]
	s_delay_alu instid0(VALU_DEP_1) | instskip(SKIP_1) | instid1(VALU_DEP_1)
	v_pk_fma_f32 v[128:129], v[122:123], v[112:113], v[126:127] op_sel:[0,0,1] op_sel_hi:[1,1,0] neg_lo:[0,0,1] neg_hi:[0,0,1]
	v_pk_fma_f32 v[122:123], v[122:123], v[112:113], v[126:127] op_sel:[0,0,1] op_sel_hi:[1,0,0]
	v_mov_b32_e32 v129, v123
	v_pk_mul_f32 v[122:123], v[124:125], v[114:115] op_sel:[0,1]
	s_delay_alu instid0(VALU_DEP_2) | instskip(NEXT) | instid1(VALU_DEP_2)
	v_pk_add_f32 v[38:39], v[38:39], v[128:129] neg_lo:[0,1] neg_hi:[0,1]
	v_pk_fma_f32 v[126:127], v[124:125], v[112:113], v[122:123] op_sel:[0,0,1] op_sel_hi:[1,1,0] neg_lo:[0,0,1] neg_hi:[0,0,1]
	v_pk_fma_f32 v[122:123], v[124:125], v[112:113], v[122:123] op_sel:[0,0,1] op_sel_hi:[1,0,0]
	s_delay_alu instid0(VALU_DEP_1) | instskip(SKIP_4) | instid1(VALU_DEP_1)
	v_mov_b32_e32 v127, v123
	ds_load_2addr_b64 v[122:125], v116 offset0:37 offset1:38
	v_pk_add_f32 v[36:37], v[36:37], v[126:127] neg_lo:[0,1] neg_hi:[0,1]
	s_wait_dscnt 0x0
	v_pk_mul_f32 v[126:127], v[122:123], v[114:115] op_sel:[0,1]
	v_pk_fma_f32 v[128:129], v[122:123], v[112:113], v[126:127] op_sel:[0,0,1] op_sel_hi:[1,1,0] neg_lo:[0,0,1] neg_hi:[0,0,1]
	v_pk_fma_f32 v[122:123], v[122:123], v[112:113], v[126:127] op_sel:[0,0,1] op_sel_hi:[1,0,0]
	v_dual_mul_f32 v126, v125, v115 :: v_dual_mov_b32 v122, v125
	s_delay_alu instid0(VALU_DEP_2) | instskip(NEXT) | instid1(VALU_DEP_2)
	v_dual_mov_b32 v129, v123 :: v_dual_mov_b32 v123, v124
	v_pk_fma_f32 v[126:127], v[124:125], v[68:69], v[126:127] op_sel_hi:[1,1,0] neg_lo:[0,0,1] neg_hi:[0,0,1]
	v_mul_f32_e32 v124, v125, v112
	s_delay_alu instid0(VALU_DEP_3) | instskip(NEXT) | instid1(VALU_DEP_2)
	v_pk_add_f32 v[32:33], v[32:33], v[128:129] neg_lo:[0,1] neg_hi:[0,1]
	v_pk_fma_f32 v[122:123], v[122:123], v[68:69], v[124:125] op_sel_hi:[1,1,0]
	s_delay_alu instid0(VALU_DEP_1) | instskip(SKIP_4) | instid1(VALU_DEP_1)
	v_mov_b32_e32 v127, v123
	ds_load_2addr_b64 v[122:125], v116 offset0:39 offset1:40
	v_pk_add_f32 v[34:35], v[34:35], v[126:127] neg_lo:[0,1] neg_hi:[0,1]
	s_wait_dscnt 0x0
	v_pk_mul_f32 v[126:127], v[122:123], v[114:115] op_sel:[0,1]
	v_pk_fma_f32 v[128:129], v[122:123], v[112:113], v[126:127] op_sel:[0,0,1] op_sel_hi:[1,1,0] neg_lo:[0,0,1] neg_hi:[0,0,1]
	v_pk_fma_f32 v[122:123], v[122:123], v[112:113], v[126:127] op_sel:[0,0,1] op_sel_hi:[1,0,0]
	s_delay_alu instid0(VALU_DEP_1) | instskip(SKIP_1) | instid1(VALU_DEP_1)
	v_mov_b32_e32 v129, v123
	v_pk_mul_f32 v[122:123], v[124:125], v[114:115] op_sel:[0,1]
	v_pk_fma_f32 v[126:127], v[124:125], v[112:113], v[122:123] op_sel:[0,0,1] op_sel_hi:[1,1,0] neg_lo:[0,0,1] neg_hi:[0,0,1]
	v_pk_fma_f32 v[122:123], v[124:125], v[112:113], v[122:123] op_sel:[0,0,1] op_sel_hi:[1,0,0]
	s_delay_alu instid0(VALU_DEP_1)
	v_mov_b32_e32 v127, v123
	ds_load_2addr_b64 v[122:125], v116 offset0:41 offset1:42
	v_pk_add_f32 v[30:31], v[30:31], v[128:129] neg_lo:[0,1] neg_hi:[0,1]
	v_pk_add_f32 v[26:27], v[26:27], v[126:127] neg_lo:[0,1] neg_hi:[0,1]
	s_wait_dscnt 0x0
	v_pk_mul_f32 v[126:127], v[122:123], v[114:115] op_sel:[0,1]
	s_delay_alu instid0(VALU_DEP_1) | instskip(SKIP_1) | instid1(VALU_DEP_1)
	v_pk_fma_f32 v[128:129], v[122:123], v[112:113], v[126:127] op_sel:[0,0,1] op_sel_hi:[1,1,0] neg_lo:[0,0,1] neg_hi:[0,0,1]
	v_pk_fma_f32 v[122:123], v[122:123], v[112:113], v[126:127] op_sel:[0,0,1] op_sel_hi:[1,0,0]
	v_mov_b32_e32 v129, v123
	v_pk_mul_f32 v[122:123], v[124:125], v[114:115] op_sel:[0,1]
	s_delay_alu instid0(VALU_DEP_1) | instskip(SKIP_1) | instid1(VALU_DEP_1)
	v_pk_fma_f32 v[126:127], v[124:125], v[112:113], v[122:123] op_sel:[0,0,1] op_sel_hi:[1,1,0] neg_lo:[0,0,1] neg_hi:[0,0,1]
	v_pk_fma_f32 v[122:123], v[124:125], v[112:113], v[122:123] op_sel:[0,0,1] op_sel_hi:[1,0,0]
	v_mov_b32_e32 v127, v123
	ds_load_2addr_b64 v[122:125], v116 offset0:43 offset1:44
	v_pk_add_f32 v[22:23], v[22:23], v[128:129] neg_lo:[0,1] neg_hi:[0,1]
	v_pk_add_f32 v[24:25], v[24:25], v[126:127] neg_lo:[0,1] neg_hi:[0,1]
	s_wait_dscnt 0x0
	v_dual_mul_f32 v126, v123, v115 :: v_dual_mul_f32 v128, v123, v112
	s_delay_alu instid0(VALU_DEP_1) | instskip(NEXT) | instid1(VALU_DEP_2)
	v_pk_fma_f32 v[126:127], v[122:123], v[68:69], v[126:127] op_sel_hi:[1,1,0] neg_lo:[0,0,1] neg_hi:[0,0,1]
	v_pk_fma_f32 v[122:123], v[122:123], v[68:69], v[128:129] op_sel:[1,0,0] op_sel_hi:[0,1,0]
	s_delay_alu instid0(VALU_DEP_1) | instskip(SKIP_1) | instid1(VALU_DEP_2)
	v_mov_b32_e32 v127, v123
	v_pk_mul_f32 v[122:123], v[124:125], v[114:115] op_sel:[0,1]
	v_pk_add_f32 v[20:21], v[20:21], v[126:127] neg_lo:[0,1] neg_hi:[0,1]
	s_delay_alu instid0(VALU_DEP_2) | instskip(SKIP_1) | instid1(VALU_DEP_1)
	v_pk_fma_f32 v[126:127], v[124:125], v[112:113], v[122:123] op_sel:[0,0,1] op_sel_hi:[1,1,0] neg_lo:[0,0,1] neg_hi:[0,0,1]
	v_pk_fma_f32 v[122:123], v[124:125], v[112:113], v[122:123] op_sel:[0,0,1] op_sel_hi:[1,0,0]
	v_mov_b32_e32 v127, v123
	ds_load_2addr_b64 v[122:125], v116 offset0:45 offset1:46
	v_pk_add_f32 v[14:15], v[14:15], v[126:127] neg_lo:[0,1] neg_hi:[0,1]
	s_wait_dscnt 0x0
	v_pk_mul_f32 v[126:127], v[122:123], v[114:115] op_sel:[0,1]
	s_delay_alu instid0(VALU_DEP_1) | instskip(SKIP_1) | instid1(VALU_DEP_1)
	v_pk_fma_f32 v[128:129], v[122:123], v[112:113], v[126:127] op_sel:[0,0,1] op_sel_hi:[1,1,0] neg_lo:[0,0,1] neg_hi:[0,0,1]
	v_pk_fma_f32 v[122:123], v[122:123], v[112:113], v[126:127] op_sel:[0,0,1] op_sel_hi:[1,0,0]
	v_mov_b32_e32 v129, v123
	v_pk_mul_f32 v[122:123], v[124:125], v[114:115] op_sel:[0,1]
	s_delay_alu instid0(VALU_DEP_2) | instskip(NEXT) | instid1(VALU_DEP_2)
	v_pk_add_f32 v[10:11], v[10:11], v[128:129] neg_lo:[0,1] neg_hi:[0,1]
	v_pk_fma_f32 v[126:127], v[124:125], v[112:113], v[122:123] op_sel:[0,0,1] op_sel_hi:[1,1,0] neg_lo:[0,0,1] neg_hi:[0,0,1]
	v_pk_fma_f32 v[122:123], v[124:125], v[112:113], v[122:123] op_sel:[0,0,1] op_sel_hi:[1,0,0]
	s_delay_alu instid0(VALU_DEP_1) | instskip(SKIP_4) | instid1(VALU_DEP_1)
	v_mov_b32_e32 v127, v123
	ds_load_2addr_b64 v[122:125], v116 offset0:47 offset1:48
	v_pk_add_f32 v[12:13], v[12:13], v[126:127] neg_lo:[0,1] neg_hi:[0,1]
	s_wait_dscnt 0x0
	v_pk_mul_f32 v[126:127], v[122:123], v[114:115] op_sel:[0,1]
	v_pk_fma_f32 v[128:129], v[122:123], v[112:113], v[126:127] op_sel:[0,0,1] op_sel_hi:[1,1,0] neg_lo:[0,0,1] neg_hi:[0,0,1]
	v_pk_fma_f32 v[122:123], v[122:123], v[112:113], v[126:127] op_sel:[0,0,1] op_sel_hi:[1,0,0]
	v_dual_mul_f32 v126, v125, v115 :: v_dual_mov_b32 v122, v125
	s_delay_alu instid0(VALU_DEP_2) | instskip(NEXT) | instid1(VALU_DEP_2)
	v_dual_mov_b32 v129, v123 :: v_dual_mov_b32 v123, v124
	v_pk_fma_f32 v[126:127], v[124:125], v[68:69], v[126:127] op_sel_hi:[1,1,0] neg_lo:[0,0,1] neg_hi:[0,0,1]
	v_mul_f32_e32 v124, v125, v112
	s_delay_alu instid0(VALU_DEP_3) | instskip(NEXT) | instid1(VALU_DEP_2)
	v_pk_add_f32 v[8:9], v[8:9], v[128:129] neg_lo:[0,1] neg_hi:[0,1]
	v_pk_fma_f32 v[122:123], v[122:123], v[68:69], v[124:125] op_sel_hi:[1,1,0]
	s_delay_alu instid0(VALU_DEP_1) | instskip(SKIP_4) | instid1(VALU_DEP_1)
	v_mov_b32_e32 v127, v123
	ds_load_2addr_b64 v[122:125], v116 offset0:49 offset1:50
	v_pk_add_f32 v[6:7], v[6:7], v[126:127] neg_lo:[0,1] neg_hi:[0,1]
	s_wait_dscnt 0x0
	v_pk_mul_f32 v[126:127], v[122:123], v[114:115] op_sel:[0,1]
	v_pk_fma_f32 v[128:129], v[122:123], v[112:113], v[126:127] op_sel:[0,0,1] op_sel_hi:[1,1,0] neg_lo:[0,0,1] neg_hi:[0,0,1]
	v_pk_fma_f32 v[122:123], v[122:123], v[112:113], v[126:127] op_sel:[0,0,1] op_sel_hi:[1,0,0]
	s_delay_alu instid0(VALU_DEP_1) | instskip(SKIP_1) | instid1(VALU_DEP_1)
	v_mov_b32_e32 v129, v123
	v_pk_mul_f32 v[122:123], v[124:125], v[114:115] op_sel:[0,1]
	v_pk_fma_f32 v[126:127], v[124:125], v[112:113], v[122:123] op_sel:[0,0,1] op_sel_hi:[1,1,0] neg_lo:[0,0,1] neg_hi:[0,0,1]
	v_pk_fma_f32 v[122:123], v[124:125], v[112:113], v[122:123] op_sel:[0,0,1] op_sel_hi:[1,0,0]
	s_delay_alu instid0(VALU_DEP_1)
	v_mov_b32_e32 v127, v123
	ds_load_2addr_b64 v[122:125], v116 offset0:51 offset1:52
	v_pk_add_f32 v[28:29], v[28:29], v[128:129] neg_lo:[0,1] neg_hi:[0,1]
	v_pk_add_f32 v[18:19], v[18:19], v[126:127] neg_lo:[0,1] neg_hi:[0,1]
	s_wait_dscnt 0x0
	v_pk_mul_f32 v[126:127], v[122:123], v[114:115] op_sel:[0,1]
	v_pk_mul_f32 v[114:115], v[124:125], v[114:115] op_sel:[0,1]
	s_delay_alu instid0(VALU_DEP_2) | instskip(SKIP_1) | instid1(VALU_DEP_1)
	v_pk_fma_f32 v[128:129], v[122:123], v[112:113], v[126:127] op_sel:[0,0,1] op_sel_hi:[1,1,0] neg_lo:[0,0,1] neg_hi:[0,0,1]
	v_pk_fma_f32 v[122:123], v[122:123], v[112:113], v[126:127] op_sel:[0,0,1] op_sel_hi:[1,0,0]
	v_mov_b32_e32 v129, v123
	s_delay_alu instid0(VALU_DEP_4) | instskip(SKIP_1) | instid1(VALU_DEP_1)
	v_pk_fma_f32 v[122:123], v[124:125], v[112:113], v[114:115] op_sel:[0,0,1] op_sel_hi:[1,1,0] neg_lo:[0,0,1] neg_hi:[0,0,1]
	v_pk_fma_f32 v[112:113], v[124:125], v[112:113], v[114:115] op_sel:[0,0,1] op_sel_hi:[1,0,0]
	v_mov_b32_e32 v123, v113
	s_delay_alu instid0(VALU_DEP_4) | instskip(NEXT) | instid1(VALU_DEP_2)
	v_pk_add_f32 v[16:17], v[16:17], v[128:129] neg_lo:[0,1] neg_hi:[0,1]
	v_pk_add_f32 v[110:111], v[110:111], v[122:123] neg_lo:[0,1] neg_hi:[0,1]
.LBB104_524:
	s_or_b32 exec_lo, exec_lo, s0
	v_lshl_add_u32 v112, v120, 3, v116
	s_barrier_signal -1
	s_barrier_wait -1
	ds_store_b64 v112, v[64:65]
	s_wait_dscnt 0x0
	s_barrier_signal -1
	s_barrier_wait -1
	ds_load_b64 v[114:115], v116 offset:200
	v_mov_b32_e32 v112, 25
	s_cmp_lt_i32 s18, 27
	s_cbranch_scc1 .LBB104_527
; %bb.525:
	v_add3_u32 v113, v117, 0, 0xd0
	v_mov_b32_e32 v112, 25
	s_mov_b32 s0, 26
.LBB104_526:                            ; =>This Inner Loop Header: Depth=1
	ds_load_b64 v[122:123], v113
	s_wait_dscnt 0x1
	v_cmp_gt_f32_e32 vcc_lo, 0, v114
	v_cndmask_b32_e64 v124, v114, -v114, vcc_lo
	v_cmp_gt_f32_e32 vcc_lo, 0, v115
	v_cndmask_b32_e64 v126, v115, -v115, vcc_lo
	s_wait_dscnt 0x0
	v_cmp_gt_f32_e32 vcc_lo, 0, v122
	v_cndmask_b32_e64 v125, v122, -v122, vcc_lo
	v_cmp_gt_f32_e32 vcc_lo, 0, v123
	v_cndmask_b32_e64 v127, v123, -v123, vcc_lo
	s_delay_alu instid0(VALU_DEP_1) | instskip(NEXT) | instid1(VALU_DEP_1)
	v_pk_add_f32 v[124:125], v[124:125], v[126:127]
	v_cmp_lt_f32_e32 vcc_lo, v124, v125
	v_dual_add_nc_u32 v113, 8, v113 :: v_dual_cndmask_b32 v115, v115, v123, vcc_lo
	v_cndmask_b32_e32 v114, v114, v122, vcc_lo
	v_cndmask_b32_e64 v112, v112, s0, vcc_lo
	s_add_co_i32 s0, s0, 1
	s_delay_alu instid0(SALU_CYCLE_1)
	s_cmp_lg_u32 s18, s0
	s_cbranch_scc1 .LBB104_526
.LBB104_527:
	s_wait_dscnt 0x0
	v_cmp_eq_f32_e32 vcc_lo, 0, v114
	v_cmp_eq_f32_e64 s0, 0, v115
	s_and_b32 s0, vcc_lo, s0
	s_delay_alu instid0(SALU_CYCLE_1) | instskip(NEXT) | instid1(SALU_CYCLE_1)
	s_and_saveexec_b32 s1, s0
	s_xor_b32 s0, exec_lo, s1
; %bb.528:
	v_cmp_ne_u32_e32 vcc_lo, 0, v118
	v_cndmask_b32_e32 v118, 26, v118, vcc_lo
; %bb.529:
	s_and_not1_saveexec_b32 s0, s0
	s_cbranch_execz .LBB104_535
; %bb.530:
	v_cmp_ngt_f32_e64 s1, |v114|, |v115|
	s_and_saveexec_b32 s12, s1
	s_delay_alu instid0(SALU_CYCLE_1)
	s_xor_b32 s1, exec_lo, s12
	s_cbranch_execz .LBB104_532
; %bb.531:
	v_div_scale_f32 v113, null, v115, v115, v114
	v_div_scale_f32 v123, vcc_lo, v114, v115, v114
	s_delay_alu instid0(VALU_DEP_2) | instskip(SKIP_1) | instid1(TRANS32_DEP_1)
	v_rcp_f32_e32 v121, v113
	v_nop
	v_fma_f32 v122, -v113, v121, 1.0
	s_delay_alu instid0(VALU_DEP_1) | instskip(NEXT) | instid1(VALU_DEP_1)
	v_fmac_f32_e32 v121, v122, v121
	v_mul_f32_e32 v122, v123, v121
	s_delay_alu instid0(VALU_DEP_1) | instskip(NEXT) | instid1(VALU_DEP_1)
	v_fma_f32 v124, -v113, v122, v123
	v_fmac_f32_e32 v122, v124, v121
	s_delay_alu instid0(VALU_DEP_1) | instskip(NEXT) | instid1(VALU_DEP_1)
	v_fma_f32 v113, -v113, v122, v123
	v_div_fmas_f32 v113, v113, v121, v122
	s_delay_alu instid0(VALU_DEP_1) | instskip(NEXT) | instid1(VALU_DEP_1)
	v_div_fixup_f32 v113, v113, v115, v114
	v_fmac_f32_e32 v115, v114, v113
	s_delay_alu instid0(VALU_DEP_1) | instskip(SKIP_1) | instid1(VALU_DEP_2)
	v_div_scale_f32 v114, null, v115, v115, 1.0
	v_div_scale_f32 v123, vcc_lo, 1.0, v115, 1.0
	v_rcp_f32_e32 v121, v114
	v_nop
	s_delay_alu instid0(TRANS32_DEP_1) | instskip(NEXT) | instid1(VALU_DEP_1)
	v_fma_f32 v122, -v114, v121, 1.0
	v_fmac_f32_e32 v121, v122, v121
	s_delay_alu instid0(VALU_DEP_1) | instskip(NEXT) | instid1(VALU_DEP_1)
	v_mul_f32_e32 v122, v123, v121
	v_fma_f32 v124, -v114, v122, v123
	s_delay_alu instid0(VALU_DEP_1) | instskip(NEXT) | instid1(VALU_DEP_1)
	v_fmac_f32_e32 v122, v124, v121
	v_fma_f32 v114, -v114, v122, v123
	s_delay_alu instid0(VALU_DEP_1) | instskip(NEXT) | instid1(VALU_DEP_1)
	v_div_fmas_f32 v114, v114, v121, v122
	v_div_fixup_f32 v115, v114, v115, 1.0
	s_delay_alu instid0(VALU_DEP_1)
	v_mul_f32_e32 v114, v113, v115
	v_xor_b32_e32 v115, 0x80000000, v115
.LBB104_532:
	s_and_not1_saveexec_b32 s1, s1
	s_cbranch_execz .LBB104_534
; %bb.533:
	s_delay_alu instid0(VALU_DEP_1) | instskip(SKIP_1) | instid1(VALU_DEP_2)
	v_div_scale_f32 v113, null, v114, v114, v115
	v_div_scale_f32 v123, vcc_lo, v115, v114, v115
	v_rcp_f32_e32 v121, v113
	v_nop
	s_delay_alu instid0(TRANS32_DEP_1) | instskip(NEXT) | instid1(VALU_DEP_1)
	v_fma_f32 v122, -v113, v121, 1.0
	v_fmac_f32_e32 v121, v122, v121
	s_delay_alu instid0(VALU_DEP_1) | instskip(NEXT) | instid1(VALU_DEP_1)
	v_mul_f32_e32 v122, v123, v121
	v_fma_f32 v124, -v113, v122, v123
	s_delay_alu instid0(VALU_DEP_1) | instskip(NEXT) | instid1(VALU_DEP_1)
	v_fmac_f32_e32 v122, v124, v121
	v_fma_f32 v113, -v113, v122, v123
	s_delay_alu instid0(VALU_DEP_1) | instskip(NEXT) | instid1(VALU_DEP_1)
	v_div_fmas_f32 v113, v113, v121, v122
	v_div_fixup_f32 v113, v113, v114, v115
	s_delay_alu instid0(VALU_DEP_1) | instskip(NEXT) | instid1(VALU_DEP_1)
	v_fmac_f32_e32 v114, v115, v113
	v_div_scale_f32 v115, null, v114, v114, 1.0
	s_delay_alu instid0(VALU_DEP_1) | instskip(SKIP_1) | instid1(TRANS32_DEP_1)
	v_rcp_f32_e32 v121, v115
	v_nop
	v_fma_f32 v122, -v115, v121, 1.0
	s_delay_alu instid0(VALU_DEP_1) | instskip(SKIP_1) | instid1(VALU_DEP_1)
	v_fmac_f32_e32 v121, v122, v121
	v_div_scale_f32 v122, vcc_lo, 1.0, v114, 1.0
	v_mul_f32_e32 v123, v122, v121
	s_delay_alu instid0(VALU_DEP_1) | instskip(NEXT) | instid1(VALU_DEP_1)
	v_fma_f32 v124, -v115, v123, v122
	v_fmac_f32_e32 v123, v124, v121
	s_delay_alu instid0(VALU_DEP_1) | instskip(NEXT) | instid1(VALU_DEP_1)
	v_fma_f32 v115, -v115, v123, v122
	v_div_fmas_f32 v115, v115, v121, v123
	s_delay_alu instid0(VALU_DEP_1) | instskip(NEXT) | instid1(VALU_DEP_1)
	v_div_fixup_f32 v114, v115, v114, 1.0
	v_mul_f32_e64 v115, v113, -v114
.LBB104_534:
	s_or_b32 exec_lo, exec_lo, s1
.LBB104_535:
	s_delay_alu instid0(SALU_CYCLE_1) | instskip(NEXT) | instid1(SALU_CYCLE_1)
	s_or_b32 exec_lo, exec_lo, s0
	s_mov_b32 s0, exec_lo
	v_cmpx_ne_u32_e64 v120, v112
	s_xor_b32 s0, exec_lo, s0
	s_cbranch_execz .LBB104_541
; %bb.536:
	s_mov_b32 s1, exec_lo
	v_cmpx_eq_u32_e32 25, v120
	s_cbranch_execz .LBB104_540
; %bb.537:
	v_cmp_ne_u32_e32 vcc_lo, 25, v112
	s_xor_b32 s12, s16, -1
	s_delay_alu instid0(SALU_CYCLE_1) | instskip(NEXT) | instid1(SALU_CYCLE_1)
	s_and_b32 s13, s12, vcc_lo
	s_and_saveexec_b32 s12, s13
	s_cbranch_execz .LBB104_539
; %bb.538:
	v_ashrrev_i32_e32 v113, 31, v112
	s_delay_alu instid0(VALU_DEP_1)
	v_lshl_add_u64 v[120:121], v[112:113], 2, v[4:5]
	s_clause 0x1
	global_load_b32 v113, v[120:121], off
	global_load_b32 v119, v[4:5], off offset:100
	s_wait_loadcnt 0x1
	global_store_b32 v[4:5], v113, off offset:100
	s_wait_loadcnt 0x0
	global_store_b32 v[120:121], v119, off
.LBB104_539:
	s_wait_xcnt 0x0
	s_or_b32 exec_lo, exec_lo, s12
	v_dual_mov_b32 v120, v112 :: v_dual_mov_b32 v119, v112
.LBB104_540:
	s_or_b32 exec_lo, exec_lo, s1
.LBB104_541:
	s_and_not1_saveexec_b32 s0, s0
	s_cbranch_execz .LBB104_543
; %bb.542:
	v_dual_mov_b32 v112, v66 :: v_dual_mov_b32 v113, v67
	v_dual_mov_b32 v120, v62 :: v_dual_mov_b32 v121, v63
	;; [unrolled: 1-line block ×4, first 2 shown]
	ds_store_2addr_b64 v116, v[112:113], v[120:121] offset0:26 offset1:27
	ds_store_2addr_b64 v116, v[122:123], v[124:125] offset0:28 offset1:29
	v_dual_mov_b32 v112, v50 :: v_dual_mov_b32 v113, v51
	v_dual_mov_b32 v120, v46 :: v_dual_mov_b32 v121, v47
	;; [unrolled: 1-line block ×12, first 2 shown]
	ds_store_2addr_b64 v116, v[112:113], v[120:121] offset0:30 offset1:31
	ds_store_2addr_b64 v116, v[122:123], v[124:125] offset0:32 offset1:33
	ds_store_2addr_b64 v116, v[126:127], v[128:129] offset0:34 offset1:35
	ds_store_2addr_b64 v116, v[130:131], v[132:133] offset0:36 offset1:37
	ds_store_2addr_b64 v116, v[134:135], v[136:137] offset0:38 offset1:39
	ds_store_2addr_b64 v116, v[138:139], v[140:141] offset0:40 offset1:41
	v_dual_mov_b32 v112, v24 :: v_dual_mov_b32 v113, v25
	v_dual_mov_b32 v120, v20 :: v_dual_mov_b32 v121, v21
	v_dual_mov_b32 v122, v14 :: v_dual_mov_b32 v123, v15
	v_dual_mov_b32 v124, v10 :: v_dual_mov_b32 v125, v11
	v_dual_mov_b32 v126, v12 :: v_dual_mov_b32 v127, v13
	v_dual_mov_b32 v128, v8 :: v_dual_mov_b32 v129, v9
	ds_store_2addr_b64 v116, v[112:113], v[120:121] offset0:42 offset1:43
	ds_store_2addr_b64 v116, v[122:123], v[124:125] offset0:44 offset1:45
	v_dual_mov_b32 v120, 25 :: v_dual_mov_b32 v130, v6
	v_dual_mov_b32 v131, v7 :: v_dual_mov_b32 v132, v28
	;; [unrolled: 1-line block ×4, first 2 shown]
	v_mov_b32_e32 v137, v17
	ds_store_2addr_b64 v116, v[126:127], v[128:129] offset0:46 offset1:47
	ds_store_2addr_b64 v116, v[130:131], v[132:133] offset0:48 offset1:49
	;; [unrolled: 1-line block ×3, first 2 shown]
	ds_store_b64 v116, v[110:111] offset:416
.LBB104_543:
	s_or_b32 exec_lo, exec_lo, s0
	s_delay_alu instid0(SALU_CYCLE_1)
	s_mov_b32 s0, exec_lo
	s_wait_storecnt_dscnt 0x0
	s_barrier_signal -1
	s_barrier_wait -1
	v_cmpx_lt_i32_e32 25, v120
	s_cbranch_execz .LBB104_545
; %bb.544:
	v_pk_mul_f32 v[122:123], v[114:115], v[64:65] op_sel:[1,1] op_sel_hi:[0,1]
	s_delay_alu instid0(VALU_DEP_1)
	v_pk_fma_f32 v[112:113], v[114:115], v[64:65], v[122:123] op_sel_hi:[1,0,1] neg_lo:[0,0,1] neg_hi:[0,0,1]
	v_pk_fma_f32 v[114:115], v[114:115], v[64:65], v[122:123] op_sel_hi:[1,0,1]
	ds_load_2addr_b64 v[122:125], v116 offset0:26 offset1:27
	v_dual_mov_b32 v64, v112 :: v_dual_mov_b32 v65, v115
	s_wait_dscnt 0x0
	v_pk_mul_f32 v[126:127], v[122:123], v[114:115] op_sel:[0,1]
	s_delay_alu instid0(VALU_DEP_1) | instskip(SKIP_1) | instid1(VALU_DEP_1)
	v_pk_fma_f32 v[128:129], v[122:123], v[112:113], v[126:127] op_sel:[0,0,1] op_sel_hi:[1,1,0] neg_lo:[0,0,1] neg_hi:[0,0,1]
	v_pk_fma_f32 v[122:123], v[122:123], v[112:113], v[126:127] op_sel:[0,0,1] op_sel_hi:[1,0,0]
	v_mov_b32_e32 v129, v123
	v_pk_mul_f32 v[122:123], v[124:125], v[114:115] op_sel:[0,1]
	s_delay_alu instid0(VALU_DEP_1) | instskip(SKIP_1) | instid1(VALU_DEP_1)
	v_pk_fma_f32 v[126:127], v[124:125], v[112:113], v[122:123] op_sel:[0,0,1] op_sel_hi:[1,1,0] neg_lo:[0,0,1] neg_hi:[0,0,1]
	v_pk_fma_f32 v[122:123], v[124:125], v[112:113], v[122:123] op_sel:[0,0,1] op_sel_hi:[1,0,0]
	v_mov_b32_e32 v127, v123
	ds_load_2addr_b64 v[122:125], v116 offset0:28 offset1:29
	v_pk_add_f32 v[66:67], v[66:67], v[128:129] neg_lo:[0,1] neg_hi:[0,1]
	v_pk_add_f32 v[62:63], v[62:63], v[126:127] neg_lo:[0,1] neg_hi:[0,1]
	s_wait_dscnt 0x0
	v_pk_mul_f32 v[126:127], v[122:123], v[114:115] op_sel:[0,1]
	s_delay_alu instid0(VALU_DEP_1) | instskip(SKIP_2) | instid1(VALU_DEP_2)
	v_pk_fma_f32 v[128:129], v[122:123], v[112:113], v[126:127] op_sel:[0,0,1] op_sel_hi:[1,1,0] neg_lo:[0,0,1] neg_hi:[0,0,1]
	v_pk_fma_f32 v[122:123], v[122:123], v[112:113], v[126:127] op_sel:[0,0,1] op_sel_hi:[1,0,0]
	v_dual_mul_f32 v126, v125, v115 :: v_dual_mov_b32 v122, v125
	v_dual_mov_b32 v129, v123 :: v_dual_mov_b32 v123, v124
	s_delay_alu instid0(VALU_DEP_2) | instskip(SKIP_1) | instid1(VALU_DEP_3)
	v_pk_fma_f32 v[126:127], v[124:125], v[64:65], v[126:127] op_sel_hi:[1,1,0] neg_lo:[0,0,1] neg_hi:[0,0,1]
	v_mul_f32_e32 v124, v125, v112
	v_pk_add_f32 v[52:53], v[52:53], v[128:129] neg_lo:[0,1] neg_hi:[0,1]
	s_delay_alu instid0(VALU_DEP_2) | instskip(NEXT) | instid1(VALU_DEP_1)
	v_pk_fma_f32 v[122:123], v[122:123], v[64:65], v[124:125] op_sel_hi:[1,1,0]
	v_mov_b32_e32 v127, v123
	ds_load_2addr_b64 v[122:125], v116 offset0:30 offset1:31
	v_pk_add_f32 v[48:49], v[48:49], v[126:127] neg_lo:[0,1] neg_hi:[0,1]
	s_wait_dscnt 0x0
	v_pk_mul_f32 v[126:127], v[122:123], v[114:115] op_sel:[0,1]
	s_delay_alu instid0(VALU_DEP_1) | instskip(SKIP_1) | instid1(VALU_DEP_1)
	v_pk_fma_f32 v[128:129], v[122:123], v[112:113], v[126:127] op_sel:[0,0,1] op_sel_hi:[1,1,0] neg_lo:[0,0,1] neg_hi:[0,0,1]
	v_pk_fma_f32 v[122:123], v[122:123], v[112:113], v[126:127] op_sel:[0,0,1] op_sel_hi:[1,0,0]
	v_mov_b32_e32 v129, v123
	v_pk_mul_f32 v[122:123], v[124:125], v[114:115] op_sel:[0,1]
	s_delay_alu instid0(VALU_DEP_1) | instskip(SKIP_1) | instid1(VALU_DEP_1)
	v_pk_fma_f32 v[126:127], v[124:125], v[112:113], v[122:123] op_sel:[0,0,1] op_sel_hi:[1,1,0] neg_lo:[0,0,1] neg_hi:[0,0,1]
	v_pk_fma_f32 v[122:123], v[124:125], v[112:113], v[122:123] op_sel:[0,0,1] op_sel_hi:[1,0,0]
	v_mov_b32_e32 v127, v123
	ds_load_2addr_b64 v[122:125], v116 offset0:32 offset1:33
	v_pk_add_f32 v[50:51], v[50:51], v[128:129] neg_lo:[0,1] neg_hi:[0,1]
	v_pk_add_f32 v[46:47], v[46:47], v[126:127] neg_lo:[0,1] neg_hi:[0,1]
	s_wait_dscnt 0x0
	v_pk_mul_f32 v[126:127], v[122:123], v[114:115] op_sel:[0,1]
	s_delay_alu instid0(VALU_DEP_1) | instskip(SKIP_1) | instid1(VALU_DEP_1)
	v_pk_fma_f32 v[128:129], v[122:123], v[112:113], v[126:127] op_sel:[0,0,1] op_sel_hi:[1,1,0] neg_lo:[0,0,1] neg_hi:[0,0,1]
	v_pk_fma_f32 v[122:123], v[122:123], v[112:113], v[126:127] op_sel:[0,0,1] op_sel_hi:[1,0,0]
	v_mov_b32_e32 v129, v123
	v_pk_mul_f32 v[122:123], v[124:125], v[114:115] op_sel:[0,1]
	s_delay_alu instid0(VALU_DEP_1) | instskip(SKIP_1) | instid1(VALU_DEP_1)
	v_pk_fma_f32 v[126:127], v[124:125], v[112:113], v[122:123] op_sel:[0,0,1] op_sel_hi:[1,1,0] neg_lo:[0,0,1] neg_hi:[0,0,1]
	v_pk_fma_f32 v[122:123], v[124:125], v[112:113], v[122:123] op_sel:[0,0,1] op_sel_hi:[1,0,0]
	v_mov_b32_e32 v127, v123
	ds_load_2addr_b64 v[122:125], v116 offset0:34 offset1:35
	v_pk_add_f32 v[44:45], v[44:45], v[128:129] neg_lo:[0,1] neg_hi:[0,1]
	v_pk_add_f32 v[40:41], v[40:41], v[126:127] neg_lo:[0,1] neg_hi:[0,1]
	s_wait_dscnt 0x0
	v_dual_mul_f32 v126, v123, v115 :: v_dual_mul_f32 v128, v123, v112
	s_delay_alu instid0(VALU_DEP_1) | instskip(NEXT) | instid1(VALU_DEP_2)
	v_pk_fma_f32 v[126:127], v[122:123], v[64:65], v[126:127] op_sel_hi:[1,1,0] neg_lo:[0,0,1] neg_hi:[0,0,1]
	v_pk_fma_f32 v[122:123], v[122:123], v[64:65], v[128:129] op_sel:[1,0,0] op_sel_hi:[0,1,0]
	s_delay_alu instid0(VALU_DEP_1) | instskip(SKIP_1) | instid1(VALU_DEP_2)
	v_mov_b32_e32 v127, v123
	v_pk_mul_f32 v[122:123], v[124:125], v[114:115] op_sel:[0,1]
	v_pk_add_f32 v[42:43], v[42:43], v[126:127] neg_lo:[0,1] neg_hi:[0,1]
	s_delay_alu instid0(VALU_DEP_2) | instskip(SKIP_1) | instid1(VALU_DEP_1)
	v_pk_fma_f32 v[126:127], v[124:125], v[112:113], v[122:123] op_sel:[0,0,1] op_sel_hi:[1,1,0] neg_lo:[0,0,1] neg_hi:[0,0,1]
	v_pk_fma_f32 v[122:123], v[124:125], v[112:113], v[122:123] op_sel:[0,0,1] op_sel_hi:[1,0,0]
	v_mov_b32_e32 v127, v123
	ds_load_2addr_b64 v[122:125], v116 offset0:36 offset1:37
	v_pk_add_f32 v[38:39], v[38:39], v[126:127] neg_lo:[0,1] neg_hi:[0,1]
	s_wait_dscnt 0x0
	v_pk_mul_f32 v[126:127], v[122:123], v[114:115] op_sel:[0,1]
	s_delay_alu instid0(VALU_DEP_1) | instskip(SKIP_1) | instid1(VALU_DEP_1)
	v_pk_fma_f32 v[128:129], v[122:123], v[112:113], v[126:127] op_sel:[0,0,1] op_sel_hi:[1,1,0] neg_lo:[0,0,1] neg_hi:[0,0,1]
	v_pk_fma_f32 v[122:123], v[122:123], v[112:113], v[126:127] op_sel:[0,0,1] op_sel_hi:[1,0,0]
	v_mov_b32_e32 v129, v123
	v_pk_mul_f32 v[122:123], v[124:125], v[114:115] op_sel:[0,1]
	s_delay_alu instid0(VALU_DEP_2) | instskip(NEXT) | instid1(VALU_DEP_2)
	v_pk_add_f32 v[36:37], v[36:37], v[128:129] neg_lo:[0,1] neg_hi:[0,1]
	v_pk_fma_f32 v[126:127], v[124:125], v[112:113], v[122:123] op_sel:[0,0,1] op_sel_hi:[1,1,0] neg_lo:[0,0,1] neg_hi:[0,0,1]
	v_pk_fma_f32 v[122:123], v[124:125], v[112:113], v[122:123] op_sel:[0,0,1] op_sel_hi:[1,0,0]
	s_delay_alu instid0(VALU_DEP_1) | instskip(SKIP_4) | instid1(VALU_DEP_1)
	v_mov_b32_e32 v127, v123
	ds_load_2addr_b64 v[122:125], v116 offset0:38 offset1:39
	v_pk_add_f32 v[32:33], v[32:33], v[126:127] neg_lo:[0,1] neg_hi:[0,1]
	s_wait_dscnt 0x0
	v_pk_mul_f32 v[126:127], v[122:123], v[114:115] op_sel:[0,1]
	v_pk_fma_f32 v[128:129], v[122:123], v[112:113], v[126:127] op_sel:[0,0,1] op_sel_hi:[1,1,0] neg_lo:[0,0,1] neg_hi:[0,0,1]
	v_pk_fma_f32 v[122:123], v[122:123], v[112:113], v[126:127] op_sel:[0,0,1] op_sel_hi:[1,0,0]
	v_dual_mul_f32 v126, v125, v115 :: v_dual_mov_b32 v122, v125
	s_delay_alu instid0(VALU_DEP_2) | instskip(NEXT) | instid1(VALU_DEP_2)
	v_dual_mov_b32 v129, v123 :: v_dual_mov_b32 v123, v124
	v_pk_fma_f32 v[126:127], v[124:125], v[64:65], v[126:127] op_sel_hi:[1,1,0] neg_lo:[0,0,1] neg_hi:[0,0,1]
	v_mul_f32_e32 v124, v125, v112
	s_delay_alu instid0(VALU_DEP_3) | instskip(NEXT) | instid1(VALU_DEP_2)
	v_pk_add_f32 v[34:35], v[34:35], v[128:129] neg_lo:[0,1] neg_hi:[0,1]
	v_pk_fma_f32 v[122:123], v[122:123], v[64:65], v[124:125] op_sel_hi:[1,1,0]
	s_delay_alu instid0(VALU_DEP_1) | instskip(SKIP_4) | instid1(VALU_DEP_1)
	v_mov_b32_e32 v127, v123
	ds_load_2addr_b64 v[122:125], v116 offset0:40 offset1:41
	v_pk_add_f32 v[30:31], v[30:31], v[126:127] neg_lo:[0,1] neg_hi:[0,1]
	s_wait_dscnt 0x0
	v_pk_mul_f32 v[126:127], v[122:123], v[114:115] op_sel:[0,1]
	v_pk_fma_f32 v[128:129], v[122:123], v[112:113], v[126:127] op_sel:[0,0,1] op_sel_hi:[1,1,0] neg_lo:[0,0,1] neg_hi:[0,0,1]
	v_pk_fma_f32 v[122:123], v[122:123], v[112:113], v[126:127] op_sel:[0,0,1] op_sel_hi:[1,0,0]
	s_delay_alu instid0(VALU_DEP_1) | instskip(SKIP_1) | instid1(VALU_DEP_1)
	v_mov_b32_e32 v129, v123
	v_pk_mul_f32 v[122:123], v[124:125], v[114:115] op_sel:[0,1]
	v_pk_fma_f32 v[126:127], v[124:125], v[112:113], v[122:123] op_sel:[0,0,1] op_sel_hi:[1,1,0] neg_lo:[0,0,1] neg_hi:[0,0,1]
	v_pk_fma_f32 v[122:123], v[124:125], v[112:113], v[122:123] op_sel:[0,0,1] op_sel_hi:[1,0,0]
	s_delay_alu instid0(VALU_DEP_1)
	v_mov_b32_e32 v127, v123
	ds_load_2addr_b64 v[122:125], v116 offset0:42 offset1:43
	v_pk_add_f32 v[26:27], v[26:27], v[128:129] neg_lo:[0,1] neg_hi:[0,1]
	v_pk_add_f32 v[22:23], v[22:23], v[126:127] neg_lo:[0,1] neg_hi:[0,1]
	s_wait_dscnt 0x0
	v_pk_mul_f32 v[126:127], v[122:123], v[114:115] op_sel:[0,1]
	s_delay_alu instid0(VALU_DEP_1) | instskip(SKIP_1) | instid1(VALU_DEP_1)
	v_pk_fma_f32 v[128:129], v[122:123], v[112:113], v[126:127] op_sel:[0,0,1] op_sel_hi:[1,1,0] neg_lo:[0,0,1] neg_hi:[0,0,1]
	v_pk_fma_f32 v[122:123], v[122:123], v[112:113], v[126:127] op_sel:[0,0,1] op_sel_hi:[1,0,0]
	v_mov_b32_e32 v129, v123
	v_pk_mul_f32 v[122:123], v[124:125], v[114:115] op_sel:[0,1]
	s_delay_alu instid0(VALU_DEP_1) | instskip(SKIP_1) | instid1(VALU_DEP_1)
	v_pk_fma_f32 v[126:127], v[124:125], v[112:113], v[122:123] op_sel:[0,0,1] op_sel_hi:[1,1,0] neg_lo:[0,0,1] neg_hi:[0,0,1]
	v_pk_fma_f32 v[122:123], v[124:125], v[112:113], v[122:123] op_sel:[0,0,1] op_sel_hi:[1,0,0]
	v_mov_b32_e32 v127, v123
	ds_load_2addr_b64 v[122:125], v116 offset0:44 offset1:45
	v_pk_add_f32 v[24:25], v[24:25], v[128:129] neg_lo:[0,1] neg_hi:[0,1]
	v_pk_add_f32 v[20:21], v[20:21], v[126:127] neg_lo:[0,1] neg_hi:[0,1]
	s_wait_dscnt 0x0
	v_dual_mul_f32 v126, v123, v115 :: v_dual_mul_f32 v128, v123, v112
	s_delay_alu instid0(VALU_DEP_1) | instskip(NEXT) | instid1(VALU_DEP_2)
	v_pk_fma_f32 v[126:127], v[122:123], v[64:65], v[126:127] op_sel_hi:[1,1,0] neg_lo:[0,0,1] neg_hi:[0,0,1]
	v_pk_fma_f32 v[122:123], v[122:123], v[64:65], v[128:129] op_sel:[1,0,0] op_sel_hi:[0,1,0]
	s_delay_alu instid0(VALU_DEP_1) | instskip(SKIP_1) | instid1(VALU_DEP_2)
	v_mov_b32_e32 v127, v123
	v_pk_mul_f32 v[122:123], v[124:125], v[114:115] op_sel:[0,1]
	v_pk_add_f32 v[14:15], v[14:15], v[126:127] neg_lo:[0,1] neg_hi:[0,1]
	s_delay_alu instid0(VALU_DEP_2) | instskip(SKIP_1) | instid1(VALU_DEP_1)
	v_pk_fma_f32 v[126:127], v[124:125], v[112:113], v[122:123] op_sel:[0,0,1] op_sel_hi:[1,1,0] neg_lo:[0,0,1] neg_hi:[0,0,1]
	v_pk_fma_f32 v[122:123], v[124:125], v[112:113], v[122:123] op_sel:[0,0,1] op_sel_hi:[1,0,0]
	v_mov_b32_e32 v127, v123
	ds_load_2addr_b64 v[122:125], v116 offset0:46 offset1:47
	v_pk_add_f32 v[10:11], v[10:11], v[126:127] neg_lo:[0,1] neg_hi:[0,1]
	s_wait_dscnt 0x0
	v_pk_mul_f32 v[126:127], v[122:123], v[114:115] op_sel:[0,1]
	s_delay_alu instid0(VALU_DEP_1) | instskip(SKIP_1) | instid1(VALU_DEP_1)
	v_pk_fma_f32 v[128:129], v[122:123], v[112:113], v[126:127] op_sel:[0,0,1] op_sel_hi:[1,1,0] neg_lo:[0,0,1] neg_hi:[0,0,1]
	v_pk_fma_f32 v[122:123], v[122:123], v[112:113], v[126:127] op_sel:[0,0,1] op_sel_hi:[1,0,0]
	v_mov_b32_e32 v129, v123
	v_pk_mul_f32 v[122:123], v[124:125], v[114:115] op_sel:[0,1]
	s_delay_alu instid0(VALU_DEP_2) | instskip(NEXT) | instid1(VALU_DEP_2)
	v_pk_add_f32 v[12:13], v[12:13], v[128:129] neg_lo:[0,1] neg_hi:[0,1]
	v_pk_fma_f32 v[126:127], v[124:125], v[112:113], v[122:123] op_sel:[0,0,1] op_sel_hi:[1,1,0] neg_lo:[0,0,1] neg_hi:[0,0,1]
	v_pk_fma_f32 v[122:123], v[124:125], v[112:113], v[122:123] op_sel:[0,0,1] op_sel_hi:[1,0,0]
	s_delay_alu instid0(VALU_DEP_1) | instskip(SKIP_4) | instid1(VALU_DEP_1)
	v_mov_b32_e32 v127, v123
	ds_load_2addr_b64 v[122:125], v116 offset0:48 offset1:49
	v_pk_add_f32 v[8:9], v[8:9], v[126:127] neg_lo:[0,1] neg_hi:[0,1]
	s_wait_dscnt 0x0
	v_pk_mul_f32 v[126:127], v[122:123], v[114:115] op_sel:[0,1]
	v_pk_fma_f32 v[128:129], v[122:123], v[112:113], v[126:127] op_sel:[0,0,1] op_sel_hi:[1,1,0] neg_lo:[0,0,1] neg_hi:[0,0,1]
	v_pk_fma_f32 v[122:123], v[122:123], v[112:113], v[126:127] op_sel:[0,0,1] op_sel_hi:[1,0,0]
	v_dual_mul_f32 v126, v125, v115 :: v_dual_mov_b32 v122, v125
	s_delay_alu instid0(VALU_DEP_2) | instskip(NEXT) | instid1(VALU_DEP_2)
	v_dual_mov_b32 v129, v123 :: v_dual_mov_b32 v123, v124
	v_pk_fma_f32 v[126:127], v[124:125], v[64:65], v[126:127] op_sel_hi:[1,1,0] neg_lo:[0,0,1] neg_hi:[0,0,1]
	v_mul_f32_e32 v124, v125, v112
	s_delay_alu instid0(VALU_DEP_3) | instskip(NEXT) | instid1(VALU_DEP_2)
	v_pk_add_f32 v[6:7], v[6:7], v[128:129] neg_lo:[0,1] neg_hi:[0,1]
	v_pk_fma_f32 v[122:123], v[122:123], v[64:65], v[124:125] op_sel_hi:[1,1,0]
	s_delay_alu instid0(VALU_DEP_1) | instskip(SKIP_4) | instid1(VALU_DEP_1)
	v_mov_b32_e32 v127, v123
	ds_load_2addr_b64 v[122:125], v116 offset0:50 offset1:51
	v_pk_add_f32 v[28:29], v[28:29], v[126:127] neg_lo:[0,1] neg_hi:[0,1]
	s_wait_dscnt 0x0
	v_pk_mul_f32 v[126:127], v[122:123], v[114:115] op_sel:[0,1]
	v_pk_fma_f32 v[128:129], v[122:123], v[112:113], v[126:127] op_sel:[0,0,1] op_sel_hi:[1,1,0] neg_lo:[0,0,1] neg_hi:[0,0,1]
	v_pk_fma_f32 v[122:123], v[122:123], v[112:113], v[126:127] op_sel:[0,0,1] op_sel_hi:[1,0,0]
	s_delay_alu instid0(VALU_DEP_1) | instskip(SKIP_1) | instid1(VALU_DEP_1)
	v_mov_b32_e32 v129, v123
	v_pk_mul_f32 v[122:123], v[124:125], v[114:115] op_sel:[0,1]
	v_pk_fma_f32 v[126:127], v[124:125], v[112:113], v[122:123] op_sel:[0,0,1] op_sel_hi:[1,1,0] neg_lo:[0,0,1] neg_hi:[0,0,1]
	v_pk_fma_f32 v[122:123], v[124:125], v[112:113], v[122:123] op_sel:[0,0,1] op_sel_hi:[1,0,0]
	s_delay_alu instid0(VALU_DEP_1)
	v_mov_b32_e32 v127, v123
	ds_load_b64 v[122:123], v116 offset:416
	v_pk_add_f32 v[18:19], v[18:19], v[128:129] neg_lo:[0,1] neg_hi:[0,1]
	v_pk_add_f32 v[16:17], v[16:17], v[126:127] neg_lo:[0,1] neg_hi:[0,1]
	s_wait_dscnt 0x0
	v_pk_mul_f32 v[114:115], v[122:123], v[114:115] op_sel:[0,1]
	s_delay_alu instid0(VALU_DEP_1) | instskip(SKIP_1) | instid1(VALU_DEP_1)
	v_pk_fma_f32 v[124:125], v[122:123], v[112:113], v[114:115] op_sel:[0,0,1] op_sel_hi:[1,1,0] neg_lo:[0,0,1] neg_hi:[0,0,1]
	v_pk_fma_f32 v[112:113], v[122:123], v[112:113], v[114:115] op_sel:[0,0,1] op_sel_hi:[1,0,0]
	v_mov_b32_e32 v125, v113
	s_delay_alu instid0(VALU_DEP_1)
	v_pk_add_f32 v[110:111], v[110:111], v[124:125] neg_lo:[0,1] neg_hi:[0,1]
.LBB104_545:
	s_or_b32 exec_lo, exec_lo, s0
	v_lshl_add_u32 v112, v120, 3, v116
	s_barrier_signal -1
	s_barrier_wait -1
	ds_store_b64 v112, v[66:67]
	s_wait_dscnt 0x0
	s_barrier_signal -1
	s_barrier_wait -1
	ds_load_b64 v[114:115], v116 offset:208
	v_mov_b32_e32 v112, 26
	s_cmp_lt_i32 s18, 28
	s_cbranch_scc1 .LBB104_548
; %bb.546:
	v_add3_u32 v113, v117, 0, 0xd8
	v_mov_b32_e32 v112, 26
	s_mov_b32 s0, 27
.LBB104_547:                            ; =>This Inner Loop Header: Depth=1
	ds_load_b64 v[122:123], v113
	s_wait_dscnt 0x1
	v_cmp_gt_f32_e32 vcc_lo, 0, v114
	v_cndmask_b32_e64 v124, v114, -v114, vcc_lo
	v_cmp_gt_f32_e32 vcc_lo, 0, v115
	v_cndmask_b32_e64 v126, v115, -v115, vcc_lo
	s_wait_dscnt 0x0
	v_cmp_gt_f32_e32 vcc_lo, 0, v122
	v_cndmask_b32_e64 v125, v122, -v122, vcc_lo
	v_cmp_gt_f32_e32 vcc_lo, 0, v123
	v_cndmask_b32_e64 v127, v123, -v123, vcc_lo
	s_delay_alu instid0(VALU_DEP_1) | instskip(NEXT) | instid1(VALU_DEP_1)
	v_pk_add_f32 v[124:125], v[124:125], v[126:127]
	v_cmp_lt_f32_e32 vcc_lo, v124, v125
	v_dual_add_nc_u32 v113, 8, v113 :: v_dual_cndmask_b32 v115, v115, v123, vcc_lo
	v_cndmask_b32_e32 v114, v114, v122, vcc_lo
	v_cndmask_b32_e64 v112, v112, s0, vcc_lo
	s_add_co_i32 s0, s0, 1
	s_delay_alu instid0(SALU_CYCLE_1)
	s_cmp_lg_u32 s18, s0
	s_cbranch_scc1 .LBB104_547
.LBB104_548:
	s_wait_dscnt 0x0
	v_cmp_eq_f32_e32 vcc_lo, 0, v114
	v_cmp_eq_f32_e64 s0, 0, v115
	s_and_b32 s0, vcc_lo, s0
	s_delay_alu instid0(SALU_CYCLE_1) | instskip(NEXT) | instid1(SALU_CYCLE_1)
	s_and_saveexec_b32 s1, s0
	s_xor_b32 s0, exec_lo, s1
; %bb.549:
	v_cmp_ne_u32_e32 vcc_lo, 0, v118
	v_cndmask_b32_e32 v118, 27, v118, vcc_lo
; %bb.550:
	s_and_not1_saveexec_b32 s0, s0
	s_cbranch_execz .LBB104_556
; %bb.551:
	v_cmp_ngt_f32_e64 s1, |v114|, |v115|
	s_and_saveexec_b32 s12, s1
	s_delay_alu instid0(SALU_CYCLE_1)
	s_xor_b32 s1, exec_lo, s12
	s_cbranch_execz .LBB104_553
; %bb.552:
	v_div_scale_f32 v113, null, v115, v115, v114
	v_div_scale_f32 v123, vcc_lo, v114, v115, v114
	s_delay_alu instid0(VALU_DEP_2) | instskip(SKIP_1) | instid1(TRANS32_DEP_1)
	v_rcp_f32_e32 v121, v113
	v_nop
	v_fma_f32 v122, -v113, v121, 1.0
	s_delay_alu instid0(VALU_DEP_1) | instskip(NEXT) | instid1(VALU_DEP_1)
	v_fmac_f32_e32 v121, v122, v121
	v_mul_f32_e32 v122, v123, v121
	s_delay_alu instid0(VALU_DEP_1) | instskip(NEXT) | instid1(VALU_DEP_1)
	v_fma_f32 v124, -v113, v122, v123
	v_fmac_f32_e32 v122, v124, v121
	s_delay_alu instid0(VALU_DEP_1) | instskip(NEXT) | instid1(VALU_DEP_1)
	v_fma_f32 v113, -v113, v122, v123
	v_div_fmas_f32 v113, v113, v121, v122
	s_delay_alu instid0(VALU_DEP_1) | instskip(NEXT) | instid1(VALU_DEP_1)
	v_div_fixup_f32 v113, v113, v115, v114
	v_fmac_f32_e32 v115, v114, v113
	s_delay_alu instid0(VALU_DEP_1) | instskip(SKIP_1) | instid1(VALU_DEP_2)
	v_div_scale_f32 v114, null, v115, v115, 1.0
	v_div_scale_f32 v123, vcc_lo, 1.0, v115, 1.0
	v_rcp_f32_e32 v121, v114
	v_nop
	s_delay_alu instid0(TRANS32_DEP_1) | instskip(NEXT) | instid1(VALU_DEP_1)
	v_fma_f32 v122, -v114, v121, 1.0
	v_fmac_f32_e32 v121, v122, v121
	s_delay_alu instid0(VALU_DEP_1) | instskip(NEXT) | instid1(VALU_DEP_1)
	v_mul_f32_e32 v122, v123, v121
	v_fma_f32 v124, -v114, v122, v123
	s_delay_alu instid0(VALU_DEP_1) | instskip(NEXT) | instid1(VALU_DEP_1)
	v_fmac_f32_e32 v122, v124, v121
	v_fma_f32 v114, -v114, v122, v123
	s_delay_alu instid0(VALU_DEP_1) | instskip(NEXT) | instid1(VALU_DEP_1)
	v_div_fmas_f32 v114, v114, v121, v122
	v_div_fixup_f32 v115, v114, v115, 1.0
	s_delay_alu instid0(VALU_DEP_1)
	v_mul_f32_e32 v114, v113, v115
	v_xor_b32_e32 v115, 0x80000000, v115
.LBB104_553:
	s_and_not1_saveexec_b32 s1, s1
	s_cbranch_execz .LBB104_555
; %bb.554:
	s_delay_alu instid0(VALU_DEP_1) | instskip(SKIP_1) | instid1(VALU_DEP_2)
	v_div_scale_f32 v113, null, v114, v114, v115
	v_div_scale_f32 v123, vcc_lo, v115, v114, v115
	v_rcp_f32_e32 v121, v113
	v_nop
	s_delay_alu instid0(TRANS32_DEP_1) | instskip(NEXT) | instid1(VALU_DEP_1)
	v_fma_f32 v122, -v113, v121, 1.0
	v_fmac_f32_e32 v121, v122, v121
	s_delay_alu instid0(VALU_DEP_1) | instskip(NEXT) | instid1(VALU_DEP_1)
	v_mul_f32_e32 v122, v123, v121
	v_fma_f32 v124, -v113, v122, v123
	s_delay_alu instid0(VALU_DEP_1) | instskip(NEXT) | instid1(VALU_DEP_1)
	v_fmac_f32_e32 v122, v124, v121
	v_fma_f32 v113, -v113, v122, v123
	s_delay_alu instid0(VALU_DEP_1) | instskip(NEXT) | instid1(VALU_DEP_1)
	v_div_fmas_f32 v113, v113, v121, v122
	v_div_fixup_f32 v113, v113, v114, v115
	s_delay_alu instid0(VALU_DEP_1) | instskip(NEXT) | instid1(VALU_DEP_1)
	v_fmac_f32_e32 v114, v115, v113
	v_div_scale_f32 v115, null, v114, v114, 1.0
	s_delay_alu instid0(VALU_DEP_1) | instskip(SKIP_1) | instid1(TRANS32_DEP_1)
	v_rcp_f32_e32 v121, v115
	v_nop
	v_fma_f32 v122, -v115, v121, 1.0
	s_delay_alu instid0(VALU_DEP_1) | instskip(SKIP_1) | instid1(VALU_DEP_1)
	v_fmac_f32_e32 v121, v122, v121
	v_div_scale_f32 v122, vcc_lo, 1.0, v114, 1.0
	v_mul_f32_e32 v123, v122, v121
	s_delay_alu instid0(VALU_DEP_1) | instskip(NEXT) | instid1(VALU_DEP_1)
	v_fma_f32 v124, -v115, v123, v122
	v_fmac_f32_e32 v123, v124, v121
	s_delay_alu instid0(VALU_DEP_1) | instskip(NEXT) | instid1(VALU_DEP_1)
	v_fma_f32 v115, -v115, v123, v122
	v_div_fmas_f32 v115, v115, v121, v123
	s_delay_alu instid0(VALU_DEP_1) | instskip(NEXT) | instid1(VALU_DEP_1)
	v_div_fixup_f32 v114, v115, v114, 1.0
	v_mul_f32_e64 v115, v113, -v114
.LBB104_555:
	s_or_b32 exec_lo, exec_lo, s1
.LBB104_556:
	s_delay_alu instid0(SALU_CYCLE_1) | instskip(NEXT) | instid1(SALU_CYCLE_1)
	s_or_b32 exec_lo, exec_lo, s0
	s_mov_b32 s0, exec_lo
	v_cmpx_ne_u32_e64 v120, v112
	s_xor_b32 s0, exec_lo, s0
	s_cbranch_execz .LBB104_562
; %bb.557:
	s_mov_b32 s1, exec_lo
	v_cmpx_eq_u32_e32 26, v120
	s_cbranch_execz .LBB104_561
; %bb.558:
	v_cmp_ne_u32_e32 vcc_lo, 26, v112
	s_xor_b32 s12, s16, -1
	s_delay_alu instid0(SALU_CYCLE_1) | instskip(NEXT) | instid1(SALU_CYCLE_1)
	s_and_b32 s13, s12, vcc_lo
	s_and_saveexec_b32 s12, s13
	s_cbranch_execz .LBB104_560
; %bb.559:
	v_ashrrev_i32_e32 v113, 31, v112
	s_delay_alu instid0(VALU_DEP_1)
	v_lshl_add_u64 v[120:121], v[112:113], 2, v[4:5]
	s_clause 0x1
	global_load_b32 v113, v[120:121], off
	global_load_b32 v119, v[4:5], off offset:104
	s_wait_loadcnt 0x1
	global_store_b32 v[4:5], v113, off offset:104
	s_wait_loadcnt 0x0
	global_store_b32 v[120:121], v119, off
.LBB104_560:
	s_wait_xcnt 0x0
	s_or_b32 exec_lo, exec_lo, s12
	v_dual_mov_b32 v120, v112 :: v_dual_mov_b32 v119, v112
.LBB104_561:
	s_or_b32 exec_lo, exec_lo, s1
.LBB104_562:
	s_and_not1_saveexec_b32 s0, s0
	s_cbranch_execz .LBB104_564
; %bb.563:
	v_mov_b32_e32 v120, 26
	ds_store_2addr_b64 v116, v[62:63], v[52:53] offset0:27 offset1:28
	ds_store_2addr_b64 v116, v[48:49], v[50:51] offset0:29 offset1:30
	;; [unrolled: 1-line block ×13, first 2 shown]
.LBB104_564:
	s_or_b32 exec_lo, exec_lo, s0
	s_delay_alu instid0(SALU_CYCLE_1)
	s_mov_b32 s0, exec_lo
	s_wait_storecnt_dscnt 0x0
	s_barrier_signal -1
	s_barrier_wait -1
	v_cmpx_lt_i32_e32 26, v120
	s_cbranch_execz .LBB104_566
; %bb.565:
	v_pk_mul_f32 v[122:123], v[114:115], v[66:67] op_sel:[1,1] op_sel_hi:[0,1]
	s_delay_alu instid0(VALU_DEP_1)
	v_pk_fma_f32 v[112:113], v[114:115], v[66:67], v[122:123] op_sel_hi:[1,0,1] neg_lo:[0,0,1] neg_hi:[0,0,1]
	v_pk_fma_f32 v[114:115], v[114:115], v[66:67], v[122:123] op_sel_hi:[1,0,1]
	ds_load_2addr_b64 v[122:125], v116 offset0:27 offset1:28
	v_dual_mov_b32 v66, v112 :: v_dual_mov_b32 v67, v115
	s_wait_dscnt 0x0
	v_pk_mul_f32 v[126:127], v[122:123], v[114:115] op_sel:[0,1]
	s_delay_alu instid0(VALU_DEP_1) | instskip(SKIP_1) | instid1(VALU_DEP_1)
	v_pk_fma_f32 v[128:129], v[122:123], v[112:113], v[126:127] op_sel:[0,0,1] op_sel_hi:[1,1,0] neg_lo:[0,0,1] neg_hi:[0,0,1]
	v_pk_fma_f32 v[122:123], v[122:123], v[112:113], v[126:127] op_sel:[0,0,1] op_sel_hi:[1,0,0]
	v_mov_b32_e32 v129, v123
	v_pk_mul_f32 v[122:123], v[124:125], v[114:115] op_sel:[0,1]
	s_delay_alu instid0(VALU_DEP_1) | instskip(SKIP_1) | instid1(VALU_DEP_1)
	v_pk_fma_f32 v[126:127], v[124:125], v[112:113], v[122:123] op_sel:[0,0,1] op_sel_hi:[1,1,0] neg_lo:[0,0,1] neg_hi:[0,0,1]
	v_pk_fma_f32 v[122:123], v[124:125], v[112:113], v[122:123] op_sel:[0,0,1] op_sel_hi:[1,0,0]
	v_mov_b32_e32 v127, v123
	ds_load_2addr_b64 v[122:125], v116 offset0:29 offset1:30
	v_pk_add_f32 v[62:63], v[62:63], v[128:129] neg_lo:[0,1] neg_hi:[0,1]
	v_pk_add_f32 v[52:53], v[52:53], v[126:127] neg_lo:[0,1] neg_hi:[0,1]
	s_wait_dscnt 0x0
	v_pk_mul_f32 v[126:127], v[122:123], v[114:115] op_sel:[0,1]
	s_delay_alu instid0(VALU_DEP_1) | instskip(SKIP_2) | instid1(VALU_DEP_2)
	v_pk_fma_f32 v[128:129], v[122:123], v[112:113], v[126:127] op_sel:[0,0,1] op_sel_hi:[1,1,0] neg_lo:[0,0,1] neg_hi:[0,0,1]
	v_pk_fma_f32 v[122:123], v[122:123], v[112:113], v[126:127] op_sel:[0,0,1] op_sel_hi:[1,0,0]
	v_dual_mul_f32 v126, v125, v115 :: v_dual_mov_b32 v122, v125
	v_dual_mov_b32 v129, v123 :: v_dual_mov_b32 v123, v124
	s_delay_alu instid0(VALU_DEP_2) | instskip(SKIP_1) | instid1(VALU_DEP_3)
	v_pk_fma_f32 v[126:127], v[124:125], v[66:67], v[126:127] op_sel_hi:[1,1,0] neg_lo:[0,0,1] neg_hi:[0,0,1]
	v_mul_f32_e32 v124, v125, v112
	v_pk_add_f32 v[48:49], v[48:49], v[128:129] neg_lo:[0,1] neg_hi:[0,1]
	s_delay_alu instid0(VALU_DEP_2) | instskip(NEXT) | instid1(VALU_DEP_1)
	v_pk_fma_f32 v[122:123], v[122:123], v[66:67], v[124:125] op_sel_hi:[1,1,0]
	v_mov_b32_e32 v127, v123
	ds_load_2addr_b64 v[122:125], v116 offset0:31 offset1:32
	v_pk_add_f32 v[50:51], v[50:51], v[126:127] neg_lo:[0,1] neg_hi:[0,1]
	s_wait_dscnt 0x0
	v_pk_mul_f32 v[126:127], v[122:123], v[114:115] op_sel:[0,1]
	s_delay_alu instid0(VALU_DEP_1) | instskip(SKIP_1) | instid1(VALU_DEP_1)
	v_pk_fma_f32 v[128:129], v[122:123], v[112:113], v[126:127] op_sel:[0,0,1] op_sel_hi:[1,1,0] neg_lo:[0,0,1] neg_hi:[0,0,1]
	v_pk_fma_f32 v[122:123], v[122:123], v[112:113], v[126:127] op_sel:[0,0,1] op_sel_hi:[1,0,0]
	v_mov_b32_e32 v129, v123
	v_pk_mul_f32 v[122:123], v[124:125], v[114:115] op_sel:[0,1]
	s_delay_alu instid0(VALU_DEP_1) | instskip(SKIP_1) | instid1(VALU_DEP_1)
	v_pk_fma_f32 v[126:127], v[124:125], v[112:113], v[122:123] op_sel:[0,0,1] op_sel_hi:[1,1,0] neg_lo:[0,0,1] neg_hi:[0,0,1]
	v_pk_fma_f32 v[122:123], v[124:125], v[112:113], v[122:123] op_sel:[0,0,1] op_sel_hi:[1,0,0]
	v_mov_b32_e32 v127, v123
	ds_load_2addr_b64 v[122:125], v116 offset0:33 offset1:34
	v_pk_add_f32 v[46:47], v[46:47], v[128:129] neg_lo:[0,1] neg_hi:[0,1]
	v_pk_add_f32 v[44:45], v[44:45], v[126:127] neg_lo:[0,1] neg_hi:[0,1]
	s_wait_dscnt 0x0
	v_pk_mul_f32 v[126:127], v[122:123], v[114:115] op_sel:[0,1]
	s_delay_alu instid0(VALU_DEP_1) | instskip(SKIP_1) | instid1(VALU_DEP_1)
	v_pk_fma_f32 v[128:129], v[122:123], v[112:113], v[126:127] op_sel:[0,0,1] op_sel_hi:[1,1,0] neg_lo:[0,0,1] neg_hi:[0,0,1]
	v_pk_fma_f32 v[122:123], v[122:123], v[112:113], v[126:127] op_sel:[0,0,1] op_sel_hi:[1,0,0]
	v_mov_b32_e32 v129, v123
	v_pk_mul_f32 v[122:123], v[124:125], v[114:115] op_sel:[0,1]
	s_delay_alu instid0(VALU_DEP_1) | instskip(SKIP_1) | instid1(VALU_DEP_1)
	v_pk_fma_f32 v[126:127], v[124:125], v[112:113], v[122:123] op_sel:[0,0,1] op_sel_hi:[1,1,0] neg_lo:[0,0,1] neg_hi:[0,0,1]
	v_pk_fma_f32 v[122:123], v[124:125], v[112:113], v[122:123] op_sel:[0,0,1] op_sel_hi:[1,0,0]
	v_mov_b32_e32 v127, v123
	ds_load_2addr_b64 v[122:125], v116 offset0:35 offset1:36
	v_pk_add_f32 v[40:41], v[40:41], v[128:129] neg_lo:[0,1] neg_hi:[0,1]
	v_pk_add_f32 v[42:43], v[42:43], v[126:127] neg_lo:[0,1] neg_hi:[0,1]
	s_wait_dscnt 0x0
	v_dual_mul_f32 v126, v123, v115 :: v_dual_mul_f32 v128, v123, v112
	s_delay_alu instid0(VALU_DEP_1) | instskip(NEXT) | instid1(VALU_DEP_2)
	v_pk_fma_f32 v[126:127], v[122:123], v[66:67], v[126:127] op_sel_hi:[1,1,0] neg_lo:[0,0,1] neg_hi:[0,0,1]
	v_pk_fma_f32 v[122:123], v[122:123], v[66:67], v[128:129] op_sel:[1,0,0] op_sel_hi:[0,1,0]
	s_delay_alu instid0(VALU_DEP_1) | instskip(SKIP_1) | instid1(VALU_DEP_2)
	v_mov_b32_e32 v127, v123
	v_pk_mul_f32 v[122:123], v[124:125], v[114:115] op_sel:[0,1]
	v_pk_add_f32 v[38:39], v[38:39], v[126:127] neg_lo:[0,1] neg_hi:[0,1]
	s_delay_alu instid0(VALU_DEP_2) | instskip(SKIP_1) | instid1(VALU_DEP_1)
	v_pk_fma_f32 v[126:127], v[124:125], v[112:113], v[122:123] op_sel:[0,0,1] op_sel_hi:[1,1,0] neg_lo:[0,0,1] neg_hi:[0,0,1]
	v_pk_fma_f32 v[122:123], v[124:125], v[112:113], v[122:123] op_sel:[0,0,1] op_sel_hi:[1,0,0]
	v_mov_b32_e32 v127, v123
	ds_load_2addr_b64 v[122:125], v116 offset0:37 offset1:38
	v_pk_add_f32 v[36:37], v[36:37], v[126:127] neg_lo:[0,1] neg_hi:[0,1]
	s_wait_dscnt 0x0
	v_pk_mul_f32 v[126:127], v[122:123], v[114:115] op_sel:[0,1]
	s_delay_alu instid0(VALU_DEP_1) | instskip(SKIP_1) | instid1(VALU_DEP_1)
	v_pk_fma_f32 v[128:129], v[122:123], v[112:113], v[126:127] op_sel:[0,0,1] op_sel_hi:[1,1,0] neg_lo:[0,0,1] neg_hi:[0,0,1]
	v_pk_fma_f32 v[122:123], v[122:123], v[112:113], v[126:127] op_sel:[0,0,1] op_sel_hi:[1,0,0]
	v_mov_b32_e32 v129, v123
	v_pk_mul_f32 v[122:123], v[124:125], v[114:115] op_sel:[0,1]
	s_delay_alu instid0(VALU_DEP_2) | instskip(NEXT) | instid1(VALU_DEP_2)
	v_pk_add_f32 v[32:33], v[32:33], v[128:129] neg_lo:[0,1] neg_hi:[0,1]
	v_pk_fma_f32 v[126:127], v[124:125], v[112:113], v[122:123] op_sel:[0,0,1] op_sel_hi:[1,1,0] neg_lo:[0,0,1] neg_hi:[0,0,1]
	v_pk_fma_f32 v[122:123], v[124:125], v[112:113], v[122:123] op_sel:[0,0,1] op_sel_hi:[1,0,0]
	s_delay_alu instid0(VALU_DEP_1) | instskip(SKIP_4) | instid1(VALU_DEP_1)
	v_mov_b32_e32 v127, v123
	ds_load_2addr_b64 v[122:125], v116 offset0:39 offset1:40
	v_pk_add_f32 v[34:35], v[34:35], v[126:127] neg_lo:[0,1] neg_hi:[0,1]
	s_wait_dscnt 0x0
	v_pk_mul_f32 v[126:127], v[122:123], v[114:115] op_sel:[0,1]
	v_pk_fma_f32 v[128:129], v[122:123], v[112:113], v[126:127] op_sel:[0,0,1] op_sel_hi:[1,1,0] neg_lo:[0,0,1] neg_hi:[0,0,1]
	v_pk_fma_f32 v[122:123], v[122:123], v[112:113], v[126:127] op_sel:[0,0,1] op_sel_hi:[1,0,0]
	v_dual_mul_f32 v126, v125, v115 :: v_dual_mov_b32 v122, v125
	s_delay_alu instid0(VALU_DEP_2) | instskip(NEXT) | instid1(VALU_DEP_2)
	v_dual_mov_b32 v129, v123 :: v_dual_mov_b32 v123, v124
	v_pk_fma_f32 v[126:127], v[124:125], v[66:67], v[126:127] op_sel_hi:[1,1,0] neg_lo:[0,0,1] neg_hi:[0,0,1]
	v_mul_f32_e32 v124, v125, v112
	s_delay_alu instid0(VALU_DEP_3) | instskip(NEXT) | instid1(VALU_DEP_2)
	v_pk_add_f32 v[30:31], v[30:31], v[128:129] neg_lo:[0,1] neg_hi:[0,1]
	v_pk_fma_f32 v[122:123], v[122:123], v[66:67], v[124:125] op_sel_hi:[1,1,0]
	s_delay_alu instid0(VALU_DEP_1) | instskip(SKIP_4) | instid1(VALU_DEP_1)
	v_mov_b32_e32 v127, v123
	ds_load_2addr_b64 v[122:125], v116 offset0:41 offset1:42
	v_pk_add_f32 v[26:27], v[26:27], v[126:127] neg_lo:[0,1] neg_hi:[0,1]
	s_wait_dscnt 0x0
	v_pk_mul_f32 v[126:127], v[122:123], v[114:115] op_sel:[0,1]
	v_pk_fma_f32 v[128:129], v[122:123], v[112:113], v[126:127] op_sel:[0,0,1] op_sel_hi:[1,1,0] neg_lo:[0,0,1] neg_hi:[0,0,1]
	v_pk_fma_f32 v[122:123], v[122:123], v[112:113], v[126:127] op_sel:[0,0,1] op_sel_hi:[1,0,0]
	s_delay_alu instid0(VALU_DEP_1) | instskip(SKIP_1) | instid1(VALU_DEP_1)
	v_mov_b32_e32 v129, v123
	v_pk_mul_f32 v[122:123], v[124:125], v[114:115] op_sel:[0,1]
	v_pk_fma_f32 v[126:127], v[124:125], v[112:113], v[122:123] op_sel:[0,0,1] op_sel_hi:[1,1,0] neg_lo:[0,0,1] neg_hi:[0,0,1]
	v_pk_fma_f32 v[122:123], v[124:125], v[112:113], v[122:123] op_sel:[0,0,1] op_sel_hi:[1,0,0]
	s_delay_alu instid0(VALU_DEP_1)
	v_mov_b32_e32 v127, v123
	ds_load_2addr_b64 v[122:125], v116 offset0:43 offset1:44
	v_pk_add_f32 v[22:23], v[22:23], v[128:129] neg_lo:[0,1] neg_hi:[0,1]
	v_pk_add_f32 v[24:25], v[24:25], v[126:127] neg_lo:[0,1] neg_hi:[0,1]
	s_wait_dscnt 0x0
	v_pk_mul_f32 v[126:127], v[122:123], v[114:115] op_sel:[0,1]
	s_delay_alu instid0(VALU_DEP_1) | instskip(SKIP_1) | instid1(VALU_DEP_1)
	v_pk_fma_f32 v[128:129], v[122:123], v[112:113], v[126:127] op_sel:[0,0,1] op_sel_hi:[1,1,0] neg_lo:[0,0,1] neg_hi:[0,0,1]
	v_pk_fma_f32 v[122:123], v[122:123], v[112:113], v[126:127] op_sel:[0,0,1] op_sel_hi:[1,0,0]
	v_mov_b32_e32 v129, v123
	v_pk_mul_f32 v[122:123], v[124:125], v[114:115] op_sel:[0,1]
	s_delay_alu instid0(VALU_DEP_1) | instskip(SKIP_1) | instid1(VALU_DEP_1)
	v_pk_fma_f32 v[126:127], v[124:125], v[112:113], v[122:123] op_sel:[0,0,1] op_sel_hi:[1,1,0] neg_lo:[0,0,1] neg_hi:[0,0,1]
	v_pk_fma_f32 v[122:123], v[124:125], v[112:113], v[122:123] op_sel:[0,0,1] op_sel_hi:[1,0,0]
	v_mov_b32_e32 v127, v123
	ds_load_2addr_b64 v[122:125], v116 offset0:45 offset1:46
	v_pk_add_f32 v[20:21], v[20:21], v[128:129] neg_lo:[0,1] neg_hi:[0,1]
	v_pk_add_f32 v[14:15], v[14:15], v[126:127] neg_lo:[0,1] neg_hi:[0,1]
	s_wait_dscnt 0x0
	v_dual_mul_f32 v126, v123, v115 :: v_dual_mul_f32 v128, v123, v112
	s_delay_alu instid0(VALU_DEP_1) | instskip(NEXT) | instid1(VALU_DEP_2)
	v_pk_fma_f32 v[126:127], v[122:123], v[66:67], v[126:127] op_sel_hi:[1,1,0] neg_lo:[0,0,1] neg_hi:[0,0,1]
	v_pk_fma_f32 v[122:123], v[122:123], v[66:67], v[128:129] op_sel:[1,0,0] op_sel_hi:[0,1,0]
	s_delay_alu instid0(VALU_DEP_1) | instskip(SKIP_1) | instid1(VALU_DEP_2)
	v_mov_b32_e32 v127, v123
	v_pk_mul_f32 v[122:123], v[124:125], v[114:115] op_sel:[0,1]
	v_pk_add_f32 v[10:11], v[10:11], v[126:127] neg_lo:[0,1] neg_hi:[0,1]
	s_delay_alu instid0(VALU_DEP_2) | instskip(SKIP_1) | instid1(VALU_DEP_1)
	v_pk_fma_f32 v[126:127], v[124:125], v[112:113], v[122:123] op_sel:[0,0,1] op_sel_hi:[1,1,0] neg_lo:[0,0,1] neg_hi:[0,0,1]
	v_pk_fma_f32 v[122:123], v[124:125], v[112:113], v[122:123] op_sel:[0,0,1] op_sel_hi:[1,0,0]
	v_mov_b32_e32 v127, v123
	ds_load_2addr_b64 v[122:125], v116 offset0:47 offset1:48
	v_pk_add_f32 v[12:13], v[12:13], v[126:127] neg_lo:[0,1] neg_hi:[0,1]
	s_wait_dscnt 0x0
	v_pk_mul_f32 v[126:127], v[122:123], v[114:115] op_sel:[0,1]
	s_delay_alu instid0(VALU_DEP_1) | instskip(SKIP_1) | instid1(VALU_DEP_1)
	v_pk_fma_f32 v[128:129], v[122:123], v[112:113], v[126:127] op_sel:[0,0,1] op_sel_hi:[1,1,0] neg_lo:[0,0,1] neg_hi:[0,0,1]
	v_pk_fma_f32 v[122:123], v[122:123], v[112:113], v[126:127] op_sel:[0,0,1] op_sel_hi:[1,0,0]
	v_mov_b32_e32 v129, v123
	v_pk_mul_f32 v[122:123], v[124:125], v[114:115] op_sel:[0,1]
	s_delay_alu instid0(VALU_DEP_2) | instskip(NEXT) | instid1(VALU_DEP_2)
	v_pk_add_f32 v[8:9], v[8:9], v[128:129] neg_lo:[0,1] neg_hi:[0,1]
	v_pk_fma_f32 v[126:127], v[124:125], v[112:113], v[122:123] op_sel:[0,0,1] op_sel_hi:[1,1,0] neg_lo:[0,0,1] neg_hi:[0,0,1]
	v_pk_fma_f32 v[122:123], v[124:125], v[112:113], v[122:123] op_sel:[0,0,1] op_sel_hi:[1,0,0]
	s_delay_alu instid0(VALU_DEP_1) | instskip(SKIP_4) | instid1(VALU_DEP_1)
	v_mov_b32_e32 v127, v123
	ds_load_2addr_b64 v[122:125], v116 offset0:49 offset1:50
	v_pk_add_f32 v[6:7], v[6:7], v[126:127] neg_lo:[0,1] neg_hi:[0,1]
	s_wait_dscnt 0x0
	v_pk_mul_f32 v[126:127], v[122:123], v[114:115] op_sel:[0,1]
	v_pk_fma_f32 v[128:129], v[122:123], v[112:113], v[126:127] op_sel:[0,0,1] op_sel_hi:[1,1,0] neg_lo:[0,0,1] neg_hi:[0,0,1]
	v_pk_fma_f32 v[122:123], v[122:123], v[112:113], v[126:127] op_sel:[0,0,1] op_sel_hi:[1,0,0]
	v_dual_mul_f32 v126, v125, v115 :: v_dual_mov_b32 v122, v125
	s_delay_alu instid0(VALU_DEP_2) | instskip(NEXT) | instid1(VALU_DEP_2)
	v_dual_mov_b32 v129, v123 :: v_dual_mov_b32 v123, v124
	v_pk_fma_f32 v[126:127], v[124:125], v[66:67], v[126:127] op_sel_hi:[1,1,0] neg_lo:[0,0,1] neg_hi:[0,0,1]
	v_mul_f32_e32 v124, v125, v112
	s_delay_alu instid0(VALU_DEP_3) | instskip(NEXT) | instid1(VALU_DEP_2)
	v_pk_add_f32 v[28:29], v[28:29], v[128:129] neg_lo:[0,1] neg_hi:[0,1]
	v_pk_fma_f32 v[122:123], v[122:123], v[66:67], v[124:125] op_sel_hi:[1,1,0]
	s_delay_alu instid0(VALU_DEP_1)
	v_mov_b32_e32 v127, v123
	ds_load_2addr_b64 v[122:125], v116 offset0:51 offset1:52
	v_pk_add_f32 v[18:19], v[18:19], v[126:127] neg_lo:[0,1] neg_hi:[0,1]
	s_wait_dscnt 0x0
	v_pk_mul_f32 v[126:127], v[122:123], v[114:115] op_sel:[0,1]
	v_pk_mul_f32 v[114:115], v[124:125], v[114:115] op_sel:[0,1]
	s_delay_alu instid0(VALU_DEP_2) | instskip(SKIP_1) | instid1(VALU_DEP_1)
	v_pk_fma_f32 v[128:129], v[122:123], v[112:113], v[126:127] op_sel:[0,0,1] op_sel_hi:[1,1,0] neg_lo:[0,0,1] neg_hi:[0,0,1]
	v_pk_fma_f32 v[122:123], v[122:123], v[112:113], v[126:127] op_sel:[0,0,1] op_sel_hi:[1,0,0]
	v_mov_b32_e32 v129, v123
	s_delay_alu instid0(VALU_DEP_4) | instskip(SKIP_1) | instid1(VALU_DEP_1)
	v_pk_fma_f32 v[122:123], v[124:125], v[112:113], v[114:115] op_sel:[0,0,1] op_sel_hi:[1,1,0] neg_lo:[0,0,1] neg_hi:[0,0,1]
	v_pk_fma_f32 v[112:113], v[124:125], v[112:113], v[114:115] op_sel:[0,0,1] op_sel_hi:[1,0,0]
	v_mov_b32_e32 v123, v113
	s_delay_alu instid0(VALU_DEP_4) | instskip(NEXT) | instid1(VALU_DEP_2)
	v_pk_add_f32 v[16:17], v[16:17], v[128:129] neg_lo:[0,1] neg_hi:[0,1]
	v_pk_add_f32 v[110:111], v[110:111], v[122:123] neg_lo:[0,1] neg_hi:[0,1]
.LBB104_566:
	s_or_b32 exec_lo, exec_lo, s0
	v_lshl_add_u32 v112, v120, 3, v116
	s_barrier_signal -1
	s_barrier_wait -1
	ds_store_b64 v112, v[62:63]
	s_wait_dscnt 0x0
	s_barrier_signal -1
	s_barrier_wait -1
	ds_load_b64 v[114:115], v116 offset:216
	v_mov_b32_e32 v112, 27
	s_cmp_lt_i32 s18, 29
	s_cbranch_scc1 .LBB104_569
; %bb.567:
	v_add3_u32 v113, v117, 0, 0xe0
	v_mov_b32_e32 v112, 27
	s_mov_b32 s0, 28
.LBB104_568:                            ; =>This Inner Loop Header: Depth=1
	ds_load_b64 v[122:123], v113
	s_wait_dscnt 0x1
	v_cmp_gt_f32_e32 vcc_lo, 0, v114
	v_cndmask_b32_e64 v124, v114, -v114, vcc_lo
	v_cmp_gt_f32_e32 vcc_lo, 0, v115
	v_cndmask_b32_e64 v126, v115, -v115, vcc_lo
	s_wait_dscnt 0x0
	v_cmp_gt_f32_e32 vcc_lo, 0, v122
	v_cndmask_b32_e64 v125, v122, -v122, vcc_lo
	v_cmp_gt_f32_e32 vcc_lo, 0, v123
	v_cndmask_b32_e64 v127, v123, -v123, vcc_lo
	s_delay_alu instid0(VALU_DEP_1) | instskip(NEXT) | instid1(VALU_DEP_1)
	v_pk_add_f32 v[124:125], v[124:125], v[126:127]
	v_cmp_lt_f32_e32 vcc_lo, v124, v125
	v_dual_add_nc_u32 v113, 8, v113 :: v_dual_cndmask_b32 v115, v115, v123, vcc_lo
	v_cndmask_b32_e32 v114, v114, v122, vcc_lo
	v_cndmask_b32_e64 v112, v112, s0, vcc_lo
	s_add_co_i32 s0, s0, 1
	s_delay_alu instid0(SALU_CYCLE_1)
	s_cmp_lg_u32 s18, s0
	s_cbranch_scc1 .LBB104_568
.LBB104_569:
	s_wait_dscnt 0x0
	v_cmp_eq_f32_e32 vcc_lo, 0, v114
	v_cmp_eq_f32_e64 s0, 0, v115
	s_and_b32 s0, vcc_lo, s0
	s_delay_alu instid0(SALU_CYCLE_1) | instskip(NEXT) | instid1(SALU_CYCLE_1)
	s_and_saveexec_b32 s1, s0
	s_xor_b32 s0, exec_lo, s1
; %bb.570:
	v_cmp_ne_u32_e32 vcc_lo, 0, v118
	v_cndmask_b32_e32 v118, 28, v118, vcc_lo
; %bb.571:
	s_and_not1_saveexec_b32 s0, s0
	s_cbranch_execz .LBB104_577
; %bb.572:
	v_cmp_ngt_f32_e64 s1, |v114|, |v115|
	s_and_saveexec_b32 s12, s1
	s_delay_alu instid0(SALU_CYCLE_1)
	s_xor_b32 s1, exec_lo, s12
	s_cbranch_execz .LBB104_574
; %bb.573:
	v_div_scale_f32 v113, null, v115, v115, v114
	v_div_scale_f32 v123, vcc_lo, v114, v115, v114
	s_delay_alu instid0(VALU_DEP_2) | instskip(SKIP_1) | instid1(TRANS32_DEP_1)
	v_rcp_f32_e32 v121, v113
	v_nop
	v_fma_f32 v122, -v113, v121, 1.0
	s_delay_alu instid0(VALU_DEP_1) | instskip(NEXT) | instid1(VALU_DEP_1)
	v_fmac_f32_e32 v121, v122, v121
	v_mul_f32_e32 v122, v123, v121
	s_delay_alu instid0(VALU_DEP_1) | instskip(NEXT) | instid1(VALU_DEP_1)
	v_fma_f32 v124, -v113, v122, v123
	v_fmac_f32_e32 v122, v124, v121
	s_delay_alu instid0(VALU_DEP_1) | instskip(NEXT) | instid1(VALU_DEP_1)
	v_fma_f32 v113, -v113, v122, v123
	v_div_fmas_f32 v113, v113, v121, v122
	s_delay_alu instid0(VALU_DEP_1) | instskip(NEXT) | instid1(VALU_DEP_1)
	v_div_fixup_f32 v113, v113, v115, v114
	v_fmac_f32_e32 v115, v114, v113
	s_delay_alu instid0(VALU_DEP_1) | instskip(SKIP_1) | instid1(VALU_DEP_2)
	v_div_scale_f32 v114, null, v115, v115, 1.0
	v_div_scale_f32 v123, vcc_lo, 1.0, v115, 1.0
	v_rcp_f32_e32 v121, v114
	v_nop
	s_delay_alu instid0(TRANS32_DEP_1) | instskip(NEXT) | instid1(VALU_DEP_1)
	v_fma_f32 v122, -v114, v121, 1.0
	v_fmac_f32_e32 v121, v122, v121
	s_delay_alu instid0(VALU_DEP_1) | instskip(NEXT) | instid1(VALU_DEP_1)
	v_mul_f32_e32 v122, v123, v121
	v_fma_f32 v124, -v114, v122, v123
	s_delay_alu instid0(VALU_DEP_1) | instskip(NEXT) | instid1(VALU_DEP_1)
	v_fmac_f32_e32 v122, v124, v121
	v_fma_f32 v114, -v114, v122, v123
	s_delay_alu instid0(VALU_DEP_1) | instskip(NEXT) | instid1(VALU_DEP_1)
	v_div_fmas_f32 v114, v114, v121, v122
	v_div_fixup_f32 v115, v114, v115, 1.0
	s_delay_alu instid0(VALU_DEP_1)
	v_mul_f32_e32 v114, v113, v115
	v_xor_b32_e32 v115, 0x80000000, v115
.LBB104_574:
	s_and_not1_saveexec_b32 s1, s1
	s_cbranch_execz .LBB104_576
; %bb.575:
	s_delay_alu instid0(VALU_DEP_1) | instskip(SKIP_1) | instid1(VALU_DEP_2)
	v_div_scale_f32 v113, null, v114, v114, v115
	v_div_scale_f32 v123, vcc_lo, v115, v114, v115
	v_rcp_f32_e32 v121, v113
	v_nop
	s_delay_alu instid0(TRANS32_DEP_1) | instskip(NEXT) | instid1(VALU_DEP_1)
	v_fma_f32 v122, -v113, v121, 1.0
	v_fmac_f32_e32 v121, v122, v121
	s_delay_alu instid0(VALU_DEP_1) | instskip(NEXT) | instid1(VALU_DEP_1)
	v_mul_f32_e32 v122, v123, v121
	v_fma_f32 v124, -v113, v122, v123
	s_delay_alu instid0(VALU_DEP_1) | instskip(NEXT) | instid1(VALU_DEP_1)
	v_fmac_f32_e32 v122, v124, v121
	v_fma_f32 v113, -v113, v122, v123
	s_delay_alu instid0(VALU_DEP_1) | instskip(NEXT) | instid1(VALU_DEP_1)
	v_div_fmas_f32 v113, v113, v121, v122
	v_div_fixup_f32 v113, v113, v114, v115
	s_delay_alu instid0(VALU_DEP_1) | instskip(NEXT) | instid1(VALU_DEP_1)
	v_fmac_f32_e32 v114, v115, v113
	v_div_scale_f32 v115, null, v114, v114, 1.0
	s_delay_alu instid0(VALU_DEP_1) | instskip(SKIP_1) | instid1(TRANS32_DEP_1)
	v_rcp_f32_e32 v121, v115
	v_nop
	v_fma_f32 v122, -v115, v121, 1.0
	s_delay_alu instid0(VALU_DEP_1) | instskip(SKIP_1) | instid1(VALU_DEP_1)
	v_fmac_f32_e32 v121, v122, v121
	v_div_scale_f32 v122, vcc_lo, 1.0, v114, 1.0
	v_mul_f32_e32 v123, v122, v121
	s_delay_alu instid0(VALU_DEP_1) | instskip(NEXT) | instid1(VALU_DEP_1)
	v_fma_f32 v124, -v115, v123, v122
	v_fmac_f32_e32 v123, v124, v121
	s_delay_alu instid0(VALU_DEP_1) | instskip(NEXT) | instid1(VALU_DEP_1)
	v_fma_f32 v115, -v115, v123, v122
	v_div_fmas_f32 v115, v115, v121, v123
	s_delay_alu instid0(VALU_DEP_1) | instskip(NEXT) | instid1(VALU_DEP_1)
	v_div_fixup_f32 v114, v115, v114, 1.0
	v_mul_f32_e64 v115, v113, -v114
.LBB104_576:
	s_or_b32 exec_lo, exec_lo, s1
.LBB104_577:
	s_delay_alu instid0(SALU_CYCLE_1) | instskip(NEXT) | instid1(SALU_CYCLE_1)
	s_or_b32 exec_lo, exec_lo, s0
	s_mov_b32 s0, exec_lo
	v_cmpx_ne_u32_e64 v120, v112
	s_xor_b32 s0, exec_lo, s0
	s_cbranch_execz .LBB104_583
; %bb.578:
	s_mov_b32 s1, exec_lo
	v_cmpx_eq_u32_e32 27, v120
	s_cbranch_execz .LBB104_582
; %bb.579:
	v_cmp_ne_u32_e32 vcc_lo, 27, v112
	s_xor_b32 s12, s16, -1
	s_delay_alu instid0(SALU_CYCLE_1) | instskip(NEXT) | instid1(SALU_CYCLE_1)
	s_and_b32 s13, s12, vcc_lo
	s_and_saveexec_b32 s12, s13
	s_cbranch_execz .LBB104_581
; %bb.580:
	v_ashrrev_i32_e32 v113, 31, v112
	s_delay_alu instid0(VALU_DEP_1)
	v_lshl_add_u64 v[120:121], v[112:113], 2, v[4:5]
	s_clause 0x1
	global_load_b32 v113, v[120:121], off
	global_load_b32 v119, v[4:5], off offset:108
	s_wait_loadcnt 0x1
	global_store_b32 v[4:5], v113, off offset:108
	s_wait_loadcnt 0x0
	global_store_b32 v[120:121], v119, off
.LBB104_581:
	s_wait_xcnt 0x0
	s_or_b32 exec_lo, exec_lo, s12
	v_dual_mov_b32 v120, v112 :: v_dual_mov_b32 v119, v112
.LBB104_582:
	s_or_b32 exec_lo, exec_lo, s1
.LBB104_583:
	s_and_not1_saveexec_b32 s0, s0
	s_cbranch_execz .LBB104_585
; %bb.584:
	v_dual_mov_b32 v112, v52 :: v_dual_mov_b32 v113, v53
	v_dual_mov_b32 v120, v48 :: v_dual_mov_b32 v121, v49
	;; [unrolled: 1-line block ×4, first 2 shown]
	ds_store_2addr_b64 v116, v[112:113], v[120:121] offset0:28 offset1:29
	ds_store_2addr_b64 v116, v[122:123], v[124:125] offset0:30 offset1:31
	v_dual_mov_b32 v112, v44 :: v_dual_mov_b32 v113, v45
	v_dual_mov_b32 v120, v40 :: v_dual_mov_b32 v121, v41
	;; [unrolled: 1-line block ×12, first 2 shown]
	ds_store_2addr_b64 v116, v[112:113], v[120:121] offset0:32 offset1:33
	ds_store_2addr_b64 v116, v[122:123], v[124:125] offset0:34 offset1:35
	;; [unrolled: 1-line block ×6, first 2 shown]
	v_dual_mov_b32 v112, v14 :: v_dual_mov_b32 v113, v15
	v_dual_mov_b32 v122, v10 :: v_dual_mov_b32 v123, v11
	;; [unrolled: 1-line block ×8, first 2 shown]
	v_mov_b32_e32 v135, v17
	ds_store_2addr_b64 v116, v[112:113], v[122:123] offset0:44 offset1:45
	ds_store_2addr_b64 v116, v[124:125], v[126:127] offset0:46 offset1:47
	;; [unrolled: 1-line block ×4, first 2 shown]
	ds_store_b64 v116, v[110:111] offset:416
.LBB104_585:
	s_or_b32 exec_lo, exec_lo, s0
	s_delay_alu instid0(SALU_CYCLE_1)
	s_mov_b32 s0, exec_lo
	s_wait_storecnt_dscnt 0x0
	s_barrier_signal -1
	s_barrier_wait -1
	v_cmpx_lt_i32_e32 27, v120
	s_cbranch_execz .LBB104_587
; %bb.586:
	v_pk_mul_f32 v[122:123], v[114:115], v[62:63] op_sel:[1,1] op_sel_hi:[0,1]
	s_delay_alu instid0(VALU_DEP_1)
	v_pk_fma_f32 v[112:113], v[114:115], v[62:63], v[122:123] op_sel_hi:[1,0,1] neg_lo:[0,0,1] neg_hi:[0,0,1]
	v_pk_fma_f32 v[114:115], v[114:115], v[62:63], v[122:123] op_sel_hi:[1,0,1]
	ds_load_2addr_b64 v[122:125], v116 offset0:28 offset1:29
	v_dual_mov_b32 v62, v112 :: v_dual_mov_b32 v63, v115
	s_wait_dscnt 0x0
	v_pk_mul_f32 v[126:127], v[122:123], v[114:115] op_sel:[0,1]
	s_delay_alu instid0(VALU_DEP_1) | instskip(SKIP_1) | instid1(VALU_DEP_1)
	v_pk_fma_f32 v[128:129], v[122:123], v[112:113], v[126:127] op_sel:[0,0,1] op_sel_hi:[1,1,0] neg_lo:[0,0,1] neg_hi:[0,0,1]
	v_pk_fma_f32 v[122:123], v[122:123], v[112:113], v[126:127] op_sel:[0,0,1] op_sel_hi:[1,0,0]
	v_mov_b32_e32 v129, v123
	v_pk_mul_f32 v[122:123], v[124:125], v[114:115] op_sel:[0,1]
	s_delay_alu instid0(VALU_DEP_1) | instskip(SKIP_1) | instid1(VALU_DEP_1)
	v_pk_fma_f32 v[126:127], v[124:125], v[112:113], v[122:123] op_sel:[0,0,1] op_sel_hi:[1,1,0] neg_lo:[0,0,1] neg_hi:[0,0,1]
	v_pk_fma_f32 v[122:123], v[124:125], v[112:113], v[122:123] op_sel:[0,0,1] op_sel_hi:[1,0,0]
	v_mov_b32_e32 v127, v123
	ds_load_2addr_b64 v[122:125], v116 offset0:30 offset1:31
	v_pk_add_f32 v[52:53], v[52:53], v[128:129] neg_lo:[0,1] neg_hi:[0,1]
	v_pk_add_f32 v[48:49], v[48:49], v[126:127] neg_lo:[0,1] neg_hi:[0,1]
	s_wait_dscnt 0x0
	v_pk_mul_f32 v[126:127], v[122:123], v[114:115] op_sel:[0,1]
	s_delay_alu instid0(VALU_DEP_1) | instskip(SKIP_2) | instid1(VALU_DEP_2)
	v_pk_fma_f32 v[128:129], v[122:123], v[112:113], v[126:127] op_sel:[0,0,1] op_sel_hi:[1,1,0] neg_lo:[0,0,1] neg_hi:[0,0,1]
	v_pk_fma_f32 v[122:123], v[122:123], v[112:113], v[126:127] op_sel:[0,0,1] op_sel_hi:[1,0,0]
	v_dual_mul_f32 v126, v125, v115 :: v_dual_mov_b32 v122, v125
	v_dual_mov_b32 v129, v123 :: v_dual_mov_b32 v123, v124
	s_delay_alu instid0(VALU_DEP_2) | instskip(SKIP_1) | instid1(VALU_DEP_3)
	v_pk_fma_f32 v[126:127], v[124:125], v[62:63], v[126:127] op_sel_hi:[1,1,0] neg_lo:[0,0,1] neg_hi:[0,0,1]
	v_mul_f32_e32 v124, v125, v112
	v_pk_add_f32 v[50:51], v[50:51], v[128:129] neg_lo:[0,1] neg_hi:[0,1]
	s_delay_alu instid0(VALU_DEP_2) | instskip(NEXT) | instid1(VALU_DEP_1)
	v_pk_fma_f32 v[122:123], v[122:123], v[62:63], v[124:125] op_sel_hi:[1,1,0]
	v_mov_b32_e32 v127, v123
	ds_load_2addr_b64 v[122:125], v116 offset0:32 offset1:33
	v_pk_add_f32 v[46:47], v[46:47], v[126:127] neg_lo:[0,1] neg_hi:[0,1]
	s_wait_dscnt 0x0
	v_pk_mul_f32 v[126:127], v[122:123], v[114:115] op_sel:[0,1]
	s_delay_alu instid0(VALU_DEP_1) | instskip(SKIP_1) | instid1(VALU_DEP_1)
	v_pk_fma_f32 v[128:129], v[122:123], v[112:113], v[126:127] op_sel:[0,0,1] op_sel_hi:[1,1,0] neg_lo:[0,0,1] neg_hi:[0,0,1]
	v_pk_fma_f32 v[122:123], v[122:123], v[112:113], v[126:127] op_sel:[0,0,1] op_sel_hi:[1,0,0]
	v_mov_b32_e32 v129, v123
	v_pk_mul_f32 v[122:123], v[124:125], v[114:115] op_sel:[0,1]
	s_delay_alu instid0(VALU_DEP_1) | instskip(SKIP_1) | instid1(VALU_DEP_1)
	v_pk_fma_f32 v[126:127], v[124:125], v[112:113], v[122:123] op_sel:[0,0,1] op_sel_hi:[1,1,0] neg_lo:[0,0,1] neg_hi:[0,0,1]
	v_pk_fma_f32 v[122:123], v[124:125], v[112:113], v[122:123] op_sel:[0,0,1] op_sel_hi:[1,0,0]
	v_mov_b32_e32 v127, v123
	ds_load_2addr_b64 v[122:125], v116 offset0:34 offset1:35
	v_pk_add_f32 v[44:45], v[44:45], v[128:129] neg_lo:[0,1] neg_hi:[0,1]
	v_pk_add_f32 v[40:41], v[40:41], v[126:127] neg_lo:[0,1] neg_hi:[0,1]
	s_wait_dscnt 0x0
	v_pk_mul_f32 v[126:127], v[122:123], v[114:115] op_sel:[0,1]
	s_delay_alu instid0(VALU_DEP_1) | instskip(SKIP_1) | instid1(VALU_DEP_1)
	v_pk_fma_f32 v[128:129], v[122:123], v[112:113], v[126:127] op_sel:[0,0,1] op_sel_hi:[1,1,0] neg_lo:[0,0,1] neg_hi:[0,0,1]
	v_pk_fma_f32 v[122:123], v[122:123], v[112:113], v[126:127] op_sel:[0,0,1] op_sel_hi:[1,0,0]
	v_mov_b32_e32 v129, v123
	v_pk_mul_f32 v[122:123], v[124:125], v[114:115] op_sel:[0,1]
	s_delay_alu instid0(VALU_DEP_1) | instskip(SKIP_1) | instid1(VALU_DEP_1)
	v_pk_fma_f32 v[126:127], v[124:125], v[112:113], v[122:123] op_sel:[0,0,1] op_sel_hi:[1,1,0] neg_lo:[0,0,1] neg_hi:[0,0,1]
	v_pk_fma_f32 v[122:123], v[124:125], v[112:113], v[122:123] op_sel:[0,0,1] op_sel_hi:[1,0,0]
	v_mov_b32_e32 v127, v123
	ds_load_2addr_b64 v[122:125], v116 offset0:36 offset1:37
	v_pk_add_f32 v[42:43], v[42:43], v[128:129] neg_lo:[0,1] neg_hi:[0,1]
	v_pk_add_f32 v[38:39], v[38:39], v[126:127] neg_lo:[0,1] neg_hi:[0,1]
	s_wait_dscnt 0x0
	v_dual_mul_f32 v126, v123, v115 :: v_dual_mul_f32 v128, v123, v112
	s_delay_alu instid0(VALU_DEP_1) | instskip(NEXT) | instid1(VALU_DEP_2)
	v_pk_fma_f32 v[126:127], v[122:123], v[62:63], v[126:127] op_sel_hi:[1,1,0] neg_lo:[0,0,1] neg_hi:[0,0,1]
	v_pk_fma_f32 v[122:123], v[122:123], v[62:63], v[128:129] op_sel:[1,0,0] op_sel_hi:[0,1,0]
	s_delay_alu instid0(VALU_DEP_1) | instskip(SKIP_1) | instid1(VALU_DEP_2)
	v_mov_b32_e32 v127, v123
	v_pk_mul_f32 v[122:123], v[124:125], v[114:115] op_sel:[0,1]
	v_pk_add_f32 v[36:37], v[36:37], v[126:127] neg_lo:[0,1] neg_hi:[0,1]
	s_delay_alu instid0(VALU_DEP_2) | instskip(SKIP_1) | instid1(VALU_DEP_1)
	v_pk_fma_f32 v[126:127], v[124:125], v[112:113], v[122:123] op_sel:[0,0,1] op_sel_hi:[1,1,0] neg_lo:[0,0,1] neg_hi:[0,0,1]
	v_pk_fma_f32 v[122:123], v[124:125], v[112:113], v[122:123] op_sel:[0,0,1] op_sel_hi:[1,0,0]
	v_mov_b32_e32 v127, v123
	ds_load_2addr_b64 v[122:125], v116 offset0:38 offset1:39
	v_pk_add_f32 v[32:33], v[32:33], v[126:127] neg_lo:[0,1] neg_hi:[0,1]
	s_wait_dscnt 0x0
	v_pk_mul_f32 v[126:127], v[122:123], v[114:115] op_sel:[0,1]
	s_delay_alu instid0(VALU_DEP_1) | instskip(SKIP_1) | instid1(VALU_DEP_1)
	v_pk_fma_f32 v[128:129], v[122:123], v[112:113], v[126:127] op_sel:[0,0,1] op_sel_hi:[1,1,0] neg_lo:[0,0,1] neg_hi:[0,0,1]
	v_pk_fma_f32 v[122:123], v[122:123], v[112:113], v[126:127] op_sel:[0,0,1] op_sel_hi:[1,0,0]
	v_mov_b32_e32 v129, v123
	v_pk_mul_f32 v[122:123], v[124:125], v[114:115] op_sel:[0,1]
	s_delay_alu instid0(VALU_DEP_2) | instskip(NEXT) | instid1(VALU_DEP_2)
	v_pk_add_f32 v[34:35], v[34:35], v[128:129] neg_lo:[0,1] neg_hi:[0,1]
	v_pk_fma_f32 v[126:127], v[124:125], v[112:113], v[122:123] op_sel:[0,0,1] op_sel_hi:[1,1,0] neg_lo:[0,0,1] neg_hi:[0,0,1]
	v_pk_fma_f32 v[122:123], v[124:125], v[112:113], v[122:123] op_sel:[0,0,1] op_sel_hi:[1,0,0]
	s_delay_alu instid0(VALU_DEP_1) | instskip(SKIP_4) | instid1(VALU_DEP_1)
	v_mov_b32_e32 v127, v123
	ds_load_2addr_b64 v[122:125], v116 offset0:40 offset1:41
	v_pk_add_f32 v[30:31], v[30:31], v[126:127] neg_lo:[0,1] neg_hi:[0,1]
	s_wait_dscnt 0x0
	v_pk_mul_f32 v[126:127], v[122:123], v[114:115] op_sel:[0,1]
	v_pk_fma_f32 v[128:129], v[122:123], v[112:113], v[126:127] op_sel:[0,0,1] op_sel_hi:[1,1,0] neg_lo:[0,0,1] neg_hi:[0,0,1]
	v_pk_fma_f32 v[122:123], v[122:123], v[112:113], v[126:127] op_sel:[0,0,1] op_sel_hi:[1,0,0]
	v_dual_mul_f32 v126, v125, v115 :: v_dual_mov_b32 v122, v125
	s_delay_alu instid0(VALU_DEP_2) | instskip(NEXT) | instid1(VALU_DEP_2)
	v_dual_mov_b32 v129, v123 :: v_dual_mov_b32 v123, v124
	v_pk_fma_f32 v[126:127], v[124:125], v[62:63], v[126:127] op_sel_hi:[1,1,0] neg_lo:[0,0,1] neg_hi:[0,0,1]
	v_mul_f32_e32 v124, v125, v112
	s_delay_alu instid0(VALU_DEP_3) | instskip(NEXT) | instid1(VALU_DEP_2)
	v_pk_add_f32 v[26:27], v[26:27], v[128:129] neg_lo:[0,1] neg_hi:[0,1]
	v_pk_fma_f32 v[122:123], v[122:123], v[62:63], v[124:125] op_sel_hi:[1,1,0]
	s_delay_alu instid0(VALU_DEP_1) | instskip(SKIP_4) | instid1(VALU_DEP_1)
	v_mov_b32_e32 v127, v123
	ds_load_2addr_b64 v[122:125], v116 offset0:42 offset1:43
	v_pk_add_f32 v[22:23], v[22:23], v[126:127] neg_lo:[0,1] neg_hi:[0,1]
	s_wait_dscnt 0x0
	v_pk_mul_f32 v[126:127], v[122:123], v[114:115] op_sel:[0,1]
	v_pk_fma_f32 v[128:129], v[122:123], v[112:113], v[126:127] op_sel:[0,0,1] op_sel_hi:[1,1,0] neg_lo:[0,0,1] neg_hi:[0,0,1]
	v_pk_fma_f32 v[122:123], v[122:123], v[112:113], v[126:127] op_sel:[0,0,1] op_sel_hi:[1,0,0]
	s_delay_alu instid0(VALU_DEP_1) | instskip(SKIP_1) | instid1(VALU_DEP_1)
	v_mov_b32_e32 v129, v123
	v_pk_mul_f32 v[122:123], v[124:125], v[114:115] op_sel:[0,1]
	v_pk_fma_f32 v[126:127], v[124:125], v[112:113], v[122:123] op_sel:[0,0,1] op_sel_hi:[1,1,0] neg_lo:[0,0,1] neg_hi:[0,0,1]
	v_pk_fma_f32 v[122:123], v[124:125], v[112:113], v[122:123] op_sel:[0,0,1] op_sel_hi:[1,0,0]
	s_delay_alu instid0(VALU_DEP_1)
	v_mov_b32_e32 v127, v123
	ds_load_2addr_b64 v[122:125], v116 offset0:44 offset1:45
	v_pk_add_f32 v[24:25], v[24:25], v[128:129] neg_lo:[0,1] neg_hi:[0,1]
	v_pk_add_f32 v[20:21], v[20:21], v[126:127] neg_lo:[0,1] neg_hi:[0,1]
	s_wait_dscnt 0x0
	v_pk_mul_f32 v[126:127], v[122:123], v[114:115] op_sel:[0,1]
	s_delay_alu instid0(VALU_DEP_1) | instskip(SKIP_1) | instid1(VALU_DEP_1)
	v_pk_fma_f32 v[128:129], v[122:123], v[112:113], v[126:127] op_sel:[0,0,1] op_sel_hi:[1,1,0] neg_lo:[0,0,1] neg_hi:[0,0,1]
	v_pk_fma_f32 v[122:123], v[122:123], v[112:113], v[126:127] op_sel:[0,0,1] op_sel_hi:[1,0,0]
	v_mov_b32_e32 v129, v123
	v_pk_mul_f32 v[122:123], v[124:125], v[114:115] op_sel:[0,1]
	s_delay_alu instid0(VALU_DEP_1) | instskip(SKIP_1) | instid1(VALU_DEP_1)
	v_pk_fma_f32 v[126:127], v[124:125], v[112:113], v[122:123] op_sel:[0,0,1] op_sel_hi:[1,1,0] neg_lo:[0,0,1] neg_hi:[0,0,1]
	v_pk_fma_f32 v[122:123], v[124:125], v[112:113], v[122:123] op_sel:[0,0,1] op_sel_hi:[1,0,0]
	v_mov_b32_e32 v127, v123
	ds_load_2addr_b64 v[122:125], v116 offset0:46 offset1:47
	v_pk_add_f32 v[14:15], v[14:15], v[128:129] neg_lo:[0,1] neg_hi:[0,1]
	v_pk_add_f32 v[10:11], v[10:11], v[126:127] neg_lo:[0,1] neg_hi:[0,1]
	s_wait_dscnt 0x0
	v_dual_mul_f32 v126, v123, v115 :: v_dual_mul_f32 v128, v123, v112
	s_delay_alu instid0(VALU_DEP_1) | instskip(NEXT) | instid1(VALU_DEP_2)
	v_pk_fma_f32 v[126:127], v[122:123], v[62:63], v[126:127] op_sel_hi:[1,1,0] neg_lo:[0,0,1] neg_hi:[0,0,1]
	v_pk_fma_f32 v[122:123], v[122:123], v[62:63], v[128:129] op_sel:[1,0,0] op_sel_hi:[0,1,0]
	s_delay_alu instid0(VALU_DEP_1) | instskip(SKIP_1) | instid1(VALU_DEP_2)
	v_mov_b32_e32 v127, v123
	v_pk_mul_f32 v[122:123], v[124:125], v[114:115] op_sel:[0,1]
	v_pk_add_f32 v[12:13], v[12:13], v[126:127] neg_lo:[0,1] neg_hi:[0,1]
	s_delay_alu instid0(VALU_DEP_2) | instskip(SKIP_1) | instid1(VALU_DEP_1)
	v_pk_fma_f32 v[126:127], v[124:125], v[112:113], v[122:123] op_sel:[0,0,1] op_sel_hi:[1,1,0] neg_lo:[0,0,1] neg_hi:[0,0,1]
	v_pk_fma_f32 v[122:123], v[124:125], v[112:113], v[122:123] op_sel:[0,0,1] op_sel_hi:[1,0,0]
	v_mov_b32_e32 v127, v123
	ds_load_2addr_b64 v[122:125], v116 offset0:48 offset1:49
	v_pk_add_f32 v[8:9], v[8:9], v[126:127] neg_lo:[0,1] neg_hi:[0,1]
	s_wait_dscnt 0x0
	v_pk_mul_f32 v[126:127], v[122:123], v[114:115] op_sel:[0,1]
	s_delay_alu instid0(VALU_DEP_1) | instskip(SKIP_1) | instid1(VALU_DEP_1)
	v_pk_fma_f32 v[128:129], v[122:123], v[112:113], v[126:127] op_sel:[0,0,1] op_sel_hi:[1,1,0] neg_lo:[0,0,1] neg_hi:[0,0,1]
	v_pk_fma_f32 v[122:123], v[122:123], v[112:113], v[126:127] op_sel:[0,0,1] op_sel_hi:[1,0,0]
	v_mov_b32_e32 v129, v123
	v_pk_mul_f32 v[122:123], v[124:125], v[114:115] op_sel:[0,1]
	s_delay_alu instid0(VALU_DEP_2) | instskip(NEXT) | instid1(VALU_DEP_2)
	v_pk_add_f32 v[6:7], v[6:7], v[128:129] neg_lo:[0,1] neg_hi:[0,1]
	v_pk_fma_f32 v[126:127], v[124:125], v[112:113], v[122:123] op_sel:[0,0,1] op_sel_hi:[1,1,0] neg_lo:[0,0,1] neg_hi:[0,0,1]
	v_pk_fma_f32 v[122:123], v[124:125], v[112:113], v[122:123] op_sel:[0,0,1] op_sel_hi:[1,0,0]
	s_delay_alu instid0(VALU_DEP_1) | instskip(SKIP_4) | instid1(VALU_DEP_1)
	v_mov_b32_e32 v127, v123
	ds_load_2addr_b64 v[122:125], v116 offset0:50 offset1:51
	v_pk_add_f32 v[28:29], v[28:29], v[126:127] neg_lo:[0,1] neg_hi:[0,1]
	s_wait_dscnt 0x0
	v_pk_mul_f32 v[126:127], v[122:123], v[114:115] op_sel:[0,1]
	v_pk_fma_f32 v[128:129], v[122:123], v[112:113], v[126:127] op_sel:[0,0,1] op_sel_hi:[1,1,0] neg_lo:[0,0,1] neg_hi:[0,0,1]
	v_pk_fma_f32 v[122:123], v[122:123], v[112:113], v[126:127] op_sel:[0,0,1] op_sel_hi:[1,0,0]
	v_dual_mul_f32 v126, v125, v115 :: v_dual_mov_b32 v122, v125
	s_delay_alu instid0(VALU_DEP_2) | instskip(NEXT) | instid1(VALU_DEP_2)
	v_dual_mov_b32 v129, v123 :: v_dual_mov_b32 v123, v124
	v_pk_fma_f32 v[126:127], v[124:125], v[62:63], v[126:127] op_sel_hi:[1,1,0] neg_lo:[0,0,1] neg_hi:[0,0,1]
	v_mul_f32_e32 v124, v125, v112
	s_delay_alu instid0(VALU_DEP_3) | instskip(NEXT) | instid1(VALU_DEP_2)
	v_pk_add_f32 v[18:19], v[18:19], v[128:129] neg_lo:[0,1] neg_hi:[0,1]
	v_pk_fma_f32 v[122:123], v[122:123], v[62:63], v[124:125] op_sel_hi:[1,1,0]
	s_delay_alu instid0(VALU_DEP_1) | instskip(SKIP_4) | instid1(VALU_DEP_1)
	v_mov_b32_e32 v127, v123
	ds_load_b64 v[122:123], v116 offset:416
	v_pk_add_f32 v[16:17], v[16:17], v[126:127] neg_lo:[0,1] neg_hi:[0,1]
	s_wait_dscnt 0x0
	v_pk_mul_f32 v[114:115], v[122:123], v[114:115] op_sel:[0,1]
	v_pk_fma_f32 v[124:125], v[122:123], v[112:113], v[114:115] op_sel:[0,0,1] op_sel_hi:[1,1,0] neg_lo:[0,0,1] neg_hi:[0,0,1]
	v_pk_fma_f32 v[112:113], v[122:123], v[112:113], v[114:115] op_sel:[0,0,1] op_sel_hi:[1,0,0]
	s_delay_alu instid0(VALU_DEP_1) | instskip(NEXT) | instid1(VALU_DEP_1)
	v_mov_b32_e32 v125, v113
	v_pk_add_f32 v[110:111], v[110:111], v[124:125] neg_lo:[0,1] neg_hi:[0,1]
.LBB104_587:
	s_or_b32 exec_lo, exec_lo, s0
	v_lshl_add_u32 v112, v120, 3, v116
	s_barrier_signal -1
	s_barrier_wait -1
	ds_store_b64 v112, v[52:53]
	s_wait_dscnt 0x0
	s_barrier_signal -1
	s_barrier_wait -1
	ds_load_b64 v[114:115], v116 offset:224
	v_mov_b32_e32 v112, 28
	s_cmp_lt_i32 s18, 30
	s_cbranch_scc1 .LBB104_590
; %bb.588:
	v_add3_u32 v113, v117, 0, 0xe8
	v_mov_b32_e32 v112, 28
	s_mov_b32 s0, 29
.LBB104_589:                            ; =>This Inner Loop Header: Depth=1
	ds_load_b64 v[122:123], v113
	s_wait_dscnt 0x1
	v_cmp_gt_f32_e32 vcc_lo, 0, v114
	v_cndmask_b32_e64 v124, v114, -v114, vcc_lo
	v_cmp_gt_f32_e32 vcc_lo, 0, v115
	v_cndmask_b32_e64 v126, v115, -v115, vcc_lo
	s_wait_dscnt 0x0
	v_cmp_gt_f32_e32 vcc_lo, 0, v122
	v_cndmask_b32_e64 v125, v122, -v122, vcc_lo
	v_cmp_gt_f32_e32 vcc_lo, 0, v123
	v_cndmask_b32_e64 v127, v123, -v123, vcc_lo
	s_delay_alu instid0(VALU_DEP_1) | instskip(NEXT) | instid1(VALU_DEP_1)
	v_pk_add_f32 v[124:125], v[124:125], v[126:127]
	v_cmp_lt_f32_e32 vcc_lo, v124, v125
	v_dual_add_nc_u32 v113, 8, v113 :: v_dual_cndmask_b32 v115, v115, v123, vcc_lo
	v_cndmask_b32_e32 v114, v114, v122, vcc_lo
	v_cndmask_b32_e64 v112, v112, s0, vcc_lo
	s_add_co_i32 s0, s0, 1
	s_delay_alu instid0(SALU_CYCLE_1)
	s_cmp_lg_u32 s18, s0
	s_cbranch_scc1 .LBB104_589
.LBB104_590:
	s_wait_dscnt 0x0
	v_cmp_eq_f32_e32 vcc_lo, 0, v114
	v_cmp_eq_f32_e64 s0, 0, v115
	s_and_b32 s0, vcc_lo, s0
	s_delay_alu instid0(SALU_CYCLE_1) | instskip(NEXT) | instid1(SALU_CYCLE_1)
	s_and_saveexec_b32 s1, s0
	s_xor_b32 s0, exec_lo, s1
; %bb.591:
	v_cmp_ne_u32_e32 vcc_lo, 0, v118
	v_cndmask_b32_e32 v118, 29, v118, vcc_lo
; %bb.592:
	s_and_not1_saveexec_b32 s0, s0
	s_cbranch_execz .LBB104_598
; %bb.593:
	v_cmp_ngt_f32_e64 s1, |v114|, |v115|
	s_and_saveexec_b32 s12, s1
	s_delay_alu instid0(SALU_CYCLE_1)
	s_xor_b32 s1, exec_lo, s12
	s_cbranch_execz .LBB104_595
; %bb.594:
	v_div_scale_f32 v113, null, v115, v115, v114
	v_div_scale_f32 v123, vcc_lo, v114, v115, v114
	s_delay_alu instid0(VALU_DEP_2) | instskip(SKIP_1) | instid1(TRANS32_DEP_1)
	v_rcp_f32_e32 v121, v113
	v_nop
	v_fma_f32 v122, -v113, v121, 1.0
	s_delay_alu instid0(VALU_DEP_1) | instskip(NEXT) | instid1(VALU_DEP_1)
	v_fmac_f32_e32 v121, v122, v121
	v_mul_f32_e32 v122, v123, v121
	s_delay_alu instid0(VALU_DEP_1) | instskip(NEXT) | instid1(VALU_DEP_1)
	v_fma_f32 v124, -v113, v122, v123
	v_fmac_f32_e32 v122, v124, v121
	s_delay_alu instid0(VALU_DEP_1) | instskip(NEXT) | instid1(VALU_DEP_1)
	v_fma_f32 v113, -v113, v122, v123
	v_div_fmas_f32 v113, v113, v121, v122
	s_delay_alu instid0(VALU_DEP_1) | instskip(NEXT) | instid1(VALU_DEP_1)
	v_div_fixup_f32 v113, v113, v115, v114
	v_fmac_f32_e32 v115, v114, v113
	s_delay_alu instid0(VALU_DEP_1) | instskip(SKIP_1) | instid1(VALU_DEP_2)
	v_div_scale_f32 v114, null, v115, v115, 1.0
	v_div_scale_f32 v123, vcc_lo, 1.0, v115, 1.0
	v_rcp_f32_e32 v121, v114
	v_nop
	s_delay_alu instid0(TRANS32_DEP_1) | instskip(NEXT) | instid1(VALU_DEP_1)
	v_fma_f32 v122, -v114, v121, 1.0
	v_fmac_f32_e32 v121, v122, v121
	s_delay_alu instid0(VALU_DEP_1) | instskip(NEXT) | instid1(VALU_DEP_1)
	v_mul_f32_e32 v122, v123, v121
	v_fma_f32 v124, -v114, v122, v123
	s_delay_alu instid0(VALU_DEP_1) | instskip(NEXT) | instid1(VALU_DEP_1)
	v_fmac_f32_e32 v122, v124, v121
	v_fma_f32 v114, -v114, v122, v123
	s_delay_alu instid0(VALU_DEP_1) | instskip(NEXT) | instid1(VALU_DEP_1)
	v_div_fmas_f32 v114, v114, v121, v122
	v_div_fixup_f32 v115, v114, v115, 1.0
	s_delay_alu instid0(VALU_DEP_1)
	v_mul_f32_e32 v114, v113, v115
	v_xor_b32_e32 v115, 0x80000000, v115
.LBB104_595:
	s_and_not1_saveexec_b32 s1, s1
	s_cbranch_execz .LBB104_597
; %bb.596:
	s_delay_alu instid0(VALU_DEP_1) | instskip(SKIP_1) | instid1(VALU_DEP_2)
	v_div_scale_f32 v113, null, v114, v114, v115
	v_div_scale_f32 v123, vcc_lo, v115, v114, v115
	v_rcp_f32_e32 v121, v113
	v_nop
	s_delay_alu instid0(TRANS32_DEP_1) | instskip(NEXT) | instid1(VALU_DEP_1)
	v_fma_f32 v122, -v113, v121, 1.0
	v_fmac_f32_e32 v121, v122, v121
	s_delay_alu instid0(VALU_DEP_1) | instskip(NEXT) | instid1(VALU_DEP_1)
	v_mul_f32_e32 v122, v123, v121
	v_fma_f32 v124, -v113, v122, v123
	s_delay_alu instid0(VALU_DEP_1) | instskip(NEXT) | instid1(VALU_DEP_1)
	v_fmac_f32_e32 v122, v124, v121
	v_fma_f32 v113, -v113, v122, v123
	s_delay_alu instid0(VALU_DEP_1) | instskip(NEXT) | instid1(VALU_DEP_1)
	v_div_fmas_f32 v113, v113, v121, v122
	v_div_fixup_f32 v113, v113, v114, v115
	s_delay_alu instid0(VALU_DEP_1) | instskip(NEXT) | instid1(VALU_DEP_1)
	v_fmac_f32_e32 v114, v115, v113
	v_div_scale_f32 v115, null, v114, v114, 1.0
	s_delay_alu instid0(VALU_DEP_1) | instskip(SKIP_1) | instid1(TRANS32_DEP_1)
	v_rcp_f32_e32 v121, v115
	v_nop
	v_fma_f32 v122, -v115, v121, 1.0
	s_delay_alu instid0(VALU_DEP_1) | instskip(SKIP_1) | instid1(VALU_DEP_1)
	v_fmac_f32_e32 v121, v122, v121
	v_div_scale_f32 v122, vcc_lo, 1.0, v114, 1.0
	v_mul_f32_e32 v123, v122, v121
	s_delay_alu instid0(VALU_DEP_1) | instskip(NEXT) | instid1(VALU_DEP_1)
	v_fma_f32 v124, -v115, v123, v122
	v_fmac_f32_e32 v123, v124, v121
	s_delay_alu instid0(VALU_DEP_1) | instskip(NEXT) | instid1(VALU_DEP_1)
	v_fma_f32 v115, -v115, v123, v122
	v_div_fmas_f32 v115, v115, v121, v123
	s_delay_alu instid0(VALU_DEP_1) | instskip(NEXT) | instid1(VALU_DEP_1)
	v_div_fixup_f32 v114, v115, v114, 1.0
	v_mul_f32_e64 v115, v113, -v114
.LBB104_597:
	s_or_b32 exec_lo, exec_lo, s1
.LBB104_598:
	s_delay_alu instid0(SALU_CYCLE_1) | instskip(NEXT) | instid1(SALU_CYCLE_1)
	s_or_b32 exec_lo, exec_lo, s0
	s_mov_b32 s0, exec_lo
	v_cmpx_ne_u32_e64 v120, v112
	s_xor_b32 s0, exec_lo, s0
	s_cbranch_execz .LBB104_604
; %bb.599:
	s_mov_b32 s1, exec_lo
	v_cmpx_eq_u32_e32 28, v120
	s_cbranch_execz .LBB104_603
; %bb.600:
	v_cmp_ne_u32_e32 vcc_lo, 28, v112
	s_xor_b32 s12, s16, -1
	s_delay_alu instid0(SALU_CYCLE_1) | instskip(NEXT) | instid1(SALU_CYCLE_1)
	s_and_b32 s13, s12, vcc_lo
	s_and_saveexec_b32 s12, s13
	s_cbranch_execz .LBB104_602
; %bb.601:
	v_ashrrev_i32_e32 v113, 31, v112
	s_delay_alu instid0(VALU_DEP_1)
	v_lshl_add_u64 v[120:121], v[112:113], 2, v[4:5]
	s_clause 0x1
	global_load_b32 v113, v[120:121], off
	global_load_b32 v119, v[4:5], off offset:112
	s_wait_loadcnt 0x1
	global_store_b32 v[4:5], v113, off offset:112
	s_wait_loadcnt 0x0
	global_store_b32 v[120:121], v119, off
.LBB104_602:
	s_wait_xcnt 0x0
	s_or_b32 exec_lo, exec_lo, s12
	v_dual_mov_b32 v120, v112 :: v_dual_mov_b32 v119, v112
.LBB104_603:
	s_or_b32 exec_lo, exec_lo, s1
.LBB104_604:
	s_and_not1_saveexec_b32 s0, s0
	s_cbranch_execz .LBB104_606
; %bb.605:
	v_mov_b32_e32 v120, 28
	ds_store_2addr_b64 v116, v[48:49], v[50:51] offset0:29 offset1:30
	ds_store_2addr_b64 v116, v[46:47], v[44:45] offset0:31 offset1:32
	;; [unrolled: 1-line block ×12, first 2 shown]
.LBB104_606:
	s_or_b32 exec_lo, exec_lo, s0
	s_delay_alu instid0(SALU_CYCLE_1)
	s_mov_b32 s0, exec_lo
	s_wait_storecnt_dscnt 0x0
	s_barrier_signal -1
	s_barrier_wait -1
	v_cmpx_lt_i32_e32 28, v120
	s_cbranch_execz .LBB104_608
; %bb.607:
	v_pk_mul_f32 v[122:123], v[114:115], v[52:53] op_sel:[1,1] op_sel_hi:[0,1]
	s_delay_alu instid0(VALU_DEP_1)
	v_pk_fma_f32 v[112:113], v[114:115], v[52:53], v[122:123] op_sel_hi:[1,0,1] neg_lo:[0,0,1] neg_hi:[0,0,1]
	v_pk_fma_f32 v[114:115], v[114:115], v[52:53], v[122:123] op_sel_hi:[1,0,1]
	ds_load_2addr_b64 v[122:125], v116 offset0:29 offset1:30
	v_dual_mov_b32 v52, v112 :: v_dual_mov_b32 v53, v115
	s_wait_dscnt 0x0
	v_pk_mul_f32 v[126:127], v[122:123], v[114:115] op_sel:[0,1]
	s_delay_alu instid0(VALU_DEP_1) | instskip(SKIP_1) | instid1(VALU_DEP_1)
	v_pk_fma_f32 v[128:129], v[122:123], v[112:113], v[126:127] op_sel:[0,0,1] op_sel_hi:[1,1,0] neg_lo:[0,0,1] neg_hi:[0,0,1]
	v_pk_fma_f32 v[122:123], v[122:123], v[112:113], v[126:127] op_sel:[0,0,1] op_sel_hi:[1,0,0]
	v_mov_b32_e32 v129, v123
	v_pk_mul_f32 v[122:123], v[124:125], v[114:115] op_sel:[0,1]
	s_delay_alu instid0(VALU_DEP_1) | instskip(SKIP_1) | instid1(VALU_DEP_1)
	v_pk_fma_f32 v[126:127], v[124:125], v[112:113], v[122:123] op_sel:[0,0,1] op_sel_hi:[1,1,0] neg_lo:[0,0,1] neg_hi:[0,0,1]
	v_pk_fma_f32 v[122:123], v[124:125], v[112:113], v[122:123] op_sel:[0,0,1] op_sel_hi:[1,0,0]
	v_mov_b32_e32 v127, v123
	ds_load_2addr_b64 v[122:125], v116 offset0:31 offset1:32
	v_pk_add_f32 v[48:49], v[48:49], v[128:129] neg_lo:[0,1] neg_hi:[0,1]
	v_pk_add_f32 v[50:51], v[50:51], v[126:127] neg_lo:[0,1] neg_hi:[0,1]
	s_wait_dscnt 0x0
	v_pk_mul_f32 v[126:127], v[122:123], v[114:115] op_sel:[0,1]
	s_delay_alu instid0(VALU_DEP_1) | instskip(SKIP_2) | instid1(VALU_DEP_2)
	v_pk_fma_f32 v[128:129], v[122:123], v[112:113], v[126:127] op_sel:[0,0,1] op_sel_hi:[1,1,0] neg_lo:[0,0,1] neg_hi:[0,0,1]
	v_pk_fma_f32 v[122:123], v[122:123], v[112:113], v[126:127] op_sel:[0,0,1] op_sel_hi:[1,0,0]
	v_dual_mul_f32 v126, v125, v115 :: v_dual_mov_b32 v122, v125
	v_dual_mov_b32 v129, v123 :: v_dual_mov_b32 v123, v124
	s_delay_alu instid0(VALU_DEP_2) | instskip(SKIP_1) | instid1(VALU_DEP_3)
	v_pk_fma_f32 v[126:127], v[124:125], v[52:53], v[126:127] op_sel_hi:[1,1,0] neg_lo:[0,0,1] neg_hi:[0,0,1]
	v_mul_f32_e32 v124, v125, v112
	v_pk_add_f32 v[46:47], v[46:47], v[128:129] neg_lo:[0,1] neg_hi:[0,1]
	s_delay_alu instid0(VALU_DEP_2) | instskip(NEXT) | instid1(VALU_DEP_1)
	v_pk_fma_f32 v[122:123], v[122:123], v[52:53], v[124:125] op_sel_hi:[1,1,0]
	v_mov_b32_e32 v127, v123
	ds_load_2addr_b64 v[122:125], v116 offset0:33 offset1:34
	v_pk_add_f32 v[44:45], v[44:45], v[126:127] neg_lo:[0,1] neg_hi:[0,1]
	s_wait_dscnt 0x0
	v_pk_mul_f32 v[126:127], v[122:123], v[114:115] op_sel:[0,1]
	s_delay_alu instid0(VALU_DEP_1) | instskip(SKIP_1) | instid1(VALU_DEP_1)
	v_pk_fma_f32 v[128:129], v[122:123], v[112:113], v[126:127] op_sel:[0,0,1] op_sel_hi:[1,1,0] neg_lo:[0,0,1] neg_hi:[0,0,1]
	v_pk_fma_f32 v[122:123], v[122:123], v[112:113], v[126:127] op_sel:[0,0,1] op_sel_hi:[1,0,0]
	v_mov_b32_e32 v129, v123
	v_pk_mul_f32 v[122:123], v[124:125], v[114:115] op_sel:[0,1]
	s_delay_alu instid0(VALU_DEP_1) | instskip(SKIP_1) | instid1(VALU_DEP_1)
	v_pk_fma_f32 v[126:127], v[124:125], v[112:113], v[122:123] op_sel:[0,0,1] op_sel_hi:[1,1,0] neg_lo:[0,0,1] neg_hi:[0,0,1]
	v_pk_fma_f32 v[122:123], v[124:125], v[112:113], v[122:123] op_sel:[0,0,1] op_sel_hi:[1,0,0]
	v_mov_b32_e32 v127, v123
	ds_load_2addr_b64 v[122:125], v116 offset0:35 offset1:36
	v_pk_add_f32 v[40:41], v[40:41], v[128:129] neg_lo:[0,1] neg_hi:[0,1]
	v_pk_add_f32 v[42:43], v[42:43], v[126:127] neg_lo:[0,1] neg_hi:[0,1]
	s_wait_dscnt 0x0
	v_pk_mul_f32 v[126:127], v[122:123], v[114:115] op_sel:[0,1]
	s_delay_alu instid0(VALU_DEP_1) | instskip(SKIP_1) | instid1(VALU_DEP_1)
	v_pk_fma_f32 v[128:129], v[122:123], v[112:113], v[126:127] op_sel:[0,0,1] op_sel_hi:[1,1,0] neg_lo:[0,0,1] neg_hi:[0,0,1]
	v_pk_fma_f32 v[122:123], v[122:123], v[112:113], v[126:127] op_sel:[0,0,1] op_sel_hi:[1,0,0]
	v_mov_b32_e32 v129, v123
	v_pk_mul_f32 v[122:123], v[124:125], v[114:115] op_sel:[0,1]
	s_delay_alu instid0(VALU_DEP_1) | instskip(SKIP_1) | instid1(VALU_DEP_1)
	v_pk_fma_f32 v[126:127], v[124:125], v[112:113], v[122:123] op_sel:[0,0,1] op_sel_hi:[1,1,0] neg_lo:[0,0,1] neg_hi:[0,0,1]
	v_pk_fma_f32 v[122:123], v[124:125], v[112:113], v[122:123] op_sel:[0,0,1] op_sel_hi:[1,0,0]
	v_mov_b32_e32 v127, v123
	ds_load_2addr_b64 v[122:125], v116 offset0:37 offset1:38
	v_pk_add_f32 v[38:39], v[38:39], v[128:129] neg_lo:[0,1] neg_hi:[0,1]
	v_pk_add_f32 v[36:37], v[36:37], v[126:127] neg_lo:[0,1] neg_hi:[0,1]
	s_wait_dscnt 0x0
	v_dual_mul_f32 v126, v123, v115 :: v_dual_mul_f32 v128, v123, v112
	s_delay_alu instid0(VALU_DEP_1) | instskip(NEXT) | instid1(VALU_DEP_2)
	v_pk_fma_f32 v[126:127], v[122:123], v[52:53], v[126:127] op_sel_hi:[1,1,0] neg_lo:[0,0,1] neg_hi:[0,0,1]
	v_pk_fma_f32 v[122:123], v[122:123], v[52:53], v[128:129] op_sel:[1,0,0] op_sel_hi:[0,1,0]
	s_delay_alu instid0(VALU_DEP_1) | instskip(SKIP_1) | instid1(VALU_DEP_2)
	v_mov_b32_e32 v127, v123
	v_pk_mul_f32 v[122:123], v[124:125], v[114:115] op_sel:[0,1]
	v_pk_add_f32 v[32:33], v[32:33], v[126:127] neg_lo:[0,1] neg_hi:[0,1]
	s_delay_alu instid0(VALU_DEP_2) | instskip(SKIP_1) | instid1(VALU_DEP_1)
	v_pk_fma_f32 v[126:127], v[124:125], v[112:113], v[122:123] op_sel:[0,0,1] op_sel_hi:[1,1,0] neg_lo:[0,0,1] neg_hi:[0,0,1]
	v_pk_fma_f32 v[122:123], v[124:125], v[112:113], v[122:123] op_sel:[0,0,1] op_sel_hi:[1,0,0]
	v_mov_b32_e32 v127, v123
	ds_load_2addr_b64 v[122:125], v116 offset0:39 offset1:40
	v_pk_add_f32 v[34:35], v[34:35], v[126:127] neg_lo:[0,1] neg_hi:[0,1]
	s_wait_dscnt 0x0
	v_pk_mul_f32 v[126:127], v[122:123], v[114:115] op_sel:[0,1]
	s_delay_alu instid0(VALU_DEP_1) | instskip(SKIP_1) | instid1(VALU_DEP_1)
	v_pk_fma_f32 v[128:129], v[122:123], v[112:113], v[126:127] op_sel:[0,0,1] op_sel_hi:[1,1,0] neg_lo:[0,0,1] neg_hi:[0,0,1]
	v_pk_fma_f32 v[122:123], v[122:123], v[112:113], v[126:127] op_sel:[0,0,1] op_sel_hi:[1,0,0]
	v_mov_b32_e32 v129, v123
	v_pk_mul_f32 v[122:123], v[124:125], v[114:115] op_sel:[0,1]
	s_delay_alu instid0(VALU_DEP_2) | instskip(NEXT) | instid1(VALU_DEP_2)
	v_pk_add_f32 v[30:31], v[30:31], v[128:129] neg_lo:[0,1] neg_hi:[0,1]
	v_pk_fma_f32 v[126:127], v[124:125], v[112:113], v[122:123] op_sel:[0,0,1] op_sel_hi:[1,1,0] neg_lo:[0,0,1] neg_hi:[0,0,1]
	v_pk_fma_f32 v[122:123], v[124:125], v[112:113], v[122:123] op_sel:[0,0,1] op_sel_hi:[1,0,0]
	s_delay_alu instid0(VALU_DEP_1) | instskip(SKIP_4) | instid1(VALU_DEP_1)
	v_mov_b32_e32 v127, v123
	ds_load_2addr_b64 v[122:125], v116 offset0:41 offset1:42
	v_pk_add_f32 v[26:27], v[26:27], v[126:127] neg_lo:[0,1] neg_hi:[0,1]
	s_wait_dscnt 0x0
	v_pk_mul_f32 v[126:127], v[122:123], v[114:115] op_sel:[0,1]
	v_pk_fma_f32 v[128:129], v[122:123], v[112:113], v[126:127] op_sel:[0,0,1] op_sel_hi:[1,1,0] neg_lo:[0,0,1] neg_hi:[0,0,1]
	v_pk_fma_f32 v[122:123], v[122:123], v[112:113], v[126:127] op_sel:[0,0,1] op_sel_hi:[1,0,0]
	v_dual_mul_f32 v126, v125, v115 :: v_dual_mov_b32 v122, v125
	s_delay_alu instid0(VALU_DEP_2) | instskip(NEXT) | instid1(VALU_DEP_2)
	v_dual_mov_b32 v129, v123 :: v_dual_mov_b32 v123, v124
	v_pk_fma_f32 v[126:127], v[124:125], v[52:53], v[126:127] op_sel_hi:[1,1,0] neg_lo:[0,0,1] neg_hi:[0,0,1]
	v_mul_f32_e32 v124, v125, v112
	s_delay_alu instid0(VALU_DEP_3) | instskip(NEXT) | instid1(VALU_DEP_2)
	v_pk_add_f32 v[22:23], v[22:23], v[128:129] neg_lo:[0,1] neg_hi:[0,1]
	v_pk_fma_f32 v[122:123], v[122:123], v[52:53], v[124:125] op_sel_hi:[1,1,0]
	s_delay_alu instid0(VALU_DEP_1) | instskip(SKIP_4) | instid1(VALU_DEP_1)
	v_mov_b32_e32 v127, v123
	ds_load_2addr_b64 v[122:125], v116 offset0:43 offset1:44
	v_pk_add_f32 v[24:25], v[24:25], v[126:127] neg_lo:[0,1] neg_hi:[0,1]
	s_wait_dscnt 0x0
	v_pk_mul_f32 v[126:127], v[122:123], v[114:115] op_sel:[0,1]
	v_pk_fma_f32 v[128:129], v[122:123], v[112:113], v[126:127] op_sel:[0,0,1] op_sel_hi:[1,1,0] neg_lo:[0,0,1] neg_hi:[0,0,1]
	v_pk_fma_f32 v[122:123], v[122:123], v[112:113], v[126:127] op_sel:[0,0,1] op_sel_hi:[1,0,0]
	s_delay_alu instid0(VALU_DEP_1) | instskip(SKIP_1) | instid1(VALU_DEP_1)
	v_mov_b32_e32 v129, v123
	v_pk_mul_f32 v[122:123], v[124:125], v[114:115] op_sel:[0,1]
	v_pk_fma_f32 v[126:127], v[124:125], v[112:113], v[122:123] op_sel:[0,0,1] op_sel_hi:[1,1,0] neg_lo:[0,0,1] neg_hi:[0,0,1]
	v_pk_fma_f32 v[122:123], v[124:125], v[112:113], v[122:123] op_sel:[0,0,1] op_sel_hi:[1,0,0]
	s_delay_alu instid0(VALU_DEP_1)
	v_mov_b32_e32 v127, v123
	ds_load_2addr_b64 v[122:125], v116 offset0:45 offset1:46
	v_pk_add_f32 v[20:21], v[20:21], v[128:129] neg_lo:[0,1] neg_hi:[0,1]
	v_pk_add_f32 v[14:15], v[14:15], v[126:127] neg_lo:[0,1] neg_hi:[0,1]
	s_wait_dscnt 0x0
	v_pk_mul_f32 v[126:127], v[122:123], v[114:115] op_sel:[0,1]
	s_delay_alu instid0(VALU_DEP_1) | instskip(SKIP_1) | instid1(VALU_DEP_1)
	v_pk_fma_f32 v[128:129], v[122:123], v[112:113], v[126:127] op_sel:[0,0,1] op_sel_hi:[1,1,0] neg_lo:[0,0,1] neg_hi:[0,0,1]
	v_pk_fma_f32 v[122:123], v[122:123], v[112:113], v[126:127] op_sel:[0,0,1] op_sel_hi:[1,0,0]
	v_mov_b32_e32 v129, v123
	v_pk_mul_f32 v[122:123], v[124:125], v[114:115] op_sel:[0,1]
	s_delay_alu instid0(VALU_DEP_1) | instskip(SKIP_1) | instid1(VALU_DEP_1)
	v_pk_fma_f32 v[126:127], v[124:125], v[112:113], v[122:123] op_sel:[0,0,1] op_sel_hi:[1,1,0] neg_lo:[0,0,1] neg_hi:[0,0,1]
	v_pk_fma_f32 v[122:123], v[124:125], v[112:113], v[122:123] op_sel:[0,0,1] op_sel_hi:[1,0,0]
	v_mov_b32_e32 v127, v123
	ds_load_2addr_b64 v[122:125], v116 offset0:47 offset1:48
	v_pk_add_f32 v[10:11], v[10:11], v[128:129] neg_lo:[0,1] neg_hi:[0,1]
	v_pk_add_f32 v[12:13], v[12:13], v[126:127] neg_lo:[0,1] neg_hi:[0,1]
	s_wait_dscnt 0x0
	v_dual_mul_f32 v126, v123, v115 :: v_dual_mul_f32 v128, v123, v112
	s_delay_alu instid0(VALU_DEP_1) | instskip(NEXT) | instid1(VALU_DEP_2)
	v_pk_fma_f32 v[126:127], v[122:123], v[52:53], v[126:127] op_sel_hi:[1,1,0] neg_lo:[0,0,1] neg_hi:[0,0,1]
	v_pk_fma_f32 v[122:123], v[122:123], v[52:53], v[128:129] op_sel:[1,0,0] op_sel_hi:[0,1,0]
	s_delay_alu instid0(VALU_DEP_1) | instskip(SKIP_1) | instid1(VALU_DEP_2)
	v_mov_b32_e32 v127, v123
	v_pk_mul_f32 v[122:123], v[124:125], v[114:115] op_sel:[0,1]
	v_pk_add_f32 v[8:9], v[8:9], v[126:127] neg_lo:[0,1] neg_hi:[0,1]
	s_delay_alu instid0(VALU_DEP_2) | instskip(SKIP_1) | instid1(VALU_DEP_1)
	v_pk_fma_f32 v[126:127], v[124:125], v[112:113], v[122:123] op_sel:[0,0,1] op_sel_hi:[1,1,0] neg_lo:[0,0,1] neg_hi:[0,0,1]
	v_pk_fma_f32 v[122:123], v[124:125], v[112:113], v[122:123] op_sel:[0,0,1] op_sel_hi:[1,0,0]
	v_mov_b32_e32 v127, v123
	ds_load_2addr_b64 v[122:125], v116 offset0:49 offset1:50
	v_pk_add_f32 v[6:7], v[6:7], v[126:127] neg_lo:[0,1] neg_hi:[0,1]
	s_wait_dscnt 0x0
	v_pk_mul_f32 v[126:127], v[122:123], v[114:115] op_sel:[0,1]
	s_delay_alu instid0(VALU_DEP_1) | instskip(SKIP_1) | instid1(VALU_DEP_1)
	v_pk_fma_f32 v[128:129], v[122:123], v[112:113], v[126:127] op_sel:[0,0,1] op_sel_hi:[1,1,0] neg_lo:[0,0,1] neg_hi:[0,0,1]
	v_pk_fma_f32 v[122:123], v[122:123], v[112:113], v[126:127] op_sel:[0,0,1] op_sel_hi:[1,0,0]
	v_mov_b32_e32 v129, v123
	v_pk_mul_f32 v[122:123], v[124:125], v[114:115] op_sel:[0,1]
	s_delay_alu instid0(VALU_DEP_2) | instskip(NEXT) | instid1(VALU_DEP_2)
	v_pk_add_f32 v[28:29], v[28:29], v[128:129] neg_lo:[0,1] neg_hi:[0,1]
	v_pk_fma_f32 v[126:127], v[124:125], v[112:113], v[122:123] op_sel:[0,0,1] op_sel_hi:[1,1,0] neg_lo:[0,0,1] neg_hi:[0,0,1]
	v_pk_fma_f32 v[122:123], v[124:125], v[112:113], v[122:123] op_sel:[0,0,1] op_sel_hi:[1,0,0]
	s_delay_alu instid0(VALU_DEP_1)
	v_mov_b32_e32 v127, v123
	ds_load_2addr_b64 v[122:125], v116 offset0:51 offset1:52
	v_pk_add_f32 v[18:19], v[18:19], v[126:127] neg_lo:[0,1] neg_hi:[0,1]
	s_wait_dscnt 0x0
	v_pk_mul_f32 v[126:127], v[122:123], v[114:115] op_sel:[0,1]
	v_mul_f32_e32 v114, v125, v115
	s_delay_alu instid0(VALU_DEP_2) | instskip(SKIP_2) | instid1(VALU_DEP_4)
	v_pk_fma_f32 v[128:129], v[122:123], v[112:113], v[126:127] op_sel:[0,0,1] op_sel_hi:[1,1,0] neg_lo:[0,0,1] neg_hi:[0,0,1]
	v_pk_fma_f32 v[122:123], v[122:123], v[112:113], v[126:127] op_sel:[0,0,1] op_sel_hi:[1,0,0]
	v_dual_mov_b32 v122, v125 :: v_dual_mul_f32 v112, v125, v112
	v_pk_fma_f32 v[114:115], v[124:125], v[52:53], v[114:115] op_sel_hi:[1,1,0] neg_lo:[0,0,1] neg_hi:[0,0,1]
	s_delay_alu instid0(VALU_DEP_3) | instskip(NEXT) | instid1(VALU_DEP_1)
	v_dual_mov_b32 v129, v123 :: v_dual_mov_b32 v123, v124
	v_pk_add_f32 v[16:17], v[16:17], v[128:129] neg_lo:[0,1] neg_hi:[0,1]
	s_delay_alu instid0(VALU_DEP_2) | instskip(NEXT) | instid1(VALU_DEP_1)
	v_pk_fma_f32 v[112:113], v[122:123], v[52:53], v[112:113] op_sel_hi:[1,1,0]
	v_mov_b32_e32 v115, v113
	s_delay_alu instid0(VALU_DEP_1)
	v_pk_add_f32 v[110:111], v[110:111], v[114:115] neg_lo:[0,1] neg_hi:[0,1]
.LBB104_608:
	s_or_b32 exec_lo, exec_lo, s0
	v_lshl_add_u32 v112, v120, 3, v116
	s_barrier_signal -1
	s_barrier_wait -1
	ds_store_b64 v112, v[48:49]
	s_wait_dscnt 0x0
	s_barrier_signal -1
	s_barrier_wait -1
	ds_load_b64 v[114:115], v116 offset:232
	v_mov_b32_e32 v112, 29
	s_cmp_lt_i32 s18, 31
	s_cbranch_scc1 .LBB104_611
; %bb.609:
	v_add3_u32 v113, v117, 0, 0xf0
	v_mov_b32_e32 v112, 29
	s_mov_b32 s0, 30
.LBB104_610:                            ; =>This Inner Loop Header: Depth=1
	ds_load_b64 v[122:123], v113
	s_wait_dscnt 0x1
	v_cmp_gt_f32_e32 vcc_lo, 0, v114
	v_cndmask_b32_e64 v124, v114, -v114, vcc_lo
	v_cmp_gt_f32_e32 vcc_lo, 0, v115
	v_cndmask_b32_e64 v126, v115, -v115, vcc_lo
	s_wait_dscnt 0x0
	v_cmp_gt_f32_e32 vcc_lo, 0, v122
	v_cndmask_b32_e64 v125, v122, -v122, vcc_lo
	v_cmp_gt_f32_e32 vcc_lo, 0, v123
	v_cndmask_b32_e64 v127, v123, -v123, vcc_lo
	s_delay_alu instid0(VALU_DEP_1) | instskip(NEXT) | instid1(VALU_DEP_1)
	v_pk_add_f32 v[124:125], v[124:125], v[126:127]
	v_cmp_lt_f32_e32 vcc_lo, v124, v125
	v_dual_add_nc_u32 v113, 8, v113 :: v_dual_cndmask_b32 v115, v115, v123, vcc_lo
	v_cndmask_b32_e32 v114, v114, v122, vcc_lo
	v_cndmask_b32_e64 v112, v112, s0, vcc_lo
	s_add_co_i32 s0, s0, 1
	s_delay_alu instid0(SALU_CYCLE_1)
	s_cmp_lg_u32 s18, s0
	s_cbranch_scc1 .LBB104_610
.LBB104_611:
	s_wait_dscnt 0x0
	v_cmp_eq_f32_e32 vcc_lo, 0, v114
	v_cmp_eq_f32_e64 s0, 0, v115
	s_and_b32 s0, vcc_lo, s0
	s_delay_alu instid0(SALU_CYCLE_1) | instskip(NEXT) | instid1(SALU_CYCLE_1)
	s_and_saveexec_b32 s1, s0
	s_xor_b32 s0, exec_lo, s1
; %bb.612:
	v_cmp_ne_u32_e32 vcc_lo, 0, v118
	v_cndmask_b32_e32 v118, 30, v118, vcc_lo
; %bb.613:
	s_and_not1_saveexec_b32 s0, s0
	s_cbranch_execz .LBB104_619
; %bb.614:
	v_cmp_ngt_f32_e64 s1, |v114|, |v115|
	s_and_saveexec_b32 s12, s1
	s_delay_alu instid0(SALU_CYCLE_1)
	s_xor_b32 s1, exec_lo, s12
	s_cbranch_execz .LBB104_616
; %bb.615:
	v_div_scale_f32 v113, null, v115, v115, v114
	v_div_scale_f32 v123, vcc_lo, v114, v115, v114
	s_delay_alu instid0(VALU_DEP_2) | instskip(SKIP_1) | instid1(TRANS32_DEP_1)
	v_rcp_f32_e32 v121, v113
	v_nop
	v_fma_f32 v122, -v113, v121, 1.0
	s_delay_alu instid0(VALU_DEP_1) | instskip(NEXT) | instid1(VALU_DEP_1)
	v_fmac_f32_e32 v121, v122, v121
	v_mul_f32_e32 v122, v123, v121
	s_delay_alu instid0(VALU_DEP_1) | instskip(NEXT) | instid1(VALU_DEP_1)
	v_fma_f32 v124, -v113, v122, v123
	v_fmac_f32_e32 v122, v124, v121
	s_delay_alu instid0(VALU_DEP_1) | instskip(NEXT) | instid1(VALU_DEP_1)
	v_fma_f32 v113, -v113, v122, v123
	v_div_fmas_f32 v113, v113, v121, v122
	s_delay_alu instid0(VALU_DEP_1) | instskip(NEXT) | instid1(VALU_DEP_1)
	v_div_fixup_f32 v113, v113, v115, v114
	v_fmac_f32_e32 v115, v114, v113
	s_delay_alu instid0(VALU_DEP_1) | instskip(SKIP_1) | instid1(VALU_DEP_2)
	v_div_scale_f32 v114, null, v115, v115, 1.0
	v_div_scale_f32 v123, vcc_lo, 1.0, v115, 1.0
	v_rcp_f32_e32 v121, v114
	v_nop
	s_delay_alu instid0(TRANS32_DEP_1) | instskip(NEXT) | instid1(VALU_DEP_1)
	v_fma_f32 v122, -v114, v121, 1.0
	v_fmac_f32_e32 v121, v122, v121
	s_delay_alu instid0(VALU_DEP_1) | instskip(NEXT) | instid1(VALU_DEP_1)
	v_mul_f32_e32 v122, v123, v121
	v_fma_f32 v124, -v114, v122, v123
	s_delay_alu instid0(VALU_DEP_1) | instskip(NEXT) | instid1(VALU_DEP_1)
	v_fmac_f32_e32 v122, v124, v121
	v_fma_f32 v114, -v114, v122, v123
	s_delay_alu instid0(VALU_DEP_1) | instskip(NEXT) | instid1(VALU_DEP_1)
	v_div_fmas_f32 v114, v114, v121, v122
	v_div_fixup_f32 v115, v114, v115, 1.0
	s_delay_alu instid0(VALU_DEP_1)
	v_mul_f32_e32 v114, v113, v115
	v_xor_b32_e32 v115, 0x80000000, v115
.LBB104_616:
	s_and_not1_saveexec_b32 s1, s1
	s_cbranch_execz .LBB104_618
; %bb.617:
	s_delay_alu instid0(VALU_DEP_1) | instskip(SKIP_1) | instid1(VALU_DEP_2)
	v_div_scale_f32 v113, null, v114, v114, v115
	v_div_scale_f32 v123, vcc_lo, v115, v114, v115
	v_rcp_f32_e32 v121, v113
	v_nop
	s_delay_alu instid0(TRANS32_DEP_1) | instskip(NEXT) | instid1(VALU_DEP_1)
	v_fma_f32 v122, -v113, v121, 1.0
	v_fmac_f32_e32 v121, v122, v121
	s_delay_alu instid0(VALU_DEP_1) | instskip(NEXT) | instid1(VALU_DEP_1)
	v_mul_f32_e32 v122, v123, v121
	v_fma_f32 v124, -v113, v122, v123
	s_delay_alu instid0(VALU_DEP_1) | instskip(NEXT) | instid1(VALU_DEP_1)
	v_fmac_f32_e32 v122, v124, v121
	v_fma_f32 v113, -v113, v122, v123
	s_delay_alu instid0(VALU_DEP_1) | instskip(NEXT) | instid1(VALU_DEP_1)
	v_div_fmas_f32 v113, v113, v121, v122
	v_div_fixup_f32 v113, v113, v114, v115
	s_delay_alu instid0(VALU_DEP_1) | instskip(NEXT) | instid1(VALU_DEP_1)
	v_fmac_f32_e32 v114, v115, v113
	v_div_scale_f32 v115, null, v114, v114, 1.0
	s_delay_alu instid0(VALU_DEP_1) | instskip(SKIP_1) | instid1(TRANS32_DEP_1)
	v_rcp_f32_e32 v121, v115
	v_nop
	v_fma_f32 v122, -v115, v121, 1.0
	s_delay_alu instid0(VALU_DEP_1) | instskip(SKIP_1) | instid1(VALU_DEP_1)
	v_fmac_f32_e32 v121, v122, v121
	v_div_scale_f32 v122, vcc_lo, 1.0, v114, 1.0
	v_mul_f32_e32 v123, v122, v121
	s_delay_alu instid0(VALU_DEP_1) | instskip(NEXT) | instid1(VALU_DEP_1)
	v_fma_f32 v124, -v115, v123, v122
	v_fmac_f32_e32 v123, v124, v121
	s_delay_alu instid0(VALU_DEP_1) | instskip(NEXT) | instid1(VALU_DEP_1)
	v_fma_f32 v115, -v115, v123, v122
	v_div_fmas_f32 v115, v115, v121, v123
	s_delay_alu instid0(VALU_DEP_1) | instskip(NEXT) | instid1(VALU_DEP_1)
	v_div_fixup_f32 v114, v115, v114, 1.0
	v_mul_f32_e64 v115, v113, -v114
.LBB104_618:
	s_or_b32 exec_lo, exec_lo, s1
.LBB104_619:
	s_delay_alu instid0(SALU_CYCLE_1) | instskip(NEXT) | instid1(SALU_CYCLE_1)
	s_or_b32 exec_lo, exec_lo, s0
	s_mov_b32 s0, exec_lo
	v_cmpx_ne_u32_e64 v120, v112
	s_xor_b32 s0, exec_lo, s0
	s_cbranch_execz .LBB104_625
; %bb.620:
	s_mov_b32 s1, exec_lo
	v_cmpx_eq_u32_e32 29, v120
	s_cbranch_execz .LBB104_624
; %bb.621:
	v_cmp_ne_u32_e32 vcc_lo, 29, v112
	s_xor_b32 s12, s16, -1
	s_delay_alu instid0(SALU_CYCLE_1) | instskip(NEXT) | instid1(SALU_CYCLE_1)
	s_and_b32 s13, s12, vcc_lo
	s_and_saveexec_b32 s12, s13
	s_cbranch_execz .LBB104_623
; %bb.622:
	v_ashrrev_i32_e32 v113, 31, v112
	s_delay_alu instid0(VALU_DEP_1)
	v_lshl_add_u64 v[120:121], v[112:113], 2, v[4:5]
	s_clause 0x1
	global_load_b32 v113, v[120:121], off
	global_load_b32 v119, v[4:5], off offset:116
	s_wait_loadcnt 0x1
	global_store_b32 v[4:5], v113, off offset:116
	s_wait_loadcnt 0x0
	global_store_b32 v[120:121], v119, off
.LBB104_623:
	s_wait_xcnt 0x0
	s_or_b32 exec_lo, exec_lo, s12
	v_dual_mov_b32 v120, v112 :: v_dual_mov_b32 v119, v112
.LBB104_624:
	s_or_b32 exec_lo, exec_lo, s1
.LBB104_625:
	s_and_not1_saveexec_b32 s0, s0
	s_cbranch_execz .LBB104_627
; %bb.626:
	v_dual_mov_b32 v112, v50 :: v_dual_mov_b32 v113, v51
	v_dual_mov_b32 v120, v46 :: v_dual_mov_b32 v121, v47
	;; [unrolled: 1-line block ×12, first 2 shown]
	ds_store_2addr_b64 v116, v[112:113], v[120:121] offset0:30 offset1:31
	ds_store_2addr_b64 v116, v[122:123], v[124:125] offset0:32 offset1:33
	ds_store_2addr_b64 v116, v[126:127], v[128:129] offset0:34 offset1:35
	ds_store_2addr_b64 v116, v[130:131], v[132:133] offset0:36 offset1:37
	ds_store_2addr_b64 v116, v[134:135], v[136:137] offset0:38 offset1:39
	ds_store_2addr_b64 v116, v[138:139], v[140:141] offset0:40 offset1:41
	v_dual_mov_b32 v112, v24 :: v_dual_mov_b32 v113, v25
	v_dual_mov_b32 v120, v20 :: v_dual_mov_b32 v121, v21
	;; [unrolled: 1-line block ×6, first 2 shown]
	ds_store_2addr_b64 v116, v[112:113], v[120:121] offset0:42 offset1:43
	ds_store_2addr_b64 v116, v[122:123], v[124:125] offset0:44 offset1:45
	v_dual_mov_b32 v120, 29 :: v_dual_mov_b32 v130, v6
	v_dual_mov_b32 v131, v7 :: v_dual_mov_b32 v132, v28
	;; [unrolled: 1-line block ×4, first 2 shown]
	v_mov_b32_e32 v137, v17
	ds_store_2addr_b64 v116, v[126:127], v[128:129] offset0:46 offset1:47
	ds_store_2addr_b64 v116, v[130:131], v[132:133] offset0:48 offset1:49
	;; [unrolled: 1-line block ×3, first 2 shown]
	ds_store_b64 v116, v[110:111] offset:416
.LBB104_627:
	s_or_b32 exec_lo, exec_lo, s0
	s_delay_alu instid0(SALU_CYCLE_1)
	s_mov_b32 s0, exec_lo
	s_wait_storecnt_dscnt 0x0
	s_barrier_signal -1
	s_barrier_wait -1
	v_cmpx_lt_i32_e32 29, v120
	s_cbranch_execz .LBB104_629
; %bb.628:
	v_pk_mul_f32 v[122:123], v[114:115], v[48:49] op_sel:[1,1] op_sel_hi:[0,1]
	s_delay_alu instid0(VALU_DEP_1)
	v_pk_fma_f32 v[112:113], v[114:115], v[48:49], v[122:123] op_sel_hi:[1,0,1] neg_lo:[0,0,1] neg_hi:[0,0,1]
	v_pk_fma_f32 v[114:115], v[114:115], v[48:49], v[122:123] op_sel_hi:[1,0,1]
	ds_load_2addr_b64 v[122:125], v116 offset0:30 offset1:31
	v_dual_mov_b32 v48, v112 :: v_dual_mov_b32 v49, v115
	s_wait_dscnt 0x0
	v_pk_mul_f32 v[126:127], v[122:123], v[114:115] op_sel:[0,1]
	s_delay_alu instid0(VALU_DEP_1) | instskip(SKIP_1) | instid1(VALU_DEP_1)
	v_pk_fma_f32 v[128:129], v[122:123], v[112:113], v[126:127] op_sel:[0,0,1] op_sel_hi:[1,1,0] neg_lo:[0,0,1] neg_hi:[0,0,1]
	v_pk_fma_f32 v[122:123], v[122:123], v[112:113], v[126:127] op_sel:[0,0,1] op_sel_hi:[1,0,0]
	v_mov_b32_e32 v129, v123
	v_pk_mul_f32 v[122:123], v[124:125], v[114:115] op_sel:[0,1]
	s_delay_alu instid0(VALU_DEP_1) | instskip(SKIP_1) | instid1(VALU_DEP_1)
	v_pk_fma_f32 v[126:127], v[124:125], v[112:113], v[122:123] op_sel:[0,0,1] op_sel_hi:[1,1,0] neg_lo:[0,0,1] neg_hi:[0,0,1]
	v_pk_fma_f32 v[122:123], v[124:125], v[112:113], v[122:123] op_sel:[0,0,1] op_sel_hi:[1,0,0]
	v_mov_b32_e32 v127, v123
	ds_load_2addr_b64 v[122:125], v116 offset0:32 offset1:33
	v_pk_add_f32 v[50:51], v[50:51], v[128:129] neg_lo:[0,1] neg_hi:[0,1]
	v_pk_add_f32 v[46:47], v[46:47], v[126:127] neg_lo:[0,1] neg_hi:[0,1]
	s_wait_dscnt 0x0
	v_pk_mul_f32 v[126:127], v[122:123], v[114:115] op_sel:[0,1]
	s_delay_alu instid0(VALU_DEP_1) | instskip(SKIP_2) | instid1(VALU_DEP_2)
	v_pk_fma_f32 v[128:129], v[122:123], v[112:113], v[126:127] op_sel:[0,0,1] op_sel_hi:[1,1,0] neg_lo:[0,0,1] neg_hi:[0,0,1]
	v_pk_fma_f32 v[122:123], v[122:123], v[112:113], v[126:127] op_sel:[0,0,1] op_sel_hi:[1,0,0]
	v_dual_mul_f32 v126, v125, v115 :: v_dual_mov_b32 v122, v125
	v_dual_mov_b32 v129, v123 :: v_dual_mov_b32 v123, v124
	s_delay_alu instid0(VALU_DEP_2) | instskip(SKIP_1) | instid1(VALU_DEP_3)
	v_pk_fma_f32 v[126:127], v[124:125], v[48:49], v[126:127] op_sel_hi:[1,1,0] neg_lo:[0,0,1] neg_hi:[0,0,1]
	v_mul_f32_e32 v124, v125, v112
	v_pk_add_f32 v[44:45], v[44:45], v[128:129] neg_lo:[0,1] neg_hi:[0,1]
	s_delay_alu instid0(VALU_DEP_2) | instskip(NEXT) | instid1(VALU_DEP_1)
	v_pk_fma_f32 v[122:123], v[122:123], v[48:49], v[124:125] op_sel_hi:[1,1,0]
	v_mov_b32_e32 v127, v123
	ds_load_2addr_b64 v[122:125], v116 offset0:34 offset1:35
	v_pk_add_f32 v[40:41], v[40:41], v[126:127] neg_lo:[0,1] neg_hi:[0,1]
	s_wait_dscnt 0x0
	v_pk_mul_f32 v[126:127], v[122:123], v[114:115] op_sel:[0,1]
	s_delay_alu instid0(VALU_DEP_1) | instskip(SKIP_1) | instid1(VALU_DEP_1)
	v_pk_fma_f32 v[128:129], v[122:123], v[112:113], v[126:127] op_sel:[0,0,1] op_sel_hi:[1,1,0] neg_lo:[0,0,1] neg_hi:[0,0,1]
	v_pk_fma_f32 v[122:123], v[122:123], v[112:113], v[126:127] op_sel:[0,0,1] op_sel_hi:[1,0,0]
	v_mov_b32_e32 v129, v123
	v_pk_mul_f32 v[122:123], v[124:125], v[114:115] op_sel:[0,1]
	s_delay_alu instid0(VALU_DEP_1) | instskip(SKIP_1) | instid1(VALU_DEP_1)
	v_pk_fma_f32 v[126:127], v[124:125], v[112:113], v[122:123] op_sel:[0,0,1] op_sel_hi:[1,1,0] neg_lo:[0,0,1] neg_hi:[0,0,1]
	v_pk_fma_f32 v[122:123], v[124:125], v[112:113], v[122:123] op_sel:[0,0,1] op_sel_hi:[1,0,0]
	v_mov_b32_e32 v127, v123
	ds_load_2addr_b64 v[122:125], v116 offset0:36 offset1:37
	v_pk_add_f32 v[42:43], v[42:43], v[128:129] neg_lo:[0,1] neg_hi:[0,1]
	v_pk_add_f32 v[38:39], v[38:39], v[126:127] neg_lo:[0,1] neg_hi:[0,1]
	s_wait_dscnt 0x0
	v_pk_mul_f32 v[126:127], v[122:123], v[114:115] op_sel:[0,1]
	s_delay_alu instid0(VALU_DEP_1) | instskip(SKIP_1) | instid1(VALU_DEP_1)
	v_pk_fma_f32 v[128:129], v[122:123], v[112:113], v[126:127] op_sel:[0,0,1] op_sel_hi:[1,1,0] neg_lo:[0,0,1] neg_hi:[0,0,1]
	v_pk_fma_f32 v[122:123], v[122:123], v[112:113], v[126:127] op_sel:[0,0,1] op_sel_hi:[1,0,0]
	v_mov_b32_e32 v129, v123
	v_pk_mul_f32 v[122:123], v[124:125], v[114:115] op_sel:[0,1]
	s_delay_alu instid0(VALU_DEP_1) | instskip(SKIP_1) | instid1(VALU_DEP_1)
	v_pk_fma_f32 v[126:127], v[124:125], v[112:113], v[122:123] op_sel:[0,0,1] op_sel_hi:[1,1,0] neg_lo:[0,0,1] neg_hi:[0,0,1]
	v_pk_fma_f32 v[122:123], v[124:125], v[112:113], v[122:123] op_sel:[0,0,1] op_sel_hi:[1,0,0]
	v_mov_b32_e32 v127, v123
	ds_load_2addr_b64 v[122:125], v116 offset0:38 offset1:39
	v_pk_add_f32 v[36:37], v[36:37], v[128:129] neg_lo:[0,1] neg_hi:[0,1]
	v_pk_add_f32 v[32:33], v[32:33], v[126:127] neg_lo:[0,1] neg_hi:[0,1]
	s_wait_dscnt 0x0
	v_dual_mul_f32 v126, v123, v115 :: v_dual_mul_f32 v128, v123, v112
	s_delay_alu instid0(VALU_DEP_1) | instskip(NEXT) | instid1(VALU_DEP_2)
	v_pk_fma_f32 v[126:127], v[122:123], v[48:49], v[126:127] op_sel_hi:[1,1,0] neg_lo:[0,0,1] neg_hi:[0,0,1]
	v_pk_fma_f32 v[122:123], v[122:123], v[48:49], v[128:129] op_sel:[1,0,0] op_sel_hi:[0,1,0]
	s_delay_alu instid0(VALU_DEP_1) | instskip(SKIP_1) | instid1(VALU_DEP_2)
	v_mov_b32_e32 v127, v123
	v_pk_mul_f32 v[122:123], v[124:125], v[114:115] op_sel:[0,1]
	v_pk_add_f32 v[34:35], v[34:35], v[126:127] neg_lo:[0,1] neg_hi:[0,1]
	s_delay_alu instid0(VALU_DEP_2) | instskip(SKIP_1) | instid1(VALU_DEP_1)
	v_pk_fma_f32 v[126:127], v[124:125], v[112:113], v[122:123] op_sel:[0,0,1] op_sel_hi:[1,1,0] neg_lo:[0,0,1] neg_hi:[0,0,1]
	v_pk_fma_f32 v[122:123], v[124:125], v[112:113], v[122:123] op_sel:[0,0,1] op_sel_hi:[1,0,0]
	v_mov_b32_e32 v127, v123
	ds_load_2addr_b64 v[122:125], v116 offset0:40 offset1:41
	v_pk_add_f32 v[30:31], v[30:31], v[126:127] neg_lo:[0,1] neg_hi:[0,1]
	s_wait_dscnt 0x0
	v_pk_mul_f32 v[126:127], v[122:123], v[114:115] op_sel:[0,1]
	s_delay_alu instid0(VALU_DEP_1) | instskip(SKIP_1) | instid1(VALU_DEP_1)
	v_pk_fma_f32 v[128:129], v[122:123], v[112:113], v[126:127] op_sel:[0,0,1] op_sel_hi:[1,1,0] neg_lo:[0,0,1] neg_hi:[0,0,1]
	v_pk_fma_f32 v[122:123], v[122:123], v[112:113], v[126:127] op_sel:[0,0,1] op_sel_hi:[1,0,0]
	v_mov_b32_e32 v129, v123
	v_pk_mul_f32 v[122:123], v[124:125], v[114:115] op_sel:[0,1]
	s_delay_alu instid0(VALU_DEP_2) | instskip(NEXT) | instid1(VALU_DEP_2)
	v_pk_add_f32 v[26:27], v[26:27], v[128:129] neg_lo:[0,1] neg_hi:[0,1]
	v_pk_fma_f32 v[126:127], v[124:125], v[112:113], v[122:123] op_sel:[0,0,1] op_sel_hi:[1,1,0] neg_lo:[0,0,1] neg_hi:[0,0,1]
	v_pk_fma_f32 v[122:123], v[124:125], v[112:113], v[122:123] op_sel:[0,0,1] op_sel_hi:[1,0,0]
	s_delay_alu instid0(VALU_DEP_1) | instskip(SKIP_4) | instid1(VALU_DEP_1)
	v_mov_b32_e32 v127, v123
	ds_load_2addr_b64 v[122:125], v116 offset0:42 offset1:43
	v_pk_add_f32 v[22:23], v[22:23], v[126:127] neg_lo:[0,1] neg_hi:[0,1]
	s_wait_dscnt 0x0
	v_pk_mul_f32 v[126:127], v[122:123], v[114:115] op_sel:[0,1]
	v_pk_fma_f32 v[128:129], v[122:123], v[112:113], v[126:127] op_sel:[0,0,1] op_sel_hi:[1,1,0] neg_lo:[0,0,1] neg_hi:[0,0,1]
	v_pk_fma_f32 v[122:123], v[122:123], v[112:113], v[126:127] op_sel:[0,0,1] op_sel_hi:[1,0,0]
	v_dual_mul_f32 v126, v125, v115 :: v_dual_mov_b32 v122, v125
	s_delay_alu instid0(VALU_DEP_2) | instskip(NEXT) | instid1(VALU_DEP_2)
	v_dual_mov_b32 v129, v123 :: v_dual_mov_b32 v123, v124
	v_pk_fma_f32 v[126:127], v[124:125], v[48:49], v[126:127] op_sel_hi:[1,1,0] neg_lo:[0,0,1] neg_hi:[0,0,1]
	v_mul_f32_e32 v124, v125, v112
	s_delay_alu instid0(VALU_DEP_3) | instskip(NEXT) | instid1(VALU_DEP_2)
	v_pk_add_f32 v[24:25], v[24:25], v[128:129] neg_lo:[0,1] neg_hi:[0,1]
	v_pk_fma_f32 v[122:123], v[122:123], v[48:49], v[124:125] op_sel_hi:[1,1,0]
	s_delay_alu instid0(VALU_DEP_1) | instskip(SKIP_4) | instid1(VALU_DEP_1)
	v_mov_b32_e32 v127, v123
	ds_load_2addr_b64 v[122:125], v116 offset0:44 offset1:45
	v_pk_add_f32 v[20:21], v[20:21], v[126:127] neg_lo:[0,1] neg_hi:[0,1]
	s_wait_dscnt 0x0
	v_pk_mul_f32 v[126:127], v[122:123], v[114:115] op_sel:[0,1]
	v_pk_fma_f32 v[128:129], v[122:123], v[112:113], v[126:127] op_sel:[0,0,1] op_sel_hi:[1,1,0] neg_lo:[0,0,1] neg_hi:[0,0,1]
	v_pk_fma_f32 v[122:123], v[122:123], v[112:113], v[126:127] op_sel:[0,0,1] op_sel_hi:[1,0,0]
	s_delay_alu instid0(VALU_DEP_1) | instskip(SKIP_1) | instid1(VALU_DEP_1)
	v_mov_b32_e32 v129, v123
	v_pk_mul_f32 v[122:123], v[124:125], v[114:115] op_sel:[0,1]
	v_pk_fma_f32 v[126:127], v[124:125], v[112:113], v[122:123] op_sel:[0,0,1] op_sel_hi:[1,1,0] neg_lo:[0,0,1] neg_hi:[0,0,1]
	v_pk_fma_f32 v[122:123], v[124:125], v[112:113], v[122:123] op_sel:[0,0,1] op_sel_hi:[1,0,0]
	s_delay_alu instid0(VALU_DEP_1)
	v_mov_b32_e32 v127, v123
	ds_load_2addr_b64 v[122:125], v116 offset0:46 offset1:47
	v_pk_add_f32 v[14:15], v[14:15], v[128:129] neg_lo:[0,1] neg_hi:[0,1]
	v_pk_add_f32 v[10:11], v[10:11], v[126:127] neg_lo:[0,1] neg_hi:[0,1]
	s_wait_dscnt 0x0
	v_pk_mul_f32 v[126:127], v[122:123], v[114:115] op_sel:[0,1]
	s_delay_alu instid0(VALU_DEP_1) | instskip(SKIP_1) | instid1(VALU_DEP_1)
	v_pk_fma_f32 v[128:129], v[122:123], v[112:113], v[126:127] op_sel:[0,0,1] op_sel_hi:[1,1,0] neg_lo:[0,0,1] neg_hi:[0,0,1]
	v_pk_fma_f32 v[122:123], v[122:123], v[112:113], v[126:127] op_sel:[0,0,1] op_sel_hi:[1,0,0]
	v_mov_b32_e32 v129, v123
	v_pk_mul_f32 v[122:123], v[124:125], v[114:115] op_sel:[0,1]
	s_delay_alu instid0(VALU_DEP_1) | instskip(SKIP_1) | instid1(VALU_DEP_1)
	v_pk_fma_f32 v[126:127], v[124:125], v[112:113], v[122:123] op_sel:[0,0,1] op_sel_hi:[1,1,0] neg_lo:[0,0,1] neg_hi:[0,0,1]
	v_pk_fma_f32 v[122:123], v[124:125], v[112:113], v[122:123] op_sel:[0,0,1] op_sel_hi:[1,0,0]
	v_mov_b32_e32 v127, v123
	ds_load_2addr_b64 v[122:125], v116 offset0:48 offset1:49
	v_pk_add_f32 v[12:13], v[12:13], v[128:129] neg_lo:[0,1] neg_hi:[0,1]
	v_pk_add_f32 v[8:9], v[8:9], v[126:127] neg_lo:[0,1] neg_hi:[0,1]
	s_wait_dscnt 0x0
	v_dual_mul_f32 v126, v123, v115 :: v_dual_mul_f32 v128, v123, v112
	s_delay_alu instid0(VALU_DEP_1) | instskip(NEXT) | instid1(VALU_DEP_2)
	v_pk_fma_f32 v[126:127], v[122:123], v[48:49], v[126:127] op_sel_hi:[1,1,0] neg_lo:[0,0,1] neg_hi:[0,0,1]
	v_pk_fma_f32 v[122:123], v[122:123], v[48:49], v[128:129] op_sel:[1,0,0] op_sel_hi:[0,1,0]
	s_delay_alu instid0(VALU_DEP_1) | instskip(SKIP_1) | instid1(VALU_DEP_2)
	v_mov_b32_e32 v127, v123
	v_pk_mul_f32 v[122:123], v[124:125], v[114:115] op_sel:[0,1]
	v_pk_add_f32 v[6:7], v[6:7], v[126:127] neg_lo:[0,1] neg_hi:[0,1]
	s_delay_alu instid0(VALU_DEP_2) | instskip(SKIP_1) | instid1(VALU_DEP_1)
	v_pk_fma_f32 v[126:127], v[124:125], v[112:113], v[122:123] op_sel:[0,0,1] op_sel_hi:[1,1,0] neg_lo:[0,0,1] neg_hi:[0,0,1]
	v_pk_fma_f32 v[122:123], v[124:125], v[112:113], v[122:123] op_sel:[0,0,1] op_sel_hi:[1,0,0]
	v_mov_b32_e32 v127, v123
	ds_load_2addr_b64 v[122:125], v116 offset0:50 offset1:51
	v_pk_add_f32 v[28:29], v[28:29], v[126:127] neg_lo:[0,1] neg_hi:[0,1]
	s_wait_dscnt 0x0
	v_pk_mul_f32 v[126:127], v[122:123], v[114:115] op_sel:[0,1]
	s_delay_alu instid0(VALU_DEP_1) | instskip(SKIP_1) | instid1(VALU_DEP_1)
	v_pk_fma_f32 v[128:129], v[122:123], v[112:113], v[126:127] op_sel:[0,0,1] op_sel_hi:[1,1,0] neg_lo:[0,0,1] neg_hi:[0,0,1]
	v_pk_fma_f32 v[122:123], v[122:123], v[112:113], v[126:127] op_sel:[0,0,1] op_sel_hi:[1,0,0]
	v_mov_b32_e32 v129, v123
	v_pk_mul_f32 v[122:123], v[124:125], v[114:115] op_sel:[0,1]
	s_delay_alu instid0(VALU_DEP_2) | instskip(NEXT) | instid1(VALU_DEP_2)
	v_pk_add_f32 v[18:19], v[18:19], v[128:129] neg_lo:[0,1] neg_hi:[0,1]
	v_pk_fma_f32 v[126:127], v[124:125], v[112:113], v[122:123] op_sel:[0,0,1] op_sel_hi:[1,1,0] neg_lo:[0,0,1] neg_hi:[0,0,1]
	v_pk_fma_f32 v[122:123], v[124:125], v[112:113], v[122:123] op_sel:[0,0,1] op_sel_hi:[1,0,0]
	s_delay_alu instid0(VALU_DEP_1) | instskip(SKIP_4) | instid1(VALU_DEP_1)
	v_mov_b32_e32 v127, v123
	ds_load_b64 v[122:123], v116 offset:416
	v_pk_add_f32 v[16:17], v[16:17], v[126:127] neg_lo:[0,1] neg_hi:[0,1]
	s_wait_dscnt 0x0
	v_pk_mul_f32 v[114:115], v[122:123], v[114:115] op_sel:[0,1]
	v_pk_fma_f32 v[124:125], v[122:123], v[112:113], v[114:115] op_sel:[0,0,1] op_sel_hi:[1,1,0] neg_lo:[0,0,1] neg_hi:[0,0,1]
	v_pk_fma_f32 v[112:113], v[122:123], v[112:113], v[114:115] op_sel:[0,0,1] op_sel_hi:[1,0,0]
	s_delay_alu instid0(VALU_DEP_1) | instskip(NEXT) | instid1(VALU_DEP_1)
	v_mov_b32_e32 v125, v113
	v_pk_add_f32 v[110:111], v[110:111], v[124:125] neg_lo:[0,1] neg_hi:[0,1]
.LBB104_629:
	s_or_b32 exec_lo, exec_lo, s0
	v_lshl_add_u32 v112, v120, 3, v116
	s_barrier_signal -1
	s_barrier_wait -1
	ds_store_b64 v112, v[50:51]
	s_wait_dscnt 0x0
	s_barrier_signal -1
	s_barrier_wait -1
	ds_load_b64 v[114:115], v116 offset:240
	v_mov_b32_e32 v112, 30
	s_cmp_lt_i32 s18, 32
	s_cbranch_scc1 .LBB104_632
; %bb.630:
	v_add3_u32 v113, v117, 0, 0xf8
	v_mov_b32_e32 v112, 30
	s_mov_b32 s0, 31
.LBB104_631:                            ; =>This Inner Loop Header: Depth=1
	ds_load_b64 v[122:123], v113
	s_wait_dscnt 0x1
	v_cmp_gt_f32_e32 vcc_lo, 0, v114
	v_cndmask_b32_e64 v124, v114, -v114, vcc_lo
	v_cmp_gt_f32_e32 vcc_lo, 0, v115
	v_cndmask_b32_e64 v126, v115, -v115, vcc_lo
	s_wait_dscnt 0x0
	v_cmp_gt_f32_e32 vcc_lo, 0, v122
	v_cndmask_b32_e64 v125, v122, -v122, vcc_lo
	v_cmp_gt_f32_e32 vcc_lo, 0, v123
	v_cndmask_b32_e64 v127, v123, -v123, vcc_lo
	s_delay_alu instid0(VALU_DEP_1) | instskip(NEXT) | instid1(VALU_DEP_1)
	v_pk_add_f32 v[124:125], v[124:125], v[126:127]
	v_cmp_lt_f32_e32 vcc_lo, v124, v125
	v_dual_add_nc_u32 v113, 8, v113 :: v_dual_cndmask_b32 v115, v115, v123, vcc_lo
	v_cndmask_b32_e32 v114, v114, v122, vcc_lo
	v_cndmask_b32_e64 v112, v112, s0, vcc_lo
	s_add_co_i32 s0, s0, 1
	s_delay_alu instid0(SALU_CYCLE_1)
	s_cmp_lg_u32 s18, s0
	s_cbranch_scc1 .LBB104_631
.LBB104_632:
	s_wait_dscnt 0x0
	v_cmp_eq_f32_e32 vcc_lo, 0, v114
	v_cmp_eq_f32_e64 s0, 0, v115
	s_and_b32 s0, vcc_lo, s0
	s_delay_alu instid0(SALU_CYCLE_1) | instskip(NEXT) | instid1(SALU_CYCLE_1)
	s_and_saveexec_b32 s1, s0
	s_xor_b32 s0, exec_lo, s1
; %bb.633:
	v_cmp_ne_u32_e32 vcc_lo, 0, v118
	v_cndmask_b32_e32 v118, 31, v118, vcc_lo
; %bb.634:
	s_and_not1_saveexec_b32 s0, s0
	s_cbranch_execz .LBB104_640
; %bb.635:
	v_cmp_ngt_f32_e64 s1, |v114|, |v115|
	s_and_saveexec_b32 s12, s1
	s_delay_alu instid0(SALU_CYCLE_1)
	s_xor_b32 s1, exec_lo, s12
	s_cbranch_execz .LBB104_637
; %bb.636:
	v_div_scale_f32 v113, null, v115, v115, v114
	v_div_scale_f32 v123, vcc_lo, v114, v115, v114
	s_delay_alu instid0(VALU_DEP_2) | instskip(SKIP_1) | instid1(TRANS32_DEP_1)
	v_rcp_f32_e32 v121, v113
	v_nop
	v_fma_f32 v122, -v113, v121, 1.0
	s_delay_alu instid0(VALU_DEP_1) | instskip(NEXT) | instid1(VALU_DEP_1)
	v_fmac_f32_e32 v121, v122, v121
	v_mul_f32_e32 v122, v123, v121
	s_delay_alu instid0(VALU_DEP_1) | instskip(NEXT) | instid1(VALU_DEP_1)
	v_fma_f32 v124, -v113, v122, v123
	v_fmac_f32_e32 v122, v124, v121
	s_delay_alu instid0(VALU_DEP_1) | instskip(NEXT) | instid1(VALU_DEP_1)
	v_fma_f32 v113, -v113, v122, v123
	v_div_fmas_f32 v113, v113, v121, v122
	s_delay_alu instid0(VALU_DEP_1) | instskip(NEXT) | instid1(VALU_DEP_1)
	v_div_fixup_f32 v113, v113, v115, v114
	v_fmac_f32_e32 v115, v114, v113
	s_delay_alu instid0(VALU_DEP_1) | instskip(SKIP_1) | instid1(VALU_DEP_2)
	v_div_scale_f32 v114, null, v115, v115, 1.0
	v_div_scale_f32 v123, vcc_lo, 1.0, v115, 1.0
	v_rcp_f32_e32 v121, v114
	v_nop
	s_delay_alu instid0(TRANS32_DEP_1) | instskip(NEXT) | instid1(VALU_DEP_1)
	v_fma_f32 v122, -v114, v121, 1.0
	v_fmac_f32_e32 v121, v122, v121
	s_delay_alu instid0(VALU_DEP_1) | instskip(NEXT) | instid1(VALU_DEP_1)
	v_mul_f32_e32 v122, v123, v121
	v_fma_f32 v124, -v114, v122, v123
	s_delay_alu instid0(VALU_DEP_1) | instskip(NEXT) | instid1(VALU_DEP_1)
	v_fmac_f32_e32 v122, v124, v121
	v_fma_f32 v114, -v114, v122, v123
	s_delay_alu instid0(VALU_DEP_1) | instskip(NEXT) | instid1(VALU_DEP_1)
	v_div_fmas_f32 v114, v114, v121, v122
	v_div_fixup_f32 v115, v114, v115, 1.0
	s_delay_alu instid0(VALU_DEP_1)
	v_mul_f32_e32 v114, v113, v115
	v_xor_b32_e32 v115, 0x80000000, v115
.LBB104_637:
	s_and_not1_saveexec_b32 s1, s1
	s_cbranch_execz .LBB104_639
; %bb.638:
	s_delay_alu instid0(VALU_DEP_1) | instskip(SKIP_1) | instid1(VALU_DEP_2)
	v_div_scale_f32 v113, null, v114, v114, v115
	v_div_scale_f32 v123, vcc_lo, v115, v114, v115
	v_rcp_f32_e32 v121, v113
	v_nop
	s_delay_alu instid0(TRANS32_DEP_1) | instskip(NEXT) | instid1(VALU_DEP_1)
	v_fma_f32 v122, -v113, v121, 1.0
	v_fmac_f32_e32 v121, v122, v121
	s_delay_alu instid0(VALU_DEP_1) | instskip(NEXT) | instid1(VALU_DEP_1)
	v_mul_f32_e32 v122, v123, v121
	v_fma_f32 v124, -v113, v122, v123
	s_delay_alu instid0(VALU_DEP_1) | instskip(NEXT) | instid1(VALU_DEP_1)
	v_fmac_f32_e32 v122, v124, v121
	v_fma_f32 v113, -v113, v122, v123
	s_delay_alu instid0(VALU_DEP_1) | instskip(NEXT) | instid1(VALU_DEP_1)
	v_div_fmas_f32 v113, v113, v121, v122
	v_div_fixup_f32 v113, v113, v114, v115
	s_delay_alu instid0(VALU_DEP_1) | instskip(NEXT) | instid1(VALU_DEP_1)
	v_fmac_f32_e32 v114, v115, v113
	v_div_scale_f32 v115, null, v114, v114, 1.0
	s_delay_alu instid0(VALU_DEP_1) | instskip(SKIP_1) | instid1(TRANS32_DEP_1)
	v_rcp_f32_e32 v121, v115
	v_nop
	v_fma_f32 v122, -v115, v121, 1.0
	s_delay_alu instid0(VALU_DEP_1) | instskip(SKIP_1) | instid1(VALU_DEP_1)
	v_fmac_f32_e32 v121, v122, v121
	v_div_scale_f32 v122, vcc_lo, 1.0, v114, 1.0
	v_mul_f32_e32 v123, v122, v121
	s_delay_alu instid0(VALU_DEP_1) | instskip(NEXT) | instid1(VALU_DEP_1)
	v_fma_f32 v124, -v115, v123, v122
	v_fmac_f32_e32 v123, v124, v121
	s_delay_alu instid0(VALU_DEP_1) | instskip(NEXT) | instid1(VALU_DEP_1)
	v_fma_f32 v115, -v115, v123, v122
	v_div_fmas_f32 v115, v115, v121, v123
	s_delay_alu instid0(VALU_DEP_1) | instskip(NEXT) | instid1(VALU_DEP_1)
	v_div_fixup_f32 v114, v115, v114, 1.0
	v_mul_f32_e64 v115, v113, -v114
.LBB104_639:
	s_or_b32 exec_lo, exec_lo, s1
.LBB104_640:
	s_delay_alu instid0(SALU_CYCLE_1) | instskip(NEXT) | instid1(SALU_CYCLE_1)
	s_or_b32 exec_lo, exec_lo, s0
	s_mov_b32 s0, exec_lo
	v_cmpx_ne_u32_e64 v120, v112
	s_xor_b32 s0, exec_lo, s0
	s_cbranch_execz .LBB104_646
; %bb.641:
	s_mov_b32 s1, exec_lo
	v_cmpx_eq_u32_e32 30, v120
	s_cbranch_execz .LBB104_645
; %bb.642:
	v_cmp_ne_u32_e32 vcc_lo, 30, v112
	s_xor_b32 s12, s16, -1
	s_delay_alu instid0(SALU_CYCLE_1) | instskip(NEXT) | instid1(SALU_CYCLE_1)
	s_and_b32 s13, s12, vcc_lo
	s_and_saveexec_b32 s12, s13
	s_cbranch_execz .LBB104_644
; %bb.643:
	v_ashrrev_i32_e32 v113, 31, v112
	s_delay_alu instid0(VALU_DEP_1)
	v_lshl_add_u64 v[120:121], v[112:113], 2, v[4:5]
	s_clause 0x1
	global_load_b32 v113, v[120:121], off
	global_load_b32 v119, v[4:5], off offset:120
	s_wait_loadcnt 0x1
	global_store_b32 v[4:5], v113, off offset:120
	s_wait_loadcnt 0x0
	global_store_b32 v[120:121], v119, off
.LBB104_644:
	s_wait_xcnt 0x0
	s_or_b32 exec_lo, exec_lo, s12
	v_dual_mov_b32 v120, v112 :: v_dual_mov_b32 v119, v112
.LBB104_645:
	s_or_b32 exec_lo, exec_lo, s1
.LBB104_646:
	s_and_not1_saveexec_b32 s0, s0
	s_cbranch_execz .LBB104_648
; %bb.647:
	v_mov_b32_e32 v120, 30
	ds_store_2addr_b64 v116, v[46:47], v[44:45] offset0:31 offset1:32
	ds_store_2addr_b64 v116, v[40:41], v[42:43] offset0:33 offset1:34
	;; [unrolled: 1-line block ×11, first 2 shown]
.LBB104_648:
	s_or_b32 exec_lo, exec_lo, s0
	s_delay_alu instid0(SALU_CYCLE_1)
	s_mov_b32 s0, exec_lo
	s_wait_storecnt_dscnt 0x0
	s_barrier_signal -1
	s_barrier_wait -1
	v_cmpx_lt_i32_e32 30, v120
	s_cbranch_execz .LBB104_650
; %bb.649:
	v_pk_mul_f32 v[122:123], v[114:115], v[50:51] op_sel:[1,1] op_sel_hi:[0,1]
	s_delay_alu instid0(VALU_DEP_1)
	v_pk_fma_f32 v[112:113], v[114:115], v[50:51], v[122:123] op_sel_hi:[1,0,1] neg_lo:[0,0,1] neg_hi:[0,0,1]
	v_pk_fma_f32 v[114:115], v[114:115], v[50:51], v[122:123] op_sel_hi:[1,0,1]
	ds_load_2addr_b64 v[122:125], v116 offset0:31 offset1:32
	v_dual_mov_b32 v50, v112 :: v_dual_mov_b32 v51, v115
	s_wait_dscnt 0x0
	v_pk_mul_f32 v[126:127], v[122:123], v[114:115] op_sel:[0,1]
	s_delay_alu instid0(VALU_DEP_1) | instskip(SKIP_1) | instid1(VALU_DEP_1)
	v_pk_fma_f32 v[128:129], v[122:123], v[112:113], v[126:127] op_sel:[0,0,1] op_sel_hi:[1,1,0] neg_lo:[0,0,1] neg_hi:[0,0,1]
	v_pk_fma_f32 v[122:123], v[122:123], v[112:113], v[126:127] op_sel:[0,0,1] op_sel_hi:[1,0,0]
	v_mov_b32_e32 v129, v123
	v_pk_mul_f32 v[122:123], v[124:125], v[114:115] op_sel:[0,1]
	s_delay_alu instid0(VALU_DEP_1) | instskip(SKIP_1) | instid1(VALU_DEP_1)
	v_pk_fma_f32 v[126:127], v[124:125], v[112:113], v[122:123] op_sel:[0,0,1] op_sel_hi:[1,1,0] neg_lo:[0,0,1] neg_hi:[0,0,1]
	v_pk_fma_f32 v[122:123], v[124:125], v[112:113], v[122:123] op_sel:[0,0,1] op_sel_hi:[1,0,0]
	v_mov_b32_e32 v127, v123
	ds_load_2addr_b64 v[122:125], v116 offset0:33 offset1:34
	v_pk_add_f32 v[46:47], v[46:47], v[128:129] neg_lo:[0,1] neg_hi:[0,1]
	v_pk_add_f32 v[44:45], v[44:45], v[126:127] neg_lo:[0,1] neg_hi:[0,1]
	s_wait_dscnt 0x0
	v_pk_mul_f32 v[126:127], v[122:123], v[114:115] op_sel:[0,1]
	s_delay_alu instid0(VALU_DEP_1) | instskip(SKIP_2) | instid1(VALU_DEP_2)
	v_pk_fma_f32 v[128:129], v[122:123], v[112:113], v[126:127] op_sel:[0,0,1] op_sel_hi:[1,1,0] neg_lo:[0,0,1] neg_hi:[0,0,1]
	v_pk_fma_f32 v[122:123], v[122:123], v[112:113], v[126:127] op_sel:[0,0,1] op_sel_hi:[1,0,0]
	v_dual_mul_f32 v126, v125, v115 :: v_dual_mov_b32 v122, v125
	v_dual_mov_b32 v129, v123 :: v_dual_mov_b32 v123, v124
	s_delay_alu instid0(VALU_DEP_2) | instskip(SKIP_1) | instid1(VALU_DEP_3)
	v_pk_fma_f32 v[126:127], v[124:125], v[50:51], v[126:127] op_sel_hi:[1,1,0] neg_lo:[0,0,1] neg_hi:[0,0,1]
	v_mul_f32_e32 v124, v125, v112
	v_pk_add_f32 v[40:41], v[40:41], v[128:129] neg_lo:[0,1] neg_hi:[0,1]
	s_delay_alu instid0(VALU_DEP_2) | instskip(NEXT) | instid1(VALU_DEP_1)
	v_pk_fma_f32 v[122:123], v[122:123], v[50:51], v[124:125] op_sel_hi:[1,1,0]
	v_mov_b32_e32 v127, v123
	ds_load_2addr_b64 v[122:125], v116 offset0:35 offset1:36
	v_pk_add_f32 v[42:43], v[42:43], v[126:127] neg_lo:[0,1] neg_hi:[0,1]
	s_wait_dscnt 0x0
	v_pk_mul_f32 v[126:127], v[122:123], v[114:115] op_sel:[0,1]
	s_delay_alu instid0(VALU_DEP_1) | instskip(SKIP_1) | instid1(VALU_DEP_1)
	v_pk_fma_f32 v[128:129], v[122:123], v[112:113], v[126:127] op_sel:[0,0,1] op_sel_hi:[1,1,0] neg_lo:[0,0,1] neg_hi:[0,0,1]
	v_pk_fma_f32 v[122:123], v[122:123], v[112:113], v[126:127] op_sel:[0,0,1] op_sel_hi:[1,0,0]
	v_mov_b32_e32 v129, v123
	v_pk_mul_f32 v[122:123], v[124:125], v[114:115] op_sel:[0,1]
	s_delay_alu instid0(VALU_DEP_1) | instskip(SKIP_1) | instid1(VALU_DEP_1)
	v_pk_fma_f32 v[126:127], v[124:125], v[112:113], v[122:123] op_sel:[0,0,1] op_sel_hi:[1,1,0] neg_lo:[0,0,1] neg_hi:[0,0,1]
	v_pk_fma_f32 v[122:123], v[124:125], v[112:113], v[122:123] op_sel:[0,0,1] op_sel_hi:[1,0,0]
	v_mov_b32_e32 v127, v123
	ds_load_2addr_b64 v[122:125], v116 offset0:37 offset1:38
	v_pk_add_f32 v[38:39], v[38:39], v[128:129] neg_lo:[0,1] neg_hi:[0,1]
	v_pk_add_f32 v[36:37], v[36:37], v[126:127] neg_lo:[0,1] neg_hi:[0,1]
	s_wait_dscnt 0x0
	v_pk_mul_f32 v[126:127], v[122:123], v[114:115] op_sel:[0,1]
	s_delay_alu instid0(VALU_DEP_1) | instskip(SKIP_1) | instid1(VALU_DEP_1)
	v_pk_fma_f32 v[128:129], v[122:123], v[112:113], v[126:127] op_sel:[0,0,1] op_sel_hi:[1,1,0] neg_lo:[0,0,1] neg_hi:[0,0,1]
	v_pk_fma_f32 v[122:123], v[122:123], v[112:113], v[126:127] op_sel:[0,0,1] op_sel_hi:[1,0,0]
	v_mov_b32_e32 v129, v123
	v_pk_mul_f32 v[122:123], v[124:125], v[114:115] op_sel:[0,1]
	s_delay_alu instid0(VALU_DEP_1) | instskip(SKIP_1) | instid1(VALU_DEP_1)
	v_pk_fma_f32 v[126:127], v[124:125], v[112:113], v[122:123] op_sel:[0,0,1] op_sel_hi:[1,1,0] neg_lo:[0,0,1] neg_hi:[0,0,1]
	v_pk_fma_f32 v[122:123], v[124:125], v[112:113], v[122:123] op_sel:[0,0,1] op_sel_hi:[1,0,0]
	v_mov_b32_e32 v127, v123
	ds_load_2addr_b64 v[122:125], v116 offset0:39 offset1:40
	v_pk_add_f32 v[32:33], v[32:33], v[128:129] neg_lo:[0,1] neg_hi:[0,1]
	v_pk_add_f32 v[34:35], v[34:35], v[126:127] neg_lo:[0,1] neg_hi:[0,1]
	s_wait_dscnt 0x0
	v_dual_mul_f32 v126, v123, v115 :: v_dual_mul_f32 v128, v123, v112
	s_delay_alu instid0(VALU_DEP_1) | instskip(NEXT) | instid1(VALU_DEP_2)
	v_pk_fma_f32 v[126:127], v[122:123], v[50:51], v[126:127] op_sel_hi:[1,1,0] neg_lo:[0,0,1] neg_hi:[0,0,1]
	v_pk_fma_f32 v[122:123], v[122:123], v[50:51], v[128:129] op_sel:[1,0,0] op_sel_hi:[0,1,0]
	s_delay_alu instid0(VALU_DEP_1) | instskip(SKIP_1) | instid1(VALU_DEP_2)
	v_mov_b32_e32 v127, v123
	v_pk_mul_f32 v[122:123], v[124:125], v[114:115] op_sel:[0,1]
	v_pk_add_f32 v[30:31], v[30:31], v[126:127] neg_lo:[0,1] neg_hi:[0,1]
	s_delay_alu instid0(VALU_DEP_2) | instskip(SKIP_1) | instid1(VALU_DEP_1)
	v_pk_fma_f32 v[126:127], v[124:125], v[112:113], v[122:123] op_sel:[0,0,1] op_sel_hi:[1,1,0] neg_lo:[0,0,1] neg_hi:[0,0,1]
	v_pk_fma_f32 v[122:123], v[124:125], v[112:113], v[122:123] op_sel:[0,0,1] op_sel_hi:[1,0,0]
	v_mov_b32_e32 v127, v123
	ds_load_2addr_b64 v[122:125], v116 offset0:41 offset1:42
	v_pk_add_f32 v[26:27], v[26:27], v[126:127] neg_lo:[0,1] neg_hi:[0,1]
	s_wait_dscnt 0x0
	v_pk_mul_f32 v[126:127], v[122:123], v[114:115] op_sel:[0,1]
	s_delay_alu instid0(VALU_DEP_1) | instskip(SKIP_1) | instid1(VALU_DEP_1)
	v_pk_fma_f32 v[128:129], v[122:123], v[112:113], v[126:127] op_sel:[0,0,1] op_sel_hi:[1,1,0] neg_lo:[0,0,1] neg_hi:[0,0,1]
	v_pk_fma_f32 v[122:123], v[122:123], v[112:113], v[126:127] op_sel:[0,0,1] op_sel_hi:[1,0,0]
	v_mov_b32_e32 v129, v123
	v_pk_mul_f32 v[122:123], v[124:125], v[114:115] op_sel:[0,1]
	s_delay_alu instid0(VALU_DEP_2) | instskip(NEXT) | instid1(VALU_DEP_2)
	v_pk_add_f32 v[22:23], v[22:23], v[128:129] neg_lo:[0,1] neg_hi:[0,1]
	v_pk_fma_f32 v[126:127], v[124:125], v[112:113], v[122:123] op_sel:[0,0,1] op_sel_hi:[1,1,0] neg_lo:[0,0,1] neg_hi:[0,0,1]
	v_pk_fma_f32 v[122:123], v[124:125], v[112:113], v[122:123] op_sel:[0,0,1] op_sel_hi:[1,0,0]
	s_delay_alu instid0(VALU_DEP_1) | instskip(SKIP_4) | instid1(VALU_DEP_1)
	v_mov_b32_e32 v127, v123
	ds_load_2addr_b64 v[122:125], v116 offset0:43 offset1:44
	v_pk_add_f32 v[24:25], v[24:25], v[126:127] neg_lo:[0,1] neg_hi:[0,1]
	s_wait_dscnt 0x0
	v_pk_mul_f32 v[126:127], v[122:123], v[114:115] op_sel:[0,1]
	v_pk_fma_f32 v[128:129], v[122:123], v[112:113], v[126:127] op_sel:[0,0,1] op_sel_hi:[1,1,0] neg_lo:[0,0,1] neg_hi:[0,0,1]
	v_pk_fma_f32 v[122:123], v[122:123], v[112:113], v[126:127] op_sel:[0,0,1] op_sel_hi:[1,0,0]
	v_dual_mul_f32 v126, v125, v115 :: v_dual_mov_b32 v122, v125
	s_delay_alu instid0(VALU_DEP_2) | instskip(NEXT) | instid1(VALU_DEP_2)
	v_dual_mov_b32 v129, v123 :: v_dual_mov_b32 v123, v124
	v_pk_fma_f32 v[126:127], v[124:125], v[50:51], v[126:127] op_sel_hi:[1,1,0] neg_lo:[0,0,1] neg_hi:[0,0,1]
	v_mul_f32_e32 v124, v125, v112
	s_delay_alu instid0(VALU_DEP_3) | instskip(NEXT) | instid1(VALU_DEP_2)
	v_pk_add_f32 v[20:21], v[20:21], v[128:129] neg_lo:[0,1] neg_hi:[0,1]
	v_pk_fma_f32 v[122:123], v[122:123], v[50:51], v[124:125] op_sel_hi:[1,1,0]
	s_delay_alu instid0(VALU_DEP_1) | instskip(SKIP_4) | instid1(VALU_DEP_1)
	v_mov_b32_e32 v127, v123
	ds_load_2addr_b64 v[122:125], v116 offset0:45 offset1:46
	v_pk_add_f32 v[14:15], v[14:15], v[126:127] neg_lo:[0,1] neg_hi:[0,1]
	s_wait_dscnt 0x0
	v_pk_mul_f32 v[126:127], v[122:123], v[114:115] op_sel:[0,1]
	v_pk_fma_f32 v[128:129], v[122:123], v[112:113], v[126:127] op_sel:[0,0,1] op_sel_hi:[1,1,0] neg_lo:[0,0,1] neg_hi:[0,0,1]
	v_pk_fma_f32 v[122:123], v[122:123], v[112:113], v[126:127] op_sel:[0,0,1] op_sel_hi:[1,0,0]
	s_delay_alu instid0(VALU_DEP_1) | instskip(SKIP_1) | instid1(VALU_DEP_1)
	v_mov_b32_e32 v129, v123
	v_pk_mul_f32 v[122:123], v[124:125], v[114:115] op_sel:[0,1]
	v_pk_fma_f32 v[126:127], v[124:125], v[112:113], v[122:123] op_sel:[0,0,1] op_sel_hi:[1,1,0] neg_lo:[0,0,1] neg_hi:[0,0,1]
	v_pk_fma_f32 v[122:123], v[124:125], v[112:113], v[122:123] op_sel:[0,0,1] op_sel_hi:[1,0,0]
	s_delay_alu instid0(VALU_DEP_1)
	v_mov_b32_e32 v127, v123
	ds_load_2addr_b64 v[122:125], v116 offset0:47 offset1:48
	v_pk_add_f32 v[10:11], v[10:11], v[128:129] neg_lo:[0,1] neg_hi:[0,1]
	v_pk_add_f32 v[12:13], v[12:13], v[126:127] neg_lo:[0,1] neg_hi:[0,1]
	s_wait_dscnt 0x0
	v_pk_mul_f32 v[126:127], v[122:123], v[114:115] op_sel:[0,1]
	s_delay_alu instid0(VALU_DEP_1) | instskip(SKIP_1) | instid1(VALU_DEP_1)
	v_pk_fma_f32 v[128:129], v[122:123], v[112:113], v[126:127] op_sel:[0,0,1] op_sel_hi:[1,1,0] neg_lo:[0,0,1] neg_hi:[0,0,1]
	v_pk_fma_f32 v[122:123], v[122:123], v[112:113], v[126:127] op_sel:[0,0,1] op_sel_hi:[1,0,0]
	v_mov_b32_e32 v129, v123
	v_pk_mul_f32 v[122:123], v[124:125], v[114:115] op_sel:[0,1]
	s_delay_alu instid0(VALU_DEP_1) | instskip(SKIP_1) | instid1(VALU_DEP_1)
	v_pk_fma_f32 v[126:127], v[124:125], v[112:113], v[122:123] op_sel:[0,0,1] op_sel_hi:[1,1,0] neg_lo:[0,0,1] neg_hi:[0,0,1]
	v_pk_fma_f32 v[122:123], v[124:125], v[112:113], v[122:123] op_sel:[0,0,1] op_sel_hi:[1,0,0]
	v_mov_b32_e32 v127, v123
	ds_load_2addr_b64 v[122:125], v116 offset0:49 offset1:50
	v_pk_add_f32 v[8:9], v[8:9], v[128:129] neg_lo:[0,1] neg_hi:[0,1]
	v_pk_add_f32 v[6:7], v[6:7], v[126:127] neg_lo:[0,1] neg_hi:[0,1]
	s_wait_dscnt 0x0
	v_dual_mul_f32 v126, v123, v115 :: v_dual_mul_f32 v128, v123, v112
	s_delay_alu instid0(VALU_DEP_1) | instskip(NEXT) | instid1(VALU_DEP_2)
	v_pk_fma_f32 v[126:127], v[122:123], v[50:51], v[126:127] op_sel_hi:[1,1,0] neg_lo:[0,0,1] neg_hi:[0,0,1]
	v_pk_fma_f32 v[122:123], v[122:123], v[50:51], v[128:129] op_sel:[1,0,0] op_sel_hi:[0,1,0]
	s_delay_alu instid0(VALU_DEP_1) | instskip(SKIP_1) | instid1(VALU_DEP_2)
	v_mov_b32_e32 v127, v123
	v_pk_mul_f32 v[122:123], v[124:125], v[114:115] op_sel:[0,1]
	v_pk_add_f32 v[28:29], v[28:29], v[126:127] neg_lo:[0,1] neg_hi:[0,1]
	s_delay_alu instid0(VALU_DEP_2) | instskip(SKIP_1) | instid1(VALU_DEP_1)
	v_pk_fma_f32 v[126:127], v[124:125], v[112:113], v[122:123] op_sel:[0,0,1] op_sel_hi:[1,1,0] neg_lo:[0,0,1] neg_hi:[0,0,1]
	v_pk_fma_f32 v[122:123], v[124:125], v[112:113], v[122:123] op_sel:[0,0,1] op_sel_hi:[1,0,0]
	v_mov_b32_e32 v127, v123
	ds_load_2addr_b64 v[122:125], v116 offset0:51 offset1:52
	v_pk_add_f32 v[18:19], v[18:19], v[126:127] neg_lo:[0,1] neg_hi:[0,1]
	s_wait_dscnt 0x0
	v_pk_mul_f32 v[126:127], v[122:123], v[114:115] op_sel:[0,1]
	v_pk_mul_f32 v[114:115], v[124:125], v[114:115] op_sel:[0,1]
	s_delay_alu instid0(VALU_DEP_2) | instskip(SKIP_1) | instid1(VALU_DEP_1)
	v_pk_fma_f32 v[128:129], v[122:123], v[112:113], v[126:127] op_sel:[0,0,1] op_sel_hi:[1,1,0] neg_lo:[0,0,1] neg_hi:[0,0,1]
	v_pk_fma_f32 v[122:123], v[122:123], v[112:113], v[126:127] op_sel:[0,0,1] op_sel_hi:[1,0,0]
	v_mov_b32_e32 v129, v123
	s_delay_alu instid0(VALU_DEP_4) | instskip(SKIP_1) | instid1(VALU_DEP_3)
	v_pk_fma_f32 v[122:123], v[124:125], v[112:113], v[114:115] op_sel:[0,0,1] op_sel_hi:[1,1,0] neg_lo:[0,0,1] neg_hi:[0,0,1]
	v_pk_fma_f32 v[112:113], v[124:125], v[112:113], v[114:115] op_sel:[0,0,1] op_sel_hi:[1,0,0]
	v_pk_add_f32 v[16:17], v[16:17], v[128:129] neg_lo:[0,1] neg_hi:[0,1]
	s_delay_alu instid0(VALU_DEP_2) | instskip(NEXT) | instid1(VALU_DEP_1)
	v_mov_b32_e32 v123, v113
	v_pk_add_f32 v[110:111], v[110:111], v[122:123] neg_lo:[0,1] neg_hi:[0,1]
.LBB104_650:
	s_or_b32 exec_lo, exec_lo, s0
	v_lshl_add_u32 v112, v120, 3, v116
	s_barrier_signal -1
	s_barrier_wait -1
	ds_store_b64 v112, v[46:47]
	s_wait_dscnt 0x0
	s_barrier_signal -1
	s_barrier_wait -1
	ds_load_b64 v[114:115], v116 offset:248
	v_mov_b32_e32 v112, 31
	s_cmp_lt_i32 s18, 33
	s_cbranch_scc1 .LBB104_653
; %bb.651:
	v_add3_u32 v113, v117, 0, 0x100
	v_mov_b32_e32 v112, 31
	s_mov_b32 s0, 32
.LBB104_652:                            ; =>This Inner Loop Header: Depth=1
	ds_load_b64 v[122:123], v113
	s_wait_dscnt 0x1
	v_cmp_gt_f32_e32 vcc_lo, 0, v114
	v_cndmask_b32_e64 v124, v114, -v114, vcc_lo
	v_cmp_gt_f32_e32 vcc_lo, 0, v115
	v_cndmask_b32_e64 v126, v115, -v115, vcc_lo
	s_wait_dscnt 0x0
	v_cmp_gt_f32_e32 vcc_lo, 0, v122
	v_cndmask_b32_e64 v125, v122, -v122, vcc_lo
	v_cmp_gt_f32_e32 vcc_lo, 0, v123
	v_cndmask_b32_e64 v127, v123, -v123, vcc_lo
	s_delay_alu instid0(VALU_DEP_1) | instskip(NEXT) | instid1(VALU_DEP_1)
	v_pk_add_f32 v[124:125], v[124:125], v[126:127]
	v_cmp_lt_f32_e32 vcc_lo, v124, v125
	v_dual_add_nc_u32 v113, 8, v113 :: v_dual_cndmask_b32 v115, v115, v123, vcc_lo
	v_cndmask_b32_e32 v114, v114, v122, vcc_lo
	v_cndmask_b32_e64 v112, v112, s0, vcc_lo
	s_add_co_i32 s0, s0, 1
	s_delay_alu instid0(SALU_CYCLE_1)
	s_cmp_lg_u32 s18, s0
	s_cbranch_scc1 .LBB104_652
.LBB104_653:
	s_wait_dscnt 0x0
	v_cmp_eq_f32_e32 vcc_lo, 0, v114
	v_cmp_eq_f32_e64 s0, 0, v115
	s_and_b32 s0, vcc_lo, s0
	s_delay_alu instid0(SALU_CYCLE_1) | instskip(NEXT) | instid1(SALU_CYCLE_1)
	s_and_saveexec_b32 s1, s0
	s_xor_b32 s0, exec_lo, s1
; %bb.654:
	v_cmp_ne_u32_e32 vcc_lo, 0, v118
	v_cndmask_b32_e32 v118, 32, v118, vcc_lo
; %bb.655:
	s_and_not1_saveexec_b32 s0, s0
	s_cbranch_execz .LBB104_661
; %bb.656:
	v_cmp_ngt_f32_e64 s1, |v114|, |v115|
	s_and_saveexec_b32 s12, s1
	s_delay_alu instid0(SALU_CYCLE_1)
	s_xor_b32 s1, exec_lo, s12
	s_cbranch_execz .LBB104_658
; %bb.657:
	v_div_scale_f32 v113, null, v115, v115, v114
	v_div_scale_f32 v123, vcc_lo, v114, v115, v114
	s_delay_alu instid0(VALU_DEP_2) | instskip(SKIP_1) | instid1(TRANS32_DEP_1)
	v_rcp_f32_e32 v121, v113
	v_nop
	v_fma_f32 v122, -v113, v121, 1.0
	s_delay_alu instid0(VALU_DEP_1) | instskip(NEXT) | instid1(VALU_DEP_1)
	v_fmac_f32_e32 v121, v122, v121
	v_mul_f32_e32 v122, v123, v121
	s_delay_alu instid0(VALU_DEP_1) | instskip(NEXT) | instid1(VALU_DEP_1)
	v_fma_f32 v124, -v113, v122, v123
	v_fmac_f32_e32 v122, v124, v121
	s_delay_alu instid0(VALU_DEP_1) | instskip(NEXT) | instid1(VALU_DEP_1)
	v_fma_f32 v113, -v113, v122, v123
	v_div_fmas_f32 v113, v113, v121, v122
	s_delay_alu instid0(VALU_DEP_1) | instskip(NEXT) | instid1(VALU_DEP_1)
	v_div_fixup_f32 v113, v113, v115, v114
	v_fmac_f32_e32 v115, v114, v113
	s_delay_alu instid0(VALU_DEP_1) | instskip(SKIP_1) | instid1(VALU_DEP_2)
	v_div_scale_f32 v114, null, v115, v115, 1.0
	v_div_scale_f32 v123, vcc_lo, 1.0, v115, 1.0
	v_rcp_f32_e32 v121, v114
	v_nop
	s_delay_alu instid0(TRANS32_DEP_1) | instskip(NEXT) | instid1(VALU_DEP_1)
	v_fma_f32 v122, -v114, v121, 1.0
	v_fmac_f32_e32 v121, v122, v121
	s_delay_alu instid0(VALU_DEP_1) | instskip(NEXT) | instid1(VALU_DEP_1)
	v_mul_f32_e32 v122, v123, v121
	v_fma_f32 v124, -v114, v122, v123
	s_delay_alu instid0(VALU_DEP_1) | instskip(NEXT) | instid1(VALU_DEP_1)
	v_fmac_f32_e32 v122, v124, v121
	v_fma_f32 v114, -v114, v122, v123
	s_delay_alu instid0(VALU_DEP_1) | instskip(NEXT) | instid1(VALU_DEP_1)
	v_div_fmas_f32 v114, v114, v121, v122
	v_div_fixup_f32 v115, v114, v115, 1.0
	s_delay_alu instid0(VALU_DEP_1)
	v_mul_f32_e32 v114, v113, v115
	v_xor_b32_e32 v115, 0x80000000, v115
.LBB104_658:
	s_and_not1_saveexec_b32 s1, s1
	s_cbranch_execz .LBB104_660
; %bb.659:
	s_delay_alu instid0(VALU_DEP_1) | instskip(SKIP_1) | instid1(VALU_DEP_2)
	v_div_scale_f32 v113, null, v114, v114, v115
	v_div_scale_f32 v123, vcc_lo, v115, v114, v115
	v_rcp_f32_e32 v121, v113
	v_nop
	s_delay_alu instid0(TRANS32_DEP_1) | instskip(NEXT) | instid1(VALU_DEP_1)
	v_fma_f32 v122, -v113, v121, 1.0
	v_fmac_f32_e32 v121, v122, v121
	s_delay_alu instid0(VALU_DEP_1) | instskip(NEXT) | instid1(VALU_DEP_1)
	v_mul_f32_e32 v122, v123, v121
	v_fma_f32 v124, -v113, v122, v123
	s_delay_alu instid0(VALU_DEP_1) | instskip(NEXT) | instid1(VALU_DEP_1)
	v_fmac_f32_e32 v122, v124, v121
	v_fma_f32 v113, -v113, v122, v123
	s_delay_alu instid0(VALU_DEP_1) | instskip(NEXT) | instid1(VALU_DEP_1)
	v_div_fmas_f32 v113, v113, v121, v122
	v_div_fixup_f32 v113, v113, v114, v115
	s_delay_alu instid0(VALU_DEP_1) | instskip(NEXT) | instid1(VALU_DEP_1)
	v_fmac_f32_e32 v114, v115, v113
	v_div_scale_f32 v115, null, v114, v114, 1.0
	s_delay_alu instid0(VALU_DEP_1) | instskip(SKIP_1) | instid1(TRANS32_DEP_1)
	v_rcp_f32_e32 v121, v115
	v_nop
	v_fma_f32 v122, -v115, v121, 1.0
	s_delay_alu instid0(VALU_DEP_1) | instskip(SKIP_1) | instid1(VALU_DEP_1)
	v_fmac_f32_e32 v121, v122, v121
	v_div_scale_f32 v122, vcc_lo, 1.0, v114, 1.0
	v_mul_f32_e32 v123, v122, v121
	s_delay_alu instid0(VALU_DEP_1) | instskip(NEXT) | instid1(VALU_DEP_1)
	v_fma_f32 v124, -v115, v123, v122
	v_fmac_f32_e32 v123, v124, v121
	s_delay_alu instid0(VALU_DEP_1) | instskip(NEXT) | instid1(VALU_DEP_1)
	v_fma_f32 v115, -v115, v123, v122
	v_div_fmas_f32 v115, v115, v121, v123
	s_delay_alu instid0(VALU_DEP_1) | instskip(NEXT) | instid1(VALU_DEP_1)
	v_div_fixup_f32 v114, v115, v114, 1.0
	v_mul_f32_e64 v115, v113, -v114
.LBB104_660:
	s_or_b32 exec_lo, exec_lo, s1
.LBB104_661:
	s_delay_alu instid0(SALU_CYCLE_1) | instskip(NEXT) | instid1(SALU_CYCLE_1)
	s_or_b32 exec_lo, exec_lo, s0
	s_mov_b32 s0, exec_lo
	v_cmpx_ne_u32_e64 v120, v112
	s_xor_b32 s0, exec_lo, s0
	s_cbranch_execz .LBB104_667
; %bb.662:
	s_mov_b32 s1, exec_lo
	v_cmpx_eq_u32_e32 31, v120
	s_cbranch_execz .LBB104_666
; %bb.663:
	v_cmp_ne_u32_e32 vcc_lo, 31, v112
	s_xor_b32 s12, s16, -1
	s_delay_alu instid0(SALU_CYCLE_1) | instskip(NEXT) | instid1(SALU_CYCLE_1)
	s_and_b32 s13, s12, vcc_lo
	s_and_saveexec_b32 s12, s13
	s_cbranch_execz .LBB104_665
; %bb.664:
	v_ashrrev_i32_e32 v113, 31, v112
	s_delay_alu instid0(VALU_DEP_1)
	v_lshl_add_u64 v[120:121], v[112:113], 2, v[4:5]
	s_clause 0x1
	global_load_b32 v113, v[120:121], off
	global_load_b32 v119, v[4:5], off offset:124
	s_wait_loadcnt 0x1
	global_store_b32 v[4:5], v113, off offset:124
	s_wait_loadcnt 0x0
	global_store_b32 v[120:121], v119, off
.LBB104_665:
	s_wait_xcnt 0x0
	s_or_b32 exec_lo, exec_lo, s12
	v_dual_mov_b32 v120, v112 :: v_dual_mov_b32 v119, v112
.LBB104_666:
	s_or_b32 exec_lo, exec_lo, s1
.LBB104_667:
	s_and_not1_saveexec_b32 s0, s0
	s_cbranch_execz .LBB104_669
; %bb.668:
	v_dual_mov_b32 v112, v44 :: v_dual_mov_b32 v113, v45
	v_dual_mov_b32 v120, v40 :: v_dual_mov_b32 v121, v41
	;; [unrolled: 1-line block ×12, first 2 shown]
	ds_store_2addr_b64 v116, v[112:113], v[120:121] offset0:32 offset1:33
	ds_store_2addr_b64 v116, v[122:123], v[124:125] offset0:34 offset1:35
	;; [unrolled: 1-line block ×6, first 2 shown]
	v_dual_mov_b32 v112, v14 :: v_dual_mov_b32 v113, v15
	v_dual_mov_b32 v122, v10 :: v_dual_mov_b32 v123, v11
	;; [unrolled: 1-line block ×8, first 2 shown]
	v_mov_b32_e32 v135, v17
	ds_store_2addr_b64 v116, v[112:113], v[122:123] offset0:44 offset1:45
	ds_store_2addr_b64 v116, v[124:125], v[126:127] offset0:46 offset1:47
	;; [unrolled: 1-line block ×4, first 2 shown]
	ds_store_b64 v116, v[110:111] offset:416
.LBB104_669:
	s_or_b32 exec_lo, exec_lo, s0
	s_delay_alu instid0(SALU_CYCLE_1)
	s_mov_b32 s0, exec_lo
	s_wait_storecnt_dscnt 0x0
	s_barrier_signal -1
	s_barrier_wait -1
	v_cmpx_lt_i32_e32 31, v120
	s_cbranch_execz .LBB104_671
; %bb.670:
	v_pk_mul_f32 v[122:123], v[114:115], v[46:47] op_sel:[1,1] op_sel_hi:[0,1]
	s_delay_alu instid0(VALU_DEP_1)
	v_pk_fma_f32 v[112:113], v[114:115], v[46:47], v[122:123] op_sel_hi:[1,0,1] neg_lo:[0,0,1] neg_hi:[0,0,1]
	v_pk_fma_f32 v[114:115], v[114:115], v[46:47], v[122:123] op_sel_hi:[1,0,1]
	ds_load_2addr_b64 v[122:125], v116 offset0:32 offset1:33
	v_dual_mov_b32 v46, v112 :: v_dual_mov_b32 v47, v115
	s_wait_dscnt 0x0
	v_pk_mul_f32 v[126:127], v[122:123], v[114:115] op_sel:[0,1]
	s_delay_alu instid0(VALU_DEP_1) | instskip(SKIP_1) | instid1(VALU_DEP_1)
	v_pk_fma_f32 v[128:129], v[122:123], v[112:113], v[126:127] op_sel:[0,0,1] op_sel_hi:[1,1,0] neg_lo:[0,0,1] neg_hi:[0,0,1]
	v_pk_fma_f32 v[122:123], v[122:123], v[112:113], v[126:127] op_sel:[0,0,1] op_sel_hi:[1,0,0]
	v_mov_b32_e32 v129, v123
	v_pk_mul_f32 v[122:123], v[124:125], v[114:115] op_sel:[0,1]
	s_delay_alu instid0(VALU_DEP_1) | instskip(SKIP_1) | instid1(VALU_DEP_1)
	v_pk_fma_f32 v[126:127], v[124:125], v[112:113], v[122:123] op_sel:[0,0,1] op_sel_hi:[1,1,0] neg_lo:[0,0,1] neg_hi:[0,0,1]
	v_pk_fma_f32 v[122:123], v[124:125], v[112:113], v[122:123] op_sel:[0,0,1] op_sel_hi:[1,0,0]
	v_mov_b32_e32 v127, v123
	ds_load_2addr_b64 v[122:125], v116 offset0:34 offset1:35
	v_pk_add_f32 v[44:45], v[44:45], v[128:129] neg_lo:[0,1] neg_hi:[0,1]
	v_pk_add_f32 v[40:41], v[40:41], v[126:127] neg_lo:[0,1] neg_hi:[0,1]
	s_wait_dscnt 0x0
	v_pk_mul_f32 v[126:127], v[122:123], v[114:115] op_sel:[0,1]
	s_delay_alu instid0(VALU_DEP_1) | instskip(SKIP_2) | instid1(VALU_DEP_2)
	v_pk_fma_f32 v[128:129], v[122:123], v[112:113], v[126:127] op_sel:[0,0,1] op_sel_hi:[1,1,0] neg_lo:[0,0,1] neg_hi:[0,0,1]
	v_pk_fma_f32 v[122:123], v[122:123], v[112:113], v[126:127] op_sel:[0,0,1] op_sel_hi:[1,0,0]
	v_dual_mul_f32 v126, v125, v115 :: v_dual_mov_b32 v122, v125
	v_dual_mov_b32 v129, v123 :: v_dual_mov_b32 v123, v124
	s_delay_alu instid0(VALU_DEP_2) | instskip(SKIP_1) | instid1(VALU_DEP_3)
	v_pk_fma_f32 v[126:127], v[124:125], v[46:47], v[126:127] op_sel_hi:[1,1,0] neg_lo:[0,0,1] neg_hi:[0,0,1]
	v_mul_f32_e32 v124, v125, v112
	v_pk_add_f32 v[42:43], v[42:43], v[128:129] neg_lo:[0,1] neg_hi:[0,1]
	s_delay_alu instid0(VALU_DEP_2) | instskip(NEXT) | instid1(VALU_DEP_1)
	v_pk_fma_f32 v[122:123], v[122:123], v[46:47], v[124:125] op_sel_hi:[1,1,0]
	v_mov_b32_e32 v127, v123
	ds_load_2addr_b64 v[122:125], v116 offset0:36 offset1:37
	v_pk_add_f32 v[38:39], v[38:39], v[126:127] neg_lo:[0,1] neg_hi:[0,1]
	s_wait_dscnt 0x0
	v_pk_mul_f32 v[126:127], v[122:123], v[114:115] op_sel:[0,1]
	s_delay_alu instid0(VALU_DEP_1) | instskip(SKIP_1) | instid1(VALU_DEP_1)
	v_pk_fma_f32 v[128:129], v[122:123], v[112:113], v[126:127] op_sel:[0,0,1] op_sel_hi:[1,1,0] neg_lo:[0,0,1] neg_hi:[0,0,1]
	v_pk_fma_f32 v[122:123], v[122:123], v[112:113], v[126:127] op_sel:[0,0,1] op_sel_hi:[1,0,0]
	v_mov_b32_e32 v129, v123
	v_pk_mul_f32 v[122:123], v[124:125], v[114:115] op_sel:[0,1]
	s_delay_alu instid0(VALU_DEP_1) | instskip(SKIP_1) | instid1(VALU_DEP_1)
	v_pk_fma_f32 v[126:127], v[124:125], v[112:113], v[122:123] op_sel:[0,0,1] op_sel_hi:[1,1,0] neg_lo:[0,0,1] neg_hi:[0,0,1]
	v_pk_fma_f32 v[122:123], v[124:125], v[112:113], v[122:123] op_sel:[0,0,1] op_sel_hi:[1,0,0]
	v_mov_b32_e32 v127, v123
	ds_load_2addr_b64 v[122:125], v116 offset0:38 offset1:39
	v_pk_add_f32 v[36:37], v[36:37], v[128:129] neg_lo:[0,1] neg_hi:[0,1]
	v_pk_add_f32 v[32:33], v[32:33], v[126:127] neg_lo:[0,1] neg_hi:[0,1]
	s_wait_dscnt 0x0
	v_pk_mul_f32 v[126:127], v[122:123], v[114:115] op_sel:[0,1]
	s_delay_alu instid0(VALU_DEP_1) | instskip(SKIP_1) | instid1(VALU_DEP_1)
	v_pk_fma_f32 v[128:129], v[122:123], v[112:113], v[126:127] op_sel:[0,0,1] op_sel_hi:[1,1,0] neg_lo:[0,0,1] neg_hi:[0,0,1]
	v_pk_fma_f32 v[122:123], v[122:123], v[112:113], v[126:127] op_sel:[0,0,1] op_sel_hi:[1,0,0]
	v_mov_b32_e32 v129, v123
	v_pk_mul_f32 v[122:123], v[124:125], v[114:115] op_sel:[0,1]
	s_delay_alu instid0(VALU_DEP_1) | instskip(SKIP_1) | instid1(VALU_DEP_1)
	v_pk_fma_f32 v[126:127], v[124:125], v[112:113], v[122:123] op_sel:[0,0,1] op_sel_hi:[1,1,0] neg_lo:[0,0,1] neg_hi:[0,0,1]
	v_pk_fma_f32 v[122:123], v[124:125], v[112:113], v[122:123] op_sel:[0,0,1] op_sel_hi:[1,0,0]
	v_mov_b32_e32 v127, v123
	ds_load_2addr_b64 v[122:125], v116 offset0:40 offset1:41
	v_pk_add_f32 v[34:35], v[34:35], v[128:129] neg_lo:[0,1] neg_hi:[0,1]
	v_pk_add_f32 v[30:31], v[30:31], v[126:127] neg_lo:[0,1] neg_hi:[0,1]
	s_wait_dscnt 0x0
	v_dual_mul_f32 v126, v123, v115 :: v_dual_mul_f32 v128, v123, v112
	s_delay_alu instid0(VALU_DEP_1) | instskip(NEXT) | instid1(VALU_DEP_2)
	v_pk_fma_f32 v[126:127], v[122:123], v[46:47], v[126:127] op_sel_hi:[1,1,0] neg_lo:[0,0,1] neg_hi:[0,0,1]
	v_pk_fma_f32 v[122:123], v[122:123], v[46:47], v[128:129] op_sel:[1,0,0] op_sel_hi:[0,1,0]
	s_delay_alu instid0(VALU_DEP_1) | instskip(SKIP_1) | instid1(VALU_DEP_2)
	v_mov_b32_e32 v127, v123
	v_pk_mul_f32 v[122:123], v[124:125], v[114:115] op_sel:[0,1]
	v_pk_add_f32 v[26:27], v[26:27], v[126:127] neg_lo:[0,1] neg_hi:[0,1]
	s_delay_alu instid0(VALU_DEP_2) | instskip(SKIP_1) | instid1(VALU_DEP_1)
	v_pk_fma_f32 v[126:127], v[124:125], v[112:113], v[122:123] op_sel:[0,0,1] op_sel_hi:[1,1,0] neg_lo:[0,0,1] neg_hi:[0,0,1]
	v_pk_fma_f32 v[122:123], v[124:125], v[112:113], v[122:123] op_sel:[0,0,1] op_sel_hi:[1,0,0]
	v_mov_b32_e32 v127, v123
	ds_load_2addr_b64 v[122:125], v116 offset0:42 offset1:43
	v_pk_add_f32 v[22:23], v[22:23], v[126:127] neg_lo:[0,1] neg_hi:[0,1]
	s_wait_dscnt 0x0
	v_pk_mul_f32 v[126:127], v[122:123], v[114:115] op_sel:[0,1]
	s_delay_alu instid0(VALU_DEP_1) | instskip(SKIP_1) | instid1(VALU_DEP_1)
	v_pk_fma_f32 v[128:129], v[122:123], v[112:113], v[126:127] op_sel:[0,0,1] op_sel_hi:[1,1,0] neg_lo:[0,0,1] neg_hi:[0,0,1]
	v_pk_fma_f32 v[122:123], v[122:123], v[112:113], v[126:127] op_sel:[0,0,1] op_sel_hi:[1,0,0]
	v_mov_b32_e32 v129, v123
	v_pk_mul_f32 v[122:123], v[124:125], v[114:115] op_sel:[0,1]
	s_delay_alu instid0(VALU_DEP_2) | instskip(NEXT) | instid1(VALU_DEP_2)
	v_pk_add_f32 v[24:25], v[24:25], v[128:129] neg_lo:[0,1] neg_hi:[0,1]
	v_pk_fma_f32 v[126:127], v[124:125], v[112:113], v[122:123] op_sel:[0,0,1] op_sel_hi:[1,1,0] neg_lo:[0,0,1] neg_hi:[0,0,1]
	v_pk_fma_f32 v[122:123], v[124:125], v[112:113], v[122:123] op_sel:[0,0,1] op_sel_hi:[1,0,0]
	s_delay_alu instid0(VALU_DEP_1) | instskip(SKIP_4) | instid1(VALU_DEP_1)
	v_mov_b32_e32 v127, v123
	ds_load_2addr_b64 v[122:125], v116 offset0:44 offset1:45
	v_pk_add_f32 v[20:21], v[20:21], v[126:127] neg_lo:[0,1] neg_hi:[0,1]
	s_wait_dscnt 0x0
	v_pk_mul_f32 v[126:127], v[122:123], v[114:115] op_sel:[0,1]
	v_pk_fma_f32 v[128:129], v[122:123], v[112:113], v[126:127] op_sel:[0,0,1] op_sel_hi:[1,1,0] neg_lo:[0,0,1] neg_hi:[0,0,1]
	v_pk_fma_f32 v[122:123], v[122:123], v[112:113], v[126:127] op_sel:[0,0,1] op_sel_hi:[1,0,0]
	v_dual_mul_f32 v126, v125, v115 :: v_dual_mov_b32 v122, v125
	s_delay_alu instid0(VALU_DEP_2) | instskip(NEXT) | instid1(VALU_DEP_2)
	v_dual_mov_b32 v129, v123 :: v_dual_mov_b32 v123, v124
	v_pk_fma_f32 v[126:127], v[124:125], v[46:47], v[126:127] op_sel_hi:[1,1,0] neg_lo:[0,0,1] neg_hi:[0,0,1]
	v_mul_f32_e32 v124, v125, v112
	s_delay_alu instid0(VALU_DEP_3) | instskip(NEXT) | instid1(VALU_DEP_2)
	v_pk_add_f32 v[14:15], v[14:15], v[128:129] neg_lo:[0,1] neg_hi:[0,1]
	v_pk_fma_f32 v[122:123], v[122:123], v[46:47], v[124:125] op_sel_hi:[1,1,0]
	s_delay_alu instid0(VALU_DEP_1) | instskip(SKIP_4) | instid1(VALU_DEP_1)
	v_mov_b32_e32 v127, v123
	ds_load_2addr_b64 v[122:125], v116 offset0:46 offset1:47
	v_pk_add_f32 v[10:11], v[10:11], v[126:127] neg_lo:[0,1] neg_hi:[0,1]
	s_wait_dscnt 0x0
	v_pk_mul_f32 v[126:127], v[122:123], v[114:115] op_sel:[0,1]
	v_pk_fma_f32 v[128:129], v[122:123], v[112:113], v[126:127] op_sel:[0,0,1] op_sel_hi:[1,1,0] neg_lo:[0,0,1] neg_hi:[0,0,1]
	v_pk_fma_f32 v[122:123], v[122:123], v[112:113], v[126:127] op_sel:[0,0,1] op_sel_hi:[1,0,0]
	s_delay_alu instid0(VALU_DEP_1) | instskip(SKIP_1) | instid1(VALU_DEP_1)
	v_mov_b32_e32 v129, v123
	v_pk_mul_f32 v[122:123], v[124:125], v[114:115] op_sel:[0,1]
	v_pk_fma_f32 v[126:127], v[124:125], v[112:113], v[122:123] op_sel:[0,0,1] op_sel_hi:[1,1,0] neg_lo:[0,0,1] neg_hi:[0,0,1]
	v_pk_fma_f32 v[122:123], v[124:125], v[112:113], v[122:123] op_sel:[0,0,1] op_sel_hi:[1,0,0]
	s_delay_alu instid0(VALU_DEP_1)
	v_mov_b32_e32 v127, v123
	ds_load_2addr_b64 v[122:125], v116 offset0:48 offset1:49
	v_pk_add_f32 v[12:13], v[12:13], v[128:129] neg_lo:[0,1] neg_hi:[0,1]
	v_pk_add_f32 v[8:9], v[8:9], v[126:127] neg_lo:[0,1] neg_hi:[0,1]
	s_wait_dscnt 0x0
	v_pk_mul_f32 v[126:127], v[122:123], v[114:115] op_sel:[0,1]
	s_delay_alu instid0(VALU_DEP_1) | instskip(SKIP_1) | instid1(VALU_DEP_1)
	v_pk_fma_f32 v[128:129], v[122:123], v[112:113], v[126:127] op_sel:[0,0,1] op_sel_hi:[1,1,0] neg_lo:[0,0,1] neg_hi:[0,0,1]
	v_pk_fma_f32 v[122:123], v[122:123], v[112:113], v[126:127] op_sel:[0,0,1] op_sel_hi:[1,0,0]
	v_mov_b32_e32 v129, v123
	v_pk_mul_f32 v[122:123], v[124:125], v[114:115] op_sel:[0,1]
	s_delay_alu instid0(VALU_DEP_1) | instskip(SKIP_1) | instid1(VALU_DEP_1)
	v_pk_fma_f32 v[126:127], v[124:125], v[112:113], v[122:123] op_sel:[0,0,1] op_sel_hi:[1,1,0] neg_lo:[0,0,1] neg_hi:[0,0,1]
	v_pk_fma_f32 v[122:123], v[124:125], v[112:113], v[122:123] op_sel:[0,0,1] op_sel_hi:[1,0,0]
	v_mov_b32_e32 v127, v123
	ds_load_2addr_b64 v[122:125], v116 offset0:50 offset1:51
	v_pk_add_f32 v[6:7], v[6:7], v[128:129] neg_lo:[0,1] neg_hi:[0,1]
	v_pk_add_f32 v[28:29], v[28:29], v[126:127] neg_lo:[0,1] neg_hi:[0,1]
	s_wait_dscnt 0x0
	v_dual_mul_f32 v126, v123, v115 :: v_dual_mul_f32 v128, v123, v112
	s_delay_alu instid0(VALU_DEP_1) | instskip(NEXT) | instid1(VALU_DEP_2)
	v_pk_fma_f32 v[126:127], v[122:123], v[46:47], v[126:127] op_sel_hi:[1,1,0] neg_lo:[0,0,1] neg_hi:[0,0,1]
	v_pk_fma_f32 v[122:123], v[122:123], v[46:47], v[128:129] op_sel:[1,0,0] op_sel_hi:[0,1,0]
	s_delay_alu instid0(VALU_DEP_1) | instskip(SKIP_1) | instid1(VALU_DEP_2)
	v_mov_b32_e32 v127, v123
	v_pk_mul_f32 v[122:123], v[124:125], v[114:115] op_sel:[0,1]
	v_pk_add_f32 v[18:19], v[18:19], v[126:127] neg_lo:[0,1] neg_hi:[0,1]
	s_delay_alu instid0(VALU_DEP_2) | instskip(SKIP_1) | instid1(VALU_DEP_1)
	v_pk_fma_f32 v[126:127], v[124:125], v[112:113], v[122:123] op_sel:[0,0,1] op_sel_hi:[1,1,0] neg_lo:[0,0,1] neg_hi:[0,0,1]
	v_pk_fma_f32 v[122:123], v[124:125], v[112:113], v[122:123] op_sel:[0,0,1] op_sel_hi:[1,0,0]
	v_mov_b32_e32 v127, v123
	ds_load_b64 v[122:123], v116 offset:416
	v_pk_add_f32 v[16:17], v[16:17], v[126:127] neg_lo:[0,1] neg_hi:[0,1]
	s_wait_dscnt 0x0
	v_pk_mul_f32 v[114:115], v[122:123], v[114:115] op_sel:[0,1]
	s_delay_alu instid0(VALU_DEP_1) | instskip(SKIP_1) | instid1(VALU_DEP_1)
	v_pk_fma_f32 v[124:125], v[122:123], v[112:113], v[114:115] op_sel:[0,0,1] op_sel_hi:[1,1,0] neg_lo:[0,0,1] neg_hi:[0,0,1]
	v_pk_fma_f32 v[112:113], v[122:123], v[112:113], v[114:115] op_sel:[0,0,1] op_sel_hi:[1,0,0]
	v_mov_b32_e32 v125, v113
	s_delay_alu instid0(VALU_DEP_1)
	v_pk_add_f32 v[110:111], v[110:111], v[124:125] neg_lo:[0,1] neg_hi:[0,1]
.LBB104_671:
	s_or_b32 exec_lo, exec_lo, s0
	v_lshl_add_u32 v112, v120, 3, v116
	s_barrier_signal -1
	s_barrier_wait -1
	ds_store_b64 v112, v[44:45]
	s_wait_dscnt 0x0
	s_barrier_signal -1
	s_barrier_wait -1
	ds_load_b64 v[114:115], v116 offset:256
	v_mov_b32_e32 v112, 32
	s_cmp_lt_i32 s18, 34
	s_cbranch_scc1 .LBB104_674
; %bb.672:
	v_add3_u32 v113, v117, 0, 0x108
	v_mov_b32_e32 v112, 32
	s_mov_b32 s0, 33
.LBB104_673:                            ; =>This Inner Loop Header: Depth=1
	ds_load_b64 v[122:123], v113
	s_wait_dscnt 0x1
	v_cmp_gt_f32_e32 vcc_lo, 0, v114
	v_cndmask_b32_e64 v124, v114, -v114, vcc_lo
	v_cmp_gt_f32_e32 vcc_lo, 0, v115
	v_cndmask_b32_e64 v126, v115, -v115, vcc_lo
	s_wait_dscnt 0x0
	v_cmp_gt_f32_e32 vcc_lo, 0, v122
	v_cndmask_b32_e64 v125, v122, -v122, vcc_lo
	v_cmp_gt_f32_e32 vcc_lo, 0, v123
	v_cndmask_b32_e64 v127, v123, -v123, vcc_lo
	s_delay_alu instid0(VALU_DEP_1) | instskip(NEXT) | instid1(VALU_DEP_1)
	v_pk_add_f32 v[124:125], v[124:125], v[126:127]
	v_cmp_lt_f32_e32 vcc_lo, v124, v125
	v_dual_add_nc_u32 v113, 8, v113 :: v_dual_cndmask_b32 v115, v115, v123, vcc_lo
	v_cndmask_b32_e32 v114, v114, v122, vcc_lo
	v_cndmask_b32_e64 v112, v112, s0, vcc_lo
	s_add_co_i32 s0, s0, 1
	s_delay_alu instid0(SALU_CYCLE_1)
	s_cmp_lg_u32 s18, s0
	s_cbranch_scc1 .LBB104_673
.LBB104_674:
	s_wait_dscnt 0x0
	v_cmp_eq_f32_e32 vcc_lo, 0, v114
	v_cmp_eq_f32_e64 s0, 0, v115
	s_and_b32 s0, vcc_lo, s0
	s_delay_alu instid0(SALU_CYCLE_1) | instskip(NEXT) | instid1(SALU_CYCLE_1)
	s_and_saveexec_b32 s1, s0
	s_xor_b32 s0, exec_lo, s1
; %bb.675:
	v_cmp_ne_u32_e32 vcc_lo, 0, v118
	v_cndmask_b32_e32 v118, 33, v118, vcc_lo
; %bb.676:
	s_and_not1_saveexec_b32 s0, s0
	s_cbranch_execz .LBB104_682
; %bb.677:
	v_cmp_ngt_f32_e64 s1, |v114|, |v115|
	s_and_saveexec_b32 s12, s1
	s_delay_alu instid0(SALU_CYCLE_1)
	s_xor_b32 s1, exec_lo, s12
	s_cbranch_execz .LBB104_679
; %bb.678:
	v_div_scale_f32 v113, null, v115, v115, v114
	v_div_scale_f32 v123, vcc_lo, v114, v115, v114
	s_delay_alu instid0(VALU_DEP_2) | instskip(SKIP_1) | instid1(TRANS32_DEP_1)
	v_rcp_f32_e32 v121, v113
	v_nop
	v_fma_f32 v122, -v113, v121, 1.0
	s_delay_alu instid0(VALU_DEP_1) | instskip(NEXT) | instid1(VALU_DEP_1)
	v_fmac_f32_e32 v121, v122, v121
	v_mul_f32_e32 v122, v123, v121
	s_delay_alu instid0(VALU_DEP_1) | instskip(NEXT) | instid1(VALU_DEP_1)
	v_fma_f32 v124, -v113, v122, v123
	v_fmac_f32_e32 v122, v124, v121
	s_delay_alu instid0(VALU_DEP_1) | instskip(NEXT) | instid1(VALU_DEP_1)
	v_fma_f32 v113, -v113, v122, v123
	v_div_fmas_f32 v113, v113, v121, v122
	s_delay_alu instid0(VALU_DEP_1) | instskip(NEXT) | instid1(VALU_DEP_1)
	v_div_fixup_f32 v113, v113, v115, v114
	v_fmac_f32_e32 v115, v114, v113
	s_delay_alu instid0(VALU_DEP_1) | instskip(SKIP_1) | instid1(VALU_DEP_2)
	v_div_scale_f32 v114, null, v115, v115, 1.0
	v_div_scale_f32 v123, vcc_lo, 1.0, v115, 1.0
	v_rcp_f32_e32 v121, v114
	v_nop
	s_delay_alu instid0(TRANS32_DEP_1) | instskip(NEXT) | instid1(VALU_DEP_1)
	v_fma_f32 v122, -v114, v121, 1.0
	v_fmac_f32_e32 v121, v122, v121
	s_delay_alu instid0(VALU_DEP_1) | instskip(NEXT) | instid1(VALU_DEP_1)
	v_mul_f32_e32 v122, v123, v121
	v_fma_f32 v124, -v114, v122, v123
	s_delay_alu instid0(VALU_DEP_1) | instskip(NEXT) | instid1(VALU_DEP_1)
	v_fmac_f32_e32 v122, v124, v121
	v_fma_f32 v114, -v114, v122, v123
	s_delay_alu instid0(VALU_DEP_1) | instskip(NEXT) | instid1(VALU_DEP_1)
	v_div_fmas_f32 v114, v114, v121, v122
	v_div_fixup_f32 v115, v114, v115, 1.0
	s_delay_alu instid0(VALU_DEP_1)
	v_mul_f32_e32 v114, v113, v115
	v_xor_b32_e32 v115, 0x80000000, v115
.LBB104_679:
	s_and_not1_saveexec_b32 s1, s1
	s_cbranch_execz .LBB104_681
; %bb.680:
	s_delay_alu instid0(VALU_DEP_1) | instskip(SKIP_1) | instid1(VALU_DEP_2)
	v_div_scale_f32 v113, null, v114, v114, v115
	v_div_scale_f32 v123, vcc_lo, v115, v114, v115
	v_rcp_f32_e32 v121, v113
	v_nop
	s_delay_alu instid0(TRANS32_DEP_1) | instskip(NEXT) | instid1(VALU_DEP_1)
	v_fma_f32 v122, -v113, v121, 1.0
	v_fmac_f32_e32 v121, v122, v121
	s_delay_alu instid0(VALU_DEP_1) | instskip(NEXT) | instid1(VALU_DEP_1)
	v_mul_f32_e32 v122, v123, v121
	v_fma_f32 v124, -v113, v122, v123
	s_delay_alu instid0(VALU_DEP_1) | instskip(NEXT) | instid1(VALU_DEP_1)
	v_fmac_f32_e32 v122, v124, v121
	v_fma_f32 v113, -v113, v122, v123
	s_delay_alu instid0(VALU_DEP_1) | instskip(NEXT) | instid1(VALU_DEP_1)
	v_div_fmas_f32 v113, v113, v121, v122
	v_div_fixup_f32 v113, v113, v114, v115
	s_delay_alu instid0(VALU_DEP_1) | instskip(NEXT) | instid1(VALU_DEP_1)
	v_fmac_f32_e32 v114, v115, v113
	v_div_scale_f32 v115, null, v114, v114, 1.0
	s_delay_alu instid0(VALU_DEP_1) | instskip(SKIP_1) | instid1(TRANS32_DEP_1)
	v_rcp_f32_e32 v121, v115
	v_nop
	v_fma_f32 v122, -v115, v121, 1.0
	s_delay_alu instid0(VALU_DEP_1) | instskip(SKIP_1) | instid1(VALU_DEP_1)
	v_fmac_f32_e32 v121, v122, v121
	v_div_scale_f32 v122, vcc_lo, 1.0, v114, 1.0
	v_mul_f32_e32 v123, v122, v121
	s_delay_alu instid0(VALU_DEP_1) | instskip(NEXT) | instid1(VALU_DEP_1)
	v_fma_f32 v124, -v115, v123, v122
	v_fmac_f32_e32 v123, v124, v121
	s_delay_alu instid0(VALU_DEP_1) | instskip(NEXT) | instid1(VALU_DEP_1)
	v_fma_f32 v115, -v115, v123, v122
	v_div_fmas_f32 v115, v115, v121, v123
	s_delay_alu instid0(VALU_DEP_1) | instskip(NEXT) | instid1(VALU_DEP_1)
	v_div_fixup_f32 v114, v115, v114, 1.0
	v_mul_f32_e64 v115, v113, -v114
.LBB104_681:
	s_or_b32 exec_lo, exec_lo, s1
.LBB104_682:
	s_delay_alu instid0(SALU_CYCLE_1) | instskip(NEXT) | instid1(SALU_CYCLE_1)
	s_or_b32 exec_lo, exec_lo, s0
	s_mov_b32 s0, exec_lo
	v_cmpx_ne_u32_e64 v120, v112
	s_xor_b32 s0, exec_lo, s0
	s_cbranch_execz .LBB104_688
; %bb.683:
	s_mov_b32 s1, exec_lo
	v_cmpx_eq_u32_e32 32, v120
	s_cbranch_execz .LBB104_687
; %bb.684:
	v_cmp_ne_u32_e32 vcc_lo, 32, v112
	s_xor_b32 s12, s16, -1
	s_delay_alu instid0(SALU_CYCLE_1) | instskip(NEXT) | instid1(SALU_CYCLE_1)
	s_and_b32 s13, s12, vcc_lo
	s_and_saveexec_b32 s12, s13
	s_cbranch_execz .LBB104_686
; %bb.685:
	v_ashrrev_i32_e32 v113, 31, v112
	s_delay_alu instid0(VALU_DEP_1)
	v_lshl_add_u64 v[120:121], v[112:113], 2, v[4:5]
	s_clause 0x1
	global_load_b32 v113, v[120:121], off
	global_load_b32 v119, v[4:5], off offset:128
	s_wait_loadcnt 0x1
	global_store_b32 v[4:5], v113, off offset:128
	s_wait_loadcnt 0x0
	global_store_b32 v[120:121], v119, off
.LBB104_686:
	s_wait_xcnt 0x0
	s_or_b32 exec_lo, exec_lo, s12
	v_dual_mov_b32 v120, v112 :: v_dual_mov_b32 v119, v112
.LBB104_687:
	s_or_b32 exec_lo, exec_lo, s1
.LBB104_688:
	s_and_not1_saveexec_b32 s0, s0
	s_cbranch_execz .LBB104_690
; %bb.689:
	v_mov_b32_e32 v120, 32
	ds_store_2addr_b64 v116, v[40:41], v[42:43] offset0:33 offset1:34
	ds_store_2addr_b64 v116, v[38:39], v[36:37] offset0:35 offset1:36
	;; [unrolled: 1-line block ×10, first 2 shown]
.LBB104_690:
	s_or_b32 exec_lo, exec_lo, s0
	s_delay_alu instid0(SALU_CYCLE_1)
	s_mov_b32 s0, exec_lo
	s_wait_storecnt_dscnt 0x0
	s_barrier_signal -1
	s_barrier_wait -1
	v_cmpx_lt_i32_e32 32, v120
	s_cbranch_execz .LBB104_692
; %bb.691:
	v_pk_mul_f32 v[122:123], v[114:115], v[44:45] op_sel:[1,1] op_sel_hi:[0,1]
	s_delay_alu instid0(VALU_DEP_1)
	v_pk_fma_f32 v[112:113], v[114:115], v[44:45], v[122:123] op_sel_hi:[1,0,1] neg_lo:[0,0,1] neg_hi:[0,0,1]
	v_pk_fma_f32 v[114:115], v[114:115], v[44:45], v[122:123] op_sel_hi:[1,0,1]
	ds_load_2addr_b64 v[122:125], v116 offset0:33 offset1:34
	v_dual_mov_b32 v44, v112 :: v_dual_mov_b32 v45, v115
	s_wait_dscnt 0x0
	v_pk_mul_f32 v[126:127], v[122:123], v[114:115] op_sel:[0,1]
	s_delay_alu instid0(VALU_DEP_1) | instskip(SKIP_1) | instid1(VALU_DEP_1)
	v_pk_fma_f32 v[128:129], v[122:123], v[112:113], v[126:127] op_sel:[0,0,1] op_sel_hi:[1,1,0] neg_lo:[0,0,1] neg_hi:[0,0,1]
	v_pk_fma_f32 v[122:123], v[122:123], v[112:113], v[126:127] op_sel:[0,0,1] op_sel_hi:[1,0,0]
	v_mov_b32_e32 v129, v123
	v_pk_mul_f32 v[122:123], v[124:125], v[114:115] op_sel:[0,1]
	s_delay_alu instid0(VALU_DEP_1) | instskip(SKIP_1) | instid1(VALU_DEP_1)
	v_pk_fma_f32 v[126:127], v[124:125], v[112:113], v[122:123] op_sel:[0,0,1] op_sel_hi:[1,1,0] neg_lo:[0,0,1] neg_hi:[0,0,1]
	v_pk_fma_f32 v[122:123], v[124:125], v[112:113], v[122:123] op_sel:[0,0,1] op_sel_hi:[1,0,0]
	v_mov_b32_e32 v127, v123
	ds_load_2addr_b64 v[122:125], v116 offset0:35 offset1:36
	v_pk_add_f32 v[40:41], v[40:41], v[128:129] neg_lo:[0,1] neg_hi:[0,1]
	v_pk_add_f32 v[42:43], v[42:43], v[126:127] neg_lo:[0,1] neg_hi:[0,1]
	s_wait_dscnt 0x0
	v_pk_mul_f32 v[126:127], v[122:123], v[114:115] op_sel:[0,1]
	s_delay_alu instid0(VALU_DEP_1) | instskip(SKIP_2) | instid1(VALU_DEP_2)
	v_pk_fma_f32 v[128:129], v[122:123], v[112:113], v[126:127] op_sel:[0,0,1] op_sel_hi:[1,1,0] neg_lo:[0,0,1] neg_hi:[0,0,1]
	v_pk_fma_f32 v[122:123], v[122:123], v[112:113], v[126:127] op_sel:[0,0,1] op_sel_hi:[1,0,0]
	v_dual_mul_f32 v126, v125, v115 :: v_dual_mov_b32 v122, v125
	v_dual_mov_b32 v129, v123 :: v_dual_mov_b32 v123, v124
	s_delay_alu instid0(VALU_DEP_2) | instskip(SKIP_1) | instid1(VALU_DEP_3)
	v_pk_fma_f32 v[126:127], v[124:125], v[44:45], v[126:127] op_sel_hi:[1,1,0] neg_lo:[0,0,1] neg_hi:[0,0,1]
	v_mul_f32_e32 v124, v125, v112
	v_pk_add_f32 v[38:39], v[38:39], v[128:129] neg_lo:[0,1] neg_hi:[0,1]
	s_delay_alu instid0(VALU_DEP_2) | instskip(NEXT) | instid1(VALU_DEP_1)
	v_pk_fma_f32 v[122:123], v[122:123], v[44:45], v[124:125] op_sel_hi:[1,1,0]
	v_mov_b32_e32 v127, v123
	ds_load_2addr_b64 v[122:125], v116 offset0:37 offset1:38
	v_pk_add_f32 v[36:37], v[36:37], v[126:127] neg_lo:[0,1] neg_hi:[0,1]
	s_wait_dscnt 0x0
	v_pk_mul_f32 v[126:127], v[122:123], v[114:115] op_sel:[0,1]
	s_delay_alu instid0(VALU_DEP_1) | instskip(SKIP_1) | instid1(VALU_DEP_1)
	v_pk_fma_f32 v[128:129], v[122:123], v[112:113], v[126:127] op_sel:[0,0,1] op_sel_hi:[1,1,0] neg_lo:[0,0,1] neg_hi:[0,0,1]
	v_pk_fma_f32 v[122:123], v[122:123], v[112:113], v[126:127] op_sel:[0,0,1] op_sel_hi:[1,0,0]
	v_mov_b32_e32 v129, v123
	v_pk_mul_f32 v[122:123], v[124:125], v[114:115] op_sel:[0,1]
	s_delay_alu instid0(VALU_DEP_1) | instskip(SKIP_1) | instid1(VALU_DEP_1)
	v_pk_fma_f32 v[126:127], v[124:125], v[112:113], v[122:123] op_sel:[0,0,1] op_sel_hi:[1,1,0] neg_lo:[0,0,1] neg_hi:[0,0,1]
	v_pk_fma_f32 v[122:123], v[124:125], v[112:113], v[122:123] op_sel:[0,0,1] op_sel_hi:[1,0,0]
	v_mov_b32_e32 v127, v123
	ds_load_2addr_b64 v[122:125], v116 offset0:39 offset1:40
	v_pk_add_f32 v[32:33], v[32:33], v[128:129] neg_lo:[0,1] neg_hi:[0,1]
	v_pk_add_f32 v[34:35], v[34:35], v[126:127] neg_lo:[0,1] neg_hi:[0,1]
	s_wait_dscnt 0x0
	v_pk_mul_f32 v[126:127], v[122:123], v[114:115] op_sel:[0,1]
	s_delay_alu instid0(VALU_DEP_1) | instskip(SKIP_1) | instid1(VALU_DEP_1)
	v_pk_fma_f32 v[128:129], v[122:123], v[112:113], v[126:127] op_sel:[0,0,1] op_sel_hi:[1,1,0] neg_lo:[0,0,1] neg_hi:[0,0,1]
	v_pk_fma_f32 v[122:123], v[122:123], v[112:113], v[126:127] op_sel:[0,0,1] op_sel_hi:[1,0,0]
	v_mov_b32_e32 v129, v123
	v_pk_mul_f32 v[122:123], v[124:125], v[114:115] op_sel:[0,1]
	s_delay_alu instid0(VALU_DEP_1) | instskip(SKIP_1) | instid1(VALU_DEP_1)
	v_pk_fma_f32 v[126:127], v[124:125], v[112:113], v[122:123] op_sel:[0,0,1] op_sel_hi:[1,1,0] neg_lo:[0,0,1] neg_hi:[0,0,1]
	v_pk_fma_f32 v[122:123], v[124:125], v[112:113], v[122:123] op_sel:[0,0,1] op_sel_hi:[1,0,0]
	v_mov_b32_e32 v127, v123
	ds_load_2addr_b64 v[122:125], v116 offset0:41 offset1:42
	v_pk_add_f32 v[30:31], v[30:31], v[128:129] neg_lo:[0,1] neg_hi:[0,1]
	v_pk_add_f32 v[26:27], v[26:27], v[126:127] neg_lo:[0,1] neg_hi:[0,1]
	s_wait_dscnt 0x0
	v_dual_mul_f32 v126, v123, v115 :: v_dual_mul_f32 v128, v123, v112
	s_delay_alu instid0(VALU_DEP_1) | instskip(NEXT) | instid1(VALU_DEP_2)
	v_pk_fma_f32 v[126:127], v[122:123], v[44:45], v[126:127] op_sel_hi:[1,1,0] neg_lo:[0,0,1] neg_hi:[0,0,1]
	v_pk_fma_f32 v[122:123], v[122:123], v[44:45], v[128:129] op_sel:[1,0,0] op_sel_hi:[0,1,0]
	s_delay_alu instid0(VALU_DEP_1) | instskip(SKIP_1) | instid1(VALU_DEP_2)
	v_mov_b32_e32 v127, v123
	v_pk_mul_f32 v[122:123], v[124:125], v[114:115] op_sel:[0,1]
	v_pk_add_f32 v[22:23], v[22:23], v[126:127] neg_lo:[0,1] neg_hi:[0,1]
	s_delay_alu instid0(VALU_DEP_2) | instskip(SKIP_1) | instid1(VALU_DEP_1)
	v_pk_fma_f32 v[126:127], v[124:125], v[112:113], v[122:123] op_sel:[0,0,1] op_sel_hi:[1,1,0] neg_lo:[0,0,1] neg_hi:[0,0,1]
	v_pk_fma_f32 v[122:123], v[124:125], v[112:113], v[122:123] op_sel:[0,0,1] op_sel_hi:[1,0,0]
	v_mov_b32_e32 v127, v123
	ds_load_2addr_b64 v[122:125], v116 offset0:43 offset1:44
	v_pk_add_f32 v[24:25], v[24:25], v[126:127] neg_lo:[0,1] neg_hi:[0,1]
	s_wait_dscnt 0x0
	v_pk_mul_f32 v[126:127], v[122:123], v[114:115] op_sel:[0,1]
	s_delay_alu instid0(VALU_DEP_1) | instskip(SKIP_1) | instid1(VALU_DEP_1)
	v_pk_fma_f32 v[128:129], v[122:123], v[112:113], v[126:127] op_sel:[0,0,1] op_sel_hi:[1,1,0] neg_lo:[0,0,1] neg_hi:[0,0,1]
	v_pk_fma_f32 v[122:123], v[122:123], v[112:113], v[126:127] op_sel:[0,0,1] op_sel_hi:[1,0,0]
	v_mov_b32_e32 v129, v123
	v_pk_mul_f32 v[122:123], v[124:125], v[114:115] op_sel:[0,1]
	s_delay_alu instid0(VALU_DEP_2) | instskip(NEXT) | instid1(VALU_DEP_2)
	v_pk_add_f32 v[20:21], v[20:21], v[128:129] neg_lo:[0,1] neg_hi:[0,1]
	v_pk_fma_f32 v[126:127], v[124:125], v[112:113], v[122:123] op_sel:[0,0,1] op_sel_hi:[1,1,0] neg_lo:[0,0,1] neg_hi:[0,0,1]
	v_pk_fma_f32 v[122:123], v[124:125], v[112:113], v[122:123] op_sel:[0,0,1] op_sel_hi:[1,0,0]
	s_delay_alu instid0(VALU_DEP_1) | instskip(SKIP_4) | instid1(VALU_DEP_1)
	v_mov_b32_e32 v127, v123
	ds_load_2addr_b64 v[122:125], v116 offset0:45 offset1:46
	v_pk_add_f32 v[14:15], v[14:15], v[126:127] neg_lo:[0,1] neg_hi:[0,1]
	s_wait_dscnt 0x0
	v_pk_mul_f32 v[126:127], v[122:123], v[114:115] op_sel:[0,1]
	v_pk_fma_f32 v[128:129], v[122:123], v[112:113], v[126:127] op_sel:[0,0,1] op_sel_hi:[1,1,0] neg_lo:[0,0,1] neg_hi:[0,0,1]
	v_pk_fma_f32 v[122:123], v[122:123], v[112:113], v[126:127] op_sel:[0,0,1] op_sel_hi:[1,0,0]
	v_dual_mul_f32 v126, v125, v115 :: v_dual_mov_b32 v122, v125
	s_delay_alu instid0(VALU_DEP_2) | instskip(NEXT) | instid1(VALU_DEP_2)
	v_dual_mov_b32 v129, v123 :: v_dual_mov_b32 v123, v124
	v_pk_fma_f32 v[126:127], v[124:125], v[44:45], v[126:127] op_sel_hi:[1,1,0] neg_lo:[0,0,1] neg_hi:[0,0,1]
	v_mul_f32_e32 v124, v125, v112
	s_delay_alu instid0(VALU_DEP_3) | instskip(NEXT) | instid1(VALU_DEP_2)
	v_pk_add_f32 v[10:11], v[10:11], v[128:129] neg_lo:[0,1] neg_hi:[0,1]
	v_pk_fma_f32 v[122:123], v[122:123], v[44:45], v[124:125] op_sel_hi:[1,1,0]
	s_delay_alu instid0(VALU_DEP_1) | instskip(SKIP_4) | instid1(VALU_DEP_1)
	v_mov_b32_e32 v127, v123
	ds_load_2addr_b64 v[122:125], v116 offset0:47 offset1:48
	v_pk_add_f32 v[12:13], v[12:13], v[126:127] neg_lo:[0,1] neg_hi:[0,1]
	s_wait_dscnt 0x0
	v_pk_mul_f32 v[126:127], v[122:123], v[114:115] op_sel:[0,1]
	v_pk_fma_f32 v[128:129], v[122:123], v[112:113], v[126:127] op_sel:[0,0,1] op_sel_hi:[1,1,0] neg_lo:[0,0,1] neg_hi:[0,0,1]
	v_pk_fma_f32 v[122:123], v[122:123], v[112:113], v[126:127] op_sel:[0,0,1] op_sel_hi:[1,0,0]
	s_delay_alu instid0(VALU_DEP_1) | instskip(SKIP_1) | instid1(VALU_DEP_1)
	v_mov_b32_e32 v129, v123
	v_pk_mul_f32 v[122:123], v[124:125], v[114:115] op_sel:[0,1]
	v_pk_fma_f32 v[126:127], v[124:125], v[112:113], v[122:123] op_sel:[0,0,1] op_sel_hi:[1,1,0] neg_lo:[0,0,1] neg_hi:[0,0,1]
	v_pk_fma_f32 v[122:123], v[124:125], v[112:113], v[122:123] op_sel:[0,0,1] op_sel_hi:[1,0,0]
	s_delay_alu instid0(VALU_DEP_1)
	v_mov_b32_e32 v127, v123
	ds_load_2addr_b64 v[122:125], v116 offset0:49 offset1:50
	v_pk_add_f32 v[8:9], v[8:9], v[128:129] neg_lo:[0,1] neg_hi:[0,1]
	v_pk_add_f32 v[6:7], v[6:7], v[126:127] neg_lo:[0,1] neg_hi:[0,1]
	s_wait_dscnt 0x0
	v_pk_mul_f32 v[126:127], v[122:123], v[114:115] op_sel:[0,1]
	s_delay_alu instid0(VALU_DEP_1) | instskip(SKIP_1) | instid1(VALU_DEP_1)
	v_pk_fma_f32 v[128:129], v[122:123], v[112:113], v[126:127] op_sel:[0,0,1] op_sel_hi:[1,1,0] neg_lo:[0,0,1] neg_hi:[0,0,1]
	v_pk_fma_f32 v[122:123], v[122:123], v[112:113], v[126:127] op_sel:[0,0,1] op_sel_hi:[1,0,0]
	v_mov_b32_e32 v129, v123
	v_pk_mul_f32 v[122:123], v[124:125], v[114:115] op_sel:[0,1]
	s_delay_alu instid0(VALU_DEP_1) | instskip(SKIP_1) | instid1(VALU_DEP_1)
	v_pk_fma_f32 v[126:127], v[124:125], v[112:113], v[122:123] op_sel:[0,0,1] op_sel_hi:[1,1,0] neg_lo:[0,0,1] neg_hi:[0,0,1]
	v_pk_fma_f32 v[122:123], v[124:125], v[112:113], v[122:123] op_sel:[0,0,1] op_sel_hi:[1,0,0]
	v_mov_b32_e32 v127, v123
	ds_load_2addr_b64 v[122:125], v116 offset0:51 offset1:52
	v_pk_add_f32 v[28:29], v[28:29], v[128:129] neg_lo:[0,1] neg_hi:[0,1]
	v_pk_add_f32 v[18:19], v[18:19], v[126:127] neg_lo:[0,1] neg_hi:[0,1]
	s_wait_dscnt 0x0
	v_dual_mul_f32 v126, v123, v115 :: v_dual_mul_f32 v128, v123, v112
	v_pk_mul_f32 v[114:115], v[124:125], v[114:115] op_sel:[0,1]
	s_delay_alu instid0(VALU_DEP_2) | instskip(NEXT) | instid1(VALU_DEP_3)
	v_pk_fma_f32 v[126:127], v[122:123], v[44:45], v[126:127] op_sel_hi:[1,1,0] neg_lo:[0,0,1] neg_hi:[0,0,1]
	v_pk_fma_f32 v[122:123], v[122:123], v[44:45], v[128:129] op_sel:[1,0,0] op_sel_hi:[0,1,0]
	s_delay_alu instid0(VALU_DEP_1) | instskip(NEXT) | instid1(VALU_DEP_4)
	v_mov_b32_e32 v127, v123
	v_pk_fma_f32 v[122:123], v[124:125], v[112:113], v[114:115] op_sel:[0,0,1] op_sel_hi:[1,1,0] neg_lo:[0,0,1] neg_hi:[0,0,1]
	v_pk_fma_f32 v[112:113], v[124:125], v[112:113], v[114:115] op_sel:[0,0,1] op_sel_hi:[1,0,0]
	s_delay_alu instid0(VALU_DEP_1) | instskip(NEXT) | instid1(VALU_DEP_4)
	v_mov_b32_e32 v123, v113
	v_pk_add_f32 v[16:17], v[16:17], v[126:127] neg_lo:[0,1] neg_hi:[0,1]
	s_delay_alu instid0(VALU_DEP_2)
	v_pk_add_f32 v[110:111], v[110:111], v[122:123] neg_lo:[0,1] neg_hi:[0,1]
.LBB104_692:
	s_or_b32 exec_lo, exec_lo, s0
	v_lshl_add_u32 v112, v120, 3, v116
	s_barrier_signal -1
	s_barrier_wait -1
	ds_store_b64 v112, v[40:41]
	s_wait_dscnt 0x0
	s_barrier_signal -1
	s_barrier_wait -1
	ds_load_b64 v[112:113], v116 offset:264
	v_mov_b32_e32 v114, 33
	s_cmp_lt_i32 s18, 35
	s_cbranch_scc1 .LBB104_695
; %bb.693:
	v_add3_u32 v115, v117, 0, 0x110
	v_mov_b32_e32 v114, 33
	s_mov_b32 s0, 34
.LBB104_694:                            ; =>This Inner Loop Header: Depth=1
	ds_load_b64 v[122:123], v115
	s_wait_dscnt 0x1
	v_cmp_gt_f32_e32 vcc_lo, 0, v112
	v_cndmask_b32_e64 v124, v112, -v112, vcc_lo
	v_cmp_gt_f32_e32 vcc_lo, 0, v113
	v_cndmask_b32_e64 v126, v113, -v113, vcc_lo
	s_wait_dscnt 0x0
	v_cmp_gt_f32_e32 vcc_lo, 0, v122
	v_cndmask_b32_e64 v125, v122, -v122, vcc_lo
	v_cmp_gt_f32_e32 vcc_lo, 0, v123
	v_cndmask_b32_e64 v127, v123, -v123, vcc_lo
	s_delay_alu instid0(VALU_DEP_1) | instskip(NEXT) | instid1(VALU_DEP_1)
	v_pk_add_f32 v[124:125], v[124:125], v[126:127]
	v_cmp_lt_f32_e32 vcc_lo, v124, v125
	v_dual_cndmask_b32 v112, v112, v122 :: v_dual_add_nc_u32 v115, 8, v115
	v_cndmask_b32_e32 v113, v113, v123, vcc_lo
	v_cndmask_b32_e64 v114, v114, s0, vcc_lo
	s_add_co_i32 s0, s0, 1
	s_delay_alu instid0(SALU_CYCLE_1)
	s_cmp_lg_u32 s18, s0
	s_cbranch_scc1 .LBB104_694
.LBB104_695:
	s_wait_dscnt 0x0
	v_cmp_eq_f32_e32 vcc_lo, 0, v112
	v_cmp_eq_f32_e64 s0, 0, v113
	s_and_b32 s0, vcc_lo, s0
	s_delay_alu instid0(SALU_CYCLE_1) | instskip(NEXT) | instid1(SALU_CYCLE_1)
	s_and_saveexec_b32 s1, s0
	s_xor_b32 s0, exec_lo, s1
; %bb.696:
	v_cmp_ne_u32_e32 vcc_lo, 0, v118
	v_cndmask_b32_e32 v118, 34, v118, vcc_lo
; %bb.697:
	s_and_not1_saveexec_b32 s0, s0
	s_cbranch_execz .LBB104_703
; %bb.698:
	v_cmp_ngt_f32_e64 s1, |v112|, |v113|
	s_and_saveexec_b32 s12, s1
	s_delay_alu instid0(SALU_CYCLE_1)
	s_xor_b32 s1, exec_lo, s12
	s_cbranch_execz .LBB104_700
; %bb.699:
	v_div_scale_f32 v115, null, v113, v113, v112
	v_div_scale_f32 v123, vcc_lo, v112, v113, v112
	s_delay_alu instid0(VALU_DEP_2) | instskip(SKIP_1) | instid1(TRANS32_DEP_1)
	v_rcp_f32_e32 v121, v115
	v_nop
	v_fma_f32 v122, -v115, v121, 1.0
	s_delay_alu instid0(VALU_DEP_1) | instskip(NEXT) | instid1(VALU_DEP_1)
	v_fmac_f32_e32 v121, v122, v121
	v_mul_f32_e32 v122, v123, v121
	s_delay_alu instid0(VALU_DEP_1) | instskip(NEXT) | instid1(VALU_DEP_1)
	v_fma_f32 v124, -v115, v122, v123
	v_fmac_f32_e32 v122, v124, v121
	s_delay_alu instid0(VALU_DEP_1) | instskip(NEXT) | instid1(VALU_DEP_1)
	v_fma_f32 v115, -v115, v122, v123
	v_div_fmas_f32 v115, v115, v121, v122
	s_delay_alu instid0(VALU_DEP_1) | instskip(NEXT) | instid1(VALU_DEP_1)
	v_div_fixup_f32 v115, v115, v113, v112
	v_fmac_f32_e32 v113, v112, v115
	s_delay_alu instid0(VALU_DEP_1) | instskip(SKIP_1) | instid1(VALU_DEP_2)
	v_div_scale_f32 v112, null, v113, v113, 1.0
	v_div_scale_f32 v123, vcc_lo, 1.0, v113, 1.0
	v_rcp_f32_e32 v121, v112
	v_nop
	s_delay_alu instid0(TRANS32_DEP_1) | instskip(NEXT) | instid1(VALU_DEP_1)
	v_fma_f32 v122, -v112, v121, 1.0
	v_fmac_f32_e32 v121, v122, v121
	s_delay_alu instid0(VALU_DEP_1) | instskip(NEXT) | instid1(VALU_DEP_1)
	v_mul_f32_e32 v122, v123, v121
	v_fma_f32 v124, -v112, v122, v123
	s_delay_alu instid0(VALU_DEP_1) | instskip(NEXT) | instid1(VALU_DEP_1)
	v_fmac_f32_e32 v122, v124, v121
	v_fma_f32 v112, -v112, v122, v123
	s_delay_alu instid0(VALU_DEP_1) | instskip(NEXT) | instid1(VALU_DEP_1)
	v_div_fmas_f32 v112, v112, v121, v122
	v_div_fixup_f32 v113, v112, v113, 1.0
	s_delay_alu instid0(VALU_DEP_1)
	v_mul_f32_e32 v112, v115, v113
	v_xor_b32_e32 v113, 0x80000000, v113
.LBB104_700:
	s_and_not1_saveexec_b32 s1, s1
	s_cbranch_execz .LBB104_702
; %bb.701:
	s_delay_alu instid0(VALU_DEP_1) | instskip(SKIP_1) | instid1(VALU_DEP_2)
	v_div_scale_f32 v115, null, v112, v112, v113
	v_div_scale_f32 v123, vcc_lo, v113, v112, v113
	v_rcp_f32_e32 v121, v115
	v_nop
	s_delay_alu instid0(TRANS32_DEP_1) | instskip(NEXT) | instid1(VALU_DEP_1)
	v_fma_f32 v122, -v115, v121, 1.0
	v_fmac_f32_e32 v121, v122, v121
	s_delay_alu instid0(VALU_DEP_1) | instskip(NEXT) | instid1(VALU_DEP_1)
	v_mul_f32_e32 v122, v123, v121
	v_fma_f32 v124, -v115, v122, v123
	s_delay_alu instid0(VALU_DEP_1) | instskip(NEXT) | instid1(VALU_DEP_1)
	v_fmac_f32_e32 v122, v124, v121
	v_fma_f32 v115, -v115, v122, v123
	s_delay_alu instid0(VALU_DEP_1) | instskip(NEXT) | instid1(VALU_DEP_1)
	v_div_fmas_f32 v115, v115, v121, v122
	v_div_fixup_f32 v115, v115, v112, v113
	s_delay_alu instid0(VALU_DEP_1) | instskip(NEXT) | instid1(VALU_DEP_1)
	v_fmac_f32_e32 v112, v113, v115
	v_div_scale_f32 v113, null, v112, v112, 1.0
	s_delay_alu instid0(VALU_DEP_1) | instskip(SKIP_1) | instid1(TRANS32_DEP_1)
	v_rcp_f32_e32 v121, v113
	v_nop
	v_fma_f32 v122, -v113, v121, 1.0
	s_delay_alu instid0(VALU_DEP_1) | instskip(SKIP_1) | instid1(VALU_DEP_1)
	v_fmac_f32_e32 v121, v122, v121
	v_div_scale_f32 v122, vcc_lo, 1.0, v112, 1.0
	v_mul_f32_e32 v123, v122, v121
	s_delay_alu instid0(VALU_DEP_1) | instskip(NEXT) | instid1(VALU_DEP_1)
	v_fma_f32 v124, -v113, v123, v122
	v_fmac_f32_e32 v123, v124, v121
	s_delay_alu instid0(VALU_DEP_1) | instskip(NEXT) | instid1(VALU_DEP_1)
	v_fma_f32 v113, -v113, v123, v122
	v_div_fmas_f32 v113, v113, v121, v123
	s_delay_alu instid0(VALU_DEP_1) | instskip(NEXT) | instid1(VALU_DEP_1)
	v_div_fixup_f32 v112, v113, v112, 1.0
	v_mul_f32_e64 v113, v115, -v112
.LBB104_702:
	s_or_b32 exec_lo, exec_lo, s1
.LBB104_703:
	s_delay_alu instid0(SALU_CYCLE_1) | instskip(NEXT) | instid1(SALU_CYCLE_1)
	s_or_b32 exec_lo, exec_lo, s0
	s_mov_b32 s0, exec_lo
	v_cmpx_ne_u32_e64 v120, v114
	s_xor_b32 s0, exec_lo, s0
	s_cbranch_execz .LBB104_709
; %bb.704:
	s_mov_b32 s1, exec_lo
	v_cmpx_eq_u32_e32 33, v120
	s_cbranch_execz .LBB104_708
; %bb.705:
	v_cmp_ne_u32_e32 vcc_lo, 33, v114
	s_xor_b32 s12, s16, -1
	s_delay_alu instid0(SALU_CYCLE_1) | instskip(NEXT) | instid1(SALU_CYCLE_1)
	s_and_b32 s13, s12, vcc_lo
	s_and_saveexec_b32 s12, s13
	s_cbranch_execz .LBB104_707
; %bb.706:
	v_ashrrev_i32_e32 v115, 31, v114
	s_delay_alu instid0(VALU_DEP_1)
	v_lshl_add_u64 v[120:121], v[114:115], 2, v[4:5]
	s_clause 0x1
	global_load_b32 v115, v[120:121], off
	global_load_b32 v119, v[4:5], off offset:132
	s_wait_loadcnt 0x1
	global_store_b32 v[4:5], v115, off offset:132
	s_wait_loadcnt 0x0
	global_store_b32 v[120:121], v119, off
.LBB104_707:
	s_wait_xcnt 0x0
	s_or_b32 exec_lo, exec_lo, s12
	v_dual_mov_b32 v120, v114 :: v_dual_mov_b32 v119, v114
.LBB104_708:
	s_or_b32 exec_lo, exec_lo, s1
.LBB104_709:
	s_and_not1_saveexec_b32 s0, s0
	s_cbranch_execz .LBB104_711
; %bb.710:
	v_dual_mov_b32 v114, v42 :: v_dual_mov_b32 v115, v43
	v_dual_mov_b32 v120, v38 :: v_dual_mov_b32 v121, v39
	v_dual_mov_b32 v122, v36 :: v_dual_mov_b32 v123, v37
	v_dual_mov_b32 v124, v32 :: v_dual_mov_b32 v125, v33
	v_dual_mov_b32 v126, v34 :: v_dual_mov_b32 v127, v35
	v_dual_mov_b32 v128, v30 :: v_dual_mov_b32 v129, v31
	v_dual_mov_b32 v130, v26 :: v_dual_mov_b32 v131, v27
	v_dual_mov_b32 v132, v22 :: v_dual_mov_b32 v133, v23
	ds_store_2addr_b64 v116, v[114:115], v[120:121] offset0:34 offset1:35
	ds_store_2addr_b64 v116, v[122:123], v[124:125] offset0:36 offset1:37
	;; [unrolled: 1-line block ×4, first 2 shown]
	v_dual_mov_b32 v114, v24 :: v_dual_mov_b32 v115, v25
	v_dual_mov_b32 v120, v20 :: v_dual_mov_b32 v121, v21
	;; [unrolled: 1-line block ×6, first 2 shown]
	ds_store_2addr_b64 v116, v[114:115], v[120:121] offset0:42 offset1:43
	ds_store_2addr_b64 v116, v[122:123], v[124:125] offset0:44 offset1:45
	v_dual_mov_b32 v120, 33 :: v_dual_mov_b32 v130, v6
	v_dual_mov_b32 v131, v7 :: v_dual_mov_b32 v132, v28
	;; [unrolled: 1-line block ×4, first 2 shown]
	v_mov_b32_e32 v137, v17
	ds_store_2addr_b64 v116, v[126:127], v[128:129] offset0:46 offset1:47
	ds_store_2addr_b64 v116, v[130:131], v[132:133] offset0:48 offset1:49
	;; [unrolled: 1-line block ×3, first 2 shown]
	ds_store_b64 v116, v[110:111] offset:416
.LBB104_711:
	s_or_b32 exec_lo, exec_lo, s0
	s_delay_alu instid0(SALU_CYCLE_1)
	s_mov_b32 s0, exec_lo
	s_wait_storecnt_dscnt 0x0
	s_barrier_signal -1
	s_barrier_wait -1
	v_cmpx_lt_i32_e32 33, v120
	s_cbranch_execz .LBB104_713
; %bb.712:
	v_pk_mul_f32 v[122:123], v[112:113], v[40:41] op_sel:[1,1] op_sel_hi:[0,1]
	s_delay_alu instid0(VALU_DEP_1)
	v_pk_fma_f32 v[114:115], v[112:113], v[40:41], v[122:123] op_sel_hi:[1,0,1] neg_lo:[0,0,1] neg_hi:[0,0,1]
	v_pk_fma_f32 v[112:113], v[112:113], v[40:41], v[122:123] op_sel_hi:[1,0,1]
	ds_load_2addr_b64 v[122:125], v116 offset0:34 offset1:35
	v_dual_mov_b32 v40, v114 :: v_dual_mov_b32 v41, v113
	s_wait_dscnt 0x0
	v_pk_mul_f32 v[126:127], v[122:123], v[112:113] op_sel:[0,1]
	s_delay_alu instid0(VALU_DEP_1) | instskip(SKIP_1) | instid1(VALU_DEP_1)
	v_pk_fma_f32 v[128:129], v[122:123], v[114:115], v[126:127] op_sel:[0,0,1] op_sel_hi:[1,1,0] neg_lo:[0,0,1] neg_hi:[0,0,1]
	v_pk_fma_f32 v[122:123], v[122:123], v[114:115], v[126:127] op_sel:[0,0,1] op_sel_hi:[1,0,0]
	v_mov_b32_e32 v129, v123
	v_pk_mul_f32 v[122:123], v[124:125], v[112:113] op_sel:[0,1]
	s_delay_alu instid0(VALU_DEP_1) | instskip(SKIP_1) | instid1(VALU_DEP_1)
	v_pk_fma_f32 v[126:127], v[124:125], v[114:115], v[122:123] op_sel:[0,0,1] op_sel_hi:[1,1,0] neg_lo:[0,0,1] neg_hi:[0,0,1]
	v_pk_fma_f32 v[122:123], v[124:125], v[114:115], v[122:123] op_sel:[0,0,1] op_sel_hi:[1,0,0]
	v_mov_b32_e32 v127, v123
	ds_load_2addr_b64 v[122:125], v116 offset0:36 offset1:37
	v_pk_add_f32 v[42:43], v[42:43], v[128:129] neg_lo:[0,1] neg_hi:[0,1]
	v_pk_add_f32 v[38:39], v[38:39], v[126:127] neg_lo:[0,1] neg_hi:[0,1]
	s_wait_dscnt 0x0
	v_pk_mul_f32 v[126:127], v[122:123], v[112:113] op_sel:[0,1]
	s_delay_alu instid0(VALU_DEP_1) | instskip(SKIP_2) | instid1(VALU_DEP_2)
	v_pk_fma_f32 v[128:129], v[122:123], v[114:115], v[126:127] op_sel:[0,0,1] op_sel_hi:[1,1,0] neg_lo:[0,0,1] neg_hi:[0,0,1]
	v_pk_fma_f32 v[122:123], v[122:123], v[114:115], v[126:127] op_sel:[0,0,1] op_sel_hi:[1,0,0]
	v_dual_mul_f32 v126, v125, v113 :: v_dual_mov_b32 v122, v125
	v_dual_mov_b32 v129, v123 :: v_dual_mov_b32 v123, v124
	s_delay_alu instid0(VALU_DEP_2) | instskip(SKIP_1) | instid1(VALU_DEP_3)
	v_pk_fma_f32 v[126:127], v[124:125], v[40:41], v[126:127] op_sel_hi:[1,1,0] neg_lo:[0,0,1] neg_hi:[0,0,1]
	v_mul_f32_e32 v124, v125, v114
	v_pk_add_f32 v[36:37], v[36:37], v[128:129] neg_lo:[0,1] neg_hi:[0,1]
	s_delay_alu instid0(VALU_DEP_2) | instskip(NEXT) | instid1(VALU_DEP_1)
	v_pk_fma_f32 v[122:123], v[122:123], v[40:41], v[124:125] op_sel_hi:[1,1,0]
	v_mov_b32_e32 v127, v123
	ds_load_2addr_b64 v[122:125], v116 offset0:38 offset1:39
	v_pk_add_f32 v[32:33], v[32:33], v[126:127] neg_lo:[0,1] neg_hi:[0,1]
	s_wait_dscnt 0x0
	v_pk_mul_f32 v[126:127], v[122:123], v[112:113] op_sel:[0,1]
	s_delay_alu instid0(VALU_DEP_1) | instskip(SKIP_1) | instid1(VALU_DEP_1)
	v_pk_fma_f32 v[128:129], v[122:123], v[114:115], v[126:127] op_sel:[0,0,1] op_sel_hi:[1,1,0] neg_lo:[0,0,1] neg_hi:[0,0,1]
	v_pk_fma_f32 v[122:123], v[122:123], v[114:115], v[126:127] op_sel:[0,0,1] op_sel_hi:[1,0,0]
	v_mov_b32_e32 v129, v123
	v_pk_mul_f32 v[122:123], v[124:125], v[112:113] op_sel:[0,1]
	s_delay_alu instid0(VALU_DEP_1) | instskip(SKIP_1) | instid1(VALU_DEP_1)
	v_pk_fma_f32 v[126:127], v[124:125], v[114:115], v[122:123] op_sel:[0,0,1] op_sel_hi:[1,1,0] neg_lo:[0,0,1] neg_hi:[0,0,1]
	v_pk_fma_f32 v[122:123], v[124:125], v[114:115], v[122:123] op_sel:[0,0,1] op_sel_hi:[1,0,0]
	v_mov_b32_e32 v127, v123
	ds_load_2addr_b64 v[122:125], v116 offset0:40 offset1:41
	v_pk_add_f32 v[34:35], v[34:35], v[128:129] neg_lo:[0,1] neg_hi:[0,1]
	v_pk_add_f32 v[30:31], v[30:31], v[126:127] neg_lo:[0,1] neg_hi:[0,1]
	s_wait_dscnt 0x0
	v_pk_mul_f32 v[126:127], v[122:123], v[112:113] op_sel:[0,1]
	s_delay_alu instid0(VALU_DEP_1) | instskip(SKIP_1) | instid1(VALU_DEP_1)
	v_pk_fma_f32 v[128:129], v[122:123], v[114:115], v[126:127] op_sel:[0,0,1] op_sel_hi:[1,1,0] neg_lo:[0,0,1] neg_hi:[0,0,1]
	v_pk_fma_f32 v[122:123], v[122:123], v[114:115], v[126:127] op_sel:[0,0,1] op_sel_hi:[1,0,0]
	v_mov_b32_e32 v129, v123
	v_pk_mul_f32 v[122:123], v[124:125], v[112:113] op_sel:[0,1]
	s_delay_alu instid0(VALU_DEP_1) | instskip(SKIP_1) | instid1(VALU_DEP_1)
	v_pk_fma_f32 v[126:127], v[124:125], v[114:115], v[122:123] op_sel:[0,0,1] op_sel_hi:[1,1,0] neg_lo:[0,0,1] neg_hi:[0,0,1]
	v_pk_fma_f32 v[122:123], v[124:125], v[114:115], v[122:123] op_sel:[0,0,1] op_sel_hi:[1,0,0]
	v_mov_b32_e32 v127, v123
	ds_load_2addr_b64 v[122:125], v116 offset0:42 offset1:43
	v_pk_add_f32 v[26:27], v[26:27], v[128:129] neg_lo:[0,1] neg_hi:[0,1]
	v_pk_add_f32 v[22:23], v[22:23], v[126:127] neg_lo:[0,1] neg_hi:[0,1]
	s_wait_dscnt 0x0
	v_dual_mul_f32 v126, v123, v113 :: v_dual_mul_f32 v128, v123, v114
	s_delay_alu instid0(VALU_DEP_1) | instskip(NEXT) | instid1(VALU_DEP_2)
	v_pk_fma_f32 v[126:127], v[122:123], v[40:41], v[126:127] op_sel_hi:[1,1,0] neg_lo:[0,0,1] neg_hi:[0,0,1]
	v_pk_fma_f32 v[122:123], v[122:123], v[40:41], v[128:129] op_sel:[1,0,0] op_sel_hi:[0,1,0]
	s_delay_alu instid0(VALU_DEP_1) | instskip(SKIP_1) | instid1(VALU_DEP_2)
	v_mov_b32_e32 v127, v123
	v_pk_mul_f32 v[122:123], v[124:125], v[112:113] op_sel:[0,1]
	v_pk_add_f32 v[24:25], v[24:25], v[126:127] neg_lo:[0,1] neg_hi:[0,1]
	s_delay_alu instid0(VALU_DEP_2) | instskip(SKIP_1) | instid1(VALU_DEP_1)
	v_pk_fma_f32 v[126:127], v[124:125], v[114:115], v[122:123] op_sel:[0,0,1] op_sel_hi:[1,1,0] neg_lo:[0,0,1] neg_hi:[0,0,1]
	v_pk_fma_f32 v[122:123], v[124:125], v[114:115], v[122:123] op_sel:[0,0,1] op_sel_hi:[1,0,0]
	v_mov_b32_e32 v127, v123
	ds_load_2addr_b64 v[122:125], v116 offset0:44 offset1:45
	v_pk_add_f32 v[20:21], v[20:21], v[126:127] neg_lo:[0,1] neg_hi:[0,1]
	s_wait_dscnt 0x0
	v_pk_mul_f32 v[126:127], v[122:123], v[112:113] op_sel:[0,1]
	s_delay_alu instid0(VALU_DEP_1) | instskip(SKIP_1) | instid1(VALU_DEP_1)
	v_pk_fma_f32 v[128:129], v[122:123], v[114:115], v[126:127] op_sel:[0,0,1] op_sel_hi:[1,1,0] neg_lo:[0,0,1] neg_hi:[0,0,1]
	v_pk_fma_f32 v[122:123], v[122:123], v[114:115], v[126:127] op_sel:[0,0,1] op_sel_hi:[1,0,0]
	v_mov_b32_e32 v129, v123
	v_pk_mul_f32 v[122:123], v[124:125], v[112:113] op_sel:[0,1]
	s_delay_alu instid0(VALU_DEP_2) | instskip(NEXT) | instid1(VALU_DEP_2)
	v_pk_add_f32 v[14:15], v[14:15], v[128:129] neg_lo:[0,1] neg_hi:[0,1]
	v_pk_fma_f32 v[126:127], v[124:125], v[114:115], v[122:123] op_sel:[0,0,1] op_sel_hi:[1,1,0] neg_lo:[0,0,1] neg_hi:[0,0,1]
	v_pk_fma_f32 v[122:123], v[124:125], v[114:115], v[122:123] op_sel:[0,0,1] op_sel_hi:[1,0,0]
	s_delay_alu instid0(VALU_DEP_1) | instskip(SKIP_4) | instid1(VALU_DEP_1)
	v_mov_b32_e32 v127, v123
	ds_load_2addr_b64 v[122:125], v116 offset0:46 offset1:47
	v_pk_add_f32 v[10:11], v[10:11], v[126:127] neg_lo:[0,1] neg_hi:[0,1]
	s_wait_dscnt 0x0
	v_pk_mul_f32 v[126:127], v[122:123], v[112:113] op_sel:[0,1]
	v_pk_fma_f32 v[128:129], v[122:123], v[114:115], v[126:127] op_sel:[0,0,1] op_sel_hi:[1,1,0] neg_lo:[0,0,1] neg_hi:[0,0,1]
	v_pk_fma_f32 v[122:123], v[122:123], v[114:115], v[126:127] op_sel:[0,0,1] op_sel_hi:[1,0,0]
	v_dual_mul_f32 v126, v125, v113 :: v_dual_mov_b32 v122, v125
	s_delay_alu instid0(VALU_DEP_2) | instskip(NEXT) | instid1(VALU_DEP_2)
	v_dual_mov_b32 v129, v123 :: v_dual_mov_b32 v123, v124
	v_pk_fma_f32 v[126:127], v[124:125], v[40:41], v[126:127] op_sel_hi:[1,1,0] neg_lo:[0,0,1] neg_hi:[0,0,1]
	v_mul_f32_e32 v124, v125, v114
	s_delay_alu instid0(VALU_DEP_3) | instskip(NEXT) | instid1(VALU_DEP_2)
	v_pk_add_f32 v[12:13], v[12:13], v[128:129] neg_lo:[0,1] neg_hi:[0,1]
	v_pk_fma_f32 v[122:123], v[122:123], v[40:41], v[124:125] op_sel_hi:[1,1,0]
	s_delay_alu instid0(VALU_DEP_1) | instskip(SKIP_4) | instid1(VALU_DEP_1)
	v_mov_b32_e32 v127, v123
	ds_load_2addr_b64 v[122:125], v116 offset0:48 offset1:49
	v_pk_add_f32 v[8:9], v[8:9], v[126:127] neg_lo:[0,1] neg_hi:[0,1]
	s_wait_dscnt 0x0
	v_pk_mul_f32 v[126:127], v[122:123], v[112:113] op_sel:[0,1]
	v_pk_fma_f32 v[128:129], v[122:123], v[114:115], v[126:127] op_sel:[0,0,1] op_sel_hi:[1,1,0] neg_lo:[0,0,1] neg_hi:[0,0,1]
	v_pk_fma_f32 v[122:123], v[122:123], v[114:115], v[126:127] op_sel:[0,0,1] op_sel_hi:[1,0,0]
	s_delay_alu instid0(VALU_DEP_1) | instskip(SKIP_1) | instid1(VALU_DEP_1)
	v_mov_b32_e32 v129, v123
	v_pk_mul_f32 v[122:123], v[124:125], v[112:113] op_sel:[0,1]
	v_pk_fma_f32 v[126:127], v[124:125], v[114:115], v[122:123] op_sel:[0,0,1] op_sel_hi:[1,1,0] neg_lo:[0,0,1] neg_hi:[0,0,1]
	v_pk_fma_f32 v[122:123], v[124:125], v[114:115], v[122:123] op_sel:[0,0,1] op_sel_hi:[1,0,0]
	s_delay_alu instid0(VALU_DEP_1)
	v_mov_b32_e32 v127, v123
	ds_load_2addr_b64 v[122:125], v116 offset0:50 offset1:51
	v_pk_add_f32 v[6:7], v[6:7], v[128:129] neg_lo:[0,1] neg_hi:[0,1]
	v_pk_add_f32 v[28:29], v[28:29], v[126:127] neg_lo:[0,1] neg_hi:[0,1]
	s_wait_dscnt 0x0
	v_pk_mul_f32 v[126:127], v[122:123], v[112:113] op_sel:[0,1]
	s_delay_alu instid0(VALU_DEP_1) | instskip(SKIP_1) | instid1(VALU_DEP_1)
	v_pk_fma_f32 v[128:129], v[122:123], v[114:115], v[126:127] op_sel:[0,0,1] op_sel_hi:[1,1,0] neg_lo:[0,0,1] neg_hi:[0,0,1]
	v_pk_fma_f32 v[122:123], v[122:123], v[114:115], v[126:127] op_sel:[0,0,1] op_sel_hi:[1,0,0]
	v_mov_b32_e32 v129, v123
	v_pk_mul_f32 v[122:123], v[124:125], v[112:113] op_sel:[0,1]
	s_delay_alu instid0(VALU_DEP_1) | instskip(SKIP_1) | instid1(VALU_DEP_1)
	v_pk_fma_f32 v[126:127], v[124:125], v[114:115], v[122:123] op_sel:[0,0,1] op_sel_hi:[1,1,0] neg_lo:[0,0,1] neg_hi:[0,0,1]
	v_pk_fma_f32 v[122:123], v[124:125], v[114:115], v[122:123] op_sel:[0,0,1] op_sel_hi:[1,0,0]
	v_mov_b32_e32 v127, v123
	ds_load_b64 v[122:123], v116 offset:416
	v_pk_add_f32 v[18:19], v[18:19], v[128:129] neg_lo:[0,1] neg_hi:[0,1]
	v_pk_add_f32 v[16:17], v[16:17], v[126:127] neg_lo:[0,1] neg_hi:[0,1]
	s_wait_dscnt 0x0
	v_pk_mul_f32 v[112:113], v[122:123], v[112:113] op_sel:[0,1]
	s_delay_alu instid0(VALU_DEP_1) | instskip(SKIP_1) | instid1(VALU_DEP_1)
	v_pk_fma_f32 v[124:125], v[122:123], v[114:115], v[112:113] op_sel:[0,0,1] op_sel_hi:[1,1,0] neg_lo:[0,0,1] neg_hi:[0,0,1]
	v_pk_fma_f32 v[112:113], v[122:123], v[114:115], v[112:113] op_sel:[0,0,1] op_sel_hi:[1,0,0]
	v_mov_b32_e32 v125, v113
	s_delay_alu instid0(VALU_DEP_1)
	v_pk_add_f32 v[110:111], v[110:111], v[124:125] neg_lo:[0,1] neg_hi:[0,1]
.LBB104_713:
	s_or_b32 exec_lo, exec_lo, s0
	v_lshl_add_u32 v112, v120, 3, v116
	s_barrier_signal -1
	s_barrier_wait -1
	ds_store_b64 v112, v[42:43]
	s_wait_dscnt 0x0
	s_barrier_signal -1
	s_barrier_wait -1
	ds_load_b64 v[112:113], v116 offset:272
	v_mov_b32_e32 v114, 34
	s_cmp_lt_i32 s18, 36
	s_cbranch_scc1 .LBB104_716
; %bb.714:
	v_add3_u32 v115, v117, 0, 0x118
	v_mov_b32_e32 v114, 34
	s_mov_b32 s0, 35
.LBB104_715:                            ; =>This Inner Loop Header: Depth=1
	ds_load_b64 v[122:123], v115
	s_wait_dscnt 0x1
	v_cmp_gt_f32_e32 vcc_lo, 0, v112
	v_cndmask_b32_e64 v124, v112, -v112, vcc_lo
	v_cmp_gt_f32_e32 vcc_lo, 0, v113
	v_cndmask_b32_e64 v126, v113, -v113, vcc_lo
	s_wait_dscnt 0x0
	v_cmp_gt_f32_e32 vcc_lo, 0, v122
	v_cndmask_b32_e64 v125, v122, -v122, vcc_lo
	v_cmp_gt_f32_e32 vcc_lo, 0, v123
	v_cndmask_b32_e64 v127, v123, -v123, vcc_lo
	s_delay_alu instid0(VALU_DEP_1) | instskip(NEXT) | instid1(VALU_DEP_1)
	v_pk_add_f32 v[124:125], v[124:125], v[126:127]
	v_cmp_lt_f32_e32 vcc_lo, v124, v125
	v_dual_cndmask_b32 v112, v112, v122 :: v_dual_add_nc_u32 v115, 8, v115
	v_cndmask_b32_e32 v113, v113, v123, vcc_lo
	v_cndmask_b32_e64 v114, v114, s0, vcc_lo
	s_add_co_i32 s0, s0, 1
	s_delay_alu instid0(SALU_CYCLE_1)
	s_cmp_lg_u32 s18, s0
	s_cbranch_scc1 .LBB104_715
.LBB104_716:
	s_wait_dscnt 0x0
	v_cmp_eq_f32_e32 vcc_lo, 0, v112
	v_cmp_eq_f32_e64 s0, 0, v113
	s_and_b32 s0, vcc_lo, s0
	s_delay_alu instid0(SALU_CYCLE_1) | instskip(NEXT) | instid1(SALU_CYCLE_1)
	s_and_saveexec_b32 s1, s0
	s_xor_b32 s0, exec_lo, s1
; %bb.717:
	v_cmp_ne_u32_e32 vcc_lo, 0, v118
	v_cndmask_b32_e32 v118, 35, v118, vcc_lo
; %bb.718:
	s_and_not1_saveexec_b32 s0, s0
	s_cbranch_execz .LBB104_724
; %bb.719:
	v_cmp_ngt_f32_e64 s1, |v112|, |v113|
	s_and_saveexec_b32 s12, s1
	s_delay_alu instid0(SALU_CYCLE_1)
	s_xor_b32 s1, exec_lo, s12
	s_cbranch_execz .LBB104_721
; %bb.720:
	v_div_scale_f32 v115, null, v113, v113, v112
	v_div_scale_f32 v123, vcc_lo, v112, v113, v112
	s_delay_alu instid0(VALU_DEP_2) | instskip(SKIP_1) | instid1(TRANS32_DEP_1)
	v_rcp_f32_e32 v121, v115
	v_nop
	v_fma_f32 v122, -v115, v121, 1.0
	s_delay_alu instid0(VALU_DEP_1) | instskip(NEXT) | instid1(VALU_DEP_1)
	v_fmac_f32_e32 v121, v122, v121
	v_mul_f32_e32 v122, v123, v121
	s_delay_alu instid0(VALU_DEP_1) | instskip(NEXT) | instid1(VALU_DEP_1)
	v_fma_f32 v124, -v115, v122, v123
	v_fmac_f32_e32 v122, v124, v121
	s_delay_alu instid0(VALU_DEP_1) | instskip(NEXT) | instid1(VALU_DEP_1)
	v_fma_f32 v115, -v115, v122, v123
	v_div_fmas_f32 v115, v115, v121, v122
	s_delay_alu instid0(VALU_DEP_1) | instskip(NEXT) | instid1(VALU_DEP_1)
	v_div_fixup_f32 v115, v115, v113, v112
	v_fmac_f32_e32 v113, v112, v115
	s_delay_alu instid0(VALU_DEP_1) | instskip(SKIP_1) | instid1(VALU_DEP_2)
	v_div_scale_f32 v112, null, v113, v113, 1.0
	v_div_scale_f32 v123, vcc_lo, 1.0, v113, 1.0
	v_rcp_f32_e32 v121, v112
	v_nop
	s_delay_alu instid0(TRANS32_DEP_1) | instskip(NEXT) | instid1(VALU_DEP_1)
	v_fma_f32 v122, -v112, v121, 1.0
	v_fmac_f32_e32 v121, v122, v121
	s_delay_alu instid0(VALU_DEP_1) | instskip(NEXT) | instid1(VALU_DEP_1)
	v_mul_f32_e32 v122, v123, v121
	v_fma_f32 v124, -v112, v122, v123
	s_delay_alu instid0(VALU_DEP_1) | instskip(NEXT) | instid1(VALU_DEP_1)
	v_fmac_f32_e32 v122, v124, v121
	v_fma_f32 v112, -v112, v122, v123
	s_delay_alu instid0(VALU_DEP_1) | instskip(NEXT) | instid1(VALU_DEP_1)
	v_div_fmas_f32 v112, v112, v121, v122
	v_div_fixup_f32 v113, v112, v113, 1.0
	s_delay_alu instid0(VALU_DEP_1)
	v_mul_f32_e32 v112, v115, v113
	v_xor_b32_e32 v113, 0x80000000, v113
.LBB104_721:
	s_and_not1_saveexec_b32 s1, s1
	s_cbranch_execz .LBB104_723
; %bb.722:
	s_delay_alu instid0(VALU_DEP_1) | instskip(SKIP_1) | instid1(VALU_DEP_2)
	v_div_scale_f32 v115, null, v112, v112, v113
	v_div_scale_f32 v123, vcc_lo, v113, v112, v113
	v_rcp_f32_e32 v121, v115
	v_nop
	s_delay_alu instid0(TRANS32_DEP_1) | instskip(NEXT) | instid1(VALU_DEP_1)
	v_fma_f32 v122, -v115, v121, 1.0
	v_fmac_f32_e32 v121, v122, v121
	s_delay_alu instid0(VALU_DEP_1) | instskip(NEXT) | instid1(VALU_DEP_1)
	v_mul_f32_e32 v122, v123, v121
	v_fma_f32 v124, -v115, v122, v123
	s_delay_alu instid0(VALU_DEP_1) | instskip(NEXT) | instid1(VALU_DEP_1)
	v_fmac_f32_e32 v122, v124, v121
	v_fma_f32 v115, -v115, v122, v123
	s_delay_alu instid0(VALU_DEP_1) | instskip(NEXT) | instid1(VALU_DEP_1)
	v_div_fmas_f32 v115, v115, v121, v122
	v_div_fixup_f32 v115, v115, v112, v113
	s_delay_alu instid0(VALU_DEP_1) | instskip(NEXT) | instid1(VALU_DEP_1)
	v_fmac_f32_e32 v112, v113, v115
	v_div_scale_f32 v113, null, v112, v112, 1.0
	s_delay_alu instid0(VALU_DEP_1) | instskip(SKIP_1) | instid1(TRANS32_DEP_1)
	v_rcp_f32_e32 v121, v113
	v_nop
	v_fma_f32 v122, -v113, v121, 1.0
	s_delay_alu instid0(VALU_DEP_1) | instskip(SKIP_1) | instid1(VALU_DEP_1)
	v_fmac_f32_e32 v121, v122, v121
	v_div_scale_f32 v122, vcc_lo, 1.0, v112, 1.0
	v_mul_f32_e32 v123, v122, v121
	s_delay_alu instid0(VALU_DEP_1) | instskip(NEXT) | instid1(VALU_DEP_1)
	v_fma_f32 v124, -v113, v123, v122
	v_fmac_f32_e32 v123, v124, v121
	s_delay_alu instid0(VALU_DEP_1) | instskip(NEXT) | instid1(VALU_DEP_1)
	v_fma_f32 v113, -v113, v123, v122
	v_div_fmas_f32 v113, v113, v121, v123
	s_delay_alu instid0(VALU_DEP_1) | instskip(NEXT) | instid1(VALU_DEP_1)
	v_div_fixup_f32 v112, v113, v112, 1.0
	v_mul_f32_e64 v113, v115, -v112
.LBB104_723:
	s_or_b32 exec_lo, exec_lo, s1
.LBB104_724:
	s_delay_alu instid0(SALU_CYCLE_1) | instskip(NEXT) | instid1(SALU_CYCLE_1)
	s_or_b32 exec_lo, exec_lo, s0
	s_mov_b32 s0, exec_lo
	v_cmpx_ne_u32_e64 v120, v114
	s_xor_b32 s0, exec_lo, s0
	s_cbranch_execz .LBB104_730
; %bb.725:
	s_mov_b32 s1, exec_lo
	v_cmpx_eq_u32_e32 34, v120
	s_cbranch_execz .LBB104_729
; %bb.726:
	v_cmp_ne_u32_e32 vcc_lo, 34, v114
	s_xor_b32 s12, s16, -1
	s_delay_alu instid0(SALU_CYCLE_1) | instskip(NEXT) | instid1(SALU_CYCLE_1)
	s_and_b32 s13, s12, vcc_lo
	s_and_saveexec_b32 s12, s13
	s_cbranch_execz .LBB104_728
; %bb.727:
	v_ashrrev_i32_e32 v115, 31, v114
	s_delay_alu instid0(VALU_DEP_1)
	v_lshl_add_u64 v[120:121], v[114:115], 2, v[4:5]
	s_clause 0x1
	global_load_b32 v115, v[120:121], off
	global_load_b32 v119, v[4:5], off offset:136
	s_wait_loadcnt 0x1
	global_store_b32 v[4:5], v115, off offset:136
	s_wait_loadcnt 0x0
	global_store_b32 v[120:121], v119, off
.LBB104_728:
	s_wait_xcnt 0x0
	s_or_b32 exec_lo, exec_lo, s12
	v_dual_mov_b32 v120, v114 :: v_dual_mov_b32 v119, v114
.LBB104_729:
	s_or_b32 exec_lo, exec_lo, s1
.LBB104_730:
	s_and_not1_saveexec_b32 s0, s0
	s_cbranch_execz .LBB104_732
; %bb.731:
	v_mov_b32_e32 v120, 34
	ds_store_2addr_b64 v116, v[38:39], v[36:37] offset0:35 offset1:36
	ds_store_2addr_b64 v116, v[32:33], v[34:35] offset0:37 offset1:38
	;; [unrolled: 1-line block ×9, first 2 shown]
.LBB104_732:
	s_or_b32 exec_lo, exec_lo, s0
	s_delay_alu instid0(SALU_CYCLE_1)
	s_mov_b32 s0, exec_lo
	s_wait_storecnt_dscnt 0x0
	s_barrier_signal -1
	s_barrier_wait -1
	v_cmpx_lt_i32_e32 34, v120
	s_cbranch_execz .LBB104_734
; %bb.733:
	v_pk_mul_f32 v[122:123], v[112:113], v[42:43] op_sel:[1,1] op_sel_hi:[0,1]
	s_delay_alu instid0(VALU_DEP_1)
	v_pk_fma_f32 v[114:115], v[112:113], v[42:43], v[122:123] op_sel_hi:[1,0,1] neg_lo:[0,0,1] neg_hi:[0,0,1]
	v_pk_fma_f32 v[112:113], v[112:113], v[42:43], v[122:123] op_sel_hi:[1,0,1]
	ds_load_2addr_b64 v[122:125], v116 offset0:35 offset1:36
	v_dual_mov_b32 v42, v114 :: v_dual_mov_b32 v43, v113
	s_wait_dscnt 0x0
	v_pk_mul_f32 v[126:127], v[122:123], v[112:113] op_sel:[0,1]
	s_delay_alu instid0(VALU_DEP_1) | instskip(SKIP_1) | instid1(VALU_DEP_1)
	v_pk_fma_f32 v[128:129], v[122:123], v[114:115], v[126:127] op_sel:[0,0,1] op_sel_hi:[1,1,0] neg_lo:[0,0,1] neg_hi:[0,0,1]
	v_pk_fma_f32 v[122:123], v[122:123], v[114:115], v[126:127] op_sel:[0,0,1] op_sel_hi:[1,0,0]
	v_mov_b32_e32 v129, v123
	v_pk_mul_f32 v[122:123], v[124:125], v[112:113] op_sel:[0,1]
	s_delay_alu instid0(VALU_DEP_1) | instskip(SKIP_1) | instid1(VALU_DEP_1)
	v_pk_fma_f32 v[126:127], v[124:125], v[114:115], v[122:123] op_sel:[0,0,1] op_sel_hi:[1,1,0] neg_lo:[0,0,1] neg_hi:[0,0,1]
	v_pk_fma_f32 v[122:123], v[124:125], v[114:115], v[122:123] op_sel:[0,0,1] op_sel_hi:[1,0,0]
	v_mov_b32_e32 v127, v123
	ds_load_2addr_b64 v[122:125], v116 offset0:37 offset1:38
	v_pk_add_f32 v[38:39], v[38:39], v[128:129] neg_lo:[0,1] neg_hi:[0,1]
	v_pk_add_f32 v[36:37], v[36:37], v[126:127] neg_lo:[0,1] neg_hi:[0,1]
	s_wait_dscnt 0x0
	v_pk_mul_f32 v[126:127], v[122:123], v[112:113] op_sel:[0,1]
	s_delay_alu instid0(VALU_DEP_1) | instskip(SKIP_2) | instid1(VALU_DEP_2)
	v_pk_fma_f32 v[128:129], v[122:123], v[114:115], v[126:127] op_sel:[0,0,1] op_sel_hi:[1,1,0] neg_lo:[0,0,1] neg_hi:[0,0,1]
	v_pk_fma_f32 v[122:123], v[122:123], v[114:115], v[126:127] op_sel:[0,0,1] op_sel_hi:[1,0,0]
	v_dual_mul_f32 v126, v125, v113 :: v_dual_mov_b32 v122, v125
	v_dual_mov_b32 v129, v123 :: v_dual_mov_b32 v123, v124
	s_delay_alu instid0(VALU_DEP_2) | instskip(SKIP_1) | instid1(VALU_DEP_3)
	v_pk_fma_f32 v[126:127], v[124:125], v[42:43], v[126:127] op_sel_hi:[1,1,0] neg_lo:[0,0,1] neg_hi:[0,0,1]
	v_mul_f32_e32 v124, v125, v114
	v_pk_add_f32 v[32:33], v[32:33], v[128:129] neg_lo:[0,1] neg_hi:[0,1]
	s_delay_alu instid0(VALU_DEP_2) | instskip(NEXT) | instid1(VALU_DEP_1)
	v_pk_fma_f32 v[122:123], v[122:123], v[42:43], v[124:125] op_sel_hi:[1,1,0]
	v_mov_b32_e32 v127, v123
	ds_load_2addr_b64 v[122:125], v116 offset0:39 offset1:40
	v_pk_add_f32 v[34:35], v[34:35], v[126:127] neg_lo:[0,1] neg_hi:[0,1]
	s_wait_dscnt 0x0
	v_pk_mul_f32 v[126:127], v[122:123], v[112:113] op_sel:[0,1]
	s_delay_alu instid0(VALU_DEP_1) | instskip(SKIP_1) | instid1(VALU_DEP_1)
	v_pk_fma_f32 v[128:129], v[122:123], v[114:115], v[126:127] op_sel:[0,0,1] op_sel_hi:[1,1,0] neg_lo:[0,0,1] neg_hi:[0,0,1]
	v_pk_fma_f32 v[122:123], v[122:123], v[114:115], v[126:127] op_sel:[0,0,1] op_sel_hi:[1,0,0]
	v_mov_b32_e32 v129, v123
	v_pk_mul_f32 v[122:123], v[124:125], v[112:113] op_sel:[0,1]
	s_delay_alu instid0(VALU_DEP_1) | instskip(SKIP_1) | instid1(VALU_DEP_1)
	v_pk_fma_f32 v[126:127], v[124:125], v[114:115], v[122:123] op_sel:[0,0,1] op_sel_hi:[1,1,0] neg_lo:[0,0,1] neg_hi:[0,0,1]
	v_pk_fma_f32 v[122:123], v[124:125], v[114:115], v[122:123] op_sel:[0,0,1] op_sel_hi:[1,0,0]
	v_mov_b32_e32 v127, v123
	ds_load_2addr_b64 v[122:125], v116 offset0:41 offset1:42
	v_pk_add_f32 v[30:31], v[30:31], v[128:129] neg_lo:[0,1] neg_hi:[0,1]
	v_pk_add_f32 v[26:27], v[26:27], v[126:127] neg_lo:[0,1] neg_hi:[0,1]
	s_wait_dscnt 0x0
	v_pk_mul_f32 v[126:127], v[122:123], v[112:113] op_sel:[0,1]
	s_delay_alu instid0(VALU_DEP_1) | instskip(SKIP_1) | instid1(VALU_DEP_1)
	v_pk_fma_f32 v[128:129], v[122:123], v[114:115], v[126:127] op_sel:[0,0,1] op_sel_hi:[1,1,0] neg_lo:[0,0,1] neg_hi:[0,0,1]
	v_pk_fma_f32 v[122:123], v[122:123], v[114:115], v[126:127] op_sel:[0,0,1] op_sel_hi:[1,0,0]
	v_mov_b32_e32 v129, v123
	v_pk_mul_f32 v[122:123], v[124:125], v[112:113] op_sel:[0,1]
	s_delay_alu instid0(VALU_DEP_1) | instskip(SKIP_1) | instid1(VALU_DEP_1)
	v_pk_fma_f32 v[126:127], v[124:125], v[114:115], v[122:123] op_sel:[0,0,1] op_sel_hi:[1,1,0] neg_lo:[0,0,1] neg_hi:[0,0,1]
	v_pk_fma_f32 v[122:123], v[124:125], v[114:115], v[122:123] op_sel:[0,0,1] op_sel_hi:[1,0,0]
	v_mov_b32_e32 v127, v123
	ds_load_2addr_b64 v[122:125], v116 offset0:43 offset1:44
	v_pk_add_f32 v[22:23], v[22:23], v[128:129] neg_lo:[0,1] neg_hi:[0,1]
	v_pk_add_f32 v[24:25], v[24:25], v[126:127] neg_lo:[0,1] neg_hi:[0,1]
	s_wait_dscnt 0x0
	v_dual_mul_f32 v126, v123, v113 :: v_dual_mul_f32 v128, v123, v114
	s_delay_alu instid0(VALU_DEP_1) | instskip(NEXT) | instid1(VALU_DEP_2)
	v_pk_fma_f32 v[126:127], v[122:123], v[42:43], v[126:127] op_sel_hi:[1,1,0] neg_lo:[0,0,1] neg_hi:[0,0,1]
	v_pk_fma_f32 v[122:123], v[122:123], v[42:43], v[128:129] op_sel:[1,0,0] op_sel_hi:[0,1,0]
	s_delay_alu instid0(VALU_DEP_1) | instskip(SKIP_1) | instid1(VALU_DEP_2)
	v_mov_b32_e32 v127, v123
	v_pk_mul_f32 v[122:123], v[124:125], v[112:113] op_sel:[0,1]
	v_pk_add_f32 v[20:21], v[20:21], v[126:127] neg_lo:[0,1] neg_hi:[0,1]
	s_delay_alu instid0(VALU_DEP_2) | instskip(SKIP_1) | instid1(VALU_DEP_1)
	v_pk_fma_f32 v[126:127], v[124:125], v[114:115], v[122:123] op_sel:[0,0,1] op_sel_hi:[1,1,0] neg_lo:[0,0,1] neg_hi:[0,0,1]
	v_pk_fma_f32 v[122:123], v[124:125], v[114:115], v[122:123] op_sel:[0,0,1] op_sel_hi:[1,0,0]
	v_mov_b32_e32 v127, v123
	ds_load_2addr_b64 v[122:125], v116 offset0:45 offset1:46
	v_pk_add_f32 v[14:15], v[14:15], v[126:127] neg_lo:[0,1] neg_hi:[0,1]
	s_wait_dscnt 0x0
	v_pk_mul_f32 v[126:127], v[122:123], v[112:113] op_sel:[0,1]
	s_delay_alu instid0(VALU_DEP_1) | instskip(SKIP_1) | instid1(VALU_DEP_1)
	v_pk_fma_f32 v[128:129], v[122:123], v[114:115], v[126:127] op_sel:[0,0,1] op_sel_hi:[1,1,0] neg_lo:[0,0,1] neg_hi:[0,0,1]
	v_pk_fma_f32 v[122:123], v[122:123], v[114:115], v[126:127] op_sel:[0,0,1] op_sel_hi:[1,0,0]
	v_mov_b32_e32 v129, v123
	v_pk_mul_f32 v[122:123], v[124:125], v[112:113] op_sel:[0,1]
	s_delay_alu instid0(VALU_DEP_2) | instskip(NEXT) | instid1(VALU_DEP_2)
	v_pk_add_f32 v[10:11], v[10:11], v[128:129] neg_lo:[0,1] neg_hi:[0,1]
	v_pk_fma_f32 v[126:127], v[124:125], v[114:115], v[122:123] op_sel:[0,0,1] op_sel_hi:[1,1,0] neg_lo:[0,0,1] neg_hi:[0,0,1]
	v_pk_fma_f32 v[122:123], v[124:125], v[114:115], v[122:123] op_sel:[0,0,1] op_sel_hi:[1,0,0]
	s_delay_alu instid0(VALU_DEP_1) | instskip(SKIP_4) | instid1(VALU_DEP_1)
	v_mov_b32_e32 v127, v123
	ds_load_2addr_b64 v[122:125], v116 offset0:47 offset1:48
	v_pk_add_f32 v[12:13], v[12:13], v[126:127] neg_lo:[0,1] neg_hi:[0,1]
	s_wait_dscnt 0x0
	v_pk_mul_f32 v[126:127], v[122:123], v[112:113] op_sel:[0,1]
	v_pk_fma_f32 v[128:129], v[122:123], v[114:115], v[126:127] op_sel:[0,0,1] op_sel_hi:[1,1,0] neg_lo:[0,0,1] neg_hi:[0,0,1]
	v_pk_fma_f32 v[122:123], v[122:123], v[114:115], v[126:127] op_sel:[0,0,1] op_sel_hi:[1,0,0]
	v_dual_mul_f32 v126, v125, v113 :: v_dual_mov_b32 v122, v125
	s_delay_alu instid0(VALU_DEP_2) | instskip(NEXT) | instid1(VALU_DEP_2)
	v_dual_mov_b32 v129, v123 :: v_dual_mov_b32 v123, v124
	v_pk_fma_f32 v[126:127], v[124:125], v[42:43], v[126:127] op_sel_hi:[1,1,0] neg_lo:[0,0,1] neg_hi:[0,0,1]
	v_mul_f32_e32 v124, v125, v114
	s_delay_alu instid0(VALU_DEP_3) | instskip(NEXT) | instid1(VALU_DEP_2)
	v_pk_add_f32 v[8:9], v[8:9], v[128:129] neg_lo:[0,1] neg_hi:[0,1]
	v_pk_fma_f32 v[122:123], v[122:123], v[42:43], v[124:125] op_sel_hi:[1,1,0]
	s_delay_alu instid0(VALU_DEP_1) | instskip(SKIP_4) | instid1(VALU_DEP_1)
	v_mov_b32_e32 v127, v123
	ds_load_2addr_b64 v[122:125], v116 offset0:49 offset1:50
	v_pk_add_f32 v[6:7], v[6:7], v[126:127] neg_lo:[0,1] neg_hi:[0,1]
	s_wait_dscnt 0x0
	v_pk_mul_f32 v[126:127], v[122:123], v[112:113] op_sel:[0,1]
	v_pk_fma_f32 v[128:129], v[122:123], v[114:115], v[126:127] op_sel:[0,0,1] op_sel_hi:[1,1,0] neg_lo:[0,0,1] neg_hi:[0,0,1]
	v_pk_fma_f32 v[122:123], v[122:123], v[114:115], v[126:127] op_sel:[0,0,1] op_sel_hi:[1,0,0]
	s_delay_alu instid0(VALU_DEP_1) | instskip(SKIP_1) | instid1(VALU_DEP_1)
	v_mov_b32_e32 v129, v123
	v_pk_mul_f32 v[122:123], v[124:125], v[112:113] op_sel:[0,1]
	v_pk_fma_f32 v[126:127], v[124:125], v[114:115], v[122:123] op_sel:[0,0,1] op_sel_hi:[1,1,0] neg_lo:[0,0,1] neg_hi:[0,0,1]
	v_pk_fma_f32 v[122:123], v[124:125], v[114:115], v[122:123] op_sel:[0,0,1] op_sel_hi:[1,0,0]
	s_delay_alu instid0(VALU_DEP_1)
	v_mov_b32_e32 v127, v123
	ds_load_2addr_b64 v[122:125], v116 offset0:51 offset1:52
	v_pk_add_f32 v[28:29], v[28:29], v[128:129] neg_lo:[0,1] neg_hi:[0,1]
	v_pk_add_f32 v[18:19], v[18:19], v[126:127] neg_lo:[0,1] neg_hi:[0,1]
	s_wait_dscnt 0x0
	v_pk_mul_f32 v[126:127], v[122:123], v[112:113] op_sel:[0,1]
	v_mul_f32_e32 v112, v125, v113
	s_delay_alu instid0(VALU_DEP_2) | instskip(SKIP_2) | instid1(VALU_DEP_4)
	v_pk_fma_f32 v[128:129], v[122:123], v[114:115], v[126:127] op_sel:[0,0,1] op_sel_hi:[1,1,0] neg_lo:[0,0,1] neg_hi:[0,0,1]
	v_pk_fma_f32 v[122:123], v[122:123], v[114:115], v[126:127] op_sel:[0,0,1] op_sel_hi:[1,0,0]
	v_dual_mov_b32 v122, v125 :: v_dual_mul_f32 v114, v125, v114
	v_pk_fma_f32 v[112:113], v[124:125], v[42:43], v[112:113] op_sel_hi:[1,1,0] neg_lo:[0,0,1] neg_hi:[0,0,1]
	s_delay_alu instid0(VALU_DEP_3) | instskip(NEXT) | instid1(VALU_DEP_1)
	v_dual_mov_b32 v129, v123 :: v_dual_mov_b32 v123, v124
	v_pk_add_f32 v[16:17], v[16:17], v[128:129] neg_lo:[0,1] neg_hi:[0,1]
	s_delay_alu instid0(VALU_DEP_2) | instskip(NEXT) | instid1(VALU_DEP_1)
	v_pk_fma_f32 v[114:115], v[122:123], v[42:43], v[114:115] op_sel_hi:[1,1,0]
	v_mov_b32_e32 v113, v115
	s_delay_alu instid0(VALU_DEP_1)
	v_pk_add_f32 v[110:111], v[110:111], v[112:113] neg_lo:[0,1] neg_hi:[0,1]
.LBB104_734:
	s_or_b32 exec_lo, exec_lo, s0
	v_lshl_add_u32 v112, v120, 3, v116
	s_barrier_signal -1
	s_barrier_wait -1
	ds_store_b64 v112, v[38:39]
	s_wait_dscnt 0x0
	s_barrier_signal -1
	s_barrier_wait -1
	ds_load_b64 v[112:113], v116 offset:280
	v_mov_b32_e32 v114, 35
	s_cmp_lt_i32 s18, 37
	s_cbranch_scc1 .LBB104_737
; %bb.735:
	v_add3_u32 v115, v117, 0, 0x120
	v_mov_b32_e32 v114, 35
	s_mov_b32 s0, 36
.LBB104_736:                            ; =>This Inner Loop Header: Depth=1
	ds_load_b64 v[122:123], v115
	s_wait_dscnt 0x1
	v_cmp_gt_f32_e32 vcc_lo, 0, v112
	v_cndmask_b32_e64 v124, v112, -v112, vcc_lo
	v_cmp_gt_f32_e32 vcc_lo, 0, v113
	v_cndmask_b32_e64 v126, v113, -v113, vcc_lo
	s_wait_dscnt 0x0
	v_cmp_gt_f32_e32 vcc_lo, 0, v122
	v_cndmask_b32_e64 v125, v122, -v122, vcc_lo
	v_cmp_gt_f32_e32 vcc_lo, 0, v123
	v_cndmask_b32_e64 v127, v123, -v123, vcc_lo
	s_delay_alu instid0(VALU_DEP_1) | instskip(NEXT) | instid1(VALU_DEP_1)
	v_pk_add_f32 v[124:125], v[124:125], v[126:127]
	v_cmp_lt_f32_e32 vcc_lo, v124, v125
	v_dual_cndmask_b32 v112, v112, v122 :: v_dual_add_nc_u32 v115, 8, v115
	v_cndmask_b32_e32 v113, v113, v123, vcc_lo
	v_cndmask_b32_e64 v114, v114, s0, vcc_lo
	s_add_co_i32 s0, s0, 1
	s_delay_alu instid0(SALU_CYCLE_1)
	s_cmp_lg_u32 s18, s0
	s_cbranch_scc1 .LBB104_736
.LBB104_737:
	s_wait_dscnt 0x0
	v_cmp_eq_f32_e32 vcc_lo, 0, v112
	v_cmp_eq_f32_e64 s0, 0, v113
	s_and_b32 s0, vcc_lo, s0
	s_delay_alu instid0(SALU_CYCLE_1) | instskip(NEXT) | instid1(SALU_CYCLE_1)
	s_and_saveexec_b32 s1, s0
	s_xor_b32 s0, exec_lo, s1
; %bb.738:
	v_cmp_ne_u32_e32 vcc_lo, 0, v118
	v_cndmask_b32_e32 v118, 36, v118, vcc_lo
; %bb.739:
	s_and_not1_saveexec_b32 s0, s0
	s_cbranch_execz .LBB104_745
; %bb.740:
	v_cmp_ngt_f32_e64 s1, |v112|, |v113|
	s_and_saveexec_b32 s12, s1
	s_delay_alu instid0(SALU_CYCLE_1)
	s_xor_b32 s1, exec_lo, s12
	s_cbranch_execz .LBB104_742
; %bb.741:
	v_div_scale_f32 v115, null, v113, v113, v112
	v_div_scale_f32 v123, vcc_lo, v112, v113, v112
	s_delay_alu instid0(VALU_DEP_2) | instskip(SKIP_1) | instid1(TRANS32_DEP_1)
	v_rcp_f32_e32 v121, v115
	v_nop
	v_fma_f32 v122, -v115, v121, 1.0
	s_delay_alu instid0(VALU_DEP_1) | instskip(NEXT) | instid1(VALU_DEP_1)
	v_fmac_f32_e32 v121, v122, v121
	v_mul_f32_e32 v122, v123, v121
	s_delay_alu instid0(VALU_DEP_1) | instskip(NEXT) | instid1(VALU_DEP_1)
	v_fma_f32 v124, -v115, v122, v123
	v_fmac_f32_e32 v122, v124, v121
	s_delay_alu instid0(VALU_DEP_1) | instskip(NEXT) | instid1(VALU_DEP_1)
	v_fma_f32 v115, -v115, v122, v123
	v_div_fmas_f32 v115, v115, v121, v122
	s_delay_alu instid0(VALU_DEP_1) | instskip(NEXT) | instid1(VALU_DEP_1)
	v_div_fixup_f32 v115, v115, v113, v112
	v_fmac_f32_e32 v113, v112, v115
	s_delay_alu instid0(VALU_DEP_1) | instskip(SKIP_1) | instid1(VALU_DEP_2)
	v_div_scale_f32 v112, null, v113, v113, 1.0
	v_div_scale_f32 v123, vcc_lo, 1.0, v113, 1.0
	v_rcp_f32_e32 v121, v112
	v_nop
	s_delay_alu instid0(TRANS32_DEP_1) | instskip(NEXT) | instid1(VALU_DEP_1)
	v_fma_f32 v122, -v112, v121, 1.0
	v_fmac_f32_e32 v121, v122, v121
	s_delay_alu instid0(VALU_DEP_1) | instskip(NEXT) | instid1(VALU_DEP_1)
	v_mul_f32_e32 v122, v123, v121
	v_fma_f32 v124, -v112, v122, v123
	s_delay_alu instid0(VALU_DEP_1) | instskip(NEXT) | instid1(VALU_DEP_1)
	v_fmac_f32_e32 v122, v124, v121
	v_fma_f32 v112, -v112, v122, v123
	s_delay_alu instid0(VALU_DEP_1) | instskip(NEXT) | instid1(VALU_DEP_1)
	v_div_fmas_f32 v112, v112, v121, v122
	v_div_fixup_f32 v113, v112, v113, 1.0
	s_delay_alu instid0(VALU_DEP_1)
	v_mul_f32_e32 v112, v115, v113
	v_xor_b32_e32 v113, 0x80000000, v113
.LBB104_742:
	s_and_not1_saveexec_b32 s1, s1
	s_cbranch_execz .LBB104_744
; %bb.743:
	s_delay_alu instid0(VALU_DEP_1) | instskip(SKIP_1) | instid1(VALU_DEP_2)
	v_div_scale_f32 v115, null, v112, v112, v113
	v_div_scale_f32 v123, vcc_lo, v113, v112, v113
	v_rcp_f32_e32 v121, v115
	v_nop
	s_delay_alu instid0(TRANS32_DEP_1) | instskip(NEXT) | instid1(VALU_DEP_1)
	v_fma_f32 v122, -v115, v121, 1.0
	v_fmac_f32_e32 v121, v122, v121
	s_delay_alu instid0(VALU_DEP_1) | instskip(NEXT) | instid1(VALU_DEP_1)
	v_mul_f32_e32 v122, v123, v121
	v_fma_f32 v124, -v115, v122, v123
	s_delay_alu instid0(VALU_DEP_1) | instskip(NEXT) | instid1(VALU_DEP_1)
	v_fmac_f32_e32 v122, v124, v121
	v_fma_f32 v115, -v115, v122, v123
	s_delay_alu instid0(VALU_DEP_1) | instskip(NEXT) | instid1(VALU_DEP_1)
	v_div_fmas_f32 v115, v115, v121, v122
	v_div_fixup_f32 v115, v115, v112, v113
	s_delay_alu instid0(VALU_DEP_1) | instskip(NEXT) | instid1(VALU_DEP_1)
	v_fmac_f32_e32 v112, v113, v115
	v_div_scale_f32 v113, null, v112, v112, 1.0
	s_delay_alu instid0(VALU_DEP_1) | instskip(SKIP_1) | instid1(TRANS32_DEP_1)
	v_rcp_f32_e32 v121, v113
	v_nop
	v_fma_f32 v122, -v113, v121, 1.0
	s_delay_alu instid0(VALU_DEP_1) | instskip(SKIP_1) | instid1(VALU_DEP_1)
	v_fmac_f32_e32 v121, v122, v121
	v_div_scale_f32 v122, vcc_lo, 1.0, v112, 1.0
	v_mul_f32_e32 v123, v122, v121
	s_delay_alu instid0(VALU_DEP_1) | instskip(NEXT) | instid1(VALU_DEP_1)
	v_fma_f32 v124, -v113, v123, v122
	v_fmac_f32_e32 v123, v124, v121
	s_delay_alu instid0(VALU_DEP_1) | instskip(NEXT) | instid1(VALU_DEP_1)
	v_fma_f32 v113, -v113, v123, v122
	v_div_fmas_f32 v113, v113, v121, v123
	s_delay_alu instid0(VALU_DEP_1) | instskip(NEXT) | instid1(VALU_DEP_1)
	v_div_fixup_f32 v112, v113, v112, 1.0
	v_mul_f32_e64 v113, v115, -v112
.LBB104_744:
	s_or_b32 exec_lo, exec_lo, s1
.LBB104_745:
	s_delay_alu instid0(SALU_CYCLE_1) | instskip(NEXT) | instid1(SALU_CYCLE_1)
	s_or_b32 exec_lo, exec_lo, s0
	s_mov_b32 s0, exec_lo
	v_cmpx_ne_u32_e64 v120, v114
	s_xor_b32 s0, exec_lo, s0
	s_cbranch_execz .LBB104_751
; %bb.746:
	s_mov_b32 s1, exec_lo
	v_cmpx_eq_u32_e32 35, v120
	s_cbranch_execz .LBB104_750
; %bb.747:
	v_cmp_ne_u32_e32 vcc_lo, 35, v114
	s_xor_b32 s12, s16, -1
	s_delay_alu instid0(SALU_CYCLE_1) | instskip(NEXT) | instid1(SALU_CYCLE_1)
	s_and_b32 s13, s12, vcc_lo
	s_and_saveexec_b32 s12, s13
	s_cbranch_execz .LBB104_749
; %bb.748:
	v_ashrrev_i32_e32 v115, 31, v114
	s_delay_alu instid0(VALU_DEP_1)
	v_lshl_add_u64 v[120:121], v[114:115], 2, v[4:5]
	s_clause 0x1
	global_load_b32 v115, v[120:121], off
	global_load_b32 v119, v[4:5], off offset:140
	s_wait_loadcnt 0x1
	global_store_b32 v[4:5], v115, off offset:140
	s_wait_loadcnt 0x0
	global_store_b32 v[120:121], v119, off
.LBB104_749:
	s_wait_xcnt 0x0
	s_or_b32 exec_lo, exec_lo, s12
	v_dual_mov_b32 v120, v114 :: v_dual_mov_b32 v119, v114
.LBB104_750:
	s_or_b32 exec_lo, exec_lo, s1
.LBB104_751:
	s_and_not1_saveexec_b32 s0, s0
	s_cbranch_execz .LBB104_753
; %bb.752:
	v_dual_mov_b32 v114, v36 :: v_dual_mov_b32 v115, v37
	v_dual_mov_b32 v120, v32 :: v_dual_mov_b32 v121, v33
	v_dual_mov_b32 v122, v34 :: v_dual_mov_b32 v123, v35
	v_dual_mov_b32 v124, v30 :: v_dual_mov_b32 v125, v31
	v_dual_mov_b32 v126, v26 :: v_dual_mov_b32 v127, v27
	v_dual_mov_b32 v128, v22 :: v_dual_mov_b32 v129, v23
	v_dual_mov_b32 v130, v24 :: v_dual_mov_b32 v131, v25
	v_dual_mov_b32 v132, v20 :: v_dual_mov_b32 v133, v21
	ds_store_2addr_b64 v116, v[114:115], v[120:121] offset0:36 offset1:37
	ds_store_2addr_b64 v116, v[122:123], v[124:125] offset0:38 offset1:39
	;; [unrolled: 1-line block ×4, first 2 shown]
	v_dual_mov_b32 v114, v14 :: v_dual_mov_b32 v115, v15
	v_dual_mov_b32 v122, v10 :: v_dual_mov_b32 v123, v11
	;; [unrolled: 1-line block ×8, first 2 shown]
	v_mov_b32_e32 v135, v17
	ds_store_2addr_b64 v116, v[114:115], v[122:123] offset0:44 offset1:45
	ds_store_2addr_b64 v116, v[124:125], v[126:127] offset0:46 offset1:47
	;; [unrolled: 1-line block ×4, first 2 shown]
	ds_store_b64 v116, v[110:111] offset:416
.LBB104_753:
	s_or_b32 exec_lo, exec_lo, s0
	s_delay_alu instid0(SALU_CYCLE_1)
	s_mov_b32 s0, exec_lo
	s_wait_storecnt_dscnt 0x0
	s_barrier_signal -1
	s_barrier_wait -1
	v_cmpx_lt_i32_e32 35, v120
	s_cbranch_execz .LBB104_755
; %bb.754:
	v_pk_mul_f32 v[122:123], v[112:113], v[38:39] op_sel:[1,1] op_sel_hi:[0,1]
	s_delay_alu instid0(VALU_DEP_1)
	v_pk_fma_f32 v[114:115], v[112:113], v[38:39], v[122:123] op_sel_hi:[1,0,1] neg_lo:[0,0,1] neg_hi:[0,0,1]
	v_pk_fma_f32 v[112:113], v[112:113], v[38:39], v[122:123] op_sel_hi:[1,0,1]
	ds_load_2addr_b64 v[122:125], v116 offset0:36 offset1:37
	v_dual_mov_b32 v38, v114 :: v_dual_mov_b32 v39, v113
	s_wait_dscnt 0x0
	v_pk_mul_f32 v[126:127], v[122:123], v[112:113] op_sel:[0,1]
	s_delay_alu instid0(VALU_DEP_1) | instskip(SKIP_1) | instid1(VALU_DEP_1)
	v_pk_fma_f32 v[128:129], v[122:123], v[114:115], v[126:127] op_sel:[0,0,1] op_sel_hi:[1,1,0] neg_lo:[0,0,1] neg_hi:[0,0,1]
	v_pk_fma_f32 v[122:123], v[122:123], v[114:115], v[126:127] op_sel:[0,0,1] op_sel_hi:[1,0,0]
	v_mov_b32_e32 v129, v123
	v_pk_mul_f32 v[122:123], v[124:125], v[112:113] op_sel:[0,1]
	s_delay_alu instid0(VALU_DEP_1) | instskip(SKIP_1) | instid1(VALU_DEP_1)
	v_pk_fma_f32 v[126:127], v[124:125], v[114:115], v[122:123] op_sel:[0,0,1] op_sel_hi:[1,1,0] neg_lo:[0,0,1] neg_hi:[0,0,1]
	v_pk_fma_f32 v[122:123], v[124:125], v[114:115], v[122:123] op_sel:[0,0,1] op_sel_hi:[1,0,0]
	v_mov_b32_e32 v127, v123
	ds_load_2addr_b64 v[122:125], v116 offset0:38 offset1:39
	v_pk_add_f32 v[36:37], v[36:37], v[128:129] neg_lo:[0,1] neg_hi:[0,1]
	v_pk_add_f32 v[32:33], v[32:33], v[126:127] neg_lo:[0,1] neg_hi:[0,1]
	s_wait_dscnt 0x0
	v_pk_mul_f32 v[126:127], v[122:123], v[112:113] op_sel:[0,1]
	s_delay_alu instid0(VALU_DEP_1) | instskip(SKIP_2) | instid1(VALU_DEP_2)
	v_pk_fma_f32 v[128:129], v[122:123], v[114:115], v[126:127] op_sel:[0,0,1] op_sel_hi:[1,1,0] neg_lo:[0,0,1] neg_hi:[0,0,1]
	v_pk_fma_f32 v[122:123], v[122:123], v[114:115], v[126:127] op_sel:[0,0,1] op_sel_hi:[1,0,0]
	v_dual_mul_f32 v126, v125, v113 :: v_dual_mov_b32 v122, v125
	v_dual_mov_b32 v129, v123 :: v_dual_mov_b32 v123, v124
	s_delay_alu instid0(VALU_DEP_2) | instskip(SKIP_1) | instid1(VALU_DEP_3)
	v_pk_fma_f32 v[126:127], v[124:125], v[38:39], v[126:127] op_sel_hi:[1,1,0] neg_lo:[0,0,1] neg_hi:[0,0,1]
	v_mul_f32_e32 v124, v125, v114
	v_pk_add_f32 v[34:35], v[34:35], v[128:129] neg_lo:[0,1] neg_hi:[0,1]
	s_delay_alu instid0(VALU_DEP_2) | instskip(NEXT) | instid1(VALU_DEP_1)
	v_pk_fma_f32 v[122:123], v[122:123], v[38:39], v[124:125] op_sel_hi:[1,1,0]
	v_mov_b32_e32 v127, v123
	ds_load_2addr_b64 v[122:125], v116 offset0:40 offset1:41
	v_pk_add_f32 v[30:31], v[30:31], v[126:127] neg_lo:[0,1] neg_hi:[0,1]
	s_wait_dscnt 0x0
	v_pk_mul_f32 v[126:127], v[122:123], v[112:113] op_sel:[0,1]
	s_delay_alu instid0(VALU_DEP_1) | instskip(SKIP_1) | instid1(VALU_DEP_1)
	v_pk_fma_f32 v[128:129], v[122:123], v[114:115], v[126:127] op_sel:[0,0,1] op_sel_hi:[1,1,0] neg_lo:[0,0,1] neg_hi:[0,0,1]
	v_pk_fma_f32 v[122:123], v[122:123], v[114:115], v[126:127] op_sel:[0,0,1] op_sel_hi:[1,0,0]
	v_mov_b32_e32 v129, v123
	v_pk_mul_f32 v[122:123], v[124:125], v[112:113] op_sel:[0,1]
	s_delay_alu instid0(VALU_DEP_1) | instskip(SKIP_1) | instid1(VALU_DEP_1)
	v_pk_fma_f32 v[126:127], v[124:125], v[114:115], v[122:123] op_sel:[0,0,1] op_sel_hi:[1,1,0] neg_lo:[0,0,1] neg_hi:[0,0,1]
	v_pk_fma_f32 v[122:123], v[124:125], v[114:115], v[122:123] op_sel:[0,0,1] op_sel_hi:[1,0,0]
	v_mov_b32_e32 v127, v123
	ds_load_2addr_b64 v[122:125], v116 offset0:42 offset1:43
	v_pk_add_f32 v[26:27], v[26:27], v[128:129] neg_lo:[0,1] neg_hi:[0,1]
	v_pk_add_f32 v[22:23], v[22:23], v[126:127] neg_lo:[0,1] neg_hi:[0,1]
	s_wait_dscnt 0x0
	v_pk_mul_f32 v[126:127], v[122:123], v[112:113] op_sel:[0,1]
	s_delay_alu instid0(VALU_DEP_1) | instskip(SKIP_1) | instid1(VALU_DEP_1)
	v_pk_fma_f32 v[128:129], v[122:123], v[114:115], v[126:127] op_sel:[0,0,1] op_sel_hi:[1,1,0] neg_lo:[0,0,1] neg_hi:[0,0,1]
	v_pk_fma_f32 v[122:123], v[122:123], v[114:115], v[126:127] op_sel:[0,0,1] op_sel_hi:[1,0,0]
	v_mov_b32_e32 v129, v123
	v_pk_mul_f32 v[122:123], v[124:125], v[112:113] op_sel:[0,1]
	s_delay_alu instid0(VALU_DEP_1) | instskip(SKIP_1) | instid1(VALU_DEP_1)
	v_pk_fma_f32 v[126:127], v[124:125], v[114:115], v[122:123] op_sel:[0,0,1] op_sel_hi:[1,1,0] neg_lo:[0,0,1] neg_hi:[0,0,1]
	v_pk_fma_f32 v[122:123], v[124:125], v[114:115], v[122:123] op_sel:[0,0,1] op_sel_hi:[1,0,0]
	v_mov_b32_e32 v127, v123
	ds_load_2addr_b64 v[122:125], v116 offset0:44 offset1:45
	v_pk_add_f32 v[24:25], v[24:25], v[128:129] neg_lo:[0,1] neg_hi:[0,1]
	v_pk_add_f32 v[20:21], v[20:21], v[126:127] neg_lo:[0,1] neg_hi:[0,1]
	s_wait_dscnt 0x0
	v_dual_mul_f32 v126, v123, v113 :: v_dual_mul_f32 v128, v123, v114
	s_delay_alu instid0(VALU_DEP_1) | instskip(NEXT) | instid1(VALU_DEP_2)
	v_pk_fma_f32 v[126:127], v[122:123], v[38:39], v[126:127] op_sel_hi:[1,1,0] neg_lo:[0,0,1] neg_hi:[0,0,1]
	v_pk_fma_f32 v[122:123], v[122:123], v[38:39], v[128:129] op_sel:[1,0,0] op_sel_hi:[0,1,0]
	s_delay_alu instid0(VALU_DEP_1) | instskip(SKIP_1) | instid1(VALU_DEP_2)
	v_mov_b32_e32 v127, v123
	v_pk_mul_f32 v[122:123], v[124:125], v[112:113] op_sel:[0,1]
	v_pk_add_f32 v[14:15], v[14:15], v[126:127] neg_lo:[0,1] neg_hi:[0,1]
	s_delay_alu instid0(VALU_DEP_2) | instskip(SKIP_1) | instid1(VALU_DEP_1)
	v_pk_fma_f32 v[126:127], v[124:125], v[114:115], v[122:123] op_sel:[0,0,1] op_sel_hi:[1,1,0] neg_lo:[0,0,1] neg_hi:[0,0,1]
	v_pk_fma_f32 v[122:123], v[124:125], v[114:115], v[122:123] op_sel:[0,0,1] op_sel_hi:[1,0,0]
	v_mov_b32_e32 v127, v123
	ds_load_2addr_b64 v[122:125], v116 offset0:46 offset1:47
	v_pk_add_f32 v[10:11], v[10:11], v[126:127] neg_lo:[0,1] neg_hi:[0,1]
	s_wait_dscnt 0x0
	v_pk_mul_f32 v[126:127], v[122:123], v[112:113] op_sel:[0,1]
	s_delay_alu instid0(VALU_DEP_1) | instskip(SKIP_1) | instid1(VALU_DEP_1)
	v_pk_fma_f32 v[128:129], v[122:123], v[114:115], v[126:127] op_sel:[0,0,1] op_sel_hi:[1,1,0] neg_lo:[0,0,1] neg_hi:[0,0,1]
	v_pk_fma_f32 v[122:123], v[122:123], v[114:115], v[126:127] op_sel:[0,0,1] op_sel_hi:[1,0,0]
	v_mov_b32_e32 v129, v123
	v_pk_mul_f32 v[122:123], v[124:125], v[112:113] op_sel:[0,1]
	s_delay_alu instid0(VALU_DEP_2) | instskip(NEXT) | instid1(VALU_DEP_2)
	v_pk_add_f32 v[12:13], v[12:13], v[128:129] neg_lo:[0,1] neg_hi:[0,1]
	v_pk_fma_f32 v[126:127], v[124:125], v[114:115], v[122:123] op_sel:[0,0,1] op_sel_hi:[1,1,0] neg_lo:[0,0,1] neg_hi:[0,0,1]
	v_pk_fma_f32 v[122:123], v[124:125], v[114:115], v[122:123] op_sel:[0,0,1] op_sel_hi:[1,0,0]
	s_delay_alu instid0(VALU_DEP_1) | instskip(SKIP_4) | instid1(VALU_DEP_1)
	v_mov_b32_e32 v127, v123
	ds_load_2addr_b64 v[122:125], v116 offset0:48 offset1:49
	v_pk_add_f32 v[8:9], v[8:9], v[126:127] neg_lo:[0,1] neg_hi:[0,1]
	s_wait_dscnt 0x0
	v_pk_mul_f32 v[126:127], v[122:123], v[112:113] op_sel:[0,1]
	v_pk_fma_f32 v[128:129], v[122:123], v[114:115], v[126:127] op_sel:[0,0,1] op_sel_hi:[1,1,0] neg_lo:[0,0,1] neg_hi:[0,0,1]
	v_pk_fma_f32 v[122:123], v[122:123], v[114:115], v[126:127] op_sel:[0,0,1] op_sel_hi:[1,0,0]
	v_dual_mul_f32 v126, v125, v113 :: v_dual_mov_b32 v122, v125
	s_delay_alu instid0(VALU_DEP_2) | instskip(NEXT) | instid1(VALU_DEP_2)
	v_dual_mov_b32 v129, v123 :: v_dual_mov_b32 v123, v124
	v_pk_fma_f32 v[126:127], v[124:125], v[38:39], v[126:127] op_sel_hi:[1,1,0] neg_lo:[0,0,1] neg_hi:[0,0,1]
	v_mul_f32_e32 v124, v125, v114
	s_delay_alu instid0(VALU_DEP_3) | instskip(NEXT) | instid1(VALU_DEP_2)
	v_pk_add_f32 v[6:7], v[6:7], v[128:129] neg_lo:[0,1] neg_hi:[0,1]
	v_pk_fma_f32 v[122:123], v[122:123], v[38:39], v[124:125] op_sel_hi:[1,1,0]
	s_delay_alu instid0(VALU_DEP_1) | instskip(SKIP_4) | instid1(VALU_DEP_1)
	v_mov_b32_e32 v127, v123
	ds_load_2addr_b64 v[122:125], v116 offset0:50 offset1:51
	v_pk_add_f32 v[28:29], v[28:29], v[126:127] neg_lo:[0,1] neg_hi:[0,1]
	s_wait_dscnt 0x0
	v_pk_mul_f32 v[126:127], v[122:123], v[112:113] op_sel:[0,1]
	v_pk_fma_f32 v[128:129], v[122:123], v[114:115], v[126:127] op_sel:[0,0,1] op_sel_hi:[1,1,0] neg_lo:[0,0,1] neg_hi:[0,0,1]
	v_pk_fma_f32 v[122:123], v[122:123], v[114:115], v[126:127] op_sel:[0,0,1] op_sel_hi:[1,0,0]
	s_delay_alu instid0(VALU_DEP_1) | instskip(SKIP_1) | instid1(VALU_DEP_1)
	v_mov_b32_e32 v129, v123
	v_pk_mul_f32 v[122:123], v[124:125], v[112:113] op_sel:[0,1]
	v_pk_fma_f32 v[126:127], v[124:125], v[114:115], v[122:123] op_sel:[0,0,1] op_sel_hi:[1,1,0] neg_lo:[0,0,1] neg_hi:[0,0,1]
	v_pk_fma_f32 v[122:123], v[124:125], v[114:115], v[122:123] op_sel:[0,0,1] op_sel_hi:[1,0,0]
	s_delay_alu instid0(VALU_DEP_1)
	v_mov_b32_e32 v127, v123
	ds_load_b64 v[122:123], v116 offset:416
	v_pk_add_f32 v[18:19], v[18:19], v[128:129] neg_lo:[0,1] neg_hi:[0,1]
	v_pk_add_f32 v[16:17], v[16:17], v[126:127] neg_lo:[0,1] neg_hi:[0,1]
	s_wait_dscnt 0x0
	v_pk_mul_f32 v[112:113], v[122:123], v[112:113] op_sel:[0,1]
	s_delay_alu instid0(VALU_DEP_1) | instskip(SKIP_1) | instid1(VALU_DEP_1)
	v_pk_fma_f32 v[124:125], v[122:123], v[114:115], v[112:113] op_sel:[0,0,1] op_sel_hi:[1,1,0] neg_lo:[0,0,1] neg_hi:[0,0,1]
	v_pk_fma_f32 v[112:113], v[122:123], v[114:115], v[112:113] op_sel:[0,0,1] op_sel_hi:[1,0,0]
	v_mov_b32_e32 v125, v113
	s_delay_alu instid0(VALU_DEP_1)
	v_pk_add_f32 v[110:111], v[110:111], v[124:125] neg_lo:[0,1] neg_hi:[0,1]
.LBB104_755:
	s_or_b32 exec_lo, exec_lo, s0
	v_lshl_add_u32 v112, v120, 3, v116
	s_barrier_signal -1
	s_barrier_wait -1
	ds_store_b64 v112, v[36:37]
	s_wait_dscnt 0x0
	s_barrier_signal -1
	s_barrier_wait -1
	ds_load_b64 v[112:113], v116 offset:288
	v_mov_b32_e32 v114, 36
	s_cmp_lt_i32 s18, 38
	s_cbranch_scc1 .LBB104_758
; %bb.756:
	v_add3_u32 v115, v117, 0, 0x128
	v_mov_b32_e32 v114, 36
	s_mov_b32 s0, 37
.LBB104_757:                            ; =>This Inner Loop Header: Depth=1
	ds_load_b64 v[122:123], v115
	s_wait_dscnt 0x1
	v_cmp_gt_f32_e32 vcc_lo, 0, v112
	v_cndmask_b32_e64 v124, v112, -v112, vcc_lo
	v_cmp_gt_f32_e32 vcc_lo, 0, v113
	v_cndmask_b32_e64 v126, v113, -v113, vcc_lo
	s_wait_dscnt 0x0
	v_cmp_gt_f32_e32 vcc_lo, 0, v122
	v_cndmask_b32_e64 v125, v122, -v122, vcc_lo
	v_cmp_gt_f32_e32 vcc_lo, 0, v123
	v_cndmask_b32_e64 v127, v123, -v123, vcc_lo
	s_delay_alu instid0(VALU_DEP_1) | instskip(NEXT) | instid1(VALU_DEP_1)
	v_pk_add_f32 v[124:125], v[124:125], v[126:127]
	v_cmp_lt_f32_e32 vcc_lo, v124, v125
	v_dual_cndmask_b32 v112, v112, v122 :: v_dual_add_nc_u32 v115, 8, v115
	v_cndmask_b32_e32 v113, v113, v123, vcc_lo
	v_cndmask_b32_e64 v114, v114, s0, vcc_lo
	s_add_co_i32 s0, s0, 1
	s_delay_alu instid0(SALU_CYCLE_1)
	s_cmp_lg_u32 s18, s0
	s_cbranch_scc1 .LBB104_757
.LBB104_758:
	s_wait_dscnt 0x0
	v_cmp_eq_f32_e32 vcc_lo, 0, v112
	v_cmp_eq_f32_e64 s0, 0, v113
	s_and_b32 s0, vcc_lo, s0
	s_delay_alu instid0(SALU_CYCLE_1) | instskip(NEXT) | instid1(SALU_CYCLE_1)
	s_and_saveexec_b32 s1, s0
	s_xor_b32 s0, exec_lo, s1
; %bb.759:
	v_cmp_ne_u32_e32 vcc_lo, 0, v118
	v_cndmask_b32_e32 v118, 37, v118, vcc_lo
; %bb.760:
	s_and_not1_saveexec_b32 s0, s0
	s_cbranch_execz .LBB104_766
; %bb.761:
	v_cmp_ngt_f32_e64 s1, |v112|, |v113|
	s_and_saveexec_b32 s12, s1
	s_delay_alu instid0(SALU_CYCLE_1)
	s_xor_b32 s1, exec_lo, s12
	s_cbranch_execz .LBB104_763
; %bb.762:
	v_div_scale_f32 v115, null, v113, v113, v112
	v_div_scale_f32 v123, vcc_lo, v112, v113, v112
	s_delay_alu instid0(VALU_DEP_2) | instskip(SKIP_1) | instid1(TRANS32_DEP_1)
	v_rcp_f32_e32 v121, v115
	v_nop
	v_fma_f32 v122, -v115, v121, 1.0
	s_delay_alu instid0(VALU_DEP_1) | instskip(NEXT) | instid1(VALU_DEP_1)
	v_fmac_f32_e32 v121, v122, v121
	v_mul_f32_e32 v122, v123, v121
	s_delay_alu instid0(VALU_DEP_1) | instskip(NEXT) | instid1(VALU_DEP_1)
	v_fma_f32 v124, -v115, v122, v123
	v_fmac_f32_e32 v122, v124, v121
	s_delay_alu instid0(VALU_DEP_1) | instskip(NEXT) | instid1(VALU_DEP_1)
	v_fma_f32 v115, -v115, v122, v123
	v_div_fmas_f32 v115, v115, v121, v122
	s_delay_alu instid0(VALU_DEP_1) | instskip(NEXT) | instid1(VALU_DEP_1)
	v_div_fixup_f32 v115, v115, v113, v112
	v_fmac_f32_e32 v113, v112, v115
	s_delay_alu instid0(VALU_DEP_1) | instskip(SKIP_1) | instid1(VALU_DEP_2)
	v_div_scale_f32 v112, null, v113, v113, 1.0
	v_div_scale_f32 v123, vcc_lo, 1.0, v113, 1.0
	v_rcp_f32_e32 v121, v112
	v_nop
	s_delay_alu instid0(TRANS32_DEP_1) | instskip(NEXT) | instid1(VALU_DEP_1)
	v_fma_f32 v122, -v112, v121, 1.0
	v_fmac_f32_e32 v121, v122, v121
	s_delay_alu instid0(VALU_DEP_1) | instskip(NEXT) | instid1(VALU_DEP_1)
	v_mul_f32_e32 v122, v123, v121
	v_fma_f32 v124, -v112, v122, v123
	s_delay_alu instid0(VALU_DEP_1) | instskip(NEXT) | instid1(VALU_DEP_1)
	v_fmac_f32_e32 v122, v124, v121
	v_fma_f32 v112, -v112, v122, v123
	s_delay_alu instid0(VALU_DEP_1) | instskip(NEXT) | instid1(VALU_DEP_1)
	v_div_fmas_f32 v112, v112, v121, v122
	v_div_fixup_f32 v113, v112, v113, 1.0
	s_delay_alu instid0(VALU_DEP_1)
	v_mul_f32_e32 v112, v115, v113
	v_xor_b32_e32 v113, 0x80000000, v113
.LBB104_763:
	s_and_not1_saveexec_b32 s1, s1
	s_cbranch_execz .LBB104_765
; %bb.764:
	s_delay_alu instid0(VALU_DEP_1) | instskip(SKIP_1) | instid1(VALU_DEP_2)
	v_div_scale_f32 v115, null, v112, v112, v113
	v_div_scale_f32 v123, vcc_lo, v113, v112, v113
	v_rcp_f32_e32 v121, v115
	v_nop
	s_delay_alu instid0(TRANS32_DEP_1) | instskip(NEXT) | instid1(VALU_DEP_1)
	v_fma_f32 v122, -v115, v121, 1.0
	v_fmac_f32_e32 v121, v122, v121
	s_delay_alu instid0(VALU_DEP_1) | instskip(NEXT) | instid1(VALU_DEP_1)
	v_mul_f32_e32 v122, v123, v121
	v_fma_f32 v124, -v115, v122, v123
	s_delay_alu instid0(VALU_DEP_1) | instskip(NEXT) | instid1(VALU_DEP_1)
	v_fmac_f32_e32 v122, v124, v121
	v_fma_f32 v115, -v115, v122, v123
	s_delay_alu instid0(VALU_DEP_1) | instskip(NEXT) | instid1(VALU_DEP_1)
	v_div_fmas_f32 v115, v115, v121, v122
	v_div_fixup_f32 v115, v115, v112, v113
	s_delay_alu instid0(VALU_DEP_1) | instskip(NEXT) | instid1(VALU_DEP_1)
	v_fmac_f32_e32 v112, v113, v115
	v_div_scale_f32 v113, null, v112, v112, 1.0
	s_delay_alu instid0(VALU_DEP_1) | instskip(SKIP_1) | instid1(TRANS32_DEP_1)
	v_rcp_f32_e32 v121, v113
	v_nop
	v_fma_f32 v122, -v113, v121, 1.0
	s_delay_alu instid0(VALU_DEP_1) | instskip(SKIP_1) | instid1(VALU_DEP_1)
	v_fmac_f32_e32 v121, v122, v121
	v_div_scale_f32 v122, vcc_lo, 1.0, v112, 1.0
	v_mul_f32_e32 v123, v122, v121
	s_delay_alu instid0(VALU_DEP_1) | instskip(NEXT) | instid1(VALU_DEP_1)
	v_fma_f32 v124, -v113, v123, v122
	v_fmac_f32_e32 v123, v124, v121
	s_delay_alu instid0(VALU_DEP_1) | instskip(NEXT) | instid1(VALU_DEP_1)
	v_fma_f32 v113, -v113, v123, v122
	v_div_fmas_f32 v113, v113, v121, v123
	s_delay_alu instid0(VALU_DEP_1) | instskip(NEXT) | instid1(VALU_DEP_1)
	v_div_fixup_f32 v112, v113, v112, 1.0
	v_mul_f32_e64 v113, v115, -v112
.LBB104_765:
	s_or_b32 exec_lo, exec_lo, s1
.LBB104_766:
	s_delay_alu instid0(SALU_CYCLE_1) | instskip(NEXT) | instid1(SALU_CYCLE_1)
	s_or_b32 exec_lo, exec_lo, s0
	s_mov_b32 s0, exec_lo
	v_cmpx_ne_u32_e64 v120, v114
	s_xor_b32 s0, exec_lo, s0
	s_cbranch_execz .LBB104_772
; %bb.767:
	s_mov_b32 s1, exec_lo
	v_cmpx_eq_u32_e32 36, v120
	s_cbranch_execz .LBB104_771
; %bb.768:
	v_cmp_ne_u32_e32 vcc_lo, 36, v114
	s_xor_b32 s12, s16, -1
	s_delay_alu instid0(SALU_CYCLE_1) | instskip(NEXT) | instid1(SALU_CYCLE_1)
	s_and_b32 s13, s12, vcc_lo
	s_and_saveexec_b32 s12, s13
	s_cbranch_execz .LBB104_770
; %bb.769:
	v_ashrrev_i32_e32 v115, 31, v114
	s_delay_alu instid0(VALU_DEP_1)
	v_lshl_add_u64 v[120:121], v[114:115], 2, v[4:5]
	s_clause 0x1
	global_load_b32 v115, v[120:121], off
	global_load_b32 v119, v[4:5], off offset:144
	s_wait_loadcnt 0x1
	global_store_b32 v[4:5], v115, off offset:144
	s_wait_loadcnt 0x0
	global_store_b32 v[120:121], v119, off
.LBB104_770:
	s_wait_xcnt 0x0
	s_or_b32 exec_lo, exec_lo, s12
	v_dual_mov_b32 v120, v114 :: v_dual_mov_b32 v119, v114
.LBB104_771:
	s_or_b32 exec_lo, exec_lo, s1
.LBB104_772:
	s_and_not1_saveexec_b32 s0, s0
	s_cbranch_execz .LBB104_774
; %bb.773:
	v_mov_b32_e32 v120, 36
	ds_store_2addr_b64 v116, v[32:33], v[34:35] offset0:37 offset1:38
	ds_store_2addr_b64 v116, v[30:31], v[26:27] offset0:39 offset1:40
	;; [unrolled: 1-line block ×8, first 2 shown]
.LBB104_774:
	s_or_b32 exec_lo, exec_lo, s0
	s_delay_alu instid0(SALU_CYCLE_1)
	s_mov_b32 s0, exec_lo
	s_wait_storecnt_dscnt 0x0
	s_barrier_signal -1
	s_barrier_wait -1
	v_cmpx_lt_i32_e32 36, v120
	s_cbranch_execz .LBB104_776
; %bb.775:
	v_pk_mul_f32 v[122:123], v[112:113], v[36:37] op_sel:[1,1] op_sel_hi:[0,1]
	s_delay_alu instid0(VALU_DEP_1)
	v_pk_fma_f32 v[114:115], v[112:113], v[36:37], v[122:123] op_sel_hi:[1,0,1] neg_lo:[0,0,1] neg_hi:[0,0,1]
	v_pk_fma_f32 v[112:113], v[112:113], v[36:37], v[122:123] op_sel_hi:[1,0,1]
	ds_load_2addr_b64 v[122:125], v116 offset0:37 offset1:38
	v_dual_mov_b32 v36, v114 :: v_dual_mov_b32 v37, v113
	s_wait_dscnt 0x0
	v_pk_mul_f32 v[126:127], v[122:123], v[112:113] op_sel:[0,1]
	s_delay_alu instid0(VALU_DEP_1) | instskip(SKIP_1) | instid1(VALU_DEP_1)
	v_pk_fma_f32 v[128:129], v[122:123], v[114:115], v[126:127] op_sel:[0,0,1] op_sel_hi:[1,1,0] neg_lo:[0,0,1] neg_hi:[0,0,1]
	v_pk_fma_f32 v[122:123], v[122:123], v[114:115], v[126:127] op_sel:[0,0,1] op_sel_hi:[1,0,0]
	v_mov_b32_e32 v129, v123
	v_pk_mul_f32 v[122:123], v[124:125], v[112:113] op_sel:[0,1]
	s_delay_alu instid0(VALU_DEP_1) | instskip(SKIP_1) | instid1(VALU_DEP_1)
	v_pk_fma_f32 v[126:127], v[124:125], v[114:115], v[122:123] op_sel:[0,0,1] op_sel_hi:[1,1,0] neg_lo:[0,0,1] neg_hi:[0,0,1]
	v_pk_fma_f32 v[122:123], v[124:125], v[114:115], v[122:123] op_sel:[0,0,1] op_sel_hi:[1,0,0]
	v_mov_b32_e32 v127, v123
	ds_load_2addr_b64 v[122:125], v116 offset0:39 offset1:40
	v_pk_add_f32 v[32:33], v[32:33], v[128:129] neg_lo:[0,1] neg_hi:[0,1]
	v_pk_add_f32 v[34:35], v[34:35], v[126:127] neg_lo:[0,1] neg_hi:[0,1]
	s_wait_dscnt 0x0
	v_pk_mul_f32 v[126:127], v[122:123], v[112:113] op_sel:[0,1]
	s_delay_alu instid0(VALU_DEP_1) | instskip(SKIP_2) | instid1(VALU_DEP_2)
	v_pk_fma_f32 v[128:129], v[122:123], v[114:115], v[126:127] op_sel:[0,0,1] op_sel_hi:[1,1,0] neg_lo:[0,0,1] neg_hi:[0,0,1]
	v_pk_fma_f32 v[122:123], v[122:123], v[114:115], v[126:127] op_sel:[0,0,1] op_sel_hi:[1,0,0]
	v_dual_mul_f32 v126, v125, v113 :: v_dual_mov_b32 v122, v125
	v_dual_mov_b32 v129, v123 :: v_dual_mov_b32 v123, v124
	s_delay_alu instid0(VALU_DEP_2) | instskip(SKIP_1) | instid1(VALU_DEP_3)
	v_pk_fma_f32 v[126:127], v[124:125], v[36:37], v[126:127] op_sel_hi:[1,1,0] neg_lo:[0,0,1] neg_hi:[0,0,1]
	v_mul_f32_e32 v124, v125, v114
	v_pk_add_f32 v[30:31], v[30:31], v[128:129] neg_lo:[0,1] neg_hi:[0,1]
	s_delay_alu instid0(VALU_DEP_2) | instskip(NEXT) | instid1(VALU_DEP_1)
	v_pk_fma_f32 v[122:123], v[122:123], v[36:37], v[124:125] op_sel_hi:[1,1,0]
	v_mov_b32_e32 v127, v123
	ds_load_2addr_b64 v[122:125], v116 offset0:41 offset1:42
	v_pk_add_f32 v[26:27], v[26:27], v[126:127] neg_lo:[0,1] neg_hi:[0,1]
	s_wait_dscnt 0x0
	v_pk_mul_f32 v[126:127], v[122:123], v[112:113] op_sel:[0,1]
	s_delay_alu instid0(VALU_DEP_1) | instskip(SKIP_1) | instid1(VALU_DEP_1)
	v_pk_fma_f32 v[128:129], v[122:123], v[114:115], v[126:127] op_sel:[0,0,1] op_sel_hi:[1,1,0] neg_lo:[0,0,1] neg_hi:[0,0,1]
	v_pk_fma_f32 v[122:123], v[122:123], v[114:115], v[126:127] op_sel:[0,0,1] op_sel_hi:[1,0,0]
	v_mov_b32_e32 v129, v123
	v_pk_mul_f32 v[122:123], v[124:125], v[112:113] op_sel:[0,1]
	s_delay_alu instid0(VALU_DEP_1) | instskip(SKIP_1) | instid1(VALU_DEP_1)
	v_pk_fma_f32 v[126:127], v[124:125], v[114:115], v[122:123] op_sel:[0,0,1] op_sel_hi:[1,1,0] neg_lo:[0,0,1] neg_hi:[0,0,1]
	v_pk_fma_f32 v[122:123], v[124:125], v[114:115], v[122:123] op_sel:[0,0,1] op_sel_hi:[1,0,0]
	v_mov_b32_e32 v127, v123
	ds_load_2addr_b64 v[122:125], v116 offset0:43 offset1:44
	v_pk_add_f32 v[22:23], v[22:23], v[128:129] neg_lo:[0,1] neg_hi:[0,1]
	v_pk_add_f32 v[24:25], v[24:25], v[126:127] neg_lo:[0,1] neg_hi:[0,1]
	s_wait_dscnt 0x0
	v_pk_mul_f32 v[126:127], v[122:123], v[112:113] op_sel:[0,1]
	s_delay_alu instid0(VALU_DEP_1) | instskip(SKIP_1) | instid1(VALU_DEP_1)
	v_pk_fma_f32 v[128:129], v[122:123], v[114:115], v[126:127] op_sel:[0,0,1] op_sel_hi:[1,1,0] neg_lo:[0,0,1] neg_hi:[0,0,1]
	v_pk_fma_f32 v[122:123], v[122:123], v[114:115], v[126:127] op_sel:[0,0,1] op_sel_hi:[1,0,0]
	v_mov_b32_e32 v129, v123
	v_pk_mul_f32 v[122:123], v[124:125], v[112:113] op_sel:[0,1]
	s_delay_alu instid0(VALU_DEP_1) | instskip(SKIP_1) | instid1(VALU_DEP_1)
	v_pk_fma_f32 v[126:127], v[124:125], v[114:115], v[122:123] op_sel:[0,0,1] op_sel_hi:[1,1,0] neg_lo:[0,0,1] neg_hi:[0,0,1]
	v_pk_fma_f32 v[122:123], v[124:125], v[114:115], v[122:123] op_sel:[0,0,1] op_sel_hi:[1,0,0]
	v_mov_b32_e32 v127, v123
	ds_load_2addr_b64 v[122:125], v116 offset0:45 offset1:46
	v_pk_add_f32 v[20:21], v[20:21], v[128:129] neg_lo:[0,1] neg_hi:[0,1]
	v_pk_add_f32 v[14:15], v[14:15], v[126:127] neg_lo:[0,1] neg_hi:[0,1]
	s_wait_dscnt 0x0
	v_dual_mul_f32 v126, v123, v113 :: v_dual_mul_f32 v128, v123, v114
	s_delay_alu instid0(VALU_DEP_1) | instskip(NEXT) | instid1(VALU_DEP_2)
	v_pk_fma_f32 v[126:127], v[122:123], v[36:37], v[126:127] op_sel_hi:[1,1,0] neg_lo:[0,0,1] neg_hi:[0,0,1]
	v_pk_fma_f32 v[122:123], v[122:123], v[36:37], v[128:129] op_sel:[1,0,0] op_sel_hi:[0,1,0]
	s_delay_alu instid0(VALU_DEP_1) | instskip(SKIP_1) | instid1(VALU_DEP_2)
	v_mov_b32_e32 v127, v123
	v_pk_mul_f32 v[122:123], v[124:125], v[112:113] op_sel:[0,1]
	v_pk_add_f32 v[10:11], v[10:11], v[126:127] neg_lo:[0,1] neg_hi:[0,1]
	s_delay_alu instid0(VALU_DEP_2) | instskip(SKIP_1) | instid1(VALU_DEP_1)
	v_pk_fma_f32 v[126:127], v[124:125], v[114:115], v[122:123] op_sel:[0,0,1] op_sel_hi:[1,1,0] neg_lo:[0,0,1] neg_hi:[0,0,1]
	v_pk_fma_f32 v[122:123], v[124:125], v[114:115], v[122:123] op_sel:[0,0,1] op_sel_hi:[1,0,0]
	v_mov_b32_e32 v127, v123
	ds_load_2addr_b64 v[122:125], v116 offset0:47 offset1:48
	v_pk_add_f32 v[12:13], v[12:13], v[126:127] neg_lo:[0,1] neg_hi:[0,1]
	s_wait_dscnt 0x0
	v_pk_mul_f32 v[126:127], v[122:123], v[112:113] op_sel:[0,1]
	s_delay_alu instid0(VALU_DEP_1) | instskip(SKIP_1) | instid1(VALU_DEP_1)
	v_pk_fma_f32 v[128:129], v[122:123], v[114:115], v[126:127] op_sel:[0,0,1] op_sel_hi:[1,1,0] neg_lo:[0,0,1] neg_hi:[0,0,1]
	v_pk_fma_f32 v[122:123], v[122:123], v[114:115], v[126:127] op_sel:[0,0,1] op_sel_hi:[1,0,0]
	v_mov_b32_e32 v129, v123
	v_pk_mul_f32 v[122:123], v[124:125], v[112:113] op_sel:[0,1]
	s_delay_alu instid0(VALU_DEP_2) | instskip(NEXT) | instid1(VALU_DEP_2)
	v_pk_add_f32 v[8:9], v[8:9], v[128:129] neg_lo:[0,1] neg_hi:[0,1]
	v_pk_fma_f32 v[126:127], v[124:125], v[114:115], v[122:123] op_sel:[0,0,1] op_sel_hi:[1,1,0] neg_lo:[0,0,1] neg_hi:[0,0,1]
	v_pk_fma_f32 v[122:123], v[124:125], v[114:115], v[122:123] op_sel:[0,0,1] op_sel_hi:[1,0,0]
	s_delay_alu instid0(VALU_DEP_1) | instskip(SKIP_4) | instid1(VALU_DEP_1)
	v_mov_b32_e32 v127, v123
	ds_load_2addr_b64 v[122:125], v116 offset0:49 offset1:50
	v_pk_add_f32 v[6:7], v[6:7], v[126:127] neg_lo:[0,1] neg_hi:[0,1]
	s_wait_dscnt 0x0
	v_pk_mul_f32 v[126:127], v[122:123], v[112:113] op_sel:[0,1]
	v_pk_fma_f32 v[128:129], v[122:123], v[114:115], v[126:127] op_sel:[0,0,1] op_sel_hi:[1,1,0] neg_lo:[0,0,1] neg_hi:[0,0,1]
	v_pk_fma_f32 v[122:123], v[122:123], v[114:115], v[126:127] op_sel:[0,0,1] op_sel_hi:[1,0,0]
	v_dual_mul_f32 v126, v125, v113 :: v_dual_mov_b32 v122, v125
	s_delay_alu instid0(VALU_DEP_2) | instskip(NEXT) | instid1(VALU_DEP_2)
	v_dual_mov_b32 v129, v123 :: v_dual_mov_b32 v123, v124
	v_pk_fma_f32 v[126:127], v[124:125], v[36:37], v[126:127] op_sel_hi:[1,1,0] neg_lo:[0,0,1] neg_hi:[0,0,1]
	v_mul_f32_e32 v124, v125, v114
	s_delay_alu instid0(VALU_DEP_3) | instskip(NEXT) | instid1(VALU_DEP_2)
	v_pk_add_f32 v[28:29], v[28:29], v[128:129] neg_lo:[0,1] neg_hi:[0,1]
	v_pk_fma_f32 v[122:123], v[122:123], v[36:37], v[124:125] op_sel_hi:[1,1,0]
	s_delay_alu instid0(VALU_DEP_1)
	v_mov_b32_e32 v127, v123
	ds_load_2addr_b64 v[122:125], v116 offset0:51 offset1:52
	v_pk_add_f32 v[18:19], v[18:19], v[126:127] neg_lo:[0,1] neg_hi:[0,1]
	s_wait_dscnt 0x0
	v_pk_mul_f32 v[126:127], v[122:123], v[112:113] op_sel:[0,1]
	v_pk_mul_f32 v[112:113], v[124:125], v[112:113] op_sel:[0,1]
	s_delay_alu instid0(VALU_DEP_2) | instskip(SKIP_1) | instid1(VALU_DEP_1)
	v_pk_fma_f32 v[128:129], v[122:123], v[114:115], v[126:127] op_sel:[0,0,1] op_sel_hi:[1,1,0] neg_lo:[0,0,1] neg_hi:[0,0,1]
	v_pk_fma_f32 v[122:123], v[122:123], v[114:115], v[126:127] op_sel:[0,0,1] op_sel_hi:[1,0,0]
	v_mov_b32_e32 v129, v123
	s_delay_alu instid0(VALU_DEP_4) | instskip(SKIP_1) | instid1(VALU_DEP_1)
	v_pk_fma_f32 v[122:123], v[124:125], v[114:115], v[112:113] op_sel:[0,0,1] op_sel_hi:[1,1,0] neg_lo:[0,0,1] neg_hi:[0,0,1]
	v_pk_fma_f32 v[112:113], v[124:125], v[114:115], v[112:113] op_sel:[0,0,1] op_sel_hi:[1,0,0]
	v_mov_b32_e32 v123, v113
	s_delay_alu instid0(VALU_DEP_4) | instskip(NEXT) | instid1(VALU_DEP_2)
	v_pk_add_f32 v[16:17], v[16:17], v[128:129] neg_lo:[0,1] neg_hi:[0,1]
	v_pk_add_f32 v[110:111], v[110:111], v[122:123] neg_lo:[0,1] neg_hi:[0,1]
.LBB104_776:
	s_or_b32 exec_lo, exec_lo, s0
	v_lshl_add_u32 v112, v120, 3, v116
	s_barrier_signal -1
	s_barrier_wait -1
	ds_store_b64 v112, v[32:33]
	s_wait_dscnt 0x0
	s_barrier_signal -1
	s_barrier_wait -1
	ds_load_b64 v[112:113], v116 offset:296
	v_mov_b32_e32 v114, 37
	s_cmp_lt_i32 s18, 39
	s_cbranch_scc1 .LBB104_779
; %bb.777:
	v_add3_u32 v115, v117, 0, 0x130
	v_mov_b32_e32 v114, 37
	s_mov_b32 s0, 38
.LBB104_778:                            ; =>This Inner Loop Header: Depth=1
	ds_load_b64 v[122:123], v115
	s_wait_dscnt 0x1
	v_cmp_gt_f32_e32 vcc_lo, 0, v112
	v_cndmask_b32_e64 v124, v112, -v112, vcc_lo
	v_cmp_gt_f32_e32 vcc_lo, 0, v113
	v_cndmask_b32_e64 v126, v113, -v113, vcc_lo
	s_wait_dscnt 0x0
	v_cmp_gt_f32_e32 vcc_lo, 0, v122
	v_cndmask_b32_e64 v125, v122, -v122, vcc_lo
	v_cmp_gt_f32_e32 vcc_lo, 0, v123
	v_cndmask_b32_e64 v127, v123, -v123, vcc_lo
	s_delay_alu instid0(VALU_DEP_1) | instskip(NEXT) | instid1(VALU_DEP_1)
	v_pk_add_f32 v[124:125], v[124:125], v[126:127]
	v_cmp_lt_f32_e32 vcc_lo, v124, v125
	v_dual_cndmask_b32 v112, v112, v122 :: v_dual_add_nc_u32 v115, 8, v115
	v_cndmask_b32_e32 v113, v113, v123, vcc_lo
	v_cndmask_b32_e64 v114, v114, s0, vcc_lo
	s_add_co_i32 s0, s0, 1
	s_delay_alu instid0(SALU_CYCLE_1)
	s_cmp_lg_u32 s18, s0
	s_cbranch_scc1 .LBB104_778
.LBB104_779:
	s_wait_dscnt 0x0
	v_cmp_eq_f32_e32 vcc_lo, 0, v112
	v_cmp_eq_f32_e64 s0, 0, v113
	s_and_b32 s0, vcc_lo, s0
	s_delay_alu instid0(SALU_CYCLE_1) | instskip(NEXT) | instid1(SALU_CYCLE_1)
	s_and_saveexec_b32 s1, s0
	s_xor_b32 s0, exec_lo, s1
; %bb.780:
	v_cmp_ne_u32_e32 vcc_lo, 0, v118
	v_cndmask_b32_e32 v118, 38, v118, vcc_lo
; %bb.781:
	s_and_not1_saveexec_b32 s0, s0
	s_cbranch_execz .LBB104_787
; %bb.782:
	v_cmp_ngt_f32_e64 s1, |v112|, |v113|
	s_and_saveexec_b32 s12, s1
	s_delay_alu instid0(SALU_CYCLE_1)
	s_xor_b32 s1, exec_lo, s12
	s_cbranch_execz .LBB104_784
; %bb.783:
	v_div_scale_f32 v115, null, v113, v113, v112
	v_div_scale_f32 v123, vcc_lo, v112, v113, v112
	s_delay_alu instid0(VALU_DEP_2) | instskip(SKIP_1) | instid1(TRANS32_DEP_1)
	v_rcp_f32_e32 v121, v115
	v_nop
	v_fma_f32 v122, -v115, v121, 1.0
	s_delay_alu instid0(VALU_DEP_1) | instskip(NEXT) | instid1(VALU_DEP_1)
	v_fmac_f32_e32 v121, v122, v121
	v_mul_f32_e32 v122, v123, v121
	s_delay_alu instid0(VALU_DEP_1) | instskip(NEXT) | instid1(VALU_DEP_1)
	v_fma_f32 v124, -v115, v122, v123
	v_fmac_f32_e32 v122, v124, v121
	s_delay_alu instid0(VALU_DEP_1) | instskip(NEXT) | instid1(VALU_DEP_1)
	v_fma_f32 v115, -v115, v122, v123
	v_div_fmas_f32 v115, v115, v121, v122
	s_delay_alu instid0(VALU_DEP_1) | instskip(NEXT) | instid1(VALU_DEP_1)
	v_div_fixup_f32 v115, v115, v113, v112
	v_fmac_f32_e32 v113, v112, v115
	s_delay_alu instid0(VALU_DEP_1) | instskip(SKIP_1) | instid1(VALU_DEP_2)
	v_div_scale_f32 v112, null, v113, v113, 1.0
	v_div_scale_f32 v123, vcc_lo, 1.0, v113, 1.0
	v_rcp_f32_e32 v121, v112
	v_nop
	s_delay_alu instid0(TRANS32_DEP_1) | instskip(NEXT) | instid1(VALU_DEP_1)
	v_fma_f32 v122, -v112, v121, 1.0
	v_fmac_f32_e32 v121, v122, v121
	s_delay_alu instid0(VALU_DEP_1) | instskip(NEXT) | instid1(VALU_DEP_1)
	v_mul_f32_e32 v122, v123, v121
	v_fma_f32 v124, -v112, v122, v123
	s_delay_alu instid0(VALU_DEP_1) | instskip(NEXT) | instid1(VALU_DEP_1)
	v_fmac_f32_e32 v122, v124, v121
	v_fma_f32 v112, -v112, v122, v123
	s_delay_alu instid0(VALU_DEP_1) | instskip(NEXT) | instid1(VALU_DEP_1)
	v_div_fmas_f32 v112, v112, v121, v122
	v_div_fixup_f32 v113, v112, v113, 1.0
	s_delay_alu instid0(VALU_DEP_1)
	v_mul_f32_e32 v112, v115, v113
	v_xor_b32_e32 v113, 0x80000000, v113
.LBB104_784:
	s_and_not1_saveexec_b32 s1, s1
	s_cbranch_execz .LBB104_786
; %bb.785:
	s_delay_alu instid0(VALU_DEP_1) | instskip(SKIP_1) | instid1(VALU_DEP_2)
	v_div_scale_f32 v115, null, v112, v112, v113
	v_div_scale_f32 v123, vcc_lo, v113, v112, v113
	v_rcp_f32_e32 v121, v115
	v_nop
	s_delay_alu instid0(TRANS32_DEP_1) | instskip(NEXT) | instid1(VALU_DEP_1)
	v_fma_f32 v122, -v115, v121, 1.0
	v_fmac_f32_e32 v121, v122, v121
	s_delay_alu instid0(VALU_DEP_1) | instskip(NEXT) | instid1(VALU_DEP_1)
	v_mul_f32_e32 v122, v123, v121
	v_fma_f32 v124, -v115, v122, v123
	s_delay_alu instid0(VALU_DEP_1) | instskip(NEXT) | instid1(VALU_DEP_1)
	v_fmac_f32_e32 v122, v124, v121
	v_fma_f32 v115, -v115, v122, v123
	s_delay_alu instid0(VALU_DEP_1) | instskip(NEXT) | instid1(VALU_DEP_1)
	v_div_fmas_f32 v115, v115, v121, v122
	v_div_fixup_f32 v115, v115, v112, v113
	s_delay_alu instid0(VALU_DEP_1) | instskip(NEXT) | instid1(VALU_DEP_1)
	v_fmac_f32_e32 v112, v113, v115
	v_div_scale_f32 v113, null, v112, v112, 1.0
	s_delay_alu instid0(VALU_DEP_1) | instskip(SKIP_1) | instid1(TRANS32_DEP_1)
	v_rcp_f32_e32 v121, v113
	v_nop
	v_fma_f32 v122, -v113, v121, 1.0
	s_delay_alu instid0(VALU_DEP_1) | instskip(SKIP_1) | instid1(VALU_DEP_1)
	v_fmac_f32_e32 v121, v122, v121
	v_div_scale_f32 v122, vcc_lo, 1.0, v112, 1.0
	v_mul_f32_e32 v123, v122, v121
	s_delay_alu instid0(VALU_DEP_1) | instskip(NEXT) | instid1(VALU_DEP_1)
	v_fma_f32 v124, -v113, v123, v122
	v_fmac_f32_e32 v123, v124, v121
	s_delay_alu instid0(VALU_DEP_1) | instskip(NEXT) | instid1(VALU_DEP_1)
	v_fma_f32 v113, -v113, v123, v122
	v_div_fmas_f32 v113, v113, v121, v123
	s_delay_alu instid0(VALU_DEP_1) | instskip(NEXT) | instid1(VALU_DEP_1)
	v_div_fixup_f32 v112, v113, v112, 1.0
	v_mul_f32_e64 v113, v115, -v112
.LBB104_786:
	s_or_b32 exec_lo, exec_lo, s1
.LBB104_787:
	s_delay_alu instid0(SALU_CYCLE_1) | instskip(NEXT) | instid1(SALU_CYCLE_1)
	s_or_b32 exec_lo, exec_lo, s0
	s_mov_b32 s0, exec_lo
	v_cmpx_ne_u32_e64 v120, v114
	s_xor_b32 s0, exec_lo, s0
	s_cbranch_execz .LBB104_793
; %bb.788:
	s_mov_b32 s1, exec_lo
	v_cmpx_eq_u32_e32 37, v120
	s_cbranch_execz .LBB104_792
; %bb.789:
	v_cmp_ne_u32_e32 vcc_lo, 37, v114
	s_xor_b32 s12, s16, -1
	s_delay_alu instid0(SALU_CYCLE_1) | instskip(NEXT) | instid1(SALU_CYCLE_1)
	s_and_b32 s13, s12, vcc_lo
	s_and_saveexec_b32 s12, s13
	s_cbranch_execz .LBB104_791
; %bb.790:
	v_ashrrev_i32_e32 v115, 31, v114
	s_delay_alu instid0(VALU_DEP_1)
	v_lshl_add_u64 v[120:121], v[114:115], 2, v[4:5]
	s_clause 0x1
	global_load_b32 v115, v[120:121], off
	global_load_b32 v119, v[4:5], off offset:148
	s_wait_loadcnt 0x1
	global_store_b32 v[4:5], v115, off offset:148
	s_wait_loadcnt 0x0
	global_store_b32 v[120:121], v119, off
.LBB104_791:
	s_wait_xcnt 0x0
	s_or_b32 exec_lo, exec_lo, s12
	v_dual_mov_b32 v120, v114 :: v_dual_mov_b32 v119, v114
.LBB104_792:
	s_or_b32 exec_lo, exec_lo, s1
.LBB104_793:
	s_and_not1_saveexec_b32 s0, s0
	s_cbranch_execz .LBB104_795
; %bb.794:
	v_dual_mov_b32 v114, v34 :: v_dual_mov_b32 v115, v35
	v_dual_mov_b32 v120, v30 :: v_dual_mov_b32 v121, v31
	;; [unrolled: 1-line block ×4, first 2 shown]
	ds_store_2addr_b64 v116, v[114:115], v[120:121] offset0:38 offset1:39
	ds_store_2addr_b64 v116, v[122:123], v[124:125] offset0:40 offset1:41
	v_dual_mov_b32 v114, v24 :: v_dual_mov_b32 v115, v25
	v_dual_mov_b32 v120, v20 :: v_dual_mov_b32 v121, v21
	;; [unrolled: 1-line block ×6, first 2 shown]
	ds_store_2addr_b64 v116, v[114:115], v[120:121] offset0:42 offset1:43
	ds_store_2addr_b64 v116, v[122:123], v[124:125] offset0:44 offset1:45
	v_dual_mov_b32 v120, 37 :: v_dual_mov_b32 v130, v6
	v_dual_mov_b32 v131, v7 :: v_dual_mov_b32 v132, v28
	;; [unrolled: 1-line block ×4, first 2 shown]
	v_mov_b32_e32 v137, v17
	ds_store_2addr_b64 v116, v[126:127], v[128:129] offset0:46 offset1:47
	ds_store_2addr_b64 v116, v[130:131], v[132:133] offset0:48 offset1:49
	;; [unrolled: 1-line block ×3, first 2 shown]
	ds_store_b64 v116, v[110:111] offset:416
.LBB104_795:
	s_or_b32 exec_lo, exec_lo, s0
	s_delay_alu instid0(SALU_CYCLE_1)
	s_mov_b32 s0, exec_lo
	s_wait_storecnt_dscnt 0x0
	s_barrier_signal -1
	s_barrier_wait -1
	v_cmpx_lt_i32_e32 37, v120
	s_cbranch_execz .LBB104_797
; %bb.796:
	v_pk_mul_f32 v[122:123], v[112:113], v[32:33] op_sel:[1,1] op_sel_hi:[0,1]
	s_delay_alu instid0(VALU_DEP_1)
	v_pk_fma_f32 v[114:115], v[112:113], v[32:33], v[122:123] op_sel_hi:[1,0,1] neg_lo:[0,0,1] neg_hi:[0,0,1]
	v_pk_fma_f32 v[112:113], v[112:113], v[32:33], v[122:123] op_sel_hi:[1,0,1]
	ds_load_2addr_b64 v[122:125], v116 offset0:38 offset1:39
	v_dual_mov_b32 v32, v114 :: v_dual_mov_b32 v33, v113
	s_wait_dscnt 0x0
	v_pk_mul_f32 v[126:127], v[122:123], v[112:113] op_sel:[0,1]
	s_delay_alu instid0(VALU_DEP_1) | instskip(SKIP_1) | instid1(VALU_DEP_1)
	v_pk_fma_f32 v[128:129], v[122:123], v[114:115], v[126:127] op_sel:[0,0,1] op_sel_hi:[1,1,0] neg_lo:[0,0,1] neg_hi:[0,0,1]
	v_pk_fma_f32 v[122:123], v[122:123], v[114:115], v[126:127] op_sel:[0,0,1] op_sel_hi:[1,0,0]
	v_mov_b32_e32 v129, v123
	v_pk_mul_f32 v[122:123], v[124:125], v[112:113] op_sel:[0,1]
	s_delay_alu instid0(VALU_DEP_1) | instskip(SKIP_1) | instid1(VALU_DEP_1)
	v_pk_fma_f32 v[126:127], v[124:125], v[114:115], v[122:123] op_sel:[0,0,1] op_sel_hi:[1,1,0] neg_lo:[0,0,1] neg_hi:[0,0,1]
	v_pk_fma_f32 v[122:123], v[124:125], v[114:115], v[122:123] op_sel:[0,0,1] op_sel_hi:[1,0,0]
	v_mov_b32_e32 v127, v123
	ds_load_2addr_b64 v[122:125], v116 offset0:40 offset1:41
	v_pk_add_f32 v[34:35], v[34:35], v[128:129] neg_lo:[0,1] neg_hi:[0,1]
	v_pk_add_f32 v[30:31], v[30:31], v[126:127] neg_lo:[0,1] neg_hi:[0,1]
	s_wait_dscnt 0x0
	v_pk_mul_f32 v[126:127], v[122:123], v[112:113] op_sel:[0,1]
	s_delay_alu instid0(VALU_DEP_1) | instskip(SKIP_2) | instid1(VALU_DEP_2)
	v_pk_fma_f32 v[128:129], v[122:123], v[114:115], v[126:127] op_sel:[0,0,1] op_sel_hi:[1,1,0] neg_lo:[0,0,1] neg_hi:[0,0,1]
	v_pk_fma_f32 v[122:123], v[122:123], v[114:115], v[126:127] op_sel:[0,0,1] op_sel_hi:[1,0,0]
	v_dual_mul_f32 v126, v125, v113 :: v_dual_mov_b32 v122, v125
	v_dual_mov_b32 v129, v123 :: v_dual_mov_b32 v123, v124
	s_delay_alu instid0(VALU_DEP_2) | instskip(SKIP_1) | instid1(VALU_DEP_3)
	v_pk_fma_f32 v[126:127], v[124:125], v[32:33], v[126:127] op_sel_hi:[1,1,0] neg_lo:[0,0,1] neg_hi:[0,0,1]
	v_mul_f32_e32 v124, v125, v114
	v_pk_add_f32 v[26:27], v[26:27], v[128:129] neg_lo:[0,1] neg_hi:[0,1]
	s_delay_alu instid0(VALU_DEP_2) | instskip(NEXT) | instid1(VALU_DEP_1)
	v_pk_fma_f32 v[122:123], v[122:123], v[32:33], v[124:125] op_sel_hi:[1,1,0]
	v_mov_b32_e32 v127, v123
	ds_load_2addr_b64 v[122:125], v116 offset0:42 offset1:43
	v_pk_add_f32 v[22:23], v[22:23], v[126:127] neg_lo:[0,1] neg_hi:[0,1]
	s_wait_dscnt 0x0
	v_pk_mul_f32 v[126:127], v[122:123], v[112:113] op_sel:[0,1]
	s_delay_alu instid0(VALU_DEP_1) | instskip(SKIP_1) | instid1(VALU_DEP_1)
	v_pk_fma_f32 v[128:129], v[122:123], v[114:115], v[126:127] op_sel:[0,0,1] op_sel_hi:[1,1,0] neg_lo:[0,0,1] neg_hi:[0,0,1]
	v_pk_fma_f32 v[122:123], v[122:123], v[114:115], v[126:127] op_sel:[0,0,1] op_sel_hi:[1,0,0]
	v_mov_b32_e32 v129, v123
	v_pk_mul_f32 v[122:123], v[124:125], v[112:113] op_sel:[0,1]
	s_delay_alu instid0(VALU_DEP_1) | instskip(SKIP_1) | instid1(VALU_DEP_1)
	v_pk_fma_f32 v[126:127], v[124:125], v[114:115], v[122:123] op_sel:[0,0,1] op_sel_hi:[1,1,0] neg_lo:[0,0,1] neg_hi:[0,0,1]
	v_pk_fma_f32 v[122:123], v[124:125], v[114:115], v[122:123] op_sel:[0,0,1] op_sel_hi:[1,0,0]
	v_mov_b32_e32 v127, v123
	ds_load_2addr_b64 v[122:125], v116 offset0:44 offset1:45
	v_pk_add_f32 v[24:25], v[24:25], v[128:129] neg_lo:[0,1] neg_hi:[0,1]
	v_pk_add_f32 v[20:21], v[20:21], v[126:127] neg_lo:[0,1] neg_hi:[0,1]
	s_wait_dscnt 0x0
	v_pk_mul_f32 v[126:127], v[122:123], v[112:113] op_sel:[0,1]
	s_delay_alu instid0(VALU_DEP_1) | instskip(SKIP_1) | instid1(VALU_DEP_1)
	v_pk_fma_f32 v[128:129], v[122:123], v[114:115], v[126:127] op_sel:[0,0,1] op_sel_hi:[1,1,0] neg_lo:[0,0,1] neg_hi:[0,0,1]
	v_pk_fma_f32 v[122:123], v[122:123], v[114:115], v[126:127] op_sel:[0,0,1] op_sel_hi:[1,0,0]
	v_mov_b32_e32 v129, v123
	v_pk_mul_f32 v[122:123], v[124:125], v[112:113] op_sel:[0,1]
	s_delay_alu instid0(VALU_DEP_1) | instskip(SKIP_1) | instid1(VALU_DEP_1)
	v_pk_fma_f32 v[126:127], v[124:125], v[114:115], v[122:123] op_sel:[0,0,1] op_sel_hi:[1,1,0] neg_lo:[0,0,1] neg_hi:[0,0,1]
	v_pk_fma_f32 v[122:123], v[124:125], v[114:115], v[122:123] op_sel:[0,0,1] op_sel_hi:[1,0,0]
	v_mov_b32_e32 v127, v123
	ds_load_2addr_b64 v[122:125], v116 offset0:46 offset1:47
	v_pk_add_f32 v[14:15], v[14:15], v[128:129] neg_lo:[0,1] neg_hi:[0,1]
	v_pk_add_f32 v[10:11], v[10:11], v[126:127] neg_lo:[0,1] neg_hi:[0,1]
	s_wait_dscnt 0x0
	v_dual_mul_f32 v126, v123, v113 :: v_dual_mul_f32 v128, v123, v114
	s_delay_alu instid0(VALU_DEP_1) | instskip(NEXT) | instid1(VALU_DEP_2)
	v_pk_fma_f32 v[126:127], v[122:123], v[32:33], v[126:127] op_sel_hi:[1,1,0] neg_lo:[0,0,1] neg_hi:[0,0,1]
	v_pk_fma_f32 v[122:123], v[122:123], v[32:33], v[128:129] op_sel:[1,0,0] op_sel_hi:[0,1,0]
	s_delay_alu instid0(VALU_DEP_1) | instskip(SKIP_1) | instid1(VALU_DEP_2)
	v_mov_b32_e32 v127, v123
	v_pk_mul_f32 v[122:123], v[124:125], v[112:113] op_sel:[0,1]
	v_pk_add_f32 v[12:13], v[12:13], v[126:127] neg_lo:[0,1] neg_hi:[0,1]
	s_delay_alu instid0(VALU_DEP_2) | instskip(SKIP_1) | instid1(VALU_DEP_1)
	v_pk_fma_f32 v[126:127], v[124:125], v[114:115], v[122:123] op_sel:[0,0,1] op_sel_hi:[1,1,0] neg_lo:[0,0,1] neg_hi:[0,0,1]
	v_pk_fma_f32 v[122:123], v[124:125], v[114:115], v[122:123] op_sel:[0,0,1] op_sel_hi:[1,0,0]
	v_mov_b32_e32 v127, v123
	ds_load_2addr_b64 v[122:125], v116 offset0:48 offset1:49
	v_pk_add_f32 v[8:9], v[8:9], v[126:127] neg_lo:[0,1] neg_hi:[0,1]
	s_wait_dscnt 0x0
	v_pk_mul_f32 v[126:127], v[122:123], v[112:113] op_sel:[0,1]
	s_delay_alu instid0(VALU_DEP_1) | instskip(SKIP_1) | instid1(VALU_DEP_1)
	v_pk_fma_f32 v[128:129], v[122:123], v[114:115], v[126:127] op_sel:[0,0,1] op_sel_hi:[1,1,0] neg_lo:[0,0,1] neg_hi:[0,0,1]
	v_pk_fma_f32 v[122:123], v[122:123], v[114:115], v[126:127] op_sel:[0,0,1] op_sel_hi:[1,0,0]
	v_mov_b32_e32 v129, v123
	v_pk_mul_f32 v[122:123], v[124:125], v[112:113] op_sel:[0,1]
	s_delay_alu instid0(VALU_DEP_2) | instskip(NEXT) | instid1(VALU_DEP_2)
	v_pk_add_f32 v[6:7], v[6:7], v[128:129] neg_lo:[0,1] neg_hi:[0,1]
	v_pk_fma_f32 v[126:127], v[124:125], v[114:115], v[122:123] op_sel:[0,0,1] op_sel_hi:[1,1,0] neg_lo:[0,0,1] neg_hi:[0,0,1]
	v_pk_fma_f32 v[122:123], v[124:125], v[114:115], v[122:123] op_sel:[0,0,1] op_sel_hi:[1,0,0]
	s_delay_alu instid0(VALU_DEP_1) | instskip(SKIP_4) | instid1(VALU_DEP_1)
	v_mov_b32_e32 v127, v123
	ds_load_2addr_b64 v[122:125], v116 offset0:50 offset1:51
	v_pk_add_f32 v[28:29], v[28:29], v[126:127] neg_lo:[0,1] neg_hi:[0,1]
	s_wait_dscnt 0x0
	v_pk_mul_f32 v[126:127], v[122:123], v[112:113] op_sel:[0,1]
	v_pk_fma_f32 v[128:129], v[122:123], v[114:115], v[126:127] op_sel:[0,0,1] op_sel_hi:[1,1,0] neg_lo:[0,0,1] neg_hi:[0,0,1]
	v_pk_fma_f32 v[122:123], v[122:123], v[114:115], v[126:127] op_sel:[0,0,1] op_sel_hi:[1,0,0]
	v_dual_mul_f32 v126, v125, v113 :: v_dual_mov_b32 v122, v125
	s_delay_alu instid0(VALU_DEP_2) | instskip(NEXT) | instid1(VALU_DEP_2)
	v_dual_mov_b32 v129, v123 :: v_dual_mov_b32 v123, v124
	v_pk_fma_f32 v[126:127], v[124:125], v[32:33], v[126:127] op_sel_hi:[1,1,0] neg_lo:[0,0,1] neg_hi:[0,0,1]
	v_mul_f32_e32 v124, v125, v114
	s_delay_alu instid0(VALU_DEP_3) | instskip(NEXT) | instid1(VALU_DEP_2)
	v_pk_add_f32 v[18:19], v[18:19], v[128:129] neg_lo:[0,1] neg_hi:[0,1]
	v_pk_fma_f32 v[122:123], v[122:123], v[32:33], v[124:125] op_sel_hi:[1,1,0]
	s_delay_alu instid0(VALU_DEP_1) | instskip(SKIP_4) | instid1(VALU_DEP_1)
	v_mov_b32_e32 v127, v123
	ds_load_b64 v[122:123], v116 offset:416
	v_pk_add_f32 v[16:17], v[16:17], v[126:127] neg_lo:[0,1] neg_hi:[0,1]
	s_wait_dscnt 0x0
	v_pk_mul_f32 v[112:113], v[122:123], v[112:113] op_sel:[0,1]
	v_pk_fma_f32 v[124:125], v[122:123], v[114:115], v[112:113] op_sel:[0,0,1] op_sel_hi:[1,1,0] neg_lo:[0,0,1] neg_hi:[0,0,1]
	v_pk_fma_f32 v[112:113], v[122:123], v[114:115], v[112:113] op_sel:[0,0,1] op_sel_hi:[1,0,0]
	s_delay_alu instid0(VALU_DEP_1) | instskip(NEXT) | instid1(VALU_DEP_1)
	v_mov_b32_e32 v125, v113
	v_pk_add_f32 v[110:111], v[110:111], v[124:125] neg_lo:[0,1] neg_hi:[0,1]
.LBB104_797:
	s_or_b32 exec_lo, exec_lo, s0
	v_lshl_add_u32 v112, v120, 3, v116
	s_barrier_signal -1
	s_barrier_wait -1
	ds_store_b64 v112, v[34:35]
	s_wait_dscnt 0x0
	s_barrier_signal -1
	s_barrier_wait -1
	ds_load_b64 v[112:113], v116 offset:304
	v_mov_b32_e32 v114, 38
	s_cmp_lt_i32 s18, 40
	s_cbranch_scc1 .LBB104_800
; %bb.798:
	v_add3_u32 v115, v117, 0, 0x138
	v_mov_b32_e32 v114, 38
	s_mov_b32 s0, 39
.LBB104_799:                            ; =>This Inner Loop Header: Depth=1
	ds_load_b64 v[122:123], v115
	s_wait_dscnt 0x1
	v_cmp_gt_f32_e32 vcc_lo, 0, v112
	v_cndmask_b32_e64 v124, v112, -v112, vcc_lo
	v_cmp_gt_f32_e32 vcc_lo, 0, v113
	v_cndmask_b32_e64 v126, v113, -v113, vcc_lo
	s_wait_dscnt 0x0
	v_cmp_gt_f32_e32 vcc_lo, 0, v122
	v_cndmask_b32_e64 v125, v122, -v122, vcc_lo
	v_cmp_gt_f32_e32 vcc_lo, 0, v123
	v_cndmask_b32_e64 v127, v123, -v123, vcc_lo
	s_delay_alu instid0(VALU_DEP_1) | instskip(NEXT) | instid1(VALU_DEP_1)
	v_pk_add_f32 v[124:125], v[124:125], v[126:127]
	v_cmp_lt_f32_e32 vcc_lo, v124, v125
	v_dual_cndmask_b32 v112, v112, v122 :: v_dual_add_nc_u32 v115, 8, v115
	v_cndmask_b32_e32 v113, v113, v123, vcc_lo
	v_cndmask_b32_e64 v114, v114, s0, vcc_lo
	s_add_co_i32 s0, s0, 1
	s_delay_alu instid0(SALU_CYCLE_1)
	s_cmp_lg_u32 s18, s0
	s_cbranch_scc1 .LBB104_799
.LBB104_800:
	s_wait_dscnt 0x0
	v_cmp_eq_f32_e32 vcc_lo, 0, v112
	v_cmp_eq_f32_e64 s0, 0, v113
	s_and_b32 s0, vcc_lo, s0
	s_delay_alu instid0(SALU_CYCLE_1) | instskip(NEXT) | instid1(SALU_CYCLE_1)
	s_and_saveexec_b32 s1, s0
	s_xor_b32 s0, exec_lo, s1
; %bb.801:
	v_cmp_ne_u32_e32 vcc_lo, 0, v118
	v_cndmask_b32_e32 v118, 39, v118, vcc_lo
; %bb.802:
	s_and_not1_saveexec_b32 s0, s0
	s_cbranch_execz .LBB104_808
; %bb.803:
	v_cmp_ngt_f32_e64 s1, |v112|, |v113|
	s_and_saveexec_b32 s12, s1
	s_delay_alu instid0(SALU_CYCLE_1)
	s_xor_b32 s1, exec_lo, s12
	s_cbranch_execz .LBB104_805
; %bb.804:
	v_div_scale_f32 v115, null, v113, v113, v112
	v_div_scale_f32 v123, vcc_lo, v112, v113, v112
	s_delay_alu instid0(VALU_DEP_2) | instskip(SKIP_1) | instid1(TRANS32_DEP_1)
	v_rcp_f32_e32 v121, v115
	v_nop
	v_fma_f32 v122, -v115, v121, 1.0
	s_delay_alu instid0(VALU_DEP_1) | instskip(NEXT) | instid1(VALU_DEP_1)
	v_fmac_f32_e32 v121, v122, v121
	v_mul_f32_e32 v122, v123, v121
	s_delay_alu instid0(VALU_DEP_1) | instskip(NEXT) | instid1(VALU_DEP_1)
	v_fma_f32 v124, -v115, v122, v123
	v_fmac_f32_e32 v122, v124, v121
	s_delay_alu instid0(VALU_DEP_1) | instskip(NEXT) | instid1(VALU_DEP_1)
	v_fma_f32 v115, -v115, v122, v123
	v_div_fmas_f32 v115, v115, v121, v122
	s_delay_alu instid0(VALU_DEP_1) | instskip(NEXT) | instid1(VALU_DEP_1)
	v_div_fixup_f32 v115, v115, v113, v112
	v_fmac_f32_e32 v113, v112, v115
	s_delay_alu instid0(VALU_DEP_1) | instskip(SKIP_1) | instid1(VALU_DEP_2)
	v_div_scale_f32 v112, null, v113, v113, 1.0
	v_div_scale_f32 v123, vcc_lo, 1.0, v113, 1.0
	v_rcp_f32_e32 v121, v112
	v_nop
	s_delay_alu instid0(TRANS32_DEP_1) | instskip(NEXT) | instid1(VALU_DEP_1)
	v_fma_f32 v122, -v112, v121, 1.0
	v_fmac_f32_e32 v121, v122, v121
	s_delay_alu instid0(VALU_DEP_1) | instskip(NEXT) | instid1(VALU_DEP_1)
	v_mul_f32_e32 v122, v123, v121
	v_fma_f32 v124, -v112, v122, v123
	s_delay_alu instid0(VALU_DEP_1) | instskip(NEXT) | instid1(VALU_DEP_1)
	v_fmac_f32_e32 v122, v124, v121
	v_fma_f32 v112, -v112, v122, v123
	s_delay_alu instid0(VALU_DEP_1) | instskip(NEXT) | instid1(VALU_DEP_1)
	v_div_fmas_f32 v112, v112, v121, v122
	v_div_fixup_f32 v113, v112, v113, 1.0
	s_delay_alu instid0(VALU_DEP_1)
	v_mul_f32_e32 v112, v115, v113
	v_xor_b32_e32 v113, 0x80000000, v113
.LBB104_805:
	s_and_not1_saveexec_b32 s1, s1
	s_cbranch_execz .LBB104_807
; %bb.806:
	s_delay_alu instid0(VALU_DEP_1) | instskip(SKIP_1) | instid1(VALU_DEP_2)
	v_div_scale_f32 v115, null, v112, v112, v113
	v_div_scale_f32 v123, vcc_lo, v113, v112, v113
	v_rcp_f32_e32 v121, v115
	v_nop
	s_delay_alu instid0(TRANS32_DEP_1) | instskip(NEXT) | instid1(VALU_DEP_1)
	v_fma_f32 v122, -v115, v121, 1.0
	v_fmac_f32_e32 v121, v122, v121
	s_delay_alu instid0(VALU_DEP_1) | instskip(NEXT) | instid1(VALU_DEP_1)
	v_mul_f32_e32 v122, v123, v121
	v_fma_f32 v124, -v115, v122, v123
	s_delay_alu instid0(VALU_DEP_1) | instskip(NEXT) | instid1(VALU_DEP_1)
	v_fmac_f32_e32 v122, v124, v121
	v_fma_f32 v115, -v115, v122, v123
	s_delay_alu instid0(VALU_DEP_1) | instskip(NEXT) | instid1(VALU_DEP_1)
	v_div_fmas_f32 v115, v115, v121, v122
	v_div_fixup_f32 v115, v115, v112, v113
	s_delay_alu instid0(VALU_DEP_1) | instskip(NEXT) | instid1(VALU_DEP_1)
	v_fmac_f32_e32 v112, v113, v115
	v_div_scale_f32 v113, null, v112, v112, 1.0
	s_delay_alu instid0(VALU_DEP_1) | instskip(SKIP_1) | instid1(TRANS32_DEP_1)
	v_rcp_f32_e32 v121, v113
	v_nop
	v_fma_f32 v122, -v113, v121, 1.0
	s_delay_alu instid0(VALU_DEP_1) | instskip(SKIP_1) | instid1(VALU_DEP_1)
	v_fmac_f32_e32 v121, v122, v121
	v_div_scale_f32 v122, vcc_lo, 1.0, v112, 1.0
	v_mul_f32_e32 v123, v122, v121
	s_delay_alu instid0(VALU_DEP_1) | instskip(NEXT) | instid1(VALU_DEP_1)
	v_fma_f32 v124, -v113, v123, v122
	v_fmac_f32_e32 v123, v124, v121
	s_delay_alu instid0(VALU_DEP_1) | instskip(NEXT) | instid1(VALU_DEP_1)
	v_fma_f32 v113, -v113, v123, v122
	v_div_fmas_f32 v113, v113, v121, v123
	s_delay_alu instid0(VALU_DEP_1) | instskip(NEXT) | instid1(VALU_DEP_1)
	v_div_fixup_f32 v112, v113, v112, 1.0
	v_mul_f32_e64 v113, v115, -v112
.LBB104_807:
	s_or_b32 exec_lo, exec_lo, s1
.LBB104_808:
	s_delay_alu instid0(SALU_CYCLE_1) | instskip(NEXT) | instid1(SALU_CYCLE_1)
	s_or_b32 exec_lo, exec_lo, s0
	s_mov_b32 s0, exec_lo
	v_cmpx_ne_u32_e64 v120, v114
	s_xor_b32 s0, exec_lo, s0
	s_cbranch_execz .LBB104_814
; %bb.809:
	s_mov_b32 s1, exec_lo
	v_cmpx_eq_u32_e32 38, v120
	s_cbranch_execz .LBB104_813
; %bb.810:
	v_cmp_ne_u32_e32 vcc_lo, 38, v114
	s_xor_b32 s12, s16, -1
	s_delay_alu instid0(SALU_CYCLE_1) | instskip(NEXT) | instid1(SALU_CYCLE_1)
	s_and_b32 s13, s12, vcc_lo
	s_and_saveexec_b32 s12, s13
	s_cbranch_execz .LBB104_812
; %bb.811:
	v_ashrrev_i32_e32 v115, 31, v114
	s_delay_alu instid0(VALU_DEP_1)
	v_lshl_add_u64 v[120:121], v[114:115], 2, v[4:5]
	s_clause 0x1
	global_load_b32 v115, v[120:121], off
	global_load_b32 v119, v[4:5], off offset:152
	s_wait_loadcnt 0x1
	global_store_b32 v[4:5], v115, off offset:152
	s_wait_loadcnt 0x0
	global_store_b32 v[120:121], v119, off
.LBB104_812:
	s_wait_xcnt 0x0
	s_or_b32 exec_lo, exec_lo, s12
	v_dual_mov_b32 v120, v114 :: v_dual_mov_b32 v119, v114
.LBB104_813:
	s_or_b32 exec_lo, exec_lo, s1
.LBB104_814:
	s_and_not1_saveexec_b32 s0, s0
	s_cbranch_execz .LBB104_816
; %bb.815:
	v_mov_b32_e32 v120, 38
	ds_store_2addr_b64 v116, v[30:31], v[26:27] offset0:39 offset1:40
	ds_store_2addr_b64 v116, v[22:23], v[24:25] offset0:41 offset1:42
	;; [unrolled: 1-line block ×7, first 2 shown]
.LBB104_816:
	s_or_b32 exec_lo, exec_lo, s0
	s_delay_alu instid0(SALU_CYCLE_1)
	s_mov_b32 s0, exec_lo
	s_wait_storecnt_dscnt 0x0
	s_barrier_signal -1
	s_barrier_wait -1
	v_cmpx_lt_i32_e32 38, v120
	s_cbranch_execz .LBB104_818
; %bb.817:
	v_pk_mul_f32 v[114:115], v[112:113], v[34:35] op_sel:[1,1] op_sel_hi:[0,1]
	s_delay_alu instid0(VALU_DEP_1)
	v_pk_fma_f32 v[122:123], v[112:113], v[34:35], v[114:115] op_sel_hi:[1,0,1] neg_lo:[0,0,1] neg_hi:[0,0,1]
	v_pk_fma_f32 v[124:125], v[112:113], v[34:35], v[114:115] op_sel_hi:[1,0,1]
	ds_load_2addr_b64 v[112:115], v116 offset0:39 offset1:40
	v_dual_mov_b32 v34, v122 :: v_dual_mov_b32 v35, v125
	s_wait_dscnt 0x0
	v_pk_mul_f32 v[126:127], v[112:113], v[124:125] op_sel:[0,1]
	s_delay_alu instid0(VALU_DEP_1) | instskip(SKIP_1) | instid1(VALU_DEP_1)
	v_pk_fma_f32 v[128:129], v[112:113], v[122:123], v[126:127] op_sel:[0,0,1] op_sel_hi:[1,1,0] neg_lo:[0,0,1] neg_hi:[0,0,1]
	v_pk_fma_f32 v[112:113], v[112:113], v[122:123], v[126:127] op_sel:[0,0,1] op_sel_hi:[1,0,0]
	v_mov_b32_e32 v129, v113
	v_pk_mul_f32 v[112:113], v[114:115], v[124:125] op_sel:[0,1]
	s_delay_alu instid0(VALU_DEP_1) | instskip(SKIP_1) | instid1(VALU_DEP_1)
	v_pk_fma_f32 v[126:127], v[114:115], v[122:123], v[112:113] op_sel:[0,0,1] op_sel_hi:[1,1,0] neg_lo:[0,0,1] neg_hi:[0,0,1]
	v_pk_fma_f32 v[112:113], v[114:115], v[122:123], v[112:113] op_sel:[0,0,1] op_sel_hi:[1,0,0]
	v_mov_b32_e32 v127, v113
	ds_load_2addr_b64 v[112:115], v116 offset0:41 offset1:42
	v_pk_add_f32 v[30:31], v[30:31], v[128:129] neg_lo:[0,1] neg_hi:[0,1]
	v_pk_add_f32 v[26:27], v[26:27], v[126:127] neg_lo:[0,1] neg_hi:[0,1]
	s_wait_dscnt 0x0
	v_pk_mul_f32 v[126:127], v[112:113], v[124:125] op_sel:[0,1]
	s_delay_alu instid0(VALU_DEP_1) | instskip(SKIP_2) | instid1(VALU_DEP_2)
	v_pk_fma_f32 v[128:129], v[112:113], v[122:123], v[126:127] op_sel:[0,0,1] op_sel_hi:[1,1,0] neg_lo:[0,0,1] neg_hi:[0,0,1]
	v_pk_fma_f32 v[112:113], v[112:113], v[122:123], v[126:127] op_sel:[0,0,1] op_sel_hi:[1,0,0]
	v_dual_mul_f32 v126, v115, v125 :: v_dual_mov_b32 v112, v115
	v_dual_mov_b32 v129, v113 :: v_dual_mov_b32 v113, v114
	s_delay_alu instid0(VALU_DEP_2) | instskip(SKIP_1) | instid1(VALU_DEP_3)
	v_pk_fma_f32 v[126:127], v[114:115], v[34:35], v[126:127] op_sel_hi:[1,1,0] neg_lo:[0,0,1] neg_hi:[0,0,1]
	v_mul_f32_e32 v114, v115, v122
	v_pk_add_f32 v[22:23], v[22:23], v[128:129] neg_lo:[0,1] neg_hi:[0,1]
	s_delay_alu instid0(VALU_DEP_2) | instskip(NEXT) | instid1(VALU_DEP_1)
	v_pk_fma_f32 v[112:113], v[112:113], v[34:35], v[114:115] op_sel_hi:[1,1,0]
	v_mov_b32_e32 v127, v113
	ds_load_2addr_b64 v[112:115], v116 offset0:43 offset1:44
	v_pk_add_f32 v[24:25], v[24:25], v[126:127] neg_lo:[0,1] neg_hi:[0,1]
	s_wait_dscnt 0x0
	v_pk_mul_f32 v[126:127], v[112:113], v[124:125] op_sel:[0,1]
	s_delay_alu instid0(VALU_DEP_1) | instskip(SKIP_1) | instid1(VALU_DEP_1)
	v_pk_fma_f32 v[128:129], v[112:113], v[122:123], v[126:127] op_sel:[0,0,1] op_sel_hi:[1,1,0] neg_lo:[0,0,1] neg_hi:[0,0,1]
	v_pk_fma_f32 v[112:113], v[112:113], v[122:123], v[126:127] op_sel:[0,0,1] op_sel_hi:[1,0,0]
	v_mov_b32_e32 v129, v113
	v_pk_mul_f32 v[112:113], v[114:115], v[124:125] op_sel:[0,1]
	s_delay_alu instid0(VALU_DEP_1) | instskip(SKIP_1) | instid1(VALU_DEP_1)
	v_pk_fma_f32 v[126:127], v[114:115], v[122:123], v[112:113] op_sel:[0,0,1] op_sel_hi:[1,1,0] neg_lo:[0,0,1] neg_hi:[0,0,1]
	v_pk_fma_f32 v[112:113], v[114:115], v[122:123], v[112:113] op_sel:[0,0,1] op_sel_hi:[1,0,0]
	v_mov_b32_e32 v127, v113
	ds_load_2addr_b64 v[112:115], v116 offset0:45 offset1:46
	v_pk_add_f32 v[20:21], v[20:21], v[128:129] neg_lo:[0,1] neg_hi:[0,1]
	v_pk_add_f32 v[14:15], v[14:15], v[126:127] neg_lo:[0,1] neg_hi:[0,1]
	s_wait_dscnt 0x0
	v_pk_mul_f32 v[126:127], v[112:113], v[124:125] op_sel:[0,1]
	s_delay_alu instid0(VALU_DEP_1) | instskip(SKIP_1) | instid1(VALU_DEP_1)
	v_pk_fma_f32 v[128:129], v[112:113], v[122:123], v[126:127] op_sel:[0,0,1] op_sel_hi:[1,1,0] neg_lo:[0,0,1] neg_hi:[0,0,1]
	v_pk_fma_f32 v[112:113], v[112:113], v[122:123], v[126:127] op_sel:[0,0,1] op_sel_hi:[1,0,0]
	v_mov_b32_e32 v129, v113
	v_pk_mul_f32 v[112:113], v[114:115], v[124:125] op_sel:[0,1]
	s_delay_alu instid0(VALU_DEP_1) | instskip(SKIP_1) | instid1(VALU_DEP_1)
	v_pk_fma_f32 v[126:127], v[114:115], v[122:123], v[112:113] op_sel:[0,0,1] op_sel_hi:[1,1,0] neg_lo:[0,0,1] neg_hi:[0,0,1]
	v_pk_fma_f32 v[112:113], v[114:115], v[122:123], v[112:113] op_sel:[0,0,1] op_sel_hi:[1,0,0]
	v_mov_b32_e32 v127, v113
	ds_load_2addr_b64 v[112:115], v116 offset0:47 offset1:48
	v_pk_add_f32 v[10:11], v[10:11], v[128:129] neg_lo:[0,1] neg_hi:[0,1]
	v_pk_add_f32 v[12:13], v[12:13], v[126:127] neg_lo:[0,1] neg_hi:[0,1]
	s_wait_dscnt 0x0
	v_dual_mul_f32 v126, v113, v125 :: v_dual_mul_f32 v128, v113, v122
	s_delay_alu instid0(VALU_DEP_1) | instskip(NEXT) | instid1(VALU_DEP_2)
	v_pk_fma_f32 v[126:127], v[112:113], v[34:35], v[126:127] op_sel_hi:[1,1,0] neg_lo:[0,0,1] neg_hi:[0,0,1]
	v_pk_fma_f32 v[112:113], v[112:113], v[34:35], v[128:129] op_sel:[1,0,0] op_sel_hi:[0,1,0]
	s_delay_alu instid0(VALU_DEP_1) | instskip(SKIP_1) | instid1(VALU_DEP_2)
	v_mov_b32_e32 v127, v113
	v_pk_mul_f32 v[112:113], v[114:115], v[124:125] op_sel:[0,1]
	v_pk_add_f32 v[8:9], v[8:9], v[126:127] neg_lo:[0,1] neg_hi:[0,1]
	s_delay_alu instid0(VALU_DEP_2) | instskip(SKIP_1) | instid1(VALU_DEP_1)
	v_pk_fma_f32 v[126:127], v[114:115], v[122:123], v[112:113] op_sel:[0,0,1] op_sel_hi:[1,1,0] neg_lo:[0,0,1] neg_hi:[0,0,1]
	v_pk_fma_f32 v[112:113], v[114:115], v[122:123], v[112:113] op_sel:[0,0,1] op_sel_hi:[1,0,0]
	v_mov_b32_e32 v127, v113
	ds_load_2addr_b64 v[112:115], v116 offset0:49 offset1:50
	v_pk_add_f32 v[6:7], v[6:7], v[126:127] neg_lo:[0,1] neg_hi:[0,1]
	s_wait_dscnt 0x0
	v_pk_mul_f32 v[126:127], v[112:113], v[124:125] op_sel:[0,1]
	s_delay_alu instid0(VALU_DEP_1) | instskip(SKIP_1) | instid1(VALU_DEP_1)
	v_pk_fma_f32 v[128:129], v[112:113], v[122:123], v[126:127] op_sel:[0,0,1] op_sel_hi:[1,1,0] neg_lo:[0,0,1] neg_hi:[0,0,1]
	v_pk_fma_f32 v[112:113], v[112:113], v[122:123], v[126:127] op_sel:[0,0,1] op_sel_hi:[1,0,0]
	v_mov_b32_e32 v129, v113
	v_pk_mul_f32 v[112:113], v[114:115], v[124:125] op_sel:[0,1]
	s_delay_alu instid0(VALU_DEP_2) | instskip(NEXT) | instid1(VALU_DEP_2)
	v_pk_add_f32 v[28:29], v[28:29], v[128:129] neg_lo:[0,1] neg_hi:[0,1]
	v_pk_fma_f32 v[126:127], v[114:115], v[122:123], v[112:113] op_sel:[0,0,1] op_sel_hi:[1,1,0] neg_lo:[0,0,1] neg_hi:[0,0,1]
	v_pk_fma_f32 v[112:113], v[114:115], v[122:123], v[112:113] op_sel:[0,0,1] op_sel_hi:[1,0,0]
	s_delay_alu instid0(VALU_DEP_1) | instskip(SKIP_4) | instid1(VALU_DEP_1)
	v_mov_b32_e32 v127, v113
	ds_load_2addr_b64 v[112:115], v116 offset0:51 offset1:52
	v_pk_add_f32 v[18:19], v[18:19], v[126:127] neg_lo:[0,1] neg_hi:[0,1]
	s_wait_dscnt 0x0
	v_pk_mul_f32 v[126:127], v[112:113], v[124:125] op_sel:[0,1]
	v_pk_fma_f32 v[128:129], v[112:113], v[122:123], v[126:127] op_sel:[0,0,1] op_sel_hi:[1,1,0] neg_lo:[0,0,1] neg_hi:[0,0,1]
	v_pk_fma_f32 v[112:113], v[112:113], v[122:123], v[126:127] op_sel:[0,0,1] op_sel_hi:[1,0,0]
	s_delay_alu instid0(VALU_DEP_1) | instskip(SKIP_1) | instid1(VALU_DEP_2)
	v_mov_b32_e32 v129, v113
	v_pk_mul_f32 v[112:113], v[114:115], v[124:125] op_sel:[0,1]
	v_pk_add_f32 v[16:17], v[16:17], v[128:129] neg_lo:[0,1] neg_hi:[0,1]
	s_delay_alu instid0(VALU_DEP_2) | instskip(SKIP_1) | instid1(VALU_DEP_1)
	v_pk_fma_f32 v[124:125], v[114:115], v[122:123], v[112:113] op_sel:[0,0,1] op_sel_hi:[1,1,0] neg_lo:[0,0,1] neg_hi:[0,0,1]
	v_pk_fma_f32 v[112:113], v[114:115], v[122:123], v[112:113] op_sel:[0,0,1] op_sel_hi:[1,0,0]
	v_mov_b32_e32 v125, v113
	s_delay_alu instid0(VALU_DEP_1)
	v_pk_add_f32 v[110:111], v[110:111], v[124:125] neg_lo:[0,1] neg_hi:[0,1]
.LBB104_818:
	s_or_b32 exec_lo, exec_lo, s0
	v_lshl_add_u32 v112, v120, 3, v116
	s_barrier_signal -1
	s_barrier_wait -1
	ds_store_b64 v112, v[30:31]
	s_wait_dscnt 0x0
	s_barrier_signal -1
	s_barrier_wait -1
	ds_load_b64 v[112:113], v116 offset:312
	v_mov_b32_e32 v114, 39
	s_cmp_lt_i32 s18, 41
	s_cbranch_scc1 .LBB104_821
; %bb.819:
	v_add3_u32 v115, v117, 0, 0x140
	v_mov_b32_e32 v114, 39
	s_mov_b32 s0, 40
.LBB104_820:                            ; =>This Inner Loop Header: Depth=1
	ds_load_b64 v[122:123], v115
	s_wait_dscnt 0x1
	v_cmp_gt_f32_e32 vcc_lo, 0, v112
	v_cndmask_b32_e64 v124, v112, -v112, vcc_lo
	v_cmp_gt_f32_e32 vcc_lo, 0, v113
	v_cndmask_b32_e64 v126, v113, -v113, vcc_lo
	s_wait_dscnt 0x0
	v_cmp_gt_f32_e32 vcc_lo, 0, v122
	v_cndmask_b32_e64 v125, v122, -v122, vcc_lo
	v_cmp_gt_f32_e32 vcc_lo, 0, v123
	v_cndmask_b32_e64 v127, v123, -v123, vcc_lo
	s_delay_alu instid0(VALU_DEP_1) | instskip(NEXT) | instid1(VALU_DEP_1)
	v_pk_add_f32 v[124:125], v[124:125], v[126:127]
	v_cmp_lt_f32_e32 vcc_lo, v124, v125
	v_dual_cndmask_b32 v112, v112, v122 :: v_dual_add_nc_u32 v115, 8, v115
	v_cndmask_b32_e32 v113, v113, v123, vcc_lo
	v_cndmask_b32_e64 v114, v114, s0, vcc_lo
	s_add_co_i32 s0, s0, 1
	s_delay_alu instid0(SALU_CYCLE_1)
	s_cmp_lg_u32 s18, s0
	s_cbranch_scc1 .LBB104_820
.LBB104_821:
	s_wait_dscnt 0x0
	v_cmp_eq_f32_e32 vcc_lo, 0, v112
	v_cmp_eq_f32_e64 s0, 0, v113
	s_and_b32 s0, vcc_lo, s0
	s_delay_alu instid0(SALU_CYCLE_1) | instskip(NEXT) | instid1(SALU_CYCLE_1)
	s_and_saveexec_b32 s1, s0
	s_xor_b32 s0, exec_lo, s1
; %bb.822:
	v_cmp_ne_u32_e32 vcc_lo, 0, v118
	v_cndmask_b32_e32 v118, 40, v118, vcc_lo
; %bb.823:
	s_and_not1_saveexec_b32 s0, s0
	s_cbranch_execz .LBB104_829
; %bb.824:
	v_cmp_ngt_f32_e64 s1, |v112|, |v113|
	s_and_saveexec_b32 s12, s1
	s_delay_alu instid0(SALU_CYCLE_1)
	s_xor_b32 s1, exec_lo, s12
	s_cbranch_execz .LBB104_826
; %bb.825:
	v_div_scale_f32 v115, null, v113, v113, v112
	v_div_scale_f32 v123, vcc_lo, v112, v113, v112
	s_delay_alu instid0(VALU_DEP_2) | instskip(SKIP_1) | instid1(TRANS32_DEP_1)
	v_rcp_f32_e32 v121, v115
	v_nop
	v_fma_f32 v122, -v115, v121, 1.0
	s_delay_alu instid0(VALU_DEP_1) | instskip(NEXT) | instid1(VALU_DEP_1)
	v_fmac_f32_e32 v121, v122, v121
	v_mul_f32_e32 v122, v123, v121
	s_delay_alu instid0(VALU_DEP_1) | instskip(NEXT) | instid1(VALU_DEP_1)
	v_fma_f32 v124, -v115, v122, v123
	v_fmac_f32_e32 v122, v124, v121
	s_delay_alu instid0(VALU_DEP_1) | instskip(NEXT) | instid1(VALU_DEP_1)
	v_fma_f32 v115, -v115, v122, v123
	v_div_fmas_f32 v115, v115, v121, v122
	s_delay_alu instid0(VALU_DEP_1) | instskip(NEXT) | instid1(VALU_DEP_1)
	v_div_fixup_f32 v115, v115, v113, v112
	v_fmac_f32_e32 v113, v112, v115
	s_delay_alu instid0(VALU_DEP_1) | instskip(SKIP_1) | instid1(VALU_DEP_2)
	v_div_scale_f32 v112, null, v113, v113, 1.0
	v_div_scale_f32 v123, vcc_lo, 1.0, v113, 1.0
	v_rcp_f32_e32 v121, v112
	v_nop
	s_delay_alu instid0(TRANS32_DEP_1) | instskip(NEXT) | instid1(VALU_DEP_1)
	v_fma_f32 v122, -v112, v121, 1.0
	v_fmac_f32_e32 v121, v122, v121
	s_delay_alu instid0(VALU_DEP_1) | instskip(NEXT) | instid1(VALU_DEP_1)
	v_mul_f32_e32 v122, v123, v121
	v_fma_f32 v124, -v112, v122, v123
	s_delay_alu instid0(VALU_DEP_1) | instskip(NEXT) | instid1(VALU_DEP_1)
	v_fmac_f32_e32 v122, v124, v121
	v_fma_f32 v112, -v112, v122, v123
	s_delay_alu instid0(VALU_DEP_1) | instskip(NEXT) | instid1(VALU_DEP_1)
	v_div_fmas_f32 v112, v112, v121, v122
	v_div_fixup_f32 v113, v112, v113, 1.0
	s_delay_alu instid0(VALU_DEP_1)
	v_mul_f32_e32 v112, v115, v113
	v_xor_b32_e32 v113, 0x80000000, v113
.LBB104_826:
	s_and_not1_saveexec_b32 s1, s1
	s_cbranch_execz .LBB104_828
; %bb.827:
	s_delay_alu instid0(VALU_DEP_1) | instskip(SKIP_1) | instid1(VALU_DEP_2)
	v_div_scale_f32 v115, null, v112, v112, v113
	v_div_scale_f32 v123, vcc_lo, v113, v112, v113
	v_rcp_f32_e32 v121, v115
	v_nop
	s_delay_alu instid0(TRANS32_DEP_1) | instskip(NEXT) | instid1(VALU_DEP_1)
	v_fma_f32 v122, -v115, v121, 1.0
	v_fmac_f32_e32 v121, v122, v121
	s_delay_alu instid0(VALU_DEP_1) | instskip(NEXT) | instid1(VALU_DEP_1)
	v_mul_f32_e32 v122, v123, v121
	v_fma_f32 v124, -v115, v122, v123
	s_delay_alu instid0(VALU_DEP_1) | instskip(NEXT) | instid1(VALU_DEP_1)
	v_fmac_f32_e32 v122, v124, v121
	v_fma_f32 v115, -v115, v122, v123
	s_delay_alu instid0(VALU_DEP_1) | instskip(NEXT) | instid1(VALU_DEP_1)
	v_div_fmas_f32 v115, v115, v121, v122
	v_div_fixup_f32 v115, v115, v112, v113
	s_delay_alu instid0(VALU_DEP_1) | instskip(NEXT) | instid1(VALU_DEP_1)
	v_fmac_f32_e32 v112, v113, v115
	v_div_scale_f32 v113, null, v112, v112, 1.0
	s_delay_alu instid0(VALU_DEP_1) | instskip(SKIP_1) | instid1(TRANS32_DEP_1)
	v_rcp_f32_e32 v121, v113
	v_nop
	v_fma_f32 v122, -v113, v121, 1.0
	s_delay_alu instid0(VALU_DEP_1) | instskip(SKIP_1) | instid1(VALU_DEP_1)
	v_fmac_f32_e32 v121, v122, v121
	v_div_scale_f32 v122, vcc_lo, 1.0, v112, 1.0
	v_mul_f32_e32 v123, v122, v121
	s_delay_alu instid0(VALU_DEP_1) | instskip(NEXT) | instid1(VALU_DEP_1)
	v_fma_f32 v124, -v113, v123, v122
	v_fmac_f32_e32 v123, v124, v121
	s_delay_alu instid0(VALU_DEP_1) | instskip(NEXT) | instid1(VALU_DEP_1)
	v_fma_f32 v113, -v113, v123, v122
	v_div_fmas_f32 v113, v113, v121, v123
	s_delay_alu instid0(VALU_DEP_1) | instskip(NEXT) | instid1(VALU_DEP_1)
	v_div_fixup_f32 v112, v113, v112, 1.0
	v_mul_f32_e64 v113, v115, -v112
.LBB104_828:
	s_or_b32 exec_lo, exec_lo, s1
.LBB104_829:
	s_delay_alu instid0(SALU_CYCLE_1) | instskip(NEXT) | instid1(SALU_CYCLE_1)
	s_or_b32 exec_lo, exec_lo, s0
	s_mov_b32 s0, exec_lo
	v_cmpx_ne_u32_e64 v120, v114
	s_xor_b32 s0, exec_lo, s0
	s_cbranch_execz .LBB104_835
; %bb.830:
	s_mov_b32 s1, exec_lo
	v_cmpx_eq_u32_e32 39, v120
	s_cbranch_execz .LBB104_834
; %bb.831:
	v_cmp_ne_u32_e32 vcc_lo, 39, v114
	s_xor_b32 s12, s16, -1
	s_delay_alu instid0(SALU_CYCLE_1) | instskip(NEXT) | instid1(SALU_CYCLE_1)
	s_and_b32 s13, s12, vcc_lo
	s_and_saveexec_b32 s12, s13
	s_cbranch_execz .LBB104_833
; %bb.832:
	v_ashrrev_i32_e32 v115, 31, v114
	s_delay_alu instid0(VALU_DEP_1)
	v_lshl_add_u64 v[120:121], v[114:115], 2, v[4:5]
	s_clause 0x1
	global_load_b32 v115, v[120:121], off
	global_load_b32 v119, v[4:5], off offset:156
	s_wait_loadcnt 0x1
	global_store_b32 v[4:5], v115, off offset:156
	s_wait_loadcnt 0x0
	global_store_b32 v[120:121], v119, off
.LBB104_833:
	s_wait_xcnt 0x0
	s_or_b32 exec_lo, exec_lo, s12
	v_dual_mov_b32 v120, v114 :: v_dual_mov_b32 v119, v114
.LBB104_834:
	s_or_b32 exec_lo, exec_lo, s1
.LBB104_835:
	s_and_not1_saveexec_b32 s0, s0
	s_cbranch_execz .LBB104_837
; %bb.836:
	v_dual_mov_b32 v114, v26 :: v_dual_mov_b32 v115, v27
	v_dual_mov_b32 v120, v22 :: v_dual_mov_b32 v121, v23
	;; [unrolled: 1-line block ×4, first 2 shown]
	ds_store_2addr_b64 v116, v[114:115], v[120:121] offset0:40 offset1:41
	ds_store_2addr_b64 v116, v[122:123], v[124:125] offset0:42 offset1:43
	v_dual_mov_b32 v114, v14 :: v_dual_mov_b32 v115, v15
	v_dual_mov_b32 v122, v10 :: v_dual_mov_b32 v123, v11
	;; [unrolled: 1-line block ×8, first 2 shown]
	v_mov_b32_e32 v135, v17
	ds_store_2addr_b64 v116, v[114:115], v[122:123] offset0:44 offset1:45
	ds_store_2addr_b64 v116, v[124:125], v[126:127] offset0:46 offset1:47
	;; [unrolled: 1-line block ×4, first 2 shown]
	ds_store_b64 v116, v[110:111] offset:416
.LBB104_837:
	s_or_b32 exec_lo, exec_lo, s0
	s_delay_alu instid0(SALU_CYCLE_1)
	s_mov_b32 s0, exec_lo
	s_wait_storecnt_dscnt 0x0
	s_barrier_signal -1
	s_barrier_wait -1
	v_cmpx_lt_i32_e32 39, v120
	s_cbranch_execz .LBB104_839
; %bb.838:
	v_pk_mul_f32 v[114:115], v[112:113], v[30:31] op_sel:[1,1] op_sel_hi:[0,1]
	s_delay_alu instid0(VALU_DEP_1)
	v_pk_fma_f32 v[122:123], v[112:113], v[30:31], v[114:115] op_sel_hi:[1,0,1] neg_lo:[0,0,1] neg_hi:[0,0,1]
	v_pk_fma_f32 v[124:125], v[112:113], v[30:31], v[114:115] op_sel_hi:[1,0,1]
	ds_load_2addr_b64 v[112:115], v116 offset0:40 offset1:41
	v_dual_mov_b32 v30, v122 :: v_dual_mov_b32 v31, v125
	s_wait_dscnt 0x0
	v_pk_mul_f32 v[126:127], v[112:113], v[124:125] op_sel:[0,1]
	s_delay_alu instid0(VALU_DEP_1) | instskip(SKIP_1) | instid1(VALU_DEP_1)
	v_pk_fma_f32 v[128:129], v[112:113], v[122:123], v[126:127] op_sel:[0,0,1] op_sel_hi:[1,1,0] neg_lo:[0,0,1] neg_hi:[0,0,1]
	v_pk_fma_f32 v[112:113], v[112:113], v[122:123], v[126:127] op_sel:[0,0,1] op_sel_hi:[1,0,0]
	v_mov_b32_e32 v129, v113
	v_pk_mul_f32 v[112:113], v[114:115], v[124:125] op_sel:[0,1]
	s_delay_alu instid0(VALU_DEP_1) | instskip(SKIP_1) | instid1(VALU_DEP_1)
	v_pk_fma_f32 v[126:127], v[114:115], v[122:123], v[112:113] op_sel:[0,0,1] op_sel_hi:[1,1,0] neg_lo:[0,0,1] neg_hi:[0,0,1]
	v_pk_fma_f32 v[112:113], v[114:115], v[122:123], v[112:113] op_sel:[0,0,1] op_sel_hi:[1,0,0]
	v_mov_b32_e32 v127, v113
	ds_load_2addr_b64 v[112:115], v116 offset0:42 offset1:43
	v_pk_add_f32 v[26:27], v[26:27], v[128:129] neg_lo:[0,1] neg_hi:[0,1]
	v_pk_add_f32 v[22:23], v[22:23], v[126:127] neg_lo:[0,1] neg_hi:[0,1]
	s_wait_dscnt 0x0
	v_pk_mul_f32 v[126:127], v[112:113], v[124:125] op_sel:[0,1]
	s_delay_alu instid0(VALU_DEP_1) | instskip(SKIP_2) | instid1(VALU_DEP_2)
	v_pk_fma_f32 v[128:129], v[112:113], v[122:123], v[126:127] op_sel:[0,0,1] op_sel_hi:[1,1,0] neg_lo:[0,0,1] neg_hi:[0,0,1]
	v_pk_fma_f32 v[112:113], v[112:113], v[122:123], v[126:127] op_sel:[0,0,1] op_sel_hi:[1,0,0]
	v_dual_mul_f32 v126, v115, v125 :: v_dual_mov_b32 v112, v115
	v_dual_mov_b32 v129, v113 :: v_dual_mov_b32 v113, v114
	s_delay_alu instid0(VALU_DEP_2) | instskip(SKIP_1) | instid1(VALU_DEP_3)
	v_pk_fma_f32 v[126:127], v[114:115], v[30:31], v[126:127] op_sel_hi:[1,1,0] neg_lo:[0,0,1] neg_hi:[0,0,1]
	v_mul_f32_e32 v114, v115, v122
	v_pk_add_f32 v[24:25], v[24:25], v[128:129] neg_lo:[0,1] neg_hi:[0,1]
	s_delay_alu instid0(VALU_DEP_2) | instskip(NEXT) | instid1(VALU_DEP_1)
	v_pk_fma_f32 v[112:113], v[112:113], v[30:31], v[114:115] op_sel_hi:[1,1,0]
	v_mov_b32_e32 v127, v113
	ds_load_2addr_b64 v[112:115], v116 offset0:44 offset1:45
	v_pk_add_f32 v[20:21], v[20:21], v[126:127] neg_lo:[0,1] neg_hi:[0,1]
	s_wait_dscnt 0x0
	v_pk_mul_f32 v[126:127], v[112:113], v[124:125] op_sel:[0,1]
	s_delay_alu instid0(VALU_DEP_1) | instskip(SKIP_1) | instid1(VALU_DEP_1)
	v_pk_fma_f32 v[128:129], v[112:113], v[122:123], v[126:127] op_sel:[0,0,1] op_sel_hi:[1,1,0] neg_lo:[0,0,1] neg_hi:[0,0,1]
	v_pk_fma_f32 v[112:113], v[112:113], v[122:123], v[126:127] op_sel:[0,0,1] op_sel_hi:[1,0,0]
	v_mov_b32_e32 v129, v113
	v_pk_mul_f32 v[112:113], v[114:115], v[124:125] op_sel:[0,1]
	s_delay_alu instid0(VALU_DEP_1) | instskip(SKIP_1) | instid1(VALU_DEP_1)
	v_pk_fma_f32 v[126:127], v[114:115], v[122:123], v[112:113] op_sel:[0,0,1] op_sel_hi:[1,1,0] neg_lo:[0,0,1] neg_hi:[0,0,1]
	v_pk_fma_f32 v[112:113], v[114:115], v[122:123], v[112:113] op_sel:[0,0,1] op_sel_hi:[1,0,0]
	v_mov_b32_e32 v127, v113
	ds_load_2addr_b64 v[112:115], v116 offset0:46 offset1:47
	v_pk_add_f32 v[14:15], v[14:15], v[128:129] neg_lo:[0,1] neg_hi:[0,1]
	v_pk_add_f32 v[10:11], v[10:11], v[126:127] neg_lo:[0,1] neg_hi:[0,1]
	s_wait_dscnt 0x0
	v_pk_mul_f32 v[126:127], v[112:113], v[124:125] op_sel:[0,1]
	s_delay_alu instid0(VALU_DEP_1) | instskip(SKIP_1) | instid1(VALU_DEP_1)
	v_pk_fma_f32 v[128:129], v[112:113], v[122:123], v[126:127] op_sel:[0,0,1] op_sel_hi:[1,1,0] neg_lo:[0,0,1] neg_hi:[0,0,1]
	v_pk_fma_f32 v[112:113], v[112:113], v[122:123], v[126:127] op_sel:[0,0,1] op_sel_hi:[1,0,0]
	v_mov_b32_e32 v129, v113
	v_pk_mul_f32 v[112:113], v[114:115], v[124:125] op_sel:[0,1]
	s_delay_alu instid0(VALU_DEP_1) | instskip(SKIP_1) | instid1(VALU_DEP_1)
	v_pk_fma_f32 v[126:127], v[114:115], v[122:123], v[112:113] op_sel:[0,0,1] op_sel_hi:[1,1,0] neg_lo:[0,0,1] neg_hi:[0,0,1]
	v_pk_fma_f32 v[112:113], v[114:115], v[122:123], v[112:113] op_sel:[0,0,1] op_sel_hi:[1,0,0]
	v_mov_b32_e32 v127, v113
	ds_load_2addr_b64 v[112:115], v116 offset0:48 offset1:49
	v_pk_add_f32 v[12:13], v[12:13], v[128:129] neg_lo:[0,1] neg_hi:[0,1]
	v_pk_add_f32 v[8:9], v[8:9], v[126:127] neg_lo:[0,1] neg_hi:[0,1]
	s_wait_dscnt 0x0
	v_dual_mul_f32 v126, v113, v125 :: v_dual_mul_f32 v128, v113, v122
	s_delay_alu instid0(VALU_DEP_1) | instskip(NEXT) | instid1(VALU_DEP_2)
	v_pk_fma_f32 v[126:127], v[112:113], v[30:31], v[126:127] op_sel_hi:[1,1,0] neg_lo:[0,0,1] neg_hi:[0,0,1]
	v_pk_fma_f32 v[112:113], v[112:113], v[30:31], v[128:129] op_sel:[1,0,0] op_sel_hi:[0,1,0]
	s_delay_alu instid0(VALU_DEP_1) | instskip(SKIP_1) | instid1(VALU_DEP_2)
	v_mov_b32_e32 v127, v113
	v_pk_mul_f32 v[112:113], v[114:115], v[124:125] op_sel:[0,1]
	v_pk_add_f32 v[6:7], v[6:7], v[126:127] neg_lo:[0,1] neg_hi:[0,1]
	s_delay_alu instid0(VALU_DEP_2) | instskip(SKIP_1) | instid1(VALU_DEP_1)
	v_pk_fma_f32 v[126:127], v[114:115], v[122:123], v[112:113] op_sel:[0,0,1] op_sel_hi:[1,1,0] neg_lo:[0,0,1] neg_hi:[0,0,1]
	v_pk_fma_f32 v[112:113], v[114:115], v[122:123], v[112:113] op_sel:[0,0,1] op_sel_hi:[1,0,0]
	v_mov_b32_e32 v127, v113
	ds_load_2addr_b64 v[112:115], v116 offset0:50 offset1:51
	v_pk_add_f32 v[28:29], v[28:29], v[126:127] neg_lo:[0,1] neg_hi:[0,1]
	s_wait_dscnt 0x0
	v_pk_mul_f32 v[126:127], v[112:113], v[124:125] op_sel:[0,1]
	s_delay_alu instid0(VALU_DEP_1) | instskip(SKIP_1) | instid1(VALU_DEP_1)
	v_pk_fma_f32 v[128:129], v[112:113], v[122:123], v[126:127] op_sel:[0,0,1] op_sel_hi:[1,1,0] neg_lo:[0,0,1] neg_hi:[0,0,1]
	v_pk_fma_f32 v[112:113], v[112:113], v[122:123], v[126:127] op_sel:[0,0,1] op_sel_hi:[1,0,0]
	v_mov_b32_e32 v129, v113
	v_pk_mul_f32 v[112:113], v[114:115], v[124:125] op_sel:[0,1]
	s_delay_alu instid0(VALU_DEP_2) | instskip(NEXT) | instid1(VALU_DEP_2)
	v_pk_add_f32 v[18:19], v[18:19], v[128:129] neg_lo:[0,1] neg_hi:[0,1]
	v_pk_fma_f32 v[126:127], v[114:115], v[122:123], v[112:113] op_sel:[0,0,1] op_sel_hi:[1,1,0] neg_lo:[0,0,1] neg_hi:[0,0,1]
	v_pk_fma_f32 v[112:113], v[114:115], v[122:123], v[112:113] op_sel:[0,0,1] op_sel_hi:[1,0,0]
	s_delay_alu instid0(VALU_DEP_1) | instskip(SKIP_4) | instid1(VALU_DEP_1)
	v_mov_b32_e32 v127, v113
	ds_load_b64 v[112:113], v116 offset:416
	v_pk_add_f32 v[16:17], v[16:17], v[126:127] neg_lo:[0,1] neg_hi:[0,1]
	s_wait_dscnt 0x0
	v_pk_mul_f32 v[114:115], v[112:113], v[124:125] op_sel:[0,1]
	v_pk_fma_f32 v[124:125], v[112:113], v[122:123], v[114:115] op_sel:[0,0,1] op_sel_hi:[1,1,0] neg_lo:[0,0,1] neg_hi:[0,0,1]
	v_pk_fma_f32 v[112:113], v[112:113], v[122:123], v[114:115] op_sel:[0,0,1] op_sel_hi:[1,0,0]
	s_delay_alu instid0(VALU_DEP_1) | instskip(NEXT) | instid1(VALU_DEP_1)
	v_mov_b32_e32 v125, v113
	v_pk_add_f32 v[110:111], v[110:111], v[124:125] neg_lo:[0,1] neg_hi:[0,1]
.LBB104_839:
	s_or_b32 exec_lo, exec_lo, s0
	v_lshl_add_u32 v112, v120, 3, v116
	s_barrier_signal -1
	s_barrier_wait -1
	ds_store_b64 v112, v[26:27]
	s_wait_dscnt 0x0
	s_barrier_signal -1
	s_barrier_wait -1
	ds_load_b64 v[112:113], v116 offset:320
	v_mov_b32_e32 v114, 40
	s_cmp_lt_i32 s18, 42
	s_cbranch_scc1 .LBB104_842
; %bb.840:
	v_add3_u32 v115, v117, 0, 0x148
	v_mov_b32_e32 v114, 40
	s_mov_b32 s0, 41
.LBB104_841:                            ; =>This Inner Loop Header: Depth=1
	ds_load_b64 v[122:123], v115
	s_wait_dscnt 0x1
	v_cmp_gt_f32_e32 vcc_lo, 0, v112
	v_cndmask_b32_e64 v124, v112, -v112, vcc_lo
	v_cmp_gt_f32_e32 vcc_lo, 0, v113
	v_cndmask_b32_e64 v126, v113, -v113, vcc_lo
	s_wait_dscnt 0x0
	v_cmp_gt_f32_e32 vcc_lo, 0, v122
	v_cndmask_b32_e64 v125, v122, -v122, vcc_lo
	v_cmp_gt_f32_e32 vcc_lo, 0, v123
	v_cndmask_b32_e64 v127, v123, -v123, vcc_lo
	s_delay_alu instid0(VALU_DEP_1) | instskip(NEXT) | instid1(VALU_DEP_1)
	v_pk_add_f32 v[124:125], v[124:125], v[126:127]
	v_cmp_lt_f32_e32 vcc_lo, v124, v125
	v_dual_cndmask_b32 v112, v112, v122 :: v_dual_add_nc_u32 v115, 8, v115
	v_cndmask_b32_e32 v113, v113, v123, vcc_lo
	v_cndmask_b32_e64 v114, v114, s0, vcc_lo
	s_add_co_i32 s0, s0, 1
	s_delay_alu instid0(SALU_CYCLE_1)
	s_cmp_lg_u32 s18, s0
	s_cbranch_scc1 .LBB104_841
.LBB104_842:
	s_wait_dscnt 0x0
	v_cmp_eq_f32_e32 vcc_lo, 0, v112
	v_cmp_eq_f32_e64 s0, 0, v113
	s_and_b32 s0, vcc_lo, s0
	s_delay_alu instid0(SALU_CYCLE_1) | instskip(NEXT) | instid1(SALU_CYCLE_1)
	s_and_saveexec_b32 s1, s0
	s_xor_b32 s0, exec_lo, s1
; %bb.843:
	v_cmp_ne_u32_e32 vcc_lo, 0, v118
	v_cndmask_b32_e32 v118, 41, v118, vcc_lo
; %bb.844:
	s_and_not1_saveexec_b32 s0, s0
	s_cbranch_execz .LBB104_850
; %bb.845:
	v_cmp_ngt_f32_e64 s1, |v112|, |v113|
	s_and_saveexec_b32 s12, s1
	s_delay_alu instid0(SALU_CYCLE_1)
	s_xor_b32 s1, exec_lo, s12
	s_cbranch_execz .LBB104_847
; %bb.846:
	v_div_scale_f32 v115, null, v113, v113, v112
	v_div_scale_f32 v123, vcc_lo, v112, v113, v112
	s_delay_alu instid0(VALU_DEP_2) | instskip(SKIP_1) | instid1(TRANS32_DEP_1)
	v_rcp_f32_e32 v121, v115
	v_nop
	v_fma_f32 v122, -v115, v121, 1.0
	s_delay_alu instid0(VALU_DEP_1) | instskip(NEXT) | instid1(VALU_DEP_1)
	v_fmac_f32_e32 v121, v122, v121
	v_mul_f32_e32 v122, v123, v121
	s_delay_alu instid0(VALU_DEP_1) | instskip(NEXT) | instid1(VALU_DEP_1)
	v_fma_f32 v124, -v115, v122, v123
	v_fmac_f32_e32 v122, v124, v121
	s_delay_alu instid0(VALU_DEP_1) | instskip(NEXT) | instid1(VALU_DEP_1)
	v_fma_f32 v115, -v115, v122, v123
	v_div_fmas_f32 v115, v115, v121, v122
	s_delay_alu instid0(VALU_DEP_1) | instskip(NEXT) | instid1(VALU_DEP_1)
	v_div_fixup_f32 v115, v115, v113, v112
	v_fmac_f32_e32 v113, v112, v115
	s_delay_alu instid0(VALU_DEP_1) | instskip(SKIP_1) | instid1(VALU_DEP_2)
	v_div_scale_f32 v112, null, v113, v113, 1.0
	v_div_scale_f32 v123, vcc_lo, 1.0, v113, 1.0
	v_rcp_f32_e32 v121, v112
	v_nop
	s_delay_alu instid0(TRANS32_DEP_1) | instskip(NEXT) | instid1(VALU_DEP_1)
	v_fma_f32 v122, -v112, v121, 1.0
	v_fmac_f32_e32 v121, v122, v121
	s_delay_alu instid0(VALU_DEP_1) | instskip(NEXT) | instid1(VALU_DEP_1)
	v_mul_f32_e32 v122, v123, v121
	v_fma_f32 v124, -v112, v122, v123
	s_delay_alu instid0(VALU_DEP_1) | instskip(NEXT) | instid1(VALU_DEP_1)
	v_fmac_f32_e32 v122, v124, v121
	v_fma_f32 v112, -v112, v122, v123
	s_delay_alu instid0(VALU_DEP_1) | instskip(NEXT) | instid1(VALU_DEP_1)
	v_div_fmas_f32 v112, v112, v121, v122
	v_div_fixup_f32 v113, v112, v113, 1.0
	s_delay_alu instid0(VALU_DEP_1)
	v_mul_f32_e32 v112, v115, v113
	v_xor_b32_e32 v113, 0x80000000, v113
.LBB104_847:
	s_and_not1_saveexec_b32 s1, s1
	s_cbranch_execz .LBB104_849
; %bb.848:
	s_delay_alu instid0(VALU_DEP_1) | instskip(SKIP_1) | instid1(VALU_DEP_2)
	v_div_scale_f32 v115, null, v112, v112, v113
	v_div_scale_f32 v123, vcc_lo, v113, v112, v113
	v_rcp_f32_e32 v121, v115
	v_nop
	s_delay_alu instid0(TRANS32_DEP_1) | instskip(NEXT) | instid1(VALU_DEP_1)
	v_fma_f32 v122, -v115, v121, 1.0
	v_fmac_f32_e32 v121, v122, v121
	s_delay_alu instid0(VALU_DEP_1) | instskip(NEXT) | instid1(VALU_DEP_1)
	v_mul_f32_e32 v122, v123, v121
	v_fma_f32 v124, -v115, v122, v123
	s_delay_alu instid0(VALU_DEP_1) | instskip(NEXT) | instid1(VALU_DEP_1)
	v_fmac_f32_e32 v122, v124, v121
	v_fma_f32 v115, -v115, v122, v123
	s_delay_alu instid0(VALU_DEP_1) | instskip(NEXT) | instid1(VALU_DEP_1)
	v_div_fmas_f32 v115, v115, v121, v122
	v_div_fixup_f32 v115, v115, v112, v113
	s_delay_alu instid0(VALU_DEP_1) | instskip(NEXT) | instid1(VALU_DEP_1)
	v_fmac_f32_e32 v112, v113, v115
	v_div_scale_f32 v113, null, v112, v112, 1.0
	s_delay_alu instid0(VALU_DEP_1) | instskip(SKIP_1) | instid1(TRANS32_DEP_1)
	v_rcp_f32_e32 v121, v113
	v_nop
	v_fma_f32 v122, -v113, v121, 1.0
	s_delay_alu instid0(VALU_DEP_1) | instskip(SKIP_1) | instid1(VALU_DEP_1)
	v_fmac_f32_e32 v121, v122, v121
	v_div_scale_f32 v122, vcc_lo, 1.0, v112, 1.0
	v_mul_f32_e32 v123, v122, v121
	s_delay_alu instid0(VALU_DEP_1) | instskip(NEXT) | instid1(VALU_DEP_1)
	v_fma_f32 v124, -v113, v123, v122
	v_fmac_f32_e32 v123, v124, v121
	s_delay_alu instid0(VALU_DEP_1) | instskip(NEXT) | instid1(VALU_DEP_1)
	v_fma_f32 v113, -v113, v123, v122
	v_div_fmas_f32 v113, v113, v121, v123
	s_delay_alu instid0(VALU_DEP_1) | instskip(NEXT) | instid1(VALU_DEP_1)
	v_div_fixup_f32 v112, v113, v112, 1.0
	v_mul_f32_e64 v113, v115, -v112
.LBB104_849:
	s_or_b32 exec_lo, exec_lo, s1
.LBB104_850:
	s_delay_alu instid0(SALU_CYCLE_1) | instskip(NEXT) | instid1(SALU_CYCLE_1)
	s_or_b32 exec_lo, exec_lo, s0
	s_mov_b32 s0, exec_lo
	v_cmpx_ne_u32_e64 v120, v114
	s_xor_b32 s0, exec_lo, s0
	s_cbranch_execz .LBB104_856
; %bb.851:
	s_mov_b32 s1, exec_lo
	v_cmpx_eq_u32_e32 40, v120
	s_cbranch_execz .LBB104_855
; %bb.852:
	v_cmp_ne_u32_e32 vcc_lo, 40, v114
	s_xor_b32 s12, s16, -1
	s_delay_alu instid0(SALU_CYCLE_1) | instskip(NEXT) | instid1(SALU_CYCLE_1)
	s_and_b32 s13, s12, vcc_lo
	s_and_saveexec_b32 s12, s13
	s_cbranch_execz .LBB104_854
; %bb.853:
	v_ashrrev_i32_e32 v115, 31, v114
	s_delay_alu instid0(VALU_DEP_1)
	v_lshl_add_u64 v[120:121], v[114:115], 2, v[4:5]
	s_clause 0x1
	global_load_b32 v115, v[120:121], off
	global_load_b32 v119, v[4:5], off offset:160
	s_wait_loadcnt 0x1
	global_store_b32 v[4:5], v115, off offset:160
	s_wait_loadcnt 0x0
	global_store_b32 v[120:121], v119, off
.LBB104_854:
	s_wait_xcnt 0x0
	s_or_b32 exec_lo, exec_lo, s12
	v_dual_mov_b32 v120, v114 :: v_dual_mov_b32 v119, v114
.LBB104_855:
	s_or_b32 exec_lo, exec_lo, s1
.LBB104_856:
	s_and_not1_saveexec_b32 s0, s0
	s_cbranch_execz .LBB104_858
; %bb.857:
	v_mov_b32_e32 v120, 40
	ds_store_2addr_b64 v116, v[22:23], v[24:25] offset0:41 offset1:42
	ds_store_2addr_b64 v116, v[20:21], v[14:15] offset0:43 offset1:44
	;; [unrolled: 1-line block ×6, first 2 shown]
.LBB104_858:
	s_or_b32 exec_lo, exec_lo, s0
	s_delay_alu instid0(SALU_CYCLE_1)
	s_mov_b32 s0, exec_lo
	s_wait_storecnt_dscnt 0x0
	s_barrier_signal -1
	s_barrier_wait -1
	v_cmpx_lt_i32_e32 40, v120
	s_cbranch_execz .LBB104_860
; %bb.859:
	v_pk_mul_f32 v[114:115], v[112:113], v[26:27] op_sel:[1,1] op_sel_hi:[0,1]
	s_delay_alu instid0(VALU_DEP_1)
	v_pk_fma_f32 v[122:123], v[112:113], v[26:27], v[114:115] op_sel_hi:[1,0,1] neg_lo:[0,0,1] neg_hi:[0,0,1]
	v_pk_fma_f32 v[124:125], v[112:113], v[26:27], v[114:115] op_sel_hi:[1,0,1]
	ds_load_2addr_b64 v[112:115], v116 offset0:41 offset1:42
	v_dual_mov_b32 v26, v122 :: v_dual_mov_b32 v27, v125
	s_wait_dscnt 0x0
	v_pk_mul_f32 v[126:127], v[112:113], v[124:125] op_sel:[0,1]
	s_delay_alu instid0(VALU_DEP_1) | instskip(SKIP_1) | instid1(VALU_DEP_1)
	v_pk_fma_f32 v[128:129], v[112:113], v[122:123], v[126:127] op_sel:[0,0,1] op_sel_hi:[1,1,0] neg_lo:[0,0,1] neg_hi:[0,0,1]
	v_pk_fma_f32 v[112:113], v[112:113], v[122:123], v[126:127] op_sel:[0,0,1] op_sel_hi:[1,0,0]
	v_mov_b32_e32 v129, v113
	v_pk_mul_f32 v[112:113], v[114:115], v[124:125] op_sel:[0,1]
	s_delay_alu instid0(VALU_DEP_1) | instskip(SKIP_1) | instid1(VALU_DEP_1)
	v_pk_fma_f32 v[126:127], v[114:115], v[122:123], v[112:113] op_sel:[0,0,1] op_sel_hi:[1,1,0] neg_lo:[0,0,1] neg_hi:[0,0,1]
	v_pk_fma_f32 v[112:113], v[114:115], v[122:123], v[112:113] op_sel:[0,0,1] op_sel_hi:[1,0,0]
	v_mov_b32_e32 v127, v113
	ds_load_2addr_b64 v[112:115], v116 offset0:43 offset1:44
	v_pk_add_f32 v[22:23], v[22:23], v[128:129] neg_lo:[0,1] neg_hi:[0,1]
	v_pk_add_f32 v[24:25], v[24:25], v[126:127] neg_lo:[0,1] neg_hi:[0,1]
	s_wait_dscnt 0x0
	v_pk_mul_f32 v[126:127], v[112:113], v[124:125] op_sel:[0,1]
	s_delay_alu instid0(VALU_DEP_1) | instskip(SKIP_2) | instid1(VALU_DEP_2)
	v_pk_fma_f32 v[128:129], v[112:113], v[122:123], v[126:127] op_sel:[0,0,1] op_sel_hi:[1,1,0] neg_lo:[0,0,1] neg_hi:[0,0,1]
	v_pk_fma_f32 v[112:113], v[112:113], v[122:123], v[126:127] op_sel:[0,0,1] op_sel_hi:[1,0,0]
	v_dual_mul_f32 v126, v115, v125 :: v_dual_mov_b32 v112, v115
	v_dual_mov_b32 v129, v113 :: v_dual_mov_b32 v113, v114
	s_delay_alu instid0(VALU_DEP_2) | instskip(SKIP_1) | instid1(VALU_DEP_3)
	v_pk_fma_f32 v[126:127], v[114:115], v[26:27], v[126:127] op_sel_hi:[1,1,0] neg_lo:[0,0,1] neg_hi:[0,0,1]
	v_mul_f32_e32 v114, v115, v122
	v_pk_add_f32 v[20:21], v[20:21], v[128:129] neg_lo:[0,1] neg_hi:[0,1]
	s_delay_alu instid0(VALU_DEP_2) | instskip(NEXT) | instid1(VALU_DEP_1)
	v_pk_fma_f32 v[112:113], v[112:113], v[26:27], v[114:115] op_sel_hi:[1,1,0]
	v_mov_b32_e32 v127, v113
	ds_load_2addr_b64 v[112:115], v116 offset0:45 offset1:46
	v_pk_add_f32 v[14:15], v[14:15], v[126:127] neg_lo:[0,1] neg_hi:[0,1]
	s_wait_dscnt 0x0
	v_pk_mul_f32 v[126:127], v[112:113], v[124:125] op_sel:[0,1]
	s_delay_alu instid0(VALU_DEP_1) | instskip(SKIP_1) | instid1(VALU_DEP_1)
	v_pk_fma_f32 v[128:129], v[112:113], v[122:123], v[126:127] op_sel:[0,0,1] op_sel_hi:[1,1,0] neg_lo:[0,0,1] neg_hi:[0,0,1]
	v_pk_fma_f32 v[112:113], v[112:113], v[122:123], v[126:127] op_sel:[0,0,1] op_sel_hi:[1,0,0]
	v_mov_b32_e32 v129, v113
	v_pk_mul_f32 v[112:113], v[114:115], v[124:125] op_sel:[0,1]
	s_delay_alu instid0(VALU_DEP_1) | instskip(SKIP_1) | instid1(VALU_DEP_1)
	v_pk_fma_f32 v[126:127], v[114:115], v[122:123], v[112:113] op_sel:[0,0,1] op_sel_hi:[1,1,0] neg_lo:[0,0,1] neg_hi:[0,0,1]
	v_pk_fma_f32 v[112:113], v[114:115], v[122:123], v[112:113] op_sel:[0,0,1] op_sel_hi:[1,0,0]
	v_mov_b32_e32 v127, v113
	ds_load_2addr_b64 v[112:115], v116 offset0:47 offset1:48
	v_pk_add_f32 v[10:11], v[10:11], v[128:129] neg_lo:[0,1] neg_hi:[0,1]
	v_pk_add_f32 v[12:13], v[12:13], v[126:127] neg_lo:[0,1] neg_hi:[0,1]
	s_wait_dscnt 0x0
	v_pk_mul_f32 v[126:127], v[112:113], v[124:125] op_sel:[0,1]
	s_delay_alu instid0(VALU_DEP_1) | instskip(SKIP_1) | instid1(VALU_DEP_1)
	v_pk_fma_f32 v[128:129], v[112:113], v[122:123], v[126:127] op_sel:[0,0,1] op_sel_hi:[1,1,0] neg_lo:[0,0,1] neg_hi:[0,0,1]
	v_pk_fma_f32 v[112:113], v[112:113], v[122:123], v[126:127] op_sel:[0,0,1] op_sel_hi:[1,0,0]
	v_mov_b32_e32 v129, v113
	v_pk_mul_f32 v[112:113], v[114:115], v[124:125] op_sel:[0,1]
	s_delay_alu instid0(VALU_DEP_1) | instskip(SKIP_1) | instid1(VALU_DEP_1)
	v_pk_fma_f32 v[126:127], v[114:115], v[122:123], v[112:113] op_sel:[0,0,1] op_sel_hi:[1,1,0] neg_lo:[0,0,1] neg_hi:[0,0,1]
	v_pk_fma_f32 v[112:113], v[114:115], v[122:123], v[112:113] op_sel:[0,0,1] op_sel_hi:[1,0,0]
	v_mov_b32_e32 v127, v113
	ds_load_2addr_b64 v[112:115], v116 offset0:49 offset1:50
	v_pk_add_f32 v[8:9], v[8:9], v[128:129] neg_lo:[0,1] neg_hi:[0,1]
	v_pk_add_f32 v[6:7], v[6:7], v[126:127] neg_lo:[0,1] neg_hi:[0,1]
	s_wait_dscnt 0x0
	v_dual_mul_f32 v126, v113, v125 :: v_dual_mul_f32 v128, v113, v122
	s_delay_alu instid0(VALU_DEP_1) | instskip(NEXT) | instid1(VALU_DEP_2)
	v_pk_fma_f32 v[126:127], v[112:113], v[26:27], v[126:127] op_sel_hi:[1,1,0] neg_lo:[0,0,1] neg_hi:[0,0,1]
	v_pk_fma_f32 v[112:113], v[112:113], v[26:27], v[128:129] op_sel:[1,0,0] op_sel_hi:[0,1,0]
	s_delay_alu instid0(VALU_DEP_1) | instskip(SKIP_1) | instid1(VALU_DEP_2)
	v_mov_b32_e32 v127, v113
	v_pk_mul_f32 v[112:113], v[114:115], v[124:125] op_sel:[0,1]
	v_pk_add_f32 v[28:29], v[28:29], v[126:127] neg_lo:[0,1] neg_hi:[0,1]
	s_delay_alu instid0(VALU_DEP_2) | instskip(SKIP_1) | instid1(VALU_DEP_1)
	v_pk_fma_f32 v[126:127], v[114:115], v[122:123], v[112:113] op_sel:[0,0,1] op_sel_hi:[1,1,0] neg_lo:[0,0,1] neg_hi:[0,0,1]
	v_pk_fma_f32 v[112:113], v[114:115], v[122:123], v[112:113] op_sel:[0,0,1] op_sel_hi:[1,0,0]
	v_mov_b32_e32 v127, v113
	ds_load_2addr_b64 v[112:115], v116 offset0:51 offset1:52
	v_pk_add_f32 v[18:19], v[18:19], v[126:127] neg_lo:[0,1] neg_hi:[0,1]
	s_wait_dscnt 0x0
	v_pk_mul_f32 v[126:127], v[112:113], v[124:125] op_sel:[0,1]
	v_mul_f32_e32 v124, v115, v125
	s_delay_alu instid0(VALU_DEP_2) | instskip(SKIP_2) | instid1(VALU_DEP_4)
	v_pk_fma_f32 v[128:129], v[112:113], v[122:123], v[126:127] op_sel:[0,0,1] op_sel_hi:[1,1,0] neg_lo:[0,0,1] neg_hi:[0,0,1]
	v_pk_fma_f32 v[112:113], v[112:113], v[122:123], v[126:127] op_sel:[0,0,1] op_sel_hi:[1,0,0]
	v_mov_b32_e32 v112, v115
	v_pk_fma_f32 v[124:125], v[114:115], v[26:27], v[124:125] op_sel_hi:[1,1,0] neg_lo:[0,0,1] neg_hi:[0,0,1]
	s_delay_alu instid0(VALU_DEP_3) | instskip(SKIP_1) | instid1(VALU_DEP_2)
	v_dual_mov_b32 v129, v113 :: v_dual_mov_b32 v113, v114
	v_mul_f32_e32 v114, v115, v122
	v_pk_add_f32 v[16:17], v[16:17], v[128:129] neg_lo:[0,1] neg_hi:[0,1]
	s_delay_alu instid0(VALU_DEP_2) | instskip(NEXT) | instid1(VALU_DEP_1)
	v_pk_fma_f32 v[112:113], v[112:113], v[26:27], v[114:115] op_sel_hi:[1,1,0]
	v_mov_b32_e32 v125, v113
	s_delay_alu instid0(VALU_DEP_1)
	v_pk_add_f32 v[110:111], v[110:111], v[124:125] neg_lo:[0,1] neg_hi:[0,1]
.LBB104_860:
	s_or_b32 exec_lo, exec_lo, s0
	v_lshl_add_u32 v112, v120, 3, v116
	s_barrier_signal -1
	s_barrier_wait -1
	ds_store_b64 v112, v[22:23]
	s_wait_dscnt 0x0
	s_barrier_signal -1
	s_barrier_wait -1
	ds_load_b64 v[112:113], v116 offset:328
	v_mov_b32_e32 v114, 41
	s_cmp_lt_i32 s18, 43
	s_cbranch_scc1 .LBB104_863
; %bb.861:
	v_add3_u32 v115, v117, 0, 0x150
	v_mov_b32_e32 v114, 41
	s_mov_b32 s0, 42
.LBB104_862:                            ; =>This Inner Loop Header: Depth=1
	ds_load_b64 v[122:123], v115
	s_wait_dscnt 0x1
	v_cmp_gt_f32_e32 vcc_lo, 0, v112
	v_cndmask_b32_e64 v124, v112, -v112, vcc_lo
	v_cmp_gt_f32_e32 vcc_lo, 0, v113
	v_cndmask_b32_e64 v126, v113, -v113, vcc_lo
	s_wait_dscnt 0x0
	v_cmp_gt_f32_e32 vcc_lo, 0, v122
	v_cndmask_b32_e64 v125, v122, -v122, vcc_lo
	v_cmp_gt_f32_e32 vcc_lo, 0, v123
	v_cndmask_b32_e64 v127, v123, -v123, vcc_lo
	s_delay_alu instid0(VALU_DEP_1) | instskip(NEXT) | instid1(VALU_DEP_1)
	v_pk_add_f32 v[124:125], v[124:125], v[126:127]
	v_cmp_lt_f32_e32 vcc_lo, v124, v125
	v_dual_cndmask_b32 v112, v112, v122 :: v_dual_add_nc_u32 v115, 8, v115
	v_cndmask_b32_e32 v113, v113, v123, vcc_lo
	v_cndmask_b32_e64 v114, v114, s0, vcc_lo
	s_add_co_i32 s0, s0, 1
	s_delay_alu instid0(SALU_CYCLE_1)
	s_cmp_lg_u32 s18, s0
	s_cbranch_scc1 .LBB104_862
.LBB104_863:
	s_wait_dscnt 0x0
	v_cmp_eq_f32_e32 vcc_lo, 0, v112
	v_cmp_eq_f32_e64 s0, 0, v113
	s_and_b32 s0, vcc_lo, s0
	s_delay_alu instid0(SALU_CYCLE_1) | instskip(NEXT) | instid1(SALU_CYCLE_1)
	s_and_saveexec_b32 s1, s0
	s_xor_b32 s0, exec_lo, s1
; %bb.864:
	v_cmp_ne_u32_e32 vcc_lo, 0, v118
	v_cndmask_b32_e32 v118, 42, v118, vcc_lo
; %bb.865:
	s_and_not1_saveexec_b32 s0, s0
	s_cbranch_execz .LBB104_871
; %bb.866:
	v_cmp_ngt_f32_e64 s1, |v112|, |v113|
	s_and_saveexec_b32 s12, s1
	s_delay_alu instid0(SALU_CYCLE_1)
	s_xor_b32 s1, exec_lo, s12
	s_cbranch_execz .LBB104_868
; %bb.867:
	v_div_scale_f32 v115, null, v113, v113, v112
	v_div_scale_f32 v123, vcc_lo, v112, v113, v112
	s_delay_alu instid0(VALU_DEP_2) | instskip(SKIP_1) | instid1(TRANS32_DEP_1)
	v_rcp_f32_e32 v121, v115
	v_nop
	v_fma_f32 v122, -v115, v121, 1.0
	s_delay_alu instid0(VALU_DEP_1) | instskip(NEXT) | instid1(VALU_DEP_1)
	v_fmac_f32_e32 v121, v122, v121
	v_mul_f32_e32 v122, v123, v121
	s_delay_alu instid0(VALU_DEP_1) | instskip(NEXT) | instid1(VALU_DEP_1)
	v_fma_f32 v124, -v115, v122, v123
	v_fmac_f32_e32 v122, v124, v121
	s_delay_alu instid0(VALU_DEP_1) | instskip(NEXT) | instid1(VALU_DEP_1)
	v_fma_f32 v115, -v115, v122, v123
	v_div_fmas_f32 v115, v115, v121, v122
	s_delay_alu instid0(VALU_DEP_1) | instskip(NEXT) | instid1(VALU_DEP_1)
	v_div_fixup_f32 v115, v115, v113, v112
	v_fmac_f32_e32 v113, v112, v115
	s_delay_alu instid0(VALU_DEP_1) | instskip(SKIP_1) | instid1(VALU_DEP_2)
	v_div_scale_f32 v112, null, v113, v113, 1.0
	v_div_scale_f32 v123, vcc_lo, 1.0, v113, 1.0
	v_rcp_f32_e32 v121, v112
	v_nop
	s_delay_alu instid0(TRANS32_DEP_1) | instskip(NEXT) | instid1(VALU_DEP_1)
	v_fma_f32 v122, -v112, v121, 1.0
	v_fmac_f32_e32 v121, v122, v121
	s_delay_alu instid0(VALU_DEP_1) | instskip(NEXT) | instid1(VALU_DEP_1)
	v_mul_f32_e32 v122, v123, v121
	v_fma_f32 v124, -v112, v122, v123
	s_delay_alu instid0(VALU_DEP_1) | instskip(NEXT) | instid1(VALU_DEP_1)
	v_fmac_f32_e32 v122, v124, v121
	v_fma_f32 v112, -v112, v122, v123
	s_delay_alu instid0(VALU_DEP_1) | instskip(NEXT) | instid1(VALU_DEP_1)
	v_div_fmas_f32 v112, v112, v121, v122
	v_div_fixup_f32 v113, v112, v113, 1.0
	s_delay_alu instid0(VALU_DEP_1)
	v_mul_f32_e32 v112, v115, v113
	v_xor_b32_e32 v113, 0x80000000, v113
.LBB104_868:
	s_and_not1_saveexec_b32 s1, s1
	s_cbranch_execz .LBB104_870
; %bb.869:
	s_delay_alu instid0(VALU_DEP_1) | instskip(SKIP_1) | instid1(VALU_DEP_2)
	v_div_scale_f32 v115, null, v112, v112, v113
	v_div_scale_f32 v123, vcc_lo, v113, v112, v113
	v_rcp_f32_e32 v121, v115
	v_nop
	s_delay_alu instid0(TRANS32_DEP_1) | instskip(NEXT) | instid1(VALU_DEP_1)
	v_fma_f32 v122, -v115, v121, 1.0
	v_fmac_f32_e32 v121, v122, v121
	s_delay_alu instid0(VALU_DEP_1) | instskip(NEXT) | instid1(VALU_DEP_1)
	v_mul_f32_e32 v122, v123, v121
	v_fma_f32 v124, -v115, v122, v123
	s_delay_alu instid0(VALU_DEP_1) | instskip(NEXT) | instid1(VALU_DEP_1)
	v_fmac_f32_e32 v122, v124, v121
	v_fma_f32 v115, -v115, v122, v123
	s_delay_alu instid0(VALU_DEP_1) | instskip(NEXT) | instid1(VALU_DEP_1)
	v_div_fmas_f32 v115, v115, v121, v122
	v_div_fixup_f32 v115, v115, v112, v113
	s_delay_alu instid0(VALU_DEP_1) | instskip(NEXT) | instid1(VALU_DEP_1)
	v_fmac_f32_e32 v112, v113, v115
	v_div_scale_f32 v113, null, v112, v112, 1.0
	s_delay_alu instid0(VALU_DEP_1) | instskip(SKIP_1) | instid1(TRANS32_DEP_1)
	v_rcp_f32_e32 v121, v113
	v_nop
	v_fma_f32 v122, -v113, v121, 1.0
	s_delay_alu instid0(VALU_DEP_1) | instskip(SKIP_1) | instid1(VALU_DEP_1)
	v_fmac_f32_e32 v121, v122, v121
	v_div_scale_f32 v122, vcc_lo, 1.0, v112, 1.0
	v_mul_f32_e32 v123, v122, v121
	s_delay_alu instid0(VALU_DEP_1) | instskip(NEXT) | instid1(VALU_DEP_1)
	v_fma_f32 v124, -v113, v123, v122
	v_fmac_f32_e32 v123, v124, v121
	s_delay_alu instid0(VALU_DEP_1) | instskip(NEXT) | instid1(VALU_DEP_1)
	v_fma_f32 v113, -v113, v123, v122
	v_div_fmas_f32 v113, v113, v121, v123
	s_delay_alu instid0(VALU_DEP_1) | instskip(NEXT) | instid1(VALU_DEP_1)
	v_div_fixup_f32 v112, v113, v112, 1.0
	v_mul_f32_e64 v113, v115, -v112
.LBB104_870:
	s_or_b32 exec_lo, exec_lo, s1
.LBB104_871:
	s_delay_alu instid0(SALU_CYCLE_1) | instskip(NEXT) | instid1(SALU_CYCLE_1)
	s_or_b32 exec_lo, exec_lo, s0
	s_mov_b32 s0, exec_lo
	v_cmpx_ne_u32_e64 v120, v114
	s_xor_b32 s0, exec_lo, s0
	s_cbranch_execz .LBB104_877
; %bb.872:
	s_mov_b32 s1, exec_lo
	v_cmpx_eq_u32_e32 41, v120
	s_cbranch_execz .LBB104_876
; %bb.873:
	v_cmp_ne_u32_e32 vcc_lo, 41, v114
	s_xor_b32 s12, s16, -1
	s_delay_alu instid0(SALU_CYCLE_1) | instskip(NEXT) | instid1(SALU_CYCLE_1)
	s_and_b32 s13, s12, vcc_lo
	s_and_saveexec_b32 s12, s13
	s_cbranch_execz .LBB104_875
; %bb.874:
	v_ashrrev_i32_e32 v115, 31, v114
	s_delay_alu instid0(VALU_DEP_1)
	v_lshl_add_u64 v[120:121], v[114:115], 2, v[4:5]
	s_clause 0x1
	global_load_b32 v115, v[120:121], off
	global_load_b32 v119, v[4:5], off offset:164
	s_wait_loadcnt 0x1
	global_store_b32 v[4:5], v115, off offset:164
	s_wait_loadcnt 0x0
	global_store_b32 v[120:121], v119, off
.LBB104_875:
	s_wait_xcnt 0x0
	s_or_b32 exec_lo, exec_lo, s12
	v_dual_mov_b32 v120, v114 :: v_dual_mov_b32 v119, v114
.LBB104_876:
	s_or_b32 exec_lo, exec_lo, s1
.LBB104_877:
	s_and_not1_saveexec_b32 s0, s0
	s_cbranch_execz .LBB104_879
; %bb.878:
	v_dual_mov_b32 v114, v24 :: v_dual_mov_b32 v115, v25
	v_dual_mov_b32 v120, v20 :: v_dual_mov_b32 v121, v21
	;; [unrolled: 1-line block ×6, first 2 shown]
	ds_store_2addr_b64 v116, v[114:115], v[120:121] offset0:42 offset1:43
	ds_store_2addr_b64 v116, v[122:123], v[124:125] offset0:44 offset1:45
	v_dual_mov_b32 v120, 41 :: v_dual_mov_b32 v130, v6
	v_dual_mov_b32 v131, v7 :: v_dual_mov_b32 v132, v28
	;; [unrolled: 1-line block ×4, first 2 shown]
	v_mov_b32_e32 v137, v17
	ds_store_2addr_b64 v116, v[126:127], v[128:129] offset0:46 offset1:47
	ds_store_2addr_b64 v116, v[130:131], v[132:133] offset0:48 offset1:49
	;; [unrolled: 1-line block ×3, first 2 shown]
	ds_store_b64 v116, v[110:111] offset:416
.LBB104_879:
	s_or_b32 exec_lo, exec_lo, s0
	s_delay_alu instid0(SALU_CYCLE_1)
	s_mov_b32 s0, exec_lo
	s_wait_storecnt_dscnt 0x0
	s_barrier_signal -1
	s_barrier_wait -1
	v_cmpx_lt_i32_e32 41, v120
	s_cbranch_execz .LBB104_881
; %bb.880:
	v_pk_mul_f32 v[114:115], v[112:113], v[22:23] op_sel:[1,1] op_sel_hi:[0,1]
	s_delay_alu instid0(VALU_DEP_1)
	v_pk_fma_f32 v[122:123], v[112:113], v[22:23], v[114:115] op_sel_hi:[1,0,1] neg_lo:[0,0,1] neg_hi:[0,0,1]
	v_pk_fma_f32 v[124:125], v[112:113], v[22:23], v[114:115] op_sel_hi:[1,0,1]
	ds_load_2addr_b64 v[112:115], v116 offset0:42 offset1:43
	v_dual_mov_b32 v22, v122 :: v_dual_mov_b32 v23, v125
	s_wait_dscnt 0x0
	v_pk_mul_f32 v[126:127], v[112:113], v[124:125] op_sel:[0,1]
	s_delay_alu instid0(VALU_DEP_1) | instskip(SKIP_1) | instid1(VALU_DEP_1)
	v_pk_fma_f32 v[128:129], v[112:113], v[122:123], v[126:127] op_sel:[0,0,1] op_sel_hi:[1,1,0] neg_lo:[0,0,1] neg_hi:[0,0,1]
	v_pk_fma_f32 v[112:113], v[112:113], v[122:123], v[126:127] op_sel:[0,0,1] op_sel_hi:[1,0,0]
	v_mov_b32_e32 v129, v113
	v_pk_mul_f32 v[112:113], v[114:115], v[124:125] op_sel:[0,1]
	s_delay_alu instid0(VALU_DEP_1) | instskip(SKIP_1) | instid1(VALU_DEP_1)
	v_pk_fma_f32 v[126:127], v[114:115], v[122:123], v[112:113] op_sel:[0,0,1] op_sel_hi:[1,1,0] neg_lo:[0,0,1] neg_hi:[0,0,1]
	v_pk_fma_f32 v[112:113], v[114:115], v[122:123], v[112:113] op_sel:[0,0,1] op_sel_hi:[1,0,0]
	v_mov_b32_e32 v127, v113
	ds_load_2addr_b64 v[112:115], v116 offset0:44 offset1:45
	v_pk_add_f32 v[24:25], v[24:25], v[128:129] neg_lo:[0,1] neg_hi:[0,1]
	v_pk_add_f32 v[20:21], v[20:21], v[126:127] neg_lo:[0,1] neg_hi:[0,1]
	s_wait_dscnt 0x0
	v_pk_mul_f32 v[126:127], v[112:113], v[124:125] op_sel:[0,1]
	s_delay_alu instid0(VALU_DEP_1) | instskip(SKIP_2) | instid1(VALU_DEP_2)
	v_pk_fma_f32 v[128:129], v[112:113], v[122:123], v[126:127] op_sel:[0,0,1] op_sel_hi:[1,1,0] neg_lo:[0,0,1] neg_hi:[0,0,1]
	v_pk_fma_f32 v[112:113], v[112:113], v[122:123], v[126:127] op_sel:[0,0,1] op_sel_hi:[1,0,0]
	v_dual_mul_f32 v126, v115, v125 :: v_dual_mov_b32 v112, v115
	v_dual_mov_b32 v129, v113 :: v_dual_mov_b32 v113, v114
	s_delay_alu instid0(VALU_DEP_2) | instskip(SKIP_1) | instid1(VALU_DEP_3)
	v_pk_fma_f32 v[126:127], v[114:115], v[22:23], v[126:127] op_sel_hi:[1,1,0] neg_lo:[0,0,1] neg_hi:[0,0,1]
	v_mul_f32_e32 v114, v115, v122
	v_pk_add_f32 v[14:15], v[14:15], v[128:129] neg_lo:[0,1] neg_hi:[0,1]
	s_delay_alu instid0(VALU_DEP_2) | instskip(NEXT) | instid1(VALU_DEP_1)
	v_pk_fma_f32 v[112:113], v[112:113], v[22:23], v[114:115] op_sel_hi:[1,1,0]
	v_mov_b32_e32 v127, v113
	ds_load_2addr_b64 v[112:115], v116 offset0:46 offset1:47
	v_pk_add_f32 v[10:11], v[10:11], v[126:127] neg_lo:[0,1] neg_hi:[0,1]
	s_wait_dscnt 0x0
	v_pk_mul_f32 v[126:127], v[112:113], v[124:125] op_sel:[0,1]
	s_delay_alu instid0(VALU_DEP_1) | instskip(SKIP_1) | instid1(VALU_DEP_1)
	v_pk_fma_f32 v[128:129], v[112:113], v[122:123], v[126:127] op_sel:[0,0,1] op_sel_hi:[1,1,0] neg_lo:[0,0,1] neg_hi:[0,0,1]
	v_pk_fma_f32 v[112:113], v[112:113], v[122:123], v[126:127] op_sel:[0,0,1] op_sel_hi:[1,0,0]
	v_mov_b32_e32 v129, v113
	v_pk_mul_f32 v[112:113], v[114:115], v[124:125] op_sel:[0,1]
	s_delay_alu instid0(VALU_DEP_1) | instskip(SKIP_1) | instid1(VALU_DEP_1)
	v_pk_fma_f32 v[126:127], v[114:115], v[122:123], v[112:113] op_sel:[0,0,1] op_sel_hi:[1,1,0] neg_lo:[0,0,1] neg_hi:[0,0,1]
	v_pk_fma_f32 v[112:113], v[114:115], v[122:123], v[112:113] op_sel:[0,0,1] op_sel_hi:[1,0,0]
	v_mov_b32_e32 v127, v113
	ds_load_2addr_b64 v[112:115], v116 offset0:48 offset1:49
	v_pk_add_f32 v[12:13], v[12:13], v[128:129] neg_lo:[0,1] neg_hi:[0,1]
	v_pk_add_f32 v[8:9], v[8:9], v[126:127] neg_lo:[0,1] neg_hi:[0,1]
	s_wait_dscnt 0x0
	v_pk_mul_f32 v[126:127], v[112:113], v[124:125] op_sel:[0,1]
	s_delay_alu instid0(VALU_DEP_1) | instskip(SKIP_1) | instid1(VALU_DEP_1)
	v_pk_fma_f32 v[128:129], v[112:113], v[122:123], v[126:127] op_sel:[0,0,1] op_sel_hi:[1,1,0] neg_lo:[0,0,1] neg_hi:[0,0,1]
	v_pk_fma_f32 v[112:113], v[112:113], v[122:123], v[126:127] op_sel:[0,0,1] op_sel_hi:[1,0,0]
	v_mov_b32_e32 v129, v113
	v_pk_mul_f32 v[112:113], v[114:115], v[124:125] op_sel:[0,1]
	s_delay_alu instid0(VALU_DEP_1) | instskip(SKIP_1) | instid1(VALU_DEP_1)
	v_pk_fma_f32 v[126:127], v[114:115], v[122:123], v[112:113] op_sel:[0,0,1] op_sel_hi:[1,1,0] neg_lo:[0,0,1] neg_hi:[0,0,1]
	v_pk_fma_f32 v[112:113], v[114:115], v[122:123], v[112:113] op_sel:[0,0,1] op_sel_hi:[1,0,0]
	v_mov_b32_e32 v127, v113
	ds_load_2addr_b64 v[112:115], v116 offset0:50 offset1:51
	v_pk_add_f32 v[6:7], v[6:7], v[128:129] neg_lo:[0,1] neg_hi:[0,1]
	v_pk_add_f32 v[28:29], v[28:29], v[126:127] neg_lo:[0,1] neg_hi:[0,1]
	s_wait_dscnt 0x0
	v_dual_mul_f32 v126, v113, v125 :: v_dual_mul_f32 v128, v113, v122
	s_delay_alu instid0(VALU_DEP_1) | instskip(NEXT) | instid1(VALU_DEP_2)
	v_pk_fma_f32 v[126:127], v[112:113], v[22:23], v[126:127] op_sel_hi:[1,1,0] neg_lo:[0,0,1] neg_hi:[0,0,1]
	v_pk_fma_f32 v[112:113], v[112:113], v[22:23], v[128:129] op_sel:[1,0,0] op_sel_hi:[0,1,0]
	s_delay_alu instid0(VALU_DEP_1) | instskip(SKIP_1) | instid1(VALU_DEP_2)
	v_mov_b32_e32 v127, v113
	v_pk_mul_f32 v[112:113], v[114:115], v[124:125] op_sel:[0,1]
	v_pk_add_f32 v[18:19], v[18:19], v[126:127] neg_lo:[0,1] neg_hi:[0,1]
	s_delay_alu instid0(VALU_DEP_2) | instskip(SKIP_1) | instid1(VALU_DEP_1)
	v_pk_fma_f32 v[126:127], v[114:115], v[122:123], v[112:113] op_sel:[0,0,1] op_sel_hi:[1,1,0] neg_lo:[0,0,1] neg_hi:[0,0,1]
	v_pk_fma_f32 v[112:113], v[114:115], v[122:123], v[112:113] op_sel:[0,0,1] op_sel_hi:[1,0,0]
	v_mov_b32_e32 v127, v113
	ds_load_b64 v[112:113], v116 offset:416
	v_pk_add_f32 v[16:17], v[16:17], v[126:127] neg_lo:[0,1] neg_hi:[0,1]
	s_wait_dscnt 0x0
	v_pk_mul_f32 v[114:115], v[112:113], v[124:125] op_sel:[0,1]
	s_delay_alu instid0(VALU_DEP_1) | instskip(SKIP_1) | instid1(VALU_DEP_1)
	v_pk_fma_f32 v[124:125], v[112:113], v[122:123], v[114:115] op_sel:[0,0,1] op_sel_hi:[1,1,0] neg_lo:[0,0,1] neg_hi:[0,0,1]
	v_pk_fma_f32 v[112:113], v[112:113], v[122:123], v[114:115] op_sel:[0,0,1] op_sel_hi:[1,0,0]
	v_mov_b32_e32 v125, v113
	s_delay_alu instid0(VALU_DEP_1)
	v_pk_add_f32 v[110:111], v[110:111], v[124:125] neg_lo:[0,1] neg_hi:[0,1]
.LBB104_881:
	s_or_b32 exec_lo, exec_lo, s0
	v_lshl_add_u32 v112, v120, 3, v116
	s_barrier_signal -1
	s_barrier_wait -1
	ds_store_b64 v112, v[24:25]
	s_wait_dscnt 0x0
	s_barrier_signal -1
	s_barrier_wait -1
	ds_load_b64 v[112:113], v116 offset:336
	v_mov_b32_e32 v114, 42
	s_cmp_lt_i32 s18, 44
	s_cbranch_scc1 .LBB104_884
; %bb.882:
	v_add3_u32 v115, v117, 0, 0x158
	v_mov_b32_e32 v114, 42
	s_mov_b32 s0, 43
.LBB104_883:                            ; =>This Inner Loop Header: Depth=1
	ds_load_b64 v[122:123], v115
	s_wait_dscnt 0x1
	v_cmp_gt_f32_e32 vcc_lo, 0, v112
	v_cndmask_b32_e64 v124, v112, -v112, vcc_lo
	v_cmp_gt_f32_e32 vcc_lo, 0, v113
	v_cndmask_b32_e64 v126, v113, -v113, vcc_lo
	s_wait_dscnt 0x0
	v_cmp_gt_f32_e32 vcc_lo, 0, v122
	v_cndmask_b32_e64 v125, v122, -v122, vcc_lo
	v_cmp_gt_f32_e32 vcc_lo, 0, v123
	v_cndmask_b32_e64 v127, v123, -v123, vcc_lo
	s_delay_alu instid0(VALU_DEP_1) | instskip(NEXT) | instid1(VALU_DEP_1)
	v_pk_add_f32 v[124:125], v[124:125], v[126:127]
	v_cmp_lt_f32_e32 vcc_lo, v124, v125
	v_dual_cndmask_b32 v112, v112, v122 :: v_dual_add_nc_u32 v115, 8, v115
	v_cndmask_b32_e32 v113, v113, v123, vcc_lo
	v_cndmask_b32_e64 v114, v114, s0, vcc_lo
	s_add_co_i32 s0, s0, 1
	s_delay_alu instid0(SALU_CYCLE_1)
	s_cmp_lg_u32 s18, s0
	s_cbranch_scc1 .LBB104_883
.LBB104_884:
	s_wait_dscnt 0x0
	v_cmp_eq_f32_e32 vcc_lo, 0, v112
	v_cmp_eq_f32_e64 s0, 0, v113
	s_and_b32 s0, vcc_lo, s0
	s_delay_alu instid0(SALU_CYCLE_1) | instskip(NEXT) | instid1(SALU_CYCLE_1)
	s_and_saveexec_b32 s1, s0
	s_xor_b32 s0, exec_lo, s1
; %bb.885:
	v_cmp_ne_u32_e32 vcc_lo, 0, v118
	v_cndmask_b32_e32 v118, 43, v118, vcc_lo
; %bb.886:
	s_and_not1_saveexec_b32 s0, s0
	s_cbranch_execz .LBB104_892
; %bb.887:
	v_cmp_ngt_f32_e64 s1, |v112|, |v113|
	s_and_saveexec_b32 s12, s1
	s_delay_alu instid0(SALU_CYCLE_1)
	s_xor_b32 s1, exec_lo, s12
	s_cbranch_execz .LBB104_889
; %bb.888:
	v_div_scale_f32 v115, null, v113, v113, v112
	v_div_scale_f32 v123, vcc_lo, v112, v113, v112
	s_delay_alu instid0(VALU_DEP_2) | instskip(SKIP_1) | instid1(TRANS32_DEP_1)
	v_rcp_f32_e32 v121, v115
	v_nop
	v_fma_f32 v122, -v115, v121, 1.0
	s_delay_alu instid0(VALU_DEP_1) | instskip(NEXT) | instid1(VALU_DEP_1)
	v_fmac_f32_e32 v121, v122, v121
	v_mul_f32_e32 v122, v123, v121
	s_delay_alu instid0(VALU_DEP_1) | instskip(NEXT) | instid1(VALU_DEP_1)
	v_fma_f32 v124, -v115, v122, v123
	v_fmac_f32_e32 v122, v124, v121
	s_delay_alu instid0(VALU_DEP_1) | instskip(NEXT) | instid1(VALU_DEP_1)
	v_fma_f32 v115, -v115, v122, v123
	v_div_fmas_f32 v115, v115, v121, v122
	s_delay_alu instid0(VALU_DEP_1) | instskip(NEXT) | instid1(VALU_DEP_1)
	v_div_fixup_f32 v115, v115, v113, v112
	v_fmac_f32_e32 v113, v112, v115
	s_delay_alu instid0(VALU_DEP_1) | instskip(SKIP_1) | instid1(VALU_DEP_2)
	v_div_scale_f32 v112, null, v113, v113, 1.0
	v_div_scale_f32 v123, vcc_lo, 1.0, v113, 1.0
	v_rcp_f32_e32 v121, v112
	v_nop
	s_delay_alu instid0(TRANS32_DEP_1) | instskip(NEXT) | instid1(VALU_DEP_1)
	v_fma_f32 v122, -v112, v121, 1.0
	v_fmac_f32_e32 v121, v122, v121
	s_delay_alu instid0(VALU_DEP_1) | instskip(NEXT) | instid1(VALU_DEP_1)
	v_mul_f32_e32 v122, v123, v121
	v_fma_f32 v124, -v112, v122, v123
	s_delay_alu instid0(VALU_DEP_1) | instskip(NEXT) | instid1(VALU_DEP_1)
	v_fmac_f32_e32 v122, v124, v121
	v_fma_f32 v112, -v112, v122, v123
	s_delay_alu instid0(VALU_DEP_1) | instskip(NEXT) | instid1(VALU_DEP_1)
	v_div_fmas_f32 v112, v112, v121, v122
	v_div_fixup_f32 v113, v112, v113, 1.0
	s_delay_alu instid0(VALU_DEP_1)
	v_mul_f32_e32 v112, v115, v113
	v_xor_b32_e32 v113, 0x80000000, v113
.LBB104_889:
	s_and_not1_saveexec_b32 s1, s1
	s_cbranch_execz .LBB104_891
; %bb.890:
	s_delay_alu instid0(VALU_DEP_1) | instskip(SKIP_1) | instid1(VALU_DEP_2)
	v_div_scale_f32 v115, null, v112, v112, v113
	v_div_scale_f32 v123, vcc_lo, v113, v112, v113
	v_rcp_f32_e32 v121, v115
	v_nop
	s_delay_alu instid0(TRANS32_DEP_1) | instskip(NEXT) | instid1(VALU_DEP_1)
	v_fma_f32 v122, -v115, v121, 1.0
	v_fmac_f32_e32 v121, v122, v121
	s_delay_alu instid0(VALU_DEP_1) | instskip(NEXT) | instid1(VALU_DEP_1)
	v_mul_f32_e32 v122, v123, v121
	v_fma_f32 v124, -v115, v122, v123
	s_delay_alu instid0(VALU_DEP_1) | instskip(NEXT) | instid1(VALU_DEP_1)
	v_fmac_f32_e32 v122, v124, v121
	v_fma_f32 v115, -v115, v122, v123
	s_delay_alu instid0(VALU_DEP_1) | instskip(NEXT) | instid1(VALU_DEP_1)
	v_div_fmas_f32 v115, v115, v121, v122
	v_div_fixup_f32 v115, v115, v112, v113
	s_delay_alu instid0(VALU_DEP_1) | instskip(NEXT) | instid1(VALU_DEP_1)
	v_fmac_f32_e32 v112, v113, v115
	v_div_scale_f32 v113, null, v112, v112, 1.0
	s_delay_alu instid0(VALU_DEP_1) | instskip(SKIP_1) | instid1(TRANS32_DEP_1)
	v_rcp_f32_e32 v121, v113
	v_nop
	v_fma_f32 v122, -v113, v121, 1.0
	s_delay_alu instid0(VALU_DEP_1) | instskip(SKIP_1) | instid1(VALU_DEP_1)
	v_fmac_f32_e32 v121, v122, v121
	v_div_scale_f32 v122, vcc_lo, 1.0, v112, 1.0
	v_mul_f32_e32 v123, v122, v121
	s_delay_alu instid0(VALU_DEP_1) | instskip(NEXT) | instid1(VALU_DEP_1)
	v_fma_f32 v124, -v113, v123, v122
	v_fmac_f32_e32 v123, v124, v121
	s_delay_alu instid0(VALU_DEP_1) | instskip(NEXT) | instid1(VALU_DEP_1)
	v_fma_f32 v113, -v113, v123, v122
	v_div_fmas_f32 v113, v113, v121, v123
	s_delay_alu instid0(VALU_DEP_1) | instskip(NEXT) | instid1(VALU_DEP_1)
	v_div_fixup_f32 v112, v113, v112, 1.0
	v_mul_f32_e64 v113, v115, -v112
.LBB104_891:
	s_or_b32 exec_lo, exec_lo, s1
.LBB104_892:
	s_delay_alu instid0(SALU_CYCLE_1) | instskip(NEXT) | instid1(SALU_CYCLE_1)
	s_or_b32 exec_lo, exec_lo, s0
	s_mov_b32 s0, exec_lo
	v_cmpx_ne_u32_e64 v120, v114
	s_xor_b32 s0, exec_lo, s0
	s_cbranch_execz .LBB104_898
; %bb.893:
	s_mov_b32 s1, exec_lo
	v_cmpx_eq_u32_e32 42, v120
	s_cbranch_execz .LBB104_897
; %bb.894:
	v_cmp_ne_u32_e32 vcc_lo, 42, v114
	s_xor_b32 s12, s16, -1
	s_delay_alu instid0(SALU_CYCLE_1) | instskip(NEXT) | instid1(SALU_CYCLE_1)
	s_and_b32 s13, s12, vcc_lo
	s_and_saveexec_b32 s12, s13
	s_cbranch_execz .LBB104_896
; %bb.895:
	v_ashrrev_i32_e32 v115, 31, v114
	s_delay_alu instid0(VALU_DEP_1)
	v_lshl_add_u64 v[120:121], v[114:115], 2, v[4:5]
	s_clause 0x1
	global_load_b32 v115, v[120:121], off
	global_load_b32 v119, v[4:5], off offset:168
	s_wait_loadcnt 0x1
	global_store_b32 v[4:5], v115, off offset:168
	s_wait_loadcnt 0x0
	global_store_b32 v[120:121], v119, off
.LBB104_896:
	s_wait_xcnt 0x0
	s_or_b32 exec_lo, exec_lo, s12
	v_dual_mov_b32 v120, v114 :: v_dual_mov_b32 v119, v114
.LBB104_897:
	s_or_b32 exec_lo, exec_lo, s1
.LBB104_898:
	s_and_not1_saveexec_b32 s0, s0
	s_cbranch_execz .LBB104_900
; %bb.899:
	v_mov_b32_e32 v120, 42
	ds_store_2addr_b64 v116, v[20:21], v[14:15] offset0:43 offset1:44
	ds_store_2addr_b64 v116, v[10:11], v[12:13] offset0:45 offset1:46
	;; [unrolled: 1-line block ×5, first 2 shown]
.LBB104_900:
	s_or_b32 exec_lo, exec_lo, s0
	s_delay_alu instid0(SALU_CYCLE_1)
	s_mov_b32 s0, exec_lo
	s_wait_storecnt_dscnt 0x0
	s_barrier_signal -1
	s_barrier_wait -1
	v_cmpx_lt_i32_e32 42, v120
	s_cbranch_execz .LBB104_902
; %bb.901:
	v_pk_mul_f32 v[114:115], v[112:113], v[24:25] op_sel:[1,1] op_sel_hi:[0,1]
	s_delay_alu instid0(VALU_DEP_1)
	v_pk_fma_f32 v[122:123], v[112:113], v[24:25], v[114:115] op_sel_hi:[1,0,1] neg_lo:[0,0,1] neg_hi:[0,0,1]
	v_pk_fma_f32 v[124:125], v[112:113], v[24:25], v[114:115] op_sel_hi:[1,0,1]
	ds_load_2addr_b64 v[112:115], v116 offset0:43 offset1:44
	v_dual_mov_b32 v24, v122 :: v_dual_mov_b32 v25, v125
	s_wait_dscnt 0x0
	v_pk_mul_f32 v[126:127], v[112:113], v[124:125] op_sel:[0,1]
	s_delay_alu instid0(VALU_DEP_1) | instskip(SKIP_1) | instid1(VALU_DEP_1)
	v_pk_fma_f32 v[128:129], v[112:113], v[122:123], v[126:127] op_sel:[0,0,1] op_sel_hi:[1,1,0] neg_lo:[0,0,1] neg_hi:[0,0,1]
	v_pk_fma_f32 v[112:113], v[112:113], v[122:123], v[126:127] op_sel:[0,0,1] op_sel_hi:[1,0,0]
	v_mov_b32_e32 v129, v113
	v_pk_mul_f32 v[112:113], v[114:115], v[124:125] op_sel:[0,1]
	s_delay_alu instid0(VALU_DEP_1) | instskip(SKIP_1) | instid1(VALU_DEP_1)
	v_pk_fma_f32 v[126:127], v[114:115], v[122:123], v[112:113] op_sel:[0,0,1] op_sel_hi:[1,1,0] neg_lo:[0,0,1] neg_hi:[0,0,1]
	v_pk_fma_f32 v[112:113], v[114:115], v[122:123], v[112:113] op_sel:[0,0,1] op_sel_hi:[1,0,0]
	v_mov_b32_e32 v127, v113
	ds_load_2addr_b64 v[112:115], v116 offset0:45 offset1:46
	v_pk_add_f32 v[20:21], v[20:21], v[128:129] neg_lo:[0,1] neg_hi:[0,1]
	v_pk_add_f32 v[14:15], v[14:15], v[126:127] neg_lo:[0,1] neg_hi:[0,1]
	s_wait_dscnt 0x0
	v_pk_mul_f32 v[126:127], v[112:113], v[124:125] op_sel:[0,1]
	s_delay_alu instid0(VALU_DEP_1) | instskip(SKIP_2) | instid1(VALU_DEP_2)
	v_pk_fma_f32 v[128:129], v[112:113], v[122:123], v[126:127] op_sel:[0,0,1] op_sel_hi:[1,1,0] neg_lo:[0,0,1] neg_hi:[0,0,1]
	v_pk_fma_f32 v[112:113], v[112:113], v[122:123], v[126:127] op_sel:[0,0,1] op_sel_hi:[1,0,0]
	v_dual_mul_f32 v126, v115, v125 :: v_dual_mov_b32 v112, v115
	v_dual_mov_b32 v129, v113 :: v_dual_mov_b32 v113, v114
	s_delay_alu instid0(VALU_DEP_2) | instskip(SKIP_1) | instid1(VALU_DEP_3)
	v_pk_fma_f32 v[126:127], v[114:115], v[24:25], v[126:127] op_sel_hi:[1,1,0] neg_lo:[0,0,1] neg_hi:[0,0,1]
	v_mul_f32_e32 v114, v115, v122
	v_pk_add_f32 v[10:11], v[10:11], v[128:129] neg_lo:[0,1] neg_hi:[0,1]
	s_delay_alu instid0(VALU_DEP_2) | instskip(NEXT) | instid1(VALU_DEP_1)
	v_pk_fma_f32 v[112:113], v[112:113], v[24:25], v[114:115] op_sel_hi:[1,1,0]
	v_mov_b32_e32 v127, v113
	ds_load_2addr_b64 v[112:115], v116 offset0:47 offset1:48
	v_pk_add_f32 v[12:13], v[12:13], v[126:127] neg_lo:[0,1] neg_hi:[0,1]
	s_wait_dscnt 0x0
	v_pk_mul_f32 v[126:127], v[112:113], v[124:125] op_sel:[0,1]
	s_delay_alu instid0(VALU_DEP_1) | instskip(SKIP_1) | instid1(VALU_DEP_1)
	v_pk_fma_f32 v[128:129], v[112:113], v[122:123], v[126:127] op_sel:[0,0,1] op_sel_hi:[1,1,0] neg_lo:[0,0,1] neg_hi:[0,0,1]
	v_pk_fma_f32 v[112:113], v[112:113], v[122:123], v[126:127] op_sel:[0,0,1] op_sel_hi:[1,0,0]
	v_mov_b32_e32 v129, v113
	v_pk_mul_f32 v[112:113], v[114:115], v[124:125] op_sel:[0,1]
	s_delay_alu instid0(VALU_DEP_1) | instskip(SKIP_1) | instid1(VALU_DEP_1)
	v_pk_fma_f32 v[126:127], v[114:115], v[122:123], v[112:113] op_sel:[0,0,1] op_sel_hi:[1,1,0] neg_lo:[0,0,1] neg_hi:[0,0,1]
	v_pk_fma_f32 v[112:113], v[114:115], v[122:123], v[112:113] op_sel:[0,0,1] op_sel_hi:[1,0,0]
	v_mov_b32_e32 v127, v113
	ds_load_2addr_b64 v[112:115], v116 offset0:49 offset1:50
	v_pk_add_f32 v[8:9], v[8:9], v[128:129] neg_lo:[0,1] neg_hi:[0,1]
	v_pk_add_f32 v[6:7], v[6:7], v[126:127] neg_lo:[0,1] neg_hi:[0,1]
	s_wait_dscnt 0x0
	v_pk_mul_f32 v[126:127], v[112:113], v[124:125] op_sel:[0,1]
	s_delay_alu instid0(VALU_DEP_1) | instskip(SKIP_1) | instid1(VALU_DEP_1)
	v_pk_fma_f32 v[128:129], v[112:113], v[122:123], v[126:127] op_sel:[0,0,1] op_sel_hi:[1,1,0] neg_lo:[0,0,1] neg_hi:[0,0,1]
	v_pk_fma_f32 v[112:113], v[112:113], v[122:123], v[126:127] op_sel:[0,0,1] op_sel_hi:[1,0,0]
	v_mov_b32_e32 v129, v113
	v_pk_mul_f32 v[112:113], v[114:115], v[124:125] op_sel:[0,1]
	s_delay_alu instid0(VALU_DEP_1) | instskip(SKIP_1) | instid1(VALU_DEP_1)
	v_pk_fma_f32 v[126:127], v[114:115], v[122:123], v[112:113] op_sel:[0,0,1] op_sel_hi:[1,1,0] neg_lo:[0,0,1] neg_hi:[0,0,1]
	v_pk_fma_f32 v[112:113], v[114:115], v[122:123], v[112:113] op_sel:[0,0,1] op_sel_hi:[1,0,0]
	v_mov_b32_e32 v127, v113
	ds_load_2addr_b64 v[112:115], v116 offset0:51 offset1:52
	v_pk_add_f32 v[28:29], v[28:29], v[128:129] neg_lo:[0,1] neg_hi:[0,1]
	v_pk_add_f32 v[18:19], v[18:19], v[126:127] neg_lo:[0,1] neg_hi:[0,1]
	s_wait_dscnt 0x0
	v_dual_mul_f32 v126, v113, v125 :: v_dual_mul_f32 v128, v113, v122
	s_delay_alu instid0(VALU_DEP_1) | instskip(NEXT) | instid1(VALU_DEP_2)
	v_pk_fma_f32 v[126:127], v[112:113], v[24:25], v[126:127] op_sel_hi:[1,1,0] neg_lo:[0,0,1] neg_hi:[0,0,1]
	v_pk_fma_f32 v[112:113], v[112:113], v[24:25], v[128:129] op_sel:[1,0,0] op_sel_hi:[0,1,0]
	s_delay_alu instid0(VALU_DEP_1) | instskip(SKIP_1) | instid1(VALU_DEP_1)
	v_mov_b32_e32 v127, v113
	v_pk_mul_f32 v[112:113], v[114:115], v[124:125] op_sel:[0,1]
	v_pk_fma_f32 v[124:125], v[114:115], v[122:123], v[112:113] op_sel:[0,0,1] op_sel_hi:[1,1,0] neg_lo:[0,0,1] neg_hi:[0,0,1]
	v_pk_fma_f32 v[112:113], v[114:115], v[122:123], v[112:113] op_sel:[0,0,1] op_sel_hi:[1,0,0]
	s_delay_alu instid0(VALU_DEP_1) | instskip(SKIP_1) | instid1(VALU_DEP_2)
	v_mov_b32_e32 v125, v113
	v_pk_add_f32 v[16:17], v[16:17], v[126:127] neg_lo:[0,1] neg_hi:[0,1]
	v_pk_add_f32 v[110:111], v[110:111], v[124:125] neg_lo:[0,1] neg_hi:[0,1]
.LBB104_902:
	s_or_b32 exec_lo, exec_lo, s0
	v_lshl_add_u32 v112, v120, 3, v116
	s_barrier_signal -1
	s_barrier_wait -1
	ds_store_b64 v112, v[20:21]
	s_wait_dscnt 0x0
	s_barrier_signal -1
	s_barrier_wait -1
	ds_load_b64 v[112:113], v116 offset:344
	v_mov_b32_e32 v114, 43
	s_cmp_lt_i32 s18, 45
	s_cbranch_scc1 .LBB104_905
; %bb.903:
	v_add3_u32 v115, v117, 0, 0x160
	v_mov_b32_e32 v114, 43
	s_mov_b32 s0, 44
.LBB104_904:                            ; =>This Inner Loop Header: Depth=1
	ds_load_b64 v[122:123], v115
	s_wait_dscnt 0x1
	v_cmp_gt_f32_e32 vcc_lo, 0, v112
	v_cndmask_b32_e64 v124, v112, -v112, vcc_lo
	v_cmp_gt_f32_e32 vcc_lo, 0, v113
	v_cndmask_b32_e64 v126, v113, -v113, vcc_lo
	s_wait_dscnt 0x0
	v_cmp_gt_f32_e32 vcc_lo, 0, v122
	v_cndmask_b32_e64 v125, v122, -v122, vcc_lo
	v_cmp_gt_f32_e32 vcc_lo, 0, v123
	v_cndmask_b32_e64 v127, v123, -v123, vcc_lo
	s_delay_alu instid0(VALU_DEP_1) | instskip(NEXT) | instid1(VALU_DEP_1)
	v_pk_add_f32 v[124:125], v[124:125], v[126:127]
	v_cmp_lt_f32_e32 vcc_lo, v124, v125
	v_dual_cndmask_b32 v112, v112, v122 :: v_dual_add_nc_u32 v115, 8, v115
	v_cndmask_b32_e32 v113, v113, v123, vcc_lo
	v_cndmask_b32_e64 v114, v114, s0, vcc_lo
	s_add_co_i32 s0, s0, 1
	s_delay_alu instid0(SALU_CYCLE_1)
	s_cmp_lg_u32 s18, s0
	s_cbranch_scc1 .LBB104_904
.LBB104_905:
	s_wait_dscnt 0x0
	v_cmp_eq_f32_e32 vcc_lo, 0, v112
	v_cmp_eq_f32_e64 s0, 0, v113
	s_and_b32 s0, vcc_lo, s0
	s_delay_alu instid0(SALU_CYCLE_1) | instskip(NEXT) | instid1(SALU_CYCLE_1)
	s_and_saveexec_b32 s1, s0
	s_xor_b32 s0, exec_lo, s1
; %bb.906:
	v_cmp_ne_u32_e32 vcc_lo, 0, v118
	v_cndmask_b32_e32 v118, 44, v118, vcc_lo
; %bb.907:
	s_and_not1_saveexec_b32 s0, s0
	s_cbranch_execz .LBB104_913
; %bb.908:
	v_cmp_ngt_f32_e64 s1, |v112|, |v113|
	s_and_saveexec_b32 s12, s1
	s_delay_alu instid0(SALU_CYCLE_1)
	s_xor_b32 s1, exec_lo, s12
	s_cbranch_execz .LBB104_910
; %bb.909:
	v_div_scale_f32 v115, null, v113, v113, v112
	v_div_scale_f32 v123, vcc_lo, v112, v113, v112
	s_delay_alu instid0(VALU_DEP_2) | instskip(SKIP_1) | instid1(TRANS32_DEP_1)
	v_rcp_f32_e32 v121, v115
	v_nop
	v_fma_f32 v122, -v115, v121, 1.0
	s_delay_alu instid0(VALU_DEP_1) | instskip(NEXT) | instid1(VALU_DEP_1)
	v_fmac_f32_e32 v121, v122, v121
	v_mul_f32_e32 v122, v123, v121
	s_delay_alu instid0(VALU_DEP_1) | instskip(NEXT) | instid1(VALU_DEP_1)
	v_fma_f32 v124, -v115, v122, v123
	v_fmac_f32_e32 v122, v124, v121
	s_delay_alu instid0(VALU_DEP_1) | instskip(NEXT) | instid1(VALU_DEP_1)
	v_fma_f32 v115, -v115, v122, v123
	v_div_fmas_f32 v115, v115, v121, v122
	s_delay_alu instid0(VALU_DEP_1) | instskip(NEXT) | instid1(VALU_DEP_1)
	v_div_fixup_f32 v115, v115, v113, v112
	v_fmac_f32_e32 v113, v112, v115
	s_delay_alu instid0(VALU_DEP_1) | instskip(SKIP_1) | instid1(VALU_DEP_2)
	v_div_scale_f32 v112, null, v113, v113, 1.0
	v_div_scale_f32 v123, vcc_lo, 1.0, v113, 1.0
	v_rcp_f32_e32 v121, v112
	v_nop
	s_delay_alu instid0(TRANS32_DEP_1) | instskip(NEXT) | instid1(VALU_DEP_1)
	v_fma_f32 v122, -v112, v121, 1.0
	v_fmac_f32_e32 v121, v122, v121
	s_delay_alu instid0(VALU_DEP_1) | instskip(NEXT) | instid1(VALU_DEP_1)
	v_mul_f32_e32 v122, v123, v121
	v_fma_f32 v124, -v112, v122, v123
	s_delay_alu instid0(VALU_DEP_1) | instskip(NEXT) | instid1(VALU_DEP_1)
	v_fmac_f32_e32 v122, v124, v121
	v_fma_f32 v112, -v112, v122, v123
	s_delay_alu instid0(VALU_DEP_1) | instskip(NEXT) | instid1(VALU_DEP_1)
	v_div_fmas_f32 v112, v112, v121, v122
	v_div_fixup_f32 v113, v112, v113, 1.0
	s_delay_alu instid0(VALU_DEP_1)
	v_mul_f32_e32 v112, v115, v113
	v_xor_b32_e32 v113, 0x80000000, v113
.LBB104_910:
	s_and_not1_saveexec_b32 s1, s1
	s_cbranch_execz .LBB104_912
; %bb.911:
	s_delay_alu instid0(VALU_DEP_1) | instskip(SKIP_1) | instid1(VALU_DEP_2)
	v_div_scale_f32 v115, null, v112, v112, v113
	v_div_scale_f32 v123, vcc_lo, v113, v112, v113
	v_rcp_f32_e32 v121, v115
	v_nop
	s_delay_alu instid0(TRANS32_DEP_1) | instskip(NEXT) | instid1(VALU_DEP_1)
	v_fma_f32 v122, -v115, v121, 1.0
	v_fmac_f32_e32 v121, v122, v121
	s_delay_alu instid0(VALU_DEP_1) | instskip(NEXT) | instid1(VALU_DEP_1)
	v_mul_f32_e32 v122, v123, v121
	v_fma_f32 v124, -v115, v122, v123
	s_delay_alu instid0(VALU_DEP_1) | instskip(NEXT) | instid1(VALU_DEP_1)
	v_fmac_f32_e32 v122, v124, v121
	v_fma_f32 v115, -v115, v122, v123
	s_delay_alu instid0(VALU_DEP_1) | instskip(NEXT) | instid1(VALU_DEP_1)
	v_div_fmas_f32 v115, v115, v121, v122
	v_div_fixup_f32 v115, v115, v112, v113
	s_delay_alu instid0(VALU_DEP_1) | instskip(NEXT) | instid1(VALU_DEP_1)
	v_fmac_f32_e32 v112, v113, v115
	v_div_scale_f32 v113, null, v112, v112, 1.0
	s_delay_alu instid0(VALU_DEP_1) | instskip(SKIP_1) | instid1(TRANS32_DEP_1)
	v_rcp_f32_e32 v121, v113
	v_nop
	v_fma_f32 v122, -v113, v121, 1.0
	s_delay_alu instid0(VALU_DEP_1) | instskip(SKIP_1) | instid1(VALU_DEP_1)
	v_fmac_f32_e32 v121, v122, v121
	v_div_scale_f32 v122, vcc_lo, 1.0, v112, 1.0
	v_mul_f32_e32 v123, v122, v121
	s_delay_alu instid0(VALU_DEP_1) | instskip(NEXT) | instid1(VALU_DEP_1)
	v_fma_f32 v124, -v113, v123, v122
	v_fmac_f32_e32 v123, v124, v121
	s_delay_alu instid0(VALU_DEP_1) | instskip(NEXT) | instid1(VALU_DEP_1)
	v_fma_f32 v113, -v113, v123, v122
	v_div_fmas_f32 v113, v113, v121, v123
	s_delay_alu instid0(VALU_DEP_1) | instskip(NEXT) | instid1(VALU_DEP_1)
	v_div_fixup_f32 v112, v113, v112, 1.0
	v_mul_f32_e64 v113, v115, -v112
.LBB104_912:
	s_or_b32 exec_lo, exec_lo, s1
.LBB104_913:
	s_delay_alu instid0(SALU_CYCLE_1) | instskip(NEXT) | instid1(SALU_CYCLE_1)
	s_or_b32 exec_lo, exec_lo, s0
	s_mov_b32 s0, exec_lo
	v_cmpx_ne_u32_e64 v120, v114
	s_xor_b32 s0, exec_lo, s0
	s_cbranch_execz .LBB104_919
; %bb.914:
	s_mov_b32 s1, exec_lo
	v_cmpx_eq_u32_e32 43, v120
	s_cbranch_execz .LBB104_918
; %bb.915:
	v_cmp_ne_u32_e32 vcc_lo, 43, v114
	s_xor_b32 s12, s16, -1
	s_delay_alu instid0(SALU_CYCLE_1) | instskip(NEXT) | instid1(SALU_CYCLE_1)
	s_and_b32 s13, s12, vcc_lo
	s_and_saveexec_b32 s12, s13
	s_cbranch_execz .LBB104_917
; %bb.916:
	v_ashrrev_i32_e32 v115, 31, v114
	s_delay_alu instid0(VALU_DEP_1)
	v_lshl_add_u64 v[120:121], v[114:115], 2, v[4:5]
	s_clause 0x1
	global_load_b32 v115, v[120:121], off
	global_load_b32 v119, v[4:5], off offset:172
	s_wait_loadcnt 0x1
	global_store_b32 v[4:5], v115, off offset:172
	s_wait_loadcnt 0x0
	global_store_b32 v[120:121], v119, off
.LBB104_917:
	s_wait_xcnt 0x0
	s_or_b32 exec_lo, exec_lo, s12
	v_dual_mov_b32 v120, v114 :: v_dual_mov_b32 v119, v114
.LBB104_918:
	s_or_b32 exec_lo, exec_lo, s1
.LBB104_919:
	s_and_not1_saveexec_b32 s0, s0
	s_cbranch_execz .LBB104_921
; %bb.920:
	v_dual_mov_b32 v114, v14 :: v_dual_mov_b32 v115, v15
	v_dual_mov_b32 v122, v10 :: v_dual_mov_b32 v123, v11
	;; [unrolled: 1-line block ×8, first 2 shown]
	v_mov_b32_e32 v135, v17
	ds_store_2addr_b64 v116, v[114:115], v[122:123] offset0:44 offset1:45
	ds_store_2addr_b64 v116, v[124:125], v[126:127] offset0:46 offset1:47
	;; [unrolled: 1-line block ×4, first 2 shown]
	ds_store_b64 v116, v[110:111] offset:416
.LBB104_921:
	s_or_b32 exec_lo, exec_lo, s0
	s_delay_alu instid0(SALU_CYCLE_1)
	s_mov_b32 s0, exec_lo
	s_wait_storecnt_dscnt 0x0
	s_barrier_signal -1
	s_barrier_wait -1
	v_cmpx_lt_i32_e32 43, v120
	s_cbranch_execz .LBB104_923
; %bb.922:
	v_pk_mul_f32 v[114:115], v[112:113], v[20:21] op_sel:[1,1] op_sel_hi:[0,1]
	s_delay_alu instid0(VALU_DEP_1)
	v_pk_fma_f32 v[122:123], v[112:113], v[20:21], v[114:115] op_sel_hi:[1,0,1] neg_lo:[0,0,1] neg_hi:[0,0,1]
	v_pk_fma_f32 v[124:125], v[112:113], v[20:21], v[114:115] op_sel_hi:[1,0,1]
	ds_load_2addr_b64 v[112:115], v116 offset0:44 offset1:45
	v_dual_mov_b32 v20, v122 :: v_dual_mov_b32 v21, v125
	s_wait_dscnt 0x0
	v_pk_mul_f32 v[126:127], v[112:113], v[124:125] op_sel:[0,1]
	s_delay_alu instid0(VALU_DEP_1) | instskip(SKIP_1) | instid1(VALU_DEP_1)
	v_pk_fma_f32 v[128:129], v[112:113], v[122:123], v[126:127] op_sel:[0,0,1] op_sel_hi:[1,1,0] neg_lo:[0,0,1] neg_hi:[0,0,1]
	v_pk_fma_f32 v[112:113], v[112:113], v[122:123], v[126:127] op_sel:[0,0,1] op_sel_hi:[1,0,0]
	v_mov_b32_e32 v129, v113
	v_pk_mul_f32 v[112:113], v[114:115], v[124:125] op_sel:[0,1]
	s_delay_alu instid0(VALU_DEP_1) | instskip(SKIP_1) | instid1(VALU_DEP_1)
	v_pk_fma_f32 v[126:127], v[114:115], v[122:123], v[112:113] op_sel:[0,0,1] op_sel_hi:[1,1,0] neg_lo:[0,0,1] neg_hi:[0,0,1]
	v_pk_fma_f32 v[112:113], v[114:115], v[122:123], v[112:113] op_sel:[0,0,1] op_sel_hi:[1,0,0]
	v_mov_b32_e32 v127, v113
	ds_load_2addr_b64 v[112:115], v116 offset0:46 offset1:47
	v_pk_add_f32 v[14:15], v[14:15], v[128:129] neg_lo:[0,1] neg_hi:[0,1]
	v_pk_add_f32 v[10:11], v[10:11], v[126:127] neg_lo:[0,1] neg_hi:[0,1]
	s_wait_dscnt 0x0
	v_pk_mul_f32 v[126:127], v[112:113], v[124:125] op_sel:[0,1]
	s_delay_alu instid0(VALU_DEP_1) | instskip(SKIP_2) | instid1(VALU_DEP_2)
	v_pk_fma_f32 v[128:129], v[112:113], v[122:123], v[126:127] op_sel:[0,0,1] op_sel_hi:[1,1,0] neg_lo:[0,0,1] neg_hi:[0,0,1]
	v_pk_fma_f32 v[112:113], v[112:113], v[122:123], v[126:127] op_sel:[0,0,1] op_sel_hi:[1,0,0]
	v_dual_mul_f32 v126, v115, v125 :: v_dual_mov_b32 v112, v115
	v_dual_mov_b32 v129, v113 :: v_dual_mov_b32 v113, v114
	s_delay_alu instid0(VALU_DEP_2) | instskip(SKIP_1) | instid1(VALU_DEP_3)
	v_pk_fma_f32 v[126:127], v[114:115], v[20:21], v[126:127] op_sel_hi:[1,1,0] neg_lo:[0,0,1] neg_hi:[0,0,1]
	v_mul_f32_e32 v114, v115, v122
	v_pk_add_f32 v[12:13], v[12:13], v[128:129] neg_lo:[0,1] neg_hi:[0,1]
	s_delay_alu instid0(VALU_DEP_2) | instskip(NEXT) | instid1(VALU_DEP_1)
	v_pk_fma_f32 v[112:113], v[112:113], v[20:21], v[114:115] op_sel_hi:[1,1,0]
	v_mov_b32_e32 v127, v113
	ds_load_2addr_b64 v[112:115], v116 offset0:48 offset1:49
	v_pk_add_f32 v[8:9], v[8:9], v[126:127] neg_lo:[0,1] neg_hi:[0,1]
	s_wait_dscnt 0x0
	v_pk_mul_f32 v[126:127], v[112:113], v[124:125] op_sel:[0,1]
	s_delay_alu instid0(VALU_DEP_1) | instskip(SKIP_1) | instid1(VALU_DEP_1)
	v_pk_fma_f32 v[128:129], v[112:113], v[122:123], v[126:127] op_sel:[0,0,1] op_sel_hi:[1,1,0] neg_lo:[0,0,1] neg_hi:[0,0,1]
	v_pk_fma_f32 v[112:113], v[112:113], v[122:123], v[126:127] op_sel:[0,0,1] op_sel_hi:[1,0,0]
	v_mov_b32_e32 v129, v113
	v_pk_mul_f32 v[112:113], v[114:115], v[124:125] op_sel:[0,1]
	s_delay_alu instid0(VALU_DEP_1) | instskip(SKIP_1) | instid1(VALU_DEP_1)
	v_pk_fma_f32 v[126:127], v[114:115], v[122:123], v[112:113] op_sel:[0,0,1] op_sel_hi:[1,1,0] neg_lo:[0,0,1] neg_hi:[0,0,1]
	v_pk_fma_f32 v[112:113], v[114:115], v[122:123], v[112:113] op_sel:[0,0,1] op_sel_hi:[1,0,0]
	v_mov_b32_e32 v127, v113
	ds_load_2addr_b64 v[112:115], v116 offset0:50 offset1:51
	v_pk_add_f32 v[6:7], v[6:7], v[128:129] neg_lo:[0,1] neg_hi:[0,1]
	v_pk_add_f32 v[28:29], v[28:29], v[126:127] neg_lo:[0,1] neg_hi:[0,1]
	s_wait_dscnt 0x0
	v_pk_mul_f32 v[126:127], v[112:113], v[124:125] op_sel:[0,1]
	s_delay_alu instid0(VALU_DEP_1) | instskip(SKIP_1) | instid1(VALU_DEP_1)
	v_pk_fma_f32 v[128:129], v[112:113], v[122:123], v[126:127] op_sel:[0,0,1] op_sel_hi:[1,1,0] neg_lo:[0,0,1] neg_hi:[0,0,1]
	v_pk_fma_f32 v[112:113], v[112:113], v[122:123], v[126:127] op_sel:[0,0,1] op_sel_hi:[1,0,0]
	v_mov_b32_e32 v129, v113
	v_pk_mul_f32 v[112:113], v[114:115], v[124:125] op_sel:[0,1]
	s_delay_alu instid0(VALU_DEP_1) | instskip(SKIP_1) | instid1(VALU_DEP_1)
	v_pk_fma_f32 v[126:127], v[114:115], v[122:123], v[112:113] op_sel:[0,0,1] op_sel_hi:[1,1,0] neg_lo:[0,0,1] neg_hi:[0,0,1]
	v_pk_fma_f32 v[112:113], v[114:115], v[122:123], v[112:113] op_sel:[0,0,1] op_sel_hi:[1,0,0]
	v_mov_b32_e32 v127, v113
	ds_load_b64 v[112:113], v116 offset:416
	v_pk_add_f32 v[18:19], v[18:19], v[128:129] neg_lo:[0,1] neg_hi:[0,1]
	v_pk_add_f32 v[16:17], v[16:17], v[126:127] neg_lo:[0,1] neg_hi:[0,1]
	s_wait_dscnt 0x0
	v_pk_mul_f32 v[114:115], v[112:113], v[124:125] op_sel:[0,1]
	s_delay_alu instid0(VALU_DEP_1) | instskip(SKIP_1) | instid1(VALU_DEP_1)
	v_pk_fma_f32 v[124:125], v[112:113], v[122:123], v[114:115] op_sel:[0,0,1] op_sel_hi:[1,1,0] neg_lo:[0,0,1] neg_hi:[0,0,1]
	v_pk_fma_f32 v[112:113], v[112:113], v[122:123], v[114:115] op_sel:[0,0,1] op_sel_hi:[1,0,0]
	v_mov_b32_e32 v125, v113
	s_delay_alu instid0(VALU_DEP_1)
	v_pk_add_f32 v[110:111], v[110:111], v[124:125] neg_lo:[0,1] neg_hi:[0,1]
.LBB104_923:
	s_or_b32 exec_lo, exec_lo, s0
	v_lshl_add_u32 v112, v120, 3, v116
	s_barrier_signal -1
	s_barrier_wait -1
	ds_store_b64 v112, v[14:15]
	s_wait_dscnt 0x0
	s_barrier_signal -1
	s_barrier_wait -1
	ds_load_b64 v[112:113], v116 offset:352
	v_mov_b32_e32 v114, 44
	s_cmp_lt_i32 s18, 46
	s_cbranch_scc1 .LBB104_926
; %bb.924:
	v_add3_u32 v115, v117, 0, 0x168
	v_mov_b32_e32 v114, 44
	s_mov_b32 s0, 45
.LBB104_925:                            ; =>This Inner Loop Header: Depth=1
	ds_load_b64 v[122:123], v115
	s_wait_dscnt 0x1
	v_cmp_gt_f32_e32 vcc_lo, 0, v112
	v_cndmask_b32_e64 v124, v112, -v112, vcc_lo
	v_cmp_gt_f32_e32 vcc_lo, 0, v113
	v_cndmask_b32_e64 v126, v113, -v113, vcc_lo
	s_wait_dscnt 0x0
	v_cmp_gt_f32_e32 vcc_lo, 0, v122
	v_cndmask_b32_e64 v125, v122, -v122, vcc_lo
	v_cmp_gt_f32_e32 vcc_lo, 0, v123
	v_cndmask_b32_e64 v127, v123, -v123, vcc_lo
	s_delay_alu instid0(VALU_DEP_1) | instskip(NEXT) | instid1(VALU_DEP_1)
	v_pk_add_f32 v[124:125], v[124:125], v[126:127]
	v_cmp_lt_f32_e32 vcc_lo, v124, v125
	v_dual_cndmask_b32 v112, v112, v122 :: v_dual_add_nc_u32 v115, 8, v115
	v_cndmask_b32_e32 v113, v113, v123, vcc_lo
	v_cndmask_b32_e64 v114, v114, s0, vcc_lo
	s_add_co_i32 s0, s0, 1
	s_delay_alu instid0(SALU_CYCLE_1)
	s_cmp_lg_u32 s18, s0
	s_cbranch_scc1 .LBB104_925
.LBB104_926:
	s_wait_dscnt 0x0
	v_cmp_eq_f32_e32 vcc_lo, 0, v112
	v_cmp_eq_f32_e64 s0, 0, v113
	s_and_b32 s0, vcc_lo, s0
	s_delay_alu instid0(SALU_CYCLE_1) | instskip(NEXT) | instid1(SALU_CYCLE_1)
	s_and_saveexec_b32 s1, s0
	s_xor_b32 s0, exec_lo, s1
; %bb.927:
	v_cmp_ne_u32_e32 vcc_lo, 0, v118
	v_cndmask_b32_e32 v118, 45, v118, vcc_lo
; %bb.928:
	s_and_not1_saveexec_b32 s0, s0
	s_cbranch_execz .LBB104_934
; %bb.929:
	v_cmp_ngt_f32_e64 s1, |v112|, |v113|
	s_and_saveexec_b32 s12, s1
	s_delay_alu instid0(SALU_CYCLE_1)
	s_xor_b32 s1, exec_lo, s12
	s_cbranch_execz .LBB104_931
; %bb.930:
	v_div_scale_f32 v115, null, v113, v113, v112
	v_div_scale_f32 v123, vcc_lo, v112, v113, v112
	s_delay_alu instid0(VALU_DEP_2) | instskip(SKIP_1) | instid1(TRANS32_DEP_1)
	v_rcp_f32_e32 v121, v115
	v_nop
	v_fma_f32 v122, -v115, v121, 1.0
	s_delay_alu instid0(VALU_DEP_1) | instskip(NEXT) | instid1(VALU_DEP_1)
	v_fmac_f32_e32 v121, v122, v121
	v_mul_f32_e32 v122, v123, v121
	s_delay_alu instid0(VALU_DEP_1) | instskip(NEXT) | instid1(VALU_DEP_1)
	v_fma_f32 v124, -v115, v122, v123
	v_fmac_f32_e32 v122, v124, v121
	s_delay_alu instid0(VALU_DEP_1) | instskip(NEXT) | instid1(VALU_DEP_1)
	v_fma_f32 v115, -v115, v122, v123
	v_div_fmas_f32 v115, v115, v121, v122
	s_delay_alu instid0(VALU_DEP_1) | instskip(NEXT) | instid1(VALU_DEP_1)
	v_div_fixup_f32 v115, v115, v113, v112
	v_fmac_f32_e32 v113, v112, v115
	s_delay_alu instid0(VALU_DEP_1) | instskip(SKIP_1) | instid1(VALU_DEP_2)
	v_div_scale_f32 v112, null, v113, v113, 1.0
	v_div_scale_f32 v123, vcc_lo, 1.0, v113, 1.0
	v_rcp_f32_e32 v121, v112
	v_nop
	s_delay_alu instid0(TRANS32_DEP_1) | instskip(NEXT) | instid1(VALU_DEP_1)
	v_fma_f32 v122, -v112, v121, 1.0
	v_fmac_f32_e32 v121, v122, v121
	s_delay_alu instid0(VALU_DEP_1) | instskip(NEXT) | instid1(VALU_DEP_1)
	v_mul_f32_e32 v122, v123, v121
	v_fma_f32 v124, -v112, v122, v123
	s_delay_alu instid0(VALU_DEP_1) | instskip(NEXT) | instid1(VALU_DEP_1)
	v_fmac_f32_e32 v122, v124, v121
	v_fma_f32 v112, -v112, v122, v123
	s_delay_alu instid0(VALU_DEP_1) | instskip(NEXT) | instid1(VALU_DEP_1)
	v_div_fmas_f32 v112, v112, v121, v122
	v_div_fixup_f32 v113, v112, v113, 1.0
	s_delay_alu instid0(VALU_DEP_1)
	v_mul_f32_e32 v112, v115, v113
	v_xor_b32_e32 v113, 0x80000000, v113
.LBB104_931:
	s_and_not1_saveexec_b32 s1, s1
	s_cbranch_execz .LBB104_933
; %bb.932:
	s_delay_alu instid0(VALU_DEP_1) | instskip(SKIP_1) | instid1(VALU_DEP_2)
	v_div_scale_f32 v115, null, v112, v112, v113
	v_div_scale_f32 v123, vcc_lo, v113, v112, v113
	v_rcp_f32_e32 v121, v115
	v_nop
	s_delay_alu instid0(TRANS32_DEP_1) | instskip(NEXT) | instid1(VALU_DEP_1)
	v_fma_f32 v122, -v115, v121, 1.0
	v_fmac_f32_e32 v121, v122, v121
	s_delay_alu instid0(VALU_DEP_1) | instskip(NEXT) | instid1(VALU_DEP_1)
	v_mul_f32_e32 v122, v123, v121
	v_fma_f32 v124, -v115, v122, v123
	s_delay_alu instid0(VALU_DEP_1) | instskip(NEXT) | instid1(VALU_DEP_1)
	v_fmac_f32_e32 v122, v124, v121
	v_fma_f32 v115, -v115, v122, v123
	s_delay_alu instid0(VALU_DEP_1) | instskip(NEXT) | instid1(VALU_DEP_1)
	v_div_fmas_f32 v115, v115, v121, v122
	v_div_fixup_f32 v115, v115, v112, v113
	s_delay_alu instid0(VALU_DEP_1) | instskip(NEXT) | instid1(VALU_DEP_1)
	v_fmac_f32_e32 v112, v113, v115
	v_div_scale_f32 v113, null, v112, v112, 1.0
	s_delay_alu instid0(VALU_DEP_1) | instskip(SKIP_1) | instid1(TRANS32_DEP_1)
	v_rcp_f32_e32 v121, v113
	v_nop
	v_fma_f32 v122, -v113, v121, 1.0
	s_delay_alu instid0(VALU_DEP_1) | instskip(SKIP_1) | instid1(VALU_DEP_1)
	v_fmac_f32_e32 v121, v122, v121
	v_div_scale_f32 v122, vcc_lo, 1.0, v112, 1.0
	v_mul_f32_e32 v123, v122, v121
	s_delay_alu instid0(VALU_DEP_1) | instskip(NEXT) | instid1(VALU_DEP_1)
	v_fma_f32 v124, -v113, v123, v122
	v_fmac_f32_e32 v123, v124, v121
	s_delay_alu instid0(VALU_DEP_1) | instskip(NEXT) | instid1(VALU_DEP_1)
	v_fma_f32 v113, -v113, v123, v122
	v_div_fmas_f32 v113, v113, v121, v123
	s_delay_alu instid0(VALU_DEP_1) | instskip(NEXT) | instid1(VALU_DEP_1)
	v_div_fixup_f32 v112, v113, v112, 1.0
	v_mul_f32_e64 v113, v115, -v112
.LBB104_933:
	s_or_b32 exec_lo, exec_lo, s1
.LBB104_934:
	s_delay_alu instid0(SALU_CYCLE_1) | instskip(NEXT) | instid1(SALU_CYCLE_1)
	s_or_b32 exec_lo, exec_lo, s0
	s_mov_b32 s0, exec_lo
	v_cmpx_ne_u32_e64 v120, v114
	s_xor_b32 s0, exec_lo, s0
	s_cbranch_execz .LBB104_940
; %bb.935:
	s_mov_b32 s1, exec_lo
	v_cmpx_eq_u32_e32 44, v120
	s_cbranch_execz .LBB104_939
; %bb.936:
	v_cmp_ne_u32_e32 vcc_lo, 44, v114
	s_xor_b32 s12, s16, -1
	s_delay_alu instid0(SALU_CYCLE_1) | instskip(NEXT) | instid1(SALU_CYCLE_1)
	s_and_b32 s13, s12, vcc_lo
	s_and_saveexec_b32 s12, s13
	s_cbranch_execz .LBB104_938
; %bb.937:
	v_ashrrev_i32_e32 v115, 31, v114
	s_delay_alu instid0(VALU_DEP_1)
	v_lshl_add_u64 v[120:121], v[114:115], 2, v[4:5]
	s_clause 0x1
	global_load_b32 v115, v[120:121], off
	global_load_b32 v119, v[4:5], off offset:176
	s_wait_loadcnt 0x1
	global_store_b32 v[4:5], v115, off offset:176
	s_wait_loadcnt 0x0
	global_store_b32 v[120:121], v119, off
.LBB104_938:
	s_wait_xcnt 0x0
	s_or_b32 exec_lo, exec_lo, s12
	v_dual_mov_b32 v120, v114 :: v_dual_mov_b32 v119, v114
.LBB104_939:
	s_or_b32 exec_lo, exec_lo, s1
.LBB104_940:
	s_and_not1_saveexec_b32 s0, s0
	s_cbranch_execz .LBB104_942
; %bb.941:
	v_mov_b32_e32 v120, 44
	ds_store_2addr_b64 v116, v[10:11], v[12:13] offset0:45 offset1:46
	ds_store_2addr_b64 v116, v[8:9], v[6:7] offset0:47 offset1:48
	;; [unrolled: 1-line block ×4, first 2 shown]
.LBB104_942:
	s_or_b32 exec_lo, exec_lo, s0
	s_delay_alu instid0(SALU_CYCLE_1)
	s_mov_b32 s0, exec_lo
	s_wait_storecnt_dscnt 0x0
	s_barrier_signal -1
	s_barrier_wait -1
	v_cmpx_lt_i32_e32 44, v120
	s_cbranch_execz .LBB104_944
; %bb.943:
	v_pk_mul_f32 v[114:115], v[112:113], v[14:15] op_sel:[1,1] op_sel_hi:[0,1]
	s_delay_alu instid0(VALU_DEP_1)
	v_pk_fma_f32 v[122:123], v[112:113], v[14:15], v[114:115] op_sel_hi:[1,0,1] neg_lo:[0,0,1] neg_hi:[0,0,1]
	v_pk_fma_f32 v[124:125], v[112:113], v[14:15], v[114:115] op_sel_hi:[1,0,1]
	ds_load_2addr_b64 v[112:115], v116 offset0:45 offset1:46
	v_dual_mov_b32 v14, v122 :: v_dual_mov_b32 v15, v125
	s_wait_dscnt 0x0
	v_pk_mul_f32 v[126:127], v[112:113], v[124:125] op_sel:[0,1]
	s_delay_alu instid0(VALU_DEP_1) | instskip(SKIP_1) | instid1(VALU_DEP_1)
	v_pk_fma_f32 v[128:129], v[112:113], v[122:123], v[126:127] op_sel:[0,0,1] op_sel_hi:[1,1,0] neg_lo:[0,0,1] neg_hi:[0,0,1]
	v_pk_fma_f32 v[112:113], v[112:113], v[122:123], v[126:127] op_sel:[0,0,1] op_sel_hi:[1,0,0]
	v_mov_b32_e32 v129, v113
	v_pk_mul_f32 v[112:113], v[114:115], v[124:125] op_sel:[0,1]
	s_delay_alu instid0(VALU_DEP_1) | instskip(SKIP_1) | instid1(VALU_DEP_1)
	v_pk_fma_f32 v[126:127], v[114:115], v[122:123], v[112:113] op_sel:[0,0,1] op_sel_hi:[1,1,0] neg_lo:[0,0,1] neg_hi:[0,0,1]
	v_pk_fma_f32 v[112:113], v[114:115], v[122:123], v[112:113] op_sel:[0,0,1] op_sel_hi:[1,0,0]
	v_mov_b32_e32 v127, v113
	ds_load_2addr_b64 v[112:115], v116 offset0:47 offset1:48
	v_pk_add_f32 v[10:11], v[10:11], v[128:129] neg_lo:[0,1] neg_hi:[0,1]
	v_pk_add_f32 v[12:13], v[12:13], v[126:127] neg_lo:[0,1] neg_hi:[0,1]
	s_wait_dscnt 0x0
	v_pk_mul_f32 v[126:127], v[112:113], v[124:125] op_sel:[0,1]
	s_delay_alu instid0(VALU_DEP_1) | instskip(SKIP_2) | instid1(VALU_DEP_2)
	v_pk_fma_f32 v[128:129], v[112:113], v[122:123], v[126:127] op_sel:[0,0,1] op_sel_hi:[1,1,0] neg_lo:[0,0,1] neg_hi:[0,0,1]
	v_pk_fma_f32 v[112:113], v[112:113], v[122:123], v[126:127] op_sel:[0,0,1] op_sel_hi:[1,0,0]
	v_dual_mul_f32 v126, v115, v125 :: v_dual_mov_b32 v112, v115
	v_dual_mov_b32 v129, v113 :: v_dual_mov_b32 v113, v114
	s_delay_alu instid0(VALU_DEP_2) | instskip(SKIP_1) | instid1(VALU_DEP_3)
	v_pk_fma_f32 v[126:127], v[114:115], v[14:15], v[126:127] op_sel_hi:[1,1,0] neg_lo:[0,0,1] neg_hi:[0,0,1]
	v_mul_f32_e32 v114, v115, v122
	v_pk_add_f32 v[8:9], v[8:9], v[128:129] neg_lo:[0,1] neg_hi:[0,1]
	s_delay_alu instid0(VALU_DEP_2) | instskip(NEXT) | instid1(VALU_DEP_1)
	v_pk_fma_f32 v[112:113], v[112:113], v[14:15], v[114:115] op_sel_hi:[1,1,0]
	v_mov_b32_e32 v127, v113
	ds_load_2addr_b64 v[112:115], v116 offset0:49 offset1:50
	v_pk_add_f32 v[6:7], v[6:7], v[126:127] neg_lo:[0,1] neg_hi:[0,1]
	s_wait_dscnt 0x0
	v_pk_mul_f32 v[126:127], v[112:113], v[124:125] op_sel:[0,1]
	s_delay_alu instid0(VALU_DEP_1) | instskip(SKIP_1) | instid1(VALU_DEP_1)
	v_pk_fma_f32 v[128:129], v[112:113], v[122:123], v[126:127] op_sel:[0,0,1] op_sel_hi:[1,1,0] neg_lo:[0,0,1] neg_hi:[0,0,1]
	v_pk_fma_f32 v[112:113], v[112:113], v[122:123], v[126:127] op_sel:[0,0,1] op_sel_hi:[1,0,0]
	v_mov_b32_e32 v129, v113
	v_pk_mul_f32 v[112:113], v[114:115], v[124:125] op_sel:[0,1]
	s_delay_alu instid0(VALU_DEP_1) | instskip(SKIP_1) | instid1(VALU_DEP_1)
	v_pk_fma_f32 v[126:127], v[114:115], v[122:123], v[112:113] op_sel:[0,0,1] op_sel_hi:[1,1,0] neg_lo:[0,0,1] neg_hi:[0,0,1]
	v_pk_fma_f32 v[112:113], v[114:115], v[122:123], v[112:113] op_sel:[0,0,1] op_sel_hi:[1,0,0]
	v_mov_b32_e32 v127, v113
	ds_load_2addr_b64 v[112:115], v116 offset0:51 offset1:52
	v_pk_add_f32 v[28:29], v[28:29], v[128:129] neg_lo:[0,1] neg_hi:[0,1]
	v_pk_add_f32 v[18:19], v[18:19], v[126:127] neg_lo:[0,1] neg_hi:[0,1]
	s_wait_dscnt 0x0
	v_pk_mul_f32 v[126:127], v[112:113], v[124:125] op_sel:[0,1]
	s_delay_alu instid0(VALU_DEP_1) | instskip(SKIP_1) | instid1(VALU_DEP_1)
	v_pk_fma_f32 v[128:129], v[112:113], v[122:123], v[126:127] op_sel:[0,0,1] op_sel_hi:[1,1,0] neg_lo:[0,0,1] neg_hi:[0,0,1]
	v_pk_fma_f32 v[112:113], v[112:113], v[122:123], v[126:127] op_sel:[0,0,1] op_sel_hi:[1,0,0]
	v_mov_b32_e32 v129, v113
	v_pk_mul_f32 v[112:113], v[114:115], v[124:125] op_sel:[0,1]
	s_delay_alu instid0(VALU_DEP_1) | instskip(SKIP_1) | instid1(VALU_DEP_1)
	v_pk_fma_f32 v[124:125], v[114:115], v[122:123], v[112:113] op_sel:[0,0,1] op_sel_hi:[1,1,0] neg_lo:[0,0,1] neg_hi:[0,0,1]
	v_pk_fma_f32 v[112:113], v[114:115], v[122:123], v[112:113] op_sel:[0,0,1] op_sel_hi:[1,0,0]
	v_mov_b32_e32 v125, v113
	v_pk_add_f32 v[16:17], v[16:17], v[128:129] neg_lo:[0,1] neg_hi:[0,1]
	s_delay_alu instid0(VALU_DEP_2)
	v_pk_add_f32 v[110:111], v[110:111], v[124:125] neg_lo:[0,1] neg_hi:[0,1]
.LBB104_944:
	s_or_b32 exec_lo, exec_lo, s0
	v_lshl_add_u32 v112, v120, 3, v116
	s_barrier_signal -1
	s_barrier_wait -1
	ds_store_b64 v112, v[10:11]
	s_wait_dscnt 0x0
	s_barrier_signal -1
	s_barrier_wait -1
	ds_load_b64 v[112:113], v116 offset:360
	v_mov_b32_e32 v114, 45
	s_cmp_lt_i32 s18, 47
	s_cbranch_scc1 .LBB104_947
; %bb.945:
	v_add3_u32 v115, v117, 0, 0x170
	v_mov_b32_e32 v114, 45
	s_mov_b32 s0, 46
.LBB104_946:                            ; =>This Inner Loop Header: Depth=1
	ds_load_b64 v[122:123], v115
	s_wait_dscnt 0x1
	v_cmp_gt_f32_e32 vcc_lo, 0, v112
	v_cndmask_b32_e64 v124, v112, -v112, vcc_lo
	v_cmp_gt_f32_e32 vcc_lo, 0, v113
	v_cndmask_b32_e64 v126, v113, -v113, vcc_lo
	s_wait_dscnt 0x0
	v_cmp_gt_f32_e32 vcc_lo, 0, v122
	v_cndmask_b32_e64 v125, v122, -v122, vcc_lo
	v_cmp_gt_f32_e32 vcc_lo, 0, v123
	v_cndmask_b32_e64 v127, v123, -v123, vcc_lo
	s_delay_alu instid0(VALU_DEP_1) | instskip(NEXT) | instid1(VALU_DEP_1)
	v_pk_add_f32 v[124:125], v[124:125], v[126:127]
	v_cmp_lt_f32_e32 vcc_lo, v124, v125
	v_dual_cndmask_b32 v112, v112, v122 :: v_dual_add_nc_u32 v115, 8, v115
	v_cndmask_b32_e32 v113, v113, v123, vcc_lo
	v_cndmask_b32_e64 v114, v114, s0, vcc_lo
	s_add_co_i32 s0, s0, 1
	s_delay_alu instid0(SALU_CYCLE_1)
	s_cmp_lg_u32 s18, s0
	s_cbranch_scc1 .LBB104_946
.LBB104_947:
	s_wait_dscnt 0x0
	v_cmp_eq_f32_e32 vcc_lo, 0, v112
	v_cmp_eq_f32_e64 s0, 0, v113
	s_and_b32 s0, vcc_lo, s0
	s_delay_alu instid0(SALU_CYCLE_1) | instskip(NEXT) | instid1(SALU_CYCLE_1)
	s_and_saveexec_b32 s1, s0
	s_xor_b32 s0, exec_lo, s1
; %bb.948:
	v_cmp_ne_u32_e32 vcc_lo, 0, v118
	v_cndmask_b32_e32 v118, 46, v118, vcc_lo
; %bb.949:
	s_and_not1_saveexec_b32 s0, s0
	s_cbranch_execz .LBB104_955
; %bb.950:
	v_cmp_ngt_f32_e64 s1, |v112|, |v113|
	s_and_saveexec_b32 s12, s1
	s_delay_alu instid0(SALU_CYCLE_1)
	s_xor_b32 s1, exec_lo, s12
	s_cbranch_execz .LBB104_952
; %bb.951:
	v_div_scale_f32 v115, null, v113, v113, v112
	v_div_scale_f32 v123, vcc_lo, v112, v113, v112
	s_delay_alu instid0(VALU_DEP_2) | instskip(SKIP_1) | instid1(TRANS32_DEP_1)
	v_rcp_f32_e32 v121, v115
	v_nop
	v_fma_f32 v122, -v115, v121, 1.0
	s_delay_alu instid0(VALU_DEP_1) | instskip(NEXT) | instid1(VALU_DEP_1)
	v_fmac_f32_e32 v121, v122, v121
	v_mul_f32_e32 v122, v123, v121
	s_delay_alu instid0(VALU_DEP_1) | instskip(NEXT) | instid1(VALU_DEP_1)
	v_fma_f32 v124, -v115, v122, v123
	v_fmac_f32_e32 v122, v124, v121
	s_delay_alu instid0(VALU_DEP_1) | instskip(NEXT) | instid1(VALU_DEP_1)
	v_fma_f32 v115, -v115, v122, v123
	v_div_fmas_f32 v115, v115, v121, v122
	s_delay_alu instid0(VALU_DEP_1) | instskip(NEXT) | instid1(VALU_DEP_1)
	v_div_fixup_f32 v115, v115, v113, v112
	v_fmac_f32_e32 v113, v112, v115
	s_delay_alu instid0(VALU_DEP_1) | instskip(SKIP_1) | instid1(VALU_DEP_2)
	v_div_scale_f32 v112, null, v113, v113, 1.0
	v_div_scale_f32 v123, vcc_lo, 1.0, v113, 1.0
	v_rcp_f32_e32 v121, v112
	v_nop
	s_delay_alu instid0(TRANS32_DEP_1) | instskip(NEXT) | instid1(VALU_DEP_1)
	v_fma_f32 v122, -v112, v121, 1.0
	v_fmac_f32_e32 v121, v122, v121
	s_delay_alu instid0(VALU_DEP_1) | instskip(NEXT) | instid1(VALU_DEP_1)
	v_mul_f32_e32 v122, v123, v121
	v_fma_f32 v124, -v112, v122, v123
	s_delay_alu instid0(VALU_DEP_1) | instskip(NEXT) | instid1(VALU_DEP_1)
	v_fmac_f32_e32 v122, v124, v121
	v_fma_f32 v112, -v112, v122, v123
	s_delay_alu instid0(VALU_DEP_1) | instskip(NEXT) | instid1(VALU_DEP_1)
	v_div_fmas_f32 v112, v112, v121, v122
	v_div_fixup_f32 v113, v112, v113, 1.0
	s_delay_alu instid0(VALU_DEP_1)
	v_mul_f32_e32 v112, v115, v113
	v_xor_b32_e32 v113, 0x80000000, v113
.LBB104_952:
	s_and_not1_saveexec_b32 s1, s1
	s_cbranch_execz .LBB104_954
; %bb.953:
	s_delay_alu instid0(VALU_DEP_1) | instskip(SKIP_1) | instid1(VALU_DEP_2)
	v_div_scale_f32 v115, null, v112, v112, v113
	v_div_scale_f32 v123, vcc_lo, v113, v112, v113
	v_rcp_f32_e32 v121, v115
	v_nop
	s_delay_alu instid0(TRANS32_DEP_1) | instskip(NEXT) | instid1(VALU_DEP_1)
	v_fma_f32 v122, -v115, v121, 1.0
	v_fmac_f32_e32 v121, v122, v121
	s_delay_alu instid0(VALU_DEP_1) | instskip(NEXT) | instid1(VALU_DEP_1)
	v_mul_f32_e32 v122, v123, v121
	v_fma_f32 v124, -v115, v122, v123
	s_delay_alu instid0(VALU_DEP_1) | instskip(NEXT) | instid1(VALU_DEP_1)
	v_fmac_f32_e32 v122, v124, v121
	v_fma_f32 v115, -v115, v122, v123
	s_delay_alu instid0(VALU_DEP_1) | instskip(NEXT) | instid1(VALU_DEP_1)
	v_div_fmas_f32 v115, v115, v121, v122
	v_div_fixup_f32 v115, v115, v112, v113
	s_delay_alu instid0(VALU_DEP_1) | instskip(NEXT) | instid1(VALU_DEP_1)
	v_fmac_f32_e32 v112, v113, v115
	v_div_scale_f32 v113, null, v112, v112, 1.0
	s_delay_alu instid0(VALU_DEP_1) | instskip(SKIP_1) | instid1(TRANS32_DEP_1)
	v_rcp_f32_e32 v121, v113
	v_nop
	v_fma_f32 v122, -v113, v121, 1.0
	s_delay_alu instid0(VALU_DEP_1) | instskip(SKIP_1) | instid1(VALU_DEP_1)
	v_fmac_f32_e32 v121, v122, v121
	v_div_scale_f32 v122, vcc_lo, 1.0, v112, 1.0
	v_mul_f32_e32 v123, v122, v121
	s_delay_alu instid0(VALU_DEP_1) | instskip(NEXT) | instid1(VALU_DEP_1)
	v_fma_f32 v124, -v113, v123, v122
	v_fmac_f32_e32 v123, v124, v121
	s_delay_alu instid0(VALU_DEP_1) | instskip(NEXT) | instid1(VALU_DEP_1)
	v_fma_f32 v113, -v113, v123, v122
	v_div_fmas_f32 v113, v113, v121, v123
	s_delay_alu instid0(VALU_DEP_1) | instskip(NEXT) | instid1(VALU_DEP_1)
	v_div_fixup_f32 v112, v113, v112, 1.0
	v_mul_f32_e64 v113, v115, -v112
.LBB104_954:
	s_or_b32 exec_lo, exec_lo, s1
.LBB104_955:
	s_delay_alu instid0(SALU_CYCLE_1) | instskip(NEXT) | instid1(SALU_CYCLE_1)
	s_or_b32 exec_lo, exec_lo, s0
	s_mov_b32 s0, exec_lo
	v_cmpx_ne_u32_e64 v120, v114
	s_xor_b32 s0, exec_lo, s0
	s_cbranch_execz .LBB104_961
; %bb.956:
	s_mov_b32 s1, exec_lo
	v_cmpx_eq_u32_e32 45, v120
	s_cbranch_execz .LBB104_960
; %bb.957:
	v_cmp_ne_u32_e32 vcc_lo, 45, v114
	s_xor_b32 s12, s16, -1
	s_delay_alu instid0(SALU_CYCLE_1) | instskip(NEXT) | instid1(SALU_CYCLE_1)
	s_and_b32 s13, s12, vcc_lo
	s_and_saveexec_b32 s12, s13
	s_cbranch_execz .LBB104_959
; %bb.958:
	v_ashrrev_i32_e32 v115, 31, v114
	s_delay_alu instid0(VALU_DEP_1)
	v_lshl_add_u64 v[120:121], v[114:115], 2, v[4:5]
	s_clause 0x1
	global_load_b32 v115, v[120:121], off
	global_load_b32 v119, v[4:5], off offset:180
	s_wait_loadcnt 0x1
	global_store_b32 v[4:5], v115, off offset:180
	s_wait_loadcnt 0x0
	global_store_b32 v[120:121], v119, off
.LBB104_959:
	s_wait_xcnt 0x0
	s_or_b32 exec_lo, exec_lo, s12
	v_dual_mov_b32 v120, v114 :: v_dual_mov_b32 v119, v114
.LBB104_960:
	s_or_b32 exec_lo, exec_lo, s1
.LBB104_961:
	s_and_not1_saveexec_b32 s0, s0
	s_cbranch_execz .LBB104_963
; %bb.962:
	v_dual_mov_b32 v114, v12 :: v_dual_mov_b32 v115, v13
	v_dual_mov_b32 v122, v8 :: v_dual_mov_b32 v123, v9
	;; [unrolled: 1-line block ×6, first 2 shown]
	v_mov_b32_e32 v131, v17
	ds_store_2addr_b64 v116, v[114:115], v[122:123] offset0:46 offset1:47
	ds_store_2addr_b64 v116, v[124:125], v[126:127] offset0:48 offset1:49
	ds_store_2addr_b64 v116, v[128:129], v[130:131] offset0:50 offset1:51
	ds_store_b64 v116, v[110:111] offset:416
.LBB104_963:
	s_or_b32 exec_lo, exec_lo, s0
	s_delay_alu instid0(SALU_CYCLE_1)
	s_mov_b32 s0, exec_lo
	s_wait_storecnt_dscnt 0x0
	s_barrier_signal -1
	s_barrier_wait -1
	v_cmpx_lt_i32_e32 45, v120
	s_cbranch_execz .LBB104_965
; %bb.964:
	v_pk_mul_f32 v[114:115], v[112:113], v[10:11] op_sel:[1,1] op_sel_hi:[0,1]
	s_delay_alu instid0(VALU_DEP_1)
	v_pk_fma_f32 v[122:123], v[112:113], v[10:11], v[114:115] op_sel_hi:[1,0,1] neg_lo:[0,0,1] neg_hi:[0,0,1]
	v_pk_fma_f32 v[124:125], v[112:113], v[10:11], v[114:115] op_sel_hi:[1,0,1]
	ds_load_2addr_b64 v[112:115], v116 offset0:46 offset1:47
	v_dual_mov_b32 v10, v122 :: v_dual_mov_b32 v11, v125
	s_wait_dscnt 0x0
	v_pk_mul_f32 v[126:127], v[112:113], v[124:125] op_sel:[0,1]
	s_delay_alu instid0(VALU_DEP_1) | instskip(SKIP_1) | instid1(VALU_DEP_1)
	v_pk_fma_f32 v[128:129], v[112:113], v[122:123], v[126:127] op_sel:[0,0,1] op_sel_hi:[1,1,0] neg_lo:[0,0,1] neg_hi:[0,0,1]
	v_pk_fma_f32 v[112:113], v[112:113], v[122:123], v[126:127] op_sel:[0,0,1] op_sel_hi:[1,0,0]
	v_mov_b32_e32 v129, v113
	v_pk_mul_f32 v[112:113], v[114:115], v[124:125] op_sel:[0,1]
	s_delay_alu instid0(VALU_DEP_1) | instskip(SKIP_1) | instid1(VALU_DEP_1)
	v_pk_fma_f32 v[126:127], v[114:115], v[122:123], v[112:113] op_sel:[0,0,1] op_sel_hi:[1,1,0] neg_lo:[0,0,1] neg_hi:[0,0,1]
	v_pk_fma_f32 v[112:113], v[114:115], v[122:123], v[112:113] op_sel:[0,0,1] op_sel_hi:[1,0,0]
	v_mov_b32_e32 v127, v113
	ds_load_2addr_b64 v[112:115], v116 offset0:48 offset1:49
	v_pk_add_f32 v[12:13], v[12:13], v[128:129] neg_lo:[0,1] neg_hi:[0,1]
	v_pk_add_f32 v[8:9], v[8:9], v[126:127] neg_lo:[0,1] neg_hi:[0,1]
	s_wait_dscnt 0x0
	v_pk_mul_f32 v[126:127], v[112:113], v[124:125] op_sel:[0,1]
	s_delay_alu instid0(VALU_DEP_1) | instskip(SKIP_2) | instid1(VALU_DEP_2)
	v_pk_fma_f32 v[128:129], v[112:113], v[122:123], v[126:127] op_sel:[0,0,1] op_sel_hi:[1,1,0] neg_lo:[0,0,1] neg_hi:[0,0,1]
	v_pk_fma_f32 v[112:113], v[112:113], v[122:123], v[126:127] op_sel:[0,0,1] op_sel_hi:[1,0,0]
	v_dual_mul_f32 v126, v115, v125 :: v_dual_mov_b32 v112, v115
	v_dual_mov_b32 v129, v113 :: v_dual_mov_b32 v113, v114
	s_delay_alu instid0(VALU_DEP_2) | instskip(SKIP_1) | instid1(VALU_DEP_3)
	v_pk_fma_f32 v[126:127], v[114:115], v[10:11], v[126:127] op_sel_hi:[1,1,0] neg_lo:[0,0,1] neg_hi:[0,0,1]
	v_mul_f32_e32 v114, v115, v122
	v_pk_add_f32 v[6:7], v[6:7], v[128:129] neg_lo:[0,1] neg_hi:[0,1]
	s_delay_alu instid0(VALU_DEP_2) | instskip(NEXT) | instid1(VALU_DEP_1)
	v_pk_fma_f32 v[112:113], v[112:113], v[10:11], v[114:115] op_sel_hi:[1,1,0]
	v_mov_b32_e32 v127, v113
	ds_load_2addr_b64 v[112:115], v116 offset0:50 offset1:51
	v_pk_add_f32 v[28:29], v[28:29], v[126:127] neg_lo:[0,1] neg_hi:[0,1]
	s_wait_dscnt 0x0
	v_pk_mul_f32 v[126:127], v[112:113], v[124:125] op_sel:[0,1]
	s_delay_alu instid0(VALU_DEP_1) | instskip(SKIP_1) | instid1(VALU_DEP_1)
	v_pk_fma_f32 v[128:129], v[112:113], v[122:123], v[126:127] op_sel:[0,0,1] op_sel_hi:[1,1,0] neg_lo:[0,0,1] neg_hi:[0,0,1]
	v_pk_fma_f32 v[112:113], v[112:113], v[122:123], v[126:127] op_sel:[0,0,1] op_sel_hi:[1,0,0]
	v_mov_b32_e32 v129, v113
	v_pk_mul_f32 v[112:113], v[114:115], v[124:125] op_sel:[0,1]
	s_delay_alu instid0(VALU_DEP_1) | instskip(SKIP_1) | instid1(VALU_DEP_1)
	v_pk_fma_f32 v[126:127], v[114:115], v[122:123], v[112:113] op_sel:[0,0,1] op_sel_hi:[1,1,0] neg_lo:[0,0,1] neg_hi:[0,0,1]
	v_pk_fma_f32 v[112:113], v[114:115], v[122:123], v[112:113] op_sel:[0,0,1] op_sel_hi:[1,0,0]
	v_mov_b32_e32 v127, v113
	ds_load_b64 v[112:113], v116 offset:416
	v_pk_add_f32 v[18:19], v[18:19], v[128:129] neg_lo:[0,1] neg_hi:[0,1]
	v_pk_add_f32 v[16:17], v[16:17], v[126:127] neg_lo:[0,1] neg_hi:[0,1]
	s_wait_dscnt 0x0
	v_pk_mul_f32 v[114:115], v[112:113], v[124:125] op_sel:[0,1]
	s_delay_alu instid0(VALU_DEP_1) | instskip(SKIP_1) | instid1(VALU_DEP_1)
	v_pk_fma_f32 v[124:125], v[112:113], v[122:123], v[114:115] op_sel:[0,0,1] op_sel_hi:[1,1,0] neg_lo:[0,0,1] neg_hi:[0,0,1]
	v_pk_fma_f32 v[112:113], v[112:113], v[122:123], v[114:115] op_sel:[0,0,1] op_sel_hi:[1,0,0]
	v_mov_b32_e32 v125, v113
	s_delay_alu instid0(VALU_DEP_1)
	v_pk_add_f32 v[110:111], v[110:111], v[124:125] neg_lo:[0,1] neg_hi:[0,1]
.LBB104_965:
	s_or_b32 exec_lo, exec_lo, s0
	v_lshl_add_u32 v112, v120, 3, v116
	s_barrier_signal -1
	s_barrier_wait -1
	ds_store_b64 v112, v[12:13]
	s_wait_dscnt 0x0
	s_barrier_signal -1
	s_barrier_wait -1
	ds_load_b64 v[112:113], v116 offset:368
	v_mov_b32_e32 v114, 46
	s_cmp_lt_i32 s18, 48
	s_cbranch_scc1 .LBB104_968
; %bb.966:
	v_add3_u32 v115, v117, 0, 0x178
	v_mov_b32_e32 v114, 46
	s_mov_b32 s0, 47
.LBB104_967:                            ; =>This Inner Loop Header: Depth=1
	ds_load_b64 v[122:123], v115
	s_wait_dscnt 0x1
	v_cmp_gt_f32_e32 vcc_lo, 0, v112
	v_cndmask_b32_e64 v124, v112, -v112, vcc_lo
	v_cmp_gt_f32_e32 vcc_lo, 0, v113
	v_cndmask_b32_e64 v126, v113, -v113, vcc_lo
	s_wait_dscnt 0x0
	v_cmp_gt_f32_e32 vcc_lo, 0, v122
	v_cndmask_b32_e64 v125, v122, -v122, vcc_lo
	v_cmp_gt_f32_e32 vcc_lo, 0, v123
	v_cndmask_b32_e64 v127, v123, -v123, vcc_lo
	s_delay_alu instid0(VALU_DEP_1) | instskip(NEXT) | instid1(VALU_DEP_1)
	v_pk_add_f32 v[124:125], v[124:125], v[126:127]
	v_cmp_lt_f32_e32 vcc_lo, v124, v125
	v_dual_cndmask_b32 v112, v112, v122 :: v_dual_add_nc_u32 v115, 8, v115
	v_cndmask_b32_e32 v113, v113, v123, vcc_lo
	v_cndmask_b32_e64 v114, v114, s0, vcc_lo
	s_add_co_i32 s0, s0, 1
	s_delay_alu instid0(SALU_CYCLE_1)
	s_cmp_lg_u32 s18, s0
	s_cbranch_scc1 .LBB104_967
.LBB104_968:
	s_wait_dscnt 0x0
	v_cmp_eq_f32_e32 vcc_lo, 0, v112
	v_cmp_eq_f32_e64 s0, 0, v113
	s_and_b32 s0, vcc_lo, s0
	s_delay_alu instid0(SALU_CYCLE_1) | instskip(NEXT) | instid1(SALU_CYCLE_1)
	s_and_saveexec_b32 s1, s0
	s_xor_b32 s0, exec_lo, s1
; %bb.969:
	v_cmp_ne_u32_e32 vcc_lo, 0, v118
	v_cndmask_b32_e32 v118, 47, v118, vcc_lo
; %bb.970:
	s_and_not1_saveexec_b32 s0, s0
	s_cbranch_execz .LBB104_976
; %bb.971:
	v_cmp_ngt_f32_e64 s1, |v112|, |v113|
	s_and_saveexec_b32 s12, s1
	s_delay_alu instid0(SALU_CYCLE_1)
	s_xor_b32 s1, exec_lo, s12
	s_cbranch_execz .LBB104_973
; %bb.972:
	v_div_scale_f32 v115, null, v113, v113, v112
	v_div_scale_f32 v123, vcc_lo, v112, v113, v112
	s_delay_alu instid0(VALU_DEP_2) | instskip(SKIP_1) | instid1(TRANS32_DEP_1)
	v_rcp_f32_e32 v121, v115
	v_nop
	v_fma_f32 v122, -v115, v121, 1.0
	s_delay_alu instid0(VALU_DEP_1) | instskip(NEXT) | instid1(VALU_DEP_1)
	v_fmac_f32_e32 v121, v122, v121
	v_mul_f32_e32 v122, v123, v121
	s_delay_alu instid0(VALU_DEP_1) | instskip(NEXT) | instid1(VALU_DEP_1)
	v_fma_f32 v124, -v115, v122, v123
	v_fmac_f32_e32 v122, v124, v121
	s_delay_alu instid0(VALU_DEP_1) | instskip(NEXT) | instid1(VALU_DEP_1)
	v_fma_f32 v115, -v115, v122, v123
	v_div_fmas_f32 v115, v115, v121, v122
	s_delay_alu instid0(VALU_DEP_1) | instskip(NEXT) | instid1(VALU_DEP_1)
	v_div_fixup_f32 v115, v115, v113, v112
	v_fmac_f32_e32 v113, v112, v115
	s_delay_alu instid0(VALU_DEP_1) | instskip(SKIP_1) | instid1(VALU_DEP_2)
	v_div_scale_f32 v112, null, v113, v113, 1.0
	v_div_scale_f32 v123, vcc_lo, 1.0, v113, 1.0
	v_rcp_f32_e32 v121, v112
	v_nop
	s_delay_alu instid0(TRANS32_DEP_1) | instskip(NEXT) | instid1(VALU_DEP_1)
	v_fma_f32 v122, -v112, v121, 1.0
	v_fmac_f32_e32 v121, v122, v121
	s_delay_alu instid0(VALU_DEP_1) | instskip(NEXT) | instid1(VALU_DEP_1)
	v_mul_f32_e32 v122, v123, v121
	v_fma_f32 v124, -v112, v122, v123
	s_delay_alu instid0(VALU_DEP_1) | instskip(NEXT) | instid1(VALU_DEP_1)
	v_fmac_f32_e32 v122, v124, v121
	v_fma_f32 v112, -v112, v122, v123
	s_delay_alu instid0(VALU_DEP_1) | instskip(NEXT) | instid1(VALU_DEP_1)
	v_div_fmas_f32 v112, v112, v121, v122
	v_div_fixup_f32 v113, v112, v113, 1.0
	s_delay_alu instid0(VALU_DEP_1)
	v_mul_f32_e32 v112, v115, v113
	v_xor_b32_e32 v113, 0x80000000, v113
.LBB104_973:
	s_and_not1_saveexec_b32 s1, s1
	s_cbranch_execz .LBB104_975
; %bb.974:
	s_delay_alu instid0(VALU_DEP_1) | instskip(SKIP_1) | instid1(VALU_DEP_2)
	v_div_scale_f32 v115, null, v112, v112, v113
	v_div_scale_f32 v123, vcc_lo, v113, v112, v113
	v_rcp_f32_e32 v121, v115
	v_nop
	s_delay_alu instid0(TRANS32_DEP_1) | instskip(NEXT) | instid1(VALU_DEP_1)
	v_fma_f32 v122, -v115, v121, 1.0
	v_fmac_f32_e32 v121, v122, v121
	s_delay_alu instid0(VALU_DEP_1) | instskip(NEXT) | instid1(VALU_DEP_1)
	v_mul_f32_e32 v122, v123, v121
	v_fma_f32 v124, -v115, v122, v123
	s_delay_alu instid0(VALU_DEP_1) | instskip(NEXT) | instid1(VALU_DEP_1)
	v_fmac_f32_e32 v122, v124, v121
	v_fma_f32 v115, -v115, v122, v123
	s_delay_alu instid0(VALU_DEP_1) | instskip(NEXT) | instid1(VALU_DEP_1)
	v_div_fmas_f32 v115, v115, v121, v122
	v_div_fixup_f32 v115, v115, v112, v113
	s_delay_alu instid0(VALU_DEP_1) | instskip(NEXT) | instid1(VALU_DEP_1)
	v_fmac_f32_e32 v112, v113, v115
	v_div_scale_f32 v113, null, v112, v112, 1.0
	s_delay_alu instid0(VALU_DEP_1) | instskip(SKIP_1) | instid1(TRANS32_DEP_1)
	v_rcp_f32_e32 v121, v113
	v_nop
	v_fma_f32 v122, -v113, v121, 1.0
	s_delay_alu instid0(VALU_DEP_1) | instskip(SKIP_1) | instid1(VALU_DEP_1)
	v_fmac_f32_e32 v121, v122, v121
	v_div_scale_f32 v122, vcc_lo, 1.0, v112, 1.0
	v_mul_f32_e32 v123, v122, v121
	s_delay_alu instid0(VALU_DEP_1) | instskip(NEXT) | instid1(VALU_DEP_1)
	v_fma_f32 v124, -v113, v123, v122
	v_fmac_f32_e32 v123, v124, v121
	s_delay_alu instid0(VALU_DEP_1) | instskip(NEXT) | instid1(VALU_DEP_1)
	v_fma_f32 v113, -v113, v123, v122
	v_div_fmas_f32 v113, v113, v121, v123
	s_delay_alu instid0(VALU_DEP_1) | instskip(NEXT) | instid1(VALU_DEP_1)
	v_div_fixup_f32 v112, v113, v112, 1.0
	v_mul_f32_e64 v113, v115, -v112
.LBB104_975:
	s_or_b32 exec_lo, exec_lo, s1
.LBB104_976:
	s_delay_alu instid0(SALU_CYCLE_1) | instskip(NEXT) | instid1(SALU_CYCLE_1)
	s_or_b32 exec_lo, exec_lo, s0
	s_mov_b32 s0, exec_lo
	v_cmpx_ne_u32_e64 v120, v114
	s_xor_b32 s0, exec_lo, s0
	s_cbranch_execz .LBB104_982
; %bb.977:
	s_mov_b32 s1, exec_lo
	v_cmpx_eq_u32_e32 46, v120
	s_cbranch_execz .LBB104_981
; %bb.978:
	v_cmp_ne_u32_e32 vcc_lo, 46, v114
	s_xor_b32 s12, s16, -1
	s_delay_alu instid0(SALU_CYCLE_1) | instskip(NEXT) | instid1(SALU_CYCLE_1)
	s_and_b32 s13, s12, vcc_lo
	s_and_saveexec_b32 s12, s13
	s_cbranch_execz .LBB104_980
; %bb.979:
	v_ashrrev_i32_e32 v115, 31, v114
	s_delay_alu instid0(VALU_DEP_1)
	v_lshl_add_u64 v[120:121], v[114:115], 2, v[4:5]
	s_clause 0x1
	global_load_b32 v115, v[120:121], off
	global_load_b32 v119, v[4:5], off offset:184
	s_wait_loadcnt 0x1
	global_store_b32 v[4:5], v115, off offset:184
	s_wait_loadcnt 0x0
	global_store_b32 v[120:121], v119, off
.LBB104_980:
	s_wait_xcnt 0x0
	s_or_b32 exec_lo, exec_lo, s12
	v_dual_mov_b32 v120, v114 :: v_dual_mov_b32 v119, v114
.LBB104_981:
	s_or_b32 exec_lo, exec_lo, s1
.LBB104_982:
	s_and_not1_saveexec_b32 s0, s0
	s_cbranch_execz .LBB104_984
; %bb.983:
	v_mov_b32_e32 v120, 46
	ds_store_2addr_b64 v116, v[8:9], v[6:7] offset0:47 offset1:48
	ds_store_2addr_b64 v116, v[28:29], v[18:19] offset0:49 offset1:50
	ds_store_2addr_b64 v116, v[16:17], v[110:111] offset0:51 offset1:52
.LBB104_984:
	s_or_b32 exec_lo, exec_lo, s0
	s_delay_alu instid0(SALU_CYCLE_1)
	s_mov_b32 s0, exec_lo
	s_wait_storecnt_dscnt 0x0
	s_barrier_signal -1
	s_barrier_wait -1
	v_cmpx_lt_i32_e32 46, v120
	s_cbranch_execz .LBB104_986
; %bb.985:
	v_pk_mul_f32 v[114:115], v[112:113], v[12:13] op_sel:[1,1] op_sel_hi:[0,1]
	s_delay_alu instid0(VALU_DEP_1)
	v_pk_fma_f32 v[122:123], v[112:113], v[12:13], v[114:115] op_sel_hi:[1,0,1] neg_lo:[0,0,1] neg_hi:[0,0,1]
	v_pk_fma_f32 v[124:125], v[112:113], v[12:13], v[114:115] op_sel_hi:[1,0,1]
	ds_load_2addr_b64 v[112:115], v116 offset0:47 offset1:48
	v_dual_mov_b32 v12, v122 :: v_dual_mov_b32 v13, v125
	s_wait_dscnt 0x0
	v_pk_mul_f32 v[126:127], v[112:113], v[124:125] op_sel:[0,1]
	s_delay_alu instid0(VALU_DEP_1) | instskip(SKIP_1) | instid1(VALU_DEP_1)
	v_pk_fma_f32 v[128:129], v[112:113], v[122:123], v[126:127] op_sel:[0,0,1] op_sel_hi:[1,1,0] neg_lo:[0,0,1] neg_hi:[0,0,1]
	v_pk_fma_f32 v[112:113], v[112:113], v[122:123], v[126:127] op_sel:[0,0,1] op_sel_hi:[1,0,0]
	v_mov_b32_e32 v129, v113
	v_pk_mul_f32 v[112:113], v[114:115], v[124:125] op_sel:[0,1]
	s_delay_alu instid0(VALU_DEP_1) | instskip(SKIP_1) | instid1(VALU_DEP_1)
	v_pk_fma_f32 v[126:127], v[114:115], v[122:123], v[112:113] op_sel:[0,0,1] op_sel_hi:[1,1,0] neg_lo:[0,0,1] neg_hi:[0,0,1]
	v_pk_fma_f32 v[112:113], v[114:115], v[122:123], v[112:113] op_sel:[0,0,1] op_sel_hi:[1,0,0]
	v_mov_b32_e32 v127, v113
	ds_load_2addr_b64 v[112:115], v116 offset0:49 offset1:50
	v_pk_add_f32 v[8:9], v[8:9], v[128:129] neg_lo:[0,1] neg_hi:[0,1]
	v_pk_add_f32 v[6:7], v[6:7], v[126:127] neg_lo:[0,1] neg_hi:[0,1]
	s_wait_dscnt 0x0
	v_pk_mul_f32 v[126:127], v[112:113], v[124:125] op_sel:[0,1]
	s_delay_alu instid0(VALU_DEP_1) | instskip(SKIP_2) | instid1(VALU_DEP_2)
	v_pk_fma_f32 v[128:129], v[112:113], v[122:123], v[126:127] op_sel:[0,0,1] op_sel_hi:[1,1,0] neg_lo:[0,0,1] neg_hi:[0,0,1]
	v_pk_fma_f32 v[112:113], v[112:113], v[122:123], v[126:127] op_sel:[0,0,1] op_sel_hi:[1,0,0]
	v_dual_mul_f32 v126, v115, v125 :: v_dual_mov_b32 v112, v115
	v_dual_mov_b32 v129, v113 :: v_dual_mov_b32 v113, v114
	s_delay_alu instid0(VALU_DEP_2) | instskip(SKIP_1) | instid1(VALU_DEP_3)
	v_pk_fma_f32 v[126:127], v[114:115], v[12:13], v[126:127] op_sel_hi:[1,1,0] neg_lo:[0,0,1] neg_hi:[0,0,1]
	v_mul_f32_e32 v114, v115, v122
	v_pk_add_f32 v[28:29], v[28:29], v[128:129] neg_lo:[0,1] neg_hi:[0,1]
	s_delay_alu instid0(VALU_DEP_2) | instskip(NEXT) | instid1(VALU_DEP_1)
	v_pk_fma_f32 v[112:113], v[112:113], v[12:13], v[114:115] op_sel_hi:[1,1,0]
	v_mov_b32_e32 v127, v113
	ds_load_2addr_b64 v[112:115], v116 offset0:51 offset1:52
	v_pk_add_f32 v[18:19], v[18:19], v[126:127] neg_lo:[0,1] neg_hi:[0,1]
	s_wait_dscnt 0x0
	v_pk_mul_f32 v[126:127], v[112:113], v[124:125] op_sel:[0,1]
	v_mul_f32_e32 v124, v115, v125
	s_delay_alu instid0(VALU_DEP_2) | instskip(SKIP_2) | instid1(VALU_DEP_4)
	v_pk_fma_f32 v[128:129], v[112:113], v[122:123], v[126:127] op_sel:[0,0,1] op_sel_hi:[1,1,0] neg_lo:[0,0,1] neg_hi:[0,0,1]
	v_pk_fma_f32 v[112:113], v[112:113], v[122:123], v[126:127] op_sel:[0,0,1] op_sel_hi:[1,0,0]
	v_mov_b32_e32 v112, v115
	v_pk_fma_f32 v[124:125], v[114:115], v[12:13], v[124:125] op_sel_hi:[1,1,0] neg_lo:[0,0,1] neg_hi:[0,0,1]
	s_delay_alu instid0(VALU_DEP_3) | instskip(SKIP_1) | instid1(VALU_DEP_2)
	v_dual_mov_b32 v129, v113 :: v_dual_mov_b32 v113, v114
	v_mul_f32_e32 v114, v115, v122
	v_pk_add_f32 v[16:17], v[16:17], v[128:129] neg_lo:[0,1] neg_hi:[0,1]
	s_delay_alu instid0(VALU_DEP_2) | instskip(NEXT) | instid1(VALU_DEP_1)
	v_pk_fma_f32 v[112:113], v[112:113], v[12:13], v[114:115] op_sel_hi:[1,1,0]
	v_mov_b32_e32 v125, v113
	s_delay_alu instid0(VALU_DEP_1)
	v_pk_add_f32 v[110:111], v[110:111], v[124:125] neg_lo:[0,1] neg_hi:[0,1]
.LBB104_986:
	s_or_b32 exec_lo, exec_lo, s0
	v_lshl_add_u32 v112, v120, 3, v116
	s_barrier_signal -1
	s_barrier_wait -1
	ds_store_b64 v112, v[8:9]
	s_wait_dscnt 0x0
	s_barrier_signal -1
	s_barrier_wait -1
	ds_load_b64 v[112:113], v116 offset:376
	v_mov_b32_e32 v114, 47
	s_cmp_lt_i32 s18, 49
	s_cbranch_scc1 .LBB104_989
; %bb.987:
	v_add3_u32 v115, v117, 0, 0x180
	v_mov_b32_e32 v114, 47
	s_mov_b32 s0, 48
.LBB104_988:                            ; =>This Inner Loop Header: Depth=1
	ds_load_b64 v[122:123], v115
	s_wait_dscnt 0x1
	v_cmp_gt_f32_e32 vcc_lo, 0, v112
	v_cndmask_b32_e64 v124, v112, -v112, vcc_lo
	v_cmp_gt_f32_e32 vcc_lo, 0, v113
	v_cndmask_b32_e64 v126, v113, -v113, vcc_lo
	s_wait_dscnt 0x0
	v_cmp_gt_f32_e32 vcc_lo, 0, v122
	v_cndmask_b32_e64 v125, v122, -v122, vcc_lo
	v_cmp_gt_f32_e32 vcc_lo, 0, v123
	v_cndmask_b32_e64 v127, v123, -v123, vcc_lo
	s_delay_alu instid0(VALU_DEP_1) | instskip(NEXT) | instid1(VALU_DEP_1)
	v_pk_add_f32 v[124:125], v[124:125], v[126:127]
	v_cmp_lt_f32_e32 vcc_lo, v124, v125
	v_dual_cndmask_b32 v112, v112, v122 :: v_dual_add_nc_u32 v115, 8, v115
	v_cndmask_b32_e32 v113, v113, v123, vcc_lo
	v_cndmask_b32_e64 v114, v114, s0, vcc_lo
	s_add_co_i32 s0, s0, 1
	s_delay_alu instid0(SALU_CYCLE_1)
	s_cmp_lg_u32 s18, s0
	s_cbranch_scc1 .LBB104_988
.LBB104_989:
	s_wait_dscnt 0x0
	v_cmp_eq_f32_e32 vcc_lo, 0, v112
	v_cmp_eq_f32_e64 s0, 0, v113
	s_and_b32 s0, vcc_lo, s0
	s_delay_alu instid0(SALU_CYCLE_1) | instskip(NEXT) | instid1(SALU_CYCLE_1)
	s_and_saveexec_b32 s1, s0
	s_xor_b32 s0, exec_lo, s1
; %bb.990:
	v_cmp_ne_u32_e32 vcc_lo, 0, v118
	v_cndmask_b32_e32 v118, 48, v118, vcc_lo
; %bb.991:
	s_and_not1_saveexec_b32 s0, s0
	s_cbranch_execz .LBB104_997
; %bb.992:
	v_cmp_ngt_f32_e64 s1, |v112|, |v113|
	s_and_saveexec_b32 s12, s1
	s_delay_alu instid0(SALU_CYCLE_1)
	s_xor_b32 s1, exec_lo, s12
	s_cbranch_execz .LBB104_994
; %bb.993:
	v_div_scale_f32 v115, null, v113, v113, v112
	v_div_scale_f32 v123, vcc_lo, v112, v113, v112
	s_delay_alu instid0(VALU_DEP_2) | instskip(SKIP_1) | instid1(TRANS32_DEP_1)
	v_rcp_f32_e32 v121, v115
	v_nop
	v_fma_f32 v122, -v115, v121, 1.0
	s_delay_alu instid0(VALU_DEP_1) | instskip(NEXT) | instid1(VALU_DEP_1)
	v_fmac_f32_e32 v121, v122, v121
	v_mul_f32_e32 v122, v123, v121
	s_delay_alu instid0(VALU_DEP_1) | instskip(NEXT) | instid1(VALU_DEP_1)
	v_fma_f32 v124, -v115, v122, v123
	v_fmac_f32_e32 v122, v124, v121
	s_delay_alu instid0(VALU_DEP_1) | instskip(NEXT) | instid1(VALU_DEP_1)
	v_fma_f32 v115, -v115, v122, v123
	v_div_fmas_f32 v115, v115, v121, v122
	s_delay_alu instid0(VALU_DEP_1) | instskip(NEXT) | instid1(VALU_DEP_1)
	v_div_fixup_f32 v115, v115, v113, v112
	v_fmac_f32_e32 v113, v112, v115
	s_delay_alu instid0(VALU_DEP_1) | instskip(SKIP_1) | instid1(VALU_DEP_2)
	v_div_scale_f32 v112, null, v113, v113, 1.0
	v_div_scale_f32 v123, vcc_lo, 1.0, v113, 1.0
	v_rcp_f32_e32 v121, v112
	v_nop
	s_delay_alu instid0(TRANS32_DEP_1) | instskip(NEXT) | instid1(VALU_DEP_1)
	v_fma_f32 v122, -v112, v121, 1.0
	v_fmac_f32_e32 v121, v122, v121
	s_delay_alu instid0(VALU_DEP_1) | instskip(NEXT) | instid1(VALU_DEP_1)
	v_mul_f32_e32 v122, v123, v121
	v_fma_f32 v124, -v112, v122, v123
	s_delay_alu instid0(VALU_DEP_1) | instskip(NEXT) | instid1(VALU_DEP_1)
	v_fmac_f32_e32 v122, v124, v121
	v_fma_f32 v112, -v112, v122, v123
	s_delay_alu instid0(VALU_DEP_1) | instskip(NEXT) | instid1(VALU_DEP_1)
	v_div_fmas_f32 v112, v112, v121, v122
	v_div_fixup_f32 v113, v112, v113, 1.0
	s_delay_alu instid0(VALU_DEP_1)
	v_mul_f32_e32 v112, v115, v113
	v_xor_b32_e32 v113, 0x80000000, v113
.LBB104_994:
	s_and_not1_saveexec_b32 s1, s1
	s_cbranch_execz .LBB104_996
; %bb.995:
	s_delay_alu instid0(VALU_DEP_1) | instskip(SKIP_1) | instid1(VALU_DEP_2)
	v_div_scale_f32 v115, null, v112, v112, v113
	v_div_scale_f32 v123, vcc_lo, v113, v112, v113
	v_rcp_f32_e32 v121, v115
	v_nop
	s_delay_alu instid0(TRANS32_DEP_1) | instskip(NEXT) | instid1(VALU_DEP_1)
	v_fma_f32 v122, -v115, v121, 1.0
	v_fmac_f32_e32 v121, v122, v121
	s_delay_alu instid0(VALU_DEP_1) | instskip(NEXT) | instid1(VALU_DEP_1)
	v_mul_f32_e32 v122, v123, v121
	v_fma_f32 v124, -v115, v122, v123
	s_delay_alu instid0(VALU_DEP_1) | instskip(NEXT) | instid1(VALU_DEP_1)
	v_fmac_f32_e32 v122, v124, v121
	v_fma_f32 v115, -v115, v122, v123
	s_delay_alu instid0(VALU_DEP_1) | instskip(NEXT) | instid1(VALU_DEP_1)
	v_div_fmas_f32 v115, v115, v121, v122
	v_div_fixup_f32 v115, v115, v112, v113
	s_delay_alu instid0(VALU_DEP_1) | instskip(NEXT) | instid1(VALU_DEP_1)
	v_fmac_f32_e32 v112, v113, v115
	v_div_scale_f32 v113, null, v112, v112, 1.0
	s_delay_alu instid0(VALU_DEP_1) | instskip(SKIP_1) | instid1(TRANS32_DEP_1)
	v_rcp_f32_e32 v121, v113
	v_nop
	v_fma_f32 v122, -v113, v121, 1.0
	s_delay_alu instid0(VALU_DEP_1) | instskip(SKIP_1) | instid1(VALU_DEP_1)
	v_fmac_f32_e32 v121, v122, v121
	v_div_scale_f32 v122, vcc_lo, 1.0, v112, 1.0
	v_mul_f32_e32 v123, v122, v121
	s_delay_alu instid0(VALU_DEP_1) | instskip(NEXT) | instid1(VALU_DEP_1)
	v_fma_f32 v124, -v113, v123, v122
	v_fmac_f32_e32 v123, v124, v121
	s_delay_alu instid0(VALU_DEP_1) | instskip(NEXT) | instid1(VALU_DEP_1)
	v_fma_f32 v113, -v113, v123, v122
	v_div_fmas_f32 v113, v113, v121, v123
	s_delay_alu instid0(VALU_DEP_1) | instskip(NEXT) | instid1(VALU_DEP_1)
	v_div_fixup_f32 v112, v113, v112, 1.0
	v_mul_f32_e64 v113, v115, -v112
.LBB104_996:
	s_or_b32 exec_lo, exec_lo, s1
.LBB104_997:
	s_delay_alu instid0(SALU_CYCLE_1) | instskip(NEXT) | instid1(SALU_CYCLE_1)
	s_or_b32 exec_lo, exec_lo, s0
	s_mov_b32 s0, exec_lo
	v_cmpx_ne_u32_e64 v120, v114
	s_xor_b32 s0, exec_lo, s0
	s_cbranch_execz .LBB104_1003
; %bb.998:
	s_mov_b32 s1, exec_lo
	v_cmpx_eq_u32_e32 47, v120
	s_cbranch_execz .LBB104_1002
; %bb.999:
	v_cmp_ne_u32_e32 vcc_lo, 47, v114
	s_xor_b32 s12, s16, -1
	s_delay_alu instid0(SALU_CYCLE_1) | instskip(NEXT) | instid1(SALU_CYCLE_1)
	s_and_b32 s13, s12, vcc_lo
	s_and_saveexec_b32 s12, s13
	s_cbranch_execz .LBB104_1001
; %bb.1000:
	v_ashrrev_i32_e32 v115, 31, v114
	s_delay_alu instid0(VALU_DEP_1)
	v_lshl_add_u64 v[120:121], v[114:115], 2, v[4:5]
	s_clause 0x1
	global_load_b32 v115, v[120:121], off
	global_load_b32 v119, v[4:5], off offset:188
	s_wait_loadcnt 0x1
	global_store_b32 v[4:5], v115, off offset:188
	s_wait_loadcnt 0x0
	global_store_b32 v[120:121], v119, off
.LBB104_1001:
	s_wait_xcnt 0x0
	s_or_b32 exec_lo, exec_lo, s12
	v_dual_mov_b32 v120, v114 :: v_dual_mov_b32 v119, v114
.LBB104_1002:
	s_or_b32 exec_lo, exec_lo, s1
.LBB104_1003:
	s_and_not1_saveexec_b32 s0, s0
	s_cbranch_execz .LBB104_1005
; %bb.1004:
	v_dual_mov_b32 v114, v6 :: v_dual_mov_b32 v115, v7
	v_dual_mov_b32 v122, v28 :: v_dual_mov_b32 v123, v29
	;; [unrolled: 1-line block ×4, first 2 shown]
	v_mov_b32_e32 v127, v17
	ds_store_2addr_b64 v116, v[114:115], v[122:123] offset0:48 offset1:49
	ds_store_2addr_b64 v116, v[124:125], v[126:127] offset0:50 offset1:51
	ds_store_b64 v116, v[110:111] offset:416
.LBB104_1005:
	s_or_b32 exec_lo, exec_lo, s0
	s_delay_alu instid0(SALU_CYCLE_1)
	s_mov_b32 s0, exec_lo
	s_wait_storecnt_dscnt 0x0
	s_barrier_signal -1
	s_barrier_wait -1
	v_cmpx_lt_i32_e32 47, v120
	s_cbranch_execz .LBB104_1007
; %bb.1006:
	ds_load_2addr_b64 v[122:125], v116 offset0:48 offset1:49
	ds_load_2addr_b64 v[126:129], v116 offset0:50 offset1:51
	ds_load_b64 v[114:115], v116 offset:416
	v_pk_mul_f32 v[130:131], v[112:113], v[8:9] op_sel:[1,1] op_sel_hi:[0,1]
	s_delay_alu instid0(VALU_DEP_1) | instskip(SKIP_1) | instid1(VALU_DEP_1)
	v_pk_fma_f32 v[132:133], v[112:113], v[8:9], v[130:131] op_sel_hi:[1,0,1] neg_lo:[0,0,1] neg_hi:[0,0,1]
	v_pk_fma_f32 v[112:113], v[112:113], v[8:9], v[130:131] op_sel_hi:[1,0,1]
	v_dual_mov_b32 v8, v132 :: v_dual_mov_b32 v9, v113
	s_wait_dscnt 0x2
	s_delay_alu instid0(VALU_DEP_2)
	v_pk_mul_f32 v[130:131], v[122:123], v[112:113] op_sel:[0,1]
	v_pk_mul_f32 v[134:135], v[124:125], v[112:113] op_sel:[0,1]
	s_wait_dscnt 0x1
	v_pk_mul_f32 v[136:137], v[126:127], v[112:113] op_sel:[0,1]
	v_dual_mov_b32 v138, v129 :: v_dual_mov_b32 v139, v128
	v_dual_mul_f32 v140, v129, v113 :: v_dual_mul_f32 v142, v129, v132
	s_wait_dscnt 0x0
	v_pk_mul_f32 v[112:113], v[114:115], v[112:113] op_sel:[0,1]
	v_pk_fma_f32 v[144:145], v[122:123], v[132:133], v[130:131] op_sel:[0,0,1] op_sel_hi:[1,1,0] neg_lo:[0,0,1] neg_hi:[0,0,1]
	v_pk_fma_f32 v[122:123], v[122:123], v[132:133], v[130:131] op_sel:[0,0,1] op_sel_hi:[1,0,0]
	v_pk_fma_f32 v[130:131], v[124:125], v[132:133], v[134:135] op_sel:[0,0,1] op_sel_hi:[1,1,0] neg_lo:[0,0,1] neg_hi:[0,0,1]
	v_pk_fma_f32 v[124:125], v[124:125], v[132:133], v[134:135] op_sel:[0,0,1] op_sel_hi:[1,0,0]
	;; [unrolled: 2-line block ×3, first 2 shown]
	v_pk_fma_f32 v[136:137], v[138:139], v[8:9], v[142:143] op_sel_hi:[1,1,0]
	v_pk_fma_f32 v[138:139], v[114:115], v[132:133], v[112:113] op_sel:[0,0,1] op_sel_hi:[1,1,0] neg_lo:[0,0,1] neg_hi:[0,0,1]
	v_pk_fma_f32 v[112:113], v[114:115], v[132:133], v[112:113] op_sel:[0,0,1] op_sel_hi:[1,0,0]
	v_pk_fma_f32 v[128:129], v[128:129], v[8:9], v[140:141] op_sel_hi:[1,1,0] neg_lo:[0,0,1] neg_hi:[0,0,1]
	v_dual_mov_b32 v145, v123 :: v_dual_mov_b32 v131, v125
	v_dual_mov_b32 v135, v127 :: v_dual_mov_b32 v129, v137
	s_delay_alu instid0(VALU_DEP_4) | instskip(NEXT) | instid1(VALU_DEP_3)
	v_mov_b32_e32 v139, v113
	v_pk_add_f32 v[6:7], v[6:7], v[144:145] neg_lo:[0,1] neg_hi:[0,1]
	s_delay_alu instid0(VALU_DEP_4) | instskip(NEXT) | instid1(VALU_DEP_4)
	v_pk_add_f32 v[28:29], v[28:29], v[130:131] neg_lo:[0,1] neg_hi:[0,1]
	v_pk_add_f32 v[18:19], v[18:19], v[134:135] neg_lo:[0,1] neg_hi:[0,1]
	;; [unrolled: 1-line block ×4, first 2 shown]
.LBB104_1007:
	s_or_b32 exec_lo, exec_lo, s0
	v_lshl_add_u32 v112, v120, 3, v116
	s_barrier_signal -1
	s_barrier_wait -1
	ds_store_b64 v112, v[6:7]
	s_wait_dscnt 0x0
	s_barrier_signal -1
	s_barrier_wait -1
	ds_load_b64 v[112:113], v116 offset:384
	v_mov_b32_e32 v114, 48
	s_cmp_lt_i32 s18, 50
	s_cbranch_scc1 .LBB104_1010
; %bb.1008:
	v_add3_u32 v115, v117, 0, 0x188
	v_mov_b32_e32 v114, 48
	s_mov_b32 s0, 49
.LBB104_1009:                           ; =>This Inner Loop Header: Depth=1
	ds_load_b64 v[122:123], v115
	s_wait_dscnt 0x1
	v_cmp_gt_f32_e32 vcc_lo, 0, v112
	v_cndmask_b32_e64 v124, v112, -v112, vcc_lo
	v_cmp_gt_f32_e32 vcc_lo, 0, v113
	v_cndmask_b32_e64 v126, v113, -v113, vcc_lo
	s_wait_dscnt 0x0
	v_cmp_gt_f32_e32 vcc_lo, 0, v122
	v_cndmask_b32_e64 v125, v122, -v122, vcc_lo
	v_cmp_gt_f32_e32 vcc_lo, 0, v123
	v_cndmask_b32_e64 v127, v123, -v123, vcc_lo
	s_delay_alu instid0(VALU_DEP_1) | instskip(NEXT) | instid1(VALU_DEP_1)
	v_pk_add_f32 v[124:125], v[124:125], v[126:127]
	v_cmp_lt_f32_e32 vcc_lo, v124, v125
	v_dual_cndmask_b32 v112, v112, v122 :: v_dual_add_nc_u32 v115, 8, v115
	v_cndmask_b32_e32 v113, v113, v123, vcc_lo
	v_cndmask_b32_e64 v114, v114, s0, vcc_lo
	s_add_co_i32 s0, s0, 1
	s_delay_alu instid0(SALU_CYCLE_1)
	s_cmp_lg_u32 s18, s0
	s_cbranch_scc1 .LBB104_1009
.LBB104_1010:
	s_wait_dscnt 0x0
	v_cmp_eq_f32_e32 vcc_lo, 0, v112
	v_cmp_eq_f32_e64 s0, 0, v113
	s_and_b32 s0, vcc_lo, s0
	s_delay_alu instid0(SALU_CYCLE_1) | instskip(NEXT) | instid1(SALU_CYCLE_1)
	s_and_saveexec_b32 s1, s0
	s_xor_b32 s0, exec_lo, s1
; %bb.1011:
	v_cmp_ne_u32_e32 vcc_lo, 0, v118
	v_cndmask_b32_e32 v118, 49, v118, vcc_lo
; %bb.1012:
	s_and_not1_saveexec_b32 s0, s0
	s_cbranch_execz .LBB104_1018
; %bb.1013:
	v_cmp_ngt_f32_e64 s1, |v112|, |v113|
	s_and_saveexec_b32 s12, s1
	s_delay_alu instid0(SALU_CYCLE_1)
	s_xor_b32 s1, exec_lo, s12
	s_cbranch_execz .LBB104_1015
; %bb.1014:
	v_div_scale_f32 v115, null, v113, v113, v112
	v_div_scale_f32 v123, vcc_lo, v112, v113, v112
	s_delay_alu instid0(VALU_DEP_2) | instskip(SKIP_1) | instid1(TRANS32_DEP_1)
	v_rcp_f32_e32 v121, v115
	v_nop
	v_fma_f32 v122, -v115, v121, 1.0
	s_delay_alu instid0(VALU_DEP_1) | instskip(NEXT) | instid1(VALU_DEP_1)
	v_fmac_f32_e32 v121, v122, v121
	v_mul_f32_e32 v122, v123, v121
	s_delay_alu instid0(VALU_DEP_1) | instskip(NEXT) | instid1(VALU_DEP_1)
	v_fma_f32 v124, -v115, v122, v123
	v_fmac_f32_e32 v122, v124, v121
	s_delay_alu instid0(VALU_DEP_1) | instskip(NEXT) | instid1(VALU_DEP_1)
	v_fma_f32 v115, -v115, v122, v123
	v_div_fmas_f32 v115, v115, v121, v122
	s_delay_alu instid0(VALU_DEP_1) | instskip(NEXT) | instid1(VALU_DEP_1)
	v_div_fixup_f32 v115, v115, v113, v112
	v_fmac_f32_e32 v113, v112, v115
	s_delay_alu instid0(VALU_DEP_1) | instskip(SKIP_1) | instid1(VALU_DEP_2)
	v_div_scale_f32 v112, null, v113, v113, 1.0
	v_div_scale_f32 v123, vcc_lo, 1.0, v113, 1.0
	v_rcp_f32_e32 v121, v112
	v_nop
	s_delay_alu instid0(TRANS32_DEP_1) | instskip(NEXT) | instid1(VALU_DEP_1)
	v_fma_f32 v122, -v112, v121, 1.0
	v_fmac_f32_e32 v121, v122, v121
	s_delay_alu instid0(VALU_DEP_1) | instskip(NEXT) | instid1(VALU_DEP_1)
	v_mul_f32_e32 v122, v123, v121
	v_fma_f32 v124, -v112, v122, v123
	s_delay_alu instid0(VALU_DEP_1) | instskip(NEXT) | instid1(VALU_DEP_1)
	v_fmac_f32_e32 v122, v124, v121
	v_fma_f32 v112, -v112, v122, v123
	s_delay_alu instid0(VALU_DEP_1) | instskip(NEXT) | instid1(VALU_DEP_1)
	v_div_fmas_f32 v112, v112, v121, v122
	v_div_fixup_f32 v113, v112, v113, 1.0
	s_delay_alu instid0(VALU_DEP_1)
	v_mul_f32_e32 v112, v115, v113
	v_xor_b32_e32 v113, 0x80000000, v113
.LBB104_1015:
	s_and_not1_saveexec_b32 s1, s1
	s_cbranch_execz .LBB104_1017
; %bb.1016:
	s_delay_alu instid0(VALU_DEP_1) | instskip(SKIP_1) | instid1(VALU_DEP_2)
	v_div_scale_f32 v115, null, v112, v112, v113
	v_div_scale_f32 v123, vcc_lo, v113, v112, v113
	v_rcp_f32_e32 v121, v115
	v_nop
	s_delay_alu instid0(TRANS32_DEP_1) | instskip(NEXT) | instid1(VALU_DEP_1)
	v_fma_f32 v122, -v115, v121, 1.0
	v_fmac_f32_e32 v121, v122, v121
	s_delay_alu instid0(VALU_DEP_1) | instskip(NEXT) | instid1(VALU_DEP_1)
	v_mul_f32_e32 v122, v123, v121
	v_fma_f32 v124, -v115, v122, v123
	s_delay_alu instid0(VALU_DEP_1) | instskip(NEXT) | instid1(VALU_DEP_1)
	v_fmac_f32_e32 v122, v124, v121
	v_fma_f32 v115, -v115, v122, v123
	s_delay_alu instid0(VALU_DEP_1) | instskip(NEXT) | instid1(VALU_DEP_1)
	v_div_fmas_f32 v115, v115, v121, v122
	v_div_fixup_f32 v115, v115, v112, v113
	s_delay_alu instid0(VALU_DEP_1) | instskip(NEXT) | instid1(VALU_DEP_1)
	v_fmac_f32_e32 v112, v113, v115
	v_div_scale_f32 v113, null, v112, v112, 1.0
	s_delay_alu instid0(VALU_DEP_1) | instskip(SKIP_1) | instid1(TRANS32_DEP_1)
	v_rcp_f32_e32 v121, v113
	v_nop
	v_fma_f32 v122, -v113, v121, 1.0
	s_delay_alu instid0(VALU_DEP_1) | instskip(SKIP_1) | instid1(VALU_DEP_1)
	v_fmac_f32_e32 v121, v122, v121
	v_div_scale_f32 v122, vcc_lo, 1.0, v112, 1.0
	v_mul_f32_e32 v123, v122, v121
	s_delay_alu instid0(VALU_DEP_1) | instskip(NEXT) | instid1(VALU_DEP_1)
	v_fma_f32 v124, -v113, v123, v122
	v_fmac_f32_e32 v123, v124, v121
	s_delay_alu instid0(VALU_DEP_1) | instskip(NEXT) | instid1(VALU_DEP_1)
	v_fma_f32 v113, -v113, v123, v122
	v_div_fmas_f32 v113, v113, v121, v123
	s_delay_alu instid0(VALU_DEP_1) | instskip(NEXT) | instid1(VALU_DEP_1)
	v_div_fixup_f32 v112, v113, v112, 1.0
	v_mul_f32_e64 v113, v115, -v112
.LBB104_1017:
	s_or_b32 exec_lo, exec_lo, s1
.LBB104_1018:
	s_delay_alu instid0(SALU_CYCLE_1) | instskip(NEXT) | instid1(SALU_CYCLE_1)
	s_or_b32 exec_lo, exec_lo, s0
	s_mov_b32 s0, exec_lo
	v_cmpx_ne_u32_e64 v120, v114
	s_xor_b32 s0, exec_lo, s0
	s_cbranch_execz .LBB104_1024
; %bb.1019:
	s_mov_b32 s1, exec_lo
	v_cmpx_eq_u32_e32 48, v120
	s_cbranch_execz .LBB104_1023
; %bb.1020:
	v_cmp_ne_u32_e32 vcc_lo, 48, v114
	s_xor_b32 s12, s16, -1
	s_delay_alu instid0(SALU_CYCLE_1) | instskip(NEXT) | instid1(SALU_CYCLE_1)
	s_and_b32 s13, s12, vcc_lo
	s_and_saveexec_b32 s12, s13
	s_cbranch_execz .LBB104_1022
; %bb.1021:
	v_ashrrev_i32_e32 v115, 31, v114
	s_delay_alu instid0(VALU_DEP_1)
	v_lshl_add_u64 v[120:121], v[114:115], 2, v[4:5]
	s_clause 0x1
	global_load_b32 v115, v[120:121], off
	global_load_b32 v119, v[4:5], off offset:192
	s_wait_loadcnt 0x1
	global_store_b32 v[4:5], v115, off offset:192
	s_wait_loadcnt 0x0
	global_store_b32 v[120:121], v119, off
.LBB104_1022:
	s_wait_xcnt 0x0
	s_or_b32 exec_lo, exec_lo, s12
	v_dual_mov_b32 v120, v114 :: v_dual_mov_b32 v119, v114
.LBB104_1023:
	s_or_b32 exec_lo, exec_lo, s1
.LBB104_1024:
	s_and_not1_saveexec_b32 s0, s0
	s_cbranch_execz .LBB104_1026
; %bb.1025:
	v_mov_b32_e32 v120, 48
	ds_store_2addr_b64 v116, v[28:29], v[18:19] offset0:49 offset1:50
	ds_store_2addr_b64 v116, v[16:17], v[110:111] offset0:51 offset1:52
.LBB104_1026:
	s_or_b32 exec_lo, exec_lo, s0
	s_delay_alu instid0(SALU_CYCLE_1)
	s_mov_b32 s0, exec_lo
	s_wait_storecnt_dscnt 0x0
	s_barrier_signal -1
	s_barrier_wait -1
	v_cmpx_lt_i32_e32 48, v120
	s_cbranch_execz .LBB104_1028
; %bb.1027:
	ds_load_2addr_b64 v[122:125], v116 offset0:49 offset1:50
	ds_load_2addr_b64 v[126:129], v116 offset0:51 offset1:52
	v_pk_mul_f32 v[114:115], v[112:113], v[6:7] op_sel:[1,1] op_sel_hi:[0,1]
	s_delay_alu instid0(VALU_DEP_1) | instskip(SKIP_1) | instid1(VALU_DEP_1)
	v_pk_fma_f32 v[130:131], v[112:113], v[6:7], v[114:115] op_sel_hi:[1,0,1] neg_lo:[0,0,1] neg_hi:[0,0,1]
	v_pk_fma_f32 v[112:113], v[112:113], v[6:7], v[114:115] op_sel_hi:[1,0,1]
	v_dual_mov_b32 v6, v130 :: v_dual_mov_b32 v7, v113
	s_wait_dscnt 0x1
	s_delay_alu instid0(VALU_DEP_2)
	v_pk_mul_f32 v[114:115], v[122:123], v[112:113] op_sel:[0,1]
	s_wait_dscnt 0x0
	v_mov_b32_e32 v132, v129
	v_pk_mul_f32 v[134:135], v[124:125], v[112:113] op_sel:[0,1]
	v_pk_mul_f32 v[136:137], v[126:127], v[112:113] op_sel:[0,1]
	v_pk_fma_f32 v[138:139], v[122:123], v[130:131], v[114:115] op_sel:[0,0,1] op_sel_hi:[1,1,0] neg_lo:[0,0,1] neg_hi:[0,0,1]
	v_pk_fma_f32 v[114:115], v[122:123], v[130:131], v[114:115] op_sel:[0,0,1] op_sel_hi:[1,0,0]
	s_delay_alu instid0(VALU_DEP_1) | instskip(NEXT) | instid1(VALU_DEP_1)
	v_dual_mov_b32 v133, v128 :: v_dual_mov_b32 v139, v115
	v_pk_mul_f32 v[122:123], v[132:133], v[112:113] op_sel:[0,1]
	v_pk_fma_f32 v[132:133], v[124:125], v[130:131], v[134:135] op_sel:[0,0,1] op_sel_hi:[1,0,0]
	v_pk_fma_f32 v[124:125], v[124:125], v[130:131], v[134:135] op_sel:[0,0,1] op_sel_hi:[1,1,0] neg_lo:[0,0,1] neg_hi:[0,0,1]
	v_pk_fma_f32 v[134:135], v[126:127], v[130:131], v[136:137] op_sel:[0,0,1] op_sel_hi:[1,0,0]
	v_pk_fma_f32 v[126:127], v[126:127], v[130:131], v[136:137] op_sel:[0,0,1] op_sel_hi:[1,1,0] neg_lo:[0,0,1] neg_hi:[0,0,1]
	v_pk_fma_f32 v[114:115], v[128:129], v[130:131], v[122:123] op_sel_hi:[1,0,1]
	v_pk_fma_f32 v[122:123], v[128:129], v[130:131], v[122:123] neg_lo:[0,0,1] neg_hi:[0,0,1]
	s_delay_alu instid0(VALU_DEP_4) | instskip(SKIP_1) | instid1(VALU_DEP_4)
	v_dual_mov_b32 v125, v133 :: v_dual_mov_b32 v127, v135
	v_pk_add_f32 v[28:29], v[28:29], v[138:139] neg_lo:[0,1] neg_hi:[0,1]
	v_mov_b32_e32 v123, v115
	s_delay_alu instid0(VALU_DEP_3) | instskip(NEXT) | instid1(VALU_DEP_4)
	v_pk_add_f32 v[18:19], v[18:19], v[124:125] neg_lo:[0,1] neg_hi:[0,1]
	v_pk_add_f32 v[16:17], v[16:17], v[126:127] neg_lo:[0,1] neg_hi:[0,1]
	s_delay_alu instid0(VALU_DEP_3)
	v_pk_add_f32 v[110:111], v[110:111], v[122:123] neg_lo:[0,1] neg_hi:[0,1]
.LBB104_1028:
	s_or_b32 exec_lo, exec_lo, s0
	v_lshl_add_u32 v112, v120, 3, v116
	s_barrier_signal -1
	s_barrier_wait -1
	ds_store_b64 v112, v[28:29]
	s_wait_dscnt 0x0
	s_barrier_signal -1
	s_barrier_wait -1
	ds_load_b64 v[112:113], v116 offset:392
	v_mov_b32_e32 v114, 49
	s_cmp_lt_i32 s18, 51
	s_cbranch_scc1 .LBB104_1031
; %bb.1029:
	v_add3_u32 v115, v117, 0, 0x190
	v_mov_b32_e32 v114, 49
	s_mov_b32 s0, 50
.LBB104_1030:                           ; =>This Inner Loop Header: Depth=1
	ds_load_b64 v[122:123], v115
	s_wait_dscnt 0x1
	v_cmp_gt_f32_e32 vcc_lo, 0, v112
	v_cndmask_b32_e64 v124, v112, -v112, vcc_lo
	v_cmp_gt_f32_e32 vcc_lo, 0, v113
	v_cndmask_b32_e64 v126, v113, -v113, vcc_lo
	s_wait_dscnt 0x0
	v_cmp_gt_f32_e32 vcc_lo, 0, v122
	v_cndmask_b32_e64 v125, v122, -v122, vcc_lo
	v_cmp_gt_f32_e32 vcc_lo, 0, v123
	v_cndmask_b32_e64 v127, v123, -v123, vcc_lo
	s_delay_alu instid0(VALU_DEP_1) | instskip(NEXT) | instid1(VALU_DEP_1)
	v_pk_add_f32 v[124:125], v[124:125], v[126:127]
	v_cmp_lt_f32_e32 vcc_lo, v124, v125
	v_dual_cndmask_b32 v112, v112, v122 :: v_dual_add_nc_u32 v115, 8, v115
	v_cndmask_b32_e32 v113, v113, v123, vcc_lo
	v_cndmask_b32_e64 v114, v114, s0, vcc_lo
	s_add_co_i32 s0, s0, 1
	s_delay_alu instid0(SALU_CYCLE_1)
	s_cmp_lg_u32 s18, s0
	s_cbranch_scc1 .LBB104_1030
.LBB104_1031:
	s_wait_dscnt 0x0
	v_cmp_eq_f32_e32 vcc_lo, 0, v112
	v_cmp_eq_f32_e64 s0, 0, v113
	s_and_b32 s0, vcc_lo, s0
	s_delay_alu instid0(SALU_CYCLE_1) | instskip(NEXT) | instid1(SALU_CYCLE_1)
	s_and_saveexec_b32 s1, s0
	s_xor_b32 s0, exec_lo, s1
; %bb.1032:
	v_cmp_ne_u32_e32 vcc_lo, 0, v118
	v_cndmask_b32_e32 v118, 50, v118, vcc_lo
; %bb.1033:
	s_and_not1_saveexec_b32 s0, s0
	s_cbranch_execz .LBB104_1039
; %bb.1034:
	v_cmp_ngt_f32_e64 s1, |v112|, |v113|
	s_and_saveexec_b32 s12, s1
	s_delay_alu instid0(SALU_CYCLE_1)
	s_xor_b32 s1, exec_lo, s12
	s_cbranch_execz .LBB104_1036
; %bb.1035:
	v_div_scale_f32 v115, null, v113, v113, v112
	v_div_scale_f32 v123, vcc_lo, v112, v113, v112
	s_delay_alu instid0(VALU_DEP_2) | instskip(SKIP_1) | instid1(TRANS32_DEP_1)
	v_rcp_f32_e32 v121, v115
	v_nop
	v_fma_f32 v122, -v115, v121, 1.0
	s_delay_alu instid0(VALU_DEP_1) | instskip(NEXT) | instid1(VALU_DEP_1)
	v_fmac_f32_e32 v121, v122, v121
	v_mul_f32_e32 v122, v123, v121
	s_delay_alu instid0(VALU_DEP_1) | instskip(NEXT) | instid1(VALU_DEP_1)
	v_fma_f32 v124, -v115, v122, v123
	v_fmac_f32_e32 v122, v124, v121
	s_delay_alu instid0(VALU_DEP_1) | instskip(NEXT) | instid1(VALU_DEP_1)
	v_fma_f32 v115, -v115, v122, v123
	v_div_fmas_f32 v115, v115, v121, v122
	s_delay_alu instid0(VALU_DEP_1) | instskip(NEXT) | instid1(VALU_DEP_1)
	v_div_fixup_f32 v115, v115, v113, v112
	v_fmac_f32_e32 v113, v112, v115
	s_delay_alu instid0(VALU_DEP_1) | instskip(SKIP_1) | instid1(VALU_DEP_2)
	v_div_scale_f32 v112, null, v113, v113, 1.0
	v_div_scale_f32 v123, vcc_lo, 1.0, v113, 1.0
	v_rcp_f32_e32 v121, v112
	v_nop
	s_delay_alu instid0(TRANS32_DEP_1) | instskip(NEXT) | instid1(VALU_DEP_1)
	v_fma_f32 v122, -v112, v121, 1.0
	v_fmac_f32_e32 v121, v122, v121
	s_delay_alu instid0(VALU_DEP_1) | instskip(NEXT) | instid1(VALU_DEP_1)
	v_mul_f32_e32 v122, v123, v121
	v_fma_f32 v124, -v112, v122, v123
	s_delay_alu instid0(VALU_DEP_1) | instskip(NEXT) | instid1(VALU_DEP_1)
	v_fmac_f32_e32 v122, v124, v121
	v_fma_f32 v112, -v112, v122, v123
	s_delay_alu instid0(VALU_DEP_1) | instskip(NEXT) | instid1(VALU_DEP_1)
	v_div_fmas_f32 v112, v112, v121, v122
	v_div_fixup_f32 v113, v112, v113, 1.0
	s_delay_alu instid0(VALU_DEP_1)
	v_mul_f32_e32 v112, v115, v113
	v_xor_b32_e32 v113, 0x80000000, v113
.LBB104_1036:
	s_and_not1_saveexec_b32 s1, s1
	s_cbranch_execz .LBB104_1038
; %bb.1037:
	s_delay_alu instid0(VALU_DEP_1) | instskip(SKIP_1) | instid1(VALU_DEP_2)
	v_div_scale_f32 v115, null, v112, v112, v113
	v_div_scale_f32 v123, vcc_lo, v113, v112, v113
	v_rcp_f32_e32 v121, v115
	v_nop
	s_delay_alu instid0(TRANS32_DEP_1) | instskip(NEXT) | instid1(VALU_DEP_1)
	v_fma_f32 v122, -v115, v121, 1.0
	v_fmac_f32_e32 v121, v122, v121
	s_delay_alu instid0(VALU_DEP_1) | instskip(NEXT) | instid1(VALU_DEP_1)
	v_mul_f32_e32 v122, v123, v121
	v_fma_f32 v124, -v115, v122, v123
	s_delay_alu instid0(VALU_DEP_1) | instskip(NEXT) | instid1(VALU_DEP_1)
	v_fmac_f32_e32 v122, v124, v121
	v_fma_f32 v115, -v115, v122, v123
	s_delay_alu instid0(VALU_DEP_1) | instskip(NEXT) | instid1(VALU_DEP_1)
	v_div_fmas_f32 v115, v115, v121, v122
	v_div_fixup_f32 v115, v115, v112, v113
	s_delay_alu instid0(VALU_DEP_1) | instskip(NEXT) | instid1(VALU_DEP_1)
	v_fmac_f32_e32 v112, v113, v115
	v_div_scale_f32 v113, null, v112, v112, 1.0
	s_delay_alu instid0(VALU_DEP_1) | instskip(SKIP_1) | instid1(TRANS32_DEP_1)
	v_rcp_f32_e32 v121, v113
	v_nop
	v_fma_f32 v122, -v113, v121, 1.0
	s_delay_alu instid0(VALU_DEP_1) | instskip(SKIP_1) | instid1(VALU_DEP_1)
	v_fmac_f32_e32 v121, v122, v121
	v_div_scale_f32 v122, vcc_lo, 1.0, v112, 1.0
	v_mul_f32_e32 v123, v122, v121
	s_delay_alu instid0(VALU_DEP_1) | instskip(NEXT) | instid1(VALU_DEP_1)
	v_fma_f32 v124, -v113, v123, v122
	v_fmac_f32_e32 v123, v124, v121
	s_delay_alu instid0(VALU_DEP_1) | instskip(NEXT) | instid1(VALU_DEP_1)
	v_fma_f32 v113, -v113, v123, v122
	v_div_fmas_f32 v113, v113, v121, v123
	s_delay_alu instid0(VALU_DEP_1) | instskip(NEXT) | instid1(VALU_DEP_1)
	v_div_fixup_f32 v112, v113, v112, 1.0
	v_mul_f32_e64 v113, v115, -v112
.LBB104_1038:
	s_or_b32 exec_lo, exec_lo, s1
.LBB104_1039:
	s_delay_alu instid0(SALU_CYCLE_1) | instskip(NEXT) | instid1(SALU_CYCLE_1)
	s_or_b32 exec_lo, exec_lo, s0
	s_mov_b32 s0, exec_lo
	v_cmpx_ne_u32_e64 v120, v114
	s_xor_b32 s0, exec_lo, s0
	s_cbranch_execz .LBB104_1045
; %bb.1040:
	s_mov_b32 s1, exec_lo
	v_cmpx_eq_u32_e32 49, v120
	s_cbranch_execz .LBB104_1044
; %bb.1041:
	v_cmp_ne_u32_e32 vcc_lo, 49, v114
	s_xor_b32 s12, s16, -1
	s_delay_alu instid0(SALU_CYCLE_1) | instskip(NEXT) | instid1(SALU_CYCLE_1)
	s_and_b32 s13, s12, vcc_lo
	s_and_saveexec_b32 s12, s13
	s_cbranch_execz .LBB104_1043
; %bb.1042:
	v_ashrrev_i32_e32 v115, 31, v114
	s_delay_alu instid0(VALU_DEP_1)
	v_lshl_add_u64 v[120:121], v[114:115], 2, v[4:5]
	s_clause 0x1
	global_load_b32 v115, v[120:121], off
	global_load_b32 v119, v[4:5], off offset:196
	s_wait_loadcnt 0x1
	global_store_b32 v[4:5], v115, off offset:196
	s_wait_loadcnt 0x0
	global_store_b32 v[120:121], v119, off
.LBB104_1043:
	s_wait_xcnt 0x0
	s_or_b32 exec_lo, exec_lo, s12
	v_dual_mov_b32 v120, v114 :: v_dual_mov_b32 v119, v114
.LBB104_1044:
	s_or_b32 exec_lo, exec_lo, s1
.LBB104_1045:
	s_and_not1_saveexec_b32 s0, s0
	s_cbranch_execz .LBB104_1047
; %bb.1046:
	v_dual_mov_b32 v114, v18 :: v_dual_mov_b32 v115, v19
	v_dual_mov_b32 v122, v16 :: v_dual_mov_b32 v123, v17
	v_mov_b32_e32 v120, 49
	ds_store_2addr_b64 v116, v[114:115], v[122:123] offset0:50 offset1:51
	ds_store_b64 v116, v[110:111] offset:416
.LBB104_1047:
	s_or_b32 exec_lo, exec_lo, s0
	s_delay_alu instid0(SALU_CYCLE_1)
	s_mov_b32 s0, exec_lo
	s_wait_storecnt_dscnt 0x0
	s_barrier_signal -1
	s_barrier_wait -1
	v_cmpx_lt_i32_e32 49, v120
	s_cbranch_execz .LBB104_1049
; %bb.1048:
	ds_load_2addr_b64 v[122:125], v116 offset0:50 offset1:51
	ds_load_b64 v[114:115], v116 offset:416
	v_pk_mul_f32 v[126:127], v[112:113], v[28:29] op_sel:[1,1] op_sel_hi:[0,1]
	s_delay_alu instid0(VALU_DEP_1) | instskip(SKIP_2) | instid1(VALU_DEP_2)
	v_pk_fma_f32 v[128:129], v[112:113], v[28:29], v[126:127] op_sel_hi:[1,0,1]
	v_pk_fma_f32 v[28:29], v[112:113], v[28:29], v[126:127] op_sel_hi:[1,0,1] neg_lo:[0,0,1] neg_hi:[0,0,1]
	s_wait_dscnt 0x1
	v_pk_mul_f32 v[112:113], v[122:123], v[128:129] op_sel:[0,1]
	v_pk_mul_f32 v[126:127], v[124:125], v[128:129] op_sel:[0,1]
	s_wait_dscnt 0x0
	v_pk_mul_f32 v[130:131], v[114:115], v[128:129] op_sel:[1,1] op_sel_hi:[0,1]
	s_delay_alu instid0(VALU_DEP_3) | instskip(SKIP_2) | instid1(VALU_DEP_4)
	v_pk_fma_f32 v[132:133], v[122:123], v[28:29], v[112:113] op_sel:[0,0,1] op_sel_hi:[1,1,0] neg_lo:[0,0,1] neg_hi:[0,0,1]
	v_pk_fma_f32 v[112:113], v[122:123], v[28:29], v[112:113] op_sel:[0,0,1] op_sel_hi:[1,0,0]
	v_pk_fma_f32 v[122:123], v[124:125], v[28:29], v[126:127] op_sel:[0,0,1] op_sel_hi:[1,0,0]
	v_pk_fma_f32 v[134:135], v[114:115], v[28:29], v[130:131] op_sel_hi:[1,0,1]
	v_pk_fma_f32 v[124:125], v[124:125], v[28:29], v[126:127] op_sel:[0,0,1] op_sel_hi:[1,1,0] neg_lo:[0,0,1] neg_hi:[0,0,1]
	v_pk_fma_f32 v[114:115], v[114:115], v[28:29], v[130:131] neg_lo:[0,0,1] neg_hi:[0,0,1]
	s_delay_alu instid0(VALU_DEP_4) | instskip(NEXT) | instid1(VALU_DEP_4)
	v_dual_mov_b32 v133, v113 :: v_dual_mov_b32 v125, v123
	v_dual_mov_b32 v115, v135 :: v_dual_mov_b32 v29, v129
	s_delay_alu instid0(VALU_DEP_2) | instskip(NEXT) | instid1(VALU_DEP_3)
	v_pk_add_f32 v[18:19], v[18:19], v[132:133] neg_lo:[0,1] neg_hi:[0,1]
	v_pk_add_f32 v[16:17], v[16:17], v[124:125] neg_lo:[0,1] neg_hi:[0,1]
	s_delay_alu instid0(VALU_DEP_3)
	v_pk_add_f32 v[110:111], v[110:111], v[114:115] neg_lo:[0,1] neg_hi:[0,1]
.LBB104_1049:
	s_or_b32 exec_lo, exec_lo, s0
	v_lshl_add_u32 v112, v120, 3, v116
	s_barrier_signal -1
	s_barrier_wait -1
	ds_store_b64 v112, v[18:19]
	s_wait_dscnt 0x0
	s_barrier_signal -1
	s_barrier_wait -1
	ds_load_b64 v[112:113], v116 offset:400
	v_mov_b32_e32 v114, 50
	s_cmp_lt_i32 s18, 52
	s_cbranch_scc1 .LBB104_1052
; %bb.1050:
	v_add3_u32 v115, v117, 0, 0x198
	v_mov_b32_e32 v114, 50
	s_mov_b32 s0, 51
.LBB104_1051:                           ; =>This Inner Loop Header: Depth=1
	ds_load_b64 v[122:123], v115
	s_wait_dscnt 0x1
	v_cmp_gt_f32_e32 vcc_lo, 0, v112
	v_cndmask_b32_e64 v124, v112, -v112, vcc_lo
	v_cmp_gt_f32_e32 vcc_lo, 0, v113
	v_cndmask_b32_e64 v126, v113, -v113, vcc_lo
	s_wait_dscnt 0x0
	v_cmp_gt_f32_e32 vcc_lo, 0, v122
	v_cndmask_b32_e64 v125, v122, -v122, vcc_lo
	v_cmp_gt_f32_e32 vcc_lo, 0, v123
	v_cndmask_b32_e64 v127, v123, -v123, vcc_lo
	s_delay_alu instid0(VALU_DEP_1) | instskip(NEXT) | instid1(VALU_DEP_1)
	v_pk_add_f32 v[124:125], v[124:125], v[126:127]
	v_cmp_lt_f32_e32 vcc_lo, v124, v125
	v_dual_cndmask_b32 v112, v112, v122 :: v_dual_add_nc_u32 v115, 8, v115
	v_cndmask_b32_e32 v113, v113, v123, vcc_lo
	v_cndmask_b32_e64 v114, v114, s0, vcc_lo
	s_add_co_i32 s0, s0, 1
	s_delay_alu instid0(SALU_CYCLE_1)
	s_cmp_lg_u32 s18, s0
	s_cbranch_scc1 .LBB104_1051
.LBB104_1052:
	s_wait_dscnt 0x0
	v_cmp_eq_f32_e32 vcc_lo, 0, v112
	v_cmp_eq_f32_e64 s0, 0, v113
	s_and_b32 s0, vcc_lo, s0
	s_delay_alu instid0(SALU_CYCLE_1) | instskip(NEXT) | instid1(SALU_CYCLE_1)
	s_and_saveexec_b32 s1, s0
	s_xor_b32 s0, exec_lo, s1
; %bb.1053:
	v_cmp_ne_u32_e32 vcc_lo, 0, v118
	v_cndmask_b32_e32 v118, 51, v118, vcc_lo
; %bb.1054:
	s_and_not1_saveexec_b32 s0, s0
	s_cbranch_execz .LBB104_1060
; %bb.1055:
	v_cmp_ngt_f32_e64 s1, |v112|, |v113|
	s_and_saveexec_b32 s12, s1
	s_delay_alu instid0(SALU_CYCLE_1)
	s_xor_b32 s1, exec_lo, s12
	s_cbranch_execz .LBB104_1057
; %bb.1056:
	v_div_scale_f32 v115, null, v113, v113, v112
	v_div_scale_f32 v123, vcc_lo, v112, v113, v112
	s_delay_alu instid0(VALU_DEP_2) | instskip(SKIP_1) | instid1(TRANS32_DEP_1)
	v_rcp_f32_e32 v121, v115
	v_nop
	v_fma_f32 v122, -v115, v121, 1.0
	s_delay_alu instid0(VALU_DEP_1) | instskip(NEXT) | instid1(VALU_DEP_1)
	v_fmac_f32_e32 v121, v122, v121
	v_mul_f32_e32 v122, v123, v121
	s_delay_alu instid0(VALU_DEP_1) | instskip(NEXT) | instid1(VALU_DEP_1)
	v_fma_f32 v124, -v115, v122, v123
	v_fmac_f32_e32 v122, v124, v121
	s_delay_alu instid0(VALU_DEP_1) | instskip(NEXT) | instid1(VALU_DEP_1)
	v_fma_f32 v115, -v115, v122, v123
	v_div_fmas_f32 v115, v115, v121, v122
	s_delay_alu instid0(VALU_DEP_1) | instskip(NEXT) | instid1(VALU_DEP_1)
	v_div_fixup_f32 v115, v115, v113, v112
	v_fmac_f32_e32 v113, v112, v115
	s_delay_alu instid0(VALU_DEP_1) | instskip(SKIP_1) | instid1(VALU_DEP_2)
	v_div_scale_f32 v112, null, v113, v113, 1.0
	v_div_scale_f32 v123, vcc_lo, 1.0, v113, 1.0
	v_rcp_f32_e32 v121, v112
	v_nop
	s_delay_alu instid0(TRANS32_DEP_1) | instskip(NEXT) | instid1(VALU_DEP_1)
	v_fma_f32 v122, -v112, v121, 1.0
	v_fmac_f32_e32 v121, v122, v121
	s_delay_alu instid0(VALU_DEP_1) | instskip(NEXT) | instid1(VALU_DEP_1)
	v_mul_f32_e32 v122, v123, v121
	v_fma_f32 v124, -v112, v122, v123
	s_delay_alu instid0(VALU_DEP_1) | instskip(NEXT) | instid1(VALU_DEP_1)
	v_fmac_f32_e32 v122, v124, v121
	v_fma_f32 v112, -v112, v122, v123
	s_delay_alu instid0(VALU_DEP_1) | instskip(NEXT) | instid1(VALU_DEP_1)
	v_div_fmas_f32 v112, v112, v121, v122
	v_div_fixup_f32 v113, v112, v113, 1.0
	s_delay_alu instid0(VALU_DEP_1)
	v_mul_f32_e32 v112, v115, v113
	v_xor_b32_e32 v113, 0x80000000, v113
.LBB104_1057:
	s_and_not1_saveexec_b32 s1, s1
	s_cbranch_execz .LBB104_1059
; %bb.1058:
	s_delay_alu instid0(VALU_DEP_1) | instskip(SKIP_1) | instid1(VALU_DEP_2)
	v_div_scale_f32 v115, null, v112, v112, v113
	v_div_scale_f32 v123, vcc_lo, v113, v112, v113
	v_rcp_f32_e32 v121, v115
	v_nop
	s_delay_alu instid0(TRANS32_DEP_1) | instskip(NEXT) | instid1(VALU_DEP_1)
	v_fma_f32 v122, -v115, v121, 1.0
	v_fmac_f32_e32 v121, v122, v121
	s_delay_alu instid0(VALU_DEP_1) | instskip(NEXT) | instid1(VALU_DEP_1)
	v_mul_f32_e32 v122, v123, v121
	v_fma_f32 v124, -v115, v122, v123
	s_delay_alu instid0(VALU_DEP_1) | instskip(NEXT) | instid1(VALU_DEP_1)
	v_fmac_f32_e32 v122, v124, v121
	v_fma_f32 v115, -v115, v122, v123
	s_delay_alu instid0(VALU_DEP_1) | instskip(NEXT) | instid1(VALU_DEP_1)
	v_div_fmas_f32 v115, v115, v121, v122
	v_div_fixup_f32 v115, v115, v112, v113
	s_delay_alu instid0(VALU_DEP_1) | instskip(NEXT) | instid1(VALU_DEP_1)
	v_fmac_f32_e32 v112, v113, v115
	v_div_scale_f32 v113, null, v112, v112, 1.0
	s_delay_alu instid0(VALU_DEP_1) | instskip(SKIP_1) | instid1(TRANS32_DEP_1)
	v_rcp_f32_e32 v121, v113
	v_nop
	v_fma_f32 v122, -v113, v121, 1.0
	s_delay_alu instid0(VALU_DEP_1) | instskip(SKIP_1) | instid1(VALU_DEP_1)
	v_fmac_f32_e32 v121, v122, v121
	v_div_scale_f32 v122, vcc_lo, 1.0, v112, 1.0
	v_mul_f32_e32 v123, v122, v121
	s_delay_alu instid0(VALU_DEP_1) | instskip(NEXT) | instid1(VALU_DEP_1)
	v_fma_f32 v124, -v113, v123, v122
	v_fmac_f32_e32 v123, v124, v121
	s_delay_alu instid0(VALU_DEP_1) | instskip(NEXT) | instid1(VALU_DEP_1)
	v_fma_f32 v113, -v113, v123, v122
	v_div_fmas_f32 v113, v113, v121, v123
	s_delay_alu instid0(VALU_DEP_1) | instskip(NEXT) | instid1(VALU_DEP_1)
	v_div_fixup_f32 v112, v113, v112, 1.0
	v_mul_f32_e64 v113, v115, -v112
.LBB104_1059:
	s_or_b32 exec_lo, exec_lo, s1
.LBB104_1060:
	s_delay_alu instid0(SALU_CYCLE_1) | instskip(NEXT) | instid1(SALU_CYCLE_1)
	s_or_b32 exec_lo, exec_lo, s0
	s_mov_b32 s0, exec_lo
	v_cmpx_ne_u32_e64 v120, v114
	s_xor_b32 s0, exec_lo, s0
	s_cbranch_execz .LBB104_1066
; %bb.1061:
	s_mov_b32 s1, exec_lo
	v_cmpx_eq_u32_e32 50, v120
	s_cbranch_execz .LBB104_1065
; %bb.1062:
	v_cmp_ne_u32_e32 vcc_lo, 50, v114
	s_xor_b32 s12, s16, -1
	s_delay_alu instid0(SALU_CYCLE_1) | instskip(NEXT) | instid1(SALU_CYCLE_1)
	s_and_b32 s13, s12, vcc_lo
	s_and_saveexec_b32 s12, s13
	s_cbranch_execz .LBB104_1064
; %bb.1063:
	v_ashrrev_i32_e32 v115, 31, v114
	s_delay_alu instid0(VALU_DEP_1)
	v_lshl_add_u64 v[120:121], v[114:115], 2, v[4:5]
	s_clause 0x1
	global_load_b32 v115, v[120:121], off
	global_load_b32 v119, v[4:5], off offset:200
	s_wait_loadcnt 0x1
	global_store_b32 v[4:5], v115, off offset:200
	s_wait_loadcnt 0x0
	global_store_b32 v[120:121], v119, off
.LBB104_1064:
	s_wait_xcnt 0x0
	s_or_b32 exec_lo, exec_lo, s12
	v_dual_mov_b32 v120, v114 :: v_dual_mov_b32 v119, v114
.LBB104_1065:
	s_or_b32 exec_lo, exec_lo, s1
.LBB104_1066:
	s_and_not1_saveexec_b32 s0, s0
; %bb.1067:
	v_mov_b32_e32 v120, 50
	ds_store_2addr_b64 v116, v[16:17], v[110:111] offset0:51 offset1:52
; %bb.1068:
	s_or_b32 exec_lo, exec_lo, s0
	s_delay_alu instid0(SALU_CYCLE_1)
	s_mov_b32 s0, exec_lo
	s_wait_storecnt_dscnt 0x0
	s_barrier_signal -1
	s_barrier_wait -1
	v_cmpx_lt_i32_e32 50, v120
	s_cbranch_execz .LBB104_1070
; %bb.1069:
	ds_load_2addr_b64 v[122:125], v116 offset0:51 offset1:52
	v_pk_mul_f32 v[114:115], v[112:113], v[18:19] op_sel:[1,1] op_sel_hi:[0,1]
	s_delay_alu instid0(VALU_DEP_1) | instskip(SKIP_3) | instid1(VALU_DEP_3)
	v_pk_fma_f32 v[126:127], v[112:113], v[18:19], v[114:115] op_sel_hi:[1,0,1]
	v_pk_fma_f32 v[18:19], v[112:113], v[18:19], v[114:115] op_sel_hi:[1,0,1] neg_lo:[0,0,1] neg_hi:[0,0,1]
	s_wait_dscnt 0x0
	v_dual_mov_b32 v128, v125 :: v_dual_mov_b32 v129, v124
	v_pk_mul_f32 v[112:113], v[122:123], v[126:127] op_sel:[0,1]
	s_delay_alu instid0(VALU_DEP_2) | instskip(NEXT) | instid1(VALU_DEP_2)
	v_pk_mul_f32 v[114:115], v[128:129], v[126:127] op_sel:[0,1]
	v_pk_fma_f32 v[128:129], v[122:123], v[18:19], v[112:113] op_sel:[0,0,1] op_sel_hi:[1,0,0]
	v_pk_fma_f32 v[112:113], v[122:123], v[18:19], v[112:113] op_sel:[0,0,1] op_sel_hi:[1,1,0] neg_lo:[0,0,1] neg_hi:[0,0,1]
	s_delay_alu instid0(VALU_DEP_3) | instskip(SKIP_1) | instid1(VALU_DEP_4)
	v_pk_fma_f32 v[130:131], v[124:125], v[18:19], v[114:115] op_sel_hi:[1,0,1]
	v_pk_fma_f32 v[114:115], v[124:125], v[18:19], v[114:115] neg_lo:[0,0,1] neg_hi:[0,0,1]
	v_dual_mov_b32 v113, v129 :: v_dual_mov_b32 v19, v127
	s_delay_alu instid0(VALU_DEP_3) | instskip(NEXT) | instid1(VALU_DEP_2)
	v_mov_b32_e32 v115, v131
	v_pk_add_f32 v[16:17], v[16:17], v[112:113] neg_lo:[0,1] neg_hi:[0,1]
	s_delay_alu instid0(VALU_DEP_2)
	v_pk_add_f32 v[110:111], v[110:111], v[114:115] neg_lo:[0,1] neg_hi:[0,1]
.LBB104_1070:
	s_or_b32 exec_lo, exec_lo, s0
	v_lshl_add_u32 v112, v120, 3, v116
	s_barrier_signal -1
	s_barrier_wait -1
	ds_store_b64 v112, v[16:17]
	s_wait_dscnt 0x0
	s_barrier_signal -1
	s_barrier_wait -1
	ds_load_b64 v[112:113], v116 offset:408
	v_mov_b32_e32 v114, 51
	s_cmp_lt_i32 s18, 53
	s_cbranch_scc1 .LBB104_1073
; %bb.1071:
	v_add3_u32 v115, v117, 0, 0x1a0
	v_mov_b32_e32 v114, 51
	s_mov_b32 s0, 52
.LBB104_1072:                           ; =>This Inner Loop Header: Depth=1
	ds_load_b64 v[122:123], v115
	s_wait_dscnt 0x1
	v_cmp_gt_f32_e32 vcc_lo, 0, v112
	v_cndmask_b32_e64 v124, v112, -v112, vcc_lo
	v_cmp_gt_f32_e32 vcc_lo, 0, v113
	v_cndmask_b32_e64 v126, v113, -v113, vcc_lo
	s_wait_dscnt 0x0
	v_cmp_gt_f32_e32 vcc_lo, 0, v122
	v_cndmask_b32_e64 v125, v122, -v122, vcc_lo
	v_cmp_gt_f32_e32 vcc_lo, 0, v123
	v_cndmask_b32_e64 v127, v123, -v123, vcc_lo
	s_delay_alu instid0(VALU_DEP_1) | instskip(NEXT) | instid1(VALU_DEP_1)
	v_pk_add_f32 v[124:125], v[124:125], v[126:127]
	v_cmp_lt_f32_e32 vcc_lo, v124, v125
	v_dual_cndmask_b32 v112, v112, v122 :: v_dual_add_nc_u32 v115, 8, v115
	v_cndmask_b32_e32 v113, v113, v123, vcc_lo
	v_cndmask_b32_e64 v114, v114, s0, vcc_lo
	s_add_co_i32 s0, s0, 1
	s_delay_alu instid0(SALU_CYCLE_1)
	s_cmp_lg_u32 s18, s0
	s_cbranch_scc1 .LBB104_1072
.LBB104_1073:
	s_wait_dscnt 0x0
	v_cmp_eq_f32_e32 vcc_lo, 0, v112
	v_cmp_eq_f32_e64 s0, 0, v113
	s_and_b32 s0, vcc_lo, s0
	s_delay_alu instid0(SALU_CYCLE_1) | instskip(NEXT) | instid1(SALU_CYCLE_1)
	s_and_saveexec_b32 s1, s0
	s_xor_b32 s0, exec_lo, s1
; %bb.1074:
	v_cmp_ne_u32_e32 vcc_lo, 0, v118
	v_cndmask_b32_e32 v118, 52, v118, vcc_lo
; %bb.1075:
	s_and_not1_saveexec_b32 s0, s0
	s_cbranch_execz .LBB104_1081
; %bb.1076:
	v_cmp_ngt_f32_e64 s1, |v112|, |v113|
	s_and_saveexec_b32 s12, s1
	s_delay_alu instid0(SALU_CYCLE_1)
	s_xor_b32 s1, exec_lo, s12
	s_cbranch_execz .LBB104_1078
; %bb.1077:
	v_div_scale_f32 v115, null, v113, v113, v112
	v_div_scale_f32 v123, vcc_lo, v112, v113, v112
	s_delay_alu instid0(VALU_DEP_2) | instskip(SKIP_1) | instid1(TRANS32_DEP_1)
	v_rcp_f32_e32 v121, v115
	v_nop
	v_fma_f32 v122, -v115, v121, 1.0
	s_delay_alu instid0(VALU_DEP_1) | instskip(NEXT) | instid1(VALU_DEP_1)
	v_fmac_f32_e32 v121, v122, v121
	v_mul_f32_e32 v122, v123, v121
	s_delay_alu instid0(VALU_DEP_1) | instskip(NEXT) | instid1(VALU_DEP_1)
	v_fma_f32 v124, -v115, v122, v123
	v_fmac_f32_e32 v122, v124, v121
	s_delay_alu instid0(VALU_DEP_1) | instskip(NEXT) | instid1(VALU_DEP_1)
	v_fma_f32 v115, -v115, v122, v123
	v_div_fmas_f32 v115, v115, v121, v122
	s_delay_alu instid0(VALU_DEP_1) | instskip(NEXT) | instid1(VALU_DEP_1)
	v_div_fixup_f32 v115, v115, v113, v112
	v_fmac_f32_e32 v113, v112, v115
	s_delay_alu instid0(VALU_DEP_1) | instskip(SKIP_1) | instid1(VALU_DEP_2)
	v_div_scale_f32 v112, null, v113, v113, 1.0
	v_div_scale_f32 v123, vcc_lo, 1.0, v113, 1.0
	v_rcp_f32_e32 v121, v112
	v_nop
	s_delay_alu instid0(TRANS32_DEP_1) | instskip(NEXT) | instid1(VALU_DEP_1)
	v_fma_f32 v122, -v112, v121, 1.0
	v_fmac_f32_e32 v121, v122, v121
	s_delay_alu instid0(VALU_DEP_1) | instskip(NEXT) | instid1(VALU_DEP_1)
	v_mul_f32_e32 v122, v123, v121
	v_fma_f32 v124, -v112, v122, v123
	s_delay_alu instid0(VALU_DEP_1) | instskip(NEXT) | instid1(VALU_DEP_1)
	v_fmac_f32_e32 v122, v124, v121
	v_fma_f32 v112, -v112, v122, v123
	s_delay_alu instid0(VALU_DEP_1) | instskip(NEXT) | instid1(VALU_DEP_1)
	v_div_fmas_f32 v112, v112, v121, v122
	v_div_fixup_f32 v113, v112, v113, 1.0
	s_delay_alu instid0(VALU_DEP_1)
	v_mul_f32_e32 v112, v115, v113
	v_xor_b32_e32 v113, 0x80000000, v113
.LBB104_1078:
	s_and_not1_saveexec_b32 s1, s1
	s_cbranch_execz .LBB104_1080
; %bb.1079:
	s_delay_alu instid0(VALU_DEP_1) | instskip(SKIP_1) | instid1(VALU_DEP_2)
	v_div_scale_f32 v115, null, v112, v112, v113
	v_div_scale_f32 v123, vcc_lo, v113, v112, v113
	v_rcp_f32_e32 v121, v115
	v_nop
	s_delay_alu instid0(TRANS32_DEP_1) | instskip(NEXT) | instid1(VALU_DEP_1)
	v_fma_f32 v122, -v115, v121, 1.0
	v_fmac_f32_e32 v121, v122, v121
	s_delay_alu instid0(VALU_DEP_1) | instskip(NEXT) | instid1(VALU_DEP_1)
	v_mul_f32_e32 v122, v123, v121
	v_fma_f32 v124, -v115, v122, v123
	s_delay_alu instid0(VALU_DEP_1) | instskip(NEXT) | instid1(VALU_DEP_1)
	v_fmac_f32_e32 v122, v124, v121
	v_fma_f32 v115, -v115, v122, v123
	s_delay_alu instid0(VALU_DEP_1) | instskip(NEXT) | instid1(VALU_DEP_1)
	v_div_fmas_f32 v115, v115, v121, v122
	v_div_fixup_f32 v115, v115, v112, v113
	s_delay_alu instid0(VALU_DEP_1) | instskip(NEXT) | instid1(VALU_DEP_1)
	v_fmac_f32_e32 v112, v113, v115
	v_div_scale_f32 v113, null, v112, v112, 1.0
	s_delay_alu instid0(VALU_DEP_1) | instskip(SKIP_1) | instid1(TRANS32_DEP_1)
	v_rcp_f32_e32 v121, v113
	v_nop
	v_fma_f32 v122, -v113, v121, 1.0
	s_delay_alu instid0(VALU_DEP_1) | instskip(SKIP_1) | instid1(VALU_DEP_1)
	v_fmac_f32_e32 v121, v122, v121
	v_div_scale_f32 v122, vcc_lo, 1.0, v112, 1.0
	v_mul_f32_e32 v123, v122, v121
	s_delay_alu instid0(VALU_DEP_1) | instskip(NEXT) | instid1(VALU_DEP_1)
	v_fma_f32 v124, -v113, v123, v122
	v_fmac_f32_e32 v123, v124, v121
	s_delay_alu instid0(VALU_DEP_1) | instskip(NEXT) | instid1(VALU_DEP_1)
	v_fma_f32 v113, -v113, v123, v122
	v_div_fmas_f32 v113, v113, v121, v123
	s_delay_alu instid0(VALU_DEP_1) | instskip(NEXT) | instid1(VALU_DEP_1)
	v_div_fixup_f32 v112, v113, v112, 1.0
	v_mul_f32_e64 v113, v115, -v112
.LBB104_1080:
	s_or_b32 exec_lo, exec_lo, s1
.LBB104_1081:
	s_delay_alu instid0(SALU_CYCLE_1) | instskip(NEXT) | instid1(SALU_CYCLE_1)
	s_or_b32 exec_lo, exec_lo, s0
	s_mov_b32 s0, exec_lo
	v_cmpx_ne_u32_e64 v120, v114
	s_xor_b32 s0, exec_lo, s0
	s_cbranch_execz .LBB104_1087
; %bb.1082:
	s_mov_b32 s1, exec_lo
	v_cmpx_eq_u32_e32 51, v120
	s_cbranch_execz .LBB104_1086
; %bb.1083:
	v_cmp_ne_u32_e32 vcc_lo, 51, v114
	s_xor_b32 s12, s16, -1
	s_delay_alu instid0(SALU_CYCLE_1) | instskip(NEXT) | instid1(SALU_CYCLE_1)
	s_and_b32 s13, s12, vcc_lo
	s_and_saveexec_b32 s12, s13
	s_cbranch_execz .LBB104_1085
; %bb.1084:
	v_ashrrev_i32_e32 v115, 31, v114
	s_delay_alu instid0(VALU_DEP_1)
	v_lshl_add_u64 v[120:121], v[114:115], 2, v[4:5]
	s_clause 0x1
	global_load_b32 v115, v[120:121], off
	global_load_b32 v119, v[4:5], off offset:204
	s_wait_loadcnt 0x1
	global_store_b32 v[4:5], v115, off offset:204
	s_wait_loadcnt 0x0
	global_store_b32 v[120:121], v119, off
.LBB104_1085:
	s_wait_xcnt 0x0
	s_or_b32 exec_lo, exec_lo, s12
	v_dual_mov_b32 v120, v114 :: v_dual_mov_b32 v119, v114
.LBB104_1086:
	s_or_b32 exec_lo, exec_lo, s1
.LBB104_1087:
	s_and_not1_saveexec_b32 s0, s0
; %bb.1088:
	v_mov_b32_e32 v120, 51
	ds_store_b64 v116, v[110:111] offset:416
; %bb.1089:
	s_or_b32 exec_lo, exec_lo, s0
	s_delay_alu instid0(SALU_CYCLE_1)
	s_mov_b32 s0, exec_lo
	s_wait_storecnt_dscnt 0x0
	s_barrier_signal -1
	s_barrier_wait -1
	v_cmpx_lt_i32_e32 51, v120
	s_cbranch_execz .LBB104_1091
; %bb.1090:
	ds_load_b64 v[114:115], v116 offset:416
	v_pk_mul_f32 v[122:123], v[112:113], v[16:17] op_sel:[1,1] op_sel_hi:[0,1]
	s_delay_alu instid0(VALU_DEP_1) | instskip(SKIP_2) | instid1(VALU_DEP_2)
	v_pk_fma_f32 v[124:125], v[112:113], v[16:17], v[122:123] op_sel_hi:[1,0,1]
	v_pk_fma_f32 v[16:17], v[112:113], v[16:17], v[122:123] op_sel_hi:[1,0,1] neg_lo:[0,0,1] neg_hi:[0,0,1]
	s_wait_dscnt 0x0
	v_pk_mul_f32 v[112:113], v[114:115], v[124:125] op_sel:[1,1] op_sel_hi:[0,1]
	s_delay_alu instid0(VALU_DEP_1) | instskip(SKIP_1) | instid1(VALU_DEP_2)
	v_pk_fma_f32 v[122:123], v[114:115], v[16:17], v[112:113] op_sel_hi:[1,0,1]
	v_pk_fma_f32 v[112:113], v[114:115], v[16:17], v[112:113] neg_lo:[0,0,1] neg_hi:[0,0,1]
	v_dual_mov_b32 v17, v125 :: v_dual_mov_b32 v113, v123
	s_delay_alu instid0(VALU_DEP_1)
	v_pk_add_f32 v[110:111], v[110:111], v[112:113] neg_lo:[0,1] neg_hi:[0,1]
.LBB104_1091:
	s_or_b32 exec_lo, exec_lo, s0
	v_lshl_add_u32 v112, v120, 3, v116
	s_barrier_signal -1
	s_barrier_wait -1
	ds_store_b64 v112, v[110:111]
	s_wait_dscnt 0x0
	s_barrier_signal -1
	s_barrier_wait -1
	ds_load_b64 v[112:113], v116 offset:416
	v_mov_b32_e32 v114, 52
	s_cmp_lt_i32 s18, 54
	s_cbranch_scc1 .LBB104_1094
; %bb.1092:
	v_add3_u32 v115, v117, 0, 0x1a8
	v_mov_b32_e32 v114, 52
	s_mov_b32 s0, 53
.LBB104_1093:                           ; =>This Inner Loop Header: Depth=1
	ds_load_b64 v[116:117], v115
	s_wait_dscnt 0x1
	v_cmp_gt_f32_e32 vcc_lo, 0, v112
	v_cndmask_b32_e64 v122, v112, -v112, vcc_lo
	v_cmp_gt_f32_e32 vcc_lo, 0, v113
	v_cndmask_b32_e64 v124, v113, -v113, vcc_lo
	s_wait_dscnt 0x0
	v_cmp_gt_f32_e32 vcc_lo, 0, v116
	v_cndmask_b32_e64 v123, v116, -v116, vcc_lo
	v_cmp_gt_f32_e32 vcc_lo, 0, v117
	v_cndmask_b32_e64 v125, v117, -v117, vcc_lo
	s_delay_alu instid0(VALU_DEP_1) | instskip(NEXT) | instid1(VALU_DEP_1)
	v_pk_add_f32 v[122:123], v[122:123], v[124:125]
	v_cmp_lt_f32_e32 vcc_lo, v122, v123
	v_dual_add_nc_u32 v115, 8, v115 :: v_dual_cndmask_b32 v113, v113, v117, vcc_lo
	v_cndmask_b32_e32 v112, v112, v116, vcc_lo
	v_cndmask_b32_e64 v114, v114, s0, vcc_lo
	s_add_co_i32 s0, s0, 1
	s_delay_alu instid0(SALU_CYCLE_1)
	s_cmp_lg_u32 s18, s0
	s_cbranch_scc1 .LBB104_1093
.LBB104_1094:
	s_wait_dscnt 0x0
	v_cmp_eq_f32_e32 vcc_lo, 0, v112
	v_cmp_eq_f32_e64 s0, 0, v113
	s_and_b32 s0, vcc_lo, s0
	s_delay_alu instid0(SALU_CYCLE_1) | instskip(NEXT) | instid1(SALU_CYCLE_1)
	s_and_saveexec_b32 s1, s0
	s_xor_b32 s0, exec_lo, s1
; %bb.1095:
	v_cmp_ne_u32_e32 vcc_lo, 0, v118
	v_cndmask_b32_e32 v118, 53, v118, vcc_lo
; %bb.1096:
	s_and_not1_saveexec_b32 s0, s0
	s_cbranch_execz .LBB104_1102
; %bb.1097:
	v_cmp_ngt_f32_e64 s1, |v112|, |v113|
	s_and_saveexec_b32 s12, s1
	s_delay_alu instid0(SALU_CYCLE_1)
	s_xor_b32 s1, exec_lo, s12
	s_cbranch_execz .LBB104_1099
; %bb.1098:
	v_div_scale_f32 v115, null, v113, v113, v112
	v_div_scale_f32 v121, vcc_lo, v112, v113, v112
	s_delay_alu instid0(VALU_DEP_2) | instskip(SKIP_1) | instid1(TRANS32_DEP_1)
	v_rcp_f32_e32 v116, v115
	v_nop
	v_fma_f32 v117, -v115, v116, 1.0
	s_delay_alu instid0(VALU_DEP_1) | instskip(NEXT) | instid1(VALU_DEP_1)
	v_fmac_f32_e32 v116, v117, v116
	v_mul_f32_e32 v117, v121, v116
	s_delay_alu instid0(VALU_DEP_1) | instskip(NEXT) | instid1(VALU_DEP_1)
	v_fma_f32 v122, -v115, v117, v121
	v_fmac_f32_e32 v117, v122, v116
	s_delay_alu instid0(VALU_DEP_1) | instskip(NEXT) | instid1(VALU_DEP_1)
	v_fma_f32 v115, -v115, v117, v121
	v_div_fmas_f32 v115, v115, v116, v117
	s_delay_alu instid0(VALU_DEP_1) | instskip(NEXT) | instid1(VALU_DEP_1)
	v_div_fixup_f32 v115, v115, v113, v112
	v_fmac_f32_e32 v113, v112, v115
	s_delay_alu instid0(VALU_DEP_1) | instskip(SKIP_1) | instid1(VALU_DEP_2)
	v_div_scale_f32 v112, null, v113, v113, 1.0
	v_div_scale_f32 v121, vcc_lo, 1.0, v113, 1.0
	v_rcp_f32_e32 v116, v112
	v_nop
	s_delay_alu instid0(TRANS32_DEP_1) | instskip(NEXT) | instid1(VALU_DEP_1)
	v_fma_f32 v117, -v112, v116, 1.0
	v_fmac_f32_e32 v116, v117, v116
	s_delay_alu instid0(VALU_DEP_1) | instskip(NEXT) | instid1(VALU_DEP_1)
	v_mul_f32_e32 v117, v121, v116
	v_fma_f32 v122, -v112, v117, v121
	s_delay_alu instid0(VALU_DEP_1) | instskip(NEXT) | instid1(VALU_DEP_1)
	v_fmac_f32_e32 v117, v122, v116
	v_fma_f32 v112, -v112, v117, v121
	s_delay_alu instid0(VALU_DEP_1) | instskip(NEXT) | instid1(VALU_DEP_1)
	v_div_fmas_f32 v112, v112, v116, v117
	v_div_fixup_f32 v113, v112, v113, 1.0
	s_delay_alu instid0(VALU_DEP_1)
	v_mul_f32_e32 v112, v115, v113
	v_xor_b32_e32 v113, 0x80000000, v113
.LBB104_1099:
	s_and_not1_saveexec_b32 s1, s1
	s_cbranch_execz .LBB104_1101
; %bb.1100:
	s_delay_alu instid0(VALU_DEP_1) | instskip(SKIP_1) | instid1(VALU_DEP_2)
	v_div_scale_f32 v115, null, v112, v112, v113
	v_div_scale_f32 v121, vcc_lo, v113, v112, v113
	v_rcp_f32_e32 v116, v115
	v_nop
	s_delay_alu instid0(TRANS32_DEP_1) | instskip(NEXT) | instid1(VALU_DEP_1)
	v_fma_f32 v117, -v115, v116, 1.0
	v_fmac_f32_e32 v116, v117, v116
	s_delay_alu instid0(VALU_DEP_1) | instskip(NEXT) | instid1(VALU_DEP_1)
	v_mul_f32_e32 v117, v121, v116
	v_fma_f32 v122, -v115, v117, v121
	s_delay_alu instid0(VALU_DEP_1) | instskip(NEXT) | instid1(VALU_DEP_1)
	v_fmac_f32_e32 v117, v122, v116
	v_fma_f32 v115, -v115, v117, v121
	s_delay_alu instid0(VALU_DEP_1) | instskip(NEXT) | instid1(VALU_DEP_1)
	v_div_fmas_f32 v115, v115, v116, v117
	v_div_fixup_f32 v115, v115, v112, v113
	s_delay_alu instid0(VALU_DEP_1) | instskip(NEXT) | instid1(VALU_DEP_1)
	v_fmac_f32_e32 v112, v113, v115
	v_div_scale_f32 v113, null, v112, v112, 1.0
	s_delay_alu instid0(VALU_DEP_1) | instskip(SKIP_1) | instid1(TRANS32_DEP_1)
	v_rcp_f32_e32 v116, v113
	v_nop
	v_fma_f32 v117, -v113, v116, 1.0
	s_delay_alu instid0(VALU_DEP_1) | instskip(SKIP_1) | instid1(VALU_DEP_1)
	v_fmac_f32_e32 v116, v117, v116
	v_div_scale_f32 v117, vcc_lo, 1.0, v112, 1.0
	v_mul_f32_e32 v121, v117, v116
	s_delay_alu instid0(VALU_DEP_1) | instskip(NEXT) | instid1(VALU_DEP_1)
	v_fma_f32 v122, -v113, v121, v117
	v_fmac_f32_e32 v121, v122, v116
	s_delay_alu instid0(VALU_DEP_1) | instskip(NEXT) | instid1(VALU_DEP_1)
	v_fma_f32 v113, -v113, v121, v117
	v_div_fmas_f32 v113, v113, v116, v121
	s_delay_alu instid0(VALU_DEP_1) | instskip(NEXT) | instid1(VALU_DEP_1)
	v_div_fixup_f32 v112, v113, v112, 1.0
	v_mul_f32_e64 v113, v115, -v112
.LBB104_1101:
	s_or_b32 exec_lo, exec_lo, s1
.LBB104_1102:
	s_delay_alu instid0(SALU_CYCLE_1)
	s_or_b32 exec_lo, exec_lo, s0
	v_mov_b32_e32 v116, 52
	s_mov_b32 s0, exec_lo
	v_cmpx_ne_u32_e64 v120, v114
	s_cbranch_execz .LBB104_1108
; %bb.1103:
	s_mov_b32 s1, exec_lo
	v_cmpx_eq_u32_e32 52, v120
	s_cbranch_execz .LBB104_1107
; %bb.1104:
	v_cmp_ne_u32_e32 vcc_lo, 52, v114
	s_xor_b32 s12, s16, -1
	s_delay_alu instid0(SALU_CYCLE_1) | instskip(NEXT) | instid1(SALU_CYCLE_1)
	s_and_b32 s13, s12, vcc_lo
	s_and_saveexec_b32 s12, s13
	s_cbranch_execz .LBB104_1106
; %bb.1105:
	v_ashrrev_i32_e32 v115, 31, v114
	s_delay_alu instid0(VALU_DEP_1)
	v_lshl_add_u64 v[116:117], v[114:115], 2, v[4:5]
	s_clause 0x1
	global_load_b32 v115, v[116:117], off
	global_load_b32 v119, v[4:5], off offset:208
	s_wait_loadcnt 0x1
	global_store_b32 v[4:5], v115, off offset:208
	s_wait_loadcnt 0x0
	global_store_b32 v[116:117], v119, off
.LBB104_1106:
	s_wait_xcnt 0x0
	s_or_b32 exec_lo, exec_lo, s12
	v_dual_mov_b32 v120, v114 :: v_dual_mov_b32 v119, v114
.LBB104_1107:
	s_or_b32 exec_lo, exec_lo, s1
	s_delay_alu instid0(VALU_DEP_1)
	v_mov_b32_e32 v116, v120
.LBB104_1108:
	s_or_b32 exec_lo, exec_lo, s0
	s_delay_alu instid0(VALU_DEP_1)
	v_ashrrev_i32_e32 v117, 31, v116
	s_mov_b32 s0, exec_lo
	s_wait_storecnt 0x0
	s_barrier_signal -1
	s_barrier_wait -1
	s_barrier_signal -1
	s_barrier_wait -1
	v_cmpx_gt_i32_e32 53, v116
	s_cbranch_execz .LBB104_1110
; %bb.1109:
	v_mul_u64_e32 v[4:5], s[10:11], v[2:3]
	v_add3_u32 v114, v119, s17, 1
	s_delay_alu instid0(VALU_DEP_2) | instskip(NEXT) | instid1(VALU_DEP_1)
	v_lshl_add_u64 v[4:5], v[4:5], 2, s[6:7]
	v_lshl_add_u64 v[4:5], s[8:9], 2, v[4:5]
	s_delay_alu instid0(VALU_DEP_1)
	v_lshl_add_u64 v[4:5], v[116:117], 2, v[4:5]
	global_store_b32 v[4:5], v114, off
.LBB104_1110:
	s_wait_xcnt 0x0
	s_or_b32 exec_lo, exec_lo, s0
	s_delay_alu instid0(SALU_CYCLE_1)
	s_mov_b32 s1, exec_lo
	v_cmpx_eq_u32_e32 0, v116
	s_cbranch_execz .LBB104_1113
; %bb.1111:
	s_wait_kmcnt 0x0
	v_lshl_add_u64 v[2:3], v[2:3], 2, s[4:5]
	v_cmp_ne_u32_e64 s0, 0, v118
	global_load_b32 v4, v[2:3], off
	s_wait_loadcnt 0x0
	v_cmp_eq_u32_e32 vcc_lo, 0, v4
	s_and_b32 s0, vcc_lo, s0
	s_wait_xcnt 0x0
	s_and_b32 exec_lo, exec_lo, s0
	s_cbranch_execz .LBB104_1113
; %bb.1112:
	v_add_nc_u32_e32 v4, s17, v118
	global_store_b32 v[2:3], v4, off
.LBB104_1113:
	s_wait_xcnt 0x0
	s_or_b32 exec_lo, exec_lo, s1
	v_add3_u32 v4, s2, s2, v116
	v_pk_mul_f32 v[2:3], v[112:113], v[110:111] op_sel:[1,1] op_sel_hi:[0,1]
	v_cmp_lt_i32_e32 vcc_lo, 52, v116
	v_lshl_add_u64 v[116:117], v[116:117], 3, v[0:1]
	s_delay_alu instid0(VALU_DEP_4) | instskip(NEXT) | instid1(VALU_DEP_4)
	v_add_nc_u32_e32 v114, s2, v4
	v_pk_fma_f32 v[138:139], v[112:113], v[110:111], v[2:3] op_sel_hi:[1,0,1]
	v_pk_fma_f32 v[2:3], v[112:113], v[110:111], v[2:3] neg_lo:[0,0,1] neg_hi:[0,0,1]
	global_store_b64 v[116:117], v[108:109], off
	s_wait_xcnt 0x0
	v_lshl_add_u64 v[108:109], s[2:3], 3, v[116:117]
	v_dual_cndmask_b32 v3, v111, v139 :: v_dual_add_nc_u32 v118, s2, v114
	v_dual_cndmask_b32 v2, v110, v2 :: v_dual_ashrrev_i32 v5, 31, v4
	global_store_b64 v[108:109], v[106:107], off
	v_add_nc_u32_e32 v120, s2, v118
	v_ashrrev_i32_e32 v115, 31, v114
	v_lshl_add_u64 v[4:5], v[4:5], 3, v[0:1]
	s_delay_alu instid0(VALU_DEP_3) | instskip(SKIP_1) | instid1(VALU_DEP_3)
	v_add_nc_u32_e32 v122, s2, v120
	s_wait_xcnt 0x0
	v_lshl_add_u64 v[106:107], v[114:115], 3, v[0:1]
	v_ashrrev_i32_e32 v121, 31, v120
	s_clause 0x1
	global_store_b64 v[4:5], v[104:105], off
	global_store_b64 v[106:107], v[102:103], off
	v_add_nc_u32_e32 v124, s2, v122
	v_ashrrev_i32_e32 v119, 31, v118
	v_ashrrev_i32_e32 v123, 31, v122
	s_wait_xcnt 0x0
	v_lshl_add_u64 v[106:107], v[120:121], 3, v[0:1]
	v_add_nc_u32_e32 v126, s2, v124
	v_lshl_add_u64 v[104:105], v[118:119], 3, v[0:1]
	v_lshl_add_u64 v[114:115], v[122:123], 3, v[0:1]
	s_delay_alu instid0(VALU_DEP_3) | instskip(NEXT) | instid1(VALU_DEP_1)
	v_add_nc_u32_e32 v128, s2, v126
	v_add_nc_u32_e32 v130, s2, v128
	s_delay_alu instid0(VALU_DEP_1) | instskip(SKIP_1) | instid1(VALU_DEP_2)
	v_add_nc_u32_e32 v132, s2, v130
	v_ashrrev_i32_e32 v127, 31, v126
	v_dual_ashrrev_i32 v131, 31, v130 :: v_dual_add_nc_u32 v134, s2, v132
	s_delay_alu instid0(VALU_DEP_1) | instskip(NEXT) | instid1(VALU_DEP_1)
	v_dual_add_nc_u32 v136, s2, v134 :: v_dual_ashrrev_i32 v135, 31, v134
	v_add_nc_u32_e32 v112, s2, v136
	s_delay_alu instid0(VALU_DEP_1) | instskip(NEXT) | instid1(VALU_DEP_1)
	v_add_nc_u32_e32 v110, s2, v112
	v_dual_ashrrev_i32 v137, 31, v136 :: v_dual_ashrrev_i32 v111, 31, v110
	v_add_nc_u32_e32 v138, s2, v110
	s_delay_alu instid0(VALU_DEP_1) | instskip(NEXT) | instid1(VALU_DEP_1)
	v_dual_add_nc_u32 v116, s2, v138 :: v_dual_ashrrev_i32 v139, 31, v138
	v_add_nc_u32_e32 v108, s2, v116
	s_delay_alu instid0(VALU_DEP_1) | instskip(NEXT) | instid1(VALU_DEP_1)
	v_add_nc_u32_e32 v4, s2, v108
	v_add_nc_u32_e32 v102, s2, v4
	v_ashrrev_i32_e32 v125, 31, v124
	s_delay_alu instid0(VALU_DEP_2) | instskip(NEXT) | instid1(VALU_DEP_2)
	v_dual_ashrrev_i32 v5, 31, v4 :: v_dual_add_nc_u32 v120, s2, v102
	v_lshl_add_u64 v[118:119], v[124:125], 3, v[0:1]
	s_clause 0x3
	global_store_b64 v[104:105], v[60:61], off
	global_store_b64 v[106:107], v[56:57], off
	global_store_b64 v[114:115], v[58:59], off
	global_store_b64 v[118:119], v[54:55], off
	s_wait_xcnt 0x1
	v_lshl_add_u64 v[58:59], v[126:127], 3, v[0:1]
	s_wait_xcnt 0x0
	v_add_nc_u32_e32 v54, s2, v120
	v_ashrrev_i32_e32 v129, 31, v128
	v_lshl_add_u64 v[104:105], v[130:131], 3, v[0:1]
	v_ashrrev_i32_e32 v109, 31, v108
	v_lshl_add_u64 v[4:5], v[4:5], 3, v[0:1]
	v_add_nc_u32_e32 v56, s2, v54
	v_lshl_add_u64 v[60:61], v[128:129], 3, v[0:1]
	v_ashrrev_i32_e32 v55, 31, v54
	s_delay_alu instid0(VALU_DEP_3) | instskip(SKIP_2) | instid1(VALU_DEP_4)
	v_dual_ashrrev_i32 v103, 31, v102 :: v_dual_add_nc_u32 v114, s2, v56
	v_ashrrev_i32_e32 v133, 31, v132
	v_ashrrev_i32_e32 v57, 31, v56
	v_lshl_add_u64 v[54:55], v[54:55], 3, v[0:1]
	s_delay_alu instid0(VALU_DEP_4) | instskip(NEXT) | instid1(VALU_DEP_4)
	v_ashrrev_i32_e32 v115, 31, v114
	v_lshl_add_u64 v[106:107], v[132:133], 3, v[0:1]
	s_clause 0x3
	global_store_b64 v[58:59], v[100:101], off
	global_store_b64 v[60:61], v[96:97], off
	;; [unrolled: 1-line block ×4, first 2 shown]
	s_wait_xcnt 0x3
	v_dual_add_nc_u32 v58, s2, v114 :: v_dual_ashrrev_i32 v113, 31, v112
	s_wait_xcnt 0x0
	v_lshl_add_u64 v[94:95], v[134:135], 3, v[0:1]
	v_lshl_add_u64 v[96:97], v[136:137], 3, v[0:1]
	;; [unrolled: 1-line block ×3, first 2 shown]
	v_add_nc_u32_e32 v60, s2, v58
	v_lshl_add_u64 v[98:99], v[112:113], 3, v[0:1]
	s_clause 0x3
	global_store_b64 v[94:95], v[92:93], off
	global_store_b64 v[96:97], v[88:89], off
	;; [unrolled: 1-line block ×4, first 2 shown]
	v_add_nc_u32_e32 v104, s2, v60
	s_wait_xcnt 0x1
	v_lshl_add_u64 v[90:91], v[138:139], 3, v[0:1]
	v_lshl_add_u64 v[94:95], v[108:109], 3, v[0:1]
	v_dual_ashrrev_i32 v121, 31, v120 :: v_dual_ashrrev_i32 v59, 31, v58
	s_wait_xcnt 0x0
	v_add_nc_u32_e32 v86, s2, v104
	v_ashrrev_i32_e32 v117, 31, v116
	v_lshl_add_u64 v[56:57], v[56:57], 3, v[0:1]
	v_ashrrev_i32_e32 v61, 31, v60
	s_delay_alu instid0(VALU_DEP_4) | instskip(NEXT) | instid1(VALU_DEP_4)
	v_dual_ashrrev_i32 v105, 31, v104 :: v_dual_add_nc_u32 v88, s2, v86
	v_lshl_add_u64 v[92:93], v[116:117], 3, v[0:1]
	s_clause 0x3
	global_store_b64 v[90:91], v[84:85], off
	global_store_b64 v[92:93], v[80:81], off
	;; [unrolled: 1-line block ×4, first 2 shown]
	v_add_nc_u32_e32 v96, s2, v88
	s_wait_xcnt 0x2
	v_lshl_add_u64 v[80:81], v[102:103], 3, v[0:1]
	s_wait_xcnt 0x1
	v_lshl_add_u64 v[82:83], v[120:121], 3, v[0:1]
	s_clause 0x3
	global_store_b64 v[80:81], v[76:77], off
	global_store_b64 v[82:83], v[72:73], off
	;; [unrolled: 1-line block ×4, first 2 shown]
	s_wait_xcnt 0x4
	v_add_nc_u32_e32 v4, s2, v96
	s_wait_xcnt 0x0
	v_lshl_add_u64 v[70:71], v[114:115], 3, v[0:1]
	v_lshl_add_u64 v[58:59], v[58:59], 3, v[0:1]
	v_ashrrev_i32_e32 v87, 31, v86
	v_lshl_add_u64 v[60:61], v[60:61], 3, v[0:1]
	v_add_nc_u32_e32 v78, s2, v4
	v_lshl_add_u64 v[72:73], v[104:105], 3, v[0:1]
	s_clause 0x3
	global_store_b64 v[70:71], v[68:69], off
	global_store_b64 v[58:59], v[64:65], off
	;; [unrolled: 1-line block ×4, first 2 shown]
	v_dual_ashrrev_i32 v5, 31, v4 :: v_dual_add_nc_u32 v84, s2, v78
	v_ashrrev_i32_e32 v97, 31, v96
	s_wait_xcnt 0x0
	v_lshl_add_u64 v[62:63], v[86:87], 3, v[0:1]
	v_ashrrev_i32_e32 v79, 31, v78
	v_lshl_add_u64 v[4:5], v[4:5], 3, v[0:1]
	v_add_nc_u32_e32 v54, s2, v84
	v_lshl_add_u64 v[66:67], v[96:97], 3, v[0:1]
	s_delay_alu instid0(VALU_DEP_2) | instskip(NEXT) | instid1(VALU_DEP_1)
	v_dual_ashrrev_i32 v85, 31, v84 :: v_dual_add_nc_u32 v56, s2, v54
	v_dual_add_nc_u32 v74, s2, v56 :: v_dual_ashrrev_i32 v57, 31, v56
	s_delay_alu instid0(VALU_DEP_1) | instskip(SKIP_2) | instid1(VALU_DEP_3)
	v_dual_add_nc_u32 v58, s2, v74 :: v_dual_ashrrev_i32 v89, 31, v88
	v_ashrrev_i32_e32 v55, 31, v54
	v_ashrrev_i32_e32 v75, 31, v74
	v_add_nc_u32_e32 v60, s2, v58
	s_delay_alu instid0(VALU_DEP_4)
	v_lshl_add_u64 v[64:65], v[88:89], 3, v[0:1]
	s_clause 0x3
	global_store_b64 v[62:63], v[52:53], off
	global_store_b64 v[64:65], v[48:49], off
	;; [unrolled: 1-line block ×4, first 2 shown]
	v_dual_add_nc_u32 v68, s2, v60 :: v_dual_ashrrev_i32 v59, 31, v58
	s_wait_xcnt 0x2
	v_lshl_add_u64 v[48:49], v[78:79], 3, v[0:1]
	v_lshl_add_u64 v[52:53], v[54:55], 3, v[0:1]
	;; [unrolled: 1-line block ×3, first 2 shown]
	s_wait_xcnt 0x0
	v_add_nc_u32_e32 v4, s2, v68
	v_lshl_add_u64 v[50:51], v[84:85], 3, v[0:1]
	s_clause 0x3
	global_store_b64 v[48:49], v[44:45], off
	global_store_b64 v[50:51], v[40:41], off
	;; [unrolled: 1-line block ×4, first 2 shown]
	v_add_nc_u32_e32 v46, s2, v4
	v_ashrrev_i32_e32 v61, 31, v60
	s_wait_xcnt 0x1
	v_lshl_add_u64 v[42:43], v[74:75], 3, v[0:1]
	v_lshl_add_u64 v[44:45], v[58:59], 3, v[0:1]
	v_dual_add_nc_u32 v56, s2, v46 :: v_dual_ashrrev_i32 v47, 31, v46
	v_lshl_add_u64 v[48:49], v[60:61], 3, v[0:1]
	s_wait_xcnt 0x0
	s_delay_alu instid0(VALU_DEP_2) | instskip(NEXT) | instid1(VALU_DEP_1)
	v_add_nc_u32_e32 v38, s2, v56
	v_dual_ashrrev_i32 v69, 31, v68 :: v_dual_ashrrev_i32 v39, 31, v38
	v_add_nc_u32_e32 v40, s2, v38
	s_delay_alu instid0(VALU_DEP_2)
	v_lshl_add_u64 v[50:51], v[68:69], 3, v[0:1]
	s_clause 0x3
	global_store_b64 v[42:43], v[36:37], off
	global_store_b64 v[44:45], v[32:33], off
	;; [unrolled: 1-line block ×4, first 2 shown]
	s_wait_xcnt 0x1
	v_lshl_add_u64 v[34:35], v[46:47], 3, v[0:1]
	v_add_nc_u32_e32 v52, s2, v40
	v_lshl_add_u64 v[38:39], v[38:39], 3, v[0:1]
	v_ashrrev_i32_e32 v41, 31, v40
	s_wait_xcnt 0x0
	s_delay_alu instid0(VALU_DEP_3) | instskip(NEXT) | instid1(VALU_DEP_1)
	v_add_nc_u32_e32 v30, s2, v52
	v_dual_ashrrev_i32 v5, 31, v4 :: v_dual_add_nc_u32 v32, s2, v30
	s_delay_alu instid0(VALU_DEP_1) | instskip(SKIP_1) | instid1(VALU_DEP_3)
	v_lshl_add_u64 v[4:5], v[4:5], 3, v[0:1]
	v_ashrrev_i32_e32 v53, 31, v52
	v_dual_add_nc_u32 v42, s2, v32 :: v_dual_ashrrev_i32 v33, 31, v32
	s_delay_alu instid0(VALU_DEP_1) | instskip(NEXT) | instid1(VALU_DEP_1)
	v_dual_ashrrev_i32 v57, 31, v56 :: v_dual_ashrrev_i32 v43, 31, v42
	v_lshl_add_u64 v[36:37], v[56:57], 3, v[0:1]
	s_clause 0x3
	global_store_b64 v[4:5], v[26:27], off
	global_store_b64 v[34:35], v[22:23], off
	;; [unrolled: 1-line block ×4, first 2 shown]
	s_wait_xcnt 0x3
	v_add_nc_u32_e32 v4, s2, v42
	v_ashrrev_i32_e32 v31, 31, v30
	s_wait_xcnt 0x2
	v_lshl_add_u64 v[22:23], v[40:41], 3, v[0:1]
	s_wait_xcnt 0x1
	v_lshl_add_u64 v[24:25], v[52:53], 3, v[0:1]
	s_wait_xcnt 0x0
	v_dual_add_nc_u32 v20, s2, v4 :: v_dual_ashrrev_i32 v5, 31, v4
	v_lshl_add_u64 v[26:27], v[30:31], 3, v[0:1]
	v_lshl_add_u64 v[30:31], v[32:33], 3, v[0:1]
	s_clause 0x3
	global_store_b64 v[22:23], v[14:15], off
	global_store_b64 v[24:25], v[10:11], off
	;; [unrolled: 1-line block ×4, first 2 shown]
	v_dual_add_nc_u32 v32, s2, v20 :: v_dual_ashrrev_i32 v21, 31, v20
	s_wait_xcnt 0x2
	v_lshl_add_u64 v[10:11], v[42:43], 3, v[0:1]
	v_lshl_add_u64 v[4:5], v[4:5], 3, v[0:1]
	s_wait_xcnt 0x0
	v_dual_add_nc_u32 v8, s2, v32 :: v_dual_ashrrev_i32 v33, 31, v32
	v_lshl_add_u64 v[12:13], v[20:21], 3, v[0:1]
	s_delay_alu instid0(VALU_DEP_2) | instskip(NEXT) | instid1(VALU_DEP_3)
	v_ashrrev_i32_e32 v9, 31, v8
	v_lshl_add_u64 v[14:15], v[32:33], 3, v[0:1]
	s_delay_alu instid0(VALU_DEP_2)
	v_lshl_add_u64 v[0:1], v[8:9], 3, v[0:1]
	s_clause 0x4
	global_store_b64 v[10:11], v[6:7], off
	global_store_b64 v[4:5], v[28:29], off
	global_store_b64 v[12:13], v[18:19], off
	global_store_b64 v[14:15], v[16:17], off
	global_store_b64 v[0:1], v[2:3], off
.LBB104_1114:
	s_sendmsg sendmsg(MSG_DEALLOC_VGPRS)
	s_endpgm
	.section	.rodata,"a",@progbits
	.p2align	6, 0x0
	.amdhsa_kernel _ZN9rocsolver6v33100L18getf2_small_kernelILi53E19rocblas_complex_numIfEiiPS3_EEvT1_T3_lS5_lPS5_llPT2_S5_S5_S7_l
		.amdhsa_group_segment_fixed_size 0
		.amdhsa_private_segment_fixed_size 0
		.amdhsa_kernarg_size 352
		.amdhsa_user_sgpr_count 2
		.amdhsa_user_sgpr_dispatch_ptr 0
		.amdhsa_user_sgpr_queue_ptr 0
		.amdhsa_user_sgpr_kernarg_segment_ptr 1
		.amdhsa_user_sgpr_dispatch_id 0
		.amdhsa_user_sgpr_kernarg_preload_length 0
		.amdhsa_user_sgpr_kernarg_preload_offset 0
		.amdhsa_user_sgpr_private_segment_size 0
		.amdhsa_wavefront_size32 1
		.amdhsa_uses_dynamic_stack 0
		.amdhsa_enable_private_segment 0
		.amdhsa_system_sgpr_workgroup_id_x 1
		.amdhsa_system_sgpr_workgroup_id_y 1
		.amdhsa_system_sgpr_workgroup_id_z 0
		.amdhsa_system_sgpr_workgroup_info 0
		.amdhsa_system_vgpr_workitem_id 1
		.amdhsa_next_free_vgpr 146
		.amdhsa_next_free_sgpr 19
		.amdhsa_named_barrier_count 0
		.amdhsa_reserve_vcc 1
		.amdhsa_float_round_mode_32 0
		.amdhsa_float_round_mode_16_64 0
		.amdhsa_float_denorm_mode_32 3
		.amdhsa_float_denorm_mode_16_64 3
		.amdhsa_fp16_overflow 0
		.amdhsa_memory_ordered 1
		.amdhsa_forward_progress 1
		.amdhsa_inst_pref_size 255
		.amdhsa_round_robin_scheduling 0
		.amdhsa_exception_fp_ieee_invalid_op 0
		.amdhsa_exception_fp_denorm_src 0
		.amdhsa_exception_fp_ieee_div_zero 0
		.amdhsa_exception_fp_ieee_overflow 0
		.amdhsa_exception_fp_ieee_underflow 0
		.amdhsa_exception_fp_ieee_inexact 0
		.amdhsa_exception_int_div_zero 0
	.end_amdhsa_kernel
	.section	.text._ZN9rocsolver6v33100L18getf2_small_kernelILi53E19rocblas_complex_numIfEiiPS3_EEvT1_T3_lS5_lPS5_llPT2_S5_S5_S7_l,"axG",@progbits,_ZN9rocsolver6v33100L18getf2_small_kernelILi53E19rocblas_complex_numIfEiiPS3_EEvT1_T3_lS5_lPS5_llPT2_S5_S5_S7_l,comdat
.Lfunc_end104:
	.size	_ZN9rocsolver6v33100L18getf2_small_kernelILi53E19rocblas_complex_numIfEiiPS3_EEvT1_T3_lS5_lPS5_llPT2_S5_S5_S7_l, .Lfunc_end104-_ZN9rocsolver6v33100L18getf2_small_kernelILi53E19rocblas_complex_numIfEiiPS3_EEvT1_T3_lS5_lPS5_llPT2_S5_S5_S7_l
                                        ; -- End function
	.set _ZN9rocsolver6v33100L18getf2_small_kernelILi53E19rocblas_complex_numIfEiiPS3_EEvT1_T3_lS5_lPS5_llPT2_S5_S5_S7_l.num_vgpr, 146
	.set _ZN9rocsolver6v33100L18getf2_small_kernelILi53E19rocblas_complex_numIfEiiPS3_EEvT1_T3_lS5_lPS5_llPT2_S5_S5_S7_l.num_agpr, 0
	.set _ZN9rocsolver6v33100L18getf2_small_kernelILi53E19rocblas_complex_numIfEiiPS3_EEvT1_T3_lS5_lPS5_llPT2_S5_S5_S7_l.numbered_sgpr, 19
	.set _ZN9rocsolver6v33100L18getf2_small_kernelILi53E19rocblas_complex_numIfEiiPS3_EEvT1_T3_lS5_lPS5_llPT2_S5_S5_S7_l.num_named_barrier, 0
	.set _ZN9rocsolver6v33100L18getf2_small_kernelILi53E19rocblas_complex_numIfEiiPS3_EEvT1_T3_lS5_lPS5_llPT2_S5_S5_S7_l.private_seg_size, 0
	.set _ZN9rocsolver6v33100L18getf2_small_kernelILi53E19rocblas_complex_numIfEiiPS3_EEvT1_T3_lS5_lPS5_llPT2_S5_S5_S7_l.uses_vcc, 1
	.set _ZN9rocsolver6v33100L18getf2_small_kernelILi53E19rocblas_complex_numIfEiiPS3_EEvT1_T3_lS5_lPS5_llPT2_S5_S5_S7_l.uses_flat_scratch, 0
	.set _ZN9rocsolver6v33100L18getf2_small_kernelILi53E19rocblas_complex_numIfEiiPS3_EEvT1_T3_lS5_lPS5_llPT2_S5_S5_S7_l.has_dyn_sized_stack, 0
	.set _ZN9rocsolver6v33100L18getf2_small_kernelILi53E19rocblas_complex_numIfEiiPS3_EEvT1_T3_lS5_lPS5_llPT2_S5_S5_S7_l.has_recursion, 0
	.set _ZN9rocsolver6v33100L18getf2_small_kernelILi53E19rocblas_complex_numIfEiiPS3_EEvT1_T3_lS5_lPS5_llPT2_S5_S5_S7_l.has_indirect_call, 0
	.section	.AMDGPU.csdata,"",@progbits
; Kernel info:
; codeLenInByte = 132900
; TotalNumSgprs: 21
; NumVgprs: 146
; ScratchSize: 0
; MemoryBound: 0
; FloatMode: 240
; IeeeMode: 1
; LDSByteSize: 0 bytes/workgroup (compile time only)
; SGPRBlocks: 0
; VGPRBlocks: 9
; NumSGPRsForWavesPerEU: 21
; NumVGPRsForWavesPerEU: 146
; NamedBarCnt: 0
; Occupancy: 6
; WaveLimiterHint : 0
; COMPUTE_PGM_RSRC2:SCRATCH_EN: 0
; COMPUTE_PGM_RSRC2:USER_SGPR: 2
; COMPUTE_PGM_RSRC2:TRAP_HANDLER: 0
; COMPUTE_PGM_RSRC2:TGID_X_EN: 1
; COMPUTE_PGM_RSRC2:TGID_Y_EN: 1
; COMPUTE_PGM_RSRC2:TGID_Z_EN: 0
; COMPUTE_PGM_RSRC2:TIDIG_COMP_CNT: 1
	.section	.text._ZN9rocsolver6v33100L23getf2_npvt_small_kernelILi53E19rocblas_complex_numIfEiiPS3_EEvT1_T3_lS5_lPT2_S5_S5_,"axG",@progbits,_ZN9rocsolver6v33100L23getf2_npvt_small_kernelILi53E19rocblas_complex_numIfEiiPS3_EEvT1_T3_lS5_lPT2_S5_S5_,comdat
	.globl	_ZN9rocsolver6v33100L23getf2_npvt_small_kernelILi53E19rocblas_complex_numIfEiiPS3_EEvT1_T3_lS5_lPT2_S5_S5_ ; -- Begin function _ZN9rocsolver6v33100L23getf2_npvt_small_kernelILi53E19rocblas_complex_numIfEiiPS3_EEvT1_T3_lS5_lPT2_S5_S5_
	.p2align	8
	.type	_ZN9rocsolver6v33100L23getf2_npvt_small_kernelILi53E19rocblas_complex_numIfEiiPS3_EEvT1_T3_lS5_lPT2_S5_S5_,@function
_ZN9rocsolver6v33100L23getf2_npvt_small_kernelILi53E19rocblas_complex_numIfEiiPS3_EEvT1_T3_lS5_lPT2_S5_S5_: ; @_ZN9rocsolver6v33100L23getf2_npvt_small_kernelILi53E19rocblas_complex_numIfEiiPS3_EEvT1_T3_lS5_lPT2_S5_S5_
; %bb.0:
	s_clause 0x1
	s_load_u16 s14, s[0:1], 0x46
	s_load_b64 s[2:3], s[0:1], 0x30
	s_bfe_u32 s4, ttmp6, 0x40010
	s_bfe_u32 s5, ttmp6, 0x40004
	s_add_co_i32 s4, s4, 1
	s_getreg_b32 s6, hwreg(HW_REG_IB_STS2, 6, 4)
	s_mul_i32 s4, ttmp7, s4
	v_bfe_u32 v48, v0, 10, 10
	s_add_co_i32 s5, s5, s4
	s_cmp_eq_u32 s6, 0
	s_cselect_b32 s4, ttmp7, s5
	s_wait_kmcnt 0x0
	v_mad_u32 v122, s4, s14, v48
	s_delay_alu instid0(VALU_DEP_1)
	v_cmp_gt_i32_e32 vcc_lo, s2, v122
	s_and_saveexec_b32 s2, vcc_lo
	s_cbranch_execz .LBB105_480
; %bb.1:
	s_clause 0x1
	s_load_b32 s12, s[0:1], 0x18
	s_load_b128 s[8:11], s[0:1], 0x8
	v_and_b32_e32 v132, 0x3ff, v0
	s_load_b128 s[4:7], s[0:1], 0x20
	s_mulk_i32 s14, 0x1a8
	v_mad_u32_u24 v134, 0x1a8, v48, 0
	v_ashrrev_i32_e32 v123, 31, v122
	s_wait_xcnt 0x0
	v_cmp_ne_u32_e64 s1, 0, v132
	v_cmp_eq_u32_e64 s0, 0, v132
	v_mov_b32_e32 v35, 0
	s_wait_kmcnt 0x0
	v_add3_u32 v28, s12, s12, v132
	s_ashr_i32 s13, s12, 31
	v_mul_u64_e32 v[16:17], s[4:5], v[122:123]
	s_delay_alu instid0(VALU_DEP_2) | instskip(NEXT) | instid1(VALU_DEP_1)
	v_add_nc_u32_e32 v20, s12, v28
	v_add_nc_u32_e32 v22, s12, v20
	s_delay_alu instid0(VALU_DEP_1) | instskip(NEXT) | instid1(VALU_DEP_1)
	v_add_nc_u32_e32 v24, s12, v22
	v_add_nc_u32_e32 v26, s12, v24
	s_delay_alu instid0(VALU_DEP_1) | instskip(SKIP_1) | instid1(VALU_DEP_2)
	v_dual_add_nc_u32 v14, s12, v26 :: v_dual_ashrrev_i32 v29, 31, v28
	v_ashrrev_i32_e32 v23, 31, v22
	v_dual_add_nc_u32 v18, s12, v14 :: v_dual_ashrrev_i32 v25, 31, v24
	v_ashrrev_i32_e32 v27, 31, v26
	s_delay_alu instid0(VALU_DEP_2) | instskip(SKIP_1) | instid1(VALU_DEP_2)
	v_add_nc_u32_e32 v12, s12, v18
	v_lshl_add_u64 v[16:17], v[16:17], 3, s[8:9]
	v_add_nc_u32_e32 v8, s12, v12
	s_delay_alu instid0(VALU_DEP_2) | instskip(NEXT) | instid1(VALU_DEP_2)
	v_lshl_add_u64 v[66:67], s[10:11], 3, v[16:17]
	v_dual_add_nc_u32 v0, s12, v8 :: v_dual_ashrrev_i32 v19, 31, v18
	v_ashrrev_i32_e32 v13, 31, v12
	s_delay_alu instid0(VALU_DEP_3) | instskip(SKIP_1) | instid1(VALU_DEP_4)
	v_lshl_add_u64 v[154:155], v[28:29], 3, v[66:67]
	v_lshl_add_u64 v[170:171], v[22:23], 3, v[66:67]
	v_dual_add_nc_u32 v4, s12, v0 :: v_dual_ashrrev_i32 v1, 31, v0
	s_delay_alu instid0(VALU_DEP_4) | instskip(SKIP_2) | instid1(VALU_DEP_4)
	v_lshl_add_u64 v[172:173], v[12:13], 3, v[66:67]
	v_lshl_add_u64 v[166:167], v[18:19], 3, v[66:67]
	;; [unrolled: 1-line block ×3, first 2 shown]
	v_add_nc_u32_e32 v2, s12, v4
	v_lshl_add_u64 v[176:177], v[0:1], 3, v[66:67]
	v_lshl_add_u64 v[152:153], v[26:27], 3, v[66:67]
	s_delay_alu instid0(VALU_DEP_3) | instskip(NEXT) | instid1(VALU_DEP_1)
	v_add_nc_u32_e32 v6, s12, v2
	v_dual_add_nc_u32 v10, s12, v6 :: v_dual_ashrrev_i32 v9, 31, v8
	v_dual_ashrrev_i32 v3, 31, v2 :: v_dual_ashrrev_i32 v5, 31, v4
	v_ashrrev_i32_e32 v7, 31, v6
	s_delay_alu instid0(VALU_DEP_3) | instskip(NEXT) | instid1(VALU_DEP_4)
	v_add_nc_u32_e32 v30, s12, v10
	v_lshl_add_u64 v[174:175], v[8:9], 3, v[66:67]
	v_ashrrev_i32_e32 v11, 31, v10
	v_lshl_add_u64 v[186:187], v[4:5], 3, v[66:67]
	v_lshl_add_u64 v[190:191], v[2:3], 3, v[66:67]
	v_add_nc_u32_e32 v32, s12, v30
	v_lshl_add_u64 v[192:193], v[6:7], 3, v[66:67]
	v_lshl_add_u64 v[194:195], v[10:11], 3, v[66:67]
	s_delay_alu instid0(VALU_DEP_3) | instskip(SKIP_1) | instid1(VALU_DEP_2)
	v_add_nc_u32_e32 v42, s12, v32
	v_dual_lshlrev_b32 v34, 3, v132 :: v_dual_ashrrev_i32 v31, 31, v30
	v_dual_add_nc_u32 v50, s12, v42 :: v_dual_ashrrev_i32 v21, 31, v20
	s_delay_alu instid0(VALU_DEP_2) | instskip(NEXT) | instid1(VALU_DEP_3)
	v_add_nc_u64_e32 v[16:17], v[66:67], v[34:35]
	v_lshl_add_u64 v[214:215], v[30:31], 3, v[66:67]
	s_delay_alu instid0(VALU_DEP_3)
	v_add_nc_u32_e32 v52, s12, v50
	v_ashrrev_i32_e32 v15, 31, v14
	v_ashrrev_i32_e32 v43, 31, v42
	v_lshl_add_u64 v[168:169], v[20:21], 3, v[66:67]
	v_lshl_add_u64 v[188:189], s[12:13], 3, v[16:17]
	v_add_nc_u32_e32 v68, s12, v52
	v_lshl_add_u64 v[164:165], v[14:15], 3, v[66:67]
	v_ashrrev_i32_e32 v53, 31, v52
	v_lshl_add_u64 v[218:219], v[42:43], 3, v[66:67]
	s_delay_alu instid0(VALU_DEP_4) | instskip(SKIP_1) | instid1(VALU_DEP_4)
	v_dual_ashrrev_i32 v51, 31, v50 :: v_dual_ashrrev_i32 v69, 31, v68
	v_add_nc_u32_e32 v28, s12, v68
	v_lshl_add_u64 v[222:223], v[52:53], 3, v[66:67]
	s_clause 0x3
	global_load_b64 v[26:27], v[170:171], off
	global_load_b64 v[22:23], v[150:151], off
	;; [unrolled: 1-line block ×4, first 2 shown]
	v_lshl_add_u64 v[220:221], v[50:51], 3, v[66:67]
	v_lshl_add_u64 v[224:225], v[68:69], 3, v[66:67]
	v_add_nc_u32_e32 v70, s12, v28
	s_clause 0xb
	global_load_b64 v[54:55], v[16:17], off
	global_load_b64 v[56:57], v[188:189], off
	;; [unrolled: 1-line block ×12, first 2 shown]
	v_dual_add_nc_u32 v12, s12, v70 :: v_dual_ashrrev_i32 v29, 31, v28
	s_delay_alu instid0(VALU_DEP_1) | instskip(NEXT) | instid1(VALU_DEP_2)
	v_dual_add_nc_u32 v14, s12, v12 :: v_dual_ashrrev_i32 v13, 31, v12
	v_lshl_add_u64 v[226:227], v[28:29], 3, v[66:67]
	s_delay_alu instid0(VALU_DEP_2) | instskip(NEXT) | instid1(VALU_DEP_3)
	v_dual_add_nc_u32 v8, s12, v14 :: v_dual_ashrrev_i32 v15, 31, v14
	v_lshl_add_u64 v[230:231], v[12:13], 3, v[66:67]
	s_delay_alu instid0(VALU_DEP_2) | instskip(NEXT) | instid1(VALU_DEP_3)
	;; [unrolled: 3-line block ×3, first 2 shown]
	v_add_nc_u32_e32 v4, s12, v0
	v_lshl_add_u64 v[234:235], v[8:9], 3, v[66:67]
	v_ashrrev_i32_e32 v1, 31, v0
	s_delay_alu instid0(VALU_DEP_3) | instskip(SKIP_1) | instid1(VALU_DEP_3)
	v_add_nc_u32_e32 v2, s12, v4
	v_ashrrev_i32_e32 v33, 31, v32
	v_lshl_add_u64 v[236:237], v[0:1], 3, v[66:67]
	s_delay_alu instid0(VALU_DEP_3) | instskip(NEXT) | instid1(VALU_DEP_3)
	v_add_nc_u32_e32 v6, s12, v2
	v_lshl_add_u64 v[216:217], v[32:33], 3, v[66:67]
	s_clause 0x3
	global_load_b64 v[80:81], v[214:215], off
	global_load_b64 v[76:77], v[216:217], off
	;; [unrolled: 1-line block ×4, first 2 shown]
	v_dual_add_nc_u32 v10, s12, v6 :: v_dual_ashrrev_i32 v5, 31, v4
	v_ashrrev_i32_e32 v3, 31, v2
	v_ashrrev_i32_e32 v7, 31, v6
	s_delay_alu instid0(VALU_DEP_3) | instskip(NEXT) | instid1(VALU_DEP_4)
	v_add_nc_u32_e32 v18, s12, v10
	v_lshl_add_u64 v[238:239], v[4:5], 3, v[66:67]
	s_delay_alu instid0(VALU_DEP_4) | instskip(NEXT) | instid1(VALU_DEP_4)
	v_lshl_add_u64 v[240:241], v[2:3], 3, v[66:67]
	v_lshl_add_u64 v[242:243], v[6:7], 3, v[66:67]
	v_ashrrev_i32_e32 v11, 31, v10
	v_add_nc_u32_e32 v30, s12, v18
	s_delay_alu instid0(VALU_DEP_2) | instskip(NEXT) | instid1(VALU_DEP_2)
	v_lshl_add_u64 v[244:245], v[10:11], 3, v[66:67]
	v_add_nc_u32_e32 v32, s12, v30
	s_delay_alu instid0(VALU_DEP_1) | instskip(NEXT) | instid1(VALU_DEP_1)
	v_dual_ashrrev_i32 v71, 31, v70 :: v_dual_add_nc_u32 v42, s12, v32
	v_lshl_add_u64 v[228:229], v[70:71], 3, v[66:67]
	s_clause 0x7
	global_load_b64 v[96:97], v[222:223], off
	global_load_b64 v[92:93], v[224:225], off
	;; [unrolled: 1-line block ×8, first 2 shown]
	v_add_nc_u32_e32 v12, s12, v42
	v_ashrrev_i32_e32 v31, 31, v30
	s_clause 0x3
	global_load_b64 v[130:131], v[238:239], off
	global_load_b64 v[126:127], v[240:241], off
	;; [unrolled: 1-line block ×4, first 2 shown]
	v_dual_add_nc_u32 v28, s12, v12 :: v_dual_ashrrev_i32 v13, 31, v12
	v_dual_ashrrev_i32 v19, 31, v18 :: v_dual_ashrrev_i32 v33, 31, v32
	v_lshl_add_u64 v[248:249], v[30:31], 3, v[66:67]
	s_delay_alu instid0(VALU_DEP_3) | instskip(NEXT) | instid1(VALU_DEP_4)
	v_add_nc_u32_e32 v14, s12, v28
	v_lshl_add_u64 v[254:255], v[12:13], 3, v[66:67]
	s_delay_alu instid0(VALU_DEP_4) | instskip(SKIP_1) | instid1(VALU_DEP_4)
	v_lshl_add_u64 v[246:247], v[18:19], 3, v[66:67]
	v_lshl_add_u64 v[250:251], v[32:33], 3, v[66:67]
	v_dual_ashrrev_i32 v29, 31, v28 :: v_dual_add_nc_u32 v0, s12, v14
	s_delay_alu instid0(VALU_DEP_1) | instskip(NEXT) | instid1(VALU_DEP_2)
	v_lshl_add_u64 v[30:31], v[28:29], 3, v[66:67]
	v_dual_add_nc_u32 v4, s12, v0 :: v_dual_ashrrev_i32 v15, 31, v14
	s_delay_alu instid0(VALU_DEP_1) | instskip(NEXT) | instid1(VALU_DEP_2)
	v_dual_ashrrev_i32 v5, 31, v4 :: v_dual_add_nc_u32 v2, s12, v4
	v_lshl_add_u64 v[14:15], v[14:15], 3, v[66:67]
	s_delay_alu instid0(VALU_DEP_2) | instskip(NEXT) | instid1(VALU_DEP_1)
	v_dual_ashrrev_i32 v1, 31, v0 :: v_dual_add_nc_u32 v6, s12, v2
	v_lshl_add_u64 v[32:33], v[0:1], 3, v[66:67]
	s_delay_alu instid0(VALU_DEP_2) | instskip(NEXT) | instid1(VALU_DEP_1)
	v_add_nc_u32_e32 v8, s12, v6
	v_dual_add_nc_u32 v10, s12, v8 :: v_dual_ashrrev_i32 v9, 31, v8
	s_delay_alu instid0(VALU_DEP_1) | instskip(SKIP_1) | instid1(VALU_DEP_3)
	v_add_nc_u32_e32 v12, s12, v10
	v_ashrrev_i32_e32 v43, 31, v42
	v_lshl_add_u64 v[8:9], v[8:9], 3, v[66:67]
	s_delay_alu instid0(VALU_DEP_3) | instskip(NEXT) | instid1(VALU_DEP_3)
	v_add_nc_u32_e32 v18, s12, v12
	v_lshl_add_u64 v[252:253], v[42:43], 3, v[66:67]
	v_lshl_add_u64 v[42:43], v[4:5], 3, v[66:67]
	v_ashrrev_i32_e32 v13, 31, v12
	s_clause 0x3
	global_load_b64 v[146:147], v[246:247], off
	global_load_b64 v[142:143], v[248:249], off
	;; [unrolled: 1-line block ×4, first 2 shown]
	v_add_nc_u32_e32 v28, s12, v18
	v_ashrrev_i32_e32 v3, 31, v2
	v_ashrrev_i32_e32 v19, 31, v18
	v_lshl_add_u64 v[12:13], v[12:13], 3, v[66:67]
	s_clause 0x3
	scratch_store_b64 off, v[30:31], off
	scratch_store_b64 off, v[14:15], off offset:8
	scratch_store_b64 off, v[32:33], off offset:16
	;; [unrolled: 1-line block ×3, first 2 shown]
	v_dual_add_nc_u32 v0, s12, v28 :: v_dual_ashrrev_i32 v7, 31, v6
	s_clause 0x2
	global_load_b64 v[160:161], v[14:15], off
	global_load_b64 v[178:179], v[8:9], off
	global_load_b64 v[200:201], v[12:13], off
	v_dual_add_nc_u32 v4, s12, v0 :: v_dual_ashrrev_i32 v11, 31, v10
	s_wait_xcnt 0x2
	v_lshl_add_u64 v[14:15], v[2:3], 3, v[66:67]
	s_clause 0x2
	global_load_b64 v[158:159], v[30:31], off
	global_load_b64 v[156:157], v[32:33], off
	;; [unrolled: 1-line block ×3, first 2 shown]
	v_lshl_add_u64 v[10:11], v[10:11], 3, v[66:67]
	v_add_nc_u32_e32 v2, s12, v4
	v_ashrrev_i32_e32 v29, 31, v28
	global_load_b64 v[180:181], v[14:15], off
	s_wait_xcnt 0x3
	v_lshl_add_u64 v[30:31], v[6:7], 3, v[66:67]
	global_load_b64 v[208:209], v[10:11], off
	v_add_nc_u32_e32 v6, s12, v2
	s_clause 0x3
	scratch_store_b64 off, v[14:15], off offset:32
	scratch_store_b64 off, v[8:9], off offset:48
	;; [unrolled: 1-line block ×4, first 2 shown]
	s_wait_xcnt 0x2
	v_dual_add_nc_u32 v8, s12, v6 :: v_dual_ashrrev_i32 v1, 31, v0
	v_dual_ashrrev_i32 v5, 31, v4 :: v_dual_ashrrev_i32 v3, 31, v2
	s_delay_alu instid0(VALU_DEP_2)
	v_dual_ashrrev_i32 v7, 31, v6 :: v_dual_ashrrev_i32 v9, 31, v8
	v_lshl_add_u64 v[14:15], v[18:19], 3, v[66:67]
	v_lshl_add_u64 v[18:19], v[28:29], 3, v[66:67]
	;; [unrolled: 1-line block ×7, first 2 shown]
	s_clause 0x8
	global_load_b64 v[162:163], v[254:255], off
	global_load_b64 v[182:183], v[30:31], off
	;; [unrolled: 1-line block ×9, first 2 shown]
	s_clause 0x3
	scratch_store_b64 off, v[12:13], off offset:64
	scratch_store_b64 off, v[14:15], off offset:72
	;; [unrolled: 1-line block ×4, first 2 shown]
	s_wait_xcnt 0x0
	v_lshlrev_b32_e32 v0, 3, v48
	s_clause 0x3
	scratch_store_b64 off, v[28:29], off offset:96
	scratch_store_b64 off, v[4:5], off offset:104
	;; [unrolled: 1-line block ×4, first 2 shown]
	v_add3_u32 v133, 0, s14, v0
	s_wait_xcnt 0x0
	s_and_saveexec_b32 s4, s0
	s_cbranch_execz .LBB105_8
; %bb.2:
	s_wait_loadcnt 0x30
	ds_store_b64 v133, v[54:55]
	s_wait_loadcnt 0x2e
	ds_store_2addr_b64 v134, v[56:57], v[46:47] offset0:1 offset1:2
	s_wait_loadcnt 0x2d
	ds_store_2addr_b64 v134, v[44:45], v[26:27] offset0:3 offset1:4
	ds_store_2addr_b64 v134, v[22:23], v[24:25] offset0:5 offset1:6
	s_wait_loadcnt 0x2c
	ds_store_2addr_b64 v134, v[20:21], v[40:41] offset0:7 offset1:8
	s_wait_loadcnt 0x2a
	;; [unrolled: 2-line block ×15, first 2 shown]
	ds_store_2addr_b64 v134, v[140:141], v[162:163] offset0:35 offset1:36
	ds_store_2addr_b64 v134, v[158:159], v[160:161] offset0:37 offset1:38
	;; [unrolled: 1-line block ×3, first 2 shown]
	s_wait_loadcnt 0x7
	ds_store_2addr_b64 v134, v[180:181], v[182:183] offset0:41 offset1:42
	ds_store_2addr_b64 v134, v[178:179], v[208:209] offset0:43 offset1:44
	s_wait_loadcnt 0x6
	ds_store_2addr_b64 v134, v[200:201], v[206:207] offset0:45 offset1:46
	s_wait_loadcnt 0x4
	;; [unrolled: 2-line block ×4, first 2 shown]
	ds_store_2addr_b64 v134, v[210:211], v[212:213] offset0:51 offset1:52
	ds_load_b64 v[0:1], v133
	s_wait_dscnt 0x0
	v_cmp_neq_f32_e32 vcc_lo, 0, v0
	v_cmp_neq_f32_e64 s2, 0, v1
	s_or_b32 s2, vcc_lo, s2
	s_delay_alu instid0(SALU_CYCLE_1)
	s_and_b32 exec_lo, exec_lo, s2
	s_cbranch_execz .LBB105_8
; %bb.3:
	v_cmp_ngt_f32_e64 s2, |v0|, |v1|
                                        ; implicit-def: $vgpr2_vgpr3
	s_and_saveexec_b32 s5, s2
	s_delay_alu instid0(SALU_CYCLE_1)
	s_xor_b32 s2, exec_lo, s5
	s_cbranch_execz .LBB105_5
; %bb.4:
	v_div_scale_f32 v2, null, v1, v1, v0
	v_div_scale_f32 v5, vcc_lo, v0, v1, v0
	s_delay_alu instid0(VALU_DEP_2) | instskip(SKIP_1) | instid1(TRANS32_DEP_1)
	v_rcp_f32_e32 v3, v2
	v_nop
	v_fma_f32 v4, -v2, v3, 1.0
	s_delay_alu instid0(VALU_DEP_1) | instskip(NEXT) | instid1(VALU_DEP_1)
	v_fmac_f32_e32 v3, v4, v3
	v_mul_f32_e32 v4, v5, v3
	s_delay_alu instid0(VALU_DEP_1) | instskip(NEXT) | instid1(VALU_DEP_1)
	v_fma_f32 v6, -v2, v4, v5
	v_fmac_f32_e32 v4, v6, v3
	s_delay_alu instid0(VALU_DEP_1) | instskip(NEXT) | instid1(VALU_DEP_1)
	v_fma_f32 v2, -v2, v4, v5
	v_div_fmas_f32 v2, v2, v3, v4
	s_delay_alu instid0(VALU_DEP_1) | instskip(NEXT) | instid1(VALU_DEP_1)
	v_div_fixup_f32 v2, v2, v1, v0
	v_fmac_f32_e32 v1, v0, v2
	s_delay_alu instid0(VALU_DEP_1) | instskip(SKIP_1) | instid1(VALU_DEP_2)
	v_div_scale_f32 v0, null, v1, v1, 1.0
	v_div_scale_f32 v5, vcc_lo, 1.0, v1, 1.0
	v_rcp_f32_e32 v3, v0
	v_nop
	s_delay_alu instid0(TRANS32_DEP_1) | instskip(NEXT) | instid1(VALU_DEP_1)
	v_fma_f32 v4, -v0, v3, 1.0
	v_fmac_f32_e32 v3, v4, v3
	s_delay_alu instid0(VALU_DEP_1) | instskip(NEXT) | instid1(VALU_DEP_1)
	v_mul_f32_e32 v4, v5, v3
	v_fma_f32 v6, -v0, v4, v5
	s_delay_alu instid0(VALU_DEP_1) | instskip(NEXT) | instid1(VALU_DEP_1)
	v_fmac_f32_e32 v4, v6, v3
	v_fma_f32 v0, -v0, v4, v5
	s_delay_alu instid0(VALU_DEP_1) | instskip(NEXT) | instid1(VALU_DEP_1)
	v_div_fmas_f32 v0, v0, v3, v4
	v_div_fixup_f32 v0, v0, v1, 1.0
	s_delay_alu instid0(VALU_DEP_1)
	v_mul_f32_e32 v2, v2, v0
	v_xor_b32_e32 v3, 0x80000000, v0
                                        ; implicit-def: $vgpr0_vgpr1
.LBB105_5:
	s_and_not1_saveexec_b32 s2, s2
	s_cbranch_execz .LBB105_7
; %bb.6:
	v_div_scale_f32 v2, null, v0, v0, v1
	v_div_scale_f32 v5, vcc_lo, v1, v0, v1
	s_delay_alu instid0(VALU_DEP_2) | instskip(SKIP_1) | instid1(TRANS32_DEP_1)
	v_rcp_f32_e32 v3, v2
	v_nop
	v_fma_f32 v4, -v2, v3, 1.0
	s_delay_alu instid0(VALU_DEP_1) | instskip(NEXT) | instid1(VALU_DEP_1)
	v_fmac_f32_e32 v3, v4, v3
	v_mul_f32_e32 v4, v5, v3
	s_delay_alu instid0(VALU_DEP_1) | instskip(NEXT) | instid1(VALU_DEP_1)
	v_fma_f32 v6, -v2, v4, v5
	v_fmac_f32_e32 v4, v6, v3
	s_delay_alu instid0(VALU_DEP_1) | instskip(NEXT) | instid1(VALU_DEP_1)
	v_fma_f32 v2, -v2, v4, v5
	v_div_fmas_f32 v2, v2, v3, v4
	s_delay_alu instid0(VALU_DEP_1) | instskip(NEXT) | instid1(VALU_DEP_1)
	v_div_fixup_f32 v3, v2, v0, v1
	v_fmac_f32_e32 v0, v1, v3
	s_delay_alu instid0(VALU_DEP_1) | instskip(NEXT) | instid1(VALU_DEP_1)
	v_div_scale_f32 v1, null, v0, v0, 1.0
	v_rcp_f32_e32 v2, v1
	v_nop
	s_delay_alu instid0(TRANS32_DEP_1) | instskip(NEXT) | instid1(VALU_DEP_1)
	v_fma_f32 v4, -v1, v2, 1.0
	v_fmac_f32_e32 v2, v4, v2
	v_div_scale_f32 v4, vcc_lo, 1.0, v0, 1.0
	s_delay_alu instid0(VALU_DEP_1) | instskip(NEXT) | instid1(VALU_DEP_1)
	v_mul_f32_e32 v5, v4, v2
	v_fma_f32 v6, -v1, v5, v4
	s_delay_alu instid0(VALU_DEP_1) | instskip(NEXT) | instid1(VALU_DEP_1)
	v_fmac_f32_e32 v5, v6, v2
	v_fma_f32 v1, -v1, v5, v4
	s_delay_alu instid0(VALU_DEP_1) | instskip(NEXT) | instid1(VALU_DEP_1)
	v_div_fmas_f32 v1, v1, v2, v5
	v_div_fixup_f32 v2, v1, v0, 1.0
	s_delay_alu instid0(VALU_DEP_1)
	v_mul_f32_e64 v3, v3, -v2
.LBB105_7:
	s_or_b32 exec_lo, exec_lo, s2
	ds_store_b64 v133, v[2:3]
.LBB105_8:
	s_or_b32 exec_lo, exec_lo, s4
	s_wait_storecnt 0x0
	s_wait_loadcnt_dscnt 0x0
	s_barrier_signal -1
	s_barrier_wait -1
	ds_load_b64 v[0:1], v133
	s_wait_dscnt 0x0
	scratch_store_b64 off, v[0:1], off offset:128 ; 8-byte Folded Spill
	s_wait_xcnt 0x0
	s_and_saveexec_b32 s2, s1
	s_cbranch_execz .LBB105_10
; %bb.9:
	scratch_load_b64 v[4:5], off, off offset:128 ; 8-byte Folded Reload
	s_wait_loadcnt 0x0
	v_pk_mul_f32 v[2:3], v[4:5], v[54:55] op_sel:[1,1] op_sel_hi:[0,1]
	s_delay_alu instid0(VALU_DEP_1)
	v_pk_fma_f32 v[0:1], v[4:5], v[54:55], v[2:3] op_sel_hi:[1,0,1] neg_lo:[0,0,1] neg_hi:[0,0,1]
	v_pk_fma_f32 v[2:3], v[4:5], v[54:55], v[2:3] op_sel_hi:[1,0,1]
	ds_load_2addr_b64 v[4:7], v134 offset0:1 offset1:2
	v_dual_mov_b32 v54, v0 :: v_dual_mov_b32 v55, v3
	s_wait_dscnt 0x0
	v_pk_mul_f32 v[8:9], v[4:5], v[2:3] op_sel:[0,1]
	s_delay_alu instid0(VALU_DEP_1) | instskip(SKIP_1) | instid1(VALU_DEP_1)
	v_pk_fma_f32 v[10:11], v[4:5], v[0:1], v[8:9] op_sel:[0,0,1] op_sel_hi:[1,1,0] neg_lo:[0,0,1] neg_hi:[0,0,1]
	v_pk_fma_f32 v[4:5], v[4:5], v[0:1], v[8:9] op_sel:[0,0,1] op_sel_hi:[1,0,0]
	v_mov_b32_e32 v11, v5
	v_pk_mul_f32 v[4:5], v[6:7], v[2:3] op_sel:[0,1]
	s_delay_alu instid0(VALU_DEP_1) | instskip(SKIP_1) | instid1(VALU_DEP_1)
	v_pk_fma_f32 v[8:9], v[6:7], v[0:1], v[4:5] op_sel:[0,0,1] op_sel_hi:[1,1,0] neg_lo:[0,0,1] neg_hi:[0,0,1]
	v_pk_fma_f32 v[4:5], v[6:7], v[0:1], v[4:5] op_sel:[0,0,1] op_sel_hi:[1,0,0]
	v_mov_b32_e32 v9, v5
	ds_load_2addr_b64 v[4:7], v134 offset0:3 offset1:4
	v_pk_add_f32 v[56:57], v[56:57], v[10:11] neg_lo:[0,1] neg_hi:[0,1]
	v_pk_add_f32 v[46:47], v[46:47], v[8:9] neg_lo:[0,1] neg_hi:[0,1]
	s_wait_dscnt 0x0
	v_pk_mul_f32 v[8:9], v[4:5], v[2:3] op_sel:[0,1]
	s_delay_alu instid0(VALU_DEP_1) | instskip(SKIP_2) | instid1(VALU_DEP_2)
	v_pk_fma_f32 v[10:11], v[4:5], v[0:1], v[8:9] op_sel:[0,0,1] op_sel_hi:[1,1,0] neg_lo:[0,0,1] neg_hi:[0,0,1]
	v_pk_fma_f32 v[4:5], v[4:5], v[0:1], v[8:9] op_sel:[0,0,1] op_sel_hi:[1,0,0]
	v_dual_mul_f32 v8, v7, v3 :: v_dual_mov_b32 v4, v7
	v_dual_mov_b32 v11, v5 :: v_dual_mov_b32 v5, v6
	s_delay_alu instid0(VALU_DEP_2) | instskip(SKIP_1) | instid1(VALU_DEP_3)
	v_pk_fma_f32 v[8:9], v[6:7], v[54:55], v[8:9] op_sel_hi:[1,1,0] neg_lo:[0,0,1] neg_hi:[0,0,1]
	v_mul_f32_e32 v6, v7, v0
	v_pk_add_f32 v[44:45], v[44:45], v[10:11] neg_lo:[0,1] neg_hi:[0,1]
	s_delay_alu instid0(VALU_DEP_2) | instskip(NEXT) | instid1(VALU_DEP_1)
	v_pk_fma_f32 v[4:5], v[4:5], v[54:55], v[6:7] op_sel_hi:[1,1,0]
	v_mov_b32_e32 v9, v5
	ds_load_2addr_b64 v[4:7], v134 offset0:5 offset1:6
	v_pk_add_f32 v[26:27], v[26:27], v[8:9] neg_lo:[0,1] neg_hi:[0,1]
	s_wait_dscnt 0x0
	v_pk_mul_f32 v[8:9], v[4:5], v[2:3] op_sel:[0,1]
	s_delay_alu instid0(VALU_DEP_1) | instskip(SKIP_1) | instid1(VALU_DEP_1)
	v_pk_fma_f32 v[10:11], v[4:5], v[0:1], v[8:9] op_sel:[0,0,1] op_sel_hi:[1,1,0] neg_lo:[0,0,1] neg_hi:[0,0,1]
	v_pk_fma_f32 v[4:5], v[4:5], v[0:1], v[8:9] op_sel:[0,0,1] op_sel_hi:[1,0,0]
	v_mov_b32_e32 v11, v5
	v_pk_mul_f32 v[4:5], v[6:7], v[2:3] op_sel:[0,1]
	s_delay_alu instid0(VALU_DEP_1) | instskip(SKIP_1) | instid1(VALU_DEP_1)
	v_pk_fma_f32 v[8:9], v[6:7], v[0:1], v[4:5] op_sel:[0,0,1] op_sel_hi:[1,1,0] neg_lo:[0,0,1] neg_hi:[0,0,1]
	v_pk_fma_f32 v[4:5], v[6:7], v[0:1], v[4:5] op_sel:[0,0,1] op_sel_hi:[1,0,0]
	v_mov_b32_e32 v9, v5
	ds_load_2addr_b64 v[4:7], v134 offset0:7 offset1:8
	v_pk_add_f32 v[22:23], v[22:23], v[10:11] neg_lo:[0,1] neg_hi:[0,1]
	v_pk_add_f32 v[24:25], v[24:25], v[8:9] neg_lo:[0,1] neg_hi:[0,1]
	s_wait_dscnt 0x0
	v_pk_mul_f32 v[8:9], v[4:5], v[2:3] op_sel:[0,1]
	s_delay_alu instid0(VALU_DEP_1) | instskip(SKIP_1) | instid1(VALU_DEP_1)
	v_pk_fma_f32 v[10:11], v[4:5], v[0:1], v[8:9] op_sel:[0,0,1] op_sel_hi:[1,1,0] neg_lo:[0,0,1] neg_hi:[0,0,1]
	v_pk_fma_f32 v[4:5], v[4:5], v[0:1], v[8:9] op_sel:[0,0,1] op_sel_hi:[1,0,0]
	v_mov_b32_e32 v11, v5
	v_pk_mul_f32 v[4:5], v[6:7], v[2:3] op_sel:[0,1]
	s_delay_alu instid0(VALU_DEP_1) | instskip(SKIP_1) | instid1(VALU_DEP_1)
	v_pk_fma_f32 v[8:9], v[6:7], v[0:1], v[4:5] op_sel:[0,0,1] op_sel_hi:[1,1,0] neg_lo:[0,0,1] neg_hi:[0,0,1]
	v_pk_fma_f32 v[4:5], v[6:7], v[0:1], v[4:5] op_sel:[0,0,1] op_sel_hi:[1,0,0]
	v_mov_b32_e32 v9, v5
	ds_load_2addr_b64 v[4:7], v134 offset0:9 offset1:10
	v_pk_add_f32 v[20:21], v[20:21], v[10:11] neg_lo:[0,1] neg_hi:[0,1]
	v_pk_add_f32 v[40:41], v[40:41], v[8:9] neg_lo:[0,1] neg_hi:[0,1]
	s_wait_dscnt 0x0
	v_dual_mul_f32 v8, v5, v3 :: v_dual_mul_f32 v10, v5, v0
	s_delay_alu instid0(VALU_DEP_1) | instskip(NEXT) | instid1(VALU_DEP_2)
	v_pk_fma_f32 v[8:9], v[4:5], v[54:55], v[8:9] op_sel_hi:[1,1,0] neg_lo:[0,0,1] neg_hi:[0,0,1]
	v_pk_fma_f32 v[4:5], v[4:5], v[54:55], v[10:11] op_sel:[1,0,0] op_sel_hi:[0,1,0]
	s_delay_alu instid0(VALU_DEP_1) | instskip(SKIP_1) | instid1(VALU_DEP_2)
	v_mov_b32_e32 v9, v5
	v_pk_mul_f32 v[4:5], v[6:7], v[2:3] op_sel:[0,1]
	v_pk_add_f32 v[36:37], v[36:37], v[8:9] neg_lo:[0,1] neg_hi:[0,1]
	s_delay_alu instid0(VALU_DEP_2) | instskip(SKIP_1) | instid1(VALU_DEP_1)
	v_pk_fma_f32 v[8:9], v[6:7], v[0:1], v[4:5] op_sel:[0,0,1] op_sel_hi:[1,1,0] neg_lo:[0,0,1] neg_hi:[0,0,1]
	v_pk_fma_f32 v[4:5], v[6:7], v[0:1], v[4:5] op_sel:[0,0,1] op_sel_hi:[1,0,0]
	v_mov_b32_e32 v9, v5
	ds_load_2addr_b64 v[4:7], v134 offset0:11 offset1:12
	v_pk_add_f32 v[38:39], v[38:39], v[8:9] neg_lo:[0,1] neg_hi:[0,1]
	s_wait_dscnt 0x0
	v_pk_mul_f32 v[8:9], v[4:5], v[2:3] op_sel:[0,1]
	s_delay_alu instid0(VALU_DEP_1) | instskip(SKIP_1) | instid1(VALU_DEP_1)
	v_pk_fma_f32 v[10:11], v[4:5], v[0:1], v[8:9] op_sel:[0,0,1] op_sel_hi:[1,1,0] neg_lo:[0,0,1] neg_hi:[0,0,1]
	v_pk_fma_f32 v[4:5], v[4:5], v[0:1], v[8:9] op_sel:[0,0,1] op_sel_hi:[1,0,0]
	v_mov_b32_e32 v11, v5
	v_pk_mul_f32 v[4:5], v[6:7], v[2:3] op_sel:[0,1]
	s_delay_alu instid0(VALU_DEP_2) | instskip(NEXT) | instid1(VALU_DEP_2)
	v_pk_add_f32 v[34:35], v[34:35], v[10:11] neg_lo:[0,1] neg_hi:[0,1]
	v_pk_fma_f32 v[8:9], v[6:7], v[0:1], v[4:5] op_sel:[0,0,1] op_sel_hi:[1,1,0] neg_lo:[0,0,1] neg_hi:[0,0,1]
	v_pk_fma_f32 v[4:5], v[6:7], v[0:1], v[4:5] op_sel:[0,0,1] op_sel_hi:[1,0,0]
	s_delay_alu instid0(VALU_DEP_1) | instskip(SKIP_4) | instid1(VALU_DEP_1)
	v_mov_b32_e32 v9, v5
	ds_load_2addr_b64 v[4:7], v134 offset0:13 offset1:14
	v_pk_add_f32 v[64:65], v[64:65], v[8:9] neg_lo:[0,1] neg_hi:[0,1]
	s_wait_dscnt 0x0
	v_pk_mul_f32 v[8:9], v[4:5], v[2:3] op_sel:[0,1]
	v_pk_fma_f32 v[10:11], v[4:5], v[0:1], v[8:9] op_sel:[0,0,1] op_sel_hi:[1,1,0] neg_lo:[0,0,1] neg_hi:[0,0,1]
	v_pk_fma_f32 v[4:5], v[4:5], v[0:1], v[8:9] op_sel:[0,0,1] op_sel_hi:[1,0,0]
	v_dual_mul_f32 v8, v7, v3 :: v_dual_mov_b32 v4, v7
	s_delay_alu instid0(VALU_DEP_2) | instskip(NEXT) | instid1(VALU_DEP_2)
	v_dual_mov_b32 v11, v5 :: v_dual_mov_b32 v5, v6
	v_pk_fma_f32 v[8:9], v[6:7], v[54:55], v[8:9] op_sel_hi:[1,1,0] neg_lo:[0,0,1] neg_hi:[0,0,1]
	v_mul_f32_e32 v6, v7, v0
	s_delay_alu instid0(VALU_DEP_3) | instskip(NEXT) | instid1(VALU_DEP_2)
	v_pk_add_f32 v[60:61], v[60:61], v[10:11] neg_lo:[0,1] neg_hi:[0,1]
	v_pk_fma_f32 v[4:5], v[4:5], v[54:55], v[6:7] op_sel_hi:[1,1,0]
	s_delay_alu instid0(VALU_DEP_1) | instskip(SKIP_4) | instid1(VALU_DEP_1)
	v_mov_b32_e32 v9, v5
	ds_load_2addr_b64 v[4:7], v134 offset0:15 offset1:16
	v_pk_add_f32 v[62:63], v[62:63], v[8:9] neg_lo:[0,1] neg_hi:[0,1]
	s_wait_dscnt 0x0
	v_pk_mul_f32 v[8:9], v[4:5], v[2:3] op_sel:[0,1]
	v_pk_fma_f32 v[10:11], v[4:5], v[0:1], v[8:9] op_sel:[0,0,1] op_sel_hi:[1,1,0] neg_lo:[0,0,1] neg_hi:[0,0,1]
	v_pk_fma_f32 v[4:5], v[4:5], v[0:1], v[8:9] op_sel:[0,0,1] op_sel_hi:[1,0,0]
	s_delay_alu instid0(VALU_DEP_1) | instskip(SKIP_1) | instid1(VALU_DEP_1)
	v_mov_b32_e32 v11, v5
	v_pk_mul_f32 v[4:5], v[6:7], v[2:3] op_sel:[0,1]
	v_pk_fma_f32 v[8:9], v[6:7], v[0:1], v[4:5] op_sel:[0,0,1] op_sel_hi:[1,1,0] neg_lo:[0,0,1] neg_hi:[0,0,1]
	v_pk_fma_f32 v[4:5], v[6:7], v[0:1], v[4:5] op_sel:[0,0,1] op_sel_hi:[1,0,0]
	s_delay_alu instid0(VALU_DEP_1)
	v_mov_b32_e32 v9, v5
	ds_load_2addr_b64 v[4:7], v134 offset0:17 offset1:18
	v_pk_add_f32 v[58:59], v[58:59], v[10:11] neg_lo:[0,1] neg_hi:[0,1]
	v_pk_add_f32 v[80:81], v[80:81], v[8:9] neg_lo:[0,1] neg_hi:[0,1]
	s_wait_dscnt 0x0
	v_pk_mul_f32 v[8:9], v[4:5], v[2:3] op_sel:[0,1]
	s_delay_alu instid0(VALU_DEP_1) | instskip(SKIP_1) | instid1(VALU_DEP_1)
	v_pk_fma_f32 v[10:11], v[4:5], v[0:1], v[8:9] op_sel:[0,0,1] op_sel_hi:[1,1,0] neg_lo:[0,0,1] neg_hi:[0,0,1]
	v_pk_fma_f32 v[4:5], v[4:5], v[0:1], v[8:9] op_sel:[0,0,1] op_sel_hi:[1,0,0]
	v_mov_b32_e32 v11, v5
	v_pk_mul_f32 v[4:5], v[6:7], v[2:3] op_sel:[0,1]
	s_delay_alu instid0(VALU_DEP_1) | instskip(SKIP_1) | instid1(VALU_DEP_1)
	v_pk_fma_f32 v[8:9], v[6:7], v[0:1], v[4:5] op_sel:[0,0,1] op_sel_hi:[1,1,0] neg_lo:[0,0,1] neg_hi:[0,0,1]
	v_pk_fma_f32 v[4:5], v[6:7], v[0:1], v[4:5] op_sel:[0,0,1] op_sel_hi:[1,0,0]
	v_mov_b32_e32 v9, v5
	ds_load_2addr_b64 v[4:7], v134 offset0:19 offset1:20
	v_pk_add_f32 v[76:77], v[76:77], v[10:11] neg_lo:[0,1] neg_hi:[0,1]
	v_pk_add_f32 v[78:79], v[78:79], v[8:9] neg_lo:[0,1] neg_hi:[0,1]
	s_wait_dscnt 0x0
	v_dual_mul_f32 v8, v5, v3 :: v_dual_mul_f32 v10, v5, v0
	s_delay_alu instid0(VALU_DEP_1) | instskip(NEXT) | instid1(VALU_DEP_2)
	v_pk_fma_f32 v[8:9], v[4:5], v[54:55], v[8:9] op_sel_hi:[1,1,0] neg_lo:[0,0,1] neg_hi:[0,0,1]
	v_pk_fma_f32 v[4:5], v[4:5], v[54:55], v[10:11] op_sel:[1,0,0] op_sel_hi:[0,1,0]
	s_delay_alu instid0(VALU_DEP_1) | instskip(SKIP_1) | instid1(VALU_DEP_2)
	v_mov_b32_e32 v9, v5
	v_pk_mul_f32 v[4:5], v[6:7], v[2:3] op_sel:[0,1]
	v_pk_add_f32 v[74:75], v[74:75], v[8:9] neg_lo:[0,1] neg_hi:[0,1]
	s_delay_alu instid0(VALU_DEP_2) | instskip(SKIP_1) | instid1(VALU_DEP_1)
	v_pk_fma_f32 v[8:9], v[6:7], v[0:1], v[4:5] op_sel:[0,0,1] op_sel_hi:[1,1,0] neg_lo:[0,0,1] neg_hi:[0,0,1]
	v_pk_fma_f32 v[4:5], v[6:7], v[0:1], v[4:5] op_sel:[0,0,1] op_sel_hi:[1,0,0]
	v_mov_b32_e32 v9, v5
	ds_load_2addr_b64 v[4:7], v134 offset0:21 offset1:22
	v_pk_add_f32 v[96:97], v[96:97], v[8:9] neg_lo:[0,1] neg_hi:[0,1]
	s_wait_dscnt 0x0
	v_pk_mul_f32 v[8:9], v[4:5], v[2:3] op_sel:[0,1]
	s_delay_alu instid0(VALU_DEP_1) | instskip(SKIP_1) | instid1(VALU_DEP_1)
	v_pk_fma_f32 v[10:11], v[4:5], v[0:1], v[8:9] op_sel:[0,0,1] op_sel_hi:[1,1,0] neg_lo:[0,0,1] neg_hi:[0,0,1]
	v_pk_fma_f32 v[4:5], v[4:5], v[0:1], v[8:9] op_sel:[0,0,1] op_sel_hi:[1,0,0]
	v_mov_b32_e32 v11, v5
	v_pk_mul_f32 v[4:5], v[6:7], v[2:3] op_sel:[0,1]
	s_delay_alu instid0(VALU_DEP_2) | instskip(NEXT) | instid1(VALU_DEP_2)
	v_pk_add_f32 v[92:93], v[92:93], v[10:11] neg_lo:[0,1] neg_hi:[0,1]
	v_pk_fma_f32 v[8:9], v[6:7], v[0:1], v[4:5] op_sel:[0,0,1] op_sel_hi:[1,1,0] neg_lo:[0,0,1] neg_hi:[0,0,1]
	v_pk_fma_f32 v[4:5], v[6:7], v[0:1], v[4:5] op_sel:[0,0,1] op_sel_hi:[1,0,0]
	s_delay_alu instid0(VALU_DEP_1) | instskip(SKIP_4) | instid1(VALU_DEP_1)
	v_mov_b32_e32 v9, v5
	ds_load_2addr_b64 v[4:7], v134 offset0:23 offset1:24
	v_pk_add_f32 v[94:95], v[94:95], v[8:9] neg_lo:[0,1] neg_hi:[0,1]
	s_wait_dscnt 0x0
	v_pk_mul_f32 v[8:9], v[4:5], v[2:3] op_sel:[0,1]
	v_pk_fma_f32 v[10:11], v[4:5], v[0:1], v[8:9] op_sel:[0,0,1] op_sel_hi:[1,1,0] neg_lo:[0,0,1] neg_hi:[0,0,1]
	v_pk_fma_f32 v[4:5], v[4:5], v[0:1], v[8:9] op_sel:[0,0,1] op_sel_hi:[1,0,0]
	v_dual_mul_f32 v8, v7, v3 :: v_dual_mov_b32 v4, v7
	s_delay_alu instid0(VALU_DEP_2) | instskip(NEXT) | instid1(VALU_DEP_2)
	v_dual_mov_b32 v11, v5 :: v_dual_mov_b32 v5, v6
	v_pk_fma_f32 v[8:9], v[6:7], v[54:55], v[8:9] op_sel_hi:[1,1,0] neg_lo:[0,0,1] neg_hi:[0,0,1]
	v_mul_f32_e32 v6, v7, v0
	s_delay_alu instid0(VALU_DEP_3) | instskip(NEXT) | instid1(VALU_DEP_2)
	v_pk_add_f32 v[90:91], v[90:91], v[10:11] neg_lo:[0,1] neg_hi:[0,1]
	v_pk_fma_f32 v[4:5], v[4:5], v[54:55], v[6:7] op_sel_hi:[1,1,0]
	s_delay_alu instid0(VALU_DEP_1) | instskip(SKIP_4) | instid1(VALU_DEP_1)
	v_mov_b32_e32 v9, v5
	ds_load_2addr_b64 v[4:7], v134 offset0:25 offset1:26
	v_pk_add_f32 v[112:113], v[112:113], v[8:9] neg_lo:[0,1] neg_hi:[0,1]
	s_wait_dscnt 0x0
	v_pk_mul_f32 v[8:9], v[4:5], v[2:3] op_sel:[0,1]
	v_pk_fma_f32 v[10:11], v[4:5], v[0:1], v[8:9] op_sel:[0,0,1] op_sel_hi:[1,1,0] neg_lo:[0,0,1] neg_hi:[0,0,1]
	v_pk_fma_f32 v[4:5], v[4:5], v[0:1], v[8:9] op_sel:[0,0,1] op_sel_hi:[1,0,0]
	s_delay_alu instid0(VALU_DEP_1) | instskip(SKIP_1) | instid1(VALU_DEP_1)
	v_mov_b32_e32 v11, v5
	v_pk_mul_f32 v[4:5], v[6:7], v[2:3] op_sel:[0,1]
	v_pk_fma_f32 v[8:9], v[6:7], v[0:1], v[4:5] op_sel:[0,0,1] op_sel_hi:[1,1,0] neg_lo:[0,0,1] neg_hi:[0,0,1]
	v_pk_fma_f32 v[4:5], v[6:7], v[0:1], v[4:5] op_sel:[0,0,1] op_sel_hi:[1,0,0]
	s_delay_alu instid0(VALU_DEP_1)
	v_mov_b32_e32 v9, v5
	ds_load_2addr_b64 v[4:7], v134 offset0:27 offset1:28
	v_pk_add_f32 v[108:109], v[108:109], v[10:11] neg_lo:[0,1] neg_hi:[0,1]
	v_pk_add_f32 v[110:111], v[110:111], v[8:9] neg_lo:[0,1] neg_hi:[0,1]
	s_wait_dscnt 0x0
	v_pk_mul_f32 v[8:9], v[4:5], v[2:3] op_sel:[0,1]
	s_delay_alu instid0(VALU_DEP_1) | instskip(SKIP_1) | instid1(VALU_DEP_1)
	v_pk_fma_f32 v[10:11], v[4:5], v[0:1], v[8:9] op_sel:[0,0,1] op_sel_hi:[1,1,0] neg_lo:[0,0,1] neg_hi:[0,0,1]
	v_pk_fma_f32 v[4:5], v[4:5], v[0:1], v[8:9] op_sel:[0,0,1] op_sel_hi:[1,0,0]
	v_mov_b32_e32 v11, v5
	v_pk_mul_f32 v[4:5], v[6:7], v[2:3] op_sel:[0,1]
	s_delay_alu instid0(VALU_DEP_1) | instskip(SKIP_1) | instid1(VALU_DEP_1)
	v_pk_fma_f32 v[8:9], v[6:7], v[0:1], v[4:5] op_sel:[0,0,1] op_sel_hi:[1,1,0] neg_lo:[0,0,1] neg_hi:[0,0,1]
	v_pk_fma_f32 v[4:5], v[6:7], v[0:1], v[4:5] op_sel:[0,0,1] op_sel_hi:[1,0,0]
	v_mov_b32_e32 v9, v5
	ds_load_2addr_b64 v[4:7], v134 offset0:29 offset1:30
	v_pk_add_f32 v[106:107], v[106:107], v[10:11] neg_lo:[0,1] neg_hi:[0,1]
	v_pk_add_f32 v[130:131], v[130:131], v[8:9] neg_lo:[0,1] neg_hi:[0,1]
	s_wait_dscnt 0x0
	v_dual_mul_f32 v8, v5, v3 :: v_dual_mul_f32 v10, v5, v0
	s_delay_alu instid0(VALU_DEP_1) | instskip(NEXT) | instid1(VALU_DEP_2)
	v_pk_fma_f32 v[8:9], v[4:5], v[54:55], v[8:9] op_sel_hi:[1,1,0] neg_lo:[0,0,1] neg_hi:[0,0,1]
	v_pk_fma_f32 v[4:5], v[4:5], v[54:55], v[10:11] op_sel:[1,0,0] op_sel_hi:[0,1,0]
	s_delay_alu instid0(VALU_DEP_1) | instskip(SKIP_1) | instid1(VALU_DEP_2)
	v_mov_b32_e32 v9, v5
	v_pk_mul_f32 v[4:5], v[6:7], v[2:3] op_sel:[0,1]
	v_pk_add_f32 v[126:127], v[126:127], v[8:9] neg_lo:[0,1] neg_hi:[0,1]
	s_delay_alu instid0(VALU_DEP_2) | instskip(SKIP_1) | instid1(VALU_DEP_1)
	v_pk_fma_f32 v[8:9], v[6:7], v[0:1], v[4:5] op_sel:[0,0,1] op_sel_hi:[1,1,0] neg_lo:[0,0,1] neg_hi:[0,0,1]
	v_pk_fma_f32 v[4:5], v[6:7], v[0:1], v[4:5] op_sel:[0,0,1] op_sel_hi:[1,0,0]
	v_mov_b32_e32 v9, v5
	ds_load_2addr_b64 v[4:7], v134 offset0:31 offset1:32
	v_pk_add_f32 v[128:129], v[128:129], v[8:9] neg_lo:[0,1] neg_hi:[0,1]
	s_wait_dscnt 0x0
	v_pk_mul_f32 v[8:9], v[4:5], v[2:3] op_sel:[0,1]
	s_delay_alu instid0(VALU_DEP_1) | instskip(SKIP_1) | instid1(VALU_DEP_1)
	v_pk_fma_f32 v[10:11], v[4:5], v[0:1], v[8:9] op_sel:[0,0,1] op_sel_hi:[1,1,0] neg_lo:[0,0,1] neg_hi:[0,0,1]
	v_pk_fma_f32 v[4:5], v[4:5], v[0:1], v[8:9] op_sel:[0,0,1] op_sel_hi:[1,0,0]
	v_mov_b32_e32 v11, v5
	v_pk_mul_f32 v[4:5], v[6:7], v[2:3] op_sel:[0,1]
	s_delay_alu instid0(VALU_DEP_2) | instskip(NEXT) | instid1(VALU_DEP_2)
	v_pk_add_f32 v[124:125], v[124:125], v[10:11] neg_lo:[0,1] neg_hi:[0,1]
	v_pk_fma_f32 v[8:9], v[6:7], v[0:1], v[4:5] op_sel:[0,0,1] op_sel_hi:[1,1,0] neg_lo:[0,0,1] neg_hi:[0,0,1]
	v_pk_fma_f32 v[4:5], v[6:7], v[0:1], v[4:5] op_sel:[0,0,1] op_sel_hi:[1,0,0]
	s_delay_alu instid0(VALU_DEP_1) | instskip(SKIP_4) | instid1(VALU_DEP_1)
	v_mov_b32_e32 v9, v5
	ds_load_2addr_b64 v[4:7], v134 offset0:33 offset1:34
	v_pk_add_f32 v[146:147], v[146:147], v[8:9] neg_lo:[0,1] neg_hi:[0,1]
	s_wait_dscnt 0x0
	v_pk_mul_f32 v[8:9], v[4:5], v[2:3] op_sel:[0,1]
	v_pk_fma_f32 v[10:11], v[4:5], v[0:1], v[8:9] op_sel:[0,0,1] op_sel_hi:[1,1,0] neg_lo:[0,0,1] neg_hi:[0,0,1]
	v_pk_fma_f32 v[4:5], v[4:5], v[0:1], v[8:9] op_sel:[0,0,1] op_sel_hi:[1,0,0]
	v_dual_mul_f32 v8, v7, v3 :: v_dual_mov_b32 v4, v7
	s_delay_alu instid0(VALU_DEP_2) | instskip(NEXT) | instid1(VALU_DEP_2)
	v_dual_mov_b32 v11, v5 :: v_dual_mov_b32 v5, v6
	v_pk_fma_f32 v[8:9], v[6:7], v[54:55], v[8:9] op_sel_hi:[1,1,0] neg_lo:[0,0,1] neg_hi:[0,0,1]
	v_mul_f32_e32 v6, v7, v0
	s_delay_alu instid0(VALU_DEP_3) | instskip(NEXT) | instid1(VALU_DEP_2)
	v_pk_add_f32 v[142:143], v[142:143], v[10:11] neg_lo:[0,1] neg_hi:[0,1]
	v_pk_fma_f32 v[4:5], v[4:5], v[54:55], v[6:7] op_sel_hi:[1,1,0]
	s_delay_alu instid0(VALU_DEP_1) | instskip(SKIP_4) | instid1(VALU_DEP_1)
	v_mov_b32_e32 v9, v5
	ds_load_2addr_b64 v[4:7], v134 offset0:35 offset1:36
	v_pk_add_f32 v[144:145], v[144:145], v[8:9] neg_lo:[0,1] neg_hi:[0,1]
	s_wait_dscnt 0x0
	v_pk_mul_f32 v[8:9], v[4:5], v[2:3] op_sel:[0,1]
	v_pk_fma_f32 v[10:11], v[4:5], v[0:1], v[8:9] op_sel:[0,0,1] op_sel_hi:[1,1,0] neg_lo:[0,0,1] neg_hi:[0,0,1]
	v_pk_fma_f32 v[4:5], v[4:5], v[0:1], v[8:9] op_sel:[0,0,1] op_sel_hi:[1,0,0]
	s_delay_alu instid0(VALU_DEP_1) | instskip(SKIP_1) | instid1(VALU_DEP_1)
	v_mov_b32_e32 v11, v5
	v_pk_mul_f32 v[4:5], v[6:7], v[2:3] op_sel:[0,1]
	v_pk_fma_f32 v[8:9], v[6:7], v[0:1], v[4:5] op_sel:[0,0,1] op_sel_hi:[1,1,0] neg_lo:[0,0,1] neg_hi:[0,0,1]
	v_pk_fma_f32 v[4:5], v[6:7], v[0:1], v[4:5] op_sel:[0,0,1] op_sel_hi:[1,0,0]
	s_delay_alu instid0(VALU_DEP_1)
	v_mov_b32_e32 v9, v5
	ds_load_2addr_b64 v[4:7], v134 offset0:37 offset1:38
	v_pk_add_f32 v[140:141], v[140:141], v[10:11] neg_lo:[0,1] neg_hi:[0,1]
	v_pk_add_f32 v[162:163], v[162:163], v[8:9] neg_lo:[0,1] neg_hi:[0,1]
	s_wait_dscnt 0x0
	v_pk_mul_f32 v[8:9], v[4:5], v[2:3] op_sel:[0,1]
	s_delay_alu instid0(VALU_DEP_1) | instskip(SKIP_1) | instid1(VALU_DEP_1)
	v_pk_fma_f32 v[10:11], v[4:5], v[0:1], v[8:9] op_sel:[0,0,1] op_sel_hi:[1,1,0] neg_lo:[0,0,1] neg_hi:[0,0,1]
	v_pk_fma_f32 v[4:5], v[4:5], v[0:1], v[8:9] op_sel:[0,0,1] op_sel_hi:[1,0,0]
	v_mov_b32_e32 v11, v5
	v_pk_mul_f32 v[4:5], v[6:7], v[2:3] op_sel:[0,1]
	s_delay_alu instid0(VALU_DEP_1) | instskip(SKIP_1) | instid1(VALU_DEP_1)
	v_pk_fma_f32 v[8:9], v[6:7], v[0:1], v[4:5] op_sel:[0,0,1] op_sel_hi:[1,1,0] neg_lo:[0,0,1] neg_hi:[0,0,1]
	v_pk_fma_f32 v[4:5], v[6:7], v[0:1], v[4:5] op_sel:[0,0,1] op_sel_hi:[1,0,0]
	v_mov_b32_e32 v9, v5
	ds_load_2addr_b64 v[4:7], v134 offset0:39 offset1:40
	v_pk_add_f32 v[158:159], v[158:159], v[10:11] neg_lo:[0,1] neg_hi:[0,1]
	v_pk_add_f32 v[160:161], v[160:161], v[8:9] neg_lo:[0,1] neg_hi:[0,1]
	s_wait_dscnt 0x0
	v_dual_mul_f32 v8, v5, v3 :: v_dual_mul_f32 v10, v5, v0
	s_delay_alu instid0(VALU_DEP_1) | instskip(NEXT) | instid1(VALU_DEP_2)
	v_pk_fma_f32 v[8:9], v[4:5], v[54:55], v[8:9] op_sel_hi:[1,1,0] neg_lo:[0,0,1] neg_hi:[0,0,1]
	v_pk_fma_f32 v[4:5], v[4:5], v[54:55], v[10:11] op_sel:[1,0,0] op_sel_hi:[0,1,0]
	s_delay_alu instid0(VALU_DEP_1) | instskip(SKIP_1) | instid1(VALU_DEP_2)
	v_mov_b32_e32 v9, v5
	v_pk_mul_f32 v[4:5], v[6:7], v[2:3] op_sel:[0,1]
	v_pk_add_f32 v[156:157], v[156:157], v[8:9] neg_lo:[0,1] neg_hi:[0,1]
	s_delay_alu instid0(VALU_DEP_2) | instskip(SKIP_1) | instid1(VALU_DEP_1)
	v_pk_fma_f32 v[8:9], v[6:7], v[0:1], v[4:5] op_sel:[0,0,1] op_sel_hi:[1,1,0] neg_lo:[0,0,1] neg_hi:[0,0,1]
	v_pk_fma_f32 v[4:5], v[6:7], v[0:1], v[4:5] op_sel:[0,0,1] op_sel_hi:[1,0,0]
	v_mov_b32_e32 v9, v5
	ds_load_2addr_b64 v[4:7], v134 offset0:41 offset1:42
	v_pk_add_f32 v[184:185], v[184:185], v[8:9] neg_lo:[0,1] neg_hi:[0,1]
	s_wait_dscnt 0x0
	v_pk_mul_f32 v[8:9], v[4:5], v[2:3] op_sel:[0,1]
	s_delay_alu instid0(VALU_DEP_1) | instskip(SKIP_1) | instid1(VALU_DEP_1)
	v_pk_fma_f32 v[10:11], v[4:5], v[0:1], v[8:9] op_sel:[0,0,1] op_sel_hi:[1,1,0] neg_lo:[0,0,1] neg_hi:[0,0,1]
	v_pk_fma_f32 v[4:5], v[4:5], v[0:1], v[8:9] op_sel:[0,0,1] op_sel_hi:[1,0,0]
	v_mov_b32_e32 v11, v5
	v_pk_mul_f32 v[4:5], v[6:7], v[2:3] op_sel:[0,1]
	s_delay_alu instid0(VALU_DEP_2) | instskip(NEXT) | instid1(VALU_DEP_2)
	v_pk_add_f32 v[180:181], v[180:181], v[10:11] neg_lo:[0,1] neg_hi:[0,1]
	v_pk_fma_f32 v[8:9], v[6:7], v[0:1], v[4:5] op_sel:[0,0,1] op_sel_hi:[1,1,0] neg_lo:[0,0,1] neg_hi:[0,0,1]
	v_pk_fma_f32 v[4:5], v[6:7], v[0:1], v[4:5] op_sel:[0,0,1] op_sel_hi:[1,0,0]
	s_delay_alu instid0(VALU_DEP_1) | instskip(SKIP_4) | instid1(VALU_DEP_1)
	v_mov_b32_e32 v9, v5
	ds_load_2addr_b64 v[4:7], v134 offset0:43 offset1:44
	v_pk_add_f32 v[182:183], v[182:183], v[8:9] neg_lo:[0,1] neg_hi:[0,1]
	s_wait_dscnt 0x0
	v_pk_mul_f32 v[8:9], v[4:5], v[2:3] op_sel:[0,1]
	v_pk_fma_f32 v[10:11], v[4:5], v[0:1], v[8:9] op_sel:[0,0,1] op_sel_hi:[1,1,0] neg_lo:[0,0,1] neg_hi:[0,0,1]
	v_pk_fma_f32 v[4:5], v[4:5], v[0:1], v[8:9] op_sel:[0,0,1] op_sel_hi:[1,0,0]
	v_dual_mul_f32 v8, v7, v3 :: v_dual_mov_b32 v4, v7
	s_delay_alu instid0(VALU_DEP_2) | instskip(NEXT) | instid1(VALU_DEP_2)
	v_dual_mov_b32 v11, v5 :: v_dual_mov_b32 v5, v6
	v_pk_fma_f32 v[8:9], v[6:7], v[54:55], v[8:9] op_sel_hi:[1,1,0] neg_lo:[0,0,1] neg_hi:[0,0,1]
	v_mul_f32_e32 v6, v7, v0
	s_delay_alu instid0(VALU_DEP_3) | instskip(NEXT) | instid1(VALU_DEP_2)
	v_pk_add_f32 v[178:179], v[178:179], v[10:11] neg_lo:[0,1] neg_hi:[0,1]
	v_pk_fma_f32 v[4:5], v[4:5], v[54:55], v[6:7] op_sel_hi:[1,1,0]
	s_delay_alu instid0(VALU_DEP_1) | instskip(SKIP_4) | instid1(VALU_DEP_1)
	v_mov_b32_e32 v9, v5
	ds_load_2addr_b64 v[4:7], v134 offset0:45 offset1:46
	v_pk_add_f32 v[208:209], v[208:209], v[8:9] neg_lo:[0,1] neg_hi:[0,1]
	s_wait_dscnt 0x0
	v_pk_mul_f32 v[8:9], v[4:5], v[2:3] op_sel:[0,1]
	v_pk_fma_f32 v[10:11], v[4:5], v[0:1], v[8:9] op_sel:[0,0,1] op_sel_hi:[1,1,0] neg_lo:[0,0,1] neg_hi:[0,0,1]
	v_pk_fma_f32 v[4:5], v[4:5], v[0:1], v[8:9] op_sel:[0,0,1] op_sel_hi:[1,0,0]
	s_delay_alu instid0(VALU_DEP_1) | instskip(SKIP_1) | instid1(VALU_DEP_1)
	v_mov_b32_e32 v11, v5
	v_pk_mul_f32 v[4:5], v[6:7], v[2:3] op_sel:[0,1]
	v_pk_fma_f32 v[8:9], v[6:7], v[0:1], v[4:5] op_sel:[0,0,1] op_sel_hi:[1,1,0] neg_lo:[0,0,1] neg_hi:[0,0,1]
	v_pk_fma_f32 v[4:5], v[6:7], v[0:1], v[4:5] op_sel:[0,0,1] op_sel_hi:[1,0,0]
	s_delay_alu instid0(VALU_DEP_1)
	v_mov_b32_e32 v9, v5
	ds_load_2addr_b64 v[4:7], v134 offset0:47 offset1:48
	v_pk_add_f32 v[200:201], v[200:201], v[10:11] neg_lo:[0,1] neg_hi:[0,1]
	v_pk_add_f32 v[206:207], v[206:207], v[8:9] neg_lo:[0,1] neg_hi:[0,1]
	s_wait_dscnt 0x0
	v_pk_mul_f32 v[8:9], v[4:5], v[2:3] op_sel:[0,1]
	s_delay_alu instid0(VALU_DEP_1) | instskip(SKIP_1) | instid1(VALU_DEP_1)
	v_pk_fma_f32 v[10:11], v[4:5], v[0:1], v[8:9] op_sel:[0,0,1] op_sel_hi:[1,1,0] neg_lo:[0,0,1] neg_hi:[0,0,1]
	v_pk_fma_f32 v[4:5], v[4:5], v[0:1], v[8:9] op_sel:[0,0,1] op_sel_hi:[1,0,0]
	v_mov_b32_e32 v11, v5
	v_pk_mul_f32 v[4:5], v[6:7], v[2:3] op_sel:[0,1]
	s_delay_alu instid0(VALU_DEP_1) | instskip(SKIP_1) | instid1(VALU_DEP_1)
	v_pk_fma_f32 v[8:9], v[6:7], v[0:1], v[4:5] op_sel:[0,0,1] op_sel_hi:[1,1,0] neg_lo:[0,0,1] neg_hi:[0,0,1]
	v_pk_fma_f32 v[4:5], v[6:7], v[0:1], v[4:5] op_sel:[0,0,1] op_sel_hi:[1,0,0]
	v_mov_b32_e32 v9, v5
	ds_load_2addr_b64 v[4:7], v134 offset0:49 offset1:50
	v_pk_add_f32 v[198:199], v[198:199], v[10:11] neg_lo:[0,1] neg_hi:[0,1]
	v_pk_add_f32 v[204:205], v[204:205], v[8:9] neg_lo:[0,1] neg_hi:[0,1]
	s_wait_dscnt 0x0
	v_dual_mul_f32 v8, v5, v3 :: v_dual_mul_f32 v10, v5, v0
	s_delay_alu instid0(VALU_DEP_1) | instskip(NEXT) | instid1(VALU_DEP_2)
	v_pk_fma_f32 v[8:9], v[4:5], v[54:55], v[8:9] op_sel_hi:[1,1,0] neg_lo:[0,0,1] neg_hi:[0,0,1]
	v_pk_fma_f32 v[4:5], v[4:5], v[54:55], v[10:11] op_sel:[1,0,0] op_sel_hi:[0,1,0]
	s_delay_alu instid0(VALU_DEP_1) | instskip(SKIP_1) | instid1(VALU_DEP_2)
	v_mov_b32_e32 v9, v5
	v_pk_mul_f32 v[4:5], v[6:7], v[2:3] op_sel:[0,1]
	v_pk_add_f32 v[196:197], v[196:197], v[8:9] neg_lo:[0,1] neg_hi:[0,1]
	s_delay_alu instid0(VALU_DEP_2) | instskip(SKIP_1) | instid1(VALU_DEP_1)
	v_pk_fma_f32 v[8:9], v[6:7], v[0:1], v[4:5] op_sel:[0,0,1] op_sel_hi:[1,1,0] neg_lo:[0,0,1] neg_hi:[0,0,1]
	v_pk_fma_f32 v[4:5], v[6:7], v[0:1], v[4:5] op_sel:[0,0,1] op_sel_hi:[1,0,0]
	v_mov_b32_e32 v9, v5
	ds_load_2addr_b64 v[4:7], v134 offset0:51 offset1:52
	v_pk_add_f32 v[202:203], v[202:203], v[8:9] neg_lo:[0,1] neg_hi:[0,1]
	s_wait_dscnt 0x0
	v_pk_mul_f32 v[8:9], v[4:5], v[2:3] op_sel:[0,1]
	v_pk_mul_f32 v[2:3], v[6:7], v[2:3] op_sel:[0,1]
	s_delay_alu instid0(VALU_DEP_2) | instskip(SKIP_1) | instid1(VALU_DEP_1)
	v_pk_fma_f32 v[10:11], v[4:5], v[0:1], v[8:9] op_sel:[0,0,1] op_sel_hi:[1,1,0] neg_lo:[0,0,1] neg_hi:[0,0,1]
	v_pk_fma_f32 v[4:5], v[4:5], v[0:1], v[8:9] op_sel:[0,0,1] op_sel_hi:[1,0,0]
	v_mov_b32_e32 v11, v5
	s_delay_alu instid0(VALU_DEP_4) | instskip(SKIP_1) | instid1(VALU_DEP_3)
	v_pk_fma_f32 v[4:5], v[6:7], v[0:1], v[2:3] op_sel:[0,0,1] op_sel_hi:[1,1,0] neg_lo:[0,0,1] neg_hi:[0,0,1]
	v_pk_fma_f32 v[0:1], v[6:7], v[0:1], v[2:3] op_sel:[0,0,1] op_sel_hi:[1,0,0]
	v_pk_add_f32 v[210:211], v[210:211], v[10:11] neg_lo:[0,1] neg_hi:[0,1]
	s_delay_alu instid0(VALU_DEP_2) | instskip(NEXT) | instid1(VALU_DEP_1)
	v_mov_b32_e32 v5, v1
	v_pk_add_f32 v[212:213], v[212:213], v[4:5] neg_lo:[0,1] neg_hi:[0,1]
.LBB105_10:
	s_wait_xcnt 0x0
	s_or_b32 exec_lo, exec_lo, s2
	s_delay_alu instid0(SALU_CYCLE_1)
	s_mov_b32 s2, exec_lo
	s_wait_storecnt 0x0
	s_barrier_signal -1
	s_barrier_wait -1
	v_cmpx_eq_u32_e32 1, v132
	s_cbranch_execz .LBB105_17
; %bb.11:
	v_dual_mov_b32 v0, v46 :: v_dual_mov_b32 v1, v47
	v_dual_mov_b32 v2, v44 :: v_dual_mov_b32 v3, v45
	;; [unrolled: 1-line block ×4, first 2 shown]
	ds_store_b64 v133, v[56:57]
	ds_store_2addr_b64 v134, v[0:1], v[2:3] offset0:2 offset1:3
	ds_store_2addr_b64 v134, v[4:5], v[6:7] offset0:4 offset1:5
	v_dual_mov_b32 v0, v24 :: v_dual_mov_b32 v1, v25
	v_dual_mov_b32 v2, v20 :: v_dual_mov_b32 v3, v21
	v_dual_mov_b32 v4, v40 :: v_dual_mov_b32 v5, v41
	v_dual_mov_b32 v6, v36 :: v_dual_mov_b32 v7, v37
	v_dual_mov_b32 v8, v38 :: v_dual_mov_b32 v9, v39
	v_dual_mov_b32 v10, v34 :: v_dual_mov_b32 v11, v35
	v_dual_mov_b32 v12, v64 :: v_dual_mov_b32 v13, v65
	v_dual_mov_b32 v14, v60 :: v_dual_mov_b32 v15, v61
	v_dual_mov_b32 v18, v62 :: v_dual_mov_b32 v19, v63
	v_dual_mov_b32 v28, v58 :: v_dual_mov_b32 v29, v59
	v_dual_mov_b32 v30, v80 :: v_dual_mov_b32 v31, v81
	v_dual_mov_b32 v32, v76 :: v_dual_mov_b32 v33, v77
	ds_store_2addr_b64 v134, v[0:1], v[2:3] offset0:6 offset1:7
	ds_store_2addr_b64 v134, v[4:5], v[6:7] offset0:8 offset1:9
	ds_store_2addr_b64 v134, v[8:9], v[10:11] offset0:10 offset1:11
	ds_store_2addr_b64 v134, v[12:13], v[14:15] offset0:12 offset1:13
	ds_store_2addr_b64 v134, v[18:19], v[28:29] offset0:14 offset1:15
	ds_store_2addr_b64 v134, v[30:31], v[32:33] offset0:16 offset1:17
	v_dual_mov_b32 v0, v78 :: v_dual_mov_b32 v1, v79
	v_dual_mov_b32 v2, v74 :: v_dual_mov_b32 v3, v75
	v_dual_mov_b32 v4, v96 :: v_dual_mov_b32 v5, v97
	v_dual_mov_b32 v6, v92 :: v_dual_mov_b32 v7, v93
	v_dual_mov_b32 v8, v94 :: v_dual_mov_b32 v9, v95
	v_dual_mov_b32 v10, v90 :: v_dual_mov_b32 v11, v91
	v_dual_mov_b32 v12, v112 :: v_dual_mov_b32 v13, v113
	v_dual_mov_b32 v14, v108 :: v_dual_mov_b32 v15, v109
	v_dual_mov_b32 v18, v110 :: v_dual_mov_b32 v19, v111
	v_dual_mov_b32 v28, v106 :: v_dual_mov_b32 v29, v107
	v_dual_mov_b32 v30, v130 :: v_dual_mov_b32 v31, v131
	v_dual_mov_b32 v32, v126 :: v_dual_mov_b32 v33, v127
	ds_store_2addr_b64 v134, v[0:1], v[2:3] offset0:18 offset1:19
	ds_store_2addr_b64 v134, v[4:5], v[6:7] offset0:20 offset1:21
	ds_store_2addr_b64 v134, v[8:9], v[10:11] offset0:22 offset1:23
	ds_store_2addr_b64 v134, v[12:13], v[14:15] offset0:24 offset1:25
	ds_store_2addr_b64 v134, v[18:19], v[28:29] offset0:26 offset1:27
	ds_store_2addr_b64 v134, v[30:31], v[32:33] offset0:28 offset1:29
	v_dual_mov_b32 v0, v128 :: v_dual_mov_b32 v1, v129
	v_dual_mov_b32 v2, v124 :: v_dual_mov_b32 v3, v125
	v_dual_mov_b32 v4, v146 :: v_dual_mov_b32 v5, v147
	v_dual_mov_b32 v6, v142 :: v_dual_mov_b32 v7, v143
	v_dual_mov_b32 v8, v144 :: v_dual_mov_b32 v9, v145
	v_dual_mov_b32 v10, v140 :: v_dual_mov_b32 v11, v141
	v_dual_mov_b32 v12, v162 :: v_dual_mov_b32 v13, v163
	v_dual_mov_b32 v14, v158 :: v_dual_mov_b32 v15, v159
	v_dual_mov_b32 v18, v160 :: v_dual_mov_b32 v19, v161
	v_dual_mov_b32 v28, v156 :: v_dual_mov_b32 v29, v157
	v_dual_mov_b32 v30, v184 :: v_dual_mov_b32 v31, v185
	v_dual_mov_b32 v32, v180 :: v_dual_mov_b32 v33, v181
	ds_store_2addr_b64 v134, v[0:1], v[2:3] offset0:30 offset1:31
	ds_store_2addr_b64 v134, v[4:5], v[6:7] offset0:32 offset1:33
	ds_store_2addr_b64 v134, v[8:9], v[10:11] offset0:34 offset1:35
	ds_store_2addr_b64 v134, v[12:13], v[14:15] offset0:36 offset1:37
	ds_store_2addr_b64 v134, v[18:19], v[28:29] offset0:38 offset1:39
	ds_store_2addr_b64 v134, v[30:31], v[32:33] offset0:40 offset1:41
	v_dual_mov_b32 v0, v182 :: v_dual_mov_b32 v1, v183
	v_dual_mov_b32 v2, v178 :: v_dual_mov_b32 v3, v179
	;; [unrolled: 1-line block ×10, first 2 shown]
	ds_store_2addr_b64 v134, v[0:1], v[2:3] offset0:42 offset1:43
	ds_store_2addr_b64 v134, v[4:5], v[6:7] offset0:44 offset1:45
	;; [unrolled: 1-line block ×5, first 2 shown]
	ds_store_b64 v134, v[212:213] offset:416
	ds_load_b64 v[0:1], v133
	s_wait_dscnt 0x0
	v_cmp_neq_f32_e32 vcc_lo, 0, v0
	v_cmp_neq_f32_e64 s1, 0, v1
	s_or_b32 s1, vcc_lo, s1
	s_delay_alu instid0(SALU_CYCLE_1)
	s_and_b32 exec_lo, exec_lo, s1
	s_cbranch_execz .LBB105_17
; %bb.12:
	v_cmp_ngt_f32_e64 s1, |v0|, |v1|
                                        ; implicit-def: $vgpr2_vgpr3
	s_and_saveexec_b32 s4, s1
	s_delay_alu instid0(SALU_CYCLE_1)
	s_xor_b32 s1, exec_lo, s4
	s_cbranch_execz .LBB105_14
; %bb.13:
	v_div_scale_f32 v2, null, v1, v1, v0
	v_div_scale_f32 v5, vcc_lo, v0, v1, v0
	s_delay_alu instid0(VALU_DEP_2) | instskip(SKIP_1) | instid1(TRANS32_DEP_1)
	v_rcp_f32_e32 v3, v2
	v_nop
	v_fma_f32 v4, -v2, v3, 1.0
	s_delay_alu instid0(VALU_DEP_1) | instskip(NEXT) | instid1(VALU_DEP_1)
	v_fmac_f32_e32 v3, v4, v3
	v_mul_f32_e32 v4, v5, v3
	s_delay_alu instid0(VALU_DEP_1) | instskip(NEXT) | instid1(VALU_DEP_1)
	v_fma_f32 v6, -v2, v4, v5
	v_fmac_f32_e32 v4, v6, v3
	s_delay_alu instid0(VALU_DEP_1) | instskip(NEXT) | instid1(VALU_DEP_1)
	v_fma_f32 v2, -v2, v4, v5
	v_div_fmas_f32 v2, v2, v3, v4
	s_delay_alu instid0(VALU_DEP_1) | instskip(NEXT) | instid1(VALU_DEP_1)
	v_div_fixup_f32 v2, v2, v1, v0
	v_fmac_f32_e32 v1, v0, v2
	s_delay_alu instid0(VALU_DEP_1) | instskip(SKIP_1) | instid1(VALU_DEP_2)
	v_div_scale_f32 v0, null, v1, v1, 1.0
	v_div_scale_f32 v5, vcc_lo, 1.0, v1, 1.0
	v_rcp_f32_e32 v3, v0
	v_nop
	s_delay_alu instid0(TRANS32_DEP_1) | instskip(NEXT) | instid1(VALU_DEP_1)
	v_fma_f32 v4, -v0, v3, 1.0
	v_fmac_f32_e32 v3, v4, v3
	s_delay_alu instid0(VALU_DEP_1) | instskip(NEXT) | instid1(VALU_DEP_1)
	v_mul_f32_e32 v4, v5, v3
	v_fma_f32 v6, -v0, v4, v5
	s_delay_alu instid0(VALU_DEP_1) | instskip(NEXT) | instid1(VALU_DEP_1)
	v_fmac_f32_e32 v4, v6, v3
	v_fma_f32 v0, -v0, v4, v5
	s_delay_alu instid0(VALU_DEP_1) | instskip(NEXT) | instid1(VALU_DEP_1)
	v_div_fmas_f32 v0, v0, v3, v4
	v_div_fixup_f32 v0, v0, v1, 1.0
	s_delay_alu instid0(VALU_DEP_1)
	v_mul_f32_e32 v2, v2, v0
	v_xor_b32_e32 v3, 0x80000000, v0
                                        ; implicit-def: $vgpr0_vgpr1
.LBB105_14:
	s_and_not1_saveexec_b32 s1, s1
	s_cbranch_execz .LBB105_16
; %bb.15:
	v_div_scale_f32 v2, null, v0, v0, v1
	v_div_scale_f32 v5, vcc_lo, v1, v0, v1
	s_delay_alu instid0(VALU_DEP_2) | instskip(SKIP_1) | instid1(TRANS32_DEP_1)
	v_rcp_f32_e32 v3, v2
	v_nop
	v_fma_f32 v4, -v2, v3, 1.0
	s_delay_alu instid0(VALU_DEP_1) | instskip(NEXT) | instid1(VALU_DEP_1)
	v_fmac_f32_e32 v3, v4, v3
	v_mul_f32_e32 v4, v5, v3
	s_delay_alu instid0(VALU_DEP_1) | instskip(NEXT) | instid1(VALU_DEP_1)
	v_fma_f32 v6, -v2, v4, v5
	v_fmac_f32_e32 v4, v6, v3
	s_delay_alu instid0(VALU_DEP_1) | instskip(NEXT) | instid1(VALU_DEP_1)
	v_fma_f32 v2, -v2, v4, v5
	v_div_fmas_f32 v2, v2, v3, v4
	s_delay_alu instid0(VALU_DEP_1) | instskip(NEXT) | instid1(VALU_DEP_1)
	v_div_fixup_f32 v3, v2, v0, v1
	v_fmac_f32_e32 v0, v1, v3
	s_delay_alu instid0(VALU_DEP_1) | instskip(NEXT) | instid1(VALU_DEP_1)
	v_div_scale_f32 v1, null, v0, v0, 1.0
	v_rcp_f32_e32 v2, v1
	v_nop
	s_delay_alu instid0(TRANS32_DEP_1) | instskip(NEXT) | instid1(VALU_DEP_1)
	v_fma_f32 v4, -v1, v2, 1.0
	v_fmac_f32_e32 v2, v4, v2
	v_div_scale_f32 v4, vcc_lo, 1.0, v0, 1.0
	s_delay_alu instid0(VALU_DEP_1) | instskip(NEXT) | instid1(VALU_DEP_1)
	v_mul_f32_e32 v5, v4, v2
	v_fma_f32 v6, -v1, v5, v4
	s_delay_alu instid0(VALU_DEP_1) | instskip(NEXT) | instid1(VALU_DEP_1)
	v_fmac_f32_e32 v5, v6, v2
	v_fma_f32 v1, -v1, v5, v4
	s_delay_alu instid0(VALU_DEP_1) | instskip(NEXT) | instid1(VALU_DEP_1)
	v_div_fmas_f32 v1, v1, v2, v5
	v_div_fixup_f32 v2, v1, v0, 1.0
	s_delay_alu instid0(VALU_DEP_1)
	v_mul_f32_e64 v3, v3, -v2
.LBB105_16:
	s_or_b32 exec_lo, exec_lo, s1
	ds_store_b64 v133, v[2:3]
.LBB105_17:
	s_or_b32 exec_lo, exec_lo, s2
	s_wait_dscnt 0x0
	s_barrier_signal -1
	s_barrier_wait -1
	ds_load_b64 v[0:1], v133
	s_mov_b32 s1, exec_lo
	s_wait_dscnt 0x0
	scratch_store_b64 off, v[0:1], off offset:136 ; 8-byte Folded Spill
	s_wait_xcnt 0x0
	v_cmpx_lt_u32_e32 1, v132
	s_cbranch_execz .LBB105_19
; %bb.18:
	scratch_load_b64 v[4:5], off, off offset:136 ; 8-byte Folded Reload
	s_wait_loadcnt 0x0
	v_pk_mul_f32 v[2:3], v[4:5], v[56:57] op_sel:[1,1] op_sel_hi:[0,1]
	s_delay_alu instid0(VALU_DEP_1)
	v_pk_fma_f32 v[0:1], v[4:5], v[56:57], v[2:3] op_sel_hi:[1,0,1] neg_lo:[0,0,1] neg_hi:[0,0,1]
	v_pk_fma_f32 v[2:3], v[4:5], v[56:57], v[2:3] op_sel_hi:[1,0,1]
	ds_load_2addr_b64 v[4:7], v134 offset0:2 offset1:3
	v_dual_mov_b32 v56, v0 :: v_dual_mov_b32 v57, v3
	s_wait_dscnt 0x0
	v_pk_mul_f32 v[8:9], v[4:5], v[2:3] op_sel:[0,1]
	s_delay_alu instid0(VALU_DEP_1) | instskip(SKIP_1) | instid1(VALU_DEP_1)
	v_pk_fma_f32 v[10:11], v[4:5], v[0:1], v[8:9] op_sel:[0,0,1] op_sel_hi:[1,1,0] neg_lo:[0,0,1] neg_hi:[0,0,1]
	v_pk_fma_f32 v[4:5], v[4:5], v[0:1], v[8:9] op_sel:[0,0,1] op_sel_hi:[1,0,0]
	v_mov_b32_e32 v11, v5
	v_pk_mul_f32 v[4:5], v[6:7], v[2:3] op_sel:[0,1]
	s_delay_alu instid0(VALU_DEP_1) | instskip(SKIP_1) | instid1(VALU_DEP_1)
	v_pk_fma_f32 v[8:9], v[6:7], v[0:1], v[4:5] op_sel:[0,0,1] op_sel_hi:[1,1,0] neg_lo:[0,0,1] neg_hi:[0,0,1]
	v_pk_fma_f32 v[4:5], v[6:7], v[0:1], v[4:5] op_sel:[0,0,1] op_sel_hi:[1,0,0]
	v_mov_b32_e32 v9, v5
	ds_load_2addr_b64 v[4:7], v134 offset0:4 offset1:5
	v_pk_add_f32 v[46:47], v[46:47], v[10:11] neg_lo:[0,1] neg_hi:[0,1]
	v_pk_add_f32 v[44:45], v[44:45], v[8:9] neg_lo:[0,1] neg_hi:[0,1]
	s_wait_dscnt 0x0
	v_pk_mul_f32 v[8:9], v[4:5], v[2:3] op_sel:[0,1]
	s_delay_alu instid0(VALU_DEP_1) | instskip(SKIP_2) | instid1(VALU_DEP_2)
	v_pk_fma_f32 v[10:11], v[4:5], v[0:1], v[8:9] op_sel:[0,0,1] op_sel_hi:[1,1,0] neg_lo:[0,0,1] neg_hi:[0,0,1]
	v_pk_fma_f32 v[4:5], v[4:5], v[0:1], v[8:9] op_sel:[0,0,1] op_sel_hi:[1,0,0]
	v_dual_mul_f32 v8, v7, v3 :: v_dual_mov_b32 v4, v7
	v_dual_mov_b32 v11, v5 :: v_dual_mov_b32 v5, v6
	s_delay_alu instid0(VALU_DEP_2) | instskip(SKIP_1) | instid1(VALU_DEP_3)
	v_pk_fma_f32 v[8:9], v[6:7], v[56:57], v[8:9] op_sel_hi:[1,1,0] neg_lo:[0,0,1] neg_hi:[0,0,1]
	v_mul_f32_e32 v6, v7, v0
	v_pk_add_f32 v[26:27], v[26:27], v[10:11] neg_lo:[0,1] neg_hi:[0,1]
	s_delay_alu instid0(VALU_DEP_2) | instskip(NEXT) | instid1(VALU_DEP_1)
	v_pk_fma_f32 v[4:5], v[4:5], v[56:57], v[6:7] op_sel_hi:[1,1,0]
	v_mov_b32_e32 v9, v5
	ds_load_2addr_b64 v[4:7], v134 offset0:6 offset1:7
	v_pk_add_f32 v[22:23], v[22:23], v[8:9] neg_lo:[0,1] neg_hi:[0,1]
	s_wait_dscnt 0x0
	v_pk_mul_f32 v[8:9], v[4:5], v[2:3] op_sel:[0,1]
	s_delay_alu instid0(VALU_DEP_1) | instskip(SKIP_1) | instid1(VALU_DEP_1)
	v_pk_fma_f32 v[10:11], v[4:5], v[0:1], v[8:9] op_sel:[0,0,1] op_sel_hi:[1,1,0] neg_lo:[0,0,1] neg_hi:[0,0,1]
	v_pk_fma_f32 v[4:5], v[4:5], v[0:1], v[8:9] op_sel:[0,0,1] op_sel_hi:[1,0,0]
	v_mov_b32_e32 v11, v5
	v_pk_mul_f32 v[4:5], v[6:7], v[2:3] op_sel:[0,1]
	s_delay_alu instid0(VALU_DEP_1) | instskip(SKIP_1) | instid1(VALU_DEP_1)
	v_pk_fma_f32 v[8:9], v[6:7], v[0:1], v[4:5] op_sel:[0,0,1] op_sel_hi:[1,1,0] neg_lo:[0,0,1] neg_hi:[0,0,1]
	v_pk_fma_f32 v[4:5], v[6:7], v[0:1], v[4:5] op_sel:[0,0,1] op_sel_hi:[1,0,0]
	v_mov_b32_e32 v9, v5
	ds_load_2addr_b64 v[4:7], v134 offset0:8 offset1:9
	v_pk_add_f32 v[24:25], v[24:25], v[10:11] neg_lo:[0,1] neg_hi:[0,1]
	v_pk_add_f32 v[20:21], v[20:21], v[8:9] neg_lo:[0,1] neg_hi:[0,1]
	s_wait_dscnt 0x0
	v_pk_mul_f32 v[8:9], v[4:5], v[2:3] op_sel:[0,1]
	s_delay_alu instid0(VALU_DEP_1) | instskip(SKIP_1) | instid1(VALU_DEP_1)
	v_pk_fma_f32 v[10:11], v[4:5], v[0:1], v[8:9] op_sel:[0,0,1] op_sel_hi:[1,1,0] neg_lo:[0,0,1] neg_hi:[0,0,1]
	v_pk_fma_f32 v[4:5], v[4:5], v[0:1], v[8:9] op_sel:[0,0,1] op_sel_hi:[1,0,0]
	v_mov_b32_e32 v11, v5
	v_pk_mul_f32 v[4:5], v[6:7], v[2:3] op_sel:[0,1]
	s_delay_alu instid0(VALU_DEP_1) | instskip(SKIP_1) | instid1(VALU_DEP_1)
	v_pk_fma_f32 v[8:9], v[6:7], v[0:1], v[4:5] op_sel:[0,0,1] op_sel_hi:[1,1,0] neg_lo:[0,0,1] neg_hi:[0,0,1]
	v_pk_fma_f32 v[4:5], v[6:7], v[0:1], v[4:5] op_sel:[0,0,1] op_sel_hi:[1,0,0]
	v_mov_b32_e32 v9, v5
	ds_load_2addr_b64 v[4:7], v134 offset0:10 offset1:11
	v_pk_add_f32 v[40:41], v[40:41], v[10:11] neg_lo:[0,1] neg_hi:[0,1]
	v_pk_add_f32 v[36:37], v[36:37], v[8:9] neg_lo:[0,1] neg_hi:[0,1]
	s_wait_dscnt 0x0
	v_dual_mul_f32 v8, v5, v3 :: v_dual_mul_f32 v10, v5, v0
	s_delay_alu instid0(VALU_DEP_1) | instskip(NEXT) | instid1(VALU_DEP_2)
	v_pk_fma_f32 v[8:9], v[4:5], v[56:57], v[8:9] op_sel_hi:[1,1,0] neg_lo:[0,0,1] neg_hi:[0,0,1]
	v_pk_fma_f32 v[4:5], v[4:5], v[56:57], v[10:11] op_sel:[1,0,0] op_sel_hi:[0,1,0]
	s_delay_alu instid0(VALU_DEP_1) | instskip(SKIP_1) | instid1(VALU_DEP_2)
	v_mov_b32_e32 v9, v5
	v_pk_mul_f32 v[4:5], v[6:7], v[2:3] op_sel:[0,1]
	v_pk_add_f32 v[38:39], v[38:39], v[8:9] neg_lo:[0,1] neg_hi:[0,1]
	s_delay_alu instid0(VALU_DEP_2) | instskip(SKIP_1) | instid1(VALU_DEP_1)
	v_pk_fma_f32 v[8:9], v[6:7], v[0:1], v[4:5] op_sel:[0,0,1] op_sel_hi:[1,1,0] neg_lo:[0,0,1] neg_hi:[0,0,1]
	v_pk_fma_f32 v[4:5], v[6:7], v[0:1], v[4:5] op_sel:[0,0,1] op_sel_hi:[1,0,0]
	v_mov_b32_e32 v9, v5
	ds_load_2addr_b64 v[4:7], v134 offset0:12 offset1:13
	v_pk_add_f32 v[34:35], v[34:35], v[8:9] neg_lo:[0,1] neg_hi:[0,1]
	s_wait_dscnt 0x0
	v_pk_mul_f32 v[8:9], v[4:5], v[2:3] op_sel:[0,1]
	s_delay_alu instid0(VALU_DEP_1) | instskip(SKIP_1) | instid1(VALU_DEP_1)
	v_pk_fma_f32 v[10:11], v[4:5], v[0:1], v[8:9] op_sel:[0,0,1] op_sel_hi:[1,1,0] neg_lo:[0,0,1] neg_hi:[0,0,1]
	v_pk_fma_f32 v[4:5], v[4:5], v[0:1], v[8:9] op_sel:[0,0,1] op_sel_hi:[1,0,0]
	v_mov_b32_e32 v11, v5
	v_pk_mul_f32 v[4:5], v[6:7], v[2:3] op_sel:[0,1]
	s_delay_alu instid0(VALU_DEP_2) | instskip(NEXT) | instid1(VALU_DEP_2)
	v_pk_add_f32 v[64:65], v[64:65], v[10:11] neg_lo:[0,1] neg_hi:[0,1]
	v_pk_fma_f32 v[8:9], v[6:7], v[0:1], v[4:5] op_sel:[0,0,1] op_sel_hi:[1,1,0] neg_lo:[0,0,1] neg_hi:[0,0,1]
	v_pk_fma_f32 v[4:5], v[6:7], v[0:1], v[4:5] op_sel:[0,0,1] op_sel_hi:[1,0,0]
	s_delay_alu instid0(VALU_DEP_1) | instskip(SKIP_4) | instid1(VALU_DEP_1)
	v_mov_b32_e32 v9, v5
	ds_load_2addr_b64 v[4:7], v134 offset0:14 offset1:15
	v_pk_add_f32 v[60:61], v[60:61], v[8:9] neg_lo:[0,1] neg_hi:[0,1]
	s_wait_dscnt 0x0
	v_pk_mul_f32 v[8:9], v[4:5], v[2:3] op_sel:[0,1]
	v_pk_fma_f32 v[10:11], v[4:5], v[0:1], v[8:9] op_sel:[0,0,1] op_sel_hi:[1,1,0] neg_lo:[0,0,1] neg_hi:[0,0,1]
	v_pk_fma_f32 v[4:5], v[4:5], v[0:1], v[8:9] op_sel:[0,0,1] op_sel_hi:[1,0,0]
	v_dual_mul_f32 v8, v7, v3 :: v_dual_mov_b32 v4, v7
	s_delay_alu instid0(VALU_DEP_2) | instskip(NEXT) | instid1(VALU_DEP_2)
	v_dual_mov_b32 v11, v5 :: v_dual_mov_b32 v5, v6
	v_pk_fma_f32 v[8:9], v[6:7], v[56:57], v[8:9] op_sel_hi:[1,1,0] neg_lo:[0,0,1] neg_hi:[0,0,1]
	v_mul_f32_e32 v6, v7, v0
	s_delay_alu instid0(VALU_DEP_3) | instskip(NEXT) | instid1(VALU_DEP_2)
	v_pk_add_f32 v[62:63], v[62:63], v[10:11] neg_lo:[0,1] neg_hi:[0,1]
	v_pk_fma_f32 v[4:5], v[4:5], v[56:57], v[6:7] op_sel_hi:[1,1,0]
	s_delay_alu instid0(VALU_DEP_1) | instskip(SKIP_4) | instid1(VALU_DEP_1)
	v_mov_b32_e32 v9, v5
	ds_load_2addr_b64 v[4:7], v134 offset0:16 offset1:17
	v_pk_add_f32 v[58:59], v[58:59], v[8:9] neg_lo:[0,1] neg_hi:[0,1]
	s_wait_dscnt 0x0
	v_pk_mul_f32 v[8:9], v[4:5], v[2:3] op_sel:[0,1]
	v_pk_fma_f32 v[10:11], v[4:5], v[0:1], v[8:9] op_sel:[0,0,1] op_sel_hi:[1,1,0] neg_lo:[0,0,1] neg_hi:[0,0,1]
	v_pk_fma_f32 v[4:5], v[4:5], v[0:1], v[8:9] op_sel:[0,0,1] op_sel_hi:[1,0,0]
	s_delay_alu instid0(VALU_DEP_1) | instskip(SKIP_1) | instid1(VALU_DEP_1)
	v_mov_b32_e32 v11, v5
	v_pk_mul_f32 v[4:5], v[6:7], v[2:3] op_sel:[0,1]
	v_pk_fma_f32 v[8:9], v[6:7], v[0:1], v[4:5] op_sel:[0,0,1] op_sel_hi:[1,1,0] neg_lo:[0,0,1] neg_hi:[0,0,1]
	v_pk_fma_f32 v[4:5], v[6:7], v[0:1], v[4:5] op_sel:[0,0,1] op_sel_hi:[1,0,0]
	s_delay_alu instid0(VALU_DEP_1)
	v_mov_b32_e32 v9, v5
	ds_load_2addr_b64 v[4:7], v134 offset0:18 offset1:19
	v_pk_add_f32 v[80:81], v[80:81], v[10:11] neg_lo:[0,1] neg_hi:[0,1]
	v_pk_add_f32 v[76:77], v[76:77], v[8:9] neg_lo:[0,1] neg_hi:[0,1]
	s_wait_dscnt 0x0
	v_pk_mul_f32 v[8:9], v[4:5], v[2:3] op_sel:[0,1]
	s_delay_alu instid0(VALU_DEP_1) | instskip(SKIP_1) | instid1(VALU_DEP_1)
	v_pk_fma_f32 v[10:11], v[4:5], v[0:1], v[8:9] op_sel:[0,0,1] op_sel_hi:[1,1,0] neg_lo:[0,0,1] neg_hi:[0,0,1]
	v_pk_fma_f32 v[4:5], v[4:5], v[0:1], v[8:9] op_sel:[0,0,1] op_sel_hi:[1,0,0]
	v_mov_b32_e32 v11, v5
	v_pk_mul_f32 v[4:5], v[6:7], v[2:3] op_sel:[0,1]
	s_delay_alu instid0(VALU_DEP_1) | instskip(SKIP_1) | instid1(VALU_DEP_1)
	v_pk_fma_f32 v[8:9], v[6:7], v[0:1], v[4:5] op_sel:[0,0,1] op_sel_hi:[1,1,0] neg_lo:[0,0,1] neg_hi:[0,0,1]
	v_pk_fma_f32 v[4:5], v[6:7], v[0:1], v[4:5] op_sel:[0,0,1] op_sel_hi:[1,0,0]
	v_mov_b32_e32 v9, v5
	ds_load_2addr_b64 v[4:7], v134 offset0:20 offset1:21
	v_pk_add_f32 v[78:79], v[78:79], v[10:11] neg_lo:[0,1] neg_hi:[0,1]
	v_pk_add_f32 v[74:75], v[74:75], v[8:9] neg_lo:[0,1] neg_hi:[0,1]
	s_wait_dscnt 0x0
	v_dual_mul_f32 v8, v5, v3 :: v_dual_mul_f32 v10, v5, v0
	s_delay_alu instid0(VALU_DEP_1) | instskip(NEXT) | instid1(VALU_DEP_2)
	v_pk_fma_f32 v[8:9], v[4:5], v[56:57], v[8:9] op_sel_hi:[1,1,0] neg_lo:[0,0,1] neg_hi:[0,0,1]
	v_pk_fma_f32 v[4:5], v[4:5], v[56:57], v[10:11] op_sel:[1,0,0] op_sel_hi:[0,1,0]
	s_delay_alu instid0(VALU_DEP_1) | instskip(SKIP_1) | instid1(VALU_DEP_2)
	v_mov_b32_e32 v9, v5
	v_pk_mul_f32 v[4:5], v[6:7], v[2:3] op_sel:[0,1]
	v_pk_add_f32 v[96:97], v[96:97], v[8:9] neg_lo:[0,1] neg_hi:[0,1]
	s_delay_alu instid0(VALU_DEP_2) | instskip(SKIP_1) | instid1(VALU_DEP_1)
	v_pk_fma_f32 v[8:9], v[6:7], v[0:1], v[4:5] op_sel:[0,0,1] op_sel_hi:[1,1,0] neg_lo:[0,0,1] neg_hi:[0,0,1]
	v_pk_fma_f32 v[4:5], v[6:7], v[0:1], v[4:5] op_sel:[0,0,1] op_sel_hi:[1,0,0]
	v_mov_b32_e32 v9, v5
	ds_load_2addr_b64 v[4:7], v134 offset0:22 offset1:23
	v_pk_add_f32 v[92:93], v[92:93], v[8:9] neg_lo:[0,1] neg_hi:[0,1]
	s_wait_dscnt 0x0
	v_pk_mul_f32 v[8:9], v[4:5], v[2:3] op_sel:[0,1]
	s_delay_alu instid0(VALU_DEP_1) | instskip(SKIP_1) | instid1(VALU_DEP_1)
	v_pk_fma_f32 v[10:11], v[4:5], v[0:1], v[8:9] op_sel:[0,0,1] op_sel_hi:[1,1,0] neg_lo:[0,0,1] neg_hi:[0,0,1]
	v_pk_fma_f32 v[4:5], v[4:5], v[0:1], v[8:9] op_sel:[0,0,1] op_sel_hi:[1,0,0]
	v_mov_b32_e32 v11, v5
	v_pk_mul_f32 v[4:5], v[6:7], v[2:3] op_sel:[0,1]
	s_delay_alu instid0(VALU_DEP_2) | instskip(NEXT) | instid1(VALU_DEP_2)
	v_pk_add_f32 v[94:95], v[94:95], v[10:11] neg_lo:[0,1] neg_hi:[0,1]
	v_pk_fma_f32 v[8:9], v[6:7], v[0:1], v[4:5] op_sel:[0,0,1] op_sel_hi:[1,1,0] neg_lo:[0,0,1] neg_hi:[0,0,1]
	v_pk_fma_f32 v[4:5], v[6:7], v[0:1], v[4:5] op_sel:[0,0,1] op_sel_hi:[1,0,0]
	s_delay_alu instid0(VALU_DEP_1) | instskip(SKIP_4) | instid1(VALU_DEP_1)
	v_mov_b32_e32 v9, v5
	ds_load_2addr_b64 v[4:7], v134 offset0:24 offset1:25
	v_pk_add_f32 v[90:91], v[90:91], v[8:9] neg_lo:[0,1] neg_hi:[0,1]
	s_wait_dscnt 0x0
	v_pk_mul_f32 v[8:9], v[4:5], v[2:3] op_sel:[0,1]
	v_pk_fma_f32 v[10:11], v[4:5], v[0:1], v[8:9] op_sel:[0,0,1] op_sel_hi:[1,1,0] neg_lo:[0,0,1] neg_hi:[0,0,1]
	v_pk_fma_f32 v[4:5], v[4:5], v[0:1], v[8:9] op_sel:[0,0,1] op_sel_hi:[1,0,0]
	v_dual_mul_f32 v8, v7, v3 :: v_dual_mov_b32 v4, v7
	s_delay_alu instid0(VALU_DEP_2) | instskip(NEXT) | instid1(VALU_DEP_2)
	v_dual_mov_b32 v11, v5 :: v_dual_mov_b32 v5, v6
	v_pk_fma_f32 v[8:9], v[6:7], v[56:57], v[8:9] op_sel_hi:[1,1,0] neg_lo:[0,0,1] neg_hi:[0,0,1]
	v_mul_f32_e32 v6, v7, v0
	s_delay_alu instid0(VALU_DEP_3) | instskip(NEXT) | instid1(VALU_DEP_2)
	v_pk_add_f32 v[112:113], v[112:113], v[10:11] neg_lo:[0,1] neg_hi:[0,1]
	v_pk_fma_f32 v[4:5], v[4:5], v[56:57], v[6:7] op_sel_hi:[1,1,0]
	s_delay_alu instid0(VALU_DEP_1) | instskip(SKIP_4) | instid1(VALU_DEP_1)
	v_mov_b32_e32 v9, v5
	ds_load_2addr_b64 v[4:7], v134 offset0:26 offset1:27
	v_pk_add_f32 v[108:109], v[108:109], v[8:9] neg_lo:[0,1] neg_hi:[0,1]
	s_wait_dscnt 0x0
	v_pk_mul_f32 v[8:9], v[4:5], v[2:3] op_sel:[0,1]
	v_pk_fma_f32 v[10:11], v[4:5], v[0:1], v[8:9] op_sel:[0,0,1] op_sel_hi:[1,1,0] neg_lo:[0,0,1] neg_hi:[0,0,1]
	v_pk_fma_f32 v[4:5], v[4:5], v[0:1], v[8:9] op_sel:[0,0,1] op_sel_hi:[1,0,0]
	s_delay_alu instid0(VALU_DEP_1) | instskip(SKIP_1) | instid1(VALU_DEP_1)
	v_mov_b32_e32 v11, v5
	v_pk_mul_f32 v[4:5], v[6:7], v[2:3] op_sel:[0,1]
	v_pk_fma_f32 v[8:9], v[6:7], v[0:1], v[4:5] op_sel:[0,0,1] op_sel_hi:[1,1,0] neg_lo:[0,0,1] neg_hi:[0,0,1]
	v_pk_fma_f32 v[4:5], v[6:7], v[0:1], v[4:5] op_sel:[0,0,1] op_sel_hi:[1,0,0]
	s_delay_alu instid0(VALU_DEP_1)
	v_mov_b32_e32 v9, v5
	ds_load_2addr_b64 v[4:7], v134 offset0:28 offset1:29
	v_pk_add_f32 v[110:111], v[110:111], v[10:11] neg_lo:[0,1] neg_hi:[0,1]
	v_pk_add_f32 v[106:107], v[106:107], v[8:9] neg_lo:[0,1] neg_hi:[0,1]
	s_wait_dscnt 0x0
	v_pk_mul_f32 v[8:9], v[4:5], v[2:3] op_sel:[0,1]
	s_delay_alu instid0(VALU_DEP_1) | instskip(SKIP_1) | instid1(VALU_DEP_1)
	v_pk_fma_f32 v[10:11], v[4:5], v[0:1], v[8:9] op_sel:[0,0,1] op_sel_hi:[1,1,0] neg_lo:[0,0,1] neg_hi:[0,0,1]
	v_pk_fma_f32 v[4:5], v[4:5], v[0:1], v[8:9] op_sel:[0,0,1] op_sel_hi:[1,0,0]
	v_mov_b32_e32 v11, v5
	v_pk_mul_f32 v[4:5], v[6:7], v[2:3] op_sel:[0,1]
	s_delay_alu instid0(VALU_DEP_1) | instskip(SKIP_1) | instid1(VALU_DEP_1)
	v_pk_fma_f32 v[8:9], v[6:7], v[0:1], v[4:5] op_sel:[0,0,1] op_sel_hi:[1,1,0] neg_lo:[0,0,1] neg_hi:[0,0,1]
	v_pk_fma_f32 v[4:5], v[6:7], v[0:1], v[4:5] op_sel:[0,0,1] op_sel_hi:[1,0,0]
	v_mov_b32_e32 v9, v5
	ds_load_2addr_b64 v[4:7], v134 offset0:30 offset1:31
	v_pk_add_f32 v[130:131], v[130:131], v[10:11] neg_lo:[0,1] neg_hi:[0,1]
	v_pk_add_f32 v[126:127], v[126:127], v[8:9] neg_lo:[0,1] neg_hi:[0,1]
	s_wait_dscnt 0x0
	v_dual_mul_f32 v8, v5, v3 :: v_dual_mul_f32 v10, v5, v0
	s_delay_alu instid0(VALU_DEP_1) | instskip(NEXT) | instid1(VALU_DEP_2)
	v_pk_fma_f32 v[8:9], v[4:5], v[56:57], v[8:9] op_sel_hi:[1,1,0] neg_lo:[0,0,1] neg_hi:[0,0,1]
	v_pk_fma_f32 v[4:5], v[4:5], v[56:57], v[10:11] op_sel:[1,0,0] op_sel_hi:[0,1,0]
	s_delay_alu instid0(VALU_DEP_1) | instskip(SKIP_1) | instid1(VALU_DEP_2)
	v_mov_b32_e32 v9, v5
	v_pk_mul_f32 v[4:5], v[6:7], v[2:3] op_sel:[0,1]
	v_pk_add_f32 v[128:129], v[128:129], v[8:9] neg_lo:[0,1] neg_hi:[0,1]
	s_delay_alu instid0(VALU_DEP_2) | instskip(SKIP_1) | instid1(VALU_DEP_1)
	v_pk_fma_f32 v[8:9], v[6:7], v[0:1], v[4:5] op_sel:[0,0,1] op_sel_hi:[1,1,0] neg_lo:[0,0,1] neg_hi:[0,0,1]
	v_pk_fma_f32 v[4:5], v[6:7], v[0:1], v[4:5] op_sel:[0,0,1] op_sel_hi:[1,0,0]
	v_mov_b32_e32 v9, v5
	ds_load_2addr_b64 v[4:7], v134 offset0:32 offset1:33
	v_pk_add_f32 v[124:125], v[124:125], v[8:9] neg_lo:[0,1] neg_hi:[0,1]
	s_wait_dscnt 0x0
	v_pk_mul_f32 v[8:9], v[4:5], v[2:3] op_sel:[0,1]
	s_delay_alu instid0(VALU_DEP_1) | instskip(SKIP_1) | instid1(VALU_DEP_1)
	v_pk_fma_f32 v[10:11], v[4:5], v[0:1], v[8:9] op_sel:[0,0,1] op_sel_hi:[1,1,0] neg_lo:[0,0,1] neg_hi:[0,0,1]
	v_pk_fma_f32 v[4:5], v[4:5], v[0:1], v[8:9] op_sel:[0,0,1] op_sel_hi:[1,0,0]
	v_mov_b32_e32 v11, v5
	v_pk_mul_f32 v[4:5], v[6:7], v[2:3] op_sel:[0,1]
	s_delay_alu instid0(VALU_DEP_2) | instskip(NEXT) | instid1(VALU_DEP_2)
	v_pk_add_f32 v[146:147], v[146:147], v[10:11] neg_lo:[0,1] neg_hi:[0,1]
	v_pk_fma_f32 v[8:9], v[6:7], v[0:1], v[4:5] op_sel:[0,0,1] op_sel_hi:[1,1,0] neg_lo:[0,0,1] neg_hi:[0,0,1]
	v_pk_fma_f32 v[4:5], v[6:7], v[0:1], v[4:5] op_sel:[0,0,1] op_sel_hi:[1,0,0]
	s_delay_alu instid0(VALU_DEP_1) | instskip(SKIP_4) | instid1(VALU_DEP_1)
	v_mov_b32_e32 v9, v5
	ds_load_2addr_b64 v[4:7], v134 offset0:34 offset1:35
	v_pk_add_f32 v[142:143], v[142:143], v[8:9] neg_lo:[0,1] neg_hi:[0,1]
	s_wait_dscnt 0x0
	v_pk_mul_f32 v[8:9], v[4:5], v[2:3] op_sel:[0,1]
	v_pk_fma_f32 v[10:11], v[4:5], v[0:1], v[8:9] op_sel:[0,0,1] op_sel_hi:[1,1,0] neg_lo:[0,0,1] neg_hi:[0,0,1]
	v_pk_fma_f32 v[4:5], v[4:5], v[0:1], v[8:9] op_sel:[0,0,1] op_sel_hi:[1,0,0]
	v_dual_mul_f32 v8, v7, v3 :: v_dual_mov_b32 v4, v7
	s_delay_alu instid0(VALU_DEP_2) | instskip(NEXT) | instid1(VALU_DEP_2)
	v_dual_mov_b32 v11, v5 :: v_dual_mov_b32 v5, v6
	v_pk_fma_f32 v[8:9], v[6:7], v[56:57], v[8:9] op_sel_hi:[1,1,0] neg_lo:[0,0,1] neg_hi:[0,0,1]
	v_mul_f32_e32 v6, v7, v0
	s_delay_alu instid0(VALU_DEP_3) | instskip(NEXT) | instid1(VALU_DEP_2)
	v_pk_add_f32 v[144:145], v[144:145], v[10:11] neg_lo:[0,1] neg_hi:[0,1]
	v_pk_fma_f32 v[4:5], v[4:5], v[56:57], v[6:7] op_sel_hi:[1,1,0]
	s_delay_alu instid0(VALU_DEP_1) | instskip(SKIP_4) | instid1(VALU_DEP_1)
	v_mov_b32_e32 v9, v5
	ds_load_2addr_b64 v[4:7], v134 offset0:36 offset1:37
	v_pk_add_f32 v[140:141], v[140:141], v[8:9] neg_lo:[0,1] neg_hi:[0,1]
	s_wait_dscnt 0x0
	v_pk_mul_f32 v[8:9], v[4:5], v[2:3] op_sel:[0,1]
	v_pk_fma_f32 v[10:11], v[4:5], v[0:1], v[8:9] op_sel:[0,0,1] op_sel_hi:[1,1,0] neg_lo:[0,0,1] neg_hi:[0,0,1]
	v_pk_fma_f32 v[4:5], v[4:5], v[0:1], v[8:9] op_sel:[0,0,1] op_sel_hi:[1,0,0]
	s_delay_alu instid0(VALU_DEP_1) | instskip(SKIP_1) | instid1(VALU_DEP_1)
	v_mov_b32_e32 v11, v5
	v_pk_mul_f32 v[4:5], v[6:7], v[2:3] op_sel:[0,1]
	v_pk_fma_f32 v[8:9], v[6:7], v[0:1], v[4:5] op_sel:[0,0,1] op_sel_hi:[1,1,0] neg_lo:[0,0,1] neg_hi:[0,0,1]
	v_pk_fma_f32 v[4:5], v[6:7], v[0:1], v[4:5] op_sel:[0,0,1] op_sel_hi:[1,0,0]
	s_delay_alu instid0(VALU_DEP_1)
	v_mov_b32_e32 v9, v5
	ds_load_2addr_b64 v[4:7], v134 offset0:38 offset1:39
	v_pk_add_f32 v[162:163], v[162:163], v[10:11] neg_lo:[0,1] neg_hi:[0,1]
	v_pk_add_f32 v[158:159], v[158:159], v[8:9] neg_lo:[0,1] neg_hi:[0,1]
	s_wait_dscnt 0x0
	v_pk_mul_f32 v[8:9], v[4:5], v[2:3] op_sel:[0,1]
	s_delay_alu instid0(VALU_DEP_1) | instskip(SKIP_1) | instid1(VALU_DEP_1)
	v_pk_fma_f32 v[10:11], v[4:5], v[0:1], v[8:9] op_sel:[0,0,1] op_sel_hi:[1,1,0] neg_lo:[0,0,1] neg_hi:[0,0,1]
	v_pk_fma_f32 v[4:5], v[4:5], v[0:1], v[8:9] op_sel:[0,0,1] op_sel_hi:[1,0,0]
	v_mov_b32_e32 v11, v5
	v_pk_mul_f32 v[4:5], v[6:7], v[2:3] op_sel:[0,1]
	s_delay_alu instid0(VALU_DEP_1) | instskip(SKIP_1) | instid1(VALU_DEP_1)
	v_pk_fma_f32 v[8:9], v[6:7], v[0:1], v[4:5] op_sel:[0,0,1] op_sel_hi:[1,1,0] neg_lo:[0,0,1] neg_hi:[0,0,1]
	v_pk_fma_f32 v[4:5], v[6:7], v[0:1], v[4:5] op_sel:[0,0,1] op_sel_hi:[1,0,0]
	v_mov_b32_e32 v9, v5
	ds_load_2addr_b64 v[4:7], v134 offset0:40 offset1:41
	v_pk_add_f32 v[160:161], v[160:161], v[10:11] neg_lo:[0,1] neg_hi:[0,1]
	v_pk_add_f32 v[156:157], v[156:157], v[8:9] neg_lo:[0,1] neg_hi:[0,1]
	s_wait_dscnt 0x0
	v_dual_mul_f32 v8, v5, v3 :: v_dual_mul_f32 v10, v5, v0
	s_delay_alu instid0(VALU_DEP_1) | instskip(NEXT) | instid1(VALU_DEP_2)
	v_pk_fma_f32 v[8:9], v[4:5], v[56:57], v[8:9] op_sel_hi:[1,1,0] neg_lo:[0,0,1] neg_hi:[0,0,1]
	v_pk_fma_f32 v[4:5], v[4:5], v[56:57], v[10:11] op_sel:[1,0,0] op_sel_hi:[0,1,0]
	s_delay_alu instid0(VALU_DEP_1) | instskip(SKIP_1) | instid1(VALU_DEP_2)
	v_mov_b32_e32 v9, v5
	v_pk_mul_f32 v[4:5], v[6:7], v[2:3] op_sel:[0,1]
	v_pk_add_f32 v[184:185], v[184:185], v[8:9] neg_lo:[0,1] neg_hi:[0,1]
	s_delay_alu instid0(VALU_DEP_2) | instskip(SKIP_1) | instid1(VALU_DEP_1)
	v_pk_fma_f32 v[8:9], v[6:7], v[0:1], v[4:5] op_sel:[0,0,1] op_sel_hi:[1,1,0] neg_lo:[0,0,1] neg_hi:[0,0,1]
	v_pk_fma_f32 v[4:5], v[6:7], v[0:1], v[4:5] op_sel:[0,0,1] op_sel_hi:[1,0,0]
	v_mov_b32_e32 v9, v5
	ds_load_2addr_b64 v[4:7], v134 offset0:42 offset1:43
	v_pk_add_f32 v[180:181], v[180:181], v[8:9] neg_lo:[0,1] neg_hi:[0,1]
	s_wait_dscnt 0x0
	v_pk_mul_f32 v[8:9], v[4:5], v[2:3] op_sel:[0,1]
	s_delay_alu instid0(VALU_DEP_1) | instskip(SKIP_1) | instid1(VALU_DEP_1)
	v_pk_fma_f32 v[10:11], v[4:5], v[0:1], v[8:9] op_sel:[0,0,1] op_sel_hi:[1,1,0] neg_lo:[0,0,1] neg_hi:[0,0,1]
	v_pk_fma_f32 v[4:5], v[4:5], v[0:1], v[8:9] op_sel:[0,0,1] op_sel_hi:[1,0,0]
	v_mov_b32_e32 v11, v5
	v_pk_mul_f32 v[4:5], v[6:7], v[2:3] op_sel:[0,1]
	s_delay_alu instid0(VALU_DEP_2) | instskip(NEXT) | instid1(VALU_DEP_2)
	v_pk_add_f32 v[182:183], v[182:183], v[10:11] neg_lo:[0,1] neg_hi:[0,1]
	v_pk_fma_f32 v[8:9], v[6:7], v[0:1], v[4:5] op_sel:[0,0,1] op_sel_hi:[1,1,0] neg_lo:[0,0,1] neg_hi:[0,0,1]
	v_pk_fma_f32 v[4:5], v[6:7], v[0:1], v[4:5] op_sel:[0,0,1] op_sel_hi:[1,0,0]
	s_delay_alu instid0(VALU_DEP_1) | instskip(SKIP_4) | instid1(VALU_DEP_1)
	v_mov_b32_e32 v9, v5
	ds_load_2addr_b64 v[4:7], v134 offset0:44 offset1:45
	v_pk_add_f32 v[178:179], v[178:179], v[8:9] neg_lo:[0,1] neg_hi:[0,1]
	s_wait_dscnt 0x0
	v_pk_mul_f32 v[8:9], v[4:5], v[2:3] op_sel:[0,1]
	v_pk_fma_f32 v[10:11], v[4:5], v[0:1], v[8:9] op_sel:[0,0,1] op_sel_hi:[1,1,0] neg_lo:[0,0,1] neg_hi:[0,0,1]
	v_pk_fma_f32 v[4:5], v[4:5], v[0:1], v[8:9] op_sel:[0,0,1] op_sel_hi:[1,0,0]
	v_dual_mul_f32 v8, v7, v3 :: v_dual_mov_b32 v4, v7
	s_delay_alu instid0(VALU_DEP_2) | instskip(NEXT) | instid1(VALU_DEP_2)
	v_dual_mov_b32 v11, v5 :: v_dual_mov_b32 v5, v6
	v_pk_fma_f32 v[8:9], v[6:7], v[56:57], v[8:9] op_sel_hi:[1,1,0] neg_lo:[0,0,1] neg_hi:[0,0,1]
	v_mul_f32_e32 v6, v7, v0
	s_delay_alu instid0(VALU_DEP_3) | instskip(NEXT) | instid1(VALU_DEP_2)
	v_pk_add_f32 v[208:209], v[208:209], v[10:11] neg_lo:[0,1] neg_hi:[0,1]
	v_pk_fma_f32 v[4:5], v[4:5], v[56:57], v[6:7] op_sel_hi:[1,1,0]
	s_delay_alu instid0(VALU_DEP_1) | instskip(SKIP_4) | instid1(VALU_DEP_1)
	v_mov_b32_e32 v9, v5
	ds_load_2addr_b64 v[4:7], v134 offset0:46 offset1:47
	v_pk_add_f32 v[200:201], v[200:201], v[8:9] neg_lo:[0,1] neg_hi:[0,1]
	s_wait_dscnt 0x0
	v_pk_mul_f32 v[8:9], v[4:5], v[2:3] op_sel:[0,1]
	v_pk_fma_f32 v[10:11], v[4:5], v[0:1], v[8:9] op_sel:[0,0,1] op_sel_hi:[1,1,0] neg_lo:[0,0,1] neg_hi:[0,0,1]
	v_pk_fma_f32 v[4:5], v[4:5], v[0:1], v[8:9] op_sel:[0,0,1] op_sel_hi:[1,0,0]
	s_delay_alu instid0(VALU_DEP_1) | instskip(SKIP_1) | instid1(VALU_DEP_1)
	v_mov_b32_e32 v11, v5
	v_pk_mul_f32 v[4:5], v[6:7], v[2:3] op_sel:[0,1]
	v_pk_fma_f32 v[8:9], v[6:7], v[0:1], v[4:5] op_sel:[0,0,1] op_sel_hi:[1,1,0] neg_lo:[0,0,1] neg_hi:[0,0,1]
	v_pk_fma_f32 v[4:5], v[6:7], v[0:1], v[4:5] op_sel:[0,0,1] op_sel_hi:[1,0,0]
	s_delay_alu instid0(VALU_DEP_1)
	v_mov_b32_e32 v9, v5
	ds_load_2addr_b64 v[4:7], v134 offset0:48 offset1:49
	v_pk_add_f32 v[206:207], v[206:207], v[10:11] neg_lo:[0,1] neg_hi:[0,1]
	v_pk_add_f32 v[198:199], v[198:199], v[8:9] neg_lo:[0,1] neg_hi:[0,1]
	s_wait_dscnt 0x0
	v_pk_mul_f32 v[8:9], v[4:5], v[2:3] op_sel:[0,1]
	s_delay_alu instid0(VALU_DEP_1) | instskip(SKIP_1) | instid1(VALU_DEP_1)
	v_pk_fma_f32 v[10:11], v[4:5], v[0:1], v[8:9] op_sel:[0,0,1] op_sel_hi:[1,1,0] neg_lo:[0,0,1] neg_hi:[0,0,1]
	v_pk_fma_f32 v[4:5], v[4:5], v[0:1], v[8:9] op_sel:[0,0,1] op_sel_hi:[1,0,0]
	v_mov_b32_e32 v11, v5
	v_pk_mul_f32 v[4:5], v[6:7], v[2:3] op_sel:[0,1]
	s_delay_alu instid0(VALU_DEP_1) | instskip(SKIP_1) | instid1(VALU_DEP_1)
	v_pk_fma_f32 v[8:9], v[6:7], v[0:1], v[4:5] op_sel:[0,0,1] op_sel_hi:[1,1,0] neg_lo:[0,0,1] neg_hi:[0,0,1]
	v_pk_fma_f32 v[4:5], v[6:7], v[0:1], v[4:5] op_sel:[0,0,1] op_sel_hi:[1,0,0]
	v_mov_b32_e32 v9, v5
	ds_load_2addr_b64 v[4:7], v134 offset0:50 offset1:51
	v_pk_add_f32 v[204:205], v[204:205], v[10:11] neg_lo:[0,1] neg_hi:[0,1]
	v_pk_add_f32 v[196:197], v[196:197], v[8:9] neg_lo:[0,1] neg_hi:[0,1]
	s_wait_dscnt 0x0
	v_dual_mul_f32 v8, v5, v3 :: v_dual_mul_f32 v10, v5, v0
	s_delay_alu instid0(VALU_DEP_1) | instskip(NEXT) | instid1(VALU_DEP_2)
	v_pk_fma_f32 v[8:9], v[4:5], v[56:57], v[8:9] op_sel_hi:[1,1,0] neg_lo:[0,0,1] neg_hi:[0,0,1]
	v_pk_fma_f32 v[4:5], v[4:5], v[56:57], v[10:11] op_sel:[1,0,0] op_sel_hi:[0,1,0]
	s_delay_alu instid0(VALU_DEP_1) | instskip(SKIP_1) | instid1(VALU_DEP_2)
	v_mov_b32_e32 v9, v5
	v_pk_mul_f32 v[4:5], v[6:7], v[2:3] op_sel:[0,1]
	v_pk_add_f32 v[202:203], v[202:203], v[8:9] neg_lo:[0,1] neg_hi:[0,1]
	s_delay_alu instid0(VALU_DEP_2) | instskip(SKIP_1) | instid1(VALU_DEP_1)
	v_pk_fma_f32 v[8:9], v[6:7], v[0:1], v[4:5] op_sel:[0,0,1] op_sel_hi:[1,1,0] neg_lo:[0,0,1] neg_hi:[0,0,1]
	v_pk_fma_f32 v[4:5], v[6:7], v[0:1], v[4:5] op_sel:[0,0,1] op_sel_hi:[1,0,0]
	v_mov_b32_e32 v9, v5
	ds_load_b64 v[4:5], v134 offset:416
	v_pk_add_f32 v[210:211], v[210:211], v[8:9] neg_lo:[0,1] neg_hi:[0,1]
	s_wait_dscnt 0x0
	v_pk_mul_f32 v[2:3], v[4:5], v[2:3] op_sel:[0,1]
	s_delay_alu instid0(VALU_DEP_1) | instskip(SKIP_1) | instid1(VALU_DEP_1)
	v_pk_fma_f32 v[6:7], v[4:5], v[0:1], v[2:3] op_sel:[0,0,1] op_sel_hi:[1,1,0] neg_lo:[0,0,1] neg_hi:[0,0,1]
	v_pk_fma_f32 v[0:1], v[4:5], v[0:1], v[2:3] op_sel:[0,0,1] op_sel_hi:[1,0,0]
	v_mov_b32_e32 v7, v1
	s_delay_alu instid0(VALU_DEP_1)
	v_pk_add_f32 v[212:213], v[212:213], v[6:7] neg_lo:[0,1] neg_hi:[0,1]
.LBB105_19:
	s_wait_xcnt 0x0
	s_or_b32 exec_lo, exec_lo, s1
	s_delay_alu instid0(SALU_CYCLE_1)
	s_mov_b32 s2, exec_lo
	s_wait_storecnt 0x0
	s_barrier_signal -1
	s_barrier_wait -1
	v_cmpx_eq_u32_e32 2, v132
	s_cbranch_execz .LBB105_26
; %bb.20:
	ds_store_b64 v133, v[46:47]
	ds_store_2addr_b64 v134, v[44:45], v[26:27] offset0:3 offset1:4
	ds_store_2addr_b64 v134, v[22:23], v[24:25] offset0:5 offset1:6
	;; [unrolled: 1-line block ×25, first 2 shown]
	ds_load_b64 v[0:1], v133
	s_wait_dscnt 0x0
	v_cmp_neq_f32_e32 vcc_lo, 0, v0
	v_cmp_neq_f32_e64 s1, 0, v1
	s_or_b32 s1, vcc_lo, s1
	s_delay_alu instid0(SALU_CYCLE_1)
	s_and_b32 exec_lo, exec_lo, s1
	s_cbranch_execz .LBB105_26
; %bb.21:
	v_cmp_ngt_f32_e64 s1, |v0|, |v1|
                                        ; implicit-def: $vgpr2_vgpr3
	s_and_saveexec_b32 s4, s1
	s_delay_alu instid0(SALU_CYCLE_1)
	s_xor_b32 s1, exec_lo, s4
	s_cbranch_execz .LBB105_23
; %bb.22:
	v_div_scale_f32 v2, null, v1, v1, v0
	v_div_scale_f32 v5, vcc_lo, v0, v1, v0
	s_delay_alu instid0(VALU_DEP_2) | instskip(SKIP_1) | instid1(TRANS32_DEP_1)
	v_rcp_f32_e32 v3, v2
	v_nop
	v_fma_f32 v4, -v2, v3, 1.0
	s_delay_alu instid0(VALU_DEP_1) | instskip(NEXT) | instid1(VALU_DEP_1)
	v_fmac_f32_e32 v3, v4, v3
	v_mul_f32_e32 v4, v5, v3
	s_delay_alu instid0(VALU_DEP_1) | instskip(NEXT) | instid1(VALU_DEP_1)
	v_fma_f32 v6, -v2, v4, v5
	v_fmac_f32_e32 v4, v6, v3
	s_delay_alu instid0(VALU_DEP_1) | instskip(NEXT) | instid1(VALU_DEP_1)
	v_fma_f32 v2, -v2, v4, v5
	v_div_fmas_f32 v2, v2, v3, v4
	s_delay_alu instid0(VALU_DEP_1) | instskip(NEXT) | instid1(VALU_DEP_1)
	v_div_fixup_f32 v2, v2, v1, v0
	v_fmac_f32_e32 v1, v0, v2
	s_delay_alu instid0(VALU_DEP_1) | instskip(SKIP_1) | instid1(VALU_DEP_2)
	v_div_scale_f32 v0, null, v1, v1, 1.0
	v_div_scale_f32 v5, vcc_lo, 1.0, v1, 1.0
	v_rcp_f32_e32 v3, v0
	v_nop
	s_delay_alu instid0(TRANS32_DEP_1) | instskip(NEXT) | instid1(VALU_DEP_1)
	v_fma_f32 v4, -v0, v3, 1.0
	v_fmac_f32_e32 v3, v4, v3
	s_delay_alu instid0(VALU_DEP_1) | instskip(NEXT) | instid1(VALU_DEP_1)
	v_mul_f32_e32 v4, v5, v3
	v_fma_f32 v6, -v0, v4, v5
	s_delay_alu instid0(VALU_DEP_1) | instskip(NEXT) | instid1(VALU_DEP_1)
	v_fmac_f32_e32 v4, v6, v3
	v_fma_f32 v0, -v0, v4, v5
	s_delay_alu instid0(VALU_DEP_1) | instskip(NEXT) | instid1(VALU_DEP_1)
	v_div_fmas_f32 v0, v0, v3, v4
	v_div_fixup_f32 v0, v0, v1, 1.0
	s_delay_alu instid0(VALU_DEP_1)
	v_mul_f32_e32 v2, v2, v0
	v_xor_b32_e32 v3, 0x80000000, v0
                                        ; implicit-def: $vgpr0_vgpr1
.LBB105_23:
	s_and_not1_saveexec_b32 s1, s1
	s_cbranch_execz .LBB105_25
; %bb.24:
	v_div_scale_f32 v2, null, v0, v0, v1
	v_div_scale_f32 v5, vcc_lo, v1, v0, v1
	s_delay_alu instid0(VALU_DEP_2) | instskip(SKIP_1) | instid1(TRANS32_DEP_1)
	v_rcp_f32_e32 v3, v2
	v_nop
	v_fma_f32 v4, -v2, v3, 1.0
	s_delay_alu instid0(VALU_DEP_1) | instskip(NEXT) | instid1(VALU_DEP_1)
	v_fmac_f32_e32 v3, v4, v3
	v_mul_f32_e32 v4, v5, v3
	s_delay_alu instid0(VALU_DEP_1) | instskip(NEXT) | instid1(VALU_DEP_1)
	v_fma_f32 v6, -v2, v4, v5
	v_fmac_f32_e32 v4, v6, v3
	s_delay_alu instid0(VALU_DEP_1) | instskip(NEXT) | instid1(VALU_DEP_1)
	v_fma_f32 v2, -v2, v4, v5
	v_div_fmas_f32 v2, v2, v3, v4
	s_delay_alu instid0(VALU_DEP_1) | instskip(NEXT) | instid1(VALU_DEP_1)
	v_div_fixup_f32 v3, v2, v0, v1
	v_fmac_f32_e32 v0, v1, v3
	s_delay_alu instid0(VALU_DEP_1) | instskip(NEXT) | instid1(VALU_DEP_1)
	v_div_scale_f32 v1, null, v0, v0, 1.0
	v_rcp_f32_e32 v2, v1
	v_nop
	s_delay_alu instid0(TRANS32_DEP_1) | instskip(NEXT) | instid1(VALU_DEP_1)
	v_fma_f32 v4, -v1, v2, 1.0
	v_fmac_f32_e32 v2, v4, v2
	v_div_scale_f32 v4, vcc_lo, 1.0, v0, 1.0
	s_delay_alu instid0(VALU_DEP_1) | instskip(NEXT) | instid1(VALU_DEP_1)
	v_mul_f32_e32 v5, v4, v2
	v_fma_f32 v6, -v1, v5, v4
	s_delay_alu instid0(VALU_DEP_1) | instskip(NEXT) | instid1(VALU_DEP_1)
	v_fmac_f32_e32 v5, v6, v2
	v_fma_f32 v1, -v1, v5, v4
	s_delay_alu instid0(VALU_DEP_1) | instskip(NEXT) | instid1(VALU_DEP_1)
	v_div_fmas_f32 v1, v1, v2, v5
	v_div_fixup_f32 v2, v1, v0, 1.0
	s_delay_alu instid0(VALU_DEP_1)
	v_mul_f32_e64 v3, v3, -v2
.LBB105_25:
	s_or_b32 exec_lo, exec_lo, s1
	ds_store_b64 v133, v[2:3]
.LBB105_26:
	s_or_b32 exec_lo, exec_lo, s2
	s_wait_dscnt 0x0
	s_barrier_signal -1
	s_barrier_wait -1
	ds_load_b64 v[0:1], v133
	s_mov_b32 s1, exec_lo
	s_wait_dscnt 0x0
	scratch_store_b64 off, v[0:1], off offset:144 ; 8-byte Folded Spill
	s_wait_xcnt 0x0
	v_cmpx_lt_u32_e32 2, v132
	s_cbranch_execz .LBB105_28
; %bb.27:
	scratch_load_b64 v[4:5], off, off offset:144 ; 8-byte Folded Reload
	s_wait_loadcnt 0x0
	v_pk_mul_f32 v[2:3], v[4:5], v[46:47] op_sel:[1,1] op_sel_hi:[0,1]
	s_delay_alu instid0(VALU_DEP_1)
	v_pk_fma_f32 v[0:1], v[4:5], v[46:47], v[2:3] op_sel_hi:[1,0,1] neg_lo:[0,0,1] neg_hi:[0,0,1]
	v_pk_fma_f32 v[2:3], v[4:5], v[46:47], v[2:3] op_sel_hi:[1,0,1]
	ds_load_2addr_b64 v[4:7], v134 offset0:3 offset1:4
	v_dual_mov_b32 v46, v0 :: v_dual_mov_b32 v47, v3
	s_wait_dscnt 0x0
	v_pk_mul_f32 v[8:9], v[4:5], v[2:3] op_sel:[0,1]
	s_delay_alu instid0(VALU_DEP_1) | instskip(SKIP_1) | instid1(VALU_DEP_1)
	v_pk_fma_f32 v[10:11], v[4:5], v[0:1], v[8:9] op_sel:[0,0,1] op_sel_hi:[1,1,0] neg_lo:[0,0,1] neg_hi:[0,0,1]
	v_pk_fma_f32 v[4:5], v[4:5], v[0:1], v[8:9] op_sel:[0,0,1] op_sel_hi:[1,0,0]
	v_mov_b32_e32 v11, v5
	v_pk_mul_f32 v[4:5], v[6:7], v[2:3] op_sel:[0,1]
	s_delay_alu instid0(VALU_DEP_1) | instskip(SKIP_1) | instid1(VALU_DEP_1)
	v_pk_fma_f32 v[8:9], v[6:7], v[0:1], v[4:5] op_sel:[0,0,1] op_sel_hi:[1,1,0] neg_lo:[0,0,1] neg_hi:[0,0,1]
	v_pk_fma_f32 v[4:5], v[6:7], v[0:1], v[4:5] op_sel:[0,0,1] op_sel_hi:[1,0,0]
	v_mov_b32_e32 v9, v5
	ds_load_2addr_b64 v[4:7], v134 offset0:5 offset1:6
	v_pk_add_f32 v[44:45], v[44:45], v[10:11] neg_lo:[0,1] neg_hi:[0,1]
	v_pk_add_f32 v[26:27], v[26:27], v[8:9] neg_lo:[0,1] neg_hi:[0,1]
	s_wait_dscnt 0x0
	v_pk_mul_f32 v[8:9], v[4:5], v[2:3] op_sel:[0,1]
	s_delay_alu instid0(VALU_DEP_1) | instskip(SKIP_2) | instid1(VALU_DEP_2)
	v_pk_fma_f32 v[10:11], v[4:5], v[0:1], v[8:9] op_sel:[0,0,1] op_sel_hi:[1,1,0] neg_lo:[0,0,1] neg_hi:[0,0,1]
	v_pk_fma_f32 v[4:5], v[4:5], v[0:1], v[8:9] op_sel:[0,0,1] op_sel_hi:[1,0,0]
	v_dual_mul_f32 v8, v7, v3 :: v_dual_mov_b32 v4, v7
	v_dual_mov_b32 v11, v5 :: v_dual_mov_b32 v5, v6
	s_delay_alu instid0(VALU_DEP_2) | instskip(SKIP_1) | instid1(VALU_DEP_3)
	v_pk_fma_f32 v[8:9], v[6:7], v[46:47], v[8:9] op_sel_hi:[1,1,0] neg_lo:[0,0,1] neg_hi:[0,0,1]
	v_mul_f32_e32 v6, v7, v0
	v_pk_add_f32 v[22:23], v[22:23], v[10:11] neg_lo:[0,1] neg_hi:[0,1]
	s_delay_alu instid0(VALU_DEP_2) | instskip(NEXT) | instid1(VALU_DEP_1)
	v_pk_fma_f32 v[4:5], v[4:5], v[46:47], v[6:7] op_sel_hi:[1,1,0]
	v_mov_b32_e32 v9, v5
	ds_load_2addr_b64 v[4:7], v134 offset0:7 offset1:8
	v_pk_add_f32 v[24:25], v[24:25], v[8:9] neg_lo:[0,1] neg_hi:[0,1]
	s_wait_dscnt 0x0
	v_pk_mul_f32 v[8:9], v[4:5], v[2:3] op_sel:[0,1]
	s_delay_alu instid0(VALU_DEP_1) | instskip(SKIP_1) | instid1(VALU_DEP_1)
	v_pk_fma_f32 v[10:11], v[4:5], v[0:1], v[8:9] op_sel:[0,0,1] op_sel_hi:[1,1,0] neg_lo:[0,0,1] neg_hi:[0,0,1]
	v_pk_fma_f32 v[4:5], v[4:5], v[0:1], v[8:9] op_sel:[0,0,1] op_sel_hi:[1,0,0]
	v_mov_b32_e32 v11, v5
	v_pk_mul_f32 v[4:5], v[6:7], v[2:3] op_sel:[0,1]
	s_delay_alu instid0(VALU_DEP_1) | instskip(SKIP_1) | instid1(VALU_DEP_1)
	v_pk_fma_f32 v[8:9], v[6:7], v[0:1], v[4:5] op_sel:[0,0,1] op_sel_hi:[1,1,0] neg_lo:[0,0,1] neg_hi:[0,0,1]
	v_pk_fma_f32 v[4:5], v[6:7], v[0:1], v[4:5] op_sel:[0,0,1] op_sel_hi:[1,0,0]
	v_mov_b32_e32 v9, v5
	ds_load_2addr_b64 v[4:7], v134 offset0:9 offset1:10
	v_pk_add_f32 v[20:21], v[20:21], v[10:11] neg_lo:[0,1] neg_hi:[0,1]
	v_pk_add_f32 v[40:41], v[40:41], v[8:9] neg_lo:[0,1] neg_hi:[0,1]
	s_wait_dscnt 0x0
	v_pk_mul_f32 v[8:9], v[4:5], v[2:3] op_sel:[0,1]
	s_delay_alu instid0(VALU_DEP_1) | instskip(SKIP_1) | instid1(VALU_DEP_1)
	v_pk_fma_f32 v[10:11], v[4:5], v[0:1], v[8:9] op_sel:[0,0,1] op_sel_hi:[1,1,0] neg_lo:[0,0,1] neg_hi:[0,0,1]
	v_pk_fma_f32 v[4:5], v[4:5], v[0:1], v[8:9] op_sel:[0,0,1] op_sel_hi:[1,0,0]
	v_mov_b32_e32 v11, v5
	v_pk_mul_f32 v[4:5], v[6:7], v[2:3] op_sel:[0,1]
	s_delay_alu instid0(VALU_DEP_1) | instskip(SKIP_1) | instid1(VALU_DEP_1)
	v_pk_fma_f32 v[8:9], v[6:7], v[0:1], v[4:5] op_sel:[0,0,1] op_sel_hi:[1,1,0] neg_lo:[0,0,1] neg_hi:[0,0,1]
	v_pk_fma_f32 v[4:5], v[6:7], v[0:1], v[4:5] op_sel:[0,0,1] op_sel_hi:[1,0,0]
	v_mov_b32_e32 v9, v5
	ds_load_2addr_b64 v[4:7], v134 offset0:11 offset1:12
	v_pk_add_f32 v[36:37], v[36:37], v[10:11] neg_lo:[0,1] neg_hi:[0,1]
	v_pk_add_f32 v[38:39], v[38:39], v[8:9] neg_lo:[0,1] neg_hi:[0,1]
	s_wait_dscnt 0x0
	v_dual_mul_f32 v8, v5, v3 :: v_dual_mul_f32 v10, v5, v0
	s_delay_alu instid0(VALU_DEP_1) | instskip(NEXT) | instid1(VALU_DEP_2)
	v_pk_fma_f32 v[8:9], v[4:5], v[46:47], v[8:9] op_sel_hi:[1,1,0] neg_lo:[0,0,1] neg_hi:[0,0,1]
	v_pk_fma_f32 v[4:5], v[4:5], v[46:47], v[10:11] op_sel:[1,0,0] op_sel_hi:[0,1,0]
	s_delay_alu instid0(VALU_DEP_1) | instskip(SKIP_1) | instid1(VALU_DEP_2)
	v_mov_b32_e32 v9, v5
	v_pk_mul_f32 v[4:5], v[6:7], v[2:3] op_sel:[0,1]
	v_pk_add_f32 v[34:35], v[34:35], v[8:9] neg_lo:[0,1] neg_hi:[0,1]
	s_delay_alu instid0(VALU_DEP_2) | instskip(SKIP_1) | instid1(VALU_DEP_1)
	v_pk_fma_f32 v[8:9], v[6:7], v[0:1], v[4:5] op_sel:[0,0,1] op_sel_hi:[1,1,0] neg_lo:[0,0,1] neg_hi:[0,0,1]
	v_pk_fma_f32 v[4:5], v[6:7], v[0:1], v[4:5] op_sel:[0,0,1] op_sel_hi:[1,0,0]
	v_mov_b32_e32 v9, v5
	ds_load_2addr_b64 v[4:7], v134 offset0:13 offset1:14
	v_pk_add_f32 v[64:65], v[64:65], v[8:9] neg_lo:[0,1] neg_hi:[0,1]
	s_wait_dscnt 0x0
	v_pk_mul_f32 v[8:9], v[4:5], v[2:3] op_sel:[0,1]
	s_delay_alu instid0(VALU_DEP_1) | instskip(SKIP_1) | instid1(VALU_DEP_1)
	v_pk_fma_f32 v[10:11], v[4:5], v[0:1], v[8:9] op_sel:[0,0,1] op_sel_hi:[1,1,0] neg_lo:[0,0,1] neg_hi:[0,0,1]
	v_pk_fma_f32 v[4:5], v[4:5], v[0:1], v[8:9] op_sel:[0,0,1] op_sel_hi:[1,0,0]
	v_mov_b32_e32 v11, v5
	v_pk_mul_f32 v[4:5], v[6:7], v[2:3] op_sel:[0,1]
	s_delay_alu instid0(VALU_DEP_2) | instskip(NEXT) | instid1(VALU_DEP_2)
	v_pk_add_f32 v[60:61], v[60:61], v[10:11] neg_lo:[0,1] neg_hi:[0,1]
	v_pk_fma_f32 v[8:9], v[6:7], v[0:1], v[4:5] op_sel:[0,0,1] op_sel_hi:[1,1,0] neg_lo:[0,0,1] neg_hi:[0,0,1]
	v_pk_fma_f32 v[4:5], v[6:7], v[0:1], v[4:5] op_sel:[0,0,1] op_sel_hi:[1,0,0]
	s_delay_alu instid0(VALU_DEP_1) | instskip(SKIP_4) | instid1(VALU_DEP_1)
	v_mov_b32_e32 v9, v5
	ds_load_2addr_b64 v[4:7], v134 offset0:15 offset1:16
	v_pk_add_f32 v[62:63], v[62:63], v[8:9] neg_lo:[0,1] neg_hi:[0,1]
	s_wait_dscnt 0x0
	v_pk_mul_f32 v[8:9], v[4:5], v[2:3] op_sel:[0,1]
	v_pk_fma_f32 v[10:11], v[4:5], v[0:1], v[8:9] op_sel:[0,0,1] op_sel_hi:[1,1,0] neg_lo:[0,0,1] neg_hi:[0,0,1]
	v_pk_fma_f32 v[4:5], v[4:5], v[0:1], v[8:9] op_sel:[0,0,1] op_sel_hi:[1,0,0]
	v_dual_mul_f32 v8, v7, v3 :: v_dual_mov_b32 v4, v7
	s_delay_alu instid0(VALU_DEP_2) | instskip(NEXT) | instid1(VALU_DEP_2)
	v_dual_mov_b32 v11, v5 :: v_dual_mov_b32 v5, v6
	v_pk_fma_f32 v[8:9], v[6:7], v[46:47], v[8:9] op_sel_hi:[1,1,0] neg_lo:[0,0,1] neg_hi:[0,0,1]
	v_mul_f32_e32 v6, v7, v0
	s_delay_alu instid0(VALU_DEP_3) | instskip(NEXT) | instid1(VALU_DEP_2)
	v_pk_add_f32 v[58:59], v[58:59], v[10:11] neg_lo:[0,1] neg_hi:[0,1]
	v_pk_fma_f32 v[4:5], v[4:5], v[46:47], v[6:7] op_sel_hi:[1,1,0]
	s_delay_alu instid0(VALU_DEP_1) | instskip(SKIP_4) | instid1(VALU_DEP_1)
	v_mov_b32_e32 v9, v5
	ds_load_2addr_b64 v[4:7], v134 offset0:17 offset1:18
	v_pk_add_f32 v[80:81], v[80:81], v[8:9] neg_lo:[0,1] neg_hi:[0,1]
	s_wait_dscnt 0x0
	v_pk_mul_f32 v[8:9], v[4:5], v[2:3] op_sel:[0,1]
	v_pk_fma_f32 v[10:11], v[4:5], v[0:1], v[8:9] op_sel:[0,0,1] op_sel_hi:[1,1,0] neg_lo:[0,0,1] neg_hi:[0,0,1]
	v_pk_fma_f32 v[4:5], v[4:5], v[0:1], v[8:9] op_sel:[0,0,1] op_sel_hi:[1,0,0]
	s_delay_alu instid0(VALU_DEP_1) | instskip(SKIP_1) | instid1(VALU_DEP_1)
	v_mov_b32_e32 v11, v5
	v_pk_mul_f32 v[4:5], v[6:7], v[2:3] op_sel:[0,1]
	v_pk_fma_f32 v[8:9], v[6:7], v[0:1], v[4:5] op_sel:[0,0,1] op_sel_hi:[1,1,0] neg_lo:[0,0,1] neg_hi:[0,0,1]
	v_pk_fma_f32 v[4:5], v[6:7], v[0:1], v[4:5] op_sel:[0,0,1] op_sel_hi:[1,0,0]
	s_delay_alu instid0(VALU_DEP_1)
	v_mov_b32_e32 v9, v5
	ds_load_2addr_b64 v[4:7], v134 offset0:19 offset1:20
	v_pk_add_f32 v[76:77], v[76:77], v[10:11] neg_lo:[0,1] neg_hi:[0,1]
	v_pk_add_f32 v[78:79], v[78:79], v[8:9] neg_lo:[0,1] neg_hi:[0,1]
	s_wait_dscnt 0x0
	v_pk_mul_f32 v[8:9], v[4:5], v[2:3] op_sel:[0,1]
	s_delay_alu instid0(VALU_DEP_1) | instskip(SKIP_1) | instid1(VALU_DEP_1)
	v_pk_fma_f32 v[10:11], v[4:5], v[0:1], v[8:9] op_sel:[0,0,1] op_sel_hi:[1,1,0] neg_lo:[0,0,1] neg_hi:[0,0,1]
	v_pk_fma_f32 v[4:5], v[4:5], v[0:1], v[8:9] op_sel:[0,0,1] op_sel_hi:[1,0,0]
	v_mov_b32_e32 v11, v5
	v_pk_mul_f32 v[4:5], v[6:7], v[2:3] op_sel:[0,1]
	s_delay_alu instid0(VALU_DEP_1) | instskip(SKIP_1) | instid1(VALU_DEP_1)
	v_pk_fma_f32 v[8:9], v[6:7], v[0:1], v[4:5] op_sel:[0,0,1] op_sel_hi:[1,1,0] neg_lo:[0,0,1] neg_hi:[0,0,1]
	v_pk_fma_f32 v[4:5], v[6:7], v[0:1], v[4:5] op_sel:[0,0,1] op_sel_hi:[1,0,0]
	v_mov_b32_e32 v9, v5
	ds_load_2addr_b64 v[4:7], v134 offset0:21 offset1:22
	v_pk_add_f32 v[74:75], v[74:75], v[10:11] neg_lo:[0,1] neg_hi:[0,1]
	v_pk_add_f32 v[96:97], v[96:97], v[8:9] neg_lo:[0,1] neg_hi:[0,1]
	s_wait_dscnt 0x0
	v_dual_mul_f32 v8, v5, v3 :: v_dual_mul_f32 v10, v5, v0
	s_delay_alu instid0(VALU_DEP_1) | instskip(NEXT) | instid1(VALU_DEP_2)
	v_pk_fma_f32 v[8:9], v[4:5], v[46:47], v[8:9] op_sel_hi:[1,1,0] neg_lo:[0,0,1] neg_hi:[0,0,1]
	v_pk_fma_f32 v[4:5], v[4:5], v[46:47], v[10:11] op_sel:[1,0,0] op_sel_hi:[0,1,0]
	s_delay_alu instid0(VALU_DEP_1) | instskip(SKIP_1) | instid1(VALU_DEP_2)
	v_mov_b32_e32 v9, v5
	v_pk_mul_f32 v[4:5], v[6:7], v[2:3] op_sel:[0,1]
	v_pk_add_f32 v[92:93], v[92:93], v[8:9] neg_lo:[0,1] neg_hi:[0,1]
	s_delay_alu instid0(VALU_DEP_2) | instskip(SKIP_1) | instid1(VALU_DEP_1)
	v_pk_fma_f32 v[8:9], v[6:7], v[0:1], v[4:5] op_sel:[0,0,1] op_sel_hi:[1,1,0] neg_lo:[0,0,1] neg_hi:[0,0,1]
	v_pk_fma_f32 v[4:5], v[6:7], v[0:1], v[4:5] op_sel:[0,0,1] op_sel_hi:[1,0,0]
	v_mov_b32_e32 v9, v5
	ds_load_2addr_b64 v[4:7], v134 offset0:23 offset1:24
	v_pk_add_f32 v[94:95], v[94:95], v[8:9] neg_lo:[0,1] neg_hi:[0,1]
	s_wait_dscnt 0x0
	v_pk_mul_f32 v[8:9], v[4:5], v[2:3] op_sel:[0,1]
	s_delay_alu instid0(VALU_DEP_1) | instskip(SKIP_1) | instid1(VALU_DEP_1)
	v_pk_fma_f32 v[10:11], v[4:5], v[0:1], v[8:9] op_sel:[0,0,1] op_sel_hi:[1,1,0] neg_lo:[0,0,1] neg_hi:[0,0,1]
	v_pk_fma_f32 v[4:5], v[4:5], v[0:1], v[8:9] op_sel:[0,0,1] op_sel_hi:[1,0,0]
	v_mov_b32_e32 v11, v5
	v_pk_mul_f32 v[4:5], v[6:7], v[2:3] op_sel:[0,1]
	s_delay_alu instid0(VALU_DEP_2) | instskip(NEXT) | instid1(VALU_DEP_2)
	v_pk_add_f32 v[90:91], v[90:91], v[10:11] neg_lo:[0,1] neg_hi:[0,1]
	v_pk_fma_f32 v[8:9], v[6:7], v[0:1], v[4:5] op_sel:[0,0,1] op_sel_hi:[1,1,0] neg_lo:[0,0,1] neg_hi:[0,0,1]
	v_pk_fma_f32 v[4:5], v[6:7], v[0:1], v[4:5] op_sel:[0,0,1] op_sel_hi:[1,0,0]
	s_delay_alu instid0(VALU_DEP_1) | instskip(SKIP_4) | instid1(VALU_DEP_1)
	v_mov_b32_e32 v9, v5
	ds_load_2addr_b64 v[4:7], v134 offset0:25 offset1:26
	v_pk_add_f32 v[112:113], v[112:113], v[8:9] neg_lo:[0,1] neg_hi:[0,1]
	s_wait_dscnt 0x0
	v_pk_mul_f32 v[8:9], v[4:5], v[2:3] op_sel:[0,1]
	v_pk_fma_f32 v[10:11], v[4:5], v[0:1], v[8:9] op_sel:[0,0,1] op_sel_hi:[1,1,0] neg_lo:[0,0,1] neg_hi:[0,0,1]
	v_pk_fma_f32 v[4:5], v[4:5], v[0:1], v[8:9] op_sel:[0,0,1] op_sel_hi:[1,0,0]
	v_dual_mul_f32 v8, v7, v3 :: v_dual_mov_b32 v4, v7
	s_delay_alu instid0(VALU_DEP_2) | instskip(NEXT) | instid1(VALU_DEP_2)
	v_dual_mov_b32 v11, v5 :: v_dual_mov_b32 v5, v6
	v_pk_fma_f32 v[8:9], v[6:7], v[46:47], v[8:9] op_sel_hi:[1,1,0] neg_lo:[0,0,1] neg_hi:[0,0,1]
	v_mul_f32_e32 v6, v7, v0
	s_delay_alu instid0(VALU_DEP_3) | instskip(NEXT) | instid1(VALU_DEP_2)
	v_pk_add_f32 v[108:109], v[108:109], v[10:11] neg_lo:[0,1] neg_hi:[0,1]
	v_pk_fma_f32 v[4:5], v[4:5], v[46:47], v[6:7] op_sel_hi:[1,1,0]
	s_delay_alu instid0(VALU_DEP_1) | instskip(SKIP_4) | instid1(VALU_DEP_1)
	v_mov_b32_e32 v9, v5
	ds_load_2addr_b64 v[4:7], v134 offset0:27 offset1:28
	v_pk_add_f32 v[110:111], v[110:111], v[8:9] neg_lo:[0,1] neg_hi:[0,1]
	s_wait_dscnt 0x0
	v_pk_mul_f32 v[8:9], v[4:5], v[2:3] op_sel:[0,1]
	v_pk_fma_f32 v[10:11], v[4:5], v[0:1], v[8:9] op_sel:[0,0,1] op_sel_hi:[1,1,0] neg_lo:[0,0,1] neg_hi:[0,0,1]
	v_pk_fma_f32 v[4:5], v[4:5], v[0:1], v[8:9] op_sel:[0,0,1] op_sel_hi:[1,0,0]
	s_delay_alu instid0(VALU_DEP_1) | instskip(SKIP_1) | instid1(VALU_DEP_1)
	v_mov_b32_e32 v11, v5
	v_pk_mul_f32 v[4:5], v[6:7], v[2:3] op_sel:[0,1]
	v_pk_fma_f32 v[8:9], v[6:7], v[0:1], v[4:5] op_sel:[0,0,1] op_sel_hi:[1,1,0] neg_lo:[0,0,1] neg_hi:[0,0,1]
	v_pk_fma_f32 v[4:5], v[6:7], v[0:1], v[4:5] op_sel:[0,0,1] op_sel_hi:[1,0,0]
	s_delay_alu instid0(VALU_DEP_1)
	v_mov_b32_e32 v9, v5
	ds_load_2addr_b64 v[4:7], v134 offset0:29 offset1:30
	v_pk_add_f32 v[106:107], v[106:107], v[10:11] neg_lo:[0,1] neg_hi:[0,1]
	v_pk_add_f32 v[130:131], v[130:131], v[8:9] neg_lo:[0,1] neg_hi:[0,1]
	s_wait_dscnt 0x0
	v_pk_mul_f32 v[8:9], v[4:5], v[2:3] op_sel:[0,1]
	s_delay_alu instid0(VALU_DEP_1) | instskip(SKIP_1) | instid1(VALU_DEP_1)
	v_pk_fma_f32 v[10:11], v[4:5], v[0:1], v[8:9] op_sel:[0,0,1] op_sel_hi:[1,1,0] neg_lo:[0,0,1] neg_hi:[0,0,1]
	v_pk_fma_f32 v[4:5], v[4:5], v[0:1], v[8:9] op_sel:[0,0,1] op_sel_hi:[1,0,0]
	v_mov_b32_e32 v11, v5
	v_pk_mul_f32 v[4:5], v[6:7], v[2:3] op_sel:[0,1]
	s_delay_alu instid0(VALU_DEP_1) | instskip(SKIP_1) | instid1(VALU_DEP_1)
	v_pk_fma_f32 v[8:9], v[6:7], v[0:1], v[4:5] op_sel:[0,0,1] op_sel_hi:[1,1,0] neg_lo:[0,0,1] neg_hi:[0,0,1]
	v_pk_fma_f32 v[4:5], v[6:7], v[0:1], v[4:5] op_sel:[0,0,1] op_sel_hi:[1,0,0]
	v_mov_b32_e32 v9, v5
	ds_load_2addr_b64 v[4:7], v134 offset0:31 offset1:32
	v_pk_add_f32 v[126:127], v[126:127], v[10:11] neg_lo:[0,1] neg_hi:[0,1]
	v_pk_add_f32 v[128:129], v[128:129], v[8:9] neg_lo:[0,1] neg_hi:[0,1]
	s_wait_dscnt 0x0
	v_dual_mul_f32 v8, v5, v3 :: v_dual_mul_f32 v10, v5, v0
	s_delay_alu instid0(VALU_DEP_1) | instskip(NEXT) | instid1(VALU_DEP_2)
	v_pk_fma_f32 v[8:9], v[4:5], v[46:47], v[8:9] op_sel_hi:[1,1,0] neg_lo:[0,0,1] neg_hi:[0,0,1]
	v_pk_fma_f32 v[4:5], v[4:5], v[46:47], v[10:11] op_sel:[1,0,0] op_sel_hi:[0,1,0]
	s_delay_alu instid0(VALU_DEP_1) | instskip(SKIP_1) | instid1(VALU_DEP_2)
	v_mov_b32_e32 v9, v5
	v_pk_mul_f32 v[4:5], v[6:7], v[2:3] op_sel:[0,1]
	v_pk_add_f32 v[124:125], v[124:125], v[8:9] neg_lo:[0,1] neg_hi:[0,1]
	s_delay_alu instid0(VALU_DEP_2) | instskip(SKIP_1) | instid1(VALU_DEP_1)
	v_pk_fma_f32 v[8:9], v[6:7], v[0:1], v[4:5] op_sel:[0,0,1] op_sel_hi:[1,1,0] neg_lo:[0,0,1] neg_hi:[0,0,1]
	v_pk_fma_f32 v[4:5], v[6:7], v[0:1], v[4:5] op_sel:[0,0,1] op_sel_hi:[1,0,0]
	v_mov_b32_e32 v9, v5
	ds_load_2addr_b64 v[4:7], v134 offset0:33 offset1:34
	v_pk_add_f32 v[146:147], v[146:147], v[8:9] neg_lo:[0,1] neg_hi:[0,1]
	s_wait_dscnt 0x0
	v_pk_mul_f32 v[8:9], v[4:5], v[2:3] op_sel:[0,1]
	s_delay_alu instid0(VALU_DEP_1) | instskip(SKIP_1) | instid1(VALU_DEP_1)
	v_pk_fma_f32 v[10:11], v[4:5], v[0:1], v[8:9] op_sel:[0,0,1] op_sel_hi:[1,1,0] neg_lo:[0,0,1] neg_hi:[0,0,1]
	v_pk_fma_f32 v[4:5], v[4:5], v[0:1], v[8:9] op_sel:[0,0,1] op_sel_hi:[1,0,0]
	v_mov_b32_e32 v11, v5
	v_pk_mul_f32 v[4:5], v[6:7], v[2:3] op_sel:[0,1]
	s_delay_alu instid0(VALU_DEP_2) | instskip(NEXT) | instid1(VALU_DEP_2)
	v_pk_add_f32 v[142:143], v[142:143], v[10:11] neg_lo:[0,1] neg_hi:[0,1]
	v_pk_fma_f32 v[8:9], v[6:7], v[0:1], v[4:5] op_sel:[0,0,1] op_sel_hi:[1,1,0] neg_lo:[0,0,1] neg_hi:[0,0,1]
	v_pk_fma_f32 v[4:5], v[6:7], v[0:1], v[4:5] op_sel:[0,0,1] op_sel_hi:[1,0,0]
	s_delay_alu instid0(VALU_DEP_1) | instskip(SKIP_4) | instid1(VALU_DEP_1)
	v_mov_b32_e32 v9, v5
	ds_load_2addr_b64 v[4:7], v134 offset0:35 offset1:36
	v_pk_add_f32 v[144:145], v[144:145], v[8:9] neg_lo:[0,1] neg_hi:[0,1]
	s_wait_dscnt 0x0
	v_pk_mul_f32 v[8:9], v[4:5], v[2:3] op_sel:[0,1]
	v_pk_fma_f32 v[10:11], v[4:5], v[0:1], v[8:9] op_sel:[0,0,1] op_sel_hi:[1,1,0] neg_lo:[0,0,1] neg_hi:[0,0,1]
	v_pk_fma_f32 v[4:5], v[4:5], v[0:1], v[8:9] op_sel:[0,0,1] op_sel_hi:[1,0,0]
	v_dual_mul_f32 v8, v7, v3 :: v_dual_mov_b32 v4, v7
	s_delay_alu instid0(VALU_DEP_2) | instskip(NEXT) | instid1(VALU_DEP_2)
	v_dual_mov_b32 v11, v5 :: v_dual_mov_b32 v5, v6
	v_pk_fma_f32 v[8:9], v[6:7], v[46:47], v[8:9] op_sel_hi:[1,1,0] neg_lo:[0,0,1] neg_hi:[0,0,1]
	v_mul_f32_e32 v6, v7, v0
	s_delay_alu instid0(VALU_DEP_3) | instskip(NEXT) | instid1(VALU_DEP_2)
	v_pk_add_f32 v[140:141], v[140:141], v[10:11] neg_lo:[0,1] neg_hi:[0,1]
	v_pk_fma_f32 v[4:5], v[4:5], v[46:47], v[6:7] op_sel_hi:[1,1,0]
	s_delay_alu instid0(VALU_DEP_1) | instskip(SKIP_4) | instid1(VALU_DEP_1)
	v_mov_b32_e32 v9, v5
	ds_load_2addr_b64 v[4:7], v134 offset0:37 offset1:38
	v_pk_add_f32 v[162:163], v[162:163], v[8:9] neg_lo:[0,1] neg_hi:[0,1]
	s_wait_dscnt 0x0
	v_pk_mul_f32 v[8:9], v[4:5], v[2:3] op_sel:[0,1]
	v_pk_fma_f32 v[10:11], v[4:5], v[0:1], v[8:9] op_sel:[0,0,1] op_sel_hi:[1,1,0] neg_lo:[0,0,1] neg_hi:[0,0,1]
	v_pk_fma_f32 v[4:5], v[4:5], v[0:1], v[8:9] op_sel:[0,0,1] op_sel_hi:[1,0,0]
	s_delay_alu instid0(VALU_DEP_1) | instskip(SKIP_1) | instid1(VALU_DEP_1)
	v_mov_b32_e32 v11, v5
	v_pk_mul_f32 v[4:5], v[6:7], v[2:3] op_sel:[0,1]
	v_pk_fma_f32 v[8:9], v[6:7], v[0:1], v[4:5] op_sel:[0,0,1] op_sel_hi:[1,1,0] neg_lo:[0,0,1] neg_hi:[0,0,1]
	v_pk_fma_f32 v[4:5], v[6:7], v[0:1], v[4:5] op_sel:[0,0,1] op_sel_hi:[1,0,0]
	s_delay_alu instid0(VALU_DEP_1)
	v_mov_b32_e32 v9, v5
	ds_load_2addr_b64 v[4:7], v134 offset0:39 offset1:40
	v_pk_add_f32 v[158:159], v[158:159], v[10:11] neg_lo:[0,1] neg_hi:[0,1]
	v_pk_add_f32 v[160:161], v[160:161], v[8:9] neg_lo:[0,1] neg_hi:[0,1]
	s_wait_dscnt 0x0
	v_pk_mul_f32 v[8:9], v[4:5], v[2:3] op_sel:[0,1]
	s_delay_alu instid0(VALU_DEP_1) | instskip(SKIP_1) | instid1(VALU_DEP_1)
	v_pk_fma_f32 v[10:11], v[4:5], v[0:1], v[8:9] op_sel:[0,0,1] op_sel_hi:[1,1,0] neg_lo:[0,0,1] neg_hi:[0,0,1]
	v_pk_fma_f32 v[4:5], v[4:5], v[0:1], v[8:9] op_sel:[0,0,1] op_sel_hi:[1,0,0]
	v_mov_b32_e32 v11, v5
	v_pk_mul_f32 v[4:5], v[6:7], v[2:3] op_sel:[0,1]
	s_delay_alu instid0(VALU_DEP_1) | instskip(SKIP_1) | instid1(VALU_DEP_1)
	v_pk_fma_f32 v[8:9], v[6:7], v[0:1], v[4:5] op_sel:[0,0,1] op_sel_hi:[1,1,0] neg_lo:[0,0,1] neg_hi:[0,0,1]
	v_pk_fma_f32 v[4:5], v[6:7], v[0:1], v[4:5] op_sel:[0,0,1] op_sel_hi:[1,0,0]
	v_mov_b32_e32 v9, v5
	ds_load_2addr_b64 v[4:7], v134 offset0:41 offset1:42
	v_pk_add_f32 v[156:157], v[156:157], v[10:11] neg_lo:[0,1] neg_hi:[0,1]
	v_pk_add_f32 v[184:185], v[184:185], v[8:9] neg_lo:[0,1] neg_hi:[0,1]
	s_wait_dscnt 0x0
	v_dual_mul_f32 v8, v5, v3 :: v_dual_mul_f32 v10, v5, v0
	s_delay_alu instid0(VALU_DEP_1) | instskip(NEXT) | instid1(VALU_DEP_2)
	v_pk_fma_f32 v[8:9], v[4:5], v[46:47], v[8:9] op_sel_hi:[1,1,0] neg_lo:[0,0,1] neg_hi:[0,0,1]
	v_pk_fma_f32 v[4:5], v[4:5], v[46:47], v[10:11] op_sel:[1,0,0] op_sel_hi:[0,1,0]
	s_delay_alu instid0(VALU_DEP_1) | instskip(SKIP_1) | instid1(VALU_DEP_2)
	v_mov_b32_e32 v9, v5
	v_pk_mul_f32 v[4:5], v[6:7], v[2:3] op_sel:[0,1]
	v_pk_add_f32 v[180:181], v[180:181], v[8:9] neg_lo:[0,1] neg_hi:[0,1]
	s_delay_alu instid0(VALU_DEP_2) | instskip(SKIP_1) | instid1(VALU_DEP_1)
	v_pk_fma_f32 v[8:9], v[6:7], v[0:1], v[4:5] op_sel:[0,0,1] op_sel_hi:[1,1,0] neg_lo:[0,0,1] neg_hi:[0,0,1]
	v_pk_fma_f32 v[4:5], v[6:7], v[0:1], v[4:5] op_sel:[0,0,1] op_sel_hi:[1,0,0]
	v_mov_b32_e32 v9, v5
	ds_load_2addr_b64 v[4:7], v134 offset0:43 offset1:44
	v_pk_add_f32 v[182:183], v[182:183], v[8:9] neg_lo:[0,1] neg_hi:[0,1]
	s_wait_dscnt 0x0
	v_pk_mul_f32 v[8:9], v[4:5], v[2:3] op_sel:[0,1]
	s_delay_alu instid0(VALU_DEP_1) | instskip(SKIP_1) | instid1(VALU_DEP_1)
	v_pk_fma_f32 v[10:11], v[4:5], v[0:1], v[8:9] op_sel:[0,0,1] op_sel_hi:[1,1,0] neg_lo:[0,0,1] neg_hi:[0,0,1]
	v_pk_fma_f32 v[4:5], v[4:5], v[0:1], v[8:9] op_sel:[0,0,1] op_sel_hi:[1,0,0]
	v_mov_b32_e32 v11, v5
	v_pk_mul_f32 v[4:5], v[6:7], v[2:3] op_sel:[0,1]
	s_delay_alu instid0(VALU_DEP_2) | instskip(NEXT) | instid1(VALU_DEP_2)
	v_pk_add_f32 v[178:179], v[178:179], v[10:11] neg_lo:[0,1] neg_hi:[0,1]
	v_pk_fma_f32 v[8:9], v[6:7], v[0:1], v[4:5] op_sel:[0,0,1] op_sel_hi:[1,1,0] neg_lo:[0,0,1] neg_hi:[0,0,1]
	v_pk_fma_f32 v[4:5], v[6:7], v[0:1], v[4:5] op_sel:[0,0,1] op_sel_hi:[1,0,0]
	s_delay_alu instid0(VALU_DEP_1) | instskip(SKIP_4) | instid1(VALU_DEP_1)
	v_mov_b32_e32 v9, v5
	ds_load_2addr_b64 v[4:7], v134 offset0:45 offset1:46
	v_pk_add_f32 v[208:209], v[208:209], v[8:9] neg_lo:[0,1] neg_hi:[0,1]
	s_wait_dscnt 0x0
	v_pk_mul_f32 v[8:9], v[4:5], v[2:3] op_sel:[0,1]
	v_pk_fma_f32 v[10:11], v[4:5], v[0:1], v[8:9] op_sel:[0,0,1] op_sel_hi:[1,1,0] neg_lo:[0,0,1] neg_hi:[0,0,1]
	v_pk_fma_f32 v[4:5], v[4:5], v[0:1], v[8:9] op_sel:[0,0,1] op_sel_hi:[1,0,0]
	v_dual_mul_f32 v8, v7, v3 :: v_dual_mov_b32 v4, v7
	s_delay_alu instid0(VALU_DEP_2) | instskip(NEXT) | instid1(VALU_DEP_2)
	v_dual_mov_b32 v11, v5 :: v_dual_mov_b32 v5, v6
	v_pk_fma_f32 v[8:9], v[6:7], v[46:47], v[8:9] op_sel_hi:[1,1,0] neg_lo:[0,0,1] neg_hi:[0,0,1]
	v_mul_f32_e32 v6, v7, v0
	s_delay_alu instid0(VALU_DEP_3) | instskip(NEXT) | instid1(VALU_DEP_2)
	v_pk_add_f32 v[200:201], v[200:201], v[10:11] neg_lo:[0,1] neg_hi:[0,1]
	v_pk_fma_f32 v[4:5], v[4:5], v[46:47], v[6:7] op_sel_hi:[1,1,0]
	s_delay_alu instid0(VALU_DEP_1) | instskip(SKIP_4) | instid1(VALU_DEP_1)
	v_mov_b32_e32 v9, v5
	ds_load_2addr_b64 v[4:7], v134 offset0:47 offset1:48
	v_pk_add_f32 v[206:207], v[206:207], v[8:9] neg_lo:[0,1] neg_hi:[0,1]
	s_wait_dscnt 0x0
	v_pk_mul_f32 v[8:9], v[4:5], v[2:3] op_sel:[0,1]
	v_pk_fma_f32 v[10:11], v[4:5], v[0:1], v[8:9] op_sel:[0,0,1] op_sel_hi:[1,1,0] neg_lo:[0,0,1] neg_hi:[0,0,1]
	v_pk_fma_f32 v[4:5], v[4:5], v[0:1], v[8:9] op_sel:[0,0,1] op_sel_hi:[1,0,0]
	s_delay_alu instid0(VALU_DEP_1) | instskip(SKIP_1) | instid1(VALU_DEP_1)
	v_mov_b32_e32 v11, v5
	v_pk_mul_f32 v[4:5], v[6:7], v[2:3] op_sel:[0,1]
	v_pk_fma_f32 v[8:9], v[6:7], v[0:1], v[4:5] op_sel:[0,0,1] op_sel_hi:[1,1,0] neg_lo:[0,0,1] neg_hi:[0,0,1]
	v_pk_fma_f32 v[4:5], v[6:7], v[0:1], v[4:5] op_sel:[0,0,1] op_sel_hi:[1,0,0]
	s_delay_alu instid0(VALU_DEP_1)
	v_mov_b32_e32 v9, v5
	ds_load_2addr_b64 v[4:7], v134 offset0:49 offset1:50
	v_pk_add_f32 v[198:199], v[198:199], v[10:11] neg_lo:[0,1] neg_hi:[0,1]
	v_pk_add_f32 v[204:205], v[204:205], v[8:9] neg_lo:[0,1] neg_hi:[0,1]
	s_wait_dscnt 0x0
	v_pk_mul_f32 v[8:9], v[4:5], v[2:3] op_sel:[0,1]
	s_delay_alu instid0(VALU_DEP_1) | instskip(SKIP_1) | instid1(VALU_DEP_1)
	v_pk_fma_f32 v[10:11], v[4:5], v[0:1], v[8:9] op_sel:[0,0,1] op_sel_hi:[1,1,0] neg_lo:[0,0,1] neg_hi:[0,0,1]
	v_pk_fma_f32 v[4:5], v[4:5], v[0:1], v[8:9] op_sel:[0,0,1] op_sel_hi:[1,0,0]
	v_mov_b32_e32 v11, v5
	v_pk_mul_f32 v[4:5], v[6:7], v[2:3] op_sel:[0,1]
	s_delay_alu instid0(VALU_DEP_1) | instskip(SKIP_1) | instid1(VALU_DEP_1)
	v_pk_fma_f32 v[8:9], v[6:7], v[0:1], v[4:5] op_sel:[0,0,1] op_sel_hi:[1,1,0] neg_lo:[0,0,1] neg_hi:[0,0,1]
	v_pk_fma_f32 v[4:5], v[6:7], v[0:1], v[4:5] op_sel:[0,0,1] op_sel_hi:[1,0,0]
	v_mov_b32_e32 v9, v5
	ds_load_2addr_b64 v[4:7], v134 offset0:51 offset1:52
	v_pk_add_f32 v[196:197], v[196:197], v[10:11] neg_lo:[0,1] neg_hi:[0,1]
	v_pk_add_f32 v[202:203], v[202:203], v[8:9] neg_lo:[0,1] neg_hi:[0,1]
	s_wait_dscnt 0x0
	v_dual_mul_f32 v8, v5, v3 :: v_dual_mul_f32 v10, v5, v0
	v_pk_mul_f32 v[2:3], v[6:7], v[2:3] op_sel:[0,1]
	s_delay_alu instid0(VALU_DEP_2) | instskip(NEXT) | instid1(VALU_DEP_3)
	v_pk_fma_f32 v[8:9], v[4:5], v[46:47], v[8:9] op_sel_hi:[1,1,0] neg_lo:[0,0,1] neg_hi:[0,0,1]
	v_pk_fma_f32 v[4:5], v[4:5], v[46:47], v[10:11] op_sel:[1,0,0] op_sel_hi:[0,1,0]
	s_delay_alu instid0(VALU_DEP_1) | instskip(NEXT) | instid1(VALU_DEP_4)
	v_mov_b32_e32 v9, v5
	v_pk_fma_f32 v[4:5], v[6:7], v[0:1], v[2:3] op_sel:[0,0,1] op_sel_hi:[1,1,0] neg_lo:[0,0,1] neg_hi:[0,0,1]
	v_pk_fma_f32 v[0:1], v[6:7], v[0:1], v[2:3] op_sel:[0,0,1] op_sel_hi:[1,0,0]
	s_delay_alu instid0(VALU_DEP_1) | instskip(NEXT) | instid1(VALU_DEP_4)
	v_mov_b32_e32 v5, v1
	v_pk_add_f32 v[210:211], v[210:211], v[8:9] neg_lo:[0,1] neg_hi:[0,1]
	s_delay_alu instid0(VALU_DEP_2)
	v_pk_add_f32 v[212:213], v[212:213], v[4:5] neg_lo:[0,1] neg_hi:[0,1]
.LBB105_28:
	s_wait_xcnt 0x0
	s_or_b32 exec_lo, exec_lo, s1
	s_delay_alu instid0(SALU_CYCLE_1)
	s_mov_b32 s2, exec_lo
	s_wait_storecnt 0x0
	s_barrier_signal -1
	s_barrier_wait -1
	v_cmpx_eq_u32_e32 3, v132
	s_cbranch_execz .LBB105_35
; %bb.29:
	v_dual_mov_b32 v0, v26 :: v_dual_mov_b32 v1, v27
	v_dual_mov_b32 v2, v22 :: v_dual_mov_b32 v3, v23
	;; [unrolled: 1-line block ×10, first 2 shown]
	ds_store_b64 v133, v[44:45]
	v_dual_mov_b32 v30, v62 :: v_dual_mov_b32 v31, v63
	v_dual_mov_b32 v32, v58 :: v_dual_mov_b32 v33, v59
	ds_store_2addr_b64 v134, v[0:1], v[2:3] offset0:4 offset1:5
	ds_store_2addr_b64 v134, v[4:5], v[6:7] offset0:6 offset1:7
	ds_store_2addr_b64 v134, v[8:9], v[10:11] offset0:8 offset1:9
	ds_store_2addr_b64 v134, v[12:13], v[14:15] offset0:10 offset1:11
	ds_store_2addr_b64 v134, v[18:19], v[28:29] offset0:12 offset1:13
	ds_store_2addr_b64 v134, v[30:31], v[32:33] offset0:14 offset1:15
	v_dual_mov_b32 v0, v80 :: v_dual_mov_b32 v1, v81
	v_dual_mov_b32 v2, v76 :: v_dual_mov_b32 v3, v77
	v_dual_mov_b32 v4, v78 :: v_dual_mov_b32 v5, v79
	v_dual_mov_b32 v6, v74 :: v_dual_mov_b32 v7, v75
	v_dual_mov_b32 v8, v96 :: v_dual_mov_b32 v9, v97
	v_dual_mov_b32 v10, v92 :: v_dual_mov_b32 v11, v93
	v_dual_mov_b32 v12, v94 :: v_dual_mov_b32 v13, v95
	v_dual_mov_b32 v14, v90 :: v_dual_mov_b32 v15, v91
	v_dual_mov_b32 v18, v112 :: v_dual_mov_b32 v19, v113
	v_dual_mov_b32 v28, v108 :: v_dual_mov_b32 v29, v109
	v_dual_mov_b32 v30, v110 :: v_dual_mov_b32 v31, v111
	v_dual_mov_b32 v32, v106 :: v_dual_mov_b32 v33, v107
	ds_store_2addr_b64 v134, v[0:1], v[2:3] offset0:16 offset1:17
	ds_store_2addr_b64 v134, v[4:5], v[6:7] offset0:18 offset1:19
	ds_store_2addr_b64 v134, v[8:9], v[10:11] offset0:20 offset1:21
	ds_store_2addr_b64 v134, v[12:13], v[14:15] offset0:22 offset1:23
	ds_store_2addr_b64 v134, v[18:19], v[28:29] offset0:24 offset1:25
	ds_store_2addr_b64 v134, v[30:31], v[32:33] offset0:26 offset1:27
	v_dual_mov_b32 v0, v130 :: v_dual_mov_b32 v1, v131
	v_dual_mov_b32 v2, v126 :: v_dual_mov_b32 v3, v127
	v_dual_mov_b32 v4, v128 :: v_dual_mov_b32 v5, v129
	v_dual_mov_b32 v6, v124 :: v_dual_mov_b32 v7, v125
	v_dual_mov_b32 v8, v146 :: v_dual_mov_b32 v9, v147
	v_dual_mov_b32 v10, v142 :: v_dual_mov_b32 v11, v143
	v_dual_mov_b32 v12, v144 :: v_dual_mov_b32 v13, v145
	v_dual_mov_b32 v14, v140 :: v_dual_mov_b32 v15, v141
	v_dual_mov_b32 v18, v162 :: v_dual_mov_b32 v19, v163
	v_dual_mov_b32 v28, v158 :: v_dual_mov_b32 v29, v159
	;; [unrolled: 18-line block ×3, first 2 shown]
	v_dual_mov_b32 v30, v202 :: v_dual_mov_b32 v31, v203
	v_dual_mov_b32 v32, v210 :: v_dual_mov_b32 v33, v211
	ds_store_2addr_b64 v134, v[0:1], v[2:3] offset0:40 offset1:41
	ds_store_2addr_b64 v134, v[4:5], v[6:7] offset0:42 offset1:43
	;; [unrolled: 1-line block ×6, first 2 shown]
	ds_store_b64 v134, v[212:213] offset:416
	ds_load_b64 v[0:1], v133
	s_wait_dscnt 0x0
	v_cmp_neq_f32_e32 vcc_lo, 0, v0
	v_cmp_neq_f32_e64 s1, 0, v1
	s_or_b32 s1, vcc_lo, s1
	s_delay_alu instid0(SALU_CYCLE_1)
	s_and_b32 exec_lo, exec_lo, s1
	s_cbranch_execz .LBB105_35
; %bb.30:
	v_cmp_ngt_f32_e64 s1, |v0|, |v1|
                                        ; implicit-def: $vgpr2_vgpr3
	s_and_saveexec_b32 s4, s1
	s_delay_alu instid0(SALU_CYCLE_1)
	s_xor_b32 s1, exec_lo, s4
	s_cbranch_execz .LBB105_32
; %bb.31:
	v_div_scale_f32 v2, null, v1, v1, v0
	v_div_scale_f32 v5, vcc_lo, v0, v1, v0
	s_delay_alu instid0(VALU_DEP_2) | instskip(SKIP_1) | instid1(TRANS32_DEP_1)
	v_rcp_f32_e32 v3, v2
	v_nop
	v_fma_f32 v4, -v2, v3, 1.0
	s_delay_alu instid0(VALU_DEP_1) | instskip(NEXT) | instid1(VALU_DEP_1)
	v_fmac_f32_e32 v3, v4, v3
	v_mul_f32_e32 v4, v5, v3
	s_delay_alu instid0(VALU_DEP_1) | instskip(NEXT) | instid1(VALU_DEP_1)
	v_fma_f32 v6, -v2, v4, v5
	v_fmac_f32_e32 v4, v6, v3
	s_delay_alu instid0(VALU_DEP_1) | instskip(NEXT) | instid1(VALU_DEP_1)
	v_fma_f32 v2, -v2, v4, v5
	v_div_fmas_f32 v2, v2, v3, v4
	s_delay_alu instid0(VALU_DEP_1) | instskip(NEXT) | instid1(VALU_DEP_1)
	v_div_fixup_f32 v2, v2, v1, v0
	v_fmac_f32_e32 v1, v0, v2
	s_delay_alu instid0(VALU_DEP_1) | instskip(SKIP_1) | instid1(VALU_DEP_2)
	v_div_scale_f32 v0, null, v1, v1, 1.0
	v_div_scale_f32 v5, vcc_lo, 1.0, v1, 1.0
	v_rcp_f32_e32 v3, v0
	v_nop
	s_delay_alu instid0(TRANS32_DEP_1) | instskip(NEXT) | instid1(VALU_DEP_1)
	v_fma_f32 v4, -v0, v3, 1.0
	v_fmac_f32_e32 v3, v4, v3
	s_delay_alu instid0(VALU_DEP_1) | instskip(NEXT) | instid1(VALU_DEP_1)
	v_mul_f32_e32 v4, v5, v3
	v_fma_f32 v6, -v0, v4, v5
	s_delay_alu instid0(VALU_DEP_1) | instskip(NEXT) | instid1(VALU_DEP_1)
	v_fmac_f32_e32 v4, v6, v3
	v_fma_f32 v0, -v0, v4, v5
	s_delay_alu instid0(VALU_DEP_1) | instskip(NEXT) | instid1(VALU_DEP_1)
	v_div_fmas_f32 v0, v0, v3, v4
	v_div_fixup_f32 v0, v0, v1, 1.0
	s_delay_alu instid0(VALU_DEP_1)
	v_mul_f32_e32 v2, v2, v0
	v_xor_b32_e32 v3, 0x80000000, v0
                                        ; implicit-def: $vgpr0_vgpr1
.LBB105_32:
	s_and_not1_saveexec_b32 s1, s1
	s_cbranch_execz .LBB105_34
; %bb.33:
	v_div_scale_f32 v2, null, v0, v0, v1
	v_div_scale_f32 v5, vcc_lo, v1, v0, v1
	s_delay_alu instid0(VALU_DEP_2) | instskip(SKIP_1) | instid1(TRANS32_DEP_1)
	v_rcp_f32_e32 v3, v2
	v_nop
	v_fma_f32 v4, -v2, v3, 1.0
	s_delay_alu instid0(VALU_DEP_1) | instskip(NEXT) | instid1(VALU_DEP_1)
	v_fmac_f32_e32 v3, v4, v3
	v_mul_f32_e32 v4, v5, v3
	s_delay_alu instid0(VALU_DEP_1) | instskip(NEXT) | instid1(VALU_DEP_1)
	v_fma_f32 v6, -v2, v4, v5
	v_fmac_f32_e32 v4, v6, v3
	s_delay_alu instid0(VALU_DEP_1) | instskip(NEXT) | instid1(VALU_DEP_1)
	v_fma_f32 v2, -v2, v4, v5
	v_div_fmas_f32 v2, v2, v3, v4
	s_delay_alu instid0(VALU_DEP_1) | instskip(NEXT) | instid1(VALU_DEP_1)
	v_div_fixup_f32 v3, v2, v0, v1
	v_fmac_f32_e32 v0, v1, v3
	s_delay_alu instid0(VALU_DEP_1) | instskip(NEXT) | instid1(VALU_DEP_1)
	v_div_scale_f32 v1, null, v0, v0, 1.0
	v_rcp_f32_e32 v2, v1
	v_nop
	s_delay_alu instid0(TRANS32_DEP_1) | instskip(NEXT) | instid1(VALU_DEP_1)
	v_fma_f32 v4, -v1, v2, 1.0
	v_fmac_f32_e32 v2, v4, v2
	v_div_scale_f32 v4, vcc_lo, 1.0, v0, 1.0
	s_delay_alu instid0(VALU_DEP_1) | instskip(NEXT) | instid1(VALU_DEP_1)
	v_mul_f32_e32 v5, v4, v2
	v_fma_f32 v6, -v1, v5, v4
	s_delay_alu instid0(VALU_DEP_1) | instskip(NEXT) | instid1(VALU_DEP_1)
	v_fmac_f32_e32 v5, v6, v2
	v_fma_f32 v1, -v1, v5, v4
	s_delay_alu instid0(VALU_DEP_1) | instskip(NEXT) | instid1(VALU_DEP_1)
	v_div_fmas_f32 v1, v1, v2, v5
	v_div_fixup_f32 v2, v1, v0, 1.0
	s_delay_alu instid0(VALU_DEP_1)
	v_mul_f32_e64 v3, v3, -v2
.LBB105_34:
	s_or_b32 exec_lo, exec_lo, s1
	ds_store_b64 v133, v[2:3]
.LBB105_35:
	s_or_b32 exec_lo, exec_lo, s2
	s_wait_dscnt 0x0
	s_barrier_signal -1
	s_barrier_wait -1
	ds_load_b64 v[0:1], v133
	s_mov_b32 s1, exec_lo
	s_wait_dscnt 0x0
	scratch_store_b64 off, v[0:1], off offset:152 ; 8-byte Folded Spill
	s_wait_xcnt 0x0
	v_cmpx_lt_u32_e32 3, v132
	s_cbranch_execz .LBB105_37
; %bb.36:
	scratch_load_b64 v[4:5], off, off offset:152 ; 8-byte Folded Reload
	s_wait_loadcnt 0x0
	v_pk_mul_f32 v[2:3], v[4:5], v[44:45] op_sel:[1,1] op_sel_hi:[0,1]
	s_delay_alu instid0(VALU_DEP_1)
	v_pk_fma_f32 v[0:1], v[4:5], v[44:45], v[2:3] op_sel_hi:[1,0,1] neg_lo:[0,0,1] neg_hi:[0,0,1]
	v_pk_fma_f32 v[2:3], v[4:5], v[44:45], v[2:3] op_sel_hi:[1,0,1]
	ds_load_2addr_b64 v[4:7], v134 offset0:4 offset1:5
	v_dual_mov_b32 v44, v0 :: v_dual_mov_b32 v45, v3
	s_wait_dscnt 0x0
	v_pk_mul_f32 v[8:9], v[4:5], v[2:3] op_sel:[0,1]
	s_delay_alu instid0(VALU_DEP_1) | instskip(SKIP_1) | instid1(VALU_DEP_1)
	v_pk_fma_f32 v[10:11], v[4:5], v[0:1], v[8:9] op_sel:[0,0,1] op_sel_hi:[1,1,0] neg_lo:[0,0,1] neg_hi:[0,0,1]
	v_pk_fma_f32 v[4:5], v[4:5], v[0:1], v[8:9] op_sel:[0,0,1] op_sel_hi:[1,0,0]
	v_mov_b32_e32 v11, v5
	v_pk_mul_f32 v[4:5], v[6:7], v[2:3] op_sel:[0,1]
	s_delay_alu instid0(VALU_DEP_1) | instskip(SKIP_1) | instid1(VALU_DEP_1)
	v_pk_fma_f32 v[8:9], v[6:7], v[0:1], v[4:5] op_sel:[0,0,1] op_sel_hi:[1,1,0] neg_lo:[0,0,1] neg_hi:[0,0,1]
	v_pk_fma_f32 v[4:5], v[6:7], v[0:1], v[4:5] op_sel:[0,0,1] op_sel_hi:[1,0,0]
	v_mov_b32_e32 v9, v5
	ds_load_2addr_b64 v[4:7], v134 offset0:6 offset1:7
	v_pk_add_f32 v[26:27], v[26:27], v[10:11] neg_lo:[0,1] neg_hi:[0,1]
	v_pk_add_f32 v[22:23], v[22:23], v[8:9] neg_lo:[0,1] neg_hi:[0,1]
	s_wait_dscnt 0x0
	v_pk_mul_f32 v[8:9], v[4:5], v[2:3] op_sel:[0,1]
	s_delay_alu instid0(VALU_DEP_1) | instskip(SKIP_2) | instid1(VALU_DEP_2)
	v_pk_fma_f32 v[10:11], v[4:5], v[0:1], v[8:9] op_sel:[0,0,1] op_sel_hi:[1,1,0] neg_lo:[0,0,1] neg_hi:[0,0,1]
	v_pk_fma_f32 v[4:5], v[4:5], v[0:1], v[8:9] op_sel:[0,0,1] op_sel_hi:[1,0,0]
	v_dual_mul_f32 v8, v7, v3 :: v_dual_mov_b32 v4, v7
	v_dual_mov_b32 v11, v5 :: v_dual_mov_b32 v5, v6
	s_delay_alu instid0(VALU_DEP_2) | instskip(SKIP_1) | instid1(VALU_DEP_3)
	v_pk_fma_f32 v[8:9], v[6:7], v[44:45], v[8:9] op_sel_hi:[1,1,0] neg_lo:[0,0,1] neg_hi:[0,0,1]
	v_mul_f32_e32 v6, v7, v0
	v_pk_add_f32 v[24:25], v[24:25], v[10:11] neg_lo:[0,1] neg_hi:[0,1]
	s_delay_alu instid0(VALU_DEP_2) | instskip(NEXT) | instid1(VALU_DEP_1)
	v_pk_fma_f32 v[4:5], v[4:5], v[44:45], v[6:7] op_sel_hi:[1,1,0]
	v_mov_b32_e32 v9, v5
	ds_load_2addr_b64 v[4:7], v134 offset0:8 offset1:9
	v_pk_add_f32 v[20:21], v[20:21], v[8:9] neg_lo:[0,1] neg_hi:[0,1]
	s_wait_dscnt 0x0
	v_pk_mul_f32 v[8:9], v[4:5], v[2:3] op_sel:[0,1]
	s_delay_alu instid0(VALU_DEP_1) | instskip(SKIP_1) | instid1(VALU_DEP_1)
	v_pk_fma_f32 v[10:11], v[4:5], v[0:1], v[8:9] op_sel:[0,0,1] op_sel_hi:[1,1,0] neg_lo:[0,0,1] neg_hi:[0,0,1]
	v_pk_fma_f32 v[4:5], v[4:5], v[0:1], v[8:9] op_sel:[0,0,1] op_sel_hi:[1,0,0]
	v_mov_b32_e32 v11, v5
	v_pk_mul_f32 v[4:5], v[6:7], v[2:3] op_sel:[0,1]
	s_delay_alu instid0(VALU_DEP_1) | instskip(SKIP_1) | instid1(VALU_DEP_1)
	v_pk_fma_f32 v[8:9], v[6:7], v[0:1], v[4:5] op_sel:[0,0,1] op_sel_hi:[1,1,0] neg_lo:[0,0,1] neg_hi:[0,0,1]
	v_pk_fma_f32 v[4:5], v[6:7], v[0:1], v[4:5] op_sel:[0,0,1] op_sel_hi:[1,0,0]
	v_mov_b32_e32 v9, v5
	ds_load_2addr_b64 v[4:7], v134 offset0:10 offset1:11
	v_pk_add_f32 v[40:41], v[40:41], v[10:11] neg_lo:[0,1] neg_hi:[0,1]
	v_pk_add_f32 v[36:37], v[36:37], v[8:9] neg_lo:[0,1] neg_hi:[0,1]
	s_wait_dscnt 0x0
	v_pk_mul_f32 v[8:9], v[4:5], v[2:3] op_sel:[0,1]
	s_delay_alu instid0(VALU_DEP_1) | instskip(SKIP_1) | instid1(VALU_DEP_1)
	v_pk_fma_f32 v[10:11], v[4:5], v[0:1], v[8:9] op_sel:[0,0,1] op_sel_hi:[1,1,0] neg_lo:[0,0,1] neg_hi:[0,0,1]
	v_pk_fma_f32 v[4:5], v[4:5], v[0:1], v[8:9] op_sel:[0,0,1] op_sel_hi:[1,0,0]
	v_mov_b32_e32 v11, v5
	v_pk_mul_f32 v[4:5], v[6:7], v[2:3] op_sel:[0,1]
	s_delay_alu instid0(VALU_DEP_1) | instskip(SKIP_1) | instid1(VALU_DEP_1)
	v_pk_fma_f32 v[8:9], v[6:7], v[0:1], v[4:5] op_sel:[0,0,1] op_sel_hi:[1,1,0] neg_lo:[0,0,1] neg_hi:[0,0,1]
	v_pk_fma_f32 v[4:5], v[6:7], v[0:1], v[4:5] op_sel:[0,0,1] op_sel_hi:[1,0,0]
	v_mov_b32_e32 v9, v5
	ds_load_2addr_b64 v[4:7], v134 offset0:12 offset1:13
	v_pk_add_f32 v[38:39], v[38:39], v[10:11] neg_lo:[0,1] neg_hi:[0,1]
	v_pk_add_f32 v[34:35], v[34:35], v[8:9] neg_lo:[0,1] neg_hi:[0,1]
	s_wait_dscnt 0x0
	v_dual_mul_f32 v8, v5, v3 :: v_dual_mul_f32 v10, v5, v0
	s_delay_alu instid0(VALU_DEP_1) | instskip(NEXT) | instid1(VALU_DEP_2)
	v_pk_fma_f32 v[8:9], v[4:5], v[44:45], v[8:9] op_sel_hi:[1,1,0] neg_lo:[0,0,1] neg_hi:[0,0,1]
	v_pk_fma_f32 v[4:5], v[4:5], v[44:45], v[10:11] op_sel:[1,0,0] op_sel_hi:[0,1,0]
	s_delay_alu instid0(VALU_DEP_1) | instskip(SKIP_1) | instid1(VALU_DEP_2)
	v_mov_b32_e32 v9, v5
	v_pk_mul_f32 v[4:5], v[6:7], v[2:3] op_sel:[0,1]
	v_pk_add_f32 v[64:65], v[64:65], v[8:9] neg_lo:[0,1] neg_hi:[0,1]
	s_delay_alu instid0(VALU_DEP_2) | instskip(SKIP_1) | instid1(VALU_DEP_1)
	v_pk_fma_f32 v[8:9], v[6:7], v[0:1], v[4:5] op_sel:[0,0,1] op_sel_hi:[1,1,0] neg_lo:[0,0,1] neg_hi:[0,0,1]
	v_pk_fma_f32 v[4:5], v[6:7], v[0:1], v[4:5] op_sel:[0,0,1] op_sel_hi:[1,0,0]
	v_mov_b32_e32 v9, v5
	ds_load_2addr_b64 v[4:7], v134 offset0:14 offset1:15
	v_pk_add_f32 v[60:61], v[60:61], v[8:9] neg_lo:[0,1] neg_hi:[0,1]
	s_wait_dscnt 0x0
	v_pk_mul_f32 v[8:9], v[4:5], v[2:3] op_sel:[0,1]
	s_delay_alu instid0(VALU_DEP_1) | instskip(SKIP_1) | instid1(VALU_DEP_1)
	v_pk_fma_f32 v[10:11], v[4:5], v[0:1], v[8:9] op_sel:[0,0,1] op_sel_hi:[1,1,0] neg_lo:[0,0,1] neg_hi:[0,0,1]
	v_pk_fma_f32 v[4:5], v[4:5], v[0:1], v[8:9] op_sel:[0,0,1] op_sel_hi:[1,0,0]
	v_mov_b32_e32 v11, v5
	v_pk_mul_f32 v[4:5], v[6:7], v[2:3] op_sel:[0,1]
	s_delay_alu instid0(VALU_DEP_2) | instskip(NEXT) | instid1(VALU_DEP_2)
	v_pk_add_f32 v[62:63], v[62:63], v[10:11] neg_lo:[0,1] neg_hi:[0,1]
	v_pk_fma_f32 v[8:9], v[6:7], v[0:1], v[4:5] op_sel:[0,0,1] op_sel_hi:[1,1,0] neg_lo:[0,0,1] neg_hi:[0,0,1]
	v_pk_fma_f32 v[4:5], v[6:7], v[0:1], v[4:5] op_sel:[0,0,1] op_sel_hi:[1,0,0]
	s_delay_alu instid0(VALU_DEP_1) | instskip(SKIP_4) | instid1(VALU_DEP_1)
	v_mov_b32_e32 v9, v5
	ds_load_2addr_b64 v[4:7], v134 offset0:16 offset1:17
	v_pk_add_f32 v[58:59], v[58:59], v[8:9] neg_lo:[0,1] neg_hi:[0,1]
	s_wait_dscnt 0x0
	v_pk_mul_f32 v[8:9], v[4:5], v[2:3] op_sel:[0,1]
	v_pk_fma_f32 v[10:11], v[4:5], v[0:1], v[8:9] op_sel:[0,0,1] op_sel_hi:[1,1,0] neg_lo:[0,0,1] neg_hi:[0,0,1]
	v_pk_fma_f32 v[4:5], v[4:5], v[0:1], v[8:9] op_sel:[0,0,1] op_sel_hi:[1,0,0]
	v_dual_mul_f32 v8, v7, v3 :: v_dual_mov_b32 v4, v7
	s_delay_alu instid0(VALU_DEP_2) | instskip(NEXT) | instid1(VALU_DEP_2)
	v_dual_mov_b32 v11, v5 :: v_dual_mov_b32 v5, v6
	v_pk_fma_f32 v[8:9], v[6:7], v[44:45], v[8:9] op_sel_hi:[1,1,0] neg_lo:[0,0,1] neg_hi:[0,0,1]
	v_mul_f32_e32 v6, v7, v0
	s_delay_alu instid0(VALU_DEP_3) | instskip(NEXT) | instid1(VALU_DEP_2)
	v_pk_add_f32 v[80:81], v[80:81], v[10:11] neg_lo:[0,1] neg_hi:[0,1]
	v_pk_fma_f32 v[4:5], v[4:5], v[44:45], v[6:7] op_sel_hi:[1,1,0]
	s_delay_alu instid0(VALU_DEP_1) | instskip(SKIP_4) | instid1(VALU_DEP_1)
	v_mov_b32_e32 v9, v5
	ds_load_2addr_b64 v[4:7], v134 offset0:18 offset1:19
	v_pk_add_f32 v[76:77], v[76:77], v[8:9] neg_lo:[0,1] neg_hi:[0,1]
	s_wait_dscnt 0x0
	v_pk_mul_f32 v[8:9], v[4:5], v[2:3] op_sel:[0,1]
	v_pk_fma_f32 v[10:11], v[4:5], v[0:1], v[8:9] op_sel:[0,0,1] op_sel_hi:[1,1,0] neg_lo:[0,0,1] neg_hi:[0,0,1]
	v_pk_fma_f32 v[4:5], v[4:5], v[0:1], v[8:9] op_sel:[0,0,1] op_sel_hi:[1,0,0]
	s_delay_alu instid0(VALU_DEP_1) | instskip(SKIP_1) | instid1(VALU_DEP_1)
	v_mov_b32_e32 v11, v5
	v_pk_mul_f32 v[4:5], v[6:7], v[2:3] op_sel:[0,1]
	v_pk_fma_f32 v[8:9], v[6:7], v[0:1], v[4:5] op_sel:[0,0,1] op_sel_hi:[1,1,0] neg_lo:[0,0,1] neg_hi:[0,0,1]
	v_pk_fma_f32 v[4:5], v[6:7], v[0:1], v[4:5] op_sel:[0,0,1] op_sel_hi:[1,0,0]
	s_delay_alu instid0(VALU_DEP_1)
	v_mov_b32_e32 v9, v5
	ds_load_2addr_b64 v[4:7], v134 offset0:20 offset1:21
	v_pk_add_f32 v[78:79], v[78:79], v[10:11] neg_lo:[0,1] neg_hi:[0,1]
	v_pk_add_f32 v[74:75], v[74:75], v[8:9] neg_lo:[0,1] neg_hi:[0,1]
	s_wait_dscnt 0x0
	v_pk_mul_f32 v[8:9], v[4:5], v[2:3] op_sel:[0,1]
	s_delay_alu instid0(VALU_DEP_1) | instskip(SKIP_1) | instid1(VALU_DEP_1)
	v_pk_fma_f32 v[10:11], v[4:5], v[0:1], v[8:9] op_sel:[0,0,1] op_sel_hi:[1,1,0] neg_lo:[0,0,1] neg_hi:[0,0,1]
	v_pk_fma_f32 v[4:5], v[4:5], v[0:1], v[8:9] op_sel:[0,0,1] op_sel_hi:[1,0,0]
	v_mov_b32_e32 v11, v5
	v_pk_mul_f32 v[4:5], v[6:7], v[2:3] op_sel:[0,1]
	s_delay_alu instid0(VALU_DEP_1) | instskip(SKIP_1) | instid1(VALU_DEP_1)
	v_pk_fma_f32 v[8:9], v[6:7], v[0:1], v[4:5] op_sel:[0,0,1] op_sel_hi:[1,1,0] neg_lo:[0,0,1] neg_hi:[0,0,1]
	v_pk_fma_f32 v[4:5], v[6:7], v[0:1], v[4:5] op_sel:[0,0,1] op_sel_hi:[1,0,0]
	v_mov_b32_e32 v9, v5
	ds_load_2addr_b64 v[4:7], v134 offset0:22 offset1:23
	v_pk_add_f32 v[96:97], v[96:97], v[10:11] neg_lo:[0,1] neg_hi:[0,1]
	v_pk_add_f32 v[92:93], v[92:93], v[8:9] neg_lo:[0,1] neg_hi:[0,1]
	s_wait_dscnt 0x0
	v_dual_mul_f32 v8, v5, v3 :: v_dual_mul_f32 v10, v5, v0
	s_delay_alu instid0(VALU_DEP_1) | instskip(NEXT) | instid1(VALU_DEP_2)
	v_pk_fma_f32 v[8:9], v[4:5], v[44:45], v[8:9] op_sel_hi:[1,1,0] neg_lo:[0,0,1] neg_hi:[0,0,1]
	v_pk_fma_f32 v[4:5], v[4:5], v[44:45], v[10:11] op_sel:[1,0,0] op_sel_hi:[0,1,0]
	s_delay_alu instid0(VALU_DEP_1) | instskip(SKIP_1) | instid1(VALU_DEP_2)
	v_mov_b32_e32 v9, v5
	v_pk_mul_f32 v[4:5], v[6:7], v[2:3] op_sel:[0,1]
	v_pk_add_f32 v[94:95], v[94:95], v[8:9] neg_lo:[0,1] neg_hi:[0,1]
	s_delay_alu instid0(VALU_DEP_2) | instskip(SKIP_1) | instid1(VALU_DEP_1)
	v_pk_fma_f32 v[8:9], v[6:7], v[0:1], v[4:5] op_sel:[0,0,1] op_sel_hi:[1,1,0] neg_lo:[0,0,1] neg_hi:[0,0,1]
	v_pk_fma_f32 v[4:5], v[6:7], v[0:1], v[4:5] op_sel:[0,0,1] op_sel_hi:[1,0,0]
	v_mov_b32_e32 v9, v5
	ds_load_2addr_b64 v[4:7], v134 offset0:24 offset1:25
	v_pk_add_f32 v[90:91], v[90:91], v[8:9] neg_lo:[0,1] neg_hi:[0,1]
	s_wait_dscnt 0x0
	v_pk_mul_f32 v[8:9], v[4:5], v[2:3] op_sel:[0,1]
	s_delay_alu instid0(VALU_DEP_1) | instskip(SKIP_1) | instid1(VALU_DEP_1)
	v_pk_fma_f32 v[10:11], v[4:5], v[0:1], v[8:9] op_sel:[0,0,1] op_sel_hi:[1,1,0] neg_lo:[0,0,1] neg_hi:[0,0,1]
	v_pk_fma_f32 v[4:5], v[4:5], v[0:1], v[8:9] op_sel:[0,0,1] op_sel_hi:[1,0,0]
	v_mov_b32_e32 v11, v5
	v_pk_mul_f32 v[4:5], v[6:7], v[2:3] op_sel:[0,1]
	s_delay_alu instid0(VALU_DEP_2) | instskip(NEXT) | instid1(VALU_DEP_2)
	v_pk_add_f32 v[112:113], v[112:113], v[10:11] neg_lo:[0,1] neg_hi:[0,1]
	v_pk_fma_f32 v[8:9], v[6:7], v[0:1], v[4:5] op_sel:[0,0,1] op_sel_hi:[1,1,0] neg_lo:[0,0,1] neg_hi:[0,0,1]
	v_pk_fma_f32 v[4:5], v[6:7], v[0:1], v[4:5] op_sel:[0,0,1] op_sel_hi:[1,0,0]
	s_delay_alu instid0(VALU_DEP_1) | instskip(SKIP_4) | instid1(VALU_DEP_1)
	v_mov_b32_e32 v9, v5
	ds_load_2addr_b64 v[4:7], v134 offset0:26 offset1:27
	v_pk_add_f32 v[108:109], v[108:109], v[8:9] neg_lo:[0,1] neg_hi:[0,1]
	s_wait_dscnt 0x0
	v_pk_mul_f32 v[8:9], v[4:5], v[2:3] op_sel:[0,1]
	v_pk_fma_f32 v[10:11], v[4:5], v[0:1], v[8:9] op_sel:[0,0,1] op_sel_hi:[1,1,0] neg_lo:[0,0,1] neg_hi:[0,0,1]
	v_pk_fma_f32 v[4:5], v[4:5], v[0:1], v[8:9] op_sel:[0,0,1] op_sel_hi:[1,0,0]
	v_dual_mul_f32 v8, v7, v3 :: v_dual_mov_b32 v4, v7
	s_delay_alu instid0(VALU_DEP_2) | instskip(NEXT) | instid1(VALU_DEP_2)
	v_dual_mov_b32 v11, v5 :: v_dual_mov_b32 v5, v6
	v_pk_fma_f32 v[8:9], v[6:7], v[44:45], v[8:9] op_sel_hi:[1,1,0] neg_lo:[0,0,1] neg_hi:[0,0,1]
	v_mul_f32_e32 v6, v7, v0
	s_delay_alu instid0(VALU_DEP_3) | instskip(NEXT) | instid1(VALU_DEP_2)
	v_pk_add_f32 v[110:111], v[110:111], v[10:11] neg_lo:[0,1] neg_hi:[0,1]
	v_pk_fma_f32 v[4:5], v[4:5], v[44:45], v[6:7] op_sel_hi:[1,1,0]
	s_delay_alu instid0(VALU_DEP_1) | instskip(SKIP_4) | instid1(VALU_DEP_1)
	v_mov_b32_e32 v9, v5
	ds_load_2addr_b64 v[4:7], v134 offset0:28 offset1:29
	v_pk_add_f32 v[106:107], v[106:107], v[8:9] neg_lo:[0,1] neg_hi:[0,1]
	s_wait_dscnt 0x0
	v_pk_mul_f32 v[8:9], v[4:5], v[2:3] op_sel:[0,1]
	v_pk_fma_f32 v[10:11], v[4:5], v[0:1], v[8:9] op_sel:[0,0,1] op_sel_hi:[1,1,0] neg_lo:[0,0,1] neg_hi:[0,0,1]
	v_pk_fma_f32 v[4:5], v[4:5], v[0:1], v[8:9] op_sel:[0,0,1] op_sel_hi:[1,0,0]
	s_delay_alu instid0(VALU_DEP_1) | instskip(SKIP_1) | instid1(VALU_DEP_1)
	v_mov_b32_e32 v11, v5
	v_pk_mul_f32 v[4:5], v[6:7], v[2:3] op_sel:[0,1]
	v_pk_fma_f32 v[8:9], v[6:7], v[0:1], v[4:5] op_sel:[0,0,1] op_sel_hi:[1,1,0] neg_lo:[0,0,1] neg_hi:[0,0,1]
	v_pk_fma_f32 v[4:5], v[6:7], v[0:1], v[4:5] op_sel:[0,0,1] op_sel_hi:[1,0,0]
	s_delay_alu instid0(VALU_DEP_1)
	v_mov_b32_e32 v9, v5
	ds_load_2addr_b64 v[4:7], v134 offset0:30 offset1:31
	v_pk_add_f32 v[130:131], v[130:131], v[10:11] neg_lo:[0,1] neg_hi:[0,1]
	v_pk_add_f32 v[126:127], v[126:127], v[8:9] neg_lo:[0,1] neg_hi:[0,1]
	s_wait_dscnt 0x0
	v_pk_mul_f32 v[8:9], v[4:5], v[2:3] op_sel:[0,1]
	s_delay_alu instid0(VALU_DEP_1) | instskip(SKIP_1) | instid1(VALU_DEP_1)
	v_pk_fma_f32 v[10:11], v[4:5], v[0:1], v[8:9] op_sel:[0,0,1] op_sel_hi:[1,1,0] neg_lo:[0,0,1] neg_hi:[0,0,1]
	v_pk_fma_f32 v[4:5], v[4:5], v[0:1], v[8:9] op_sel:[0,0,1] op_sel_hi:[1,0,0]
	v_mov_b32_e32 v11, v5
	v_pk_mul_f32 v[4:5], v[6:7], v[2:3] op_sel:[0,1]
	s_delay_alu instid0(VALU_DEP_1) | instskip(SKIP_1) | instid1(VALU_DEP_1)
	v_pk_fma_f32 v[8:9], v[6:7], v[0:1], v[4:5] op_sel:[0,0,1] op_sel_hi:[1,1,0] neg_lo:[0,0,1] neg_hi:[0,0,1]
	v_pk_fma_f32 v[4:5], v[6:7], v[0:1], v[4:5] op_sel:[0,0,1] op_sel_hi:[1,0,0]
	v_mov_b32_e32 v9, v5
	ds_load_2addr_b64 v[4:7], v134 offset0:32 offset1:33
	v_pk_add_f32 v[128:129], v[128:129], v[10:11] neg_lo:[0,1] neg_hi:[0,1]
	v_pk_add_f32 v[124:125], v[124:125], v[8:9] neg_lo:[0,1] neg_hi:[0,1]
	s_wait_dscnt 0x0
	v_dual_mul_f32 v8, v5, v3 :: v_dual_mul_f32 v10, v5, v0
	s_delay_alu instid0(VALU_DEP_1) | instskip(NEXT) | instid1(VALU_DEP_2)
	v_pk_fma_f32 v[8:9], v[4:5], v[44:45], v[8:9] op_sel_hi:[1,1,0] neg_lo:[0,0,1] neg_hi:[0,0,1]
	v_pk_fma_f32 v[4:5], v[4:5], v[44:45], v[10:11] op_sel:[1,0,0] op_sel_hi:[0,1,0]
	s_delay_alu instid0(VALU_DEP_1) | instskip(SKIP_1) | instid1(VALU_DEP_2)
	v_mov_b32_e32 v9, v5
	v_pk_mul_f32 v[4:5], v[6:7], v[2:3] op_sel:[0,1]
	v_pk_add_f32 v[146:147], v[146:147], v[8:9] neg_lo:[0,1] neg_hi:[0,1]
	s_delay_alu instid0(VALU_DEP_2) | instskip(SKIP_1) | instid1(VALU_DEP_1)
	v_pk_fma_f32 v[8:9], v[6:7], v[0:1], v[4:5] op_sel:[0,0,1] op_sel_hi:[1,1,0] neg_lo:[0,0,1] neg_hi:[0,0,1]
	v_pk_fma_f32 v[4:5], v[6:7], v[0:1], v[4:5] op_sel:[0,0,1] op_sel_hi:[1,0,0]
	v_mov_b32_e32 v9, v5
	ds_load_2addr_b64 v[4:7], v134 offset0:34 offset1:35
	v_pk_add_f32 v[142:143], v[142:143], v[8:9] neg_lo:[0,1] neg_hi:[0,1]
	s_wait_dscnt 0x0
	v_pk_mul_f32 v[8:9], v[4:5], v[2:3] op_sel:[0,1]
	s_delay_alu instid0(VALU_DEP_1) | instskip(SKIP_1) | instid1(VALU_DEP_1)
	v_pk_fma_f32 v[10:11], v[4:5], v[0:1], v[8:9] op_sel:[0,0,1] op_sel_hi:[1,1,0] neg_lo:[0,0,1] neg_hi:[0,0,1]
	v_pk_fma_f32 v[4:5], v[4:5], v[0:1], v[8:9] op_sel:[0,0,1] op_sel_hi:[1,0,0]
	v_mov_b32_e32 v11, v5
	v_pk_mul_f32 v[4:5], v[6:7], v[2:3] op_sel:[0,1]
	s_delay_alu instid0(VALU_DEP_2) | instskip(NEXT) | instid1(VALU_DEP_2)
	v_pk_add_f32 v[144:145], v[144:145], v[10:11] neg_lo:[0,1] neg_hi:[0,1]
	v_pk_fma_f32 v[8:9], v[6:7], v[0:1], v[4:5] op_sel:[0,0,1] op_sel_hi:[1,1,0] neg_lo:[0,0,1] neg_hi:[0,0,1]
	v_pk_fma_f32 v[4:5], v[6:7], v[0:1], v[4:5] op_sel:[0,0,1] op_sel_hi:[1,0,0]
	s_delay_alu instid0(VALU_DEP_1) | instskip(SKIP_4) | instid1(VALU_DEP_1)
	v_mov_b32_e32 v9, v5
	ds_load_2addr_b64 v[4:7], v134 offset0:36 offset1:37
	v_pk_add_f32 v[140:141], v[140:141], v[8:9] neg_lo:[0,1] neg_hi:[0,1]
	s_wait_dscnt 0x0
	v_pk_mul_f32 v[8:9], v[4:5], v[2:3] op_sel:[0,1]
	v_pk_fma_f32 v[10:11], v[4:5], v[0:1], v[8:9] op_sel:[0,0,1] op_sel_hi:[1,1,0] neg_lo:[0,0,1] neg_hi:[0,0,1]
	v_pk_fma_f32 v[4:5], v[4:5], v[0:1], v[8:9] op_sel:[0,0,1] op_sel_hi:[1,0,0]
	v_dual_mul_f32 v8, v7, v3 :: v_dual_mov_b32 v4, v7
	s_delay_alu instid0(VALU_DEP_2) | instskip(NEXT) | instid1(VALU_DEP_2)
	v_dual_mov_b32 v11, v5 :: v_dual_mov_b32 v5, v6
	v_pk_fma_f32 v[8:9], v[6:7], v[44:45], v[8:9] op_sel_hi:[1,1,0] neg_lo:[0,0,1] neg_hi:[0,0,1]
	v_mul_f32_e32 v6, v7, v0
	s_delay_alu instid0(VALU_DEP_3) | instskip(NEXT) | instid1(VALU_DEP_2)
	v_pk_add_f32 v[162:163], v[162:163], v[10:11] neg_lo:[0,1] neg_hi:[0,1]
	v_pk_fma_f32 v[4:5], v[4:5], v[44:45], v[6:7] op_sel_hi:[1,1,0]
	s_delay_alu instid0(VALU_DEP_1) | instskip(SKIP_4) | instid1(VALU_DEP_1)
	v_mov_b32_e32 v9, v5
	ds_load_2addr_b64 v[4:7], v134 offset0:38 offset1:39
	v_pk_add_f32 v[158:159], v[158:159], v[8:9] neg_lo:[0,1] neg_hi:[0,1]
	s_wait_dscnt 0x0
	v_pk_mul_f32 v[8:9], v[4:5], v[2:3] op_sel:[0,1]
	v_pk_fma_f32 v[10:11], v[4:5], v[0:1], v[8:9] op_sel:[0,0,1] op_sel_hi:[1,1,0] neg_lo:[0,0,1] neg_hi:[0,0,1]
	v_pk_fma_f32 v[4:5], v[4:5], v[0:1], v[8:9] op_sel:[0,0,1] op_sel_hi:[1,0,0]
	s_delay_alu instid0(VALU_DEP_1) | instskip(SKIP_1) | instid1(VALU_DEP_1)
	v_mov_b32_e32 v11, v5
	v_pk_mul_f32 v[4:5], v[6:7], v[2:3] op_sel:[0,1]
	v_pk_fma_f32 v[8:9], v[6:7], v[0:1], v[4:5] op_sel:[0,0,1] op_sel_hi:[1,1,0] neg_lo:[0,0,1] neg_hi:[0,0,1]
	v_pk_fma_f32 v[4:5], v[6:7], v[0:1], v[4:5] op_sel:[0,0,1] op_sel_hi:[1,0,0]
	s_delay_alu instid0(VALU_DEP_1)
	v_mov_b32_e32 v9, v5
	ds_load_2addr_b64 v[4:7], v134 offset0:40 offset1:41
	v_pk_add_f32 v[160:161], v[160:161], v[10:11] neg_lo:[0,1] neg_hi:[0,1]
	v_pk_add_f32 v[156:157], v[156:157], v[8:9] neg_lo:[0,1] neg_hi:[0,1]
	s_wait_dscnt 0x0
	v_pk_mul_f32 v[8:9], v[4:5], v[2:3] op_sel:[0,1]
	s_delay_alu instid0(VALU_DEP_1) | instskip(SKIP_1) | instid1(VALU_DEP_1)
	v_pk_fma_f32 v[10:11], v[4:5], v[0:1], v[8:9] op_sel:[0,0,1] op_sel_hi:[1,1,0] neg_lo:[0,0,1] neg_hi:[0,0,1]
	v_pk_fma_f32 v[4:5], v[4:5], v[0:1], v[8:9] op_sel:[0,0,1] op_sel_hi:[1,0,0]
	v_mov_b32_e32 v11, v5
	v_pk_mul_f32 v[4:5], v[6:7], v[2:3] op_sel:[0,1]
	s_delay_alu instid0(VALU_DEP_1) | instskip(SKIP_1) | instid1(VALU_DEP_1)
	v_pk_fma_f32 v[8:9], v[6:7], v[0:1], v[4:5] op_sel:[0,0,1] op_sel_hi:[1,1,0] neg_lo:[0,0,1] neg_hi:[0,0,1]
	v_pk_fma_f32 v[4:5], v[6:7], v[0:1], v[4:5] op_sel:[0,0,1] op_sel_hi:[1,0,0]
	v_mov_b32_e32 v9, v5
	ds_load_2addr_b64 v[4:7], v134 offset0:42 offset1:43
	v_pk_add_f32 v[184:185], v[184:185], v[10:11] neg_lo:[0,1] neg_hi:[0,1]
	v_pk_add_f32 v[180:181], v[180:181], v[8:9] neg_lo:[0,1] neg_hi:[0,1]
	s_wait_dscnt 0x0
	v_dual_mul_f32 v8, v5, v3 :: v_dual_mul_f32 v10, v5, v0
	s_delay_alu instid0(VALU_DEP_1) | instskip(NEXT) | instid1(VALU_DEP_2)
	v_pk_fma_f32 v[8:9], v[4:5], v[44:45], v[8:9] op_sel_hi:[1,1,0] neg_lo:[0,0,1] neg_hi:[0,0,1]
	v_pk_fma_f32 v[4:5], v[4:5], v[44:45], v[10:11] op_sel:[1,0,0] op_sel_hi:[0,1,0]
	s_delay_alu instid0(VALU_DEP_1) | instskip(SKIP_1) | instid1(VALU_DEP_2)
	v_mov_b32_e32 v9, v5
	v_pk_mul_f32 v[4:5], v[6:7], v[2:3] op_sel:[0,1]
	v_pk_add_f32 v[182:183], v[182:183], v[8:9] neg_lo:[0,1] neg_hi:[0,1]
	s_delay_alu instid0(VALU_DEP_2) | instskip(SKIP_1) | instid1(VALU_DEP_1)
	v_pk_fma_f32 v[8:9], v[6:7], v[0:1], v[4:5] op_sel:[0,0,1] op_sel_hi:[1,1,0] neg_lo:[0,0,1] neg_hi:[0,0,1]
	v_pk_fma_f32 v[4:5], v[6:7], v[0:1], v[4:5] op_sel:[0,0,1] op_sel_hi:[1,0,0]
	v_mov_b32_e32 v9, v5
	ds_load_2addr_b64 v[4:7], v134 offset0:44 offset1:45
	v_pk_add_f32 v[178:179], v[178:179], v[8:9] neg_lo:[0,1] neg_hi:[0,1]
	s_wait_dscnt 0x0
	v_pk_mul_f32 v[8:9], v[4:5], v[2:3] op_sel:[0,1]
	s_delay_alu instid0(VALU_DEP_1) | instskip(SKIP_1) | instid1(VALU_DEP_1)
	v_pk_fma_f32 v[10:11], v[4:5], v[0:1], v[8:9] op_sel:[0,0,1] op_sel_hi:[1,1,0] neg_lo:[0,0,1] neg_hi:[0,0,1]
	v_pk_fma_f32 v[4:5], v[4:5], v[0:1], v[8:9] op_sel:[0,0,1] op_sel_hi:[1,0,0]
	v_mov_b32_e32 v11, v5
	v_pk_mul_f32 v[4:5], v[6:7], v[2:3] op_sel:[0,1]
	s_delay_alu instid0(VALU_DEP_2) | instskip(NEXT) | instid1(VALU_DEP_2)
	v_pk_add_f32 v[208:209], v[208:209], v[10:11] neg_lo:[0,1] neg_hi:[0,1]
	v_pk_fma_f32 v[8:9], v[6:7], v[0:1], v[4:5] op_sel:[0,0,1] op_sel_hi:[1,1,0] neg_lo:[0,0,1] neg_hi:[0,0,1]
	v_pk_fma_f32 v[4:5], v[6:7], v[0:1], v[4:5] op_sel:[0,0,1] op_sel_hi:[1,0,0]
	s_delay_alu instid0(VALU_DEP_1) | instskip(SKIP_4) | instid1(VALU_DEP_1)
	v_mov_b32_e32 v9, v5
	ds_load_2addr_b64 v[4:7], v134 offset0:46 offset1:47
	v_pk_add_f32 v[200:201], v[200:201], v[8:9] neg_lo:[0,1] neg_hi:[0,1]
	s_wait_dscnt 0x0
	v_pk_mul_f32 v[8:9], v[4:5], v[2:3] op_sel:[0,1]
	v_pk_fma_f32 v[10:11], v[4:5], v[0:1], v[8:9] op_sel:[0,0,1] op_sel_hi:[1,1,0] neg_lo:[0,0,1] neg_hi:[0,0,1]
	v_pk_fma_f32 v[4:5], v[4:5], v[0:1], v[8:9] op_sel:[0,0,1] op_sel_hi:[1,0,0]
	v_dual_mul_f32 v8, v7, v3 :: v_dual_mov_b32 v4, v7
	s_delay_alu instid0(VALU_DEP_2) | instskip(NEXT) | instid1(VALU_DEP_2)
	v_dual_mov_b32 v11, v5 :: v_dual_mov_b32 v5, v6
	v_pk_fma_f32 v[8:9], v[6:7], v[44:45], v[8:9] op_sel_hi:[1,1,0] neg_lo:[0,0,1] neg_hi:[0,0,1]
	v_mul_f32_e32 v6, v7, v0
	s_delay_alu instid0(VALU_DEP_3) | instskip(NEXT) | instid1(VALU_DEP_2)
	v_pk_add_f32 v[206:207], v[206:207], v[10:11] neg_lo:[0,1] neg_hi:[0,1]
	v_pk_fma_f32 v[4:5], v[4:5], v[44:45], v[6:7] op_sel_hi:[1,1,0]
	s_delay_alu instid0(VALU_DEP_1) | instskip(SKIP_4) | instid1(VALU_DEP_1)
	v_mov_b32_e32 v9, v5
	ds_load_2addr_b64 v[4:7], v134 offset0:48 offset1:49
	v_pk_add_f32 v[198:199], v[198:199], v[8:9] neg_lo:[0,1] neg_hi:[0,1]
	s_wait_dscnt 0x0
	v_pk_mul_f32 v[8:9], v[4:5], v[2:3] op_sel:[0,1]
	v_pk_fma_f32 v[10:11], v[4:5], v[0:1], v[8:9] op_sel:[0,0,1] op_sel_hi:[1,1,0] neg_lo:[0,0,1] neg_hi:[0,0,1]
	v_pk_fma_f32 v[4:5], v[4:5], v[0:1], v[8:9] op_sel:[0,0,1] op_sel_hi:[1,0,0]
	s_delay_alu instid0(VALU_DEP_1) | instskip(SKIP_1) | instid1(VALU_DEP_1)
	v_mov_b32_e32 v11, v5
	v_pk_mul_f32 v[4:5], v[6:7], v[2:3] op_sel:[0,1]
	v_pk_fma_f32 v[8:9], v[6:7], v[0:1], v[4:5] op_sel:[0,0,1] op_sel_hi:[1,1,0] neg_lo:[0,0,1] neg_hi:[0,0,1]
	v_pk_fma_f32 v[4:5], v[6:7], v[0:1], v[4:5] op_sel:[0,0,1] op_sel_hi:[1,0,0]
	s_delay_alu instid0(VALU_DEP_1)
	v_mov_b32_e32 v9, v5
	ds_load_2addr_b64 v[4:7], v134 offset0:50 offset1:51
	v_pk_add_f32 v[204:205], v[204:205], v[10:11] neg_lo:[0,1] neg_hi:[0,1]
	v_pk_add_f32 v[196:197], v[196:197], v[8:9] neg_lo:[0,1] neg_hi:[0,1]
	s_wait_dscnt 0x0
	v_pk_mul_f32 v[8:9], v[4:5], v[2:3] op_sel:[0,1]
	s_delay_alu instid0(VALU_DEP_1) | instskip(SKIP_1) | instid1(VALU_DEP_1)
	v_pk_fma_f32 v[10:11], v[4:5], v[0:1], v[8:9] op_sel:[0,0,1] op_sel_hi:[1,1,0] neg_lo:[0,0,1] neg_hi:[0,0,1]
	v_pk_fma_f32 v[4:5], v[4:5], v[0:1], v[8:9] op_sel:[0,0,1] op_sel_hi:[1,0,0]
	v_mov_b32_e32 v11, v5
	v_pk_mul_f32 v[4:5], v[6:7], v[2:3] op_sel:[0,1]
	s_delay_alu instid0(VALU_DEP_1) | instskip(SKIP_1) | instid1(VALU_DEP_1)
	v_pk_fma_f32 v[8:9], v[6:7], v[0:1], v[4:5] op_sel:[0,0,1] op_sel_hi:[1,1,0] neg_lo:[0,0,1] neg_hi:[0,0,1]
	v_pk_fma_f32 v[4:5], v[6:7], v[0:1], v[4:5] op_sel:[0,0,1] op_sel_hi:[1,0,0]
	v_mov_b32_e32 v9, v5
	ds_load_b64 v[4:5], v134 offset:416
	v_pk_add_f32 v[202:203], v[202:203], v[10:11] neg_lo:[0,1] neg_hi:[0,1]
	v_pk_add_f32 v[210:211], v[210:211], v[8:9] neg_lo:[0,1] neg_hi:[0,1]
	s_wait_dscnt 0x0
	v_pk_mul_f32 v[2:3], v[4:5], v[2:3] op_sel:[0,1]
	s_delay_alu instid0(VALU_DEP_1) | instskip(SKIP_1) | instid1(VALU_DEP_1)
	v_pk_fma_f32 v[6:7], v[4:5], v[0:1], v[2:3] op_sel:[0,0,1] op_sel_hi:[1,1,0] neg_lo:[0,0,1] neg_hi:[0,0,1]
	v_pk_fma_f32 v[0:1], v[4:5], v[0:1], v[2:3] op_sel:[0,0,1] op_sel_hi:[1,0,0]
	v_mov_b32_e32 v7, v1
	s_delay_alu instid0(VALU_DEP_1)
	v_pk_add_f32 v[212:213], v[212:213], v[6:7] neg_lo:[0,1] neg_hi:[0,1]
.LBB105_37:
	s_wait_xcnt 0x0
	s_or_b32 exec_lo, exec_lo, s1
	s_delay_alu instid0(SALU_CYCLE_1)
	s_mov_b32 s2, exec_lo
	s_wait_storecnt 0x0
	s_barrier_signal -1
	s_barrier_wait -1
	v_cmpx_eq_u32_e32 4, v132
	s_cbranch_execz .LBB105_44
; %bb.38:
	ds_store_b64 v133, v[26:27]
	ds_store_2addr_b64 v134, v[22:23], v[24:25] offset0:5 offset1:6
	ds_store_2addr_b64 v134, v[20:21], v[40:41] offset0:7 offset1:8
	;; [unrolled: 1-line block ×24, first 2 shown]
	ds_load_b64 v[0:1], v133
	s_wait_dscnt 0x0
	v_cmp_neq_f32_e32 vcc_lo, 0, v0
	v_cmp_neq_f32_e64 s1, 0, v1
	s_or_b32 s1, vcc_lo, s1
	s_delay_alu instid0(SALU_CYCLE_1)
	s_and_b32 exec_lo, exec_lo, s1
	s_cbranch_execz .LBB105_44
; %bb.39:
	v_cmp_ngt_f32_e64 s1, |v0|, |v1|
                                        ; implicit-def: $vgpr2_vgpr3
	s_and_saveexec_b32 s4, s1
	s_delay_alu instid0(SALU_CYCLE_1)
	s_xor_b32 s1, exec_lo, s4
	s_cbranch_execz .LBB105_41
; %bb.40:
	v_div_scale_f32 v2, null, v1, v1, v0
	v_div_scale_f32 v5, vcc_lo, v0, v1, v0
	s_delay_alu instid0(VALU_DEP_2) | instskip(SKIP_1) | instid1(TRANS32_DEP_1)
	v_rcp_f32_e32 v3, v2
	v_nop
	v_fma_f32 v4, -v2, v3, 1.0
	s_delay_alu instid0(VALU_DEP_1) | instskip(NEXT) | instid1(VALU_DEP_1)
	v_fmac_f32_e32 v3, v4, v3
	v_mul_f32_e32 v4, v5, v3
	s_delay_alu instid0(VALU_DEP_1) | instskip(NEXT) | instid1(VALU_DEP_1)
	v_fma_f32 v6, -v2, v4, v5
	v_fmac_f32_e32 v4, v6, v3
	s_delay_alu instid0(VALU_DEP_1) | instskip(NEXT) | instid1(VALU_DEP_1)
	v_fma_f32 v2, -v2, v4, v5
	v_div_fmas_f32 v2, v2, v3, v4
	s_delay_alu instid0(VALU_DEP_1) | instskip(NEXT) | instid1(VALU_DEP_1)
	v_div_fixup_f32 v2, v2, v1, v0
	v_fmac_f32_e32 v1, v0, v2
	s_delay_alu instid0(VALU_DEP_1) | instskip(SKIP_1) | instid1(VALU_DEP_2)
	v_div_scale_f32 v0, null, v1, v1, 1.0
	v_div_scale_f32 v5, vcc_lo, 1.0, v1, 1.0
	v_rcp_f32_e32 v3, v0
	v_nop
	s_delay_alu instid0(TRANS32_DEP_1) | instskip(NEXT) | instid1(VALU_DEP_1)
	v_fma_f32 v4, -v0, v3, 1.0
	v_fmac_f32_e32 v3, v4, v3
	s_delay_alu instid0(VALU_DEP_1) | instskip(NEXT) | instid1(VALU_DEP_1)
	v_mul_f32_e32 v4, v5, v3
	v_fma_f32 v6, -v0, v4, v5
	s_delay_alu instid0(VALU_DEP_1) | instskip(NEXT) | instid1(VALU_DEP_1)
	v_fmac_f32_e32 v4, v6, v3
	v_fma_f32 v0, -v0, v4, v5
	s_delay_alu instid0(VALU_DEP_1) | instskip(NEXT) | instid1(VALU_DEP_1)
	v_div_fmas_f32 v0, v0, v3, v4
	v_div_fixup_f32 v0, v0, v1, 1.0
	s_delay_alu instid0(VALU_DEP_1)
	v_mul_f32_e32 v2, v2, v0
	v_xor_b32_e32 v3, 0x80000000, v0
                                        ; implicit-def: $vgpr0_vgpr1
.LBB105_41:
	s_and_not1_saveexec_b32 s1, s1
	s_cbranch_execz .LBB105_43
; %bb.42:
	v_div_scale_f32 v2, null, v0, v0, v1
	v_div_scale_f32 v5, vcc_lo, v1, v0, v1
	s_delay_alu instid0(VALU_DEP_2) | instskip(SKIP_1) | instid1(TRANS32_DEP_1)
	v_rcp_f32_e32 v3, v2
	v_nop
	v_fma_f32 v4, -v2, v3, 1.0
	s_delay_alu instid0(VALU_DEP_1) | instskip(NEXT) | instid1(VALU_DEP_1)
	v_fmac_f32_e32 v3, v4, v3
	v_mul_f32_e32 v4, v5, v3
	s_delay_alu instid0(VALU_DEP_1) | instskip(NEXT) | instid1(VALU_DEP_1)
	v_fma_f32 v6, -v2, v4, v5
	v_fmac_f32_e32 v4, v6, v3
	s_delay_alu instid0(VALU_DEP_1) | instskip(NEXT) | instid1(VALU_DEP_1)
	v_fma_f32 v2, -v2, v4, v5
	v_div_fmas_f32 v2, v2, v3, v4
	s_delay_alu instid0(VALU_DEP_1) | instskip(NEXT) | instid1(VALU_DEP_1)
	v_div_fixup_f32 v3, v2, v0, v1
	v_fmac_f32_e32 v0, v1, v3
	s_delay_alu instid0(VALU_DEP_1) | instskip(NEXT) | instid1(VALU_DEP_1)
	v_div_scale_f32 v1, null, v0, v0, 1.0
	v_rcp_f32_e32 v2, v1
	v_nop
	s_delay_alu instid0(TRANS32_DEP_1) | instskip(NEXT) | instid1(VALU_DEP_1)
	v_fma_f32 v4, -v1, v2, 1.0
	v_fmac_f32_e32 v2, v4, v2
	v_div_scale_f32 v4, vcc_lo, 1.0, v0, 1.0
	s_delay_alu instid0(VALU_DEP_1) | instskip(NEXT) | instid1(VALU_DEP_1)
	v_mul_f32_e32 v5, v4, v2
	v_fma_f32 v6, -v1, v5, v4
	s_delay_alu instid0(VALU_DEP_1) | instskip(NEXT) | instid1(VALU_DEP_1)
	v_fmac_f32_e32 v5, v6, v2
	v_fma_f32 v1, -v1, v5, v4
	s_delay_alu instid0(VALU_DEP_1) | instskip(NEXT) | instid1(VALU_DEP_1)
	v_div_fmas_f32 v1, v1, v2, v5
	v_div_fixup_f32 v2, v1, v0, 1.0
	s_delay_alu instid0(VALU_DEP_1)
	v_mul_f32_e64 v3, v3, -v2
.LBB105_43:
	s_or_b32 exec_lo, exec_lo, s1
	ds_store_b64 v133, v[2:3]
.LBB105_44:
	s_or_b32 exec_lo, exec_lo, s2
	s_wait_dscnt 0x0
	s_barrier_signal -1
	s_barrier_wait -1
	ds_load_b64 v[0:1], v133
	s_mov_b32 s1, exec_lo
	s_wait_dscnt 0x0
	scratch_store_b64 off, v[0:1], off offset:160 ; 8-byte Folded Spill
	s_wait_xcnt 0x0
	v_cmpx_lt_u32_e32 4, v132
	s_cbranch_execz .LBB105_46
; %bb.45:
	scratch_load_b64 v[4:5], off, off offset:160 ; 8-byte Folded Reload
	s_wait_loadcnt 0x0
	v_pk_mul_f32 v[2:3], v[4:5], v[26:27] op_sel:[1,1] op_sel_hi:[0,1]
	s_delay_alu instid0(VALU_DEP_1)
	v_pk_fma_f32 v[0:1], v[4:5], v[26:27], v[2:3] op_sel_hi:[1,0,1] neg_lo:[0,0,1] neg_hi:[0,0,1]
	v_pk_fma_f32 v[2:3], v[4:5], v[26:27], v[2:3] op_sel_hi:[1,0,1]
	ds_load_2addr_b64 v[4:7], v134 offset0:5 offset1:6
	v_dual_mov_b32 v26, v0 :: v_dual_mov_b32 v27, v3
	s_wait_dscnt 0x0
	v_pk_mul_f32 v[8:9], v[4:5], v[2:3] op_sel:[0,1]
	s_delay_alu instid0(VALU_DEP_1) | instskip(SKIP_1) | instid1(VALU_DEP_1)
	v_pk_fma_f32 v[10:11], v[4:5], v[0:1], v[8:9] op_sel:[0,0,1] op_sel_hi:[1,1,0] neg_lo:[0,0,1] neg_hi:[0,0,1]
	v_pk_fma_f32 v[4:5], v[4:5], v[0:1], v[8:9] op_sel:[0,0,1] op_sel_hi:[1,0,0]
	v_mov_b32_e32 v11, v5
	v_pk_mul_f32 v[4:5], v[6:7], v[2:3] op_sel:[0,1]
	s_delay_alu instid0(VALU_DEP_1) | instskip(SKIP_1) | instid1(VALU_DEP_1)
	v_pk_fma_f32 v[8:9], v[6:7], v[0:1], v[4:5] op_sel:[0,0,1] op_sel_hi:[1,1,0] neg_lo:[0,0,1] neg_hi:[0,0,1]
	v_pk_fma_f32 v[4:5], v[6:7], v[0:1], v[4:5] op_sel:[0,0,1] op_sel_hi:[1,0,0]
	v_mov_b32_e32 v9, v5
	ds_load_2addr_b64 v[4:7], v134 offset0:7 offset1:8
	v_pk_add_f32 v[22:23], v[22:23], v[10:11] neg_lo:[0,1] neg_hi:[0,1]
	v_pk_add_f32 v[24:25], v[24:25], v[8:9] neg_lo:[0,1] neg_hi:[0,1]
	s_wait_dscnt 0x0
	v_pk_mul_f32 v[8:9], v[4:5], v[2:3] op_sel:[0,1]
	s_delay_alu instid0(VALU_DEP_1) | instskip(SKIP_2) | instid1(VALU_DEP_2)
	v_pk_fma_f32 v[10:11], v[4:5], v[0:1], v[8:9] op_sel:[0,0,1] op_sel_hi:[1,1,0] neg_lo:[0,0,1] neg_hi:[0,0,1]
	v_pk_fma_f32 v[4:5], v[4:5], v[0:1], v[8:9] op_sel:[0,0,1] op_sel_hi:[1,0,0]
	v_dual_mul_f32 v8, v7, v3 :: v_dual_mov_b32 v4, v7
	v_dual_mov_b32 v11, v5 :: v_dual_mov_b32 v5, v6
	s_delay_alu instid0(VALU_DEP_2) | instskip(SKIP_1) | instid1(VALU_DEP_3)
	v_pk_fma_f32 v[8:9], v[6:7], v[26:27], v[8:9] op_sel_hi:[1,1,0] neg_lo:[0,0,1] neg_hi:[0,0,1]
	v_mul_f32_e32 v6, v7, v0
	v_pk_add_f32 v[20:21], v[20:21], v[10:11] neg_lo:[0,1] neg_hi:[0,1]
	s_delay_alu instid0(VALU_DEP_2) | instskip(NEXT) | instid1(VALU_DEP_1)
	v_pk_fma_f32 v[4:5], v[4:5], v[26:27], v[6:7] op_sel_hi:[1,1,0]
	v_mov_b32_e32 v9, v5
	ds_load_2addr_b64 v[4:7], v134 offset0:9 offset1:10
	v_pk_add_f32 v[40:41], v[40:41], v[8:9] neg_lo:[0,1] neg_hi:[0,1]
	s_wait_dscnt 0x0
	v_pk_mul_f32 v[8:9], v[4:5], v[2:3] op_sel:[0,1]
	s_delay_alu instid0(VALU_DEP_1) | instskip(SKIP_1) | instid1(VALU_DEP_1)
	v_pk_fma_f32 v[10:11], v[4:5], v[0:1], v[8:9] op_sel:[0,0,1] op_sel_hi:[1,1,0] neg_lo:[0,0,1] neg_hi:[0,0,1]
	v_pk_fma_f32 v[4:5], v[4:5], v[0:1], v[8:9] op_sel:[0,0,1] op_sel_hi:[1,0,0]
	v_mov_b32_e32 v11, v5
	v_pk_mul_f32 v[4:5], v[6:7], v[2:3] op_sel:[0,1]
	s_delay_alu instid0(VALU_DEP_1) | instskip(SKIP_1) | instid1(VALU_DEP_1)
	v_pk_fma_f32 v[8:9], v[6:7], v[0:1], v[4:5] op_sel:[0,0,1] op_sel_hi:[1,1,0] neg_lo:[0,0,1] neg_hi:[0,0,1]
	v_pk_fma_f32 v[4:5], v[6:7], v[0:1], v[4:5] op_sel:[0,0,1] op_sel_hi:[1,0,0]
	v_mov_b32_e32 v9, v5
	ds_load_2addr_b64 v[4:7], v134 offset0:11 offset1:12
	v_pk_add_f32 v[36:37], v[36:37], v[10:11] neg_lo:[0,1] neg_hi:[0,1]
	v_pk_add_f32 v[38:39], v[38:39], v[8:9] neg_lo:[0,1] neg_hi:[0,1]
	s_wait_dscnt 0x0
	v_pk_mul_f32 v[8:9], v[4:5], v[2:3] op_sel:[0,1]
	s_delay_alu instid0(VALU_DEP_1) | instskip(SKIP_1) | instid1(VALU_DEP_1)
	v_pk_fma_f32 v[10:11], v[4:5], v[0:1], v[8:9] op_sel:[0,0,1] op_sel_hi:[1,1,0] neg_lo:[0,0,1] neg_hi:[0,0,1]
	v_pk_fma_f32 v[4:5], v[4:5], v[0:1], v[8:9] op_sel:[0,0,1] op_sel_hi:[1,0,0]
	v_mov_b32_e32 v11, v5
	v_pk_mul_f32 v[4:5], v[6:7], v[2:3] op_sel:[0,1]
	s_delay_alu instid0(VALU_DEP_1) | instskip(SKIP_1) | instid1(VALU_DEP_1)
	v_pk_fma_f32 v[8:9], v[6:7], v[0:1], v[4:5] op_sel:[0,0,1] op_sel_hi:[1,1,0] neg_lo:[0,0,1] neg_hi:[0,0,1]
	v_pk_fma_f32 v[4:5], v[6:7], v[0:1], v[4:5] op_sel:[0,0,1] op_sel_hi:[1,0,0]
	v_mov_b32_e32 v9, v5
	ds_load_2addr_b64 v[4:7], v134 offset0:13 offset1:14
	v_pk_add_f32 v[34:35], v[34:35], v[10:11] neg_lo:[0,1] neg_hi:[0,1]
	v_pk_add_f32 v[64:65], v[64:65], v[8:9] neg_lo:[0,1] neg_hi:[0,1]
	s_wait_dscnt 0x0
	v_dual_mul_f32 v8, v5, v3 :: v_dual_mul_f32 v10, v5, v0
	s_delay_alu instid0(VALU_DEP_1) | instskip(NEXT) | instid1(VALU_DEP_2)
	v_pk_fma_f32 v[8:9], v[4:5], v[26:27], v[8:9] op_sel_hi:[1,1,0] neg_lo:[0,0,1] neg_hi:[0,0,1]
	v_pk_fma_f32 v[4:5], v[4:5], v[26:27], v[10:11] op_sel:[1,0,0] op_sel_hi:[0,1,0]
	s_delay_alu instid0(VALU_DEP_1) | instskip(SKIP_1) | instid1(VALU_DEP_2)
	v_mov_b32_e32 v9, v5
	v_pk_mul_f32 v[4:5], v[6:7], v[2:3] op_sel:[0,1]
	v_pk_add_f32 v[60:61], v[60:61], v[8:9] neg_lo:[0,1] neg_hi:[0,1]
	s_delay_alu instid0(VALU_DEP_2) | instskip(SKIP_1) | instid1(VALU_DEP_1)
	v_pk_fma_f32 v[8:9], v[6:7], v[0:1], v[4:5] op_sel:[0,0,1] op_sel_hi:[1,1,0] neg_lo:[0,0,1] neg_hi:[0,0,1]
	v_pk_fma_f32 v[4:5], v[6:7], v[0:1], v[4:5] op_sel:[0,0,1] op_sel_hi:[1,0,0]
	v_mov_b32_e32 v9, v5
	ds_load_2addr_b64 v[4:7], v134 offset0:15 offset1:16
	v_pk_add_f32 v[62:63], v[62:63], v[8:9] neg_lo:[0,1] neg_hi:[0,1]
	s_wait_dscnt 0x0
	v_pk_mul_f32 v[8:9], v[4:5], v[2:3] op_sel:[0,1]
	s_delay_alu instid0(VALU_DEP_1) | instskip(SKIP_1) | instid1(VALU_DEP_1)
	v_pk_fma_f32 v[10:11], v[4:5], v[0:1], v[8:9] op_sel:[0,0,1] op_sel_hi:[1,1,0] neg_lo:[0,0,1] neg_hi:[0,0,1]
	v_pk_fma_f32 v[4:5], v[4:5], v[0:1], v[8:9] op_sel:[0,0,1] op_sel_hi:[1,0,0]
	v_mov_b32_e32 v11, v5
	v_pk_mul_f32 v[4:5], v[6:7], v[2:3] op_sel:[0,1]
	s_delay_alu instid0(VALU_DEP_2) | instskip(NEXT) | instid1(VALU_DEP_2)
	v_pk_add_f32 v[58:59], v[58:59], v[10:11] neg_lo:[0,1] neg_hi:[0,1]
	v_pk_fma_f32 v[8:9], v[6:7], v[0:1], v[4:5] op_sel:[0,0,1] op_sel_hi:[1,1,0] neg_lo:[0,0,1] neg_hi:[0,0,1]
	v_pk_fma_f32 v[4:5], v[6:7], v[0:1], v[4:5] op_sel:[0,0,1] op_sel_hi:[1,0,0]
	s_delay_alu instid0(VALU_DEP_1) | instskip(SKIP_4) | instid1(VALU_DEP_1)
	v_mov_b32_e32 v9, v5
	ds_load_2addr_b64 v[4:7], v134 offset0:17 offset1:18
	v_pk_add_f32 v[80:81], v[80:81], v[8:9] neg_lo:[0,1] neg_hi:[0,1]
	s_wait_dscnt 0x0
	v_pk_mul_f32 v[8:9], v[4:5], v[2:3] op_sel:[0,1]
	v_pk_fma_f32 v[10:11], v[4:5], v[0:1], v[8:9] op_sel:[0,0,1] op_sel_hi:[1,1,0] neg_lo:[0,0,1] neg_hi:[0,0,1]
	v_pk_fma_f32 v[4:5], v[4:5], v[0:1], v[8:9] op_sel:[0,0,1] op_sel_hi:[1,0,0]
	v_dual_mul_f32 v8, v7, v3 :: v_dual_mov_b32 v4, v7
	s_delay_alu instid0(VALU_DEP_2) | instskip(NEXT) | instid1(VALU_DEP_2)
	v_dual_mov_b32 v11, v5 :: v_dual_mov_b32 v5, v6
	v_pk_fma_f32 v[8:9], v[6:7], v[26:27], v[8:9] op_sel_hi:[1,1,0] neg_lo:[0,0,1] neg_hi:[0,0,1]
	v_mul_f32_e32 v6, v7, v0
	s_delay_alu instid0(VALU_DEP_3) | instskip(NEXT) | instid1(VALU_DEP_2)
	v_pk_add_f32 v[76:77], v[76:77], v[10:11] neg_lo:[0,1] neg_hi:[0,1]
	v_pk_fma_f32 v[4:5], v[4:5], v[26:27], v[6:7] op_sel_hi:[1,1,0]
	s_delay_alu instid0(VALU_DEP_1) | instskip(SKIP_4) | instid1(VALU_DEP_1)
	v_mov_b32_e32 v9, v5
	ds_load_2addr_b64 v[4:7], v134 offset0:19 offset1:20
	v_pk_add_f32 v[78:79], v[78:79], v[8:9] neg_lo:[0,1] neg_hi:[0,1]
	s_wait_dscnt 0x0
	v_pk_mul_f32 v[8:9], v[4:5], v[2:3] op_sel:[0,1]
	v_pk_fma_f32 v[10:11], v[4:5], v[0:1], v[8:9] op_sel:[0,0,1] op_sel_hi:[1,1,0] neg_lo:[0,0,1] neg_hi:[0,0,1]
	v_pk_fma_f32 v[4:5], v[4:5], v[0:1], v[8:9] op_sel:[0,0,1] op_sel_hi:[1,0,0]
	s_delay_alu instid0(VALU_DEP_1) | instskip(SKIP_1) | instid1(VALU_DEP_1)
	v_mov_b32_e32 v11, v5
	v_pk_mul_f32 v[4:5], v[6:7], v[2:3] op_sel:[0,1]
	v_pk_fma_f32 v[8:9], v[6:7], v[0:1], v[4:5] op_sel:[0,0,1] op_sel_hi:[1,1,0] neg_lo:[0,0,1] neg_hi:[0,0,1]
	v_pk_fma_f32 v[4:5], v[6:7], v[0:1], v[4:5] op_sel:[0,0,1] op_sel_hi:[1,0,0]
	s_delay_alu instid0(VALU_DEP_1)
	v_mov_b32_e32 v9, v5
	ds_load_2addr_b64 v[4:7], v134 offset0:21 offset1:22
	v_pk_add_f32 v[74:75], v[74:75], v[10:11] neg_lo:[0,1] neg_hi:[0,1]
	v_pk_add_f32 v[96:97], v[96:97], v[8:9] neg_lo:[0,1] neg_hi:[0,1]
	s_wait_dscnt 0x0
	v_pk_mul_f32 v[8:9], v[4:5], v[2:3] op_sel:[0,1]
	s_delay_alu instid0(VALU_DEP_1) | instskip(SKIP_1) | instid1(VALU_DEP_1)
	v_pk_fma_f32 v[10:11], v[4:5], v[0:1], v[8:9] op_sel:[0,0,1] op_sel_hi:[1,1,0] neg_lo:[0,0,1] neg_hi:[0,0,1]
	v_pk_fma_f32 v[4:5], v[4:5], v[0:1], v[8:9] op_sel:[0,0,1] op_sel_hi:[1,0,0]
	v_mov_b32_e32 v11, v5
	v_pk_mul_f32 v[4:5], v[6:7], v[2:3] op_sel:[0,1]
	s_delay_alu instid0(VALU_DEP_1) | instskip(SKIP_1) | instid1(VALU_DEP_1)
	v_pk_fma_f32 v[8:9], v[6:7], v[0:1], v[4:5] op_sel:[0,0,1] op_sel_hi:[1,1,0] neg_lo:[0,0,1] neg_hi:[0,0,1]
	v_pk_fma_f32 v[4:5], v[6:7], v[0:1], v[4:5] op_sel:[0,0,1] op_sel_hi:[1,0,0]
	v_mov_b32_e32 v9, v5
	ds_load_2addr_b64 v[4:7], v134 offset0:23 offset1:24
	v_pk_add_f32 v[92:93], v[92:93], v[10:11] neg_lo:[0,1] neg_hi:[0,1]
	v_pk_add_f32 v[94:95], v[94:95], v[8:9] neg_lo:[0,1] neg_hi:[0,1]
	s_wait_dscnt 0x0
	v_dual_mul_f32 v8, v5, v3 :: v_dual_mul_f32 v10, v5, v0
	s_delay_alu instid0(VALU_DEP_1) | instskip(NEXT) | instid1(VALU_DEP_2)
	v_pk_fma_f32 v[8:9], v[4:5], v[26:27], v[8:9] op_sel_hi:[1,1,0] neg_lo:[0,0,1] neg_hi:[0,0,1]
	v_pk_fma_f32 v[4:5], v[4:5], v[26:27], v[10:11] op_sel:[1,0,0] op_sel_hi:[0,1,0]
	s_delay_alu instid0(VALU_DEP_1) | instskip(SKIP_1) | instid1(VALU_DEP_2)
	v_mov_b32_e32 v9, v5
	v_pk_mul_f32 v[4:5], v[6:7], v[2:3] op_sel:[0,1]
	v_pk_add_f32 v[90:91], v[90:91], v[8:9] neg_lo:[0,1] neg_hi:[0,1]
	s_delay_alu instid0(VALU_DEP_2) | instskip(SKIP_1) | instid1(VALU_DEP_1)
	v_pk_fma_f32 v[8:9], v[6:7], v[0:1], v[4:5] op_sel:[0,0,1] op_sel_hi:[1,1,0] neg_lo:[0,0,1] neg_hi:[0,0,1]
	v_pk_fma_f32 v[4:5], v[6:7], v[0:1], v[4:5] op_sel:[0,0,1] op_sel_hi:[1,0,0]
	v_mov_b32_e32 v9, v5
	ds_load_2addr_b64 v[4:7], v134 offset0:25 offset1:26
	v_pk_add_f32 v[112:113], v[112:113], v[8:9] neg_lo:[0,1] neg_hi:[0,1]
	s_wait_dscnt 0x0
	v_pk_mul_f32 v[8:9], v[4:5], v[2:3] op_sel:[0,1]
	s_delay_alu instid0(VALU_DEP_1) | instskip(SKIP_1) | instid1(VALU_DEP_1)
	v_pk_fma_f32 v[10:11], v[4:5], v[0:1], v[8:9] op_sel:[0,0,1] op_sel_hi:[1,1,0] neg_lo:[0,0,1] neg_hi:[0,0,1]
	v_pk_fma_f32 v[4:5], v[4:5], v[0:1], v[8:9] op_sel:[0,0,1] op_sel_hi:[1,0,0]
	v_mov_b32_e32 v11, v5
	v_pk_mul_f32 v[4:5], v[6:7], v[2:3] op_sel:[0,1]
	s_delay_alu instid0(VALU_DEP_2) | instskip(NEXT) | instid1(VALU_DEP_2)
	v_pk_add_f32 v[108:109], v[108:109], v[10:11] neg_lo:[0,1] neg_hi:[0,1]
	v_pk_fma_f32 v[8:9], v[6:7], v[0:1], v[4:5] op_sel:[0,0,1] op_sel_hi:[1,1,0] neg_lo:[0,0,1] neg_hi:[0,0,1]
	v_pk_fma_f32 v[4:5], v[6:7], v[0:1], v[4:5] op_sel:[0,0,1] op_sel_hi:[1,0,0]
	s_delay_alu instid0(VALU_DEP_1) | instskip(SKIP_4) | instid1(VALU_DEP_1)
	v_mov_b32_e32 v9, v5
	ds_load_2addr_b64 v[4:7], v134 offset0:27 offset1:28
	v_pk_add_f32 v[110:111], v[110:111], v[8:9] neg_lo:[0,1] neg_hi:[0,1]
	s_wait_dscnt 0x0
	v_pk_mul_f32 v[8:9], v[4:5], v[2:3] op_sel:[0,1]
	v_pk_fma_f32 v[10:11], v[4:5], v[0:1], v[8:9] op_sel:[0,0,1] op_sel_hi:[1,1,0] neg_lo:[0,0,1] neg_hi:[0,0,1]
	v_pk_fma_f32 v[4:5], v[4:5], v[0:1], v[8:9] op_sel:[0,0,1] op_sel_hi:[1,0,0]
	v_dual_mul_f32 v8, v7, v3 :: v_dual_mov_b32 v4, v7
	s_delay_alu instid0(VALU_DEP_2) | instskip(NEXT) | instid1(VALU_DEP_2)
	v_dual_mov_b32 v11, v5 :: v_dual_mov_b32 v5, v6
	v_pk_fma_f32 v[8:9], v[6:7], v[26:27], v[8:9] op_sel_hi:[1,1,0] neg_lo:[0,0,1] neg_hi:[0,0,1]
	v_mul_f32_e32 v6, v7, v0
	s_delay_alu instid0(VALU_DEP_3) | instskip(NEXT) | instid1(VALU_DEP_2)
	v_pk_add_f32 v[106:107], v[106:107], v[10:11] neg_lo:[0,1] neg_hi:[0,1]
	v_pk_fma_f32 v[4:5], v[4:5], v[26:27], v[6:7] op_sel_hi:[1,1,0]
	s_delay_alu instid0(VALU_DEP_1) | instskip(SKIP_4) | instid1(VALU_DEP_1)
	v_mov_b32_e32 v9, v5
	ds_load_2addr_b64 v[4:7], v134 offset0:29 offset1:30
	v_pk_add_f32 v[130:131], v[130:131], v[8:9] neg_lo:[0,1] neg_hi:[0,1]
	s_wait_dscnt 0x0
	v_pk_mul_f32 v[8:9], v[4:5], v[2:3] op_sel:[0,1]
	v_pk_fma_f32 v[10:11], v[4:5], v[0:1], v[8:9] op_sel:[0,0,1] op_sel_hi:[1,1,0] neg_lo:[0,0,1] neg_hi:[0,0,1]
	v_pk_fma_f32 v[4:5], v[4:5], v[0:1], v[8:9] op_sel:[0,0,1] op_sel_hi:[1,0,0]
	s_delay_alu instid0(VALU_DEP_1) | instskip(SKIP_1) | instid1(VALU_DEP_1)
	v_mov_b32_e32 v11, v5
	v_pk_mul_f32 v[4:5], v[6:7], v[2:3] op_sel:[0,1]
	v_pk_fma_f32 v[8:9], v[6:7], v[0:1], v[4:5] op_sel:[0,0,1] op_sel_hi:[1,1,0] neg_lo:[0,0,1] neg_hi:[0,0,1]
	v_pk_fma_f32 v[4:5], v[6:7], v[0:1], v[4:5] op_sel:[0,0,1] op_sel_hi:[1,0,0]
	s_delay_alu instid0(VALU_DEP_1)
	v_mov_b32_e32 v9, v5
	ds_load_2addr_b64 v[4:7], v134 offset0:31 offset1:32
	v_pk_add_f32 v[126:127], v[126:127], v[10:11] neg_lo:[0,1] neg_hi:[0,1]
	v_pk_add_f32 v[128:129], v[128:129], v[8:9] neg_lo:[0,1] neg_hi:[0,1]
	s_wait_dscnt 0x0
	v_pk_mul_f32 v[8:9], v[4:5], v[2:3] op_sel:[0,1]
	s_delay_alu instid0(VALU_DEP_1) | instskip(SKIP_1) | instid1(VALU_DEP_1)
	v_pk_fma_f32 v[10:11], v[4:5], v[0:1], v[8:9] op_sel:[0,0,1] op_sel_hi:[1,1,0] neg_lo:[0,0,1] neg_hi:[0,0,1]
	v_pk_fma_f32 v[4:5], v[4:5], v[0:1], v[8:9] op_sel:[0,0,1] op_sel_hi:[1,0,0]
	v_mov_b32_e32 v11, v5
	v_pk_mul_f32 v[4:5], v[6:7], v[2:3] op_sel:[0,1]
	s_delay_alu instid0(VALU_DEP_1) | instskip(SKIP_1) | instid1(VALU_DEP_1)
	v_pk_fma_f32 v[8:9], v[6:7], v[0:1], v[4:5] op_sel:[0,0,1] op_sel_hi:[1,1,0] neg_lo:[0,0,1] neg_hi:[0,0,1]
	v_pk_fma_f32 v[4:5], v[6:7], v[0:1], v[4:5] op_sel:[0,0,1] op_sel_hi:[1,0,0]
	v_mov_b32_e32 v9, v5
	ds_load_2addr_b64 v[4:7], v134 offset0:33 offset1:34
	v_pk_add_f32 v[124:125], v[124:125], v[10:11] neg_lo:[0,1] neg_hi:[0,1]
	v_pk_add_f32 v[146:147], v[146:147], v[8:9] neg_lo:[0,1] neg_hi:[0,1]
	s_wait_dscnt 0x0
	v_dual_mul_f32 v8, v5, v3 :: v_dual_mul_f32 v10, v5, v0
	s_delay_alu instid0(VALU_DEP_1) | instskip(NEXT) | instid1(VALU_DEP_2)
	v_pk_fma_f32 v[8:9], v[4:5], v[26:27], v[8:9] op_sel_hi:[1,1,0] neg_lo:[0,0,1] neg_hi:[0,0,1]
	v_pk_fma_f32 v[4:5], v[4:5], v[26:27], v[10:11] op_sel:[1,0,0] op_sel_hi:[0,1,0]
	s_delay_alu instid0(VALU_DEP_1) | instskip(SKIP_1) | instid1(VALU_DEP_2)
	v_mov_b32_e32 v9, v5
	v_pk_mul_f32 v[4:5], v[6:7], v[2:3] op_sel:[0,1]
	v_pk_add_f32 v[142:143], v[142:143], v[8:9] neg_lo:[0,1] neg_hi:[0,1]
	s_delay_alu instid0(VALU_DEP_2) | instskip(SKIP_1) | instid1(VALU_DEP_1)
	v_pk_fma_f32 v[8:9], v[6:7], v[0:1], v[4:5] op_sel:[0,0,1] op_sel_hi:[1,1,0] neg_lo:[0,0,1] neg_hi:[0,0,1]
	v_pk_fma_f32 v[4:5], v[6:7], v[0:1], v[4:5] op_sel:[0,0,1] op_sel_hi:[1,0,0]
	v_mov_b32_e32 v9, v5
	ds_load_2addr_b64 v[4:7], v134 offset0:35 offset1:36
	v_pk_add_f32 v[144:145], v[144:145], v[8:9] neg_lo:[0,1] neg_hi:[0,1]
	s_wait_dscnt 0x0
	v_pk_mul_f32 v[8:9], v[4:5], v[2:3] op_sel:[0,1]
	s_delay_alu instid0(VALU_DEP_1) | instskip(SKIP_1) | instid1(VALU_DEP_1)
	v_pk_fma_f32 v[10:11], v[4:5], v[0:1], v[8:9] op_sel:[0,0,1] op_sel_hi:[1,1,0] neg_lo:[0,0,1] neg_hi:[0,0,1]
	v_pk_fma_f32 v[4:5], v[4:5], v[0:1], v[8:9] op_sel:[0,0,1] op_sel_hi:[1,0,0]
	v_mov_b32_e32 v11, v5
	v_pk_mul_f32 v[4:5], v[6:7], v[2:3] op_sel:[0,1]
	s_delay_alu instid0(VALU_DEP_2) | instskip(NEXT) | instid1(VALU_DEP_2)
	v_pk_add_f32 v[140:141], v[140:141], v[10:11] neg_lo:[0,1] neg_hi:[0,1]
	v_pk_fma_f32 v[8:9], v[6:7], v[0:1], v[4:5] op_sel:[0,0,1] op_sel_hi:[1,1,0] neg_lo:[0,0,1] neg_hi:[0,0,1]
	v_pk_fma_f32 v[4:5], v[6:7], v[0:1], v[4:5] op_sel:[0,0,1] op_sel_hi:[1,0,0]
	s_delay_alu instid0(VALU_DEP_1) | instskip(SKIP_4) | instid1(VALU_DEP_1)
	v_mov_b32_e32 v9, v5
	ds_load_2addr_b64 v[4:7], v134 offset0:37 offset1:38
	v_pk_add_f32 v[162:163], v[162:163], v[8:9] neg_lo:[0,1] neg_hi:[0,1]
	s_wait_dscnt 0x0
	v_pk_mul_f32 v[8:9], v[4:5], v[2:3] op_sel:[0,1]
	v_pk_fma_f32 v[10:11], v[4:5], v[0:1], v[8:9] op_sel:[0,0,1] op_sel_hi:[1,1,0] neg_lo:[0,0,1] neg_hi:[0,0,1]
	v_pk_fma_f32 v[4:5], v[4:5], v[0:1], v[8:9] op_sel:[0,0,1] op_sel_hi:[1,0,0]
	v_dual_mul_f32 v8, v7, v3 :: v_dual_mov_b32 v4, v7
	s_delay_alu instid0(VALU_DEP_2) | instskip(NEXT) | instid1(VALU_DEP_2)
	v_dual_mov_b32 v11, v5 :: v_dual_mov_b32 v5, v6
	v_pk_fma_f32 v[8:9], v[6:7], v[26:27], v[8:9] op_sel_hi:[1,1,0] neg_lo:[0,0,1] neg_hi:[0,0,1]
	v_mul_f32_e32 v6, v7, v0
	s_delay_alu instid0(VALU_DEP_3) | instskip(NEXT) | instid1(VALU_DEP_2)
	v_pk_add_f32 v[158:159], v[158:159], v[10:11] neg_lo:[0,1] neg_hi:[0,1]
	v_pk_fma_f32 v[4:5], v[4:5], v[26:27], v[6:7] op_sel_hi:[1,1,0]
	s_delay_alu instid0(VALU_DEP_1) | instskip(SKIP_4) | instid1(VALU_DEP_1)
	v_mov_b32_e32 v9, v5
	ds_load_2addr_b64 v[4:7], v134 offset0:39 offset1:40
	v_pk_add_f32 v[160:161], v[160:161], v[8:9] neg_lo:[0,1] neg_hi:[0,1]
	s_wait_dscnt 0x0
	v_pk_mul_f32 v[8:9], v[4:5], v[2:3] op_sel:[0,1]
	v_pk_fma_f32 v[10:11], v[4:5], v[0:1], v[8:9] op_sel:[0,0,1] op_sel_hi:[1,1,0] neg_lo:[0,0,1] neg_hi:[0,0,1]
	v_pk_fma_f32 v[4:5], v[4:5], v[0:1], v[8:9] op_sel:[0,0,1] op_sel_hi:[1,0,0]
	s_delay_alu instid0(VALU_DEP_1) | instskip(SKIP_1) | instid1(VALU_DEP_1)
	v_mov_b32_e32 v11, v5
	v_pk_mul_f32 v[4:5], v[6:7], v[2:3] op_sel:[0,1]
	v_pk_fma_f32 v[8:9], v[6:7], v[0:1], v[4:5] op_sel:[0,0,1] op_sel_hi:[1,1,0] neg_lo:[0,0,1] neg_hi:[0,0,1]
	v_pk_fma_f32 v[4:5], v[6:7], v[0:1], v[4:5] op_sel:[0,0,1] op_sel_hi:[1,0,0]
	s_delay_alu instid0(VALU_DEP_1)
	v_mov_b32_e32 v9, v5
	ds_load_2addr_b64 v[4:7], v134 offset0:41 offset1:42
	v_pk_add_f32 v[156:157], v[156:157], v[10:11] neg_lo:[0,1] neg_hi:[0,1]
	v_pk_add_f32 v[184:185], v[184:185], v[8:9] neg_lo:[0,1] neg_hi:[0,1]
	s_wait_dscnt 0x0
	v_pk_mul_f32 v[8:9], v[4:5], v[2:3] op_sel:[0,1]
	s_delay_alu instid0(VALU_DEP_1) | instskip(SKIP_1) | instid1(VALU_DEP_1)
	v_pk_fma_f32 v[10:11], v[4:5], v[0:1], v[8:9] op_sel:[0,0,1] op_sel_hi:[1,1,0] neg_lo:[0,0,1] neg_hi:[0,0,1]
	v_pk_fma_f32 v[4:5], v[4:5], v[0:1], v[8:9] op_sel:[0,0,1] op_sel_hi:[1,0,0]
	v_mov_b32_e32 v11, v5
	v_pk_mul_f32 v[4:5], v[6:7], v[2:3] op_sel:[0,1]
	s_delay_alu instid0(VALU_DEP_1) | instskip(SKIP_1) | instid1(VALU_DEP_1)
	v_pk_fma_f32 v[8:9], v[6:7], v[0:1], v[4:5] op_sel:[0,0,1] op_sel_hi:[1,1,0] neg_lo:[0,0,1] neg_hi:[0,0,1]
	v_pk_fma_f32 v[4:5], v[6:7], v[0:1], v[4:5] op_sel:[0,0,1] op_sel_hi:[1,0,0]
	v_mov_b32_e32 v9, v5
	ds_load_2addr_b64 v[4:7], v134 offset0:43 offset1:44
	v_pk_add_f32 v[180:181], v[180:181], v[10:11] neg_lo:[0,1] neg_hi:[0,1]
	v_pk_add_f32 v[182:183], v[182:183], v[8:9] neg_lo:[0,1] neg_hi:[0,1]
	s_wait_dscnt 0x0
	v_dual_mul_f32 v8, v5, v3 :: v_dual_mul_f32 v10, v5, v0
	s_delay_alu instid0(VALU_DEP_1) | instskip(NEXT) | instid1(VALU_DEP_2)
	v_pk_fma_f32 v[8:9], v[4:5], v[26:27], v[8:9] op_sel_hi:[1,1,0] neg_lo:[0,0,1] neg_hi:[0,0,1]
	v_pk_fma_f32 v[4:5], v[4:5], v[26:27], v[10:11] op_sel:[1,0,0] op_sel_hi:[0,1,0]
	s_delay_alu instid0(VALU_DEP_1) | instskip(SKIP_1) | instid1(VALU_DEP_2)
	v_mov_b32_e32 v9, v5
	v_pk_mul_f32 v[4:5], v[6:7], v[2:3] op_sel:[0,1]
	v_pk_add_f32 v[178:179], v[178:179], v[8:9] neg_lo:[0,1] neg_hi:[0,1]
	s_delay_alu instid0(VALU_DEP_2) | instskip(SKIP_1) | instid1(VALU_DEP_1)
	v_pk_fma_f32 v[8:9], v[6:7], v[0:1], v[4:5] op_sel:[0,0,1] op_sel_hi:[1,1,0] neg_lo:[0,0,1] neg_hi:[0,0,1]
	v_pk_fma_f32 v[4:5], v[6:7], v[0:1], v[4:5] op_sel:[0,0,1] op_sel_hi:[1,0,0]
	v_mov_b32_e32 v9, v5
	ds_load_2addr_b64 v[4:7], v134 offset0:45 offset1:46
	v_pk_add_f32 v[208:209], v[208:209], v[8:9] neg_lo:[0,1] neg_hi:[0,1]
	s_wait_dscnt 0x0
	v_pk_mul_f32 v[8:9], v[4:5], v[2:3] op_sel:[0,1]
	s_delay_alu instid0(VALU_DEP_1) | instskip(SKIP_1) | instid1(VALU_DEP_1)
	v_pk_fma_f32 v[10:11], v[4:5], v[0:1], v[8:9] op_sel:[0,0,1] op_sel_hi:[1,1,0] neg_lo:[0,0,1] neg_hi:[0,0,1]
	v_pk_fma_f32 v[4:5], v[4:5], v[0:1], v[8:9] op_sel:[0,0,1] op_sel_hi:[1,0,0]
	v_mov_b32_e32 v11, v5
	v_pk_mul_f32 v[4:5], v[6:7], v[2:3] op_sel:[0,1]
	s_delay_alu instid0(VALU_DEP_2) | instskip(NEXT) | instid1(VALU_DEP_2)
	v_pk_add_f32 v[200:201], v[200:201], v[10:11] neg_lo:[0,1] neg_hi:[0,1]
	v_pk_fma_f32 v[8:9], v[6:7], v[0:1], v[4:5] op_sel:[0,0,1] op_sel_hi:[1,1,0] neg_lo:[0,0,1] neg_hi:[0,0,1]
	v_pk_fma_f32 v[4:5], v[6:7], v[0:1], v[4:5] op_sel:[0,0,1] op_sel_hi:[1,0,0]
	s_delay_alu instid0(VALU_DEP_1) | instskip(SKIP_4) | instid1(VALU_DEP_1)
	v_mov_b32_e32 v9, v5
	ds_load_2addr_b64 v[4:7], v134 offset0:47 offset1:48
	v_pk_add_f32 v[206:207], v[206:207], v[8:9] neg_lo:[0,1] neg_hi:[0,1]
	s_wait_dscnt 0x0
	v_pk_mul_f32 v[8:9], v[4:5], v[2:3] op_sel:[0,1]
	v_pk_fma_f32 v[10:11], v[4:5], v[0:1], v[8:9] op_sel:[0,0,1] op_sel_hi:[1,1,0] neg_lo:[0,0,1] neg_hi:[0,0,1]
	v_pk_fma_f32 v[4:5], v[4:5], v[0:1], v[8:9] op_sel:[0,0,1] op_sel_hi:[1,0,0]
	v_dual_mul_f32 v8, v7, v3 :: v_dual_mov_b32 v4, v7
	s_delay_alu instid0(VALU_DEP_2) | instskip(NEXT) | instid1(VALU_DEP_2)
	v_dual_mov_b32 v11, v5 :: v_dual_mov_b32 v5, v6
	v_pk_fma_f32 v[8:9], v[6:7], v[26:27], v[8:9] op_sel_hi:[1,1,0] neg_lo:[0,0,1] neg_hi:[0,0,1]
	v_mul_f32_e32 v6, v7, v0
	s_delay_alu instid0(VALU_DEP_3) | instskip(NEXT) | instid1(VALU_DEP_2)
	v_pk_add_f32 v[198:199], v[198:199], v[10:11] neg_lo:[0,1] neg_hi:[0,1]
	v_pk_fma_f32 v[4:5], v[4:5], v[26:27], v[6:7] op_sel_hi:[1,1,0]
	s_delay_alu instid0(VALU_DEP_1) | instskip(SKIP_4) | instid1(VALU_DEP_1)
	v_mov_b32_e32 v9, v5
	ds_load_2addr_b64 v[4:7], v134 offset0:49 offset1:50
	v_pk_add_f32 v[204:205], v[204:205], v[8:9] neg_lo:[0,1] neg_hi:[0,1]
	s_wait_dscnt 0x0
	v_pk_mul_f32 v[8:9], v[4:5], v[2:3] op_sel:[0,1]
	v_pk_fma_f32 v[10:11], v[4:5], v[0:1], v[8:9] op_sel:[0,0,1] op_sel_hi:[1,1,0] neg_lo:[0,0,1] neg_hi:[0,0,1]
	v_pk_fma_f32 v[4:5], v[4:5], v[0:1], v[8:9] op_sel:[0,0,1] op_sel_hi:[1,0,0]
	s_delay_alu instid0(VALU_DEP_1) | instskip(SKIP_1) | instid1(VALU_DEP_1)
	v_mov_b32_e32 v11, v5
	v_pk_mul_f32 v[4:5], v[6:7], v[2:3] op_sel:[0,1]
	v_pk_fma_f32 v[8:9], v[6:7], v[0:1], v[4:5] op_sel:[0,0,1] op_sel_hi:[1,1,0] neg_lo:[0,0,1] neg_hi:[0,0,1]
	v_pk_fma_f32 v[4:5], v[6:7], v[0:1], v[4:5] op_sel:[0,0,1] op_sel_hi:[1,0,0]
	s_delay_alu instid0(VALU_DEP_1)
	v_mov_b32_e32 v9, v5
	ds_load_2addr_b64 v[4:7], v134 offset0:51 offset1:52
	v_pk_add_f32 v[196:197], v[196:197], v[10:11] neg_lo:[0,1] neg_hi:[0,1]
	v_pk_add_f32 v[202:203], v[202:203], v[8:9] neg_lo:[0,1] neg_hi:[0,1]
	s_wait_dscnt 0x0
	v_pk_mul_f32 v[8:9], v[4:5], v[2:3] op_sel:[0,1]
	v_mul_f32_e32 v2, v7, v3
	s_delay_alu instid0(VALU_DEP_2) | instskip(SKIP_2) | instid1(VALU_DEP_4)
	v_pk_fma_f32 v[10:11], v[4:5], v[0:1], v[8:9] op_sel:[0,0,1] op_sel_hi:[1,1,0] neg_lo:[0,0,1] neg_hi:[0,0,1]
	v_pk_fma_f32 v[4:5], v[4:5], v[0:1], v[8:9] op_sel:[0,0,1] op_sel_hi:[1,0,0]
	v_dual_mov_b32 v4, v7 :: v_dual_mul_f32 v0, v7, v0
	v_pk_fma_f32 v[2:3], v[6:7], v[26:27], v[2:3] op_sel_hi:[1,1,0] neg_lo:[0,0,1] neg_hi:[0,0,1]
	s_delay_alu instid0(VALU_DEP_3) | instskip(NEXT) | instid1(VALU_DEP_1)
	v_dual_mov_b32 v11, v5 :: v_dual_mov_b32 v5, v6
	v_pk_add_f32 v[210:211], v[210:211], v[10:11] neg_lo:[0,1] neg_hi:[0,1]
	s_delay_alu instid0(VALU_DEP_2) | instskip(NEXT) | instid1(VALU_DEP_1)
	v_pk_fma_f32 v[0:1], v[4:5], v[26:27], v[0:1] op_sel_hi:[1,1,0]
	v_mov_b32_e32 v3, v1
	s_delay_alu instid0(VALU_DEP_1)
	v_pk_add_f32 v[212:213], v[212:213], v[2:3] neg_lo:[0,1] neg_hi:[0,1]
.LBB105_46:
	s_wait_xcnt 0x0
	s_or_b32 exec_lo, exec_lo, s1
	s_delay_alu instid0(SALU_CYCLE_1)
	s_mov_b32 s2, exec_lo
	s_wait_storecnt 0x0
	s_barrier_signal -1
	s_barrier_wait -1
	v_cmpx_eq_u32_e32 5, v132
	s_cbranch_execz .LBB105_53
; %bb.47:
	v_dual_mov_b32 v0, v24 :: v_dual_mov_b32 v1, v25
	v_dual_mov_b32 v2, v20 :: v_dual_mov_b32 v3, v21
	;; [unrolled: 1-line block ×10, first 2 shown]
	ds_store_b64 v133, v[22:23]
	v_dual_mov_b32 v30, v80 :: v_dual_mov_b32 v31, v81
	v_dual_mov_b32 v32, v76 :: v_dual_mov_b32 v33, v77
	ds_store_2addr_b64 v134, v[0:1], v[2:3] offset0:6 offset1:7
	ds_store_2addr_b64 v134, v[4:5], v[6:7] offset0:8 offset1:9
	ds_store_2addr_b64 v134, v[8:9], v[10:11] offset0:10 offset1:11
	ds_store_2addr_b64 v134, v[12:13], v[14:15] offset0:12 offset1:13
	ds_store_2addr_b64 v134, v[18:19], v[28:29] offset0:14 offset1:15
	ds_store_2addr_b64 v134, v[30:31], v[32:33] offset0:16 offset1:17
	v_dual_mov_b32 v0, v78 :: v_dual_mov_b32 v1, v79
	v_dual_mov_b32 v2, v74 :: v_dual_mov_b32 v3, v75
	v_dual_mov_b32 v4, v96 :: v_dual_mov_b32 v5, v97
	v_dual_mov_b32 v6, v92 :: v_dual_mov_b32 v7, v93
	v_dual_mov_b32 v8, v94 :: v_dual_mov_b32 v9, v95
	v_dual_mov_b32 v10, v90 :: v_dual_mov_b32 v11, v91
	v_dual_mov_b32 v12, v112 :: v_dual_mov_b32 v13, v113
	v_dual_mov_b32 v14, v108 :: v_dual_mov_b32 v15, v109
	v_dual_mov_b32 v18, v110 :: v_dual_mov_b32 v19, v111
	v_dual_mov_b32 v28, v106 :: v_dual_mov_b32 v29, v107
	v_dual_mov_b32 v30, v130 :: v_dual_mov_b32 v31, v131
	v_dual_mov_b32 v32, v126 :: v_dual_mov_b32 v33, v127
	ds_store_2addr_b64 v134, v[0:1], v[2:3] offset0:18 offset1:19
	ds_store_2addr_b64 v134, v[4:5], v[6:7] offset0:20 offset1:21
	ds_store_2addr_b64 v134, v[8:9], v[10:11] offset0:22 offset1:23
	ds_store_2addr_b64 v134, v[12:13], v[14:15] offset0:24 offset1:25
	ds_store_2addr_b64 v134, v[18:19], v[28:29] offset0:26 offset1:27
	ds_store_2addr_b64 v134, v[30:31], v[32:33] offset0:28 offset1:29
	v_dual_mov_b32 v0, v128 :: v_dual_mov_b32 v1, v129
	v_dual_mov_b32 v2, v124 :: v_dual_mov_b32 v3, v125
	v_dual_mov_b32 v4, v146 :: v_dual_mov_b32 v5, v147
	v_dual_mov_b32 v6, v142 :: v_dual_mov_b32 v7, v143
	v_dual_mov_b32 v8, v144 :: v_dual_mov_b32 v9, v145
	v_dual_mov_b32 v10, v140 :: v_dual_mov_b32 v11, v141
	v_dual_mov_b32 v12, v162 :: v_dual_mov_b32 v13, v163
	v_dual_mov_b32 v14, v158 :: v_dual_mov_b32 v15, v159
	v_dual_mov_b32 v18, v160 :: v_dual_mov_b32 v19, v161
	v_dual_mov_b32 v28, v156 :: v_dual_mov_b32 v29, v157
	;; [unrolled: 18-line block ×3, first 2 shown]
	ds_store_2addr_b64 v134, v[0:1], v[2:3] offset0:42 offset1:43
	ds_store_2addr_b64 v134, v[4:5], v[6:7] offset0:44 offset1:45
	;; [unrolled: 1-line block ×5, first 2 shown]
	ds_store_b64 v134, v[212:213] offset:416
	ds_load_b64 v[0:1], v133
	s_wait_dscnt 0x0
	v_cmp_neq_f32_e32 vcc_lo, 0, v0
	v_cmp_neq_f32_e64 s1, 0, v1
	s_or_b32 s1, vcc_lo, s1
	s_delay_alu instid0(SALU_CYCLE_1)
	s_and_b32 exec_lo, exec_lo, s1
	s_cbranch_execz .LBB105_53
; %bb.48:
	v_cmp_ngt_f32_e64 s1, |v0|, |v1|
                                        ; implicit-def: $vgpr2_vgpr3
	s_and_saveexec_b32 s4, s1
	s_delay_alu instid0(SALU_CYCLE_1)
	s_xor_b32 s1, exec_lo, s4
	s_cbranch_execz .LBB105_50
; %bb.49:
	v_div_scale_f32 v2, null, v1, v1, v0
	v_div_scale_f32 v5, vcc_lo, v0, v1, v0
	s_delay_alu instid0(VALU_DEP_2) | instskip(SKIP_1) | instid1(TRANS32_DEP_1)
	v_rcp_f32_e32 v3, v2
	v_nop
	v_fma_f32 v4, -v2, v3, 1.0
	s_delay_alu instid0(VALU_DEP_1) | instskip(NEXT) | instid1(VALU_DEP_1)
	v_fmac_f32_e32 v3, v4, v3
	v_mul_f32_e32 v4, v5, v3
	s_delay_alu instid0(VALU_DEP_1) | instskip(NEXT) | instid1(VALU_DEP_1)
	v_fma_f32 v6, -v2, v4, v5
	v_fmac_f32_e32 v4, v6, v3
	s_delay_alu instid0(VALU_DEP_1) | instskip(NEXT) | instid1(VALU_DEP_1)
	v_fma_f32 v2, -v2, v4, v5
	v_div_fmas_f32 v2, v2, v3, v4
	s_delay_alu instid0(VALU_DEP_1) | instskip(NEXT) | instid1(VALU_DEP_1)
	v_div_fixup_f32 v2, v2, v1, v0
	v_fmac_f32_e32 v1, v0, v2
	s_delay_alu instid0(VALU_DEP_1) | instskip(SKIP_1) | instid1(VALU_DEP_2)
	v_div_scale_f32 v0, null, v1, v1, 1.0
	v_div_scale_f32 v5, vcc_lo, 1.0, v1, 1.0
	v_rcp_f32_e32 v3, v0
	v_nop
	s_delay_alu instid0(TRANS32_DEP_1) | instskip(NEXT) | instid1(VALU_DEP_1)
	v_fma_f32 v4, -v0, v3, 1.0
	v_fmac_f32_e32 v3, v4, v3
	s_delay_alu instid0(VALU_DEP_1) | instskip(NEXT) | instid1(VALU_DEP_1)
	v_mul_f32_e32 v4, v5, v3
	v_fma_f32 v6, -v0, v4, v5
	s_delay_alu instid0(VALU_DEP_1) | instskip(NEXT) | instid1(VALU_DEP_1)
	v_fmac_f32_e32 v4, v6, v3
	v_fma_f32 v0, -v0, v4, v5
	s_delay_alu instid0(VALU_DEP_1) | instskip(NEXT) | instid1(VALU_DEP_1)
	v_div_fmas_f32 v0, v0, v3, v4
	v_div_fixup_f32 v0, v0, v1, 1.0
	s_delay_alu instid0(VALU_DEP_1)
	v_mul_f32_e32 v2, v2, v0
	v_xor_b32_e32 v3, 0x80000000, v0
                                        ; implicit-def: $vgpr0_vgpr1
.LBB105_50:
	s_and_not1_saveexec_b32 s1, s1
	s_cbranch_execz .LBB105_52
; %bb.51:
	v_div_scale_f32 v2, null, v0, v0, v1
	v_div_scale_f32 v5, vcc_lo, v1, v0, v1
	s_delay_alu instid0(VALU_DEP_2) | instskip(SKIP_1) | instid1(TRANS32_DEP_1)
	v_rcp_f32_e32 v3, v2
	v_nop
	v_fma_f32 v4, -v2, v3, 1.0
	s_delay_alu instid0(VALU_DEP_1) | instskip(NEXT) | instid1(VALU_DEP_1)
	v_fmac_f32_e32 v3, v4, v3
	v_mul_f32_e32 v4, v5, v3
	s_delay_alu instid0(VALU_DEP_1) | instskip(NEXT) | instid1(VALU_DEP_1)
	v_fma_f32 v6, -v2, v4, v5
	v_fmac_f32_e32 v4, v6, v3
	s_delay_alu instid0(VALU_DEP_1) | instskip(NEXT) | instid1(VALU_DEP_1)
	v_fma_f32 v2, -v2, v4, v5
	v_div_fmas_f32 v2, v2, v3, v4
	s_delay_alu instid0(VALU_DEP_1) | instskip(NEXT) | instid1(VALU_DEP_1)
	v_div_fixup_f32 v3, v2, v0, v1
	v_fmac_f32_e32 v0, v1, v3
	s_delay_alu instid0(VALU_DEP_1) | instskip(NEXT) | instid1(VALU_DEP_1)
	v_div_scale_f32 v1, null, v0, v0, 1.0
	v_rcp_f32_e32 v2, v1
	v_nop
	s_delay_alu instid0(TRANS32_DEP_1) | instskip(NEXT) | instid1(VALU_DEP_1)
	v_fma_f32 v4, -v1, v2, 1.0
	v_fmac_f32_e32 v2, v4, v2
	v_div_scale_f32 v4, vcc_lo, 1.0, v0, 1.0
	s_delay_alu instid0(VALU_DEP_1) | instskip(NEXT) | instid1(VALU_DEP_1)
	v_mul_f32_e32 v5, v4, v2
	v_fma_f32 v6, -v1, v5, v4
	s_delay_alu instid0(VALU_DEP_1) | instskip(NEXT) | instid1(VALU_DEP_1)
	v_fmac_f32_e32 v5, v6, v2
	v_fma_f32 v1, -v1, v5, v4
	s_delay_alu instid0(VALU_DEP_1) | instskip(NEXT) | instid1(VALU_DEP_1)
	v_div_fmas_f32 v1, v1, v2, v5
	v_div_fixup_f32 v2, v1, v0, 1.0
	s_delay_alu instid0(VALU_DEP_1)
	v_mul_f32_e64 v3, v3, -v2
.LBB105_52:
	s_or_b32 exec_lo, exec_lo, s1
	ds_store_b64 v133, v[2:3]
.LBB105_53:
	s_or_b32 exec_lo, exec_lo, s2
	s_wait_dscnt 0x0
	s_barrier_signal -1
	s_barrier_wait -1
	ds_load_b64 v[0:1], v133
	s_mov_b32 s1, exec_lo
	s_wait_dscnt 0x0
	scratch_store_b64 off, v[0:1], off offset:168 ; 8-byte Folded Spill
	s_wait_xcnt 0x0
	v_cmpx_lt_u32_e32 5, v132
	s_cbranch_execz .LBB105_55
; %bb.54:
	scratch_load_b64 v[4:5], off, off offset:168 ; 8-byte Folded Reload
	s_wait_loadcnt 0x0
	v_pk_mul_f32 v[2:3], v[4:5], v[22:23] op_sel:[1,1] op_sel_hi:[0,1]
	s_delay_alu instid0(VALU_DEP_1)
	v_pk_fma_f32 v[0:1], v[4:5], v[22:23], v[2:3] op_sel_hi:[1,0,1] neg_lo:[0,0,1] neg_hi:[0,0,1]
	v_pk_fma_f32 v[2:3], v[4:5], v[22:23], v[2:3] op_sel_hi:[1,0,1]
	ds_load_2addr_b64 v[4:7], v134 offset0:6 offset1:7
	v_dual_mov_b32 v22, v0 :: v_dual_mov_b32 v23, v3
	s_wait_dscnt 0x0
	v_pk_mul_f32 v[8:9], v[4:5], v[2:3] op_sel:[0,1]
	s_delay_alu instid0(VALU_DEP_1) | instskip(SKIP_1) | instid1(VALU_DEP_1)
	v_pk_fma_f32 v[10:11], v[4:5], v[0:1], v[8:9] op_sel:[0,0,1] op_sel_hi:[1,1,0] neg_lo:[0,0,1] neg_hi:[0,0,1]
	v_pk_fma_f32 v[4:5], v[4:5], v[0:1], v[8:9] op_sel:[0,0,1] op_sel_hi:[1,0,0]
	v_mov_b32_e32 v11, v5
	v_pk_mul_f32 v[4:5], v[6:7], v[2:3] op_sel:[0,1]
	s_delay_alu instid0(VALU_DEP_1) | instskip(SKIP_1) | instid1(VALU_DEP_1)
	v_pk_fma_f32 v[8:9], v[6:7], v[0:1], v[4:5] op_sel:[0,0,1] op_sel_hi:[1,1,0] neg_lo:[0,0,1] neg_hi:[0,0,1]
	v_pk_fma_f32 v[4:5], v[6:7], v[0:1], v[4:5] op_sel:[0,0,1] op_sel_hi:[1,0,0]
	v_mov_b32_e32 v9, v5
	ds_load_2addr_b64 v[4:7], v134 offset0:8 offset1:9
	v_pk_add_f32 v[24:25], v[24:25], v[10:11] neg_lo:[0,1] neg_hi:[0,1]
	v_pk_add_f32 v[20:21], v[20:21], v[8:9] neg_lo:[0,1] neg_hi:[0,1]
	s_wait_dscnt 0x0
	v_pk_mul_f32 v[8:9], v[4:5], v[2:3] op_sel:[0,1]
	s_delay_alu instid0(VALU_DEP_1) | instskip(SKIP_2) | instid1(VALU_DEP_2)
	v_pk_fma_f32 v[10:11], v[4:5], v[0:1], v[8:9] op_sel:[0,0,1] op_sel_hi:[1,1,0] neg_lo:[0,0,1] neg_hi:[0,0,1]
	v_pk_fma_f32 v[4:5], v[4:5], v[0:1], v[8:9] op_sel:[0,0,1] op_sel_hi:[1,0,0]
	v_dual_mul_f32 v8, v7, v3 :: v_dual_mov_b32 v4, v7
	v_dual_mov_b32 v11, v5 :: v_dual_mov_b32 v5, v6
	s_delay_alu instid0(VALU_DEP_2) | instskip(SKIP_1) | instid1(VALU_DEP_3)
	v_pk_fma_f32 v[8:9], v[6:7], v[22:23], v[8:9] op_sel_hi:[1,1,0] neg_lo:[0,0,1] neg_hi:[0,0,1]
	v_mul_f32_e32 v6, v7, v0
	v_pk_add_f32 v[40:41], v[40:41], v[10:11] neg_lo:[0,1] neg_hi:[0,1]
	s_delay_alu instid0(VALU_DEP_2) | instskip(NEXT) | instid1(VALU_DEP_1)
	v_pk_fma_f32 v[4:5], v[4:5], v[22:23], v[6:7] op_sel_hi:[1,1,0]
	v_mov_b32_e32 v9, v5
	ds_load_2addr_b64 v[4:7], v134 offset0:10 offset1:11
	v_pk_add_f32 v[36:37], v[36:37], v[8:9] neg_lo:[0,1] neg_hi:[0,1]
	s_wait_dscnt 0x0
	v_pk_mul_f32 v[8:9], v[4:5], v[2:3] op_sel:[0,1]
	s_delay_alu instid0(VALU_DEP_1) | instskip(SKIP_1) | instid1(VALU_DEP_1)
	v_pk_fma_f32 v[10:11], v[4:5], v[0:1], v[8:9] op_sel:[0,0,1] op_sel_hi:[1,1,0] neg_lo:[0,0,1] neg_hi:[0,0,1]
	v_pk_fma_f32 v[4:5], v[4:5], v[0:1], v[8:9] op_sel:[0,0,1] op_sel_hi:[1,0,0]
	v_mov_b32_e32 v11, v5
	v_pk_mul_f32 v[4:5], v[6:7], v[2:3] op_sel:[0,1]
	s_delay_alu instid0(VALU_DEP_1) | instskip(SKIP_1) | instid1(VALU_DEP_1)
	v_pk_fma_f32 v[8:9], v[6:7], v[0:1], v[4:5] op_sel:[0,0,1] op_sel_hi:[1,1,0] neg_lo:[0,0,1] neg_hi:[0,0,1]
	v_pk_fma_f32 v[4:5], v[6:7], v[0:1], v[4:5] op_sel:[0,0,1] op_sel_hi:[1,0,0]
	v_mov_b32_e32 v9, v5
	ds_load_2addr_b64 v[4:7], v134 offset0:12 offset1:13
	v_pk_add_f32 v[38:39], v[38:39], v[10:11] neg_lo:[0,1] neg_hi:[0,1]
	v_pk_add_f32 v[34:35], v[34:35], v[8:9] neg_lo:[0,1] neg_hi:[0,1]
	s_wait_dscnt 0x0
	v_pk_mul_f32 v[8:9], v[4:5], v[2:3] op_sel:[0,1]
	s_delay_alu instid0(VALU_DEP_1) | instskip(SKIP_1) | instid1(VALU_DEP_1)
	v_pk_fma_f32 v[10:11], v[4:5], v[0:1], v[8:9] op_sel:[0,0,1] op_sel_hi:[1,1,0] neg_lo:[0,0,1] neg_hi:[0,0,1]
	v_pk_fma_f32 v[4:5], v[4:5], v[0:1], v[8:9] op_sel:[0,0,1] op_sel_hi:[1,0,0]
	v_mov_b32_e32 v11, v5
	v_pk_mul_f32 v[4:5], v[6:7], v[2:3] op_sel:[0,1]
	s_delay_alu instid0(VALU_DEP_1) | instskip(SKIP_1) | instid1(VALU_DEP_1)
	v_pk_fma_f32 v[8:9], v[6:7], v[0:1], v[4:5] op_sel:[0,0,1] op_sel_hi:[1,1,0] neg_lo:[0,0,1] neg_hi:[0,0,1]
	v_pk_fma_f32 v[4:5], v[6:7], v[0:1], v[4:5] op_sel:[0,0,1] op_sel_hi:[1,0,0]
	v_mov_b32_e32 v9, v5
	ds_load_2addr_b64 v[4:7], v134 offset0:14 offset1:15
	v_pk_add_f32 v[64:65], v[64:65], v[10:11] neg_lo:[0,1] neg_hi:[0,1]
	v_pk_add_f32 v[60:61], v[60:61], v[8:9] neg_lo:[0,1] neg_hi:[0,1]
	s_wait_dscnt 0x0
	v_dual_mul_f32 v8, v5, v3 :: v_dual_mul_f32 v10, v5, v0
	s_delay_alu instid0(VALU_DEP_1) | instskip(NEXT) | instid1(VALU_DEP_2)
	v_pk_fma_f32 v[8:9], v[4:5], v[22:23], v[8:9] op_sel_hi:[1,1,0] neg_lo:[0,0,1] neg_hi:[0,0,1]
	v_pk_fma_f32 v[4:5], v[4:5], v[22:23], v[10:11] op_sel:[1,0,0] op_sel_hi:[0,1,0]
	s_delay_alu instid0(VALU_DEP_1) | instskip(SKIP_1) | instid1(VALU_DEP_2)
	v_mov_b32_e32 v9, v5
	v_pk_mul_f32 v[4:5], v[6:7], v[2:3] op_sel:[0,1]
	v_pk_add_f32 v[62:63], v[62:63], v[8:9] neg_lo:[0,1] neg_hi:[0,1]
	s_delay_alu instid0(VALU_DEP_2) | instskip(SKIP_1) | instid1(VALU_DEP_1)
	v_pk_fma_f32 v[8:9], v[6:7], v[0:1], v[4:5] op_sel:[0,0,1] op_sel_hi:[1,1,0] neg_lo:[0,0,1] neg_hi:[0,0,1]
	v_pk_fma_f32 v[4:5], v[6:7], v[0:1], v[4:5] op_sel:[0,0,1] op_sel_hi:[1,0,0]
	v_mov_b32_e32 v9, v5
	ds_load_2addr_b64 v[4:7], v134 offset0:16 offset1:17
	v_pk_add_f32 v[58:59], v[58:59], v[8:9] neg_lo:[0,1] neg_hi:[0,1]
	s_wait_dscnt 0x0
	v_pk_mul_f32 v[8:9], v[4:5], v[2:3] op_sel:[0,1]
	s_delay_alu instid0(VALU_DEP_1) | instskip(SKIP_1) | instid1(VALU_DEP_1)
	v_pk_fma_f32 v[10:11], v[4:5], v[0:1], v[8:9] op_sel:[0,0,1] op_sel_hi:[1,1,0] neg_lo:[0,0,1] neg_hi:[0,0,1]
	v_pk_fma_f32 v[4:5], v[4:5], v[0:1], v[8:9] op_sel:[0,0,1] op_sel_hi:[1,0,0]
	v_mov_b32_e32 v11, v5
	v_pk_mul_f32 v[4:5], v[6:7], v[2:3] op_sel:[0,1]
	s_delay_alu instid0(VALU_DEP_2) | instskip(NEXT) | instid1(VALU_DEP_2)
	v_pk_add_f32 v[80:81], v[80:81], v[10:11] neg_lo:[0,1] neg_hi:[0,1]
	v_pk_fma_f32 v[8:9], v[6:7], v[0:1], v[4:5] op_sel:[0,0,1] op_sel_hi:[1,1,0] neg_lo:[0,0,1] neg_hi:[0,0,1]
	v_pk_fma_f32 v[4:5], v[6:7], v[0:1], v[4:5] op_sel:[0,0,1] op_sel_hi:[1,0,0]
	s_delay_alu instid0(VALU_DEP_1) | instskip(SKIP_4) | instid1(VALU_DEP_1)
	v_mov_b32_e32 v9, v5
	ds_load_2addr_b64 v[4:7], v134 offset0:18 offset1:19
	v_pk_add_f32 v[76:77], v[76:77], v[8:9] neg_lo:[0,1] neg_hi:[0,1]
	s_wait_dscnt 0x0
	v_pk_mul_f32 v[8:9], v[4:5], v[2:3] op_sel:[0,1]
	v_pk_fma_f32 v[10:11], v[4:5], v[0:1], v[8:9] op_sel:[0,0,1] op_sel_hi:[1,1,0] neg_lo:[0,0,1] neg_hi:[0,0,1]
	v_pk_fma_f32 v[4:5], v[4:5], v[0:1], v[8:9] op_sel:[0,0,1] op_sel_hi:[1,0,0]
	v_dual_mul_f32 v8, v7, v3 :: v_dual_mov_b32 v4, v7
	s_delay_alu instid0(VALU_DEP_2) | instskip(NEXT) | instid1(VALU_DEP_2)
	v_dual_mov_b32 v11, v5 :: v_dual_mov_b32 v5, v6
	v_pk_fma_f32 v[8:9], v[6:7], v[22:23], v[8:9] op_sel_hi:[1,1,0] neg_lo:[0,0,1] neg_hi:[0,0,1]
	v_mul_f32_e32 v6, v7, v0
	s_delay_alu instid0(VALU_DEP_3) | instskip(NEXT) | instid1(VALU_DEP_2)
	v_pk_add_f32 v[78:79], v[78:79], v[10:11] neg_lo:[0,1] neg_hi:[0,1]
	v_pk_fma_f32 v[4:5], v[4:5], v[22:23], v[6:7] op_sel_hi:[1,1,0]
	s_delay_alu instid0(VALU_DEP_1) | instskip(SKIP_4) | instid1(VALU_DEP_1)
	v_mov_b32_e32 v9, v5
	ds_load_2addr_b64 v[4:7], v134 offset0:20 offset1:21
	v_pk_add_f32 v[74:75], v[74:75], v[8:9] neg_lo:[0,1] neg_hi:[0,1]
	s_wait_dscnt 0x0
	v_pk_mul_f32 v[8:9], v[4:5], v[2:3] op_sel:[0,1]
	v_pk_fma_f32 v[10:11], v[4:5], v[0:1], v[8:9] op_sel:[0,0,1] op_sel_hi:[1,1,0] neg_lo:[0,0,1] neg_hi:[0,0,1]
	v_pk_fma_f32 v[4:5], v[4:5], v[0:1], v[8:9] op_sel:[0,0,1] op_sel_hi:[1,0,0]
	s_delay_alu instid0(VALU_DEP_1) | instskip(SKIP_1) | instid1(VALU_DEP_1)
	v_mov_b32_e32 v11, v5
	v_pk_mul_f32 v[4:5], v[6:7], v[2:3] op_sel:[0,1]
	v_pk_fma_f32 v[8:9], v[6:7], v[0:1], v[4:5] op_sel:[0,0,1] op_sel_hi:[1,1,0] neg_lo:[0,0,1] neg_hi:[0,0,1]
	v_pk_fma_f32 v[4:5], v[6:7], v[0:1], v[4:5] op_sel:[0,0,1] op_sel_hi:[1,0,0]
	s_delay_alu instid0(VALU_DEP_1)
	v_mov_b32_e32 v9, v5
	ds_load_2addr_b64 v[4:7], v134 offset0:22 offset1:23
	v_pk_add_f32 v[96:97], v[96:97], v[10:11] neg_lo:[0,1] neg_hi:[0,1]
	v_pk_add_f32 v[92:93], v[92:93], v[8:9] neg_lo:[0,1] neg_hi:[0,1]
	s_wait_dscnt 0x0
	v_pk_mul_f32 v[8:9], v[4:5], v[2:3] op_sel:[0,1]
	s_delay_alu instid0(VALU_DEP_1) | instskip(SKIP_1) | instid1(VALU_DEP_1)
	v_pk_fma_f32 v[10:11], v[4:5], v[0:1], v[8:9] op_sel:[0,0,1] op_sel_hi:[1,1,0] neg_lo:[0,0,1] neg_hi:[0,0,1]
	v_pk_fma_f32 v[4:5], v[4:5], v[0:1], v[8:9] op_sel:[0,0,1] op_sel_hi:[1,0,0]
	v_mov_b32_e32 v11, v5
	v_pk_mul_f32 v[4:5], v[6:7], v[2:3] op_sel:[0,1]
	s_delay_alu instid0(VALU_DEP_1) | instskip(SKIP_1) | instid1(VALU_DEP_1)
	v_pk_fma_f32 v[8:9], v[6:7], v[0:1], v[4:5] op_sel:[0,0,1] op_sel_hi:[1,1,0] neg_lo:[0,0,1] neg_hi:[0,0,1]
	v_pk_fma_f32 v[4:5], v[6:7], v[0:1], v[4:5] op_sel:[0,0,1] op_sel_hi:[1,0,0]
	v_mov_b32_e32 v9, v5
	ds_load_2addr_b64 v[4:7], v134 offset0:24 offset1:25
	v_pk_add_f32 v[94:95], v[94:95], v[10:11] neg_lo:[0,1] neg_hi:[0,1]
	v_pk_add_f32 v[90:91], v[90:91], v[8:9] neg_lo:[0,1] neg_hi:[0,1]
	s_wait_dscnt 0x0
	v_dual_mul_f32 v8, v5, v3 :: v_dual_mul_f32 v10, v5, v0
	s_delay_alu instid0(VALU_DEP_1) | instskip(NEXT) | instid1(VALU_DEP_2)
	v_pk_fma_f32 v[8:9], v[4:5], v[22:23], v[8:9] op_sel_hi:[1,1,0] neg_lo:[0,0,1] neg_hi:[0,0,1]
	v_pk_fma_f32 v[4:5], v[4:5], v[22:23], v[10:11] op_sel:[1,0,0] op_sel_hi:[0,1,0]
	s_delay_alu instid0(VALU_DEP_1) | instskip(SKIP_1) | instid1(VALU_DEP_2)
	v_mov_b32_e32 v9, v5
	v_pk_mul_f32 v[4:5], v[6:7], v[2:3] op_sel:[0,1]
	v_pk_add_f32 v[112:113], v[112:113], v[8:9] neg_lo:[0,1] neg_hi:[0,1]
	s_delay_alu instid0(VALU_DEP_2) | instskip(SKIP_1) | instid1(VALU_DEP_1)
	v_pk_fma_f32 v[8:9], v[6:7], v[0:1], v[4:5] op_sel:[0,0,1] op_sel_hi:[1,1,0] neg_lo:[0,0,1] neg_hi:[0,0,1]
	v_pk_fma_f32 v[4:5], v[6:7], v[0:1], v[4:5] op_sel:[0,0,1] op_sel_hi:[1,0,0]
	v_mov_b32_e32 v9, v5
	ds_load_2addr_b64 v[4:7], v134 offset0:26 offset1:27
	v_pk_add_f32 v[108:109], v[108:109], v[8:9] neg_lo:[0,1] neg_hi:[0,1]
	s_wait_dscnt 0x0
	v_pk_mul_f32 v[8:9], v[4:5], v[2:3] op_sel:[0,1]
	s_delay_alu instid0(VALU_DEP_1) | instskip(SKIP_1) | instid1(VALU_DEP_1)
	v_pk_fma_f32 v[10:11], v[4:5], v[0:1], v[8:9] op_sel:[0,0,1] op_sel_hi:[1,1,0] neg_lo:[0,0,1] neg_hi:[0,0,1]
	v_pk_fma_f32 v[4:5], v[4:5], v[0:1], v[8:9] op_sel:[0,0,1] op_sel_hi:[1,0,0]
	v_mov_b32_e32 v11, v5
	v_pk_mul_f32 v[4:5], v[6:7], v[2:3] op_sel:[0,1]
	s_delay_alu instid0(VALU_DEP_2) | instskip(NEXT) | instid1(VALU_DEP_2)
	v_pk_add_f32 v[110:111], v[110:111], v[10:11] neg_lo:[0,1] neg_hi:[0,1]
	v_pk_fma_f32 v[8:9], v[6:7], v[0:1], v[4:5] op_sel:[0,0,1] op_sel_hi:[1,1,0] neg_lo:[0,0,1] neg_hi:[0,0,1]
	v_pk_fma_f32 v[4:5], v[6:7], v[0:1], v[4:5] op_sel:[0,0,1] op_sel_hi:[1,0,0]
	s_delay_alu instid0(VALU_DEP_1) | instskip(SKIP_4) | instid1(VALU_DEP_1)
	v_mov_b32_e32 v9, v5
	ds_load_2addr_b64 v[4:7], v134 offset0:28 offset1:29
	v_pk_add_f32 v[106:107], v[106:107], v[8:9] neg_lo:[0,1] neg_hi:[0,1]
	s_wait_dscnt 0x0
	v_pk_mul_f32 v[8:9], v[4:5], v[2:3] op_sel:[0,1]
	v_pk_fma_f32 v[10:11], v[4:5], v[0:1], v[8:9] op_sel:[0,0,1] op_sel_hi:[1,1,0] neg_lo:[0,0,1] neg_hi:[0,0,1]
	v_pk_fma_f32 v[4:5], v[4:5], v[0:1], v[8:9] op_sel:[0,0,1] op_sel_hi:[1,0,0]
	v_dual_mul_f32 v8, v7, v3 :: v_dual_mov_b32 v4, v7
	s_delay_alu instid0(VALU_DEP_2) | instskip(NEXT) | instid1(VALU_DEP_2)
	v_dual_mov_b32 v11, v5 :: v_dual_mov_b32 v5, v6
	v_pk_fma_f32 v[8:9], v[6:7], v[22:23], v[8:9] op_sel_hi:[1,1,0] neg_lo:[0,0,1] neg_hi:[0,0,1]
	v_mul_f32_e32 v6, v7, v0
	s_delay_alu instid0(VALU_DEP_3) | instskip(NEXT) | instid1(VALU_DEP_2)
	v_pk_add_f32 v[130:131], v[130:131], v[10:11] neg_lo:[0,1] neg_hi:[0,1]
	v_pk_fma_f32 v[4:5], v[4:5], v[22:23], v[6:7] op_sel_hi:[1,1,0]
	s_delay_alu instid0(VALU_DEP_1) | instskip(SKIP_4) | instid1(VALU_DEP_1)
	v_mov_b32_e32 v9, v5
	ds_load_2addr_b64 v[4:7], v134 offset0:30 offset1:31
	v_pk_add_f32 v[126:127], v[126:127], v[8:9] neg_lo:[0,1] neg_hi:[0,1]
	s_wait_dscnt 0x0
	v_pk_mul_f32 v[8:9], v[4:5], v[2:3] op_sel:[0,1]
	v_pk_fma_f32 v[10:11], v[4:5], v[0:1], v[8:9] op_sel:[0,0,1] op_sel_hi:[1,1,0] neg_lo:[0,0,1] neg_hi:[0,0,1]
	v_pk_fma_f32 v[4:5], v[4:5], v[0:1], v[8:9] op_sel:[0,0,1] op_sel_hi:[1,0,0]
	s_delay_alu instid0(VALU_DEP_1) | instskip(SKIP_1) | instid1(VALU_DEP_1)
	v_mov_b32_e32 v11, v5
	v_pk_mul_f32 v[4:5], v[6:7], v[2:3] op_sel:[0,1]
	v_pk_fma_f32 v[8:9], v[6:7], v[0:1], v[4:5] op_sel:[0,0,1] op_sel_hi:[1,1,0] neg_lo:[0,0,1] neg_hi:[0,0,1]
	v_pk_fma_f32 v[4:5], v[6:7], v[0:1], v[4:5] op_sel:[0,0,1] op_sel_hi:[1,0,0]
	s_delay_alu instid0(VALU_DEP_1)
	v_mov_b32_e32 v9, v5
	ds_load_2addr_b64 v[4:7], v134 offset0:32 offset1:33
	v_pk_add_f32 v[128:129], v[128:129], v[10:11] neg_lo:[0,1] neg_hi:[0,1]
	v_pk_add_f32 v[124:125], v[124:125], v[8:9] neg_lo:[0,1] neg_hi:[0,1]
	s_wait_dscnt 0x0
	v_pk_mul_f32 v[8:9], v[4:5], v[2:3] op_sel:[0,1]
	s_delay_alu instid0(VALU_DEP_1) | instskip(SKIP_1) | instid1(VALU_DEP_1)
	v_pk_fma_f32 v[10:11], v[4:5], v[0:1], v[8:9] op_sel:[0,0,1] op_sel_hi:[1,1,0] neg_lo:[0,0,1] neg_hi:[0,0,1]
	v_pk_fma_f32 v[4:5], v[4:5], v[0:1], v[8:9] op_sel:[0,0,1] op_sel_hi:[1,0,0]
	v_mov_b32_e32 v11, v5
	v_pk_mul_f32 v[4:5], v[6:7], v[2:3] op_sel:[0,1]
	s_delay_alu instid0(VALU_DEP_1) | instskip(SKIP_1) | instid1(VALU_DEP_1)
	v_pk_fma_f32 v[8:9], v[6:7], v[0:1], v[4:5] op_sel:[0,0,1] op_sel_hi:[1,1,0] neg_lo:[0,0,1] neg_hi:[0,0,1]
	v_pk_fma_f32 v[4:5], v[6:7], v[0:1], v[4:5] op_sel:[0,0,1] op_sel_hi:[1,0,0]
	v_mov_b32_e32 v9, v5
	ds_load_2addr_b64 v[4:7], v134 offset0:34 offset1:35
	v_pk_add_f32 v[146:147], v[146:147], v[10:11] neg_lo:[0,1] neg_hi:[0,1]
	v_pk_add_f32 v[142:143], v[142:143], v[8:9] neg_lo:[0,1] neg_hi:[0,1]
	s_wait_dscnt 0x0
	v_dual_mul_f32 v8, v5, v3 :: v_dual_mul_f32 v10, v5, v0
	s_delay_alu instid0(VALU_DEP_1) | instskip(NEXT) | instid1(VALU_DEP_2)
	v_pk_fma_f32 v[8:9], v[4:5], v[22:23], v[8:9] op_sel_hi:[1,1,0] neg_lo:[0,0,1] neg_hi:[0,0,1]
	v_pk_fma_f32 v[4:5], v[4:5], v[22:23], v[10:11] op_sel:[1,0,0] op_sel_hi:[0,1,0]
	s_delay_alu instid0(VALU_DEP_1) | instskip(SKIP_1) | instid1(VALU_DEP_2)
	v_mov_b32_e32 v9, v5
	v_pk_mul_f32 v[4:5], v[6:7], v[2:3] op_sel:[0,1]
	v_pk_add_f32 v[144:145], v[144:145], v[8:9] neg_lo:[0,1] neg_hi:[0,1]
	s_delay_alu instid0(VALU_DEP_2) | instskip(SKIP_1) | instid1(VALU_DEP_1)
	v_pk_fma_f32 v[8:9], v[6:7], v[0:1], v[4:5] op_sel:[0,0,1] op_sel_hi:[1,1,0] neg_lo:[0,0,1] neg_hi:[0,0,1]
	v_pk_fma_f32 v[4:5], v[6:7], v[0:1], v[4:5] op_sel:[0,0,1] op_sel_hi:[1,0,0]
	v_mov_b32_e32 v9, v5
	ds_load_2addr_b64 v[4:7], v134 offset0:36 offset1:37
	v_pk_add_f32 v[140:141], v[140:141], v[8:9] neg_lo:[0,1] neg_hi:[0,1]
	s_wait_dscnt 0x0
	v_pk_mul_f32 v[8:9], v[4:5], v[2:3] op_sel:[0,1]
	s_delay_alu instid0(VALU_DEP_1) | instskip(SKIP_1) | instid1(VALU_DEP_1)
	v_pk_fma_f32 v[10:11], v[4:5], v[0:1], v[8:9] op_sel:[0,0,1] op_sel_hi:[1,1,0] neg_lo:[0,0,1] neg_hi:[0,0,1]
	v_pk_fma_f32 v[4:5], v[4:5], v[0:1], v[8:9] op_sel:[0,0,1] op_sel_hi:[1,0,0]
	v_mov_b32_e32 v11, v5
	v_pk_mul_f32 v[4:5], v[6:7], v[2:3] op_sel:[0,1]
	s_delay_alu instid0(VALU_DEP_2) | instskip(NEXT) | instid1(VALU_DEP_2)
	v_pk_add_f32 v[162:163], v[162:163], v[10:11] neg_lo:[0,1] neg_hi:[0,1]
	v_pk_fma_f32 v[8:9], v[6:7], v[0:1], v[4:5] op_sel:[0,0,1] op_sel_hi:[1,1,0] neg_lo:[0,0,1] neg_hi:[0,0,1]
	v_pk_fma_f32 v[4:5], v[6:7], v[0:1], v[4:5] op_sel:[0,0,1] op_sel_hi:[1,0,0]
	s_delay_alu instid0(VALU_DEP_1) | instskip(SKIP_4) | instid1(VALU_DEP_1)
	v_mov_b32_e32 v9, v5
	ds_load_2addr_b64 v[4:7], v134 offset0:38 offset1:39
	v_pk_add_f32 v[158:159], v[158:159], v[8:9] neg_lo:[0,1] neg_hi:[0,1]
	s_wait_dscnt 0x0
	v_pk_mul_f32 v[8:9], v[4:5], v[2:3] op_sel:[0,1]
	v_pk_fma_f32 v[10:11], v[4:5], v[0:1], v[8:9] op_sel:[0,0,1] op_sel_hi:[1,1,0] neg_lo:[0,0,1] neg_hi:[0,0,1]
	v_pk_fma_f32 v[4:5], v[4:5], v[0:1], v[8:9] op_sel:[0,0,1] op_sel_hi:[1,0,0]
	v_dual_mul_f32 v8, v7, v3 :: v_dual_mov_b32 v4, v7
	s_delay_alu instid0(VALU_DEP_2) | instskip(NEXT) | instid1(VALU_DEP_2)
	v_dual_mov_b32 v11, v5 :: v_dual_mov_b32 v5, v6
	v_pk_fma_f32 v[8:9], v[6:7], v[22:23], v[8:9] op_sel_hi:[1,1,0] neg_lo:[0,0,1] neg_hi:[0,0,1]
	v_mul_f32_e32 v6, v7, v0
	s_delay_alu instid0(VALU_DEP_3) | instskip(NEXT) | instid1(VALU_DEP_2)
	v_pk_add_f32 v[160:161], v[160:161], v[10:11] neg_lo:[0,1] neg_hi:[0,1]
	v_pk_fma_f32 v[4:5], v[4:5], v[22:23], v[6:7] op_sel_hi:[1,1,0]
	s_delay_alu instid0(VALU_DEP_1) | instskip(SKIP_4) | instid1(VALU_DEP_1)
	v_mov_b32_e32 v9, v5
	ds_load_2addr_b64 v[4:7], v134 offset0:40 offset1:41
	v_pk_add_f32 v[156:157], v[156:157], v[8:9] neg_lo:[0,1] neg_hi:[0,1]
	s_wait_dscnt 0x0
	v_pk_mul_f32 v[8:9], v[4:5], v[2:3] op_sel:[0,1]
	v_pk_fma_f32 v[10:11], v[4:5], v[0:1], v[8:9] op_sel:[0,0,1] op_sel_hi:[1,1,0] neg_lo:[0,0,1] neg_hi:[0,0,1]
	v_pk_fma_f32 v[4:5], v[4:5], v[0:1], v[8:9] op_sel:[0,0,1] op_sel_hi:[1,0,0]
	s_delay_alu instid0(VALU_DEP_1) | instskip(SKIP_1) | instid1(VALU_DEP_1)
	v_mov_b32_e32 v11, v5
	v_pk_mul_f32 v[4:5], v[6:7], v[2:3] op_sel:[0,1]
	v_pk_fma_f32 v[8:9], v[6:7], v[0:1], v[4:5] op_sel:[0,0,1] op_sel_hi:[1,1,0] neg_lo:[0,0,1] neg_hi:[0,0,1]
	v_pk_fma_f32 v[4:5], v[6:7], v[0:1], v[4:5] op_sel:[0,0,1] op_sel_hi:[1,0,0]
	s_delay_alu instid0(VALU_DEP_1)
	v_mov_b32_e32 v9, v5
	ds_load_2addr_b64 v[4:7], v134 offset0:42 offset1:43
	v_pk_add_f32 v[184:185], v[184:185], v[10:11] neg_lo:[0,1] neg_hi:[0,1]
	v_pk_add_f32 v[180:181], v[180:181], v[8:9] neg_lo:[0,1] neg_hi:[0,1]
	s_wait_dscnt 0x0
	v_pk_mul_f32 v[8:9], v[4:5], v[2:3] op_sel:[0,1]
	s_delay_alu instid0(VALU_DEP_1) | instskip(SKIP_1) | instid1(VALU_DEP_1)
	v_pk_fma_f32 v[10:11], v[4:5], v[0:1], v[8:9] op_sel:[0,0,1] op_sel_hi:[1,1,0] neg_lo:[0,0,1] neg_hi:[0,0,1]
	v_pk_fma_f32 v[4:5], v[4:5], v[0:1], v[8:9] op_sel:[0,0,1] op_sel_hi:[1,0,0]
	v_mov_b32_e32 v11, v5
	v_pk_mul_f32 v[4:5], v[6:7], v[2:3] op_sel:[0,1]
	s_delay_alu instid0(VALU_DEP_1) | instskip(SKIP_1) | instid1(VALU_DEP_1)
	v_pk_fma_f32 v[8:9], v[6:7], v[0:1], v[4:5] op_sel:[0,0,1] op_sel_hi:[1,1,0] neg_lo:[0,0,1] neg_hi:[0,0,1]
	v_pk_fma_f32 v[4:5], v[6:7], v[0:1], v[4:5] op_sel:[0,0,1] op_sel_hi:[1,0,0]
	v_mov_b32_e32 v9, v5
	ds_load_2addr_b64 v[4:7], v134 offset0:44 offset1:45
	v_pk_add_f32 v[182:183], v[182:183], v[10:11] neg_lo:[0,1] neg_hi:[0,1]
	v_pk_add_f32 v[178:179], v[178:179], v[8:9] neg_lo:[0,1] neg_hi:[0,1]
	s_wait_dscnt 0x0
	v_dual_mul_f32 v8, v5, v3 :: v_dual_mul_f32 v10, v5, v0
	s_delay_alu instid0(VALU_DEP_1) | instskip(NEXT) | instid1(VALU_DEP_2)
	v_pk_fma_f32 v[8:9], v[4:5], v[22:23], v[8:9] op_sel_hi:[1,1,0] neg_lo:[0,0,1] neg_hi:[0,0,1]
	v_pk_fma_f32 v[4:5], v[4:5], v[22:23], v[10:11] op_sel:[1,0,0] op_sel_hi:[0,1,0]
	s_delay_alu instid0(VALU_DEP_1) | instskip(SKIP_1) | instid1(VALU_DEP_2)
	v_mov_b32_e32 v9, v5
	v_pk_mul_f32 v[4:5], v[6:7], v[2:3] op_sel:[0,1]
	v_pk_add_f32 v[208:209], v[208:209], v[8:9] neg_lo:[0,1] neg_hi:[0,1]
	s_delay_alu instid0(VALU_DEP_2) | instskip(SKIP_1) | instid1(VALU_DEP_1)
	v_pk_fma_f32 v[8:9], v[6:7], v[0:1], v[4:5] op_sel:[0,0,1] op_sel_hi:[1,1,0] neg_lo:[0,0,1] neg_hi:[0,0,1]
	v_pk_fma_f32 v[4:5], v[6:7], v[0:1], v[4:5] op_sel:[0,0,1] op_sel_hi:[1,0,0]
	v_mov_b32_e32 v9, v5
	ds_load_2addr_b64 v[4:7], v134 offset0:46 offset1:47
	v_pk_add_f32 v[200:201], v[200:201], v[8:9] neg_lo:[0,1] neg_hi:[0,1]
	s_wait_dscnt 0x0
	v_pk_mul_f32 v[8:9], v[4:5], v[2:3] op_sel:[0,1]
	s_delay_alu instid0(VALU_DEP_1) | instskip(SKIP_1) | instid1(VALU_DEP_1)
	v_pk_fma_f32 v[10:11], v[4:5], v[0:1], v[8:9] op_sel:[0,0,1] op_sel_hi:[1,1,0] neg_lo:[0,0,1] neg_hi:[0,0,1]
	v_pk_fma_f32 v[4:5], v[4:5], v[0:1], v[8:9] op_sel:[0,0,1] op_sel_hi:[1,0,0]
	v_mov_b32_e32 v11, v5
	v_pk_mul_f32 v[4:5], v[6:7], v[2:3] op_sel:[0,1]
	s_delay_alu instid0(VALU_DEP_2) | instskip(NEXT) | instid1(VALU_DEP_2)
	v_pk_add_f32 v[206:207], v[206:207], v[10:11] neg_lo:[0,1] neg_hi:[0,1]
	v_pk_fma_f32 v[8:9], v[6:7], v[0:1], v[4:5] op_sel:[0,0,1] op_sel_hi:[1,1,0] neg_lo:[0,0,1] neg_hi:[0,0,1]
	v_pk_fma_f32 v[4:5], v[6:7], v[0:1], v[4:5] op_sel:[0,0,1] op_sel_hi:[1,0,0]
	s_delay_alu instid0(VALU_DEP_1) | instskip(SKIP_4) | instid1(VALU_DEP_1)
	v_mov_b32_e32 v9, v5
	ds_load_2addr_b64 v[4:7], v134 offset0:48 offset1:49
	v_pk_add_f32 v[198:199], v[198:199], v[8:9] neg_lo:[0,1] neg_hi:[0,1]
	s_wait_dscnt 0x0
	v_pk_mul_f32 v[8:9], v[4:5], v[2:3] op_sel:[0,1]
	v_pk_fma_f32 v[10:11], v[4:5], v[0:1], v[8:9] op_sel:[0,0,1] op_sel_hi:[1,1,0] neg_lo:[0,0,1] neg_hi:[0,0,1]
	v_pk_fma_f32 v[4:5], v[4:5], v[0:1], v[8:9] op_sel:[0,0,1] op_sel_hi:[1,0,0]
	v_dual_mul_f32 v8, v7, v3 :: v_dual_mov_b32 v4, v7
	s_delay_alu instid0(VALU_DEP_2) | instskip(NEXT) | instid1(VALU_DEP_2)
	v_dual_mov_b32 v11, v5 :: v_dual_mov_b32 v5, v6
	v_pk_fma_f32 v[8:9], v[6:7], v[22:23], v[8:9] op_sel_hi:[1,1,0] neg_lo:[0,0,1] neg_hi:[0,0,1]
	v_mul_f32_e32 v6, v7, v0
	s_delay_alu instid0(VALU_DEP_3) | instskip(NEXT) | instid1(VALU_DEP_2)
	v_pk_add_f32 v[204:205], v[204:205], v[10:11] neg_lo:[0,1] neg_hi:[0,1]
	v_pk_fma_f32 v[4:5], v[4:5], v[22:23], v[6:7] op_sel_hi:[1,1,0]
	s_delay_alu instid0(VALU_DEP_1) | instskip(SKIP_4) | instid1(VALU_DEP_1)
	v_mov_b32_e32 v9, v5
	ds_load_2addr_b64 v[4:7], v134 offset0:50 offset1:51
	v_pk_add_f32 v[196:197], v[196:197], v[8:9] neg_lo:[0,1] neg_hi:[0,1]
	s_wait_dscnt 0x0
	v_pk_mul_f32 v[8:9], v[4:5], v[2:3] op_sel:[0,1]
	v_pk_fma_f32 v[10:11], v[4:5], v[0:1], v[8:9] op_sel:[0,0,1] op_sel_hi:[1,1,0] neg_lo:[0,0,1] neg_hi:[0,0,1]
	v_pk_fma_f32 v[4:5], v[4:5], v[0:1], v[8:9] op_sel:[0,0,1] op_sel_hi:[1,0,0]
	s_delay_alu instid0(VALU_DEP_1) | instskip(SKIP_1) | instid1(VALU_DEP_1)
	v_mov_b32_e32 v11, v5
	v_pk_mul_f32 v[4:5], v[6:7], v[2:3] op_sel:[0,1]
	v_pk_fma_f32 v[8:9], v[6:7], v[0:1], v[4:5] op_sel:[0,0,1] op_sel_hi:[1,1,0] neg_lo:[0,0,1] neg_hi:[0,0,1]
	v_pk_fma_f32 v[4:5], v[6:7], v[0:1], v[4:5] op_sel:[0,0,1] op_sel_hi:[1,0,0]
	s_delay_alu instid0(VALU_DEP_1)
	v_mov_b32_e32 v9, v5
	ds_load_b64 v[4:5], v134 offset:416
	v_pk_add_f32 v[202:203], v[202:203], v[10:11] neg_lo:[0,1] neg_hi:[0,1]
	v_pk_add_f32 v[210:211], v[210:211], v[8:9] neg_lo:[0,1] neg_hi:[0,1]
	s_wait_dscnt 0x0
	v_pk_mul_f32 v[2:3], v[4:5], v[2:3] op_sel:[0,1]
	s_delay_alu instid0(VALU_DEP_1) | instskip(SKIP_1) | instid1(VALU_DEP_1)
	v_pk_fma_f32 v[6:7], v[4:5], v[0:1], v[2:3] op_sel:[0,0,1] op_sel_hi:[1,1,0] neg_lo:[0,0,1] neg_hi:[0,0,1]
	v_pk_fma_f32 v[0:1], v[4:5], v[0:1], v[2:3] op_sel:[0,0,1] op_sel_hi:[1,0,0]
	v_mov_b32_e32 v7, v1
	s_delay_alu instid0(VALU_DEP_1)
	v_pk_add_f32 v[212:213], v[212:213], v[6:7] neg_lo:[0,1] neg_hi:[0,1]
.LBB105_55:
	s_wait_xcnt 0x0
	s_or_b32 exec_lo, exec_lo, s1
	s_delay_alu instid0(SALU_CYCLE_1)
	s_mov_b32 s2, exec_lo
	s_wait_storecnt 0x0
	s_barrier_signal -1
	s_barrier_wait -1
	v_cmpx_eq_u32_e32 6, v132
	s_cbranch_execz .LBB105_62
; %bb.56:
	ds_store_b64 v133, v[24:25]
	ds_store_2addr_b64 v134, v[20:21], v[40:41] offset0:7 offset1:8
	ds_store_2addr_b64 v134, v[36:37], v[38:39] offset0:9 offset1:10
	;; [unrolled: 1-line block ×23, first 2 shown]
	ds_load_b64 v[0:1], v133
	s_wait_dscnt 0x0
	v_cmp_neq_f32_e32 vcc_lo, 0, v0
	v_cmp_neq_f32_e64 s1, 0, v1
	s_or_b32 s1, vcc_lo, s1
	s_delay_alu instid0(SALU_CYCLE_1)
	s_and_b32 exec_lo, exec_lo, s1
	s_cbranch_execz .LBB105_62
; %bb.57:
	v_cmp_ngt_f32_e64 s1, |v0|, |v1|
                                        ; implicit-def: $vgpr2_vgpr3
	s_and_saveexec_b32 s4, s1
	s_delay_alu instid0(SALU_CYCLE_1)
	s_xor_b32 s1, exec_lo, s4
	s_cbranch_execz .LBB105_59
; %bb.58:
	v_div_scale_f32 v2, null, v1, v1, v0
	v_div_scale_f32 v5, vcc_lo, v0, v1, v0
	s_delay_alu instid0(VALU_DEP_2) | instskip(SKIP_1) | instid1(TRANS32_DEP_1)
	v_rcp_f32_e32 v3, v2
	v_nop
	v_fma_f32 v4, -v2, v3, 1.0
	s_delay_alu instid0(VALU_DEP_1) | instskip(NEXT) | instid1(VALU_DEP_1)
	v_fmac_f32_e32 v3, v4, v3
	v_mul_f32_e32 v4, v5, v3
	s_delay_alu instid0(VALU_DEP_1) | instskip(NEXT) | instid1(VALU_DEP_1)
	v_fma_f32 v6, -v2, v4, v5
	v_fmac_f32_e32 v4, v6, v3
	s_delay_alu instid0(VALU_DEP_1) | instskip(NEXT) | instid1(VALU_DEP_1)
	v_fma_f32 v2, -v2, v4, v5
	v_div_fmas_f32 v2, v2, v3, v4
	s_delay_alu instid0(VALU_DEP_1) | instskip(NEXT) | instid1(VALU_DEP_1)
	v_div_fixup_f32 v2, v2, v1, v0
	v_fmac_f32_e32 v1, v0, v2
	s_delay_alu instid0(VALU_DEP_1) | instskip(SKIP_1) | instid1(VALU_DEP_2)
	v_div_scale_f32 v0, null, v1, v1, 1.0
	v_div_scale_f32 v5, vcc_lo, 1.0, v1, 1.0
	v_rcp_f32_e32 v3, v0
	v_nop
	s_delay_alu instid0(TRANS32_DEP_1) | instskip(NEXT) | instid1(VALU_DEP_1)
	v_fma_f32 v4, -v0, v3, 1.0
	v_fmac_f32_e32 v3, v4, v3
	s_delay_alu instid0(VALU_DEP_1) | instskip(NEXT) | instid1(VALU_DEP_1)
	v_mul_f32_e32 v4, v5, v3
	v_fma_f32 v6, -v0, v4, v5
	s_delay_alu instid0(VALU_DEP_1) | instskip(NEXT) | instid1(VALU_DEP_1)
	v_fmac_f32_e32 v4, v6, v3
	v_fma_f32 v0, -v0, v4, v5
	s_delay_alu instid0(VALU_DEP_1) | instskip(NEXT) | instid1(VALU_DEP_1)
	v_div_fmas_f32 v0, v0, v3, v4
	v_div_fixup_f32 v0, v0, v1, 1.0
	s_delay_alu instid0(VALU_DEP_1)
	v_mul_f32_e32 v2, v2, v0
	v_xor_b32_e32 v3, 0x80000000, v0
                                        ; implicit-def: $vgpr0_vgpr1
.LBB105_59:
	s_and_not1_saveexec_b32 s1, s1
	s_cbranch_execz .LBB105_61
; %bb.60:
	v_div_scale_f32 v2, null, v0, v0, v1
	v_div_scale_f32 v5, vcc_lo, v1, v0, v1
	s_delay_alu instid0(VALU_DEP_2) | instskip(SKIP_1) | instid1(TRANS32_DEP_1)
	v_rcp_f32_e32 v3, v2
	v_nop
	v_fma_f32 v4, -v2, v3, 1.0
	s_delay_alu instid0(VALU_DEP_1) | instskip(NEXT) | instid1(VALU_DEP_1)
	v_fmac_f32_e32 v3, v4, v3
	v_mul_f32_e32 v4, v5, v3
	s_delay_alu instid0(VALU_DEP_1) | instskip(NEXT) | instid1(VALU_DEP_1)
	v_fma_f32 v6, -v2, v4, v5
	v_fmac_f32_e32 v4, v6, v3
	s_delay_alu instid0(VALU_DEP_1) | instskip(NEXT) | instid1(VALU_DEP_1)
	v_fma_f32 v2, -v2, v4, v5
	v_div_fmas_f32 v2, v2, v3, v4
	s_delay_alu instid0(VALU_DEP_1) | instskip(NEXT) | instid1(VALU_DEP_1)
	v_div_fixup_f32 v3, v2, v0, v1
	v_fmac_f32_e32 v0, v1, v3
	s_delay_alu instid0(VALU_DEP_1) | instskip(NEXT) | instid1(VALU_DEP_1)
	v_div_scale_f32 v1, null, v0, v0, 1.0
	v_rcp_f32_e32 v2, v1
	v_nop
	s_delay_alu instid0(TRANS32_DEP_1) | instskip(NEXT) | instid1(VALU_DEP_1)
	v_fma_f32 v4, -v1, v2, 1.0
	v_fmac_f32_e32 v2, v4, v2
	v_div_scale_f32 v4, vcc_lo, 1.0, v0, 1.0
	s_delay_alu instid0(VALU_DEP_1) | instskip(NEXT) | instid1(VALU_DEP_1)
	v_mul_f32_e32 v5, v4, v2
	v_fma_f32 v6, -v1, v5, v4
	s_delay_alu instid0(VALU_DEP_1) | instskip(NEXT) | instid1(VALU_DEP_1)
	v_fmac_f32_e32 v5, v6, v2
	v_fma_f32 v1, -v1, v5, v4
	s_delay_alu instid0(VALU_DEP_1) | instskip(NEXT) | instid1(VALU_DEP_1)
	v_div_fmas_f32 v1, v1, v2, v5
	v_div_fixup_f32 v2, v1, v0, 1.0
	s_delay_alu instid0(VALU_DEP_1)
	v_mul_f32_e64 v3, v3, -v2
.LBB105_61:
	s_or_b32 exec_lo, exec_lo, s1
	ds_store_b64 v133, v[2:3]
.LBB105_62:
	s_or_b32 exec_lo, exec_lo, s2
	s_wait_dscnt 0x0
	s_barrier_signal -1
	s_barrier_wait -1
	ds_load_b64 v[0:1], v133
	s_mov_b32 s1, exec_lo
	s_wait_dscnt 0x0
	scratch_store_b64 off, v[0:1], off offset:176 ; 8-byte Folded Spill
	s_wait_xcnt 0x0
	v_cmpx_lt_u32_e32 6, v132
	s_cbranch_execz .LBB105_64
; %bb.63:
	scratch_load_b64 v[4:5], off, off offset:176 ; 8-byte Folded Reload
	s_wait_loadcnt 0x0
	v_pk_mul_f32 v[2:3], v[4:5], v[24:25] op_sel:[1,1] op_sel_hi:[0,1]
	s_delay_alu instid0(VALU_DEP_1)
	v_pk_fma_f32 v[0:1], v[4:5], v[24:25], v[2:3] op_sel_hi:[1,0,1] neg_lo:[0,0,1] neg_hi:[0,0,1]
	v_pk_fma_f32 v[2:3], v[4:5], v[24:25], v[2:3] op_sel_hi:[1,0,1]
	ds_load_2addr_b64 v[4:7], v134 offset0:7 offset1:8
	v_dual_mov_b32 v24, v0 :: v_dual_mov_b32 v25, v3
	s_wait_dscnt 0x0
	v_pk_mul_f32 v[8:9], v[4:5], v[2:3] op_sel:[0,1]
	s_delay_alu instid0(VALU_DEP_1) | instskip(SKIP_1) | instid1(VALU_DEP_1)
	v_pk_fma_f32 v[10:11], v[4:5], v[0:1], v[8:9] op_sel:[0,0,1] op_sel_hi:[1,1,0] neg_lo:[0,0,1] neg_hi:[0,0,1]
	v_pk_fma_f32 v[4:5], v[4:5], v[0:1], v[8:9] op_sel:[0,0,1] op_sel_hi:[1,0,0]
	v_mov_b32_e32 v11, v5
	v_pk_mul_f32 v[4:5], v[6:7], v[2:3] op_sel:[0,1]
	s_delay_alu instid0(VALU_DEP_1) | instskip(SKIP_1) | instid1(VALU_DEP_1)
	v_pk_fma_f32 v[8:9], v[6:7], v[0:1], v[4:5] op_sel:[0,0,1] op_sel_hi:[1,1,0] neg_lo:[0,0,1] neg_hi:[0,0,1]
	v_pk_fma_f32 v[4:5], v[6:7], v[0:1], v[4:5] op_sel:[0,0,1] op_sel_hi:[1,0,0]
	v_mov_b32_e32 v9, v5
	ds_load_2addr_b64 v[4:7], v134 offset0:9 offset1:10
	v_pk_add_f32 v[20:21], v[20:21], v[10:11] neg_lo:[0,1] neg_hi:[0,1]
	v_pk_add_f32 v[40:41], v[40:41], v[8:9] neg_lo:[0,1] neg_hi:[0,1]
	s_wait_dscnt 0x0
	v_pk_mul_f32 v[8:9], v[4:5], v[2:3] op_sel:[0,1]
	s_delay_alu instid0(VALU_DEP_1) | instskip(SKIP_2) | instid1(VALU_DEP_2)
	v_pk_fma_f32 v[10:11], v[4:5], v[0:1], v[8:9] op_sel:[0,0,1] op_sel_hi:[1,1,0] neg_lo:[0,0,1] neg_hi:[0,0,1]
	v_pk_fma_f32 v[4:5], v[4:5], v[0:1], v[8:9] op_sel:[0,0,1] op_sel_hi:[1,0,0]
	v_dual_mul_f32 v8, v7, v3 :: v_dual_mov_b32 v4, v7
	v_dual_mov_b32 v11, v5 :: v_dual_mov_b32 v5, v6
	s_delay_alu instid0(VALU_DEP_2) | instskip(SKIP_1) | instid1(VALU_DEP_3)
	v_pk_fma_f32 v[8:9], v[6:7], v[24:25], v[8:9] op_sel_hi:[1,1,0] neg_lo:[0,0,1] neg_hi:[0,0,1]
	v_mul_f32_e32 v6, v7, v0
	v_pk_add_f32 v[36:37], v[36:37], v[10:11] neg_lo:[0,1] neg_hi:[0,1]
	s_delay_alu instid0(VALU_DEP_2) | instskip(NEXT) | instid1(VALU_DEP_1)
	v_pk_fma_f32 v[4:5], v[4:5], v[24:25], v[6:7] op_sel_hi:[1,1,0]
	v_mov_b32_e32 v9, v5
	ds_load_2addr_b64 v[4:7], v134 offset0:11 offset1:12
	v_pk_add_f32 v[38:39], v[38:39], v[8:9] neg_lo:[0,1] neg_hi:[0,1]
	s_wait_dscnt 0x0
	v_pk_mul_f32 v[8:9], v[4:5], v[2:3] op_sel:[0,1]
	s_delay_alu instid0(VALU_DEP_1) | instskip(SKIP_1) | instid1(VALU_DEP_1)
	v_pk_fma_f32 v[10:11], v[4:5], v[0:1], v[8:9] op_sel:[0,0,1] op_sel_hi:[1,1,0] neg_lo:[0,0,1] neg_hi:[0,0,1]
	v_pk_fma_f32 v[4:5], v[4:5], v[0:1], v[8:9] op_sel:[0,0,1] op_sel_hi:[1,0,0]
	v_mov_b32_e32 v11, v5
	v_pk_mul_f32 v[4:5], v[6:7], v[2:3] op_sel:[0,1]
	s_delay_alu instid0(VALU_DEP_1) | instskip(SKIP_1) | instid1(VALU_DEP_1)
	v_pk_fma_f32 v[8:9], v[6:7], v[0:1], v[4:5] op_sel:[0,0,1] op_sel_hi:[1,1,0] neg_lo:[0,0,1] neg_hi:[0,0,1]
	v_pk_fma_f32 v[4:5], v[6:7], v[0:1], v[4:5] op_sel:[0,0,1] op_sel_hi:[1,0,0]
	v_mov_b32_e32 v9, v5
	ds_load_2addr_b64 v[4:7], v134 offset0:13 offset1:14
	v_pk_add_f32 v[34:35], v[34:35], v[10:11] neg_lo:[0,1] neg_hi:[0,1]
	v_pk_add_f32 v[64:65], v[64:65], v[8:9] neg_lo:[0,1] neg_hi:[0,1]
	s_wait_dscnt 0x0
	v_pk_mul_f32 v[8:9], v[4:5], v[2:3] op_sel:[0,1]
	s_delay_alu instid0(VALU_DEP_1) | instskip(SKIP_1) | instid1(VALU_DEP_1)
	v_pk_fma_f32 v[10:11], v[4:5], v[0:1], v[8:9] op_sel:[0,0,1] op_sel_hi:[1,1,0] neg_lo:[0,0,1] neg_hi:[0,0,1]
	v_pk_fma_f32 v[4:5], v[4:5], v[0:1], v[8:9] op_sel:[0,0,1] op_sel_hi:[1,0,0]
	v_mov_b32_e32 v11, v5
	v_pk_mul_f32 v[4:5], v[6:7], v[2:3] op_sel:[0,1]
	s_delay_alu instid0(VALU_DEP_1) | instskip(SKIP_1) | instid1(VALU_DEP_1)
	v_pk_fma_f32 v[8:9], v[6:7], v[0:1], v[4:5] op_sel:[0,0,1] op_sel_hi:[1,1,0] neg_lo:[0,0,1] neg_hi:[0,0,1]
	v_pk_fma_f32 v[4:5], v[6:7], v[0:1], v[4:5] op_sel:[0,0,1] op_sel_hi:[1,0,0]
	v_mov_b32_e32 v9, v5
	ds_load_2addr_b64 v[4:7], v134 offset0:15 offset1:16
	v_pk_add_f32 v[60:61], v[60:61], v[10:11] neg_lo:[0,1] neg_hi:[0,1]
	v_pk_add_f32 v[62:63], v[62:63], v[8:9] neg_lo:[0,1] neg_hi:[0,1]
	s_wait_dscnt 0x0
	v_dual_mul_f32 v8, v5, v3 :: v_dual_mul_f32 v10, v5, v0
	s_delay_alu instid0(VALU_DEP_1) | instskip(NEXT) | instid1(VALU_DEP_2)
	v_pk_fma_f32 v[8:9], v[4:5], v[24:25], v[8:9] op_sel_hi:[1,1,0] neg_lo:[0,0,1] neg_hi:[0,0,1]
	v_pk_fma_f32 v[4:5], v[4:5], v[24:25], v[10:11] op_sel:[1,0,0] op_sel_hi:[0,1,0]
	s_delay_alu instid0(VALU_DEP_1) | instskip(SKIP_1) | instid1(VALU_DEP_2)
	v_mov_b32_e32 v9, v5
	v_pk_mul_f32 v[4:5], v[6:7], v[2:3] op_sel:[0,1]
	v_pk_add_f32 v[58:59], v[58:59], v[8:9] neg_lo:[0,1] neg_hi:[0,1]
	s_delay_alu instid0(VALU_DEP_2) | instskip(SKIP_1) | instid1(VALU_DEP_1)
	v_pk_fma_f32 v[8:9], v[6:7], v[0:1], v[4:5] op_sel:[0,0,1] op_sel_hi:[1,1,0] neg_lo:[0,0,1] neg_hi:[0,0,1]
	v_pk_fma_f32 v[4:5], v[6:7], v[0:1], v[4:5] op_sel:[0,0,1] op_sel_hi:[1,0,0]
	v_mov_b32_e32 v9, v5
	ds_load_2addr_b64 v[4:7], v134 offset0:17 offset1:18
	v_pk_add_f32 v[80:81], v[80:81], v[8:9] neg_lo:[0,1] neg_hi:[0,1]
	s_wait_dscnt 0x0
	v_pk_mul_f32 v[8:9], v[4:5], v[2:3] op_sel:[0,1]
	s_delay_alu instid0(VALU_DEP_1) | instskip(SKIP_1) | instid1(VALU_DEP_1)
	v_pk_fma_f32 v[10:11], v[4:5], v[0:1], v[8:9] op_sel:[0,0,1] op_sel_hi:[1,1,0] neg_lo:[0,0,1] neg_hi:[0,0,1]
	v_pk_fma_f32 v[4:5], v[4:5], v[0:1], v[8:9] op_sel:[0,0,1] op_sel_hi:[1,0,0]
	v_mov_b32_e32 v11, v5
	v_pk_mul_f32 v[4:5], v[6:7], v[2:3] op_sel:[0,1]
	s_delay_alu instid0(VALU_DEP_2) | instskip(NEXT) | instid1(VALU_DEP_2)
	v_pk_add_f32 v[76:77], v[76:77], v[10:11] neg_lo:[0,1] neg_hi:[0,1]
	v_pk_fma_f32 v[8:9], v[6:7], v[0:1], v[4:5] op_sel:[0,0,1] op_sel_hi:[1,1,0] neg_lo:[0,0,1] neg_hi:[0,0,1]
	v_pk_fma_f32 v[4:5], v[6:7], v[0:1], v[4:5] op_sel:[0,0,1] op_sel_hi:[1,0,0]
	s_delay_alu instid0(VALU_DEP_1) | instskip(SKIP_4) | instid1(VALU_DEP_1)
	v_mov_b32_e32 v9, v5
	ds_load_2addr_b64 v[4:7], v134 offset0:19 offset1:20
	v_pk_add_f32 v[78:79], v[78:79], v[8:9] neg_lo:[0,1] neg_hi:[0,1]
	s_wait_dscnt 0x0
	v_pk_mul_f32 v[8:9], v[4:5], v[2:3] op_sel:[0,1]
	v_pk_fma_f32 v[10:11], v[4:5], v[0:1], v[8:9] op_sel:[0,0,1] op_sel_hi:[1,1,0] neg_lo:[0,0,1] neg_hi:[0,0,1]
	v_pk_fma_f32 v[4:5], v[4:5], v[0:1], v[8:9] op_sel:[0,0,1] op_sel_hi:[1,0,0]
	v_dual_mul_f32 v8, v7, v3 :: v_dual_mov_b32 v4, v7
	s_delay_alu instid0(VALU_DEP_2) | instskip(NEXT) | instid1(VALU_DEP_2)
	v_dual_mov_b32 v11, v5 :: v_dual_mov_b32 v5, v6
	v_pk_fma_f32 v[8:9], v[6:7], v[24:25], v[8:9] op_sel_hi:[1,1,0] neg_lo:[0,0,1] neg_hi:[0,0,1]
	v_mul_f32_e32 v6, v7, v0
	s_delay_alu instid0(VALU_DEP_3) | instskip(NEXT) | instid1(VALU_DEP_2)
	v_pk_add_f32 v[74:75], v[74:75], v[10:11] neg_lo:[0,1] neg_hi:[0,1]
	v_pk_fma_f32 v[4:5], v[4:5], v[24:25], v[6:7] op_sel_hi:[1,1,0]
	s_delay_alu instid0(VALU_DEP_1) | instskip(SKIP_4) | instid1(VALU_DEP_1)
	v_mov_b32_e32 v9, v5
	ds_load_2addr_b64 v[4:7], v134 offset0:21 offset1:22
	v_pk_add_f32 v[96:97], v[96:97], v[8:9] neg_lo:[0,1] neg_hi:[0,1]
	s_wait_dscnt 0x0
	v_pk_mul_f32 v[8:9], v[4:5], v[2:3] op_sel:[0,1]
	v_pk_fma_f32 v[10:11], v[4:5], v[0:1], v[8:9] op_sel:[0,0,1] op_sel_hi:[1,1,0] neg_lo:[0,0,1] neg_hi:[0,0,1]
	v_pk_fma_f32 v[4:5], v[4:5], v[0:1], v[8:9] op_sel:[0,0,1] op_sel_hi:[1,0,0]
	s_delay_alu instid0(VALU_DEP_1) | instskip(SKIP_1) | instid1(VALU_DEP_1)
	v_mov_b32_e32 v11, v5
	v_pk_mul_f32 v[4:5], v[6:7], v[2:3] op_sel:[0,1]
	v_pk_fma_f32 v[8:9], v[6:7], v[0:1], v[4:5] op_sel:[0,0,1] op_sel_hi:[1,1,0] neg_lo:[0,0,1] neg_hi:[0,0,1]
	v_pk_fma_f32 v[4:5], v[6:7], v[0:1], v[4:5] op_sel:[0,0,1] op_sel_hi:[1,0,0]
	s_delay_alu instid0(VALU_DEP_1)
	v_mov_b32_e32 v9, v5
	ds_load_2addr_b64 v[4:7], v134 offset0:23 offset1:24
	v_pk_add_f32 v[92:93], v[92:93], v[10:11] neg_lo:[0,1] neg_hi:[0,1]
	v_pk_add_f32 v[94:95], v[94:95], v[8:9] neg_lo:[0,1] neg_hi:[0,1]
	s_wait_dscnt 0x0
	v_pk_mul_f32 v[8:9], v[4:5], v[2:3] op_sel:[0,1]
	s_delay_alu instid0(VALU_DEP_1) | instskip(SKIP_1) | instid1(VALU_DEP_1)
	v_pk_fma_f32 v[10:11], v[4:5], v[0:1], v[8:9] op_sel:[0,0,1] op_sel_hi:[1,1,0] neg_lo:[0,0,1] neg_hi:[0,0,1]
	v_pk_fma_f32 v[4:5], v[4:5], v[0:1], v[8:9] op_sel:[0,0,1] op_sel_hi:[1,0,0]
	v_mov_b32_e32 v11, v5
	v_pk_mul_f32 v[4:5], v[6:7], v[2:3] op_sel:[0,1]
	s_delay_alu instid0(VALU_DEP_1) | instskip(SKIP_1) | instid1(VALU_DEP_1)
	v_pk_fma_f32 v[8:9], v[6:7], v[0:1], v[4:5] op_sel:[0,0,1] op_sel_hi:[1,1,0] neg_lo:[0,0,1] neg_hi:[0,0,1]
	v_pk_fma_f32 v[4:5], v[6:7], v[0:1], v[4:5] op_sel:[0,0,1] op_sel_hi:[1,0,0]
	v_mov_b32_e32 v9, v5
	ds_load_2addr_b64 v[4:7], v134 offset0:25 offset1:26
	v_pk_add_f32 v[90:91], v[90:91], v[10:11] neg_lo:[0,1] neg_hi:[0,1]
	v_pk_add_f32 v[112:113], v[112:113], v[8:9] neg_lo:[0,1] neg_hi:[0,1]
	s_wait_dscnt 0x0
	v_dual_mul_f32 v8, v5, v3 :: v_dual_mul_f32 v10, v5, v0
	s_delay_alu instid0(VALU_DEP_1) | instskip(NEXT) | instid1(VALU_DEP_2)
	v_pk_fma_f32 v[8:9], v[4:5], v[24:25], v[8:9] op_sel_hi:[1,1,0] neg_lo:[0,0,1] neg_hi:[0,0,1]
	v_pk_fma_f32 v[4:5], v[4:5], v[24:25], v[10:11] op_sel:[1,0,0] op_sel_hi:[0,1,0]
	s_delay_alu instid0(VALU_DEP_1) | instskip(SKIP_1) | instid1(VALU_DEP_2)
	v_mov_b32_e32 v9, v5
	v_pk_mul_f32 v[4:5], v[6:7], v[2:3] op_sel:[0,1]
	v_pk_add_f32 v[108:109], v[108:109], v[8:9] neg_lo:[0,1] neg_hi:[0,1]
	s_delay_alu instid0(VALU_DEP_2) | instskip(SKIP_1) | instid1(VALU_DEP_1)
	v_pk_fma_f32 v[8:9], v[6:7], v[0:1], v[4:5] op_sel:[0,0,1] op_sel_hi:[1,1,0] neg_lo:[0,0,1] neg_hi:[0,0,1]
	v_pk_fma_f32 v[4:5], v[6:7], v[0:1], v[4:5] op_sel:[0,0,1] op_sel_hi:[1,0,0]
	v_mov_b32_e32 v9, v5
	ds_load_2addr_b64 v[4:7], v134 offset0:27 offset1:28
	v_pk_add_f32 v[110:111], v[110:111], v[8:9] neg_lo:[0,1] neg_hi:[0,1]
	s_wait_dscnt 0x0
	v_pk_mul_f32 v[8:9], v[4:5], v[2:3] op_sel:[0,1]
	s_delay_alu instid0(VALU_DEP_1) | instskip(SKIP_1) | instid1(VALU_DEP_1)
	v_pk_fma_f32 v[10:11], v[4:5], v[0:1], v[8:9] op_sel:[0,0,1] op_sel_hi:[1,1,0] neg_lo:[0,0,1] neg_hi:[0,0,1]
	v_pk_fma_f32 v[4:5], v[4:5], v[0:1], v[8:9] op_sel:[0,0,1] op_sel_hi:[1,0,0]
	v_mov_b32_e32 v11, v5
	v_pk_mul_f32 v[4:5], v[6:7], v[2:3] op_sel:[0,1]
	s_delay_alu instid0(VALU_DEP_2) | instskip(NEXT) | instid1(VALU_DEP_2)
	v_pk_add_f32 v[106:107], v[106:107], v[10:11] neg_lo:[0,1] neg_hi:[0,1]
	v_pk_fma_f32 v[8:9], v[6:7], v[0:1], v[4:5] op_sel:[0,0,1] op_sel_hi:[1,1,0] neg_lo:[0,0,1] neg_hi:[0,0,1]
	v_pk_fma_f32 v[4:5], v[6:7], v[0:1], v[4:5] op_sel:[0,0,1] op_sel_hi:[1,0,0]
	s_delay_alu instid0(VALU_DEP_1) | instskip(SKIP_4) | instid1(VALU_DEP_1)
	v_mov_b32_e32 v9, v5
	ds_load_2addr_b64 v[4:7], v134 offset0:29 offset1:30
	v_pk_add_f32 v[130:131], v[130:131], v[8:9] neg_lo:[0,1] neg_hi:[0,1]
	s_wait_dscnt 0x0
	v_pk_mul_f32 v[8:9], v[4:5], v[2:3] op_sel:[0,1]
	v_pk_fma_f32 v[10:11], v[4:5], v[0:1], v[8:9] op_sel:[0,0,1] op_sel_hi:[1,1,0] neg_lo:[0,0,1] neg_hi:[0,0,1]
	v_pk_fma_f32 v[4:5], v[4:5], v[0:1], v[8:9] op_sel:[0,0,1] op_sel_hi:[1,0,0]
	v_dual_mul_f32 v8, v7, v3 :: v_dual_mov_b32 v4, v7
	s_delay_alu instid0(VALU_DEP_2) | instskip(NEXT) | instid1(VALU_DEP_2)
	v_dual_mov_b32 v11, v5 :: v_dual_mov_b32 v5, v6
	v_pk_fma_f32 v[8:9], v[6:7], v[24:25], v[8:9] op_sel_hi:[1,1,0] neg_lo:[0,0,1] neg_hi:[0,0,1]
	v_mul_f32_e32 v6, v7, v0
	s_delay_alu instid0(VALU_DEP_3) | instskip(NEXT) | instid1(VALU_DEP_2)
	v_pk_add_f32 v[126:127], v[126:127], v[10:11] neg_lo:[0,1] neg_hi:[0,1]
	v_pk_fma_f32 v[4:5], v[4:5], v[24:25], v[6:7] op_sel_hi:[1,1,0]
	s_delay_alu instid0(VALU_DEP_1) | instskip(SKIP_4) | instid1(VALU_DEP_1)
	v_mov_b32_e32 v9, v5
	ds_load_2addr_b64 v[4:7], v134 offset0:31 offset1:32
	v_pk_add_f32 v[128:129], v[128:129], v[8:9] neg_lo:[0,1] neg_hi:[0,1]
	s_wait_dscnt 0x0
	v_pk_mul_f32 v[8:9], v[4:5], v[2:3] op_sel:[0,1]
	v_pk_fma_f32 v[10:11], v[4:5], v[0:1], v[8:9] op_sel:[0,0,1] op_sel_hi:[1,1,0] neg_lo:[0,0,1] neg_hi:[0,0,1]
	v_pk_fma_f32 v[4:5], v[4:5], v[0:1], v[8:9] op_sel:[0,0,1] op_sel_hi:[1,0,0]
	s_delay_alu instid0(VALU_DEP_1) | instskip(SKIP_1) | instid1(VALU_DEP_1)
	v_mov_b32_e32 v11, v5
	v_pk_mul_f32 v[4:5], v[6:7], v[2:3] op_sel:[0,1]
	v_pk_fma_f32 v[8:9], v[6:7], v[0:1], v[4:5] op_sel:[0,0,1] op_sel_hi:[1,1,0] neg_lo:[0,0,1] neg_hi:[0,0,1]
	v_pk_fma_f32 v[4:5], v[6:7], v[0:1], v[4:5] op_sel:[0,0,1] op_sel_hi:[1,0,0]
	s_delay_alu instid0(VALU_DEP_1)
	v_mov_b32_e32 v9, v5
	ds_load_2addr_b64 v[4:7], v134 offset0:33 offset1:34
	v_pk_add_f32 v[124:125], v[124:125], v[10:11] neg_lo:[0,1] neg_hi:[0,1]
	v_pk_add_f32 v[146:147], v[146:147], v[8:9] neg_lo:[0,1] neg_hi:[0,1]
	s_wait_dscnt 0x0
	v_pk_mul_f32 v[8:9], v[4:5], v[2:3] op_sel:[0,1]
	s_delay_alu instid0(VALU_DEP_1) | instskip(SKIP_1) | instid1(VALU_DEP_1)
	v_pk_fma_f32 v[10:11], v[4:5], v[0:1], v[8:9] op_sel:[0,0,1] op_sel_hi:[1,1,0] neg_lo:[0,0,1] neg_hi:[0,0,1]
	v_pk_fma_f32 v[4:5], v[4:5], v[0:1], v[8:9] op_sel:[0,0,1] op_sel_hi:[1,0,0]
	v_mov_b32_e32 v11, v5
	v_pk_mul_f32 v[4:5], v[6:7], v[2:3] op_sel:[0,1]
	s_delay_alu instid0(VALU_DEP_1) | instskip(SKIP_1) | instid1(VALU_DEP_1)
	v_pk_fma_f32 v[8:9], v[6:7], v[0:1], v[4:5] op_sel:[0,0,1] op_sel_hi:[1,1,0] neg_lo:[0,0,1] neg_hi:[0,0,1]
	v_pk_fma_f32 v[4:5], v[6:7], v[0:1], v[4:5] op_sel:[0,0,1] op_sel_hi:[1,0,0]
	v_mov_b32_e32 v9, v5
	ds_load_2addr_b64 v[4:7], v134 offset0:35 offset1:36
	v_pk_add_f32 v[142:143], v[142:143], v[10:11] neg_lo:[0,1] neg_hi:[0,1]
	v_pk_add_f32 v[144:145], v[144:145], v[8:9] neg_lo:[0,1] neg_hi:[0,1]
	s_wait_dscnt 0x0
	v_dual_mul_f32 v8, v5, v3 :: v_dual_mul_f32 v10, v5, v0
	s_delay_alu instid0(VALU_DEP_1) | instskip(NEXT) | instid1(VALU_DEP_2)
	v_pk_fma_f32 v[8:9], v[4:5], v[24:25], v[8:9] op_sel_hi:[1,1,0] neg_lo:[0,0,1] neg_hi:[0,0,1]
	v_pk_fma_f32 v[4:5], v[4:5], v[24:25], v[10:11] op_sel:[1,0,0] op_sel_hi:[0,1,0]
	s_delay_alu instid0(VALU_DEP_1) | instskip(SKIP_1) | instid1(VALU_DEP_2)
	v_mov_b32_e32 v9, v5
	v_pk_mul_f32 v[4:5], v[6:7], v[2:3] op_sel:[0,1]
	v_pk_add_f32 v[140:141], v[140:141], v[8:9] neg_lo:[0,1] neg_hi:[0,1]
	s_delay_alu instid0(VALU_DEP_2) | instskip(SKIP_1) | instid1(VALU_DEP_1)
	v_pk_fma_f32 v[8:9], v[6:7], v[0:1], v[4:5] op_sel:[0,0,1] op_sel_hi:[1,1,0] neg_lo:[0,0,1] neg_hi:[0,0,1]
	v_pk_fma_f32 v[4:5], v[6:7], v[0:1], v[4:5] op_sel:[0,0,1] op_sel_hi:[1,0,0]
	v_mov_b32_e32 v9, v5
	ds_load_2addr_b64 v[4:7], v134 offset0:37 offset1:38
	v_pk_add_f32 v[162:163], v[162:163], v[8:9] neg_lo:[0,1] neg_hi:[0,1]
	s_wait_dscnt 0x0
	v_pk_mul_f32 v[8:9], v[4:5], v[2:3] op_sel:[0,1]
	s_delay_alu instid0(VALU_DEP_1) | instskip(SKIP_1) | instid1(VALU_DEP_1)
	v_pk_fma_f32 v[10:11], v[4:5], v[0:1], v[8:9] op_sel:[0,0,1] op_sel_hi:[1,1,0] neg_lo:[0,0,1] neg_hi:[0,0,1]
	v_pk_fma_f32 v[4:5], v[4:5], v[0:1], v[8:9] op_sel:[0,0,1] op_sel_hi:[1,0,0]
	v_mov_b32_e32 v11, v5
	v_pk_mul_f32 v[4:5], v[6:7], v[2:3] op_sel:[0,1]
	s_delay_alu instid0(VALU_DEP_2) | instskip(NEXT) | instid1(VALU_DEP_2)
	v_pk_add_f32 v[158:159], v[158:159], v[10:11] neg_lo:[0,1] neg_hi:[0,1]
	v_pk_fma_f32 v[8:9], v[6:7], v[0:1], v[4:5] op_sel:[0,0,1] op_sel_hi:[1,1,0] neg_lo:[0,0,1] neg_hi:[0,0,1]
	v_pk_fma_f32 v[4:5], v[6:7], v[0:1], v[4:5] op_sel:[0,0,1] op_sel_hi:[1,0,0]
	s_delay_alu instid0(VALU_DEP_1) | instskip(SKIP_4) | instid1(VALU_DEP_1)
	v_mov_b32_e32 v9, v5
	ds_load_2addr_b64 v[4:7], v134 offset0:39 offset1:40
	v_pk_add_f32 v[160:161], v[160:161], v[8:9] neg_lo:[0,1] neg_hi:[0,1]
	s_wait_dscnt 0x0
	v_pk_mul_f32 v[8:9], v[4:5], v[2:3] op_sel:[0,1]
	v_pk_fma_f32 v[10:11], v[4:5], v[0:1], v[8:9] op_sel:[0,0,1] op_sel_hi:[1,1,0] neg_lo:[0,0,1] neg_hi:[0,0,1]
	v_pk_fma_f32 v[4:5], v[4:5], v[0:1], v[8:9] op_sel:[0,0,1] op_sel_hi:[1,0,0]
	v_dual_mul_f32 v8, v7, v3 :: v_dual_mov_b32 v4, v7
	s_delay_alu instid0(VALU_DEP_2) | instskip(NEXT) | instid1(VALU_DEP_2)
	v_dual_mov_b32 v11, v5 :: v_dual_mov_b32 v5, v6
	v_pk_fma_f32 v[8:9], v[6:7], v[24:25], v[8:9] op_sel_hi:[1,1,0] neg_lo:[0,0,1] neg_hi:[0,0,1]
	v_mul_f32_e32 v6, v7, v0
	s_delay_alu instid0(VALU_DEP_3) | instskip(NEXT) | instid1(VALU_DEP_2)
	v_pk_add_f32 v[156:157], v[156:157], v[10:11] neg_lo:[0,1] neg_hi:[0,1]
	v_pk_fma_f32 v[4:5], v[4:5], v[24:25], v[6:7] op_sel_hi:[1,1,0]
	s_delay_alu instid0(VALU_DEP_1) | instskip(SKIP_4) | instid1(VALU_DEP_1)
	v_mov_b32_e32 v9, v5
	ds_load_2addr_b64 v[4:7], v134 offset0:41 offset1:42
	v_pk_add_f32 v[184:185], v[184:185], v[8:9] neg_lo:[0,1] neg_hi:[0,1]
	s_wait_dscnt 0x0
	v_pk_mul_f32 v[8:9], v[4:5], v[2:3] op_sel:[0,1]
	v_pk_fma_f32 v[10:11], v[4:5], v[0:1], v[8:9] op_sel:[0,0,1] op_sel_hi:[1,1,0] neg_lo:[0,0,1] neg_hi:[0,0,1]
	v_pk_fma_f32 v[4:5], v[4:5], v[0:1], v[8:9] op_sel:[0,0,1] op_sel_hi:[1,0,0]
	s_delay_alu instid0(VALU_DEP_1) | instskip(SKIP_1) | instid1(VALU_DEP_1)
	v_mov_b32_e32 v11, v5
	v_pk_mul_f32 v[4:5], v[6:7], v[2:3] op_sel:[0,1]
	v_pk_fma_f32 v[8:9], v[6:7], v[0:1], v[4:5] op_sel:[0,0,1] op_sel_hi:[1,1,0] neg_lo:[0,0,1] neg_hi:[0,0,1]
	v_pk_fma_f32 v[4:5], v[6:7], v[0:1], v[4:5] op_sel:[0,0,1] op_sel_hi:[1,0,0]
	s_delay_alu instid0(VALU_DEP_1)
	v_mov_b32_e32 v9, v5
	ds_load_2addr_b64 v[4:7], v134 offset0:43 offset1:44
	v_pk_add_f32 v[180:181], v[180:181], v[10:11] neg_lo:[0,1] neg_hi:[0,1]
	v_pk_add_f32 v[182:183], v[182:183], v[8:9] neg_lo:[0,1] neg_hi:[0,1]
	s_wait_dscnt 0x0
	v_pk_mul_f32 v[8:9], v[4:5], v[2:3] op_sel:[0,1]
	s_delay_alu instid0(VALU_DEP_1) | instskip(SKIP_1) | instid1(VALU_DEP_1)
	v_pk_fma_f32 v[10:11], v[4:5], v[0:1], v[8:9] op_sel:[0,0,1] op_sel_hi:[1,1,0] neg_lo:[0,0,1] neg_hi:[0,0,1]
	v_pk_fma_f32 v[4:5], v[4:5], v[0:1], v[8:9] op_sel:[0,0,1] op_sel_hi:[1,0,0]
	v_mov_b32_e32 v11, v5
	v_pk_mul_f32 v[4:5], v[6:7], v[2:3] op_sel:[0,1]
	s_delay_alu instid0(VALU_DEP_1) | instskip(SKIP_1) | instid1(VALU_DEP_1)
	v_pk_fma_f32 v[8:9], v[6:7], v[0:1], v[4:5] op_sel:[0,0,1] op_sel_hi:[1,1,0] neg_lo:[0,0,1] neg_hi:[0,0,1]
	v_pk_fma_f32 v[4:5], v[6:7], v[0:1], v[4:5] op_sel:[0,0,1] op_sel_hi:[1,0,0]
	v_mov_b32_e32 v9, v5
	ds_load_2addr_b64 v[4:7], v134 offset0:45 offset1:46
	v_pk_add_f32 v[178:179], v[178:179], v[10:11] neg_lo:[0,1] neg_hi:[0,1]
	v_pk_add_f32 v[208:209], v[208:209], v[8:9] neg_lo:[0,1] neg_hi:[0,1]
	s_wait_dscnt 0x0
	v_dual_mul_f32 v8, v5, v3 :: v_dual_mul_f32 v10, v5, v0
	s_delay_alu instid0(VALU_DEP_1) | instskip(NEXT) | instid1(VALU_DEP_2)
	v_pk_fma_f32 v[8:9], v[4:5], v[24:25], v[8:9] op_sel_hi:[1,1,0] neg_lo:[0,0,1] neg_hi:[0,0,1]
	v_pk_fma_f32 v[4:5], v[4:5], v[24:25], v[10:11] op_sel:[1,0,0] op_sel_hi:[0,1,0]
	s_delay_alu instid0(VALU_DEP_1) | instskip(SKIP_1) | instid1(VALU_DEP_2)
	v_mov_b32_e32 v9, v5
	v_pk_mul_f32 v[4:5], v[6:7], v[2:3] op_sel:[0,1]
	v_pk_add_f32 v[200:201], v[200:201], v[8:9] neg_lo:[0,1] neg_hi:[0,1]
	s_delay_alu instid0(VALU_DEP_2) | instskip(SKIP_1) | instid1(VALU_DEP_1)
	v_pk_fma_f32 v[8:9], v[6:7], v[0:1], v[4:5] op_sel:[0,0,1] op_sel_hi:[1,1,0] neg_lo:[0,0,1] neg_hi:[0,0,1]
	v_pk_fma_f32 v[4:5], v[6:7], v[0:1], v[4:5] op_sel:[0,0,1] op_sel_hi:[1,0,0]
	v_mov_b32_e32 v9, v5
	ds_load_2addr_b64 v[4:7], v134 offset0:47 offset1:48
	v_pk_add_f32 v[206:207], v[206:207], v[8:9] neg_lo:[0,1] neg_hi:[0,1]
	s_wait_dscnt 0x0
	v_pk_mul_f32 v[8:9], v[4:5], v[2:3] op_sel:[0,1]
	s_delay_alu instid0(VALU_DEP_1) | instskip(SKIP_1) | instid1(VALU_DEP_1)
	v_pk_fma_f32 v[10:11], v[4:5], v[0:1], v[8:9] op_sel:[0,0,1] op_sel_hi:[1,1,0] neg_lo:[0,0,1] neg_hi:[0,0,1]
	v_pk_fma_f32 v[4:5], v[4:5], v[0:1], v[8:9] op_sel:[0,0,1] op_sel_hi:[1,0,0]
	v_mov_b32_e32 v11, v5
	v_pk_mul_f32 v[4:5], v[6:7], v[2:3] op_sel:[0,1]
	s_delay_alu instid0(VALU_DEP_2) | instskip(NEXT) | instid1(VALU_DEP_2)
	v_pk_add_f32 v[198:199], v[198:199], v[10:11] neg_lo:[0,1] neg_hi:[0,1]
	v_pk_fma_f32 v[8:9], v[6:7], v[0:1], v[4:5] op_sel:[0,0,1] op_sel_hi:[1,1,0] neg_lo:[0,0,1] neg_hi:[0,0,1]
	v_pk_fma_f32 v[4:5], v[6:7], v[0:1], v[4:5] op_sel:[0,0,1] op_sel_hi:[1,0,0]
	s_delay_alu instid0(VALU_DEP_1) | instskip(SKIP_4) | instid1(VALU_DEP_1)
	v_mov_b32_e32 v9, v5
	ds_load_2addr_b64 v[4:7], v134 offset0:49 offset1:50
	v_pk_add_f32 v[204:205], v[204:205], v[8:9] neg_lo:[0,1] neg_hi:[0,1]
	s_wait_dscnt 0x0
	v_pk_mul_f32 v[8:9], v[4:5], v[2:3] op_sel:[0,1]
	v_pk_fma_f32 v[10:11], v[4:5], v[0:1], v[8:9] op_sel:[0,0,1] op_sel_hi:[1,1,0] neg_lo:[0,0,1] neg_hi:[0,0,1]
	v_pk_fma_f32 v[4:5], v[4:5], v[0:1], v[8:9] op_sel:[0,0,1] op_sel_hi:[1,0,0]
	v_dual_mul_f32 v8, v7, v3 :: v_dual_mov_b32 v4, v7
	s_delay_alu instid0(VALU_DEP_2) | instskip(NEXT) | instid1(VALU_DEP_2)
	v_dual_mov_b32 v11, v5 :: v_dual_mov_b32 v5, v6
	v_pk_fma_f32 v[8:9], v[6:7], v[24:25], v[8:9] op_sel_hi:[1,1,0] neg_lo:[0,0,1] neg_hi:[0,0,1]
	v_mul_f32_e32 v6, v7, v0
	s_delay_alu instid0(VALU_DEP_3) | instskip(NEXT) | instid1(VALU_DEP_2)
	v_pk_add_f32 v[196:197], v[196:197], v[10:11] neg_lo:[0,1] neg_hi:[0,1]
	v_pk_fma_f32 v[4:5], v[4:5], v[24:25], v[6:7] op_sel_hi:[1,1,0]
	s_delay_alu instid0(VALU_DEP_1)
	v_mov_b32_e32 v9, v5
	ds_load_2addr_b64 v[4:7], v134 offset0:51 offset1:52
	v_pk_add_f32 v[202:203], v[202:203], v[8:9] neg_lo:[0,1] neg_hi:[0,1]
	s_wait_dscnt 0x0
	v_pk_mul_f32 v[8:9], v[4:5], v[2:3] op_sel:[0,1]
	v_pk_mul_f32 v[2:3], v[6:7], v[2:3] op_sel:[0,1]
	s_delay_alu instid0(VALU_DEP_2) | instskip(SKIP_1) | instid1(VALU_DEP_1)
	v_pk_fma_f32 v[10:11], v[4:5], v[0:1], v[8:9] op_sel:[0,0,1] op_sel_hi:[1,1,0] neg_lo:[0,0,1] neg_hi:[0,0,1]
	v_pk_fma_f32 v[4:5], v[4:5], v[0:1], v[8:9] op_sel:[0,0,1] op_sel_hi:[1,0,0]
	v_mov_b32_e32 v11, v5
	s_delay_alu instid0(VALU_DEP_4) | instskip(SKIP_1) | instid1(VALU_DEP_1)
	v_pk_fma_f32 v[4:5], v[6:7], v[0:1], v[2:3] op_sel:[0,0,1] op_sel_hi:[1,1,0] neg_lo:[0,0,1] neg_hi:[0,0,1]
	v_pk_fma_f32 v[0:1], v[6:7], v[0:1], v[2:3] op_sel:[0,0,1] op_sel_hi:[1,0,0]
	v_mov_b32_e32 v5, v1
	s_delay_alu instid0(VALU_DEP_4) | instskip(NEXT) | instid1(VALU_DEP_2)
	v_pk_add_f32 v[210:211], v[210:211], v[10:11] neg_lo:[0,1] neg_hi:[0,1]
	v_pk_add_f32 v[212:213], v[212:213], v[4:5] neg_lo:[0,1] neg_hi:[0,1]
.LBB105_64:
	s_wait_xcnt 0x0
	s_or_b32 exec_lo, exec_lo, s1
	s_delay_alu instid0(SALU_CYCLE_1)
	s_mov_b32 s2, exec_lo
	s_wait_storecnt 0x0
	s_barrier_signal -1
	s_barrier_wait -1
	v_cmpx_eq_u32_e32 7, v132
	s_cbranch_execz .LBB105_71
; %bb.65:
	v_dual_mov_b32 v0, v40 :: v_dual_mov_b32 v1, v41
	v_dual_mov_b32 v2, v36 :: v_dual_mov_b32 v3, v37
	;; [unrolled: 1-line block ×8, first 2 shown]
	ds_store_b64 v133, v[20:21]
	ds_store_2addr_b64 v134, v[0:1], v[2:3] offset0:8 offset1:9
	ds_store_2addr_b64 v134, v[4:5], v[6:7] offset0:10 offset1:11
	ds_store_2addr_b64 v134, v[8:9], v[10:11] offset0:12 offset1:13
	ds_store_2addr_b64 v134, v[12:13], v[14:15] offset0:14 offset1:15
	v_dual_mov_b32 v0, v80 :: v_dual_mov_b32 v1, v81
	v_dual_mov_b32 v2, v76 :: v_dual_mov_b32 v3, v77
	v_dual_mov_b32 v4, v78 :: v_dual_mov_b32 v5, v79
	v_dual_mov_b32 v6, v74 :: v_dual_mov_b32 v7, v75
	v_dual_mov_b32 v8, v96 :: v_dual_mov_b32 v9, v97
	v_dual_mov_b32 v10, v92 :: v_dual_mov_b32 v11, v93
	v_dual_mov_b32 v12, v94 :: v_dual_mov_b32 v13, v95
	v_dual_mov_b32 v14, v90 :: v_dual_mov_b32 v15, v91
	v_dual_mov_b32 v18, v112 :: v_dual_mov_b32 v19, v113
	v_dual_mov_b32 v28, v108 :: v_dual_mov_b32 v29, v109
	v_dual_mov_b32 v30, v110 :: v_dual_mov_b32 v31, v111
	v_dual_mov_b32 v32, v106 :: v_dual_mov_b32 v33, v107
	ds_store_2addr_b64 v134, v[0:1], v[2:3] offset0:16 offset1:17
	ds_store_2addr_b64 v134, v[4:5], v[6:7] offset0:18 offset1:19
	ds_store_2addr_b64 v134, v[8:9], v[10:11] offset0:20 offset1:21
	ds_store_2addr_b64 v134, v[12:13], v[14:15] offset0:22 offset1:23
	ds_store_2addr_b64 v134, v[18:19], v[28:29] offset0:24 offset1:25
	ds_store_2addr_b64 v134, v[30:31], v[32:33] offset0:26 offset1:27
	v_dual_mov_b32 v0, v130 :: v_dual_mov_b32 v1, v131
	v_dual_mov_b32 v2, v126 :: v_dual_mov_b32 v3, v127
	v_dual_mov_b32 v4, v128 :: v_dual_mov_b32 v5, v129
	v_dual_mov_b32 v6, v124 :: v_dual_mov_b32 v7, v125
	v_dual_mov_b32 v8, v146 :: v_dual_mov_b32 v9, v147
	v_dual_mov_b32 v10, v142 :: v_dual_mov_b32 v11, v143
	v_dual_mov_b32 v12, v144 :: v_dual_mov_b32 v13, v145
	v_dual_mov_b32 v14, v140 :: v_dual_mov_b32 v15, v141
	v_dual_mov_b32 v18, v162 :: v_dual_mov_b32 v19, v163
	v_dual_mov_b32 v28, v158 :: v_dual_mov_b32 v29, v159
	v_dual_mov_b32 v30, v160 :: v_dual_mov_b32 v31, v161
	v_dual_mov_b32 v32, v156 :: v_dual_mov_b32 v33, v157
	ds_store_2addr_b64 v134, v[0:1], v[2:3] offset0:28 offset1:29
	ds_store_2addr_b64 v134, v[4:5], v[6:7] offset0:30 offset1:31
	;; [unrolled: 18-line block ×3, first 2 shown]
	ds_store_2addr_b64 v134, v[8:9], v[10:11] offset0:44 offset1:45
	ds_store_2addr_b64 v134, v[12:13], v[14:15] offset0:46 offset1:47
	;; [unrolled: 1-line block ×4, first 2 shown]
	ds_store_b64 v134, v[212:213] offset:416
	ds_load_b64 v[0:1], v133
	s_wait_dscnt 0x0
	v_cmp_neq_f32_e32 vcc_lo, 0, v0
	v_cmp_neq_f32_e64 s1, 0, v1
	s_or_b32 s1, vcc_lo, s1
	s_delay_alu instid0(SALU_CYCLE_1)
	s_and_b32 exec_lo, exec_lo, s1
	s_cbranch_execz .LBB105_71
; %bb.66:
	v_cmp_ngt_f32_e64 s1, |v0|, |v1|
                                        ; implicit-def: $vgpr2_vgpr3
	s_and_saveexec_b32 s4, s1
	s_delay_alu instid0(SALU_CYCLE_1)
	s_xor_b32 s1, exec_lo, s4
	s_cbranch_execz .LBB105_68
; %bb.67:
	v_div_scale_f32 v2, null, v1, v1, v0
	v_div_scale_f32 v5, vcc_lo, v0, v1, v0
	s_delay_alu instid0(VALU_DEP_2) | instskip(SKIP_1) | instid1(TRANS32_DEP_1)
	v_rcp_f32_e32 v3, v2
	v_nop
	v_fma_f32 v4, -v2, v3, 1.0
	s_delay_alu instid0(VALU_DEP_1) | instskip(NEXT) | instid1(VALU_DEP_1)
	v_fmac_f32_e32 v3, v4, v3
	v_mul_f32_e32 v4, v5, v3
	s_delay_alu instid0(VALU_DEP_1) | instskip(NEXT) | instid1(VALU_DEP_1)
	v_fma_f32 v6, -v2, v4, v5
	v_fmac_f32_e32 v4, v6, v3
	s_delay_alu instid0(VALU_DEP_1) | instskip(NEXT) | instid1(VALU_DEP_1)
	v_fma_f32 v2, -v2, v4, v5
	v_div_fmas_f32 v2, v2, v3, v4
	s_delay_alu instid0(VALU_DEP_1) | instskip(NEXT) | instid1(VALU_DEP_1)
	v_div_fixup_f32 v2, v2, v1, v0
	v_fmac_f32_e32 v1, v0, v2
	s_delay_alu instid0(VALU_DEP_1) | instskip(SKIP_1) | instid1(VALU_DEP_2)
	v_div_scale_f32 v0, null, v1, v1, 1.0
	v_div_scale_f32 v5, vcc_lo, 1.0, v1, 1.0
	v_rcp_f32_e32 v3, v0
	v_nop
	s_delay_alu instid0(TRANS32_DEP_1) | instskip(NEXT) | instid1(VALU_DEP_1)
	v_fma_f32 v4, -v0, v3, 1.0
	v_fmac_f32_e32 v3, v4, v3
	s_delay_alu instid0(VALU_DEP_1) | instskip(NEXT) | instid1(VALU_DEP_1)
	v_mul_f32_e32 v4, v5, v3
	v_fma_f32 v6, -v0, v4, v5
	s_delay_alu instid0(VALU_DEP_1) | instskip(NEXT) | instid1(VALU_DEP_1)
	v_fmac_f32_e32 v4, v6, v3
	v_fma_f32 v0, -v0, v4, v5
	s_delay_alu instid0(VALU_DEP_1) | instskip(NEXT) | instid1(VALU_DEP_1)
	v_div_fmas_f32 v0, v0, v3, v4
	v_div_fixup_f32 v0, v0, v1, 1.0
	s_delay_alu instid0(VALU_DEP_1)
	v_mul_f32_e32 v2, v2, v0
	v_xor_b32_e32 v3, 0x80000000, v0
                                        ; implicit-def: $vgpr0_vgpr1
.LBB105_68:
	s_and_not1_saveexec_b32 s1, s1
	s_cbranch_execz .LBB105_70
; %bb.69:
	v_div_scale_f32 v2, null, v0, v0, v1
	v_div_scale_f32 v5, vcc_lo, v1, v0, v1
	s_delay_alu instid0(VALU_DEP_2) | instskip(SKIP_1) | instid1(TRANS32_DEP_1)
	v_rcp_f32_e32 v3, v2
	v_nop
	v_fma_f32 v4, -v2, v3, 1.0
	s_delay_alu instid0(VALU_DEP_1) | instskip(NEXT) | instid1(VALU_DEP_1)
	v_fmac_f32_e32 v3, v4, v3
	v_mul_f32_e32 v4, v5, v3
	s_delay_alu instid0(VALU_DEP_1) | instskip(NEXT) | instid1(VALU_DEP_1)
	v_fma_f32 v6, -v2, v4, v5
	v_fmac_f32_e32 v4, v6, v3
	s_delay_alu instid0(VALU_DEP_1) | instskip(NEXT) | instid1(VALU_DEP_1)
	v_fma_f32 v2, -v2, v4, v5
	v_div_fmas_f32 v2, v2, v3, v4
	s_delay_alu instid0(VALU_DEP_1) | instskip(NEXT) | instid1(VALU_DEP_1)
	v_div_fixup_f32 v3, v2, v0, v1
	v_fmac_f32_e32 v0, v1, v3
	s_delay_alu instid0(VALU_DEP_1) | instskip(NEXT) | instid1(VALU_DEP_1)
	v_div_scale_f32 v1, null, v0, v0, 1.0
	v_rcp_f32_e32 v2, v1
	v_nop
	s_delay_alu instid0(TRANS32_DEP_1) | instskip(NEXT) | instid1(VALU_DEP_1)
	v_fma_f32 v4, -v1, v2, 1.0
	v_fmac_f32_e32 v2, v4, v2
	v_div_scale_f32 v4, vcc_lo, 1.0, v0, 1.0
	s_delay_alu instid0(VALU_DEP_1) | instskip(NEXT) | instid1(VALU_DEP_1)
	v_mul_f32_e32 v5, v4, v2
	v_fma_f32 v6, -v1, v5, v4
	s_delay_alu instid0(VALU_DEP_1) | instskip(NEXT) | instid1(VALU_DEP_1)
	v_fmac_f32_e32 v5, v6, v2
	v_fma_f32 v1, -v1, v5, v4
	s_delay_alu instid0(VALU_DEP_1) | instskip(NEXT) | instid1(VALU_DEP_1)
	v_div_fmas_f32 v1, v1, v2, v5
	v_div_fixup_f32 v2, v1, v0, 1.0
	s_delay_alu instid0(VALU_DEP_1)
	v_mul_f32_e64 v3, v3, -v2
.LBB105_70:
	s_or_b32 exec_lo, exec_lo, s1
	ds_store_b64 v133, v[2:3]
.LBB105_71:
	s_or_b32 exec_lo, exec_lo, s2
	s_wait_dscnt 0x0
	s_barrier_signal -1
	s_barrier_wait -1
	ds_load_b64 v[0:1], v133
	s_mov_b32 s1, exec_lo
	s_wait_dscnt 0x0
	scratch_store_b64 off, v[0:1], off offset:184 ; 8-byte Folded Spill
	s_wait_xcnt 0x0
	v_cmpx_lt_u32_e32 7, v132
	s_cbranch_execz .LBB105_73
; %bb.72:
	scratch_load_b64 v[4:5], off, off offset:184 ; 8-byte Folded Reload
	s_wait_loadcnt 0x0
	v_pk_mul_f32 v[2:3], v[4:5], v[20:21] op_sel:[1,1] op_sel_hi:[0,1]
	s_delay_alu instid0(VALU_DEP_1)
	v_pk_fma_f32 v[0:1], v[4:5], v[20:21], v[2:3] op_sel_hi:[1,0,1] neg_lo:[0,0,1] neg_hi:[0,0,1]
	v_pk_fma_f32 v[2:3], v[4:5], v[20:21], v[2:3] op_sel_hi:[1,0,1]
	ds_load_2addr_b64 v[4:7], v134 offset0:8 offset1:9
	v_dual_mov_b32 v20, v0 :: v_dual_mov_b32 v21, v3
	s_wait_dscnt 0x0
	v_pk_mul_f32 v[8:9], v[4:5], v[2:3] op_sel:[0,1]
	s_delay_alu instid0(VALU_DEP_1) | instskip(SKIP_1) | instid1(VALU_DEP_1)
	v_pk_fma_f32 v[10:11], v[4:5], v[0:1], v[8:9] op_sel:[0,0,1] op_sel_hi:[1,1,0] neg_lo:[0,0,1] neg_hi:[0,0,1]
	v_pk_fma_f32 v[4:5], v[4:5], v[0:1], v[8:9] op_sel:[0,0,1] op_sel_hi:[1,0,0]
	v_mov_b32_e32 v11, v5
	v_pk_mul_f32 v[4:5], v[6:7], v[2:3] op_sel:[0,1]
	s_delay_alu instid0(VALU_DEP_1) | instskip(SKIP_1) | instid1(VALU_DEP_1)
	v_pk_fma_f32 v[8:9], v[6:7], v[0:1], v[4:5] op_sel:[0,0,1] op_sel_hi:[1,1,0] neg_lo:[0,0,1] neg_hi:[0,0,1]
	v_pk_fma_f32 v[4:5], v[6:7], v[0:1], v[4:5] op_sel:[0,0,1] op_sel_hi:[1,0,0]
	v_mov_b32_e32 v9, v5
	ds_load_2addr_b64 v[4:7], v134 offset0:10 offset1:11
	v_pk_add_f32 v[40:41], v[40:41], v[10:11] neg_lo:[0,1] neg_hi:[0,1]
	v_pk_add_f32 v[36:37], v[36:37], v[8:9] neg_lo:[0,1] neg_hi:[0,1]
	s_wait_dscnt 0x0
	v_pk_mul_f32 v[8:9], v[4:5], v[2:3] op_sel:[0,1]
	s_delay_alu instid0(VALU_DEP_1) | instskip(SKIP_2) | instid1(VALU_DEP_2)
	v_pk_fma_f32 v[10:11], v[4:5], v[0:1], v[8:9] op_sel:[0,0,1] op_sel_hi:[1,1,0] neg_lo:[0,0,1] neg_hi:[0,0,1]
	v_pk_fma_f32 v[4:5], v[4:5], v[0:1], v[8:9] op_sel:[0,0,1] op_sel_hi:[1,0,0]
	v_dual_mul_f32 v8, v7, v3 :: v_dual_mov_b32 v4, v7
	v_dual_mov_b32 v11, v5 :: v_dual_mov_b32 v5, v6
	s_delay_alu instid0(VALU_DEP_2) | instskip(SKIP_1) | instid1(VALU_DEP_3)
	v_pk_fma_f32 v[8:9], v[6:7], v[20:21], v[8:9] op_sel_hi:[1,1,0] neg_lo:[0,0,1] neg_hi:[0,0,1]
	v_mul_f32_e32 v6, v7, v0
	v_pk_add_f32 v[38:39], v[38:39], v[10:11] neg_lo:[0,1] neg_hi:[0,1]
	s_delay_alu instid0(VALU_DEP_2) | instskip(NEXT) | instid1(VALU_DEP_1)
	v_pk_fma_f32 v[4:5], v[4:5], v[20:21], v[6:7] op_sel_hi:[1,1,0]
	v_mov_b32_e32 v9, v5
	ds_load_2addr_b64 v[4:7], v134 offset0:12 offset1:13
	v_pk_add_f32 v[34:35], v[34:35], v[8:9] neg_lo:[0,1] neg_hi:[0,1]
	s_wait_dscnt 0x0
	v_pk_mul_f32 v[8:9], v[4:5], v[2:3] op_sel:[0,1]
	s_delay_alu instid0(VALU_DEP_1) | instskip(SKIP_1) | instid1(VALU_DEP_1)
	v_pk_fma_f32 v[10:11], v[4:5], v[0:1], v[8:9] op_sel:[0,0,1] op_sel_hi:[1,1,0] neg_lo:[0,0,1] neg_hi:[0,0,1]
	v_pk_fma_f32 v[4:5], v[4:5], v[0:1], v[8:9] op_sel:[0,0,1] op_sel_hi:[1,0,0]
	v_mov_b32_e32 v11, v5
	v_pk_mul_f32 v[4:5], v[6:7], v[2:3] op_sel:[0,1]
	s_delay_alu instid0(VALU_DEP_1) | instskip(SKIP_1) | instid1(VALU_DEP_1)
	v_pk_fma_f32 v[8:9], v[6:7], v[0:1], v[4:5] op_sel:[0,0,1] op_sel_hi:[1,1,0] neg_lo:[0,0,1] neg_hi:[0,0,1]
	v_pk_fma_f32 v[4:5], v[6:7], v[0:1], v[4:5] op_sel:[0,0,1] op_sel_hi:[1,0,0]
	v_mov_b32_e32 v9, v5
	ds_load_2addr_b64 v[4:7], v134 offset0:14 offset1:15
	v_pk_add_f32 v[64:65], v[64:65], v[10:11] neg_lo:[0,1] neg_hi:[0,1]
	v_pk_add_f32 v[60:61], v[60:61], v[8:9] neg_lo:[0,1] neg_hi:[0,1]
	s_wait_dscnt 0x0
	v_pk_mul_f32 v[8:9], v[4:5], v[2:3] op_sel:[0,1]
	s_delay_alu instid0(VALU_DEP_1) | instskip(SKIP_1) | instid1(VALU_DEP_1)
	v_pk_fma_f32 v[10:11], v[4:5], v[0:1], v[8:9] op_sel:[0,0,1] op_sel_hi:[1,1,0] neg_lo:[0,0,1] neg_hi:[0,0,1]
	v_pk_fma_f32 v[4:5], v[4:5], v[0:1], v[8:9] op_sel:[0,0,1] op_sel_hi:[1,0,0]
	v_mov_b32_e32 v11, v5
	v_pk_mul_f32 v[4:5], v[6:7], v[2:3] op_sel:[0,1]
	s_delay_alu instid0(VALU_DEP_1) | instskip(SKIP_1) | instid1(VALU_DEP_1)
	v_pk_fma_f32 v[8:9], v[6:7], v[0:1], v[4:5] op_sel:[0,0,1] op_sel_hi:[1,1,0] neg_lo:[0,0,1] neg_hi:[0,0,1]
	v_pk_fma_f32 v[4:5], v[6:7], v[0:1], v[4:5] op_sel:[0,0,1] op_sel_hi:[1,0,0]
	v_mov_b32_e32 v9, v5
	ds_load_2addr_b64 v[4:7], v134 offset0:16 offset1:17
	v_pk_add_f32 v[62:63], v[62:63], v[10:11] neg_lo:[0,1] neg_hi:[0,1]
	v_pk_add_f32 v[58:59], v[58:59], v[8:9] neg_lo:[0,1] neg_hi:[0,1]
	s_wait_dscnt 0x0
	v_dual_mul_f32 v8, v5, v3 :: v_dual_mul_f32 v10, v5, v0
	s_delay_alu instid0(VALU_DEP_1) | instskip(NEXT) | instid1(VALU_DEP_2)
	v_pk_fma_f32 v[8:9], v[4:5], v[20:21], v[8:9] op_sel_hi:[1,1,0] neg_lo:[0,0,1] neg_hi:[0,0,1]
	v_pk_fma_f32 v[4:5], v[4:5], v[20:21], v[10:11] op_sel:[1,0,0] op_sel_hi:[0,1,0]
	s_delay_alu instid0(VALU_DEP_1) | instskip(SKIP_1) | instid1(VALU_DEP_2)
	v_mov_b32_e32 v9, v5
	v_pk_mul_f32 v[4:5], v[6:7], v[2:3] op_sel:[0,1]
	v_pk_add_f32 v[80:81], v[80:81], v[8:9] neg_lo:[0,1] neg_hi:[0,1]
	s_delay_alu instid0(VALU_DEP_2) | instskip(SKIP_1) | instid1(VALU_DEP_1)
	v_pk_fma_f32 v[8:9], v[6:7], v[0:1], v[4:5] op_sel:[0,0,1] op_sel_hi:[1,1,0] neg_lo:[0,0,1] neg_hi:[0,0,1]
	v_pk_fma_f32 v[4:5], v[6:7], v[0:1], v[4:5] op_sel:[0,0,1] op_sel_hi:[1,0,0]
	v_mov_b32_e32 v9, v5
	ds_load_2addr_b64 v[4:7], v134 offset0:18 offset1:19
	v_pk_add_f32 v[76:77], v[76:77], v[8:9] neg_lo:[0,1] neg_hi:[0,1]
	s_wait_dscnt 0x0
	v_pk_mul_f32 v[8:9], v[4:5], v[2:3] op_sel:[0,1]
	s_delay_alu instid0(VALU_DEP_1) | instskip(SKIP_1) | instid1(VALU_DEP_1)
	v_pk_fma_f32 v[10:11], v[4:5], v[0:1], v[8:9] op_sel:[0,0,1] op_sel_hi:[1,1,0] neg_lo:[0,0,1] neg_hi:[0,0,1]
	v_pk_fma_f32 v[4:5], v[4:5], v[0:1], v[8:9] op_sel:[0,0,1] op_sel_hi:[1,0,0]
	v_mov_b32_e32 v11, v5
	v_pk_mul_f32 v[4:5], v[6:7], v[2:3] op_sel:[0,1]
	s_delay_alu instid0(VALU_DEP_2) | instskip(NEXT) | instid1(VALU_DEP_2)
	v_pk_add_f32 v[78:79], v[78:79], v[10:11] neg_lo:[0,1] neg_hi:[0,1]
	v_pk_fma_f32 v[8:9], v[6:7], v[0:1], v[4:5] op_sel:[0,0,1] op_sel_hi:[1,1,0] neg_lo:[0,0,1] neg_hi:[0,0,1]
	v_pk_fma_f32 v[4:5], v[6:7], v[0:1], v[4:5] op_sel:[0,0,1] op_sel_hi:[1,0,0]
	s_delay_alu instid0(VALU_DEP_1) | instskip(SKIP_4) | instid1(VALU_DEP_1)
	v_mov_b32_e32 v9, v5
	ds_load_2addr_b64 v[4:7], v134 offset0:20 offset1:21
	v_pk_add_f32 v[74:75], v[74:75], v[8:9] neg_lo:[0,1] neg_hi:[0,1]
	s_wait_dscnt 0x0
	v_pk_mul_f32 v[8:9], v[4:5], v[2:3] op_sel:[0,1]
	v_pk_fma_f32 v[10:11], v[4:5], v[0:1], v[8:9] op_sel:[0,0,1] op_sel_hi:[1,1,0] neg_lo:[0,0,1] neg_hi:[0,0,1]
	v_pk_fma_f32 v[4:5], v[4:5], v[0:1], v[8:9] op_sel:[0,0,1] op_sel_hi:[1,0,0]
	v_dual_mul_f32 v8, v7, v3 :: v_dual_mov_b32 v4, v7
	s_delay_alu instid0(VALU_DEP_2) | instskip(NEXT) | instid1(VALU_DEP_2)
	v_dual_mov_b32 v11, v5 :: v_dual_mov_b32 v5, v6
	v_pk_fma_f32 v[8:9], v[6:7], v[20:21], v[8:9] op_sel_hi:[1,1,0] neg_lo:[0,0,1] neg_hi:[0,0,1]
	v_mul_f32_e32 v6, v7, v0
	s_delay_alu instid0(VALU_DEP_3) | instskip(NEXT) | instid1(VALU_DEP_2)
	v_pk_add_f32 v[96:97], v[96:97], v[10:11] neg_lo:[0,1] neg_hi:[0,1]
	v_pk_fma_f32 v[4:5], v[4:5], v[20:21], v[6:7] op_sel_hi:[1,1,0]
	s_delay_alu instid0(VALU_DEP_1) | instskip(SKIP_4) | instid1(VALU_DEP_1)
	v_mov_b32_e32 v9, v5
	ds_load_2addr_b64 v[4:7], v134 offset0:22 offset1:23
	v_pk_add_f32 v[92:93], v[92:93], v[8:9] neg_lo:[0,1] neg_hi:[0,1]
	s_wait_dscnt 0x0
	v_pk_mul_f32 v[8:9], v[4:5], v[2:3] op_sel:[0,1]
	v_pk_fma_f32 v[10:11], v[4:5], v[0:1], v[8:9] op_sel:[0,0,1] op_sel_hi:[1,1,0] neg_lo:[0,0,1] neg_hi:[0,0,1]
	v_pk_fma_f32 v[4:5], v[4:5], v[0:1], v[8:9] op_sel:[0,0,1] op_sel_hi:[1,0,0]
	s_delay_alu instid0(VALU_DEP_1) | instskip(SKIP_1) | instid1(VALU_DEP_1)
	v_mov_b32_e32 v11, v5
	v_pk_mul_f32 v[4:5], v[6:7], v[2:3] op_sel:[0,1]
	v_pk_fma_f32 v[8:9], v[6:7], v[0:1], v[4:5] op_sel:[0,0,1] op_sel_hi:[1,1,0] neg_lo:[0,0,1] neg_hi:[0,0,1]
	v_pk_fma_f32 v[4:5], v[6:7], v[0:1], v[4:5] op_sel:[0,0,1] op_sel_hi:[1,0,0]
	s_delay_alu instid0(VALU_DEP_1)
	v_mov_b32_e32 v9, v5
	ds_load_2addr_b64 v[4:7], v134 offset0:24 offset1:25
	v_pk_add_f32 v[94:95], v[94:95], v[10:11] neg_lo:[0,1] neg_hi:[0,1]
	v_pk_add_f32 v[90:91], v[90:91], v[8:9] neg_lo:[0,1] neg_hi:[0,1]
	s_wait_dscnt 0x0
	v_pk_mul_f32 v[8:9], v[4:5], v[2:3] op_sel:[0,1]
	s_delay_alu instid0(VALU_DEP_1) | instskip(SKIP_1) | instid1(VALU_DEP_1)
	v_pk_fma_f32 v[10:11], v[4:5], v[0:1], v[8:9] op_sel:[0,0,1] op_sel_hi:[1,1,0] neg_lo:[0,0,1] neg_hi:[0,0,1]
	v_pk_fma_f32 v[4:5], v[4:5], v[0:1], v[8:9] op_sel:[0,0,1] op_sel_hi:[1,0,0]
	v_mov_b32_e32 v11, v5
	v_pk_mul_f32 v[4:5], v[6:7], v[2:3] op_sel:[0,1]
	s_delay_alu instid0(VALU_DEP_1) | instskip(SKIP_1) | instid1(VALU_DEP_1)
	v_pk_fma_f32 v[8:9], v[6:7], v[0:1], v[4:5] op_sel:[0,0,1] op_sel_hi:[1,1,0] neg_lo:[0,0,1] neg_hi:[0,0,1]
	v_pk_fma_f32 v[4:5], v[6:7], v[0:1], v[4:5] op_sel:[0,0,1] op_sel_hi:[1,0,0]
	v_mov_b32_e32 v9, v5
	ds_load_2addr_b64 v[4:7], v134 offset0:26 offset1:27
	v_pk_add_f32 v[112:113], v[112:113], v[10:11] neg_lo:[0,1] neg_hi:[0,1]
	v_pk_add_f32 v[108:109], v[108:109], v[8:9] neg_lo:[0,1] neg_hi:[0,1]
	s_wait_dscnt 0x0
	v_dual_mul_f32 v8, v5, v3 :: v_dual_mul_f32 v10, v5, v0
	s_delay_alu instid0(VALU_DEP_1) | instskip(NEXT) | instid1(VALU_DEP_2)
	v_pk_fma_f32 v[8:9], v[4:5], v[20:21], v[8:9] op_sel_hi:[1,1,0] neg_lo:[0,0,1] neg_hi:[0,0,1]
	v_pk_fma_f32 v[4:5], v[4:5], v[20:21], v[10:11] op_sel:[1,0,0] op_sel_hi:[0,1,0]
	s_delay_alu instid0(VALU_DEP_1) | instskip(SKIP_1) | instid1(VALU_DEP_2)
	v_mov_b32_e32 v9, v5
	v_pk_mul_f32 v[4:5], v[6:7], v[2:3] op_sel:[0,1]
	v_pk_add_f32 v[110:111], v[110:111], v[8:9] neg_lo:[0,1] neg_hi:[0,1]
	s_delay_alu instid0(VALU_DEP_2) | instskip(SKIP_1) | instid1(VALU_DEP_1)
	v_pk_fma_f32 v[8:9], v[6:7], v[0:1], v[4:5] op_sel:[0,0,1] op_sel_hi:[1,1,0] neg_lo:[0,0,1] neg_hi:[0,0,1]
	v_pk_fma_f32 v[4:5], v[6:7], v[0:1], v[4:5] op_sel:[0,0,1] op_sel_hi:[1,0,0]
	v_mov_b32_e32 v9, v5
	ds_load_2addr_b64 v[4:7], v134 offset0:28 offset1:29
	v_pk_add_f32 v[106:107], v[106:107], v[8:9] neg_lo:[0,1] neg_hi:[0,1]
	s_wait_dscnt 0x0
	v_pk_mul_f32 v[8:9], v[4:5], v[2:3] op_sel:[0,1]
	s_delay_alu instid0(VALU_DEP_1) | instskip(SKIP_1) | instid1(VALU_DEP_1)
	v_pk_fma_f32 v[10:11], v[4:5], v[0:1], v[8:9] op_sel:[0,0,1] op_sel_hi:[1,1,0] neg_lo:[0,0,1] neg_hi:[0,0,1]
	v_pk_fma_f32 v[4:5], v[4:5], v[0:1], v[8:9] op_sel:[0,0,1] op_sel_hi:[1,0,0]
	v_mov_b32_e32 v11, v5
	v_pk_mul_f32 v[4:5], v[6:7], v[2:3] op_sel:[0,1]
	s_delay_alu instid0(VALU_DEP_2) | instskip(NEXT) | instid1(VALU_DEP_2)
	v_pk_add_f32 v[130:131], v[130:131], v[10:11] neg_lo:[0,1] neg_hi:[0,1]
	v_pk_fma_f32 v[8:9], v[6:7], v[0:1], v[4:5] op_sel:[0,0,1] op_sel_hi:[1,1,0] neg_lo:[0,0,1] neg_hi:[0,0,1]
	v_pk_fma_f32 v[4:5], v[6:7], v[0:1], v[4:5] op_sel:[0,0,1] op_sel_hi:[1,0,0]
	s_delay_alu instid0(VALU_DEP_1) | instskip(SKIP_4) | instid1(VALU_DEP_1)
	v_mov_b32_e32 v9, v5
	ds_load_2addr_b64 v[4:7], v134 offset0:30 offset1:31
	v_pk_add_f32 v[126:127], v[126:127], v[8:9] neg_lo:[0,1] neg_hi:[0,1]
	s_wait_dscnt 0x0
	v_pk_mul_f32 v[8:9], v[4:5], v[2:3] op_sel:[0,1]
	v_pk_fma_f32 v[10:11], v[4:5], v[0:1], v[8:9] op_sel:[0,0,1] op_sel_hi:[1,1,0] neg_lo:[0,0,1] neg_hi:[0,0,1]
	v_pk_fma_f32 v[4:5], v[4:5], v[0:1], v[8:9] op_sel:[0,0,1] op_sel_hi:[1,0,0]
	v_dual_mul_f32 v8, v7, v3 :: v_dual_mov_b32 v4, v7
	s_delay_alu instid0(VALU_DEP_2) | instskip(NEXT) | instid1(VALU_DEP_2)
	v_dual_mov_b32 v11, v5 :: v_dual_mov_b32 v5, v6
	v_pk_fma_f32 v[8:9], v[6:7], v[20:21], v[8:9] op_sel_hi:[1,1,0] neg_lo:[0,0,1] neg_hi:[0,0,1]
	v_mul_f32_e32 v6, v7, v0
	s_delay_alu instid0(VALU_DEP_3) | instskip(NEXT) | instid1(VALU_DEP_2)
	v_pk_add_f32 v[128:129], v[128:129], v[10:11] neg_lo:[0,1] neg_hi:[0,1]
	v_pk_fma_f32 v[4:5], v[4:5], v[20:21], v[6:7] op_sel_hi:[1,1,0]
	s_delay_alu instid0(VALU_DEP_1) | instskip(SKIP_4) | instid1(VALU_DEP_1)
	v_mov_b32_e32 v9, v5
	ds_load_2addr_b64 v[4:7], v134 offset0:32 offset1:33
	v_pk_add_f32 v[124:125], v[124:125], v[8:9] neg_lo:[0,1] neg_hi:[0,1]
	s_wait_dscnt 0x0
	v_pk_mul_f32 v[8:9], v[4:5], v[2:3] op_sel:[0,1]
	v_pk_fma_f32 v[10:11], v[4:5], v[0:1], v[8:9] op_sel:[0,0,1] op_sel_hi:[1,1,0] neg_lo:[0,0,1] neg_hi:[0,0,1]
	v_pk_fma_f32 v[4:5], v[4:5], v[0:1], v[8:9] op_sel:[0,0,1] op_sel_hi:[1,0,0]
	s_delay_alu instid0(VALU_DEP_1) | instskip(SKIP_1) | instid1(VALU_DEP_1)
	v_mov_b32_e32 v11, v5
	v_pk_mul_f32 v[4:5], v[6:7], v[2:3] op_sel:[0,1]
	v_pk_fma_f32 v[8:9], v[6:7], v[0:1], v[4:5] op_sel:[0,0,1] op_sel_hi:[1,1,0] neg_lo:[0,0,1] neg_hi:[0,0,1]
	v_pk_fma_f32 v[4:5], v[6:7], v[0:1], v[4:5] op_sel:[0,0,1] op_sel_hi:[1,0,0]
	s_delay_alu instid0(VALU_DEP_1)
	v_mov_b32_e32 v9, v5
	ds_load_2addr_b64 v[4:7], v134 offset0:34 offset1:35
	v_pk_add_f32 v[146:147], v[146:147], v[10:11] neg_lo:[0,1] neg_hi:[0,1]
	v_pk_add_f32 v[142:143], v[142:143], v[8:9] neg_lo:[0,1] neg_hi:[0,1]
	s_wait_dscnt 0x0
	v_pk_mul_f32 v[8:9], v[4:5], v[2:3] op_sel:[0,1]
	s_delay_alu instid0(VALU_DEP_1) | instskip(SKIP_1) | instid1(VALU_DEP_1)
	v_pk_fma_f32 v[10:11], v[4:5], v[0:1], v[8:9] op_sel:[0,0,1] op_sel_hi:[1,1,0] neg_lo:[0,0,1] neg_hi:[0,0,1]
	v_pk_fma_f32 v[4:5], v[4:5], v[0:1], v[8:9] op_sel:[0,0,1] op_sel_hi:[1,0,0]
	v_mov_b32_e32 v11, v5
	v_pk_mul_f32 v[4:5], v[6:7], v[2:3] op_sel:[0,1]
	s_delay_alu instid0(VALU_DEP_1) | instskip(SKIP_1) | instid1(VALU_DEP_1)
	v_pk_fma_f32 v[8:9], v[6:7], v[0:1], v[4:5] op_sel:[0,0,1] op_sel_hi:[1,1,0] neg_lo:[0,0,1] neg_hi:[0,0,1]
	v_pk_fma_f32 v[4:5], v[6:7], v[0:1], v[4:5] op_sel:[0,0,1] op_sel_hi:[1,0,0]
	v_mov_b32_e32 v9, v5
	ds_load_2addr_b64 v[4:7], v134 offset0:36 offset1:37
	v_pk_add_f32 v[144:145], v[144:145], v[10:11] neg_lo:[0,1] neg_hi:[0,1]
	v_pk_add_f32 v[140:141], v[140:141], v[8:9] neg_lo:[0,1] neg_hi:[0,1]
	s_wait_dscnt 0x0
	v_dual_mul_f32 v8, v5, v3 :: v_dual_mul_f32 v10, v5, v0
	s_delay_alu instid0(VALU_DEP_1) | instskip(NEXT) | instid1(VALU_DEP_2)
	v_pk_fma_f32 v[8:9], v[4:5], v[20:21], v[8:9] op_sel_hi:[1,1,0] neg_lo:[0,0,1] neg_hi:[0,0,1]
	v_pk_fma_f32 v[4:5], v[4:5], v[20:21], v[10:11] op_sel:[1,0,0] op_sel_hi:[0,1,0]
	s_delay_alu instid0(VALU_DEP_1) | instskip(SKIP_1) | instid1(VALU_DEP_2)
	v_mov_b32_e32 v9, v5
	v_pk_mul_f32 v[4:5], v[6:7], v[2:3] op_sel:[0,1]
	v_pk_add_f32 v[162:163], v[162:163], v[8:9] neg_lo:[0,1] neg_hi:[0,1]
	s_delay_alu instid0(VALU_DEP_2) | instskip(SKIP_1) | instid1(VALU_DEP_1)
	v_pk_fma_f32 v[8:9], v[6:7], v[0:1], v[4:5] op_sel:[0,0,1] op_sel_hi:[1,1,0] neg_lo:[0,0,1] neg_hi:[0,0,1]
	v_pk_fma_f32 v[4:5], v[6:7], v[0:1], v[4:5] op_sel:[0,0,1] op_sel_hi:[1,0,0]
	v_mov_b32_e32 v9, v5
	ds_load_2addr_b64 v[4:7], v134 offset0:38 offset1:39
	v_pk_add_f32 v[158:159], v[158:159], v[8:9] neg_lo:[0,1] neg_hi:[0,1]
	s_wait_dscnt 0x0
	v_pk_mul_f32 v[8:9], v[4:5], v[2:3] op_sel:[0,1]
	s_delay_alu instid0(VALU_DEP_1) | instskip(SKIP_1) | instid1(VALU_DEP_1)
	v_pk_fma_f32 v[10:11], v[4:5], v[0:1], v[8:9] op_sel:[0,0,1] op_sel_hi:[1,1,0] neg_lo:[0,0,1] neg_hi:[0,0,1]
	v_pk_fma_f32 v[4:5], v[4:5], v[0:1], v[8:9] op_sel:[0,0,1] op_sel_hi:[1,0,0]
	v_mov_b32_e32 v11, v5
	v_pk_mul_f32 v[4:5], v[6:7], v[2:3] op_sel:[0,1]
	s_delay_alu instid0(VALU_DEP_2) | instskip(NEXT) | instid1(VALU_DEP_2)
	v_pk_add_f32 v[160:161], v[160:161], v[10:11] neg_lo:[0,1] neg_hi:[0,1]
	v_pk_fma_f32 v[8:9], v[6:7], v[0:1], v[4:5] op_sel:[0,0,1] op_sel_hi:[1,1,0] neg_lo:[0,0,1] neg_hi:[0,0,1]
	v_pk_fma_f32 v[4:5], v[6:7], v[0:1], v[4:5] op_sel:[0,0,1] op_sel_hi:[1,0,0]
	s_delay_alu instid0(VALU_DEP_1) | instskip(SKIP_4) | instid1(VALU_DEP_1)
	v_mov_b32_e32 v9, v5
	ds_load_2addr_b64 v[4:7], v134 offset0:40 offset1:41
	v_pk_add_f32 v[156:157], v[156:157], v[8:9] neg_lo:[0,1] neg_hi:[0,1]
	s_wait_dscnt 0x0
	v_pk_mul_f32 v[8:9], v[4:5], v[2:3] op_sel:[0,1]
	v_pk_fma_f32 v[10:11], v[4:5], v[0:1], v[8:9] op_sel:[0,0,1] op_sel_hi:[1,1,0] neg_lo:[0,0,1] neg_hi:[0,0,1]
	v_pk_fma_f32 v[4:5], v[4:5], v[0:1], v[8:9] op_sel:[0,0,1] op_sel_hi:[1,0,0]
	v_dual_mul_f32 v8, v7, v3 :: v_dual_mov_b32 v4, v7
	s_delay_alu instid0(VALU_DEP_2) | instskip(NEXT) | instid1(VALU_DEP_2)
	v_dual_mov_b32 v11, v5 :: v_dual_mov_b32 v5, v6
	v_pk_fma_f32 v[8:9], v[6:7], v[20:21], v[8:9] op_sel_hi:[1,1,0] neg_lo:[0,0,1] neg_hi:[0,0,1]
	v_mul_f32_e32 v6, v7, v0
	s_delay_alu instid0(VALU_DEP_3) | instskip(NEXT) | instid1(VALU_DEP_2)
	v_pk_add_f32 v[184:185], v[184:185], v[10:11] neg_lo:[0,1] neg_hi:[0,1]
	v_pk_fma_f32 v[4:5], v[4:5], v[20:21], v[6:7] op_sel_hi:[1,1,0]
	s_delay_alu instid0(VALU_DEP_1) | instskip(SKIP_4) | instid1(VALU_DEP_1)
	v_mov_b32_e32 v9, v5
	ds_load_2addr_b64 v[4:7], v134 offset0:42 offset1:43
	v_pk_add_f32 v[180:181], v[180:181], v[8:9] neg_lo:[0,1] neg_hi:[0,1]
	s_wait_dscnt 0x0
	v_pk_mul_f32 v[8:9], v[4:5], v[2:3] op_sel:[0,1]
	v_pk_fma_f32 v[10:11], v[4:5], v[0:1], v[8:9] op_sel:[0,0,1] op_sel_hi:[1,1,0] neg_lo:[0,0,1] neg_hi:[0,0,1]
	v_pk_fma_f32 v[4:5], v[4:5], v[0:1], v[8:9] op_sel:[0,0,1] op_sel_hi:[1,0,0]
	s_delay_alu instid0(VALU_DEP_1) | instskip(SKIP_1) | instid1(VALU_DEP_1)
	v_mov_b32_e32 v11, v5
	v_pk_mul_f32 v[4:5], v[6:7], v[2:3] op_sel:[0,1]
	v_pk_fma_f32 v[8:9], v[6:7], v[0:1], v[4:5] op_sel:[0,0,1] op_sel_hi:[1,1,0] neg_lo:[0,0,1] neg_hi:[0,0,1]
	v_pk_fma_f32 v[4:5], v[6:7], v[0:1], v[4:5] op_sel:[0,0,1] op_sel_hi:[1,0,0]
	s_delay_alu instid0(VALU_DEP_1)
	v_mov_b32_e32 v9, v5
	ds_load_2addr_b64 v[4:7], v134 offset0:44 offset1:45
	v_pk_add_f32 v[182:183], v[182:183], v[10:11] neg_lo:[0,1] neg_hi:[0,1]
	v_pk_add_f32 v[178:179], v[178:179], v[8:9] neg_lo:[0,1] neg_hi:[0,1]
	s_wait_dscnt 0x0
	v_pk_mul_f32 v[8:9], v[4:5], v[2:3] op_sel:[0,1]
	s_delay_alu instid0(VALU_DEP_1) | instskip(SKIP_1) | instid1(VALU_DEP_1)
	v_pk_fma_f32 v[10:11], v[4:5], v[0:1], v[8:9] op_sel:[0,0,1] op_sel_hi:[1,1,0] neg_lo:[0,0,1] neg_hi:[0,0,1]
	v_pk_fma_f32 v[4:5], v[4:5], v[0:1], v[8:9] op_sel:[0,0,1] op_sel_hi:[1,0,0]
	v_mov_b32_e32 v11, v5
	v_pk_mul_f32 v[4:5], v[6:7], v[2:3] op_sel:[0,1]
	s_delay_alu instid0(VALU_DEP_1) | instskip(SKIP_1) | instid1(VALU_DEP_1)
	v_pk_fma_f32 v[8:9], v[6:7], v[0:1], v[4:5] op_sel:[0,0,1] op_sel_hi:[1,1,0] neg_lo:[0,0,1] neg_hi:[0,0,1]
	v_pk_fma_f32 v[4:5], v[6:7], v[0:1], v[4:5] op_sel:[0,0,1] op_sel_hi:[1,0,0]
	v_mov_b32_e32 v9, v5
	ds_load_2addr_b64 v[4:7], v134 offset0:46 offset1:47
	v_pk_add_f32 v[208:209], v[208:209], v[10:11] neg_lo:[0,1] neg_hi:[0,1]
	v_pk_add_f32 v[200:201], v[200:201], v[8:9] neg_lo:[0,1] neg_hi:[0,1]
	s_wait_dscnt 0x0
	v_dual_mul_f32 v8, v5, v3 :: v_dual_mul_f32 v10, v5, v0
	s_delay_alu instid0(VALU_DEP_1) | instskip(NEXT) | instid1(VALU_DEP_2)
	v_pk_fma_f32 v[8:9], v[4:5], v[20:21], v[8:9] op_sel_hi:[1,1,0] neg_lo:[0,0,1] neg_hi:[0,0,1]
	v_pk_fma_f32 v[4:5], v[4:5], v[20:21], v[10:11] op_sel:[1,0,0] op_sel_hi:[0,1,0]
	s_delay_alu instid0(VALU_DEP_1) | instskip(SKIP_1) | instid1(VALU_DEP_2)
	v_mov_b32_e32 v9, v5
	v_pk_mul_f32 v[4:5], v[6:7], v[2:3] op_sel:[0,1]
	v_pk_add_f32 v[206:207], v[206:207], v[8:9] neg_lo:[0,1] neg_hi:[0,1]
	s_delay_alu instid0(VALU_DEP_2) | instskip(SKIP_1) | instid1(VALU_DEP_1)
	v_pk_fma_f32 v[8:9], v[6:7], v[0:1], v[4:5] op_sel:[0,0,1] op_sel_hi:[1,1,0] neg_lo:[0,0,1] neg_hi:[0,0,1]
	v_pk_fma_f32 v[4:5], v[6:7], v[0:1], v[4:5] op_sel:[0,0,1] op_sel_hi:[1,0,0]
	v_mov_b32_e32 v9, v5
	ds_load_2addr_b64 v[4:7], v134 offset0:48 offset1:49
	v_pk_add_f32 v[198:199], v[198:199], v[8:9] neg_lo:[0,1] neg_hi:[0,1]
	s_wait_dscnt 0x0
	v_pk_mul_f32 v[8:9], v[4:5], v[2:3] op_sel:[0,1]
	s_delay_alu instid0(VALU_DEP_1) | instskip(SKIP_1) | instid1(VALU_DEP_1)
	v_pk_fma_f32 v[10:11], v[4:5], v[0:1], v[8:9] op_sel:[0,0,1] op_sel_hi:[1,1,0] neg_lo:[0,0,1] neg_hi:[0,0,1]
	v_pk_fma_f32 v[4:5], v[4:5], v[0:1], v[8:9] op_sel:[0,0,1] op_sel_hi:[1,0,0]
	v_mov_b32_e32 v11, v5
	v_pk_mul_f32 v[4:5], v[6:7], v[2:3] op_sel:[0,1]
	s_delay_alu instid0(VALU_DEP_2) | instskip(NEXT) | instid1(VALU_DEP_2)
	v_pk_add_f32 v[204:205], v[204:205], v[10:11] neg_lo:[0,1] neg_hi:[0,1]
	v_pk_fma_f32 v[8:9], v[6:7], v[0:1], v[4:5] op_sel:[0,0,1] op_sel_hi:[1,1,0] neg_lo:[0,0,1] neg_hi:[0,0,1]
	v_pk_fma_f32 v[4:5], v[6:7], v[0:1], v[4:5] op_sel:[0,0,1] op_sel_hi:[1,0,0]
	s_delay_alu instid0(VALU_DEP_1) | instskip(SKIP_4) | instid1(VALU_DEP_1)
	v_mov_b32_e32 v9, v5
	ds_load_2addr_b64 v[4:7], v134 offset0:50 offset1:51
	v_pk_add_f32 v[196:197], v[196:197], v[8:9] neg_lo:[0,1] neg_hi:[0,1]
	s_wait_dscnt 0x0
	v_pk_mul_f32 v[8:9], v[4:5], v[2:3] op_sel:[0,1]
	v_pk_fma_f32 v[10:11], v[4:5], v[0:1], v[8:9] op_sel:[0,0,1] op_sel_hi:[1,1,0] neg_lo:[0,0,1] neg_hi:[0,0,1]
	v_pk_fma_f32 v[4:5], v[4:5], v[0:1], v[8:9] op_sel:[0,0,1] op_sel_hi:[1,0,0]
	v_dual_mul_f32 v8, v7, v3 :: v_dual_mov_b32 v4, v7
	s_delay_alu instid0(VALU_DEP_2) | instskip(NEXT) | instid1(VALU_DEP_2)
	v_dual_mov_b32 v11, v5 :: v_dual_mov_b32 v5, v6
	v_pk_fma_f32 v[8:9], v[6:7], v[20:21], v[8:9] op_sel_hi:[1,1,0] neg_lo:[0,0,1] neg_hi:[0,0,1]
	v_mul_f32_e32 v6, v7, v0
	s_delay_alu instid0(VALU_DEP_3) | instskip(NEXT) | instid1(VALU_DEP_2)
	v_pk_add_f32 v[202:203], v[202:203], v[10:11] neg_lo:[0,1] neg_hi:[0,1]
	v_pk_fma_f32 v[4:5], v[4:5], v[20:21], v[6:7] op_sel_hi:[1,1,0]
	s_delay_alu instid0(VALU_DEP_1) | instskip(SKIP_4) | instid1(VALU_DEP_1)
	v_mov_b32_e32 v9, v5
	ds_load_b64 v[4:5], v134 offset:416
	v_pk_add_f32 v[210:211], v[210:211], v[8:9] neg_lo:[0,1] neg_hi:[0,1]
	s_wait_dscnt 0x0
	v_pk_mul_f32 v[2:3], v[4:5], v[2:3] op_sel:[0,1]
	v_pk_fma_f32 v[6:7], v[4:5], v[0:1], v[2:3] op_sel:[0,0,1] op_sel_hi:[1,1,0] neg_lo:[0,0,1] neg_hi:[0,0,1]
	v_pk_fma_f32 v[0:1], v[4:5], v[0:1], v[2:3] op_sel:[0,0,1] op_sel_hi:[1,0,0]
	s_delay_alu instid0(VALU_DEP_1) | instskip(NEXT) | instid1(VALU_DEP_1)
	v_mov_b32_e32 v7, v1
	v_pk_add_f32 v[212:213], v[212:213], v[6:7] neg_lo:[0,1] neg_hi:[0,1]
.LBB105_73:
	s_wait_xcnt 0x0
	s_or_b32 exec_lo, exec_lo, s1
	s_delay_alu instid0(SALU_CYCLE_1)
	s_mov_b32 s2, exec_lo
	s_wait_storecnt 0x0
	s_barrier_signal -1
	s_barrier_wait -1
	v_cmpx_eq_u32_e32 8, v132
	s_cbranch_execz .LBB105_80
; %bb.74:
	ds_store_b64 v133, v[40:41]
	ds_store_2addr_b64 v134, v[36:37], v[38:39] offset0:9 offset1:10
	ds_store_2addr_b64 v134, v[34:35], v[64:65] offset0:11 offset1:12
	;; [unrolled: 1-line block ×22, first 2 shown]
	ds_load_b64 v[0:1], v133
	s_wait_dscnt 0x0
	v_cmp_neq_f32_e32 vcc_lo, 0, v0
	v_cmp_neq_f32_e64 s1, 0, v1
	s_or_b32 s1, vcc_lo, s1
	s_delay_alu instid0(SALU_CYCLE_1)
	s_and_b32 exec_lo, exec_lo, s1
	s_cbranch_execz .LBB105_80
; %bb.75:
	v_cmp_ngt_f32_e64 s1, |v0|, |v1|
                                        ; implicit-def: $vgpr2_vgpr3
	s_and_saveexec_b32 s4, s1
	s_delay_alu instid0(SALU_CYCLE_1)
	s_xor_b32 s1, exec_lo, s4
	s_cbranch_execz .LBB105_77
; %bb.76:
	v_div_scale_f32 v2, null, v1, v1, v0
	v_div_scale_f32 v5, vcc_lo, v0, v1, v0
	s_delay_alu instid0(VALU_DEP_2) | instskip(SKIP_1) | instid1(TRANS32_DEP_1)
	v_rcp_f32_e32 v3, v2
	v_nop
	v_fma_f32 v4, -v2, v3, 1.0
	s_delay_alu instid0(VALU_DEP_1) | instskip(NEXT) | instid1(VALU_DEP_1)
	v_fmac_f32_e32 v3, v4, v3
	v_mul_f32_e32 v4, v5, v3
	s_delay_alu instid0(VALU_DEP_1) | instskip(NEXT) | instid1(VALU_DEP_1)
	v_fma_f32 v6, -v2, v4, v5
	v_fmac_f32_e32 v4, v6, v3
	s_delay_alu instid0(VALU_DEP_1) | instskip(NEXT) | instid1(VALU_DEP_1)
	v_fma_f32 v2, -v2, v4, v5
	v_div_fmas_f32 v2, v2, v3, v4
	s_delay_alu instid0(VALU_DEP_1) | instskip(NEXT) | instid1(VALU_DEP_1)
	v_div_fixup_f32 v2, v2, v1, v0
	v_fmac_f32_e32 v1, v0, v2
	s_delay_alu instid0(VALU_DEP_1) | instskip(SKIP_1) | instid1(VALU_DEP_2)
	v_div_scale_f32 v0, null, v1, v1, 1.0
	v_div_scale_f32 v5, vcc_lo, 1.0, v1, 1.0
	v_rcp_f32_e32 v3, v0
	v_nop
	s_delay_alu instid0(TRANS32_DEP_1) | instskip(NEXT) | instid1(VALU_DEP_1)
	v_fma_f32 v4, -v0, v3, 1.0
	v_fmac_f32_e32 v3, v4, v3
	s_delay_alu instid0(VALU_DEP_1) | instskip(NEXT) | instid1(VALU_DEP_1)
	v_mul_f32_e32 v4, v5, v3
	v_fma_f32 v6, -v0, v4, v5
	s_delay_alu instid0(VALU_DEP_1) | instskip(NEXT) | instid1(VALU_DEP_1)
	v_fmac_f32_e32 v4, v6, v3
	v_fma_f32 v0, -v0, v4, v5
	s_delay_alu instid0(VALU_DEP_1) | instskip(NEXT) | instid1(VALU_DEP_1)
	v_div_fmas_f32 v0, v0, v3, v4
	v_div_fixup_f32 v0, v0, v1, 1.0
	s_delay_alu instid0(VALU_DEP_1)
	v_mul_f32_e32 v2, v2, v0
	v_xor_b32_e32 v3, 0x80000000, v0
                                        ; implicit-def: $vgpr0_vgpr1
.LBB105_77:
	s_and_not1_saveexec_b32 s1, s1
	s_cbranch_execz .LBB105_79
; %bb.78:
	v_div_scale_f32 v2, null, v0, v0, v1
	v_div_scale_f32 v5, vcc_lo, v1, v0, v1
	s_delay_alu instid0(VALU_DEP_2) | instskip(SKIP_1) | instid1(TRANS32_DEP_1)
	v_rcp_f32_e32 v3, v2
	v_nop
	v_fma_f32 v4, -v2, v3, 1.0
	s_delay_alu instid0(VALU_DEP_1) | instskip(NEXT) | instid1(VALU_DEP_1)
	v_fmac_f32_e32 v3, v4, v3
	v_mul_f32_e32 v4, v5, v3
	s_delay_alu instid0(VALU_DEP_1) | instskip(NEXT) | instid1(VALU_DEP_1)
	v_fma_f32 v6, -v2, v4, v5
	v_fmac_f32_e32 v4, v6, v3
	s_delay_alu instid0(VALU_DEP_1) | instskip(NEXT) | instid1(VALU_DEP_1)
	v_fma_f32 v2, -v2, v4, v5
	v_div_fmas_f32 v2, v2, v3, v4
	s_delay_alu instid0(VALU_DEP_1) | instskip(NEXT) | instid1(VALU_DEP_1)
	v_div_fixup_f32 v3, v2, v0, v1
	v_fmac_f32_e32 v0, v1, v3
	s_delay_alu instid0(VALU_DEP_1) | instskip(NEXT) | instid1(VALU_DEP_1)
	v_div_scale_f32 v1, null, v0, v0, 1.0
	v_rcp_f32_e32 v2, v1
	v_nop
	s_delay_alu instid0(TRANS32_DEP_1) | instskip(NEXT) | instid1(VALU_DEP_1)
	v_fma_f32 v4, -v1, v2, 1.0
	v_fmac_f32_e32 v2, v4, v2
	v_div_scale_f32 v4, vcc_lo, 1.0, v0, 1.0
	s_delay_alu instid0(VALU_DEP_1) | instskip(NEXT) | instid1(VALU_DEP_1)
	v_mul_f32_e32 v5, v4, v2
	v_fma_f32 v6, -v1, v5, v4
	s_delay_alu instid0(VALU_DEP_1) | instskip(NEXT) | instid1(VALU_DEP_1)
	v_fmac_f32_e32 v5, v6, v2
	v_fma_f32 v1, -v1, v5, v4
	s_delay_alu instid0(VALU_DEP_1) | instskip(NEXT) | instid1(VALU_DEP_1)
	v_div_fmas_f32 v1, v1, v2, v5
	v_div_fixup_f32 v2, v1, v0, 1.0
	s_delay_alu instid0(VALU_DEP_1)
	v_mul_f32_e64 v3, v3, -v2
.LBB105_79:
	s_or_b32 exec_lo, exec_lo, s1
	ds_store_b64 v133, v[2:3]
.LBB105_80:
	s_or_b32 exec_lo, exec_lo, s2
	s_wait_dscnt 0x0
	s_barrier_signal -1
	s_barrier_wait -1
	ds_load_b64 v[0:1], v133
	s_mov_b32 s1, exec_lo
	s_wait_dscnt 0x0
	scratch_store_b64 off, v[0:1], off offset:192 ; 8-byte Folded Spill
	s_wait_xcnt 0x0
	v_cmpx_lt_u32_e32 8, v132
	s_cbranch_execz .LBB105_82
; %bb.81:
	scratch_load_b64 v[4:5], off, off offset:192 ; 8-byte Folded Reload
	s_wait_loadcnt 0x0
	v_pk_mul_f32 v[2:3], v[4:5], v[40:41] op_sel:[1,1] op_sel_hi:[0,1]
	s_delay_alu instid0(VALU_DEP_1)
	v_pk_fma_f32 v[0:1], v[4:5], v[40:41], v[2:3] op_sel_hi:[1,0,1] neg_lo:[0,0,1] neg_hi:[0,0,1]
	v_pk_fma_f32 v[2:3], v[4:5], v[40:41], v[2:3] op_sel_hi:[1,0,1]
	ds_load_2addr_b64 v[4:7], v134 offset0:9 offset1:10
	v_dual_mov_b32 v40, v0 :: v_dual_mov_b32 v41, v3
	s_wait_dscnt 0x0
	v_pk_mul_f32 v[8:9], v[4:5], v[2:3] op_sel:[0,1]
	s_delay_alu instid0(VALU_DEP_1) | instskip(SKIP_1) | instid1(VALU_DEP_1)
	v_pk_fma_f32 v[10:11], v[4:5], v[0:1], v[8:9] op_sel:[0,0,1] op_sel_hi:[1,1,0] neg_lo:[0,0,1] neg_hi:[0,0,1]
	v_pk_fma_f32 v[4:5], v[4:5], v[0:1], v[8:9] op_sel:[0,0,1] op_sel_hi:[1,0,0]
	v_mov_b32_e32 v11, v5
	v_pk_mul_f32 v[4:5], v[6:7], v[2:3] op_sel:[0,1]
	s_delay_alu instid0(VALU_DEP_1) | instskip(SKIP_1) | instid1(VALU_DEP_1)
	v_pk_fma_f32 v[8:9], v[6:7], v[0:1], v[4:5] op_sel:[0,0,1] op_sel_hi:[1,1,0] neg_lo:[0,0,1] neg_hi:[0,0,1]
	v_pk_fma_f32 v[4:5], v[6:7], v[0:1], v[4:5] op_sel:[0,0,1] op_sel_hi:[1,0,0]
	v_mov_b32_e32 v9, v5
	ds_load_2addr_b64 v[4:7], v134 offset0:11 offset1:12
	v_pk_add_f32 v[36:37], v[36:37], v[10:11] neg_lo:[0,1] neg_hi:[0,1]
	v_pk_add_f32 v[38:39], v[38:39], v[8:9] neg_lo:[0,1] neg_hi:[0,1]
	s_wait_dscnt 0x0
	v_pk_mul_f32 v[8:9], v[4:5], v[2:3] op_sel:[0,1]
	s_delay_alu instid0(VALU_DEP_1) | instskip(SKIP_2) | instid1(VALU_DEP_2)
	v_pk_fma_f32 v[10:11], v[4:5], v[0:1], v[8:9] op_sel:[0,0,1] op_sel_hi:[1,1,0] neg_lo:[0,0,1] neg_hi:[0,0,1]
	v_pk_fma_f32 v[4:5], v[4:5], v[0:1], v[8:9] op_sel:[0,0,1] op_sel_hi:[1,0,0]
	v_dual_mul_f32 v8, v7, v3 :: v_dual_mov_b32 v4, v7
	v_dual_mov_b32 v11, v5 :: v_dual_mov_b32 v5, v6
	s_delay_alu instid0(VALU_DEP_2) | instskip(SKIP_1) | instid1(VALU_DEP_3)
	v_pk_fma_f32 v[8:9], v[6:7], v[40:41], v[8:9] op_sel_hi:[1,1,0] neg_lo:[0,0,1] neg_hi:[0,0,1]
	v_mul_f32_e32 v6, v7, v0
	v_pk_add_f32 v[34:35], v[34:35], v[10:11] neg_lo:[0,1] neg_hi:[0,1]
	s_delay_alu instid0(VALU_DEP_2) | instskip(NEXT) | instid1(VALU_DEP_1)
	v_pk_fma_f32 v[4:5], v[4:5], v[40:41], v[6:7] op_sel_hi:[1,1,0]
	v_mov_b32_e32 v9, v5
	ds_load_2addr_b64 v[4:7], v134 offset0:13 offset1:14
	v_pk_add_f32 v[64:65], v[64:65], v[8:9] neg_lo:[0,1] neg_hi:[0,1]
	s_wait_dscnt 0x0
	v_pk_mul_f32 v[8:9], v[4:5], v[2:3] op_sel:[0,1]
	s_delay_alu instid0(VALU_DEP_1) | instskip(SKIP_1) | instid1(VALU_DEP_1)
	v_pk_fma_f32 v[10:11], v[4:5], v[0:1], v[8:9] op_sel:[0,0,1] op_sel_hi:[1,1,0] neg_lo:[0,0,1] neg_hi:[0,0,1]
	v_pk_fma_f32 v[4:5], v[4:5], v[0:1], v[8:9] op_sel:[0,0,1] op_sel_hi:[1,0,0]
	v_mov_b32_e32 v11, v5
	v_pk_mul_f32 v[4:5], v[6:7], v[2:3] op_sel:[0,1]
	s_delay_alu instid0(VALU_DEP_1) | instskip(SKIP_1) | instid1(VALU_DEP_1)
	v_pk_fma_f32 v[8:9], v[6:7], v[0:1], v[4:5] op_sel:[0,0,1] op_sel_hi:[1,1,0] neg_lo:[0,0,1] neg_hi:[0,0,1]
	v_pk_fma_f32 v[4:5], v[6:7], v[0:1], v[4:5] op_sel:[0,0,1] op_sel_hi:[1,0,0]
	v_mov_b32_e32 v9, v5
	ds_load_2addr_b64 v[4:7], v134 offset0:15 offset1:16
	v_pk_add_f32 v[60:61], v[60:61], v[10:11] neg_lo:[0,1] neg_hi:[0,1]
	v_pk_add_f32 v[62:63], v[62:63], v[8:9] neg_lo:[0,1] neg_hi:[0,1]
	s_wait_dscnt 0x0
	v_pk_mul_f32 v[8:9], v[4:5], v[2:3] op_sel:[0,1]
	s_delay_alu instid0(VALU_DEP_1) | instskip(SKIP_1) | instid1(VALU_DEP_1)
	v_pk_fma_f32 v[10:11], v[4:5], v[0:1], v[8:9] op_sel:[0,0,1] op_sel_hi:[1,1,0] neg_lo:[0,0,1] neg_hi:[0,0,1]
	v_pk_fma_f32 v[4:5], v[4:5], v[0:1], v[8:9] op_sel:[0,0,1] op_sel_hi:[1,0,0]
	v_mov_b32_e32 v11, v5
	v_pk_mul_f32 v[4:5], v[6:7], v[2:3] op_sel:[0,1]
	s_delay_alu instid0(VALU_DEP_1) | instskip(SKIP_1) | instid1(VALU_DEP_1)
	v_pk_fma_f32 v[8:9], v[6:7], v[0:1], v[4:5] op_sel:[0,0,1] op_sel_hi:[1,1,0] neg_lo:[0,0,1] neg_hi:[0,0,1]
	v_pk_fma_f32 v[4:5], v[6:7], v[0:1], v[4:5] op_sel:[0,0,1] op_sel_hi:[1,0,0]
	v_mov_b32_e32 v9, v5
	ds_load_2addr_b64 v[4:7], v134 offset0:17 offset1:18
	v_pk_add_f32 v[58:59], v[58:59], v[10:11] neg_lo:[0,1] neg_hi:[0,1]
	v_pk_add_f32 v[80:81], v[80:81], v[8:9] neg_lo:[0,1] neg_hi:[0,1]
	s_wait_dscnt 0x0
	v_dual_mul_f32 v8, v5, v3 :: v_dual_mul_f32 v10, v5, v0
	s_delay_alu instid0(VALU_DEP_1) | instskip(NEXT) | instid1(VALU_DEP_2)
	v_pk_fma_f32 v[8:9], v[4:5], v[40:41], v[8:9] op_sel_hi:[1,1,0] neg_lo:[0,0,1] neg_hi:[0,0,1]
	v_pk_fma_f32 v[4:5], v[4:5], v[40:41], v[10:11] op_sel:[1,0,0] op_sel_hi:[0,1,0]
	s_delay_alu instid0(VALU_DEP_1) | instskip(SKIP_1) | instid1(VALU_DEP_2)
	v_mov_b32_e32 v9, v5
	v_pk_mul_f32 v[4:5], v[6:7], v[2:3] op_sel:[0,1]
	v_pk_add_f32 v[76:77], v[76:77], v[8:9] neg_lo:[0,1] neg_hi:[0,1]
	s_delay_alu instid0(VALU_DEP_2) | instskip(SKIP_1) | instid1(VALU_DEP_1)
	v_pk_fma_f32 v[8:9], v[6:7], v[0:1], v[4:5] op_sel:[0,0,1] op_sel_hi:[1,1,0] neg_lo:[0,0,1] neg_hi:[0,0,1]
	v_pk_fma_f32 v[4:5], v[6:7], v[0:1], v[4:5] op_sel:[0,0,1] op_sel_hi:[1,0,0]
	v_mov_b32_e32 v9, v5
	ds_load_2addr_b64 v[4:7], v134 offset0:19 offset1:20
	v_pk_add_f32 v[78:79], v[78:79], v[8:9] neg_lo:[0,1] neg_hi:[0,1]
	s_wait_dscnt 0x0
	v_pk_mul_f32 v[8:9], v[4:5], v[2:3] op_sel:[0,1]
	s_delay_alu instid0(VALU_DEP_1) | instskip(SKIP_1) | instid1(VALU_DEP_1)
	v_pk_fma_f32 v[10:11], v[4:5], v[0:1], v[8:9] op_sel:[0,0,1] op_sel_hi:[1,1,0] neg_lo:[0,0,1] neg_hi:[0,0,1]
	v_pk_fma_f32 v[4:5], v[4:5], v[0:1], v[8:9] op_sel:[0,0,1] op_sel_hi:[1,0,0]
	v_mov_b32_e32 v11, v5
	v_pk_mul_f32 v[4:5], v[6:7], v[2:3] op_sel:[0,1]
	s_delay_alu instid0(VALU_DEP_2) | instskip(NEXT) | instid1(VALU_DEP_2)
	v_pk_add_f32 v[74:75], v[74:75], v[10:11] neg_lo:[0,1] neg_hi:[0,1]
	v_pk_fma_f32 v[8:9], v[6:7], v[0:1], v[4:5] op_sel:[0,0,1] op_sel_hi:[1,1,0] neg_lo:[0,0,1] neg_hi:[0,0,1]
	v_pk_fma_f32 v[4:5], v[6:7], v[0:1], v[4:5] op_sel:[0,0,1] op_sel_hi:[1,0,0]
	s_delay_alu instid0(VALU_DEP_1) | instskip(SKIP_4) | instid1(VALU_DEP_1)
	v_mov_b32_e32 v9, v5
	ds_load_2addr_b64 v[4:7], v134 offset0:21 offset1:22
	v_pk_add_f32 v[96:97], v[96:97], v[8:9] neg_lo:[0,1] neg_hi:[0,1]
	s_wait_dscnt 0x0
	v_pk_mul_f32 v[8:9], v[4:5], v[2:3] op_sel:[0,1]
	v_pk_fma_f32 v[10:11], v[4:5], v[0:1], v[8:9] op_sel:[0,0,1] op_sel_hi:[1,1,0] neg_lo:[0,0,1] neg_hi:[0,0,1]
	v_pk_fma_f32 v[4:5], v[4:5], v[0:1], v[8:9] op_sel:[0,0,1] op_sel_hi:[1,0,0]
	v_dual_mul_f32 v8, v7, v3 :: v_dual_mov_b32 v4, v7
	s_delay_alu instid0(VALU_DEP_2) | instskip(NEXT) | instid1(VALU_DEP_2)
	v_dual_mov_b32 v11, v5 :: v_dual_mov_b32 v5, v6
	v_pk_fma_f32 v[8:9], v[6:7], v[40:41], v[8:9] op_sel_hi:[1,1,0] neg_lo:[0,0,1] neg_hi:[0,0,1]
	v_mul_f32_e32 v6, v7, v0
	s_delay_alu instid0(VALU_DEP_3) | instskip(NEXT) | instid1(VALU_DEP_2)
	v_pk_add_f32 v[92:93], v[92:93], v[10:11] neg_lo:[0,1] neg_hi:[0,1]
	v_pk_fma_f32 v[4:5], v[4:5], v[40:41], v[6:7] op_sel_hi:[1,1,0]
	s_delay_alu instid0(VALU_DEP_1) | instskip(SKIP_4) | instid1(VALU_DEP_1)
	v_mov_b32_e32 v9, v5
	ds_load_2addr_b64 v[4:7], v134 offset0:23 offset1:24
	v_pk_add_f32 v[94:95], v[94:95], v[8:9] neg_lo:[0,1] neg_hi:[0,1]
	s_wait_dscnt 0x0
	v_pk_mul_f32 v[8:9], v[4:5], v[2:3] op_sel:[0,1]
	v_pk_fma_f32 v[10:11], v[4:5], v[0:1], v[8:9] op_sel:[0,0,1] op_sel_hi:[1,1,0] neg_lo:[0,0,1] neg_hi:[0,0,1]
	v_pk_fma_f32 v[4:5], v[4:5], v[0:1], v[8:9] op_sel:[0,0,1] op_sel_hi:[1,0,0]
	s_delay_alu instid0(VALU_DEP_1) | instskip(SKIP_1) | instid1(VALU_DEP_1)
	v_mov_b32_e32 v11, v5
	v_pk_mul_f32 v[4:5], v[6:7], v[2:3] op_sel:[0,1]
	v_pk_fma_f32 v[8:9], v[6:7], v[0:1], v[4:5] op_sel:[0,0,1] op_sel_hi:[1,1,0] neg_lo:[0,0,1] neg_hi:[0,0,1]
	v_pk_fma_f32 v[4:5], v[6:7], v[0:1], v[4:5] op_sel:[0,0,1] op_sel_hi:[1,0,0]
	s_delay_alu instid0(VALU_DEP_1)
	v_mov_b32_e32 v9, v5
	ds_load_2addr_b64 v[4:7], v134 offset0:25 offset1:26
	v_pk_add_f32 v[90:91], v[90:91], v[10:11] neg_lo:[0,1] neg_hi:[0,1]
	v_pk_add_f32 v[112:113], v[112:113], v[8:9] neg_lo:[0,1] neg_hi:[0,1]
	s_wait_dscnt 0x0
	v_pk_mul_f32 v[8:9], v[4:5], v[2:3] op_sel:[0,1]
	s_delay_alu instid0(VALU_DEP_1) | instskip(SKIP_1) | instid1(VALU_DEP_1)
	v_pk_fma_f32 v[10:11], v[4:5], v[0:1], v[8:9] op_sel:[0,0,1] op_sel_hi:[1,1,0] neg_lo:[0,0,1] neg_hi:[0,0,1]
	v_pk_fma_f32 v[4:5], v[4:5], v[0:1], v[8:9] op_sel:[0,0,1] op_sel_hi:[1,0,0]
	v_mov_b32_e32 v11, v5
	v_pk_mul_f32 v[4:5], v[6:7], v[2:3] op_sel:[0,1]
	s_delay_alu instid0(VALU_DEP_1) | instskip(SKIP_1) | instid1(VALU_DEP_1)
	v_pk_fma_f32 v[8:9], v[6:7], v[0:1], v[4:5] op_sel:[0,0,1] op_sel_hi:[1,1,0] neg_lo:[0,0,1] neg_hi:[0,0,1]
	v_pk_fma_f32 v[4:5], v[6:7], v[0:1], v[4:5] op_sel:[0,0,1] op_sel_hi:[1,0,0]
	v_mov_b32_e32 v9, v5
	ds_load_2addr_b64 v[4:7], v134 offset0:27 offset1:28
	v_pk_add_f32 v[108:109], v[108:109], v[10:11] neg_lo:[0,1] neg_hi:[0,1]
	v_pk_add_f32 v[110:111], v[110:111], v[8:9] neg_lo:[0,1] neg_hi:[0,1]
	s_wait_dscnt 0x0
	v_dual_mul_f32 v8, v5, v3 :: v_dual_mul_f32 v10, v5, v0
	s_delay_alu instid0(VALU_DEP_1) | instskip(NEXT) | instid1(VALU_DEP_2)
	v_pk_fma_f32 v[8:9], v[4:5], v[40:41], v[8:9] op_sel_hi:[1,1,0] neg_lo:[0,0,1] neg_hi:[0,0,1]
	v_pk_fma_f32 v[4:5], v[4:5], v[40:41], v[10:11] op_sel:[1,0,0] op_sel_hi:[0,1,0]
	s_delay_alu instid0(VALU_DEP_1) | instskip(SKIP_1) | instid1(VALU_DEP_2)
	v_mov_b32_e32 v9, v5
	v_pk_mul_f32 v[4:5], v[6:7], v[2:3] op_sel:[0,1]
	v_pk_add_f32 v[106:107], v[106:107], v[8:9] neg_lo:[0,1] neg_hi:[0,1]
	s_delay_alu instid0(VALU_DEP_2) | instskip(SKIP_1) | instid1(VALU_DEP_1)
	v_pk_fma_f32 v[8:9], v[6:7], v[0:1], v[4:5] op_sel:[0,0,1] op_sel_hi:[1,1,0] neg_lo:[0,0,1] neg_hi:[0,0,1]
	v_pk_fma_f32 v[4:5], v[6:7], v[0:1], v[4:5] op_sel:[0,0,1] op_sel_hi:[1,0,0]
	v_mov_b32_e32 v9, v5
	ds_load_2addr_b64 v[4:7], v134 offset0:29 offset1:30
	v_pk_add_f32 v[130:131], v[130:131], v[8:9] neg_lo:[0,1] neg_hi:[0,1]
	s_wait_dscnt 0x0
	v_pk_mul_f32 v[8:9], v[4:5], v[2:3] op_sel:[0,1]
	s_delay_alu instid0(VALU_DEP_1) | instskip(SKIP_1) | instid1(VALU_DEP_1)
	v_pk_fma_f32 v[10:11], v[4:5], v[0:1], v[8:9] op_sel:[0,0,1] op_sel_hi:[1,1,0] neg_lo:[0,0,1] neg_hi:[0,0,1]
	v_pk_fma_f32 v[4:5], v[4:5], v[0:1], v[8:9] op_sel:[0,0,1] op_sel_hi:[1,0,0]
	v_mov_b32_e32 v11, v5
	v_pk_mul_f32 v[4:5], v[6:7], v[2:3] op_sel:[0,1]
	s_delay_alu instid0(VALU_DEP_2) | instskip(NEXT) | instid1(VALU_DEP_2)
	v_pk_add_f32 v[126:127], v[126:127], v[10:11] neg_lo:[0,1] neg_hi:[0,1]
	v_pk_fma_f32 v[8:9], v[6:7], v[0:1], v[4:5] op_sel:[0,0,1] op_sel_hi:[1,1,0] neg_lo:[0,0,1] neg_hi:[0,0,1]
	v_pk_fma_f32 v[4:5], v[6:7], v[0:1], v[4:5] op_sel:[0,0,1] op_sel_hi:[1,0,0]
	s_delay_alu instid0(VALU_DEP_1) | instskip(SKIP_4) | instid1(VALU_DEP_1)
	v_mov_b32_e32 v9, v5
	ds_load_2addr_b64 v[4:7], v134 offset0:31 offset1:32
	v_pk_add_f32 v[128:129], v[128:129], v[8:9] neg_lo:[0,1] neg_hi:[0,1]
	s_wait_dscnt 0x0
	v_pk_mul_f32 v[8:9], v[4:5], v[2:3] op_sel:[0,1]
	v_pk_fma_f32 v[10:11], v[4:5], v[0:1], v[8:9] op_sel:[0,0,1] op_sel_hi:[1,1,0] neg_lo:[0,0,1] neg_hi:[0,0,1]
	v_pk_fma_f32 v[4:5], v[4:5], v[0:1], v[8:9] op_sel:[0,0,1] op_sel_hi:[1,0,0]
	v_dual_mul_f32 v8, v7, v3 :: v_dual_mov_b32 v4, v7
	s_delay_alu instid0(VALU_DEP_2) | instskip(NEXT) | instid1(VALU_DEP_2)
	v_dual_mov_b32 v11, v5 :: v_dual_mov_b32 v5, v6
	v_pk_fma_f32 v[8:9], v[6:7], v[40:41], v[8:9] op_sel_hi:[1,1,0] neg_lo:[0,0,1] neg_hi:[0,0,1]
	v_mul_f32_e32 v6, v7, v0
	s_delay_alu instid0(VALU_DEP_3) | instskip(NEXT) | instid1(VALU_DEP_2)
	v_pk_add_f32 v[124:125], v[124:125], v[10:11] neg_lo:[0,1] neg_hi:[0,1]
	v_pk_fma_f32 v[4:5], v[4:5], v[40:41], v[6:7] op_sel_hi:[1,1,0]
	s_delay_alu instid0(VALU_DEP_1) | instskip(SKIP_4) | instid1(VALU_DEP_1)
	v_mov_b32_e32 v9, v5
	ds_load_2addr_b64 v[4:7], v134 offset0:33 offset1:34
	v_pk_add_f32 v[146:147], v[146:147], v[8:9] neg_lo:[0,1] neg_hi:[0,1]
	s_wait_dscnt 0x0
	v_pk_mul_f32 v[8:9], v[4:5], v[2:3] op_sel:[0,1]
	v_pk_fma_f32 v[10:11], v[4:5], v[0:1], v[8:9] op_sel:[0,0,1] op_sel_hi:[1,1,0] neg_lo:[0,0,1] neg_hi:[0,0,1]
	v_pk_fma_f32 v[4:5], v[4:5], v[0:1], v[8:9] op_sel:[0,0,1] op_sel_hi:[1,0,0]
	s_delay_alu instid0(VALU_DEP_1) | instskip(SKIP_1) | instid1(VALU_DEP_1)
	v_mov_b32_e32 v11, v5
	v_pk_mul_f32 v[4:5], v[6:7], v[2:3] op_sel:[0,1]
	v_pk_fma_f32 v[8:9], v[6:7], v[0:1], v[4:5] op_sel:[0,0,1] op_sel_hi:[1,1,0] neg_lo:[0,0,1] neg_hi:[0,0,1]
	v_pk_fma_f32 v[4:5], v[6:7], v[0:1], v[4:5] op_sel:[0,0,1] op_sel_hi:[1,0,0]
	s_delay_alu instid0(VALU_DEP_1)
	v_mov_b32_e32 v9, v5
	ds_load_2addr_b64 v[4:7], v134 offset0:35 offset1:36
	v_pk_add_f32 v[142:143], v[142:143], v[10:11] neg_lo:[0,1] neg_hi:[0,1]
	v_pk_add_f32 v[144:145], v[144:145], v[8:9] neg_lo:[0,1] neg_hi:[0,1]
	s_wait_dscnt 0x0
	v_pk_mul_f32 v[8:9], v[4:5], v[2:3] op_sel:[0,1]
	s_delay_alu instid0(VALU_DEP_1) | instskip(SKIP_1) | instid1(VALU_DEP_1)
	v_pk_fma_f32 v[10:11], v[4:5], v[0:1], v[8:9] op_sel:[0,0,1] op_sel_hi:[1,1,0] neg_lo:[0,0,1] neg_hi:[0,0,1]
	v_pk_fma_f32 v[4:5], v[4:5], v[0:1], v[8:9] op_sel:[0,0,1] op_sel_hi:[1,0,0]
	v_mov_b32_e32 v11, v5
	v_pk_mul_f32 v[4:5], v[6:7], v[2:3] op_sel:[0,1]
	s_delay_alu instid0(VALU_DEP_1) | instskip(SKIP_1) | instid1(VALU_DEP_1)
	v_pk_fma_f32 v[8:9], v[6:7], v[0:1], v[4:5] op_sel:[0,0,1] op_sel_hi:[1,1,0] neg_lo:[0,0,1] neg_hi:[0,0,1]
	v_pk_fma_f32 v[4:5], v[6:7], v[0:1], v[4:5] op_sel:[0,0,1] op_sel_hi:[1,0,0]
	v_mov_b32_e32 v9, v5
	ds_load_2addr_b64 v[4:7], v134 offset0:37 offset1:38
	v_pk_add_f32 v[140:141], v[140:141], v[10:11] neg_lo:[0,1] neg_hi:[0,1]
	v_pk_add_f32 v[162:163], v[162:163], v[8:9] neg_lo:[0,1] neg_hi:[0,1]
	s_wait_dscnt 0x0
	v_dual_mul_f32 v8, v5, v3 :: v_dual_mul_f32 v10, v5, v0
	s_delay_alu instid0(VALU_DEP_1) | instskip(NEXT) | instid1(VALU_DEP_2)
	v_pk_fma_f32 v[8:9], v[4:5], v[40:41], v[8:9] op_sel_hi:[1,1,0] neg_lo:[0,0,1] neg_hi:[0,0,1]
	v_pk_fma_f32 v[4:5], v[4:5], v[40:41], v[10:11] op_sel:[1,0,0] op_sel_hi:[0,1,0]
	s_delay_alu instid0(VALU_DEP_1) | instskip(SKIP_1) | instid1(VALU_DEP_2)
	v_mov_b32_e32 v9, v5
	v_pk_mul_f32 v[4:5], v[6:7], v[2:3] op_sel:[0,1]
	v_pk_add_f32 v[158:159], v[158:159], v[8:9] neg_lo:[0,1] neg_hi:[0,1]
	s_delay_alu instid0(VALU_DEP_2) | instskip(SKIP_1) | instid1(VALU_DEP_1)
	v_pk_fma_f32 v[8:9], v[6:7], v[0:1], v[4:5] op_sel:[0,0,1] op_sel_hi:[1,1,0] neg_lo:[0,0,1] neg_hi:[0,0,1]
	v_pk_fma_f32 v[4:5], v[6:7], v[0:1], v[4:5] op_sel:[0,0,1] op_sel_hi:[1,0,0]
	v_mov_b32_e32 v9, v5
	ds_load_2addr_b64 v[4:7], v134 offset0:39 offset1:40
	v_pk_add_f32 v[160:161], v[160:161], v[8:9] neg_lo:[0,1] neg_hi:[0,1]
	s_wait_dscnt 0x0
	v_pk_mul_f32 v[8:9], v[4:5], v[2:3] op_sel:[0,1]
	s_delay_alu instid0(VALU_DEP_1) | instskip(SKIP_1) | instid1(VALU_DEP_1)
	v_pk_fma_f32 v[10:11], v[4:5], v[0:1], v[8:9] op_sel:[0,0,1] op_sel_hi:[1,1,0] neg_lo:[0,0,1] neg_hi:[0,0,1]
	v_pk_fma_f32 v[4:5], v[4:5], v[0:1], v[8:9] op_sel:[0,0,1] op_sel_hi:[1,0,0]
	v_mov_b32_e32 v11, v5
	v_pk_mul_f32 v[4:5], v[6:7], v[2:3] op_sel:[0,1]
	s_delay_alu instid0(VALU_DEP_2) | instskip(NEXT) | instid1(VALU_DEP_2)
	v_pk_add_f32 v[156:157], v[156:157], v[10:11] neg_lo:[0,1] neg_hi:[0,1]
	v_pk_fma_f32 v[8:9], v[6:7], v[0:1], v[4:5] op_sel:[0,0,1] op_sel_hi:[1,1,0] neg_lo:[0,0,1] neg_hi:[0,0,1]
	v_pk_fma_f32 v[4:5], v[6:7], v[0:1], v[4:5] op_sel:[0,0,1] op_sel_hi:[1,0,0]
	s_delay_alu instid0(VALU_DEP_1) | instskip(SKIP_4) | instid1(VALU_DEP_1)
	v_mov_b32_e32 v9, v5
	ds_load_2addr_b64 v[4:7], v134 offset0:41 offset1:42
	v_pk_add_f32 v[184:185], v[184:185], v[8:9] neg_lo:[0,1] neg_hi:[0,1]
	s_wait_dscnt 0x0
	v_pk_mul_f32 v[8:9], v[4:5], v[2:3] op_sel:[0,1]
	v_pk_fma_f32 v[10:11], v[4:5], v[0:1], v[8:9] op_sel:[0,0,1] op_sel_hi:[1,1,0] neg_lo:[0,0,1] neg_hi:[0,0,1]
	v_pk_fma_f32 v[4:5], v[4:5], v[0:1], v[8:9] op_sel:[0,0,1] op_sel_hi:[1,0,0]
	v_dual_mul_f32 v8, v7, v3 :: v_dual_mov_b32 v4, v7
	s_delay_alu instid0(VALU_DEP_2) | instskip(NEXT) | instid1(VALU_DEP_2)
	v_dual_mov_b32 v11, v5 :: v_dual_mov_b32 v5, v6
	v_pk_fma_f32 v[8:9], v[6:7], v[40:41], v[8:9] op_sel_hi:[1,1,0] neg_lo:[0,0,1] neg_hi:[0,0,1]
	v_mul_f32_e32 v6, v7, v0
	s_delay_alu instid0(VALU_DEP_3) | instskip(NEXT) | instid1(VALU_DEP_2)
	v_pk_add_f32 v[180:181], v[180:181], v[10:11] neg_lo:[0,1] neg_hi:[0,1]
	v_pk_fma_f32 v[4:5], v[4:5], v[40:41], v[6:7] op_sel_hi:[1,1,0]
	s_delay_alu instid0(VALU_DEP_1) | instskip(SKIP_4) | instid1(VALU_DEP_1)
	v_mov_b32_e32 v9, v5
	ds_load_2addr_b64 v[4:7], v134 offset0:43 offset1:44
	v_pk_add_f32 v[182:183], v[182:183], v[8:9] neg_lo:[0,1] neg_hi:[0,1]
	s_wait_dscnt 0x0
	v_pk_mul_f32 v[8:9], v[4:5], v[2:3] op_sel:[0,1]
	v_pk_fma_f32 v[10:11], v[4:5], v[0:1], v[8:9] op_sel:[0,0,1] op_sel_hi:[1,1,0] neg_lo:[0,0,1] neg_hi:[0,0,1]
	v_pk_fma_f32 v[4:5], v[4:5], v[0:1], v[8:9] op_sel:[0,0,1] op_sel_hi:[1,0,0]
	s_delay_alu instid0(VALU_DEP_1) | instskip(SKIP_1) | instid1(VALU_DEP_1)
	v_mov_b32_e32 v11, v5
	v_pk_mul_f32 v[4:5], v[6:7], v[2:3] op_sel:[0,1]
	v_pk_fma_f32 v[8:9], v[6:7], v[0:1], v[4:5] op_sel:[0,0,1] op_sel_hi:[1,1,0] neg_lo:[0,0,1] neg_hi:[0,0,1]
	v_pk_fma_f32 v[4:5], v[6:7], v[0:1], v[4:5] op_sel:[0,0,1] op_sel_hi:[1,0,0]
	s_delay_alu instid0(VALU_DEP_1)
	v_mov_b32_e32 v9, v5
	ds_load_2addr_b64 v[4:7], v134 offset0:45 offset1:46
	v_pk_add_f32 v[178:179], v[178:179], v[10:11] neg_lo:[0,1] neg_hi:[0,1]
	v_pk_add_f32 v[208:209], v[208:209], v[8:9] neg_lo:[0,1] neg_hi:[0,1]
	s_wait_dscnt 0x0
	v_pk_mul_f32 v[8:9], v[4:5], v[2:3] op_sel:[0,1]
	s_delay_alu instid0(VALU_DEP_1) | instskip(SKIP_1) | instid1(VALU_DEP_1)
	v_pk_fma_f32 v[10:11], v[4:5], v[0:1], v[8:9] op_sel:[0,0,1] op_sel_hi:[1,1,0] neg_lo:[0,0,1] neg_hi:[0,0,1]
	v_pk_fma_f32 v[4:5], v[4:5], v[0:1], v[8:9] op_sel:[0,0,1] op_sel_hi:[1,0,0]
	v_mov_b32_e32 v11, v5
	v_pk_mul_f32 v[4:5], v[6:7], v[2:3] op_sel:[0,1]
	s_delay_alu instid0(VALU_DEP_1) | instskip(SKIP_1) | instid1(VALU_DEP_1)
	v_pk_fma_f32 v[8:9], v[6:7], v[0:1], v[4:5] op_sel:[0,0,1] op_sel_hi:[1,1,0] neg_lo:[0,0,1] neg_hi:[0,0,1]
	v_pk_fma_f32 v[4:5], v[6:7], v[0:1], v[4:5] op_sel:[0,0,1] op_sel_hi:[1,0,0]
	v_mov_b32_e32 v9, v5
	ds_load_2addr_b64 v[4:7], v134 offset0:47 offset1:48
	v_pk_add_f32 v[200:201], v[200:201], v[10:11] neg_lo:[0,1] neg_hi:[0,1]
	v_pk_add_f32 v[206:207], v[206:207], v[8:9] neg_lo:[0,1] neg_hi:[0,1]
	s_wait_dscnt 0x0
	v_dual_mul_f32 v8, v5, v3 :: v_dual_mul_f32 v10, v5, v0
	s_delay_alu instid0(VALU_DEP_1) | instskip(NEXT) | instid1(VALU_DEP_2)
	v_pk_fma_f32 v[8:9], v[4:5], v[40:41], v[8:9] op_sel_hi:[1,1,0] neg_lo:[0,0,1] neg_hi:[0,0,1]
	v_pk_fma_f32 v[4:5], v[4:5], v[40:41], v[10:11] op_sel:[1,0,0] op_sel_hi:[0,1,0]
	s_delay_alu instid0(VALU_DEP_1) | instskip(SKIP_1) | instid1(VALU_DEP_2)
	v_mov_b32_e32 v9, v5
	v_pk_mul_f32 v[4:5], v[6:7], v[2:3] op_sel:[0,1]
	v_pk_add_f32 v[198:199], v[198:199], v[8:9] neg_lo:[0,1] neg_hi:[0,1]
	s_delay_alu instid0(VALU_DEP_2) | instskip(SKIP_1) | instid1(VALU_DEP_1)
	v_pk_fma_f32 v[8:9], v[6:7], v[0:1], v[4:5] op_sel:[0,0,1] op_sel_hi:[1,1,0] neg_lo:[0,0,1] neg_hi:[0,0,1]
	v_pk_fma_f32 v[4:5], v[6:7], v[0:1], v[4:5] op_sel:[0,0,1] op_sel_hi:[1,0,0]
	v_mov_b32_e32 v9, v5
	ds_load_2addr_b64 v[4:7], v134 offset0:49 offset1:50
	v_pk_add_f32 v[204:205], v[204:205], v[8:9] neg_lo:[0,1] neg_hi:[0,1]
	s_wait_dscnt 0x0
	v_pk_mul_f32 v[8:9], v[4:5], v[2:3] op_sel:[0,1]
	s_delay_alu instid0(VALU_DEP_1) | instskip(SKIP_1) | instid1(VALU_DEP_1)
	v_pk_fma_f32 v[10:11], v[4:5], v[0:1], v[8:9] op_sel:[0,0,1] op_sel_hi:[1,1,0] neg_lo:[0,0,1] neg_hi:[0,0,1]
	v_pk_fma_f32 v[4:5], v[4:5], v[0:1], v[8:9] op_sel:[0,0,1] op_sel_hi:[1,0,0]
	v_mov_b32_e32 v11, v5
	v_pk_mul_f32 v[4:5], v[6:7], v[2:3] op_sel:[0,1]
	s_delay_alu instid0(VALU_DEP_2) | instskip(NEXT) | instid1(VALU_DEP_2)
	v_pk_add_f32 v[196:197], v[196:197], v[10:11] neg_lo:[0,1] neg_hi:[0,1]
	v_pk_fma_f32 v[8:9], v[6:7], v[0:1], v[4:5] op_sel:[0,0,1] op_sel_hi:[1,1,0] neg_lo:[0,0,1] neg_hi:[0,0,1]
	v_pk_fma_f32 v[4:5], v[6:7], v[0:1], v[4:5] op_sel:[0,0,1] op_sel_hi:[1,0,0]
	s_delay_alu instid0(VALU_DEP_1)
	v_mov_b32_e32 v9, v5
	ds_load_2addr_b64 v[4:7], v134 offset0:51 offset1:52
	v_pk_add_f32 v[202:203], v[202:203], v[8:9] neg_lo:[0,1] neg_hi:[0,1]
	s_wait_dscnt 0x0
	v_pk_mul_f32 v[8:9], v[4:5], v[2:3] op_sel:[0,1]
	v_pk_mul_f32 v[2:3], v[6:7], v[2:3] op_sel:[0,1]
	s_delay_alu instid0(VALU_DEP_2) | instskip(SKIP_1) | instid1(VALU_DEP_1)
	v_pk_fma_f32 v[10:11], v[4:5], v[0:1], v[8:9] op_sel:[0,0,1] op_sel_hi:[1,1,0] neg_lo:[0,0,1] neg_hi:[0,0,1]
	v_pk_fma_f32 v[4:5], v[4:5], v[0:1], v[8:9] op_sel:[0,0,1] op_sel_hi:[1,0,0]
	v_mov_b32_e32 v11, v5
	s_delay_alu instid0(VALU_DEP_4) | instskip(SKIP_1) | instid1(VALU_DEP_3)
	v_pk_fma_f32 v[4:5], v[6:7], v[0:1], v[2:3] op_sel:[0,0,1] op_sel_hi:[1,1,0] neg_lo:[0,0,1] neg_hi:[0,0,1]
	v_pk_fma_f32 v[0:1], v[6:7], v[0:1], v[2:3] op_sel:[0,0,1] op_sel_hi:[1,0,0]
	v_pk_add_f32 v[210:211], v[210:211], v[10:11] neg_lo:[0,1] neg_hi:[0,1]
	s_delay_alu instid0(VALU_DEP_2) | instskip(NEXT) | instid1(VALU_DEP_1)
	v_mov_b32_e32 v5, v1
	v_pk_add_f32 v[212:213], v[212:213], v[4:5] neg_lo:[0,1] neg_hi:[0,1]
.LBB105_82:
	s_wait_xcnt 0x0
	s_or_b32 exec_lo, exec_lo, s1
	s_delay_alu instid0(SALU_CYCLE_1)
	s_mov_b32 s2, exec_lo
	s_wait_storecnt 0x0
	s_barrier_signal -1
	s_barrier_wait -1
	v_cmpx_eq_u32_e32 9, v132
	s_cbranch_execz .LBB105_89
; %bb.83:
	v_dual_mov_b32 v0, v38 :: v_dual_mov_b32 v1, v39
	v_dual_mov_b32 v2, v34 :: v_dual_mov_b32 v3, v35
	ds_store_b64 v133, v[36:37]
	ds_store_2addr_b64 v134, v[0:1], v[2:3] offset0:10 offset1:11
	v_dual_mov_b32 v0, v64 :: v_dual_mov_b32 v1, v65
	v_dual_mov_b32 v2, v60 :: v_dual_mov_b32 v3, v61
	ds_store_2addr_b64 v134, v[0:1], v[2:3] offset0:12 offset1:13
	v_dual_mov_b32 v0, v62 :: v_dual_mov_b32 v1, v63
	v_dual_mov_b32 v2, v58 :: v_dual_mov_b32 v3, v59
	;; [unrolled: 3-line block ×20, first 2 shown]
	ds_store_2addr_b64 v134, v[0:1], v[2:3] offset0:50 offset1:51
	ds_store_b64 v134, v[212:213] offset:416
	ds_load_b64 v[0:1], v133
	s_wait_dscnt 0x0
	v_cmp_neq_f32_e32 vcc_lo, 0, v0
	v_cmp_neq_f32_e64 s1, 0, v1
	s_or_b32 s1, vcc_lo, s1
	s_delay_alu instid0(SALU_CYCLE_1)
	s_and_b32 exec_lo, exec_lo, s1
	s_cbranch_execz .LBB105_89
; %bb.84:
	v_cmp_ngt_f32_e64 s1, |v0|, |v1|
                                        ; implicit-def: $vgpr2_vgpr3
	s_and_saveexec_b32 s4, s1
	s_delay_alu instid0(SALU_CYCLE_1)
	s_xor_b32 s1, exec_lo, s4
	s_cbranch_execz .LBB105_86
; %bb.85:
	v_div_scale_f32 v2, null, v1, v1, v0
	v_div_scale_f32 v5, vcc_lo, v0, v1, v0
	s_delay_alu instid0(VALU_DEP_2) | instskip(SKIP_1) | instid1(TRANS32_DEP_1)
	v_rcp_f32_e32 v3, v2
	v_nop
	v_fma_f32 v4, -v2, v3, 1.0
	s_delay_alu instid0(VALU_DEP_1) | instskip(NEXT) | instid1(VALU_DEP_1)
	v_fmac_f32_e32 v3, v4, v3
	v_mul_f32_e32 v4, v5, v3
	s_delay_alu instid0(VALU_DEP_1) | instskip(NEXT) | instid1(VALU_DEP_1)
	v_fma_f32 v6, -v2, v4, v5
	v_fmac_f32_e32 v4, v6, v3
	s_delay_alu instid0(VALU_DEP_1) | instskip(NEXT) | instid1(VALU_DEP_1)
	v_fma_f32 v2, -v2, v4, v5
	v_div_fmas_f32 v2, v2, v3, v4
	s_delay_alu instid0(VALU_DEP_1) | instskip(NEXT) | instid1(VALU_DEP_1)
	v_div_fixup_f32 v2, v2, v1, v0
	v_fmac_f32_e32 v1, v0, v2
	s_delay_alu instid0(VALU_DEP_1) | instskip(SKIP_1) | instid1(VALU_DEP_2)
	v_div_scale_f32 v0, null, v1, v1, 1.0
	v_div_scale_f32 v5, vcc_lo, 1.0, v1, 1.0
	v_rcp_f32_e32 v3, v0
	v_nop
	s_delay_alu instid0(TRANS32_DEP_1) | instskip(NEXT) | instid1(VALU_DEP_1)
	v_fma_f32 v4, -v0, v3, 1.0
	v_fmac_f32_e32 v3, v4, v3
	s_delay_alu instid0(VALU_DEP_1) | instskip(NEXT) | instid1(VALU_DEP_1)
	v_mul_f32_e32 v4, v5, v3
	v_fma_f32 v6, -v0, v4, v5
	s_delay_alu instid0(VALU_DEP_1) | instskip(NEXT) | instid1(VALU_DEP_1)
	v_fmac_f32_e32 v4, v6, v3
	v_fma_f32 v0, -v0, v4, v5
	s_delay_alu instid0(VALU_DEP_1) | instskip(NEXT) | instid1(VALU_DEP_1)
	v_div_fmas_f32 v0, v0, v3, v4
	v_div_fixup_f32 v0, v0, v1, 1.0
	s_delay_alu instid0(VALU_DEP_1)
	v_mul_f32_e32 v2, v2, v0
	v_xor_b32_e32 v3, 0x80000000, v0
                                        ; implicit-def: $vgpr0_vgpr1
.LBB105_86:
	s_and_not1_saveexec_b32 s1, s1
	s_cbranch_execz .LBB105_88
; %bb.87:
	v_div_scale_f32 v2, null, v0, v0, v1
	v_div_scale_f32 v5, vcc_lo, v1, v0, v1
	s_delay_alu instid0(VALU_DEP_2) | instskip(SKIP_1) | instid1(TRANS32_DEP_1)
	v_rcp_f32_e32 v3, v2
	v_nop
	v_fma_f32 v4, -v2, v3, 1.0
	s_delay_alu instid0(VALU_DEP_1) | instskip(NEXT) | instid1(VALU_DEP_1)
	v_fmac_f32_e32 v3, v4, v3
	v_mul_f32_e32 v4, v5, v3
	s_delay_alu instid0(VALU_DEP_1) | instskip(NEXT) | instid1(VALU_DEP_1)
	v_fma_f32 v6, -v2, v4, v5
	v_fmac_f32_e32 v4, v6, v3
	s_delay_alu instid0(VALU_DEP_1) | instskip(NEXT) | instid1(VALU_DEP_1)
	v_fma_f32 v2, -v2, v4, v5
	v_div_fmas_f32 v2, v2, v3, v4
	s_delay_alu instid0(VALU_DEP_1) | instskip(NEXT) | instid1(VALU_DEP_1)
	v_div_fixup_f32 v3, v2, v0, v1
	v_fmac_f32_e32 v0, v1, v3
	s_delay_alu instid0(VALU_DEP_1) | instskip(NEXT) | instid1(VALU_DEP_1)
	v_div_scale_f32 v1, null, v0, v0, 1.0
	v_rcp_f32_e32 v2, v1
	v_nop
	s_delay_alu instid0(TRANS32_DEP_1) | instskip(NEXT) | instid1(VALU_DEP_1)
	v_fma_f32 v4, -v1, v2, 1.0
	v_fmac_f32_e32 v2, v4, v2
	v_div_scale_f32 v4, vcc_lo, 1.0, v0, 1.0
	s_delay_alu instid0(VALU_DEP_1) | instskip(NEXT) | instid1(VALU_DEP_1)
	v_mul_f32_e32 v5, v4, v2
	v_fma_f32 v6, -v1, v5, v4
	s_delay_alu instid0(VALU_DEP_1) | instskip(NEXT) | instid1(VALU_DEP_1)
	v_fmac_f32_e32 v5, v6, v2
	v_fma_f32 v1, -v1, v5, v4
	s_delay_alu instid0(VALU_DEP_1) | instskip(NEXT) | instid1(VALU_DEP_1)
	v_div_fmas_f32 v1, v1, v2, v5
	v_div_fixup_f32 v2, v1, v0, 1.0
	s_delay_alu instid0(VALU_DEP_1)
	v_mul_f32_e64 v3, v3, -v2
.LBB105_88:
	s_or_b32 exec_lo, exec_lo, s1
	ds_store_b64 v133, v[2:3]
.LBB105_89:
	s_or_b32 exec_lo, exec_lo, s2
	s_wait_dscnt 0x0
	s_barrier_signal -1
	s_barrier_wait -1
	ds_load_b64 v[0:1], v133
	s_mov_b32 s1, exec_lo
	s_wait_dscnt 0x0
	scratch_store_b64 off, v[0:1], off offset:200 ; 8-byte Folded Spill
	s_wait_xcnt 0x0
	v_cmpx_lt_u32_e32 9, v132
	s_cbranch_execz .LBB105_91
; %bb.90:
	scratch_load_b64 v[4:5], off, off offset:200 ; 8-byte Folded Reload
	s_wait_loadcnt 0x0
	v_pk_mul_f32 v[2:3], v[4:5], v[36:37] op_sel:[1,1] op_sel_hi:[0,1]
	s_delay_alu instid0(VALU_DEP_1)
	v_pk_fma_f32 v[0:1], v[4:5], v[36:37], v[2:3] op_sel_hi:[1,0,1] neg_lo:[0,0,1] neg_hi:[0,0,1]
	v_pk_fma_f32 v[2:3], v[4:5], v[36:37], v[2:3] op_sel_hi:[1,0,1]
	ds_load_2addr_b64 v[4:7], v134 offset0:10 offset1:11
	v_dual_mov_b32 v36, v0 :: v_dual_mov_b32 v37, v3
	s_wait_dscnt 0x0
	v_pk_mul_f32 v[8:9], v[4:5], v[2:3] op_sel:[0,1]
	s_delay_alu instid0(VALU_DEP_1) | instskip(SKIP_1) | instid1(VALU_DEP_1)
	v_pk_fma_f32 v[10:11], v[4:5], v[0:1], v[8:9] op_sel:[0,0,1] op_sel_hi:[1,1,0] neg_lo:[0,0,1] neg_hi:[0,0,1]
	v_pk_fma_f32 v[4:5], v[4:5], v[0:1], v[8:9] op_sel:[0,0,1] op_sel_hi:[1,0,0]
	v_mov_b32_e32 v11, v5
	v_pk_mul_f32 v[4:5], v[6:7], v[2:3] op_sel:[0,1]
	s_delay_alu instid0(VALU_DEP_1) | instskip(SKIP_1) | instid1(VALU_DEP_1)
	v_pk_fma_f32 v[8:9], v[6:7], v[0:1], v[4:5] op_sel:[0,0,1] op_sel_hi:[1,1,0] neg_lo:[0,0,1] neg_hi:[0,0,1]
	v_pk_fma_f32 v[4:5], v[6:7], v[0:1], v[4:5] op_sel:[0,0,1] op_sel_hi:[1,0,0]
	v_mov_b32_e32 v9, v5
	ds_load_2addr_b64 v[4:7], v134 offset0:12 offset1:13
	v_pk_add_f32 v[38:39], v[38:39], v[10:11] neg_lo:[0,1] neg_hi:[0,1]
	v_pk_add_f32 v[34:35], v[34:35], v[8:9] neg_lo:[0,1] neg_hi:[0,1]
	s_wait_dscnt 0x0
	v_pk_mul_f32 v[8:9], v[4:5], v[2:3] op_sel:[0,1]
	s_delay_alu instid0(VALU_DEP_1) | instskip(SKIP_2) | instid1(VALU_DEP_2)
	v_pk_fma_f32 v[10:11], v[4:5], v[0:1], v[8:9] op_sel:[0,0,1] op_sel_hi:[1,1,0] neg_lo:[0,0,1] neg_hi:[0,0,1]
	v_pk_fma_f32 v[4:5], v[4:5], v[0:1], v[8:9] op_sel:[0,0,1] op_sel_hi:[1,0,0]
	v_dual_mul_f32 v8, v7, v3 :: v_dual_mov_b32 v4, v7
	v_dual_mov_b32 v11, v5 :: v_dual_mov_b32 v5, v6
	s_delay_alu instid0(VALU_DEP_2) | instskip(SKIP_1) | instid1(VALU_DEP_3)
	v_pk_fma_f32 v[8:9], v[6:7], v[36:37], v[8:9] op_sel_hi:[1,1,0] neg_lo:[0,0,1] neg_hi:[0,0,1]
	v_mul_f32_e32 v6, v7, v0
	v_pk_add_f32 v[64:65], v[64:65], v[10:11] neg_lo:[0,1] neg_hi:[0,1]
	s_delay_alu instid0(VALU_DEP_2) | instskip(NEXT) | instid1(VALU_DEP_1)
	v_pk_fma_f32 v[4:5], v[4:5], v[36:37], v[6:7] op_sel_hi:[1,1,0]
	v_mov_b32_e32 v9, v5
	ds_load_2addr_b64 v[4:7], v134 offset0:14 offset1:15
	v_pk_add_f32 v[60:61], v[60:61], v[8:9] neg_lo:[0,1] neg_hi:[0,1]
	s_wait_dscnt 0x0
	v_pk_mul_f32 v[8:9], v[4:5], v[2:3] op_sel:[0,1]
	s_delay_alu instid0(VALU_DEP_1) | instskip(SKIP_1) | instid1(VALU_DEP_1)
	v_pk_fma_f32 v[10:11], v[4:5], v[0:1], v[8:9] op_sel:[0,0,1] op_sel_hi:[1,1,0] neg_lo:[0,0,1] neg_hi:[0,0,1]
	v_pk_fma_f32 v[4:5], v[4:5], v[0:1], v[8:9] op_sel:[0,0,1] op_sel_hi:[1,0,0]
	v_mov_b32_e32 v11, v5
	v_pk_mul_f32 v[4:5], v[6:7], v[2:3] op_sel:[0,1]
	s_delay_alu instid0(VALU_DEP_1) | instskip(SKIP_1) | instid1(VALU_DEP_1)
	v_pk_fma_f32 v[8:9], v[6:7], v[0:1], v[4:5] op_sel:[0,0,1] op_sel_hi:[1,1,0] neg_lo:[0,0,1] neg_hi:[0,0,1]
	v_pk_fma_f32 v[4:5], v[6:7], v[0:1], v[4:5] op_sel:[0,0,1] op_sel_hi:[1,0,0]
	v_mov_b32_e32 v9, v5
	ds_load_2addr_b64 v[4:7], v134 offset0:16 offset1:17
	v_pk_add_f32 v[62:63], v[62:63], v[10:11] neg_lo:[0,1] neg_hi:[0,1]
	v_pk_add_f32 v[58:59], v[58:59], v[8:9] neg_lo:[0,1] neg_hi:[0,1]
	s_wait_dscnt 0x0
	v_pk_mul_f32 v[8:9], v[4:5], v[2:3] op_sel:[0,1]
	s_delay_alu instid0(VALU_DEP_1) | instskip(SKIP_1) | instid1(VALU_DEP_1)
	v_pk_fma_f32 v[10:11], v[4:5], v[0:1], v[8:9] op_sel:[0,0,1] op_sel_hi:[1,1,0] neg_lo:[0,0,1] neg_hi:[0,0,1]
	v_pk_fma_f32 v[4:5], v[4:5], v[0:1], v[8:9] op_sel:[0,0,1] op_sel_hi:[1,0,0]
	v_mov_b32_e32 v11, v5
	v_pk_mul_f32 v[4:5], v[6:7], v[2:3] op_sel:[0,1]
	s_delay_alu instid0(VALU_DEP_1) | instskip(SKIP_1) | instid1(VALU_DEP_1)
	v_pk_fma_f32 v[8:9], v[6:7], v[0:1], v[4:5] op_sel:[0,0,1] op_sel_hi:[1,1,0] neg_lo:[0,0,1] neg_hi:[0,0,1]
	v_pk_fma_f32 v[4:5], v[6:7], v[0:1], v[4:5] op_sel:[0,0,1] op_sel_hi:[1,0,0]
	v_mov_b32_e32 v9, v5
	ds_load_2addr_b64 v[4:7], v134 offset0:18 offset1:19
	v_pk_add_f32 v[80:81], v[80:81], v[10:11] neg_lo:[0,1] neg_hi:[0,1]
	v_pk_add_f32 v[76:77], v[76:77], v[8:9] neg_lo:[0,1] neg_hi:[0,1]
	s_wait_dscnt 0x0
	v_dual_mul_f32 v8, v5, v3 :: v_dual_mul_f32 v10, v5, v0
	s_delay_alu instid0(VALU_DEP_1) | instskip(NEXT) | instid1(VALU_DEP_2)
	v_pk_fma_f32 v[8:9], v[4:5], v[36:37], v[8:9] op_sel_hi:[1,1,0] neg_lo:[0,0,1] neg_hi:[0,0,1]
	v_pk_fma_f32 v[4:5], v[4:5], v[36:37], v[10:11] op_sel:[1,0,0] op_sel_hi:[0,1,0]
	s_delay_alu instid0(VALU_DEP_1) | instskip(SKIP_1) | instid1(VALU_DEP_2)
	v_mov_b32_e32 v9, v5
	v_pk_mul_f32 v[4:5], v[6:7], v[2:3] op_sel:[0,1]
	v_pk_add_f32 v[78:79], v[78:79], v[8:9] neg_lo:[0,1] neg_hi:[0,1]
	s_delay_alu instid0(VALU_DEP_2) | instskip(SKIP_1) | instid1(VALU_DEP_1)
	v_pk_fma_f32 v[8:9], v[6:7], v[0:1], v[4:5] op_sel:[0,0,1] op_sel_hi:[1,1,0] neg_lo:[0,0,1] neg_hi:[0,0,1]
	v_pk_fma_f32 v[4:5], v[6:7], v[0:1], v[4:5] op_sel:[0,0,1] op_sel_hi:[1,0,0]
	v_mov_b32_e32 v9, v5
	ds_load_2addr_b64 v[4:7], v134 offset0:20 offset1:21
	v_pk_add_f32 v[74:75], v[74:75], v[8:9] neg_lo:[0,1] neg_hi:[0,1]
	s_wait_dscnt 0x0
	v_pk_mul_f32 v[8:9], v[4:5], v[2:3] op_sel:[0,1]
	s_delay_alu instid0(VALU_DEP_1) | instskip(SKIP_1) | instid1(VALU_DEP_1)
	v_pk_fma_f32 v[10:11], v[4:5], v[0:1], v[8:9] op_sel:[0,0,1] op_sel_hi:[1,1,0] neg_lo:[0,0,1] neg_hi:[0,0,1]
	v_pk_fma_f32 v[4:5], v[4:5], v[0:1], v[8:9] op_sel:[0,0,1] op_sel_hi:[1,0,0]
	v_mov_b32_e32 v11, v5
	v_pk_mul_f32 v[4:5], v[6:7], v[2:3] op_sel:[0,1]
	s_delay_alu instid0(VALU_DEP_2) | instskip(NEXT) | instid1(VALU_DEP_2)
	v_pk_add_f32 v[96:97], v[96:97], v[10:11] neg_lo:[0,1] neg_hi:[0,1]
	v_pk_fma_f32 v[8:9], v[6:7], v[0:1], v[4:5] op_sel:[0,0,1] op_sel_hi:[1,1,0] neg_lo:[0,0,1] neg_hi:[0,0,1]
	v_pk_fma_f32 v[4:5], v[6:7], v[0:1], v[4:5] op_sel:[0,0,1] op_sel_hi:[1,0,0]
	s_delay_alu instid0(VALU_DEP_1) | instskip(SKIP_4) | instid1(VALU_DEP_1)
	v_mov_b32_e32 v9, v5
	ds_load_2addr_b64 v[4:7], v134 offset0:22 offset1:23
	v_pk_add_f32 v[92:93], v[92:93], v[8:9] neg_lo:[0,1] neg_hi:[0,1]
	s_wait_dscnt 0x0
	v_pk_mul_f32 v[8:9], v[4:5], v[2:3] op_sel:[0,1]
	v_pk_fma_f32 v[10:11], v[4:5], v[0:1], v[8:9] op_sel:[0,0,1] op_sel_hi:[1,1,0] neg_lo:[0,0,1] neg_hi:[0,0,1]
	v_pk_fma_f32 v[4:5], v[4:5], v[0:1], v[8:9] op_sel:[0,0,1] op_sel_hi:[1,0,0]
	v_dual_mul_f32 v8, v7, v3 :: v_dual_mov_b32 v4, v7
	s_delay_alu instid0(VALU_DEP_2) | instskip(NEXT) | instid1(VALU_DEP_2)
	v_dual_mov_b32 v11, v5 :: v_dual_mov_b32 v5, v6
	v_pk_fma_f32 v[8:9], v[6:7], v[36:37], v[8:9] op_sel_hi:[1,1,0] neg_lo:[0,0,1] neg_hi:[0,0,1]
	v_mul_f32_e32 v6, v7, v0
	s_delay_alu instid0(VALU_DEP_3) | instskip(NEXT) | instid1(VALU_DEP_2)
	v_pk_add_f32 v[94:95], v[94:95], v[10:11] neg_lo:[0,1] neg_hi:[0,1]
	v_pk_fma_f32 v[4:5], v[4:5], v[36:37], v[6:7] op_sel_hi:[1,1,0]
	s_delay_alu instid0(VALU_DEP_1) | instskip(SKIP_4) | instid1(VALU_DEP_1)
	v_mov_b32_e32 v9, v5
	ds_load_2addr_b64 v[4:7], v134 offset0:24 offset1:25
	v_pk_add_f32 v[90:91], v[90:91], v[8:9] neg_lo:[0,1] neg_hi:[0,1]
	s_wait_dscnt 0x0
	v_pk_mul_f32 v[8:9], v[4:5], v[2:3] op_sel:[0,1]
	v_pk_fma_f32 v[10:11], v[4:5], v[0:1], v[8:9] op_sel:[0,0,1] op_sel_hi:[1,1,0] neg_lo:[0,0,1] neg_hi:[0,0,1]
	v_pk_fma_f32 v[4:5], v[4:5], v[0:1], v[8:9] op_sel:[0,0,1] op_sel_hi:[1,0,0]
	s_delay_alu instid0(VALU_DEP_1) | instskip(SKIP_1) | instid1(VALU_DEP_1)
	v_mov_b32_e32 v11, v5
	v_pk_mul_f32 v[4:5], v[6:7], v[2:3] op_sel:[0,1]
	v_pk_fma_f32 v[8:9], v[6:7], v[0:1], v[4:5] op_sel:[0,0,1] op_sel_hi:[1,1,0] neg_lo:[0,0,1] neg_hi:[0,0,1]
	v_pk_fma_f32 v[4:5], v[6:7], v[0:1], v[4:5] op_sel:[0,0,1] op_sel_hi:[1,0,0]
	s_delay_alu instid0(VALU_DEP_1)
	v_mov_b32_e32 v9, v5
	ds_load_2addr_b64 v[4:7], v134 offset0:26 offset1:27
	v_pk_add_f32 v[112:113], v[112:113], v[10:11] neg_lo:[0,1] neg_hi:[0,1]
	v_pk_add_f32 v[108:109], v[108:109], v[8:9] neg_lo:[0,1] neg_hi:[0,1]
	s_wait_dscnt 0x0
	v_pk_mul_f32 v[8:9], v[4:5], v[2:3] op_sel:[0,1]
	s_delay_alu instid0(VALU_DEP_1) | instskip(SKIP_1) | instid1(VALU_DEP_1)
	v_pk_fma_f32 v[10:11], v[4:5], v[0:1], v[8:9] op_sel:[0,0,1] op_sel_hi:[1,1,0] neg_lo:[0,0,1] neg_hi:[0,0,1]
	v_pk_fma_f32 v[4:5], v[4:5], v[0:1], v[8:9] op_sel:[0,0,1] op_sel_hi:[1,0,0]
	v_mov_b32_e32 v11, v5
	v_pk_mul_f32 v[4:5], v[6:7], v[2:3] op_sel:[0,1]
	s_delay_alu instid0(VALU_DEP_1) | instskip(SKIP_1) | instid1(VALU_DEP_1)
	v_pk_fma_f32 v[8:9], v[6:7], v[0:1], v[4:5] op_sel:[0,0,1] op_sel_hi:[1,1,0] neg_lo:[0,0,1] neg_hi:[0,0,1]
	v_pk_fma_f32 v[4:5], v[6:7], v[0:1], v[4:5] op_sel:[0,0,1] op_sel_hi:[1,0,0]
	v_mov_b32_e32 v9, v5
	ds_load_2addr_b64 v[4:7], v134 offset0:28 offset1:29
	v_pk_add_f32 v[110:111], v[110:111], v[10:11] neg_lo:[0,1] neg_hi:[0,1]
	v_pk_add_f32 v[106:107], v[106:107], v[8:9] neg_lo:[0,1] neg_hi:[0,1]
	s_wait_dscnt 0x0
	v_dual_mul_f32 v8, v5, v3 :: v_dual_mul_f32 v10, v5, v0
	s_delay_alu instid0(VALU_DEP_1) | instskip(NEXT) | instid1(VALU_DEP_2)
	v_pk_fma_f32 v[8:9], v[4:5], v[36:37], v[8:9] op_sel_hi:[1,1,0] neg_lo:[0,0,1] neg_hi:[0,0,1]
	v_pk_fma_f32 v[4:5], v[4:5], v[36:37], v[10:11] op_sel:[1,0,0] op_sel_hi:[0,1,0]
	s_delay_alu instid0(VALU_DEP_1) | instskip(SKIP_1) | instid1(VALU_DEP_2)
	v_mov_b32_e32 v9, v5
	v_pk_mul_f32 v[4:5], v[6:7], v[2:3] op_sel:[0,1]
	v_pk_add_f32 v[130:131], v[130:131], v[8:9] neg_lo:[0,1] neg_hi:[0,1]
	s_delay_alu instid0(VALU_DEP_2) | instskip(SKIP_1) | instid1(VALU_DEP_1)
	v_pk_fma_f32 v[8:9], v[6:7], v[0:1], v[4:5] op_sel:[0,0,1] op_sel_hi:[1,1,0] neg_lo:[0,0,1] neg_hi:[0,0,1]
	v_pk_fma_f32 v[4:5], v[6:7], v[0:1], v[4:5] op_sel:[0,0,1] op_sel_hi:[1,0,0]
	v_mov_b32_e32 v9, v5
	ds_load_2addr_b64 v[4:7], v134 offset0:30 offset1:31
	v_pk_add_f32 v[126:127], v[126:127], v[8:9] neg_lo:[0,1] neg_hi:[0,1]
	s_wait_dscnt 0x0
	v_pk_mul_f32 v[8:9], v[4:5], v[2:3] op_sel:[0,1]
	s_delay_alu instid0(VALU_DEP_1) | instskip(SKIP_1) | instid1(VALU_DEP_1)
	v_pk_fma_f32 v[10:11], v[4:5], v[0:1], v[8:9] op_sel:[0,0,1] op_sel_hi:[1,1,0] neg_lo:[0,0,1] neg_hi:[0,0,1]
	v_pk_fma_f32 v[4:5], v[4:5], v[0:1], v[8:9] op_sel:[0,0,1] op_sel_hi:[1,0,0]
	v_mov_b32_e32 v11, v5
	v_pk_mul_f32 v[4:5], v[6:7], v[2:3] op_sel:[0,1]
	s_delay_alu instid0(VALU_DEP_2) | instskip(NEXT) | instid1(VALU_DEP_2)
	v_pk_add_f32 v[128:129], v[128:129], v[10:11] neg_lo:[0,1] neg_hi:[0,1]
	v_pk_fma_f32 v[8:9], v[6:7], v[0:1], v[4:5] op_sel:[0,0,1] op_sel_hi:[1,1,0] neg_lo:[0,0,1] neg_hi:[0,0,1]
	v_pk_fma_f32 v[4:5], v[6:7], v[0:1], v[4:5] op_sel:[0,0,1] op_sel_hi:[1,0,0]
	s_delay_alu instid0(VALU_DEP_1) | instskip(SKIP_4) | instid1(VALU_DEP_1)
	v_mov_b32_e32 v9, v5
	ds_load_2addr_b64 v[4:7], v134 offset0:32 offset1:33
	v_pk_add_f32 v[124:125], v[124:125], v[8:9] neg_lo:[0,1] neg_hi:[0,1]
	s_wait_dscnt 0x0
	v_pk_mul_f32 v[8:9], v[4:5], v[2:3] op_sel:[0,1]
	v_pk_fma_f32 v[10:11], v[4:5], v[0:1], v[8:9] op_sel:[0,0,1] op_sel_hi:[1,1,0] neg_lo:[0,0,1] neg_hi:[0,0,1]
	v_pk_fma_f32 v[4:5], v[4:5], v[0:1], v[8:9] op_sel:[0,0,1] op_sel_hi:[1,0,0]
	v_dual_mul_f32 v8, v7, v3 :: v_dual_mov_b32 v4, v7
	s_delay_alu instid0(VALU_DEP_2) | instskip(NEXT) | instid1(VALU_DEP_2)
	v_dual_mov_b32 v11, v5 :: v_dual_mov_b32 v5, v6
	v_pk_fma_f32 v[8:9], v[6:7], v[36:37], v[8:9] op_sel_hi:[1,1,0] neg_lo:[0,0,1] neg_hi:[0,0,1]
	v_mul_f32_e32 v6, v7, v0
	s_delay_alu instid0(VALU_DEP_3) | instskip(NEXT) | instid1(VALU_DEP_2)
	v_pk_add_f32 v[146:147], v[146:147], v[10:11] neg_lo:[0,1] neg_hi:[0,1]
	v_pk_fma_f32 v[4:5], v[4:5], v[36:37], v[6:7] op_sel_hi:[1,1,0]
	s_delay_alu instid0(VALU_DEP_1) | instskip(SKIP_4) | instid1(VALU_DEP_1)
	v_mov_b32_e32 v9, v5
	ds_load_2addr_b64 v[4:7], v134 offset0:34 offset1:35
	v_pk_add_f32 v[142:143], v[142:143], v[8:9] neg_lo:[0,1] neg_hi:[0,1]
	s_wait_dscnt 0x0
	v_pk_mul_f32 v[8:9], v[4:5], v[2:3] op_sel:[0,1]
	v_pk_fma_f32 v[10:11], v[4:5], v[0:1], v[8:9] op_sel:[0,0,1] op_sel_hi:[1,1,0] neg_lo:[0,0,1] neg_hi:[0,0,1]
	v_pk_fma_f32 v[4:5], v[4:5], v[0:1], v[8:9] op_sel:[0,0,1] op_sel_hi:[1,0,0]
	s_delay_alu instid0(VALU_DEP_1) | instskip(SKIP_1) | instid1(VALU_DEP_1)
	v_mov_b32_e32 v11, v5
	v_pk_mul_f32 v[4:5], v[6:7], v[2:3] op_sel:[0,1]
	v_pk_fma_f32 v[8:9], v[6:7], v[0:1], v[4:5] op_sel:[0,0,1] op_sel_hi:[1,1,0] neg_lo:[0,0,1] neg_hi:[0,0,1]
	v_pk_fma_f32 v[4:5], v[6:7], v[0:1], v[4:5] op_sel:[0,0,1] op_sel_hi:[1,0,0]
	s_delay_alu instid0(VALU_DEP_1)
	v_mov_b32_e32 v9, v5
	ds_load_2addr_b64 v[4:7], v134 offset0:36 offset1:37
	v_pk_add_f32 v[144:145], v[144:145], v[10:11] neg_lo:[0,1] neg_hi:[0,1]
	v_pk_add_f32 v[140:141], v[140:141], v[8:9] neg_lo:[0,1] neg_hi:[0,1]
	s_wait_dscnt 0x0
	v_pk_mul_f32 v[8:9], v[4:5], v[2:3] op_sel:[0,1]
	s_delay_alu instid0(VALU_DEP_1) | instskip(SKIP_1) | instid1(VALU_DEP_1)
	v_pk_fma_f32 v[10:11], v[4:5], v[0:1], v[8:9] op_sel:[0,0,1] op_sel_hi:[1,1,0] neg_lo:[0,0,1] neg_hi:[0,0,1]
	v_pk_fma_f32 v[4:5], v[4:5], v[0:1], v[8:9] op_sel:[0,0,1] op_sel_hi:[1,0,0]
	v_mov_b32_e32 v11, v5
	v_pk_mul_f32 v[4:5], v[6:7], v[2:3] op_sel:[0,1]
	s_delay_alu instid0(VALU_DEP_1) | instskip(SKIP_1) | instid1(VALU_DEP_1)
	v_pk_fma_f32 v[8:9], v[6:7], v[0:1], v[4:5] op_sel:[0,0,1] op_sel_hi:[1,1,0] neg_lo:[0,0,1] neg_hi:[0,0,1]
	v_pk_fma_f32 v[4:5], v[6:7], v[0:1], v[4:5] op_sel:[0,0,1] op_sel_hi:[1,0,0]
	v_mov_b32_e32 v9, v5
	ds_load_2addr_b64 v[4:7], v134 offset0:38 offset1:39
	v_pk_add_f32 v[162:163], v[162:163], v[10:11] neg_lo:[0,1] neg_hi:[0,1]
	v_pk_add_f32 v[158:159], v[158:159], v[8:9] neg_lo:[0,1] neg_hi:[0,1]
	s_wait_dscnt 0x0
	v_dual_mul_f32 v8, v5, v3 :: v_dual_mul_f32 v10, v5, v0
	s_delay_alu instid0(VALU_DEP_1) | instskip(NEXT) | instid1(VALU_DEP_2)
	v_pk_fma_f32 v[8:9], v[4:5], v[36:37], v[8:9] op_sel_hi:[1,1,0] neg_lo:[0,0,1] neg_hi:[0,0,1]
	v_pk_fma_f32 v[4:5], v[4:5], v[36:37], v[10:11] op_sel:[1,0,0] op_sel_hi:[0,1,0]
	s_delay_alu instid0(VALU_DEP_1) | instskip(SKIP_1) | instid1(VALU_DEP_2)
	v_mov_b32_e32 v9, v5
	v_pk_mul_f32 v[4:5], v[6:7], v[2:3] op_sel:[0,1]
	v_pk_add_f32 v[160:161], v[160:161], v[8:9] neg_lo:[0,1] neg_hi:[0,1]
	s_delay_alu instid0(VALU_DEP_2) | instskip(SKIP_1) | instid1(VALU_DEP_1)
	v_pk_fma_f32 v[8:9], v[6:7], v[0:1], v[4:5] op_sel:[0,0,1] op_sel_hi:[1,1,0] neg_lo:[0,0,1] neg_hi:[0,0,1]
	v_pk_fma_f32 v[4:5], v[6:7], v[0:1], v[4:5] op_sel:[0,0,1] op_sel_hi:[1,0,0]
	v_mov_b32_e32 v9, v5
	ds_load_2addr_b64 v[4:7], v134 offset0:40 offset1:41
	v_pk_add_f32 v[156:157], v[156:157], v[8:9] neg_lo:[0,1] neg_hi:[0,1]
	s_wait_dscnt 0x0
	v_pk_mul_f32 v[8:9], v[4:5], v[2:3] op_sel:[0,1]
	s_delay_alu instid0(VALU_DEP_1) | instskip(SKIP_1) | instid1(VALU_DEP_1)
	v_pk_fma_f32 v[10:11], v[4:5], v[0:1], v[8:9] op_sel:[0,0,1] op_sel_hi:[1,1,0] neg_lo:[0,0,1] neg_hi:[0,0,1]
	v_pk_fma_f32 v[4:5], v[4:5], v[0:1], v[8:9] op_sel:[0,0,1] op_sel_hi:[1,0,0]
	v_mov_b32_e32 v11, v5
	v_pk_mul_f32 v[4:5], v[6:7], v[2:3] op_sel:[0,1]
	s_delay_alu instid0(VALU_DEP_2) | instskip(NEXT) | instid1(VALU_DEP_2)
	v_pk_add_f32 v[184:185], v[184:185], v[10:11] neg_lo:[0,1] neg_hi:[0,1]
	v_pk_fma_f32 v[8:9], v[6:7], v[0:1], v[4:5] op_sel:[0,0,1] op_sel_hi:[1,1,0] neg_lo:[0,0,1] neg_hi:[0,0,1]
	v_pk_fma_f32 v[4:5], v[6:7], v[0:1], v[4:5] op_sel:[0,0,1] op_sel_hi:[1,0,0]
	s_delay_alu instid0(VALU_DEP_1) | instskip(SKIP_4) | instid1(VALU_DEP_1)
	v_mov_b32_e32 v9, v5
	ds_load_2addr_b64 v[4:7], v134 offset0:42 offset1:43
	v_pk_add_f32 v[180:181], v[180:181], v[8:9] neg_lo:[0,1] neg_hi:[0,1]
	s_wait_dscnt 0x0
	v_pk_mul_f32 v[8:9], v[4:5], v[2:3] op_sel:[0,1]
	v_pk_fma_f32 v[10:11], v[4:5], v[0:1], v[8:9] op_sel:[0,0,1] op_sel_hi:[1,1,0] neg_lo:[0,0,1] neg_hi:[0,0,1]
	v_pk_fma_f32 v[4:5], v[4:5], v[0:1], v[8:9] op_sel:[0,0,1] op_sel_hi:[1,0,0]
	v_dual_mul_f32 v8, v7, v3 :: v_dual_mov_b32 v4, v7
	s_delay_alu instid0(VALU_DEP_2) | instskip(NEXT) | instid1(VALU_DEP_2)
	v_dual_mov_b32 v11, v5 :: v_dual_mov_b32 v5, v6
	v_pk_fma_f32 v[8:9], v[6:7], v[36:37], v[8:9] op_sel_hi:[1,1,0] neg_lo:[0,0,1] neg_hi:[0,0,1]
	v_mul_f32_e32 v6, v7, v0
	s_delay_alu instid0(VALU_DEP_3) | instskip(NEXT) | instid1(VALU_DEP_2)
	v_pk_add_f32 v[182:183], v[182:183], v[10:11] neg_lo:[0,1] neg_hi:[0,1]
	v_pk_fma_f32 v[4:5], v[4:5], v[36:37], v[6:7] op_sel_hi:[1,1,0]
	s_delay_alu instid0(VALU_DEP_1) | instskip(SKIP_4) | instid1(VALU_DEP_1)
	v_mov_b32_e32 v9, v5
	ds_load_2addr_b64 v[4:7], v134 offset0:44 offset1:45
	v_pk_add_f32 v[178:179], v[178:179], v[8:9] neg_lo:[0,1] neg_hi:[0,1]
	s_wait_dscnt 0x0
	v_pk_mul_f32 v[8:9], v[4:5], v[2:3] op_sel:[0,1]
	v_pk_fma_f32 v[10:11], v[4:5], v[0:1], v[8:9] op_sel:[0,0,1] op_sel_hi:[1,1,0] neg_lo:[0,0,1] neg_hi:[0,0,1]
	v_pk_fma_f32 v[4:5], v[4:5], v[0:1], v[8:9] op_sel:[0,0,1] op_sel_hi:[1,0,0]
	s_delay_alu instid0(VALU_DEP_1) | instskip(SKIP_1) | instid1(VALU_DEP_1)
	v_mov_b32_e32 v11, v5
	v_pk_mul_f32 v[4:5], v[6:7], v[2:3] op_sel:[0,1]
	v_pk_fma_f32 v[8:9], v[6:7], v[0:1], v[4:5] op_sel:[0,0,1] op_sel_hi:[1,1,0] neg_lo:[0,0,1] neg_hi:[0,0,1]
	v_pk_fma_f32 v[4:5], v[6:7], v[0:1], v[4:5] op_sel:[0,0,1] op_sel_hi:[1,0,0]
	s_delay_alu instid0(VALU_DEP_1)
	v_mov_b32_e32 v9, v5
	ds_load_2addr_b64 v[4:7], v134 offset0:46 offset1:47
	v_pk_add_f32 v[208:209], v[208:209], v[10:11] neg_lo:[0,1] neg_hi:[0,1]
	v_pk_add_f32 v[200:201], v[200:201], v[8:9] neg_lo:[0,1] neg_hi:[0,1]
	s_wait_dscnt 0x0
	v_pk_mul_f32 v[8:9], v[4:5], v[2:3] op_sel:[0,1]
	s_delay_alu instid0(VALU_DEP_1) | instskip(SKIP_1) | instid1(VALU_DEP_1)
	v_pk_fma_f32 v[10:11], v[4:5], v[0:1], v[8:9] op_sel:[0,0,1] op_sel_hi:[1,1,0] neg_lo:[0,0,1] neg_hi:[0,0,1]
	v_pk_fma_f32 v[4:5], v[4:5], v[0:1], v[8:9] op_sel:[0,0,1] op_sel_hi:[1,0,0]
	v_mov_b32_e32 v11, v5
	v_pk_mul_f32 v[4:5], v[6:7], v[2:3] op_sel:[0,1]
	s_delay_alu instid0(VALU_DEP_1) | instskip(SKIP_1) | instid1(VALU_DEP_1)
	v_pk_fma_f32 v[8:9], v[6:7], v[0:1], v[4:5] op_sel:[0,0,1] op_sel_hi:[1,1,0] neg_lo:[0,0,1] neg_hi:[0,0,1]
	v_pk_fma_f32 v[4:5], v[6:7], v[0:1], v[4:5] op_sel:[0,0,1] op_sel_hi:[1,0,0]
	v_mov_b32_e32 v9, v5
	ds_load_2addr_b64 v[4:7], v134 offset0:48 offset1:49
	v_pk_add_f32 v[206:207], v[206:207], v[10:11] neg_lo:[0,1] neg_hi:[0,1]
	v_pk_add_f32 v[198:199], v[198:199], v[8:9] neg_lo:[0,1] neg_hi:[0,1]
	s_wait_dscnt 0x0
	v_dual_mul_f32 v8, v5, v3 :: v_dual_mul_f32 v10, v5, v0
	s_delay_alu instid0(VALU_DEP_1) | instskip(NEXT) | instid1(VALU_DEP_2)
	v_pk_fma_f32 v[8:9], v[4:5], v[36:37], v[8:9] op_sel_hi:[1,1,0] neg_lo:[0,0,1] neg_hi:[0,0,1]
	v_pk_fma_f32 v[4:5], v[4:5], v[36:37], v[10:11] op_sel:[1,0,0] op_sel_hi:[0,1,0]
	s_delay_alu instid0(VALU_DEP_1) | instskip(SKIP_1) | instid1(VALU_DEP_2)
	v_mov_b32_e32 v9, v5
	v_pk_mul_f32 v[4:5], v[6:7], v[2:3] op_sel:[0,1]
	v_pk_add_f32 v[204:205], v[204:205], v[8:9] neg_lo:[0,1] neg_hi:[0,1]
	s_delay_alu instid0(VALU_DEP_2) | instskip(SKIP_1) | instid1(VALU_DEP_1)
	v_pk_fma_f32 v[8:9], v[6:7], v[0:1], v[4:5] op_sel:[0,0,1] op_sel_hi:[1,1,0] neg_lo:[0,0,1] neg_hi:[0,0,1]
	v_pk_fma_f32 v[4:5], v[6:7], v[0:1], v[4:5] op_sel:[0,0,1] op_sel_hi:[1,0,0]
	v_mov_b32_e32 v9, v5
	ds_load_2addr_b64 v[4:7], v134 offset0:50 offset1:51
	v_pk_add_f32 v[196:197], v[196:197], v[8:9] neg_lo:[0,1] neg_hi:[0,1]
	s_wait_dscnt 0x0
	v_pk_mul_f32 v[8:9], v[4:5], v[2:3] op_sel:[0,1]
	s_delay_alu instid0(VALU_DEP_1) | instskip(SKIP_1) | instid1(VALU_DEP_1)
	v_pk_fma_f32 v[10:11], v[4:5], v[0:1], v[8:9] op_sel:[0,0,1] op_sel_hi:[1,1,0] neg_lo:[0,0,1] neg_hi:[0,0,1]
	v_pk_fma_f32 v[4:5], v[4:5], v[0:1], v[8:9] op_sel:[0,0,1] op_sel_hi:[1,0,0]
	v_mov_b32_e32 v11, v5
	v_pk_mul_f32 v[4:5], v[6:7], v[2:3] op_sel:[0,1]
	s_delay_alu instid0(VALU_DEP_2) | instskip(NEXT) | instid1(VALU_DEP_2)
	v_pk_add_f32 v[202:203], v[202:203], v[10:11] neg_lo:[0,1] neg_hi:[0,1]
	v_pk_fma_f32 v[8:9], v[6:7], v[0:1], v[4:5] op_sel:[0,0,1] op_sel_hi:[1,1,0] neg_lo:[0,0,1] neg_hi:[0,0,1]
	v_pk_fma_f32 v[4:5], v[6:7], v[0:1], v[4:5] op_sel:[0,0,1] op_sel_hi:[1,0,0]
	s_delay_alu instid0(VALU_DEP_1) | instskip(SKIP_4) | instid1(VALU_DEP_1)
	v_mov_b32_e32 v9, v5
	ds_load_b64 v[4:5], v134 offset:416
	v_pk_add_f32 v[210:211], v[210:211], v[8:9] neg_lo:[0,1] neg_hi:[0,1]
	s_wait_dscnt 0x0
	v_pk_mul_f32 v[2:3], v[4:5], v[2:3] op_sel:[0,1]
	v_pk_fma_f32 v[6:7], v[4:5], v[0:1], v[2:3] op_sel:[0,0,1] op_sel_hi:[1,1,0] neg_lo:[0,0,1] neg_hi:[0,0,1]
	v_pk_fma_f32 v[0:1], v[4:5], v[0:1], v[2:3] op_sel:[0,0,1] op_sel_hi:[1,0,0]
	s_delay_alu instid0(VALU_DEP_1) | instskip(NEXT) | instid1(VALU_DEP_1)
	v_mov_b32_e32 v7, v1
	v_pk_add_f32 v[212:213], v[212:213], v[6:7] neg_lo:[0,1] neg_hi:[0,1]
.LBB105_91:
	s_wait_xcnt 0x0
	s_or_b32 exec_lo, exec_lo, s1
	s_delay_alu instid0(SALU_CYCLE_1)
	s_mov_b32 s2, exec_lo
	s_wait_storecnt 0x0
	s_barrier_signal -1
	s_barrier_wait -1
	v_cmpx_eq_u32_e32 10, v132
	s_cbranch_execz .LBB105_98
; %bb.92:
	ds_store_b64 v133, v[38:39]
	ds_store_2addr_b64 v134, v[34:35], v[64:65] offset0:11 offset1:12
	ds_store_2addr_b64 v134, v[60:61], v[62:63] offset0:13 offset1:14
	ds_store_2addr_b64 v134, v[58:59], v[80:81] offset0:15 offset1:16
	ds_store_2addr_b64 v134, v[76:77], v[78:79] offset0:17 offset1:18
	ds_store_2addr_b64 v134, v[74:75], v[96:97] offset0:19 offset1:20
	ds_store_2addr_b64 v134, v[92:93], v[94:95] offset0:21 offset1:22
	ds_store_2addr_b64 v134, v[90:91], v[112:113] offset0:23 offset1:24
	ds_store_2addr_b64 v134, v[108:109], v[110:111] offset0:25 offset1:26
	ds_store_2addr_b64 v134, v[106:107], v[130:131] offset0:27 offset1:28
	ds_store_2addr_b64 v134, v[126:127], v[128:129] offset0:29 offset1:30
	ds_store_2addr_b64 v134, v[124:125], v[146:147] offset0:31 offset1:32
	ds_store_2addr_b64 v134, v[142:143], v[144:145] offset0:33 offset1:34
	ds_store_2addr_b64 v134, v[140:141], v[162:163] offset0:35 offset1:36
	ds_store_2addr_b64 v134, v[158:159], v[160:161] offset0:37 offset1:38
	ds_store_2addr_b64 v134, v[156:157], v[184:185] offset0:39 offset1:40
	ds_store_2addr_b64 v134, v[180:181], v[182:183] offset0:41 offset1:42
	ds_store_2addr_b64 v134, v[178:179], v[208:209] offset0:43 offset1:44
	ds_store_2addr_b64 v134, v[200:201], v[206:207] offset0:45 offset1:46
	ds_store_2addr_b64 v134, v[198:199], v[204:205] offset0:47 offset1:48
	ds_store_2addr_b64 v134, v[196:197], v[202:203] offset0:49 offset1:50
	ds_store_2addr_b64 v134, v[210:211], v[212:213] offset0:51 offset1:52
	ds_load_b64 v[0:1], v133
	s_wait_dscnt 0x0
	v_cmp_neq_f32_e32 vcc_lo, 0, v0
	v_cmp_neq_f32_e64 s1, 0, v1
	s_or_b32 s1, vcc_lo, s1
	s_delay_alu instid0(SALU_CYCLE_1)
	s_and_b32 exec_lo, exec_lo, s1
	s_cbranch_execz .LBB105_98
; %bb.93:
	v_cmp_ngt_f32_e64 s1, |v0|, |v1|
                                        ; implicit-def: $vgpr2_vgpr3
	s_and_saveexec_b32 s4, s1
	s_delay_alu instid0(SALU_CYCLE_1)
	s_xor_b32 s1, exec_lo, s4
	s_cbranch_execz .LBB105_95
; %bb.94:
	v_div_scale_f32 v2, null, v1, v1, v0
	v_div_scale_f32 v5, vcc_lo, v0, v1, v0
	s_delay_alu instid0(VALU_DEP_2) | instskip(SKIP_1) | instid1(TRANS32_DEP_1)
	v_rcp_f32_e32 v3, v2
	v_nop
	v_fma_f32 v4, -v2, v3, 1.0
	s_delay_alu instid0(VALU_DEP_1) | instskip(NEXT) | instid1(VALU_DEP_1)
	v_fmac_f32_e32 v3, v4, v3
	v_mul_f32_e32 v4, v5, v3
	s_delay_alu instid0(VALU_DEP_1) | instskip(NEXT) | instid1(VALU_DEP_1)
	v_fma_f32 v6, -v2, v4, v5
	v_fmac_f32_e32 v4, v6, v3
	s_delay_alu instid0(VALU_DEP_1) | instskip(NEXT) | instid1(VALU_DEP_1)
	v_fma_f32 v2, -v2, v4, v5
	v_div_fmas_f32 v2, v2, v3, v4
	s_delay_alu instid0(VALU_DEP_1) | instskip(NEXT) | instid1(VALU_DEP_1)
	v_div_fixup_f32 v2, v2, v1, v0
	v_fmac_f32_e32 v1, v0, v2
	s_delay_alu instid0(VALU_DEP_1) | instskip(SKIP_1) | instid1(VALU_DEP_2)
	v_div_scale_f32 v0, null, v1, v1, 1.0
	v_div_scale_f32 v5, vcc_lo, 1.0, v1, 1.0
	v_rcp_f32_e32 v3, v0
	v_nop
	s_delay_alu instid0(TRANS32_DEP_1) | instskip(NEXT) | instid1(VALU_DEP_1)
	v_fma_f32 v4, -v0, v3, 1.0
	v_fmac_f32_e32 v3, v4, v3
	s_delay_alu instid0(VALU_DEP_1) | instskip(NEXT) | instid1(VALU_DEP_1)
	v_mul_f32_e32 v4, v5, v3
	v_fma_f32 v6, -v0, v4, v5
	s_delay_alu instid0(VALU_DEP_1) | instskip(NEXT) | instid1(VALU_DEP_1)
	v_fmac_f32_e32 v4, v6, v3
	v_fma_f32 v0, -v0, v4, v5
	s_delay_alu instid0(VALU_DEP_1) | instskip(NEXT) | instid1(VALU_DEP_1)
	v_div_fmas_f32 v0, v0, v3, v4
	v_div_fixup_f32 v0, v0, v1, 1.0
	s_delay_alu instid0(VALU_DEP_1)
	v_mul_f32_e32 v2, v2, v0
	v_xor_b32_e32 v3, 0x80000000, v0
                                        ; implicit-def: $vgpr0_vgpr1
.LBB105_95:
	s_and_not1_saveexec_b32 s1, s1
	s_cbranch_execz .LBB105_97
; %bb.96:
	v_div_scale_f32 v2, null, v0, v0, v1
	v_div_scale_f32 v5, vcc_lo, v1, v0, v1
	s_delay_alu instid0(VALU_DEP_2) | instskip(SKIP_1) | instid1(TRANS32_DEP_1)
	v_rcp_f32_e32 v3, v2
	v_nop
	v_fma_f32 v4, -v2, v3, 1.0
	s_delay_alu instid0(VALU_DEP_1) | instskip(NEXT) | instid1(VALU_DEP_1)
	v_fmac_f32_e32 v3, v4, v3
	v_mul_f32_e32 v4, v5, v3
	s_delay_alu instid0(VALU_DEP_1) | instskip(NEXT) | instid1(VALU_DEP_1)
	v_fma_f32 v6, -v2, v4, v5
	v_fmac_f32_e32 v4, v6, v3
	s_delay_alu instid0(VALU_DEP_1) | instskip(NEXT) | instid1(VALU_DEP_1)
	v_fma_f32 v2, -v2, v4, v5
	v_div_fmas_f32 v2, v2, v3, v4
	s_delay_alu instid0(VALU_DEP_1) | instskip(NEXT) | instid1(VALU_DEP_1)
	v_div_fixup_f32 v3, v2, v0, v1
	v_fmac_f32_e32 v0, v1, v3
	s_delay_alu instid0(VALU_DEP_1) | instskip(NEXT) | instid1(VALU_DEP_1)
	v_div_scale_f32 v1, null, v0, v0, 1.0
	v_rcp_f32_e32 v2, v1
	v_nop
	s_delay_alu instid0(TRANS32_DEP_1) | instskip(NEXT) | instid1(VALU_DEP_1)
	v_fma_f32 v4, -v1, v2, 1.0
	v_fmac_f32_e32 v2, v4, v2
	v_div_scale_f32 v4, vcc_lo, 1.0, v0, 1.0
	s_delay_alu instid0(VALU_DEP_1) | instskip(NEXT) | instid1(VALU_DEP_1)
	v_mul_f32_e32 v5, v4, v2
	v_fma_f32 v6, -v1, v5, v4
	s_delay_alu instid0(VALU_DEP_1) | instskip(NEXT) | instid1(VALU_DEP_1)
	v_fmac_f32_e32 v5, v6, v2
	v_fma_f32 v1, -v1, v5, v4
	s_delay_alu instid0(VALU_DEP_1) | instskip(NEXT) | instid1(VALU_DEP_1)
	v_div_fmas_f32 v1, v1, v2, v5
	v_div_fixup_f32 v2, v1, v0, 1.0
	s_delay_alu instid0(VALU_DEP_1)
	v_mul_f32_e64 v3, v3, -v2
.LBB105_97:
	s_or_b32 exec_lo, exec_lo, s1
	ds_store_b64 v133, v[2:3]
.LBB105_98:
	s_or_b32 exec_lo, exec_lo, s2
	s_wait_dscnt 0x0
	s_barrier_signal -1
	s_barrier_wait -1
	ds_load_b64 v[0:1], v133
	s_mov_b32 s1, exec_lo
	s_wait_dscnt 0x0
	scratch_store_b64 off, v[0:1], off offset:208 ; 8-byte Folded Spill
	s_wait_xcnt 0x0
	v_cmpx_lt_u32_e32 10, v132
	s_cbranch_execz .LBB105_100
; %bb.99:
	scratch_load_b64 v[4:5], off, off offset:208 ; 8-byte Folded Reload
	s_wait_loadcnt 0x0
	v_pk_mul_f32 v[2:3], v[4:5], v[38:39] op_sel:[1,1] op_sel_hi:[0,1]
	s_delay_alu instid0(VALU_DEP_1)
	v_pk_fma_f32 v[0:1], v[4:5], v[38:39], v[2:3] op_sel_hi:[1,0,1] neg_lo:[0,0,1] neg_hi:[0,0,1]
	v_pk_fma_f32 v[2:3], v[4:5], v[38:39], v[2:3] op_sel_hi:[1,0,1]
	ds_load_2addr_b64 v[4:7], v134 offset0:11 offset1:12
	v_dual_mov_b32 v38, v0 :: v_dual_mov_b32 v39, v3
	s_wait_dscnt 0x0
	v_pk_mul_f32 v[8:9], v[4:5], v[2:3] op_sel:[0,1]
	s_delay_alu instid0(VALU_DEP_1) | instskip(SKIP_1) | instid1(VALU_DEP_1)
	v_pk_fma_f32 v[10:11], v[4:5], v[0:1], v[8:9] op_sel:[0,0,1] op_sel_hi:[1,1,0] neg_lo:[0,0,1] neg_hi:[0,0,1]
	v_pk_fma_f32 v[4:5], v[4:5], v[0:1], v[8:9] op_sel:[0,0,1] op_sel_hi:[1,0,0]
	v_mov_b32_e32 v11, v5
	v_pk_mul_f32 v[4:5], v[6:7], v[2:3] op_sel:[0,1]
	s_delay_alu instid0(VALU_DEP_1) | instskip(SKIP_1) | instid1(VALU_DEP_1)
	v_pk_fma_f32 v[8:9], v[6:7], v[0:1], v[4:5] op_sel:[0,0,1] op_sel_hi:[1,1,0] neg_lo:[0,0,1] neg_hi:[0,0,1]
	v_pk_fma_f32 v[4:5], v[6:7], v[0:1], v[4:5] op_sel:[0,0,1] op_sel_hi:[1,0,0]
	v_mov_b32_e32 v9, v5
	ds_load_2addr_b64 v[4:7], v134 offset0:13 offset1:14
	v_pk_add_f32 v[34:35], v[34:35], v[10:11] neg_lo:[0,1] neg_hi:[0,1]
	v_pk_add_f32 v[64:65], v[64:65], v[8:9] neg_lo:[0,1] neg_hi:[0,1]
	s_wait_dscnt 0x0
	v_pk_mul_f32 v[8:9], v[4:5], v[2:3] op_sel:[0,1]
	s_delay_alu instid0(VALU_DEP_1) | instskip(SKIP_2) | instid1(VALU_DEP_2)
	v_pk_fma_f32 v[10:11], v[4:5], v[0:1], v[8:9] op_sel:[0,0,1] op_sel_hi:[1,1,0] neg_lo:[0,0,1] neg_hi:[0,0,1]
	v_pk_fma_f32 v[4:5], v[4:5], v[0:1], v[8:9] op_sel:[0,0,1] op_sel_hi:[1,0,0]
	v_dual_mul_f32 v8, v7, v3 :: v_dual_mov_b32 v4, v7
	v_dual_mov_b32 v11, v5 :: v_dual_mov_b32 v5, v6
	s_delay_alu instid0(VALU_DEP_2) | instskip(SKIP_1) | instid1(VALU_DEP_3)
	v_pk_fma_f32 v[8:9], v[6:7], v[38:39], v[8:9] op_sel_hi:[1,1,0] neg_lo:[0,0,1] neg_hi:[0,0,1]
	v_mul_f32_e32 v6, v7, v0
	v_pk_add_f32 v[60:61], v[60:61], v[10:11] neg_lo:[0,1] neg_hi:[0,1]
	s_delay_alu instid0(VALU_DEP_2) | instskip(NEXT) | instid1(VALU_DEP_1)
	v_pk_fma_f32 v[4:5], v[4:5], v[38:39], v[6:7] op_sel_hi:[1,1,0]
	v_mov_b32_e32 v9, v5
	ds_load_2addr_b64 v[4:7], v134 offset0:15 offset1:16
	v_pk_add_f32 v[62:63], v[62:63], v[8:9] neg_lo:[0,1] neg_hi:[0,1]
	s_wait_dscnt 0x0
	v_pk_mul_f32 v[8:9], v[4:5], v[2:3] op_sel:[0,1]
	s_delay_alu instid0(VALU_DEP_1) | instskip(SKIP_1) | instid1(VALU_DEP_1)
	v_pk_fma_f32 v[10:11], v[4:5], v[0:1], v[8:9] op_sel:[0,0,1] op_sel_hi:[1,1,0] neg_lo:[0,0,1] neg_hi:[0,0,1]
	v_pk_fma_f32 v[4:5], v[4:5], v[0:1], v[8:9] op_sel:[0,0,1] op_sel_hi:[1,0,0]
	v_mov_b32_e32 v11, v5
	v_pk_mul_f32 v[4:5], v[6:7], v[2:3] op_sel:[0,1]
	s_delay_alu instid0(VALU_DEP_1) | instskip(SKIP_1) | instid1(VALU_DEP_1)
	v_pk_fma_f32 v[8:9], v[6:7], v[0:1], v[4:5] op_sel:[0,0,1] op_sel_hi:[1,1,0] neg_lo:[0,0,1] neg_hi:[0,0,1]
	v_pk_fma_f32 v[4:5], v[6:7], v[0:1], v[4:5] op_sel:[0,0,1] op_sel_hi:[1,0,0]
	v_mov_b32_e32 v9, v5
	ds_load_2addr_b64 v[4:7], v134 offset0:17 offset1:18
	v_pk_add_f32 v[58:59], v[58:59], v[10:11] neg_lo:[0,1] neg_hi:[0,1]
	v_pk_add_f32 v[80:81], v[80:81], v[8:9] neg_lo:[0,1] neg_hi:[0,1]
	s_wait_dscnt 0x0
	v_pk_mul_f32 v[8:9], v[4:5], v[2:3] op_sel:[0,1]
	s_delay_alu instid0(VALU_DEP_1) | instskip(SKIP_1) | instid1(VALU_DEP_1)
	v_pk_fma_f32 v[10:11], v[4:5], v[0:1], v[8:9] op_sel:[0,0,1] op_sel_hi:[1,1,0] neg_lo:[0,0,1] neg_hi:[0,0,1]
	v_pk_fma_f32 v[4:5], v[4:5], v[0:1], v[8:9] op_sel:[0,0,1] op_sel_hi:[1,0,0]
	v_mov_b32_e32 v11, v5
	v_pk_mul_f32 v[4:5], v[6:7], v[2:3] op_sel:[0,1]
	s_delay_alu instid0(VALU_DEP_1) | instskip(SKIP_1) | instid1(VALU_DEP_1)
	v_pk_fma_f32 v[8:9], v[6:7], v[0:1], v[4:5] op_sel:[0,0,1] op_sel_hi:[1,1,0] neg_lo:[0,0,1] neg_hi:[0,0,1]
	v_pk_fma_f32 v[4:5], v[6:7], v[0:1], v[4:5] op_sel:[0,0,1] op_sel_hi:[1,0,0]
	v_mov_b32_e32 v9, v5
	ds_load_2addr_b64 v[4:7], v134 offset0:19 offset1:20
	v_pk_add_f32 v[76:77], v[76:77], v[10:11] neg_lo:[0,1] neg_hi:[0,1]
	v_pk_add_f32 v[78:79], v[78:79], v[8:9] neg_lo:[0,1] neg_hi:[0,1]
	s_wait_dscnt 0x0
	v_dual_mul_f32 v8, v5, v3 :: v_dual_mul_f32 v10, v5, v0
	s_delay_alu instid0(VALU_DEP_1) | instskip(NEXT) | instid1(VALU_DEP_2)
	v_pk_fma_f32 v[8:9], v[4:5], v[38:39], v[8:9] op_sel_hi:[1,1,0] neg_lo:[0,0,1] neg_hi:[0,0,1]
	v_pk_fma_f32 v[4:5], v[4:5], v[38:39], v[10:11] op_sel:[1,0,0] op_sel_hi:[0,1,0]
	s_delay_alu instid0(VALU_DEP_1) | instskip(SKIP_1) | instid1(VALU_DEP_2)
	v_mov_b32_e32 v9, v5
	v_pk_mul_f32 v[4:5], v[6:7], v[2:3] op_sel:[0,1]
	v_pk_add_f32 v[74:75], v[74:75], v[8:9] neg_lo:[0,1] neg_hi:[0,1]
	s_delay_alu instid0(VALU_DEP_2) | instskip(SKIP_1) | instid1(VALU_DEP_1)
	v_pk_fma_f32 v[8:9], v[6:7], v[0:1], v[4:5] op_sel:[0,0,1] op_sel_hi:[1,1,0] neg_lo:[0,0,1] neg_hi:[0,0,1]
	v_pk_fma_f32 v[4:5], v[6:7], v[0:1], v[4:5] op_sel:[0,0,1] op_sel_hi:[1,0,0]
	v_mov_b32_e32 v9, v5
	ds_load_2addr_b64 v[4:7], v134 offset0:21 offset1:22
	v_pk_add_f32 v[96:97], v[96:97], v[8:9] neg_lo:[0,1] neg_hi:[0,1]
	s_wait_dscnt 0x0
	v_pk_mul_f32 v[8:9], v[4:5], v[2:3] op_sel:[0,1]
	s_delay_alu instid0(VALU_DEP_1) | instskip(SKIP_1) | instid1(VALU_DEP_1)
	v_pk_fma_f32 v[10:11], v[4:5], v[0:1], v[8:9] op_sel:[0,0,1] op_sel_hi:[1,1,0] neg_lo:[0,0,1] neg_hi:[0,0,1]
	v_pk_fma_f32 v[4:5], v[4:5], v[0:1], v[8:9] op_sel:[0,0,1] op_sel_hi:[1,0,0]
	v_mov_b32_e32 v11, v5
	v_pk_mul_f32 v[4:5], v[6:7], v[2:3] op_sel:[0,1]
	s_delay_alu instid0(VALU_DEP_2) | instskip(NEXT) | instid1(VALU_DEP_2)
	v_pk_add_f32 v[92:93], v[92:93], v[10:11] neg_lo:[0,1] neg_hi:[0,1]
	v_pk_fma_f32 v[8:9], v[6:7], v[0:1], v[4:5] op_sel:[0,0,1] op_sel_hi:[1,1,0] neg_lo:[0,0,1] neg_hi:[0,0,1]
	v_pk_fma_f32 v[4:5], v[6:7], v[0:1], v[4:5] op_sel:[0,0,1] op_sel_hi:[1,0,0]
	s_delay_alu instid0(VALU_DEP_1) | instskip(SKIP_4) | instid1(VALU_DEP_1)
	v_mov_b32_e32 v9, v5
	ds_load_2addr_b64 v[4:7], v134 offset0:23 offset1:24
	v_pk_add_f32 v[94:95], v[94:95], v[8:9] neg_lo:[0,1] neg_hi:[0,1]
	s_wait_dscnt 0x0
	v_pk_mul_f32 v[8:9], v[4:5], v[2:3] op_sel:[0,1]
	v_pk_fma_f32 v[10:11], v[4:5], v[0:1], v[8:9] op_sel:[0,0,1] op_sel_hi:[1,1,0] neg_lo:[0,0,1] neg_hi:[0,0,1]
	v_pk_fma_f32 v[4:5], v[4:5], v[0:1], v[8:9] op_sel:[0,0,1] op_sel_hi:[1,0,0]
	v_dual_mul_f32 v8, v7, v3 :: v_dual_mov_b32 v4, v7
	s_delay_alu instid0(VALU_DEP_2) | instskip(NEXT) | instid1(VALU_DEP_2)
	v_dual_mov_b32 v11, v5 :: v_dual_mov_b32 v5, v6
	v_pk_fma_f32 v[8:9], v[6:7], v[38:39], v[8:9] op_sel_hi:[1,1,0] neg_lo:[0,0,1] neg_hi:[0,0,1]
	v_mul_f32_e32 v6, v7, v0
	s_delay_alu instid0(VALU_DEP_3) | instskip(NEXT) | instid1(VALU_DEP_2)
	v_pk_add_f32 v[90:91], v[90:91], v[10:11] neg_lo:[0,1] neg_hi:[0,1]
	v_pk_fma_f32 v[4:5], v[4:5], v[38:39], v[6:7] op_sel_hi:[1,1,0]
	s_delay_alu instid0(VALU_DEP_1) | instskip(SKIP_4) | instid1(VALU_DEP_1)
	v_mov_b32_e32 v9, v5
	ds_load_2addr_b64 v[4:7], v134 offset0:25 offset1:26
	v_pk_add_f32 v[112:113], v[112:113], v[8:9] neg_lo:[0,1] neg_hi:[0,1]
	s_wait_dscnt 0x0
	v_pk_mul_f32 v[8:9], v[4:5], v[2:3] op_sel:[0,1]
	v_pk_fma_f32 v[10:11], v[4:5], v[0:1], v[8:9] op_sel:[0,0,1] op_sel_hi:[1,1,0] neg_lo:[0,0,1] neg_hi:[0,0,1]
	v_pk_fma_f32 v[4:5], v[4:5], v[0:1], v[8:9] op_sel:[0,0,1] op_sel_hi:[1,0,0]
	s_delay_alu instid0(VALU_DEP_1) | instskip(SKIP_1) | instid1(VALU_DEP_1)
	v_mov_b32_e32 v11, v5
	v_pk_mul_f32 v[4:5], v[6:7], v[2:3] op_sel:[0,1]
	v_pk_fma_f32 v[8:9], v[6:7], v[0:1], v[4:5] op_sel:[0,0,1] op_sel_hi:[1,1,0] neg_lo:[0,0,1] neg_hi:[0,0,1]
	v_pk_fma_f32 v[4:5], v[6:7], v[0:1], v[4:5] op_sel:[0,0,1] op_sel_hi:[1,0,0]
	s_delay_alu instid0(VALU_DEP_1)
	v_mov_b32_e32 v9, v5
	ds_load_2addr_b64 v[4:7], v134 offset0:27 offset1:28
	v_pk_add_f32 v[108:109], v[108:109], v[10:11] neg_lo:[0,1] neg_hi:[0,1]
	v_pk_add_f32 v[110:111], v[110:111], v[8:9] neg_lo:[0,1] neg_hi:[0,1]
	s_wait_dscnt 0x0
	v_pk_mul_f32 v[8:9], v[4:5], v[2:3] op_sel:[0,1]
	s_delay_alu instid0(VALU_DEP_1) | instskip(SKIP_1) | instid1(VALU_DEP_1)
	v_pk_fma_f32 v[10:11], v[4:5], v[0:1], v[8:9] op_sel:[0,0,1] op_sel_hi:[1,1,0] neg_lo:[0,0,1] neg_hi:[0,0,1]
	v_pk_fma_f32 v[4:5], v[4:5], v[0:1], v[8:9] op_sel:[0,0,1] op_sel_hi:[1,0,0]
	v_mov_b32_e32 v11, v5
	v_pk_mul_f32 v[4:5], v[6:7], v[2:3] op_sel:[0,1]
	s_delay_alu instid0(VALU_DEP_1) | instskip(SKIP_1) | instid1(VALU_DEP_1)
	v_pk_fma_f32 v[8:9], v[6:7], v[0:1], v[4:5] op_sel:[0,0,1] op_sel_hi:[1,1,0] neg_lo:[0,0,1] neg_hi:[0,0,1]
	v_pk_fma_f32 v[4:5], v[6:7], v[0:1], v[4:5] op_sel:[0,0,1] op_sel_hi:[1,0,0]
	v_mov_b32_e32 v9, v5
	ds_load_2addr_b64 v[4:7], v134 offset0:29 offset1:30
	v_pk_add_f32 v[106:107], v[106:107], v[10:11] neg_lo:[0,1] neg_hi:[0,1]
	v_pk_add_f32 v[130:131], v[130:131], v[8:9] neg_lo:[0,1] neg_hi:[0,1]
	s_wait_dscnt 0x0
	v_dual_mul_f32 v8, v5, v3 :: v_dual_mul_f32 v10, v5, v0
	s_delay_alu instid0(VALU_DEP_1) | instskip(NEXT) | instid1(VALU_DEP_2)
	v_pk_fma_f32 v[8:9], v[4:5], v[38:39], v[8:9] op_sel_hi:[1,1,0] neg_lo:[0,0,1] neg_hi:[0,0,1]
	v_pk_fma_f32 v[4:5], v[4:5], v[38:39], v[10:11] op_sel:[1,0,0] op_sel_hi:[0,1,0]
	s_delay_alu instid0(VALU_DEP_1) | instskip(SKIP_1) | instid1(VALU_DEP_2)
	v_mov_b32_e32 v9, v5
	v_pk_mul_f32 v[4:5], v[6:7], v[2:3] op_sel:[0,1]
	v_pk_add_f32 v[126:127], v[126:127], v[8:9] neg_lo:[0,1] neg_hi:[0,1]
	s_delay_alu instid0(VALU_DEP_2) | instskip(SKIP_1) | instid1(VALU_DEP_1)
	v_pk_fma_f32 v[8:9], v[6:7], v[0:1], v[4:5] op_sel:[0,0,1] op_sel_hi:[1,1,0] neg_lo:[0,0,1] neg_hi:[0,0,1]
	v_pk_fma_f32 v[4:5], v[6:7], v[0:1], v[4:5] op_sel:[0,0,1] op_sel_hi:[1,0,0]
	v_mov_b32_e32 v9, v5
	ds_load_2addr_b64 v[4:7], v134 offset0:31 offset1:32
	v_pk_add_f32 v[128:129], v[128:129], v[8:9] neg_lo:[0,1] neg_hi:[0,1]
	s_wait_dscnt 0x0
	v_pk_mul_f32 v[8:9], v[4:5], v[2:3] op_sel:[0,1]
	s_delay_alu instid0(VALU_DEP_1) | instskip(SKIP_1) | instid1(VALU_DEP_1)
	v_pk_fma_f32 v[10:11], v[4:5], v[0:1], v[8:9] op_sel:[0,0,1] op_sel_hi:[1,1,0] neg_lo:[0,0,1] neg_hi:[0,0,1]
	v_pk_fma_f32 v[4:5], v[4:5], v[0:1], v[8:9] op_sel:[0,0,1] op_sel_hi:[1,0,0]
	v_mov_b32_e32 v11, v5
	v_pk_mul_f32 v[4:5], v[6:7], v[2:3] op_sel:[0,1]
	s_delay_alu instid0(VALU_DEP_2) | instskip(NEXT) | instid1(VALU_DEP_2)
	v_pk_add_f32 v[124:125], v[124:125], v[10:11] neg_lo:[0,1] neg_hi:[0,1]
	v_pk_fma_f32 v[8:9], v[6:7], v[0:1], v[4:5] op_sel:[0,0,1] op_sel_hi:[1,1,0] neg_lo:[0,0,1] neg_hi:[0,0,1]
	v_pk_fma_f32 v[4:5], v[6:7], v[0:1], v[4:5] op_sel:[0,0,1] op_sel_hi:[1,0,0]
	s_delay_alu instid0(VALU_DEP_1) | instskip(SKIP_4) | instid1(VALU_DEP_1)
	v_mov_b32_e32 v9, v5
	ds_load_2addr_b64 v[4:7], v134 offset0:33 offset1:34
	v_pk_add_f32 v[146:147], v[146:147], v[8:9] neg_lo:[0,1] neg_hi:[0,1]
	s_wait_dscnt 0x0
	v_pk_mul_f32 v[8:9], v[4:5], v[2:3] op_sel:[0,1]
	v_pk_fma_f32 v[10:11], v[4:5], v[0:1], v[8:9] op_sel:[0,0,1] op_sel_hi:[1,1,0] neg_lo:[0,0,1] neg_hi:[0,0,1]
	v_pk_fma_f32 v[4:5], v[4:5], v[0:1], v[8:9] op_sel:[0,0,1] op_sel_hi:[1,0,0]
	v_dual_mul_f32 v8, v7, v3 :: v_dual_mov_b32 v4, v7
	s_delay_alu instid0(VALU_DEP_2) | instskip(NEXT) | instid1(VALU_DEP_2)
	v_dual_mov_b32 v11, v5 :: v_dual_mov_b32 v5, v6
	v_pk_fma_f32 v[8:9], v[6:7], v[38:39], v[8:9] op_sel_hi:[1,1,0] neg_lo:[0,0,1] neg_hi:[0,0,1]
	v_mul_f32_e32 v6, v7, v0
	s_delay_alu instid0(VALU_DEP_3) | instskip(NEXT) | instid1(VALU_DEP_2)
	v_pk_add_f32 v[142:143], v[142:143], v[10:11] neg_lo:[0,1] neg_hi:[0,1]
	v_pk_fma_f32 v[4:5], v[4:5], v[38:39], v[6:7] op_sel_hi:[1,1,0]
	s_delay_alu instid0(VALU_DEP_1) | instskip(SKIP_4) | instid1(VALU_DEP_1)
	v_mov_b32_e32 v9, v5
	ds_load_2addr_b64 v[4:7], v134 offset0:35 offset1:36
	v_pk_add_f32 v[144:145], v[144:145], v[8:9] neg_lo:[0,1] neg_hi:[0,1]
	s_wait_dscnt 0x0
	v_pk_mul_f32 v[8:9], v[4:5], v[2:3] op_sel:[0,1]
	v_pk_fma_f32 v[10:11], v[4:5], v[0:1], v[8:9] op_sel:[0,0,1] op_sel_hi:[1,1,0] neg_lo:[0,0,1] neg_hi:[0,0,1]
	v_pk_fma_f32 v[4:5], v[4:5], v[0:1], v[8:9] op_sel:[0,0,1] op_sel_hi:[1,0,0]
	s_delay_alu instid0(VALU_DEP_1) | instskip(SKIP_1) | instid1(VALU_DEP_1)
	v_mov_b32_e32 v11, v5
	v_pk_mul_f32 v[4:5], v[6:7], v[2:3] op_sel:[0,1]
	v_pk_fma_f32 v[8:9], v[6:7], v[0:1], v[4:5] op_sel:[0,0,1] op_sel_hi:[1,1,0] neg_lo:[0,0,1] neg_hi:[0,0,1]
	v_pk_fma_f32 v[4:5], v[6:7], v[0:1], v[4:5] op_sel:[0,0,1] op_sel_hi:[1,0,0]
	s_delay_alu instid0(VALU_DEP_1)
	v_mov_b32_e32 v9, v5
	ds_load_2addr_b64 v[4:7], v134 offset0:37 offset1:38
	v_pk_add_f32 v[140:141], v[140:141], v[10:11] neg_lo:[0,1] neg_hi:[0,1]
	v_pk_add_f32 v[162:163], v[162:163], v[8:9] neg_lo:[0,1] neg_hi:[0,1]
	s_wait_dscnt 0x0
	v_pk_mul_f32 v[8:9], v[4:5], v[2:3] op_sel:[0,1]
	s_delay_alu instid0(VALU_DEP_1) | instskip(SKIP_1) | instid1(VALU_DEP_1)
	v_pk_fma_f32 v[10:11], v[4:5], v[0:1], v[8:9] op_sel:[0,0,1] op_sel_hi:[1,1,0] neg_lo:[0,0,1] neg_hi:[0,0,1]
	v_pk_fma_f32 v[4:5], v[4:5], v[0:1], v[8:9] op_sel:[0,0,1] op_sel_hi:[1,0,0]
	v_mov_b32_e32 v11, v5
	v_pk_mul_f32 v[4:5], v[6:7], v[2:3] op_sel:[0,1]
	s_delay_alu instid0(VALU_DEP_1) | instskip(SKIP_1) | instid1(VALU_DEP_1)
	v_pk_fma_f32 v[8:9], v[6:7], v[0:1], v[4:5] op_sel:[0,0,1] op_sel_hi:[1,1,0] neg_lo:[0,0,1] neg_hi:[0,0,1]
	v_pk_fma_f32 v[4:5], v[6:7], v[0:1], v[4:5] op_sel:[0,0,1] op_sel_hi:[1,0,0]
	v_mov_b32_e32 v9, v5
	ds_load_2addr_b64 v[4:7], v134 offset0:39 offset1:40
	v_pk_add_f32 v[158:159], v[158:159], v[10:11] neg_lo:[0,1] neg_hi:[0,1]
	v_pk_add_f32 v[160:161], v[160:161], v[8:9] neg_lo:[0,1] neg_hi:[0,1]
	s_wait_dscnt 0x0
	v_dual_mul_f32 v8, v5, v3 :: v_dual_mul_f32 v10, v5, v0
	s_delay_alu instid0(VALU_DEP_1) | instskip(NEXT) | instid1(VALU_DEP_2)
	v_pk_fma_f32 v[8:9], v[4:5], v[38:39], v[8:9] op_sel_hi:[1,1,0] neg_lo:[0,0,1] neg_hi:[0,0,1]
	v_pk_fma_f32 v[4:5], v[4:5], v[38:39], v[10:11] op_sel:[1,0,0] op_sel_hi:[0,1,0]
	s_delay_alu instid0(VALU_DEP_1) | instskip(SKIP_1) | instid1(VALU_DEP_2)
	v_mov_b32_e32 v9, v5
	v_pk_mul_f32 v[4:5], v[6:7], v[2:3] op_sel:[0,1]
	v_pk_add_f32 v[156:157], v[156:157], v[8:9] neg_lo:[0,1] neg_hi:[0,1]
	s_delay_alu instid0(VALU_DEP_2) | instskip(SKIP_1) | instid1(VALU_DEP_1)
	v_pk_fma_f32 v[8:9], v[6:7], v[0:1], v[4:5] op_sel:[0,0,1] op_sel_hi:[1,1,0] neg_lo:[0,0,1] neg_hi:[0,0,1]
	v_pk_fma_f32 v[4:5], v[6:7], v[0:1], v[4:5] op_sel:[0,0,1] op_sel_hi:[1,0,0]
	v_mov_b32_e32 v9, v5
	ds_load_2addr_b64 v[4:7], v134 offset0:41 offset1:42
	v_pk_add_f32 v[184:185], v[184:185], v[8:9] neg_lo:[0,1] neg_hi:[0,1]
	s_wait_dscnt 0x0
	v_pk_mul_f32 v[8:9], v[4:5], v[2:3] op_sel:[0,1]
	s_delay_alu instid0(VALU_DEP_1) | instskip(SKIP_1) | instid1(VALU_DEP_1)
	v_pk_fma_f32 v[10:11], v[4:5], v[0:1], v[8:9] op_sel:[0,0,1] op_sel_hi:[1,1,0] neg_lo:[0,0,1] neg_hi:[0,0,1]
	v_pk_fma_f32 v[4:5], v[4:5], v[0:1], v[8:9] op_sel:[0,0,1] op_sel_hi:[1,0,0]
	v_mov_b32_e32 v11, v5
	v_pk_mul_f32 v[4:5], v[6:7], v[2:3] op_sel:[0,1]
	s_delay_alu instid0(VALU_DEP_2) | instskip(NEXT) | instid1(VALU_DEP_2)
	v_pk_add_f32 v[180:181], v[180:181], v[10:11] neg_lo:[0,1] neg_hi:[0,1]
	v_pk_fma_f32 v[8:9], v[6:7], v[0:1], v[4:5] op_sel:[0,0,1] op_sel_hi:[1,1,0] neg_lo:[0,0,1] neg_hi:[0,0,1]
	v_pk_fma_f32 v[4:5], v[6:7], v[0:1], v[4:5] op_sel:[0,0,1] op_sel_hi:[1,0,0]
	s_delay_alu instid0(VALU_DEP_1) | instskip(SKIP_4) | instid1(VALU_DEP_1)
	v_mov_b32_e32 v9, v5
	ds_load_2addr_b64 v[4:7], v134 offset0:43 offset1:44
	v_pk_add_f32 v[182:183], v[182:183], v[8:9] neg_lo:[0,1] neg_hi:[0,1]
	s_wait_dscnt 0x0
	v_pk_mul_f32 v[8:9], v[4:5], v[2:3] op_sel:[0,1]
	v_pk_fma_f32 v[10:11], v[4:5], v[0:1], v[8:9] op_sel:[0,0,1] op_sel_hi:[1,1,0] neg_lo:[0,0,1] neg_hi:[0,0,1]
	v_pk_fma_f32 v[4:5], v[4:5], v[0:1], v[8:9] op_sel:[0,0,1] op_sel_hi:[1,0,0]
	v_dual_mul_f32 v8, v7, v3 :: v_dual_mov_b32 v4, v7
	s_delay_alu instid0(VALU_DEP_2) | instskip(NEXT) | instid1(VALU_DEP_2)
	v_dual_mov_b32 v11, v5 :: v_dual_mov_b32 v5, v6
	v_pk_fma_f32 v[8:9], v[6:7], v[38:39], v[8:9] op_sel_hi:[1,1,0] neg_lo:[0,0,1] neg_hi:[0,0,1]
	v_mul_f32_e32 v6, v7, v0
	s_delay_alu instid0(VALU_DEP_3) | instskip(NEXT) | instid1(VALU_DEP_2)
	v_pk_add_f32 v[178:179], v[178:179], v[10:11] neg_lo:[0,1] neg_hi:[0,1]
	v_pk_fma_f32 v[4:5], v[4:5], v[38:39], v[6:7] op_sel_hi:[1,1,0]
	s_delay_alu instid0(VALU_DEP_1) | instskip(SKIP_4) | instid1(VALU_DEP_1)
	v_mov_b32_e32 v9, v5
	ds_load_2addr_b64 v[4:7], v134 offset0:45 offset1:46
	v_pk_add_f32 v[208:209], v[208:209], v[8:9] neg_lo:[0,1] neg_hi:[0,1]
	s_wait_dscnt 0x0
	v_pk_mul_f32 v[8:9], v[4:5], v[2:3] op_sel:[0,1]
	v_pk_fma_f32 v[10:11], v[4:5], v[0:1], v[8:9] op_sel:[0,0,1] op_sel_hi:[1,1,0] neg_lo:[0,0,1] neg_hi:[0,0,1]
	v_pk_fma_f32 v[4:5], v[4:5], v[0:1], v[8:9] op_sel:[0,0,1] op_sel_hi:[1,0,0]
	s_delay_alu instid0(VALU_DEP_1) | instskip(SKIP_1) | instid1(VALU_DEP_1)
	v_mov_b32_e32 v11, v5
	v_pk_mul_f32 v[4:5], v[6:7], v[2:3] op_sel:[0,1]
	v_pk_fma_f32 v[8:9], v[6:7], v[0:1], v[4:5] op_sel:[0,0,1] op_sel_hi:[1,1,0] neg_lo:[0,0,1] neg_hi:[0,0,1]
	v_pk_fma_f32 v[4:5], v[6:7], v[0:1], v[4:5] op_sel:[0,0,1] op_sel_hi:[1,0,0]
	s_delay_alu instid0(VALU_DEP_1)
	v_mov_b32_e32 v9, v5
	ds_load_2addr_b64 v[4:7], v134 offset0:47 offset1:48
	v_pk_add_f32 v[200:201], v[200:201], v[10:11] neg_lo:[0,1] neg_hi:[0,1]
	v_pk_add_f32 v[206:207], v[206:207], v[8:9] neg_lo:[0,1] neg_hi:[0,1]
	s_wait_dscnt 0x0
	v_pk_mul_f32 v[8:9], v[4:5], v[2:3] op_sel:[0,1]
	s_delay_alu instid0(VALU_DEP_1) | instskip(SKIP_1) | instid1(VALU_DEP_1)
	v_pk_fma_f32 v[10:11], v[4:5], v[0:1], v[8:9] op_sel:[0,0,1] op_sel_hi:[1,1,0] neg_lo:[0,0,1] neg_hi:[0,0,1]
	v_pk_fma_f32 v[4:5], v[4:5], v[0:1], v[8:9] op_sel:[0,0,1] op_sel_hi:[1,0,0]
	v_mov_b32_e32 v11, v5
	v_pk_mul_f32 v[4:5], v[6:7], v[2:3] op_sel:[0,1]
	s_delay_alu instid0(VALU_DEP_1) | instskip(SKIP_1) | instid1(VALU_DEP_1)
	v_pk_fma_f32 v[8:9], v[6:7], v[0:1], v[4:5] op_sel:[0,0,1] op_sel_hi:[1,1,0] neg_lo:[0,0,1] neg_hi:[0,0,1]
	v_pk_fma_f32 v[4:5], v[6:7], v[0:1], v[4:5] op_sel:[0,0,1] op_sel_hi:[1,0,0]
	v_mov_b32_e32 v9, v5
	ds_load_2addr_b64 v[4:7], v134 offset0:49 offset1:50
	v_pk_add_f32 v[198:199], v[198:199], v[10:11] neg_lo:[0,1] neg_hi:[0,1]
	v_pk_add_f32 v[204:205], v[204:205], v[8:9] neg_lo:[0,1] neg_hi:[0,1]
	s_wait_dscnt 0x0
	v_dual_mul_f32 v8, v5, v3 :: v_dual_mul_f32 v10, v5, v0
	s_delay_alu instid0(VALU_DEP_1) | instskip(NEXT) | instid1(VALU_DEP_2)
	v_pk_fma_f32 v[8:9], v[4:5], v[38:39], v[8:9] op_sel_hi:[1,1,0] neg_lo:[0,0,1] neg_hi:[0,0,1]
	v_pk_fma_f32 v[4:5], v[4:5], v[38:39], v[10:11] op_sel:[1,0,0] op_sel_hi:[0,1,0]
	s_delay_alu instid0(VALU_DEP_1) | instskip(SKIP_1) | instid1(VALU_DEP_2)
	v_mov_b32_e32 v9, v5
	v_pk_mul_f32 v[4:5], v[6:7], v[2:3] op_sel:[0,1]
	v_pk_add_f32 v[196:197], v[196:197], v[8:9] neg_lo:[0,1] neg_hi:[0,1]
	s_delay_alu instid0(VALU_DEP_2) | instskip(SKIP_1) | instid1(VALU_DEP_1)
	v_pk_fma_f32 v[8:9], v[6:7], v[0:1], v[4:5] op_sel:[0,0,1] op_sel_hi:[1,1,0] neg_lo:[0,0,1] neg_hi:[0,0,1]
	v_pk_fma_f32 v[4:5], v[6:7], v[0:1], v[4:5] op_sel:[0,0,1] op_sel_hi:[1,0,0]
	v_mov_b32_e32 v9, v5
	ds_load_2addr_b64 v[4:7], v134 offset0:51 offset1:52
	v_pk_add_f32 v[202:203], v[202:203], v[8:9] neg_lo:[0,1] neg_hi:[0,1]
	s_wait_dscnt 0x0
	v_pk_mul_f32 v[8:9], v[4:5], v[2:3] op_sel:[0,1]
	v_mul_f32_e32 v2, v7, v3
	s_delay_alu instid0(VALU_DEP_2) | instskip(SKIP_2) | instid1(VALU_DEP_4)
	v_pk_fma_f32 v[10:11], v[4:5], v[0:1], v[8:9] op_sel:[0,0,1] op_sel_hi:[1,1,0] neg_lo:[0,0,1] neg_hi:[0,0,1]
	v_pk_fma_f32 v[4:5], v[4:5], v[0:1], v[8:9] op_sel:[0,0,1] op_sel_hi:[1,0,0]
	v_dual_mov_b32 v4, v7 :: v_dual_mul_f32 v0, v7, v0
	v_pk_fma_f32 v[2:3], v[6:7], v[38:39], v[2:3] op_sel_hi:[1,1,0] neg_lo:[0,0,1] neg_hi:[0,0,1]
	s_delay_alu instid0(VALU_DEP_3) | instskip(NEXT) | instid1(VALU_DEP_1)
	v_dual_mov_b32 v11, v5 :: v_dual_mov_b32 v5, v6
	v_pk_add_f32 v[210:211], v[210:211], v[10:11] neg_lo:[0,1] neg_hi:[0,1]
	s_delay_alu instid0(VALU_DEP_2) | instskip(NEXT) | instid1(VALU_DEP_1)
	v_pk_fma_f32 v[0:1], v[4:5], v[38:39], v[0:1] op_sel_hi:[1,1,0]
	v_mov_b32_e32 v3, v1
	s_delay_alu instid0(VALU_DEP_1)
	v_pk_add_f32 v[212:213], v[212:213], v[2:3] neg_lo:[0,1] neg_hi:[0,1]
.LBB105_100:
	s_wait_xcnt 0x0
	s_or_b32 exec_lo, exec_lo, s1
	s_delay_alu instid0(SALU_CYCLE_1)
	s_mov_b32 s2, exec_lo
	s_wait_storecnt 0x0
	s_barrier_signal -1
	s_barrier_wait -1
	v_cmpx_eq_u32_e32 11, v132
	s_cbranch_execz .LBB105_107
; %bb.101:
	v_dual_mov_b32 v0, v64 :: v_dual_mov_b32 v1, v65
	v_dual_mov_b32 v2, v60 :: v_dual_mov_b32 v3, v61
	ds_store_b64 v133, v[34:35]
	ds_store_2addr_b64 v134, v[0:1], v[2:3] offset0:12 offset1:13
	v_dual_mov_b32 v0, v62 :: v_dual_mov_b32 v1, v63
	v_dual_mov_b32 v2, v58 :: v_dual_mov_b32 v3, v59
	ds_store_2addr_b64 v134, v[0:1], v[2:3] offset0:14 offset1:15
	v_dual_mov_b32 v0, v80 :: v_dual_mov_b32 v1, v81
	v_dual_mov_b32 v2, v76 :: v_dual_mov_b32 v3, v77
	;; [unrolled: 3-line block ×19, first 2 shown]
	ds_store_2addr_b64 v134, v[0:1], v[2:3] offset0:50 offset1:51
	ds_store_b64 v134, v[212:213] offset:416
	ds_load_b64 v[0:1], v133
	s_wait_dscnt 0x0
	v_cmp_neq_f32_e32 vcc_lo, 0, v0
	v_cmp_neq_f32_e64 s1, 0, v1
	s_or_b32 s1, vcc_lo, s1
	s_delay_alu instid0(SALU_CYCLE_1)
	s_and_b32 exec_lo, exec_lo, s1
	s_cbranch_execz .LBB105_107
; %bb.102:
	v_cmp_ngt_f32_e64 s1, |v0|, |v1|
                                        ; implicit-def: $vgpr2_vgpr3
	s_and_saveexec_b32 s4, s1
	s_delay_alu instid0(SALU_CYCLE_1)
	s_xor_b32 s1, exec_lo, s4
	s_cbranch_execz .LBB105_104
; %bb.103:
	v_div_scale_f32 v2, null, v1, v1, v0
	v_div_scale_f32 v5, vcc_lo, v0, v1, v0
	s_delay_alu instid0(VALU_DEP_2) | instskip(SKIP_1) | instid1(TRANS32_DEP_1)
	v_rcp_f32_e32 v3, v2
	v_nop
	v_fma_f32 v4, -v2, v3, 1.0
	s_delay_alu instid0(VALU_DEP_1) | instskip(NEXT) | instid1(VALU_DEP_1)
	v_fmac_f32_e32 v3, v4, v3
	v_mul_f32_e32 v4, v5, v3
	s_delay_alu instid0(VALU_DEP_1) | instskip(NEXT) | instid1(VALU_DEP_1)
	v_fma_f32 v6, -v2, v4, v5
	v_fmac_f32_e32 v4, v6, v3
	s_delay_alu instid0(VALU_DEP_1) | instskip(NEXT) | instid1(VALU_DEP_1)
	v_fma_f32 v2, -v2, v4, v5
	v_div_fmas_f32 v2, v2, v3, v4
	s_delay_alu instid0(VALU_DEP_1) | instskip(NEXT) | instid1(VALU_DEP_1)
	v_div_fixup_f32 v2, v2, v1, v0
	v_fmac_f32_e32 v1, v0, v2
	s_delay_alu instid0(VALU_DEP_1) | instskip(SKIP_1) | instid1(VALU_DEP_2)
	v_div_scale_f32 v0, null, v1, v1, 1.0
	v_div_scale_f32 v5, vcc_lo, 1.0, v1, 1.0
	v_rcp_f32_e32 v3, v0
	v_nop
	s_delay_alu instid0(TRANS32_DEP_1) | instskip(NEXT) | instid1(VALU_DEP_1)
	v_fma_f32 v4, -v0, v3, 1.0
	v_fmac_f32_e32 v3, v4, v3
	s_delay_alu instid0(VALU_DEP_1) | instskip(NEXT) | instid1(VALU_DEP_1)
	v_mul_f32_e32 v4, v5, v3
	v_fma_f32 v6, -v0, v4, v5
	s_delay_alu instid0(VALU_DEP_1) | instskip(NEXT) | instid1(VALU_DEP_1)
	v_fmac_f32_e32 v4, v6, v3
	v_fma_f32 v0, -v0, v4, v5
	s_delay_alu instid0(VALU_DEP_1) | instskip(NEXT) | instid1(VALU_DEP_1)
	v_div_fmas_f32 v0, v0, v3, v4
	v_div_fixup_f32 v0, v0, v1, 1.0
	s_delay_alu instid0(VALU_DEP_1)
	v_mul_f32_e32 v2, v2, v0
	v_xor_b32_e32 v3, 0x80000000, v0
                                        ; implicit-def: $vgpr0_vgpr1
.LBB105_104:
	s_and_not1_saveexec_b32 s1, s1
	s_cbranch_execz .LBB105_106
; %bb.105:
	v_div_scale_f32 v2, null, v0, v0, v1
	v_div_scale_f32 v5, vcc_lo, v1, v0, v1
	s_delay_alu instid0(VALU_DEP_2) | instskip(SKIP_1) | instid1(TRANS32_DEP_1)
	v_rcp_f32_e32 v3, v2
	v_nop
	v_fma_f32 v4, -v2, v3, 1.0
	s_delay_alu instid0(VALU_DEP_1) | instskip(NEXT) | instid1(VALU_DEP_1)
	v_fmac_f32_e32 v3, v4, v3
	v_mul_f32_e32 v4, v5, v3
	s_delay_alu instid0(VALU_DEP_1) | instskip(NEXT) | instid1(VALU_DEP_1)
	v_fma_f32 v6, -v2, v4, v5
	v_fmac_f32_e32 v4, v6, v3
	s_delay_alu instid0(VALU_DEP_1) | instskip(NEXT) | instid1(VALU_DEP_1)
	v_fma_f32 v2, -v2, v4, v5
	v_div_fmas_f32 v2, v2, v3, v4
	s_delay_alu instid0(VALU_DEP_1) | instskip(NEXT) | instid1(VALU_DEP_1)
	v_div_fixup_f32 v3, v2, v0, v1
	v_fmac_f32_e32 v0, v1, v3
	s_delay_alu instid0(VALU_DEP_1) | instskip(NEXT) | instid1(VALU_DEP_1)
	v_div_scale_f32 v1, null, v0, v0, 1.0
	v_rcp_f32_e32 v2, v1
	v_nop
	s_delay_alu instid0(TRANS32_DEP_1) | instskip(NEXT) | instid1(VALU_DEP_1)
	v_fma_f32 v4, -v1, v2, 1.0
	v_fmac_f32_e32 v2, v4, v2
	v_div_scale_f32 v4, vcc_lo, 1.0, v0, 1.0
	s_delay_alu instid0(VALU_DEP_1) | instskip(NEXT) | instid1(VALU_DEP_1)
	v_mul_f32_e32 v5, v4, v2
	v_fma_f32 v6, -v1, v5, v4
	s_delay_alu instid0(VALU_DEP_1) | instskip(NEXT) | instid1(VALU_DEP_1)
	v_fmac_f32_e32 v5, v6, v2
	v_fma_f32 v1, -v1, v5, v4
	s_delay_alu instid0(VALU_DEP_1) | instskip(NEXT) | instid1(VALU_DEP_1)
	v_div_fmas_f32 v1, v1, v2, v5
	v_div_fixup_f32 v2, v1, v0, 1.0
	s_delay_alu instid0(VALU_DEP_1)
	v_mul_f32_e64 v3, v3, -v2
.LBB105_106:
	s_or_b32 exec_lo, exec_lo, s1
	ds_store_b64 v133, v[2:3]
.LBB105_107:
	s_or_b32 exec_lo, exec_lo, s2
	s_wait_dscnt 0x0
	s_barrier_signal -1
	s_barrier_wait -1
	ds_load_b64 v[0:1], v133
	s_mov_b32 s1, exec_lo
	s_wait_dscnt 0x0
	scratch_store_b64 off, v[0:1], off offset:216 ; 8-byte Folded Spill
	s_wait_xcnt 0x0
	v_cmpx_lt_u32_e32 11, v132
	s_cbranch_execz .LBB105_109
; %bb.108:
	scratch_load_b64 v[4:5], off, off offset:216 ; 8-byte Folded Reload
	s_wait_loadcnt 0x0
	v_pk_mul_f32 v[2:3], v[4:5], v[34:35] op_sel:[1,1] op_sel_hi:[0,1]
	s_delay_alu instid0(VALU_DEP_1)
	v_pk_fma_f32 v[0:1], v[4:5], v[34:35], v[2:3] op_sel_hi:[1,0,1] neg_lo:[0,0,1] neg_hi:[0,0,1]
	v_pk_fma_f32 v[2:3], v[4:5], v[34:35], v[2:3] op_sel_hi:[1,0,1]
	ds_load_2addr_b64 v[4:7], v134 offset0:12 offset1:13
	v_dual_mov_b32 v34, v0 :: v_dual_mov_b32 v35, v3
	s_wait_dscnt 0x0
	v_pk_mul_f32 v[8:9], v[4:5], v[2:3] op_sel:[0,1]
	s_delay_alu instid0(VALU_DEP_1) | instskip(SKIP_1) | instid1(VALU_DEP_1)
	v_pk_fma_f32 v[10:11], v[4:5], v[0:1], v[8:9] op_sel:[0,0,1] op_sel_hi:[1,1,0] neg_lo:[0,0,1] neg_hi:[0,0,1]
	v_pk_fma_f32 v[4:5], v[4:5], v[0:1], v[8:9] op_sel:[0,0,1] op_sel_hi:[1,0,0]
	v_mov_b32_e32 v11, v5
	v_pk_mul_f32 v[4:5], v[6:7], v[2:3] op_sel:[0,1]
	s_delay_alu instid0(VALU_DEP_1) | instskip(SKIP_1) | instid1(VALU_DEP_1)
	v_pk_fma_f32 v[8:9], v[6:7], v[0:1], v[4:5] op_sel:[0,0,1] op_sel_hi:[1,1,0] neg_lo:[0,0,1] neg_hi:[0,0,1]
	v_pk_fma_f32 v[4:5], v[6:7], v[0:1], v[4:5] op_sel:[0,0,1] op_sel_hi:[1,0,0]
	v_mov_b32_e32 v9, v5
	ds_load_2addr_b64 v[4:7], v134 offset0:14 offset1:15
	v_pk_add_f32 v[64:65], v[64:65], v[10:11] neg_lo:[0,1] neg_hi:[0,1]
	v_pk_add_f32 v[60:61], v[60:61], v[8:9] neg_lo:[0,1] neg_hi:[0,1]
	s_wait_dscnt 0x0
	v_pk_mul_f32 v[8:9], v[4:5], v[2:3] op_sel:[0,1]
	s_delay_alu instid0(VALU_DEP_1) | instskip(SKIP_2) | instid1(VALU_DEP_2)
	v_pk_fma_f32 v[10:11], v[4:5], v[0:1], v[8:9] op_sel:[0,0,1] op_sel_hi:[1,1,0] neg_lo:[0,0,1] neg_hi:[0,0,1]
	v_pk_fma_f32 v[4:5], v[4:5], v[0:1], v[8:9] op_sel:[0,0,1] op_sel_hi:[1,0,0]
	v_dual_mul_f32 v8, v7, v3 :: v_dual_mov_b32 v4, v7
	v_dual_mov_b32 v11, v5 :: v_dual_mov_b32 v5, v6
	s_delay_alu instid0(VALU_DEP_2) | instskip(SKIP_1) | instid1(VALU_DEP_3)
	v_pk_fma_f32 v[8:9], v[6:7], v[34:35], v[8:9] op_sel_hi:[1,1,0] neg_lo:[0,0,1] neg_hi:[0,0,1]
	v_mul_f32_e32 v6, v7, v0
	v_pk_add_f32 v[62:63], v[62:63], v[10:11] neg_lo:[0,1] neg_hi:[0,1]
	s_delay_alu instid0(VALU_DEP_2) | instskip(NEXT) | instid1(VALU_DEP_1)
	v_pk_fma_f32 v[4:5], v[4:5], v[34:35], v[6:7] op_sel_hi:[1,1,0]
	v_mov_b32_e32 v9, v5
	ds_load_2addr_b64 v[4:7], v134 offset0:16 offset1:17
	v_pk_add_f32 v[58:59], v[58:59], v[8:9] neg_lo:[0,1] neg_hi:[0,1]
	s_wait_dscnt 0x0
	v_pk_mul_f32 v[8:9], v[4:5], v[2:3] op_sel:[0,1]
	s_delay_alu instid0(VALU_DEP_1) | instskip(SKIP_1) | instid1(VALU_DEP_1)
	v_pk_fma_f32 v[10:11], v[4:5], v[0:1], v[8:9] op_sel:[0,0,1] op_sel_hi:[1,1,0] neg_lo:[0,0,1] neg_hi:[0,0,1]
	v_pk_fma_f32 v[4:5], v[4:5], v[0:1], v[8:9] op_sel:[0,0,1] op_sel_hi:[1,0,0]
	v_mov_b32_e32 v11, v5
	v_pk_mul_f32 v[4:5], v[6:7], v[2:3] op_sel:[0,1]
	s_delay_alu instid0(VALU_DEP_1) | instskip(SKIP_1) | instid1(VALU_DEP_1)
	v_pk_fma_f32 v[8:9], v[6:7], v[0:1], v[4:5] op_sel:[0,0,1] op_sel_hi:[1,1,0] neg_lo:[0,0,1] neg_hi:[0,0,1]
	v_pk_fma_f32 v[4:5], v[6:7], v[0:1], v[4:5] op_sel:[0,0,1] op_sel_hi:[1,0,0]
	v_mov_b32_e32 v9, v5
	ds_load_2addr_b64 v[4:7], v134 offset0:18 offset1:19
	v_pk_add_f32 v[80:81], v[80:81], v[10:11] neg_lo:[0,1] neg_hi:[0,1]
	v_pk_add_f32 v[76:77], v[76:77], v[8:9] neg_lo:[0,1] neg_hi:[0,1]
	s_wait_dscnt 0x0
	v_pk_mul_f32 v[8:9], v[4:5], v[2:3] op_sel:[0,1]
	s_delay_alu instid0(VALU_DEP_1) | instskip(SKIP_1) | instid1(VALU_DEP_1)
	v_pk_fma_f32 v[10:11], v[4:5], v[0:1], v[8:9] op_sel:[0,0,1] op_sel_hi:[1,1,0] neg_lo:[0,0,1] neg_hi:[0,0,1]
	v_pk_fma_f32 v[4:5], v[4:5], v[0:1], v[8:9] op_sel:[0,0,1] op_sel_hi:[1,0,0]
	v_mov_b32_e32 v11, v5
	v_pk_mul_f32 v[4:5], v[6:7], v[2:3] op_sel:[0,1]
	s_delay_alu instid0(VALU_DEP_1) | instskip(SKIP_1) | instid1(VALU_DEP_1)
	v_pk_fma_f32 v[8:9], v[6:7], v[0:1], v[4:5] op_sel:[0,0,1] op_sel_hi:[1,1,0] neg_lo:[0,0,1] neg_hi:[0,0,1]
	v_pk_fma_f32 v[4:5], v[6:7], v[0:1], v[4:5] op_sel:[0,0,1] op_sel_hi:[1,0,0]
	v_mov_b32_e32 v9, v5
	ds_load_2addr_b64 v[4:7], v134 offset0:20 offset1:21
	v_pk_add_f32 v[78:79], v[78:79], v[10:11] neg_lo:[0,1] neg_hi:[0,1]
	v_pk_add_f32 v[74:75], v[74:75], v[8:9] neg_lo:[0,1] neg_hi:[0,1]
	s_wait_dscnt 0x0
	v_dual_mul_f32 v8, v5, v3 :: v_dual_mul_f32 v10, v5, v0
	s_delay_alu instid0(VALU_DEP_1) | instskip(NEXT) | instid1(VALU_DEP_2)
	v_pk_fma_f32 v[8:9], v[4:5], v[34:35], v[8:9] op_sel_hi:[1,1,0] neg_lo:[0,0,1] neg_hi:[0,0,1]
	v_pk_fma_f32 v[4:5], v[4:5], v[34:35], v[10:11] op_sel:[1,0,0] op_sel_hi:[0,1,0]
	s_delay_alu instid0(VALU_DEP_1) | instskip(SKIP_1) | instid1(VALU_DEP_2)
	v_mov_b32_e32 v9, v5
	v_pk_mul_f32 v[4:5], v[6:7], v[2:3] op_sel:[0,1]
	v_pk_add_f32 v[96:97], v[96:97], v[8:9] neg_lo:[0,1] neg_hi:[0,1]
	s_delay_alu instid0(VALU_DEP_2) | instskip(SKIP_1) | instid1(VALU_DEP_1)
	v_pk_fma_f32 v[8:9], v[6:7], v[0:1], v[4:5] op_sel:[0,0,1] op_sel_hi:[1,1,0] neg_lo:[0,0,1] neg_hi:[0,0,1]
	v_pk_fma_f32 v[4:5], v[6:7], v[0:1], v[4:5] op_sel:[0,0,1] op_sel_hi:[1,0,0]
	v_mov_b32_e32 v9, v5
	ds_load_2addr_b64 v[4:7], v134 offset0:22 offset1:23
	v_pk_add_f32 v[92:93], v[92:93], v[8:9] neg_lo:[0,1] neg_hi:[0,1]
	s_wait_dscnt 0x0
	v_pk_mul_f32 v[8:9], v[4:5], v[2:3] op_sel:[0,1]
	s_delay_alu instid0(VALU_DEP_1) | instskip(SKIP_1) | instid1(VALU_DEP_1)
	v_pk_fma_f32 v[10:11], v[4:5], v[0:1], v[8:9] op_sel:[0,0,1] op_sel_hi:[1,1,0] neg_lo:[0,0,1] neg_hi:[0,0,1]
	v_pk_fma_f32 v[4:5], v[4:5], v[0:1], v[8:9] op_sel:[0,0,1] op_sel_hi:[1,0,0]
	v_mov_b32_e32 v11, v5
	v_pk_mul_f32 v[4:5], v[6:7], v[2:3] op_sel:[0,1]
	s_delay_alu instid0(VALU_DEP_2) | instskip(NEXT) | instid1(VALU_DEP_2)
	v_pk_add_f32 v[94:95], v[94:95], v[10:11] neg_lo:[0,1] neg_hi:[0,1]
	v_pk_fma_f32 v[8:9], v[6:7], v[0:1], v[4:5] op_sel:[0,0,1] op_sel_hi:[1,1,0] neg_lo:[0,0,1] neg_hi:[0,0,1]
	v_pk_fma_f32 v[4:5], v[6:7], v[0:1], v[4:5] op_sel:[0,0,1] op_sel_hi:[1,0,0]
	s_delay_alu instid0(VALU_DEP_1) | instskip(SKIP_4) | instid1(VALU_DEP_1)
	v_mov_b32_e32 v9, v5
	ds_load_2addr_b64 v[4:7], v134 offset0:24 offset1:25
	v_pk_add_f32 v[90:91], v[90:91], v[8:9] neg_lo:[0,1] neg_hi:[0,1]
	s_wait_dscnt 0x0
	v_pk_mul_f32 v[8:9], v[4:5], v[2:3] op_sel:[0,1]
	v_pk_fma_f32 v[10:11], v[4:5], v[0:1], v[8:9] op_sel:[0,0,1] op_sel_hi:[1,1,0] neg_lo:[0,0,1] neg_hi:[0,0,1]
	v_pk_fma_f32 v[4:5], v[4:5], v[0:1], v[8:9] op_sel:[0,0,1] op_sel_hi:[1,0,0]
	v_dual_mul_f32 v8, v7, v3 :: v_dual_mov_b32 v4, v7
	s_delay_alu instid0(VALU_DEP_2) | instskip(NEXT) | instid1(VALU_DEP_2)
	v_dual_mov_b32 v11, v5 :: v_dual_mov_b32 v5, v6
	v_pk_fma_f32 v[8:9], v[6:7], v[34:35], v[8:9] op_sel_hi:[1,1,0] neg_lo:[0,0,1] neg_hi:[0,0,1]
	v_mul_f32_e32 v6, v7, v0
	s_delay_alu instid0(VALU_DEP_3) | instskip(NEXT) | instid1(VALU_DEP_2)
	v_pk_add_f32 v[112:113], v[112:113], v[10:11] neg_lo:[0,1] neg_hi:[0,1]
	v_pk_fma_f32 v[4:5], v[4:5], v[34:35], v[6:7] op_sel_hi:[1,1,0]
	s_delay_alu instid0(VALU_DEP_1) | instskip(SKIP_4) | instid1(VALU_DEP_1)
	v_mov_b32_e32 v9, v5
	ds_load_2addr_b64 v[4:7], v134 offset0:26 offset1:27
	v_pk_add_f32 v[108:109], v[108:109], v[8:9] neg_lo:[0,1] neg_hi:[0,1]
	s_wait_dscnt 0x0
	v_pk_mul_f32 v[8:9], v[4:5], v[2:3] op_sel:[0,1]
	v_pk_fma_f32 v[10:11], v[4:5], v[0:1], v[8:9] op_sel:[0,0,1] op_sel_hi:[1,1,0] neg_lo:[0,0,1] neg_hi:[0,0,1]
	v_pk_fma_f32 v[4:5], v[4:5], v[0:1], v[8:9] op_sel:[0,0,1] op_sel_hi:[1,0,0]
	s_delay_alu instid0(VALU_DEP_1) | instskip(SKIP_1) | instid1(VALU_DEP_1)
	v_mov_b32_e32 v11, v5
	v_pk_mul_f32 v[4:5], v[6:7], v[2:3] op_sel:[0,1]
	v_pk_fma_f32 v[8:9], v[6:7], v[0:1], v[4:5] op_sel:[0,0,1] op_sel_hi:[1,1,0] neg_lo:[0,0,1] neg_hi:[0,0,1]
	v_pk_fma_f32 v[4:5], v[6:7], v[0:1], v[4:5] op_sel:[0,0,1] op_sel_hi:[1,0,0]
	s_delay_alu instid0(VALU_DEP_1)
	v_mov_b32_e32 v9, v5
	ds_load_2addr_b64 v[4:7], v134 offset0:28 offset1:29
	v_pk_add_f32 v[110:111], v[110:111], v[10:11] neg_lo:[0,1] neg_hi:[0,1]
	v_pk_add_f32 v[106:107], v[106:107], v[8:9] neg_lo:[0,1] neg_hi:[0,1]
	s_wait_dscnt 0x0
	v_pk_mul_f32 v[8:9], v[4:5], v[2:3] op_sel:[0,1]
	s_delay_alu instid0(VALU_DEP_1) | instskip(SKIP_1) | instid1(VALU_DEP_1)
	v_pk_fma_f32 v[10:11], v[4:5], v[0:1], v[8:9] op_sel:[0,0,1] op_sel_hi:[1,1,0] neg_lo:[0,0,1] neg_hi:[0,0,1]
	v_pk_fma_f32 v[4:5], v[4:5], v[0:1], v[8:9] op_sel:[0,0,1] op_sel_hi:[1,0,0]
	v_mov_b32_e32 v11, v5
	v_pk_mul_f32 v[4:5], v[6:7], v[2:3] op_sel:[0,1]
	s_delay_alu instid0(VALU_DEP_1) | instskip(SKIP_1) | instid1(VALU_DEP_1)
	v_pk_fma_f32 v[8:9], v[6:7], v[0:1], v[4:5] op_sel:[0,0,1] op_sel_hi:[1,1,0] neg_lo:[0,0,1] neg_hi:[0,0,1]
	v_pk_fma_f32 v[4:5], v[6:7], v[0:1], v[4:5] op_sel:[0,0,1] op_sel_hi:[1,0,0]
	v_mov_b32_e32 v9, v5
	ds_load_2addr_b64 v[4:7], v134 offset0:30 offset1:31
	v_pk_add_f32 v[130:131], v[130:131], v[10:11] neg_lo:[0,1] neg_hi:[0,1]
	v_pk_add_f32 v[126:127], v[126:127], v[8:9] neg_lo:[0,1] neg_hi:[0,1]
	s_wait_dscnt 0x0
	v_dual_mul_f32 v8, v5, v3 :: v_dual_mul_f32 v10, v5, v0
	s_delay_alu instid0(VALU_DEP_1) | instskip(NEXT) | instid1(VALU_DEP_2)
	v_pk_fma_f32 v[8:9], v[4:5], v[34:35], v[8:9] op_sel_hi:[1,1,0] neg_lo:[0,0,1] neg_hi:[0,0,1]
	v_pk_fma_f32 v[4:5], v[4:5], v[34:35], v[10:11] op_sel:[1,0,0] op_sel_hi:[0,1,0]
	s_delay_alu instid0(VALU_DEP_1) | instskip(SKIP_1) | instid1(VALU_DEP_2)
	v_mov_b32_e32 v9, v5
	v_pk_mul_f32 v[4:5], v[6:7], v[2:3] op_sel:[0,1]
	v_pk_add_f32 v[128:129], v[128:129], v[8:9] neg_lo:[0,1] neg_hi:[0,1]
	s_delay_alu instid0(VALU_DEP_2) | instskip(SKIP_1) | instid1(VALU_DEP_1)
	v_pk_fma_f32 v[8:9], v[6:7], v[0:1], v[4:5] op_sel:[0,0,1] op_sel_hi:[1,1,0] neg_lo:[0,0,1] neg_hi:[0,0,1]
	v_pk_fma_f32 v[4:5], v[6:7], v[0:1], v[4:5] op_sel:[0,0,1] op_sel_hi:[1,0,0]
	v_mov_b32_e32 v9, v5
	ds_load_2addr_b64 v[4:7], v134 offset0:32 offset1:33
	v_pk_add_f32 v[124:125], v[124:125], v[8:9] neg_lo:[0,1] neg_hi:[0,1]
	s_wait_dscnt 0x0
	v_pk_mul_f32 v[8:9], v[4:5], v[2:3] op_sel:[0,1]
	s_delay_alu instid0(VALU_DEP_1) | instskip(SKIP_1) | instid1(VALU_DEP_1)
	v_pk_fma_f32 v[10:11], v[4:5], v[0:1], v[8:9] op_sel:[0,0,1] op_sel_hi:[1,1,0] neg_lo:[0,0,1] neg_hi:[0,0,1]
	v_pk_fma_f32 v[4:5], v[4:5], v[0:1], v[8:9] op_sel:[0,0,1] op_sel_hi:[1,0,0]
	v_mov_b32_e32 v11, v5
	v_pk_mul_f32 v[4:5], v[6:7], v[2:3] op_sel:[0,1]
	s_delay_alu instid0(VALU_DEP_2) | instskip(NEXT) | instid1(VALU_DEP_2)
	v_pk_add_f32 v[146:147], v[146:147], v[10:11] neg_lo:[0,1] neg_hi:[0,1]
	v_pk_fma_f32 v[8:9], v[6:7], v[0:1], v[4:5] op_sel:[0,0,1] op_sel_hi:[1,1,0] neg_lo:[0,0,1] neg_hi:[0,0,1]
	v_pk_fma_f32 v[4:5], v[6:7], v[0:1], v[4:5] op_sel:[0,0,1] op_sel_hi:[1,0,0]
	s_delay_alu instid0(VALU_DEP_1) | instskip(SKIP_4) | instid1(VALU_DEP_1)
	v_mov_b32_e32 v9, v5
	ds_load_2addr_b64 v[4:7], v134 offset0:34 offset1:35
	v_pk_add_f32 v[142:143], v[142:143], v[8:9] neg_lo:[0,1] neg_hi:[0,1]
	s_wait_dscnt 0x0
	v_pk_mul_f32 v[8:9], v[4:5], v[2:3] op_sel:[0,1]
	v_pk_fma_f32 v[10:11], v[4:5], v[0:1], v[8:9] op_sel:[0,0,1] op_sel_hi:[1,1,0] neg_lo:[0,0,1] neg_hi:[0,0,1]
	v_pk_fma_f32 v[4:5], v[4:5], v[0:1], v[8:9] op_sel:[0,0,1] op_sel_hi:[1,0,0]
	v_dual_mul_f32 v8, v7, v3 :: v_dual_mov_b32 v4, v7
	s_delay_alu instid0(VALU_DEP_2) | instskip(NEXT) | instid1(VALU_DEP_2)
	v_dual_mov_b32 v11, v5 :: v_dual_mov_b32 v5, v6
	v_pk_fma_f32 v[8:9], v[6:7], v[34:35], v[8:9] op_sel_hi:[1,1,0] neg_lo:[0,0,1] neg_hi:[0,0,1]
	v_mul_f32_e32 v6, v7, v0
	s_delay_alu instid0(VALU_DEP_3) | instskip(NEXT) | instid1(VALU_DEP_2)
	v_pk_add_f32 v[144:145], v[144:145], v[10:11] neg_lo:[0,1] neg_hi:[0,1]
	v_pk_fma_f32 v[4:5], v[4:5], v[34:35], v[6:7] op_sel_hi:[1,1,0]
	s_delay_alu instid0(VALU_DEP_1) | instskip(SKIP_4) | instid1(VALU_DEP_1)
	v_mov_b32_e32 v9, v5
	ds_load_2addr_b64 v[4:7], v134 offset0:36 offset1:37
	v_pk_add_f32 v[140:141], v[140:141], v[8:9] neg_lo:[0,1] neg_hi:[0,1]
	s_wait_dscnt 0x0
	v_pk_mul_f32 v[8:9], v[4:5], v[2:3] op_sel:[0,1]
	v_pk_fma_f32 v[10:11], v[4:5], v[0:1], v[8:9] op_sel:[0,0,1] op_sel_hi:[1,1,0] neg_lo:[0,0,1] neg_hi:[0,0,1]
	v_pk_fma_f32 v[4:5], v[4:5], v[0:1], v[8:9] op_sel:[0,0,1] op_sel_hi:[1,0,0]
	s_delay_alu instid0(VALU_DEP_1) | instskip(SKIP_1) | instid1(VALU_DEP_1)
	v_mov_b32_e32 v11, v5
	v_pk_mul_f32 v[4:5], v[6:7], v[2:3] op_sel:[0,1]
	v_pk_fma_f32 v[8:9], v[6:7], v[0:1], v[4:5] op_sel:[0,0,1] op_sel_hi:[1,1,0] neg_lo:[0,0,1] neg_hi:[0,0,1]
	v_pk_fma_f32 v[4:5], v[6:7], v[0:1], v[4:5] op_sel:[0,0,1] op_sel_hi:[1,0,0]
	s_delay_alu instid0(VALU_DEP_1)
	v_mov_b32_e32 v9, v5
	ds_load_2addr_b64 v[4:7], v134 offset0:38 offset1:39
	v_pk_add_f32 v[162:163], v[162:163], v[10:11] neg_lo:[0,1] neg_hi:[0,1]
	v_pk_add_f32 v[158:159], v[158:159], v[8:9] neg_lo:[0,1] neg_hi:[0,1]
	s_wait_dscnt 0x0
	v_pk_mul_f32 v[8:9], v[4:5], v[2:3] op_sel:[0,1]
	s_delay_alu instid0(VALU_DEP_1) | instskip(SKIP_1) | instid1(VALU_DEP_1)
	v_pk_fma_f32 v[10:11], v[4:5], v[0:1], v[8:9] op_sel:[0,0,1] op_sel_hi:[1,1,0] neg_lo:[0,0,1] neg_hi:[0,0,1]
	v_pk_fma_f32 v[4:5], v[4:5], v[0:1], v[8:9] op_sel:[0,0,1] op_sel_hi:[1,0,0]
	v_mov_b32_e32 v11, v5
	v_pk_mul_f32 v[4:5], v[6:7], v[2:3] op_sel:[0,1]
	s_delay_alu instid0(VALU_DEP_1) | instskip(SKIP_1) | instid1(VALU_DEP_1)
	v_pk_fma_f32 v[8:9], v[6:7], v[0:1], v[4:5] op_sel:[0,0,1] op_sel_hi:[1,1,0] neg_lo:[0,0,1] neg_hi:[0,0,1]
	v_pk_fma_f32 v[4:5], v[6:7], v[0:1], v[4:5] op_sel:[0,0,1] op_sel_hi:[1,0,0]
	v_mov_b32_e32 v9, v5
	ds_load_2addr_b64 v[4:7], v134 offset0:40 offset1:41
	v_pk_add_f32 v[160:161], v[160:161], v[10:11] neg_lo:[0,1] neg_hi:[0,1]
	v_pk_add_f32 v[156:157], v[156:157], v[8:9] neg_lo:[0,1] neg_hi:[0,1]
	s_wait_dscnt 0x0
	v_dual_mul_f32 v8, v5, v3 :: v_dual_mul_f32 v10, v5, v0
	s_delay_alu instid0(VALU_DEP_1) | instskip(NEXT) | instid1(VALU_DEP_2)
	v_pk_fma_f32 v[8:9], v[4:5], v[34:35], v[8:9] op_sel_hi:[1,1,0] neg_lo:[0,0,1] neg_hi:[0,0,1]
	v_pk_fma_f32 v[4:5], v[4:5], v[34:35], v[10:11] op_sel:[1,0,0] op_sel_hi:[0,1,0]
	s_delay_alu instid0(VALU_DEP_1) | instskip(SKIP_1) | instid1(VALU_DEP_2)
	v_mov_b32_e32 v9, v5
	v_pk_mul_f32 v[4:5], v[6:7], v[2:3] op_sel:[0,1]
	v_pk_add_f32 v[184:185], v[184:185], v[8:9] neg_lo:[0,1] neg_hi:[0,1]
	s_delay_alu instid0(VALU_DEP_2) | instskip(SKIP_1) | instid1(VALU_DEP_1)
	v_pk_fma_f32 v[8:9], v[6:7], v[0:1], v[4:5] op_sel:[0,0,1] op_sel_hi:[1,1,0] neg_lo:[0,0,1] neg_hi:[0,0,1]
	v_pk_fma_f32 v[4:5], v[6:7], v[0:1], v[4:5] op_sel:[0,0,1] op_sel_hi:[1,0,0]
	v_mov_b32_e32 v9, v5
	ds_load_2addr_b64 v[4:7], v134 offset0:42 offset1:43
	v_pk_add_f32 v[180:181], v[180:181], v[8:9] neg_lo:[0,1] neg_hi:[0,1]
	s_wait_dscnt 0x0
	v_pk_mul_f32 v[8:9], v[4:5], v[2:3] op_sel:[0,1]
	s_delay_alu instid0(VALU_DEP_1) | instskip(SKIP_1) | instid1(VALU_DEP_1)
	v_pk_fma_f32 v[10:11], v[4:5], v[0:1], v[8:9] op_sel:[0,0,1] op_sel_hi:[1,1,0] neg_lo:[0,0,1] neg_hi:[0,0,1]
	v_pk_fma_f32 v[4:5], v[4:5], v[0:1], v[8:9] op_sel:[0,0,1] op_sel_hi:[1,0,0]
	v_mov_b32_e32 v11, v5
	v_pk_mul_f32 v[4:5], v[6:7], v[2:3] op_sel:[0,1]
	s_delay_alu instid0(VALU_DEP_2) | instskip(NEXT) | instid1(VALU_DEP_2)
	v_pk_add_f32 v[182:183], v[182:183], v[10:11] neg_lo:[0,1] neg_hi:[0,1]
	v_pk_fma_f32 v[8:9], v[6:7], v[0:1], v[4:5] op_sel:[0,0,1] op_sel_hi:[1,1,0] neg_lo:[0,0,1] neg_hi:[0,0,1]
	v_pk_fma_f32 v[4:5], v[6:7], v[0:1], v[4:5] op_sel:[0,0,1] op_sel_hi:[1,0,0]
	s_delay_alu instid0(VALU_DEP_1) | instskip(SKIP_4) | instid1(VALU_DEP_1)
	v_mov_b32_e32 v9, v5
	ds_load_2addr_b64 v[4:7], v134 offset0:44 offset1:45
	v_pk_add_f32 v[178:179], v[178:179], v[8:9] neg_lo:[0,1] neg_hi:[0,1]
	s_wait_dscnt 0x0
	v_pk_mul_f32 v[8:9], v[4:5], v[2:3] op_sel:[0,1]
	v_pk_fma_f32 v[10:11], v[4:5], v[0:1], v[8:9] op_sel:[0,0,1] op_sel_hi:[1,1,0] neg_lo:[0,0,1] neg_hi:[0,0,1]
	v_pk_fma_f32 v[4:5], v[4:5], v[0:1], v[8:9] op_sel:[0,0,1] op_sel_hi:[1,0,0]
	v_dual_mul_f32 v8, v7, v3 :: v_dual_mov_b32 v4, v7
	s_delay_alu instid0(VALU_DEP_2) | instskip(NEXT) | instid1(VALU_DEP_2)
	v_dual_mov_b32 v11, v5 :: v_dual_mov_b32 v5, v6
	v_pk_fma_f32 v[8:9], v[6:7], v[34:35], v[8:9] op_sel_hi:[1,1,0] neg_lo:[0,0,1] neg_hi:[0,0,1]
	v_mul_f32_e32 v6, v7, v0
	s_delay_alu instid0(VALU_DEP_3) | instskip(NEXT) | instid1(VALU_DEP_2)
	v_pk_add_f32 v[208:209], v[208:209], v[10:11] neg_lo:[0,1] neg_hi:[0,1]
	v_pk_fma_f32 v[4:5], v[4:5], v[34:35], v[6:7] op_sel_hi:[1,1,0]
	s_delay_alu instid0(VALU_DEP_1) | instskip(SKIP_4) | instid1(VALU_DEP_1)
	v_mov_b32_e32 v9, v5
	ds_load_2addr_b64 v[4:7], v134 offset0:46 offset1:47
	v_pk_add_f32 v[200:201], v[200:201], v[8:9] neg_lo:[0,1] neg_hi:[0,1]
	s_wait_dscnt 0x0
	v_pk_mul_f32 v[8:9], v[4:5], v[2:3] op_sel:[0,1]
	v_pk_fma_f32 v[10:11], v[4:5], v[0:1], v[8:9] op_sel:[0,0,1] op_sel_hi:[1,1,0] neg_lo:[0,0,1] neg_hi:[0,0,1]
	v_pk_fma_f32 v[4:5], v[4:5], v[0:1], v[8:9] op_sel:[0,0,1] op_sel_hi:[1,0,0]
	s_delay_alu instid0(VALU_DEP_1) | instskip(SKIP_1) | instid1(VALU_DEP_1)
	v_mov_b32_e32 v11, v5
	v_pk_mul_f32 v[4:5], v[6:7], v[2:3] op_sel:[0,1]
	v_pk_fma_f32 v[8:9], v[6:7], v[0:1], v[4:5] op_sel:[0,0,1] op_sel_hi:[1,1,0] neg_lo:[0,0,1] neg_hi:[0,0,1]
	v_pk_fma_f32 v[4:5], v[6:7], v[0:1], v[4:5] op_sel:[0,0,1] op_sel_hi:[1,0,0]
	s_delay_alu instid0(VALU_DEP_1)
	v_mov_b32_e32 v9, v5
	ds_load_2addr_b64 v[4:7], v134 offset0:48 offset1:49
	v_pk_add_f32 v[206:207], v[206:207], v[10:11] neg_lo:[0,1] neg_hi:[0,1]
	v_pk_add_f32 v[198:199], v[198:199], v[8:9] neg_lo:[0,1] neg_hi:[0,1]
	s_wait_dscnt 0x0
	v_pk_mul_f32 v[8:9], v[4:5], v[2:3] op_sel:[0,1]
	s_delay_alu instid0(VALU_DEP_1) | instskip(SKIP_1) | instid1(VALU_DEP_1)
	v_pk_fma_f32 v[10:11], v[4:5], v[0:1], v[8:9] op_sel:[0,0,1] op_sel_hi:[1,1,0] neg_lo:[0,0,1] neg_hi:[0,0,1]
	v_pk_fma_f32 v[4:5], v[4:5], v[0:1], v[8:9] op_sel:[0,0,1] op_sel_hi:[1,0,0]
	v_mov_b32_e32 v11, v5
	v_pk_mul_f32 v[4:5], v[6:7], v[2:3] op_sel:[0,1]
	s_delay_alu instid0(VALU_DEP_1) | instskip(SKIP_1) | instid1(VALU_DEP_1)
	v_pk_fma_f32 v[8:9], v[6:7], v[0:1], v[4:5] op_sel:[0,0,1] op_sel_hi:[1,1,0] neg_lo:[0,0,1] neg_hi:[0,0,1]
	v_pk_fma_f32 v[4:5], v[6:7], v[0:1], v[4:5] op_sel:[0,0,1] op_sel_hi:[1,0,0]
	v_mov_b32_e32 v9, v5
	ds_load_2addr_b64 v[4:7], v134 offset0:50 offset1:51
	v_pk_add_f32 v[204:205], v[204:205], v[10:11] neg_lo:[0,1] neg_hi:[0,1]
	v_pk_add_f32 v[196:197], v[196:197], v[8:9] neg_lo:[0,1] neg_hi:[0,1]
	s_wait_dscnt 0x0
	v_dual_mul_f32 v8, v5, v3 :: v_dual_mul_f32 v10, v5, v0
	s_delay_alu instid0(VALU_DEP_1) | instskip(NEXT) | instid1(VALU_DEP_2)
	v_pk_fma_f32 v[8:9], v[4:5], v[34:35], v[8:9] op_sel_hi:[1,1,0] neg_lo:[0,0,1] neg_hi:[0,0,1]
	v_pk_fma_f32 v[4:5], v[4:5], v[34:35], v[10:11] op_sel:[1,0,0] op_sel_hi:[0,1,0]
	s_delay_alu instid0(VALU_DEP_1) | instskip(SKIP_1) | instid1(VALU_DEP_2)
	v_mov_b32_e32 v9, v5
	v_pk_mul_f32 v[4:5], v[6:7], v[2:3] op_sel:[0,1]
	v_pk_add_f32 v[202:203], v[202:203], v[8:9] neg_lo:[0,1] neg_hi:[0,1]
	s_delay_alu instid0(VALU_DEP_2) | instskip(SKIP_1) | instid1(VALU_DEP_1)
	v_pk_fma_f32 v[8:9], v[6:7], v[0:1], v[4:5] op_sel:[0,0,1] op_sel_hi:[1,1,0] neg_lo:[0,0,1] neg_hi:[0,0,1]
	v_pk_fma_f32 v[4:5], v[6:7], v[0:1], v[4:5] op_sel:[0,0,1] op_sel_hi:[1,0,0]
	v_mov_b32_e32 v9, v5
	ds_load_b64 v[4:5], v134 offset:416
	v_pk_add_f32 v[210:211], v[210:211], v[8:9] neg_lo:[0,1] neg_hi:[0,1]
	s_wait_dscnt 0x0
	v_pk_mul_f32 v[2:3], v[4:5], v[2:3] op_sel:[0,1]
	s_delay_alu instid0(VALU_DEP_1) | instskip(SKIP_1) | instid1(VALU_DEP_1)
	v_pk_fma_f32 v[6:7], v[4:5], v[0:1], v[2:3] op_sel:[0,0,1] op_sel_hi:[1,1,0] neg_lo:[0,0,1] neg_hi:[0,0,1]
	v_pk_fma_f32 v[0:1], v[4:5], v[0:1], v[2:3] op_sel:[0,0,1] op_sel_hi:[1,0,0]
	v_mov_b32_e32 v7, v1
	s_delay_alu instid0(VALU_DEP_1)
	v_pk_add_f32 v[212:213], v[212:213], v[6:7] neg_lo:[0,1] neg_hi:[0,1]
.LBB105_109:
	s_wait_xcnt 0x0
	s_or_b32 exec_lo, exec_lo, s1
	s_delay_alu instid0(SALU_CYCLE_1)
	s_mov_b32 s2, exec_lo
	s_wait_storecnt 0x0
	s_barrier_signal -1
	s_barrier_wait -1
	v_cmpx_eq_u32_e32 12, v132
	s_cbranch_execz .LBB105_116
; %bb.110:
	ds_store_b64 v133, v[64:65]
	ds_store_2addr_b64 v134, v[60:61], v[62:63] offset0:13 offset1:14
	ds_store_2addr_b64 v134, v[58:59], v[80:81] offset0:15 offset1:16
	;; [unrolled: 1-line block ×20, first 2 shown]
	ds_load_b64 v[0:1], v133
	s_wait_dscnt 0x0
	v_cmp_neq_f32_e32 vcc_lo, 0, v0
	v_cmp_neq_f32_e64 s1, 0, v1
	s_or_b32 s1, vcc_lo, s1
	s_delay_alu instid0(SALU_CYCLE_1)
	s_and_b32 exec_lo, exec_lo, s1
	s_cbranch_execz .LBB105_116
; %bb.111:
	v_cmp_ngt_f32_e64 s1, |v0|, |v1|
                                        ; implicit-def: $vgpr2_vgpr3
	s_and_saveexec_b32 s4, s1
	s_delay_alu instid0(SALU_CYCLE_1)
	s_xor_b32 s1, exec_lo, s4
	s_cbranch_execz .LBB105_113
; %bb.112:
	v_div_scale_f32 v2, null, v1, v1, v0
	v_div_scale_f32 v5, vcc_lo, v0, v1, v0
	s_delay_alu instid0(VALU_DEP_2) | instskip(SKIP_1) | instid1(TRANS32_DEP_1)
	v_rcp_f32_e32 v3, v2
	v_nop
	v_fma_f32 v4, -v2, v3, 1.0
	s_delay_alu instid0(VALU_DEP_1) | instskip(NEXT) | instid1(VALU_DEP_1)
	v_fmac_f32_e32 v3, v4, v3
	v_mul_f32_e32 v4, v5, v3
	s_delay_alu instid0(VALU_DEP_1) | instskip(NEXT) | instid1(VALU_DEP_1)
	v_fma_f32 v6, -v2, v4, v5
	v_fmac_f32_e32 v4, v6, v3
	s_delay_alu instid0(VALU_DEP_1) | instskip(NEXT) | instid1(VALU_DEP_1)
	v_fma_f32 v2, -v2, v4, v5
	v_div_fmas_f32 v2, v2, v3, v4
	s_delay_alu instid0(VALU_DEP_1) | instskip(NEXT) | instid1(VALU_DEP_1)
	v_div_fixup_f32 v2, v2, v1, v0
	v_fmac_f32_e32 v1, v0, v2
	s_delay_alu instid0(VALU_DEP_1) | instskip(SKIP_1) | instid1(VALU_DEP_2)
	v_div_scale_f32 v0, null, v1, v1, 1.0
	v_div_scale_f32 v5, vcc_lo, 1.0, v1, 1.0
	v_rcp_f32_e32 v3, v0
	v_nop
	s_delay_alu instid0(TRANS32_DEP_1) | instskip(NEXT) | instid1(VALU_DEP_1)
	v_fma_f32 v4, -v0, v3, 1.0
	v_fmac_f32_e32 v3, v4, v3
	s_delay_alu instid0(VALU_DEP_1) | instskip(NEXT) | instid1(VALU_DEP_1)
	v_mul_f32_e32 v4, v5, v3
	v_fma_f32 v6, -v0, v4, v5
	s_delay_alu instid0(VALU_DEP_1) | instskip(NEXT) | instid1(VALU_DEP_1)
	v_fmac_f32_e32 v4, v6, v3
	v_fma_f32 v0, -v0, v4, v5
	s_delay_alu instid0(VALU_DEP_1) | instskip(NEXT) | instid1(VALU_DEP_1)
	v_div_fmas_f32 v0, v0, v3, v4
	v_div_fixup_f32 v0, v0, v1, 1.0
	s_delay_alu instid0(VALU_DEP_1)
	v_mul_f32_e32 v2, v2, v0
	v_xor_b32_e32 v3, 0x80000000, v0
                                        ; implicit-def: $vgpr0_vgpr1
.LBB105_113:
	s_and_not1_saveexec_b32 s1, s1
	s_cbranch_execz .LBB105_115
; %bb.114:
	v_div_scale_f32 v2, null, v0, v0, v1
	v_div_scale_f32 v5, vcc_lo, v1, v0, v1
	s_delay_alu instid0(VALU_DEP_2) | instskip(SKIP_1) | instid1(TRANS32_DEP_1)
	v_rcp_f32_e32 v3, v2
	v_nop
	v_fma_f32 v4, -v2, v3, 1.0
	s_delay_alu instid0(VALU_DEP_1) | instskip(NEXT) | instid1(VALU_DEP_1)
	v_fmac_f32_e32 v3, v4, v3
	v_mul_f32_e32 v4, v5, v3
	s_delay_alu instid0(VALU_DEP_1) | instskip(NEXT) | instid1(VALU_DEP_1)
	v_fma_f32 v6, -v2, v4, v5
	v_fmac_f32_e32 v4, v6, v3
	s_delay_alu instid0(VALU_DEP_1) | instskip(NEXT) | instid1(VALU_DEP_1)
	v_fma_f32 v2, -v2, v4, v5
	v_div_fmas_f32 v2, v2, v3, v4
	s_delay_alu instid0(VALU_DEP_1) | instskip(NEXT) | instid1(VALU_DEP_1)
	v_div_fixup_f32 v3, v2, v0, v1
	v_fmac_f32_e32 v0, v1, v3
	s_delay_alu instid0(VALU_DEP_1) | instskip(NEXT) | instid1(VALU_DEP_1)
	v_div_scale_f32 v1, null, v0, v0, 1.0
	v_rcp_f32_e32 v2, v1
	v_nop
	s_delay_alu instid0(TRANS32_DEP_1) | instskip(NEXT) | instid1(VALU_DEP_1)
	v_fma_f32 v4, -v1, v2, 1.0
	v_fmac_f32_e32 v2, v4, v2
	v_div_scale_f32 v4, vcc_lo, 1.0, v0, 1.0
	s_delay_alu instid0(VALU_DEP_1) | instskip(NEXT) | instid1(VALU_DEP_1)
	v_mul_f32_e32 v5, v4, v2
	v_fma_f32 v6, -v1, v5, v4
	s_delay_alu instid0(VALU_DEP_1) | instskip(NEXT) | instid1(VALU_DEP_1)
	v_fmac_f32_e32 v5, v6, v2
	v_fma_f32 v1, -v1, v5, v4
	s_delay_alu instid0(VALU_DEP_1) | instskip(NEXT) | instid1(VALU_DEP_1)
	v_div_fmas_f32 v1, v1, v2, v5
	v_div_fixup_f32 v2, v1, v0, 1.0
	s_delay_alu instid0(VALU_DEP_1)
	v_mul_f32_e64 v3, v3, -v2
.LBB105_115:
	s_or_b32 exec_lo, exec_lo, s1
	ds_store_b64 v133, v[2:3]
.LBB105_116:
	s_or_b32 exec_lo, exec_lo, s2
	s_wait_dscnt 0x0
	s_barrier_signal -1
	s_barrier_wait -1
	ds_load_b64 v[0:1], v133
	s_mov_b32 s1, exec_lo
	s_wait_dscnt 0x0
	scratch_store_b64 off, v[0:1], off offset:224 ; 8-byte Folded Spill
	s_wait_xcnt 0x0
	v_cmpx_lt_u32_e32 12, v132
	s_cbranch_execz .LBB105_118
; %bb.117:
	scratch_load_b64 v[4:5], off, off offset:224 ; 8-byte Folded Reload
	s_wait_loadcnt 0x0
	v_pk_mul_f32 v[2:3], v[4:5], v[64:65] op_sel:[1,1] op_sel_hi:[0,1]
	s_delay_alu instid0(VALU_DEP_1)
	v_pk_fma_f32 v[0:1], v[4:5], v[64:65], v[2:3] op_sel_hi:[1,0,1] neg_lo:[0,0,1] neg_hi:[0,0,1]
	v_pk_fma_f32 v[2:3], v[4:5], v[64:65], v[2:3] op_sel_hi:[1,0,1]
	ds_load_2addr_b64 v[4:7], v134 offset0:13 offset1:14
	v_dual_mov_b32 v64, v0 :: v_dual_mov_b32 v65, v3
	s_wait_dscnt 0x0
	v_pk_mul_f32 v[8:9], v[4:5], v[2:3] op_sel:[0,1]
	s_delay_alu instid0(VALU_DEP_1) | instskip(SKIP_1) | instid1(VALU_DEP_1)
	v_pk_fma_f32 v[10:11], v[4:5], v[0:1], v[8:9] op_sel:[0,0,1] op_sel_hi:[1,1,0] neg_lo:[0,0,1] neg_hi:[0,0,1]
	v_pk_fma_f32 v[4:5], v[4:5], v[0:1], v[8:9] op_sel:[0,0,1] op_sel_hi:[1,0,0]
	v_mov_b32_e32 v11, v5
	v_pk_mul_f32 v[4:5], v[6:7], v[2:3] op_sel:[0,1]
	s_delay_alu instid0(VALU_DEP_1) | instskip(SKIP_1) | instid1(VALU_DEP_1)
	v_pk_fma_f32 v[8:9], v[6:7], v[0:1], v[4:5] op_sel:[0,0,1] op_sel_hi:[1,1,0] neg_lo:[0,0,1] neg_hi:[0,0,1]
	v_pk_fma_f32 v[4:5], v[6:7], v[0:1], v[4:5] op_sel:[0,0,1] op_sel_hi:[1,0,0]
	v_mov_b32_e32 v9, v5
	ds_load_2addr_b64 v[4:7], v134 offset0:15 offset1:16
	v_pk_add_f32 v[60:61], v[60:61], v[10:11] neg_lo:[0,1] neg_hi:[0,1]
	v_pk_add_f32 v[62:63], v[62:63], v[8:9] neg_lo:[0,1] neg_hi:[0,1]
	s_wait_dscnt 0x0
	v_pk_mul_f32 v[8:9], v[4:5], v[2:3] op_sel:[0,1]
	s_delay_alu instid0(VALU_DEP_1) | instskip(SKIP_2) | instid1(VALU_DEP_2)
	v_pk_fma_f32 v[10:11], v[4:5], v[0:1], v[8:9] op_sel:[0,0,1] op_sel_hi:[1,1,0] neg_lo:[0,0,1] neg_hi:[0,0,1]
	v_pk_fma_f32 v[4:5], v[4:5], v[0:1], v[8:9] op_sel:[0,0,1] op_sel_hi:[1,0,0]
	v_dual_mul_f32 v8, v7, v3 :: v_dual_mov_b32 v4, v7
	v_dual_mov_b32 v11, v5 :: v_dual_mov_b32 v5, v6
	s_delay_alu instid0(VALU_DEP_2) | instskip(SKIP_1) | instid1(VALU_DEP_3)
	v_pk_fma_f32 v[8:9], v[6:7], v[64:65], v[8:9] op_sel_hi:[1,1,0] neg_lo:[0,0,1] neg_hi:[0,0,1]
	v_mul_f32_e32 v6, v7, v0
	v_pk_add_f32 v[58:59], v[58:59], v[10:11] neg_lo:[0,1] neg_hi:[0,1]
	s_delay_alu instid0(VALU_DEP_2) | instskip(NEXT) | instid1(VALU_DEP_1)
	v_pk_fma_f32 v[4:5], v[4:5], v[64:65], v[6:7] op_sel_hi:[1,1,0]
	v_mov_b32_e32 v9, v5
	ds_load_2addr_b64 v[4:7], v134 offset0:17 offset1:18
	v_pk_add_f32 v[80:81], v[80:81], v[8:9] neg_lo:[0,1] neg_hi:[0,1]
	s_wait_dscnt 0x0
	v_pk_mul_f32 v[8:9], v[4:5], v[2:3] op_sel:[0,1]
	s_delay_alu instid0(VALU_DEP_1) | instskip(SKIP_1) | instid1(VALU_DEP_1)
	v_pk_fma_f32 v[10:11], v[4:5], v[0:1], v[8:9] op_sel:[0,0,1] op_sel_hi:[1,1,0] neg_lo:[0,0,1] neg_hi:[0,0,1]
	v_pk_fma_f32 v[4:5], v[4:5], v[0:1], v[8:9] op_sel:[0,0,1] op_sel_hi:[1,0,0]
	v_mov_b32_e32 v11, v5
	v_pk_mul_f32 v[4:5], v[6:7], v[2:3] op_sel:[0,1]
	s_delay_alu instid0(VALU_DEP_1) | instskip(SKIP_1) | instid1(VALU_DEP_1)
	v_pk_fma_f32 v[8:9], v[6:7], v[0:1], v[4:5] op_sel:[0,0,1] op_sel_hi:[1,1,0] neg_lo:[0,0,1] neg_hi:[0,0,1]
	v_pk_fma_f32 v[4:5], v[6:7], v[0:1], v[4:5] op_sel:[0,0,1] op_sel_hi:[1,0,0]
	v_mov_b32_e32 v9, v5
	ds_load_2addr_b64 v[4:7], v134 offset0:19 offset1:20
	v_pk_add_f32 v[76:77], v[76:77], v[10:11] neg_lo:[0,1] neg_hi:[0,1]
	v_pk_add_f32 v[78:79], v[78:79], v[8:9] neg_lo:[0,1] neg_hi:[0,1]
	s_wait_dscnt 0x0
	v_pk_mul_f32 v[8:9], v[4:5], v[2:3] op_sel:[0,1]
	s_delay_alu instid0(VALU_DEP_1) | instskip(SKIP_1) | instid1(VALU_DEP_1)
	v_pk_fma_f32 v[10:11], v[4:5], v[0:1], v[8:9] op_sel:[0,0,1] op_sel_hi:[1,1,0] neg_lo:[0,0,1] neg_hi:[0,0,1]
	v_pk_fma_f32 v[4:5], v[4:5], v[0:1], v[8:9] op_sel:[0,0,1] op_sel_hi:[1,0,0]
	v_mov_b32_e32 v11, v5
	v_pk_mul_f32 v[4:5], v[6:7], v[2:3] op_sel:[0,1]
	s_delay_alu instid0(VALU_DEP_1) | instskip(SKIP_1) | instid1(VALU_DEP_1)
	v_pk_fma_f32 v[8:9], v[6:7], v[0:1], v[4:5] op_sel:[0,0,1] op_sel_hi:[1,1,0] neg_lo:[0,0,1] neg_hi:[0,0,1]
	v_pk_fma_f32 v[4:5], v[6:7], v[0:1], v[4:5] op_sel:[0,0,1] op_sel_hi:[1,0,0]
	v_mov_b32_e32 v9, v5
	ds_load_2addr_b64 v[4:7], v134 offset0:21 offset1:22
	v_pk_add_f32 v[74:75], v[74:75], v[10:11] neg_lo:[0,1] neg_hi:[0,1]
	v_pk_add_f32 v[96:97], v[96:97], v[8:9] neg_lo:[0,1] neg_hi:[0,1]
	s_wait_dscnt 0x0
	v_dual_mul_f32 v8, v5, v3 :: v_dual_mul_f32 v10, v5, v0
	s_delay_alu instid0(VALU_DEP_1) | instskip(NEXT) | instid1(VALU_DEP_2)
	v_pk_fma_f32 v[8:9], v[4:5], v[64:65], v[8:9] op_sel_hi:[1,1,0] neg_lo:[0,0,1] neg_hi:[0,0,1]
	v_pk_fma_f32 v[4:5], v[4:5], v[64:65], v[10:11] op_sel:[1,0,0] op_sel_hi:[0,1,0]
	s_delay_alu instid0(VALU_DEP_1) | instskip(SKIP_1) | instid1(VALU_DEP_2)
	v_mov_b32_e32 v9, v5
	v_pk_mul_f32 v[4:5], v[6:7], v[2:3] op_sel:[0,1]
	v_pk_add_f32 v[92:93], v[92:93], v[8:9] neg_lo:[0,1] neg_hi:[0,1]
	s_delay_alu instid0(VALU_DEP_2) | instskip(SKIP_1) | instid1(VALU_DEP_1)
	v_pk_fma_f32 v[8:9], v[6:7], v[0:1], v[4:5] op_sel:[0,0,1] op_sel_hi:[1,1,0] neg_lo:[0,0,1] neg_hi:[0,0,1]
	v_pk_fma_f32 v[4:5], v[6:7], v[0:1], v[4:5] op_sel:[0,0,1] op_sel_hi:[1,0,0]
	v_mov_b32_e32 v9, v5
	ds_load_2addr_b64 v[4:7], v134 offset0:23 offset1:24
	v_pk_add_f32 v[94:95], v[94:95], v[8:9] neg_lo:[0,1] neg_hi:[0,1]
	s_wait_dscnt 0x0
	v_pk_mul_f32 v[8:9], v[4:5], v[2:3] op_sel:[0,1]
	s_delay_alu instid0(VALU_DEP_1) | instskip(SKIP_1) | instid1(VALU_DEP_1)
	v_pk_fma_f32 v[10:11], v[4:5], v[0:1], v[8:9] op_sel:[0,0,1] op_sel_hi:[1,1,0] neg_lo:[0,0,1] neg_hi:[0,0,1]
	v_pk_fma_f32 v[4:5], v[4:5], v[0:1], v[8:9] op_sel:[0,0,1] op_sel_hi:[1,0,0]
	v_mov_b32_e32 v11, v5
	v_pk_mul_f32 v[4:5], v[6:7], v[2:3] op_sel:[0,1]
	s_delay_alu instid0(VALU_DEP_2) | instskip(NEXT) | instid1(VALU_DEP_2)
	v_pk_add_f32 v[90:91], v[90:91], v[10:11] neg_lo:[0,1] neg_hi:[0,1]
	v_pk_fma_f32 v[8:9], v[6:7], v[0:1], v[4:5] op_sel:[0,0,1] op_sel_hi:[1,1,0] neg_lo:[0,0,1] neg_hi:[0,0,1]
	v_pk_fma_f32 v[4:5], v[6:7], v[0:1], v[4:5] op_sel:[0,0,1] op_sel_hi:[1,0,0]
	s_delay_alu instid0(VALU_DEP_1) | instskip(SKIP_4) | instid1(VALU_DEP_1)
	v_mov_b32_e32 v9, v5
	ds_load_2addr_b64 v[4:7], v134 offset0:25 offset1:26
	v_pk_add_f32 v[112:113], v[112:113], v[8:9] neg_lo:[0,1] neg_hi:[0,1]
	s_wait_dscnt 0x0
	v_pk_mul_f32 v[8:9], v[4:5], v[2:3] op_sel:[0,1]
	v_pk_fma_f32 v[10:11], v[4:5], v[0:1], v[8:9] op_sel:[0,0,1] op_sel_hi:[1,1,0] neg_lo:[0,0,1] neg_hi:[0,0,1]
	v_pk_fma_f32 v[4:5], v[4:5], v[0:1], v[8:9] op_sel:[0,0,1] op_sel_hi:[1,0,0]
	v_dual_mul_f32 v8, v7, v3 :: v_dual_mov_b32 v4, v7
	s_delay_alu instid0(VALU_DEP_2) | instskip(NEXT) | instid1(VALU_DEP_2)
	v_dual_mov_b32 v11, v5 :: v_dual_mov_b32 v5, v6
	v_pk_fma_f32 v[8:9], v[6:7], v[64:65], v[8:9] op_sel_hi:[1,1,0] neg_lo:[0,0,1] neg_hi:[0,0,1]
	v_mul_f32_e32 v6, v7, v0
	s_delay_alu instid0(VALU_DEP_3) | instskip(NEXT) | instid1(VALU_DEP_2)
	v_pk_add_f32 v[108:109], v[108:109], v[10:11] neg_lo:[0,1] neg_hi:[0,1]
	v_pk_fma_f32 v[4:5], v[4:5], v[64:65], v[6:7] op_sel_hi:[1,1,0]
	s_delay_alu instid0(VALU_DEP_1) | instskip(SKIP_4) | instid1(VALU_DEP_1)
	v_mov_b32_e32 v9, v5
	ds_load_2addr_b64 v[4:7], v134 offset0:27 offset1:28
	v_pk_add_f32 v[110:111], v[110:111], v[8:9] neg_lo:[0,1] neg_hi:[0,1]
	s_wait_dscnt 0x0
	v_pk_mul_f32 v[8:9], v[4:5], v[2:3] op_sel:[0,1]
	v_pk_fma_f32 v[10:11], v[4:5], v[0:1], v[8:9] op_sel:[0,0,1] op_sel_hi:[1,1,0] neg_lo:[0,0,1] neg_hi:[0,0,1]
	v_pk_fma_f32 v[4:5], v[4:5], v[0:1], v[8:9] op_sel:[0,0,1] op_sel_hi:[1,0,0]
	s_delay_alu instid0(VALU_DEP_1) | instskip(SKIP_1) | instid1(VALU_DEP_1)
	v_mov_b32_e32 v11, v5
	v_pk_mul_f32 v[4:5], v[6:7], v[2:3] op_sel:[0,1]
	v_pk_fma_f32 v[8:9], v[6:7], v[0:1], v[4:5] op_sel:[0,0,1] op_sel_hi:[1,1,0] neg_lo:[0,0,1] neg_hi:[0,0,1]
	v_pk_fma_f32 v[4:5], v[6:7], v[0:1], v[4:5] op_sel:[0,0,1] op_sel_hi:[1,0,0]
	s_delay_alu instid0(VALU_DEP_1)
	v_mov_b32_e32 v9, v5
	ds_load_2addr_b64 v[4:7], v134 offset0:29 offset1:30
	v_pk_add_f32 v[106:107], v[106:107], v[10:11] neg_lo:[0,1] neg_hi:[0,1]
	v_pk_add_f32 v[130:131], v[130:131], v[8:9] neg_lo:[0,1] neg_hi:[0,1]
	s_wait_dscnt 0x0
	v_pk_mul_f32 v[8:9], v[4:5], v[2:3] op_sel:[0,1]
	s_delay_alu instid0(VALU_DEP_1) | instskip(SKIP_1) | instid1(VALU_DEP_1)
	v_pk_fma_f32 v[10:11], v[4:5], v[0:1], v[8:9] op_sel:[0,0,1] op_sel_hi:[1,1,0] neg_lo:[0,0,1] neg_hi:[0,0,1]
	v_pk_fma_f32 v[4:5], v[4:5], v[0:1], v[8:9] op_sel:[0,0,1] op_sel_hi:[1,0,0]
	v_mov_b32_e32 v11, v5
	v_pk_mul_f32 v[4:5], v[6:7], v[2:3] op_sel:[0,1]
	s_delay_alu instid0(VALU_DEP_1) | instskip(SKIP_1) | instid1(VALU_DEP_1)
	v_pk_fma_f32 v[8:9], v[6:7], v[0:1], v[4:5] op_sel:[0,0,1] op_sel_hi:[1,1,0] neg_lo:[0,0,1] neg_hi:[0,0,1]
	v_pk_fma_f32 v[4:5], v[6:7], v[0:1], v[4:5] op_sel:[0,0,1] op_sel_hi:[1,0,0]
	v_mov_b32_e32 v9, v5
	ds_load_2addr_b64 v[4:7], v134 offset0:31 offset1:32
	v_pk_add_f32 v[126:127], v[126:127], v[10:11] neg_lo:[0,1] neg_hi:[0,1]
	v_pk_add_f32 v[128:129], v[128:129], v[8:9] neg_lo:[0,1] neg_hi:[0,1]
	s_wait_dscnt 0x0
	v_dual_mul_f32 v8, v5, v3 :: v_dual_mul_f32 v10, v5, v0
	s_delay_alu instid0(VALU_DEP_1) | instskip(NEXT) | instid1(VALU_DEP_2)
	v_pk_fma_f32 v[8:9], v[4:5], v[64:65], v[8:9] op_sel_hi:[1,1,0] neg_lo:[0,0,1] neg_hi:[0,0,1]
	v_pk_fma_f32 v[4:5], v[4:5], v[64:65], v[10:11] op_sel:[1,0,0] op_sel_hi:[0,1,0]
	s_delay_alu instid0(VALU_DEP_1) | instskip(SKIP_1) | instid1(VALU_DEP_2)
	v_mov_b32_e32 v9, v5
	v_pk_mul_f32 v[4:5], v[6:7], v[2:3] op_sel:[0,1]
	v_pk_add_f32 v[124:125], v[124:125], v[8:9] neg_lo:[0,1] neg_hi:[0,1]
	s_delay_alu instid0(VALU_DEP_2) | instskip(SKIP_1) | instid1(VALU_DEP_1)
	v_pk_fma_f32 v[8:9], v[6:7], v[0:1], v[4:5] op_sel:[0,0,1] op_sel_hi:[1,1,0] neg_lo:[0,0,1] neg_hi:[0,0,1]
	v_pk_fma_f32 v[4:5], v[6:7], v[0:1], v[4:5] op_sel:[0,0,1] op_sel_hi:[1,0,0]
	v_mov_b32_e32 v9, v5
	ds_load_2addr_b64 v[4:7], v134 offset0:33 offset1:34
	v_pk_add_f32 v[146:147], v[146:147], v[8:9] neg_lo:[0,1] neg_hi:[0,1]
	s_wait_dscnt 0x0
	v_pk_mul_f32 v[8:9], v[4:5], v[2:3] op_sel:[0,1]
	s_delay_alu instid0(VALU_DEP_1) | instskip(SKIP_1) | instid1(VALU_DEP_1)
	v_pk_fma_f32 v[10:11], v[4:5], v[0:1], v[8:9] op_sel:[0,0,1] op_sel_hi:[1,1,0] neg_lo:[0,0,1] neg_hi:[0,0,1]
	v_pk_fma_f32 v[4:5], v[4:5], v[0:1], v[8:9] op_sel:[0,0,1] op_sel_hi:[1,0,0]
	v_mov_b32_e32 v11, v5
	v_pk_mul_f32 v[4:5], v[6:7], v[2:3] op_sel:[0,1]
	s_delay_alu instid0(VALU_DEP_2) | instskip(NEXT) | instid1(VALU_DEP_2)
	v_pk_add_f32 v[142:143], v[142:143], v[10:11] neg_lo:[0,1] neg_hi:[0,1]
	v_pk_fma_f32 v[8:9], v[6:7], v[0:1], v[4:5] op_sel:[0,0,1] op_sel_hi:[1,1,0] neg_lo:[0,0,1] neg_hi:[0,0,1]
	v_pk_fma_f32 v[4:5], v[6:7], v[0:1], v[4:5] op_sel:[0,0,1] op_sel_hi:[1,0,0]
	s_delay_alu instid0(VALU_DEP_1) | instskip(SKIP_4) | instid1(VALU_DEP_1)
	v_mov_b32_e32 v9, v5
	ds_load_2addr_b64 v[4:7], v134 offset0:35 offset1:36
	v_pk_add_f32 v[144:145], v[144:145], v[8:9] neg_lo:[0,1] neg_hi:[0,1]
	s_wait_dscnt 0x0
	v_pk_mul_f32 v[8:9], v[4:5], v[2:3] op_sel:[0,1]
	v_pk_fma_f32 v[10:11], v[4:5], v[0:1], v[8:9] op_sel:[0,0,1] op_sel_hi:[1,1,0] neg_lo:[0,0,1] neg_hi:[0,0,1]
	v_pk_fma_f32 v[4:5], v[4:5], v[0:1], v[8:9] op_sel:[0,0,1] op_sel_hi:[1,0,0]
	v_dual_mul_f32 v8, v7, v3 :: v_dual_mov_b32 v4, v7
	s_delay_alu instid0(VALU_DEP_2) | instskip(NEXT) | instid1(VALU_DEP_2)
	v_dual_mov_b32 v11, v5 :: v_dual_mov_b32 v5, v6
	v_pk_fma_f32 v[8:9], v[6:7], v[64:65], v[8:9] op_sel_hi:[1,1,0] neg_lo:[0,0,1] neg_hi:[0,0,1]
	v_mul_f32_e32 v6, v7, v0
	s_delay_alu instid0(VALU_DEP_3) | instskip(NEXT) | instid1(VALU_DEP_2)
	v_pk_add_f32 v[140:141], v[140:141], v[10:11] neg_lo:[0,1] neg_hi:[0,1]
	v_pk_fma_f32 v[4:5], v[4:5], v[64:65], v[6:7] op_sel_hi:[1,1,0]
	s_delay_alu instid0(VALU_DEP_1) | instskip(SKIP_4) | instid1(VALU_DEP_1)
	v_mov_b32_e32 v9, v5
	ds_load_2addr_b64 v[4:7], v134 offset0:37 offset1:38
	v_pk_add_f32 v[162:163], v[162:163], v[8:9] neg_lo:[0,1] neg_hi:[0,1]
	s_wait_dscnt 0x0
	v_pk_mul_f32 v[8:9], v[4:5], v[2:3] op_sel:[0,1]
	v_pk_fma_f32 v[10:11], v[4:5], v[0:1], v[8:9] op_sel:[0,0,1] op_sel_hi:[1,1,0] neg_lo:[0,0,1] neg_hi:[0,0,1]
	v_pk_fma_f32 v[4:5], v[4:5], v[0:1], v[8:9] op_sel:[0,0,1] op_sel_hi:[1,0,0]
	s_delay_alu instid0(VALU_DEP_1) | instskip(SKIP_1) | instid1(VALU_DEP_1)
	v_mov_b32_e32 v11, v5
	v_pk_mul_f32 v[4:5], v[6:7], v[2:3] op_sel:[0,1]
	v_pk_fma_f32 v[8:9], v[6:7], v[0:1], v[4:5] op_sel:[0,0,1] op_sel_hi:[1,1,0] neg_lo:[0,0,1] neg_hi:[0,0,1]
	v_pk_fma_f32 v[4:5], v[6:7], v[0:1], v[4:5] op_sel:[0,0,1] op_sel_hi:[1,0,0]
	s_delay_alu instid0(VALU_DEP_1)
	v_mov_b32_e32 v9, v5
	ds_load_2addr_b64 v[4:7], v134 offset0:39 offset1:40
	v_pk_add_f32 v[158:159], v[158:159], v[10:11] neg_lo:[0,1] neg_hi:[0,1]
	v_pk_add_f32 v[160:161], v[160:161], v[8:9] neg_lo:[0,1] neg_hi:[0,1]
	s_wait_dscnt 0x0
	v_pk_mul_f32 v[8:9], v[4:5], v[2:3] op_sel:[0,1]
	s_delay_alu instid0(VALU_DEP_1) | instskip(SKIP_1) | instid1(VALU_DEP_1)
	v_pk_fma_f32 v[10:11], v[4:5], v[0:1], v[8:9] op_sel:[0,0,1] op_sel_hi:[1,1,0] neg_lo:[0,0,1] neg_hi:[0,0,1]
	v_pk_fma_f32 v[4:5], v[4:5], v[0:1], v[8:9] op_sel:[0,0,1] op_sel_hi:[1,0,0]
	v_mov_b32_e32 v11, v5
	v_pk_mul_f32 v[4:5], v[6:7], v[2:3] op_sel:[0,1]
	s_delay_alu instid0(VALU_DEP_1) | instskip(SKIP_1) | instid1(VALU_DEP_1)
	v_pk_fma_f32 v[8:9], v[6:7], v[0:1], v[4:5] op_sel:[0,0,1] op_sel_hi:[1,1,0] neg_lo:[0,0,1] neg_hi:[0,0,1]
	v_pk_fma_f32 v[4:5], v[6:7], v[0:1], v[4:5] op_sel:[0,0,1] op_sel_hi:[1,0,0]
	v_mov_b32_e32 v9, v5
	ds_load_2addr_b64 v[4:7], v134 offset0:41 offset1:42
	v_pk_add_f32 v[156:157], v[156:157], v[10:11] neg_lo:[0,1] neg_hi:[0,1]
	v_pk_add_f32 v[184:185], v[184:185], v[8:9] neg_lo:[0,1] neg_hi:[0,1]
	s_wait_dscnt 0x0
	v_dual_mul_f32 v8, v5, v3 :: v_dual_mul_f32 v10, v5, v0
	s_delay_alu instid0(VALU_DEP_1) | instskip(NEXT) | instid1(VALU_DEP_2)
	v_pk_fma_f32 v[8:9], v[4:5], v[64:65], v[8:9] op_sel_hi:[1,1,0] neg_lo:[0,0,1] neg_hi:[0,0,1]
	v_pk_fma_f32 v[4:5], v[4:5], v[64:65], v[10:11] op_sel:[1,0,0] op_sel_hi:[0,1,0]
	s_delay_alu instid0(VALU_DEP_1) | instskip(SKIP_1) | instid1(VALU_DEP_2)
	v_mov_b32_e32 v9, v5
	v_pk_mul_f32 v[4:5], v[6:7], v[2:3] op_sel:[0,1]
	v_pk_add_f32 v[180:181], v[180:181], v[8:9] neg_lo:[0,1] neg_hi:[0,1]
	s_delay_alu instid0(VALU_DEP_2) | instskip(SKIP_1) | instid1(VALU_DEP_1)
	v_pk_fma_f32 v[8:9], v[6:7], v[0:1], v[4:5] op_sel:[0,0,1] op_sel_hi:[1,1,0] neg_lo:[0,0,1] neg_hi:[0,0,1]
	v_pk_fma_f32 v[4:5], v[6:7], v[0:1], v[4:5] op_sel:[0,0,1] op_sel_hi:[1,0,0]
	v_mov_b32_e32 v9, v5
	ds_load_2addr_b64 v[4:7], v134 offset0:43 offset1:44
	v_pk_add_f32 v[182:183], v[182:183], v[8:9] neg_lo:[0,1] neg_hi:[0,1]
	s_wait_dscnt 0x0
	v_pk_mul_f32 v[8:9], v[4:5], v[2:3] op_sel:[0,1]
	s_delay_alu instid0(VALU_DEP_1) | instskip(SKIP_1) | instid1(VALU_DEP_1)
	v_pk_fma_f32 v[10:11], v[4:5], v[0:1], v[8:9] op_sel:[0,0,1] op_sel_hi:[1,1,0] neg_lo:[0,0,1] neg_hi:[0,0,1]
	v_pk_fma_f32 v[4:5], v[4:5], v[0:1], v[8:9] op_sel:[0,0,1] op_sel_hi:[1,0,0]
	v_mov_b32_e32 v11, v5
	v_pk_mul_f32 v[4:5], v[6:7], v[2:3] op_sel:[0,1]
	s_delay_alu instid0(VALU_DEP_2) | instskip(NEXT) | instid1(VALU_DEP_2)
	v_pk_add_f32 v[178:179], v[178:179], v[10:11] neg_lo:[0,1] neg_hi:[0,1]
	v_pk_fma_f32 v[8:9], v[6:7], v[0:1], v[4:5] op_sel:[0,0,1] op_sel_hi:[1,1,0] neg_lo:[0,0,1] neg_hi:[0,0,1]
	v_pk_fma_f32 v[4:5], v[6:7], v[0:1], v[4:5] op_sel:[0,0,1] op_sel_hi:[1,0,0]
	s_delay_alu instid0(VALU_DEP_1) | instskip(SKIP_4) | instid1(VALU_DEP_1)
	v_mov_b32_e32 v9, v5
	ds_load_2addr_b64 v[4:7], v134 offset0:45 offset1:46
	v_pk_add_f32 v[208:209], v[208:209], v[8:9] neg_lo:[0,1] neg_hi:[0,1]
	s_wait_dscnt 0x0
	v_pk_mul_f32 v[8:9], v[4:5], v[2:3] op_sel:[0,1]
	v_pk_fma_f32 v[10:11], v[4:5], v[0:1], v[8:9] op_sel:[0,0,1] op_sel_hi:[1,1,0] neg_lo:[0,0,1] neg_hi:[0,0,1]
	v_pk_fma_f32 v[4:5], v[4:5], v[0:1], v[8:9] op_sel:[0,0,1] op_sel_hi:[1,0,0]
	v_dual_mul_f32 v8, v7, v3 :: v_dual_mov_b32 v4, v7
	s_delay_alu instid0(VALU_DEP_2) | instskip(NEXT) | instid1(VALU_DEP_2)
	v_dual_mov_b32 v11, v5 :: v_dual_mov_b32 v5, v6
	v_pk_fma_f32 v[8:9], v[6:7], v[64:65], v[8:9] op_sel_hi:[1,1,0] neg_lo:[0,0,1] neg_hi:[0,0,1]
	v_mul_f32_e32 v6, v7, v0
	s_delay_alu instid0(VALU_DEP_3) | instskip(NEXT) | instid1(VALU_DEP_2)
	v_pk_add_f32 v[200:201], v[200:201], v[10:11] neg_lo:[0,1] neg_hi:[0,1]
	v_pk_fma_f32 v[4:5], v[4:5], v[64:65], v[6:7] op_sel_hi:[1,1,0]
	s_delay_alu instid0(VALU_DEP_1) | instskip(SKIP_4) | instid1(VALU_DEP_1)
	v_mov_b32_e32 v9, v5
	ds_load_2addr_b64 v[4:7], v134 offset0:47 offset1:48
	v_pk_add_f32 v[206:207], v[206:207], v[8:9] neg_lo:[0,1] neg_hi:[0,1]
	s_wait_dscnt 0x0
	v_pk_mul_f32 v[8:9], v[4:5], v[2:3] op_sel:[0,1]
	v_pk_fma_f32 v[10:11], v[4:5], v[0:1], v[8:9] op_sel:[0,0,1] op_sel_hi:[1,1,0] neg_lo:[0,0,1] neg_hi:[0,0,1]
	v_pk_fma_f32 v[4:5], v[4:5], v[0:1], v[8:9] op_sel:[0,0,1] op_sel_hi:[1,0,0]
	s_delay_alu instid0(VALU_DEP_1) | instskip(SKIP_1) | instid1(VALU_DEP_1)
	v_mov_b32_e32 v11, v5
	v_pk_mul_f32 v[4:5], v[6:7], v[2:3] op_sel:[0,1]
	v_pk_fma_f32 v[8:9], v[6:7], v[0:1], v[4:5] op_sel:[0,0,1] op_sel_hi:[1,1,0] neg_lo:[0,0,1] neg_hi:[0,0,1]
	v_pk_fma_f32 v[4:5], v[6:7], v[0:1], v[4:5] op_sel:[0,0,1] op_sel_hi:[1,0,0]
	s_delay_alu instid0(VALU_DEP_1)
	v_mov_b32_e32 v9, v5
	ds_load_2addr_b64 v[4:7], v134 offset0:49 offset1:50
	v_pk_add_f32 v[198:199], v[198:199], v[10:11] neg_lo:[0,1] neg_hi:[0,1]
	v_pk_add_f32 v[204:205], v[204:205], v[8:9] neg_lo:[0,1] neg_hi:[0,1]
	s_wait_dscnt 0x0
	v_pk_mul_f32 v[8:9], v[4:5], v[2:3] op_sel:[0,1]
	s_delay_alu instid0(VALU_DEP_1) | instskip(SKIP_1) | instid1(VALU_DEP_1)
	v_pk_fma_f32 v[10:11], v[4:5], v[0:1], v[8:9] op_sel:[0,0,1] op_sel_hi:[1,1,0] neg_lo:[0,0,1] neg_hi:[0,0,1]
	v_pk_fma_f32 v[4:5], v[4:5], v[0:1], v[8:9] op_sel:[0,0,1] op_sel_hi:[1,0,0]
	v_mov_b32_e32 v11, v5
	v_pk_mul_f32 v[4:5], v[6:7], v[2:3] op_sel:[0,1]
	s_delay_alu instid0(VALU_DEP_1) | instskip(SKIP_1) | instid1(VALU_DEP_1)
	v_pk_fma_f32 v[8:9], v[6:7], v[0:1], v[4:5] op_sel:[0,0,1] op_sel_hi:[1,1,0] neg_lo:[0,0,1] neg_hi:[0,0,1]
	v_pk_fma_f32 v[4:5], v[6:7], v[0:1], v[4:5] op_sel:[0,0,1] op_sel_hi:[1,0,0]
	v_mov_b32_e32 v9, v5
	ds_load_2addr_b64 v[4:7], v134 offset0:51 offset1:52
	v_pk_add_f32 v[196:197], v[196:197], v[10:11] neg_lo:[0,1] neg_hi:[0,1]
	v_pk_add_f32 v[202:203], v[202:203], v[8:9] neg_lo:[0,1] neg_hi:[0,1]
	s_wait_dscnt 0x0
	v_dual_mul_f32 v8, v5, v3 :: v_dual_mul_f32 v10, v5, v0
	v_pk_mul_f32 v[2:3], v[6:7], v[2:3] op_sel:[0,1]
	s_delay_alu instid0(VALU_DEP_2) | instskip(NEXT) | instid1(VALU_DEP_3)
	v_pk_fma_f32 v[8:9], v[4:5], v[64:65], v[8:9] op_sel_hi:[1,1,0] neg_lo:[0,0,1] neg_hi:[0,0,1]
	v_pk_fma_f32 v[4:5], v[4:5], v[64:65], v[10:11] op_sel:[1,0,0] op_sel_hi:[0,1,0]
	s_delay_alu instid0(VALU_DEP_1) | instskip(NEXT) | instid1(VALU_DEP_4)
	v_mov_b32_e32 v9, v5
	v_pk_fma_f32 v[4:5], v[6:7], v[0:1], v[2:3] op_sel:[0,0,1] op_sel_hi:[1,1,0] neg_lo:[0,0,1] neg_hi:[0,0,1]
	v_pk_fma_f32 v[0:1], v[6:7], v[0:1], v[2:3] op_sel:[0,0,1] op_sel_hi:[1,0,0]
	s_delay_alu instid0(VALU_DEP_1) | instskip(NEXT) | instid1(VALU_DEP_4)
	v_mov_b32_e32 v5, v1
	v_pk_add_f32 v[210:211], v[210:211], v[8:9] neg_lo:[0,1] neg_hi:[0,1]
	s_delay_alu instid0(VALU_DEP_2)
	v_pk_add_f32 v[212:213], v[212:213], v[4:5] neg_lo:[0,1] neg_hi:[0,1]
.LBB105_118:
	s_wait_xcnt 0x0
	s_or_b32 exec_lo, exec_lo, s1
	s_delay_alu instid0(SALU_CYCLE_1)
	s_mov_b32 s2, exec_lo
	s_wait_storecnt 0x0
	s_barrier_signal -1
	s_barrier_wait -1
	v_cmpx_eq_u32_e32 13, v132
	s_cbranch_execz .LBB105_125
; %bb.119:
	v_dual_mov_b32 v0, v62 :: v_dual_mov_b32 v1, v63
	v_dual_mov_b32 v2, v58 :: v_dual_mov_b32 v3, v59
	ds_store_b64 v133, v[60:61]
	ds_store_2addr_b64 v134, v[0:1], v[2:3] offset0:14 offset1:15
	v_dual_mov_b32 v0, v80 :: v_dual_mov_b32 v1, v81
	v_dual_mov_b32 v2, v76 :: v_dual_mov_b32 v3, v77
	ds_store_2addr_b64 v134, v[0:1], v[2:3] offset0:16 offset1:17
	v_dual_mov_b32 v0, v78 :: v_dual_mov_b32 v1, v79
	v_dual_mov_b32 v2, v74 :: v_dual_mov_b32 v3, v75
	;; [unrolled: 3-line block ×18, first 2 shown]
	ds_store_2addr_b64 v134, v[0:1], v[2:3] offset0:50 offset1:51
	ds_store_b64 v134, v[212:213] offset:416
	ds_load_b64 v[0:1], v133
	s_wait_dscnt 0x0
	v_cmp_neq_f32_e32 vcc_lo, 0, v0
	v_cmp_neq_f32_e64 s1, 0, v1
	s_or_b32 s1, vcc_lo, s1
	s_delay_alu instid0(SALU_CYCLE_1)
	s_and_b32 exec_lo, exec_lo, s1
	s_cbranch_execz .LBB105_125
; %bb.120:
	v_cmp_ngt_f32_e64 s1, |v0|, |v1|
                                        ; implicit-def: $vgpr2_vgpr3
	s_and_saveexec_b32 s4, s1
	s_delay_alu instid0(SALU_CYCLE_1)
	s_xor_b32 s1, exec_lo, s4
	s_cbranch_execz .LBB105_122
; %bb.121:
	v_div_scale_f32 v2, null, v1, v1, v0
	v_div_scale_f32 v5, vcc_lo, v0, v1, v0
	s_delay_alu instid0(VALU_DEP_2) | instskip(SKIP_1) | instid1(TRANS32_DEP_1)
	v_rcp_f32_e32 v3, v2
	v_nop
	v_fma_f32 v4, -v2, v3, 1.0
	s_delay_alu instid0(VALU_DEP_1) | instskip(NEXT) | instid1(VALU_DEP_1)
	v_fmac_f32_e32 v3, v4, v3
	v_mul_f32_e32 v4, v5, v3
	s_delay_alu instid0(VALU_DEP_1) | instskip(NEXT) | instid1(VALU_DEP_1)
	v_fma_f32 v6, -v2, v4, v5
	v_fmac_f32_e32 v4, v6, v3
	s_delay_alu instid0(VALU_DEP_1) | instskip(NEXT) | instid1(VALU_DEP_1)
	v_fma_f32 v2, -v2, v4, v5
	v_div_fmas_f32 v2, v2, v3, v4
	s_delay_alu instid0(VALU_DEP_1) | instskip(NEXT) | instid1(VALU_DEP_1)
	v_div_fixup_f32 v2, v2, v1, v0
	v_fmac_f32_e32 v1, v0, v2
	s_delay_alu instid0(VALU_DEP_1) | instskip(SKIP_1) | instid1(VALU_DEP_2)
	v_div_scale_f32 v0, null, v1, v1, 1.0
	v_div_scale_f32 v5, vcc_lo, 1.0, v1, 1.0
	v_rcp_f32_e32 v3, v0
	v_nop
	s_delay_alu instid0(TRANS32_DEP_1) | instskip(NEXT) | instid1(VALU_DEP_1)
	v_fma_f32 v4, -v0, v3, 1.0
	v_fmac_f32_e32 v3, v4, v3
	s_delay_alu instid0(VALU_DEP_1) | instskip(NEXT) | instid1(VALU_DEP_1)
	v_mul_f32_e32 v4, v5, v3
	v_fma_f32 v6, -v0, v4, v5
	s_delay_alu instid0(VALU_DEP_1) | instskip(NEXT) | instid1(VALU_DEP_1)
	v_fmac_f32_e32 v4, v6, v3
	v_fma_f32 v0, -v0, v4, v5
	s_delay_alu instid0(VALU_DEP_1) | instskip(NEXT) | instid1(VALU_DEP_1)
	v_div_fmas_f32 v0, v0, v3, v4
	v_div_fixup_f32 v0, v0, v1, 1.0
	s_delay_alu instid0(VALU_DEP_1)
	v_mul_f32_e32 v2, v2, v0
	v_xor_b32_e32 v3, 0x80000000, v0
                                        ; implicit-def: $vgpr0_vgpr1
.LBB105_122:
	s_and_not1_saveexec_b32 s1, s1
	s_cbranch_execz .LBB105_124
; %bb.123:
	v_div_scale_f32 v2, null, v0, v0, v1
	v_div_scale_f32 v5, vcc_lo, v1, v0, v1
	s_delay_alu instid0(VALU_DEP_2) | instskip(SKIP_1) | instid1(TRANS32_DEP_1)
	v_rcp_f32_e32 v3, v2
	v_nop
	v_fma_f32 v4, -v2, v3, 1.0
	s_delay_alu instid0(VALU_DEP_1) | instskip(NEXT) | instid1(VALU_DEP_1)
	v_fmac_f32_e32 v3, v4, v3
	v_mul_f32_e32 v4, v5, v3
	s_delay_alu instid0(VALU_DEP_1) | instskip(NEXT) | instid1(VALU_DEP_1)
	v_fma_f32 v6, -v2, v4, v5
	v_fmac_f32_e32 v4, v6, v3
	s_delay_alu instid0(VALU_DEP_1) | instskip(NEXT) | instid1(VALU_DEP_1)
	v_fma_f32 v2, -v2, v4, v5
	v_div_fmas_f32 v2, v2, v3, v4
	s_delay_alu instid0(VALU_DEP_1) | instskip(NEXT) | instid1(VALU_DEP_1)
	v_div_fixup_f32 v3, v2, v0, v1
	v_fmac_f32_e32 v0, v1, v3
	s_delay_alu instid0(VALU_DEP_1) | instskip(NEXT) | instid1(VALU_DEP_1)
	v_div_scale_f32 v1, null, v0, v0, 1.0
	v_rcp_f32_e32 v2, v1
	v_nop
	s_delay_alu instid0(TRANS32_DEP_1) | instskip(NEXT) | instid1(VALU_DEP_1)
	v_fma_f32 v4, -v1, v2, 1.0
	v_fmac_f32_e32 v2, v4, v2
	v_div_scale_f32 v4, vcc_lo, 1.0, v0, 1.0
	s_delay_alu instid0(VALU_DEP_1) | instskip(NEXT) | instid1(VALU_DEP_1)
	v_mul_f32_e32 v5, v4, v2
	v_fma_f32 v6, -v1, v5, v4
	s_delay_alu instid0(VALU_DEP_1) | instskip(NEXT) | instid1(VALU_DEP_1)
	v_fmac_f32_e32 v5, v6, v2
	v_fma_f32 v1, -v1, v5, v4
	s_delay_alu instid0(VALU_DEP_1) | instskip(NEXT) | instid1(VALU_DEP_1)
	v_div_fmas_f32 v1, v1, v2, v5
	v_div_fixup_f32 v2, v1, v0, 1.0
	s_delay_alu instid0(VALU_DEP_1)
	v_mul_f32_e64 v3, v3, -v2
.LBB105_124:
	s_or_b32 exec_lo, exec_lo, s1
	ds_store_b64 v133, v[2:3]
.LBB105_125:
	s_or_b32 exec_lo, exec_lo, s2
	s_wait_dscnt 0x0
	s_barrier_signal -1
	s_barrier_wait -1
	ds_load_b64 v[0:1], v133
	s_mov_b32 s1, exec_lo
	s_wait_dscnt 0x0
	scratch_store_b64 off, v[0:1], off offset:232 ; 8-byte Folded Spill
	s_wait_xcnt 0x0
	v_cmpx_lt_u32_e32 13, v132
	s_cbranch_execz .LBB105_127
; %bb.126:
	scratch_load_b64 v[4:5], off, off offset:232 ; 8-byte Folded Reload
	s_wait_loadcnt 0x0
	v_pk_mul_f32 v[2:3], v[4:5], v[60:61] op_sel:[1,1] op_sel_hi:[0,1]
	s_delay_alu instid0(VALU_DEP_1)
	v_pk_fma_f32 v[0:1], v[4:5], v[60:61], v[2:3] op_sel_hi:[1,0,1] neg_lo:[0,0,1] neg_hi:[0,0,1]
	v_pk_fma_f32 v[2:3], v[4:5], v[60:61], v[2:3] op_sel_hi:[1,0,1]
	ds_load_2addr_b64 v[4:7], v134 offset0:14 offset1:15
	v_dual_mov_b32 v60, v0 :: v_dual_mov_b32 v61, v3
	s_wait_dscnt 0x0
	v_pk_mul_f32 v[8:9], v[4:5], v[2:3] op_sel:[0,1]
	s_delay_alu instid0(VALU_DEP_1) | instskip(SKIP_1) | instid1(VALU_DEP_1)
	v_pk_fma_f32 v[10:11], v[4:5], v[0:1], v[8:9] op_sel:[0,0,1] op_sel_hi:[1,1,0] neg_lo:[0,0,1] neg_hi:[0,0,1]
	v_pk_fma_f32 v[4:5], v[4:5], v[0:1], v[8:9] op_sel:[0,0,1] op_sel_hi:[1,0,0]
	v_mov_b32_e32 v11, v5
	v_pk_mul_f32 v[4:5], v[6:7], v[2:3] op_sel:[0,1]
	s_delay_alu instid0(VALU_DEP_1) | instskip(SKIP_1) | instid1(VALU_DEP_1)
	v_pk_fma_f32 v[8:9], v[6:7], v[0:1], v[4:5] op_sel:[0,0,1] op_sel_hi:[1,1,0] neg_lo:[0,0,1] neg_hi:[0,0,1]
	v_pk_fma_f32 v[4:5], v[6:7], v[0:1], v[4:5] op_sel:[0,0,1] op_sel_hi:[1,0,0]
	v_mov_b32_e32 v9, v5
	ds_load_2addr_b64 v[4:7], v134 offset0:16 offset1:17
	v_pk_add_f32 v[62:63], v[62:63], v[10:11] neg_lo:[0,1] neg_hi:[0,1]
	v_pk_add_f32 v[58:59], v[58:59], v[8:9] neg_lo:[0,1] neg_hi:[0,1]
	s_wait_dscnt 0x0
	v_pk_mul_f32 v[8:9], v[4:5], v[2:3] op_sel:[0,1]
	s_delay_alu instid0(VALU_DEP_1) | instskip(SKIP_2) | instid1(VALU_DEP_2)
	v_pk_fma_f32 v[10:11], v[4:5], v[0:1], v[8:9] op_sel:[0,0,1] op_sel_hi:[1,1,0] neg_lo:[0,0,1] neg_hi:[0,0,1]
	v_pk_fma_f32 v[4:5], v[4:5], v[0:1], v[8:9] op_sel:[0,0,1] op_sel_hi:[1,0,0]
	v_dual_mul_f32 v8, v7, v3 :: v_dual_mov_b32 v4, v7
	v_dual_mov_b32 v11, v5 :: v_dual_mov_b32 v5, v6
	s_delay_alu instid0(VALU_DEP_2) | instskip(SKIP_1) | instid1(VALU_DEP_3)
	v_pk_fma_f32 v[8:9], v[6:7], v[60:61], v[8:9] op_sel_hi:[1,1,0] neg_lo:[0,0,1] neg_hi:[0,0,1]
	v_mul_f32_e32 v6, v7, v0
	v_pk_add_f32 v[80:81], v[80:81], v[10:11] neg_lo:[0,1] neg_hi:[0,1]
	s_delay_alu instid0(VALU_DEP_2) | instskip(NEXT) | instid1(VALU_DEP_1)
	v_pk_fma_f32 v[4:5], v[4:5], v[60:61], v[6:7] op_sel_hi:[1,1,0]
	v_mov_b32_e32 v9, v5
	ds_load_2addr_b64 v[4:7], v134 offset0:18 offset1:19
	v_pk_add_f32 v[76:77], v[76:77], v[8:9] neg_lo:[0,1] neg_hi:[0,1]
	s_wait_dscnt 0x0
	v_pk_mul_f32 v[8:9], v[4:5], v[2:3] op_sel:[0,1]
	s_delay_alu instid0(VALU_DEP_1) | instskip(SKIP_1) | instid1(VALU_DEP_1)
	v_pk_fma_f32 v[10:11], v[4:5], v[0:1], v[8:9] op_sel:[0,0,1] op_sel_hi:[1,1,0] neg_lo:[0,0,1] neg_hi:[0,0,1]
	v_pk_fma_f32 v[4:5], v[4:5], v[0:1], v[8:9] op_sel:[0,0,1] op_sel_hi:[1,0,0]
	v_mov_b32_e32 v11, v5
	v_pk_mul_f32 v[4:5], v[6:7], v[2:3] op_sel:[0,1]
	s_delay_alu instid0(VALU_DEP_1) | instskip(SKIP_1) | instid1(VALU_DEP_1)
	v_pk_fma_f32 v[8:9], v[6:7], v[0:1], v[4:5] op_sel:[0,0,1] op_sel_hi:[1,1,0] neg_lo:[0,0,1] neg_hi:[0,0,1]
	v_pk_fma_f32 v[4:5], v[6:7], v[0:1], v[4:5] op_sel:[0,0,1] op_sel_hi:[1,0,0]
	v_mov_b32_e32 v9, v5
	ds_load_2addr_b64 v[4:7], v134 offset0:20 offset1:21
	v_pk_add_f32 v[78:79], v[78:79], v[10:11] neg_lo:[0,1] neg_hi:[0,1]
	v_pk_add_f32 v[74:75], v[74:75], v[8:9] neg_lo:[0,1] neg_hi:[0,1]
	s_wait_dscnt 0x0
	v_pk_mul_f32 v[8:9], v[4:5], v[2:3] op_sel:[0,1]
	s_delay_alu instid0(VALU_DEP_1) | instskip(SKIP_1) | instid1(VALU_DEP_1)
	v_pk_fma_f32 v[10:11], v[4:5], v[0:1], v[8:9] op_sel:[0,0,1] op_sel_hi:[1,1,0] neg_lo:[0,0,1] neg_hi:[0,0,1]
	v_pk_fma_f32 v[4:5], v[4:5], v[0:1], v[8:9] op_sel:[0,0,1] op_sel_hi:[1,0,0]
	v_mov_b32_e32 v11, v5
	v_pk_mul_f32 v[4:5], v[6:7], v[2:3] op_sel:[0,1]
	s_delay_alu instid0(VALU_DEP_1) | instskip(SKIP_1) | instid1(VALU_DEP_1)
	v_pk_fma_f32 v[8:9], v[6:7], v[0:1], v[4:5] op_sel:[0,0,1] op_sel_hi:[1,1,0] neg_lo:[0,0,1] neg_hi:[0,0,1]
	v_pk_fma_f32 v[4:5], v[6:7], v[0:1], v[4:5] op_sel:[0,0,1] op_sel_hi:[1,0,0]
	v_mov_b32_e32 v9, v5
	ds_load_2addr_b64 v[4:7], v134 offset0:22 offset1:23
	v_pk_add_f32 v[96:97], v[96:97], v[10:11] neg_lo:[0,1] neg_hi:[0,1]
	v_pk_add_f32 v[92:93], v[92:93], v[8:9] neg_lo:[0,1] neg_hi:[0,1]
	s_wait_dscnt 0x0
	v_dual_mul_f32 v8, v5, v3 :: v_dual_mul_f32 v10, v5, v0
	s_delay_alu instid0(VALU_DEP_1) | instskip(NEXT) | instid1(VALU_DEP_2)
	v_pk_fma_f32 v[8:9], v[4:5], v[60:61], v[8:9] op_sel_hi:[1,1,0] neg_lo:[0,0,1] neg_hi:[0,0,1]
	v_pk_fma_f32 v[4:5], v[4:5], v[60:61], v[10:11] op_sel:[1,0,0] op_sel_hi:[0,1,0]
	s_delay_alu instid0(VALU_DEP_1) | instskip(SKIP_1) | instid1(VALU_DEP_2)
	v_mov_b32_e32 v9, v5
	v_pk_mul_f32 v[4:5], v[6:7], v[2:3] op_sel:[0,1]
	v_pk_add_f32 v[94:95], v[94:95], v[8:9] neg_lo:[0,1] neg_hi:[0,1]
	s_delay_alu instid0(VALU_DEP_2) | instskip(SKIP_1) | instid1(VALU_DEP_1)
	v_pk_fma_f32 v[8:9], v[6:7], v[0:1], v[4:5] op_sel:[0,0,1] op_sel_hi:[1,1,0] neg_lo:[0,0,1] neg_hi:[0,0,1]
	v_pk_fma_f32 v[4:5], v[6:7], v[0:1], v[4:5] op_sel:[0,0,1] op_sel_hi:[1,0,0]
	v_mov_b32_e32 v9, v5
	ds_load_2addr_b64 v[4:7], v134 offset0:24 offset1:25
	v_pk_add_f32 v[90:91], v[90:91], v[8:9] neg_lo:[0,1] neg_hi:[0,1]
	s_wait_dscnt 0x0
	v_pk_mul_f32 v[8:9], v[4:5], v[2:3] op_sel:[0,1]
	s_delay_alu instid0(VALU_DEP_1) | instskip(SKIP_1) | instid1(VALU_DEP_1)
	v_pk_fma_f32 v[10:11], v[4:5], v[0:1], v[8:9] op_sel:[0,0,1] op_sel_hi:[1,1,0] neg_lo:[0,0,1] neg_hi:[0,0,1]
	v_pk_fma_f32 v[4:5], v[4:5], v[0:1], v[8:9] op_sel:[0,0,1] op_sel_hi:[1,0,0]
	v_mov_b32_e32 v11, v5
	v_pk_mul_f32 v[4:5], v[6:7], v[2:3] op_sel:[0,1]
	s_delay_alu instid0(VALU_DEP_2) | instskip(NEXT) | instid1(VALU_DEP_2)
	v_pk_add_f32 v[112:113], v[112:113], v[10:11] neg_lo:[0,1] neg_hi:[0,1]
	v_pk_fma_f32 v[8:9], v[6:7], v[0:1], v[4:5] op_sel:[0,0,1] op_sel_hi:[1,1,0] neg_lo:[0,0,1] neg_hi:[0,0,1]
	v_pk_fma_f32 v[4:5], v[6:7], v[0:1], v[4:5] op_sel:[0,0,1] op_sel_hi:[1,0,0]
	s_delay_alu instid0(VALU_DEP_1) | instskip(SKIP_4) | instid1(VALU_DEP_1)
	v_mov_b32_e32 v9, v5
	ds_load_2addr_b64 v[4:7], v134 offset0:26 offset1:27
	v_pk_add_f32 v[108:109], v[108:109], v[8:9] neg_lo:[0,1] neg_hi:[0,1]
	s_wait_dscnt 0x0
	v_pk_mul_f32 v[8:9], v[4:5], v[2:3] op_sel:[0,1]
	v_pk_fma_f32 v[10:11], v[4:5], v[0:1], v[8:9] op_sel:[0,0,1] op_sel_hi:[1,1,0] neg_lo:[0,0,1] neg_hi:[0,0,1]
	v_pk_fma_f32 v[4:5], v[4:5], v[0:1], v[8:9] op_sel:[0,0,1] op_sel_hi:[1,0,0]
	v_dual_mul_f32 v8, v7, v3 :: v_dual_mov_b32 v4, v7
	s_delay_alu instid0(VALU_DEP_2) | instskip(NEXT) | instid1(VALU_DEP_2)
	v_dual_mov_b32 v11, v5 :: v_dual_mov_b32 v5, v6
	v_pk_fma_f32 v[8:9], v[6:7], v[60:61], v[8:9] op_sel_hi:[1,1,0] neg_lo:[0,0,1] neg_hi:[0,0,1]
	v_mul_f32_e32 v6, v7, v0
	s_delay_alu instid0(VALU_DEP_3) | instskip(NEXT) | instid1(VALU_DEP_2)
	v_pk_add_f32 v[110:111], v[110:111], v[10:11] neg_lo:[0,1] neg_hi:[0,1]
	v_pk_fma_f32 v[4:5], v[4:5], v[60:61], v[6:7] op_sel_hi:[1,1,0]
	s_delay_alu instid0(VALU_DEP_1) | instskip(SKIP_4) | instid1(VALU_DEP_1)
	v_mov_b32_e32 v9, v5
	ds_load_2addr_b64 v[4:7], v134 offset0:28 offset1:29
	v_pk_add_f32 v[106:107], v[106:107], v[8:9] neg_lo:[0,1] neg_hi:[0,1]
	s_wait_dscnt 0x0
	v_pk_mul_f32 v[8:9], v[4:5], v[2:3] op_sel:[0,1]
	v_pk_fma_f32 v[10:11], v[4:5], v[0:1], v[8:9] op_sel:[0,0,1] op_sel_hi:[1,1,0] neg_lo:[0,0,1] neg_hi:[0,0,1]
	v_pk_fma_f32 v[4:5], v[4:5], v[0:1], v[8:9] op_sel:[0,0,1] op_sel_hi:[1,0,0]
	s_delay_alu instid0(VALU_DEP_1) | instskip(SKIP_1) | instid1(VALU_DEP_1)
	v_mov_b32_e32 v11, v5
	v_pk_mul_f32 v[4:5], v[6:7], v[2:3] op_sel:[0,1]
	v_pk_fma_f32 v[8:9], v[6:7], v[0:1], v[4:5] op_sel:[0,0,1] op_sel_hi:[1,1,0] neg_lo:[0,0,1] neg_hi:[0,0,1]
	v_pk_fma_f32 v[4:5], v[6:7], v[0:1], v[4:5] op_sel:[0,0,1] op_sel_hi:[1,0,0]
	s_delay_alu instid0(VALU_DEP_1)
	v_mov_b32_e32 v9, v5
	ds_load_2addr_b64 v[4:7], v134 offset0:30 offset1:31
	v_pk_add_f32 v[130:131], v[130:131], v[10:11] neg_lo:[0,1] neg_hi:[0,1]
	v_pk_add_f32 v[126:127], v[126:127], v[8:9] neg_lo:[0,1] neg_hi:[0,1]
	s_wait_dscnt 0x0
	v_pk_mul_f32 v[8:9], v[4:5], v[2:3] op_sel:[0,1]
	s_delay_alu instid0(VALU_DEP_1) | instskip(SKIP_1) | instid1(VALU_DEP_1)
	v_pk_fma_f32 v[10:11], v[4:5], v[0:1], v[8:9] op_sel:[0,0,1] op_sel_hi:[1,1,0] neg_lo:[0,0,1] neg_hi:[0,0,1]
	v_pk_fma_f32 v[4:5], v[4:5], v[0:1], v[8:9] op_sel:[0,0,1] op_sel_hi:[1,0,0]
	v_mov_b32_e32 v11, v5
	v_pk_mul_f32 v[4:5], v[6:7], v[2:3] op_sel:[0,1]
	s_delay_alu instid0(VALU_DEP_1) | instskip(SKIP_1) | instid1(VALU_DEP_1)
	v_pk_fma_f32 v[8:9], v[6:7], v[0:1], v[4:5] op_sel:[0,0,1] op_sel_hi:[1,1,0] neg_lo:[0,0,1] neg_hi:[0,0,1]
	v_pk_fma_f32 v[4:5], v[6:7], v[0:1], v[4:5] op_sel:[0,0,1] op_sel_hi:[1,0,0]
	v_mov_b32_e32 v9, v5
	ds_load_2addr_b64 v[4:7], v134 offset0:32 offset1:33
	v_pk_add_f32 v[128:129], v[128:129], v[10:11] neg_lo:[0,1] neg_hi:[0,1]
	v_pk_add_f32 v[124:125], v[124:125], v[8:9] neg_lo:[0,1] neg_hi:[0,1]
	s_wait_dscnt 0x0
	v_dual_mul_f32 v8, v5, v3 :: v_dual_mul_f32 v10, v5, v0
	s_delay_alu instid0(VALU_DEP_1) | instskip(NEXT) | instid1(VALU_DEP_2)
	v_pk_fma_f32 v[8:9], v[4:5], v[60:61], v[8:9] op_sel_hi:[1,1,0] neg_lo:[0,0,1] neg_hi:[0,0,1]
	v_pk_fma_f32 v[4:5], v[4:5], v[60:61], v[10:11] op_sel:[1,0,0] op_sel_hi:[0,1,0]
	s_delay_alu instid0(VALU_DEP_1) | instskip(SKIP_1) | instid1(VALU_DEP_2)
	v_mov_b32_e32 v9, v5
	v_pk_mul_f32 v[4:5], v[6:7], v[2:3] op_sel:[0,1]
	v_pk_add_f32 v[146:147], v[146:147], v[8:9] neg_lo:[0,1] neg_hi:[0,1]
	s_delay_alu instid0(VALU_DEP_2) | instskip(SKIP_1) | instid1(VALU_DEP_1)
	v_pk_fma_f32 v[8:9], v[6:7], v[0:1], v[4:5] op_sel:[0,0,1] op_sel_hi:[1,1,0] neg_lo:[0,0,1] neg_hi:[0,0,1]
	v_pk_fma_f32 v[4:5], v[6:7], v[0:1], v[4:5] op_sel:[0,0,1] op_sel_hi:[1,0,0]
	v_mov_b32_e32 v9, v5
	ds_load_2addr_b64 v[4:7], v134 offset0:34 offset1:35
	v_pk_add_f32 v[142:143], v[142:143], v[8:9] neg_lo:[0,1] neg_hi:[0,1]
	s_wait_dscnt 0x0
	v_pk_mul_f32 v[8:9], v[4:5], v[2:3] op_sel:[0,1]
	s_delay_alu instid0(VALU_DEP_1) | instskip(SKIP_1) | instid1(VALU_DEP_1)
	v_pk_fma_f32 v[10:11], v[4:5], v[0:1], v[8:9] op_sel:[0,0,1] op_sel_hi:[1,1,0] neg_lo:[0,0,1] neg_hi:[0,0,1]
	v_pk_fma_f32 v[4:5], v[4:5], v[0:1], v[8:9] op_sel:[0,0,1] op_sel_hi:[1,0,0]
	v_mov_b32_e32 v11, v5
	v_pk_mul_f32 v[4:5], v[6:7], v[2:3] op_sel:[0,1]
	s_delay_alu instid0(VALU_DEP_2) | instskip(NEXT) | instid1(VALU_DEP_2)
	v_pk_add_f32 v[144:145], v[144:145], v[10:11] neg_lo:[0,1] neg_hi:[0,1]
	v_pk_fma_f32 v[8:9], v[6:7], v[0:1], v[4:5] op_sel:[0,0,1] op_sel_hi:[1,1,0] neg_lo:[0,0,1] neg_hi:[0,0,1]
	v_pk_fma_f32 v[4:5], v[6:7], v[0:1], v[4:5] op_sel:[0,0,1] op_sel_hi:[1,0,0]
	s_delay_alu instid0(VALU_DEP_1) | instskip(SKIP_4) | instid1(VALU_DEP_1)
	v_mov_b32_e32 v9, v5
	ds_load_2addr_b64 v[4:7], v134 offset0:36 offset1:37
	v_pk_add_f32 v[140:141], v[140:141], v[8:9] neg_lo:[0,1] neg_hi:[0,1]
	s_wait_dscnt 0x0
	v_pk_mul_f32 v[8:9], v[4:5], v[2:3] op_sel:[0,1]
	v_pk_fma_f32 v[10:11], v[4:5], v[0:1], v[8:9] op_sel:[0,0,1] op_sel_hi:[1,1,0] neg_lo:[0,0,1] neg_hi:[0,0,1]
	v_pk_fma_f32 v[4:5], v[4:5], v[0:1], v[8:9] op_sel:[0,0,1] op_sel_hi:[1,0,0]
	v_dual_mul_f32 v8, v7, v3 :: v_dual_mov_b32 v4, v7
	s_delay_alu instid0(VALU_DEP_2) | instskip(NEXT) | instid1(VALU_DEP_2)
	v_dual_mov_b32 v11, v5 :: v_dual_mov_b32 v5, v6
	v_pk_fma_f32 v[8:9], v[6:7], v[60:61], v[8:9] op_sel_hi:[1,1,0] neg_lo:[0,0,1] neg_hi:[0,0,1]
	v_mul_f32_e32 v6, v7, v0
	s_delay_alu instid0(VALU_DEP_3) | instskip(NEXT) | instid1(VALU_DEP_2)
	v_pk_add_f32 v[162:163], v[162:163], v[10:11] neg_lo:[0,1] neg_hi:[0,1]
	v_pk_fma_f32 v[4:5], v[4:5], v[60:61], v[6:7] op_sel_hi:[1,1,0]
	s_delay_alu instid0(VALU_DEP_1) | instskip(SKIP_4) | instid1(VALU_DEP_1)
	v_mov_b32_e32 v9, v5
	ds_load_2addr_b64 v[4:7], v134 offset0:38 offset1:39
	v_pk_add_f32 v[158:159], v[158:159], v[8:9] neg_lo:[0,1] neg_hi:[0,1]
	s_wait_dscnt 0x0
	v_pk_mul_f32 v[8:9], v[4:5], v[2:3] op_sel:[0,1]
	v_pk_fma_f32 v[10:11], v[4:5], v[0:1], v[8:9] op_sel:[0,0,1] op_sel_hi:[1,1,0] neg_lo:[0,0,1] neg_hi:[0,0,1]
	v_pk_fma_f32 v[4:5], v[4:5], v[0:1], v[8:9] op_sel:[0,0,1] op_sel_hi:[1,0,0]
	s_delay_alu instid0(VALU_DEP_1) | instskip(SKIP_1) | instid1(VALU_DEP_1)
	v_mov_b32_e32 v11, v5
	v_pk_mul_f32 v[4:5], v[6:7], v[2:3] op_sel:[0,1]
	v_pk_fma_f32 v[8:9], v[6:7], v[0:1], v[4:5] op_sel:[0,0,1] op_sel_hi:[1,1,0] neg_lo:[0,0,1] neg_hi:[0,0,1]
	v_pk_fma_f32 v[4:5], v[6:7], v[0:1], v[4:5] op_sel:[0,0,1] op_sel_hi:[1,0,0]
	s_delay_alu instid0(VALU_DEP_1)
	v_mov_b32_e32 v9, v5
	ds_load_2addr_b64 v[4:7], v134 offset0:40 offset1:41
	v_pk_add_f32 v[160:161], v[160:161], v[10:11] neg_lo:[0,1] neg_hi:[0,1]
	v_pk_add_f32 v[156:157], v[156:157], v[8:9] neg_lo:[0,1] neg_hi:[0,1]
	s_wait_dscnt 0x0
	v_pk_mul_f32 v[8:9], v[4:5], v[2:3] op_sel:[0,1]
	s_delay_alu instid0(VALU_DEP_1) | instskip(SKIP_1) | instid1(VALU_DEP_1)
	v_pk_fma_f32 v[10:11], v[4:5], v[0:1], v[8:9] op_sel:[0,0,1] op_sel_hi:[1,1,0] neg_lo:[0,0,1] neg_hi:[0,0,1]
	v_pk_fma_f32 v[4:5], v[4:5], v[0:1], v[8:9] op_sel:[0,0,1] op_sel_hi:[1,0,0]
	v_mov_b32_e32 v11, v5
	v_pk_mul_f32 v[4:5], v[6:7], v[2:3] op_sel:[0,1]
	s_delay_alu instid0(VALU_DEP_1) | instskip(SKIP_1) | instid1(VALU_DEP_1)
	v_pk_fma_f32 v[8:9], v[6:7], v[0:1], v[4:5] op_sel:[0,0,1] op_sel_hi:[1,1,0] neg_lo:[0,0,1] neg_hi:[0,0,1]
	v_pk_fma_f32 v[4:5], v[6:7], v[0:1], v[4:5] op_sel:[0,0,1] op_sel_hi:[1,0,0]
	v_mov_b32_e32 v9, v5
	ds_load_2addr_b64 v[4:7], v134 offset0:42 offset1:43
	v_pk_add_f32 v[184:185], v[184:185], v[10:11] neg_lo:[0,1] neg_hi:[0,1]
	v_pk_add_f32 v[180:181], v[180:181], v[8:9] neg_lo:[0,1] neg_hi:[0,1]
	s_wait_dscnt 0x0
	v_dual_mul_f32 v8, v5, v3 :: v_dual_mul_f32 v10, v5, v0
	s_delay_alu instid0(VALU_DEP_1) | instskip(NEXT) | instid1(VALU_DEP_2)
	v_pk_fma_f32 v[8:9], v[4:5], v[60:61], v[8:9] op_sel_hi:[1,1,0] neg_lo:[0,0,1] neg_hi:[0,0,1]
	v_pk_fma_f32 v[4:5], v[4:5], v[60:61], v[10:11] op_sel:[1,0,0] op_sel_hi:[0,1,0]
	s_delay_alu instid0(VALU_DEP_1) | instskip(SKIP_1) | instid1(VALU_DEP_2)
	v_mov_b32_e32 v9, v5
	v_pk_mul_f32 v[4:5], v[6:7], v[2:3] op_sel:[0,1]
	v_pk_add_f32 v[182:183], v[182:183], v[8:9] neg_lo:[0,1] neg_hi:[0,1]
	s_delay_alu instid0(VALU_DEP_2) | instskip(SKIP_1) | instid1(VALU_DEP_1)
	v_pk_fma_f32 v[8:9], v[6:7], v[0:1], v[4:5] op_sel:[0,0,1] op_sel_hi:[1,1,0] neg_lo:[0,0,1] neg_hi:[0,0,1]
	v_pk_fma_f32 v[4:5], v[6:7], v[0:1], v[4:5] op_sel:[0,0,1] op_sel_hi:[1,0,0]
	v_mov_b32_e32 v9, v5
	ds_load_2addr_b64 v[4:7], v134 offset0:44 offset1:45
	v_pk_add_f32 v[178:179], v[178:179], v[8:9] neg_lo:[0,1] neg_hi:[0,1]
	s_wait_dscnt 0x0
	v_pk_mul_f32 v[8:9], v[4:5], v[2:3] op_sel:[0,1]
	s_delay_alu instid0(VALU_DEP_1) | instskip(SKIP_1) | instid1(VALU_DEP_1)
	v_pk_fma_f32 v[10:11], v[4:5], v[0:1], v[8:9] op_sel:[0,0,1] op_sel_hi:[1,1,0] neg_lo:[0,0,1] neg_hi:[0,0,1]
	v_pk_fma_f32 v[4:5], v[4:5], v[0:1], v[8:9] op_sel:[0,0,1] op_sel_hi:[1,0,0]
	v_mov_b32_e32 v11, v5
	v_pk_mul_f32 v[4:5], v[6:7], v[2:3] op_sel:[0,1]
	s_delay_alu instid0(VALU_DEP_2) | instskip(NEXT) | instid1(VALU_DEP_2)
	v_pk_add_f32 v[208:209], v[208:209], v[10:11] neg_lo:[0,1] neg_hi:[0,1]
	v_pk_fma_f32 v[8:9], v[6:7], v[0:1], v[4:5] op_sel:[0,0,1] op_sel_hi:[1,1,0] neg_lo:[0,0,1] neg_hi:[0,0,1]
	v_pk_fma_f32 v[4:5], v[6:7], v[0:1], v[4:5] op_sel:[0,0,1] op_sel_hi:[1,0,0]
	s_delay_alu instid0(VALU_DEP_1) | instskip(SKIP_4) | instid1(VALU_DEP_1)
	v_mov_b32_e32 v9, v5
	ds_load_2addr_b64 v[4:7], v134 offset0:46 offset1:47
	v_pk_add_f32 v[200:201], v[200:201], v[8:9] neg_lo:[0,1] neg_hi:[0,1]
	s_wait_dscnt 0x0
	v_pk_mul_f32 v[8:9], v[4:5], v[2:3] op_sel:[0,1]
	v_pk_fma_f32 v[10:11], v[4:5], v[0:1], v[8:9] op_sel:[0,0,1] op_sel_hi:[1,1,0] neg_lo:[0,0,1] neg_hi:[0,0,1]
	v_pk_fma_f32 v[4:5], v[4:5], v[0:1], v[8:9] op_sel:[0,0,1] op_sel_hi:[1,0,0]
	v_dual_mul_f32 v8, v7, v3 :: v_dual_mov_b32 v4, v7
	s_delay_alu instid0(VALU_DEP_2) | instskip(NEXT) | instid1(VALU_DEP_2)
	v_dual_mov_b32 v11, v5 :: v_dual_mov_b32 v5, v6
	v_pk_fma_f32 v[8:9], v[6:7], v[60:61], v[8:9] op_sel_hi:[1,1,0] neg_lo:[0,0,1] neg_hi:[0,0,1]
	v_mul_f32_e32 v6, v7, v0
	s_delay_alu instid0(VALU_DEP_3) | instskip(NEXT) | instid1(VALU_DEP_2)
	v_pk_add_f32 v[206:207], v[206:207], v[10:11] neg_lo:[0,1] neg_hi:[0,1]
	v_pk_fma_f32 v[4:5], v[4:5], v[60:61], v[6:7] op_sel_hi:[1,1,0]
	s_delay_alu instid0(VALU_DEP_1) | instskip(SKIP_4) | instid1(VALU_DEP_1)
	v_mov_b32_e32 v9, v5
	ds_load_2addr_b64 v[4:7], v134 offset0:48 offset1:49
	v_pk_add_f32 v[198:199], v[198:199], v[8:9] neg_lo:[0,1] neg_hi:[0,1]
	s_wait_dscnt 0x0
	v_pk_mul_f32 v[8:9], v[4:5], v[2:3] op_sel:[0,1]
	v_pk_fma_f32 v[10:11], v[4:5], v[0:1], v[8:9] op_sel:[0,0,1] op_sel_hi:[1,1,0] neg_lo:[0,0,1] neg_hi:[0,0,1]
	v_pk_fma_f32 v[4:5], v[4:5], v[0:1], v[8:9] op_sel:[0,0,1] op_sel_hi:[1,0,0]
	s_delay_alu instid0(VALU_DEP_1) | instskip(SKIP_1) | instid1(VALU_DEP_1)
	v_mov_b32_e32 v11, v5
	v_pk_mul_f32 v[4:5], v[6:7], v[2:3] op_sel:[0,1]
	v_pk_fma_f32 v[8:9], v[6:7], v[0:1], v[4:5] op_sel:[0,0,1] op_sel_hi:[1,1,0] neg_lo:[0,0,1] neg_hi:[0,0,1]
	v_pk_fma_f32 v[4:5], v[6:7], v[0:1], v[4:5] op_sel:[0,0,1] op_sel_hi:[1,0,0]
	s_delay_alu instid0(VALU_DEP_1)
	v_mov_b32_e32 v9, v5
	ds_load_2addr_b64 v[4:7], v134 offset0:50 offset1:51
	v_pk_add_f32 v[204:205], v[204:205], v[10:11] neg_lo:[0,1] neg_hi:[0,1]
	v_pk_add_f32 v[196:197], v[196:197], v[8:9] neg_lo:[0,1] neg_hi:[0,1]
	s_wait_dscnt 0x0
	v_pk_mul_f32 v[8:9], v[4:5], v[2:3] op_sel:[0,1]
	s_delay_alu instid0(VALU_DEP_1) | instskip(SKIP_1) | instid1(VALU_DEP_1)
	v_pk_fma_f32 v[10:11], v[4:5], v[0:1], v[8:9] op_sel:[0,0,1] op_sel_hi:[1,1,0] neg_lo:[0,0,1] neg_hi:[0,0,1]
	v_pk_fma_f32 v[4:5], v[4:5], v[0:1], v[8:9] op_sel:[0,0,1] op_sel_hi:[1,0,0]
	v_mov_b32_e32 v11, v5
	v_pk_mul_f32 v[4:5], v[6:7], v[2:3] op_sel:[0,1]
	s_delay_alu instid0(VALU_DEP_1) | instskip(SKIP_1) | instid1(VALU_DEP_1)
	v_pk_fma_f32 v[8:9], v[6:7], v[0:1], v[4:5] op_sel:[0,0,1] op_sel_hi:[1,1,0] neg_lo:[0,0,1] neg_hi:[0,0,1]
	v_pk_fma_f32 v[4:5], v[6:7], v[0:1], v[4:5] op_sel:[0,0,1] op_sel_hi:[1,0,0]
	v_mov_b32_e32 v9, v5
	ds_load_b64 v[4:5], v134 offset:416
	v_pk_add_f32 v[202:203], v[202:203], v[10:11] neg_lo:[0,1] neg_hi:[0,1]
	v_pk_add_f32 v[210:211], v[210:211], v[8:9] neg_lo:[0,1] neg_hi:[0,1]
	s_wait_dscnt 0x0
	v_pk_mul_f32 v[2:3], v[4:5], v[2:3] op_sel:[0,1]
	s_delay_alu instid0(VALU_DEP_1) | instskip(SKIP_1) | instid1(VALU_DEP_1)
	v_pk_fma_f32 v[6:7], v[4:5], v[0:1], v[2:3] op_sel:[0,0,1] op_sel_hi:[1,1,0] neg_lo:[0,0,1] neg_hi:[0,0,1]
	v_pk_fma_f32 v[0:1], v[4:5], v[0:1], v[2:3] op_sel:[0,0,1] op_sel_hi:[1,0,0]
	v_mov_b32_e32 v7, v1
	s_delay_alu instid0(VALU_DEP_1)
	v_pk_add_f32 v[212:213], v[212:213], v[6:7] neg_lo:[0,1] neg_hi:[0,1]
.LBB105_127:
	s_wait_xcnt 0x0
	s_or_b32 exec_lo, exec_lo, s1
	s_delay_alu instid0(SALU_CYCLE_1)
	s_mov_b32 s2, exec_lo
	s_wait_storecnt 0x0
	s_barrier_signal -1
	s_barrier_wait -1
	v_cmpx_eq_u32_e32 14, v132
	s_cbranch_execz .LBB105_134
; %bb.128:
	ds_store_b64 v133, v[62:63]
	ds_store_2addr_b64 v134, v[58:59], v[80:81] offset0:15 offset1:16
	ds_store_2addr_b64 v134, v[76:77], v[78:79] offset0:17 offset1:18
	;; [unrolled: 1-line block ×19, first 2 shown]
	ds_load_b64 v[0:1], v133
	s_wait_dscnt 0x0
	v_cmp_neq_f32_e32 vcc_lo, 0, v0
	v_cmp_neq_f32_e64 s1, 0, v1
	s_or_b32 s1, vcc_lo, s1
	s_delay_alu instid0(SALU_CYCLE_1)
	s_and_b32 exec_lo, exec_lo, s1
	s_cbranch_execz .LBB105_134
; %bb.129:
	v_cmp_ngt_f32_e64 s1, |v0|, |v1|
                                        ; implicit-def: $vgpr2_vgpr3
	s_and_saveexec_b32 s4, s1
	s_delay_alu instid0(SALU_CYCLE_1)
	s_xor_b32 s1, exec_lo, s4
	s_cbranch_execz .LBB105_131
; %bb.130:
	v_div_scale_f32 v2, null, v1, v1, v0
	v_div_scale_f32 v5, vcc_lo, v0, v1, v0
	s_delay_alu instid0(VALU_DEP_2) | instskip(SKIP_1) | instid1(TRANS32_DEP_1)
	v_rcp_f32_e32 v3, v2
	v_nop
	v_fma_f32 v4, -v2, v3, 1.0
	s_delay_alu instid0(VALU_DEP_1) | instskip(NEXT) | instid1(VALU_DEP_1)
	v_fmac_f32_e32 v3, v4, v3
	v_mul_f32_e32 v4, v5, v3
	s_delay_alu instid0(VALU_DEP_1) | instskip(NEXT) | instid1(VALU_DEP_1)
	v_fma_f32 v6, -v2, v4, v5
	v_fmac_f32_e32 v4, v6, v3
	s_delay_alu instid0(VALU_DEP_1) | instskip(NEXT) | instid1(VALU_DEP_1)
	v_fma_f32 v2, -v2, v4, v5
	v_div_fmas_f32 v2, v2, v3, v4
	s_delay_alu instid0(VALU_DEP_1) | instskip(NEXT) | instid1(VALU_DEP_1)
	v_div_fixup_f32 v2, v2, v1, v0
	v_fmac_f32_e32 v1, v0, v2
	s_delay_alu instid0(VALU_DEP_1) | instskip(SKIP_1) | instid1(VALU_DEP_2)
	v_div_scale_f32 v0, null, v1, v1, 1.0
	v_div_scale_f32 v5, vcc_lo, 1.0, v1, 1.0
	v_rcp_f32_e32 v3, v0
	v_nop
	s_delay_alu instid0(TRANS32_DEP_1) | instskip(NEXT) | instid1(VALU_DEP_1)
	v_fma_f32 v4, -v0, v3, 1.0
	v_fmac_f32_e32 v3, v4, v3
	s_delay_alu instid0(VALU_DEP_1) | instskip(NEXT) | instid1(VALU_DEP_1)
	v_mul_f32_e32 v4, v5, v3
	v_fma_f32 v6, -v0, v4, v5
	s_delay_alu instid0(VALU_DEP_1) | instskip(NEXT) | instid1(VALU_DEP_1)
	v_fmac_f32_e32 v4, v6, v3
	v_fma_f32 v0, -v0, v4, v5
	s_delay_alu instid0(VALU_DEP_1) | instskip(NEXT) | instid1(VALU_DEP_1)
	v_div_fmas_f32 v0, v0, v3, v4
	v_div_fixup_f32 v0, v0, v1, 1.0
	s_delay_alu instid0(VALU_DEP_1)
	v_mul_f32_e32 v2, v2, v0
	v_xor_b32_e32 v3, 0x80000000, v0
                                        ; implicit-def: $vgpr0_vgpr1
.LBB105_131:
	s_and_not1_saveexec_b32 s1, s1
	s_cbranch_execz .LBB105_133
; %bb.132:
	v_div_scale_f32 v2, null, v0, v0, v1
	v_div_scale_f32 v5, vcc_lo, v1, v0, v1
	s_delay_alu instid0(VALU_DEP_2) | instskip(SKIP_1) | instid1(TRANS32_DEP_1)
	v_rcp_f32_e32 v3, v2
	v_nop
	v_fma_f32 v4, -v2, v3, 1.0
	s_delay_alu instid0(VALU_DEP_1) | instskip(NEXT) | instid1(VALU_DEP_1)
	v_fmac_f32_e32 v3, v4, v3
	v_mul_f32_e32 v4, v5, v3
	s_delay_alu instid0(VALU_DEP_1) | instskip(NEXT) | instid1(VALU_DEP_1)
	v_fma_f32 v6, -v2, v4, v5
	v_fmac_f32_e32 v4, v6, v3
	s_delay_alu instid0(VALU_DEP_1) | instskip(NEXT) | instid1(VALU_DEP_1)
	v_fma_f32 v2, -v2, v4, v5
	v_div_fmas_f32 v2, v2, v3, v4
	s_delay_alu instid0(VALU_DEP_1) | instskip(NEXT) | instid1(VALU_DEP_1)
	v_div_fixup_f32 v3, v2, v0, v1
	v_fmac_f32_e32 v0, v1, v3
	s_delay_alu instid0(VALU_DEP_1) | instskip(NEXT) | instid1(VALU_DEP_1)
	v_div_scale_f32 v1, null, v0, v0, 1.0
	v_rcp_f32_e32 v2, v1
	v_nop
	s_delay_alu instid0(TRANS32_DEP_1) | instskip(NEXT) | instid1(VALU_DEP_1)
	v_fma_f32 v4, -v1, v2, 1.0
	v_fmac_f32_e32 v2, v4, v2
	v_div_scale_f32 v4, vcc_lo, 1.0, v0, 1.0
	s_delay_alu instid0(VALU_DEP_1) | instskip(NEXT) | instid1(VALU_DEP_1)
	v_mul_f32_e32 v5, v4, v2
	v_fma_f32 v6, -v1, v5, v4
	s_delay_alu instid0(VALU_DEP_1) | instskip(NEXT) | instid1(VALU_DEP_1)
	v_fmac_f32_e32 v5, v6, v2
	v_fma_f32 v1, -v1, v5, v4
	s_delay_alu instid0(VALU_DEP_1) | instskip(NEXT) | instid1(VALU_DEP_1)
	v_div_fmas_f32 v1, v1, v2, v5
	v_div_fixup_f32 v2, v1, v0, 1.0
	s_delay_alu instid0(VALU_DEP_1)
	v_mul_f32_e64 v3, v3, -v2
.LBB105_133:
	s_or_b32 exec_lo, exec_lo, s1
	ds_store_b64 v133, v[2:3]
.LBB105_134:
	s_or_b32 exec_lo, exec_lo, s2
	s_wait_dscnt 0x0
	s_barrier_signal -1
	s_barrier_wait -1
	ds_load_b64 v[0:1], v133
	s_mov_b32 s1, exec_lo
	s_wait_dscnt 0x0
	scratch_store_b64 off, v[0:1], off offset:240 ; 8-byte Folded Spill
	s_wait_xcnt 0x0
	v_cmpx_lt_u32_e32 14, v132
	s_cbranch_execz .LBB105_136
; %bb.135:
	scratch_load_b64 v[4:5], off, off offset:240 ; 8-byte Folded Reload
	s_wait_loadcnt 0x0
	v_pk_mul_f32 v[2:3], v[4:5], v[62:63] op_sel:[1,1] op_sel_hi:[0,1]
	s_delay_alu instid0(VALU_DEP_1)
	v_pk_fma_f32 v[0:1], v[4:5], v[62:63], v[2:3] op_sel_hi:[1,0,1] neg_lo:[0,0,1] neg_hi:[0,0,1]
	v_pk_fma_f32 v[2:3], v[4:5], v[62:63], v[2:3] op_sel_hi:[1,0,1]
	ds_load_2addr_b64 v[4:7], v134 offset0:15 offset1:16
	v_dual_mov_b32 v62, v0 :: v_dual_mov_b32 v63, v3
	s_wait_dscnt 0x0
	v_pk_mul_f32 v[8:9], v[4:5], v[2:3] op_sel:[0,1]
	s_delay_alu instid0(VALU_DEP_1) | instskip(SKIP_1) | instid1(VALU_DEP_1)
	v_pk_fma_f32 v[10:11], v[4:5], v[0:1], v[8:9] op_sel:[0,0,1] op_sel_hi:[1,1,0] neg_lo:[0,0,1] neg_hi:[0,0,1]
	v_pk_fma_f32 v[4:5], v[4:5], v[0:1], v[8:9] op_sel:[0,0,1] op_sel_hi:[1,0,0]
	v_mov_b32_e32 v11, v5
	v_pk_mul_f32 v[4:5], v[6:7], v[2:3] op_sel:[0,1]
	s_delay_alu instid0(VALU_DEP_1) | instskip(SKIP_1) | instid1(VALU_DEP_1)
	v_pk_fma_f32 v[8:9], v[6:7], v[0:1], v[4:5] op_sel:[0,0,1] op_sel_hi:[1,1,0] neg_lo:[0,0,1] neg_hi:[0,0,1]
	v_pk_fma_f32 v[4:5], v[6:7], v[0:1], v[4:5] op_sel:[0,0,1] op_sel_hi:[1,0,0]
	v_mov_b32_e32 v9, v5
	ds_load_2addr_b64 v[4:7], v134 offset0:17 offset1:18
	v_pk_add_f32 v[58:59], v[58:59], v[10:11] neg_lo:[0,1] neg_hi:[0,1]
	v_pk_add_f32 v[80:81], v[80:81], v[8:9] neg_lo:[0,1] neg_hi:[0,1]
	s_wait_dscnt 0x0
	v_pk_mul_f32 v[8:9], v[4:5], v[2:3] op_sel:[0,1]
	s_delay_alu instid0(VALU_DEP_1) | instskip(SKIP_2) | instid1(VALU_DEP_2)
	v_pk_fma_f32 v[10:11], v[4:5], v[0:1], v[8:9] op_sel:[0,0,1] op_sel_hi:[1,1,0] neg_lo:[0,0,1] neg_hi:[0,0,1]
	v_pk_fma_f32 v[4:5], v[4:5], v[0:1], v[8:9] op_sel:[0,0,1] op_sel_hi:[1,0,0]
	v_dual_mul_f32 v8, v7, v3 :: v_dual_mov_b32 v4, v7
	v_dual_mov_b32 v11, v5 :: v_dual_mov_b32 v5, v6
	s_delay_alu instid0(VALU_DEP_2) | instskip(SKIP_1) | instid1(VALU_DEP_3)
	v_pk_fma_f32 v[8:9], v[6:7], v[62:63], v[8:9] op_sel_hi:[1,1,0] neg_lo:[0,0,1] neg_hi:[0,0,1]
	v_mul_f32_e32 v6, v7, v0
	v_pk_add_f32 v[76:77], v[76:77], v[10:11] neg_lo:[0,1] neg_hi:[0,1]
	s_delay_alu instid0(VALU_DEP_2) | instskip(NEXT) | instid1(VALU_DEP_1)
	v_pk_fma_f32 v[4:5], v[4:5], v[62:63], v[6:7] op_sel_hi:[1,1,0]
	v_mov_b32_e32 v9, v5
	ds_load_2addr_b64 v[4:7], v134 offset0:19 offset1:20
	v_pk_add_f32 v[78:79], v[78:79], v[8:9] neg_lo:[0,1] neg_hi:[0,1]
	s_wait_dscnt 0x0
	v_pk_mul_f32 v[8:9], v[4:5], v[2:3] op_sel:[0,1]
	s_delay_alu instid0(VALU_DEP_1) | instskip(SKIP_1) | instid1(VALU_DEP_1)
	v_pk_fma_f32 v[10:11], v[4:5], v[0:1], v[8:9] op_sel:[0,0,1] op_sel_hi:[1,1,0] neg_lo:[0,0,1] neg_hi:[0,0,1]
	v_pk_fma_f32 v[4:5], v[4:5], v[0:1], v[8:9] op_sel:[0,0,1] op_sel_hi:[1,0,0]
	v_mov_b32_e32 v11, v5
	v_pk_mul_f32 v[4:5], v[6:7], v[2:3] op_sel:[0,1]
	s_delay_alu instid0(VALU_DEP_1) | instskip(SKIP_1) | instid1(VALU_DEP_1)
	v_pk_fma_f32 v[8:9], v[6:7], v[0:1], v[4:5] op_sel:[0,0,1] op_sel_hi:[1,1,0] neg_lo:[0,0,1] neg_hi:[0,0,1]
	v_pk_fma_f32 v[4:5], v[6:7], v[0:1], v[4:5] op_sel:[0,0,1] op_sel_hi:[1,0,0]
	v_mov_b32_e32 v9, v5
	ds_load_2addr_b64 v[4:7], v134 offset0:21 offset1:22
	v_pk_add_f32 v[74:75], v[74:75], v[10:11] neg_lo:[0,1] neg_hi:[0,1]
	v_pk_add_f32 v[96:97], v[96:97], v[8:9] neg_lo:[0,1] neg_hi:[0,1]
	s_wait_dscnt 0x0
	v_pk_mul_f32 v[8:9], v[4:5], v[2:3] op_sel:[0,1]
	s_delay_alu instid0(VALU_DEP_1) | instskip(SKIP_1) | instid1(VALU_DEP_1)
	v_pk_fma_f32 v[10:11], v[4:5], v[0:1], v[8:9] op_sel:[0,0,1] op_sel_hi:[1,1,0] neg_lo:[0,0,1] neg_hi:[0,0,1]
	v_pk_fma_f32 v[4:5], v[4:5], v[0:1], v[8:9] op_sel:[0,0,1] op_sel_hi:[1,0,0]
	v_mov_b32_e32 v11, v5
	v_pk_mul_f32 v[4:5], v[6:7], v[2:3] op_sel:[0,1]
	s_delay_alu instid0(VALU_DEP_1) | instskip(SKIP_1) | instid1(VALU_DEP_1)
	v_pk_fma_f32 v[8:9], v[6:7], v[0:1], v[4:5] op_sel:[0,0,1] op_sel_hi:[1,1,0] neg_lo:[0,0,1] neg_hi:[0,0,1]
	v_pk_fma_f32 v[4:5], v[6:7], v[0:1], v[4:5] op_sel:[0,0,1] op_sel_hi:[1,0,0]
	v_mov_b32_e32 v9, v5
	ds_load_2addr_b64 v[4:7], v134 offset0:23 offset1:24
	v_pk_add_f32 v[92:93], v[92:93], v[10:11] neg_lo:[0,1] neg_hi:[0,1]
	v_pk_add_f32 v[94:95], v[94:95], v[8:9] neg_lo:[0,1] neg_hi:[0,1]
	s_wait_dscnt 0x0
	v_dual_mul_f32 v8, v5, v3 :: v_dual_mul_f32 v10, v5, v0
	s_delay_alu instid0(VALU_DEP_1) | instskip(NEXT) | instid1(VALU_DEP_2)
	v_pk_fma_f32 v[8:9], v[4:5], v[62:63], v[8:9] op_sel_hi:[1,1,0] neg_lo:[0,0,1] neg_hi:[0,0,1]
	v_pk_fma_f32 v[4:5], v[4:5], v[62:63], v[10:11] op_sel:[1,0,0] op_sel_hi:[0,1,0]
	s_delay_alu instid0(VALU_DEP_1) | instskip(SKIP_1) | instid1(VALU_DEP_2)
	v_mov_b32_e32 v9, v5
	v_pk_mul_f32 v[4:5], v[6:7], v[2:3] op_sel:[0,1]
	v_pk_add_f32 v[90:91], v[90:91], v[8:9] neg_lo:[0,1] neg_hi:[0,1]
	s_delay_alu instid0(VALU_DEP_2) | instskip(SKIP_1) | instid1(VALU_DEP_1)
	v_pk_fma_f32 v[8:9], v[6:7], v[0:1], v[4:5] op_sel:[0,0,1] op_sel_hi:[1,1,0] neg_lo:[0,0,1] neg_hi:[0,0,1]
	v_pk_fma_f32 v[4:5], v[6:7], v[0:1], v[4:5] op_sel:[0,0,1] op_sel_hi:[1,0,0]
	v_mov_b32_e32 v9, v5
	ds_load_2addr_b64 v[4:7], v134 offset0:25 offset1:26
	v_pk_add_f32 v[112:113], v[112:113], v[8:9] neg_lo:[0,1] neg_hi:[0,1]
	s_wait_dscnt 0x0
	v_pk_mul_f32 v[8:9], v[4:5], v[2:3] op_sel:[0,1]
	s_delay_alu instid0(VALU_DEP_1) | instskip(SKIP_1) | instid1(VALU_DEP_1)
	v_pk_fma_f32 v[10:11], v[4:5], v[0:1], v[8:9] op_sel:[0,0,1] op_sel_hi:[1,1,0] neg_lo:[0,0,1] neg_hi:[0,0,1]
	v_pk_fma_f32 v[4:5], v[4:5], v[0:1], v[8:9] op_sel:[0,0,1] op_sel_hi:[1,0,0]
	v_mov_b32_e32 v11, v5
	v_pk_mul_f32 v[4:5], v[6:7], v[2:3] op_sel:[0,1]
	s_delay_alu instid0(VALU_DEP_2) | instskip(NEXT) | instid1(VALU_DEP_2)
	v_pk_add_f32 v[108:109], v[108:109], v[10:11] neg_lo:[0,1] neg_hi:[0,1]
	v_pk_fma_f32 v[8:9], v[6:7], v[0:1], v[4:5] op_sel:[0,0,1] op_sel_hi:[1,1,0] neg_lo:[0,0,1] neg_hi:[0,0,1]
	v_pk_fma_f32 v[4:5], v[6:7], v[0:1], v[4:5] op_sel:[0,0,1] op_sel_hi:[1,0,0]
	s_delay_alu instid0(VALU_DEP_1) | instskip(SKIP_4) | instid1(VALU_DEP_1)
	v_mov_b32_e32 v9, v5
	ds_load_2addr_b64 v[4:7], v134 offset0:27 offset1:28
	v_pk_add_f32 v[110:111], v[110:111], v[8:9] neg_lo:[0,1] neg_hi:[0,1]
	s_wait_dscnt 0x0
	v_pk_mul_f32 v[8:9], v[4:5], v[2:3] op_sel:[0,1]
	v_pk_fma_f32 v[10:11], v[4:5], v[0:1], v[8:9] op_sel:[0,0,1] op_sel_hi:[1,1,0] neg_lo:[0,0,1] neg_hi:[0,0,1]
	v_pk_fma_f32 v[4:5], v[4:5], v[0:1], v[8:9] op_sel:[0,0,1] op_sel_hi:[1,0,0]
	v_dual_mul_f32 v8, v7, v3 :: v_dual_mov_b32 v4, v7
	s_delay_alu instid0(VALU_DEP_2) | instskip(NEXT) | instid1(VALU_DEP_2)
	v_dual_mov_b32 v11, v5 :: v_dual_mov_b32 v5, v6
	v_pk_fma_f32 v[8:9], v[6:7], v[62:63], v[8:9] op_sel_hi:[1,1,0] neg_lo:[0,0,1] neg_hi:[0,0,1]
	v_mul_f32_e32 v6, v7, v0
	s_delay_alu instid0(VALU_DEP_3) | instskip(NEXT) | instid1(VALU_DEP_2)
	v_pk_add_f32 v[106:107], v[106:107], v[10:11] neg_lo:[0,1] neg_hi:[0,1]
	v_pk_fma_f32 v[4:5], v[4:5], v[62:63], v[6:7] op_sel_hi:[1,1,0]
	s_delay_alu instid0(VALU_DEP_1) | instskip(SKIP_4) | instid1(VALU_DEP_1)
	v_mov_b32_e32 v9, v5
	ds_load_2addr_b64 v[4:7], v134 offset0:29 offset1:30
	v_pk_add_f32 v[130:131], v[130:131], v[8:9] neg_lo:[0,1] neg_hi:[0,1]
	s_wait_dscnt 0x0
	v_pk_mul_f32 v[8:9], v[4:5], v[2:3] op_sel:[0,1]
	v_pk_fma_f32 v[10:11], v[4:5], v[0:1], v[8:9] op_sel:[0,0,1] op_sel_hi:[1,1,0] neg_lo:[0,0,1] neg_hi:[0,0,1]
	v_pk_fma_f32 v[4:5], v[4:5], v[0:1], v[8:9] op_sel:[0,0,1] op_sel_hi:[1,0,0]
	s_delay_alu instid0(VALU_DEP_1) | instskip(SKIP_1) | instid1(VALU_DEP_1)
	v_mov_b32_e32 v11, v5
	v_pk_mul_f32 v[4:5], v[6:7], v[2:3] op_sel:[0,1]
	v_pk_fma_f32 v[8:9], v[6:7], v[0:1], v[4:5] op_sel:[0,0,1] op_sel_hi:[1,1,0] neg_lo:[0,0,1] neg_hi:[0,0,1]
	v_pk_fma_f32 v[4:5], v[6:7], v[0:1], v[4:5] op_sel:[0,0,1] op_sel_hi:[1,0,0]
	s_delay_alu instid0(VALU_DEP_1)
	v_mov_b32_e32 v9, v5
	ds_load_2addr_b64 v[4:7], v134 offset0:31 offset1:32
	v_pk_add_f32 v[126:127], v[126:127], v[10:11] neg_lo:[0,1] neg_hi:[0,1]
	v_pk_add_f32 v[128:129], v[128:129], v[8:9] neg_lo:[0,1] neg_hi:[0,1]
	s_wait_dscnt 0x0
	v_pk_mul_f32 v[8:9], v[4:5], v[2:3] op_sel:[0,1]
	s_delay_alu instid0(VALU_DEP_1) | instskip(SKIP_1) | instid1(VALU_DEP_1)
	v_pk_fma_f32 v[10:11], v[4:5], v[0:1], v[8:9] op_sel:[0,0,1] op_sel_hi:[1,1,0] neg_lo:[0,0,1] neg_hi:[0,0,1]
	v_pk_fma_f32 v[4:5], v[4:5], v[0:1], v[8:9] op_sel:[0,0,1] op_sel_hi:[1,0,0]
	v_mov_b32_e32 v11, v5
	v_pk_mul_f32 v[4:5], v[6:7], v[2:3] op_sel:[0,1]
	s_delay_alu instid0(VALU_DEP_1) | instskip(SKIP_1) | instid1(VALU_DEP_1)
	v_pk_fma_f32 v[8:9], v[6:7], v[0:1], v[4:5] op_sel:[0,0,1] op_sel_hi:[1,1,0] neg_lo:[0,0,1] neg_hi:[0,0,1]
	v_pk_fma_f32 v[4:5], v[6:7], v[0:1], v[4:5] op_sel:[0,0,1] op_sel_hi:[1,0,0]
	v_mov_b32_e32 v9, v5
	ds_load_2addr_b64 v[4:7], v134 offset0:33 offset1:34
	v_pk_add_f32 v[124:125], v[124:125], v[10:11] neg_lo:[0,1] neg_hi:[0,1]
	v_pk_add_f32 v[146:147], v[146:147], v[8:9] neg_lo:[0,1] neg_hi:[0,1]
	s_wait_dscnt 0x0
	v_dual_mul_f32 v8, v5, v3 :: v_dual_mul_f32 v10, v5, v0
	s_delay_alu instid0(VALU_DEP_1) | instskip(NEXT) | instid1(VALU_DEP_2)
	v_pk_fma_f32 v[8:9], v[4:5], v[62:63], v[8:9] op_sel_hi:[1,1,0] neg_lo:[0,0,1] neg_hi:[0,0,1]
	v_pk_fma_f32 v[4:5], v[4:5], v[62:63], v[10:11] op_sel:[1,0,0] op_sel_hi:[0,1,0]
	s_delay_alu instid0(VALU_DEP_1) | instskip(SKIP_1) | instid1(VALU_DEP_2)
	v_mov_b32_e32 v9, v5
	v_pk_mul_f32 v[4:5], v[6:7], v[2:3] op_sel:[0,1]
	v_pk_add_f32 v[142:143], v[142:143], v[8:9] neg_lo:[0,1] neg_hi:[0,1]
	s_delay_alu instid0(VALU_DEP_2) | instskip(SKIP_1) | instid1(VALU_DEP_1)
	v_pk_fma_f32 v[8:9], v[6:7], v[0:1], v[4:5] op_sel:[0,0,1] op_sel_hi:[1,1,0] neg_lo:[0,0,1] neg_hi:[0,0,1]
	v_pk_fma_f32 v[4:5], v[6:7], v[0:1], v[4:5] op_sel:[0,0,1] op_sel_hi:[1,0,0]
	v_mov_b32_e32 v9, v5
	ds_load_2addr_b64 v[4:7], v134 offset0:35 offset1:36
	v_pk_add_f32 v[144:145], v[144:145], v[8:9] neg_lo:[0,1] neg_hi:[0,1]
	s_wait_dscnt 0x0
	v_pk_mul_f32 v[8:9], v[4:5], v[2:3] op_sel:[0,1]
	s_delay_alu instid0(VALU_DEP_1) | instskip(SKIP_1) | instid1(VALU_DEP_1)
	v_pk_fma_f32 v[10:11], v[4:5], v[0:1], v[8:9] op_sel:[0,0,1] op_sel_hi:[1,1,0] neg_lo:[0,0,1] neg_hi:[0,0,1]
	v_pk_fma_f32 v[4:5], v[4:5], v[0:1], v[8:9] op_sel:[0,0,1] op_sel_hi:[1,0,0]
	v_mov_b32_e32 v11, v5
	v_pk_mul_f32 v[4:5], v[6:7], v[2:3] op_sel:[0,1]
	s_delay_alu instid0(VALU_DEP_2) | instskip(NEXT) | instid1(VALU_DEP_2)
	v_pk_add_f32 v[140:141], v[140:141], v[10:11] neg_lo:[0,1] neg_hi:[0,1]
	v_pk_fma_f32 v[8:9], v[6:7], v[0:1], v[4:5] op_sel:[0,0,1] op_sel_hi:[1,1,0] neg_lo:[0,0,1] neg_hi:[0,0,1]
	v_pk_fma_f32 v[4:5], v[6:7], v[0:1], v[4:5] op_sel:[0,0,1] op_sel_hi:[1,0,0]
	s_delay_alu instid0(VALU_DEP_1) | instskip(SKIP_4) | instid1(VALU_DEP_1)
	v_mov_b32_e32 v9, v5
	ds_load_2addr_b64 v[4:7], v134 offset0:37 offset1:38
	v_pk_add_f32 v[162:163], v[162:163], v[8:9] neg_lo:[0,1] neg_hi:[0,1]
	s_wait_dscnt 0x0
	v_pk_mul_f32 v[8:9], v[4:5], v[2:3] op_sel:[0,1]
	v_pk_fma_f32 v[10:11], v[4:5], v[0:1], v[8:9] op_sel:[0,0,1] op_sel_hi:[1,1,0] neg_lo:[0,0,1] neg_hi:[0,0,1]
	v_pk_fma_f32 v[4:5], v[4:5], v[0:1], v[8:9] op_sel:[0,0,1] op_sel_hi:[1,0,0]
	v_dual_mul_f32 v8, v7, v3 :: v_dual_mov_b32 v4, v7
	s_delay_alu instid0(VALU_DEP_2) | instskip(NEXT) | instid1(VALU_DEP_2)
	v_dual_mov_b32 v11, v5 :: v_dual_mov_b32 v5, v6
	v_pk_fma_f32 v[8:9], v[6:7], v[62:63], v[8:9] op_sel_hi:[1,1,0] neg_lo:[0,0,1] neg_hi:[0,0,1]
	v_mul_f32_e32 v6, v7, v0
	s_delay_alu instid0(VALU_DEP_3) | instskip(NEXT) | instid1(VALU_DEP_2)
	v_pk_add_f32 v[158:159], v[158:159], v[10:11] neg_lo:[0,1] neg_hi:[0,1]
	v_pk_fma_f32 v[4:5], v[4:5], v[62:63], v[6:7] op_sel_hi:[1,1,0]
	s_delay_alu instid0(VALU_DEP_1) | instskip(SKIP_4) | instid1(VALU_DEP_1)
	v_mov_b32_e32 v9, v5
	ds_load_2addr_b64 v[4:7], v134 offset0:39 offset1:40
	v_pk_add_f32 v[160:161], v[160:161], v[8:9] neg_lo:[0,1] neg_hi:[0,1]
	s_wait_dscnt 0x0
	v_pk_mul_f32 v[8:9], v[4:5], v[2:3] op_sel:[0,1]
	v_pk_fma_f32 v[10:11], v[4:5], v[0:1], v[8:9] op_sel:[0,0,1] op_sel_hi:[1,1,0] neg_lo:[0,0,1] neg_hi:[0,0,1]
	v_pk_fma_f32 v[4:5], v[4:5], v[0:1], v[8:9] op_sel:[0,0,1] op_sel_hi:[1,0,0]
	s_delay_alu instid0(VALU_DEP_1) | instskip(SKIP_1) | instid1(VALU_DEP_1)
	v_mov_b32_e32 v11, v5
	v_pk_mul_f32 v[4:5], v[6:7], v[2:3] op_sel:[0,1]
	v_pk_fma_f32 v[8:9], v[6:7], v[0:1], v[4:5] op_sel:[0,0,1] op_sel_hi:[1,1,0] neg_lo:[0,0,1] neg_hi:[0,0,1]
	v_pk_fma_f32 v[4:5], v[6:7], v[0:1], v[4:5] op_sel:[0,0,1] op_sel_hi:[1,0,0]
	s_delay_alu instid0(VALU_DEP_1)
	v_mov_b32_e32 v9, v5
	ds_load_2addr_b64 v[4:7], v134 offset0:41 offset1:42
	v_pk_add_f32 v[156:157], v[156:157], v[10:11] neg_lo:[0,1] neg_hi:[0,1]
	v_pk_add_f32 v[184:185], v[184:185], v[8:9] neg_lo:[0,1] neg_hi:[0,1]
	s_wait_dscnt 0x0
	v_pk_mul_f32 v[8:9], v[4:5], v[2:3] op_sel:[0,1]
	s_delay_alu instid0(VALU_DEP_1) | instskip(SKIP_1) | instid1(VALU_DEP_1)
	v_pk_fma_f32 v[10:11], v[4:5], v[0:1], v[8:9] op_sel:[0,0,1] op_sel_hi:[1,1,0] neg_lo:[0,0,1] neg_hi:[0,0,1]
	v_pk_fma_f32 v[4:5], v[4:5], v[0:1], v[8:9] op_sel:[0,0,1] op_sel_hi:[1,0,0]
	v_mov_b32_e32 v11, v5
	v_pk_mul_f32 v[4:5], v[6:7], v[2:3] op_sel:[0,1]
	s_delay_alu instid0(VALU_DEP_1) | instskip(SKIP_1) | instid1(VALU_DEP_1)
	v_pk_fma_f32 v[8:9], v[6:7], v[0:1], v[4:5] op_sel:[0,0,1] op_sel_hi:[1,1,0] neg_lo:[0,0,1] neg_hi:[0,0,1]
	v_pk_fma_f32 v[4:5], v[6:7], v[0:1], v[4:5] op_sel:[0,0,1] op_sel_hi:[1,0,0]
	v_mov_b32_e32 v9, v5
	ds_load_2addr_b64 v[4:7], v134 offset0:43 offset1:44
	v_pk_add_f32 v[180:181], v[180:181], v[10:11] neg_lo:[0,1] neg_hi:[0,1]
	v_pk_add_f32 v[182:183], v[182:183], v[8:9] neg_lo:[0,1] neg_hi:[0,1]
	s_wait_dscnt 0x0
	v_dual_mul_f32 v8, v5, v3 :: v_dual_mul_f32 v10, v5, v0
	s_delay_alu instid0(VALU_DEP_1) | instskip(NEXT) | instid1(VALU_DEP_2)
	v_pk_fma_f32 v[8:9], v[4:5], v[62:63], v[8:9] op_sel_hi:[1,1,0] neg_lo:[0,0,1] neg_hi:[0,0,1]
	v_pk_fma_f32 v[4:5], v[4:5], v[62:63], v[10:11] op_sel:[1,0,0] op_sel_hi:[0,1,0]
	s_delay_alu instid0(VALU_DEP_1) | instskip(SKIP_1) | instid1(VALU_DEP_2)
	v_mov_b32_e32 v9, v5
	v_pk_mul_f32 v[4:5], v[6:7], v[2:3] op_sel:[0,1]
	v_pk_add_f32 v[178:179], v[178:179], v[8:9] neg_lo:[0,1] neg_hi:[0,1]
	s_delay_alu instid0(VALU_DEP_2) | instskip(SKIP_1) | instid1(VALU_DEP_1)
	v_pk_fma_f32 v[8:9], v[6:7], v[0:1], v[4:5] op_sel:[0,0,1] op_sel_hi:[1,1,0] neg_lo:[0,0,1] neg_hi:[0,0,1]
	v_pk_fma_f32 v[4:5], v[6:7], v[0:1], v[4:5] op_sel:[0,0,1] op_sel_hi:[1,0,0]
	v_mov_b32_e32 v9, v5
	ds_load_2addr_b64 v[4:7], v134 offset0:45 offset1:46
	v_pk_add_f32 v[208:209], v[208:209], v[8:9] neg_lo:[0,1] neg_hi:[0,1]
	s_wait_dscnt 0x0
	v_pk_mul_f32 v[8:9], v[4:5], v[2:3] op_sel:[0,1]
	s_delay_alu instid0(VALU_DEP_1) | instskip(SKIP_1) | instid1(VALU_DEP_1)
	v_pk_fma_f32 v[10:11], v[4:5], v[0:1], v[8:9] op_sel:[0,0,1] op_sel_hi:[1,1,0] neg_lo:[0,0,1] neg_hi:[0,0,1]
	v_pk_fma_f32 v[4:5], v[4:5], v[0:1], v[8:9] op_sel:[0,0,1] op_sel_hi:[1,0,0]
	v_mov_b32_e32 v11, v5
	v_pk_mul_f32 v[4:5], v[6:7], v[2:3] op_sel:[0,1]
	s_delay_alu instid0(VALU_DEP_2) | instskip(NEXT) | instid1(VALU_DEP_2)
	v_pk_add_f32 v[200:201], v[200:201], v[10:11] neg_lo:[0,1] neg_hi:[0,1]
	v_pk_fma_f32 v[8:9], v[6:7], v[0:1], v[4:5] op_sel:[0,0,1] op_sel_hi:[1,1,0] neg_lo:[0,0,1] neg_hi:[0,0,1]
	v_pk_fma_f32 v[4:5], v[6:7], v[0:1], v[4:5] op_sel:[0,0,1] op_sel_hi:[1,0,0]
	s_delay_alu instid0(VALU_DEP_1) | instskip(SKIP_4) | instid1(VALU_DEP_1)
	v_mov_b32_e32 v9, v5
	ds_load_2addr_b64 v[4:7], v134 offset0:47 offset1:48
	v_pk_add_f32 v[206:207], v[206:207], v[8:9] neg_lo:[0,1] neg_hi:[0,1]
	s_wait_dscnt 0x0
	v_pk_mul_f32 v[8:9], v[4:5], v[2:3] op_sel:[0,1]
	v_pk_fma_f32 v[10:11], v[4:5], v[0:1], v[8:9] op_sel:[0,0,1] op_sel_hi:[1,1,0] neg_lo:[0,0,1] neg_hi:[0,0,1]
	v_pk_fma_f32 v[4:5], v[4:5], v[0:1], v[8:9] op_sel:[0,0,1] op_sel_hi:[1,0,0]
	v_dual_mul_f32 v8, v7, v3 :: v_dual_mov_b32 v4, v7
	s_delay_alu instid0(VALU_DEP_2) | instskip(NEXT) | instid1(VALU_DEP_2)
	v_dual_mov_b32 v11, v5 :: v_dual_mov_b32 v5, v6
	v_pk_fma_f32 v[8:9], v[6:7], v[62:63], v[8:9] op_sel_hi:[1,1,0] neg_lo:[0,0,1] neg_hi:[0,0,1]
	v_mul_f32_e32 v6, v7, v0
	s_delay_alu instid0(VALU_DEP_3) | instskip(NEXT) | instid1(VALU_DEP_2)
	v_pk_add_f32 v[198:199], v[198:199], v[10:11] neg_lo:[0,1] neg_hi:[0,1]
	v_pk_fma_f32 v[4:5], v[4:5], v[62:63], v[6:7] op_sel_hi:[1,1,0]
	s_delay_alu instid0(VALU_DEP_1) | instskip(SKIP_4) | instid1(VALU_DEP_1)
	v_mov_b32_e32 v9, v5
	ds_load_2addr_b64 v[4:7], v134 offset0:49 offset1:50
	v_pk_add_f32 v[204:205], v[204:205], v[8:9] neg_lo:[0,1] neg_hi:[0,1]
	s_wait_dscnt 0x0
	v_pk_mul_f32 v[8:9], v[4:5], v[2:3] op_sel:[0,1]
	v_pk_fma_f32 v[10:11], v[4:5], v[0:1], v[8:9] op_sel:[0,0,1] op_sel_hi:[1,1,0] neg_lo:[0,0,1] neg_hi:[0,0,1]
	v_pk_fma_f32 v[4:5], v[4:5], v[0:1], v[8:9] op_sel:[0,0,1] op_sel_hi:[1,0,0]
	s_delay_alu instid0(VALU_DEP_1) | instskip(SKIP_1) | instid1(VALU_DEP_1)
	v_mov_b32_e32 v11, v5
	v_pk_mul_f32 v[4:5], v[6:7], v[2:3] op_sel:[0,1]
	v_pk_fma_f32 v[8:9], v[6:7], v[0:1], v[4:5] op_sel:[0,0,1] op_sel_hi:[1,1,0] neg_lo:[0,0,1] neg_hi:[0,0,1]
	v_pk_fma_f32 v[4:5], v[6:7], v[0:1], v[4:5] op_sel:[0,0,1] op_sel_hi:[1,0,0]
	s_delay_alu instid0(VALU_DEP_1)
	v_mov_b32_e32 v9, v5
	ds_load_2addr_b64 v[4:7], v134 offset0:51 offset1:52
	v_pk_add_f32 v[196:197], v[196:197], v[10:11] neg_lo:[0,1] neg_hi:[0,1]
	v_pk_add_f32 v[202:203], v[202:203], v[8:9] neg_lo:[0,1] neg_hi:[0,1]
	s_wait_dscnt 0x0
	v_pk_mul_f32 v[8:9], v[4:5], v[2:3] op_sel:[0,1]
	v_pk_mul_f32 v[2:3], v[6:7], v[2:3] op_sel:[0,1]
	s_delay_alu instid0(VALU_DEP_2) | instskip(SKIP_1) | instid1(VALU_DEP_1)
	v_pk_fma_f32 v[10:11], v[4:5], v[0:1], v[8:9] op_sel:[0,0,1] op_sel_hi:[1,1,0] neg_lo:[0,0,1] neg_hi:[0,0,1]
	v_pk_fma_f32 v[4:5], v[4:5], v[0:1], v[8:9] op_sel:[0,0,1] op_sel_hi:[1,0,0]
	v_mov_b32_e32 v11, v5
	s_delay_alu instid0(VALU_DEP_4) | instskip(SKIP_1) | instid1(VALU_DEP_1)
	v_pk_fma_f32 v[4:5], v[6:7], v[0:1], v[2:3] op_sel:[0,0,1] op_sel_hi:[1,1,0] neg_lo:[0,0,1] neg_hi:[0,0,1]
	v_pk_fma_f32 v[0:1], v[6:7], v[0:1], v[2:3] op_sel:[0,0,1] op_sel_hi:[1,0,0]
	v_mov_b32_e32 v5, v1
	s_delay_alu instid0(VALU_DEP_4) | instskip(NEXT) | instid1(VALU_DEP_2)
	v_pk_add_f32 v[210:211], v[210:211], v[10:11] neg_lo:[0,1] neg_hi:[0,1]
	v_pk_add_f32 v[212:213], v[212:213], v[4:5] neg_lo:[0,1] neg_hi:[0,1]
.LBB105_136:
	s_wait_xcnt 0x0
	s_or_b32 exec_lo, exec_lo, s1
	s_delay_alu instid0(SALU_CYCLE_1)
	s_mov_b32 s2, exec_lo
	s_wait_storecnt 0x0
	s_barrier_signal -1
	s_barrier_wait -1
	v_cmpx_eq_u32_e32 15, v132
	s_cbranch_execz .LBB105_143
; %bb.137:
	v_dual_mov_b32 v0, v80 :: v_dual_mov_b32 v1, v81
	v_dual_mov_b32 v2, v76 :: v_dual_mov_b32 v3, v77
	ds_store_b64 v133, v[58:59]
	ds_store_2addr_b64 v134, v[0:1], v[2:3] offset0:16 offset1:17
	v_dual_mov_b32 v0, v78 :: v_dual_mov_b32 v1, v79
	v_dual_mov_b32 v2, v74 :: v_dual_mov_b32 v3, v75
	ds_store_2addr_b64 v134, v[0:1], v[2:3] offset0:18 offset1:19
	v_dual_mov_b32 v0, v96 :: v_dual_mov_b32 v1, v97
	v_dual_mov_b32 v2, v92 :: v_dual_mov_b32 v3, v93
	;; [unrolled: 3-line block ×17, first 2 shown]
	ds_store_2addr_b64 v134, v[0:1], v[2:3] offset0:50 offset1:51
	ds_store_b64 v134, v[212:213] offset:416
	ds_load_b64 v[0:1], v133
	s_wait_dscnt 0x0
	v_cmp_neq_f32_e32 vcc_lo, 0, v0
	v_cmp_neq_f32_e64 s1, 0, v1
	s_or_b32 s1, vcc_lo, s1
	s_delay_alu instid0(SALU_CYCLE_1)
	s_and_b32 exec_lo, exec_lo, s1
	s_cbranch_execz .LBB105_143
; %bb.138:
	v_cmp_ngt_f32_e64 s1, |v0|, |v1|
                                        ; implicit-def: $vgpr2_vgpr3
	s_and_saveexec_b32 s4, s1
	s_delay_alu instid0(SALU_CYCLE_1)
	s_xor_b32 s1, exec_lo, s4
	s_cbranch_execz .LBB105_140
; %bb.139:
	v_div_scale_f32 v2, null, v1, v1, v0
	v_div_scale_f32 v5, vcc_lo, v0, v1, v0
	s_delay_alu instid0(VALU_DEP_2) | instskip(SKIP_1) | instid1(TRANS32_DEP_1)
	v_rcp_f32_e32 v3, v2
	v_nop
	v_fma_f32 v4, -v2, v3, 1.0
	s_delay_alu instid0(VALU_DEP_1) | instskip(NEXT) | instid1(VALU_DEP_1)
	v_fmac_f32_e32 v3, v4, v3
	v_mul_f32_e32 v4, v5, v3
	s_delay_alu instid0(VALU_DEP_1) | instskip(NEXT) | instid1(VALU_DEP_1)
	v_fma_f32 v6, -v2, v4, v5
	v_fmac_f32_e32 v4, v6, v3
	s_delay_alu instid0(VALU_DEP_1) | instskip(NEXT) | instid1(VALU_DEP_1)
	v_fma_f32 v2, -v2, v4, v5
	v_div_fmas_f32 v2, v2, v3, v4
	s_delay_alu instid0(VALU_DEP_1) | instskip(NEXT) | instid1(VALU_DEP_1)
	v_div_fixup_f32 v2, v2, v1, v0
	v_fmac_f32_e32 v1, v0, v2
	s_delay_alu instid0(VALU_DEP_1) | instskip(SKIP_1) | instid1(VALU_DEP_2)
	v_div_scale_f32 v0, null, v1, v1, 1.0
	v_div_scale_f32 v5, vcc_lo, 1.0, v1, 1.0
	v_rcp_f32_e32 v3, v0
	v_nop
	s_delay_alu instid0(TRANS32_DEP_1) | instskip(NEXT) | instid1(VALU_DEP_1)
	v_fma_f32 v4, -v0, v3, 1.0
	v_fmac_f32_e32 v3, v4, v3
	s_delay_alu instid0(VALU_DEP_1) | instskip(NEXT) | instid1(VALU_DEP_1)
	v_mul_f32_e32 v4, v5, v3
	v_fma_f32 v6, -v0, v4, v5
	s_delay_alu instid0(VALU_DEP_1) | instskip(NEXT) | instid1(VALU_DEP_1)
	v_fmac_f32_e32 v4, v6, v3
	v_fma_f32 v0, -v0, v4, v5
	s_delay_alu instid0(VALU_DEP_1) | instskip(NEXT) | instid1(VALU_DEP_1)
	v_div_fmas_f32 v0, v0, v3, v4
	v_div_fixup_f32 v0, v0, v1, 1.0
	s_delay_alu instid0(VALU_DEP_1)
	v_mul_f32_e32 v2, v2, v0
	v_xor_b32_e32 v3, 0x80000000, v0
                                        ; implicit-def: $vgpr0_vgpr1
.LBB105_140:
	s_and_not1_saveexec_b32 s1, s1
	s_cbranch_execz .LBB105_142
; %bb.141:
	v_div_scale_f32 v2, null, v0, v0, v1
	v_div_scale_f32 v5, vcc_lo, v1, v0, v1
	s_delay_alu instid0(VALU_DEP_2) | instskip(SKIP_1) | instid1(TRANS32_DEP_1)
	v_rcp_f32_e32 v3, v2
	v_nop
	v_fma_f32 v4, -v2, v3, 1.0
	s_delay_alu instid0(VALU_DEP_1) | instskip(NEXT) | instid1(VALU_DEP_1)
	v_fmac_f32_e32 v3, v4, v3
	v_mul_f32_e32 v4, v5, v3
	s_delay_alu instid0(VALU_DEP_1) | instskip(NEXT) | instid1(VALU_DEP_1)
	v_fma_f32 v6, -v2, v4, v5
	v_fmac_f32_e32 v4, v6, v3
	s_delay_alu instid0(VALU_DEP_1) | instskip(NEXT) | instid1(VALU_DEP_1)
	v_fma_f32 v2, -v2, v4, v5
	v_div_fmas_f32 v2, v2, v3, v4
	s_delay_alu instid0(VALU_DEP_1) | instskip(NEXT) | instid1(VALU_DEP_1)
	v_div_fixup_f32 v3, v2, v0, v1
	v_fmac_f32_e32 v0, v1, v3
	s_delay_alu instid0(VALU_DEP_1) | instskip(NEXT) | instid1(VALU_DEP_1)
	v_div_scale_f32 v1, null, v0, v0, 1.0
	v_rcp_f32_e32 v2, v1
	v_nop
	s_delay_alu instid0(TRANS32_DEP_1) | instskip(NEXT) | instid1(VALU_DEP_1)
	v_fma_f32 v4, -v1, v2, 1.0
	v_fmac_f32_e32 v2, v4, v2
	v_div_scale_f32 v4, vcc_lo, 1.0, v0, 1.0
	s_delay_alu instid0(VALU_DEP_1) | instskip(NEXT) | instid1(VALU_DEP_1)
	v_mul_f32_e32 v5, v4, v2
	v_fma_f32 v6, -v1, v5, v4
	s_delay_alu instid0(VALU_DEP_1) | instskip(NEXT) | instid1(VALU_DEP_1)
	v_fmac_f32_e32 v5, v6, v2
	v_fma_f32 v1, -v1, v5, v4
	s_delay_alu instid0(VALU_DEP_1) | instskip(NEXT) | instid1(VALU_DEP_1)
	v_div_fmas_f32 v1, v1, v2, v5
	v_div_fixup_f32 v2, v1, v0, 1.0
	s_delay_alu instid0(VALU_DEP_1)
	v_mul_f32_e64 v3, v3, -v2
.LBB105_142:
	s_or_b32 exec_lo, exec_lo, s1
	ds_store_b64 v133, v[2:3]
.LBB105_143:
	s_or_b32 exec_lo, exec_lo, s2
	s_wait_dscnt 0x0
	s_barrier_signal -1
	s_barrier_wait -1
	ds_load_b64 v[0:1], v133
	s_mov_b32 s1, exec_lo
	s_wait_dscnt 0x0
	scratch_store_b64 off, v[0:1], off offset:248 ; 8-byte Folded Spill
	s_wait_xcnt 0x0
	v_cmpx_lt_u32_e32 15, v132
	s_cbranch_execz .LBB105_145
; %bb.144:
	scratch_load_b64 v[4:5], off, off offset:248 ; 8-byte Folded Reload
	s_wait_loadcnt 0x0
	v_pk_mul_f32 v[2:3], v[4:5], v[58:59] op_sel:[1,1] op_sel_hi:[0,1]
	s_delay_alu instid0(VALU_DEP_1)
	v_pk_fma_f32 v[0:1], v[4:5], v[58:59], v[2:3] op_sel_hi:[1,0,1] neg_lo:[0,0,1] neg_hi:[0,0,1]
	v_pk_fma_f32 v[2:3], v[4:5], v[58:59], v[2:3] op_sel_hi:[1,0,1]
	ds_load_2addr_b64 v[4:7], v134 offset0:16 offset1:17
	v_dual_mov_b32 v58, v0 :: v_dual_mov_b32 v59, v3
	s_wait_dscnt 0x0
	v_pk_mul_f32 v[8:9], v[4:5], v[2:3] op_sel:[0,1]
	s_delay_alu instid0(VALU_DEP_1) | instskip(SKIP_1) | instid1(VALU_DEP_1)
	v_pk_fma_f32 v[10:11], v[4:5], v[0:1], v[8:9] op_sel:[0,0,1] op_sel_hi:[1,1,0] neg_lo:[0,0,1] neg_hi:[0,0,1]
	v_pk_fma_f32 v[4:5], v[4:5], v[0:1], v[8:9] op_sel:[0,0,1] op_sel_hi:[1,0,0]
	v_mov_b32_e32 v11, v5
	v_pk_mul_f32 v[4:5], v[6:7], v[2:3] op_sel:[0,1]
	s_delay_alu instid0(VALU_DEP_1) | instskip(SKIP_1) | instid1(VALU_DEP_1)
	v_pk_fma_f32 v[8:9], v[6:7], v[0:1], v[4:5] op_sel:[0,0,1] op_sel_hi:[1,1,0] neg_lo:[0,0,1] neg_hi:[0,0,1]
	v_pk_fma_f32 v[4:5], v[6:7], v[0:1], v[4:5] op_sel:[0,0,1] op_sel_hi:[1,0,0]
	v_mov_b32_e32 v9, v5
	ds_load_2addr_b64 v[4:7], v134 offset0:18 offset1:19
	v_pk_add_f32 v[80:81], v[80:81], v[10:11] neg_lo:[0,1] neg_hi:[0,1]
	v_pk_add_f32 v[76:77], v[76:77], v[8:9] neg_lo:[0,1] neg_hi:[0,1]
	s_wait_dscnt 0x0
	v_pk_mul_f32 v[8:9], v[4:5], v[2:3] op_sel:[0,1]
	s_delay_alu instid0(VALU_DEP_1) | instskip(SKIP_2) | instid1(VALU_DEP_2)
	v_pk_fma_f32 v[10:11], v[4:5], v[0:1], v[8:9] op_sel:[0,0,1] op_sel_hi:[1,1,0] neg_lo:[0,0,1] neg_hi:[0,0,1]
	v_pk_fma_f32 v[4:5], v[4:5], v[0:1], v[8:9] op_sel:[0,0,1] op_sel_hi:[1,0,0]
	v_dual_mul_f32 v8, v7, v3 :: v_dual_mov_b32 v4, v7
	v_dual_mov_b32 v11, v5 :: v_dual_mov_b32 v5, v6
	s_delay_alu instid0(VALU_DEP_2) | instskip(SKIP_1) | instid1(VALU_DEP_3)
	v_pk_fma_f32 v[8:9], v[6:7], v[58:59], v[8:9] op_sel_hi:[1,1,0] neg_lo:[0,0,1] neg_hi:[0,0,1]
	v_mul_f32_e32 v6, v7, v0
	v_pk_add_f32 v[78:79], v[78:79], v[10:11] neg_lo:[0,1] neg_hi:[0,1]
	s_delay_alu instid0(VALU_DEP_2) | instskip(NEXT) | instid1(VALU_DEP_1)
	v_pk_fma_f32 v[4:5], v[4:5], v[58:59], v[6:7] op_sel_hi:[1,1,0]
	v_mov_b32_e32 v9, v5
	ds_load_2addr_b64 v[4:7], v134 offset0:20 offset1:21
	v_pk_add_f32 v[74:75], v[74:75], v[8:9] neg_lo:[0,1] neg_hi:[0,1]
	s_wait_dscnt 0x0
	v_pk_mul_f32 v[8:9], v[4:5], v[2:3] op_sel:[0,1]
	s_delay_alu instid0(VALU_DEP_1) | instskip(SKIP_1) | instid1(VALU_DEP_1)
	v_pk_fma_f32 v[10:11], v[4:5], v[0:1], v[8:9] op_sel:[0,0,1] op_sel_hi:[1,1,0] neg_lo:[0,0,1] neg_hi:[0,0,1]
	v_pk_fma_f32 v[4:5], v[4:5], v[0:1], v[8:9] op_sel:[0,0,1] op_sel_hi:[1,0,0]
	v_mov_b32_e32 v11, v5
	v_pk_mul_f32 v[4:5], v[6:7], v[2:3] op_sel:[0,1]
	s_delay_alu instid0(VALU_DEP_1) | instskip(SKIP_1) | instid1(VALU_DEP_1)
	v_pk_fma_f32 v[8:9], v[6:7], v[0:1], v[4:5] op_sel:[0,0,1] op_sel_hi:[1,1,0] neg_lo:[0,0,1] neg_hi:[0,0,1]
	v_pk_fma_f32 v[4:5], v[6:7], v[0:1], v[4:5] op_sel:[0,0,1] op_sel_hi:[1,0,0]
	v_mov_b32_e32 v9, v5
	ds_load_2addr_b64 v[4:7], v134 offset0:22 offset1:23
	v_pk_add_f32 v[96:97], v[96:97], v[10:11] neg_lo:[0,1] neg_hi:[0,1]
	v_pk_add_f32 v[92:93], v[92:93], v[8:9] neg_lo:[0,1] neg_hi:[0,1]
	s_wait_dscnt 0x0
	v_pk_mul_f32 v[8:9], v[4:5], v[2:3] op_sel:[0,1]
	s_delay_alu instid0(VALU_DEP_1) | instskip(SKIP_1) | instid1(VALU_DEP_1)
	v_pk_fma_f32 v[10:11], v[4:5], v[0:1], v[8:9] op_sel:[0,0,1] op_sel_hi:[1,1,0] neg_lo:[0,0,1] neg_hi:[0,0,1]
	v_pk_fma_f32 v[4:5], v[4:5], v[0:1], v[8:9] op_sel:[0,0,1] op_sel_hi:[1,0,0]
	v_mov_b32_e32 v11, v5
	v_pk_mul_f32 v[4:5], v[6:7], v[2:3] op_sel:[0,1]
	s_delay_alu instid0(VALU_DEP_1) | instskip(SKIP_1) | instid1(VALU_DEP_1)
	v_pk_fma_f32 v[8:9], v[6:7], v[0:1], v[4:5] op_sel:[0,0,1] op_sel_hi:[1,1,0] neg_lo:[0,0,1] neg_hi:[0,0,1]
	v_pk_fma_f32 v[4:5], v[6:7], v[0:1], v[4:5] op_sel:[0,0,1] op_sel_hi:[1,0,0]
	v_mov_b32_e32 v9, v5
	ds_load_2addr_b64 v[4:7], v134 offset0:24 offset1:25
	v_pk_add_f32 v[94:95], v[94:95], v[10:11] neg_lo:[0,1] neg_hi:[0,1]
	v_pk_add_f32 v[90:91], v[90:91], v[8:9] neg_lo:[0,1] neg_hi:[0,1]
	s_wait_dscnt 0x0
	v_dual_mul_f32 v8, v5, v3 :: v_dual_mul_f32 v10, v5, v0
	s_delay_alu instid0(VALU_DEP_1) | instskip(NEXT) | instid1(VALU_DEP_2)
	v_pk_fma_f32 v[8:9], v[4:5], v[58:59], v[8:9] op_sel_hi:[1,1,0] neg_lo:[0,0,1] neg_hi:[0,0,1]
	v_pk_fma_f32 v[4:5], v[4:5], v[58:59], v[10:11] op_sel:[1,0,0] op_sel_hi:[0,1,0]
	s_delay_alu instid0(VALU_DEP_1) | instskip(SKIP_1) | instid1(VALU_DEP_2)
	v_mov_b32_e32 v9, v5
	v_pk_mul_f32 v[4:5], v[6:7], v[2:3] op_sel:[0,1]
	v_pk_add_f32 v[112:113], v[112:113], v[8:9] neg_lo:[0,1] neg_hi:[0,1]
	s_delay_alu instid0(VALU_DEP_2) | instskip(SKIP_1) | instid1(VALU_DEP_1)
	v_pk_fma_f32 v[8:9], v[6:7], v[0:1], v[4:5] op_sel:[0,0,1] op_sel_hi:[1,1,0] neg_lo:[0,0,1] neg_hi:[0,0,1]
	v_pk_fma_f32 v[4:5], v[6:7], v[0:1], v[4:5] op_sel:[0,0,1] op_sel_hi:[1,0,0]
	v_mov_b32_e32 v9, v5
	ds_load_2addr_b64 v[4:7], v134 offset0:26 offset1:27
	v_pk_add_f32 v[108:109], v[108:109], v[8:9] neg_lo:[0,1] neg_hi:[0,1]
	s_wait_dscnt 0x0
	v_pk_mul_f32 v[8:9], v[4:5], v[2:3] op_sel:[0,1]
	s_delay_alu instid0(VALU_DEP_1) | instskip(SKIP_1) | instid1(VALU_DEP_1)
	v_pk_fma_f32 v[10:11], v[4:5], v[0:1], v[8:9] op_sel:[0,0,1] op_sel_hi:[1,1,0] neg_lo:[0,0,1] neg_hi:[0,0,1]
	v_pk_fma_f32 v[4:5], v[4:5], v[0:1], v[8:9] op_sel:[0,0,1] op_sel_hi:[1,0,0]
	v_mov_b32_e32 v11, v5
	v_pk_mul_f32 v[4:5], v[6:7], v[2:3] op_sel:[0,1]
	s_delay_alu instid0(VALU_DEP_2) | instskip(NEXT) | instid1(VALU_DEP_2)
	v_pk_add_f32 v[110:111], v[110:111], v[10:11] neg_lo:[0,1] neg_hi:[0,1]
	v_pk_fma_f32 v[8:9], v[6:7], v[0:1], v[4:5] op_sel:[0,0,1] op_sel_hi:[1,1,0] neg_lo:[0,0,1] neg_hi:[0,0,1]
	v_pk_fma_f32 v[4:5], v[6:7], v[0:1], v[4:5] op_sel:[0,0,1] op_sel_hi:[1,0,0]
	s_delay_alu instid0(VALU_DEP_1) | instskip(SKIP_4) | instid1(VALU_DEP_1)
	v_mov_b32_e32 v9, v5
	ds_load_2addr_b64 v[4:7], v134 offset0:28 offset1:29
	v_pk_add_f32 v[106:107], v[106:107], v[8:9] neg_lo:[0,1] neg_hi:[0,1]
	s_wait_dscnt 0x0
	v_pk_mul_f32 v[8:9], v[4:5], v[2:3] op_sel:[0,1]
	v_pk_fma_f32 v[10:11], v[4:5], v[0:1], v[8:9] op_sel:[0,0,1] op_sel_hi:[1,1,0] neg_lo:[0,0,1] neg_hi:[0,0,1]
	v_pk_fma_f32 v[4:5], v[4:5], v[0:1], v[8:9] op_sel:[0,0,1] op_sel_hi:[1,0,0]
	v_dual_mul_f32 v8, v7, v3 :: v_dual_mov_b32 v4, v7
	s_delay_alu instid0(VALU_DEP_2) | instskip(NEXT) | instid1(VALU_DEP_2)
	v_dual_mov_b32 v11, v5 :: v_dual_mov_b32 v5, v6
	v_pk_fma_f32 v[8:9], v[6:7], v[58:59], v[8:9] op_sel_hi:[1,1,0] neg_lo:[0,0,1] neg_hi:[0,0,1]
	v_mul_f32_e32 v6, v7, v0
	s_delay_alu instid0(VALU_DEP_3) | instskip(NEXT) | instid1(VALU_DEP_2)
	v_pk_add_f32 v[130:131], v[130:131], v[10:11] neg_lo:[0,1] neg_hi:[0,1]
	v_pk_fma_f32 v[4:5], v[4:5], v[58:59], v[6:7] op_sel_hi:[1,1,0]
	s_delay_alu instid0(VALU_DEP_1) | instskip(SKIP_4) | instid1(VALU_DEP_1)
	v_mov_b32_e32 v9, v5
	ds_load_2addr_b64 v[4:7], v134 offset0:30 offset1:31
	v_pk_add_f32 v[126:127], v[126:127], v[8:9] neg_lo:[0,1] neg_hi:[0,1]
	s_wait_dscnt 0x0
	v_pk_mul_f32 v[8:9], v[4:5], v[2:3] op_sel:[0,1]
	v_pk_fma_f32 v[10:11], v[4:5], v[0:1], v[8:9] op_sel:[0,0,1] op_sel_hi:[1,1,0] neg_lo:[0,0,1] neg_hi:[0,0,1]
	v_pk_fma_f32 v[4:5], v[4:5], v[0:1], v[8:9] op_sel:[0,0,1] op_sel_hi:[1,0,0]
	s_delay_alu instid0(VALU_DEP_1) | instskip(SKIP_1) | instid1(VALU_DEP_1)
	v_mov_b32_e32 v11, v5
	v_pk_mul_f32 v[4:5], v[6:7], v[2:3] op_sel:[0,1]
	v_pk_fma_f32 v[8:9], v[6:7], v[0:1], v[4:5] op_sel:[0,0,1] op_sel_hi:[1,1,0] neg_lo:[0,0,1] neg_hi:[0,0,1]
	v_pk_fma_f32 v[4:5], v[6:7], v[0:1], v[4:5] op_sel:[0,0,1] op_sel_hi:[1,0,0]
	s_delay_alu instid0(VALU_DEP_1)
	v_mov_b32_e32 v9, v5
	ds_load_2addr_b64 v[4:7], v134 offset0:32 offset1:33
	v_pk_add_f32 v[128:129], v[128:129], v[10:11] neg_lo:[0,1] neg_hi:[0,1]
	v_pk_add_f32 v[124:125], v[124:125], v[8:9] neg_lo:[0,1] neg_hi:[0,1]
	s_wait_dscnt 0x0
	v_pk_mul_f32 v[8:9], v[4:5], v[2:3] op_sel:[0,1]
	s_delay_alu instid0(VALU_DEP_1) | instskip(SKIP_1) | instid1(VALU_DEP_1)
	v_pk_fma_f32 v[10:11], v[4:5], v[0:1], v[8:9] op_sel:[0,0,1] op_sel_hi:[1,1,0] neg_lo:[0,0,1] neg_hi:[0,0,1]
	v_pk_fma_f32 v[4:5], v[4:5], v[0:1], v[8:9] op_sel:[0,0,1] op_sel_hi:[1,0,0]
	v_mov_b32_e32 v11, v5
	v_pk_mul_f32 v[4:5], v[6:7], v[2:3] op_sel:[0,1]
	s_delay_alu instid0(VALU_DEP_1) | instskip(SKIP_1) | instid1(VALU_DEP_1)
	v_pk_fma_f32 v[8:9], v[6:7], v[0:1], v[4:5] op_sel:[0,0,1] op_sel_hi:[1,1,0] neg_lo:[0,0,1] neg_hi:[0,0,1]
	v_pk_fma_f32 v[4:5], v[6:7], v[0:1], v[4:5] op_sel:[0,0,1] op_sel_hi:[1,0,0]
	v_mov_b32_e32 v9, v5
	ds_load_2addr_b64 v[4:7], v134 offset0:34 offset1:35
	v_pk_add_f32 v[146:147], v[146:147], v[10:11] neg_lo:[0,1] neg_hi:[0,1]
	v_pk_add_f32 v[142:143], v[142:143], v[8:9] neg_lo:[0,1] neg_hi:[0,1]
	s_wait_dscnt 0x0
	v_dual_mul_f32 v8, v5, v3 :: v_dual_mul_f32 v10, v5, v0
	s_delay_alu instid0(VALU_DEP_1) | instskip(NEXT) | instid1(VALU_DEP_2)
	v_pk_fma_f32 v[8:9], v[4:5], v[58:59], v[8:9] op_sel_hi:[1,1,0] neg_lo:[0,0,1] neg_hi:[0,0,1]
	v_pk_fma_f32 v[4:5], v[4:5], v[58:59], v[10:11] op_sel:[1,0,0] op_sel_hi:[0,1,0]
	s_delay_alu instid0(VALU_DEP_1) | instskip(SKIP_1) | instid1(VALU_DEP_2)
	v_mov_b32_e32 v9, v5
	v_pk_mul_f32 v[4:5], v[6:7], v[2:3] op_sel:[0,1]
	v_pk_add_f32 v[144:145], v[144:145], v[8:9] neg_lo:[0,1] neg_hi:[0,1]
	s_delay_alu instid0(VALU_DEP_2) | instskip(SKIP_1) | instid1(VALU_DEP_1)
	v_pk_fma_f32 v[8:9], v[6:7], v[0:1], v[4:5] op_sel:[0,0,1] op_sel_hi:[1,1,0] neg_lo:[0,0,1] neg_hi:[0,0,1]
	v_pk_fma_f32 v[4:5], v[6:7], v[0:1], v[4:5] op_sel:[0,0,1] op_sel_hi:[1,0,0]
	v_mov_b32_e32 v9, v5
	ds_load_2addr_b64 v[4:7], v134 offset0:36 offset1:37
	v_pk_add_f32 v[140:141], v[140:141], v[8:9] neg_lo:[0,1] neg_hi:[0,1]
	s_wait_dscnt 0x0
	v_pk_mul_f32 v[8:9], v[4:5], v[2:3] op_sel:[0,1]
	s_delay_alu instid0(VALU_DEP_1) | instskip(SKIP_1) | instid1(VALU_DEP_1)
	v_pk_fma_f32 v[10:11], v[4:5], v[0:1], v[8:9] op_sel:[0,0,1] op_sel_hi:[1,1,0] neg_lo:[0,0,1] neg_hi:[0,0,1]
	v_pk_fma_f32 v[4:5], v[4:5], v[0:1], v[8:9] op_sel:[0,0,1] op_sel_hi:[1,0,0]
	v_mov_b32_e32 v11, v5
	v_pk_mul_f32 v[4:5], v[6:7], v[2:3] op_sel:[0,1]
	s_delay_alu instid0(VALU_DEP_2) | instskip(NEXT) | instid1(VALU_DEP_2)
	v_pk_add_f32 v[162:163], v[162:163], v[10:11] neg_lo:[0,1] neg_hi:[0,1]
	v_pk_fma_f32 v[8:9], v[6:7], v[0:1], v[4:5] op_sel:[0,0,1] op_sel_hi:[1,1,0] neg_lo:[0,0,1] neg_hi:[0,0,1]
	v_pk_fma_f32 v[4:5], v[6:7], v[0:1], v[4:5] op_sel:[0,0,1] op_sel_hi:[1,0,0]
	s_delay_alu instid0(VALU_DEP_1) | instskip(SKIP_4) | instid1(VALU_DEP_1)
	v_mov_b32_e32 v9, v5
	ds_load_2addr_b64 v[4:7], v134 offset0:38 offset1:39
	v_pk_add_f32 v[158:159], v[158:159], v[8:9] neg_lo:[0,1] neg_hi:[0,1]
	s_wait_dscnt 0x0
	v_pk_mul_f32 v[8:9], v[4:5], v[2:3] op_sel:[0,1]
	v_pk_fma_f32 v[10:11], v[4:5], v[0:1], v[8:9] op_sel:[0,0,1] op_sel_hi:[1,1,0] neg_lo:[0,0,1] neg_hi:[0,0,1]
	v_pk_fma_f32 v[4:5], v[4:5], v[0:1], v[8:9] op_sel:[0,0,1] op_sel_hi:[1,0,0]
	v_dual_mul_f32 v8, v7, v3 :: v_dual_mov_b32 v4, v7
	s_delay_alu instid0(VALU_DEP_2) | instskip(NEXT) | instid1(VALU_DEP_2)
	v_dual_mov_b32 v11, v5 :: v_dual_mov_b32 v5, v6
	v_pk_fma_f32 v[8:9], v[6:7], v[58:59], v[8:9] op_sel_hi:[1,1,0] neg_lo:[0,0,1] neg_hi:[0,0,1]
	v_mul_f32_e32 v6, v7, v0
	s_delay_alu instid0(VALU_DEP_3) | instskip(NEXT) | instid1(VALU_DEP_2)
	v_pk_add_f32 v[160:161], v[160:161], v[10:11] neg_lo:[0,1] neg_hi:[0,1]
	v_pk_fma_f32 v[4:5], v[4:5], v[58:59], v[6:7] op_sel_hi:[1,1,0]
	s_delay_alu instid0(VALU_DEP_1) | instskip(SKIP_4) | instid1(VALU_DEP_1)
	v_mov_b32_e32 v9, v5
	ds_load_2addr_b64 v[4:7], v134 offset0:40 offset1:41
	v_pk_add_f32 v[156:157], v[156:157], v[8:9] neg_lo:[0,1] neg_hi:[0,1]
	s_wait_dscnt 0x0
	v_pk_mul_f32 v[8:9], v[4:5], v[2:3] op_sel:[0,1]
	v_pk_fma_f32 v[10:11], v[4:5], v[0:1], v[8:9] op_sel:[0,0,1] op_sel_hi:[1,1,0] neg_lo:[0,0,1] neg_hi:[0,0,1]
	v_pk_fma_f32 v[4:5], v[4:5], v[0:1], v[8:9] op_sel:[0,0,1] op_sel_hi:[1,0,0]
	s_delay_alu instid0(VALU_DEP_1) | instskip(SKIP_1) | instid1(VALU_DEP_1)
	v_mov_b32_e32 v11, v5
	v_pk_mul_f32 v[4:5], v[6:7], v[2:3] op_sel:[0,1]
	v_pk_fma_f32 v[8:9], v[6:7], v[0:1], v[4:5] op_sel:[0,0,1] op_sel_hi:[1,1,0] neg_lo:[0,0,1] neg_hi:[0,0,1]
	v_pk_fma_f32 v[4:5], v[6:7], v[0:1], v[4:5] op_sel:[0,0,1] op_sel_hi:[1,0,0]
	s_delay_alu instid0(VALU_DEP_1)
	v_mov_b32_e32 v9, v5
	ds_load_2addr_b64 v[4:7], v134 offset0:42 offset1:43
	v_pk_add_f32 v[184:185], v[184:185], v[10:11] neg_lo:[0,1] neg_hi:[0,1]
	v_pk_add_f32 v[180:181], v[180:181], v[8:9] neg_lo:[0,1] neg_hi:[0,1]
	s_wait_dscnt 0x0
	v_pk_mul_f32 v[8:9], v[4:5], v[2:3] op_sel:[0,1]
	s_delay_alu instid0(VALU_DEP_1) | instskip(SKIP_1) | instid1(VALU_DEP_1)
	v_pk_fma_f32 v[10:11], v[4:5], v[0:1], v[8:9] op_sel:[0,0,1] op_sel_hi:[1,1,0] neg_lo:[0,0,1] neg_hi:[0,0,1]
	v_pk_fma_f32 v[4:5], v[4:5], v[0:1], v[8:9] op_sel:[0,0,1] op_sel_hi:[1,0,0]
	v_mov_b32_e32 v11, v5
	v_pk_mul_f32 v[4:5], v[6:7], v[2:3] op_sel:[0,1]
	s_delay_alu instid0(VALU_DEP_1) | instskip(SKIP_1) | instid1(VALU_DEP_1)
	v_pk_fma_f32 v[8:9], v[6:7], v[0:1], v[4:5] op_sel:[0,0,1] op_sel_hi:[1,1,0] neg_lo:[0,0,1] neg_hi:[0,0,1]
	v_pk_fma_f32 v[4:5], v[6:7], v[0:1], v[4:5] op_sel:[0,0,1] op_sel_hi:[1,0,0]
	v_mov_b32_e32 v9, v5
	ds_load_2addr_b64 v[4:7], v134 offset0:44 offset1:45
	v_pk_add_f32 v[182:183], v[182:183], v[10:11] neg_lo:[0,1] neg_hi:[0,1]
	v_pk_add_f32 v[178:179], v[178:179], v[8:9] neg_lo:[0,1] neg_hi:[0,1]
	s_wait_dscnt 0x0
	v_dual_mul_f32 v8, v5, v3 :: v_dual_mul_f32 v10, v5, v0
	s_delay_alu instid0(VALU_DEP_1) | instskip(NEXT) | instid1(VALU_DEP_2)
	v_pk_fma_f32 v[8:9], v[4:5], v[58:59], v[8:9] op_sel_hi:[1,1,0] neg_lo:[0,0,1] neg_hi:[0,0,1]
	v_pk_fma_f32 v[4:5], v[4:5], v[58:59], v[10:11] op_sel:[1,0,0] op_sel_hi:[0,1,0]
	s_delay_alu instid0(VALU_DEP_1) | instskip(SKIP_1) | instid1(VALU_DEP_2)
	v_mov_b32_e32 v9, v5
	v_pk_mul_f32 v[4:5], v[6:7], v[2:3] op_sel:[0,1]
	v_pk_add_f32 v[208:209], v[208:209], v[8:9] neg_lo:[0,1] neg_hi:[0,1]
	s_delay_alu instid0(VALU_DEP_2) | instskip(SKIP_1) | instid1(VALU_DEP_1)
	v_pk_fma_f32 v[8:9], v[6:7], v[0:1], v[4:5] op_sel:[0,0,1] op_sel_hi:[1,1,0] neg_lo:[0,0,1] neg_hi:[0,0,1]
	v_pk_fma_f32 v[4:5], v[6:7], v[0:1], v[4:5] op_sel:[0,0,1] op_sel_hi:[1,0,0]
	v_mov_b32_e32 v9, v5
	ds_load_2addr_b64 v[4:7], v134 offset0:46 offset1:47
	v_pk_add_f32 v[200:201], v[200:201], v[8:9] neg_lo:[0,1] neg_hi:[0,1]
	s_wait_dscnt 0x0
	v_pk_mul_f32 v[8:9], v[4:5], v[2:3] op_sel:[0,1]
	s_delay_alu instid0(VALU_DEP_1) | instskip(SKIP_1) | instid1(VALU_DEP_1)
	v_pk_fma_f32 v[10:11], v[4:5], v[0:1], v[8:9] op_sel:[0,0,1] op_sel_hi:[1,1,0] neg_lo:[0,0,1] neg_hi:[0,0,1]
	v_pk_fma_f32 v[4:5], v[4:5], v[0:1], v[8:9] op_sel:[0,0,1] op_sel_hi:[1,0,0]
	v_mov_b32_e32 v11, v5
	v_pk_mul_f32 v[4:5], v[6:7], v[2:3] op_sel:[0,1]
	s_delay_alu instid0(VALU_DEP_2) | instskip(NEXT) | instid1(VALU_DEP_2)
	v_pk_add_f32 v[206:207], v[206:207], v[10:11] neg_lo:[0,1] neg_hi:[0,1]
	v_pk_fma_f32 v[8:9], v[6:7], v[0:1], v[4:5] op_sel:[0,0,1] op_sel_hi:[1,1,0] neg_lo:[0,0,1] neg_hi:[0,0,1]
	v_pk_fma_f32 v[4:5], v[6:7], v[0:1], v[4:5] op_sel:[0,0,1] op_sel_hi:[1,0,0]
	s_delay_alu instid0(VALU_DEP_1) | instskip(SKIP_4) | instid1(VALU_DEP_1)
	v_mov_b32_e32 v9, v5
	ds_load_2addr_b64 v[4:7], v134 offset0:48 offset1:49
	v_pk_add_f32 v[198:199], v[198:199], v[8:9] neg_lo:[0,1] neg_hi:[0,1]
	s_wait_dscnt 0x0
	v_pk_mul_f32 v[8:9], v[4:5], v[2:3] op_sel:[0,1]
	v_pk_fma_f32 v[10:11], v[4:5], v[0:1], v[8:9] op_sel:[0,0,1] op_sel_hi:[1,1,0] neg_lo:[0,0,1] neg_hi:[0,0,1]
	v_pk_fma_f32 v[4:5], v[4:5], v[0:1], v[8:9] op_sel:[0,0,1] op_sel_hi:[1,0,0]
	v_dual_mul_f32 v8, v7, v3 :: v_dual_mov_b32 v4, v7
	s_delay_alu instid0(VALU_DEP_2) | instskip(NEXT) | instid1(VALU_DEP_2)
	v_dual_mov_b32 v11, v5 :: v_dual_mov_b32 v5, v6
	v_pk_fma_f32 v[8:9], v[6:7], v[58:59], v[8:9] op_sel_hi:[1,1,0] neg_lo:[0,0,1] neg_hi:[0,0,1]
	v_mul_f32_e32 v6, v7, v0
	s_delay_alu instid0(VALU_DEP_3) | instskip(NEXT) | instid1(VALU_DEP_2)
	v_pk_add_f32 v[204:205], v[204:205], v[10:11] neg_lo:[0,1] neg_hi:[0,1]
	v_pk_fma_f32 v[4:5], v[4:5], v[58:59], v[6:7] op_sel_hi:[1,1,0]
	s_delay_alu instid0(VALU_DEP_1) | instskip(SKIP_4) | instid1(VALU_DEP_1)
	v_mov_b32_e32 v9, v5
	ds_load_2addr_b64 v[4:7], v134 offset0:50 offset1:51
	v_pk_add_f32 v[196:197], v[196:197], v[8:9] neg_lo:[0,1] neg_hi:[0,1]
	s_wait_dscnt 0x0
	v_pk_mul_f32 v[8:9], v[4:5], v[2:3] op_sel:[0,1]
	v_pk_fma_f32 v[10:11], v[4:5], v[0:1], v[8:9] op_sel:[0,0,1] op_sel_hi:[1,1,0] neg_lo:[0,0,1] neg_hi:[0,0,1]
	v_pk_fma_f32 v[4:5], v[4:5], v[0:1], v[8:9] op_sel:[0,0,1] op_sel_hi:[1,0,0]
	s_delay_alu instid0(VALU_DEP_1) | instskip(SKIP_1) | instid1(VALU_DEP_1)
	v_mov_b32_e32 v11, v5
	v_pk_mul_f32 v[4:5], v[6:7], v[2:3] op_sel:[0,1]
	v_pk_fma_f32 v[8:9], v[6:7], v[0:1], v[4:5] op_sel:[0,0,1] op_sel_hi:[1,1,0] neg_lo:[0,0,1] neg_hi:[0,0,1]
	v_pk_fma_f32 v[4:5], v[6:7], v[0:1], v[4:5] op_sel:[0,0,1] op_sel_hi:[1,0,0]
	s_delay_alu instid0(VALU_DEP_1)
	v_mov_b32_e32 v9, v5
	ds_load_b64 v[4:5], v134 offset:416
	v_pk_add_f32 v[202:203], v[202:203], v[10:11] neg_lo:[0,1] neg_hi:[0,1]
	v_pk_add_f32 v[210:211], v[210:211], v[8:9] neg_lo:[0,1] neg_hi:[0,1]
	s_wait_dscnt 0x0
	v_pk_mul_f32 v[2:3], v[4:5], v[2:3] op_sel:[0,1]
	s_delay_alu instid0(VALU_DEP_1) | instskip(SKIP_1) | instid1(VALU_DEP_1)
	v_pk_fma_f32 v[6:7], v[4:5], v[0:1], v[2:3] op_sel:[0,0,1] op_sel_hi:[1,1,0] neg_lo:[0,0,1] neg_hi:[0,0,1]
	v_pk_fma_f32 v[0:1], v[4:5], v[0:1], v[2:3] op_sel:[0,0,1] op_sel_hi:[1,0,0]
	v_mov_b32_e32 v7, v1
	s_delay_alu instid0(VALU_DEP_1)
	v_pk_add_f32 v[212:213], v[212:213], v[6:7] neg_lo:[0,1] neg_hi:[0,1]
.LBB105_145:
	s_wait_xcnt 0x0
	s_or_b32 exec_lo, exec_lo, s1
	s_delay_alu instid0(SALU_CYCLE_1)
	s_mov_b32 s2, exec_lo
	s_wait_storecnt 0x0
	s_barrier_signal -1
	s_barrier_wait -1
	v_cmpx_eq_u32_e32 16, v132
	s_cbranch_execz .LBB105_152
; %bb.146:
	ds_store_b64 v133, v[80:81]
	ds_store_2addr_b64 v134, v[76:77], v[78:79] offset0:17 offset1:18
	ds_store_2addr_b64 v134, v[74:75], v[96:97] offset0:19 offset1:20
	;; [unrolled: 1-line block ×18, first 2 shown]
	ds_load_b64 v[0:1], v133
	s_wait_dscnt 0x0
	v_cmp_neq_f32_e32 vcc_lo, 0, v0
	v_cmp_neq_f32_e64 s1, 0, v1
	s_or_b32 s1, vcc_lo, s1
	s_delay_alu instid0(SALU_CYCLE_1)
	s_and_b32 exec_lo, exec_lo, s1
	s_cbranch_execz .LBB105_152
; %bb.147:
	v_cmp_ngt_f32_e64 s1, |v0|, |v1|
                                        ; implicit-def: $vgpr2_vgpr3
	s_and_saveexec_b32 s4, s1
	s_delay_alu instid0(SALU_CYCLE_1)
	s_xor_b32 s1, exec_lo, s4
	s_cbranch_execz .LBB105_149
; %bb.148:
	v_div_scale_f32 v2, null, v1, v1, v0
	v_div_scale_f32 v5, vcc_lo, v0, v1, v0
	s_delay_alu instid0(VALU_DEP_2) | instskip(SKIP_1) | instid1(TRANS32_DEP_1)
	v_rcp_f32_e32 v3, v2
	v_nop
	v_fma_f32 v4, -v2, v3, 1.0
	s_delay_alu instid0(VALU_DEP_1) | instskip(NEXT) | instid1(VALU_DEP_1)
	v_fmac_f32_e32 v3, v4, v3
	v_mul_f32_e32 v4, v5, v3
	s_delay_alu instid0(VALU_DEP_1) | instskip(NEXT) | instid1(VALU_DEP_1)
	v_fma_f32 v6, -v2, v4, v5
	v_fmac_f32_e32 v4, v6, v3
	s_delay_alu instid0(VALU_DEP_1) | instskip(NEXT) | instid1(VALU_DEP_1)
	v_fma_f32 v2, -v2, v4, v5
	v_div_fmas_f32 v2, v2, v3, v4
	s_delay_alu instid0(VALU_DEP_1) | instskip(NEXT) | instid1(VALU_DEP_1)
	v_div_fixup_f32 v2, v2, v1, v0
	v_fmac_f32_e32 v1, v0, v2
	s_delay_alu instid0(VALU_DEP_1) | instskip(SKIP_1) | instid1(VALU_DEP_2)
	v_div_scale_f32 v0, null, v1, v1, 1.0
	v_div_scale_f32 v5, vcc_lo, 1.0, v1, 1.0
	v_rcp_f32_e32 v3, v0
	v_nop
	s_delay_alu instid0(TRANS32_DEP_1) | instskip(NEXT) | instid1(VALU_DEP_1)
	v_fma_f32 v4, -v0, v3, 1.0
	v_fmac_f32_e32 v3, v4, v3
	s_delay_alu instid0(VALU_DEP_1) | instskip(NEXT) | instid1(VALU_DEP_1)
	v_mul_f32_e32 v4, v5, v3
	v_fma_f32 v6, -v0, v4, v5
	s_delay_alu instid0(VALU_DEP_1) | instskip(NEXT) | instid1(VALU_DEP_1)
	v_fmac_f32_e32 v4, v6, v3
	v_fma_f32 v0, -v0, v4, v5
	s_delay_alu instid0(VALU_DEP_1) | instskip(NEXT) | instid1(VALU_DEP_1)
	v_div_fmas_f32 v0, v0, v3, v4
	v_div_fixup_f32 v0, v0, v1, 1.0
	s_delay_alu instid0(VALU_DEP_1)
	v_mul_f32_e32 v2, v2, v0
	v_xor_b32_e32 v3, 0x80000000, v0
                                        ; implicit-def: $vgpr0_vgpr1
.LBB105_149:
	s_and_not1_saveexec_b32 s1, s1
	s_cbranch_execz .LBB105_151
; %bb.150:
	v_div_scale_f32 v2, null, v0, v0, v1
	v_div_scale_f32 v5, vcc_lo, v1, v0, v1
	s_delay_alu instid0(VALU_DEP_2) | instskip(SKIP_1) | instid1(TRANS32_DEP_1)
	v_rcp_f32_e32 v3, v2
	v_nop
	v_fma_f32 v4, -v2, v3, 1.0
	s_delay_alu instid0(VALU_DEP_1) | instskip(NEXT) | instid1(VALU_DEP_1)
	v_fmac_f32_e32 v3, v4, v3
	v_mul_f32_e32 v4, v5, v3
	s_delay_alu instid0(VALU_DEP_1) | instskip(NEXT) | instid1(VALU_DEP_1)
	v_fma_f32 v6, -v2, v4, v5
	v_fmac_f32_e32 v4, v6, v3
	s_delay_alu instid0(VALU_DEP_1) | instskip(NEXT) | instid1(VALU_DEP_1)
	v_fma_f32 v2, -v2, v4, v5
	v_div_fmas_f32 v2, v2, v3, v4
	s_delay_alu instid0(VALU_DEP_1) | instskip(NEXT) | instid1(VALU_DEP_1)
	v_div_fixup_f32 v3, v2, v0, v1
	v_fmac_f32_e32 v0, v1, v3
	s_delay_alu instid0(VALU_DEP_1) | instskip(NEXT) | instid1(VALU_DEP_1)
	v_div_scale_f32 v1, null, v0, v0, 1.0
	v_rcp_f32_e32 v2, v1
	v_nop
	s_delay_alu instid0(TRANS32_DEP_1) | instskip(NEXT) | instid1(VALU_DEP_1)
	v_fma_f32 v4, -v1, v2, 1.0
	v_fmac_f32_e32 v2, v4, v2
	v_div_scale_f32 v4, vcc_lo, 1.0, v0, 1.0
	s_delay_alu instid0(VALU_DEP_1) | instskip(NEXT) | instid1(VALU_DEP_1)
	v_mul_f32_e32 v5, v4, v2
	v_fma_f32 v6, -v1, v5, v4
	s_delay_alu instid0(VALU_DEP_1) | instskip(NEXT) | instid1(VALU_DEP_1)
	v_fmac_f32_e32 v5, v6, v2
	v_fma_f32 v1, -v1, v5, v4
	s_delay_alu instid0(VALU_DEP_1) | instskip(NEXT) | instid1(VALU_DEP_1)
	v_div_fmas_f32 v1, v1, v2, v5
	v_div_fixup_f32 v2, v1, v0, 1.0
	s_delay_alu instid0(VALU_DEP_1)
	v_mul_f32_e64 v3, v3, -v2
.LBB105_151:
	s_or_b32 exec_lo, exec_lo, s1
	ds_store_b64 v133, v[2:3]
.LBB105_152:
	s_or_b32 exec_lo, exec_lo, s2
	s_wait_dscnt 0x0
	s_barrier_signal -1
	s_barrier_wait -1
	ds_load_b64 v[0:1], v133
	s_mov_b32 s1, exec_lo
	s_wait_dscnt 0x0
	scratch_store_b64 off, v[0:1], off offset:256 ; 8-byte Folded Spill
	s_wait_xcnt 0x0
	v_cmpx_lt_u32_e32 16, v132
	s_cbranch_execz .LBB105_154
; %bb.153:
	scratch_load_b64 v[4:5], off, off offset:256 ; 8-byte Folded Reload
	s_wait_loadcnt 0x0
	v_pk_mul_f32 v[2:3], v[4:5], v[80:81] op_sel:[1,1] op_sel_hi:[0,1]
	s_delay_alu instid0(VALU_DEP_1)
	v_pk_fma_f32 v[0:1], v[4:5], v[80:81], v[2:3] op_sel_hi:[1,0,1] neg_lo:[0,0,1] neg_hi:[0,0,1]
	v_pk_fma_f32 v[2:3], v[4:5], v[80:81], v[2:3] op_sel_hi:[1,0,1]
	ds_load_2addr_b64 v[4:7], v134 offset0:17 offset1:18
	v_dual_mov_b32 v80, v0 :: v_dual_mov_b32 v81, v3
	s_wait_dscnt 0x0
	v_pk_mul_f32 v[8:9], v[4:5], v[2:3] op_sel:[0,1]
	s_delay_alu instid0(VALU_DEP_1) | instskip(SKIP_1) | instid1(VALU_DEP_1)
	v_pk_fma_f32 v[10:11], v[4:5], v[0:1], v[8:9] op_sel:[0,0,1] op_sel_hi:[1,1,0] neg_lo:[0,0,1] neg_hi:[0,0,1]
	v_pk_fma_f32 v[4:5], v[4:5], v[0:1], v[8:9] op_sel:[0,0,1] op_sel_hi:[1,0,0]
	v_mov_b32_e32 v11, v5
	v_pk_mul_f32 v[4:5], v[6:7], v[2:3] op_sel:[0,1]
	s_delay_alu instid0(VALU_DEP_1) | instskip(SKIP_1) | instid1(VALU_DEP_1)
	v_pk_fma_f32 v[8:9], v[6:7], v[0:1], v[4:5] op_sel:[0,0,1] op_sel_hi:[1,1,0] neg_lo:[0,0,1] neg_hi:[0,0,1]
	v_pk_fma_f32 v[4:5], v[6:7], v[0:1], v[4:5] op_sel:[0,0,1] op_sel_hi:[1,0,0]
	v_mov_b32_e32 v9, v5
	ds_load_2addr_b64 v[4:7], v134 offset0:19 offset1:20
	v_pk_add_f32 v[76:77], v[76:77], v[10:11] neg_lo:[0,1] neg_hi:[0,1]
	v_pk_add_f32 v[78:79], v[78:79], v[8:9] neg_lo:[0,1] neg_hi:[0,1]
	s_wait_dscnt 0x0
	v_pk_mul_f32 v[8:9], v[4:5], v[2:3] op_sel:[0,1]
	s_delay_alu instid0(VALU_DEP_1) | instskip(SKIP_2) | instid1(VALU_DEP_2)
	v_pk_fma_f32 v[10:11], v[4:5], v[0:1], v[8:9] op_sel:[0,0,1] op_sel_hi:[1,1,0] neg_lo:[0,0,1] neg_hi:[0,0,1]
	v_pk_fma_f32 v[4:5], v[4:5], v[0:1], v[8:9] op_sel:[0,0,1] op_sel_hi:[1,0,0]
	v_dual_mul_f32 v8, v7, v3 :: v_dual_mov_b32 v4, v7
	v_dual_mov_b32 v11, v5 :: v_dual_mov_b32 v5, v6
	s_delay_alu instid0(VALU_DEP_2) | instskip(SKIP_1) | instid1(VALU_DEP_3)
	v_pk_fma_f32 v[8:9], v[6:7], v[80:81], v[8:9] op_sel_hi:[1,1,0] neg_lo:[0,0,1] neg_hi:[0,0,1]
	v_mul_f32_e32 v6, v7, v0
	v_pk_add_f32 v[74:75], v[74:75], v[10:11] neg_lo:[0,1] neg_hi:[0,1]
	s_delay_alu instid0(VALU_DEP_2) | instskip(NEXT) | instid1(VALU_DEP_1)
	v_pk_fma_f32 v[4:5], v[4:5], v[80:81], v[6:7] op_sel_hi:[1,1,0]
	v_mov_b32_e32 v9, v5
	ds_load_2addr_b64 v[4:7], v134 offset0:21 offset1:22
	v_pk_add_f32 v[96:97], v[96:97], v[8:9] neg_lo:[0,1] neg_hi:[0,1]
	s_wait_dscnt 0x0
	v_pk_mul_f32 v[8:9], v[4:5], v[2:3] op_sel:[0,1]
	s_delay_alu instid0(VALU_DEP_1) | instskip(SKIP_1) | instid1(VALU_DEP_1)
	v_pk_fma_f32 v[10:11], v[4:5], v[0:1], v[8:9] op_sel:[0,0,1] op_sel_hi:[1,1,0] neg_lo:[0,0,1] neg_hi:[0,0,1]
	v_pk_fma_f32 v[4:5], v[4:5], v[0:1], v[8:9] op_sel:[0,0,1] op_sel_hi:[1,0,0]
	v_mov_b32_e32 v11, v5
	v_pk_mul_f32 v[4:5], v[6:7], v[2:3] op_sel:[0,1]
	s_delay_alu instid0(VALU_DEP_1) | instskip(SKIP_1) | instid1(VALU_DEP_1)
	v_pk_fma_f32 v[8:9], v[6:7], v[0:1], v[4:5] op_sel:[0,0,1] op_sel_hi:[1,1,0] neg_lo:[0,0,1] neg_hi:[0,0,1]
	v_pk_fma_f32 v[4:5], v[6:7], v[0:1], v[4:5] op_sel:[0,0,1] op_sel_hi:[1,0,0]
	v_mov_b32_e32 v9, v5
	ds_load_2addr_b64 v[4:7], v134 offset0:23 offset1:24
	v_pk_add_f32 v[92:93], v[92:93], v[10:11] neg_lo:[0,1] neg_hi:[0,1]
	v_pk_add_f32 v[94:95], v[94:95], v[8:9] neg_lo:[0,1] neg_hi:[0,1]
	s_wait_dscnt 0x0
	v_pk_mul_f32 v[8:9], v[4:5], v[2:3] op_sel:[0,1]
	s_delay_alu instid0(VALU_DEP_1) | instskip(SKIP_1) | instid1(VALU_DEP_1)
	v_pk_fma_f32 v[10:11], v[4:5], v[0:1], v[8:9] op_sel:[0,0,1] op_sel_hi:[1,1,0] neg_lo:[0,0,1] neg_hi:[0,0,1]
	v_pk_fma_f32 v[4:5], v[4:5], v[0:1], v[8:9] op_sel:[0,0,1] op_sel_hi:[1,0,0]
	v_mov_b32_e32 v11, v5
	v_pk_mul_f32 v[4:5], v[6:7], v[2:3] op_sel:[0,1]
	s_delay_alu instid0(VALU_DEP_1) | instskip(SKIP_1) | instid1(VALU_DEP_1)
	v_pk_fma_f32 v[8:9], v[6:7], v[0:1], v[4:5] op_sel:[0,0,1] op_sel_hi:[1,1,0] neg_lo:[0,0,1] neg_hi:[0,0,1]
	v_pk_fma_f32 v[4:5], v[6:7], v[0:1], v[4:5] op_sel:[0,0,1] op_sel_hi:[1,0,0]
	v_mov_b32_e32 v9, v5
	ds_load_2addr_b64 v[4:7], v134 offset0:25 offset1:26
	v_pk_add_f32 v[90:91], v[90:91], v[10:11] neg_lo:[0,1] neg_hi:[0,1]
	v_pk_add_f32 v[112:113], v[112:113], v[8:9] neg_lo:[0,1] neg_hi:[0,1]
	s_wait_dscnt 0x0
	v_dual_mul_f32 v8, v5, v3 :: v_dual_mul_f32 v10, v5, v0
	s_delay_alu instid0(VALU_DEP_1) | instskip(NEXT) | instid1(VALU_DEP_2)
	v_pk_fma_f32 v[8:9], v[4:5], v[80:81], v[8:9] op_sel_hi:[1,1,0] neg_lo:[0,0,1] neg_hi:[0,0,1]
	v_pk_fma_f32 v[4:5], v[4:5], v[80:81], v[10:11] op_sel:[1,0,0] op_sel_hi:[0,1,0]
	s_delay_alu instid0(VALU_DEP_1) | instskip(SKIP_1) | instid1(VALU_DEP_2)
	v_mov_b32_e32 v9, v5
	v_pk_mul_f32 v[4:5], v[6:7], v[2:3] op_sel:[0,1]
	v_pk_add_f32 v[108:109], v[108:109], v[8:9] neg_lo:[0,1] neg_hi:[0,1]
	s_delay_alu instid0(VALU_DEP_2) | instskip(SKIP_1) | instid1(VALU_DEP_1)
	v_pk_fma_f32 v[8:9], v[6:7], v[0:1], v[4:5] op_sel:[0,0,1] op_sel_hi:[1,1,0] neg_lo:[0,0,1] neg_hi:[0,0,1]
	v_pk_fma_f32 v[4:5], v[6:7], v[0:1], v[4:5] op_sel:[0,0,1] op_sel_hi:[1,0,0]
	v_mov_b32_e32 v9, v5
	ds_load_2addr_b64 v[4:7], v134 offset0:27 offset1:28
	v_pk_add_f32 v[110:111], v[110:111], v[8:9] neg_lo:[0,1] neg_hi:[0,1]
	s_wait_dscnt 0x0
	v_pk_mul_f32 v[8:9], v[4:5], v[2:3] op_sel:[0,1]
	s_delay_alu instid0(VALU_DEP_1) | instskip(SKIP_1) | instid1(VALU_DEP_1)
	v_pk_fma_f32 v[10:11], v[4:5], v[0:1], v[8:9] op_sel:[0,0,1] op_sel_hi:[1,1,0] neg_lo:[0,0,1] neg_hi:[0,0,1]
	v_pk_fma_f32 v[4:5], v[4:5], v[0:1], v[8:9] op_sel:[0,0,1] op_sel_hi:[1,0,0]
	v_mov_b32_e32 v11, v5
	v_pk_mul_f32 v[4:5], v[6:7], v[2:3] op_sel:[0,1]
	s_delay_alu instid0(VALU_DEP_2) | instskip(NEXT) | instid1(VALU_DEP_2)
	v_pk_add_f32 v[106:107], v[106:107], v[10:11] neg_lo:[0,1] neg_hi:[0,1]
	v_pk_fma_f32 v[8:9], v[6:7], v[0:1], v[4:5] op_sel:[0,0,1] op_sel_hi:[1,1,0] neg_lo:[0,0,1] neg_hi:[0,0,1]
	v_pk_fma_f32 v[4:5], v[6:7], v[0:1], v[4:5] op_sel:[0,0,1] op_sel_hi:[1,0,0]
	s_delay_alu instid0(VALU_DEP_1) | instskip(SKIP_4) | instid1(VALU_DEP_1)
	v_mov_b32_e32 v9, v5
	ds_load_2addr_b64 v[4:7], v134 offset0:29 offset1:30
	v_pk_add_f32 v[130:131], v[130:131], v[8:9] neg_lo:[0,1] neg_hi:[0,1]
	s_wait_dscnt 0x0
	v_pk_mul_f32 v[8:9], v[4:5], v[2:3] op_sel:[0,1]
	v_pk_fma_f32 v[10:11], v[4:5], v[0:1], v[8:9] op_sel:[0,0,1] op_sel_hi:[1,1,0] neg_lo:[0,0,1] neg_hi:[0,0,1]
	v_pk_fma_f32 v[4:5], v[4:5], v[0:1], v[8:9] op_sel:[0,0,1] op_sel_hi:[1,0,0]
	v_dual_mul_f32 v8, v7, v3 :: v_dual_mov_b32 v4, v7
	s_delay_alu instid0(VALU_DEP_2) | instskip(NEXT) | instid1(VALU_DEP_2)
	v_dual_mov_b32 v11, v5 :: v_dual_mov_b32 v5, v6
	v_pk_fma_f32 v[8:9], v[6:7], v[80:81], v[8:9] op_sel_hi:[1,1,0] neg_lo:[0,0,1] neg_hi:[0,0,1]
	v_mul_f32_e32 v6, v7, v0
	s_delay_alu instid0(VALU_DEP_3) | instskip(NEXT) | instid1(VALU_DEP_2)
	v_pk_add_f32 v[126:127], v[126:127], v[10:11] neg_lo:[0,1] neg_hi:[0,1]
	v_pk_fma_f32 v[4:5], v[4:5], v[80:81], v[6:7] op_sel_hi:[1,1,0]
	s_delay_alu instid0(VALU_DEP_1) | instskip(SKIP_4) | instid1(VALU_DEP_1)
	v_mov_b32_e32 v9, v5
	ds_load_2addr_b64 v[4:7], v134 offset0:31 offset1:32
	v_pk_add_f32 v[128:129], v[128:129], v[8:9] neg_lo:[0,1] neg_hi:[0,1]
	s_wait_dscnt 0x0
	v_pk_mul_f32 v[8:9], v[4:5], v[2:3] op_sel:[0,1]
	v_pk_fma_f32 v[10:11], v[4:5], v[0:1], v[8:9] op_sel:[0,0,1] op_sel_hi:[1,1,0] neg_lo:[0,0,1] neg_hi:[0,0,1]
	v_pk_fma_f32 v[4:5], v[4:5], v[0:1], v[8:9] op_sel:[0,0,1] op_sel_hi:[1,0,0]
	s_delay_alu instid0(VALU_DEP_1) | instskip(SKIP_1) | instid1(VALU_DEP_1)
	v_mov_b32_e32 v11, v5
	v_pk_mul_f32 v[4:5], v[6:7], v[2:3] op_sel:[0,1]
	v_pk_fma_f32 v[8:9], v[6:7], v[0:1], v[4:5] op_sel:[0,0,1] op_sel_hi:[1,1,0] neg_lo:[0,0,1] neg_hi:[0,0,1]
	v_pk_fma_f32 v[4:5], v[6:7], v[0:1], v[4:5] op_sel:[0,0,1] op_sel_hi:[1,0,0]
	s_delay_alu instid0(VALU_DEP_1)
	v_mov_b32_e32 v9, v5
	ds_load_2addr_b64 v[4:7], v134 offset0:33 offset1:34
	v_pk_add_f32 v[124:125], v[124:125], v[10:11] neg_lo:[0,1] neg_hi:[0,1]
	v_pk_add_f32 v[146:147], v[146:147], v[8:9] neg_lo:[0,1] neg_hi:[0,1]
	s_wait_dscnt 0x0
	v_pk_mul_f32 v[8:9], v[4:5], v[2:3] op_sel:[0,1]
	s_delay_alu instid0(VALU_DEP_1) | instskip(SKIP_1) | instid1(VALU_DEP_1)
	v_pk_fma_f32 v[10:11], v[4:5], v[0:1], v[8:9] op_sel:[0,0,1] op_sel_hi:[1,1,0] neg_lo:[0,0,1] neg_hi:[0,0,1]
	v_pk_fma_f32 v[4:5], v[4:5], v[0:1], v[8:9] op_sel:[0,0,1] op_sel_hi:[1,0,0]
	v_mov_b32_e32 v11, v5
	v_pk_mul_f32 v[4:5], v[6:7], v[2:3] op_sel:[0,1]
	s_delay_alu instid0(VALU_DEP_1) | instskip(SKIP_1) | instid1(VALU_DEP_1)
	v_pk_fma_f32 v[8:9], v[6:7], v[0:1], v[4:5] op_sel:[0,0,1] op_sel_hi:[1,1,0] neg_lo:[0,0,1] neg_hi:[0,0,1]
	v_pk_fma_f32 v[4:5], v[6:7], v[0:1], v[4:5] op_sel:[0,0,1] op_sel_hi:[1,0,0]
	v_mov_b32_e32 v9, v5
	ds_load_2addr_b64 v[4:7], v134 offset0:35 offset1:36
	v_pk_add_f32 v[142:143], v[142:143], v[10:11] neg_lo:[0,1] neg_hi:[0,1]
	v_pk_add_f32 v[144:145], v[144:145], v[8:9] neg_lo:[0,1] neg_hi:[0,1]
	s_wait_dscnt 0x0
	v_dual_mul_f32 v8, v5, v3 :: v_dual_mul_f32 v10, v5, v0
	s_delay_alu instid0(VALU_DEP_1) | instskip(NEXT) | instid1(VALU_DEP_2)
	v_pk_fma_f32 v[8:9], v[4:5], v[80:81], v[8:9] op_sel_hi:[1,1,0] neg_lo:[0,0,1] neg_hi:[0,0,1]
	v_pk_fma_f32 v[4:5], v[4:5], v[80:81], v[10:11] op_sel:[1,0,0] op_sel_hi:[0,1,0]
	s_delay_alu instid0(VALU_DEP_1) | instskip(SKIP_1) | instid1(VALU_DEP_2)
	v_mov_b32_e32 v9, v5
	v_pk_mul_f32 v[4:5], v[6:7], v[2:3] op_sel:[0,1]
	v_pk_add_f32 v[140:141], v[140:141], v[8:9] neg_lo:[0,1] neg_hi:[0,1]
	s_delay_alu instid0(VALU_DEP_2) | instskip(SKIP_1) | instid1(VALU_DEP_1)
	v_pk_fma_f32 v[8:9], v[6:7], v[0:1], v[4:5] op_sel:[0,0,1] op_sel_hi:[1,1,0] neg_lo:[0,0,1] neg_hi:[0,0,1]
	v_pk_fma_f32 v[4:5], v[6:7], v[0:1], v[4:5] op_sel:[0,0,1] op_sel_hi:[1,0,0]
	v_mov_b32_e32 v9, v5
	ds_load_2addr_b64 v[4:7], v134 offset0:37 offset1:38
	v_pk_add_f32 v[162:163], v[162:163], v[8:9] neg_lo:[0,1] neg_hi:[0,1]
	s_wait_dscnt 0x0
	v_pk_mul_f32 v[8:9], v[4:5], v[2:3] op_sel:[0,1]
	s_delay_alu instid0(VALU_DEP_1) | instskip(SKIP_1) | instid1(VALU_DEP_1)
	v_pk_fma_f32 v[10:11], v[4:5], v[0:1], v[8:9] op_sel:[0,0,1] op_sel_hi:[1,1,0] neg_lo:[0,0,1] neg_hi:[0,0,1]
	v_pk_fma_f32 v[4:5], v[4:5], v[0:1], v[8:9] op_sel:[0,0,1] op_sel_hi:[1,0,0]
	v_mov_b32_e32 v11, v5
	v_pk_mul_f32 v[4:5], v[6:7], v[2:3] op_sel:[0,1]
	s_delay_alu instid0(VALU_DEP_2) | instskip(NEXT) | instid1(VALU_DEP_2)
	v_pk_add_f32 v[158:159], v[158:159], v[10:11] neg_lo:[0,1] neg_hi:[0,1]
	v_pk_fma_f32 v[8:9], v[6:7], v[0:1], v[4:5] op_sel:[0,0,1] op_sel_hi:[1,1,0] neg_lo:[0,0,1] neg_hi:[0,0,1]
	v_pk_fma_f32 v[4:5], v[6:7], v[0:1], v[4:5] op_sel:[0,0,1] op_sel_hi:[1,0,0]
	s_delay_alu instid0(VALU_DEP_1) | instskip(SKIP_4) | instid1(VALU_DEP_1)
	v_mov_b32_e32 v9, v5
	ds_load_2addr_b64 v[4:7], v134 offset0:39 offset1:40
	v_pk_add_f32 v[160:161], v[160:161], v[8:9] neg_lo:[0,1] neg_hi:[0,1]
	s_wait_dscnt 0x0
	v_pk_mul_f32 v[8:9], v[4:5], v[2:3] op_sel:[0,1]
	v_pk_fma_f32 v[10:11], v[4:5], v[0:1], v[8:9] op_sel:[0,0,1] op_sel_hi:[1,1,0] neg_lo:[0,0,1] neg_hi:[0,0,1]
	v_pk_fma_f32 v[4:5], v[4:5], v[0:1], v[8:9] op_sel:[0,0,1] op_sel_hi:[1,0,0]
	v_dual_mul_f32 v8, v7, v3 :: v_dual_mov_b32 v4, v7
	s_delay_alu instid0(VALU_DEP_2) | instskip(NEXT) | instid1(VALU_DEP_2)
	v_dual_mov_b32 v11, v5 :: v_dual_mov_b32 v5, v6
	v_pk_fma_f32 v[8:9], v[6:7], v[80:81], v[8:9] op_sel_hi:[1,1,0] neg_lo:[0,0,1] neg_hi:[0,0,1]
	v_mul_f32_e32 v6, v7, v0
	s_delay_alu instid0(VALU_DEP_3) | instskip(NEXT) | instid1(VALU_DEP_2)
	v_pk_add_f32 v[156:157], v[156:157], v[10:11] neg_lo:[0,1] neg_hi:[0,1]
	v_pk_fma_f32 v[4:5], v[4:5], v[80:81], v[6:7] op_sel_hi:[1,1,0]
	s_delay_alu instid0(VALU_DEP_1) | instskip(SKIP_4) | instid1(VALU_DEP_1)
	v_mov_b32_e32 v9, v5
	ds_load_2addr_b64 v[4:7], v134 offset0:41 offset1:42
	v_pk_add_f32 v[184:185], v[184:185], v[8:9] neg_lo:[0,1] neg_hi:[0,1]
	s_wait_dscnt 0x0
	v_pk_mul_f32 v[8:9], v[4:5], v[2:3] op_sel:[0,1]
	v_pk_fma_f32 v[10:11], v[4:5], v[0:1], v[8:9] op_sel:[0,0,1] op_sel_hi:[1,1,0] neg_lo:[0,0,1] neg_hi:[0,0,1]
	v_pk_fma_f32 v[4:5], v[4:5], v[0:1], v[8:9] op_sel:[0,0,1] op_sel_hi:[1,0,0]
	s_delay_alu instid0(VALU_DEP_1) | instskip(SKIP_1) | instid1(VALU_DEP_1)
	v_mov_b32_e32 v11, v5
	v_pk_mul_f32 v[4:5], v[6:7], v[2:3] op_sel:[0,1]
	v_pk_fma_f32 v[8:9], v[6:7], v[0:1], v[4:5] op_sel:[0,0,1] op_sel_hi:[1,1,0] neg_lo:[0,0,1] neg_hi:[0,0,1]
	v_pk_fma_f32 v[4:5], v[6:7], v[0:1], v[4:5] op_sel:[0,0,1] op_sel_hi:[1,0,0]
	s_delay_alu instid0(VALU_DEP_1)
	v_mov_b32_e32 v9, v5
	ds_load_2addr_b64 v[4:7], v134 offset0:43 offset1:44
	v_pk_add_f32 v[180:181], v[180:181], v[10:11] neg_lo:[0,1] neg_hi:[0,1]
	v_pk_add_f32 v[182:183], v[182:183], v[8:9] neg_lo:[0,1] neg_hi:[0,1]
	s_wait_dscnt 0x0
	v_pk_mul_f32 v[8:9], v[4:5], v[2:3] op_sel:[0,1]
	s_delay_alu instid0(VALU_DEP_1) | instskip(SKIP_1) | instid1(VALU_DEP_1)
	v_pk_fma_f32 v[10:11], v[4:5], v[0:1], v[8:9] op_sel:[0,0,1] op_sel_hi:[1,1,0] neg_lo:[0,0,1] neg_hi:[0,0,1]
	v_pk_fma_f32 v[4:5], v[4:5], v[0:1], v[8:9] op_sel:[0,0,1] op_sel_hi:[1,0,0]
	v_mov_b32_e32 v11, v5
	v_pk_mul_f32 v[4:5], v[6:7], v[2:3] op_sel:[0,1]
	s_delay_alu instid0(VALU_DEP_1) | instskip(SKIP_1) | instid1(VALU_DEP_1)
	v_pk_fma_f32 v[8:9], v[6:7], v[0:1], v[4:5] op_sel:[0,0,1] op_sel_hi:[1,1,0] neg_lo:[0,0,1] neg_hi:[0,0,1]
	v_pk_fma_f32 v[4:5], v[6:7], v[0:1], v[4:5] op_sel:[0,0,1] op_sel_hi:[1,0,0]
	v_mov_b32_e32 v9, v5
	ds_load_2addr_b64 v[4:7], v134 offset0:45 offset1:46
	v_pk_add_f32 v[178:179], v[178:179], v[10:11] neg_lo:[0,1] neg_hi:[0,1]
	v_pk_add_f32 v[208:209], v[208:209], v[8:9] neg_lo:[0,1] neg_hi:[0,1]
	s_wait_dscnt 0x0
	v_dual_mul_f32 v8, v5, v3 :: v_dual_mul_f32 v10, v5, v0
	s_delay_alu instid0(VALU_DEP_1) | instskip(NEXT) | instid1(VALU_DEP_2)
	v_pk_fma_f32 v[8:9], v[4:5], v[80:81], v[8:9] op_sel_hi:[1,1,0] neg_lo:[0,0,1] neg_hi:[0,0,1]
	v_pk_fma_f32 v[4:5], v[4:5], v[80:81], v[10:11] op_sel:[1,0,0] op_sel_hi:[0,1,0]
	s_delay_alu instid0(VALU_DEP_1) | instskip(SKIP_1) | instid1(VALU_DEP_2)
	v_mov_b32_e32 v9, v5
	v_pk_mul_f32 v[4:5], v[6:7], v[2:3] op_sel:[0,1]
	v_pk_add_f32 v[200:201], v[200:201], v[8:9] neg_lo:[0,1] neg_hi:[0,1]
	s_delay_alu instid0(VALU_DEP_2) | instskip(SKIP_1) | instid1(VALU_DEP_1)
	v_pk_fma_f32 v[8:9], v[6:7], v[0:1], v[4:5] op_sel:[0,0,1] op_sel_hi:[1,1,0] neg_lo:[0,0,1] neg_hi:[0,0,1]
	v_pk_fma_f32 v[4:5], v[6:7], v[0:1], v[4:5] op_sel:[0,0,1] op_sel_hi:[1,0,0]
	v_mov_b32_e32 v9, v5
	ds_load_2addr_b64 v[4:7], v134 offset0:47 offset1:48
	v_pk_add_f32 v[206:207], v[206:207], v[8:9] neg_lo:[0,1] neg_hi:[0,1]
	s_wait_dscnt 0x0
	v_pk_mul_f32 v[8:9], v[4:5], v[2:3] op_sel:[0,1]
	s_delay_alu instid0(VALU_DEP_1) | instskip(SKIP_1) | instid1(VALU_DEP_1)
	v_pk_fma_f32 v[10:11], v[4:5], v[0:1], v[8:9] op_sel:[0,0,1] op_sel_hi:[1,1,0] neg_lo:[0,0,1] neg_hi:[0,0,1]
	v_pk_fma_f32 v[4:5], v[4:5], v[0:1], v[8:9] op_sel:[0,0,1] op_sel_hi:[1,0,0]
	v_mov_b32_e32 v11, v5
	v_pk_mul_f32 v[4:5], v[6:7], v[2:3] op_sel:[0,1]
	s_delay_alu instid0(VALU_DEP_2) | instskip(NEXT) | instid1(VALU_DEP_2)
	v_pk_add_f32 v[198:199], v[198:199], v[10:11] neg_lo:[0,1] neg_hi:[0,1]
	v_pk_fma_f32 v[8:9], v[6:7], v[0:1], v[4:5] op_sel:[0,0,1] op_sel_hi:[1,1,0] neg_lo:[0,0,1] neg_hi:[0,0,1]
	v_pk_fma_f32 v[4:5], v[6:7], v[0:1], v[4:5] op_sel:[0,0,1] op_sel_hi:[1,0,0]
	s_delay_alu instid0(VALU_DEP_1) | instskip(SKIP_4) | instid1(VALU_DEP_1)
	v_mov_b32_e32 v9, v5
	ds_load_2addr_b64 v[4:7], v134 offset0:49 offset1:50
	v_pk_add_f32 v[204:205], v[204:205], v[8:9] neg_lo:[0,1] neg_hi:[0,1]
	s_wait_dscnt 0x0
	v_pk_mul_f32 v[8:9], v[4:5], v[2:3] op_sel:[0,1]
	v_pk_fma_f32 v[10:11], v[4:5], v[0:1], v[8:9] op_sel:[0,0,1] op_sel_hi:[1,1,0] neg_lo:[0,0,1] neg_hi:[0,0,1]
	v_pk_fma_f32 v[4:5], v[4:5], v[0:1], v[8:9] op_sel:[0,0,1] op_sel_hi:[1,0,0]
	v_dual_mul_f32 v8, v7, v3 :: v_dual_mov_b32 v4, v7
	s_delay_alu instid0(VALU_DEP_2) | instskip(NEXT) | instid1(VALU_DEP_2)
	v_dual_mov_b32 v11, v5 :: v_dual_mov_b32 v5, v6
	v_pk_fma_f32 v[8:9], v[6:7], v[80:81], v[8:9] op_sel_hi:[1,1,0] neg_lo:[0,0,1] neg_hi:[0,0,1]
	v_mul_f32_e32 v6, v7, v0
	s_delay_alu instid0(VALU_DEP_3) | instskip(NEXT) | instid1(VALU_DEP_2)
	v_pk_add_f32 v[196:197], v[196:197], v[10:11] neg_lo:[0,1] neg_hi:[0,1]
	v_pk_fma_f32 v[4:5], v[4:5], v[80:81], v[6:7] op_sel_hi:[1,1,0]
	s_delay_alu instid0(VALU_DEP_1)
	v_mov_b32_e32 v9, v5
	ds_load_2addr_b64 v[4:7], v134 offset0:51 offset1:52
	v_pk_add_f32 v[202:203], v[202:203], v[8:9] neg_lo:[0,1] neg_hi:[0,1]
	s_wait_dscnt 0x0
	v_pk_mul_f32 v[8:9], v[4:5], v[2:3] op_sel:[0,1]
	v_mul_f32_e32 v2, v7, v3
	s_delay_alu instid0(VALU_DEP_2) | instskip(SKIP_2) | instid1(VALU_DEP_4)
	v_pk_fma_f32 v[10:11], v[4:5], v[0:1], v[8:9] op_sel:[0,0,1] op_sel_hi:[1,1,0] neg_lo:[0,0,1] neg_hi:[0,0,1]
	v_pk_fma_f32 v[4:5], v[4:5], v[0:1], v[8:9] op_sel:[0,0,1] op_sel_hi:[1,0,0]
	v_dual_mov_b32 v4, v7 :: v_dual_mul_f32 v0, v7, v0
	v_pk_fma_f32 v[2:3], v[6:7], v[80:81], v[2:3] op_sel_hi:[1,1,0] neg_lo:[0,0,1] neg_hi:[0,0,1]
	s_delay_alu instid0(VALU_DEP_3) | instskip(NEXT) | instid1(VALU_DEP_1)
	v_dual_mov_b32 v11, v5 :: v_dual_mov_b32 v5, v6
	v_pk_add_f32 v[210:211], v[210:211], v[10:11] neg_lo:[0,1] neg_hi:[0,1]
	s_delay_alu instid0(VALU_DEP_2) | instskip(NEXT) | instid1(VALU_DEP_1)
	v_pk_fma_f32 v[0:1], v[4:5], v[80:81], v[0:1] op_sel_hi:[1,1,0]
	v_mov_b32_e32 v3, v1
	s_delay_alu instid0(VALU_DEP_1)
	v_pk_add_f32 v[212:213], v[212:213], v[2:3] neg_lo:[0,1] neg_hi:[0,1]
.LBB105_154:
	s_wait_xcnt 0x0
	s_or_b32 exec_lo, exec_lo, s1
	s_delay_alu instid0(SALU_CYCLE_1)
	s_mov_b32 s2, exec_lo
	s_wait_storecnt 0x0
	s_barrier_signal -1
	s_barrier_wait -1
	v_cmpx_eq_u32_e32 17, v132
	s_cbranch_execz .LBB105_161
; %bb.155:
	v_dual_mov_b32 v0, v78 :: v_dual_mov_b32 v1, v79
	v_dual_mov_b32 v2, v74 :: v_dual_mov_b32 v3, v75
	ds_store_b64 v133, v[76:77]
	ds_store_2addr_b64 v134, v[0:1], v[2:3] offset0:18 offset1:19
	v_dual_mov_b32 v0, v96 :: v_dual_mov_b32 v1, v97
	v_dual_mov_b32 v2, v92 :: v_dual_mov_b32 v3, v93
	ds_store_2addr_b64 v134, v[0:1], v[2:3] offset0:20 offset1:21
	v_dual_mov_b32 v0, v94 :: v_dual_mov_b32 v1, v95
	v_dual_mov_b32 v2, v90 :: v_dual_mov_b32 v3, v91
	;; [unrolled: 3-line block ×16, first 2 shown]
	ds_store_2addr_b64 v134, v[0:1], v[2:3] offset0:50 offset1:51
	ds_store_b64 v134, v[212:213] offset:416
	ds_load_b64 v[0:1], v133
	s_wait_dscnt 0x0
	v_cmp_neq_f32_e32 vcc_lo, 0, v0
	v_cmp_neq_f32_e64 s1, 0, v1
	s_or_b32 s1, vcc_lo, s1
	s_delay_alu instid0(SALU_CYCLE_1)
	s_and_b32 exec_lo, exec_lo, s1
	s_cbranch_execz .LBB105_161
; %bb.156:
	v_cmp_ngt_f32_e64 s1, |v0|, |v1|
                                        ; implicit-def: $vgpr2_vgpr3
	s_and_saveexec_b32 s4, s1
	s_delay_alu instid0(SALU_CYCLE_1)
	s_xor_b32 s1, exec_lo, s4
	s_cbranch_execz .LBB105_158
; %bb.157:
	v_div_scale_f32 v2, null, v1, v1, v0
	v_div_scale_f32 v5, vcc_lo, v0, v1, v0
	s_delay_alu instid0(VALU_DEP_2) | instskip(SKIP_1) | instid1(TRANS32_DEP_1)
	v_rcp_f32_e32 v3, v2
	v_nop
	v_fma_f32 v4, -v2, v3, 1.0
	s_delay_alu instid0(VALU_DEP_1) | instskip(NEXT) | instid1(VALU_DEP_1)
	v_fmac_f32_e32 v3, v4, v3
	v_mul_f32_e32 v4, v5, v3
	s_delay_alu instid0(VALU_DEP_1) | instskip(NEXT) | instid1(VALU_DEP_1)
	v_fma_f32 v6, -v2, v4, v5
	v_fmac_f32_e32 v4, v6, v3
	s_delay_alu instid0(VALU_DEP_1) | instskip(NEXT) | instid1(VALU_DEP_1)
	v_fma_f32 v2, -v2, v4, v5
	v_div_fmas_f32 v2, v2, v3, v4
	s_delay_alu instid0(VALU_DEP_1) | instskip(NEXT) | instid1(VALU_DEP_1)
	v_div_fixup_f32 v2, v2, v1, v0
	v_fmac_f32_e32 v1, v0, v2
	s_delay_alu instid0(VALU_DEP_1) | instskip(SKIP_1) | instid1(VALU_DEP_2)
	v_div_scale_f32 v0, null, v1, v1, 1.0
	v_div_scale_f32 v5, vcc_lo, 1.0, v1, 1.0
	v_rcp_f32_e32 v3, v0
	v_nop
	s_delay_alu instid0(TRANS32_DEP_1) | instskip(NEXT) | instid1(VALU_DEP_1)
	v_fma_f32 v4, -v0, v3, 1.0
	v_fmac_f32_e32 v3, v4, v3
	s_delay_alu instid0(VALU_DEP_1) | instskip(NEXT) | instid1(VALU_DEP_1)
	v_mul_f32_e32 v4, v5, v3
	v_fma_f32 v6, -v0, v4, v5
	s_delay_alu instid0(VALU_DEP_1) | instskip(NEXT) | instid1(VALU_DEP_1)
	v_fmac_f32_e32 v4, v6, v3
	v_fma_f32 v0, -v0, v4, v5
	s_delay_alu instid0(VALU_DEP_1) | instskip(NEXT) | instid1(VALU_DEP_1)
	v_div_fmas_f32 v0, v0, v3, v4
	v_div_fixup_f32 v0, v0, v1, 1.0
	s_delay_alu instid0(VALU_DEP_1)
	v_mul_f32_e32 v2, v2, v0
	v_xor_b32_e32 v3, 0x80000000, v0
                                        ; implicit-def: $vgpr0_vgpr1
.LBB105_158:
	s_and_not1_saveexec_b32 s1, s1
	s_cbranch_execz .LBB105_160
; %bb.159:
	v_div_scale_f32 v2, null, v0, v0, v1
	v_div_scale_f32 v5, vcc_lo, v1, v0, v1
	s_delay_alu instid0(VALU_DEP_2) | instskip(SKIP_1) | instid1(TRANS32_DEP_1)
	v_rcp_f32_e32 v3, v2
	v_nop
	v_fma_f32 v4, -v2, v3, 1.0
	s_delay_alu instid0(VALU_DEP_1) | instskip(NEXT) | instid1(VALU_DEP_1)
	v_fmac_f32_e32 v3, v4, v3
	v_mul_f32_e32 v4, v5, v3
	s_delay_alu instid0(VALU_DEP_1) | instskip(NEXT) | instid1(VALU_DEP_1)
	v_fma_f32 v6, -v2, v4, v5
	v_fmac_f32_e32 v4, v6, v3
	s_delay_alu instid0(VALU_DEP_1) | instskip(NEXT) | instid1(VALU_DEP_1)
	v_fma_f32 v2, -v2, v4, v5
	v_div_fmas_f32 v2, v2, v3, v4
	s_delay_alu instid0(VALU_DEP_1) | instskip(NEXT) | instid1(VALU_DEP_1)
	v_div_fixup_f32 v3, v2, v0, v1
	v_fmac_f32_e32 v0, v1, v3
	s_delay_alu instid0(VALU_DEP_1) | instskip(NEXT) | instid1(VALU_DEP_1)
	v_div_scale_f32 v1, null, v0, v0, 1.0
	v_rcp_f32_e32 v2, v1
	v_nop
	s_delay_alu instid0(TRANS32_DEP_1) | instskip(NEXT) | instid1(VALU_DEP_1)
	v_fma_f32 v4, -v1, v2, 1.0
	v_fmac_f32_e32 v2, v4, v2
	v_div_scale_f32 v4, vcc_lo, 1.0, v0, 1.0
	s_delay_alu instid0(VALU_DEP_1) | instskip(NEXT) | instid1(VALU_DEP_1)
	v_mul_f32_e32 v5, v4, v2
	v_fma_f32 v6, -v1, v5, v4
	s_delay_alu instid0(VALU_DEP_1) | instskip(NEXT) | instid1(VALU_DEP_1)
	v_fmac_f32_e32 v5, v6, v2
	v_fma_f32 v1, -v1, v5, v4
	s_delay_alu instid0(VALU_DEP_1) | instskip(NEXT) | instid1(VALU_DEP_1)
	v_div_fmas_f32 v1, v1, v2, v5
	v_div_fixup_f32 v2, v1, v0, 1.0
	s_delay_alu instid0(VALU_DEP_1)
	v_mul_f32_e64 v3, v3, -v2
.LBB105_160:
	s_or_b32 exec_lo, exec_lo, s1
	ds_store_b64 v133, v[2:3]
.LBB105_161:
	s_or_b32 exec_lo, exec_lo, s2
	s_wait_dscnt 0x0
	s_barrier_signal -1
	s_barrier_wait -1
	ds_load_b64 v[0:1], v133
	s_mov_b32 s1, exec_lo
	s_wait_dscnt 0x0
	scratch_store_b64 off, v[0:1], off offset:264 ; 8-byte Folded Spill
	s_wait_xcnt 0x0
	v_cmpx_lt_u32_e32 17, v132
	s_cbranch_execz .LBB105_163
; %bb.162:
	scratch_load_b64 v[4:5], off, off offset:264 ; 8-byte Folded Reload
	s_wait_loadcnt 0x0
	v_pk_mul_f32 v[2:3], v[4:5], v[76:77] op_sel:[1,1] op_sel_hi:[0,1]
	s_delay_alu instid0(VALU_DEP_1)
	v_pk_fma_f32 v[0:1], v[4:5], v[76:77], v[2:3] op_sel_hi:[1,0,1] neg_lo:[0,0,1] neg_hi:[0,0,1]
	v_pk_fma_f32 v[2:3], v[4:5], v[76:77], v[2:3] op_sel_hi:[1,0,1]
	ds_load_2addr_b64 v[4:7], v134 offset0:18 offset1:19
	v_dual_mov_b32 v76, v0 :: v_dual_mov_b32 v77, v3
	s_wait_dscnt 0x0
	v_pk_mul_f32 v[8:9], v[4:5], v[2:3] op_sel:[0,1]
	s_delay_alu instid0(VALU_DEP_1) | instskip(SKIP_1) | instid1(VALU_DEP_1)
	v_pk_fma_f32 v[10:11], v[4:5], v[0:1], v[8:9] op_sel:[0,0,1] op_sel_hi:[1,1,0] neg_lo:[0,0,1] neg_hi:[0,0,1]
	v_pk_fma_f32 v[4:5], v[4:5], v[0:1], v[8:9] op_sel:[0,0,1] op_sel_hi:[1,0,0]
	v_mov_b32_e32 v11, v5
	v_pk_mul_f32 v[4:5], v[6:7], v[2:3] op_sel:[0,1]
	s_delay_alu instid0(VALU_DEP_1) | instskip(SKIP_1) | instid1(VALU_DEP_1)
	v_pk_fma_f32 v[8:9], v[6:7], v[0:1], v[4:5] op_sel:[0,0,1] op_sel_hi:[1,1,0] neg_lo:[0,0,1] neg_hi:[0,0,1]
	v_pk_fma_f32 v[4:5], v[6:7], v[0:1], v[4:5] op_sel:[0,0,1] op_sel_hi:[1,0,0]
	v_mov_b32_e32 v9, v5
	ds_load_2addr_b64 v[4:7], v134 offset0:20 offset1:21
	v_pk_add_f32 v[78:79], v[78:79], v[10:11] neg_lo:[0,1] neg_hi:[0,1]
	v_pk_add_f32 v[74:75], v[74:75], v[8:9] neg_lo:[0,1] neg_hi:[0,1]
	s_wait_dscnt 0x0
	v_pk_mul_f32 v[8:9], v[4:5], v[2:3] op_sel:[0,1]
	s_delay_alu instid0(VALU_DEP_1) | instskip(SKIP_2) | instid1(VALU_DEP_2)
	v_pk_fma_f32 v[10:11], v[4:5], v[0:1], v[8:9] op_sel:[0,0,1] op_sel_hi:[1,1,0] neg_lo:[0,0,1] neg_hi:[0,0,1]
	v_pk_fma_f32 v[4:5], v[4:5], v[0:1], v[8:9] op_sel:[0,0,1] op_sel_hi:[1,0,0]
	v_dual_mul_f32 v8, v7, v3 :: v_dual_mov_b32 v4, v7
	v_dual_mov_b32 v11, v5 :: v_dual_mov_b32 v5, v6
	s_delay_alu instid0(VALU_DEP_2) | instskip(SKIP_1) | instid1(VALU_DEP_3)
	v_pk_fma_f32 v[8:9], v[6:7], v[76:77], v[8:9] op_sel_hi:[1,1,0] neg_lo:[0,0,1] neg_hi:[0,0,1]
	v_mul_f32_e32 v6, v7, v0
	v_pk_add_f32 v[96:97], v[96:97], v[10:11] neg_lo:[0,1] neg_hi:[0,1]
	s_delay_alu instid0(VALU_DEP_2) | instskip(NEXT) | instid1(VALU_DEP_1)
	v_pk_fma_f32 v[4:5], v[4:5], v[76:77], v[6:7] op_sel_hi:[1,1,0]
	v_mov_b32_e32 v9, v5
	ds_load_2addr_b64 v[4:7], v134 offset0:22 offset1:23
	v_pk_add_f32 v[92:93], v[92:93], v[8:9] neg_lo:[0,1] neg_hi:[0,1]
	s_wait_dscnt 0x0
	v_pk_mul_f32 v[8:9], v[4:5], v[2:3] op_sel:[0,1]
	s_delay_alu instid0(VALU_DEP_1) | instskip(SKIP_1) | instid1(VALU_DEP_1)
	v_pk_fma_f32 v[10:11], v[4:5], v[0:1], v[8:9] op_sel:[0,0,1] op_sel_hi:[1,1,0] neg_lo:[0,0,1] neg_hi:[0,0,1]
	v_pk_fma_f32 v[4:5], v[4:5], v[0:1], v[8:9] op_sel:[0,0,1] op_sel_hi:[1,0,0]
	v_mov_b32_e32 v11, v5
	v_pk_mul_f32 v[4:5], v[6:7], v[2:3] op_sel:[0,1]
	s_delay_alu instid0(VALU_DEP_1) | instskip(SKIP_1) | instid1(VALU_DEP_1)
	v_pk_fma_f32 v[8:9], v[6:7], v[0:1], v[4:5] op_sel:[0,0,1] op_sel_hi:[1,1,0] neg_lo:[0,0,1] neg_hi:[0,0,1]
	v_pk_fma_f32 v[4:5], v[6:7], v[0:1], v[4:5] op_sel:[0,0,1] op_sel_hi:[1,0,0]
	v_mov_b32_e32 v9, v5
	ds_load_2addr_b64 v[4:7], v134 offset0:24 offset1:25
	v_pk_add_f32 v[94:95], v[94:95], v[10:11] neg_lo:[0,1] neg_hi:[0,1]
	v_pk_add_f32 v[90:91], v[90:91], v[8:9] neg_lo:[0,1] neg_hi:[0,1]
	s_wait_dscnt 0x0
	v_pk_mul_f32 v[8:9], v[4:5], v[2:3] op_sel:[0,1]
	s_delay_alu instid0(VALU_DEP_1) | instskip(SKIP_1) | instid1(VALU_DEP_1)
	v_pk_fma_f32 v[10:11], v[4:5], v[0:1], v[8:9] op_sel:[0,0,1] op_sel_hi:[1,1,0] neg_lo:[0,0,1] neg_hi:[0,0,1]
	v_pk_fma_f32 v[4:5], v[4:5], v[0:1], v[8:9] op_sel:[0,0,1] op_sel_hi:[1,0,0]
	v_mov_b32_e32 v11, v5
	v_pk_mul_f32 v[4:5], v[6:7], v[2:3] op_sel:[0,1]
	s_delay_alu instid0(VALU_DEP_1) | instskip(SKIP_1) | instid1(VALU_DEP_1)
	v_pk_fma_f32 v[8:9], v[6:7], v[0:1], v[4:5] op_sel:[0,0,1] op_sel_hi:[1,1,0] neg_lo:[0,0,1] neg_hi:[0,0,1]
	v_pk_fma_f32 v[4:5], v[6:7], v[0:1], v[4:5] op_sel:[0,0,1] op_sel_hi:[1,0,0]
	v_mov_b32_e32 v9, v5
	ds_load_2addr_b64 v[4:7], v134 offset0:26 offset1:27
	v_pk_add_f32 v[112:113], v[112:113], v[10:11] neg_lo:[0,1] neg_hi:[0,1]
	v_pk_add_f32 v[108:109], v[108:109], v[8:9] neg_lo:[0,1] neg_hi:[0,1]
	s_wait_dscnt 0x0
	v_dual_mul_f32 v8, v5, v3 :: v_dual_mul_f32 v10, v5, v0
	s_delay_alu instid0(VALU_DEP_1) | instskip(NEXT) | instid1(VALU_DEP_2)
	v_pk_fma_f32 v[8:9], v[4:5], v[76:77], v[8:9] op_sel_hi:[1,1,0] neg_lo:[0,0,1] neg_hi:[0,0,1]
	v_pk_fma_f32 v[4:5], v[4:5], v[76:77], v[10:11] op_sel:[1,0,0] op_sel_hi:[0,1,0]
	s_delay_alu instid0(VALU_DEP_1) | instskip(SKIP_1) | instid1(VALU_DEP_2)
	v_mov_b32_e32 v9, v5
	v_pk_mul_f32 v[4:5], v[6:7], v[2:3] op_sel:[0,1]
	v_pk_add_f32 v[110:111], v[110:111], v[8:9] neg_lo:[0,1] neg_hi:[0,1]
	s_delay_alu instid0(VALU_DEP_2) | instskip(SKIP_1) | instid1(VALU_DEP_1)
	v_pk_fma_f32 v[8:9], v[6:7], v[0:1], v[4:5] op_sel:[0,0,1] op_sel_hi:[1,1,0] neg_lo:[0,0,1] neg_hi:[0,0,1]
	v_pk_fma_f32 v[4:5], v[6:7], v[0:1], v[4:5] op_sel:[0,0,1] op_sel_hi:[1,0,0]
	v_mov_b32_e32 v9, v5
	ds_load_2addr_b64 v[4:7], v134 offset0:28 offset1:29
	v_pk_add_f32 v[106:107], v[106:107], v[8:9] neg_lo:[0,1] neg_hi:[0,1]
	s_wait_dscnt 0x0
	v_pk_mul_f32 v[8:9], v[4:5], v[2:3] op_sel:[0,1]
	s_delay_alu instid0(VALU_DEP_1) | instskip(SKIP_1) | instid1(VALU_DEP_1)
	v_pk_fma_f32 v[10:11], v[4:5], v[0:1], v[8:9] op_sel:[0,0,1] op_sel_hi:[1,1,0] neg_lo:[0,0,1] neg_hi:[0,0,1]
	v_pk_fma_f32 v[4:5], v[4:5], v[0:1], v[8:9] op_sel:[0,0,1] op_sel_hi:[1,0,0]
	v_mov_b32_e32 v11, v5
	v_pk_mul_f32 v[4:5], v[6:7], v[2:3] op_sel:[0,1]
	s_delay_alu instid0(VALU_DEP_2) | instskip(NEXT) | instid1(VALU_DEP_2)
	v_pk_add_f32 v[130:131], v[130:131], v[10:11] neg_lo:[0,1] neg_hi:[0,1]
	v_pk_fma_f32 v[8:9], v[6:7], v[0:1], v[4:5] op_sel:[0,0,1] op_sel_hi:[1,1,0] neg_lo:[0,0,1] neg_hi:[0,0,1]
	v_pk_fma_f32 v[4:5], v[6:7], v[0:1], v[4:5] op_sel:[0,0,1] op_sel_hi:[1,0,0]
	s_delay_alu instid0(VALU_DEP_1) | instskip(SKIP_4) | instid1(VALU_DEP_1)
	v_mov_b32_e32 v9, v5
	ds_load_2addr_b64 v[4:7], v134 offset0:30 offset1:31
	v_pk_add_f32 v[126:127], v[126:127], v[8:9] neg_lo:[0,1] neg_hi:[0,1]
	s_wait_dscnt 0x0
	v_pk_mul_f32 v[8:9], v[4:5], v[2:3] op_sel:[0,1]
	v_pk_fma_f32 v[10:11], v[4:5], v[0:1], v[8:9] op_sel:[0,0,1] op_sel_hi:[1,1,0] neg_lo:[0,0,1] neg_hi:[0,0,1]
	v_pk_fma_f32 v[4:5], v[4:5], v[0:1], v[8:9] op_sel:[0,0,1] op_sel_hi:[1,0,0]
	v_dual_mul_f32 v8, v7, v3 :: v_dual_mov_b32 v4, v7
	s_delay_alu instid0(VALU_DEP_2) | instskip(NEXT) | instid1(VALU_DEP_2)
	v_dual_mov_b32 v11, v5 :: v_dual_mov_b32 v5, v6
	v_pk_fma_f32 v[8:9], v[6:7], v[76:77], v[8:9] op_sel_hi:[1,1,0] neg_lo:[0,0,1] neg_hi:[0,0,1]
	v_mul_f32_e32 v6, v7, v0
	s_delay_alu instid0(VALU_DEP_3) | instskip(NEXT) | instid1(VALU_DEP_2)
	v_pk_add_f32 v[128:129], v[128:129], v[10:11] neg_lo:[0,1] neg_hi:[0,1]
	v_pk_fma_f32 v[4:5], v[4:5], v[76:77], v[6:7] op_sel_hi:[1,1,0]
	s_delay_alu instid0(VALU_DEP_1) | instskip(SKIP_4) | instid1(VALU_DEP_1)
	v_mov_b32_e32 v9, v5
	ds_load_2addr_b64 v[4:7], v134 offset0:32 offset1:33
	v_pk_add_f32 v[124:125], v[124:125], v[8:9] neg_lo:[0,1] neg_hi:[0,1]
	s_wait_dscnt 0x0
	v_pk_mul_f32 v[8:9], v[4:5], v[2:3] op_sel:[0,1]
	v_pk_fma_f32 v[10:11], v[4:5], v[0:1], v[8:9] op_sel:[0,0,1] op_sel_hi:[1,1,0] neg_lo:[0,0,1] neg_hi:[0,0,1]
	v_pk_fma_f32 v[4:5], v[4:5], v[0:1], v[8:9] op_sel:[0,0,1] op_sel_hi:[1,0,0]
	s_delay_alu instid0(VALU_DEP_1) | instskip(SKIP_1) | instid1(VALU_DEP_1)
	v_mov_b32_e32 v11, v5
	v_pk_mul_f32 v[4:5], v[6:7], v[2:3] op_sel:[0,1]
	v_pk_fma_f32 v[8:9], v[6:7], v[0:1], v[4:5] op_sel:[0,0,1] op_sel_hi:[1,1,0] neg_lo:[0,0,1] neg_hi:[0,0,1]
	v_pk_fma_f32 v[4:5], v[6:7], v[0:1], v[4:5] op_sel:[0,0,1] op_sel_hi:[1,0,0]
	s_delay_alu instid0(VALU_DEP_1)
	v_mov_b32_e32 v9, v5
	ds_load_2addr_b64 v[4:7], v134 offset0:34 offset1:35
	v_pk_add_f32 v[146:147], v[146:147], v[10:11] neg_lo:[0,1] neg_hi:[0,1]
	v_pk_add_f32 v[142:143], v[142:143], v[8:9] neg_lo:[0,1] neg_hi:[0,1]
	s_wait_dscnt 0x0
	v_pk_mul_f32 v[8:9], v[4:5], v[2:3] op_sel:[0,1]
	s_delay_alu instid0(VALU_DEP_1) | instskip(SKIP_1) | instid1(VALU_DEP_1)
	v_pk_fma_f32 v[10:11], v[4:5], v[0:1], v[8:9] op_sel:[0,0,1] op_sel_hi:[1,1,0] neg_lo:[0,0,1] neg_hi:[0,0,1]
	v_pk_fma_f32 v[4:5], v[4:5], v[0:1], v[8:9] op_sel:[0,0,1] op_sel_hi:[1,0,0]
	v_mov_b32_e32 v11, v5
	v_pk_mul_f32 v[4:5], v[6:7], v[2:3] op_sel:[0,1]
	s_delay_alu instid0(VALU_DEP_1) | instskip(SKIP_1) | instid1(VALU_DEP_1)
	v_pk_fma_f32 v[8:9], v[6:7], v[0:1], v[4:5] op_sel:[0,0,1] op_sel_hi:[1,1,0] neg_lo:[0,0,1] neg_hi:[0,0,1]
	v_pk_fma_f32 v[4:5], v[6:7], v[0:1], v[4:5] op_sel:[0,0,1] op_sel_hi:[1,0,0]
	v_mov_b32_e32 v9, v5
	ds_load_2addr_b64 v[4:7], v134 offset0:36 offset1:37
	v_pk_add_f32 v[144:145], v[144:145], v[10:11] neg_lo:[0,1] neg_hi:[0,1]
	v_pk_add_f32 v[140:141], v[140:141], v[8:9] neg_lo:[0,1] neg_hi:[0,1]
	s_wait_dscnt 0x0
	v_dual_mul_f32 v8, v5, v3 :: v_dual_mul_f32 v10, v5, v0
	s_delay_alu instid0(VALU_DEP_1) | instskip(NEXT) | instid1(VALU_DEP_2)
	v_pk_fma_f32 v[8:9], v[4:5], v[76:77], v[8:9] op_sel_hi:[1,1,0] neg_lo:[0,0,1] neg_hi:[0,0,1]
	v_pk_fma_f32 v[4:5], v[4:5], v[76:77], v[10:11] op_sel:[1,0,0] op_sel_hi:[0,1,0]
	s_delay_alu instid0(VALU_DEP_1) | instskip(SKIP_1) | instid1(VALU_DEP_2)
	v_mov_b32_e32 v9, v5
	v_pk_mul_f32 v[4:5], v[6:7], v[2:3] op_sel:[0,1]
	v_pk_add_f32 v[162:163], v[162:163], v[8:9] neg_lo:[0,1] neg_hi:[0,1]
	s_delay_alu instid0(VALU_DEP_2) | instskip(SKIP_1) | instid1(VALU_DEP_1)
	v_pk_fma_f32 v[8:9], v[6:7], v[0:1], v[4:5] op_sel:[0,0,1] op_sel_hi:[1,1,0] neg_lo:[0,0,1] neg_hi:[0,0,1]
	v_pk_fma_f32 v[4:5], v[6:7], v[0:1], v[4:5] op_sel:[0,0,1] op_sel_hi:[1,0,0]
	v_mov_b32_e32 v9, v5
	ds_load_2addr_b64 v[4:7], v134 offset0:38 offset1:39
	v_pk_add_f32 v[158:159], v[158:159], v[8:9] neg_lo:[0,1] neg_hi:[0,1]
	s_wait_dscnt 0x0
	v_pk_mul_f32 v[8:9], v[4:5], v[2:3] op_sel:[0,1]
	s_delay_alu instid0(VALU_DEP_1) | instskip(SKIP_1) | instid1(VALU_DEP_1)
	v_pk_fma_f32 v[10:11], v[4:5], v[0:1], v[8:9] op_sel:[0,0,1] op_sel_hi:[1,1,0] neg_lo:[0,0,1] neg_hi:[0,0,1]
	v_pk_fma_f32 v[4:5], v[4:5], v[0:1], v[8:9] op_sel:[0,0,1] op_sel_hi:[1,0,0]
	v_mov_b32_e32 v11, v5
	v_pk_mul_f32 v[4:5], v[6:7], v[2:3] op_sel:[0,1]
	s_delay_alu instid0(VALU_DEP_2) | instskip(NEXT) | instid1(VALU_DEP_2)
	v_pk_add_f32 v[160:161], v[160:161], v[10:11] neg_lo:[0,1] neg_hi:[0,1]
	v_pk_fma_f32 v[8:9], v[6:7], v[0:1], v[4:5] op_sel:[0,0,1] op_sel_hi:[1,1,0] neg_lo:[0,0,1] neg_hi:[0,0,1]
	v_pk_fma_f32 v[4:5], v[6:7], v[0:1], v[4:5] op_sel:[0,0,1] op_sel_hi:[1,0,0]
	s_delay_alu instid0(VALU_DEP_1) | instskip(SKIP_4) | instid1(VALU_DEP_1)
	v_mov_b32_e32 v9, v5
	ds_load_2addr_b64 v[4:7], v134 offset0:40 offset1:41
	v_pk_add_f32 v[156:157], v[156:157], v[8:9] neg_lo:[0,1] neg_hi:[0,1]
	s_wait_dscnt 0x0
	v_pk_mul_f32 v[8:9], v[4:5], v[2:3] op_sel:[0,1]
	v_pk_fma_f32 v[10:11], v[4:5], v[0:1], v[8:9] op_sel:[0,0,1] op_sel_hi:[1,1,0] neg_lo:[0,0,1] neg_hi:[0,0,1]
	v_pk_fma_f32 v[4:5], v[4:5], v[0:1], v[8:9] op_sel:[0,0,1] op_sel_hi:[1,0,0]
	v_dual_mul_f32 v8, v7, v3 :: v_dual_mov_b32 v4, v7
	s_delay_alu instid0(VALU_DEP_2) | instskip(NEXT) | instid1(VALU_DEP_2)
	v_dual_mov_b32 v11, v5 :: v_dual_mov_b32 v5, v6
	v_pk_fma_f32 v[8:9], v[6:7], v[76:77], v[8:9] op_sel_hi:[1,1,0] neg_lo:[0,0,1] neg_hi:[0,0,1]
	v_mul_f32_e32 v6, v7, v0
	s_delay_alu instid0(VALU_DEP_3) | instskip(NEXT) | instid1(VALU_DEP_2)
	v_pk_add_f32 v[184:185], v[184:185], v[10:11] neg_lo:[0,1] neg_hi:[0,1]
	v_pk_fma_f32 v[4:5], v[4:5], v[76:77], v[6:7] op_sel_hi:[1,1,0]
	s_delay_alu instid0(VALU_DEP_1) | instskip(SKIP_4) | instid1(VALU_DEP_1)
	v_mov_b32_e32 v9, v5
	ds_load_2addr_b64 v[4:7], v134 offset0:42 offset1:43
	v_pk_add_f32 v[180:181], v[180:181], v[8:9] neg_lo:[0,1] neg_hi:[0,1]
	s_wait_dscnt 0x0
	v_pk_mul_f32 v[8:9], v[4:5], v[2:3] op_sel:[0,1]
	v_pk_fma_f32 v[10:11], v[4:5], v[0:1], v[8:9] op_sel:[0,0,1] op_sel_hi:[1,1,0] neg_lo:[0,0,1] neg_hi:[0,0,1]
	v_pk_fma_f32 v[4:5], v[4:5], v[0:1], v[8:9] op_sel:[0,0,1] op_sel_hi:[1,0,0]
	s_delay_alu instid0(VALU_DEP_1) | instskip(SKIP_1) | instid1(VALU_DEP_1)
	v_mov_b32_e32 v11, v5
	v_pk_mul_f32 v[4:5], v[6:7], v[2:3] op_sel:[0,1]
	v_pk_fma_f32 v[8:9], v[6:7], v[0:1], v[4:5] op_sel:[0,0,1] op_sel_hi:[1,1,0] neg_lo:[0,0,1] neg_hi:[0,0,1]
	v_pk_fma_f32 v[4:5], v[6:7], v[0:1], v[4:5] op_sel:[0,0,1] op_sel_hi:[1,0,0]
	s_delay_alu instid0(VALU_DEP_1)
	v_mov_b32_e32 v9, v5
	ds_load_2addr_b64 v[4:7], v134 offset0:44 offset1:45
	v_pk_add_f32 v[182:183], v[182:183], v[10:11] neg_lo:[0,1] neg_hi:[0,1]
	v_pk_add_f32 v[178:179], v[178:179], v[8:9] neg_lo:[0,1] neg_hi:[0,1]
	s_wait_dscnt 0x0
	v_pk_mul_f32 v[8:9], v[4:5], v[2:3] op_sel:[0,1]
	s_delay_alu instid0(VALU_DEP_1) | instskip(SKIP_1) | instid1(VALU_DEP_1)
	v_pk_fma_f32 v[10:11], v[4:5], v[0:1], v[8:9] op_sel:[0,0,1] op_sel_hi:[1,1,0] neg_lo:[0,0,1] neg_hi:[0,0,1]
	v_pk_fma_f32 v[4:5], v[4:5], v[0:1], v[8:9] op_sel:[0,0,1] op_sel_hi:[1,0,0]
	v_mov_b32_e32 v11, v5
	v_pk_mul_f32 v[4:5], v[6:7], v[2:3] op_sel:[0,1]
	s_delay_alu instid0(VALU_DEP_1) | instskip(SKIP_1) | instid1(VALU_DEP_1)
	v_pk_fma_f32 v[8:9], v[6:7], v[0:1], v[4:5] op_sel:[0,0,1] op_sel_hi:[1,1,0] neg_lo:[0,0,1] neg_hi:[0,0,1]
	v_pk_fma_f32 v[4:5], v[6:7], v[0:1], v[4:5] op_sel:[0,0,1] op_sel_hi:[1,0,0]
	v_mov_b32_e32 v9, v5
	ds_load_2addr_b64 v[4:7], v134 offset0:46 offset1:47
	v_pk_add_f32 v[208:209], v[208:209], v[10:11] neg_lo:[0,1] neg_hi:[0,1]
	v_pk_add_f32 v[200:201], v[200:201], v[8:9] neg_lo:[0,1] neg_hi:[0,1]
	s_wait_dscnt 0x0
	v_dual_mul_f32 v8, v5, v3 :: v_dual_mul_f32 v10, v5, v0
	s_delay_alu instid0(VALU_DEP_1) | instskip(NEXT) | instid1(VALU_DEP_2)
	v_pk_fma_f32 v[8:9], v[4:5], v[76:77], v[8:9] op_sel_hi:[1,1,0] neg_lo:[0,0,1] neg_hi:[0,0,1]
	v_pk_fma_f32 v[4:5], v[4:5], v[76:77], v[10:11] op_sel:[1,0,0] op_sel_hi:[0,1,0]
	s_delay_alu instid0(VALU_DEP_1) | instskip(SKIP_1) | instid1(VALU_DEP_2)
	v_mov_b32_e32 v9, v5
	v_pk_mul_f32 v[4:5], v[6:7], v[2:3] op_sel:[0,1]
	v_pk_add_f32 v[206:207], v[206:207], v[8:9] neg_lo:[0,1] neg_hi:[0,1]
	s_delay_alu instid0(VALU_DEP_2) | instskip(SKIP_1) | instid1(VALU_DEP_1)
	v_pk_fma_f32 v[8:9], v[6:7], v[0:1], v[4:5] op_sel:[0,0,1] op_sel_hi:[1,1,0] neg_lo:[0,0,1] neg_hi:[0,0,1]
	v_pk_fma_f32 v[4:5], v[6:7], v[0:1], v[4:5] op_sel:[0,0,1] op_sel_hi:[1,0,0]
	v_mov_b32_e32 v9, v5
	ds_load_2addr_b64 v[4:7], v134 offset0:48 offset1:49
	v_pk_add_f32 v[198:199], v[198:199], v[8:9] neg_lo:[0,1] neg_hi:[0,1]
	s_wait_dscnt 0x0
	v_pk_mul_f32 v[8:9], v[4:5], v[2:3] op_sel:[0,1]
	s_delay_alu instid0(VALU_DEP_1) | instskip(SKIP_1) | instid1(VALU_DEP_1)
	v_pk_fma_f32 v[10:11], v[4:5], v[0:1], v[8:9] op_sel:[0,0,1] op_sel_hi:[1,1,0] neg_lo:[0,0,1] neg_hi:[0,0,1]
	v_pk_fma_f32 v[4:5], v[4:5], v[0:1], v[8:9] op_sel:[0,0,1] op_sel_hi:[1,0,0]
	v_mov_b32_e32 v11, v5
	v_pk_mul_f32 v[4:5], v[6:7], v[2:3] op_sel:[0,1]
	s_delay_alu instid0(VALU_DEP_2) | instskip(NEXT) | instid1(VALU_DEP_2)
	v_pk_add_f32 v[204:205], v[204:205], v[10:11] neg_lo:[0,1] neg_hi:[0,1]
	v_pk_fma_f32 v[8:9], v[6:7], v[0:1], v[4:5] op_sel:[0,0,1] op_sel_hi:[1,1,0] neg_lo:[0,0,1] neg_hi:[0,0,1]
	v_pk_fma_f32 v[4:5], v[6:7], v[0:1], v[4:5] op_sel:[0,0,1] op_sel_hi:[1,0,0]
	s_delay_alu instid0(VALU_DEP_1) | instskip(SKIP_4) | instid1(VALU_DEP_1)
	v_mov_b32_e32 v9, v5
	ds_load_2addr_b64 v[4:7], v134 offset0:50 offset1:51
	v_pk_add_f32 v[196:197], v[196:197], v[8:9] neg_lo:[0,1] neg_hi:[0,1]
	s_wait_dscnt 0x0
	v_pk_mul_f32 v[8:9], v[4:5], v[2:3] op_sel:[0,1]
	v_pk_fma_f32 v[10:11], v[4:5], v[0:1], v[8:9] op_sel:[0,0,1] op_sel_hi:[1,1,0] neg_lo:[0,0,1] neg_hi:[0,0,1]
	v_pk_fma_f32 v[4:5], v[4:5], v[0:1], v[8:9] op_sel:[0,0,1] op_sel_hi:[1,0,0]
	v_dual_mul_f32 v8, v7, v3 :: v_dual_mov_b32 v4, v7
	s_delay_alu instid0(VALU_DEP_2) | instskip(NEXT) | instid1(VALU_DEP_2)
	v_dual_mov_b32 v11, v5 :: v_dual_mov_b32 v5, v6
	v_pk_fma_f32 v[8:9], v[6:7], v[76:77], v[8:9] op_sel_hi:[1,1,0] neg_lo:[0,0,1] neg_hi:[0,0,1]
	v_mul_f32_e32 v6, v7, v0
	s_delay_alu instid0(VALU_DEP_3) | instskip(NEXT) | instid1(VALU_DEP_2)
	v_pk_add_f32 v[202:203], v[202:203], v[10:11] neg_lo:[0,1] neg_hi:[0,1]
	v_pk_fma_f32 v[4:5], v[4:5], v[76:77], v[6:7] op_sel_hi:[1,1,0]
	s_delay_alu instid0(VALU_DEP_1) | instskip(SKIP_4) | instid1(VALU_DEP_1)
	v_mov_b32_e32 v9, v5
	ds_load_b64 v[4:5], v134 offset:416
	v_pk_add_f32 v[210:211], v[210:211], v[8:9] neg_lo:[0,1] neg_hi:[0,1]
	s_wait_dscnt 0x0
	v_pk_mul_f32 v[2:3], v[4:5], v[2:3] op_sel:[0,1]
	v_pk_fma_f32 v[6:7], v[4:5], v[0:1], v[2:3] op_sel:[0,0,1] op_sel_hi:[1,1,0] neg_lo:[0,0,1] neg_hi:[0,0,1]
	v_pk_fma_f32 v[0:1], v[4:5], v[0:1], v[2:3] op_sel:[0,0,1] op_sel_hi:[1,0,0]
	s_delay_alu instid0(VALU_DEP_1) | instskip(NEXT) | instid1(VALU_DEP_1)
	v_mov_b32_e32 v7, v1
	v_pk_add_f32 v[212:213], v[212:213], v[6:7] neg_lo:[0,1] neg_hi:[0,1]
.LBB105_163:
	s_wait_xcnt 0x0
	s_or_b32 exec_lo, exec_lo, s1
	s_delay_alu instid0(SALU_CYCLE_1)
	s_mov_b32 s2, exec_lo
	s_wait_storecnt 0x0
	s_barrier_signal -1
	s_barrier_wait -1
	v_cmpx_eq_u32_e32 18, v132
	s_cbranch_execz .LBB105_170
; %bb.164:
	ds_store_b64 v133, v[78:79]
	ds_store_2addr_b64 v134, v[74:75], v[96:97] offset0:19 offset1:20
	ds_store_2addr_b64 v134, v[92:93], v[94:95] offset0:21 offset1:22
	;; [unrolled: 1-line block ×17, first 2 shown]
	ds_load_b64 v[0:1], v133
	s_wait_dscnt 0x0
	v_cmp_neq_f32_e32 vcc_lo, 0, v0
	v_cmp_neq_f32_e64 s1, 0, v1
	s_or_b32 s1, vcc_lo, s1
	s_delay_alu instid0(SALU_CYCLE_1)
	s_and_b32 exec_lo, exec_lo, s1
	s_cbranch_execz .LBB105_170
; %bb.165:
	v_cmp_ngt_f32_e64 s1, |v0|, |v1|
                                        ; implicit-def: $vgpr2_vgpr3
	s_and_saveexec_b32 s4, s1
	s_delay_alu instid0(SALU_CYCLE_1)
	s_xor_b32 s1, exec_lo, s4
	s_cbranch_execz .LBB105_167
; %bb.166:
	v_div_scale_f32 v2, null, v1, v1, v0
	v_div_scale_f32 v5, vcc_lo, v0, v1, v0
	s_delay_alu instid0(VALU_DEP_2) | instskip(SKIP_1) | instid1(TRANS32_DEP_1)
	v_rcp_f32_e32 v3, v2
	v_nop
	v_fma_f32 v4, -v2, v3, 1.0
	s_delay_alu instid0(VALU_DEP_1) | instskip(NEXT) | instid1(VALU_DEP_1)
	v_fmac_f32_e32 v3, v4, v3
	v_mul_f32_e32 v4, v5, v3
	s_delay_alu instid0(VALU_DEP_1) | instskip(NEXT) | instid1(VALU_DEP_1)
	v_fma_f32 v6, -v2, v4, v5
	v_fmac_f32_e32 v4, v6, v3
	s_delay_alu instid0(VALU_DEP_1) | instskip(NEXT) | instid1(VALU_DEP_1)
	v_fma_f32 v2, -v2, v4, v5
	v_div_fmas_f32 v2, v2, v3, v4
	s_delay_alu instid0(VALU_DEP_1) | instskip(NEXT) | instid1(VALU_DEP_1)
	v_div_fixup_f32 v2, v2, v1, v0
	v_fmac_f32_e32 v1, v0, v2
	s_delay_alu instid0(VALU_DEP_1) | instskip(SKIP_1) | instid1(VALU_DEP_2)
	v_div_scale_f32 v0, null, v1, v1, 1.0
	v_div_scale_f32 v5, vcc_lo, 1.0, v1, 1.0
	v_rcp_f32_e32 v3, v0
	v_nop
	s_delay_alu instid0(TRANS32_DEP_1) | instskip(NEXT) | instid1(VALU_DEP_1)
	v_fma_f32 v4, -v0, v3, 1.0
	v_fmac_f32_e32 v3, v4, v3
	s_delay_alu instid0(VALU_DEP_1) | instskip(NEXT) | instid1(VALU_DEP_1)
	v_mul_f32_e32 v4, v5, v3
	v_fma_f32 v6, -v0, v4, v5
	s_delay_alu instid0(VALU_DEP_1) | instskip(NEXT) | instid1(VALU_DEP_1)
	v_fmac_f32_e32 v4, v6, v3
	v_fma_f32 v0, -v0, v4, v5
	s_delay_alu instid0(VALU_DEP_1) | instskip(NEXT) | instid1(VALU_DEP_1)
	v_div_fmas_f32 v0, v0, v3, v4
	v_div_fixup_f32 v0, v0, v1, 1.0
	s_delay_alu instid0(VALU_DEP_1)
	v_mul_f32_e32 v2, v2, v0
	v_xor_b32_e32 v3, 0x80000000, v0
                                        ; implicit-def: $vgpr0_vgpr1
.LBB105_167:
	s_and_not1_saveexec_b32 s1, s1
	s_cbranch_execz .LBB105_169
; %bb.168:
	v_div_scale_f32 v2, null, v0, v0, v1
	v_div_scale_f32 v5, vcc_lo, v1, v0, v1
	s_delay_alu instid0(VALU_DEP_2) | instskip(SKIP_1) | instid1(TRANS32_DEP_1)
	v_rcp_f32_e32 v3, v2
	v_nop
	v_fma_f32 v4, -v2, v3, 1.0
	s_delay_alu instid0(VALU_DEP_1) | instskip(NEXT) | instid1(VALU_DEP_1)
	v_fmac_f32_e32 v3, v4, v3
	v_mul_f32_e32 v4, v5, v3
	s_delay_alu instid0(VALU_DEP_1) | instskip(NEXT) | instid1(VALU_DEP_1)
	v_fma_f32 v6, -v2, v4, v5
	v_fmac_f32_e32 v4, v6, v3
	s_delay_alu instid0(VALU_DEP_1) | instskip(NEXT) | instid1(VALU_DEP_1)
	v_fma_f32 v2, -v2, v4, v5
	v_div_fmas_f32 v2, v2, v3, v4
	s_delay_alu instid0(VALU_DEP_1) | instskip(NEXT) | instid1(VALU_DEP_1)
	v_div_fixup_f32 v3, v2, v0, v1
	v_fmac_f32_e32 v0, v1, v3
	s_delay_alu instid0(VALU_DEP_1) | instskip(NEXT) | instid1(VALU_DEP_1)
	v_div_scale_f32 v1, null, v0, v0, 1.0
	v_rcp_f32_e32 v2, v1
	v_nop
	s_delay_alu instid0(TRANS32_DEP_1) | instskip(NEXT) | instid1(VALU_DEP_1)
	v_fma_f32 v4, -v1, v2, 1.0
	v_fmac_f32_e32 v2, v4, v2
	v_div_scale_f32 v4, vcc_lo, 1.0, v0, 1.0
	s_delay_alu instid0(VALU_DEP_1) | instskip(NEXT) | instid1(VALU_DEP_1)
	v_mul_f32_e32 v5, v4, v2
	v_fma_f32 v6, -v1, v5, v4
	s_delay_alu instid0(VALU_DEP_1) | instskip(NEXT) | instid1(VALU_DEP_1)
	v_fmac_f32_e32 v5, v6, v2
	v_fma_f32 v1, -v1, v5, v4
	s_delay_alu instid0(VALU_DEP_1) | instskip(NEXT) | instid1(VALU_DEP_1)
	v_div_fmas_f32 v1, v1, v2, v5
	v_div_fixup_f32 v2, v1, v0, 1.0
	s_delay_alu instid0(VALU_DEP_1)
	v_mul_f32_e64 v3, v3, -v2
.LBB105_169:
	s_or_b32 exec_lo, exec_lo, s1
	ds_store_b64 v133, v[2:3]
.LBB105_170:
	s_or_b32 exec_lo, exec_lo, s2
	s_wait_dscnt 0x0
	s_barrier_signal -1
	s_barrier_wait -1
	ds_load_b64 v[0:1], v133
	s_mov_b32 s1, exec_lo
	s_wait_dscnt 0x0
	scratch_store_b64 off, v[0:1], off offset:272 ; 8-byte Folded Spill
	s_wait_xcnt 0x0
	v_cmpx_lt_u32_e32 18, v132
	s_cbranch_execz .LBB105_172
; %bb.171:
	scratch_load_b64 v[4:5], off, off offset:272 ; 8-byte Folded Reload
	s_wait_loadcnt 0x0
	v_pk_mul_f32 v[2:3], v[4:5], v[78:79] op_sel:[1,1] op_sel_hi:[0,1]
	s_delay_alu instid0(VALU_DEP_1)
	v_pk_fma_f32 v[0:1], v[4:5], v[78:79], v[2:3] op_sel_hi:[1,0,1] neg_lo:[0,0,1] neg_hi:[0,0,1]
	v_pk_fma_f32 v[2:3], v[4:5], v[78:79], v[2:3] op_sel_hi:[1,0,1]
	ds_load_2addr_b64 v[4:7], v134 offset0:19 offset1:20
	v_dual_mov_b32 v78, v0 :: v_dual_mov_b32 v79, v3
	s_wait_dscnt 0x0
	v_pk_mul_f32 v[8:9], v[4:5], v[2:3] op_sel:[0,1]
	s_delay_alu instid0(VALU_DEP_1) | instskip(SKIP_1) | instid1(VALU_DEP_1)
	v_pk_fma_f32 v[10:11], v[4:5], v[0:1], v[8:9] op_sel:[0,0,1] op_sel_hi:[1,1,0] neg_lo:[0,0,1] neg_hi:[0,0,1]
	v_pk_fma_f32 v[4:5], v[4:5], v[0:1], v[8:9] op_sel:[0,0,1] op_sel_hi:[1,0,0]
	v_mov_b32_e32 v11, v5
	v_pk_mul_f32 v[4:5], v[6:7], v[2:3] op_sel:[0,1]
	s_delay_alu instid0(VALU_DEP_1) | instskip(SKIP_1) | instid1(VALU_DEP_1)
	v_pk_fma_f32 v[8:9], v[6:7], v[0:1], v[4:5] op_sel:[0,0,1] op_sel_hi:[1,1,0] neg_lo:[0,0,1] neg_hi:[0,0,1]
	v_pk_fma_f32 v[4:5], v[6:7], v[0:1], v[4:5] op_sel:[0,0,1] op_sel_hi:[1,0,0]
	v_mov_b32_e32 v9, v5
	ds_load_2addr_b64 v[4:7], v134 offset0:21 offset1:22
	v_pk_add_f32 v[74:75], v[74:75], v[10:11] neg_lo:[0,1] neg_hi:[0,1]
	v_pk_add_f32 v[96:97], v[96:97], v[8:9] neg_lo:[0,1] neg_hi:[0,1]
	s_wait_dscnt 0x0
	v_pk_mul_f32 v[8:9], v[4:5], v[2:3] op_sel:[0,1]
	s_delay_alu instid0(VALU_DEP_1) | instskip(SKIP_2) | instid1(VALU_DEP_2)
	v_pk_fma_f32 v[10:11], v[4:5], v[0:1], v[8:9] op_sel:[0,0,1] op_sel_hi:[1,1,0] neg_lo:[0,0,1] neg_hi:[0,0,1]
	v_pk_fma_f32 v[4:5], v[4:5], v[0:1], v[8:9] op_sel:[0,0,1] op_sel_hi:[1,0,0]
	v_dual_mul_f32 v8, v7, v3 :: v_dual_mov_b32 v4, v7
	v_dual_mov_b32 v11, v5 :: v_dual_mov_b32 v5, v6
	s_delay_alu instid0(VALU_DEP_2) | instskip(SKIP_1) | instid1(VALU_DEP_3)
	v_pk_fma_f32 v[8:9], v[6:7], v[78:79], v[8:9] op_sel_hi:[1,1,0] neg_lo:[0,0,1] neg_hi:[0,0,1]
	v_mul_f32_e32 v6, v7, v0
	v_pk_add_f32 v[92:93], v[92:93], v[10:11] neg_lo:[0,1] neg_hi:[0,1]
	s_delay_alu instid0(VALU_DEP_2) | instskip(NEXT) | instid1(VALU_DEP_1)
	v_pk_fma_f32 v[4:5], v[4:5], v[78:79], v[6:7] op_sel_hi:[1,1,0]
	v_mov_b32_e32 v9, v5
	ds_load_2addr_b64 v[4:7], v134 offset0:23 offset1:24
	v_pk_add_f32 v[94:95], v[94:95], v[8:9] neg_lo:[0,1] neg_hi:[0,1]
	s_wait_dscnt 0x0
	v_pk_mul_f32 v[8:9], v[4:5], v[2:3] op_sel:[0,1]
	s_delay_alu instid0(VALU_DEP_1) | instskip(SKIP_1) | instid1(VALU_DEP_1)
	v_pk_fma_f32 v[10:11], v[4:5], v[0:1], v[8:9] op_sel:[0,0,1] op_sel_hi:[1,1,0] neg_lo:[0,0,1] neg_hi:[0,0,1]
	v_pk_fma_f32 v[4:5], v[4:5], v[0:1], v[8:9] op_sel:[0,0,1] op_sel_hi:[1,0,0]
	v_mov_b32_e32 v11, v5
	v_pk_mul_f32 v[4:5], v[6:7], v[2:3] op_sel:[0,1]
	s_delay_alu instid0(VALU_DEP_1) | instskip(SKIP_1) | instid1(VALU_DEP_1)
	v_pk_fma_f32 v[8:9], v[6:7], v[0:1], v[4:5] op_sel:[0,0,1] op_sel_hi:[1,1,0] neg_lo:[0,0,1] neg_hi:[0,0,1]
	v_pk_fma_f32 v[4:5], v[6:7], v[0:1], v[4:5] op_sel:[0,0,1] op_sel_hi:[1,0,0]
	v_mov_b32_e32 v9, v5
	ds_load_2addr_b64 v[4:7], v134 offset0:25 offset1:26
	v_pk_add_f32 v[90:91], v[90:91], v[10:11] neg_lo:[0,1] neg_hi:[0,1]
	v_pk_add_f32 v[112:113], v[112:113], v[8:9] neg_lo:[0,1] neg_hi:[0,1]
	s_wait_dscnt 0x0
	v_pk_mul_f32 v[8:9], v[4:5], v[2:3] op_sel:[0,1]
	s_delay_alu instid0(VALU_DEP_1) | instskip(SKIP_1) | instid1(VALU_DEP_1)
	v_pk_fma_f32 v[10:11], v[4:5], v[0:1], v[8:9] op_sel:[0,0,1] op_sel_hi:[1,1,0] neg_lo:[0,0,1] neg_hi:[0,0,1]
	v_pk_fma_f32 v[4:5], v[4:5], v[0:1], v[8:9] op_sel:[0,0,1] op_sel_hi:[1,0,0]
	v_mov_b32_e32 v11, v5
	v_pk_mul_f32 v[4:5], v[6:7], v[2:3] op_sel:[0,1]
	s_delay_alu instid0(VALU_DEP_1) | instskip(SKIP_1) | instid1(VALU_DEP_1)
	v_pk_fma_f32 v[8:9], v[6:7], v[0:1], v[4:5] op_sel:[0,0,1] op_sel_hi:[1,1,0] neg_lo:[0,0,1] neg_hi:[0,0,1]
	v_pk_fma_f32 v[4:5], v[6:7], v[0:1], v[4:5] op_sel:[0,0,1] op_sel_hi:[1,0,0]
	v_mov_b32_e32 v9, v5
	ds_load_2addr_b64 v[4:7], v134 offset0:27 offset1:28
	v_pk_add_f32 v[108:109], v[108:109], v[10:11] neg_lo:[0,1] neg_hi:[0,1]
	v_pk_add_f32 v[110:111], v[110:111], v[8:9] neg_lo:[0,1] neg_hi:[0,1]
	s_wait_dscnt 0x0
	v_dual_mul_f32 v8, v5, v3 :: v_dual_mul_f32 v10, v5, v0
	s_delay_alu instid0(VALU_DEP_1) | instskip(NEXT) | instid1(VALU_DEP_2)
	v_pk_fma_f32 v[8:9], v[4:5], v[78:79], v[8:9] op_sel_hi:[1,1,0] neg_lo:[0,0,1] neg_hi:[0,0,1]
	v_pk_fma_f32 v[4:5], v[4:5], v[78:79], v[10:11] op_sel:[1,0,0] op_sel_hi:[0,1,0]
	s_delay_alu instid0(VALU_DEP_1) | instskip(SKIP_1) | instid1(VALU_DEP_2)
	v_mov_b32_e32 v9, v5
	v_pk_mul_f32 v[4:5], v[6:7], v[2:3] op_sel:[0,1]
	v_pk_add_f32 v[106:107], v[106:107], v[8:9] neg_lo:[0,1] neg_hi:[0,1]
	s_delay_alu instid0(VALU_DEP_2) | instskip(SKIP_1) | instid1(VALU_DEP_1)
	v_pk_fma_f32 v[8:9], v[6:7], v[0:1], v[4:5] op_sel:[0,0,1] op_sel_hi:[1,1,0] neg_lo:[0,0,1] neg_hi:[0,0,1]
	v_pk_fma_f32 v[4:5], v[6:7], v[0:1], v[4:5] op_sel:[0,0,1] op_sel_hi:[1,0,0]
	v_mov_b32_e32 v9, v5
	ds_load_2addr_b64 v[4:7], v134 offset0:29 offset1:30
	v_pk_add_f32 v[130:131], v[130:131], v[8:9] neg_lo:[0,1] neg_hi:[0,1]
	s_wait_dscnt 0x0
	v_pk_mul_f32 v[8:9], v[4:5], v[2:3] op_sel:[0,1]
	s_delay_alu instid0(VALU_DEP_1) | instskip(SKIP_1) | instid1(VALU_DEP_1)
	v_pk_fma_f32 v[10:11], v[4:5], v[0:1], v[8:9] op_sel:[0,0,1] op_sel_hi:[1,1,0] neg_lo:[0,0,1] neg_hi:[0,0,1]
	v_pk_fma_f32 v[4:5], v[4:5], v[0:1], v[8:9] op_sel:[0,0,1] op_sel_hi:[1,0,0]
	v_mov_b32_e32 v11, v5
	v_pk_mul_f32 v[4:5], v[6:7], v[2:3] op_sel:[0,1]
	s_delay_alu instid0(VALU_DEP_2) | instskip(NEXT) | instid1(VALU_DEP_2)
	v_pk_add_f32 v[126:127], v[126:127], v[10:11] neg_lo:[0,1] neg_hi:[0,1]
	v_pk_fma_f32 v[8:9], v[6:7], v[0:1], v[4:5] op_sel:[0,0,1] op_sel_hi:[1,1,0] neg_lo:[0,0,1] neg_hi:[0,0,1]
	v_pk_fma_f32 v[4:5], v[6:7], v[0:1], v[4:5] op_sel:[0,0,1] op_sel_hi:[1,0,0]
	s_delay_alu instid0(VALU_DEP_1) | instskip(SKIP_4) | instid1(VALU_DEP_1)
	v_mov_b32_e32 v9, v5
	ds_load_2addr_b64 v[4:7], v134 offset0:31 offset1:32
	v_pk_add_f32 v[128:129], v[128:129], v[8:9] neg_lo:[0,1] neg_hi:[0,1]
	s_wait_dscnt 0x0
	v_pk_mul_f32 v[8:9], v[4:5], v[2:3] op_sel:[0,1]
	v_pk_fma_f32 v[10:11], v[4:5], v[0:1], v[8:9] op_sel:[0,0,1] op_sel_hi:[1,1,0] neg_lo:[0,0,1] neg_hi:[0,0,1]
	v_pk_fma_f32 v[4:5], v[4:5], v[0:1], v[8:9] op_sel:[0,0,1] op_sel_hi:[1,0,0]
	v_dual_mul_f32 v8, v7, v3 :: v_dual_mov_b32 v4, v7
	s_delay_alu instid0(VALU_DEP_2) | instskip(NEXT) | instid1(VALU_DEP_2)
	v_dual_mov_b32 v11, v5 :: v_dual_mov_b32 v5, v6
	v_pk_fma_f32 v[8:9], v[6:7], v[78:79], v[8:9] op_sel_hi:[1,1,0] neg_lo:[0,0,1] neg_hi:[0,0,1]
	v_mul_f32_e32 v6, v7, v0
	s_delay_alu instid0(VALU_DEP_3) | instskip(NEXT) | instid1(VALU_DEP_2)
	v_pk_add_f32 v[124:125], v[124:125], v[10:11] neg_lo:[0,1] neg_hi:[0,1]
	v_pk_fma_f32 v[4:5], v[4:5], v[78:79], v[6:7] op_sel_hi:[1,1,0]
	s_delay_alu instid0(VALU_DEP_1) | instskip(SKIP_4) | instid1(VALU_DEP_1)
	v_mov_b32_e32 v9, v5
	ds_load_2addr_b64 v[4:7], v134 offset0:33 offset1:34
	v_pk_add_f32 v[146:147], v[146:147], v[8:9] neg_lo:[0,1] neg_hi:[0,1]
	s_wait_dscnt 0x0
	v_pk_mul_f32 v[8:9], v[4:5], v[2:3] op_sel:[0,1]
	v_pk_fma_f32 v[10:11], v[4:5], v[0:1], v[8:9] op_sel:[0,0,1] op_sel_hi:[1,1,0] neg_lo:[0,0,1] neg_hi:[0,0,1]
	v_pk_fma_f32 v[4:5], v[4:5], v[0:1], v[8:9] op_sel:[0,0,1] op_sel_hi:[1,0,0]
	s_delay_alu instid0(VALU_DEP_1) | instskip(SKIP_1) | instid1(VALU_DEP_1)
	v_mov_b32_e32 v11, v5
	v_pk_mul_f32 v[4:5], v[6:7], v[2:3] op_sel:[0,1]
	v_pk_fma_f32 v[8:9], v[6:7], v[0:1], v[4:5] op_sel:[0,0,1] op_sel_hi:[1,1,0] neg_lo:[0,0,1] neg_hi:[0,0,1]
	v_pk_fma_f32 v[4:5], v[6:7], v[0:1], v[4:5] op_sel:[0,0,1] op_sel_hi:[1,0,0]
	s_delay_alu instid0(VALU_DEP_1)
	v_mov_b32_e32 v9, v5
	ds_load_2addr_b64 v[4:7], v134 offset0:35 offset1:36
	v_pk_add_f32 v[142:143], v[142:143], v[10:11] neg_lo:[0,1] neg_hi:[0,1]
	v_pk_add_f32 v[144:145], v[144:145], v[8:9] neg_lo:[0,1] neg_hi:[0,1]
	s_wait_dscnt 0x0
	v_pk_mul_f32 v[8:9], v[4:5], v[2:3] op_sel:[0,1]
	s_delay_alu instid0(VALU_DEP_1) | instskip(SKIP_1) | instid1(VALU_DEP_1)
	v_pk_fma_f32 v[10:11], v[4:5], v[0:1], v[8:9] op_sel:[0,0,1] op_sel_hi:[1,1,0] neg_lo:[0,0,1] neg_hi:[0,0,1]
	v_pk_fma_f32 v[4:5], v[4:5], v[0:1], v[8:9] op_sel:[0,0,1] op_sel_hi:[1,0,0]
	v_mov_b32_e32 v11, v5
	v_pk_mul_f32 v[4:5], v[6:7], v[2:3] op_sel:[0,1]
	s_delay_alu instid0(VALU_DEP_1) | instskip(SKIP_1) | instid1(VALU_DEP_1)
	v_pk_fma_f32 v[8:9], v[6:7], v[0:1], v[4:5] op_sel:[0,0,1] op_sel_hi:[1,1,0] neg_lo:[0,0,1] neg_hi:[0,0,1]
	v_pk_fma_f32 v[4:5], v[6:7], v[0:1], v[4:5] op_sel:[0,0,1] op_sel_hi:[1,0,0]
	v_mov_b32_e32 v9, v5
	ds_load_2addr_b64 v[4:7], v134 offset0:37 offset1:38
	v_pk_add_f32 v[140:141], v[140:141], v[10:11] neg_lo:[0,1] neg_hi:[0,1]
	v_pk_add_f32 v[162:163], v[162:163], v[8:9] neg_lo:[0,1] neg_hi:[0,1]
	s_wait_dscnt 0x0
	v_dual_mul_f32 v8, v5, v3 :: v_dual_mul_f32 v10, v5, v0
	s_delay_alu instid0(VALU_DEP_1) | instskip(NEXT) | instid1(VALU_DEP_2)
	v_pk_fma_f32 v[8:9], v[4:5], v[78:79], v[8:9] op_sel_hi:[1,1,0] neg_lo:[0,0,1] neg_hi:[0,0,1]
	v_pk_fma_f32 v[4:5], v[4:5], v[78:79], v[10:11] op_sel:[1,0,0] op_sel_hi:[0,1,0]
	s_delay_alu instid0(VALU_DEP_1) | instskip(SKIP_1) | instid1(VALU_DEP_2)
	v_mov_b32_e32 v9, v5
	v_pk_mul_f32 v[4:5], v[6:7], v[2:3] op_sel:[0,1]
	v_pk_add_f32 v[158:159], v[158:159], v[8:9] neg_lo:[0,1] neg_hi:[0,1]
	s_delay_alu instid0(VALU_DEP_2) | instskip(SKIP_1) | instid1(VALU_DEP_1)
	v_pk_fma_f32 v[8:9], v[6:7], v[0:1], v[4:5] op_sel:[0,0,1] op_sel_hi:[1,1,0] neg_lo:[0,0,1] neg_hi:[0,0,1]
	v_pk_fma_f32 v[4:5], v[6:7], v[0:1], v[4:5] op_sel:[0,0,1] op_sel_hi:[1,0,0]
	v_mov_b32_e32 v9, v5
	ds_load_2addr_b64 v[4:7], v134 offset0:39 offset1:40
	v_pk_add_f32 v[160:161], v[160:161], v[8:9] neg_lo:[0,1] neg_hi:[0,1]
	s_wait_dscnt 0x0
	v_pk_mul_f32 v[8:9], v[4:5], v[2:3] op_sel:[0,1]
	s_delay_alu instid0(VALU_DEP_1) | instskip(SKIP_1) | instid1(VALU_DEP_1)
	v_pk_fma_f32 v[10:11], v[4:5], v[0:1], v[8:9] op_sel:[0,0,1] op_sel_hi:[1,1,0] neg_lo:[0,0,1] neg_hi:[0,0,1]
	v_pk_fma_f32 v[4:5], v[4:5], v[0:1], v[8:9] op_sel:[0,0,1] op_sel_hi:[1,0,0]
	v_mov_b32_e32 v11, v5
	v_pk_mul_f32 v[4:5], v[6:7], v[2:3] op_sel:[0,1]
	s_delay_alu instid0(VALU_DEP_2) | instskip(NEXT) | instid1(VALU_DEP_2)
	v_pk_add_f32 v[156:157], v[156:157], v[10:11] neg_lo:[0,1] neg_hi:[0,1]
	v_pk_fma_f32 v[8:9], v[6:7], v[0:1], v[4:5] op_sel:[0,0,1] op_sel_hi:[1,1,0] neg_lo:[0,0,1] neg_hi:[0,0,1]
	v_pk_fma_f32 v[4:5], v[6:7], v[0:1], v[4:5] op_sel:[0,0,1] op_sel_hi:[1,0,0]
	s_delay_alu instid0(VALU_DEP_1) | instskip(SKIP_4) | instid1(VALU_DEP_1)
	v_mov_b32_e32 v9, v5
	ds_load_2addr_b64 v[4:7], v134 offset0:41 offset1:42
	v_pk_add_f32 v[184:185], v[184:185], v[8:9] neg_lo:[0,1] neg_hi:[0,1]
	s_wait_dscnt 0x0
	v_pk_mul_f32 v[8:9], v[4:5], v[2:3] op_sel:[0,1]
	v_pk_fma_f32 v[10:11], v[4:5], v[0:1], v[8:9] op_sel:[0,0,1] op_sel_hi:[1,1,0] neg_lo:[0,0,1] neg_hi:[0,0,1]
	v_pk_fma_f32 v[4:5], v[4:5], v[0:1], v[8:9] op_sel:[0,0,1] op_sel_hi:[1,0,0]
	v_dual_mul_f32 v8, v7, v3 :: v_dual_mov_b32 v4, v7
	s_delay_alu instid0(VALU_DEP_2) | instskip(NEXT) | instid1(VALU_DEP_2)
	v_dual_mov_b32 v11, v5 :: v_dual_mov_b32 v5, v6
	v_pk_fma_f32 v[8:9], v[6:7], v[78:79], v[8:9] op_sel_hi:[1,1,0] neg_lo:[0,0,1] neg_hi:[0,0,1]
	v_mul_f32_e32 v6, v7, v0
	s_delay_alu instid0(VALU_DEP_3) | instskip(NEXT) | instid1(VALU_DEP_2)
	v_pk_add_f32 v[180:181], v[180:181], v[10:11] neg_lo:[0,1] neg_hi:[0,1]
	v_pk_fma_f32 v[4:5], v[4:5], v[78:79], v[6:7] op_sel_hi:[1,1,0]
	s_delay_alu instid0(VALU_DEP_1) | instskip(SKIP_4) | instid1(VALU_DEP_1)
	v_mov_b32_e32 v9, v5
	ds_load_2addr_b64 v[4:7], v134 offset0:43 offset1:44
	v_pk_add_f32 v[182:183], v[182:183], v[8:9] neg_lo:[0,1] neg_hi:[0,1]
	s_wait_dscnt 0x0
	v_pk_mul_f32 v[8:9], v[4:5], v[2:3] op_sel:[0,1]
	v_pk_fma_f32 v[10:11], v[4:5], v[0:1], v[8:9] op_sel:[0,0,1] op_sel_hi:[1,1,0] neg_lo:[0,0,1] neg_hi:[0,0,1]
	v_pk_fma_f32 v[4:5], v[4:5], v[0:1], v[8:9] op_sel:[0,0,1] op_sel_hi:[1,0,0]
	s_delay_alu instid0(VALU_DEP_1) | instskip(SKIP_1) | instid1(VALU_DEP_1)
	v_mov_b32_e32 v11, v5
	v_pk_mul_f32 v[4:5], v[6:7], v[2:3] op_sel:[0,1]
	v_pk_fma_f32 v[8:9], v[6:7], v[0:1], v[4:5] op_sel:[0,0,1] op_sel_hi:[1,1,0] neg_lo:[0,0,1] neg_hi:[0,0,1]
	v_pk_fma_f32 v[4:5], v[6:7], v[0:1], v[4:5] op_sel:[0,0,1] op_sel_hi:[1,0,0]
	s_delay_alu instid0(VALU_DEP_1)
	v_mov_b32_e32 v9, v5
	ds_load_2addr_b64 v[4:7], v134 offset0:45 offset1:46
	v_pk_add_f32 v[178:179], v[178:179], v[10:11] neg_lo:[0,1] neg_hi:[0,1]
	v_pk_add_f32 v[208:209], v[208:209], v[8:9] neg_lo:[0,1] neg_hi:[0,1]
	s_wait_dscnt 0x0
	v_pk_mul_f32 v[8:9], v[4:5], v[2:3] op_sel:[0,1]
	s_delay_alu instid0(VALU_DEP_1) | instskip(SKIP_1) | instid1(VALU_DEP_1)
	v_pk_fma_f32 v[10:11], v[4:5], v[0:1], v[8:9] op_sel:[0,0,1] op_sel_hi:[1,1,0] neg_lo:[0,0,1] neg_hi:[0,0,1]
	v_pk_fma_f32 v[4:5], v[4:5], v[0:1], v[8:9] op_sel:[0,0,1] op_sel_hi:[1,0,0]
	v_mov_b32_e32 v11, v5
	v_pk_mul_f32 v[4:5], v[6:7], v[2:3] op_sel:[0,1]
	s_delay_alu instid0(VALU_DEP_1) | instskip(SKIP_1) | instid1(VALU_DEP_1)
	v_pk_fma_f32 v[8:9], v[6:7], v[0:1], v[4:5] op_sel:[0,0,1] op_sel_hi:[1,1,0] neg_lo:[0,0,1] neg_hi:[0,0,1]
	v_pk_fma_f32 v[4:5], v[6:7], v[0:1], v[4:5] op_sel:[0,0,1] op_sel_hi:[1,0,0]
	v_mov_b32_e32 v9, v5
	ds_load_2addr_b64 v[4:7], v134 offset0:47 offset1:48
	v_pk_add_f32 v[200:201], v[200:201], v[10:11] neg_lo:[0,1] neg_hi:[0,1]
	v_pk_add_f32 v[206:207], v[206:207], v[8:9] neg_lo:[0,1] neg_hi:[0,1]
	s_wait_dscnt 0x0
	v_dual_mul_f32 v8, v5, v3 :: v_dual_mul_f32 v10, v5, v0
	s_delay_alu instid0(VALU_DEP_1) | instskip(NEXT) | instid1(VALU_DEP_2)
	v_pk_fma_f32 v[8:9], v[4:5], v[78:79], v[8:9] op_sel_hi:[1,1,0] neg_lo:[0,0,1] neg_hi:[0,0,1]
	v_pk_fma_f32 v[4:5], v[4:5], v[78:79], v[10:11] op_sel:[1,0,0] op_sel_hi:[0,1,0]
	s_delay_alu instid0(VALU_DEP_1) | instskip(SKIP_1) | instid1(VALU_DEP_2)
	v_mov_b32_e32 v9, v5
	v_pk_mul_f32 v[4:5], v[6:7], v[2:3] op_sel:[0,1]
	v_pk_add_f32 v[198:199], v[198:199], v[8:9] neg_lo:[0,1] neg_hi:[0,1]
	s_delay_alu instid0(VALU_DEP_2) | instskip(SKIP_1) | instid1(VALU_DEP_1)
	v_pk_fma_f32 v[8:9], v[6:7], v[0:1], v[4:5] op_sel:[0,0,1] op_sel_hi:[1,1,0] neg_lo:[0,0,1] neg_hi:[0,0,1]
	v_pk_fma_f32 v[4:5], v[6:7], v[0:1], v[4:5] op_sel:[0,0,1] op_sel_hi:[1,0,0]
	v_mov_b32_e32 v9, v5
	ds_load_2addr_b64 v[4:7], v134 offset0:49 offset1:50
	v_pk_add_f32 v[204:205], v[204:205], v[8:9] neg_lo:[0,1] neg_hi:[0,1]
	s_wait_dscnt 0x0
	v_pk_mul_f32 v[8:9], v[4:5], v[2:3] op_sel:[0,1]
	s_delay_alu instid0(VALU_DEP_1) | instskip(SKIP_1) | instid1(VALU_DEP_1)
	v_pk_fma_f32 v[10:11], v[4:5], v[0:1], v[8:9] op_sel:[0,0,1] op_sel_hi:[1,1,0] neg_lo:[0,0,1] neg_hi:[0,0,1]
	v_pk_fma_f32 v[4:5], v[4:5], v[0:1], v[8:9] op_sel:[0,0,1] op_sel_hi:[1,0,0]
	v_mov_b32_e32 v11, v5
	v_pk_mul_f32 v[4:5], v[6:7], v[2:3] op_sel:[0,1]
	s_delay_alu instid0(VALU_DEP_2) | instskip(NEXT) | instid1(VALU_DEP_2)
	v_pk_add_f32 v[196:197], v[196:197], v[10:11] neg_lo:[0,1] neg_hi:[0,1]
	v_pk_fma_f32 v[8:9], v[6:7], v[0:1], v[4:5] op_sel:[0,0,1] op_sel_hi:[1,1,0] neg_lo:[0,0,1] neg_hi:[0,0,1]
	v_pk_fma_f32 v[4:5], v[6:7], v[0:1], v[4:5] op_sel:[0,0,1] op_sel_hi:[1,0,0]
	s_delay_alu instid0(VALU_DEP_1)
	v_mov_b32_e32 v9, v5
	ds_load_2addr_b64 v[4:7], v134 offset0:51 offset1:52
	v_pk_add_f32 v[202:203], v[202:203], v[8:9] neg_lo:[0,1] neg_hi:[0,1]
	s_wait_dscnt 0x0
	v_pk_mul_f32 v[8:9], v[4:5], v[2:3] op_sel:[0,1]
	v_pk_mul_f32 v[2:3], v[6:7], v[2:3] op_sel:[0,1]
	s_delay_alu instid0(VALU_DEP_2) | instskip(SKIP_1) | instid1(VALU_DEP_1)
	v_pk_fma_f32 v[10:11], v[4:5], v[0:1], v[8:9] op_sel:[0,0,1] op_sel_hi:[1,1,0] neg_lo:[0,0,1] neg_hi:[0,0,1]
	v_pk_fma_f32 v[4:5], v[4:5], v[0:1], v[8:9] op_sel:[0,0,1] op_sel_hi:[1,0,0]
	v_mov_b32_e32 v11, v5
	s_delay_alu instid0(VALU_DEP_4) | instskip(SKIP_1) | instid1(VALU_DEP_3)
	v_pk_fma_f32 v[4:5], v[6:7], v[0:1], v[2:3] op_sel:[0,0,1] op_sel_hi:[1,1,0] neg_lo:[0,0,1] neg_hi:[0,0,1]
	v_pk_fma_f32 v[0:1], v[6:7], v[0:1], v[2:3] op_sel:[0,0,1] op_sel_hi:[1,0,0]
	v_pk_add_f32 v[210:211], v[210:211], v[10:11] neg_lo:[0,1] neg_hi:[0,1]
	s_delay_alu instid0(VALU_DEP_2) | instskip(NEXT) | instid1(VALU_DEP_1)
	v_mov_b32_e32 v5, v1
	v_pk_add_f32 v[212:213], v[212:213], v[4:5] neg_lo:[0,1] neg_hi:[0,1]
.LBB105_172:
	s_wait_xcnt 0x0
	s_or_b32 exec_lo, exec_lo, s1
	s_delay_alu instid0(SALU_CYCLE_1)
	s_mov_b32 s2, exec_lo
	s_wait_storecnt 0x0
	s_barrier_signal -1
	s_barrier_wait -1
	v_cmpx_eq_u32_e32 19, v132
	s_cbranch_execz .LBB105_179
; %bb.173:
	v_dual_mov_b32 v0, v96 :: v_dual_mov_b32 v1, v97
	v_dual_mov_b32 v2, v92 :: v_dual_mov_b32 v3, v93
	ds_store_b64 v133, v[74:75]
	ds_store_2addr_b64 v134, v[0:1], v[2:3] offset0:20 offset1:21
	v_dual_mov_b32 v0, v94 :: v_dual_mov_b32 v1, v95
	v_dual_mov_b32 v2, v90 :: v_dual_mov_b32 v3, v91
	ds_store_2addr_b64 v134, v[0:1], v[2:3] offset0:22 offset1:23
	v_dual_mov_b32 v0, v112 :: v_dual_mov_b32 v1, v113
	v_dual_mov_b32 v2, v108 :: v_dual_mov_b32 v3, v109
	;; [unrolled: 3-line block ×15, first 2 shown]
	ds_store_2addr_b64 v134, v[0:1], v[2:3] offset0:50 offset1:51
	ds_store_b64 v134, v[212:213] offset:416
	ds_load_b64 v[0:1], v133
	s_wait_dscnt 0x0
	v_cmp_neq_f32_e32 vcc_lo, 0, v0
	v_cmp_neq_f32_e64 s1, 0, v1
	s_or_b32 s1, vcc_lo, s1
	s_delay_alu instid0(SALU_CYCLE_1)
	s_and_b32 exec_lo, exec_lo, s1
	s_cbranch_execz .LBB105_179
; %bb.174:
	v_cmp_ngt_f32_e64 s1, |v0|, |v1|
                                        ; implicit-def: $vgpr2_vgpr3
	s_and_saveexec_b32 s4, s1
	s_delay_alu instid0(SALU_CYCLE_1)
	s_xor_b32 s1, exec_lo, s4
	s_cbranch_execz .LBB105_176
; %bb.175:
	v_div_scale_f32 v2, null, v1, v1, v0
	v_div_scale_f32 v5, vcc_lo, v0, v1, v0
	s_delay_alu instid0(VALU_DEP_2) | instskip(SKIP_1) | instid1(TRANS32_DEP_1)
	v_rcp_f32_e32 v3, v2
	v_nop
	v_fma_f32 v4, -v2, v3, 1.0
	s_delay_alu instid0(VALU_DEP_1) | instskip(NEXT) | instid1(VALU_DEP_1)
	v_fmac_f32_e32 v3, v4, v3
	v_mul_f32_e32 v4, v5, v3
	s_delay_alu instid0(VALU_DEP_1) | instskip(NEXT) | instid1(VALU_DEP_1)
	v_fma_f32 v6, -v2, v4, v5
	v_fmac_f32_e32 v4, v6, v3
	s_delay_alu instid0(VALU_DEP_1) | instskip(NEXT) | instid1(VALU_DEP_1)
	v_fma_f32 v2, -v2, v4, v5
	v_div_fmas_f32 v2, v2, v3, v4
	s_delay_alu instid0(VALU_DEP_1) | instskip(NEXT) | instid1(VALU_DEP_1)
	v_div_fixup_f32 v2, v2, v1, v0
	v_fmac_f32_e32 v1, v0, v2
	s_delay_alu instid0(VALU_DEP_1) | instskip(SKIP_1) | instid1(VALU_DEP_2)
	v_div_scale_f32 v0, null, v1, v1, 1.0
	v_div_scale_f32 v5, vcc_lo, 1.0, v1, 1.0
	v_rcp_f32_e32 v3, v0
	v_nop
	s_delay_alu instid0(TRANS32_DEP_1) | instskip(NEXT) | instid1(VALU_DEP_1)
	v_fma_f32 v4, -v0, v3, 1.0
	v_fmac_f32_e32 v3, v4, v3
	s_delay_alu instid0(VALU_DEP_1) | instskip(NEXT) | instid1(VALU_DEP_1)
	v_mul_f32_e32 v4, v5, v3
	v_fma_f32 v6, -v0, v4, v5
	s_delay_alu instid0(VALU_DEP_1) | instskip(NEXT) | instid1(VALU_DEP_1)
	v_fmac_f32_e32 v4, v6, v3
	v_fma_f32 v0, -v0, v4, v5
	s_delay_alu instid0(VALU_DEP_1) | instskip(NEXT) | instid1(VALU_DEP_1)
	v_div_fmas_f32 v0, v0, v3, v4
	v_div_fixup_f32 v0, v0, v1, 1.0
	s_delay_alu instid0(VALU_DEP_1)
	v_mul_f32_e32 v2, v2, v0
	v_xor_b32_e32 v3, 0x80000000, v0
                                        ; implicit-def: $vgpr0_vgpr1
.LBB105_176:
	s_and_not1_saveexec_b32 s1, s1
	s_cbranch_execz .LBB105_178
; %bb.177:
	v_div_scale_f32 v2, null, v0, v0, v1
	v_div_scale_f32 v5, vcc_lo, v1, v0, v1
	s_delay_alu instid0(VALU_DEP_2) | instskip(SKIP_1) | instid1(TRANS32_DEP_1)
	v_rcp_f32_e32 v3, v2
	v_nop
	v_fma_f32 v4, -v2, v3, 1.0
	s_delay_alu instid0(VALU_DEP_1) | instskip(NEXT) | instid1(VALU_DEP_1)
	v_fmac_f32_e32 v3, v4, v3
	v_mul_f32_e32 v4, v5, v3
	s_delay_alu instid0(VALU_DEP_1) | instskip(NEXT) | instid1(VALU_DEP_1)
	v_fma_f32 v6, -v2, v4, v5
	v_fmac_f32_e32 v4, v6, v3
	s_delay_alu instid0(VALU_DEP_1) | instskip(NEXT) | instid1(VALU_DEP_1)
	v_fma_f32 v2, -v2, v4, v5
	v_div_fmas_f32 v2, v2, v3, v4
	s_delay_alu instid0(VALU_DEP_1) | instskip(NEXT) | instid1(VALU_DEP_1)
	v_div_fixup_f32 v3, v2, v0, v1
	v_fmac_f32_e32 v0, v1, v3
	s_delay_alu instid0(VALU_DEP_1) | instskip(NEXT) | instid1(VALU_DEP_1)
	v_div_scale_f32 v1, null, v0, v0, 1.0
	v_rcp_f32_e32 v2, v1
	v_nop
	s_delay_alu instid0(TRANS32_DEP_1) | instskip(NEXT) | instid1(VALU_DEP_1)
	v_fma_f32 v4, -v1, v2, 1.0
	v_fmac_f32_e32 v2, v4, v2
	v_div_scale_f32 v4, vcc_lo, 1.0, v0, 1.0
	s_delay_alu instid0(VALU_DEP_1) | instskip(NEXT) | instid1(VALU_DEP_1)
	v_mul_f32_e32 v5, v4, v2
	v_fma_f32 v6, -v1, v5, v4
	s_delay_alu instid0(VALU_DEP_1) | instskip(NEXT) | instid1(VALU_DEP_1)
	v_fmac_f32_e32 v5, v6, v2
	v_fma_f32 v1, -v1, v5, v4
	s_delay_alu instid0(VALU_DEP_1) | instskip(NEXT) | instid1(VALU_DEP_1)
	v_div_fmas_f32 v1, v1, v2, v5
	v_div_fixup_f32 v2, v1, v0, 1.0
	s_delay_alu instid0(VALU_DEP_1)
	v_mul_f32_e64 v3, v3, -v2
.LBB105_178:
	s_or_b32 exec_lo, exec_lo, s1
	ds_store_b64 v133, v[2:3]
.LBB105_179:
	s_or_b32 exec_lo, exec_lo, s2
	s_wait_dscnt 0x0
	s_barrier_signal -1
	s_barrier_wait -1
	ds_load_b64 v[0:1], v133
	s_mov_b32 s1, exec_lo
	s_wait_dscnt 0x0
	scratch_store_b64 off, v[0:1], off offset:280 ; 8-byte Folded Spill
	s_wait_xcnt 0x0
	v_cmpx_lt_u32_e32 19, v132
	s_cbranch_execz .LBB105_181
; %bb.180:
	scratch_load_b64 v[4:5], off, off offset:280 ; 8-byte Folded Reload
	s_wait_loadcnt 0x0
	v_pk_mul_f32 v[2:3], v[4:5], v[74:75] op_sel:[1,1] op_sel_hi:[0,1]
	s_delay_alu instid0(VALU_DEP_1)
	v_pk_fma_f32 v[0:1], v[4:5], v[74:75], v[2:3] op_sel_hi:[1,0,1] neg_lo:[0,0,1] neg_hi:[0,0,1]
	v_pk_fma_f32 v[2:3], v[4:5], v[74:75], v[2:3] op_sel_hi:[1,0,1]
	ds_load_2addr_b64 v[4:7], v134 offset0:20 offset1:21
	v_dual_mov_b32 v74, v0 :: v_dual_mov_b32 v75, v3
	s_wait_dscnt 0x0
	v_pk_mul_f32 v[8:9], v[4:5], v[2:3] op_sel:[0,1]
	s_delay_alu instid0(VALU_DEP_1) | instskip(SKIP_1) | instid1(VALU_DEP_1)
	v_pk_fma_f32 v[10:11], v[4:5], v[0:1], v[8:9] op_sel:[0,0,1] op_sel_hi:[1,1,0] neg_lo:[0,0,1] neg_hi:[0,0,1]
	v_pk_fma_f32 v[4:5], v[4:5], v[0:1], v[8:9] op_sel:[0,0,1] op_sel_hi:[1,0,0]
	v_mov_b32_e32 v11, v5
	v_pk_mul_f32 v[4:5], v[6:7], v[2:3] op_sel:[0,1]
	s_delay_alu instid0(VALU_DEP_1) | instskip(SKIP_1) | instid1(VALU_DEP_1)
	v_pk_fma_f32 v[8:9], v[6:7], v[0:1], v[4:5] op_sel:[0,0,1] op_sel_hi:[1,1,0] neg_lo:[0,0,1] neg_hi:[0,0,1]
	v_pk_fma_f32 v[4:5], v[6:7], v[0:1], v[4:5] op_sel:[0,0,1] op_sel_hi:[1,0,0]
	v_mov_b32_e32 v9, v5
	ds_load_2addr_b64 v[4:7], v134 offset0:22 offset1:23
	v_pk_add_f32 v[96:97], v[96:97], v[10:11] neg_lo:[0,1] neg_hi:[0,1]
	v_pk_add_f32 v[92:93], v[92:93], v[8:9] neg_lo:[0,1] neg_hi:[0,1]
	s_wait_dscnt 0x0
	v_pk_mul_f32 v[8:9], v[4:5], v[2:3] op_sel:[0,1]
	s_delay_alu instid0(VALU_DEP_1) | instskip(SKIP_2) | instid1(VALU_DEP_2)
	v_pk_fma_f32 v[10:11], v[4:5], v[0:1], v[8:9] op_sel:[0,0,1] op_sel_hi:[1,1,0] neg_lo:[0,0,1] neg_hi:[0,0,1]
	v_pk_fma_f32 v[4:5], v[4:5], v[0:1], v[8:9] op_sel:[0,0,1] op_sel_hi:[1,0,0]
	v_dual_mul_f32 v8, v7, v3 :: v_dual_mov_b32 v4, v7
	v_dual_mov_b32 v11, v5 :: v_dual_mov_b32 v5, v6
	s_delay_alu instid0(VALU_DEP_2) | instskip(SKIP_1) | instid1(VALU_DEP_3)
	v_pk_fma_f32 v[8:9], v[6:7], v[74:75], v[8:9] op_sel_hi:[1,1,0] neg_lo:[0,0,1] neg_hi:[0,0,1]
	v_mul_f32_e32 v6, v7, v0
	v_pk_add_f32 v[94:95], v[94:95], v[10:11] neg_lo:[0,1] neg_hi:[0,1]
	s_delay_alu instid0(VALU_DEP_2) | instskip(NEXT) | instid1(VALU_DEP_1)
	v_pk_fma_f32 v[4:5], v[4:5], v[74:75], v[6:7] op_sel_hi:[1,1,0]
	v_mov_b32_e32 v9, v5
	ds_load_2addr_b64 v[4:7], v134 offset0:24 offset1:25
	v_pk_add_f32 v[90:91], v[90:91], v[8:9] neg_lo:[0,1] neg_hi:[0,1]
	s_wait_dscnt 0x0
	v_pk_mul_f32 v[8:9], v[4:5], v[2:3] op_sel:[0,1]
	s_delay_alu instid0(VALU_DEP_1) | instskip(SKIP_1) | instid1(VALU_DEP_1)
	v_pk_fma_f32 v[10:11], v[4:5], v[0:1], v[8:9] op_sel:[0,0,1] op_sel_hi:[1,1,0] neg_lo:[0,0,1] neg_hi:[0,0,1]
	v_pk_fma_f32 v[4:5], v[4:5], v[0:1], v[8:9] op_sel:[0,0,1] op_sel_hi:[1,0,0]
	v_mov_b32_e32 v11, v5
	v_pk_mul_f32 v[4:5], v[6:7], v[2:3] op_sel:[0,1]
	s_delay_alu instid0(VALU_DEP_1) | instskip(SKIP_1) | instid1(VALU_DEP_1)
	v_pk_fma_f32 v[8:9], v[6:7], v[0:1], v[4:5] op_sel:[0,0,1] op_sel_hi:[1,1,0] neg_lo:[0,0,1] neg_hi:[0,0,1]
	v_pk_fma_f32 v[4:5], v[6:7], v[0:1], v[4:5] op_sel:[0,0,1] op_sel_hi:[1,0,0]
	v_mov_b32_e32 v9, v5
	ds_load_2addr_b64 v[4:7], v134 offset0:26 offset1:27
	v_pk_add_f32 v[112:113], v[112:113], v[10:11] neg_lo:[0,1] neg_hi:[0,1]
	v_pk_add_f32 v[108:109], v[108:109], v[8:9] neg_lo:[0,1] neg_hi:[0,1]
	s_wait_dscnt 0x0
	v_pk_mul_f32 v[8:9], v[4:5], v[2:3] op_sel:[0,1]
	s_delay_alu instid0(VALU_DEP_1) | instskip(SKIP_1) | instid1(VALU_DEP_1)
	v_pk_fma_f32 v[10:11], v[4:5], v[0:1], v[8:9] op_sel:[0,0,1] op_sel_hi:[1,1,0] neg_lo:[0,0,1] neg_hi:[0,0,1]
	v_pk_fma_f32 v[4:5], v[4:5], v[0:1], v[8:9] op_sel:[0,0,1] op_sel_hi:[1,0,0]
	v_mov_b32_e32 v11, v5
	v_pk_mul_f32 v[4:5], v[6:7], v[2:3] op_sel:[0,1]
	s_delay_alu instid0(VALU_DEP_1) | instskip(SKIP_1) | instid1(VALU_DEP_1)
	v_pk_fma_f32 v[8:9], v[6:7], v[0:1], v[4:5] op_sel:[0,0,1] op_sel_hi:[1,1,0] neg_lo:[0,0,1] neg_hi:[0,0,1]
	v_pk_fma_f32 v[4:5], v[6:7], v[0:1], v[4:5] op_sel:[0,0,1] op_sel_hi:[1,0,0]
	v_mov_b32_e32 v9, v5
	ds_load_2addr_b64 v[4:7], v134 offset0:28 offset1:29
	v_pk_add_f32 v[110:111], v[110:111], v[10:11] neg_lo:[0,1] neg_hi:[0,1]
	v_pk_add_f32 v[106:107], v[106:107], v[8:9] neg_lo:[0,1] neg_hi:[0,1]
	s_wait_dscnt 0x0
	v_dual_mul_f32 v8, v5, v3 :: v_dual_mul_f32 v10, v5, v0
	s_delay_alu instid0(VALU_DEP_1) | instskip(NEXT) | instid1(VALU_DEP_2)
	v_pk_fma_f32 v[8:9], v[4:5], v[74:75], v[8:9] op_sel_hi:[1,1,0] neg_lo:[0,0,1] neg_hi:[0,0,1]
	v_pk_fma_f32 v[4:5], v[4:5], v[74:75], v[10:11] op_sel:[1,0,0] op_sel_hi:[0,1,0]
	s_delay_alu instid0(VALU_DEP_1) | instskip(SKIP_1) | instid1(VALU_DEP_2)
	v_mov_b32_e32 v9, v5
	v_pk_mul_f32 v[4:5], v[6:7], v[2:3] op_sel:[0,1]
	v_pk_add_f32 v[130:131], v[130:131], v[8:9] neg_lo:[0,1] neg_hi:[0,1]
	s_delay_alu instid0(VALU_DEP_2) | instskip(SKIP_1) | instid1(VALU_DEP_1)
	v_pk_fma_f32 v[8:9], v[6:7], v[0:1], v[4:5] op_sel:[0,0,1] op_sel_hi:[1,1,0] neg_lo:[0,0,1] neg_hi:[0,0,1]
	v_pk_fma_f32 v[4:5], v[6:7], v[0:1], v[4:5] op_sel:[0,0,1] op_sel_hi:[1,0,0]
	v_mov_b32_e32 v9, v5
	ds_load_2addr_b64 v[4:7], v134 offset0:30 offset1:31
	v_pk_add_f32 v[126:127], v[126:127], v[8:9] neg_lo:[0,1] neg_hi:[0,1]
	s_wait_dscnt 0x0
	v_pk_mul_f32 v[8:9], v[4:5], v[2:3] op_sel:[0,1]
	s_delay_alu instid0(VALU_DEP_1) | instskip(SKIP_1) | instid1(VALU_DEP_1)
	v_pk_fma_f32 v[10:11], v[4:5], v[0:1], v[8:9] op_sel:[0,0,1] op_sel_hi:[1,1,0] neg_lo:[0,0,1] neg_hi:[0,0,1]
	v_pk_fma_f32 v[4:5], v[4:5], v[0:1], v[8:9] op_sel:[0,0,1] op_sel_hi:[1,0,0]
	v_mov_b32_e32 v11, v5
	v_pk_mul_f32 v[4:5], v[6:7], v[2:3] op_sel:[0,1]
	s_delay_alu instid0(VALU_DEP_2) | instskip(NEXT) | instid1(VALU_DEP_2)
	v_pk_add_f32 v[128:129], v[128:129], v[10:11] neg_lo:[0,1] neg_hi:[0,1]
	v_pk_fma_f32 v[8:9], v[6:7], v[0:1], v[4:5] op_sel:[0,0,1] op_sel_hi:[1,1,0] neg_lo:[0,0,1] neg_hi:[0,0,1]
	v_pk_fma_f32 v[4:5], v[6:7], v[0:1], v[4:5] op_sel:[0,0,1] op_sel_hi:[1,0,0]
	s_delay_alu instid0(VALU_DEP_1) | instskip(SKIP_4) | instid1(VALU_DEP_1)
	v_mov_b32_e32 v9, v5
	ds_load_2addr_b64 v[4:7], v134 offset0:32 offset1:33
	v_pk_add_f32 v[124:125], v[124:125], v[8:9] neg_lo:[0,1] neg_hi:[0,1]
	s_wait_dscnt 0x0
	v_pk_mul_f32 v[8:9], v[4:5], v[2:3] op_sel:[0,1]
	v_pk_fma_f32 v[10:11], v[4:5], v[0:1], v[8:9] op_sel:[0,0,1] op_sel_hi:[1,1,0] neg_lo:[0,0,1] neg_hi:[0,0,1]
	v_pk_fma_f32 v[4:5], v[4:5], v[0:1], v[8:9] op_sel:[0,0,1] op_sel_hi:[1,0,0]
	v_dual_mul_f32 v8, v7, v3 :: v_dual_mov_b32 v4, v7
	s_delay_alu instid0(VALU_DEP_2) | instskip(NEXT) | instid1(VALU_DEP_2)
	v_dual_mov_b32 v11, v5 :: v_dual_mov_b32 v5, v6
	v_pk_fma_f32 v[8:9], v[6:7], v[74:75], v[8:9] op_sel_hi:[1,1,0] neg_lo:[0,0,1] neg_hi:[0,0,1]
	v_mul_f32_e32 v6, v7, v0
	s_delay_alu instid0(VALU_DEP_3) | instskip(NEXT) | instid1(VALU_DEP_2)
	v_pk_add_f32 v[146:147], v[146:147], v[10:11] neg_lo:[0,1] neg_hi:[0,1]
	v_pk_fma_f32 v[4:5], v[4:5], v[74:75], v[6:7] op_sel_hi:[1,1,0]
	s_delay_alu instid0(VALU_DEP_1) | instskip(SKIP_4) | instid1(VALU_DEP_1)
	v_mov_b32_e32 v9, v5
	ds_load_2addr_b64 v[4:7], v134 offset0:34 offset1:35
	v_pk_add_f32 v[142:143], v[142:143], v[8:9] neg_lo:[0,1] neg_hi:[0,1]
	s_wait_dscnt 0x0
	v_pk_mul_f32 v[8:9], v[4:5], v[2:3] op_sel:[0,1]
	v_pk_fma_f32 v[10:11], v[4:5], v[0:1], v[8:9] op_sel:[0,0,1] op_sel_hi:[1,1,0] neg_lo:[0,0,1] neg_hi:[0,0,1]
	v_pk_fma_f32 v[4:5], v[4:5], v[0:1], v[8:9] op_sel:[0,0,1] op_sel_hi:[1,0,0]
	s_delay_alu instid0(VALU_DEP_1) | instskip(SKIP_1) | instid1(VALU_DEP_1)
	v_mov_b32_e32 v11, v5
	v_pk_mul_f32 v[4:5], v[6:7], v[2:3] op_sel:[0,1]
	v_pk_fma_f32 v[8:9], v[6:7], v[0:1], v[4:5] op_sel:[0,0,1] op_sel_hi:[1,1,0] neg_lo:[0,0,1] neg_hi:[0,0,1]
	v_pk_fma_f32 v[4:5], v[6:7], v[0:1], v[4:5] op_sel:[0,0,1] op_sel_hi:[1,0,0]
	s_delay_alu instid0(VALU_DEP_1)
	v_mov_b32_e32 v9, v5
	ds_load_2addr_b64 v[4:7], v134 offset0:36 offset1:37
	v_pk_add_f32 v[144:145], v[144:145], v[10:11] neg_lo:[0,1] neg_hi:[0,1]
	v_pk_add_f32 v[140:141], v[140:141], v[8:9] neg_lo:[0,1] neg_hi:[0,1]
	s_wait_dscnt 0x0
	v_pk_mul_f32 v[8:9], v[4:5], v[2:3] op_sel:[0,1]
	s_delay_alu instid0(VALU_DEP_1) | instskip(SKIP_1) | instid1(VALU_DEP_1)
	v_pk_fma_f32 v[10:11], v[4:5], v[0:1], v[8:9] op_sel:[0,0,1] op_sel_hi:[1,1,0] neg_lo:[0,0,1] neg_hi:[0,0,1]
	v_pk_fma_f32 v[4:5], v[4:5], v[0:1], v[8:9] op_sel:[0,0,1] op_sel_hi:[1,0,0]
	v_mov_b32_e32 v11, v5
	v_pk_mul_f32 v[4:5], v[6:7], v[2:3] op_sel:[0,1]
	s_delay_alu instid0(VALU_DEP_1) | instskip(SKIP_1) | instid1(VALU_DEP_1)
	v_pk_fma_f32 v[8:9], v[6:7], v[0:1], v[4:5] op_sel:[0,0,1] op_sel_hi:[1,1,0] neg_lo:[0,0,1] neg_hi:[0,0,1]
	v_pk_fma_f32 v[4:5], v[6:7], v[0:1], v[4:5] op_sel:[0,0,1] op_sel_hi:[1,0,0]
	v_mov_b32_e32 v9, v5
	ds_load_2addr_b64 v[4:7], v134 offset0:38 offset1:39
	v_pk_add_f32 v[162:163], v[162:163], v[10:11] neg_lo:[0,1] neg_hi:[0,1]
	v_pk_add_f32 v[158:159], v[158:159], v[8:9] neg_lo:[0,1] neg_hi:[0,1]
	s_wait_dscnt 0x0
	v_dual_mul_f32 v8, v5, v3 :: v_dual_mul_f32 v10, v5, v0
	s_delay_alu instid0(VALU_DEP_1) | instskip(NEXT) | instid1(VALU_DEP_2)
	v_pk_fma_f32 v[8:9], v[4:5], v[74:75], v[8:9] op_sel_hi:[1,1,0] neg_lo:[0,0,1] neg_hi:[0,0,1]
	v_pk_fma_f32 v[4:5], v[4:5], v[74:75], v[10:11] op_sel:[1,0,0] op_sel_hi:[0,1,0]
	s_delay_alu instid0(VALU_DEP_1) | instskip(SKIP_1) | instid1(VALU_DEP_2)
	v_mov_b32_e32 v9, v5
	v_pk_mul_f32 v[4:5], v[6:7], v[2:3] op_sel:[0,1]
	v_pk_add_f32 v[160:161], v[160:161], v[8:9] neg_lo:[0,1] neg_hi:[0,1]
	s_delay_alu instid0(VALU_DEP_2) | instskip(SKIP_1) | instid1(VALU_DEP_1)
	v_pk_fma_f32 v[8:9], v[6:7], v[0:1], v[4:5] op_sel:[0,0,1] op_sel_hi:[1,1,0] neg_lo:[0,0,1] neg_hi:[0,0,1]
	v_pk_fma_f32 v[4:5], v[6:7], v[0:1], v[4:5] op_sel:[0,0,1] op_sel_hi:[1,0,0]
	v_mov_b32_e32 v9, v5
	ds_load_2addr_b64 v[4:7], v134 offset0:40 offset1:41
	v_pk_add_f32 v[156:157], v[156:157], v[8:9] neg_lo:[0,1] neg_hi:[0,1]
	s_wait_dscnt 0x0
	v_pk_mul_f32 v[8:9], v[4:5], v[2:3] op_sel:[0,1]
	s_delay_alu instid0(VALU_DEP_1) | instskip(SKIP_1) | instid1(VALU_DEP_1)
	v_pk_fma_f32 v[10:11], v[4:5], v[0:1], v[8:9] op_sel:[0,0,1] op_sel_hi:[1,1,0] neg_lo:[0,0,1] neg_hi:[0,0,1]
	v_pk_fma_f32 v[4:5], v[4:5], v[0:1], v[8:9] op_sel:[0,0,1] op_sel_hi:[1,0,0]
	v_mov_b32_e32 v11, v5
	v_pk_mul_f32 v[4:5], v[6:7], v[2:3] op_sel:[0,1]
	s_delay_alu instid0(VALU_DEP_2) | instskip(NEXT) | instid1(VALU_DEP_2)
	v_pk_add_f32 v[184:185], v[184:185], v[10:11] neg_lo:[0,1] neg_hi:[0,1]
	v_pk_fma_f32 v[8:9], v[6:7], v[0:1], v[4:5] op_sel:[0,0,1] op_sel_hi:[1,1,0] neg_lo:[0,0,1] neg_hi:[0,0,1]
	v_pk_fma_f32 v[4:5], v[6:7], v[0:1], v[4:5] op_sel:[0,0,1] op_sel_hi:[1,0,0]
	s_delay_alu instid0(VALU_DEP_1) | instskip(SKIP_4) | instid1(VALU_DEP_1)
	v_mov_b32_e32 v9, v5
	ds_load_2addr_b64 v[4:7], v134 offset0:42 offset1:43
	v_pk_add_f32 v[180:181], v[180:181], v[8:9] neg_lo:[0,1] neg_hi:[0,1]
	s_wait_dscnt 0x0
	v_pk_mul_f32 v[8:9], v[4:5], v[2:3] op_sel:[0,1]
	v_pk_fma_f32 v[10:11], v[4:5], v[0:1], v[8:9] op_sel:[0,0,1] op_sel_hi:[1,1,0] neg_lo:[0,0,1] neg_hi:[0,0,1]
	v_pk_fma_f32 v[4:5], v[4:5], v[0:1], v[8:9] op_sel:[0,0,1] op_sel_hi:[1,0,0]
	v_dual_mul_f32 v8, v7, v3 :: v_dual_mov_b32 v4, v7
	s_delay_alu instid0(VALU_DEP_2) | instskip(NEXT) | instid1(VALU_DEP_2)
	v_dual_mov_b32 v11, v5 :: v_dual_mov_b32 v5, v6
	v_pk_fma_f32 v[8:9], v[6:7], v[74:75], v[8:9] op_sel_hi:[1,1,0] neg_lo:[0,0,1] neg_hi:[0,0,1]
	v_mul_f32_e32 v6, v7, v0
	s_delay_alu instid0(VALU_DEP_3) | instskip(NEXT) | instid1(VALU_DEP_2)
	v_pk_add_f32 v[182:183], v[182:183], v[10:11] neg_lo:[0,1] neg_hi:[0,1]
	v_pk_fma_f32 v[4:5], v[4:5], v[74:75], v[6:7] op_sel_hi:[1,1,0]
	s_delay_alu instid0(VALU_DEP_1) | instskip(SKIP_4) | instid1(VALU_DEP_1)
	v_mov_b32_e32 v9, v5
	ds_load_2addr_b64 v[4:7], v134 offset0:44 offset1:45
	v_pk_add_f32 v[178:179], v[178:179], v[8:9] neg_lo:[0,1] neg_hi:[0,1]
	s_wait_dscnt 0x0
	v_pk_mul_f32 v[8:9], v[4:5], v[2:3] op_sel:[0,1]
	v_pk_fma_f32 v[10:11], v[4:5], v[0:1], v[8:9] op_sel:[0,0,1] op_sel_hi:[1,1,0] neg_lo:[0,0,1] neg_hi:[0,0,1]
	v_pk_fma_f32 v[4:5], v[4:5], v[0:1], v[8:9] op_sel:[0,0,1] op_sel_hi:[1,0,0]
	s_delay_alu instid0(VALU_DEP_1) | instskip(SKIP_1) | instid1(VALU_DEP_1)
	v_mov_b32_e32 v11, v5
	v_pk_mul_f32 v[4:5], v[6:7], v[2:3] op_sel:[0,1]
	v_pk_fma_f32 v[8:9], v[6:7], v[0:1], v[4:5] op_sel:[0,0,1] op_sel_hi:[1,1,0] neg_lo:[0,0,1] neg_hi:[0,0,1]
	v_pk_fma_f32 v[4:5], v[6:7], v[0:1], v[4:5] op_sel:[0,0,1] op_sel_hi:[1,0,0]
	s_delay_alu instid0(VALU_DEP_1)
	v_mov_b32_e32 v9, v5
	ds_load_2addr_b64 v[4:7], v134 offset0:46 offset1:47
	v_pk_add_f32 v[208:209], v[208:209], v[10:11] neg_lo:[0,1] neg_hi:[0,1]
	v_pk_add_f32 v[200:201], v[200:201], v[8:9] neg_lo:[0,1] neg_hi:[0,1]
	s_wait_dscnt 0x0
	v_pk_mul_f32 v[8:9], v[4:5], v[2:3] op_sel:[0,1]
	s_delay_alu instid0(VALU_DEP_1) | instskip(SKIP_1) | instid1(VALU_DEP_1)
	v_pk_fma_f32 v[10:11], v[4:5], v[0:1], v[8:9] op_sel:[0,0,1] op_sel_hi:[1,1,0] neg_lo:[0,0,1] neg_hi:[0,0,1]
	v_pk_fma_f32 v[4:5], v[4:5], v[0:1], v[8:9] op_sel:[0,0,1] op_sel_hi:[1,0,0]
	v_mov_b32_e32 v11, v5
	v_pk_mul_f32 v[4:5], v[6:7], v[2:3] op_sel:[0,1]
	s_delay_alu instid0(VALU_DEP_1) | instskip(SKIP_1) | instid1(VALU_DEP_1)
	v_pk_fma_f32 v[8:9], v[6:7], v[0:1], v[4:5] op_sel:[0,0,1] op_sel_hi:[1,1,0] neg_lo:[0,0,1] neg_hi:[0,0,1]
	v_pk_fma_f32 v[4:5], v[6:7], v[0:1], v[4:5] op_sel:[0,0,1] op_sel_hi:[1,0,0]
	v_mov_b32_e32 v9, v5
	ds_load_2addr_b64 v[4:7], v134 offset0:48 offset1:49
	v_pk_add_f32 v[206:207], v[206:207], v[10:11] neg_lo:[0,1] neg_hi:[0,1]
	v_pk_add_f32 v[198:199], v[198:199], v[8:9] neg_lo:[0,1] neg_hi:[0,1]
	s_wait_dscnt 0x0
	v_dual_mul_f32 v8, v5, v3 :: v_dual_mul_f32 v10, v5, v0
	s_delay_alu instid0(VALU_DEP_1) | instskip(NEXT) | instid1(VALU_DEP_2)
	v_pk_fma_f32 v[8:9], v[4:5], v[74:75], v[8:9] op_sel_hi:[1,1,0] neg_lo:[0,0,1] neg_hi:[0,0,1]
	v_pk_fma_f32 v[4:5], v[4:5], v[74:75], v[10:11] op_sel:[1,0,0] op_sel_hi:[0,1,0]
	s_delay_alu instid0(VALU_DEP_1) | instskip(SKIP_1) | instid1(VALU_DEP_2)
	v_mov_b32_e32 v9, v5
	v_pk_mul_f32 v[4:5], v[6:7], v[2:3] op_sel:[0,1]
	v_pk_add_f32 v[204:205], v[204:205], v[8:9] neg_lo:[0,1] neg_hi:[0,1]
	s_delay_alu instid0(VALU_DEP_2) | instskip(SKIP_1) | instid1(VALU_DEP_1)
	v_pk_fma_f32 v[8:9], v[6:7], v[0:1], v[4:5] op_sel:[0,0,1] op_sel_hi:[1,1,0] neg_lo:[0,0,1] neg_hi:[0,0,1]
	v_pk_fma_f32 v[4:5], v[6:7], v[0:1], v[4:5] op_sel:[0,0,1] op_sel_hi:[1,0,0]
	v_mov_b32_e32 v9, v5
	ds_load_2addr_b64 v[4:7], v134 offset0:50 offset1:51
	v_pk_add_f32 v[196:197], v[196:197], v[8:9] neg_lo:[0,1] neg_hi:[0,1]
	s_wait_dscnt 0x0
	v_pk_mul_f32 v[8:9], v[4:5], v[2:3] op_sel:[0,1]
	s_delay_alu instid0(VALU_DEP_1) | instskip(SKIP_1) | instid1(VALU_DEP_1)
	v_pk_fma_f32 v[10:11], v[4:5], v[0:1], v[8:9] op_sel:[0,0,1] op_sel_hi:[1,1,0] neg_lo:[0,0,1] neg_hi:[0,0,1]
	v_pk_fma_f32 v[4:5], v[4:5], v[0:1], v[8:9] op_sel:[0,0,1] op_sel_hi:[1,0,0]
	v_mov_b32_e32 v11, v5
	v_pk_mul_f32 v[4:5], v[6:7], v[2:3] op_sel:[0,1]
	s_delay_alu instid0(VALU_DEP_2) | instskip(NEXT) | instid1(VALU_DEP_2)
	v_pk_add_f32 v[202:203], v[202:203], v[10:11] neg_lo:[0,1] neg_hi:[0,1]
	v_pk_fma_f32 v[8:9], v[6:7], v[0:1], v[4:5] op_sel:[0,0,1] op_sel_hi:[1,1,0] neg_lo:[0,0,1] neg_hi:[0,0,1]
	v_pk_fma_f32 v[4:5], v[6:7], v[0:1], v[4:5] op_sel:[0,0,1] op_sel_hi:[1,0,0]
	s_delay_alu instid0(VALU_DEP_1) | instskip(SKIP_4) | instid1(VALU_DEP_1)
	v_mov_b32_e32 v9, v5
	ds_load_b64 v[4:5], v134 offset:416
	v_pk_add_f32 v[210:211], v[210:211], v[8:9] neg_lo:[0,1] neg_hi:[0,1]
	s_wait_dscnt 0x0
	v_pk_mul_f32 v[2:3], v[4:5], v[2:3] op_sel:[0,1]
	v_pk_fma_f32 v[6:7], v[4:5], v[0:1], v[2:3] op_sel:[0,0,1] op_sel_hi:[1,1,0] neg_lo:[0,0,1] neg_hi:[0,0,1]
	v_pk_fma_f32 v[0:1], v[4:5], v[0:1], v[2:3] op_sel:[0,0,1] op_sel_hi:[1,0,0]
	s_delay_alu instid0(VALU_DEP_1) | instskip(NEXT) | instid1(VALU_DEP_1)
	v_mov_b32_e32 v7, v1
	v_pk_add_f32 v[212:213], v[212:213], v[6:7] neg_lo:[0,1] neg_hi:[0,1]
.LBB105_181:
	s_wait_xcnt 0x0
	s_or_b32 exec_lo, exec_lo, s1
	s_delay_alu instid0(SALU_CYCLE_1)
	s_mov_b32 s2, exec_lo
	s_wait_storecnt 0x0
	s_barrier_signal -1
	s_barrier_wait -1
	v_cmpx_eq_u32_e32 20, v132
	s_cbranch_execz .LBB105_188
; %bb.182:
	ds_store_b64 v133, v[96:97]
	ds_store_2addr_b64 v134, v[92:93], v[94:95] offset0:21 offset1:22
	ds_store_2addr_b64 v134, v[90:91], v[112:113] offset0:23 offset1:24
	;; [unrolled: 1-line block ×16, first 2 shown]
	ds_load_b64 v[0:1], v133
	s_wait_dscnt 0x0
	v_cmp_neq_f32_e32 vcc_lo, 0, v0
	v_cmp_neq_f32_e64 s1, 0, v1
	s_or_b32 s1, vcc_lo, s1
	s_delay_alu instid0(SALU_CYCLE_1)
	s_and_b32 exec_lo, exec_lo, s1
	s_cbranch_execz .LBB105_188
; %bb.183:
	v_cmp_ngt_f32_e64 s1, |v0|, |v1|
                                        ; implicit-def: $vgpr2_vgpr3
	s_and_saveexec_b32 s4, s1
	s_delay_alu instid0(SALU_CYCLE_1)
	s_xor_b32 s1, exec_lo, s4
	s_cbranch_execz .LBB105_185
; %bb.184:
	v_div_scale_f32 v2, null, v1, v1, v0
	v_div_scale_f32 v5, vcc_lo, v0, v1, v0
	s_delay_alu instid0(VALU_DEP_2) | instskip(SKIP_1) | instid1(TRANS32_DEP_1)
	v_rcp_f32_e32 v3, v2
	v_nop
	v_fma_f32 v4, -v2, v3, 1.0
	s_delay_alu instid0(VALU_DEP_1) | instskip(NEXT) | instid1(VALU_DEP_1)
	v_fmac_f32_e32 v3, v4, v3
	v_mul_f32_e32 v4, v5, v3
	s_delay_alu instid0(VALU_DEP_1) | instskip(NEXT) | instid1(VALU_DEP_1)
	v_fma_f32 v6, -v2, v4, v5
	v_fmac_f32_e32 v4, v6, v3
	s_delay_alu instid0(VALU_DEP_1) | instskip(NEXT) | instid1(VALU_DEP_1)
	v_fma_f32 v2, -v2, v4, v5
	v_div_fmas_f32 v2, v2, v3, v4
	s_delay_alu instid0(VALU_DEP_1) | instskip(NEXT) | instid1(VALU_DEP_1)
	v_div_fixup_f32 v2, v2, v1, v0
	v_fmac_f32_e32 v1, v0, v2
	s_delay_alu instid0(VALU_DEP_1) | instskip(SKIP_1) | instid1(VALU_DEP_2)
	v_div_scale_f32 v0, null, v1, v1, 1.0
	v_div_scale_f32 v5, vcc_lo, 1.0, v1, 1.0
	v_rcp_f32_e32 v3, v0
	v_nop
	s_delay_alu instid0(TRANS32_DEP_1) | instskip(NEXT) | instid1(VALU_DEP_1)
	v_fma_f32 v4, -v0, v3, 1.0
	v_fmac_f32_e32 v3, v4, v3
	s_delay_alu instid0(VALU_DEP_1) | instskip(NEXT) | instid1(VALU_DEP_1)
	v_mul_f32_e32 v4, v5, v3
	v_fma_f32 v6, -v0, v4, v5
	s_delay_alu instid0(VALU_DEP_1) | instskip(NEXT) | instid1(VALU_DEP_1)
	v_fmac_f32_e32 v4, v6, v3
	v_fma_f32 v0, -v0, v4, v5
	s_delay_alu instid0(VALU_DEP_1) | instskip(NEXT) | instid1(VALU_DEP_1)
	v_div_fmas_f32 v0, v0, v3, v4
	v_div_fixup_f32 v0, v0, v1, 1.0
	s_delay_alu instid0(VALU_DEP_1)
	v_mul_f32_e32 v2, v2, v0
	v_xor_b32_e32 v3, 0x80000000, v0
                                        ; implicit-def: $vgpr0_vgpr1
.LBB105_185:
	s_and_not1_saveexec_b32 s1, s1
	s_cbranch_execz .LBB105_187
; %bb.186:
	v_div_scale_f32 v2, null, v0, v0, v1
	v_div_scale_f32 v5, vcc_lo, v1, v0, v1
	s_delay_alu instid0(VALU_DEP_2) | instskip(SKIP_1) | instid1(TRANS32_DEP_1)
	v_rcp_f32_e32 v3, v2
	v_nop
	v_fma_f32 v4, -v2, v3, 1.0
	s_delay_alu instid0(VALU_DEP_1) | instskip(NEXT) | instid1(VALU_DEP_1)
	v_fmac_f32_e32 v3, v4, v3
	v_mul_f32_e32 v4, v5, v3
	s_delay_alu instid0(VALU_DEP_1) | instskip(NEXT) | instid1(VALU_DEP_1)
	v_fma_f32 v6, -v2, v4, v5
	v_fmac_f32_e32 v4, v6, v3
	s_delay_alu instid0(VALU_DEP_1) | instskip(NEXT) | instid1(VALU_DEP_1)
	v_fma_f32 v2, -v2, v4, v5
	v_div_fmas_f32 v2, v2, v3, v4
	s_delay_alu instid0(VALU_DEP_1) | instskip(NEXT) | instid1(VALU_DEP_1)
	v_div_fixup_f32 v3, v2, v0, v1
	v_fmac_f32_e32 v0, v1, v3
	s_delay_alu instid0(VALU_DEP_1) | instskip(NEXT) | instid1(VALU_DEP_1)
	v_div_scale_f32 v1, null, v0, v0, 1.0
	v_rcp_f32_e32 v2, v1
	v_nop
	s_delay_alu instid0(TRANS32_DEP_1) | instskip(NEXT) | instid1(VALU_DEP_1)
	v_fma_f32 v4, -v1, v2, 1.0
	v_fmac_f32_e32 v2, v4, v2
	v_div_scale_f32 v4, vcc_lo, 1.0, v0, 1.0
	s_delay_alu instid0(VALU_DEP_1) | instskip(NEXT) | instid1(VALU_DEP_1)
	v_mul_f32_e32 v5, v4, v2
	v_fma_f32 v6, -v1, v5, v4
	s_delay_alu instid0(VALU_DEP_1) | instskip(NEXT) | instid1(VALU_DEP_1)
	v_fmac_f32_e32 v5, v6, v2
	v_fma_f32 v1, -v1, v5, v4
	s_delay_alu instid0(VALU_DEP_1) | instskip(NEXT) | instid1(VALU_DEP_1)
	v_div_fmas_f32 v1, v1, v2, v5
	v_div_fixup_f32 v2, v1, v0, 1.0
	s_delay_alu instid0(VALU_DEP_1)
	v_mul_f32_e64 v3, v3, -v2
.LBB105_187:
	s_or_b32 exec_lo, exec_lo, s1
	ds_store_b64 v133, v[2:3]
.LBB105_188:
	s_or_b32 exec_lo, exec_lo, s2
	s_wait_dscnt 0x0
	s_barrier_signal -1
	s_barrier_wait -1
	ds_load_b64 v[0:1], v133
	s_mov_b32 s1, exec_lo
	s_wait_dscnt 0x0
	scratch_store_b64 off, v[0:1], off offset:288 ; 8-byte Folded Spill
	s_wait_xcnt 0x0
	v_cmpx_lt_u32_e32 20, v132
	s_cbranch_execz .LBB105_190
; %bb.189:
	scratch_load_b64 v[4:5], off, off offset:288 ; 8-byte Folded Reload
	s_wait_loadcnt 0x0
	v_pk_mul_f32 v[2:3], v[4:5], v[96:97] op_sel:[1,1] op_sel_hi:[0,1]
	s_delay_alu instid0(VALU_DEP_1)
	v_pk_fma_f32 v[0:1], v[4:5], v[96:97], v[2:3] op_sel_hi:[1,0,1] neg_lo:[0,0,1] neg_hi:[0,0,1]
	v_pk_fma_f32 v[2:3], v[4:5], v[96:97], v[2:3] op_sel_hi:[1,0,1]
	ds_load_2addr_b64 v[4:7], v134 offset0:21 offset1:22
	v_dual_mov_b32 v96, v0 :: v_dual_mov_b32 v97, v3
	s_wait_dscnt 0x0
	v_pk_mul_f32 v[8:9], v[4:5], v[2:3] op_sel:[0,1]
	s_delay_alu instid0(VALU_DEP_1) | instskip(SKIP_1) | instid1(VALU_DEP_1)
	v_pk_fma_f32 v[10:11], v[4:5], v[0:1], v[8:9] op_sel:[0,0,1] op_sel_hi:[1,1,0] neg_lo:[0,0,1] neg_hi:[0,0,1]
	v_pk_fma_f32 v[4:5], v[4:5], v[0:1], v[8:9] op_sel:[0,0,1] op_sel_hi:[1,0,0]
	v_mov_b32_e32 v11, v5
	v_pk_mul_f32 v[4:5], v[6:7], v[2:3] op_sel:[0,1]
	s_delay_alu instid0(VALU_DEP_1) | instskip(SKIP_1) | instid1(VALU_DEP_1)
	v_pk_fma_f32 v[8:9], v[6:7], v[0:1], v[4:5] op_sel:[0,0,1] op_sel_hi:[1,1,0] neg_lo:[0,0,1] neg_hi:[0,0,1]
	v_pk_fma_f32 v[4:5], v[6:7], v[0:1], v[4:5] op_sel:[0,0,1] op_sel_hi:[1,0,0]
	v_mov_b32_e32 v9, v5
	ds_load_2addr_b64 v[4:7], v134 offset0:23 offset1:24
	v_pk_add_f32 v[92:93], v[92:93], v[10:11] neg_lo:[0,1] neg_hi:[0,1]
	v_pk_add_f32 v[94:95], v[94:95], v[8:9] neg_lo:[0,1] neg_hi:[0,1]
	s_wait_dscnt 0x0
	v_pk_mul_f32 v[8:9], v[4:5], v[2:3] op_sel:[0,1]
	s_delay_alu instid0(VALU_DEP_1) | instskip(SKIP_2) | instid1(VALU_DEP_2)
	v_pk_fma_f32 v[10:11], v[4:5], v[0:1], v[8:9] op_sel:[0,0,1] op_sel_hi:[1,1,0] neg_lo:[0,0,1] neg_hi:[0,0,1]
	v_pk_fma_f32 v[4:5], v[4:5], v[0:1], v[8:9] op_sel:[0,0,1] op_sel_hi:[1,0,0]
	v_dual_mul_f32 v8, v7, v3 :: v_dual_mov_b32 v4, v7
	v_dual_mov_b32 v11, v5 :: v_dual_mov_b32 v5, v6
	s_delay_alu instid0(VALU_DEP_2) | instskip(SKIP_1) | instid1(VALU_DEP_3)
	v_pk_fma_f32 v[8:9], v[6:7], v[96:97], v[8:9] op_sel_hi:[1,1,0] neg_lo:[0,0,1] neg_hi:[0,0,1]
	v_mul_f32_e32 v6, v7, v0
	v_pk_add_f32 v[90:91], v[90:91], v[10:11] neg_lo:[0,1] neg_hi:[0,1]
	s_delay_alu instid0(VALU_DEP_2) | instskip(NEXT) | instid1(VALU_DEP_1)
	v_pk_fma_f32 v[4:5], v[4:5], v[96:97], v[6:7] op_sel_hi:[1,1,0]
	v_mov_b32_e32 v9, v5
	ds_load_2addr_b64 v[4:7], v134 offset0:25 offset1:26
	v_pk_add_f32 v[112:113], v[112:113], v[8:9] neg_lo:[0,1] neg_hi:[0,1]
	s_wait_dscnt 0x0
	v_pk_mul_f32 v[8:9], v[4:5], v[2:3] op_sel:[0,1]
	s_delay_alu instid0(VALU_DEP_1) | instskip(SKIP_1) | instid1(VALU_DEP_1)
	v_pk_fma_f32 v[10:11], v[4:5], v[0:1], v[8:9] op_sel:[0,0,1] op_sel_hi:[1,1,0] neg_lo:[0,0,1] neg_hi:[0,0,1]
	v_pk_fma_f32 v[4:5], v[4:5], v[0:1], v[8:9] op_sel:[0,0,1] op_sel_hi:[1,0,0]
	v_mov_b32_e32 v11, v5
	v_pk_mul_f32 v[4:5], v[6:7], v[2:3] op_sel:[0,1]
	s_delay_alu instid0(VALU_DEP_1) | instskip(SKIP_1) | instid1(VALU_DEP_1)
	v_pk_fma_f32 v[8:9], v[6:7], v[0:1], v[4:5] op_sel:[0,0,1] op_sel_hi:[1,1,0] neg_lo:[0,0,1] neg_hi:[0,0,1]
	v_pk_fma_f32 v[4:5], v[6:7], v[0:1], v[4:5] op_sel:[0,0,1] op_sel_hi:[1,0,0]
	v_mov_b32_e32 v9, v5
	ds_load_2addr_b64 v[4:7], v134 offset0:27 offset1:28
	v_pk_add_f32 v[108:109], v[108:109], v[10:11] neg_lo:[0,1] neg_hi:[0,1]
	v_pk_add_f32 v[110:111], v[110:111], v[8:9] neg_lo:[0,1] neg_hi:[0,1]
	s_wait_dscnt 0x0
	v_pk_mul_f32 v[8:9], v[4:5], v[2:3] op_sel:[0,1]
	s_delay_alu instid0(VALU_DEP_1) | instskip(SKIP_1) | instid1(VALU_DEP_1)
	v_pk_fma_f32 v[10:11], v[4:5], v[0:1], v[8:9] op_sel:[0,0,1] op_sel_hi:[1,1,0] neg_lo:[0,0,1] neg_hi:[0,0,1]
	v_pk_fma_f32 v[4:5], v[4:5], v[0:1], v[8:9] op_sel:[0,0,1] op_sel_hi:[1,0,0]
	v_mov_b32_e32 v11, v5
	v_pk_mul_f32 v[4:5], v[6:7], v[2:3] op_sel:[0,1]
	s_delay_alu instid0(VALU_DEP_1) | instskip(SKIP_1) | instid1(VALU_DEP_1)
	v_pk_fma_f32 v[8:9], v[6:7], v[0:1], v[4:5] op_sel:[0,0,1] op_sel_hi:[1,1,0] neg_lo:[0,0,1] neg_hi:[0,0,1]
	v_pk_fma_f32 v[4:5], v[6:7], v[0:1], v[4:5] op_sel:[0,0,1] op_sel_hi:[1,0,0]
	v_mov_b32_e32 v9, v5
	ds_load_2addr_b64 v[4:7], v134 offset0:29 offset1:30
	v_pk_add_f32 v[106:107], v[106:107], v[10:11] neg_lo:[0,1] neg_hi:[0,1]
	v_pk_add_f32 v[130:131], v[130:131], v[8:9] neg_lo:[0,1] neg_hi:[0,1]
	s_wait_dscnt 0x0
	v_dual_mul_f32 v8, v5, v3 :: v_dual_mul_f32 v10, v5, v0
	s_delay_alu instid0(VALU_DEP_1) | instskip(NEXT) | instid1(VALU_DEP_2)
	v_pk_fma_f32 v[8:9], v[4:5], v[96:97], v[8:9] op_sel_hi:[1,1,0] neg_lo:[0,0,1] neg_hi:[0,0,1]
	v_pk_fma_f32 v[4:5], v[4:5], v[96:97], v[10:11] op_sel:[1,0,0] op_sel_hi:[0,1,0]
	s_delay_alu instid0(VALU_DEP_1) | instskip(SKIP_1) | instid1(VALU_DEP_2)
	v_mov_b32_e32 v9, v5
	v_pk_mul_f32 v[4:5], v[6:7], v[2:3] op_sel:[0,1]
	v_pk_add_f32 v[126:127], v[126:127], v[8:9] neg_lo:[0,1] neg_hi:[0,1]
	s_delay_alu instid0(VALU_DEP_2) | instskip(SKIP_1) | instid1(VALU_DEP_1)
	v_pk_fma_f32 v[8:9], v[6:7], v[0:1], v[4:5] op_sel:[0,0,1] op_sel_hi:[1,1,0] neg_lo:[0,0,1] neg_hi:[0,0,1]
	v_pk_fma_f32 v[4:5], v[6:7], v[0:1], v[4:5] op_sel:[0,0,1] op_sel_hi:[1,0,0]
	v_mov_b32_e32 v9, v5
	ds_load_2addr_b64 v[4:7], v134 offset0:31 offset1:32
	v_pk_add_f32 v[128:129], v[128:129], v[8:9] neg_lo:[0,1] neg_hi:[0,1]
	s_wait_dscnt 0x0
	v_pk_mul_f32 v[8:9], v[4:5], v[2:3] op_sel:[0,1]
	s_delay_alu instid0(VALU_DEP_1) | instskip(SKIP_1) | instid1(VALU_DEP_1)
	v_pk_fma_f32 v[10:11], v[4:5], v[0:1], v[8:9] op_sel:[0,0,1] op_sel_hi:[1,1,0] neg_lo:[0,0,1] neg_hi:[0,0,1]
	v_pk_fma_f32 v[4:5], v[4:5], v[0:1], v[8:9] op_sel:[0,0,1] op_sel_hi:[1,0,0]
	v_mov_b32_e32 v11, v5
	v_pk_mul_f32 v[4:5], v[6:7], v[2:3] op_sel:[0,1]
	s_delay_alu instid0(VALU_DEP_2) | instskip(NEXT) | instid1(VALU_DEP_2)
	v_pk_add_f32 v[124:125], v[124:125], v[10:11] neg_lo:[0,1] neg_hi:[0,1]
	v_pk_fma_f32 v[8:9], v[6:7], v[0:1], v[4:5] op_sel:[0,0,1] op_sel_hi:[1,1,0] neg_lo:[0,0,1] neg_hi:[0,0,1]
	v_pk_fma_f32 v[4:5], v[6:7], v[0:1], v[4:5] op_sel:[0,0,1] op_sel_hi:[1,0,0]
	s_delay_alu instid0(VALU_DEP_1) | instskip(SKIP_4) | instid1(VALU_DEP_1)
	v_mov_b32_e32 v9, v5
	ds_load_2addr_b64 v[4:7], v134 offset0:33 offset1:34
	v_pk_add_f32 v[146:147], v[146:147], v[8:9] neg_lo:[0,1] neg_hi:[0,1]
	s_wait_dscnt 0x0
	v_pk_mul_f32 v[8:9], v[4:5], v[2:3] op_sel:[0,1]
	v_pk_fma_f32 v[10:11], v[4:5], v[0:1], v[8:9] op_sel:[0,0,1] op_sel_hi:[1,1,0] neg_lo:[0,0,1] neg_hi:[0,0,1]
	v_pk_fma_f32 v[4:5], v[4:5], v[0:1], v[8:9] op_sel:[0,0,1] op_sel_hi:[1,0,0]
	v_dual_mul_f32 v8, v7, v3 :: v_dual_mov_b32 v4, v7
	s_delay_alu instid0(VALU_DEP_2) | instskip(NEXT) | instid1(VALU_DEP_2)
	v_dual_mov_b32 v11, v5 :: v_dual_mov_b32 v5, v6
	v_pk_fma_f32 v[8:9], v[6:7], v[96:97], v[8:9] op_sel_hi:[1,1,0] neg_lo:[0,0,1] neg_hi:[0,0,1]
	v_mul_f32_e32 v6, v7, v0
	s_delay_alu instid0(VALU_DEP_3) | instskip(NEXT) | instid1(VALU_DEP_2)
	v_pk_add_f32 v[142:143], v[142:143], v[10:11] neg_lo:[0,1] neg_hi:[0,1]
	v_pk_fma_f32 v[4:5], v[4:5], v[96:97], v[6:7] op_sel_hi:[1,1,0]
	s_delay_alu instid0(VALU_DEP_1) | instskip(SKIP_4) | instid1(VALU_DEP_1)
	v_mov_b32_e32 v9, v5
	ds_load_2addr_b64 v[4:7], v134 offset0:35 offset1:36
	v_pk_add_f32 v[144:145], v[144:145], v[8:9] neg_lo:[0,1] neg_hi:[0,1]
	s_wait_dscnt 0x0
	v_pk_mul_f32 v[8:9], v[4:5], v[2:3] op_sel:[0,1]
	v_pk_fma_f32 v[10:11], v[4:5], v[0:1], v[8:9] op_sel:[0,0,1] op_sel_hi:[1,1,0] neg_lo:[0,0,1] neg_hi:[0,0,1]
	v_pk_fma_f32 v[4:5], v[4:5], v[0:1], v[8:9] op_sel:[0,0,1] op_sel_hi:[1,0,0]
	s_delay_alu instid0(VALU_DEP_1) | instskip(SKIP_1) | instid1(VALU_DEP_1)
	v_mov_b32_e32 v11, v5
	v_pk_mul_f32 v[4:5], v[6:7], v[2:3] op_sel:[0,1]
	v_pk_fma_f32 v[8:9], v[6:7], v[0:1], v[4:5] op_sel:[0,0,1] op_sel_hi:[1,1,0] neg_lo:[0,0,1] neg_hi:[0,0,1]
	v_pk_fma_f32 v[4:5], v[6:7], v[0:1], v[4:5] op_sel:[0,0,1] op_sel_hi:[1,0,0]
	s_delay_alu instid0(VALU_DEP_1)
	v_mov_b32_e32 v9, v5
	ds_load_2addr_b64 v[4:7], v134 offset0:37 offset1:38
	v_pk_add_f32 v[140:141], v[140:141], v[10:11] neg_lo:[0,1] neg_hi:[0,1]
	v_pk_add_f32 v[162:163], v[162:163], v[8:9] neg_lo:[0,1] neg_hi:[0,1]
	s_wait_dscnt 0x0
	v_pk_mul_f32 v[8:9], v[4:5], v[2:3] op_sel:[0,1]
	s_delay_alu instid0(VALU_DEP_1) | instskip(SKIP_1) | instid1(VALU_DEP_1)
	v_pk_fma_f32 v[10:11], v[4:5], v[0:1], v[8:9] op_sel:[0,0,1] op_sel_hi:[1,1,0] neg_lo:[0,0,1] neg_hi:[0,0,1]
	v_pk_fma_f32 v[4:5], v[4:5], v[0:1], v[8:9] op_sel:[0,0,1] op_sel_hi:[1,0,0]
	v_mov_b32_e32 v11, v5
	v_pk_mul_f32 v[4:5], v[6:7], v[2:3] op_sel:[0,1]
	s_delay_alu instid0(VALU_DEP_1) | instskip(SKIP_1) | instid1(VALU_DEP_1)
	v_pk_fma_f32 v[8:9], v[6:7], v[0:1], v[4:5] op_sel:[0,0,1] op_sel_hi:[1,1,0] neg_lo:[0,0,1] neg_hi:[0,0,1]
	v_pk_fma_f32 v[4:5], v[6:7], v[0:1], v[4:5] op_sel:[0,0,1] op_sel_hi:[1,0,0]
	v_mov_b32_e32 v9, v5
	ds_load_2addr_b64 v[4:7], v134 offset0:39 offset1:40
	v_pk_add_f32 v[158:159], v[158:159], v[10:11] neg_lo:[0,1] neg_hi:[0,1]
	v_pk_add_f32 v[160:161], v[160:161], v[8:9] neg_lo:[0,1] neg_hi:[0,1]
	s_wait_dscnt 0x0
	v_dual_mul_f32 v8, v5, v3 :: v_dual_mul_f32 v10, v5, v0
	s_delay_alu instid0(VALU_DEP_1) | instskip(NEXT) | instid1(VALU_DEP_2)
	v_pk_fma_f32 v[8:9], v[4:5], v[96:97], v[8:9] op_sel_hi:[1,1,0] neg_lo:[0,0,1] neg_hi:[0,0,1]
	v_pk_fma_f32 v[4:5], v[4:5], v[96:97], v[10:11] op_sel:[1,0,0] op_sel_hi:[0,1,0]
	s_delay_alu instid0(VALU_DEP_1) | instskip(SKIP_1) | instid1(VALU_DEP_2)
	v_mov_b32_e32 v9, v5
	v_pk_mul_f32 v[4:5], v[6:7], v[2:3] op_sel:[0,1]
	v_pk_add_f32 v[156:157], v[156:157], v[8:9] neg_lo:[0,1] neg_hi:[0,1]
	s_delay_alu instid0(VALU_DEP_2) | instskip(SKIP_1) | instid1(VALU_DEP_1)
	v_pk_fma_f32 v[8:9], v[6:7], v[0:1], v[4:5] op_sel:[0,0,1] op_sel_hi:[1,1,0] neg_lo:[0,0,1] neg_hi:[0,0,1]
	v_pk_fma_f32 v[4:5], v[6:7], v[0:1], v[4:5] op_sel:[0,0,1] op_sel_hi:[1,0,0]
	v_mov_b32_e32 v9, v5
	ds_load_2addr_b64 v[4:7], v134 offset0:41 offset1:42
	v_pk_add_f32 v[184:185], v[184:185], v[8:9] neg_lo:[0,1] neg_hi:[0,1]
	s_wait_dscnt 0x0
	v_pk_mul_f32 v[8:9], v[4:5], v[2:3] op_sel:[0,1]
	s_delay_alu instid0(VALU_DEP_1) | instskip(SKIP_1) | instid1(VALU_DEP_1)
	v_pk_fma_f32 v[10:11], v[4:5], v[0:1], v[8:9] op_sel:[0,0,1] op_sel_hi:[1,1,0] neg_lo:[0,0,1] neg_hi:[0,0,1]
	v_pk_fma_f32 v[4:5], v[4:5], v[0:1], v[8:9] op_sel:[0,0,1] op_sel_hi:[1,0,0]
	v_mov_b32_e32 v11, v5
	v_pk_mul_f32 v[4:5], v[6:7], v[2:3] op_sel:[0,1]
	s_delay_alu instid0(VALU_DEP_2) | instskip(NEXT) | instid1(VALU_DEP_2)
	v_pk_add_f32 v[180:181], v[180:181], v[10:11] neg_lo:[0,1] neg_hi:[0,1]
	v_pk_fma_f32 v[8:9], v[6:7], v[0:1], v[4:5] op_sel:[0,0,1] op_sel_hi:[1,1,0] neg_lo:[0,0,1] neg_hi:[0,0,1]
	v_pk_fma_f32 v[4:5], v[6:7], v[0:1], v[4:5] op_sel:[0,0,1] op_sel_hi:[1,0,0]
	s_delay_alu instid0(VALU_DEP_1) | instskip(SKIP_4) | instid1(VALU_DEP_1)
	v_mov_b32_e32 v9, v5
	ds_load_2addr_b64 v[4:7], v134 offset0:43 offset1:44
	v_pk_add_f32 v[182:183], v[182:183], v[8:9] neg_lo:[0,1] neg_hi:[0,1]
	s_wait_dscnt 0x0
	v_pk_mul_f32 v[8:9], v[4:5], v[2:3] op_sel:[0,1]
	v_pk_fma_f32 v[10:11], v[4:5], v[0:1], v[8:9] op_sel:[0,0,1] op_sel_hi:[1,1,0] neg_lo:[0,0,1] neg_hi:[0,0,1]
	v_pk_fma_f32 v[4:5], v[4:5], v[0:1], v[8:9] op_sel:[0,0,1] op_sel_hi:[1,0,0]
	v_dual_mul_f32 v8, v7, v3 :: v_dual_mov_b32 v4, v7
	s_delay_alu instid0(VALU_DEP_2) | instskip(NEXT) | instid1(VALU_DEP_2)
	v_dual_mov_b32 v11, v5 :: v_dual_mov_b32 v5, v6
	v_pk_fma_f32 v[8:9], v[6:7], v[96:97], v[8:9] op_sel_hi:[1,1,0] neg_lo:[0,0,1] neg_hi:[0,0,1]
	v_mul_f32_e32 v6, v7, v0
	s_delay_alu instid0(VALU_DEP_3) | instskip(NEXT) | instid1(VALU_DEP_2)
	v_pk_add_f32 v[178:179], v[178:179], v[10:11] neg_lo:[0,1] neg_hi:[0,1]
	v_pk_fma_f32 v[4:5], v[4:5], v[96:97], v[6:7] op_sel_hi:[1,1,0]
	s_delay_alu instid0(VALU_DEP_1) | instskip(SKIP_4) | instid1(VALU_DEP_1)
	v_mov_b32_e32 v9, v5
	ds_load_2addr_b64 v[4:7], v134 offset0:45 offset1:46
	v_pk_add_f32 v[208:209], v[208:209], v[8:9] neg_lo:[0,1] neg_hi:[0,1]
	s_wait_dscnt 0x0
	v_pk_mul_f32 v[8:9], v[4:5], v[2:3] op_sel:[0,1]
	v_pk_fma_f32 v[10:11], v[4:5], v[0:1], v[8:9] op_sel:[0,0,1] op_sel_hi:[1,1,0] neg_lo:[0,0,1] neg_hi:[0,0,1]
	v_pk_fma_f32 v[4:5], v[4:5], v[0:1], v[8:9] op_sel:[0,0,1] op_sel_hi:[1,0,0]
	s_delay_alu instid0(VALU_DEP_1) | instskip(SKIP_1) | instid1(VALU_DEP_1)
	v_mov_b32_e32 v11, v5
	v_pk_mul_f32 v[4:5], v[6:7], v[2:3] op_sel:[0,1]
	v_pk_fma_f32 v[8:9], v[6:7], v[0:1], v[4:5] op_sel:[0,0,1] op_sel_hi:[1,1,0] neg_lo:[0,0,1] neg_hi:[0,0,1]
	v_pk_fma_f32 v[4:5], v[6:7], v[0:1], v[4:5] op_sel:[0,0,1] op_sel_hi:[1,0,0]
	s_delay_alu instid0(VALU_DEP_1)
	v_mov_b32_e32 v9, v5
	ds_load_2addr_b64 v[4:7], v134 offset0:47 offset1:48
	v_pk_add_f32 v[200:201], v[200:201], v[10:11] neg_lo:[0,1] neg_hi:[0,1]
	v_pk_add_f32 v[206:207], v[206:207], v[8:9] neg_lo:[0,1] neg_hi:[0,1]
	s_wait_dscnt 0x0
	v_pk_mul_f32 v[8:9], v[4:5], v[2:3] op_sel:[0,1]
	s_delay_alu instid0(VALU_DEP_1) | instskip(SKIP_1) | instid1(VALU_DEP_1)
	v_pk_fma_f32 v[10:11], v[4:5], v[0:1], v[8:9] op_sel:[0,0,1] op_sel_hi:[1,1,0] neg_lo:[0,0,1] neg_hi:[0,0,1]
	v_pk_fma_f32 v[4:5], v[4:5], v[0:1], v[8:9] op_sel:[0,0,1] op_sel_hi:[1,0,0]
	v_mov_b32_e32 v11, v5
	v_pk_mul_f32 v[4:5], v[6:7], v[2:3] op_sel:[0,1]
	s_delay_alu instid0(VALU_DEP_1) | instskip(SKIP_1) | instid1(VALU_DEP_1)
	v_pk_fma_f32 v[8:9], v[6:7], v[0:1], v[4:5] op_sel:[0,0,1] op_sel_hi:[1,1,0] neg_lo:[0,0,1] neg_hi:[0,0,1]
	v_pk_fma_f32 v[4:5], v[6:7], v[0:1], v[4:5] op_sel:[0,0,1] op_sel_hi:[1,0,0]
	v_mov_b32_e32 v9, v5
	ds_load_2addr_b64 v[4:7], v134 offset0:49 offset1:50
	v_pk_add_f32 v[198:199], v[198:199], v[10:11] neg_lo:[0,1] neg_hi:[0,1]
	v_pk_add_f32 v[204:205], v[204:205], v[8:9] neg_lo:[0,1] neg_hi:[0,1]
	s_wait_dscnt 0x0
	v_dual_mul_f32 v8, v5, v3 :: v_dual_mul_f32 v10, v5, v0
	s_delay_alu instid0(VALU_DEP_1) | instskip(NEXT) | instid1(VALU_DEP_2)
	v_pk_fma_f32 v[8:9], v[4:5], v[96:97], v[8:9] op_sel_hi:[1,1,0] neg_lo:[0,0,1] neg_hi:[0,0,1]
	v_pk_fma_f32 v[4:5], v[4:5], v[96:97], v[10:11] op_sel:[1,0,0] op_sel_hi:[0,1,0]
	s_delay_alu instid0(VALU_DEP_1) | instskip(SKIP_1) | instid1(VALU_DEP_2)
	v_mov_b32_e32 v9, v5
	v_pk_mul_f32 v[4:5], v[6:7], v[2:3] op_sel:[0,1]
	v_pk_add_f32 v[196:197], v[196:197], v[8:9] neg_lo:[0,1] neg_hi:[0,1]
	s_delay_alu instid0(VALU_DEP_2) | instskip(SKIP_1) | instid1(VALU_DEP_1)
	v_pk_fma_f32 v[8:9], v[6:7], v[0:1], v[4:5] op_sel:[0,0,1] op_sel_hi:[1,1,0] neg_lo:[0,0,1] neg_hi:[0,0,1]
	v_pk_fma_f32 v[4:5], v[6:7], v[0:1], v[4:5] op_sel:[0,0,1] op_sel_hi:[1,0,0]
	v_mov_b32_e32 v9, v5
	ds_load_2addr_b64 v[4:7], v134 offset0:51 offset1:52
	v_pk_add_f32 v[202:203], v[202:203], v[8:9] neg_lo:[0,1] neg_hi:[0,1]
	s_wait_dscnt 0x0
	v_pk_mul_f32 v[8:9], v[4:5], v[2:3] op_sel:[0,1]
	v_pk_mul_f32 v[2:3], v[6:7], v[2:3] op_sel:[0,1]
	s_delay_alu instid0(VALU_DEP_2) | instskip(SKIP_1) | instid1(VALU_DEP_1)
	v_pk_fma_f32 v[10:11], v[4:5], v[0:1], v[8:9] op_sel:[0,0,1] op_sel_hi:[1,1,0] neg_lo:[0,0,1] neg_hi:[0,0,1]
	v_pk_fma_f32 v[4:5], v[4:5], v[0:1], v[8:9] op_sel:[0,0,1] op_sel_hi:[1,0,0]
	v_mov_b32_e32 v11, v5
	s_delay_alu instid0(VALU_DEP_4) | instskip(SKIP_1) | instid1(VALU_DEP_3)
	v_pk_fma_f32 v[4:5], v[6:7], v[0:1], v[2:3] op_sel:[0,0,1] op_sel_hi:[1,1,0] neg_lo:[0,0,1] neg_hi:[0,0,1]
	v_pk_fma_f32 v[0:1], v[6:7], v[0:1], v[2:3] op_sel:[0,0,1] op_sel_hi:[1,0,0]
	v_pk_add_f32 v[210:211], v[210:211], v[10:11] neg_lo:[0,1] neg_hi:[0,1]
	s_delay_alu instid0(VALU_DEP_2) | instskip(NEXT) | instid1(VALU_DEP_1)
	v_mov_b32_e32 v5, v1
	v_pk_add_f32 v[212:213], v[212:213], v[4:5] neg_lo:[0,1] neg_hi:[0,1]
.LBB105_190:
	s_wait_xcnt 0x0
	s_or_b32 exec_lo, exec_lo, s1
	s_delay_alu instid0(SALU_CYCLE_1)
	s_mov_b32 s2, exec_lo
	s_wait_storecnt 0x0
	s_barrier_signal -1
	s_barrier_wait -1
	v_cmpx_eq_u32_e32 21, v132
	s_cbranch_execz .LBB105_197
; %bb.191:
	v_dual_mov_b32 v0, v94 :: v_dual_mov_b32 v1, v95
	v_dual_mov_b32 v2, v90 :: v_dual_mov_b32 v3, v91
	ds_store_b64 v133, v[92:93]
	ds_store_2addr_b64 v134, v[0:1], v[2:3] offset0:22 offset1:23
	v_dual_mov_b32 v0, v112 :: v_dual_mov_b32 v1, v113
	v_dual_mov_b32 v2, v108 :: v_dual_mov_b32 v3, v109
	ds_store_2addr_b64 v134, v[0:1], v[2:3] offset0:24 offset1:25
	v_dual_mov_b32 v0, v110 :: v_dual_mov_b32 v1, v111
	v_dual_mov_b32 v2, v106 :: v_dual_mov_b32 v3, v107
	;; [unrolled: 3-line block ×14, first 2 shown]
	ds_store_2addr_b64 v134, v[0:1], v[2:3] offset0:50 offset1:51
	ds_store_b64 v134, v[212:213] offset:416
	ds_load_b64 v[0:1], v133
	s_wait_dscnt 0x0
	v_cmp_neq_f32_e32 vcc_lo, 0, v0
	v_cmp_neq_f32_e64 s1, 0, v1
	s_or_b32 s1, vcc_lo, s1
	s_delay_alu instid0(SALU_CYCLE_1)
	s_and_b32 exec_lo, exec_lo, s1
	s_cbranch_execz .LBB105_197
; %bb.192:
	v_cmp_ngt_f32_e64 s1, |v0|, |v1|
                                        ; implicit-def: $vgpr2_vgpr3
	s_and_saveexec_b32 s4, s1
	s_delay_alu instid0(SALU_CYCLE_1)
	s_xor_b32 s1, exec_lo, s4
	s_cbranch_execz .LBB105_194
; %bb.193:
	v_div_scale_f32 v2, null, v1, v1, v0
	v_div_scale_f32 v5, vcc_lo, v0, v1, v0
	s_delay_alu instid0(VALU_DEP_2) | instskip(SKIP_1) | instid1(TRANS32_DEP_1)
	v_rcp_f32_e32 v3, v2
	v_nop
	v_fma_f32 v4, -v2, v3, 1.0
	s_delay_alu instid0(VALU_DEP_1) | instskip(NEXT) | instid1(VALU_DEP_1)
	v_fmac_f32_e32 v3, v4, v3
	v_mul_f32_e32 v4, v5, v3
	s_delay_alu instid0(VALU_DEP_1) | instskip(NEXT) | instid1(VALU_DEP_1)
	v_fma_f32 v6, -v2, v4, v5
	v_fmac_f32_e32 v4, v6, v3
	s_delay_alu instid0(VALU_DEP_1) | instskip(NEXT) | instid1(VALU_DEP_1)
	v_fma_f32 v2, -v2, v4, v5
	v_div_fmas_f32 v2, v2, v3, v4
	s_delay_alu instid0(VALU_DEP_1) | instskip(NEXT) | instid1(VALU_DEP_1)
	v_div_fixup_f32 v2, v2, v1, v0
	v_fmac_f32_e32 v1, v0, v2
	s_delay_alu instid0(VALU_DEP_1) | instskip(SKIP_1) | instid1(VALU_DEP_2)
	v_div_scale_f32 v0, null, v1, v1, 1.0
	v_div_scale_f32 v5, vcc_lo, 1.0, v1, 1.0
	v_rcp_f32_e32 v3, v0
	v_nop
	s_delay_alu instid0(TRANS32_DEP_1) | instskip(NEXT) | instid1(VALU_DEP_1)
	v_fma_f32 v4, -v0, v3, 1.0
	v_fmac_f32_e32 v3, v4, v3
	s_delay_alu instid0(VALU_DEP_1) | instskip(NEXT) | instid1(VALU_DEP_1)
	v_mul_f32_e32 v4, v5, v3
	v_fma_f32 v6, -v0, v4, v5
	s_delay_alu instid0(VALU_DEP_1) | instskip(NEXT) | instid1(VALU_DEP_1)
	v_fmac_f32_e32 v4, v6, v3
	v_fma_f32 v0, -v0, v4, v5
	s_delay_alu instid0(VALU_DEP_1) | instskip(NEXT) | instid1(VALU_DEP_1)
	v_div_fmas_f32 v0, v0, v3, v4
	v_div_fixup_f32 v0, v0, v1, 1.0
	s_delay_alu instid0(VALU_DEP_1)
	v_mul_f32_e32 v2, v2, v0
	v_xor_b32_e32 v3, 0x80000000, v0
                                        ; implicit-def: $vgpr0_vgpr1
.LBB105_194:
	s_and_not1_saveexec_b32 s1, s1
	s_cbranch_execz .LBB105_196
; %bb.195:
	v_div_scale_f32 v2, null, v0, v0, v1
	v_div_scale_f32 v5, vcc_lo, v1, v0, v1
	s_delay_alu instid0(VALU_DEP_2) | instskip(SKIP_1) | instid1(TRANS32_DEP_1)
	v_rcp_f32_e32 v3, v2
	v_nop
	v_fma_f32 v4, -v2, v3, 1.0
	s_delay_alu instid0(VALU_DEP_1) | instskip(NEXT) | instid1(VALU_DEP_1)
	v_fmac_f32_e32 v3, v4, v3
	v_mul_f32_e32 v4, v5, v3
	s_delay_alu instid0(VALU_DEP_1) | instskip(NEXT) | instid1(VALU_DEP_1)
	v_fma_f32 v6, -v2, v4, v5
	v_fmac_f32_e32 v4, v6, v3
	s_delay_alu instid0(VALU_DEP_1) | instskip(NEXT) | instid1(VALU_DEP_1)
	v_fma_f32 v2, -v2, v4, v5
	v_div_fmas_f32 v2, v2, v3, v4
	s_delay_alu instid0(VALU_DEP_1) | instskip(NEXT) | instid1(VALU_DEP_1)
	v_div_fixup_f32 v3, v2, v0, v1
	v_fmac_f32_e32 v0, v1, v3
	s_delay_alu instid0(VALU_DEP_1) | instskip(NEXT) | instid1(VALU_DEP_1)
	v_div_scale_f32 v1, null, v0, v0, 1.0
	v_rcp_f32_e32 v2, v1
	v_nop
	s_delay_alu instid0(TRANS32_DEP_1) | instskip(NEXT) | instid1(VALU_DEP_1)
	v_fma_f32 v4, -v1, v2, 1.0
	v_fmac_f32_e32 v2, v4, v2
	v_div_scale_f32 v4, vcc_lo, 1.0, v0, 1.0
	s_delay_alu instid0(VALU_DEP_1) | instskip(NEXT) | instid1(VALU_DEP_1)
	v_mul_f32_e32 v5, v4, v2
	v_fma_f32 v6, -v1, v5, v4
	s_delay_alu instid0(VALU_DEP_1) | instskip(NEXT) | instid1(VALU_DEP_1)
	v_fmac_f32_e32 v5, v6, v2
	v_fma_f32 v1, -v1, v5, v4
	s_delay_alu instid0(VALU_DEP_1) | instskip(NEXT) | instid1(VALU_DEP_1)
	v_div_fmas_f32 v1, v1, v2, v5
	v_div_fixup_f32 v2, v1, v0, 1.0
	s_delay_alu instid0(VALU_DEP_1)
	v_mul_f32_e64 v3, v3, -v2
.LBB105_196:
	s_or_b32 exec_lo, exec_lo, s1
	ds_store_b64 v133, v[2:3]
.LBB105_197:
	s_or_b32 exec_lo, exec_lo, s2
	s_wait_dscnt 0x0
	s_barrier_signal -1
	s_barrier_wait -1
	ds_load_b64 v[0:1], v133
	s_mov_b32 s1, exec_lo
	s_wait_dscnt 0x0
	scratch_store_b64 off, v[0:1], off offset:296 ; 8-byte Folded Spill
	s_wait_xcnt 0x0
	v_cmpx_lt_u32_e32 21, v132
	s_cbranch_execz .LBB105_199
; %bb.198:
	scratch_load_b64 v[0:1], off, off offset:296 ; 8-byte Folded Reload
	ds_load_2addr_b64 v[6:9], v134 offset0:22 offset1:23
	s_wait_loadcnt 0x0
	v_pk_mul_f32 v[4:5], v[0:1], v[92:93] op_sel:[1,1] op_sel_hi:[0,1]
	s_delay_alu instid0(VALU_DEP_1) | instskip(SKIP_1) | instid1(VALU_DEP_1)
	v_pk_fma_f32 v[2:3], v[0:1], v[92:93], v[4:5] op_sel_hi:[1,0,1] neg_lo:[0,0,1] neg_hi:[0,0,1]
	v_pk_fma_f32 v[4:5], v[0:1], v[92:93], v[4:5] op_sel_hi:[1,0,1]
	v_dual_mov_b32 v92, v2 :: v_dual_mov_b32 v93, v5
	s_wait_dscnt 0x0
	s_delay_alu instid0(VALU_DEP_2) | instskip(NEXT) | instid1(VALU_DEP_1)
	v_pk_mul_f32 v[10:11], v[6:7], v[4:5] op_sel:[0,1]
	v_pk_fma_f32 v[12:13], v[6:7], v[2:3], v[10:11] op_sel:[0,0,1] op_sel_hi:[1,1,0] neg_lo:[0,0,1] neg_hi:[0,0,1]
	v_pk_fma_f32 v[6:7], v[6:7], v[2:3], v[10:11] op_sel:[0,0,1] op_sel_hi:[1,0,0]
	s_delay_alu instid0(VALU_DEP_1) | instskip(SKIP_1) | instid1(VALU_DEP_1)
	v_mov_b32_e32 v13, v7
	v_pk_mul_f32 v[6:7], v[8:9], v[4:5] op_sel:[0,1]
	v_pk_fma_f32 v[10:11], v[8:9], v[2:3], v[6:7] op_sel:[0,0,1] op_sel_hi:[1,1,0] neg_lo:[0,0,1] neg_hi:[0,0,1]
	v_pk_fma_f32 v[6:7], v[8:9], v[2:3], v[6:7] op_sel:[0,0,1] op_sel_hi:[1,0,0]
	s_delay_alu instid0(VALU_DEP_1)
	v_mov_b32_e32 v11, v7
	ds_load_2addr_b64 v[6:9], v134 offset0:24 offset1:25
	v_pk_add_f32 v[94:95], v[94:95], v[12:13] neg_lo:[0,1] neg_hi:[0,1]
	v_pk_add_f32 v[90:91], v[90:91], v[10:11] neg_lo:[0,1] neg_hi:[0,1]
	s_wait_dscnt 0x0
	v_pk_mul_f32 v[10:11], v[6:7], v[4:5] op_sel:[0,1]
	s_delay_alu instid0(VALU_DEP_1) | instskip(SKIP_2) | instid1(VALU_DEP_2)
	v_pk_fma_f32 v[12:13], v[6:7], v[2:3], v[10:11] op_sel:[0,0,1] op_sel_hi:[1,1,0] neg_lo:[0,0,1] neg_hi:[0,0,1]
	v_pk_fma_f32 v[6:7], v[6:7], v[2:3], v[10:11] op_sel:[0,0,1] op_sel_hi:[1,0,0]
	v_dual_mul_f32 v10, v9, v5 :: v_dual_mov_b32 v6, v9
	v_dual_mov_b32 v13, v7 :: v_dual_mov_b32 v7, v8
	s_delay_alu instid0(VALU_DEP_2) | instskip(SKIP_1) | instid1(VALU_DEP_3)
	v_pk_fma_f32 v[10:11], v[8:9], v[92:93], v[10:11] op_sel_hi:[1,1,0] neg_lo:[0,0,1] neg_hi:[0,0,1]
	v_mul_f32_e32 v8, v9, v2
	v_pk_add_f32 v[112:113], v[112:113], v[12:13] neg_lo:[0,1] neg_hi:[0,1]
	s_delay_alu instid0(VALU_DEP_2) | instskip(NEXT) | instid1(VALU_DEP_1)
	v_pk_fma_f32 v[6:7], v[6:7], v[92:93], v[8:9] op_sel_hi:[1,1,0]
	v_mov_b32_e32 v11, v7
	ds_load_2addr_b64 v[6:9], v134 offset0:26 offset1:27
	v_pk_add_f32 v[108:109], v[108:109], v[10:11] neg_lo:[0,1] neg_hi:[0,1]
	s_wait_dscnt 0x0
	v_pk_mul_f32 v[10:11], v[6:7], v[4:5] op_sel:[0,1]
	s_delay_alu instid0(VALU_DEP_1) | instskip(SKIP_1) | instid1(VALU_DEP_1)
	v_pk_fma_f32 v[12:13], v[6:7], v[2:3], v[10:11] op_sel:[0,0,1] op_sel_hi:[1,1,0] neg_lo:[0,0,1] neg_hi:[0,0,1]
	v_pk_fma_f32 v[6:7], v[6:7], v[2:3], v[10:11] op_sel:[0,0,1] op_sel_hi:[1,0,0]
	v_mov_b32_e32 v13, v7
	v_pk_mul_f32 v[6:7], v[8:9], v[4:5] op_sel:[0,1]
	s_delay_alu instid0(VALU_DEP_1) | instskip(SKIP_1) | instid1(VALU_DEP_1)
	v_pk_fma_f32 v[10:11], v[8:9], v[2:3], v[6:7] op_sel:[0,0,1] op_sel_hi:[1,1,0] neg_lo:[0,0,1] neg_hi:[0,0,1]
	v_pk_fma_f32 v[6:7], v[8:9], v[2:3], v[6:7] op_sel:[0,0,1] op_sel_hi:[1,0,0]
	v_mov_b32_e32 v11, v7
	ds_load_2addr_b64 v[6:9], v134 offset0:28 offset1:29
	v_pk_add_f32 v[110:111], v[110:111], v[12:13] neg_lo:[0,1] neg_hi:[0,1]
	v_pk_add_f32 v[106:107], v[106:107], v[10:11] neg_lo:[0,1] neg_hi:[0,1]
	s_wait_dscnt 0x0
	v_pk_mul_f32 v[10:11], v[6:7], v[4:5] op_sel:[0,1]
	s_delay_alu instid0(VALU_DEP_1) | instskip(SKIP_1) | instid1(VALU_DEP_1)
	v_pk_fma_f32 v[12:13], v[6:7], v[2:3], v[10:11] op_sel:[0,0,1] op_sel_hi:[1,1,0] neg_lo:[0,0,1] neg_hi:[0,0,1]
	v_pk_fma_f32 v[6:7], v[6:7], v[2:3], v[10:11] op_sel:[0,0,1] op_sel_hi:[1,0,0]
	v_mov_b32_e32 v13, v7
	v_pk_mul_f32 v[6:7], v[8:9], v[4:5] op_sel:[0,1]
	s_delay_alu instid0(VALU_DEP_1) | instskip(SKIP_1) | instid1(VALU_DEP_1)
	v_pk_fma_f32 v[10:11], v[8:9], v[2:3], v[6:7] op_sel:[0,0,1] op_sel_hi:[1,1,0] neg_lo:[0,0,1] neg_hi:[0,0,1]
	v_pk_fma_f32 v[6:7], v[8:9], v[2:3], v[6:7] op_sel:[0,0,1] op_sel_hi:[1,0,0]
	v_mov_b32_e32 v11, v7
	ds_load_2addr_b64 v[6:9], v134 offset0:30 offset1:31
	v_pk_add_f32 v[130:131], v[130:131], v[12:13] neg_lo:[0,1] neg_hi:[0,1]
	v_pk_add_f32 v[126:127], v[126:127], v[10:11] neg_lo:[0,1] neg_hi:[0,1]
	s_wait_dscnt 0x0
	v_dual_mul_f32 v10, v7, v5 :: v_dual_mul_f32 v12, v7, v2
	s_delay_alu instid0(VALU_DEP_1) | instskip(NEXT) | instid1(VALU_DEP_2)
	v_pk_fma_f32 v[10:11], v[6:7], v[92:93], v[10:11] op_sel_hi:[1,1,0] neg_lo:[0,0,1] neg_hi:[0,0,1]
	v_pk_fma_f32 v[6:7], v[6:7], v[92:93], v[12:13] op_sel:[1,0,0] op_sel_hi:[0,1,0]
	s_delay_alu instid0(VALU_DEP_1) | instskip(SKIP_1) | instid1(VALU_DEP_2)
	v_mov_b32_e32 v11, v7
	v_pk_mul_f32 v[6:7], v[8:9], v[4:5] op_sel:[0,1]
	v_pk_add_f32 v[128:129], v[128:129], v[10:11] neg_lo:[0,1] neg_hi:[0,1]
	s_delay_alu instid0(VALU_DEP_2) | instskip(SKIP_1) | instid1(VALU_DEP_1)
	v_pk_fma_f32 v[10:11], v[8:9], v[2:3], v[6:7] op_sel:[0,0,1] op_sel_hi:[1,1,0] neg_lo:[0,0,1] neg_hi:[0,0,1]
	v_pk_fma_f32 v[6:7], v[8:9], v[2:3], v[6:7] op_sel:[0,0,1] op_sel_hi:[1,0,0]
	v_mov_b32_e32 v11, v7
	ds_load_2addr_b64 v[6:9], v134 offset0:32 offset1:33
	v_pk_add_f32 v[124:125], v[124:125], v[10:11] neg_lo:[0,1] neg_hi:[0,1]
	s_wait_dscnt 0x0
	v_pk_mul_f32 v[10:11], v[6:7], v[4:5] op_sel:[0,1]
	s_delay_alu instid0(VALU_DEP_1) | instskip(SKIP_1) | instid1(VALU_DEP_1)
	v_pk_fma_f32 v[12:13], v[6:7], v[2:3], v[10:11] op_sel:[0,0,1] op_sel_hi:[1,1,0] neg_lo:[0,0,1] neg_hi:[0,0,1]
	v_pk_fma_f32 v[6:7], v[6:7], v[2:3], v[10:11] op_sel:[0,0,1] op_sel_hi:[1,0,0]
	v_mov_b32_e32 v13, v7
	v_pk_mul_f32 v[6:7], v[8:9], v[4:5] op_sel:[0,1]
	s_delay_alu instid0(VALU_DEP_2) | instskip(NEXT) | instid1(VALU_DEP_2)
	v_pk_add_f32 v[146:147], v[146:147], v[12:13] neg_lo:[0,1] neg_hi:[0,1]
	v_pk_fma_f32 v[10:11], v[8:9], v[2:3], v[6:7] op_sel:[0,0,1] op_sel_hi:[1,1,0] neg_lo:[0,0,1] neg_hi:[0,0,1]
	v_pk_fma_f32 v[6:7], v[8:9], v[2:3], v[6:7] op_sel:[0,0,1] op_sel_hi:[1,0,0]
	s_delay_alu instid0(VALU_DEP_1) | instskip(SKIP_4) | instid1(VALU_DEP_1)
	v_mov_b32_e32 v11, v7
	ds_load_2addr_b64 v[6:9], v134 offset0:34 offset1:35
	v_pk_add_f32 v[142:143], v[142:143], v[10:11] neg_lo:[0,1] neg_hi:[0,1]
	s_wait_dscnt 0x0
	v_pk_mul_f32 v[10:11], v[6:7], v[4:5] op_sel:[0,1]
	v_pk_fma_f32 v[12:13], v[6:7], v[2:3], v[10:11] op_sel:[0,0,1] op_sel_hi:[1,1,0] neg_lo:[0,0,1] neg_hi:[0,0,1]
	v_pk_fma_f32 v[6:7], v[6:7], v[2:3], v[10:11] op_sel:[0,0,1] op_sel_hi:[1,0,0]
	v_dual_mul_f32 v10, v9, v5 :: v_dual_mov_b32 v6, v9
	s_delay_alu instid0(VALU_DEP_2) | instskip(NEXT) | instid1(VALU_DEP_2)
	v_dual_mov_b32 v13, v7 :: v_dual_mov_b32 v7, v8
	v_pk_fma_f32 v[10:11], v[8:9], v[92:93], v[10:11] op_sel_hi:[1,1,0] neg_lo:[0,0,1] neg_hi:[0,0,1]
	v_mul_f32_e32 v8, v9, v2
	s_delay_alu instid0(VALU_DEP_3) | instskip(NEXT) | instid1(VALU_DEP_2)
	v_pk_add_f32 v[144:145], v[144:145], v[12:13] neg_lo:[0,1] neg_hi:[0,1]
	v_pk_fma_f32 v[6:7], v[6:7], v[92:93], v[8:9] op_sel_hi:[1,1,0]
	s_delay_alu instid0(VALU_DEP_1) | instskip(SKIP_4) | instid1(VALU_DEP_1)
	v_mov_b32_e32 v11, v7
	ds_load_2addr_b64 v[6:9], v134 offset0:36 offset1:37
	v_pk_add_f32 v[140:141], v[140:141], v[10:11] neg_lo:[0,1] neg_hi:[0,1]
	s_wait_dscnt 0x0
	v_pk_mul_f32 v[10:11], v[6:7], v[4:5] op_sel:[0,1]
	v_pk_fma_f32 v[12:13], v[6:7], v[2:3], v[10:11] op_sel:[0,0,1] op_sel_hi:[1,1,0] neg_lo:[0,0,1] neg_hi:[0,0,1]
	v_pk_fma_f32 v[6:7], v[6:7], v[2:3], v[10:11] op_sel:[0,0,1] op_sel_hi:[1,0,0]
	s_delay_alu instid0(VALU_DEP_1) | instskip(SKIP_1) | instid1(VALU_DEP_1)
	v_mov_b32_e32 v13, v7
	v_pk_mul_f32 v[6:7], v[8:9], v[4:5] op_sel:[0,1]
	v_pk_fma_f32 v[10:11], v[8:9], v[2:3], v[6:7] op_sel:[0,0,1] op_sel_hi:[1,1,0] neg_lo:[0,0,1] neg_hi:[0,0,1]
	v_pk_fma_f32 v[6:7], v[8:9], v[2:3], v[6:7] op_sel:[0,0,1] op_sel_hi:[1,0,0]
	s_delay_alu instid0(VALU_DEP_1)
	v_mov_b32_e32 v11, v7
	ds_load_2addr_b64 v[6:9], v134 offset0:38 offset1:39
	v_pk_add_f32 v[162:163], v[162:163], v[12:13] neg_lo:[0,1] neg_hi:[0,1]
	v_pk_add_f32 v[158:159], v[158:159], v[10:11] neg_lo:[0,1] neg_hi:[0,1]
	s_wait_dscnt 0x0
	v_pk_mul_f32 v[10:11], v[6:7], v[4:5] op_sel:[0,1]
	s_delay_alu instid0(VALU_DEP_1) | instskip(SKIP_1) | instid1(VALU_DEP_1)
	v_pk_fma_f32 v[12:13], v[6:7], v[2:3], v[10:11] op_sel:[0,0,1] op_sel_hi:[1,1,0] neg_lo:[0,0,1] neg_hi:[0,0,1]
	v_pk_fma_f32 v[6:7], v[6:7], v[2:3], v[10:11] op_sel:[0,0,1] op_sel_hi:[1,0,0]
	v_mov_b32_e32 v13, v7
	v_pk_mul_f32 v[6:7], v[8:9], v[4:5] op_sel:[0,1]
	s_delay_alu instid0(VALU_DEP_1) | instskip(SKIP_1) | instid1(VALU_DEP_1)
	v_pk_fma_f32 v[10:11], v[8:9], v[2:3], v[6:7] op_sel:[0,0,1] op_sel_hi:[1,1,0] neg_lo:[0,0,1] neg_hi:[0,0,1]
	v_pk_fma_f32 v[6:7], v[8:9], v[2:3], v[6:7] op_sel:[0,0,1] op_sel_hi:[1,0,0]
	v_mov_b32_e32 v11, v7
	ds_load_2addr_b64 v[6:9], v134 offset0:40 offset1:41
	v_pk_add_f32 v[160:161], v[160:161], v[12:13] neg_lo:[0,1] neg_hi:[0,1]
	v_pk_add_f32 v[156:157], v[156:157], v[10:11] neg_lo:[0,1] neg_hi:[0,1]
	s_wait_dscnt 0x0
	v_dual_mul_f32 v10, v7, v5 :: v_dual_mul_f32 v12, v7, v2
	s_delay_alu instid0(VALU_DEP_1) | instskip(NEXT) | instid1(VALU_DEP_2)
	v_pk_fma_f32 v[10:11], v[6:7], v[92:93], v[10:11] op_sel_hi:[1,1,0] neg_lo:[0,0,1] neg_hi:[0,0,1]
	v_pk_fma_f32 v[6:7], v[6:7], v[92:93], v[12:13] op_sel:[1,0,0] op_sel_hi:[0,1,0]
	s_delay_alu instid0(VALU_DEP_1) | instskip(SKIP_1) | instid1(VALU_DEP_2)
	v_mov_b32_e32 v11, v7
	v_pk_mul_f32 v[6:7], v[8:9], v[4:5] op_sel:[0,1]
	v_pk_add_f32 v[184:185], v[184:185], v[10:11] neg_lo:[0,1] neg_hi:[0,1]
	s_delay_alu instid0(VALU_DEP_2) | instskip(SKIP_1) | instid1(VALU_DEP_1)
	v_pk_fma_f32 v[10:11], v[8:9], v[2:3], v[6:7] op_sel:[0,0,1] op_sel_hi:[1,1,0] neg_lo:[0,0,1] neg_hi:[0,0,1]
	v_pk_fma_f32 v[6:7], v[8:9], v[2:3], v[6:7] op_sel:[0,0,1] op_sel_hi:[1,0,0]
	v_mov_b32_e32 v11, v7
	ds_load_2addr_b64 v[6:9], v134 offset0:42 offset1:43
	v_pk_add_f32 v[180:181], v[180:181], v[10:11] neg_lo:[0,1] neg_hi:[0,1]
	s_wait_dscnt 0x0
	v_pk_mul_f32 v[10:11], v[6:7], v[4:5] op_sel:[0,1]
	s_delay_alu instid0(VALU_DEP_1) | instskip(SKIP_1) | instid1(VALU_DEP_1)
	v_pk_fma_f32 v[12:13], v[6:7], v[2:3], v[10:11] op_sel:[0,0,1] op_sel_hi:[1,1,0] neg_lo:[0,0,1] neg_hi:[0,0,1]
	v_pk_fma_f32 v[6:7], v[6:7], v[2:3], v[10:11] op_sel:[0,0,1] op_sel_hi:[1,0,0]
	v_mov_b32_e32 v13, v7
	v_pk_mul_f32 v[6:7], v[8:9], v[4:5] op_sel:[0,1]
	s_delay_alu instid0(VALU_DEP_2) | instskip(NEXT) | instid1(VALU_DEP_2)
	v_pk_add_f32 v[182:183], v[182:183], v[12:13] neg_lo:[0,1] neg_hi:[0,1]
	v_pk_fma_f32 v[10:11], v[8:9], v[2:3], v[6:7] op_sel:[0,0,1] op_sel_hi:[1,1,0] neg_lo:[0,0,1] neg_hi:[0,0,1]
	v_pk_fma_f32 v[6:7], v[8:9], v[2:3], v[6:7] op_sel:[0,0,1] op_sel_hi:[1,0,0]
	s_delay_alu instid0(VALU_DEP_1) | instskip(SKIP_4) | instid1(VALU_DEP_1)
	v_mov_b32_e32 v11, v7
	ds_load_2addr_b64 v[6:9], v134 offset0:44 offset1:45
	v_pk_add_f32 v[178:179], v[178:179], v[10:11] neg_lo:[0,1] neg_hi:[0,1]
	s_wait_dscnt 0x0
	v_pk_mul_f32 v[10:11], v[6:7], v[4:5] op_sel:[0,1]
	v_pk_fma_f32 v[12:13], v[6:7], v[2:3], v[10:11] op_sel:[0,0,1] op_sel_hi:[1,1,0] neg_lo:[0,0,1] neg_hi:[0,0,1]
	v_pk_fma_f32 v[6:7], v[6:7], v[2:3], v[10:11] op_sel:[0,0,1] op_sel_hi:[1,0,0]
	v_dual_mul_f32 v10, v9, v5 :: v_dual_mov_b32 v6, v9
	s_delay_alu instid0(VALU_DEP_2) | instskip(NEXT) | instid1(VALU_DEP_2)
	v_dual_mov_b32 v13, v7 :: v_dual_mov_b32 v7, v8
	v_pk_fma_f32 v[10:11], v[8:9], v[92:93], v[10:11] op_sel_hi:[1,1,0] neg_lo:[0,0,1] neg_hi:[0,0,1]
	v_mul_f32_e32 v8, v9, v2
	s_delay_alu instid0(VALU_DEP_3) | instskip(NEXT) | instid1(VALU_DEP_2)
	v_pk_add_f32 v[208:209], v[208:209], v[12:13] neg_lo:[0,1] neg_hi:[0,1]
	v_pk_fma_f32 v[6:7], v[6:7], v[92:93], v[8:9] op_sel_hi:[1,1,0]
	s_delay_alu instid0(VALU_DEP_1) | instskip(SKIP_4) | instid1(VALU_DEP_1)
	v_mov_b32_e32 v11, v7
	ds_load_2addr_b64 v[6:9], v134 offset0:46 offset1:47
	v_pk_add_f32 v[200:201], v[200:201], v[10:11] neg_lo:[0,1] neg_hi:[0,1]
	s_wait_dscnt 0x0
	v_pk_mul_f32 v[10:11], v[6:7], v[4:5] op_sel:[0,1]
	v_pk_fma_f32 v[12:13], v[6:7], v[2:3], v[10:11] op_sel:[0,0,1] op_sel_hi:[1,1,0] neg_lo:[0,0,1] neg_hi:[0,0,1]
	v_pk_fma_f32 v[6:7], v[6:7], v[2:3], v[10:11] op_sel:[0,0,1] op_sel_hi:[1,0,0]
	s_delay_alu instid0(VALU_DEP_1) | instskip(SKIP_1) | instid1(VALU_DEP_1)
	v_mov_b32_e32 v13, v7
	v_pk_mul_f32 v[6:7], v[8:9], v[4:5] op_sel:[0,1]
	v_pk_fma_f32 v[10:11], v[8:9], v[2:3], v[6:7] op_sel:[0,0,1] op_sel_hi:[1,1,0] neg_lo:[0,0,1] neg_hi:[0,0,1]
	v_pk_fma_f32 v[6:7], v[8:9], v[2:3], v[6:7] op_sel:[0,0,1] op_sel_hi:[1,0,0]
	s_delay_alu instid0(VALU_DEP_1)
	v_mov_b32_e32 v11, v7
	ds_load_2addr_b64 v[6:9], v134 offset0:48 offset1:49
	v_pk_add_f32 v[206:207], v[206:207], v[12:13] neg_lo:[0,1] neg_hi:[0,1]
	v_pk_add_f32 v[198:199], v[198:199], v[10:11] neg_lo:[0,1] neg_hi:[0,1]
	s_wait_dscnt 0x0
	v_pk_mul_f32 v[10:11], v[6:7], v[4:5] op_sel:[0,1]
	s_delay_alu instid0(VALU_DEP_1) | instskip(SKIP_1) | instid1(VALU_DEP_1)
	v_pk_fma_f32 v[12:13], v[6:7], v[2:3], v[10:11] op_sel:[0,0,1] op_sel_hi:[1,1,0] neg_lo:[0,0,1] neg_hi:[0,0,1]
	v_pk_fma_f32 v[6:7], v[6:7], v[2:3], v[10:11] op_sel:[0,0,1] op_sel_hi:[1,0,0]
	v_mov_b32_e32 v13, v7
	v_pk_mul_f32 v[6:7], v[8:9], v[4:5] op_sel:[0,1]
	s_delay_alu instid0(VALU_DEP_1) | instskip(SKIP_1) | instid1(VALU_DEP_1)
	v_pk_fma_f32 v[10:11], v[8:9], v[2:3], v[6:7] op_sel:[0,0,1] op_sel_hi:[1,1,0] neg_lo:[0,0,1] neg_hi:[0,0,1]
	v_pk_fma_f32 v[6:7], v[8:9], v[2:3], v[6:7] op_sel:[0,0,1] op_sel_hi:[1,0,0]
	v_mov_b32_e32 v11, v7
	ds_load_2addr_b64 v[6:9], v134 offset0:50 offset1:51
	v_pk_add_f32 v[204:205], v[204:205], v[12:13] neg_lo:[0,1] neg_hi:[0,1]
	v_pk_add_f32 v[196:197], v[196:197], v[10:11] neg_lo:[0,1] neg_hi:[0,1]
	s_wait_dscnt 0x0
	v_dual_mul_f32 v10, v7, v5 :: v_dual_mul_f32 v12, v7, v2
	s_delay_alu instid0(VALU_DEP_1) | instskip(NEXT) | instid1(VALU_DEP_2)
	v_pk_fma_f32 v[10:11], v[6:7], v[92:93], v[10:11] op_sel_hi:[1,1,0] neg_lo:[0,0,1] neg_hi:[0,0,1]
	v_pk_fma_f32 v[6:7], v[6:7], v[92:93], v[12:13] op_sel:[1,0,0] op_sel_hi:[0,1,0]
	s_delay_alu instid0(VALU_DEP_1) | instskip(SKIP_1) | instid1(VALU_DEP_2)
	v_mov_b32_e32 v11, v7
	v_pk_mul_f32 v[6:7], v[8:9], v[4:5] op_sel:[0,1]
	v_pk_add_f32 v[202:203], v[202:203], v[10:11] neg_lo:[0,1] neg_hi:[0,1]
	s_delay_alu instid0(VALU_DEP_2) | instskip(SKIP_1) | instid1(VALU_DEP_1)
	v_pk_fma_f32 v[10:11], v[8:9], v[2:3], v[6:7] op_sel:[0,0,1] op_sel_hi:[1,1,0] neg_lo:[0,0,1] neg_hi:[0,0,1]
	v_pk_fma_f32 v[6:7], v[8:9], v[2:3], v[6:7] op_sel:[0,0,1] op_sel_hi:[1,0,0]
	v_mov_b32_e32 v11, v7
	ds_load_b64 v[6:7], v134 offset:416
	v_pk_add_f32 v[210:211], v[210:211], v[10:11] neg_lo:[0,1] neg_hi:[0,1]
	s_wait_dscnt 0x0
	v_pk_mul_f32 v[4:5], v[6:7], v[4:5] op_sel:[0,1]
	s_delay_alu instid0(VALU_DEP_1) | instskip(SKIP_1) | instid1(VALU_DEP_1)
	v_pk_fma_f32 v[8:9], v[6:7], v[2:3], v[4:5] op_sel:[0,0,1] op_sel_hi:[1,1,0] neg_lo:[0,0,1] neg_hi:[0,0,1]
	v_pk_fma_f32 v[2:3], v[6:7], v[2:3], v[4:5] op_sel:[0,0,1] op_sel_hi:[1,0,0]
	v_mov_b32_e32 v9, v3
	s_delay_alu instid0(VALU_DEP_1)
	v_pk_add_f32 v[212:213], v[212:213], v[8:9] neg_lo:[0,1] neg_hi:[0,1]
.LBB105_199:
	s_wait_xcnt 0x0
	s_or_b32 exec_lo, exec_lo, s1
	s_delay_alu instid0(SALU_CYCLE_1)
	s_mov_b32 s2, exec_lo
	s_wait_storecnt 0x0
	s_barrier_signal -1
	s_barrier_wait -1
	v_cmpx_eq_u32_e32 22, v132
	s_cbranch_execz .LBB105_206
; %bb.200:
	ds_store_b64 v133, v[94:95]
	ds_store_2addr_b64 v134, v[90:91], v[112:113] offset0:23 offset1:24
	ds_store_2addr_b64 v134, v[108:109], v[110:111] offset0:25 offset1:26
	;; [unrolled: 1-line block ×15, first 2 shown]
	ds_load_b64 v[2:3], v133
	s_wait_dscnt 0x0
	v_cmp_neq_f32_e32 vcc_lo, 0, v2
	v_cmp_neq_f32_e64 s1, 0, v3
	s_or_b32 s1, vcc_lo, s1
	s_delay_alu instid0(SALU_CYCLE_1)
	s_and_b32 exec_lo, exec_lo, s1
	s_cbranch_execz .LBB105_206
; %bb.201:
	v_cmp_ngt_f32_e64 s1, |v2|, |v3|
                                        ; implicit-def: $vgpr4_vgpr5
	s_and_saveexec_b32 s4, s1
	s_delay_alu instid0(SALU_CYCLE_1)
	s_xor_b32 s1, exec_lo, s4
	s_cbranch_execz .LBB105_203
; %bb.202:
	v_div_scale_f32 v4, null, v3, v3, v2
	v_div_scale_f32 v7, vcc_lo, v2, v3, v2
	s_delay_alu instid0(VALU_DEP_2) | instskip(SKIP_1) | instid1(TRANS32_DEP_1)
	v_rcp_f32_e32 v5, v4
	v_nop
	v_fma_f32 v6, -v4, v5, 1.0
	s_delay_alu instid0(VALU_DEP_1) | instskip(NEXT) | instid1(VALU_DEP_1)
	v_fmac_f32_e32 v5, v6, v5
	v_mul_f32_e32 v6, v7, v5
	s_delay_alu instid0(VALU_DEP_1) | instskip(NEXT) | instid1(VALU_DEP_1)
	v_fma_f32 v8, -v4, v6, v7
	v_fmac_f32_e32 v6, v8, v5
	s_delay_alu instid0(VALU_DEP_1) | instskip(NEXT) | instid1(VALU_DEP_1)
	v_fma_f32 v4, -v4, v6, v7
	v_div_fmas_f32 v4, v4, v5, v6
	s_delay_alu instid0(VALU_DEP_1) | instskip(NEXT) | instid1(VALU_DEP_1)
	v_div_fixup_f32 v4, v4, v3, v2
	v_fmac_f32_e32 v3, v2, v4
	s_delay_alu instid0(VALU_DEP_1) | instskip(SKIP_1) | instid1(VALU_DEP_2)
	v_div_scale_f32 v2, null, v3, v3, 1.0
	v_div_scale_f32 v7, vcc_lo, 1.0, v3, 1.0
	v_rcp_f32_e32 v5, v2
	v_nop
	s_delay_alu instid0(TRANS32_DEP_1) | instskip(NEXT) | instid1(VALU_DEP_1)
	v_fma_f32 v6, -v2, v5, 1.0
	v_fmac_f32_e32 v5, v6, v5
	s_delay_alu instid0(VALU_DEP_1) | instskip(NEXT) | instid1(VALU_DEP_1)
	v_mul_f32_e32 v6, v7, v5
	v_fma_f32 v8, -v2, v6, v7
	s_delay_alu instid0(VALU_DEP_1) | instskip(NEXT) | instid1(VALU_DEP_1)
	v_fmac_f32_e32 v6, v8, v5
	v_fma_f32 v2, -v2, v6, v7
	s_delay_alu instid0(VALU_DEP_1) | instskip(NEXT) | instid1(VALU_DEP_1)
	v_div_fmas_f32 v2, v2, v5, v6
	v_div_fixup_f32 v2, v2, v3, 1.0
	s_delay_alu instid0(VALU_DEP_1)
	v_mul_f32_e32 v4, v4, v2
	v_xor_b32_e32 v5, 0x80000000, v2
                                        ; implicit-def: $vgpr2_vgpr3
.LBB105_203:
	s_and_not1_saveexec_b32 s1, s1
	s_cbranch_execz .LBB105_205
; %bb.204:
	v_div_scale_f32 v4, null, v2, v2, v3
	v_div_scale_f32 v7, vcc_lo, v3, v2, v3
	s_delay_alu instid0(VALU_DEP_2) | instskip(SKIP_1) | instid1(TRANS32_DEP_1)
	v_rcp_f32_e32 v5, v4
	v_nop
	v_fma_f32 v6, -v4, v5, 1.0
	s_delay_alu instid0(VALU_DEP_1) | instskip(NEXT) | instid1(VALU_DEP_1)
	v_fmac_f32_e32 v5, v6, v5
	v_mul_f32_e32 v6, v7, v5
	s_delay_alu instid0(VALU_DEP_1) | instskip(NEXT) | instid1(VALU_DEP_1)
	v_fma_f32 v8, -v4, v6, v7
	v_fmac_f32_e32 v6, v8, v5
	s_delay_alu instid0(VALU_DEP_1) | instskip(NEXT) | instid1(VALU_DEP_1)
	v_fma_f32 v4, -v4, v6, v7
	v_div_fmas_f32 v4, v4, v5, v6
	s_delay_alu instid0(VALU_DEP_1) | instskip(NEXT) | instid1(VALU_DEP_1)
	v_div_fixup_f32 v5, v4, v2, v3
	v_fmac_f32_e32 v2, v3, v5
	s_delay_alu instid0(VALU_DEP_1) | instskip(NEXT) | instid1(VALU_DEP_1)
	v_div_scale_f32 v3, null, v2, v2, 1.0
	v_rcp_f32_e32 v4, v3
	v_nop
	s_delay_alu instid0(TRANS32_DEP_1) | instskip(NEXT) | instid1(VALU_DEP_1)
	v_fma_f32 v6, -v3, v4, 1.0
	v_fmac_f32_e32 v4, v6, v4
	v_div_scale_f32 v6, vcc_lo, 1.0, v2, 1.0
	s_delay_alu instid0(VALU_DEP_1) | instskip(NEXT) | instid1(VALU_DEP_1)
	v_mul_f32_e32 v7, v6, v4
	v_fma_f32 v8, -v3, v7, v6
	s_delay_alu instid0(VALU_DEP_1) | instskip(NEXT) | instid1(VALU_DEP_1)
	v_fmac_f32_e32 v7, v8, v4
	v_fma_f32 v3, -v3, v7, v6
	s_delay_alu instid0(VALU_DEP_1) | instskip(NEXT) | instid1(VALU_DEP_1)
	v_div_fmas_f32 v3, v3, v4, v7
	v_div_fixup_f32 v4, v3, v2, 1.0
	s_delay_alu instid0(VALU_DEP_1)
	v_mul_f32_e64 v5, v5, -v4
.LBB105_205:
	s_or_b32 exec_lo, exec_lo, s1
	ds_store_b64 v133, v[4:5]
.LBB105_206:
	s_or_b32 exec_lo, exec_lo, s2
	s_wait_dscnt 0x0
	s_barrier_signal -1
	s_barrier_wait -1
	ds_load_b64 v[2:3], v133
	s_mov_b32 s1, exec_lo
	v_cmpx_lt_u32_e32 22, v132
	s_cbranch_execz .LBB105_208
; %bb.207:
	ds_load_2addr_b64 v[8:11], v134 offset0:23 offset1:24
	s_wait_dscnt 0x1
	v_pk_mul_f32 v[6:7], v[2:3], v[94:95] op_sel:[1,1] op_sel_hi:[0,1]
	s_delay_alu instid0(VALU_DEP_1) | instskip(SKIP_1) | instid1(VALU_DEP_1)
	v_pk_fma_f32 v[4:5], v[2:3], v[94:95], v[6:7] op_sel_hi:[1,0,1] neg_lo:[0,0,1] neg_hi:[0,0,1]
	v_pk_fma_f32 v[6:7], v[2:3], v[94:95], v[6:7] op_sel_hi:[1,0,1]
	v_dual_mov_b32 v94, v4 :: v_dual_mov_b32 v95, v7
	s_wait_dscnt 0x0
	s_delay_alu instid0(VALU_DEP_2) | instskip(NEXT) | instid1(VALU_DEP_1)
	v_pk_mul_f32 v[12:13], v[8:9], v[6:7] op_sel:[0,1]
	v_pk_fma_f32 v[14:15], v[8:9], v[4:5], v[12:13] op_sel:[0,0,1] op_sel_hi:[1,1,0] neg_lo:[0,0,1] neg_hi:[0,0,1]
	v_pk_fma_f32 v[8:9], v[8:9], v[4:5], v[12:13] op_sel:[0,0,1] op_sel_hi:[1,0,0]
	s_delay_alu instid0(VALU_DEP_1) | instskip(SKIP_1) | instid1(VALU_DEP_1)
	v_mov_b32_e32 v15, v9
	v_pk_mul_f32 v[8:9], v[10:11], v[6:7] op_sel:[0,1]
	v_pk_fma_f32 v[12:13], v[10:11], v[4:5], v[8:9] op_sel:[0,0,1] op_sel_hi:[1,1,0] neg_lo:[0,0,1] neg_hi:[0,0,1]
	v_pk_fma_f32 v[8:9], v[10:11], v[4:5], v[8:9] op_sel:[0,0,1] op_sel_hi:[1,0,0]
	s_delay_alu instid0(VALU_DEP_1)
	v_mov_b32_e32 v13, v9
	ds_load_2addr_b64 v[8:11], v134 offset0:25 offset1:26
	v_pk_add_f32 v[90:91], v[90:91], v[14:15] neg_lo:[0,1] neg_hi:[0,1]
	v_pk_add_f32 v[112:113], v[112:113], v[12:13] neg_lo:[0,1] neg_hi:[0,1]
	s_wait_dscnt 0x0
	v_pk_mul_f32 v[12:13], v[8:9], v[6:7] op_sel:[0,1]
	s_delay_alu instid0(VALU_DEP_1) | instskip(SKIP_2) | instid1(VALU_DEP_2)
	v_pk_fma_f32 v[14:15], v[8:9], v[4:5], v[12:13] op_sel:[0,0,1] op_sel_hi:[1,1,0] neg_lo:[0,0,1] neg_hi:[0,0,1]
	v_pk_fma_f32 v[8:9], v[8:9], v[4:5], v[12:13] op_sel:[0,0,1] op_sel_hi:[1,0,0]
	v_dual_mul_f32 v12, v11, v7 :: v_dual_mov_b32 v8, v11
	v_dual_mov_b32 v15, v9 :: v_dual_mov_b32 v9, v10
	s_delay_alu instid0(VALU_DEP_2) | instskip(SKIP_1) | instid1(VALU_DEP_3)
	v_pk_fma_f32 v[12:13], v[10:11], v[94:95], v[12:13] op_sel_hi:[1,1,0] neg_lo:[0,0,1] neg_hi:[0,0,1]
	v_mul_f32_e32 v10, v11, v4
	v_pk_add_f32 v[108:109], v[108:109], v[14:15] neg_lo:[0,1] neg_hi:[0,1]
	s_delay_alu instid0(VALU_DEP_2) | instskip(NEXT) | instid1(VALU_DEP_1)
	v_pk_fma_f32 v[8:9], v[8:9], v[94:95], v[10:11] op_sel_hi:[1,1,0]
	v_mov_b32_e32 v13, v9
	ds_load_2addr_b64 v[8:11], v134 offset0:27 offset1:28
	v_pk_add_f32 v[110:111], v[110:111], v[12:13] neg_lo:[0,1] neg_hi:[0,1]
	s_wait_dscnt 0x0
	v_pk_mul_f32 v[12:13], v[8:9], v[6:7] op_sel:[0,1]
	s_delay_alu instid0(VALU_DEP_1) | instskip(SKIP_1) | instid1(VALU_DEP_1)
	v_pk_fma_f32 v[14:15], v[8:9], v[4:5], v[12:13] op_sel:[0,0,1] op_sel_hi:[1,1,0] neg_lo:[0,0,1] neg_hi:[0,0,1]
	v_pk_fma_f32 v[8:9], v[8:9], v[4:5], v[12:13] op_sel:[0,0,1] op_sel_hi:[1,0,0]
	v_mov_b32_e32 v15, v9
	v_pk_mul_f32 v[8:9], v[10:11], v[6:7] op_sel:[0,1]
	s_delay_alu instid0(VALU_DEP_1) | instskip(SKIP_1) | instid1(VALU_DEP_1)
	v_pk_fma_f32 v[12:13], v[10:11], v[4:5], v[8:9] op_sel:[0,0,1] op_sel_hi:[1,1,0] neg_lo:[0,0,1] neg_hi:[0,0,1]
	v_pk_fma_f32 v[8:9], v[10:11], v[4:5], v[8:9] op_sel:[0,0,1] op_sel_hi:[1,0,0]
	v_mov_b32_e32 v13, v9
	ds_load_2addr_b64 v[8:11], v134 offset0:29 offset1:30
	v_pk_add_f32 v[106:107], v[106:107], v[14:15] neg_lo:[0,1] neg_hi:[0,1]
	v_pk_add_f32 v[130:131], v[130:131], v[12:13] neg_lo:[0,1] neg_hi:[0,1]
	s_wait_dscnt 0x0
	v_pk_mul_f32 v[12:13], v[8:9], v[6:7] op_sel:[0,1]
	s_delay_alu instid0(VALU_DEP_1) | instskip(SKIP_1) | instid1(VALU_DEP_1)
	v_pk_fma_f32 v[14:15], v[8:9], v[4:5], v[12:13] op_sel:[0,0,1] op_sel_hi:[1,1,0] neg_lo:[0,0,1] neg_hi:[0,0,1]
	v_pk_fma_f32 v[8:9], v[8:9], v[4:5], v[12:13] op_sel:[0,0,1] op_sel_hi:[1,0,0]
	v_mov_b32_e32 v15, v9
	v_pk_mul_f32 v[8:9], v[10:11], v[6:7] op_sel:[0,1]
	s_delay_alu instid0(VALU_DEP_1) | instskip(SKIP_1) | instid1(VALU_DEP_1)
	v_pk_fma_f32 v[12:13], v[10:11], v[4:5], v[8:9] op_sel:[0,0,1] op_sel_hi:[1,1,0] neg_lo:[0,0,1] neg_hi:[0,0,1]
	v_pk_fma_f32 v[8:9], v[10:11], v[4:5], v[8:9] op_sel:[0,0,1] op_sel_hi:[1,0,0]
	v_mov_b32_e32 v13, v9
	ds_load_2addr_b64 v[8:11], v134 offset0:31 offset1:32
	v_pk_add_f32 v[126:127], v[126:127], v[14:15] neg_lo:[0,1] neg_hi:[0,1]
	v_pk_add_f32 v[128:129], v[128:129], v[12:13] neg_lo:[0,1] neg_hi:[0,1]
	s_wait_dscnt 0x0
	v_dual_mul_f32 v12, v9, v7 :: v_dual_mul_f32 v14, v9, v4
	s_delay_alu instid0(VALU_DEP_1) | instskip(NEXT) | instid1(VALU_DEP_2)
	v_pk_fma_f32 v[12:13], v[8:9], v[94:95], v[12:13] op_sel_hi:[1,1,0] neg_lo:[0,0,1] neg_hi:[0,0,1]
	v_pk_fma_f32 v[8:9], v[8:9], v[94:95], v[14:15] op_sel:[1,0,0] op_sel_hi:[0,1,0]
	s_delay_alu instid0(VALU_DEP_1) | instskip(SKIP_1) | instid1(VALU_DEP_2)
	v_mov_b32_e32 v13, v9
	v_pk_mul_f32 v[8:9], v[10:11], v[6:7] op_sel:[0,1]
	v_pk_add_f32 v[124:125], v[124:125], v[12:13] neg_lo:[0,1] neg_hi:[0,1]
	s_delay_alu instid0(VALU_DEP_2) | instskip(SKIP_1) | instid1(VALU_DEP_1)
	v_pk_fma_f32 v[12:13], v[10:11], v[4:5], v[8:9] op_sel:[0,0,1] op_sel_hi:[1,1,0] neg_lo:[0,0,1] neg_hi:[0,0,1]
	v_pk_fma_f32 v[8:9], v[10:11], v[4:5], v[8:9] op_sel:[0,0,1] op_sel_hi:[1,0,0]
	v_mov_b32_e32 v13, v9
	ds_load_2addr_b64 v[8:11], v134 offset0:33 offset1:34
	v_pk_add_f32 v[146:147], v[146:147], v[12:13] neg_lo:[0,1] neg_hi:[0,1]
	s_wait_dscnt 0x0
	v_pk_mul_f32 v[12:13], v[8:9], v[6:7] op_sel:[0,1]
	s_delay_alu instid0(VALU_DEP_1) | instskip(SKIP_1) | instid1(VALU_DEP_1)
	v_pk_fma_f32 v[14:15], v[8:9], v[4:5], v[12:13] op_sel:[0,0,1] op_sel_hi:[1,1,0] neg_lo:[0,0,1] neg_hi:[0,0,1]
	v_pk_fma_f32 v[8:9], v[8:9], v[4:5], v[12:13] op_sel:[0,0,1] op_sel_hi:[1,0,0]
	v_mov_b32_e32 v15, v9
	v_pk_mul_f32 v[8:9], v[10:11], v[6:7] op_sel:[0,1]
	s_delay_alu instid0(VALU_DEP_2) | instskip(NEXT) | instid1(VALU_DEP_2)
	v_pk_add_f32 v[142:143], v[142:143], v[14:15] neg_lo:[0,1] neg_hi:[0,1]
	v_pk_fma_f32 v[12:13], v[10:11], v[4:5], v[8:9] op_sel:[0,0,1] op_sel_hi:[1,1,0] neg_lo:[0,0,1] neg_hi:[0,0,1]
	v_pk_fma_f32 v[8:9], v[10:11], v[4:5], v[8:9] op_sel:[0,0,1] op_sel_hi:[1,0,0]
	s_delay_alu instid0(VALU_DEP_1) | instskip(SKIP_4) | instid1(VALU_DEP_1)
	v_mov_b32_e32 v13, v9
	ds_load_2addr_b64 v[8:11], v134 offset0:35 offset1:36
	v_pk_add_f32 v[144:145], v[144:145], v[12:13] neg_lo:[0,1] neg_hi:[0,1]
	s_wait_dscnt 0x0
	v_pk_mul_f32 v[12:13], v[8:9], v[6:7] op_sel:[0,1]
	v_pk_fma_f32 v[14:15], v[8:9], v[4:5], v[12:13] op_sel:[0,0,1] op_sel_hi:[1,1,0] neg_lo:[0,0,1] neg_hi:[0,0,1]
	v_pk_fma_f32 v[8:9], v[8:9], v[4:5], v[12:13] op_sel:[0,0,1] op_sel_hi:[1,0,0]
	v_dual_mul_f32 v12, v11, v7 :: v_dual_mov_b32 v8, v11
	s_delay_alu instid0(VALU_DEP_2) | instskip(NEXT) | instid1(VALU_DEP_2)
	v_dual_mov_b32 v15, v9 :: v_dual_mov_b32 v9, v10
	v_pk_fma_f32 v[12:13], v[10:11], v[94:95], v[12:13] op_sel_hi:[1,1,0] neg_lo:[0,0,1] neg_hi:[0,0,1]
	v_mul_f32_e32 v10, v11, v4
	s_delay_alu instid0(VALU_DEP_3) | instskip(NEXT) | instid1(VALU_DEP_2)
	v_pk_add_f32 v[140:141], v[140:141], v[14:15] neg_lo:[0,1] neg_hi:[0,1]
	v_pk_fma_f32 v[8:9], v[8:9], v[94:95], v[10:11] op_sel_hi:[1,1,0]
	s_delay_alu instid0(VALU_DEP_1) | instskip(SKIP_4) | instid1(VALU_DEP_1)
	v_mov_b32_e32 v13, v9
	ds_load_2addr_b64 v[8:11], v134 offset0:37 offset1:38
	v_pk_add_f32 v[162:163], v[162:163], v[12:13] neg_lo:[0,1] neg_hi:[0,1]
	s_wait_dscnt 0x0
	v_pk_mul_f32 v[12:13], v[8:9], v[6:7] op_sel:[0,1]
	v_pk_fma_f32 v[14:15], v[8:9], v[4:5], v[12:13] op_sel:[0,0,1] op_sel_hi:[1,1,0] neg_lo:[0,0,1] neg_hi:[0,0,1]
	v_pk_fma_f32 v[8:9], v[8:9], v[4:5], v[12:13] op_sel:[0,0,1] op_sel_hi:[1,0,0]
	s_delay_alu instid0(VALU_DEP_1) | instskip(SKIP_1) | instid1(VALU_DEP_1)
	v_mov_b32_e32 v15, v9
	v_pk_mul_f32 v[8:9], v[10:11], v[6:7] op_sel:[0,1]
	v_pk_fma_f32 v[12:13], v[10:11], v[4:5], v[8:9] op_sel:[0,0,1] op_sel_hi:[1,1,0] neg_lo:[0,0,1] neg_hi:[0,0,1]
	v_pk_fma_f32 v[8:9], v[10:11], v[4:5], v[8:9] op_sel:[0,0,1] op_sel_hi:[1,0,0]
	s_delay_alu instid0(VALU_DEP_1)
	v_mov_b32_e32 v13, v9
	ds_load_2addr_b64 v[8:11], v134 offset0:39 offset1:40
	v_pk_add_f32 v[158:159], v[158:159], v[14:15] neg_lo:[0,1] neg_hi:[0,1]
	v_pk_add_f32 v[160:161], v[160:161], v[12:13] neg_lo:[0,1] neg_hi:[0,1]
	s_wait_dscnt 0x0
	v_pk_mul_f32 v[12:13], v[8:9], v[6:7] op_sel:[0,1]
	s_delay_alu instid0(VALU_DEP_1) | instskip(SKIP_1) | instid1(VALU_DEP_1)
	v_pk_fma_f32 v[14:15], v[8:9], v[4:5], v[12:13] op_sel:[0,0,1] op_sel_hi:[1,1,0] neg_lo:[0,0,1] neg_hi:[0,0,1]
	v_pk_fma_f32 v[8:9], v[8:9], v[4:5], v[12:13] op_sel:[0,0,1] op_sel_hi:[1,0,0]
	v_mov_b32_e32 v15, v9
	v_pk_mul_f32 v[8:9], v[10:11], v[6:7] op_sel:[0,1]
	s_delay_alu instid0(VALU_DEP_1) | instskip(SKIP_1) | instid1(VALU_DEP_1)
	v_pk_fma_f32 v[12:13], v[10:11], v[4:5], v[8:9] op_sel:[0,0,1] op_sel_hi:[1,1,0] neg_lo:[0,0,1] neg_hi:[0,0,1]
	v_pk_fma_f32 v[8:9], v[10:11], v[4:5], v[8:9] op_sel:[0,0,1] op_sel_hi:[1,0,0]
	v_mov_b32_e32 v13, v9
	ds_load_2addr_b64 v[8:11], v134 offset0:41 offset1:42
	v_pk_add_f32 v[156:157], v[156:157], v[14:15] neg_lo:[0,1] neg_hi:[0,1]
	v_pk_add_f32 v[184:185], v[184:185], v[12:13] neg_lo:[0,1] neg_hi:[0,1]
	s_wait_dscnt 0x0
	v_dual_mul_f32 v12, v9, v7 :: v_dual_mul_f32 v14, v9, v4
	s_delay_alu instid0(VALU_DEP_1) | instskip(NEXT) | instid1(VALU_DEP_2)
	v_pk_fma_f32 v[12:13], v[8:9], v[94:95], v[12:13] op_sel_hi:[1,1,0] neg_lo:[0,0,1] neg_hi:[0,0,1]
	v_pk_fma_f32 v[8:9], v[8:9], v[94:95], v[14:15] op_sel:[1,0,0] op_sel_hi:[0,1,0]
	s_delay_alu instid0(VALU_DEP_1) | instskip(SKIP_1) | instid1(VALU_DEP_2)
	v_mov_b32_e32 v13, v9
	v_pk_mul_f32 v[8:9], v[10:11], v[6:7] op_sel:[0,1]
	v_pk_add_f32 v[180:181], v[180:181], v[12:13] neg_lo:[0,1] neg_hi:[0,1]
	s_delay_alu instid0(VALU_DEP_2) | instskip(SKIP_1) | instid1(VALU_DEP_1)
	v_pk_fma_f32 v[12:13], v[10:11], v[4:5], v[8:9] op_sel:[0,0,1] op_sel_hi:[1,1,0] neg_lo:[0,0,1] neg_hi:[0,0,1]
	v_pk_fma_f32 v[8:9], v[10:11], v[4:5], v[8:9] op_sel:[0,0,1] op_sel_hi:[1,0,0]
	v_mov_b32_e32 v13, v9
	ds_load_2addr_b64 v[8:11], v134 offset0:43 offset1:44
	v_pk_add_f32 v[182:183], v[182:183], v[12:13] neg_lo:[0,1] neg_hi:[0,1]
	s_wait_dscnt 0x0
	v_pk_mul_f32 v[12:13], v[8:9], v[6:7] op_sel:[0,1]
	s_delay_alu instid0(VALU_DEP_1) | instskip(SKIP_1) | instid1(VALU_DEP_1)
	v_pk_fma_f32 v[14:15], v[8:9], v[4:5], v[12:13] op_sel:[0,0,1] op_sel_hi:[1,1,0] neg_lo:[0,0,1] neg_hi:[0,0,1]
	v_pk_fma_f32 v[8:9], v[8:9], v[4:5], v[12:13] op_sel:[0,0,1] op_sel_hi:[1,0,0]
	v_mov_b32_e32 v15, v9
	v_pk_mul_f32 v[8:9], v[10:11], v[6:7] op_sel:[0,1]
	s_delay_alu instid0(VALU_DEP_2) | instskip(NEXT) | instid1(VALU_DEP_2)
	v_pk_add_f32 v[178:179], v[178:179], v[14:15] neg_lo:[0,1] neg_hi:[0,1]
	v_pk_fma_f32 v[12:13], v[10:11], v[4:5], v[8:9] op_sel:[0,0,1] op_sel_hi:[1,1,0] neg_lo:[0,0,1] neg_hi:[0,0,1]
	v_pk_fma_f32 v[8:9], v[10:11], v[4:5], v[8:9] op_sel:[0,0,1] op_sel_hi:[1,0,0]
	s_delay_alu instid0(VALU_DEP_1) | instskip(SKIP_4) | instid1(VALU_DEP_1)
	v_mov_b32_e32 v13, v9
	ds_load_2addr_b64 v[8:11], v134 offset0:45 offset1:46
	v_pk_add_f32 v[208:209], v[208:209], v[12:13] neg_lo:[0,1] neg_hi:[0,1]
	s_wait_dscnt 0x0
	v_pk_mul_f32 v[12:13], v[8:9], v[6:7] op_sel:[0,1]
	v_pk_fma_f32 v[14:15], v[8:9], v[4:5], v[12:13] op_sel:[0,0,1] op_sel_hi:[1,1,0] neg_lo:[0,0,1] neg_hi:[0,0,1]
	v_pk_fma_f32 v[8:9], v[8:9], v[4:5], v[12:13] op_sel:[0,0,1] op_sel_hi:[1,0,0]
	v_dual_mul_f32 v12, v11, v7 :: v_dual_mov_b32 v8, v11
	s_delay_alu instid0(VALU_DEP_2) | instskip(NEXT) | instid1(VALU_DEP_2)
	v_dual_mov_b32 v15, v9 :: v_dual_mov_b32 v9, v10
	v_pk_fma_f32 v[12:13], v[10:11], v[94:95], v[12:13] op_sel_hi:[1,1,0] neg_lo:[0,0,1] neg_hi:[0,0,1]
	v_mul_f32_e32 v10, v11, v4
	s_delay_alu instid0(VALU_DEP_3) | instskip(NEXT) | instid1(VALU_DEP_2)
	v_pk_add_f32 v[200:201], v[200:201], v[14:15] neg_lo:[0,1] neg_hi:[0,1]
	v_pk_fma_f32 v[8:9], v[8:9], v[94:95], v[10:11] op_sel_hi:[1,1,0]
	s_delay_alu instid0(VALU_DEP_1) | instskip(SKIP_4) | instid1(VALU_DEP_1)
	v_mov_b32_e32 v13, v9
	ds_load_2addr_b64 v[8:11], v134 offset0:47 offset1:48
	v_pk_add_f32 v[206:207], v[206:207], v[12:13] neg_lo:[0,1] neg_hi:[0,1]
	s_wait_dscnt 0x0
	v_pk_mul_f32 v[12:13], v[8:9], v[6:7] op_sel:[0,1]
	v_pk_fma_f32 v[14:15], v[8:9], v[4:5], v[12:13] op_sel:[0,0,1] op_sel_hi:[1,1,0] neg_lo:[0,0,1] neg_hi:[0,0,1]
	v_pk_fma_f32 v[8:9], v[8:9], v[4:5], v[12:13] op_sel:[0,0,1] op_sel_hi:[1,0,0]
	s_delay_alu instid0(VALU_DEP_1) | instskip(SKIP_1) | instid1(VALU_DEP_1)
	v_mov_b32_e32 v15, v9
	v_pk_mul_f32 v[8:9], v[10:11], v[6:7] op_sel:[0,1]
	v_pk_fma_f32 v[12:13], v[10:11], v[4:5], v[8:9] op_sel:[0,0,1] op_sel_hi:[1,1,0] neg_lo:[0,0,1] neg_hi:[0,0,1]
	v_pk_fma_f32 v[8:9], v[10:11], v[4:5], v[8:9] op_sel:[0,0,1] op_sel_hi:[1,0,0]
	s_delay_alu instid0(VALU_DEP_1)
	v_mov_b32_e32 v13, v9
	ds_load_2addr_b64 v[8:11], v134 offset0:49 offset1:50
	v_pk_add_f32 v[198:199], v[198:199], v[14:15] neg_lo:[0,1] neg_hi:[0,1]
	v_pk_add_f32 v[204:205], v[204:205], v[12:13] neg_lo:[0,1] neg_hi:[0,1]
	s_wait_dscnt 0x0
	v_pk_mul_f32 v[12:13], v[8:9], v[6:7] op_sel:[0,1]
	s_delay_alu instid0(VALU_DEP_1) | instskip(SKIP_1) | instid1(VALU_DEP_1)
	v_pk_fma_f32 v[14:15], v[8:9], v[4:5], v[12:13] op_sel:[0,0,1] op_sel_hi:[1,1,0] neg_lo:[0,0,1] neg_hi:[0,0,1]
	v_pk_fma_f32 v[8:9], v[8:9], v[4:5], v[12:13] op_sel:[0,0,1] op_sel_hi:[1,0,0]
	v_mov_b32_e32 v15, v9
	v_pk_mul_f32 v[8:9], v[10:11], v[6:7] op_sel:[0,1]
	s_delay_alu instid0(VALU_DEP_1) | instskip(SKIP_1) | instid1(VALU_DEP_1)
	v_pk_fma_f32 v[12:13], v[10:11], v[4:5], v[8:9] op_sel:[0,0,1] op_sel_hi:[1,1,0] neg_lo:[0,0,1] neg_hi:[0,0,1]
	v_pk_fma_f32 v[8:9], v[10:11], v[4:5], v[8:9] op_sel:[0,0,1] op_sel_hi:[1,0,0]
	v_mov_b32_e32 v13, v9
	ds_load_2addr_b64 v[8:11], v134 offset0:51 offset1:52
	v_pk_add_f32 v[196:197], v[196:197], v[14:15] neg_lo:[0,1] neg_hi:[0,1]
	v_pk_add_f32 v[202:203], v[202:203], v[12:13] neg_lo:[0,1] neg_hi:[0,1]
	s_wait_dscnt 0x0
	v_mul_f32_e32 v6, v9, v7
	s_delay_alu instid0(VALU_DEP_1) | instskip(SKIP_1) | instid1(VALU_DEP_1)
	v_pk_fma_f32 v[12:13], v[8:9], v[94:95], v[6:7] op_sel_hi:[1,1,0] neg_lo:[0,0,1] neg_hi:[0,0,1]
	v_dual_mul_f32 v6, v9, v4 :: v_dual_mul_f32 v4, v11, v4
	v_pk_fma_f32 v[8:9], v[8:9], v[94:95], v[6:7] op_sel:[1,0,0] op_sel_hi:[0,1,0]
	v_dual_mov_b32 v8, v11 :: v_dual_mul_f32 v6, v11, v7
	s_delay_alu instid0(VALU_DEP_2) | instskip(NEXT) | instid1(VALU_DEP_2)
	v_dual_mov_b32 v13, v9 :: v_dual_mov_b32 v9, v10
	v_pk_fma_f32 v[6:7], v[10:11], v[94:95], v[6:7] op_sel_hi:[1,1,0] neg_lo:[0,0,1] neg_hi:[0,0,1]
	s_delay_alu instid0(VALU_DEP_2) | instskip(NEXT) | instid1(VALU_DEP_3)
	v_pk_add_f32 v[210:211], v[210:211], v[12:13] neg_lo:[0,1] neg_hi:[0,1]
	v_pk_fma_f32 v[4:5], v[8:9], v[94:95], v[4:5] op_sel_hi:[1,1,0]
	s_delay_alu instid0(VALU_DEP_1) | instskip(NEXT) | instid1(VALU_DEP_1)
	v_mov_b32_e32 v7, v5
	v_pk_add_f32 v[212:213], v[212:213], v[6:7] neg_lo:[0,1] neg_hi:[0,1]
.LBB105_208:
	s_or_b32 exec_lo, exec_lo, s1
	s_delay_alu instid0(SALU_CYCLE_1)
	s_mov_b32 s2, exec_lo
	s_wait_dscnt 0x0
	s_barrier_signal -1
	s_barrier_wait -1
	v_cmpx_eq_u32_e32 23, v132
	s_cbranch_execz .LBB105_215
; %bb.209:
	v_dual_mov_b32 v4, v112 :: v_dual_mov_b32 v5, v113
	v_dual_mov_b32 v6, v108 :: v_dual_mov_b32 v7, v109
	ds_store_b64 v133, v[90:91]
	ds_store_2addr_b64 v134, v[4:5], v[6:7] offset0:24 offset1:25
	v_dual_mov_b32 v4, v110 :: v_dual_mov_b32 v5, v111
	v_dual_mov_b32 v6, v106 :: v_dual_mov_b32 v7, v107
	ds_store_2addr_b64 v134, v[4:5], v[6:7] offset0:26 offset1:27
	v_dual_mov_b32 v4, v130 :: v_dual_mov_b32 v5, v131
	v_dual_mov_b32 v6, v126 :: v_dual_mov_b32 v7, v127
	;; [unrolled: 3-line block ×13, first 2 shown]
	ds_store_2addr_b64 v134, v[4:5], v[6:7] offset0:50 offset1:51
	ds_store_b64 v134, v[212:213] offset:416
	ds_load_b64 v[4:5], v133
	s_wait_dscnt 0x0
	v_cmp_neq_f32_e32 vcc_lo, 0, v4
	v_cmp_neq_f32_e64 s1, 0, v5
	s_or_b32 s1, vcc_lo, s1
	s_delay_alu instid0(SALU_CYCLE_1)
	s_and_b32 exec_lo, exec_lo, s1
	s_cbranch_execz .LBB105_215
; %bb.210:
	v_cmp_ngt_f32_e64 s1, |v4|, |v5|
                                        ; implicit-def: $vgpr6_vgpr7
	s_and_saveexec_b32 s4, s1
	s_delay_alu instid0(SALU_CYCLE_1)
	s_xor_b32 s1, exec_lo, s4
	s_cbranch_execz .LBB105_212
; %bb.211:
	v_div_scale_f32 v6, null, v5, v5, v4
	v_div_scale_f32 v9, vcc_lo, v4, v5, v4
	s_delay_alu instid0(VALU_DEP_2) | instskip(SKIP_1) | instid1(TRANS32_DEP_1)
	v_rcp_f32_e32 v7, v6
	v_nop
	v_fma_f32 v8, -v6, v7, 1.0
	s_delay_alu instid0(VALU_DEP_1) | instskip(NEXT) | instid1(VALU_DEP_1)
	v_fmac_f32_e32 v7, v8, v7
	v_mul_f32_e32 v8, v9, v7
	s_delay_alu instid0(VALU_DEP_1) | instskip(NEXT) | instid1(VALU_DEP_1)
	v_fma_f32 v10, -v6, v8, v9
	v_fmac_f32_e32 v8, v10, v7
	s_delay_alu instid0(VALU_DEP_1) | instskip(NEXT) | instid1(VALU_DEP_1)
	v_fma_f32 v6, -v6, v8, v9
	v_div_fmas_f32 v6, v6, v7, v8
	s_delay_alu instid0(VALU_DEP_1) | instskip(NEXT) | instid1(VALU_DEP_1)
	v_div_fixup_f32 v6, v6, v5, v4
	v_fmac_f32_e32 v5, v4, v6
	s_delay_alu instid0(VALU_DEP_1) | instskip(SKIP_1) | instid1(VALU_DEP_2)
	v_div_scale_f32 v4, null, v5, v5, 1.0
	v_div_scale_f32 v9, vcc_lo, 1.0, v5, 1.0
	v_rcp_f32_e32 v7, v4
	v_nop
	s_delay_alu instid0(TRANS32_DEP_1) | instskip(NEXT) | instid1(VALU_DEP_1)
	v_fma_f32 v8, -v4, v7, 1.0
	v_fmac_f32_e32 v7, v8, v7
	s_delay_alu instid0(VALU_DEP_1) | instskip(NEXT) | instid1(VALU_DEP_1)
	v_mul_f32_e32 v8, v9, v7
	v_fma_f32 v10, -v4, v8, v9
	s_delay_alu instid0(VALU_DEP_1) | instskip(NEXT) | instid1(VALU_DEP_1)
	v_fmac_f32_e32 v8, v10, v7
	v_fma_f32 v4, -v4, v8, v9
	s_delay_alu instid0(VALU_DEP_1) | instskip(NEXT) | instid1(VALU_DEP_1)
	v_div_fmas_f32 v4, v4, v7, v8
	v_div_fixup_f32 v4, v4, v5, 1.0
	s_delay_alu instid0(VALU_DEP_1)
	v_mul_f32_e32 v6, v6, v4
	v_xor_b32_e32 v7, 0x80000000, v4
                                        ; implicit-def: $vgpr4_vgpr5
.LBB105_212:
	s_and_not1_saveexec_b32 s1, s1
	s_cbranch_execz .LBB105_214
; %bb.213:
	v_div_scale_f32 v6, null, v4, v4, v5
	v_div_scale_f32 v9, vcc_lo, v5, v4, v5
	s_delay_alu instid0(VALU_DEP_2) | instskip(SKIP_1) | instid1(TRANS32_DEP_1)
	v_rcp_f32_e32 v7, v6
	v_nop
	v_fma_f32 v8, -v6, v7, 1.0
	s_delay_alu instid0(VALU_DEP_1) | instskip(NEXT) | instid1(VALU_DEP_1)
	v_fmac_f32_e32 v7, v8, v7
	v_mul_f32_e32 v8, v9, v7
	s_delay_alu instid0(VALU_DEP_1) | instskip(NEXT) | instid1(VALU_DEP_1)
	v_fma_f32 v10, -v6, v8, v9
	v_fmac_f32_e32 v8, v10, v7
	s_delay_alu instid0(VALU_DEP_1) | instskip(NEXT) | instid1(VALU_DEP_1)
	v_fma_f32 v6, -v6, v8, v9
	v_div_fmas_f32 v6, v6, v7, v8
	s_delay_alu instid0(VALU_DEP_1) | instskip(NEXT) | instid1(VALU_DEP_1)
	v_div_fixup_f32 v7, v6, v4, v5
	v_fmac_f32_e32 v4, v5, v7
	s_delay_alu instid0(VALU_DEP_1) | instskip(NEXT) | instid1(VALU_DEP_1)
	v_div_scale_f32 v5, null, v4, v4, 1.0
	v_rcp_f32_e32 v6, v5
	v_nop
	s_delay_alu instid0(TRANS32_DEP_1) | instskip(NEXT) | instid1(VALU_DEP_1)
	v_fma_f32 v8, -v5, v6, 1.0
	v_fmac_f32_e32 v6, v8, v6
	v_div_scale_f32 v8, vcc_lo, 1.0, v4, 1.0
	s_delay_alu instid0(VALU_DEP_1) | instskip(NEXT) | instid1(VALU_DEP_1)
	v_mul_f32_e32 v9, v8, v6
	v_fma_f32 v10, -v5, v9, v8
	s_delay_alu instid0(VALU_DEP_1) | instskip(NEXT) | instid1(VALU_DEP_1)
	v_fmac_f32_e32 v9, v10, v6
	v_fma_f32 v5, -v5, v9, v8
	s_delay_alu instid0(VALU_DEP_1) | instskip(NEXT) | instid1(VALU_DEP_1)
	v_div_fmas_f32 v5, v5, v6, v9
	v_div_fixup_f32 v6, v5, v4, 1.0
	s_delay_alu instid0(VALU_DEP_1)
	v_mul_f32_e64 v7, v7, -v6
.LBB105_214:
	s_or_b32 exec_lo, exec_lo, s1
	ds_store_b64 v133, v[6:7]
.LBB105_215:
	s_or_b32 exec_lo, exec_lo, s2
	s_wait_dscnt 0x0
	s_barrier_signal -1
	s_barrier_wait -1
	ds_load_b64 v[4:5], v133
	s_mov_b32 s1, exec_lo
	v_cmpx_lt_u32_e32 23, v132
	s_cbranch_execz .LBB105_217
; %bb.216:
	ds_load_2addr_b64 v[10:13], v134 offset0:24 offset1:25
	s_wait_dscnt 0x1
	v_pk_mul_f32 v[8:9], v[4:5], v[90:91] op_sel:[1,1] op_sel_hi:[0,1]
	s_delay_alu instid0(VALU_DEP_1) | instskip(SKIP_1) | instid1(VALU_DEP_1)
	v_pk_fma_f32 v[6:7], v[4:5], v[90:91], v[8:9] op_sel_hi:[1,0,1] neg_lo:[0,0,1] neg_hi:[0,0,1]
	v_pk_fma_f32 v[8:9], v[4:5], v[90:91], v[8:9] op_sel_hi:[1,0,1]
	v_dual_mov_b32 v90, v6 :: v_dual_mov_b32 v91, v9
	s_wait_dscnt 0x0
	s_delay_alu instid0(VALU_DEP_2) | instskip(NEXT) | instid1(VALU_DEP_1)
	v_pk_mul_f32 v[14:15], v[10:11], v[8:9] op_sel:[0,1]
	v_pk_fma_f32 v[18:19], v[10:11], v[6:7], v[14:15] op_sel:[0,0,1] op_sel_hi:[1,1,0] neg_lo:[0,0,1] neg_hi:[0,0,1]
	v_pk_fma_f32 v[10:11], v[10:11], v[6:7], v[14:15] op_sel:[0,0,1] op_sel_hi:[1,0,0]
	s_delay_alu instid0(VALU_DEP_1) | instskip(SKIP_1) | instid1(VALU_DEP_1)
	v_mov_b32_e32 v19, v11
	v_pk_mul_f32 v[10:11], v[12:13], v[8:9] op_sel:[0,1]
	v_pk_fma_f32 v[14:15], v[12:13], v[6:7], v[10:11] op_sel:[0,0,1] op_sel_hi:[1,1,0] neg_lo:[0,0,1] neg_hi:[0,0,1]
	v_pk_fma_f32 v[10:11], v[12:13], v[6:7], v[10:11] op_sel:[0,0,1] op_sel_hi:[1,0,0]
	s_delay_alu instid0(VALU_DEP_1)
	v_mov_b32_e32 v15, v11
	ds_load_2addr_b64 v[10:13], v134 offset0:26 offset1:27
	v_pk_add_f32 v[112:113], v[112:113], v[18:19] neg_lo:[0,1] neg_hi:[0,1]
	v_pk_add_f32 v[108:109], v[108:109], v[14:15] neg_lo:[0,1] neg_hi:[0,1]
	s_wait_dscnt 0x0
	v_pk_mul_f32 v[14:15], v[10:11], v[8:9] op_sel:[0,1]
	s_delay_alu instid0(VALU_DEP_1) | instskip(SKIP_2) | instid1(VALU_DEP_2)
	v_pk_fma_f32 v[18:19], v[10:11], v[6:7], v[14:15] op_sel:[0,0,1] op_sel_hi:[1,1,0] neg_lo:[0,0,1] neg_hi:[0,0,1]
	v_pk_fma_f32 v[10:11], v[10:11], v[6:7], v[14:15] op_sel:[0,0,1] op_sel_hi:[1,0,0]
	v_dual_mul_f32 v14, v13, v9 :: v_dual_mov_b32 v10, v13
	v_dual_mov_b32 v19, v11 :: v_dual_mov_b32 v11, v12
	s_delay_alu instid0(VALU_DEP_2) | instskip(SKIP_1) | instid1(VALU_DEP_3)
	v_pk_fma_f32 v[14:15], v[12:13], v[90:91], v[14:15] op_sel_hi:[1,1,0] neg_lo:[0,0,1] neg_hi:[0,0,1]
	v_mul_f32_e32 v12, v13, v6
	v_pk_add_f32 v[110:111], v[110:111], v[18:19] neg_lo:[0,1] neg_hi:[0,1]
	s_delay_alu instid0(VALU_DEP_2) | instskip(NEXT) | instid1(VALU_DEP_1)
	v_pk_fma_f32 v[10:11], v[10:11], v[90:91], v[12:13] op_sel_hi:[1,1,0]
	v_mov_b32_e32 v15, v11
	ds_load_2addr_b64 v[10:13], v134 offset0:28 offset1:29
	v_pk_add_f32 v[106:107], v[106:107], v[14:15] neg_lo:[0,1] neg_hi:[0,1]
	s_wait_dscnt 0x0
	v_pk_mul_f32 v[14:15], v[10:11], v[8:9] op_sel:[0,1]
	s_delay_alu instid0(VALU_DEP_1) | instskip(SKIP_1) | instid1(VALU_DEP_1)
	v_pk_fma_f32 v[18:19], v[10:11], v[6:7], v[14:15] op_sel:[0,0,1] op_sel_hi:[1,1,0] neg_lo:[0,0,1] neg_hi:[0,0,1]
	v_pk_fma_f32 v[10:11], v[10:11], v[6:7], v[14:15] op_sel:[0,0,1] op_sel_hi:[1,0,0]
	v_mov_b32_e32 v19, v11
	v_pk_mul_f32 v[10:11], v[12:13], v[8:9] op_sel:[0,1]
	s_delay_alu instid0(VALU_DEP_1) | instskip(SKIP_1) | instid1(VALU_DEP_1)
	v_pk_fma_f32 v[14:15], v[12:13], v[6:7], v[10:11] op_sel:[0,0,1] op_sel_hi:[1,1,0] neg_lo:[0,0,1] neg_hi:[0,0,1]
	v_pk_fma_f32 v[10:11], v[12:13], v[6:7], v[10:11] op_sel:[0,0,1] op_sel_hi:[1,0,0]
	v_mov_b32_e32 v15, v11
	ds_load_2addr_b64 v[10:13], v134 offset0:30 offset1:31
	v_pk_add_f32 v[130:131], v[130:131], v[18:19] neg_lo:[0,1] neg_hi:[0,1]
	v_pk_add_f32 v[126:127], v[126:127], v[14:15] neg_lo:[0,1] neg_hi:[0,1]
	s_wait_dscnt 0x0
	v_pk_mul_f32 v[14:15], v[10:11], v[8:9] op_sel:[0,1]
	s_delay_alu instid0(VALU_DEP_1) | instskip(SKIP_1) | instid1(VALU_DEP_1)
	v_pk_fma_f32 v[18:19], v[10:11], v[6:7], v[14:15] op_sel:[0,0,1] op_sel_hi:[1,1,0] neg_lo:[0,0,1] neg_hi:[0,0,1]
	v_pk_fma_f32 v[10:11], v[10:11], v[6:7], v[14:15] op_sel:[0,0,1] op_sel_hi:[1,0,0]
	v_mov_b32_e32 v19, v11
	v_pk_mul_f32 v[10:11], v[12:13], v[8:9] op_sel:[0,1]
	s_delay_alu instid0(VALU_DEP_1) | instskip(SKIP_1) | instid1(VALU_DEP_1)
	v_pk_fma_f32 v[14:15], v[12:13], v[6:7], v[10:11] op_sel:[0,0,1] op_sel_hi:[1,1,0] neg_lo:[0,0,1] neg_hi:[0,0,1]
	v_pk_fma_f32 v[10:11], v[12:13], v[6:7], v[10:11] op_sel:[0,0,1] op_sel_hi:[1,0,0]
	v_mov_b32_e32 v15, v11
	ds_load_2addr_b64 v[10:13], v134 offset0:32 offset1:33
	v_pk_add_f32 v[128:129], v[128:129], v[18:19] neg_lo:[0,1] neg_hi:[0,1]
	v_pk_add_f32 v[124:125], v[124:125], v[14:15] neg_lo:[0,1] neg_hi:[0,1]
	s_wait_dscnt 0x0
	v_dual_mul_f32 v14, v11, v9 :: v_dual_mul_f32 v18, v11, v6
	s_delay_alu instid0(VALU_DEP_1) | instskip(NEXT) | instid1(VALU_DEP_2)
	v_pk_fma_f32 v[14:15], v[10:11], v[90:91], v[14:15] op_sel_hi:[1,1,0] neg_lo:[0,0,1] neg_hi:[0,0,1]
	v_pk_fma_f32 v[10:11], v[10:11], v[90:91], v[18:19] op_sel:[1,0,0] op_sel_hi:[0,1,0]
	s_delay_alu instid0(VALU_DEP_1) | instskip(SKIP_1) | instid1(VALU_DEP_2)
	v_mov_b32_e32 v15, v11
	v_pk_mul_f32 v[10:11], v[12:13], v[8:9] op_sel:[0,1]
	v_pk_add_f32 v[146:147], v[146:147], v[14:15] neg_lo:[0,1] neg_hi:[0,1]
	s_delay_alu instid0(VALU_DEP_2) | instskip(SKIP_1) | instid1(VALU_DEP_1)
	v_pk_fma_f32 v[14:15], v[12:13], v[6:7], v[10:11] op_sel:[0,0,1] op_sel_hi:[1,1,0] neg_lo:[0,0,1] neg_hi:[0,0,1]
	v_pk_fma_f32 v[10:11], v[12:13], v[6:7], v[10:11] op_sel:[0,0,1] op_sel_hi:[1,0,0]
	v_mov_b32_e32 v15, v11
	ds_load_2addr_b64 v[10:13], v134 offset0:34 offset1:35
	v_pk_add_f32 v[142:143], v[142:143], v[14:15] neg_lo:[0,1] neg_hi:[0,1]
	s_wait_dscnt 0x0
	v_pk_mul_f32 v[14:15], v[10:11], v[8:9] op_sel:[0,1]
	s_delay_alu instid0(VALU_DEP_1) | instskip(SKIP_1) | instid1(VALU_DEP_1)
	v_pk_fma_f32 v[18:19], v[10:11], v[6:7], v[14:15] op_sel:[0,0,1] op_sel_hi:[1,1,0] neg_lo:[0,0,1] neg_hi:[0,0,1]
	v_pk_fma_f32 v[10:11], v[10:11], v[6:7], v[14:15] op_sel:[0,0,1] op_sel_hi:[1,0,0]
	v_mov_b32_e32 v19, v11
	v_pk_mul_f32 v[10:11], v[12:13], v[8:9] op_sel:[0,1]
	s_delay_alu instid0(VALU_DEP_2) | instskip(NEXT) | instid1(VALU_DEP_2)
	v_pk_add_f32 v[144:145], v[144:145], v[18:19] neg_lo:[0,1] neg_hi:[0,1]
	v_pk_fma_f32 v[14:15], v[12:13], v[6:7], v[10:11] op_sel:[0,0,1] op_sel_hi:[1,1,0] neg_lo:[0,0,1] neg_hi:[0,0,1]
	v_pk_fma_f32 v[10:11], v[12:13], v[6:7], v[10:11] op_sel:[0,0,1] op_sel_hi:[1,0,0]
	s_delay_alu instid0(VALU_DEP_1) | instskip(SKIP_4) | instid1(VALU_DEP_1)
	v_mov_b32_e32 v15, v11
	ds_load_2addr_b64 v[10:13], v134 offset0:36 offset1:37
	v_pk_add_f32 v[140:141], v[140:141], v[14:15] neg_lo:[0,1] neg_hi:[0,1]
	s_wait_dscnt 0x0
	v_pk_mul_f32 v[14:15], v[10:11], v[8:9] op_sel:[0,1]
	v_pk_fma_f32 v[18:19], v[10:11], v[6:7], v[14:15] op_sel:[0,0,1] op_sel_hi:[1,1,0] neg_lo:[0,0,1] neg_hi:[0,0,1]
	v_pk_fma_f32 v[10:11], v[10:11], v[6:7], v[14:15] op_sel:[0,0,1] op_sel_hi:[1,0,0]
	v_dual_mul_f32 v14, v13, v9 :: v_dual_mov_b32 v10, v13
	s_delay_alu instid0(VALU_DEP_2) | instskip(NEXT) | instid1(VALU_DEP_2)
	v_dual_mov_b32 v19, v11 :: v_dual_mov_b32 v11, v12
	v_pk_fma_f32 v[14:15], v[12:13], v[90:91], v[14:15] op_sel_hi:[1,1,0] neg_lo:[0,0,1] neg_hi:[0,0,1]
	v_mul_f32_e32 v12, v13, v6
	s_delay_alu instid0(VALU_DEP_3) | instskip(NEXT) | instid1(VALU_DEP_2)
	v_pk_add_f32 v[162:163], v[162:163], v[18:19] neg_lo:[0,1] neg_hi:[0,1]
	v_pk_fma_f32 v[10:11], v[10:11], v[90:91], v[12:13] op_sel_hi:[1,1,0]
	s_delay_alu instid0(VALU_DEP_1) | instskip(SKIP_4) | instid1(VALU_DEP_1)
	v_mov_b32_e32 v15, v11
	ds_load_2addr_b64 v[10:13], v134 offset0:38 offset1:39
	v_pk_add_f32 v[158:159], v[158:159], v[14:15] neg_lo:[0,1] neg_hi:[0,1]
	s_wait_dscnt 0x0
	v_pk_mul_f32 v[14:15], v[10:11], v[8:9] op_sel:[0,1]
	v_pk_fma_f32 v[18:19], v[10:11], v[6:7], v[14:15] op_sel:[0,0,1] op_sel_hi:[1,1,0] neg_lo:[0,0,1] neg_hi:[0,0,1]
	v_pk_fma_f32 v[10:11], v[10:11], v[6:7], v[14:15] op_sel:[0,0,1] op_sel_hi:[1,0,0]
	s_delay_alu instid0(VALU_DEP_1) | instskip(SKIP_1) | instid1(VALU_DEP_1)
	v_mov_b32_e32 v19, v11
	v_pk_mul_f32 v[10:11], v[12:13], v[8:9] op_sel:[0,1]
	v_pk_fma_f32 v[14:15], v[12:13], v[6:7], v[10:11] op_sel:[0,0,1] op_sel_hi:[1,1,0] neg_lo:[0,0,1] neg_hi:[0,0,1]
	v_pk_fma_f32 v[10:11], v[12:13], v[6:7], v[10:11] op_sel:[0,0,1] op_sel_hi:[1,0,0]
	s_delay_alu instid0(VALU_DEP_1)
	v_mov_b32_e32 v15, v11
	ds_load_2addr_b64 v[10:13], v134 offset0:40 offset1:41
	v_pk_add_f32 v[160:161], v[160:161], v[18:19] neg_lo:[0,1] neg_hi:[0,1]
	v_pk_add_f32 v[156:157], v[156:157], v[14:15] neg_lo:[0,1] neg_hi:[0,1]
	s_wait_dscnt 0x0
	v_pk_mul_f32 v[14:15], v[10:11], v[8:9] op_sel:[0,1]
	s_delay_alu instid0(VALU_DEP_1) | instskip(SKIP_1) | instid1(VALU_DEP_1)
	v_pk_fma_f32 v[18:19], v[10:11], v[6:7], v[14:15] op_sel:[0,0,1] op_sel_hi:[1,1,0] neg_lo:[0,0,1] neg_hi:[0,0,1]
	v_pk_fma_f32 v[10:11], v[10:11], v[6:7], v[14:15] op_sel:[0,0,1] op_sel_hi:[1,0,0]
	v_mov_b32_e32 v19, v11
	v_pk_mul_f32 v[10:11], v[12:13], v[8:9] op_sel:[0,1]
	s_delay_alu instid0(VALU_DEP_1) | instskip(SKIP_1) | instid1(VALU_DEP_1)
	v_pk_fma_f32 v[14:15], v[12:13], v[6:7], v[10:11] op_sel:[0,0,1] op_sel_hi:[1,1,0] neg_lo:[0,0,1] neg_hi:[0,0,1]
	v_pk_fma_f32 v[10:11], v[12:13], v[6:7], v[10:11] op_sel:[0,0,1] op_sel_hi:[1,0,0]
	v_mov_b32_e32 v15, v11
	ds_load_2addr_b64 v[10:13], v134 offset0:42 offset1:43
	v_pk_add_f32 v[184:185], v[184:185], v[18:19] neg_lo:[0,1] neg_hi:[0,1]
	v_pk_add_f32 v[180:181], v[180:181], v[14:15] neg_lo:[0,1] neg_hi:[0,1]
	s_wait_dscnt 0x0
	v_dual_mul_f32 v14, v11, v9 :: v_dual_mul_f32 v18, v11, v6
	s_delay_alu instid0(VALU_DEP_1) | instskip(NEXT) | instid1(VALU_DEP_2)
	v_pk_fma_f32 v[14:15], v[10:11], v[90:91], v[14:15] op_sel_hi:[1,1,0] neg_lo:[0,0,1] neg_hi:[0,0,1]
	v_pk_fma_f32 v[10:11], v[10:11], v[90:91], v[18:19] op_sel:[1,0,0] op_sel_hi:[0,1,0]
	s_delay_alu instid0(VALU_DEP_1) | instskip(SKIP_1) | instid1(VALU_DEP_2)
	v_mov_b32_e32 v15, v11
	v_pk_mul_f32 v[10:11], v[12:13], v[8:9] op_sel:[0,1]
	v_pk_add_f32 v[182:183], v[182:183], v[14:15] neg_lo:[0,1] neg_hi:[0,1]
	s_delay_alu instid0(VALU_DEP_2) | instskip(SKIP_1) | instid1(VALU_DEP_1)
	v_pk_fma_f32 v[14:15], v[12:13], v[6:7], v[10:11] op_sel:[0,0,1] op_sel_hi:[1,1,0] neg_lo:[0,0,1] neg_hi:[0,0,1]
	v_pk_fma_f32 v[10:11], v[12:13], v[6:7], v[10:11] op_sel:[0,0,1] op_sel_hi:[1,0,0]
	v_mov_b32_e32 v15, v11
	ds_load_2addr_b64 v[10:13], v134 offset0:44 offset1:45
	v_pk_add_f32 v[178:179], v[178:179], v[14:15] neg_lo:[0,1] neg_hi:[0,1]
	s_wait_dscnt 0x0
	v_pk_mul_f32 v[14:15], v[10:11], v[8:9] op_sel:[0,1]
	s_delay_alu instid0(VALU_DEP_1) | instskip(SKIP_1) | instid1(VALU_DEP_1)
	v_pk_fma_f32 v[18:19], v[10:11], v[6:7], v[14:15] op_sel:[0,0,1] op_sel_hi:[1,1,0] neg_lo:[0,0,1] neg_hi:[0,0,1]
	v_pk_fma_f32 v[10:11], v[10:11], v[6:7], v[14:15] op_sel:[0,0,1] op_sel_hi:[1,0,0]
	v_mov_b32_e32 v19, v11
	v_pk_mul_f32 v[10:11], v[12:13], v[8:9] op_sel:[0,1]
	s_delay_alu instid0(VALU_DEP_2) | instskip(NEXT) | instid1(VALU_DEP_2)
	v_pk_add_f32 v[208:209], v[208:209], v[18:19] neg_lo:[0,1] neg_hi:[0,1]
	v_pk_fma_f32 v[14:15], v[12:13], v[6:7], v[10:11] op_sel:[0,0,1] op_sel_hi:[1,1,0] neg_lo:[0,0,1] neg_hi:[0,0,1]
	v_pk_fma_f32 v[10:11], v[12:13], v[6:7], v[10:11] op_sel:[0,0,1] op_sel_hi:[1,0,0]
	s_delay_alu instid0(VALU_DEP_1) | instskip(SKIP_4) | instid1(VALU_DEP_1)
	v_mov_b32_e32 v15, v11
	ds_load_2addr_b64 v[10:13], v134 offset0:46 offset1:47
	v_pk_add_f32 v[200:201], v[200:201], v[14:15] neg_lo:[0,1] neg_hi:[0,1]
	s_wait_dscnt 0x0
	v_pk_mul_f32 v[14:15], v[10:11], v[8:9] op_sel:[0,1]
	v_pk_fma_f32 v[18:19], v[10:11], v[6:7], v[14:15] op_sel:[0,0,1] op_sel_hi:[1,1,0] neg_lo:[0,0,1] neg_hi:[0,0,1]
	v_pk_fma_f32 v[10:11], v[10:11], v[6:7], v[14:15] op_sel:[0,0,1] op_sel_hi:[1,0,0]
	v_dual_mul_f32 v14, v13, v9 :: v_dual_mov_b32 v10, v13
	s_delay_alu instid0(VALU_DEP_2) | instskip(NEXT) | instid1(VALU_DEP_2)
	v_dual_mov_b32 v19, v11 :: v_dual_mov_b32 v11, v12
	v_pk_fma_f32 v[14:15], v[12:13], v[90:91], v[14:15] op_sel_hi:[1,1,0] neg_lo:[0,0,1] neg_hi:[0,0,1]
	v_mul_f32_e32 v12, v13, v6
	s_delay_alu instid0(VALU_DEP_3) | instskip(NEXT) | instid1(VALU_DEP_2)
	v_pk_add_f32 v[206:207], v[206:207], v[18:19] neg_lo:[0,1] neg_hi:[0,1]
	v_pk_fma_f32 v[10:11], v[10:11], v[90:91], v[12:13] op_sel_hi:[1,1,0]
	s_delay_alu instid0(VALU_DEP_1) | instskip(SKIP_4) | instid1(VALU_DEP_1)
	v_mov_b32_e32 v15, v11
	ds_load_2addr_b64 v[10:13], v134 offset0:48 offset1:49
	v_pk_add_f32 v[198:199], v[198:199], v[14:15] neg_lo:[0,1] neg_hi:[0,1]
	s_wait_dscnt 0x0
	v_pk_mul_f32 v[14:15], v[10:11], v[8:9] op_sel:[0,1]
	v_pk_fma_f32 v[18:19], v[10:11], v[6:7], v[14:15] op_sel:[0,0,1] op_sel_hi:[1,1,0] neg_lo:[0,0,1] neg_hi:[0,0,1]
	v_pk_fma_f32 v[10:11], v[10:11], v[6:7], v[14:15] op_sel:[0,0,1] op_sel_hi:[1,0,0]
	s_delay_alu instid0(VALU_DEP_1) | instskip(SKIP_1) | instid1(VALU_DEP_1)
	v_mov_b32_e32 v19, v11
	v_pk_mul_f32 v[10:11], v[12:13], v[8:9] op_sel:[0,1]
	v_pk_fma_f32 v[14:15], v[12:13], v[6:7], v[10:11] op_sel:[0,0,1] op_sel_hi:[1,1,0] neg_lo:[0,0,1] neg_hi:[0,0,1]
	v_pk_fma_f32 v[10:11], v[12:13], v[6:7], v[10:11] op_sel:[0,0,1] op_sel_hi:[1,0,0]
	s_delay_alu instid0(VALU_DEP_1)
	v_mov_b32_e32 v15, v11
	ds_load_2addr_b64 v[10:13], v134 offset0:50 offset1:51
	v_pk_add_f32 v[204:205], v[204:205], v[18:19] neg_lo:[0,1] neg_hi:[0,1]
	v_pk_add_f32 v[196:197], v[196:197], v[14:15] neg_lo:[0,1] neg_hi:[0,1]
	s_wait_dscnt 0x0
	v_pk_mul_f32 v[14:15], v[10:11], v[8:9] op_sel:[0,1]
	s_delay_alu instid0(VALU_DEP_1) | instskip(SKIP_1) | instid1(VALU_DEP_1)
	v_pk_fma_f32 v[18:19], v[10:11], v[6:7], v[14:15] op_sel:[0,0,1] op_sel_hi:[1,1,0] neg_lo:[0,0,1] neg_hi:[0,0,1]
	v_pk_fma_f32 v[10:11], v[10:11], v[6:7], v[14:15] op_sel:[0,0,1] op_sel_hi:[1,0,0]
	v_mov_b32_e32 v19, v11
	v_pk_mul_f32 v[10:11], v[12:13], v[8:9] op_sel:[0,1]
	s_delay_alu instid0(VALU_DEP_1) | instskip(SKIP_1) | instid1(VALU_DEP_1)
	v_pk_fma_f32 v[14:15], v[12:13], v[6:7], v[10:11] op_sel:[0,0,1] op_sel_hi:[1,1,0] neg_lo:[0,0,1] neg_hi:[0,0,1]
	v_pk_fma_f32 v[10:11], v[12:13], v[6:7], v[10:11] op_sel:[0,0,1] op_sel_hi:[1,0,0]
	v_mov_b32_e32 v15, v11
	ds_load_b64 v[10:11], v134 offset:416
	v_pk_add_f32 v[202:203], v[202:203], v[18:19] neg_lo:[0,1] neg_hi:[0,1]
	v_pk_add_f32 v[210:211], v[210:211], v[14:15] neg_lo:[0,1] neg_hi:[0,1]
	s_wait_dscnt 0x0
	v_pk_mul_f32 v[8:9], v[10:11], v[8:9] op_sel:[0,1]
	s_delay_alu instid0(VALU_DEP_1) | instskip(SKIP_1) | instid1(VALU_DEP_1)
	v_pk_fma_f32 v[12:13], v[10:11], v[6:7], v[8:9] op_sel:[0,0,1] op_sel_hi:[1,1,0] neg_lo:[0,0,1] neg_hi:[0,0,1]
	v_pk_fma_f32 v[6:7], v[10:11], v[6:7], v[8:9] op_sel:[0,0,1] op_sel_hi:[1,0,0]
	v_mov_b32_e32 v13, v7
	s_delay_alu instid0(VALU_DEP_1)
	v_pk_add_f32 v[212:213], v[212:213], v[12:13] neg_lo:[0,1] neg_hi:[0,1]
.LBB105_217:
	s_or_b32 exec_lo, exec_lo, s1
	s_delay_alu instid0(SALU_CYCLE_1)
	s_mov_b32 s2, exec_lo
	s_wait_dscnt 0x0
	s_barrier_signal -1
	s_barrier_wait -1
	v_cmpx_eq_u32_e32 24, v132
	s_cbranch_execz .LBB105_224
; %bb.218:
	ds_store_b64 v133, v[112:113]
	ds_store_2addr_b64 v134, v[108:109], v[110:111] offset0:25 offset1:26
	ds_store_2addr_b64 v134, v[106:107], v[130:131] offset0:27 offset1:28
	;; [unrolled: 1-line block ×14, first 2 shown]
	ds_load_b64 v[6:7], v133
	s_wait_dscnt 0x0
	v_cmp_neq_f32_e32 vcc_lo, 0, v6
	v_cmp_neq_f32_e64 s1, 0, v7
	s_or_b32 s1, vcc_lo, s1
	s_delay_alu instid0(SALU_CYCLE_1)
	s_and_b32 exec_lo, exec_lo, s1
	s_cbranch_execz .LBB105_224
; %bb.219:
	v_cmp_ngt_f32_e64 s1, |v6|, |v7|
                                        ; implicit-def: $vgpr8_vgpr9
	s_and_saveexec_b32 s4, s1
	s_delay_alu instid0(SALU_CYCLE_1)
	s_xor_b32 s1, exec_lo, s4
	s_cbranch_execz .LBB105_221
; %bb.220:
	v_div_scale_f32 v8, null, v7, v7, v6
	v_div_scale_f32 v11, vcc_lo, v6, v7, v6
	s_delay_alu instid0(VALU_DEP_2) | instskip(SKIP_1) | instid1(TRANS32_DEP_1)
	v_rcp_f32_e32 v9, v8
	v_nop
	v_fma_f32 v10, -v8, v9, 1.0
	s_delay_alu instid0(VALU_DEP_1) | instskip(NEXT) | instid1(VALU_DEP_1)
	v_fmac_f32_e32 v9, v10, v9
	v_mul_f32_e32 v10, v11, v9
	s_delay_alu instid0(VALU_DEP_1) | instskip(NEXT) | instid1(VALU_DEP_1)
	v_fma_f32 v12, -v8, v10, v11
	v_fmac_f32_e32 v10, v12, v9
	s_delay_alu instid0(VALU_DEP_1) | instskip(NEXT) | instid1(VALU_DEP_1)
	v_fma_f32 v8, -v8, v10, v11
	v_div_fmas_f32 v8, v8, v9, v10
	s_delay_alu instid0(VALU_DEP_1) | instskip(NEXT) | instid1(VALU_DEP_1)
	v_div_fixup_f32 v8, v8, v7, v6
	v_fmac_f32_e32 v7, v6, v8
	s_delay_alu instid0(VALU_DEP_1) | instskip(SKIP_1) | instid1(VALU_DEP_2)
	v_div_scale_f32 v6, null, v7, v7, 1.0
	v_div_scale_f32 v11, vcc_lo, 1.0, v7, 1.0
	v_rcp_f32_e32 v9, v6
	v_nop
	s_delay_alu instid0(TRANS32_DEP_1) | instskip(NEXT) | instid1(VALU_DEP_1)
	v_fma_f32 v10, -v6, v9, 1.0
	v_fmac_f32_e32 v9, v10, v9
	s_delay_alu instid0(VALU_DEP_1) | instskip(NEXT) | instid1(VALU_DEP_1)
	v_mul_f32_e32 v10, v11, v9
	v_fma_f32 v12, -v6, v10, v11
	s_delay_alu instid0(VALU_DEP_1) | instskip(NEXT) | instid1(VALU_DEP_1)
	v_fmac_f32_e32 v10, v12, v9
	v_fma_f32 v6, -v6, v10, v11
	s_delay_alu instid0(VALU_DEP_1) | instskip(NEXT) | instid1(VALU_DEP_1)
	v_div_fmas_f32 v6, v6, v9, v10
	v_div_fixup_f32 v6, v6, v7, 1.0
	s_delay_alu instid0(VALU_DEP_1)
	v_mul_f32_e32 v8, v8, v6
	v_xor_b32_e32 v9, 0x80000000, v6
                                        ; implicit-def: $vgpr6_vgpr7
.LBB105_221:
	s_and_not1_saveexec_b32 s1, s1
	s_cbranch_execz .LBB105_223
; %bb.222:
	v_div_scale_f32 v8, null, v6, v6, v7
	v_div_scale_f32 v11, vcc_lo, v7, v6, v7
	s_delay_alu instid0(VALU_DEP_2) | instskip(SKIP_1) | instid1(TRANS32_DEP_1)
	v_rcp_f32_e32 v9, v8
	v_nop
	v_fma_f32 v10, -v8, v9, 1.0
	s_delay_alu instid0(VALU_DEP_1) | instskip(NEXT) | instid1(VALU_DEP_1)
	v_fmac_f32_e32 v9, v10, v9
	v_mul_f32_e32 v10, v11, v9
	s_delay_alu instid0(VALU_DEP_1) | instskip(NEXT) | instid1(VALU_DEP_1)
	v_fma_f32 v12, -v8, v10, v11
	v_fmac_f32_e32 v10, v12, v9
	s_delay_alu instid0(VALU_DEP_1) | instskip(NEXT) | instid1(VALU_DEP_1)
	v_fma_f32 v8, -v8, v10, v11
	v_div_fmas_f32 v8, v8, v9, v10
	s_delay_alu instid0(VALU_DEP_1) | instskip(NEXT) | instid1(VALU_DEP_1)
	v_div_fixup_f32 v9, v8, v6, v7
	v_fmac_f32_e32 v6, v7, v9
	s_delay_alu instid0(VALU_DEP_1) | instskip(NEXT) | instid1(VALU_DEP_1)
	v_div_scale_f32 v7, null, v6, v6, 1.0
	v_rcp_f32_e32 v8, v7
	v_nop
	s_delay_alu instid0(TRANS32_DEP_1) | instskip(NEXT) | instid1(VALU_DEP_1)
	v_fma_f32 v10, -v7, v8, 1.0
	v_fmac_f32_e32 v8, v10, v8
	v_div_scale_f32 v10, vcc_lo, 1.0, v6, 1.0
	s_delay_alu instid0(VALU_DEP_1) | instskip(NEXT) | instid1(VALU_DEP_1)
	v_mul_f32_e32 v11, v10, v8
	v_fma_f32 v12, -v7, v11, v10
	s_delay_alu instid0(VALU_DEP_1) | instskip(NEXT) | instid1(VALU_DEP_1)
	v_fmac_f32_e32 v11, v12, v8
	v_fma_f32 v7, -v7, v11, v10
	s_delay_alu instid0(VALU_DEP_1) | instskip(NEXT) | instid1(VALU_DEP_1)
	v_div_fmas_f32 v7, v7, v8, v11
	v_div_fixup_f32 v8, v7, v6, 1.0
	s_delay_alu instid0(VALU_DEP_1)
	v_mul_f32_e64 v9, v9, -v8
.LBB105_223:
	s_or_b32 exec_lo, exec_lo, s1
	ds_store_b64 v133, v[8:9]
.LBB105_224:
	s_or_b32 exec_lo, exec_lo, s2
	s_wait_dscnt 0x0
	s_barrier_signal -1
	s_barrier_wait -1
	ds_load_b64 v[6:7], v133
	s_mov_b32 s1, exec_lo
	v_cmpx_lt_u32_e32 24, v132
	s_cbranch_execz .LBB105_226
; %bb.225:
	ds_load_2addr_b64 v[12:15], v134 offset0:25 offset1:26
	s_wait_dscnt 0x1
	v_pk_mul_f32 v[10:11], v[6:7], v[112:113] op_sel:[1,1] op_sel_hi:[0,1]
	s_delay_alu instid0(VALU_DEP_1) | instskip(SKIP_1) | instid1(VALU_DEP_1)
	v_pk_fma_f32 v[8:9], v[6:7], v[112:113], v[10:11] op_sel_hi:[1,0,1] neg_lo:[0,0,1] neg_hi:[0,0,1]
	v_pk_fma_f32 v[10:11], v[6:7], v[112:113], v[10:11] op_sel_hi:[1,0,1]
	v_dual_mov_b32 v112, v8 :: v_dual_mov_b32 v113, v11
	s_wait_dscnt 0x0
	s_delay_alu instid0(VALU_DEP_2) | instskip(NEXT) | instid1(VALU_DEP_1)
	v_pk_mul_f32 v[18:19], v[12:13], v[10:11] op_sel:[0,1]
	v_pk_fma_f32 v[28:29], v[12:13], v[8:9], v[18:19] op_sel:[0,0,1] op_sel_hi:[1,1,0] neg_lo:[0,0,1] neg_hi:[0,0,1]
	v_pk_fma_f32 v[12:13], v[12:13], v[8:9], v[18:19] op_sel:[0,0,1] op_sel_hi:[1,0,0]
	s_delay_alu instid0(VALU_DEP_1) | instskip(SKIP_1) | instid1(VALU_DEP_1)
	v_mov_b32_e32 v29, v13
	v_pk_mul_f32 v[12:13], v[14:15], v[10:11] op_sel:[0,1]
	v_pk_fma_f32 v[18:19], v[14:15], v[8:9], v[12:13] op_sel:[0,0,1] op_sel_hi:[1,1,0] neg_lo:[0,0,1] neg_hi:[0,0,1]
	v_pk_fma_f32 v[12:13], v[14:15], v[8:9], v[12:13] op_sel:[0,0,1] op_sel_hi:[1,0,0]
	s_delay_alu instid0(VALU_DEP_1)
	v_mov_b32_e32 v19, v13
	ds_load_2addr_b64 v[12:15], v134 offset0:27 offset1:28
	v_pk_add_f32 v[108:109], v[108:109], v[28:29] neg_lo:[0,1] neg_hi:[0,1]
	v_pk_add_f32 v[110:111], v[110:111], v[18:19] neg_lo:[0,1] neg_hi:[0,1]
	s_wait_dscnt 0x0
	v_pk_mul_f32 v[18:19], v[12:13], v[10:11] op_sel:[0,1]
	s_delay_alu instid0(VALU_DEP_1) | instskip(SKIP_2) | instid1(VALU_DEP_2)
	v_pk_fma_f32 v[28:29], v[12:13], v[8:9], v[18:19] op_sel:[0,0,1] op_sel_hi:[1,1,0] neg_lo:[0,0,1] neg_hi:[0,0,1]
	v_pk_fma_f32 v[12:13], v[12:13], v[8:9], v[18:19] op_sel:[0,0,1] op_sel_hi:[1,0,0]
	v_dual_mul_f32 v18, v15, v11 :: v_dual_mov_b32 v12, v15
	v_dual_mov_b32 v29, v13 :: v_dual_mov_b32 v13, v14
	s_delay_alu instid0(VALU_DEP_2) | instskip(SKIP_1) | instid1(VALU_DEP_3)
	v_pk_fma_f32 v[18:19], v[14:15], v[112:113], v[18:19] op_sel_hi:[1,1,0] neg_lo:[0,0,1] neg_hi:[0,0,1]
	v_mul_f32_e32 v14, v15, v8
	v_pk_add_f32 v[106:107], v[106:107], v[28:29] neg_lo:[0,1] neg_hi:[0,1]
	s_delay_alu instid0(VALU_DEP_2) | instskip(NEXT) | instid1(VALU_DEP_1)
	v_pk_fma_f32 v[12:13], v[12:13], v[112:113], v[14:15] op_sel_hi:[1,1,0]
	v_mov_b32_e32 v19, v13
	ds_load_2addr_b64 v[12:15], v134 offset0:29 offset1:30
	v_pk_add_f32 v[130:131], v[130:131], v[18:19] neg_lo:[0,1] neg_hi:[0,1]
	s_wait_dscnt 0x0
	v_pk_mul_f32 v[18:19], v[12:13], v[10:11] op_sel:[0,1]
	s_delay_alu instid0(VALU_DEP_1) | instskip(SKIP_1) | instid1(VALU_DEP_1)
	v_pk_fma_f32 v[28:29], v[12:13], v[8:9], v[18:19] op_sel:[0,0,1] op_sel_hi:[1,1,0] neg_lo:[0,0,1] neg_hi:[0,0,1]
	v_pk_fma_f32 v[12:13], v[12:13], v[8:9], v[18:19] op_sel:[0,0,1] op_sel_hi:[1,0,0]
	v_mov_b32_e32 v29, v13
	v_pk_mul_f32 v[12:13], v[14:15], v[10:11] op_sel:[0,1]
	s_delay_alu instid0(VALU_DEP_1) | instskip(SKIP_1) | instid1(VALU_DEP_1)
	v_pk_fma_f32 v[18:19], v[14:15], v[8:9], v[12:13] op_sel:[0,0,1] op_sel_hi:[1,1,0] neg_lo:[0,0,1] neg_hi:[0,0,1]
	v_pk_fma_f32 v[12:13], v[14:15], v[8:9], v[12:13] op_sel:[0,0,1] op_sel_hi:[1,0,0]
	v_mov_b32_e32 v19, v13
	ds_load_2addr_b64 v[12:15], v134 offset0:31 offset1:32
	v_pk_add_f32 v[126:127], v[126:127], v[28:29] neg_lo:[0,1] neg_hi:[0,1]
	v_pk_add_f32 v[128:129], v[128:129], v[18:19] neg_lo:[0,1] neg_hi:[0,1]
	s_wait_dscnt 0x0
	v_pk_mul_f32 v[18:19], v[12:13], v[10:11] op_sel:[0,1]
	s_delay_alu instid0(VALU_DEP_1) | instskip(SKIP_1) | instid1(VALU_DEP_1)
	v_pk_fma_f32 v[28:29], v[12:13], v[8:9], v[18:19] op_sel:[0,0,1] op_sel_hi:[1,1,0] neg_lo:[0,0,1] neg_hi:[0,0,1]
	v_pk_fma_f32 v[12:13], v[12:13], v[8:9], v[18:19] op_sel:[0,0,1] op_sel_hi:[1,0,0]
	v_mov_b32_e32 v29, v13
	v_pk_mul_f32 v[12:13], v[14:15], v[10:11] op_sel:[0,1]
	s_delay_alu instid0(VALU_DEP_1) | instskip(SKIP_1) | instid1(VALU_DEP_1)
	v_pk_fma_f32 v[18:19], v[14:15], v[8:9], v[12:13] op_sel:[0,0,1] op_sel_hi:[1,1,0] neg_lo:[0,0,1] neg_hi:[0,0,1]
	v_pk_fma_f32 v[12:13], v[14:15], v[8:9], v[12:13] op_sel:[0,0,1] op_sel_hi:[1,0,0]
	v_mov_b32_e32 v19, v13
	ds_load_2addr_b64 v[12:15], v134 offset0:33 offset1:34
	v_pk_add_f32 v[124:125], v[124:125], v[28:29] neg_lo:[0,1] neg_hi:[0,1]
	v_pk_add_f32 v[146:147], v[146:147], v[18:19] neg_lo:[0,1] neg_hi:[0,1]
	s_wait_dscnt 0x0
	v_dual_mul_f32 v18, v13, v11 :: v_dual_mul_f32 v28, v13, v8
	s_delay_alu instid0(VALU_DEP_1) | instskip(NEXT) | instid1(VALU_DEP_2)
	v_pk_fma_f32 v[18:19], v[12:13], v[112:113], v[18:19] op_sel_hi:[1,1,0] neg_lo:[0,0,1] neg_hi:[0,0,1]
	v_pk_fma_f32 v[12:13], v[12:13], v[112:113], v[28:29] op_sel:[1,0,0] op_sel_hi:[0,1,0]
	s_delay_alu instid0(VALU_DEP_1) | instskip(SKIP_1) | instid1(VALU_DEP_2)
	v_mov_b32_e32 v19, v13
	v_pk_mul_f32 v[12:13], v[14:15], v[10:11] op_sel:[0,1]
	v_pk_add_f32 v[142:143], v[142:143], v[18:19] neg_lo:[0,1] neg_hi:[0,1]
	s_delay_alu instid0(VALU_DEP_2) | instskip(SKIP_1) | instid1(VALU_DEP_1)
	v_pk_fma_f32 v[18:19], v[14:15], v[8:9], v[12:13] op_sel:[0,0,1] op_sel_hi:[1,1,0] neg_lo:[0,0,1] neg_hi:[0,0,1]
	v_pk_fma_f32 v[12:13], v[14:15], v[8:9], v[12:13] op_sel:[0,0,1] op_sel_hi:[1,0,0]
	v_mov_b32_e32 v19, v13
	ds_load_2addr_b64 v[12:15], v134 offset0:35 offset1:36
	v_pk_add_f32 v[144:145], v[144:145], v[18:19] neg_lo:[0,1] neg_hi:[0,1]
	s_wait_dscnt 0x0
	v_pk_mul_f32 v[18:19], v[12:13], v[10:11] op_sel:[0,1]
	s_delay_alu instid0(VALU_DEP_1) | instskip(SKIP_1) | instid1(VALU_DEP_1)
	v_pk_fma_f32 v[28:29], v[12:13], v[8:9], v[18:19] op_sel:[0,0,1] op_sel_hi:[1,1,0] neg_lo:[0,0,1] neg_hi:[0,0,1]
	v_pk_fma_f32 v[12:13], v[12:13], v[8:9], v[18:19] op_sel:[0,0,1] op_sel_hi:[1,0,0]
	v_mov_b32_e32 v29, v13
	v_pk_mul_f32 v[12:13], v[14:15], v[10:11] op_sel:[0,1]
	s_delay_alu instid0(VALU_DEP_2) | instskip(NEXT) | instid1(VALU_DEP_2)
	v_pk_add_f32 v[140:141], v[140:141], v[28:29] neg_lo:[0,1] neg_hi:[0,1]
	v_pk_fma_f32 v[18:19], v[14:15], v[8:9], v[12:13] op_sel:[0,0,1] op_sel_hi:[1,1,0] neg_lo:[0,0,1] neg_hi:[0,0,1]
	v_pk_fma_f32 v[12:13], v[14:15], v[8:9], v[12:13] op_sel:[0,0,1] op_sel_hi:[1,0,0]
	s_delay_alu instid0(VALU_DEP_1) | instskip(SKIP_4) | instid1(VALU_DEP_1)
	v_mov_b32_e32 v19, v13
	ds_load_2addr_b64 v[12:15], v134 offset0:37 offset1:38
	v_pk_add_f32 v[162:163], v[162:163], v[18:19] neg_lo:[0,1] neg_hi:[0,1]
	s_wait_dscnt 0x0
	v_pk_mul_f32 v[18:19], v[12:13], v[10:11] op_sel:[0,1]
	v_pk_fma_f32 v[28:29], v[12:13], v[8:9], v[18:19] op_sel:[0,0,1] op_sel_hi:[1,1,0] neg_lo:[0,0,1] neg_hi:[0,0,1]
	v_pk_fma_f32 v[12:13], v[12:13], v[8:9], v[18:19] op_sel:[0,0,1] op_sel_hi:[1,0,0]
	v_dual_mul_f32 v18, v15, v11 :: v_dual_mov_b32 v12, v15
	s_delay_alu instid0(VALU_DEP_2) | instskip(NEXT) | instid1(VALU_DEP_2)
	v_dual_mov_b32 v29, v13 :: v_dual_mov_b32 v13, v14
	v_pk_fma_f32 v[18:19], v[14:15], v[112:113], v[18:19] op_sel_hi:[1,1,0] neg_lo:[0,0,1] neg_hi:[0,0,1]
	v_mul_f32_e32 v14, v15, v8
	s_delay_alu instid0(VALU_DEP_3) | instskip(NEXT) | instid1(VALU_DEP_2)
	v_pk_add_f32 v[158:159], v[158:159], v[28:29] neg_lo:[0,1] neg_hi:[0,1]
	v_pk_fma_f32 v[12:13], v[12:13], v[112:113], v[14:15] op_sel_hi:[1,1,0]
	s_delay_alu instid0(VALU_DEP_1) | instskip(SKIP_4) | instid1(VALU_DEP_1)
	v_mov_b32_e32 v19, v13
	ds_load_2addr_b64 v[12:15], v134 offset0:39 offset1:40
	v_pk_add_f32 v[160:161], v[160:161], v[18:19] neg_lo:[0,1] neg_hi:[0,1]
	s_wait_dscnt 0x0
	v_pk_mul_f32 v[18:19], v[12:13], v[10:11] op_sel:[0,1]
	v_pk_fma_f32 v[28:29], v[12:13], v[8:9], v[18:19] op_sel:[0,0,1] op_sel_hi:[1,1,0] neg_lo:[0,0,1] neg_hi:[0,0,1]
	v_pk_fma_f32 v[12:13], v[12:13], v[8:9], v[18:19] op_sel:[0,0,1] op_sel_hi:[1,0,0]
	s_delay_alu instid0(VALU_DEP_1) | instskip(SKIP_1) | instid1(VALU_DEP_1)
	v_mov_b32_e32 v29, v13
	v_pk_mul_f32 v[12:13], v[14:15], v[10:11] op_sel:[0,1]
	v_pk_fma_f32 v[18:19], v[14:15], v[8:9], v[12:13] op_sel:[0,0,1] op_sel_hi:[1,1,0] neg_lo:[0,0,1] neg_hi:[0,0,1]
	v_pk_fma_f32 v[12:13], v[14:15], v[8:9], v[12:13] op_sel:[0,0,1] op_sel_hi:[1,0,0]
	s_delay_alu instid0(VALU_DEP_1)
	v_mov_b32_e32 v19, v13
	ds_load_2addr_b64 v[12:15], v134 offset0:41 offset1:42
	v_pk_add_f32 v[156:157], v[156:157], v[28:29] neg_lo:[0,1] neg_hi:[0,1]
	v_pk_add_f32 v[184:185], v[184:185], v[18:19] neg_lo:[0,1] neg_hi:[0,1]
	s_wait_dscnt 0x0
	v_pk_mul_f32 v[18:19], v[12:13], v[10:11] op_sel:[0,1]
	s_delay_alu instid0(VALU_DEP_1) | instskip(SKIP_1) | instid1(VALU_DEP_1)
	v_pk_fma_f32 v[28:29], v[12:13], v[8:9], v[18:19] op_sel:[0,0,1] op_sel_hi:[1,1,0] neg_lo:[0,0,1] neg_hi:[0,0,1]
	v_pk_fma_f32 v[12:13], v[12:13], v[8:9], v[18:19] op_sel:[0,0,1] op_sel_hi:[1,0,0]
	v_mov_b32_e32 v29, v13
	v_pk_mul_f32 v[12:13], v[14:15], v[10:11] op_sel:[0,1]
	s_delay_alu instid0(VALU_DEP_1) | instskip(SKIP_1) | instid1(VALU_DEP_1)
	v_pk_fma_f32 v[18:19], v[14:15], v[8:9], v[12:13] op_sel:[0,0,1] op_sel_hi:[1,1,0] neg_lo:[0,0,1] neg_hi:[0,0,1]
	v_pk_fma_f32 v[12:13], v[14:15], v[8:9], v[12:13] op_sel:[0,0,1] op_sel_hi:[1,0,0]
	v_mov_b32_e32 v19, v13
	ds_load_2addr_b64 v[12:15], v134 offset0:43 offset1:44
	v_pk_add_f32 v[180:181], v[180:181], v[28:29] neg_lo:[0,1] neg_hi:[0,1]
	v_pk_add_f32 v[182:183], v[182:183], v[18:19] neg_lo:[0,1] neg_hi:[0,1]
	s_wait_dscnt 0x0
	v_dual_mul_f32 v18, v13, v11 :: v_dual_mul_f32 v28, v13, v8
	s_delay_alu instid0(VALU_DEP_1) | instskip(NEXT) | instid1(VALU_DEP_2)
	v_pk_fma_f32 v[18:19], v[12:13], v[112:113], v[18:19] op_sel_hi:[1,1,0] neg_lo:[0,0,1] neg_hi:[0,0,1]
	v_pk_fma_f32 v[12:13], v[12:13], v[112:113], v[28:29] op_sel:[1,0,0] op_sel_hi:[0,1,0]
	s_delay_alu instid0(VALU_DEP_1) | instskip(SKIP_1) | instid1(VALU_DEP_2)
	v_mov_b32_e32 v19, v13
	v_pk_mul_f32 v[12:13], v[14:15], v[10:11] op_sel:[0,1]
	v_pk_add_f32 v[178:179], v[178:179], v[18:19] neg_lo:[0,1] neg_hi:[0,1]
	s_delay_alu instid0(VALU_DEP_2) | instskip(SKIP_1) | instid1(VALU_DEP_1)
	v_pk_fma_f32 v[18:19], v[14:15], v[8:9], v[12:13] op_sel:[0,0,1] op_sel_hi:[1,1,0] neg_lo:[0,0,1] neg_hi:[0,0,1]
	v_pk_fma_f32 v[12:13], v[14:15], v[8:9], v[12:13] op_sel:[0,0,1] op_sel_hi:[1,0,0]
	v_mov_b32_e32 v19, v13
	ds_load_2addr_b64 v[12:15], v134 offset0:45 offset1:46
	v_pk_add_f32 v[208:209], v[208:209], v[18:19] neg_lo:[0,1] neg_hi:[0,1]
	s_wait_dscnt 0x0
	v_pk_mul_f32 v[18:19], v[12:13], v[10:11] op_sel:[0,1]
	s_delay_alu instid0(VALU_DEP_1) | instskip(SKIP_1) | instid1(VALU_DEP_1)
	v_pk_fma_f32 v[28:29], v[12:13], v[8:9], v[18:19] op_sel:[0,0,1] op_sel_hi:[1,1,0] neg_lo:[0,0,1] neg_hi:[0,0,1]
	v_pk_fma_f32 v[12:13], v[12:13], v[8:9], v[18:19] op_sel:[0,0,1] op_sel_hi:[1,0,0]
	v_mov_b32_e32 v29, v13
	v_pk_mul_f32 v[12:13], v[14:15], v[10:11] op_sel:[0,1]
	s_delay_alu instid0(VALU_DEP_2) | instskip(NEXT) | instid1(VALU_DEP_2)
	v_pk_add_f32 v[200:201], v[200:201], v[28:29] neg_lo:[0,1] neg_hi:[0,1]
	v_pk_fma_f32 v[18:19], v[14:15], v[8:9], v[12:13] op_sel:[0,0,1] op_sel_hi:[1,1,0] neg_lo:[0,0,1] neg_hi:[0,0,1]
	v_pk_fma_f32 v[12:13], v[14:15], v[8:9], v[12:13] op_sel:[0,0,1] op_sel_hi:[1,0,0]
	s_delay_alu instid0(VALU_DEP_1) | instskip(SKIP_4) | instid1(VALU_DEP_1)
	v_mov_b32_e32 v19, v13
	ds_load_2addr_b64 v[12:15], v134 offset0:47 offset1:48
	v_pk_add_f32 v[206:207], v[206:207], v[18:19] neg_lo:[0,1] neg_hi:[0,1]
	s_wait_dscnt 0x0
	v_pk_mul_f32 v[18:19], v[12:13], v[10:11] op_sel:[0,1]
	v_pk_fma_f32 v[28:29], v[12:13], v[8:9], v[18:19] op_sel:[0,0,1] op_sel_hi:[1,1,0] neg_lo:[0,0,1] neg_hi:[0,0,1]
	v_pk_fma_f32 v[12:13], v[12:13], v[8:9], v[18:19] op_sel:[0,0,1] op_sel_hi:[1,0,0]
	v_dual_mul_f32 v18, v15, v11 :: v_dual_mov_b32 v12, v15
	s_delay_alu instid0(VALU_DEP_2) | instskip(NEXT) | instid1(VALU_DEP_2)
	v_dual_mov_b32 v29, v13 :: v_dual_mov_b32 v13, v14
	v_pk_fma_f32 v[18:19], v[14:15], v[112:113], v[18:19] op_sel_hi:[1,1,0] neg_lo:[0,0,1] neg_hi:[0,0,1]
	v_mul_f32_e32 v14, v15, v8
	s_delay_alu instid0(VALU_DEP_3) | instskip(NEXT) | instid1(VALU_DEP_2)
	v_pk_add_f32 v[198:199], v[198:199], v[28:29] neg_lo:[0,1] neg_hi:[0,1]
	v_pk_fma_f32 v[12:13], v[12:13], v[112:113], v[14:15] op_sel_hi:[1,1,0]
	s_delay_alu instid0(VALU_DEP_1) | instskip(SKIP_4) | instid1(VALU_DEP_1)
	v_mov_b32_e32 v19, v13
	ds_load_2addr_b64 v[12:15], v134 offset0:49 offset1:50
	v_pk_add_f32 v[204:205], v[204:205], v[18:19] neg_lo:[0,1] neg_hi:[0,1]
	s_wait_dscnt 0x0
	v_pk_mul_f32 v[18:19], v[12:13], v[10:11] op_sel:[0,1]
	v_pk_fma_f32 v[28:29], v[12:13], v[8:9], v[18:19] op_sel:[0,0,1] op_sel_hi:[1,1,0] neg_lo:[0,0,1] neg_hi:[0,0,1]
	v_pk_fma_f32 v[12:13], v[12:13], v[8:9], v[18:19] op_sel:[0,0,1] op_sel_hi:[1,0,0]
	s_delay_alu instid0(VALU_DEP_1) | instskip(SKIP_1) | instid1(VALU_DEP_1)
	v_mov_b32_e32 v29, v13
	v_pk_mul_f32 v[12:13], v[14:15], v[10:11] op_sel:[0,1]
	v_pk_fma_f32 v[18:19], v[14:15], v[8:9], v[12:13] op_sel:[0,0,1] op_sel_hi:[1,1,0] neg_lo:[0,0,1] neg_hi:[0,0,1]
	v_pk_fma_f32 v[12:13], v[14:15], v[8:9], v[12:13] op_sel:[0,0,1] op_sel_hi:[1,0,0]
	s_delay_alu instid0(VALU_DEP_1)
	v_mov_b32_e32 v19, v13
	ds_load_2addr_b64 v[12:15], v134 offset0:51 offset1:52
	v_pk_add_f32 v[196:197], v[196:197], v[28:29] neg_lo:[0,1] neg_hi:[0,1]
	v_pk_add_f32 v[202:203], v[202:203], v[18:19] neg_lo:[0,1] neg_hi:[0,1]
	s_wait_dscnt 0x0
	v_pk_mul_f32 v[18:19], v[12:13], v[10:11] op_sel:[0,1]
	v_pk_mul_f32 v[10:11], v[14:15], v[10:11] op_sel:[0,1]
	s_delay_alu instid0(VALU_DEP_2) | instskip(SKIP_1) | instid1(VALU_DEP_1)
	v_pk_fma_f32 v[28:29], v[12:13], v[8:9], v[18:19] op_sel:[0,0,1] op_sel_hi:[1,1,0] neg_lo:[0,0,1] neg_hi:[0,0,1]
	v_pk_fma_f32 v[12:13], v[12:13], v[8:9], v[18:19] op_sel:[0,0,1] op_sel_hi:[1,0,0]
	v_mov_b32_e32 v29, v13
	s_delay_alu instid0(VALU_DEP_4) | instskip(SKIP_1) | instid1(VALU_DEP_1)
	v_pk_fma_f32 v[12:13], v[14:15], v[8:9], v[10:11] op_sel:[0,0,1] op_sel_hi:[1,1,0] neg_lo:[0,0,1] neg_hi:[0,0,1]
	v_pk_fma_f32 v[8:9], v[14:15], v[8:9], v[10:11] op_sel:[0,0,1] op_sel_hi:[1,0,0]
	v_mov_b32_e32 v13, v9
	s_delay_alu instid0(VALU_DEP_4) | instskip(NEXT) | instid1(VALU_DEP_2)
	v_pk_add_f32 v[210:211], v[210:211], v[28:29] neg_lo:[0,1] neg_hi:[0,1]
	v_pk_add_f32 v[212:213], v[212:213], v[12:13] neg_lo:[0,1] neg_hi:[0,1]
.LBB105_226:
	s_or_b32 exec_lo, exec_lo, s1
	s_delay_alu instid0(SALU_CYCLE_1)
	s_mov_b32 s2, exec_lo
	s_wait_dscnt 0x0
	s_barrier_signal -1
	s_barrier_wait -1
	v_cmpx_eq_u32_e32 25, v132
	s_cbranch_execz .LBB105_233
; %bb.227:
	v_dual_mov_b32 v8, v110 :: v_dual_mov_b32 v9, v111
	v_dual_mov_b32 v10, v106 :: v_dual_mov_b32 v11, v107
	ds_store_b64 v133, v[108:109]
	ds_store_2addr_b64 v134, v[8:9], v[10:11] offset0:26 offset1:27
	v_dual_mov_b32 v8, v130 :: v_dual_mov_b32 v9, v131
	v_dual_mov_b32 v10, v126 :: v_dual_mov_b32 v11, v127
	ds_store_2addr_b64 v134, v[8:9], v[10:11] offset0:28 offset1:29
	v_dual_mov_b32 v8, v128 :: v_dual_mov_b32 v9, v129
	v_dual_mov_b32 v10, v124 :: v_dual_mov_b32 v11, v125
	;; [unrolled: 3-line block ×12, first 2 shown]
	ds_store_2addr_b64 v134, v[8:9], v[10:11] offset0:50 offset1:51
	ds_store_b64 v134, v[212:213] offset:416
	ds_load_b64 v[8:9], v133
	s_wait_dscnt 0x0
	v_cmp_neq_f32_e32 vcc_lo, 0, v8
	v_cmp_neq_f32_e64 s1, 0, v9
	s_or_b32 s1, vcc_lo, s1
	s_delay_alu instid0(SALU_CYCLE_1)
	s_and_b32 exec_lo, exec_lo, s1
	s_cbranch_execz .LBB105_233
; %bb.228:
	v_cmp_ngt_f32_e64 s1, |v8|, |v9|
                                        ; implicit-def: $vgpr10_vgpr11
	s_and_saveexec_b32 s4, s1
	s_delay_alu instid0(SALU_CYCLE_1)
	s_xor_b32 s1, exec_lo, s4
	s_cbranch_execz .LBB105_230
; %bb.229:
	v_div_scale_f32 v10, null, v9, v9, v8
	v_div_scale_f32 v13, vcc_lo, v8, v9, v8
	s_delay_alu instid0(VALU_DEP_2) | instskip(SKIP_1) | instid1(TRANS32_DEP_1)
	v_rcp_f32_e32 v11, v10
	v_nop
	v_fma_f32 v12, -v10, v11, 1.0
	s_delay_alu instid0(VALU_DEP_1) | instskip(NEXT) | instid1(VALU_DEP_1)
	v_fmac_f32_e32 v11, v12, v11
	v_mul_f32_e32 v12, v13, v11
	s_delay_alu instid0(VALU_DEP_1) | instskip(NEXT) | instid1(VALU_DEP_1)
	v_fma_f32 v14, -v10, v12, v13
	v_fmac_f32_e32 v12, v14, v11
	s_delay_alu instid0(VALU_DEP_1) | instskip(NEXT) | instid1(VALU_DEP_1)
	v_fma_f32 v10, -v10, v12, v13
	v_div_fmas_f32 v10, v10, v11, v12
	s_delay_alu instid0(VALU_DEP_1) | instskip(NEXT) | instid1(VALU_DEP_1)
	v_div_fixup_f32 v10, v10, v9, v8
	v_fmac_f32_e32 v9, v8, v10
	s_delay_alu instid0(VALU_DEP_1) | instskip(SKIP_1) | instid1(VALU_DEP_2)
	v_div_scale_f32 v8, null, v9, v9, 1.0
	v_div_scale_f32 v13, vcc_lo, 1.0, v9, 1.0
	v_rcp_f32_e32 v11, v8
	v_nop
	s_delay_alu instid0(TRANS32_DEP_1) | instskip(NEXT) | instid1(VALU_DEP_1)
	v_fma_f32 v12, -v8, v11, 1.0
	v_fmac_f32_e32 v11, v12, v11
	s_delay_alu instid0(VALU_DEP_1) | instskip(NEXT) | instid1(VALU_DEP_1)
	v_mul_f32_e32 v12, v13, v11
	v_fma_f32 v14, -v8, v12, v13
	s_delay_alu instid0(VALU_DEP_1) | instskip(NEXT) | instid1(VALU_DEP_1)
	v_fmac_f32_e32 v12, v14, v11
	v_fma_f32 v8, -v8, v12, v13
	s_delay_alu instid0(VALU_DEP_1) | instskip(NEXT) | instid1(VALU_DEP_1)
	v_div_fmas_f32 v8, v8, v11, v12
	v_div_fixup_f32 v8, v8, v9, 1.0
	s_delay_alu instid0(VALU_DEP_1)
	v_mul_f32_e32 v10, v10, v8
	v_xor_b32_e32 v11, 0x80000000, v8
                                        ; implicit-def: $vgpr8_vgpr9
.LBB105_230:
	s_and_not1_saveexec_b32 s1, s1
	s_cbranch_execz .LBB105_232
; %bb.231:
	v_div_scale_f32 v10, null, v8, v8, v9
	v_div_scale_f32 v13, vcc_lo, v9, v8, v9
	s_delay_alu instid0(VALU_DEP_2) | instskip(SKIP_1) | instid1(TRANS32_DEP_1)
	v_rcp_f32_e32 v11, v10
	v_nop
	v_fma_f32 v12, -v10, v11, 1.0
	s_delay_alu instid0(VALU_DEP_1) | instskip(NEXT) | instid1(VALU_DEP_1)
	v_fmac_f32_e32 v11, v12, v11
	v_mul_f32_e32 v12, v13, v11
	s_delay_alu instid0(VALU_DEP_1) | instskip(NEXT) | instid1(VALU_DEP_1)
	v_fma_f32 v14, -v10, v12, v13
	v_fmac_f32_e32 v12, v14, v11
	s_delay_alu instid0(VALU_DEP_1) | instskip(NEXT) | instid1(VALU_DEP_1)
	v_fma_f32 v10, -v10, v12, v13
	v_div_fmas_f32 v10, v10, v11, v12
	s_delay_alu instid0(VALU_DEP_1) | instskip(NEXT) | instid1(VALU_DEP_1)
	v_div_fixup_f32 v11, v10, v8, v9
	v_fmac_f32_e32 v8, v9, v11
	s_delay_alu instid0(VALU_DEP_1) | instskip(NEXT) | instid1(VALU_DEP_1)
	v_div_scale_f32 v9, null, v8, v8, 1.0
	v_rcp_f32_e32 v10, v9
	v_nop
	s_delay_alu instid0(TRANS32_DEP_1) | instskip(NEXT) | instid1(VALU_DEP_1)
	v_fma_f32 v12, -v9, v10, 1.0
	v_fmac_f32_e32 v10, v12, v10
	v_div_scale_f32 v12, vcc_lo, 1.0, v8, 1.0
	s_delay_alu instid0(VALU_DEP_1) | instskip(NEXT) | instid1(VALU_DEP_1)
	v_mul_f32_e32 v13, v12, v10
	v_fma_f32 v14, -v9, v13, v12
	s_delay_alu instid0(VALU_DEP_1) | instskip(NEXT) | instid1(VALU_DEP_1)
	v_fmac_f32_e32 v13, v14, v10
	v_fma_f32 v9, -v9, v13, v12
	s_delay_alu instid0(VALU_DEP_1) | instskip(NEXT) | instid1(VALU_DEP_1)
	v_div_fmas_f32 v9, v9, v10, v13
	v_div_fixup_f32 v10, v9, v8, 1.0
	s_delay_alu instid0(VALU_DEP_1)
	v_mul_f32_e64 v11, v11, -v10
.LBB105_232:
	s_or_b32 exec_lo, exec_lo, s1
	ds_store_b64 v133, v[10:11]
.LBB105_233:
	s_or_b32 exec_lo, exec_lo, s2
	s_wait_dscnt 0x0
	s_barrier_signal -1
	s_barrier_wait -1
	ds_load_b64 v[8:9], v133
	s_mov_b32 s1, exec_lo
	v_cmpx_lt_u32_e32 25, v132
	s_cbranch_execz .LBB105_235
; %bb.234:
	ds_load_2addr_b64 v[28:31], v134 offset0:26 offset1:27
	s_wait_dscnt 0x1
	v_pk_mul_f32 v[12:13], v[8:9], v[108:109] op_sel:[1,1] op_sel_hi:[0,1]
	s_delay_alu instid0(VALU_DEP_1) | instskip(SKIP_1) | instid1(VALU_DEP_1)
	v_pk_fma_f32 v[10:11], v[8:9], v[108:109], v[12:13] op_sel_hi:[1,0,1] neg_lo:[0,0,1] neg_hi:[0,0,1]
	v_pk_fma_f32 v[12:13], v[8:9], v[108:109], v[12:13] op_sel_hi:[1,0,1]
	v_dual_mov_b32 v108, v10 :: v_dual_mov_b32 v109, v13
	s_wait_dscnt 0x0
	s_delay_alu instid0(VALU_DEP_2) | instskip(NEXT) | instid1(VALU_DEP_1)
	v_pk_mul_f32 v[14:15], v[28:29], v[12:13] op_sel:[0,1]
	v_pk_fma_f32 v[18:19], v[28:29], v[10:11], v[14:15] op_sel:[0,0,1] op_sel_hi:[1,1,0] neg_lo:[0,0,1] neg_hi:[0,0,1]
	v_pk_fma_f32 v[14:15], v[28:29], v[10:11], v[14:15] op_sel:[0,0,1] op_sel_hi:[1,0,0]
	s_delay_alu instid0(VALU_DEP_1) | instskip(SKIP_1) | instid1(VALU_DEP_2)
	v_mov_b32_e32 v19, v15
	v_pk_mul_f32 v[14:15], v[30:31], v[12:13] op_sel:[0,1]
	v_pk_add_f32 v[110:111], v[110:111], v[18:19] neg_lo:[0,1] neg_hi:[0,1]
	s_delay_alu instid0(VALU_DEP_2) | instskip(SKIP_3) | instid1(VALU_DEP_1)
	v_pk_fma_f32 v[18:19], v[30:31], v[10:11], v[14:15] op_sel:[0,0,1] op_sel_hi:[1,1,0] neg_lo:[0,0,1] neg_hi:[0,0,1]
	v_pk_fma_f32 v[14:15], v[30:31], v[10:11], v[14:15] op_sel:[0,0,1] op_sel_hi:[1,0,0]
	ds_load_2addr_b64 v[28:31], v134 offset0:28 offset1:29
	v_mov_b32_e32 v19, v15
	v_pk_add_f32 v[106:107], v[106:107], v[18:19] neg_lo:[0,1] neg_hi:[0,1]
	s_wait_dscnt 0x0
	v_pk_mul_f32 v[14:15], v[28:29], v[12:13] op_sel:[0,1]
	s_delay_alu instid0(VALU_DEP_1) | instskip(SKIP_2) | instid1(VALU_DEP_2)
	v_pk_fma_f32 v[18:19], v[28:29], v[10:11], v[14:15] op_sel:[0,0,1] op_sel_hi:[1,1,0] neg_lo:[0,0,1] neg_hi:[0,0,1]
	v_pk_fma_f32 v[14:15], v[28:29], v[10:11], v[14:15] op_sel:[0,0,1] op_sel_hi:[1,0,0]
	v_dual_mov_b32 v14, v31 :: v_dual_mul_f32 v28, v31, v10
	v_dual_mov_b32 v19, v15 :: v_dual_mov_b32 v15, v30
	s_delay_alu instid0(VALU_DEP_1) | instskip(SKIP_1) | instid1(VALU_DEP_3)
	v_pk_add_f32 v[130:131], v[130:131], v[18:19] neg_lo:[0,1] neg_hi:[0,1]
	v_mul_f32_e32 v18, v31, v13
	v_pk_fma_f32 v[14:15], v[14:15], v[108:109], v[28:29] op_sel_hi:[1,1,0]
	s_delay_alu instid0(VALU_DEP_2) | instskip(SKIP_2) | instid1(VALU_DEP_1)
	v_pk_fma_f32 v[18:19], v[30:31], v[108:109], v[18:19] op_sel_hi:[1,1,0] neg_lo:[0,0,1] neg_hi:[0,0,1]
	ds_load_2addr_b64 v[28:31], v134 offset0:30 offset1:31
	v_mov_b32_e32 v19, v15
	v_pk_add_f32 v[126:127], v[126:127], v[18:19] neg_lo:[0,1] neg_hi:[0,1]
	s_wait_dscnt 0x0
	v_pk_mul_f32 v[14:15], v[28:29], v[12:13] op_sel:[0,1]
	s_delay_alu instid0(VALU_DEP_1) | instskip(SKIP_1) | instid1(VALU_DEP_1)
	v_pk_fma_f32 v[18:19], v[28:29], v[10:11], v[14:15] op_sel:[0,0,1] op_sel_hi:[1,1,0] neg_lo:[0,0,1] neg_hi:[0,0,1]
	v_pk_fma_f32 v[14:15], v[28:29], v[10:11], v[14:15] op_sel:[0,0,1] op_sel_hi:[1,0,0]
	v_mov_b32_e32 v19, v15
	v_pk_mul_f32 v[14:15], v[30:31], v[12:13] op_sel:[0,1]
	s_delay_alu instid0(VALU_DEP_2) | instskip(NEXT) | instid1(VALU_DEP_2)
	v_pk_add_f32 v[128:129], v[128:129], v[18:19] neg_lo:[0,1] neg_hi:[0,1]
	v_pk_fma_f32 v[18:19], v[30:31], v[10:11], v[14:15] op_sel:[0,0,1] op_sel_hi:[1,1,0] neg_lo:[0,0,1] neg_hi:[0,0,1]
	v_pk_fma_f32 v[14:15], v[30:31], v[10:11], v[14:15] op_sel:[0,0,1] op_sel_hi:[1,0,0]
	ds_load_2addr_b64 v[28:31], v134 offset0:32 offset1:33
	v_mov_b32_e32 v19, v15
	s_delay_alu instid0(VALU_DEP_1) | instskip(SKIP_2) | instid1(VALU_DEP_1)
	v_pk_add_f32 v[124:125], v[124:125], v[18:19] neg_lo:[0,1] neg_hi:[0,1]
	s_wait_dscnt 0x0
	v_pk_mul_f32 v[14:15], v[28:29], v[12:13] op_sel:[0,1]
	v_pk_fma_f32 v[18:19], v[28:29], v[10:11], v[14:15] op_sel:[0,0,1] op_sel_hi:[1,1,0] neg_lo:[0,0,1] neg_hi:[0,0,1]
	v_pk_fma_f32 v[14:15], v[28:29], v[10:11], v[14:15] op_sel:[0,0,1] op_sel_hi:[1,0,0]
	s_delay_alu instid0(VALU_DEP_1) | instskip(SKIP_1) | instid1(VALU_DEP_2)
	v_mov_b32_e32 v19, v15
	v_pk_mul_f32 v[14:15], v[30:31], v[12:13] op_sel:[0,1]
	v_pk_add_f32 v[146:147], v[146:147], v[18:19] neg_lo:[0,1] neg_hi:[0,1]
	s_delay_alu instid0(VALU_DEP_2) | instskip(SKIP_3) | instid1(VALU_DEP_1)
	v_pk_fma_f32 v[18:19], v[30:31], v[10:11], v[14:15] op_sel:[0,0,1] op_sel_hi:[1,1,0] neg_lo:[0,0,1] neg_hi:[0,0,1]
	v_pk_fma_f32 v[14:15], v[30:31], v[10:11], v[14:15] op_sel:[0,0,1] op_sel_hi:[1,0,0]
	ds_load_2addr_b64 v[28:31], v134 offset0:34 offset1:35
	v_mov_b32_e32 v19, v15
	v_pk_add_f32 v[142:143], v[142:143], v[18:19] neg_lo:[0,1] neg_hi:[0,1]
	s_wait_dscnt 0x0
	v_dual_mul_f32 v18, v29, v10 :: v_dual_mul_f32 v14, v29, v13
	s_delay_alu instid0(VALU_DEP_1) | instskip(NEXT) | instid1(VALU_DEP_2)
	v_pk_fma_f32 v[18:19], v[28:29], v[108:109], v[18:19] op_sel:[1,0,0] op_sel_hi:[0,1,0]
	v_pk_fma_f32 v[14:15], v[28:29], v[108:109], v[14:15] op_sel_hi:[1,1,0] neg_lo:[0,0,1] neg_hi:[0,0,1]
	s_delay_alu instid0(VALU_DEP_2) | instskip(NEXT) | instid1(VALU_DEP_1)
	v_mov_b32_e32 v15, v19
	v_pk_add_f32 v[144:145], v[144:145], v[14:15] neg_lo:[0,1] neg_hi:[0,1]
	v_pk_mul_f32 v[14:15], v[30:31], v[12:13] op_sel:[0,1]
	s_delay_alu instid0(VALU_DEP_1) | instskip(SKIP_3) | instid1(VALU_DEP_1)
	v_pk_fma_f32 v[18:19], v[30:31], v[10:11], v[14:15] op_sel:[0,0,1] op_sel_hi:[1,1,0] neg_lo:[0,0,1] neg_hi:[0,0,1]
	v_pk_fma_f32 v[14:15], v[30:31], v[10:11], v[14:15] op_sel:[0,0,1] op_sel_hi:[1,0,0]
	ds_load_2addr_b64 v[28:31], v134 offset0:36 offset1:37
	v_mov_b32_e32 v19, v15
	v_pk_add_f32 v[140:141], v[140:141], v[18:19] neg_lo:[0,1] neg_hi:[0,1]
	s_wait_dscnt 0x0
	v_pk_mul_f32 v[14:15], v[28:29], v[12:13] op_sel:[0,1]
	s_delay_alu instid0(VALU_DEP_1) | instskip(SKIP_1) | instid1(VALU_DEP_1)
	v_pk_fma_f32 v[18:19], v[28:29], v[10:11], v[14:15] op_sel:[0,0,1] op_sel_hi:[1,1,0] neg_lo:[0,0,1] neg_hi:[0,0,1]
	v_pk_fma_f32 v[14:15], v[28:29], v[10:11], v[14:15] op_sel:[0,0,1] op_sel_hi:[1,0,0]
	v_mov_b32_e32 v19, v15
	v_pk_mul_f32 v[14:15], v[30:31], v[12:13] op_sel:[0,1]
	s_delay_alu instid0(VALU_DEP_2) | instskip(NEXT) | instid1(VALU_DEP_2)
	v_pk_add_f32 v[162:163], v[162:163], v[18:19] neg_lo:[0,1] neg_hi:[0,1]
	v_pk_fma_f32 v[18:19], v[30:31], v[10:11], v[14:15] op_sel:[0,0,1] op_sel_hi:[1,1,0] neg_lo:[0,0,1] neg_hi:[0,0,1]
	v_pk_fma_f32 v[14:15], v[30:31], v[10:11], v[14:15] op_sel:[0,0,1] op_sel_hi:[1,0,0]
	ds_load_2addr_b64 v[28:31], v134 offset0:38 offset1:39
	v_mov_b32_e32 v19, v15
	s_delay_alu instid0(VALU_DEP_1) | instskip(SKIP_2) | instid1(VALU_DEP_1)
	v_pk_add_f32 v[158:159], v[158:159], v[18:19] neg_lo:[0,1] neg_hi:[0,1]
	s_wait_dscnt 0x0
	v_pk_mul_f32 v[14:15], v[28:29], v[12:13] op_sel:[0,1]
	v_pk_fma_f32 v[18:19], v[28:29], v[10:11], v[14:15] op_sel:[0,0,1] op_sel_hi:[1,1,0] neg_lo:[0,0,1] neg_hi:[0,0,1]
	v_pk_fma_f32 v[14:15], v[28:29], v[10:11], v[14:15] op_sel:[0,0,1] op_sel_hi:[1,0,0]
	v_dual_mov_b32 v14, v31 :: v_dual_mul_f32 v28, v31, v10
	s_delay_alu instid0(VALU_DEP_2) | instskip(NEXT) | instid1(VALU_DEP_1)
	v_dual_mov_b32 v19, v15 :: v_dual_mov_b32 v15, v30
	v_pk_add_f32 v[160:161], v[160:161], v[18:19] neg_lo:[0,1] neg_hi:[0,1]
	v_mul_f32_e32 v18, v31, v13
	s_delay_alu instid0(VALU_DEP_3) | instskip(NEXT) | instid1(VALU_DEP_2)
	v_pk_fma_f32 v[14:15], v[14:15], v[108:109], v[28:29] op_sel_hi:[1,1,0]
	v_pk_fma_f32 v[18:19], v[30:31], v[108:109], v[18:19] op_sel_hi:[1,1,0] neg_lo:[0,0,1] neg_hi:[0,0,1]
	ds_load_2addr_b64 v[28:31], v134 offset0:40 offset1:41
	v_mov_b32_e32 v19, v15
	s_delay_alu instid0(VALU_DEP_1) | instskip(SKIP_2) | instid1(VALU_DEP_1)
	v_pk_add_f32 v[156:157], v[156:157], v[18:19] neg_lo:[0,1] neg_hi:[0,1]
	s_wait_dscnt 0x0
	v_pk_mul_f32 v[14:15], v[28:29], v[12:13] op_sel:[0,1]
	v_pk_fma_f32 v[18:19], v[28:29], v[10:11], v[14:15] op_sel:[0,0,1] op_sel_hi:[1,1,0] neg_lo:[0,0,1] neg_hi:[0,0,1]
	v_pk_fma_f32 v[14:15], v[28:29], v[10:11], v[14:15] op_sel:[0,0,1] op_sel_hi:[1,0,0]
	s_delay_alu instid0(VALU_DEP_1) | instskip(SKIP_1) | instid1(VALU_DEP_2)
	v_mov_b32_e32 v19, v15
	v_pk_mul_f32 v[14:15], v[30:31], v[12:13] op_sel:[0,1]
	v_pk_add_f32 v[184:185], v[184:185], v[18:19] neg_lo:[0,1] neg_hi:[0,1]
	s_delay_alu instid0(VALU_DEP_2) | instskip(SKIP_3) | instid1(VALU_DEP_1)
	v_pk_fma_f32 v[18:19], v[30:31], v[10:11], v[14:15] op_sel:[0,0,1] op_sel_hi:[1,1,0] neg_lo:[0,0,1] neg_hi:[0,0,1]
	v_pk_fma_f32 v[14:15], v[30:31], v[10:11], v[14:15] op_sel:[0,0,1] op_sel_hi:[1,0,0]
	ds_load_2addr_b64 v[28:31], v134 offset0:42 offset1:43
	v_mov_b32_e32 v19, v15
	v_pk_add_f32 v[180:181], v[180:181], v[18:19] neg_lo:[0,1] neg_hi:[0,1]
	s_wait_dscnt 0x0
	v_pk_mul_f32 v[14:15], v[28:29], v[12:13] op_sel:[0,1]
	s_delay_alu instid0(VALU_DEP_1) | instskip(SKIP_1) | instid1(VALU_DEP_1)
	v_pk_fma_f32 v[18:19], v[28:29], v[10:11], v[14:15] op_sel:[0,0,1] op_sel_hi:[1,1,0] neg_lo:[0,0,1] neg_hi:[0,0,1]
	v_pk_fma_f32 v[14:15], v[28:29], v[10:11], v[14:15] op_sel:[0,0,1] op_sel_hi:[1,0,0]
	v_mov_b32_e32 v19, v15
	v_pk_mul_f32 v[14:15], v[30:31], v[12:13] op_sel:[0,1]
	s_delay_alu instid0(VALU_DEP_2) | instskip(NEXT) | instid1(VALU_DEP_2)
	v_pk_add_f32 v[182:183], v[182:183], v[18:19] neg_lo:[0,1] neg_hi:[0,1]
	v_pk_fma_f32 v[18:19], v[30:31], v[10:11], v[14:15] op_sel:[0,0,1] op_sel_hi:[1,1,0] neg_lo:[0,0,1] neg_hi:[0,0,1]
	v_pk_fma_f32 v[14:15], v[30:31], v[10:11], v[14:15] op_sel:[0,0,1] op_sel_hi:[1,0,0]
	ds_load_2addr_b64 v[28:31], v134 offset0:44 offset1:45
	v_mov_b32_e32 v19, v15
	s_delay_alu instid0(VALU_DEP_1) | instskip(SKIP_2) | instid1(VALU_DEP_1)
	v_pk_add_f32 v[178:179], v[178:179], v[18:19] neg_lo:[0,1] neg_hi:[0,1]
	s_wait_dscnt 0x0
	v_dual_mul_f32 v18, v29, v10 :: v_dual_mul_f32 v14, v29, v13
	v_pk_fma_f32 v[18:19], v[28:29], v[108:109], v[18:19] op_sel:[1,0,0] op_sel_hi:[0,1,0]
	s_delay_alu instid0(VALU_DEP_2) | instskip(NEXT) | instid1(VALU_DEP_2)
	v_pk_fma_f32 v[14:15], v[28:29], v[108:109], v[14:15] op_sel_hi:[1,1,0] neg_lo:[0,0,1] neg_hi:[0,0,1]
	v_mov_b32_e32 v15, v19
	s_delay_alu instid0(VALU_DEP_1) | instskip(SKIP_1) | instid1(VALU_DEP_1)
	v_pk_add_f32 v[208:209], v[208:209], v[14:15] neg_lo:[0,1] neg_hi:[0,1]
	v_pk_mul_f32 v[14:15], v[30:31], v[12:13] op_sel:[0,1]
	v_pk_fma_f32 v[18:19], v[30:31], v[10:11], v[14:15] op_sel:[0,0,1] op_sel_hi:[1,1,0] neg_lo:[0,0,1] neg_hi:[0,0,1]
	v_pk_fma_f32 v[14:15], v[30:31], v[10:11], v[14:15] op_sel:[0,0,1] op_sel_hi:[1,0,0]
	ds_load_2addr_b64 v[28:31], v134 offset0:46 offset1:47
	v_mov_b32_e32 v19, v15
	s_delay_alu instid0(VALU_DEP_1) | instskip(SKIP_2) | instid1(VALU_DEP_1)
	v_pk_add_f32 v[200:201], v[200:201], v[18:19] neg_lo:[0,1] neg_hi:[0,1]
	s_wait_dscnt 0x0
	v_pk_mul_f32 v[14:15], v[28:29], v[12:13] op_sel:[0,1]
	v_pk_fma_f32 v[18:19], v[28:29], v[10:11], v[14:15] op_sel:[0,0,1] op_sel_hi:[1,1,0] neg_lo:[0,0,1] neg_hi:[0,0,1]
	v_pk_fma_f32 v[14:15], v[28:29], v[10:11], v[14:15] op_sel:[0,0,1] op_sel_hi:[1,0,0]
	s_delay_alu instid0(VALU_DEP_1) | instskip(SKIP_1) | instid1(VALU_DEP_2)
	v_mov_b32_e32 v19, v15
	v_pk_mul_f32 v[14:15], v[30:31], v[12:13] op_sel:[0,1]
	v_pk_add_f32 v[206:207], v[206:207], v[18:19] neg_lo:[0,1] neg_hi:[0,1]
	s_delay_alu instid0(VALU_DEP_2) | instskip(SKIP_3) | instid1(VALU_DEP_1)
	v_pk_fma_f32 v[18:19], v[30:31], v[10:11], v[14:15] op_sel:[0,0,1] op_sel_hi:[1,1,0] neg_lo:[0,0,1] neg_hi:[0,0,1]
	v_pk_fma_f32 v[14:15], v[30:31], v[10:11], v[14:15] op_sel:[0,0,1] op_sel_hi:[1,0,0]
	ds_load_2addr_b64 v[28:31], v134 offset0:48 offset1:49
	v_mov_b32_e32 v19, v15
	v_pk_add_f32 v[198:199], v[198:199], v[18:19] neg_lo:[0,1] neg_hi:[0,1]
	s_wait_dscnt 0x0
	v_pk_mul_f32 v[14:15], v[28:29], v[12:13] op_sel:[0,1]
	s_delay_alu instid0(VALU_DEP_1) | instskip(SKIP_2) | instid1(VALU_DEP_2)
	v_pk_fma_f32 v[18:19], v[28:29], v[10:11], v[14:15] op_sel:[0,0,1] op_sel_hi:[1,1,0] neg_lo:[0,0,1] neg_hi:[0,0,1]
	v_pk_fma_f32 v[14:15], v[28:29], v[10:11], v[14:15] op_sel:[0,0,1] op_sel_hi:[1,0,0]
	v_dual_mov_b32 v14, v31 :: v_dual_mul_f32 v28, v31, v10
	v_dual_mov_b32 v19, v15 :: v_dual_mov_b32 v15, v30
	s_delay_alu instid0(VALU_DEP_1) | instskip(SKIP_1) | instid1(VALU_DEP_3)
	v_pk_add_f32 v[204:205], v[204:205], v[18:19] neg_lo:[0,1] neg_hi:[0,1]
	v_mul_f32_e32 v18, v31, v13
	v_pk_fma_f32 v[14:15], v[14:15], v[108:109], v[28:29] op_sel_hi:[1,1,0]
	s_delay_alu instid0(VALU_DEP_2) | instskip(SKIP_2) | instid1(VALU_DEP_1)
	v_pk_fma_f32 v[18:19], v[30:31], v[108:109], v[18:19] op_sel_hi:[1,1,0] neg_lo:[0,0,1] neg_hi:[0,0,1]
	ds_load_2addr_b64 v[28:31], v134 offset0:50 offset1:51
	v_mov_b32_e32 v19, v15
	v_pk_add_f32 v[196:197], v[196:197], v[18:19] neg_lo:[0,1] neg_hi:[0,1]
	s_wait_dscnt 0x0
	v_pk_mul_f32 v[14:15], v[28:29], v[12:13] op_sel:[0,1]
	s_delay_alu instid0(VALU_DEP_1) | instskip(SKIP_1) | instid1(VALU_DEP_1)
	v_pk_fma_f32 v[18:19], v[28:29], v[10:11], v[14:15] op_sel:[0,0,1] op_sel_hi:[1,1,0] neg_lo:[0,0,1] neg_hi:[0,0,1]
	v_pk_fma_f32 v[14:15], v[28:29], v[10:11], v[14:15] op_sel:[0,0,1] op_sel_hi:[1,0,0]
	v_mov_b32_e32 v19, v15
	v_pk_mul_f32 v[14:15], v[30:31], v[12:13] op_sel:[0,1]
	s_delay_alu instid0(VALU_DEP_2) | instskip(NEXT) | instid1(VALU_DEP_2)
	v_pk_add_f32 v[202:203], v[202:203], v[18:19] neg_lo:[0,1] neg_hi:[0,1]
	v_pk_fma_f32 v[18:19], v[30:31], v[10:11], v[14:15] op_sel:[0,0,1] op_sel_hi:[1,1,0] neg_lo:[0,0,1] neg_hi:[0,0,1]
	v_pk_fma_f32 v[14:15], v[30:31], v[10:11], v[14:15] op_sel:[0,0,1] op_sel_hi:[1,0,0]
	s_delay_alu instid0(VALU_DEP_1) | instskip(SKIP_4) | instid1(VALU_DEP_1)
	v_mov_b32_e32 v19, v15
	ds_load_b64 v[14:15], v134 offset:416
	v_pk_add_f32 v[210:211], v[210:211], v[18:19] neg_lo:[0,1] neg_hi:[0,1]
	s_wait_dscnt 0x0
	v_pk_mul_f32 v[12:13], v[14:15], v[12:13] op_sel:[0,1]
	v_pk_fma_f32 v[18:19], v[14:15], v[10:11], v[12:13] op_sel:[0,0,1] op_sel_hi:[1,1,0] neg_lo:[0,0,1] neg_hi:[0,0,1]
	v_pk_fma_f32 v[10:11], v[14:15], v[10:11], v[12:13] op_sel:[0,0,1] op_sel_hi:[1,0,0]
	s_delay_alu instid0(VALU_DEP_1) | instskip(NEXT) | instid1(VALU_DEP_1)
	v_mov_b32_e32 v19, v11
	v_pk_add_f32 v[212:213], v[212:213], v[18:19] neg_lo:[0,1] neg_hi:[0,1]
.LBB105_235:
	s_or_b32 exec_lo, exec_lo, s1
	s_delay_alu instid0(SALU_CYCLE_1)
	s_mov_b32 s2, exec_lo
	s_wait_dscnt 0x0
	s_barrier_signal -1
	s_barrier_wait -1
	v_cmpx_eq_u32_e32 26, v132
	s_cbranch_execz .LBB105_242
; %bb.236:
	ds_store_b64 v133, v[110:111]
	ds_store_2addr_b64 v134, v[106:107], v[130:131] offset0:27 offset1:28
	ds_store_2addr_b64 v134, v[126:127], v[128:129] offset0:29 offset1:30
	;; [unrolled: 1-line block ×13, first 2 shown]
	ds_load_b64 v[10:11], v133
	s_wait_dscnt 0x0
	v_cmp_neq_f32_e32 vcc_lo, 0, v10
	v_cmp_neq_f32_e64 s1, 0, v11
	s_or_b32 s1, vcc_lo, s1
	s_delay_alu instid0(SALU_CYCLE_1)
	s_and_b32 exec_lo, exec_lo, s1
	s_cbranch_execz .LBB105_242
; %bb.237:
	v_cmp_ngt_f32_e64 s1, |v10|, |v11|
                                        ; implicit-def: $vgpr12_vgpr13
	s_and_saveexec_b32 s4, s1
	s_delay_alu instid0(SALU_CYCLE_1)
	s_xor_b32 s1, exec_lo, s4
	s_cbranch_execz .LBB105_239
; %bb.238:
	v_div_scale_f32 v12, null, v11, v11, v10
	v_div_scale_f32 v15, vcc_lo, v10, v11, v10
	s_delay_alu instid0(VALU_DEP_2) | instskip(SKIP_1) | instid1(TRANS32_DEP_1)
	v_rcp_f32_e32 v13, v12
	v_nop
	v_fma_f32 v14, -v12, v13, 1.0
	s_delay_alu instid0(VALU_DEP_1) | instskip(NEXT) | instid1(VALU_DEP_1)
	v_fmac_f32_e32 v13, v14, v13
	v_mul_f32_e32 v14, v15, v13
	s_delay_alu instid0(VALU_DEP_1) | instskip(NEXT) | instid1(VALU_DEP_1)
	v_fma_f32 v18, -v12, v14, v15
	v_fmac_f32_e32 v14, v18, v13
	s_delay_alu instid0(VALU_DEP_1) | instskip(NEXT) | instid1(VALU_DEP_1)
	v_fma_f32 v12, -v12, v14, v15
	v_div_fmas_f32 v12, v12, v13, v14
	s_delay_alu instid0(VALU_DEP_1) | instskip(NEXT) | instid1(VALU_DEP_1)
	v_div_fixup_f32 v12, v12, v11, v10
	v_fmac_f32_e32 v11, v10, v12
	s_delay_alu instid0(VALU_DEP_1) | instskip(SKIP_1) | instid1(VALU_DEP_2)
	v_div_scale_f32 v10, null, v11, v11, 1.0
	v_div_scale_f32 v15, vcc_lo, 1.0, v11, 1.0
	v_rcp_f32_e32 v13, v10
	v_nop
	s_delay_alu instid0(TRANS32_DEP_1) | instskip(NEXT) | instid1(VALU_DEP_1)
	v_fma_f32 v14, -v10, v13, 1.0
	v_fmac_f32_e32 v13, v14, v13
	s_delay_alu instid0(VALU_DEP_1) | instskip(NEXT) | instid1(VALU_DEP_1)
	v_mul_f32_e32 v14, v15, v13
	v_fma_f32 v18, -v10, v14, v15
	s_delay_alu instid0(VALU_DEP_1) | instskip(NEXT) | instid1(VALU_DEP_1)
	v_fmac_f32_e32 v14, v18, v13
	v_fma_f32 v10, -v10, v14, v15
	s_delay_alu instid0(VALU_DEP_1) | instskip(NEXT) | instid1(VALU_DEP_1)
	v_div_fmas_f32 v10, v10, v13, v14
	v_div_fixup_f32 v10, v10, v11, 1.0
	s_delay_alu instid0(VALU_DEP_1)
	v_mul_f32_e32 v12, v12, v10
	v_xor_b32_e32 v13, 0x80000000, v10
                                        ; implicit-def: $vgpr10_vgpr11
.LBB105_239:
	s_and_not1_saveexec_b32 s1, s1
	s_cbranch_execz .LBB105_241
; %bb.240:
	v_div_scale_f32 v12, null, v10, v10, v11
	v_div_scale_f32 v15, vcc_lo, v11, v10, v11
	s_delay_alu instid0(VALU_DEP_2) | instskip(SKIP_1) | instid1(TRANS32_DEP_1)
	v_rcp_f32_e32 v13, v12
	v_nop
	v_fma_f32 v14, -v12, v13, 1.0
	s_delay_alu instid0(VALU_DEP_1) | instskip(NEXT) | instid1(VALU_DEP_1)
	v_fmac_f32_e32 v13, v14, v13
	v_mul_f32_e32 v14, v15, v13
	s_delay_alu instid0(VALU_DEP_1) | instskip(NEXT) | instid1(VALU_DEP_1)
	v_fma_f32 v18, -v12, v14, v15
	v_fmac_f32_e32 v14, v18, v13
	s_delay_alu instid0(VALU_DEP_1) | instskip(NEXT) | instid1(VALU_DEP_1)
	v_fma_f32 v12, -v12, v14, v15
	v_div_fmas_f32 v12, v12, v13, v14
	s_delay_alu instid0(VALU_DEP_1) | instskip(NEXT) | instid1(VALU_DEP_1)
	v_div_fixup_f32 v13, v12, v10, v11
	v_fmac_f32_e32 v10, v11, v13
	s_delay_alu instid0(VALU_DEP_1) | instskip(NEXT) | instid1(VALU_DEP_1)
	v_div_scale_f32 v11, null, v10, v10, 1.0
	v_rcp_f32_e32 v12, v11
	v_nop
	s_delay_alu instid0(TRANS32_DEP_1) | instskip(NEXT) | instid1(VALU_DEP_1)
	v_fma_f32 v14, -v11, v12, 1.0
	v_fmac_f32_e32 v12, v14, v12
	v_div_scale_f32 v14, vcc_lo, 1.0, v10, 1.0
	s_delay_alu instid0(VALU_DEP_1) | instskip(NEXT) | instid1(VALU_DEP_1)
	v_mul_f32_e32 v15, v14, v12
	v_fma_f32 v18, -v11, v15, v14
	s_delay_alu instid0(VALU_DEP_1) | instskip(NEXT) | instid1(VALU_DEP_1)
	v_fmac_f32_e32 v15, v18, v12
	v_fma_f32 v11, -v11, v15, v14
	s_delay_alu instid0(VALU_DEP_1) | instskip(NEXT) | instid1(VALU_DEP_1)
	v_div_fmas_f32 v11, v11, v12, v15
	v_div_fixup_f32 v12, v11, v10, 1.0
	s_delay_alu instid0(VALU_DEP_1)
	v_mul_f32_e64 v13, v13, -v12
.LBB105_241:
	s_or_b32 exec_lo, exec_lo, s1
	ds_store_b64 v133, v[12:13]
.LBB105_242:
	s_or_b32 exec_lo, exec_lo, s2
	s_wait_dscnt 0x0
	s_barrier_signal -1
	s_barrier_wait -1
	ds_load_b64 v[10:11], v133
	s_mov_b32 s1, exec_lo
	v_cmpx_lt_u32_e32 26, v132
	s_cbranch_execz .LBB105_244
; %bb.243:
	ds_load_2addr_b64 v[28:31], v134 offset0:27 offset1:28
	s_wait_dscnt 0x1
	v_pk_mul_f32 v[14:15], v[10:11], v[110:111] op_sel:[1,1] op_sel_hi:[0,1]
	s_delay_alu instid0(VALU_DEP_1) | instskip(SKIP_1) | instid1(VALU_DEP_1)
	v_pk_fma_f32 v[12:13], v[10:11], v[110:111], v[14:15] op_sel_hi:[1,0,1] neg_lo:[0,0,1] neg_hi:[0,0,1]
	v_pk_fma_f32 v[14:15], v[10:11], v[110:111], v[14:15] op_sel_hi:[1,0,1]
	v_dual_mov_b32 v110, v12 :: v_dual_mov_b32 v111, v15
	s_wait_dscnt 0x0
	s_delay_alu instid0(VALU_DEP_2) | instskip(NEXT) | instid1(VALU_DEP_1)
	v_pk_mul_f32 v[18:19], v[28:29], v[14:15] op_sel:[0,1]
	v_pk_fma_f32 v[32:33], v[28:29], v[12:13], v[18:19] op_sel:[0,0,1] op_sel_hi:[1,1,0] neg_lo:[0,0,1] neg_hi:[0,0,1]
	v_pk_fma_f32 v[18:19], v[28:29], v[12:13], v[18:19] op_sel:[0,0,1] op_sel_hi:[1,0,0]
	s_delay_alu instid0(VALU_DEP_1) | instskip(SKIP_1) | instid1(VALU_DEP_1)
	v_mov_b32_e32 v33, v19
	v_pk_mul_f32 v[18:19], v[30:31], v[14:15] op_sel:[0,1]
	v_pk_fma_f32 v[28:29], v[30:31], v[12:13], v[18:19] op_sel:[0,0,1] op_sel_hi:[1,1,0] neg_lo:[0,0,1] neg_hi:[0,0,1]
	v_pk_fma_f32 v[18:19], v[30:31], v[12:13], v[18:19] op_sel:[0,0,1] op_sel_hi:[1,0,0]
	s_delay_alu instid0(VALU_DEP_1) | instskip(SKIP_1) | instid1(VALU_DEP_2)
	v_mov_b32_e32 v29, v19
	v_pk_add_f32 v[106:107], v[106:107], v[32:33] neg_lo:[0,1] neg_hi:[0,1]
	v_pk_add_f32 v[130:131], v[130:131], v[28:29] neg_lo:[0,1] neg_hi:[0,1]
	ds_load_2addr_b64 v[28:31], v134 offset0:29 offset1:30
	s_wait_dscnt 0x0
	v_pk_mul_f32 v[18:19], v[28:29], v[14:15] op_sel:[0,1]
	s_delay_alu instid0(VALU_DEP_1) | instskip(SKIP_2) | instid1(VALU_DEP_2)
	v_pk_fma_f32 v[32:33], v[28:29], v[12:13], v[18:19] op_sel:[0,0,1] op_sel_hi:[1,1,0] neg_lo:[0,0,1] neg_hi:[0,0,1]
	v_pk_fma_f32 v[18:19], v[28:29], v[12:13], v[18:19] op_sel:[0,0,1] op_sel_hi:[1,0,0]
	v_dual_mul_f32 v28, v31, v15 :: v_dual_mov_b32 v18, v31
	v_dual_mov_b32 v33, v19 :: v_dual_mov_b32 v19, v30
	s_delay_alu instid0(VALU_DEP_2) | instskip(SKIP_1) | instid1(VALU_DEP_3)
	v_pk_fma_f32 v[28:29], v[30:31], v[110:111], v[28:29] op_sel_hi:[1,1,0] neg_lo:[0,0,1] neg_hi:[0,0,1]
	v_mul_f32_e32 v30, v31, v12
	v_pk_add_f32 v[126:127], v[126:127], v[32:33] neg_lo:[0,1] neg_hi:[0,1]
	s_delay_alu instid0(VALU_DEP_2) | instskip(NEXT) | instid1(VALU_DEP_1)
	v_pk_fma_f32 v[18:19], v[18:19], v[110:111], v[30:31] op_sel_hi:[1,1,0]
	v_mov_b32_e32 v29, v19
	s_delay_alu instid0(VALU_DEP_1) | instskip(SKIP_3) | instid1(VALU_DEP_1)
	v_pk_add_f32 v[128:129], v[128:129], v[28:29] neg_lo:[0,1] neg_hi:[0,1]
	ds_load_2addr_b64 v[28:31], v134 offset0:31 offset1:32
	s_wait_dscnt 0x0
	v_pk_mul_f32 v[18:19], v[28:29], v[14:15] op_sel:[0,1]
	v_pk_fma_f32 v[32:33], v[28:29], v[12:13], v[18:19] op_sel:[0,0,1] op_sel_hi:[1,1,0] neg_lo:[0,0,1] neg_hi:[0,0,1]
	v_pk_fma_f32 v[18:19], v[28:29], v[12:13], v[18:19] op_sel:[0,0,1] op_sel_hi:[1,0,0]
	s_delay_alu instid0(VALU_DEP_1) | instskip(SKIP_1) | instid1(VALU_DEP_2)
	v_mov_b32_e32 v33, v19
	v_pk_mul_f32 v[18:19], v[30:31], v[14:15] op_sel:[0,1]
	v_pk_add_f32 v[124:125], v[124:125], v[32:33] neg_lo:[0,1] neg_hi:[0,1]
	s_delay_alu instid0(VALU_DEP_2) | instskip(SKIP_1) | instid1(VALU_DEP_1)
	v_pk_fma_f32 v[28:29], v[30:31], v[12:13], v[18:19] op_sel:[0,0,1] op_sel_hi:[1,1,0] neg_lo:[0,0,1] neg_hi:[0,0,1]
	v_pk_fma_f32 v[18:19], v[30:31], v[12:13], v[18:19] op_sel:[0,0,1] op_sel_hi:[1,0,0]
	v_mov_b32_e32 v29, v19
	s_delay_alu instid0(VALU_DEP_1) | instskip(SKIP_3) | instid1(VALU_DEP_1)
	v_pk_add_f32 v[146:147], v[146:147], v[28:29] neg_lo:[0,1] neg_hi:[0,1]
	ds_load_2addr_b64 v[28:31], v134 offset0:33 offset1:34
	s_wait_dscnt 0x0
	v_pk_mul_f32 v[18:19], v[28:29], v[14:15] op_sel:[0,1]
	v_pk_fma_f32 v[32:33], v[28:29], v[12:13], v[18:19] op_sel:[0,0,1] op_sel_hi:[1,1,0] neg_lo:[0,0,1] neg_hi:[0,0,1]
	v_pk_fma_f32 v[18:19], v[28:29], v[12:13], v[18:19] op_sel:[0,0,1] op_sel_hi:[1,0,0]
	s_delay_alu instid0(VALU_DEP_1) | instskip(SKIP_1) | instid1(VALU_DEP_2)
	v_mov_b32_e32 v33, v19
	v_pk_mul_f32 v[18:19], v[30:31], v[14:15] op_sel:[0,1]
	v_pk_add_f32 v[142:143], v[142:143], v[32:33] neg_lo:[0,1] neg_hi:[0,1]
	s_delay_alu instid0(VALU_DEP_2) | instskip(SKIP_1) | instid1(VALU_DEP_1)
	v_pk_fma_f32 v[28:29], v[30:31], v[12:13], v[18:19] op_sel:[0,0,1] op_sel_hi:[1,1,0] neg_lo:[0,0,1] neg_hi:[0,0,1]
	v_pk_fma_f32 v[18:19], v[30:31], v[12:13], v[18:19] op_sel:[0,0,1] op_sel_hi:[1,0,0]
	v_mov_b32_e32 v29, v19
	s_delay_alu instid0(VALU_DEP_1) | instskip(SKIP_3) | instid1(VALU_DEP_1)
	v_pk_add_f32 v[144:145], v[144:145], v[28:29] neg_lo:[0,1] neg_hi:[0,1]
	ds_load_2addr_b64 v[28:31], v134 offset0:35 offset1:36
	s_wait_dscnt 0x0
	v_dual_mul_f32 v18, v29, v15 :: v_dual_mul_f32 v32, v29, v12
	v_pk_fma_f32 v[18:19], v[28:29], v[110:111], v[18:19] op_sel_hi:[1,1,0] neg_lo:[0,0,1] neg_hi:[0,0,1]
	s_delay_alu instid0(VALU_DEP_2) | instskip(NEXT) | instid1(VALU_DEP_1)
	v_pk_fma_f32 v[28:29], v[28:29], v[110:111], v[32:33] op_sel:[1,0,0] op_sel_hi:[0,1,0]
	v_mov_b32_e32 v19, v29
	s_delay_alu instid0(VALU_DEP_1) | instskip(SKIP_1) | instid1(VALU_DEP_1)
	v_pk_add_f32 v[140:141], v[140:141], v[18:19] neg_lo:[0,1] neg_hi:[0,1]
	v_pk_mul_f32 v[18:19], v[30:31], v[14:15] op_sel:[0,1]
	v_pk_fma_f32 v[28:29], v[30:31], v[12:13], v[18:19] op_sel:[0,0,1] op_sel_hi:[1,1,0] neg_lo:[0,0,1] neg_hi:[0,0,1]
	v_pk_fma_f32 v[18:19], v[30:31], v[12:13], v[18:19] op_sel:[0,0,1] op_sel_hi:[1,0,0]
	s_delay_alu instid0(VALU_DEP_1) | instskip(NEXT) | instid1(VALU_DEP_1)
	v_mov_b32_e32 v29, v19
	v_pk_add_f32 v[162:163], v[162:163], v[28:29] neg_lo:[0,1] neg_hi:[0,1]
	ds_load_2addr_b64 v[28:31], v134 offset0:37 offset1:38
	s_wait_dscnt 0x0
	v_pk_mul_f32 v[18:19], v[28:29], v[14:15] op_sel:[0,1]
	s_delay_alu instid0(VALU_DEP_1) | instskip(SKIP_1) | instid1(VALU_DEP_1)
	v_pk_fma_f32 v[32:33], v[28:29], v[12:13], v[18:19] op_sel:[0,0,1] op_sel_hi:[1,1,0] neg_lo:[0,0,1] neg_hi:[0,0,1]
	v_pk_fma_f32 v[18:19], v[28:29], v[12:13], v[18:19] op_sel:[0,0,1] op_sel_hi:[1,0,0]
	v_mov_b32_e32 v33, v19
	v_pk_mul_f32 v[18:19], v[30:31], v[14:15] op_sel:[0,1]
	s_delay_alu instid0(VALU_DEP_2) | instskip(NEXT) | instid1(VALU_DEP_2)
	v_pk_add_f32 v[158:159], v[158:159], v[32:33] neg_lo:[0,1] neg_hi:[0,1]
	v_pk_fma_f32 v[28:29], v[30:31], v[12:13], v[18:19] op_sel:[0,0,1] op_sel_hi:[1,1,0] neg_lo:[0,0,1] neg_hi:[0,0,1]
	v_pk_fma_f32 v[18:19], v[30:31], v[12:13], v[18:19] op_sel:[0,0,1] op_sel_hi:[1,0,0]
	s_delay_alu instid0(VALU_DEP_1) | instskip(NEXT) | instid1(VALU_DEP_1)
	v_mov_b32_e32 v29, v19
	v_pk_add_f32 v[160:161], v[160:161], v[28:29] neg_lo:[0,1] neg_hi:[0,1]
	ds_load_2addr_b64 v[28:31], v134 offset0:39 offset1:40
	s_wait_dscnt 0x0
	v_pk_mul_f32 v[18:19], v[28:29], v[14:15] op_sel:[0,1]
	s_delay_alu instid0(VALU_DEP_1) | instskip(SKIP_2) | instid1(VALU_DEP_2)
	v_pk_fma_f32 v[32:33], v[28:29], v[12:13], v[18:19] op_sel:[0,0,1] op_sel_hi:[1,1,0] neg_lo:[0,0,1] neg_hi:[0,0,1]
	v_pk_fma_f32 v[18:19], v[28:29], v[12:13], v[18:19] op_sel:[0,0,1] op_sel_hi:[1,0,0]
	v_dual_mul_f32 v28, v31, v15 :: v_dual_mov_b32 v18, v31
	v_dual_mov_b32 v33, v19 :: v_dual_mov_b32 v19, v30
	s_delay_alu instid0(VALU_DEP_2) | instskip(SKIP_1) | instid1(VALU_DEP_3)
	v_pk_fma_f32 v[28:29], v[30:31], v[110:111], v[28:29] op_sel_hi:[1,1,0] neg_lo:[0,0,1] neg_hi:[0,0,1]
	v_mul_f32_e32 v30, v31, v12
	v_pk_add_f32 v[156:157], v[156:157], v[32:33] neg_lo:[0,1] neg_hi:[0,1]
	s_delay_alu instid0(VALU_DEP_2) | instskip(NEXT) | instid1(VALU_DEP_1)
	v_pk_fma_f32 v[18:19], v[18:19], v[110:111], v[30:31] op_sel_hi:[1,1,0]
	v_mov_b32_e32 v29, v19
	s_delay_alu instid0(VALU_DEP_1) | instskip(SKIP_3) | instid1(VALU_DEP_1)
	v_pk_add_f32 v[184:185], v[184:185], v[28:29] neg_lo:[0,1] neg_hi:[0,1]
	ds_load_2addr_b64 v[28:31], v134 offset0:41 offset1:42
	s_wait_dscnt 0x0
	v_pk_mul_f32 v[18:19], v[28:29], v[14:15] op_sel:[0,1]
	v_pk_fma_f32 v[32:33], v[28:29], v[12:13], v[18:19] op_sel:[0,0,1] op_sel_hi:[1,1,0] neg_lo:[0,0,1] neg_hi:[0,0,1]
	v_pk_fma_f32 v[18:19], v[28:29], v[12:13], v[18:19] op_sel:[0,0,1] op_sel_hi:[1,0,0]
	s_delay_alu instid0(VALU_DEP_1) | instskip(SKIP_1) | instid1(VALU_DEP_2)
	v_mov_b32_e32 v33, v19
	v_pk_mul_f32 v[18:19], v[30:31], v[14:15] op_sel:[0,1]
	v_pk_add_f32 v[180:181], v[180:181], v[32:33] neg_lo:[0,1] neg_hi:[0,1]
	s_delay_alu instid0(VALU_DEP_2) | instskip(SKIP_1) | instid1(VALU_DEP_1)
	v_pk_fma_f32 v[28:29], v[30:31], v[12:13], v[18:19] op_sel:[0,0,1] op_sel_hi:[1,1,0] neg_lo:[0,0,1] neg_hi:[0,0,1]
	v_pk_fma_f32 v[18:19], v[30:31], v[12:13], v[18:19] op_sel:[0,0,1] op_sel_hi:[1,0,0]
	v_mov_b32_e32 v29, v19
	s_delay_alu instid0(VALU_DEP_1) | instskip(SKIP_3) | instid1(VALU_DEP_1)
	v_pk_add_f32 v[182:183], v[182:183], v[28:29] neg_lo:[0,1] neg_hi:[0,1]
	ds_load_2addr_b64 v[28:31], v134 offset0:43 offset1:44
	s_wait_dscnt 0x0
	v_pk_mul_f32 v[18:19], v[28:29], v[14:15] op_sel:[0,1]
	v_pk_fma_f32 v[32:33], v[28:29], v[12:13], v[18:19] op_sel:[0,0,1] op_sel_hi:[1,1,0] neg_lo:[0,0,1] neg_hi:[0,0,1]
	v_pk_fma_f32 v[18:19], v[28:29], v[12:13], v[18:19] op_sel:[0,0,1] op_sel_hi:[1,0,0]
	s_delay_alu instid0(VALU_DEP_1) | instskip(SKIP_1) | instid1(VALU_DEP_2)
	v_mov_b32_e32 v33, v19
	v_pk_mul_f32 v[18:19], v[30:31], v[14:15] op_sel:[0,1]
	v_pk_add_f32 v[178:179], v[178:179], v[32:33] neg_lo:[0,1] neg_hi:[0,1]
	s_delay_alu instid0(VALU_DEP_2) | instskip(SKIP_1) | instid1(VALU_DEP_1)
	v_pk_fma_f32 v[28:29], v[30:31], v[12:13], v[18:19] op_sel:[0,0,1] op_sel_hi:[1,1,0] neg_lo:[0,0,1] neg_hi:[0,0,1]
	v_pk_fma_f32 v[18:19], v[30:31], v[12:13], v[18:19] op_sel:[0,0,1] op_sel_hi:[1,0,0]
	v_mov_b32_e32 v29, v19
	s_delay_alu instid0(VALU_DEP_1) | instskip(SKIP_3) | instid1(VALU_DEP_1)
	v_pk_add_f32 v[208:209], v[208:209], v[28:29] neg_lo:[0,1] neg_hi:[0,1]
	ds_load_2addr_b64 v[28:31], v134 offset0:45 offset1:46
	s_wait_dscnt 0x0
	v_dual_mul_f32 v18, v29, v15 :: v_dual_mul_f32 v32, v29, v12
	v_pk_fma_f32 v[18:19], v[28:29], v[110:111], v[18:19] op_sel_hi:[1,1,0] neg_lo:[0,0,1] neg_hi:[0,0,1]
	s_delay_alu instid0(VALU_DEP_2) | instskip(NEXT) | instid1(VALU_DEP_1)
	v_pk_fma_f32 v[28:29], v[28:29], v[110:111], v[32:33] op_sel:[1,0,0] op_sel_hi:[0,1,0]
	v_mov_b32_e32 v19, v29
	s_delay_alu instid0(VALU_DEP_1) | instskip(SKIP_1) | instid1(VALU_DEP_1)
	v_pk_add_f32 v[200:201], v[200:201], v[18:19] neg_lo:[0,1] neg_hi:[0,1]
	v_pk_mul_f32 v[18:19], v[30:31], v[14:15] op_sel:[0,1]
	v_pk_fma_f32 v[28:29], v[30:31], v[12:13], v[18:19] op_sel:[0,0,1] op_sel_hi:[1,1,0] neg_lo:[0,0,1] neg_hi:[0,0,1]
	v_pk_fma_f32 v[18:19], v[30:31], v[12:13], v[18:19] op_sel:[0,0,1] op_sel_hi:[1,0,0]
	s_delay_alu instid0(VALU_DEP_1) | instskip(NEXT) | instid1(VALU_DEP_1)
	v_mov_b32_e32 v29, v19
	v_pk_add_f32 v[206:207], v[206:207], v[28:29] neg_lo:[0,1] neg_hi:[0,1]
	ds_load_2addr_b64 v[28:31], v134 offset0:47 offset1:48
	s_wait_dscnt 0x0
	v_pk_mul_f32 v[18:19], v[28:29], v[14:15] op_sel:[0,1]
	s_delay_alu instid0(VALU_DEP_1) | instskip(SKIP_1) | instid1(VALU_DEP_1)
	v_pk_fma_f32 v[32:33], v[28:29], v[12:13], v[18:19] op_sel:[0,0,1] op_sel_hi:[1,1,0] neg_lo:[0,0,1] neg_hi:[0,0,1]
	v_pk_fma_f32 v[18:19], v[28:29], v[12:13], v[18:19] op_sel:[0,0,1] op_sel_hi:[1,0,0]
	v_mov_b32_e32 v33, v19
	v_pk_mul_f32 v[18:19], v[30:31], v[14:15] op_sel:[0,1]
	s_delay_alu instid0(VALU_DEP_2) | instskip(NEXT) | instid1(VALU_DEP_2)
	v_pk_add_f32 v[198:199], v[198:199], v[32:33] neg_lo:[0,1] neg_hi:[0,1]
	v_pk_fma_f32 v[28:29], v[30:31], v[12:13], v[18:19] op_sel:[0,0,1] op_sel_hi:[1,1,0] neg_lo:[0,0,1] neg_hi:[0,0,1]
	v_pk_fma_f32 v[18:19], v[30:31], v[12:13], v[18:19] op_sel:[0,0,1] op_sel_hi:[1,0,0]
	s_delay_alu instid0(VALU_DEP_1) | instskip(NEXT) | instid1(VALU_DEP_1)
	v_mov_b32_e32 v29, v19
	v_pk_add_f32 v[204:205], v[204:205], v[28:29] neg_lo:[0,1] neg_hi:[0,1]
	ds_load_2addr_b64 v[28:31], v134 offset0:49 offset1:50
	s_wait_dscnt 0x0
	v_pk_mul_f32 v[18:19], v[28:29], v[14:15] op_sel:[0,1]
	s_delay_alu instid0(VALU_DEP_1) | instskip(SKIP_2) | instid1(VALU_DEP_2)
	v_pk_fma_f32 v[32:33], v[28:29], v[12:13], v[18:19] op_sel:[0,0,1] op_sel_hi:[1,1,0] neg_lo:[0,0,1] neg_hi:[0,0,1]
	v_pk_fma_f32 v[18:19], v[28:29], v[12:13], v[18:19] op_sel:[0,0,1] op_sel_hi:[1,0,0]
	v_dual_mul_f32 v28, v31, v15 :: v_dual_mov_b32 v18, v31
	v_dual_mov_b32 v33, v19 :: v_dual_mov_b32 v19, v30
	s_delay_alu instid0(VALU_DEP_2) | instskip(SKIP_1) | instid1(VALU_DEP_3)
	v_pk_fma_f32 v[28:29], v[30:31], v[110:111], v[28:29] op_sel_hi:[1,1,0] neg_lo:[0,0,1] neg_hi:[0,0,1]
	v_mul_f32_e32 v30, v31, v12
	v_pk_add_f32 v[196:197], v[196:197], v[32:33] neg_lo:[0,1] neg_hi:[0,1]
	s_delay_alu instid0(VALU_DEP_2) | instskip(NEXT) | instid1(VALU_DEP_1)
	v_pk_fma_f32 v[18:19], v[18:19], v[110:111], v[30:31] op_sel_hi:[1,1,0]
	v_mov_b32_e32 v29, v19
	s_delay_alu instid0(VALU_DEP_1) | instskip(SKIP_4) | instid1(VALU_DEP_2)
	v_pk_add_f32 v[202:203], v[202:203], v[28:29] neg_lo:[0,1] neg_hi:[0,1]
	ds_load_2addr_b64 v[28:31], v134 offset0:51 offset1:52
	s_wait_dscnt 0x0
	v_pk_mul_f32 v[18:19], v[28:29], v[14:15] op_sel:[0,1]
	v_pk_mul_f32 v[14:15], v[30:31], v[14:15] op_sel:[0,1]
	v_pk_fma_f32 v[32:33], v[28:29], v[12:13], v[18:19] op_sel:[0,0,1] op_sel_hi:[1,1,0] neg_lo:[0,0,1] neg_hi:[0,0,1]
	v_pk_fma_f32 v[18:19], v[28:29], v[12:13], v[18:19] op_sel:[0,0,1] op_sel_hi:[1,0,0]
	s_delay_alu instid0(VALU_DEP_1) | instskip(NEXT) | instid1(VALU_DEP_4)
	v_mov_b32_e32 v33, v19
	v_pk_fma_f32 v[18:19], v[30:31], v[12:13], v[14:15] op_sel:[0,0,1] op_sel_hi:[1,1,0] neg_lo:[0,0,1] neg_hi:[0,0,1]
	v_pk_fma_f32 v[12:13], v[30:31], v[12:13], v[14:15] op_sel:[0,0,1] op_sel_hi:[1,0,0]
	s_delay_alu instid0(VALU_DEP_3) | instskip(NEXT) | instid1(VALU_DEP_2)
	v_pk_add_f32 v[210:211], v[210:211], v[32:33] neg_lo:[0,1] neg_hi:[0,1]
	v_mov_b32_e32 v19, v13
	s_delay_alu instid0(VALU_DEP_1)
	v_pk_add_f32 v[212:213], v[212:213], v[18:19] neg_lo:[0,1] neg_hi:[0,1]
.LBB105_244:
	s_or_b32 exec_lo, exec_lo, s1
	s_delay_alu instid0(SALU_CYCLE_1)
	s_mov_b32 s2, exec_lo
	s_wait_dscnt 0x0
	s_barrier_signal -1
	s_barrier_wait -1
	v_cmpx_eq_u32_e32 27, v132
	s_cbranch_execz .LBB105_251
; %bb.245:
	v_dual_mov_b32 v12, v130 :: v_dual_mov_b32 v13, v131
	v_dual_mov_b32 v14, v126 :: v_dual_mov_b32 v15, v127
	ds_store_b64 v133, v[106:107]
	ds_store_2addr_b64 v134, v[12:13], v[14:15] offset0:28 offset1:29
	v_dual_mov_b32 v12, v128 :: v_dual_mov_b32 v13, v129
	v_dual_mov_b32 v14, v124 :: v_dual_mov_b32 v15, v125
	ds_store_2addr_b64 v134, v[12:13], v[14:15] offset0:30 offset1:31
	v_dual_mov_b32 v12, v146 :: v_dual_mov_b32 v13, v147
	v_dual_mov_b32 v14, v142 :: v_dual_mov_b32 v15, v143
	;; [unrolled: 3-line block ×11, first 2 shown]
	ds_store_2addr_b64 v134, v[12:13], v[14:15] offset0:50 offset1:51
	ds_store_b64 v134, v[212:213] offset:416
	ds_load_b64 v[12:13], v133
	s_wait_dscnt 0x0
	v_cmp_neq_f32_e32 vcc_lo, 0, v12
	v_cmp_neq_f32_e64 s1, 0, v13
	s_or_b32 s1, vcc_lo, s1
	s_delay_alu instid0(SALU_CYCLE_1)
	s_and_b32 exec_lo, exec_lo, s1
	s_cbranch_execz .LBB105_251
; %bb.246:
	v_cmp_ngt_f32_e64 s1, |v12|, |v13|
                                        ; implicit-def: $vgpr14_vgpr15
	s_and_saveexec_b32 s4, s1
	s_delay_alu instid0(SALU_CYCLE_1)
	s_xor_b32 s1, exec_lo, s4
	s_cbranch_execz .LBB105_248
; %bb.247:
	v_div_scale_f32 v14, null, v13, v13, v12
	v_div_scale_f32 v19, vcc_lo, v12, v13, v12
	s_delay_alu instid0(VALU_DEP_2) | instskip(SKIP_1) | instid1(TRANS32_DEP_1)
	v_rcp_f32_e32 v15, v14
	v_nop
	v_fma_f32 v18, -v14, v15, 1.0
	s_delay_alu instid0(VALU_DEP_1) | instskip(NEXT) | instid1(VALU_DEP_1)
	v_fmac_f32_e32 v15, v18, v15
	v_mul_f32_e32 v18, v19, v15
	s_delay_alu instid0(VALU_DEP_1) | instskip(NEXT) | instid1(VALU_DEP_1)
	v_fma_f32 v28, -v14, v18, v19
	v_fmac_f32_e32 v18, v28, v15
	s_delay_alu instid0(VALU_DEP_1) | instskip(NEXT) | instid1(VALU_DEP_1)
	v_fma_f32 v14, -v14, v18, v19
	v_div_fmas_f32 v14, v14, v15, v18
	s_delay_alu instid0(VALU_DEP_1) | instskip(NEXT) | instid1(VALU_DEP_1)
	v_div_fixup_f32 v14, v14, v13, v12
	v_fmac_f32_e32 v13, v12, v14
	s_delay_alu instid0(VALU_DEP_1) | instskip(SKIP_1) | instid1(VALU_DEP_2)
	v_div_scale_f32 v12, null, v13, v13, 1.0
	v_div_scale_f32 v19, vcc_lo, 1.0, v13, 1.0
	v_rcp_f32_e32 v15, v12
	v_nop
	s_delay_alu instid0(TRANS32_DEP_1) | instskip(NEXT) | instid1(VALU_DEP_1)
	v_fma_f32 v18, -v12, v15, 1.0
	v_fmac_f32_e32 v15, v18, v15
	s_delay_alu instid0(VALU_DEP_1) | instskip(NEXT) | instid1(VALU_DEP_1)
	v_mul_f32_e32 v18, v19, v15
	v_fma_f32 v28, -v12, v18, v19
	s_delay_alu instid0(VALU_DEP_1) | instskip(NEXT) | instid1(VALU_DEP_1)
	v_fmac_f32_e32 v18, v28, v15
	v_fma_f32 v12, -v12, v18, v19
	s_delay_alu instid0(VALU_DEP_1) | instskip(NEXT) | instid1(VALU_DEP_1)
	v_div_fmas_f32 v12, v12, v15, v18
	v_div_fixup_f32 v12, v12, v13, 1.0
	s_delay_alu instid0(VALU_DEP_1)
	v_mul_f32_e32 v14, v14, v12
	v_xor_b32_e32 v15, 0x80000000, v12
                                        ; implicit-def: $vgpr12_vgpr13
.LBB105_248:
	s_and_not1_saveexec_b32 s1, s1
	s_cbranch_execz .LBB105_250
; %bb.249:
	v_div_scale_f32 v14, null, v12, v12, v13
	v_div_scale_f32 v19, vcc_lo, v13, v12, v13
	s_delay_alu instid0(VALU_DEP_2) | instskip(SKIP_1) | instid1(TRANS32_DEP_1)
	v_rcp_f32_e32 v15, v14
	v_nop
	v_fma_f32 v18, -v14, v15, 1.0
	s_delay_alu instid0(VALU_DEP_1) | instskip(NEXT) | instid1(VALU_DEP_1)
	v_fmac_f32_e32 v15, v18, v15
	v_mul_f32_e32 v18, v19, v15
	s_delay_alu instid0(VALU_DEP_1) | instskip(NEXT) | instid1(VALU_DEP_1)
	v_fma_f32 v28, -v14, v18, v19
	v_fmac_f32_e32 v18, v28, v15
	s_delay_alu instid0(VALU_DEP_1) | instskip(NEXT) | instid1(VALU_DEP_1)
	v_fma_f32 v14, -v14, v18, v19
	v_div_fmas_f32 v14, v14, v15, v18
	s_delay_alu instid0(VALU_DEP_1) | instskip(NEXT) | instid1(VALU_DEP_1)
	v_div_fixup_f32 v15, v14, v12, v13
	v_fmac_f32_e32 v12, v13, v15
	s_delay_alu instid0(VALU_DEP_1) | instskip(NEXT) | instid1(VALU_DEP_1)
	v_div_scale_f32 v13, null, v12, v12, 1.0
	v_rcp_f32_e32 v14, v13
	v_nop
	s_delay_alu instid0(TRANS32_DEP_1) | instskip(NEXT) | instid1(VALU_DEP_1)
	v_fma_f32 v18, -v13, v14, 1.0
	v_fmac_f32_e32 v14, v18, v14
	v_div_scale_f32 v18, vcc_lo, 1.0, v12, 1.0
	s_delay_alu instid0(VALU_DEP_1) | instskip(NEXT) | instid1(VALU_DEP_1)
	v_mul_f32_e32 v19, v18, v14
	v_fma_f32 v28, -v13, v19, v18
	s_delay_alu instid0(VALU_DEP_1) | instskip(NEXT) | instid1(VALU_DEP_1)
	v_fmac_f32_e32 v19, v28, v14
	v_fma_f32 v13, -v13, v19, v18
	s_delay_alu instid0(VALU_DEP_1) | instskip(NEXT) | instid1(VALU_DEP_1)
	v_div_fmas_f32 v13, v13, v14, v19
	v_div_fixup_f32 v14, v13, v12, 1.0
	s_delay_alu instid0(VALU_DEP_1)
	v_mul_f32_e64 v15, v15, -v14
.LBB105_250:
	s_or_b32 exec_lo, exec_lo, s1
	ds_store_b64 v133, v[14:15]
.LBB105_251:
	s_or_b32 exec_lo, exec_lo, s2
	s_wait_dscnt 0x0
	s_barrier_signal -1
	s_barrier_wait -1
	ds_load_b64 v[12:13], v133
	s_mov_b32 s1, exec_lo
	v_cmpx_lt_u32_e32 27, v132
	s_cbranch_execz .LBB105_253
; %bb.252:
	ds_load_2addr_b64 v[28:31], v134 offset0:28 offset1:29
	s_wait_dscnt 0x1
	v_pk_mul_f32 v[18:19], v[12:13], v[106:107] op_sel:[1,1] op_sel_hi:[0,1]
	s_delay_alu instid0(VALU_DEP_1) | instskip(SKIP_1) | instid1(VALU_DEP_1)
	v_pk_fma_f32 v[14:15], v[12:13], v[106:107], v[18:19] op_sel_hi:[1,0,1] neg_lo:[0,0,1] neg_hi:[0,0,1]
	v_pk_fma_f32 v[18:19], v[12:13], v[106:107], v[18:19] op_sel_hi:[1,0,1]
	v_dual_mov_b32 v106, v14 :: v_dual_mov_b32 v107, v19
	s_wait_dscnt 0x0
	s_delay_alu instid0(VALU_DEP_2) | instskip(NEXT) | instid1(VALU_DEP_1)
	v_pk_mul_f32 v[32:33], v[28:29], v[18:19] op_sel:[0,1]
	v_pk_fma_f32 v[42:43], v[28:29], v[14:15], v[32:33] op_sel:[0,0,1] op_sel_hi:[1,1,0] neg_lo:[0,0,1] neg_hi:[0,0,1]
	v_pk_fma_f32 v[28:29], v[28:29], v[14:15], v[32:33] op_sel:[0,0,1] op_sel_hi:[1,0,0]
	s_delay_alu instid0(VALU_DEP_1) | instskip(SKIP_1) | instid1(VALU_DEP_1)
	v_mov_b32_e32 v43, v29
	v_pk_mul_f32 v[28:29], v[30:31], v[18:19] op_sel:[0,1]
	v_pk_fma_f32 v[32:33], v[30:31], v[14:15], v[28:29] op_sel:[0,0,1] op_sel_hi:[1,1,0] neg_lo:[0,0,1] neg_hi:[0,0,1]
	v_pk_fma_f32 v[28:29], v[30:31], v[14:15], v[28:29] op_sel:[0,0,1] op_sel_hi:[1,0,0]
	s_delay_alu instid0(VALU_DEP_1)
	v_mov_b32_e32 v33, v29
	ds_load_2addr_b64 v[28:31], v134 offset0:30 offset1:31
	v_pk_add_f32 v[130:131], v[130:131], v[42:43] neg_lo:[0,1] neg_hi:[0,1]
	v_pk_add_f32 v[126:127], v[126:127], v[32:33] neg_lo:[0,1] neg_hi:[0,1]
	s_wait_dscnt 0x0
	v_pk_mul_f32 v[32:33], v[28:29], v[18:19] op_sel:[0,1]
	s_delay_alu instid0(VALU_DEP_1) | instskip(SKIP_2) | instid1(VALU_DEP_2)
	v_pk_fma_f32 v[42:43], v[28:29], v[14:15], v[32:33] op_sel:[0,0,1] op_sel_hi:[1,1,0] neg_lo:[0,0,1] neg_hi:[0,0,1]
	v_pk_fma_f32 v[28:29], v[28:29], v[14:15], v[32:33] op_sel:[0,0,1] op_sel_hi:[1,0,0]
	v_dual_mul_f32 v32, v31, v19 :: v_dual_mov_b32 v28, v31
	v_dual_mov_b32 v43, v29 :: v_dual_mov_b32 v29, v30
	s_delay_alu instid0(VALU_DEP_2) | instskip(SKIP_1) | instid1(VALU_DEP_3)
	v_pk_fma_f32 v[32:33], v[30:31], v[106:107], v[32:33] op_sel_hi:[1,1,0] neg_lo:[0,0,1] neg_hi:[0,0,1]
	v_mul_f32_e32 v30, v31, v14
	v_pk_add_f32 v[128:129], v[128:129], v[42:43] neg_lo:[0,1] neg_hi:[0,1]
	s_delay_alu instid0(VALU_DEP_2) | instskip(NEXT) | instid1(VALU_DEP_1)
	v_pk_fma_f32 v[28:29], v[28:29], v[106:107], v[30:31] op_sel_hi:[1,1,0]
	v_mov_b32_e32 v33, v29
	ds_load_2addr_b64 v[28:31], v134 offset0:32 offset1:33
	v_pk_add_f32 v[124:125], v[124:125], v[32:33] neg_lo:[0,1] neg_hi:[0,1]
	s_wait_dscnt 0x0
	v_pk_mul_f32 v[32:33], v[28:29], v[18:19] op_sel:[0,1]
	s_delay_alu instid0(VALU_DEP_1) | instskip(SKIP_1) | instid1(VALU_DEP_1)
	v_pk_fma_f32 v[42:43], v[28:29], v[14:15], v[32:33] op_sel:[0,0,1] op_sel_hi:[1,1,0] neg_lo:[0,0,1] neg_hi:[0,0,1]
	v_pk_fma_f32 v[28:29], v[28:29], v[14:15], v[32:33] op_sel:[0,0,1] op_sel_hi:[1,0,0]
	v_mov_b32_e32 v43, v29
	v_pk_mul_f32 v[28:29], v[30:31], v[18:19] op_sel:[0,1]
	s_delay_alu instid0(VALU_DEP_1) | instskip(SKIP_1) | instid1(VALU_DEP_1)
	v_pk_fma_f32 v[32:33], v[30:31], v[14:15], v[28:29] op_sel:[0,0,1] op_sel_hi:[1,1,0] neg_lo:[0,0,1] neg_hi:[0,0,1]
	v_pk_fma_f32 v[28:29], v[30:31], v[14:15], v[28:29] op_sel:[0,0,1] op_sel_hi:[1,0,0]
	v_mov_b32_e32 v33, v29
	ds_load_2addr_b64 v[28:31], v134 offset0:34 offset1:35
	v_pk_add_f32 v[146:147], v[146:147], v[42:43] neg_lo:[0,1] neg_hi:[0,1]
	v_pk_add_f32 v[142:143], v[142:143], v[32:33] neg_lo:[0,1] neg_hi:[0,1]
	s_wait_dscnt 0x0
	v_pk_mul_f32 v[32:33], v[28:29], v[18:19] op_sel:[0,1]
	s_delay_alu instid0(VALU_DEP_1) | instskip(SKIP_1) | instid1(VALU_DEP_1)
	v_pk_fma_f32 v[42:43], v[28:29], v[14:15], v[32:33] op_sel:[0,0,1] op_sel_hi:[1,1,0] neg_lo:[0,0,1] neg_hi:[0,0,1]
	v_pk_fma_f32 v[28:29], v[28:29], v[14:15], v[32:33] op_sel:[0,0,1] op_sel_hi:[1,0,0]
	v_mov_b32_e32 v43, v29
	v_pk_mul_f32 v[28:29], v[30:31], v[18:19] op_sel:[0,1]
	s_delay_alu instid0(VALU_DEP_1) | instskip(SKIP_1) | instid1(VALU_DEP_1)
	v_pk_fma_f32 v[32:33], v[30:31], v[14:15], v[28:29] op_sel:[0,0,1] op_sel_hi:[1,1,0] neg_lo:[0,0,1] neg_hi:[0,0,1]
	v_pk_fma_f32 v[28:29], v[30:31], v[14:15], v[28:29] op_sel:[0,0,1] op_sel_hi:[1,0,0]
	v_mov_b32_e32 v33, v29
	ds_load_2addr_b64 v[28:31], v134 offset0:36 offset1:37
	v_pk_add_f32 v[144:145], v[144:145], v[42:43] neg_lo:[0,1] neg_hi:[0,1]
	v_pk_add_f32 v[140:141], v[140:141], v[32:33] neg_lo:[0,1] neg_hi:[0,1]
	s_wait_dscnt 0x0
	v_dual_mul_f32 v32, v29, v19 :: v_dual_mul_f32 v42, v29, v14
	s_delay_alu instid0(VALU_DEP_1) | instskip(NEXT) | instid1(VALU_DEP_2)
	v_pk_fma_f32 v[32:33], v[28:29], v[106:107], v[32:33] op_sel_hi:[1,1,0] neg_lo:[0,0,1] neg_hi:[0,0,1]
	v_pk_fma_f32 v[28:29], v[28:29], v[106:107], v[42:43] op_sel:[1,0,0] op_sel_hi:[0,1,0]
	s_delay_alu instid0(VALU_DEP_1) | instskip(SKIP_1) | instid1(VALU_DEP_2)
	v_mov_b32_e32 v33, v29
	v_pk_mul_f32 v[28:29], v[30:31], v[18:19] op_sel:[0,1]
	v_pk_add_f32 v[162:163], v[162:163], v[32:33] neg_lo:[0,1] neg_hi:[0,1]
	s_delay_alu instid0(VALU_DEP_2) | instskip(SKIP_1) | instid1(VALU_DEP_1)
	v_pk_fma_f32 v[32:33], v[30:31], v[14:15], v[28:29] op_sel:[0,0,1] op_sel_hi:[1,1,0] neg_lo:[0,0,1] neg_hi:[0,0,1]
	v_pk_fma_f32 v[28:29], v[30:31], v[14:15], v[28:29] op_sel:[0,0,1] op_sel_hi:[1,0,0]
	v_mov_b32_e32 v33, v29
	ds_load_2addr_b64 v[28:31], v134 offset0:38 offset1:39
	v_pk_add_f32 v[158:159], v[158:159], v[32:33] neg_lo:[0,1] neg_hi:[0,1]
	s_wait_dscnt 0x0
	v_pk_mul_f32 v[32:33], v[28:29], v[18:19] op_sel:[0,1]
	s_delay_alu instid0(VALU_DEP_1) | instskip(SKIP_1) | instid1(VALU_DEP_1)
	v_pk_fma_f32 v[42:43], v[28:29], v[14:15], v[32:33] op_sel:[0,0,1] op_sel_hi:[1,1,0] neg_lo:[0,0,1] neg_hi:[0,0,1]
	v_pk_fma_f32 v[28:29], v[28:29], v[14:15], v[32:33] op_sel:[0,0,1] op_sel_hi:[1,0,0]
	v_mov_b32_e32 v43, v29
	v_pk_mul_f32 v[28:29], v[30:31], v[18:19] op_sel:[0,1]
	s_delay_alu instid0(VALU_DEP_2) | instskip(NEXT) | instid1(VALU_DEP_2)
	v_pk_add_f32 v[160:161], v[160:161], v[42:43] neg_lo:[0,1] neg_hi:[0,1]
	v_pk_fma_f32 v[32:33], v[30:31], v[14:15], v[28:29] op_sel:[0,0,1] op_sel_hi:[1,1,0] neg_lo:[0,0,1] neg_hi:[0,0,1]
	v_pk_fma_f32 v[28:29], v[30:31], v[14:15], v[28:29] op_sel:[0,0,1] op_sel_hi:[1,0,0]
	s_delay_alu instid0(VALU_DEP_1) | instskip(SKIP_4) | instid1(VALU_DEP_1)
	v_mov_b32_e32 v33, v29
	ds_load_2addr_b64 v[28:31], v134 offset0:40 offset1:41
	v_pk_add_f32 v[156:157], v[156:157], v[32:33] neg_lo:[0,1] neg_hi:[0,1]
	s_wait_dscnt 0x0
	v_pk_mul_f32 v[32:33], v[28:29], v[18:19] op_sel:[0,1]
	v_pk_fma_f32 v[42:43], v[28:29], v[14:15], v[32:33] op_sel:[0,0,1] op_sel_hi:[1,1,0] neg_lo:[0,0,1] neg_hi:[0,0,1]
	v_pk_fma_f32 v[28:29], v[28:29], v[14:15], v[32:33] op_sel:[0,0,1] op_sel_hi:[1,0,0]
	v_dual_mul_f32 v32, v31, v19 :: v_dual_mov_b32 v28, v31
	s_delay_alu instid0(VALU_DEP_2) | instskip(NEXT) | instid1(VALU_DEP_2)
	v_dual_mov_b32 v43, v29 :: v_dual_mov_b32 v29, v30
	v_pk_fma_f32 v[32:33], v[30:31], v[106:107], v[32:33] op_sel_hi:[1,1,0] neg_lo:[0,0,1] neg_hi:[0,0,1]
	v_mul_f32_e32 v30, v31, v14
	s_delay_alu instid0(VALU_DEP_3) | instskip(NEXT) | instid1(VALU_DEP_2)
	v_pk_add_f32 v[184:185], v[184:185], v[42:43] neg_lo:[0,1] neg_hi:[0,1]
	v_pk_fma_f32 v[28:29], v[28:29], v[106:107], v[30:31] op_sel_hi:[1,1,0]
	s_delay_alu instid0(VALU_DEP_1) | instskip(SKIP_4) | instid1(VALU_DEP_1)
	v_mov_b32_e32 v33, v29
	ds_load_2addr_b64 v[28:31], v134 offset0:42 offset1:43
	v_pk_add_f32 v[180:181], v[180:181], v[32:33] neg_lo:[0,1] neg_hi:[0,1]
	s_wait_dscnt 0x0
	v_pk_mul_f32 v[32:33], v[28:29], v[18:19] op_sel:[0,1]
	v_pk_fma_f32 v[42:43], v[28:29], v[14:15], v[32:33] op_sel:[0,0,1] op_sel_hi:[1,1,0] neg_lo:[0,0,1] neg_hi:[0,0,1]
	v_pk_fma_f32 v[28:29], v[28:29], v[14:15], v[32:33] op_sel:[0,0,1] op_sel_hi:[1,0,0]
	s_delay_alu instid0(VALU_DEP_1) | instskip(SKIP_1) | instid1(VALU_DEP_1)
	v_mov_b32_e32 v43, v29
	v_pk_mul_f32 v[28:29], v[30:31], v[18:19] op_sel:[0,1]
	v_pk_fma_f32 v[32:33], v[30:31], v[14:15], v[28:29] op_sel:[0,0,1] op_sel_hi:[1,1,0] neg_lo:[0,0,1] neg_hi:[0,0,1]
	v_pk_fma_f32 v[28:29], v[30:31], v[14:15], v[28:29] op_sel:[0,0,1] op_sel_hi:[1,0,0]
	s_delay_alu instid0(VALU_DEP_1)
	v_mov_b32_e32 v33, v29
	ds_load_2addr_b64 v[28:31], v134 offset0:44 offset1:45
	v_pk_add_f32 v[182:183], v[182:183], v[42:43] neg_lo:[0,1] neg_hi:[0,1]
	v_pk_add_f32 v[178:179], v[178:179], v[32:33] neg_lo:[0,1] neg_hi:[0,1]
	s_wait_dscnt 0x0
	v_pk_mul_f32 v[32:33], v[28:29], v[18:19] op_sel:[0,1]
	s_delay_alu instid0(VALU_DEP_1) | instskip(SKIP_1) | instid1(VALU_DEP_1)
	v_pk_fma_f32 v[42:43], v[28:29], v[14:15], v[32:33] op_sel:[0,0,1] op_sel_hi:[1,1,0] neg_lo:[0,0,1] neg_hi:[0,0,1]
	v_pk_fma_f32 v[28:29], v[28:29], v[14:15], v[32:33] op_sel:[0,0,1] op_sel_hi:[1,0,0]
	v_mov_b32_e32 v43, v29
	v_pk_mul_f32 v[28:29], v[30:31], v[18:19] op_sel:[0,1]
	s_delay_alu instid0(VALU_DEP_1) | instskip(SKIP_1) | instid1(VALU_DEP_1)
	v_pk_fma_f32 v[32:33], v[30:31], v[14:15], v[28:29] op_sel:[0,0,1] op_sel_hi:[1,1,0] neg_lo:[0,0,1] neg_hi:[0,0,1]
	v_pk_fma_f32 v[28:29], v[30:31], v[14:15], v[28:29] op_sel:[0,0,1] op_sel_hi:[1,0,0]
	v_mov_b32_e32 v33, v29
	ds_load_2addr_b64 v[28:31], v134 offset0:46 offset1:47
	v_pk_add_f32 v[208:209], v[208:209], v[42:43] neg_lo:[0,1] neg_hi:[0,1]
	v_pk_add_f32 v[200:201], v[200:201], v[32:33] neg_lo:[0,1] neg_hi:[0,1]
	s_wait_dscnt 0x0
	v_dual_mul_f32 v32, v29, v19 :: v_dual_mul_f32 v42, v29, v14
	s_delay_alu instid0(VALU_DEP_1) | instskip(NEXT) | instid1(VALU_DEP_2)
	v_pk_fma_f32 v[32:33], v[28:29], v[106:107], v[32:33] op_sel_hi:[1,1,0] neg_lo:[0,0,1] neg_hi:[0,0,1]
	v_pk_fma_f32 v[28:29], v[28:29], v[106:107], v[42:43] op_sel:[1,0,0] op_sel_hi:[0,1,0]
	s_delay_alu instid0(VALU_DEP_1) | instskip(SKIP_1) | instid1(VALU_DEP_2)
	v_mov_b32_e32 v33, v29
	v_pk_mul_f32 v[28:29], v[30:31], v[18:19] op_sel:[0,1]
	v_pk_add_f32 v[206:207], v[206:207], v[32:33] neg_lo:[0,1] neg_hi:[0,1]
	s_delay_alu instid0(VALU_DEP_2) | instskip(SKIP_1) | instid1(VALU_DEP_1)
	v_pk_fma_f32 v[32:33], v[30:31], v[14:15], v[28:29] op_sel:[0,0,1] op_sel_hi:[1,1,0] neg_lo:[0,0,1] neg_hi:[0,0,1]
	v_pk_fma_f32 v[28:29], v[30:31], v[14:15], v[28:29] op_sel:[0,0,1] op_sel_hi:[1,0,0]
	v_mov_b32_e32 v33, v29
	ds_load_2addr_b64 v[28:31], v134 offset0:48 offset1:49
	v_pk_add_f32 v[198:199], v[198:199], v[32:33] neg_lo:[0,1] neg_hi:[0,1]
	s_wait_dscnt 0x0
	v_pk_mul_f32 v[32:33], v[28:29], v[18:19] op_sel:[0,1]
	s_delay_alu instid0(VALU_DEP_1) | instskip(SKIP_1) | instid1(VALU_DEP_1)
	v_pk_fma_f32 v[42:43], v[28:29], v[14:15], v[32:33] op_sel:[0,0,1] op_sel_hi:[1,1,0] neg_lo:[0,0,1] neg_hi:[0,0,1]
	v_pk_fma_f32 v[28:29], v[28:29], v[14:15], v[32:33] op_sel:[0,0,1] op_sel_hi:[1,0,0]
	v_mov_b32_e32 v43, v29
	v_pk_mul_f32 v[28:29], v[30:31], v[18:19] op_sel:[0,1]
	s_delay_alu instid0(VALU_DEP_2) | instskip(NEXT) | instid1(VALU_DEP_2)
	v_pk_add_f32 v[204:205], v[204:205], v[42:43] neg_lo:[0,1] neg_hi:[0,1]
	v_pk_fma_f32 v[32:33], v[30:31], v[14:15], v[28:29] op_sel:[0,0,1] op_sel_hi:[1,1,0] neg_lo:[0,0,1] neg_hi:[0,0,1]
	v_pk_fma_f32 v[28:29], v[30:31], v[14:15], v[28:29] op_sel:[0,0,1] op_sel_hi:[1,0,0]
	s_delay_alu instid0(VALU_DEP_1) | instskip(SKIP_4) | instid1(VALU_DEP_1)
	v_mov_b32_e32 v33, v29
	ds_load_2addr_b64 v[28:31], v134 offset0:50 offset1:51
	v_pk_add_f32 v[196:197], v[196:197], v[32:33] neg_lo:[0,1] neg_hi:[0,1]
	s_wait_dscnt 0x0
	v_pk_mul_f32 v[32:33], v[28:29], v[18:19] op_sel:[0,1]
	v_pk_fma_f32 v[42:43], v[28:29], v[14:15], v[32:33] op_sel:[0,0,1] op_sel_hi:[1,1,0] neg_lo:[0,0,1] neg_hi:[0,0,1]
	v_pk_fma_f32 v[28:29], v[28:29], v[14:15], v[32:33] op_sel:[0,0,1] op_sel_hi:[1,0,0]
	v_dual_mul_f32 v32, v31, v19 :: v_dual_mov_b32 v28, v31
	s_delay_alu instid0(VALU_DEP_2) | instskip(NEXT) | instid1(VALU_DEP_2)
	v_dual_mov_b32 v43, v29 :: v_dual_mov_b32 v29, v30
	v_pk_fma_f32 v[32:33], v[30:31], v[106:107], v[32:33] op_sel_hi:[1,1,0] neg_lo:[0,0,1] neg_hi:[0,0,1]
	v_mul_f32_e32 v30, v31, v14
	s_delay_alu instid0(VALU_DEP_3) | instskip(NEXT) | instid1(VALU_DEP_2)
	v_pk_add_f32 v[202:203], v[202:203], v[42:43] neg_lo:[0,1] neg_hi:[0,1]
	v_pk_fma_f32 v[28:29], v[28:29], v[106:107], v[30:31] op_sel_hi:[1,1,0]
	s_delay_alu instid0(VALU_DEP_1) | instskip(SKIP_4) | instid1(VALU_DEP_1)
	v_mov_b32_e32 v33, v29
	ds_load_b64 v[28:29], v134 offset:416
	v_pk_add_f32 v[210:211], v[210:211], v[32:33] neg_lo:[0,1] neg_hi:[0,1]
	s_wait_dscnt 0x0
	v_pk_mul_f32 v[18:19], v[28:29], v[18:19] op_sel:[0,1]
	v_pk_fma_f32 v[30:31], v[28:29], v[14:15], v[18:19] op_sel:[0,0,1] op_sel_hi:[1,1,0] neg_lo:[0,0,1] neg_hi:[0,0,1]
	v_pk_fma_f32 v[14:15], v[28:29], v[14:15], v[18:19] op_sel:[0,0,1] op_sel_hi:[1,0,0]
	s_delay_alu instid0(VALU_DEP_1) | instskip(NEXT) | instid1(VALU_DEP_1)
	v_mov_b32_e32 v31, v15
	v_pk_add_f32 v[212:213], v[212:213], v[30:31] neg_lo:[0,1] neg_hi:[0,1]
.LBB105_253:
	s_or_b32 exec_lo, exec_lo, s1
	s_delay_alu instid0(SALU_CYCLE_1)
	s_mov_b32 s2, exec_lo
	s_wait_dscnt 0x0
	s_barrier_signal -1
	s_barrier_wait -1
	v_cmpx_eq_u32_e32 28, v132
	s_cbranch_execz .LBB105_260
; %bb.254:
	ds_store_b64 v133, v[130:131]
	ds_store_2addr_b64 v134, v[126:127], v[128:129] offset0:29 offset1:30
	ds_store_2addr_b64 v134, v[124:125], v[146:147] offset0:31 offset1:32
	;; [unrolled: 1-line block ×12, first 2 shown]
	ds_load_b64 v[14:15], v133
	s_wait_dscnt 0x0
	v_cmp_neq_f32_e32 vcc_lo, 0, v14
	v_cmp_neq_f32_e64 s1, 0, v15
	s_or_b32 s1, vcc_lo, s1
	s_delay_alu instid0(SALU_CYCLE_1)
	s_and_b32 exec_lo, exec_lo, s1
	s_cbranch_execz .LBB105_260
; %bb.255:
	v_cmp_ngt_f32_e64 s1, |v14|, |v15|
                                        ; implicit-def: $vgpr18_vgpr19
	s_and_saveexec_b32 s4, s1
	s_delay_alu instid0(SALU_CYCLE_1)
	s_xor_b32 s1, exec_lo, s4
	s_cbranch_execz .LBB105_257
; %bb.256:
	v_div_scale_f32 v18, null, v15, v15, v14
	v_div_scale_f32 v29, vcc_lo, v14, v15, v14
	s_delay_alu instid0(VALU_DEP_2) | instskip(SKIP_1) | instid1(TRANS32_DEP_1)
	v_rcp_f32_e32 v19, v18
	v_nop
	v_fma_f32 v28, -v18, v19, 1.0
	s_delay_alu instid0(VALU_DEP_1) | instskip(NEXT) | instid1(VALU_DEP_1)
	v_fmac_f32_e32 v19, v28, v19
	v_mul_f32_e32 v28, v29, v19
	s_delay_alu instid0(VALU_DEP_1) | instskip(NEXT) | instid1(VALU_DEP_1)
	v_fma_f32 v30, -v18, v28, v29
	v_fmac_f32_e32 v28, v30, v19
	s_delay_alu instid0(VALU_DEP_1) | instskip(NEXT) | instid1(VALU_DEP_1)
	v_fma_f32 v18, -v18, v28, v29
	v_div_fmas_f32 v18, v18, v19, v28
	s_delay_alu instid0(VALU_DEP_1) | instskip(NEXT) | instid1(VALU_DEP_1)
	v_div_fixup_f32 v18, v18, v15, v14
	v_fmac_f32_e32 v15, v14, v18
	s_delay_alu instid0(VALU_DEP_1) | instskip(SKIP_1) | instid1(VALU_DEP_2)
	v_div_scale_f32 v14, null, v15, v15, 1.0
	v_div_scale_f32 v29, vcc_lo, 1.0, v15, 1.0
	v_rcp_f32_e32 v19, v14
	v_nop
	s_delay_alu instid0(TRANS32_DEP_1) | instskip(NEXT) | instid1(VALU_DEP_1)
	v_fma_f32 v28, -v14, v19, 1.0
	v_fmac_f32_e32 v19, v28, v19
	s_delay_alu instid0(VALU_DEP_1) | instskip(NEXT) | instid1(VALU_DEP_1)
	v_mul_f32_e32 v28, v29, v19
	v_fma_f32 v30, -v14, v28, v29
	s_delay_alu instid0(VALU_DEP_1) | instskip(NEXT) | instid1(VALU_DEP_1)
	v_fmac_f32_e32 v28, v30, v19
	v_fma_f32 v14, -v14, v28, v29
	s_delay_alu instid0(VALU_DEP_1) | instskip(NEXT) | instid1(VALU_DEP_1)
	v_div_fmas_f32 v14, v14, v19, v28
	v_div_fixup_f32 v14, v14, v15, 1.0
	s_delay_alu instid0(VALU_DEP_1)
	v_mul_f32_e32 v18, v18, v14
	v_xor_b32_e32 v19, 0x80000000, v14
                                        ; implicit-def: $vgpr14_vgpr15
.LBB105_257:
	s_and_not1_saveexec_b32 s1, s1
	s_cbranch_execz .LBB105_259
; %bb.258:
	v_div_scale_f32 v18, null, v14, v14, v15
	v_div_scale_f32 v29, vcc_lo, v15, v14, v15
	s_delay_alu instid0(VALU_DEP_2) | instskip(SKIP_1) | instid1(TRANS32_DEP_1)
	v_rcp_f32_e32 v19, v18
	v_nop
	v_fma_f32 v28, -v18, v19, 1.0
	s_delay_alu instid0(VALU_DEP_1) | instskip(NEXT) | instid1(VALU_DEP_1)
	v_fmac_f32_e32 v19, v28, v19
	v_mul_f32_e32 v28, v29, v19
	s_delay_alu instid0(VALU_DEP_1) | instskip(NEXT) | instid1(VALU_DEP_1)
	v_fma_f32 v30, -v18, v28, v29
	v_fmac_f32_e32 v28, v30, v19
	s_delay_alu instid0(VALU_DEP_1) | instskip(NEXT) | instid1(VALU_DEP_1)
	v_fma_f32 v18, -v18, v28, v29
	v_div_fmas_f32 v18, v18, v19, v28
	s_delay_alu instid0(VALU_DEP_1) | instskip(NEXT) | instid1(VALU_DEP_1)
	v_div_fixup_f32 v19, v18, v14, v15
	v_fmac_f32_e32 v14, v15, v19
	s_delay_alu instid0(VALU_DEP_1) | instskip(NEXT) | instid1(VALU_DEP_1)
	v_div_scale_f32 v15, null, v14, v14, 1.0
	v_rcp_f32_e32 v18, v15
	v_nop
	s_delay_alu instid0(TRANS32_DEP_1) | instskip(NEXT) | instid1(VALU_DEP_1)
	v_fma_f32 v28, -v15, v18, 1.0
	v_fmac_f32_e32 v18, v28, v18
	v_div_scale_f32 v28, vcc_lo, 1.0, v14, 1.0
	s_delay_alu instid0(VALU_DEP_1) | instskip(NEXT) | instid1(VALU_DEP_1)
	v_mul_f32_e32 v29, v28, v18
	v_fma_f32 v30, -v15, v29, v28
	s_delay_alu instid0(VALU_DEP_1) | instskip(NEXT) | instid1(VALU_DEP_1)
	v_fmac_f32_e32 v29, v30, v18
	v_fma_f32 v15, -v15, v29, v28
	s_delay_alu instid0(VALU_DEP_1) | instskip(NEXT) | instid1(VALU_DEP_1)
	v_div_fmas_f32 v15, v15, v18, v29
	v_div_fixup_f32 v18, v15, v14, 1.0
	s_delay_alu instid0(VALU_DEP_1)
	v_mul_f32_e64 v19, v19, -v18
.LBB105_259:
	s_or_b32 exec_lo, exec_lo, s1
	ds_store_b64 v133, v[18:19]
.LBB105_260:
	s_or_b32 exec_lo, exec_lo, s2
	s_wait_dscnt 0x0
	s_barrier_signal -1
	s_barrier_wait -1
	ds_load_b64 v[14:15], v133
	s_mov_b32 s1, exec_lo
	v_cmpx_lt_u32_e32 28, v132
	s_cbranch_execz .LBB105_262
; %bb.261:
	ds_load_2addr_b64 v[30:33], v134 offset0:29 offset1:30
	s_wait_dscnt 0x1
	v_pk_mul_f32 v[28:29], v[14:15], v[130:131] op_sel:[1,1] op_sel_hi:[0,1]
	s_delay_alu instid0(VALU_DEP_1) | instskip(SKIP_1) | instid1(VALU_DEP_1)
	v_pk_fma_f32 v[18:19], v[14:15], v[130:131], v[28:29] op_sel_hi:[1,0,1] neg_lo:[0,0,1] neg_hi:[0,0,1]
	v_pk_fma_f32 v[28:29], v[14:15], v[130:131], v[28:29] op_sel_hi:[1,0,1]
	v_dual_mov_b32 v130, v18 :: v_dual_mov_b32 v131, v29
	s_wait_dscnt 0x0
	s_delay_alu instid0(VALU_DEP_2) | instskip(NEXT) | instid1(VALU_DEP_1)
	v_pk_mul_f32 v[42:43], v[30:31], v[28:29] op_sel:[0,1]
	v_pk_fma_f32 v[48:49], v[30:31], v[18:19], v[42:43] op_sel:[0,0,1] op_sel_hi:[1,1,0] neg_lo:[0,0,1] neg_hi:[0,0,1]
	v_pk_fma_f32 v[30:31], v[30:31], v[18:19], v[42:43] op_sel:[0,0,1] op_sel_hi:[1,0,0]
	s_delay_alu instid0(VALU_DEP_1) | instskip(SKIP_1) | instid1(VALU_DEP_1)
	v_mov_b32_e32 v49, v31
	v_pk_mul_f32 v[30:31], v[32:33], v[28:29] op_sel:[0,1]
	v_pk_fma_f32 v[42:43], v[32:33], v[18:19], v[30:31] op_sel:[0,0,1] op_sel_hi:[1,1,0] neg_lo:[0,0,1] neg_hi:[0,0,1]
	v_pk_fma_f32 v[30:31], v[32:33], v[18:19], v[30:31] op_sel:[0,0,1] op_sel_hi:[1,0,0]
	s_delay_alu instid0(VALU_DEP_1)
	v_mov_b32_e32 v43, v31
	ds_load_2addr_b64 v[30:33], v134 offset0:31 offset1:32
	v_pk_add_f32 v[126:127], v[126:127], v[48:49] neg_lo:[0,1] neg_hi:[0,1]
	v_pk_add_f32 v[128:129], v[128:129], v[42:43] neg_lo:[0,1] neg_hi:[0,1]
	s_wait_dscnt 0x0
	v_pk_mul_f32 v[42:43], v[30:31], v[28:29] op_sel:[0,1]
	s_delay_alu instid0(VALU_DEP_1) | instskip(SKIP_2) | instid1(VALU_DEP_2)
	v_pk_fma_f32 v[48:49], v[30:31], v[18:19], v[42:43] op_sel:[0,0,1] op_sel_hi:[1,1,0] neg_lo:[0,0,1] neg_hi:[0,0,1]
	v_pk_fma_f32 v[30:31], v[30:31], v[18:19], v[42:43] op_sel:[0,0,1] op_sel_hi:[1,0,0]
	v_dual_mul_f32 v42, v33, v29 :: v_dual_mov_b32 v30, v33
	v_dual_mov_b32 v49, v31 :: v_dual_mov_b32 v31, v32
	s_delay_alu instid0(VALU_DEP_2) | instskip(SKIP_1) | instid1(VALU_DEP_3)
	v_pk_fma_f32 v[42:43], v[32:33], v[130:131], v[42:43] op_sel_hi:[1,1,0] neg_lo:[0,0,1] neg_hi:[0,0,1]
	v_mul_f32_e32 v32, v33, v18
	v_pk_add_f32 v[124:125], v[124:125], v[48:49] neg_lo:[0,1] neg_hi:[0,1]
	s_delay_alu instid0(VALU_DEP_2) | instskip(NEXT) | instid1(VALU_DEP_1)
	v_pk_fma_f32 v[30:31], v[30:31], v[130:131], v[32:33] op_sel_hi:[1,1,0]
	v_mov_b32_e32 v43, v31
	ds_load_2addr_b64 v[30:33], v134 offset0:33 offset1:34
	v_pk_add_f32 v[146:147], v[146:147], v[42:43] neg_lo:[0,1] neg_hi:[0,1]
	s_wait_dscnt 0x0
	v_pk_mul_f32 v[42:43], v[30:31], v[28:29] op_sel:[0,1]
	s_delay_alu instid0(VALU_DEP_1) | instskip(SKIP_1) | instid1(VALU_DEP_1)
	v_pk_fma_f32 v[48:49], v[30:31], v[18:19], v[42:43] op_sel:[0,0,1] op_sel_hi:[1,1,0] neg_lo:[0,0,1] neg_hi:[0,0,1]
	v_pk_fma_f32 v[30:31], v[30:31], v[18:19], v[42:43] op_sel:[0,0,1] op_sel_hi:[1,0,0]
	v_mov_b32_e32 v49, v31
	v_pk_mul_f32 v[30:31], v[32:33], v[28:29] op_sel:[0,1]
	s_delay_alu instid0(VALU_DEP_1) | instskip(SKIP_1) | instid1(VALU_DEP_1)
	v_pk_fma_f32 v[42:43], v[32:33], v[18:19], v[30:31] op_sel:[0,0,1] op_sel_hi:[1,1,0] neg_lo:[0,0,1] neg_hi:[0,0,1]
	v_pk_fma_f32 v[30:31], v[32:33], v[18:19], v[30:31] op_sel:[0,0,1] op_sel_hi:[1,0,0]
	v_mov_b32_e32 v43, v31
	ds_load_2addr_b64 v[30:33], v134 offset0:35 offset1:36
	v_pk_add_f32 v[142:143], v[142:143], v[48:49] neg_lo:[0,1] neg_hi:[0,1]
	v_pk_add_f32 v[144:145], v[144:145], v[42:43] neg_lo:[0,1] neg_hi:[0,1]
	s_wait_dscnt 0x0
	v_pk_mul_f32 v[42:43], v[30:31], v[28:29] op_sel:[0,1]
	s_delay_alu instid0(VALU_DEP_1) | instskip(SKIP_1) | instid1(VALU_DEP_1)
	v_pk_fma_f32 v[48:49], v[30:31], v[18:19], v[42:43] op_sel:[0,0,1] op_sel_hi:[1,1,0] neg_lo:[0,0,1] neg_hi:[0,0,1]
	v_pk_fma_f32 v[30:31], v[30:31], v[18:19], v[42:43] op_sel:[0,0,1] op_sel_hi:[1,0,0]
	v_mov_b32_e32 v49, v31
	v_pk_mul_f32 v[30:31], v[32:33], v[28:29] op_sel:[0,1]
	s_delay_alu instid0(VALU_DEP_1) | instskip(SKIP_1) | instid1(VALU_DEP_1)
	v_pk_fma_f32 v[42:43], v[32:33], v[18:19], v[30:31] op_sel:[0,0,1] op_sel_hi:[1,1,0] neg_lo:[0,0,1] neg_hi:[0,0,1]
	v_pk_fma_f32 v[30:31], v[32:33], v[18:19], v[30:31] op_sel:[0,0,1] op_sel_hi:[1,0,0]
	v_mov_b32_e32 v43, v31
	ds_load_2addr_b64 v[30:33], v134 offset0:37 offset1:38
	v_pk_add_f32 v[140:141], v[140:141], v[48:49] neg_lo:[0,1] neg_hi:[0,1]
	v_pk_add_f32 v[162:163], v[162:163], v[42:43] neg_lo:[0,1] neg_hi:[0,1]
	s_wait_dscnt 0x0
	v_dual_mul_f32 v42, v31, v29 :: v_dual_mul_f32 v48, v31, v18
	s_delay_alu instid0(VALU_DEP_1) | instskip(NEXT) | instid1(VALU_DEP_2)
	v_pk_fma_f32 v[42:43], v[30:31], v[130:131], v[42:43] op_sel_hi:[1,1,0] neg_lo:[0,0,1] neg_hi:[0,0,1]
	v_pk_fma_f32 v[30:31], v[30:31], v[130:131], v[48:49] op_sel:[1,0,0] op_sel_hi:[0,1,0]
	s_delay_alu instid0(VALU_DEP_1) | instskip(SKIP_1) | instid1(VALU_DEP_2)
	v_mov_b32_e32 v43, v31
	v_pk_mul_f32 v[30:31], v[32:33], v[28:29] op_sel:[0,1]
	v_pk_add_f32 v[158:159], v[158:159], v[42:43] neg_lo:[0,1] neg_hi:[0,1]
	s_delay_alu instid0(VALU_DEP_2) | instskip(SKIP_1) | instid1(VALU_DEP_1)
	v_pk_fma_f32 v[42:43], v[32:33], v[18:19], v[30:31] op_sel:[0,0,1] op_sel_hi:[1,1,0] neg_lo:[0,0,1] neg_hi:[0,0,1]
	v_pk_fma_f32 v[30:31], v[32:33], v[18:19], v[30:31] op_sel:[0,0,1] op_sel_hi:[1,0,0]
	v_mov_b32_e32 v43, v31
	ds_load_2addr_b64 v[30:33], v134 offset0:39 offset1:40
	v_pk_add_f32 v[160:161], v[160:161], v[42:43] neg_lo:[0,1] neg_hi:[0,1]
	s_wait_dscnt 0x0
	v_pk_mul_f32 v[42:43], v[30:31], v[28:29] op_sel:[0,1]
	s_delay_alu instid0(VALU_DEP_1) | instskip(SKIP_1) | instid1(VALU_DEP_1)
	v_pk_fma_f32 v[48:49], v[30:31], v[18:19], v[42:43] op_sel:[0,0,1] op_sel_hi:[1,1,0] neg_lo:[0,0,1] neg_hi:[0,0,1]
	v_pk_fma_f32 v[30:31], v[30:31], v[18:19], v[42:43] op_sel:[0,0,1] op_sel_hi:[1,0,0]
	v_mov_b32_e32 v49, v31
	v_pk_mul_f32 v[30:31], v[32:33], v[28:29] op_sel:[0,1]
	s_delay_alu instid0(VALU_DEP_2) | instskip(NEXT) | instid1(VALU_DEP_2)
	v_pk_add_f32 v[156:157], v[156:157], v[48:49] neg_lo:[0,1] neg_hi:[0,1]
	v_pk_fma_f32 v[42:43], v[32:33], v[18:19], v[30:31] op_sel:[0,0,1] op_sel_hi:[1,1,0] neg_lo:[0,0,1] neg_hi:[0,0,1]
	v_pk_fma_f32 v[30:31], v[32:33], v[18:19], v[30:31] op_sel:[0,0,1] op_sel_hi:[1,0,0]
	s_delay_alu instid0(VALU_DEP_1) | instskip(SKIP_4) | instid1(VALU_DEP_1)
	v_mov_b32_e32 v43, v31
	ds_load_2addr_b64 v[30:33], v134 offset0:41 offset1:42
	v_pk_add_f32 v[184:185], v[184:185], v[42:43] neg_lo:[0,1] neg_hi:[0,1]
	s_wait_dscnt 0x0
	v_pk_mul_f32 v[42:43], v[30:31], v[28:29] op_sel:[0,1]
	v_pk_fma_f32 v[48:49], v[30:31], v[18:19], v[42:43] op_sel:[0,0,1] op_sel_hi:[1,1,0] neg_lo:[0,0,1] neg_hi:[0,0,1]
	v_pk_fma_f32 v[30:31], v[30:31], v[18:19], v[42:43] op_sel:[0,0,1] op_sel_hi:[1,0,0]
	v_dual_mul_f32 v42, v33, v29 :: v_dual_mov_b32 v30, v33
	s_delay_alu instid0(VALU_DEP_2) | instskip(NEXT) | instid1(VALU_DEP_2)
	v_dual_mov_b32 v49, v31 :: v_dual_mov_b32 v31, v32
	v_pk_fma_f32 v[42:43], v[32:33], v[130:131], v[42:43] op_sel_hi:[1,1,0] neg_lo:[0,0,1] neg_hi:[0,0,1]
	v_mul_f32_e32 v32, v33, v18
	s_delay_alu instid0(VALU_DEP_3) | instskip(NEXT) | instid1(VALU_DEP_2)
	v_pk_add_f32 v[180:181], v[180:181], v[48:49] neg_lo:[0,1] neg_hi:[0,1]
	v_pk_fma_f32 v[30:31], v[30:31], v[130:131], v[32:33] op_sel_hi:[1,1,0]
	s_delay_alu instid0(VALU_DEP_1) | instskip(SKIP_4) | instid1(VALU_DEP_1)
	v_mov_b32_e32 v43, v31
	ds_load_2addr_b64 v[30:33], v134 offset0:43 offset1:44
	v_pk_add_f32 v[182:183], v[182:183], v[42:43] neg_lo:[0,1] neg_hi:[0,1]
	s_wait_dscnt 0x0
	v_pk_mul_f32 v[42:43], v[30:31], v[28:29] op_sel:[0,1]
	v_pk_fma_f32 v[48:49], v[30:31], v[18:19], v[42:43] op_sel:[0,0,1] op_sel_hi:[1,1,0] neg_lo:[0,0,1] neg_hi:[0,0,1]
	v_pk_fma_f32 v[30:31], v[30:31], v[18:19], v[42:43] op_sel:[0,0,1] op_sel_hi:[1,0,0]
	s_delay_alu instid0(VALU_DEP_1) | instskip(SKIP_1) | instid1(VALU_DEP_1)
	v_mov_b32_e32 v49, v31
	v_pk_mul_f32 v[30:31], v[32:33], v[28:29] op_sel:[0,1]
	v_pk_fma_f32 v[42:43], v[32:33], v[18:19], v[30:31] op_sel:[0,0,1] op_sel_hi:[1,1,0] neg_lo:[0,0,1] neg_hi:[0,0,1]
	v_pk_fma_f32 v[30:31], v[32:33], v[18:19], v[30:31] op_sel:[0,0,1] op_sel_hi:[1,0,0]
	s_delay_alu instid0(VALU_DEP_1)
	v_mov_b32_e32 v43, v31
	ds_load_2addr_b64 v[30:33], v134 offset0:45 offset1:46
	v_pk_add_f32 v[178:179], v[178:179], v[48:49] neg_lo:[0,1] neg_hi:[0,1]
	v_pk_add_f32 v[208:209], v[208:209], v[42:43] neg_lo:[0,1] neg_hi:[0,1]
	s_wait_dscnt 0x0
	v_pk_mul_f32 v[42:43], v[30:31], v[28:29] op_sel:[0,1]
	s_delay_alu instid0(VALU_DEP_1) | instskip(SKIP_1) | instid1(VALU_DEP_1)
	v_pk_fma_f32 v[48:49], v[30:31], v[18:19], v[42:43] op_sel:[0,0,1] op_sel_hi:[1,1,0] neg_lo:[0,0,1] neg_hi:[0,0,1]
	v_pk_fma_f32 v[30:31], v[30:31], v[18:19], v[42:43] op_sel:[0,0,1] op_sel_hi:[1,0,0]
	v_mov_b32_e32 v49, v31
	v_pk_mul_f32 v[30:31], v[32:33], v[28:29] op_sel:[0,1]
	s_delay_alu instid0(VALU_DEP_1) | instskip(SKIP_1) | instid1(VALU_DEP_1)
	v_pk_fma_f32 v[42:43], v[32:33], v[18:19], v[30:31] op_sel:[0,0,1] op_sel_hi:[1,1,0] neg_lo:[0,0,1] neg_hi:[0,0,1]
	v_pk_fma_f32 v[30:31], v[32:33], v[18:19], v[30:31] op_sel:[0,0,1] op_sel_hi:[1,0,0]
	v_mov_b32_e32 v43, v31
	ds_load_2addr_b64 v[30:33], v134 offset0:47 offset1:48
	v_pk_add_f32 v[200:201], v[200:201], v[48:49] neg_lo:[0,1] neg_hi:[0,1]
	v_pk_add_f32 v[206:207], v[206:207], v[42:43] neg_lo:[0,1] neg_hi:[0,1]
	s_wait_dscnt 0x0
	v_dual_mul_f32 v42, v31, v29 :: v_dual_mul_f32 v48, v31, v18
	s_delay_alu instid0(VALU_DEP_1) | instskip(NEXT) | instid1(VALU_DEP_2)
	v_pk_fma_f32 v[42:43], v[30:31], v[130:131], v[42:43] op_sel_hi:[1,1,0] neg_lo:[0,0,1] neg_hi:[0,0,1]
	v_pk_fma_f32 v[30:31], v[30:31], v[130:131], v[48:49] op_sel:[1,0,0] op_sel_hi:[0,1,0]
	s_delay_alu instid0(VALU_DEP_1) | instskip(SKIP_1) | instid1(VALU_DEP_2)
	v_mov_b32_e32 v43, v31
	v_pk_mul_f32 v[30:31], v[32:33], v[28:29] op_sel:[0,1]
	v_pk_add_f32 v[198:199], v[198:199], v[42:43] neg_lo:[0,1] neg_hi:[0,1]
	s_delay_alu instid0(VALU_DEP_2) | instskip(SKIP_1) | instid1(VALU_DEP_1)
	v_pk_fma_f32 v[42:43], v[32:33], v[18:19], v[30:31] op_sel:[0,0,1] op_sel_hi:[1,1,0] neg_lo:[0,0,1] neg_hi:[0,0,1]
	v_pk_fma_f32 v[30:31], v[32:33], v[18:19], v[30:31] op_sel:[0,0,1] op_sel_hi:[1,0,0]
	v_mov_b32_e32 v43, v31
	ds_load_2addr_b64 v[30:33], v134 offset0:49 offset1:50
	v_pk_add_f32 v[204:205], v[204:205], v[42:43] neg_lo:[0,1] neg_hi:[0,1]
	s_wait_dscnt 0x0
	v_pk_mul_f32 v[42:43], v[30:31], v[28:29] op_sel:[0,1]
	s_delay_alu instid0(VALU_DEP_1) | instskip(SKIP_1) | instid1(VALU_DEP_1)
	v_pk_fma_f32 v[48:49], v[30:31], v[18:19], v[42:43] op_sel:[0,0,1] op_sel_hi:[1,1,0] neg_lo:[0,0,1] neg_hi:[0,0,1]
	v_pk_fma_f32 v[30:31], v[30:31], v[18:19], v[42:43] op_sel:[0,0,1] op_sel_hi:[1,0,0]
	v_mov_b32_e32 v49, v31
	v_pk_mul_f32 v[30:31], v[32:33], v[28:29] op_sel:[0,1]
	s_delay_alu instid0(VALU_DEP_2) | instskip(NEXT) | instid1(VALU_DEP_2)
	v_pk_add_f32 v[196:197], v[196:197], v[48:49] neg_lo:[0,1] neg_hi:[0,1]
	v_pk_fma_f32 v[42:43], v[32:33], v[18:19], v[30:31] op_sel:[0,0,1] op_sel_hi:[1,1,0] neg_lo:[0,0,1] neg_hi:[0,0,1]
	v_pk_fma_f32 v[30:31], v[32:33], v[18:19], v[30:31] op_sel:[0,0,1] op_sel_hi:[1,0,0]
	s_delay_alu instid0(VALU_DEP_1)
	v_mov_b32_e32 v43, v31
	ds_load_2addr_b64 v[30:33], v134 offset0:51 offset1:52
	v_pk_add_f32 v[202:203], v[202:203], v[42:43] neg_lo:[0,1] neg_hi:[0,1]
	s_wait_dscnt 0x0
	v_pk_mul_f32 v[42:43], v[30:31], v[28:29] op_sel:[0,1]
	v_mul_f32_e32 v28, v33, v29
	s_delay_alu instid0(VALU_DEP_2) | instskip(SKIP_2) | instid1(VALU_DEP_4)
	v_pk_fma_f32 v[48:49], v[30:31], v[18:19], v[42:43] op_sel:[0,0,1] op_sel_hi:[1,1,0] neg_lo:[0,0,1] neg_hi:[0,0,1]
	v_pk_fma_f32 v[30:31], v[30:31], v[18:19], v[42:43] op_sel:[0,0,1] op_sel_hi:[1,0,0]
	v_dual_mov_b32 v30, v33 :: v_dual_mul_f32 v18, v33, v18
	v_pk_fma_f32 v[28:29], v[32:33], v[130:131], v[28:29] op_sel_hi:[1,1,0] neg_lo:[0,0,1] neg_hi:[0,0,1]
	s_delay_alu instid0(VALU_DEP_3) | instskip(NEXT) | instid1(VALU_DEP_1)
	v_dual_mov_b32 v49, v31 :: v_dual_mov_b32 v31, v32
	v_pk_add_f32 v[210:211], v[210:211], v[48:49] neg_lo:[0,1] neg_hi:[0,1]
	s_delay_alu instid0(VALU_DEP_2) | instskip(NEXT) | instid1(VALU_DEP_1)
	v_pk_fma_f32 v[18:19], v[30:31], v[130:131], v[18:19] op_sel_hi:[1,1,0]
	v_mov_b32_e32 v29, v19
	s_delay_alu instid0(VALU_DEP_1)
	v_pk_add_f32 v[212:213], v[212:213], v[28:29] neg_lo:[0,1] neg_hi:[0,1]
.LBB105_262:
	s_or_b32 exec_lo, exec_lo, s1
	s_delay_alu instid0(SALU_CYCLE_1)
	s_mov_b32 s2, exec_lo
	s_wait_dscnt 0x0
	s_barrier_signal -1
	s_barrier_wait -1
	v_cmpx_eq_u32_e32 29, v132
	s_cbranch_execz .LBB105_269
; %bb.263:
	v_dual_mov_b32 v18, v128 :: v_dual_mov_b32 v19, v129
	v_dual_mov_b32 v28, v124 :: v_dual_mov_b32 v29, v125
	ds_store_b64 v133, v[126:127]
	ds_store_2addr_b64 v134, v[18:19], v[28:29] offset0:30 offset1:31
	v_dual_mov_b32 v18, v146 :: v_dual_mov_b32 v19, v147
	v_dual_mov_b32 v28, v142 :: v_dual_mov_b32 v29, v143
	ds_store_2addr_b64 v134, v[18:19], v[28:29] offset0:32 offset1:33
	v_dual_mov_b32 v18, v144 :: v_dual_mov_b32 v19, v145
	v_dual_mov_b32 v28, v140 :: v_dual_mov_b32 v29, v141
	;; [unrolled: 3-line block ×10, first 2 shown]
	ds_store_2addr_b64 v134, v[18:19], v[28:29] offset0:50 offset1:51
	ds_store_b64 v134, v[212:213] offset:416
	ds_load_b64 v[18:19], v133
	s_wait_dscnt 0x0
	v_cmp_neq_f32_e32 vcc_lo, 0, v18
	v_cmp_neq_f32_e64 s1, 0, v19
	s_or_b32 s1, vcc_lo, s1
	s_delay_alu instid0(SALU_CYCLE_1)
	s_and_b32 exec_lo, exec_lo, s1
	s_cbranch_execz .LBB105_269
; %bb.264:
	v_cmp_ngt_f32_e64 s1, |v18|, |v19|
                                        ; implicit-def: $vgpr28_vgpr29
	s_and_saveexec_b32 s4, s1
	s_delay_alu instid0(SALU_CYCLE_1)
	s_xor_b32 s1, exec_lo, s4
	s_cbranch_execz .LBB105_266
; %bb.265:
	v_div_scale_f32 v28, null, v19, v19, v18
	v_div_scale_f32 v31, vcc_lo, v18, v19, v18
	s_delay_alu instid0(VALU_DEP_2) | instskip(SKIP_1) | instid1(TRANS32_DEP_1)
	v_rcp_f32_e32 v29, v28
	v_nop
	v_fma_f32 v30, -v28, v29, 1.0
	s_delay_alu instid0(VALU_DEP_1) | instskip(NEXT) | instid1(VALU_DEP_1)
	v_fmac_f32_e32 v29, v30, v29
	v_mul_f32_e32 v30, v31, v29
	s_delay_alu instid0(VALU_DEP_1) | instskip(NEXT) | instid1(VALU_DEP_1)
	v_fma_f32 v32, -v28, v30, v31
	v_fmac_f32_e32 v30, v32, v29
	s_delay_alu instid0(VALU_DEP_1) | instskip(NEXT) | instid1(VALU_DEP_1)
	v_fma_f32 v28, -v28, v30, v31
	v_div_fmas_f32 v28, v28, v29, v30
	s_delay_alu instid0(VALU_DEP_1) | instskip(NEXT) | instid1(VALU_DEP_1)
	v_div_fixup_f32 v28, v28, v19, v18
	v_fmac_f32_e32 v19, v18, v28
	s_delay_alu instid0(VALU_DEP_1) | instskip(SKIP_1) | instid1(VALU_DEP_2)
	v_div_scale_f32 v18, null, v19, v19, 1.0
	v_div_scale_f32 v31, vcc_lo, 1.0, v19, 1.0
	v_rcp_f32_e32 v29, v18
	v_nop
	s_delay_alu instid0(TRANS32_DEP_1) | instskip(NEXT) | instid1(VALU_DEP_1)
	v_fma_f32 v30, -v18, v29, 1.0
	v_fmac_f32_e32 v29, v30, v29
	s_delay_alu instid0(VALU_DEP_1) | instskip(NEXT) | instid1(VALU_DEP_1)
	v_mul_f32_e32 v30, v31, v29
	v_fma_f32 v32, -v18, v30, v31
	s_delay_alu instid0(VALU_DEP_1) | instskip(NEXT) | instid1(VALU_DEP_1)
	v_fmac_f32_e32 v30, v32, v29
	v_fma_f32 v18, -v18, v30, v31
	s_delay_alu instid0(VALU_DEP_1) | instskip(NEXT) | instid1(VALU_DEP_1)
	v_div_fmas_f32 v18, v18, v29, v30
	v_div_fixup_f32 v18, v18, v19, 1.0
	s_delay_alu instid0(VALU_DEP_1)
	v_mul_f32_e32 v28, v28, v18
	v_xor_b32_e32 v29, 0x80000000, v18
                                        ; implicit-def: $vgpr18_vgpr19
.LBB105_266:
	s_and_not1_saveexec_b32 s1, s1
	s_cbranch_execz .LBB105_268
; %bb.267:
	v_div_scale_f32 v28, null, v18, v18, v19
	v_div_scale_f32 v31, vcc_lo, v19, v18, v19
	s_delay_alu instid0(VALU_DEP_2) | instskip(SKIP_1) | instid1(TRANS32_DEP_1)
	v_rcp_f32_e32 v29, v28
	v_nop
	v_fma_f32 v30, -v28, v29, 1.0
	s_delay_alu instid0(VALU_DEP_1) | instskip(NEXT) | instid1(VALU_DEP_1)
	v_fmac_f32_e32 v29, v30, v29
	v_mul_f32_e32 v30, v31, v29
	s_delay_alu instid0(VALU_DEP_1) | instskip(NEXT) | instid1(VALU_DEP_1)
	v_fma_f32 v32, -v28, v30, v31
	v_fmac_f32_e32 v30, v32, v29
	s_delay_alu instid0(VALU_DEP_1) | instskip(NEXT) | instid1(VALU_DEP_1)
	v_fma_f32 v28, -v28, v30, v31
	v_div_fmas_f32 v28, v28, v29, v30
	s_delay_alu instid0(VALU_DEP_1) | instskip(NEXT) | instid1(VALU_DEP_1)
	v_div_fixup_f32 v29, v28, v18, v19
	v_fmac_f32_e32 v18, v19, v29
	s_delay_alu instid0(VALU_DEP_1) | instskip(NEXT) | instid1(VALU_DEP_1)
	v_div_scale_f32 v19, null, v18, v18, 1.0
	v_rcp_f32_e32 v28, v19
	v_nop
	s_delay_alu instid0(TRANS32_DEP_1) | instskip(NEXT) | instid1(VALU_DEP_1)
	v_fma_f32 v30, -v19, v28, 1.0
	v_fmac_f32_e32 v28, v30, v28
	v_div_scale_f32 v30, vcc_lo, 1.0, v18, 1.0
	s_delay_alu instid0(VALU_DEP_1) | instskip(NEXT) | instid1(VALU_DEP_1)
	v_mul_f32_e32 v31, v30, v28
	v_fma_f32 v32, -v19, v31, v30
	s_delay_alu instid0(VALU_DEP_1) | instskip(NEXT) | instid1(VALU_DEP_1)
	v_fmac_f32_e32 v31, v32, v28
	v_fma_f32 v19, -v19, v31, v30
	s_delay_alu instid0(VALU_DEP_1) | instskip(NEXT) | instid1(VALU_DEP_1)
	v_div_fmas_f32 v19, v19, v28, v31
	v_div_fixup_f32 v28, v19, v18, 1.0
	s_delay_alu instid0(VALU_DEP_1)
	v_mul_f32_e64 v29, v29, -v28
.LBB105_268:
	s_or_b32 exec_lo, exec_lo, s1
	ds_store_b64 v133, v[28:29]
.LBB105_269:
	s_or_b32 exec_lo, exec_lo, s2
	s_wait_dscnt 0x0
	s_barrier_signal -1
	s_barrier_wait -1
	ds_load_b64 v[18:19], v133
	s_mov_b32 s1, exec_lo
	v_cmpx_lt_u32_e32 29, v132
	s_cbranch_execz .LBB105_271
; %bb.270:
	ds_load_2addr_b64 v[48:51], v134 offset0:30 offset1:31
	s_wait_dscnt 0x1
	v_pk_mul_f32 v[30:31], v[18:19], v[126:127] op_sel:[1,1] op_sel_hi:[0,1]
	s_delay_alu instid0(VALU_DEP_1) | instskip(SKIP_1) | instid1(VALU_DEP_1)
	v_pk_fma_f32 v[28:29], v[18:19], v[126:127], v[30:31] op_sel_hi:[1,0,1] neg_lo:[0,0,1] neg_hi:[0,0,1]
	v_pk_fma_f32 v[30:31], v[18:19], v[126:127], v[30:31] op_sel_hi:[1,0,1]
	v_dual_mov_b32 v126, v28 :: v_dual_mov_b32 v127, v31
	s_wait_dscnt 0x0
	s_delay_alu instid0(VALU_DEP_2) | instskip(NEXT) | instid1(VALU_DEP_1)
	v_pk_mul_f32 v[32:33], v[48:49], v[30:31] op_sel:[0,1]
	v_pk_fma_f32 v[42:43], v[48:49], v[28:29], v[32:33] op_sel:[0,0,1] op_sel_hi:[1,1,0] neg_lo:[0,0,1] neg_hi:[0,0,1]
	v_pk_fma_f32 v[32:33], v[48:49], v[28:29], v[32:33] op_sel:[0,0,1] op_sel_hi:[1,0,0]
	s_delay_alu instid0(VALU_DEP_1) | instskip(SKIP_1) | instid1(VALU_DEP_2)
	v_mov_b32_e32 v43, v33
	v_pk_mul_f32 v[32:33], v[50:51], v[30:31] op_sel:[0,1]
	v_pk_add_f32 v[128:129], v[128:129], v[42:43] neg_lo:[0,1] neg_hi:[0,1]
	s_delay_alu instid0(VALU_DEP_2) | instskip(SKIP_3) | instid1(VALU_DEP_1)
	v_pk_fma_f32 v[42:43], v[50:51], v[28:29], v[32:33] op_sel:[0,0,1] op_sel_hi:[1,1,0] neg_lo:[0,0,1] neg_hi:[0,0,1]
	v_pk_fma_f32 v[32:33], v[50:51], v[28:29], v[32:33] op_sel:[0,0,1] op_sel_hi:[1,0,0]
	ds_load_2addr_b64 v[48:51], v134 offset0:32 offset1:33
	v_mov_b32_e32 v43, v33
	v_pk_add_f32 v[124:125], v[124:125], v[42:43] neg_lo:[0,1] neg_hi:[0,1]
	s_wait_dscnt 0x0
	v_pk_mul_f32 v[32:33], v[48:49], v[30:31] op_sel:[0,1]
	s_delay_alu instid0(VALU_DEP_1) | instskip(SKIP_2) | instid1(VALU_DEP_2)
	v_pk_fma_f32 v[42:43], v[48:49], v[28:29], v[32:33] op_sel:[0,0,1] op_sel_hi:[1,1,0] neg_lo:[0,0,1] neg_hi:[0,0,1]
	v_pk_fma_f32 v[32:33], v[48:49], v[28:29], v[32:33] op_sel:[0,0,1] op_sel_hi:[1,0,0]
	v_dual_mov_b32 v32, v51 :: v_dual_mul_f32 v48, v51, v28
	v_dual_mov_b32 v43, v33 :: v_dual_mov_b32 v33, v50
	s_delay_alu instid0(VALU_DEP_1) | instskip(SKIP_1) | instid1(VALU_DEP_3)
	v_pk_add_f32 v[146:147], v[146:147], v[42:43] neg_lo:[0,1] neg_hi:[0,1]
	v_mul_f32_e32 v42, v51, v31
	v_pk_fma_f32 v[32:33], v[32:33], v[126:127], v[48:49] op_sel_hi:[1,1,0]
	s_delay_alu instid0(VALU_DEP_2) | instskip(SKIP_2) | instid1(VALU_DEP_1)
	v_pk_fma_f32 v[42:43], v[50:51], v[126:127], v[42:43] op_sel_hi:[1,1,0] neg_lo:[0,0,1] neg_hi:[0,0,1]
	ds_load_2addr_b64 v[48:51], v134 offset0:34 offset1:35
	v_mov_b32_e32 v43, v33
	v_pk_add_f32 v[142:143], v[142:143], v[42:43] neg_lo:[0,1] neg_hi:[0,1]
	s_wait_dscnt 0x0
	v_pk_mul_f32 v[32:33], v[48:49], v[30:31] op_sel:[0,1]
	s_delay_alu instid0(VALU_DEP_1) | instskip(SKIP_1) | instid1(VALU_DEP_1)
	v_pk_fma_f32 v[42:43], v[48:49], v[28:29], v[32:33] op_sel:[0,0,1] op_sel_hi:[1,1,0] neg_lo:[0,0,1] neg_hi:[0,0,1]
	v_pk_fma_f32 v[32:33], v[48:49], v[28:29], v[32:33] op_sel:[0,0,1] op_sel_hi:[1,0,0]
	v_mov_b32_e32 v43, v33
	v_pk_mul_f32 v[32:33], v[50:51], v[30:31] op_sel:[0,1]
	s_delay_alu instid0(VALU_DEP_2) | instskip(NEXT) | instid1(VALU_DEP_2)
	v_pk_add_f32 v[144:145], v[144:145], v[42:43] neg_lo:[0,1] neg_hi:[0,1]
	v_pk_fma_f32 v[42:43], v[50:51], v[28:29], v[32:33] op_sel:[0,0,1] op_sel_hi:[1,1,0] neg_lo:[0,0,1] neg_hi:[0,0,1]
	v_pk_fma_f32 v[32:33], v[50:51], v[28:29], v[32:33] op_sel:[0,0,1] op_sel_hi:[1,0,0]
	ds_load_2addr_b64 v[48:51], v134 offset0:36 offset1:37
	v_mov_b32_e32 v43, v33
	s_delay_alu instid0(VALU_DEP_1) | instskip(SKIP_2) | instid1(VALU_DEP_1)
	v_pk_add_f32 v[140:141], v[140:141], v[42:43] neg_lo:[0,1] neg_hi:[0,1]
	s_wait_dscnt 0x0
	v_pk_mul_f32 v[32:33], v[48:49], v[30:31] op_sel:[0,1]
	v_pk_fma_f32 v[42:43], v[48:49], v[28:29], v[32:33] op_sel:[0,0,1] op_sel_hi:[1,1,0] neg_lo:[0,0,1] neg_hi:[0,0,1]
	v_pk_fma_f32 v[32:33], v[48:49], v[28:29], v[32:33] op_sel:[0,0,1] op_sel_hi:[1,0,0]
	s_delay_alu instid0(VALU_DEP_1) | instskip(SKIP_1) | instid1(VALU_DEP_2)
	v_mov_b32_e32 v43, v33
	v_pk_mul_f32 v[32:33], v[50:51], v[30:31] op_sel:[0,1]
	v_pk_add_f32 v[162:163], v[162:163], v[42:43] neg_lo:[0,1] neg_hi:[0,1]
	s_delay_alu instid0(VALU_DEP_2) | instskip(SKIP_3) | instid1(VALU_DEP_1)
	v_pk_fma_f32 v[42:43], v[50:51], v[28:29], v[32:33] op_sel:[0,0,1] op_sel_hi:[1,1,0] neg_lo:[0,0,1] neg_hi:[0,0,1]
	v_pk_fma_f32 v[32:33], v[50:51], v[28:29], v[32:33] op_sel:[0,0,1] op_sel_hi:[1,0,0]
	ds_load_2addr_b64 v[48:51], v134 offset0:38 offset1:39
	v_mov_b32_e32 v43, v33
	v_pk_add_f32 v[158:159], v[158:159], v[42:43] neg_lo:[0,1] neg_hi:[0,1]
	s_wait_dscnt 0x0
	v_dual_mul_f32 v32, v49, v31 :: v_dual_mul_f32 v42, v49, v28
	s_delay_alu instid0(VALU_DEP_1) | instskip(NEXT) | instid1(VALU_DEP_2)
	v_pk_fma_f32 v[32:33], v[48:49], v[126:127], v[32:33] op_sel_hi:[1,1,0] neg_lo:[0,0,1] neg_hi:[0,0,1]
	v_pk_fma_f32 v[42:43], v[48:49], v[126:127], v[42:43] op_sel:[1,0,0] op_sel_hi:[0,1,0]
	s_delay_alu instid0(VALU_DEP_1) | instskip(NEXT) | instid1(VALU_DEP_1)
	v_mov_b32_e32 v33, v43
	v_pk_add_f32 v[160:161], v[160:161], v[32:33] neg_lo:[0,1] neg_hi:[0,1]
	v_pk_mul_f32 v[32:33], v[50:51], v[30:31] op_sel:[0,1]
	s_delay_alu instid0(VALU_DEP_1) | instskip(SKIP_3) | instid1(VALU_DEP_1)
	v_pk_fma_f32 v[42:43], v[50:51], v[28:29], v[32:33] op_sel:[0,0,1] op_sel_hi:[1,1,0] neg_lo:[0,0,1] neg_hi:[0,0,1]
	v_pk_fma_f32 v[32:33], v[50:51], v[28:29], v[32:33] op_sel:[0,0,1] op_sel_hi:[1,0,0]
	ds_load_2addr_b64 v[48:51], v134 offset0:40 offset1:41
	v_mov_b32_e32 v43, v33
	v_pk_add_f32 v[156:157], v[156:157], v[42:43] neg_lo:[0,1] neg_hi:[0,1]
	s_wait_dscnt 0x0
	v_pk_mul_f32 v[32:33], v[48:49], v[30:31] op_sel:[0,1]
	s_delay_alu instid0(VALU_DEP_1) | instskip(SKIP_1) | instid1(VALU_DEP_1)
	v_pk_fma_f32 v[42:43], v[48:49], v[28:29], v[32:33] op_sel:[0,0,1] op_sel_hi:[1,1,0] neg_lo:[0,0,1] neg_hi:[0,0,1]
	v_pk_fma_f32 v[32:33], v[48:49], v[28:29], v[32:33] op_sel:[0,0,1] op_sel_hi:[1,0,0]
	v_mov_b32_e32 v43, v33
	v_pk_mul_f32 v[32:33], v[50:51], v[30:31] op_sel:[0,1]
	s_delay_alu instid0(VALU_DEP_2) | instskip(NEXT) | instid1(VALU_DEP_2)
	v_pk_add_f32 v[184:185], v[184:185], v[42:43] neg_lo:[0,1] neg_hi:[0,1]
	v_pk_fma_f32 v[42:43], v[50:51], v[28:29], v[32:33] op_sel:[0,0,1] op_sel_hi:[1,1,0] neg_lo:[0,0,1] neg_hi:[0,0,1]
	v_pk_fma_f32 v[32:33], v[50:51], v[28:29], v[32:33] op_sel:[0,0,1] op_sel_hi:[1,0,0]
	ds_load_2addr_b64 v[48:51], v134 offset0:42 offset1:43
	v_mov_b32_e32 v43, v33
	s_delay_alu instid0(VALU_DEP_1) | instskip(SKIP_2) | instid1(VALU_DEP_1)
	v_pk_add_f32 v[180:181], v[180:181], v[42:43] neg_lo:[0,1] neg_hi:[0,1]
	s_wait_dscnt 0x0
	v_pk_mul_f32 v[32:33], v[48:49], v[30:31] op_sel:[0,1]
	v_pk_fma_f32 v[42:43], v[48:49], v[28:29], v[32:33] op_sel:[0,0,1] op_sel_hi:[1,1,0] neg_lo:[0,0,1] neg_hi:[0,0,1]
	v_pk_fma_f32 v[32:33], v[48:49], v[28:29], v[32:33] op_sel:[0,0,1] op_sel_hi:[1,0,0]
	v_dual_mov_b32 v32, v51 :: v_dual_mul_f32 v48, v51, v28
	s_delay_alu instid0(VALU_DEP_2) | instskip(NEXT) | instid1(VALU_DEP_1)
	v_dual_mov_b32 v43, v33 :: v_dual_mov_b32 v33, v50
	v_pk_add_f32 v[182:183], v[182:183], v[42:43] neg_lo:[0,1] neg_hi:[0,1]
	v_mul_f32_e32 v42, v51, v31
	s_delay_alu instid0(VALU_DEP_3) | instskip(NEXT) | instid1(VALU_DEP_2)
	v_pk_fma_f32 v[32:33], v[32:33], v[126:127], v[48:49] op_sel_hi:[1,1,0]
	v_pk_fma_f32 v[42:43], v[50:51], v[126:127], v[42:43] op_sel_hi:[1,1,0] neg_lo:[0,0,1] neg_hi:[0,0,1]
	ds_load_2addr_b64 v[48:51], v134 offset0:44 offset1:45
	v_mov_b32_e32 v43, v33
	s_delay_alu instid0(VALU_DEP_1) | instskip(SKIP_2) | instid1(VALU_DEP_1)
	v_pk_add_f32 v[178:179], v[178:179], v[42:43] neg_lo:[0,1] neg_hi:[0,1]
	s_wait_dscnt 0x0
	v_pk_mul_f32 v[32:33], v[48:49], v[30:31] op_sel:[0,1]
	v_pk_fma_f32 v[42:43], v[48:49], v[28:29], v[32:33] op_sel:[0,0,1] op_sel_hi:[1,1,0] neg_lo:[0,0,1] neg_hi:[0,0,1]
	v_pk_fma_f32 v[32:33], v[48:49], v[28:29], v[32:33] op_sel:[0,0,1] op_sel_hi:[1,0,0]
	s_delay_alu instid0(VALU_DEP_1) | instskip(SKIP_1) | instid1(VALU_DEP_2)
	v_mov_b32_e32 v43, v33
	v_pk_mul_f32 v[32:33], v[50:51], v[30:31] op_sel:[0,1]
	v_pk_add_f32 v[208:209], v[208:209], v[42:43] neg_lo:[0,1] neg_hi:[0,1]
	s_delay_alu instid0(VALU_DEP_2) | instskip(SKIP_3) | instid1(VALU_DEP_1)
	v_pk_fma_f32 v[42:43], v[50:51], v[28:29], v[32:33] op_sel:[0,0,1] op_sel_hi:[1,1,0] neg_lo:[0,0,1] neg_hi:[0,0,1]
	v_pk_fma_f32 v[32:33], v[50:51], v[28:29], v[32:33] op_sel:[0,0,1] op_sel_hi:[1,0,0]
	ds_load_2addr_b64 v[48:51], v134 offset0:46 offset1:47
	v_mov_b32_e32 v43, v33
	v_pk_add_f32 v[200:201], v[200:201], v[42:43] neg_lo:[0,1] neg_hi:[0,1]
	s_wait_dscnt 0x0
	v_pk_mul_f32 v[32:33], v[48:49], v[30:31] op_sel:[0,1]
	s_delay_alu instid0(VALU_DEP_1) | instskip(SKIP_1) | instid1(VALU_DEP_1)
	v_pk_fma_f32 v[42:43], v[48:49], v[28:29], v[32:33] op_sel:[0,0,1] op_sel_hi:[1,1,0] neg_lo:[0,0,1] neg_hi:[0,0,1]
	v_pk_fma_f32 v[32:33], v[48:49], v[28:29], v[32:33] op_sel:[0,0,1] op_sel_hi:[1,0,0]
	v_mov_b32_e32 v43, v33
	v_pk_mul_f32 v[32:33], v[50:51], v[30:31] op_sel:[0,1]
	s_delay_alu instid0(VALU_DEP_2) | instskip(NEXT) | instid1(VALU_DEP_2)
	v_pk_add_f32 v[206:207], v[206:207], v[42:43] neg_lo:[0,1] neg_hi:[0,1]
	v_pk_fma_f32 v[42:43], v[50:51], v[28:29], v[32:33] op_sel:[0,0,1] op_sel_hi:[1,1,0] neg_lo:[0,0,1] neg_hi:[0,0,1]
	v_pk_fma_f32 v[32:33], v[50:51], v[28:29], v[32:33] op_sel:[0,0,1] op_sel_hi:[1,0,0]
	ds_load_2addr_b64 v[48:51], v134 offset0:48 offset1:49
	v_mov_b32_e32 v43, v33
	s_delay_alu instid0(VALU_DEP_1) | instskip(SKIP_2) | instid1(VALU_DEP_1)
	v_pk_add_f32 v[198:199], v[198:199], v[42:43] neg_lo:[0,1] neg_hi:[0,1]
	s_wait_dscnt 0x0
	v_dual_mul_f32 v42, v49, v28 :: v_dual_mul_f32 v32, v49, v31
	v_pk_fma_f32 v[42:43], v[48:49], v[126:127], v[42:43] op_sel:[1,0,0] op_sel_hi:[0,1,0]
	s_delay_alu instid0(VALU_DEP_2) | instskip(NEXT) | instid1(VALU_DEP_2)
	v_pk_fma_f32 v[32:33], v[48:49], v[126:127], v[32:33] op_sel_hi:[1,1,0] neg_lo:[0,0,1] neg_hi:[0,0,1]
	v_mov_b32_e32 v33, v43
	s_delay_alu instid0(VALU_DEP_1) | instskip(SKIP_1) | instid1(VALU_DEP_1)
	v_pk_add_f32 v[204:205], v[204:205], v[32:33] neg_lo:[0,1] neg_hi:[0,1]
	v_pk_mul_f32 v[32:33], v[50:51], v[30:31] op_sel:[0,1]
	v_pk_fma_f32 v[42:43], v[50:51], v[28:29], v[32:33] op_sel:[0,0,1] op_sel_hi:[1,1,0] neg_lo:[0,0,1] neg_hi:[0,0,1]
	v_pk_fma_f32 v[32:33], v[50:51], v[28:29], v[32:33] op_sel:[0,0,1] op_sel_hi:[1,0,0]
	ds_load_2addr_b64 v[48:51], v134 offset0:50 offset1:51
	v_mov_b32_e32 v43, v33
	s_delay_alu instid0(VALU_DEP_1) | instskip(SKIP_2) | instid1(VALU_DEP_1)
	v_pk_add_f32 v[196:197], v[196:197], v[42:43] neg_lo:[0,1] neg_hi:[0,1]
	s_wait_dscnt 0x0
	v_pk_mul_f32 v[32:33], v[48:49], v[30:31] op_sel:[0,1]
	v_pk_fma_f32 v[42:43], v[48:49], v[28:29], v[32:33] op_sel:[0,0,1] op_sel_hi:[1,1,0] neg_lo:[0,0,1] neg_hi:[0,0,1]
	v_pk_fma_f32 v[32:33], v[48:49], v[28:29], v[32:33] op_sel:[0,0,1] op_sel_hi:[1,0,0]
	s_delay_alu instid0(VALU_DEP_1) | instskip(SKIP_1) | instid1(VALU_DEP_2)
	v_mov_b32_e32 v43, v33
	v_pk_mul_f32 v[32:33], v[50:51], v[30:31] op_sel:[0,1]
	v_pk_add_f32 v[202:203], v[202:203], v[42:43] neg_lo:[0,1] neg_hi:[0,1]
	s_delay_alu instid0(VALU_DEP_2) | instskip(SKIP_1) | instid1(VALU_DEP_1)
	v_pk_fma_f32 v[42:43], v[50:51], v[28:29], v[32:33] op_sel:[0,0,1] op_sel_hi:[1,1,0] neg_lo:[0,0,1] neg_hi:[0,0,1]
	v_pk_fma_f32 v[32:33], v[50:51], v[28:29], v[32:33] op_sel:[0,0,1] op_sel_hi:[1,0,0]
	v_mov_b32_e32 v43, v33
	ds_load_b64 v[32:33], v134 offset:416
	v_pk_add_f32 v[210:211], v[210:211], v[42:43] neg_lo:[0,1] neg_hi:[0,1]
	s_wait_dscnt 0x0
	v_pk_mul_f32 v[30:31], v[32:33], v[30:31] op_sel:[0,1]
	s_delay_alu instid0(VALU_DEP_1) | instskip(SKIP_1) | instid1(VALU_DEP_1)
	v_pk_fma_f32 v[42:43], v[32:33], v[28:29], v[30:31] op_sel:[0,0,1] op_sel_hi:[1,1,0] neg_lo:[0,0,1] neg_hi:[0,0,1]
	v_pk_fma_f32 v[28:29], v[32:33], v[28:29], v[30:31] op_sel:[0,0,1] op_sel_hi:[1,0,0]
	v_mov_b32_e32 v43, v29
	s_delay_alu instid0(VALU_DEP_1)
	v_pk_add_f32 v[212:213], v[212:213], v[42:43] neg_lo:[0,1] neg_hi:[0,1]
.LBB105_271:
	s_or_b32 exec_lo, exec_lo, s1
	s_delay_alu instid0(SALU_CYCLE_1)
	s_mov_b32 s2, exec_lo
	s_wait_dscnt 0x0
	s_barrier_signal -1
	s_barrier_wait -1
	v_cmpx_eq_u32_e32 30, v132
	s_cbranch_execz .LBB105_278
; %bb.272:
	ds_store_b64 v133, v[128:129]
	ds_store_2addr_b64 v134, v[124:125], v[146:147] offset0:31 offset1:32
	ds_store_2addr_b64 v134, v[142:143], v[144:145] offset0:33 offset1:34
	ds_store_2addr_b64 v134, v[140:141], v[162:163] offset0:35 offset1:36
	ds_store_2addr_b64 v134, v[158:159], v[160:161] offset0:37 offset1:38
	ds_store_2addr_b64 v134, v[156:157], v[184:185] offset0:39 offset1:40
	ds_store_2addr_b64 v134, v[180:181], v[182:183] offset0:41 offset1:42
	ds_store_2addr_b64 v134, v[178:179], v[208:209] offset0:43 offset1:44
	ds_store_2addr_b64 v134, v[200:201], v[206:207] offset0:45 offset1:46
	ds_store_2addr_b64 v134, v[198:199], v[204:205] offset0:47 offset1:48
	ds_store_2addr_b64 v134, v[196:197], v[202:203] offset0:49 offset1:50
	ds_store_2addr_b64 v134, v[210:211], v[212:213] offset0:51 offset1:52
	ds_load_b64 v[28:29], v133
	s_wait_dscnt 0x0
	v_cmp_neq_f32_e32 vcc_lo, 0, v28
	v_cmp_neq_f32_e64 s1, 0, v29
	s_or_b32 s1, vcc_lo, s1
	s_delay_alu instid0(SALU_CYCLE_1)
	s_and_b32 exec_lo, exec_lo, s1
	s_cbranch_execz .LBB105_278
; %bb.273:
	v_cmp_ngt_f32_e64 s1, |v28|, |v29|
                                        ; implicit-def: $vgpr30_vgpr31
	s_and_saveexec_b32 s4, s1
	s_delay_alu instid0(SALU_CYCLE_1)
	s_xor_b32 s1, exec_lo, s4
	s_cbranch_execz .LBB105_275
; %bb.274:
	v_div_scale_f32 v30, null, v29, v29, v28
	v_div_scale_f32 v33, vcc_lo, v28, v29, v28
	s_delay_alu instid0(VALU_DEP_2) | instskip(SKIP_1) | instid1(TRANS32_DEP_1)
	v_rcp_f32_e32 v31, v30
	v_nop
	v_fma_f32 v32, -v30, v31, 1.0
	s_delay_alu instid0(VALU_DEP_1) | instskip(NEXT) | instid1(VALU_DEP_1)
	v_fmac_f32_e32 v31, v32, v31
	v_mul_f32_e32 v32, v33, v31
	s_delay_alu instid0(VALU_DEP_1) | instskip(NEXT) | instid1(VALU_DEP_1)
	v_fma_f32 v42, -v30, v32, v33
	v_fmac_f32_e32 v32, v42, v31
	s_delay_alu instid0(VALU_DEP_1) | instskip(NEXT) | instid1(VALU_DEP_1)
	v_fma_f32 v30, -v30, v32, v33
	v_div_fmas_f32 v30, v30, v31, v32
	s_delay_alu instid0(VALU_DEP_1) | instskip(NEXT) | instid1(VALU_DEP_1)
	v_div_fixup_f32 v30, v30, v29, v28
	v_fmac_f32_e32 v29, v28, v30
	s_delay_alu instid0(VALU_DEP_1) | instskip(SKIP_1) | instid1(VALU_DEP_2)
	v_div_scale_f32 v28, null, v29, v29, 1.0
	v_div_scale_f32 v33, vcc_lo, 1.0, v29, 1.0
	v_rcp_f32_e32 v31, v28
	v_nop
	s_delay_alu instid0(TRANS32_DEP_1) | instskip(NEXT) | instid1(VALU_DEP_1)
	v_fma_f32 v32, -v28, v31, 1.0
	v_fmac_f32_e32 v31, v32, v31
	s_delay_alu instid0(VALU_DEP_1) | instskip(NEXT) | instid1(VALU_DEP_1)
	v_mul_f32_e32 v32, v33, v31
	v_fma_f32 v42, -v28, v32, v33
	s_delay_alu instid0(VALU_DEP_1) | instskip(NEXT) | instid1(VALU_DEP_1)
	v_fmac_f32_e32 v32, v42, v31
	v_fma_f32 v28, -v28, v32, v33
	s_delay_alu instid0(VALU_DEP_1) | instskip(NEXT) | instid1(VALU_DEP_1)
	v_div_fmas_f32 v28, v28, v31, v32
	v_div_fixup_f32 v28, v28, v29, 1.0
	s_delay_alu instid0(VALU_DEP_1)
	v_mul_f32_e32 v30, v30, v28
	v_xor_b32_e32 v31, 0x80000000, v28
                                        ; implicit-def: $vgpr28_vgpr29
.LBB105_275:
	s_and_not1_saveexec_b32 s1, s1
	s_cbranch_execz .LBB105_277
; %bb.276:
	v_div_scale_f32 v30, null, v28, v28, v29
	v_div_scale_f32 v33, vcc_lo, v29, v28, v29
	s_delay_alu instid0(VALU_DEP_2) | instskip(SKIP_1) | instid1(TRANS32_DEP_1)
	v_rcp_f32_e32 v31, v30
	v_nop
	v_fma_f32 v32, -v30, v31, 1.0
	s_delay_alu instid0(VALU_DEP_1) | instskip(NEXT) | instid1(VALU_DEP_1)
	v_fmac_f32_e32 v31, v32, v31
	v_mul_f32_e32 v32, v33, v31
	s_delay_alu instid0(VALU_DEP_1) | instskip(NEXT) | instid1(VALU_DEP_1)
	v_fma_f32 v42, -v30, v32, v33
	v_fmac_f32_e32 v32, v42, v31
	s_delay_alu instid0(VALU_DEP_1) | instskip(NEXT) | instid1(VALU_DEP_1)
	v_fma_f32 v30, -v30, v32, v33
	v_div_fmas_f32 v30, v30, v31, v32
	s_delay_alu instid0(VALU_DEP_1) | instskip(NEXT) | instid1(VALU_DEP_1)
	v_div_fixup_f32 v31, v30, v28, v29
	v_fmac_f32_e32 v28, v29, v31
	s_delay_alu instid0(VALU_DEP_1) | instskip(NEXT) | instid1(VALU_DEP_1)
	v_div_scale_f32 v29, null, v28, v28, 1.0
	v_rcp_f32_e32 v30, v29
	v_nop
	s_delay_alu instid0(TRANS32_DEP_1) | instskip(NEXT) | instid1(VALU_DEP_1)
	v_fma_f32 v32, -v29, v30, 1.0
	v_fmac_f32_e32 v30, v32, v30
	v_div_scale_f32 v32, vcc_lo, 1.0, v28, 1.0
	s_delay_alu instid0(VALU_DEP_1) | instskip(NEXT) | instid1(VALU_DEP_1)
	v_mul_f32_e32 v33, v32, v30
	v_fma_f32 v42, -v29, v33, v32
	s_delay_alu instid0(VALU_DEP_1) | instskip(NEXT) | instid1(VALU_DEP_1)
	v_fmac_f32_e32 v33, v42, v30
	v_fma_f32 v29, -v29, v33, v32
	s_delay_alu instid0(VALU_DEP_1) | instskip(NEXT) | instid1(VALU_DEP_1)
	v_div_fmas_f32 v29, v29, v30, v33
	v_div_fixup_f32 v30, v29, v28, 1.0
	s_delay_alu instid0(VALU_DEP_1)
	v_mul_f32_e64 v31, v31, -v30
.LBB105_277:
	s_or_b32 exec_lo, exec_lo, s1
	ds_store_b64 v133, v[30:31]
.LBB105_278:
	s_or_b32 exec_lo, exec_lo, s2
	s_wait_dscnt 0x0
	s_barrier_signal -1
	s_barrier_wait -1
	ds_load_b64 v[28:29], v133
	s_mov_b32 s1, exec_lo
	v_cmpx_lt_u32_e32 30, v132
	s_cbranch_execz .LBB105_280
; %bb.279:
	ds_load_2addr_b64 v[48:51], v134 offset0:31 offset1:32
	s_wait_dscnt 0x1
	v_pk_mul_f32 v[32:33], v[28:29], v[128:129] op_sel:[1,1] op_sel_hi:[0,1]
	s_delay_alu instid0(VALU_DEP_1) | instskip(SKIP_1) | instid1(VALU_DEP_1)
	v_pk_fma_f32 v[30:31], v[28:29], v[128:129], v[32:33] op_sel_hi:[1,0,1] neg_lo:[0,0,1] neg_hi:[0,0,1]
	v_pk_fma_f32 v[32:33], v[28:29], v[128:129], v[32:33] op_sel_hi:[1,0,1]
	v_dual_mov_b32 v128, v30 :: v_dual_mov_b32 v129, v33
	s_wait_dscnt 0x0
	s_delay_alu instid0(VALU_DEP_2) | instskip(NEXT) | instid1(VALU_DEP_1)
	v_pk_mul_f32 v[42:43], v[48:49], v[32:33] op_sel:[0,1]
	v_pk_fma_f32 v[52:53], v[48:49], v[30:31], v[42:43] op_sel:[0,0,1] op_sel_hi:[1,1,0] neg_lo:[0,0,1] neg_hi:[0,0,1]
	v_pk_fma_f32 v[42:43], v[48:49], v[30:31], v[42:43] op_sel:[0,0,1] op_sel_hi:[1,0,0]
	s_delay_alu instid0(VALU_DEP_1) | instskip(SKIP_1) | instid1(VALU_DEP_1)
	v_mov_b32_e32 v53, v43
	v_pk_mul_f32 v[42:43], v[50:51], v[32:33] op_sel:[0,1]
	v_pk_fma_f32 v[48:49], v[50:51], v[30:31], v[42:43] op_sel:[0,0,1] op_sel_hi:[1,1,0] neg_lo:[0,0,1] neg_hi:[0,0,1]
	v_pk_fma_f32 v[42:43], v[50:51], v[30:31], v[42:43] op_sel:[0,0,1] op_sel_hi:[1,0,0]
	s_delay_alu instid0(VALU_DEP_1) | instskip(SKIP_1) | instid1(VALU_DEP_2)
	v_mov_b32_e32 v49, v43
	v_pk_add_f32 v[124:125], v[124:125], v[52:53] neg_lo:[0,1] neg_hi:[0,1]
	v_pk_add_f32 v[146:147], v[146:147], v[48:49] neg_lo:[0,1] neg_hi:[0,1]
	ds_load_2addr_b64 v[48:51], v134 offset0:33 offset1:34
	s_wait_dscnt 0x0
	v_pk_mul_f32 v[42:43], v[48:49], v[32:33] op_sel:[0,1]
	s_delay_alu instid0(VALU_DEP_1) | instskip(SKIP_2) | instid1(VALU_DEP_2)
	v_pk_fma_f32 v[52:53], v[48:49], v[30:31], v[42:43] op_sel:[0,0,1] op_sel_hi:[1,1,0] neg_lo:[0,0,1] neg_hi:[0,0,1]
	v_pk_fma_f32 v[42:43], v[48:49], v[30:31], v[42:43] op_sel:[0,0,1] op_sel_hi:[1,0,0]
	v_dual_mul_f32 v48, v51, v33 :: v_dual_mov_b32 v42, v51
	v_dual_mov_b32 v53, v43 :: v_dual_mov_b32 v43, v50
	s_delay_alu instid0(VALU_DEP_2) | instskip(SKIP_1) | instid1(VALU_DEP_3)
	v_pk_fma_f32 v[48:49], v[50:51], v[128:129], v[48:49] op_sel_hi:[1,1,0] neg_lo:[0,0,1] neg_hi:[0,0,1]
	v_mul_f32_e32 v50, v51, v30
	v_pk_add_f32 v[142:143], v[142:143], v[52:53] neg_lo:[0,1] neg_hi:[0,1]
	s_delay_alu instid0(VALU_DEP_2) | instskip(NEXT) | instid1(VALU_DEP_1)
	v_pk_fma_f32 v[42:43], v[42:43], v[128:129], v[50:51] op_sel_hi:[1,1,0]
	v_mov_b32_e32 v49, v43
	s_delay_alu instid0(VALU_DEP_1) | instskip(SKIP_3) | instid1(VALU_DEP_1)
	v_pk_add_f32 v[144:145], v[144:145], v[48:49] neg_lo:[0,1] neg_hi:[0,1]
	ds_load_2addr_b64 v[48:51], v134 offset0:35 offset1:36
	s_wait_dscnt 0x0
	v_pk_mul_f32 v[42:43], v[48:49], v[32:33] op_sel:[0,1]
	v_pk_fma_f32 v[52:53], v[48:49], v[30:31], v[42:43] op_sel:[0,0,1] op_sel_hi:[1,1,0] neg_lo:[0,0,1] neg_hi:[0,0,1]
	v_pk_fma_f32 v[42:43], v[48:49], v[30:31], v[42:43] op_sel:[0,0,1] op_sel_hi:[1,0,0]
	s_delay_alu instid0(VALU_DEP_1) | instskip(SKIP_1) | instid1(VALU_DEP_2)
	v_mov_b32_e32 v53, v43
	v_pk_mul_f32 v[42:43], v[50:51], v[32:33] op_sel:[0,1]
	v_pk_add_f32 v[140:141], v[140:141], v[52:53] neg_lo:[0,1] neg_hi:[0,1]
	s_delay_alu instid0(VALU_DEP_2) | instskip(SKIP_1) | instid1(VALU_DEP_1)
	v_pk_fma_f32 v[48:49], v[50:51], v[30:31], v[42:43] op_sel:[0,0,1] op_sel_hi:[1,1,0] neg_lo:[0,0,1] neg_hi:[0,0,1]
	v_pk_fma_f32 v[42:43], v[50:51], v[30:31], v[42:43] op_sel:[0,0,1] op_sel_hi:[1,0,0]
	v_mov_b32_e32 v49, v43
	s_delay_alu instid0(VALU_DEP_1) | instskip(SKIP_3) | instid1(VALU_DEP_1)
	v_pk_add_f32 v[162:163], v[162:163], v[48:49] neg_lo:[0,1] neg_hi:[0,1]
	ds_load_2addr_b64 v[48:51], v134 offset0:37 offset1:38
	s_wait_dscnt 0x0
	v_pk_mul_f32 v[42:43], v[48:49], v[32:33] op_sel:[0,1]
	v_pk_fma_f32 v[52:53], v[48:49], v[30:31], v[42:43] op_sel:[0,0,1] op_sel_hi:[1,1,0] neg_lo:[0,0,1] neg_hi:[0,0,1]
	v_pk_fma_f32 v[42:43], v[48:49], v[30:31], v[42:43] op_sel:[0,0,1] op_sel_hi:[1,0,0]
	s_delay_alu instid0(VALU_DEP_1) | instskip(SKIP_1) | instid1(VALU_DEP_2)
	v_mov_b32_e32 v53, v43
	v_pk_mul_f32 v[42:43], v[50:51], v[32:33] op_sel:[0,1]
	v_pk_add_f32 v[158:159], v[158:159], v[52:53] neg_lo:[0,1] neg_hi:[0,1]
	s_delay_alu instid0(VALU_DEP_2) | instskip(SKIP_1) | instid1(VALU_DEP_1)
	v_pk_fma_f32 v[48:49], v[50:51], v[30:31], v[42:43] op_sel:[0,0,1] op_sel_hi:[1,1,0] neg_lo:[0,0,1] neg_hi:[0,0,1]
	v_pk_fma_f32 v[42:43], v[50:51], v[30:31], v[42:43] op_sel:[0,0,1] op_sel_hi:[1,0,0]
	v_mov_b32_e32 v49, v43
	s_delay_alu instid0(VALU_DEP_1) | instskip(SKIP_3) | instid1(VALU_DEP_1)
	v_pk_add_f32 v[160:161], v[160:161], v[48:49] neg_lo:[0,1] neg_hi:[0,1]
	ds_load_2addr_b64 v[48:51], v134 offset0:39 offset1:40
	s_wait_dscnt 0x0
	v_dual_mul_f32 v42, v49, v33 :: v_dual_mul_f32 v52, v49, v30
	v_pk_fma_f32 v[42:43], v[48:49], v[128:129], v[42:43] op_sel_hi:[1,1,0] neg_lo:[0,0,1] neg_hi:[0,0,1]
	s_delay_alu instid0(VALU_DEP_2) | instskip(NEXT) | instid1(VALU_DEP_1)
	v_pk_fma_f32 v[48:49], v[48:49], v[128:129], v[52:53] op_sel:[1,0,0] op_sel_hi:[0,1,0]
	v_mov_b32_e32 v43, v49
	s_delay_alu instid0(VALU_DEP_1) | instskip(SKIP_1) | instid1(VALU_DEP_1)
	v_pk_add_f32 v[156:157], v[156:157], v[42:43] neg_lo:[0,1] neg_hi:[0,1]
	v_pk_mul_f32 v[42:43], v[50:51], v[32:33] op_sel:[0,1]
	v_pk_fma_f32 v[48:49], v[50:51], v[30:31], v[42:43] op_sel:[0,0,1] op_sel_hi:[1,1,0] neg_lo:[0,0,1] neg_hi:[0,0,1]
	v_pk_fma_f32 v[42:43], v[50:51], v[30:31], v[42:43] op_sel:[0,0,1] op_sel_hi:[1,0,0]
	s_delay_alu instid0(VALU_DEP_1) | instskip(NEXT) | instid1(VALU_DEP_1)
	v_mov_b32_e32 v49, v43
	v_pk_add_f32 v[184:185], v[184:185], v[48:49] neg_lo:[0,1] neg_hi:[0,1]
	ds_load_2addr_b64 v[48:51], v134 offset0:41 offset1:42
	s_wait_dscnt 0x0
	v_pk_mul_f32 v[42:43], v[48:49], v[32:33] op_sel:[0,1]
	s_delay_alu instid0(VALU_DEP_1) | instskip(SKIP_1) | instid1(VALU_DEP_1)
	v_pk_fma_f32 v[52:53], v[48:49], v[30:31], v[42:43] op_sel:[0,0,1] op_sel_hi:[1,1,0] neg_lo:[0,0,1] neg_hi:[0,0,1]
	v_pk_fma_f32 v[42:43], v[48:49], v[30:31], v[42:43] op_sel:[0,0,1] op_sel_hi:[1,0,0]
	v_mov_b32_e32 v53, v43
	v_pk_mul_f32 v[42:43], v[50:51], v[32:33] op_sel:[0,1]
	s_delay_alu instid0(VALU_DEP_2) | instskip(NEXT) | instid1(VALU_DEP_2)
	v_pk_add_f32 v[180:181], v[180:181], v[52:53] neg_lo:[0,1] neg_hi:[0,1]
	v_pk_fma_f32 v[48:49], v[50:51], v[30:31], v[42:43] op_sel:[0,0,1] op_sel_hi:[1,1,0] neg_lo:[0,0,1] neg_hi:[0,0,1]
	v_pk_fma_f32 v[42:43], v[50:51], v[30:31], v[42:43] op_sel:[0,0,1] op_sel_hi:[1,0,0]
	s_delay_alu instid0(VALU_DEP_1) | instskip(NEXT) | instid1(VALU_DEP_1)
	v_mov_b32_e32 v49, v43
	v_pk_add_f32 v[182:183], v[182:183], v[48:49] neg_lo:[0,1] neg_hi:[0,1]
	ds_load_2addr_b64 v[48:51], v134 offset0:43 offset1:44
	s_wait_dscnt 0x0
	v_pk_mul_f32 v[42:43], v[48:49], v[32:33] op_sel:[0,1]
	s_delay_alu instid0(VALU_DEP_1) | instskip(SKIP_2) | instid1(VALU_DEP_2)
	v_pk_fma_f32 v[52:53], v[48:49], v[30:31], v[42:43] op_sel:[0,0,1] op_sel_hi:[1,1,0] neg_lo:[0,0,1] neg_hi:[0,0,1]
	v_pk_fma_f32 v[42:43], v[48:49], v[30:31], v[42:43] op_sel:[0,0,1] op_sel_hi:[1,0,0]
	v_dual_mul_f32 v48, v51, v33 :: v_dual_mov_b32 v42, v51
	v_dual_mov_b32 v53, v43 :: v_dual_mov_b32 v43, v50
	s_delay_alu instid0(VALU_DEP_2) | instskip(SKIP_1) | instid1(VALU_DEP_3)
	v_pk_fma_f32 v[48:49], v[50:51], v[128:129], v[48:49] op_sel_hi:[1,1,0] neg_lo:[0,0,1] neg_hi:[0,0,1]
	v_mul_f32_e32 v50, v51, v30
	v_pk_add_f32 v[178:179], v[178:179], v[52:53] neg_lo:[0,1] neg_hi:[0,1]
	s_delay_alu instid0(VALU_DEP_2) | instskip(NEXT) | instid1(VALU_DEP_1)
	v_pk_fma_f32 v[42:43], v[42:43], v[128:129], v[50:51] op_sel_hi:[1,1,0]
	v_mov_b32_e32 v49, v43
	s_delay_alu instid0(VALU_DEP_1) | instskip(SKIP_3) | instid1(VALU_DEP_1)
	v_pk_add_f32 v[208:209], v[208:209], v[48:49] neg_lo:[0,1] neg_hi:[0,1]
	ds_load_2addr_b64 v[48:51], v134 offset0:45 offset1:46
	s_wait_dscnt 0x0
	v_pk_mul_f32 v[42:43], v[48:49], v[32:33] op_sel:[0,1]
	v_pk_fma_f32 v[52:53], v[48:49], v[30:31], v[42:43] op_sel:[0,0,1] op_sel_hi:[1,1,0] neg_lo:[0,0,1] neg_hi:[0,0,1]
	v_pk_fma_f32 v[42:43], v[48:49], v[30:31], v[42:43] op_sel:[0,0,1] op_sel_hi:[1,0,0]
	s_delay_alu instid0(VALU_DEP_1) | instskip(SKIP_1) | instid1(VALU_DEP_2)
	v_mov_b32_e32 v53, v43
	v_pk_mul_f32 v[42:43], v[50:51], v[32:33] op_sel:[0,1]
	v_pk_add_f32 v[200:201], v[200:201], v[52:53] neg_lo:[0,1] neg_hi:[0,1]
	s_delay_alu instid0(VALU_DEP_2) | instskip(SKIP_1) | instid1(VALU_DEP_1)
	v_pk_fma_f32 v[48:49], v[50:51], v[30:31], v[42:43] op_sel:[0,0,1] op_sel_hi:[1,1,0] neg_lo:[0,0,1] neg_hi:[0,0,1]
	v_pk_fma_f32 v[42:43], v[50:51], v[30:31], v[42:43] op_sel:[0,0,1] op_sel_hi:[1,0,0]
	v_mov_b32_e32 v49, v43
	s_delay_alu instid0(VALU_DEP_1) | instskip(SKIP_3) | instid1(VALU_DEP_1)
	v_pk_add_f32 v[206:207], v[206:207], v[48:49] neg_lo:[0,1] neg_hi:[0,1]
	ds_load_2addr_b64 v[48:51], v134 offset0:47 offset1:48
	s_wait_dscnt 0x0
	v_pk_mul_f32 v[42:43], v[48:49], v[32:33] op_sel:[0,1]
	v_pk_fma_f32 v[52:53], v[48:49], v[30:31], v[42:43] op_sel:[0,0,1] op_sel_hi:[1,1,0] neg_lo:[0,0,1] neg_hi:[0,0,1]
	v_pk_fma_f32 v[42:43], v[48:49], v[30:31], v[42:43] op_sel:[0,0,1] op_sel_hi:[1,0,0]
	s_delay_alu instid0(VALU_DEP_1) | instskip(SKIP_1) | instid1(VALU_DEP_2)
	v_mov_b32_e32 v53, v43
	v_pk_mul_f32 v[42:43], v[50:51], v[32:33] op_sel:[0,1]
	v_pk_add_f32 v[198:199], v[198:199], v[52:53] neg_lo:[0,1] neg_hi:[0,1]
	s_delay_alu instid0(VALU_DEP_2) | instskip(SKIP_1) | instid1(VALU_DEP_1)
	v_pk_fma_f32 v[48:49], v[50:51], v[30:31], v[42:43] op_sel:[0,0,1] op_sel_hi:[1,1,0] neg_lo:[0,0,1] neg_hi:[0,0,1]
	v_pk_fma_f32 v[42:43], v[50:51], v[30:31], v[42:43] op_sel:[0,0,1] op_sel_hi:[1,0,0]
	v_mov_b32_e32 v49, v43
	s_delay_alu instid0(VALU_DEP_1) | instskip(SKIP_3) | instid1(VALU_DEP_1)
	v_pk_add_f32 v[204:205], v[204:205], v[48:49] neg_lo:[0,1] neg_hi:[0,1]
	ds_load_2addr_b64 v[48:51], v134 offset0:49 offset1:50
	s_wait_dscnt 0x0
	v_dual_mul_f32 v42, v49, v33 :: v_dual_mul_f32 v52, v49, v30
	v_pk_fma_f32 v[42:43], v[48:49], v[128:129], v[42:43] op_sel_hi:[1,1,0] neg_lo:[0,0,1] neg_hi:[0,0,1]
	s_delay_alu instid0(VALU_DEP_2) | instskip(NEXT) | instid1(VALU_DEP_1)
	v_pk_fma_f32 v[48:49], v[48:49], v[128:129], v[52:53] op_sel:[1,0,0] op_sel_hi:[0,1,0]
	v_mov_b32_e32 v43, v49
	s_delay_alu instid0(VALU_DEP_1) | instskip(SKIP_1) | instid1(VALU_DEP_1)
	v_pk_add_f32 v[196:197], v[196:197], v[42:43] neg_lo:[0,1] neg_hi:[0,1]
	v_pk_mul_f32 v[42:43], v[50:51], v[32:33] op_sel:[0,1]
	v_pk_fma_f32 v[48:49], v[50:51], v[30:31], v[42:43] op_sel:[0,0,1] op_sel_hi:[1,1,0] neg_lo:[0,0,1] neg_hi:[0,0,1]
	v_pk_fma_f32 v[42:43], v[50:51], v[30:31], v[42:43] op_sel:[0,0,1] op_sel_hi:[1,0,0]
	s_delay_alu instid0(VALU_DEP_1) | instskip(NEXT) | instid1(VALU_DEP_1)
	v_mov_b32_e32 v49, v43
	v_pk_add_f32 v[202:203], v[202:203], v[48:49] neg_lo:[0,1] neg_hi:[0,1]
	ds_load_2addr_b64 v[48:51], v134 offset0:51 offset1:52
	s_wait_dscnt 0x0
	v_pk_mul_f32 v[42:43], v[48:49], v[32:33] op_sel:[0,1]
	v_pk_mul_f32 v[32:33], v[50:51], v[32:33] op_sel:[0,1]
	s_delay_alu instid0(VALU_DEP_2) | instskip(SKIP_1) | instid1(VALU_DEP_1)
	v_pk_fma_f32 v[52:53], v[48:49], v[30:31], v[42:43] op_sel:[0,0,1] op_sel_hi:[1,1,0] neg_lo:[0,0,1] neg_hi:[0,0,1]
	v_pk_fma_f32 v[42:43], v[48:49], v[30:31], v[42:43] op_sel:[0,0,1] op_sel_hi:[1,0,0]
	v_mov_b32_e32 v53, v43
	s_delay_alu instid0(VALU_DEP_4) | instskip(SKIP_1) | instid1(VALU_DEP_3)
	v_pk_fma_f32 v[42:43], v[50:51], v[30:31], v[32:33] op_sel:[0,0,1] op_sel_hi:[1,1,0] neg_lo:[0,0,1] neg_hi:[0,0,1]
	v_pk_fma_f32 v[30:31], v[50:51], v[30:31], v[32:33] op_sel:[0,0,1] op_sel_hi:[1,0,0]
	v_pk_add_f32 v[210:211], v[210:211], v[52:53] neg_lo:[0,1] neg_hi:[0,1]
	s_delay_alu instid0(VALU_DEP_2) | instskip(NEXT) | instid1(VALU_DEP_1)
	v_mov_b32_e32 v43, v31
	v_pk_add_f32 v[212:213], v[212:213], v[42:43] neg_lo:[0,1] neg_hi:[0,1]
.LBB105_280:
	s_or_b32 exec_lo, exec_lo, s1
	s_delay_alu instid0(SALU_CYCLE_1)
	s_mov_b32 s2, exec_lo
	s_wait_dscnt 0x0
	s_barrier_signal -1
	s_barrier_wait -1
	v_cmpx_eq_u32_e32 31, v132
	s_cbranch_execz .LBB105_287
; %bb.281:
	v_dual_mov_b32 v30, v146 :: v_dual_mov_b32 v31, v147
	v_dual_mov_b32 v32, v142 :: v_dual_mov_b32 v33, v143
	ds_store_b64 v133, v[124:125]
	ds_store_2addr_b64 v134, v[30:31], v[32:33] offset0:32 offset1:33
	v_dual_mov_b32 v30, v144 :: v_dual_mov_b32 v31, v145
	v_dual_mov_b32 v32, v140 :: v_dual_mov_b32 v33, v141
	ds_store_2addr_b64 v134, v[30:31], v[32:33] offset0:34 offset1:35
	v_dual_mov_b32 v30, v162 :: v_dual_mov_b32 v31, v163
	v_dual_mov_b32 v32, v158 :: v_dual_mov_b32 v33, v159
	;; [unrolled: 3-line block ×9, first 2 shown]
	ds_store_2addr_b64 v134, v[30:31], v[32:33] offset0:50 offset1:51
	ds_store_b64 v134, v[212:213] offset:416
	ds_load_b64 v[30:31], v133
	s_wait_dscnt 0x0
	v_cmp_neq_f32_e32 vcc_lo, 0, v30
	v_cmp_neq_f32_e64 s1, 0, v31
	s_or_b32 s1, vcc_lo, s1
	s_delay_alu instid0(SALU_CYCLE_1)
	s_and_b32 exec_lo, exec_lo, s1
	s_cbranch_execz .LBB105_287
; %bb.282:
	v_cmp_ngt_f32_e64 s1, |v30|, |v31|
                                        ; implicit-def: $vgpr32_vgpr33
	s_and_saveexec_b32 s4, s1
	s_delay_alu instid0(SALU_CYCLE_1)
	s_xor_b32 s1, exec_lo, s4
	s_cbranch_execz .LBB105_284
; %bb.283:
	v_div_scale_f32 v32, null, v31, v31, v30
	v_div_scale_f32 v43, vcc_lo, v30, v31, v30
	s_delay_alu instid0(VALU_DEP_2) | instskip(SKIP_1) | instid1(TRANS32_DEP_1)
	v_rcp_f32_e32 v33, v32
	v_nop
	v_fma_f32 v42, -v32, v33, 1.0
	s_delay_alu instid0(VALU_DEP_1) | instskip(NEXT) | instid1(VALU_DEP_1)
	v_fmac_f32_e32 v33, v42, v33
	v_mul_f32_e32 v42, v43, v33
	s_delay_alu instid0(VALU_DEP_1) | instskip(NEXT) | instid1(VALU_DEP_1)
	v_fma_f32 v48, -v32, v42, v43
	v_fmac_f32_e32 v42, v48, v33
	s_delay_alu instid0(VALU_DEP_1) | instskip(NEXT) | instid1(VALU_DEP_1)
	v_fma_f32 v32, -v32, v42, v43
	v_div_fmas_f32 v32, v32, v33, v42
	s_delay_alu instid0(VALU_DEP_1) | instskip(NEXT) | instid1(VALU_DEP_1)
	v_div_fixup_f32 v32, v32, v31, v30
	v_fmac_f32_e32 v31, v30, v32
	s_delay_alu instid0(VALU_DEP_1) | instskip(SKIP_1) | instid1(VALU_DEP_2)
	v_div_scale_f32 v30, null, v31, v31, 1.0
	v_div_scale_f32 v43, vcc_lo, 1.0, v31, 1.0
	v_rcp_f32_e32 v33, v30
	v_nop
	s_delay_alu instid0(TRANS32_DEP_1) | instskip(NEXT) | instid1(VALU_DEP_1)
	v_fma_f32 v42, -v30, v33, 1.0
	v_fmac_f32_e32 v33, v42, v33
	s_delay_alu instid0(VALU_DEP_1) | instskip(NEXT) | instid1(VALU_DEP_1)
	v_mul_f32_e32 v42, v43, v33
	v_fma_f32 v48, -v30, v42, v43
	s_delay_alu instid0(VALU_DEP_1) | instskip(NEXT) | instid1(VALU_DEP_1)
	v_fmac_f32_e32 v42, v48, v33
	v_fma_f32 v30, -v30, v42, v43
	s_delay_alu instid0(VALU_DEP_1) | instskip(NEXT) | instid1(VALU_DEP_1)
	v_div_fmas_f32 v30, v30, v33, v42
	v_div_fixup_f32 v30, v30, v31, 1.0
	s_delay_alu instid0(VALU_DEP_1)
	v_mul_f32_e32 v32, v32, v30
	v_xor_b32_e32 v33, 0x80000000, v30
                                        ; implicit-def: $vgpr30_vgpr31
.LBB105_284:
	s_and_not1_saveexec_b32 s1, s1
	s_cbranch_execz .LBB105_286
; %bb.285:
	v_div_scale_f32 v32, null, v30, v30, v31
	v_div_scale_f32 v43, vcc_lo, v31, v30, v31
	s_delay_alu instid0(VALU_DEP_2) | instskip(SKIP_1) | instid1(TRANS32_DEP_1)
	v_rcp_f32_e32 v33, v32
	v_nop
	v_fma_f32 v42, -v32, v33, 1.0
	s_delay_alu instid0(VALU_DEP_1) | instskip(NEXT) | instid1(VALU_DEP_1)
	v_fmac_f32_e32 v33, v42, v33
	v_mul_f32_e32 v42, v43, v33
	s_delay_alu instid0(VALU_DEP_1) | instskip(NEXT) | instid1(VALU_DEP_1)
	v_fma_f32 v48, -v32, v42, v43
	v_fmac_f32_e32 v42, v48, v33
	s_delay_alu instid0(VALU_DEP_1) | instskip(NEXT) | instid1(VALU_DEP_1)
	v_fma_f32 v32, -v32, v42, v43
	v_div_fmas_f32 v32, v32, v33, v42
	s_delay_alu instid0(VALU_DEP_1) | instskip(NEXT) | instid1(VALU_DEP_1)
	v_div_fixup_f32 v33, v32, v30, v31
	v_fmac_f32_e32 v30, v31, v33
	s_delay_alu instid0(VALU_DEP_1) | instskip(NEXT) | instid1(VALU_DEP_1)
	v_div_scale_f32 v31, null, v30, v30, 1.0
	v_rcp_f32_e32 v32, v31
	v_nop
	s_delay_alu instid0(TRANS32_DEP_1) | instskip(NEXT) | instid1(VALU_DEP_1)
	v_fma_f32 v42, -v31, v32, 1.0
	v_fmac_f32_e32 v32, v42, v32
	v_div_scale_f32 v42, vcc_lo, 1.0, v30, 1.0
	s_delay_alu instid0(VALU_DEP_1) | instskip(NEXT) | instid1(VALU_DEP_1)
	v_mul_f32_e32 v43, v42, v32
	v_fma_f32 v48, -v31, v43, v42
	s_delay_alu instid0(VALU_DEP_1) | instskip(NEXT) | instid1(VALU_DEP_1)
	v_fmac_f32_e32 v43, v48, v32
	v_fma_f32 v31, -v31, v43, v42
	s_delay_alu instid0(VALU_DEP_1) | instskip(NEXT) | instid1(VALU_DEP_1)
	v_div_fmas_f32 v31, v31, v32, v43
	v_div_fixup_f32 v32, v31, v30, 1.0
	s_delay_alu instid0(VALU_DEP_1)
	v_mul_f32_e64 v33, v33, -v32
.LBB105_286:
	s_or_b32 exec_lo, exec_lo, s1
	ds_store_b64 v133, v[32:33]
.LBB105_287:
	s_or_b32 exec_lo, exec_lo, s2
	s_wait_dscnt 0x0
	s_barrier_signal -1
	s_barrier_wait -1
	ds_load_b64 v[30:31], v133
	s_mov_b32 s1, exec_lo
	v_cmpx_lt_u32_e32 31, v132
	s_cbranch_execz .LBB105_289
; %bb.288:
	ds_load_2addr_b64 v[48:51], v134 offset0:32 offset1:33
	s_wait_dscnt 0x1
	v_pk_mul_f32 v[42:43], v[30:31], v[124:125] op_sel:[1,1] op_sel_hi:[0,1]
	s_delay_alu instid0(VALU_DEP_1) | instskip(SKIP_1) | instid1(VALU_DEP_1)
	v_pk_fma_f32 v[32:33], v[30:31], v[124:125], v[42:43] op_sel_hi:[1,0,1] neg_lo:[0,0,1] neg_hi:[0,0,1]
	v_pk_fma_f32 v[42:43], v[30:31], v[124:125], v[42:43] op_sel_hi:[1,0,1]
	v_dual_mov_b32 v124, v32 :: v_dual_mov_b32 v125, v43
	s_wait_dscnt 0x0
	s_delay_alu instid0(VALU_DEP_2) | instskip(NEXT) | instid1(VALU_DEP_1)
	v_pk_mul_f32 v[52:53], v[48:49], v[42:43] op_sel:[0,1]
	v_pk_fma_f32 v[66:67], v[48:49], v[32:33], v[52:53] op_sel:[0,0,1] op_sel_hi:[1,1,0] neg_lo:[0,0,1] neg_hi:[0,0,1]
	v_pk_fma_f32 v[48:49], v[48:49], v[32:33], v[52:53] op_sel:[0,0,1] op_sel_hi:[1,0,0]
	s_delay_alu instid0(VALU_DEP_1) | instskip(SKIP_1) | instid1(VALU_DEP_1)
	v_mov_b32_e32 v67, v49
	v_pk_mul_f32 v[48:49], v[50:51], v[42:43] op_sel:[0,1]
	v_pk_fma_f32 v[52:53], v[50:51], v[32:33], v[48:49] op_sel:[0,0,1] op_sel_hi:[1,1,0] neg_lo:[0,0,1] neg_hi:[0,0,1]
	v_pk_fma_f32 v[48:49], v[50:51], v[32:33], v[48:49] op_sel:[0,0,1] op_sel_hi:[1,0,0]
	s_delay_alu instid0(VALU_DEP_1)
	v_mov_b32_e32 v53, v49
	ds_load_2addr_b64 v[48:51], v134 offset0:34 offset1:35
	v_pk_add_f32 v[146:147], v[146:147], v[66:67] neg_lo:[0,1] neg_hi:[0,1]
	v_pk_add_f32 v[142:143], v[142:143], v[52:53] neg_lo:[0,1] neg_hi:[0,1]
	s_wait_dscnt 0x0
	v_pk_mul_f32 v[52:53], v[48:49], v[42:43] op_sel:[0,1]
	s_delay_alu instid0(VALU_DEP_1) | instskip(SKIP_2) | instid1(VALU_DEP_2)
	v_pk_fma_f32 v[66:67], v[48:49], v[32:33], v[52:53] op_sel:[0,0,1] op_sel_hi:[1,1,0] neg_lo:[0,0,1] neg_hi:[0,0,1]
	v_pk_fma_f32 v[48:49], v[48:49], v[32:33], v[52:53] op_sel:[0,0,1] op_sel_hi:[1,0,0]
	v_dual_mul_f32 v52, v51, v43 :: v_dual_mov_b32 v48, v51
	v_dual_mov_b32 v67, v49 :: v_dual_mov_b32 v49, v50
	s_delay_alu instid0(VALU_DEP_2) | instskip(SKIP_1) | instid1(VALU_DEP_3)
	v_pk_fma_f32 v[52:53], v[50:51], v[124:125], v[52:53] op_sel_hi:[1,1,0] neg_lo:[0,0,1] neg_hi:[0,0,1]
	v_mul_f32_e32 v50, v51, v32
	v_pk_add_f32 v[144:145], v[144:145], v[66:67] neg_lo:[0,1] neg_hi:[0,1]
	s_delay_alu instid0(VALU_DEP_2) | instskip(NEXT) | instid1(VALU_DEP_1)
	v_pk_fma_f32 v[48:49], v[48:49], v[124:125], v[50:51] op_sel_hi:[1,1,0]
	v_mov_b32_e32 v53, v49
	ds_load_2addr_b64 v[48:51], v134 offset0:36 offset1:37
	v_pk_add_f32 v[140:141], v[140:141], v[52:53] neg_lo:[0,1] neg_hi:[0,1]
	s_wait_dscnt 0x0
	v_pk_mul_f32 v[52:53], v[48:49], v[42:43] op_sel:[0,1]
	s_delay_alu instid0(VALU_DEP_1) | instskip(SKIP_1) | instid1(VALU_DEP_1)
	v_pk_fma_f32 v[66:67], v[48:49], v[32:33], v[52:53] op_sel:[0,0,1] op_sel_hi:[1,1,0] neg_lo:[0,0,1] neg_hi:[0,0,1]
	v_pk_fma_f32 v[48:49], v[48:49], v[32:33], v[52:53] op_sel:[0,0,1] op_sel_hi:[1,0,0]
	v_mov_b32_e32 v67, v49
	v_pk_mul_f32 v[48:49], v[50:51], v[42:43] op_sel:[0,1]
	s_delay_alu instid0(VALU_DEP_1) | instskip(SKIP_1) | instid1(VALU_DEP_1)
	v_pk_fma_f32 v[52:53], v[50:51], v[32:33], v[48:49] op_sel:[0,0,1] op_sel_hi:[1,1,0] neg_lo:[0,0,1] neg_hi:[0,0,1]
	v_pk_fma_f32 v[48:49], v[50:51], v[32:33], v[48:49] op_sel:[0,0,1] op_sel_hi:[1,0,0]
	v_mov_b32_e32 v53, v49
	ds_load_2addr_b64 v[48:51], v134 offset0:38 offset1:39
	v_pk_add_f32 v[162:163], v[162:163], v[66:67] neg_lo:[0,1] neg_hi:[0,1]
	v_pk_add_f32 v[158:159], v[158:159], v[52:53] neg_lo:[0,1] neg_hi:[0,1]
	s_wait_dscnt 0x0
	v_pk_mul_f32 v[52:53], v[48:49], v[42:43] op_sel:[0,1]
	s_delay_alu instid0(VALU_DEP_1) | instskip(SKIP_1) | instid1(VALU_DEP_1)
	v_pk_fma_f32 v[66:67], v[48:49], v[32:33], v[52:53] op_sel:[0,0,1] op_sel_hi:[1,1,0] neg_lo:[0,0,1] neg_hi:[0,0,1]
	v_pk_fma_f32 v[48:49], v[48:49], v[32:33], v[52:53] op_sel:[0,0,1] op_sel_hi:[1,0,0]
	v_mov_b32_e32 v67, v49
	v_pk_mul_f32 v[48:49], v[50:51], v[42:43] op_sel:[0,1]
	s_delay_alu instid0(VALU_DEP_1) | instskip(SKIP_1) | instid1(VALU_DEP_1)
	v_pk_fma_f32 v[52:53], v[50:51], v[32:33], v[48:49] op_sel:[0,0,1] op_sel_hi:[1,1,0] neg_lo:[0,0,1] neg_hi:[0,0,1]
	v_pk_fma_f32 v[48:49], v[50:51], v[32:33], v[48:49] op_sel:[0,0,1] op_sel_hi:[1,0,0]
	v_mov_b32_e32 v53, v49
	ds_load_2addr_b64 v[48:51], v134 offset0:40 offset1:41
	v_pk_add_f32 v[160:161], v[160:161], v[66:67] neg_lo:[0,1] neg_hi:[0,1]
	v_pk_add_f32 v[156:157], v[156:157], v[52:53] neg_lo:[0,1] neg_hi:[0,1]
	s_wait_dscnt 0x0
	v_dual_mul_f32 v52, v49, v43 :: v_dual_mul_f32 v66, v49, v32
	s_delay_alu instid0(VALU_DEP_1) | instskip(NEXT) | instid1(VALU_DEP_2)
	v_pk_fma_f32 v[52:53], v[48:49], v[124:125], v[52:53] op_sel_hi:[1,1,0] neg_lo:[0,0,1] neg_hi:[0,0,1]
	v_pk_fma_f32 v[48:49], v[48:49], v[124:125], v[66:67] op_sel:[1,0,0] op_sel_hi:[0,1,0]
	s_delay_alu instid0(VALU_DEP_1) | instskip(SKIP_1) | instid1(VALU_DEP_2)
	v_mov_b32_e32 v53, v49
	v_pk_mul_f32 v[48:49], v[50:51], v[42:43] op_sel:[0,1]
	v_pk_add_f32 v[184:185], v[184:185], v[52:53] neg_lo:[0,1] neg_hi:[0,1]
	s_delay_alu instid0(VALU_DEP_2) | instskip(SKIP_1) | instid1(VALU_DEP_1)
	v_pk_fma_f32 v[52:53], v[50:51], v[32:33], v[48:49] op_sel:[0,0,1] op_sel_hi:[1,1,0] neg_lo:[0,0,1] neg_hi:[0,0,1]
	v_pk_fma_f32 v[48:49], v[50:51], v[32:33], v[48:49] op_sel:[0,0,1] op_sel_hi:[1,0,0]
	v_mov_b32_e32 v53, v49
	ds_load_2addr_b64 v[48:51], v134 offset0:42 offset1:43
	v_pk_add_f32 v[180:181], v[180:181], v[52:53] neg_lo:[0,1] neg_hi:[0,1]
	s_wait_dscnt 0x0
	v_pk_mul_f32 v[52:53], v[48:49], v[42:43] op_sel:[0,1]
	s_delay_alu instid0(VALU_DEP_1) | instskip(SKIP_1) | instid1(VALU_DEP_1)
	v_pk_fma_f32 v[66:67], v[48:49], v[32:33], v[52:53] op_sel:[0,0,1] op_sel_hi:[1,1,0] neg_lo:[0,0,1] neg_hi:[0,0,1]
	v_pk_fma_f32 v[48:49], v[48:49], v[32:33], v[52:53] op_sel:[0,0,1] op_sel_hi:[1,0,0]
	v_mov_b32_e32 v67, v49
	v_pk_mul_f32 v[48:49], v[50:51], v[42:43] op_sel:[0,1]
	s_delay_alu instid0(VALU_DEP_2) | instskip(NEXT) | instid1(VALU_DEP_2)
	v_pk_add_f32 v[182:183], v[182:183], v[66:67] neg_lo:[0,1] neg_hi:[0,1]
	v_pk_fma_f32 v[52:53], v[50:51], v[32:33], v[48:49] op_sel:[0,0,1] op_sel_hi:[1,1,0] neg_lo:[0,0,1] neg_hi:[0,0,1]
	v_pk_fma_f32 v[48:49], v[50:51], v[32:33], v[48:49] op_sel:[0,0,1] op_sel_hi:[1,0,0]
	s_delay_alu instid0(VALU_DEP_1) | instskip(SKIP_4) | instid1(VALU_DEP_1)
	v_mov_b32_e32 v53, v49
	ds_load_2addr_b64 v[48:51], v134 offset0:44 offset1:45
	v_pk_add_f32 v[178:179], v[178:179], v[52:53] neg_lo:[0,1] neg_hi:[0,1]
	s_wait_dscnt 0x0
	v_pk_mul_f32 v[52:53], v[48:49], v[42:43] op_sel:[0,1]
	v_pk_fma_f32 v[66:67], v[48:49], v[32:33], v[52:53] op_sel:[0,0,1] op_sel_hi:[1,1,0] neg_lo:[0,0,1] neg_hi:[0,0,1]
	v_pk_fma_f32 v[48:49], v[48:49], v[32:33], v[52:53] op_sel:[0,0,1] op_sel_hi:[1,0,0]
	v_dual_mul_f32 v52, v51, v43 :: v_dual_mov_b32 v48, v51
	s_delay_alu instid0(VALU_DEP_2) | instskip(NEXT) | instid1(VALU_DEP_2)
	v_dual_mov_b32 v67, v49 :: v_dual_mov_b32 v49, v50
	v_pk_fma_f32 v[52:53], v[50:51], v[124:125], v[52:53] op_sel_hi:[1,1,0] neg_lo:[0,0,1] neg_hi:[0,0,1]
	v_mul_f32_e32 v50, v51, v32
	s_delay_alu instid0(VALU_DEP_3) | instskip(NEXT) | instid1(VALU_DEP_2)
	v_pk_add_f32 v[208:209], v[208:209], v[66:67] neg_lo:[0,1] neg_hi:[0,1]
	v_pk_fma_f32 v[48:49], v[48:49], v[124:125], v[50:51] op_sel_hi:[1,1,0]
	s_delay_alu instid0(VALU_DEP_1) | instskip(SKIP_4) | instid1(VALU_DEP_1)
	v_mov_b32_e32 v53, v49
	ds_load_2addr_b64 v[48:51], v134 offset0:46 offset1:47
	v_pk_add_f32 v[200:201], v[200:201], v[52:53] neg_lo:[0,1] neg_hi:[0,1]
	s_wait_dscnt 0x0
	v_pk_mul_f32 v[52:53], v[48:49], v[42:43] op_sel:[0,1]
	v_pk_fma_f32 v[66:67], v[48:49], v[32:33], v[52:53] op_sel:[0,0,1] op_sel_hi:[1,1,0] neg_lo:[0,0,1] neg_hi:[0,0,1]
	v_pk_fma_f32 v[48:49], v[48:49], v[32:33], v[52:53] op_sel:[0,0,1] op_sel_hi:[1,0,0]
	s_delay_alu instid0(VALU_DEP_1) | instskip(SKIP_1) | instid1(VALU_DEP_1)
	v_mov_b32_e32 v67, v49
	v_pk_mul_f32 v[48:49], v[50:51], v[42:43] op_sel:[0,1]
	v_pk_fma_f32 v[52:53], v[50:51], v[32:33], v[48:49] op_sel:[0,0,1] op_sel_hi:[1,1,0] neg_lo:[0,0,1] neg_hi:[0,0,1]
	v_pk_fma_f32 v[48:49], v[50:51], v[32:33], v[48:49] op_sel:[0,0,1] op_sel_hi:[1,0,0]
	s_delay_alu instid0(VALU_DEP_1)
	v_mov_b32_e32 v53, v49
	ds_load_2addr_b64 v[48:51], v134 offset0:48 offset1:49
	v_pk_add_f32 v[206:207], v[206:207], v[66:67] neg_lo:[0,1] neg_hi:[0,1]
	v_pk_add_f32 v[198:199], v[198:199], v[52:53] neg_lo:[0,1] neg_hi:[0,1]
	s_wait_dscnt 0x0
	v_pk_mul_f32 v[52:53], v[48:49], v[42:43] op_sel:[0,1]
	s_delay_alu instid0(VALU_DEP_1) | instskip(SKIP_1) | instid1(VALU_DEP_1)
	v_pk_fma_f32 v[66:67], v[48:49], v[32:33], v[52:53] op_sel:[0,0,1] op_sel_hi:[1,1,0] neg_lo:[0,0,1] neg_hi:[0,0,1]
	v_pk_fma_f32 v[48:49], v[48:49], v[32:33], v[52:53] op_sel:[0,0,1] op_sel_hi:[1,0,0]
	v_mov_b32_e32 v67, v49
	v_pk_mul_f32 v[48:49], v[50:51], v[42:43] op_sel:[0,1]
	s_delay_alu instid0(VALU_DEP_1) | instskip(SKIP_1) | instid1(VALU_DEP_1)
	v_pk_fma_f32 v[52:53], v[50:51], v[32:33], v[48:49] op_sel:[0,0,1] op_sel_hi:[1,1,0] neg_lo:[0,0,1] neg_hi:[0,0,1]
	v_pk_fma_f32 v[48:49], v[50:51], v[32:33], v[48:49] op_sel:[0,0,1] op_sel_hi:[1,0,0]
	v_mov_b32_e32 v53, v49
	ds_load_2addr_b64 v[48:51], v134 offset0:50 offset1:51
	v_pk_add_f32 v[204:205], v[204:205], v[66:67] neg_lo:[0,1] neg_hi:[0,1]
	v_pk_add_f32 v[196:197], v[196:197], v[52:53] neg_lo:[0,1] neg_hi:[0,1]
	s_wait_dscnt 0x0
	v_dual_mul_f32 v52, v49, v43 :: v_dual_mul_f32 v66, v49, v32
	s_delay_alu instid0(VALU_DEP_1) | instskip(NEXT) | instid1(VALU_DEP_2)
	v_pk_fma_f32 v[52:53], v[48:49], v[124:125], v[52:53] op_sel_hi:[1,1,0] neg_lo:[0,0,1] neg_hi:[0,0,1]
	v_pk_fma_f32 v[48:49], v[48:49], v[124:125], v[66:67] op_sel:[1,0,0] op_sel_hi:[0,1,0]
	s_delay_alu instid0(VALU_DEP_1) | instskip(SKIP_1) | instid1(VALU_DEP_2)
	v_mov_b32_e32 v53, v49
	v_pk_mul_f32 v[48:49], v[50:51], v[42:43] op_sel:[0,1]
	v_pk_add_f32 v[202:203], v[202:203], v[52:53] neg_lo:[0,1] neg_hi:[0,1]
	s_delay_alu instid0(VALU_DEP_2) | instskip(SKIP_1) | instid1(VALU_DEP_1)
	v_pk_fma_f32 v[52:53], v[50:51], v[32:33], v[48:49] op_sel:[0,0,1] op_sel_hi:[1,1,0] neg_lo:[0,0,1] neg_hi:[0,0,1]
	v_pk_fma_f32 v[48:49], v[50:51], v[32:33], v[48:49] op_sel:[0,0,1] op_sel_hi:[1,0,0]
	v_mov_b32_e32 v53, v49
	ds_load_b64 v[48:49], v134 offset:416
	v_pk_add_f32 v[210:211], v[210:211], v[52:53] neg_lo:[0,1] neg_hi:[0,1]
	s_wait_dscnt 0x0
	v_pk_mul_f32 v[42:43], v[48:49], v[42:43] op_sel:[0,1]
	s_delay_alu instid0(VALU_DEP_1) | instskip(SKIP_1) | instid1(VALU_DEP_1)
	v_pk_fma_f32 v[50:51], v[48:49], v[32:33], v[42:43] op_sel:[0,0,1] op_sel_hi:[1,1,0] neg_lo:[0,0,1] neg_hi:[0,0,1]
	v_pk_fma_f32 v[32:33], v[48:49], v[32:33], v[42:43] op_sel:[0,0,1] op_sel_hi:[1,0,0]
	v_mov_b32_e32 v51, v33
	s_delay_alu instid0(VALU_DEP_1)
	v_pk_add_f32 v[212:213], v[212:213], v[50:51] neg_lo:[0,1] neg_hi:[0,1]
.LBB105_289:
	s_or_b32 exec_lo, exec_lo, s1
	s_delay_alu instid0(SALU_CYCLE_1)
	s_mov_b32 s2, exec_lo
	s_wait_dscnt 0x0
	s_barrier_signal -1
	s_barrier_wait -1
	v_cmpx_eq_u32_e32 32, v132
	s_cbranch_execz .LBB105_296
; %bb.290:
	ds_store_b64 v133, v[146:147]
	ds_store_2addr_b64 v134, v[142:143], v[144:145] offset0:33 offset1:34
	ds_store_2addr_b64 v134, v[140:141], v[162:163] offset0:35 offset1:36
	;; [unrolled: 1-line block ×10, first 2 shown]
	ds_load_b64 v[32:33], v133
	s_wait_dscnt 0x0
	v_cmp_neq_f32_e32 vcc_lo, 0, v32
	v_cmp_neq_f32_e64 s1, 0, v33
	s_or_b32 s1, vcc_lo, s1
	s_delay_alu instid0(SALU_CYCLE_1)
	s_and_b32 exec_lo, exec_lo, s1
	s_cbranch_execz .LBB105_296
; %bb.291:
	v_cmp_ngt_f32_e64 s1, |v32|, |v33|
                                        ; implicit-def: $vgpr42_vgpr43
	s_and_saveexec_b32 s4, s1
	s_delay_alu instid0(SALU_CYCLE_1)
	s_xor_b32 s1, exec_lo, s4
	s_cbranch_execz .LBB105_293
; %bb.292:
	v_div_scale_f32 v42, null, v33, v33, v32
	v_div_scale_f32 v49, vcc_lo, v32, v33, v32
	s_delay_alu instid0(VALU_DEP_2) | instskip(SKIP_1) | instid1(TRANS32_DEP_1)
	v_rcp_f32_e32 v43, v42
	v_nop
	v_fma_f32 v48, -v42, v43, 1.0
	s_delay_alu instid0(VALU_DEP_1) | instskip(NEXT) | instid1(VALU_DEP_1)
	v_fmac_f32_e32 v43, v48, v43
	v_mul_f32_e32 v48, v49, v43
	s_delay_alu instid0(VALU_DEP_1) | instskip(NEXT) | instid1(VALU_DEP_1)
	v_fma_f32 v50, -v42, v48, v49
	v_fmac_f32_e32 v48, v50, v43
	s_delay_alu instid0(VALU_DEP_1) | instskip(NEXT) | instid1(VALU_DEP_1)
	v_fma_f32 v42, -v42, v48, v49
	v_div_fmas_f32 v42, v42, v43, v48
	s_delay_alu instid0(VALU_DEP_1) | instskip(NEXT) | instid1(VALU_DEP_1)
	v_div_fixup_f32 v42, v42, v33, v32
	v_fmac_f32_e32 v33, v32, v42
	s_delay_alu instid0(VALU_DEP_1) | instskip(SKIP_1) | instid1(VALU_DEP_2)
	v_div_scale_f32 v32, null, v33, v33, 1.0
	v_div_scale_f32 v49, vcc_lo, 1.0, v33, 1.0
	v_rcp_f32_e32 v43, v32
	v_nop
	s_delay_alu instid0(TRANS32_DEP_1) | instskip(NEXT) | instid1(VALU_DEP_1)
	v_fma_f32 v48, -v32, v43, 1.0
	v_fmac_f32_e32 v43, v48, v43
	s_delay_alu instid0(VALU_DEP_1) | instskip(NEXT) | instid1(VALU_DEP_1)
	v_mul_f32_e32 v48, v49, v43
	v_fma_f32 v50, -v32, v48, v49
	s_delay_alu instid0(VALU_DEP_1) | instskip(NEXT) | instid1(VALU_DEP_1)
	v_fmac_f32_e32 v48, v50, v43
	v_fma_f32 v32, -v32, v48, v49
	s_delay_alu instid0(VALU_DEP_1) | instskip(NEXT) | instid1(VALU_DEP_1)
	v_div_fmas_f32 v32, v32, v43, v48
	v_div_fixup_f32 v32, v32, v33, 1.0
	s_delay_alu instid0(VALU_DEP_1)
	v_mul_f32_e32 v42, v42, v32
	v_xor_b32_e32 v43, 0x80000000, v32
                                        ; implicit-def: $vgpr32_vgpr33
.LBB105_293:
	s_and_not1_saveexec_b32 s1, s1
	s_cbranch_execz .LBB105_295
; %bb.294:
	v_div_scale_f32 v42, null, v32, v32, v33
	v_div_scale_f32 v49, vcc_lo, v33, v32, v33
	s_delay_alu instid0(VALU_DEP_2) | instskip(SKIP_1) | instid1(TRANS32_DEP_1)
	v_rcp_f32_e32 v43, v42
	v_nop
	v_fma_f32 v48, -v42, v43, 1.0
	s_delay_alu instid0(VALU_DEP_1) | instskip(NEXT) | instid1(VALU_DEP_1)
	v_fmac_f32_e32 v43, v48, v43
	v_mul_f32_e32 v48, v49, v43
	s_delay_alu instid0(VALU_DEP_1) | instskip(NEXT) | instid1(VALU_DEP_1)
	v_fma_f32 v50, -v42, v48, v49
	v_fmac_f32_e32 v48, v50, v43
	s_delay_alu instid0(VALU_DEP_1) | instskip(NEXT) | instid1(VALU_DEP_1)
	v_fma_f32 v42, -v42, v48, v49
	v_div_fmas_f32 v42, v42, v43, v48
	s_delay_alu instid0(VALU_DEP_1) | instskip(NEXT) | instid1(VALU_DEP_1)
	v_div_fixup_f32 v43, v42, v32, v33
	v_fmac_f32_e32 v32, v33, v43
	s_delay_alu instid0(VALU_DEP_1) | instskip(NEXT) | instid1(VALU_DEP_1)
	v_div_scale_f32 v33, null, v32, v32, 1.0
	v_rcp_f32_e32 v42, v33
	v_nop
	s_delay_alu instid0(TRANS32_DEP_1) | instskip(NEXT) | instid1(VALU_DEP_1)
	v_fma_f32 v48, -v33, v42, 1.0
	v_fmac_f32_e32 v42, v48, v42
	v_div_scale_f32 v48, vcc_lo, 1.0, v32, 1.0
	s_delay_alu instid0(VALU_DEP_1) | instskip(NEXT) | instid1(VALU_DEP_1)
	v_mul_f32_e32 v49, v48, v42
	v_fma_f32 v50, -v33, v49, v48
	s_delay_alu instid0(VALU_DEP_1) | instskip(NEXT) | instid1(VALU_DEP_1)
	v_fmac_f32_e32 v49, v50, v42
	v_fma_f32 v33, -v33, v49, v48
	s_delay_alu instid0(VALU_DEP_1) | instskip(NEXT) | instid1(VALU_DEP_1)
	v_div_fmas_f32 v33, v33, v42, v49
	v_div_fixup_f32 v42, v33, v32, 1.0
	s_delay_alu instid0(VALU_DEP_1)
	v_mul_f32_e64 v43, v43, -v42
.LBB105_295:
	s_or_b32 exec_lo, exec_lo, s1
	ds_store_b64 v133, v[42:43]
.LBB105_296:
	s_or_b32 exec_lo, exec_lo, s2
	s_wait_dscnt 0x0
	s_barrier_signal -1
	s_barrier_wait -1
	ds_load_b64 v[32:33], v133
	s_mov_b32 s1, exec_lo
	v_cmpx_lt_u32_e32 32, v132
	s_cbranch_execz .LBB105_298
; %bb.297:
	ds_load_2addr_b64 v[50:53], v134 offset0:33 offset1:34
	s_wait_dscnt 0x1
	v_pk_mul_f32 v[48:49], v[32:33], v[146:147] op_sel:[1,1] op_sel_hi:[0,1]
	s_delay_alu instid0(VALU_DEP_1) | instskip(SKIP_1) | instid1(VALU_DEP_1)
	v_pk_fma_f32 v[42:43], v[32:33], v[146:147], v[48:49] op_sel_hi:[1,0,1] neg_lo:[0,0,1] neg_hi:[0,0,1]
	v_pk_fma_f32 v[48:49], v[32:33], v[146:147], v[48:49] op_sel_hi:[1,0,1]
	v_dual_mov_b32 v146, v42 :: v_dual_mov_b32 v147, v49
	s_wait_dscnt 0x0
	s_delay_alu instid0(VALU_DEP_2) | instskip(NEXT) | instid1(VALU_DEP_1)
	v_pk_mul_f32 v[66:67], v[50:51], v[48:49] op_sel:[0,1]
	v_pk_fma_f32 v[68:69], v[50:51], v[42:43], v[66:67] op_sel:[0,0,1] op_sel_hi:[1,1,0] neg_lo:[0,0,1] neg_hi:[0,0,1]
	v_pk_fma_f32 v[50:51], v[50:51], v[42:43], v[66:67] op_sel:[0,0,1] op_sel_hi:[1,0,0]
	s_delay_alu instid0(VALU_DEP_1) | instskip(SKIP_1) | instid1(VALU_DEP_1)
	v_mov_b32_e32 v69, v51
	v_pk_mul_f32 v[50:51], v[52:53], v[48:49] op_sel:[0,1]
	v_pk_fma_f32 v[66:67], v[52:53], v[42:43], v[50:51] op_sel:[0,0,1] op_sel_hi:[1,1,0] neg_lo:[0,0,1] neg_hi:[0,0,1]
	v_pk_fma_f32 v[50:51], v[52:53], v[42:43], v[50:51] op_sel:[0,0,1] op_sel_hi:[1,0,0]
	s_delay_alu instid0(VALU_DEP_1)
	v_mov_b32_e32 v67, v51
	ds_load_2addr_b64 v[50:53], v134 offset0:35 offset1:36
	v_pk_add_f32 v[142:143], v[142:143], v[68:69] neg_lo:[0,1] neg_hi:[0,1]
	v_pk_add_f32 v[144:145], v[144:145], v[66:67] neg_lo:[0,1] neg_hi:[0,1]
	s_wait_dscnt 0x0
	v_pk_mul_f32 v[66:67], v[50:51], v[48:49] op_sel:[0,1]
	s_delay_alu instid0(VALU_DEP_1) | instskip(SKIP_2) | instid1(VALU_DEP_2)
	v_pk_fma_f32 v[68:69], v[50:51], v[42:43], v[66:67] op_sel:[0,0,1] op_sel_hi:[1,1,0] neg_lo:[0,0,1] neg_hi:[0,0,1]
	v_pk_fma_f32 v[50:51], v[50:51], v[42:43], v[66:67] op_sel:[0,0,1] op_sel_hi:[1,0,0]
	v_dual_mul_f32 v66, v53, v49 :: v_dual_mov_b32 v50, v53
	v_dual_mov_b32 v69, v51 :: v_dual_mov_b32 v51, v52
	s_delay_alu instid0(VALU_DEP_2) | instskip(SKIP_1) | instid1(VALU_DEP_3)
	v_pk_fma_f32 v[66:67], v[52:53], v[146:147], v[66:67] op_sel_hi:[1,1,0] neg_lo:[0,0,1] neg_hi:[0,0,1]
	v_mul_f32_e32 v52, v53, v42
	v_pk_add_f32 v[140:141], v[140:141], v[68:69] neg_lo:[0,1] neg_hi:[0,1]
	s_delay_alu instid0(VALU_DEP_2) | instskip(NEXT) | instid1(VALU_DEP_1)
	v_pk_fma_f32 v[50:51], v[50:51], v[146:147], v[52:53] op_sel_hi:[1,1,0]
	v_mov_b32_e32 v67, v51
	ds_load_2addr_b64 v[50:53], v134 offset0:37 offset1:38
	v_pk_add_f32 v[162:163], v[162:163], v[66:67] neg_lo:[0,1] neg_hi:[0,1]
	s_wait_dscnt 0x0
	v_pk_mul_f32 v[66:67], v[50:51], v[48:49] op_sel:[0,1]
	s_delay_alu instid0(VALU_DEP_1) | instskip(SKIP_1) | instid1(VALU_DEP_1)
	v_pk_fma_f32 v[68:69], v[50:51], v[42:43], v[66:67] op_sel:[0,0,1] op_sel_hi:[1,1,0] neg_lo:[0,0,1] neg_hi:[0,0,1]
	v_pk_fma_f32 v[50:51], v[50:51], v[42:43], v[66:67] op_sel:[0,0,1] op_sel_hi:[1,0,0]
	v_mov_b32_e32 v69, v51
	v_pk_mul_f32 v[50:51], v[52:53], v[48:49] op_sel:[0,1]
	s_delay_alu instid0(VALU_DEP_1) | instskip(SKIP_1) | instid1(VALU_DEP_1)
	v_pk_fma_f32 v[66:67], v[52:53], v[42:43], v[50:51] op_sel:[0,0,1] op_sel_hi:[1,1,0] neg_lo:[0,0,1] neg_hi:[0,0,1]
	v_pk_fma_f32 v[50:51], v[52:53], v[42:43], v[50:51] op_sel:[0,0,1] op_sel_hi:[1,0,0]
	v_mov_b32_e32 v67, v51
	ds_load_2addr_b64 v[50:53], v134 offset0:39 offset1:40
	v_pk_add_f32 v[158:159], v[158:159], v[68:69] neg_lo:[0,1] neg_hi:[0,1]
	v_pk_add_f32 v[160:161], v[160:161], v[66:67] neg_lo:[0,1] neg_hi:[0,1]
	s_wait_dscnt 0x0
	v_pk_mul_f32 v[66:67], v[50:51], v[48:49] op_sel:[0,1]
	s_delay_alu instid0(VALU_DEP_1) | instskip(SKIP_1) | instid1(VALU_DEP_1)
	v_pk_fma_f32 v[68:69], v[50:51], v[42:43], v[66:67] op_sel:[0,0,1] op_sel_hi:[1,1,0] neg_lo:[0,0,1] neg_hi:[0,0,1]
	v_pk_fma_f32 v[50:51], v[50:51], v[42:43], v[66:67] op_sel:[0,0,1] op_sel_hi:[1,0,0]
	v_mov_b32_e32 v69, v51
	v_pk_mul_f32 v[50:51], v[52:53], v[48:49] op_sel:[0,1]
	s_delay_alu instid0(VALU_DEP_1) | instskip(SKIP_1) | instid1(VALU_DEP_1)
	v_pk_fma_f32 v[66:67], v[52:53], v[42:43], v[50:51] op_sel:[0,0,1] op_sel_hi:[1,1,0] neg_lo:[0,0,1] neg_hi:[0,0,1]
	v_pk_fma_f32 v[50:51], v[52:53], v[42:43], v[50:51] op_sel:[0,0,1] op_sel_hi:[1,0,0]
	v_mov_b32_e32 v67, v51
	ds_load_2addr_b64 v[50:53], v134 offset0:41 offset1:42
	v_pk_add_f32 v[156:157], v[156:157], v[68:69] neg_lo:[0,1] neg_hi:[0,1]
	v_pk_add_f32 v[184:185], v[184:185], v[66:67] neg_lo:[0,1] neg_hi:[0,1]
	s_wait_dscnt 0x0
	v_dual_mul_f32 v66, v51, v49 :: v_dual_mul_f32 v68, v51, v42
	s_delay_alu instid0(VALU_DEP_1) | instskip(NEXT) | instid1(VALU_DEP_2)
	v_pk_fma_f32 v[66:67], v[50:51], v[146:147], v[66:67] op_sel_hi:[1,1,0] neg_lo:[0,0,1] neg_hi:[0,0,1]
	v_pk_fma_f32 v[50:51], v[50:51], v[146:147], v[68:69] op_sel:[1,0,0] op_sel_hi:[0,1,0]
	s_delay_alu instid0(VALU_DEP_1) | instskip(SKIP_1) | instid1(VALU_DEP_2)
	v_mov_b32_e32 v67, v51
	v_pk_mul_f32 v[50:51], v[52:53], v[48:49] op_sel:[0,1]
	v_pk_add_f32 v[180:181], v[180:181], v[66:67] neg_lo:[0,1] neg_hi:[0,1]
	s_delay_alu instid0(VALU_DEP_2) | instskip(SKIP_1) | instid1(VALU_DEP_1)
	v_pk_fma_f32 v[66:67], v[52:53], v[42:43], v[50:51] op_sel:[0,0,1] op_sel_hi:[1,1,0] neg_lo:[0,0,1] neg_hi:[0,0,1]
	v_pk_fma_f32 v[50:51], v[52:53], v[42:43], v[50:51] op_sel:[0,0,1] op_sel_hi:[1,0,0]
	v_mov_b32_e32 v67, v51
	ds_load_2addr_b64 v[50:53], v134 offset0:43 offset1:44
	v_pk_add_f32 v[182:183], v[182:183], v[66:67] neg_lo:[0,1] neg_hi:[0,1]
	s_wait_dscnt 0x0
	v_pk_mul_f32 v[66:67], v[50:51], v[48:49] op_sel:[0,1]
	s_delay_alu instid0(VALU_DEP_1) | instskip(SKIP_1) | instid1(VALU_DEP_1)
	v_pk_fma_f32 v[68:69], v[50:51], v[42:43], v[66:67] op_sel:[0,0,1] op_sel_hi:[1,1,0] neg_lo:[0,0,1] neg_hi:[0,0,1]
	v_pk_fma_f32 v[50:51], v[50:51], v[42:43], v[66:67] op_sel:[0,0,1] op_sel_hi:[1,0,0]
	v_mov_b32_e32 v69, v51
	v_pk_mul_f32 v[50:51], v[52:53], v[48:49] op_sel:[0,1]
	s_delay_alu instid0(VALU_DEP_2) | instskip(NEXT) | instid1(VALU_DEP_2)
	v_pk_add_f32 v[178:179], v[178:179], v[68:69] neg_lo:[0,1] neg_hi:[0,1]
	v_pk_fma_f32 v[66:67], v[52:53], v[42:43], v[50:51] op_sel:[0,0,1] op_sel_hi:[1,1,0] neg_lo:[0,0,1] neg_hi:[0,0,1]
	v_pk_fma_f32 v[50:51], v[52:53], v[42:43], v[50:51] op_sel:[0,0,1] op_sel_hi:[1,0,0]
	s_delay_alu instid0(VALU_DEP_1) | instskip(SKIP_4) | instid1(VALU_DEP_1)
	v_mov_b32_e32 v67, v51
	ds_load_2addr_b64 v[50:53], v134 offset0:45 offset1:46
	v_pk_add_f32 v[208:209], v[208:209], v[66:67] neg_lo:[0,1] neg_hi:[0,1]
	s_wait_dscnt 0x0
	v_pk_mul_f32 v[66:67], v[50:51], v[48:49] op_sel:[0,1]
	v_pk_fma_f32 v[68:69], v[50:51], v[42:43], v[66:67] op_sel:[0,0,1] op_sel_hi:[1,1,0] neg_lo:[0,0,1] neg_hi:[0,0,1]
	v_pk_fma_f32 v[50:51], v[50:51], v[42:43], v[66:67] op_sel:[0,0,1] op_sel_hi:[1,0,0]
	v_dual_mul_f32 v66, v53, v49 :: v_dual_mov_b32 v50, v53
	s_delay_alu instid0(VALU_DEP_2) | instskip(NEXT) | instid1(VALU_DEP_2)
	v_dual_mov_b32 v69, v51 :: v_dual_mov_b32 v51, v52
	v_pk_fma_f32 v[66:67], v[52:53], v[146:147], v[66:67] op_sel_hi:[1,1,0] neg_lo:[0,0,1] neg_hi:[0,0,1]
	v_mul_f32_e32 v52, v53, v42
	s_delay_alu instid0(VALU_DEP_3) | instskip(NEXT) | instid1(VALU_DEP_2)
	v_pk_add_f32 v[200:201], v[200:201], v[68:69] neg_lo:[0,1] neg_hi:[0,1]
	v_pk_fma_f32 v[50:51], v[50:51], v[146:147], v[52:53] op_sel_hi:[1,1,0]
	s_delay_alu instid0(VALU_DEP_1) | instskip(SKIP_4) | instid1(VALU_DEP_1)
	v_mov_b32_e32 v67, v51
	ds_load_2addr_b64 v[50:53], v134 offset0:47 offset1:48
	v_pk_add_f32 v[206:207], v[206:207], v[66:67] neg_lo:[0,1] neg_hi:[0,1]
	s_wait_dscnt 0x0
	v_pk_mul_f32 v[66:67], v[50:51], v[48:49] op_sel:[0,1]
	v_pk_fma_f32 v[68:69], v[50:51], v[42:43], v[66:67] op_sel:[0,0,1] op_sel_hi:[1,1,0] neg_lo:[0,0,1] neg_hi:[0,0,1]
	v_pk_fma_f32 v[50:51], v[50:51], v[42:43], v[66:67] op_sel:[0,0,1] op_sel_hi:[1,0,0]
	s_delay_alu instid0(VALU_DEP_1) | instskip(SKIP_1) | instid1(VALU_DEP_1)
	v_mov_b32_e32 v69, v51
	v_pk_mul_f32 v[50:51], v[52:53], v[48:49] op_sel:[0,1]
	v_pk_fma_f32 v[66:67], v[52:53], v[42:43], v[50:51] op_sel:[0,0,1] op_sel_hi:[1,1,0] neg_lo:[0,0,1] neg_hi:[0,0,1]
	v_pk_fma_f32 v[50:51], v[52:53], v[42:43], v[50:51] op_sel:[0,0,1] op_sel_hi:[1,0,0]
	s_delay_alu instid0(VALU_DEP_1)
	v_mov_b32_e32 v67, v51
	ds_load_2addr_b64 v[50:53], v134 offset0:49 offset1:50
	v_pk_add_f32 v[198:199], v[198:199], v[68:69] neg_lo:[0,1] neg_hi:[0,1]
	v_pk_add_f32 v[204:205], v[204:205], v[66:67] neg_lo:[0,1] neg_hi:[0,1]
	s_wait_dscnt 0x0
	v_pk_mul_f32 v[66:67], v[50:51], v[48:49] op_sel:[0,1]
	s_delay_alu instid0(VALU_DEP_1) | instskip(SKIP_1) | instid1(VALU_DEP_1)
	v_pk_fma_f32 v[68:69], v[50:51], v[42:43], v[66:67] op_sel:[0,0,1] op_sel_hi:[1,1,0] neg_lo:[0,0,1] neg_hi:[0,0,1]
	v_pk_fma_f32 v[50:51], v[50:51], v[42:43], v[66:67] op_sel:[0,0,1] op_sel_hi:[1,0,0]
	v_mov_b32_e32 v69, v51
	v_pk_mul_f32 v[50:51], v[52:53], v[48:49] op_sel:[0,1]
	s_delay_alu instid0(VALU_DEP_1) | instskip(SKIP_1) | instid1(VALU_DEP_1)
	v_pk_fma_f32 v[66:67], v[52:53], v[42:43], v[50:51] op_sel:[0,0,1] op_sel_hi:[1,1,0] neg_lo:[0,0,1] neg_hi:[0,0,1]
	v_pk_fma_f32 v[50:51], v[52:53], v[42:43], v[50:51] op_sel:[0,0,1] op_sel_hi:[1,0,0]
	v_mov_b32_e32 v67, v51
	ds_load_2addr_b64 v[50:53], v134 offset0:51 offset1:52
	v_pk_add_f32 v[196:197], v[196:197], v[68:69] neg_lo:[0,1] neg_hi:[0,1]
	v_pk_add_f32 v[202:203], v[202:203], v[66:67] neg_lo:[0,1] neg_hi:[0,1]
	s_wait_dscnt 0x0
	v_dual_mul_f32 v66, v51, v49 :: v_dual_mul_f32 v68, v51, v42
	v_pk_mul_f32 v[48:49], v[52:53], v[48:49] op_sel:[0,1]
	s_delay_alu instid0(VALU_DEP_2) | instskip(NEXT) | instid1(VALU_DEP_3)
	v_pk_fma_f32 v[66:67], v[50:51], v[146:147], v[66:67] op_sel_hi:[1,1,0] neg_lo:[0,0,1] neg_hi:[0,0,1]
	v_pk_fma_f32 v[50:51], v[50:51], v[146:147], v[68:69] op_sel:[1,0,0] op_sel_hi:[0,1,0]
	s_delay_alu instid0(VALU_DEP_1) | instskip(NEXT) | instid1(VALU_DEP_4)
	v_mov_b32_e32 v67, v51
	v_pk_fma_f32 v[50:51], v[52:53], v[42:43], v[48:49] op_sel:[0,0,1] op_sel_hi:[1,1,0] neg_lo:[0,0,1] neg_hi:[0,0,1]
	v_pk_fma_f32 v[42:43], v[52:53], v[42:43], v[48:49] op_sel:[0,0,1] op_sel_hi:[1,0,0]
	s_delay_alu instid0(VALU_DEP_1) | instskip(NEXT) | instid1(VALU_DEP_4)
	v_mov_b32_e32 v51, v43
	v_pk_add_f32 v[210:211], v[210:211], v[66:67] neg_lo:[0,1] neg_hi:[0,1]
	s_delay_alu instid0(VALU_DEP_2)
	v_pk_add_f32 v[212:213], v[212:213], v[50:51] neg_lo:[0,1] neg_hi:[0,1]
.LBB105_298:
	s_or_b32 exec_lo, exec_lo, s1
	s_delay_alu instid0(SALU_CYCLE_1)
	s_mov_b32 s2, exec_lo
	s_wait_dscnt 0x0
	s_barrier_signal -1
	s_barrier_wait -1
	v_cmpx_eq_u32_e32 33, v132
	s_cbranch_execz .LBB105_305
; %bb.299:
	v_dual_mov_b32 v42, v144 :: v_dual_mov_b32 v43, v145
	v_dual_mov_b32 v48, v140 :: v_dual_mov_b32 v49, v141
	ds_store_b64 v133, v[142:143]
	ds_store_2addr_b64 v134, v[42:43], v[48:49] offset0:34 offset1:35
	v_dual_mov_b32 v42, v162 :: v_dual_mov_b32 v43, v163
	v_dual_mov_b32 v48, v158 :: v_dual_mov_b32 v49, v159
	ds_store_2addr_b64 v134, v[42:43], v[48:49] offset0:36 offset1:37
	v_dual_mov_b32 v42, v160 :: v_dual_mov_b32 v43, v161
	v_dual_mov_b32 v48, v156 :: v_dual_mov_b32 v49, v157
	;; [unrolled: 3-line block ×8, first 2 shown]
	ds_store_2addr_b64 v134, v[42:43], v[48:49] offset0:50 offset1:51
	ds_store_b64 v134, v[212:213] offset:416
	ds_load_b64 v[42:43], v133
	s_wait_dscnt 0x0
	v_cmp_neq_f32_e32 vcc_lo, 0, v42
	v_cmp_neq_f32_e64 s1, 0, v43
	s_or_b32 s1, vcc_lo, s1
	s_delay_alu instid0(SALU_CYCLE_1)
	s_and_b32 exec_lo, exec_lo, s1
	s_cbranch_execz .LBB105_305
; %bb.300:
	v_cmp_ngt_f32_e64 s1, |v42|, |v43|
                                        ; implicit-def: $vgpr48_vgpr49
	s_and_saveexec_b32 s4, s1
	s_delay_alu instid0(SALU_CYCLE_1)
	s_xor_b32 s1, exec_lo, s4
	s_cbranch_execz .LBB105_302
; %bb.301:
	v_div_scale_f32 v48, null, v43, v43, v42
	v_div_scale_f32 v51, vcc_lo, v42, v43, v42
	s_delay_alu instid0(VALU_DEP_2) | instskip(SKIP_1) | instid1(TRANS32_DEP_1)
	v_rcp_f32_e32 v49, v48
	v_nop
	v_fma_f32 v50, -v48, v49, 1.0
	s_delay_alu instid0(VALU_DEP_1) | instskip(NEXT) | instid1(VALU_DEP_1)
	v_fmac_f32_e32 v49, v50, v49
	v_mul_f32_e32 v50, v51, v49
	s_delay_alu instid0(VALU_DEP_1) | instskip(NEXT) | instid1(VALU_DEP_1)
	v_fma_f32 v52, -v48, v50, v51
	v_fmac_f32_e32 v50, v52, v49
	s_delay_alu instid0(VALU_DEP_1) | instskip(NEXT) | instid1(VALU_DEP_1)
	v_fma_f32 v48, -v48, v50, v51
	v_div_fmas_f32 v48, v48, v49, v50
	s_delay_alu instid0(VALU_DEP_1) | instskip(NEXT) | instid1(VALU_DEP_1)
	v_div_fixup_f32 v48, v48, v43, v42
	v_fmac_f32_e32 v43, v42, v48
	s_delay_alu instid0(VALU_DEP_1) | instskip(SKIP_1) | instid1(VALU_DEP_2)
	v_div_scale_f32 v42, null, v43, v43, 1.0
	v_div_scale_f32 v51, vcc_lo, 1.0, v43, 1.0
	v_rcp_f32_e32 v49, v42
	v_nop
	s_delay_alu instid0(TRANS32_DEP_1) | instskip(NEXT) | instid1(VALU_DEP_1)
	v_fma_f32 v50, -v42, v49, 1.0
	v_fmac_f32_e32 v49, v50, v49
	s_delay_alu instid0(VALU_DEP_1) | instskip(NEXT) | instid1(VALU_DEP_1)
	v_mul_f32_e32 v50, v51, v49
	v_fma_f32 v52, -v42, v50, v51
	s_delay_alu instid0(VALU_DEP_1) | instskip(NEXT) | instid1(VALU_DEP_1)
	v_fmac_f32_e32 v50, v52, v49
	v_fma_f32 v42, -v42, v50, v51
	s_delay_alu instid0(VALU_DEP_1) | instskip(NEXT) | instid1(VALU_DEP_1)
	v_div_fmas_f32 v42, v42, v49, v50
	v_div_fixup_f32 v42, v42, v43, 1.0
	s_delay_alu instid0(VALU_DEP_1)
	v_mul_f32_e32 v48, v48, v42
	v_xor_b32_e32 v49, 0x80000000, v42
                                        ; implicit-def: $vgpr42_vgpr43
.LBB105_302:
	s_and_not1_saveexec_b32 s1, s1
	s_cbranch_execz .LBB105_304
; %bb.303:
	v_div_scale_f32 v48, null, v42, v42, v43
	v_div_scale_f32 v51, vcc_lo, v43, v42, v43
	s_delay_alu instid0(VALU_DEP_2) | instskip(SKIP_1) | instid1(TRANS32_DEP_1)
	v_rcp_f32_e32 v49, v48
	v_nop
	v_fma_f32 v50, -v48, v49, 1.0
	s_delay_alu instid0(VALU_DEP_1) | instskip(NEXT) | instid1(VALU_DEP_1)
	v_fmac_f32_e32 v49, v50, v49
	v_mul_f32_e32 v50, v51, v49
	s_delay_alu instid0(VALU_DEP_1) | instskip(NEXT) | instid1(VALU_DEP_1)
	v_fma_f32 v52, -v48, v50, v51
	v_fmac_f32_e32 v50, v52, v49
	s_delay_alu instid0(VALU_DEP_1) | instskip(NEXT) | instid1(VALU_DEP_1)
	v_fma_f32 v48, -v48, v50, v51
	v_div_fmas_f32 v48, v48, v49, v50
	s_delay_alu instid0(VALU_DEP_1) | instskip(NEXT) | instid1(VALU_DEP_1)
	v_div_fixup_f32 v49, v48, v42, v43
	v_fmac_f32_e32 v42, v43, v49
	s_delay_alu instid0(VALU_DEP_1) | instskip(NEXT) | instid1(VALU_DEP_1)
	v_div_scale_f32 v43, null, v42, v42, 1.0
	v_rcp_f32_e32 v48, v43
	v_nop
	s_delay_alu instid0(TRANS32_DEP_1) | instskip(NEXT) | instid1(VALU_DEP_1)
	v_fma_f32 v50, -v43, v48, 1.0
	v_fmac_f32_e32 v48, v50, v48
	v_div_scale_f32 v50, vcc_lo, 1.0, v42, 1.0
	s_delay_alu instid0(VALU_DEP_1) | instskip(NEXT) | instid1(VALU_DEP_1)
	v_mul_f32_e32 v51, v50, v48
	v_fma_f32 v52, -v43, v51, v50
	s_delay_alu instid0(VALU_DEP_1) | instskip(NEXT) | instid1(VALU_DEP_1)
	v_fmac_f32_e32 v51, v52, v48
	v_fma_f32 v43, -v43, v51, v50
	s_delay_alu instid0(VALU_DEP_1) | instskip(NEXT) | instid1(VALU_DEP_1)
	v_div_fmas_f32 v43, v43, v48, v51
	v_div_fixup_f32 v48, v43, v42, 1.0
	s_delay_alu instid0(VALU_DEP_1)
	v_mul_f32_e64 v49, v49, -v48
.LBB105_304:
	s_or_b32 exec_lo, exec_lo, s1
	ds_store_b64 v133, v[48:49]
.LBB105_305:
	s_or_b32 exec_lo, exec_lo, s2
	s_wait_dscnt 0x0
	s_barrier_signal -1
	s_barrier_wait -1
	ds_load_b64 v[42:43], v133
	s_mov_b32 s1, exec_lo
	v_cmpx_lt_u32_e32 33, v132
	s_cbranch_execz .LBB105_307
; %bb.306:
	ds_load_2addr_b64 v[66:69], v134 offset0:34 offset1:35
	s_wait_dscnt 0x1
	v_pk_mul_f32 v[50:51], v[42:43], v[142:143] op_sel:[1,1] op_sel_hi:[0,1]
	s_delay_alu instid0(VALU_DEP_1) | instskip(SKIP_1) | instid1(VALU_DEP_1)
	v_pk_fma_f32 v[48:49], v[42:43], v[142:143], v[50:51] op_sel_hi:[1,0,1] neg_lo:[0,0,1] neg_hi:[0,0,1]
	v_pk_fma_f32 v[50:51], v[42:43], v[142:143], v[50:51] op_sel_hi:[1,0,1]
	v_dual_mov_b32 v142, v48 :: v_dual_mov_b32 v143, v51
	s_wait_dscnt 0x0
	s_delay_alu instid0(VALU_DEP_2) | instskip(NEXT) | instid1(VALU_DEP_1)
	v_pk_mul_f32 v[52:53], v[66:67], v[50:51] op_sel:[0,1]
	v_pk_fma_f32 v[70:71], v[66:67], v[48:49], v[52:53] op_sel:[0,0,1] op_sel_hi:[1,1,0] neg_lo:[0,0,1] neg_hi:[0,0,1]
	v_pk_fma_f32 v[52:53], v[66:67], v[48:49], v[52:53] op_sel:[0,0,1] op_sel_hi:[1,0,0]
	s_delay_alu instid0(VALU_DEP_1) | instskip(SKIP_1) | instid1(VALU_DEP_1)
	v_mov_b32_e32 v71, v53
	v_pk_mul_f32 v[52:53], v[68:69], v[50:51] op_sel:[0,1]
	v_pk_fma_f32 v[66:67], v[68:69], v[48:49], v[52:53] op_sel:[0,0,1] op_sel_hi:[1,1,0] neg_lo:[0,0,1] neg_hi:[0,0,1]
	v_pk_fma_f32 v[52:53], v[68:69], v[48:49], v[52:53] op_sel:[0,0,1] op_sel_hi:[1,0,0]
	s_delay_alu instid0(VALU_DEP_1) | instskip(SKIP_1) | instid1(VALU_DEP_2)
	v_mov_b32_e32 v67, v53
	v_pk_add_f32 v[144:145], v[144:145], v[70:71] neg_lo:[0,1] neg_hi:[0,1]
	v_pk_add_f32 v[140:141], v[140:141], v[66:67] neg_lo:[0,1] neg_hi:[0,1]
	ds_load_2addr_b64 v[66:69], v134 offset0:36 offset1:37
	s_wait_dscnt 0x0
	v_pk_mul_f32 v[52:53], v[66:67], v[50:51] op_sel:[0,1]
	s_delay_alu instid0(VALU_DEP_1) | instskip(SKIP_2) | instid1(VALU_DEP_2)
	v_pk_fma_f32 v[70:71], v[66:67], v[48:49], v[52:53] op_sel:[0,0,1] op_sel_hi:[1,1,0] neg_lo:[0,0,1] neg_hi:[0,0,1]
	v_pk_fma_f32 v[52:53], v[66:67], v[48:49], v[52:53] op_sel:[0,0,1] op_sel_hi:[1,0,0]
	v_dual_mul_f32 v66, v69, v51 :: v_dual_mov_b32 v52, v69
	v_dual_mov_b32 v71, v53 :: v_dual_mov_b32 v53, v68
	s_delay_alu instid0(VALU_DEP_2) | instskip(SKIP_1) | instid1(VALU_DEP_3)
	v_pk_fma_f32 v[66:67], v[68:69], v[142:143], v[66:67] op_sel_hi:[1,1,0] neg_lo:[0,0,1] neg_hi:[0,0,1]
	v_mul_f32_e32 v68, v69, v48
	v_pk_add_f32 v[162:163], v[162:163], v[70:71] neg_lo:[0,1] neg_hi:[0,1]
	s_delay_alu instid0(VALU_DEP_2) | instskip(NEXT) | instid1(VALU_DEP_1)
	v_pk_fma_f32 v[52:53], v[52:53], v[142:143], v[68:69] op_sel_hi:[1,1,0]
	v_mov_b32_e32 v67, v53
	s_delay_alu instid0(VALU_DEP_1) | instskip(SKIP_3) | instid1(VALU_DEP_1)
	v_pk_add_f32 v[158:159], v[158:159], v[66:67] neg_lo:[0,1] neg_hi:[0,1]
	ds_load_2addr_b64 v[66:69], v134 offset0:38 offset1:39
	s_wait_dscnt 0x0
	v_pk_mul_f32 v[52:53], v[66:67], v[50:51] op_sel:[0,1]
	v_pk_fma_f32 v[70:71], v[66:67], v[48:49], v[52:53] op_sel:[0,0,1] op_sel_hi:[1,1,0] neg_lo:[0,0,1] neg_hi:[0,0,1]
	v_pk_fma_f32 v[52:53], v[66:67], v[48:49], v[52:53] op_sel:[0,0,1] op_sel_hi:[1,0,0]
	s_delay_alu instid0(VALU_DEP_1) | instskip(SKIP_1) | instid1(VALU_DEP_2)
	v_mov_b32_e32 v71, v53
	v_pk_mul_f32 v[52:53], v[68:69], v[50:51] op_sel:[0,1]
	v_pk_add_f32 v[160:161], v[160:161], v[70:71] neg_lo:[0,1] neg_hi:[0,1]
	s_delay_alu instid0(VALU_DEP_2) | instskip(SKIP_1) | instid1(VALU_DEP_1)
	v_pk_fma_f32 v[66:67], v[68:69], v[48:49], v[52:53] op_sel:[0,0,1] op_sel_hi:[1,1,0] neg_lo:[0,0,1] neg_hi:[0,0,1]
	v_pk_fma_f32 v[52:53], v[68:69], v[48:49], v[52:53] op_sel:[0,0,1] op_sel_hi:[1,0,0]
	v_mov_b32_e32 v67, v53
	s_delay_alu instid0(VALU_DEP_1) | instskip(SKIP_3) | instid1(VALU_DEP_1)
	v_pk_add_f32 v[156:157], v[156:157], v[66:67] neg_lo:[0,1] neg_hi:[0,1]
	ds_load_2addr_b64 v[66:69], v134 offset0:40 offset1:41
	s_wait_dscnt 0x0
	v_pk_mul_f32 v[52:53], v[66:67], v[50:51] op_sel:[0,1]
	v_pk_fma_f32 v[70:71], v[66:67], v[48:49], v[52:53] op_sel:[0,0,1] op_sel_hi:[1,1,0] neg_lo:[0,0,1] neg_hi:[0,0,1]
	v_pk_fma_f32 v[52:53], v[66:67], v[48:49], v[52:53] op_sel:[0,0,1] op_sel_hi:[1,0,0]
	s_delay_alu instid0(VALU_DEP_1) | instskip(SKIP_1) | instid1(VALU_DEP_2)
	v_mov_b32_e32 v71, v53
	v_pk_mul_f32 v[52:53], v[68:69], v[50:51] op_sel:[0,1]
	v_pk_add_f32 v[184:185], v[184:185], v[70:71] neg_lo:[0,1] neg_hi:[0,1]
	s_delay_alu instid0(VALU_DEP_2) | instskip(SKIP_1) | instid1(VALU_DEP_1)
	v_pk_fma_f32 v[66:67], v[68:69], v[48:49], v[52:53] op_sel:[0,0,1] op_sel_hi:[1,1,0] neg_lo:[0,0,1] neg_hi:[0,0,1]
	v_pk_fma_f32 v[52:53], v[68:69], v[48:49], v[52:53] op_sel:[0,0,1] op_sel_hi:[1,0,0]
	v_mov_b32_e32 v67, v53
	s_delay_alu instid0(VALU_DEP_1) | instskip(SKIP_3) | instid1(VALU_DEP_1)
	v_pk_add_f32 v[180:181], v[180:181], v[66:67] neg_lo:[0,1] neg_hi:[0,1]
	ds_load_2addr_b64 v[66:69], v134 offset0:42 offset1:43
	s_wait_dscnt 0x0
	v_dual_mul_f32 v52, v67, v51 :: v_dual_mul_f32 v70, v67, v48
	v_pk_fma_f32 v[52:53], v[66:67], v[142:143], v[52:53] op_sel_hi:[1,1,0] neg_lo:[0,0,1] neg_hi:[0,0,1]
	s_delay_alu instid0(VALU_DEP_2) | instskip(NEXT) | instid1(VALU_DEP_1)
	v_pk_fma_f32 v[66:67], v[66:67], v[142:143], v[70:71] op_sel:[1,0,0] op_sel_hi:[0,1,0]
	v_mov_b32_e32 v53, v67
	s_delay_alu instid0(VALU_DEP_1) | instskip(SKIP_1) | instid1(VALU_DEP_1)
	v_pk_add_f32 v[182:183], v[182:183], v[52:53] neg_lo:[0,1] neg_hi:[0,1]
	v_pk_mul_f32 v[52:53], v[68:69], v[50:51] op_sel:[0,1]
	v_pk_fma_f32 v[66:67], v[68:69], v[48:49], v[52:53] op_sel:[0,0,1] op_sel_hi:[1,1,0] neg_lo:[0,0,1] neg_hi:[0,0,1]
	v_pk_fma_f32 v[52:53], v[68:69], v[48:49], v[52:53] op_sel:[0,0,1] op_sel_hi:[1,0,0]
	s_delay_alu instid0(VALU_DEP_1) | instskip(NEXT) | instid1(VALU_DEP_1)
	v_mov_b32_e32 v67, v53
	v_pk_add_f32 v[178:179], v[178:179], v[66:67] neg_lo:[0,1] neg_hi:[0,1]
	ds_load_2addr_b64 v[66:69], v134 offset0:44 offset1:45
	s_wait_dscnt 0x0
	v_pk_mul_f32 v[52:53], v[66:67], v[50:51] op_sel:[0,1]
	s_delay_alu instid0(VALU_DEP_1) | instskip(SKIP_1) | instid1(VALU_DEP_1)
	v_pk_fma_f32 v[70:71], v[66:67], v[48:49], v[52:53] op_sel:[0,0,1] op_sel_hi:[1,1,0] neg_lo:[0,0,1] neg_hi:[0,0,1]
	v_pk_fma_f32 v[52:53], v[66:67], v[48:49], v[52:53] op_sel:[0,0,1] op_sel_hi:[1,0,0]
	v_mov_b32_e32 v71, v53
	v_pk_mul_f32 v[52:53], v[68:69], v[50:51] op_sel:[0,1]
	s_delay_alu instid0(VALU_DEP_2) | instskip(NEXT) | instid1(VALU_DEP_2)
	v_pk_add_f32 v[208:209], v[208:209], v[70:71] neg_lo:[0,1] neg_hi:[0,1]
	v_pk_fma_f32 v[66:67], v[68:69], v[48:49], v[52:53] op_sel:[0,0,1] op_sel_hi:[1,1,0] neg_lo:[0,0,1] neg_hi:[0,0,1]
	v_pk_fma_f32 v[52:53], v[68:69], v[48:49], v[52:53] op_sel:[0,0,1] op_sel_hi:[1,0,0]
	s_delay_alu instid0(VALU_DEP_1) | instskip(NEXT) | instid1(VALU_DEP_1)
	v_mov_b32_e32 v67, v53
	v_pk_add_f32 v[200:201], v[200:201], v[66:67] neg_lo:[0,1] neg_hi:[0,1]
	ds_load_2addr_b64 v[66:69], v134 offset0:46 offset1:47
	s_wait_dscnt 0x0
	v_pk_mul_f32 v[52:53], v[66:67], v[50:51] op_sel:[0,1]
	s_delay_alu instid0(VALU_DEP_1) | instskip(SKIP_2) | instid1(VALU_DEP_2)
	v_pk_fma_f32 v[70:71], v[66:67], v[48:49], v[52:53] op_sel:[0,0,1] op_sel_hi:[1,1,0] neg_lo:[0,0,1] neg_hi:[0,0,1]
	v_pk_fma_f32 v[52:53], v[66:67], v[48:49], v[52:53] op_sel:[0,0,1] op_sel_hi:[1,0,0]
	v_dual_mul_f32 v66, v69, v51 :: v_dual_mov_b32 v52, v69
	v_dual_mov_b32 v71, v53 :: v_dual_mov_b32 v53, v68
	s_delay_alu instid0(VALU_DEP_2) | instskip(SKIP_1) | instid1(VALU_DEP_3)
	v_pk_fma_f32 v[66:67], v[68:69], v[142:143], v[66:67] op_sel_hi:[1,1,0] neg_lo:[0,0,1] neg_hi:[0,0,1]
	v_mul_f32_e32 v68, v69, v48
	v_pk_add_f32 v[206:207], v[206:207], v[70:71] neg_lo:[0,1] neg_hi:[0,1]
	s_delay_alu instid0(VALU_DEP_2) | instskip(NEXT) | instid1(VALU_DEP_1)
	v_pk_fma_f32 v[52:53], v[52:53], v[142:143], v[68:69] op_sel_hi:[1,1,0]
	v_mov_b32_e32 v67, v53
	s_delay_alu instid0(VALU_DEP_1) | instskip(SKIP_3) | instid1(VALU_DEP_1)
	v_pk_add_f32 v[198:199], v[198:199], v[66:67] neg_lo:[0,1] neg_hi:[0,1]
	ds_load_2addr_b64 v[66:69], v134 offset0:48 offset1:49
	s_wait_dscnt 0x0
	v_pk_mul_f32 v[52:53], v[66:67], v[50:51] op_sel:[0,1]
	v_pk_fma_f32 v[70:71], v[66:67], v[48:49], v[52:53] op_sel:[0,0,1] op_sel_hi:[1,1,0] neg_lo:[0,0,1] neg_hi:[0,0,1]
	v_pk_fma_f32 v[52:53], v[66:67], v[48:49], v[52:53] op_sel:[0,0,1] op_sel_hi:[1,0,0]
	s_delay_alu instid0(VALU_DEP_1) | instskip(SKIP_1) | instid1(VALU_DEP_2)
	v_mov_b32_e32 v71, v53
	v_pk_mul_f32 v[52:53], v[68:69], v[50:51] op_sel:[0,1]
	v_pk_add_f32 v[204:205], v[204:205], v[70:71] neg_lo:[0,1] neg_hi:[0,1]
	s_delay_alu instid0(VALU_DEP_2) | instskip(SKIP_1) | instid1(VALU_DEP_1)
	v_pk_fma_f32 v[66:67], v[68:69], v[48:49], v[52:53] op_sel:[0,0,1] op_sel_hi:[1,1,0] neg_lo:[0,0,1] neg_hi:[0,0,1]
	v_pk_fma_f32 v[52:53], v[68:69], v[48:49], v[52:53] op_sel:[0,0,1] op_sel_hi:[1,0,0]
	v_mov_b32_e32 v67, v53
	s_delay_alu instid0(VALU_DEP_1) | instskip(SKIP_3) | instid1(VALU_DEP_1)
	v_pk_add_f32 v[196:197], v[196:197], v[66:67] neg_lo:[0,1] neg_hi:[0,1]
	ds_load_2addr_b64 v[66:69], v134 offset0:50 offset1:51
	s_wait_dscnt 0x0
	v_pk_mul_f32 v[52:53], v[66:67], v[50:51] op_sel:[0,1]
	v_pk_fma_f32 v[70:71], v[66:67], v[48:49], v[52:53] op_sel:[0,0,1] op_sel_hi:[1,1,0] neg_lo:[0,0,1] neg_hi:[0,0,1]
	v_pk_fma_f32 v[52:53], v[66:67], v[48:49], v[52:53] op_sel:[0,0,1] op_sel_hi:[1,0,0]
	s_delay_alu instid0(VALU_DEP_1) | instskip(SKIP_1) | instid1(VALU_DEP_2)
	v_mov_b32_e32 v71, v53
	v_pk_mul_f32 v[52:53], v[68:69], v[50:51] op_sel:[0,1]
	v_pk_add_f32 v[202:203], v[202:203], v[70:71] neg_lo:[0,1] neg_hi:[0,1]
	s_delay_alu instid0(VALU_DEP_2) | instskip(SKIP_1) | instid1(VALU_DEP_1)
	v_pk_fma_f32 v[66:67], v[68:69], v[48:49], v[52:53] op_sel:[0,0,1] op_sel_hi:[1,1,0] neg_lo:[0,0,1] neg_hi:[0,0,1]
	v_pk_fma_f32 v[52:53], v[68:69], v[48:49], v[52:53] op_sel:[0,0,1] op_sel_hi:[1,0,0]
	v_mov_b32_e32 v67, v53
	ds_load_b64 v[52:53], v134 offset:416
	v_pk_add_f32 v[210:211], v[210:211], v[66:67] neg_lo:[0,1] neg_hi:[0,1]
	s_wait_dscnt 0x0
	v_pk_mul_f32 v[50:51], v[52:53], v[50:51] op_sel:[0,1]
	s_delay_alu instid0(VALU_DEP_1) | instskip(SKIP_1) | instid1(VALU_DEP_1)
	v_pk_fma_f32 v[66:67], v[52:53], v[48:49], v[50:51] op_sel:[0,0,1] op_sel_hi:[1,1,0] neg_lo:[0,0,1] neg_hi:[0,0,1]
	v_pk_fma_f32 v[48:49], v[52:53], v[48:49], v[50:51] op_sel:[0,0,1] op_sel_hi:[1,0,0]
	v_mov_b32_e32 v67, v49
	s_delay_alu instid0(VALU_DEP_1)
	v_pk_add_f32 v[212:213], v[212:213], v[66:67] neg_lo:[0,1] neg_hi:[0,1]
.LBB105_307:
	s_or_b32 exec_lo, exec_lo, s1
	s_delay_alu instid0(SALU_CYCLE_1)
	s_mov_b32 s2, exec_lo
	s_wait_dscnt 0x0
	s_barrier_signal -1
	s_barrier_wait -1
	v_cmpx_eq_u32_e32 34, v132
	s_cbranch_execz .LBB105_314
; %bb.308:
	ds_store_b64 v133, v[144:145]
	ds_store_2addr_b64 v134, v[140:141], v[162:163] offset0:35 offset1:36
	ds_store_2addr_b64 v134, v[158:159], v[160:161] offset0:37 offset1:38
	;; [unrolled: 1-line block ×9, first 2 shown]
	ds_load_b64 v[48:49], v133
	s_wait_dscnt 0x0
	v_cmp_neq_f32_e32 vcc_lo, 0, v48
	v_cmp_neq_f32_e64 s1, 0, v49
	s_or_b32 s1, vcc_lo, s1
	s_delay_alu instid0(SALU_CYCLE_1)
	s_and_b32 exec_lo, exec_lo, s1
	s_cbranch_execz .LBB105_314
; %bb.309:
	v_cmp_ngt_f32_e64 s1, |v48|, |v49|
                                        ; implicit-def: $vgpr50_vgpr51
	s_and_saveexec_b32 s4, s1
	s_delay_alu instid0(SALU_CYCLE_1)
	s_xor_b32 s1, exec_lo, s4
	s_cbranch_execz .LBB105_311
; %bb.310:
	v_div_scale_f32 v50, null, v49, v49, v48
	v_div_scale_f32 v53, vcc_lo, v48, v49, v48
	s_delay_alu instid0(VALU_DEP_2) | instskip(SKIP_1) | instid1(TRANS32_DEP_1)
	v_rcp_f32_e32 v51, v50
	v_nop
	v_fma_f32 v52, -v50, v51, 1.0
	s_delay_alu instid0(VALU_DEP_1) | instskip(NEXT) | instid1(VALU_DEP_1)
	v_fmac_f32_e32 v51, v52, v51
	v_mul_f32_e32 v52, v53, v51
	s_delay_alu instid0(VALU_DEP_1) | instskip(NEXT) | instid1(VALU_DEP_1)
	v_fma_f32 v66, -v50, v52, v53
	v_fmac_f32_e32 v52, v66, v51
	s_delay_alu instid0(VALU_DEP_1) | instskip(NEXT) | instid1(VALU_DEP_1)
	v_fma_f32 v50, -v50, v52, v53
	v_div_fmas_f32 v50, v50, v51, v52
	s_delay_alu instid0(VALU_DEP_1) | instskip(NEXT) | instid1(VALU_DEP_1)
	v_div_fixup_f32 v50, v50, v49, v48
	v_fmac_f32_e32 v49, v48, v50
	s_delay_alu instid0(VALU_DEP_1) | instskip(SKIP_1) | instid1(VALU_DEP_2)
	v_div_scale_f32 v48, null, v49, v49, 1.0
	v_div_scale_f32 v53, vcc_lo, 1.0, v49, 1.0
	v_rcp_f32_e32 v51, v48
	v_nop
	s_delay_alu instid0(TRANS32_DEP_1) | instskip(NEXT) | instid1(VALU_DEP_1)
	v_fma_f32 v52, -v48, v51, 1.0
	v_fmac_f32_e32 v51, v52, v51
	s_delay_alu instid0(VALU_DEP_1) | instskip(NEXT) | instid1(VALU_DEP_1)
	v_mul_f32_e32 v52, v53, v51
	v_fma_f32 v66, -v48, v52, v53
	s_delay_alu instid0(VALU_DEP_1) | instskip(NEXT) | instid1(VALU_DEP_1)
	v_fmac_f32_e32 v52, v66, v51
	v_fma_f32 v48, -v48, v52, v53
	s_delay_alu instid0(VALU_DEP_1) | instskip(NEXT) | instid1(VALU_DEP_1)
	v_div_fmas_f32 v48, v48, v51, v52
	v_div_fixup_f32 v48, v48, v49, 1.0
	s_delay_alu instid0(VALU_DEP_1)
	v_mul_f32_e32 v50, v50, v48
	v_xor_b32_e32 v51, 0x80000000, v48
                                        ; implicit-def: $vgpr48_vgpr49
.LBB105_311:
	s_and_not1_saveexec_b32 s1, s1
	s_cbranch_execz .LBB105_313
; %bb.312:
	v_div_scale_f32 v50, null, v48, v48, v49
	v_div_scale_f32 v53, vcc_lo, v49, v48, v49
	s_delay_alu instid0(VALU_DEP_2) | instskip(SKIP_1) | instid1(TRANS32_DEP_1)
	v_rcp_f32_e32 v51, v50
	v_nop
	v_fma_f32 v52, -v50, v51, 1.0
	s_delay_alu instid0(VALU_DEP_1) | instskip(NEXT) | instid1(VALU_DEP_1)
	v_fmac_f32_e32 v51, v52, v51
	v_mul_f32_e32 v52, v53, v51
	s_delay_alu instid0(VALU_DEP_1) | instskip(NEXT) | instid1(VALU_DEP_1)
	v_fma_f32 v66, -v50, v52, v53
	v_fmac_f32_e32 v52, v66, v51
	s_delay_alu instid0(VALU_DEP_1) | instskip(NEXT) | instid1(VALU_DEP_1)
	v_fma_f32 v50, -v50, v52, v53
	v_div_fmas_f32 v50, v50, v51, v52
	s_delay_alu instid0(VALU_DEP_1) | instskip(NEXT) | instid1(VALU_DEP_1)
	v_div_fixup_f32 v51, v50, v48, v49
	v_fmac_f32_e32 v48, v49, v51
	s_delay_alu instid0(VALU_DEP_1) | instskip(NEXT) | instid1(VALU_DEP_1)
	v_div_scale_f32 v49, null, v48, v48, 1.0
	v_rcp_f32_e32 v50, v49
	v_nop
	s_delay_alu instid0(TRANS32_DEP_1) | instskip(NEXT) | instid1(VALU_DEP_1)
	v_fma_f32 v52, -v49, v50, 1.0
	v_fmac_f32_e32 v50, v52, v50
	v_div_scale_f32 v52, vcc_lo, 1.0, v48, 1.0
	s_delay_alu instid0(VALU_DEP_1) | instskip(NEXT) | instid1(VALU_DEP_1)
	v_mul_f32_e32 v53, v52, v50
	v_fma_f32 v66, -v49, v53, v52
	s_delay_alu instid0(VALU_DEP_1) | instskip(NEXT) | instid1(VALU_DEP_1)
	v_fmac_f32_e32 v53, v66, v50
	v_fma_f32 v49, -v49, v53, v52
	s_delay_alu instid0(VALU_DEP_1) | instskip(NEXT) | instid1(VALU_DEP_1)
	v_div_fmas_f32 v49, v49, v50, v53
	v_div_fixup_f32 v50, v49, v48, 1.0
	s_delay_alu instid0(VALU_DEP_1)
	v_mul_f32_e64 v51, v51, -v50
.LBB105_313:
	s_or_b32 exec_lo, exec_lo, s1
	ds_store_b64 v133, v[50:51]
.LBB105_314:
	s_or_b32 exec_lo, exec_lo, s2
	s_wait_dscnt 0x0
	s_barrier_signal -1
	s_barrier_wait -1
	ds_load_b64 v[48:49], v133
	s_mov_b32 s1, exec_lo
	v_cmpx_lt_u32_e32 34, v132
	s_cbranch_execz .LBB105_316
; %bb.315:
	ds_load_2addr_b64 v[66:69], v134 offset0:35 offset1:36
	s_wait_dscnt 0x1
	v_pk_mul_f32 v[52:53], v[48:49], v[144:145] op_sel:[1,1] op_sel_hi:[0,1]
	s_delay_alu instid0(VALU_DEP_1) | instskip(SKIP_1) | instid1(VALU_DEP_1)
	v_pk_fma_f32 v[50:51], v[48:49], v[144:145], v[52:53] op_sel_hi:[1,0,1] neg_lo:[0,0,1] neg_hi:[0,0,1]
	v_pk_fma_f32 v[52:53], v[48:49], v[144:145], v[52:53] op_sel_hi:[1,0,1]
	v_dual_mov_b32 v144, v50 :: v_dual_mov_b32 v145, v53
	s_wait_dscnt 0x0
	s_delay_alu instid0(VALU_DEP_2) | instskip(NEXT) | instid1(VALU_DEP_1)
	v_pk_mul_f32 v[70:71], v[66:67], v[52:53] op_sel:[0,1]
	v_pk_fma_f32 v[72:73], v[66:67], v[50:51], v[70:71] op_sel:[0,0,1] op_sel_hi:[1,1,0] neg_lo:[0,0,1] neg_hi:[0,0,1]
	v_pk_fma_f32 v[66:67], v[66:67], v[50:51], v[70:71] op_sel:[0,0,1] op_sel_hi:[1,0,0]
	s_delay_alu instid0(VALU_DEP_1) | instskip(SKIP_1) | instid1(VALU_DEP_1)
	v_mov_b32_e32 v73, v67
	v_pk_mul_f32 v[66:67], v[68:69], v[52:53] op_sel:[0,1]
	v_pk_fma_f32 v[70:71], v[68:69], v[50:51], v[66:67] op_sel:[0,0,1] op_sel_hi:[1,1,0] neg_lo:[0,0,1] neg_hi:[0,0,1]
	v_pk_fma_f32 v[66:67], v[68:69], v[50:51], v[66:67] op_sel:[0,0,1] op_sel_hi:[1,0,0]
	s_delay_alu instid0(VALU_DEP_1)
	v_mov_b32_e32 v71, v67
	ds_load_2addr_b64 v[66:69], v134 offset0:37 offset1:38
	v_pk_add_f32 v[140:141], v[140:141], v[72:73] neg_lo:[0,1] neg_hi:[0,1]
	v_pk_add_f32 v[162:163], v[162:163], v[70:71] neg_lo:[0,1] neg_hi:[0,1]
	s_wait_dscnt 0x0
	v_pk_mul_f32 v[70:71], v[66:67], v[52:53] op_sel:[0,1]
	s_delay_alu instid0(VALU_DEP_1) | instskip(SKIP_2) | instid1(VALU_DEP_2)
	v_pk_fma_f32 v[72:73], v[66:67], v[50:51], v[70:71] op_sel:[0,0,1] op_sel_hi:[1,1,0] neg_lo:[0,0,1] neg_hi:[0,0,1]
	v_pk_fma_f32 v[66:67], v[66:67], v[50:51], v[70:71] op_sel:[0,0,1] op_sel_hi:[1,0,0]
	v_dual_mul_f32 v70, v69, v53 :: v_dual_mov_b32 v66, v69
	v_dual_mov_b32 v73, v67 :: v_dual_mov_b32 v67, v68
	s_delay_alu instid0(VALU_DEP_2) | instskip(SKIP_1) | instid1(VALU_DEP_3)
	v_pk_fma_f32 v[70:71], v[68:69], v[144:145], v[70:71] op_sel_hi:[1,1,0] neg_lo:[0,0,1] neg_hi:[0,0,1]
	v_mul_f32_e32 v68, v69, v50
	v_pk_add_f32 v[158:159], v[158:159], v[72:73] neg_lo:[0,1] neg_hi:[0,1]
	s_delay_alu instid0(VALU_DEP_2) | instskip(NEXT) | instid1(VALU_DEP_1)
	v_pk_fma_f32 v[66:67], v[66:67], v[144:145], v[68:69] op_sel_hi:[1,1,0]
	v_mov_b32_e32 v71, v67
	ds_load_2addr_b64 v[66:69], v134 offset0:39 offset1:40
	v_pk_add_f32 v[160:161], v[160:161], v[70:71] neg_lo:[0,1] neg_hi:[0,1]
	s_wait_dscnt 0x0
	v_pk_mul_f32 v[70:71], v[66:67], v[52:53] op_sel:[0,1]
	s_delay_alu instid0(VALU_DEP_1) | instskip(SKIP_1) | instid1(VALU_DEP_1)
	v_pk_fma_f32 v[72:73], v[66:67], v[50:51], v[70:71] op_sel:[0,0,1] op_sel_hi:[1,1,0] neg_lo:[0,0,1] neg_hi:[0,0,1]
	v_pk_fma_f32 v[66:67], v[66:67], v[50:51], v[70:71] op_sel:[0,0,1] op_sel_hi:[1,0,0]
	v_mov_b32_e32 v73, v67
	v_pk_mul_f32 v[66:67], v[68:69], v[52:53] op_sel:[0,1]
	s_delay_alu instid0(VALU_DEP_1) | instskip(SKIP_1) | instid1(VALU_DEP_1)
	v_pk_fma_f32 v[70:71], v[68:69], v[50:51], v[66:67] op_sel:[0,0,1] op_sel_hi:[1,1,0] neg_lo:[0,0,1] neg_hi:[0,0,1]
	v_pk_fma_f32 v[66:67], v[68:69], v[50:51], v[66:67] op_sel:[0,0,1] op_sel_hi:[1,0,0]
	v_mov_b32_e32 v71, v67
	ds_load_2addr_b64 v[66:69], v134 offset0:41 offset1:42
	v_pk_add_f32 v[156:157], v[156:157], v[72:73] neg_lo:[0,1] neg_hi:[0,1]
	v_pk_add_f32 v[184:185], v[184:185], v[70:71] neg_lo:[0,1] neg_hi:[0,1]
	s_wait_dscnt 0x0
	v_pk_mul_f32 v[70:71], v[66:67], v[52:53] op_sel:[0,1]
	s_delay_alu instid0(VALU_DEP_1) | instskip(SKIP_1) | instid1(VALU_DEP_1)
	v_pk_fma_f32 v[72:73], v[66:67], v[50:51], v[70:71] op_sel:[0,0,1] op_sel_hi:[1,1,0] neg_lo:[0,0,1] neg_hi:[0,0,1]
	v_pk_fma_f32 v[66:67], v[66:67], v[50:51], v[70:71] op_sel:[0,0,1] op_sel_hi:[1,0,0]
	v_mov_b32_e32 v73, v67
	v_pk_mul_f32 v[66:67], v[68:69], v[52:53] op_sel:[0,1]
	s_delay_alu instid0(VALU_DEP_1) | instskip(SKIP_1) | instid1(VALU_DEP_1)
	v_pk_fma_f32 v[70:71], v[68:69], v[50:51], v[66:67] op_sel:[0,0,1] op_sel_hi:[1,1,0] neg_lo:[0,0,1] neg_hi:[0,0,1]
	v_pk_fma_f32 v[66:67], v[68:69], v[50:51], v[66:67] op_sel:[0,0,1] op_sel_hi:[1,0,0]
	v_mov_b32_e32 v71, v67
	ds_load_2addr_b64 v[66:69], v134 offset0:43 offset1:44
	v_pk_add_f32 v[180:181], v[180:181], v[72:73] neg_lo:[0,1] neg_hi:[0,1]
	v_pk_add_f32 v[182:183], v[182:183], v[70:71] neg_lo:[0,1] neg_hi:[0,1]
	s_wait_dscnt 0x0
	v_dual_mul_f32 v70, v67, v53 :: v_dual_mul_f32 v72, v67, v50
	s_delay_alu instid0(VALU_DEP_1) | instskip(NEXT) | instid1(VALU_DEP_2)
	v_pk_fma_f32 v[70:71], v[66:67], v[144:145], v[70:71] op_sel_hi:[1,1,0] neg_lo:[0,0,1] neg_hi:[0,0,1]
	v_pk_fma_f32 v[66:67], v[66:67], v[144:145], v[72:73] op_sel:[1,0,0] op_sel_hi:[0,1,0]
	s_delay_alu instid0(VALU_DEP_1) | instskip(SKIP_1) | instid1(VALU_DEP_2)
	v_mov_b32_e32 v71, v67
	v_pk_mul_f32 v[66:67], v[68:69], v[52:53] op_sel:[0,1]
	v_pk_add_f32 v[178:179], v[178:179], v[70:71] neg_lo:[0,1] neg_hi:[0,1]
	s_delay_alu instid0(VALU_DEP_2) | instskip(SKIP_1) | instid1(VALU_DEP_1)
	v_pk_fma_f32 v[70:71], v[68:69], v[50:51], v[66:67] op_sel:[0,0,1] op_sel_hi:[1,1,0] neg_lo:[0,0,1] neg_hi:[0,0,1]
	v_pk_fma_f32 v[66:67], v[68:69], v[50:51], v[66:67] op_sel:[0,0,1] op_sel_hi:[1,0,0]
	v_mov_b32_e32 v71, v67
	ds_load_2addr_b64 v[66:69], v134 offset0:45 offset1:46
	v_pk_add_f32 v[208:209], v[208:209], v[70:71] neg_lo:[0,1] neg_hi:[0,1]
	s_wait_dscnt 0x0
	v_pk_mul_f32 v[70:71], v[66:67], v[52:53] op_sel:[0,1]
	s_delay_alu instid0(VALU_DEP_1) | instskip(SKIP_1) | instid1(VALU_DEP_1)
	v_pk_fma_f32 v[72:73], v[66:67], v[50:51], v[70:71] op_sel:[0,0,1] op_sel_hi:[1,1,0] neg_lo:[0,0,1] neg_hi:[0,0,1]
	v_pk_fma_f32 v[66:67], v[66:67], v[50:51], v[70:71] op_sel:[0,0,1] op_sel_hi:[1,0,0]
	v_mov_b32_e32 v73, v67
	v_pk_mul_f32 v[66:67], v[68:69], v[52:53] op_sel:[0,1]
	s_delay_alu instid0(VALU_DEP_2) | instskip(NEXT) | instid1(VALU_DEP_2)
	v_pk_add_f32 v[200:201], v[200:201], v[72:73] neg_lo:[0,1] neg_hi:[0,1]
	v_pk_fma_f32 v[70:71], v[68:69], v[50:51], v[66:67] op_sel:[0,0,1] op_sel_hi:[1,1,0] neg_lo:[0,0,1] neg_hi:[0,0,1]
	v_pk_fma_f32 v[66:67], v[68:69], v[50:51], v[66:67] op_sel:[0,0,1] op_sel_hi:[1,0,0]
	s_delay_alu instid0(VALU_DEP_1) | instskip(SKIP_4) | instid1(VALU_DEP_1)
	v_mov_b32_e32 v71, v67
	ds_load_2addr_b64 v[66:69], v134 offset0:47 offset1:48
	v_pk_add_f32 v[206:207], v[206:207], v[70:71] neg_lo:[0,1] neg_hi:[0,1]
	s_wait_dscnt 0x0
	v_pk_mul_f32 v[70:71], v[66:67], v[52:53] op_sel:[0,1]
	v_pk_fma_f32 v[72:73], v[66:67], v[50:51], v[70:71] op_sel:[0,0,1] op_sel_hi:[1,1,0] neg_lo:[0,0,1] neg_hi:[0,0,1]
	v_pk_fma_f32 v[66:67], v[66:67], v[50:51], v[70:71] op_sel:[0,0,1] op_sel_hi:[1,0,0]
	v_dual_mul_f32 v70, v69, v53 :: v_dual_mov_b32 v66, v69
	s_delay_alu instid0(VALU_DEP_2) | instskip(NEXT) | instid1(VALU_DEP_2)
	v_dual_mov_b32 v73, v67 :: v_dual_mov_b32 v67, v68
	v_pk_fma_f32 v[70:71], v[68:69], v[144:145], v[70:71] op_sel_hi:[1,1,0] neg_lo:[0,0,1] neg_hi:[0,0,1]
	v_mul_f32_e32 v68, v69, v50
	s_delay_alu instid0(VALU_DEP_3) | instskip(NEXT) | instid1(VALU_DEP_2)
	v_pk_add_f32 v[198:199], v[198:199], v[72:73] neg_lo:[0,1] neg_hi:[0,1]
	v_pk_fma_f32 v[66:67], v[66:67], v[144:145], v[68:69] op_sel_hi:[1,1,0]
	s_delay_alu instid0(VALU_DEP_1) | instskip(SKIP_4) | instid1(VALU_DEP_1)
	v_mov_b32_e32 v71, v67
	ds_load_2addr_b64 v[66:69], v134 offset0:49 offset1:50
	v_pk_add_f32 v[204:205], v[204:205], v[70:71] neg_lo:[0,1] neg_hi:[0,1]
	s_wait_dscnt 0x0
	v_pk_mul_f32 v[70:71], v[66:67], v[52:53] op_sel:[0,1]
	v_pk_fma_f32 v[72:73], v[66:67], v[50:51], v[70:71] op_sel:[0,0,1] op_sel_hi:[1,1,0] neg_lo:[0,0,1] neg_hi:[0,0,1]
	v_pk_fma_f32 v[66:67], v[66:67], v[50:51], v[70:71] op_sel:[0,0,1] op_sel_hi:[1,0,0]
	s_delay_alu instid0(VALU_DEP_1) | instskip(SKIP_1) | instid1(VALU_DEP_1)
	v_mov_b32_e32 v73, v67
	v_pk_mul_f32 v[66:67], v[68:69], v[52:53] op_sel:[0,1]
	v_pk_fma_f32 v[70:71], v[68:69], v[50:51], v[66:67] op_sel:[0,0,1] op_sel_hi:[1,1,0] neg_lo:[0,0,1] neg_hi:[0,0,1]
	v_pk_fma_f32 v[66:67], v[68:69], v[50:51], v[66:67] op_sel:[0,0,1] op_sel_hi:[1,0,0]
	s_delay_alu instid0(VALU_DEP_1)
	v_mov_b32_e32 v71, v67
	ds_load_2addr_b64 v[66:69], v134 offset0:51 offset1:52
	v_pk_add_f32 v[196:197], v[196:197], v[72:73] neg_lo:[0,1] neg_hi:[0,1]
	v_pk_add_f32 v[202:203], v[202:203], v[70:71] neg_lo:[0,1] neg_hi:[0,1]
	s_wait_dscnt 0x0
	v_pk_mul_f32 v[70:71], v[66:67], v[52:53] op_sel:[0,1]
	v_mul_f32_e32 v52, v69, v53
	s_delay_alu instid0(VALU_DEP_2) | instskip(SKIP_2) | instid1(VALU_DEP_4)
	v_pk_fma_f32 v[72:73], v[66:67], v[50:51], v[70:71] op_sel:[0,0,1] op_sel_hi:[1,1,0] neg_lo:[0,0,1] neg_hi:[0,0,1]
	v_pk_fma_f32 v[66:67], v[66:67], v[50:51], v[70:71] op_sel:[0,0,1] op_sel_hi:[1,0,0]
	v_dual_mov_b32 v66, v69 :: v_dual_mul_f32 v50, v69, v50
	v_pk_fma_f32 v[52:53], v[68:69], v[144:145], v[52:53] op_sel_hi:[1,1,0] neg_lo:[0,0,1] neg_hi:[0,0,1]
	s_delay_alu instid0(VALU_DEP_3) | instskip(NEXT) | instid1(VALU_DEP_1)
	v_dual_mov_b32 v73, v67 :: v_dual_mov_b32 v67, v68
	v_pk_add_f32 v[210:211], v[210:211], v[72:73] neg_lo:[0,1] neg_hi:[0,1]
	s_delay_alu instid0(VALU_DEP_2) | instskip(NEXT) | instid1(VALU_DEP_1)
	v_pk_fma_f32 v[50:51], v[66:67], v[144:145], v[50:51] op_sel_hi:[1,1,0]
	v_mov_b32_e32 v53, v51
	s_delay_alu instid0(VALU_DEP_1)
	v_pk_add_f32 v[212:213], v[212:213], v[52:53] neg_lo:[0,1] neg_hi:[0,1]
.LBB105_316:
	s_or_b32 exec_lo, exec_lo, s1
	s_delay_alu instid0(SALU_CYCLE_1)
	s_mov_b32 s2, exec_lo
	s_wait_dscnt 0x0
	s_barrier_signal -1
	s_barrier_wait -1
	v_cmpx_eq_u32_e32 35, v132
	s_cbranch_execz .LBB105_323
; %bb.317:
	v_dual_mov_b32 v50, v162 :: v_dual_mov_b32 v51, v163
	v_dual_mov_b32 v52, v158 :: v_dual_mov_b32 v53, v159
	ds_store_b64 v133, v[140:141]
	ds_store_2addr_b64 v134, v[50:51], v[52:53] offset0:36 offset1:37
	v_dual_mov_b32 v50, v160 :: v_dual_mov_b32 v51, v161
	v_dual_mov_b32 v52, v156 :: v_dual_mov_b32 v53, v157
	ds_store_2addr_b64 v134, v[50:51], v[52:53] offset0:38 offset1:39
	v_dual_mov_b32 v50, v184 :: v_dual_mov_b32 v51, v185
	v_dual_mov_b32 v52, v180 :: v_dual_mov_b32 v53, v181
	;; [unrolled: 3-line block ×7, first 2 shown]
	ds_store_2addr_b64 v134, v[50:51], v[52:53] offset0:50 offset1:51
	ds_store_b64 v134, v[212:213] offset:416
	ds_load_b64 v[50:51], v133
	s_wait_dscnt 0x0
	v_cmp_neq_f32_e32 vcc_lo, 0, v50
	v_cmp_neq_f32_e64 s1, 0, v51
	s_or_b32 s1, vcc_lo, s1
	s_delay_alu instid0(SALU_CYCLE_1)
	s_and_b32 exec_lo, exec_lo, s1
	s_cbranch_execz .LBB105_323
; %bb.318:
	v_cmp_ngt_f32_e64 s1, |v50|, |v51|
                                        ; implicit-def: $vgpr52_vgpr53
	s_and_saveexec_b32 s4, s1
	s_delay_alu instid0(SALU_CYCLE_1)
	s_xor_b32 s1, exec_lo, s4
	s_cbranch_execz .LBB105_320
; %bb.319:
	v_div_scale_f32 v52, null, v51, v51, v50
	v_div_scale_f32 v67, vcc_lo, v50, v51, v50
	s_delay_alu instid0(VALU_DEP_2) | instskip(SKIP_1) | instid1(TRANS32_DEP_1)
	v_rcp_f32_e32 v53, v52
	v_nop
	v_fma_f32 v66, -v52, v53, 1.0
	s_delay_alu instid0(VALU_DEP_1) | instskip(NEXT) | instid1(VALU_DEP_1)
	v_fmac_f32_e32 v53, v66, v53
	v_mul_f32_e32 v66, v67, v53
	s_delay_alu instid0(VALU_DEP_1) | instskip(NEXT) | instid1(VALU_DEP_1)
	v_fma_f32 v68, -v52, v66, v67
	v_fmac_f32_e32 v66, v68, v53
	s_delay_alu instid0(VALU_DEP_1) | instskip(NEXT) | instid1(VALU_DEP_1)
	v_fma_f32 v52, -v52, v66, v67
	v_div_fmas_f32 v52, v52, v53, v66
	s_delay_alu instid0(VALU_DEP_1) | instskip(NEXT) | instid1(VALU_DEP_1)
	v_div_fixup_f32 v52, v52, v51, v50
	v_fmac_f32_e32 v51, v50, v52
	s_delay_alu instid0(VALU_DEP_1) | instskip(SKIP_1) | instid1(VALU_DEP_2)
	v_div_scale_f32 v50, null, v51, v51, 1.0
	v_div_scale_f32 v67, vcc_lo, 1.0, v51, 1.0
	v_rcp_f32_e32 v53, v50
	v_nop
	s_delay_alu instid0(TRANS32_DEP_1) | instskip(NEXT) | instid1(VALU_DEP_1)
	v_fma_f32 v66, -v50, v53, 1.0
	v_fmac_f32_e32 v53, v66, v53
	s_delay_alu instid0(VALU_DEP_1) | instskip(NEXT) | instid1(VALU_DEP_1)
	v_mul_f32_e32 v66, v67, v53
	v_fma_f32 v68, -v50, v66, v67
	s_delay_alu instid0(VALU_DEP_1) | instskip(NEXT) | instid1(VALU_DEP_1)
	v_fmac_f32_e32 v66, v68, v53
	v_fma_f32 v50, -v50, v66, v67
	s_delay_alu instid0(VALU_DEP_1) | instskip(NEXT) | instid1(VALU_DEP_1)
	v_div_fmas_f32 v50, v50, v53, v66
	v_div_fixup_f32 v50, v50, v51, 1.0
	s_delay_alu instid0(VALU_DEP_1)
	v_mul_f32_e32 v52, v52, v50
	v_xor_b32_e32 v53, 0x80000000, v50
                                        ; implicit-def: $vgpr50_vgpr51
.LBB105_320:
	s_and_not1_saveexec_b32 s1, s1
	s_cbranch_execz .LBB105_322
; %bb.321:
	v_div_scale_f32 v52, null, v50, v50, v51
	v_div_scale_f32 v67, vcc_lo, v51, v50, v51
	s_delay_alu instid0(VALU_DEP_2) | instskip(SKIP_1) | instid1(TRANS32_DEP_1)
	v_rcp_f32_e32 v53, v52
	v_nop
	v_fma_f32 v66, -v52, v53, 1.0
	s_delay_alu instid0(VALU_DEP_1) | instskip(NEXT) | instid1(VALU_DEP_1)
	v_fmac_f32_e32 v53, v66, v53
	v_mul_f32_e32 v66, v67, v53
	s_delay_alu instid0(VALU_DEP_1) | instskip(NEXT) | instid1(VALU_DEP_1)
	v_fma_f32 v68, -v52, v66, v67
	v_fmac_f32_e32 v66, v68, v53
	s_delay_alu instid0(VALU_DEP_1) | instskip(NEXT) | instid1(VALU_DEP_1)
	v_fma_f32 v52, -v52, v66, v67
	v_div_fmas_f32 v52, v52, v53, v66
	s_delay_alu instid0(VALU_DEP_1) | instskip(NEXT) | instid1(VALU_DEP_1)
	v_div_fixup_f32 v53, v52, v50, v51
	v_fmac_f32_e32 v50, v51, v53
	s_delay_alu instid0(VALU_DEP_1) | instskip(NEXT) | instid1(VALU_DEP_1)
	v_div_scale_f32 v51, null, v50, v50, 1.0
	v_rcp_f32_e32 v52, v51
	v_nop
	s_delay_alu instid0(TRANS32_DEP_1) | instskip(NEXT) | instid1(VALU_DEP_1)
	v_fma_f32 v66, -v51, v52, 1.0
	v_fmac_f32_e32 v52, v66, v52
	v_div_scale_f32 v66, vcc_lo, 1.0, v50, 1.0
	s_delay_alu instid0(VALU_DEP_1) | instskip(NEXT) | instid1(VALU_DEP_1)
	v_mul_f32_e32 v67, v66, v52
	v_fma_f32 v68, -v51, v67, v66
	s_delay_alu instid0(VALU_DEP_1) | instskip(NEXT) | instid1(VALU_DEP_1)
	v_fmac_f32_e32 v67, v68, v52
	v_fma_f32 v51, -v51, v67, v66
	s_delay_alu instid0(VALU_DEP_1) | instskip(NEXT) | instid1(VALU_DEP_1)
	v_div_fmas_f32 v51, v51, v52, v67
	v_div_fixup_f32 v52, v51, v50, 1.0
	s_delay_alu instid0(VALU_DEP_1)
	v_mul_f32_e64 v53, v53, -v52
.LBB105_322:
	s_or_b32 exec_lo, exec_lo, s1
	ds_store_b64 v133, v[52:53]
.LBB105_323:
	s_or_b32 exec_lo, exec_lo, s2
	s_wait_dscnt 0x0
	s_barrier_signal -1
	s_barrier_wait -1
	ds_load_b64 v[50:51], v133
	s_mov_b32 s1, exec_lo
	v_cmpx_lt_u32_e32 35, v132
	s_cbranch_execz .LBB105_325
; %bb.324:
	ds_load_2addr_b64 v[68:71], v134 offset0:36 offset1:37
	s_wait_dscnt 0x1
	v_pk_mul_f32 v[66:67], v[50:51], v[140:141] op_sel:[1,1] op_sel_hi:[0,1]
	s_delay_alu instid0(VALU_DEP_1) | instskip(SKIP_1) | instid1(VALU_DEP_1)
	v_pk_fma_f32 v[52:53], v[50:51], v[140:141], v[66:67] op_sel_hi:[1,0,1] neg_lo:[0,0,1] neg_hi:[0,0,1]
	v_pk_fma_f32 v[66:67], v[50:51], v[140:141], v[66:67] op_sel_hi:[1,0,1]
	v_dual_mov_b32 v140, v52 :: v_dual_mov_b32 v141, v67
	s_wait_dscnt 0x0
	s_delay_alu instid0(VALU_DEP_2) | instskip(NEXT) | instid1(VALU_DEP_1)
	v_pk_mul_f32 v[72:73], v[68:69], v[66:67] op_sel:[0,1]
	v_pk_fma_f32 v[82:83], v[68:69], v[52:53], v[72:73] op_sel:[0,0,1] op_sel_hi:[1,1,0] neg_lo:[0,0,1] neg_hi:[0,0,1]
	v_pk_fma_f32 v[68:69], v[68:69], v[52:53], v[72:73] op_sel:[0,0,1] op_sel_hi:[1,0,0]
	s_delay_alu instid0(VALU_DEP_1) | instskip(SKIP_1) | instid1(VALU_DEP_1)
	v_mov_b32_e32 v83, v69
	v_pk_mul_f32 v[68:69], v[70:71], v[66:67] op_sel:[0,1]
	v_pk_fma_f32 v[72:73], v[70:71], v[52:53], v[68:69] op_sel:[0,0,1] op_sel_hi:[1,1,0] neg_lo:[0,0,1] neg_hi:[0,0,1]
	v_pk_fma_f32 v[68:69], v[70:71], v[52:53], v[68:69] op_sel:[0,0,1] op_sel_hi:[1,0,0]
	s_delay_alu instid0(VALU_DEP_1)
	v_mov_b32_e32 v73, v69
	ds_load_2addr_b64 v[68:71], v134 offset0:38 offset1:39
	v_pk_add_f32 v[162:163], v[162:163], v[82:83] neg_lo:[0,1] neg_hi:[0,1]
	v_pk_add_f32 v[158:159], v[158:159], v[72:73] neg_lo:[0,1] neg_hi:[0,1]
	s_wait_dscnt 0x0
	v_pk_mul_f32 v[72:73], v[68:69], v[66:67] op_sel:[0,1]
	s_delay_alu instid0(VALU_DEP_1) | instskip(SKIP_2) | instid1(VALU_DEP_2)
	v_pk_fma_f32 v[82:83], v[68:69], v[52:53], v[72:73] op_sel:[0,0,1] op_sel_hi:[1,1,0] neg_lo:[0,0,1] neg_hi:[0,0,1]
	v_pk_fma_f32 v[68:69], v[68:69], v[52:53], v[72:73] op_sel:[0,0,1] op_sel_hi:[1,0,0]
	v_dual_mul_f32 v72, v71, v67 :: v_dual_mov_b32 v68, v71
	v_dual_mov_b32 v83, v69 :: v_dual_mov_b32 v69, v70
	s_delay_alu instid0(VALU_DEP_2) | instskip(SKIP_1) | instid1(VALU_DEP_3)
	v_pk_fma_f32 v[72:73], v[70:71], v[140:141], v[72:73] op_sel_hi:[1,1,0] neg_lo:[0,0,1] neg_hi:[0,0,1]
	v_mul_f32_e32 v70, v71, v52
	v_pk_add_f32 v[160:161], v[160:161], v[82:83] neg_lo:[0,1] neg_hi:[0,1]
	s_delay_alu instid0(VALU_DEP_2) | instskip(NEXT) | instid1(VALU_DEP_1)
	v_pk_fma_f32 v[68:69], v[68:69], v[140:141], v[70:71] op_sel_hi:[1,1,0]
	v_mov_b32_e32 v73, v69
	ds_load_2addr_b64 v[68:71], v134 offset0:40 offset1:41
	v_pk_add_f32 v[156:157], v[156:157], v[72:73] neg_lo:[0,1] neg_hi:[0,1]
	s_wait_dscnt 0x0
	v_pk_mul_f32 v[72:73], v[68:69], v[66:67] op_sel:[0,1]
	s_delay_alu instid0(VALU_DEP_1) | instskip(SKIP_1) | instid1(VALU_DEP_1)
	v_pk_fma_f32 v[82:83], v[68:69], v[52:53], v[72:73] op_sel:[0,0,1] op_sel_hi:[1,1,0] neg_lo:[0,0,1] neg_hi:[0,0,1]
	v_pk_fma_f32 v[68:69], v[68:69], v[52:53], v[72:73] op_sel:[0,0,1] op_sel_hi:[1,0,0]
	v_mov_b32_e32 v83, v69
	v_pk_mul_f32 v[68:69], v[70:71], v[66:67] op_sel:[0,1]
	s_delay_alu instid0(VALU_DEP_1) | instskip(SKIP_1) | instid1(VALU_DEP_1)
	v_pk_fma_f32 v[72:73], v[70:71], v[52:53], v[68:69] op_sel:[0,0,1] op_sel_hi:[1,1,0] neg_lo:[0,0,1] neg_hi:[0,0,1]
	v_pk_fma_f32 v[68:69], v[70:71], v[52:53], v[68:69] op_sel:[0,0,1] op_sel_hi:[1,0,0]
	v_mov_b32_e32 v73, v69
	ds_load_2addr_b64 v[68:71], v134 offset0:42 offset1:43
	v_pk_add_f32 v[184:185], v[184:185], v[82:83] neg_lo:[0,1] neg_hi:[0,1]
	v_pk_add_f32 v[180:181], v[180:181], v[72:73] neg_lo:[0,1] neg_hi:[0,1]
	s_wait_dscnt 0x0
	v_pk_mul_f32 v[72:73], v[68:69], v[66:67] op_sel:[0,1]
	s_delay_alu instid0(VALU_DEP_1) | instskip(SKIP_1) | instid1(VALU_DEP_1)
	v_pk_fma_f32 v[82:83], v[68:69], v[52:53], v[72:73] op_sel:[0,0,1] op_sel_hi:[1,1,0] neg_lo:[0,0,1] neg_hi:[0,0,1]
	v_pk_fma_f32 v[68:69], v[68:69], v[52:53], v[72:73] op_sel:[0,0,1] op_sel_hi:[1,0,0]
	v_mov_b32_e32 v83, v69
	v_pk_mul_f32 v[68:69], v[70:71], v[66:67] op_sel:[0,1]
	s_delay_alu instid0(VALU_DEP_1) | instskip(SKIP_1) | instid1(VALU_DEP_1)
	v_pk_fma_f32 v[72:73], v[70:71], v[52:53], v[68:69] op_sel:[0,0,1] op_sel_hi:[1,1,0] neg_lo:[0,0,1] neg_hi:[0,0,1]
	v_pk_fma_f32 v[68:69], v[70:71], v[52:53], v[68:69] op_sel:[0,0,1] op_sel_hi:[1,0,0]
	v_mov_b32_e32 v73, v69
	ds_load_2addr_b64 v[68:71], v134 offset0:44 offset1:45
	v_pk_add_f32 v[182:183], v[182:183], v[82:83] neg_lo:[0,1] neg_hi:[0,1]
	v_pk_add_f32 v[178:179], v[178:179], v[72:73] neg_lo:[0,1] neg_hi:[0,1]
	s_wait_dscnt 0x0
	v_dual_mul_f32 v72, v69, v67 :: v_dual_mul_f32 v82, v69, v52
	s_delay_alu instid0(VALU_DEP_1) | instskip(NEXT) | instid1(VALU_DEP_2)
	v_pk_fma_f32 v[72:73], v[68:69], v[140:141], v[72:73] op_sel_hi:[1,1,0] neg_lo:[0,0,1] neg_hi:[0,0,1]
	v_pk_fma_f32 v[68:69], v[68:69], v[140:141], v[82:83] op_sel:[1,0,0] op_sel_hi:[0,1,0]
	s_delay_alu instid0(VALU_DEP_1) | instskip(SKIP_1) | instid1(VALU_DEP_2)
	v_mov_b32_e32 v73, v69
	v_pk_mul_f32 v[68:69], v[70:71], v[66:67] op_sel:[0,1]
	v_pk_add_f32 v[208:209], v[208:209], v[72:73] neg_lo:[0,1] neg_hi:[0,1]
	s_delay_alu instid0(VALU_DEP_2) | instskip(SKIP_1) | instid1(VALU_DEP_1)
	v_pk_fma_f32 v[72:73], v[70:71], v[52:53], v[68:69] op_sel:[0,0,1] op_sel_hi:[1,1,0] neg_lo:[0,0,1] neg_hi:[0,0,1]
	v_pk_fma_f32 v[68:69], v[70:71], v[52:53], v[68:69] op_sel:[0,0,1] op_sel_hi:[1,0,0]
	v_mov_b32_e32 v73, v69
	ds_load_2addr_b64 v[68:71], v134 offset0:46 offset1:47
	v_pk_add_f32 v[200:201], v[200:201], v[72:73] neg_lo:[0,1] neg_hi:[0,1]
	s_wait_dscnt 0x0
	v_pk_mul_f32 v[72:73], v[68:69], v[66:67] op_sel:[0,1]
	s_delay_alu instid0(VALU_DEP_1) | instskip(SKIP_1) | instid1(VALU_DEP_1)
	v_pk_fma_f32 v[82:83], v[68:69], v[52:53], v[72:73] op_sel:[0,0,1] op_sel_hi:[1,1,0] neg_lo:[0,0,1] neg_hi:[0,0,1]
	v_pk_fma_f32 v[68:69], v[68:69], v[52:53], v[72:73] op_sel:[0,0,1] op_sel_hi:[1,0,0]
	v_mov_b32_e32 v83, v69
	v_pk_mul_f32 v[68:69], v[70:71], v[66:67] op_sel:[0,1]
	s_delay_alu instid0(VALU_DEP_2) | instskip(NEXT) | instid1(VALU_DEP_2)
	v_pk_add_f32 v[206:207], v[206:207], v[82:83] neg_lo:[0,1] neg_hi:[0,1]
	v_pk_fma_f32 v[72:73], v[70:71], v[52:53], v[68:69] op_sel:[0,0,1] op_sel_hi:[1,1,0] neg_lo:[0,0,1] neg_hi:[0,0,1]
	v_pk_fma_f32 v[68:69], v[70:71], v[52:53], v[68:69] op_sel:[0,0,1] op_sel_hi:[1,0,0]
	s_delay_alu instid0(VALU_DEP_1) | instskip(SKIP_4) | instid1(VALU_DEP_1)
	v_mov_b32_e32 v73, v69
	ds_load_2addr_b64 v[68:71], v134 offset0:48 offset1:49
	v_pk_add_f32 v[198:199], v[198:199], v[72:73] neg_lo:[0,1] neg_hi:[0,1]
	s_wait_dscnt 0x0
	v_pk_mul_f32 v[72:73], v[68:69], v[66:67] op_sel:[0,1]
	v_pk_fma_f32 v[82:83], v[68:69], v[52:53], v[72:73] op_sel:[0,0,1] op_sel_hi:[1,1,0] neg_lo:[0,0,1] neg_hi:[0,0,1]
	v_pk_fma_f32 v[68:69], v[68:69], v[52:53], v[72:73] op_sel:[0,0,1] op_sel_hi:[1,0,0]
	v_dual_mul_f32 v72, v71, v67 :: v_dual_mov_b32 v68, v71
	s_delay_alu instid0(VALU_DEP_2) | instskip(NEXT) | instid1(VALU_DEP_2)
	v_dual_mov_b32 v83, v69 :: v_dual_mov_b32 v69, v70
	v_pk_fma_f32 v[72:73], v[70:71], v[140:141], v[72:73] op_sel_hi:[1,1,0] neg_lo:[0,0,1] neg_hi:[0,0,1]
	v_mul_f32_e32 v70, v71, v52
	s_delay_alu instid0(VALU_DEP_3) | instskip(NEXT) | instid1(VALU_DEP_2)
	v_pk_add_f32 v[204:205], v[204:205], v[82:83] neg_lo:[0,1] neg_hi:[0,1]
	v_pk_fma_f32 v[68:69], v[68:69], v[140:141], v[70:71] op_sel_hi:[1,1,0]
	s_delay_alu instid0(VALU_DEP_1) | instskip(SKIP_4) | instid1(VALU_DEP_1)
	v_mov_b32_e32 v73, v69
	ds_load_2addr_b64 v[68:71], v134 offset0:50 offset1:51
	v_pk_add_f32 v[196:197], v[196:197], v[72:73] neg_lo:[0,1] neg_hi:[0,1]
	s_wait_dscnt 0x0
	v_pk_mul_f32 v[72:73], v[68:69], v[66:67] op_sel:[0,1]
	v_pk_fma_f32 v[82:83], v[68:69], v[52:53], v[72:73] op_sel:[0,0,1] op_sel_hi:[1,1,0] neg_lo:[0,0,1] neg_hi:[0,0,1]
	v_pk_fma_f32 v[68:69], v[68:69], v[52:53], v[72:73] op_sel:[0,0,1] op_sel_hi:[1,0,0]
	s_delay_alu instid0(VALU_DEP_1) | instskip(SKIP_1) | instid1(VALU_DEP_1)
	v_mov_b32_e32 v83, v69
	v_pk_mul_f32 v[68:69], v[70:71], v[66:67] op_sel:[0,1]
	v_pk_fma_f32 v[72:73], v[70:71], v[52:53], v[68:69] op_sel:[0,0,1] op_sel_hi:[1,1,0] neg_lo:[0,0,1] neg_hi:[0,0,1]
	v_pk_fma_f32 v[68:69], v[70:71], v[52:53], v[68:69] op_sel:[0,0,1] op_sel_hi:[1,0,0]
	s_delay_alu instid0(VALU_DEP_1)
	v_mov_b32_e32 v73, v69
	ds_load_b64 v[68:69], v134 offset:416
	v_pk_add_f32 v[202:203], v[202:203], v[82:83] neg_lo:[0,1] neg_hi:[0,1]
	v_pk_add_f32 v[210:211], v[210:211], v[72:73] neg_lo:[0,1] neg_hi:[0,1]
	s_wait_dscnt 0x0
	v_pk_mul_f32 v[66:67], v[68:69], v[66:67] op_sel:[0,1]
	s_delay_alu instid0(VALU_DEP_1) | instskip(SKIP_1) | instid1(VALU_DEP_1)
	v_pk_fma_f32 v[70:71], v[68:69], v[52:53], v[66:67] op_sel:[0,0,1] op_sel_hi:[1,1,0] neg_lo:[0,0,1] neg_hi:[0,0,1]
	v_pk_fma_f32 v[52:53], v[68:69], v[52:53], v[66:67] op_sel:[0,0,1] op_sel_hi:[1,0,0]
	v_mov_b32_e32 v71, v53
	s_delay_alu instid0(VALU_DEP_1)
	v_pk_add_f32 v[212:213], v[212:213], v[70:71] neg_lo:[0,1] neg_hi:[0,1]
.LBB105_325:
	s_or_b32 exec_lo, exec_lo, s1
	s_delay_alu instid0(SALU_CYCLE_1)
	s_mov_b32 s2, exec_lo
	s_wait_dscnt 0x0
	s_barrier_signal -1
	s_barrier_wait -1
	v_cmpx_eq_u32_e32 36, v132
	s_cbranch_execz .LBB105_332
; %bb.326:
	ds_store_b64 v133, v[162:163]
	ds_store_2addr_b64 v134, v[158:159], v[160:161] offset0:37 offset1:38
	ds_store_2addr_b64 v134, v[156:157], v[184:185] offset0:39 offset1:40
	;; [unrolled: 1-line block ×8, first 2 shown]
	ds_load_b64 v[52:53], v133
	s_wait_dscnt 0x0
	v_cmp_neq_f32_e32 vcc_lo, 0, v52
	v_cmp_neq_f32_e64 s1, 0, v53
	s_or_b32 s1, vcc_lo, s1
	s_delay_alu instid0(SALU_CYCLE_1)
	s_and_b32 exec_lo, exec_lo, s1
	s_cbranch_execz .LBB105_332
; %bb.327:
	v_cmp_ngt_f32_e64 s1, |v52|, |v53|
                                        ; implicit-def: $vgpr66_vgpr67
	s_and_saveexec_b32 s4, s1
	s_delay_alu instid0(SALU_CYCLE_1)
	s_xor_b32 s1, exec_lo, s4
	s_cbranch_execz .LBB105_329
; %bb.328:
	v_div_scale_f32 v66, null, v53, v53, v52
	v_div_scale_f32 v69, vcc_lo, v52, v53, v52
	s_delay_alu instid0(VALU_DEP_2) | instskip(SKIP_1) | instid1(TRANS32_DEP_1)
	v_rcp_f32_e32 v67, v66
	v_nop
	v_fma_f32 v68, -v66, v67, 1.0
	s_delay_alu instid0(VALU_DEP_1) | instskip(NEXT) | instid1(VALU_DEP_1)
	v_fmac_f32_e32 v67, v68, v67
	v_mul_f32_e32 v68, v69, v67
	s_delay_alu instid0(VALU_DEP_1) | instskip(NEXT) | instid1(VALU_DEP_1)
	v_fma_f32 v70, -v66, v68, v69
	v_fmac_f32_e32 v68, v70, v67
	s_delay_alu instid0(VALU_DEP_1) | instskip(NEXT) | instid1(VALU_DEP_1)
	v_fma_f32 v66, -v66, v68, v69
	v_div_fmas_f32 v66, v66, v67, v68
	s_delay_alu instid0(VALU_DEP_1) | instskip(NEXT) | instid1(VALU_DEP_1)
	v_div_fixup_f32 v66, v66, v53, v52
	v_fmac_f32_e32 v53, v52, v66
	s_delay_alu instid0(VALU_DEP_1) | instskip(SKIP_1) | instid1(VALU_DEP_2)
	v_div_scale_f32 v52, null, v53, v53, 1.0
	v_div_scale_f32 v69, vcc_lo, 1.0, v53, 1.0
	v_rcp_f32_e32 v67, v52
	v_nop
	s_delay_alu instid0(TRANS32_DEP_1) | instskip(NEXT) | instid1(VALU_DEP_1)
	v_fma_f32 v68, -v52, v67, 1.0
	v_fmac_f32_e32 v67, v68, v67
	s_delay_alu instid0(VALU_DEP_1) | instskip(NEXT) | instid1(VALU_DEP_1)
	v_mul_f32_e32 v68, v69, v67
	v_fma_f32 v70, -v52, v68, v69
	s_delay_alu instid0(VALU_DEP_1) | instskip(NEXT) | instid1(VALU_DEP_1)
	v_fmac_f32_e32 v68, v70, v67
	v_fma_f32 v52, -v52, v68, v69
	s_delay_alu instid0(VALU_DEP_1) | instskip(NEXT) | instid1(VALU_DEP_1)
	v_div_fmas_f32 v52, v52, v67, v68
	v_div_fixup_f32 v52, v52, v53, 1.0
	s_delay_alu instid0(VALU_DEP_1)
	v_mul_f32_e32 v66, v66, v52
	v_xor_b32_e32 v67, 0x80000000, v52
                                        ; implicit-def: $vgpr52_vgpr53
.LBB105_329:
	s_and_not1_saveexec_b32 s1, s1
	s_cbranch_execz .LBB105_331
; %bb.330:
	v_div_scale_f32 v66, null, v52, v52, v53
	v_div_scale_f32 v69, vcc_lo, v53, v52, v53
	s_delay_alu instid0(VALU_DEP_2) | instskip(SKIP_1) | instid1(TRANS32_DEP_1)
	v_rcp_f32_e32 v67, v66
	v_nop
	v_fma_f32 v68, -v66, v67, 1.0
	s_delay_alu instid0(VALU_DEP_1) | instskip(NEXT) | instid1(VALU_DEP_1)
	v_fmac_f32_e32 v67, v68, v67
	v_mul_f32_e32 v68, v69, v67
	s_delay_alu instid0(VALU_DEP_1) | instskip(NEXT) | instid1(VALU_DEP_1)
	v_fma_f32 v70, -v66, v68, v69
	v_fmac_f32_e32 v68, v70, v67
	s_delay_alu instid0(VALU_DEP_1) | instskip(NEXT) | instid1(VALU_DEP_1)
	v_fma_f32 v66, -v66, v68, v69
	v_div_fmas_f32 v66, v66, v67, v68
	s_delay_alu instid0(VALU_DEP_1) | instskip(NEXT) | instid1(VALU_DEP_1)
	v_div_fixup_f32 v67, v66, v52, v53
	v_fmac_f32_e32 v52, v53, v67
	s_delay_alu instid0(VALU_DEP_1) | instskip(NEXT) | instid1(VALU_DEP_1)
	v_div_scale_f32 v53, null, v52, v52, 1.0
	v_rcp_f32_e32 v66, v53
	v_nop
	s_delay_alu instid0(TRANS32_DEP_1) | instskip(NEXT) | instid1(VALU_DEP_1)
	v_fma_f32 v68, -v53, v66, 1.0
	v_fmac_f32_e32 v66, v68, v66
	v_div_scale_f32 v68, vcc_lo, 1.0, v52, 1.0
	s_delay_alu instid0(VALU_DEP_1) | instskip(NEXT) | instid1(VALU_DEP_1)
	v_mul_f32_e32 v69, v68, v66
	v_fma_f32 v70, -v53, v69, v68
	s_delay_alu instid0(VALU_DEP_1) | instskip(NEXT) | instid1(VALU_DEP_1)
	v_fmac_f32_e32 v69, v70, v66
	v_fma_f32 v53, -v53, v69, v68
	s_delay_alu instid0(VALU_DEP_1) | instskip(NEXT) | instid1(VALU_DEP_1)
	v_div_fmas_f32 v53, v53, v66, v69
	v_div_fixup_f32 v66, v53, v52, 1.0
	s_delay_alu instid0(VALU_DEP_1)
	v_mul_f32_e64 v67, v67, -v66
.LBB105_331:
	s_or_b32 exec_lo, exec_lo, s1
	ds_store_b64 v133, v[66:67]
.LBB105_332:
	s_or_b32 exec_lo, exec_lo, s2
	s_wait_dscnt 0x0
	s_barrier_signal -1
	s_barrier_wait -1
	ds_load_b64 v[52:53], v133
	s_mov_b32 s1, exec_lo
	v_cmpx_lt_u32_e32 36, v132
	s_cbranch_execz .LBB105_334
; %bb.333:
	ds_load_2addr_b64 v[70:73], v134 offset0:37 offset1:38
	s_wait_dscnt 0x1
	v_pk_mul_f32 v[68:69], v[52:53], v[162:163] op_sel:[1,1] op_sel_hi:[0,1]
	s_delay_alu instid0(VALU_DEP_1) | instskip(SKIP_1) | instid1(VALU_DEP_1)
	v_pk_fma_f32 v[66:67], v[52:53], v[162:163], v[68:69] op_sel_hi:[1,0,1] neg_lo:[0,0,1] neg_hi:[0,0,1]
	v_pk_fma_f32 v[68:69], v[52:53], v[162:163], v[68:69] op_sel_hi:[1,0,1]
	v_dual_mov_b32 v162, v66 :: v_dual_mov_b32 v163, v69
	s_wait_dscnt 0x0
	s_delay_alu instid0(VALU_DEP_2) | instskip(NEXT) | instid1(VALU_DEP_1)
	v_pk_mul_f32 v[82:83], v[70:71], v[68:69] op_sel:[0,1]
	v_pk_fma_f32 v[84:85], v[70:71], v[66:67], v[82:83] op_sel:[0,0,1] op_sel_hi:[1,1,0] neg_lo:[0,0,1] neg_hi:[0,0,1]
	v_pk_fma_f32 v[70:71], v[70:71], v[66:67], v[82:83] op_sel:[0,0,1] op_sel_hi:[1,0,0]
	s_delay_alu instid0(VALU_DEP_1) | instskip(SKIP_1) | instid1(VALU_DEP_1)
	v_mov_b32_e32 v85, v71
	v_pk_mul_f32 v[70:71], v[72:73], v[68:69] op_sel:[0,1]
	v_pk_fma_f32 v[82:83], v[72:73], v[66:67], v[70:71] op_sel:[0,0,1] op_sel_hi:[1,1,0] neg_lo:[0,0,1] neg_hi:[0,0,1]
	v_pk_fma_f32 v[70:71], v[72:73], v[66:67], v[70:71] op_sel:[0,0,1] op_sel_hi:[1,0,0]
	s_delay_alu instid0(VALU_DEP_1)
	v_mov_b32_e32 v83, v71
	ds_load_2addr_b64 v[70:73], v134 offset0:39 offset1:40
	v_pk_add_f32 v[158:159], v[158:159], v[84:85] neg_lo:[0,1] neg_hi:[0,1]
	v_pk_add_f32 v[160:161], v[160:161], v[82:83] neg_lo:[0,1] neg_hi:[0,1]
	s_wait_dscnt 0x0
	v_pk_mul_f32 v[82:83], v[70:71], v[68:69] op_sel:[0,1]
	s_delay_alu instid0(VALU_DEP_1) | instskip(SKIP_2) | instid1(VALU_DEP_2)
	v_pk_fma_f32 v[84:85], v[70:71], v[66:67], v[82:83] op_sel:[0,0,1] op_sel_hi:[1,1,0] neg_lo:[0,0,1] neg_hi:[0,0,1]
	v_pk_fma_f32 v[70:71], v[70:71], v[66:67], v[82:83] op_sel:[0,0,1] op_sel_hi:[1,0,0]
	v_dual_mul_f32 v82, v73, v69 :: v_dual_mov_b32 v70, v73
	v_dual_mov_b32 v85, v71 :: v_dual_mov_b32 v71, v72
	s_delay_alu instid0(VALU_DEP_2) | instskip(SKIP_1) | instid1(VALU_DEP_3)
	v_pk_fma_f32 v[82:83], v[72:73], v[162:163], v[82:83] op_sel_hi:[1,1,0] neg_lo:[0,0,1] neg_hi:[0,0,1]
	v_mul_f32_e32 v72, v73, v66
	v_pk_add_f32 v[156:157], v[156:157], v[84:85] neg_lo:[0,1] neg_hi:[0,1]
	s_delay_alu instid0(VALU_DEP_2) | instskip(NEXT) | instid1(VALU_DEP_1)
	v_pk_fma_f32 v[70:71], v[70:71], v[162:163], v[72:73] op_sel_hi:[1,1,0]
	v_mov_b32_e32 v83, v71
	ds_load_2addr_b64 v[70:73], v134 offset0:41 offset1:42
	v_pk_add_f32 v[184:185], v[184:185], v[82:83] neg_lo:[0,1] neg_hi:[0,1]
	s_wait_dscnt 0x0
	v_pk_mul_f32 v[82:83], v[70:71], v[68:69] op_sel:[0,1]
	s_delay_alu instid0(VALU_DEP_1) | instskip(SKIP_1) | instid1(VALU_DEP_1)
	v_pk_fma_f32 v[84:85], v[70:71], v[66:67], v[82:83] op_sel:[0,0,1] op_sel_hi:[1,1,0] neg_lo:[0,0,1] neg_hi:[0,0,1]
	v_pk_fma_f32 v[70:71], v[70:71], v[66:67], v[82:83] op_sel:[0,0,1] op_sel_hi:[1,0,0]
	v_mov_b32_e32 v85, v71
	v_pk_mul_f32 v[70:71], v[72:73], v[68:69] op_sel:[0,1]
	s_delay_alu instid0(VALU_DEP_1) | instskip(SKIP_1) | instid1(VALU_DEP_1)
	v_pk_fma_f32 v[82:83], v[72:73], v[66:67], v[70:71] op_sel:[0,0,1] op_sel_hi:[1,1,0] neg_lo:[0,0,1] neg_hi:[0,0,1]
	v_pk_fma_f32 v[70:71], v[72:73], v[66:67], v[70:71] op_sel:[0,0,1] op_sel_hi:[1,0,0]
	v_mov_b32_e32 v83, v71
	ds_load_2addr_b64 v[70:73], v134 offset0:43 offset1:44
	v_pk_add_f32 v[180:181], v[180:181], v[84:85] neg_lo:[0,1] neg_hi:[0,1]
	v_pk_add_f32 v[182:183], v[182:183], v[82:83] neg_lo:[0,1] neg_hi:[0,1]
	s_wait_dscnt 0x0
	v_pk_mul_f32 v[82:83], v[70:71], v[68:69] op_sel:[0,1]
	s_delay_alu instid0(VALU_DEP_1) | instskip(SKIP_1) | instid1(VALU_DEP_1)
	v_pk_fma_f32 v[84:85], v[70:71], v[66:67], v[82:83] op_sel:[0,0,1] op_sel_hi:[1,1,0] neg_lo:[0,0,1] neg_hi:[0,0,1]
	v_pk_fma_f32 v[70:71], v[70:71], v[66:67], v[82:83] op_sel:[0,0,1] op_sel_hi:[1,0,0]
	v_mov_b32_e32 v85, v71
	v_pk_mul_f32 v[70:71], v[72:73], v[68:69] op_sel:[0,1]
	s_delay_alu instid0(VALU_DEP_1) | instskip(SKIP_1) | instid1(VALU_DEP_1)
	v_pk_fma_f32 v[82:83], v[72:73], v[66:67], v[70:71] op_sel:[0,0,1] op_sel_hi:[1,1,0] neg_lo:[0,0,1] neg_hi:[0,0,1]
	v_pk_fma_f32 v[70:71], v[72:73], v[66:67], v[70:71] op_sel:[0,0,1] op_sel_hi:[1,0,0]
	v_mov_b32_e32 v83, v71
	ds_load_2addr_b64 v[70:73], v134 offset0:45 offset1:46
	v_pk_add_f32 v[178:179], v[178:179], v[84:85] neg_lo:[0,1] neg_hi:[0,1]
	v_pk_add_f32 v[208:209], v[208:209], v[82:83] neg_lo:[0,1] neg_hi:[0,1]
	s_wait_dscnt 0x0
	v_dual_mul_f32 v82, v71, v69 :: v_dual_mul_f32 v84, v71, v66
	s_delay_alu instid0(VALU_DEP_1) | instskip(NEXT) | instid1(VALU_DEP_2)
	v_pk_fma_f32 v[82:83], v[70:71], v[162:163], v[82:83] op_sel_hi:[1,1,0] neg_lo:[0,0,1] neg_hi:[0,0,1]
	v_pk_fma_f32 v[70:71], v[70:71], v[162:163], v[84:85] op_sel:[1,0,0] op_sel_hi:[0,1,0]
	s_delay_alu instid0(VALU_DEP_1) | instskip(SKIP_1) | instid1(VALU_DEP_2)
	v_mov_b32_e32 v83, v71
	v_pk_mul_f32 v[70:71], v[72:73], v[68:69] op_sel:[0,1]
	v_pk_add_f32 v[200:201], v[200:201], v[82:83] neg_lo:[0,1] neg_hi:[0,1]
	s_delay_alu instid0(VALU_DEP_2) | instskip(SKIP_1) | instid1(VALU_DEP_1)
	v_pk_fma_f32 v[82:83], v[72:73], v[66:67], v[70:71] op_sel:[0,0,1] op_sel_hi:[1,1,0] neg_lo:[0,0,1] neg_hi:[0,0,1]
	v_pk_fma_f32 v[70:71], v[72:73], v[66:67], v[70:71] op_sel:[0,0,1] op_sel_hi:[1,0,0]
	v_mov_b32_e32 v83, v71
	ds_load_2addr_b64 v[70:73], v134 offset0:47 offset1:48
	v_pk_add_f32 v[206:207], v[206:207], v[82:83] neg_lo:[0,1] neg_hi:[0,1]
	s_wait_dscnt 0x0
	v_pk_mul_f32 v[82:83], v[70:71], v[68:69] op_sel:[0,1]
	s_delay_alu instid0(VALU_DEP_1) | instskip(SKIP_1) | instid1(VALU_DEP_1)
	v_pk_fma_f32 v[84:85], v[70:71], v[66:67], v[82:83] op_sel:[0,0,1] op_sel_hi:[1,1,0] neg_lo:[0,0,1] neg_hi:[0,0,1]
	v_pk_fma_f32 v[70:71], v[70:71], v[66:67], v[82:83] op_sel:[0,0,1] op_sel_hi:[1,0,0]
	v_mov_b32_e32 v85, v71
	v_pk_mul_f32 v[70:71], v[72:73], v[68:69] op_sel:[0,1]
	s_delay_alu instid0(VALU_DEP_2) | instskip(NEXT) | instid1(VALU_DEP_2)
	v_pk_add_f32 v[198:199], v[198:199], v[84:85] neg_lo:[0,1] neg_hi:[0,1]
	v_pk_fma_f32 v[82:83], v[72:73], v[66:67], v[70:71] op_sel:[0,0,1] op_sel_hi:[1,1,0] neg_lo:[0,0,1] neg_hi:[0,0,1]
	v_pk_fma_f32 v[70:71], v[72:73], v[66:67], v[70:71] op_sel:[0,0,1] op_sel_hi:[1,0,0]
	s_delay_alu instid0(VALU_DEP_1) | instskip(SKIP_4) | instid1(VALU_DEP_1)
	v_mov_b32_e32 v83, v71
	ds_load_2addr_b64 v[70:73], v134 offset0:49 offset1:50
	v_pk_add_f32 v[204:205], v[204:205], v[82:83] neg_lo:[0,1] neg_hi:[0,1]
	s_wait_dscnt 0x0
	v_pk_mul_f32 v[82:83], v[70:71], v[68:69] op_sel:[0,1]
	v_pk_fma_f32 v[84:85], v[70:71], v[66:67], v[82:83] op_sel:[0,0,1] op_sel_hi:[1,1,0] neg_lo:[0,0,1] neg_hi:[0,0,1]
	v_pk_fma_f32 v[70:71], v[70:71], v[66:67], v[82:83] op_sel:[0,0,1] op_sel_hi:[1,0,0]
	v_dual_mul_f32 v82, v73, v69 :: v_dual_mov_b32 v70, v73
	s_delay_alu instid0(VALU_DEP_2) | instskip(NEXT) | instid1(VALU_DEP_2)
	v_dual_mov_b32 v85, v71 :: v_dual_mov_b32 v71, v72
	v_pk_fma_f32 v[82:83], v[72:73], v[162:163], v[82:83] op_sel_hi:[1,1,0] neg_lo:[0,0,1] neg_hi:[0,0,1]
	v_mul_f32_e32 v72, v73, v66
	s_delay_alu instid0(VALU_DEP_3) | instskip(NEXT) | instid1(VALU_DEP_2)
	v_pk_add_f32 v[196:197], v[196:197], v[84:85] neg_lo:[0,1] neg_hi:[0,1]
	v_pk_fma_f32 v[70:71], v[70:71], v[162:163], v[72:73] op_sel_hi:[1,1,0]
	s_delay_alu instid0(VALU_DEP_1)
	v_mov_b32_e32 v83, v71
	ds_load_2addr_b64 v[70:73], v134 offset0:51 offset1:52
	v_pk_add_f32 v[202:203], v[202:203], v[82:83] neg_lo:[0,1] neg_hi:[0,1]
	s_wait_dscnt 0x0
	v_pk_mul_f32 v[82:83], v[70:71], v[68:69] op_sel:[0,1]
	v_pk_mul_f32 v[68:69], v[72:73], v[68:69] op_sel:[0,1]
	s_delay_alu instid0(VALU_DEP_2) | instskip(SKIP_1) | instid1(VALU_DEP_1)
	v_pk_fma_f32 v[84:85], v[70:71], v[66:67], v[82:83] op_sel:[0,0,1] op_sel_hi:[1,1,0] neg_lo:[0,0,1] neg_hi:[0,0,1]
	v_pk_fma_f32 v[70:71], v[70:71], v[66:67], v[82:83] op_sel:[0,0,1] op_sel_hi:[1,0,0]
	v_mov_b32_e32 v85, v71
	s_delay_alu instid0(VALU_DEP_4) | instskip(SKIP_1) | instid1(VALU_DEP_1)
	v_pk_fma_f32 v[70:71], v[72:73], v[66:67], v[68:69] op_sel:[0,0,1] op_sel_hi:[1,1,0] neg_lo:[0,0,1] neg_hi:[0,0,1]
	v_pk_fma_f32 v[66:67], v[72:73], v[66:67], v[68:69] op_sel:[0,0,1] op_sel_hi:[1,0,0]
	v_mov_b32_e32 v71, v67
	s_delay_alu instid0(VALU_DEP_4) | instskip(NEXT) | instid1(VALU_DEP_2)
	v_pk_add_f32 v[210:211], v[210:211], v[84:85] neg_lo:[0,1] neg_hi:[0,1]
	v_pk_add_f32 v[212:213], v[212:213], v[70:71] neg_lo:[0,1] neg_hi:[0,1]
.LBB105_334:
	s_or_b32 exec_lo, exec_lo, s1
	s_delay_alu instid0(SALU_CYCLE_1)
	s_mov_b32 s2, exec_lo
	s_wait_dscnt 0x0
	s_barrier_signal -1
	s_barrier_wait -1
	v_cmpx_eq_u32_e32 37, v132
	s_cbranch_execz .LBB105_341
; %bb.335:
	v_dual_mov_b32 v66, v160 :: v_dual_mov_b32 v67, v161
	v_dual_mov_b32 v68, v156 :: v_dual_mov_b32 v69, v157
	ds_store_b64 v133, v[158:159]
	ds_store_2addr_b64 v134, v[66:67], v[68:69] offset0:38 offset1:39
	v_dual_mov_b32 v66, v184 :: v_dual_mov_b32 v67, v185
	v_dual_mov_b32 v68, v180 :: v_dual_mov_b32 v69, v181
	ds_store_2addr_b64 v134, v[66:67], v[68:69] offset0:40 offset1:41
	v_dual_mov_b32 v66, v182 :: v_dual_mov_b32 v67, v183
	v_dual_mov_b32 v68, v178 :: v_dual_mov_b32 v69, v179
	;; [unrolled: 3-line block ×6, first 2 shown]
	ds_store_2addr_b64 v134, v[66:67], v[68:69] offset0:50 offset1:51
	ds_store_b64 v134, v[212:213] offset:416
	ds_load_b64 v[66:67], v133
	s_wait_dscnt 0x0
	v_cmp_neq_f32_e32 vcc_lo, 0, v66
	v_cmp_neq_f32_e64 s1, 0, v67
	s_or_b32 s1, vcc_lo, s1
	s_delay_alu instid0(SALU_CYCLE_1)
	s_and_b32 exec_lo, exec_lo, s1
	s_cbranch_execz .LBB105_341
; %bb.336:
	v_cmp_ngt_f32_e64 s1, |v66|, |v67|
                                        ; implicit-def: $vgpr68_vgpr69
	s_and_saveexec_b32 s4, s1
	s_delay_alu instid0(SALU_CYCLE_1)
	s_xor_b32 s1, exec_lo, s4
	s_cbranch_execz .LBB105_338
; %bb.337:
	v_div_scale_f32 v68, null, v67, v67, v66
	v_div_scale_f32 v71, vcc_lo, v66, v67, v66
	s_delay_alu instid0(VALU_DEP_2) | instskip(SKIP_1) | instid1(TRANS32_DEP_1)
	v_rcp_f32_e32 v69, v68
	v_nop
	v_fma_f32 v70, -v68, v69, 1.0
	s_delay_alu instid0(VALU_DEP_1) | instskip(NEXT) | instid1(VALU_DEP_1)
	v_fmac_f32_e32 v69, v70, v69
	v_mul_f32_e32 v70, v71, v69
	s_delay_alu instid0(VALU_DEP_1) | instskip(NEXT) | instid1(VALU_DEP_1)
	v_fma_f32 v72, -v68, v70, v71
	v_fmac_f32_e32 v70, v72, v69
	s_delay_alu instid0(VALU_DEP_1) | instskip(NEXT) | instid1(VALU_DEP_1)
	v_fma_f32 v68, -v68, v70, v71
	v_div_fmas_f32 v68, v68, v69, v70
	s_delay_alu instid0(VALU_DEP_1) | instskip(NEXT) | instid1(VALU_DEP_1)
	v_div_fixup_f32 v68, v68, v67, v66
	v_fmac_f32_e32 v67, v66, v68
	s_delay_alu instid0(VALU_DEP_1) | instskip(SKIP_1) | instid1(VALU_DEP_2)
	v_div_scale_f32 v66, null, v67, v67, 1.0
	v_div_scale_f32 v71, vcc_lo, 1.0, v67, 1.0
	v_rcp_f32_e32 v69, v66
	v_nop
	s_delay_alu instid0(TRANS32_DEP_1) | instskip(NEXT) | instid1(VALU_DEP_1)
	v_fma_f32 v70, -v66, v69, 1.0
	v_fmac_f32_e32 v69, v70, v69
	s_delay_alu instid0(VALU_DEP_1) | instskip(NEXT) | instid1(VALU_DEP_1)
	v_mul_f32_e32 v70, v71, v69
	v_fma_f32 v72, -v66, v70, v71
	s_delay_alu instid0(VALU_DEP_1) | instskip(NEXT) | instid1(VALU_DEP_1)
	v_fmac_f32_e32 v70, v72, v69
	v_fma_f32 v66, -v66, v70, v71
	s_delay_alu instid0(VALU_DEP_1) | instskip(NEXT) | instid1(VALU_DEP_1)
	v_div_fmas_f32 v66, v66, v69, v70
	v_div_fixup_f32 v66, v66, v67, 1.0
	s_delay_alu instid0(VALU_DEP_1)
	v_mul_f32_e32 v68, v68, v66
	v_xor_b32_e32 v69, 0x80000000, v66
                                        ; implicit-def: $vgpr66_vgpr67
.LBB105_338:
	s_and_not1_saveexec_b32 s1, s1
	s_cbranch_execz .LBB105_340
; %bb.339:
	v_div_scale_f32 v68, null, v66, v66, v67
	v_div_scale_f32 v71, vcc_lo, v67, v66, v67
	s_delay_alu instid0(VALU_DEP_2) | instskip(SKIP_1) | instid1(TRANS32_DEP_1)
	v_rcp_f32_e32 v69, v68
	v_nop
	v_fma_f32 v70, -v68, v69, 1.0
	s_delay_alu instid0(VALU_DEP_1) | instskip(NEXT) | instid1(VALU_DEP_1)
	v_fmac_f32_e32 v69, v70, v69
	v_mul_f32_e32 v70, v71, v69
	s_delay_alu instid0(VALU_DEP_1) | instskip(NEXT) | instid1(VALU_DEP_1)
	v_fma_f32 v72, -v68, v70, v71
	v_fmac_f32_e32 v70, v72, v69
	s_delay_alu instid0(VALU_DEP_1) | instskip(NEXT) | instid1(VALU_DEP_1)
	v_fma_f32 v68, -v68, v70, v71
	v_div_fmas_f32 v68, v68, v69, v70
	s_delay_alu instid0(VALU_DEP_1) | instskip(NEXT) | instid1(VALU_DEP_1)
	v_div_fixup_f32 v69, v68, v66, v67
	v_fmac_f32_e32 v66, v67, v69
	s_delay_alu instid0(VALU_DEP_1) | instskip(NEXT) | instid1(VALU_DEP_1)
	v_div_scale_f32 v67, null, v66, v66, 1.0
	v_rcp_f32_e32 v68, v67
	v_nop
	s_delay_alu instid0(TRANS32_DEP_1) | instskip(NEXT) | instid1(VALU_DEP_1)
	v_fma_f32 v70, -v67, v68, 1.0
	v_fmac_f32_e32 v68, v70, v68
	v_div_scale_f32 v70, vcc_lo, 1.0, v66, 1.0
	s_delay_alu instid0(VALU_DEP_1) | instskip(NEXT) | instid1(VALU_DEP_1)
	v_mul_f32_e32 v71, v70, v68
	v_fma_f32 v72, -v67, v71, v70
	s_delay_alu instid0(VALU_DEP_1) | instskip(NEXT) | instid1(VALU_DEP_1)
	v_fmac_f32_e32 v71, v72, v68
	v_fma_f32 v67, -v67, v71, v70
	s_delay_alu instid0(VALU_DEP_1) | instskip(NEXT) | instid1(VALU_DEP_1)
	v_div_fmas_f32 v67, v67, v68, v71
	v_div_fixup_f32 v68, v67, v66, 1.0
	s_delay_alu instid0(VALU_DEP_1)
	v_mul_f32_e64 v69, v69, -v68
.LBB105_340:
	s_or_b32 exec_lo, exec_lo, s1
	ds_store_b64 v133, v[68:69]
.LBB105_341:
	s_or_b32 exec_lo, exec_lo, s2
	s_wait_dscnt 0x0
	s_barrier_signal -1
	s_barrier_wait -1
	ds_load_b64 v[66:67], v133
	s_mov_b32 s1, exec_lo
	v_cmpx_lt_u32_e32 37, v132
	s_cbranch_execz .LBB105_343
; %bb.342:
	ds_load_2addr_b64 v[82:85], v134 offset0:38 offset1:39
	s_wait_dscnt 0x1
	v_pk_mul_f32 v[70:71], v[66:67], v[158:159] op_sel:[1,1] op_sel_hi:[0,1]
	s_delay_alu instid0(VALU_DEP_1) | instskip(SKIP_1) | instid1(VALU_DEP_1)
	v_pk_fma_f32 v[68:69], v[66:67], v[158:159], v[70:71] op_sel_hi:[1,0,1] neg_lo:[0,0,1] neg_hi:[0,0,1]
	v_pk_fma_f32 v[70:71], v[66:67], v[158:159], v[70:71] op_sel_hi:[1,0,1]
	v_dual_mov_b32 v158, v68 :: v_dual_mov_b32 v159, v71
	s_wait_dscnt 0x0
	s_delay_alu instid0(VALU_DEP_2) | instskip(NEXT) | instid1(VALU_DEP_1)
	v_pk_mul_f32 v[72:73], v[82:83], v[70:71] op_sel:[0,1]
	v_pk_fma_f32 v[86:87], v[82:83], v[68:69], v[72:73] op_sel:[0,0,1] op_sel_hi:[1,1,0] neg_lo:[0,0,1] neg_hi:[0,0,1]
	v_pk_fma_f32 v[72:73], v[82:83], v[68:69], v[72:73] op_sel:[0,0,1] op_sel_hi:[1,0,0]
	s_delay_alu instid0(VALU_DEP_1) | instskip(SKIP_1) | instid1(VALU_DEP_1)
	v_mov_b32_e32 v87, v73
	v_pk_mul_f32 v[72:73], v[84:85], v[70:71] op_sel:[0,1]
	v_pk_fma_f32 v[82:83], v[84:85], v[68:69], v[72:73] op_sel:[0,0,1] op_sel_hi:[1,1,0] neg_lo:[0,0,1] neg_hi:[0,0,1]
	v_pk_fma_f32 v[72:73], v[84:85], v[68:69], v[72:73] op_sel:[0,0,1] op_sel_hi:[1,0,0]
	s_delay_alu instid0(VALU_DEP_1) | instskip(SKIP_1) | instid1(VALU_DEP_2)
	v_mov_b32_e32 v83, v73
	v_pk_add_f32 v[160:161], v[160:161], v[86:87] neg_lo:[0,1] neg_hi:[0,1]
	v_pk_add_f32 v[156:157], v[156:157], v[82:83] neg_lo:[0,1] neg_hi:[0,1]
	ds_load_2addr_b64 v[82:85], v134 offset0:40 offset1:41
	s_wait_dscnt 0x0
	v_pk_mul_f32 v[72:73], v[82:83], v[70:71] op_sel:[0,1]
	s_delay_alu instid0(VALU_DEP_1) | instskip(SKIP_2) | instid1(VALU_DEP_2)
	v_pk_fma_f32 v[86:87], v[82:83], v[68:69], v[72:73] op_sel:[0,0,1] op_sel_hi:[1,1,0] neg_lo:[0,0,1] neg_hi:[0,0,1]
	v_pk_fma_f32 v[72:73], v[82:83], v[68:69], v[72:73] op_sel:[0,0,1] op_sel_hi:[1,0,0]
	v_dual_mul_f32 v82, v85, v71 :: v_dual_mov_b32 v72, v85
	v_dual_mov_b32 v87, v73 :: v_dual_mov_b32 v73, v84
	s_delay_alu instid0(VALU_DEP_2) | instskip(SKIP_1) | instid1(VALU_DEP_3)
	v_pk_fma_f32 v[82:83], v[84:85], v[158:159], v[82:83] op_sel_hi:[1,1,0] neg_lo:[0,0,1] neg_hi:[0,0,1]
	v_mul_f32_e32 v84, v85, v68
	v_pk_add_f32 v[184:185], v[184:185], v[86:87] neg_lo:[0,1] neg_hi:[0,1]
	s_delay_alu instid0(VALU_DEP_2) | instskip(NEXT) | instid1(VALU_DEP_1)
	v_pk_fma_f32 v[72:73], v[72:73], v[158:159], v[84:85] op_sel_hi:[1,1,0]
	v_mov_b32_e32 v83, v73
	s_delay_alu instid0(VALU_DEP_1) | instskip(SKIP_3) | instid1(VALU_DEP_1)
	v_pk_add_f32 v[180:181], v[180:181], v[82:83] neg_lo:[0,1] neg_hi:[0,1]
	ds_load_2addr_b64 v[82:85], v134 offset0:42 offset1:43
	s_wait_dscnt 0x0
	v_pk_mul_f32 v[72:73], v[82:83], v[70:71] op_sel:[0,1]
	v_pk_fma_f32 v[86:87], v[82:83], v[68:69], v[72:73] op_sel:[0,0,1] op_sel_hi:[1,1,0] neg_lo:[0,0,1] neg_hi:[0,0,1]
	v_pk_fma_f32 v[72:73], v[82:83], v[68:69], v[72:73] op_sel:[0,0,1] op_sel_hi:[1,0,0]
	s_delay_alu instid0(VALU_DEP_1) | instskip(SKIP_1) | instid1(VALU_DEP_2)
	v_mov_b32_e32 v87, v73
	v_pk_mul_f32 v[72:73], v[84:85], v[70:71] op_sel:[0,1]
	v_pk_add_f32 v[182:183], v[182:183], v[86:87] neg_lo:[0,1] neg_hi:[0,1]
	s_delay_alu instid0(VALU_DEP_2) | instskip(SKIP_1) | instid1(VALU_DEP_1)
	v_pk_fma_f32 v[82:83], v[84:85], v[68:69], v[72:73] op_sel:[0,0,1] op_sel_hi:[1,1,0] neg_lo:[0,0,1] neg_hi:[0,0,1]
	v_pk_fma_f32 v[72:73], v[84:85], v[68:69], v[72:73] op_sel:[0,0,1] op_sel_hi:[1,0,0]
	v_mov_b32_e32 v83, v73
	s_delay_alu instid0(VALU_DEP_1) | instskip(SKIP_3) | instid1(VALU_DEP_1)
	v_pk_add_f32 v[178:179], v[178:179], v[82:83] neg_lo:[0,1] neg_hi:[0,1]
	ds_load_2addr_b64 v[82:85], v134 offset0:44 offset1:45
	s_wait_dscnt 0x0
	v_pk_mul_f32 v[72:73], v[82:83], v[70:71] op_sel:[0,1]
	v_pk_fma_f32 v[86:87], v[82:83], v[68:69], v[72:73] op_sel:[0,0,1] op_sel_hi:[1,1,0] neg_lo:[0,0,1] neg_hi:[0,0,1]
	v_pk_fma_f32 v[72:73], v[82:83], v[68:69], v[72:73] op_sel:[0,0,1] op_sel_hi:[1,0,0]
	s_delay_alu instid0(VALU_DEP_1) | instskip(SKIP_1) | instid1(VALU_DEP_2)
	v_mov_b32_e32 v87, v73
	v_pk_mul_f32 v[72:73], v[84:85], v[70:71] op_sel:[0,1]
	v_pk_add_f32 v[208:209], v[208:209], v[86:87] neg_lo:[0,1] neg_hi:[0,1]
	s_delay_alu instid0(VALU_DEP_2) | instskip(SKIP_1) | instid1(VALU_DEP_1)
	v_pk_fma_f32 v[82:83], v[84:85], v[68:69], v[72:73] op_sel:[0,0,1] op_sel_hi:[1,1,0] neg_lo:[0,0,1] neg_hi:[0,0,1]
	v_pk_fma_f32 v[72:73], v[84:85], v[68:69], v[72:73] op_sel:[0,0,1] op_sel_hi:[1,0,0]
	v_mov_b32_e32 v83, v73
	s_delay_alu instid0(VALU_DEP_1) | instskip(SKIP_3) | instid1(VALU_DEP_1)
	v_pk_add_f32 v[200:201], v[200:201], v[82:83] neg_lo:[0,1] neg_hi:[0,1]
	ds_load_2addr_b64 v[82:85], v134 offset0:46 offset1:47
	s_wait_dscnt 0x0
	v_dual_mul_f32 v72, v83, v71 :: v_dual_mul_f32 v86, v83, v68
	v_pk_fma_f32 v[72:73], v[82:83], v[158:159], v[72:73] op_sel_hi:[1,1,0] neg_lo:[0,0,1] neg_hi:[0,0,1]
	s_delay_alu instid0(VALU_DEP_2) | instskip(NEXT) | instid1(VALU_DEP_1)
	v_pk_fma_f32 v[82:83], v[82:83], v[158:159], v[86:87] op_sel:[1,0,0] op_sel_hi:[0,1,0]
	v_mov_b32_e32 v73, v83
	s_delay_alu instid0(VALU_DEP_1) | instskip(SKIP_1) | instid1(VALU_DEP_1)
	v_pk_add_f32 v[206:207], v[206:207], v[72:73] neg_lo:[0,1] neg_hi:[0,1]
	v_pk_mul_f32 v[72:73], v[84:85], v[70:71] op_sel:[0,1]
	v_pk_fma_f32 v[82:83], v[84:85], v[68:69], v[72:73] op_sel:[0,0,1] op_sel_hi:[1,1,0] neg_lo:[0,0,1] neg_hi:[0,0,1]
	v_pk_fma_f32 v[72:73], v[84:85], v[68:69], v[72:73] op_sel:[0,0,1] op_sel_hi:[1,0,0]
	s_delay_alu instid0(VALU_DEP_1) | instskip(NEXT) | instid1(VALU_DEP_1)
	v_mov_b32_e32 v83, v73
	v_pk_add_f32 v[198:199], v[198:199], v[82:83] neg_lo:[0,1] neg_hi:[0,1]
	ds_load_2addr_b64 v[82:85], v134 offset0:48 offset1:49
	s_wait_dscnt 0x0
	v_pk_mul_f32 v[72:73], v[82:83], v[70:71] op_sel:[0,1]
	s_delay_alu instid0(VALU_DEP_1) | instskip(SKIP_1) | instid1(VALU_DEP_1)
	v_pk_fma_f32 v[86:87], v[82:83], v[68:69], v[72:73] op_sel:[0,0,1] op_sel_hi:[1,1,0] neg_lo:[0,0,1] neg_hi:[0,0,1]
	v_pk_fma_f32 v[72:73], v[82:83], v[68:69], v[72:73] op_sel:[0,0,1] op_sel_hi:[1,0,0]
	v_mov_b32_e32 v87, v73
	v_pk_mul_f32 v[72:73], v[84:85], v[70:71] op_sel:[0,1]
	s_delay_alu instid0(VALU_DEP_2) | instskip(NEXT) | instid1(VALU_DEP_2)
	v_pk_add_f32 v[204:205], v[204:205], v[86:87] neg_lo:[0,1] neg_hi:[0,1]
	v_pk_fma_f32 v[82:83], v[84:85], v[68:69], v[72:73] op_sel:[0,0,1] op_sel_hi:[1,1,0] neg_lo:[0,0,1] neg_hi:[0,0,1]
	v_pk_fma_f32 v[72:73], v[84:85], v[68:69], v[72:73] op_sel:[0,0,1] op_sel_hi:[1,0,0]
	s_delay_alu instid0(VALU_DEP_1) | instskip(NEXT) | instid1(VALU_DEP_1)
	v_mov_b32_e32 v83, v73
	v_pk_add_f32 v[196:197], v[196:197], v[82:83] neg_lo:[0,1] neg_hi:[0,1]
	ds_load_2addr_b64 v[82:85], v134 offset0:50 offset1:51
	s_wait_dscnt 0x0
	v_pk_mul_f32 v[72:73], v[82:83], v[70:71] op_sel:[0,1]
	s_delay_alu instid0(VALU_DEP_1) | instskip(SKIP_2) | instid1(VALU_DEP_2)
	v_pk_fma_f32 v[86:87], v[82:83], v[68:69], v[72:73] op_sel:[0,0,1] op_sel_hi:[1,1,0] neg_lo:[0,0,1] neg_hi:[0,0,1]
	v_pk_fma_f32 v[72:73], v[82:83], v[68:69], v[72:73] op_sel:[0,0,1] op_sel_hi:[1,0,0]
	v_dual_mul_f32 v82, v85, v71 :: v_dual_mov_b32 v72, v85
	v_dual_mov_b32 v87, v73 :: v_dual_mov_b32 v73, v84
	s_delay_alu instid0(VALU_DEP_2) | instskip(SKIP_1) | instid1(VALU_DEP_3)
	v_pk_fma_f32 v[82:83], v[84:85], v[158:159], v[82:83] op_sel_hi:[1,1,0] neg_lo:[0,0,1] neg_hi:[0,0,1]
	v_mul_f32_e32 v84, v85, v68
	v_pk_add_f32 v[202:203], v[202:203], v[86:87] neg_lo:[0,1] neg_hi:[0,1]
	s_delay_alu instid0(VALU_DEP_2) | instskip(NEXT) | instid1(VALU_DEP_1)
	v_pk_fma_f32 v[72:73], v[72:73], v[158:159], v[84:85] op_sel_hi:[1,1,0]
	v_mov_b32_e32 v83, v73
	ds_load_b64 v[72:73], v134 offset:416
	v_pk_add_f32 v[210:211], v[210:211], v[82:83] neg_lo:[0,1] neg_hi:[0,1]
	s_wait_dscnt 0x0
	v_pk_mul_f32 v[70:71], v[72:73], v[70:71] op_sel:[0,1]
	s_delay_alu instid0(VALU_DEP_1) | instskip(SKIP_1) | instid1(VALU_DEP_1)
	v_pk_fma_f32 v[82:83], v[72:73], v[68:69], v[70:71] op_sel:[0,0,1] op_sel_hi:[1,1,0] neg_lo:[0,0,1] neg_hi:[0,0,1]
	v_pk_fma_f32 v[68:69], v[72:73], v[68:69], v[70:71] op_sel:[0,0,1] op_sel_hi:[1,0,0]
	v_mov_b32_e32 v83, v69
	s_delay_alu instid0(VALU_DEP_1)
	v_pk_add_f32 v[212:213], v[212:213], v[82:83] neg_lo:[0,1] neg_hi:[0,1]
.LBB105_343:
	s_or_b32 exec_lo, exec_lo, s1
	s_delay_alu instid0(SALU_CYCLE_1)
	s_mov_b32 s2, exec_lo
	s_wait_dscnt 0x0
	s_barrier_signal -1
	s_barrier_wait -1
	v_cmpx_eq_u32_e32 38, v132
	s_cbranch_execz .LBB105_350
; %bb.344:
	ds_store_b64 v133, v[160:161]
	ds_store_2addr_b64 v134, v[156:157], v[184:185] offset0:39 offset1:40
	ds_store_2addr_b64 v134, v[180:181], v[182:183] offset0:41 offset1:42
	;; [unrolled: 1-line block ×7, first 2 shown]
	ds_load_b64 v[68:69], v133
	s_wait_dscnt 0x0
	v_cmp_neq_f32_e32 vcc_lo, 0, v68
	v_cmp_neq_f32_e64 s1, 0, v69
	s_or_b32 s1, vcc_lo, s1
	s_delay_alu instid0(SALU_CYCLE_1)
	s_and_b32 exec_lo, exec_lo, s1
	s_cbranch_execz .LBB105_350
; %bb.345:
	v_cmp_ngt_f32_e64 s1, |v68|, |v69|
                                        ; implicit-def: $vgpr70_vgpr71
	s_and_saveexec_b32 s4, s1
	s_delay_alu instid0(SALU_CYCLE_1)
	s_xor_b32 s1, exec_lo, s4
	s_cbranch_execz .LBB105_347
; %bb.346:
	v_div_scale_f32 v70, null, v69, v69, v68
	v_div_scale_f32 v73, vcc_lo, v68, v69, v68
	s_delay_alu instid0(VALU_DEP_2) | instskip(SKIP_1) | instid1(TRANS32_DEP_1)
	v_rcp_f32_e32 v71, v70
	v_nop
	v_fma_f32 v72, -v70, v71, 1.0
	s_delay_alu instid0(VALU_DEP_1) | instskip(NEXT) | instid1(VALU_DEP_1)
	v_fmac_f32_e32 v71, v72, v71
	v_mul_f32_e32 v72, v73, v71
	s_delay_alu instid0(VALU_DEP_1) | instskip(NEXT) | instid1(VALU_DEP_1)
	v_fma_f32 v82, -v70, v72, v73
	v_fmac_f32_e32 v72, v82, v71
	s_delay_alu instid0(VALU_DEP_1) | instskip(NEXT) | instid1(VALU_DEP_1)
	v_fma_f32 v70, -v70, v72, v73
	v_div_fmas_f32 v70, v70, v71, v72
	s_delay_alu instid0(VALU_DEP_1) | instskip(NEXT) | instid1(VALU_DEP_1)
	v_div_fixup_f32 v70, v70, v69, v68
	v_fmac_f32_e32 v69, v68, v70
	s_delay_alu instid0(VALU_DEP_1) | instskip(SKIP_1) | instid1(VALU_DEP_2)
	v_div_scale_f32 v68, null, v69, v69, 1.0
	v_div_scale_f32 v73, vcc_lo, 1.0, v69, 1.0
	v_rcp_f32_e32 v71, v68
	v_nop
	s_delay_alu instid0(TRANS32_DEP_1) | instskip(NEXT) | instid1(VALU_DEP_1)
	v_fma_f32 v72, -v68, v71, 1.0
	v_fmac_f32_e32 v71, v72, v71
	s_delay_alu instid0(VALU_DEP_1) | instskip(NEXT) | instid1(VALU_DEP_1)
	v_mul_f32_e32 v72, v73, v71
	v_fma_f32 v82, -v68, v72, v73
	s_delay_alu instid0(VALU_DEP_1) | instskip(NEXT) | instid1(VALU_DEP_1)
	v_fmac_f32_e32 v72, v82, v71
	v_fma_f32 v68, -v68, v72, v73
	s_delay_alu instid0(VALU_DEP_1) | instskip(NEXT) | instid1(VALU_DEP_1)
	v_div_fmas_f32 v68, v68, v71, v72
	v_div_fixup_f32 v68, v68, v69, 1.0
	s_delay_alu instid0(VALU_DEP_1)
	v_mul_f32_e32 v70, v70, v68
	v_xor_b32_e32 v71, 0x80000000, v68
                                        ; implicit-def: $vgpr68_vgpr69
.LBB105_347:
	s_and_not1_saveexec_b32 s1, s1
	s_cbranch_execz .LBB105_349
; %bb.348:
	v_div_scale_f32 v70, null, v68, v68, v69
	v_div_scale_f32 v73, vcc_lo, v69, v68, v69
	s_delay_alu instid0(VALU_DEP_2) | instskip(SKIP_1) | instid1(TRANS32_DEP_1)
	v_rcp_f32_e32 v71, v70
	v_nop
	v_fma_f32 v72, -v70, v71, 1.0
	s_delay_alu instid0(VALU_DEP_1) | instskip(NEXT) | instid1(VALU_DEP_1)
	v_fmac_f32_e32 v71, v72, v71
	v_mul_f32_e32 v72, v73, v71
	s_delay_alu instid0(VALU_DEP_1) | instskip(NEXT) | instid1(VALU_DEP_1)
	v_fma_f32 v82, -v70, v72, v73
	v_fmac_f32_e32 v72, v82, v71
	s_delay_alu instid0(VALU_DEP_1) | instskip(NEXT) | instid1(VALU_DEP_1)
	v_fma_f32 v70, -v70, v72, v73
	v_div_fmas_f32 v70, v70, v71, v72
	s_delay_alu instid0(VALU_DEP_1) | instskip(NEXT) | instid1(VALU_DEP_1)
	v_div_fixup_f32 v71, v70, v68, v69
	v_fmac_f32_e32 v68, v69, v71
	s_delay_alu instid0(VALU_DEP_1) | instskip(NEXT) | instid1(VALU_DEP_1)
	v_div_scale_f32 v69, null, v68, v68, 1.0
	v_rcp_f32_e32 v70, v69
	v_nop
	s_delay_alu instid0(TRANS32_DEP_1) | instskip(NEXT) | instid1(VALU_DEP_1)
	v_fma_f32 v72, -v69, v70, 1.0
	v_fmac_f32_e32 v70, v72, v70
	v_div_scale_f32 v72, vcc_lo, 1.0, v68, 1.0
	s_delay_alu instid0(VALU_DEP_1) | instskip(NEXT) | instid1(VALU_DEP_1)
	v_mul_f32_e32 v73, v72, v70
	v_fma_f32 v82, -v69, v73, v72
	s_delay_alu instid0(VALU_DEP_1) | instskip(NEXT) | instid1(VALU_DEP_1)
	v_fmac_f32_e32 v73, v82, v70
	v_fma_f32 v69, -v69, v73, v72
	s_delay_alu instid0(VALU_DEP_1) | instskip(NEXT) | instid1(VALU_DEP_1)
	v_div_fmas_f32 v69, v69, v70, v73
	v_div_fixup_f32 v70, v69, v68, 1.0
	s_delay_alu instid0(VALU_DEP_1)
	v_mul_f32_e64 v71, v71, -v70
.LBB105_349:
	s_or_b32 exec_lo, exec_lo, s1
	ds_store_b64 v133, v[70:71]
.LBB105_350:
	s_or_b32 exec_lo, exec_lo, s2
	s_wait_dscnt 0x0
	s_barrier_signal -1
	s_barrier_wait -1
	ds_load_b64 v[68:69], v133
	s_mov_b32 s1, exec_lo
	v_cmpx_lt_u32_e32 38, v132
	s_cbranch_execz .LBB105_352
; %bb.351:
	ds_load_2addr_b64 v[82:85], v134 offset0:39 offset1:40
	s_wait_dscnt 0x1
	v_pk_mul_f32 v[72:73], v[68:69], v[160:161] op_sel:[1,1] op_sel_hi:[0,1]
	s_delay_alu instid0(VALU_DEP_1) | instskip(SKIP_1) | instid1(VALU_DEP_1)
	v_pk_fma_f32 v[70:71], v[68:69], v[160:161], v[72:73] op_sel_hi:[1,0,1] neg_lo:[0,0,1] neg_hi:[0,0,1]
	v_pk_fma_f32 v[72:73], v[68:69], v[160:161], v[72:73] op_sel_hi:[1,0,1]
	v_dual_mov_b32 v160, v70 :: v_dual_mov_b32 v161, v73
	s_wait_dscnt 0x0
	s_delay_alu instid0(VALU_DEP_2) | instskip(NEXT) | instid1(VALU_DEP_1)
	v_pk_mul_f32 v[86:87], v[82:83], v[72:73] op_sel:[0,1]
	v_pk_fma_f32 v[88:89], v[82:83], v[70:71], v[86:87] op_sel:[0,0,1] op_sel_hi:[1,1,0] neg_lo:[0,0,1] neg_hi:[0,0,1]
	v_pk_fma_f32 v[82:83], v[82:83], v[70:71], v[86:87] op_sel:[0,0,1] op_sel_hi:[1,0,0]
	s_delay_alu instid0(VALU_DEP_1) | instskip(SKIP_1) | instid1(VALU_DEP_1)
	v_mov_b32_e32 v89, v83
	v_pk_mul_f32 v[82:83], v[84:85], v[72:73] op_sel:[0,1]
	v_pk_fma_f32 v[86:87], v[84:85], v[70:71], v[82:83] op_sel:[0,0,1] op_sel_hi:[1,1,0] neg_lo:[0,0,1] neg_hi:[0,0,1]
	v_pk_fma_f32 v[82:83], v[84:85], v[70:71], v[82:83] op_sel:[0,0,1] op_sel_hi:[1,0,0]
	s_delay_alu instid0(VALU_DEP_1)
	v_mov_b32_e32 v87, v83
	ds_load_2addr_b64 v[82:85], v134 offset0:41 offset1:42
	v_pk_add_f32 v[156:157], v[156:157], v[88:89] neg_lo:[0,1] neg_hi:[0,1]
	v_pk_add_f32 v[184:185], v[184:185], v[86:87] neg_lo:[0,1] neg_hi:[0,1]
	s_wait_dscnt 0x0
	v_pk_mul_f32 v[86:87], v[82:83], v[72:73] op_sel:[0,1]
	s_delay_alu instid0(VALU_DEP_1) | instskip(SKIP_2) | instid1(VALU_DEP_2)
	v_pk_fma_f32 v[88:89], v[82:83], v[70:71], v[86:87] op_sel:[0,0,1] op_sel_hi:[1,1,0] neg_lo:[0,0,1] neg_hi:[0,0,1]
	v_pk_fma_f32 v[82:83], v[82:83], v[70:71], v[86:87] op_sel:[0,0,1] op_sel_hi:[1,0,0]
	v_dual_mul_f32 v86, v85, v73 :: v_dual_mov_b32 v82, v85
	v_dual_mov_b32 v89, v83 :: v_dual_mov_b32 v83, v84
	s_delay_alu instid0(VALU_DEP_2) | instskip(SKIP_1) | instid1(VALU_DEP_3)
	v_pk_fma_f32 v[86:87], v[84:85], v[160:161], v[86:87] op_sel_hi:[1,1,0] neg_lo:[0,0,1] neg_hi:[0,0,1]
	v_mul_f32_e32 v84, v85, v70
	v_pk_add_f32 v[180:181], v[180:181], v[88:89] neg_lo:[0,1] neg_hi:[0,1]
	s_delay_alu instid0(VALU_DEP_2) | instskip(NEXT) | instid1(VALU_DEP_1)
	v_pk_fma_f32 v[82:83], v[82:83], v[160:161], v[84:85] op_sel_hi:[1,1,0]
	v_mov_b32_e32 v87, v83
	ds_load_2addr_b64 v[82:85], v134 offset0:43 offset1:44
	v_pk_add_f32 v[182:183], v[182:183], v[86:87] neg_lo:[0,1] neg_hi:[0,1]
	s_wait_dscnt 0x0
	v_pk_mul_f32 v[86:87], v[82:83], v[72:73] op_sel:[0,1]
	s_delay_alu instid0(VALU_DEP_1) | instskip(SKIP_1) | instid1(VALU_DEP_1)
	v_pk_fma_f32 v[88:89], v[82:83], v[70:71], v[86:87] op_sel:[0,0,1] op_sel_hi:[1,1,0] neg_lo:[0,0,1] neg_hi:[0,0,1]
	v_pk_fma_f32 v[82:83], v[82:83], v[70:71], v[86:87] op_sel:[0,0,1] op_sel_hi:[1,0,0]
	v_mov_b32_e32 v89, v83
	v_pk_mul_f32 v[82:83], v[84:85], v[72:73] op_sel:[0,1]
	s_delay_alu instid0(VALU_DEP_1) | instskip(SKIP_1) | instid1(VALU_DEP_1)
	v_pk_fma_f32 v[86:87], v[84:85], v[70:71], v[82:83] op_sel:[0,0,1] op_sel_hi:[1,1,0] neg_lo:[0,0,1] neg_hi:[0,0,1]
	v_pk_fma_f32 v[82:83], v[84:85], v[70:71], v[82:83] op_sel:[0,0,1] op_sel_hi:[1,0,0]
	v_mov_b32_e32 v87, v83
	ds_load_2addr_b64 v[82:85], v134 offset0:45 offset1:46
	v_pk_add_f32 v[178:179], v[178:179], v[88:89] neg_lo:[0,1] neg_hi:[0,1]
	v_pk_add_f32 v[208:209], v[208:209], v[86:87] neg_lo:[0,1] neg_hi:[0,1]
	s_wait_dscnt 0x0
	v_pk_mul_f32 v[86:87], v[82:83], v[72:73] op_sel:[0,1]
	s_delay_alu instid0(VALU_DEP_1) | instskip(SKIP_1) | instid1(VALU_DEP_1)
	v_pk_fma_f32 v[88:89], v[82:83], v[70:71], v[86:87] op_sel:[0,0,1] op_sel_hi:[1,1,0] neg_lo:[0,0,1] neg_hi:[0,0,1]
	v_pk_fma_f32 v[82:83], v[82:83], v[70:71], v[86:87] op_sel:[0,0,1] op_sel_hi:[1,0,0]
	v_mov_b32_e32 v89, v83
	v_pk_mul_f32 v[82:83], v[84:85], v[72:73] op_sel:[0,1]
	s_delay_alu instid0(VALU_DEP_1) | instskip(SKIP_1) | instid1(VALU_DEP_1)
	v_pk_fma_f32 v[86:87], v[84:85], v[70:71], v[82:83] op_sel:[0,0,1] op_sel_hi:[1,1,0] neg_lo:[0,0,1] neg_hi:[0,0,1]
	v_pk_fma_f32 v[82:83], v[84:85], v[70:71], v[82:83] op_sel:[0,0,1] op_sel_hi:[1,0,0]
	v_mov_b32_e32 v87, v83
	ds_load_2addr_b64 v[82:85], v134 offset0:47 offset1:48
	v_pk_add_f32 v[200:201], v[200:201], v[88:89] neg_lo:[0,1] neg_hi:[0,1]
	v_pk_add_f32 v[206:207], v[206:207], v[86:87] neg_lo:[0,1] neg_hi:[0,1]
	s_wait_dscnt 0x0
	v_dual_mul_f32 v86, v83, v73 :: v_dual_mul_f32 v88, v83, v70
	s_delay_alu instid0(VALU_DEP_1) | instskip(NEXT) | instid1(VALU_DEP_2)
	v_pk_fma_f32 v[86:87], v[82:83], v[160:161], v[86:87] op_sel_hi:[1,1,0] neg_lo:[0,0,1] neg_hi:[0,0,1]
	v_pk_fma_f32 v[82:83], v[82:83], v[160:161], v[88:89] op_sel:[1,0,0] op_sel_hi:[0,1,0]
	s_delay_alu instid0(VALU_DEP_1) | instskip(SKIP_1) | instid1(VALU_DEP_2)
	v_mov_b32_e32 v87, v83
	v_pk_mul_f32 v[82:83], v[84:85], v[72:73] op_sel:[0,1]
	v_pk_add_f32 v[198:199], v[198:199], v[86:87] neg_lo:[0,1] neg_hi:[0,1]
	s_delay_alu instid0(VALU_DEP_2) | instskip(SKIP_1) | instid1(VALU_DEP_1)
	v_pk_fma_f32 v[86:87], v[84:85], v[70:71], v[82:83] op_sel:[0,0,1] op_sel_hi:[1,1,0] neg_lo:[0,0,1] neg_hi:[0,0,1]
	v_pk_fma_f32 v[82:83], v[84:85], v[70:71], v[82:83] op_sel:[0,0,1] op_sel_hi:[1,0,0]
	v_mov_b32_e32 v87, v83
	ds_load_2addr_b64 v[82:85], v134 offset0:49 offset1:50
	v_pk_add_f32 v[204:205], v[204:205], v[86:87] neg_lo:[0,1] neg_hi:[0,1]
	s_wait_dscnt 0x0
	v_pk_mul_f32 v[86:87], v[82:83], v[72:73] op_sel:[0,1]
	s_delay_alu instid0(VALU_DEP_1) | instskip(SKIP_1) | instid1(VALU_DEP_1)
	v_pk_fma_f32 v[88:89], v[82:83], v[70:71], v[86:87] op_sel:[0,0,1] op_sel_hi:[1,1,0] neg_lo:[0,0,1] neg_hi:[0,0,1]
	v_pk_fma_f32 v[82:83], v[82:83], v[70:71], v[86:87] op_sel:[0,0,1] op_sel_hi:[1,0,0]
	v_mov_b32_e32 v89, v83
	v_pk_mul_f32 v[82:83], v[84:85], v[72:73] op_sel:[0,1]
	s_delay_alu instid0(VALU_DEP_2) | instskip(NEXT) | instid1(VALU_DEP_2)
	v_pk_add_f32 v[196:197], v[196:197], v[88:89] neg_lo:[0,1] neg_hi:[0,1]
	v_pk_fma_f32 v[86:87], v[84:85], v[70:71], v[82:83] op_sel:[0,0,1] op_sel_hi:[1,1,0] neg_lo:[0,0,1] neg_hi:[0,0,1]
	v_pk_fma_f32 v[82:83], v[84:85], v[70:71], v[82:83] op_sel:[0,0,1] op_sel_hi:[1,0,0]
	s_delay_alu instid0(VALU_DEP_1)
	v_mov_b32_e32 v87, v83
	ds_load_2addr_b64 v[82:85], v134 offset0:51 offset1:52
	v_pk_add_f32 v[202:203], v[202:203], v[86:87] neg_lo:[0,1] neg_hi:[0,1]
	s_wait_dscnt 0x0
	v_pk_mul_f32 v[86:87], v[82:83], v[72:73] op_sel:[0,1]
	v_pk_mul_f32 v[72:73], v[84:85], v[72:73] op_sel:[0,1]
	s_delay_alu instid0(VALU_DEP_2) | instskip(SKIP_1) | instid1(VALU_DEP_1)
	v_pk_fma_f32 v[88:89], v[82:83], v[70:71], v[86:87] op_sel:[0,0,1] op_sel_hi:[1,1,0] neg_lo:[0,0,1] neg_hi:[0,0,1]
	v_pk_fma_f32 v[82:83], v[82:83], v[70:71], v[86:87] op_sel:[0,0,1] op_sel_hi:[1,0,0]
	v_mov_b32_e32 v89, v83
	s_delay_alu instid0(VALU_DEP_4) | instskip(SKIP_1) | instid1(VALU_DEP_3)
	v_pk_fma_f32 v[82:83], v[84:85], v[70:71], v[72:73] op_sel:[0,0,1] op_sel_hi:[1,1,0] neg_lo:[0,0,1] neg_hi:[0,0,1]
	v_pk_fma_f32 v[70:71], v[84:85], v[70:71], v[72:73] op_sel:[0,0,1] op_sel_hi:[1,0,0]
	v_pk_add_f32 v[210:211], v[210:211], v[88:89] neg_lo:[0,1] neg_hi:[0,1]
	s_delay_alu instid0(VALU_DEP_2) | instskip(NEXT) | instid1(VALU_DEP_1)
	v_mov_b32_e32 v83, v71
	v_pk_add_f32 v[212:213], v[212:213], v[82:83] neg_lo:[0,1] neg_hi:[0,1]
.LBB105_352:
	s_or_b32 exec_lo, exec_lo, s1
	s_delay_alu instid0(SALU_CYCLE_1)
	s_mov_b32 s2, exec_lo
	s_wait_dscnt 0x0
	s_barrier_signal -1
	s_barrier_wait -1
	v_cmpx_eq_u32_e32 39, v132
	s_cbranch_execz .LBB105_359
; %bb.353:
	v_dual_mov_b32 v70, v184 :: v_dual_mov_b32 v71, v185
	v_dual_mov_b32 v72, v180 :: v_dual_mov_b32 v73, v181
	ds_store_b64 v133, v[156:157]
	ds_store_2addr_b64 v134, v[70:71], v[72:73] offset0:40 offset1:41
	v_dual_mov_b32 v70, v182 :: v_dual_mov_b32 v71, v183
	v_dual_mov_b32 v72, v178 :: v_dual_mov_b32 v73, v179
	ds_store_2addr_b64 v134, v[70:71], v[72:73] offset0:42 offset1:43
	v_dual_mov_b32 v70, v208 :: v_dual_mov_b32 v71, v209
	v_dual_mov_b32 v72, v200 :: v_dual_mov_b32 v73, v201
	;; [unrolled: 3-line block ×5, first 2 shown]
	ds_store_2addr_b64 v134, v[70:71], v[72:73] offset0:50 offset1:51
	ds_store_b64 v134, v[212:213] offset:416
	ds_load_b64 v[70:71], v133
	s_wait_dscnt 0x0
	v_cmp_neq_f32_e32 vcc_lo, 0, v70
	v_cmp_neq_f32_e64 s1, 0, v71
	s_or_b32 s1, vcc_lo, s1
	s_delay_alu instid0(SALU_CYCLE_1)
	s_and_b32 exec_lo, exec_lo, s1
	s_cbranch_execz .LBB105_359
; %bb.354:
	v_cmp_ngt_f32_e64 s1, |v70|, |v71|
                                        ; implicit-def: $vgpr72_vgpr73
	s_and_saveexec_b32 s4, s1
	s_delay_alu instid0(SALU_CYCLE_1)
	s_xor_b32 s1, exec_lo, s4
	s_cbranch_execz .LBB105_356
; %bb.355:
	v_div_scale_f32 v72, null, v71, v71, v70
	v_div_scale_f32 v83, vcc_lo, v70, v71, v70
	s_delay_alu instid0(VALU_DEP_2) | instskip(SKIP_1) | instid1(TRANS32_DEP_1)
	v_rcp_f32_e32 v73, v72
	v_nop
	v_fma_f32 v82, -v72, v73, 1.0
	s_delay_alu instid0(VALU_DEP_1) | instskip(NEXT) | instid1(VALU_DEP_1)
	v_fmac_f32_e32 v73, v82, v73
	v_mul_f32_e32 v82, v83, v73
	s_delay_alu instid0(VALU_DEP_1) | instskip(NEXT) | instid1(VALU_DEP_1)
	v_fma_f32 v84, -v72, v82, v83
	v_fmac_f32_e32 v82, v84, v73
	s_delay_alu instid0(VALU_DEP_1) | instskip(NEXT) | instid1(VALU_DEP_1)
	v_fma_f32 v72, -v72, v82, v83
	v_div_fmas_f32 v72, v72, v73, v82
	s_delay_alu instid0(VALU_DEP_1) | instskip(NEXT) | instid1(VALU_DEP_1)
	v_div_fixup_f32 v72, v72, v71, v70
	v_fmac_f32_e32 v71, v70, v72
	s_delay_alu instid0(VALU_DEP_1) | instskip(SKIP_1) | instid1(VALU_DEP_2)
	v_div_scale_f32 v70, null, v71, v71, 1.0
	v_div_scale_f32 v83, vcc_lo, 1.0, v71, 1.0
	v_rcp_f32_e32 v73, v70
	v_nop
	s_delay_alu instid0(TRANS32_DEP_1) | instskip(NEXT) | instid1(VALU_DEP_1)
	v_fma_f32 v82, -v70, v73, 1.0
	v_fmac_f32_e32 v73, v82, v73
	s_delay_alu instid0(VALU_DEP_1) | instskip(NEXT) | instid1(VALU_DEP_1)
	v_mul_f32_e32 v82, v83, v73
	v_fma_f32 v84, -v70, v82, v83
	s_delay_alu instid0(VALU_DEP_1) | instskip(NEXT) | instid1(VALU_DEP_1)
	v_fmac_f32_e32 v82, v84, v73
	v_fma_f32 v70, -v70, v82, v83
	s_delay_alu instid0(VALU_DEP_1) | instskip(NEXT) | instid1(VALU_DEP_1)
	v_div_fmas_f32 v70, v70, v73, v82
	v_div_fixup_f32 v70, v70, v71, 1.0
	s_delay_alu instid0(VALU_DEP_1)
	v_mul_f32_e32 v72, v72, v70
	v_xor_b32_e32 v73, 0x80000000, v70
                                        ; implicit-def: $vgpr70_vgpr71
.LBB105_356:
	s_and_not1_saveexec_b32 s1, s1
	s_cbranch_execz .LBB105_358
; %bb.357:
	v_div_scale_f32 v72, null, v70, v70, v71
	v_div_scale_f32 v83, vcc_lo, v71, v70, v71
	s_delay_alu instid0(VALU_DEP_2) | instskip(SKIP_1) | instid1(TRANS32_DEP_1)
	v_rcp_f32_e32 v73, v72
	v_nop
	v_fma_f32 v82, -v72, v73, 1.0
	s_delay_alu instid0(VALU_DEP_1) | instskip(NEXT) | instid1(VALU_DEP_1)
	v_fmac_f32_e32 v73, v82, v73
	v_mul_f32_e32 v82, v83, v73
	s_delay_alu instid0(VALU_DEP_1) | instskip(NEXT) | instid1(VALU_DEP_1)
	v_fma_f32 v84, -v72, v82, v83
	v_fmac_f32_e32 v82, v84, v73
	s_delay_alu instid0(VALU_DEP_1) | instskip(NEXT) | instid1(VALU_DEP_1)
	v_fma_f32 v72, -v72, v82, v83
	v_div_fmas_f32 v72, v72, v73, v82
	s_delay_alu instid0(VALU_DEP_1) | instskip(NEXT) | instid1(VALU_DEP_1)
	v_div_fixup_f32 v73, v72, v70, v71
	v_fmac_f32_e32 v70, v71, v73
	s_delay_alu instid0(VALU_DEP_1) | instskip(NEXT) | instid1(VALU_DEP_1)
	v_div_scale_f32 v71, null, v70, v70, 1.0
	v_rcp_f32_e32 v72, v71
	v_nop
	s_delay_alu instid0(TRANS32_DEP_1) | instskip(NEXT) | instid1(VALU_DEP_1)
	v_fma_f32 v82, -v71, v72, 1.0
	v_fmac_f32_e32 v72, v82, v72
	v_div_scale_f32 v82, vcc_lo, 1.0, v70, 1.0
	s_delay_alu instid0(VALU_DEP_1) | instskip(NEXT) | instid1(VALU_DEP_1)
	v_mul_f32_e32 v83, v82, v72
	v_fma_f32 v84, -v71, v83, v82
	s_delay_alu instid0(VALU_DEP_1) | instskip(NEXT) | instid1(VALU_DEP_1)
	v_fmac_f32_e32 v83, v84, v72
	v_fma_f32 v71, -v71, v83, v82
	s_delay_alu instid0(VALU_DEP_1) | instskip(NEXT) | instid1(VALU_DEP_1)
	v_div_fmas_f32 v71, v71, v72, v83
	v_div_fixup_f32 v72, v71, v70, 1.0
	s_delay_alu instid0(VALU_DEP_1)
	v_mul_f32_e64 v73, v73, -v72
.LBB105_358:
	s_or_b32 exec_lo, exec_lo, s1
	ds_store_b64 v133, v[72:73]
.LBB105_359:
	s_or_b32 exec_lo, exec_lo, s2
	s_wait_dscnt 0x0
	s_barrier_signal -1
	s_barrier_wait -1
	ds_load_b64 v[70:71], v133
	s_mov_b32 s1, exec_lo
	v_cmpx_lt_u32_e32 39, v132
	s_cbranch_execz .LBB105_361
; %bb.360:
	ds_load_2addr_b64 v[84:87], v134 offset0:40 offset1:41
	s_wait_dscnt 0x1
	v_pk_mul_f32 v[82:83], v[70:71], v[156:157] op_sel:[1,1] op_sel_hi:[0,1]
	s_delay_alu instid0(VALU_DEP_1) | instskip(SKIP_1) | instid1(VALU_DEP_1)
	v_pk_fma_f32 v[72:73], v[70:71], v[156:157], v[82:83] op_sel_hi:[1,0,1] neg_lo:[0,0,1] neg_hi:[0,0,1]
	v_pk_fma_f32 v[82:83], v[70:71], v[156:157], v[82:83] op_sel_hi:[1,0,1]
	v_dual_mov_b32 v156, v72 :: v_dual_mov_b32 v157, v83
	s_wait_dscnt 0x0
	s_delay_alu instid0(VALU_DEP_2) | instskip(NEXT) | instid1(VALU_DEP_1)
	v_pk_mul_f32 v[88:89], v[84:85], v[82:83] op_sel:[0,1]
	v_pk_fma_f32 v[98:99], v[84:85], v[72:73], v[88:89] op_sel:[0,0,1] op_sel_hi:[1,1,0] neg_lo:[0,0,1] neg_hi:[0,0,1]
	v_pk_fma_f32 v[84:85], v[84:85], v[72:73], v[88:89] op_sel:[0,0,1] op_sel_hi:[1,0,0]
	s_delay_alu instid0(VALU_DEP_1) | instskip(SKIP_1) | instid1(VALU_DEP_1)
	v_mov_b32_e32 v99, v85
	v_pk_mul_f32 v[84:85], v[86:87], v[82:83] op_sel:[0,1]
	v_pk_fma_f32 v[88:89], v[86:87], v[72:73], v[84:85] op_sel:[0,0,1] op_sel_hi:[1,1,0] neg_lo:[0,0,1] neg_hi:[0,0,1]
	v_pk_fma_f32 v[84:85], v[86:87], v[72:73], v[84:85] op_sel:[0,0,1] op_sel_hi:[1,0,0]
	s_delay_alu instid0(VALU_DEP_1)
	v_mov_b32_e32 v89, v85
	ds_load_2addr_b64 v[84:87], v134 offset0:42 offset1:43
	v_pk_add_f32 v[184:185], v[184:185], v[98:99] neg_lo:[0,1] neg_hi:[0,1]
	v_pk_add_f32 v[180:181], v[180:181], v[88:89] neg_lo:[0,1] neg_hi:[0,1]
	s_wait_dscnt 0x0
	v_pk_mul_f32 v[88:89], v[84:85], v[82:83] op_sel:[0,1]
	s_delay_alu instid0(VALU_DEP_1) | instskip(SKIP_2) | instid1(VALU_DEP_2)
	v_pk_fma_f32 v[98:99], v[84:85], v[72:73], v[88:89] op_sel:[0,0,1] op_sel_hi:[1,1,0] neg_lo:[0,0,1] neg_hi:[0,0,1]
	v_pk_fma_f32 v[84:85], v[84:85], v[72:73], v[88:89] op_sel:[0,0,1] op_sel_hi:[1,0,0]
	v_dual_mul_f32 v88, v87, v83 :: v_dual_mov_b32 v84, v87
	v_dual_mov_b32 v99, v85 :: v_dual_mov_b32 v85, v86
	s_delay_alu instid0(VALU_DEP_2) | instskip(SKIP_1) | instid1(VALU_DEP_3)
	v_pk_fma_f32 v[88:89], v[86:87], v[156:157], v[88:89] op_sel_hi:[1,1,0] neg_lo:[0,0,1] neg_hi:[0,0,1]
	v_mul_f32_e32 v86, v87, v72
	v_pk_add_f32 v[182:183], v[182:183], v[98:99] neg_lo:[0,1] neg_hi:[0,1]
	s_delay_alu instid0(VALU_DEP_2) | instskip(NEXT) | instid1(VALU_DEP_1)
	v_pk_fma_f32 v[84:85], v[84:85], v[156:157], v[86:87] op_sel_hi:[1,1,0]
	v_mov_b32_e32 v89, v85
	ds_load_2addr_b64 v[84:87], v134 offset0:44 offset1:45
	v_pk_add_f32 v[178:179], v[178:179], v[88:89] neg_lo:[0,1] neg_hi:[0,1]
	s_wait_dscnt 0x0
	v_pk_mul_f32 v[88:89], v[84:85], v[82:83] op_sel:[0,1]
	s_delay_alu instid0(VALU_DEP_1) | instskip(SKIP_1) | instid1(VALU_DEP_1)
	v_pk_fma_f32 v[98:99], v[84:85], v[72:73], v[88:89] op_sel:[0,0,1] op_sel_hi:[1,1,0] neg_lo:[0,0,1] neg_hi:[0,0,1]
	v_pk_fma_f32 v[84:85], v[84:85], v[72:73], v[88:89] op_sel:[0,0,1] op_sel_hi:[1,0,0]
	v_mov_b32_e32 v99, v85
	v_pk_mul_f32 v[84:85], v[86:87], v[82:83] op_sel:[0,1]
	s_delay_alu instid0(VALU_DEP_1) | instskip(SKIP_1) | instid1(VALU_DEP_1)
	v_pk_fma_f32 v[88:89], v[86:87], v[72:73], v[84:85] op_sel:[0,0,1] op_sel_hi:[1,1,0] neg_lo:[0,0,1] neg_hi:[0,0,1]
	v_pk_fma_f32 v[84:85], v[86:87], v[72:73], v[84:85] op_sel:[0,0,1] op_sel_hi:[1,0,0]
	v_mov_b32_e32 v89, v85
	ds_load_2addr_b64 v[84:87], v134 offset0:46 offset1:47
	v_pk_add_f32 v[208:209], v[208:209], v[98:99] neg_lo:[0,1] neg_hi:[0,1]
	v_pk_add_f32 v[200:201], v[200:201], v[88:89] neg_lo:[0,1] neg_hi:[0,1]
	s_wait_dscnt 0x0
	v_pk_mul_f32 v[88:89], v[84:85], v[82:83] op_sel:[0,1]
	s_delay_alu instid0(VALU_DEP_1) | instskip(SKIP_1) | instid1(VALU_DEP_1)
	v_pk_fma_f32 v[98:99], v[84:85], v[72:73], v[88:89] op_sel:[0,0,1] op_sel_hi:[1,1,0] neg_lo:[0,0,1] neg_hi:[0,0,1]
	v_pk_fma_f32 v[84:85], v[84:85], v[72:73], v[88:89] op_sel:[0,0,1] op_sel_hi:[1,0,0]
	v_mov_b32_e32 v99, v85
	v_pk_mul_f32 v[84:85], v[86:87], v[82:83] op_sel:[0,1]
	s_delay_alu instid0(VALU_DEP_1) | instskip(SKIP_1) | instid1(VALU_DEP_1)
	v_pk_fma_f32 v[88:89], v[86:87], v[72:73], v[84:85] op_sel:[0,0,1] op_sel_hi:[1,1,0] neg_lo:[0,0,1] neg_hi:[0,0,1]
	v_pk_fma_f32 v[84:85], v[86:87], v[72:73], v[84:85] op_sel:[0,0,1] op_sel_hi:[1,0,0]
	v_mov_b32_e32 v89, v85
	ds_load_2addr_b64 v[84:87], v134 offset0:48 offset1:49
	v_pk_add_f32 v[206:207], v[206:207], v[98:99] neg_lo:[0,1] neg_hi:[0,1]
	v_pk_add_f32 v[198:199], v[198:199], v[88:89] neg_lo:[0,1] neg_hi:[0,1]
	s_wait_dscnt 0x0
	v_dual_mul_f32 v88, v85, v83 :: v_dual_mul_f32 v98, v85, v72
	s_delay_alu instid0(VALU_DEP_1) | instskip(NEXT) | instid1(VALU_DEP_2)
	v_pk_fma_f32 v[88:89], v[84:85], v[156:157], v[88:89] op_sel_hi:[1,1,0] neg_lo:[0,0,1] neg_hi:[0,0,1]
	v_pk_fma_f32 v[84:85], v[84:85], v[156:157], v[98:99] op_sel:[1,0,0] op_sel_hi:[0,1,0]
	s_delay_alu instid0(VALU_DEP_1) | instskip(SKIP_1) | instid1(VALU_DEP_2)
	v_mov_b32_e32 v89, v85
	v_pk_mul_f32 v[84:85], v[86:87], v[82:83] op_sel:[0,1]
	v_pk_add_f32 v[204:205], v[204:205], v[88:89] neg_lo:[0,1] neg_hi:[0,1]
	s_delay_alu instid0(VALU_DEP_2) | instskip(SKIP_1) | instid1(VALU_DEP_1)
	v_pk_fma_f32 v[88:89], v[86:87], v[72:73], v[84:85] op_sel:[0,0,1] op_sel_hi:[1,1,0] neg_lo:[0,0,1] neg_hi:[0,0,1]
	v_pk_fma_f32 v[84:85], v[86:87], v[72:73], v[84:85] op_sel:[0,0,1] op_sel_hi:[1,0,0]
	v_mov_b32_e32 v89, v85
	ds_load_2addr_b64 v[84:87], v134 offset0:50 offset1:51
	v_pk_add_f32 v[196:197], v[196:197], v[88:89] neg_lo:[0,1] neg_hi:[0,1]
	s_wait_dscnt 0x0
	v_pk_mul_f32 v[88:89], v[84:85], v[82:83] op_sel:[0,1]
	s_delay_alu instid0(VALU_DEP_1) | instskip(SKIP_1) | instid1(VALU_DEP_1)
	v_pk_fma_f32 v[98:99], v[84:85], v[72:73], v[88:89] op_sel:[0,0,1] op_sel_hi:[1,1,0] neg_lo:[0,0,1] neg_hi:[0,0,1]
	v_pk_fma_f32 v[84:85], v[84:85], v[72:73], v[88:89] op_sel:[0,0,1] op_sel_hi:[1,0,0]
	v_mov_b32_e32 v99, v85
	v_pk_mul_f32 v[84:85], v[86:87], v[82:83] op_sel:[0,1]
	s_delay_alu instid0(VALU_DEP_2) | instskip(NEXT) | instid1(VALU_DEP_2)
	v_pk_add_f32 v[202:203], v[202:203], v[98:99] neg_lo:[0,1] neg_hi:[0,1]
	v_pk_fma_f32 v[88:89], v[86:87], v[72:73], v[84:85] op_sel:[0,0,1] op_sel_hi:[1,1,0] neg_lo:[0,0,1] neg_hi:[0,0,1]
	v_pk_fma_f32 v[84:85], v[86:87], v[72:73], v[84:85] op_sel:[0,0,1] op_sel_hi:[1,0,0]
	s_delay_alu instid0(VALU_DEP_1) | instskip(SKIP_4) | instid1(VALU_DEP_1)
	v_mov_b32_e32 v89, v85
	ds_load_b64 v[84:85], v134 offset:416
	v_pk_add_f32 v[210:211], v[210:211], v[88:89] neg_lo:[0,1] neg_hi:[0,1]
	s_wait_dscnt 0x0
	v_pk_mul_f32 v[82:83], v[84:85], v[82:83] op_sel:[0,1]
	v_pk_fma_f32 v[86:87], v[84:85], v[72:73], v[82:83] op_sel:[0,0,1] op_sel_hi:[1,1,0] neg_lo:[0,0,1] neg_hi:[0,0,1]
	v_pk_fma_f32 v[72:73], v[84:85], v[72:73], v[82:83] op_sel:[0,0,1] op_sel_hi:[1,0,0]
	s_delay_alu instid0(VALU_DEP_1) | instskip(NEXT) | instid1(VALU_DEP_1)
	v_mov_b32_e32 v87, v73
	v_pk_add_f32 v[212:213], v[212:213], v[86:87] neg_lo:[0,1] neg_hi:[0,1]
.LBB105_361:
	s_or_b32 exec_lo, exec_lo, s1
	s_delay_alu instid0(SALU_CYCLE_1)
	s_mov_b32 s2, exec_lo
	s_wait_dscnt 0x0
	s_barrier_signal -1
	s_barrier_wait -1
	v_cmpx_eq_u32_e32 40, v132
	s_cbranch_execz .LBB105_368
; %bb.362:
	ds_store_b64 v133, v[184:185]
	ds_store_2addr_b64 v134, v[180:181], v[182:183] offset0:41 offset1:42
	ds_store_2addr_b64 v134, v[178:179], v[208:209] offset0:43 offset1:44
	;; [unrolled: 1-line block ×6, first 2 shown]
	ds_load_b64 v[72:73], v133
	s_wait_dscnt 0x0
	v_cmp_neq_f32_e32 vcc_lo, 0, v72
	v_cmp_neq_f32_e64 s1, 0, v73
	s_or_b32 s1, vcc_lo, s1
	s_delay_alu instid0(SALU_CYCLE_1)
	s_and_b32 exec_lo, exec_lo, s1
	s_cbranch_execz .LBB105_368
; %bb.363:
	v_cmp_ngt_f32_e64 s1, |v72|, |v73|
                                        ; implicit-def: $vgpr82_vgpr83
	s_and_saveexec_b32 s4, s1
	s_delay_alu instid0(SALU_CYCLE_1)
	s_xor_b32 s1, exec_lo, s4
	s_cbranch_execz .LBB105_365
; %bb.364:
	v_div_scale_f32 v82, null, v73, v73, v72
	v_div_scale_f32 v85, vcc_lo, v72, v73, v72
	s_delay_alu instid0(VALU_DEP_2) | instskip(SKIP_1) | instid1(TRANS32_DEP_1)
	v_rcp_f32_e32 v83, v82
	v_nop
	v_fma_f32 v84, -v82, v83, 1.0
	s_delay_alu instid0(VALU_DEP_1) | instskip(NEXT) | instid1(VALU_DEP_1)
	v_fmac_f32_e32 v83, v84, v83
	v_mul_f32_e32 v84, v85, v83
	s_delay_alu instid0(VALU_DEP_1) | instskip(NEXT) | instid1(VALU_DEP_1)
	v_fma_f32 v86, -v82, v84, v85
	v_fmac_f32_e32 v84, v86, v83
	s_delay_alu instid0(VALU_DEP_1) | instskip(NEXT) | instid1(VALU_DEP_1)
	v_fma_f32 v82, -v82, v84, v85
	v_div_fmas_f32 v82, v82, v83, v84
	s_delay_alu instid0(VALU_DEP_1) | instskip(NEXT) | instid1(VALU_DEP_1)
	v_div_fixup_f32 v82, v82, v73, v72
	v_fmac_f32_e32 v73, v72, v82
	s_delay_alu instid0(VALU_DEP_1) | instskip(SKIP_1) | instid1(VALU_DEP_2)
	v_div_scale_f32 v72, null, v73, v73, 1.0
	v_div_scale_f32 v85, vcc_lo, 1.0, v73, 1.0
	v_rcp_f32_e32 v83, v72
	v_nop
	s_delay_alu instid0(TRANS32_DEP_1) | instskip(NEXT) | instid1(VALU_DEP_1)
	v_fma_f32 v84, -v72, v83, 1.0
	v_fmac_f32_e32 v83, v84, v83
	s_delay_alu instid0(VALU_DEP_1) | instskip(NEXT) | instid1(VALU_DEP_1)
	v_mul_f32_e32 v84, v85, v83
	v_fma_f32 v86, -v72, v84, v85
	s_delay_alu instid0(VALU_DEP_1) | instskip(NEXT) | instid1(VALU_DEP_1)
	v_fmac_f32_e32 v84, v86, v83
	v_fma_f32 v72, -v72, v84, v85
	s_delay_alu instid0(VALU_DEP_1) | instskip(NEXT) | instid1(VALU_DEP_1)
	v_div_fmas_f32 v72, v72, v83, v84
	v_div_fixup_f32 v72, v72, v73, 1.0
	s_delay_alu instid0(VALU_DEP_1)
	v_mul_f32_e32 v82, v82, v72
	v_xor_b32_e32 v83, 0x80000000, v72
                                        ; implicit-def: $vgpr72_vgpr73
.LBB105_365:
	s_and_not1_saveexec_b32 s1, s1
	s_cbranch_execz .LBB105_367
; %bb.366:
	v_div_scale_f32 v82, null, v72, v72, v73
	v_div_scale_f32 v85, vcc_lo, v73, v72, v73
	s_delay_alu instid0(VALU_DEP_2) | instskip(SKIP_1) | instid1(TRANS32_DEP_1)
	v_rcp_f32_e32 v83, v82
	v_nop
	v_fma_f32 v84, -v82, v83, 1.0
	s_delay_alu instid0(VALU_DEP_1) | instskip(NEXT) | instid1(VALU_DEP_1)
	v_fmac_f32_e32 v83, v84, v83
	v_mul_f32_e32 v84, v85, v83
	s_delay_alu instid0(VALU_DEP_1) | instskip(NEXT) | instid1(VALU_DEP_1)
	v_fma_f32 v86, -v82, v84, v85
	v_fmac_f32_e32 v84, v86, v83
	s_delay_alu instid0(VALU_DEP_1) | instskip(NEXT) | instid1(VALU_DEP_1)
	v_fma_f32 v82, -v82, v84, v85
	v_div_fmas_f32 v82, v82, v83, v84
	s_delay_alu instid0(VALU_DEP_1) | instskip(NEXT) | instid1(VALU_DEP_1)
	v_div_fixup_f32 v83, v82, v72, v73
	v_fmac_f32_e32 v72, v73, v83
	s_delay_alu instid0(VALU_DEP_1) | instskip(NEXT) | instid1(VALU_DEP_1)
	v_div_scale_f32 v73, null, v72, v72, 1.0
	v_rcp_f32_e32 v82, v73
	v_nop
	s_delay_alu instid0(TRANS32_DEP_1) | instskip(NEXT) | instid1(VALU_DEP_1)
	v_fma_f32 v84, -v73, v82, 1.0
	v_fmac_f32_e32 v82, v84, v82
	v_div_scale_f32 v84, vcc_lo, 1.0, v72, 1.0
	s_delay_alu instid0(VALU_DEP_1) | instskip(NEXT) | instid1(VALU_DEP_1)
	v_mul_f32_e32 v85, v84, v82
	v_fma_f32 v86, -v73, v85, v84
	s_delay_alu instid0(VALU_DEP_1) | instskip(NEXT) | instid1(VALU_DEP_1)
	v_fmac_f32_e32 v85, v86, v82
	v_fma_f32 v73, -v73, v85, v84
	s_delay_alu instid0(VALU_DEP_1) | instskip(NEXT) | instid1(VALU_DEP_1)
	v_div_fmas_f32 v73, v73, v82, v85
	v_div_fixup_f32 v82, v73, v72, 1.0
	s_delay_alu instid0(VALU_DEP_1)
	v_mul_f32_e64 v83, v83, -v82
.LBB105_367:
	s_or_b32 exec_lo, exec_lo, s1
	ds_store_b64 v133, v[82:83]
.LBB105_368:
	s_or_b32 exec_lo, exec_lo, s2
	s_wait_dscnt 0x0
	s_barrier_signal -1
	s_barrier_wait -1
	ds_load_b64 v[72:73], v133
	s_mov_b32 s1, exec_lo
	v_cmpx_lt_u32_e32 40, v132
	s_cbranch_execz .LBB105_370
; %bb.369:
	ds_load_2addr_b64 v[86:89], v134 offset0:41 offset1:42
	s_wait_dscnt 0x1
	v_pk_mul_f32 v[84:85], v[72:73], v[184:185] op_sel:[1,1] op_sel_hi:[0,1]
	s_delay_alu instid0(VALU_DEP_1) | instskip(SKIP_1) | instid1(VALU_DEP_1)
	v_pk_fma_f32 v[82:83], v[72:73], v[184:185], v[84:85] op_sel_hi:[1,0,1] neg_lo:[0,0,1] neg_hi:[0,0,1]
	v_pk_fma_f32 v[84:85], v[72:73], v[184:185], v[84:85] op_sel_hi:[1,0,1]
	v_dual_mov_b32 v184, v82 :: v_dual_mov_b32 v185, v85
	s_wait_dscnt 0x0
	s_delay_alu instid0(VALU_DEP_2) | instskip(NEXT) | instid1(VALU_DEP_1)
	v_pk_mul_f32 v[98:99], v[86:87], v[84:85] op_sel:[0,1]
	v_pk_fma_f32 v[100:101], v[86:87], v[82:83], v[98:99] op_sel:[0,0,1] op_sel_hi:[1,1,0] neg_lo:[0,0,1] neg_hi:[0,0,1]
	v_pk_fma_f32 v[86:87], v[86:87], v[82:83], v[98:99] op_sel:[0,0,1] op_sel_hi:[1,0,0]
	s_delay_alu instid0(VALU_DEP_1) | instskip(SKIP_1) | instid1(VALU_DEP_1)
	v_mov_b32_e32 v101, v87
	v_pk_mul_f32 v[86:87], v[88:89], v[84:85] op_sel:[0,1]
	v_pk_fma_f32 v[98:99], v[88:89], v[82:83], v[86:87] op_sel:[0,0,1] op_sel_hi:[1,1,0] neg_lo:[0,0,1] neg_hi:[0,0,1]
	v_pk_fma_f32 v[86:87], v[88:89], v[82:83], v[86:87] op_sel:[0,0,1] op_sel_hi:[1,0,0]
	s_delay_alu instid0(VALU_DEP_1)
	v_mov_b32_e32 v99, v87
	ds_load_2addr_b64 v[86:89], v134 offset0:43 offset1:44
	v_pk_add_f32 v[180:181], v[180:181], v[100:101] neg_lo:[0,1] neg_hi:[0,1]
	v_pk_add_f32 v[182:183], v[182:183], v[98:99] neg_lo:[0,1] neg_hi:[0,1]
	s_wait_dscnt 0x0
	v_pk_mul_f32 v[98:99], v[86:87], v[84:85] op_sel:[0,1]
	s_delay_alu instid0(VALU_DEP_1) | instskip(SKIP_2) | instid1(VALU_DEP_2)
	v_pk_fma_f32 v[100:101], v[86:87], v[82:83], v[98:99] op_sel:[0,0,1] op_sel_hi:[1,1,0] neg_lo:[0,0,1] neg_hi:[0,0,1]
	v_pk_fma_f32 v[86:87], v[86:87], v[82:83], v[98:99] op_sel:[0,0,1] op_sel_hi:[1,0,0]
	v_dual_mul_f32 v98, v89, v85 :: v_dual_mov_b32 v86, v89
	v_dual_mov_b32 v101, v87 :: v_dual_mov_b32 v87, v88
	s_delay_alu instid0(VALU_DEP_2) | instskip(SKIP_1) | instid1(VALU_DEP_3)
	v_pk_fma_f32 v[98:99], v[88:89], v[184:185], v[98:99] op_sel_hi:[1,1,0] neg_lo:[0,0,1] neg_hi:[0,0,1]
	v_mul_f32_e32 v88, v89, v82
	v_pk_add_f32 v[178:179], v[178:179], v[100:101] neg_lo:[0,1] neg_hi:[0,1]
	s_delay_alu instid0(VALU_DEP_2) | instskip(NEXT) | instid1(VALU_DEP_1)
	v_pk_fma_f32 v[86:87], v[86:87], v[184:185], v[88:89] op_sel_hi:[1,1,0]
	v_mov_b32_e32 v99, v87
	ds_load_2addr_b64 v[86:89], v134 offset0:45 offset1:46
	v_pk_add_f32 v[208:209], v[208:209], v[98:99] neg_lo:[0,1] neg_hi:[0,1]
	s_wait_dscnt 0x0
	v_pk_mul_f32 v[98:99], v[86:87], v[84:85] op_sel:[0,1]
	s_delay_alu instid0(VALU_DEP_1) | instskip(SKIP_1) | instid1(VALU_DEP_1)
	v_pk_fma_f32 v[100:101], v[86:87], v[82:83], v[98:99] op_sel:[0,0,1] op_sel_hi:[1,1,0] neg_lo:[0,0,1] neg_hi:[0,0,1]
	v_pk_fma_f32 v[86:87], v[86:87], v[82:83], v[98:99] op_sel:[0,0,1] op_sel_hi:[1,0,0]
	v_mov_b32_e32 v101, v87
	v_pk_mul_f32 v[86:87], v[88:89], v[84:85] op_sel:[0,1]
	s_delay_alu instid0(VALU_DEP_1) | instskip(SKIP_1) | instid1(VALU_DEP_1)
	v_pk_fma_f32 v[98:99], v[88:89], v[82:83], v[86:87] op_sel:[0,0,1] op_sel_hi:[1,1,0] neg_lo:[0,0,1] neg_hi:[0,0,1]
	v_pk_fma_f32 v[86:87], v[88:89], v[82:83], v[86:87] op_sel:[0,0,1] op_sel_hi:[1,0,0]
	v_mov_b32_e32 v99, v87
	ds_load_2addr_b64 v[86:89], v134 offset0:47 offset1:48
	v_pk_add_f32 v[200:201], v[200:201], v[100:101] neg_lo:[0,1] neg_hi:[0,1]
	v_pk_add_f32 v[206:207], v[206:207], v[98:99] neg_lo:[0,1] neg_hi:[0,1]
	s_wait_dscnt 0x0
	v_pk_mul_f32 v[98:99], v[86:87], v[84:85] op_sel:[0,1]
	s_delay_alu instid0(VALU_DEP_1) | instskip(SKIP_1) | instid1(VALU_DEP_1)
	v_pk_fma_f32 v[100:101], v[86:87], v[82:83], v[98:99] op_sel:[0,0,1] op_sel_hi:[1,1,0] neg_lo:[0,0,1] neg_hi:[0,0,1]
	v_pk_fma_f32 v[86:87], v[86:87], v[82:83], v[98:99] op_sel:[0,0,1] op_sel_hi:[1,0,0]
	v_mov_b32_e32 v101, v87
	v_pk_mul_f32 v[86:87], v[88:89], v[84:85] op_sel:[0,1]
	s_delay_alu instid0(VALU_DEP_1) | instskip(SKIP_1) | instid1(VALU_DEP_1)
	v_pk_fma_f32 v[98:99], v[88:89], v[82:83], v[86:87] op_sel:[0,0,1] op_sel_hi:[1,1,0] neg_lo:[0,0,1] neg_hi:[0,0,1]
	v_pk_fma_f32 v[86:87], v[88:89], v[82:83], v[86:87] op_sel:[0,0,1] op_sel_hi:[1,0,0]
	v_mov_b32_e32 v99, v87
	ds_load_2addr_b64 v[86:89], v134 offset0:49 offset1:50
	v_pk_add_f32 v[198:199], v[198:199], v[100:101] neg_lo:[0,1] neg_hi:[0,1]
	v_pk_add_f32 v[204:205], v[204:205], v[98:99] neg_lo:[0,1] neg_hi:[0,1]
	s_wait_dscnt 0x0
	v_dual_mul_f32 v98, v87, v85 :: v_dual_mul_f32 v100, v87, v82
	s_delay_alu instid0(VALU_DEP_1) | instskip(NEXT) | instid1(VALU_DEP_2)
	v_pk_fma_f32 v[98:99], v[86:87], v[184:185], v[98:99] op_sel_hi:[1,1,0] neg_lo:[0,0,1] neg_hi:[0,0,1]
	v_pk_fma_f32 v[86:87], v[86:87], v[184:185], v[100:101] op_sel:[1,0,0] op_sel_hi:[0,1,0]
	s_delay_alu instid0(VALU_DEP_1) | instskip(SKIP_1) | instid1(VALU_DEP_2)
	v_mov_b32_e32 v99, v87
	v_pk_mul_f32 v[86:87], v[88:89], v[84:85] op_sel:[0,1]
	v_pk_add_f32 v[196:197], v[196:197], v[98:99] neg_lo:[0,1] neg_hi:[0,1]
	s_delay_alu instid0(VALU_DEP_2) | instskip(SKIP_1) | instid1(VALU_DEP_1)
	v_pk_fma_f32 v[98:99], v[88:89], v[82:83], v[86:87] op_sel:[0,0,1] op_sel_hi:[1,1,0] neg_lo:[0,0,1] neg_hi:[0,0,1]
	v_pk_fma_f32 v[86:87], v[88:89], v[82:83], v[86:87] op_sel:[0,0,1] op_sel_hi:[1,0,0]
	v_mov_b32_e32 v99, v87
	ds_load_2addr_b64 v[86:89], v134 offset0:51 offset1:52
	v_pk_add_f32 v[202:203], v[202:203], v[98:99] neg_lo:[0,1] neg_hi:[0,1]
	s_wait_dscnt 0x0
	v_pk_mul_f32 v[98:99], v[86:87], v[84:85] op_sel:[0,1]
	v_mul_f32_e32 v84, v89, v85
	s_delay_alu instid0(VALU_DEP_2) | instskip(SKIP_2) | instid1(VALU_DEP_4)
	v_pk_fma_f32 v[100:101], v[86:87], v[82:83], v[98:99] op_sel:[0,0,1] op_sel_hi:[1,1,0] neg_lo:[0,0,1] neg_hi:[0,0,1]
	v_pk_fma_f32 v[86:87], v[86:87], v[82:83], v[98:99] op_sel:[0,0,1] op_sel_hi:[1,0,0]
	v_dual_mov_b32 v86, v89 :: v_dual_mul_f32 v82, v89, v82
	v_pk_fma_f32 v[84:85], v[88:89], v[184:185], v[84:85] op_sel_hi:[1,1,0] neg_lo:[0,0,1] neg_hi:[0,0,1]
	s_delay_alu instid0(VALU_DEP_3) | instskip(NEXT) | instid1(VALU_DEP_1)
	v_dual_mov_b32 v101, v87 :: v_dual_mov_b32 v87, v88
	v_pk_add_f32 v[210:211], v[210:211], v[100:101] neg_lo:[0,1] neg_hi:[0,1]
	s_delay_alu instid0(VALU_DEP_2) | instskip(NEXT) | instid1(VALU_DEP_1)
	v_pk_fma_f32 v[82:83], v[86:87], v[184:185], v[82:83] op_sel_hi:[1,1,0]
	v_mov_b32_e32 v85, v83
	s_delay_alu instid0(VALU_DEP_1)
	v_pk_add_f32 v[212:213], v[212:213], v[84:85] neg_lo:[0,1] neg_hi:[0,1]
.LBB105_370:
	s_or_b32 exec_lo, exec_lo, s1
	s_delay_alu instid0(SALU_CYCLE_1)
	s_mov_b32 s2, exec_lo
	s_wait_dscnt 0x0
	s_barrier_signal -1
	s_barrier_wait -1
	v_cmpx_eq_u32_e32 41, v132
	s_cbranch_execz .LBB105_377
; %bb.371:
	v_dual_mov_b32 v82, v182 :: v_dual_mov_b32 v83, v183
	v_dual_mov_b32 v84, v178 :: v_dual_mov_b32 v85, v179
	ds_store_b64 v133, v[180:181]
	ds_store_2addr_b64 v134, v[82:83], v[84:85] offset0:42 offset1:43
	v_dual_mov_b32 v82, v208 :: v_dual_mov_b32 v83, v209
	v_dual_mov_b32 v84, v200 :: v_dual_mov_b32 v85, v201
	ds_store_2addr_b64 v134, v[82:83], v[84:85] offset0:44 offset1:45
	v_dual_mov_b32 v82, v206 :: v_dual_mov_b32 v83, v207
	v_dual_mov_b32 v84, v198 :: v_dual_mov_b32 v85, v199
	;; [unrolled: 3-line block ×4, first 2 shown]
	ds_store_2addr_b64 v134, v[82:83], v[84:85] offset0:50 offset1:51
	ds_store_b64 v134, v[212:213] offset:416
	ds_load_b64 v[82:83], v133
	s_wait_dscnt 0x0
	v_cmp_neq_f32_e32 vcc_lo, 0, v82
	v_cmp_neq_f32_e64 s1, 0, v83
	s_or_b32 s1, vcc_lo, s1
	s_delay_alu instid0(SALU_CYCLE_1)
	s_and_b32 exec_lo, exec_lo, s1
	s_cbranch_execz .LBB105_377
; %bb.372:
	v_cmp_ngt_f32_e64 s1, |v82|, |v83|
                                        ; implicit-def: $vgpr84_vgpr85
	s_and_saveexec_b32 s4, s1
	s_delay_alu instid0(SALU_CYCLE_1)
	s_xor_b32 s1, exec_lo, s4
	s_cbranch_execz .LBB105_374
; %bb.373:
	v_div_scale_f32 v84, null, v83, v83, v82
	v_div_scale_f32 v87, vcc_lo, v82, v83, v82
	s_delay_alu instid0(VALU_DEP_2) | instskip(SKIP_1) | instid1(TRANS32_DEP_1)
	v_rcp_f32_e32 v85, v84
	v_nop
	v_fma_f32 v86, -v84, v85, 1.0
	s_delay_alu instid0(VALU_DEP_1) | instskip(NEXT) | instid1(VALU_DEP_1)
	v_fmac_f32_e32 v85, v86, v85
	v_mul_f32_e32 v86, v87, v85
	s_delay_alu instid0(VALU_DEP_1) | instskip(NEXT) | instid1(VALU_DEP_1)
	v_fma_f32 v88, -v84, v86, v87
	v_fmac_f32_e32 v86, v88, v85
	s_delay_alu instid0(VALU_DEP_1) | instskip(NEXT) | instid1(VALU_DEP_1)
	v_fma_f32 v84, -v84, v86, v87
	v_div_fmas_f32 v84, v84, v85, v86
	s_delay_alu instid0(VALU_DEP_1) | instskip(NEXT) | instid1(VALU_DEP_1)
	v_div_fixup_f32 v84, v84, v83, v82
	v_fmac_f32_e32 v83, v82, v84
	s_delay_alu instid0(VALU_DEP_1) | instskip(SKIP_1) | instid1(VALU_DEP_2)
	v_div_scale_f32 v82, null, v83, v83, 1.0
	v_div_scale_f32 v87, vcc_lo, 1.0, v83, 1.0
	v_rcp_f32_e32 v85, v82
	v_nop
	s_delay_alu instid0(TRANS32_DEP_1) | instskip(NEXT) | instid1(VALU_DEP_1)
	v_fma_f32 v86, -v82, v85, 1.0
	v_fmac_f32_e32 v85, v86, v85
	s_delay_alu instid0(VALU_DEP_1) | instskip(NEXT) | instid1(VALU_DEP_1)
	v_mul_f32_e32 v86, v87, v85
	v_fma_f32 v88, -v82, v86, v87
	s_delay_alu instid0(VALU_DEP_1) | instskip(NEXT) | instid1(VALU_DEP_1)
	v_fmac_f32_e32 v86, v88, v85
	v_fma_f32 v82, -v82, v86, v87
	s_delay_alu instid0(VALU_DEP_1) | instskip(NEXT) | instid1(VALU_DEP_1)
	v_div_fmas_f32 v82, v82, v85, v86
	v_div_fixup_f32 v82, v82, v83, 1.0
	s_delay_alu instid0(VALU_DEP_1)
	v_mul_f32_e32 v84, v84, v82
	v_xor_b32_e32 v85, 0x80000000, v82
                                        ; implicit-def: $vgpr82_vgpr83
.LBB105_374:
	s_and_not1_saveexec_b32 s1, s1
	s_cbranch_execz .LBB105_376
; %bb.375:
	v_div_scale_f32 v84, null, v82, v82, v83
	v_div_scale_f32 v87, vcc_lo, v83, v82, v83
	s_delay_alu instid0(VALU_DEP_2) | instskip(SKIP_1) | instid1(TRANS32_DEP_1)
	v_rcp_f32_e32 v85, v84
	v_nop
	v_fma_f32 v86, -v84, v85, 1.0
	s_delay_alu instid0(VALU_DEP_1) | instskip(NEXT) | instid1(VALU_DEP_1)
	v_fmac_f32_e32 v85, v86, v85
	v_mul_f32_e32 v86, v87, v85
	s_delay_alu instid0(VALU_DEP_1) | instskip(NEXT) | instid1(VALU_DEP_1)
	v_fma_f32 v88, -v84, v86, v87
	v_fmac_f32_e32 v86, v88, v85
	s_delay_alu instid0(VALU_DEP_1) | instskip(NEXT) | instid1(VALU_DEP_1)
	v_fma_f32 v84, -v84, v86, v87
	v_div_fmas_f32 v84, v84, v85, v86
	s_delay_alu instid0(VALU_DEP_1) | instskip(NEXT) | instid1(VALU_DEP_1)
	v_div_fixup_f32 v85, v84, v82, v83
	v_fmac_f32_e32 v82, v83, v85
	s_delay_alu instid0(VALU_DEP_1) | instskip(NEXT) | instid1(VALU_DEP_1)
	v_div_scale_f32 v83, null, v82, v82, 1.0
	v_rcp_f32_e32 v84, v83
	v_nop
	s_delay_alu instid0(TRANS32_DEP_1) | instskip(NEXT) | instid1(VALU_DEP_1)
	v_fma_f32 v86, -v83, v84, 1.0
	v_fmac_f32_e32 v84, v86, v84
	v_div_scale_f32 v86, vcc_lo, 1.0, v82, 1.0
	s_delay_alu instid0(VALU_DEP_1) | instskip(NEXT) | instid1(VALU_DEP_1)
	v_mul_f32_e32 v87, v86, v84
	v_fma_f32 v88, -v83, v87, v86
	s_delay_alu instid0(VALU_DEP_1) | instskip(NEXT) | instid1(VALU_DEP_1)
	v_fmac_f32_e32 v87, v88, v84
	v_fma_f32 v83, -v83, v87, v86
	s_delay_alu instid0(VALU_DEP_1) | instskip(NEXT) | instid1(VALU_DEP_1)
	v_div_fmas_f32 v83, v83, v84, v87
	v_div_fixup_f32 v84, v83, v82, 1.0
	s_delay_alu instid0(VALU_DEP_1)
	v_mul_f32_e64 v85, v85, -v84
.LBB105_376:
	s_or_b32 exec_lo, exec_lo, s1
	ds_store_b64 v133, v[84:85]
.LBB105_377:
	s_or_b32 exec_lo, exec_lo, s2
	s_wait_dscnt 0x0
	s_barrier_signal -1
	s_barrier_wait -1
	ds_load_b64 v[82:83], v133
	s_mov_b32 s1, exec_lo
	v_cmpx_lt_u32_e32 41, v132
	s_cbranch_execz .LBB105_379
; %bb.378:
	ds_load_2addr_b64 v[98:101], v134 offset0:42 offset1:43
	s_wait_dscnt 0x1
	v_pk_mul_f32 v[86:87], v[82:83], v[180:181] op_sel:[1,1] op_sel_hi:[0,1]
	s_delay_alu instid0(VALU_DEP_1) | instskip(SKIP_1) | instid1(VALU_DEP_1)
	v_pk_fma_f32 v[84:85], v[82:83], v[180:181], v[86:87] op_sel_hi:[1,0,1] neg_lo:[0,0,1] neg_hi:[0,0,1]
	v_pk_fma_f32 v[86:87], v[82:83], v[180:181], v[86:87] op_sel_hi:[1,0,1]
	v_dual_mov_b32 v180, v84 :: v_dual_mov_b32 v181, v87
	s_wait_dscnt 0x0
	s_delay_alu instid0(VALU_DEP_2) | instskip(NEXT) | instid1(VALU_DEP_1)
	v_pk_mul_f32 v[88:89], v[98:99], v[86:87] op_sel:[0,1]
	v_pk_fma_f32 v[102:103], v[98:99], v[84:85], v[88:89] op_sel:[0,0,1] op_sel_hi:[1,1,0] neg_lo:[0,0,1] neg_hi:[0,0,1]
	v_pk_fma_f32 v[88:89], v[98:99], v[84:85], v[88:89] op_sel:[0,0,1] op_sel_hi:[1,0,0]
	s_delay_alu instid0(VALU_DEP_1) | instskip(SKIP_1) | instid1(VALU_DEP_1)
	v_mov_b32_e32 v103, v89
	v_pk_mul_f32 v[88:89], v[100:101], v[86:87] op_sel:[0,1]
	v_pk_fma_f32 v[98:99], v[100:101], v[84:85], v[88:89] op_sel:[0,0,1] op_sel_hi:[1,1,0] neg_lo:[0,0,1] neg_hi:[0,0,1]
	v_pk_fma_f32 v[88:89], v[100:101], v[84:85], v[88:89] op_sel:[0,0,1] op_sel_hi:[1,0,0]
	s_delay_alu instid0(VALU_DEP_1) | instskip(SKIP_1) | instid1(VALU_DEP_2)
	v_mov_b32_e32 v99, v89
	v_pk_add_f32 v[182:183], v[182:183], v[102:103] neg_lo:[0,1] neg_hi:[0,1]
	v_pk_add_f32 v[178:179], v[178:179], v[98:99] neg_lo:[0,1] neg_hi:[0,1]
	ds_load_2addr_b64 v[98:101], v134 offset0:44 offset1:45
	s_wait_dscnt 0x0
	v_pk_mul_f32 v[88:89], v[98:99], v[86:87] op_sel:[0,1]
	s_delay_alu instid0(VALU_DEP_1) | instskip(SKIP_2) | instid1(VALU_DEP_2)
	v_pk_fma_f32 v[102:103], v[98:99], v[84:85], v[88:89] op_sel:[0,0,1] op_sel_hi:[1,1,0] neg_lo:[0,0,1] neg_hi:[0,0,1]
	v_pk_fma_f32 v[88:89], v[98:99], v[84:85], v[88:89] op_sel:[0,0,1] op_sel_hi:[1,0,0]
	v_dual_mul_f32 v98, v101, v87 :: v_dual_mov_b32 v88, v101
	v_dual_mov_b32 v103, v89 :: v_dual_mov_b32 v89, v100
	s_delay_alu instid0(VALU_DEP_2) | instskip(SKIP_1) | instid1(VALU_DEP_3)
	v_pk_fma_f32 v[98:99], v[100:101], v[180:181], v[98:99] op_sel_hi:[1,1,0] neg_lo:[0,0,1] neg_hi:[0,0,1]
	v_mul_f32_e32 v100, v101, v84
	v_pk_add_f32 v[208:209], v[208:209], v[102:103] neg_lo:[0,1] neg_hi:[0,1]
	s_delay_alu instid0(VALU_DEP_2) | instskip(NEXT) | instid1(VALU_DEP_1)
	v_pk_fma_f32 v[88:89], v[88:89], v[180:181], v[100:101] op_sel_hi:[1,1,0]
	v_mov_b32_e32 v99, v89
	s_delay_alu instid0(VALU_DEP_1) | instskip(SKIP_3) | instid1(VALU_DEP_1)
	v_pk_add_f32 v[200:201], v[200:201], v[98:99] neg_lo:[0,1] neg_hi:[0,1]
	ds_load_2addr_b64 v[98:101], v134 offset0:46 offset1:47
	s_wait_dscnt 0x0
	v_pk_mul_f32 v[88:89], v[98:99], v[86:87] op_sel:[0,1]
	v_pk_fma_f32 v[102:103], v[98:99], v[84:85], v[88:89] op_sel:[0,0,1] op_sel_hi:[1,1,0] neg_lo:[0,0,1] neg_hi:[0,0,1]
	v_pk_fma_f32 v[88:89], v[98:99], v[84:85], v[88:89] op_sel:[0,0,1] op_sel_hi:[1,0,0]
	s_delay_alu instid0(VALU_DEP_1) | instskip(SKIP_1) | instid1(VALU_DEP_2)
	v_mov_b32_e32 v103, v89
	v_pk_mul_f32 v[88:89], v[100:101], v[86:87] op_sel:[0,1]
	v_pk_add_f32 v[206:207], v[206:207], v[102:103] neg_lo:[0,1] neg_hi:[0,1]
	s_delay_alu instid0(VALU_DEP_2) | instskip(SKIP_1) | instid1(VALU_DEP_1)
	v_pk_fma_f32 v[98:99], v[100:101], v[84:85], v[88:89] op_sel:[0,0,1] op_sel_hi:[1,1,0] neg_lo:[0,0,1] neg_hi:[0,0,1]
	v_pk_fma_f32 v[88:89], v[100:101], v[84:85], v[88:89] op_sel:[0,0,1] op_sel_hi:[1,0,0]
	v_mov_b32_e32 v99, v89
	s_delay_alu instid0(VALU_DEP_1) | instskip(SKIP_3) | instid1(VALU_DEP_1)
	v_pk_add_f32 v[198:199], v[198:199], v[98:99] neg_lo:[0,1] neg_hi:[0,1]
	ds_load_2addr_b64 v[98:101], v134 offset0:48 offset1:49
	s_wait_dscnt 0x0
	v_pk_mul_f32 v[88:89], v[98:99], v[86:87] op_sel:[0,1]
	v_pk_fma_f32 v[102:103], v[98:99], v[84:85], v[88:89] op_sel:[0,0,1] op_sel_hi:[1,1,0] neg_lo:[0,0,1] neg_hi:[0,0,1]
	v_pk_fma_f32 v[88:89], v[98:99], v[84:85], v[88:89] op_sel:[0,0,1] op_sel_hi:[1,0,0]
	s_delay_alu instid0(VALU_DEP_1) | instskip(SKIP_1) | instid1(VALU_DEP_2)
	v_mov_b32_e32 v103, v89
	v_pk_mul_f32 v[88:89], v[100:101], v[86:87] op_sel:[0,1]
	v_pk_add_f32 v[204:205], v[204:205], v[102:103] neg_lo:[0,1] neg_hi:[0,1]
	s_delay_alu instid0(VALU_DEP_2) | instskip(SKIP_1) | instid1(VALU_DEP_1)
	v_pk_fma_f32 v[98:99], v[100:101], v[84:85], v[88:89] op_sel:[0,0,1] op_sel_hi:[1,1,0] neg_lo:[0,0,1] neg_hi:[0,0,1]
	v_pk_fma_f32 v[88:89], v[100:101], v[84:85], v[88:89] op_sel:[0,0,1] op_sel_hi:[1,0,0]
	v_mov_b32_e32 v99, v89
	s_delay_alu instid0(VALU_DEP_1) | instskip(SKIP_3) | instid1(VALU_DEP_1)
	v_pk_add_f32 v[196:197], v[196:197], v[98:99] neg_lo:[0,1] neg_hi:[0,1]
	ds_load_2addr_b64 v[98:101], v134 offset0:50 offset1:51
	s_wait_dscnt 0x0
	v_dual_mul_f32 v88, v99, v87 :: v_dual_mul_f32 v102, v99, v84
	v_pk_fma_f32 v[88:89], v[98:99], v[180:181], v[88:89] op_sel_hi:[1,1,0] neg_lo:[0,0,1] neg_hi:[0,0,1]
	s_delay_alu instid0(VALU_DEP_2) | instskip(NEXT) | instid1(VALU_DEP_1)
	v_pk_fma_f32 v[98:99], v[98:99], v[180:181], v[102:103] op_sel:[1,0,0] op_sel_hi:[0,1,0]
	v_mov_b32_e32 v89, v99
	s_delay_alu instid0(VALU_DEP_1) | instskip(SKIP_1) | instid1(VALU_DEP_1)
	v_pk_add_f32 v[202:203], v[202:203], v[88:89] neg_lo:[0,1] neg_hi:[0,1]
	v_pk_mul_f32 v[88:89], v[100:101], v[86:87] op_sel:[0,1]
	v_pk_fma_f32 v[98:99], v[100:101], v[84:85], v[88:89] op_sel:[0,0,1] op_sel_hi:[1,1,0] neg_lo:[0,0,1] neg_hi:[0,0,1]
	v_pk_fma_f32 v[88:89], v[100:101], v[84:85], v[88:89] op_sel:[0,0,1] op_sel_hi:[1,0,0]
	s_delay_alu instid0(VALU_DEP_1) | instskip(SKIP_4) | instid1(VALU_DEP_1)
	v_mov_b32_e32 v99, v89
	ds_load_b64 v[88:89], v134 offset:416
	v_pk_add_f32 v[210:211], v[210:211], v[98:99] neg_lo:[0,1] neg_hi:[0,1]
	s_wait_dscnt 0x0
	v_pk_mul_f32 v[86:87], v[88:89], v[86:87] op_sel:[0,1]
	v_pk_fma_f32 v[98:99], v[88:89], v[84:85], v[86:87] op_sel:[0,0,1] op_sel_hi:[1,1,0] neg_lo:[0,0,1] neg_hi:[0,0,1]
	v_pk_fma_f32 v[84:85], v[88:89], v[84:85], v[86:87] op_sel:[0,0,1] op_sel_hi:[1,0,0]
	s_delay_alu instid0(VALU_DEP_1) | instskip(NEXT) | instid1(VALU_DEP_1)
	v_mov_b32_e32 v99, v85
	v_pk_add_f32 v[212:213], v[212:213], v[98:99] neg_lo:[0,1] neg_hi:[0,1]
.LBB105_379:
	s_or_b32 exec_lo, exec_lo, s1
	s_delay_alu instid0(SALU_CYCLE_1)
	s_mov_b32 s2, exec_lo
	s_wait_dscnt 0x0
	s_barrier_signal -1
	s_barrier_wait -1
	v_cmpx_eq_u32_e32 42, v132
	s_cbranch_execz .LBB105_386
; %bb.380:
	ds_store_b64 v133, v[182:183]
	ds_store_2addr_b64 v134, v[178:179], v[208:209] offset0:43 offset1:44
	ds_store_2addr_b64 v134, v[200:201], v[206:207] offset0:45 offset1:46
	;; [unrolled: 1-line block ×5, first 2 shown]
	ds_load_b64 v[84:85], v133
	s_wait_dscnt 0x0
	v_cmp_neq_f32_e32 vcc_lo, 0, v84
	v_cmp_neq_f32_e64 s1, 0, v85
	s_or_b32 s1, vcc_lo, s1
	s_delay_alu instid0(SALU_CYCLE_1)
	s_and_b32 exec_lo, exec_lo, s1
	s_cbranch_execz .LBB105_386
; %bb.381:
	v_cmp_ngt_f32_e64 s1, |v84|, |v85|
                                        ; implicit-def: $vgpr86_vgpr87
	s_and_saveexec_b32 s4, s1
	s_delay_alu instid0(SALU_CYCLE_1)
	s_xor_b32 s1, exec_lo, s4
	s_cbranch_execz .LBB105_383
; %bb.382:
	v_div_scale_f32 v86, null, v85, v85, v84
	v_div_scale_f32 v89, vcc_lo, v84, v85, v84
	s_delay_alu instid0(VALU_DEP_2) | instskip(SKIP_1) | instid1(TRANS32_DEP_1)
	v_rcp_f32_e32 v87, v86
	v_nop
	v_fma_f32 v88, -v86, v87, 1.0
	s_delay_alu instid0(VALU_DEP_1) | instskip(NEXT) | instid1(VALU_DEP_1)
	v_fmac_f32_e32 v87, v88, v87
	v_mul_f32_e32 v88, v89, v87
	s_delay_alu instid0(VALU_DEP_1) | instskip(NEXT) | instid1(VALU_DEP_1)
	v_fma_f32 v98, -v86, v88, v89
	v_fmac_f32_e32 v88, v98, v87
	s_delay_alu instid0(VALU_DEP_1) | instskip(NEXT) | instid1(VALU_DEP_1)
	v_fma_f32 v86, -v86, v88, v89
	v_div_fmas_f32 v86, v86, v87, v88
	s_delay_alu instid0(VALU_DEP_1) | instskip(NEXT) | instid1(VALU_DEP_1)
	v_div_fixup_f32 v86, v86, v85, v84
	v_fmac_f32_e32 v85, v84, v86
	s_delay_alu instid0(VALU_DEP_1) | instskip(SKIP_1) | instid1(VALU_DEP_2)
	v_div_scale_f32 v84, null, v85, v85, 1.0
	v_div_scale_f32 v89, vcc_lo, 1.0, v85, 1.0
	v_rcp_f32_e32 v87, v84
	v_nop
	s_delay_alu instid0(TRANS32_DEP_1) | instskip(NEXT) | instid1(VALU_DEP_1)
	v_fma_f32 v88, -v84, v87, 1.0
	v_fmac_f32_e32 v87, v88, v87
	s_delay_alu instid0(VALU_DEP_1) | instskip(NEXT) | instid1(VALU_DEP_1)
	v_mul_f32_e32 v88, v89, v87
	v_fma_f32 v98, -v84, v88, v89
	s_delay_alu instid0(VALU_DEP_1) | instskip(NEXT) | instid1(VALU_DEP_1)
	v_fmac_f32_e32 v88, v98, v87
	v_fma_f32 v84, -v84, v88, v89
	s_delay_alu instid0(VALU_DEP_1) | instskip(NEXT) | instid1(VALU_DEP_1)
	v_div_fmas_f32 v84, v84, v87, v88
	v_div_fixup_f32 v84, v84, v85, 1.0
	s_delay_alu instid0(VALU_DEP_1)
	v_mul_f32_e32 v86, v86, v84
	v_xor_b32_e32 v87, 0x80000000, v84
                                        ; implicit-def: $vgpr84_vgpr85
.LBB105_383:
	s_and_not1_saveexec_b32 s1, s1
	s_cbranch_execz .LBB105_385
; %bb.384:
	v_div_scale_f32 v86, null, v84, v84, v85
	v_div_scale_f32 v89, vcc_lo, v85, v84, v85
	s_delay_alu instid0(VALU_DEP_2) | instskip(SKIP_1) | instid1(TRANS32_DEP_1)
	v_rcp_f32_e32 v87, v86
	v_nop
	v_fma_f32 v88, -v86, v87, 1.0
	s_delay_alu instid0(VALU_DEP_1) | instskip(NEXT) | instid1(VALU_DEP_1)
	v_fmac_f32_e32 v87, v88, v87
	v_mul_f32_e32 v88, v89, v87
	s_delay_alu instid0(VALU_DEP_1) | instskip(NEXT) | instid1(VALU_DEP_1)
	v_fma_f32 v98, -v86, v88, v89
	v_fmac_f32_e32 v88, v98, v87
	s_delay_alu instid0(VALU_DEP_1) | instskip(NEXT) | instid1(VALU_DEP_1)
	v_fma_f32 v86, -v86, v88, v89
	v_div_fmas_f32 v86, v86, v87, v88
	s_delay_alu instid0(VALU_DEP_1) | instskip(NEXT) | instid1(VALU_DEP_1)
	v_div_fixup_f32 v87, v86, v84, v85
	v_fmac_f32_e32 v84, v85, v87
	s_delay_alu instid0(VALU_DEP_1) | instskip(NEXT) | instid1(VALU_DEP_1)
	v_div_scale_f32 v85, null, v84, v84, 1.0
	v_rcp_f32_e32 v86, v85
	v_nop
	s_delay_alu instid0(TRANS32_DEP_1) | instskip(NEXT) | instid1(VALU_DEP_1)
	v_fma_f32 v88, -v85, v86, 1.0
	v_fmac_f32_e32 v86, v88, v86
	v_div_scale_f32 v88, vcc_lo, 1.0, v84, 1.0
	s_delay_alu instid0(VALU_DEP_1) | instskip(NEXT) | instid1(VALU_DEP_1)
	v_mul_f32_e32 v89, v88, v86
	v_fma_f32 v98, -v85, v89, v88
	s_delay_alu instid0(VALU_DEP_1) | instskip(NEXT) | instid1(VALU_DEP_1)
	v_fmac_f32_e32 v89, v98, v86
	v_fma_f32 v85, -v85, v89, v88
	s_delay_alu instid0(VALU_DEP_1) | instskip(NEXT) | instid1(VALU_DEP_1)
	v_div_fmas_f32 v85, v85, v86, v89
	v_div_fixup_f32 v86, v85, v84, 1.0
	s_delay_alu instid0(VALU_DEP_1)
	v_mul_f32_e64 v87, v87, -v86
.LBB105_385:
	s_or_b32 exec_lo, exec_lo, s1
	ds_store_b64 v133, v[86:87]
.LBB105_386:
	s_or_b32 exec_lo, exec_lo, s2
	s_wait_dscnt 0x0
	s_barrier_signal -1
	s_barrier_wait -1
	ds_load_b64 v[84:85], v133
	s_mov_b32 s1, exec_lo
	v_cmpx_lt_u32_e32 42, v132
	s_cbranch_execz .LBB105_388
; %bb.387:
	ds_load_2addr_b64 v[98:101], v134 offset0:43 offset1:44
	s_wait_dscnt 0x1
	v_pk_mul_f32 v[88:89], v[84:85], v[182:183] op_sel:[1,1] op_sel_hi:[0,1]
	s_delay_alu instid0(VALU_DEP_1) | instskip(SKIP_1) | instid1(VALU_DEP_1)
	v_pk_fma_f32 v[86:87], v[84:85], v[182:183], v[88:89] op_sel_hi:[1,0,1] neg_lo:[0,0,1] neg_hi:[0,0,1]
	v_pk_fma_f32 v[88:89], v[84:85], v[182:183], v[88:89] op_sel_hi:[1,0,1]
	v_dual_mov_b32 v182, v86 :: v_dual_mov_b32 v183, v89
	s_wait_dscnt 0x0
	s_delay_alu instid0(VALU_DEP_2) | instskip(NEXT) | instid1(VALU_DEP_1)
	v_pk_mul_f32 v[102:103], v[98:99], v[88:89] op_sel:[0,1]
	v_pk_fma_f32 v[104:105], v[98:99], v[86:87], v[102:103] op_sel:[0,0,1] op_sel_hi:[1,1,0] neg_lo:[0,0,1] neg_hi:[0,0,1]
	v_pk_fma_f32 v[98:99], v[98:99], v[86:87], v[102:103] op_sel:[0,0,1] op_sel_hi:[1,0,0]
	s_delay_alu instid0(VALU_DEP_1) | instskip(SKIP_1) | instid1(VALU_DEP_1)
	v_mov_b32_e32 v105, v99
	v_pk_mul_f32 v[98:99], v[100:101], v[88:89] op_sel:[0,1]
	v_pk_fma_f32 v[102:103], v[100:101], v[86:87], v[98:99] op_sel:[0,0,1] op_sel_hi:[1,1,0] neg_lo:[0,0,1] neg_hi:[0,0,1]
	v_pk_fma_f32 v[98:99], v[100:101], v[86:87], v[98:99] op_sel:[0,0,1] op_sel_hi:[1,0,0]
	s_delay_alu instid0(VALU_DEP_1)
	v_mov_b32_e32 v103, v99
	ds_load_2addr_b64 v[98:101], v134 offset0:45 offset1:46
	v_pk_add_f32 v[178:179], v[178:179], v[104:105] neg_lo:[0,1] neg_hi:[0,1]
	v_pk_add_f32 v[208:209], v[208:209], v[102:103] neg_lo:[0,1] neg_hi:[0,1]
	s_wait_dscnt 0x0
	v_pk_mul_f32 v[102:103], v[98:99], v[88:89] op_sel:[0,1]
	s_delay_alu instid0(VALU_DEP_1) | instskip(SKIP_2) | instid1(VALU_DEP_2)
	v_pk_fma_f32 v[104:105], v[98:99], v[86:87], v[102:103] op_sel:[0,0,1] op_sel_hi:[1,1,0] neg_lo:[0,0,1] neg_hi:[0,0,1]
	v_pk_fma_f32 v[98:99], v[98:99], v[86:87], v[102:103] op_sel:[0,0,1] op_sel_hi:[1,0,0]
	v_dual_mul_f32 v102, v101, v89 :: v_dual_mov_b32 v98, v101
	v_dual_mov_b32 v105, v99 :: v_dual_mov_b32 v99, v100
	s_delay_alu instid0(VALU_DEP_2) | instskip(SKIP_1) | instid1(VALU_DEP_3)
	v_pk_fma_f32 v[102:103], v[100:101], v[182:183], v[102:103] op_sel_hi:[1,1,0] neg_lo:[0,0,1] neg_hi:[0,0,1]
	v_mul_f32_e32 v100, v101, v86
	v_pk_add_f32 v[200:201], v[200:201], v[104:105] neg_lo:[0,1] neg_hi:[0,1]
	s_delay_alu instid0(VALU_DEP_2) | instskip(NEXT) | instid1(VALU_DEP_1)
	v_pk_fma_f32 v[98:99], v[98:99], v[182:183], v[100:101] op_sel_hi:[1,1,0]
	v_mov_b32_e32 v103, v99
	ds_load_2addr_b64 v[98:101], v134 offset0:47 offset1:48
	v_pk_add_f32 v[206:207], v[206:207], v[102:103] neg_lo:[0,1] neg_hi:[0,1]
	s_wait_dscnt 0x0
	v_pk_mul_f32 v[102:103], v[98:99], v[88:89] op_sel:[0,1]
	s_delay_alu instid0(VALU_DEP_1) | instskip(SKIP_1) | instid1(VALU_DEP_1)
	v_pk_fma_f32 v[104:105], v[98:99], v[86:87], v[102:103] op_sel:[0,0,1] op_sel_hi:[1,1,0] neg_lo:[0,0,1] neg_hi:[0,0,1]
	v_pk_fma_f32 v[98:99], v[98:99], v[86:87], v[102:103] op_sel:[0,0,1] op_sel_hi:[1,0,0]
	v_mov_b32_e32 v105, v99
	v_pk_mul_f32 v[98:99], v[100:101], v[88:89] op_sel:[0,1]
	s_delay_alu instid0(VALU_DEP_1) | instskip(SKIP_1) | instid1(VALU_DEP_1)
	v_pk_fma_f32 v[102:103], v[100:101], v[86:87], v[98:99] op_sel:[0,0,1] op_sel_hi:[1,1,0] neg_lo:[0,0,1] neg_hi:[0,0,1]
	v_pk_fma_f32 v[98:99], v[100:101], v[86:87], v[98:99] op_sel:[0,0,1] op_sel_hi:[1,0,0]
	v_mov_b32_e32 v103, v99
	ds_load_2addr_b64 v[98:101], v134 offset0:49 offset1:50
	v_pk_add_f32 v[198:199], v[198:199], v[104:105] neg_lo:[0,1] neg_hi:[0,1]
	v_pk_add_f32 v[204:205], v[204:205], v[102:103] neg_lo:[0,1] neg_hi:[0,1]
	s_wait_dscnt 0x0
	v_pk_mul_f32 v[102:103], v[98:99], v[88:89] op_sel:[0,1]
	s_delay_alu instid0(VALU_DEP_1) | instskip(SKIP_1) | instid1(VALU_DEP_1)
	v_pk_fma_f32 v[104:105], v[98:99], v[86:87], v[102:103] op_sel:[0,0,1] op_sel_hi:[1,1,0] neg_lo:[0,0,1] neg_hi:[0,0,1]
	v_pk_fma_f32 v[98:99], v[98:99], v[86:87], v[102:103] op_sel:[0,0,1] op_sel_hi:[1,0,0]
	v_mov_b32_e32 v105, v99
	v_pk_mul_f32 v[98:99], v[100:101], v[88:89] op_sel:[0,1]
	s_delay_alu instid0(VALU_DEP_1) | instskip(SKIP_1) | instid1(VALU_DEP_1)
	v_pk_fma_f32 v[102:103], v[100:101], v[86:87], v[98:99] op_sel:[0,0,1] op_sel_hi:[1,1,0] neg_lo:[0,0,1] neg_hi:[0,0,1]
	v_pk_fma_f32 v[98:99], v[100:101], v[86:87], v[98:99] op_sel:[0,0,1] op_sel_hi:[1,0,0]
	v_mov_b32_e32 v103, v99
	ds_load_2addr_b64 v[98:101], v134 offset0:51 offset1:52
	v_pk_add_f32 v[196:197], v[196:197], v[104:105] neg_lo:[0,1] neg_hi:[0,1]
	v_pk_add_f32 v[202:203], v[202:203], v[102:103] neg_lo:[0,1] neg_hi:[0,1]
	s_wait_dscnt 0x0
	v_dual_mul_f32 v102, v99, v89 :: v_dual_mul_f32 v104, v99, v86
	v_pk_mul_f32 v[88:89], v[100:101], v[88:89] op_sel:[0,1]
	s_delay_alu instid0(VALU_DEP_2) | instskip(NEXT) | instid1(VALU_DEP_3)
	v_pk_fma_f32 v[102:103], v[98:99], v[182:183], v[102:103] op_sel_hi:[1,1,0] neg_lo:[0,0,1] neg_hi:[0,0,1]
	v_pk_fma_f32 v[98:99], v[98:99], v[182:183], v[104:105] op_sel:[1,0,0] op_sel_hi:[0,1,0]
	s_delay_alu instid0(VALU_DEP_1) | instskip(NEXT) | instid1(VALU_DEP_4)
	v_mov_b32_e32 v103, v99
	v_pk_fma_f32 v[98:99], v[100:101], v[86:87], v[88:89] op_sel:[0,0,1] op_sel_hi:[1,1,0] neg_lo:[0,0,1] neg_hi:[0,0,1]
	v_pk_fma_f32 v[86:87], v[100:101], v[86:87], v[88:89] op_sel:[0,0,1] op_sel_hi:[1,0,0]
	s_delay_alu instid0(VALU_DEP_1) | instskip(NEXT) | instid1(VALU_DEP_4)
	v_mov_b32_e32 v99, v87
	v_pk_add_f32 v[210:211], v[210:211], v[102:103] neg_lo:[0,1] neg_hi:[0,1]
	s_delay_alu instid0(VALU_DEP_2)
	v_pk_add_f32 v[212:213], v[212:213], v[98:99] neg_lo:[0,1] neg_hi:[0,1]
.LBB105_388:
	s_or_b32 exec_lo, exec_lo, s1
	s_delay_alu instid0(SALU_CYCLE_1)
	s_mov_b32 s2, exec_lo
	s_wait_dscnt 0x0
	s_barrier_signal -1
	s_barrier_wait -1
	v_cmpx_eq_u32_e32 43, v132
	s_cbranch_execz .LBB105_395
; %bb.389:
	v_dual_mov_b32 v86, v208 :: v_dual_mov_b32 v87, v209
	v_dual_mov_b32 v88, v200 :: v_dual_mov_b32 v89, v201
	ds_store_b64 v133, v[178:179]
	ds_store_2addr_b64 v134, v[86:87], v[88:89] offset0:44 offset1:45
	v_dual_mov_b32 v86, v206 :: v_dual_mov_b32 v87, v207
	v_dual_mov_b32 v88, v198 :: v_dual_mov_b32 v89, v199
	ds_store_2addr_b64 v134, v[86:87], v[88:89] offset0:46 offset1:47
	v_dual_mov_b32 v86, v204 :: v_dual_mov_b32 v87, v205
	v_dual_mov_b32 v88, v196 :: v_dual_mov_b32 v89, v197
	ds_store_2addr_b64 v134, v[86:87], v[88:89] offset0:48 offset1:49
	v_dual_mov_b32 v86, v202 :: v_dual_mov_b32 v87, v203
	v_dual_mov_b32 v88, v210 :: v_dual_mov_b32 v89, v211
	ds_store_2addr_b64 v134, v[86:87], v[88:89] offset0:50 offset1:51
	ds_store_b64 v134, v[212:213] offset:416
	ds_load_b64 v[86:87], v133
	s_wait_dscnt 0x0
	v_cmp_neq_f32_e32 vcc_lo, 0, v86
	v_cmp_neq_f32_e64 s1, 0, v87
	s_or_b32 s1, vcc_lo, s1
	s_delay_alu instid0(SALU_CYCLE_1)
	s_and_b32 exec_lo, exec_lo, s1
	s_cbranch_execz .LBB105_395
; %bb.390:
	v_cmp_ngt_f32_e64 s1, |v86|, |v87|
                                        ; implicit-def: $vgpr88_vgpr89
	s_and_saveexec_b32 s4, s1
	s_delay_alu instid0(SALU_CYCLE_1)
	s_xor_b32 s1, exec_lo, s4
	s_cbranch_execz .LBB105_392
; %bb.391:
	v_div_scale_f32 v88, null, v87, v87, v86
	v_div_scale_f32 v99, vcc_lo, v86, v87, v86
	s_delay_alu instid0(VALU_DEP_2) | instskip(SKIP_1) | instid1(TRANS32_DEP_1)
	v_rcp_f32_e32 v89, v88
	v_nop
	v_fma_f32 v98, -v88, v89, 1.0
	s_delay_alu instid0(VALU_DEP_1) | instskip(NEXT) | instid1(VALU_DEP_1)
	v_fmac_f32_e32 v89, v98, v89
	v_mul_f32_e32 v98, v99, v89
	s_delay_alu instid0(VALU_DEP_1) | instskip(NEXT) | instid1(VALU_DEP_1)
	v_fma_f32 v100, -v88, v98, v99
	v_fmac_f32_e32 v98, v100, v89
	s_delay_alu instid0(VALU_DEP_1) | instskip(NEXT) | instid1(VALU_DEP_1)
	v_fma_f32 v88, -v88, v98, v99
	v_div_fmas_f32 v88, v88, v89, v98
	s_delay_alu instid0(VALU_DEP_1) | instskip(NEXT) | instid1(VALU_DEP_1)
	v_div_fixup_f32 v88, v88, v87, v86
	v_fmac_f32_e32 v87, v86, v88
	s_delay_alu instid0(VALU_DEP_1) | instskip(SKIP_1) | instid1(VALU_DEP_2)
	v_div_scale_f32 v86, null, v87, v87, 1.0
	v_div_scale_f32 v99, vcc_lo, 1.0, v87, 1.0
	v_rcp_f32_e32 v89, v86
	v_nop
	s_delay_alu instid0(TRANS32_DEP_1) | instskip(NEXT) | instid1(VALU_DEP_1)
	v_fma_f32 v98, -v86, v89, 1.0
	v_fmac_f32_e32 v89, v98, v89
	s_delay_alu instid0(VALU_DEP_1) | instskip(NEXT) | instid1(VALU_DEP_1)
	v_mul_f32_e32 v98, v99, v89
	v_fma_f32 v100, -v86, v98, v99
	s_delay_alu instid0(VALU_DEP_1) | instskip(NEXT) | instid1(VALU_DEP_1)
	v_fmac_f32_e32 v98, v100, v89
	v_fma_f32 v86, -v86, v98, v99
	s_delay_alu instid0(VALU_DEP_1) | instskip(NEXT) | instid1(VALU_DEP_1)
	v_div_fmas_f32 v86, v86, v89, v98
	v_div_fixup_f32 v86, v86, v87, 1.0
	s_delay_alu instid0(VALU_DEP_1)
	v_mul_f32_e32 v88, v88, v86
	v_xor_b32_e32 v89, 0x80000000, v86
                                        ; implicit-def: $vgpr86_vgpr87
.LBB105_392:
	s_and_not1_saveexec_b32 s1, s1
	s_cbranch_execz .LBB105_394
; %bb.393:
	v_div_scale_f32 v88, null, v86, v86, v87
	v_div_scale_f32 v99, vcc_lo, v87, v86, v87
	s_delay_alu instid0(VALU_DEP_2) | instskip(SKIP_1) | instid1(TRANS32_DEP_1)
	v_rcp_f32_e32 v89, v88
	v_nop
	v_fma_f32 v98, -v88, v89, 1.0
	s_delay_alu instid0(VALU_DEP_1) | instskip(NEXT) | instid1(VALU_DEP_1)
	v_fmac_f32_e32 v89, v98, v89
	v_mul_f32_e32 v98, v99, v89
	s_delay_alu instid0(VALU_DEP_1) | instskip(NEXT) | instid1(VALU_DEP_1)
	v_fma_f32 v100, -v88, v98, v99
	v_fmac_f32_e32 v98, v100, v89
	s_delay_alu instid0(VALU_DEP_1) | instskip(NEXT) | instid1(VALU_DEP_1)
	v_fma_f32 v88, -v88, v98, v99
	v_div_fmas_f32 v88, v88, v89, v98
	s_delay_alu instid0(VALU_DEP_1) | instskip(NEXT) | instid1(VALU_DEP_1)
	v_div_fixup_f32 v89, v88, v86, v87
	v_fmac_f32_e32 v86, v87, v89
	s_delay_alu instid0(VALU_DEP_1) | instskip(NEXT) | instid1(VALU_DEP_1)
	v_div_scale_f32 v87, null, v86, v86, 1.0
	v_rcp_f32_e32 v88, v87
	v_nop
	s_delay_alu instid0(TRANS32_DEP_1) | instskip(NEXT) | instid1(VALU_DEP_1)
	v_fma_f32 v98, -v87, v88, 1.0
	v_fmac_f32_e32 v88, v98, v88
	v_div_scale_f32 v98, vcc_lo, 1.0, v86, 1.0
	s_delay_alu instid0(VALU_DEP_1) | instskip(NEXT) | instid1(VALU_DEP_1)
	v_mul_f32_e32 v99, v98, v88
	v_fma_f32 v100, -v87, v99, v98
	s_delay_alu instid0(VALU_DEP_1) | instskip(NEXT) | instid1(VALU_DEP_1)
	v_fmac_f32_e32 v99, v100, v88
	v_fma_f32 v87, -v87, v99, v98
	s_delay_alu instid0(VALU_DEP_1) | instskip(NEXT) | instid1(VALU_DEP_1)
	v_div_fmas_f32 v87, v87, v88, v99
	v_div_fixup_f32 v88, v87, v86, 1.0
	s_delay_alu instid0(VALU_DEP_1)
	v_mul_f32_e64 v89, v89, -v88
.LBB105_394:
	s_or_b32 exec_lo, exec_lo, s1
	ds_store_b64 v133, v[88:89]
.LBB105_395:
	s_or_b32 exec_lo, exec_lo, s2
	s_wait_dscnt 0x0
	s_barrier_signal -1
	s_barrier_wait -1
	ds_load_b64 v[86:87], v133
	s_mov_b32 s1, exec_lo
	v_cmpx_lt_u32_e32 43, v132
	s_cbranch_execz .LBB105_397
; %bb.396:
	ds_load_2addr_b64 v[100:103], v134 offset0:44 offset1:45
	s_wait_dscnt 0x1
	v_pk_mul_f32 v[98:99], v[86:87], v[178:179] op_sel:[1,1] op_sel_hi:[0,1]
	s_delay_alu instid0(VALU_DEP_1) | instskip(SKIP_1) | instid1(VALU_DEP_1)
	v_pk_fma_f32 v[88:89], v[86:87], v[178:179], v[98:99] op_sel_hi:[1,0,1] neg_lo:[0,0,1] neg_hi:[0,0,1]
	v_pk_fma_f32 v[98:99], v[86:87], v[178:179], v[98:99] op_sel_hi:[1,0,1]
	v_dual_mov_b32 v178, v88 :: v_dual_mov_b32 v179, v99
	s_wait_dscnt 0x0
	s_delay_alu instid0(VALU_DEP_2) | instskip(NEXT) | instid1(VALU_DEP_1)
	v_pk_mul_f32 v[104:105], v[100:101], v[98:99] op_sel:[0,1]
	v_pk_fma_f32 v[114:115], v[100:101], v[88:89], v[104:105] op_sel:[0,0,1] op_sel_hi:[1,1,0] neg_lo:[0,0,1] neg_hi:[0,0,1]
	v_pk_fma_f32 v[100:101], v[100:101], v[88:89], v[104:105] op_sel:[0,0,1] op_sel_hi:[1,0,0]
	s_delay_alu instid0(VALU_DEP_1) | instskip(SKIP_1) | instid1(VALU_DEP_1)
	v_mov_b32_e32 v115, v101
	v_pk_mul_f32 v[100:101], v[102:103], v[98:99] op_sel:[0,1]
	v_pk_fma_f32 v[104:105], v[102:103], v[88:89], v[100:101] op_sel:[0,0,1] op_sel_hi:[1,1,0] neg_lo:[0,0,1] neg_hi:[0,0,1]
	v_pk_fma_f32 v[100:101], v[102:103], v[88:89], v[100:101] op_sel:[0,0,1] op_sel_hi:[1,0,0]
	s_delay_alu instid0(VALU_DEP_1)
	v_mov_b32_e32 v105, v101
	ds_load_2addr_b64 v[100:103], v134 offset0:46 offset1:47
	v_pk_add_f32 v[208:209], v[208:209], v[114:115] neg_lo:[0,1] neg_hi:[0,1]
	v_pk_add_f32 v[200:201], v[200:201], v[104:105] neg_lo:[0,1] neg_hi:[0,1]
	s_wait_dscnt 0x0
	v_pk_mul_f32 v[104:105], v[100:101], v[98:99] op_sel:[0,1]
	s_delay_alu instid0(VALU_DEP_1) | instskip(SKIP_2) | instid1(VALU_DEP_2)
	v_pk_fma_f32 v[114:115], v[100:101], v[88:89], v[104:105] op_sel:[0,0,1] op_sel_hi:[1,1,0] neg_lo:[0,0,1] neg_hi:[0,0,1]
	v_pk_fma_f32 v[100:101], v[100:101], v[88:89], v[104:105] op_sel:[0,0,1] op_sel_hi:[1,0,0]
	v_dual_mul_f32 v104, v103, v99 :: v_dual_mov_b32 v100, v103
	v_dual_mov_b32 v115, v101 :: v_dual_mov_b32 v101, v102
	s_delay_alu instid0(VALU_DEP_2) | instskip(SKIP_1) | instid1(VALU_DEP_3)
	v_pk_fma_f32 v[104:105], v[102:103], v[178:179], v[104:105] op_sel_hi:[1,1,0] neg_lo:[0,0,1] neg_hi:[0,0,1]
	v_mul_f32_e32 v102, v103, v88
	v_pk_add_f32 v[206:207], v[206:207], v[114:115] neg_lo:[0,1] neg_hi:[0,1]
	s_delay_alu instid0(VALU_DEP_2) | instskip(NEXT) | instid1(VALU_DEP_1)
	v_pk_fma_f32 v[100:101], v[100:101], v[178:179], v[102:103] op_sel_hi:[1,1,0]
	v_mov_b32_e32 v105, v101
	ds_load_2addr_b64 v[100:103], v134 offset0:48 offset1:49
	v_pk_add_f32 v[198:199], v[198:199], v[104:105] neg_lo:[0,1] neg_hi:[0,1]
	s_wait_dscnt 0x0
	v_pk_mul_f32 v[104:105], v[100:101], v[98:99] op_sel:[0,1]
	s_delay_alu instid0(VALU_DEP_1) | instskip(SKIP_1) | instid1(VALU_DEP_1)
	v_pk_fma_f32 v[114:115], v[100:101], v[88:89], v[104:105] op_sel:[0,0,1] op_sel_hi:[1,1,0] neg_lo:[0,0,1] neg_hi:[0,0,1]
	v_pk_fma_f32 v[100:101], v[100:101], v[88:89], v[104:105] op_sel:[0,0,1] op_sel_hi:[1,0,0]
	v_mov_b32_e32 v115, v101
	v_pk_mul_f32 v[100:101], v[102:103], v[98:99] op_sel:[0,1]
	s_delay_alu instid0(VALU_DEP_1) | instskip(SKIP_1) | instid1(VALU_DEP_1)
	v_pk_fma_f32 v[104:105], v[102:103], v[88:89], v[100:101] op_sel:[0,0,1] op_sel_hi:[1,1,0] neg_lo:[0,0,1] neg_hi:[0,0,1]
	v_pk_fma_f32 v[100:101], v[102:103], v[88:89], v[100:101] op_sel:[0,0,1] op_sel_hi:[1,0,0]
	v_mov_b32_e32 v105, v101
	ds_load_2addr_b64 v[100:103], v134 offset0:50 offset1:51
	v_pk_add_f32 v[204:205], v[204:205], v[114:115] neg_lo:[0,1] neg_hi:[0,1]
	v_pk_add_f32 v[196:197], v[196:197], v[104:105] neg_lo:[0,1] neg_hi:[0,1]
	s_wait_dscnt 0x0
	v_pk_mul_f32 v[104:105], v[100:101], v[98:99] op_sel:[0,1]
	s_delay_alu instid0(VALU_DEP_1) | instskip(SKIP_1) | instid1(VALU_DEP_1)
	v_pk_fma_f32 v[114:115], v[100:101], v[88:89], v[104:105] op_sel:[0,0,1] op_sel_hi:[1,1,0] neg_lo:[0,0,1] neg_hi:[0,0,1]
	v_pk_fma_f32 v[100:101], v[100:101], v[88:89], v[104:105] op_sel:[0,0,1] op_sel_hi:[1,0,0]
	v_mov_b32_e32 v115, v101
	v_pk_mul_f32 v[100:101], v[102:103], v[98:99] op_sel:[0,1]
	s_delay_alu instid0(VALU_DEP_1) | instskip(SKIP_1) | instid1(VALU_DEP_1)
	v_pk_fma_f32 v[104:105], v[102:103], v[88:89], v[100:101] op_sel:[0,0,1] op_sel_hi:[1,1,0] neg_lo:[0,0,1] neg_hi:[0,0,1]
	v_pk_fma_f32 v[100:101], v[102:103], v[88:89], v[100:101] op_sel:[0,0,1] op_sel_hi:[1,0,0]
	v_mov_b32_e32 v105, v101
	ds_load_b64 v[100:101], v134 offset:416
	v_pk_add_f32 v[202:203], v[202:203], v[114:115] neg_lo:[0,1] neg_hi:[0,1]
	v_pk_add_f32 v[210:211], v[210:211], v[104:105] neg_lo:[0,1] neg_hi:[0,1]
	s_wait_dscnt 0x0
	v_pk_mul_f32 v[98:99], v[100:101], v[98:99] op_sel:[0,1]
	s_delay_alu instid0(VALU_DEP_1) | instskip(SKIP_1) | instid1(VALU_DEP_1)
	v_pk_fma_f32 v[102:103], v[100:101], v[88:89], v[98:99] op_sel:[0,0,1] op_sel_hi:[1,1,0] neg_lo:[0,0,1] neg_hi:[0,0,1]
	v_pk_fma_f32 v[88:89], v[100:101], v[88:89], v[98:99] op_sel:[0,0,1] op_sel_hi:[1,0,0]
	v_mov_b32_e32 v103, v89
	s_delay_alu instid0(VALU_DEP_1)
	v_pk_add_f32 v[212:213], v[212:213], v[102:103] neg_lo:[0,1] neg_hi:[0,1]
.LBB105_397:
	s_or_b32 exec_lo, exec_lo, s1
	s_delay_alu instid0(SALU_CYCLE_1)
	s_mov_b32 s2, exec_lo
	s_wait_dscnt 0x0
	s_barrier_signal -1
	s_barrier_wait -1
	v_cmpx_eq_u32_e32 44, v132
	s_cbranch_execz .LBB105_404
; %bb.398:
	ds_store_b64 v133, v[208:209]
	ds_store_2addr_b64 v134, v[200:201], v[206:207] offset0:45 offset1:46
	ds_store_2addr_b64 v134, v[198:199], v[204:205] offset0:47 offset1:48
	;; [unrolled: 1-line block ×4, first 2 shown]
	ds_load_b64 v[88:89], v133
	s_wait_dscnt 0x0
	v_cmp_neq_f32_e32 vcc_lo, 0, v88
	v_cmp_neq_f32_e64 s1, 0, v89
	s_or_b32 s1, vcc_lo, s1
	s_delay_alu instid0(SALU_CYCLE_1)
	s_and_b32 exec_lo, exec_lo, s1
	s_cbranch_execz .LBB105_404
; %bb.399:
	v_cmp_ngt_f32_e64 s1, |v88|, |v89|
                                        ; implicit-def: $vgpr98_vgpr99
	s_and_saveexec_b32 s4, s1
	s_delay_alu instid0(SALU_CYCLE_1)
	s_xor_b32 s1, exec_lo, s4
	s_cbranch_execz .LBB105_401
; %bb.400:
	v_div_scale_f32 v98, null, v89, v89, v88
	v_div_scale_f32 v101, vcc_lo, v88, v89, v88
	s_delay_alu instid0(VALU_DEP_2) | instskip(SKIP_1) | instid1(TRANS32_DEP_1)
	v_rcp_f32_e32 v99, v98
	v_nop
	v_fma_f32 v100, -v98, v99, 1.0
	s_delay_alu instid0(VALU_DEP_1) | instskip(NEXT) | instid1(VALU_DEP_1)
	v_fmac_f32_e32 v99, v100, v99
	v_mul_f32_e32 v100, v101, v99
	s_delay_alu instid0(VALU_DEP_1) | instskip(NEXT) | instid1(VALU_DEP_1)
	v_fma_f32 v102, -v98, v100, v101
	v_fmac_f32_e32 v100, v102, v99
	s_delay_alu instid0(VALU_DEP_1) | instskip(NEXT) | instid1(VALU_DEP_1)
	v_fma_f32 v98, -v98, v100, v101
	v_div_fmas_f32 v98, v98, v99, v100
	s_delay_alu instid0(VALU_DEP_1) | instskip(NEXT) | instid1(VALU_DEP_1)
	v_div_fixup_f32 v98, v98, v89, v88
	v_fmac_f32_e32 v89, v88, v98
	s_delay_alu instid0(VALU_DEP_1) | instskip(SKIP_1) | instid1(VALU_DEP_2)
	v_div_scale_f32 v88, null, v89, v89, 1.0
	v_div_scale_f32 v101, vcc_lo, 1.0, v89, 1.0
	v_rcp_f32_e32 v99, v88
	v_nop
	s_delay_alu instid0(TRANS32_DEP_1) | instskip(NEXT) | instid1(VALU_DEP_1)
	v_fma_f32 v100, -v88, v99, 1.0
	v_fmac_f32_e32 v99, v100, v99
	s_delay_alu instid0(VALU_DEP_1) | instskip(NEXT) | instid1(VALU_DEP_1)
	v_mul_f32_e32 v100, v101, v99
	v_fma_f32 v102, -v88, v100, v101
	s_delay_alu instid0(VALU_DEP_1) | instskip(NEXT) | instid1(VALU_DEP_1)
	v_fmac_f32_e32 v100, v102, v99
	v_fma_f32 v88, -v88, v100, v101
	s_delay_alu instid0(VALU_DEP_1) | instskip(NEXT) | instid1(VALU_DEP_1)
	v_div_fmas_f32 v88, v88, v99, v100
	v_div_fixup_f32 v88, v88, v89, 1.0
	s_delay_alu instid0(VALU_DEP_1)
	v_mul_f32_e32 v98, v98, v88
	v_xor_b32_e32 v99, 0x80000000, v88
                                        ; implicit-def: $vgpr88_vgpr89
.LBB105_401:
	s_and_not1_saveexec_b32 s1, s1
	s_cbranch_execz .LBB105_403
; %bb.402:
	v_div_scale_f32 v98, null, v88, v88, v89
	v_div_scale_f32 v101, vcc_lo, v89, v88, v89
	s_delay_alu instid0(VALU_DEP_2) | instskip(SKIP_1) | instid1(TRANS32_DEP_1)
	v_rcp_f32_e32 v99, v98
	v_nop
	v_fma_f32 v100, -v98, v99, 1.0
	s_delay_alu instid0(VALU_DEP_1) | instskip(NEXT) | instid1(VALU_DEP_1)
	v_fmac_f32_e32 v99, v100, v99
	v_mul_f32_e32 v100, v101, v99
	s_delay_alu instid0(VALU_DEP_1) | instskip(NEXT) | instid1(VALU_DEP_1)
	v_fma_f32 v102, -v98, v100, v101
	v_fmac_f32_e32 v100, v102, v99
	s_delay_alu instid0(VALU_DEP_1) | instskip(NEXT) | instid1(VALU_DEP_1)
	v_fma_f32 v98, -v98, v100, v101
	v_div_fmas_f32 v98, v98, v99, v100
	s_delay_alu instid0(VALU_DEP_1) | instskip(NEXT) | instid1(VALU_DEP_1)
	v_div_fixup_f32 v99, v98, v88, v89
	v_fmac_f32_e32 v88, v89, v99
	s_delay_alu instid0(VALU_DEP_1) | instskip(NEXT) | instid1(VALU_DEP_1)
	v_div_scale_f32 v89, null, v88, v88, 1.0
	v_rcp_f32_e32 v98, v89
	v_nop
	s_delay_alu instid0(TRANS32_DEP_1) | instskip(NEXT) | instid1(VALU_DEP_1)
	v_fma_f32 v100, -v89, v98, 1.0
	v_fmac_f32_e32 v98, v100, v98
	v_div_scale_f32 v100, vcc_lo, 1.0, v88, 1.0
	s_delay_alu instid0(VALU_DEP_1) | instskip(NEXT) | instid1(VALU_DEP_1)
	v_mul_f32_e32 v101, v100, v98
	v_fma_f32 v102, -v89, v101, v100
	s_delay_alu instid0(VALU_DEP_1) | instskip(NEXT) | instid1(VALU_DEP_1)
	v_fmac_f32_e32 v101, v102, v98
	v_fma_f32 v89, -v89, v101, v100
	s_delay_alu instid0(VALU_DEP_1) | instskip(NEXT) | instid1(VALU_DEP_1)
	v_div_fmas_f32 v89, v89, v98, v101
	v_div_fixup_f32 v98, v89, v88, 1.0
	s_delay_alu instid0(VALU_DEP_1)
	v_mul_f32_e64 v99, v99, -v98
.LBB105_403:
	s_or_b32 exec_lo, exec_lo, s1
	ds_store_b64 v133, v[98:99]
.LBB105_404:
	s_or_b32 exec_lo, exec_lo, s2
	s_wait_dscnt 0x0
	s_barrier_signal -1
	s_barrier_wait -1
	ds_load_b64 v[88:89], v133
	s_mov_b32 s1, exec_lo
	v_cmpx_lt_u32_e32 44, v132
	s_cbranch_execz .LBB105_406
; %bb.405:
	ds_load_2addr_b64 v[102:105], v134 offset0:45 offset1:46
	s_wait_dscnt 0x1
	v_pk_mul_f32 v[100:101], v[88:89], v[208:209] op_sel:[1,1] op_sel_hi:[0,1]
	s_delay_alu instid0(VALU_DEP_1) | instskip(SKIP_1) | instid1(VALU_DEP_1)
	v_pk_fma_f32 v[98:99], v[88:89], v[208:209], v[100:101] op_sel_hi:[1,0,1] neg_lo:[0,0,1] neg_hi:[0,0,1]
	v_pk_fma_f32 v[100:101], v[88:89], v[208:209], v[100:101] op_sel_hi:[1,0,1]
	v_dual_mov_b32 v208, v98 :: v_dual_mov_b32 v209, v101
	s_wait_dscnt 0x0
	s_delay_alu instid0(VALU_DEP_2) | instskip(NEXT) | instid1(VALU_DEP_1)
	v_pk_mul_f32 v[114:115], v[102:103], v[100:101] op_sel:[0,1]
	v_pk_fma_f32 v[116:117], v[102:103], v[98:99], v[114:115] op_sel:[0,0,1] op_sel_hi:[1,1,0] neg_lo:[0,0,1] neg_hi:[0,0,1]
	v_pk_fma_f32 v[102:103], v[102:103], v[98:99], v[114:115] op_sel:[0,0,1] op_sel_hi:[1,0,0]
	s_delay_alu instid0(VALU_DEP_1) | instskip(SKIP_1) | instid1(VALU_DEP_1)
	v_mov_b32_e32 v117, v103
	v_pk_mul_f32 v[102:103], v[104:105], v[100:101] op_sel:[0,1]
	v_pk_fma_f32 v[114:115], v[104:105], v[98:99], v[102:103] op_sel:[0,0,1] op_sel_hi:[1,1,0] neg_lo:[0,0,1] neg_hi:[0,0,1]
	v_pk_fma_f32 v[102:103], v[104:105], v[98:99], v[102:103] op_sel:[0,0,1] op_sel_hi:[1,0,0]
	s_delay_alu instid0(VALU_DEP_1)
	v_mov_b32_e32 v115, v103
	ds_load_2addr_b64 v[102:105], v134 offset0:47 offset1:48
	v_pk_add_f32 v[200:201], v[200:201], v[116:117] neg_lo:[0,1] neg_hi:[0,1]
	v_pk_add_f32 v[206:207], v[206:207], v[114:115] neg_lo:[0,1] neg_hi:[0,1]
	s_wait_dscnt 0x0
	v_pk_mul_f32 v[114:115], v[102:103], v[100:101] op_sel:[0,1]
	s_delay_alu instid0(VALU_DEP_1) | instskip(SKIP_2) | instid1(VALU_DEP_2)
	v_pk_fma_f32 v[116:117], v[102:103], v[98:99], v[114:115] op_sel:[0,0,1] op_sel_hi:[1,1,0] neg_lo:[0,0,1] neg_hi:[0,0,1]
	v_pk_fma_f32 v[102:103], v[102:103], v[98:99], v[114:115] op_sel:[0,0,1] op_sel_hi:[1,0,0]
	v_dual_mul_f32 v114, v105, v101 :: v_dual_mov_b32 v102, v105
	v_dual_mov_b32 v117, v103 :: v_dual_mov_b32 v103, v104
	s_delay_alu instid0(VALU_DEP_2) | instskip(SKIP_1) | instid1(VALU_DEP_3)
	v_pk_fma_f32 v[114:115], v[104:105], v[208:209], v[114:115] op_sel_hi:[1,1,0] neg_lo:[0,0,1] neg_hi:[0,0,1]
	v_mul_f32_e32 v104, v105, v98
	v_pk_add_f32 v[198:199], v[198:199], v[116:117] neg_lo:[0,1] neg_hi:[0,1]
	s_delay_alu instid0(VALU_DEP_2) | instskip(NEXT) | instid1(VALU_DEP_1)
	v_pk_fma_f32 v[102:103], v[102:103], v[208:209], v[104:105] op_sel_hi:[1,1,0]
	v_mov_b32_e32 v115, v103
	ds_load_2addr_b64 v[102:105], v134 offset0:49 offset1:50
	v_pk_add_f32 v[204:205], v[204:205], v[114:115] neg_lo:[0,1] neg_hi:[0,1]
	s_wait_dscnt 0x0
	v_pk_mul_f32 v[114:115], v[102:103], v[100:101] op_sel:[0,1]
	s_delay_alu instid0(VALU_DEP_1) | instskip(SKIP_1) | instid1(VALU_DEP_1)
	v_pk_fma_f32 v[116:117], v[102:103], v[98:99], v[114:115] op_sel:[0,0,1] op_sel_hi:[1,1,0] neg_lo:[0,0,1] neg_hi:[0,0,1]
	v_pk_fma_f32 v[102:103], v[102:103], v[98:99], v[114:115] op_sel:[0,0,1] op_sel_hi:[1,0,0]
	v_mov_b32_e32 v117, v103
	v_pk_mul_f32 v[102:103], v[104:105], v[100:101] op_sel:[0,1]
	s_delay_alu instid0(VALU_DEP_1) | instskip(SKIP_1) | instid1(VALU_DEP_1)
	v_pk_fma_f32 v[114:115], v[104:105], v[98:99], v[102:103] op_sel:[0,0,1] op_sel_hi:[1,1,0] neg_lo:[0,0,1] neg_hi:[0,0,1]
	v_pk_fma_f32 v[102:103], v[104:105], v[98:99], v[102:103] op_sel:[0,0,1] op_sel_hi:[1,0,0]
	v_mov_b32_e32 v115, v103
	ds_load_2addr_b64 v[102:105], v134 offset0:51 offset1:52
	v_pk_add_f32 v[196:197], v[196:197], v[116:117] neg_lo:[0,1] neg_hi:[0,1]
	v_pk_add_f32 v[202:203], v[202:203], v[114:115] neg_lo:[0,1] neg_hi:[0,1]
	s_wait_dscnt 0x0
	v_pk_mul_f32 v[114:115], v[102:103], v[100:101] op_sel:[0,1]
	v_pk_mul_f32 v[100:101], v[104:105], v[100:101] op_sel:[0,1]
	s_delay_alu instid0(VALU_DEP_2) | instskip(SKIP_1) | instid1(VALU_DEP_1)
	v_pk_fma_f32 v[116:117], v[102:103], v[98:99], v[114:115] op_sel:[0,0,1] op_sel_hi:[1,1,0] neg_lo:[0,0,1] neg_hi:[0,0,1]
	v_pk_fma_f32 v[102:103], v[102:103], v[98:99], v[114:115] op_sel:[0,0,1] op_sel_hi:[1,0,0]
	v_mov_b32_e32 v117, v103
	s_delay_alu instid0(VALU_DEP_4) | instskip(SKIP_1) | instid1(VALU_DEP_1)
	v_pk_fma_f32 v[102:103], v[104:105], v[98:99], v[100:101] op_sel:[0,0,1] op_sel_hi:[1,1,0] neg_lo:[0,0,1] neg_hi:[0,0,1]
	v_pk_fma_f32 v[98:99], v[104:105], v[98:99], v[100:101] op_sel:[0,0,1] op_sel_hi:[1,0,0]
	v_mov_b32_e32 v103, v99
	s_delay_alu instid0(VALU_DEP_4) | instskip(NEXT) | instid1(VALU_DEP_2)
	v_pk_add_f32 v[210:211], v[210:211], v[116:117] neg_lo:[0,1] neg_hi:[0,1]
	v_pk_add_f32 v[212:213], v[212:213], v[102:103] neg_lo:[0,1] neg_hi:[0,1]
.LBB105_406:
	s_or_b32 exec_lo, exec_lo, s1
	s_delay_alu instid0(SALU_CYCLE_1)
	s_mov_b32 s2, exec_lo
	s_wait_dscnt 0x0
	s_barrier_signal -1
	s_barrier_wait -1
	v_cmpx_eq_u32_e32 45, v132
	s_cbranch_execz .LBB105_413
; %bb.407:
	v_dual_mov_b32 v98, v206 :: v_dual_mov_b32 v99, v207
	v_dual_mov_b32 v100, v198 :: v_dual_mov_b32 v101, v199
	ds_store_b64 v133, v[200:201]
	ds_store_2addr_b64 v134, v[98:99], v[100:101] offset0:46 offset1:47
	v_dual_mov_b32 v98, v204 :: v_dual_mov_b32 v99, v205
	v_dual_mov_b32 v100, v196 :: v_dual_mov_b32 v101, v197
	ds_store_2addr_b64 v134, v[98:99], v[100:101] offset0:48 offset1:49
	v_dual_mov_b32 v98, v202 :: v_dual_mov_b32 v99, v203
	v_dual_mov_b32 v100, v210 :: v_dual_mov_b32 v101, v211
	ds_store_2addr_b64 v134, v[98:99], v[100:101] offset0:50 offset1:51
	ds_store_b64 v134, v[212:213] offset:416
	ds_load_b64 v[98:99], v133
	s_wait_dscnt 0x0
	v_cmp_neq_f32_e32 vcc_lo, 0, v98
	v_cmp_neq_f32_e64 s1, 0, v99
	s_or_b32 s1, vcc_lo, s1
	s_delay_alu instid0(SALU_CYCLE_1)
	s_and_b32 exec_lo, exec_lo, s1
	s_cbranch_execz .LBB105_413
; %bb.408:
	v_cmp_ngt_f32_e64 s1, |v98|, |v99|
                                        ; implicit-def: $vgpr100_vgpr101
	s_and_saveexec_b32 s4, s1
	s_delay_alu instid0(SALU_CYCLE_1)
	s_xor_b32 s1, exec_lo, s4
	s_cbranch_execz .LBB105_410
; %bb.409:
	v_div_scale_f32 v100, null, v99, v99, v98
	v_div_scale_f32 v103, vcc_lo, v98, v99, v98
	s_delay_alu instid0(VALU_DEP_2) | instskip(SKIP_1) | instid1(TRANS32_DEP_1)
	v_rcp_f32_e32 v101, v100
	v_nop
	v_fma_f32 v102, -v100, v101, 1.0
	s_delay_alu instid0(VALU_DEP_1) | instskip(NEXT) | instid1(VALU_DEP_1)
	v_fmac_f32_e32 v101, v102, v101
	v_mul_f32_e32 v102, v103, v101
	s_delay_alu instid0(VALU_DEP_1) | instskip(NEXT) | instid1(VALU_DEP_1)
	v_fma_f32 v104, -v100, v102, v103
	v_fmac_f32_e32 v102, v104, v101
	s_delay_alu instid0(VALU_DEP_1) | instskip(NEXT) | instid1(VALU_DEP_1)
	v_fma_f32 v100, -v100, v102, v103
	v_div_fmas_f32 v100, v100, v101, v102
	s_delay_alu instid0(VALU_DEP_1) | instskip(NEXT) | instid1(VALU_DEP_1)
	v_div_fixup_f32 v100, v100, v99, v98
	v_fmac_f32_e32 v99, v98, v100
	s_delay_alu instid0(VALU_DEP_1) | instskip(SKIP_1) | instid1(VALU_DEP_2)
	v_div_scale_f32 v98, null, v99, v99, 1.0
	v_div_scale_f32 v103, vcc_lo, 1.0, v99, 1.0
	v_rcp_f32_e32 v101, v98
	v_nop
	s_delay_alu instid0(TRANS32_DEP_1) | instskip(NEXT) | instid1(VALU_DEP_1)
	v_fma_f32 v102, -v98, v101, 1.0
	v_fmac_f32_e32 v101, v102, v101
	s_delay_alu instid0(VALU_DEP_1) | instskip(NEXT) | instid1(VALU_DEP_1)
	v_mul_f32_e32 v102, v103, v101
	v_fma_f32 v104, -v98, v102, v103
	s_delay_alu instid0(VALU_DEP_1) | instskip(NEXT) | instid1(VALU_DEP_1)
	v_fmac_f32_e32 v102, v104, v101
	v_fma_f32 v98, -v98, v102, v103
	s_delay_alu instid0(VALU_DEP_1) | instskip(NEXT) | instid1(VALU_DEP_1)
	v_div_fmas_f32 v98, v98, v101, v102
	v_div_fixup_f32 v98, v98, v99, 1.0
	s_delay_alu instid0(VALU_DEP_1)
	v_mul_f32_e32 v100, v100, v98
	v_xor_b32_e32 v101, 0x80000000, v98
                                        ; implicit-def: $vgpr98_vgpr99
.LBB105_410:
	s_and_not1_saveexec_b32 s1, s1
	s_cbranch_execz .LBB105_412
; %bb.411:
	v_div_scale_f32 v100, null, v98, v98, v99
	v_div_scale_f32 v103, vcc_lo, v99, v98, v99
	s_delay_alu instid0(VALU_DEP_2) | instskip(SKIP_1) | instid1(TRANS32_DEP_1)
	v_rcp_f32_e32 v101, v100
	v_nop
	v_fma_f32 v102, -v100, v101, 1.0
	s_delay_alu instid0(VALU_DEP_1) | instskip(NEXT) | instid1(VALU_DEP_1)
	v_fmac_f32_e32 v101, v102, v101
	v_mul_f32_e32 v102, v103, v101
	s_delay_alu instid0(VALU_DEP_1) | instskip(NEXT) | instid1(VALU_DEP_1)
	v_fma_f32 v104, -v100, v102, v103
	v_fmac_f32_e32 v102, v104, v101
	s_delay_alu instid0(VALU_DEP_1) | instskip(NEXT) | instid1(VALU_DEP_1)
	v_fma_f32 v100, -v100, v102, v103
	v_div_fmas_f32 v100, v100, v101, v102
	s_delay_alu instid0(VALU_DEP_1) | instskip(NEXT) | instid1(VALU_DEP_1)
	v_div_fixup_f32 v101, v100, v98, v99
	v_fmac_f32_e32 v98, v99, v101
	s_delay_alu instid0(VALU_DEP_1) | instskip(NEXT) | instid1(VALU_DEP_1)
	v_div_scale_f32 v99, null, v98, v98, 1.0
	v_rcp_f32_e32 v100, v99
	v_nop
	s_delay_alu instid0(TRANS32_DEP_1) | instskip(NEXT) | instid1(VALU_DEP_1)
	v_fma_f32 v102, -v99, v100, 1.0
	v_fmac_f32_e32 v100, v102, v100
	v_div_scale_f32 v102, vcc_lo, 1.0, v98, 1.0
	s_delay_alu instid0(VALU_DEP_1) | instskip(NEXT) | instid1(VALU_DEP_1)
	v_mul_f32_e32 v103, v102, v100
	v_fma_f32 v104, -v99, v103, v102
	s_delay_alu instid0(VALU_DEP_1) | instskip(NEXT) | instid1(VALU_DEP_1)
	v_fmac_f32_e32 v103, v104, v100
	v_fma_f32 v99, -v99, v103, v102
	s_delay_alu instid0(VALU_DEP_1) | instskip(NEXT) | instid1(VALU_DEP_1)
	v_div_fmas_f32 v99, v99, v100, v103
	v_div_fixup_f32 v100, v99, v98, 1.0
	s_delay_alu instid0(VALU_DEP_1)
	v_mul_f32_e64 v101, v101, -v100
.LBB105_412:
	s_or_b32 exec_lo, exec_lo, s1
	ds_store_b64 v133, v[100:101]
.LBB105_413:
	s_or_b32 exec_lo, exec_lo, s2
	s_wait_dscnt 0x0
	s_barrier_signal -1
	s_barrier_wait -1
	ds_load_b64 v[98:99], v133
	s_mov_b32 s1, exec_lo
	v_cmpx_lt_u32_e32 45, v132
	s_cbranch_execz .LBB105_415
; %bb.414:
	s_wait_dscnt 0x0
	v_pk_mul_f32 v[102:103], v[98:99], v[200:201] op_sel:[1,1] op_sel_hi:[0,1]
	s_delay_alu instid0(VALU_DEP_1)
	v_pk_fma_f32 v[100:101], v[98:99], v[200:201], v[102:103] op_sel_hi:[1,0,1] neg_lo:[0,0,1] neg_hi:[0,0,1]
	v_pk_fma_f32 v[114:115], v[98:99], v[200:201], v[102:103] op_sel_hi:[1,0,1]
	ds_load_2addr_b64 v[102:105], v134 offset0:46 offset1:47
	v_dual_mov_b32 v200, v100 :: v_dual_mov_b32 v201, v115
	s_wait_dscnt 0x0
	v_pk_mul_f32 v[116:117], v[102:103], v[114:115] op_sel:[0,1]
	s_delay_alu instid0(VALU_DEP_1) | instskip(SKIP_1) | instid1(VALU_DEP_1)
	v_pk_fma_f32 v[118:119], v[102:103], v[100:101], v[116:117] op_sel:[0,0,1] op_sel_hi:[1,1,0] neg_lo:[0,0,1] neg_hi:[0,0,1]
	v_pk_fma_f32 v[102:103], v[102:103], v[100:101], v[116:117] op_sel:[0,0,1] op_sel_hi:[1,0,0]
	v_mov_b32_e32 v119, v103
	v_pk_mul_f32 v[102:103], v[104:105], v[114:115] op_sel:[0,1]
	s_delay_alu instid0(VALU_DEP_1) | instskip(SKIP_1) | instid1(VALU_DEP_1)
	v_pk_fma_f32 v[116:117], v[104:105], v[100:101], v[102:103] op_sel:[0,0,1] op_sel_hi:[1,1,0] neg_lo:[0,0,1] neg_hi:[0,0,1]
	v_pk_fma_f32 v[102:103], v[104:105], v[100:101], v[102:103] op_sel:[0,0,1] op_sel_hi:[1,0,0]
	v_mov_b32_e32 v117, v103
	ds_load_2addr_b64 v[102:105], v134 offset0:48 offset1:49
	v_pk_add_f32 v[206:207], v[206:207], v[118:119] neg_lo:[0,1] neg_hi:[0,1]
	v_pk_add_f32 v[198:199], v[198:199], v[116:117] neg_lo:[0,1] neg_hi:[0,1]
	s_wait_dscnt 0x0
	v_pk_mul_f32 v[116:117], v[102:103], v[114:115] op_sel:[0,1]
	s_delay_alu instid0(VALU_DEP_1) | instskip(SKIP_2) | instid1(VALU_DEP_2)
	v_pk_fma_f32 v[118:119], v[102:103], v[100:101], v[116:117] op_sel:[0,0,1] op_sel_hi:[1,1,0] neg_lo:[0,0,1] neg_hi:[0,0,1]
	v_pk_fma_f32 v[102:103], v[102:103], v[100:101], v[116:117] op_sel:[0,0,1] op_sel_hi:[1,0,0]
	v_dual_mul_f32 v116, v105, v115 :: v_dual_mov_b32 v102, v105
	v_dual_mov_b32 v119, v103 :: v_dual_mov_b32 v103, v104
	s_delay_alu instid0(VALU_DEP_2) | instskip(SKIP_1) | instid1(VALU_DEP_3)
	v_pk_fma_f32 v[116:117], v[104:105], v[200:201], v[116:117] op_sel_hi:[1,1,0] neg_lo:[0,0,1] neg_hi:[0,0,1]
	v_mul_f32_e32 v104, v105, v100
	v_pk_add_f32 v[204:205], v[204:205], v[118:119] neg_lo:[0,1] neg_hi:[0,1]
	s_delay_alu instid0(VALU_DEP_2) | instskip(NEXT) | instid1(VALU_DEP_1)
	v_pk_fma_f32 v[102:103], v[102:103], v[200:201], v[104:105] op_sel_hi:[1,1,0]
	v_mov_b32_e32 v117, v103
	ds_load_2addr_b64 v[102:105], v134 offset0:50 offset1:51
	v_pk_add_f32 v[196:197], v[196:197], v[116:117] neg_lo:[0,1] neg_hi:[0,1]
	s_wait_dscnt 0x0
	v_pk_mul_f32 v[116:117], v[102:103], v[114:115] op_sel:[0,1]
	s_delay_alu instid0(VALU_DEP_1) | instskip(SKIP_1) | instid1(VALU_DEP_1)
	v_pk_fma_f32 v[118:119], v[102:103], v[100:101], v[116:117] op_sel:[0,0,1] op_sel_hi:[1,1,0] neg_lo:[0,0,1] neg_hi:[0,0,1]
	v_pk_fma_f32 v[102:103], v[102:103], v[100:101], v[116:117] op_sel:[0,0,1] op_sel_hi:[1,0,0]
	v_mov_b32_e32 v119, v103
	v_pk_mul_f32 v[102:103], v[104:105], v[114:115] op_sel:[0,1]
	s_delay_alu instid0(VALU_DEP_1) | instskip(SKIP_1) | instid1(VALU_DEP_1)
	v_pk_fma_f32 v[116:117], v[104:105], v[100:101], v[102:103] op_sel:[0,0,1] op_sel_hi:[1,1,0] neg_lo:[0,0,1] neg_hi:[0,0,1]
	v_pk_fma_f32 v[102:103], v[104:105], v[100:101], v[102:103] op_sel:[0,0,1] op_sel_hi:[1,0,0]
	v_mov_b32_e32 v117, v103
	ds_load_b64 v[102:103], v134 offset:416
	v_pk_add_f32 v[202:203], v[202:203], v[118:119] neg_lo:[0,1] neg_hi:[0,1]
	v_pk_add_f32 v[210:211], v[210:211], v[116:117] neg_lo:[0,1] neg_hi:[0,1]
	s_wait_dscnt 0x0
	v_pk_mul_f32 v[104:105], v[102:103], v[114:115] op_sel:[0,1]
	s_delay_alu instid0(VALU_DEP_1) | instskip(SKIP_1) | instid1(VALU_DEP_1)
	v_pk_fma_f32 v[114:115], v[102:103], v[100:101], v[104:105] op_sel:[0,0,1] op_sel_hi:[1,1,0] neg_lo:[0,0,1] neg_hi:[0,0,1]
	v_pk_fma_f32 v[100:101], v[102:103], v[100:101], v[104:105] op_sel:[0,0,1] op_sel_hi:[1,0,0]
	v_mov_b32_e32 v115, v101
	s_delay_alu instid0(VALU_DEP_1)
	v_pk_add_f32 v[212:213], v[212:213], v[114:115] neg_lo:[0,1] neg_hi:[0,1]
.LBB105_415:
	s_or_b32 exec_lo, exec_lo, s1
	s_delay_alu instid0(SALU_CYCLE_1)
	s_mov_b32 s2, exec_lo
	s_wait_dscnt 0x0
	s_barrier_signal -1
	s_barrier_wait -1
	v_cmpx_eq_u32_e32 46, v132
	s_cbranch_execz .LBB105_422
; %bb.416:
	ds_store_b64 v133, v[206:207]
	ds_store_2addr_b64 v134, v[198:199], v[204:205] offset0:47 offset1:48
	ds_store_2addr_b64 v134, v[196:197], v[202:203] offset0:49 offset1:50
	ds_store_2addr_b64 v134, v[210:211], v[212:213] offset0:51 offset1:52
	ds_load_b64 v[100:101], v133
	s_wait_dscnt 0x0
	v_cmp_neq_f32_e32 vcc_lo, 0, v100
	v_cmp_neq_f32_e64 s1, 0, v101
	s_or_b32 s1, vcc_lo, s1
	s_delay_alu instid0(SALU_CYCLE_1)
	s_and_b32 exec_lo, exec_lo, s1
	s_cbranch_execz .LBB105_422
; %bb.417:
	v_cmp_ngt_f32_e64 s1, |v100|, |v101|
                                        ; implicit-def: $vgpr102_vgpr103
	s_and_saveexec_b32 s4, s1
	s_delay_alu instid0(SALU_CYCLE_1)
	s_xor_b32 s1, exec_lo, s4
	s_cbranch_execz .LBB105_419
; %bb.418:
	v_div_scale_f32 v102, null, v101, v101, v100
	v_div_scale_f32 v105, vcc_lo, v100, v101, v100
	s_delay_alu instid0(VALU_DEP_2) | instskip(SKIP_1) | instid1(TRANS32_DEP_1)
	v_rcp_f32_e32 v103, v102
	v_nop
	v_fma_f32 v104, -v102, v103, 1.0
	s_delay_alu instid0(VALU_DEP_1) | instskip(NEXT) | instid1(VALU_DEP_1)
	v_fmac_f32_e32 v103, v104, v103
	v_mul_f32_e32 v104, v105, v103
	s_delay_alu instid0(VALU_DEP_1) | instskip(NEXT) | instid1(VALU_DEP_1)
	v_fma_f32 v114, -v102, v104, v105
	v_fmac_f32_e32 v104, v114, v103
	s_delay_alu instid0(VALU_DEP_1) | instskip(NEXT) | instid1(VALU_DEP_1)
	v_fma_f32 v102, -v102, v104, v105
	v_div_fmas_f32 v102, v102, v103, v104
	s_delay_alu instid0(VALU_DEP_1) | instskip(NEXT) | instid1(VALU_DEP_1)
	v_div_fixup_f32 v102, v102, v101, v100
	v_fmac_f32_e32 v101, v100, v102
	s_delay_alu instid0(VALU_DEP_1) | instskip(SKIP_1) | instid1(VALU_DEP_2)
	v_div_scale_f32 v100, null, v101, v101, 1.0
	v_div_scale_f32 v105, vcc_lo, 1.0, v101, 1.0
	v_rcp_f32_e32 v103, v100
	v_nop
	s_delay_alu instid0(TRANS32_DEP_1) | instskip(NEXT) | instid1(VALU_DEP_1)
	v_fma_f32 v104, -v100, v103, 1.0
	v_fmac_f32_e32 v103, v104, v103
	s_delay_alu instid0(VALU_DEP_1) | instskip(NEXT) | instid1(VALU_DEP_1)
	v_mul_f32_e32 v104, v105, v103
	v_fma_f32 v114, -v100, v104, v105
	s_delay_alu instid0(VALU_DEP_1) | instskip(NEXT) | instid1(VALU_DEP_1)
	v_fmac_f32_e32 v104, v114, v103
	v_fma_f32 v100, -v100, v104, v105
	s_delay_alu instid0(VALU_DEP_1) | instskip(NEXT) | instid1(VALU_DEP_1)
	v_div_fmas_f32 v100, v100, v103, v104
	v_div_fixup_f32 v100, v100, v101, 1.0
	s_delay_alu instid0(VALU_DEP_1)
	v_mul_f32_e32 v102, v102, v100
	v_xor_b32_e32 v103, 0x80000000, v100
                                        ; implicit-def: $vgpr100_vgpr101
.LBB105_419:
	s_and_not1_saveexec_b32 s1, s1
	s_cbranch_execz .LBB105_421
; %bb.420:
	v_div_scale_f32 v102, null, v100, v100, v101
	v_div_scale_f32 v105, vcc_lo, v101, v100, v101
	s_delay_alu instid0(VALU_DEP_2) | instskip(SKIP_1) | instid1(TRANS32_DEP_1)
	v_rcp_f32_e32 v103, v102
	v_nop
	v_fma_f32 v104, -v102, v103, 1.0
	s_delay_alu instid0(VALU_DEP_1) | instskip(NEXT) | instid1(VALU_DEP_1)
	v_fmac_f32_e32 v103, v104, v103
	v_mul_f32_e32 v104, v105, v103
	s_delay_alu instid0(VALU_DEP_1) | instskip(NEXT) | instid1(VALU_DEP_1)
	v_fma_f32 v114, -v102, v104, v105
	v_fmac_f32_e32 v104, v114, v103
	s_delay_alu instid0(VALU_DEP_1) | instskip(NEXT) | instid1(VALU_DEP_1)
	v_fma_f32 v102, -v102, v104, v105
	v_div_fmas_f32 v102, v102, v103, v104
	s_delay_alu instid0(VALU_DEP_1) | instskip(NEXT) | instid1(VALU_DEP_1)
	v_div_fixup_f32 v103, v102, v100, v101
	v_fmac_f32_e32 v100, v101, v103
	s_delay_alu instid0(VALU_DEP_1) | instskip(NEXT) | instid1(VALU_DEP_1)
	v_div_scale_f32 v101, null, v100, v100, 1.0
	v_rcp_f32_e32 v102, v101
	v_nop
	s_delay_alu instid0(TRANS32_DEP_1) | instskip(NEXT) | instid1(VALU_DEP_1)
	v_fma_f32 v104, -v101, v102, 1.0
	v_fmac_f32_e32 v102, v104, v102
	v_div_scale_f32 v104, vcc_lo, 1.0, v100, 1.0
	s_delay_alu instid0(VALU_DEP_1) | instskip(NEXT) | instid1(VALU_DEP_1)
	v_mul_f32_e32 v105, v104, v102
	v_fma_f32 v114, -v101, v105, v104
	s_delay_alu instid0(VALU_DEP_1) | instskip(NEXT) | instid1(VALU_DEP_1)
	v_fmac_f32_e32 v105, v114, v102
	v_fma_f32 v101, -v101, v105, v104
	s_delay_alu instid0(VALU_DEP_1) | instskip(NEXT) | instid1(VALU_DEP_1)
	v_div_fmas_f32 v101, v101, v102, v105
	v_div_fixup_f32 v102, v101, v100, 1.0
	s_delay_alu instid0(VALU_DEP_1)
	v_mul_f32_e64 v103, v103, -v102
.LBB105_421:
	s_or_b32 exec_lo, exec_lo, s1
	ds_store_b64 v133, v[102:103]
.LBB105_422:
	s_or_b32 exec_lo, exec_lo, s2
	s_wait_dscnt 0x0
	s_barrier_signal -1
	s_barrier_wait -1
	ds_load_b64 v[100:101], v133
	s_mov_b32 s1, exec_lo
	v_cmpx_lt_u32_e32 46, v132
	s_cbranch_execz .LBB105_424
; %bb.423:
	s_wait_dscnt 0x0
	v_pk_mul_f32 v[102:103], v[100:101], v[206:207] op_sel:[1,1] op_sel_hi:[0,1]
	s_delay_alu instid0(VALU_DEP_1)
	v_pk_fma_f32 v[114:115], v[100:101], v[206:207], v[102:103] op_sel_hi:[1,0,1] neg_lo:[0,0,1] neg_hi:[0,0,1]
	v_pk_fma_f32 v[116:117], v[100:101], v[206:207], v[102:103] op_sel_hi:[1,0,1]
	ds_load_2addr_b64 v[102:105], v134 offset0:47 offset1:48
	v_dual_mov_b32 v206, v114 :: v_dual_mov_b32 v207, v117
	s_wait_dscnt 0x0
	v_pk_mul_f32 v[118:119], v[102:103], v[116:117] op_sel:[0,1]
	s_delay_alu instid0(VALU_DEP_1) | instskip(SKIP_1) | instid1(VALU_DEP_1)
	v_pk_fma_f32 v[120:121], v[102:103], v[114:115], v[118:119] op_sel:[0,0,1] op_sel_hi:[1,1,0] neg_lo:[0,0,1] neg_hi:[0,0,1]
	v_pk_fma_f32 v[102:103], v[102:103], v[114:115], v[118:119] op_sel:[0,0,1] op_sel_hi:[1,0,0]
	v_mov_b32_e32 v121, v103
	v_pk_mul_f32 v[102:103], v[104:105], v[116:117] op_sel:[0,1]
	s_delay_alu instid0(VALU_DEP_1) | instskip(SKIP_1) | instid1(VALU_DEP_1)
	v_pk_fma_f32 v[118:119], v[104:105], v[114:115], v[102:103] op_sel:[0,0,1] op_sel_hi:[1,1,0] neg_lo:[0,0,1] neg_hi:[0,0,1]
	v_pk_fma_f32 v[102:103], v[104:105], v[114:115], v[102:103] op_sel:[0,0,1] op_sel_hi:[1,0,0]
	v_mov_b32_e32 v119, v103
	ds_load_2addr_b64 v[102:105], v134 offset0:49 offset1:50
	v_pk_add_f32 v[198:199], v[198:199], v[120:121] neg_lo:[0,1] neg_hi:[0,1]
	v_pk_add_f32 v[204:205], v[204:205], v[118:119] neg_lo:[0,1] neg_hi:[0,1]
	s_wait_dscnt 0x0
	v_pk_mul_f32 v[118:119], v[102:103], v[116:117] op_sel:[0,1]
	s_delay_alu instid0(VALU_DEP_1) | instskip(SKIP_2) | instid1(VALU_DEP_2)
	v_pk_fma_f32 v[120:121], v[102:103], v[114:115], v[118:119] op_sel:[0,0,1] op_sel_hi:[1,1,0] neg_lo:[0,0,1] neg_hi:[0,0,1]
	v_pk_fma_f32 v[102:103], v[102:103], v[114:115], v[118:119] op_sel:[0,0,1] op_sel_hi:[1,0,0]
	v_dual_mul_f32 v118, v105, v117 :: v_dual_mov_b32 v102, v105
	v_dual_mov_b32 v121, v103 :: v_dual_mov_b32 v103, v104
	s_delay_alu instid0(VALU_DEP_2) | instskip(SKIP_1) | instid1(VALU_DEP_3)
	v_pk_fma_f32 v[118:119], v[104:105], v[206:207], v[118:119] op_sel_hi:[1,1,0] neg_lo:[0,0,1] neg_hi:[0,0,1]
	v_mul_f32_e32 v104, v105, v114
	v_pk_add_f32 v[196:197], v[196:197], v[120:121] neg_lo:[0,1] neg_hi:[0,1]
	s_delay_alu instid0(VALU_DEP_2) | instskip(NEXT) | instid1(VALU_DEP_1)
	v_pk_fma_f32 v[102:103], v[102:103], v[206:207], v[104:105] op_sel_hi:[1,1,0]
	v_mov_b32_e32 v119, v103
	ds_load_2addr_b64 v[102:105], v134 offset0:51 offset1:52
	v_pk_add_f32 v[202:203], v[202:203], v[118:119] neg_lo:[0,1] neg_hi:[0,1]
	s_wait_dscnt 0x0
	v_pk_mul_f32 v[118:119], v[102:103], v[116:117] op_sel:[0,1]
	v_mul_f32_e32 v116, v105, v117
	s_delay_alu instid0(VALU_DEP_2) | instskip(SKIP_2) | instid1(VALU_DEP_4)
	v_pk_fma_f32 v[120:121], v[102:103], v[114:115], v[118:119] op_sel:[0,0,1] op_sel_hi:[1,1,0] neg_lo:[0,0,1] neg_hi:[0,0,1]
	v_pk_fma_f32 v[102:103], v[102:103], v[114:115], v[118:119] op_sel:[0,0,1] op_sel_hi:[1,0,0]
	v_mov_b32_e32 v102, v105
	v_pk_fma_f32 v[116:117], v[104:105], v[206:207], v[116:117] op_sel_hi:[1,1,0] neg_lo:[0,0,1] neg_hi:[0,0,1]
	s_delay_alu instid0(VALU_DEP_3) | instskip(SKIP_1) | instid1(VALU_DEP_2)
	v_dual_mov_b32 v121, v103 :: v_dual_mov_b32 v103, v104
	v_mul_f32_e32 v104, v105, v114
	v_pk_add_f32 v[210:211], v[210:211], v[120:121] neg_lo:[0,1] neg_hi:[0,1]
	s_delay_alu instid0(VALU_DEP_2) | instskip(NEXT) | instid1(VALU_DEP_1)
	v_pk_fma_f32 v[102:103], v[102:103], v[206:207], v[104:105] op_sel_hi:[1,1,0]
	v_mov_b32_e32 v117, v103
	s_delay_alu instid0(VALU_DEP_1)
	v_pk_add_f32 v[212:213], v[212:213], v[116:117] neg_lo:[0,1] neg_hi:[0,1]
.LBB105_424:
	s_or_b32 exec_lo, exec_lo, s1
	s_delay_alu instid0(SALU_CYCLE_1)
	s_mov_b32 s2, exec_lo
	s_wait_dscnt 0x0
	s_barrier_signal -1
	s_barrier_wait -1
	v_cmpx_eq_u32_e32 47, v132
	s_cbranch_execz .LBB105_431
; %bb.425:
	v_dual_mov_b32 v102, v204 :: v_dual_mov_b32 v103, v205
	v_dual_mov_b32 v104, v196 :: v_dual_mov_b32 v105, v197
	ds_store_b64 v133, v[198:199]
	ds_store_2addr_b64 v134, v[102:103], v[104:105] offset0:48 offset1:49
	v_dual_mov_b32 v102, v202 :: v_dual_mov_b32 v103, v203
	v_dual_mov_b32 v104, v210 :: v_dual_mov_b32 v105, v211
	ds_store_2addr_b64 v134, v[102:103], v[104:105] offset0:50 offset1:51
	ds_store_b64 v134, v[212:213] offset:416
	ds_load_b64 v[102:103], v133
	s_wait_dscnt 0x0
	v_cmp_neq_f32_e32 vcc_lo, 0, v102
	v_cmp_neq_f32_e64 s1, 0, v103
	s_or_b32 s1, vcc_lo, s1
	s_delay_alu instid0(SALU_CYCLE_1)
	s_and_b32 exec_lo, exec_lo, s1
	s_cbranch_execz .LBB105_431
; %bb.426:
	v_cmp_ngt_f32_e64 s1, |v102|, |v103|
                                        ; implicit-def: $vgpr104_vgpr105
	s_and_saveexec_b32 s4, s1
	s_delay_alu instid0(SALU_CYCLE_1)
	s_xor_b32 s1, exec_lo, s4
	s_cbranch_execz .LBB105_428
; %bb.427:
	v_div_scale_f32 v104, null, v103, v103, v102
	v_div_scale_f32 v115, vcc_lo, v102, v103, v102
	s_delay_alu instid0(VALU_DEP_2) | instskip(SKIP_1) | instid1(TRANS32_DEP_1)
	v_rcp_f32_e32 v105, v104
	v_nop
	v_fma_f32 v114, -v104, v105, 1.0
	s_delay_alu instid0(VALU_DEP_1) | instskip(NEXT) | instid1(VALU_DEP_1)
	v_fmac_f32_e32 v105, v114, v105
	v_mul_f32_e32 v114, v115, v105
	s_delay_alu instid0(VALU_DEP_1) | instskip(NEXT) | instid1(VALU_DEP_1)
	v_fma_f32 v116, -v104, v114, v115
	v_fmac_f32_e32 v114, v116, v105
	s_delay_alu instid0(VALU_DEP_1) | instskip(NEXT) | instid1(VALU_DEP_1)
	v_fma_f32 v104, -v104, v114, v115
	v_div_fmas_f32 v104, v104, v105, v114
	s_delay_alu instid0(VALU_DEP_1) | instskip(NEXT) | instid1(VALU_DEP_1)
	v_div_fixup_f32 v104, v104, v103, v102
	v_fmac_f32_e32 v103, v102, v104
	s_delay_alu instid0(VALU_DEP_1) | instskip(SKIP_1) | instid1(VALU_DEP_2)
	v_div_scale_f32 v102, null, v103, v103, 1.0
	v_div_scale_f32 v115, vcc_lo, 1.0, v103, 1.0
	v_rcp_f32_e32 v105, v102
	v_nop
	s_delay_alu instid0(TRANS32_DEP_1) | instskip(NEXT) | instid1(VALU_DEP_1)
	v_fma_f32 v114, -v102, v105, 1.0
	v_fmac_f32_e32 v105, v114, v105
	s_delay_alu instid0(VALU_DEP_1) | instskip(NEXT) | instid1(VALU_DEP_1)
	v_mul_f32_e32 v114, v115, v105
	v_fma_f32 v116, -v102, v114, v115
	s_delay_alu instid0(VALU_DEP_1) | instskip(NEXT) | instid1(VALU_DEP_1)
	v_fmac_f32_e32 v114, v116, v105
	v_fma_f32 v102, -v102, v114, v115
	s_delay_alu instid0(VALU_DEP_1) | instskip(NEXT) | instid1(VALU_DEP_1)
	v_div_fmas_f32 v102, v102, v105, v114
	v_div_fixup_f32 v102, v102, v103, 1.0
	s_delay_alu instid0(VALU_DEP_1)
	v_mul_f32_e32 v104, v104, v102
	v_xor_b32_e32 v105, 0x80000000, v102
                                        ; implicit-def: $vgpr102_vgpr103
.LBB105_428:
	s_and_not1_saveexec_b32 s1, s1
	s_cbranch_execz .LBB105_430
; %bb.429:
	v_div_scale_f32 v104, null, v102, v102, v103
	v_div_scale_f32 v115, vcc_lo, v103, v102, v103
	s_delay_alu instid0(VALU_DEP_2) | instskip(SKIP_1) | instid1(TRANS32_DEP_1)
	v_rcp_f32_e32 v105, v104
	v_nop
	v_fma_f32 v114, -v104, v105, 1.0
	s_delay_alu instid0(VALU_DEP_1) | instskip(NEXT) | instid1(VALU_DEP_1)
	v_fmac_f32_e32 v105, v114, v105
	v_mul_f32_e32 v114, v115, v105
	s_delay_alu instid0(VALU_DEP_1) | instskip(NEXT) | instid1(VALU_DEP_1)
	v_fma_f32 v116, -v104, v114, v115
	v_fmac_f32_e32 v114, v116, v105
	s_delay_alu instid0(VALU_DEP_1) | instskip(NEXT) | instid1(VALU_DEP_1)
	v_fma_f32 v104, -v104, v114, v115
	v_div_fmas_f32 v104, v104, v105, v114
	s_delay_alu instid0(VALU_DEP_1) | instskip(NEXT) | instid1(VALU_DEP_1)
	v_div_fixup_f32 v105, v104, v102, v103
	v_fmac_f32_e32 v102, v103, v105
	s_delay_alu instid0(VALU_DEP_1) | instskip(NEXT) | instid1(VALU_DEP_1)
	v_div_scale_f32 v103, null, v102, v102, 1.0
	v_rcp_f32_e32 v104, v103
	v_nop
	s_delay_alu instid0(TRANS32_DEP_1) | instskip(NEXT) | instid1(VALU_DEP_1)
	v_fma_f32 v114, -v103, v104, 1.0
	v_fmac_f32_e32 v104, v114, v104
	v_div_scale_f32 v114, vcc_lo, 1.0, v102, 1.0
	s_delay_alu instid0(VALU_DEP_1) | instskip(NEXT) | instid1(VALU_DEP_1)
	v_mul_f32_e32 v115, v114, v104
	v_fma_f32 v116, -v103, v115, v114
	s_delay_alu instid0(VALU_DEP_1) | instskip(NEXT) | instid1(VALU_DEP_1)
	v_fmac_f32_e32 v115, v116, v104
	v_fma_f32 v103, -v103, v115, v114
	s_delay_alu instid0(VALU_DEP_1) | instskip(NEXT) | instid1(VALU_DEP_1)
	v_div_fmas_f32 v103, v103, v104, v115
	v_div_fixup_f32 v104, v103, v102, 1.0
	s_delay_alu instid0(VALU_DEP_1)
	v_mul_f32_e64 v105, v105, -v104
.LBB105_430:
	s_or_b32 exec_lo, exec_lo, s1
	ds_store_b64 v133, v[104:105]
.LBB105_431:
	s_or_b32 exec_lo, exec_lo, s2
	s_wait_dscnt 0x0
	s_barrier_signal -1
	s_barrier_wait -1
	ds_load_b64 v[102:103], v133
	s_mov_b32 s1, exec_lo
	v_cmpx_lt_u32_e32 47, v132
	s_cbranch_execz .LBB105_433
; %bb.432:
	ds_load_2addr_b64 v[114:117], v134 offset0:48 offset1:49
	s_wait_dscnt 0x1
	v_pk_mul_f32 v[104:105], v[102:103], v[198:199] op_sel:[1,1] op_sel_hi:[0,1]
	s_delay_alu instid0(VALU_DEP_1) | instskip(SKIP_1) | instid1(VALU_DEP_1)
	v_pk_fma_f32 v[118:119], v[102:103], v[198:199], v[104:105] op_sel_hi:[1,0,1] neg_lo:[0,0,1] neg_hi:[0,0,1]
	v_pk_fma_f32 v[104:105], v[102:103], v[198:199], v[104:105] op_sel_hi:[1,0,1]
	v_dual_mov_b32 v198, v118 :: v_dual_mov_b32 v199, v105
	s_wait_dscnt 0x0
	s_delay_alu instid0(VALU_DEP_2) | instskip(NEXT) | instid1(VALU_DEP_1)
	v_pk_mul_f32 v[120:121], v[114:115], v[104:105] op_sel:[0,1]
	v_pk_fma_f32 v[136:137], v[114:115], v[118:119], v[120:121] op_sel:[0,0,1] op_sel_hi:[1,1,0] neg_lo:[0,0,1] neg_hi:[0,0,1]
	v_pk_fma_f32 v[114:115], v[114:115], v[118:119], v[120:121] op_sel:[0,0,1] op_sel_hi:[1,0,0]
	s_delay_alu instid0(VALU_DEP_1) | instskip(SKIP_1) | instid1(VALU_DEP_1)
	v_mov_b32_e32 v137, v115
	v_pk_mul_f32 v[114:115], v[116:117], v[104:105] op_sel:[0,1]
	v_pk_fma_f32 v[120:121], v[116:117], v[118:119], v[114:115] op_sel:[0,0,1] op_sel_hi:[1,1,0] neg_lo:[0,0,1] neg_hi:[0,0,1]
	v_pk_fma_f32 v[114:115], v[116:117], v[118:119], v[114:115] op_sel:[0,0,1] op_sel_hi:[1,0,0]
	s_delay_alu instid0(VALU_DEP_1)
	v_mov_b32_e32 v121, v115
	ds_load_2addr_b64 v[114:117], v134 offset0:50 offset1:51
	v_pk_add_f32 v[204:205], v[204:205], v[136:137] neg_lo:[0,1] neg_hi:[0,1]
	v_pk_add_f32 v[196:197], v[196:197], v[120:121] neg_lo:[0,1] neg_hi:[0,1]
	s_wait_dscnt 0x0
	v_pk_mul_f32 v[120:121], v[114:115], v[104:105] op_sel:[0,1]
	s_delay_alu instid0(VALU_DEP_1) | instskip(SKIP_2) | instid1(VALU_DEP_2)
	v_pk_fma_f32 v[136:137], v[114:115], v[118:119], v[120:121] op_sel:[0,0,1] op_sel_hi:[1,1,0] neg_lo:[0,0,1] neg_hi:[0,0,1]
	v_pk_fma_f32 v[114:115], v[114:115], v[118:119], v[120:121] op_sel:[0,0,1] op_sel_hi:[1,0,0]
	v_dual_mul_f32 v120, v117, v105 :: v_dual_mov_b32 v114, v117
	v_dual_mov_b32 v137, v115 :: v_dual_mov_b32 v115, v116
	s_delay_alu instid0(VALU_DEP_2) | instskip(SKIP_1) | instid1(VALU_DEP_3)
	v_pk_fma_f32 v[120:121], v[116:117], v[198:199], v[120:121] op_sel_hi:[1,1,0] neg_lo:[0,0,1] neg_hi:[0,0,1]
	v_mul_f32_e32 v116, v117, v118
	v_pk_add_f32 v[202:203], v[202:203], v[136:137] neg_lo:[0,1] neg_hi:[0,1]
	s_delay_alu instid0(VALU_DEP_2) | instskip(NEXT) | instid1(VALU_DEP_1)
	v_pk_fma_f32 v[114:115], v[114:115], v[198:199], v[116:117] op_sel_hi:[1,1,0]
	v_mov_b32_e32 v121, v115
	ds_load_b64 v[114:115], v134 offset:416
	v_pk_add_f32 v[210:211], v[210:211], v[120:121] neg_lo:[0,1] neg_hi:[0,1]
	s_wait_dscnt 0x0
	v_pk_mul_f32 v[104:105], v[114:115], v[104:105] op_sel:[0,1]
	s_delay_alu instid0(VALU_DEP_1) | instskip(SKIP_1) | instid1(VALU_DEP_1)
	v_pk_fma_f32 v[116:117], v[114:115], v[118:119], v[104:105] op_sel:[0,0,1] op_sel_hi:[1,1,0] neg_lo:[0,0,1] neg_hi:[0,0,1]
	v_pk_fma_f32 v[104:105], v[114:115], v[118:119], v[104:105] op_sel:[0,0,1] op_sel_hi:[1,0,0]
	v_mov_b32_e32 v117, v105
	s_delay_alu instid0(VALU_DEP_1)
	v_pk_add_f32 v[212:213], v[212:213], v[116:117] neg_lo:[0,1] neg_hi:[0,1]
.LBB105_433:
	s_or_b32 exec_lo, exec_lo, s1
	s_delay_alu instid0(SALU_CYCLE_1)
	s_mov_b32 s2, exec_lo
	s_wait_dscnt 0x0
	s_barrier_signal -1
	s_barrier_wait -1
	v_cmpx_eq_u32_e32 48, v132
	s_cbranch_execz .LBB105_440
; %bb.434:
	ds_store_b64 v133, v[204:205]
	ds_store_2addr_b64 v134, v[196:197], v[202:203] offset0:49 offset1:50
	ds_store_2addr_b64 v134, v[210:211], v[212:213] offset0:51 offset1:52
	ds_load_b64 v[104:105], v133
	s_wait_dscnt 0x0
	v_cmp_neq_f32_e32 vcc_lo, 0, v104
	v_cmp_neq_f32_e64 s1, 0, v105
	s_or_b32 s1, vcc_lo, s1
	s_delay_alu instid0(SALU_CYCLE_1)
	s_and_b32 exec_lo, exec_lo, s1
	s_cbranch_execz .LBB105_440
; %bb.435:
	v_cmp_ngt_f32_e64 s1, |v104|, |v105|
                                        ; implicit-def: $vgpr114_vgpr115
	s_and_saveexec_b32 s4, s1
	s_delay_alu instid0(SALU_CYCLE_1)
	s_xor_b32 s1, exec_lo, s4
	s_cbranch_execz .LBB105_437
; %bb.436:
	v_div_scale_f32 v114, null, v105, v105, v104
	v_div_scale_f32 v117, vcc_lo, v104, v105, v104
	s_delay_alu instid0(VALU_DEP_2) | instskip(SKIP_1) | instid1(TRANS32_DEP_1)
	v_rcp_f32_e32 v115, v114
	v_nop
	v_fma_f32 v116, -v114, v115, 1.0
	s_delay_alu instid0(VALU_DEP_1) | instskip(NEXT) | instid1(VALU_DEP_1)
	v_fmac_f32_e32 v115, v116, v115
	v_mul_f32_e32 v116, v117, v115
	s_delay_alu instid0(VALU_DEP_1) | instskip(NEXT) | instid1(VALU_DEP_1)
	v_fma_f32 v118, -v114, v116, v117
	v_fmac_f32_e32 v116, v118, v115
	s_delay_alu instid0(VALU_DEP_1) | instskip(NEXT) | instid1(VALU_DEP_1)
	v_fma_f32 v114, -v114, v116, v117
	v_div_fmas_f32 v114, v114, v115, v116
	s_delay_alu instid0(VALU_DEP_1) | instskip(NEXT) | instid1(VALU_DEP_1)
	v_div_fixup_f32 v114, v114, v105, v104
	v_fmac_f32_e32 v105, v104, v114
	s_delay_alu instid0(VALU_DEP_1) | instskip(SKIP_1) | instid1(VALU_DEP_2)
	v_div_scale_f32 v104, null, v105, v105, 1.0
	v_div_scale_f32 v117, vcc_lo, 1.0, v105, 1.0
	v_rcp_f32_e32 v115, v104
	v_nop
	s_delay_alu instid0(TRANS32_DEP_1) | instskip(NEXT) | instid1(VALU_DEP_1)
	v_fma_f32 v116, -v104, v115, 1.0
	v_fmac_f32_e32 v115, v116, v115
	s_delay_alu instid0(VALU_DEP_1) | instskip(NEXT) | instid1(VALU_DEP_1)
	v_mul_f32_e32 v116, v117, v115
	v_fma_f32 v118, -v104, v116, v117
	s_delay_alu instid0(VALU_DEP_1) | instskip(NEXT) | instid1(VALU_DEP_1)
	v_fmac_f32_e32 v116, v118, v115
	v_fma_f32 v104, -v104, v116, v117
	s_delay_alu instid0(VALU_DEP_1) | instskip(NEXT) | instid1(VALU_DEP_1)
	v_div_fmas_f32 v104, v104, v115, v116
	v_div_fixup_f32 v104, v104, v105, 1.0
	s_delay_alu instid0(VALU_DEP_1)
	v_mul_f32_e32 v114, v114, v104
	v_xor_b32_e32 v115, 0x80000000, v104
                                        ; implicit-def: $vgpr104_vgpr105
.LBB105_437:
	s_and_not1_saveexec_b32 s1, s1
	s_cbranch_execz .LBB105_439
; %bb.438:
	v_div_scale_f32 v114, null, v104, v104, v105
	v_div_scale_f32 v117, vcc_lo, v105, v104, v105
	s_delay_alu instid0(VALU_DEP_2) | instskip(SKIP_1) | instid1(TRANS32_DEP_1)
	v_rcp_f32_e32 v115, v114
	v_nop
	v_fma_f32 v116, -v114, v115, 1.0
	s_delay_alu instid0(VALU_DEP_1) | instskip(NEXT) | instid1(VALU_DEP_1)
	v_fmac_f32_e32 v115, v116, v115
	v_mul_f32_e32 v116, v117, v115
	s_delay_alu instid0(VALU_DEP_1) | instskip(NEXT) | instid1(VALU_DEP_1)
	v_fma_f32 v118, -v114, v116, v117
	v_fmac_f32_e32 v116, v118, v115
	s_delay_alu instid0(VALU_DEP_1) | instskip(NEXT) | instid1(VALU_DEP_1)
	v_fma_f32 v114, -v114, v116, v117
	v_div_fmas_f32 v114, v114, v115, v116
	s_delay_alu instid0(VALU_DEP_1) | instskip(NEXT) | instid1(VALU_DEP_1)
	v_div_fixup_f32 v115, v114, v104, v105
	v_fmac_f32_e32 v104, v105, v115
	s_delay_alu instid0(VALU_DEP_1) | instskip(NEXT) | instid1(VALU_DEP_1)
	v_div_scale_f32 v105, null, v104, v104, 1.0
	v_rcp_f32_e32 v114, v105
	v_nop
	s_delay_alu instid0(TRANS32_DEP_1) | instskip(NEXT) | instid1(VALU_DEP_1)
	v_fma_f32 v116, -v105, v114, 1.0
	v_fmac_f32_e32 v114, v116, v114
	v_div_scale_f32 v116, vcc_lo, 1.0, v104, 1.0
	s_delay_alu instid0(VALU_DEP_1) | instskip(NEXT) | instid1(VALU_DEP_1)
	v_mul_f32_e32 v117, v116, v114
	v_fma_f32 v118, -v105, v117, v116
	s_delay_alu instid0(VALU_DEP_1) | instskip(NEXT) | instid1(VALU_DEP_1)
	v_fmac_f32_e32 v117, v118, v114
	v_fma_f32 v105, -v105, v117, v116
	s_delay_alu instid0(VALU_DEP_1) | instskip(NEXT) | instid1(VALU_DEP_1)
	v_div_fmas_f32 v105, v105, v114, v117
	v_div_fixup_f32 v114, v105, v104, 1.0
	s_delay_alu instid0(VALU_DEP_1)
	v_mul_f32_e64 v115, v115, -v114
.LBB105_439:
	s_or_b32 exec_lo, exec_lo, s1
	ds_store_b64 v133, v[114:115]
.LBB105_440:
	s_or_b32 exec_lo, exec_lo, s2
	s_wait_dscnt 0x0
	s_barrier_signal -1
	s_barrier_wait -1
	ds_load_b64 v[114:115], v133
	s_mov_b32 s1, exec_lo
	v_cmpx_lt_u32_e32 48, v132
	s_cbranch_execz .LBB105_442
; %bb.441:
	ds_load_2addr_b64 v[116:119], v134 offset0:49 offset1:50
	s_wait_dscnt 0x1
	v_pk_mul_f32 v[104:105], v[114:115], v[204:205] op_sel:[1,1] op_sel_hi:[0,1]
	s_delay_alu instid0(VALU_DEP_1) | instskip(SKIP_1) | instid1(VALU_DEP_1)
	v_pk_fma_f32 v[120:121], v[114:115], v[204:205], v[104:105] op_sel_hi:[1,0,1] neg_lo:[0,0,1] neg_hi:[0,0,1]
	v_pk_fma_f32 v[104:105], v[114:115], v[204:205], v[104:105] op_sel_hi:[1,0,1]
	v_dual_mov_b32 v204, v120 :: v_dual_mov_b32 v205, v105
	s_wait_dscnt 0x0
	s_delay_alu instid0(VALU_DEP_2) | instskip(NEXT) | instid1(VALU_DEP_1)
	v_pk_mul_f32 v[136:137], v[116:117], v[104:105] op_sel:[0,1]
	v_pk_fma_f32 v[138:139], v[116:117], v[120:121], v[136:137] op_sel:[0,0,1] op_sel_hi:[1,1,0] neg_lo:[0,0,1] neg_hi:[0,0,1]
	v_pk_fma_f32 v[116:117], v[116:117], v[120:121], v[136:137] op_sel:[0,0,1] op_sel_hi:[1,0,0]
	s_delay_alu instid0(VALU_DEP_1) | instskip(SKIP_1) | instid1(VALU_DEP_1)
	v_mov_b32_e32 v139, v117
	v_pk_mul_f32 v[116:117], v[118:119], v[104:105] op_sel:[0,1]
	v_pk_fma_f32 v[136:137], v[118:119], v[120:121], v[116:117] op_sel:[0,0,1] op_sel_hi:[1,1,0] neg_lo:[0,0,1] neg_hi:[0,0,1]
	v_pk_fma_f32 v[116:117], v[118:119], v[120:121], v[116:117] op_sel:[0,0,1] op_sel_hi:[1,0,0]
	s_delay_alu instid0(VALU_DEP_1)
	v_mov_b32_e32 v137, v117
	ds_load_2addr_b64 v[116:119], v134 offset0:51 offset1:52
	v_pk_add_f32 v[196:197], v[196:197], v[138:139] neg_lo:[0,1] neg_hi:[0,1]
	v_pk_add_f32 v[202:203], v[202:203], v[136:137] neg_lo:[0,1] neg_hi:[0,1]
	s_wait_dscnt 0x0
	v_pk_mul_f32 v[136:137], v[116:117], v[104:105] op_sel:[0,1]
	s_delay_alu instid0(VALU_DEP_1) | instskip(SKIP_1) | instid1(VALU_DEP_1)
	v_pk_fma_f32 v[138:139], v[116:117], v[120:121], v[136:137] op_sel:[0,0,1] op_sel_hi:[1,1,0] neg_lo:[0,0,1] neg_hi:[0,0,1]
	v_pk_fma_f32 v[116:117], v[116:117], v[120:121], v[136:137] op_sel:[0,0,1] op_sel_hi:[1,0,0]
	v_dual_mov_b32 v116, v119 :: v_dual_mov_b32 v139, v117
	v_mov_b32_e32 v117, v118
	s_delay_alu instid0(VALU_DEP_2) | instskip(NEXT) | instid1(VALU_DEP_2)
	v_pk_add_f32 v[210:211], v[210:211], v[138:139] neg_lo:[0,1] neg_hi:[0,1]
	v_pk_mul_f32 v[104:105], v[116:117], v[104:105] op_sel:[0,1]
	s_delay_alu instid0(VALU_DEP_1) | instskip(SKIP_1) | instid1(VALU_DEP_1)
	v_pk_fma_f32 v[116:117], v[118:119], v[120:121], v[104:105] neg_lo:[0,0,1] neg_hi:[0,0,1]
	v_pk_fma_f32 v[104:105], v[118:119], v[120:121], v[104:105] op_sel_hi:[1,0,1]
	v_mov_b32_e32 v117, v105
	s_delay_alu instid0(VALU_DEP_1)
	v_pk_add_f32 v[212:213], v[212:213], v[116:117] neg_lo:[0,1] neg_hi:[0,1]
.LBB105_442:
	s_or_b32 exec_lo, exec_lo, s1
	s_delay_alu instid0(SALU_CYCLE_1)
	s_mov_b32 s2, exec_lo
	s_wait_dscnt 0x0
	s_barrier_signal -1
	s_barrier_wait -1
	v_cmpx_eq_u32_e32 49, v132
	s_cbranch_execz .LBB105_449
; %bb.443:
	v_dual_mov_b32 v104, v202 :: v_dual_mov_b32 v105, v203
	v_dual_mov_b32 v116, v210 :: v_dual_mov_b32 v117, v211
	ds_store_b64 v133, v[196:197]
	ds_store_2addr_b64 v134, v[104:105], v[116:117] offset0:50 offset1:51
	ds_store_b64 v134, v[212:213] offset:416
	ds_load_b64 v[104:105], v133
	s_wait_dscnt 0x0
	v_cmp_neq_f32_e32 vcc_lo, 0, v104
	v_cmp_neq_f32_e64 s1, 0, v105
	s_or_b32 s1, vcc_lo, s1
	s_delay_alu instid0(SALU_CYCLE_1)
	s_and_b32 exec_lo, exec_lo, s1
	s_cbranch_execz .LBB105_449
; %bb.444:
	v_cmp_ngt_f32_e64 s1, |v104|, |v105|
                                        ; implicit-def: $vgpr116_vgpr117
	s_and_saveexec_b32 s4, s1
	s_delay_alu instid0(SALU_CYCLE_1)
	s_xor_b32 s1, exec_lo, s4
	s_cbranch_execz .LBB105_446
; %bb.445:
	v_div_scale_f32 v116, null, v105, v105, v104
	v_div_scale_f32 v119, vcc_lo, v104, v105, v104
	s_delay_alu instid0(VALU_DEP_2) | instskip(SKIP_1) | instid1(TRANS32_DEP_1)
	v_rcp_f32_e32 v117, v116
	v_nop
	v_fma_f32 v118, -v116, v117, 1.0
	s_delay_alu instid0(VALU_DEP_1) | instskip(NEXT) | instid1(VALU_DEP_1)
	v_fmac_f32_e32 v117, v118, v117
	v_mul_f32_e32 v118, v119, v117
	s_delay_alu instid0(VALU_DEP_1) | instskip(NEXT) | instid1(VALU_DEP_1)
	v_fma_f32 v120, -v116, v118, v119
	v_fmac_f32_e32 v118, v120, v117
	s_delay_alu instid0(VALU_DEP_1) | instskip(NEXT) | instid1(VALU_DEP_1)
	v_fma_f32 v116, -v116, v118, v119
	v_div_fmas_f32 v116, v116, v117, v118
	s_delay_alu instid0(VALU_DEP_1) | instskip(NEXT) | instid1(VALU_DEP_1)
	v_div_fixup_f32 v116, v116, v105, v104
	v_fmac_f32_e32 v105, v104, v116
	s_delay_alu instid0(VALU_DEP_1) | instskip(SKIP_1) | instid1(VALU_DEP_2)
	v_div_scale_f32 v104, null, v105, v105, 1.0
	v_div_scale_f32 v119, vcc_lo, 1.0, v105, 1.0
	v_rcp_f32_e32 v117, v104
	v_nop
	s_delay_alu instid0(TRANS32_DEP_1) | instskip(NEXT) | instid1(VALU_DEP_1)
	v_fma_f32 v118, -v104, v117, 1.0
	v_fmac_f32_e32 v117, v118, v117
	s_delay_alu instid0(VALU_DEP_1) | instskip(NEXT) | instid1(VALU_DEP_1)
	v_mul_f32_e32 v118, v119, v117
	v_fma_f32 v120, -v104, v118, v119
	s_delay_alu instid0(VALU_DEP_1) | instskip(NEXT) | instid1(VALU_DEP_1)
	v_fmac_f32_e32 v118, v120, v117
	v_fma_f32 v104, -v104, v118, v119
	s_delay_alu instid0(VALU_DEP_1) | instskip(NEXT) | instid1(VALU_DEP_1)
	v_div_fmas_f32 v104, v104, v117, v118
	v_div_fixup_f32 v104, v104, v105, 1.0
	s_delay_alu instid0(VALU_DEP_1)
	v_mul_f32_e32 v116, v116, v104
	v_xor_b32_e32 v117, 0x80000000, v104
                                        ; implicit-def: $vgpr104_vgpr105
.LBB105_446:
	s_and_not1_saveexec_b32 s1, s1
	s_cbranch_execz .LBB105_448
; %bb.447:
	v_div_scale_f32 v116, null, v104, v104, v105
	v_div_scale_f32 v119, vcc_lo, v105, v104, v105
	s_delay_alu instid0(VALU_DEP_2) | instskip(SKIP_1) | instid1(TRANS32_DEP_1)
	v_rcp_f32_e32 v117, v116
	v_nop
	v_fma_f32 v118, -v116, v117, 1.0
	s_delay_alu instid0(VALU_DEP_1) | instskip(NEXT) | instid1(VALU_DEP_1)
	v_fmac_f32_e32 v117, v118, v117
	v_mul_f32_e32 v118, v119, v117
	s_delay_alu instid0(VALU_DEP_1) | instskip(NEXT) | instid1(VALU_DEP_1)
	v_fma_f32 v120, -v116, v118, v119
	v_fmac_f32_e32 v118, v120, v117
	s_delay_alu instid0(VALU_DEP_1) | instskip(NEXT) | instid1(VALU_DEP_1)
	v_fma_f32 v116, -v116, v118, v119
	v_div_fmas_f32 v116, v116, v117, v118
	s_delay_alu instid0(VALU_DEP_1) | instskip(NEXT) | instid1(VALU_DEP_1)
	v_div_fixup_f32 v117, v116, v104, v105
	v_fmac_f32_e32 v104, v105, v117
	s_delay_alu instid0(VALU_DEP_1) | instskip(NEXT) | instid1(VALU_DEP_1)
	v_div_scale_f32 v105, null, v104, v104, 1.0
	v_rcp_f32_e32 v116, v105
	v_nop
	s_delay_alu instid0(TRANS32_DEP_1) | instskip(NEXT) | instid1(VALU_DEP_1)
	v_fma_f32 v118, -v105, v116, 1.0
	v_fmac_f32_e32 v116, v118, v116
	v_div_scale_f32 v118, vcc_lo, 1.0, v104, 1.0
	s_delay_alu instid0(VALU_DEP_1) | instskip(NEXT) | instid1(VALU_DEP_1)
	v_mul_f32_e32 v119, v118, v116
	v_fma_f32 v120, -v105, v119, v118
	s_delay_alu instid0(VALU_DEP_1) | instskip(NEXT) | instid1(VALU_DEP_1)
	v_fmac_f32_e32 v119, v120, v116
	v_fma_f32 v105, -v105, v119, v118
	s_delay_alu instid0(VALU_DEP_1) | instskip(NEXT) | instid1(VALU_DEP_1)
	v_div_fmas_f32 v105, v105, v116, v119
	v_div_fixup_f32 v116, v105, v104, 1.0
	s_delay_alu instid0(VALU_DEP_1)
	v_mul_f32_e64 v117, v117, -v116
.LBB105_448:
	s_or_b32 exec_lo, exec_lo, s1
	ds_store_b64 v133, v[116:117]
.LBB105_449:
	s_or_b32 exec_lo, exec_lo, s2
	s_wait_dscnt 0x0
	s_barrier_signal -1
	s_barrier_wait -1
	ds_load_b64 v[116:117], v133
	s_mov_b32 s1, exec_lo
	v_cmpx_lt_u32_e32 49, v132
	s_cbranch_execz .LBB105_451
; %bb.450:
	ds_load_2addr_b64 v[118:121], v134 offset0:50 offset1:51
	s_wait_dscnt 0x1
	v_pk_mul_f32 v[104:105], v[116:117], v[196:197] op_sel:[1,1] op_sel_hi:[0,1]
	s_delay_alu instid0(VALU_DEP_1) | instskip(SKIP_1) | instid1(VALU_DEP_1)
	v_pk_fma_f32 v[136:137], v[116:117], v[196:197], v[104:105] op_sel_hi:[1,0,1] neg_lo:[0,0,1] neg_hi:[0,0,1]
	v_pk_fma_f32 v[104:105], v[116:117], v[196:197], v[104:105] op_sel_hi:[1,0,1]
	v_dual_mov_b32 v196, v136 :: v_dual_mov_b32 v197, v105
	s_wait_dscnt 0x0
	s_delay_alu instid0(VALU_DEP_2) | instskip(NEXT) | instid1(VALU_DEP_1)
	v_pk_mul_f32 v[138:139], v[118:119], v[104:105] op_sel:[0,1]
	v_pk_fma_f32 v[148:149], v[118:119], v[136:137], v[138:139] op_sel:[0,0,1] op_sel_hi:[1,1,0] neg_lo:[0,0,1] neg_hi:[0,0,1]
	v_pk_fma_f32 v[118:119], v[118:119], v[136:137], v[138:139] op_sel:[0,0,1] op_sel_hi:[1,0,0]
	s_delay_alu instid0(VALU_DEP_1) | instskip(SKIP_1) | instid1(VALU_DEP_1)
	v_mov_b32_e32 v149, v119
	v_pk_mul_f32 v[118:119], v[120:121], v[104:105] op_sel:[0,1]
	v_pk_fma_f32 v[138:139], v[120:121], v[136:137], v[118:119] op_sel:[0,0,1] op_sel_hi:[1,1,0] neg_lo:[0,0,1] neg_hi:[0,0,1]
	v_pk_fma_f32 v[118:119], v[120:121], v[136:137], v[118:119] op_sel:[0,0,1] op_sel_hi:[1,0,0]
	s_delay_alu instid0(VALU_DEP_1)
	v_mov_b32_e32 v139, v119
	ds_load_b64 v[118:119], v134 offset:416
	v_pk_add_f32 v[202:203], v[202:203], v[148:149] neg_lo:[0,1] neg_hi:[0,1]
	v_pk_add_f32 v[210:211], v[210:211], v[138:139] neg_lo:[0,1] neg_hi:[0,1]
	s_wait_dscnt 0x0
	v_pk_mul_f32 v[104:105], v[118:119], v[104:105] op_sel:[1,1] op_sel_hi:[0,1]
	s_delay_alu instid0(VALU_DEP_1) | instskip(SKIP_1) | instid1(VALU_DEP_1)
	v_pk_fma_f32 v[120:121], v[118:119], v[136:137], v[104:105] neg_lo:[0,0,1] neg_hi:[0,0,1]
	v_pk_fma_f32 v[104:105], v[118:119], v[136:137], v[104:105] op_sel_hi:[1,0,1]
	v_mov_b32_e32 v121, v105
	s_delay_alu instid0(VALU_DEP_1)
	v_pk_add_f32 v[212:213], v[212:213], v[120:121] neg_lo:[0,1] neg_hi:[0,1]
.LBB105_451:
	s_or_b32 exec_lo, exec_lo, s1
	s_delay_alu instid0(SALU_CYCLE_1)
	s_mov_b32 s2, exec_lo
	s_wait_dscnt 0x0
	s_barrier_signal -1
	s_barrier_wait -1
	v_cmpx_eq_u32_e32 50, v132
	s_cbranch_execz .LBB105_458
; %bb.452:
	ds_store_b64 v133, v[202:203]
	ds_store_2addr_b64 v134, v[210:211], v[212:213] offset0:51 offset1:52
	ds_load_b64 v[104:105], v133
	s_wait_dscnt 0x0
	v_cmp_neq_f32_e32 vcc_lo, 0, v104
	v_cmp_neq_f32_e64 s1, 0, v105
	s_or_b32 s1, vcc_lo, s1
	s_delay_alu instid0(SALU_CYCLE_1)
	s_and_b32 exec_lo, exec_lo, s1
	s_cbranch_execz .LBB105_458
; %bb.453:
	v_cmp_ngt_f32_e64 s1, |v104|, |v105|
                                        ; implicit-def: $vgpr118_vgpr119
	s_and_saveexec_b32 s4, s1
	s_delay_alu instid0(SALU_CYCLE_1)
	s_xor_b32 s1, exec_lo, s4
	s_cbranch_execz .LBB105_455
; %bb.454:
	v_div_scale_f32 v118, null, v105, v105, v104
	v_div_scale_f32 v121, vcc_lo, v104, v105, v104
	s_delay_alu instid0(VALU_DEP_2) | instskip(SKIP_1) | instid1(TRANS32_DEP_1)
	v_rcp_f32_e32 v119, v118
	v_nop
	v_fma_f32 v120, -v118, v119, 1.0
	s_delay_alu instid0(VALU_DEP_1) | instskip(NEXT) | instid1(VALU_DEP_1)
	v_fmac_f32_e32 v119, v120, v119
	v_mul_f32_e32 v120, v121, v119
	s_delay_alu instid0(VALU_DEP_1) | instskip(NEXT) | instid1(VALU_DEP_1)
	v_fma_f32 v135, -v118, v120, v121
	v_fmac_f32_e32 v120, v135, v119
	s_delay_alu instid0(VALU_DEP_1) | instskip(NEXT) | instid1(VALU_DEP_1)
	v_fma_f32 v118, -v118, v120, v121
	v_div_fmas_f32 v118, v118, v119, v120
	s_delay_alu instid0(VALU_DEP_1) | instskip(NEXT) | instid1(VALU_DEP_1)
	v_div_fixup_f32 v118, v118, v105, v104
	v_fmac_f32_e32 v105, v104, v118
	s_delay_alu instid0(VALU_DEP_1) | instskip(SKIP_1) | instid1(VALU_DEP_2)
	v_div_scale_f32 v104, null, v105, v105, 1.0
	v_div_scale_f32 v121, vcc_lo, 1.0, v105, 1.0
	v_rcp_f32_e32 v119, v104
	v_nop
	s_delay_alu instid0(TRANS32_DEP_1) | instskip(NEXT) | instid1(VALU_DEP_1)
	v_fma_f32 v120, -v104, v119, 1.0
	v_fmac_f32_e32 v119, v120, v119
	s_delay_alu instid0(VALU_DEP_1) | instskip(NEXT) | instid1(VALU_DEP_1)
	v_mul_f32_e32 v120, v121, v119
	v_fma_f32 v135, -v104, v120, v121
	s_delay_alu instid0(VALU_DEP_1) | instskip(NEXT) | instid1(VALU_DEP_1)
	v_fmac_f32_e32 v120, v135, v119
	v_fma_f32 v104, -v104, v120, v121
	s_delay_alu instid0(VALU_DEP_1) | instskip(NEXT) | instid1(VALU_DEP_1)
	v_div_fmas_f32 v104, v104, v119, v120
	v_div_fixup_f32 v104, v104, v105, 1.0
	s_delay_alu instid0(VALU_DEP_1)
	v_mul_f32_e32 v118, v118, v104
	v_xor_b32_e32 v119, 0x80000000, v104
                                        ; implicit-def: $vgpr104_vgpr105
.LBB105_455:
	s_and_not1_saveexec_b32 s1, s1
	s_cbranch_execz .LBB105_457
; %bb.456:
	v_div_scale_f32 v118, null, v104, v104, v105
	v_div_scale_f32 v121, vcc_lo, v105, v104, v105
	s_delay_alu instid0(VALU_DEP_2) | instskip(SKIP_1) | instid1(TRANS32_DEP_1)
	v_rcp_f32_e32 v119, v118
	v_nop
	v_fma_f32 v120, -v118, v119, 1.0
	s_delay_alu instid0(VALU_DEP_1) | instskip(NEXT) | instid1(VALU_DEP_1)
	v_fmac_f32_e32 v119, v120, v119
	v_mul_f32_e32 v120, v121, v119
	s_delay_alu instid0(VALU_DEP_1) | instskip(NEXT) | instid1(VALU_DEP_1)
	v_fma_f32 v135, -v118, v120, v121
	v_fmac_f32_e32 v120, v135, v119
	s_delay_alu instid0(VALU_DEP_1) | instskip(NEXT) | instid1(VALU_DEP_1)
	v_fma_f32 v118, -v118, v120, v121
	v_div_fmas_f32 v118, v118, v119, v120
	s_delay_alu instid0(VALU_DEP_1) | instskip(NEXT) | instid1(VALU_DEP_1)
	v_div_fixup_f32 v119, v118, v104, v105
	v_fmac_f32_e32 v104, v105, v119
	s_delay_alu instid0(VALU_DEP_1) | instskip(NEXT) | instid1(VALU_DEP_1)
	v_div_scale_f32 v105, null, v104, v104, 1.0
	v_rcp_f32_e32 v118, v105
	v_nop
	s_delay_alu instid0(TRANS32_DEP_1) | instskip(NEXT) | instid1(VALU_DEP_1)
	v_fma_f32 v120, -v105, v118, 1.0
	v_fmac_f32_e32 v118, v120, v118
	v_div_scale_f32 v120, vcc_lo, 1.0, v104, 1.0
	s_delay_alu instid0(VALU_DEP_1) | instskip(NEXT) | instid1(VALU_DEP_1)
	v_mul_f32_e32 v121, v120, v118
	v_fma_f32 v135, -v105, v121, v120
	s_delay_alu instid0(VALU_DEP_1) | instskip(NEXT) | instid1(VALU_DEP_1)
	v_fmac_f32_e32 v121, v135, v118
	v_fma_f32 v105, -v105, v121, v120
	s_delay_alu instid0(VALU_DEP_1) | instskip(NEXT) | instid1(VALU_DEP_1)
	v_div_fmas_f32 v105, v105, v118, v121
	v_div_fixup_f32 v118, v105, v104, 1.0
	s_delay_alu instid0(VALU_DEP_1)
	v_mul_f32_e64 v119, v119, -v118
.LBB105_457:
	s_or_b32 exec_lo, exec_lo, s1
	ds_store_b64 v133, v[118:119]
.LBB105_458:
	s_or_b32 exec_lo, exec_lo, s2
	s_wait_dscnt 0x0
	s_barrier_signal -1
	s_barrier_wait -1
	ds_load_b64 v[118:119], v133
	s_mov_b32 s1, exec_lo
	v_cmpx_lt_u32_e32 50, v132
	s_cbranch_execz .LBB105_460
; %bb.459:
	ds_load_2addr_b64 v[136:139], v134 offset0:51 offset1:52
	s_wait_dscnt 0x1
	v_pk_mul_f32 v[104:105], v[118:119], v[202:203] op_sel:[1,1] op_sel_hi:[0,1]
	v_mov_b64_e32 v[0:1], v[254:255]
	v_mov_b64_e32 v[254:255], v[252:253]
	;; [unrolled: 1-line block ×4, first 2 shown]
	v_pk_fma_f32 v[120:121], v[118:119], v[202:203], v[104:105] op_sel_hi:[1,0,1] neg_lo:[0,0,1] neg_hi:[0,0,1]
	v_pk_fma_f32 v[104:105], v[118:119], v[202:203], v[104:105] op_sel_hi:[1,0,1]
	v_mov_b64_e32 v[122:123], v[248:249]
	v_mov_b64_e32 v[248:249], v[246:247]
	;; [unrolled: 1-line block ×12, first 2 shown]
	s_wait_dscnt 0x0
	v_pk_mul_f32 v[148:149], v[136:137], v[104:105] op_sel:[0,1]
	v_mov_b64_e32 v[226:227], v[224:225]
	v_mov_b64_e32 v[224:225], v[222:223]
	v_mov_b64_e32 v[222:223], v[220:221]
	v_mov_b64_e32 v[220:221], v[16:17]
	v_mov_b64_e32 v[16:17], v[218:219]
	v_mov_b64_e32 v[218:219], v[216:217]
	v_mov_b64_e32 v[216:217], v[214:215]
	v_mov_b64_e32 v[214:215], v[194:195]
	v_mov_b64_e32 v[194:195], v[192:193]
	v_mov_b64_e32 v[192:193], v[190:191]
	v_mov_b64_e32 v[190:191], v[188:189]
	v_mov_b64_e32 v[188:189], v[186:187]
	v_mov_b64_e32 v[186:187], v[176:177]
	v_mov_b64_e32 v[176:177], v[174:175]
	v_mov_b64_e32 v[174:175], v[172:173]
	v_mov_b64_e32 v[172:173], v[170:171]
	v_mov_b64_e32 v[170:171], v[168:169]
	v_mov_b64_e32 v[168:169], v[166:167]
	v_mov_b64_e32 v[166:167], v[164:165]
	v_mov_b64_e32 v[164:165], v[154:155]
	v_mov_b64_e32 v[154:155], v[152:153]
	v_mov_b64_e32 v[152:153], v[150:151]
	v_pk_fma_f32 v[150:151], v[136:137], v[120:121], v[148:149] op_sel:[0,0,1] op_sel_hi:[1,1,0] neg_lo:[0,0,1] neg_hi:[0,0,1]
	v_pk_fma_f32 v[136:137], v[136:137], v[120:121], v[148:149] op_sel:[0,0,1] op_sel_hi:[1,0,0]
	v_dual_mov_b32 v136, v139 :: v_dual_mov_b32 v202, v120
	s_delay_alu instid0(VALU_DEP_2) | instskip(SKIP_1) | instid1(VALU_DEP_2)
	v_dual_mov_b32 v203, v105 :: v_dual_mov_b32 v151, v137
	v_mov_b32_e32 v137, v138
	v_pk_add_f32 v[210:211], v[210:211], v[150:151] neg_lo:[0,1] neg_hi:[0,1]
	s_delay_alu instid0(VALU_DEP_2)
	v_pk_mul_f32 v[104:105], v[136:137], v[104:105] op_sel:[0,1]
	v_mov_b64_e32 v[150:151], v[152:153]
	v_mov_b64_e32 v[152:153], v[154:155]
	;; [unrolled: 1-line block ×4, first 2 shown]
	v_pk_fma_f32 v[136:137], v[138:139], v[120:121], v[104:105] neg_lo:[0,0,1] neg_hi:[0,0,1]
	v_pk_fma_f32 v[104:105], v[138:139], v[120:121], v[104:105] op_sel_hi:[1,0,1]
	v_mov_b64_e32 v[166:167], v[168:169]
	v_mov_b64_e32 v[168:169], v[170:171]
	;; [unrolled: 1-line block ×4, first 2 shown]
	v_mov_b32_e32 v137, v105
	v_mov_b64_e32 v[174:175], v[176:177]
	v_mov_b64_e32 v[176:177], v[186:187]
	;; [unrolled: 1-line block ×30, first 2 shown]
	v_pk_add_f32 v[212:213], v[212:213], v[136:137] neg_lo:[0,1] neg_hi:[0,1]
.LBB105_460:
	s_or_b32 exec_lo, exec_lo, s1
	s_delay_alu instid0(SALU_CYCLE_1)
	s_mov_b32 s2, exec_lo
	s_wait_dscnt 0x0
	s_barrier_signal -1
	s_barrier_wait -1
	v_cmpx_eq_u32_e32 51, v132
	s_cbranch_execz .LBB105_467
; %bb.461:
	ds_store_b64 v133, v[210:211]
	ds_store_b64 v134, v[212:213] offset:416
	ds_load_b64 v[104:105], v133
	s_wait_dscnt 0x0
	v_cmp_neq_f32_e32 vcc_lo, 0, v104
	v_cmp_neq_f32_e64 s1, 0, v105
	s_or_b32 s1, vcc_lo, s1
	s_delay_alu instid0(SALU_CYCLE_1)
	s_and_b32 exec_lo, exec_lo, s1
	s_cbranch_execz .LBB105_467
; %bb.462:
	v_cmp_ngt_f32_e64 s1, |v104|, |v105|
                                        ; implicit-def: $vgpr120_vgpr121
	s_and_saveexec_b32 s4, s1
	s_delay_alu instid0(SALU_CYCLE_1)
	s_xor_b32 s1, exec_lo, s4
	s_cbranch_execz .LBB105_464
; %bb.463:
	v_div_scale_f32 v120, null, v105, v105, v104
	v_div_scale_f32 v136, vcc_lo, v104, v105, v104
	s_delay_alu instid0(VALU_DEP_2) | instskip(SKIP_1) | instid1(TRANS32_DEP_1)
	v_rcp_f32_e32 v121, v120
	v_nop
	v_fma_f32 v135, -v120, v121, 1.0
	s_delay_alu instid0(VALU_DEP_1) | instskip(NEXT) | instid1(VALU_DEP_1)
	v_fmac_f32_e32 v121, v135, v121
	v_mul_f32_e32 v135, v136, v121
	s_delay_alu instid0(VALU_DEP_1) | instskip(NEXT) | instid1(VALU_DEP_1)
	v_fma_f32 v137, -v120, v135, v136
	v_fmac_f32_e32 v135, v137, v121
	s_delay_alu instid0(VALU_DEP_1) | instskip(NEXT) | instid1(VALU_DEP_1)
	v_fma_f32 v120, -v120, v135, v136
	v_div_fmas_f32 v120, v120, v121, v135
	s_delay_alu instid0(VALU_DEP_1) | instskip(NEXT) | instid1(VALU_DEP_1)
	v_div_fixup_f32 v120, v120, v105, v104
	v_fmac_f32_e32 v105, v104, v120
	s_delay_alu instid0(VALU_DEP_1) | instskip(SKIP_1) | instid1(VALU_DEP_2)
	v_div_scale_f32 v104, null, v105, v105, 1.0
	v_div_scale_f32 v136, vcc_lo, 1.0, v105, 1.0
	v_rcp_f32_e32 v121, v104
	v_nop
	s_delay_alu instid0(TRANS32_DEP_1) | instskip(NEXT) | instid1(VALU_DEP_1)
	v_fma_f32 v135, -v104, v121, 1.0
	v_fmac_f32_e32 v121, v135, v121
	s_delay_alu instid0(VALU_DEP_1) | instskip(NEXT) | instid1(VALU_DEP_1)
	v_mul_f32_e32 v135, v136, v121
	v_fma_f32 v137, -v104, v135, v136
	s_delay_alu instid0(VALU_DEP_1) | instskip(NEXT) | instid1(VALU_DEP_1)
	v_fmac_f32_e32 v135, v137, v121
	v_fma_f32 v104, -v104, v135, v136
	s_delay_alu instid0(VALU_DEP_1) | instskip(NEXT) | instid1(VALU_DEP_1)
	v_div_fmas_f32 v104, v104, v121, v135
	v_div_fixup_f32 v104, v104, v105, 1.0
	s_delay_alu instid0(VALU_DEP_1)
	v_mul_f32_e32 v120, v120, v104
	v_xor_b32_e32 v121, 0x80000000, v104
                                        ; implicit-def: $vgpr104_vgpr105
.LBB105_464:
	s_and_not1_saveexec_b32 s1, s1
	s_cbranch_execz .LBB105_466
; %bb.465:
	v_div_scale_f32 v120, null, v104, v104, v105
	v_div_scale_f32 v136, vcc_lo, v105, v104, v105
	s_delay_alu instid0(VALU_DEP_2) | instskip(SKIP_1) | instid1(TRANS32_DEP_1)
	v_rcp_f32_e32 v121, v120
	v_nop
	v_fma_f32 v135, -v120, v121, 1.0
	s_delay_alu instid0(VALU_DEP_1) | instskip(NEXT) | instid1(VALU_DEP_1)
	v_fmac_f32_e32 v121, v135, v121
	v_mul_f32_e32 v135, v136, v121
	s_delay_alu instid0(VALU_DEP_1) | instskip(NEXT) | instid1(VALU_DEP_1)
	v_fma_f32 v137, -v120, v135, v136
	v_fmac_f32_e32 v135, v137, v121
	s_delay_alu instid0(VALU_DEP_1) | instskip(NEXT) | instid1(VALU_DEP_1)
	v_fma_f32 v120, -v120, v135, v136
	v_div_fmas_f32 v120, v120, v121, v135
	s_delay_alu instid0(VALU_DEP_1) | instskip(NEXT) | instid1(VALU_DEP_1)
	v_div_fixup_f32 v121, v120, v104, v105
	v_fmac_f32_e32 v104, v105, v121
	s_delay_alu instid0(VALU_DEP_1) | instskip(NEXT) | instid1(VALU_DEP_1)
	v_div_scale_f32 v105, null, v104, v104, 1.0
	v_rcp_f32_e32 v120, v105
	v_nop
	s_delay_alu instid0(TRANS32_DEP_1) | instskip(NEXT) | instid1(VALU_DEP_1)
	v_fma_f32 v135, -v105, v120, 1.0
	v_fmac_f32_e32 v120, v135, v120
	v_div_scale_f32 v135, vcc_lo, 1.0, v104, 1.0
	s_delay_alu instid0(VALU_DEP_1) | instskip(NEXT) | instid1(VALU_DEP_1)
	v_mul_f32_e32 v136, v135, v120
	v_fma_f32 v137, -v105, v136, v135
	s_delay_alu instid0(VALU_DEP_1) | instskip(NEXT) | instid1(VALU_DEP_1)
	v_fmac_f32_e32 v136, v137, v120
	v_fma_f32 v105, -v105, v136, v135
	s_delay_alu instid0(VALU_DEP_1) | instskip(NEXT) | instid1(VALU_DEP_1)
	v_div_fmas_f32 v105, v105, v120, v136
	v_div_fixup_f32 v120, v105, v104, 1.0
	s_delay_alu instid0(VALU_DEP_1)
	v_mul_f32_e64 v121, v121, -v120
.LBB105_466:
	s_or_b32 exec_lo, exec_lo, s1
	ds_store_b64 v133, v[120:121]
.LBB105_467:
	s_or_b32 exec_lo, exec_lo, s2
	s_wait_dscnt 0x0
	s_barrier_signal -1
	s_barrier_wait -1
	ds_load_b64 v[120:121], v133
	s_mov_b32 s1, exec_lo
	v_cmpx_lt_u32_e32 51, v132
	s_cbranch_execz .LBB105_469
; %bb.468:
	ds_load_b64 v[104:105], v134 offset:416
	s_wait_dscnt 0x1
	v_pk_mul_f32 v[134:135], v[120:121], v[210:211] op_sel:[1,1] op_sel_hi:[0,1]
	s_delay_alu instid0(VALU_DEP_1) | instskip(SKIP_2) | instid1(VALU_DEP_2)
	v_pk_fma_f32 v[136:137], v[120:121], v[210:211], v[134:135] op_sel_hi:[1,0,1]
	v_pk_fma_f32 v[210:211], v[120:121], v[210:211], v[134:135] op_sel_hi:[1,0,1] neg_lo:[0,0,1] neg_hi:[0,0,1]
	s_wait_dscnt 0x0
	v_pk_mul_f32 v[134:135], v[104:105], v[136:137] op_sel:[1,1] op_sel_hi:[0,1]
	s_delay_alu instid0(VALU_DEP_1) | instskip(SKIP_1) | instid1(VALU_DEP_2)
	v_pk_fma_f32 v[138:139], v[104:105], v[210:211], v[134:135] op_sel_hi:[1,0,1]
	v_pk_fma_f32 v[104:105], v[104:105], v[210:211], v[134:135] neg_lo:[0,0,1] neg_hi:[0,0,1]
	v_dual_mov_b32 v211, v137 :: v_dual_mov_b32 v105, v139
	s_delay_alu instid0(VALU_DEP_1)
	v_pk_add_f32 v[212:213], v[212:213], v[104:105] neg_lo:[0,1] neg_hi:[0,1]
.LBB105_469:
	s_or_b32 exec_lo, exec_lo, s1
	s_delay_alu instid0(SALU_CYCLE_1)
	s_mov_b32 s2, exec_lo
	s_wait_dscnt 0x0
	s_barrier_signal -1
	s_barrier_wait -1
	v_cmpx_eq_u32_e32 52, v132
	s_cbranch_execz .LBB105_476
; %bb.470:
	v_cmp_neq_f32_e32 vcc_lo, 0, v212
	v_cmp_neq_f32_e64 s1, 0, v213
	ds_store_b64 v133, v[212:213]
	s_or_b32 s1, vcc_lo, s1
	s_delay_alu instid0(SALU_CYCLE_1)
	s_and_b32 exec_lo, exec_lo, s1
	s_cbranch_execz .LBB105_476
; %bb.471:
	v_cmp_ngt_f32_e64 s1, |v212|, |v213|
                                        ; implicit-def: $vgpr104_vgpr105
	s_and_saveexec_b32 s4, s1
	s_delay_alu instid0(SALU_CYCLE_1)
	s_xor_b32 s1, exec_lo, s4
	s_cbranch_execz .LBB105_473
; %bb.472:
	v_div_scale_f32 v104, null, v213, v213, v212
	v_div_scale_f32 v135, vcc_lo, v212, v213, v212
	s_delay_alu instid0(VALU_DEP_2) | instskip(SKIP_1) | instid1(TRANS32_DEP_1)
	v_rcp_f32_e32 v105, v104
	v_nop
	v_fma_f32 v134, -v104, v105, 1.0
	s_delay_alu instid0(VALU_DEP_1) | instskip(NEXT) | instid1(VALU_DEP_1)
	v_fmac_f32_e32 v105, v134, v105
	v_mul_f32_e32 v134, v135, v105
	s_delay_alu instid0(VALU_DEP_1) | instskip(NEXT) | instid1(VALU_DEP_1)
	v_fma_f32 v136, -v104, v134, v135
	v_fmac_f32_e32 v134, v136, v105
	s_delay_alu instid0(VALU_DEP_1) | instskip(NEXT) | instid1(VALU_DEP_1)
	v_fma_f32 v104, -v104, v134, v135
	v_div_fmas_f32 v104, v104, v105, v134
	s_delay_alu instid0(VALU_DEP_1) | instskip(NEXT) | instid1(VALU_DEP_1)
	v_div_fixup_f32 v104, v104, v213, v212
	v_fma_f32 v105, v212, v104, v213
	s_delay_alu instid0(VALU_DEP_1) | instskip(SKIP_1) | instid1(VALU_DEP_2)
	v_div_scale_f32 v134, null, v105, v105, 1.0
	v_div_scale_f32 v137, vcc_lo, 1.0, v105, 1.0
	v_rcp_f32_e32 v135, v134
	v_nop
	s_delay_alu instid0(TRANS32_DEP_1) | instskip(NEXT) | instid1(VALU_DEP_1)
	v_fma_f32 v136, -v134, v135, 1.0
	v_fmac_f32_e32 v135, v136, v135
	s_delay_alu instid0(VALU_DEP_1) | instskip(NEXT) | instid1(VALU_DEP_1)
	v_mul_f32_e32 v136, v137, v135
	v_fma_f32 v138, -v134, v136, v137
	s_delay_alu instid0(VALU_DEP_1) | instskip(NEXT) | instid1(VALU_DEP_1)
	v_fmac_f32_e32 v136, v138, v135
	v_fma_f32 v134, -v134, v136, v137
	s_delay_alu instid0(VALU_DEP_1) | instskip(NEXT) | instid1(VALU_DEP_1)
	v_div_fmas_f32 v134, v134, v135, v136
	v_div_fixup_f32 v105, v134, v105, 1.0
	s_delay_alu instid0(VALU_DEP_1)
	v_mul_f32_e32 v104, v104, v105
	v_xor_b32_e32 v105, 0x80000000, v105
.LBB105_473:
	s_and_not1_saveexec_b32 s1, s1
	s_cbranch_execz .LBB105_475
; %bb.474:
	v_div_scale_f32 v104, null, v212, v212, v213
	v_div_scale_f32 v135, vcc_lo, v213, v212, v213
	s_delay_alu instid0(VALU_DEP_2) | instskip(SKIP_1) | instid1(TRANS32_DEP_1)
	v_rcp_f32_e32 v105, v104
	v_nop
	v_fma_f32 v134, -v104, v105, 1.0
	s_delay_alu instid0(VALU_DEP_1) | instskip(NEXT) | instid1(VALU_DEP_1)
	v_fmac_f32_e32 v105, v134, v105
	v_mul_f32_e32 v134, v135, v105
	s_delay_alu instid0(VALU_DEP_1) | instskip(NEXT) | instid1(VALU_DEP_1)
	v_fma_f32 v136, -v104, v134, v135
	v_fmac_f32_e32 v134, v136, v105
	s_delay_alu instid0(VALU_DEP_1) | instskip(NEXT) | instid1(VALU_DEP_1)
	v_fma_f32 v104, -v104, v134, v135
	v_div_fmas_f32 v104, v104, v105, v134
	s_delay_alu instid0(VALU_DEP_1) | instskip(NEXT) | instid1(VALU_DEP_1)
	v_div_fixup_f32 v105, v104, v212, v213
	v_fma_f32 v104, v213, v105, v212
	s_delay_alu instid0(VALU_DEP_1) | instskip(NEXT) | instid1(VALU_DEP_1)
	v_div_scale_f32 v134, null, v104, v104, 1.0
	v_rcp_f32_e32 v135, v134
	v_nop
	s_delay_alu instid0(TRANS32_DEP_1) | instskip(NEXT) | instid1(VALU_DEP_1)
	v_fma_f32 v136, -v134, v135, 1.0
	v_fmac_f32_e32 v135, v136, v135
	v_div_scale_f32 v136, vcc_lo, 1.0, v104, 1.0
	s_delay_alu instid0(VALU_DEP_1) | instskip(NEXT) | instid1(VALU_DEP_1)
	v_mul_f32_e32 v137, v136, v135
	v_fma_f32 v138, -v134, v137, v136
	s_delay_alu instid0(VALU_DEP_1) | instskip(NEXT) | instid1(VALU_DEP_1)
	v_fmac_f32_e32 v137, v138, v135
	v_fma_f32 v134, -v134, v137, v136
	s_delay_alu instid0(VALU_DEP_1) | instskip(NEXT) | instid1(VALU_DEP_1)
	v_div_fmas_f32 v134, v134, v135, v137
	v_div_fixup_f32 v104, v134, v104, 1.0
	s_delay_alu instid0(VALU_DEP_1)
	v_mul_f32_e64 v105, v105, -v104
.LBB105_475:
	s_or_b32 exec_lo, exec_lo, s1
	ds_store_b64 v133, v[104:105]
.LBB105_476:
	s_or_b32 exec_lo, exec_lo, s2
	s_wait_dscnt 0x0
	s_barrier_signal -1
	s_barrier_wait -1
	ds_load_b64 v[104:105], v133
	s_wait_dscnt 0x0
	s_barrier_signal -1
	s_barrier_wait -1
	s_and_saveexec_b32 s2, s0
	s_cbranch_execz .LBB105_479
; %bb.477:
	scratch_load_b64 v[0:1], off, off offset:128 th:TH_LOAD_LU ; 8-byte Folded Reload
	s_wait_loadcnt 0x0
	v_cmp_eq_f32_e32 vcc_lo, 0, v0
	v_cmp_eq_f32_e64 s0, 0, v1
	scratch_load_b64 v[0:1], off, off offset:136 th:TH_LOAD_LU ; 8-byte Folded Reload
	s_and_b32 s1, vcc_lo, s0
	s_delay_alu instid0(SALU_CYCLE_1)
	v_cndmask_b32_e64 v133, 0, 1, s1
	s_wait_loadcnt 0x0
	v_cmp_neq_f32_e32 vcc_lo, 0, v0
	v_cmp_neq_f32_e64 s0, 0, v1
	scratch_load_b64 v[0:1], off, off offset:144 th:TH_LOAD_LU ; 8-byte Folded Reload
	s_or_b32 s0, vcc_lo, s0
	s_delay_alu instid0(SALU_CYCLE_1)
	s_or_b32 vcc_lo, s0, s1
	v_cmp_eq_f32_e64 s1, 0, v105
	v_cndmask_b32_e32 v133, 2, v133, vcc_lo
	s_wait_loadcnt 0x0
	v_cmp_eq_f32_e32 vcc_lo, 0, v0
	v_cmp_eq_f32_e64 s0, 0, v1
	scratch_load_b64 v[0:1], off, off offset:152 th:TH_LOAD_LU ; 8-byte Folded Reload
	s_and_b32 s0, vcc_lo, s0
	v_cmp_eq_u32_e32 vcc_lo, 0, v133
	s_and_b32 s0, s0, vcc_lo
	s_delay_alu instid0(SALU_CYCLE_1)
	v_cndmask_b32_e64 v133, v133, 3, s0
	s_wait_loadcnt 0x0
	v_cmp_eq_f32_e32 vcc_lo, 0, v0
	v_cmp_eq_f32_e64 s0, 0, v1
	scratch_load_b64 v[0:1], off, off offset:160 th:TH_LOAD_LU ; 8-byte Folded Reload
	s_and_b32 s0, vcc_lo, s0
	v_cmp_eq_u32_e32 vcc_lo, 0, v133
	s_and_b32 s0, s0, vcc_lo
	s_delay_alu instid0(SALU_CYCLE_1)
	v_cndmask_b32_e64 v133, v133, 4, s0
	;; [unrolled: 9-line block ×19, first 2 shown]
	s_wait_loadcnt 0x0
	v_cmp_eq_f32_e32 vcc_lo, 0, v0
	v_cmp_eq_f32_e64 s0, 0, v1
	s_and_b32 s0, vcc_lo, s0
	v_cmp_eq_u32_e32 vcc_lo, 0, v133
	s_and_b32 s0, s0, vcc_lo
	v_cmp_eq_f32_e32 vcc_lo, 0, v2
	v_cndmask_b32_e64 v0, v133, 22, s0
	v_cmp_eq_f32_e64 s0, 0, v3
	s_and_b32 s0, vcc_lo, s0
	v_cmp_eq_u32_e32 vcc_lo, 0, v0
	s_and_b32 s0, s0, vcc_lo
	v_cmp_eq_f32_e32 vcc_lo, 0, v4
	v_cndmask_b32_e64 v0, v0, 23, s0
	;; [unrolled: 6-line block ×30, first 2 shown]
	v_cmp_eq_f32_e64 s0, 0, v121
	s_and_b32 s0, vcc_lo, s0
	v_cmp_eq_u32_e32 vcc_lo, 0, v0
	s_and_b32 s0, s0, vcc_lo
	s_delay_alu instid0(SALU_CYCLE_1) | instskip(SKIP_1) | instid1(VALU_DEP_2)
	v_cndmask_b32_e64 v0, v0, 52, s0
	v_cmp_eq_f32_e64 s0, 0, v104
	v_cmp_eq_u32_e32 vcc_lo, 0, v0
	s_and_b32 s0, s0, s1
	s_delay_alu instid0(SALU_CYCLE_1) | instskip(NEXT) | instid1(SALU_CYCLE_1)
	s_and_b32 s0, s0, vcc_lo
	v_cndmask_b32_e64 v2, v0, 53, s0
	v_lshl_add_u64 v[0:1], v[122:123], 2, s[6:7]
	s_delay_alu instid0(VALU_DEP_2) | instskip(SKIP_4) | instid1(SALU_CYCLE_1)
	v_cmp_ne_u32_e64 s0, 0, v2
	global_load_b32 v3, v[0:1], off
	s_wait_loadcnt 0x0
	v_cmp_eq_u32_e32 vcc_lo, 0, v3
	s_and_b32 s0, vcc_lo, s0
	s_and_b32 exec_lo, exec_lo, s0
	s_cbranch_execz .LBB105_479
; %bb.478:
	v_add_nc_u32_e32 v2, s3, v2
	global_store_b32 v[0:1], v2, off
.LBB105_479:
	s_wait_xcnt 0x0
	s_or_b32 exec_lo, exec_lo, s2
	v_pk_mul_f32 v[0:1], v[104:105], v[212:213] op_sel:[1,1] op_sel_hi:[0,1]
	v_cmp_lt_u32_e32 vcc_lo, 52, v132
	s_clause 0x24
	global_store_b64 v[16:17], v[54:55], off
	global_store_b64 v[188:189], v[56:57], off
	;; [unrolled: 1-line block ×37, first 2 shown]
	v_pk_fma_f32 v[2:3], v[104:105], v[212:213], v[0:1] op_sel_hi:[1,0,1]
	v_pk_fma_f32 v[0:1], v[104:105], v[212:213], v[0:1] neg_lo:[0,0,1] neg_hi:[0,0,1]
	s_delay_alu instid0(VALU_DEP_1)
	v_dual_cndmask_b32 v1, v213, v3 :: v_dual_cndmask_b32 v0, v212, v0
	scratch_load_b64 v[2:3], off, off th:TH_LOAD_LU ; 8-byte Folded Reload
	s_wait_loadcnt 0x0
	global_store_b64 v[2:3], v[158:159], off
	scratch_load_b64 v[2:3], off, off offset:8 th:TH_LOAD_LU ; 8-byte Folded Reload
	s_wait_loadcnt 0x0
	global_store_b64 v[2:3], v[160:161], off
	scratch_load_b64 v[2:3], off, off offset:16 th:TH_LOAD_LU ; 8-byte Folded Reload
	;; [unrolled: 3-line block ×15, first 2 shown]
	s_wait_loadcnt 0x0
	global_store_b64 v[2:3], v[0:1], off
.LBB105_480:
	s_sendmsg sendmsg(MSG_DEALLOC_VGPRS)
	s_endpgm
	.section	.rodata,"a",@progbits
	.p2align	6, 0x0
	.amdhsa_kernel _ZN9rocsolver6v33100L23getf2_npvt_small_kernelILi53E19rocblas_complex_numIfEiiPS3_EEvT1_T3_lS5_lPT2_S5_S5_
		.amdhsa_group_segment_fixed_size 0
		.amdhsa_private_segment_fixed_size 308
		.amdhsa_kernarg_size 312
		.amdhsa_user_sgpr_count 2
		.amdhsa_user_sgpr_dispatch_ptr 0
		.amdhsa_user_sgpr_queue_ptr 0
		.amdhsa_user_sgpr_kernarg_segment_ptr 1
		.amdhsa_user_sgpr_dispatch_id 0
		.amdhsa_user_sgpr_kernarg_preload_length 0
		.amdhsa_user_sgpr_kernarg_preload_offset 0
		.amdhsa_user_sgpr_private_segment_size 0
		.amdhsa_wavefront_size32 1
		.amdhsa_uses_dynamic_stack 0
		.amdhsa_enable_private_segment 1
		.amdhsa_system_sgpr_workgroup_id_x 1
		.amdhsa_system_sgpr_workgroup_id_y 1
		.amdhsa_system_sgpr_workgroup_id_z 0
		.amdhsa_system_sgpr_workgroup_info 0
		.amdhsa_system_vgpr_workitem_id 1
		.amdhsa_next_free_vgpr 256
		.amdhsa_next_free_sgpr 15
		.amdhsa_named_barrier_count 0
		.amdhsa_reserve_vcc 1
		.amdhsa_float_round_mode_32 0
		.amdhsa_float_round_mode_16_64 0
		.amdhsa_float_denorm_mode_32 3
		.amdhsa_float_denorm_mode_16_64 3
		.amdhsa_fp16_overflow 0
		.amdhsa_memory_ordered 1
		.amdhsa_forward_progress 1
		.amdhsa_inst_pref_size 255
		.amdhsa_round_robin_scheduling 0
		.amdhsa_exception_fp_ieee_invalid_op 0
		.amdhsa_exception_fp_denorm_src 0
		.amdhsa_exception_fp_ieee_div_zero 0
		.amdhsa_exception_fp_ieee_overflow 0
		.amdhsa_exception_fp_ieee_underflow 0
		.amdhsa_exception_fp_ieee_inexact 0
		.amdhsa_exception_int_div_zero 0
	.end_amdhsa_kernel
	.section	.text._ZN9rocsolver6v33100L23getf2_npvt_small_kernelILi53E19rocblas_complex_numIfEiiPS3_EEvT1_T3_lS5_lPT2_S5_S5_,"axG",@progbits,_ZN9rocsolver6v33100L23getf2_npvt_small_kernelILi53E19rocblas_complex_numIfEiiPS3_EEvT1_T3_lS5_lPT2_S5_S5_,comdat
.Lfunc_end105:
	.size	_ZN9rocsolver6v33100L23getf2_npvt_small_kernelILi53E19rocblas_complex_numIfEiiPS3_EEvT1_T3_lS5_lPT2_S5_S5_, .Lfunc_end105-_ZN9rocsolver6v33100L23getf2_npvt_small_kernelILi53E19rocblas_complex_numIfEiiPS3_EEvT1_T3_lS5_lPT2_S5_S5_
                                        ; -- End function
	.set _ZN9rocsolver6v33100L23getf2_npvt_small_kernelILi53E19rocblas_complex_numIfEiiPS3_EEvT1_T3_lS5_lPT2_S5_S5_.num_vgpr, 256
	.set _ZN9rocsolver6v33100L23getf2_npvt_small_kernelILi53E19rocblas_complex_numIfEiiPS3_EEvT1_T3_lS5_lPT2_S5_S5_.num_agpr, 0
	.set _ZN9rocsolver6v33100L23getf2_npvt_small_kernelILi53E19rocblas_complex_numIfEiiPS3_EEvT1_T3_lS5_lPT2_S5_S5_.numbered_sgpr, 15
	.set _ZN9rocsolver6v33100L23getf2_npvt_small_kernelILi53E19rocblas_complex_numIfEiiPS3_EEvT1_T3_lS5_lPT2_S5_S5_.num_named_barrier, 0
	.set _ZN9rocsolver6v33100L23getf2_npvt_small_kernelILi53E19rocblas_complex_numIfEiiPS3_EEvT1_T3_lS5_lPT2_S5_S5_.private_seg_size, 308
	.set _ZN9rocsolver6v33100L23getf2_npvt_small_kernelILi53E19rocblas_complex_numIfEiiPS3_EEvT1_T3_lS5_lPT2_S5_S5_.uses_vcc, 1
	.set _ZN9rocsolver6v33100L23getf2_npvt_small_kernelILi53E19rocblas_complex_numIfEiiPS3_EEvT1_T3_lS5_lPT2_S5_S5_.uses_flat_scratch, 1
	.set _ZN9rocsolver6v33100L23getf2_npvt_small_kernelILi53E19rocblas_complex_numIfEiiPS3_EEvT1_T3_lS5_lPT2_S5_S5_.has_dyn_sized_stack, 0
	.set _ZN9rocsolver6v33100L23getf2_npvt_small_kernelILi53E19rocblas_complex_numIfEiiPS3_EEvT1_T3_lS5_lPT2_S5_S5_.has_recursion, 0
	.set _ZN9rocsolver6v33100L23getf2_npvt_small_kernelILi53E19rocblas_complex_numIfEiiPS3_EEvT1_T3_lS5_lPT2_S5_S5_.has_indirect_call, 0
	.section	.AMDGPU.csdata,"",@progbits
; Kernel info:
; codeLenInByte = 118368
; TotalNumSgprs: 17
; NumVgprs: 256
; ScratchSize: 308
; MemoryBound: 0
; FloatMode: 240
; IeeeMode: 1
; LDSByteSize: 0 bytes/workgroup (compile time only)
; SGPRBlocks: 0
; VGPRBlocks: 15
; NumSGPRsForWavesPerEU: 17
; NumVGPRsForWavesPerEU: 256
; NamedBarCnt: 0
; Occupancy: 4
; WaveLimiterHint : 0
; COMPUTE_PGM_RSRC2:SCRATCH_EN: 1
; COMPUTE_PGM_RSRC2:USER_SGPR: 2
; COMPUTE_PGM_RSRC2:TRAP_HANDLER: 0
; COMPUTE_PGM_RSRC2:TGID_X_EN: 1
; COMPUTE_PGM_RSRC2:TGID_Y_EN: 1
; COMPUTE_PGM_RSRC2:TGID_Z_EN: 0
; COMPUTE_PGM_RSRC2:TIDIG_COMP_CNT: 1
	.section	.text._ZN9rocsolver6v33100L18getf2_small_kernelILi54E19rocblas_complex_numIfEiiPS3_EEvT1_T3_lS5_lPS5_llPT2_S5_S5_S7_l,"axG",@progbits,_ZN9rocsolver6v33100L18getf2_small_kernelILi54E19rocblas_complex_numIfEiiPS3_EEvT1_T3_lS5_lPS5_llPT2_S5_S5_S7_l,comdat
	.globl	_ZN9rocsolver6v33100L18getf2_small_kernelILi54E19rocblas_complex_numIfEiiPS3_EEvT1_T3_lS5_lPS5_llPT2_S5_S5_S7_l ; -- Begin function _ZN9rocsolver6v33100L18getf2_small_kernelILi54E19rocblas_complex_numIfEiiPS3_EEvT1_T3_lS5_lPS5_llPT2_S5_S5_S7_l
	.p2align	8
	.type	_ZN9rocsolver6v33100L18getf2_small_kernelILi54E19rocblas_complex_numIfEiiPS3_EEvT1_T3_lS5_lPS5_llPT2_S5_S5_S7_l,@function
_ZN9rocsolver6v33100L18getf2_small_kernelILi54E19rocblas_complex_numIfEiiPS3_EEvT1_T3_lS5_lPS5_llPT2_S5_S5_S7_l: ; @_ZN9rocsolver6v33100L18getf2_small_kernelILi54E19rocblas_complex_numIfEiiPS3_EEvT1_T3_lS5_lPS5_llPT2_S5_S5_S7_l
; %bb.0:
	s_clause 0x1
	s_load_u16 s2, s[0:1], 0x6e
	s_load_b64 s[16:17], s[0:1], 0x48
	s_bfe_u32 s3, ttmp6, 0x40010
	s_bfe_u32 s4, ttmp6, 0x40004
	s_add_co_i32 s3, s3, 1
	s_getreg_b32 s5, hwreg(HW_REG_IB_STS2, 6, 4)
	s_mul_i32 s3, ttmp7, s3
	v_bfe_u32 v116, v0, 10, 10
	s_add_co_i32 s4, s4, s3
	s_cmp_eq_u32 s5, 0
	s_cselect_b32 s3, ttmp7, s4
	s_wait_kmcnt 0x0
	v_mad_u32 v2, s3, s2, v116
	s_mov_b32 s2, exec_lo
	s_delay_alu instid0(VALU_DEP_1)
	v_cmpx_gt_i32_e64 s16, v2
	s_cbranch_execnz .LBB106_1
; %bb.1136:
	s_add_pc_i64 .LBB106_1135-.Lpost_addpc1
.Lpost_addpc1:
.LBB106_1:
	s_load_b128 s[4:7], s[0:1], 0x50
	v_mov_b64_e32 v[4:5], 0
	v_ashrrev_i32_e32 v3, 31, v2
	s_wait_kmcnt 0x0
	s_cmp_eq_u64 s[4:5], 0
	s_cselect_b32 s16, -1, 0
	s_delay_alu instid0(SALU_CYCLE_1)
	s_and_b32 vcc_lo, exec_lo, s16
	s_cbranch_vccnz .LBB106_3
; %bb.2:
	v_mul_u64_e32 v[4:5], s[6:7], v[2:3]
	s_delay_alu instid0(VALU_DEP_1)
	v_lshl_add_u64 v[4:5], v[4:5], 2, s[4:5]
.LBB106_3:
	s_clause 0x2
	s_load_b32 s2, s[0:1], 0x18
	s_load_b128 s[12:15], s[0:1], 0x8
	s_load_b32 s18, s[0:1], 0x0
	v_and_b32_e32 v121, 0x3ff, v0
	s_load_b256 s[4:11], s[0:1], 0x20
	s_delay_alu instid0(VALU_DEP_1) | instskip(SKIP_4) | instid1(VALU_DEP_2)
	v_dual_mov_b32 v115, 0 :: v_dual_lshlrev_b32 v114, 3, v121
	s_wait_kmcnt 0x0
	v_add3_u32 v6, s2, s2, v121
	s_ashr_i32 s3, s2, 31
	v_mul_u64_e32 v[0:1], s[4:5], v[2:3]
	v_add_nc_u32_e32 v8, s2, v6
	s_max_i32 s4, s18, 54
	s_cmp_lt_i32 s18, 2
	s_delay_alu instid0(VALU_DEP_1) | instskip(NEXT) | instid1(VALU_DEP_1)
	v_dual_ashrrev_i32 v7, 31, v6 :: v_dual_add_nc_u32 v10, s2, v8
	v_add_nc_u32_e32 v12, s2, v10
	s_delay_alu instid0(VALU_DEP_1) | instskip(NEXT) | instid1(VALU_DEP_1)
	v_add_nc_u32_e32 v14, s2, v12
	v_dual_ashrrev_i32 v9, 31, v8 :: v_dual_add_nc_u32 v16, s2, v14
	s_delay_alu instid0(VALU_DEP_1) | instskip(SKIP_1) | instid1(VALU_DEP_2)
	v_dual_add_nc_u32 v18, s2, v16 :: v_dual_ashrrev_i32 v11, 31, v10
	v_ashrrev_i32_e32 v13, 31, v12
	v_dual_ashrrev_i32 v17, 31, v16 :: v_dual_add_nc_u32 v20, s2, v18
	v_lshl_add_u64 v[0:1], v[0:1], 3, s[12:13]
	s_delay_alu instid0(VALU_DEP_2) | instskip(NEXT) | instid1(VALU_DEP_2)
	v_add_nc_u32_e32 v22, s2, v20
	v_lshl_add_u64 v[0:1], s[14:15], 3, v[0:1]
	s_delay_alu instid0(VALU_DEP_2) | instskip(NEXT) | instid1(VALU_DEP_2)
	v_add_nc_u32_e32 v24, s2, v22
	v_lshl_add_u64 v[10:11], v[10:11], 3, v[0:1]
	v_add_nc_u64_e32 v[50:51], v[0:1], v[114:115]
	v_lshl_add_u64 v[12:13], v[12:13], 3, v[0:1]
	v_lshl_add_u64 v[6:7], v[6:7], 3, v[0:1]
	v_dual_add_nc_u32 v26, s2, v24 :: v_dual_ashrrev_i32 v19, 31, v18
	v_ashrrev_i32_e32 v21, 31, v20
	v_lshl_add_u64 v[8:9], v[8:9], 3, v[0:1]
	v_lshl_add_u64 v[16:17], v[16:17], 3, v[0:1]
	s_delay_alu instid0(VALU_DEP_4) | instskip(SKIP_3) | instid1(VALU_DEP_4)
	v_add_nc_u32_e32 v28, s2, v26
	v_lshl_add_u64 v[18:19], v[18:19], 3, v[0:1]
	v_lshl_add_u64 v[20:21], v[20:21], 3, v[0:1]
	v_ashrrev_i32_e32 v23, 31, v22
	v_dual_ashrrev_i32 v27, 31, v26 :: v_dual_add_nc_u32 v30, s2, v28
	v_ashrrev_i32_e32 v25, 31, v24
	s_delay_alu instid0(VALU_DEP_2) | instskip(NEXT) | instid1(VALU_DEP_1)
	v_dual_ashrrev_i32 v29, 31, v28 :: v_dual_add_nc_u32 v32, s2, v30
	v_dual_ashrrev_i32 v31, 31, v30 :: v_dual_ashrrev_i32 v33, 31, v32
	v_add_nc_u32_e32 v34, s2, v32
	s_delay_alu instid0(VALU_DEP_1) | instskip(NEXT) | instid1(VALU_DEP_1)
	v_add_nc_u32_e32 v36, s2, v34
	v_dual_add_nc_u32 v38, s2, v36 :: v_dual_ashrrev_i32 v37, 31, v36
	s_delay_alu instid0(VALU_DEP_1) | instskip(NEXT) | instid1(VALU_DEP_1)
	v_add_nc_u32_e32 v40, s2, v38
	v_dual_ashrrev_i32 v15, 31, v14 :: v_dual_add_nc_u32 v46, s2, v40
	s_delay_alu instid0(VALU_DEP_1)
	v_lshl_add_u64 v[14:15], v[14:15], 3, v[0:1]
	s_clause 0x3
	global_load_b64 v[92:93], v[10:11], off
	global_load_b64 v[44:45], v[12:13], off
	;; [unrolled: 1-line block ×4, first 2 shown]
	v_add_nc_u32_e32 v52, s2, v46
	s_wait_xcnt 0x3
	v_lshl_add_u64 v[10:11], s[2:3], 3, v[50:51]
	s_clause 0x3
	global_load_b64 v[106:107], v[6:7], off
	global_load_b64 v[104:105], v[8:9], off
	;; [unrolled: 1-line block ×4, first 2 shown]
	s_wait_xcnt 0x6
	v_lshl_add_u64 v[12:13], v[22:23], 3, v[0:1]
	v_add_nc_u32_e32 v54, s2, v52
	s_wait_xcnt 0x3
	v_lshl_add_u64 v[6:7], v[24:25], 3, v[0:1]
	s_clause 0x3
	global_load_b64 v[102:103], v[18:19], off
	global_load_b64 v[78:79], v[20:21], off
	;; [unrolled: 1-line block ×4, first 2 shown]
	s_wait_xcnt 0x4
	v_lshl_add_u64 v[10:11], v[26:27], 3, v[0:1]
	v_add_nc_u32_e32 v56, s2, v54
	v_lshl_add_u64 v[16:17], v[28:29], 3, v[0:1]
	s_wait_xcnt 0x3
	v_lshl_add_u64 v[18:19], v[30:31], 3, v[0:1]
	s_wait_xcnt 0x2
	v_lshl_add_u64 v[20:21], v[32:33], 3, v[0:1]
	s_clause 0x3
	global_load_b64 v[100:101], v[10:11], off
	global_load_b64 v[72:73], v[16:17], off
	;; [unrolled: 1-line block ×4, first 2 shown]
	v_add_nc_u32_e32 v14, s2, v56
	s_wait_xcnt 0x0
	v_lshl_add_u64 v[20:21], v[36:37], 3, v[0:1]
	v_ashrrev_i32_e32 v41, 31, v40
	s_delay_alu instid0(VALU_DEP_3) | instskip(SKIP_1) | instid1(VALU_DEP_3)
	v_dual_ashrrev_i32 v53, 31, v52 :: v_dual_add_nc_u32 v8, s2, v14
	v_ashrrev_i32_e32 v15, 31, v14
	v_lshl_add_u64 v[26:27], v[40:41], 3, v[0:1]
	s_delay_alu instid0(VALU_DEP_3) | instskip(SKIP_3) | instid1(VALU_DEP_4)
	v_dual_add_nc_u32 v6, s2, v8 :: v_dual_ashrrev_i32 v47, 31, v46
	v_ashrrev_i32_e32 v57, 31, v56
	v_ashrrev_i32_e32 v9, 31, v8
	v_lshl_add_u64 v[14:15], v[14:15], 3, v[0:1]
	v_add_nc_u32_e32 v12, s2, v6
	v_ashrrev_i32_e32 v35, 31, v34
	v_lshl_add_u64 v[32:33], v[56:57], 3, v[0:1]
	v_lshl_add_u64 v[8:9], v[8:9], 3, v[0:1]
	s_delay_alu instid0(VALU_DEP_4) | instskip(NEXT) | instid1(VALU_DEP_4)
	v_add_nc_u32_e32 v22, s2, v12
	v_lshl_add_u64 v[16:17], v[34:35], 3, v[0:1]
	s_delay_alu instid0(VALU_DEP_2) | instskip(NEXT) | instid1(VALU_DEP_1)
	v_dual_ashrrev_i32 v13, 31, v12 :: v_dual_add_nc_u32 v10, s2, v22
	v_lshl_add_u64 v[12:13], v[12:13], 3, v[0:1]
	s_delay_alu instid0(VALU_DEP_2) | instskip(NEXT) | instid1(VALU_DEP_1)
	v_add_nc_u32_e32 v18, s2, v10
	v_add_nc_u32_e32 v28, s2, v18
	v_ashrrev_i32_e32 v39, 31, v38
	s_delay_alu instid0(VALU_DEP_1)
	v_lshl_add_u64 v[24:25], v[38:39], 3, v[0:1]
	s_clause 0x3
	global_load_b64 v[98:99], v[16:17], off
	global_load_b64 v[64:65], v[20:21], off
	;; [unrolled: 1-line block ×4, first 2 shown]
	s_wait_xcnt 0x3
	v_add_nc_u32_e32 v16, s2, v28
	s_wait_xcnt 0x2
	v_lshl_add_u64 v[20:21], v[46:47], 3, v[0:1]
	s_wait_xcnt 0x0
	v_lshl_add_u64 v[26:27], v[52:53], 3, v[0:1]
	v_dual_add_nc_u32 v24, s2, v16 :: v_dual_ashrrev_i32 v55, 31, v54
	v_dual_ashrrev_i32 v23, 31, v22 :: v_dual_ashrrev_i32 v29, 31, v28
	s_delay_alu instid0(VALU_DEP_2) | instskip(SKIP_1) | instid1(VALU_DEP_4)
	v_dual_ashrrev_i32 v19, 31, v18 :: v_dual_ashrrev_i32 v25, 31, v24
	v_add_nc_u32_e32 v34, s2, v24
	v_lshl_add_u64 v[30:31], v[54:55], 3, v[0:1]
	s_clause 0x3
	global_load_b64 v[96:97], v[20:21], off
	global_load_b64 v[58:59], v[26:27], off
	;; [unrolled: 1-line block ×4, first 2 shown]
	s_wait_xcnt 0x3
	v_add_nc_u32_e32 v20, s2, v34
	v_dual_ashrrev_i32 v7, 31, v6 :: v_dual_ashrrev_i32 v17, 31, v16
	s_wait_xcnt 0x2
	s_delay_alu instid0(VALU_DEP_2) | instskip(NEXT) | instid1(VALU_DEP_2)
	v_add_nc_u32_e32 v26, s2, v20
	v_lshl_add_u64 v[6:7], v[6:7], 3, v[0:1]
	s_clause 0x3
	global_load_b64 v[94:95], v[14:15], off
	global_load_b64 v[52:53], v[8:9], off
	;; [unrolled: 1-line block ×4, first 2 shown]
	v_add_nc_u32_e32 v46, s2, v26
	s_wait_xcnt 0x3
	v_lshl_add_u64 v[14:15], v[18:19], 3, v[0:1]
	v_lshl_add_u64 v[18:19], v[28:29], 3, v[0:1]
	s_wait_xcnt 0x2
	v_lshl_add_u64 v[8:9], v[22:23], 3, v[0:1]
	s_wait_xcnt 0x1
	v_dual_ashrrev_i32 v21, 31, v20 :: v_dual_add_nc_u32 v6, s2, v46
	v_ashrrev_i32_e32 v47, 31, v46
	s_delay_alu instid0(VALU_DEP_2) | instskip(SKIP_1) | instid1(VALU_DEP_3)
	v_lshl_add_u64 v[20:21], v[20:21], 3, v[0:1]
	s_wait_xcnt 0x0
	v_add_nc_u32_e32 v12, s2, v6
	s_delay_alu instid0(VALU_DEP_1) | instskip(SKIP_2) | instid1(VALU_DEP_3)
	v_dual_ashrrev_i32 v27, 31, v26 :: v_dual_ashrrev_i32 v13, 31, v12
	v_dual_add_nc_u32 v28, s2, v12 :: v_dual_ashrrev_i32 v11, 31, v10
	v_ashrrev_i32_e32 v7, 31, v6
	v_lshl_add_u64 v[12:13], v[12:13], 3, v[0:1]
	s_delay_alu instid0(VALU_DEP_3) | instskip(NEXT) | instid1(VALU_DEP_4)
	v_ashrrev_i32_e32 v29, 31, v28
	v_lshl_add_u64 v[10:11], v[10:11], 3, v[0:1]
	s_clause 0x3
	global_load_b64 v[90:91], v[8:9], off
	global_load_b64 v[38:39], v[10:11], off
	;; [unrolled: 1-line block ×4, first 2 shown]
	s_wait_xcnt 0x3
	v_dual_add_nc_u32 v8, s2, v28 :: v_dual_ashrrev_i32 v35, 31, v34
	s_wait_xcnt 0x2
	v_lshl_add_u64 v[10:11], v[16:17], 3, v[0:1]
	v_lshl_add_u64 v[16:17], v[24:25], 3, v[0:1]
	;; [unrolled: 1-line block ×3, first 2 shown]
	s_wait_xcnt 0x1
	v_add_nc_u32_e32 v14, s2, v8
	s_wait_xcnt 0x0
	v_lshl_add_u64 v[18:19], v[34:35], 3, v[0:1]
	s_clause 0x3
	global_load_b64 v[88:89], v[10:11], off
	global_load_b64 v[32:33], v[16:17], off
	;; [unrolled: 1-line block ×4, first 2 shown]
	v_dual_add_nc_u32 v66, s2, v14 :: v_dual_ashrrev_i32 v9, 31, v8
	s_wait_xcnt 0x2
	v_lshl_add_u64 v[16:17], v[26:27], 3, v[0:1]
	s_wait_xcnt 0x1
	v_lshl_add_u64 v[18:19], v[46:47], 3, v[0:1]
	s_clause 0x3
	global_load_b64 v[86:87], v[16:17], off
	global_load_b64 v[24:25], v[18:19], off
	;; [unrolled: 1-line block ×4, first 2 shown]
	v_add_nc_u32_e32 v10, s2, v66
	s_wait_xcnt 0x0
	v_lshl_add_u64 v[12:13], v[28:29], 3, v[0:1]
	v_lshl_add_u64 v[8:9], v[8:9], 3, v[0:1]
	s_delay_alu instid0(VALU_DEP_3) | instskip(NEXT) | instid1(VALU_DEP_1)
	v_dual_add_nc_u32 v82, s2, v10 :: v_dual_ashrrev_i32 v11, 31, v10
	v_add_nc_u32_e32 v46, s2, v82
	s_delay_alu instid0(VALU_DEP_1) | instskip(NEXT) | instid1(VALU_DEP_1)
	v_add_nc_u32_e32 v6, s2, v46
	v_add_nc_u32_e32 v28, s2, v6
	s_delay_alu instid0(VALU_DEP_1) | instskip(SKIP_1) | instid1(VALU_DEP_2)
	v_dual_ashrrev_i32 v67, 31, v66 :: v_dual_ashrrev_i32 v29, 31, v28
	v_dual_add_nc_u32 v112, s2, v28 :: v_dual_ashrrev_i32 v15, 31, v14
	v_lshl_add_u64 v[66:67], v[66:67], 3, v[0:1]
	s_delay_alu instid0(VALU_DEP_2) | instskip(NEXT) | instid1(VALU_DEP_3)
	v_dual_ashrrev_i32 v47, 31, v46 :: v_dual_ashrrev_i32 v113, 31, v112
	v_lshl_add_u64 v[14:15], v[14:15], 3, v[0:1]
	s_clause 0x3
	global_load_b64 v[84:85], v[12:13], off
	global_load_b64 v[18:19], v[8:9], off
	;; [unrolled: 1-line block ×4, first 2 shown]
	s_wait_xcnt 0x1
	v_add_nc_u32_e32 v14, s2, v112
	s_wait_xcnt 0x0
	v_lshl_add_u64 v[66:67], v[10:11], 3, v[0:1]
	v_lshl_add_u64 v[46:47], v[46:47], 3, v[0:1]
	;; [unrolled: 1-line block ×3, first 2 shown]
	v_dual_add_nc_u32 v118, s2, v14 :: v_dual_ashrrev_i32 v15, 31, v14
	s_delay_alu instid0(VALU_DEP_1) | instskip(SKIP_2) | instid1(VALU_DEP_4)
	v_dual_add_nc_u32 v124, s2, v118 :: v_dual_ashrrev_i32 v119, 31, v118
	v_ashrrev_i32_e32 v83, 31, v82
	v_ashrrev_i32_e32 v7, 31, v6
	v_lshl_add_u64 v[126:127], v[14:15], 3, v[0:1]
	s_delay_alu instid0(VALU_DEP_4)
	v_ashrrev_i32_e32 v125, 31, v124
	v_lshl_add_u64 v[118:119], v[118:119], 3, v[0:1]
	v_lshl_add_u64 v[122:123], v[82:83], 3, v[0:1]
	;; [unrolled: 1-line block ×3, first 2 shown]
	s_clause 0x3
	global_load_b64 v[82:83], v[66:67], off
	global_load_b64 v[10:11], v[122:123], off
	;; [unrolled: 1-line block ×4, first 2 shown]
	s_wait_xcnt 0x0
	v_add_nc_u32_e32 v6, s2, v124
	v_lshl_add_u64 v[122:123], v[28:29], 3, v[0:1]
	v_lshl_add_u64 v[124:125], v[124:125], 3, v[0:1]
	s_delay_alu instid0(VALU_DEP_3) | instskip(NEXT) | instid1(VALU_DEP_1)
	v_ashrrev_i32_e32 v7, 31, v6
	v_lshl_add_u64 v[128:129], v[6:7], 3, v[0:1]
	s_clause 0x5
	global_load_b64 v[66:67], v[122:123], off
	global_load_b64 v[6:7], v[112:113], off
	;; [unrolled: 1-line block ×5, first 2 shown]
	; meta instruction
	; meta instruction
	;; [unrolled: 1-line block ×5, first 2 shown]
	global_load_b64 v[112:113], v[128:129], off
	s_wait_xcnt 0x2
	v_mul_lo_u32 v119, s4, v116
	s_load_b64 s[4:5], s[0:1], 0x40
	s_delay_alu instid0(VALU_DEP_1) | instskip(NEXT) | instid1(VALU_DEP_1)
	v_lshl_add_u32 v118, v119, 3, 0
	v_dual_lshlrev_b32 v119, 3, v119 :: v_dual_add_nc_u32 v114, v118, v114
	s_wait_loadcnt 0x2f
	ds_store_b64 v114, v[110:111]
	s_wait_loadcnt_dscnt 0x0
	s_barrier_signal -1
	s_barrier_wait -1
	ds_load_b64 v[116:117], v118
	s_cbranch_scc1 .LBB106_6
; %bb.4:
	v_add3_u32 v114, v119, 0, 8
	v_mov_b32_e32 v115, 0
	s_wait_xcnt 0x0
	s_mov_b32 s1, 1
.LBB106_5:                              ; =>This Inner Loop Header: Depth=1
	ds_load_b64 v[122:123], v114
	s_wait_dscnt 0x1
	v_cmp_gt_f32_e32 vcc_lo, 0, v116
	v_cmp_gt_f32_e64 s0, 0, v117
	s_delay_alu instid0(VALU_DEP_1) | instskip(SKIP_3) | instid1(VALU_DEP_1)
	v_dual_cndmask_b32 v124, v116, -v116, vcc_lo :: v_dual_cndmask_b32 v126, v117, -v117, s0
	s_wait_dscnt 0x0
	v_cmp_gt_f32_e32 vcc_lo, 0, v122
	v_cmp_gt_f32_e64 s0, 0, v123
	v_dual_cndmask_b32 v125, v122, -v122, vcc_lo :: v_dual_cndmask_b32 v127, v123, -v123, s0
	s_delay_alu instid0(VALU_DEP_1) | instskip(NEXT) | instid1(VALU_DEP_1)
	v_pk_add_f32 v[124:125], v[124:125], v[126:127]
	v_cmp_lt_f32_e32 vcc_lo, v124, v125
	v_dual_cndmask_b32 v117, v117, v123 :: v_dual_add_nc_u32 v114, 8, v114
	v_cndmask_b32_e32 v116, v116, v122, vcc_lo
	v_cndmask_b32_e64 v115, v115, s1, vcc_lo
	s_add_co_i32 s1, s1, 1
	s_delay_alu instid0(SALU_CYCLE_1)
	s_cmp_eq_u32 s18, s1
	s_cbranch_scc0 .LBB106_5
.LBB106_6:
	s_wait_dscnt 0x0
	v_cmp_neq_f32_e32 vcc_lo, 0, v116
	s_wait_xcnt 0x0
	v_cmp_neq_f32_e64 s0, 0, v117
	v_dual_mov_b32 v120, 1 :: v_dual_mov_b32 v123, 1
	s_or_b32 s1, vcc_lo, s0
	s_delay_alu instid0(SALU_CYCLE_1)
	s_and_saveexec_b32 s0, s1
	s_cbranch_execz .LBB106_12
; %bb.7:
	v_cmp_ngt_f32_e64 s1, |v116|, |v117|
	s_and_saveexec_b32 s12, s1
	s_delay_alu instid0(SALU_CYCLE_1)
	s_xor_b32 s1, exec_lo, s12
	s_cbranch_execz .LBB106_9
; %bb.8:
	v_div_scale_f32 v114, null, v117, v117, v116
	v_div_scale_f32 v123, vcc_lo, v116, v117, v116
	s_delay_alu instid0(VALU_DEP_2) | instskip(SKIP_1) | instid1(TRANS32_DEP_1)
	v_rcp_f32_e32 v120, v114
	v_nop
	v_fma_f32 v122, -v114, v120, 1.0
	s_delay_alu instid0(VALU_DEP_1) | instskip(NEXT) | instid1(VALU_DEP_1)
	v_fmac_f32_e32 v120, v122, v120
	v_mul_f32_e32 v122, v123, v120
	s_delay_alu instid0(VALU_DEP_1) | instskip(NEXT) | instid1(VALU_DEP_1)
	v_fma_f32 v124, -v114, v122, v123
	v_fmac_f32_e32 v122, v124, v120
	s_delay_alu instid0(VALU_DEP_1) | instskip(NEXT) | instid1(VALU_DEP_1)
	v_fma_f32 v114, -v114, v122, v123
	v_div_fmas_f32 v114, v114, v120, v122
	s_delay_alu instid0(VALU_DEP_1) | instskip(NEXT) | instid1(VALU_DEP_1)
	v_div_fixup_f32 v114, v114, v117, v116
	v_fmac_f32_e32 v117, v116, v114
	s_delay_alu instid0(VALU_DEP_1) | instskip(SKIP_1) | instid1(VALU_DEP_2)
	v_div_scale_f32 v116, null, v117, v117, 1.0
	v_div_scale_f32 v123, vcc_lo, 1.0, v117, 1.0
	v_rcp_f32_e32 v120, v116
	v_nop
	s_delay_alu instid0(TRANS32_DEP_1) | instskip(NEXT) | instid1(VALU_DEP_1)
	v_fma_f32 v122, -v116, v120, 1.0
	v_fmac_f32_e32 v120, v122, v120
	s_delay_alu instid0(VALU_DEP_1) | instskip(NEXT) | instid1(VALU_DEP_1)
	v_mul_f32_e32 v122, v123, v120
	v_fma_f32 v124, -v116, v122, v123
	s_delay_alu instid0(VALU_DEP_1) | instskip(NEXT) | instid1(VALU_DEP_1)
	v_fmac_f32_e32 v122, v124, v120
	v_fma_f32 v116, -v116, v122, v123
	s_delay_alu instid0(VALU_DEP_1) | instskip(NEXT) | instid1(VALU_DEP_1)
	v_div_fmas_f32 v116, v116, v120, v122
	v_div_fixup_f32 v117, v116, v117, 1.0
	s_delay_alu instid0(VALU_DEP_1)
	v_mul_f32_e32 v116, v114, v117
	v_xor_b32_e32 v117, 0x80000000, v117
.LBB106_9:
	s_and_not1_saveexec_b32 s1, s1
	s_cbranch_execz .LBB106_11
; %bb.10:
	s_delay_alu instid0(VALU_DEP_1) | instskip(SKIP_1) | instid1(VALU_DEP_2)
	v_div_scale_f32 v114, null, v116, v116, v117
	v_div_scale_f32 v123, vcc_lo, v117, v116, v117
	v_rcp_f32_e32 v120, v114
	v_nop
	s_delay_alu instid0(TRANS32_DEP_1) | instskip(NEXT) | instid1(VALU_DEP_1)
	v_fma_f32 v122, -v114, v120, 1.0
	v_fmac_f32_e32 v120, v122, v120
	s_delay_alu instid0(VALU_DEP_1) | instskip(NEXT) | instid1(VALU_DEP_1)
	v_mul_f32_e32 v122, v123, v120
	v_fma_f32 v124, -v114, v122, v123
	s_delay_alu instid0(VALU_DEP_1) | instskip(NEXT) | instid1(VALU_DEP_1)
	v_fmac_f32_e32 v122, v124, v120
	v_fma_f32 v114, -v114, v122, v123
	s_delay_alu instid0(VALU_DEP_1) | instskip(NEXT) | instid1(VALU_DEP_1)
	v_div_fmas_f32 v114, v114, v120, v122
	v_div_fixup_f32 v114, v114, v116, v117
	s_delay_alu instid0(VALU_DEP_1) | instskip(NEXT) | instid1(VALU_DEP_1)
	v_fmac_f32_e32 v116, v117, v114
	v_div_scale_f32 v117, null, v116, v116, 1.0
	s_delay_alu instid0(VALU_DEP_1) | instskip(SKIP_1) | instid1(TRANS32_DEP_1)
	v_rcp_f32_e32 v120, v117
	v_nop
	v_fma_f32 v122, -v117, v120, 1.0
	s_delay_alu instid0(VALU_DEP_1) | instskip(SKIP_1) | instid1(VALU_DEP_1)
	v_fmac_f32_e32 v120, v122, v120
	v_div_scale_f32 v122, vcc_lo, 1.0, v116, 1.0
	v_mul_f32_e32 v123, v122, v120
	s_delay_alu instid0(VALU_DEP_1) | instskip(NEXT) | instid1(VALU_DEP_1)
	v_fma_f32 v124, -v117, v123, v122
	v_fmac_f32_e32 v123, v124, v120
	s_delay_alu instid0(VALU_DEP_1) | instskip(NEXT) | instid1(VALU_DEP_1)
	v_fma_f32 v117, -v117, v123, v122
	v_div_fmas_f32 v117, v117, v120, v123
	s_delay_alu instid0(VALU_DEP_1) | instskip(NEXT) | instid1(VALU_DEP_1)
	v_div_fixup_f32 v116, v117, v116, 1.0
	v_mul_f32_e64 v117, v114, -v116
.LBB106_11:
	s_or_b32 exec_lo, exec_lo, s1
	v_dual_mov_b32 v123, 0 :: v_dual_mov_b32 v120, 2
.LBB106_12:
	s_or_b32 exec_lo, exec_lo, s0
	s_delay_alu instid0(SALU_CYCLE_1)
	s_mov_b32 s0, exec_lo
	v_cmpx_ne_u32_e64 v121, v115
	s_xor_b32 s0, exec_lo, s0
	s_cbranch_execz .LBB106_18
; %bb.13:
	s_mov_b32 s1, exec_lo
	v_cmpx_eq_u32_e32 0, v121
	s_cbranch_execz .LBB106_17
; %bb.14:
	v_cmp_ne_u32_e32 vcc_lo, 0, v115
	s_xor_b32 s12, s16, -1
	s_delay_alu instid0(SALU_CYCLE_1) | instskip(NEXT) | instid1(SALU_CYCLE_1)
	s_and_b32 s13, s12, vcc_lo
	s_and_saveexec_b32 s12, s13
	s_cbranch_execz .LBB106_16
; %bb.15:
	v_dual_mov_b32 v124, v115 :: v_dual_ashrrev_i32 v125, 31, v115
	s_delay_alu instid0(VALU_DEP_1)
	v_lshl_add_u64 v[124:125], v[124:125], 2, v[4:5]
	s_clause 0x1
	global_load_b32 v114, v[124:125], off
	global_load_b32 v121, v[4:5], off
	s_wait_loadcnt 0x1
	global_store_b32 v[4:5], v114, off
	s_wait_loadcnt 0x0
	global_store_b32 v[124:125], v121, off
.LBB106_16:
	s_wait_xcnt 0x0
	s_or_b32 exec_lo, exec_lo, s12
	v_mov_b32_e32 v121, v115
.LBB106_17:
	s_or_b32 exec_lo, exec_lo, s1
.LBB106_18:
	s_or_saveexec_b32 s0, s0
	s_delay_alu instid0(VALU_DEP_1)
	v_mov_b32_e32 v122, v121
	s_xor_b32 exec_lo, exec_lo, s0
	s_cbranch_execz .LBB106_20
; %bb.19:
	v_mov_b32_e32 v122, 0
	ds_store_2addr_b64 v118, v[108:109], v[106:107] offset0:1 offset1:2
	ds_store_2addr_b64 v118, v[104:105], v[92:93] offset0:3 offset1:4
	;; [unrolled: 1-line block ×26, first 2 shown]
	ds_store_b64 v118, v[112:113] offset:424
.LBB106_20:
	s_or_b32 exec_lo, exec_lo, s0
	s_delay_alu instid0(SALU_CYCLE_1)
	s_mov_b32 s0, exec_lo
	s_wait_storecnt_dscnt 0x0
	s_barrier_signal -1
	s_barrier_wait -1
	v_cmpx_lt_i32_e32 0, v122
	s_cbranch_execz .LBB106_22
; %bb.21:
	v_pk_mul_f32 v[124:125], v[116:117], v[110:111] op_sel:[1,1] op_sel_hi:[0,1]
	s_delay_alu instid0(VALU_DEP_1)
	v_pk_fma_f32 v[114:115], v[116:117], v[110:111], v[124:125] op_sel_hi:[1,0,1] neg_lo:[0,0,1] neg_hi:[0,0,1]
	v_pk_fma_f32 v[116:117], v[116:117], v[110:111], v[124:125] op_sel_hi:[1,0,1]
	ds_load_2addr_b64 v[124:127], v118 offset0:1 offset1:2
	v_dual_mov_b32 v110, v114 :: v_dual_mov_b32 v111, v117
	s_wait_dscnt 0x0
	v_pk_mul_f32 v[128:129], v[124:125], v[116:117] op_sel:[0,1]
	s_delay_alu instid0(VALU_DEP_1) | instskip(SKIP_1) | instid1(VALU_DEP_1)
	v_pk_fma_f32 v[130:131], v[124:125], v[114:115], v[128:129] op_sel:[0,0,1] op_sel_hi:[1,1,0] neg_lo:[0,0,1] neg_hi:[0,0,1]
	v_pk_fma_f32 v[124:125], v[124:125], v[114:115], v[128:129] op_sel:[0,0,1] op_sel_hi:[1,0,0]
	v_mov_b32_e32 v131, v125
	v_pk_mul_f32 v[124:125], v[126:127], v[116:117] op_sel:[0,1]
	s_delay_alu instid0(VALU_DEP_1) | instskip(SKIP_1) | instid1(VALU_DEP_1)
	v_pk_fma_f32 v[128:129], v[126:127], v[114:115], v[124:125] op_sel:[0,0,1] op_sel_hi:[1,1,0] neg_lo:[0,0,1] neg_hi:[0,0,1]
	v_pk_fma_f32 v[124:125], v[126:127], v[114:115], v[124:125] op_sel:[0,0,1] op_sel_hi:[1,0,0]
	v_mov_b32_e32 v129, v125
	ds_load_2addr_b64 v[124:127], v118 offset0:3 offset1:4
	v_pk_add_f32 v[108:109], v[108:109], v[130:131] neg_lo:[0,1] neg_hi:[0,1]
	v_pk_add_f32 v[106:107], v[106:107], v[128:129] neg_lo:[0,1] neg_hi:[0,1]
	s_wait_dscnt 0x0
	v_pk_mul_f32 v[128:129], v[124:125], v[116:117] op_sel:[0,1]
	s_delay_alu instid0(VALU_DEP_1) | instskip(SKIP_2) | instid1(VALU_DEP_2)
	v_pk_fma_f32 v[130:131], v[124:125], v[114:115], v[128:129] op_sel:[0,0,1] op_sel_hi:[1,1,0] neg_lo:[0,0,1] neg_hi:[0,0,1]
	v_pk_fma_f32 v[124:125], v[124:125], v[114:115], v[128:129] op_sel:[0,0,1] op_sel_hi:[1,0,0]
	v_dual_mul_f32 v128, v127, v117 :: v_dual_mov_b32 v124, v127
	v_dual_mov_b32 v131, v125 :: v_dual_mov_b32 v125, v126
	s_delay_alu instid0(VALU_DEP_2) | instskip(SKIP_1) | instid1(VALU_DEP_3)
	v_pk_fma_f32 v[128:129], v[126:127], v[110:111], v[128:129] op_sel_hi:[1,1,0] neg_lo:[0,0,1] neg_hi:[0,0,1]
	v_mul_f32_e32 v126, v127, v114
	v_pk_add_f32 v[104:105], v[104:105], v[130:131] neg_lo:[0,1] neg_hi:[0,1]
	s_delay_alu instid0(VALU_DEP_2) | instskip(NEXT) | instid1(VALU_DEP_1)
	v_pk_fma_f32 v[124:125], v[124:125], v[110:111], v[126:127] op_sel_hi:[1,1,0]
	v_mov_b32_e32 v129, v125
	ds_load_2addr_b64 v[124:127], v118 offset0:5 offset1:6
	v_pk_add_f32 v[92:93], v[92:93], v[128:129] neg_lo:[0,1] neg_hi:[0,1]
	s_wait_dscnt 0x0
	v_pk_mul_f32 v[128:129], v[124:125], v[116:117] op_sel:[0,1]
	s_delay_alu instid0(VALU_DEP_1) | instskip(SKIP_1) | instid1(VALU_DEP_1)
	v_pk_fma_f32 v[130:131], v[124:125], v[114:115], v[128:129] op_sel:[0,0,1] op_sel_hi:[1,1,0] neg_lo:[0,0,1] neg_hi:[0,0,1]
	v_pk_fma_f32 v[124:125], v[124:125], v[114:115], v[128:129] op_sel:[0,0,1] op_sel_hi:[1,0,0]
	v_mov_b32_e32 v131, v125
	v_pk_mul_f32 v[124:125], v[126:127], v[116:117] op_sel:[0,1]
	s_delay_alu instid0(VALU_DEP_1) | instskip(SKIP_1) | instid1(VALU_DEP_1)
	v_pk_fma_f32 v[128:129], v[126:127], v[114:115], v[124:125] op_sel:[0,0,1] op_sel_hi:[1,1,0] neg_lo:[0,0,1] neg_hi:[0,0,1]
	v_pk_fma_f32 v[124:125], v[126:127], v[114:115], v[124:125] op_sel:[0,0,1] op_sel_hi:[1,0,0]
	v_mov_b32_e32 v129, v125
	ds_load_2addr_b64 v[124:127], v118 offset0:7 offset1:8
	v_pk_add_f32 v[44:45], v[44:45], v[130:131] neg_lo:[0,1] neg_hi:[0,1]
	v_pk_add_f32 v[48:49], v[48:49], v[128:129] neg_lo:[0,1] neg_hi:[0,1]
	s_wait_dscnt 0x0
	v_pk_mul_f32 v[128:129], v[124:125], v[116:117] op_sel:[0,1]
	s_delay_alu instid0(VALU_DEP_1) | instskip(SKIP_1) | instid1(VALU_DEP_1)
	v_pk_fma_f32 v[130:131], v[124:125], v[114:115], v[128:129] op_sel:[0,0,1] op_sel_hi:[1,1,0] neg_lo:[0,0,1] neg_hi:[0,0,1]
	v_pk_fma_f32 v[124:125], v[124:125], v[114:115], v[128:129] op_sel:[0,0,1] op_sel_hi:[1,0,0]
	v_mov_b32_e32 v131, v125
	v_pk_mul_f32 v[124:125], v[126:127], v[116:117] op_sel:[0,1]
	s_delay_alu instid0(VALU_DEP_1) | instskip(SKIP_1) | instid1(VALU_DEP_1)
	v_pk_fma_f32 v[128:129], v[126:127], v[114:115], v[124:125] op_sel:[0,0,1] op_sel_hi:[1,1,0] neg_lo:[0,0,1] neg_hi:[0,0,1]
	v_pk_fma_f32 v[124:125], v[126:127], v[114:115], v[124:125] op_sel:[0,0,1] op_sel_hi:[1,0,0]
	v_mov_b32_e32 v129, v125
	ds_load_2addr_b64 v[124:127], v118 offset0:9 offset1:10
	v_pk_add_f32 v[42:43], v[42:43], v[130:131] neg_lo:[0,1] neg_hi:[0,1]
	v_pk_add_f32 v[102:103], v[102:103], v[128:129] neg_lo:[0,1] neg_hi:[0,1]
	s_wait_dscnt 0x0
	v_dual_mul_f32 v128, v125, v117 :: v_dual_mul_f32 v130, v125, v114
	s_delay_alu instid0(VALU_DEP_1) | instskip(NEXT) | instid1(VALU_DEP_2)
	v_pk_fma_f32 v[128:129], v[124:125], v[110:111], v[128:129] op_sel_hi:[1,1,0] neg_lo:[0,0,1] neg_hi:[0,0,1]
	v_pk_fma_f32 v[124:125], v[124:125], v[110:111], v[130:131] op_sel:[1,0,0] op_sel_hi:[0,1,0]
	s_delay_alu instid0(VALU_DEP_1) | instskip(SKIP_1) | instid1(VALU_DEP_2)
	v_mov_b32_e32 v129, v125
	v_pk_mul_f32 v[124:125], v[126:127], v[116:117] op_sel:[0,1]
	v_pk_add_f32 v[78:79], v[78:79], v[128:129] neg_lo:[0,1] neg_hi:[0,1]
	s_delay_alu instid0(VALU_DEP_2) | instskip(SKIP_1) | instid1(VALU_DEP_1)
	v_pk_fma_f32 v[128:129], v[126:127], v[114:115], v[124:125] op_sel:[0,0,1] op_sel_hi:[1,1,0] neg_lo:[0,0,1] neg_hi:[0,0,1]
	v_pk_fma_f32 v[124:125], v[126:127], v[114:115], v[124:125] op_sel:[0,0,1] op_sel_hi:[1,0,0]
	v_mov_b32_e32 v129, v125
	ds_load_2addr_b64 v[124:127], v118 offset0:11 offset1:12
	v_pk_add_f32 v[80:81], v[80:81], v[128:129] neg_lo:[0,1] neg_hi:[0,1]
	s_wait_dscnt 0x0
	v_pk_mul_f32 v[128:129], v[124:125], v[116:117] op_sel:[0,1]
	s_delay_alu instid0(VALU_DEP_1) | instskip(SKIP_1) | instid1(VALU_DEP_1)
	v_pk_fma_f32 v[130:131], v[124:125], v[114:115], v[128:129] op_sel:[0,0,1] op_sel_hi:[1,1,0] neg_lo:[0,0,1] neg_hi:[0,0,1]
	v_pk_fma_f32 v[124:125], v[124:125], v[114:115], v[128:129] op_sel:[0,0,1] op_sel_hi:[1,0,0]
	v_mov_b32_e32 v131, v125
	v_pk_mul_f32 v[124:125], v[126:127], v[116:117] op_sel:[0,1]
	s_delay_alu instid0(VALU_DEP_2) | instskip(NEXT) | instid1(VALU_DEP_2)
	v_pk_add_f32 v[76:77], v[76:77], v[130:131] neg_lo:[0,1] neg_hi:[0,1]
	v_pk_fma_f32 v[128:129], v[126:127], v[114:115], v[124:125] op_sel:[0,0,1] op_sel_hi:[1,1,0] neg_lo:[0,0,1] neg_hi:[0,0,1]
	v_pk_fma_f32 v[124:125], v[126:127], v[114:115], v[124:125] op_sel:[0,0,1] op_sel_hi:[1,0,0]
	s_delay_alu instid0(VALU_DEP_1) | instskip(SKIP_4) | instid1(VALU_DEP_1)
	v_mov_b32_e32 v129, v125
	ds_load_2addr_b64 v[124:127], v118 offset0:13 offset1:14
	v_pk_add_f32 v[100:101], v[100:101], v[128:129] neg_lo:[0,1] neg_hi:[0,1]
	s_wait_dscnt 0x0
	v_pk_mul_f32 v[128:129], v[124:125], v[116:117] op_sel:[0,1]
	v_pk_fma_f32 v[130:131], v[124:125], v[114:115], v[128:129] op_sel:[0,0,1] op_sel_hi:[1,1,0] neg_lo:[0,0,1] neg_hi:[0,0,1]
	v_pk_fma_f32 v[124:125], v[124:125], v[114:115], v[128:129] op_sel:[0,0,1] op_sel_hi:[1,0,0]
	v_dual_mul_f32 v128, v127, v117 :: v_dual_mov_b32 v124, v127
	s_delay_alu instid0(VALU_DEP_2) | instskip(NEXT) | instid1(VALU_DEP_2)
	v_dual_mov_b32 v131, v125 :: v_dual_mov_b32 v125, v126
	v_pk_fma_f32 v[128:129], v[126:127], v[110:111], v[128:129] op_sel_hi:[1,1,0] neg_lo:[0,0,1] neg_hi:[0,0,1]
	v_mul_f32_e32 v126, v127, v114
	s_delay_alu instid0(VALU_DEP_3) | instskip(NEXT) | instid1(VALU_DEP_2)
	v_pk_add_f32 v[72:73], v[72:73], v[130:131] neg_lo:[0,1] neg_hi:[0,1]
	v_pk_fma_f32 v[124:125], v[124:125], v[110:111], v[126:127] op_sel_hi:[1,1,0]
	s_delay_alu instid0(VALU_DEP_1) | instskip(SKIP_4) | instid1(VALU_DEP_1)
	v_mov_b32_e32 v129, v125
	ds_load_2addr_b64 v[124:127], v118 offset0:15 offset1:16
	v_pk_add_f32 v[74:75], v[74:75], v[128:129] neg_lo:[0,1] neg_hi:[0,1]
	s_wait_dscnt 0x0
	v_pk_mul_f32 v[128:129], v[124:125], v[116:117] op_sel:[0,1]
	v_pk_fma_f32 v[130:131], v[124:125], v[114:115], v[128:129] op_sel:[0,0,1] op_sel_hi:[1,1,0] neg_lo:[0,0,1] neg_hi:[0,0,1]
	v_pk_fma_f32 v[124:125], v[124:125], v[114:115], v[128:129] op_sel:[0,0,1] op_sel_hi:[1,0,0]
	s_delay_alu instid0(VALU_DEP_1) | instskip(SKIP_1) | instid1(VALU_DEP_1)
	v_mov_b32_e32 v131, v125
	v_pk_mul_f32 v[124:125], v[126:127], v[116:117] op_sel:[0,1]
	v_pk_fma_f32 v[128:129], v[126:127], v[114:115], v[124:125] op_sel:[0,0,1] op_sel_hi:[1,1,0] neg_lo:[0,0,1] neg_hi:[0,0,1]
	v_pk_fma_f32 v[124:125], v[126:127], v[114:115], v[124:125] op_sel:[0,0,1] op_sel_hi:[1,0,0]
	s_delay_alu instid0(VALU_DEP_1)
	v_mov_b32_e32 v129, v125
	ds_load_2addr_b64 v[124:127], v118 offset0:17 offset1:18
	v_pk_add_f32 v[70:71], v[70:71], v[130:131] neg_lo:[0,1] neg_hi:[0,1]
	v_pk_add_f32 v[98:99], v[98:99], v[128:129] neg_lo:[0,1] neg_hi:[0,1]
	s_wait_dscnt 0x0
	v_pk_mul_f32 v[128:129], v[124:125], v[116:117] op_sel:[0,1]
	s_delay_alu instid0(VALU_DEP_1) | instskip(SKIP_1) | instid1(VALU_DEP_1)
	v_pk_fma_f32 v[130:131], v[124:125], v[114:115], v[128:129] op_sel:[0,0,1] op_sel_hi:[1,1,0] neg_lo:[0,0,1] neg_hi:[0,0,1]
	v_pk_fma_f32 v[124:125], v[124:125], v[114:115], v[128:129] op_sel:[0,0,1] op_sel_hi:[1,0,0]
	v_mov_b32_e32 v131, v125
	v_pk_mul_f32 v[124:125], v[126:127], v[116:117] op_sel:[0,1]
	s_delay_alu instid0(VALU_DEP_1) | instskip(SKIP_1) | instid1(VALU_DEP_1)
	v_pk_fma_f32 v[128:129], v[126:127], v[114:115], v[124:125] op_sel:[0,0,1] op_sel_hi:[1,1,0] neg_lo:[0,0,1] neg_hi:[0,0,1]
	v_pk_fma_f32 v[124:125], v[126:127], v[114:115], v[124:125] op_sel:[0,0,1] op_sel_hi:[1,0,0]
	v_mov_b32_e32 v129, v125
	ds_load_2addr_b64 v[124:127], v118 offset0:19 offset1:20
	v_pk_add_f32 v[64:65], v[64:65], v[130:131] neg_lo:[0,1] neg_hi:[0,1]
	v_pk_add_f32 v[68:69], v[68:69], v[128:129] neg_lo:[0,1] neg_hi:[0,1]
	s_wait_dscnt 0x0
	v_dual_mul_f32 v128, v125, v117 :: v_dual_mul_f32 v130, v125, v114
	s_delay_alu instid0(VALU_DEP_1) | instskip(NEXT) | instid1(VALU_DEP_2)
	v_pk_fma_f32 v[128:129], v[124:125], v[110:111], v[128:129] op_sel_hi:[1,1,0] neg_lo:[0,0,1] neg_hi:[0,0,1]
	v_pk_fma_f32 v[124:125], v[124:125], v[110:111], v[130:131] op_sel:[1,0,0] op_sel_hi:[0,1,0]
	s_delay_alu instid0(VALU_DEP_1) | instskip(SKIP_1) | instid1(VALU_DEP_2)
	v_mov_b32_e32 v129, v125
	v_pk_mul_f32 v[124:125], v[126:127], v[116:117] op_sel:[0,1]
	v_pk_add_f32 v[62:63], v[62:63], v[128:129] neg_lo:[0,1] neg_hi:[0,1]
	s_delay_alu instid0(VALU_DEP_2) | instskip(SKIP_1) | instid1(VALU_DEP_1)
	v_pk_fma_f32 v[128:129], v[126:127], v[114:115], v[124:125] op_sel:[0,0,1] op_sel_hi:[1,1,0] neg_lo:[0,0,1] neg_hi:[0,0,1]
	v_pk_fma_f32 v[124:125], v[126:127], v[114:115], v[124:125] op_sel:[0,0,1] op_sel_hi:[1,0,0]
	v_mov_b32_e32 v129, v125
	ds_load_2addr_b64 v[124:127], v118 offset0:21 offset1:22
	v_pk_add_f32 v[96:97], v[96:97], v[128:129] neg_lo:[0,1] neg_hi:[0,1]
	s_wait_dscnt 0x0
	v_pk_mul_f32 v[128:129], v[124:125], v[116:117] op_sel:[0,1]
	s_delay_alu instid0(VALU_DEP_1) | instskip(SKIP_1) | instid1(VALU_DEP_1)
	v_pk_fma_f32 v[130:131], v[124:125], v[114:115], v[128:129] op_sel:[0,0,1] op_sel_hi:[1,1,0] neg_lo:[0,0,1] neg_hi:[0,0,1]
	v_pk_fma_f32 v[124:125], v[124:125], v[114:115], v[128:129] op_sel:[0,0,1] op_sel_hi:[1,0,0]
	v_mov_b32_e32 v131, v125
	v_pk_mul_f32 v[124:125], v[126:127], v[116:117] op_sel:[0,1]
	s_delay_alu instid0(VALU_DEP_2) | instskip(NEXT) | instid1(VALU_DEP_2)
	v_pk_add_f32 v[58:59], v[58:59], v[130:131] neg_lo:[0,1] neg_hi:[0,1]
	v_pk_fma_f32 v[128:129], v[126:127], v[114:115], v[124:125] op_sel:[0,0,1] op_sel_hi:[1,1,0] neg_lo:[0,0,1] neg_hi:[0,0,1]
	v_pk_fma_f32 v[124:125], v[126:127], v[114:115], v[124:125] op_sel:[0,0,1] op_sel_hi:[1,0,0]
	s_delay_alu instid0(VALU_DEP_1) | instskip(SKIP_4) | instid1(VALU_DEP_1)
	v_mov_b32_e32 v129, v125
	ds_load_2addr_b64 v[124:127], v118 offset0:23 offset1:24
	v_pk_add_f32 v[60:61], v[60:61], v[128:129] neg_lo:[0,1] neg_hi:[0,1]
	s_wait_dscnt 0x0
	v_pk_mul_f32 v[128:129], v[124:125], v[116:117] op_sel:[0,1]
	v_pk_fma_f32 v[130:131], v[124:125], v[114:115], v[128:129] op_sel:[0,0,1] op_sel_hi:[1,1,0] neg_lo:[0,0,1] neg_hi:[0,0,1]
	v_pk_fma_f32 v[124:125], v[124:125], v[114:115], v[128:129] op_sel:[0,0,1] op_sel_hi:[1,0,0]
	v_dual_mul_f32 v128, v127, v117 :: v_dual_mov_b32 v124, v127
	s_delay_alu instid0(VALU_DEP_2) | instskip(NEXT) | instid1(VALU_DEP_2)
	v_dual_mov_b32 v131, v125 :: v_dual_mov_b32 v125, v126
	v_pk_fma_f32 v[128:129], v[126:127], v[110:111], v[128:129] op_sel_hi:[1,1,0] neg_lo:[0,0,1] neg_hi:[0,0,1]
	v_mul_f32_e32 v126, v127, v114
	s_delay_alu instid0(VALU_DEP_3) | instskip(NEXT) | instid1(VALU_DEP_2)
	v_pk_add_f32 v[56:57], v[56:57], v[130:131] neg_lo:[0,1] neg_hi:[0,1]
	v_pk_fma_f32 v[124:125], v[124:125], v[110:111], v[126:127] op_sel_hi:[1,1,0]
	s_delay_alu instid0(VALU_DEP_1) | instskip(SKIP_4) | instid1(VALU_DEP_1)
	v_mov_b32_e32 v129, v125
	ds_load_2addr_b64 v[124:127], v118 offset0:25 offset1:26
	v_pk_add_f32 v[94:95], v[94:95], v[128:129] neg_lo:[0,1] neg_hi:[0,1]
	s_wait_dscnt 0x0
	v_pk_mul_f32 v[128:129], v[124:125], v[116:117] op_sel:[0,1]
	v_pk_fma_f32 v[130:131], v[124:125], v[114:115], v[128:129] op_sel:[0,0,1] op_sel_hi:[1,1,0] neg_lo:[0,0,1] neg_hi:[0,0,1]
	v_pk_fma_f32 v[124:125], v[124:125], v[114:115], v[128:129] op_sel:[0,0,1] op_sel_hi:[1,0,0]
	s_delay_alu instid0(VALU_DEP_1) | instskip(SKIP_1) | instid1(VALU_DEP_1)
	v_mov_b32_e32 v131, v125
	v_pk_mul_f32 v[124:125], v[126:127], v[116:117] op_sel:[0,1]
	v_pk_fma_f32 v[128:129], v[126:127], v[114:115], v[124:125] op_sel:[0,0,1] op_sel_hi:[1,1,0] neg_lo:[0,0,1] neg_hi:[0,0,1]
	v_pk_fma_f32 v[124:125], v[126:127], v[114:115], v[124:125] op_sel:[0,0,1] op_sel_hi:[1,0,0]
	s_delay_alu instid0(VALU_DEP_1)
	v_mov_b32_e32 v129, v125
	ds_load_2addr_b64 v[124:127], v118 offset0:27 offset1:28
	v_pk_add_f32 v[52:53], v[52:53], v[130:131] neg_lo:[0,1] neg_hi:[0,1]
	v_pk_add_f32 v[54:55], v[54:55], v[128:129] neg_lo:[0,1] neg_hi:[0,1]
	s_wait_dscnt 0x0
	v_pk_mul_f32 v[128:129], v[124:125], v[116:117] op_sel:[0,1]
	s_delay_alu instid0(VALU_DEP_1) | instskip(SKIP_1) | instid1(VALU_DEP_1)
	v_pk_fma_f32 v[130:131], v[124:125], v[114:115], v[128:129] op_sel:[0,0,1] op_sel_hi:[1,1,0] neg_lo:[0,0,1] neg_hi:[0,0,1]
	v_pk_fma_f32 v[124:125], v[124:125], v[114:115], v[128:129] op_sel:[0,0,1] op_sel_hi:[1,0,0]
	v_mov_b32_e32 v131, v125
	v_pk_mul_f32 v[124:125], v[126:127], v[116:117] op_sel:[0,1]
	s_delay_alu instid0(VALU_DEP_1) | instskip(SKIP_1) | instid1(VALU_DEP_1)
	v_pk_fma_f32 v[128:129], v[126:127], v[114:115], v[124:125] op_sel:[0,0,1] op_sel_hi:[1,1,0] neg_lo:[0,0,1] neg_hi:[0,0,1]
	v_pk_fma_f32 v[124:125], v[126:127], v[114:115], v[124:125] op_sel:[0,0,1] op_sel_hi:[1,0,0]
	v_mov_b32_e32 v129, v125
	ds_load_2addr_b64 v[124:127], v118 offset0:29 offset1:30
	v_pk_add_f32 v[50:51], v[50:51], v[130:131] neg_lo:[0,1] neg_hi:[0,1]
	v_pk_add_f32 v[90:91], v[90:91], v[128:129] neg_lo:[0,1] neg_hi:[0,1]
	s_wait_dscnt 0x0
	v_dual_mul_f32 v128, v125, v117 :: v_dual_mul_f32 v130, v125, v114
	s_delay_alu instid0(VALU_DEP_1) | instskip(NEXT) | instid1(VALU_DEP_2)
	v_pk_fma_f32 v[128:129], v[124:125], v[110:111], v[128:129] op_sel_hi:[1,1,0] neg_lo:[0,0,1] neg_hi:[0,0,1]
	v_pk_fma_f32 v[124:125], v[124:125], v[110:111], v[130:131] op_sel:[1,0,0] op_sel_hi:[0,1,0]
	s_delay_alu instid0(VALU_DEP_1) | instskip(SKIP_1) | instid1(VALU_DEP_2)
	v_mov_b32_e32 v129, v125
	v_pk_mul_f32 v[124:125], v[126:127], v[116:117] op_sel:[0,1]
	v_pk_add_f32 v[38:39], v[38:39], v[128:129] neg_lo:[0,1] neg_hi:[0,1]
	s_delay_alu instid0(VALU_DEP_2) | instskip(SKIP_1) | instid1(VALU_DEP_1)
	v_pk_fma_f32 v[128:129], v[126:127], v[114:115], v[124:125] op_sel:[0,0,1] op_sel_hi:[1,1,0] neg_lo:[0,0,1] neg_hi:[0,0,1]
	v_pk_fma_f32 v[124:125], v[126:127], v[114:115], v[124:125] op_sel:[0,0,1] op_sel_hi:[1,0,0]
	v_mov_b32_e32 v129, v125
	ds_load_2addr_b64 v[124:127], v118 offset0:31 offset1:32
	v_pk_add_f32 v[40:41], v[40:41], v[128:129] neg_lo:[0,1] neg_hi:[0,1]
	s_wait_dscnt 0x0
	v_pk_mul_f32 v[128:129], v[124:125], v[116:117] op_sel:[0,1]
	s_delay_alu instid0(VALU_DEP_1) | instskip(SKIP_1) | instid1(VALU_DEP_1)
	v_pk_fma_f32 v[130:131], v[124:125], v[114:115], v[128:129] op_sel:[0,0,1] op_sel_hi:[1,1,0] neg_lo:[0,0,1] neg_hi:[0,0,1]
	v_pk_fma_f32 v[124:125], v[124:125], v[114:115], v[128:129] op_sel:[0,0,1] op_sel_hi:[1,0,0]
	v_mov_b32_e32 v131, v125
	v_pk_mul_f32 v[124:125], v[126:127], v[116:117] op_sel:[0,1]
	s_delay_alu instid0(VALU_DEP_2) | instskip(NEXT) | instid1(VALU_DEP_2)
	v_pk_add_f32 v[36:37], v[36:37], v[130:131] neg_lo:[0,1] neg_hi:[0,1]
	v_pk_fma_f32 v[128:129], v[126:127], v[114:115], v[124:125] op_sel:[0,0,1] op_sel_hi:[1,1,0] neg_lo:[0,0,1] neg_hi:[0,0,1]
	v_pk_fma_f32 v[124:125], v[126:127], v[114:115], v[124:125] op_sel:[0,0,1] op_sel_hi:[1,0,0]
	s_delay_alu instid0(VALU_DEP_1) | instskip(SKIP_4) | instid1(VALU_DEP_1)
	v_mov_b32_e32 v129, v125
	ds_load_2addr_b64 v[124:127], v118 offset0:33 offset1:34
	v_pk_add_f32 v[88:89], v[88:89], v[128:129] neg_lo:[0,1] neg_hi:[0,1]
	s_wait_dscnt 0x0
	v_pk_mul_f32 v[128:129], v[124:125], v[116:117] op_sel:[0,1]
	v_pk_fma_f32 v[130:131], v[124:125], v[114:115], v[128:129] op_sel:[0,0,1] op_sel_hi:[1,1,0] neg_lo:[0,0,1] neg_hi:[0,0,1]
	v_pk_fma_f32 v[124:125], v[124:125], v[114:115], v[128:129] op_sel:[0,0,1] op_sel_hi:[1,0,0]
	v_dual_mul_f32 v128, v127, v117 :: v_dual_mov_b32 v124, v127
	s_delay_alu instid0(VALU_DEP_2) | instskip(NEXT) | instid1(VALU_DEP_2)
	v_dual_mov_b32 v131, v125 :: v_dual_mov_b32 v125, v126
	v_pk_fma_f32 v[128:129], v[126:127], v[110:111], v[128:129] op_sel_hi:[1,1,0] neg_lo:[0,0,1] neg_hi:[0,0,1]
	v_mul_f32_e32 v126, v127, v114
	s_delay_alu instid0(VALU_DEP_3) | instskip(NEXT) | instid1(VALU_DEP_2)
	v_pk_add_f32 v[32:33], v[32:33], v[130:131] neg_lo:[0,1] neg_hi:[0,1]
	v_pk_fma_f32 v[124:125], v[124:125], v[110:111], v[126:127] op_sel_hi:[1,1,0]
	s_delay_alu instid0(VALU_DEP_1) | instskip(SKIP_4) | instid1(VALU_DEP_1)
	v_mov_b32_e32 v129, v125
	ds_load_2addr_b64 v[124:127], v118 offset0:35 offset1:36
	v_pk_add_f32 v[34:35], v[34:35], v[128:129] neg_lo:[0,1] neg_hi:[0,1]
	s_wait_dscnt 0x0
	v_pk_mul_f32 v[128:129], v[124:125], v[116:117] op_sel:[0,1]
	v_pk_fma_f32 v[130:131], v[124:125], v[114:115], v[128:129] op_sel:[0,0,1] op_sel_hi:[1,1,0] neg_lo:[0,0,1] neg_hi:[0,0,1]
	v_pk_fma_f32 v[124:125], v[124:125], v[114:115], v[128:129] op_sel:[0,0,1] op_sel_hi:[1,0,0]
	s_delay_alu instid0(VALU_DEP_1) | instskip(SKIP_1) | instid1(VALU_DEP_1)
	v_mov_b32_e32 v131, v125
	v_pk_mul_f32 v[124:125], v[126:127], v[116:117] op_sel:[0,1]
	v_pk_fma_f32 v[128:129], v[126:127], v[114:115], v[124:125] op_sel:[0,0,1] op_sel_hi:[1,1,0] neg_lo:[0,0,1] neg_hi:[0,0,1]
	v_pk_fma_f32 v[124:125], v[126:127], v[114:115], v[124:125] op_sel:[0,0,1] op_sel_hi:[1,0,0]
	s_delay_alu instid0(VALU_DEP_1)
	v_mov_b32_e32 v129, v125
	ds_load_2addr_b64 v[124:127], v118 offset0:37 offset1:38
	v_pk_add_f32 v[30:31], v[30:31], v[130:131] neg_lo:[0,1] neg_hi:[0,1]
	v_pk_add_f32 v[86:87], v[86:87], v[128:129] neg_lo:[0,1] neg_hi:[0,1]
	s_wait_dscnt 0x0
	v_pk_mul_f32 v[128:129], v[124:125], v[116:117] op_sel:[0,1]
	s_delay_alu instid0(VALU_DEP_1) | instskip(SKIP_1) | instid1(VALU_DEP_1)
	v_pk_fma_f32 v[130:131], v[124:125], v[114:115], v[128:129] op_sel:[0,0,1] op_sel_hi:[1,1,0] neg_lo:[0,0,1] neg_hi:[0,0,1]
	v_pk_fma_f32 v[124:125], v[124:125], v[114:115], v[128:129] op_sel:[0,0,1] op_sel_hi:[1,0,0]
	v_mov_b32_e32 v131, v125
	v_pk_mul_f32 v[124:125], v[126:127], v[116:117] op_sel:[0,1]
	s_delay_alu instid0(VALU_DEP_1) | instskip(SKIP_1) | instid1(VALU_DEP_1)
	v_pk_fma_f32 v[128:129], v[126:127], v[114:115], v[124:125] op_sel:[0,0,1] op_sel_hi:[1,1,0] neg_lo:[0,0,1] neg_hi:[0,0,1]
	v_pk_fma_f32 v[124:125], v[126:127], v[114:115], v[124:125] op_sel:[0,0,1] op_sel_hi:[1,0,0]
	v_mov_b32_e32 v129, v125
	ds_load_2addr_b64 v[124:127], v118 offset0:39 offset1:40
	v_pk_add_f32 v[24:25], v[24:25], v[130:131] neg_lo:[0,1] neg_hi:[0,1]
	v_pk_add_f32 v[26:27], v[26:27], v[128:129] neg_lo:[0,1] neg_hi:[0,1]
	s_wait_dscnt 0x0
	v_dual_mul_f32 v128, v125, v117 :: v_dual_mul_f32 v130, v125, v114
	s_delay_alu instid0(VALU_DEP_1) | instskip(NEXT) | instid1(VALU_DEP_2)
	v_pk_fma_f32 v[128:129], v[124:125], v[110:111], v[128:129] op_sel_hi:[1,1,0] neg_lo:[0,0,1] neg_hi:[0,0,1]
	v_pk_fma_f32 v[124:125], v[124:125], v[110:111], v[130:131] op_sel:[1,0,0] op_sel_hi:[0,1,0]
	s_delay_alu instid0(VALU_DEP_1) | instskip(SKIP_1) | instid1(VALU_DEP_2)
	v_mov_b32_e32 v129, v125
	v_pk_mul_f32 v[124:125], v[126:127], v[116:117] op_sel:[0,1]
	v_pk_add_f32 v[22:23], v[22:23], v[128:129] neg_lo:[0,1] neg_hi:[0,1]
	s_delay_alu instid0(VALU_DEP_2) | instskip(SKIP_1) | instid1(VALU_DEP_1)
	v_pk_fma_f32 v[128:129], v[126:127], v[114:115], v[124:125] op_sel:[0,0,1] op_sel_hi:[1,1,0] neg_lo:[0,0,1] neg_hi:[0,0,1]
	v_pk_fma_f32 v[124:125], v[126:127], v[114:115], v[124:125] op_sel:[0,0,1] op_sel_hi:[1,0,0]
	v_mov_b32_e32 v129, v125
	ds_load_2addr_b64 v[124:127], v118 offset0:41 offset1:42
	v_pk_add_f32 v[84:85], v[84:85], v[128:129] neg_lo:[0,1] neg_hi:[0,1]
	s_wait_dscnt 0x0
	v_pk_mul_f32 v[128:129], v[124:125], v[116:117] op_sel:[0,1]
	s_delay_alu instid0(VALU_DEP_1) | instskip(SKIP_1) | instid1(VALU_DEP_1)
	v_pk_fma_f32 v[130:131], v[124:125], v[114:115], v[128:129] op_sel:[0,0,1] op_sel_hi:[1,1,0] neg_lo:[0,0,1] neg_hi:[0,0,1]
	v_pk_fma_f32 v[124:125], v[124:125], v[114:115], v[128:129] op_sel:[0,0,1] op_sel_hi:[1,0,0]
	v_mov_b32_e32 v131, v125
	v_pk_mul_f32 v[124:125], v[126:127], v[116:117] op_sel:[0,1]
	s_delay_alu instid0(VALU_DEP_2) | instskip(NEXT) | instid1(VALU_DEP_2)
	v_pk_add_f32 v[18:19], v[18:19], v[130:131] neg_lo:[0,1] neg_hi:[0,1]
	v_pk_fma_f32 v[128:129], v[126:127], v[114:115], v[124:125] op_sel:[0,0,1] op_sel_hi:[1,1,0] neg_lo:[0,0,1] neg_hi:[0,0,1]
	v_pk_fma_f32 v[124:125], v[126:127], v[114:115], v[124:125] op_sel:[0,0,1] op_sel_hi:[1,0,0]
	s_delay_alu instid0(VALU_DEP_1) | instskip(SKIP_4) | instid1(VALU_DEP_1)
	v_mov_b32_e32 v129, v125
	ds_load_2addr_b64 v[124:127], v118 offset0:43 offset1:44
	v_pk_add_f32 v[20:21], v[20:21], v[128:129] neg_lo:[0,1] neg_hi:[0,1]
	s_wait_dscnt 0x0
	v_pk_mul_f32 v[128:129], v[124:125], v[116:117] op_sel:[0,1]
	v_pk_fma_f32 v[130:131], v[124:125], v[114:115], v[128:129] op_sel:[0,0,1] op_sel_hi:[1,1,0] neg_lo:[0,0,1] neg_hi:[0,0,1]
	v_pk_fma_f32 v[124:125], v[124:125], v[114:115], v[128:129] op_sel:[0,0,1] op_sel_hi:[1,0,0]
	v_dual_mul_f32 v128, v127, v117 :: v_dual_mov_b32 v124, v127
	s_delay_alu instid0(VALU_DEP_2) | instskip(NEXT) | instid1(VALU_DEP_2)
	v_dual_mov_b32 v131, v125 :: v_dual_mov_b32 v125, v126
	v_pk_fma_f32 v[128:129], v[126:127], v[110:111], v[128:129] op_sel_hi:[1,1,0] neg_lo:[0,0,1] neg_hi:[0,0,1]
	v_mul_f32_e32 v126, v127, v114
	s_delay_alu instid0(VALU_DEP_3) | instskip(NEXT) | instid1(VALU_DEP_2)
	v_pk_add_f32 v[16:17], v[16:17], v[130:131] neg_lo:[0,1] neg_hi:[0,1]
	v_pk_fma_f32 v[124:125], v[124:125], v[110:111], v[126:127] op_sel_hi:[1,1,0]
	s_delay_alu instid0(VALU_DEP_1) | instskip(SKIP_4) | instid1(VALU_DEP_1)
	v_mov_b32_e32 v129, v125
	ds_load_2addr_b64 v[124:127], v118 offset0:45 offset1:46
	v_pk_add_f32 v[82:83], v[82:83], v[128:129] neg_lo:[0,1] neg_hi:[0,1]
	s_wait_dscnt 0x0
	v_pk_mul_f32 v[128:129], v[124:125], v[116:117] op_sel:[0,1]
	v_pk_fma_f32 v[130:131], v[124:125], v[114:115], v[128:129] op_sel:[0,0,1] op_sel_hi:[1,1,0] neg_lo:[0,0,1] neg_hi:[0,0,1]
	v_pk_fma_f32 v[124:125], v[124:125], v[114:115], v[128:129] op_sel:[0,0,1] op_sel_hi:[1,0,0]
	s_delay_alu instid0(VALU_DEP_1) | instskip(SKIP_1) | instid1(VALU_DEP_1)
	v_mov_b32_e32 v131, v125
	v_pk_mul_f32 v[124:125], v[126:127], v[116:117] op_sel:[0,1]
	v_pk_fma_f32 v[128:129], v[126:127], v[114:115], v[124:125] op_sel:[0,0,1] op_sel_hi:[1,1,0] neg_lo:[0,0,1] neg_hi:[0,0,1]
	v_pk_fma_f32 v[124:125], v[126:127], v[114:115], v[124:125] op_sel:[0,0,1] op_sel_hi:[1,0,0]
	s_delay_alu instid0(VALU_DEP_1)
	v_mov_b32_e32 v129, v125
	ds_load_2addr_b64 v[124:127], v118 offset0:47 offset1:48
	v_pk_add_f32 v[10:11], v[10:11], v[130:131] neg_lo:[0,1] neg_hi:[0,1]
	v_pk_add_f32 v[12:13], v[12:13], v[128:129] neg_lo:[0,1] neg_hi:[0,1]
	s_wait_dscnt 0x0
	v_pk_mul_f32 v[128:129], v[124:125], v[116:117] op_sel:[0,1]
	s_delay_alu instid0(VALU_DEP_1) | instskip(SKIP_1) | instid1(VALU_DEP_1)
	v_pk_fma_f32 v[130:131], v[124:125], v[114:115], v[128:129] op_sel:[0,0,1] op_sel_hi:[1,1,0] neg_lo:[0,0,1] neg_hi:[0,0,1]
	v_pk_fma_f32 v[124:125], v[124:125], v[114:115], v[128:129] op_sel:[0,0,1] op_sel_hi:[1,0,0]
	v_mov_b32_e32 v131, v125
	v_pk_mul_f32 v[124:125], v[126:127], v[116:117] op_sel:[0,1]
	s_delay_alu instid0(VALU_DEP_1) | instskip(SKIP_1) | instid1(VALU_DEP_1)
	v_pk_fma_f32 v[128:129], v[126:127], v[114:115], v[124:125] op_sel:[0,0,1] op_sel_hi:[1,1,0] neg_lo:[0,0,1] neg_hi:[0,0,1]
	v_pk_fma_f32 v[124:125], v[126:127], v[114:115], v[124:125] op_sel:[0,0,1] op_sel_hi:[1,0,0]
	v_mov_b32_e32 v129, v125
	ds_load_2addr_b64 v[124:127], v118 offset0:49 offset1:50
	v_pk_add_f32 v[8:9], v[8:9], v[130:131] neg_lo:[0,1] neg_hi:[0,1]
	v_pk_add_f32 v[66:67], v[66:67], v[128:129] neg_lo:[0,1] neg_hi:[0,1]
	s_wait_dscnt 0x0
	v_dual_mul_f32 v128, v125, v117 :: v_dual_mul_f32 v130, v125, v114
	s_delay_alu instid0(VALU_DEP_1) | instskip(NEXT) | instid1(VALU_DEP_2)
	v_pk_fma_f32 v[128:129], v[124:125], v[110:111], v[128:129] op_sel_hi:[1,1,0] neg_lo:[0,0,1] neg_hi:[0,0,1]
	v_pk_fma_f32 v[124:125], v[124:125], v[110:111], v[130:131] op_sel:[1,0,0] op_sel_hi:[0,1,0]
	s_delay_alu instid0(VALU_DEP_1) | instskip(SKIP_1) | instid1(VALU_DEP_2)
	v_mov_b32_e32 v129, v125
	v_pk_mul_f32 v[124:125], v[126:127], v[116:117] op_sel:[0,1]
	v_pk_add_f32 v[6:7], v[6:7], v[128:129] neg_lo:[0,1] neg_hi:[0,1]
	s_delay_alu instid0(VALU_DEP_2) | instskip(SKIP_1) | instid1(VALU_DEP_1)
	v_pk_fma_f32 v[128:129], v[126:127], v[114:115], v[124:125] op_sel:[0,0,1] op_sel_hi:[1,1,0] neg_lo:[0,0,1] neg_hi:[0,0,1]
	v_pk_fma_f32 v[124:125], v[126:127], v[114:115], v[124:125] op_sel:[0,0,1] op_sel_hi:[1,0,0]
	v_mov_b32_e32 v129, v125
	ds_load_2addr_b64 v[124:127], v118 offset0:51 offset1:52
	v_pk_add_f32 v[46:47], v[46:47], v[128:129] neg_lo:[0,1] neg_hi:[0,1]
	s_wait_dscnt 0x0
	v_pk_mul_f32 v[128:129], v[124:125], v[116:117] op_sel:[0,1]
	s_delay_alu instid0(VALU_DEP_1) | instskip(SKIP_1) | instid1(VALU_DEP_1)
	v_pk_fma_f32 v[130:131], v[124:125], v[114:115], v[128:129] op_sel:[0,0,1] op_sel_hi:[1,1,0] neg_lo:[0,0,1] neg_hi:[0,0,1]
	v_pk_fma_f32 v[124:125], v[124:125], v[114:115], v[128:129] op_sel:[0,0,1] op_sel_hi:[1,0,0]
	v_mov_b32_e32 v131, v125
	v_pk_mul_f32 v[124:125], v[126:127], v[116:117] op_sel:[0,1]
	s_delay_alu instid0(VALU_DEP_2) | instskip(NEXT) | instid1(VALU_DEP_2)
	v_pk_add_f32 v[28:29], v[28:29], v[130:131] neg_lo:[0,1] neg_hi:[0,1]
	v_pk_fma_f32 v[128:129], v[126:127], v[114:115], v[124:125] op_sel:[0,0,1] op_sel_hi:[1,1,0] neg_lo:[0,0,1] neg_hi:[0,0,1]
	v_pk_fma_f32 v[124:125], v[126:127], v[114:115], v[124:125] op_sel:[0,0,1] op_sel_hi:[1,0,0]
	s_delay_alu instid0(VALU_DEP_1) | instskip(SKIP_4) | instid1(VALU_DEP_1)
	v_mov_b32_e32 v129, v125
	ds_load_b64 v[124:125], v118 offset:424
	v_pk_add_f32 v[14:15], v[14:15], v[128:129] neg_lo:[0,1] neg_hi:[0,1]
	s_wait_dscnt 0x0
	v_pk_mul_f32 v[116:117], v[124:125], v[116:117] op_sel:[0,1]
	v_pk_fma_f32 v[126:127], v[124:125], v[114:115], v[116:117] op_sel:[0,0,1] op_sel_hi:[1,1,0] neg_lo:[0,0,1] neg_hi:[0,0,1]
	v_pk_fma_f32 v[114:115], v[124:125], v[114:115], v[116:117] op_sel:[0,0,1] op_sel_hi:[1,0,0]
	s_delay_alu instid0(VALU_DEP_1) | instskip(NEXT) | instid1(VALU_DEP_1)
	v_mov_b32_e32 v127, v115
	v_pk_add_f32 v[112:113], v[112:113], v[126:127] neg_lo:[0,1] neg_hi:[0,1]
.LBB106_22:
	s_or_b32 exec_lo, exec_lo, s0
	v_lshl_add_u32 v114, v122, 3, v118
	s_barrier_signal -1
	s_barrier_wait -1
	ds_store_b64 v114, v[108:109]
	s_wait_dscnt 0x0
	s_barrier_signal -1
	s_barrier_wait -1
	ds_load_b64 v[116:117], v118 offset:8
	v_mov_b32_e32 v114, 1
	s_cmp_lt_i32 s18, 3
	s_cbranch_scc1 .LBB106_25
; %bb.23:
	v_add3_u32 v115, v119, 0, 16
	v_mov_b32_e32 v114, 1
	s_mov_b32 s0, 2
.LBB106_24:                             ; =>This Inner Loop Header: Depth=1
	ds_load_b64 v[124:125], v115
	s_wait_dscnt 0x1
	v_cmp_gt_f32_e32 vcc_lo, 0, v116
	v_cndmask_b32_e64 v126, v116, -v116, vcc_lo
	v_cmp_gt_f32_e32 vcc_lo, 0, v117
	v_cndmask_b32_e64 v128, v117, -v117, vcc_lo
	s_wait_dscnt 0x0
	v_cmp_gt_f32_e32 vcc_lo, 0, v124
	v_cndmask_b32_e64 v127, v124, -v124, vcc_lo
	v_cmp_gt_f32_e32 vcc_lo, 0, v125
	v_cndmask_b32_e64 v129, v125, -v125, vcc_lo
	s_delay_alu instid0(VALU_DEP_1) | instskip(NEXT) | instid1(VALU_DEP_1)
	v_pk_add_f32 v[126:127], v[126:127], v[128:129]
	v_cmp_lt_f32_e32 vcc_lo, v126, v127
	v_dual_add_nc_u32 v115, 8, v115 :: v_dual_cndmask_b32 v117, v117, v125, vcc_lo
	v_cndmask_b32_e32 v116, v116, v124, vcc_lo
	v_cndmask_b32_e64 v114, v114, s0, vcc_lo
	s_add_co_i32 s0, s0, 1
	s_delay_alu instid0(SALU_CYCLE_1)
	s_cmp_lg_u32 s18, s0
	s_cbranch_scc1 .LBB106_24
.LBB106_25:
	s_wait_dscnt 0x0
	v_cmp_neq_f32_e32 vcc_lo, 0, v116
	v_cmp_neq_f32_e64 s0, 0, v117
	s_or_b32 s1, vcc_lo, s0
	s_delay_alu instid0(SALU_CYCLE_1)
	s_and_saveexec_b32 s0, s1
	s_cbranch_execz .LBB106_31
; %bb.26:
	v_cmp_ngt_f32_e64 s1, |v116|, |v117|
	s_and_saveexec_b32 s12, s1
	s_delay_alu instid0(SALU_CYCLE_1)
	s_xor_b32 s1, exec_lo, s12
	s_cbranch_execz .LBB106_28
; %bb.27:
	v_div_scale_f32 v115, null, v117, v117, v116
	v_div_scale_f32 v125, vcc_lo, v116, v117, v116
	s_delay_alu instid0(VALU_DEP_2) | instskip(SKIP_1) | instid1(TRANS32_DEP_1)
	v_rcp_f32_e32 v120, v115
	v_nop
	v_fma_f32 v124, -v115, v120, 1.0
	s_delay_alu instid0(VALU_DEP_1) | instskip(NEXT) | instid1(VALU_DEP_1)
	v_fmac_f32_e32 v120, v124, v120
	v_mul_f32_e32 v124, v125, v120
	s_delay_alu instid0(VALU_DEP_1) | instskip(NEXT) | instid1(VALU_DEP_1)
	v_fma_f32 v126, -v115, v124, v125
	v_fmac_f32_e32 v124, v126, v120
	s_delay_alu instid0(VALU_DEP_1) | instskip(NEXT) | instid1(VALU_DEP_1)
	v_fma_f32 v115, -v115, v124, v125
	v_div_fmas_f32 v115, v115, v120, v124
	s_delay_alu instid0(VALU_DEP_1) | instskip(NEXT) | instid1(VALU_DEP_1)
	v_div_fixup_f32 v115, v115, v117, v116
	v_fmac_f32_e32 v117, v116, v115
	s_delay_alu instid0(VALU_DEP_1) | instskip(SKIP_1) | instid1(VALU_DEP_2)
	v_div_scale_f32 v116, null, v117, v117, 1.0
	v_div_scale_f32 v125, vcc_lo, 1.0, v117, 1.0
	v_rcp_f32_e32 v120, v116
	v_nop
	s_delay_alu instid0(TRANS32_DEP_1) | instskip(NEXT) | instid1(VALU_DEP_1)
	v_fma_f32 v124, -v116, v120, 1.0
	v_fmac_f32_e32 v120, v124, v120
	s_delay_alu instid0(VALU_DEP_1) | instskip(NEXT) | instid1(VALU_DEP_1)
	v_mul_f32_e32 v124, v125, v120
	v_fma_f32 v126, -v116, v124, v125
	s_delay_alu instid0(VALU_DEP_1) | instskip(NEXT) | instid1(VALU_DEP_1)
	v_fmac_f32_e32 v124, v126, v120
	v_fma_f32 v116, -v116, v124, v125
	s_delay_alu instid0(VALU_DEP_1) | instskip(NEXT) | instid1(VALU_DEP_1)
	v_div_fmas_f32 v116, v116, v120, v124
	v_div_fixup_f32 v117, v116, v117, 1.0
	s_delay_alu instid0(VALU_DEP_1)
	v_mul_f32_e32 v116, v115, v117
	v_xor_b32_e32 v117, 0x80000000, v117
.LBB106_28:
	s_and_not1_saveexec_b32 s1, s1
	s_cbranch_execz .LBB106_30
; %bb.29:
	s_delay_alu instid0(VALU_DEP_1) | instskip(SKIP_1) | instid1(VALU_DEP_2)
	v_div_scale_f32 v115, null, v116, v116, v117
	v_div_scale_f32 v125, vcc_lo, v117, v116, v117
	v_rcp_f32_e32 v120, v115
	v_nop
	s_delay_alu instid0(TRANS32_DEP_1) | instskip(NEXT) | instid1(VALU_DEP_1)
	v_fma_f32 v124, -v115, v120, 1.0
	v_fmac_f32_e32 v120, v124, v120
	s_delay_alu instid0(VALU_DEP_1) | instskip(NEXT) | instid1(VALU_DEP_1)
	v_mul_f32_e32 v124, v125, v120
	v_fma_f32 v126, -v115, v124, v125
	s_delay_alu instid0(VALU_DEP_1) | instskip(NEXT) | instid1(VALU_DEP_1)
	v_fmac_f32_e32 v124, v126, v120
	v_fma_f32 v115, -v115, v124, v125
	s_delay_alu instid0(VALU_DEP_1) | instskip(NEXT) | instid1(VALU_DEP_1)
	v_div_fmas_f32 v115, v115, v120, v124
	v_div_fixup_f32 v115, v115, v116, v117
	s_delay_alu instid0(VALU_DEP_1) | instskip(NEXT) | instid1(VALU_DEP_1)
	v_fmac_f32_e32 v116, v117, v115
	v_div_scale_f32 v117, null, v116, v116, 1.0
	s_delay_alu instid0(VALU_DEP_1) | instskip(SKIP_1) | instid1(TRANS32_DEP_1)
	v_rcp_f32_e32 v120, v117
	v_nop
	v_fma_f32 v124, -v117, v120, 1.0
	s_delay_alu instid0(VALU_DEP_1) | instskip(SKIP_1) | instid1(VALU_DEP_1)
	v_fmac_f32_e32 v120, v124, v120
	v_div_scale_f32 v124, vcc_lo, 1.0, v116, 1.0
	v_mul_f32_e32 v125, v124, v120
	s_delay_alu instid0(VALU_DEP_1) | instskip(NEXT) | instid1(VALU_DEP_1)
	v_fma_f32 v126, -v117, v125, v124
	v_fmac_f32_e32 v125, v126, v120
	s_delay_alu instid0(VALU_DEP_1) | instskip(NEXT) | instid1(VALU_DEP_1)
	v_fma_f32 v117, -v117, v125, v124
	v_div_fmas_f32 v117, v117, v120, v125
	s_delay_alu instid0(VALU_DEP_1) | instskip(NEXT) | instid1(VALU_DEP_1)
	v_div_fixup_f32 v116, v117, v116, 1.0
	v_mul_f32_e64 v117, v115, -v116
.LBB106_30:
	s_or_b32 exec_lo, exec_lo, s1
	v_mov_b32_e32 v120, v123
.LBB106_31:
	s_or_b32 exec_lo, exec_lo, s0
	s_delay_alu instid0(SALU_CYCLE_1)
	s_mov_b32 s0, exec_lo
	v_cmpx_ne_u32_e64 v122, v114
	s_xor_b32 s0, exec_lo, s0
	s_cbranch_execz .LBB106_37
; %bb.32:
	s_mov_b32 s1, exec_lo
	v_cmpx_eq_u32_e32 1, v122
	s_cbranch_execz .LBB106_36
; %bb.33:
	v_cmp_ne_u32_e32 vcc_lo, 1, v114
	s_xor_b32 s12, s16, -1
	s_delay_alu instid0(SALU_CYCLE_1) | instskip(NEXT) | instid1(SALU_CYCLE_1)
	s_and_b32 s13, s12, vcc_lo
	s_and_saveexec_b32 s12, s13
	s_cbranch_execz .LBB106_35
; %bb.34:
	v_ashrrev_i32_e32 v115, 31, v114
	s_delay_alu instid0(VALU_DEP_1)
	v_lshl_add_u64 v[122:123], v[114:115], 2, v[4:5]
	s_clause 0x1
	global_load_b32 v115, v[122:123], off
	global_load_b32 v121, v[4:5], off offset:4
	s_wait_loadcnt 0x1
	global_store_b32 v[4:5], v115, off offset:4
	s_wait_loadcnt 0x0
	global_store_b32 v[122:123], v121, off
.LBB106_35:
	s_wait_xcnt 0x0
	s_or_b32 exec_lo, exec_lo, s12
	v_dual_mov_b32 v122, v114 :: v_dual_mov_b32 v121, v114
.LBB106_36:
	s_or_b32 exec_lo, exec_lo, s1
.LBB106_37:
	s_and_not1_saveexec_b32 s0, s0
	s_cbranch_execz .LBB106_39
; %bb.38:
	v_dual_mov_b32 v114, v106 :: v_dual_mov_b32 v115, v107
	v_dual_mov_b32 v122, v104 :: v_dual_mov_b32 v123, v105
	;; [unrolled: 1-line block ×8, first 2 shown]
	ds_store_2addr_b64 v118, v[114:115], v[122:123] offset0:2 offset1:3
	ds_store_2addr_b64 v118, v[124:125], v[126:127] offset0:4 offset1:5
	ds_store_2addr_b64 v118, v[128:129], v[130:131] offset0:6 offset1:7
	ds_store_2addr_b64 v118, v[132:133], v[134:135] offset0:8 offset1:9
	v_dual_mov_b32 v114, v80 :: v_dual_mov_b32 v115, v81
	v_dual_mov_b32 v122, v76 :: v_dual_mov_b32 v123, v77
	v_dual_mov_b32 v124, v100 :: v_dual_mov_b32 v125, v101
	v_dual_mov_b32 v126, v72 :: v_dual_mov_b32 v127, v73
	v_dual_mov_b32 v128, v74 :: v_dual_mov_b32 v129, v75
	v_dual_mov_b32 v130, v70 :: v_dual_mov_b32 v131, v71
	v_dual_mov_b32 v132, v98 :: v_dual_mov_b32 v133, v99
	v_dual_mov_b32 v134, v64 :: v_dual_mov_b32 v135, v65
	v_dual_mov_b32 v136, v68 :: v_dual_mov_b32 v137, v69
	v_dual_mov_b32 v138, v62 :: v_dual_mov_b32 v139, v63
	v_dual_mov_b32 v140, v96 :: v_dual_mov_b32 v141, v97
	v_dual_mov_b32 v142, v58 :: v_dual_mov_b32 v143, v59
	ds_store_2addr_b64 v118, v[114:115], v[122:123] offset0:10 offset1:11
	ds_store_2addr_b64 v118, v[124:125], v[126:127] offset0:12 offset1:13
	ds_store_2addr_b64 v118, v[128:129], v[130:131] offset0:14 offset1:15
	ds_store_2addr_b64 v118, v[132:133], v[134:135] offset0:16 offset1:17
	ds_store_2addr_b64 v118, v[136:137], v[138:139] offset0:18 offset1:19
	ds_store_2addr_b64 v118, v[140:141], v[142:143] offset0:20 offset1:21
	v_dual_mov_b32 v114, v60 :: v_dual_mov_b32 v115, v61
	v_dual_mov_b32 v122, v56 :: v_dual_mov_b32 v123, v57
	v_dual_mov_b32 v124, v94 :: v_dual_mov_b32 v125, v95
	v_dual_mov_b32 v126, v52 :: v_dual_mov_b32 v127, v53
	v_dual_mov_b32 v128, v54 :: v_dual_mov_b32 v129, v55
	v_dual_mov_b32 v130, v50 :: v_dual_mov_b32 v131, v51
	v_dual_mov_b32 v132, v90 :: v_dual_mov_b32 v133, v91
	v_dual_mov_b32 v134, v38 :: v_dual_mov_b32 v135, v39
	v_dual_mov_b32 v136, v40 :: v_dual_mov_b32 v137, v41
	v_dual_mov_b32 v138, v36 :: v_dual_mov_b32 v139, v37
	v_dual_mov_b32 v140, v88 :: v_dual_mov_b32 v141, v89
	v_dual_mov_b32 v142, v32 :: v_dual_mov_b32 v143, v33
	ds_store_2addr_b64 v118, v[114:115], v[122:123] offset0:22 offset1:23
	ds_store_2addr_b64 v118, v[124:125], v[126:127] offset0:24 offset1:25
	;; [unrolled: 18-line block ×3, first 2 shown]
	ds_store_2addr_b64 v118, v[128:129], v[130:131] offset0:38 offset1:39
	ds_store_2addr_b64 v118, v[132:133], v[134:135] offset0:40 offset1:41
	;; [unrolled: 1-line block ×4, first 2 shown]
	v_dual_mov_b32 v114, v12 :: v_dual_mov_b32 v115, v13
	v_dual_mov_b32 v124, v8 :: v_dual_mov_b32 v125, v9
	;; [unrolled: 1-line block ×7, first 2 shown]
	v_mov_b32_e32 v135, v15
	ds_store_2addr_b64 v118, v[114:115], v[124:125] offset0:46 offset1:47
	ds_store_2addr_b64 v118, v[126:127], v[128:129] offset0:48 offset1:49
	;; [unrolled: 1-line block ×4, first 2 shown]
.LBB106_39:
	s_or_b32 exec_lo, exec_lo, s0
	s_delay_alu instid0(SALU_CYCLE_1)
	s_mov_b32 s0, exec_lo
	s_wait_storecnt_dscnt 0x0
	s_barrier_signal -1
	s_barrier_wait -1
	v_cmpx_lt_i32_e32 1, v122
	s_cbranch_execz .LBB106_41
; %bb.40:
	v_pk_mul_f32 v[124:125], v[116:117], v[108:109] op_sel:[1,1] op_sel_hi:[0,1]
	s_delay_alu instid0(VALU_DEP_1)
	v_pk_fma_f32 v[114:115], v[116:117], v[108:109], v[124:125] op_sel_hi:[1,0,1] neg_lo:[0,0,1] neg_hi:[0,0,1]
	v_pk_fma_f32 v[116:117], v[116:117], v[108:109], v[124:125] op_sel_hi:[1,0,1]
	ds_load_2addr_b64 v[124:127], v118 offset0:2 offset1:3
	v_dual_mov_b32 v108, v114 :: v_dual_mov_b32 v109, v117
	s_wait_dscnt 0x0
	v_pk_mul_f32 v[128:129], v[124:125], v[116:117] op_sel:[0,1]
	s_delay_alu instid0(VALU_DEP_1) | instskip(SKIP_1) | instid1(VALU_DEP_1)
	v_pk_fma_f32 v[130:131], v[124:125], v[114:115], v[128:129] op_sel:[0,0,1] op_sel_hi:[1,1,0] neg_lo:[0,0,1] neg_hi:[0,0,1]
	v_pk_fma_f32 v[124:125], v[124:125], v[114:115], v[128:129] op_sel:[0,0,1] op_sel_hi:[1,0,0]
	v_mov_b32_e32 v131, v125
	v_pk_mul_f32 v[124:125], v[126:127], v[116:117] op_sel:[0,1]
	s_delay_alu instid0(VALU_DEP_1) | instskip(SKIP_1) | instid1(VALU_DEP_1)
	v_pk_fma_f32 v[128:129], v[126:127], v[114:115], v[124:125] op_sel:[0,0,1] op_sel_hi:[1,1,0] neg_lo:[0,0,1] neg_hi:[0,0,1]
	v_pk_fma_f32 v[124:125], v[126:127], v[114:115], v[124:125] op_sel:[0,0,1] op_sel_hi:[1,0,0]
	v_mov_b32_e32 v129, v125
	ds_load_2addr_b64 v[124:127], v118 offset0:4 offset1:5
	v_pk_add_f32 v[106:107], v[106:107], v[130:131] neg_lo:[0,1] neg_hi:[0,1]
	v_pk_add_f32 v[104:105], v[104:105], v[128:129] neg_lo:[0,1] neg_hi:[0,1]
	s_wait_dscnt 0x0
	v_pk_mul_f32 v[128:129], v[124:125], v[116:117] op_sel:[0,1]
	s_delay_alu instid0(VALU_DEP_1) | instskip(SKIP_2) | instid1(VALU_DEP_2)
	v_pk_fma_f32 v[130:131], v[124:125], v[114:115], v[128:129] op_sel:[0,0,1] op_sel_hi:[1,1,0] neg_lo:[0,0,1] neg_hi:[0,0,1]
	v_pk_fma_f32 v[124:125], v[124:125], v[114:115], v[128:129] op_sel:[0,0,1] op_sel_hi:[1,0,0]
	v_dual_mul_f32 v128, v127, v117 :: v_dual_mov_b32 v124, v127
	v_dual_mov_b32 v131, v125 :: v_dual_mov_b32 v125, v126
	s_delay_alu instid0(VALU_DEP_2) | instskip(SKIP_1) | instid1(VALU_DEP_3)
	v_pk_fma_f32 v[128:129], v[126:127], v[108:109], v[128:129] op_sel_hi:[1,1,0] neg_lo:[0,0,1] neg_hi:[0,0,1]
	v_mul_f32_e32 v126, v127, v114
	v_pk_add_f32 v[92:93], v[92:93], v[130:131] neg_lo:[0,1] neg_hi:[0,1]
	s_delay_alu instid0(VALU_DEP_2) | instskip(NEXT) | instid1(VALU_DEP_1)
	v_pk_fma_f32 v[124:125], v[124:125], v[108:109], v[126:127] op_sel_hi:[1,1,0]
	v_mov_b32_e32 v129, v125
	ds_load_2addr_b64 v[124:127], v118 offset0:6 offset1:7
	v_pk_add_f32 v[44:45], v[44:45], v[128:129] neg_lo:[0,1] neg_hi:[0,1]
	s_wait_dscnt 0x0
	v_pk_mul_f32 v[128:129], v[124:125], v[116:117] op_sel:[0,1]
	s_delay_alu instid0(VALU_DEP_1) | instskip(SKIP_1) | instid1(VALU_DEP_1)
	v_pk_fma_f32 v[130:131], v[124:125], v[114:115], v[128:129] op_sel:[0,0,1] op_sel_hi:[1,1,0] neg_lo:[0,0,1] neg_hi:[0,0,1]
	v_pk_fma_f32 v[124:125], v[124:125], v[114:115], v[128:129] op_sel:[0,0,1] op_sel_hi:[1,0,0]
	v_mov_b32_e32 v131, v125
	v_pk_mul_f32 v[124:125], v[126:127], v[116:117] op_sel:[0,1]
	s_delay_alu instid0(VALU_DEP_1) | instskip(SKIP_1) | instid1(VALU_DEP_1)
	v_pk_fma_f32 v[128:129], v[126:127], v[114:115], v[124:125] op_sel:[0,0,1] op_sel_hi:[1,1,0] neg_lo:[0,0,1] neg_hi:[0,0,1]
	v_pk_fma_f32 v[124:125], v[126:127], v[114:115], v[124:125] op_sel:[0,0,1] op_sel_hi:[1,0,0]
	v_mov_b32_e32 v129, v125
	ds_load_2addr_b64 v[124:127], v118 offset0:8 offset1:9
	v_pk_add_f32 v[48:49], v[48:49], v[130:131] neg_lo:[0,1] neg_hi:[0,1]
	v_pk_add_f32 v[42:43], v[42:43], v[128:129] neg_lo:[0,1] neg_hi:[0,1]
	s_wait_dscnt 0x0
	v_pk_mul_f32 v[128:129], v[124:125], v[116:117] op_sel:[0,1]
	s_delay_alu instid0(VALU_DEP_1) | instskip(SKIP_1) | instid1(VALU_DEP_1)
	v_pk_fma_f32 v[130:131], v[124:125], v[114:115], v[128:129] op_sel:[0,0,1] op_sel_hi:[1,1,0] neg_lo:[0,0,1] neg_hi:[0,0,1]
	v_pk_fma_f32 v[124:125], v[124:125], v[114:115], v[128:129] op_sel:[0,0,1] op_sel_hi:[1,0,0]
	v_mov_b32_e32 v131, v125
	v_pk_mul_f32 v[124:125], v[126:127], v[116:117] op_sel:[0,1]
	s_delay_alu instid0(VALU_DEP_1) | instskip(SKIP_1) | instid1(VALU_DEP_1)
	v_pk_fma_f32 v[128:129], v[126:127], v[114:115], v[124:125] op_sel:[0,0,1] op_sel_hi:[1,1,0] neg_lo:[0,0,1] neg_hi:[0,0,1]
	v_pk_fma_f32 v[124:125], v[126:127], v[114:115], v[124:125] op_sel:[0,0,1] op_sel_hi:[1,0,0]
	v_mov_b32_e32 v129, v125
	ds_load_2addr_b64 v[124:127], v118 offset0:10 offset1:11
	v_pk_add_f32 v[102:103], v[102:103], v[130:131] neg_lo:[0,1] neg_hi:[0,1]
	v_pk_add_f32 v[78:79], v[78:79], v[128:129] neg_lo:[0,1] neg_hi:[0,1]
	s_wait_dscnt 0x0
	v_dual_mul_f32 v128, v125, v117 :: v_dual_mul_f32 v130, v125, v114
	s_delay_alu instid0(VALU_DEP_1) | instskip(NEXT) | instid1(VALU_DEP_2)
	v_pk_fma_f32 v[128:129], v[124:125], v[108:109], v[128:129] op_sel_hi:[1,1,0] neg_lo:[0,0,1] neg_hi:[0,0,1]
	v_pk_fma_f32 v[124:125], v[124:125], v[108:109], v[130:131] op_sel:[1,0,0] op_sel_hi:[0,1,0]
	s_delay_alu instid0(VALU_DEP_1) | instskip(SKIP_1) | instid1(VALU_DEP_2)
	v_mov_b32_e32 v129, v125
	v_pk_mul_f32 v[124:125], v[126:127], v[116:117] op_sel:[0,1]
	v_pk_add_f32 v[80:81], v[80:81], v[128:129] neg_lo:[0,1] neg_hi:[0,1]
	s_delay_alu instid0(VALU_DEP_2) | instskip(SKIP_1) | instid1(VALU_DEP_1)
	v_pk_fma_f32 v[128:129], v[126:127], v[114:115], v[124:125] op_sel:[0,0,1] op_sel_hi:[1,1,0] neg_lo:[0,0,1] neg_hi:[0,0,1]
	v_pk_fma_f32 v[124:125], v[126:127], v[114:115], v[124:125] op_sel:[0,0,1] op_sel_hi:[1,0,0]
	v_mov_b32_e32 v129, v125
	ds_load_2addr_b64 v[124:127], v118 offset0:12 offset1:13
	v_pk_add_f32 v[76:77], v[76:77], v[128:129] neg_lo:[0,1] neg_hi:[0,1]
	s_wait_dscnt 0x0
	v_pk_mul_f32 v[128:129], v[124:125], v[116:117] op_sel:[0,1]
	s_delay_alu instid0(VALU_DEP_1) | instskip(SKIP_1) | instid1(VALU_DEP_1)
	v_pk_fma_f32 v[130:131], v[124:125], v[114:115], v[128:129] op_sel:[0,0,1] op_sel_hi:[1,1,0] neg_lo:[0,0,1] neg_hi:[0,0,1]
	v_pk_fma_f32 v[124:125], v[124:125], v[114:115], v[128:129] op_sel:[0,0,1] op_sel_hi:[1,0,0]
	v_mov_b32_e32 v131, v125
	v_pk_mul_f32 v[124:125], v[126:127], v[116:117] op_sel:[0,1]
	s_delay_alu instid0(VALU_DEP_2) | instskip(NEXT) | instid1(VALU_DEP_2)
	v_pk_add_f32 v[100:101], v[100:101], v[130:131] neg_lo:[0,1] neg_hi:[0,1]
	v_pk_fma_f32 v[128:129], v[126:127], v[114:115], v[124:125] op_sel:[0,0,1] op_sel_hi:[1,1,0] neg_lo:[0,0,1] neg_hi:[0,0,1]
	v_pk_fma_f32 v[124:125], v[126:127], v[114:115], v[124:125] op_sel:[0,0,1] op_sel_hi:[1,0,0]
	s_delay_alu instid0(VALU_DEP_1) | instskip(SKIP_4) | instid1(VALU_DEP_1)
	v_mov_b32_e32 v129, v125
	ds_load_2addr_b64 v[124:127], v118 offset0:14 offset1:15
	v_pk_add_f32 v[72:73], v[72:73], v[128:129] neg_lo:[0,1] neg_hi:[0,1]
	s_wait_dscnt 0x0
	v_pk_mul_f32 v[128:129], v[124:125], v[116:117] op_sel:[0,1]
	v_pk_fma_f32 v[130:131], v[124:125], v[114:115], v[128:129] op_sel:[0,0,1] op_sel_hi:[1,1,0] neg_lo:[0,0,1] neg_hi:[0,0,1]
	v_pk_fma_f32 v[124:125], v[124:125], v[114:115], v[128:129] op_sel:[0,0,1] op_sel_hi:[1,0,0]
	v_dual_mul_f32 v128, v127, v117 :: v_dual_mov_b32 v124, v127
	s_delay_alu instid0(VALU_DEP_2) | instskip(NEXT) | instid1(VALU_DEP_2)
	v_dual_mov_b32 v131, v125 :: v_dual_mov_b32 v125, v126
	v_pk_fma_f32 v[128:129], v[126:127], v[108:109], v[128:129] op_sel_hi:[1,1,0] neg_lo:[0,0,1] neg_hi:[0,0,1]
	v_mul_f32_e32 v126, v127, v114
	s_delay_alu instid0(VALU_DEP_3) | instskip(NEXT) | instid1(VALU_DEP_2)
	v_pk_add_f32 v[74:75], v[74:75], v[130:131] neg_lo:[0,1] neg_hi:[0,1]
	v_pk_fma_f32 v[124:125], v[124:125], v[108:109], v[126:127] op_sel_hi:[1,1,0]
	s_delay_alu instid0(VALU_DEP_1) | instskip(SKIP_4) | instid1(VALU_DEP_1)
	v_mov_b32_e32 v129, v125
	ds_load_2addr_b64 v[124:127], v118 offset0:16 offset1:17
	v_pk_add_f32 v[70:71], v[70:71], v[128:129] neg_lo:[0,1] neg_hi:[0,1]
	s_wait_dscnt 0x0
	v_pk_mul_f32 v[128:129], v[124:125], v[116:117] op_sel:[0,1]
	v_pk_fma_f32 v[130:131], v[124:125], v[114:115], v[128:129] op_sel:[0,0,1] op_sel_hi:[1,1,0] neg_lo:[0,0,1] neg_hi:[0,0,1]
	v_pk_fma_f32 v[124:125], v[124:125], v[114:115], v[128:129] op_sel:[0,0,1] op_sel_hi:[1,0,0]
	s_delay_alu instid0(VALU_DEP_1) | instskip(SKIP_1) | instid1(VALU_DEP_1)
	v_mov_b32_e32 v131, v125
	v_pk_mul_f32 v[124:125], v[126:127], v[116:117] op_sel:[0,1]
	v_pk_fma_f32 v[128:129], v[126:127], v[114:115], v[124:125] op_sel:[0,0,1] op_sel_hi:[1,1,0] neg_lo:[0,0,1] neg_hi:[0,0,1]
	v_pk_fma_f32 v[124:125], v[126:127], v[114:115], v[124:125] op_sel:[0,0,1] op_sel_hi:[1,0,0]
	s_delay_alu instid0(VALU_DEP_1)
	v_mov_b32_e32 v129, v125
	ds_load_2addr_b64 v[124:127], v118 offset0:18 offset1:19
	v_pk_add_f32 v[98:99], v[98:99], v[130:131] neg_lo:[0,1] neg_hi:[0,1]
	v_pk_add_f32 v[64:65], v[64:65], v[128:129] neg_lo:[0,1] neg_hi:[0,1]
	s_wait_dscnt 0x0
	v_pk_mul_f32 v[128:129], v[124:125], v[116:117] op_sel:[0,1]
	s_delay_alu instid0(VALU_DEP_1) | instskip(SKIP_1) | instid1(VALU_DEP_1)
	v_pk_fma_f32 v[130:131], v[124:125], v[114:115], v[128:129] op_sel:[0,0,1] op_sel_hi:[1,1,0] neg_lo:[0,0,1] neg_hi:[0,0,1]
	v_pk_fma_f32 v[124:125], v[124:125], v[114:115], v[128:129] op_sel:[0,0,1] op_sel_hi:[1,0,0]
	v_mov_b32_e32 v131, v125
	v_pk_mul_f32 v[124:125], v[126:127], v[116:117] op_sel:[0,1]
	s_delay_alu instid0(VALU_DEP_1) | instskip(SKIP_1) | instid1(VALU_DEP_1)
	v_pk_fma_f32 v[128:129], v[126:127], v[114:115], v[124:125] op_sel:[0,0,1] op_sel_hi:[1,1,0] neg_lo:[0,0,1] neg_hi:[0,0,1]
	v_pk_fma_f32 v[124:125], v[126:127], v[114:115], v[124:125] op_sel:[0,0,1] op_sel_hi:[1,0,0]
	v_mov_b32_e32 v129, v125
	ds_load_2addr_b64 v[124:127], v118 offset0:20 offset1:21
	v_pk_add_f32 v[68:69], v[68:69], v[130:131] neg_lo:[0,1] neg_hi:[0,1]
	v_pk_add_f32 v[62:63], v[62:63], v[128:129] neg_lo:[0,1] neg_hi:[0,1]
	s_wait_dscnt 0x0
	v_dual_mul_f32 v128, v125, v117 :: v_dual_mul_f32 v130, v125, v114
	s_delay_alu instid0(VALU_DEP_1) | instskip(NEXT) | instid1(VALU_DEP_2)
	v_pk_fma_f32 v[128:129], v[124:125], v[108:109], v[128:129] op_sel_hi:[1,1,0] neg_lo:[0,0,1] neg_hi:[0,0,1]
	v_pk_fma_f32 v[124:125], v[124:125], v[108:109], v[130:131] op_sel:[1,0,0] op_sel_hi:[0,1,0]
	s_delay_alu instid0(VALU_DEP_1) | instskip(SKIP_1) | instid1(VALU_DEP_2)
	v_mov_b32_e32 v129, v125
	v_pk_mul_f32 v[124:125], v[126:127], v[116:117] op_sel:[0,1]
	v_pk_add_f32 v[96:97], v[96:97], v[128:129] neg_lo:[0,1] neg_hi:[0,1]
	s_delay_alu instid0(VALU_DEP_2) | instskip(SKIP_1) | instid1(VALU_DEP_1)
	v_pk_fma_f32 v[128:129], v[126:127], v[114:115], v[124:125] op_sel:[0,0,1] op_sel_hi:[1,1,0] neg_lo:[0,0,1] neg_hi:[0,0,1]
	v_pk_fma_f32 v[124:125], v[126:127], v[114:115], v[124:125] op_sel:[0,0,1] op_sel_hi:[1,0,0]
	v_mov_b32_e32 v129, v125
	ds_load_2addr_b64 v[124:127], v118 offset0:22 offset1:23
	v_pk_add_f32 v[58:59], v[58:59], v[128:129] neg_lo:[0,1] neg_hi:[0,1]
	s_wait_dscnt 0x0
	v_pk_mul_f32 v[128:129], v[124:125], v[116:117] op_sel:[0,1]
	s_delay_alu instid0(VALU_DEP_1) | instskip(SKIP_1) | instid1(VALU_DEP_1)
	v_pk_fma_f32 v[130:131], v[124:125], v[114:115], v[128:129] op_sel:[0,0,1] op_sel_hi:[1,1,0] neg_lo:[0,0,1] neg_hi:[0,0,1]
	v_pk_fma_f32 v[124:125], v[124:125], v[114:115], v[128:129] op_sel:[0,0,1] op_sel_hi:[1,0,0]
	v_mov_b32_e32 v131, v125
	v_pk_mul_f32 v[124:125], v[126:127], v[116:117] op_sel:[0,1]
	s_delay_alu instid0(VALU_DEP_2) | instskip(NEXT) | instid1(VALU_DEP_2)
	v_pk_add_f32 v[60:61], v[60:61], v[130:131] neg_lo:[0,1] neg_hi:[0,1]
	v_pk_fma_f32 v[128:129], v[126:127], v[114:115], v[124:125] op_sel:[0,0,1] op_sel_hi:[1,1,0] neg_lo:[0,0,1] neg_hi:[0,0,1]
	v_pk_fma_f32 v[124:125], v[126:127], v[114:115], v[124:125] op_sel:[0,0,1] op_sel_hi:[1,0,0]
	s_delay_alu instid0(VALU_DEP_1) | instskip(SKIP_4) | instid1(VALU_DEP_1)
	v_mov_b32_e32 v129, v125
	ds_load_2addr_b64 v[124:127], v118 offset0:24 offset1:25
	v_pk_add_f32 v[56:57], v[56:57], v[128:129] neg_lo:[0,1] neg_hi:[0,1]
	s_wait_dscnt 0x0
	v_pk_mul_f32 v[128:129], v[124:125], v[116:117] op_sel:[0,1]
	v_pk_fma_f32 v[130:131], v[124:125], v[114:115], v[128:129] op_sel:[0,0,1] op_sel_hi:[1,1,0] neg_lo:[0,0,1] neg_hi:[0,0,1]
	v_pk_fma_f32 v[124:125], v[124:125], v[114:115], v[128:129] op_sel:[0,0,1] op_sel_hi:[1,0,0]
	v_dual_mul_f32 v128, v127, v117 :: v_dual_mov_b32 v124, v127
	s_delay_alu instid0(VALU_DEP_2) | instskip(NEXT) | instid1(VALU_DEP_2)
	v_dual_mov_b32 v131, v125 :: v_dual_mov_b32 v125, v126
	v_pk_fma_f32 v[128:129], v[126:127], v[108:109], v[128:129] op_sel_hi:[1,1,0] neg_lo:[0,0,1] neg_hi:[0,0,1]
	v_mul_f32_e32 v126, v127, v114
	s_delay_alu instid0(VALU_DEP_3) | instskip(NEXT) | instid1(VALU_DEP_2)
	v_pk_add_f32 v[94:95], v[94:95], v[130:131] neg_lo:[0,1] neg_hi:[0,1]
	v_pk_fma_f32 v[124:125], v[124:125], v[108:109], v[126:127] op_sel_hi:[1,1,0]
	s_delay_alu instid0(VALU_DEP_1) | instskip(SKIP_4) | instid1(VALU_DEP_1)
	v_mov_b32_e32 v129, v125
	ds_load_2addr_b64 v[124:127], v118 offset0:26 offset1:27
	v_pk_add_f32 v[52:53], v[52:53], v[128:129] neg_lo:[0,1] neg_hi:[0,1]
	s_wait_dscnt 0x0
	v_pk_mul_f32 v[128:129], v[124:125], v[116:117] op_sel:[0,1]
	v_pk_fma_f32 v[130:131], v[124:125], v[114:115], v[128:129] op_sel:[0,0,1] op_sel_hi:[1,1,0] neg_lo:[0,0,1] neg_hi:[0,0,1]
	v_pk_fma_f32 v[124:125], v[124:125], v[114:115], v[128:129] op_sel:[0,0,1] op_sel_hi:[1,0,0]
	s_delay_alu instid0(VALU_DEP_1) | instskip(SKIP_1) | instid1(VALU_DEP_1)
	v_mov_b32_e32 v131, v125
	v_pk_mul_f32 v[124:125], v[126:127], v[116:117] op_sel:[0,1]
	v_pk_fma_f32 v[128:129], v[126:127], v[114:115], v[124:125] op_sel:[0,0,1] op_sel_hi:[1,1,0] neg_lo:[0,0,1] neg_hi:[0,0,1]
	v_pk_fma_f32 v[124:125], v[126:127], v[114:115], v[124:125] op_sel:[0,0,1] op_sel_hi:[1,0,0]
	s_delay_alu instid0(VALU_DEP_1)
	v_mov_b32_e32 v129, v125
	ds_load_2addr_b64 v[124:127], v118 offset0:28 offset1:29
	v_pk_add_f32 v[54:55], v[54:55], v[130:131] neg_lo:[0,1] neg_hi:[0,1]
	v_pk_add_f32 v[50:51], v[50:51], v[128:129] neg_lo:[0,1] neg_hi:[0,1]
	s_wait_dscnt 0x0
	v_pk_mul_f32 v[128:129], v[124:125], v[116:117] op_sel:[0,1]
	s_delay_alu instid0(VALU_DEP_1) | instskip(SKIP_1) | instid1(VALU_DEP_1)
	v_pk_fma_f32 v[130:131], v[124:125], v[114:115], v[128:129] op_sel:[0,0,1] op_sel_hi:[1,1,0] neg_lo:[0,0,1] neg_hi:[0,0,1]
	v_pk_fma_f32 v[124:125], v[124:125], v[114:115], v[128:129] op_sel:[0,0,1] op_sel_hi:[1,0,0]
	v_mov_b32_e32 v131, v125
	v_pk_mul_f32 v[124:125], v[126:127], v[116:117] op_sel:[0,1]
	s_delay_alu instid0(VALU_DEP_1) | instskip(SKIP_1) | instid1(VALU_DEP_1)
	v_pk_fma_f32 v[128:129], v[126:127], v[114:115], v[124:125] op_sel:[0,0,1] op_sel_hi:[1,1,0] neg_lo:[0,0,1] neg_hi:[0,0,1]
	v_pk_fma_f32 v[124:125], v[126:127], v[114:115], v[124:125] op_sel:[0,0,1] op_sel_hi:[1,0,0]
	v_mov_b32_e32 v129, v125
	ds_load_2addr_b64 v[124:127], v118 offset0:30 offset1:31
	v_pk_add_f32 v[90:91], v[90:91], v[130:131] neg_lo:[0,1] neg_hi:[0,1]
	v_pk_add_f32 v[38:39], v[38:39], v[128:129] neg_lo:[0,1] neg_hi:[0,1]
	s_wait_dscnt 0x0
	v_dual_mul_f32 v128, v125, v117 :: v_dual_mul_f32 v130, v125, v114
	s_delay_alu instid0(VALU_DEP_1) | instskip(NEXT) | instid1(VALU_DEP_2)
	v_pk_fma_f32 v[128:129], v[124:125], v[108:109], v[128:129] op_sel_hi:[1,1,0] neg_lo:[0,0,1] neg_hi:[0,0,1]
	v_pk_fma_f32 v[124:125], v[124:125], v[108:109], v[130:131] op_sel:[1,0,0] op_sel_hi:[0,1,0]
	s_delay_alu instid0(VALU_DEP_1) | instskip(SKIP_1) | instid1(VALU_DEP_2)
	v_mov_b32_e32 v129, v125
	v_pk_mul_f32 v[124:125], v[126:127], v[116:117] op_sel:[0,1]
	v_pk_add_f32 v[40:41], v[40:41], v[128:129] neg_lo:[0,1] neg_hi:[0,1]
	s_delay_alu instid0(VALU_DEP_2) | instskip(SKIP_1) | instid1(VALU_DEP_1)
	v_pk_fma_f32 v[128:129], v[126:127], v[114:115], v[124:125] op_sel:[0,0,1] op_sel_hi:[1,1,0] neg_lo:[0,0,1] neg_hi:[0,0,1]
	v_pk_fma_f32 v[124:125], v[126:127], v[114:115], v[124:125] op_sel:[0,0,1] op_sel_hi:[1,0,0]
	v_mov_b32_e32 v129, v125
	ds_load_2addr_b64 v[124:127], v118 offset0:32 offset1:33
	v_pk_add_f32 v[36:37], v[36:37], v[128:129] neg_lo:[0,1] neg_hi:[0,1]
	s_wait_dscnt 0x0
	v_pk_mul_f32 v[128:129], v[124:125], v[116:117] op_sel:[0,1]
	s_delay_alu instid0(VALU_DEP_1) | instskip(SKIP_1) | instid1(VALU_DEP_1)
	v_pk_fma_f32 v[130:131], v[124:125], v[114:115], v[128:129] op_sel:[0,0,1] op_sel_hi:[1,1,0] neg_lo:[0,0,1] neg_hi:[0,0,1]
	v_pk_fma_f32 v[124:125], v[124:125], v[114:115], v[128:129] op_sel:[0,0,1] op_sel_hi:[1,0,0]
	v_mov_b32_e32 v131, v125
	v_pk_mul_f32 v[124:125], v[126:127], v[116:117] op_sel:[0,1]
	s_delay_alu instid0(VALU_DEP_2) | instskip(NEXT) | instid1(VALU_DEP_2)
	v_pk_add_f32 v[88:89], v[88:89], v[130:131] neg_lo:[0,1] neg_hi:[0,1]
	v_pk_fma_f32 v[128:129], v[126:127], v[114:115], v[124:125] op_sel:[0,0,1] op_sel_hi:[1,1,0] neg_lo:[0,0,1] neg_hi:[0,0,1]
	v_pk_fma_f32 v[124:125], v[126:127], v[114:115], v[124:125] op_sel:[0,0,1] op_sel_hi:[1,0,0]
	s_delay_alu instid0(VALU_DEP_1) | instskip(SKIP_4) | instid1(VALU_DEP_1)
	v_mov_b32_e32 v129, v125
	ds_load_2addr_b64 v[124:127], v118 offset0:34 offset1:35
	v_pk_add_f32 v[32:33], v[32:33], v[128:129] neg_lo:[0,1] neg_hi:[0,1]
	s_wait_dscnt 0x0
	v_pk_mul_f32 v[128:129], v[124:125], v[116:117] op_sel:[0,1]
	v_pk_fma_f32 v[130:131], v[124:125], v[114:115], v[128:129] op_sel:[0,0,1] op_sel_hi:[1,1,0] neg_lo:[0,0,1] neg_hi:[0,0,1]
	v_pk_fma_f32 v[124:125], v[124:125], v[114:115], v[128:129] op_sel:[0,0,1] op_sel_hi:[1,0,0]
	v_dual_mul_f32 v128, v127, v117 :: v_dual_mov_b32 v124, v127
	s_delay_alu instid0(VALU_DEP_2) | instskip(NEXT) | instid1(VALU_DEP_2)
	v_dual_mov_b32 v131, v125 :: v_dual_mov_b32 v125, v126
	v_pk_fma_f32 v[128:129], v[126:127], v[108:109], v[128:129] op_sel_hi:[1,1,0] neg_lo:[0,0,1] neg_hi:[0,0,1]
	v_mul_f32_e32 v126, v127, v114
	s_delay_alu instid0(VALU_DEP_3) | instskip(NEXT) | instid1(VALU_DEP_2)
	v_pk_add_f32 v[34:35], v[34:35], v[130:131] neg_lo:[0,1] neg_hi:[0,1]
	v_pk_fma_f32 v[124:125], v[124:125], v[108:109], v[126:127] op_sel_hi:[1,1,0]
	s_delay_alu instid0(VALU_DEP_1) | instskip(SKIP_4) | instid1(VALU_DEP_1)
	v_mov_b32_e32 v129, v125
	ds_load_2addr_b64 v[124:127], v118 offset0:36 offset1:37
	v_pk_add_f32 v[30:31], v[30:31], v[128:129] neg_lo:[0,1] neg_hi:[0,1]
	s_wait_dscnt 0x0
	v_pk_mul_f32 v[128:129], v[124:125], v[116:117] op_sel:[0,1]
	v_pk_fma_f32 v[130:131], v[124:125], v[114:115], v[128:129] op_sel:[0,0,1] op_sel_hi:[1,1,0] neg_lo:[0,0,1] neg_hi:[0,0,1]
	v_pk_fma_f32 v[124:125], v[124:125], v[114:115], v[128:129] op_sel:[0,0,1] op_sel_hi:[1,0,0]
	s_delay_alu instid0(VALU_DEP_1) | instskip(SKIP_1) | instid1(VALU_DEP_1)
	v_mov_b32_e32 v131, v125
	v_pk_mul_f32 v[124:125], v[126:127], v[116:117] op_sel:[0,1]
	v_pk_fma_f32 v[128:129], v[126:127], v[114:115], v[124:125] op_sel:[0,0,1] op_sel_hi:[1,1,0] neg_lo:[0,0,1] neg_hi:[0,0,1]
	v_pk_fma_f32 v[124:125], v[126:127], v[114:115], v[124:125] op_sel:[0,0,1] op_sel_hi:[1,0,0]
	s_delay_alu instid0(VALU_DEP_1)
	v_mov_b32_e32 v129, v125
	ds_load_2addr_b64 v[124:127], v118 offset0:38 offset1:39
	v_pk_add_f32 v[86:87], v[86:87], v[130:131] neg_lo:[0,1] neg_hi:[0,1]
	v_pk_add_f32 v[24:25], v[24:25], v[128:129] neg_lo:[0,1] neg_hi:[0,1]
	s_wait_dscnt 0x0
	v_pk_mul_f32 v[128:129], v[124:125], v[116:117] op_sel:[0,1]
	s_delay_alu instid0(VALU_DEP_1) | instskip(SKIP_1) | instid1(VALU_DEP_1)
	v_pk_fma_f32 v[130:131], v[124:125], v[114:115], v[128:129] op_sel:[0,0,1] op_sel_hi:[1,1,0] neg_lo:[0,0,1] neg_hi:[0,0,1]
	v_pk_fma_f32 v[124:125], v[124:125], v[114:115], v[128:129] op_sel:[0,0,1] op_sel_hi:[1,0,0]
	v_mov_b32_e32 v131, v125
	v_pk_mul_f32 v[124:125], v[126:127], v[116:117] op_sel:[0,1]
	s_delay_alu instid0(VALU_DEP_1) | instskip(SKIP_1) | instid1(VALU_DEP_1)
	v_pk_fma_f32 v[128:129], v[126:127], v[114:115], v[124:125] op_sel:[0,0,1] op_sel_hi:[1,1,0] neg_lo:[0,0,1] neg_hi:[0,0,1]
	v_pk_fma_f32 v[124:125], v[126:127], v[114:115], v[124:125] op_sel:[0,0,1] op_sel_hi:[1,0,0]
	v_mov_b32_e32 v129, v125
	ds_load_2addr_b64 v[124:127], v118 offset0:40 offset1:41
	v_pk_add_f32 v[26:27], v[26:27], v[130:131] neg_lo:[0,1] neg_hi:[0,1]
	v_pk_add_f32 v[22:23], v[22:23], v[128:129] neg_lo:[0,1] neg_hi:[0,1]
	s_wait_dscnt 0x0
	v_dual_mul_f32 v128, v125, v117 :: v_dual_mul_f32 v130, v125, v114
	s_delay_alu instid0(VALU_DEP_1) | instskip(NEXT) | instid1(VALU_DEP_2)
	v_pk_fma_f32 v[128:129], v[124:125], v[108:109], v[128:129] op_sel_hi:[1,1,0] neg_lo:[0,0,1] neg_hi:[0,0,1]
	v_pk_fma_f32 v[124:125], v[124:125], v[108:109], v[130:131] op_sel:[1,0,0] op_sel_hi:[0,1,0]
	s_delay_alu instid0(VALU_DEP_1) | instskip(SKIP_1) | instid1(VALU_DEP_2)
	v_mov_b32_e32 v129, v125
	v_pk_mul_f32 v[124:125], v[126:127], v[116:117] op_sel:[0,1]
	v_pk_add_f32 v[84:85], v[84:85], v[128:129] neg_lo:[0,1] neg_hi:[0,1]
	s_delay_alu instid0(VALU_DEP_2) | instskip(SKIP_1) | instid1(VALU_DEP_1)
	v_pk_fma_f32 v[128:129], v[126:127], v[114:115], v[124:125] op_sel:[0,0,1] op_sel_hi:[1,1,0] neg_lo:[0,0,1] neg_hi:[0,0,1]
	v_pk_fma_f32 v[124:125], v[126:127], v[114:115], v[124:125] op_sel:[0,0,1] op_sel_hi:[1,0,0]
	v_mov_b32_e32 v129, v125
	ds_load_2addr_b64 v[124:127], v118 offset0:42 offset1:43
	v_pk_add_f32 v[18:19], v[18:19], v[128:129] neg_lo:[0,1] neg_hi:[0,1]
	s_wait_dscnt 0x0
	v_pk_mul_f32 v[128:129], v[124:125], v[116:117] op_sel:[0,1]
	s_delay_alu instid0(VALU_DEP_1) | instskip(SKIP_1) | instid1(VALU_DEP_1)
	v_pk_fma_f32 v[130:131], v[124:125], v[114:115], v[128:129] op_sel:[0,0,1] op_sel_hi:[1,1,0] neg_lo:[0,0,1] neg_hi:[0,0,1]
	v_pk_fma_f32 v[124:125], v[124:125], v[114:115], v[128:129] op_sel:[0,0,1] op_sel_hi:[1,0,0]
	v_mov_b32_e32 v131, v125
	v_pk_mul_f32 v[124:125], v[126:127], v[116:117] op_sel:[0,1]
	s_delay_alu instid0(VALU_DEP_2) | instskip(NEXT) | instid1(VALU_DEP_2)
	v_pk_add_f32 v[20:21], v[20:21], v[130:131] neg_lo:[0,1] neg_hi:[0,1]
	v_pk_fma_f32 v[128:129], v[126:127], v[114:115], v[124:125] op_sel:[0,0,1] op_sel_hi:[1,1,0] neg_lo:[0,0,1] neg_hi:[0,0,1]
	v_pk_fma_f32 v[124:125], v[126:127], v[114:115], v[124:125] op_sel:[0,0,1] op_sel_hi:[1,0,0]
	s_delay_alu instid0(VALU_DEP_1) | instskip(SKIP_4) | instid1(VALU_DEP_1)
	v_mov_b32_e32 v129, v125
	ds_load_2addr_b64 v[124:127], v118 offset0:44 offset1:45
	v_pk_add_f32 v[16:17], v[16:17], v[128:129] neg_lo:[0,1] neg_hi:[0,1]
	s_wait_dscnt 0x0
	v_pk_mul_f32 v[128:129], v[124:125], v[116:117] op_sel:[0,1]
	v_pk_fma_f32 v[130:131], v[124:125], v[114:115], v[128:129] op_sel:[0,0,1] op_sel_hi:[1,1,0] neg_lo:[0,0,1] neg_hi:[0,0,1]
	v_pk_fma_f32 v[124:125], v[124:125], v[114:115], v[128:129] op_sel:[0,0,1] op_sel_hi:[1,0,0]
	v_dual_mul_f32 v128, v127, v117 :: v_dual_mov_b32 v124, v127
	s_delay_alu instid0(VALU_DEP_2) | instskip(NEXT) | instid1(VALU_DEP_2)
	v_dual_mov_b32 v131, v125 :: v_dual_mov_b32 v125, v126
	v_pk_fma_f32 v[128:129], v[126:127], v[108:109], v[128:129] op_sel_hi:[1,1,0] neg_lo:[0,0,1] neg_hi:[0,0,1]
	v_mul_f32_e32 v126, v127, v114
	s_delay_alu instid0(VALU_DEP_3) | instskip(NEXT) | instid1(VALU_DEP_2)
	v_pk_add_f32 v[82:83], v[82:83], v[130:131] neg_lo:[0,1] neg_hi:[0,1]
	v_pk_fma_f32 v[124:125], v[124:125], v[108:109], v[126:127] op_sel_hi:[1,1,0]
	s_delay_alu instid0(VALU_DEP_1) | instskip(SKIP_4) | instid1(VALU_DEP_1)
	v_mov_b32_e32 v129, v125
	ds_load_2addr_b64 v[124:127], v118 offset0:46 offset1:47
	v_pk_add_f32 v[10:11], v[10:11], v[128:129] neg_lo:[0,1] neg_hi:[0,1]
	s_wait_dscnt 0x0
	v_pk_mul_f32 v[128:129], v[124:125], v[116:117] op_sel:[0,1]
	v_pk_fma_f32 v[130:131], v[124:125], v[114:115], v[128:129] op_sel:[0,0,1] op_sel_hi:[1,1,0] neg_lo:[0,0,1] neg_hi:[0,0,1]
	v_pk_fma_f32 v[124:125], v[124:125], v[114:115], v[128:129] op_sel:[0,0,1] op_sel_hi:[1,0,0]
	s_delay_alu instid0(VALU_DEP_1) | instskip(SKIP_1) | instid1(VALU_DEP_1)
	v_mov_b32_e32 v131, v125
	v_pk_mul_f32 v[124:125], v[126:127], v[116:117] op_sel:[0,1]
	v_pk_fma_f32 v[128:129], v[126:127], v[114:115], v[124:125] op_sel:[0,0,1] op_sel_hi:[1,1,0] neg_lo:[0,0,1] neg_hi:[0,0,1]
	v_pk_fma_f32 v[124:125], v[126:127], v[114:115], v[124:125] op_sel:[0,0,1] op_sel_hi:[1,0,0]
	s_delay_alu instid0(VALU_DEP_1)
	v_mov_b32_e32 v129, v125
	ds_load_2addr_b64 v[124:127], v118 offset0:48 offset1:49
	v_pk_add_f32 v[12:13], v[12:13], v[130:131] neg_lo:[0,1] neg_hi:[0,1]
	v_pk_add_f32 v[8:9], v[8:9], v[128:129] neg_lo:[0,1] neg_hi:[0,1]
	s_wait_dscnt 0x0
	v_pk_mul_f32 v[128:129], v[124:125], v[116:117] op_sel:[0,1]
	s_delay_alu instid0(VALU_DEP_1) | instskip(SKIP_1) | instid1(VALU_DEP_1)
	v_pk_fma_f32 v[130:131], v[124:125], v[114:115], v[128:129] op_sel:[0,0,1] op_sel_hi:[1,1,0] neg_lo:[0,0,1] neg_hi:[0,0,1]
	v_pk_fma_f32 v[124:125], v[124:125], v[114:115], v[128:129] op_sel:[0,0,1] op_sel_hi:[1,0,0]
	v_mov_b32_e32 v131, v125
	v_pk_mul_f32 v[124:125], v[126:127], v[116:117] op_sel:[0,1]
	s_delay_alu instid0(VALU_DEP_1) | instskip(SKIP_1) | instid1(VALU_DEP_1)
	v_pk_fma_f32 v[128:129], v[126:127], v[114:115], v[124:125] op_sel:[0,0,1] op_sel_hi:[1,1,0] neg_lo:[0,0,1] neg_hi:[0,0,1]
	v_pk_fma_f32 v[124:125], v[126:127], v[114:115], v[124:125] op_sel:[0,0,1] op_sel_hi:[1,0,0]
	v_mov_b32_e32 v129, v125
	ds_load_2addr_b64 v[124:127], v118 offset0:50 offset1:51
	v_pk_add_f32 v[66:67], v[66:67], v[130:131] neg_lo:[0,1] neg_hi:[0,1]
	v_pk_add_f32 v[6:7], v[6:7], v[128:129] neg_lo:[0,1] neg_hi:[0,1]
	s_wait_dscnt 0x0
	v_dual_mul_f32 v128, v125, v117 :: v_dual_mul_f32 v130, v125, v114
	s_delay_alu instid0(VALU_DEP_1) | instskip(NEXT) | instid1(VALU_DEP_2)
	v_pk_fma_f32 v[128:129], v[124:125], v[108:109], v[128:129] op_sel_hi:[1,1,0] neg_lo:[0,0,1] neg_hi:[0,0,1]
	v_pk_fma_f32 v[124:125], v[124:125], v[108:109], v[130:131] op_sel:[1,0,0] op_sel_hi:[0,1,0]
	s_delay_alu instid0(VALU_DEP_1) | instskip(SKIP_1) | instid1(VALU_DEP_2)
	v_mov_b32_e32 v129, v125
	v_pk_mul_f32 v[124:125], v[126:127], v[116:117] op_sel:[0,1]
	v_pk_add_f32 v[46:47], v[46:47], v[128:129] neg_lo:[0,1] neg_hi:[0,1]
	s_delay_alu instid0(VALU_DEP_2) | instskip(SKIP_1) | instid1(VALU_DEP_1)
	v_pk_fma_f32 v[128:129], v[126:127], v[114:115], v[124:125] op_sel:[0,0,1] op_sel_hi:[1,1,0] neg_lo:[0,0,1] neg_hi:[0,0,1]
	v_pk_fma_f32 v[124:125], v[126:127], v[114:115], v[124:125] op_sel:[0,0,1] op_sel_hi:[1,0,0]
	v_mov_b32_e32 v129, v125
	ds_load_2addr_b64 v[124:127], v118 offset0:52 offset1:53
	v_pk_add_f32 v[28:29], v[28:29], v[128:129] neg_lo:[0,1] neg_hi:[0,1]
	s_wait_dscnt 0x0
	v_pk_mul_f32 v[128:129], v[124:125], v[116:117] op_sel:[0,1]
	v_pk_mul_f32 v[116:117], v[126:127], v[116:117] op_sel:[0,1]
	s_delay_alu instid0(VALU_DEP_2) | instskip(SKIP_1) | instid1(VALU_DEP_1)
	v_pk_fma_f32 v[130:131], v[124:125], v[114:115], v[128:129] op_sel:[0,0,1] op_sel_hi:[1,1,0] neg_lo:[0,0,1] neg_hi:[0,0,1]
	v_pk_fma_f32 v[124:125], v[124:125], v[114:115], v[128:129] op_sel:[0,0,1] op_sel_hi:[1,0,0]
	v_mov_b32_e32 v131, v125
	s_delay_alu instid0(VALU_DEP_4) | instskip(SKIP_1) | instid1(VALU_DEP_3)
	v_pk_fma_f32 v[124:125], v[126:127], v[114:115], v[116:117] op_sel:[0,0,1] op_sel_hi:[1,1,0] neg_lo:[0,0,1] neg_hi:[0,0,1]
	v_pk_fma_f32 v[114:115], v[126:127], v[114:115], v[116:117] op_sel:[0,0,1] op_sel_hi:[1,0,0]
	v_pk_add_f32 v[14:15], v[14:15], v[130:131] neg_lo:[0,1] neg_hi:[0,1]
	s_delay_alu instid0(VALU_DEP_2) | instskip(NEXT) | instid1(VALU_DEP_1)
	v_mov_b32_e32 v125, v115
	v_pk_add_f32 v[112:113], v[112:113], v[124:125] neg_lo:[0,1] neg_hi:[0,1]
.LBB106_41:
	s_or_b32 exec_lo, exec_lo, s0
	v_lshl_add_u32 v114, v122, 3, v118
	s_barrier_signal -1
	s_barrier_wait -1
	ds_store_b64 v114, v[106:107]
	s_wait_dscnt 0x0
	s_barrier_signal -1
	s_barrier_wait -1
	ds_load_b64 v[116:117], v118 offset:16
	v_mov_b32_e32 v114, 2
	s_cmp_lt_i32 s18, 4
	s_mov_b32 s0, 3
	s_cbranch_scc1 .LBB106_44
; %bb.42:
	v_add3_u32 v115, v119, 0, 24
	v_mov_b32_e32 v114, 2
.LBB106_43:                             ; =>This Inner Loop Header: Depth=1
	ds_load_b64 v[124:125], v115
	s_wait_dscnt 0x1
	v_cmp_gt_f32_e32 vcc_lo, 0, v116
	v_cndmask_b32_e64 v126, v116, -v116, vcc_lo
	v_cmp_gt_f32_e32 vcc_lo, 0, v117
	v_cndmask_b32_e64 v128, v117, -v117, vcc_lo
	s_wait_dscnt 0x0
	v_cmp_gt_f32_e32 vcc_lo, 0, v124
	v_cndmask_b32_e64 v127, v124, -v124, vcc_lo
	v_cmp_gt_f32_e32 vcc_lo, 0, v125
	v_cndmask_b32_e64 v129, v125, -v125, vcc_lo
	s_delay_alu instid0(VALU_DEP_1) | instskip(NEXT) | instid1(VALU_DEP_1)
	v_pk_add_f32 v[126:127], v[126:127], v[128:129]
	v_cmp_lt_f32_e32 vcc_lo, v126, v127
	v_dual_add_nc_u32 v115, 8, v115 :: v_dual_cndmask_b32 v117, v117, v125, vcc_lo
	v_cndmask_b32_e32 v116, v116, v124, vcc_lo
	v_cndmask_b32_e64 v114, v114, s0, vcc_lo
	s_add_co_i32 s0, s0, 1
	s_delay_alu instid0(SALU_CYCLE_1)
	s_cmp_lg_u32 s18, s0
	s_cbranch_scc1 .LBB106_43
.LBB106_44:
	s_wait_dscnt 0x0
	v_cmp_eq_f32_e32 vcc_lo, 0, v116
	v_cmp_eq_f32_e64 s0, 0, v117
	s_and_b32 s0, vcc_lo, s0
	s_delay_alu instid0(SALU_CYCLE_1) | instskip(NEXT) | instid1(SALU_CYCLE_1)
	s_and_saveexec_b32 s1, s0
	s_xor_b32 s0, exec_lo, s1
; %bb.45:
	v_cmp_ne_u32_e32 vcc_lo, 0, v120
	v_cndmask_b32_e32 v120, 3, v120, vcc_lo
; %bb.46:
	s_and_not1_saveexec_b32 s0, s0
	s_cbranch_execz .LBB106_52
; %bb.47:
	v_cmp_ngt_f32_e64 s1, |v116|, |v117|
	s_and_saveexec_b32 s12, s1
	s_delay_alu instid0(SALU_CYCLE_1)
	s_xor_b32 s1, exec_lo, s12
	s_cbranch_execz .LBB106_49
; %bb.48:
	v_div_scale_f32 v115, null, v117, v117, v116
	v_div_scale_f32 v125, vcc_lo, v116, v117, v116
	s_delay_alu instid0(VALU_DEP_2) | instskip(SKIP_1) | instid1(TRANS32_DEP_1)
	v_rcp_f32_e32 v123, v115
	v_nop
	v_fma_f32 v124, -v115, v123, 1.0
	s_delay_alu instid0(VALU_DEP_1) | instskip(NEXT) | instid1(VALU_DEP_1)
	v_fmac_f32_e32 v123, v124, v123
	v_mul_f32_e32 v124, v125, v123
	s_delay_alu instid0(VALU_DEP_1) | instskip(NEXT) | instid1(VALU_DEP_1)
	v_fma_f32 v126, -v115, v124, v125
	v_fmac_f32_e32 v124, v126, v123
	s_delay_alu instid0(VALU_DEP_1) | instskip(NEXT) | instid1(VALU_DEP_1)
	v_fma_f32 v115, -v115, v124, v125
	v_div_fmas_f32 v115, v115, v123, v124
	s_delay_alu instid0(VALU_DEP_1) | instskip(NEXT) | instid1(VALU_DEP_1)
	v_div_fixup_f32 v115, v115, v117, v116
	v_fmac_f32_e32 v117, v116, v115
	s_delay_alu instid0(VALU_DEP_1) | instskip(SKIP_1) | instid1(VALU_DEP_2)
	v_div_scale_f32 v116, null, v117, v117, 1.0
	v_div_scale_f32 v125, vcc_lo, 1.0, v117, 1.0
	v_rcp_f32_e32 v123, v116
	v_nop
	s_delay_alu instid0(TRANS32_DEP_1) | instskip(NEXT) | instid1(VALU_DEP_1)
	v_fma_f32 v124, -v116, v123, 1.0
	v_fmac_f32_e32 v123, v124, v123
	s_delay_alu instid0(VALU_DEP_1) | instskip(NEXT) | instid1(VALU_DEP_1)
	v_mul_f32_e32 v124, v125, v123
	v_fma_f32 v126, -v116, v124, v125
	s_delay_alu instid0(VALU_DEP_1) | instskip(NEXT) | instid1(VALU_DEP_1)
	v_fmac_f32_e32 v124, v126, v123
	v_fma_f32 v116, -v116, v124, v125
	s_delay_alu instid0(VALU_DEP_1) | instskip(NEXT) | instid1(VALU_DEP_1)
	v_div_fmas_f32 v116, v116, v123, v124
	v_div_fixup_f32 v117, v116, v117, 1.0
	s_delay_alu instid0(VALU_DEP_1)
	v_mul_f32_e32 v116, v115, v117
	v_xor_b32_e32 v117, 0x80000000, v117
.LBB106_49:
	s_and_not1_saveexec_b32 s1, s1
	s_cbranch_execz .LBB106_51
; %bb.50:
	s_delay_alu instid0(VALU_DEP_1) | instskip(SKIP_1) | instid1(VALU_DEP_2)
	v_div_scale_f32 v115, null, v116, v116, v117
	v_div_scale_f32 v125, vcc_lo, v117, v116, v117
	v_rcp_f32_e32 v123, v115
	v_nop
	s_delay_alu instid0(TRANS32_DEP_1) | instskip(NEXT) | instid1(VALU_DEP_1)
	v_fma_f32 v124, -v115, v123, 1.0
	v_fmac_f32_e32 v123, v124, v123
	s_delay_alu instid0(VALU_DEP_1) | instskip(NEXT) | instid1(VALU_DEP_1)
	v_mul_f32_e32 v124, v125, v123
	v_fma_f32 v126, -v115, v124, v125
	s_delay_alu instid0(VALU_DEP_1) | instskip(NEXT) | instid1(VALU_DEP_1)
	v_fmac_f32_e32 v124, v126, v123
	v_fma_f32 v115, -v115, v124, v125
	s_delay_alu instid0(VALU_DEP_1) | instskip(NEXT) | instid1(VALU_DEP_1)
	v_div_fmas_f32 v115, v115, v123, v124
	v_div_fixup_f32 v115, v115, v116, v117
	s_delay_alu instid0(VALU_DEP_1) | instskip(NEXT) | instid1(VALU_DEP_1)
	v_fmac_f32_e32 v116, v117, v115
	v_div_scale_f32 v117, null, v116, v116, 1.0
	s_delay_alu instid0(VALU_DEP_1) | instskip(SKIP_1) | instid1(TRANS32_DEP_1)
	v_rcp_f32_e32 v123, v117
	v_nop
	v_fma_f32 v124, -v117, v123, 1.0
	s_delay_alu instid0(VALU_DEP_1) | instskip(SKIP_1) | instid1(VALU_DEP_1)
	v_fmac_f32_e32 v123, v124, v123
	v_div_scale_f32 v124, vcc_lo, 1.0, v116, 1.0
	v_mul_f32_e32 v125, v124, v123
	s_delay_alu instid0(VALU_DEP_1) | instskip(NEXT) | instid1(VALU_DEP_1)
	v_fma_f32 v126, -v117, v125, v124
	v_fmac_f32_e32 v125, v126, v123
	s_delay_alu instid0(VALU_DEP_1) | instskip(NEXT) | instid1(VALU_DEP_1)
	v_fma_f32 v117, -v117, v125, v124
	v_div_fmas_f32 v117, v117, v123, v125
	s_delay_alu instid0(VALU_DEP_1) | instskip(NEXT) | instid1(VALU_DEP_1)
	v_div_fixup_f32 v116, v117, v116, 1.0
	v_mul_f32_e64 v117, v115, -v116
.LBB106_51:
	s_or_b32 exec_lo, exec_lo, s1
.LBB106_52:
	s_delay_alu instid0(SALU_CYCLE_1) | instskip(NEXT) | instid1(SALU_CYCLE_1)
	s_or_b32 exec_lo, exec_lo, s0
	s_mov_b32 s0, exec_lo
	v_cmpx_ne_u32_e64 v122, v114
	s_xor_b32 s0, exec_lo, s0
	s_cbranch_execz .LBB106_58
; %bb.53:
	s_mov_b32 s1, exec_lo
	v_cmpx_eq_u32_e32 2, v122
	s_cbranch_execz .LBB106_57
; %bb.54:
	v_cmp_ne_u32_e32 vcc_lo, 2, v114
	s_xor_b32 s12, s16, -1
	s_delay_alu instid0(SALU_CYCLE_1) | instskip(NEXT) | instid1(SALU_CYCLE_1)
	s_and_b32 s13, s12, vcc_lo
	s_and_saveexec_b32 s12, s13
	s_cbranch_execz .LBB106_56
; %bb.55:
	v_ashrrev_i32_e32 v115, 31, v114
	s_delay_alu instid0(VALU_DEP_1)
	v_lshl_add_u64 v[122:123], v[114:115], 2, v[4:5]
	s_clause 0x1
	global_load_b32 v115, v[122:123], off
	global_load_b32 v121, v[4:5], off offset:8
	s_wait_loadcnt 0x1
	global_store_b32 v[4:5], v115, off offset:8
	s_wait_loadcnt 0x0
	global_store_b32 v[122:123], v121, off
.LBB106_56:
	s_wait_xcnt 0x0
	s_or_b32 exec_lo, exec_lo, s12
	v_dual_mov_b32 v122, v114 :: v_dual_mov_b32 v121, v114
.LBB106_57:
	s_or_b32 exec_lo, exec_lo, s1
.LBB106_58:
	s_and_not1_saveexec_b32 s0, s0
	s_cbranch_execz .LBB106_60
; %bb.59:
	v_mov_b32_e32 v122, 2
	ds_store_2addr_b64 v118, v[104:105], v[92:93] offset0:3 offset1:4
	ds_store_2addr_b64 v118, v[44:45], v[48:49] offset0:5 offset1:6
	;; [unrolled: 1-line block ×25, first 2 shown]
	ds_store_b64 v118, v[112:113] offset:424
.LBB106_60:
	s_or_b32 exec_lo, exec_lo, s0
	s_delay_alu instid0(SALU_CYCLE_1)
	s_mov_b32 s0, exec_lo
	s_wait_storecnt_dscnt 0x0
	s_barrier_signal -1
	s_barrier_wait -1
	v_cmpx_lt_i32_e32 2, v122
	s_cbranch_execz .LBB106_62
; %bb.61:
	v_pk_mul_f32 v[124:125], v[116:117], v[106:107] op_sel:[1,1] op_sel_hi:[0,1]
	s_delay_alu instid0(VALU_DEP_1)
	v_pk_fma_f32 v[114:115], v[116:117], v[106:107], v[124:125] op_sel_hi:[1,0,1] neg_lo:[0,0,1] neg_hi:[0,0,1]
	v_pk_fma_f32 v[116:117], v[116:117], v[106:107], v[124:125] op_sel_hi:[1,0,1]
	ds_load_2addr_b64 v[124:127], v118 offset0:3 offset1:4
	v_dual_mov_b32 v106, v114 :: v_dual_mov_b32 v107, v117
	s_wait_dscnt 0x0
	v_pk_mul_f32 v[128:129], v[124:125], v[116:117] op_sel:[0,1]
	s_delay_alu instid0(VALU_DEP_1) | instskip(SKIP_1) | instid1(VALU_DEP_1)
	v_pk_fma_f32 v[130:131], v[124:125], v[114:115], v[128:129] op_sel:[0,0,1] op_sel_hi:[1,1,0] neg_lo:[0,0,1] neg_hi:[0,0,1]
	v_pk_fma_f32 v[124:125], v[124:125], v[114:115], v[128:129] op_sel:[0,0,1] op_sel_hi:[1,0,0]
	v_mov_b32_e32 v131, v125
	v_pk_mul_f32 v[124:125], v[126:127], v[116:117] op_sel:[0,1]
	s_delay_alu instid0(VALU_DEP_1) | instskip(SKIP_1) | instid1(VALU_DEP_1)
	v_pk_fma_f32 v[128:129], v[126:127], v[114:115], v[124:125] op_sel:[0,0,1] op_sel_hi:[1,1,0] neg_lo:[0,0,1] neg_hi:[0,0,1]
	v_pk_fma_f32 v[124:125], v[126:127], v[114:115], v[124:125] op_sel:[0,0,1] op_sel_hi:[1,0,0]
	v_mov_b32_e32 v129, v125
	ds_load_2addr_b64 v[124:127], v118 offset0:5 offset1:6
	v_pk_add_f32 v[104:105], v[104:105], v[130:131] neg_lo:[0,1] neg_hi:[0,1]
	v_pk_add_f32 v[92:93], v[92:93], v[128:129] neg_lo:[0,1] neg_hi:[0,1]
	s_wait_dscnt 0x0
	v_pk_mul_f32 v[128:129], v[124:125], v[116:117] op_sel:[0,1]
	s_delay_alu instid0(VALU_DEP_1) | instskip(SKIP_2) | instid1(VALU_DEP_2)
	v_pk_fma_f32 v[130:131], v[124:125], v[114:115], v[128:129] op_sel:[0,0,1] op_sel_hi:[1,1,0] neg_lo:[0,0,1] neg_hi:[0,0,1]
	v_pk_fma_f32 v[124:125], v[124:125], v[114:115], v[128:129] op_sel:[0,0,1] op_sel_hi:[1,0,0]
	v_dual_mul_f32 v128, v127, v117 :: v_dual_mov_b32 v124, v127
	v_dual_mov_b32 v131, v125 :: v_dual_mov_b32 v125, v126
	s_delay_alu instid0(VALU_DEP_2) | instskip(SKIP_1) | instid1(VALU_DEP_3)
	v_pk_fma_f32 v[128:129], v[126:127], v[106:107], v[128:129] op_sel_hi:[1,1,0] neg_lo:[0,0,1] neg_hi:[0,0,1]
	v_mul_f32_e32 v126, v127, v114
	v_pk_add_f32 v[44:45], v[44:45], v[130:131] neg_lo:[0,1] neg_hi:[0,1]
	s_delay_alu instid0(VALU_DEP_2) | instskip(NEXT) | instid1(VALU_DEP_1)
	v_pk_fma_f32 v[124:125], v[124:125], v[106:107], v[126:127] op_sel_hi:[1,1,0]
	v_mov_b32_e32 v129, v125
	ds_load_2addr_b64 v[124:127], v118 offset0:7 offset1:8
	v_pk_add_f32 v[48:49], v[48:49], v[128:129] neg_lo:[0,1] neg_hi:[0,1]
	s_wait_dscnt 0x0
	v_pk_mul_f32 v[128:129], v[124:125], v[116:117] op_sel:[0,1]
	s_delay_alu instid0(VALU_DEP_1) | instskip(SKIP_1) | instid1(VALU_DEP_1)
	v_pk_fma_f32 v[130:131], v[124:125], v[114:115], v[128:129] op_sel:[0,0,1] op_sel_hi:[1,1,0] neg_lo:[0,0,1] neg_hi:[0,0,1]
	v_pk_fma_f32 v[124:125], v[124:125], v[114:115], v[128:129] op_sel:[0,0,1] op_sel_hi:[1,0,0]
	v_mov_b32_e32 v131, v125
	v_pk_mul_f32 v[124:125], v[126:127], v[116:117] op_sel:[0,1]
	s_delay_alu instid0(VALU_DEP_1) | instskip(SKIP_1) | instid1(VALU_DEP_1)
	v_pk_fma_f32 v[128:129], v[126:127], v[114:115], v[124:125] op_sel:[0,0,1] op_sel_hi:[1,1,0] neg_lo:[0,0,1] neg_hi:[0,0,1]
	v_pk_fma_f32 v[124:125], v[126:127], v[114:115], v[124:125] op_sel:[0,0,1] op_sel_hi:[1,0,0]
	v_mov_b32_e32 v129, v125
	ds_load_2addr_b64 v[124:127], v118 offset0:9 offset1:10
	v_pk_add_f32 v[42:43], v[42:43], v[130:131] neg_lo:[0,1] neg_hi:[0,1]
	v_pk_add_f32 v[102:103], v[102:103], v[128:129] neg_lo:[0,1] neg_hi:[0,1]
	s_wait_dscnt 0x0
	v_pk_mul_f32 v[128:129], v[124:125], v[116:117] op_sel:[0,1]
	s_delay_alu instid0(VALU_DEP_1) | instskip(SKIP_1) | instid1(VALU_DEP_1)
	v_pk_fma_f32 v[130:131], v[124:125], v[114:115], v[128:129] op_sel:[0,0,1] op_sel_hi:[1,1,0] neg_lo:[0,0,1] neg_hi:[0,0,1]
	v_pk_fma_f32 v[124:125], v[124:125], v[114:115], v[128:129] op_sel:[0,0,1] op_sel_hi:[1,0,0]
	v_mov_b32_e32 v131, v125
	v_pk_mul_f32 v[124:125], v[126:127], v[116:117] op_sel:[0,1]
	s_delay_alu instid0(VALU_DEP_1) | instskip(SKIP_1) | instid1(VALU_DEP_1)
	v_pk_fma_f32 v[128:129], v[126:127], v[114:115], v[124:125] op_sel:[0,0,1] op_sel_hi:[1,1,0] neg_lo:[0,0,1] neg_hi:[0,0,1]
	v_pk_fma_f32 v[124:125], v[126:127], v[114:115], v[124:125] op_sel:[0,0,1] op_sel_hi:[1,0,0]
	v_mov_b32_e32 v129, v125
	ds_load_2addr_b64 v[124:127], v118 offset0:11 offset1:12
	v_pk_add_f32 v[78:79], v[78:79], v[130:131] neg_lo:[0,1] neg_hi:[0,1]
	v_pk_add_f32 v[80:81], v[80:81], v[128:129] neg_lo:[0,1] neg_hi:[0,1]
	s_wait_dscnt 0x0
	v_dual_mul_f32 v128, v125, v117 :: v_dual_mul_f32 v130, v125, v114
	s_delay_alu instid0(VALU_DEP_1) | instskip(NEXT) | instid1(VALU_DEP_2)
	v_pk_fma_f32 v[128:129], v[124:125], v[106:107], v[128:129] op_sel_hi:[1,1,0] neg_lo:[0,0,1] neg_hi:[0,0,1]
	v_pk_fma_f32 v[124:125], v[124:125], v[106:107], v[130:131] op_sel:[1,0,0] op_sel_hi:[0,1,0]
	s_delay_alu instid0(VALU_DEP_1) | instskip(SKIP_1) | instid1(VALU_DEP_2)
	v_mov_b32_e32 v129, v125
	v_pk_mul_f32 v[124:125], v[126:127], v[116:117] op_sel:[0,1]
	v_pk_add_f32 v[76:77], v[76:77], v[128:129] neg_lo:[0,1] neg_hi:[0,1]
	s_delay_alu instid0(VALU_DEP_2) | instskip(SKIP_1) | instid1(VALU_DEP_1)
	v_pk_fma_f32 v[128:129], v[126:127], v[114:115], v[124:125] op_sel:[0,0,1] op_sel_hi:[1,1,0] neg_lo:[0,0,1] neg_hi:[0,0,1]
	v_pk_fma_f32 v[124:125], v[126:127], v[114:115], v[124:125] op_sel:[0,0,1] op_sel_hi:[1,0,0]
	v_mov_b32_e32 v129, v125
	ds_load_2addr_b64 v[124:127], v118 offset0:13 offset1:14
	v_pk_add_f32 v[100:101], v[100:101], v[128:129] neg_lo:[0,1] neg_hi:[0,1]
	s_wait_dscnt 0x0
	v_pk_mul_f32 v[128:129], v[124:125], v[116:117] op_sel:[0,1]
	s_delay_alu instid0(VALU_DEP_1) | instskip(SKIP_1) | instid1(VALU_DEP_1)
	v_pk_fma_f32 v[130:131], v[124:125], v[114:115], v[128:129] op_sel:[0,0,1] op_sel_hi:[1,1,0] neg_lo:[0,0,1] neg_hi:[0,0,1]
	v_pk_fma_f32 v[124:125], v[124:125], v[114:115], v[128:129] op_sel:[0,0,1] op_sel_hi:[1,0,0]
	v_mov_b32_e32 v131, v125
	v_pk_mul_f32 v[124:125], v[126:127], v[116:117] op_sel:[0,1]
	s_delay_alu instid0(VALU_DEP_2) | instskip(NEXT) | instid1(VALU_DEP_2)
	v_pk_add_f32 v[72:73], v[72:73], v[130:131] neg_lo:[0,1] neg_hi:[0,1]
	v_pk_fma_f32 v[128:129], v[126:127], v[114:115], v[124:125] op_sel:[0,0,1] op_sel_hi:[1,1,0] neg_lo:[0,0,1] neg_hi:[0,0,1]
	v_pk_fma_f32 v[124:125], v[126:127], v[114:115], v[124:125] op_sel:[0,0,1] op_sel_hi:[1,0,0]
	s_delay_alu instid0(VALU_DEP_1) | instskip(SKIP_4) | instid1(VALU_DEP_1)
	v_mov_b32_e32 v129, v125
	ds_load_2addr_b64 v[124:127], v118 offset0:15 offset1:16
	v_pk_add_f32 v[74:75], v[74:75], v[128:129] neg_lo:[0,1] neg_hi:[0,1]
	s_wait_dscnt 0x0
	v_pk_mul_f32 v[128:129], v[124:125], v[116:117] op_sel:[0,1]
	v_pk_fma_f32 v[130:131], v[124:125], v[114:115], v[128:129] op_sel:[0,0,1] op_sel_hi:[1,1,0] neg_lo:[0,0,1] neg_hi:[0,0,1]
	v_pk_fma_f32 v[124:125], v[124:125], v[114:115], v[128:129] op_sel:[0,0,1] op_sel_hi:[1,0,0]
	v_dual_mul_f32 v128, v127, v117 :: v_dual_mov_b32 v124, v127
	s_delay_alu instid0(VALU_DEP_2) | instskip(NEXT) | instid1(VALU_DEP_2)
	v_dual_mov_b32 v131, v125 :: v_dual_mov_b32 v125, v126
	v_pk_fma_f32 v[128:129], v[126:127], v[106:107], v[128:129] op_sel_hi:[1,1,0] neg_lo:[0,0,1] neg_hi:[0,0,1]
	v_mul_f32_e32 v126, v127, v114
	s_delay_alu instid0(VALU_DEP_3) | instskip(NEXT) | instid1(VALU_DEP_2)
	v_pk_add_f32 v[70:71], v[70:71], v[130:131] neg_lo:[0,1] neg_hi:[0,1]
	v_pk_fma_f32 v[124:125], v[124:125], v[106:107], v[126:127] op_sel_hi:[1,1,0]
	s_delay_alu instid0(VALU_DEP_1) | instskip(SKIP_4) | instid1(VALU_DEP_1)
	v_mov_b32_e32 v129, v125
	ds_load_2addr_b64 v[124:127], v118 offset0:17 offset1:18
	v_pk_add_f32 v[98:99], v[98:99], v[128:129] neg_lo:[0,1] neg_hi:[0,1]
	s_wait_dscnt 0x0
	v_pk_mul_f32 v[128:129], v[124:125], v[116:117] op_sel:[0,1]
	v_pk_fma_f32 v[130:131], v[124:125], v[114:115], v[128:129] op_sel:[0,0,1] op_sel_hi:[1,1,0] neg_lo:[0,0,1] neg_hi:[0,0,1]
	v_pk_fma_f32 v[124:125], v[124:125], v[114:115], v[128:129] op_sel:[0,0,1] op_sel_hi:[1,0,0]
	s_delay_alu instid0(VALU_DEP_1) | instskip(SKIP_1) | instid1(VALU_DEP_1)
	v_mov_b32_e32 v131, v125
	v_pk_mul_f32 v[124:125], v[126:127], v[116:117] op_sel:[0,1]
	v_pk_fma_f32 v[128:129], v[126:127], v[114:115], v[124:125] op_sel:[0,0,1] op_sel_hi:[1,1,0] neg_lo:[0,0,1] neg_hi:[0,0,1]
	v_pk_fma_f32 v[124:125], v[126:127], v[114:115], v[124:125] op_sel:[0,0,1] op_sel_hi:[1,0,0]
	s_delay_alu instid0(VALU_DEP_1)
	v_mov_b32_e32 v129, v125
	ds_load_2addr_b64 v[124:127], v118 offset0:19 offset1:20
	v_pk_add_f32 v[64:65], v[64:65], v[130:131] neg_lo:[0,1] neg_hi:[0,1]
	v_pk_add_f32 v[68:69], v[68:69], v[128:129] neg_lo:[0,1] neg_hi:[0,1]
	s_wait_dscnt 0x0
	v_pk_mul_f32 v[128:129], v[124:125], v[116:117] op_sel:[0,1]
	s_delay_alu instid0(VALU_DEP_1) | instskip(SKIP_1) | instid1(VALU_DEP_1)
	v_pk_fma_f32 v[130:131], v[124:125], v[114:115], v[128:129] op_sel:[0,0,1] op_sel_hi:[1,1,0] neg_lo:[0,0,1] neg_hi:[0,0,1]
	v_pk_fma_f32 v[124:125], v[124:125], v[114:115], v[128:129] op_sel:[0,0,1] op_sel_hi:[1,0,0]
	v_mov_b32_e32 v131, v125
	v_pk_mul_f32 v[124:125], v[126:127], v[116:117] op_sel:[0,1]
	s_delay_alu instid0(VALU_DEP_1) | instskip(SKIP_1) | instid1(VALU_DEP_1)
	v_pk_fma_f32 v[128:129], v[126:127], v[114:115], v[124:125] op_sel:[0,0,1] op_sel_hi:[1,1,0] neg_lo:[0,0,1] neg_hi:[0,0,1]
	v_pk_fma_f32 v[124:125], v[126:127], v[114:115], v[124:125] op_sel:[0,0,1] op_sel_hi:[1,0,0]
	v_mov_b32_e32 v129, v125
	ds_load_2addr_b64 v[124:127], v118 offset0:21 offset1:22
	v_pk_add_f32 v[62:63], v[62:63], v[130:131] neg_lo:[0,1] neg_hi:[0,1]
	v_pk_add_f32 v[96:97], v[96:97], v[128:129] neg_lo:[0,1] neg_hi:[0,1]
	s_wait_dscnt 0x0
	v_dual_mul_f32 v128, v125, v117 :: v_dual_mul_f32 v130, v125, v114
	s_delay_alu instid0(VALU_DEP_1) | instskip(NEXT) | instid1(VALU_DEP_2)
	v_pk_fma_f32 v[128:129], v[124:125], v[106:107], v[128:129] op_sel_hi:[1,1,0] neg_lo:[0,0,1] neg_hi:[0,0,1]
	v_pk_fma_f32 v[124:125], v[124:125], v[106:107], v[130:131] op_sel:[1,0,0] op_sel_hi:[0,1,0]
	s_delay_alu instid0(VALU_DEP_1) | instskip(SKIP_1) | instid1(VALU_DEP_2)
	v_mov_b32_e32 v129, v125
	v_pk_mul_f32 v[124:125], v[126:127], v[116:117] op_sel:[0,1]
	v_pk_add_f32 v[58:59], v[58:59], v[128:129] neg_lo:[0,1] neg_hi:[0,1]
	s_delay_alu instid0(VALU_DEP_2) | instskip(SKIP_1) | instid1(VALU_DEP_1)
	v_pk_fma_f32 v[128:129], v[126:127], v[114:115], v[124:125] op_sel:[0,0,1] op_sel_hi:[1,1,0] neg_lo:[0,0,1] neg_hi:[0,0,1]
	v_pk_fma_f32 v[124:125], v[126:127], v[114:115], v[124:125] op_sel:[0,0,1] op_sel_hi:[1,0,0]
	v_mov_b32_e32 v129, v125
	ds_load_2addr_b64 v[124:127], v118 offset0:23 offset1:24
	v_pk_add_f32 v[60:61], v[60:61], v[128:129] neg_lo:[0,1] neg_hi:[0,1]
	s_wait_dscnt 0x0
	v_pk_mul_f32 v[128:129], v[124:125], v[116:117] op_sel:[0,1]
	s_delay_alu instid0(VALU_DEP_1) | instskip(SKIP_1) | instid1(VALU_DEP_1)
	v_pk_fma_f32 v[130:131], v[124:125], v[114:115], v[128:129] op_sel:[0,0,1] op_sel_hi:[1,1,0] neg_lo:[0,0,1] neg_hi:[0,0,1]
	v_pk_fma_f32 v[124:125], v[124:125], v[114:115], v[128:129] op_sel:[0,0,1] op_sel_hi:[1,0,0]
	v_mov_b32_e32 v131, v125
	v_pk_mul_f32 v[124:125], v[126:127], v[116:117] op_sel:[0,1]
	s_delay_alu instid0(VALU_DEP_2) | instskip(NEXT) | instid1(VALU_DEP_2)
	v_pk_add_f32 v[56:57], v[56:57], v[130:131] neg_lo:[0,1] neg_hi:[0,1]
	v_pk_fma_f32 v[128:129], v[126:127], v[114:115], v[124:125] op_sel:[0,0,1] op_sel_hi:[1,1,0] neg_lo:[0,0,1] neg_hi:[0,0,1]
	v_pk_fma_f32 v[124:125], v[126:127], v[114:115], v[124:125] op_sel:[0,0,1] op_sel_hi:[1,0,0]
	s_delay_alu instid0(VALU_DEP_1) | instskip(SKIP_4) | instid1(VALU_DEP_1)
	v_mov_b32_e32 v129, v125
	ds_load_2addr_b64 v[124:127], v118 offset0:25 offset1:26
	v_pk_add_f32 v[94:95], v[94:95], v[128:129] neg_lo:[0,1] neg_hi:[0,1]
	s_wait_dscnt 0x0
	v_pk_mul_f32 v[128:129], v[124:125], v[116:117] op_sel:[0,1]
	v_pk_fma_f32 v[130:131], v[124:125], v[114:115], v[128:129] op_sel:[0,0,1] op_sel_hi:[1,1,0] neg_lo:[0,0,1] neg_hi:[0,0,1]
	v_pk_fma_f32 v[124:125], v[124:125], v[114:115], v[128:129] op_sel:[0,0,1] op_sel_hi:[1,0,0]
	v_dual_mul_f32 v128, v127, v117 :: v_dual_mov_b32 v124, v127
	s_delay_alu instid0(VALU_DEP_2) | instskip(NEXT) | instid1(VALU_DEP_2)
	v_dual_mov_b32 v131, v125 :: v_dual_mov_b32 v125, v126
	v_pk_fma_f32 v[128:129], v[126:127], v[106:107], v[128:129] op_sel_hi:[1,1,0] neg_lo:[0,0,1] neg_hi:[0,0,1]
	v_mul_f32_e32 v126, v127, v114
	s_delay_alu instid0(VALU_DEP_3) | instskip(NEXT) | instid1(VALU_DEP_2)
	v_pk_add_f32 v[52:53], v[52:53], v[130:131] neg_lo:[0,1] neg_hi:[0,1]
	v_pk_fma_f32 v[124:125], v[124:125], v[106:107], v[126:127] op_sel_hi:[1,1,0]
	s_delay_alu instid0(VALU_DEP_1) | instskip(SKIP_4) | instid1(VALU_DEP_1)
	v_mov_b32_e32 v129, v125
	ds_load_2addr_b64 v[124:127], v118 offset0:27 offset1:28
	v_pk_add_f32 v[54:55], v[54:55], v[128:129] neg_lo:[0,1] neg_hi:[0,1]
	s_wait_dscnt 0x0
	v_pk_mul_f32 v[128:129], v[124:125], v[116:117] op_sel:[0,1]
	v_pk_fma_f32 v[130:131], v[124:125], v[114:115], v[128:129] op_sel:[0,0,1] op_sel_hi:[1,1,0] neg_lo:[0,0,1] neg_hi:[0,0,1]
	v_pk_fma_f32 v[124:125], v[124:125], v[114:115], v[128:129] op_sel:[0,0,1] op_sel_hi:[1,0,0]
	s_delay_alu instid0(VALU_DEP_1) | instskip(SKIP_1) | instid1(VALU_DEP_1)
	v_mov_b32_e32 v131, v125
	v_pk_mul_f32 v[124:125], v[126:127], v[116:117] op_sel:[0,1]
	v_pk_fma_f32 v[128:129], v[126:127], v[114:115], v[124:125] op_sel:[0,0,1] op_sel_hi:[1,1,0] neg_lo:[0,0,1] neg_hi:[0,0,1]
	v_pk_fma_f32 v[124:125], v[126:127], v[114:115], v[124:125] op_sel:[0,0,1] op_sel_hi:[1,0,0]
	s_delay_alu instid0(VALU_DEP_1)
	v_mov_b32_e32 v129, v125
	ds_load_2addr_b64 v[124:127], v118 offset0:29 offset1:30
	v_pk_add_f32 v[50:51], v[50:51], v[130:131] neg_lo:[0,1] neg_hi:[0,1]
	v_pk_add_f32 v[90:91], v[90:91], v[128:129] neg_lo:[0,1] neg_hi:[0,1]
	s_wait_dscnt 0x0
	v_pk_mul_f32 v[128:129], v[124:125], v[116:117] op_sel:[0,1]
	s_delay_alu instid0(VALU_DEP_1) | instskip(SKIP_1) | instid1(VALU_DEP_1)
	v_pk_fma_f32 v[130:131], v[124:125], v[114:115], v[128:129] op_sel:[0,0,1] op_sel_hi:[1,1,0] neg_lo:[0,0,1] neg_hi:[0,0,1]
	v_pk_fma_f32 v[124:125], v[124:125], v[114:115], v[128:129] op_sel:[0,0,1] op_sel_hi:[1,0,0]
	v_mov_b32_e32 v131, v125
	v_pk_mul_f32 v[124:125], v[126:127], v[116:117] op_sel:[0,1]
	s_delay_alu instid0(VALU_DEP_1) | instskip(SKIP_1) | instid1(VALU_DEP_1)
	v_pk_fma_f32 v[128:129], v[126:127], v[114:115], v[124:125] op_sel:[0,0,1] op_sel_hi:[1,1,0] neg_lo:[0,0,1] neg_hi:[0,0,1]
	v_pk_fma_f32 v[124:125], v[126:127], v[114:115], v[124:125] op_sel:[0,0,1] op_sel_hi:[1,0,0]
	v_mov_b32_e32 v129, v125
	ds_load_2addr_b64 v[124:127], v118 offset0:31 offset1:32
	v_pk_add_f32 v[38:39], v[38:39], v[130:131] neg_lo:[0,1] neg_hi:[0,1]
	v_pk_add_f32 v[40:41], v[40:41], v[128:129] neg_lo:[0,1] neg_hi:[0,1]
	s_wait_dscnt 0x0
	v_dual_mul_f32 v128, v125, v117 :: v_dual_mul_f32 v130, v125, v114
	s_delay_alu instid0(VALU_DEP_1) | instskip(NEXT) | instid1(VALU_DEP_2)
	v_pk_fma_f32 v[128:129], v[124:125], v[106:107], v[128:129] op_sel_hi:[1,1,0] neg_lo:[0,0,1] neg_hi:[0,0,1]
	v_pk_fma_f32 v[124:125], v[124:125], v[106:107], v[130:131] op_sel:[1,0,0] op_sel_hi:[0,1,0]
	s_delay_alu instid0(VALU_DEP_1) | instskip(SKIP_1) | instid1(VALU_DEP_2)
	v_mov_b32_e32 v129, v125
	v_pk_mul_f32 v[124:125], v[126:127], v[116:117] op_sel:[0,1]
	v_pk_add_f32 v[36:37], v[36:37], v[128:129] neg_lo:[0,1] neg_hi:[0,1]
	s_delay_alu instid0(VALU_DEP_2) | instskip(SKIP_1) | instid1(VALU_DEP_1)
	v_pk_fma_f32 v[128:129], v[126:127], v[114:115], v[124:125] op_sel:[0,0,1] op_sel_hi:[1,1,0] neg_lo:[0,0,1] neg_hi:[0,0,1]
	v_pk_fma_f32 v[124:125], v[126:127], v[114:115], v[124:125] op_sel:[0,0,1] op_sel_hi:[1,0,0]
	v_mov_b32_e32 v129, v125
	ds_load_2addr_b64 v[124:127], v118 offset0:33 offset1:34
	v_pk_add_f32 v[88:89], v[88:89], v[128:129] neg_lo:[0,1] neg_hi:[0,1]
	s_wait_dscnt 0x0
	v_pk_mul_f32 v[128:129], v[124:125], v[116:117] op_sel:[0,1]
	s_delay_alu instid0(VALU_DEP_1) | instskip(SKIP_1) | instid1(VALU_DEP_1)
	v_pk_fma_f32 v[130:131], v[124:125], v[114:115], v[128:129] op_sel:[0,0,1] op_sel_hi:[1,1,0] neg_lo:[0,0,1] neg_hi:[0,0,1]
	v_pk_fma_f32 v[124:125], v[124:125], v[114:115], v[128:129] op_sel:[0,0,1] op_sel_hi:[1,0,0]
	v_mov_b32_e32 v131, v125
	v_pk_mul_f32 v[124:125], v[126:127], v[116:117] op_sel:[0,1]
	s_delay_alu instid0(VALU_DEP_2) | instskip(NEXT) | instid1(VALU_DEP_2)
	v_pk_add_f32 v[32:33], v[32:33], v[130:131] neg_lo:[0,1] neg_hi:[0,1]
	v_pk_fma_f32 v[128:129], v[126:127], v[114:115], v[124:125] op_sel:[0,0,1] op_sel_hi:[1,1,0] neg_lo:[0,0,1] neg_hi:[0,0,1]
	v_pk_fma_f32 v[124:125], v[126:127], v[114:115], v[124:125] op_sel:[0,0,1] op_sel_hi:[1,0,0]
	s_delay_alu instid0(VALU_DEP_1) | instskip(SKIP_4) | instid1(VALU_DEP_1)
	v_mov_b32_e32 v129, v125
	ds_load_2addr_b64 v[124:127], v118 offset0:35 offset1:36
	v_pk_add_f32 v[34:35], v[34:35], v[128:129] neg_lo:[0,1] neg_hi:[0,1]
	s_wait_dscnt 0x0
	v_pk_mul_f32 v[128:129], v[124:125], v[116:117] op_sel:[0,1]
	v_pk_fma_f32 v[130:131], v[124:125], v[114:115], v[128:129] op_sel:[0,0,1] op_sel_hi:[1,1,0] neg_lo:[0,0,1] neg_hi:[0,0,1]
	v_pk_fma_f32 v[124:125], v[124:125], v[114:115], v[128:129] op_sel:[0,0,1] op_sel_hi:[1,0,0]
	v_dual_mul_f32 v128, v127, v117 :: v_dual_mov_b32 v124, v127
	s_delay_alu instid0(VALU_DEP_2) | instskip(NEXT) | instid1(VALU_DEP_2)
	v_dual_mov_b32 v131, v125 :: v_dual_mov_b32 v125, v126
	v_pk_fma_f32 v[128:129], v[126:127], v[106:107], v[128:129] op_sel_hi:[1,1,0] neg_lo:[0,0,1] neg_hi:[0,0,1]
	v_mul_f32_e32 v126, v127, v114
	s_delay_alu instid0(VALU_DEP_3) | instskip(NEXT) | instid1(VALU_DEP_2)
	v_pk_add_f32 v[30:31], v[30:31], v[130:131] neg_lo:[0,1] neg_hi:[0,1]
	v_pk_fma_f32 v[124:125], v[124:125], v[106:107], v[126:127] op_sel_hi:[1,1,0]
	s_delay_alu instid0(VALU_DEP_1) | instskip(SKIP_4) | instid1(VALU_DEP_1)
	v_mov_b32_e32 v129, v125
	ds_load_2addr_b64 v[124:127], v118 offset0:37 offset1:38
	v_pk_add_f32 v[86:87], v[86:87], v[128:129] neg_lo:[0,1] neg_hi:[0,1]
	s_wait_dscnt 0x0
	v_pk_mul_f32 v[128:129], v[124:125], v[116:117] op_sel:[0,1]
	v_pk_fma_f32 v[130:131], v[124:125], v[114:115], v[128:129] op_sel:[0,0,1] op_sel_hi:[1,1,0] neg_lo:[0,0,1] neg_hi:[0,0,1]
	v_pk_fma_f32 v[124:125], v[124:125], v[114:115], v[128:129] op_sel:[0,0,1] op_sel_hi:[1,0,0]
	s_delay_alu instid0(VALU_DEP_1) | instskip(SKIP_1) | instid1(VALU_DEP_1)
	v_mov_b32_e32 v131, v125
	v_pk_mul_f32 v[124:125], v[126:127], v[116:117] op_sel:[0,1]
	v_pk_fma_f32 v[128:129], v[126:127], v[114:115], v[124:125] op_sel:[0,0,1] op_sel_hi:[1,1,0] neg_lo:[0,0,1] neg_hi:[0,0,1]
	v_pk_fma_f32 v[124:125], v[126:127], v[114:115], v[124:125] op_sel:[0,0,1] op_sel_hi:[1,0,0]
	s_delay_alu instid0(VALU_DEP_1)
	v_mov_b32_e32 v129, v125
	ds_load_2addr_b64 v[124:127], v118 offset0:39 offset1:40
	v_pk_add_f32 v[24:25], v[24:25], v[130:131] neg_lo:[0,1] neg_hi:[0,1]
	v_pk_add_f32 v[26:27], v[26:27], v[128:129] neg_lo:[0,1] neg_hi:[0,1]
	s_wait_dscnt 0x0
	v_pk_mul_f32 v[128:129], v[124:125], v[116:117] op_sel:[0,1]
	s_delay_alu instid0(VALU_DEP_1) | instskip(SKIP_1) | instid1(VALU_DEP_1)
	v_pk_fma_f32 v[130:131], v[124:125], v[114:115], v[128:129] op_sel:[0,0,1] op_sel_hi:[1,1,0] neg_lo:[0,0,1] neg_hi:[0,0,1]
	v_pk_fma_f32 v[124:125], v[124:125], v[114:115], v[128:129] op_sel:[0,0,1] op_sel_hi:[1,0,0]
	v_mov_b32_e32 v131, v125
	v_pk_mul_f32 v[124:125], v[126:127], v[116:117] op_sel:[0,1]
	s_delay_alu instid0(VALU_DEP_1) | instskip(SKIP_1) | instid1(VALU_DEP_1)
	v_pk_fma_f32 v[128:129], v[126:127], v[114:115], v[124:125] op_sel:[0,0,1] op_sel_hi:[1,1,0] neg_lo:[0,0,1] neg_hi:[0,0,1]
	v_pk_fma_f32 v[124:125], v[126:127], v[114:115], v[124:125] op_sel:[0,0,1] op_sel_hi:[1,0,0]
	v_mov_b32_e32 v129, v125
	ds_load_2addr_b64 v[124:127], v118 offset0:41 offset1:42
	v_pk_add_f32 v[22:23], v[22:23], v[130:131] neg_lo:[0,1] neg_hi:[0,1]
	v_pk_add_f32 v[84:85], v[84:85], v[128:129] neg_lo:[0,1] neg_hi:[0,1]
	s_wait_dscnt 0x0
	v_dual_mul_f32 v128, v125, v117 :: v_dual_mul_f32 v130, v125, v114
	s_delay_alu instid0(VALU_DEP_1) | instskip(NEXT) | instid1(VALU_DEP_2)
	v_pk_fma_f32 v[128:129], v[124:125], v[106:107], v[128:129] op_sel_hi:[1,1,0] neg_lo:[0,0,1] neg_hi:[0,0,1]
	v_pk_fma_f32 v[124:125], v[124:125], v[106:107], v[130:131] op_sel:[1,0,0] op_sel_hi:[0,1,0]
	s_delay_alu instid0(VALU_DEP_1) | instskip(SKIP_1) | instid1(VALU_DEP_2)
	v_mov_b32_e32 v129, v125
	v_pk_mul_f32 v[124:125], v[126:127], v[116:117] op_sel:[0,1]
	v_pk_add_f32 v[18:19], v[18:19], v[128:129] neg_lo:[0,1] neg_hi:[0,1]
	s_delay_alu instid0(VALU_DEP_2) | instskip(SKIP_1) | instid1(VALU_DEP_1)
	v_pk_fma_f32 v[128:129], v[126:127], v[114:115], v[124:125] op_sel:[0,0,1] op_sel_hi:[1,1,0] neg_lo:[0,0,1] neg_hi:[0,0,1]
	v_pk_fma_f32 v[124:125], v[126:127], v[114:115], v[124:125] op_sel:[0,0,1] op_sel_hi:[1,0,0]
	v_mov_b32_e32 v129, v125
	ds_load_2addr_b64 v[124:127], v118 offset0:43 offset1:44
	v_pk_add_f32 v[20:21], v[20:21], v[128:129] neg_lo:[0,1] neg_hi:[0,1]
	s_wait_dscnt 0x0
	v_pk_mul_f32 v[128:129], v[124:125], v[116:117] op_sel:[0,1]
	s_delay_alu instid0(VALU_DEP_1) | instskip(SKIP_1) | instid1(VALU_DEP_1)
	v_pk_fma_f32 v[130:131], v[124:125], v[114:115], v[128:129] op_sel:[0,0,1] op_sel_hi:[1,1,0] neg_lo:[0,0,1] neg_hi:[0,0,1]
	v_pk_fma_f32 v[124:125], v[124:125], v[114:115], v[128:129] op_sel:[0,0,1] op_sel_hi:[1,0,0]
	v_mov_b32_e32 v131, v125
	v_pk_mul_f32 v[124:125], v[126:127], v[116:117] op_sel:[0,1]
	s_delay_alu instid0(VALU_DEP_2) | instskip(NEXT) | instid1(VALU_DEP_2)
	v_pk_add_f32 v[16:17], v[16:17], v[130:131] neg_lo:[0,1] neg_hi:[0,1]
	v_pk_fma_f32 v[128:129], v[126:127], v[114:115], v[124:125] op_sel:[0,0,1] op_sel_hi:[1,1,0] neg_lo:[0,0,1] neg_hi:[0,0,1]
	v_pk_fma_f32 v[124:125], v[126:127], v[114:115], v[124:125] op_sel:[0,0,1] op_sel_hi:[1,0,0]
	s_delay_alu instid0(VALU_DEP_1) | instskip(SKIP_4) | instid1(VALU_DEP_1)
	v_mov_b32_e32 v129, v125
	ds_load_2addr_b64 v[124:127], v118 offset0:45 offset1:46
	v_pk_add_f32 v[82:83], v[82:83], v[128:129] neg_lo:[0,1] neg_hi:[0,1]
	s_wait_dscnt 0x0
	v_pk_mul_f32 v[128:129], v[124:125], v[116:117] op_sel:[0,1]
	v_pk_fma_f32 v[130:131], v[124:125], v[114:115], v[128:129] op_sel:[0,0,1] op_sel_hi:[1,1,0] neg_lo:[0,0,1] neg_hi:[0,0,1]
	v_pk_fma_f32 v[124:125], v[124:125], v[114:115], v[128:129] op_sel:[0,0,1] op_sel_hi:[1,0,0]
	v_dual_mul_f32 v128, v127, v117 :: v_dual_mov_b32 v124, v127
	s_delay_alu instid0(VALU_DEP_2) | instskip(NEXT) | instid1(VALU_DEP_2)
	v_dual_mov_b32 v131, v125 :: v_dual_mov_b32 v125, v126
	v_pk_fma_f32 v[128:129], v[126:127], v[106:107], v[128:129] op_sel_hi:[1,1,0] neg_lo:[0,0,1] neg_hi:[0,0,1]
	v_mul_f32_e32 v126, v127, v114
	s_delay_alu instid0(VALU_DEP_3) | instskip(NEXT) | instid1(VALU_DEP_2)
	v_pk_add_f32 v[10:11], v[10:11], v[130:131] neg_lo:[0,1] neg_hi:[0,1]
	v_pk_fma_f32 v[124:125], v[124:125], v[106:107], v[126:127] op_sel_hi:[1,1,0]
	s_delay_alu instid0(VALU_DEP_1) | instskip(SKIP_4) | instid1(VALU_DEP_1)
	v_mov_b32_e32 v129, v125
	ds_load_2addr_b64 v[124:127], v118 offset0:47 offset1:48
	v_pk_add_f32 v[12:13], v[12:13], v[128:129] neg_lo:[0,1] neg_hi:[0,1]
	s_wait_dscnt 0x0
	v_pk_mul_f32 v[128:129], v[124:125], v[116:117] op_sel:[0,1]
	v_pk_fma_f32 v[130:131], v[124:125], v[114:115], v[128:129] op_sel:[0,0,1] op_sel_hi:[1,1,0] neg_lo:[0,0,1] neg_hi:[0,0,1]
	v_pk_fma_f32 v[124:125], v[124:125], v[114:115], v[128:129] op_sel:[0,0,1] op_sel_hi:[1,0,0]
	s_delay_alu instid0(VALU_DEP_1) | instskip(SKIP_1) | instid1(VALU_DEP_1)
	v_mov_b32_e32 v131, v125
	v_pk_mul_f32 v[124:125], v[126:127], v[116:117] op_sel:[0,1]
	v_pk_fma_f32 v[128:129], v[126:127], v[114:115], v[124:125] op_sel:[0,0,1] op_sel_hi:[1,1,0] neg_lo:[0,0,1] neg_hi:[0,0,1]
	v_pk_fma_f32 v[124:125], v[126:127], v[114:115], v[124:125] op_sel:[0,0,1] op_sel_hi:[1,0,0]
	s_delay_alu instid0(VALU_DEP_1)
	v_mov_b32_e32 v129, v125
	ds_load_2addr_b64 v[124:127], v118 offset0:49 offset1:50
	v_pk_add_f32 v[8:9], v[8:9], v[130:131] neg_lo:[0,1] neg_hi:[0,1]
	v_pk_add_f32 v[66:67], v[66:67], v[128:129] neg_lo:[0,1] neg_hi:[0,1]
	s_wait_dscnt 0x0
	v_pk_mul_f32 v[128:129], v[124:125], v[116:117] op_sel:[0,1]
	s_delay_alu instid0(VALU_DEP_1) | instskip(SKIP_1) | instid1(VALU_DEP_1)
	v_pk_fma_f32 v[130:131], v[124:125], v[114:115], v[128:129] op_sel:[0,0,1] op_sel_hi:[1,1,0] neg_lo:[0,0,1] neg_hi:[0,0,1]
	v_pk_fma_f32 v[124:125], v[124:125], v[114:115], v[128:129] op_sel:[0,0,1] op_sel_hi:[1,0,0]
	v_mov_b32_e32 v131, v125
	v_pk_mul_f32 v[124:125], v[126:127], v[116:117] op_sel:[0,1]
	s_delay_alu instid0(VALU_DEP_1) | instskip(SKIP_1) | instid1(VALU_DEP_1)
	v_pk_fma_f32 v[128:129], v[126:127], v[114:115], v[124:125] op_sel:[0,0,1] op_sel_hi:[1,1,0] neg_lo:[0,0,1] neg_hi:[0,0,1]
	v_pk_fma_f32 v[124:125], v[126:127], v[114:115], v[124:125] op_sel:[0,0,1] op_sel_hi:[1,0,0]
	v_mov_b32_e32 v129, v125
	ds_load_2addr_b64 v[124:127], v118 offset0:51 offset1:52
	v_pk_add_f32 v[6:7], v[6:7], v[130:131] neg_lo:[0,1] neg_hi:[0,1]
	v_pk_add_f32 v[46:47], v[46:47], v[128:129] neg_lo:[0,1] neg_hi:[0,1]
	s_wait_dscnt 0x0
	v_dual_mul_f32 v128, v125, v117 :: v_dual_mul_f32 v130, v125, v114
	s_delay_alu instid0(VALU_DEP_1) | instskip(NEXT) | instid1(VALU_DEP_2)
	v_pk_fma_f32 v[128:129], v[124:125], v[106:107], v[128:129] op_sel_hi:[1,1,0] neg_lo:[0,0,1] neg_hi:[0,0,1]
	v_pk_fma_f32 v[124:125], v[124:125], v[106:107], v[130:131] op_sel:[1,0,0] op_sel_hi:[0,1,0]
	s_delay_alu instid0(VALU_DEP_1) | instskip(SKIP_1) | instid1(VALU_DEP_2)
	v_mov_b32_e32 v129, v125
	v_pk_mul_f32 v[124:125], v[126:127], v[116:117] op_sel:[0,1]
	v_pk_add_f32 v[28:29], v[28:29], v[128:129] neg_lo:[0,1] neg_hi:[0,1]
	s_delay_alu instid0(VALU_DEP_2) | instskip(SKIP_1) | instid1(VALU_DEP_1)
	v_pk_fma_f32 v[128:129], v[126:127], v[114:115], v[124:125] op_sel:[0,0,1] op_sel_hi:[1,1,0] neg_lo:[0,0,1] neg_hi:[0,0,1]
	v_pk_fma_f32 v[124:125], v[126:127], v[114:115], v[124:125] op_sel:[0,0,1] op_sel_hi:[1,0,0]
	v_mov_b32_e32 v129, v125
	ds_load_b64 v[124:125], v118 offset:424
	v_pk_add_f32 v[14:15], v[14:15], v[128:129] neg_lo:[0,1] neg_hi:[0,1]
	s_wait_dscnt 0x0
	v_pk_mul_f32 v[116:117], v[124:125], v[116:117] op_sel:[0,1]
	s_delay_alu instid0(VALU_DEP_1) | instskip(SKIP_1) | instid1(VALU_DEP_1)
	v_pk_fma_f32 v[126:127], v[124:125], v[114:115], v[116:117] op_sel:[0,0,1] op_sel_hi:[1,1,0] neg_lo:[0,0,1] neg_hi:[0,0,1]
	v_pk_fma_f32 v[114:115], v[124:125], v[114:115], v[116:117] op_sel:[0,0,1] op_sel_hi:[1,0,0]
	v_mov_b32_e32 v127, v115
	s_delay_alu instid0(VALU_DEP_1)
	v_pk_add_f32 v[112:113], v[112:113], v[126:127] neg_lo:[0,1] neg_hi:[0,1]
.LBB106_62:
	s_or_b32 exec_lo, exec_lo, s0
	v_lshl_add_u32 v114, v122, 3, v118
	s_barrier_signal -1
	s_barrier_wait -1
	ds_store_b64 v114, v[104:105]
	s_wait_dscnt 0x0
	s_barrier_signal -1
	s_barrier_wait -1
	ds_load_b64 v[116:117], v118 offset:24
	v_mov_b32_e32 v114, 3
	s_cmp_lt_i32 s18, 5
	s_cbranch_scc1 .LBB106_65
; %bb.63:
	v_mov_b32_e32 v114, 3
	v_add3_u32 v115, v119, 0, 32
	s_mov_b32 s0, 4
.LBB106_64:                             ; =>This Inner Loop Header: Depth=1
	ds_load_b64 v[124:125], v115
	s_wait_dscnt 0x1
	v_cmp_gt_f32_e32 vcc_lo, 0, v116
	v_cndmask_b32_e64 v126, v116, -v116, vcc_lo
	v_cmp_gt_f32_e32 vcc_lo, 0, v117
	v_cndmask_b32_e64 v128, v117, -v117, vcc_lo
	s_wait_dscnt 0x0
	v_cmp_gt_f32_e32 vcc_lo, 0, v124
	v_cndmask_b32_e64 v127, v124, -v124, vcc_lo
	v_cmp_gt_f32_e32 vcc_lo, 0, v125
	v_cndmask_b32_e64 v129, v125, -v125, vcc_lo
	s_delay_alu instid0(VALU_DEP_1) | instskip(NEXT) | instid1(VALU_DEP_1)
	v_pk_add_f32 v[126:127], v[126:127], v[128:129]
	v_cmp_lt_f32_e32 vcc_lo, v126, v127
	v_dual_add_nc_u32 v115, 8, v115 :: v_dual_cndmask_b32 v117, v117, v125, vcc_lo
	v_cndmask_b32_e32 v116, v116, v124, vcc_lo
	v_cndmask_b32_e64 v114, v114, s0, vcc_lo
	s_add_co_i32 s0, s0, 1
	s_delay_alu instid0(SALU_CYCLE_1)
	s_cmp_lg_u32 s18, s0
	s_cbranch_scc1 .LBB106_64
.LBB106_65:
	s_wait_dscnt 0x0
	v_cmp_eq_f32_e32 vcc_lo, 0, v116
	v_cmp_eq_f32_e64 s0, 0, v117
	s_and_b32 s0, vcc_lo, s0
	s_delay_alu instid0(SALU_CYCLE_1) | instskip(NEXT) | instid1(SALU_CYCLE_1)
	s_and_saveexec_b32 s1, s0
	s_xor_b32 s0, exec_lo, s1
; %bb.66:
	v_cmp_ne_u32_e32 vcc_lo, 0, v120
	v_cndmask_b32_e32 v120, 4, v120, vcc_lo
; %bb.67:
	s_and_not1_saveexec_b32 s0, s0
	s_cbranch_execz .LBB106_73
; %bb.68:
	v_cmp_ngt_f32_e64 s1, |v116|, |v117|
	s_and_saveexec_b32 s12, s1
	s_delay_alu instid0(SALU_CYCLE_1)
	s_xor_b32 s1, exec_lo, s12
	s_cbranch_execz .LBB106_70
; %bb.69:
	v_div_scale_f32 v115, null, v117, v117, v116
	v_div_scale_f32 v125, vcc_lo, v116, v117, v116
	s_delay_alu instid0(VALU_DEP_2) | instskip(SKIP_1) | instid1(TRANS32_DEP_1)
	v_rcp_f32_e32 v123, v115
	v_nop
	v_fma_f32 v124, -v115, v123, 1.0
	s_delay_alu instid0(VALU_DEP_1) | instskip(NEXT) | instid1(VALU_DEP_1)
	v_fmac_f32_e32 v123, v124, v123
	v_mul_f32_e32 v124, v125, v123
	s_delay_alu instid0(VALU_DEP_1) | instskip(NEXT) | instid1(VALU_DEP_1)
	v_fma_f32 v126, -v115, v124, v125
	v_fmac_f32_e32 v124, v126, v123
	s_delay_alu instid0(VALU_DEP_1) | instskip(NEXT) | instid1(VALU_DEP_1)
	v_fma_f32 v115, -v115, v124, v125
	v_div_fmas_f32 v115, v115, v123, v124
	s_delay_alu instid0(VALU_DEP_1) | instskip(NEXT) | instid1(VALU_DEP_1)
	v_div_fixup_f32 v115, v115, v117, v116
	v_fmac_f32_e32 v117, v116, v115
	s_delay_alu instid0(VALU_DEP_1) | instskip(SKIP_1) | instid1(VALU_DEP_2)
	v_div_scale_f32 v116, null, v117, v117, 1.0
	v_div_scale_f32 v125, vcc_lo, 1.0, v117, 1.0
	v_rcp_f32_e32 v123, v116
	v_nop
	s_delay_alu instid0(TRANS32_DEP_1) | instskip(NEXT) | instid1(VALU_DEP_1)
	v_fma_f32 v124, -v116, v123, 1.0
	v_fmac_f32_e32 v123, v124, v123
	s_delay_alu instid0(VALU_DEP_1) | instskip(NEXT) | instid1(VALU_DEP_1)
	v_mul_f32_e32 v124, v125, v123
	v_fma_f32 v126, -v116, v124, v125
	s_delay_alu instid0(VALU_DEP_1) | instskip(NEXT) | instid1(VALU_DEP_1)
	v_fmac_f32_e32 v124, v126, v123
	v_fma_f32 v116, -v116, v124, v125
	s_delay_alu instid0(VALU_DEP_1) | instskip(NEXT) | instid1(VALU_DEP_1)
	v_div_fmas_f32 v116, v116, v123, v124
	v_div_fixup_f32 v117, v116, v117, 1.0
	s_delay_alu instid0(VALU_DEP_1)
	v_mul_f32_e32 v116, v115, v117
	v_xor_b32_e32 v117, 0x80000000, v117
.LBB106_70:
	s_and_not1_saveexec_b32 s1, s1
	s_cbranch_execz .LBB106_72
; %bb.71:
	s_delay_alu instid0(VALU_DEP_1) | instskip(SKIP_1) | instid1(VALU_DEP_2)
	v_div_scale_f32 v115, null, v116, v116, v117
	v_div_scale_f32 v125, vcc_lo, v117, v116, v117
	v_rcp_f32_e32 v123, v115
	v_nop
	s_delay_alu instid0(TRANS32_DEP_1) | instskip(NEXT) | instid1(VALU_DEP_1)
	v_fma_f32 v124, -v115, v123, 1.0
	v_fmac_f32_e32 v123, v124, v123
	s_delay_alu instid0(VALU_DEP_1) | instskip(NEXT) | instid1(VALU_DEP_1)
	v_mul_f32_e32 v124, v125, v123
	v_fma_f32 v126, -v115, v124, v125
	s_delay_alu instid0(VALU_DEP_1) | instskip(NEXT) | instid1(VALU_DEP_1)
	v_fmac_f32_e32 v124, v126, v123
	v_fma_f32 v115, -v115, v124, v125
	s_delay_alu instid0(VALU_DEP_1) | instskip(NEXT) | instid1(VALU_DEP_1)
	v_div_fmas_f32 v115, v115, v123, v124
	v_div_fixup_f32 v115, v115, v116, v117
	s_delay_alu instid0(VALU_DEP_1) | instskip(NEXT) | instid1(VALU_DEP_1)
	v_fmac_f32_e32 v116, v117, v115
	v_div_scale_f32 v117, null, v116, v116, 1.0
	s_delay_alu instid0(VALU_DEP_1) | instskip(SKIP_1) | instid1(TRANS32_DEP_1)
	v_rcp_f32_e32 v123, v117
	v_nop
	v_fma_f32 v124, -v117, v123, 1.0
	s_delay_alu instid0(VALU_DEP_1) | instskip(SKIP_1) | instid1(VALU_DEP_1)
	v_fmac_f32_e32 v123, v124, v123
	v_div_scale_f32 v124, vcc_lo, 1.0, v116, 1.0
	v_mul_f32_e32 v125, v124, v123
	s_delay_alu instid0(VALU_DEP_1) | instskip(NEXT) | instid1(VALU_DEP_1)
	v_fma_f32 v126, -v117, v125, v124
	v_fmac_f32_e32 v125, v126, v123
	s_delay_alu instid0(VALU_DEP_1) | instskip(NEXT) | instid1(VALU_DEP_1)
	v_fma_f32 v117, -v117, v125, v124
	v_div_fmas_f32 v117, v117, v123, v125
	s_delay_alu instid0(VALU_DEP_1) | instskip(NEXT) | instid1(VALU_DEP_1)
	v_div_fixup_f32 v116, v117, v116, 1.0
	v_mul_f32_e64 v117, v115, -v116
.LBB106_72:
	s_or_b32 exec_lo, exec_lo, s1
.LBB106_73:
	s_delay_alu instid0(SALU_CYCLE_1) | instskip(NEXT) | instid1(SALU_CYCLE_1)
	s_or_b32 exec_lo, exec_lo, s0
	s_mov_b32 s0, exec_lo
	v_cmpx_ne_u32_e64 v122, v114
	s_xor_b32 s0, exec_lo, s0
	s_cbranch_execz .LBB106_79
; %bb.74:
	s_mov_b32 s1, exec_lo
	v_cmpx_eq_u32_e32 3, v122
	s_cbranch_execz .LBB106_78
; %bb.75:
	v_cmp_ne_u32_e32 vcc_lo, 3, v114
	s_xor_b32 s12, s16, -1
	s_delay_alu instid0(SALU_CYCLE_1) | instskip(NEXT) | instid1(SALU_CYCLE_1)
	s_and_b32 s13, s12, vcc_lo
	s_and_saveexec_b32 s12, s13
	s_cbranch_execz .LBB106_77
; %bb.76:
	v_ashrrev_i32_e32 v115, 31, v114
	s_delay_alu instid0(VALU_DEP_1)
	v_lshl_add_u64 v[122:123], v[114:115], 2, v[4:5]
	s_clause 0x1
	global_load_b32 v115, v[122:123], off
	global_load_b32 v121, v[4:5], off offset:12
	s_wait_loadcnt 0x1
	global_store_b32 v[4:5], v115, off offset:12
	s_wait_loadcnt 0x0
	global_store_b32 v[122:123], v121, off
.LBB106_77:
	s_wait_xcnt 0x0
	s_or_b32 exec_lo, exec_lo, s12
	v_dual_mov_b32 v122, v114 :: v_dual_mov_b32 v121, v114
.LBB106_78:
	s_or_b32 exec_lo, exec_lo, s1
.LBB106_79:
	s_and_not1_saveexec_b32 s0, s0
	s_cbranch_execz .LBB106_81
; %bb.80:
	v_dual_mov_b32 v114, v92 :: v_dual_mov_b32 v115, v93
	v_dual_mov_b32 v122, v44 :: v_dual_mov_b32 v123, v45
	;; [unrolled: 1-line block ×4, first 2 shown]
	ds_store_2addr_b64 v118, v[114:115], v[122:123] offset0:4 offset1:5
	ds_store_2addr_b64 v118, v[124:125], v[126:127] offset0:6 offset1:7
	v_dual_mov_b32 v114, v102 :: v_dual_mov_b32 v115, v103
	v_dual_mov_b32 v122, v78 :: v_dual_mov_b32 v123, v79
	v_dual_mov_b32 v124, v80 :: v_dual_mov_b32 v125, v81
	v_dual_mov_b32 v126, v76 :: v_dual_mov_b32 v127, v77
	v_dual_mov_b32 v128, v100 :: v_dual_mov_b32 v129, v101
	v_dual_mov_b32 v130, v72 :: v_dual_mov_b32 v131, v73
	v_dual_mov_b32 v132, v74 :: v_dual_mov_b32 v133, v75
	v_dual_mov_b32 v134, v70 :: v_dual_mov_b32 v135, v71
	v_dual_mov_b32 v136, v98 :: v_dual_mov_b32 v137, v99
	v_dual_mov_b32 v138, v64 :: v_dual_mov_b32 v139, v65
	v_dual_mov_b32 v140, v68 :: v_dual_mov_b32 v141, v69
	v_dual_mov_b32 v142, v62 :: v_dual_mov_b32 v143, v63
	ds_store_2addr_b64 v118, v[114:115], v[122:123] offset0:8 offset1:9
	ds_store_2addr_b64 v118, v[124:125], v[126:127] offset0:10 offset1:11
	ds_store_2addr_b64 v118, v[128:129], v[130:131] offset0:12 offset1:13
	ds_store_2addr_b64 v118, v[132:133], v[134:135] offset0:14 offset1:15
	ds_store_2addr_b64 v118, v[136:137], v[138:139] offset0:16 offset1:17
	ds_store_2addr_b64 v118, v[140:141], v[142:143] offset0:18 offset1:19
	v_dual_mov_b32 v114, v96 :: v_dual_mov_b32 v115, v97
	v_dual_mov_b32 v122, v58 :: v_dual_mov_b32 v123, v59
	v_dual_mov_b32 v124, v60 :: v_dual_mov_b32 v125, v61
	v_dual_mov_b32 v126, v56 :: v_dual_mov_b32 v127, v57
	v_dual_mov_b32 v128, v94 :: v_dual_mov_b32 v129, v95
	v_dual_mov_b32 v130, v52 :: v_dual_mov_b32 v131, v53
	v_dual_mov_b32 v132, v54 :: v_dual_mov_b32 v133, v55
	v_dual_mov_b32 v134, v50 :: v_dual_mov_b32 v135, v51
	v_dual_mov_b32 v136, v90 :: v_dual_mov_b32 v137, v91
	v_dual_mov_b32 v138, v38 :: v_dual_mov_b32 v139, v39
	v_dual_mov_b32 v140, v40 :: v_dual_mov_b32 v141, v41
	v_dual_mov_b32 v142, v36 :: v_dual_mov_b32 v143, v37
	ds_store_2addr_b64 v118, v[114:115], v[122:123] offset0:20 offset1:21
	ds_store_2addr_b64 v118, v[124:125], v[126:127] offset0:22 offset1:23
	ds_store_2addr_b64 v118, v[128:129], v[130:131] offset0:24 offset1:25
	ds_store_2addr_b64 v118, v[132:133], v[134:135] offset0:26 offset1:27
	ds_store_2addr_b64 v118, v[136:137], v[138:139] offset0:28 offset1:29
	ds_store_2addr_b64 v118, v[140:141], v[142:143] offset0:30 offset1:31
	v_dual_mov_b32 v114, v88 :: v_dual_mov_b32 v115, v89
	v_dual_mov_b32 v122, v32 :: v_dual_mov_b32 v123, v33
	v_dual_mov_b32 v124, v34 :: v_dual_mov_b32 v125, v35
	v_dual_mov_b32 v126, v30 :: v_dual_mov_b32 v127, v31
	v_dual_mov_b32 v128, v86 :: v_dual_mov_b32 v129, v87
	v_dual_mov_b32 v130, v24 :: v_dual_mov_b32 v131, v25
	v_dual_mov_b32 v132, v26 :: v_dual_mov_b32 v133, v27
	v_dual_mov_b32 v134, v22 :: v_dual_mov_b32 v135, v23
	v_dual_mov_b32 v136, v84 :: v_dual_mov_b32 v137, v85
	v_dual_mov_b32 v138, v18 :: v_dual_mov_b32 v139, v19
	v_dual_mov_b32 v140, v20 :: v_dual_mov_b32 v141, v21
	v_dual_mov_b32 v142, v16 :: v_dual_mov_b32 v143, v17
	ds_store_2addr_b64 v118, v[114:115], v[122:123] offset0:32 offset1:33
	ds_store_2addr_b64 v118, v[124:125], v[126:127] offset0:34 offset1:35
	ds_store_2addr_b64 v118, v[128:129], v[130:131] offset0:36 offset1:37
	ds_store_2addr_b64 v118, v[132:133], v[134:135] offset0:38 offset1:39
	ds_store_2addr_b64 v118, v[136:137], v[138:139] offset0:40 offset1:41
	ds_store_2addr_b64 v118, v[140:141], v[142:143] offset0:42 offset1:43
	v_dual_mov_b32 v114, v82 :: v_dual_mov_b32 v115, v83
	v_dual_mov_b32 v124, v10 :: v_dual_mov_b32 v125, v11
	;; [unrolled: 1-line block ×9, first 2 shown]
	v_mov_b32_e32 v139, v15
	ds_store_2addr_b64 v118, v[114:115], v[124:125] offset0:44 offset1:45
	ds_store_2addr_b64 v118, v[126:127], v[128:129] offset0:46 offset1:47
	ds_store_2addr_b64 v118, v[130:131], v[132:133] offset0:48 offset1:49
	ds_store_2addr_b64 v118, v[134:135], v[136:137] offset0:50 offset1:51
	ds_store_2addr_b64 v118, v[138:139], v[112:113] offset0:52 offset1:53
.LBB106_81:
	s_or_b32 exec_lo, exec_lo, s0
	s_delay_alu instid0(SALU_CYCLE_1)
	s_mov_b32 s0, exec_lo
	s_wait_storecnt_dscnt 0x0
	s_barrier_signal -1
	s_barrier_wait -1
	v_cmpx_lt_i32_e32 3, v122
	s_cbranch_execz .LBB106_83
; %bb.82:
	v_pk_mul_f32 v[124:125], v[116:117], v[104:105] op_sel:[1,1] op_sel_hi:[0,1]
	s_delay_alu instid0(VALU_DEP_1)
	v_pk_fma_f32 v[114:115], v[116:117], v[104:105], v[124:125] op_sel_hi:[1,0,1] neg_lo:[0,0,1] neg_hi:[0,0,1]
	v_pk_fma_f32 v[116:117], v[116:117], v[104:105], v[124:125] op_sel_hi:[1,0,1]
	ds_load_2addr_b64 v[124:127], v118 offset0:4 offset1:5
	v_dual_mov_b32 v104, v114 :: v_dual_mov_b32 v105, v117
	s_wait_dscnt 0x0
	v_pk_mul_f32 v[128:129], v[124:125], v[116:117] op_sel:[0,1]
	s_delay_alu instid0(VALU_DEP_1) | instskip(SKIP_1) | instid1(VALU_DEP_1)
	v_pk_fma_f32 v[130:131], v[124:125], v[114:115], v[128:129] op_sel:[0,0,1] op_sel_hi:[1,1,0] neg_lo:[0,0,1] neg_hi:[0,0,1]
	v_pk_fma_f32 v[124:125], v[124:125], v[114:115], v[128:129] op_sel:[0,0,1] op_sel_hi:[1,0,0]
	v_mov_b32_e32 v131, v125
	v_pk_mul_f32 v[124:125], v[126:127], v[116:117] op_sel:[0,1]
	s_delay_alu instid0(VALU_DEP_1) | instskip(SKIP_1) | instid1(VALU_DEP_1)
	v_pk_fma_f32 v[128:129], v[126:127], v[114:115], v[124:125] op_sel:[0,0,1] op_sel_hi:[1,1,0] neg_lo:[0,0,1] neg_hi:[0,0,1]
	v_pk_fma_f32 v[124:125], v[126:127], v[114:115], v[124:125] op_sel:[0,0,1] op_sel_hi:[1,0,0]
	v_mov_b32_e32 v129, v125
	ds_load_2addr_b64 v[124:127], v118 offset0:6 offset1:7
	v_pk_add_f32 v[92:93], v[92:93], v[130:131] neg_lo:[0,1] neg_hi:[0,1]
	v_pk_add_f32 v[44:45], v[44:45], v[128:129] neg_lo:[0,1] neg_hi:[0,1]
	s_wait_dscnt 0x0
	v_pk_mul_f32 v[128:129], v[124:125], v[116:117] op_sel:[0,1]
	s_delay_alu instid0(VALU_DEP_1) | instskip(SKIP_2) | instid1(VALU_DEP_2)
	v_pk_fma_f32 v[130:131], v[124:125], v[114:115], v[128:129] op_sel:[0,0,1] op_sel_hi:[1,1,0] neg_lo:[0,0,1] neg_hi:[0,0,1]
	v_pk_fma_f32 v[124:125], v[124:125], v[114:115], v[128:129] op_sel:[0,0,1] op_sel_hi:[1,0,0]
	v_dual_mul_f32 v128, v127, v117 :: v_dual_mov_b32 v124, v127
	v_dual_mov_b32 v131, v125 :: v_dual_mov_b32 v125, v126
	s_delay_alu instid0(VALU_DEP_2) | instskip(SKIP_1) | instid1(VALU_DEP_3)
	v_pk_fma_f32 v[128:129], v[126:127], v[104:105], v[128:129] op_sel_hi:[1,1,0] neg_lo:[0,0,1] neg_hi:[0,0,1]
	v_mul_f32_e32 v126, v127, v114
	v_pk_add_f32 v[48:49], v[48:49], v[130:131] neg_lo:[0,1] neg_hi:[0,1]
	s_delay_alu instid0(VALU_DEP_2) | instskip(NEXT) | instid1(VALU_DEP_1)
	v_pk_fma_f32 v[124:125], v[124:125], v[104:105], v[126:127] op_sel_hi:[1,1,0]
	v_mov_b32_e32 v129, v125
	ds_load_2addr_b64 v[124:127], v118 offset0:8 offset1:9
	v_pk_add_f32 v[42:43], v[42:43], v[128:129] neg_lo:[0,1] neg_hi:[0,1]
	s_wait_dscnt 0x0
	v_pk_mul_f32 v[128:129], v[124:125], v[116:117] op_sel:[0,1]
	s_delay_alu instid0(VALU_DEP_1) | instskip(SKIP_1) | instid1(VALU_DEP_1)
	v_pk_fma_f32 v[130:131], v[124:125], v[114:115], v[128:129] op_sel:[0,0,1] op_sel_hi:[1,1,0] neg_lo:[0,0,1] neg_hi:[0,0,1]
	v_pk_fma_f32 v[124:125], v[124:125], v[114:115], v[128:129] op_sel:[0,0,1] op_sel_hi:[1,0,0]
	v_mov_b32_e32 v131, v125
	v_pk_mul_f32 v[124:125], v[126:127], v[116:117] op_sel:[0,1]
	s_delay_alu instid0(VALU_DEP_1) | instskip(SKIP_1) | instid1(VALU_DEP_1)
	v_pk_fma_f32 v[128:129], v[126:127], v[114:115], v[124:125] op_sel:[0,0,1] op_sel_hi:[1,1,0] neg_lo:[0,0,1] neg_hi:[0,0,1]
	v_pk_fma_f32 v[124:125], v[126:127], v[114:115], v[124:125] op_sel:[0,0,1] op_sel_hi:[1,0,0]
	v_mov_b32_e32 v129, v125
	ds_load_2addr_b64 v[124:127], v118 offset0:10 offset1:11
	v_pk_add_f32 v[102:103], v[102:103], v[130:131] neg_lo:[0,1] neg_hi:[0,1]
	v_pk_add_f32 v[78:79], v[78:79], v[128:129] neg_lo:[0,1] neg_hi:[0,1]
	s_wait_dscnt 0x0
	v_pk_mul_f32 v[128:129], v[124:125], v[116:117] op_sel:[0,1]
	s_delay_alu instid0(VALU_DEP_1) | instskip(SKIP_1) | instid1(VALU_DEP_1)
	v_pk_fma_f32 v[130:131], v[124:125], v[114:115], v[128:129] op_sel:[0,0,1] op_sel_hi:[1,1,0] neg_lo:[0,0,1] neg_hi:[0,0,1]
	v_pk_fma_f32 v[124:125], v[124:125], v[114:115], v[128:129] op_sel:[0,0,1] op_sel_hi:[1,0,0]
	v_mov_b32_e32 v131, v125
	v_pk_mul_f32 v[124:125], v[126:127], v[116:117] op_sel:[0,1]
	s_delay_alu instid0(VALU_DEP_1) | instskip(SKIP_1) | instid1(VALU_DEP_1)
	v_pk_fma_f32 v[128:129], v[126:127], v[114:115], v[124:125] op_sel:[0,0,1] op_sel_hi:[1,1,0] neg_lo:[0,0,1] neg_hi:[0,0,1]
	v_pk_fma_f32 v[124:125], v[126:127], v[114:115], v[124:125] op_sel:[0,0,1] op_sel_hi:[1,0,0]
	v_mov_b32_e32 v129, v125
	ds_load_2addr_b64 v[124:127], v118 offset0:12 offset1:13
	v_pk_add_f32 v[80:81], v[80:81], v[130:131] neg_lo:[0,1] neg_hi:[0,1]
	v_pk_add_f32 v[76:77], v[76:77], v[128:129] neg_lo:[0,1] neg_hi:[0,1]
	s_wait_dscnt 0x0
	v_dual_mul_f32 v128, v125, v117 :: v_dual_mul_f32 v130, v125, v114
	s_delay_alu instid0(VALU_DEP_1) | instskip(NEXT) | instid1(VALU_DEP_2)
	v_pk_fma_f32 v[128:129], v[124:125], v[104:105], v[128:129] op_sel_hi:[1,1,0] neg_lo:[0,0,1] neg_hi:[0,0,1]
	v_pk_fma_f32 v[124:125], v[124:125], v[104:105], v[130:131] op_sel:[1,0,0] op_sel_hi:[0,1,0]
	s_delay_alu instid0(VALU_DEP_1) | instskip(SKIP_1) | instid1(VALU_DEP_2)
	v_mov_b32_e32 v129, v125
	v_pk_mul_f32 v[124:125], v[126:127], v[116:117] op_sel:[0,1]
	v_pk_add_f32 v[100:101], v[100:101], v[128:129] neg_lo:[0,1] neg_hi:[0,1]
	s_delay_alu instid0(VALU_DEP_2) | instskip(SKIP_1) | instid1(VALU_DEP_1)
	v_pk_fma_f32 v[128:129], v[126:127], v[114:115], v[124:125] op_sel:[0,0,1] op_sel_hi:[1,1,0] neg_lo:[0,0,1] neg_hi:[0,0,1]
	v_pk_fma_f32 v[124:125], v[126:127], v[114:115], v[124:125] op_sel:[0,0,1] op_sel_hi:[1,0,0]
	v_mov_b32_e32 v129, v125
	ds_load_2addr_b64 v[124:127], v118 offset0:14 offset1:15
	v_pk_add_f32 v[72:73], v[72:73], v[128:129] neg_lo:[0,1] neg_hi:[0,1]
	s_wait_dscnt 0x0
	v_pk_mul_f32 v[128:129], v[124:125], v[116:117] op_sel:[0,1]
	s_delay_alu instid0(VALU_DEP_1) | instskip(SKIP_1) | instid1(VALU_DEP_1)
	v_pk_fma_f32 v[130:131], v[124:125], v[114:115], v[128:129] op_sel:[0,0,1] op_sel_hi:[1,1,0] neg_lo:[0,0,1] neg_hi:[0,0,1]
	v_pk_fma_f32 v[124:125], v[124:125], v[114:115], v[128:129] op_sel:[0,0,1] op_sel_hi:[1,0,0]
	v_mov_b32_e32 v131, v125
	v_pk_mul_f32 v[124:125], v[126:127], v[116:117] op_sel:[0,1]
	s_delay_alu instid0(VALU_DEP_2) | instskip(NEXT) | instid1(VALU_DEP_2)
	v_pk_add_f32 v[74:75], v[74:75], v[130:131] neg_lo:[0,1] neg_hi:[0,1]
	v_pk_fma_f32 v[128:129], v[126:127], v[114:115], v[124:125] op_sel:[0,0,1] op_sel_hi:[1,1,0] neg_lo:[0,0,1] neg_hi:[0,0,1]
	v_pk_fma_f32 v[124:125], v[126:127], v[114:115], v[124:125] op_sel:[0,0,1] op_sel_hi:[1,0,0]
	s_delay_alu instid0(VALU_DEP_1) | instskip(SKIP_4) | instid1(VALU_DEP_1)
	v_mov_b32_e32 v129, v125
	ds_load_2addr_b64 v[124:127], v118 offset0:16 offset1:17
	v_pk_add_f32 v[70:71], v[70:71], v[128:129] neg_lo:[0,1] neg_hi:[0,1]
	s_wait_dscnt 0x0
	v_pk_mul_f32 v[128:129], v[124:125], v[116:117] op_sel:[0,1]
	v_pk_fma_f32 v[130:131], v[124:125], v[114:115], v[128:129] op_sel:[0,0,1] op_sel_hi:[1,1,0] neg_lo:[0,0,1] neg_hi:[0,0,1]
	v_pk_fma_f32 v[124:125], v[124:125], v[114:115], v[128:129] op_sel:[0,0,1] op_sel_hi:[1,0,0]
	v_dual_mul_f32 v128, v127, v117 :: v_dual_mov_b32 v124, v127
	s_delay_alu instid0(VALU_DEP_2) | instskip(NEXT) | instid1(VALU_DEP_2)
	v_dual_mov_b32 v131, v125 :: v_dual_mov_b32 v125, v126
	v_pk_fma_f32 v[128:129], v[126:127], v[104:105], v[128:129] op_sel_hi:[1,1,0] neg_lo:[0,0,1] neg_hi:[0,0,1]
	v_mul_f32_e32 v126, v127, v114
	s_delay_alu instid0(VALU_DEP_3) | instskip(NEXT) | instid1(VALU_DEP_2)
	v_pk_add_f32 v[98:99], v[98:99], v[130:131] neg_lo:[0,1] neg_hi:[0,1]
	v_pk_fma_f32 v[124:125], v[124:125], v[104:105], v[126:127] op_sel_hi:[1,1,0]
	s_delay_alu instid0(VALU_DEP_1) | instskip(SKIP_4) | instid1(VALU_DEP_1)
	v_mov_b32_e32 v129, v125
	ds_load_2addr_b64 v[124:127], v118 offset0:18 offset1:19
	v_pk_add_f32 v[64:65], v[64:65], v[128:129] neg_lo:[0,1] neg_hi:[0,1]
	s_wait_dscnt 0x0
	v_pk_mul_f32 v[128:129], v[124:125], v[116:117] op_sel:[0,1]
	v_pk_fma_f32 v[130:131], v[124:125], v[114:115], v[128:129] op_sel:[0,0,1] op_sel_hi:[1,1,0] neg_lo:[0,0,1] neg_hi:[0,0,1]
	v_pk_fma_f32 v[124:125], v[124:125], v[114:115], v[128:129] op_sel:[0,0,1] op_sel_hi:[1,0,0]
	s_delay_alu instid0(VALU_DEP_1) | instskip(SKIP_1) | instid1(VALU_DEP_1)
	v_mov_b32_e32 v131, v125
	v_pk_mul_f32 v[124:125], v[126:127], v[116:117] op_sel:[0,1]
	v_pk_fma_f32 v[128:129], v[126:127], v[114:115], v[124:125] op_sel:[0,0,1] op_sel_hi:[1,1,0] neg_lo:[0,0,1] neg_hi:[0,0,1]
	v_pk_fma_f32 v[124:125], v[126:127], v[114:115], v[124:125] op_sel:[0,0,1] op_sel_hi:[1,0,0]
	s_delay_alu instid0(VALU_DEP_1)
	v_mov_b32_e32 v129, v125
	ds_load_2addr_b64 v[124:127], v118 offset0:20 offset1:21
	v_pk_add_f32 v[68:69], v[68:69], v[130:131] neg_lo:[0,1] neg_hi:[0,1]
	v_pk_add_f32 v[62:63], v[62:63], v[128:129] neg_lo:[0,1] neg_hi:[0,1]
	s_wait_dscnt 0x0
	v_pk_mul_f32 v[128:129], v[124:125], v[116:117] op_sel:[0,1]
	s_delay_alu instid0(VALU_DEP_1) | instskip(SKIP_1) | instid1(VALU_DEP_1)
	v_pk_fma_f32 v[130:131], v[124:125], v[114:115], v[128:129] op_sel:[0,0,1] op_sel_hi:[1,1,0] neg_lo:[0,0,1] neg_hi:[0,0,1]
	v_pk_fma_f32 v[124:125], v[124:125], v[114:115], v[128:129] op_sel:[0,0,1] op_sel_hi:[1,0,0]
	v_mov_b32_e32 v131, v125
	v_pk_mul_f32 v[124:125], v[126:127], v[116:117] op_sel:[0,1]
	s_delay_alu instid0(VALU_DEP_1) | instskip(SKIP_1) | instid1(VALU_DEP_1)
	v_pk_fma_f32 v[128:129], v[126:127], v[114:115], v[124:125] op_sel:[0,0,1] op_sel_hi:[1,1,0] neg_lo:[0,0,1] neg_hi:[0,0,1]
	v_pk_fma_f32 v[124:125], v[126:127], v[114:115], v[124:125] op_sel:[0,0,1] op_sel_hi:[1,0,0]
	v_mov_b32_e32 v129, v125
	ds_load_2addr_b64 v[124:127], v118 offset0:22 offset1:23
	v_pk_add_f32 v[96:97], v[96:97], v[130:131] neg_lo:[0,1] neg_hi:[0,1]
	v_pk_add_f32 v[58:59], v[58:59], v[128:129] neg_lo:[0,1] neg_hi:[0,1]
	s_wait_dscnt 0x0
	v_dual_mul_f32 v128, v125, v117 :: v_dual_mul_f32 v130, v125, v114
	s_delay_alu instid0(VALU_DEP_1) | instskip(NEXT) | instid1(VALU_DEP_2)
	v_pk_fma_f32 v[128:129], v[124:125], v[104:105], v[128:129] op_sel_hi:[1,1,0] neg_lo:[0,0,1] neg_hi:[0,0,1]
	v_pk_fma_f32 v[124:125], v[124:125], v[104:105], v[130:131] op_sel:[1,0,0] op_sel_hi:[0,1,0]
	s_delay_alu instid0(VALU_DEP_1) | instskip(SKIP_1) | instid1(VALU_DEP_2)
	v_mov_b32_e32 v129, v125
	v_pk_mul_f32 v[124:125], v[126:127], v[116:117] op_sel:[0,1]
	v_pk_add_f32 v[60:61], v[60:61], v[128:129] neg_lo:[0,1] neg_hi:[0,1]
	s_delay_alu instid0(VALU_DEP_2) | instskip(SKIP_1) | instid1(VALU_DEP_1)
	v_pk_fma_f32 v[128:129], v[126:127], v[114:115], v[124:125] op_sel:[0,0,1] op_sel_hi:[1,1,0] neg_lo:[0,0,1] neg_hi:[0,0,1]
	v_pk_fma_f32 v[124:125], v[126:127], v[114:115], v[124:125] op_sel:[0,0,1] op_sel_hi:[1,0,0]
	v_mov_b32_e32 v129, v125
	ds_load_2addr_b64 v[124:127], v118 offset0:24 offset1:25
	v_pk_add_f32 v[56:57], v[56:57], v[128:129] neg_lo:[0,1] neg_hi:[0,1]
	s_wait_dscnt 0x0
	v_pk_mul_f32 v[128:129], v[124:125], v[116:117] op_sel:[0,1]
	s_delay_alu instid0(VALU_DEP_1) | instskip(SKIP_1) | instid1(VALU_DEP_1)
	v_pk_fma_f32 v[130:131], v[124:125], v[114:115], v[128:129] op_sel:[0,0,1] op_sel_hi:[1,1,0] neg_lo:[0,0,1] neg_hi:[0,0,1]
	v_pk_fma_f32 v[124:125], v[124:125], v[114:115], v[128:129] op_sel:[0,0,1] op_sel_hi:[1,0,0]
	v_mov_b32_e32 v131, v125
	v_pk_mul_f32 v[124:125], v[126:127], v[116:117] op_sel:[0,1]
	s_delay_alu instid0(VALU_DEP_2) | instskip(NEXT) | instid1(VALU_DEP_2)
	v_pk_add_f32 v[94:95], v[94:95], v[130:131] neg_lo:[0,1] neg_hi:[0,1]
	v_pk_fma_f32 v[128:129], v[126:127], v[114:115], v[124:125] op_sel:[0,0,1] op_sel_hi:[1,1,0] neg_lo:[0,0,1] neg_hi:[0,0,1]
	v_pk_fma_f32 v[124:125], v[126:127], v[114:115], v[124:125] op_sel:[0,0,1] op_sel_hi:[1,0,0]
	s_delay_alu instid0(VALU_DEP_1) | instskip(SKIP_4) | instid1(VALU_DEP_1)
	v_mov_b32_e32 v129, v125
	ds_load_2addr_b64 v[124:127], v118 offset0:26 offset1:27
	v_pk_add_f32 v[52:53], v[52:53], v[128:129] neg_lo:[0,1] neg_hi:[0,1]
	s_wait_dscnt 0x0
	v_pk_mul_f32 v[128:129], v[124:125], v[116:117] op_sel:[0,1]
	v_pk_fma_f32 v[130:131], v[124:125], v[114:115], v[128:129] op_sel:[0,0,1] op_sel_hi:[1,1,0] neg_lo:[0,0,1] neg_hi:[0,0,1]
	v_pk_fma_f32 v[124:125], v[124:125], v[114:115], v[128:129] op_sel:[0,0,1] op_sel_hi:[1,0,0]
	v_dual_mul_f32 v128, v127, v117 :: v_dual_mov_b32 v124, v127
	s_delay_alu instid0(VALU_DEP_2) | instskip(NEXT) | instid1(VALU_DEP_2)
	v_dual_mov_b32 v131, v125 :: v_dual_mov_b32 v125, v126
	v_pk_fma_f32 v[128:129], v[126:127], v[104:105], v[128:129] op_sel_hi:[1,1,0] neg_lo:[0,0,1] neg_hi:[0,0,1]
	v_mul_f32_e32 v126, v127, v114
	s_delay_alu instid0(VALU_DEP_3) | instskip(NEXT) | instid1(VALU_DEP_2)
	v_pk_add_f32 v[54:55], v[54:55], v[130:131] neg_lo:[0,1] neg_hi:[0,1]
	v_pk_fma_f32 v[124:125], v[124:125], v[104:105], v[126:127] op_sel_hi:[1,1,0]
	s_delay_alu instid0(VALU_DEP_1) | instskip(SKIP_4) | instid1(VALU_DEP_1)
	v_mov_b32_e32 v129, v125
	ds_load_2addr_b64 v[124:127], v118 offset0:28 offset1:29
	v_pk_add_f32 v[50:51], v[50:51], v[128:129] neg_lo:[0,1] neg_hi:[0,1]
	s_wait_dscnt 0x0
	v_pk_mul_f32 v[128:129], v[124:125], v[116:117] op_sel:[0,1]
	v_pk_fma_f32 v[130:131], v[124:125], v[114:115], v[128:129] op_sel:[0,0,1] op_sel_hi:[1,1,0] neg_lo:[0,0,1] neg_hi:[0,0,1]
	v_pk_fma_f32 v[124:125], v[124:125], v[114:115], v[128:129] op_sel:[0,0,1] op_sel_hi:[1,0,0]
	s_delay_alu instid0(VALU_DEP_1) | instskip(SKIP_1) | instid1(VALU_DEP_1)
	v_mov_b32_e32 v131, v125
	v_pk_mul_f32 v[124:125], v[126:127], v[116:117] op_sel:[0,1]
	v_pk_fma_f32 v[128:129], v[126:127], v[114:115], v[124:125] op_sel:[0,0,1] op_sel_hi:[1,1,0] neg_lo:[0,0,1] neg_hi:[0,0,1]
	v_pk_fma_f32 v[124:125], v[126:127], v[114:115], v[124:125] op_sel:[0,0,1] op_sel_hi:[1,0,0]
	s_delay_alu instid0(VALU_DEP_1)
	v_mov_b32_e32 v129, v125
	ds_load_2addr_b64 v[124:127], v118 offset0:30 offset1:31
	v_pk_add_f32 v[90:91], v[90:91], v[130:131] neg_lo:[0,1] neg_hi:[0,1]
	v_pk_add_f32 v[38:39], v[38:39], v[128:129] neg_lo:[0,1] neg_hi:[0,1]
	s_wait_dscnt 0x0
	v_pk_mul_f32 v[128:129], v[124:125], v[116:117] op_sel:[0,1]
	s_delay_alu instid0(VALU_DEP_1) | instskip(SKIP_1) | instid1(VALU_DEP_1)
	v_pk_fma_f32 v[130:131], v[124:125], v[114:115], v[128:129] op_sel:[0,0,1] op_sel_hi:[1,1,0] neg_lo:[0,0,1] neg_hi:[0,0,1]
	v_pk_fma_f32 v[124:125], v[124:125], v[114:115], v[128:129] op_sel:[0,0,1] op_sel_hi:[1,0,0]
	v_mov_b32_e32 v131, v125
	v_pk_mul_f32 v[124:125], v[126:127], v[116:117] op_sel:[0,1]
	s_delay_alu instid0(VALU_DEP_1) | instskip(SKIP_1) | instid1(VALU_DEP_1)
	v_pk_fma_f32 v[128:129], v[126:127], v[114:115], v[124:125] op_sel:[0,0,1] op_sel_hi:[1,1,0] neg_lo:[0,0,1] neg_hi:[0,0,1]
	v_pk_fma_f32 v[124:125], v[126:127], v[114:115], v[124:125] op_sel:[0,0,1] op_sel_hi:[1,0,0]
	v_mov_b32_e32 v129, v125
	ds_load_2addr_b64 v[124:127], v118 offset0:32 offset1:33
	v_pk_add_f32 v[40:41], v[40:41], v[130:131] neg_lo:[0,1] neg_hi:[0,1]
	v_pk_add_f32 v[36:37], v[36:37], v[128:129] neg_lo:[0,1] neg_hi:[0,1]
	s_wait_dscnt 0x0
	v_dual_mul_f32 v128, v125, v117 :: v_dual_mul_f32 v130, v125, v114
	s_delay_alu instid0(VALU_DEP_1) | instskip(NEXT) | instid1(VALU_DEP_2)
	v_pk_fma_f32 v[128:129], v[124:125], v[104:105], v[128:129] op_sel_hi:[1,1,0] neg_lo:[0,0,1] neg_hi:[0,0,1]
	v_pk_fma_f32 v[124:125], v[124:125], v[104:105], v[130:131] op_sel:[1,0,0] op_sel_hi:[0,1,0]
	s_delay_alu instid0(VALU_DEP_1) | instskip(SKIP_1) | instid1(VALU_DEP_2)
	v_mov_b32_e32 v129, v125
	v_pk_mul_f32 v[124:125], v[126:127], v[116:117] op_sel:[0,1]
	v_pk_add_f32 v[88:89], v[88:89], v[128:129] neg_lo:[0,1] neg_hi:[0,1]
	s_delay_alu instid0(VALU_DEP_2) | instskip(SKIP_1) | instid1(VALU_DEP_1)
	v_pk_fma_f32 v[128:129], v[126:127], v[114:115], v[124:125] op_sel:[0,0,1] op_sel_hi:[1,1,0] neg_lo:[0,0,1] neg_hi:[0,0,1]
	v_pk_fma_f32 v[124:125], v[126:127], v[114:115], v[124:125] op_sel:[0,0,1] op_sel_hi:[1,0,0]
	v_mov_b32_e32 v129, v125
	ds_load_2addr_b64 v[124:127], v118 offset0:34 offset1:35
	v_pk_add_f32 v[32:33], v[32:33], v[128:129] neg_lo:[0,1] neg_hi:[0,1]
	s_wait_dscnt 0x0
	v_pk_mul_f32 v[128:129], v[124:125], v[116:117] op_sel:[0,1]
	s_delay_alu instid0(VALU_DEP_1) | instskip(SKIP_1) | instid1(VALU_DEP_1)
	v_pk_fma_f32 v[130:131], v[124:125], v[114:115], v[128:129] op_sel:[0,0,1] op_sel_hi:[1,1,0] neg_lo:[0,0,1] neg_hi:[0,0,1]
	v_pk_fma_f32 v[124:125], v[124:125], v[114:115], v[128:129] op_sel:[0,0,1] op_sel_hi:[1,0,0]
	v_mov_b32_e32 v131, v125
	v_pk_mul_f32 v[124:125], v[126:127], v[116:117] op_sel:[0,1]
	s_delay_alu instid0(VALU_DEP_2) | instskip(NEXT) | instid1(VALU_DEP_2)
	v_pk_add_f32 v[34:35], v[34:35], v[130:131] neg_lo:[0,1] neg_hi:[0,1]
	v_pk_fma_f32 v[128:129], v[126:127], v[114:115], v[124:125] op_sel:[0,0,1] op_sel_hi:[1,1,0] neg_lo:[0,0,1] neg_hi:[0,0,1]
	v_pk_fma_f32 v[124:125], v[126:127], v[114:115], v[124:125] op_sel:[0,0,1] op_sel_hi:[1,0,0]
	s_delay_alu instid0(VALU_DEP_1) | instskip(SKIP_4) | instid1(VALU_DEP_1)
	v_mov_b32_e32 v129, v125
	ds_load_2addr_b64 v[124:127], v118 offset0:36 offset1:37
	v_pk_add_f32 v[30:31], v[30:31], v[128:129] neg_lo:[0,1] neg_hi:[0,1]
	s_wait_dscnt 0x0
	v_pk_mul_f32 v[128:129], v[124:125], v[116:117] op_sel:[0,1]
	v_pk_fma_f32 v[130:131], v[124:125], v[114:115], v[128:129] op_sel:[0,0,1] op_sel_hi:[1,1,0] neg_lo:[0,0,1] neg_hi:[0,0,1]
	v_pk_fma_f32 v[124:125], v[124:125], v[114:115], v[128:129] op_sel:[0,0,1] op_sel_hi:[1,0,0]
	v_dual_mul_f32 v128, v127, v117 :: v_dual_mov_b32 v124, v127
	s_delay_alu instid0(VALU_DEP_2) | instskip(NEXT) | instid1(VALU_DEP_2)
	v_dual_mov_b32 v131, v125 :: v_dual_mov_b32 v125, v126
	v_pk_fma_f32 v[128:129], v[126:127], v[104:105], v[128:129] op_sel_hi:[1,1,0] neg_lo:[0,0,1] neg_hi:[0,0,1]
	v_mul_f32_e32 v126, v127, v114
	s_delay_alu instid0(VALU_DEP_3) | instskip(NEXT) | instid1(VALU_DEP_2)
	v_pk_add_f32 v[86:87], v[86:87], v[130:131] neg_lo:[0,1] neg_hi:[0,1]
	v_pk_fma_f32 v[124:125], v[124:125], v[104:105], v[126:127] op_sel_hi:[1,1,0]
	s_delay_alu instid0(VALU_DEP_1) | instskip(SKIP_4) | instid1(VALU_DEP_1)
	v_mov_b32_e32 v129, v125
	ds_load_2addr_b64 v[124:127], v118 offset0:38 offset1:39
	v_pk_add_f32 v[24:25], v[24:25], v[128:129] neg_lo:[0,1] neg_hi:[0,1]
	s_wait_dscnt 0x0
	v_pk_mul_f32 v[128:129], v[124:125], v[116:117] op_sel:[0,1]
	v_pk_fma_f32 v[130:131], v[124:125], v[114:115], v[128:129] op_sel:[0,0,1] op_sel_hi:[1,1,0] neg_lo:[0,0,1] neg_hi:[0,0,1]
	v_pk_fma_f32 v[124:125], v[124:125], v[114:115], v[128:129] op_sel:[0,0,1] op_sel_hi:[1,0,0]
	s_delay_alu instid0(VALU_DEP_1) | instskip(SKIP_1) | instid1(VALU_DEP_1)
	v_mov_b32_e32 v131, v125
	v_pk_mul_f32 v[124:125], v[126:127], v[116:117] op_sel:[0,1]
	v_pk_fma_f32 v[128:129], v[126:127], v[114:115], v[124:125] op_sel:[0,0,1] op_sel_hi:[1,1,0] neg_lo:[0,0,1] neg_hi:[0,0,1]
	v_pk_fma_f32 v[124:125], v[126:127], v[114:115], v[124:125] op_sel:[0,0,1] op_sel_hi:[1,0,0]
	s_delay_alu instid0(VALU_DEP_1)
	v_mov_b32_e32 v129, v125
	ds_load_2addr_b64 v[124:127], v118 offset0:40 offset1:41
	v_pk_add_f32 v[26:27], v[26:27], v[130:131] neg_lo:[0,1] neg_hi:[0,1]
	v_pk_add_f32 v[22:23], v[22:23], v[128:129] neg_lo:[0,1] neg_hi:[0,1]
	s_wait_dscnt 0x0
	v_pk_mul_f32 v[128:129], v[124:125], v[116:117] op_sel:[0,1]
	s_delay_alu instid0(VALU_DEP_1) | instskip(SKIP_1) | instid1(VALU_DEP_1)
	v_pk_fma_f32 v[130:131], v[124:125], v[114:115], v[128:129] op_sel:[0,0,1] op_sel_hi:[1,1,0] neg_lo:[0,0,1] neg_hi:[0,0,1]
	v_pk_fma_f32 v[124:125], v[124:125], v[114:115], v[128:129] op_sel:[0,0,1] op_sel_hi:[1,0,0]
	v_mov_b32_e32 v131, v125
	v_pk_mul_f32 v[124:125], v[126:127], v[116:117] op_sel:[0,1]
	s_delay_alu instid0(VALU_DEP_1) | instskip(SKIP_1) | instid1(VALU_DEP_1)
	v_pk_fma_f32 v[128:129], v[126:127], v[114:115], v[124:125] op_sel:[0,0,1] op_sel_hi:[1,1,0] neg_lo:[0,0,1] neg_hi:[0,0,1]
	v_pk_fma_f32 v[124:125], v[126:127], v[114:115], v[124:125] op_sel:[0,0,1] op_sel_hi:[1,0,0]
	v_mov_b32_e32 v129, v125
	ds_load_2addr_b64 v[124:127], v118 offset0:42 offset1:43
	v_pk_add_f32 v[84:85], v[84:85], v[130:131] neg_lo:[0,1] neg_hi:[0,1]
	v_pk_add_f32 v[18:19], v[18:19], v[128:129] neg_lo:[0,1] neg_hi:[0,1]
	s_wait_dscnt 0x0
	v_dual_mul_f32 v128, v125, v117 :: v_dual_mul_f32 v130, v125, v114
	s_delay_alu instid0(VALU_DEP_1) | instskip(NEXT) | instid1(VALU_DEP_2)
	v_pk_fma_f32 v[128:129], v[124:125], v[104:105], v[128:129] op_sel_hi:[1,1,0] neg_lo:[0,0,1] neg_hi:[0,0,1]
	v_pk_fma_f32 v[124:125], v[124:125], v[104:105], v[130:131] op_sel:[1,0,0] op_sel_hi:[0,1,0]
	s_delay_alu instid0(VALU_DEP_1) | instskip(SKIP_1) | instid1(VALU_DEP_2)
	v_mov_b32_e32 v129, v125
	v_pk_mul_f32 v[124:125], v[126:127], v[116:117] op_sel:[0,1]
	v_pk_add_f32 v[20:21], v[20:21], v[128:129] neg_lo:[0,1] neg_hi:[0,1]
	s_delay_alu instid0(VALU_DEP_2) | instskip(SKIP_1) | instid1(VALU_DEP_1)
	v_pk_fma_f32 v[128:129], v[126:127], v[114:115], v[124:125] op_sel:[0,0,1] op_sel_hi:[1,1,0] neg_lo:[0,0,1] neg_hi:[0,0,1]
	v_pk_fma_f32 v[124:125], v[126:127], v[114:115], v[124:125] op_sel:[0,0,1] op_sel_hi:[1,0,0]
	v_mov_b32_e32 v129, v125
	ds_load_2addr_b64 v[124:127], v118 offset0:44 offset1:45
	v_pk_add_f32 v[16:17], v[16:17], v[128:129] neg_lo:[0,1] neg_hi:[0,1]
	s_wait_dscnt 0x0
	v_pk_mul_f32 v[128:129], v[124:125], v[116:117] op_sel:[0,1]
	s_delay_alu instid0(VALU_DEP_1) | instskip(SKIP_1) | instid1(VALU_DEP_1)
	v_pk_fma_f32 v[130:131], v[124:125], v[114:115], v[128:129] op_sel:[0,0,1] op_sel_hi:[1,1,0] neg_lo:[0,0,1] neg_hi:[0,0,1]
	v_pk_fma_f32 v[124:125], v[124:125], v[114:115], v[128:129] op_sel:[0,0,1] op_sel_hi:[1,0,0]
	v_mov_b32_e32 v131, v125
	v_pk_mul_f32 v[124:125], v[126:127], v[116:117] op_sel:[0,1]
	s_delay_alu instid0(VALU_DEP_2) | instskip(NEXT) | instid1(VALU_DEP_2)
	v_pk_add_f32 v[82:83], v[82:83], v[130:131] neg_lo:[0,1] neg_hi:[0,1]
	v_pk_fma_f32 v[128:129], v[126:127], v[114:115], v[124:125] op_sel:[0,0,1] op_sel_hi:[1,1,0] neg_lo:[0,0,1] neg_hi:[0,0,1]
	v_pk_fma_f32 v[124:125], v[126:127], v[114:115], v[124:125] op_sel:[0,0,1] op_sel_hi:[1,0,0]
	s_delay_alu instid0(VALU_DEP_1) | instskip(SKIP_4) | instid1(VALU_DEP_1)
	v_mov_b32_e32 v129, v125
	ds_load_2addr_b64 v[124:127], v118 offset0:46 offset1:47
	v_pk_add_f32 v[10:11], v[10:11], v[128:129] neg_lo:[0,1] neg_hi:[0,1]
	s_wait_dscnt 0x0
	v_pk_mul_f32 v[128:129], v[124:125], v[116:117] op_sel:[0,1]
	v_pk_fma_f32 v[130:131], v[124:125], v[114:115], v[128:129] op_sel:[0,0,1] op_sel_hi:[1,1,0] neg_lo:[0,0,1] neg_hi:[0,0,1]
	v_pk_fma_f32 v[124:125], v[124:125], v[114:115], v[128:129] op_sel:[0,0,1] op_sel_hi:[1,0,0]
	v_dual_mul_f32 v128, v127, v117 :: v_dual_mov_b32 v124, v127
	s_delay_alu instid0(VALU_DEP_2) | instskip(NEXT) | instid1(VALU_DEP_2)
	v_dual_mov_b32 v131, v125 :: v_dual_mov_b32 v125, v126
	v_pk_fma_f32 v[128:129], v[126:127], v[104:105], v[128:129] op_sel_hi:[1,1,0] neg_lo:[0,0,1] neg_hi:[0,0,1]
	v_mul_f32_e32 v126, v127, v114
	s_delay_alu instid0(VALU_DEP_3) | instskip(NEXT) | instid1(VALU_DEP_2)
	v_pk_add_f32 v[12:13], v[12:13], v[130:131] neg_lo:[0,1] neg_hi:[0,1]
	v_pk_fma_f32 v[124:125], v[124:125], v[104:105], v[126:127] op_sel_hi:[1,1,0]
	s_delay_alu instid0(VALU_DEP_1) | instskip(SKIP_4) | instid1(VALU_DEP_1)
	v_mov_b32_e32 v129, v125
	ds_load_2addr_b64 v[124:127], v118 offset0:48 offset1:49
	v_pk_add_f32 v[8:9], v[8:9], v[128:129] neg_lo:[0,1] neg_hi:[0,1]
	s_wait_dscnt 0x0
	v_pk_mul_f32 v[128:129], v[124:125], v[116:117] op_sel:[0,1]
	v_pk_fma_f32 v[130:131], v[124:125], v[114:115], v[128:129] op_sel:[0,0,1] op_sel_hi:[1,1,0] neg_lo:[0,0,1] neg_hi:[0,0,1]
	v_pk_fma_f32 v[124:125], v[124:125], v[114:115], v[128:129] op_sel:[0,0,1] op_sel_hi:[1,0,0]
	s_delay_alu instid0(VALU_DEP_1) | instskip(SKIP_1) | instid1(VALU_DEP_1)
	v_mov_b32_e32 v131, v125
	v_pk_mul_f32 v[124:125], v[126:127], v[116:117] op_sel:[0,1]
	v_pk_fma_f32 v[128:129], v[126:127], v[114:115], v[124:125] op_sel:[0,0,1] op_sel_hi:[1,1,0] neg_lo:[0,0,1] neg_hi:[0,0,1]
	v_pk_fma_f32 v[124:125], v[126:127], v[114:115], v[124:125] op_sel:[0,0,1] op_sel_hi:[1,0,0]
	s_delay_alu instid0(VALU_DEP_1)
	v_mov_b32_e32 v129, v125
	ds_load_2addr_b64 v[124:127], v118 offset0:50 offset1:51
	v_pk_add_f32 v[66:67], v[66:67], v[130:131] neg_lo:[0,1] neg_hi:[0,1]
	v_pk_add_f32 v[6:7], v[6:7], v[128:129] neg_lo:[0,1] neg_hi:[0,1]
	s_wait_dscnt 0x0
	v_pk_mul_f32 v[128:129], v[124:125], v[116:117] op_sel:[0,1]
	s_delay_alu instid0(VALU_DEP_1) | instskip(SKIP_1) | instid1(VALU_DEP_1)
	v_pk_fma_f32 v[130:131], v[124:125], v[114:115], v[128:129] op_sel:[0,0,1] op_sel_hi:[1,1,0] neg_lo:[0,0,1] neg_hi:[0,0,1]
	v_pk_fma_f32 v[124:125], v[124:125], v[114:115], v[128:129] op_sel:[0,0,1] op_sel_hi:[1,0,0]
	v_mov_b32_e32 v131, v125
	v_pk_mul_f32 v[124:125], v[126:127], v[116:117] op_sel:[0,1]
	s_delay_alu instid0(VALU_DEP_1) | instskip(SKIP_1) | instid1(VALU_DEP_1)
	v_pk_fma_f32 v[128:129], v[126:127], v[114:115], v[124:125] op_sel:[0,0,1] op_sel_hi:[1,1,0] neg_lo:[0,0,1] neg_hi:[0,0,1]
	v_pk_fma_f32 v[124:125], v[126:127], v[114:115], v[124:125] op_sel:[0,0,1] op_sel_hi:[1,0,0]
	v_mov_b32_e32 v129, v125
	ds_load_2addr_b64 v[124:127], v118 offset0:52 offset1:53
	v_pk_add_f32 v[46:47], v[46:47], v[130:131] neg_lo:[0,1] neg_hi:[0,1]
	v_pk_add_f32 v[28:29], v[28:29], v[128:129] neg_lo:[0,1] neg_hi:[0,1]
	s_wait_dscnt 0x0
	v_dual_mul_f32 v128, v125, v117 :: v_dual_mul_f32 v130, v125, v114
	v_pk_mul_f32 v[116:117], v[126:127], v[116:117] op_sel:[0,1]
	s_delay_alu instid0(VALU_DEP_2) | instskip(NEXT) | instid1(VALU_DEP_3)
	v_pk_fma_f32 v[128:129], v[124:125], v[104:105], v[128:129] op_sel_hi:[1,1,0] neg_lo:[0,0,1] neg_hi:[0,0,1]
	v_pk_fma_f32 v[124:125], v[124:125], v[104:105], v[130:131] op_sel:[1,0,0] op_sel_hi:[0,1,0]
	s_delay_alu instid0(VALU_DEP_1) | instskip(NEXT) | instid1(VALU_DEP_4)
	v_mov_b32_e32 v129, v125
	v_pk_fma_f32 v[124:125], v[126:127], v[114:115], v[116:117] op_sel:[0,0,1] op_sel_hi:[1,1,0] neg_lo:[0,0,1] neg_hi:[0,0,1]
	v_pk_fma_f32 v[114:115], v[126:127], v[114:115], v[116:117] op_sel:[0,0,1] op_sel_hi:[1,0,0]
	s_delay_alu instid0(VALU_DEP_1) | instskip(NEXT) | instid1(VALU_DEP_4)
	v_mov_b32_e32 v125, v115
	v_pk_add_f32 v[14:15], v[14:15], v[128:129] neg_lo:[0,1] neg_hi:[0,1]
	s_delay_alu instid0(VALU_DEP_2)
	v_pk_add_f32 v[112:113], v[112:113], v[124:125] neg_lo:[0,1] neg_hi:[0,1]
.LBB106_83:
	s_or_b32 exec_lo, exec_lo, s0
	v_lshl_add_u32 v114, v122, 3, v118
	s_barrier_signal -1
	s_barrier_wait -1
	ds_store_b64 v114, v[92:93]
	s_wait_dscnt 0x0
	s_barrier_signal -1
	s_barrier_wait -1
	ds_load_b64 v[116:117], v118 offset:32
	v_mov_b32_e32 v114, 4
	s_cmp_lt_i32 s18, 6
	s_cbranch_scc1 .LBB106_86
; %bb.84:
	v_add3_u32 v115, v119, 0, 40
	v_mov_b32_e32 v114, 4
	s_mov_b32 s0, 5
.LBB106_85:                             ; =>This Inner Loop Header: Depth=1
	ds_load_b64 v[124:125], v115
	s_wait_dscnt 0x1
	v_cmp_gt_f32_e32 vcc_lo, 0, v116
	v_cndmask_b32_e64 v126, v116, -v116, vcc_lo
	v_cmp_gt_f32_e32 vcc_lo, 0, v117
	v_cndmask_b32_e64 v128, v117, -v117, vcc_lo
	s_wait_dscnt 0x0
	v_cmp_gt_f32_e32 vcc_lo, 0, v124
	v_cndmask_b32_e64 v127, v124, -v124, vcc_lo
	v_cmp_gt_f32_e32 vcc_lo, 0, v125
	v_cndmask_b32_e64 v129, v125, -v125, vcc_lo
	s_delay_alu instid0(VALU_DEP_1) | instskip(NEXT) | instid1(VALU_DEP_1)
	v_pk_add_f32 v[126:127], v[126:127], v[128:129]
	v_cmp_lt_f32_e32 vcc_lo, v126, v127
	v_dual_add_nc_u32 v115, 8, v115 :: v_dual_cndmask_b32 v117, v117, v125, vcc_lo
	v_cndmask_b32_e32 v116, v116, v124, vcc_lo
	v_cndmask_b32_e64 v114, v114, s0, vcc_lo
	s_add_co_i32 s0, s0, 1
	s_delay_alu instid0(SALU_CYCLE_1)
	s_cmp_lg_u32 s18, s0
	s_cbranch_scc1 .LBB106_85
.LBB106_86:
	s_wait_dscnt 0x0
	v_cmp_eq_f32_e32 vcc_lo, 0, v116
	v_cmp_eq_f32_e64 s0, 0, v117
	s_and_b32 s0, vcc_lo, s0
	s_delay_alu instid0(SALU_CYCLE_1) | instskip(NEXT) | instid1(SALU_CYCLE_1)
	s_and_saveexec_b32 s1, s0
	s_xor_b32 s0, exec_lo, s1
; %bb.87:
	v_cmp_ne_u32_e32 vcc_lo, 0, v120
	v_cndmask_b32_e32 v120, 5, v120, vcc_lo
; %bb.88:
	s_and_not1_saveexec_b32 s0, s0
	s_cbranch_execz .LBB106_94
; %bb.89:
	v_cmp_ngt_f32_e64 s1, |v116|, |v117|
	s_and_saveexec_b32 s12, s1
	s_delay_alu instid0(SALU_CYCLE_1)
	s_xor_b32 s1, exec_lo, s12
	s_cbranch_execz .LBB106_91
; %bb.90:
	v_div_scale_f32 v115, null, v117, v117, v116
	v_div_scale_f32 v125, vcc_lo, v116, v117, v116
	s_delay_alu instid0(VALU_DEP_2) | instskip(SKIP_1) | instid1(TRANS32_DEP_1)
	v_rcp_f32_e32 v123, v115
	v_nop
	v_fma_f32 v124, -v115, v123, 1.0
	s_delay_alu instid0(VALU_DEP_1) | instskip(NEXT) | instid1(VALU_DEP_1)
	v_fmac_f32_e32 v123, v124, v123
	v_mul_f32_e32 v124, v125, v123
	s_delay_alu instid0(VALU_DEP_1) | instskip(NEXT) | instid1(VALU_DEP_1)
	v_fma_f32 v126, -v115, v124, v125
	v_fmac_f32_e32 v124, v126, v123
	s_delay_alu instid0(VALU_DEP_1) | instskip(NEXT) | instid1(VALU_DEP_1)
	v_fma_f32 v115, -v115, v124, v125
	v_div_fmas_f32 v115, v115, v123, v124
	s_delay_alu instid0(VALU_DEP_1) | instskip(NEXT) | instid1(VALU_DEP_1)
	v_div_fixup_f32 v115, v115, v117, v116
	v_fmac_f32_e32 v117, v116, v115
	s_delay_alu instid0(VALU_DEP_1) | instskip(SKIP_1) | instid1(VALU_DEP_2)
	v_div_scale_f32 v116, null, v117, v117, 1.0
	v_div_scale_f32 v125, vcc_lo, 1.0, v117, 1.0
	v_rcp_f32_e32 v123, v116
	v_nop
	s_delay_alu instid0(TRANS32_DEP_1) | instskip(NEXT) | instid1(VALU_DEP_1)
	v_fma_f32 v124, -v116, v123, 1.0
	v_fmac_f32_e32 v123, v124, v123
	s_delay_alu instid0(VALU_DEP_1) | instskip(NEXT) | instid1(VALU_DEP_1)
	v_mul_f32_e32 v124, v125, v123
	v_fma_f32 v126, -v116, v124, v125
	s_delay_alu instid0(VALU_DEP_1) | instskip(NEXT) | instid1(VALU_DEP_1)
	v_fmac_f32_e32 v124, v126, v123
	v_fma_f32 v116, -v116, v124, v125
	s_delay_alu instid0(VALU_DEP_1) | instskip(NEXT) | instid1(VALU_DEP_1)
	v_div_fmas_f32 v116, v116, v123, v124
	v_div_fixup_f32 v117, v116, v117, 1.0
	s_delay_alu instid0(VALU_DEP_1)
	v_mul_f32_e32 v116, v115, v117
	v_xor_b32_e32 v117, 0x80000000, v117
.LBB106_91:
	s_and_not1_saveexec_b32 s1, s1
	s_cbranch_execz .LBB106_93
; %bb.92:
	s_delay_alu instid0(VALU_DEP_1) | instskip(SKIP_1) | instid1(VALU_DEP_2)
	v_div_scale_f32 v115, null, v116, v116, v117
	v_div_scale_f32 v125, vcc_lo, v117, v116, v117
	v_rcp_f32_e32 v123, v115
	v_nop
	s_delay_alu instid0(TRANS32_DEP_1) | instskip(NEXT) | instid1(VALU_DEP_1)
	v_fma_f32 v124, -v115, v123, 1.0
	v_fmac_f32_e32 v123, v124, v123
	s_delay_alu instid0(VALU_DEP_1) | instskip(NEXT) | instid1(VALU_DEP_1)
	v_mul_f32_e32 v124, v125, v123
	v_fma_f32 v126, -v115, v124, v125
	s_delay_alu instid0(VALU_DEP_1) | instskip(NEXT) | instid1(VALU_DEP_1)
	v_fmac_f32_e32 v124, v126, v123
	v_fma_f32 v115, -v115, v124, v125
	s_delay_alu instid0(VALU_DEP_1) | instskip(NEXT) | instid1(VALU_DEP_1)
	v_div_fmas_f32 v115, v115, v123, v124
	v_div_fixup_f32 v115, v115, v116, v117
	s_delay_alu instid0(VALU_DEP_1) | instskip(NEXT) | instid1(VALU_DEP_1)
	v_fmac_f32_e32 v116, v117, v115
	v_div_scale_f32 v117, null, v116, v116, 1.0
	s_delay_alu instid0(VALU_DEP_1) | instskip(SKIP_1) | instid1(TRANS32_DEP_1)
	v_rcp_f32_e32 v123, v117
	v_nop
	v_fma_f32 v124, -v117, v123, 1.0
	s_delay_alu instid0(VALU_DEP_1) | instskip(SKIP_1) | instid1(VALU_DEP_1)
	v_fmac_f32_e32 v123, v124, v123
	v_div_scale_f32 v124, vcc_lo, 1.0, v116, 1.0
	v_mul_f32_e32 v125, v124, v123
	s_delay_alu instid0(VALU_DEP_1) | instskip(NEXT) | instid1(VALU_DEP_1)
	v_fma_f32 v126, -v117, v125, v124
	v_fmac_f32_e32 v125, v126, v123
	s_delay_alu instid0(VALU_DEP_1) | instskip(NEXT) | instid1(VALU_DEP_1)
	v_fma_f32 v117, -v117, v125, v124
	v_div_fmas_f32 v117, v117, v123, v125
	s_delay_alu instid0(VALU_DEP_1) | instskip(NEXT) | instid1(VALU_DEP_1)
	v_div_fixup_f32 v116, v117, v116, 1.0
	v_mul_f32_e64 v117, v115, -v116
.LBB106_93:
	s_or_b32 exec_lo, exec_lo, s1
.LBB106_94:
	s_delay_alu instid0(SALU_CYCLE_1) | instskip(NEXT) | instid1(SALU_CYCLE_1)
	s_or_b32 exec_lo, exec_lo, s0
	s_mov_b32 s0, exec_lo
	v_cmpx_ne_u32_e64 v122, v114
	s_xor_b32 s0, exec_lo, s0
	s_cbranch_execz .LBB106_100
; %bb.95:
	s_mov_b32 s1, exec_lo
	v_cmpx_eq_u32_e32 4, v122
	s_cbranch_execz .LBB106_99
; %bb.96:
	v_cmp_ne_u32_e32 vcc_lo, 4, v114
	s_xor_b32 s12, s16, -1
	s_delay_alu instid0(SALU_CYCLE_1) | instskip(NEXT) | instid1(SALU_CYCLE_1)
	s_and_b32 s13, s12, vcc_lo
	s_and_saveexec_b32 s12, s13
	s_cbranch_execz .LBB106_98
; %bb.97:
	v_ashrrev_i32_e32 v115, 31, v114
	s_delay_alu instid0(VALU_DEP_1)
	v_lshl_add_u64 v[122:123], v[114:115], 2, v[4:5]
	s_clause 0x1
	global_load_b32 v115, v[122:123], off
	global_load_b32 v121, v[4:5], off offset:16
	s_wait_loadcnt 0x1
	global_store_b32 v[4:5], v115, off offset:16
	s_wait_loadcnt 0x0
	global_store_b32 v[122:123], v121, off
.LBB106_98:
	s_wait_xcnt 0x0
	s_or_b32 exec_lo, exec_lo, s12
	v_dual_mov_b32 v122, v114 :: v_dual_mov_b32 v121, v114
.LBB106_99:
	s_or_b32 exec_lo, exec_lo, s1
.LBB106_100:
	s_and_not1_saveexec_b32 s0, s0
	s_cbranch_execz .LBB106_102
; %bb.101:
	v_mov_b32_e32 v122, 4
	ds_store_2addr_b64 v118, v[44:45], v[48:49] offset0:5 offset1:6
	ds_store_2addr_b64 v118, v[42:43], v[102:103] offset0:7 offset1:8
	;; [unrolled: 1-line block ×24, first 2 shown]
	ds_store_b64 v118, v[112:113] offset:424
.LBB106_102:
	s_or_b32 exec_lo, exec_lo, s0
	s_delay_alu instid0(SALU_CYCLE_1)
	s_mov_b32 s0, exec_lo
	s_wait_storecnt_dscnt 0x0
	s_barrier_signal -1
	s_barrier_wait -1
	v_cmpx_lt_i32_e32 4, v122
	s_cbranch_execz .LBB106_104
; %bb.103:
	v_pk_mul_f32 v[124:125], v[116:117], v[92:93] op_sel:[1,1] op_sel_hi:[0,1]
	s_delay_alu instid0(VALU_DEP_1)
	v_pk_fma_f32 v[114:115], v[116:117], v[92:93], v[124:125] op_sel_hi:[1,0,1] neg_lo:[0,0,1] neg_hi:[0,0,1]
	v_pk_fma_f32 v[116:117], v[116:117], v[92:93], v[124:125] op_sel_hi:[1,0,1]
	ds_load_2addr_b64 v[124:127], v118 offset0:5 offset1:6
	v_dual_mov_b32 v92, v114 :: v_dual_mov_b32 v93, v117
	s_wait_dscnt 0x0
	v_pk_mul_f32 v[128:129], v[124:125], v[116:117] op_sel:[0,1]
	s_delay_alu instid0(VALU_DEP_1) | instskip(SKIP_1) | instid1(VALU_DEP_1)
	v_pk_fma_f32 v[130:131], v[124:125], v[114:115], v[128:129] op_sel:[0,0,1] op_sel_hi:[1,1,0] neg_lo:[0,0,1] neg_hi:[0,0,1]
	v_pk_fma_f32 v[124:125], v[124:125], v[114:115], v[128:129] op_sel:[0,0,1] op_sel_hi:[1,0,0]
	v_mov_b32_e32 v131, v125
	v_pk_mul_f32 v[124:125], v[126:127], v[116:117] op_sel:[0,1]
	s_delay_alu instid0(VALU_DEP_1) | instskip(SKIP_1) | instid1(VALU_DEP_1)
	v_pk_fma_f32 v[128:129], v[126:127], v[114:115], v[124:125] op_sel:[0,0,1] op_sel_hi:[1,1,0] neg_lo:[0,0,1] neg_hi:[0,0,1]
	v_pk_fma_f32 v[124:125], v[126:127], v[114:115], v[124:125] op_sel:[0,0,1] op_sel_hi:[1,0,0]
	v_mov_b32_e32 v129, v125
	ds_load_2addr_b64 v[124:127], v118 offset0:7 offset1:8
	v_pk_add_f32 v[44:45], v[44:45], v[130:131] neg_lo:[0,1] neg_hi:[0,1]
	v_pk_add_f32 v[48:49], v[48:49], v[128:129] neg_lo:[0,1] neg_hi:[0,1]
	s_wait_dscnt 0x0
	v_pk_mul_f32 v[128:129], v[124:125], v[116:117] op_sel:[0,1]
	s_delay_alu instid0(VALU_DEP_1) | instskip(SKIP_2) | instid1(VALU_DEP_2)
	v_pk_fma_f32 v[130:131], v[124:125], v[114:115], v[128:129] op_sel:[0,0,1] op_sel_hi:[1,1,0] neg_lo:[0,0,1] neg_hi:[0,0,1]
	v_pk_fma_f32 v[124:125], v[124:125], v[114:115], v[128:129] op_sel:[0,0,1] op_sel_hi:[1,0,0]
	v_dual_mul_f32 v128, v127, v117 :: v_dual_mov_b32 v124, v127
	v_dual_mov_b32 v131, v125 :: v_dual_mov_b32 v125, v126
	s_delay_alu instid0(VALU_DEP_2) | instskip(SKIP_1) | instid1(VALU_DEP_3)
	v_pk_fma_f32 v[128:129], v[126:127], v[92:93], v[128:129] op_sel_hi:[1,1,0] neg_lo:[0,0,1] neg_hi:[0,0,1]
	v_mul_f32_e32 v126, v127, v114
	v_pk_add_f32 v[42:43], v[42:43], v[130:131] neg_lo:[0,1] neg_hi:[0,1]
	s_delay_alu instid0(VALU_DEP_2) | instskip(NEXT) | instid1(VALU_DEP_1)
	v_pk_fma_f32 v[124:125], v[124:125], v[92:93], v[126:127] op_sel_hi:[1,1,0]
	v_mov_b32_e32 v129, v125
	ds_load_2addr_b64 v[124:127], v118 offset0:9 offset1:10
	v_pk_add_f32 v[102:103], v[102:103], v[128:129] neg_lo:[0,1] neg_hi:[0,1]
	s_wait_dscnt 0x0
	v_pk_mul_f32 v[128:129], v[124:125], v[116:117] op_sel:[0,1]
	s_delay_alu instid0(VALU_DEP_1) | instskip(SKIP_1) | instid1(VALU_DEP_1)
	v_pk_fma_f32 v[130:131], v[124:125], v[114:115], v[128:129] op_sel:[0,0,1] op_sel_hi:[1,1,0] neg_lo:[0,0,1] neg_hi:[0,0,1]
	v_pk_fma_f32 v[124:125], v[124:125], v[114:115], v[128:129] op_sel:[0,0,1] op_sel_hi:[1,0,0]
	v_mov_b32_e32 v131, v125
	v_pk_mul_f32 v[124:125], v[126:127], v[116:117] op_sel:[0,1]
	s_delay_alu instid0(VALU_DEP_1) | instskip(SKIP_1) | instid1(VALU_DEP_1)
	v_pk_fma_f32 v[128:129], v[126:127], v[114:115], v[124:125] op_sel:[0,0,1] op_sel_hi:[1,1,0] neg_lo:[0,0,1] neg_hi:[0,0,1]
	v_pk_fma_f32 v[124:125], v[126:127], v[114:115], v[124:125] op_sel:[0,0,1] op_sel_hi:[1,0,0]
	v_mov_b32_e32 v129, v125
	ds_load_2addr_b64 v[124:127], v118 offset0:11 offset1:12
	v_pk_add_f32 v[78:79], v[78:79], v[130:131] neg_lo:[0,1] neg_hi:[0,1]
	v_pk_add_f32 v[80:81], v[80:81], v[128:129] neg_lo:[0,1] neg_hi:[0,1]
	s_wait_dscnt 0x0
	v_pk_mul_f32 v[128:129], v[124:125], v[116:117] op_sel:[0,1]
	s_delay_alu instid0(VALU_DEP_1) | instskip(SKIP_1) | instid1(VALU_DEP_1)
	v_pk_fma_f32 v[130:131], v[124:125], v[114:115], v[128:129] op_sel:[0,0,1] op_sel_hi:[1,1,0] neg_lo:[0,0,1] neg_hi:[0,0,1]
	v_pk_fma_f32 v[124:125], v[124:125], v[114:115], v[128:129] op_sel:[0,0,1] op_sel_hi:[1,0,0]
	v_mov_b32_e32 v131, v125
	v_pk_mul_f32 v[124:125], v[126:127], v[116:117] op_sel:[0,1]
	s_delay_alu instid0(VALU_DEP_1) | instskip(SKIP_1) | instid1(VALU_DEP_1)
	v_pk_fma_f32 v[128:129], v[126:127], v[114:115], v[124:125] op_sel:[0,0,1] op_sel_hi:[1,1,0] neg_lo:[0,0,1] neg_hi:[0,0,1]
	v_pk_fma_f32 v[124:125], v[126:127], v[114:115], v[124:125] op_sel:[0,0,1] op_sel_hi:[1,0,0]
	v_mov_b32_e32 v129, v125
	ds_load_2addr_b64 v[124:127], v118 offset0:13 offset1:14
	v_pk_add_f32 v[76:77], v[76:77], v[130:131] neg_lo:[0,1] neg_hi:[0,1]
	v_pk_add_f32 v[100:101], v[100:101], v[128:129] neg_lo:[0,1] neg_hi:[0,1]
	s_wait_dscnt 0x0
	v_dual_mul_f32 v128, v125, v117 :: v_dual_mul_f32 v130, v125, v114
	s_delay_alu instid0(VALU_DEP_1) | instskip(NEXT) | instid1(VALU_DEP_2)
	v_pk_fma_f32 v[128:129], v[124:125], v[92:93], v[128:129] op_sel_hi:[1,1,0] neg_lo:[0,0,1] neg_hi:[0,0,1]
	v_pk_fma_f32 v[124:125], v[124:125], v[92:93], v[130:131] op_sel:[1,0,0] op_sel_hi:[0,1,0]
	s_delay_alu instid0(VALU_DEP_1) | instskip(SKIP_1) | instid1(VALU_DEP_2)
	v_mov_b32_e32 v129, v125
	v_pk_mul_f32 v[124:125], v[126:127], v[116:117] op_sel:[0,1]
	v_pk_add_f32 v[72:73], v[72:73], v[128:129] neg_lo:[0,1] neg_hi:[0,1]
	s_delay_alu instid0(VALU_DEP_2) | instskip(SKIP_1) | instid1(VALU_DEP_1)
	v_pk_fma_f32 v[128:129], v[126:127], v[114:115], v[124:125] op_sel:[0,0,1] op_sel_hi:[1,1,0] neg_lo:[0,0,1] neg_hi:[0,0,1]
	v_pk_fma_f32 v[124:125], v[126:127], v[114:115], v[124:125] op_sel:[0,0,1] op_sel_hi:[1,0,0]
	v_mov_b32_e32 v129, v125
	ds_load_2addr_b64 v[124:127], v118 offset0:15 offset1:16
	v_pk_add_f32 v[74:75], v[74:75], v[128:129] neg_lo:[0,1] neg_hi:[0,1]
	s_wait_dscnt 0x0
	v_pk_mul_f32 v[128:129], v[124:125], v[116:117] op_sel:[0,1]
	s_delay_alu instid0(VALU_DEP_1) | instskip(SKIP_1) | instid1(VALU_DEP_1)
	v_pk_fma_f32 v[130:131], v[124:125], v[114:115], v[128:129] op_sel:[0,0,1] op_sel_hi:[1,1,0] neg_lo:[0,0,1] neg_hi:[0,0,1]
	v_pk_fma_f32 v[124:125], v[124:125], v[114:115], v[128:129] op_sel:[0,0,1] op_sel_hi:[1,0,0]
	v_mov_b32_e32 v131, v125
	v_pk_mul_f32 v[124:125], v[126:127], v[116:117] op_sel:[0,1]
	s_delay_alu instid0(VALU_DEP_2) | instskip(NEXT) | instid1(VALU_DEP_2)
	v_pk_add_f32 v[70:71], v[70:71], v[130:131] neg_lo:[0,1] neg_hi:[0,1]
	v_pk_fma_f32 v[128:129], v[126:127], v[114:115], v[124:125] op_sel:[0,0,1] op_sel_hi:[1,1,0] neg_lo:[0,0,1] neg_hi:[0,0,1]
	v_pk_fma_f32 v[124:125], v[126:127], v[114:115], v[124:125] op_sel:[0,0,1] op_sel_hi:[1,0,0]
	s_delay_alu instid0(VALU_DEP_1) | instskip(SKIP_4) | instid1(VALU_DEP_1)
	v_mov_b32_e32 v129, v125
	ds_load_2addr_b64 v[124:127], v118 offset0:17 offset1:18
	v_pk_add_f32 v[98:99], v[98:99], v[128:129] neg_lo:[0,1] neg_hi:[0,1]
	s_wait_dscnt 0x0
	v_pk_mul_f32 v[128:129], v[124:125], v[116:117] op_sel:[0,1]
	v_pk_fma_f32 v[130:131], v[124:125], v[114:115], v[128:129] op_sel:[0,0,1] op_sel_hi:[1,1,0] neg_lo:[0,0,1] neg_hi:[0,0,1]
	v_pk_fma_f32 v[124:125], v[124:125], v[114:115], v[128:129] op_sel:[0,0,1] op_sel_hi:[1,0,0]
	v_dual_mul_f32 v128, v127, v117 :: v_dual_mov_b32 v124, v127
	s_delay_alu instid0(VALU_DEP_2) | instskip(NEXT) | instid1(VALU_DEP_2)
	v_dual_mov_b32 v131, v125 :: v_dual_mov_b32 v125, v126
	v_pk_fma_f32 v[128:129], v[126:127], v[92:93], v[128:129] op_sel_hi:[1,1,0] neg_lo:[0,0,1] neg_hi:[0,0,1]
	v_mul_f32_e32 v126, v127, v114
	s_delay_alu instid0(VALU_DEP_3) | instskip(NEXT) | instid1(VALU_DEP_2)
	v_pk_add_f32 v[64:65], v[64:65], v[130:131] neg_lo:[0,1] neg_hi:[0,1]
	v_pk_fma_f32 v[124:125], v[124:125], v[92:93], v[126:127] op_sel_hi:[1,1,0]
	s_delay_alu instid0(VALU_DEP_1) | instskip(SKIP_4) | instid1(VALU_DEP_1)
	v_mov_b32_e32 v129, v125
	ds_load_2addr_b64 v[124:127], v118 offset0:19 offset1:20
	v_pk_add_f32 v[68:69], v[68:69], v[128:129] neg_lo:[0,1] neg_hi:[0,1]
	s_wait_dscnt 0x0
	v_pk_mul_f32 v[128:129], v[124:125], v[116:117] op_sel:[0,1]
	v_pk_fma_f32 v[130:131], v[124:125], v[114:115], v[128:129] op_sel:[0,0,1] op_sel_hi:[1,1,0] neg_lo:[0,0,1] neg_hi:[0,0,1]
	v_pk_fma_f32 v[124:125], v[124:125], v[114:115], v[128:129] op_sel:[0,0,1] op_sel_hi:[1,0,0]
	s_delay_alu instid0(VALU_DEP_1) | instskip(SKIP_1) | instid1(VALU_DEP_1)
	v_mov_b32_e32 v131, v125
	v_pk_mul_f32 v[124:125], v[126:127], v[116:117] op_sel:[0,1]
	v_pk_fma_f32 v[128:129], v[126:127], v[114:115], v[124:125] op_sel:[0,0,1] op_sel_hi:[1,1,0] neg_lo:[0,0,1] neg_hi:[0,0,1]
	v_pk_fma_f32 v[124:125], v[126:127], v[114:115], v[124:125] op_sel:[0,0,1] op_sel_hi:[1,0,0]
	s_delay_alu instid0(VALU_DEP_1)
	v_mov_b32_e32 v129, v125
	ds_load_2addr_b64 v[124:127], v118 offset0:21 offset1:22
	v_pk_add_f32 v[62:63], v[62:63], v[130:131] neg_lo:[0,1] neg_hi:[0,1]
	v_pk_add_f32 v[96:97], v[96:97], v[128:129] neg_lo:[0,1] neg_hi:[0,1]
	s_wait_dscnt 0x0
	v_pk_mul_f32 v[128:129], v[124:125], v[116:117] op_sel:[0,1]
	s_delay_alu instid0(VALU_DEP_1) | instskip(SKIP_1) | instid1(VALU_DEP_1)
	v_pk_fma_f32 v[130:131], v[124:125], v[114:115], v[128:129] op_sel:[0,0,1] op_sel_hi:[1,1,0] neg_lo:[0,0,1] neg_hi:[0,0,1]
	v_pk_fma_f32 v[124:125], v[124:125], v[114:115], v[128:129] op_sel:[0,0,1] op_sel_hi:[1,0,0]
	v_mov_b32_e32 v131, v125
	v_pk_mul_f32 v[124:125], v[126:127], v[116:117] op_sel:[0,1]
	s_delay_alu instid0(VALU_DEP_1) | instskip(SKIP_1) | instid1(VALU_DEP_1)
	v_pk_fma_f32 v[128:129], v[126:127], v[114:115], v[124:125] op_sel:[0,0,1] op_sel_hi:[1,1,0] neg_lo:[0,0,1] neg_hi:[0,0,1]
	v_pk_fma_f32 v[124:125], v[126:127], v[114:115], v[124:125] op_sel:[0,0,1] op_sel_hi:[1,0,0]
	v_mov_b32_e32 v129, v125
	ds_load_2addr_b64 v[124:127], v118 offset0:23 offset1:24
	v_pk_add_f32 v[58:59], v[58:59], v[130:131] neg_lo:[0,1] neg_hi:[0,1]
	v_pk_add_f32 v[60:61], v[60:61], v[128:129] neg_lo:[0,1] neg_hi:[0,1]
	s_wait_dscnt 0x0
	v_dual_mul_f32 v128, v125, v117 :: v_dual_mul_f32 v130, v125, v114
	s_delay_alu instid0(VALU_DEP_1) | instskip(NEXT) | instid1(VALU_DEP_2)
	v_pk_fma_f32 v[128:129], v[124:125], v[92:93], v[128:129] op_sel_hi:[1,1,0] neg_lo:[0,0,1] neg_hi:[0,0,1]
	v_pk_fma_f32 v[124:125], v[124:125], v[92:93], v[130:131] op_sel:[1,0,0] op_sel_hi:[0,1,0]
	s_delay_alu instid0(VALU_DEP_1) | instskip(SKIP_1) | instid1(VALU_DEP_2)
	v_mov_b32_e32 v129, v125
	v_pk_mul_f32 v[124:125], v[126:127], v[116:117] op_sel:[0,1]
	v_pk_add_f32 v[56:57], v[56:57], v[128:129] neg_lo:[0,1] neg_hi:[0,1]
	s_delay_alu instid0(VALU_DEP_2) | instskip(SKIP_1) | instid1(VALU_DEP_1)
	v_pk_fma_f32 v[128:129], v[126:127], v[114:115], v[124:125] op_sel:[0,0,1] op_sel_hi:[1,1,0] neg_lo:[0,0,1] neg_hi:[0,0,1]
	v_pk_fma_f32 v[124:125], v[126:127], v[114:115], v[124:125] op_sel:[0,0,1] op_sel_hi:[1,0,0]
	v_mov_b32_e32 v129, v125
	ds_load_2addr_b64 v[124:127], v118 offset0:25 offset1:26
	v_pk_add_f32 v[94:95], v[94:95], v[128:129] neg_lo:[0,1] neg_hi:[0,1]
	s_wait_dscnt 0x0
	v_pk_mul_f32 v[128:129], v[124:125], v[116:117] op_sel:[0,1]
	s_delay_alu instid0(VALU_DEP_1) | instskip(SKIP_1) | instid1(VALU_DEP_1)
	v_pk_fma_f32 v[130:131], v[124:125], v[114:115], v[128:129] op_sel:[0,0,1] op_sel_hi:[1,1,0] neg_lo:[0,0,1] neg_hi:[0,0,1]
	v_pk_fma_f32 v[124:125], v[124:125], v[114:115], v[128:129] op_sel:[0,0,1] op_sel_hi:[1,0,0]
	v_mov_b32_e32 v131, v125
	v_pk_mul_f32 v[124:125], v[126:127], v[116:117] op_sel:[0,1]
	s_delay_alu instid0(VALU_DEP_2) | instskip(NEXT) | instid1(VALU_DEP_2)
	v_pk_add_f32 v[52:53], v[52:53], v[130:131] neg_lo:[0,1] neg_hi:[0,1]
	v_pk_fma_f32 v[128:129], v[126:127], v[114:115], v[124:125] op_sel:[0,0,1] op_sel_hi:[1,1,0] neg_lo:[0,0,1] neg_hi:[0,0,1]
	v_pk_fma_f32 v[124:125], v[126:127], v[114:115], v[124:125] op_sel:[0,0,1] op_sel_hi:[1,0,0]
	s_delay_alu instid0(VALU_DEP_1) | instskip(SKIP_4) | instid1(VALU_DEP_1)
	v_mov_b32_e32 v129, v125
	ds_load_2addr_b64 v[124:127], v118 offset0:27 offset1:28
	v_pk_add_f32 v[54:55], v[54:55], v[128:129] neg_lo:[0,1] neg_hi:[0,1]
	s_wait_dscnt 0x0
	v_pk_mul_f32 v[128:129], v[124:125], v[116:117] op_sel:[0,1]
	v_pk_fma_f32 v[130:131], v[124:125], v[114:115], v[128:129] op_sel:[0,0,1] op_sel_hi:[1,1,0] neg_lo:[0,0,1] neg_hi:[0,0,1]
	v_pk_fma_f32 v[124:125], v[124:125], v[114:115], v[128:129] op_sel:[0,0,1] op_sel_hi:[1,0,0]
	v_dual_mul_f32 v128, v127, v117 :: v_dual_mov_b32 v124, v127
	s_delay_alu instid0(VALU_DEP_2) | instskip(NEXT) | instid1(VALU_DEP_2)
	v_dual_mov_b32 v131, v125 :: v_dual_mov_b32 v125, v126
	v_pk_fma_f32 v[128:129], v[126:127], v[92:93], v[128:129] op_sel_hi:[1,1,0] neg_lo:[0,0,1] neg_hi:[0,0,1]
	v_mul_f32_e32 v126, v127, v114
	s_delay_alu instid0(VALU_DEP_3) | instskip(NEXT) | instid1(VALU_DEP_2)
	v_pk_add_f32 v[50:51], v[50:51], v[130:131] neg_lo:[0,1] neg_hi:[0,1]
	v_pk_fma_f32 v[124:125], v[124:125], v[92:93], v[126:127] op_sel_hi:[1,1,0]
	s_delay_alu instid0(VALU_DEP_1) | instskip(SKIP_4) | instid1(VALU_DEP_1)
	v_mov_b32_e32 v129, v125
	ds_load_2addr_b64 v[124:127], v118 offset0:29 offset1:30
	v_pk_add_f32 v[90:91], v[90:91], v[128:129] neg_lo:[0,1] neg_hi:[0,1]
	s_wait_dscnt 0x0
	v_pk_mul_f32 v[128:129], v[124:125], v[116:117] op_sel:[0,1]
	v_pk_fma_f32 v[130:131], v[124:125], v[114:115], v[128:129] op_sel:[0,0,1] op_sel_hi:[1,1,0] neg_lo:[0,0,1] neg_hi:[0,0,1]
	v_pk_fma_f32 v[124:125], v[124:125], v[114:115], v[128:129] op_sel:[0,0,1] op_sel_hi:[1,0,0]
	s_delay_alu instid0(VALU_DEP_1) | instskip(SKIP_1) | instid1(VALU_DEP_1)
	v_mov_b32_e32 v131, v125
	v_pk_mul_f32 v[124:125], v[126:127], v[116:117] op_sel:[0,1]
	v_pk_fma_f32 v[128:129], v[126:127], v[114:115], v[124:125] op_sel:[0,0,1] op_sel_hi:[1,1,0] neg_lo:[0,0,1] neg_hi:[0,0,1]
	v_pk_fma_f32 v[124:125], v[126:127], v[114:115], v[124:125] op_sel:[0,0,1] op_sel_hi:[1,0,0]
	s_delay_alu instid0(VALU_DEP_1)
	v_mov_b32_e32 v129, v125
	ds_load_2addr_b64 v[124:127], v118 offset0:31 offset1:32
	v_pk_add_f32 v[38:39], v[38:39], v[130:131] neg_lo:[0,1] neg_hi:[0,1]
	v_pk_add_f32 v[40:41], v[40:41], v[128:129] neg_lo:[0,1] neg_hi:[0,1]
	s_wait_dscnt 0x0
	v_pk_mul_f32 v[128:129], v[124:125], v[116:117] op_sel:[0,1]
	s_delay_alu instid0(VALU_DEP_1) | instskip(SKIP_1) | instid1(VALU_DEP_1)
	v_pk_fma_f32 v[130:131], v[124:125], v[114:115], v[128:129] op_sel:[0,0,1] op_sel_hi:[1,1,0] neg_lo:[0,0,1] neg_hi:[0,0,1]
	v_pk_fma_f32 v[124:125], v[124:125], v[114:115], v[128:129] op_sel:[0,0,1] op_sel_hi:[1,0,0]
	v_mov_b32_e32 v131, v125
	v_pk_mul_f32 v[124:125], v[126:127], v[116:117] op_sel:[0,1]
	s_delay_alu instid0(VALU_DEP_1) | instskip(SKIP_1) | instid1(VALU_DEP_1)
	v_pk_fma_f32 v[128:129], v[126:127], v[114:115], v[124:125] op_sel:[0,0,1] op_sel_hi:[1,1,0] neg_lo:[0,0,1] neg_hi:[0,0,1]
	v_pk_fma_f32 v[124:125], v[126:127], v[114:115], v[124:125] op_sel:[0,0,1] op_sel_hi:[1,0,0]
	v_mov_b32_e32 v129, v125
	ds_load_2addr_b64 v[124:127], v118 offset0:33 offset1:34
	v_pk_add_f32 v[36:37], v[36:37], v[130:131] neg_lo:[0,1] neg_hi:[0,1]
	v_pk_add_f32 v[88:89], v[88:89], v[128:129] neg_lo:[0,1] neg_hi:[0,1]
	s_wait_dscnt 0x0
	v_dual_mul_f32 v128, v125, v117 :: v_dual_mul_f32 v130, v125, v114
	s_delay_alu instid0(VALU_DEP_1) | instskip(NEXT) | instid1(VALU_DEP_2)
	v_pk_fma_f32 v[128:129], v[124:125], v[92:93], v[128:129] op_sel_hi:[1,1,0] neg_lo:[0,0,1] neg_hi:[0,0,1]
	v_pk_fma_f32 v[124:125], v[124:125], v[92:93], v[130:131] op_sel:[1,0,0] op_sel_hi:[0,1,0]
	s_delay_alu instid0(VALU_DEP_1) | instskip(SKIP_1) | instid1(VALU_DEP_2)
	v_mov_b32_e32 v129, v125
	v_pk_mul_f32 v[124:125], v[126:127], v[116:117] op_sel:[0,1]
	v_pk_add_f32 v[32:33], v[32:33], v[128:129] neg_lo:[0,1] neg_hi:[0,1]
	s_delay_alu instid0(VALU_DEP_2) | instskip(SKIP_1) | instid1(VALU_DEP_1)
	v_pk_fma_f32 v[128:129], v[126:127], v[114:115], v[124:125] op_sel:[0,0,1] op_sel_hi:[1,1,0] neg_lo:[0,0,1] neg_hi:[0,0,1]
	v_pk_fma_f32 v[124:125], v[126:127], v[114:115], v[124:125] op_sel:[0,0,1] op_sel_hi:[1,0,0]
	v_mov_b32_e32 v129, v125
	ds_load_2addr_b64 v[124:127], v118 offset0:35 offset1:36
	v_pk_add_f32 v[34:35], v[34:35], v[128:129] neg_lo:[0,1] neg_hi:[0,1]
	s_wait_dscnt 0x0
	v_pk_mul_f32 v[128:129], v[124:125], v[116:117] op_sel:[0,1]
	s_delay_alu instid0(VALU_DEP_1) | instskip(SKIP_1) | instid1(VALU_DEP_1)
	v_pk_fma_f32 v[130:131], v[124:125], v[114:115], v[128:129] op_sel:[0,0,1] op_sel_hi:[1,1,0] neg_lo:[0,0,1] neg_hi:[0,0,1]
	v_pk_fma_f32 v[124:125], v[124:125], v[114:115], v[128:129] op_sel:[0,0,1] op_sel_hi:[1,0,0]
	v_mov_b32_e32 v131, v125
	v_pk_mul_f32 v[124:125], v[126:127], v[116:117] op_sel:[0,1]
	s_delay_alu instid0(VALU_DEP_2) | instskip(NEXT) | instid1(VALU_DEP_2)
	v_pk_add_f32 v[30:31], v[30:31], v[130:131] neg_lo:[0,1] neg_hi:[0,1]
	v_pk_fma_f32 v[128:129], v[126:127], v[114:115], v[124:125] op_sel:[0,0,1] op_sel_hi:[1,1,0] neg_lo:[0,0,1] neg_hi:[0,0,1]
	v_pk_fma_f32 v[124:125], v[126:127], v[114:115], v[124:125] op_sel:[0,0,1] op_sel_hi:[1,0,0]
	s_delay_alu instid0(VALU_DEP_1) | instskip(SKIP_4) | instid1(VALU_DEP_1)
	v_mov_b32_e32 v129, v125
	ds_load_2addr_b64 v[124:127], v118 offset0:37 offset1:38
	v_pk_add_f32 v[86:87], v[86:87], v[128:129] neg_lo:[0,1] neg_hi:[0,1]
	s_wait_dscnt 0x0
	v_pk_mul_f32 v[128:129], v[124:125], v[116:117] op_sel:[0,1]
	v_pk_fma_f32 v[130:131], v[124:125], v[114:115], v[128:129] op_sel:[0,0,1] op_sel_hi:[1,1,0] neg_lo:[0,0,1] neg_hi:[0,0,1]
	v_pk_fma_f32 v[124:125], v[124:125], v[114:115], v[128:129] op_sel:[0,0,1] op_sel_hi:[1,0,0]
	v_dual_mul_f32 v128, v127, v117 :: v_dual_mov_b32 v124, v127
	s_delay_alu instid0(VALU_DEP_2) | instskip(NEXT) | instid1(VALU_DEP_2)
	v_dual_mov_b32 v131, v125 :: v_dual_mov_b32 v125, v126
	v_pk_fma_f32 v[128:129], v[126:127], v[92:93], v[128:129] op_sel_hi:[1,1,0] neg_lo:[0,0,1] neg_hi:[0,0,1]
	v_mul_f32_e32 v126, v127, v114
	s_delay_alu instid0(VALU_DEP_3) | instskip(NEXT) | instid1(VALU_DEP_2)
	v_pk_add_f32 v[24:25], v[24:25], v[130:131] neg_lo:[0,1] neg_hi:[0,1]
	v_pk_fma_f32 v[124:125], v[124:125], v[92:93], v[126:127] op_sel_hi:[1,1,0]
	s_delay_alu instid0(VALU_DEP_1) | instskip(SKIP_4) | instid1(VALU_DEP_1)
	v_mov_b32_e32 v129, v125
	ds_load_2addr_b64 v[124:127], v118 offset0:39 offset1:40
	v_pk_add_f32 v[26:27], v[26:27], v[128:129] neg_lo:[0,1] neg_hi:[0,1]
	s_wait_dscnt 0x0
	v_pk_mul_f32 v[128:129], v[124:125], v[116:117] op_sel:[0,1]
	v_pk_fma_f32 v[130:131], v[124:125], v[114:115], v[128:129] op_sel:[0,0,1] op_sel_hi:[1,1,0] neg_lo:[0,0,1] neg_hi:[0,0,1]
	v_pk_fma_f32 v[124:125], v[124:125], v[114:115], v[128:129] op_sel:[0,0,1] op_sel_hi:[1,0,0]
	s_delay_alu instid0(VALU_DEP_1) | instskip(SKIP_1) | instid1(VALU_DEP_1)
	v_mov_b32_e32 v131, v125
	v_pk_mul_f32 v[124:125], v[126:127], v[116:117] op_sel:[0,1]
	v_pk_fma_f32 v[128:129], v[126:127], v[114:115], v[124:125] op_sel:[0,0,1] op_sel_hi:[1,1,0] neg_lo:[0,0,1] neg_hi:[0,0,1]
	v_pk_fma_f32 v[124:125], v[126:127], v[114:115], v[124:125] op_sel:[0,0,1] op_sel_hi:[1,0,0]
	s_delay_alu instid0(VALU_DEP_1)
	v_mov_b32_e32 v129, v125
	ds_load_2addr_b64 v[124:127], v118 offset0:41 offset1:42
	v_pk_add_f32 v[22:23], v[22:23], v[130:131] neg_lo:[0,1] neg_hi:[0,1]
	v_pk_add_f32 v[84:85], v[84:85], v[128:129] neg_lo:[0,1] neg_hi:[0,1]
	s_wait_dscnt 0x0
	v_pk_mul_f32 v[128:129], v[124:125], v[116:117] op_sel:[0,1]
	s_delay_alu instid0(VALU_DEP_1) | instskip(SKIP_1) | instid1(VALU_DEP_1)
	v_pk_fma_f32 v[130:131], v[124:125], v[114:115], v[128:129] op_sel:[0,0,1] op_sel_hi:[1,1,0] neg_lo:[0,0,1] neg_hi:[0,0,1]
	v_pk_fma_f32 v[124:125], v[124:125], v[114:115], v[128:129] op_sel:[0,0,1] op_sel_hi:[1,0,0]
	v_mov_b32_e32 v131, v125
	v_pk_mul_f32 v[124:125], v[126:127], v[116:117] op_sel:[0,1]
	s_delay_alu instid0(VALU_DEP_1) | instskip(SKIP_1) | instid1(VALU_DEP_1)
	v_pk_fma_f32 v[128:129], v[126:127], v[114:115], v[124:125] op_sel:[0,0,1] op_sel_hi:[1,1,0] neg_lo:[0,0,1] neg_hi:[0,0,1]
	v_pk_fma_f32 v[124:125], v[126:127], v[114:115], v[124:125] op_sel:[0,0,1] op_sel_hi:[1,0,0]
	v_mov_b32_e32 v129, v125
	ds_load_2addr_b64 v[124:127], v118 offset0:43 offset1:44
	v_pk_add_f32 v[18:19], v[18:19], v[130:131] neg_lo:[0,1] neg_hi:[0,1]
	v_pk_add_f32 v[20:21], v[20:21], v[128:129] neg_lo:[0,1] neg_hi:[0,1]
	s_wait_dscnt 0x0
	v_dual_mul_f32 v128, v125, v117 :: v_dual_mul_f32 v130, v125, v114
	s_delay_alu instid0(VALU_DEP_1) | instskip(NEXT) | instid1(VALU_DEP_2)
	v_pk_fma_f32 v[128:129], v[124:125], v[92:93], v[128:129] op_sel_hi:[1,1,0] neg_lo:[0,0,1] neg_hi:[0,0,1]
	v_pk_fma_f32 v[124:125], v[124:125], v[92:93], v[130:131] op_sel:[1,0,0] op_sel_hi:[0,1,0]
	s_delay_alu instid0(VALU_DEP_1) | instskip(SKIP_1) | instid1(VALU_DEP_2)
	v_mov_b32_e32 v129, v125
	v_pk_mul_f32 v[124:125], v[126:127], v[116:117] op_sel:[0,1]
	v_pk_add_f32 v[16:17], v[16:17], v[128:129] neg_lo:[0,1] neg_hi:[0,1]
	s_delay_alu instid0(VALU_DEP_2) | instskip(SKIP_1) | instid1(VALU_DEP_1)
	v_pk_fma_f32 v[128:129], v[126:127], v[114:115], v[124:125] op_sel:[0,0,1] op_sel_hi:[1,1,0] neg_lo:[0,0,1] neg_hi:[0,0,1]
	v_pk_fma_f32 v[124:125], v[126:127], v[114:115], v[124:125] op_sel:[0,0,1] op_sel_hi:[1,0,0]
	v_mov_b32_e32 v129, v125
	ds_load_2addr_b64 v[124:127], v118 offset0:45 offset1:46
	v_pk_add_f32 v[82:83], v[82:83], v[128:129] neg_lo:[0,1] neg_hi:[0,1]
	s_wait_dscnt 0x0
	v_pk_mul_f32 v[128:129], v[124:125], v[116:117] op_sel:[0,1]
	s_delay_alu instid0(VALU_DEP_1) | instskip(SKIP_1) | instid1(VALU_DEP_1)
	v_pk_fma_f32 v[130:131], v[124:125], v[114:115], v[128:129] op_sel:[0,0,1] op_sel_hi:[1,1,0] neg_lo:[0,0,1] neg_hi:[0,0,1]
	v_pk_fma_f32 v[124:125], v[124:125], v[114:115], v[128:129] op_sel:[0,0,1] op_sel_hi:[1,0,0]
	v_mov_b32_e32 v131, v125
	v_pk_mul_f32 v[124:125], v[126:127], v[116:117] op_sel:[0,1]
	s_delay_alu instid0(VALU_DEP_2) | instskip(NEXT) | instid1(VALU_DEP_2)
	v_pk_add_f32 v[10:11], v[10:11], v[130:131] neg_lo:[0,1] neg_hi:[0,1]
	v_pk_fma_f32 v[128:129], v[126:127], v[114:115], v[124:125] op_sel:[0,0,1] op_sel_hi:[1,1,0] neg_lo:[0,0,1] neg_hi:[0,0,1]
	v_pk_fma_f32 v[124:125], v[126:127], v[114:115], v[124:125] op_sel:[0,0,1] op_sel_hi:[1,0,0]
	s_delay_alu instid0(VALU_DEP_1) | instskip(SKIP_4) | instid1(VALU_DEP_1)
	v_mov_b32_e32 v129, v125
	ds_load_2addr_b64 v[124:127], v118 offset0:47 offset1:48
	v_pk_add_f32 v[12:13], v[12:13], v[128:129] neg_lo:[0,1] neg_hi:[0,1]
	s_wait_dscnt 0x0
	v_pk_mul_f32 v[128:129], v[124:125], v[116:117] op_sel:[0,1]
	v_pk_fma_f32 v[130:131], v[124:125], v[114:115], v[128:129] op_sel:[0,0,1] op_sel_hi:[1,1,0] neg_lo:[0,0,1] neg_hi:[0,0,1]
	v_pk_fma_f32 v[124:125], v[124:125], v[114:115], v[128:129] op_sel:[0,0,1] op_sel_hi:[1,0,0]
	v_dual_mul_f32 v128, v127, v117 :: v_dual_mov_b32 v124, v127
	s_delay_alu instid0(VALU_DEP_2) | instskip(NEXT) | instid1(VALU_DEP_2)
	v_dual_mov_b32 v131, v125 :: v_dual_mov_b32 v125, v126
	v_pk_fma_f32 v[128:129], v[126:127], v[92:93], v[128:129] op_sel_hi:[1,1,0] neg_lo:[0,0,1] neg_hi:[0,0,1]
	v_mul_f32_e32 v126, v127, v114
	s_delay_alu instid0(VALU_DEP_3) | instskip(NEXT) | instid1(VALU_DEP_2)
	v_pk_add_f32 v[8:9], v[8:9], v[130:131] neg_lo:[0,1] neg_hi:[0,1]
	v_pk_fma_f32 v[124:125], v[124:125], v[92:93], v[126:127] op_sel_hi:[1,1,0]
	s_delay_alu instid0(VALU_DEP_1) | instskip(SKIP_4) | instid1(VALU_DEP_1)
	v_mov_b32_e32 v129, v125
	ds_load_2addr_b64 v[124:127], v118 offset0:49 offset1:50
	v_pk_add_f32 v[66:67], v[66:67], v[128:129] neg_lo:[0,1] neg_hi:[0,1]
	s_wait_dscnt 0x0
	v_pk_mul_f32 v[128:129], v[124:125], v[116:117] op_sel:[0,1]
	v_pk_fma_f32 v[130:131], v[124:125], v[114:115], v[128:129] op_sel:[0,0,1] op_sel_hi:[1,1,0] neg_lo:[0,0,1] neg_hi:[0,0,1]
	v_pk_fma_f32 v[124:125], v[124:125], v[114:115], v[128:129] op_sel:[0,0,1] op_sel_hi:[1,0,0]
	s_delay_alu instid0(VALU_DEP_1) | instskip(SKIP_1) | instid1(VALU_DEP_1)
	v_mov_b32_e32 v131, v125
	v_pk_mul_f32 v[124:125], v[126:127], v[116:117] op_sel:[0,1]
	v_pk_fma_f32 v[128:129], v[126:127], v[114:115], v[124:125] op_sel:[0,0,1] op_sel_hi:[1,1,0] neg_lo:[0,0,1] neg_hi:[0,0,1]
	v_pk_fma_f32 v[124:125], v[126:127], v[114:115], v[124:125] op_sel:[0,0,1] op_sel_hi:[1,0,0]
	s_delay_alu instid0(VALU_DEP_1)
	v_mov_b32_e32 v129, v125
	ds_load_2addr_b64 v[124:127], v118 offset0:51 offset1:52
	v_pk_add_f32 v[6:7], v[6:7], v[130:131] neg_lo:[0,1] neg_hi:[0,1]
	v_pk_add_f32 v[46:47], v[46:47], v[128:129] neg_lo:[0,1] neg_hi:[0,1]
	s_wait_dscnt 0x0
	v_pk_mul_f32 v[128:129], v[124:125], v[116:117] op_sel:[0,1]
	s_delay_alu instid0(VALU_DEP_1) | instskip(SKIP_1) | instid1(VALU_DEP_1)
	v_pk_fma_f32 v[130:131], v[124:125], v[114:115], v[128:129] op_sel:[0,0,1] op_sel_hi:[1,1,0] neg_lo:[0,0,1] neg_hi:[0,0,1]
	v_pk_fma_f32 v[124:125], v[124:125], v[114:115], v[128:129] op_sel:[0,0,1] op_sel_hi:[1,0,0]
	v_mov_b32_e32 v131, v125
	v_pk_mul_f32 v[124:125], v[126:127], v[116:117] op_sel:[0,1]
	s_delay_alu instid0(VALU_DEP_1) | instskip(SKIP_1) | instid1(VALU_DEP_1)
	v_pk_fma_f32 v[128:129], v[126:127], v[114:115], v[124:125] op_sel:[0,0,1] op_sel_hi:[1,1,0] neg_lo:[0,0,1] neg_hi:[0,0,1]
	v_pk_fma_f32 v[124:125], v[126:127], v[114:115], v[124:125] op_sel:[0,0,1] op_sel_hi:[1,0,0]
	v_mov_b32_e32 v129, v125
	ds_load_b64 v[124:125], v118 offset:424
	v_pk_add_f32 v[28:29], v[28:29], v[130:131] neg_lo:[0,1] neg_hi:[0,1]
	v_pk_add_f32 v[14:15], v[14:15], v[128:129] neg_lo:[0,1] neg_hi:[0,1]
	s_wait_dscnt 0x0
	v_pk_mul_f32 v[116:117], v[124:125], v[116:117] op_sel:[0,1]
	s_delay_alu instid0(VALU_DEP_1) | instskip(SKIP_1) | instid1(VALU_DEP_1)
	v_pk_fma_f32 v[126:127], v[124:125], v[114:115], v[116:117] op_sel:[0,0,1] op_sel_hi:[1,1,0] neg_lo:[0,0,1] neg_hi:[0,0,1]
	v_pk_fma_f32 v[114:115], v[124:125], v[114:115], v[116:117] op_sel:[0,0,1] op_sel_hi:[1,0,0]
	v_mov_b32_e32 v127, v115
	s_delay_alu instid0(VALU_DEP_1)
	v_pk_add_f32 v[112:113], v[112:113], v[126:127] neg_lo:[0,1] neg_hi:[0,1]
.LBB106_104:
	s_or_b32 exec_lo, exec_lo, s0
	v_lshl_add_u32 v114, v122, 3, v118
	s_barrier_signal -1
	s_barrier_wait -1
	ds_store_b64 v114, v[44:45]
	s_wait_dscnt 0x0
	s_barrier_signal -1
	s_barrier_wait -1
	ds_load_b64 v[116:117], v118 offset:40
	v_mov_b32_e32 v114, 5
	s_cmp_lt_i32 s18, 7
	s_cbranch_scc1 .LBB106_107
; %bb.105:
	v_add3_u32 v115, v119, 0, 48
	v_mov_b32_e32 v114, 5
	s_mov_b32 s0, 6
.LBB106_106:                            ; =>This Inner Loop Header: Depth=1
	ds_load_b64 v[124:125], v115
	s_wait_dscnt 0x1
	v_cmp_gt_f32_e32 vcc_lo, 0, v116
	v_cndmask_b32_e64 v126, v116, -v116, vcc_lo
	v_cmp_gt_f32_e32 vcc_lo, 0, v117
	v_cndmask_b32_e64 v128, v117, -v117, vcc_lo
	s_wait_dscnt 0x0
	v_cmp_gt_f32_e32 vcc_lo, 0, v124
	v_cndmask_b32_e64 v127, v124, -v124, vcc_lo
	v_cmp_gt_f32_e32 vcc_lo, 0, v125
	v_cndmask_b32_e64 v129, v125, -v125, vcc_lo
	s_delay_alu instid0(VALU_DEP_1) | instskip(NEXT) | instid1(VALU_DEP_1)
	v_pk_add_f32 v[126:127], v[126:127], v[128:129]
	v_cmp_lt_f32_e32 vcc_lo, v126, v127
	v_dual_add_nc_u32 v115, 8, v115 :: v_dual_cndmask_b32 v117, v117, v125, vcc_lo
	v_cndmask_b32_e32 v116, v116, v124, vcc_lo
	v_cndmask_b32_e64 v114, v114, s0, vcc_lo
	s_add_co_i32 s0, s0, 1
	s_delay_alu instid0(SALU_CYCLE_1)
	s_cmp_lg_u32 s18, s0
	s_cbranch_scc1 .LBB106_106
.LBB106_107:
	s_wait_dscnt 0x0
	v_cmp_eq_f32_e32 vcc_lo, 0, v116
	v_cmp_eq_f32_e64 s0, 0, v117
	s_and_b32 s0, vcc_lo, s0
	s_delay_alu instid0(SALU_CYCLE_1) | instskip(NEXT) | instid1(SALU_CYCLE_1)
	s_and_saveexec_b32 s1, s0
	s_xor_b32 s0, exec_lo, s1
; %bb.108:
	v_cmp_ne_u32_e32 vcc_lo, 0, v120
	v_cndmask_b32_e32 v120, 6, v120, vcc_lo
; %bb.109:
	s_and_not1_saveexec_b32 s0, s0
	s_cbranch_execz .LBB106_115
; %bb.110:
	v_cmp_ngt_f32_e64 s1, |v116|, |v117|
	s_and_saveexec_b32 s12, s1
	s_delay_alu instid0(SALU_CYCLE_1)
	s_xor_b32 s1, exec_lo, s12
	s_cbranch_execz .LBB106_112
; %bb.111:
	v_div_scale_f32 v115, null, v117, v117, v116
	v_div_scale_f32 v125, vcc_lo, v116, v117, v116
	s_delay_alu instid0(VALU_DEP_2) | instskip(SKIP_1) | instid1(TRANS32_DEP_1)
	v_rcp_f32_e32 v123, v115
	v_nop
	v_fma_f32 v124, -v115, v123, 1.0
	s_delay_alu instid0(VALU_DEP_1) | instskip(NEXT) | instid1(VALU_DEP_1)
	v_fmac_f32_e32 v123, v124, v123
	v_mul_f32_e32 v124, v125, v123
	s_delay_alu instid0(VALU_DEP_1) | instskip(NEXT) | instid1(VALU_DEP_1)
	v_fma_f32 v126, -v115, v124, v125
	v_fmac_f32_e32 v124, v126, v123
	s_delay_alu instid0(VALU_DEP_1) | instskip(NEXT) | instid1(VALU_DEP_1)
	v_fma_f32 v115, -v115, v124, v125
	v_div_fmas_f32 v115, v115, v123, v124
	s_delay_alu instid0(VALU_DEP_1) | instskip(NEXT) | instid1(VALU_DEP_1)
	v_div_fixup_f32 v115, v115, v117, v116
	v_fmac_f32_e32 v117, v116, v115
	s_delay_alu instid0(VALU_DEP_1) | instskip(SKIP_1) | instid1(VALU_DEP_2)
	v_div_scale_f32 v116, null, v117, v117, 1.0
	v_div_scale_f32 v125, vcc_lo, 1.0, v117, 1.0
	v_rcp_f32_e32 v123, v116
	v_nop
	s_delay_alu instid0(TRANS32_DEP_1) | instskip(NEXT) | instid1(VALU_DEP_1)
	v_fma_f32 v124, -v116, v123, 1.0
	v_fmac_f32_e32 v123, v124, v123
	s_delay_alu instid0(VALU_DEP_1) | instskip(NEXT) | instid1(VALU_DEP_1)
	v_mul_f32_e32 v124, v125, v123
	v_fma_f32 v126, -v116, v124, v125
	s_delay_alu instid0(VALU_DEP_1) | instskip(NEXT) | instid1(VALU_DEP_1)
	v_fmac_f32_e32 v124, v126, v123
	v_fma_f32 v116, -v116, v124, v125
	s_delay_alu instid0(VALU_DEP_1) | instskip(NEXT) | instid1(VALU_DEP_1)
	v_div_fmas_f32 v116, v116, v123, v124
	v_div_fixup_f32 v117, v116, v117, 1.0
	s_delay_alu instid0(VALU_DEP_1)
	v_mul_f32_e32 v116, v115, v117
	v_xor_b32_e32 v117, 0x80000000, v117
.LBB106_112:
	s_and_not1_saveexec_b32 s1, s1
	s_cbranch_execz .LBB106_114
; %bb.113:
	s_delay_alu instid0(VALU_DEP_1) | instskip(SKIP_1) | instid1(VALU_DEP_2)
	v_div_scale_f32 v115, null, v116, v116, v117
	v_div_scale_f32 v125, vcc_lo, v117, v116, v117
	v_rcp_f32_e32 v123, v115
	v_nop
	s_delay_alu instid0(TRANS32_DEP_1) | instskip(NEXT) | instid1(VALU_DEP_1)
	v_fma_f32 v124, -v115, v123, 1.0
	v_fmac_f32_e32 v123, v124, v123
	s_delay_alu instid0(VALU_DEP_1) | instskip(NEXT) | instid1(VALU_DEP_1)
	v_mul_f32_e32 v124, v125, v123
	v_fma_f32 v126, -v115, v124, v125
	s_delay_alu instid0(VALU_DEP_1) | instskip(NEXT) | instid1(VALU_DEP_1)
	v_fmac_f32_e32 v124, v126, v123
	v_fma_f32 v115, -v115, v124, v125
	s_delay_alu instid0(VALU_DEP_1) | instskip(NEXT) | instid1(VALU_DEP_1)
	v_div_fmas_f32 v115, v115, v123, v124
	v_div_fixup_f32 v115, v115, v116, v117
	s_delay_alu instid0(VALU_DEP_1) | instskip(NEXT) | instid1(VALU_DEP_1)
	v_fmac_f32_e32 v116, v117, v115
	v_div_scale_f32 v117, null, v116, v116, 1.0
	s_delay_alu instid0(VALU_DEP_1) | instskip(SKIP_1) | instid1(TRANS32_DEP_1)
	v_rcp_f32_e32 v123, v117
	v_nop
	v_fma_f32 v124, -v117, v123, 1.0
	s_delay_alu instid0(VALU_DEP_1) | instskip(SKIP_1) | instid1(VALU_DEP_1)
	v_fmac_f32_e32 v123, v124, v123
	v_div_scale_f32 v124, vcc_lo, 1.0, v116, 1.0
	v_mul_f32_e32 v125, v124, v123
	s_delay_alu instid0(VALU_DEP_1) | instskip(NEXT) | instid1(VALU_DEP_1)
	v_fma_f32 v126, -v117, v125, v124
	v_fmac_f32_e32 v125, v126, v123
	s_delay_alu instid0(VALU_DEP_1) | instskip(NEXT) | instid1(VALU_DEP_1)
	v_fma_f32 v117, -v117, v125, v124
	v_div_fmas_f32 v117, v117, v123, v125
	s_delay_alu instid0(VALU_DEP_1) | instskip(NEXT) | instid1(VALU_DEP_1)
	v_div_fixup_f32 v116, v117, v116, 1.0
	v_mul_f32_e64 v117, v115, -v116
.LBB106_114:
	s_or_b32 exec_lo, exec_lo, s1
.LBB106_115:
	s_delay_alu instid0(SALU_CYCLE_1) | instskip(NEXT) | instid1(SALU_CYCLE_1)
	s_or_b32 exec_lo, exec_lo, s0
	s_mov_b32 s0, exec_lo
	v_cmpx_ne_u32_e64 v122, v114
	s_xor_b32 s0, exec_lo, s0
	s_cbranch_execz .LBB106_121
; %bb.116:
	s_mov_b32 s1, exec_lo
	v_cmpx_eq_u32_e32 5, v122
	s_cbranch_execz .LBB106_120
; %bb.117:
	v_cmp_ne_u32_e32 vcc_lo, 5, v114
	s_xor_b32 s12, s16, -1
	s_delay_alu instid0(SALU_CYCLE_1) | instskip(NEXT) | instid1(SALU_CYCLE_1)
	s_and_b32 s13, s12, vcc_lo
	s_and_saveexec_b32 s12, s13
	s_cbranch_execz .LBB106_119
; %bb.118:
	v_ashrrev_i32_e32 v115, 31, v114
	s_delay_alu instid0(VALU_DEP_1)
	v_lshl_add_u64 v[122:123], v[114:115], 2, v[4:5]
	s_clause 0x1
	global_load_b32 v115, v[122:123], off
	global_load_b32 v121, v[4:5], off offset:20
	s_wait_loadcnt 0x1
	global_store_b32 v[4:5], v115, off offset:20
	s_wait_loadcnt 0x0
	global_store_b32 v[122:123], v121, off
.LBB106_119:
	s_wait_xcnt 0x0
	s_or_b32 exec_lo, exec_lo, s12
	v_dual_mov_b32 v122, v114 :: v_dual_mov_b32 v121, v114
.LBB106_120:
	s_or_b32 exec_lo, exec_lo, s1
.LBB106_121:
	s_and_not1_saveexec_b32 s0, s0
	s_cbranch_execz .LBB106_123
; %bb.122:
	v_dual_mov_b32 v114, v48 :: v_dual_mov_b32 v115, v49
	v_dual_mov_b32 v122, v42 :: v_dual_mov_b32 v123, v43
	;; [unrolled: 1-line block ×4, first 2 shown]
	ds_store_2addr_b64 v118, v[114:115], v[122:123] offset0:6 offset1:7
	ds_store_2addr_b64 v118, v[124:125], v[126:127] offset0:8 offset1:9
	v_dual_mov_b32 v114, v80 :: v_dual_mov_b32 v115, v81
	v_dual_mov_b32 v122, v76 :: v_dual_mov_b32 v123, v77
	v_dual_mov_b32 v124, v100 :: v_dual_mov_b32 v125, v101
	v_dual_mov_b32 v126, v72 :: v_dual_mov_b32 v127, v73
	v_dual_mov_b32 v128, v74 :: v_dual_mov_b32 v129, v75
	v_dual_mov_b32 v130, v70 :: v_dual_mov_b32 v131, v71
	v_dual_mov_b32 v132, v98 :: v_dual_mov_b32 v133, v99
	v_dual_mov_b32 v134, v64 :: v_dual_mov_b32 v135, v65
	v_dual_mov_b32 v136, v68 :: v_dual_mov_b32 v137, v69
	v_dual_mov_b32 v138, v62 :: v_dual_mov_b32 v139, v63
	v_dual_mov_b32 v140, v96 :: v_dual_mov_b32 v141, v97
	v_dual_mov_b32 v142, v58 :: v_dual_mov_b32 v143, v59
	ds_store_2addr_b64 v118, v[114:115], v[122:123] offset0:10 offset1:11
	ds_store_2addr_b64 v118, v[124:125], v[126:127] offset0:12 offset1:13
	ds_store_2addr_b64 v118, v[128:129], v[130:131] offset0:14 offset1:15
	ds_store_2addr_b64 v118, v[132:133], v[134:135] offset0:16 offset1:17
	ds_store_2addr_b64 v118, v[136:137], v[138:139] offset0:18 offset1:19
	ds_store_2addr_b64 v118, v[140:141], v[142:143] offset0:20 offset1:21
	v_dual_mov_b32 v114, v60 :: v_dual_mov_b32 v115, v61
	v_dual_mov_b32 v122, v56 :: v_dual_mov_b32 v123, v57
	v_dual_mov_b32 v124, v94 :: v_dual_mov_b32 v125, v95
	v_dual_mov_b32 v126, v52 :: v_dual_mov_b32 v127, v53
	v_dual_mov_b32 v128, v54 :: v_dual_mov_b32 v129, v55
	v_dual_mov_b32 v130, v50 :: v_dual_mov_b32 v131, v51
	v_dual_mov_b32 v132, v90 :: v_dual_mov_b32 v133, v91
	v_dual_mov_b32 v134, v38 :: v_dual_mov_b32 v135, v39
	v_dual_mov_b32 v136, v40 :: v_dual_mov_b32 v137, v41
	v_dual_mov_b32 v138, v36 :: v_dual_mov_b32 v139, v37
	v_dual_mov_b32 v140, v88 :: v_dual_mov_b32 v141, v89
	v_dual_mov_b32 v142, v32 :: v_dual_mov_b32 v143, v33
	ds_store_2addr_b64 v118, v[114:115], v[122:123] offset0:22 offset1:23
	ds_store_2addr_b64 v118, v[124:125], v[126:127] offset0:24 offset1:25
	ds_store_2addr_b64 v118, v[128:129], v[130:131] offset0:26 offset1:27
	ds_store_2addr_b64 v118, v[132:133], v[134:135] offset0:28 offset1:29
	;; [unrolled: 18-line block ×3, first 2 shown]
	ds_store_2addr_b64 v118, v[136:137], v[138:139] offset0:42 offset1:43
	ds_store_2addr_b64 v118, v[140:141], v[142:143] offset0:44 offset1:45
	v_dual_mov_b32 v114, v12 :: v_dual_mov_b32 v115, v13
	v_dual_mov_b32 v124, v8 :: v_dual_mov_b32 v125, v9
	;; [unrolled: 1-line block ×7, first 2 shown]
	v_mov_b32_e32 v135, v15
	ds_store_2addr_b64 v118, v[114:115], v[124:125] offset0:46 offset1:47
	ds_store_2addr_b64 v118, v[126:127], v[128:129] offset0:48 offset1:49
	;; [unrolled: 1-line block ×4, first 2 shown]
.LBB106_123:
	s_or_b32 exec_lo, exec_lo, s0
	s_delay_alu instid0(SALU_CYCLE_1)
	s_mov_b32 s0, exec_lo
	s_wait_storecnt_dscnt 0x0
	s_barrier_signal -1
	s_barrier_wait -1
	v_cmpx_lt_i32_e32 5, v122
	s_cbranch_execz .LBB106_125
; %bb.124:
	v_pk_mul_f32 v[124:125], v[116:117], v[44:45] op_sel:[1,1] op_sel_hi:[0,1]
	s_delay_alu instid0(VALU_DEP_1)
	v_pk_fma_f32 v[114:115], v[116:117], v[44:45], v[124:125] op_sel_hi:[1,0,1] neg_lo:[0,0,1] neg_hi:[0,0,1]
	v_pk_fma_f32 v[116:117], v[116:117], v[44:45], v[124:125] op_sel_hi:[1,0,1]
	ds_load_2addr_b64 v[124:127], v118 offset0:6 offset1:7
	v_dual_mov_b32 v44, v114 :: v_dual_mov_b32 v45, v117
	s_wait_dscnt 0x0
	v_pk_mul_f32 v[128:129], v[124:125], v[116:117] op_sel:[0,1]
	s_delay_alu instid0(VALU_DEP_1) | instskip(SKIP_1) | instid1(VALU_DEP_1)
	v_pk_fma_f32 v[130:131], v[124:125], v[114:115], v[128:129] op_sel:[0,0,1] op_sel_hi:[1,1,0] neg_lo:[0,0,1] neg_hi:[0,0,1]
	v_pk_fma_f32 v[124:125], v[124:125], v[114:115], v[128:129] op_sel:[0,0,1] op_sel_hi:[1,0,0]
	v_mov_b32_e32 v131, v125
	v_pk_mul_f32 v[124:125], v[126:127], v[116:117] op_sel:[0,1]
	s_delay_alu instid0(VALU_DEP_1) | instskip(SKIP_1) | instid1(VALU_DEP_1)
	v_pk_fma_f32 v[128:129], v[126:127], v[114:115], v[124:125] op_sel:[0,0,1] op_sel_hi:[1,1,0] neg_lo:[0,0,1] neg_hi:[0,0,1]
	v_pk_fma_f32 v[124:125], v[126:127], v[114:115], v[124:125] op_sel:[0,0,1] op_sel_hi:[1,0,0]
	v_mov_b32_e32 v129, v125
	ds_load_2addr_b64 v[124:127], v118 offset0:8 offset1:9
	v_pk_add_f32 v[48:49], v[48:49], v[130:131] neg_lo:[0,1] neg_hi:[0,1]
	v_pk_add_f32 v[42:43], v[42:43], v[128:129] neg_lo:[0,1] neg_hi:[0,1]
	s_wait_dscnt 0x0
	v_pk_mul_f32 v[128:129], v[124:125], v[116:117] op_sel:[0,1]
	s_delay_alu instid0(VALU_DEP_1) | instskip(SKIP_2) | instid1(VALU_DEP_2)
	v_pk_fma_f32 v[130:131], v[124:125], v[114:115], v[128:129] op_sel:[0,0,1] op_sel_hi:[1,1,0] neg_lo:[0,0,1] neg_hi:[0,0,1]
	v_pk_fma_f32 v[124:125], v[124:125], v[114:115], v[128:129] op_sel:[0,0,1] op_sel_hi:[1,0,0]
	v_dual_mul_f32 v128, v127, v117 :: v_dual_mov_b32 v124, v127
	v_dual_mov_b32 v131, v125 :: v_dual_mov_b32 v125, v126
	s_delay_alu instid0(VALU_DEP_2) | instskip(SKIP_1) | instid1(VALU_DEP_3)
	v_pk_fma_f32 v[128:129], v[126:127], v[44:45], v[128:129] op_sel_hi:[1,1,0] neg_lo:[0,0,1] neg_hi:[0,0,1]
	v_mul_f32_e32 v126, v127, v114
	v_pk_add_f32 v[102:103], v[102:103], v[130:131] neg_lo:[0,1] neg_hi:[0,1]
	s_delay_alu instid0(VALU_DEP_2) | instskip(NEXT) | instid1(VALU_DEP_1)
	v_pk_fma_f32 v[124:125], v[124:125], v[44:45], v[126:127] op_sel_hi:[1,1,0]
	v_mov_b32_e32 v129, v125
	ds_load_2addr_b64 v[124:127], v118 offset0:10 offset1:11
	v_pk_add_f32 v[78:79], v[78:79], v[128:129] neg_lo:[0,1] neg_hi:[0,1]
	s_wait_dscnt 0x0
	v_pk_mul_f32 v[128:129], v[124:125], v[116:117] op_sel:[0,1]
	s_delay_alu instid0(VALU_DEP_1) | instskip(SKIP_1) | instid1(VALU_DEP_1)
	v_pk_fma_f32 v[130:131], v[124:125], v[114:115], v[128:129] op_sel:[0,0,1] op_sel_hi:[1,1,0] neg_lo:[0,0,1] neg_hi:[0,0,1]
	v_pk_fma_f32 v[124:125], v[124:125], v[114:115], v[128:129] op_sel:[0,0,1] op_sel_hi:[1,0,0]
	v_mov_b32_e32 v131, v125
	v_pk_mul_f32 v[124:125], v[126:127], v[116:117] op_sel:[0,1]
	s_delay_alu instid0(VALU_DEP_1) | instskip(SKIP_1) | instid1(VALU_DEP_1)
	v_pk_fma_f32 v[128:129], v[126:127], v[114:115], v[124:125] op_sel:[0,0,1] op_sel_hi:[1,1,0] neg_lo:[0,0,1] neg_hi:[0,0,1]
	v_pk_fma_f32 v[124:125], v[126:127], v[114:115], v[124:125] op_sel:[0,0,1] op_sel_hi:[1,0,0]
	v_mov_b32_e32 v129, v125
	ds_load_2addr_b64 v[124:127], v118 offset0:12 offset1:13
	v_pk_add_f32 v[80:81], v[80:81], v[130:131] neg_lo:[0,1] neg_hi:[0,1]
	v_pk_add_f32 v[76:77], v[76:77], v[128:129] neg_lo:[0,1] neg_hi:[0,1]
	s_wait_dscnt 0x0
	v_pk_mul_f32 v[128:129], v[124:125], v[116:117] op_sel:[0,1]
	s_delay_alu instid0(VALU_DEP_1) | instskip(SKIP_1) | instid1(VALU_DEP_1)
	v_pk_fma_f32 v[130:131], v[124:125], v[114:115], v[128:129] op_sel:[0,0,1] op_sel_hi:[1,1,0] neg_lo:[0,0,1] neg_hi:[0,0,1]
	v_pk_fma_f32 v[124:125], v[124:125], v[114:115], v[128:129] op_sel:[0,0,1] op_sel_hi:[1,0,0]
	v_mov_b32_e32 v131, v125
	v_pk_mul_f32 v[124:125], v[126:127], v[116:117] op_sel:[0,1]
	s_delay_alu instid0(VALU_DEP_1) | instskip(SKIP_1) | instid1(VALU_DEP_1)
	v_pk_fma_f32 v[128:129], v[126:127], v[114:115], v[124:125] op_sel:[0,0,1] op_sel_hi:[1,1,0] neg_lo:[0,0,1] neg_hi:[0,0,1]
	v_pk_fma_f32 v[124:125], v[126:127], v[114:115], v[124:125] op_sel:[0,0,1] op_sel_hi:[1,0,0]
	v_mov_b32_e32 v129, v125
	ds_load_2addr_b64 v[124:127], v118 offset0:14 offset1:15
	v_pk_add_f32 v[100:101], v[100:101], v[130:131] neg_lo:[0,1] neg_hi:[0,1]
	v_pk_add_f32 v[72:73], v[72:73], v[128:129] neg_lo:[0,1] neg_hi:[0,1]
	s_wait_dscnt 0x0
	v_dual_mul_f32 v128, v125, v117 :: v_dual_mul_f32 v130, v125, v114
	s_delay_alu instid0(VALU_DEP_1) | instskip(NEXT) | instid1(VALU_DEP_2)
	v_pk_fma_f32 v[128:129], v[124:125], v[44:45], v[128:129] op_sel_hi:[1,1,0] neg_lo:[0,0,1] neg_hi:[0,0,1]
	v_pk_fma_f32 v[124:125], v[124:125], v[44:45], v[130:131] op_sel:[1,0,0] op_sel_hi:[0,1,0]
	s_delay_alu instid0(VALU_DEP_1) | instskip(SKIP_1) | instid1(VALU_DEP_2)
	v_mov_b32_e32 v129, v125
	v_pk_mul_f32 v[124:125], v[126:127], v[116:117] op_sel:[0,1]
	v_pk_add_f32 v[74:75], v[74:75], v[128:129] neg_lo:[0,1] neg_hi:[0,1]
	s_delay_alu instid0(VALU_DEP_2) | instskip(SKIP_1) | instid1(VALU_DEP_1)
	v_pk_fma_f32 v[128:129], v[126:127], v[114:115], v[124:125] op_sel:[0,0,1] op_sel_hi:[1,1,0] neg_lo:[0,0,1] neg_hi:[0,0,1]
	v_pk_fma_f32 v[124:125], v[126:127], v[114:115], v[124:125] op_sel:[0,0,1] op_sel_hi:[1,0,0]
	v_mov_b32_e32 v129, v125
	ds_load_2addr_b64 v[124:127], v118 offset0:16 offset1:17
	v_pk_add_f32 v[70:71], v[70:71], v[128:129] neg_lo:[0,1] neg_hi:[0,1]
	s_wait_dscnt 0x0
	v_pk_mul_f32 v[128:129], v[124:125], v[116:117] op_sel:[0,1]
	s_delay_alu instid0(VALU_DEP_1) | instskip(SKIP_1) | instid1(VALU_DEP_1)
	v_pk_fma_f32 v[130:131], v[124:125], v[114:115], v[128:129] op_sel:[0,0,1] op_sel_hi:[1,1,0] neg_lo:[0,0,1] neg_hi:[0,0,1]
	v_pk_fma_f32 v[124:125], v[124:125], v[114:115], v[128:129] op_sel:[0,0,1] op_sel_hi:[1,0,0]
	v_mov_b32_e32 v131, v125
	v_pk_mul_f32 v[124:125], v[126:127], v[116:117] op_sel:[0,1]
	s_delay_alu instid0(VALU_DEP_2) | instskip(NEXT) | instid1(VALU_DEP_2)
	v_pk_add_f32 v[98:99], v[98:99], v[130:131] neg_lo:[0,1] neg_hi:[0,1]
	v_pk_fma_f32 v[128:129], v[126:127], v[114:115], v[124:125] op_sel:[0,0,1] op_sel_hi:[1,1,0] neg_lo:[0,0,1] neg_hi:[0,0,1]
	v_pk_fma_f32 v[124:125], v[126:127], v[114:115], v[124:125] op_sel:[0,0,1] op_sel_hi:[1,0,0]
	s_delay_alu instid0(VALU_DEP_1) | instskip(SKIP_4) | instid1(VALU_DEP_1)
	v_mov_b32_e32 v129, v125
	ds_load_2addr_b64 v[124:127], v118 offset0:18 offset1:19
	v_pk_add_f32 v[64:65], v[64:65], v[128:129] neg_lo:[0,1] neg_hi:[0,1]
	s_wait_dscnt 0x0
	v_pk_mul_f32 v[128:129], v[124:125], v[116:117] op_sel:[0,1]
	v_pk_fma_f32 v[130:131], v[124:125], v[114:115], v[128:129] op_sel:[0,0,1] op_sel_hi:[1,1,0] neg_lo:[0,0,1] neg_hi:[0,0,1]
	v_pk_fma_f32 v[124:125], v[124:125], v[114:115], v[128:129] op_sel:[0,0,1] op_sel_hi:[1,0,0]
	v_dual_mul_f32 v128, v127, v117 :: v_dual_mov_b32 v124, v127
	s_delay_alu instid0(VALU_DEP_2) | instskip(NEXT) | instid1(VALU_DEP_2)
	v_dual_mov_b32 v131, v125 :: v_dual_mov_b32 v125, v126
	v_pk_fma_f32 v[128:129], v[126:127], v[44:45], v[128:129] op_sel_hi:[1,1,0] neg_lo:[0,0,1] neg_hi:[0,0,1]
	v_mul_f32_e32 v126, v127, v114
	s_delay_alu instid0(VALU_DEP_3) | instskip(NEXT) | instid1(VALU_DEP_2)
	v_pk_add_f32 v[68:69], v[68:69], v[130:131] neg_lo:[0,1] neg_hi:[0,1]
	v_pk_fma_f32 v[124:125], v[124:125], v[44:45], v[126:127] op_sel_hi:[1,1,0]
	s_delay_alu instid0(VALU_DEP_1) | instskip(SKIP_4) | instid1(VALU_DEP_1)
	v_mov_b32_e32 v129, v125
	ds_load_2addr_b64 v[124:127], v118 offset0:20 offset1:21
	v_pk_add_f32 v[62:63], v[62:63], v[128:129] neg_lo:[0,1] neg_hi:[0,1]
	s_wait_dscnt 0x0
	v_pk_mul_f32 v[128:129], v[124:125], v[116:117] op_sel:[0,1]
	v_pk_fma_f32 v[130:131], v[124:125], v[114:115], v[128:129] op_sel:[0,0,1] op_sel_hi:[1,1,0] neg_lo:[0,0,1] neg_hi:[0,0,1]
	v_pk_fma_f32 v[124:125], v[124:125], v[114:115], v[128:129] op_sel:[0,0,1] op_sel_hi:[1,0,0]
	s_delay_alu instid0(VALU_DEP_1) | instskip(SKIP_1) | instid1(VALU_DEP_1)
	v_mov_b32_e32 v131, v125
	v_pk_mul_f32 v[124:125], v[126:127], v[116:117] op_sel:[0,1]
	v_pk_fma_f32 v[128:129], v[126:127], v[114:115], v[124:125] op_sel:[0,0,1] op_sel_hi:[1,1,0] neg_lo:[0,0,1] neg_hi:[0,0,1]
	v_pk_fma_f32 v[124:125], v[126:127], v[114:115], v[124:125] op_sel:[0,0,1] op_sel_hi:[1,0,0]
	s_delay_alu instid0(VALU_DEP_1)
	v_mov_b32_e32 v129, v125
	ds_load_2addr_b64 v[124:127], v118 offset0:22 offset1:23
	v_pk_add_f32 v[96:97], v[96:97], v[130:131] neg_lo:[0,1] neg_hi:[0,1]
	v_pk_add_f32 v[58:59], v[58:59], v[128:129] neg_lo:[0,1] neg_hi:[0,1]
	s_wait_dscnt 0x0
	v_pk_mul_f32 v[128:129], v[124:125], v[116:117] op_sel:[0,1]
	s_delay_alu instid0(VALU_DEP_1) | instskip(SKIP_1) | instid1(VALU_DEP_1)
	v_pk_fma_f32 v[130:131], v[124:125], v[114:115], v[128:129] op_sel:[0,0,1] op_sel_hi:[1,1,0] neg_lo:[0,0,1] neg_hi:[0,0,1]
	v_pk_fma_f32 v[124:125], v[124:125], v[114:115], v[128:129] op_sel:[0,0,1] op_sel_hi:[1,0,0]
	v_mov_b32_e32 v131, v125
	v_pk_mul_f32 v[124:125], v[126:127], v[116:117] op_sel:[0,1]
	s_delay_alu instid0(VALU_DEP_1) | instskip(SKIP_1) | instid1(VALU_DEP_1)
	v_pk_fma_f32 v[128:129], v[126:127], v[114:115], v[124:125] op_sel:[0,0,1] op_sel_hi:[1,1,0] neg_lo:[0,0,1] neg_hi:[0,0,1]
	v_pk_fma_f32 v[124:125], v[126:127], v[114:115], v[124:125] op_sel:[0,0,1] op_sel_hi:[1,0,0]
	v_mov_b32_e32 v129, v125
	ds_load_2addr_b64 v[124:127], v118 offset0:24 offset1:25
	v_pk_add_f32 v[60:61], v[60:61], v[130:131] neg_lo:[0,1] neg_hi:[0,1]
	v_pk_add_f32 v[56:57], v[56:57], v[128:129] neg_lo:[0,1] neg_hi:[0,1]
	s_wait_dscnt 0x0
	v_dual_mul_f32 v128, v125, v117 :: v_dual_mul_f32 v130, v125, v114
	s_delay_alu instid0(VALU_DEP_1) | instskip(NEXT) | instid1(VALU_DEP_2)
	v_pk_fma_f32 v[128:129], v[124:125], v[44:45], v[128:129] op_sel_hi:[1,1,0] neg_lo:[0,0,1] neg_hi:[0,0,1]
	v_pk_fma_f32 v[124:125], v[124:125], v[44:45], v[130:131] op_sel:[1,0,0] op_sel_hi:[0,1,0]
	s_delay_alu instid0(VALU_DEP_1) | instskip(SKIP_1) | instid1(VALU_DEP_2)
	v_mov_b32_e32 v129, v125
	v_pk_mul_f32 v[124:125], v[126:127], v[116:117] op_sel:[0,1]
	v_pk_add_f32 v[94:95], v[94:95], v[128:129] neg_lo:[0,1] neg_hi:[0,1]
	s_delay_alu instid0(VALU_DEP_2) | instskip(SKIP_1) | instid1(VALU_DEP_1)
	v_pk_fma_f32 v[128:129], v[126:127], v[114:115], v[124:125] op_sel:[0,0,1] op_sel_hi:[1,1,0] neg_lo:[0,0,1] neg_hi:[0,0,1]
	v_pk_fma_f32 v[124:125], v[126:127], v[114:115], v[124:125] op_sel:[0,0,1] op_sel_hi:[1,0,0]
	v_mov_b32_e32 v129, v125
	ds_load_2addr_b64 v[124:127], v118 offset0:26 offset1:27
	v_pk_add_f32 v[52:53], v[52:53], v[128:129] neg_lo:[0,1] neg_hi:[0,1]
	s_wait_dscnt 0x0
	v_pk_mul_f32 v[128:129], v[124:125], v[116:117] op_sel:[0,1]
	s_delay_alu instid0(VALU_DEP_1) | instskip(SKIP_1) | instid1(VALU_DEP_1)
	v_pk_fma_f32 v[130:131], v[124:125], v[114:115], v[128:129] op_sel:[0,0,1] op_sel_hi:[1,1,0] neg_lo:[0,0,1] neg_hi:[0,0,1]
	v_pk_fma_f32 v[124:125], v[124:125], v[114:115], v[128:129] op_sel:[0,0,1] op_sel_hi:[1,0,0]
	v_mov_b32_e32 v131, v125
	v_pk_mul_f32 v[124:125], v[126:127], v[116:117] op_sel:[0,1]
	s_delay_alu instid0(VALU_DEP_2) | instskip(NEXT) | instid1(VALU_DEP_2)
	v_pk_add_f32 v[54:55], v[54:55], v[130:131] neg_lo:[0,1] neg_hi:[0,1]
	v_pk_fma_f32 v[128:129], v[126:127], v[114:115], v[124:125] op_sel:[0,0,1] op_sel_hi:[1,1,0] neg_lo:[0,0,1] neg_hi:[0,0,1]
	v_pk_fma_f32 v[124:125], v[126:127], v[114:115], v[124:125] op_sel:[0,0,1] op_sel_hi:[1,0,0]
	s_delay_alu instid0(VALU_DEP_1) | instskip(SKIP_4) | instid1(VALU_DEP_1)
	v_mov_b32_e32 v129, v125
	ds_load_2addr_b64 v[124:127], v118 offset0:28 offset1:29
	v_pk_add_f32 v[50:51], v[50:51], v[128:129] neg_lo:[0,1] neg_hi:[0,1]
	s_wait_dscnt 0x0
	v_pk_mul_f32 v[128:129], v[124:125], v[116:117] op_sel:[0,1]
	v_pk_fma_f32 v[130:131], v[124:125], v[114:115], v[128:129] op_sel:[0,0,1] op_sel_hi:[1,1,0] neg_lo:[0,0,1] neg_hi:[0,0,1]
	v_pk_fma_f32 v[124:125], v[124:125], v[114:115], v[128:129] op_sel:[0,0,1] op_sel_hi:[1,0,0]
	v_dual_mul_f32 v128, v127, v117 :: v_dual_mov_b32 v124, v127
	s_delay_alu instid0(VALU_DEP_2) | instskip(NEXT) | instid1(VALU_DEP_2)
	v_dual_mov_b32 v131, v125 :: v_dual_mov_b32 v125, v126
	v_pk_fma_f32 v[128:129], v[126:127], v[44:45], v[128:129] op_sel_hi:[1,1,0] neg_lo:[0,0,1] neg_hi:[0,0,1]
	v_mul_f32_e32 v126, v127, v114
	s_delay_alu instid0(VALU_DEP_3) | instskip(NEXT) | instid1(VALU_DEP_2)
	v_pk_add_f32 v[90:91], v[90:91], v[130:131] neg_lo:[0,1] neg_hi:[0,1]
	v_pk_fma_f32 v[124:125], v[124:125], v[44:45], v[126:127] op_sel_hi:[1,1,0]
	s_delay_alu instid0(VALU_DEP_1) | instskip(SKIP_4) | instid1(VALU_DEP_1)
	v_mov_b32_e32 v129, v125
	ds_load_2addr_b64 v[124:127], v118 offset0:30 offset1:31
	v_pk_add_f32 v[38:39], v[38:39], v[128:129] neg_lo:[0,1] neg_hi:[0,1]
	s_wait_dscnt 0x0
	v_pk_mul_f32 v[128:129], v[124:125], v[116:117] op_sel:[0,1]
	v_pk_fma_f32 v[130:131], v[124:125], v[114:115], v[128:129] op_sel:[0,0,1] op_sel_hi:[1,1,0] neg_lo:[0,0,1] neg_hi:[0,0,1]
	v_pk_fma_f32 v[124:125], v[124:125], v[114:115], v[128:129] op_sel:[0,0,1] op_sel_hi:[1,0,0]
	s_delay_alu instid0(VALU_DEP_1) | instskip(SKIP_1) | instid1(VALU_DEP_1)
	v_mov_b32_e32 v131, v125
	v_pk_mul_f32 v[124:125], v[126:127], v[116:117] op_sel:[0,1]
	v_pk_fma_f32 v[128:129], v[126:127], v[114:115], v[124:125] op_sel:[0,0,1] op_sel_hi:[1,1,0] neg_lo:[0,0,1] neg_hi:[0,0,1]
	v_pk_fma_f32 v[124:125], v[126:127], v[114:115], v[124:125] op_sel:[0,0,1] op_sel_hi:[1,0,0]
	s_delay_alu instid0(VALU_DEP_1)
	v_mov_b32_e32 v129, v125
	ds_load_2addr_b64 v[124:127], v118 offset0:32 offset1:33
	v_pk_add_f32 v[40:41], v[40:41], v[130:131] neg_lo:[0,1] neg_hi:[0,1]
	v_pk_add_f32 v[36:37], v[36:37], v[128:129] neg_lo:[0,1] neg_hi:[0,1]
	s_wait_dscnt 0x0
	v_pk_mul_f32 v[128:129], v[124:125], v[116:117] op_sel:[0,1]
	s_delay_alu instid0(VALU_DEP_1) | instskip(SKIP_1) | instid1(VALU_DEP_1)
	v_pk_fma_f32 v[130:131], v[124:125], v[114:115], v[128:129] op_sel:[0,0,1] op_sel_hi:[1,1,0] neg_lo:[0,0,1] neg_hi:[0,0,1]
	v_pk_fma_f32 v[124:125], v[124:125], v[114:115], v[128:129] op_sel:[0,0,1] op_sel_hi:[1,0,0]
	v_mov_b32_e32 v131, v125
	v_pk_mul_f32 v[124:125], v[126:127], v[116:117] op_sel:[0,1]
	s_delay_alu instid0(VALU_DEP_1) | instskip(SKIP_1) | instid1(VALU_DEP_1)
	v_pk_fma_f32 v[128:129], v[126:127], v[114:115], v[124:125] op_sel:[0,0,1] op_sel_hi:[1,1,0] neg_lo:[0,0,1] neg_hi:[0,0,1]
	v_pk_fma_f32 v[124:125], v[126:127], v[114:115], v[124:125] op_sel:[0,0,1] op_sel_hi:[1,0,0]
	v_mov_b32_e32 v129, v125
	ds_load_2addr_b64 v[124:127], v118 offset0:34 offset1:35
	v_pk_add_f32 v[88:89], v[88:89], v[130:131] neg_lo:[0,1] neg_hi:[0,1]
	v_pk_add_f32 v[32:33], v[32:33], v[128:129] neg_lo:[0,1] neg_hi:[0,1]
	s_wait_dscnt 0x0
	v_dual_mul_f32 v128, v125, v117 :: v_dual_mul_f32 v130, v125, v114
	s_delay_alu instid0(VALU_DEP_1) | instskip(NEXT) | instid1(VALU_DEP_2)
	v_pk_fma_f32 v[128:129], v[124:125], v[44:45], v[128:129] op_sel_hi:[1,1,0] neg_lo:[0,0,1] neg_hi:[0,0,1]
	v_pk_fma_f32 v[124:125], v[124:125], v[44:45], v[130:131] op_sel:[1,0,0] op_sel_hi:[0,1,0]
	s_delay_alu instid0(VALU_DEP_1) | instskip(SKIP_1) | instid1(VALU_DEP_2)
	v_mov_b32_e32 v129, v125
	v_pk_mul_f32 v[124:125], v[126:127], v[116:117] op_sel:[0,1]
	v_pk_add_f32 v[34:35], v[34:35], v[128:129] neg_lo:[0,1] neg_hi:[0,1]
	s_delay_alu instid0(VALU_DEP_2) | instskip(SKIP_1) | instid1(VALU_DEP_1)
	v_pk_fma_f32 v[128:129], v[126:127], v[114:115], v[124:125] op_sel:[0,0,1] op_sel_hi:[1,1,0] neg_lo:[0,0,1] neg_hi:[0,0,1]
	v_pk_fma_f32 v[124:125], v[126:127], v[114:115], v[124:125] op_sel:[0,0,1] op_sel_hi:[1,0,0]
	v_mov_b32_e32 v129, v125
	ds_load_2addr_b64 v[124:127], v118 offset0:36 offset1:37
	v_pk_add_f32 v[30:31], v[30:31], v[128:129] neg_lo:[0,1] neg_hi:[0,1]
	s_wait_dscnt 0x0
	v_pk_mul_f32 v[128:129], v[124:125], v[116:117] op_sel:[0,1]
	s_delay_alu instid0(VALU_DEP_1) | instskip(SKIP_1) | instid1(VALU_DEP_1)
	v_pk_fma_f32 v[130:131], v[124:125], v[114:115], v[128:129] op_sel:[0,0,1] op_sel_hi:[1,1,0] neg_lo:[0,0,1] neg_hi:[0,0,1]
	v_pk_fma_f32 v[124:125], v[124:125], v[114:115], v[128:129] op_sel:[0,0,1] op_sel_hi:[1,0,0]
	v_mov_b32_e32 v131, v125
	v_pk_mul_f32 v[124:125], v[126:127], v[116:117] op_sel:[0,1]
	s_delay_alu instid0(VALU_DEP_2) | instskip(NEXT) | instid1(VALU_DEP_2)
	v_pk_add_f32 v[86:87], v[86:87], v[130:131] neg_lo:[0,1] neg_hi:[0,1]
	v_pk_fma_f32 v[128:129], v[126:127], v[114:115], v[124:125] op_sel:[0,0,1] op_sel_hi:[1,1,0] neg_lo:[0,0,1] neg_hi:[0,0,1]
	v_pk_fma_f32 v[124:125], v[126:127], v[114:115], v[124:125] op_sel:[0,0,1] op_sel_hi:[1,0,0]
	s_delay_alu instid0(VALU_DEP_1) | instskip(SKIP_4) | instid1(VALU_DEP_1)
	v_mov_b32_e32 v129, v125
	ds_load_2addr_b64 v[124:127], v118 offset0:38 offset1:39
	v_pk_add_f32 v[24:25], v[24:25], v[128:129] neg_lo:[0,1] neg_hi:[0,1]
	s_wait_dscnt 0x0
	v_pk_mul_f32 v[128:129], v[124:125], v[116:117] op_sel:[0,1]
	v_pk_fma_f32 v[130:131], v[124:125], v[114:115], v[128:129] op_sel:[0,0,1] op_sel_hi:[1,1,0] neg_lo:[0,0,1] neg_hi:[0,0,1]
	v_pk_fma_f32 v[124:125], v[124:125], v[114:115], v[128:129] op_sel:[0,0,1] op_sel_hi:[1,0,0]
	v_dual_mul_f32 v128, v127, v117 :: v_dual_mov_b32 v124, v127
	s_delay_alu instid0(VALU_DEP_2) | instskip(NEXT) | instid1(VALU_DEP_2)
	v_dual_mov_b32 v131, v125 :: v_dual_mov_b32 v125, v126
	v_pk_fma_f32 v[128:129], v[126:127], v[44:45], v[128:129] op_sel_hi:[1,1,0] neg_lo:[0,0,1] neg_hi:[0,0,1]
	v_mul_f32_e32 v126, v127, v114
	s_delay_alu instid0(VALU_DEP_3) | instskip(NEXT) | instid1(VALU_DEP_2)
	v_pk_add_f32 v[26:27], v[26:27], v[130:131] neg_lo:[0,1] neg_hi:[0,1]
	v_pk_fma_f32 v[124:125], v[124:125], v[44:45], v[126:127] op_sel_hi:[1,1,0]
	s_delay_alu instid0(VALU_DEP_1) | instskip(SKIP_4) | instid1(VALU_DEP_1)
	v_mov_b32_e32 v129, v125
	ds_load_2addr_b64 v[124:127], v118 offset0:40 offset1:41
	v_pk_add_f32 v[22:23], v[22:23], v[128:129] neg_lo:[0,1] neg_hi:[0,1]
	s_wait_dscnt 0x0
	v_pk_mul_f32 v[128:129], v[124:125], v[116:117] op_sel:[0,1]
	v_pk_fma_f32 v[130:131], v[124:125], v[114:115], v[128:129] op_sel:[0,0,1] op_sel_hi:[1,1,0] neg_lo:[0,0,1] neg_hi:[0,0,1]
	v_pk_fma_f32 v[124:125], v[124:125], v[114:115], v[128:129] op_sel:[0,0,1] op_sel_hi:[1,0,0]
	s_delay_alu instid0(VALU_DEP_1) | instskip(SKIP_1) | instid1(VALU_DEP_1)
	v_mov_b32_e32 v131, v125
	v_pk_mul_f32 v[124:125], v[126:127], v[116:117] op_sel:[0,1]
	v_pk_fma_f32 v[128:129], v[126:127], v[114:115], v[124:125] op_sel:[0,0,1] op_sel_hi:[1,1,0] neg_lo:[0,0,1] neg_hi:[0,0,1]
	v_pk_fma_f32 v[124:125], v[126:127], v[114:115], v[124:125] op_sel:[0,0,1] op_sel_hi:[1,0,0]
	s_delay_alu instid0(VALU_DEP_1)
	v_mov_b32_e32 v129, v125
	ds_load_2addr_b64 v[124:127], v118 offset0:42 offset1:43
	v_pk_add_f32 v[84:85], v[84:85], v[130:131] neg_lo:[0,1] neg_hi:[0,1]
	v_pk_add_f32 v[18:19], v[18:19], v[128:129] neg_lo:[0,1] neg_hi:[0,1]
	s_wait_dscnt 0x0
	v_pk_mul_f32 v[128:129], v[124:125], v[116:117] op_sel:[0,1]
	s_delay_alu instid0(VALU_DEP_1) | instskip(SKIP_1) | instid1(VALU_DEP_1)
	v_pk_fma_f32 v[130:131], v[124:125], v[114:115], v[128:129] op_sel:[0,0,1] op_sel_hi:[1,1,0] neg_lo:[0,0,1] neg_hi:[0,0,1]
	v_pk_fma_f32 v[124:125], v[124:125], v[114:115], v[128:129] op_sel:[0,0,1] op_sel_hi:[1,0,0]
	v_mov_b32_e32 v131, v125
	v_pk_mul_f32 v[124:125], v[126:127], v[116:117] op_sel:[0,1]
	s_delay_alu instid0(VALU_DEP_1) | instskip(SKIP_1) | instid1(VALU_DEP_1)
	v_pk_fma_f32 v[128:129], v[126:127], v[114:115], v[124:125] op_sel:[0,0,1] op_sel_hi:[1,1,0] neg_lo:[0,0,1] neg_hi:[0,0,1]
	v_pk_fma_f32 v[124:125], v[126:127], v[114:115], v[124:125] op_sel:[0,0,1] op_sel_hi:[1,0,0]
	v_mov_b32_e32 v129, v125
	ds_load_2addr_b64 v[124:127], v118 offset0:44 offset1:45
	v_pk_add_f32 v[20:21], v[20:21], v[130:131] neg_lo:[0,1] neg_hi:[0,1]
	v_pk_add_f32 v[16:17], v[16:17], v[128:129] neg_lo:[0,1] neg_hi:[0,1]
	s_wait_dscnt 0x0
	v_dual_mul_f32 v128, v125, v117 :: v_dual_mul_f32 v130, v125, v114
	s_delay_alu instid0(VALU_DEP_1) | instskip(NEXT) | instid1(VALU_DEP_2)
	v_pk_fma_f32 v[128:129], v[124:125], v[44:45], v[128:129] op_sel_hi:[1,1,0] neg_lo:[0,0,1] neg_hi:[0,0,1]
	v_pk_fma_f32 v[124:125], v[124:125], v[44:45], v[130:131] op_sel:[1,0,0] op_sel_hi:[0,1,0]
	s_delay_alu instid0(VALU_DEP_1) | instskip(SKIP_1) | instid1(VALU_DEP_2)
	v_mov_b32_e32 v129, v125
	v_pk_mul_f32 v[124:125], v[126:127], v[116:117] op_sel:[0,1]
	v_pk_add_f32 v[82:83], v[82:83], v[128:129] neg_lo:[0,1] neg_hi:[0,1]
	s_delay_alu instid0(VALU_DEP_2) | instskip(SKIP_1) | instid1(VALU_DEP_1)
	v_pk_fma_f32 v[128:129], v[126:127], v[114:115], v[124:125] op_sel:[0,0,1] op_sel_hi:[1,1,0] neg_lo:[0,0,1] neg_hi:[0,0,1]
	v_pk_fma_f32 v[124:125], v[126:127], v[114:115], v[124:125] op_sel:[0,0,1] op_sel_hi:[1,0,0]
	v_mov_b32_e32 v129, v125
	ds_load_2addr_b64 v[124:127], v118 offset0:46 offset1:47
	v_pk_add_f32 v[10:11], v[10:11], v[128:129] neg_lo:[0,1] neg_hi:[0,1]
	s_wait_dscnt 0x0
	v_pk_mul_f32 v[128:129], v[124:125], v[116:117] op_sel:[0,1]
	s_delay_alu instid0(VALU_DEP_1) | instskip(SKIP_1) | instid1(VALU_DEP_1)
	v_pk_fma_f32 v[130:131], v[124:125], v[114:115], v[128:129] op_sel:[0,0,1] op_sel_hi:[1,1,0] neg_lo:[0,0,1] neg_hi:[0,0,1]
	v_pk_fma_f32 v[124:125], v[124:125], v[114:115], v[128:129] op_sel:[0,0,1] op_sel_hi:[1,0,0]
	v_mov_b32_e32 v131, v125
	v_pk_mul_f32 v[124:125], v[126:127], v[116:117] op_sel:[0,1]
	s_delay_alu instid0(VALU_DEP_2) | instskip(NEXT) | instid1(VALU_DEP_2)
	v_pk_add_f32 v[12:13], v[12:13], v[130:131] neg_lo:[0,1] neg_hi:[0,1]
	v_pk_fma_f32 v[128:129], v[126:127], v[114:115], v[124:125] op_sel:[0,0,1] op_sel_hi:[1,1,0] neg_lo:[0,0,1] neg_hi:[0,0,1]
	v_pk_fma_f32 v[124:125], v[126:127], v[114:115], v[124:125] op_sel:[0,0,1] op_sel_hi:[1,0,0]
	s_delay_alu instid0(VALU_DEP_1) | instskip(SKIP_4) | instid1(VALU_DEP_1)
	v_mov_b32_e32 v129, v125
	ds_load_2addr_b64 v[124:127], v118 offset0:48 offset1:49
	v_pk_add_f32 v[8:9], v[8:9], v[128:129] neg_lo:[0,1] neg_hi:[0,1]
	s_wait_dscnt 0x0
	v_pk_mul_f32 v[128:129], v[124:125], v[116:117] op_sel:[0,1]
	v_pk_fma_f32 v[130:131], v[124:125], v[114:115], v[128:129] op_sel:[0,0,1] op_sel_hi:[1,1,0] neg_lo:[0,0,1] neg_hi:[0,0,1]
	v_pk_fma_f32 v[124:125], v[124:125], v[114:115], v[128:129] op_sel:[0,0,1] op_sel_hi:[1,0,0]
	v_dual_mul_f32 v128, v127, v117 :: v_dual_mov_b32 v124, v127
	s_delay_alu instid0(VALU_DEP_2) | instskip(NEXT) | instid1(VALU_DEP_2)
	v_dual_mov_b32 v131, v125 :: v_dual_mov_b32 v125, v126
	v_pk_fma_f32 v[128:129], v[126:127], v[44:45], v[128:129] op_sel_hi:[1,1,0] neg_lo:[0,0,1] neg_hi:[0,0,1]
	v_mul_f32_e32 v126, v127, v114
	s_delay_alu instid0(VALU_DEP_3) | instskip(NEXT) | instid1(VALU_DEP_2)
	v_pk_add_f32 v[66:67], v[66:67], v[130:131] neg_lo:[0,1] neg_hi:[0,1]
	v_pk_fma_f32 v[124:125], v[124:125], v[44:45], v[126:127] op_sel_hi:[1,1,0]
	s_delay_alu instid0(VALU_DEP_1) | instskip(SKIP_4) | instid1(VALU_DEP_1)
	v_mov_b32_e32 v129, v125
	ds_load_2addr_b64 v[124:127], v118 offset0:50 offset1:51
	v_pk_add_f32 v[6:7], v[6:7], v[128:129] neg_lo:[0,1] neg_hi:[0,1]
	s_wait_dscnt 0x0
	v_pk_mul_f32 v[128:129], v[124:125], v[116:117] op_sel:[0,1]
	v_pk_fma_f32 v[130:131], v[124:125], v[114:115], v[128:129] op_sel:[0,0,1] op_sel_hi:[1,1,0] neg_lo:[0,0,1] neg_hi:[0,0,1]
	v_pk_fma_f32 v[124:125], v[124:125], v[114:115], v[128:129] op_sel:[0,0,1] op_sel_hi:[1,0,0]
	s_delay_alu instid0(VALU_DEP_1) | instskip(SKIP_1) | instid1(VALU_DEP_1)
	v_mov_b32_e32 v131, v125
	v_pk_mul_f32 v[124:125], v[126:127], v[116:117] op_sel:[0,1]
	v_pk_fma_f32 v[128:129], v[126:127], v[114:115], v[124:125] op_sel:[0,0,1] op_sel_hi:[1,1,0] neg_lo:[0,0,1] neg_hi:[0,0,1]
	v_pk_fma_f32 v[124:125], v[126:127], v[114:115], v[124:125] op_sel:[0,0,1] op_sel_hi:[1,0,0]
	s_delay_alu instid0(VALU_DEP_1)
	v_mov_b32_e32 v129, v125
	ds_load_2addr_b64 v[124:127], v118 offset0:52 offset1:53
	v_pk_add_f32 v[46:47], v[46:47], v[130:131] neg_lo:[0,1] neg_hi:[0,1]
	v_pk_add_f32 v[28:29], v[28:29], v[128:129] neg_lo:[0,1] neg_hi:[0,1]
	s_wait_dscnt 0x0
	v_pk_mul_f32 v[128:129], v[124:125], v[116:117] op_sel:[0,1]
	v_mul_f32_e32 v116, v127, v117
	s_delay_alu instid0(VALU_DEP_2) | instskip(SKIP_2) | instid1(VALU_DEP_4)
	v_pk_fma_f32 v[130:131], v[124:125], v[114:115], v[128:129] op_sel:[0,0,1] op_sel_hi:[1,1,0] neg_lo:[0,0,1] neg_hi:[0,0,1]
	v_pk_fma_f32 v[124:125], v[124:125], v[114:115], v[128:129] op_sel:[0,0,1] op_sel_hi:[1,0,0]
	v_dual_mov_b32 v124, v127 :: v_dual_mul_f32 v114, v127, v114
	v_pk_fma_f32 v[116:117], v[126:127], v[44:45], v[116:117] op_sel_hi:[1,1,0] neg_lo:[0,0,1] neg_hi:[0,0,1]
	s_delay_alu instid0(VALU_DEP_3) | instskip(NEXT) | instid1(VALU_DEP_1)
	v_dual_mov_b32 v131, v125 :: v_dual_mov_b32 v125, v126
	v_pk_add_f32 v[14:15], v[14:15], v[130:131] neg_lo:[0,1] neg_hi:[0,1]
	s_delay_alu instid0(VALU_DEP_2) | instskip(NEXT) | instid1(VALU_DEP_1)
	v_pk_fma_f32 v[114:115], v[124:125], v[44:45], v[114:115] op_sel_hi:[1,1,0]
	v_mov_b32_e32 v117, v115
	s_delay_alu instid0(VALU_DEP_1)
	v_pk_add_f32 v[112:113], v[112:113], v[116:117] neg_lo:[0,1] neg_hi:[0,1]
.LBB106_125:
	s_or_b32 exec_lo, exec_lo, s0
	v_lshl_add_u32 v114, v122, 3, v118
	s_barrier_signal -1
	s_barrier_wait -1
	ds_store_b64 v114, v[48:49]
	s_wait_dscnt 0x0
	s_barrier_signal -1
	s_barrier_wait -1
	ds_load_b64 v[116:117], v118 offset:48
	v_mov_b32_e32 v114, 6
	s_cmp_lt_i32 s18, 8
	s_cbranch_scc1 .LBB106_128
; %bb.126:
	v_add3_u32 v115, v119, 0, 56
	v_mov_b32_e32 v114, 6
	s_mov_b32 s0, 7
.LBB106_127:                            ; =>This Inner Loop Header: Depth=1
	ds_load_b64 v[124:125], v115
	s_wait_dscnt 0x1
	v_cmp_gt_f32_e32 vcc_lo, 0, v116
	v_cndmask_b32_e64 v126, v116, -v116, vcc_lo
	v_cmp_gt_f32_e32 vcc_lo, 0, v117
	v_cndmask_b32_e64 v128, v117, -v117, vcc_lo
	s_wait_dscnt 0x0
	v_cmp_gt_f32_e32 vcc_lo, 0, v124
	v_cndmask_b32_e64 v127, v124, -v124, vcc_lo
	v_cmp_gt_f32_e32 vcc_lo, 0, v125
	v_cndmask_b32_e64 v129, v125, -v125, vcc_lo
	s_delay_alu instid0(VALU_DEP_1) | instskip(NEXT) | instid1(VALU_DEP_1)
	v_pk_add_f32 v[126:127], v[126:127], v[128:129]
	v_cmp_lt_f32_e32 vcc_lo, v126, v127
	v_dual_add_nc_u32 v115, 8, v115 :: v_dual_cndmask_b32 v117, v117, v125, vcc_lo
	v_cndmask_b32_e32 v116, v116, v124, vcc_lo
	v_cndmask_b32_e64 v114, v114, s0, vcc_lo
	s_add_co_i32 s0, s0, 1
	s_delay_alu instid0(SALU_CYCLE_1)
	s_cmp_lg_u32 s18, s0
	s_cbranch_scc1 .LBB106_127
.LBB106_128:
	s_wait_dscnt 0x0
	v_cmp_eq_f32_e32 vcc_lo, 0, v116
	v_cmp_eq_f32_e64 s0, 0, v117
	s_and_b32 s0, vcc_lo, s0
	s_delay_alu instid0(SALU_CYCLE_1) | instskip(NEXT) | instid1(SALU_CYCLE_1)
	s_and_saveexec_b32 s1, s0
	s_xor_b32 s0, exec_lo, s1
; %bb.129:
	v_cmp_ne_u32_e32 vcc_lo, 0, v120
	v_cndmask_b32_e32 v120, 7, v120, vcc_lo
; %bb.130:
	s_and_not1_saveexec_b32 s0, s0
	s_cbranch_execz .LBB106_136
; %bb.131:
	v_cmp_ngt_f32_e64 s1, |v116|, |v117|
	s_and_saveexec_b32 s12, s1
	s_delay_alu instid0(SALU_CYCLE_1)
	s_xor_b32 s1, exec_lo, s12
	s_cbranch_execz .LBB106_133
; %bb.132:
	v_div_scale_f32 v115, null, v117, v117, v116
	v_div_scale_f32 v125, vcc_lo, v116, v117, v116
	s_delay_alu instid0(VALU_DEP_2) | instskip(SKIP_1) | instid1(TRANS32_DEP_1)
	v_rcp_f32_e32 v123, v115
	v_nop
	v_fma_f32 v124, -v115, v123, 1.0
	s_delay_alu instid0(VALU_DEP_1) | instskip(NEXT) | instid1(VALU_DEP_1)
	v_fmac_f32_e32 v123, v124, v123
	v_mul_f32_e32 v124, v125, v123
	s_delay_alu instid0(VALU_DEP_1) | instskip(NEXT) | instid1(VALU_DEP_1)
	v_fma_f32 v126, -v115, v124, v125
	v_fmac_f32_e32 v124, v126, v123
	s_delay_alu instid0(VALU_DEP_1) | instskip(NEXT) | instid1(VALU_DEP_1)
	v_fma_f32 v115, -v115, v124, v125
	v_div_fmas_f32 v115, v115, v123, v124
	s_delay_alu instid0(VALU_DEP_1) | instskip(NEXT) | instid1(VALU_DEP_1)
	v_div_fixup_f32 v115, v115, v117, v116
	v_fmac_f32_e32 v117, v116, v115
	s_delay_alu instid0(VALU_DEP_1) | instskip(SKIP_1) | instid1(VALU_DEP_2)
	v_div_scale_f32 v116, null, v117, v117, 1.0
	v_div_scale_f32 v125, vcc_lo, 1.0, v117, 1.0
	v_rcp_f32_e32 v123, v116
	v_nop
	s_delay_alu instid0(TRANS32_DEP_1) | instskip(NEXT) | instid1(VALU_DEP_1)
	v_fma_f32 v124, -v116, v123, 1.0
	v_fmac_f32_e32 v123, v124, v123
	s_delay_alu instid0(VALU_DEP_1) | instskip(NEXT) | instid1(VALU_DEP_1)
	v_mul_f32_e32 v124, v125, v123
	v_fma_f32 v126, -v116, v124, v125
	s_delay_alu instid0(VALU_DEP_1) | instskip(NEXT) | instid1(VALU_DEP_1)
	v_fmac_f32_e32 v124, v126, v123
	v_fma_f32 v116, -v116, v124, v125
	s_delay_alu instid0(VALU_DEP_1) | instskip(NEXT) | instid1(VALU_DEP_1)
	v_div_fmas_f32 v116, v116, v123, v124
	v_div_fixup_f32 v117, v116, v117, 1.0
	s_delay_alu instid0(VALU_DEP_1)
	v_mul_f32_e32 v116, v115, v117
	v_xor_b32_e32 v117, 0x80000000, v117
.LBB106_133:
	s_and_not1_saveexec_b32 s1, s1
	s_cbranch_execz .LBB106_135
; %bb.134:
	s_delay_alu instid0(VALU_DEP_1) | instskip(SKIP_1) | instid1(VALU_DEP_2)
	v_div_scale_f32 v115, null, v116, v116, v117
	v_div_scale_f32 v125, vcc_lo, v117, v116, v117
	v_rcp_f32_e32 v123, v115
	v_nop
	s_delay_alu instid0(TRANS32_DEP_1) | instskip(NEXT) | instid1(VALU_DEP_1)
	v_fma_f32 v124, -v115, v123, 1.0
	v_fmac_f32_e32 v123, v124, v123
	s_delay_alu instid0(VALU_DEP_1) | instskip(NEXT) | instid1(VALU_DEP_1)
	v_mul_f32_e32 v124, v125, v123
	v_fma_f32 v126, -v115, v124, v125
	s_delay_alu instid0(VALU_DEP_1) | instskip(NEXT) | instid1(VALU_DEP_1)
	v_fmac_f32_e32 v124, v126, v123
	v_fma_f32 v115, -v115, v124, v125
	s_delay_alu instid0(VALU_DEP_1) | instskip(NEXT) | instid1(VALU_DEP_1)
	v_div_fmas_f32 v115, v115, v123, v124
	v_div_fixup_f32 v115, v115, v116, v117
	s_delay_alu instid0(VALU_DEP_1) | instskip(NEXT) | instid1(VALU_DEP_1)
	v_fmac_f32_e32 v116, v117, v115
	v_div_scale_f32 v117, null, v116, v116, 1.0
	s_delay_alu instid0(VALU_DEP_1) | instskip(SKIP_1) | instid1(TRANS32_DEP_1)
	v_rcp_f32_e32 v123, v117
	v_nop
	v_fma_f32 v124, -v117, v123, 1.0
	s_delay_alu instid0(VALU_DEP_1) | instskip(SKIP_1) | instid1(VALU_DEP_1)
	v_fmac_f32_e32 v123, v124, v123
	v_div_scale_f32 v124, vcc_lo, 1.0, v116, 1.0
	v_mul_f32_e32 v125, v124, v123
	s_delay_alu instid0(VALU_DEP_1) | instskip(NEXT) | instid1(VALU_DEP_1)
	v_fma_f32 v126, -v117, v125, v124
	v_fmac_f32_e32 v125, v126, v123
	s_delay_alu instid0(VALU_DEP_1) | instskip(NEXT) | instid1(VALU_DEP_1)
	v_fma_f32 v117, -v117, v125, v124
	v_div_fmas_f32 v117, v117, v123, v125
	s_delay_alu instid0(VALU_DEP_1) | instskip(NEXT) | instid1(VALU_DEP_1)
	v_div_fixup_f32 v116, v117, v116, 1.0
	v_mul_f32_e64 v117, v115, -v116
.LBB106_135:
	s_or_b32 exec_lo, exec_lo, s1
.LBB106_136:
	s_delay_alu instid0(SALU_CYCLE_1) | instskip(NEXT) | instid1(SALU_CYCLE_1)
	s_or_b32 exec_lo, exec_lo, s0
	s_mov_b32 s0, exec_lo
	v_cmpx_ne_u32_e64 v122, v114
	s_xor_b32 s0, exec_lo, s0
	s_cbranch_execz .LBB106_142
; %bb.137:
	s_mov_b32 s1, exec_lo
	v_cmpx_eq_u32_e32 6, v122
	s_cbranch_execz .LBB106_141
; %bb.138:
	v_cmp_ne_u32_e32 vcc_lo, 6, v114
	s_xor_b32 s12, s16, -1
	s_delay_alu instid0(SALU_CYCLE_1) | instskip(NEXT) | instid1(SALU_CYCLE_1)
	s_and_b32 s13, s12, vcc_lo
	s_and_saveexec_b32 s12, s13
	s_cbranch_execz .LBB106_140
; %bb.139:
	v_ashrrev_i32_e32 v115, 31, v114
	s_delay_alu instid0(VALU_DEP_1)
	v_lshl_add_u64 v[122:123], v[114:115], 2, v[4:5]
	s_clause 0x1
	global_load_b32 v115, v[122:123], off
	global_load_b32 v121, v[4:5], off offset:24
	s_wait_loadcnt 0x1
	global_store_b32 v[4:5], v115, off offset:24
	s_wait_loadcnt 0x0
	global_store_b32 v[122:123], v121, off
.LBB106_140:
	s_wait_xcnt 0x0
	s_or_b32 exec_lo, exec_lo, s12
	v_dual_mov_b32 v122, v114 :: v_dual_mov_b32 v121, v114
.LBB106_141:
	s_or_b32 exec_lo, exec_lo, s1
.LBB106_142:
	s_and_not1_saveexec_b32 s0, s0
	s_cbranch_execz .LBB106_144
; %bb.143:
	v_mov_b32_e32 v122, 6
	ds_store_2addr_b64 v118, v[42:43], v[102:103] offset0:7 offset1:8
	ds_store_2addr_b64 v118, v[78:79], v[80:81] offset0:9 offset1:10
	ds_store_2addr_b64 v118, v[76:77], v[100:101] offset0:11 offset1:12
	ds_store_2addr_b64 v118, v[72:73], v[74:75] offset0:13 offset1:14
	ds_store_2addr_b64 v118, v[70:71], v[98:99] offset0:15 offset1:16
	ds_store_2addr_b64 v118, v[64:65], v[68:69] offset0:17 offset1:18
	ds_store_2addr_b64 v118, v[62:63], v[96:97] offset0:19 offset1:20
	ds_store_2addr_b64 v118, v[58:59], v[60:61] offset0:21 offset1:22
	ds_store_2addr_b64 v118, v[56:57], v[94:95] offset0:23 offset1:24
	ds_store_2addr_b64 v118, v[52:53], v[54:55] offset0:25 offset1:26
	ds_store_2addr_b64 v118, v[50:51], v[90:91] offset0:27 offset1:28
	ds_store_2addr_b64 v118, v[38:39], v[40:41] offset0:29 offset1:30
	ds_store_2addr_b64 v118, v[36:37], v[88:89] offset0:31 offset1:32
	ds_store_2addr_b64 v118, v[32:33], v[34:35] offset0:33 offset1:34
	ds_store_2addr_b64 v118, v[30:31], v[86:87] offset0:35 offset1:36
	ds_store_2addr_b64 v118, v[24:25], v[26:27] offset0:37 offset1:38
	ds_store_2addr_b64 v118, v[22:23], v[84:85] offset0:39 offset1:40
	ds_store_2addr_b64 v118, v[18:19], v[20:21] offset0:41 offset1:42
	ds_store_2addr_b64 v118, v[16:17], v[82:83] offset0:43 offset1:44
	ds_store_2addr_b64 v118, v[10:11], v[12:13] offset0:45 offset1:46
	ds_store_2addr_b64 v118, v[8:9], v[66:67] offset0:47 offset1:48
	ds_store_2addr_b64 v118, v[6:7], v[46:47] offset0:49 offset1:50
	ds_store_2addr_b64 v118, v[28:29], v[14:15] offset0:51 offset1:52
	ds_store_b64 v118, v[112:113] offset:424
.LBB106_144:
	s_or_b32 exec_lo, exec_lo, s0
	s_delay_alu instid0(SALU_CYCLE_1)
	s_mov_b32 s0, exec_lo
	s_wait_storecnt_dscnt 0x0
	s_barrier_signal -1
	s_barrier_wait -1
	v_cmpx_lt_i32_e32 6, v122
	s_cbranch_execz .LBB106_146
; %bb.145:
	v_pk_mul_f32 v[124:125], v[116:117], v[48:49] op_sel:[1,1] op_sel_hi:[0,1]
	s_delay_alu instid0(VALU_DEP_1)
	v_pk_fma_f32 v[114:115], v[116:117], v[48:49], v[124:125] op_sel_hi:[1,0,1] neg_lo:[0,0,1] neg_hi:[0,0,1]
	v_pk_fma_f32 v[116:117], v[116:117], v[48:49], v[124:125] op_sel_hi:[1,0,1]
	ds_load_2addr_b64 v[124:127], v118 offset0:7 offset1:8
	v_dual_mov_b32 v48, v114 :: v_dual_mov_b32 v49, v117
	s_wait_dscnt 0x0
	v_pk_mul_f32 v[128:129], v[124:125], v[116:117] op_sel:[0,1]
	s_delay_alu instid0(VALU_DEP_1) | instskip(SKIP_1) | instid1(VALU_DEP_1)
	v_pk_fma_f32 v[130:131], v[124:125], v[114:115], v[128:129] op_sel:[0,0,1] op_sel_hi:[1,1,0] neg_lo:[0,0,1] neg_hi:[0,0,1]
	v_pk_fma_f32 v[124:125], v[124:125], v[114:115], v[128:129] op_sel:[0,0,1] op_sel_hi:[1,0,0]
	v_mov_b32_e32 v131, v125
	v_pk_mul_f32 v[124:125], v[126:127], v[116:117] op_sel:[0,1]
	s_delay_alu instid0(VALU_DEP_1) | instskip(SKIP_1) | instid1(VALU_DEP_1)
	v_pk_fma_f32 v[128:129], v[126:127], v[114:115], v[124:125] op_sel:[0,0,1] op_sel_hi:[1,1,0] neg_lo:[0,0,1] neg_hi:[0,0,1]
	v_pk_fma_f32 v[124:125], v[126:127], v[114:115], v[124:125] op_sel:[0,0,1] op_sel_hi:[1,0,0]
	v_mov_b32_e32 v129, v125
	ds_load_2addr_b64 v[124:127], v118 offset0:9 offset1:10
	v_pk_add_f32 v[42:43], v[42:43], v[130:131] neg_lo:[0,1] neg_hi:[0,1]
	v_pk_add_f32 v[102:103], v[102:103], v[128:129] neg_lo:[0,1] neg_hi:[0,1]
	s_wait_dscnt 0x0
	v_pk_mul_f32 v[128:129], v[124:125], v[116:117] op_sel:[0,1]
	s_delay_alu instid0(VALU_DEP_1) | instskip(SKIP_2) | instid1(VALU_DEP_2)
	v_pk_fma_f32 v[130:131], v[124:125], v[114:115], v[128:129] op_sel:[0,0,1] op_sel_hi:[1,1,0] neg_lo:[0,0,1] neg_hi:[0,0,1]
	v_pk_fma_f32 v[124:125], v[124:125], v[114:115], v[128:129] op_sel:[0,0,1] op_sel_hi:[1,0,0]
	v_dual_mul_f32 v128, v127, v117 :: v_dual_mov_b32 v124, v127
	v_dual_mov_b32 v131, v125 :: v_dual_mov_b32 v125, v126
	s_delay_alu instid0(VALU_DEP_2) | instskip(SKIP_1) | instid1(VALU_DEP_3)
	v_pk_fma_f32 v[128:129], v[126:127], v[48:49], v[128:129] op_sel_hi:[1,1,0] neg_lo:[0,0,1] neg_hi:[0,0,1]
	v_mul_f32_e32 v126, v127, v114
	v_pk_add_f32 v[78:79], v[78:79], v[130:131] neg_lo:[0,1] neg_hi:[0,1]
	s_delay_alu instid0(VALU_DEP_2) | instskip(NEXT) | instid1(VALU_DEP_1)
	v_pk_fma_f32 v[124:125], v[124:125], v[48:49], v[126:127] op_sel_hi:[1,1,0]
	v_mov_b32_e32 v129, v125
	ds_load_2addr_b64 v[124:127], v118 offset0:11 offset1:12
	v_pk_add_f32 v[80:81], v[80:81], v[128:129] neg_lo:[0,1] neg_hi:[0,1]
	s_wait_dscnt 0x0
	v_pk_mul_f32 v[128:129], v[124:125], v[116:117] op_sel:[0,1]
	s_delay_alu instid0(VALU_DEP_1) | instskip(SKIP_1) | instid1(VALU_DEP_1)
	v_pk_fma_f32 v[130:131], v[124:125], v[114:115], v[128:129] op_sel:[0,0,1] op_sel_hi:[1,1,0] neg_lo:[0,0,1] neg_hi:[0,0,1]
	v_pk_fma_f32 v[124:125], v[124:125], v[114:115], v[128:129] op_sel:[0,0,1] op_sel_hi:[1,0,0]
	v_mov_b32_e32 v131, v125
	v_pk_mul_f32 v[124:125], v[126:127], v[116:117] op_sel:[0,1]
	s_delay_alu instid0(VALU_DEP_1) | instskip(SKIP_1) | instid1(VALU_DEP_1)
	v_pk_fma_f32 v[128:129], v[126:127], v[114:115], v[124:125] op_sel:[0,0,1] op_sel_hi:[1,1,0] neg_lo:[0,0,1] neg_hi:[0,0,1]
	v_pk_fma_f32 v[124:125], v[126:127], v[114:115], v[124:125] op_sel:[0,0,1] op_sel_hi:[1,0,0]
	v_mov_b32_e32 v129, v125
	ds_load_2addr_b64 v[124:127], v118 offset0:13 offset1:14
	v_pk_add_f32 v[76:77], v[76:77], v[130:131] neg_lo:[0,1] neg_hi:[0,1]
	v_pk_add_f32 v[100:101], v[100:101], v[128:129] neg_lo:[0,1] neg_hi:[0,1]
	s_wait_dscnt 0x0
	v_pk_mul_f32 v[128:129], v[124:125], v[116:117] op_sel:[0,1]
	s_delay_alu instid0(VALU_DEP_1) | instskip(SKIP_1) | instid1(VALU_DEP_1)
	v_pk_fma_f32 v[130:131], v[124:125], v[114:115], v[128:129] op_sel:[0,0,1] op_sel_hi:[1,1,0] neg_lo:[0,0,1] neg_hi:[0,0,1]
	v_pk_fma_f32 v[124:125], v[124:125], v[114:115], v[128:129] op_sel:[0,0,1] op_sel_hi:[1,0,0]
	v_mov_b32_e32 v131, v125
	v_pk_mul_f32 v[124:125], v[126:127], v[116:117] op_sel:[0,1]
	s_delay_alu instid0(VALU_DEP_1) | instskip(SKIP_1) | instid1(VALU_DEP_1)
	v_pk_fma_f32 v[128:129], v[126:127], v[114:115], v[124:125] op_sel:[0,0,1] op_sel_hi:[1,1,0] neg_lo:[0,0,1] neg_hi:[0,0,1]
	v_pk_fma_f32 v[124:125], v[126:127], v[114:115], v[124:125] op_sel:[0,0,1] op_sel_hi:[1,0,0]
	v_mov_b32_e32 v129, v125
	ds_load_2addr_b64 v[124:127], v118 offset0:15 offset1:16
	v_pk_add_f32 v[72:73], v[72:73], v[130:131] neg_lo:[0,1] neg_hi:[0,1]
	v_pk_add_f32 v[74:75], v[74:75], v[128:129] neg_lo:[0,1] neg_hi:[0,1]
	s_wait_dscnt 0x0
	v_dual_mul_f32 v128, v125, v117 :: v_dual_mul_f32 v130, v125, v114
	s_delay_alu instid0(VALU_DEP_1) | instskip(NEXT) | instid1(VALU_DEP_2)
	v_pk_fma_f32 v[128:129], v[124:125], v[48:49], v[128:129] op_sel_hi:[1,1,0] neg_lo:[0,0,1] neg_hi:[0,0,1]
	v_pk_fma_f32 v[124:125], v[124:125], v[48:49], v[130:131] op_sel:[1,0,0] op_sel_hi:[0,1,0]
	s_delay_alu instid0(VALU_DEP_1) | instskip(SKIP_1) | instid1(VALU_DEP_2)
	v_mov_b32_e32 v129, v125
	v_pk_mul_f32 v[124:125], v[126:127], v[116:117] op_sel:[0,1]
	v_pk_add_f32 v[70:71], v[70:71], v[128:129] neg_lo:[0,1] neg_hi:[0,1]
	s_delay_alu instid0(VALU_DEP_2) | instskip(SKIP_1) | instid1(VALU_DEP_1)
	v_pk_fma_f32 v[128:129], v[126:127], v[114:115], v[124:125] op_sel:[0,0,1] op_sel_hi:[1,1,0] neg_lo:[0,0,1] neg_hi:[0,0,1]
	v_pk_fma_f32 v[124:125], v[126:127], v[114:115], v[124:125] op_sel:[0,0,1] op_sel_hi:[1,0,0]
	v_mov_b32_e32 v129, v125
	ds_load_2addr_b64 v[124:127], v118 offset0:17 offset1:18
	v_pk_add_f32 v[98:99], v[98:99], v[128:129] neg_lo:[0,1] neg_hi:[0,1]
	s_wait_dscnt 0x0
	v_pk_mul_f32 v[128:129], v[124:125], v[116:117] op_sel:[0,1]
	s_delay_alu instid0(VALU_DEP_1) | instskip(SKIP_1) | instid1(VALU_DEP_1)
	v_pk_fma_f32 v[130:131], v[124:125], v[114:115], v[128:129] op_sel:[0,0,1] op_sel_hi:[1,1,0] neg_lo:[0,0,1] neg_hi:[0,0,1]
	v_pk_fma_f32 v[124:125], v[124:125], v[114:115], v[128:129] op_sel:[0,0,1] op_sel_hi:[1,0,0]
	v_mov_b32_e32 v131, v125
	v_pk_mul_f32 v[124:125], v[126:127], v[116:117] op_sel:[0,1]
	s_delay_alu instid0(VALU_DEP_2) | instskip(NEXT) | instid1(VALU_DEP_2)
	v_pk_add_f32 v[64:65], v[64:65], v[130:131] neg_lo:[0,1] neg_hi:[0,1]
	v_pk_fma_f32 v[128:129], v[126:127], v[114:115], v[124:125] op_sel:[0,0,1] op_sel_hi:[1,1,0] neg_lo:[0,0,1] neg_hi:[0,0,1]
	v_pk_fma_f32 v[124:125], v[126:127], v[114:115], v[124:125] op_sel:[0,0,1] op_sel_hi:[1,0,0]
	s_delay_alu instid0(VALU_DEP_1) | instskip(SKIP_4) | instid1(VALU_DEP_1)
	v_mov_b32_e32 v129, v125
	ds_load_2addr_b64 v[124:127], v118 offset0:19 offset1:20
	v_pk_add_f32 v[68:69], v[68:69], v[128:129] neg_lo:[0,1] neg_hi:[0,1]
	s_wait_dscnt 0x0
	v_pk_mul_f32 v[128:129], v[124:125], v[116:117] op_sel:[0,1]
	v_pk_fma_f32 v[130:131], v[124:125], v[114:115], v[128:129] op_sel:[0,0,1] op_sel_hi:[1,1,0] neg_lo:[0,0,1] neg_hi:[0,0,1]
	v_pk_fma_f32 v[124:125], v[124:125], v[114:115], v[128:129] op_sel:[0,0,1] op_sel_hi:[1,0,0]
	v_dual_mul_f32 v128, v127, v117 :: v_dual_mov_b32 v124, v127
	s_delay_alu instid0(VALU_DEP_2) | instskip(NEXT) | instid1(VALU_DEP_2)
	v_dual_mov_b32 v131, v125 :: v_dual_mov_b32 v125, v126
	v_pk_fma_f32 v[128:129], v[126:127], v[48:49], v[128:129] op_sel_hi:[1,1,0] neg_lo:[0,0,1] neg_hi:[0,0,1]
	v_mul_f32_e32 v126, v127, v114
	s_delay_alu instid0(VALU_DEP_3) | instskip(NEXT) | instid1(VALU_DEP_2)
	v_pk_add_f32 v[62:63], v[62:63], v[130:131] neg_lo:[0,1] neg_hi:[0,1]
	v_pk_fma_f32 v[124:125], v[124:125], v[48:49], v[126:127] op_sel_hi:[1,1,0]
	s_delay_alu instid0(VALU_DEP_1) | instskip(SKIP_4) | instid1(VALU_DEP_1)
	v_mov_b32_e32 v129, v125
	ds_load_2addr_b64 v[124:127], v118 offset0:21 offset1:22
	v_pk_add_f32 v[96:97], v[96:97], v[128:129] neg_lo:[0,1] neg_hi:[0,1]
	s_wait_dscnt 0x0
	v_pk_mul_f32 v[128:129], v[124:125], v[116:117] op_sel:[0,1]
	v_pk_fma_f32 v[130:131], v[124:125], v[114:115], v[128:129] op_sel:[0,0,1] op_sel_hi:[1,1,0] neg_lo:[0,0,1] neg_hi:[0,0,1]
	v_pk_fma_f32 v[124:125], v[124:125], v[114:115], v[128:129] op_sel:[0,0,1] op_sel_hi:[1,0,0]
	s_delay_alu instid0(VALU_DEP_1) | instskip(SKIP_1) | instid1(VALU_DEP_1)
	v_mov_b32_e32 v131, v125
	v_pk_mul_f32 v[124:125], v[126:127], v[116:117] op_sel:[0,1]
	v_pk_fma_f32 v[128:129], v[126:127], v[114:115], v[124:125] op_sel:[0,0,1] op_sel_hi:[1,1,0] neg_lo:[0,0,1] neg_hi:[0,0,1]
	v_pk_fma_f32 v[124:125], v[126:127], v[114:115], v[124:125] op_sel:[0,0,1] op_sel_hi:[1,0,0]
	s_delay_alu instid0(VALU_DEP_1)
	v_mov_b32_e32 v129, v125
	ds_load_2addr_b64 v[124:127], v118 offset0:23 offset1:24
	v_pk_add_f32 v[58:59], v[58:59], v[130:131] neg_lo:[0,1] neg_hi:[0,1]
	v_pk_add_f32 v[60:61], v[60:61], v[128:129] neg_lo:[0,1] neg_hi:[0,1]
	s_wait_dscnt 0x0
	v_pk_mul_f32 v[128:129], v[124:125], v[116:117] op_sel:[0,1]
	s_delay_alu instid0(VALU_DEP_1) | instskip(SKIP_1) | instid1(VALU_DEP_1)
	v_pk_fma_f32 v[130:131], v[124:125], v[114:115], v[128:129] op_sel:[0,0,1] op_sel_hi:[1,1,0] neg_lo:[0,0,1] neg_hi:[0,0,1]
	v_pk_fma_f32 v[124:125], v[124:125], v[114:115], v[128:129] op_sel:[0,0,1] op_sel_hi:[1,0,0]
	v_mov_b32_e32 v131, v125
	v_pk_mul_f32 v[124:125], v[126:127], v[116:117] op_sel:[0,1]
	s_delay_alu instid0(VALU_DEP_1) | instskip(SKIP_1) | instid1(VALU_DEP_1)
	v_pk_fma_f32 v[128:129], v[126:127], v[114:115], v[124:125] op_sel:[0,0,1] op_sel_hi:[1,1,0] neg_lo:[0,0,1] neg_hi:[0,0,1]
	v_pk_fma_f32 v[124:125], v[126:127], v[114:115], v[124:125] op_sel:[0,0,1] op_sel_hi:[1,0,0]
	v_mov_b32_e32 v129, v125
	ds_load_2addr_b64 v[124:127], v118 offset0:25 offset1:26
	v_pk_add_f32 v[56:57], v[56:57], v[130:131] neg_lo:[0,1] neg_hi:[0,1]
	v_pk_add_f32 v[94:95], v[94:95], v[128:129] neg_lo:[0,1] neg_hi:[0,1]
	s_wait_dscnt 0x0
	v_dual_mul_f32 v128, v125, v117 :: v_dual_mul_f32 v130, v125, v114
	s_delay_alu instid0(VALU_DEP_1) | instskip(NEXT) | instid1(VALU_DEP_2)
	v_pk_fma_f32 v[128:129], v[124:125], v[48:49], v[128:129] op_sel_hi:[1,1,0] neg_lo:[0,0,1] neg_hi:[0,0,1]
	v_pk_fma_f32 v[124:125], v[124:125], v[48:49], v[130:131] op_sel:[1,0,0] op_sel_hi:[0,1,0]
	s_delay_alu instid0(VALU_DEP_1) | instskip(SKIP_1) | instid1(VALU_DEP_2)
	v_mov_b32_e32 v129, v125
	v_pk_mul_f32 v[124:125], v[126:127], v[116:117] op_sel:[0,1]
	v_pk_add_f32 v[52:53], v[52:53], v[128:129] neg_lo:[0,1] neg_hi:[0,1]
	s_delay_alu instid0(VALU_DEP_2) | instskip(SKIP_1) | instid1(VALU_DEP_1)
	v_pk_fma_f32 v[128:129], v[126:127], v[114:115], v[124:125] op_sel:[0,0,1] op_sel_hi:[1,1,0] neg_lo:[0,0,1] neg_hi:[0,0,1]
	v_pk_fma_f32 v[124:125], v[126:127], v[114:115], v[124:125] op_sel:[0,0,1] op_sel_hi:[1,0,0]
	v_mov_b32_e32 v129, v125
	ds_load_2addr_b64 v[124:127], v118 offset0:27 offset1:28
	v_pk_add_f32 v[54:55], v[54:55], v[128:129] neg_lo:[0,1] neg_hi:[0,1]
	s_wait_dscnt 0x0
	v_pk_mul_f32 v[128:129], v[124:125], v[116:117] op_sel:[0,1]
	s_delay_alu instid0(VALU_DEP_1) | instskip(SKIP_1) | instid1(VALU_DEP_1)
	v_pk_fma_f32 v[130:131], v[124:125], v[114:115], v[128:129] op_sel:[0,0,1] op_sel_hi:[1,1,0] neg_lo:[0,0,1] neg_hi:[0,0,1]
	v_pk_fma_f32 v[124:125], v[124:125], v[114:115], v[128:129] op_sel:[0,0,1] op_sel_hi:[1,0,0]
	v_mov_b32_e32 v131, v125
	v_pk_mul_f32 v[124:125], v[126:127], v[116:117] op_sel:[0,1]
	s_delay_alu instid0(VALU_DEP_2) | instskip(NEXT) | instid1(VALU_DEP_2)
	v_pk_add_f32 v[50:51], v[50:51], v[130:131] neg_lo:[0,1] neg_hi:[0,1]
	v_pk_fma_f32 v[128:129], v[126:127], v[114:115], v[124:125] op_sel:[0,0,1] op_sel_hi:[1,1,0] neg_lo:[0,0,1] neg_hi:[0,0,1]
	v_pk_fma_f32 v[124:125], v[126:127], v[114:115], v[124:125] op_sel:[0,0,1] op_sel_hi:[1,0,0]
	s_delay_alu instid0(VALU_DEP_1) | instskip(SKIP_4) | instid1(VALU_DEP_1)
	v_mov_b32_e32 v129, v125
	ds_load_2addr_b64 v[124:127], v118 offset0:29 offset1:30
	v_pk_add_f32 v[90:91], v[90:91], v[128:129] neg_lo:[0,1] neg_hi:[0,1]
	s_wait_dscnt 0x0
	v_pk_mul_f32 v[128:129], v[124:125], v[116:117] op_sel:[0,1]
	v_pk_fma_f32 v[130:131], v[124:125], v[114:115], v[128:129] op_sel:[0,0,1] op_sel_hi:[1,1,0] neg_lo:[0,0,1] neg_hi:[0,0,1]
	v_pk_fma_f32 v[124:125], v[124:125], v[114:115], v[128:129] op_sel:[0,0,1] op_sel_hi:[1,0,0]
	v_dual_mul_f32 v128, v127, v117 :: v_dual_mov_b32 v124, v127
	s_delay_alu instid0(VALU_DEP_2) | instskip(NEXT) | instid1(VALU_DEP_2)
	v_dual_mov_b32 v131, v125 :: v_dual_mov_b32 v125, v126
	v_pk_fma_f32 v[128:129], v[126:127], v[48:49], v[128:129] op_sel_hi:[1,1,0] neg_lo:[0,0,1] neg_hi:[0,0,1]
	v_mul_f32_e32 v126, v127, v114
	s_delay_alu instid0(VALU_DEP_3) | instskip(NEXT) | instid1(VALU_DEP_2)
	v_pk_add_f32 v[38:39], v[38:39], v[130:131] neg_lo:[0,1] neg_hi:[0,1]
	v_pk_fma_f32 v[124:125], v[124:125], v[48:49], v[126:127] op_sel_hi:[1,1,0]
	s_delay_alu instid0(VALU_DEP_1) | instskip(SKIP_4) | instid1(VALU_DEP_1)
	v_mov_b32_e32 v129, v125
	ds_load_2addr_b64 v[124:127], v118 offset0:31 offset1:32
	v_pk_add_f32 v[40:41], v[40:41], v[128:129] neg_lo:[0,1] neg_hi:[0,1]
	s_wait_dscnt 0x0
	v_pk_mul_f32 v[128:129], v[124:125], v[116:117] op_sel:[0,1]
	v_pk_fma_f32 v[130:131], v[124:125], v[114:115], v[128:129] op_sel:[0,0,1] op_sel_hi:[1,1,0] neg_lo:[0,0,1] neg_hi:[0,0,1]
	v_pk_fma_f32 v[124:125], v[124:125], v[114:115], v[128:129] op_sel:[0,0,1] op_sel_hi:[1,0,0]
	s_delay_alu instid0(VALU_DEP_1) | instskip(SKIP_1) | instid1(VALU_DEP_1)
	v_mov_b32_e32 v131, v125
	v_pk_mul_f32 v[124:125], v[126:127], v[116:117] op_sel:[0,1]
	v_pk_fma_f32 v[128:129], v[126:127], v[114:115], v[124:125] op_sel:[0,0,1] op_sel_hi:[1,1,0] neg_lo:[0,0,1] neg_hi:[0,0,1]
	v_pk_fma_f32 v[124:125], v[126:127], v[114:115], v[124:125] op_sel:[0,0,1] op_sel_hi:[1,0,0]
	s_delay_alu instid0(VALU_DEP_1)
	v_mov_b32_e32 v129, v125
	ds_load_2addr_b64 v[124:127], v118 offset0:33 offset1:34
	v_pk_add_f32 v[36:37], v[36:37], v[130:131] neg_lo:[0,1] neg_hi:[0,1]
	v_pk_add_f32 v[88:89], v[88:89], v[128:129] neg_lo:[0,1] neg_hi:[0,1]
	s_wait_dscnt 0x0
	v_pk_mul_f32 v[128:129], v[124:125], v[116:117] op_sel:[0,1]
	s_delay_alu instid0(VALU_DEP_1) | instskip(SKIP_1) | instid1(VALU_DEP_1)
	v_pk_fma_f32 v[130:131], v[124:125], v[114:115], v[128:129] op_sel:[0,0,1] op_sel_hi:[1,1,0] neg_lo:[0,0,1] neg_hi:[0,0,1]
	v_pk_fma_f32 v[124:125], v[124:125], v[114:115], v[128:129] op_sel:[0,0,1] op_sel_hi:[1,0,0]
	v_mov_b32_e32 v131, v125
	v_pk_mul_f32 v[124:125], v[126:127], v[116:117] op_sel:[0,1]
	s_delay_alu instid0(VALU_DEP_1) | instskip(SKIP_1) | instid1(VALU_DEP_1)
	v_pk_fma_f32 v[128:129], v[126:127], v[114:115], v[124:125] op_sel:[0,0,1] op_sel_hi:[1,1,0] neg_lo:[0,0,1] neg_hi:[0,0,1]
	v_pk_fma_f32 v[124:125], v[126:127], v[114:115], v[124:125] op_sel:[0,0,1] op_sel_hi:[1,0,0]
	v_mov_b32_e32 v129, v125
	ds_load_2addr_b64 v[124:127], v118 offset0:35 offset1:36
	v_pk_add_f32 v[32:33], v[32:33], v[130:131] neg_lo:[0,1] neg_hi:[0,1]
	v_pk_add_f32 v[34:35], v[34:35], v[128:129] neg_lo:[0,1] neg_hi:[0,1]
	s_wait_dscnt 0x0
	v_dual_mul_f32 v128, v125, v117 :: v_dual_mul_f32 v130, v125, v114
	s_delay_alu instid0(VALU_DEP_1) | instskip(NEXT) | instid1(VALU_DEP_2)
	v_pk_fma_f32 v[128:129], v[124:125], v[48:49], v[128:129] op_sel_hi:[1,1,0] neg_lo:[0,0,1] neg_hi:[0,0,1]
	v_pk_fma_f32 v[124:125], v[124:125], v[48:49], v[130:131] op_sel:[1,0,0] op_sel_hi:[0,1,0]
	s_delay_alu instid0(VALU_DEP_1) | instskip(SKIP_1) | instid1(VALU_DEP_2)
	v_mov_b32_e32 v129, v125
	v_pk_mul_f32 v[124:125], v[126:127], v[116:117] op_sel:[0,1]
	v_pk_add_f32 v[30:31], v[30:31], v[128:129] neg_lo:[0,1] neg_hi:[0,1]
	s_delay_alu instid0(VALU_DEP_2) | instskip(SKIP_1) | instid1(VALU_DEP_1)
	v_pk_fma_f32 v[128:129], v[126:127], v[114:115], v[124:125] op_sel:[0,0,1] op_sel_hi:[1,1,0] neg_lo:[0,0,1] neg_hi:[0,0,1]
	v_pk_fma_f32 v[124:125], v[126:127], v[114:115], v[124:125] op_sel:[0,0,1] op_sel_hi:[1,0,0]
	v_mov_b32_e32 v129, v125
	ds_load_2addr_b64 v[124:127], v118 offset0:37 offset1:38
	v_pk_add_f32 v[86:87], v[86:87], v[128:129] neg_lo:[0,1] neg_hi:[0,1]
	s_wait_dscnt 0x0
	v_pk_mul_f32 v[128:129], v[124:125], v[116:117] op_sel:[0,1]
	s_delay_alu instid0(VALU_DEP_1) | instskip(SKIP_1) | instid1(VALU_DEP_1)
	v_pk_fma_f32 v[130:131], v[124:125], v[114:115], v[128:129] op_sel:[0,0,1] op_sel_hi:[1,1,0] neg_lo:[0,0,1] neg_hi:[0,0,1]
	v_pk_fma_f32 v[124:125], v[124:125], v[114:115], v[128:129] op_sel:[0,0,1] op_sel_hi:[1,0,0]
	v_mov_b32_e32 v131, v125
	v_pk_mul_f32 v[124:125], v[126:127], v[116:117] op_sel:[0,1]
	s_delay_alu instid0(VALU_DEP_2) | instskip(NEXT) | instid1(VALU_DEP_2)
	v_pk_add_f32 v[24:25], v[24:25], v[130:131] neg_lo:[0,1] neg_hi:[0,1]
	v_pk_fma_f32 v[128:129], v[126:127], v[114:115], v[124:125] op_sel:[0,0,1] op_sel_hi:[1,1,0] neg_lo:[0,0,1] neg_hi:[0,0,1]
	v_pk_fma_f32 v[124:125], v[126:127], v[114:115], v[124:125] op_sel:[0,0,1] op_sel_hi:[1,0,0]
	s_delay_alu instid0(VALU_DEP_1) | instskip(SKIP_4) | instid1(VALU_DEP_1)
	v_mov_b32_e32 v129, v125
	ds_load_2addr_b64 v[124:127], v118 offset0:39 offset1:40
	v_pk_add_f32 v[26:27], v[26:27], v[128:129] neg_lo:[0,1] neg_hi:[0,1]
	s_wait_dscnt 0x0
	v_pk_mul_f32 v[128:129], v[124:125], v[116:117] op_sel:[0,1]
	v_pk_fma_f32 v[130:131], v[124:125], v[114:115], v[128:129] op_sel:[0,0,1] op_sel_hi:[1,1,0] neg_lo:[0,0,1] neg_hi:[0,0,1]
	v_pk_fma_f32 v[124:125], v[124:125], v[114:115], v[128:129] op_sel:[0,0,1] op_sel_hi:[1,0,0]
	v_dual_mul_f32 v128, v127, v117 :: v_dual_mov_b32 v124, v127
	s_delay_alu instid0(VALU_DEP_2) | instskip(NEXT) | instid1(VALU_DEP_2)
	v_dual_mov_b32 v131, v125 :: v_dual_mov_b32 v125, v126
	v_pk_fma_f32 v[128:129], v[126:127], v[48:49], v[128:129] op_sel_hi:[1,1,0] neg_lo:[0,0,1] neg_hi:[0,0,1]
	v_mul_f32_e32 v126, v127, v114
	s_delay_alu instid0(VALU_DEP_3) | instskip(NEXT) | instid1(VALU_DEP_2)
	v_pk_add_f32 v[22:23], v[22:23], v[130:131] neg_lo:[0,1] neg_hi:[0,1]
	v_pk_fma_f32 v[124:125], v[124:125], v[48:49], v[126:127] op_sel_hi:[1,1,0]
	s_delay_alu instid0(VALU_DEP_1) | instskip(SKIP_4) | instid1(VALU_DEP_1)
	v_mov_b32_e32 v129, v125
	ds_load_2addr_b64 v[124:127], v118 offset0:41 offset1:42
	v_pk_add_f32 v[84:85], v[84:85], v[128:129] neg_lo:[0,1] neg_hi:[0,1]
	s_wait_dscnt 0x0
	v_pk_mul_f32 v[128:129], v[124:125], v[116:117] op_sel:[0,1]
	v_pk_fma_f32 v[130:131], v[124:125], v[114:115], v[128:129] op_sel:[0,0,1] op_sel_hi:[1,1,0] neg_lo:[0,0,1] neg_hi:[0,0,1]
	v_pk_fma_f32 v[124:125], v[124:125], v[114:115], v[128:129] op_sel:[0,0,1] op_sel_hi:[1,0,0]
	s_delay_alu instid0(VALU_DEP_1) | instskip(SKIP_1) | instid1(VALU_DEP_1)
	v_mov_b32_e32 v131, v125
	v_pk_mul_f32 v[124:125], v[126:127], v[116:117] op_sel:[0,1]
	v_pk_fma_f32 v[128:129], v[126:127], v[114:115], v[124:125] op_sel:[0,0,1] op_sel_hi:[1,1,0] neg_lo:[0,0,1] neg_hi:[0,0,1]
	v_pk_fma_f32 v[124:125], v[126:127], v[114:115], v[124:125] op_sel:[0,0,1] op_sel_hi:[1,0,0]
	s_delay_alu instid0(VALU_DEP_1)
	v_mov_b32_e32 v129, v125
	ds_load_2addr_b64 v[124:127], v118 offset0:43 offset1:44
	v_pk_add_f32 v[18:19], v[18:19], v[130:131] neg_lo:[0,1] neg_hi:[0,1]
	v_pk_add_f32 v[20:21], v[20:21], v[128:129] neg_lo:[0,1] neg_hi:[0,1]
	s_wait_dscnt 0x0
	v_pk_mul_f32 v[128:129], v[124:125], v[116:117] op_sel:[0,1]
	s_delay_alu instid0(VALU_DEP_1) | instskip(SKIP_1) | instid1(VALU_DEP_1)
	v_pk_fma_f32 v[130:131], v[124:125], v[114:115], v[128:129] op_sel:[0,0,1] op_sel_hi:[1,1,0] neg_lo:[0,0,1] neg_hi:[0,0,1]
	v_pk_fma_f32 v[124:125], v[124:125], v[114:115], v[128:129] op_sel:[0,0,1] op_sel_hi:[1,0,0]
	v_mov_b32_e32 v131, v125
	v_pk_mul_f32 v[124:125], v[126:127], v[116:117] op_sel:[0,1]
	s_delay_alu instid0(VALU_DEP_1) | instskip(SKIP_1) | instid1(VALU_DEP_1)
	v_pk_fma_f32 v[128:129], v[126:127], v[114:115], v[124:125] op_sel:[0,0,1] op_sel_hi:[1,1,0] neg_lo:[0,0,1] neg_hi:[0,0,1]
	v_pk_fma_f32 v[124:125], v[126:127], v[114:115], v[124:125] op_sel:[0,0,1] op_sel_hi:[1,0,0]
	v_mov_b32_e32 v129, v125
	ds_load_2addr_b64 v[124:127], v118 offset0:45 offset1:46
	v_pk_add_f32 v[16:17], v[16:17], v[130:131] neg_lo:[0,1] neg_hi:[0,1]
	v_pk_add_f32 v[82:83], v[82:83], v[128:129] neg_lo:[0,1] neg_hi:[0,1]
	s_wait_dscnt 0x0
	v_dual_mul_f32 v128, v125, v117 :: v_dual_mul_f32 v130, v125, v114
	s_delay_alu instid0(VALU_DEP_1) | instskip(NEXT) | instid1(VALU_DEP_2)
	v_pk_fma_f32 v[128:129], v[124:125], v[48:49], v[128:129] op_sel_hi:[1,1,0] neg_lo:[0,0,1] neg_hi:[0,0,1]
	v_pk_fma_f32 v[124:125], v[124:125], v[48:49], v[130:131] op_sel:[1,0,0] op_sel_hi:[0,1,0]
	s_delay_alu instid0(VALU_DEP_1) | instskip(SKIP_1) | instid1(VALU_DEP_2)
	v_mov_b32_e32 v129, v125
	v_pk_mul_f32 v[124:125], v[126:127], v[116:117] op_sel:[0,1]
	v_pk_add_f32 v[10:11], v[10:11], v[128:129] neg_lo:[0,1] neg_hi:[0,1]
	s_delay_alu instid0(VALU_DEP_2) | instskip(SKIP_1) | instid1(VALU_DEP_1)
	v_pk_fma_f32 v[128:129], v[126:127], v[114:115], v[124:125] op_sel:[0,0,1] op_sel_hi:[1,1,0] neg_lo:[0,0,1] neg_hi:[0,0,1]
	v_pk_fma_f32 v[124:125], v[126:127], v[114:115], v[124:125] op_sel:[0,0,1] op_sel_hi:[1,0,0]
	v_mov_b32_e32 v129, v125
	ds_load_2addr_b64 v[124:127], v118 offset0:47 offset1:48
	v_pk_add_f32 v[12:13], v[12:13], v[128:129] neg_lo:[0,1] neg_hi:[0,1]
	s_wait_dscnt 0x0
	v_pk_mul_f32 v[128:129], v[124:125], v[116:117] op_sel:[0,1]
	s_delay_alu instid0(VALU_DEP_1) | instskip(SKIP_1) | instid1(VALU_DEP_1)
	v_pk_fma_f32 v[130:131], v[124:125], v[114:115], v[128:129] op_sel:[0,0,1] op_sel_hi:[1,1,0] neg_lo:[0,0,1] neg_hi:[0,0,1]
	v_pk_fma_f32 v[124:125], v[124:125], v[114:115], v[128:129] op_sel:[0,0,1] op_sel_hi:[1,0,0]
	v_mov_b32_e32 v131, v125
	v_pk_mul_f32 v[124:125], v[126:127], v[116:117] op_sel:[0,1]
	s_delay_alu instid0(VALU_DEP_2) | instskip(NEXT) | instid1(VALU_DEP_2)
	v_pk_add_f32 v[8:9], v[8:9], v[130:131] neg_lo:[0,1] neg_hi:[0,1]
	v_pk_fma_f32 v[128:129], v[126:127], v[114:115], v[124:125] op_sel:[0,0,1] op_sel_hi:[1,1,0] neg_lo:[0,0,1] neg_hi:[0,0,1]
	v_pk_fma_f32 v[124:125], v[126:127], v[114:115], v[124:125] op_sel:[0,0,1] op_sel_hi:[1,0,0]
	s_delay_alu instid0(VALU_DEP_1) | instskip(SKIP_4) | instid1(VALU_DEP_1)
	v_mov_b32_e32 v129, v125
	ds_load_2addr_b64 v[124:127], v118 offset0:49 offset1:50
	v_pk_add_f32 v[66:67], v[66:67], v[128:129] neg_lo:[0,1] neg_hi:[0,1]
	s_wait_dscnt 0x0
	v_pk_mul_f32 v[128:129], v[124:125], v[116:117] op_sel:[0,1]
	v_pk_fma_f32 v[130:131], v[124:125], v[114:115], v[128:129] op_sel:[0,0,1] op_sel_hi:[1,1,0] neg_lo:[0,0,1] neg_hi:[0,0,1]
	v_pk_fma_f32 v[124:125], v[124:125], v[114:115], v[128:129] op_sel:[0,0,1] op_sel_hi:[1,0,0]
	v_dual_mul_f32 v128, v127, v117 :: v_dual_mov_b32 v124, v127
	s_delay_alu instid0(VALU_DEP_2) | instskip(NEXT) | instid1(VALU_DEP_2)
	v_dual_mov_b32 v131, v125 :: v_dual_mov_b32 v125, v126
	v_pk_fma_f32 v[128:129], v[126:127], v[48:49], v[128:129] op_sel_hi:[1,1,0] neg_lo:[0,0,1] neg_hi:[0,0,1]
	v_mul_f32_e32 v126, v127, v114
	s_delay_alu instid0(VALU_DEP_3) | instskip(NEXT) | instid1(VALU_DEP_2)
	v_pk_add_f32 v[6:7], v[6:7], v[130:131] neg_lo:[0,1] neg_hi:[0,1]
	v_pk_fma_f32 v[124:125], v[124:125], v[48:49], v[126:127] op_sel_hi:[1,1,0]
	s_delay_alu instid0(VALU_DEP_1) | instskip(SKIP_4) | instid1(VALU_DEP_1)
	v_mov_b32_e32 v129, v125
	ds_load_2addr_b64 v[124:127], v118 offset0:51 offset1:52
	v_pk_add_f32 v[46:47], v[46:47], v[128:129] neg_lo:[0,1] neg_hi:[0,1]
	s_wait_dscnt 0x0
	v_pk_mul_f32 v[128:129], v[124:125], v[116:117] op_sel:[0,1]
	v_pk_fma_f32 v[130:131], v[124:125], v[114:115], v[128:129] op_sel:[0,0,1] op_sel_hi:[1,1,0] neg_lo:[0,0,1] neg_hi:[0,0,1]
	v_pk_fma_f32 v[124:125], v[124:125], v[114:115], v[128:129] op_sel:[0,0,1] op_sel_hi:[1,0,0]
	s_delay_alu instid0(VALU_DEP_1) | instskip(SKIP_1) | instid1(VALU_DEP_1)
	v_mov_b32_e32 v131, v125
	v_pk_mul_f32 v[124:125], v[126:127], v[116:117] op_sel:[0,1]
	v_pk_fma_f32 v[128:129], v[126:127], v[114:115], v[124:125] op_sel:[0,0,1] op_sel_hi:[1,1,0] neg_lo:[0,0,1] neg_hi:[0,0,1]
	v_pk_fma_f32 v[124:125], v[126:127], v[114:115], v[124:125] op_sel:[0,0,1] op_sel_hi:[1,0,0]
	s_delay_alu instid0(VALU_DEP_1)
	v_mov_b32_e32 v129, v125
	ds_load_b64 v[124:125], v118 offset:424
	v_pk_add_f32 v[28:29], v[28:29], v[130:131] neg_lo:[0,1] neg_hi:[0,1]
	v_pk_add_f32 v[14:15], v[14:15], v[128:129] neg_lo:[0,1] neg_hi:[0,1]
	s_wait_dscnt 0x0
	v_pk_mul_f32 v[116:117], v[124:125], v[116:117] op_sel:[0,1]
	s_delay_alu instid0(VALU_DEP_1) | instskip(SKIP_1) | instid1(VALU_DEP_1)
	v_pk_fma_f32 v[126:127], v[124:125], v[114:115], v[116:117] op_sel:[0,0,1] op_sel_hi:[1,1,0] neg_lo:[0,0,1] neg_hi:[0,0,1]
	v_pk_fma_f32 v[114:115], v[124:125], v[114:115], v[116:117] op_sel:[0,0,1] op_sel_hi:[1,0,0]
	v_mov_b32_e32 v127, v115
	s_delay_alu instid0(VALU_DEP_1)
	v_pk_add_f32 v[112:113], v[112:113], v[126:127] neg_lo:[0,1] neg_hi:[0,1]
.LBB106_146:
	s_or_b32 exec_lo, exec_lo, s0
	v_lshl_add_u32 v114, v122, 3, v118
	s_barrier_signal -1
	s_barrier_wait -1
	ds_store_b64 v114, v[42:43]
	s_wait_dscnt 0x0
	s_barrier_signal -1
	s_barrier_wait -1
	ds_load_b64 v[116:117], v118 offset:56
	v_mov_b32_e32 v114, 7
	s_cmp_lt_i32 s18, 9
	s_cbranch_scc1 .LBB106_149
; %bb.147:
	v_add3_u32 v115, v119, 0, 64
	v_mov_b32_e32 v114, 7
	s_mov_b32 s0, 8
.LBB106_148:                            ; =>This Inner Loop Header: Depth=1
	ds_load_b64 v[124:125], v115
	s_wait_dscnt 0x1
	v_cmp_gt_f32_e32 vcc_lo, 0, v116
	v_cndmask_b32_e64 v126, v116, -v116, vcc_lo
	v_cmp_gt_f32_e32 vcc_lo, 0, v117
	v_cndmask_b32_e64 v128, v117, -v117, vcc_lo
	s_wait_dscnt 0x0
	v_cmp_gt_f32_e32 vcc_lo, 0, v124
	v_cndmask_b32_e64 v127, v124, -v124, vcc_lo
	v_cmp_gt_f32_e32 vcc_lo, 0, v125
	v_cndmask_b32_e64 v129, v125, -v125, vcc_lo
	s_delay_alu instid0(VALU_DEP_1) | instskip(NEXT) | instid1(VALU_DEP_1)
	v_pk_add_f32 v[126:127], v[126:127], v[128:129]
	v_cmp_lt_f32_e32 vcc_lo, v126, v127
	v_dual_add_nc_u32 v115, 8, v115 :: v_dual_cndmask_b32 v117, v117, v125, vcc_lo
	v_cndmask_b32_e32 v116, v116, v124, vcc_lo
	v_cndmask_b32_e64 v114, v114, s0, vcc_lo
	s_add_co_i32 s0, s0, 1
	s_delay_alu instid0(SALU_CYCLE_1)
	s_cmp_lg_u32 s18, s0
	s_cbranch_scc1 .LBB106_148
.LBB106_149:
	s_wait_dscnt 0x0
	v_cmp_eq_f32_e32 vcc_lo, 0, v116
	v_cmp_eq_f32_e64 s0, 0, v117
	s_and_b32 s0, vcc_lo, s0
	s_delay_alu instid0(SALU_CYCLE_1) | instskip(NEXT) | instid1(SALU_CYCLE_1)
	s_and_saveexec_b32 s1, s0
	s_xor_b32 s0, exec_lo, s1
; %bb.150:
	v_cmp_ne_u32_e32 vcc_lo, 0, v120
	v_cndmask_b32_e32 v120, 8, v120, vcc_lo
; %bb.151:
	s_and_not1_saveexec_b32 s0, s0
	s_cbranch_execz .LBB106_157
; %bb.152:
	v_cmp_ngt_f32_e64 s1, |v116|, |v117|
	s_and_saveexec_b32 s12, s1
	s_delay_alu instid0(SALU_CYCLE_1)
	s_xor_b32 s1, exec_lo, s12
	s_cbranch_execz .LBB106_154
; %bb.153:
	v_div_scale_f32 v115, null, v117, v117, v116
	v_div_scale_f32 v125, vcc_lo, v116, v117, v116
	s_delay_alu instid0(VALU_DEP_2) | instskip(SKIP_1) | instid1(TRANS32_DEP_1)
	v_rcp_f32_e32 v123, v115
	v_nop
	v_fma_f32 v124, -v115, v123, 1.0
	s_delay_alu instid0(VALU_DEP_1) | instskip(NEXT) | instid1(VALU_DEP_1)
	v_fmac_f32_e32 v123, v124, v123
	v_mul_f32_e32 v124, v125, v123
	s_delay_alu instid0(VALU_DEP_1) | instskip(NEXT) | instid1(VALU_DEP_1)
	v_fma_f32 v126, -v115, v124, v125
	v_fmac_f32_e32 v124, v126, v123
	s_delay_alu instid0(VALU_DEP_1) | instskip(NEXT) | instid1(VALU_DEP_1)
	v_fma_f32 v115, -v115, v124, v125
	v_div_fmas_f32 v115, v115, v123, v124
	s_delay_alu instid0(VALU_DEP_1) | instskip(NEXT) | instid1(VALU_DEP_1)
	v_div_fixup_f32 v115, v115, v117, v116
	v_fmac_f32_e32 v117, v116, v115
	s_delay_alu instid0(VALU_DEP_1) | instskip(SKIP_1) | instid1(VALU_DEP_2)
	v_div_scale_f32 v116, null, v117, v117, 1.0
	v_div_scale_f32 v125, vcc_lo, 1.0, v117, 1.0
	v_rcp_f32_e32 v123, v116
	v_nop
	s_delay_alu instid0(TRANS32_DEP_1) | instskip(NEXT) | instid1(VALU_DEP_1)
	v_fma_f32 v124, -v116, v123, 1.0
	v_fmac_f32_e32 v123, v124, v123
	s_delay_alu instid0(VALU_DEP_1) | instskip(NEXT) | instid1(VALU_DEP_1)
	v_mul_f32_e32 v124, v125, v123
	v_fma_f32 v126, -v116, v124, v125
	s_delay_alu instid0(VALU_DEP_1) | instskip(NEXT) | instid1(VALU_DEP_1)
	v_fmac_f32_e32 v124, v126, v123
	v_fma_f32 v116, -v116, v124, v125
	s_delay_alu instid0(VALU_DEP_1) | instskip(NEXT) | instid1(VALU_DEP_1)
	v_div_fmas_f32 v116, v116, v123, v124
	v_div_fixup_f32 v117, v116, v117, 1.0
	s_delay_alu instid0(VALU_DEP_1)
	v_mul_f32_e32 v116, v115, v117
	v_xor_b32_e32 v117, 0x80000000, v117
.LBB106_154:
	s_and_not1_saveexec_b32 s1, s1
	s_cbranch_execz .LBB106_156
; %bb.155:
	s_delay_alu instid0(VALU_DEP_1) | instskip(SKIP_1) | instid1(VALU_DEP_2)
	v_div_scale_f32 v115, null, v116, v116, v117
	v_div_scale_f32 v125, vcc_lo, v117, v116, v117
	v_rcp_f32_e32 v123, v115
	v_nop
	s_delay_alu instid0(TRANS32_DEP_1) | instskip(NEXT) | instid1(VALU_DEP_1)
	v_fma_f32 v124, -v115, v123, 1.0
	v_fmac_f32_e32 v123, v124, v123
	s_delay_alu instid0(VALU_DEP_1) | instskip(NEXT) | instid1(VALU_DEP_1)
	v_mul_f32_e32 v124, v125, v123
	v_fma_f32 v126, -v115, v124, v125
	s_delay_alu instid0(VALU_DEP_1) | instskip(NEXT) | instid1(VALU_DEP_1)
	v_fmac_f32_e32 v124, v126, v123
	v_fma_f32 v115, -v115, v124, v125
	s_delay_alu instid0(VALU_DEP_1) | instskip(NEXT) | instid1(VALU_DEP_1)
	v_div_fmas_f32 v115, v115, v123, v124
	v_div_fixup_f32 v115, v115, v116, v117
	s_delay_alu instid0(VALU_DEP_1) | instskip(NEXT) | instid1(VALU_DEP_1)
	v_fmac_f32_e32 v116, v117, v115
	v_div_scale_f32 v117, null, v116, v116, 1.0
	s_delay_alu instid0(VALU_DEP_1) | instskip(SKIP_1) | instid1(TRANS32_DEP_1)
	v_rcp_f32_e32 v123, v117
	v_nop
	v_fma_f32 v124, -v117, v123, 1.0
	s_delay_alu instid0(VALU_DEP_1) | instskip(SKIP_1) | instid1(VALU_DEP_1)
	v_fmac_f32_e32 v123, v124, v123
	v_div_scale_f32 v124, vcc_lo, 1.0, v116, 1.0
	v_mul_f32_e32 v125, v124, v123
	s_delay_alu instid0(VALU_DEP_1) | instskip(NEXT) | instid1(VALU_DEP_1)
	v_fma_f32 v126, -v117, v125, v124
	v_fmac_f32_e32 v125, v126, v123
	s_delay_alu instid0(VALU_DEP_1) | instskip(NEXT) | instid1(VALU_DEP_1)
	v_fma_f32 v117, -v117, v125, v124
	v_div_fmas_f32 v117, v117, v123, v125
	s_delay_alu instid0(VALU_DEP_1) | instskip(NEXT) | instid1(VALU_DEP_1)
	v_div_fixup_f32 v116, v117, v116, 1.0
	v_mul_f32_e64 v117, v115, -v116
.LBB106_156:
	s_or_b32 exec_lo, exec_lo, s1
.LBB106_157:
	s_delay_alu instid0(SALU_CYCLE_1) | instskip(NEXT) | instid1(SALU_CYCLE_1)
	s_or_b32 exec_lo, exec_lo, s0
	s_mov_b32 s0, exec_lo
	v_cmpx_ne_u32_e64 v122, v114
	s_xor_b32 s0, exec_lo, s0
	s_cbranch_execz .LBB106_163
; %bb.158:
	s_mov_b32 s1, exec_lo
	v_cmpx_eq_u32_e32 7, v122
	s_cbranch_execz .LBB106_162
; %bb.159:
	v_cmp_ne_u32_e32 vcc_lo, 7, v114
	s_xor_b32 s12, s16, -1
	s_delay_alu instid0(SALU_CYCLE_1) | instskip(NEXT) | instid1(SALU_CYCLE_1)
	s_and_b32 s13, s12, vcc_lo
	s_and_saveexec_b32 s12, s13
	s_cbranch_execz .LBB106_161
; %bb.160:
	v_ashrrev_i32_e32 v115, 31, v114
	s_delay_alu instid0(VALU_DEP_1)
	v_lshl_add_u64 v[122:123], v[114:115], 2, v[4:5]
	s_clause 0x1
	global_load_b32 v115, v[122:123], off
	global_load_b32 v121, v[4:5], off offset:28
	s_wait_loadcnt 0x1
	global_store_b32 v[4:5], v115, off offset:28
	s_wait_loadcnt 0x0
	global_store_b32 v[122:123], v121, off
.LBB106_161:
	s_wait_xcnt 0x0
	s_or_b32 exec_lo, exec_lo, s12
	v_dual_mov_b32 v122, v114 :: v_dual_mov_b32 v121, v114
.LBB106_162:
	s_or_b32 exec_lo, exec_lo, s1
.LBB106_163:
	s_and_not1_saveexec_b32 s0, s0
	s_cbranch_execz .LBB106_165
; %bb.164:
	v_dual_mov_b32 v114, v102 :: v_dual_mov_b32 v115, v103
	v_dual_mov_b32 v122, v78 :: v_dual_mov_b32 v123, v79
	v_dual_mov_b32 v124, v80 :: v_dual_mov_b32 v125, v81
	v_dual_mov_b32 v126, v76 :: v_dual_mov_b32 v127, v77
	v_dual_mov_b32 v128, v100 :: v_dual_mov_b32 v129, v101
	v_dual_mov_b32 v130, v72 :: v_dual_mov_b32 v131, v73
	v_dual_mov_b32 v132, v74 :: v_dual_mov_b32 v133, v75
	v_dual_mov_b32 v134, v70 :: v_dual_mov_b32 v135, v71
	v_dual_mov_b32 v136, v98 :: v_dual_mov_b32 v137, v99
	v_dual_mov_b32 v138, v64 :: v_dual_mov_b32 v139, v65
	v_dual_mov_b32 v140, v68 :: v_dual_mov_b32 v141, v69
	v_dual_mov_b32 v142, v62 :: v_dual_mov_b32 v143, v63
	ds_store_2addr_b64 v118, v[114:115], v[122:123] offset0:8 offset1:9
	ds_store_2addr_b64 v118, v[124:125], v[126:127] offset0:10 offset1:11
	ds_store_2addr_b64 v118, v[128:129], v[130:131] offset0:12 offset1:13
	ds_store_2addr_b64 v118, v[132:133], v[134:135] offset0:14 offset1:15
	ds_store_2addr_b64 v118, v[136:137], v[138:139] offset0:16 offset1:17
	ds_store_2addr_b64 v118, v[140:141], v[142:143] offset0:18 offset1:19
	v_dual_mov_b32 v114, v96 :: v_dual_mov_b32 v115, v97
	v_dual_mov_b32 v122, v58 :: v_dual_mov_b32 v123, v59
	v_dual_mov_b32 v124, v60 :: v_dual_mov_b32 v125, v61
	v_dual_mov_b32 v126, v56 :: v_dual_mov_b32 v127, v57
	v_dual_mov_b32 v128, v94 :: v_dual_mov_b32 v129, v95
	v_dual_mov_b32 v130, v52 :: v_dual_mov_b32 v131, v53
	v_dual_mov_b32 v132, v54 :: v_dual_mov_b32 v133, v55
	v_dual_mov_b32 v134, v50 :: v_dual_mov_b32 v135, v51
	v_dual_mov_b32 v136, v90 :: v_dual_mov_b32 v137, v91
	v_dual_mov_b32 v138, v38 :: v_dual_mov_b32 v139, v39
	v_dual_mov_b32 v140, v40 :: v_dual_mov_b32 v141, v41
	v_dual_mov_b32 v142, v36 :: v_dual_mov_b32 v143, v37
	ds_store_2addr_b64 v118, v[114:115], v[122:123] offset0:20 offset1:21
	ds_store_2addr_b64 v118, v[124:125], v[126:127] offset0:22 offset1:23
	ds_store_2addr_b64 v118, v[128:129], v[130:131] offset0:24 offset1:25
	ds_store_2addr_b64 v118, v[132:133], v[134:135] offset0:26 offset1:27
	ds_store_2addr_b64 v118, v[136:137], v[138:139] offset0:28 offset1:29
	ds_store_2addr_b64 v118, v[140:141], v[142:143] offset0:30 offset1:31
	;; [unrolled: 18-line block ×3, first 2 shown]
	v_dual_mov_b32 v114, v82 :: v_dual_mov_b32 v115, v83
	v_dual_mov_b32 v124, v10 :: v_dual_mov_b32 v125, v11
	;; [unrolled: 1-line block ×9, first 2 shown]
	v_mov_b32_e32 v139, v15
	ds_store_2addr_b64 v118, v[114:115], v[124:125] offset0:44 offset1:45
	ds_store_2addr_b64 v118, v[126:127], v[128:129] offset0:46 offset1:47
	ds_store_2addr_b64 v118, v[130:131], v[132:133] offset0:48 offset1:49
	ds_store_2addr_b64 v118, v[134:135], v[136:137] offset0:50 offset1:51
	ds_store_2addr_b64 v118, v[138:139], v[112:113] offset0:52 offset1:53
.LBB106_165:
	s_or_b32 exec_lo, exec_lo, s0
	s_delay_alu instid0(SALU_CYCLE_1)
	s_mov_b32 s0, exec_lo
	s_wait_storecnt_dscnt 0x0
	s_barrier_signal -1
	s_barrier_wait -1
	v_cmpx_lt_i32_e32 7, v122
	s_cbranch_execz .LBB106_167
; %bb.166:
	v_pk_mul_f32 v[124:125], v[116:117], v[42:43] op_sel:[1,1] op_sel_hi:[0,1]
	s_delay_alu instid0(VALU_DEP_1)
	v_pk_fma_f32 v[114:115], v[116:117], v[42:43], v[124:125] op_sel_hi:[1,0,1] neg_lo:[0,0,1] neg_hi:[0,0,1]
	v_pk_fma_f32 v[116:117], v[116:117], v[42:43], v[124:125] op_sel_hi:[1,0,1]
	ds_load_2addr_b64 v[124:127], v118 offset0:8 offset1:9
	v_dual_mov_b32 v42, v114 :: v_dual_mov_b32 v43, v117
	s_wait_dscnt 0x0
	v_pk_mul_f32 v[128:129], v[124:125], v[116:117] op_sel:[0,1]
	s_delay_alu instid0(VALU_DEP_1) | instskip(SKIP_1) | instid1(VALU_DEP_1)
	v_pk_fma_f32 v[130:131], v[124:125], v[114:115], v[128:129] op_sel:[0,0,1] op_sel_hi:[1,1,0] neg_lo:[0,0,1] neg_hi:[0,0,1]
	v_pk_fma_f32 v[124:125], v[124:125], v[114:115], v[128:129] op_sel:[0,0,1] op_sel_hi:[1,0,0]
	v_mov_b32_e32 v131, v125
	v_pk_mul_f32 v[124:125], v[126:127], v[116:117] op_sel:[0,1]
	s_delay_alu instid0(VALU_DEP_1) | instskip(SKIP_1) | instid1(VALU_DEP_1)
	v_pk_fma_f32 v[128:129], v[126:127], v[114:115], v[124:125] op_sel:[0,0,1] op_sel_hi:[1,1,0] neg_lo:[0,0,1] neg_hi:[0,0,1]
	v_pk_fma_f32 v[124:125], v[126:127], v[114:115], v[124:125] op_sel:[0,0,1] op_sel_hi:[1,0,0]
	v_mov_b32_e32 v129, v125
	ds_load_2addr_b64 v[124:127], v118 offset0:10 offset1:11
	v_pk_add_f32 v[102:103], v[102:103], v[130:131] neg_lo:[0,1] neg_hi:[0,1]
	v_pk_add_f32 v[78:79], v[78:79], v[128:129] neg_lo:[0,1] neg_hi:[0,1]
	s_wait_dscnt 0x0
	v_pk_mul_f32 v[128:129], v[124:125], v[116:117] op_sel:[0,1]
	s_delay_alu instid0(VALU_DEP_1) | instskip(SKIP_2) | instid1(VALU_DEP_2)
	v_pk_fma_f32 v[130:131], v[124:125], v[114:115], v[128:129] op_sel:[0,0,1] op_sel_hi:[1,1,0] neg_lo:[0,0,1] neg_hi:[0,0,1]
	v_pk_fma_f32 v[124:125], v[124:125], v[114:115], v[128:129] op_sel:[0,0,1] op_sel_hi:[1,0,0]
	v_dual_mul_f32 v128, v127, v117 :: v_dual_mov_b32 v124, v127
	v_dual_mov_b32 v131, v125 :: v_dual_mov_b32 v125, v126
	s_delay_alu instid0(VALU_DEP_2) | instskip(SKIP_1) | instid1(VALU_DEP_3)
	v_pk_fma_f32 v[128:129], v[126:127], v[42:43], v[128:129] op_sel_hi:[1,1,0] neg_lo:[0,0,1] neg_hi:[0,0,1]
	v_mul_f32_e32 v126, v127, v114
	v_pk_add_f32 v[80:81], v[80:81], v[130:131] neg_lo:[0,1] neg_hi:[0,1]
	s_delay_alu instid0(VALU_DEP_2) | instskip(NEXT) | instid1(VALU_DEP_1)
	v_pk_fma_f32 v[124:125], v[124:125], v[42:43], v[126:127] op_sel_hi:[1,1,0]
	v_mov_b32_e32 v129, v125
	ds_load_2addr_b64 v[124:127], v118 offset0:12 offset1:13
	v_pk_add_f32 v[76:77], v[76:77], v[128:129] neg_lo:[0,1] neg_hi:[0,1]
	s_wait_dscnt 0x0
	v_pk_mul_f32 v[128:129], v[124:125], v[116:117] op_sel:[0,1]
	s_delay_alu instid0(VALU_DEP_1) | instskip(SKIP_1) | instid1(VALU_DEP_1)
	v_pk_fma_f32 v[130:131], v[124:125], v[114:115], v[128:129] op_sel:[0,0,1] op_sel_hi:[1,1,0] neg_lo:[0,0,1] neg_hi:[0,0,1]
	v_pk_fma_f32 v[124:125], v[124:125], v[114:115], v[128:129] op_sel:[0,0,1] op_sel_hi:[1,0,0]
	v_mov_b32_e32 v131, v125
	v_pk_mul_f32 v[124:125], v[126:127], v[116:117] op_sel:[0,1]
	s_delay_alu instid0(VALU_DEP_1) | instskip(SKIP_1) | instid1(VALU_DEP_1)
	v_pk_fma_f32 v[128:129], v[126:127], v[114:115], v[124:125] op_sel:[0,0,1] op_sel_hi:[1,1,0] neg_lo:[0,0,1] neg_hi:[0,0,1]
	v_pk_fma_f32 v[124:125], v[126:127], v[114:115], v[124:125] op_sel:[0,0,1] op_sel_hi:[1,0,0]
	v_mov_b32_e32 v129, v125
	ds_load_2addr_b64 v[124:127], v118 offset0:14 offset1:15
	v_pk_add_f32 v[100:101], v[100:101], v[130:131] neg_lo:[0,1] neg_hi:[0,1]
	v_pk_add_f32 v[72:73], v[72:73], v[128:129] neg_lo:[0,1] neg_hi:[0,1]
	s_wait_dscnt 0x0
	v_pk_mul_f32 v[128:129], v[124:125], v[116:117] op_sel:[0,1]
	s_delay_alu instid0(VALU_DEP_1) | instskip(SKIP_1) | instid1(VALU_DEP_1)
	v_pk_fma_f32 v[130:131], v[124:125], v[114:115], v[128:129] op_sel:[0,0,1] op_sel_hi:[1,1,0] neg_lo:[0,0,1] neg_hi:[0,0,1]
	v_pk_fma_f32 v[124:125], v[124:125], v[114:115], v[128:129] op_sel:[0,0,1] op_sel_hi:[1,0,0]
	v_mov_b32_e32 v131, v125
	v_pk_mul_f32 v[124:125], v[126:127], v[116:117] op_sel:[0,1]
	s_delay_alu instid0(VALU_DEP_1) | instskip(SKIP_1) | instid1(VALU_DEP_1)
	v_pk_fma_f32 v[128:129], v[126:127], v[114:115], v[124:125] op_sel:[0,0,1] op_sel_hi:[1,1,0] neg_lo:[0,0,1] neg_hi:[0,0,1]
	v_pk_fma_f32 v[124:125], v[126:127], v[114:115], v[124:125] op_sel:[0,0,1] op_sel_hi:[1,0,0]
	v_mov_b32_e32 v129, v125
	ds_load_2addr_b64 v[124:127], v118 offset0:16 offset1:17
	v_pk_add_f32 v[74:75], v[74:75], v[130:131] neg_lo:[0,1] neg_hi:[0,1]
	v_pk_add_f32 v[70:71], v[70:71], v[128:129] neg_lo:[0,1] neg_hi:[0,1]
	s_wait_dscnt 0x0
	v_dual_mul_f32 v128, v125, v117 :: v_dual_mul_f32 v130, v125, v114
	s_delay_alu instid0(VALU_DEP_1) | instskip(NEXT) | instid1(VALU_DEP_2)
	v_pk_fma_f32 v[128:129], v[124:125], v[42:43], v[128:129] op_sel_hi:[1,1,0] neg_lo:[0,0,1] neg_hi:[0,0,1]
	v_pk_fma_f32 v[124:125], v[124:125], v[42:43], v[130:131] op_sel:[1,0,0] op_sel_hi:[0,1,0]
	s_delay_alu instid0(VALU_DEP_1) | instskip(SKIP_1) | instid1(VALU_DEP_2)
	v_mov_b32_e32 v129, v125
	v_pk_mul_f32 v[124:125], v[126:127], v[116:117] op_sel:[0,1]
	v_pk_add_f32 v[98:99], v[98:99], v[128:129] neg_lo:[0,1] neg_hi:[0,1]
	s_delay_alu instid0(VALU_DEP_2) | instskip(SKIP_1) | instid1(VALU_DEP_1)
	v_pk_fma_f32 v[128:129], v[126:127], v[114:115], v[124:125] op_sel:[0,0,1] op_sel_hi:[1,1,0] neg_lo:[0,0,1] neg_hi:[0,0,1]
	v_pk_fma_f32 v[124:125], v[126:127], v[114:115], v[124:125] op_sel:[0,0,1] op_sel_hi:[1,0,0]
	v_mov_b32_e32 v129, v125
	ds_load_2addr_b64 v[124:127], v118 offset0:18 offset1:19
	v_pk_add_f32 v[64:65], v[64:65], v[128:129] neg_lo:[0,1] neg_hi:[0,1]
	s_wait_dscnt 0x0
	v_pk_mul_f32 v[128:129], v[124:125], v[116:117] op_sel:[0,1]
	s_delay_alu instid0(VALU_DEP_1) | instskip(SKIP_1) | instid1(VALU_DEP_1)
	v_pk_fma_f32 v[130:131], v[124:125], v[114:115], v[128:129] op_sel:[0,0,1] op_sel_hi:[1,1,0] neg_lo:[0,0,1] neg_hi:[0,0,1]
	v_pk_fma_f32 v[124:125], v[124:125], v[114:115], v[128:129] op_sel:[0,0,1] op_sel_hi:[1,0,0]
	v_mov_b32_e32 v131, v125
	v_pk_mul_f32 v[124:125], v[126:127], v[116:117] op_sel:[0,1]
	s_delay_alu instid0(VALU_DEP_2) | instskip(NEXT) | instid1(VALU_DEP_2)
	v_pk_add_f32 v[68:69], v[68:69], v[130:131] neg_lo:[0,1] neg_hi:[0,1]
	v_pk_fma_f32 v[128:129], v[126:127], v[114:115], v[124:125] op_sel:[0,0,1] op_sel_hi:[1,1,0] neg_lo:[0,0,1] neg_hi:[0,0,1]
	v_pk_fma_f32 v[124:125], v[126:127], v[114:115], v[124:125] op_sel:[0,0,1] op_sel_hi:[1,0,0]
	s_delay_alu instid0(VALU_DEP_1) | instskip(SKIP_4) | instid1(VALU_DEP_1)
	v_mov_b32_e32 v129, v125
	ds_load_2addr_b64 v[124:127], v118 offset0:20 offset1:21
	v_pk_add_f32 v[62:63], v[62:63], v[128:129] neg_lo:[0,1] neg_hi:[0,1]
	s_wait_dscnt 0x0
	v_pk_mul_f32 v[128:129], v[124:125], v[116:117] op_sel:[0,1]
	v_pk_fma_f32 v[130:131], v[124:125], v[114:115], v[128:129] op_sel:[0,0,1] op_sel_hi:[1,1,0] neg_lo:[0,0,1] neg_hi:[0,0,1]
	v_pk_fma_f32 v[124:125], v[124:125], v[114:115], v[128:129] op_sel:[0,0,1] op_sel_hi:[1,0,0]
	v_dual_mul_f32 v128, v127, v117 :: v_dual_mov_b32 v124, v127
	s_delay_alu instid0(VALU_DEP_2) | instskip(NEXT) | instid1(VALU_DEP_2)
	v_dual_mov_b32 v131, v125 :: v_dual_mov_b32 v125, v126
	v_pk_fma_f32 v[128:129], v[126:127], v[42:43], v[128:129] op_sel_hi:[1,1,0] neg_lo:[0,0,1] neg_hi:[0,0,1]
	v_mul_f32_e32 v126, v127, v114
	s_delay_alu instid0(VALU_DEP_3) | instskip(NEXT) | instid1(VALU_DEP_2)
	v_pk_add_f32 v[96:97], v[96:97], v[130:131] neg_lo:[0,1] neg_hi:[0,1]
	v_pk_fma_f32 v[124:125], v[124:125], v[42:43], v[126:127] op_sel_hi:[1,1,0]
	s_delay_alu instid0(VALU_DEP_1) | instskip(SKIP_4) | instid1(VALU_DEP_1)
	v_mov_b32_e32 v129, v125
	ds_load_2addr_b64 v[124:127], v118 offset0:22 offset1:23
	v_pk_add_f32 v[58:59], v[58:59], v[128:129] neg_lo:[0,1] neg_hi:[0,1]
	s_wait_dscnt 0x0
	v_pk_mul_f32 v[128:129], v[124:125], v[116:117] op_sel:[0,1]
	v_pk_fma_f32 v[130:131], v[124:125], v[114:115], v[128:129] op_sel:[0,0,1] op_sel_hi:[1,1,0] neg_lo:[0,0,1] neg_hi:[0,0,1]
	v_pk_fma_f32 v[124:125], v[124:125], v[114:115], v[128:129] op_sel:[0,0,1] op_sel_hi:[1,0,0]
	s_delay_alu instid0(VALU_DEP_1) | instskip(SKIP_1) | instid1(VALU_DEP_1)
	v_mov_b32_e32 v131, v125
	v_pk_mul_f32 v[124:125], v[126:127], v[116:117] op_sel:[0,1]
	v_pk_fma_f32 v[128:129], v[126:127], v[114:115], v[124:125] op_sel:[0,0,1] op_sel_hi:[1,1,0] neg_lo:[0,0,1] neg_hi:[0,0,1]
	v_pk_fma_f32 v[124:125], v[126:127], v[114:115], v[124:125] op_sel:[0,0,1] op_sel_hi:[1,0,0]
	s_delay_alu instid0(VALU_DEP_1)
	v_mov_b32_e32 v129, v125
	ds_load_2addr_b64 v[124:127], v118 offset0:24 offset1:25
	v_pk_add_f32 v[60:61], v[60:61], v[130:131] neg_lo:[0,1] neg_hi:[0,1]
	v_pk_add_f32 v[56:57], v[56:57], v[128:129] neg_lo:[0,1] neg_hi:[0,1]
	s_wait_dscnt 0x0
	v_pk_mul_f32 v[128:129], v[124:125], v[116:117] op_sel:[0,1]
	s_delay_alu instid0(VALU_DEP_1) | instskip(SKIP_1) | instid1(VALU_DEP_1)
	v_pk_fma_f32 v[130:131], v[124:125], v[114:115], v[128:129] op_sel:[0,0,1] op_sel_hi:[1,1,0] neg_lo:[0,0,1] neg_hi:[0,0,1]
	v_pk_fma_f32 v[124:125], v[124:125], v[114:115], v[128:129] op_sel:[0,0,1] op_sel_hi:[1,0,0]
	v_mov_b32_e32 v131, v125
	v_pk_mul_f32 v[124:125], v[126:127], v[116:117] op_sel:[0,1]
	s_delay_alu instid0(VALU_DEP_1) | instskip(SKIP_1) | instid1(VALU_DEP_1)
	v_pk_fma_f32 v[128:129], v[126:127], v[114:115], v[124:125] op_sel:[0,0,1] op_sel_hi:[1,1,0] neg_lo:[0,0,1] neg_hi:[0,0,1]
	v_pk_fma_f32 v[124:125], v[126:127], v[114:115], v[124:125] op_sel:[0,0,1] op_sel_hi:[1,0,0]
	v_mov_b32_e32 v129, v125
	ds_load_2addr_b64 v[124:127], v118 offset0:26 offset1:27
	v_pk_add_f32 v[94:95], v[94:95], v[130:131] neg_lo:[0,1] neg_hi:[0,1]
	v_pk_add_f32 v[52:53], v[52:53], v[128:129] neg_lo:[0,1] neg_hi:[0,1]
	s_wait_dscnt 0x0
	v_dual_mul_f32 v128, v125, v117 :: v_dual_mul_f32 v130, v125, v114
	s_delay_alu instid0(VALU_DEP_1) | instskip(NEXT) | instid1(VALU_DEP_2)
	v_pk_fma_f32 v[128:129], v[124:125], v[42:43], v[128:129] op_sel_hi:[1,1,0] neg_lo:[0,0,1] neg_hi:[0,0,1]
	v_pk_fma_f32 v[124:125], v[124:125], v[42:43], v[130:131] op_sel:[1,0,0] op_sel_hi:[0,1,0]
	s_delay_alu instid0(VALU_DEP_1) | instskip(SKIP_1) | instid1(VALU_DEP_2)
	v_mov_b32_e32 v129, v125
	v_pk_mul_f32 v[124:125], v[126:127], v[116:117] op_sel:[0,1]
	v_pk_add_f32 v[54:55], v[54:55], v[128:129] neg_lo:[0,1] neg_hi:[0,1]
	s_delay_alu instid0(VALU_DEP_2) | instskip(SKIP_1) | instid1(VALU_DEP_1)
	v_pk_fma_f32 v[128:129], v[126:127], v[114:115], v[124:125] op_sel:[0,0,1] op_sel_hi:[1,1,0] neg_lo:[0,0,1] neg_hi:[0,0,1]
	v_pk_fma_f32 v[124:125], v[126:127], v[114:115], v[124:125] op_sel:[0,0,1] op_sel_hi:[1,0,0]
	v_mov_b32_e32 v129, v125
	ds_load_2addr_b64 v[124:127], v118 offset0:28 offset1:29
	v_pk_add_f32 v[50:51], v[50:51], v[128:129] neg_lo:[0,1] neg_hi:[0,1]
	s_wait_dscnt 0x0
	v_pk_mul_f32 v[128:129], v[124:125], v[116:117] op_sel:[0,1]
	s_delay_alu instid0(VALU_DEP_1) | instskip(SKIP_1) | instid1(VALU_DEP_1)
	v_pk_fma_f32 v[130:131], v[124:125], v[114:115], v[128:129] op_sel:[0,0,1] op_sel_hi:[1,1,0] neg_lo:[0,0,1] neg_hi:[0,0,1]
	v_pk_fma_f32 v[124:125], v[124:125], v[114:115], v[128:129] op_sel:[0,0,1] op_sel_hi:[1,0,0]
	v_mov_b32_e32 v131, v125
	v_pk_mul_f32 v[124:125], v[126:127], v[116:117] op_sel:[0,1]
	s_delay_alu instid0(VALU_DEP_2) | instskip(NEXT) | instid1(VALU_DEP_2)
	v_pk_add_f32 v[90:91], v[90:91], v[130:131] neg_lo:[0,1] neg_hi:[0,1]
	v_pk_fma_f32 v[128:129], v[126:127], v[114:115], v[124:125] op_sel:[0,0,1] op_sel_hi:[1,1,0] neg_lo:[0,0,1] neg_hi:[0,0,1]
	v_pk_fma_f32 v[124:125], v[126:127], v[114:115], v[124:125] op_sel:[0,0,1] op_sel_hi:[1,0,0]
	s_delay_alu instid0(VALU_DEP_1) | instskip(SKIP_4) | instid1(VALU_DEP_1)
	v_mov_b32_e32 v129, v125
	ds_load_2addr_b64 v[124:127], v118 offset0:30 offset1:31
	v_pk_add_f32 v[38:39], v[38:39], v[128:129] neg_lo:[0,1] neg_hi:[0,1]
	s_wait_dscnt 0x0
	v_pk_mul_f32 v[128:129], v[124:125], v[116:117] op_sel:[0,1]
	v_pk_fma_f32 v[130:131], v[124:125], v[114:115], v[128:129] op_sel:[0,0,1] op_sel_hi:[1,1,0] neg_lo:[0,0,1] neg_hi:[0,0,1]
	v_pk_fma_f32 v[124:125], v[124:125], v[114:115], v[128:129] op_sel:[0,0,1] op_sel_hi:[1,0,0]
	v_dual_mul_f32 v128, v127, v117 :: v_dual_mov_b32 v124, v127
	s_delay_alu instid0(VALU_DEP_2) | instskip(NEXT) | instid1(VALU_DEP_2)
	v_dual_mov_b32 v131, v125 :: v_dual_mov_b32 v125, v126
	v_pk_fma_f32 v[128:129], v[126:127], v[42:43], v[128:129] op_sel_hi:[1,1,0] neg_lo:[0,0,1] neg_hi:[0,0,1]
	v_mul_f32_e32 v126, v127, v114
	s_delay_alu instid0(VALU_DEP_3) | instskip(NEXT) | instid1(VALU_DEP_2)
	v_pk_add_f32 v[40:41], v[40:41], v[130:131] neg_lo:[0,1] neg_hi:[0,1]
	v_pk_fma_f32 v[124:125], v[124:125], v[42:43], v[126:127] op_sel_hi:[1,1,0]
	s_delay_alu instid0(VALU_DEP_1) | instskip(SKIP_4) | instid1(VALU_DEP_1)
	v_mov_b32_e32 v129, v125
	ds_load_2addr_b64 v[124:127], v118 offset0:32 offset1:33
	v_pk_add_f32 v[36:37], v[36:37], v[128:129] neg_lo:[0,1] neg_hi:[0,1]
	s_wait_dscnt 0x0
	v_pk_mul_f32 v[128:129], v[124:125], v[116:117] op_sel:[0,1]
	v_pk_fma_f32 v[130:131], v[124:125], v[114:115], v[128:129] op_sel:[0,0,1] op_sel_hi:[1,1,0] neg_lo:[0,0,1] neg_hi:[0,0,1]
	v_pk_fma_f32 v[124:125], v[124:125], v[114:115], v[128:129] op_sel:[0,0,1] op_sel_hi:[1,0,0]
	s_delay_alu instid0(VALU_DEP_1) | instskip(SKIP_1) | instid1(VALU_DEP_1)
	v_mov_b32_e32 v131, v125
	v_pk_mul_f32 v[124:125], v[126:127], v[116:117] op_sel:[0,1]
	v_pk_fma_f32 v[128:129], v[126:127], v[114:115], v[124:125] op_sel:[0,0,1] op_sel_hi:[1,1,0] neg_lo:[0,0,1] neg_hi:[0,0,1]
	v_pk_fma_f32 v[124:125], v[126:127], v[114:115], v[124:125] op_sel:[0,0,1] op_sel_hi:[1,0,0]
	s_delay_alu instid0(VALU_DEP_1)
	v_mov_b32_e32 v129, v125
	ds_load_2addr_b64 v[124:127], v118 offset0:34 offset1:35
	v_pk_add_f32 v[88:89], v[88:89], v[130:131] neg_lo:[0,1] neg_hi:[0,1]
	v_pk_add_f32 v[32:33], v[32:33], v[128:129] neg_lo:[0,1] neg_hi:[0,1]
	s_wait_dscnt 0x0
	v_pk_mul_f32 v[128:129], v[124:125], v[116:117] op_sel:[0,1]
	s_delay_alu instid0(VALU_DEP_1) | instskip(SKIP_1) | instid1(VALU_DEP_1)
	v_pk_fma_f32 v[130:131], v[124:125], v[114:115], v[128:129] op_sel:[0,0,1] op_sel_hi:[1,1,0] neg_lo:[0,0,1] neg_hi:[0,0,1]
	v_pk_fma_f32 v[124:125], v[124:125], v[114:115], v[128:129] op_sel:[0,0,1] op_sel_hi:[1,0,0]
	v_mov_b32_e32 v131, v125
	v_pk_mul_f32 v[124:125], v[126:127], v[116:117] op_sel:[0,1]
	s_delay_alu instid0(VALU_DEP_1) | instskip(SKIP_1) | instid1(VALU_DEP_1)
	v_pk_fma_f32 v[128:129], v[126:127], v[114:115], v[124:125] op_sel:[0,0,1] op_sel_hi:[1,1,0] neg_lo:[0,0,1] neg_hi:[0,0,1]
	v_pk_fma_f32 v[124:125], v[126:127], v[114:115], v[124:125] op_sel:[0,0,1] op_sel_hi:[1,0,0]
	v_mov_b32_e32 v129, v125
	ds_load_2addr_b64 v[124:127], v118 offset0:36 offset1:37
	v_pk_add_f32 v[34:35], v[34:35], v[130:131] neg_lo:[0,1] neg_hi:[0,1]
	v_pk_add_f32 v[30:31], v[30:31], v[128:129] neg_lo:[0,1] neg_hi:[0,1]
	s_wait_dscnt 0x0
	v_dual_mul_f32 v128, v125, v117 :: v_dual_mul_f32 v130, v125, v114
	s_delay_alu instid0(VALU_DEP_1) | instskip(NEXT) | instid1(VALU_DEP_2)
	v_pk_fma_f32 v[128:129], v[124:125], v[42:43], v[128:129] op_sel_hi:[1,1,0] neg_lo:[0,0,1] neg_hi:[0,0,1]
	v_pk_fma_f32 v[124:125], v[124:125], v[42:43], v[130:131] op_sel:[1,0,0] op_sel_hi:[0,1,0]
	s_delay_alu instid0(VALU_DEP_1) | instskip(SKIP_1) | instid1(VALU_DEP_2)
	v_mov_b32_e32 v129, v125
	v_pk_mul_f32 v[124:125], v[126:127], v[116:117] op_sel:[0,1]
	v_pk_add_f32 v[86:87], v[86:87], v[128:129] neg_lo:[0,1] neg_hi:[0,1]
	s_delay_alu instid0(VALU_DEP_2) | instskip(SKIP_1) | instid1(VALU_DEP_1)
	v_pk_fma_f32 v[128:129], v[126:127], v[114:115], v[124:125] op_sel:[0,0,1] op_sel_hi:[1,1,0] neg_lo:[0,0,1] neg_hi:[0,0,1]
	v_pk_fma_f32 v[124:125], v[126:127], v[114:115], v[124:125] op_sel:[0,0,1] op_sel_hi:[1,0,0]
	v_mov_b32_e32 v129, v125
	ds_load_2addr_b64 v[124:127], v118 offset0:38 offset1:39
	v_pk_add_f32 v[24:25], v[24:25], v[128:129] neg_lo:[0,1] neg_hi:[0,1]
	s_wait_dscnt 0x0
	v_pk_mul_f32 v[128:129], v[124:125], v[116:117] op_sel:[0,1]
	s_delay_alu instid0(VALU_DEP_1) | instskip(SKIP_1) | instid1(VALU_DEP_1)
	v_pk_fma_f32 v[130:131], v[124:125], v[114:115], v[128:129] op_sel:[0,0,1] op_sel_hi:[1,1,0] neg_lo:[0,0,1] neg_hi:[0,0,1]
	v_pk_fma_f32 v[124:125], v[124:125], v[114:115], v[128:129] op_sel:[0,0,1] op_sel_hi:[1,0,0]
	v_mov_b32_e32 v131, v125
	v_pk_mul_f32 v[124:125], v[126:127], v[116:117] op_sel:[0,1]
	s_delay_alu instid0(VALU_DEP_2) | instskip(NEXT) | instid1(VALU_DEP_2)
	v_pk_add_f32 v[26:27], v[26:27], v[130:131] neg_lo:[0,1] neg_hi:[0,1]
	v_pk_fma_f32 v[128:129], v[126:127], v[114:115], v[124:125] op_sel:[0,0,1] op_sel_hi:[1,1,0] neg_lo:[0,0,1] neg_hi:[0,0,1]
	v_pk_fma_f32 v[124:125], v[126:127], v[114:115], v[124:125] op_sel:[0,0,1] op_sel_hi:[1,0,0]
	s_delay_alu instid0(VALU_DEP_1) | instskip(SKIP_4) | instid1(VALU_DEP_1)
	v_mov_b32_e32 v129, v125
	ds_load_2addr_b64 v[124:127], v118 offset0:40 offset1:41
	v_pk_add_f32 v[22:23], v[22:23], v[128:129] neg_lo:[0,1] neg_hi:[0,1]
	s_wait_dscnt 0x0
	v_pk_mul_f32 v[128:129], v[124:125], v[116:117] op_sel:[0,1]
	v_pk_fma_f32 v[130:131], v[124:125], v[114:115], v[128:129] op_sel:[0,0,1] op_sel_hi:[1,1,0] neg_lo:[0,0,1] neg_hi:[0,0,1]
	v_pk_fma_f32 v[124:125], v[124:125], v[114:115], v[128:129] op_sel:[0,0,1] op_sel_hi:[1,0,0]
	v_dual_mul_f32 v128, v127, v117 :: v_dual_mov_b32 v124, v127
	s_delay_alu instid0(VALU_DEP_2) | instskip(NEXT) | instid1(VALU_DEP_2)
	v_dual_mov_b32 v131, v125 :: v_dual_mov_b32 v125, v126
	v_pk_fma_f32 v[128:129], v[126:127], v[42:43], v[128:129] op_sel_hi:[1,1,0] neg_lo:[0,0,1] neg_hi:[0,0,1]
	v_mul_f32_e32 v126, v127, v114
	s_delay_alu instid0(VALU_DEP_3) | instskip(NEXT) | instid1(VALU_DEP_2)
	v_pk_add_f32 v[84:85], v[84:85], v[130:131] neg_lo:[0,1] neg_hi:[0,1]
	v_pk_fma_f32 v[124:125], v[124:125], v[42:43], v[126:127] op_sel_hi:[1,1,0]
	s_delay_alu instid0(VALU_DEP_1) | instskip(SKIP_4) | instid1(VALU_DEP_1)
	v_mov_b32_e32 v129, v125
	ds_load_2addr_b64 v[124:127], v118 offset0:42 offset1:43
	v_pk_add_f32 v[18:19], v[18:19], v[128:129] neg_lo:[0,1] neg_hi:[0,1]
	s_wait_dscnt 0x0
	v_pk_mul_f32 v[128:129], v[124:125], v[116:117] op_sel:[0,1]
	v_pk_fma_f32 v[130:131], v[124:125], v[114:115], v[128:129] op_sel:[0,0,1] op_sel_hi:[1,1,0] neg_lo:[0,0,1] neg_hi:[0,0,1]
	v_pk_fma_f32 v[124:125], v[124:125], v[114:115], v[128:129] op_sel:[0,0,1] op_sel_hi:[1,0,0]
	s_delay_alu instid0(VALU_DEP_1) | instskip(SKIP_1) | instid1(VALU_DEP_1)
	v_mov_b32_e32 v131, v125
	v_pk_mul_f32 v[124:125], v[126:127], v[116:117] op_sel:[0,1]
	v_pk_fma_f32 v[128:129], v[126:127], v[114:115], v[124:125] op_sel:[0,0,1] op_sel_hi:[1,1,0] neg_lo:[0,0,1] neg_hi:[0,0,1]
	v_pk_fma_f32 v[124:125], v[126:127], v[114:115], v[124:125] op_sel:[0,0,1] op_sel_hi:[1,0,0]
	s_delay_alu instid0(VALU_DEP_1)
	v_mov_b32_e32 v129, v125
	ds_load_2addr_b64 v[124:127], v118 offset0:44 offset1:45
	v_pk_add_f32 v[20:21], v[20:21], v[130:131] neg_lo:[0,1] neg_hi:[0,1]
	v_pk_add_f32 v[16:17], v[16:17], v[128:129] neg_lo:[0,1] neg_hi:[0,1]
	s_wait_dscnt 0x0
	v_pk_mul_f32 v[128:129], v[124:125], v[116:117] op_sel:[0,1]
	s_delay_alu instid0(VALU_DEP_1) | instskip(SKIP_1) | instid1(VALU_DEP_1)
	v_pk_fma_f32 v[130:131], v[124:125], v[114:115], v[128:129] op_sel:[0,0,1] op_sel_hi:[1,1,0] neg_lo:[0,0,1] neg_hi:[0,0,1]
	v_pk_fma_f32 v[124:125], v[124:125], v[114:115], v[128:129] op_sel:[0,0,1] op_sel_hi:[1,0,0]
	v_mov_b32_e32 v131, v125
	v_pk_mul_f32 v[124:125], v[126:127], v[116:117] op_sel:[0,1]
	s_delay_alu instid0(VALU_DEP_1) | instskip(SKIP_1) | instid1(VALU_DEP_1)
	v_pk_fma_f32 v[128:129], v[126:127], v[114:115], v[124:125] op_sel:[0,0,1] op_sel_hi:[1,1,0] neg_lo:[0,0,1] neg_hi:[0,0,1]
	v_pk_fma_f32 v[124:125], v[126:127], v[114:115], v[124:125] op_sel:[0,0,1] op_sel_hi:[1,0,0]
	v_mov_b32_e32 v129, v125
	ds_load_2addr_b64 v[124:127], v118 offset0:46 offset1:47
	v_pk_add_f32 v[82:83], v[82:83], v[130:131] neg_lo:[0,1] neg_hi:[0,1]
	v_pk_add_f32 v[10:11], v[10:11], v[128:129] neg_lo:[0,1] neg_hi:[0,1]
	s_wait_dscnt 0x0
	v_dual_mul_f32 v128, v125, v117 :: v_dual_mul_f32 v130, v125, v114
	s_delay_alu instid0(VALU_DEP_1) | instskip(NEXT) | instid1(VALU_DEP_2)
	v_pk_fma_f32 v[128:129], v[124:125], v[42:43], v[128:129] op_sel_hi:[1,1,0] neg_lo:[0,0,1] neg_hi:[0,0,1]
	v_pk_fma_f32 v[124:125], v[124:125], v[42:43], v[130:131] op_sel:[1,0,0] op_sel_hi:[0,1,0]
	s_delay_alu instid0(VALU_DEP_1) | instskip(SKIP_1) | instid1(VALU_DEP_2)
	v_mov_b32_e32 v129, v125
	v_pk_mul_f32 v[124:125], v[126:127], v[116:117] op_sel:[0,1]
	v_pk_add_f32 v[12:13], v[12:13], v[128:129] neg_lo:[0,1] neg_hi:[0,1]
	s_delay_alu instid0(VALU_DEP_2) | instskip(SKIP_1) | instid1(VALU_DEP_1)
	v_pk_fma_f32 v[128:129], v[126:127], v[114:115], v[124:125] op_sel:[0,0,1] op_sel_hi:[1,1,0] neg_lo:[0,0,1] neg_hi:[0,0,1]
	v_pk_fma_f32 v[124:125], v[126:127], v[114:115], v[124:125] op_sel:[0,0,1] op_sel_hi:[1,0,0]
	v_mov_b32_e32 v129, v125
	ds_load_2addr_b64 v[124:127], v118 offset0:48 offset1:49
	v_pk_add_f32 v[8:9], v[8:9], v[128:129] neg_lo:[0,1] neg_hi:[0,1]
	s_wait_dscnt 0x0
	v_pk_mul_f32 v[128:129], v[124:125], v[116:117] op_sel:[0,1]
	s_delay_alu instid0(VALU_DEP_1) | instskip(SKIP_1) | instid1(VALU_DEP_1)
	v_pk_fma_f32 v[130:131], v[124:125], v[114:115], v[128:129] op_sel:[0,0,1] op_sel_hi:[1,1,0] neg_lo:[0,0,1] neg_hi:[0,0,1]
	v_pk_fma_f32 v[124:125], v[124:125], v[114:115], v[128:129] op_sel:[0,0,1] op_sel_hi:[1,0,0]
	v_mov_b32_e32 v131, v125
	v_pk_mul_f32 v[124:125], v[126:127], v[116:117] op_sel:[0,1]
	s_delay_alu instid0(VALU_DEP_2) | instskip(NEXT) | instid1(VALU_DEP_2)
	v_pk_add_f32 v[66:67], v[66:67], v[130:131] neg_lo:[0,1] neg_hi:[0,1]
	v_pk_fma_f32 v[128:129], v[126:127], v[114:115], v[124:125] op_sel:[0,0,1] op_sel_hi:[1,1,0] neg_lo:[0,0,1] neg_hi:[0,0,1]
	v_pk_fma_f32 v[124:125], v[126:127], v[114:115], v[124:125] op_sel:[0,0,1] op_sel_hi:[1,0,0]
	s_delay_alu instid0(VALU_DEP_1) | instskip(SKIP_4) | instid1(VALU_DEP_1)
	v_mov_b32_e32 v129, v125
	ds_load_2addr_b64 v[124:127], v118 offset0:50 offset1:51
	v_pk_add_f32 v[6:7], v[6:7], v[128:129] neg_lo:[0,1] neg_hi:[0,1]
	s_wait_dscnt 0x0
	v_pk_mul_f32 v[128:129], v[124:125], v[116:117] op_sel:[0,1]
	v_pk_fma_f32 v[130:131], v[124:125], v[114:115], v[128:129] op_sel:[0,0,1] op_sel_hi:[1,1,0] neg_lo:[0,0,1] neg_hi:[0,0,1]
	v_pk_fma_f32 v[124:125], v[124:125], v[114:115], v[128:129] op_sel:[0,0,1] op_sel_hi:[1,0,0]
	v_dual_mul_f32 v128, v127, v117 :: v_dual_mov_b32 v124, v127
	s_delay_alu instid0(VALU_DEP_2) | instskip(NEXT) | instid1(VALU_DEP_2)
	v_dual_mov_b32 v131, v125 :: v_dual_mov_b32 v125, v126
	v_pk_fma_f32 v[128:129], v[126:127], v[42:43], v[128:129] op_sel_hi:[1,1,0] neg_lo:[0,0,1] neg_hi:[0,0,1]
	v_mul_f32_e32 v126, v127, v114
	s_delay_alu instid0(VALU_DEP_3) | instskip(NEXT) | instid1(VALU_DEP_2)
	v_pk_add_f32 v[46:47], v[46:47], v[130:131] neg_lo:[0,1] neg_hi:[0,1]
	v_pk_fma_f32 v[124:125], v[124:125], v[42:43], v[126:127] op_sel_hi:[1,1,0]
	s_delay_alu instid0(VALU_DEP_1)
	v_mov_b32_e32 v129, v125
	ds_load_2addr_b64 v[124:127], v118 offset0:52 offset1:53
	v_pk_add_f32 v[28:29], v[28:29], v[128:129] neg_lo:[0,1] neg_hi:[0,1]
	s_wait_dscnt 0x0
	v_pk_mul_f32 v[128:129], v[124:125], v[116:117] op_sel:[0,1]
	v_pk_mul_f32 v[116:117], v[126:127], v[116:117] op_sel:[0,1]
	s_delay_alu instid0(VALU_DEP_2) | instskip(SKIP_1) | instid1(VALU_DEP_1)
	v_pk_fma_f32 v[130:131], v[124:125], v[114:115], v[128:129] op_sel:[0,0,1] op_sel_hi:[1,1,0] neg_lo:[0,0,1] neg_hi:[0,0,1]
	v_pk_fma_f32 v[124:125], v[124:125], v[114:115], v[128:129] op_sel:[0,0,1] op_sel_hi:[1,0,0]
	v_mov_b32_e32 v131, v125
	s_delay_alu instid0(VALU_DEP_4) | instskip(SKIP_1) | instid1(VALU_DEP_1)
	v_pk_fma_f32 v[124:125], v[126:127], v[114:115], v[116:117] op_sel:[0,0,1] op_sel_hi:[1,1,0] neg_lo:[0,0,1] neg_hi:[0,0,1]
	v_pk_fma_f32 v[114:115], v[126:127], v[114:115], v[116:117] op_sel:[0,0,1] op_sel_hi:[1,0,0]
	v_mov_b32_e32 v125, v115
	s_delay_alu instid0(VALU_DEP_4) | instskip(NEXT) | instid1(VALU_DEP_2)
	v_pk_add_f32 v[14:15], v[14:15], v[130:131] neg_lo:[0,1] neg_hi:[0,1]
	v_pk_add_f32 v[112:113], v[112:113], v[124:125] neg_lo:[0,1] neg_hi:[0,1]
.LBB106_167:
	s_or_b32 exec_lo, exec_lo, s0
	v_lshl_add_u32 v114, v122, 3, v118
	s_barrier_signal -1
	s_barrier_wait -1
	ds_store_b64 v114, v[102:103]
	s_wait_dscnt 0x0
	s_barrier_signal -1
	s_barrier_wait -1
	ds_load_b64 v[116:117], v118 offset:64
	v_mov_b32_e32 v114, 8
	s_cmp_lt_i32 s18, 10
	s_cbranch_scc1 .LBB106_170
; %bb.168:
	v_add3_u32 v115, v119, 0, 0x48
	v_mov_b32_e32 v114, 8
	s_mov_b32 s0, 9
.LBB106_169:                            ; =>This Inner Loop Header: Depth=1
	ds_load_b64 v[124:125], v115
	s_wait_dscnt 0x1
	v_cmp_gt_f32_e32 vcc_lo, 0, v116
	v_cndmask_b32_e64 v126, v116, -v116, vcc_lo
	v_cmp_gt_f32_e32 vcc_lo, 0, v117
	v_cndmask_b32_e64 v128, v117, -v117, vcc_lo
	s_wait_dscnt 0x0
	v_cmp_gt_f32_e32 vcc_lo, 0, v124
	v_cndmask_b32_e64 v127, v124, -v124, vcc_lo
	v_cmp_gt_f32_e32 vcc_lo, 0, v125
	v_cndmask_b32_e64 v129, v125, -v125, vcc_lo
	s_delay_alu instid0(VALU_DEP_1) | instskip(NEXT) | instid1(VALU_DEP_1)
	v_pk_add_f32 v[126:127], v[126:127], v[128:129]
	v_cmp_lt_f32_e32 vcc_lo, v126, v127
	v_dual_add_nc_u32 v115, 8, v115 :: v_dual_cndmask_b32 v117, v117, v125, vcc_lo
	v_cndmask_b32_e32 v116, v116, v124, vcc_lo
	v_cndmask_b32_e64 v114, v114, s0, vcc_lo
	s_add_co_i32 s0, s0, 1
	s_delay_alu instid0(SALU_CYCLE_1)
	s_cmp_lg_u32 s18, s0
	s_cbranch_scc1 .LBB106_169
.LBB106_170:
	s_wait_dscnt 0x0
	v_cmp_eq_f32_e32 vcc_lo, 0, v116
	v_cmp_eq_f32_e64 s0, 0, v117
	s_and_b32 s0, vcc_lo, s0
	s_delay_alu instid0(SALU_CYCLE_1) | instskip(NEXT) | instid1(SALU_CYCLE_1)
	s_and_saveexec_b32 s1, s0
	s_xor_b32 s0, exec_lo, s1
; %bb.171:
	v_cmp_ne_u32_e32 vcc_lo, 0, v120
	v_cndmask_b32_e32 v120, 9, v120, vcc_lo
; %bb.172:
	s_and_not1_saveexec_b32 s0, s0
	s_cbranch_execz .LBB106_178
; %bb.173:
	v_cmp_ngt_f32_e64 s1, |v116|, |v117|
	s_and_saveexec_b32 s12, s1
	s_delay_alu instid0(SALU_CYCLE_1)
	s_xor_b32 s1, exec_lo, s12
	s_cbranch_execz .LBB106_175
; %bb.174:
	v_div_scale_f32 v115, null, v117, v117, v116
	v_div_scale_f32 v125, vcc_lo, v116, v117, v116
	s_delay_alu instid0(VALU_DEP_2) | instskip(SKIP_1) | instid1(TRANS32_DEP_1)
	v_rcp_f32_e32 v123, v115
	v_nop
	v_fma_f32 v124, -v115, v123, 1.0
	s_delay_alu instid0(VALU_DEP_1) | instskip(NEXT) | instid1(VALU_DEP_1)
	v_fmac_f32_e32 v123, v124, v123
	v_mul_f32_e32 v124, v125, v123
	s_delay_alu instid0(VALU_DEP_1) | instskip(NEXT) | instid1(VALU_DEP_1)
	v_fma_f32 v126, -v115, v124, v125
	v_fmac_f32_e32 v124, v126, v123
	s_delay_alu instid0(VALU_DEP_1) | instskip(NEXT) | instid1(VALU_DEP_1)
	v_fma_f32 v115, -v115, v124, v125
	v_div_fmas_f32 v115, v115, v123, v124
	s_delay_alu instid0(VALU_DEP_1) | instskip(NEXT) | instid1(VALU_DEP_1)
	v_div_fixup_f32 v115, v115, v117, v116
	v_fmac_f32_e32 v117, v116, v115
	s_delay_alu instid0(VALU_DEP_1) | instskip(SKIP_1) | instid1(VALU_DEP_2)
	v_div_scale_f32 v116, null, v117, v117, 1.0
	v_div_scale_f32 v125, vcc_lo, 1.0, v117, 1.0
	v_rcp_f32_e32 v123, v116
	v_nop
	s_delay_alu instid0(TRANS32_DEP_1) | instskip(NEXT) | instid1(VALU_DEP_1)
	v_fma_f32 v124, -v116, v123, 1.0
	v_fmac_f32_e32 v123, v124, v123
	s_delay_alu instid0(VALU_DEP_1) | instskip(NEXT) | instid1(VALU_DEP_1)
	v_mul_f32_e32 v124, v125, v123
	v_fma_f32 v126, -v116, v124, v125
	s_delay_alu instid0(VALU_DEP_1) | instskip(NEXT) | instid1(VALU_DEP_1)
	v_fmac_f32_e32 v124, v126, v123
	v_fma_f32 v116, -v116, v124, v125
	s_delay_alu instid0(VALU_DEP_1) | instskip(NEXT) | instid1(VALU_DEP_1)
	v_div_fmas_f32 v116, v116, v123, v124
	v_div_fixup_f32 v117, v116, v117, 1.0
	s_delay_alu instid0(VALU_DEP_1)
	v_mul_f32_e32 v116, v115, v117
	v_xor_b32_e32 v117, 0x80000000, v117
.LBB106_175:
	s_and_not1_saveexec_b32 s1, s1
	s_cbranch_execz .LBB106_177
; %bb.176:
	s_delay_alu instid0(VALU_DEP_1) | instskip(SKIP_1) | instid1(VALU_DEP_2)
	v_div_scale_f32 v115, null, v116, v116, v117
	v_div_scale_f32 v125, vcc_lo, v117, v116, v117
	v_rcp_f32_e32 v123, v115
	v_nop
	s_delay_alu instid0(TRANS32_DEP_1) | instskip(NEXT) | instid1(VALU_DEP_1)
	v_fma_f32 v124, -v115, v123, 1.0
	v_fmac_f32_e32 v123, v124, v123
	s_delay_alu instid0(VALU_DEP_1) | instskip(NEXT) | instid1(VALU_DEP_1)
	v_mul_f32_e32 v124, v125, v123
	v_fma_f32 v126, -v115, v124, v125
	s_delay_alu instid0(VALU_DEP_1) | instskip(NEXT) | instid1(VALU_DEP_1)
	v_fmac_f32_e32 v124, v126, v123
	v_fma_f32 v115, -v115, v124, v125
	s_delay_alu instid0(VALU_DEP_1) | instskip(NEXT) | instid1(VALU_DEP_1)
	v_div_fmas_f32 v115, v115, v123, v124
	v_div_fixup_f32 v115, v115, v116, v117
	s_delay_alu instid0(VALU_DEP_1) | instskip(NEXT) | instid1(VALU_DEP_1)
	v_fmac_f32_e32 v116, v117, v115
	v_div_scale_f32 v117, null, v116, v116, 1.0
	s_delay_alu instid0(VALU_DEP_1) | instskip(SKIP_1) | instid1(TRANS32_DEP_1)
	v_rcp_f32_e32 v123, v117
	v_nop
	v_fma_f32 v124, -v117, v123, 1.0
	s_delay_alu instid0(VALU_DEP_1) | instskip(SKIP_1) | instid1(VALU_DEP_1)
	v_fmac_f32_e32 v123, v124, v123
	v_div_scale_f32 v124, vcc_lo, 1.0, v116, 1.0
	v_mul_f32_e32 v125, v124, v123
	s_delay_alu instid0(VALU_DEP_1) | instskip(NEXT) | instid1(VALU_DEP_1)
	v_fma_f32 v126, -v117, v125, v124
	v_fmac_f32_e32 v125, v126, v123
	s_delay_alu instid0(VALU_DEP_1) | instskip(NEXT) | instid1(VALU_DEP_1)
	v_fma_f32 v117, -v117, v125, v124
	v_div_fmas_f32 v117, v117, v123, v125
	s_delay_alu instid0(VALU_DEP_1) | instskip(NEXT) | instid1(VALU_DEP_1)
	v_div_fixup_f32 v116, v117, v116, 1.0
	v_mul_f32_e64 v117, v115, -v116
.LBB106_177:
	s_or_b32 exec_lo, exec_lo, s1
.LBB106_178:
	s_delay_alu instid0(SALU_CYCLE_1) | instskip(NEXT) | instid1(SALU_CYCLE_1)
	s_or_b32 exec_lo, exec_lo, s0
	s_mov_b32 s0, exec_lo
	v_cmpx_ne_u32_e64 v122, v114
	s_xor_b32 s0, exec_lo, s0
	s_cbranch_execz .LBB106_184
; %bb.179:
	s_mov_b32 s1, exec_lo
	v_cmpx_eq_u32_e32 8, v122
	s_cbranch_execz .LBB106_183
; %bb.180:
	v_cmp_ne_u32_e32 vcc_lo, 8, v114
	s_xor_b32 s12, s16, -1
	s_delay_alu instid0(SALU_CYCLE_1) | instskip(NEXT) | instid1(SALU_CYCLE_1)
	s_and_b32 s13, s12, vcc_lo
	s_and_saveexec_b32 s12, s13
	s_cbranch_execz .LBB106_182
; %bb.181:
	v_ashrrev_i32_e32 v115, 31, v114
	s_delay_alu instid0(VALU_DEP_1)
	v_lshl_add_u64 v[122:123], v[114:115], 2, v[4:5]
	s_clause 0x1
	global_load_b32 v115, v[122:123], off
	global_load_b32 v121, v[4:5], off offset:32
	s_wait_loadcnt 0x1
	global_store_b32 v[4:5], v115, off offset:32
	s_wait_loadcnt 0x0
	global_store_b32 v[122:123], v121, off
.LBB106_182:
	s_wait_xcnt 0x0
	s_or_b32 exec_lo, exec_lo, s12
	v_dual_mov_b32 v122, v114 :: v_dual_mov_b32 v121, v114
.LBB106_183:
	s_or_b32 exec_lo, exec_lo, s1
.LBB106_184:
	s_and_not1_saveexec_b32 s0, s0
	s_cbranch_execz .LBB106_186
; %bb.185:
	v_mov_b32_e32 v122, 8
	ds_store_2addr_b64 v118, v[78:79], v[80:81] offset0:9 offset1:10
	ds_store_2addr_b64 v118, v[76:77], v[100:101] offset0:11 offset1:12
	;; [unrolled: 1-line block ×22, first 2 shown]
	ds_store_b64 v118, v[112:113] offset:424
.LBB106_186:
	s_or_b32 exec_lo, exec_lo, s0
	s_delay_alu instid0(SALU_CYCLE_1)
	s_mov_b32 s0, exec_lo
	s_wait_storecnt_dscnt 0x0
	s_barrier_signal -1
	s_barrier_wait -1
	v_cmpx_lt_i32_e32 8, v122
	s_cbranch_execz .LBB106_188
; %bb.187:
	v_pk_mul_f32 v[124:125], v[116:117], v[102:103] op_sel:[1,1] op_sel_hi:[0,1]
	s_delay_alu instid0(VALU_DEP_1)
	v_pk_fma_f32 v[114:115], v[116:117], v[102:103], v[124:125] op_sel_hi:[1,0,1] neg_lo:[0,0,1] neg_hi:[0,0,1]
	v_pk_fma_f32 v[116:117], v[116:117], v[102:103], v[124:125] op_sel_hi:[1,0,1]
	ds_load_2addr_b64 v[124:127], v118 offset0:9 offset1:10
	v_dual_mov_b32 v102, v114 :: v_dual_mov_b32 v103, v117
	s_wait_dscnt 0x0
	v_pk_mul_f32 v[128:129], v[124:125], v[116:117] op_sel:[0,1]
	s_delay_alu instid0(VALU_DEP_1) | instskip(SKIP_1) | instid1(VALU_DEP_1)
	v_pk_fma_f32 v[130:131], v[124:125], v[114:115], v[128:129] op_sel:[0,0,1] op_sel_hi:[1,1,0] neg_lo:[0,0,1] neg_hi:[0,0,1]
	v_pk_fma_f32 v[124:125], v[124:125], v[114:115], v[128:129] op_sel:[0,0,1] op_sel_hi:[1,0,0]
	v_mov_b32_e32 v131, v125
	v_pk_mul_f32 v[124:125], v[126:127], v[116:117] op_sel:[0,1]
	s_delay_alu instid0(VALU_DEP_1) | instskip(SKIP_1) | instid1(VALU_DEP_1)
	v_pk_fma_f32 v[128:129], v[126:127], v[114:115], v[124:125] op_sel:[0,0,1] op_sel_hi:[1,1,0] neg_lo:[0,0,1] neg_hi:[0,0,1]
	v_pk_fma_f32 v[124:125], v[126:127], v[114:115], v[124:125] op_sel:[0,0,1] op_sel_hi:[1,0,0]
	v_mov_b32_e32 v129, v125
	ds_load_2addr_b64 v[124:127], v118 offset0:11 offset1:12
	v_pk_add_f32 v[78:79], v[78:79], v[130:131] neg_lo:[0,1] neg_hi:[0,1]
	v_pk_add_f32 v[80:81], v[80:81], v[128:129] neg_lo:[0,1] neg_hi:[0,1]
	s_wait_dscnt 0x0
	v_pk_mul_f32 v[128:129], v[124:125], v[116:117] op_sel:[0,1]
	s_delay_alu instid0(VALU_DEP_1) | instskip(SKIP_2) | instid1(VALU_DEP_2)
	v_pk_fma_f32 v[130:131], v[124:125], v[114:115], v[128:129] op_sel:[0,0,1] op_sel_hi:[1,1,0] neg_lo:[0,0,1] neg_hi:[0,0,1]
	v_pk_fma_f32 v[124:125], v[124:125], v[114:115], v[128:129] op_sel:[0,0,1] op_sel_hi:[1,0,0]
	v_dual_mul_f32 v128, v127, v117 :: v_dual_mov_b32 v124, v127
	v_dual_mov_b32 v131, v125 :: v_dual_mov_b32 v125, v126
	s_delay_alu instid0(VALU_DEP_2) | instskip(SKIP_1) | instid1(VALU_DEP_3)
	v_pk_fma_f32 v[128:129], v[126:127], v[102:103], v[128:129] op_sel_hi:[1,1,0] neg_lo:[0,0,1] neg_hi:[0,0,1]
	v_mul_f32_e32 v126, v127, v114
	v_pk_add_f32 v[76:77], v[76:77], v[130:131] neg_lo:[0,1] neg_hi:[0,1]
	s_delay_alu instid0(VALU_DEP_2) | instskip(NEXT) | instid1(VALU_DEP_1)
	v_pk_fma_f32 v[124:125], v[124:125], v[102:103], v[126:127] op_sel_hi:[1,1,0]
	v_mov_b32_e32 v129, v125
	ds_load_2addr_b64 v[124:127], v118 offset0:13 offset1:14
	v_pk_add_f32 v[100:101], v[100:101], v[128:129] neg_lo:[0,1] neg_hi:[0,1]
	s_wait_dscnt 0x0
	v_pk_mul_f32 v[128:129], v[124:125], v[116:117] op_sel:[0,1]
	s_delay_alu instid0(VALU_DEP_1) | instskip(SKIP_1) | instid1(VALU_DEP_1)
	v_pk_fma_f32 v[130:131], v[124:125], v[114:115], v[128:129] op_sel:[0,0,1] op_sel_hi:[1,1,0] neg_lo:[0,0,1] neg_hi:[0,0,1]
	v_pk_fma_f32 v[124:125], v[124:125], v[114:115], v[128:129] op_sel:[0,0,1] op_sel_hi:[1,0,0]
	v_mov_b32_e32 v131, v125
	v_pk_mul_f32 v[124:125], v[126:127], v[116:117] op_sel:[0,1]
	s_delay_alu instid0(VALU_DEP_1) | instskip(SKIP_1) | instid1(VALU_DEP_1)
	v_pk_fma_f32 v[128:129], v[126:127], v[114:115], v[124:125] op_sel:[0,0,1] op_sel_hi:[1,1,0] neg_lo:[0,0,1] neg_hi:[0,0,1]
	v_pk_fma_f32 v[124:125], v[126:127], v[114:115], v[124:125] op_sel:[0,0,1] op_sel_hi:[1,0,0]
	v_mov_b32_e32 v129, v125
	ds_load_2addr_b64 v[124:127], v118 offset0:15 offset1:16
	v_pk_add_f32 v[72:73], v[72:73], v[130:131] neg_lo:[0,1] neg_hi:[0,1]
	v_pk_add_f32 v[74:75], v[74:75], v[128:129] neg_lo:[0,1] neg_hi:[0,1]
	s_wait_dscnt 0x0
	v_pk_mul_f32 v[128:129], v[124:125], v[116:117] op_sel:[0,1]
	s_delay_alu instid0(VALU_DEP_1) | instskip(SKIP_1) | instid1(VALU_DEP_1)
	v_pk_fma_f32 v[130:131], v[124:125], v[114:115], v[128:129] op_sel:[0,0,1] op_sel_hi:[1,1,0] neg_lo:[0,0,1] neg_hi:[0,0,1]
	v_pk_fma_f32 v[124:125], v[124:125], v[114:115], v[128:129] op_sel:[0,0,1] op_sel_hi:[1,0,0]
	v_mov_b32_e32 v131, v125
	v_pk_mul_f32 v[124:125], v[126:127], v[116:117] op_sel:[0,1]
	s_delay_alu instid0(VALU_DEP_1) | instskip(SKIP_1) | instid1(VALU_DEP_1)
	v_pk_fma_f32 v[128:129], v[126:127], v[114:115], v[124:125] op_sel:[0,0,1] op_sel_hi:[1,1,0] neg_lo:[0,0,1] neg_hi:[0,0,1]
	v_pk_fma_f32 v[124:125], v[126:127], v[114:115], v[124:125] op_sel:[0,0,1] op_sel_hi:[1,0,0]
	v_mov_b32_e32 v129, v125
	ds_load_2addr_b64 v[124:127], v118 offset0:17 offset1:18
	v_pk_add_f32 v[70:71], v[70:71], v[130:131] neg_lo:[0,1] neg_hi:[0,1]
	v_pk_add_f32 v[98:99], v[98:99], v[128:129] neg_lo:[0,1] neg_hi:[0,1]
	s_wait_dscnt 0x0
	v_dual_mul_f32 v128, v125, v117 :: v_dual_mul_f32 v130, v125, v114
	s_delay_alu instid0(VALU_DEP_1) | instskip(NEXT) | instid1(VALU_DEP_2)
	v_pk_fma_f32 v[128:129], v[124:125], v[102:103], v[128:129] op_sel_hi:[1,1,0] neg_lo:[0,0,1] neg_hi:[0,0,1]
	v_pk_fma_f32 v[124:125], v[124:125], v[102:103], v[130:131] op_sel:[1,0,0] op_sel_hi:[0,1,0]
	s_delay_alu instid0(VALU_DEP_1) | instskip(SKIP_1) | instid1(VALU_DEP_2)
	v_mov_b32_e32 v129, v125
	v_pk_mul_f32 v[124:125], v[126:127], v[116:117] op_sel:[0,1]
	v_pk_add_f32 v[64:65], v[64:65], v[128:129] neg_lo:[0,1] neg_hi:[0,1]
	s_delay_alu instid0(VALU_DEP_2) | instskip(SKIP_1) | instid1(VALU_DEP_1)
	v_pk_fma_f32 v[128:129], v[126:127], v[114:115], v[124:125] op_sel:[0,0,1] op_sel_hi:[1,1,0] neg_lo:[0,0,1] neg_hi:[0,0,1]
	v_pk_fma_f32 v[124:125], v[126:127], v[114:115], v[124:125] op_sel:[0,0,1] op_sel_hi:[1,0,0]
	v_mov_b32_e32 v129, v125
	ds_load_2addr_b64 v[124:127], v118 offset0:19 offset1:20
	v_pk_add_f32 v[68:69], v[68:69], v[128:129] neg_lo:[0,1] neg_hi:[0,1]
	s_wait_dscnt 0x0
	v_pk_mul_f32 v[128:129], v[124:125], v[116:117] op_sel:[0,1]
	s_delay_alu instid0(VALU_DEP_1) | instskip(SKIP_1) | instid1(VALU_DEP_1)
	v_pk_fma_f32 v[130:131], v[124:125], v[114:115], v[128:129] op_sel:[0,0,1] op_sel_hi:[1,1,0] neg_lo:[0,0,1] neg_hi:[0,0,1]
	v_pk_fma_f32 v[124:125], v[124:125], v[114:115], v[128:129] op_sel:[0,0,1] op_sel_hi:[1,0,0]
	v_mov_b32_e32 v131, v125
	v_pk_mul_f32 v[124:125], v[126:127], v[116:117] op_sel:[0,1]
	s_delay_alu instid0(VALU_DEP_2) | instskip(NEXT) | instid1(VALU_DEP_2)
	v_pk_add_f32 v[62:63], v[62:63], v[130:131] neg_lo:[0,1] neg_hi:[0,1]
	v_pk_fma_f32 v[128:129], v[126:127], v[114:115], v[124:125] op_sel:[0,0,1] op_sel_hi:[1,1,0] neg_lo:[0,0,1] neg_hi:[0,0,1]
	v_pk_fma_f32 v[124:125], v[126:127], v[114:115], v[124:125] op_sel:[0,0,1] op_sel_hi:[1,0,0]
	s_delay_alu instid0(VALU_DEP_1) | instskip(SKIP_4) | instid1(VALU_DEP_1)
	v_mov_b32_e32 v129, v125
	ds_load_2addr_b64 v[124:127], v118 offset0:21 offset1:22
	v_pk_add_f32 v[96:97], v[96:97], v[128:129] neg_lo:[0,1] neg_hi:[0,1]
	s_wait_dscnt 0x0
	v_pk_mul_f32 v[128:129], v[124:125], v[116:117] op_sel:[0,1]
	v_pk_fma_f32 v[130:131], v[124:125], v[114:115], v[128:129] op_sel:[0,0,1] op_sel_hi:[1,1,0] neg_lo:[0,0,1] neg_hi:[0,0,1]
	v_pk_fma_f32 v[124:125], v[124:125], v[114:115], v[128:129] op_sel:[0,0,1] op_sel_hi:[1,0,0]
	v_dual_mul_f32 v128, v127, v117 :: v_dual_mov_b32 v124, v127
	s_delay_alu instid0(VALU_DEP_2) | instskip(NEXT) | instid1(VALU_DEP_2)
	v_dual_mov_b32 v131, v125 :: v_dual_mov_b32 v125, v126
	v_pk_fma_f32 v[128:129], v[126:127], v[102:103], v[128:129] op_sel_hi:[1,1,0] neg_lo:[0,0,1] neg_hi:[0,0,1]
	v_mul_f32_e32 v126, v127, v114
	s_delay_alu instid0(VALU_DEP_3) | instskip(NEXT) | instid1(VALU_DEP_2)
	v_pk_add_f32 v[58:59], v[58:59], v[130:131] neg_lo:[0,1] neg_hi:[0,1]
	v_pk_fma_f32 v[124:125], v[124:125], v[102:103], v[126:127] op_sel_hi:[1,1,0]
	s_delay_alu instid0(VALU_DEP_1) | instskip(SKIP_4) | instid1(VALU_DEP_1)
	v_mov_b32_e32 v129, v125
	ds_load_2addr_b64 v[124:127], v118 offset0:23 offset1:24
	v_pk_add_f32 v[60:61], v[60:61], v[128:129] neg_lo:[0,1] neg_hi:[0,1]
	s_wait_dscnt 0x0
	v_pk_mul_f32 v[128:129], v[124:125], v[116:117] op_sel:[0,1]
	v_pk_fma_f32 v[130:131], v[124:125], v[114:115], v[128:129] op_sel:[0,0,1] op_sel_hi:[1,1,0] neg_lo:[0,0,1] neg_hi:[0,0,1]
	v_pk_fma_f32 v[124:125], v[124:125], v[114:115], v[128:129] op_sel:[0,0,1] op_sel_hi:[1,0,0]
	s_delay_alu instid0(VALU_DEP_1) | instskip(SKIP_1) | instid1(VALU_DEP_1)
	v_mov_b32_e32 v131, v125
	v_pk_mul_f32 v[124:125], v[126:127], v[116:117] op_sel:[0,1]
	v_pk_fma_f32 v[128:129], v[126:127], v[114:115], v[124:125] op_sel:[0,0,1] op_sel_hi:[1,1,0] neg_lo:[0,0,1] neg_hi:[0,0,1]
	v_pk_fma_f32 v[124:125], v[126:127], v[114:115], v[124:125] op_sel:[0,0,1] op_sel_hi:[1,0,0]
	s_delay_alu instid0(VALU_DEP_1)
	v_mov_b32_e32 v129, v125
	ds_load_2addr_b64 v[124:127], v118 offset0:25 offset1:26
	v_pk_add_f32 v[56:57], v[56:57], v[130:131] neg_lo:[0,1] neg_hi:[0,1]
	v_pk_add_f32 v[94:95], v[94:95], v[128:129] neg_lo:[0,1] neg_hi:[0,1]
	s_wait_dscnt 0x0
	v_pk_mul_f32 v[128:129], v[124:125], v[116:117] op_sel:[0,1]
	s_delay_alu instid0(VALU_DEP_1) | instskip(SKIP_1) | instid1(VALU_DEP_1)
	v_pk_fma_f32 v[130:131], v[124:125], v[114:115], v[128:129] op_sel:[0,0,1] op_sel_hi:[1,1,0] neg_lo:[0,0,1] neg_hi:[0,0,1]
	v_pk_fma_f32 v[124:125], v[124:125], v[114:115], v[128:129] op_sel:[0,0,1] op_sel_hi:[1,0,0]
	v_mov_b32_e32 v131, v125
	v_pk_mul_f32 v[124:125], v[126:127], v[116:117] op_sel:[0,1]
	s_delay_alu instid0(VALU_DEP_1) | instskip(SKIP_1) | instid1(VALU_DEP_1)
	v_pk_fma_f32 v[128:129], v[126:127], v[114:115], v[124:125] op_sel:[0,0,1] op_sel_hi:[1,1,0] neg_lo:[0,0,1] neg_hi:[0,0,1]
	v_pk_fma_f32 v[124:125], v[126:127], v[114:115], v[124:125] op_sel:[0,0,1] op_sel_hi:[1,0,0]
	v_mov_b32_e32 v129, v125
	ds_load_2addr_b64 v[124:127], v118 offset0:27 offset1:28
	v_pk_add_f32 v[52:53], v[52:53], v[130:131] neg_lo:[0,1] neg_hi:[0,1]
	v_pk_add_f32 v[54:55], v[54:55], v[128:129] neg_lo:[0,1] neg_hi:[0,1]
	s_wait_dscnt 0x0
	v_dual_mul_f32 v128, v125, v117 :: v_dual_mul_f32 v130, v125, v114
	s_delay_alu instid0(VALU_DEP_1) | instskip(NEXT) | instid1(VALU_DEP_2)
	v_pk_fma_f32 v[128:129], v[124:125], v[102:103], v[128:129] op_sel_hi:[1,1,0] neg_lo:[0,0,1] neg_hi:[0,0,1]
	v_pk_fma_f32 v[124:125], v[124:125], v[102:103], v[130:131] op_sel:[1,0,0] op_sel_hi:[0,1,0]
	s_delay_alu instid0(VALU_DEP_1) | instskip(SKIP_1) | instid1(VALU_DEP_2)
	v_mov_b32_e32 v129, v125
	v_pk_mul_f32 v[124:125], v[126:127], v[116:117] op_sel:[0,1]
	v_pk_add_f32 v[50:51], v[50:51], v[128:129] neg_lo:[0,1] neg_hi:[0,1]
	s_delay_alu instid0(VALU_DEP_2) | instskip(SKIP_1) | instid1(VALU_DEP_1)
	v_pk_fma_f32 v[128:129], v[126:127], v[114:115], v[124:125] op_sel:[0,0,1] op_sel_hi:[1,1,0] neg_lo:[0,0,1] neg_hi:[0,0,1]
	v_pk_fma_f32 v[124:125], v[126:127], v[114:115], v[124:125] op_sel:[0,0,1] op_sel_hi:[1,0,0]
	v_mov_b32_e32 v129, v125
	ds_load_2addr_b64 v[124:127], v118 offset0:29 offset1:30
	v_pk_add_f32 v[90:91], v[90:91], v[128:129] neg_lo:[0,1] neg_hi:[0,1]
	s_wait_dscnt 0x0
	v_pk_mul_f32 v[128:129], v[124:125], v[116:117] op_sel:[0,1]
	s_delay_alu instid0(VALU_DEP_1) | instskip(SKIP_1) | instid1(VALU_DEP_1)
	v_pk_fma_f32 v[130:131], v[124:125], v[114:115], v[128:129] op_sel:[0,0,1] op_sel_hi:[1,1,0] neg_lo:[0,0,1] neg_hi:[0,0,1]
	v_pk_fma_f32 v[124:125], v[124:125], v[114:115], v[128:129] op_sel:[0,0,1] op_sel_hi:[1,0,0]
	v_mov_b32_e32 v131, v125
	v_pk_mul_f32 v[124:125], v[126:127], v[116:117] op_sel:[0,1]
	s_delay_alu instid0(VALU_DEP_2) | instskip(NEXT) | instid1(VALU_DEP_2)
	v_pk_add_f32 v[38:39], v[38:39], v[130:131] neg_lo:[0,1] neg_hi:[0,1]
	v_pk_fma_f32 v[128:129], v[126:127], v[114:115], v[124:125] op_sel:[0,0,1] op_sel_hi:[1,1,0] neg_lo:[0,0,1] neg_hi:[0,0,1]
	v_pk_fma_f32 v[124:125], v[126:127], v[114:115], v[124:125] op_sel:[0,0,1] op_sel_hi:[1,0,0]
	s_delay_alu instid0(VALU_DEP_1) | instskip(SKIP_4) | instid1(VALU_DEP_1)
	v_mov_b32_e32 v129, v125
	ds_load_2addr_b64 v[124:127], v118 offset0:31 offset1:32
	v_pk_add_f32 v[40:41], v[40:41], v[128:129] neg_lo:[0,1] neg_hi:[0,1]
	s_wait_dscnt 0x0
	v_pk_mul_f32 v[128:129], v[124:125], v[116:117] op_sel:[0,1]
	v_pk_fma_f32 v[130:131], v[124:125], v[114:115], v[128:129] op_sel:[0,0,1] op_sel_hi:[1,1,0] neg_lo:[0,0,1] neg_hi:[0,0,1]
	v_pk_fma_f32 v[124:125], v[124:125], v[114:115], v[128:129] op_sel:[0,0,1] op_sel_hi:[1,0,0]
	v_dual_mul_f32 v128, v127, v117 :: v_dual_mov_b32 v124, v127
	s_delay_alu instid0(VALU_DEP_2) | instskip(NEXT) | instid1(VALU_DEP_2)
	v_dual_mov_b32 v131, v125 :: v_dual_mov_b32 v125, v126
	v_pk_fma_f32 v[128:129], v[126:127], v[102:103], v[128:129] op_sel_hi:[1,1,0] neg_lo:[0,0,1] neg_hi:[0,0,1]
	v_mul_f32_e32 v126, v127, v114
	s_delay_alu instid0(VALU_DEP_3) | instskip(NEXT) | instid1(VALU_DEP_2)
	v_pk_add_f32 v[36:37], v[36:37], v[130:131] neg_lo:[0,1] neg_hi:[0,1]
	v_pk_fma_f32 v[124:125], v[124:125], v[102:103], v[126:127] op_sel_hi:[1,1,0]
	s_delay_alu instid0(VALU_DEP_1) | instskip(SKIP_4) | instid1(VALU_DEP_1)
	v_mov_b32_e32 v129, v125
	ds_load_2addr_b64 v[124:127], v118 offset0:33 offset1:34
	v_pk_add_f32 v[88:89], v[88:89], v[128:129] neg_lo:[0,1] neg_hi:[0,1]
	s_wait_dscnt 0x0
	v_pk_mul_f32 v[128:129], v[124:125], v[116:117] op_sel:[0,1]
	v_pk_fma_f32 v[130:131], v[124:125], v[114:115], v[128:129] op_sel:[0,0,1] op_sel_hi:[1,1,0] neg_lo:[0,0,1] neg_hi:[0,0,1]
	v_pk_fma_f32 v[124:125], v[124:125], v[114:115], v[128:129] op_sel:[0,0,1] op_sel_hi:[1,0,0]
	s_delay_alu instid0(VALU_DEP_1) | instskip(SKIP_1) | instid1(VALU_DEP_1)
	v_mov_b32_e32 v131, v125
	v_pk_mul_f32 v[124:125], v[126:127], v[116:117] op_sel:[0,1]
	v_pk_fma_f32 v[128:129], v[126:127], v[114:115], v[124:125] op_sel:[0,0,1] op_sel_hi:[1,1,0] neg_lo:[0,0,1] neg_hi:[0,0,1]
	v_pk_fma_f32 v[124:125], v[126:127], v[114:115], v[124:125] op_sel:[0,0,1] op_sel_hi:[1,0,0]
	s_delay_alu instid0(VALU_DEP_1)
	v_mov_b32_e32 v129, v125
	ds_load_2addr_b64 v[124:127], v118 offset0:35 offset1:36
	v_pk_add_f32 v[32:33], v[32:33], v[130:131] neg_lo:[0,1] neg_hi:[0,1]
	v_pk_add_f32 v[34:35], v[34:35], v[128:129] neg_lo:[0,1] neg_hi:[0,1]
	s_wait_dscnt 0x0
	v_pk_mul_f32 v[128:129], v[124:125], v[116:117] op_sel:[0,1]
	s_delay_alu instid0(VALU_DEP_1) | instskip(SKIP_1) | instid1(VALU_DEP_1)
	v_pk_fma_f32 v[130:131], v[124:125], v[114:115], v[128:129] op_sel:[0,0,1] op_sel_hi:[1,1,0] neg_lo:[0,0,1] neg_hi:[0,0,1]
	v_pk_fma_f32 v[124:125], v[124:125], v[114:115], v[128:129] op_sel:[0,0,1] op_sel_hi:[1,0,0]
	v_mov_b32_e32 v131, v125
	v_pk_mul_f32 v[124:125], v[126:127], v[116:117] op_sel:[0,1]
	s_delay_alu instid0(VALU_DEP_1) | instskip(SKIP_1) | instid1(VALU_DEP_1)
	v_pk_fma_f32 v[128:129], v[126:127], v[114:115], v[124:125] op_sel:[0,0,1] op_sel_hi:[1,1,0] neg_lo:[0,0,1] neg_hi:[0,0,1]
	v_pk_fma_f32 v[124:125], v[126:127], v[114:115], v[124:125] op_sel:[0,0,1] op_sel_hi:[1,0,0]
	v_mov_b32_e32 v129, v125
	ds_load_2addr_b64 v[124:127], v118 offset0:37 offset1:38
	v_pk_add_f32 v[30:31], v[30:31], v[130:131] neg_lo:[0,1] neg_hi:[0,1]
	v_pk_add_f32 v[86:87], v[86:87], v[128:129] neg_lo:[0,1] neg_hi:[0,1]
	s_wait_dscnt 0x0
	v_dual_mul_f32 v128, v125, v117 :: v_dual_mul_f32 v130, v125, v114
	s_delay_alu instid0(VALU_DEP_1) | instskip(NEXT) | instid1(VALU_DEP_2)
	v_pk_fma_f32 v[128:129], v[124:125], v[102:103], v[128:129] op_sel_hi:[1,1,0] neg_lo:[0,0,1] neg_hi:[0,0,1]
	v_pk_fma_f32 v[124:125], v[124:125], v[102:103], v[130:131] op_sel:[1,0,0] op_sel_hi:[0,1,0]
	s_delay_alu instid0(VALU_DEP_1) | instskip(SKIP_1) | instid1(VALU_DEP_2)
	v_mov_b32_e32 v129, v125
	v_pk_mul_f32 v[124:125], v[126:127], v[116:117] op_sel:[0,1]
	v_pk_add_f32 v[24:25], v[24:25], v[128:129] neg_lo:[0,1] neg_hi:[0,1]
	s_delay_alu instid0(VALU_DEP_2) | instskip(SKIP_1) | instid1(VALU_DEP_1)
	v_pk_fma_f32 v[128:129], v[126:127], v[114:115], v[124:125] op_sel:[0,0,1] op_sel_hi:[1,1,0] neg_lo:[0,0,1] neg_hi:[0,0,1]
	v_pk_fma_f32 v[124:125], v[126:127], v[114:115], v[124:125] op_sel:[0,0,1] op_sel_hi:[1,0,0]
	v_mov_b32_e32 v129, v125
	ds_load_2addr_b64 v[124:127], v118 offset0:39 offset1:40
	v_pk_add_f32 v[26:27], v[26:27], v[128:129] neg_lo:[0,1] neg_hi:[0,1]
	s_wait_dscnt 0x0
	v_pk_mul_f32 v[128:129], v[124:125], v[116:117] op_sel:[0,1]
	s_delay_alu instid0(VALU_DEP_1) | instskip(SKIP_1) | instid1(VALU_DEP_1)
	v_pk_fma_f32 v[130:131], v[124:125], v[114:115], v[128:129] op_sel:[0,0,1] op_sel_hi:[1,1,0] neg_lo:[0,0,1] neg_hi:[0,0,1]
	v_pk_fma_f32 v[124:125], v[124:125], v[114:115], v[128:129] op_sel:[0,0,1] op_sel_hi:[1,0,0]
	v_mov_b32_e32 v131, v125
	v_pk_mul_f32 v[124:125], v[126:127], v[116:117] op_sel:[0,1]
	s_delay_alu instid0(VALU_DEP_2) | instskip(NEXT) | instid1(VALU_DEP_2)
	v_pk_add_f32 v[22:23], v[22:23], v[130:131] neg_lo:[0,1] neg_hi:[0,1]
	v_pk_fma_f32 v[128:129], v[126:127], v[114:115], v[124:125] op_sel:[0,0,1] op_sel_hi:[1,1,0] neg_lo:[0,0,1] neg_hi:[0,0,1]
	v_pk_fma_f32 v[124:125], v[126:127], v[114:115], v[124:125] op_sel:[0,0,1] op_sel_hi:[1,0,0]
	s_delay_alu instid0(VALU_DEP_1) | instskip(SKIP_4) | instid1(VALU_DEP_1)
	v_mov_b32_e32 v129, v125
	ds_load_2addr_b64 v[124:127], v118 offset0:41 offset1:42
	v_pk_add_f32 v[84:85], v[84:85], v[128:129] neg_lo:[0,1] neg_hi:[0,1]
	s_wait_dscnt 0x0
	v_pk_mul_f32 v[128:129], v[124:125], v[116:117] op_sel:[0,1]
	v_pk_fma_f32 v[130:131], v[124:125], v[114:115], v[128:129] op_sel:[0,0,1] op_sel_hi:[1,1,0] neg_lo:[0,0,1] neg_hi:[0,0,1]
	v_pk_fma_f32 v[124:125], v[124:125], v[114:115], v[128:129] op_sel:[0,0,1] op_sel_hi:[1,0,0]
	v_dual_mul_f32 v128, v127, v117 :: v_dual_mov_b32 v124, v127
	s_delay_alu instid0(VALU_DEP_2) | instskip(NEXT) | instid1(VALU_DEP_2)
	v_dual_mov_b32 v131, v125 :: v_dual_mov_b32 v125, v126
	v_pk_fma_f32 v[128:129], v[126:127], v[102:103], v[128:129] op_sel_hi:[1,1,0] neg_lo:[0,0,1] neg_hi:[0,0,1]
	v_mul_f32_e32 v126, v127, v114
	s_delay_alu instid0(VALU_DEP_3) | instskip(NEXT) | instid1(VALU_DEP_2)
	v_pk_add_f32 v[18:19], v[18:19], v[130:131] neg_lo:[0,1] neg_hi:[0,1]
	v_pk_fma_f32 v[124:125], v[124:125], v[102:103], v[126:127] op_sel_hi:[1,1,0]
	s_delay_alu instid0(VALU_DEP_1) | instskip(SKIP_4) | instid1(VALU_DEP_1)
	v_mov_b32_e32 v129, v125
	ds_load_2addr_b64 v[124:127], v118 offset0:43 offset1:44
	v_pk_add_f32 v[20:21], v[20:21], v[128:129] neg_lo:[0,1] neg_hi:[0,1]
	s_wait_dscnt 0x0
	v_pk_mul_f32 v[128:129], v[124:125], v[116:117] op_sel:[0,1]
	v_pk_fma_f32 v[130:131], v[124:125], v[114:115], v[128:129] op_sel:[0,0,1] op_sel_hi:[1,1,0] neg_lo:[0,0,1] neg_hi:[0,0,1]
	v_pk_fma_f32 v[124:125], v[124:125], v[114:115], v[128:129] op_sel:[0,0,1] op_sel_hi:[1,0,0]
	s_delay_alu instid0(VALU_DEP_1) | instskip(SKIP_1) | instid1(VALU_DEP_1)
	v_mov_b32_e32 v131, v125
	v_pk_mul_f32 v[124:125], v[126:127], v[116:117] op_sel:[0,1]
	v_pk_fma_f32 v[128:129], v[126:127], v[114:115], v[124:125] op_sel:[0,0,1] op_sel_hi:[1,1,0] neg_lo:[0,0,1] neg_hi:[0,0,1]
	v_pk_fma_f32 v[124:125], v[126:127], v[114:115], v[124:125] op_sel:[0,0,1] op_sel_hi:[1,0,0]
	s_delay_alu instid0(VALU_DEP_1)
	v_mov_b32_e32 v129, v125
	ds_load_2addr_b64 v[124:127], v118 offset0:45 offset1:46
	v_pk_add_f32 v[16:17], v[16:17], v[130:131] neg_lo:[0,1] neg_hi:[0,1]
	v_pk_add_f32 v[82:83], v[82:83], v[128:129] neg_lo:[0,1] neg_hi:[0,1]
	s_wait_dscnt 0x0
	v_pk_mul_f32 v[128:129], v[124:125], v[116:117] op_sel:[0,1]
	s_delay_alu instid0(VALU_DEP_1) | instskip(SKIP_1) | instid1(VALU_DEP_1)
	v_pk_fma_f32 v[130:131], v[124:125], v[114:115], v[128:129] op_sel:[0,0,1] op_sel_hi:[1,1,0] neg_lo:[0,0,1] neg_hi:[0,0,1]
	v_pk_fma_f32 v[124:125], v[124:125], v[114:115], v[128:129] op_sel:[0,0,1] op_sel_hi:[1,0,0]
	v_mov_b32_e32 v131, v125
	v_pk_mul_f32 v[124:125], v[126:127], v[116:117] op_sel:[0,1]
	s_delay_alu instid0(VALU_DEP_1) | instskip(SKIP_1) | instid1(VALU_DEP_1)
	v_pk_fma_f32 v[128:129], v[126:127], v[114:115], v[124:125] op_sel:[0,0,1] op_sel_hi:[1,1,0] neg_lo:[0,0,1] neg_hi:[0,0,1]
	v_pk_fma_f32 v[124:125], v[126:127], v[114:115], v[124:125] op_sel:[0,0,1] op_sel_hi:[1,0,0]
	v_mov_b32_e32 v129, v125
	ds_load_2addr_b64 v[124:127], v118 offset0:47 offset1:48
	v_pk_add_f32 v[10:11], v[10:11], v[130:131] neg_lo:[0,1] neg_hi:[0,1]
	v_pk_add_f32 v[12:13], v[12:13], v[128:129] neg_lo:[0,1] neg_hi:[0,1]
	s_wait_dscnt 0x0
	v_dual_mul_f32 v128, v125, v117 :: v_dual_mul_f32 v130, v125, v114
	s_delay_alu instid0(VALU_DEP_1) | instskip(NEXT) | instid1(VALU_DEP_2)
	v_pk_fma_f32 v[128:129], v[124:125], v[102:103], v[128:129] op_sel_hi:[1,1,0] neg_lo:[0,0,1] neg_hi:[0,0,1]
	v_pk_fma_f32 v[124:125], v[124:125], v[102:103], v[130:131] op_sel:[1,0,0] op_sel_hi:[0,1,0]
	s_delay_alu instid0(VALU_DEP_1) | instskip(SKIP_1) | instid1(VALU_DEP_2)
	v_mov_b32_e32 v129, v125
	v_pk_mul_f32 v[124:125], v[126:127], v[116:117] op_sel:[0,1]
	v_pk_add_f32 v[8:9], v[8:9], v[128:129] neg_lo:[0,1] neg_hi:[0,1]
	s_delay_alu instid0(VALU_DEP_2) | instskip(SKIP_1) | instid1(VALU_DEP_1)
	v_pk_fma_f32 v[128:129], v[126:127], v[114:115], v[124:125] op_sel:[0,0,1] op_sel_hi:[1,1,0] neg_lo:[0,0,1] neg_hi:[0,0,1]
	v_pk_fma_f32 v[124:125], v[126:127], v[114:115], v[124:125] op_sel:[0,0,1] op_sel_hi:[1,0,0]
	v_mov_b32_e32 v129, v125
	ds_load_2addr_b64 v[124:127], v118 offset0:49 offset1:50
	v_pk_add_f32 v[66:67], v[66:67], v[128:129] neg_lo:[0,1] neg_hi:[0,1]
	s_wait_dscnt 0x0
	v_pk_mul_f32 v[128:129], v[124:125], v[116:117] op_sel:[0,1]
	s_delay_alu instid0(VALU_DEP_1) | instskip(SKIP_1) | instid1(VALU_DEP_1)
	v_pk_fma_f32 v[130:131], v[124:125], v[114:115], v[128:129] op_sel:[0,0,1] op_sel_hi:[1,1,0] neg_lo:[0,0,1] neg_hi:[0,0,1]
	v_pk_fma_f32 v[124:125], v[124:125], v[114:115], v[128:129] op_sel:[0,0,1] op_sel_hi:[1,0,0]
	v_mov_b32_e32 v131, v125
	v_pk_mul_f32 v[124:125], v[126:127], v[116:117] op_sel:[0,1]
	s_delay_alu instid0(VALU_DEP_2) | instskip(NEXT) | instid1(VALU_DEP_2)
	v_pk_add_f32 v[6:7], v[6:7], v[130:131] neg_lo:[0,1] neg_hi:[0,1]
	v_pk_fma_f32 v[128:129], v[126:127], v[114:115], v[124:125] op_sel:[0,0,1] op_sel_hi:[1,1,0] neg_lo:[0,0,1] neg_hi:[0,0,1]
	v_pk_fma_f32 v[124:125], v[126:127], v[114:115], v[124:125] op_sel:[0,0,1] op_sel_hi:[1,0,0]
	s_delay_alu instid0(VALU_DEP_1) | instskip(SKIP_4) | instid1(VALU_DEP_1)
	v_mov_b32_e32 v129, v125
	ds_load_2addr_b64 v[124:127], v118 offset0:51 offset1:52
	v_pk_add_f32 v[46:47], v[46:47], v[128:129] neg_lo:[0,1] neg_hi:[0,1]
	s_wait_dscnt 0x0
	v_pk_mul_f32 v[128:129], v[124:125], v[116:117] op_sel:[0,1]
	v_pk_fma_f32 v[130:131], v[124:125], v[114:115], v[128:129] op_sel:[0,0,1] op_sel_hi:[1,1,0] neg_lo:[0,0,1] neg_hi:[0,0,1]
	v_pk_fma_f32 v[124:125], v[124:125], v[114:115], v[128:129] op_sel:[0,0,1] op_sel_hi:[1,0,0]
	v_dual_mul_f32 v128, v127, v117 :: v_dual_mov_b32 v124, v127
	s_delay_alu instid0(VALU_DEP_2) | instskip(NEXT) | instid1(VALU_DEP_2)
	v_dual_mov_b32 v131, v125 :: v_dual_mov_b32 v125, v126
	v_pk_fma_f32 v[128:129], v[126:127], v[102:103], v[128:129] op_sel_hi:[1,1,0] neg_lo:[0,0,1] neg_hi:[0,0,1]
	v_mul_f32_e32 v126, v127, v114
	s_delay_alu instid0(VALU_DEP_3) | instskip(NEXT) | instid1(VALU_DEP_2)
	v_pk_add_f32 v[28:29], v[28:29], v[130:131] neg_lo:[0,1] neg_hi:[0,1]
	v_pk_fma_f32 v[124:125], v[124:125], v[102:103], v[126:127] op_sel_hi:[1,1,0]
	s_delay_alu instid0(VALU_DEP_1) | instskip(SKIP_4) | instid1(VALU_DEP_1)
	v_mov_b32_e32 v129, v125
	ds_load_b64 v[124:125], v118 offset:424
	v_pk_add_f32 v[14:15], v[14:15], v[128:129] neg_lo:[0,1] neg_hi:[0,1]
	s_wait_dscnt 0x0
	v_pk_mul_f32 v[116:117], v[124:125], v[116:117] op_sel:[0,1]
	v_pk_fma_f32 v[126:127], v[124:125], v[114:115], v[116:117] op_sel:[0,0,1] op_sel_hi:[1,1,0] neg_lo:[0,0,1] neg_hi:[0,0,1]
	v_pk_fma_f32 v[114:115], v[124:125], v[114:115], v[116:117] op_sel:[0,0,1] op_sel_hi:[1,0,0]
	s_delay_alu instid0(VALU_DEP_1) | instskip(NEXT) | instid1(VALU_DEP_1)
	v_mov_b32_e32 v127, v115
	v_pk_add_f32 v[112:113], v[112:113], v[126:127] neg_lo:[0,1] neg_hi:[0,1]
.LBB106_188:
	s_or_b32 exec_lo, exec_lo, s0
	v_lshl_add_u32 v114, v122, 3, v118
	s_barrier_signal -1
	s_barrier_wait -1
	ds_store_b64 v114, v[78:79]
	s_wait_dscnt 0x0
	s_barrier_signal -1
	s_barrier_wait -1
	ds_load_b64 v[116:117], v118 offset:72
	v_mov_b32_e32 v114, 9
	s_cmp_lt_i32 s18, 11
	s_cbranch_scc1 .LBB106_191
; %bb.189:
	v_add3_u32 v115, v119, 0, 0x50
	v_mov_b32_e32 v114, 9
	s_mov_b32 s0, 10
.LBB106_190:                            ; =>This Inner Loop Header: Depth=1
	ds_load_b64 v[124:125], v115
	s_wait_dscnt 0x1
	v_cmp_gt_f32_e32 vcc_lo, 0, v116
	v_cndmask_b32_e64 v126, v116, -v116, vcc_lo
	v_cmp_gt_f32_e32 vcc_lo, 0, v117
	v_cndmask_b32_e64 v128, v117, -v117, vcc_lo
	s_wait_dscnt 0x0
	v_cmp_gt_f32_e32 vcc_lo, 0, v124
	v_cndmask_b32_e64 v127, v124, -v124, vcc_lo
	v_cmp_gt_f32_e32 vcc_lo, 0, v125
	v_cndmask_b32_e64 v129, v125, -v125, vcc_lo
	s_delay_alu instid0(VALU_DEP_1) | instskip(NEXT) | instid1(VALU_DEP_1)
	v_pk_add_f32 v[126:127], v[126:127], v[128:129]
	v_cmp_lt_f32_e32 vcc_lo, v126, v127
	v_dual_add_nc_u32 v115, 8, v115 :: v_dual_cndmask_b32 v117, v117, v125, vcc_lo
	v_cndmask_b32_e32 v116, v116, v124, vcc_lo
	v_cndmask_b32_e64 v114, v114, s0, vcc_lo
	s_add_co_i32 s0, s0, 1
	s_delay_alu instid0(SALU_CYCLE_1)
	s_cmp_lg_u32 s18, s0
	s_cbranch_scc1 .LBB106_190
.LBB106_191:
	s_wait_dscnt 0x0
	v_cmp_eq_f32_e32 vcc_lo, 0, v116
	v_cmp_eq_f32_e64 s0, 0, v117
	s_and_b32 s0, vcc_lo, s0
	s_delay_alu instid0(SALU_CYCLE_1) | instskip(NEXT) | instid1(SALU_CYCLE_1)
	s_and_saveexec_b32 s1, s0
	s_xor_b32 s0, exec_lo, s1
; %bb.192:
	v_cmp_ne_u32_e32 vcc_lo, 0, v120
	v_cndmask_b32_e32 v120, 10, v120, vcc_lo
; %bb.193:
	s_and_not1_saveexec_b32 s0, s0
	s_cbranch_execz .LBB106_199
; %bb.194:
	v_cmp_ngt_f32_e64 s1, |v116|, |v117|
	s_and_saveexec_b32 s12, s1
	s_delay_alu instid0(SALU_CYCLE_1)
	s_xor_b32 s1, exec_lo, s12
	s_cbranch_execz .LBB106_196
; %bb.195:
	v_div_scale_f32 v115, null, v117, v117, v116
	v_div_scale_f32 v125, vcc_lo, v116, v117, v116
	s_delay_alu instid0(VALU_DEP_2) | instskip(SKIP_1) | instid1(TRANS32_DEP_1)
	v_rcp_f32_e32 v123, v115
	v_nop
	v_fma_f32 v124, -v115, v123, 1.0
	s_delay_alu instid0(VALU_DEP_1) | instskip(NEXT) | instid1(VALU_DEP_1)
	v_fmac_f32_e32 v123, v124, v123
	v_mul_f32_e32 v124, v125, v123
	s_delay_alu instid0(VALU_DEP_1) | instskip(NEXT) | instid1(VALU_DEP_1)
	v_fma_f32 v126, -v115, v124, v125
	v_fmac_f32_e32 v124, v126, v123
	s_delay_alu instid0(VALU_DEP_1) | instskip(NEXT) | instid1(VALU_DEP_1)
	v_fma_f32 v115, -v115, v124, v125
	v_div_fmas_f32 v115, v115, v123, v124
	s_delay_alu instid0(VALU_DEP_1) | instskip(NEXT) | instid1(VALU_DEP_1)
	v_div_fixup_f32 v115, v115, v117, v116
	v_fmac_f32_e32 v117, v116, v115
	s_delay_alu instid0(VALU_DEP_1) | instskip(SKIP_1) | instid1(VALU_DEP_2)
	v_div_scale_f32 v116, null, v117, v117, 1.0
	v_div_scale_f32 v125, vcc_lo, 1.0, v117, 1.0
	v_rcp_f32_e32 v123, v116
	v_nop
	s_delay_alu instid0(TRANS32_DEP_1) | instskip(NEXT) | instid1(VALU_DEP_1)
	v_fma_f32 v124, -v116, v123, 1.0
	v_fmac_f32_e32 v123, v124, v123
	s_delay_alu instid0(VALU_DEP_1) | instskip(NEXT) | instid1(VALU_DEP_1)
	v_mul_f32_e32 v124, v125, v123
	v_fma_f32 v126, -v116, v124, v125
	s_delay_alu instid0(VALU_DEP_1) | instskip(NEXT) | instid1(VALU_DEP_1)
	v_fmac_f32_e32 v124, v126, v123
	v_fma_f32 v116, -v116, v124, v125
	s_delay_alu instid0(VALU_DEP_1) | instskip(NEXT) | instid1(VALU_DEP_1)
	v_div_fmas_f32 v116, v116, v123, v124
	v_div_fixup_f32 v117, v116, v117, 1.0
	s_delay_alu instid0(VALU_DEP_1)
	v_mul_f32_e32 v116, v115, v117
	v_xor_b32_e32 v117, 0x80000000, v117
.LBB106_196:
	s_and_not1_saveexec_b32 s1, s1
	s_cbranch_execz .LBB106_198
; %bb.197:
	s_delay_alu instid0(VALU_DEP_1) | instskip(SKIP_1) | instid1(VALU_DEP_2)
	v_div_scale_f32 v115, null, v116, v116, v117
	v_div_scale_f32 v125, vcc_lo, v117, v116, v117
	v_rcp_f32_e32 v123, v115
	v_nop
	s_delay_alu instid0(TRANS32_DEP_1) | instskip(NEXT) | instid1(VALU_DEP_1)
	v_fma_f32 v124, -v115, v123, 1.0
	v_fmac_f32_e32 v123, v124, v123
	s_delay_alu instid0(VALU_DEP_1) | instskip(NEXT) | instid1(VALU_DEP_1)
	v_mul_f32_e32 v124, v125, v123
	v_fma_f32 v126, -v115, v124, v125
	s_delay_alu instid0(VALU_DEP_1) | instskip(NEXT) | instid1(VALU_DEP_1)
	v_fmac_f32_e32 v124, v126, v123
	v_fma_f32 v115, -v115, v124, v125
	s_delay_alu instid0(VALU_DEP_1) | instskip(NEXT) | instid1(VALU_DEP_1)
	v_div_fmas_f32 v115, v115, v123, v124
	v_div_fixup_f32 v115, v115, v116, v117
	s_delay_alu instid0(VALU_DEP_1) | instskip(NEXT) | instid1(VALU_DEP_1)
	v_fmac_f32_e32 v116, v117, v115
	v_div_scale_f32 v117, null, v116, v116, 1.0
	s_delay_alu instid0(VALU_DEP_1) | instskip(SKIP_1) | instid1(TRANS32_DEP_1)
	v_rcp_f32_e32 v123, v117
	v_nop
	v_fma_f32 v124, -v117, v123, 1.0
	s_delay_alu instid0(VALU_DEP_1) | instskip(SKIP_1) | instid1(VALU_DEP_1)
	v_fmac_f32_e32 v123, v124, v123
	v_div_scale_f32 v124, vcc_lo, 1.0, v116, 1.0
	v_mul_f32_e32 v125, v124, v123
	s_delay_alu instid0(VALU_DEP_1) | instskip(NEXT) | instid1(VALU_DEP_1)
	v_fma_f32 v126, -v117, v125, v124
	v_fmac_f32_e32 v125, v126, v123
	s_delay_alu instid0(VALU_DEP_1) | instskip(NEXT) | instid1(VALU_DEP_1)
	v_fma_f32 v117, -v117, v125, v124
	v_div_fmas_f32 v117, v117, v123, v125
	s_delay_alu instid0(VALU_DEP_1) | instskip(NEXT) | instid1(VALU_DEP_1)
	v_div_fixup_f32 v116, v117, v116, 1.0
	v_mul_f32_e64 v117, v115, -v116
.LBB106_198:
	s_or_b32 exec_lo, exec_lo, s1
.LBB106_199:
	s_delay_alu instid0(SALU_CYCLE_1) | instskip(NEXT) | instid1(SALU_CYCLE_1)
	s_or_b32 exec_lo, exec_lo, s0
	s_mov_b32 s0, exec_lo
	v_cmpx_ne_u32_e64 v122, v114
	s_xor_b32 s0, exec_lo, s0
	s_cbranch_execz .LBB106_205
; %bb.200:
	s_mov_b32 s1, exec_lo
	v_cmpx_eq_u32_e32 9, v122
	s_cbranch_execz .LBB106_204
; %bb.201:
	v_cmp_ne_u32_e32 vcc_lo, 9, v114
	s_xor_b32 s12, s16, -1
	s_delay_alu instid0(SALU_CYCLE_1) | instskip(NEXT) | instid1(SALU_CYCLE_1)
	s_and_b32 s13, s12, vcc_lo
	s_and_saveexec_b32 s12, s13
	s_cbranch_execz .LBB106_203
; %bb.202:
	v_ashrrev_i32_e32 v115, 31, v114
	s_delay_alu instid0(VALU_DEP_1)
	v_lshl_add_u64 v[122:123], v[114:115], 2, v[4:5]
	s_clause 0x1
	global_load_b32 v115, v[122:123], off
	global_load_b32 v121, v[4:5], off offset:36
	s_wait_loadcnt 0x1
	global_store_b32 v[4:5], v115, off offset:36
	s_wait_loadcnt 0x0
	global_store_b32 v[122:123], v121, off
.LBB106_203:
	s_wait_xcnt 0x0
	s_or_b32 exec_lo, exec_lo, s12
	v_dual_mov_b32 v122, v114 :: v_dual_mov_b32 v121, v114
.LBB106_204:
	s_or_b32 exec_lo, exec_lo, s1
.LBB106_205:
	s_and_not1_saveexec_b32 s0, s0
	s_cbranch_execz .LBB106_207
; %bb.206:
	v_dual_mov_b32 v114, v80 :: v_dual_mov_b32 v115, v81
	v_dual_mov_b32 v122, v76 :: v_dual_mov_b32 v123, v77
	v_dual_mov_b32 v124, v100 :: v_dual_mov_b32 v125, v101
	v_dual_mov_b32 v126, v72 :: v_dual_mov_b32 v127, v73
	v_dual_mov_b32 v128, v74 :: v_dual_mov_b32 v129, v75
	v_dual_mov_b32 v130, v70 :: v_dual_mov_b32 v131, v71
	v_dual_mov_b32 v132, v98 :: v_dual_mov_b32 v133, v99
	v_dual_mov_b32 v134, v64 :: v_dual_mov_b32 v135, v65
	v_dual_mov_b32 v136, v68 :: v_dual_mov_b32 v137, v69
	v_dual_mov_b32 v138, v62 :: v_dual_mov_b32 v139, v63
	v_dual_mov_b32 v140, v96 :: v_dual_mov_b32 v141, v97
	v_dual_mov_b32 v142, v58 :: v_dual_mov_b32 v143, v59
	ds_store_2addr_b64 v118, v[114:115], v[122:123] offset0:10 offset1:11
	ds_store_2addr_b64 v118, v[124:125], v[126:127] offset0:12 offset1:13
	ds_store_2addr_b64 v118, v[128:129], v[130:131] offset0:14 offset1:15
	ds_store_2addr_b64 v118, v[132:133], v[134:135] offset0:16 offset1:17
	ds_store_2addr_b64 v118, v[136:137], v[138:139] offset0:18 offset1:19
	ds_store_2addr_b64 v118, v[140:141], v[142:143] offset0:20 offset1:21
	v_dual_mov_b32 v114, v60 :: v_dual_mov_b32 v115, v61
	v_dual_mov_b32 v122, v56 :: v_dual_mov_b32 v123, v57
	v_dual_mov_b32 v124, v94 :: v_dual_mov_b32 v125, v95
	v_dual_mov_b32 v126, v52 :: v_dual_mov_b32 v127, v53
	v_dual_mov_b32 v128, v54 :: v_dual_mov_b32 v129, v55
	v_dual_mov_b32 v130, v50 :: v_dual_mov_b32 v131, v51
	v_dual_mov_b32 v132, v90 :: v_dual_mov_b32 v133, v91
	v_dual_mov_b32 v134, v38 :: v_dual_mov_b32 v135, v39
	v_dual_mov_b32 v136, v40 :: v_dual_mov_b32 v137, v41
	v_dual_mov_b32 v138, v36 :: v_dual_mov_b32 v139, v37
	v_dual_mov_b32 v140, v88 :: v_dual_mov_b32 v141, v89
	v_dual_mov_b32 v142, v32 :: v_dual_mov_b32 v143, v33
	ds_store_2addr_b64 v118, v[114:115], v[122:123] offset0:22 offset1:23
	ds_store_2addr_b64 v118, v[124:125], v[126:127] offset0:24 offset1:25
	ds_store_2addr_b64 v118, v[128:129], v[130:131] offset0:26 offset1:27
	ds_store_2addr_b64 v118, v[132:133], v[134:135] offset0:28 offset1:29
	ds_store_2addr_b64 v118, v[136:137], v[138:139] offset0:30 offset1:31
	ds_store_2addr_b64 v118, v[140:141], v[142:143] offset0:32 offset1:33
	;; [unrolled: 18-line block ×3, first 2 shown]
	v_dual_mov_b32 v114, v12 :: v_dual_mov_b32 v115, v13
	v_dual_mov_b32 v124, v8 :: v_dual_mov_b32 v125, v9
	;; [unrolled: 1-line block ×7, first 2 shown]
	v_mov_b32_e32 v135, v15
	ds_store_2addr_b64 v118, v[114:115], v[124:125] offset0:46 offset1:47
	ds_store_2addr_b64 v118, v[126:127], v[128:129] offset0:48 offset1:49
	;; [unrolled: 1-line block ×4, first 2 shown]
.LBB106_207:
	s_or_b32 exec_lo, exec_lo, s0
	s_delay_alu instid0(SALU_CYCLE_1)
	s_mov_b32 s0, exec_lo
	s_wait_storecnt_dscnt 0x0
	s_barrier_signal -1
	s_barrier_wait -1
	v_cmpx_lt_i32_e32 9, v122
	s_cbranch_execz .LBB106_209
; %bb.208:
	v_pk_mul_f32 v[124:125], v[116:117], v[78:79] op_sel:[1,1] op_sel_hi:[0,1]
	s_delay_alu instid0(VALU_DEP_1)
	v_pk_fma_f32 v[114:115], v[116:117], v[78:79], v[124:125] op_sel_hi:[1,0,1] neg_lo:[0,0,1] neg_hi:[0,0,1]
	v_pk_fma_f32 v[116:117], v[116:117], v[78:79], v[124:125] op_sel_hi:[1,0,1]
	ds_load_2addr_b64 v[124:127], v118 offset0:10 offset1:11
	v_dual_mov_b32 v78, v114 :: v_dual_mov_b32 v79, v117
	s_wait_dscnt 0x0
	v_pk_mul_f32 v[128:129], v[124:125], v[116:117] op_sel:[0,1]
	s_delay_alu instid0(VALU_DEP_1) | instskip(SKIP_1) | instid1(VALU_DEP_1)
	v_pk_fma_f32 v[130:131], v[124:125], v[114:115], v[128:129] op_sel:[0,0,1] op_sel_hi:[1,1,0] neg_lo:[0,0,1] neg_hi:[0,0,1]
	v_pk_fma_f32 v[124:125], v[124:125], v[114:115], v[128:129] op_sel:[0,0,1] op_sel_hi:[1,0,0]
	v_mov_b32_e32 v131, v125
	v_pk_mul_f32 v[124:125], v[126:127], v[116:117] op_sel:[0,1]
	s_delay_alu instid0(VALU_DEP_1) | instskip(SKIP_1) | instid1(VALU_DEP_1)
	v_pk_fma_f32 v[128:129], v[126:127], v[114:115], v[124:125] op_sel:[0,0,1] op_sel_hi:[1,1,0] neg_lo:[0,0,1] neg_hi:[0,0,1]
	v_pk_fma_f32 v[124:125], v[126:127], v[114:115], v[124:125] op_sel:[0,0,1] op_sel_hi:[1,0,0]
	v_mov_b32_e32 v129, v125
	ds_load_2addr_b64 v[124:127], v118 offset0:12 offset1:13
	v_pk_add_f32 v[80:81], v[80:81], v[130:131] neg_lo:[0,1] neg_hi:[0,1]
	v_pk_add_f32 v[76:77], v[76:77], v[128:129] neg_lo:[0,1] neg_hi:[0,1]
	s_wait_dscnt 0x0
	v_pk_mul_f32 v[128:129], v[124:125], v[116:117] op_sel:[0,1]
	s_delay_alu instid0(VALU_DEP_1) | instskip(SKIP_2) | instid1(VALU_DEP_2)
	v_pk_fma_f32 v[130:131], v[124:125], v[114:115], v[128:129] op_sel:[0,0,1] op_sel_hi:[1,1,0] neg_lo:[0,0,1] neg_hi:[0,0,1]
	v_pk_fma_f32 v[124:125], v[124:125], v[114:115], v[128:129] op_sel:[0,0,1] op_sel_hi:[1,0,0]
	v_dual_mul_f32 v128, v127, v117 :: v_dual_mov_b32 v124, v127
	v_dual_mov_b32 v131, v125 :: v_dual_mov_b32 v125, v126
	s_delay_alu instid0(VALU_DEP_2) | instskip(SKIP_1) | instid1(VALU_DEP_3)
	v_pk_fma_f32 v[128:129], v[126:127], v[78:79], v[128:129] op_sel_hi:[1,1,0] neg_lo:[0,0,1] neg_hi:[0,0,1]
	v_mul_f32_e32 v126, v127, v114
	v_pk_add_f32 v[100:101], v[100:101], v[130:131] neg_lo:[0,1] neg_hi:[0,1]
	s_delay_alu instid0(VALU_DEP_2) | instskip(NEXT) | instid1(VALU_DEP_1)
	v_pk_fma_f32 v[124:125], v[124:125], v[78:79], v[126:127] op_sel_hi:[1,1,0]
	v_mov_b32_e32 v129, v125
	ds_load_2addr_b64 v[124:127], v118 offset0:14 offset1:15
	v_pk_add_f32 v[72:73], v[72:73], v[128:129] neg_lo:[0,1] neg_hi:[0,1]
	s_wait_dscnt 0x0
	v_pk_mul_f32 v[128:129], v[124:125], v[116:117] op_sel:[0,1]
	s_delay_alu instid0(VALU_DEP_1) | instskip(SKIP_1) | instid1(VALU_DEP_1)
	v_pk_fma_f32 v[130:131], v[124:125], v[114:115], v[128:129] op_sel:[0,0,1] op_sel_hi:[1,1,0] neg_lo:[0,0,1] neg_hi:[0,0,1]
	v_pk_fma_f32 v[124:125], v[124:125], v[114:115], v[128:129] op_sel:[0,0,1] op_sel_hi:[1,0,0]
	v_mov_b32_e32 v131, v125
	v_pk_mul_f32 v[124:125], v[126:127], v[116:117] op_sel:[0,1]
	s_delay_alu instid0(VALU_DEP_1) | instskip(SKIP_1) | instid1(VALU_DEP_1)
	v_pk_fma_f32 v[128:129], v[126:127], v[114:115], v[124:125] op_sel:[0,0,1] op_sel_hi:[1,1,0] neg_lo:[0,0,1] neg_hi:[0,0,1]
	v_pk_fma_f32 v[124:125], v[126:127], v[114:115], v[124:125] op_sel:[0,0,1] op_sel_hi:[1,0,0]
	v_mov_b32_e32 v129, v125
	ds_load_2addr_b64 v[124:127], v118 offset0:16 offset1:17
	v_pk_add_f32 v[74:75], v[74:75], v[130:131] neg_lo:[0,1] neg_hi:[0,1]
	v_pk_add_f32 v[70:71], v[70:71], v[128:129] neg_lo:[0,1] neg_hi:[0,1]
	s_wait_dscnt 0x0
	v_pk_mul_f32 v[128:129], v[124:125], v[116:117] op_sel:[0,1]
	s_delay_alu instid0(VALU_DEP_1) | instskip(SKIP_1) | instid1(VALU_DEP_1)
	v_pk_fma_f32 v[130:131], v[124:125], v[114:115], v[128:129] op_sel:[0,0,1] op_sel_hi:[1,1,0] neg_lo:[0,0,1] neg_hi:[0,0,1]
	v_pk_fma_f32 v[124:125], v[124:125], v[114:115], v[128:129] op_sel:[0,0,1] op_sel_hi:[1,0,0]
	v_mov_b32_e32 v131, v125
	v_pk_mul_f32 v[124:125], v[126:127], v[116:117] op_sel:[0,1]
	s_delay_alu instid0(VALU_DEP_1) | instskip(SKIP_1) | instid1(VALU_DEP_1)
	v_pk_fma_f32 v[128:129], v[126:127], v[114:115], v[124:125] op_sel:[0,0,1] op_sel_hi:[1,1,0] neg_lo:[0,0,1] neg_hi:[0,0,1]
	v_pk_fma_f32 v[124:125], v[126:127], v[114:115], v[124:125] op_sel:[0,0,1] op_sel_hi:[1,0,0]
	v_mov_b32_e32 v129, v125
	ds_load_2addr_b64 v[124:127], v118 offset0:18 offset1:19
	v_pk_add_f32 v[98:99], v[98:99], v[130:131] neg_lo:[0,1] neg_hi:[0,1]
	v_pk_add_f32 v[64:65], v[64:65], v[128:129] neg_lo:[0,1] neg_hi:[0,1]
	s_wait_dscnt 0x0
	v_dual_mul_f32 v128, v125, v117 :: v_dual_mul_f32 v130, v125, v114
	s_delay_alu instid0(VALU_DEP_1) | instskip(NEXT) | instid1(VALU_DEP_2)
	v_pk_fma_f32 v[128:129], v[124:125], v[78:79], v[128:129] op_sel_hi:[1,1,0] neg_lo:[0,0,1] neg_hi:[0,0,1]
	v_pk_fma_f32 v[124:125], v[124:125], v[78:79], v[130:131] op_sel:[1,0,0] op_sel_hi:[0,1,0]
	s_delay_alu instid0(VALU_DEP_1) | instskip(SKIP_1) | instid1(VALU_DEP_2)
	v_mov_b32_e32 v129, v125
	v_pk_mul_f32 v[124:125], v[126:127], v[116:117] op_sel:[0,1]
	v_pk_add_f32 v[68:69], v[68:69], v[128:129] neg_lo:[0,1] neg_hi:[0,1]
	s_delay_alu instid0(VALU_DEP_2) | instskip(SKIP_1) | instid1(VALU_DEP_1)
	v_pk_fma_f32 v[128:129], v[126:127], v[114:115], v[124:125] op_sel:[0,0,1] op_sel_hi:[1,1,0] neg_lo:[0,0,1] neg_hi:[0,0,1]
	v_pk_fma_f32 v[124:125], v[126:127], v[114:115], v[124:125] op_sel:[0,0,1] op_sel_hi:[1,0,0]
	v_mov_b32_e32 v129, v125
	ds_load_2addr_b64 v[124:127], v118 offset0:20 offset1:21
	v_pk_add_f32 v[62:63], v[62:63], v[128:129] neg_lo:[0,1] neg_hi:[0,1]
	s_wait_dscnt 0x0
	v_pk_mul_f32 v[128:129], v[124:125], v[116:117] op_sel:[0,1]
	s_delay_alu instid0(VALU_DEP_1) | instskip(SKIP_1) | instid1(VALU_DEP_1)
	v_pk_fma_f32 v[130:131], v[124:125], v[114:115], v[128:129] op_sel:[0,0,1] op_sel_hi:[1,1,0] neg_lo:[0,0,1] neg_hi:[0,0,1]
	v_pk_fma_f32 v[124:125], v[124:125], v[114:115], v[128:129] op_sel:[0,0,1] op_sel_hi:[1,0,0]
	v_mov_b32_e32 v131, v125
	v_pk_mul_f32 v[124:125], v[126:127], v[116:117] op_sel:[0,1]
	s_delay_alu instid0(VALU_DEP_2) | instskip(NEXT) | instid1(VALU_DEP_2)
	v_pk_add_f32 v[96:97], v[96:97], v[130:131] neg_lo:[0,1] neg_hi:[0,1]
	v_pk_fma_f32 v[128:129], v[126:127], v[114:115], v[124:125] op_sel:[0,0,1] op_sel_hi:[1,1,0] neg_lo:[0,0,1] neg_hi:[0,0,1]
	v_pk_fma_f32 v[124:125], v[126:127], v[114:115], v[124:125] op_sel:[0,0,1] op_sel_hi:[1,0,0]
	s_delay_alu instid0(VALU_DEP_1) | instskip(SKIP_4) | instid1(VALU_DEP_1)
	v_mov_b32_e32 v129, v125
	ds_load_2addr_b64 v[124:127], v118 offset0:22 offset1:23
	v_pk_add_f32 v[58:59], v[58:59], v[128:129] neg_lo:[0,1] neg_hi:[0,1]
	s_wait_dscnt 0x0
	v_pk_mul_f32 v[128:129], v[124:125], v[116:117] op_sel:[0,1]
	v_pk_fma_f32 v[130:131], v[124:125], v[114:115], v[128:129] op_sel:[0,0,1] op_sel_hi:[1,1,0] neg_lo:[0,0,1] neg_hi:[0,0,1]
	v_pk_fma_f32 v[124:125], v[124:125], v[114:115], v[128:129] op_sel:[0,0,1] op_sel_hi:[1,0,0]
	v_dual_mul_f32 v128, v127, v117 :: v_dual_mov_b32 v124, v127
	s_delay_alu instid0(VALU_DEP_2) | instskip(NEXT) | instid1(VALU_DEP_2)
	v_dual_mov_b32 v131, v125 :: v_dual_mov_b32 v125, v126
	v_pk_fma_f32 v[128:129], v[126:127], v[78:79], v[128:129] op_sel_hi:[1,1,0] neg_lo:[0,0,1] neg_hi:[0,0,1]
	v_mul_f32_e32 v126, v127, v114
	s_delay_alu instid0(VALU_DEP_3) | instskip(NEXT) | instid1(VALU_DEP_2)
	v_pk_add_f32 v[60:61], v[60:61], v[130:131] neg_lo:[0,1] neg_hi:[0,1]
	v_pk_fma_f32 v[124:125], v[124:125], v[78:79], v[126:127] op_sel_hi:[1,1,0]
	s_delay_alu instid0(VALU_DEP_1) | instskip(SKIP_4) | instid1(VALU_DEP_1)
	v_mov_b32_e32 v129, v125
	ds_load_2addr_b64 v[124:127], v118 offset0:24 offset1:25
	v_pk_add_f32 v[56:57], v[56:57], v[128:129] neg_lo:[0,1] neg_hi:[0,1]
	s_wait_dscnt 0x0
	v_pk_mul_f32 v[128:129], v[124:125], v[116:117] op_sel:[0,1]
	v_pk_fma_f32 v[130:131], v[124:125], v[114:115], v[128:129] op_sel:[0,0,1] op_sel_hi:[1,1,0] neg_lo:[0,0,1] neg_hi:[0,0,1]
	v_pk_fma_f32 v[124:125], v[124:125], v[114:115], v[128:129] op_sel:[0,0,1] op_sel_hi:[1,0,0]
	s_delay_alu instid0(VALU_DEP_1) | instskip(SKIP_1) | instid1(VALU_DEP_1)
	v_mov_b32_e32 v131, v125
	v_pk_mul_f32 v[124:125], v[126:127], v[116:117] op_sel:[0,1]
	v_pk_fma_f32 v[128:129], v[126:127], v[114:115], v[124:125] op_sel:[0,0,1] op_sel_hi:[1,1,0] neg_lo:[0,0,1] neg_hi:[0,0,1]
	v_pk_fma_f32 v[124:125], v[126:127], v[114:115], v[124:125] op_sel:[0,0,1] op_sel_hi:[1,0,0]
	s_delay_alu instid0(VALU_DEP_1)
	v_mov_b32_e32 v129, v125
	ds_load_2addr_b64 v[124:127], v118 offset0:26 offset1:27
	v_pk_add_f32 v[94:95], v[94:95], v[130:131] neg_lo:[0,1] neg_hi:[0,1]
	v_pk_add_f32 v[52:53], v[52:53], v[128:129] neg_lo:[0,1] neg_hi:[0,1]
	s_wait_dscnt 0x0
	v_pk_mul_f32 v[128:129], v[124:125], v[116:117] op_sel:[0,1]
	s_delay_alu instid0(VALU_DEP_1) | instskip(SKIP_1) | instid1(VALU_DEP_1)
	v_pk_fma_f32 v[130:131], v[124:125], v[114:115], v[128:129] op_sel:[0,0,1] op_sel_hi:[1,1,0] neg_lo:[0,0,1] neg_hi:[0,0,1]
	v_pk_fma_f32 v[124:125], v[124:125], v[114:115], v[128:129] op_sel:[0,0,1] op_sel_hi:[1,0,0]
	v_mov_b32_e32 v131, v125
	v_pk_mul_f32 v[124:125], v[126:127], v[116:117] op_sel:[0,1]
	s_delay_alu instid0(VALU_DEP_1) | instskip(SKIP_1) | instid1(VALU_DEP_1)
	v_pk_fma_f32 v[128:129], v[126:127], v[114:115], v[124:125] op_sel:[0,0,1] op_sel_hi:[1,1,0] neg_lo:[0,0,1] neg_hi:[0,0,1]
	v_pk_fma_f32 v[124:125], v[126:127], v[114:115], v[124:125] op_sel:[0,0,1] op_sel_hi:[1,0,0]
	v_mov_b32_e32 v129, v125
	ds_load_2addr_b64 v[124:127], v118 offset0:28 offset1:29
	v_pk_add_f32 v[54:55], v[54:55], v[130:131] neg_lo:[0,1] neg_hi:[0,1]
	v_pk_add_f32 v[50:51], v[50:51], v[128:129] neg_lo:[0,1] neg_hi:[0,1]
	s_wait_dscnt 0x0
	v_dual_mul_f32 v128, v125, v117 :: v_dual_mul_f32 v130, v125, v114
	s_delay_alu instid0(VALU_DEP_1) | instskip(NEXT) | instid1(VALU_DEP_2)
	v_pk_fma_f32 v[128:129], v[124:125], v[78:79], v[128:129] op_sel_hi:[1,1,0] neg_lo:[0,0,1] neg_hi:[0,0,1]
	v_pk_fma_f32 v[124:125], v[124:125], v[78:79], v[130:131] op_sel:[1,0,0] op_sel_hi:[0,1,0]
	s_delay_alu instid0(VALU_DEP_1) | instskip(SKIP_1) | instid1(VALU_DEP_2)
	v_mov_b32_e32 v129, v125
	v_pk_mul_f32 v[124:125], v[126:127], v[116:117] op_sel:[0,1]
	v_pk_add_f32 v[90:91], v[90:91], v[128:129] neg_lo:[0,1] neg_hi:[0,1]
	s_delay_alu instid0(VALU_DEP_2) | instskip(SKIP_1) | instid1(VALU_DEP_1)
	v_pk_fma_f32 v[128:129], v[126:127], v[114:115], v[124:125] op_sel:[0,0,1] op_sel_hi:[1,1,0] neg_lo:[0,0,1] neg_hi:[0,0,1]
	v_pk_fma_f32 v[124:125], v[126:127], v[114:115], v[124:125] op_sel:[0,0,1] op_sel_hi:[1,0,0]
	v_mov_b32_e32 v129, v125
	ds_load_2addr_b64 v[124:127], v118 offset0:30 offset1:31
	v_pk_add_f32 v[38:39], v[38:39], v[128:129] neg_lo:[0,1] neg_hi:[0,1]
	s_wait_dscnt 0x0
	v_pk_mul_f32 v[128:129], v[124:125], v[116:117] op_sel:[0,1]
	s_delay_alu instid0(VALU_DEP_1) | instskip(SKIP_1) | instid1(VALU_DEP_1)
	v_pk_fma_f32 v[130:131], v[124:125], v[114:115], v[128:129] op_sel:[0,0,1] op_sel_hi:[1,1,0] neg_lo:[0,0,1] neg_hi:[0,0,1]
	v_pk_fma_f32 v[124:125], v[124:125], v[114:115], v[128:129] op_sel:[0,0,1] op_sel_hi:[1,0,0]
	v_mov_b32_e32 v131, v125
	v_pk_mul_f32 v[124:125], v[126:127], v[116:117] op_sel:[0,1]
	s_delay_alu instid0(VALU_DEP_2) | instskip(NEXT) | instid1(VALU_DEP_2)
	v_pk_add_f32 v[40:41], v[40:41], v[130:131] neg_lo:[0,1] neg_hi:[0,1]
	v_pk_fma_f32 v[128:129], v[126:127], v[114:115], v[124:125] op_sel:[0,0,1] op_sel_hi:[1,1,0] neg_lo:[0,0,1] neg_hi:[0,0,1]
	v_pk_fma_f32 v[124:125], v[126:127], v[114:115], v[124:125] op_sel:[0,0,1] op_sel_hi:[1,0,0]
	s_delay_alu instid0(VALU_DEP_1) | instskip(SKIP_4) | instid1(VALU_DEP_1)
	v_mov_b32_e32 v129, v125
	ds_load_2addr_b64 v[124:127], v118 offset0:32 offset1:33
	v_pk_add_f32 v[36:37], v[36:37], v[128:129] neg_lo:[0,1] neg_hi:[0,1]
	s_wait_dscnt 0x0
	v_pk_mul_f32 v[128:129], v[124:125], v[116:117] op_sel:[0,1]
	v_pk_fma_f32 v[130:131], v[124:125], v[114:115], v[128:129] op_sel:[0,0,1] op_sel_hi:[1,1,0] neg_lo:[0,0,1] neg_hi:[0,0,1]
	v_pk_fma_f32 v[124:125], v[124:125], v[114:115], v[128:129] op_sel:[0,0,1] op_sel_hi:[1,0,0]
	v_dual_mul_f32 v128, v127, v117 :: v_dual_mov_b32 v124, v127
	s_delay_alu instid0(VALU_DEP_2) | instskip(NEXT) | instid1(VALU_DEP_2)
	v_dual_mov_b32 v131, v125 :: v_dual_mov_b32 v125, v126
	v_pk_fma_f32 v[128:129], v[126:127], v[78:79], v[128:129] op_sel_hi:[1,1,0] neg_lo:[0,0,1] neg_hi:[0,0,1]
	v_mul_f32_e32 v126, v127, v114
	s_delay_alu instid0(VALU_DEP_3) | instskip(NEXT) | instid1(VALU_DEP_2)
	v_pk_add_f32 v[88:89], v[88:89], v[130:131] neg_lo:[0,1] neg_hi:[0,1]
	v_pk_fma_f32 v[124:125], v[124:125], v[78:79], v[126:127] op_sel_hi:[1,1,0]
	s_delay_alu instid0(VALU_DEP_1) | instskip(SKIP_4) | instid1(VALU_DEP_1)
	v_mov_b32_e32 v129, v125
	ds_load_2addr_b64 v[124:127], v118 offset0:34 offset1:35
	v_pk_add_f32 v[32:33], v[32:33], v[128:129] neg_lo:[0,1] neg_hi:[0,1]
	s_wait_dscnt 0x0
	v_pk_mul_f32 v[128:129], v[124:125], v[116:117] op_sel:[0,1]
	v_pk_fma_f32 v[130:131], v[124:125], v[114:115], v[128:129] op_sel:[0,0,1] op_sel_hi:[1,1,0] neg_lo:[0,0,1] neg_hi:[0,0,1]
	v_pk_fma_f32 v[124:125], v[124:125], v[114:115], v[128:129] op_sel:[0,0,1] op_sel_hi:[1,0,0]
	s_delay_alu instid0(VALU_DEP_1) | instskip(SKIP_1) | instid1(VALU_DEP_1)
	v_mov_b32_e32 v131, v125
	v_pk_mul_f32 v[124:125], v[126:127], v[116:117] op_sel:[0,1]
	v_pk_fma_f32 v[128:129], v[126:127], v[114:115], v[124:125] op_sel:[0,0,1] op_sel_hi:[1,1,0] neg_lo:[0,0,1] neg_hi:[0,0,1]
	v_pk_fma_f32 v[124:125], v[126:127], v[114:115], v[124:125] op_sel:[0,0,1] op_sel_hi:[1,0,0]
	s_delay_alu instid0(VALU_DEP_1)
	v_mov_b32_e32 v129, v125
	ds_load_2addr_b64 v[124:127], v118 offset0:36 offset1:37
	v_pk_add_f32 v[34:35], v[34:35], v[130:131] neg_lo:[0,1] neg_hi:[0,1]
	v_pk_add_f32 v[30:31], v[30:31], v[128:129] neg_lo:[0,1] neg_hi:[0,1]
	s_wait_dscnt 0x0
	v_pk_mul_f32 v[128:129], v[124:125], v[116:117] op_sel:[0,1]
	s_delay_alu instid0(VALU_DEP_1) | instskip(SKIP_1) | instid1(VALU_DEP_1)
	v_pk_fma_f32 v[130:131], v[124:125], v[114:115], v[128:129] op_sel:[0,0,1] op_sel_hi:[1,1,0] neg_lo:[0,0,1] neg_hi:[0,0,1]
	v_pk_fma_f32 v[124:125], v[124:125], v[114:115], v[128:129] op_sel:[0,0,1] op_sel_hi:[1,0,0]
	v_mov_b32_e32 v131, v125
	v_pk_mul_f32 v[124:125], v[126:127], v[116:117] op_sel:[0,1]
	s_delay_alu instid0(VALU_DEP_1) | instskip(SKIP_1) | instid1(VALU_DEP_1)
	v_pk_fma_f32 v[128:129], v[126:127], v[114:115], v[124:125] op_sel:[0,0,1] op_sel_hi:[1,1,0] neg_lo:[0,0,1] neg_hi:[0,0,1]
	v_pk_fma_f32 v[124:125], v[126:127], v[114:115], v[124:125] op_sel:[0,0,1] op_sel_hi:[1,0,0]
	v_mov_b32_e32 v129, v125
	ds_load_2addr_b64 v[124:127], v118 offset0:38 offset1:39
	v_pk_add_f32 v[86:87], v[86:87], v[130:131] neg_lo:[0,1] neg_hi:[0,1]
	v_pk_add_f32 v[24:25], v[24:25], v[128:129] neg_lo:[0,1] neg_hi:[0,1]
	s_wait_dscnt 0x0
	v_dual_mul_f32 v128, v125, v117 :: v_dual_mul_f32 v130, v125, v114
	s_delay_alu instid0(VALU_DEP_1) | instskip(NEXT) | instid1(VALU_DEP_2)
	v_pk_fma_f32 v[128:129], v[124:125], v[78:79], v[128:129] op_sel_hi:[1,1,0] neg_lo:[0,0,1] neg_hi:[0,0,1]
	v_pk_fma_f32 v[124:125], v[124:125], v[78:79], v[130:131] op_sel:[1,0,0] op_sel_hi:[0,1,0]
	s_delay_alu instid0(VALU_DEP_1) | instskip(SKIP_1) | instid1(VALU_DEP_2)
	v_mov_b32_e32 v129, v125
	v_pk_mul_f32 v[124:125], v[126:127], v[116:117] op_sel:[0,1]
	v_pk_add_f32 v[26:27], v[26:27], v[128:129] neg_lo:[0,1] neg_hi:[0,1]
	s_delay_alu instid0(VALU_DEP_2) | instskip(SKIP_1) | instid1(VALU_DEP_1)
	v_pk_fma_f32 v[128:129], v[126:127], v[114:115], v[124:125] op_sel:[0,0,1] op_sel_hi:[1,1,0] neg_lo:[0,0,1] neg_hi:[0,0,1]
	v_pk_fma_f32 v[124:125], v[126:127], v[114:115], v[124:125] op_sel:[0,0,1] op_sel_hi:[1,0,0]
	v_mov_b32_e32 v129, v125
	ds_load_2addr_b64 v[124:127], v118 offset0:40 offset1:41
	v_pk_add_f32 v[22:23], v[22:23], v[128:129] neg_lo:[0,1] neg_hi:[0,1]
	s_wait_dscnt 0x0
	v_pk_mul_f32 v[128:129], v[124:125], v[116:117] op_sel:[0,1]
	s_delay_alu instid0(VALU_DEP_1) | instskip(SKIP_1) | instid1(VALU_DEP_1)
	v_pk_fma_f32 v[130:131], v[124:125], v[114:115], v[128:129] op_sel:[0,0,1] op_sel_hi:[1,1,0] neg_lo:[0,0,1] neg_hi:[0,0,1]
	v_pk_fma_f32 v[124:125], v[124:125], v[114:115], v[128:129] op_sel:[0,0,1] op_sel_hi:[1,0,0]
	v_mov_b32_e32 v131, v125
	v_pk_mul_f32 v[124:125], v[126:127], v[116:117] op_sel:[0,1]
	s_delay_alu instid0(VALU_DEP_2) | instskip(NEXT) | instid1(VALU_DEP_2)
	v_pk_add_f32 v[84:85], v[84:85], v[130:131] neg_lo:[0,1] neg_hi:[0,1]
	v_pk_fma_f32 v[128:129], v[126:127], v[114:115], v[124:125] op_sel:[0,0,1] op_sel_hi:[1,1,0] neg_lo:[0,0,1] neg_hi:[0,0,1]
	v_pk_fma_f32 v[124:125], v[126:127], v[114:115], v[124:125] op_sel:[0,0,1] op_sel_hi:[1,0,0]
	s_delay_alu instid0(VALU_DEP_1) | instskip(SKIP_4) | instid1(VALU_DEP_1)
	v_mov_b32_e32 v129, v125
	ds_load_2addr_b64 v[124:127], v118 offset0:42 offset1:43
	v_pk_add_f32 v[18:19], v[18:19], v[128:129] neg_lo:[0,1] neg_hi:[0,1]
	s_wait_dscnt 0x0
	v_pk_mul_f32 v[128:129], v[124:125], v[116:117] op_sel:[0,1]
	v_pk_fma_f32 v[130:131], v[124:125], v[114:115], v[128:129] op_sel:[0,0,1] op_sel_hi:[1,1,0] neg_lo:[0,0,1] neg_hi:[0,0,1]
	v_pk_fma_f32 v[124:125], v[124:125], v[114:115], v[128:129] op_sel:[0,0,1] op_sel_hi:[1,0,0]
	v_dual_mul_f32 v128, v127, v117 :: v_dual_mov_b32 v124, v127
	s_delay_alu instid0(VALU_DEP_2) | instskip(NEXT) | instid1(VALU_DEP_2)
	v_dual_mov_b32 v131, v125 :: v_dual_mov_b32 v125, v126
	v_pk_fma_f32 v[128:129], v[126:127], v[78:79], v[128:129] op_sel_hi:[1,1,0] neg_lo:[0,0,1] neg_hi:[0,0,1]
	v_mul_f32_e32 v126, v127, v114
	s_delay_alu instid0(VALU_DEP_3) | instskip(NEXT) | instid1(VALU_DEP_2)
	v_pk_add_f32 v[20:21], v[20:21], v[130:131] neg_lo:[0,1] neg_hi:[0,1]
	v_pk_fma_f32 v[124:125], v[124:125], v[78:79], v[126:127] op_sel_hi:[1,1,0]
	s_delay_alu instid0(VALU_DEP_1) | instskip(SKIP_4) | instid1(VALU_DEP_1)
	v_mov_b32_e32 v129, v125
	ds_load_2addr_b64 v[124:127], v118 offset0:44 offset1:45
	v_pk_add_f32 v[16:17], v[16:17], v[128:129] neg_lo:[0,1] neg_hi:[0,1]
	s_wait_dscnt 0x0
	v_pk_mul_f32 v[128:129], v[124:125], v[116:117] op_sel:[0,1]
	v_pk_fma_f32 v[130:131], v[124:125], v[114:115], v[128:129] op_sel:[0,0,1] op_sel_hi:[1,1,0] neg_lo:[0,0,1] neg_hi:[0,0,1]
	v_pk_fma_f32 v[124:125], v[124:125], v[114:115], v[128:129] op_sel:[0,0,1] op_sel_hi:[1,0,0]
	s_delay_alu instid0(VALU_DEP_1) | instskip(SKIP_1) | instid1(VALU_DEP_1)
	v_mov_b32_e32 v131, v125
	v_pk_mul_f32 v[124:125], v[126:127], v[116:117] op_sel:[0,1]
	v_pk_fma_f32 v[128:129], v[126:127], v[114:115], v[124:125] op_sel:[0,0,1] op_sel_hi:[1,1,0] neg_lo:[0,0,1] neg_hi:[0,0,1]
	v_pk_fma_f32 v[124:125], v[126:127], v[114:115], v[124:125] op_sel:[0,0,1] op_sel_hi:[1,0,0]
	s_delay_alu instid0(VALU_DEP_1)
	v_mov_b32_e32 v129, v125
	ds_load_2addr_b64 v[124:127], v118 offset0:46 offset1:47
	v_pk_add_f32 v[82:83], v[82:83], v[130:131] neg_lo:[0,1] neg_hi:[0,1]
	v_pk_add_f32 v[10:11], v[10:11], v[128:129] neg_lo:[0,1] neg_hi:[0,1]
	s_wait_dscnt 0x0
	v_pk_mul_f32 v[128:129], v[124:125], v[116:117] op_sel:[0,1]
	s_delay_alu instid0(VALU_DEP_1) | instskip(SKIP_1) | instid1(VALU_DEP_1)
	v_pk_fma_f32 v[130:131], v[124:125], v[114:115], v[128:129] op_sel:[0,0,1] op_sel_hi:[1,1,0] neg_lo:[0,0,1] neg_hi:[0,0,1]
	v_pk_fma_f32 v[124:125], v[124:125], v[114:115], v[128:129] op_sel:[0,0,1] op_sel_hi:[1,0,0]
	v_mov_b32_e32 v131, v125
	v_pk_mul_f32 v[124:125], v[126:127], v[116:117] op_sel:[0,1]
	s_delay_alu instid0(VALU_DEP_1) | instskip(SKIP_1) | instid1(VALU_DEP_1)
	v_pk_fma_f32 v[128:129], v[126:127], v[114:115], v[124:125] op_sel:[0,0,1] op_sel_hi:[1,1,0] neg_lo:[0,0,1] neg_hi:[0,0,1]
	v_pk_fma_f32 v[124:125], v[126:127], v[114:115], v[124:125] op_sel:[0,0,1] op_sel_hi:[1,0,0]
	v_mov_b32_e32 v129, v125
	ds_load_2addr_b64 v[124:127], v118 offset0:48 offset1:49
	v_pk_add_f32 v[12:13], v[12:13], v[130:131] neg_lo:[0,1] neg_hi:[0,1]
	v_pk_add_f32 v[8:9], v[8:9], v[128:129] neg_lo:[0,1] neg_hi:[0,1]
	s_wait_dscnt 0x0
	v_dual_mul_f32 v128, v125, v117 :: v_dual_mul_f32 v130, v125, v114
	s_delay_alu instid0(VALU_DEP_1) | instskip(NEXT) | instid1(VALU_DEP_2)
	v_pk_fma_f32 v[128:129], v[124:125], v[78:79], v[128:129] op_sel_hi:[1,1,0] neg_lo:[0,0,1] neg_hi:[0,0,1]
	v_pk_fma_f32 v[124:125], v[124:125], v[78:79], v[130:131] op_sel:[1,0,0] op_sel_hi:[0,1,0]
	s_delay_alu instid0(VALU_DEP_1) | instskip(SKIP_1) | instid1(VALU_DEP_2)
	v_mov_b32_e32 v129, v125
	v_pk_mul_f32 v[124:125], v[126:127], v[116:117] op_sel:[0,1]
	v_pk_add_f32 v[66:67], v[66:67], v[128:129] neg_lo:[0,1] neg_hi:[0,1]
	s_delay_alu instid0(VALU_DEP_2) | instskip(SKIP_1) | instid1(VALU_DEP_1)
	v_pk_fma_f32 v[128:129], v[126:127], v[114:115], v[124:125] op_sel:[0,0,1] op_sel_hi:[1,1,0] neg_lo:[0,0,1] neg_hi:[0,0,1]
	v_pk_fma_f32 v[124:125], v[126:127], v[114:115], v[124:125] op_sel:[0,0,1] op_sel_hi:[1,0,0]
	v_mov_b32_e32 v129, v125
	ds_load_2addr_b64 v[124:127], v118 offset0:50 offset1:51
	v_pk_add_f32 v[6:7], v[6:7], v[128:129] neg_lo:[0,1] neg_hi:[0,1]
	s_wait_dscnt 0x0
	v_pk_mul_f32 v[128:129], v[124:125], v[116:117] op_sel:[0,1]
	s_delay_alu instid0(VALU_DEP_1) | instskip(SKIP_1) | instid1(VALU_DEP_1)
	v_pk_fma_f32 v[130:131], v[124:125], v[114:115], v[128:129] op_sel:[0,0,1] op_sel_hi:[1,1,0] neg_lo:[0,0,1] neg_hi:[0,0,1]
	v_pk_fma_f32 v[124:125], v[124:125], v[114:115], v[128:129] op_sel:[0,0,1] op_sel_hi:[1,0,0]
	v_mov_b32_e32 v131, v125
	v_pk_mul_f32 v[124:125], v[126:127], v[116:117] op_sel:[0,1]
	s_delay_alu instid0(VALU_DEP_2) | instskip(NEXT) | instid1(VALU_DEP_2)
	v_pk_add_f32 v[46:47], v[46:47], v[130:131] neg_lo:[0,1] neg_hi:[0,1]
	v_pk_fma_f32 v[128:129], v[126:127], v[114:115], v[124:125] op_sel:[0,0,1] op_sel_hi:[1,1,0] neg_lo:[0,0,1] neg_hi:[0,0,1]
	v_pk_fma_f32 v[124:125], v[126:127], v[114:115], v[124:125] op_sel:[0,0,1] op_sel_hi:[1,0,0]
	s_delay_alu instid0(VALU_DEP_1)
	v_mov_b32_e32 v129, v125
	ds_load_2addr_b64 v[124:127], v118 offset0:52 offset1:53
	v_pk_add_f32 v[28:29], v[28:29], v[128:129] neg_lo:[0,1] neg_hi:[0,1]
	s_wait_dscnt 0x0
	v_pk_mul_f32 v[128:129], v[124:125], v[116:117] op_sel:[0,1]
	v_pk_mul_f32 v[116:117], v[126:127], v[116:117] op_sel:[0,1]
	s_delay_alu instid0(VALU_DEP_2) | instskip(SKIP_1) | instid1(VALU_DEP_1)
	v_pk_fma_f32 v[130:131], v[124:125], v[114:115], v[128:129] op_sel:[0,0,1] op_sel_hi:[1,1,0] neg_lo:[0,0,1] neg_hi:[0,0,1]
	v_pk_fma_f32 v[124:125], v[124:125], v[114:115], v[128:129] op_sel:[0,0,1] op_sel_hi:[1,0,0]
	v_mov_b32_e32 v131, v125
	s_delay_alu instid0(VALU_DEP_4) | instskip(SKIP_1) | instid1(VALU_DEP_3)
	v_pk_fma_f32 v[124:125], v[126:127], v[114:115], v[116:117] op_sel:[0,0,1] op_sel_hi:[1,1,0] neg_lo:[0,0,1] neg_hi:[0,0,1]
	v_pk_fma_f32 v[114:115], v[126:127], v[114:115], v[116:117] op_sel:[0,0,1] op_sel_hi:[1,0,0]
	v_pk_add_f32 v[14:15], v[14:15], v[130:131] neg_lo:[0,1] neg_hi:[0,1]
	s_delay_alu instid0(VALU_DEP_2) | instskip(NEXT) | instid1(VALU_DEP_1)
	v_mov_b32_e32 v125, v115
	v_pk_add_f32 v[112:113], v[112:113], v[124:125] neg_lo:[0,1] neg_hi:[0,1]
.LBB106_209:
	s_or_b32 exec_lo, exec_lo, s0
	v_lshl_add_u32 v114, v122, 3, v118
	s_barrier_signal -1
	s_barrier_wait -1
	ds_store_b64 v114, v[80:81]
	s_wait_dscnt 0x0
	s_barrier_signal -1
	s_barrier_wait -1
	ds_load_b64 v[116:117], v118 offset:80
	v_mov_b32_e32 v114, 10
	s_cmp_lt_i32 s18, 12
	s_cbranch_scc1 .LBB106_212
; %bb.210:
	v_add3_u32 v115, v119, 0, 0x58
	v_mov_b32_e32 v114, 10
	s_mov_b32 s0, 11
.LBB106_211:                            ; =>This Inner Loop Header: Depth=1
	ds_load_b64 v[124:125], v115
	s_wait_dscnt 0x1
	v_cmp_gt_f32_e32 vcc_lo, 0, v116
	v_cndmask_b32_e64 v126, v116, -v116, vcc_lo
	v_cmp_gt_f32_e32 vcc_lo, 0, v117
	v_cndmask_b32_e64 v128, v117, -v117, vcc_lo
	s_wait_dscnt 0x0
	v_cmp_gt_f32_e32 vcc_lo, 0, v124
	v_cndmask_b32_e64 v127, v124, -v124, vcc_lo
	v_cmp_gt_f32_e32 vcc_lo, 0, v125
	v_cndmask_b32_e64 v129, v125, -v125, vcc_lo
	s_delay_alu instid0(VALU_DEP_1) | instskip(NEXT) | instid1(VALU_DEP_1)
	v_pk_add_f32 v[126:127], v[126:127], v[128:129]
	v_cmp_lt_f32_e32 vcc_lo, v126, v127
	v_dual_add_nc_u32 v115, 8, v115 :: v_dual_cndmask_b32 v117, v117, v125, vcc_lo
	v_cndmask_b32_e32 v116, v116, v124, vcc_lo
	v_cndmask_b32_e64 v114, v114, s0, vcc_lo
	s_add_co_i32 s0, s0, 1
	s_delay_alu instid0(SALU_CYCLE_1)
	s_cmp_lg_u32 s18, s0
	s_cbranch_scc1 .LBB106_211
.LBB106_212:
	s_wait_dscnt 0x0
	v_cmp_eq_f32_e32 vcc_lo, 0, v116
	v_cmp_eq_f32_e64 s0, 0, v117
	s_and_b32 s0, vcc_lo, s0
	s_delay_alu instid0(SALU_CYCLE_1) | instskip(NEXT) | instid1(SALU_CYCLE_1)
	s_and_saveexec_b32 s1, s0
	s_xor_b32 s0, exec_lo, s1
; %bb.213:
	v_cmp_ne_u32_e32 vcc_lo, 0, v120
	v_cndmask_b32_e32 v120, 11, v120, vcc_lo
; %bb.214:
	s_and_not1_saveexec_b32 s0, s0
	s_cbranch_execz .LBB106_220
; %bb.215:
	v_cmp_ngt_f32_e64 s1, |v116|, |v117|
	s_and_saveexec_b32 s12, s1
	s_delay_alu instid0(SALU_CYCLE_1)
	s_xor_b32 s1, exec_lo, s12
	s_cbranch_execz .LBB106_217
; %bb.216:
	v_div_scale_f32 v115, null, v117, v117, v116
	v_div_scale_f32 v125, vcc_lo, v116, v117, v116
	s_delay_alu instid0(VALU_DEP_2) | instskip(SKIP_1) | instid1(TRANS32_DEP_1)
	v_rcp_f32_e32 v123, v115
	v_nop
	v_fma_f32 v124, -v115, v123, 1.0
	s_delay_alu instid0(VALU_DEP_1) | instskip(NEXT) | instid1(VALU_DEP_1)
	v_fmac_f32_e32 v123, v124, v123
	v_mul_f32_e32 v124, v125, v123
	s_delay_alu instid0(VALU_DEP_1) | instskip(NEXT) | instid1(VALU_DEP_1)
	v_fma_f32 v126, -v115, v124, v125
	v_fmac_f32_e32 v124, v126, v123
	s_delay_alu instid0(VALU_DEP_1) | instskip(NEXT) | instid1(VALU_DEP_1)
	v_fma_f32 v115, -v115, v124, v125
	v_div_fmas_f32 v115, v115, v123, v124
	s_delay_alu instid0(VALU_DEP_1) | instskip(NEXT) | instid1(VALU_DEP_1)
	v_div_fixup_f32 v115, v115, v117, v116
	v_fmac_f32_e32 v117, v116, v115
	s_delay_alu instid0(VALU_DEP_1) | instskip(SKIP_1) | instid1(VALU_DEP_2)
	v_div_scale_f32 v116, null, v117, v117, 1.0
	v_div_scale_f32 v125, vcc_lo, 1.0, v117, 1.0
	v_rcp_f32_e32 v123, v116
	v_nop
	s_delay_alu instid0(TRANS32_DEP_1) | instskip(NEXT) | instid1(VALU_DEP_1)
	v_fma_f32 v124, -v116, v123, 1.0
	v_fmac_f32_e32 v123, v124, v123
	s_delay_alu instid0(VALU_DEP_1) | instskip(NEXT) | instid1(VALU_DEP_1)
	v_mul_f32_e32 v124, v125, v123
	v_fma_f32 v126, -v116, v124, v125
	s_delay_alu instid0(VALU_DEP_1) | instskip(NEXT) | instid1(VALU_DEP_1)
	v_fmac_f32_e32 v124, v126, v123
	v_fma_f32 v116, -v116, v124, v125
	s_delay_alu instid0(VALU_DEP_1) | instskip(NEXT) | instid1(VALU_DEP_1)
	v_div_fmas_f32 v116, v116, v123, v124
	v_div_fixup_f32 v117, v116, v117, 1.0
	s_delay_alu instid0(VALU_DEP_1)
	v_mul_f32_e32 v116, v115, v117
	v_xor_b32_e32 v117, 0x80000000, v117
.LBB106_217:
	s_and_not1_saveexec_b32 s1, s1
	s_cbranch_execz .LBB106_219
; %bb.218:
	s_delay_alu instid0(VALU_DEP_1) | instskip(SKIP_1) | instid1(VALU_DEP_2)
	v_div_scale_f32 v115, null, v116, v116, v117
	v_div_scale_f32 v125, vcc_lo, v117, v116, v117
	v_rcp_f32_e32 v123, v115
	v_nop
	s_delay_alu instid0(TRANS32_DEP_1) | instskip(NEXT) | instid1(VALU_DEP_1)
	v_fma_f32 v124, -v115, v123, 1.0
	v_fmac_f32_e32 v123, v124, v123
	s_delay_alu instid0(VALU_DEP_1) | instskip(NEXT) | instid1(VALU_DEP_1)
	v_mul_f32_e32 v124, v125, v123
	v_fma_f32 v126, -v115, v124, v125
	s_delay_alu instid0(VALU_DEP_1) | instskip(NEXT) | instid1(VALU_DEP_1)
	v_fmac_f32_e32 v124, v126, v123
	v_fma_f32 v115, -v115, v124, v125
	s_delay_alu instid0(VALU_DEP_1) | instskip(NEXT) | instid1(VALU_DEP_1)
	v_div_fmas_f32 v115, v115, v123, v124
	v_div_fixup_f32 v115, v115, v116, v117
	s_delay_alu instid0(VALU_DEP_1) | instskip(NEXT) | instid1(VALU_DEP_1)
	v_fmac_f32_e32 v116, v117, v115
	v_div_scale_f32 v117, null, v116, v116, 1.0
	s_delay_alu instid0(VALU_DEP_1) | instskip(SKIP_1) | instid1(TRANS32_DEP_1)
	v_rcp_f32_e32 v123, v117
	v_nop
	v_fma_f32 v124, -v117, v123, 1.0
	s_delay_alu instid0(VALU_DEP_1) | instskip(SKIP_1) | instid1(VALU_DEP_1)
	v_fmac_f32_e32 v123, v124, v123
	v_div_scale_f32 v124, vcc_lo, 1.0, v116, 1.0
	v_mul_f32_e32 v125, v124, v123
	s_delay_alu instid0(VALU_DEP_1) | instskip(NEXT) | instid1(VALU_DEP_1)
	v_fma_f32 v126, -v117, v125, v124
	v_fmac_f32_e32 v125, v126, v123
	s_delay_alu instid0(VALU_DEP_1) | instskip(NEXT) | instid1(VALU_DEP_1)
	v_fma_f32 v117, -v117, v125, v124
	v_div_fmas_f32 v117, v117, v123, v125
	s_delay_alu instid0(VALU_DEP_1) | instskip(NEXT) | instid1(VALU_DEP_1)
	v_div_fixup_f32 v116, v117, v116, 1.0
	v_mul_f32_e64 v117, v115, -v116
.LBB106_219:
	s_or_b32 exec_lo, exec_lo, s1
.LBB106_220:
	s_delay_alu instid0(SALU_CYCLE_1) | instskip(NEXT) | instid1(SALU_CYCLE_1)
	s_or_b32 exec_lo, exec_lo, s0
	s_mov_b32 s0, exec_lo
	v_cmpx_ne_u32_e64 v122, v114
	s_xor_b32 s0, exec_lo, s0
	s_cbranch_execz .LBB106_226
; %bb.221:
	s_mov_b32 s1, exec_lo
	v_cmpx_eq_u32_e32 10, v122
	s_cbranch_execz .LBB106_225
; %bb.222:
	v_cmp_ne_u32_e32 vcc_lo, 10, v114
	s_xor_b32 s12, s16, -1
	s_delay_alu instid0(SALU_CYCLE_1) | instskip(NEXT) | instid1(SALU_CYCLE_1)
	s_and_b32 s13, s12, vcc_lo
	s_and_saveexec_b32 s12, s13
	s_cbranch_execz .LBB106_224
; %bb.223:
	v_ashrrev_i32_e32 v115, 31, v114
	s_delay_alu instid0(VALU_DEP_1)
	v_lshl_add_u64 v[122:123], v[114:115], 2, v[4:5]
	s_clause 0x1
	global_load_b32 v115, v[122:123], off
	global_load_b32 v121, v[4:5], off offset:40
	s_wait_loadcnt 0x1
	global_store_b32 v[4:5], v115, off offset:40
	s_wait_loadcnt 0x0
	global_store_b32 v[122:123], v121, off
.LBB106_224:
	s_wait_xcnt 0x0
	s_or_b32 exec_lo, exec_lo, s12
	v_dual_mov_b32 v122, v114 :: v_dual_mov_b32 v121, v114
.LBB106_225:
	s_or_b32 exec_lo, exec_lo, s1
.LBB106_226:
	s_and_not1_saveexec_b32 s0, s0
	s_cbranch_execz .LBB106_228
; %bb.227:
	v_mov_b32_e32 v122, 10
	ds_store_2addr_b64 v118, v[76:77], v[100:101] offset0:11 offset1:12
	ds_store_2addr_b64 v118, v[72:73], v[74:75] offset0:13 offset1:14
	;; [unrolled: 1-line block ×21, first 2 shown]
	ds_store_b64 v118, v[112:113] offset:424
.LBB106_228:
	s_or_b32 exec_lo, exec_lo, s0
	s_delay_alu instid0(SALU_CYCLE_1)
	s_mov_b32 s0, exec_lo
	s_wait_storecnt_dscnt 0x0
	s_barrier_signal -1
	s_barrier_wait -1
	v_cmpx_lt_i32_e32 10, v122
	s_cbranch_execz .LBB106_230
; %bb.229:
	v_pk_mul_f32 v[124:125], v[116:117], v[80:81] op_sel:[1,1] op_sel_hi:[0,1]
	s_delay_alu instid0(VALU_DEP_1)
	v_pk_fma_f32 v[114:115], v[116:117], v[80:81], v[124:125] op_sel_hi:[1,0,1] neg_lo:[0,0,1] neg_hi:[0,0,1]
	v_pk_fma_f32 v[116:117], v[116:117], v[80:81], v[124:125] op_sel_hi:[1,0,1]
	ds_load_2addr_b64 v[124:127], v118 offset0:11 offset1:12
	v_dual_mov_b32 v80, v114 :: v_dual_mov_b32 v81, v117
	s_wait_dscnt 0x0
	v_pk_mul_f32 v[128:129], v[124:125], v[116:117] op_sel:[0,1]
	s_delay_alu instid0(VALU_DEP_1) | instskip(SKIP_1) | instid1(VALU_DEP_1)
	v_pk_fma_f32 v[130:131], v[124:125], v[114:115], v[128:129] op_sel:[0,0,1] op_sel_hi:[1,1,0] neg_lo:[0,0,1] neg_hi:[0,0,1]
	v_pk_fma_f32 v[124:125], v[124:125], v[114:115], v[128:129] op_sel:[0,0,1] op_sel_hi:[1,0,0]
	v_mov_b32_e32 v131, v125
	v_pk_mul_f32 v[124:125], v[126:127], v[116:117] op_sel:[0,1]
	s_delay_alu instid0(VALU_DEP_1) | instskip(SKIP_1) | instid1(VALU_DEP_1)
	v_pk_fma_f32 v[128:129], v[126:127], v[114:115], v[124:125] op_sel:[0,0,1] op_sel_hi:[1,1,0] neg_lo:[0,0,1] neg_hi:[0,0,1]
	v_pk_fma_f32 v[124:125], v[126:127], v[114:115], v[124:125] op_sel:[0,0,1] op_sel_hi:[1,0,0]
	v_mov_b32_e32 v129, v125
	ds_load_2addr_b64 v[124:127], v118 offset0:13 offset1:14
	v_pk_add_f32 v[76:77], v[76:77], v[130:131] neg_lo:[0,1] neg_hi:[0,1]
	v_pk_add_f32 v[100:101], v[100:101], v[128:129] neg_lo:[0,1] neg_hi:[0,1]
	s_wait_dscnt 0x0
	v_pk_mul_f32 v[128:129], v[124:125], v[116:117] op_sel:[0,1]
	s_delay_alu instid0(VALU_DEP_1) | instskip(SKIP_2) | instid1(VALU_DEP_2)
	v_pk_fma_f32 v[130:131], v[124:125], v[114:115], v[128:129] op_sel:[0,0,1] op_sel_hi:[1,1,0] neg_lo:[0,0,1] neg_hi:[0,0,1]
	v_pk_fma_f32 v[124:125], v[124:125], v[114:115], v[128:129] op_sel:[0,0,1] op_sel_hi:[1,0,0]
	v_dual_mul_f32 v128, v127, v117 :: v_dual_mov_b32 v124, v127
	v_dual_mov_b32 v131, v125 :: v_dual_mov_b32 v125, v126
	s_delay_alu instid0(VALU_DEP_2) | instskip(SKIP_1) | instid1(VALU_DEP_3)
	v_pk_fma_f32 v[128:129], v[126:127], v[80:81], v[128:129] op_sel_hi:[1,1,0] neg_lo:[0,0,1] neg_hi:[0,0,1]
	v_mul_f32_e32 v126, v127, v114
	v_pk_add_f32 v[72:73], v[72:73], v[130:131] neg_lo:[0,1] neg_hi:[0,1]
	s_delay_alu instid0(VALU_DEP_2) | instskip(NEXT) | instid1(VALU_DEP_1)
	v_pk_fma_f32 v[124:125], v[124:125], v[80:81], v[126:127] op_sel_hi:[1,1,0]
	v_mov_b32_e32 v129, v125
	ds_load_2addr_b64 v[124:127], v118 offset0:15 offset1:16
	v_pk_add_f32 v[74:75], v[74:75], v[128:129] neg_lo:[0,1] neg_hi:[0,1]
	s_wait_dscnt 0x0
	v_pk_mul_f32 v[128:129], v[124:125], v[116:117] op_sel:[0,1]
	s_delay_alu instid0(VALU_DEP_1) | instskip(SKIP_1) | instid1(VALU_DEP_1)
	v_pk_fma_f32 v[130:131], v[124:125], v[114:115], v[128:129] op_sel:[0,0,1] op_sel_hi:[1,1,0] neg_lo:[0,0,1] neg_hi:[0,0,1]
	v_pk_fma_f32 v[124:125], v[124:125], v[114:115], v[128:129] op_sel:[0,0,1] op_sel_hi:[1,0,0]
	v_mov_b32_e32 v131, v125
	v_pk_mul_f32 v[124:125], v[126:127], v[116:117] op_sel:[0,1]
	s_delay_alu instid0(VALU_DEP_1) | instskip(SKIP_1) | instid1(VALU_DEP_1)
	v_pk_fma_f32 v[128:129], v[126:127], v[114:115], v[124:125] op_sel:[0,0,1] op_sel_hi:[1,1,0] neg_lo:[0,0,1] neg_hi:[0,0,1]
	v_pk_fma_f32 v[124:125], v[126:127], v[114:115], v[124:125] op_sel:[0,0,1] op_sel_hi:[1,0,0]
	v_mov_b32_e32 v129, v125
	ds_load_2addr_b64 v[124:127], v118 offset0:17 offset1:18
	v_pk_add_f32 v[70:71], v[70:71], v[130:131] neg_lo:[0,1] neg_hi:[0,1]
	v_pk_add_f32 v[98:99], v[98:99], v[128:129] neg_lo:[0,1] neg_hi:[0,1]
	s_wait_dscnt 0x0
	v_pk_mul_f32 v[128:129], v[124:125], v[116:117] op_sel:[0,1]
	s_delay_alu instid0(VALU_DEP_1) | instskip(SKIP_1) | instid1(VALU_DEP_1)
	v_pk_fma_f32 v[130:131], v[124:125], v[114:115], v[128:129] op_sel:[0,0,1] op_sel_hi:[1,1,0] neg_lo:[0,0,1] neg_hi:[0,0,1]
	v_pk_fma_f32 v[124:125], v[124:125], v[114:115], v[128:129] op_sel:[0,0,1] op_sel_hi:[1,0,0]
	v_mov_b32_e32 v131, v125
	v_pk_mul_f32 v[124:125], v[126:127], v[116:117] op_sel:[0,1]
	s_delay_alu instid0(VALU_DEP_1) | instskip(SKIP_1) | instid1(VALU_DEP_1)
	v_pk_fma_f32 v[128:129], v[126:127], v[114:115], v[124:125] op_sel:[0,0,1] op_sel_hi:[1,1,0] neg_lo:[0,0,1] neg_hi:[0,0,1]
	v_pk_fma_f32 v[124:125], v[126:127], v[114:115], v[124:125] op_sel:[0,0,1] op_sel_hi:[1,0,0]
	v_mov_b32_e32 v129, v125
	ds_load_2addr_b64 v[124:127], v118 offset0:19 offset1:20
	v_pk_add_f32 v[64:65], v[64:65], v[130:131] neg_lo:[0,1] neg_hi:[0,1]
	v_pk_add_f32 v[68:69], v[68:69], v[128:129] neg_lo:[0,1] neg_hi:[0,1]
	s_wait_dscnt 0x0
	v_dual_mul_f32 v128, v125, v117 :: v_dual_mul_f32 v130, v125, v114
	s_delay_alu instid0(VALU_DEP_1) | instskip(NEXT) | instid1(VALU_DEP_2)
	v_pk_fma_f32 v[128:129], v[124:125], v[80:81], v[128:129] op_sel_hi:[1,1,0] neg_lo:[0,0,1] neg_hi:[0,0,1]
	v_pk_fma_f32 v[124:125], v[124:125], v[80:81], v[130:131] op_sel:[1,0,0] op_sel_hi:[0,1,0]
	s_delay_alu instid0(VALU_DEP_1) | instskip(SKIP_1) | instid1(VALU_DEP_2)
	v_mov_b32_e32 v129, v125
	v_pk_mul_f32 v[124:125], v[126:127], v[116:117] op_sel:[0,1]
	v_pk_add_f32 v[62:63], v[62:63], v[128:129] neg_lo:[0,1] neg_hi:[0,1]
	s_delay_alu instid0(VALU_DEP_2) | instskip(SKIP_1) | instid1(VALU_DEP_1)
	v_pk_fma_f32 v[128:129], v[126:127], v[114:115], v[124:125] op_sel:[0,0,1] op_sel_hi:[1,1,0] neg_lo:[0,0,1] neg_hi:[0,0,1]
	v_pk_fma_f32 v[124:125], v[126:127], v[114:115], v[124:125] op_sel:[0,0,1] op_sel_hi:[1,0,0]
	v_mov_b32_e32 v129, v125
	ds_load_2addr_b64 v[124:127], v118 offset0:21 offset1:22
	v_pk_add_f32 v[96:97], v[96:97], v[128:129] neg_lo:[0,1] neg_hi:[0,1]
	s_wait_dscnt 0x0
	v_pk_mul_f32 v[128:129], v[124:125], v[116:117] op_sel:[0,1]
	s_delay_alu instid0(VALU_DEP_1) | instskip(SKIP_1) | instid1(VALU_DEP_1)
	v_pk_fma_f32 v[130:131], v[124:125], v[114:115], v[128:129] op_sel:[0,0,1] op_sel_hi:[1,1,0] neg_lo:[0,0,1] neg_hi:[0,0,1]
	v_pk_fma_f32 v[124:125], v[124:125], v[114:115], v[128:129] op_sel:[0,0,1] op_sel_hi:[1,0,0]
	v_mov_b32_e32 v131, v125
	v_pk_mul_f32 v[124:125], v[126:127], v[116:117] op_sel:[0,1]
	s_delay_alu instid0(VALU_DEP_2) | instskip(NEXT) | instid1(VALU_DEP_2)
	v_pk_add_f32 v[58:59], v[58:59], v[130:131] neg_lo:[0,1] neg_hi:[0,1]
	v_pk_fma_f32 v[128:129], v[126:127], v[114:115], v[124:125] op_sel:[0,0,1] op_sel_hi:[1,1,0] neg_lo:[0,0,1] neg_hi:[0,0,1]
	v_pk_fma_f32 v[124:125], v[126:127], v[114:115], v[124:125] op_sel:[0,0,1] op_sel_hi:[1,0,0]
	s_delay_alu instid0(VALU_DEP_1) | instskip(SKIP_4) | instid1(VALU_DEP_1)
	v_mov_b32_e32 v129, v125
	ds_load_2addr_b64 v[124:127], v118 offset0:23 offset1:24
	v_pk_add_f32 v[60:61], v[60:61], v[128:129] neg_lo:[0,1] neg_hi:[0,1]
	s_wait_dscnt 0x0
	v_pk_mul_f32 v[128:129], v[124:125], v[116:117] op_sel:[0,1]
	v_pk_fma_f32 v[130:131], v[124:125], v[114:115], v[128:129] op_sel:[0,0,1] op_sel_hi:[1,1,0] neg_lo:[0,0,1] neg_hi:[0,0,1]
	v_pk_fma_f32 v[124:125], v[124:125], v[114:115], v[128:129] op_sel:[0,0,1] op_sel_hi:[1,0,0]
	v_dual_mul_f32 v128, v127, v117 :: v_dual_mov_b32 v124, v127
	s_delay_alu instid0(VALU_DEP_2) | instskip(NEXT) | instid1(VALU_DEP_2)
	v_dual_mov_b32 v131, v125 :: v_dual_mov_b32 v125, v126
	v_pk_fma_f32 v[128:129], v[126:127], v[80:81], v[128:129] op_sel_hi:[1,1,0] neg_lo:[0,0,1] neg_hi:[0,0,1]
	v_mul_f32_e32 v126, v127, v114
	s_delay_alu instid0(VALU_DEP_3) | instskip(NEXT) | instid1(VALU_DEP_2)
	v_pk_add_f32 v[56:57], v[56:57], v[130:131] neg_lo:[0,1] neg_hi:[0,1]
	v_pk_fma_f32 v[124:125], v[124:125], v[80:81], v[126:127] op_sel_hi:[1,1,0]
	s_delay_alu instid0(VALU_DEP_1) | instskip(SKIP_4) | instid1(VALU_DEP_1)
	v_mov_b32_e32 v129, v125
	ds_load_2addr_b64 v[124:127], v118 offset0:25 offset1:26
	v_pk_add_f32 v[94:95], v[94:95], v[128:129] neg_lo:[0,1] neg_hi:[0,1]
	s_wait_dscnt 0x0
	v_pk_mul_f32 v[128:129], v[124:125], v[116:117] op_sel:[0,1]
	v_pk_fma_f32 v[130:131], v[124:125], v[114:115], v[128:129] op_sel:[0,0,1] op_sel_hi:[1,1,0] neg_lo:[0,0,1] neg_hi:[0,0,1]
	v_pk_fma_f32 v[124:125], v[124:125], v[114:115], v[128:129] op_sel:[0,0,1] op_sel_hi:[1,0,0]
	s_delay_alu instid0(VALU_DEP_1) | instskip(SKIP_1) | instid1(VALU_DEP_1)
	v_mov_b32_e32 v131, v125
	v_pk_mul_f32 v[124:125], v[126:127], v[116:117] op_sel:[0,1]
	v_pk_fma_f32 v[128:129], v[126:127], v[114:115], v[124:125] op_sel:[0,0,1] op_sel_hi:[1,1,0] neg_lo:[0,0,1] neg_hi:[0,0,1]
	v_pk_fma_f32 v[124:125], v[126:127], v[114:115], v[124:125] op_sel:[0,0,1] op_sel_hi:[1,0,0]
	s_delay_alu instid0(VALU_DEP_1)
	v_mov_b32_e32 v129, v125
	ds_load_2addr_b64 v[124:127], v118 offset0:27 offset1:28
	v_pk_add_f32 v[52:53], v[52:53], v[130:131] neg_lo:[0,1] neg_hi:[0,1]
	v_pk_add_f32 v[54:55], v[54:55], v[128:129] neg_lo:[0,1] neg_hi:[0,1]
	s_wait_dscnt 0x0
	v_pk_mul_f32 v[128:129], v[124:125], v[116:117] op_sel:[0,1]
	s_delay_alu instid0(VALU_DEP_1) | instskip(SKIP_1) | instid1(VALU_DEP_1)
	v_pk_fma_f32 v[130:131], v[124:125], v[114:115], v[128:129] op_sel:[0,0,1] op_sel_hi:[1,1,0] neg_lo:[0,0,1] neg_hi:[0,0,1]
	v_pk_fma_f32 v[124:125], v[124:125], v[114:115], v[128:129] op_sel:[0,0,1] op_sel_hi:[1,0,0]
	v_mov_b32_e32 v131, v125
	v_pk_mul_f32 v[124:125], v[126:127], v[116:117] op_sel:[0,1]
	s_delay_alu instid0(VALU_DEP_1) | instskip(SKIP_1) | instid1(VALU_DEP_1)
	v_pk_fma_f32 v[128:129], v[126:127], v[114:115], v[124:125] op_sel:[0,0,1] op_sel_hi:[1,1,0] neg_lo:[0,0,1] neg_hi:[0,0,1]
	v_pk_fma_f32 v[124:125], v[126:127], v[114:115], v[124:125] op_sel:[0,0,1] op_sel_hi:[1,0,0]
	v_mov_b32_e32 v129, v125
	ds_load_2addr_b64 v[124:127], v118 offset0:29 offset1:30
	v_pk_add_f32 v[50:51], v[50:51], v[130:131] neg_lo:[0,1] neg_hi:[0,1]
	v_pk_add_f32 v[90:91], v[90:91], v[128:129] neg_lo:[0,1] neg_hi:[0,1]
	s_wait_dscnt 0x0
	v_dual_mul_f32 v128, v125, v117 :: v_dual_mul_f32 v130, v125, v114
	s_delay_alu instid0(VALU_DEP_1) | instskip(NEXT) | instid1(VALU_DEP_2)
	v_pk_fma_f32 v[128:129], v[124:125], v[80:81], v[128:129] op_sel_hi:[1,1,0] neg_lo:[0,0,1] neg_hi:[0,0,1]
	v_pk_fma_f32 v[124:125], v[124:125], v[80:81], v[130:131] op_sel:[1,0,0] op_sel_hi:[0,1,0]
	s_delay_alu instid0(VALU_DEP_1) | instskip(SKIP_1) | instid1(VALU_DEP_2)
	v_mov_b32_e32 v129, v125
	v_pk_mul_f32 v[124:125], v[126:127], v[116:117] op_sel:[0,1]
	v_pk_add_f32 v[38:39], v[38:39], v[128:129] neg_lo:[0,1] neg_hi:[0,1]
	s_delay_alu instid0(VALU_DEP_2) | instskip(SKIP_1) | instid1(VALU_DEP_1)
	v_pk_fma_f32 v[128:129], v[126:127], v[114:115], v[124:125] op_sel:[0,0,1] op_sel_hi:[1,1,0] neg_lo:[0,0,1] neg_hi:[0,0,1]
	v_pk_fma_f32 v[124:125], v[126:127], v[114:115], v[124:125] op_sel:[0,0,1] op_sel_hi:[1,0,0]
	v_mov_b32_e32 v129, v125
	ds_load_2addr_b64 v[124:127], v118 offset0:31 offset1:32
	v_pk_add_f32 v[40:41], v[40:41], v[128:129] neg_lo:[0,1] neg_hi:[0,1]
	s_wait_dscnt 0x0
	v_pk_mul_f32 v[128:129], v[124:125], v[116:117] op_sel:[0,1]
	s_delay_alu instid0(VALU_DEP_1) | instskip(SKIP_1) | instid1(VALU_DEP_1)
	v_pk_fma_f32 v[130:131], v[124:125], v[114:115], v[128:129] op_sel:[0,0,1] op_sel_hi:[1,1,0] neg_lo:[0,0,1] neg_hi:[0,0,1]
	v_pk_fma_f32 v[124:125], v[124:125], v[114:115], v[128:129] op_sel:[0,0,1] op_sel_hi:[1,0,0]
	v_mov_b32_e32 v131, v125
	v_pk_mul_f32 v[124:125], v[126:127], v[116:117] op_sel:[0,1]
	s_delay_alu instid0(VALU_DEP_2) | instskip(NEXT) | instid1(VALU_DEP_2)
	v_pk_add_f32 v[36:37], v[36:37], v[130:131] neg_lo:[0,1] neg_hi:[0,1]
	v_pk_fma_f32 v[128:129], v[126:127], v[114:115], v[124:125] op_sel:[0,0,1] op_sel_hi:[1,1,0] neg_lo:[0,0,1] neg_hi:[0,0,1]
	v_pk_fma_f32 v[124:125], v[126:127], v[114:115], v[124:125] op_sel:[0,0,1] op_sel_hi:[1,0,0]
	s_delay_alu instid0(VALU_DEP_1) | instskip(SKIP_4) | instid1(VALU_DEP_1)
	v_mov_b32_e32 v129, v125
	ds_load_2addr_b64 v[124:127], v118 offset0:33 offset1:34
	v_pk_add_f32 v[88:89], v[88:89], v[128:129] neg_lo:[0,1] neg_hi:[0,1]
	s_wait_dscnt 0x0
	v_pk_mul_f32 v[128:129], v[124:125], v[116:117] op_sel:[0,1]
	v_pk_fma_f32 v[130:131], v[124:125], v[114:115], v[128:129] op_sel:[0,0,1] op_sel_hi:[1,1,0] neg_lo:[0,0,1] neg_hi:[0,0,1]
	v_pk_fma_f32 v[124:125], v[124:125], v[114:115], v[128:129] op_sel:[0,0,1] op_sel_hi:[1,0,0]
	v_dual_mul_f32 v128, v127, v117 :: v_dual_mov_b32 v124, v127
	s_delay_alu instid0(VALU_DEP_2) | instskip(NEXT) | instid1(VALU_DEP_2)
	v_dual_mov_b32 v131, v125 :: v_dual_mov_b32 v125, v126
	v_pk_fma_f32 v[128:129], v[126:127], v[80:81], v[128:129] op_sel_hi:[1,1,0] neg_lo:[0,0,1] neg_hi:[0,0,1]
	v_mul_f32_e32 v126, v127, v114
	s_delay_alu instid0(VALU_DEP_3) | instskip(NEXT) | instid1(VALU_DEP_2)
	v_pk_add_f32 v[32:33], v[32:33], v[130:131] neg_lo:[0,1] neg_hi:[0,1]
	v_pk_fma_f32 v[124:125], v[124:125], v[80:81], v[126:127] op_sel_hi:[1,1,0]
	s_delay_alu instid0(VALU_DEP_1) | instskip(SKIP_4) | instid1(VALU_DEP_1)
	v_mov_b32_e32 v129, v125
	ds_load_2addr_b64 v[124:127], v118 offset0:35 offset1:36
	v_pk_add_f32 v[34:35], v[34:35], v[128:129] neg_lo:[0,1] neg_hi:[0,1]
	s_wait_dscnt 0x0
	v_pk_mul_f32 v[128:129], v[124:125], v[116:117] op_sel:[0,1]
	v_pk_fma_f32 v[130:131], v[124:125], v[114:115], v[128:129] op_sel:[0,0,1] op_sel_hi:[1,1,0] neg_lo:[0,0,1] neg_hi:[0,0,1]
	v_pk_fma_f32 v[124:125], v[124:125], v[114:115], v[128:129] op_sel:[0,0,1] op_sel_hi:[1,0,0]
	s_delay_alu instid0(VALU_DEP_1) | instskip(SKIP_1) | instid1(VALU_DEP_1)
	v_mov_b32_e32 v131, v125
	v_pk_mul_f32 v[124:125], v[126:127], v[116:117] op_sel:[0,1]
	v_pk_fma_f32 v[128:129], v[126:127], v[114:115], v[124:125] op_sel:[0,0,1] op_sel_hi:[1,1,0] neg_lo:[0,0,1] neg_hi:[0,0,1]
	v_pk_fma_f32 v[124:125], v[126:127], v[114:115], v[124:125] op_sel:[0,0,1] op_sel_hi:[1,0,0]
	s_delay_alu instid0(VALU_DEP_1)
	v_mov_b32_e32 v129, v125
	ds_load_2addr_b64 v[124:127], v118 offset0:37 offset1:38
	v_pk_add_f32 v[30:31], v[30:31], v[130:131] neg_lo:[0,1] neg_hi:[0,1]
	v_pk_add_f32 v[86:87], v[86:87], v[128:129] neg_lo:[0,1] neg_hi:[0,1]
	s_wait_dscnt 0x0
	v_pk_mul_f32 v[128:129], v[124:125], v[116:117] op_sel:[0,1]
	s_delay_alu instid0(VALU_DEP_1) | instskip(SKIP_1) | instid1(VALU_DEP_1)
	v_pk_fma_f32 v[130:131], v[124:125], v[114:115], v[128:129] op_sel:[0,0,1] op_sel_hi:[1,1,0] neg_lo:[0,0,1] neg_hi:[0,0,1]
	v_pk_fma_f32 v[124:125], v[124:125], v[114:115], v[128:129] op_sel:[0,0,1] op_sel_hi:[1,0,0]
	v_mov_b32_e32 v131, v125
	v_pk_mul_f32 v[124:125], v[126:127], v[116:117] op_sel:[0,1]
	s_delay_alu instid0(VALU_DEP_1) | instskip(SKIP_1) | instid1(VALU_DEP_1)
	v_pk_fma_f32 v[128:129], v[126:127], v[114:115], v[124:125] op_sel:[0,0,1] op_sel_hi:[1,1,0] neg_lo:[0,0,1] neg_hi:[0,0,1]
	v_pk_fma_f32 v[124:125], v[126:127], v[114:115], v[124:125] op_sel:[0,0,1] op_sel_hi:[1,0,0]
	v_mov_b32_e32 v129, v125
	ds_load_2addr_b64 v[124:127], v118 offset0:39 offset1:40
	v_pk_add_f32 v[24:25], v[24:25], v[130:131] neg_lo:[0,1] neg_hi:[0,1]
	v_pk_add_f32 v[26:27], v[26:27], v[128:129] neg_lo:[0,1] neg_hi:[0,1]
	s_wait_dscnt 0x0
	v_dual_mul_f32 v128, v125, v117 :: v_dual_mul_f32 v130, v125, v114
	s_delay_alu instid0(VALU_DEP_1) | instskip(NEXT) | instid1(VALU_DEP_2)
	v_pk_fma_f32 v[128:129], v[124:125], v[80:81], v[128:129] op_sel_hi:[1,1,0] neg_lo:[0,0,1] neg_hi:[0,0,1]
	v_pk_fma_f32 v[124:125], v[124:125], v[80:81], v[130:131] op_sel:[1,0,0] op_sel_hi:[0,1,0]
	s_delay_alu instid0(VALU_DEP_1) | instskip(SKIP_1) | instid1(VALU_DEP_2)
	v_mov_b32_e32 v129, v125
	v_pk_mul_f32 v[124:125], v[126:127], v[116:117] op_sel:[0,1]
	v_pk_add_f32 v[22:23], v[22:23], v[128:129] neg_lo:[0,1] neg_hi:[0,1]
	s_delay_alu instid0(VALU_DEP_2) | instskip(SKIP_1) | instid1(VALU_DEP_1)
	v_pk_fma_f32 v[128:129], v[126:127], v[114:115], v[124:125] op_sel:[0,0,1] op_sel_hi:[1,1,0] neg_lo:[0,0,1] neg_hi:[0,0,1]
	v_pk_fma_f32 v[124:125], v[126:127], v[114:115], v[124:125] op_sel:[0,0,1] op_sel_hi:[1,0,0]
	v_mov_b32_e32 v129, v125
	ds_load_2addr_b64 v[124:127], v118 offset0:41 offset1:42
	v_pk_add_f32 v[84:85], v[84:85], v[128:129] neg_lo:[0,1] neg_hi:[0,1]
	s_wait_dscnt 0x0
	v_pk_mul_f32 v[128:129], v[124:125], v[116:117] op_sel:[0,1]
	s_delay_alu instid0(VALU_DEP_1) | instskip(SKIP_1) | instid1(VALU_DEP_1)
	v_pk_fma_f32 v[130:131], v[124:125], v[114:115], v[128:129] op_sel:[0,0,1] op_sel_hi:[1,1,0] neg_lo:[0,0,1] neg_hi:[0,0,1]
	v_pk_fma_f32 v[124:125], v[124:125], v[114:115], v[128:129] op_sel:[0,0,1] op_sel_hi:[1,0,0]
	v_mov_b32_e32 v131, v125
	v_pk_mul_f32 v[124:125], v[126:127], v[116:117] op_sel:[0,1]
	s_delay_alu instid0(VALU_DEP_2) | instskip(NEXT) | instid1(VALU_DEP_2)
	v_pk_add_f32 v[18:19], v[18:19], v[130:131] neg_lo:[0,1] neg_hi:[0,1]
	v_pk_fma_f32 v[128:129], v[126:127], v[114:115], v[124:125] op_sel:[0,0,1] op_sel_hi:[1,1,0] neg_lo:[0,0,1] neg_hi:[0,0,1]
	v_pk_fma_f32 v[124:125], v[126:127], v[114:115], v[124:125] op_sel:[0,0,1] op_sel_hi:[1,0,0]
	s_delay_alu instid0(VALU_DEP_1) | instskip(SKIP_4) | instid1(VALU_DEP_1)
	v_mov_b32_e32 v129, v125
	ds_load_2addr_b64 v[124:127], v118 offset0:43 offset1:44
	v_pk_add_f32 v[20:21], v[20:21], v[128:129] neg_lo:[0,1] neg_hi:[0,1]
	s_wait_dscnt 0x0
	v_pk_mul_f32 v[128:129], v[124:125], v[116:117] op_sel:[0,1]
	v_pk_fma_f32 v[130:131], v[124:125], v[114:115], v[128:129] op_sel:[0,0,1] op_sel_hi:[1,1,0] neg_lo:[0,0,1] neg_hi:[0,0,1]
	v_pk_fma_f32 v[124:125], v[124:125], v[114:115], v[128:129] op_sel:[0,0,1] op_sel_hi:[1,0,0]
	v_dual_mul_f32 v128, v127, v117 :: v_dual_mov_b32 v124, v127
	s_delay_alu instid0(VALU_DEP_2) | instskip(NEXT) | instid1(VALU_DEP_2)
	v_dual_mov_b32 v131, v125 :: v_dual_mov_b32 v125, v126
	v_pk_fma_f32 v[128:129], v[126:127], v[80:81], v[128:129] op_sel_hi:[1,1,0] neg_lo:[0,0,1] neg_hi:[0,0,1]
	v_mul_f32_e32 v126, v127, v114
	s_delay_alu instid0(VALU_DEP_3) | instskip(NEXT) | instid1(VALU_DEP_2)
	v_pk_add_f32 v[16:17], v[16:17], v[130:131] neg_lo:[0,1] neg_hi:[0,1]
	v_pk_fma_f32 v[124:125], v[124:125], v[80:81], v[126:127] op_sel_hi:[1,1,0]
	s_delay_alu instid0(VALU_DEP_1) | instskip(SKIP_4) | instid1(VALU_DEP_1)
	v_mov_b32_e32 v129, v125
	ds_load_2addr_b64 v[124:127], v118 offset0:45 offset1:46
	v_pk_add_f32 v[82:83], v[82:83], v[128:129] neg_lo:[0,1] neg_hi:[0,1]
	s_wait_dscnt 0x0
	v_pk_mul_f32 v[128:129], v[124:125], v[116:117] op_sel:[0,1]
	v_pk_fma_f32 v[130:131], v[124:125], v[114:115], v[128:129] op_sel:[0,0,1] op_sel_hi:[1,1,0] neg_lo:[0,0,1] neg_hi:[0,0,1]
	v_pk_fma_f32 v[124:125], v[124:125], v[114:115], v[128:129] op_sel:[0,0,1] op_sel_hi:[1,0,0]
	s_delay_alu instid0(VALU_DEP_1) | instskip(SKIP_1) | instid1(VALU_DEP_1)
	v_mov_b32_e32 v131, v125
	v_pk_mul_f32 v[124:125], v[126:127], v[116:117] op_sel:[0,1]
	v_pk_fma_f32 v[128:129], v[126:127], v[114:115], v[124:125] op_sel:[0,0,1] op_sel_hi:[1,1,0] neg_lo:[0,0,1] neg_hi:[0,0,1]
	v_pk_fma_f32 v[124:125], v[126:127], v[114:115], v[124:125] op_sel:[0,0,1] op_sel_hi:[1,0,0]
	s_delay_alu instid0(VALU_DEP_1)
	v_mov_b32_e32 v129, v125
	ds_load_2addr_b64 v[124:127], v118 offset0:47 offset1:48
	v_pk_add_f32 v[10:11], v[10:11], v[130:131] neg_lo:[0,1] neg_hi:[0,1]
	v_pk_add_f32 v[12:13], v[12:13], v[128:129] neg_lo:[0,1] neg_hi:[0,1]
	s_wait_dscnt 0x0
	v_pk_mul_f32 v[128:129], v[124:125], v[116:117] op_sel:[0,1]
	s_delay_alu instid0(VALU_DEP_1) | instskip(SKIP_1) | instid1(VALU_DEP_1)
	v_pk_fma_f32 v[130:131], v[124:125], v[114:115], v[128:129] op_sel:[0,0,1] op_sel_hi:[1,1,0] neg_lo:[0,0,1] neg_hi:[0,0,1]
	v_pk_fma_f32 v[124:125], v[124:125], v[114:115], v[128:129] op_sel:[0,0,1] op_sel_hi:[1,0,0]
	v_mov_b32_e32 v131, v125
	v_pk_mul_f32 v[124:125], v[126:127], v[116:117] op_sel:[0,1]
	s_delay_alu instid0(VALU_DEP_1) | instskip(SKIP_1) | instid1(VALU_DEP_1)
	v_pk_fma_f32 v[128:129], v[126:127], v[114:115], v[124:125] op_sel:[0,0,1] op_sel_hi:[1,1,0] neg_lo:[0,0,1] neg_hi:[0,0,1]
	v_pk_fma_f32 v[124:125], v[126:127], v[114:115], v[124:125] op_sel:[0,0,1] op_sel_hi:[1,0,0]
	v_mov_b32_e32 v129, v125
	ds_load_2addr_b64 v[124:127], v118 offset0:49 offset1:50
	v_pk_add_f32 v[8:9], v[8:9], v[130:131] neg_lo:[0,1] neg_hi:[0,1]
	v_pk_add_f32 v[66:67], v[66:67], v[128:129] neg_lo:[0,1] neg_hi:[0,1]
	s_wait_dscnt 0x0
	v_dual_mul_f32 v128, v125, v117 :: v_dual_mul_f32 v130, v125, v114
	s_delay_alu instid0(VALU_DEP_1) | instskip(NEXT) | instid1(VALU_DEP_2)
	v_pk_fma_f32 v[128:129], v[124:125], v[80:81], v[128:129] op_sel_hi:[1,1,0] neg_lo:[0,0,1] neg_hi:[0,0,1]
	v_pk_fma_f32 v[124:125], v[124:125], v[80:81], v[130:131] op_sel:[1,0,0] op_sel_hi:[0,1,0]
	s_delay_alu instid0(VALU_DEP_1) | instskip(SKIP_1) | instid1(VALU_DEP_2)
	v_mov_b32_e32 v129, v125
	v_pk_mul_f32 v[124:125], v[126:127], v[116:117] op_sel:[0,1]
	v_pk_add_f32 v[6:7], v[6:7], v[128:129] neg_lo:[0,1] neg_hi:[0,1]
	s_delay_alu instid0(VALU_DEP_2) | instskip(SKIP_1) | instid1(VALU_DEP_1)
	v_pk_fma_f32 v[128:129], v[126:127], v[114:115], v[124:125] op_sel:[0,0,1] op_sel_hi:[1,1,0] neg_lo:[0,0,1] neg_hi:[0,0,1]
	v_pk_fma_f32 v[124:125], v[126:127], v[114:115], v[124:125] op_sel:[0,0,1] op_sel_hi:[1,0,0]
	v_mov_b32_e32 v129, v125
	ds_load_2addr_b64 v[124:127], v118 offset0:51 offset1:52
	v_pk_add_f32 v[46:47], v[46:47], v[128:129] neg_lo:[0,1] neg_hi:[0,1]
	s_wait_dscnt 0x0
	v_pk_mul_f32 v[128:129], v[124:125], v[116:117] op_sel:[0,1]
	s_delay_alu instid0(VALU_DEP_1) | instskip(SKIP_1) | instid1(VALU_DEP_1)
	v_pk_fma_f32 v[130:131], v[124:125], v[114:115], v[128:129] op_sel:[0,0,1] op_sel_hi:[1,1,0] neg_lo:[0,0,1] neg_hi:[0,0,1]
	v_pk_fma_f32 v[124:125], v[124:125], v[114:115], v[128:129] op_sel:[0,0,1] op_sel_hi:[1,0,0]
	v_mov_b32_e32 v131, v125
	v_pk_mul_f32 v[124:125], v[126:127], v[116:117] op_sel:[0,1]
	s_delay_alu instid0(VALU_DEP_2) | instskip(NEXT) | instid1(VALU_DEP_2)
	v_pk_add_f32 v[28:29], v[28:29], v[130:131] neg_lo:[0,1] neg_hi:[0,1]
	v_pk_fma_f32 v[128:129], v[126:127], v[114:115], v[124:125] op_sel:[0,0,1] op_sel_hi:[1,1,0] neg_lo:[0,0,1] neg_hi:[0,0,1]
	v_pk_fma_f32 v[124:125], v[126:127], v[114:115], v[124:125] op_sel:[0,0,1] op_sel_hi:[1,0,0]
	s_delay_alu instid0(VALU_DEP_1) | instskip(SKIP_4) | instid1(VALU_DEP_1)
	v_mov_b32_e32 v129, v125
	ds_load_b64 v[124:125], v118 offset:424
	v_pk_add_f32 v[14:15], v[14:15], v[128:129] neg_lo:[0,1] neg_hi:[0,1]
	s_wait_dscnt 0x0
	v_pk_mul_f32 v[116:117], v[124:125], v[116:117] op_sel:[0,1]
	v_pk_fma_f32 v[126:127], v[124:125], v[114:115], v[116:117] op_sel:[0,0,1] op_sel_hi:[1,1,0] neg_lo:[0,0,1] neg_hi:[0,0,1]
	v_pk_fma_f32 v[114:115], v[124:125], v[114:115], v[116:117] op_sel:[0,0,1] op_sel_hi:[1,0,0]
	s_delay_alu instid0(VALU_DEP_1) | instskip(NEXT) | instid1(VALU_DEP_1)
	v_mov_b32_e32 v127, v115
	v_pk_add_f32 v[112:113], v[112:113], v[126:127] neg_lo:[0,1] neg_hi:[0,1]
.LBB106_230:
	s_or_b32 exec_lo, exec_lo, s0
	v_lshl_add_u32 v114, v122, 3, v118
	s_barrier_signal -1
	s_barrier_wait -1
	ds_store_b64 v114, v[76:77]
	s_wait_dscnt 0x0
	s_barrier_signal -1
	s_barrier_wait -1
	ds_load_b64 v[116:117], v118 offset:88
	v_mov_b32_e32 v114, 11
	s_cmp_lt_i32 s18, 13
	s_cbranch_scc1 .LBB106_233
; %bb.231:
	v_add3_u32 v115, v119, 0, 0x60
	v_mov_b32_e32 v114, 11
	s_mov_b32 s0, 12
.LBB106_232:                            ; =>This Inner Loop Header: Depth=1
	ds_load_b64 v[124:125], v115
	s_wait_dscnt 0x1
	v_cmp_gt_f32_e32 vcc_lo, 0, v116
	v_cndmask_b32_e64 v126, v116, -v116, vcc_lo
	v_cmp_gt_f32_e32 vcc_lo, 0, v117
	v_cndmask_b32_e64 v128, v117, -v117, vcc_lo
	s_wait_dscnt 0x0
	v_cmp_gt_f32_e32 vcc_lo, 0, v124
	v_cndmask_b32_e64 v127, v124, -v124, vcc_lo
	v_cmp_gt_f32_e32 vcc_lo, 0, v125
	v_cndmask_b32_e64 v129, v125, -v125, vcc_lo
	s_delay_alu instid0(VALU_DEP_1) | instskip(NEXT) | instid1(VALU_DEP_1)
	v_pk_add_f32 v[126:127], v[126:127], v[128:129]
	v_cmp_lt_f32_e32 vcc_lo, v126, v127
	v_dual_add_nc_u32 v115, 8, v115 :: v_dual_cndmask_b32 v117, v117, v125, vcc_lo
	v_cndmask_b32_e32 v116, v116, v124, vcc_lo
	v_cndmask_b32_e64 v114, v114, s0, vcc_lo
	s_add_co_i32 s0, s0, 1
	s_delay_alu instid0(SALU_CYCLE_1)
	s_cmp_lg_u32 s18, s0
	s_cbranch_scc1 .LBB106_232
.LBB106_233:
	s_wait_dscnt 0x0
	v_cmp_eq_f32_e32 vcc_lo, 0, v116
	v_cmp_eq_f32_e64 s0, 0, v117
	s_and_b32 s0, vcc_lo, s0
	s_delay_alu instid0(SALU_CYCLE_1) | instskip(NEXT) | instid1(SALU_CYCLE_1)
	s_and_saveexec_b32 s1, s0
	s_xor_b32 s0, exec_lo, s1
; %bb.234:
	v_cmp_ne_u32_e32 vcc_lo, 0, v120
	v_cndmask_b32_e32 v120, 12, v120, vcc_lo
; %bb.235:
	s_and_not1_saveexec_b32 s0, s0
	s_cbranch_execz .LBB106_241
; %bb.236:
	v_cmp_ngt_f32_e64 s1, |v116|, |v117|
	s_and_saveexec_b32 s12, s1
	s_delay_alu instid0(SALU_CYCLE_1)
	s_xor_b32 s1, exec_lo, s12
	s_cbranch_execz .LBB106_238
; %bb.237:
	v_div_scale_f32 v115, null, v117, v117, v116
	v_div_scale_f32 v125, vcc_lo, v116, v117, v116
	s_delay_alu instid0(VALU_DEP_2) | instskip(SKIP_1) | instid1(TRANS32_DEP_1)
	v_rcp_f32_e32 v123, v115
	v_nop
	v_fma_f32 v124, -v115, v123, 1.0
	s_delay_alu instid0(VALU_DEP_1) | instskip(NEXT) | instid1(VALU_DEP_1)
	v_fmac_f32_e32 v123, v124, v123
	v_mul_f32_e32 v124, v125, v123
	s_delay_alu instid0(VALU_DEP_1) | instskip(NEXT) | instid1(VALU_DEP_1)
	v_fma_f32 v126, -v115, v124, v125
	v_fmac_f32_e32 v124, v126, v123
	s_delay_alu instid0(VALU_DEP_1) | instskip(NEXT) | instid1(VALU_DEP_1)
	v_fma_f32 v115, -v115, v124, v125
	v_div_fmas_f32 v115, v115, v123, v124
	s_delay_alu instid0(VALU_DEP_1) | instskip(NEXT) | instid1(VALU_DEP_1)
	v_div_fixup_f32 v115, v115, v117, v116
	v_fmac_f32_e32 v117, v116, v115
	s_delay_alu instid0(VALU_DEP_1) | instskip(SKIP_1) | instid1(VALU_DEP_2)
	v_div_scale_f32 v116, null, v117, v117, 1.0
	v_div_scale_f32 v125, vcc_lo, 1.0, v117, 1.0
	v_rcp_f32_e32 v123, v116
	v_nop
	s_delay_alu instid0(TRANS32_DEP_1) | instskip(NEXT) | instid1(VALU_DEP_1)
	v_fma_f32 v124, -v116, v123, 1.0
	v_fmac_f32_e32 v123, v124, v123
	s_delay_alu instid0(VALU_DEP_1) | instskip(NEXT) | instid1(VALU_DEP_1)
	v_mul_f32_e32 v124, v125, v123
	v_fma_f32 v126, -v116, v124, v125
	s_delay_alu instid0(VALU_DEP_1) | instskip(NEXT) | instid1(VALU_DEP_1)
	v_fmac_f32_e32 v124, v126, v123
	v_fma_f32 v116, -v116, v124, v125
	s_delay_alu instid0(VALU_DEP_1) | instskip(NEXT) | instid1(VALU_DEP_1)
	v_div_fmas_f32 v116, v116, v123, v124
	v_div_fixup_f32 v117, v116, v117, 1.0
	s_delay_alu instid0(VALU_DEP_1)
	v_mul_f32_e32 v116, v115, v117
	v_xor_b32_e32 v117, 0x80000000, v117
.LBB106_238:
	s_and_not1_saveexec_b32 s1, s1
	s_cbranch_execz .LBB106_240
; %bb.239:
	s_delay_alu instid0(VALU_DEP_1) | instskip(SKIP_1) | instid1(VALU_DEP_2)
	v_div_scale_f32 v115, null, v116, v116, v117
	v_div_scale_f32 v125, vcc_lo, v117, v116, v117
	v_rcp_f32_e32 v123, v115
	v_nop
	s_delay_alu instid0(TRANS32_DEP_1) | instskip(NEXT) | instid1(VALU_DEP_1)
	v_fma_f32 v124, -v115, v123, 1.0
	v_fmac_f32_e32 v123, v124, v123
	s_delay_alu instid0(VALU_DEP_1) | instskip(NEXT) | instid1(VALU_DEP_1)
	v_mul_f32_e32 v124, v125, v123
	v_fma_f32 v126, -v115, v124, v125
	s_delay_alu instid0(VALU_DEP_1) | instskip(NEXT) | instid1(VALU_DEP_1)
	v_fmac_f32_e32 v124, v126, v123
	v_fma_f32 v115, -v115, v124, v125
	s_delay_alu instid0(VALU_DEP_1) | instskip(NEXT) | instid1(VALU_DEP_1)
	v_div_fmas_f32 v115, v115, v123, v124
	v_div_fixup_f32 v115, v115, v116, v117
	s_delay_alu instid0(VALU_DEP_1) | instskip(NEXT) | instid1(VALU_DEP_1)
	v_fmac_f32_e32 v116, v117, v115
	v_div_scale_f32 v117, null, v116, v116, 1.0
	s_delay_alu instid0(VALU_DEP_1) | instskip(SKIP_1) | instid1(TRANS32_DEP_1)
	v_rcp_f32_e32 v123, v117
	v_nop
	v_fma_f32 v124, -v117, v123, 1.0
	s_delay_alu instid0(VALU_DEP_1) | instskip(SKIP_1) | instid1(VALU_DEP_1)
	v_fmac_f32_e32 v123, v124, v123
	v_div_scale_f32 v124, vcc_lo, 1.0, v116, 1.0
	v_mul_f32_e32 v125, v124, v123
	s_delay_alu instid0(VALU_DEP_1) | instskip(NEXT) | instid1(VALU_DEP_1)
	v_fma_f32 v126, -v117, v125, v124
	v_fmac_f32_e32 v125, v126, v123
	s_delay_alu instid0(VALU_DEP_1) | instskip(NEXT) | instid1(VALU_DEP_1)
	v_fma_f32 v117, -v117, v125, v124
	v_div_fmas_f32 v117, v117, v123, v125
	s_delay_alu instid0(VALU_DEP_1) | instskip(NEXT) | instid1(VALU_DEP_1)
	v_div_fixup_f32 v116, v117, v116, 1.0
	v_mul_f32_e64 v117, v115, -v116
.LBB106_240:
	s_or_b32 exec_lo, exec_lo, s1
.LBB106_241:
	s_delay_alu instid0(SALU_CYCLE_1) | instskip(NEXT) | instid1(SALU_CYCLE_1)
	s_or_b32 exec_lo, exec_lo, s0
	s_mov_b32 s0, exec_lo
	v_cmpx_ne_u32_e64 v122, v114
	s_xor_b32 s0, exec_lo, s0
	s_cbranch_execz .LBB106_247
; %bb.242:
	s_mov_b32 s1, exec_lo
	v_cmpx_eq_u32_e32 11, v122
	s_cbranch_execz .LBB106_246
; %bb.243:
	v_cmp_ne_u32_e32 vcc_lo, 11, v114
	s_xor_b32 s12, s16, -1
	s_delay_alu instid0(SALU_CYCLE_1) | instskip(NEXT) | instid1(SALU_CYCLE_1)
	s_and_b32 s13, s12, vcc_lo
	s_and_saveexec_b32 s12, s13
	s_cbranch_execz .LBB106_245
; %bb.244:
	v_ashrrev_i32_e32 v115, 31, v114
	s_delay_alu instid0(VALU_DEP_1)
	v_lshl_add_u64 v[122:123], v[114:115], 2, v[4:5]
	s_clause 0x1
	global_load_b32 v115, v[122:123], off
	global_load_b32 v121, v[4:5], off offset:44
	s_wait_loadcnt 0x1
	global_store_b32 v[4:5], v115, off offset:44
	s_wait_loadcnt 0x0
	global_store_b32 v[122:123], v121, off
.LBB106_245:
	s_wait_xcnt 0x0
	s_or_b32 exec_lo, exec_lo, s12
	v_dual_mov_b32 v122, v114 :: v_dual_mov_b32 v121, v114
.LBB106_246:
	s_or_b32 exec_lo, exec_lo, s1
.LBB106_247:
	s_and_not1_saveexec_b32 s0, s0
	s_cbranch_execz .LBB106_249
; %bb.248:
	v_dual_mov_b32 v114, v100 :: v_dual_mov_b32 v115, v101
	v_dual_mov_b32 v122, v72 :: v_dual_mov_b32 v123, v73
	;; [unrolled: 1-line block ×8, first 2 shown]
	ds_store_2addr_b64 v118, v[114:115], v[122:123] offset0:12 offset1:13
	ds_store_2addr_b64 v118, v[124:125], v[126:127] offset0:14 offset1:15
	;; [unrolled: 1-line block ×4, first 2 shown]
	v_dual_mov_b32 v114, v96 :: v_dual_mov_b32 v115, v97
	v_dual_mov_b32 v122, v58 :: v_dual_mov_b32 v123, v59
	;; [unrolled: 1-line block ×12, first 2 shown]
	ds_store_2addr_b64 v118, v[114:115], v[122:123] offset0:20 offset1:21
	ds_store_2addr_b64 v118, v[124:125], v[126:127] offset0:22 offset1:23
	;; [unrolled: 1-line block ×6, first 2 shown]
	v_dual_mov_b32 v114, v88 :: v_dual_mov_b32 v115, v89
	v_dual_mov_b32 v122, v32 :: v_dual_mov_b32 v123, v33
	;; [unrolled: 1-line block ×12, first 2 shown]
	ds_store_2addr_b64 v118, v[114:115], v[122:123] offset0:32 offset1:33
	ds_store_2addr_b64 v118, v[124:125], v[126:127] offset0:34 offset1:35
	;; [unrolled: 1-line block ×6, first 2 shown]
	v_dual_mov_b32 v114, v82 :: v_dual_mov_b32 v115, v83
	v_dual_mov_b32 v124, v10 :: v_dual_mov_b32 v125, v11
	;; [unrolled: 1-line block ×9, first 2 shown]
	v_mov_b32_e32 v139, v15
	ds_store_2addr_b64 v118, v[114:115], v[124:125] offset0:44 offset1:45
	ds_store_2addr_b64 v118, v[126:127], v[128:129] offset0:46 offset1:47
	ds_store_2addr_b64 v118, v[130:131], v[132:133] offset0:48 offset1:49
	ds_store_2addr_b64 v118, v[134:135], v[136:137] offset0:50 offset1:51
	ds_store_2addr_b64 v118, v[138:139], v[112:113] offset0:52 offset1:53
.LBB106_249:
	s_or_b32 exec_lo, exec_lo, s0
	s_delay_alu instid0(SALU_CYCLE_1)
	s_mov_b32 s0, exec_lo
	s_wait_storecnt_dscnt 0x0
	s_barrier_signal -1
	s_barrier_wait -1
	v_cmpx_lt_i32_e32 11, v122
	s_cbranch_execz .LBB106_251
; %bb.250:
	v_pk_mul_f32 v[124:125], v[116:117], v[76:77] op_sel:[1,1] op_sel_hi:[0,1]
	s_delay_alu instid0(VALU_DEP_1)
	v_pk_fma_f32 v[114:115], v[116:117], v[76:77], v[124:125] op_sel_hi:[1,0,1] neg_lo:[0,0,1] neg_hi:[0,0,1]
	v_pk_fma_f32 v[116:117], v[116:117], v[76:77], v[124:125] op_sel_hi:[1,0,1]
	ds_load_2addr_b64 v[124:127], v118 offset0:12 offset1:13
	v_dual_mov_b32 v76, v114 :: v_dual_mov_b32 v77, v117
	s_wait_dscnt 0x0
	v_pk_mul_f32 v[128:129], v[124:125], v[116:117] op_sel:[0,1]
	s_delay_alu instid0(VALU_DEP_1) | instskip(SKIP_1) | instid1(VALU_DEP_1)
	v_pk_fma_f32 v[130:131], v[124:125], v[114:115], v[128:129] op_sel:[0,0,1] op_sel_hi:[1,1,0] neg_lo:[0,0,1] neg_hi:[0,0,1]
	v_pk_fma_f32 v[124:125], v[124:125], v[114:115], v[128:129] op_sel:[0,0,1] op_sel_hi:[1,0,0]
	v_mov_b32_e32 v131, v125
	v_pk_mul_f32 v[124:125], v[126:127], v[116:117] op_sel:[0,1]
	s_delay_alu instid0(VALU_DEP_1) | instskip(SKIP_1) | instid1(VALU_DEP_1)
	v_pk_fma_f32 v[128:129], v[126:127], v[114:115], v[124:125] op_sel:[0,0,1] op_sel_hi:[1,1,0] neg_lo:[0,0,1] neg_hi:[0,0,1]
	v_pk_fma_f32 v[124:125], v[126:127], v[114:115], v[124:125] op_sel:[0,0,1] op_sel_hi:[1,0,0]
	v_mov_b32_e32 v129, v125
	ds_load_2addr_b64 v[124:127], v118 offset0:14 offset1:15
	v_pk_add_f32 v[100:101], v[100:101], v[130:131] neg_lo:[0,1] neg_hi:[0,1]
	v_pk_add_f32 v[72:73], v[72:73], v[128:129] neg_lo:[0,1] neg_hi:[0,1]
	s_wait_dscnt 0x0
	v_pk_mul_f32 v[128:129], v[124:125], v[116:117] op_sel:[0,1]
	s_delay_alu instid0(VALU_DEP_1) | instskip(SKIP_2) | instid1(VALU_DEP_2)
	v_pk_fma_f32 v[130:131], v[124:125], v[114:115], v[128:129] op_sel:[0,0,1] op_sel_hi:[1,1,0] neg_lo:[0,0,1] neg_hi:[0,0,1]
	v_pk_fma_f32 v[124:125], v[124:125], v[114:115], v[128:129] op_sel:[0,0,1] op_sel_hi:[1,0,0]
	v_dual_mul_f32 v128, v127, v117 :: v_dual_mov_b32 v124, v127
	v_dual_mov_b32 v131, v125 :: v_dual_mov_b32 v125, v126
	s_delay_alu instid0(VALU_DEP_2) | instskip(SKIP_1) | instid1(VALU_DEP_3)
	v_pk_fma_f32 v[128:129], v[126:127], v[76:77], v[128:129] op_sel_hi:[1,1,0] neg_lo:[0,0,1] neg_hi:[0,0,1]
	v_mul_f32_e32 v126, v127, v114
	v_pk_add_f32 v[74:75], v[74:75], v[130:131] neg_lo:[0,1] neg_hi:[0,1]
	s_delay_alu instid0(VALU_DEP_2) | instskip(NEXT) | instid1(VALU_DEP_1)
	v_pk_fma_f32 v[124:125], v[124:125], v[76:77], v[126:127] op_sel_hi:[1,1,0]
	v_mov_b32_e32 v129, v125
	ds_load_2addr_b64 v[124:127], v118 offset0:16 offset1:17
	v_pk_add_f32 v[70:71], v[70:71], v[128:129] neg_lo:[0,1] neg_hi:[0,1]
	s_wait_dscnt 0x0
	v_pk_mul_f32 v[128:129], v[124:125], v[116:117] op_sel:[0,1]
	s_delay_alu instid0(VALU_DEP_1) | instskip(SKIP_1) | instid1(VALU_DEP_1)
	v_pk_fma_f32 v[130:131], v[124:125], v[114:115], v[128:129] op_sel:[0,0,1] op_sel_hi:[1,1,0] neg_lo:[0,0,1] neg_hi:[0,0,1]
	v_pk_fma_f32 v[124:125], v[124:125], v[114:115], v[128:129] op_sel:[0,0,1] op_sel_hi:[1,0,0]
	v_mov_b32_e32 v131, v125
	v_pk_mul_f32 v[124:125], v[126:127], v[116:117] op_sel:[0,1]
	s_delay_alu instid0(VALU_DEP_1) | instskip(SKIP_1) | instid1(VALU_DEP_1)
	v_pk_fma_f32 v[128:129], v[126:127], v[114:115], v[124:125] op_sel:[0,0,1] op_sel_hi:[1,1,0] neg_lo:[0,0,1] neg_hi:[0,0,1]
	v_pk_fma_f32 v[124:125], v[126:127], v[114:115], v[124:125] op_sel:[0,0,1] op_sel_hi:[1,0,0]
	v_mov_b32_e32 v129, v125
	ds_load_2addr_b64 v[124:127], v118 offset0:18 offset1:19
	v_pk_add_f32 v[98:99], v[98:99], v[130:131] neg_lo:[0,1] neg_hi:[0,1]
	v_pk_add_f32 v[64:65], v[64:65], v[128:129] neg_lo:[0,1] neg_hi:[0,1]
	s_wait_dscnt 0x0
	v_pk_mul_f32 v[128:129], v[124:125], v[116:117] op_sel:[0,1]
	s_delay_alu instid0(VALU_DEP_1) | instskip(SKIP_1) | instid1(VALU_DEP_1)
	v_pk_fma_f32 v[130:131], v[124:125], v[114:115], v[128:129] op_sel:[0,0,1] op_sel_hi:[1,1,0] neg_lo:[0,0,1] neg_hi:[0,0,1]
	v_pk_fma_f32 v[124:125], v[124:125], v[114:115], v[128:129] op_sel:[0,0,1] op_sel_hi:[1,0,0]
	v_mov_b32_e32 v131, v125
	v_pk_mul_f32 v[124:125], v[126:127], v[116:117] op_sel:[0,1]
	s_delay_alu instid0(VALU_DEP_1) | instskip(SKIP_1) | instid1(VALU_DEP_1)
	v_pk_fma_f32 v[128:129], v[126:127], v[114:115], v[124:125] op_sel:[0,0,1] op_sel_hi:[1,1,0] neg_lo:[0,0,1] neg_hi:[0,0,1]
	v_pk_fma_f32 v[124:125], v[126:127], v[114:115], v[124:125] op_sel:[0,0,1] op_sel_hi:[1,0,0]
	v_mov_b32_e32 v129, v125
	ds_load_2addr_b64 v[124:127], v118 offset0:20 offset1:21
	v_pk_add_f32 v[68:69], v[68:69], v[130:131] neg_lo:[0,1] neg_hi:[0,1]
	v_pk_add_f32 v[62:63], v[62:63], v[128:129] neg_lo:[0,1] neg_hi:[0,1]
	s_wait_dscnt 0x0
	v_dual_mul_f32 v128, v125, v117 :: v_dual_mul_f32 v130, v125, v114
	s_delay_alu instid0(VALU_DEP_1) | instskip(NEXT) | instid1(VALU_DEP_2)
	v_pk_fma_f32 v[128:129], v[124:125], v[76:77], v[128:129] op_sel_hi:[1,1,0] neg_lo:[0,0,1] neg_hi:[0,0,1]
	v_pk_fma_f32 v[124:125], v[124:125], v[76:77], v[130:131] op_sel:[1,0,0] op_sel_hi:[0,1,0]
	s_delay_alu instid0(VALU_DEP_1) | instskip(SKIP_1) | instid1(VALU_DEP_2)
	v_mov_b32_e32 v129, v125
	v_pk_mul_f32 v[124:125], v[126:127], v[116:117] op_sel:[0,1]
	v_pk_add_f32 v[96:97], v[96:97], v[128:129] neg_lo:[0,1] neg_hi:[0,1]
	s_delay_alu instid0(VALU_DEP_2) | instskip(SKIP_1) | instid1(VALU_DEP_1)
	v_pk_fma_f32 v[128:129], v[126:127], v[114:115], v[124:125] op_sel:[0,0,1] op_sel_hi:[1,1,0] neg_lo:[0,0,1] neg_hi:[0,0,1]
	v_pk_fma_f32 v[124:125], v[126:127], v[114:115], v[124:125] op_sel:[0,0,1] op_sel_hi:[1,0,0]
	v_mov_b32_e32 v129, v125
	ds_load_2addr_b64 v[124:127], v118 offset0:22 offset1:23
	v_pk_add_f32 v[58:59], v[58:59], v[128:129] neg_lo:[0,1] neg_hi:[0,1]
	s_wait_dscnt 0x0
	v_pk_mul_f32 v[128:129], v[124:125], v[116:117] op_sel:[0,1]
	s_delay_alu instid0(VALU_DEP_1) | instskip(SKIP_1) | instid1(VALU_DEP_1)
	v_pk_fma_f32 v[130:131], v[124:125], v[114:115], v[128:129] op_sel:[0,0,1] op_sel_hi:[1,1,0] neg_lo:[0,0,1] neg_hi:[0,0,1]
	v_pk_fma_f32 v[124:125], v[124:125], v[114:115], v[128:129] op_sel:[0,0,1] op_sel_hi:[1,0,0]
	v_mov_b32_e32 v131, v125
	v_pk_mul_f32 v[124:125], v[126:127], v[116:117] op_sel:[0,1]
	s_delay_alu instid0(VALU_DEP_2) | instskip(NEXT) | instid1(VALU_DEP_2)
	v_pk_add_f32 v[60:61], v[60:61], v[130:131] neg_lo:[0,1] neg_hi:[0,1]
	v_pk_fma_f32 v[128:129], v[126:127], v[114:115], v[124:125] op_sel:[0,0,1] op_sel_hi:[1,1,0] neg_lo:[0,0,1] neg_hi:[0,0,1]
	v_pk_fma_f32 v[124:125], v[126:127], v[114:115], v[124:125] op_sel:[0,0,1] op_sel_hi:[1,0,0]
	s_delay_alu instid0(VALU_DEP_1) | instskip(SKIP_4) | instid1(VALU_DEP_1)
	v_mov_b32_e32 v129, v125
	ds_load_2addr_b64 v[124:127], v118 offset0:24 offset1:25
	v_pk_add_f32 v[56:57], v[56:57], v[128:129] neg_lo:[0,1] neg_hi:[0,1]
	s_wait_dscnt 0x0
	v_pk_mul_f32 v[128:129], v[124:125], v[116:117] op_sel:[0,1]
	v_pk_fma_f32 v[130:131], v[124:125], v[114:115], v[128:129] op_sel:[0,0,1] op_sel_hi:[1,1,0] neg_lo:[0,0,1] neg_hi:[0,0,1]
	v_pk_fma_f32 v[124:125], v[124:125], v[114:115], v[128:129] op_sel:[0,0,1] op_sel_hi:[1,0,0]
	v_dual_mul_f32 v128, v127, v117 :: v_dual_mov_b32 v124, v127
	s_delay_alu instid0(VALU_DEP_2) | instskip(NEXT) | instid1(VALU_DEP_2)
	v_dual_mov_b32 v131, v125 :: v_dual_mov_b32 v125, v126
	v_pk_fma_f32 v[128:129], v[126:127], v[76:77], v[128:129] op_sel_hi:[1,1,0] neg_lo:[0,0,1] neg_hi:[0,0,1]
	v_mul_f32_e32 v126, v127, v114
	s_delay_alu instid0(VALU_DEP_3) | instskip(NEXT) | instid1(VALU_DEP_2)
	v_pk_add_f32 v[94:95], v[94:95], v[130:131] neg_lo:[0,1] neg_hi:[0,1]
	v_pk_fma_f32 v[124:125], v[124:125], v[76:77], v[126:127] op_sel_hi:[1,1,0]
	s_delay_alu instid0(VALU_DEP_1) | instskip(SKIP_4) | instid1(VALU_DEP_1)
	v_mov_b32_e32 v129, v125
	ds_load_2addr_b64 v[124:127], v118 offset0:26 offset1:27
	v_pk_add_f32 v[52:53], v[52:53], v[128:129] neg_lo:[0,1] neg_hi:[0,1]
	s_wait_dscnt 0x0
	v_pk_mul_f32 v[128:129], v[124:125], v[116:117] op_sel:[0,1]
	v_pk_fma_f32 v[130:131], v[124:125], v[114:115], v[128:129] op_sel:[0,0,1] op_sel_hi:[1,1,0] neg_lo:[0,0,1] neg_hi:[0,0,1]
	v_pk_fma_f32 v[124:125], v[124:125], v[114:115], v[128:129] op_sel:[0,0,1] op_sel_hi:[1,0,0]
	s_delay_alu instid0(VALU_DEP_1) | instskip(SKIP_1) | instid1(VALU_DEP_1)
	v_mov_b32_e32 v131, v125
	v_pk_mul_f32 v[124:125], v[126:127], v[116:117] op_sel:[0,1]
	v_pk_fma_f32 v[128:129], v[126:127], v[114:115], v[124:125] op_sel:[0,0,1] op_sel_hi:[1,1,0] neg_lo:[0,0,1] neg_hi:[0,0,1]
	v_pk_fma_f32 v[124:125], v[126:127], v[114:115], v[124:125] op_sel:[0,0,1] op_sel_hi:[1,0,0]
	s_delay_alu instid0(VALU_DEP_1)
	v_mov_b32_e32 v129, v125
	ds_load_2addr_b64 v[124:127], v118 offset0:28 offset1:29
	v_pk_add_f32 v[54:55], v[54:55], v[130:131] neg_lo:[0,1] neg_hi:[0,1]
	v_pk_add_f32 v[50:51], v[50:51], v[128:129] neg_lo:[0,1] neg_hi:[0,1]
	s_wait_dscnt 0x0
	v_pk_mul_f32 v[128:129], v[124:125], v[116:117] op_sel:[0,1]
	s_delay_alu instid0(VALU_DEP_1) | instskip(SKIP_1) | instid1(VALU_DEP_1)
	v_pk_fma_f32 v[130:131], v[124:125], v[114:115], v[128:129] op_sel:[0,0,1] op_sel_hi:[1,1,0] neg_lo:[0,0,1] neg_hi:[0,0,1]
	v_pk_fma_f32 v[124:125], v[124:125], v[114:115], v[128:129] op_sel:[0,0,1] op_sel_hi:[1,0,0]
	v_mov_b32_e32 v131, v125
	v_pk_mul_f32 v[124:125], v[126:127], v[116:117] op_sel:[0,1]
	s_delay_alu instid0(VALU_DEP_1) | instskip(SKIP_1) | instid1(VALU_DEP_1)
	v_pk_fma_f32 v[128:129], v[126:127], v[114:115], v[124:125] op_sel:[0,0,1] op_sel_hi:[1,1,0] neg_lo:[0,0,1] neg_hi:[0,0,1]
	v_pk_fma_f32 v[124:125], v[126:127], v[114:115], v[124:125] op_sel:[0,0,1] op_sel_hi:[1,0,0]
	v_mov_b32_e32 v129, v125
	ds_load_2addr_b64 v[124:127], v118 offset0:30 offset1:31
	v_pk_add_f32 v[90:91], v[90:91], v[130:131] neg_lo:[0,1] neg_hi:[0,1]
	v_pk_add_f32 v[38:39], v[38:39], v[128:129] neg_lo:[0,1] neg_hi:[0,1]
	s_wait_dscnt 0x0
	v_dual_mul_f32 v128, v125, v117 :: v_dual_mul_f32 v130, v125, v114
	s_delay_alu instid0(VALU_DEP_1) | instskip(NEXT) | instid1(VALU_DEP_2)
	v_pk_fma_f32 v[128:129], v[124:125], v[76:77], v[128:129] op_sel_hi:[1,1,0] neg_lo:[0,0,1] neg_hi:[0,0,1]
	v_pk_fma_f32 v[124:125], v[124:125], v[76:77], v[130:131] op_sel:[1,0,0] op_sel_hi:[0,1,0]
	s_delay_alu instid0(VALU_DEP_1) | instskip(SKIP_1) | instid1(VALU_DEP_2)
	v_mov_b32_e32 v129, v125
	v_pk_mul_f32 v[124:125], v[126:127], v[116:117] op_sel:[0,1]
	v_pk_add_f32 v[40:41], v[40:41], v[128:129] neg_lo:[0,1] neg_hi:[0,1]
	s_delay_alu instid0(VALU_DEP_2) | instskip(SKIP_1) | instid1(VALU_DEP_1)
	v_pk_fma_f32 v[128:129], v[126:127], v[114:115], v[124:125] op_sel:[0,0,1] op_sel_hi:[1,1,0] neg_lo:[0,0,1] neg_hi:[0,0,1]
	v_pk_fma_f32 v[124:125], v[126:127], v[114:115], v[124:125] op_sel:[0,0,1] op_sel_hi:[1,0,0]
	v_mov_b32_e32 v129, v125
	ds_load_2addr_b64 v[124:127], v118 offset0:32 offset1:33
	v_pk_add_f32 v[36:37], v[36:37], v[128:129] neg_lo:[0,1] neg_hi:[0,1]
	s_wait_dscnt 0x0
	v_pk_mul_f32 v[128:129], v[124:125], v[116:117] op_sel:[0,1]
	s_delay_alu instid0(VALU_DEP_1) | instskip(SKIP_1) | instid1(VALU_DEP_1)
	v_pk_fma_f32 v[130:131], v[124:125], v[114:115], v[128:129] op_sel:[0,0,1] op_sel_hi:[1,1,0] neg_lo:[0,0,1] neg_hi:[0,0,1]
	v_pk_fma_f32 v[124:125], v[124:125], v[114:115], v[128:129] op_sel:[0,0,1] op_sel_hi:[1,0,0]
	v_mov_b32_e32 v131, v125
	v_pk_mul_f32 v[124:125], v[126:127], v[116:117] op_sel:[0,1]
	s_delay_alu instid0(VALU_DEP_2) | instskip(NEXT) | instid1(VALU_DEP_2)
	v_pk_add_f32 v[88:89], v[88:89], v[130:131] neg_lo:[0,1] neg_hi:[0,1]
	v_pk_fma_f32 v[128:129], v[126:127], v[114:115], v[124:125] op_sel:[0,0,1] op_sel_hi:[1,1,0] neg_lo:[0,0,1] neg_hi:[0,0,1]
	v_pk_fma_f32 v[124:125], v[126:127], v[114:115], v[124:125] op_sel:[0,0,1] op_sel_hi:[1,0,0]
	s_delay_alu instid0(VALU_DEP_1) | instskip(SKIP_4) | instid1(VALU_DEP_1)
	v_mov_b32_e32 v129, v125
	ds_load_2addr_b64 v[124:127], v118 offset0:34 offset1:35
	v_pk_add_f32 v[32:33], v[32:33], v[128:129] neg_lo:[0,1] neg_hi:[0,1]
	s_wait_dscnt 0x0
	v_pk_mul_f32 v[128:129], v[124:125], v[116:117] op_sel:[0,1]
	v_pk_fma_f32 v[130:131], v[124:125], v[114:115], v[128:129] op_sel:[0,0,1] op_sel_hi:[1,1,0] neg_lo:[0,0,1] neg_hi:[0,0,1]
	v_pk_fma_f32 v[124:125], v[124:125], v[114:115], v[128:129] op_sel:[0,0,1] op_sel_hi:[1,0,0]
	v_dual_mul_f32 v128, v127, v117 :: v_dual_mov_b32 v124, v127
	s_delay_alu instid0(VALU_DEP_2) | instskip(NEXT) | instid1(VALU_DEP_2)
	v_dual_mov_b32 v131, v125 :: v_dual_mov_b32 v125, v126
	v_pk_fma_f32 v[128:129], v[126:127], v[76:77], v[128:129] op_sel_hi:[1,1,0] neg_lo:[0,0,1] neg_hi:[0,0,1]
	v_mul_f32_e32 v126, v127, v114
	s_delay_alu instid0(VALU_DEP_3) | instskip(NEXT) | instid1(VALU_DEP_2)
	v_pk_add_f32 v[34:35], v[34:35], v[130:131] neg_lo:[0,1] neg_hi:[0,1]
	v_pk_fma_f32 v[124:125], v[124:125], v[76:77], v[126:127] op_sel_hi:[1,1,0]
	s_delay_alu instid0(VALU_DEP_1) | instskip(SKIP_4) | instid1(VALU_DEP_1)
	v_mov_b32_e32 v129, v125
	ds_load_2addr_b64 v[124:127], v118 offset0:36 offset1:37
	v_pk_add_f32 v[30:31], v[30:31], v[128:129] neg_lo:[0,1] neg_hi:[0,1]
	s_wait_dscnt 0x0
	v_pk_mul_f32 v[128:129], v[124:125], v[116:117] op_sel:[0,1]
	v_pk_fma_f32 v[130:131], v[124:125], v[114:115], v[128:129] op_sel:[0,0,1] op_sel_hi:[1,1,0] neg_lo:[0,0,1] neg_hi:[0,0,1]
	v_pk_fma_f32 v[124:125], v[124:125], v[114:115], v[128:129] op_sel:[0,0,1] op_sel_hi:[1,0,0]
	s_delay_alu instid0(VALU_DEP_1) | instskip(SKIP_1) | instid1(VALU_DEP_1)
	v_mov_b32_e32 v131, v125
	v_pk_mul_f32 v[124:125], v[126:127], v[116:117] op_sel:[0,1]
	v_pk_fma_f32 v[128:129], v[126:127], v[114:115], v[124:125] op_sel:[0,0,1] op_sel_hi:[1,1,0] neg_lo:[0,0,1] neg_hi:[0,0,1]
	v_pk_fma_f32 v[124:125], v[126:127], v[114:115], v[124:125] op_sel:[0,0,1] op_sel_hi:[1,0,0]
	s_delay_alu instid0(VALU_DEP_1)
	v_mov_b32_e32 v129, v125
	ds_load_2addr_b64 v[124:127], v118 offset0:38 offset1:39
	v_pk_add_f32 v[86:87], v[86:87], v[130:131] neg_lo:[0,1] neg_hi:[0,1]
	v_pk_add_f32 v[24:25], v[24:25], v[128:129] neg_lo:[0,1] neg_hi:[0,1]
	s_wait_dscnt 0x0
	v_pk_mul_f32 v[128:129], v[124:125], v[116:117] op_sel:[0,1]
	s_delay_alu instid0(VALU_DEP_1) | instskip(SKIP_1) | instid1(VALU_DEP_1)
	v_pk_fma_f32 v[130:131], v[124:125], v[114:115], v[128:129] op_sel:[0,0,1] op_sel_hi:[1,1,0] neg_lo:[0,0,1] neg_hi:[0,0,1]
	v_pk_fma_f32 v[124:125], v[124:125], v[114:115], v[128:129] op_sel:[0,0,1] op_sel_hi:[1,0,0]
	v_mov_b32_e32 v131, v125
	v_pk_mul_f32 v[124:125], v[126:127], v[116:117] op_sel:[0,1]
	s_delay_alu instid0(VALU_DEP_1) | instskip(SKIP_1) | instid1(VALU_DEP_1)
	v_pk_fma_f32 v[128:129], v[126:127], v[114:115], v[124:125] op_sel:[0,0,1] op_sel_hi:[1,1,0] neg_lo:[0,0,1] neg_hi:[0,0,1]
	v_pk_fma_f32 v[124:125], v[126:127], v[114:115], v[124:125] op_sel:[0,0,1] op_sel_hi:[1,0,0]
	v_mov_b32_e32 v129, v125
	ds_load_2addr_b64 v[124:127], v118 offset0:40 offset1:41
	v_pk_add_f32 v[26:27], v[26:27], v[130:131] neg_lo:[0,1] neg_hi:[0,1]
	v_pk_add_f32 v[22:23], v[22:23], v[128:129] neg_lo:[0,1] neg_hi:[0,1]
	s_wait_dscnt 0x0
	v_dual_mul_f32 v128, v125, v117 :: v_dual_mul_f32 v130, v125, v114
	s_delay_alu instid0(VALU_DEP_1) | instskip(NEXT) | instid1(VALU_DEP_2)
	v_pk_fma_f32 v[128:129], v[124:125], v[76:77], v[128:129] op_sel_hi:[1,1,0] neg_lo:[0,0,1] neg_hi:[0,0,1]
	v_pk_fma_f32 v[124:125], v[124:125], v[76:77], v[130:131] op_sel:[1,0,0] op_sel_hi:[0,1,0]
	s_delay_alu instid0(VALU_DEP_1) | instskip(SKIP_1) | instid1(VALU_DEP_2)
	v_mov_b32_e32 v129, v125
	v_pk_mul_f32 v[124:125], v[126:127], v[116:117] op_sel:[0,1]
	v_pk_add_f32 v[84:85], v[84:85], v[128:129] neg_lo:[0,1] neg_hi:[0,1]
	s_delay_alu instid0(VALU_DEP_2) | instskip(SKIP_1) | instid1(VALU_DEP_1)
	v_pk_fma_f32 v[128:129], v[126:127], v[114:115], v[124:125] op_sel:[0,0,1] op_sel_hi:[1,1,0] neg_lo:[0,0,1] neg_hi:[0,0,1]
	v_pk_fma_f32 v[124:125], v[126:127], v[114:115], v[124:125] op_sel:[0,0,1] op_sel_hi:[1,0,0]
	v_mov_b32_e32 v129, v125
	ds_load_2addr_b64 v[124:127], v118 offset0:42 offset1:43
	v_pk_add_f32 v[18:19], v[18:19], v[128:129] neg_lo:[0,1] neg_hi:[0,1]
	s_wait_dscnt 0x0
	v_pk_mul_f32 v[128:129], v[124:125], v[116:117] op_sel:[0,1]
	s_delay_alu instid0(VALU_DEP_1) | instskip(SKIP_1) | instid1(VALU_DEP_1)
	v_pk_fma_f32 v[130:131], v[124:125], v[114:115], v[128:129] op_sel:[0,0,1] op_sel_hi:[1,1,0] neg_lo:[0,0,1] neg_hi:[0,0,1]
	v_pk_fma_f32 v[124:125], v[124:125], v[114:115], v[128:129] op_sel:[0,0,1] op_sel_hi:[1,0,0]
	v_mov_b32_e32 v131, v125
	v_pk_mul_f32 v[124:125], v[126:127], v[116:117] op_sel:[0,1]
	s_delay_alu instid0(VALU_DEP_2) | instskip(NEXT) | instid1(VALU_DEP_2)
	v_pk_add_f32 v[20:21], v[20:21], v[130:131] neg_lo:[0,1] neg_hi:[0,1]
	v_pk_fma_f32 v[128:129], v[126:127], v[114:115], v[124:125] op_sel:[0,0,1] op_sel_hi:[1,1,0] neg_lo:[0,0,1] neg_hi:[0,0,1]
	v_pk_fma_f32 v[124:125], v[126:127], v[114:115], v[124:125] op_sel:[0,0,1] op_sel_hi:[1,0,0]
	s_delay_alu instid0(VALU_DEP_1) | instskip(SKIP_4) | instid1(VALU_DEP_1)
	v_mov_b32_e32 v129, v125
	ds_load_2addr_b64 v[124:127], v118 offset0:44 offset1:45
	v_pk_add_f32 v[16:17], v[16:17], v[128:129] neg_lo:[0,1] neg_hi:[0,1]
	s_wait_dscnt 0x0
	v_pk_mul_f32 v[128:129], v[124:125], v[116:117] op_sel:[0,1]
	v_pk_fma_f32 v[130:131], v[124:125], v[114:115], v[128:129] op_sel:[0,0,1] op_sel_hi:[1,1,0] neg_lo:[0,0,1] neg_hi:[0,0,1]
	v_pk_fma_f32 v[124:125], v[124:125], v[114:115], v[128:129] op_sel:[0,0,1] op_sel_hi:[1,0,0]
	v_dual_mul_f32 v128, v127, v117 :: v_dual_mov_b32 v124, v127
	s_delay_alu instid0(VALU_DEP_2) | instskip(NEXT) | instid1(VALU_DEP_2)
	v_dual_mov_b32 v131, v125 :: v_dual_mov_b32 v125, v126
	v_pk_fma_f32 v[128:129], v[126:127], v[76:77], v[128:129] op_sel_hi:[1,1,0] neg_lo:[0,0,1] neg_hi:[0,0,1]
	v_mul_f32_e32 v126, v127, v114
	s_delay_alu instid0(VALU_DEP_3) | instskip(NEXT) | instid1(VALU_DEP_2)
	v_pk_add_f32 v[82:83], v[82:83], v[130:131] neg_lo:[0,1] neg_hi:[0,1]
	v_pk_fma_f32 v[124:125], v[124:125], v[76:77], v[126:127] op_sel_hi:[1,1,0]
	s_delay_alu instid0(VALU_DEP_1) | instskip(SKIP_4) | instid1(VALU_DEP_1)
	v_mov_b32_e32 v129, v125
	ds_load_2addr_b64 v[124:127], v118 offset0:46 offset1:47
	v_pk_add_f32 v[10:11], v[10:11], v[128:129] neg_lo:[0,1] neg_hi:[0,1]
	s_wait_dscnt 0x0
	v_pk_mul_f32 v[128:129], v[124:125], v[116:117] op_sel:[0,1]
	v_pk_fma_f32 v[130:131], v[124:125], v[114:115], v[128:129] op_sel:[0,0,1] op_sel_hi:[1,1,0] neg_lo:[0,0,1] neg_hi:[0,0,1]
	v_pk_fma_f32 v[124:125], v[124:125], v[114:115], v[128:129] op_sel:[0,0,1] op_sel_hi:[1,0,0]
	s_delay_alu instid0(VALU_DEP_1) | instskip(SKIP_1) | instid1(VALU_DEP_1)
	v_mov_b32_e32 v131, v125
	v_pk_mul_f32 v[124:125], v[126:127], v[116:117] op_sel:[0,1]
	v_pk_fma_f32 v[128:129], v[126:127], v[114:115], v[124:125] op_sel:[0,0,1] op_sel_hi:[1,1,0] neg_lo:[0,0,1] neg_hi:[0,0,1]
	v_pk_fma_f32 v[124:125], v[126:127], v[114:115], v[124:125] op_sel:[0,0,1] op_sel_hi:[1,0,0]
	s_delay_alu instid0(VALU_DEP_1)
	v_mov_b32_e32 v129, v125
	ds_load_2addr_b64 v[124:127], v118 offset0:48 offset1:49
	v_pk_add_f32 v[12:13], v[12:13], v[130:131] neg_lo:[0,1] neg_hi:[0,1]
	v_pk_add_f32 v[8:9], v[8:9], v[128:129] neg_lo:[0,1] neg_hi:[0,1]
	s_wait_dscnt 0x0
	v_pk_mul_f32 v[128:129], v[124:125], v[116:117] op_sel:[0,1]
	s_delay_alu instid0(VALU_DEP_1) | instskip(SKIP_1) | instid1(VALU_DEP_1)
	v_pk_fma_f32 v[130:131], v[124:125], v[114:115], v[128:129] op_sel:[0,0,1] op_sel_hi:[1,1,0] neg_lo:[0,0,1] neg_hi:[0,0,1]
	v_pk_fma_f32 v[124:125], v[124:125], v[114:115], v[128:129] op_sel:[0,0,1] op_sel_hi:[1,0,0]
	v_mov_b32_e32 v131, v125
	v_pk_mul_f32 v[124:125], v[126:127], v[116:117] op_sel:[0,1]
	s_delay_alu instid0(VALU_DEP_1) | instskip(SKIP_1) | instid1(VALU_DEP_1)
	v_pk_fma_f32 v[128:129], v[126:127], v[114:115], v[124:125] op_sel:[0,0,1] op_sel_hi:[1,1,0] neg_lo:[0,0,1] neg_hi:[0,0,1]
	v_pk_fma_f32 v[124:125], v[126:127], v[114:115], v[124:125] op_sel:[0,0,1] op_sel_hi:[1,0,0]
	v_mov_b32_e32 v129, v125
	ds_load_2addr_b64 v[124:127], v118 offset0:50 offset1:51
	v_pk_add_f32 v[66:67], v[66:67], v[130:131] neg_lo:[0,1] neg_hi:[0,1]
	v_pk_add_f32 v[6:7], v[6:7], v[128:129] neg_lo:[0,1] neg_hi:[0,1]
	s_wait_dscnt 0x0
	v_dual_mul_f32 v128, v125, v117 :: v_dual_mul_f32 v130, v125, v114
	s_delay_alu instid0(VALU_DEP_1) | instskip(NEXT) | instid1(VALU_DEP_2)
	v_pk_fma_f32 v[128:129], v[124:125], v[76:77], v[128:129] op_sel_hi:[1,1,0] neg_lo:[0,0,1] neg_hi:[0,0,1]
	v_pk_fma_f32 v[124:125], v[124:125], v[76:77], v[130:131] op_sel:[1,0,0] op_sel_hi:[0,1,0]
	s_delay_alu instid0(VALU_DEP_1) | instskip(SKIP_1) | instid1(VALU_DEP_2)
	v_mov_b32_e32 v129, v125
	v_pk_mul_f32 v[124:125], v[126:127], v[116:117] op_sel:[0,1]
	v_pk_add_f32 v[46:47], v[46:47], v[128:129] neg_lo:[0,1] neg_hi:[0,1]
	s_delay_alu instid0(VALU_DEP_2) | instskip(SKIP_1) | instid1(VALU_DEP_1)
	v_pk_fma_f32 v[128:129], v[126:127], v[114:115], v[124:125] op_sel:[0,0,1] op_sel_hi:[1,1,0] neg_lo:[0,0,1] neg_hi:[0,0,1]
	v_pk_fma_f32 v[124:125], v[126:127], v[114:115], v[124:125] op_sel:[0,0,1] op_sel_hi:[1,0,0]
	v_mov_b32_e32 v129, v125
	ds_load_2addr_b64 v[124:127], v118 offset0:52 offset1:53
	v_pk_add_f32 v[28:29], v[28:29], v[128:129] neg_lo:[0,1] neg_hi:[0,1]
	s_wait_dscnt 0x0
	v_pk_mul_f32 v[128:129], v[124:125], v[116:117] op_sel:[0,1]
	v_mul_f32_e32 v116, v127, v117
	s_delay_alu instid0(VALU_DEP_2) | instskip(SKIP_2) | instid1(VALU_DEP_4)
	v_pk_fma_f32 v[130:131], v[124:125], v[114:115], v[128:129] op_sel:[0,0,1] op_sel_hi:[1,1,0] neg_lo:[0,0,1] neg_hi:[0,0,1]
	v_pk_fma_f32 v[124:125], v[124:125], v[114:115], v[128:129] op_sel:[0,0,1] op_sel_hi:[1,0,0]
	v_dual_mov_b32 v124, v127 :: v_dual_mul_f32 v114, v127, v114
	v_pk_fma_f32 v[116:117], v[126:127], v[76:77], v[116:117] op_sel_hi:[1,1,0] neg_lo:[0,0,1] neg_hi:[0,0,1]
	s_delay_alu instid0(VALU_DEP_3) | instskip(NEXT) | instid1(VALU_DEP_1)
	v_dual_mov_b32 v131, v125 :: v_dual_mov_b32 v125, v126
	v_pk_add_f32 v[14:15], v[14:15], v[130:131] neg_lo:[0,1] neg_hi:[0,1]
	s_delay_alu instid0(VALU_DEP_2) | instskip(NEXT) | instid1(VALU_DEP_1)
	v_pk_fma_f32 v[114:115], v[124:125], v[76:77], v[114:115] op_sel_hi:[1,1,0]
	v_mov_b32_e32 v117, v115
	s_delay_alu instid0(VALU_DEP_1)
	v_pk_add_f32 v[112:113], v[112:113], v[116:117] neg_lo:[0,1] neg_hi:[0,1]
.LBB106_251:
	s_or_b32 exec_lo, exec_lo, s0
	v_lshl_add_u32 v114, v122, 3, v118
	s_barrier_signal -1
	s_barrier_wait -1
	ds_store_b64 v114, v[100:101]
	s_wait_dscnt 0x0
	s_barrier_signal -1
	s_barrier_wait -1
	ds_load_b64 v[116:117], v118 offset:96
	v_mov_b32_e32 v114, 12
	s_cmp_lt_i32 s18, 14
	s_cbranch_scc1 .LBB106_254
; %bb.252:
	v_add3_u32 v115, v119, 0, 0x68
	v_mov_b32_e32 v114, 12
	s_mov_b32 s0, 13
.LBB106_253:                            ; =>This Inner Loop Header: Depth=1
	ds_load_b64 v[124:125], v115
	s_wait_dscnt 0x1
	v_cmp_gt_f32_e32 vcc_lo, 0, v116
	v_cndmask_b32_e64 v126, v116, -v116, vcc_lo
	v_cmp_gt_f32_e32 vcc_lo, 0, v117
	v_cndmask_b32_e64 v128, v117, -v117, vcc_lo
	s_wait_dscnt 0x0
	v_cmp_gt_f32_e32 vcc_lo, 0, v124
	v_cndmask_b32_e64 v127, v124, -v124, vcc_lo
	v_cmp_gt_f32_e32 vcc_lo, 0, v125
	v_cndmask_b32_e64 v129, v125, -v125, vcc_lo
	s_delay_alu instid0(VALU_DEP_1) | instskip(NEXT) | instid1(VALU_DEP_1)
	v_pk_add_f32 v[126:127], v[126:127], v[128:129]
	v_cmp_lt_f32_e32 vcc_lo, v126, v127
	v_dual_add_nc_u32 v115, 8, v115 :: v_dual_cndmask_b32 v117, v117, v125, vcc_lo
	v_cndmask_b32_e32 v116, v116, v124, vcc_lo
	v_cndmask_b32_e64 v114, v114, s0, vcc_lo
	s_add_co_i32 s0, s0, 1
	s_delay_alu instid0(SALU_CYCLE_1)
	s_cmp_lg_u32 s18, s0
	s_cbranch_scc1 .LBB106_253
.LBB106_254:
	s_wait_dscnt 0x0
	v_cmp_eq_f32_e32 vcc_lo, 0, v116
	v_cmp_eq_f32_e64 s0, 0, v117
	s_and_b32 s0, vcc_lo, s0
	s_delay_alu instid0(SALU_CYCLE_1) | instskip(NEXT) | instid1(SALU_CYCLE_1)
	s_and_saveexec_b32 s1, s0
	s_xor_b32 s0, exec_lo, s1
; %bb.255:
	v_cmp_ne_u32_e32 vcc_lo, 0, v120
	v_cndmask_b32_e32 v120, 13, v120, vcc_lo
; %bb.256:
	s_and_not1_saveexec_b32 s0, s0
	s_cbranch_execz .LBB106_262
; %bb.257:
	v_cmp_ngt_f32_e64 s1, |v116|, |v117|
	s_and_saveexec_b32 s12, s1
	s_delay_alu instid0(SALU_CYCLE_1)
	s_xor_b32 s1, exec_lo, s12
	s_cbranch_execz .LBB106_259
; %bb.258:
	v_div_scale_f32 v115, null, v117, v117, v116
	v_div_scale_f32 v125, vcc_lo, v116, v117, v116
	s_delay_alu instid0(VALU_DEP_2) | instskip(SKIP_1) | instid1(TRANS32_DEP_1)
	v_rcp_f32_e32 v123, v115
	v_nop
	v_fma_f32 v124, -v115, v123, 1.0
	s_delay_alu instid0(VALU_DEP_1) | instskip(NEXT) | instid1(VALU_DEP_1)
	v_fmac_f32_e32 v123, v124, v123
	v_mul_f32_e32 v124, v125, v123
	s_delay_alu instid0(VALU_DEP_1) | instskip(NEXT) | instid1(VALU_DEP_1)
	v_fma_f32 v126, -v115, v124, v125
	v_fmac_f32_e32 v124, v126, v123
	s_delay_alu instid0(VALU_DEP_1) | instskip(NEXT) | instid1(VALU_DEP_1)
	v_fma_f32 v115, -v115, v124, v125
	v_div_fmas_f32 v115, v115, v123, v124
	s_delay_alu instid0(VALU_DEP_1) | instskip(NEXT) | instid1(VALU_DEP_1)
	v_div_fixup_f32 v115, v115, v117, v116
	v_fmac_f32_e32 v117, v116, v115
	s_delay_alu instid0(VALU_DEP_1) | instskip(SKIP_1) | instid1(VALU_DEP_2)
	v_div_scale_f32 v116, null, v117, v117, 1.0
	v_div_scale_f32 v125, vcc_lo, 1.0, v117, 1.0
	v_rcp_f32_e32 v123, v116
	v_nop
	s_delay_alu instid0(TRANS32_DEP_1) | instskip(NEXT) | instid1(VALU_DEP_1)
	v_fma_f32 v124, -v116, v123, 1.0
	v_fmac_f32_e32 v123, v124, v123
	s_delay_alu instid0(VALU_DEP_1) | instskip(NEXT) | instid1(VALU_DEP_1)
	v_mul_f32_e32 v124, v125, v123
	v_fma_f32 v126, -v116, v124, v125
	s_delay_alu instid0(VALU_DEP_1) | instskip(NEXT) | instid1(VALU_DEP_1)
	v_fmac_f32_e32 v124, v126, v123
	v_fma_f32 v116, -v116, v124, v125
	s_delay_alu instid0(VALU_DEP_1) | instskip(NEXT) | instid1(VALU_DEP_1)
	v_div_fmas_f32 v116, v116, v123, v124
	v_div_fixup_f32 v117, v116, v117, 1.0
	s_delay_alu instid0(VALU_DEP_1)
	v_mul_f32_e32 v116, v115, v117
	v_xor_b32_e32 v117, 0x80000000, v117
.LBB106_259:
	s_and_not1_saveexec_b32 s1, s1
	s_cbranch_execz .LBB106_261
; %bb.260:
	s_delay_alu instid0(VALU_DEP_1) | instskip(SKIP_1) | instid1(VALU_DEP_2)
	v_div_scale_f32 v115, null, v116, v116, v117
	v_div_scale_f32 v125, vcc_lo, v117, v116, v117
	v_rcp_f32_e32 v123, v115
	v_nop
	s_delay_alu instid0(TRANS32_DEP_1) | instskip(NEXT) | instid1(VALU_DEP_1)
	v_fma_f32 v124, -v115, v123, 1.0
	v_fmac_f32_e32 v123, v124, v123
	s_delay_alu instid0(VALU_DEP_1) | instskip(NEXT) | instid1(VALU_DEP_1)
	v_mul_f32_e32 v124, v125, v123
	v_fma_f32 v126, -v115, v124, v125
	s_delay_alu instid0(VALU_DEP_1) | instskip(NEXT) | instid1(VALU_DEP_1)
	v_fmac_f32_e32 v124, v126, v123
	v_fma_f32 v115, -v115, v124, v125
	s_delay_alu instid0(VALU_DEP_1) | instskip(NEXT) | instid1(VALU_DEP_1)
	v_div_fmas_f32 v115, v115, v123, v124
	v_div_fixup_f32 v115, v115, v116, v117
	s_delay_alu instid0(VALU_DEP_1) | instskip(NEXT) | instid1(VALU_DEP_1)
	v_fmac_f32_e32 v116, v117, v115
	v_div_scale_f32 v117, null, v116, v116, 1.0
	s_delay_alu instid0(VALU_DEP_1) | instskip(SKIP_1) | instid1(TRANS32_DEP_1)
	v_rcp_f32_e32 v123, v117
	v_nop
	v_fma_f32 v124, -v117, v123, 1.0
	s_delay_alu instid0(VALU_DEP_1) | instskip(SKIP_1) | instid1(VALU_DEP_1)
	v_fmac_f32_e32 v123, v124, v123
	v_div_scale_f32 v124, vcc_lo, 1.0, v116, 1.0
	v_mul_f32_e32 v125, v124, v123
	s_delay_alu instid0(VALU_DEP_1) | instskip(NEXT) | instid1(VALU_DEP_1)
	v_fma_f32 v126, -v117, v125, v124
	v_fmac_f32_e32 v125, v126, v123
	s_delay_alu instid0(VALU_DEP_1) | instskip(NEXT) | instid1(VALU_DEP_1)
	v_fma_f32 v117, -v117, v125, v124
	v_div_fmas_f32 v117, v117, v123, v125
	s_delay_alu instid0(VALU_DEP_1) | instskip(NEXT) | instid1(VALU_DEP_1)
	v_div_fixup_f32 v116, v117, v116, 1.0
	v_mul_f32_e64 v117, v115, -v116
.LBB106_261:
	s_or_b32 exec_lo, exec_lo, s1
.LBB106_262:
	s_delay_alu instid0(SALU_CYCLE_1) | instskip(NEXT) | instid1(SALU_CYCLE_1)
	s_or_b32 exec_lo, exec_lo, s0
	s_mov_b32 s0, exec_lo
	v_cmpx_ne_u32_e64 v122, v114
	s_xor_b32 s0, exec_lo, s0
	s_cbranch_execz .LBB106_268
; %bb.263:
	s_mov_b32 s1, exec_lo
	v_cmpx_eq_u32_e32 12, v122
	s_cbranch_execz .LBB106_267
; %bb.264:
	v_cmp_ne_u32_e32 vcc_lo, 12, v114
	s_xor_b32 s12, s16, -1
	s_delay_alu instid0(SALU_CYCLE_1) | instskip(NEXT) | instid1(SALU_CYCLE_1)
	s_and_b32 s13, s12, vcc_lo
	s_and_saveexec_b32 s12, s13
	s_cbranch_execz .LBB106_266
; %bb.265:
	v_ashrrev_i32_e32 v115, 31, v114
	s_delay_alu instid0(VALU_DEP_1)
	v_lshl_add_u64 v[122:123], v[114:115], 2, v[4:5]
	s_clause 0x1
	global_load_b32 v115, v[122:123], off
	global_load_b32 v121, v[4:5], off offset:48
	s_wait_loadcnt 0x1
	global_store_b32 v[4:5], v115, off offset:48
	s_wait_loadcnt 0x0
	global_store_b32 v[122:123], v121, off
.LBB106_266:
	s_wait_xcnt 0x0
	s_or_b32 exec_lo, exec_lo, s12
	v_dual_mov_b32 v122, v114 :: v_dual_mov_b32 v121, v114
.LBB106_267:
	s_or_b32 exec_lo, exec_lo, s1
.LBB106_268:
	s_and_not1_saveexec_b32 s0, s0
	s_cbranch_execz .LBB106_270
; %bb.269:
	v_mov_b32_e32 v122, 12
	ds_store_2addr_b64 v118, v[72:73], v[74:75] offset0:13 offset1:14
	ds_store_2addr_b64 v118, v[70:71], v[98:99] offset0:15 offset1:16
	;; [unrolled: 1-line block ×20, first 2 shown]
	ds_store_b64 v118, v[112:113] offset:424
.LBB106_270:
	s_or_b32 exec_lo, exec_lo, s0
	s_delay_alu instid0(SALU_CYCLE_1)
	s_mov_b32 s0, exec_lo
	s_wait_storecnt_dscnt 0x0
	s_barrier_signal -1
	s_barrier_wait -1
	v_cmpx_lt_i32_e32 12, v122
	s_cbranch_execz .LBB106_272
; %bb.271:
	v_pk_mul_f32 v[124:125], v[116:117], v[100:101] op_sel:[1,1] op_sel_hi:[0,1]
	s_delay_alu instid0(VALU_DEP_1)
	v_pk_fma_f32 v[114:115], v[116:117], v[100:101], v[124:125] op_sel_hi:[1,0,1] neg_lo:[0,0,1] neg_hi:[0,0,1]
	v_pk_fma_f32 v[116:117], v[116:117], v[100:101], v[124:125] op_sel_hi:[1,0,1]
	ds_load_2addr_b64 v[124:127], v118 offset0:13 offset1:14
	v_dual_mov_b32 v100, v114 :: v_dual_mov_b32 v101, v117
	s_wait_dscnt 0x0
	v_pk_mul_f32 v[128:129], v[124:125], v[116:117] op_sel:[0,1]
	s_delay_alu instid0(VALU_DEP_1) | instskip(SKIP_1) | instid1(VALU_DEP_1)
	v_pk_fma_f32 v[130:131], v[124:125], v[114:115], v[128:129] op_sel:[0,0,1] op_sel_hi:[1,1,0] neg_lo:[0,0,1] neg_hi:[0,0,1]
	v_pk_fma_f32 v[124:125], v[124:125], v[114:115], v[128:129] op_sel:[0,0,1] op_sel_hi:[1,0,0]
	v_mov_b32_e32 v131, v125
	v_pk_mul_f32 v[124:125], v[126:127], v[116:117] op_sel:[0,1]
	s_delay_alu instid0(VALU_DEP_1) | instskip(SKIP_1) | instid1(VALU_DEP_1)
	v_pk_fma_f32 v[128:129], v[126:127], v[114:115], v[124:125] op_sel:[0,0,1] op_sel_hi:[1,1,0] neg_lo:[0,0,1] neg_hi:[0,0,1]
	v_pk_fma_f32 v[124:125], v[126:127], v[114:115], v[124:125] op_sel:[0,0,1] op_sel_hi:[1,0,0]
	v_mov_b32_e32 v129, v125
	ds_load_2addr_b64 v[124:127], v118 offset0:15 offset1:16
	v_pk_add_f32 v[72:73], v[72:73], v[130:131] neg_lo:[0,1] neg_hi:[0,1]
	v_pk_add_f32 v[74:75], v[74:75], v[128:129] neg_lo:[0,1] neg_hi:[0,1]
	s_wait_dscnt 0x0
	v_pk_mul_f32 v[128:129], v[124:125], v[116:117] op_sel:[0,1]
	s_delay_alu instid0(VALU_DEP_1) | instskip(SKIP_2) | instid1(VALU_DEP_2)
	v_pk_fma_f32 v[130:131], v[124:125], v[114:115], v[128:129] op_sel:[0,0,1] op_sel_hi:[1,1,0] neg_lo:[0,0,1] neg_hi:[0,0,1]
	v_pk_fma_f32 v[124:125], v[124:125], v[114:115], v[128:129] op_sel:[0,0,1] op_sel_hi:[1,0,0]
	v_dual_mul_f32 v128, v127, v117 :: v_dual_mov_b32 v124, v127
	v_dual_mov_b32 v131, v125 :: v_dual_mov_b32 v125, v126
	s_delay_alu instid0(VALU_DEP_2) | instskip(SKIP_1) | instid1(VALU_DEP_3)
	v_pk_fma_f32 v[128:129], v[126:127], v[100:101], v[128:129] op_sel_hi:[1,1,0] neg_lo:[0,0,1] neg_hi:[0,0,1]
	v_mul_f32_e32 v126, v127, v114
	v_pk_add_f32 v[70:71], v[70:71], v[130:131] neg_lo:[0,1] neg_hi:[0,1]
	s_delay_alu instid0(VALU_DEP_2) | instskip(NEXT) | instid1(VALU_DEP_1)
	v_pk_fma_f32 v[124:125], v[124:125], v[100:101], v[126:127] op_sel_hi:[1,1,0]
	v_mov_b32_e32 v129, v125
	ds_load_2addr_b64 v[124:127], v118 offset0:17 offset1:18
	v_pk_add_f32 v[98:99], v[98:99], v[128:129] neg_lo:[0,1] neg_hi:[0,1]
	s_wait_dscnt 0x0
	v_pk_mul_f32 v[128:129], v[124:125], v[116:117] op_sel:[0,1]
	s_delay_alu instid0(VALU_DEP_1) | instskip(SKIP_1) | instid1(VALU_DEP_1)
	v_pk_fma_f32 v[130:131], v[124:125], v[114:115], v[128:129] op_sel:[0,0,1] op_sel_hi:[1,1,0] neg_lo:[0,0,1] neg_hi:[0,0,1]
	v_pk_fma_f32 v[124:125], v[124:125], v[114:115], v[128:129] op_sel:[0,0,1] op_sel_hi:[1,0,0]
	v_mov_b32_e32 v131, v125
	v_pk_mul_f32 v[124:125], v[126:127], v[116:117] op_sel:[0,1]
	s_delay_alu instid0(VALU_DEP_1) | instskip(SKIP_1) | instid1(VALU_DEP_1)
	v_pk_fma_f32 v[128:129], v[126:127], v[114:115], v[124:125] op_sel:[0,0,1] op_sel_hi:[1,1,0] neg_lo:[0,0,1] neg_hi:[0,0,1]
	v_pk_fma_f32 v[124:125], v[126:127], v[114:115], v[124:125] op_sel:[0,0,1] op_sel_hi:[1,0,0]
	v_mov_b32_e32 v129, v125
	ds_load_2addr_b64 v[124:127], v118 offset0:19 offset1:20
	v_pk_add_f32 v[64:65], v[64:65], v[130:131] neg_lo:[0,1] neg_hi:[0,1]
	v_pk_add_f32 v[68:69], v[68:69], v[128:129] neg_lo:[0,1] neg_hi:[0,1]
	s_wait_dscnt 0x0
	v_pk_mul_f32 v[128:129], v[124:125], v[116:117] op_sel:[0,1]
	s_delay_alu instid0(VALU_DEP_1) | instskip(SKIP_1) | instid1(VALU_DEP_1)
	v_pk_fma_f32 v[130:131], v[124:125], v[114:115], v[128:129] op_sel:[0,0,1] op_sel_hi:[1,1,0] neg_lo:[0,0,1] neg_hi:[0,0,1]
	v_pk_fma_f32 v[124:125], v[124:125], v[114:115], v[128:129] op_sel:[0,0,1] op_sel_hi:[1,0,0]
	v_mov_b32_e32 v131, v125
	v_pk_mul_f32 v[124:125], v[126:127], v[116:117] op_sel:[0,1]
	s_delay_alu instid0(VALU_DEP_1) | instskip(SKIP_1) | instid1(VALU_DEP_1)
	v_pk_fma_f32 v[128:129], v[126:127], v[114:115], v[124:125] op_sel:[0,0,1] op_sel_hi:[1,1,0] neg_lo:[0,0,1] neg_hi:[0,0,1]
	v_pk_fma_f32 v[124:125], v[126:127], v[114:115], v[124:125] op_sel:[0,0,1] op_sel_hi:[1,0,0]
	v_mov_b32_e32 v129, v125
	ds_load_2addr_b64 v[124:127], v118 offset0:21 offset1:22
	v_pk_add_f32 v[62:63], v[62:63], v[130:131] neg_lo:[0,1] neg_hi:[0,1]
	v_pk_add_f32 v[96:97], v[96:97], v[128:129] neg_lo:[0,1] neg_hi:[0,1]
	s_wait_dscnt 0x0
	v_dual_mul_f32 v128, v125, v117 :: v_dual_mul_f32 v130, v125, v114
	s_delay_alu instid0(VALU_DEP_1) | instskip(NEXT) | instid1(VALU_DEP_2)
	v_pk_fma_f32 v[128:129], v[124:125], v[100:101], v[128:129] op_sel_hi:[1,1,0] neg_lo:[0,0,1] neg_hi:[0,0,1]
	v_pk_fma_f32 v[124:125], v[124:125], v[100:101], v[130:131] op_sel:[1,0,0] op_sel_hi:[0,1,0]
	s_delay_alu instid0(VALU_DEP_1) | instskip(SKIP_1) | instid1(VALU_DEP_2)
	v_mov_b32_e32 v129, v125
	v_pk_mul_f32 v[124:125], v[126:127], v[116:117] op_sel:[0,1]
	v_pk_add_f32 v[58:59], v[58:59], v[128:129] neg_lo:[0,1] neg_hi:[0,1]
	s_delay_alu instid0(VALU_DEP_2) | instskip(SKIP_1) | instid1(VALU_DEP_1)
	v_pk_fma_f32 v[128:129], v[126:127], v[114:115], v[124:125] op_sel:[0,0,1] op_sel_hi:[1,1,0] neg_lo:[0,0,1] neg_hi:[0,0,1]
	v_pk_fma_f32 v[124:125], v[126:127], v[114:115], v[124:125] op_sel:[0,0,1] op_sel_hi:[1,0,0]
	v_mov_b32_e32 v129, v125
	ds_load_2addr_b64 v[124:127], v118 offset0:23 offset1:24
	v_pk_add_f32 v[60:61], v[60:61], v[128:129] neg_lo:[0,1] neg_hi:[0,1]
	s_wait_dscnt 0x0
	v_pk_mul_f32 v[128:129], v[124:125], v[116:117] op_sel:[0,1]
	s_delay_alu instid0(VALU_DEP_1) | instskip(SKIP_1) | instid1(VALU_DEP_1)
	v_pk_fma_f32 v[130:131], v[124:125], v[114:115], v[128:129] op_sel:[0,0,1] op_sel_hi:[1,1,0] neg_lo:[0,0,1] neg_hi:[0,0,1]
	v_pk_fma_f32 v[124:125], v[124:125], v[114:115], v[128:129] op_sel:[0,0,1] op_sel_hi:[1,0,0]
	v_mov_b32_e32 v131, v125
	v_pk_mul_f32 v[124:125], v[126:127], v[116:117] op_sel:[0,1]
	s_delay_alu instid0(VALU_DEP_2) | instskip(NEXT) | instid1(VALU_DEP_2)
	v_pk_add_f32 v[56:57], v[56:57], v[130:131] neg_lo:[0,1] neg_hi:[0,1]
	v_pk_fma_f32 v[128:129], v[126:127], v[114:115], v[124:125] op_sel:[0,0,1] op_sel_hi:[1,1,0] neg_lo:[0,0,1] neg_hi:[0,0,1]
	v_pk_fma_f32 v[124:125], v[126:127], v[114:115], v[124:125] op_sel:[0,0,1] op_sel_hi:[1,0,0]
	s_delay_alu instid0(VALU_DEP_1) | instskip(SKIP_4) | instid1(VALU_DEP_1)
	v_mov_b32_e32 v129, v125
	ds_load_2addr_b64 v[124:127], v118 offset0:25 offset1:26
	v_pk_add_f32 v[94:95], v[94:95], v[128:129] neg_lo:[0,1] neg_hi:[0,1]
	s_wait_dscnt 0x0
	v_pk_mul_f32 v[128:129], v[124:125], v[116:117] op_sel:[0,1]
	v_pk_fma_f32 v[130:131], v[124:125], v[114:115], v[128:129] op_sel:[0,0,1] op_sel_hi:[1,1,0] neg_lo:[0,0,1] neg_hi:[0,0,1]
	v_pk_fma_f32 v[124:125], v[124:125], v[114:115], v[128:129] op_sel:[0,0,1] op_sel_hi:[1,0,0]
	v_dual_mul_f32 v128, v127, v117 :: v_dual_mov_b32 v124, v127
	s_delay_alu instid0(VALU_DEP_2) | instskip(NEXT) | instid1(VALU_DEP_2)
	v_dual_mov_b32 v131, v125 :: v_dual_mov_b32 v125, v126
	v_pk_fma_f32 v[128:129], v[126:127], v[100:101], v[128:129] op_sel_hi:[1,1,0] neg_lo:[0,0,1] neg_hi:[0,0,1]
	v_mul_f32_e32 v126, v127, v114
	s_delay_alu instid0(VALU_DEP_3) | instskip(NEXT) | instid1(VALU_DEP_2)
	v_pk_add_f32 v[52:53], v[52:53], v[130:131] neg_lo:[0,1] neg_hi:[0,1]
	v_pk_fma_f32 v[124:125], v[124:125], v[100:101], v[126:127] op_sel_hi:[1,1,0]
	s_delay_alu instid0(VALU_DEP_1) | instskip(SKIP_4) | instid1(VALU_DEP_1)
	v_mov_b32_e32 v129, v125
	ds_load_2addr_b64 v[124:127], v118 offset0:27 offset1:28
	v_pk_add_f32 v[54:55], v[54:55], v[128:129] neg_lo:[0,1] neg_hi:[0,1]
	s_wait_dscnt 0x0
	v_pk_mul_f32 v[128:129], v[124:125], v[116:117] op_sel:[0,1]
	v_pk_fma_f32 v[130:131], v[124:125], v[114:115], v[128:129] op_sel:[0,0,1] op_sel_hi:[1,1,0] neg_lo:[0,0,1] neg_hi:[0,0,1]
	v_pk_fma_f32 v[124:125], v[124:125], v[114:115], v[128:129] op_sel:[0,0,1] op_sel_hi:[1,0,0]
	s_delay_alu instid0(VALU_DEP_1) | instskip(SKIP_1) | instid1(VALU_DEP_1)
	v_mov_b32_e32 v131, v125
	v_pk_mul_f32 v[124:125], v[126:127], v[116:117] op_sel:[0,1]
	v_pk_fma_f32 v[128:129], v[126:127], v[114:115], v[124:125] op_sel:[0,0,1] op_sel_hi:[1,1,0] neg_lo:[0,0,1] neg_hi:[0,0,1]
	v_pk_fma_f32 v[124:125], v[126:127], v[114:115], v[124:125] op_sel:[0,0,1] op_sel_hi:[1,0,0]
	s_delay_alu instid0(VALU_DEP_1)
	v_mov_b32_e32 v129, v125
	ds_load_2addr_b64 v[124:127], v118 offset0:29 offset1:30
	v_pk_add_f32 v[50:51], v[50:51], v[130:131] neg_lo:[0,1] neg_hi:[0,1]
	v_pk_add_f32 v[90:91], v[90:91], v[128:129] neg_lo:[0,1] neg_hi:[0,1]
	s_wait_dscnt 0x0
	v_pk_mul_f32 v[128:129], v[124:125], v[116:117] op_sel:[0,1]
	s_delay_alu instid0(VALU_DEP_1) | instskip(SKIP_1) | instid1(VALU_DEP_1)
	v_pk_fma_f32 v[130:131], v[124:125], v[114:115], v[128:129] op_sel:[0,0,1] op_sel_hi:[1,1,0] neg_lo:[0,0,1] neg_hi:[0,0,1]
	v_pk_fma_f32 v[124:125], v[124:125], v[114:115], v[128:129] op_sel:[0,0,1] op_sel_hi:[1,0,0]
	v_mov_b32_e32 v131, v125
	v_pk_mul_f32 v[124:125], v[126:127], v[116:117] op_sel:[0,1]
	s_delay_alu instid0(VALU_DEP_1) | instskip(SKIP_1) | instid1(VALU_DEP_1)
	v_pk_fma_f32 v[128:129], v[126:127], v[114:115], v[124:125] op_sel:[0,0,1] op_sel_hi:[1,1,0] neg_lo:[0,0,1] neg_hi:[0,0,1]
	v_pk_fma_f32 v[124:125], v[126:127], v[114:115], v[124:125] op_sel:[0,0,1] op_sel_hi:[1,0,0]
	v_mov_b32_e32 v129, v125
	ds_load_2addr_b64 v[124:127], v118 offset0:31 offset1:32
	v_pk_add_f32 v[38:39], v[38:39], v[130:131] neg_lo:[0,1] neg_hi:[0,1]
	v_pk_add_f32 v[40:41], v[40:41], v[128:129] neg_lo:[0,1] neg_hi:[0,1]
	s_wait_dscnt 0x0
	v_dual_mul_f32 v128, v125, v117 :: v_dual_mul_f32 v130, v125, v114
	s_delay_alu instid0(VALU_DEP_1) | instskip(NEXT) | instid1(VALU_DEP_2)
	v_pk_fma_f32 v[128:129], v[124:125], v[100:101], v[128:129] op_sel_hi:[1,1,0] neg_lo:[0,0,1] neg_hi:[0,0,1]
	v_pk_fma_f32 v[124:125], v[124:125], v[100:101], v[130:131] op_sel:[1,0,0] op_sel_hi:[0,1,0]
	s_delay_alu instid0(VALU_DEP_1) | instskip(SKIP_1) | instid1(VALU_DEP_2)
	v_mov_b32_e32 v129, v125
	v_pk_mul_f32 v[124:125], v[126:127], v[116:117] op_sel:[0,1]
	v_pk_add_f32 v[36:37], v[36:37], v[128:129] neg_lo:[0,1] neg_hi:[0,1]
	s_delay_alu instid0(VALU_DEP_2) | instskip(SKIP_1) | instid1(VALU_DEP_1)
	v_pk_fma_f32 v[128:129], v[126:127], v[114:115], v[124:125] op_sel:[0,0,1] op_sel_hi:[1,1,0] neg_lo:[0,0,1] neg_hi:[0,0,1]
	v_pk_fma_f32 v[124:125], v[126:127], v[114:115], v[124:125] op_sel:[0,0,1] op_sel_hi:[1,0,0]
	v_mov_b32_e32 v129, v125
	ds_load_2addr_b64 v[124:127], v118 offset0:33 offset1:34
	v_pk_add_f32 v[88:89], v[88:89], v[128:129] neg_lo:[0,1] neg_hi:[0,1]
	s_wait_dscnt 0x0
	v_pk_mul_f32 v[128:129], v[124:125], v[116:117] op_sel:[0,1]
	s_delay_alu instid0(VALU_DEP_1) | instskip(SKIP_1) | instid1(VALU_DEP_1)
	v_pk_fma_f32 v[130:131], v[124:125], v[114:115], v[128:129] op_sel:[0,0,1] op_sel_hi:[1,1,0] neg_lo:[0,0,1] neg_hi:[0,0,1]
	v_pk_fma_f32 v[124:125], v[124:125], v[114:115], v[128:129] op_sel:[0,0,1] op_sel_hi:[1,0,0]
	v_mov_b32_e32 v131, v125
	v_pk_mul_f32 v[124:125], v[126:127], v[116:117] op_sel:[0,1]
	s_delay_alu instid0(VALU_DEP_2) | instskip(NEXT) | instid1(VALU_DEP_2)
	v_pk_add_f32 v[32:33], v[32:33], v[130:131] neg_lo:[0,1] neg_hi:[0,1]
	v_pk_fma_f32 v[128:129], v[126:127], v[114:115], v[124:125] op_sel:[0,0,1] op_sel_hi:[1,1,0] neg_lo:[0,0,1] neg_hi:[0,0,1]
	v_pk_fma_f32 v[124:125], v[126:127], v[114:115], v[124:125] op_sel:[0,0,1] op_sel_hi:[1,0,0]
	s_delay_alu instid0(VALU_DEP_1) | instskip(SKIP_4) | instid1(VALU_DEP_1)
	v_mov_b32_e32 v129, v125
	ds_load_2addr_b64 v[124:127], v118 offset0:35 offset1:36
	v_pk_add_f32 v[34:35], v[34:35], v[128:129] neg_lo:[0,1] neg_hi:[0,1]
	s_wait_dscnt 0x0
	v_pk_mul_f32 v[128:129], v[124:125], v[116:117] op_sel:[0,1]
	v_pk_fma_f32 v[130:131], v[124:125], v[114:115], v[128:129] op_sel:[0,0,1] op_sel_hi:[1,1,0] neg_lo:[0,0,1] neg_hi:[0,0,1]
	v_pk_fma_f32 v[124:125], v[124:125], v[114:115], v[128:129] op_sel:[0,0,1] op_sel_hi:[1,0,0]
	v_dual_mul_f32 v128, v127, v117 :: v_dual_mov_b32 v124, v127
	s_delay_alu instid0(VALU_DEP_2) | instskip(NEXT) | instid1(VALU_DEP_2)
	v_dual_mov_b32 v131, v125 :: v_dual_mov_b32 v125, v126
	v_pk_fma_f32 v[128:129], v[126:127], v[100:101], v[128:129] op_sel_hi:[1,1,0] neg_lo:[0,0,1] neg_hi:[0,0,1]
	v_mul_f32_e32 v126, v127, v114
	s_delay_alu instid0(VALU_DEP_3) | instskip(NEXT) | instid1(VALU_DEP_2)
	v_pk_add_f32 v[30:31], v[30:31], v[130:131] neg_lo:[0,1] neg_hi:[0,1]
	v_pk_fma_f32 v[124:125], v[124:125], v[100:101], v[126:127] op_sel_hi:[1,1,0]
	s_delay_alu instid0(VALU_DEP_1) | instskip(SKIP_4) | instid1(VALU_DEP_1)
	v_mov_b32_e32 v129, v125
	ds_load_2addr_b64 v[124:127], v118 offset0:37 offset1:38
	v_pk_add_f32 v[86:87], v[86:87], v[128:129] neg_lo:[0,1] neg_hi:[0,1]
	s_wait_dscnt 0x0
	v_pk_mul_f32 v[128:129], v[124:125], v[116:117] op_sel:[0,1]
	v_pk_fma_f32 v[130:131], v[124:125], v[114:115], v[128:129] op_sel:[0,0,1] op_sel_hi:[1,1,0] neg_lo:[0,0,1] neg_hi:[0,0,1]
	v_pk_fma_f32 v[124:125], v[124:125], v[114:115], v[128:129] op_sel:[0,0,1] op_sel_hi:[1,0,0]
	s_delay_alu instid0(VALU_DEP_1) | instskip(SKIP_1) | instid1(VALU_DEP_1)
	v_mov_b32_e32 v131, v125
	v_pk_mul_f32 v[124:125], v[126:127], v[116:117] op_sel:[0,1]
	v_pk_fma_f32 v[128:129], v[126:127], v[114:115], v[124:125] op_sel:[0,0,1] op_sel_hi:[1,1,0] neg_lo:[0,0,1] neg_hi:[0,0,1]
	v_pk_fma_f32 v[124:125], v[126:127], v[114:115], v[124:125] op_sel:[0,0,1] op_sel_hi:[1,0,0]
	s_delay_alu instid0(VALU_DEP_1)
	v_mov_b32_e32 v129, v125
	ds_load_2addr_b64 v[124:127], v118 offset0:39 offset1:40
	v_pk_add_f32 v[24:25], v[24:25], v[130:131] neg_lo:[0,1] neg_hi:[0,1]
	v_pk_add_f32 v[26:27], v[26:27], v[128:129] neg_lo:[0,1] neg_hi:[0,1]
	s_wait_dscnt 0x0
	v_pk_mul_f32 v[128:129], v[124:125], v[116:117] op_sel:[0,1]
	s_delay_alu instid0(VALU_DEP_1) | instskip(SKIP_1) | instid1(VALU_DEP_1)
	v_pk_fma_f32 v[130:131], v[124:125], v[114:115], v[128:129] op_sel:[0,0,1] op_sel_hi:[1,1,0] neg_lo:[0,0,1] neg_hi:[0,0,1]
	v_pk_fma_f32 v[124:125], v[124:125], v[114:115], v[128:129] op_sel:[0,0,1] op_sel_hi:[1,0,0]
	v_mov_b32_e32 v131, v125
	v_pk_mul_f32 v[124:125], v[126:127], v[116:117] op_sel:[0,1]
	s_delay_alu instid0(VALU_DEP_1) | instskip(SKIP_1) | instid1(VALU_DEP_1)
	v_pk_fma_f32 v[128:129], v[126:127], v[114:115], v[124:125] op_sel:[0,0,1] op_sel_hi:[1,1,0] neg_lo:[0,0,1] neg_hi:[0,0,1]
	v_pk_fma_f32 v[124:125], v[126:127], v[114:115], v[124:125] op_sel:[0,0,1] op_sel_hi:[1,0,0]
	v_mov_b32_e32 v129, v125
	ds_load_2addr_b64 v[124:127], v118 offset0:41 offset1:42
	v_pk_add_f32 v[22:23], v[22:23], v[130:131] neg_lo:[0,1] neg_hi:[0,1]
	v_pk_add_f32 v[84:85], v[84:85], v[128:129] neg_lo:[0,1] neg_hi:[0,1]
	s_wait_dscnt 0x0
	v_dual_mul_f32 v128, v125, v117 :: v_dual_mul_f32 v130, v125, v114
	s_delay_alu instid0(VALU_DEP_1) | instskip(NEXT) | instid1(VALU_DEP_2)
	v_pk_fma_f32 v[128:129], v[124:125], v[100:101], v[128:129] op_sel_hi:[1,1,0] neg_lo:[0,0,1] neg_hi:[0,0,1]
	v_pk_fma_f32 v[124:125], v[124:125], v[100:101], v[130:131] op_sel:[1,0,0] op_sel_hi:[0,1,0]
	s_delay_alu instid0(VALU_DEP_1) | instskip(SKIP_1) | instid1(VALU_DEP_2)
	v_mov_b32_e32 v129, v125
	v_pk_mul_f32 v[124:125], v[126:127], v[116:117] op_sel:[0,1]
	v_pk_add_f32 v[18:19], v[18:19], v[128:129] neg_lo:[0,1] neg_hi:[0,1]
	s_delay_alu instid0(VALU_DEP_2) | instskip(SKIP_1) | instid1(VALU_DEP_1)
	v_pk_fma_f32 v[128:129], v[126:127], v[114:115], v[124:125] op_sel:[0,0,1] op_sel_hi:[1,1,0] neg_lo:[0,0,1] neg_hi:[0,0,1]
	v_pk_fma_f32 v[124:125], v[126:127], v[114:115], v[124:125] op_sel:[0,0,1] op_sel_hi:[1,0,0]
	v_mov_b32_e32 v129, v125
	ds_load_2addr_b64 v[124:127], v118 offset0:43 offset1:44
	v_pk_add_f32 v[20:21], v[20:21], v[128:129] neg_lo:[0,1] neg_hi:[0,1]
	s_wait_dscnt 0x0
	v_pk_mul_f32 v[128:129], v[124:125], v[116:117] op_sel:[0,1]
	s_delay_alu instid0(VALU_DEP_1) | instskip(SKIP_1) | instid1(VALU_DEP_1)
	v_pk_fma_f32 v[130:131], v[124:125], v[114:115], v[128:129] op_sel:[0,0,1] op_sel_hi:[1,1,0] neg_lo:[0,0,1] neg_hi:[0,0,1]
	v_pk_fma_f32 v[124:125], v[124:125], v[114:115], v[128:129] op_sel:[0,0,1] op_sel_hi:[1,0,0]
	v_mov_b32_e32 v131, v125
	v_pk_mul_f32 v[124:125], v[126:127], v[116:117] op_sel:[0,1]
	s_delay_alu instid0(VALU_DEP_2) | instskip(NEXT) | instid1(VALU_DEP_2)
	v_pk_add_f32 v[16:17], v[16:17], v[130:131] neg_lo:[0,1] neg_hi:[0,1]
	v_pk_fma_f32 v[128:129], v[126:127], v[114:115], v[124:125] op_sel:[0,0,1] op_sel_hi:[1,1,0] neg_lo:[0,0,1] neg_hi:[0,0,1]
	v_pk_fma_f32 v[124:125], v[126:127], v[114:115], v[124:125] op_sel:[0,0,1] op_sel_hi:[1,0,0]
	s_delay_alu instid0(VALU_DEP_1) | instskip(SKIP_4) | instid1(VALU_DEP_1)
	v_mov_b32_e32 v129, v125
	ds_load_2addr_b64 v[124:127], v118 offset0:45 offset1:46
	v_pk_add_f32 v[82:83], v[82:83], v[128:129] neg_lo:[0,1] neg_hi:[0,1]
	s_wait_dscnt 0x0
	v_pk_mul_f32 v[128:129], v[124:125], v[116:117] op_sel:[0,1]
	v_pk_fma_f32 v[130:131], v[124:125], v[114:115], v[128:129] op_sel:[0,0,1] op_sel_hi:[1,1,0] neg_lo:[0,0,1] neg_hi:[0,0,1]
	v_pk_fma_f32 v[124:125], v[124:125], v[114:115], v[128:129] op_sel:[0,0,1] op_sel_hi:[1,0,0]
	v_dual_mul_f32 v128, v127, v117 :: v_dual_mov_b32 v124, v127
	s_delay_alu instid0(VALU_DEP_2) | instskip(NEXT) | instid1(VALU_DEP_2)
	v_dual_mov_b32 v131, v125 :: v_dual_mov_b32 v125, v126
	v_pk_fma_f32 v[128:129], v[126:127], v[100:101], v[128:129] op_sel_hi:[1,1,0] neg_lo:[0,0,1] neg_hi:[0,0,1]
	v_mul_f32_e32 v126, v127, v114
	s_delay_alu instid0(VALU_DEP_3) | instskip(NEXT) | instid1(VALU_DEP_2)
	v_pk_add_f32 v[10:11], v[10:11], v[130:131] neg_lo:[0,1] neg_hi:[0,1]
	v_pk_fma_f32 v[124:125], v[124:125], v[100:101], v[126:127] op_sel_hi:[1,1,0]
	s_delay_alu instid0(VALU_DEP_1) | instskip(SKIP_4) | instid1(VALU_DEP_1)
	v_mov_b32_e32 v129, v125
	ds_load_2addr_b64 v[124:127], v118 offset0:47 offset1:48
	v_pk_add_f32 v[12:13], v[12:13], v[128:129] neg_lo:[0,1] neg_hi:[0,1]
	s_wait_dscnt 0x0
	v_pk_mul_f32 v[128:129], v[124:125], v[116:117] op_sel:[0,1]
	v_pk_fma_f32 v[130:131], v[124:125], v[114:115], v[128:129] op_sel:[0,0,1] op_sel_hi:[1,1,0] neg_lo:[0,0,1] neg_hi:[0,0,1]
	v_pk_fma_f32 v[124:125], v[124:125], v[114:115], v[128:129] op_sel:[0,0,1] op_sel_hi:[1,0,0]
	s_delay_alu instid0(VALU_DEP_1) | instskip(SKIP_1) | instid1(VALU_DEP_1)
	v_mov_b32_e32 v131, v125
	v_pk_mul_f32 v[124:125], v[126:127], v[116:117] op_sel:[0,1]
	v_pk_fma_f32 v[128:129], v[126:127], v[114:115], v[124:125] op_sel:[0,0,1] op_sel_hi:[1,1,0] neg_lo:[0,0,1] neg_hi:[0,0,1]
	v_pk_fma_f32 v[124:125], v[126:127], v[114:115], v[124:125] op_sel:[0,0,1] op_sel_hi:[1,0,0]
	s_delay_alu instid0(VALU_DEP_1)
	v_mov_b32_e32 v129, v125
	ds_load_2addr_b64 v[124:127], v118 offset0:49 offset1:50
	v_pk_add_f32 v[8:9], v[8:9], v[130:131] neg_lo:[0,1] neg_hi:[0,1]
	v_pk_add_f32 v[66:67], v[66:67], v[128:129] neg_lo:[0,1] neg_hi:[0,1]
	s_wait_dscnt 0x0
	v_pk_mul_f32 v[128:129], v[124:125], v[116:117] op_sel:[0,1]
	s_delay_alu instid0(VALU_DEP_1) | instskip(SKIP_1) | instid1(VALU_DEP_1)
	v_pk_fma_f32 v[130:131], v[124:125], v[114:115], v[128:129] op_sel:[0,0,1] op_sel_hi:[1,1,0] neg_lo:[0,0,1] neg_hi:[0,0,1]
	v_pk_fma_f32 v[124:125], v[124:125], v[114:115], v[128:129] op_sel:[0,0,1] op_sel_hi:[1,0,0]
	v_mov_b32_e32 v131, v125
	v_pk_mul_f32 v[124:125], v[126:127], v[116:117] op_sel:[0,1]
	s_delay_alu instid0(VALU_DEP_1) | instskip(SKIP_1) | instid1(VALU_DEP_1)
	v_pk_fma_f32 v[128:129], v[126:127], v[114:115], v[124:125] op_sel:[0,0,1] op_sel_hi:[1,1,0] neg_lo:[0,0,1] neg_hi:[0,0,1]
	v_pk_fma_f32 v[124:125], v[126:127], v[114:115], v[124:125] op_sel:[0,0,1] op_sel_hi:[1,0,0]
	v_mov_b32_e32 v129, v125
	ds_load_2addr_b64 v[124:127], v118 offset0:51 offset1:52
	v_pk_add_f32 v[6:7], v[6:7], v[130:131] neg_lo:[0,1] neg_hi:[0,1]
	v_pk_add_f32 v[46:47], v[46:47], v[128:129] neg_lo:[0,1] neg_hi:[0,1]
	s_wait_dscnt 0x0
	v_dual_mul_f32 v128, v125, v117 :: v_dual_mul_f32 v130, v125, v114
	s_delay_alu instid0(VALU_DEP_1) | instskip(NEXT) | instid1(VALU_DEP_2)
	v_pk_fma_f32 v[128:129], v[124:125], v[100:101], v[128:129] op_sel_hi:[1,1,0] neg_lo:[0,0,1] neg_hi:[0,0,1]
	v_pk_fma_f32 v[124:125], v[124:125], v[100:101], v[130:131] op_sel:[1,0,0] op_sel_hi:[0,1,0]
	s_delay_alu instid0(VALU_DEP_1) | instskip(SKIP_1) | instid1(VALU_DEP_2)
	v_mov_b32_e32 v129, v125
	v_pk_mul_f32 v[124:125], v[126:127], v[116:117] op_sel:[0,1]
	v_pk_add_f32 v[28:29], v[28:29], v[128:129] neg_lo:[0,1] neg_hi:[0,1]
	s_delay_alu instid0(VALU_DEP_2) | instskip(SKIP_1) | instid1(VALU_DEP_1)
	v_pk_fma_f32 v[128:129], v[126:127], v[114:115], v[124:125] op_sel:[0,0,1] op_sel_hi:[1,1,0] neg_lo:[0,0,1] neg_hi:[0,0,1]
	v_pk_fma_f32 v[124:125], v[126:127], v[114:115], v[124:125] op_sel:[0,0,1] op_sel_hi:[1,0,0]
	v_mov_b32_e32 v129, v125
	ds_load_b64 v[124:125], v118 offset:424
	v_pk_add_f32 v[14:15], v[14:15], v[128:129] neg_lo:[0,1] neg_hi:[0,1]
	s_wait_dscnt 0x0
	v_pk_mul_f32 v[116:117], v[124:125], v[116:117] op_sel:[0,1]
	s_delay_alu instid0(VALU_DEP_1) | instskip(SKIP_1) | instid1(VALU_DEP_1)
	v_pk_fma_f32 v[126:127], v[124:125], v[114:115], v[116:117] op_sel:[0,0,1] op_sel_hi:[1,1,0] neg_lo:[0,0,1] neg_hi:[0,0,1]
	v_pk_fma_f32 v[114:115], v[124:125], v[114:115], v[116:117] op_sel:[0,0,1] op_sel_hi:[1,0,0]
	v_mov_b32_e32 v127, v115
	s_delay_alu instid0(VALU_DEP_1)
	v_pk_add_f32 v[112:113], v[112:113], v[126:127] neg_lo:[0,1] neg_hi:[0,1]
.LBB106_272:
	s_or_b32 exec_lo, exec_lo, s0
	v_lshl_add_u32 v114, v122, 3, v118
	s_barrier_signal -1
	s_barrier_wait -1
	ds_store_b64 v114, v[72:73]
	s_wait_dscnt 0x0
	s_barrier_signal -1
	s_barrier_wait -1
	ds_load_b64 v[116:117], v118 offset:104
	v_mov_b32_e32 v114, 13
	s_cmp_lt_i32 s18, 15
	s_cbranch_scc1 .LBB106_275
; %bb.273:
	v_add3_u32 v115, v119, 0, 0x70
	v_mov_b32_e32 v114, 13
	s_mov_b32 s0, 14
.LBB106_274:                            ; =>This Inner Loop Header: Depth=1
	ds_load_b64 v[124:125], v115
	s_wait_dscnt 0x1
	v_cmp_gt_f32_e32 vcc_lo, 0, v116
	v_cndmask_b32_e64 v126, v116, -v116, vcc_lo
	v_cmp_gt_f32_e32 vcc_lo, 0, v117
	v_cndmask_b32_e64 v128, v117, -v117, vcc_lo
	s_wait_dscnt 0x0
	v_cmp_gt_f32_e32 vcc_lo, 0, v124
	v_cndmask_b32_e64 v127, v124, -v124, vcc_lo
	v_cmp_gt_f32_e32 vcc_lo, 0, v125
	v_cndmask_b32_e64 v129, v125, -v125, vcc_lo
	s_delay_alu instid0(VALU_DEP_1) | instskip(NEXT) | instid1(VALU_DEP_1)
	v_pk_add_f32 v[126:127], v[126:127], v[128:129]
	v_cmp_lt_f32_e32 vcc_lo, v126, v127
	v_dual_add_nc_u32 v115, 8, v115 :: v_dual_cndmask_b32 v117, v117, v125, vcc_lo
	v_cndmask_b32_e32 v116, v116, v124, vcc_lo
	v_cndmask_b32_e64 v114, v114, s0, vcc_lo
	s_add_co_i32 s0, s0, 1
	s_delay_alu instid0(SALU_CYCLE_1)
	s_cmp_lg_u32 s18, s0
	s_cbranch_scc1 .LBB106_274
.LBB106_275:
	s_wait_dscnt 0x0
	v_cmp_eq_f32_e32 vcc_lo, 0, v116
	v_cmp_eq_f32_e64 s0, 0, v117
	s_and_b32 s0, vcc_lo, s0
	s_delay_alu instid0(SALU_CYCLE_1) | instskip(NEXT) | instid1(SALU_CYCLE_1)
	s_and_saveexec_b32 s1, s0
	s_xor_b32 s0, exec_lo, s1
; %bb.276:
	v_cmp_ne_u32_e32 vcc_lo, 0, v120
	v_cndmask_b32_e32 v120, 14, v120, vcc_lo
; %bb.277:
	s_and_not1_saveexec_b32 s0, s0
	s_cbranch_execz .LBB106_283
; %bb.278:
	v_cmp_ngt_f32_e64 s1, |v116|, |v117|
	s_and_saveexec_b32 s12, s1
	s_delay_alu instid0(SALU_CYCLE_1)
	s_xor_b32 s1, exec_lo, s12
	s_cbranch_execz .LBB106_280
; %bb.279:
	v_div_scale_f32 v115, null, v117, v117, v116
	v_div_scale_f32 v125, vcc_lo, v116, v117, v116
	s_delay_alu instid0(VALU_DEP_2) | instskip(SKIP_1) | instid1(TRANS32_DEP_1)
	v_rcp_f32_e32 v123, v115
	v_nop
	v_fma_f32 v124, -v115, v123, 1.0
	s_delay_alu instid0(VALU_DEP_1) | instskip(NEXT) | instid1(VALU_DEP_1)
	v_fmac_f32_e32 v123, v124, v123
	v_mul_f32_e32 v124, v125, v123
	s_delay_alu instid0(VALU_DEP_1) | instskip(NEXT) | instid1(VALU_DEP_1)
	v_fma_f32 v126, -v115, v124, v125
	v_fmac_f32_e32 v124, v126, v123
	s_delay_alu instid0(VALU_DEP_1) | instskip(NEXT) | instid1(VALU_DEP_1)
	v_fma_f32 v115, -v115, v124, v125
	v_div_fmas_f32 v115, v115, v123, v124
	s_delay_alu instid0(VALU_DEP_1) | instskip(NEXT) | instid1(VALU_DEP_1)
	v_div_fixup_f32 v115, v115, v117, v116
	v_fmac_f32_e32 v117, v116, v115
	s_delay_alu instid0(VALU_DEP_1) | instskip(SKIP_1) | instid1(VALU_DEP_2)
	v_div_scale_f32 v116, null, v117, v117, 1.0
	v_div_scale_f32 v125, vcc_lo, 1.0, v117, 1.0
	v_rcp_f32_e32 v123, v116
	v_nop
	s_delay_alu instid0(TRANS32_DEP_1) | instskip(NEXT) | instid1(VALU_DEP_1)
	v_fma_f32 v124, -v116, v123, 1.0
	v_fmac_f32_e32 v123, v124, v123
	s_delay_alu instid0(VALU_DEP_1) | instskip(NEXT) | instid1(VALU_DEP_1)
	v_mul_f32_e32 v124, v125, v123
	v_fma_f32 v126, -v116, v124, v125
	s_delay_alu instid0(VALU_DEP_1) | instskip(NEXT) | instid1(VALU_DEP_1)
	v_fmac_f32_e32 v124, v126, v123
	v_fma_f32 v116, -v116, v124, v125
	s_delay_alu instid0(VALU_DEP_1) | instskip(NEXT) | instid1(VALU_DEP_1)
	v_div_fmas_f32 v116, v116, v123, v124
	v_div_fixup_f32 v117, v116, v117, 1.0
	s_delay_alu instid0(VALU_DEP_1)
	v_mul_f32_e32 v116, v115, v117
	v_xor_b32_e32 v117, 0x80000000, v117
.LBB106_280:
	s_and_not1_saveexec_b32 s1, s1
	s_cbranch_execz .LBB106_282
; %bb.281:
	s_delay_alu instid0(VALU_DEP_1) | instskip(SKIP_1) | instid1(VALU_DEP_2)
	v_div_scale_f32 v115, null, v116, v116, v117
	v_div_scale_f32 v125, vcc_lo, v117, v116, v117
	v_rcp_f32_e32 v123, v115
	v_nop
	s_delay_alu instid0(TRANS32_DEP_1) | instskip(NEXT) | instid1(VALU_DEP_1)
	v_fma_f32 v124, -v115, v123, 1.0
	v_fmac_f32_e32 v123, v124, v123
	s_delay_alu instid0(VALU_DEP_1) | instskip(NEXT) | instid1(VALU_DEP_1)
	v_mul_f32_e32 v124, v125, v123
	v_fma_f32 v126, -v115, v124, v125
	s_delay_alu instid0(VALU_DEP_1) | instskip(NEXT) | instid1(VALU_DEP_1)
	v_fmac_f32_e32 v124, v126, v123
	v_fma_f32 v115, -v115, v124, v125
	s_delay_alu instid0(VALU_DEP_1) | instskip(NEXT) | instid1(VALU_DEP_1)
	v_div_fmas_f32 v115, v115, v123, v124
	v_div_fixup_f32 v115, v115, v116, v117
	s_delay_alu instid0(VALU_DEP_1) | instskip(NEXT) | instid1(VALU_DEP_1)
	v_fmac_f32_e32 v116, v117, v115
	v_div_scale_f32 v117, null, v116, v116, 1.0
	s_delay_alu instid0(VALU_DEP_1) | instskip(SKIP_1) | instid1(TRANS32_DEP_1)
	v_rcp_f32_e32 v123, v117
	v_nop
	v_fma_f32 v124, -v117, v123, 1.0
	s_delay_alu instid0(VALU_DEP_1) | instskip(SKIP_1) | instid1(VALU_DEP_1)
	v_fmac_f32_e32 v123, v124, v123
	v_div_scale_f32 v124, vcc_lo, 1.0, v116, 1.0
	v_mul_f32_e32 v125, v124, v123
	s_delay_alu instid0(VALU_DEP_1) | instskip(NEXT) | instid1(VALU_DEP_1)
	v_fma_f32 v126, -v117, v125, v124
	v_fmac_f32_e32 v125, v126, v123
	s_delay_alu instid0(VALU_DEP_1) | instskip(NEXT) | instid1(VALU_DEP_1)
	v_fma_f32 v117, -v117, v125, v124
	v_div_fmas_f32 v117, v117, v123, v125
	s_delay_alu instid0(VALU_DEP_1) | instskip(NEXT) | instid1(VALU_DEP_1)
	v_div_fixup_f32 v116, v117, v116, 1.0
	v_mul_f32_e64 v117, v115, -v116
.LBB106_282:
	s_or_b32 exec_lo, exec_lo, s1
.LBB106_283:
	s_delay_alu instid0(SALU_CYCLE_1) | instskip(NEXT) | instid1(SALU_CYCLE_1)
	s_or_b32 exec_lo, exec_lo, s0
	s_mov_b32 s0, exec_lo
	v_cmpx_ne_u32_e64 v122, v114
	s_xor_b32 s0, exec_lo, s0
	s_cbranch_execz .LBB106_289
; %bb.284:
	s_mov_b32 s1, exec_lo
	v_cmpx_eq_u32_e32 13, v122
	s_cbranch_execz .LBB106_288
; %bb.285:
	v_cmp_ne_u32_e32 vcc_lo, 13, v114
	s_xor_b32 s12, s16, -1
	s_delay_alu instid0(SALU_CYCLE_1) | instskip(NEXT) | instid1(SALU_CYCLE_1)
	s_and_b32 s13, s12, vcc_lo
	s_and_saveexec_b32 s12, s13
	s_cbranch_execz .LBB106_287
; %bb.286:
	v_ashrrev_i32_e32 v115, 31, v114
	s_delay_alu instid0(VALU_DEP_1)
	v_lshl_add_u64 v[122:123], v[114:115], 2, v[4:5]
	s_clause 0x1
	global_load_b32 v115, v[122:123], off
	global_load_b32 v121, v[4:5], off offset:52
	s_wait_loadcnt 0x1
	global_store_b32 v[4:5], v115, off offset:52
	s_wait_loadcnt 0x0
	global_store_b32 v[122:123], v121, off
.LBB106_287:
	s_wait_xcnt 0x0
	s_or_b32 exec_lo, exec_lo, s12
	v_dual_mov_b32 v122, v114 :: v_dual_mov_b32 v121, v114
.LBB106_288:
	s_or_b32 exec_lo, exec_lo, s1
.LBB106_289:
	s_and_not1_saveexec_b32 s0, s0
	s_cbranch_execz .LBB106_291
; %bb.290:
	v_dual_mov_b32 v114, v74 :: v_dual_mov_b32 v115, v75
	v_dual_mov_b32 v122, v70 :: v_dual_mov_b32 v123, v71
	;; [unrolled: 1-line block ×8, first 2 shown]
	ds_store_2addr_b64 v118, v[114:115], v[122:123] offset0:14 offset1:15
	ds_store_2addr_b64 v118, v[124:125], v[126:127] offset0:16 offset1:17
	ds_store_2addr_b64 v118, v[128:129], v[130:131] offset0:18 offset1:19
	ds_store_2addr_b64 v118, v[132:133], v[134:135] offset0:20 offset1:21
	v_dual_mov_b32 v114, v60 :: v_dual_mov_b32 v115, v61
	v_dual_mov_b32 v122, v56 :: v_dual_mov_b32 v123, v57
	;; [unrolled: 1-line block ×12, first 2 shown]
	ds_store_2addr_b64 v118, v[114:115], v[122:123] offset0:22 offset1:23
	ds_store_2addr_b64 v118, v[124:125], v[126:127] offset0:24 offset1:25
	;; [unrolled: 1-line block ×6, first 2 shown]
	v_dual_mov_b32 v114, v34 :: v_dual_mov_b32 v115, v35
	v_dual_mov_b32 v122, v30 :: v_dual_mov_b32 v123, v31
	;; [unrolled: 1-line block ×12, first 2 shown]
	ds_store_2addr_b64 v118, v[114:115], v[122:123] offset0:34 offset1:35
	ds_store_2addr_b64 v118, v[124:125], v[126:127] offset0:36 offset1:37
	;; [unrolled: 1-line block ×6, first 2 shown]
	v_dual_mov_b32 v114, v12 :: v_dual_mov_b32 v115, v13
	v_dual_mov_b32 v124, v8 :: v_dual_mov_b32 v125, v9
	;; [unrolled: 1-line block ×7, first 2 shown]
	v_mov_b32_e32 v135, v15
	ds_store_2addr_b64 v118, v[114:115], v[124:125] offset0:46 offset1:47
	ds_store_2addr_b64 v118, v[126:127], v[128:129] offset0:48 offset1:49
	;; [unrolled: 1-line block ×4, first 2 shown]
.LBB106_291:
	s_or_b32 exec_lo, exec_lo, s0
	s_delay_alu instid0(SALU_CYCLE_1)
	s_mov_b32 s0, exec_lo
	s_wait_storecnt_dscnt 0x0
	s_barrier_signal -1
	s_barrier_wait -1
	v_cmpx_lt_i32_e32 13, v122
	s_cbranch_execz .LBB106_293
; %bb.292:
	v_pk_mul_f32 v[124:125], v[116:117], v[72:73] op_sel:[1,1] op_sel_hi:[0,1]
	s_delay_alu instid0(VALU_DEP_1)
	v_pk_fma_f32 v[114:115], v[116:117], v[72:73], v[124:125] op_sel_hi:[1,0,1] neg_lo:[0,0,1] neg_hi:[0,0,1]
	v_pk_fma_f32 v[116:117], v[116:117], v[72:73], v[124:125] op_sel_hi:[1,0,1]
	ds_load_2addr_b64 v[124:127], v118 offset0:14 offset1:15
	v_dual_mov_b32 v72, v114 :: v_dual_mov_b32 v73, v117
	s_wait_dscnt 0x0
	v_pk_mul_f32 v[128:129], v[124:125], v[116:117] op_sel:[0,1]
	s_delay_alu instid0(VALU_DEP_1) | instskip(SKIP_1) | instid1(VALU_DEP_1)
	v_pk_fma_f32 v[130:131], v[124:125], v[114:115], v[128:129] op_sel:[0,0,1] op_sel_hi:[1,1,0] neg_lo:[0,0,1] neg_hi:[0,0,1]
	v_pk_fma_f32 v[124:125], v[124:125], v[114:115], v[128:129] op_sel:[0,0,1] op_sel_hi:[1,0,0]
	v_mov_b32_e32 v131, v125
	v_pk_mul_f32 v[124:125], v[126:127], v[116:117] op_sel:[0,1]
	s_delay_alu instid0(VALU_DEP_1) | instskip(SKIP_1) | instid1(VALU_DEP_1)
	v_pk_fma_f32 v[128:129], v[126:127], v[114:115], v[124:125] op_sel:[0,0,1] op_sel_hi:[1,1,0] neg_lo:[0,0,1] neg_hi:[0,0,1]
	v_pk_fma_f32 v[124:125], v[126:127], v[114:115], v[124:125] op_sel:[0,0,1] op_sel_hi:[1,0,0]
	v_mov_b32_e32 v129, v125
	ds_load_2addr_b64 v[124:127], v118 offset0:16 offset1:17
	v_pk_add_f32 v[74:75], v[74:75], v[130:131] neg_lo:[0,1] neg_hi:[0,1]
	v_pk_add_f32 v[70:71], v[70:71], v[128:129] neg_lo:[0,1] neg_hi:[0,1]
	s_wait_dscnt 0x0
	v_pk_mul_f32 v[128:129], v[124:125], v[116:117] op_sel:[0,1]
	s_delay_alu instid0(VALU_DEP_1) | instskip(SKIP_2) | instid1(VALU_DEP_2)
	v_pk_fma_f32 v[130:131], v[124:125], v[114:115], v[128:129] op_sel:[0,0,1] op_sel_hi:[1,1,0] neg_lo:[0,0,1] neg_hi:[0,0,1]
	v_pk_fma_f32 v[124:125], v[124:125], v[114:115], v[128:129] op_sel:[0,0,1] op_sel_hi:[1,0,0]
	v_dual_mul_f32 v128, v127, v117 :: v_dual_mov_b32 v124, v127
	v_dual_mov_b32 v131, v125 :: v_dual_mov_b32 v125, v126
	s_delay_alu instid0(VALU_DEP_2) | instskip(SKIP_1) | instid1(VALU_DEP_3)
	v_pk_fma_f32 v[128:129], v[126:127], v[72:73], v[128:129] op_sel_hi:[1,1,0] neg_lo:[0,0,1] neg_hi:[0,0,1]
	v_mul_f32_e32 v126, v127, v114
	v_pk_add_f32 v[98:99], v[98:99], v[130:131] neg_lo:[0,1] neg_hi:[0,1]
	s_delay_alu instid0(VALU_DEP_2) | instskip(NEXT) | instid1(VALU_DEP_1)
	v_pk_fma_f32 v[124:125], v[124:125], v[72:73], v[126:127] op_sel_hi:[1,1,0]
	v_mov_b32_e32 v129, v125
	ds_load_2addr_b64 v[124:127], v118 offset0:18 offset1:19
	v_pk_add_f32 v[64:65], v[64:65], v[128:129] neg_lo:[0,1] neg_hi:[0,1]
	s_wait_dscnt 0x0
	v_pk_mul_f32 v[128:129], v[124:125], v[116:117] op_sel:[0,1]
	s_delay_alu instid0(VALU_DEP_1) | instskip(SKIP_1) | instid1(VALU_DEP_1)
	v_pk_fma_f32 v[130:131], v[124:125], v[114:115], v[128:129] op_sel:[0,0,1] op_sel_hi:[1,1,0] neg_lo:[0,0,1] neg_hi:[0,0,1]
	v_pk_fma_f32 v[124:125], v[124:125], v[114:115], v[128:129] op_sel:[0,0,1] op_sel_hi:[1,0,0]
	v_mov_b32_e32 v131, v125
	v_pk_mul_f32 v[124:125], v[126:127], v[116:117] op_sel:[0,1]
	s_delay_alu instid0(VALU_DEP_1) | instskip(SKIP_1) | instid1(VALU_DEP_1)
	v_pk_fma_f32 v[128:129], v[126:127], v[114:115], v[124:125] op_sel:[0,0,1] op_sel_hi:[1,1,0] neg_lo:[0,0,1] neg_hi:[0,0,1]
	v_pk_fma_f32 v[124:125], v[126:127], v[114:115], v[124:125] op_sel:[0,0,1] op_sel_hi:[1,0,0]
	v_mov_b32_e32 v129, v125
	ds_load_2addr_b64 v[124:127], v118 offset0:20 offset1:21
	v_pk_add_f32 v[68:69], v[68:69], v[130:131] neg_lo:[0,1] neg_hi:[0,1]
	v_pk_add_f32 v[62:63], v[62:63], v[128:129] neg_lo:[0,1] neg_hi:[0,1]
	s_wait_dscnt 0x0
	v_pk_mul_f32 v[128:129], v[124:125], v[116:117] op_sel:[0,1]
	s_delay_alu instid0(VALU_DEP_1) | instskip(SKIP_1) | instid1(VALU_DEP_1)
	v_pk_fma_f32 v[130:131], v[124:125], v[114:115], v[128:129] op_sel:[0,0,1] op_sel_hi:[1,1,0] neg_lo:[0,0,1] neg_hi:[0,0,1]
	v_pk_fma_f32 v[124:125], v[124:125], v[114:115], v[128:129] op_sel:[0,0,1] op_sel_hi:[1,0,0]
	v_mov_b32_e32 v131, v125
	v_pk_mul_f32 v[124:125], v[126:127], v[116:117] op_sel:[0,1]
	s_delay_alu instid0(VALU_DEP_1) | instskip(SKIP_1) | instid1(VALU_DEP_1)
	v_pk_fma_f32 v[128:129], v[126:127], v[114:115], v[124:125] op_sel:[0,0,1] op_sel_hi:[1,1,0] neg_lo:[0,0,1] neg_hi:[0,0,1]
	v_pk_fma_f32 v[124:125], v[126:127], v[114:115], v[124:125] op_sel:[0,0,1] op_sel_hi:[1,0,0]
	v_mov_b32_e32 v129, v125
	ds_load_2addr_b64 v[124:127], v118 offset0:22 offset1:23
	v_pk_add_f32 v[96:97], v[96:97], v[130:131] neg_lo:[0,1] neg_hi:[0,1]
	v_pk_add_f32 v[58:59], v[58:59], v[128:129] neg_lo:[0,1] neg_hi:[0,1]
	s_wait_dscnt 0x0
	v_dual_mul_f32 v128, v125, v117 :: v_dual_mul_f32 v130, v125, v114
	s_delay_alu instid0(VALU_DEP_1) | instskip(NEXT) | instid1(VALU_DEP_2)
	v_pk_fma_f32 v[128:129], v[124:125], v[72:73], v[128:129] op_sel_hi:[1,1,0] neg_lo:[0,0,1] neg_hi:[0,0,1]
	v_pk_fma_f32 v[124:125], v[124:125], v[72:73], v[130:131] op_sel:[1,0,0] op_sel_hi:[0,1,0]
	s_delay_alu instid0(VALU_DEP_1) | instskip(SKIP_1) | instid1(VALU_DEP_2)
	v_mov_b32_e32 v129, v125
	v_pk_mul_f32 v[124:125], v[126:127], v[116:117] op_sel:[0,1]
	v_pk_add_f32 v[60:61], v[60:61], v[128:129] neg_lo:[0,1] neg_hi:[0,1]
	s_delay_alu instid0(VALU_DEP_2) | instskip(SKIP_1) | instid1(VALU_DEP_1)
	v_pk_fma_f32 v[128:129], v[126:127], v[114:115], v[124:125] op_sel:[0,0,1] op_sel_hi:[1,1,0] neg_lo:[0,0,1] neg_hi:[0,0,1]
	v_pk_fma_f32 v[124:125], v[126:127], v[114:115], v[124:125] op_sel:[0,0,1] op_sel_hi:[1,0,0]
	v_mov_b32_e32 v129, v125
	ds_load_2addr_b64 v[124:127], v118 offset0:24 offset1:25
	v_pk_add_f32 v[56:57], v[56:57], v[128:129] neg_lo:[0,1] neg_hi:[0,1]
	s_wait_dscnt 0x0
	v_pk_mul_f32 v[128:129], v[124:125], v[116:117] op_sel:[0,1]
	s_delay_alu instid0(VALU_DEP_1) | instskip(SKIP_1) | instid1(VALU_DEP_1)
	v_pk_fma_f32 v[130:131], v[124:125], v[114:115], v[128:129] op_sel:[0,0,1] op_sel_hi:[1,1,0] neg_lo:[0,0,1] neg_hi:[0,0,1]
	v_pk_fma_f32 v[124:125], v[124:125], v[114:115], v[128:129] op_sel:[0,0,1] op_sel_hi:[1,0,0]
	v_mov_b32_e32 v131, v125
	v_pk_mul_f32 v[124:125], v[126:127], v[116:117] op_sel:[0,1]
	s_delay_alu instid0(VALU_DEP_2) | instskip(NEXT) | instid1(VALU_DEP_2)
	v_pk_add_f32 v[94:95], v[94:95], v[130:131] neg_lo:[0,1] neg_hi:[0,1]
	v_pk_fma_f32 v[128:129], v[126:127], v[114:115], v[124:125] op_sel:[0,0,1] op_sel_hi:[1,1,0] neg_lo:[0,0,1] neg_hi:[0,0,1]
	v_pk_fma_f32 v[124:125], v[126:127], v[114:115], v[124:125] op_sel:[0,0,1] op_sel_hi:[1,0,0]
	s_delay_alu instid0(VALU_DEP_1) | instskip(SKIP_4) | instid1(VALU_DEP_1)
	v_mov_b32_e32 v129, v125
	ds_load_2addr_b64 v[124:127], v118 offset0:26 offset1:27
	v_pk_add_f32 v[52:53], v[52:53], v[128:129] neg_lo:[0,1] neg_hi:[0,1]
	s_wait_dscnt 0x0
	v_pk_mul_f32 v[128:129], v[124:125], v[116:117] op_sel:[0,1]
	v_pk_fma_f32 v[130:131], v[124:125], v[114:115], v[128:129] op_sel:[0,0,1] op_sel_hi:[1,1,0] neg_lo:[0,0,1] neg_hi:[0,0,1]
	v_pk_fma_f32 v[124:125], v[124:125], v[114:115], v[128:129] op_sel:[0,0,1] op_sel_hi:[1,0,0]
	v_dual_mul_f32 v128, v127, v117 :: v_dual_mov_b32 v124, v127
	s_delay_alu instid0(VALU_DEP_2) | instskip(NEXT) | instid1(VALU_DEP_2)
	v_dual_mov_b32 v131, v125 :: v_dual_mov_b32 v125, v126
	v_pk_fma_f32 v[128:129], v[126:127], v[72:73], v[128:129] op_sel_hi:[1,1,0] neg_lo:[0,0,1] neg_hi:[0,0,1]
	v_mul_f32_e32 v126, v127, v114
	s_delay_alu instid0(VALU_DEP_3) | instskip(NEXT) | instid1(VALU_DEP_2)
	v_pk_add_f32 v[54:55], v[54:55], v[130:131] neg_lo:[0,1] neg_hi:[0,1]
	v_pk_fma_f32 v[124:125], v[124:125], v[72:73], v[126:127] op_sel_hi:[1,1,0]
	s_delay_alu instid0(VALU_DEP_1) | instskip(SKIP_4) | instid1(VALU_DEP_1)
	v_mov_b32_e32 v129, v125
	ds_load_2addr_b64 v[124:127], v118 offset0:28 offset1:29
	v_pk_add_f32 v[50:51], v[50:51], v[128:129] neg_lo:[0,1] neg_hi:[0,1]
	s_wait_dscnt 0x0
	v_pk_mul_f32 v[128:129], v[124:125], v[116:117] op_sel:[0,1]
	v_pk_fma_f32 v[130:131], v[124:125], v[114:115], v[128:129] op_sel:[0,0,1] op_sel_hi:[1,1,0] neg_lo:[0,0,1] neg_hi:[0,0,1]
	v_pk_fma_f32 v[124:125], v[124:125], v[114:115], v[128:129] op_sel:[0,0,1] op_sel_hi:[1,0,0]
	s_delay_alu instid0(VALU_DEP_1) | instskip(SKIP_1) | instid1(VALU_DEP_1)
	v_mov_b32_e32 v131, v125
	v_pk_mul_f32 v[124:125], v[126:127], v[116:117] op_sel:[0,1]
	v_pk_fma_f32 v[128:129], v[126:127], v[114:115], v[124:125] op_sel:[0,0,1] op_sel_hi:[1,1,0] neg_lo:[0,0,1] neg_hi:[0,0,1]
	v_pk_fma_f32 v[124:125], v[126:127], v[114:115], v[124:125] op_sel:[0,0,1] op_sel_hi:[1,0,0]
	s_delay_alu instid0(VALU_DEP_1)
	v_mov_b32_e32 v129, v125
	ds_load_2addr_b64 v[124:127], v118 offset0:30 offset1:31
	v_pk_add_f32 v[90:91], v[90:91], v[130:131] neg_lo:[0,1] neg_hi:[0,1]
	v_pk_add_f32 v[38:39], v[38:39], v[128:129] neg_lo:[0,1] neg_hi:[0,1]
	s_wait_dscnt 0x0
	v_pk_mul_f32 v[128:129], v[124:125], v[116:117] op_sel:[0,1]
	s_delay_alu instid0(VALU_DEP_1) | instskip(SKIP_1) | instid1(VALU_DEP_1)
	v_pk_fma_f32 v[130:131], v[124:125], v[114:115], v[128:129] op_sel:[0,0,1] op_sel_hi:[1,1,0] neg_lo:[0,0,1] neg_hi:[0,0,1]
	v_pk_fma_f32 v[124:125], v[124:125], v[114:115], v[128:129] op_sel:[0,0,1] op_sel_hi:[1,0,0]
	v_mov_b32_e32 v131, v125
	v_pk_mul_f32 v[124:125], v[126:127], v[116:117] op_sel:[0,1]
	s_delay_alu instid0(VALU_DEP_1) | instskip(SKIP_1) | instid1(VALU_DEP_1)
	v_pk_fma_f32 v[128:129], v[126:127], v[114:115], v[124:125] op_sel:[0,0,1] op_sel_hi:[1,1,0] neg_lo:[0,0,1] neg_hi:[0,0,1]
	v_pk_fma_f32 v[124:125], v[126:127], v[114:115], v[124:125] op_sel:[0,0,1] op_sel_hi:[1,0,0]
	v_mov_b32_e32 v129, v125
	ds_load_2addr_b64 v[124:127], v118 offset0:32 offset1:33
	v_pk_add_f32 v[40:41], v[40:41], v[130:131] neg_lo:[0,1] neg_hi:[0,1]
	v_pk_add_f32 v[36:37], v[36:37], v[128:129] neg_lo:[0,1] neg_hi:[0,1]
	s_wait_dscnt 0x0
	v_dual_mul_f32 v128, v125, v117 :: v_dual_mul_f32 v130, v125, v114
	s_delay_alu instid0(VALU_DEP_1) | instskip(NEXT) | instid1(VALU_DEP_2)
	v_pk_fma_f32 v[128:129], v[124:125], v[72:73], v[128:129] op_sel_hi:[1,1,0] neg_lo:[0,0,1] neg_hi:[0,0,1]
	v_pk_fma_f32 v[124:125], v[124:125], v[72:73], v[130:131] op_sel:[1,0,0] op_sel_hi:[0,1,0]
	s_delay_alu instid0(VALU_DEP_1) | instskip(SKIP_1) | instid1(VALU_DEP_2)
	v_mov_b32_e32 v129, v125
	v_pk_mul_f32 v[124:125], v[126:127], v[116:117] op_sel:[0,1]
	v_pk_add_f32 v[88:89], v[88:89], v[128:129] neg_lo:[0,1] neg_hi:[0,1]
	s_delay_alu instid0(VALU_DEP_2) | instskip(SKIP_1) | instid1(VALU_DEP_1)
	v_pk_fma_f32 v[128:129], v[126:127], v[114:115], v[124:125] op_sel:[0,0,1] op_sel_hi:[1,1,0] neg_lo:[0,0,1] neg_hi:[0,0,1]
	v_pk_fma_f32 v[124:125], v[126:127], v[114:115], v[124:125] op_sel:[0,0,1] op_sel_hi:[1,0,0]
	v_mov_b32_e32 v129, v125
	ds_load_2addr_b64 v[124:127], v118 offset0:34 offset1:35
	v_pk_add_f32 v[32:33], v[32:33], v[128:129] neg_lo:[0,1] neg_hi:[0,1]
	s_wait_dscnt 0x0
	v_pk_mul_f32 v[128:129], v[124:125], v[116:117] op_sel:[0,1]
	s_delay_alu instid0(VALU_DEP_1) | instskip(SKIP_1) | instid1(VALU_DEP_1)
	v_pk_fma_f32 v[130:131], v[124:125], v[114:115], v[128:129] op_sel:[0,0,1] op_sel_hi:[1,1,0] neg_lo:[0,0,1] neg_hi:[0,0,1]
	v_pk_fma_f32 v[124:125], v[124:125], v[114:115], v[128:129] op_sel:[0,0,1] op_sel_hi:[1,0,0]
	v_mov_b32_e32 v131, v125
	v_pk_mul_f32 v[124:125], v[126:127], v[116:117] op_sel:[0,1]
	s_delay_alu instid0(VALU_DEP_2) | instskip(NEXT) | instid1(VALU_DEP_2)
	v_pk_add_f32 v[34:35], v[34:35], v[130:131] neg_lo:[0,1] neg_hi:[0,1]
	v_pk_fma_f32 v[128:129], v[126:127], v[114:115], v[124:125] op_sel:[0,0,1] op_sel_hi:[1,1,0] neg_lo:[0,0,1] neg_hi:[0,0,1]
	v_pk_fma_f32 v[124:125], v[126:127], v[114:115], v[124:125] op_sel:[0,0,1] op_sel_hi:[1,0,0]
	s_delay_alu instid0(VALU_DEP_1) | instskip(SKIP_4) | instid1(VALU_DEP_1)
	v_mov_b32_e32 v129, v125
	ds_load_2addr_b64 v[124:127], v118 offset0:36 offset1:37
	v_pk_add_f32 v[30:31], v[30:31], v[128:129] neg_lo:[0,1] neg_hi:[0,1]
	s_wait_dscnt 0x0
	v_pk_mul_f32 v[128:129], v[124:125], v[116:117] op_sel:[0,1]
	v_pk_fma_f32 v[130:131], v[124:125], v[114:115], v[128:129] op_sel:[0,0,1] op_sel_hi:[1,1,0] neg_lo:[0,0,1] neg_hi:[0,0,1]
	v_pk_fma_f32 v[124:125], v[124:125], v[114:115], v[128:129] op_sel:[0,0,1] op_sel_hi:[1,0,0]
	v_dual_mul_f32 v128, v127, v117 :: v_dual_mov_b32 v124, v127
	s_delay_alu instid0(VALU_DEP_2) | instskip(NEXT) | instid1(VALU_DEP_2)
	v_dual_mov_b32 v131, v125 :: v_dual_mov_b32 v125, v126
	v_pk_fma_f32 v[128:129], v[126:127], v[72:73], v[128:129] op_sel_hi:[1,1,0] neg_lo:[0,0,1] neg_hi:[0,0,1]
	v_mul_f32_e32 v126, v127, v114
	s_delay_alu instid0(VALU_DEP_3) | instskip(NEXT) | instid1(VALU_DEP_2)
	v_pk_add_f32 v[86:87], v[86:87], v[130:131] neg_lo:[0,1] neg_hi:[0,1]
	v_pk_fma_f32 v[124:125], v[124:125], v[72:73], v[126:127] op_sel_hi:[1,1,0]
	s_delay_alu instid0(VALU_DEP_1) | instskip(SKIP_4) | instid1(VALU_DEP_1)
	v_mov_b32_e32 v129, v125
	ds_load_2addr_b64 v[124:127], v118 offset0:38 offset1:39
	v_pk_add_f32 v[24:25], v[24:25], v[128:129] neg_lo:[0,1] neg_hi:[0,1]
	s_wait_dscnt 0x0
	v_pk_mul_f32 v[128:129], v[124:125], v[116:117] op_sel:[0,1]
	v_pk_fma_f32 v[130:131], v[124:125], v[114:115], v[128:129] op_sel:[0,0,1] op_sel_hi:[1,1,0] neg_lo:[0,0,1] neg_hi:[0,0,1]
	v_pk_fma_f32 v[124:125], v[124:125], v[114:115], v[128:129] op_sel:[0,0,1] op_sel_hi:[1,0,0]
	s_delay_alu instid0(VALU_DEP_1) | instskip(SKIP_1) | instid1(VALU_DEP_1)
	v_mov_b32_e32 v131, v125
	v_pk_mul_f32 v[124:125], v[126:127], v[116:117] op_sel:[0,1]
	v_pk_fma_f32 v[128:129], v[126:127], v[114:115], v[124:125] op_sel:[0,0,1] op_sel_hi:[1,1,0] neg_lo:[0,0,1] neg_hi:[0,0,1]
	v_pk_fma_f32 v[124:125], v[126:127], v[114:115], v[124:125] op_sel:[0,0,1] op_sel_hi:[1,0,0]
	s_delay_alu instid0(VALU_DEP_1)
	v_mov_b32_e32 v129, v125
	ds_load_2addr_b64 v[124:127], v118 offset0:40 offset1:41
	v_pk_add_f32 v[26:27], v[26:27], v[130:131] neg_lo:[0,1] neg_hi:[0,1]
	v_pk_add_f32 v[22:23], v[22:23], v[128:129] neg_lo:[0,1] neg_hi:[0,1]
	s_wait_dscnt 0x0
	v_pk_mul_f32 v[128:129], v[124:125], v[116:117] op_sel:[0,1]
	s_delay_alu instid0(VALU_DEP_1) | instskip(SKIP_1) | instid1(VALU_DEP_1)
	v_pk_fma_f32 v[130:131], v[124:125], v[114:115], v[128:129] op_sel:[0,0,1] op_sel_hi:[1,1,0] neg_lo:[0,0,1] neg_hi:[0,0,1]
	v_pk_fma_f32 v[124:125], v[124:125], v[114:115], v[128:129] op_sel:[0,0,1] op_sel_hi:[1,0,0]
	v_mov_b32_e32 v131, v125
	v_pk_mul_f32 v[124:125], v[126:127], v[116:117] op_sel:[0,1]
	s_delay_alu instid0(VALU_DEP_1) | instskip(SKIP_1) | instid1(VALU_DEP_1)
	v_pk_fma_f32 v[128:129], v[126:127], v[114:115], v[124:125] op_sel:[0,0,1] op_sel_hi:[1,1,0] neg_lo:[0,0,1] neg_hi:[0,0,1]
	v_pk_fma_f32 v[124:125], v[126:127], v[114:115], v[124:125] op_sel:[0,0,1] op_sel_hi:[1,0,0]
	v_mov_b32_e32 v129, v125
	ds_load_2addr_b64 v[124:127], v118 offset0:42 offset1:43
	v_pk_add_f32 v[84:85], v[84:85], v[130:131] neg_lo:[0,1] neg_hi:[0,1]
	v_pk_add_f32 v[18:19], v[18:19], v[128:129] neg_lo:[0,1] neg_hi:[0,1]
	s_wait_dscnt 0x0
	v_dual_mul_f32 v128, v125, v117 :: v_dual_mul_f32 v130, v125, v114
	s_delay_alu instid0(VALU_DEP_1) | instskip(NEXT) | instid1(VALU_DEP_2)
	v_pk_fma_f32 v[128:129], v[124:125], v[72:73], v[128:129] op_sel_hi:[1,1,0] neg_lo:[0,0,1] neg_hi:[0,0,1]
	v_pk_fma_f32 v[124:125], v[124:125], v[72:73], v[130:131] op_sel:[1,0,0] op_sel_hi:[0,1,0]
	s_delay_alu instid0(VALU_DEP_1) | instskip(SKIP_1) | instid1(VALU_DEP_2)
	v_mov_b32_e32 v129, v125
	v_pk_mul_f32 v[124:125], v[126:127], v[116:117] op_sel:[0,1]
	v_pk_add_f32 v[20:21], v[20:21], v[128:129] neg_lo:[0,1] neg_hi:[0,1]
	s_delay_alu instid0(VALU_DEP_2) | instskip(SKIP_1) | instid1(VALU_DEP_1)
	v_pk_fma_f32 v[128:129], v[126:127], v[114:115], v[124:125] op_sel:[0,0,1] op_sel_hi:[1,1,0] neg_lo:[0,0,1] neg_hi:[0,0,1]
	v_pk_fma_f32 v[124:125], v[126:127], v[114:115], v[124:125] op_sel:[0,0,1] op_sel_hi:[1,0,0]
	v_mov_b32_e32 v129, v125
	ds_load_2addr_b64 v[124:127], v118 offset0:44 offset1:45
	v_pk_add_f32 v[16:17], v[16:17], v[128:129] neg_lo:[0,1] neg_hi:[0,1]
	s_wait_dscnt 0x0
	v_pk_mul_f32 v[128:129], v[124:125], v[116:117] op_sel:[0,1]
	s_delay_alu instid0(VALU_DEP_1) | instskip(SKIP_1) | instid1(VALU_DEP_1)
	v_pk_fma_f32 v[130:131], v[124:125], v[114:115], v[128:129] op_sel:[0,0,1] op_sel_hi:[1,1,0] neg_lo:[0,0,1] neg_hi:[0,0,1]
	v_pk_fma_f32 v[124:125], v[124:125], v[114:115], v[128:129] op_sel:[0,0,1] op_sel_hi:[1,0,0]
	v_mov_b32_e32 v131, v125
	v_pk_mul_f32 v[124:125], v[126:127], v[116:117] op_sel:[0,1]
	s_delay_alu instid0(VALU_DEP_2) | instskip(NEXT) | instid1(VALU_DEP_2)
	v_pk_add_f32 v[82:83], v[82:83], v[130:131] neg_lo:[0,1] neg_hi:[0,1]
	v_pk_fma_f32 v[128:129], v[126:127], v[114:115], v[124:125] op_sel:[0,0,1] op_sel_hi:[1,1,0] neg_lo:[0,0,1] neg_hi:[0,0,1]
	v_pk_fma_f32 v[124:125], v[126:127], v[114:115], v[124:125] op_sel:[0,0,1] op_sel_hi:[1,0,0]
	s_delay_alu instid0(VALU_DEP_1) | instskip(SKIP_4) | instid1(VALU_DEP_1)
	v_mov_b32_e32 v129, v125
	ds_load_2addr_b64 v[124:127], v118 offset0:46 offset1:47
	v_pk_add_f32 v[10:11], v[10:11], v[128:129] neg_lo:[0,1] neg_hi:[0,1]
	s_wait_dscnt 0x0
	v_pk_mul_f32 v[128:129], v[124:125], v[116:117] op_sel:[0,1]
	v_pk_fma_f32 v[130:131], v[124:125], v[114:115], v[128:129] op_sel:[0,0,1] op_sel_hi:[1,1,0] neg_lo:[0,0,1] neg_hi:[0,0,1]
	v_pk_fma_f32 v[124:125], v[124:125], v[114:115], v[128:129] op_sel:[0,0,1] op_sel_hi:[1,0,0]
	v_dual_mul_f32 v128, v127, v117 :: v_dual_mov_b32 v124, v127
	s_delay_alu instid0(VALU_DEP_2) | instskip(NEXT) | instid1(VALU_DEP_2)
	v_dual_mov_b32 v131, v125 :: v_dual_mov_b32 v125, v126
	v_pk_fma_f32 v[128:129], v[126:127], v[72:73], v[128:129] op_sel_hi:[1,1,0] neg_lo:[0,0,1] neg_hi:[0,0,1]
	v_mul_f32_e32 v126, v127, v114
	s_delay_alu instid0(VALU_DEP_3) | instskip(NEXT) | instid1(VALU_DEP_2)
	v_pk_add_f32 v[12:13], v[12:13], v[130:131] neg_lo:[0,1] neg_hi:[0,1]
	v_pk_fma_f32 v[124:125], v[124:125], v[72:73], v[126:127] op_sel_hi:[1,1,0]
	s_delay_alu instid0(VALU_DEP_1) | instskip(SKIP_4) | instid1(VALU_DEP_1)
	v_mov_b32_e32 v129, v125
	ds_load_2addr_b64 v[124:127], v118 offset0:48 offset1:49
	v_pk_add_f32 v[8:9], v[8:9], v[128:129] neg_lo:[0,1] neg_hi:[0,1]
	s_wait_dscnt 0x0
	v_pk_mul_f32 v[128:129], v[124:125], v[116:117] op_sel:[0,1]
	v_pk_fma_f32 v[130:131], v[124:125], v[114:115], v[128:129] op_sel:[0,0,1] op_sel_hi:[1,1,0] neg_lo:[0,0,1] neg_hi:[0,0,1]
	v_pk_fma_f32 v[124:125], v[124:125], v[114:115], v[128:129] op_sel:[0,0,1] op_sel_hi:[1,0,0]
	s_delay_alu instid0(VALU_DEP_1) | instskip(SKIP_1) | instid1(VALU_DEP_1)
	v_mov_b32_e32 v131, v125
	v_pk_mul_f32 v[124:125], v[126:127], v[116:117] op_sel:[0,1]
	v_pk_fma_f32 v[128:129], v[126:127], v[114:115], v[124:125] op_sel:[0,0,1] op_sel_hi:[1,1,0] neg_lo:[0,0,1] neg_hi:[0,0,1]
	v_pk_fma_f32 v[124:125], v[126:127], v[114:115], v[124:125] op_sel:[0,0,1] op_sel_hi:[1,0,0]
	s_delay_alu instid0(VALU_DEP_1)
	v_mov_b32_e32 v129, v125
	ds_load_2addr_b64 v[124:127], v118 offset0:50 offset1:51
	v_pk_add_f32 v[66:67], v[66:67], v[130:131] neg_lo:[0,1] neg_hi:[0,1]
	v_pk_add_f32 v[6:7], v[6:7], v[128:129] neg_lo:[0,1] neg_hi:[0,1]
	s_wait_dscnt 0x0
	v_pk_mul_f32 v[128:129], v[124:125], v[116:117] op_sel:[0,1]
	s_delay_alu instid0(VALU_DEP_1) | instskip(SKIP_1) | instid1(VALU_DEP_1)
	v_pk_fma_f32 v[130:131], v[124:125], v[114:115], v[128:129] op_sel:[0,0,1] op_sel_hi:[1,1,0] neg_lo:[0,0,1] neg_hi:[0,0,1]
	v_pk_fma_f32 v[124:125], v[124:125], v[114:115], v[128:129] op_sel:[0,0,1] op_sel_hi:[1,0,0]
	v_mov_b32_e32 v131, v125
	v_pk_mul_f32 v[124:125], v[126:127], v[116:117] op_sel:[0,1]
	s_delay_alu instid0(VALU_DEP_1) | instskip(SKIP_1) | instid1(VALU_DEP_1)
	v_pk_fma_f32 v[128:129], v[126:127], v[114:115], v[124:125] op_sel:[0,0,1] op_sel_hi:[1,1,0] neg_lo:[0,0,1] neg_hi:[0,0,1]
	v_pk_fma_f32 v[124:125], v[126:127], v[114:115], v[124:125] op_sel:[0,0,1] op_sel_hi:[1,0,0]
	v_mov_b32_e32 v129, v125
	ds_load_2addr_b64 v[124:127], v118 offset0:52 offset1:53
	v_pk_add_f32 v[46:47], v[46:47], v[130:131] neg_lo:[0,1] neg_hi:[0,1]
	v_pk_add_f32 v[28:29], v[28:29], v[128:129] neg_lo:[0,1] neg_hi:[0,1]
	s_wait_dscnt 0x0
	v_dual_mul_f32 v128, v125, v117 :: v_dual_mul_f32 v130, v125, v114
	v_pk_mul_f32 v[116:117], v[126:127], v[116:117] op_sel:[0,1]
	s_delay_alu instid0(VALU_DEP_2) | instskip(NEXT) | instid1(VALU_DEP_3)
	v_pk_fma_f32 v[128:129], v[124:125], v[72:73], v[128:129] op_sel_hi:[1,1,0] neg_lo:[0,0,1] neg_hi:[0,0,1]
	v_pk_fma_f32 v[124:125], v[124:125], v[72:73], v[130:131] op_sel:[1,0,0] op_sel_hi:[0,1,0]
	s_delay_alu instid0(VALU_DEP_1) | instskip(NEXT) | instid1(VALU_DEP_4)
	v_mov_b32_e32 v129, v125
	v_pk_fma_f32 v[124:125], v[126:127], v[114:115], v[116:117] op_sel:[0,0,1] op_sel_hi:[1,1,0] neg_lo:[0,0,1] neg_hi:[0,0,1]
	v_pk_fma_f32 v[114:115], v[126:127], v[114:115], v[116:117] op_sel:[0,0,1] op_sel_hi:[1,0,0]
	s_delay_alu instid0(VALU_DEP_1) | instskip(NEXT) | instid1(VALU_DEP_4)
	v_mov_b32_e32 v125, v115
	v_pk_add_f32 v[14:15], v[14:15], v[128:129] neg_lo:[0,1] neg_hi:[0,1]
	s_delay_alu instid0(VALU_DEP_2)
	v_pk_add_f32 v[112:113], v[112:113], v[124:125] neg_lo:[0,1] neg_hi:[0,1]
.LBB106_293:
	s_or_b32 exec_lo, exec_lo, s0
	v_lshl_add_u32 v114, v122, 3, v118
	s_barrier_signal -1
	s_barrier_wait -1
	ds_store_b64 v114, v[74:75]
	s_wait_dscnt 0x0
	s_barrier_signal -1
	s_barrier_wait -1
	ds_load_b64 v[116:117], v118 offset:112
	v_mov_b32_e32 v114, 14
	s_cmp_lt_i32 s18, 16
	s_cbranch_scc1 .LBB106_296
; %bb.294:
	v_add3_u32 v115, v119, 0, 0x78
	v_mov_b32_e32 v114, 14
	s_mov_b32 s0, 15
.LBB106_295:                            ; =>This Inner Loop Header: Depth=1
	ds_load_b64 v[124:125], v115
	s_wait_dscnt 0x1
	v_cmp_gt_f32_e32 vcc_lo, 0, v116
	v_cndmask_b32_e64 v126, v116, -v116, vcc_lo
	v_cmp_gt_f32_e32 vcc_lo, 0, v117
	v_cndmask_b32_e64 v128, v117, -v117, vcc_lo
	s_wait_dscnt 0x0
	v_cmp_gt_f32_e32 vcc_lo, 0, v124
	v_cndmask_b32_e64 v127, v124, -v124, vcc_lo
	v_cmp_gt_f32_e32 vcc_lo, 0, v125
	v_cndmask_b32_e64 v129, v125, -v125, vcc_lo
	s_delay_alu instid0(VALU_DEP_1) | instskip(NEXT) | instid1(VALU_DEP_1)
	v_pk_add_f32 v[126:127], v[126:127], v[128:129]
	v_cmp_lt_f32_e32 vcc_lo, v126, v127
	v_dual_add_nc_u32 v115, 8, v115 :: v_dual_cndmask_b32 v117, v117, v125, vcc_lo
	v_cndmask_b32_e32 v116, v116, v124, vcc_lo
	v_cndmask_b32_e64 v114, v114, s0, vcc_lo
	s_add_co_i32 s0, s0, 1
	s_delay_alu instid0(SALU_CYCLE_1)
	s_cmp_lg_u32 s18, s0
	s_cbranch_scc1 .LBB106_295
.LBB106_296:
	s_wait_dscnt 0x0
	v_cmp_eq_f32_e32 vcc_lo, 0, v116
	v_cmp_eq_f32_e64 s0, 0, v117
	s_and_b32 s0, vcc_lo, s0
	s_delay_alu instid0(SALU_CYCLE_1) | instskip(NEXT) | instid1(SALU_CYCLE_1)
	s_and_saveexec_b32 s1, s0
	s_xor_b32 s0, exec_lo, s1
; %bb.297:
	v_cmp_ne_u32_e32 vcc_lo, 0, v120
	v_cndmask_b32_e32 v120, 15, v120, vcc_lo
; %bb.298:
	s_and_not1_saveexec_b32 s0, s0
	s_cbranch_execz .LBB106_304
; %bb.299:
	v_cmp_ngt_f32_e64 s1, |v116|, |v117|
	s_and_saveexec_b32 s12, s1
	s_delay_alu instid0(SALU_CYCLE_1)
	s_xor_b32 s1, exec_lo, s12
	s_cbranch_execz .LBB106_301
; %bb.300:
	v_div_scale_f32 v115, null, v117, v117, v116
	v_div_scale_f32 v125, vcc_lo, v116, v117, v116
	s_delay_alu instid0(VALU_DEP_2) | instskip(SKIP_1) | instid1(TRANS32_DEP_1)
	v_rcp_f32_e32 v123, v115
	v_nop
	v_fma_f32 v124, -v115, v123, 1.0
	s_delay_alu instid0(VALU_DEP_1) | instskip(NEXT) | instid1(VALU_DEP_1)
	v_fmac_f32_e32 v123, v124, v123
	v_mul_f32_e32 v124, v125, v123
	s_delay_alu instid0(VALU_DEP_1) | instskip(NEXT) | instid1(VALU_DEP_1)
	v_fma_f32 v126, -v115, v124, v125
	v_fmac_f32_e32 v124, v126, v123
	s_delay_alu instid0(VALU_DEP_1) | instskip(NEXT) | instid1(VALU_DEP_1)
	v_fma_f32 v115, -v115, v124, v125
	v_div_fmas_f32 v115, v115, v123, v124
	s_delay_alu instid0(VALU_DEP_1) | instskip(NEXT) | instid1(VALU_DEP_1)
	v_div_fixup_f32 v115, v115, v117, v116
	v_fmac_f32_e32 v117, v116, v115
	s_delay_alu instid0(VALU_DEP_1) | instskip(SKIP_1) | instid1(VALU_DEP_2)
	v_div_scale_f32 v116, null, v117, v117, 1.0
	v_div_scale_f32 v125, vcc_lo, 1.0, v117, 1.0
	v_rcp_f32_e32 v123, v116
	v_nop
	s_delay_alu instid0(TRANS32_DEP_1) | instskip(NEXT) | instid1(VALU_DEP_1)
	v_fma_f32 v124, -v116, v123, 1.0
	v_fmac_f32_e32 v123, v124, v123
	s_delay_alu instid0(VALU_DEP_1) | instskip(NEXT) | instid1(VALU_DEP_1)
	v_mul_f32_e32 v124, v125, v123
	v_fma_f32 v126, -v116, v124, v125
	s_delay_alu instid0(VALU_DEP_1) | instskip(NEXT) | instid1(VALU_DEP_1)
	v_fmac_f32_e32 v124, v126, v123
	v_fma_f32 v116, -v116, v124, v125
	s_delay_alu instid0(VALU_DEP_1) | instskip(NEXT) | instid1(VALU_DEP_1)
	v_div_fmas_f32 v116, v116, v123, v124
	v_div_fixup_f32 v117, v116, v117, 1.0
	s_delay_alu instid0(VALU_DEP_1)
	v_mul_f32_e32 v116, v115, v117
	v_xor_b32_e32 v117, 0x80000000, v117
.LBB106_301:
	s_and_not1_saveexec_b32 s1, s1
	s_cbranch_execz .LBB106_303
; %bb.302:
	s_delay_alu instid0(VALU_DEP_1) | instskip(SKIP_1) | instid1(VALU_DEP_2)
	v_div_scale_f32 v115, null, v116, v116, v117
	v_div_scale_f32 v125, vcc_lo, v117, v116, v117
	v_rcp_f32_e32 v123, v115
	v_nop
	s_delay_alu instid0(TRANS32_DEP_1) | instskip(NEXT) | instid1(VALU_DEP_1)
	v_fma_f32 v124, -v115, v123, 1.0
	v_fmac_f32_e32 v123, v124, v123
	s_delay_alu instid0(VALU_DEP_1) | instskip(NEXT) | instid1(VALU_DEP_1)
	v_mul_f32_e32 v124, v125, v123
	v_fma_f32 v126, -v115, v124, v125
	s_delay_alu instid0(VALU_DEP_1) | instskip(NEXT) | instid1(VALU_DEP_1)
	v_fmac_f32_e32 v124, v126, v123
	v_fma_f32 v115, -v115, v124, v125
	s_delay_alu instid0(VALU_DEP_1) | instskip(NEXT) | instid1(VALU_DEP_1)
	v_div_fmas_f32 v115, v115, v123, v124
	v_div_fixup_f32 v115, v115, v116, v117
	s_delay_alu instid0(VALU_DEP_1) | instskip(NEXT) | instid1(VALU_DEP_1)
	v_fmac_f32_e32 v116, v117, v115
	v_div_scale_f32 v117, null, v116, v116, 1.0
	s_delay_alu instid0(VALU_DEP_1) | instskip(SKIP_1) | instid1(TRANS32_DEP_1)
	v_rcp_f32_e32 v123, v117
	v_nop
	v_fma_f32 v124, -v117, v123, 1.0
	s_delay_alu instid0(VALU_DEP_1) | instskip(SKIP_1) | instid1(VALU_DEP_1)
	v_fmac_f32_e32 v123, v124, v123
	v_div_scale_f32 v124, vcc_lo, 1.0, v116, 1.0
	v_mul_f32_e32 v125, v124, v123
	s_delay_alu instid0(VALU_DEP_1) | instskip(NEXT) | instid1(VALU_DEP_1)
	v_fma_f32 v126, -v117, v125, v124
	v_fmac_f32_e32 v125, v126, v123
	s_delay_alu instid0(VALU_DEP_1) | instskip(NEXT) | instid1(VALU_DEP_1)
	v_fma_f32 v117, -v117, v125, v124
	v_div_fmas_f32 v117, v117, v123, v125
	s_delay_alu instid0(VALU_DEP_1) | instskip(NEXT) | instid1(VALU_DEP_1)
	v_div_fixup_f32 v116, v117, v116, 1.0
	v_mul_f32_e64 v117, v115, -v116
.LBB106_303:
	s_or_b32 exec_lo, exec_lo, s1
.LBB106_304:
	s_delay_alu instid0(SALU_CYCLE_1) | instskip(NEXT) | instid1(SALU_CYCLE_1)
	s_or_b32 exec_lo, exec_lo, s0
	s_mov_b32 s0, exec_lo
	v_cmpx_ne_u32_e64 v122, v114
	s_xor_b32 s0, exec_lo, s0
	s_cbranch_execz .LBB106_310
; %bb.305:
	s_mov_b32 s1, exec_lo
	v_cmpx_eq_u32_e32 14, v122
	s_cbranch_execz .LBB106_309
; %bb.306:
	v_cmp_ne_u32_e32 vcc_lo, 14, v114
	s_xor_b32 s12, s16, -1
	s_delay_alu instid0(SALU_CYCLE_1) | instskip(NEXT) | instid1(SALU_CYCLE_1)
	s_and_b32 s13, s12, vcc_lo
	s_and_saveexec_b32 s12, s13
	s_cbranch_execz .LBB106_308
; %bb.307:
	v_ashrrev_i32_e32 v115, 31, v114
	s_delay_alu instid0(VALU_DEP_1)
	v_lshl_add_u64 v[122:123], v[114:115], 2, v[4:5]
	s_clause 0x1
	global_load_b32 v115, v[122:123], off
	global_load_b32 v121, v[4:5], off offset:56
	s_wait_loadcnt 0x1
	global_store_b32 v[4:5], v115, off offset:56
	s_wait_loadcnt 0x0
	global_store_b32 v[122:123], v121, off
.LBB106_308:
	s_wait_xcnt 0x0
	s_or_b32 exec_lo, exec_lo, s12
	v_dual_mov_b32 v122, v114 :: v_dual_mov_b32 v121, v114
.LBB106_309:
	s_or_b32 exec_lo, exec_lo, s1
.LBB106_310:
	s_and_not1_saveexec_b32 s0, s0
	s_cbranch_execz .LBB106_312
; %bb.311:
	v_mov_b32_e32 v122, 14
	ds_store_2addr_b64 v118, v[70:71], v[98:99] offset0:15 offset1:16
	ds_store_2addr_b64 v118, v[64:65], v[68:69] offset0:17 offset1:18
	;; [unrolled: 1-line block ×19, first 2 shown]
	ds_store_b64 v118, v[112:113] offset:424
.LBB106_312:
	s_or_b32 exec_lo, exec_lo, s0
	s_delay_alu instid0(SALU_CYCLE_1)
	s_mov_b32 s0, exec_lo
	s_wait_storecnt_dscnt 0x0
	s_barrier_signal -1
	s_barrier_wait -1
	v_cmpx_lt_i32_e32 14, v122
	s_cbranch_execz .LBB106_314
; %bb.313:
	v_pk_mul_f32 v[124:125], v[116:117], v[74:75] op_sel:[1,1] op_sel_hi:[0,1]
	s_delay_alu instid0(VALU_DEP_1)
	v_pk_fma_f32 v[114:115], v[116:117], v[74:75], v[124:125] op_sel_hi:[1,0,1] neg_lo:[0,0,1] neg_hi:[0,0,1]
	v_pk_fma_f32 v[116:117], v[116:117], v[74:75], v[124:125] op_sel_hi:[1,0,1]
	ds_load_2addr_b64 v[124:127], v118 offset0:15 offset1:16
	v_dual_mov_b32 v74, v114 :: v_dual_mov_b32 v75, v117
	s_wait_dscnt 0x0
	v_pk_mul_f32 v[128:129], v[124:125], v[116:117] op_sel:[0,1]
	s_delay_alu instid0(VALU_DEP_1) | instskip(SKIP_1) | instid1(VALU_DEP_1)
	v_pk_fma_f32 v[130:131], v[124:125], v[114:115], v[128:129] op_sel:[0,0,1] op_sel_hi:[1,1,0] neg_lo:[0,0,1] neg_hi:[0,0,1]
	v_pk_fma_f32 v[124:125], v[124:125], v[114:115], v[128:129] op_sel:[0,0,1] op_sel_hi:[1,0,0]
	v_mov_b32_e32 v131, v125
	v_pk_mul_f32 v[124:125], v[126:127], v[116:117] op_sel:[0,1]
	s_delay_alu instid0(VALU_DEP_1) | instskip(SKIP_1) | instid1(VALU_DEP_1)
	v_pk_fma_f32 v[128:129], v[126:127], v[114:115], v[124:125] op_sel:[0,0,1] op_sel_hi:[1,1,0] neg_lo:[0,0,1] neg_hi:[0,0,1]
	v_pk_fma_f32 v[124:125], v[126:127], v[114:115], v[124:125] op_sel:[0,0,1] op_sel_hi:[1,0,0]
	v_mov_b32_e32 v129, v125
	ds_load_2addr_b64 v[124:127], v118 offset0:17 offset1:18
	v_pk_add_f32 v[70:71], v[70:71], v[130:131] neg_lo:[0,1] neg_hi:[0,1]
	v_pk_add_f32 v[98:99], v[98:99], v[128:129] neg_lo:[0,1] neg_hi:[0,1]
	s_wait_dscnt 0x0
	v_pk_mul_f32 v[128:129], v[124:125], v[116:117] op_sel:[0,1]
	s_delay_alu instid0(VALU_DEP_1) | instskip(SKIP_2) | instid1(VALU_DEP_2)
	v_pk_fma_f32 v[130:131], v[124:125], v[114:115], v[128:129] op_sel:[0,0,1] op_sel_hi:[1,1,0] neg_lo:[0,0,1] neg_hi:[0,0,1]
	v_pk_fma_f32 v[124:125], v[124:125], v[114:115], v[128:129] op_sel:[0,0,1] op_sel_hi:[1,0,0]
	v_dual_mul_f32 v128, v127, v117 :: v_dual_mov_b32 v124, v127
	v_dual_mov_b32 v131, v125 :: v_dual_mov_b32 v125, v126
	s_delay_alu instid0(VALU_DEP_2) | instskip(SKIP_1) | instid1(VALU_DEP_3)
	v_pk_fma_f32 v[128:129], v[126:127], v[74:75], v[128:129] op_sel_hi:[1,1,0] neg_lo:[0,0,1] neg_hi:[0,0,1]
	v_mul_f32_e32 v126, v127, v114
	v_pk_add_f32 v[64:65], v[64:65], v[130:131] neg_lo:[0,1] neg_hi:[0,1]
	s_delay_alu instid0(VALU_DEP_2) | instskip(NEXT) | instid1(VALU_DEP_1)
	v_pk_fma_f32 v[124:125], v[124:125], v[74:75], v[126:127] op_sel_hi:[1,1,0]
	v_mov_b32_e32 v129, v125
	ds_load_2addr_b64 v[124:127], v118 offset0:19 offset1:20
	v_pk_add_f32 v[68:69], v[68:69], v[128:129] neg_lo:[0,1] neg_hi:[0,1]
	s_wait_dscnt 0x0
	v_pk_mul_f32 v[128:129], v[124:125], v[116:117] op_sel:[0,1]
	s_delay_alu instid0(VALU_DEP_1) | instskip(SKIP_1) | instid1(VALU_DEP_1)
	v_pk_fma_f32 v[130:131], v[124:125], v[114:115], v[128:129] op_sel:[0,0,1] op_sel_hi:[1,1,0] neg_lo:[0,0,1] neg_hi:[0,0,1]
	v_pk_fma_f32 v[124:125], v[124:125], v[114:115], v[128:129] op_sel:[0,0,1] op_sel_hi:[1,0,0]
	v_mov_b32_e32 v131, v125
	v_pk_mul_f32 v[124:125], v[126:127], v[116:117] op_sel:[0,1]
	s_delay_alu instid0(VALU_DEP_1) | instskip(SKIP_1) | instid1(VALU_DEP_1)
	v_pk_fma_f32 v[128:129], v[126:127], v[114:115], v[124:125] op_sel:[0,0,1] op_sel_hi:[1,1,0] neg_lo:[0,0,1] neg_hi:[0,0,1]
	v_pk_fma_f32 v[124:125], v[126:127], v[114:115], v[124:125] op_sel:[0,0,1] op_sel_hi:[1,0,0]
	v_mov_b32_e32 v129, v125
	ds_load_2addr_b64 v[124:127], v118 offset0:21 offset1:22
	v_pk_add_f32 v[62:63], v[62:63], v[130:131] neg_lo:[0,1] neg_hi:[0,1]
	v_pk_add_f32 v[96:97], v[96:97], v[128:129] neg_lo:[0,1] neg_hi:[0,1]
	s_wait_dscnt 0x0
	v_pk_mul_f32 v[128:129], v[124:125], v[116:117] op_sel:[0,1]
	s_delay_alu instid0(VALU_DEP_1) | instskip(SKIP_1) | instid1(VALU_DEP_1)
	v_pk_fma_f32 v[130:131], v[124:125], v[114:115], v[128:129] op_sel:[0,0,1] op_sel_hi:[1,1,0] neg_lo:[0,0,1] neg_hi:[0,0,1]
	v_pk_fma_f32 v[124:125], v[124:125], v[114:115], v[128:129] op_sel:[0,0,1] op_sel_hi:[1,0,0]
	v_mov_b32_e32 v131, v125
	v_pk_mul_f32 v[124:125], v[126:127], v[116:117] op_sel:[0,1]
	s_delay_alu instid0(VALU_DEP_1) | instskip(SKIP_1) | instid1(VALU_DEP_1)
	v_pk_fma_f32 v[128:129], v[126:127], v[114:115], v[124:125] op_sel:[0,0,1] op_sel_hi:[1,1,0] neg_lo:[0,0,1] neg_hi:[0,0,1]
	v_pk_fma_f32 v[124:125], v[126:127], v[114:115], v[124:125] op_sel:[0,0,1] op_sel_hi:[1,0,0]
	v_mov_b32_e32 v129, v125
	ds_load_2addr_b64 v[124:127], v118 offset0:23 offset1:24
	v_pk_add_f32 v[58:59], v[58:59], v[130:131] neg_lo:[0,1] neg_hi:[0,1]
	v_pk_add_f32 v[60:61], v[60:61], v[128:129] neg_lo:[0,1] neg_hi:[0,1]
	s_wait_dscnt 0x0
	v_dual_mul_f32 v128, v125, v117 :: v_dual_mul_f32 v130, v125, v114
	s_delay_alu instid0(VALU_DEP_1) | instskip(NEXT) | instid1(VALU_DEP_2)
	v_pk_fma_f32 v[128:129], v[124:125], v[74:75], v[128:129] op_sel_hi:[1,1,0] neg_lo:[0,0,1] neg_hi:[0,0,1]
	v_pk_fma_f32 v[124:125], v[124:125], v[74:75], v[130:131] op_sel:[1,0,0] op_sel_hi:[0,1,0]
	s_delay_alu instid0(VALU_DEP_1) | instskip(SKIP_1) | instid1(VALU_DEP_2)
	v_mov_b32_e32 v129, v125
	v_pk_mul_f32 v[124:125], v[126:127], v[116:117] op_sel:[0,1]
	v_pk_add_f32 v[56:57], v[56:57], v[128:129] neg_lo:[0,1] neg_hi:[0,1]
	s_delay_alu instid0(VALU_DEP_2) | instskip(SKIP_1) | instid1(VALU_DEP_1)
	v_pk_fma_f32 v[128:129], v[126:127], v[114:115], v[124:125] op_sel:[0,0,1] op_sel_hi:[1,1,0] neg_lo:[0,0,1] neg_hi:[0,0,1]
	v_pk_fma_f32 v[124:125], v[126:127], v[114:115], v[124:125] op_sel:[0,0,1] op_sel_hi:[1,0,0]
	v_mov_b32_e32 v129, v125
	ds_load_2addr_b64 v[124:127], v118 offset0:25 offset1:26
	v_pk_add_f32 v[94:95], v[94:95], v[128:129] neg_lo:[0,1] neg_hi:[0,1]
	s_wait_dscnt 0x0
	v_pk_mul_f32 v[128:129], v[124:125], v[116:117] op_sel:[0,1]
	s_delay_alu instid0(VALU_DEP_1) | instskip(SKIP_1) | instid1(VALU_DEP_1)
	v_pk_fma_f32 v[130:131], v[124:125], v[114:115], v[128:129] op_sel:[0,0,1] op_sel_hi:[1,1,0] neg_lo:[0,0,1] neg_hi:[0,0,1]
	v_pk_fma_f32 v[124:125], v[124:125], v[114:115], v[128:129] op_sel:[0,0,1] op_sel_hi:[1,0,0]
	v_mov_b32_e32 v131, v125
	v_pk_mul_f32 v[124:125], v[126:127], v[116:117] op_sel:[0,1]
	s_delay_alu instid0(VALU_DEP_2) | instskip(NEXT) | instid1(VALU_DEP_2)
	v_pk_add_f32 v[52:53], v[52:53], v[130:131] neg_lo:[0,1] neg_hi:[0,1]
	v_pk_fma_f32 v[128:129], v[126:127], v[114:115], v[124:125] op_sel:[0,0,1] op_sel_hi:[1,1,0] neg_lo:[0,0,1] neg_hi:[0,0,1]
	v_pk_fma_f32 v[124:125], v[126:127], v[114:115], v[124:125] op_sel:[0,0,1] op_sel_hi:[1,0,0]
	s_delay_alu instid0(VALU_DEP_1) | instskip(SKIP_4) | instid1(VALU_DEP_1)
	v_mov_b32_e32 v129, v125
	ds_load_2addr_b64 v[124:127], v118 offset0:27 offset1:28
	v_pk_add_f32 v[54:55], v[54:55], v[128:129] neg_lo:[0,1] neg_hi:[0,1]
	s_wait_dscnt 0x0
	v_pk_mul_f32 v[128:129], v[124:125], v[116:117] op_sel:[0,1]
	v_pk_fma_f32 v[130:131], v[124:125], v[114:115], v[128:129] op_sel:[0,0,1] op_sel_hi:[1,1,0] neg_lo:[0,0,1] neg_hi:[0,0,1]
	v_pk_fma_f32 v[124:125], v[124:125], v[114:115], v[128:129] op_sel:[0,0,1] op_sel_hi:[1,0,0]
	v_dual_mul_f32 v128, v127, v117 :: v_dual_mov_b32 v124, v127
	s_delay_alu instid0(VALU_DEP_2) | instskip(NEXT) | instid1(VALU_DEP_2)
	v_dual_mov_b32 v131, v125 :: v_dual_mov_b32 v125, v126
	v_pk_fma_f32 v[128:129], v[126:127], v[74:75], v[128:129] op_sel_hi:[1,1,0] neg_lo:[0,0,1] neg_hi:[0,0,1]
	v_mul_f32_e32 v126, v127, v114
	s_delay_alu instid0(VALU_DEP_3) | instskip(NEXT) | instid1(VALU_DEP_2)
	v_pk_add_f32 v[50:51], v[50:51], v[130:131] neg_lo:[0,1] neg_hi:[0,1]
	v_pk_fma_f32 v[124:125], v[124:125], v[74:75], v[126:127] op_sel_hi:[1,1,0]
	s_delay_alu instid0(VALU_DEP_1) | instskip(SKIP_4) | instid1(VALU_DEP_1)
	v_mov_b32_e32 v129, v125
	ds_load_2addr_b64 v[124:127], v118 offset0:29 offset1:30
	v_pk_add_f32 v[90:91], v[90:91], v[128:129] neg_lo:[0,1] neg_hi:[0,1]
	s_wait_dscnt 0x0
	v_pk_mul_f32 v[128:129], v[124:125], v[116:117] op_sel:[0,1]
	v_pk_fma_f32 v[130:131], v[124:125], v[114:115], v[128:129] op_sel:[0,0,1] op_sel_hi:[1,1,0] neg_lo:[0,0,1] neg_hi:[0,0,1]
	v_pk_fma_f32 v[124:125], v[124:125], v[114:115], v[128:129] op_sel:[0,0,1] op_sel_hi:[1,0,0]
	s_delay_alu instid0(VALU_DEP_1) | instskip(SKIP_1) | instid1(VALU_DEP_1)
	v_mov_b32_e32 v131, v125
	v_pk_mul_f32 v[124:125], v[126:127], v[116:117] op_sel:[0,1]
	v_pk_fma_f32 v[128:129], v[126:127], v[114:115], v[124:125] op_sel:[0,0,1] op_sel_hi:[1,1,0] neg_lo:[0,0,1] neg_hi:[0,0,1]
	v_pk_fma_f32 v[124:125], v[126:127], v[114:115], v[124:125] op_sel:[0,0,1] op_sel_hi:[1,0,0]
	s_delay_alu instid0(VALU_DEP_1)
	v_mov_b32_e32 v129, v125
	ds_load_2addr_b64 v[124:127], v118 offset0:31 offset1:32
	v_pk_add_f32 v[38:39], v[38:39], v[130:131] neg_lo:[0,1] neg_hi:[0,1]
	v_pk_add_f32 v[40:41], v[40:41], v[128:129] neg_lo:[0,1] neg_hi:[0,1]
	s_wait_dscnt 0x0
	v_pk_mul_f32 v[128:129], v[124:125], v[116:117] op_sel:[0,1]
	s_delay_alu instid0(VALU_DEP_1) | instskip(SKIP_1) | instid1(VALU_DEP_1)
	v_pk_fma_f32 v[130:131], v[124:125], v[114:115], v[128:129] op_sel:[0,0,1] op_sel_hi:[1,1,0] neg_lo:[0,0,1] neg_hi:[0,0,1]
	v_pk_fma_f32 v[124:125], v[124:125], v[114:115], v[128:129] op_sel:[0,0,1] op_sel_hi:[1,0,0]
	v_mov_b32_e32 v131, v125
	v_pk_mul_f32 v[124:125], v[126:127], v[116:117] op_sel:[0,1]
	s_delay_alu instid0(VALU_DEP_1) | instskip(SKIP_1) | instid1(VALU_DEP_1)
	v_pk_fma_f32 v[128:129], v[126:127], v[114:115], v[124:125] op_sel:[0,0,1] op_sel_hi:[1,1,0] neg_lo:[0,0,1] neg_hi:[0,0,1]
	v_pk_fma_f32 v[124:125], v[126:127], v[114:115], v[124:125] op_sel:[0,0,1] op_sel_hi:[1,0,0]
	v_mov_b32_e32 v129, v125
	ds_load_2addr_b64 v[124:127], v118 offset0:33 offset1:34
	v_pk_add_f32 v[36:37], v[36:37], v[130:131] neg_lo:[0,1] neg_hi:[0,1]
	v_pk_add_f32 v[88:89], v[88:89], v[128:129] neg_lo:[0,1] neg_hi:[0,1]
	s_wait_dscnt 0x0
	v_dual_mul_f32 v128, v125, v117 :: v_dual_mul_f32 v130, v125, v114
	s_delay_alu instid0(VALU_DEP_1) | instskip(NEXT) | instid1(VALU_DEP_2)
	v_pk_fma_f32 v[128:129], v[124:125], v[74:75], v[128:129] op_sel_hi:[1,1,0] neg_lo:[0,0,1] neg_hi:[0,0,1]
	v_pk_fma_f32 v[124:125], v[124:125], v[74:75], v[130:131] op_sel:[1,0,0] op_sel_hi:[0,1,0]
	s_delay_alu instid0(VALU_DEP_1) | instskip(SKIP_1) | instid1(VALU_DEP_2)
	v_mov_b32_e32 v129, v125
	v_pk_mul_f32 v[124:125], v[126:127], v[116:117] op_sel:[0,1]
	v_pk_add_f32 v[32:33], v[32:33], v[128:129] neg_lo:[0,1] neg_hi:[0,1]
	s_delay_alu instid0(VALU_DEP_2) | instskip(SKIP_1) | instid1(VALU_DEP_1)
	v_pk_fma_f32 v[128:129], v[126:127], v[114:115], v[124:125] op_sel:[0,0,1] op_sel_hi:[1,1,0] neg_lo:[0,0,1] neg_hi:[0,0,1]
	v_pk_fma_f32 v[124:125], v[126:127], v[114:115], v[124:125] op_sel:[0,0,1] op_sel_hi:[1,0,0]
	v_mov_b32_e32 v129, v125
	ds_load_2addr_b64 v[124:127], v118 offset0:35 offset1:36
	v_pk_add_f32 v[34:35], v[34:35], v[128:129] neg_lo:[0,1] neg_hi:[0,1]
	s_wait_dscnt 0x0
	v_pk_mul_f32 v[128:129], v[124:125], v[116:117] op_sel:[0,1]
	s_delay_alu instid0(VALU_DEP_1) | instskip(SKIP_1) | instid1(VALU_DEP_1)
	v_pk_fma_f32 v[130:131], v[124:125], v[114:115], v[128:129] op_sel:[0,0,1] op_sel_hi:[1,1,0] neg_lo:[0,0,1] neg_hi:[0,0,1]
	v_pk_fma_f32 v[124:125], v[124:125], v[114:115], v[128:129] op_sel:[0,0,1] op_sel_hi:[1,0,0]
	v_mov_b32_e32 v131, v125
	v_pk_mul_f32 v[124:125], v[126:127], v[116:117] op_sel:[0,1]
	s_delay_alu instid0(VALU_DEP_2) | instskip(NEXT) | instid1(VALU_DEP_2)
	v_pk_add_f32 v[30:31], v[30:31], v[130:131] neg_lo:[0,1] neg_hi:[0,1]
	v_pk_fma_f32 v[128:129], v[126:127], v[114:115], v[124:125] op_sel:[0,0,1] op_sel_hi:[1,1,0] neg_lo:[0,0,1] neg_hi:[0,0,1]
	v_pk_fma_f32 v[124:125], v[126:127], v[114:115], v[124:125] op_sel:[0,0,1] op_sel_hi:[1,0,0]
	s_delay_alu instid0(VALU_DEP_1) | instskip(SKIP_4) | instid1(VALU_DEP_1)
	v_mov_b32_e32 v129, v125
	ds_load_2addr_b64 v[124:127], v118 offset0:37 offset1:38
	v_pk_add_f32 v[86:87], v[86:87], v[128:129] neg_lo:[0,1] neg_hi:[0,1]
	s_wait_dscnt 0x0
	v_pk_mul_f32 v[128:129], v[124:125], v[116:117] op_sel:[0,1]
	v_pk_fma_f32 v[130:131], v[124:125], v[114:115], v[128:129] op_sel:[0,0,1] op_sel_hi:[1,1,0] neg_lo:[0,0,1] neg_hi:[0,0,1]
	v_pk_fma_f32 v[124:125], v[124:125], v[114:115], v[128:129] op_sel:[0,0,1] op_sel_hi:[1,0,0]
	v_dual_mul_f32 v128, v127, v117 :: v_dual_mov_b32 v124, v127
	s_delay_alu instid0(VALU_DEP_2) | instskip(NEXT) | instid1(VALU_DEP_2)
	v_dual_mov_b32 v131, v125 :: v_dual_mov_b32 v125, v126
	v_pk_fma_f32 v[128:129], v[126:127], v[74:75], v[128:129] op_sel_hi:[1,1,0] neg_lo:[0,0,1] neg_hi:[0,0,1]
	v_mul_f32_e32 v126, v127, v114
	s_delay_alu instid0(VALU_DEP_3) | instskip(NEXT) | instid1(VALU_DEP_2)
	v_pk_add_f32 v[24:25], v[24:25], v[130:131] neg_lo:[0,1] neg_hi:[0,1]
	v_pk_fma_f32 v[124:125], v[124:125], v[74:75], v[126:127] op_sel_hi:[1,1,0]
	s_delay_alu instid0(VALU_DEP_1) | instskip(SKIP_4) | instid1(VALU_DEP_1)
	v_mov_b32_e32 v129, v125
	ds_load_2addr_b64 v[124:127], v118 offset0:39 offset1:40
	v_pk_add_f32 v[26:27], v[26:27], v[128:129] neg_lo:[0,1] neg_hi:[0,1]
	s_wait_dscnt 0x0
	v_pk_mul_f32 v[128:129], v[124:125], v[116:117] op_sel:[0,1]
	v_pk_fma_f32 v[130:131], v[124:125], v[114:115], v[128:129] op_sel:[0,0,1] op_sel_hi:[1,1,0] neg_lo:[0,0,1] neg_hi:[0,0,1]
	v_pk_fma_f32 v[124:125], v[124:125], v[114:115], v[128:129] op_sel:[0,0,1] op_sel_hi:[1,0,0]
	s_delay_alu instid0(VALU_DEP_1) | instskip(SKIP_1) | instid1(VALU_DEP_1)
	v_mov_b32_e32 v131, v125
	v_pk_mul_f32 v[124:125], v[126:127], v[116:117] op_sel:[0,1]
	v_pk_fma_f32 v[128:129], v[126:127], v[114:115], v[124:125] op_sel:[0,0,1] op_sel_hi:[1,1,0] neg_lo:[0,0,1] neg_hi:[0,0,1]
	v_pk_fma_f32 v[124:125], v[126:127], v[114:115], v[124:125] op_sel:[0,0,1] op_sel_hi:[1,0,0]
	s_delay_alu instid0(VALU_DEP_1)
	v_mov_b32_e32 v129, v125
	ds_load_2addr_b64 v[124:127], v118 offset0:41 offset1:42
	v_pk_add_f32 v[22:23], v[22:23], v[130:131] neg_lo:[0,1] neg_hi:[0,1]
	v_pk_add_f32 v[84:85], v[84:85], v[128:129] neg_lo:[0,1] neg_hi:[0,1]
	s_wait_dscnt 0x0
	v_pk_mul_f32 v[128:129], v[124:125], v[116:117] op_sel:[0,1]
	s_delay_alu instid0(VALU_DEP_1) | instskip(SKIP_1) | instid1(VALU_DEP_1)
	v_pk_fma_f32 v[130:131], v[124:125], v[114:115], v[128:129] op_sel:[0,0,1] op_sel_hi:[1,1,0] neg_lo:[0,0,1] neg_hi:[0,0,1]
	v_pk_fma_f32 v[124:125], v[124:125], v[114:115], v[128:129] op_sel:[0,0,1] op_sel_hi:[1,0,0]
	v_mov_b32_e32 v131, v125
	v_pk_mul_f32 v[124:125], v[126:127], v[116:117] op_sel:[0,1]
	s_delay_alu instid0(VALU_DEP_1) | instskip(SKIP_1) | instid1(VALU_DEP_1)
	v_pk_fma_f32 v[128:129], v[126:127], v[114:115], v[124:125] op_sel:[0,0,1] op_sel_hi:[1,1,0] neg_lo:[0,0,1] neg_hi:[0,0,1]
	v_pk_fma_f32 v[124:125], v[126:127], v[114:115], v[124:125] op_sel:[0,0,1] op_sel_hi:[1,0,0]
	v_mov_b32_e32 v129, v125
	ds_load_2addr_b64 v[124:127], v118 offset0:43 offset1:44
	v_pk_add_f32 v[18:19], v[18:19], v[130:131] neg_lo:[0,1] neg_hi:[0,1]
	v_pk_add_f32 v[20:21], v[20:21], v[128:129] neg_lo:[0,1] neg_hi:[0,1]
	s_wait_dscnt 0x0
	v_dual_mul_f32 v128, v125, v117 :: v_dual_mul_f32 v130, v125, v114
	s_delay_alu instid0(VALU_DEP_1) | instskip(NEXT) | instid1(VALU_DEP_2)
	v_pk_fma_f32 v[128:129], v[124:125], v[74:75], v[128:129] op_sel_hi:[1,1,0] neg_lo:[0,0,1] neg_hi:[0,0,1]
	v_pk_fma_f32 v[124:125], v[124:125], v[74:75], v[130:131] op_sel:[1,0,0] op_sel_hi:[0,1,0]
	s_delay_alu instid0(VALU_DEP_1) | instskip(SKIP_1) | instid1(VALU_DEP_2)
	v_mov_b32_e32 v129, v125
	v_pk_mul_f32 v[124:125], v[126:127], v[116:117] op_sel:[0,1]
	v_pk_add_f32 v[16:17], v[16:17], v[128:129] neg_lo:[0,1] neg_hi:[0,1]
	s_delay_alu instid0(VALU_DEP_2) | instskip(SKIP_1) | instid1(VALU_DEP_1)
	v_pk_fma_f32 v[128:129], v[126:127], v[114:115], v[124:125] op_sel:[0,0,1] op_sel_hi:[1,1,0] neg_lo:[0,0,1] neg_hi:[0,0,1]
	v_pk_fma_f32 v[124:125], v[126:127], v[114:115], v[124:125] op_sel:[0,0,1] op_sel_hi:[1,0,0]
	v_mov_b32_e32 v129, v125
	ds_load_2addr_b64 v[124:127], v118 offset0:45 offset1:46
	v_pk_add_f32 v[82:83], v[82:83], v[128:129] neg_lo:[0,1] neg_hi:[0,1]
	s_wait_dscnt 0x0
	v_pk_mul_f32 v[128:129], v[124:125], v[116:117] op_sel:[0,1]
	s_delay_alu instid0(VALU_DEP_1) | instskip(SKIP_1) | instid1(VALU_DEP_1)
	v_pk_fma_f32 v[130:131], v[124:125], v[114:115], v[128:129] op_sel:[0,0,1] op_sel_hi:[1,1,0] neg_lo:[0,0,1] neg_hi:[0,0,1]
	v_pk_fma_f32 v[124:125], v[124:125], v[114:115], v[128:129] op_sel:[0,0,1] op_sel_hi:[1,0,0]
	v_mov_b32_e32 v131, v125
	v_pk_mul_f32 v[124:125], v[126:127], v[116:117] op_sel:[0,1]
	s_delay_alu instid0(VALU_DEP_2) | instskip(NEXT) | instid1(VALU_DEP_2)
	v_pk_add_f32 v[10:11], v[10:11], v[130:131] neg_lo:[0,1] neg_hi:[0,1]
	v_pk_fma_f32 v[128:129], v[126:127], v[114:115], v[124:125] op_sel:[0,0,1] op_sel_hi:[1,1,0] neg_lo:[0,0,1] neg_hi:[0,0,1]
	v_pk_fma_f32 v[124:125], v[126:127], v[114:115], v[124:125] op_sel:[0,0,1] op_sel_hi:[1,0,0]
	s_delay_alu instid0(VALU_DEP_1) | instskip(SKIP_4) | instid1(VALU_DEP_1)
	v_mov_b32_e32 v129, v125
	ds_load_2addr_b64 v[124:127], v118 offset0:47 offset1:48
	v_pk_add_f32 v[12:13], v[12:13], v[128:129] neg_lo:[0,1] neg_hi:[0,1]
	s_wait_dscnt 0x0
	v_pk_mul_f32 v[128:129], v[124:125], v[116:117] op_sel:[0,1]
	v_pk_fma_f32 v[130:131], v[124:125], v[114:115], v[128:129] op_sel:[0,0,1] op_sel_hi:[1,1,0] neg_lo:[0,0,1] neg_hi:[0,0,1]
	v_pk_fma_f32 v[124:125], v[124:125], v[114:115], v[128:129] op_sel:[0,0,1] op_sel_hi:[1,0,0]
	v_dual_mul_f32 v128, v127, v117 :: v_dual_mov_b32 v124, v127
	s_delay_alu instid0(VALU_DEP_2) | instskip(NEXT) | instid1(VALU_DEP_2)
	v_dual_mov_b32 v131, v125 :: v_dual_mov_b32 v125, v126
	v_pk_fma_f32 v[128:129], v[126:127], v[74:75], v[128:129] op_sel_hi:[1,1,0] neg_lo:[0,0,1] neg_hi:[0,0,1]
	v_mul_f32_e32 v126, v127, v114
	s_delay_alu instid0(VALU_DEP_3) | instskip(NEXT) | instid1(VALU_DEP_2)
	v_pk_add_f32 v[8:9], v[8:9], v[130:131] neg_lo:[0,1] neg_hi:[0,1]
	v_pk_fma_f32 v[124:125], v[124:125], v[74:75], v[126:127] op_sel_hi:[1,1,0]
	s_delay_alu instid0(VALU_DEP_1) | instskip(SKIP_4) | instid1(VALU_DEP_1)
	v_mov_b32_e32 v129, v125
	ds_load_2addr_b64 v[124:127], v118 offset0:49 offset1:50
	v_pk_add_f32 v[66:67], v[66:67], v[128:129] neg_lo:[0,1] neg_hi:[0,1]
	s_wait_dscnt 0x0
	v_pk_mul_f32 v[128:129], v[124:125], v[116:117] op_sel:[0,1]
	v_pk_fma_f32 v[130:131], v[124:125], v[114:115], v[128:129] op_sel:[0,0,1] op_sel_hi:[1,1,0] neg_lo:[0,0,1] neg_hi:[0,0,1]
	v_pk_fma_f32 v[124:125], v[124:125], v[114:115], v[128:129] op_sel:[0,0,1] op_sel_hi:[1,0,0]
	s_delay_alu instid0(VALU_DEP_1) | instskip(SKIP_1) | instid1(VALU_DEP_1)
	v_mov_b32_e32 v131, v125
	v_pk_mul_f32 v[124:125], v[126:127], v[116:117] op_sel:[0,1]
	v_pk_fma_f32 v[128:129], v[126:127], v[114:115], v[124:125] op_sel:[0,0,1] op_sel_hi:[1,1,0] neg_lo:[0,0,1] neg_hi:[0,0,1]
	v_pk_fma_f32 v[124:125], v[126:127], v[114:115], v[124:125] op_sel:[0,0,1] op_sel_hi:[1,0,0]
	s_delay_alu instid0(VALU_DEP_1)
	v_mov_b32_e32 v129, v125
	ds_load_2addr_b64 v[124:127], v118 offset0:51 offset1:52
	v_pk_add_f32 v[6:7], v[6:7], v[130:131] neg_lo:[0,1] neg_hi:[0,1]
	v_pk_add_f32 v[46:47], v[46:47], v[128:129] neg_lo:[0,1] neg_hi:[0,1]
	s_wait_dscnt 0x0
	v_pk_mul_f32 v[128:129], v[124:125], v[116:117] op_sel:[0,1]
	s_delay_alu instid0(VALU_DEP_1) | instskip(SKIP_1) | instid1(VALU_DEP_1)
	v_pk_fma_f32 v[130:131], v[124:125], v[114:115], v[128:129] op_sel:[0,0,1] op_sel_hi:[1,1,0] neg_lo:[0,0,1] neg_hi:[0,0,1]
	v_pk_fma_f32 v[124:125], v[124:125], v[114:115], v[128:129] op_sel:[0,0,1] op_sel_hi:[1,0,0]
	v_mov_b32_e32 v131, v125
	v_pk_mul_f32 v[124:125], v[126:127], v[116:117] op_sel:[0,1]
	s_delay_alu instid0(VALU_DEP_1) | instskip(SKIP_1) | instid1(VALU_DEP_1)
	v_pk_fma_f32 v[128:129], v[126:127], v[114:115], v[124:125] op_sel:[0,0,1] op_sel_hi:[1,1,0] neg_lo:[0,0,1] neg_hi:[0,0,1]
	v_pk_fma_f32 v[124:125], v[126:127], v[114:115], v[124:125] op_sel:[0,0,1] op_sel_hi:[1,0,0]
	v_mov_b32_e32 v129, v125
	ds_load_b64 v[124:125], v118 offset:424
	v_pk_add_f32 v[28:29], v[28:29], v[130:131] neg_lo:[0,1] neg_hi:[0,1]
	v_pk_add_f32 v[14:15], v[14:15], v[128:129] neg_lo:[0,1] neg_hi:[0,1]
	s_wait_dscnt 0x0
	v_pk_mul_f32 v[116:117], v[124:125], v[116:117] op_sel:[0,1]
	s_delay_alu instid0(VALU_DEP_1) | instskip(SKIP_1) | instid1(VALU_DEP_1)
	v_pk_fma_f32 v[126:127], v[124:125], v[114:115], v[116:117] op_sel:[0,0,1] op_sel_hi:[1,1,0] neg_lo:[0,0,1] neg_hi:[0,0,1]
	v_pk_fma_f32 v[114:115], v[124:125], v[114:115], v[116:117] op_sel:[0,0,1] op_sel_hi:[1,0,0]
	v_mov_b32_e32 v127, v115
	s_delay_alu instid0(VALU_DEP_1)
	v_pk_add_f32 v[112:113], v[112:113], v[126:127] neg_lo:[0,1] neg_hi:[0,1]
.LBB106_314:
	s_or_b32 exec_lo, exec_lo, s0
	v_lshl_add_u32 v114, v122, 3, v118
	s_barrier_signal -1
	s_barrier_wait -1
	ds_store_b64 v114, v[70:71]
	s_wait_dscnt 0x0
	s_barrier_signal -1
	s_barrier_wait -1
	ds_load_b64 v[116:117], v118 offset:120
	v_mov_b32_e32 v114, 15
	s_cmp_lt_i32 s18, 17
	s_cbranch_scc1 .LBB106_317
; %bb.315:
	v_add3_u32 v115, v119, 0, 0x80
	v_mov_b32_e32 v114, 15
	s_mov_b32 s0, 16
.LBB106_316:                            ; =>This Inner Loop Header: Depth=1
	ds_load_b64 v[124:125], v115
	s_wait_dscnt 0x1
	v_cmp_gt_f32_e32 vcc_lo, 0, v116
	v_cndmask_b32_e64 v126, v116, -v116, vcc_lo
	v_cmp_gt_f32_e32 vcc_lo, 0, v117
	v_cndmask_b32_e64 v128, v117, -v117, vcc_lo
	s_wait_dscnt 0x0
	v_cmp_gt_f32_e32 vcc_lo, 0, v124
	v_cndmask_b32_e64 v127, v124, -v124, vcc_lo
	v_cmp_gt_f32_e32 vcc_lo, 0, v125
	v_cndmask_b32_e64 v129, v125, -v125, vcc_lo
	s_delay_alu instid0(VALU_DEP_1) | instskip(NEXT) | instid1(VALU_DEP_1)
	v_pk_add_f32 v[126:127], v[126:127], v[128:129]
	v_cmp_lt_f32_e32 vcc_lo, v126, v127
	v_dual_add_nc_u32 v115, 8, v115 :: v_dual_cndmask_b32 v117, v117, v125, vcc_lo
	v_cndmask_b32_e32 v116, v116, v124, vcc_lo
	v_cndmask_b32_e64 v114, v114, s0, vcc_lo
	s_add_co_i32 s0, s0, 1
	s_delay_alu instid0(SALU_CYCLE_1)
	s_cmp_lg_u32 s18, s0
	s_cbranch_scc1 .LBB106_316
.LBB106_317:
	s_wait_dscnt 0x0
	v_cmp_eq_f32_e32 vcc_lo, 0, v116
	v_cmp_eq_f32_e64 s0, 0, v117
	s_and_b32 s0, vcc_lo, s0
	s_delay_alu instid0(SALU_CYCLE_1) | instskip(NEXT) | instid1(SALU_CYCLE_1)
	s_and_saveexec_b32 s1, s0
	s_xor_b32 s0, exec_lo, s1
; %bb.318:
	v_cmp_ne_u32_e32 vcc_lo, 0, v120
	v_cndmask_b32_e32 v120, 16, v120, vcc_lo
; %bb.319:
	s_and_not1_saveexec_b32 s0, s0
	s_cbranch_execz .LBB106_325
; %bb.320:
	v_cmp_ngt_f32_e64 s1, |v116|, |v117|
	s_and_saveexec_b32 s12, s1
	s_delay_alu instid0(SALU_CYCLE_1)
	s_xor_b32 s1, exec_lo, s12
	s_cbranch_execz .LBB106_322
; %bb.321:
	v_div_scale_f32 v115, null, v117, v117, v116
	v_div_scale_f32 v125, vcc_lo, v116, v117, v116
	s_delay_alu instid0(VALU_DEP_2) | instskip(SKIP_1) | instid1(TRANS32_DEP_1)
	v_rcp_f32_e32 v123, v115
	v_nop
	v_fma_f32 v124, -v115, v123, 1.0
	s_delay_alu instid0(VALU_DEP_1) | instskip(NEXT) | instid1(VALU_DEP_1)
	v_fmac_f32_e32 v123, v124, v123
	v_mul_f32_e32 v124, v125, v123
	s_delay_alu instid0(VALU_DEP_1) | instskip(NEXT) | instid1(VALU_DEP_1)
	v_fma_f32 v126, -v115, v124, v125
	v_fmac_f32_e32 v124, v126, v123
	s_delay_alu instid0(VALU_DEP_1) | instskip(NEXT) | instid1(VALU_DEP_1)
	v_fma_f32 v115, -v115, v124, v125
	v_div_fmas_f32 v115, v115, v123, v124
	s_delay_alu instid0(VALU_DEP_1) | instskip(NEXT) | instid1(VALU_DEP_1)
	v_div_fixup_f32 v115, v115, v117, v116
	v_fmac_f32_e32 v117, v116, v115
	s_delay_alu instid0(VALU_DEP_1) | instskip(SKIP_1) | instid1(VALU_DEP_2)
	v_div_scale_f32 v116, null, v117, v117, 1.0
	v_div_scale_f32 v125, vcc_lo, 1.0, v117, 1.0
	v_rcp_f32_e32 v123, v116
	v_nop
	s_delay_alu instid0(TRANS32_DEP_1) | instskip(NEXT) | instid1(VALU_DEP_1)
	v_fma_f32 v124, -v116, v123, 1.0
	v_fmac_f32_e32 v123, v124, v123
	s_delay_alu instid0(VALU_DEP_1) | instskip(NEXT) | instid1(VALU_DEP_1)
	v_mul_f32_e32 v124, v125, v123
	v_fma_f32 v126, -v116, v124, v125
	s_delay_alu instid0(VALU_DEP_1) | instskip(NEXT) | instid1(VALU_DEP_1)
	v_fmac_f32_e32 v124, v126, v123
	v_fma_f32 v116, -v116, v124, v125
	s_delay_alu instid0(VALU_DEP_1) | instskip(NEXT) | instid1(VALU_DEP_1)
	v_div_fmas_f32 v116, v116, v123, v124
	v_div_fixup_f32 v117, v116, v117, 1.0
	s_delay_alu instid0(VALU_DEP_1)
	v_mul_f32_e32 v116, v115, v117
	v_xor_b32_e32 v117, 0x80000000, v117
.LBB106_322:
	s_and_not1_saveexec_b32 s1, s1
	s_cbranch_execz .LBB106_324
; %bb.323:
	s_delay_alu instid0(VALU_DEP_1) | instskip(SKIP_1) | instid1(VALU_DEP_2)
	v_div_scale_f32 v115, null, v116, v116, v117
	v_div_scale_f32 v125, vcc_lo, v117, v116, v117
	v_rcp_f32_e32 v123, v115
	v_nop
	s_delay_alu instid0(TRANS32_DEP_1) | instskip(NEXT) | instid1(VALU_DEP_1)
	v_fma_f32 v124, -v115, v123, 1.0
	v_fmac_f32_e32 v123, v124, v123
	s_delay_alu instid0(VALU_DEP_1) | instskip(NEXT) | instid1(VALU_DEP_1)
	v_mul_f32_e32 v124, v125, v123
	v_fma_f32 v126, -v115, v124, v125
	s_delay_alu instid0(VALU_DEP_1) | instskip(NEXT) | instid1(VALU_DEP_1)
	v_fmac_f32_e32 v124, v126, v123
	v_fma_f32 v115, -v115, v124, v125
	s_delay_alu instid0(VALU_DEP_1) | instskip(NEXT) | instid1(VALU_DEP_1)
	v_div_fmas_f32 v115, v115, v123, v124
	v_div_fixup_f32 v115, v115, v116, v117
	s_delay_alu instid0(VALU_DEP_1) | instskip(NEXT) | instid1(VALU_DEP_1)
	v_fmac_f32_e32 v116, v117, v115
	v_div_scale_f32 v117, null, v116, v116, 1.0
	s_delay_alu instid0(VALU_DEP_1) | instskip(SKIP_1) | instid1(TRANS32_DEP_1)
	v_rcp_f32_e32 v123, v117
	v_nop
	v_fma_f32 v124, -v117, v123, 1.0
	s_delay_alu instid0(VALU_DEP_1) | instskip(SKIP_1) | instid1(VALU_DEP_1)
	v_fmac_f32_e32 v123, v124, v123
	v_div_scale_f32 v124, vcc_lo, 1.0, v116, 1.0
	v_mul_f32_e32 v125, v124, v123
	s_delay_alu instid0(VALU_DEP_1) | instskip(NEXT) | instid1(VALU_DEP_1)
	v_fma_f32 v126, -v117, v125, v124
	v_fmac_f32_e32 v125, v126, v123
	s_delay_alu instid0(VALU_DEP_1) | instskip(NEXT) | instid1(VALU_DEP_1)
	v_fma_f32 v117, -v117, v125, v124
	v_div_fmas_f32 v117, v117, v123, v125
	s_delay_alu instid0(VALU_DEP_1) | instskip(NEXT) | instid1(VALU_DEP_1)
	v_div_fixup_f32 v116, v117, v116, 1.0
	v_mul_f32_e64 v117, v115, -v116
.LBB106_324:
	s_or_b32 exec_lo, exec_lo, s1
.LBB106_325:
	s_delay_alu instid0(SALU_CYCLE_1) | instskip(NEXT) | instid1(SALU_CYCLE_1)
	s_or_b32 exec_lo, exec_lo, s0
	s_mov_b32 s0, exec_lo
	v_cmpx_ne_u32_e64 v122, v114
	s_xor_b32 s0, exec_lo, s0
	s_cbranch_execz .LBB106_331
; %bb.326:
	s_mov_b32 s1, exec_lo
	v_cmpx_eq_u32_e32 15, v122
	s_cbranch_execz .LBB106_330
; %bb.327:
	v_cmp_ne_u32_e32 vcc_lo, 15, v114
	s_xor_b32 s12, s16, -1
	s_delay_alu instid0(SALU_CYCLE_1) | instskip(NEXT) | instid1(SALU_CYCLE_1)
	s_and_b32 s13, s12, vcc_lo
	s_and_saveexec_b32 s12, s13
	s_cbranch_execz .LBB106_329
; %bb.328:
	v_ashrrev_i32_e32 v115, 31, v114
	s_delay_alu instid0(VALU_DEP_1)
	v_lshl_add_u64 v[122:123], v[114:115], 2, v[4:5]
	s_clause 0x1
	global_load_b32 v115, v[122:123], off
	global_load_b32 v121, v[4:5], off offset:60
	s_wait_loadcnt 0x1
	global_store_b32 v[4:5], v115, off offset:60
	s_wait_loadcnt 0x0
	global_store_b32 v[122:123], v121, off
.LBB106_329:
	s_wait_xcnt 0x0
	s_or_b32 exec_lo, exec_lo, s12
	v_dual_mov_b32 v122, v114 :: v_dual_mov_b32 v121, v114
.LBB106_330:
	s_or_b32 exec_lo, exec_lo, s1
.LBB106_331:
	s_and_not1_saveexec_b32 s0, s0
	s_cbranch_execz .LBB106_333
; %bb.332:
	v_dual_mov_b32 v114, v98 :: v_dual_mov_b32 v115, v99
	v_dual_mov_b32 v122, v64 :: v_dual_mov_b32 v123, v65
	;; [unrolled: 1-line block ×4, first 2 shown]
	ds_store_2addr_b64 v118, v[114:115], v[122:123] offset0:16 offset1:17
	ds_store_2addr_b64 v118, v[124:125], v[126:127] offset0:18 offset1:19
	v_dual_mov_b32 v114, v96 :: v_dual_mov_b32 v115, v97
	v_dual_mov_b32 v122, v58 :: v_dual_mov_b32 v123, v59
	;; [unrolled: 1-line block ×12, first 2 shown]
	ds_store_2addr_b64 v118, v[114:115], v[122:123] offset0:20 offset1:21
	ds_store_2addr_b64 v118, v[124:125], v[126:127] offset0:22 offset1:23
	;; [unrolled: 1-line block ×6, first 2 shown]
	v_dual_mov_b32 v114, v88 :: v_dual_mov_b32 v115, v89
	v_dual_mov_b32 v122, v32 :: v_dual_mov_b32 v123, v33
	;; [unrolled: 1-line block ×12, first 2 shown]
	ds_store_2addr_b64 v118, v[114:115], v[122:123] offset0:32 offset1:33
	ds_store_2addr_b64 v118, v[124:125], v[126:127] offset0:34 offset1:35
	;; [unrolled: 1-line block ×6, first 2 shown]
	v_dual_mov_b32 v114, v82 :: v_dual_mov_b32 v115, v83
	v_dual_mov_b32 v124, v10 :: v_dual_mov_b32 v125, v11
	;; [unrolled: 1-line block ×9, first 2 shown]
	v_mov_b32_e32 v139, v15
	ds_store_2addr_b64 v118, v[114:115], v[124:125] offset0:44 offset1:45
	ds_store_2addr_b64 v118, v[126:127], v[128:129] offset0:46 offset1:47
	;; [unrolled: 1-line block ×5, first 2 shown]
.LBB106_333:
	s_or_b32 exec_lo, exec_lo, s0
	s_delay_alu instid0(SALU_CYCLE_1)
	s_mov_b32 s0, exec_lo
	s_wait_storecnt_dscnt 0x0
	s_barrier_signal -1
	s_barrier_wait -1
	v_cmpx_lt_i32_e32 15, v122
	s_cbranch_execz .LBB106_335
; %bb.334:
	v_pk_mul_f32 v[124:125], v[116:117], v[70:71] op_sel:[1,1] op_sel_hi:[0,1]
	s_delay_alu instid0(VALU_DEP_1)
	v_pk_fma_f32 v[114:115], v[116:117], v[70:71], v[124:125] op_sel_hi:[1,0,1] neg_lo:[0,0,1] neg_hi:[0,0,1]
	v_pk_fma_f32 v[116:117], v[116:117], v[70:71], v[124:125] op_sel_hi:[1,0,1]
	ds_load_2addr_b64 v[124:127], v118 offset0:16 offset1:17
	v_dual_mov_b32 v70, v114 :: v_dual_mov_b32 v71, v117
	s_wait_dscnt 0x0
	v_pk_mul_f32 v[128:129], v[124:125], v[116:117] op_sel:[0,1]
	s_delay_alu instid0(VALU_DEP_1) | instskip(SKIP_1) | instid1(VALU_DEP_1)
	v_pk_fma_f32 v[130:131], v[124:125], v[114:115], v[128:129] op_sel:[0,0,1] op_sel_hi:[1,1,0] neg_lo:[0,0,1] neg_hi:[0,0,1]
	v_pk_fma_f32 v[124:125], v[124:125], v[114:115], v[128:129] op_sel:[0,0,1] op_sel_hi:[1,0,0]
	v_mov_b32_e32 v131, v125
	v_pk_mul_f32 v[124:125], v[126:127], v[116:117] op_sel:[0,1]
	s_delay_alu instid0(VALU_DEP_1) | instskip(SKIP_1) | instid1(VALU_DEP_1)
	v_pk_fma_f32 v[128:129], v[126:127], v[114:115], v[124:125] op_sel:[0,0,1] op_sel_hi:[1,1,0] neg_lo:[0,0,1] neg_hi:[0,0,1]
	v_pk_fma_f32 v[124:125], v[126:127], v[114:115], v[124:125] op_sel:[0,0,1] op_sel_hi:[1,0,0]
	v_mov_b32_e32 v129, v125
	ds_load_2addr_b64 v[124:127], v118 offset0:18 offset1:19
	v_pk_add_f32 v[98:99], v[98:99], v[130:131] neg_lo:[0,1] neg_hi:[0,1]
	v_pk_add_f32 v[64:65], v[64:65], v[128:129] neg_lo:[0,1] neg_hi:[0,1]
	s_wait_dscnt 0x0
	v_pk_mul_f32 v[128:129], v[124:125], v[116:117] op_sel:[0,1]
	s_delay_alu instid0(VALU_DEP_1) | instskip(SKIP_2) | instid1(VALU_DEP_2)
	v_pk_fma_f32 v[130:131], v[124:125], v[114:115], v[128:129] op_sel:[0,0,1] op_sel_hi:[1,1,0] neg_lo:[0,0,1] neg_hi:[0,0,1]
	v_pk_fma_f32 v[124:125], v[124:125], v[114:115], v[128:129] op_sel:[0,0,1] op_sel_hi:[1,0,0]
	v_dual_mul_f32 v128, v127, v117 :: v_dual_mov_b32 v124, v127
	v_dual_mov_b32 v131, v125 :: v_dual_mov_b32 v125, v126
	s_delay_alu instid0(VALU_DEP_2) | instskip(SKIP_1) | instid1(VALU_DEP_3)
	v_pk_fma_f32 v[128:129], v[126:127], v[70:71], v[128:129] op_sel_hi:[1,1,0] neg_lo:[0,0,1] neg_hi:[0,0,1]
	v_mul_f32_e32 v126, v127, v114
	v_pk_add_f32 v[68:69], v[68:69], v[130:131] neg_lo:[0,1] neg_hi:[0,1]
	s_delay_alu instid0(VALU_DEP_2) | instskip(NEXT) | instid1(VALU_DEP_1)
	v_pk_fma_f32 v[124:125], v[124:125], v[70:71], v[126:127] op_sel_hi:[1,1,0]
	v_mov_b32_e32 v129, v125
	ds_load_2addr_b64 v[124:127], v118 offset0:20 offset1:21
	v_pk_add_f32 v[62:63], v[62:63], v[128:129] neg_lo:[0,1] neg_hi:[0,1]
	s_wait_dscnt 0x0
	v_pk_mul_f32 v[128:129], v[124:125], v[116:117] op_sel:[0,1]
	s_delay_alu instid0(VALU_DEP_1) | instskip(SKIP_1) | instid1(VALU_DEP_1)
	v_pk_fma_f32 v[130:131], v[124:125], v[114:115], v[128:129] op_sel:[0,0,1] op_sel_hi:[1,1,0] neg_lo:[0,0,1] neg_hi:[0,0,1]
	v_pk_fma_f32 v[124:125], v[124:125], v[114:115], v[128:129] op_sel:[0,0,1] op_sel_hi:[1,0,0]
	v_mov_b32_e32 v131, v125
	v_pk_mul_f32 v[124:125], v[126:127], v[116:117] op_sel:[0,1]
	s_delay_alu instid0(VALU_DEP_1) | instskip(SKIP_1) | instid1(VALU_DEP_1)
	v_pk_fma_f32 v[128:129], v[126:127], v[114:115], v[124:125] op_sel:[0,0,1] op_sel_hi:[1,1,0] neg_lo:[0,0,1] neg_hi:[0,0,1]
	v_pk_fma_f32 v[124:125], v[126:127], v[114:115], v[124:125] op_sel:[0,0,1] op_sel_hi:[1,0,0]
	v_mov_b32_e32 v129, v125
	ds_load_2addr_b64 v[124:127], v118 offset0:22 offset1:23
	v_pk_add_f32 v[96:97], v[96:97], v[130:131] neg_lo:[0,1] neg_hi:[0,1]
	v_pk_add_f32 v[58:59], v[58:59], v[128:129] neg_lo:[0,1] neg_hi:[0,1]
	s_wait_dscnt 0x0
	v_pk_mul_f32 v[128:129], v[124:125], v[116:117] op_sel:[0,1]
	s_delay_alu instid0(VALU_DEP_1) | instskip(SKIP_1) | instid1(VALU_DEP_1)
	v_pk_fma_f32 v[130:131], v[124:125], v[114:115], v[128:129] op_sel:[0,0,1] op_sel_hi:[1,1,0] neg_lo:[0,0,1] neg_hi:[0,0,1]
	v_pk_fma_f32 v[124:125], v[124:125], v[114:115], v[128:129] op_sel:[0,0,1] op_sel_hi:[1,0,0]
	v_mov_b32_e32 v131, v125
	v_pk_mul_f32 v[124:125], v[126:127], v[116:117] op_sel:[0,1]
	s_delay_alu instid0(VALU_DEP_1) | instskip(SKIP_1) | instid1(VALU_DEP_1)
	v_pk_fma_f32 v[128:129], v[126:127], v[114:115], v[124:125] op_sel:[0,0,1] op_sel_hi:[1,1,0] neg_lo:[0,0,1] neg_hi:[0,0,1]
	v_pk_fma_f32 v[124:125], v[126:127], v[114:115], v[124:125] op_sel:[0,0,1] op_sel_hi:[1,0,0]
	v_mov_b32_e32 v129, v125
	ds_load_2addr_b64 v[124:127], v118 offset0:24 offset1:25
	v_pk_add_f32 v[60:61], v[60:61], v[130:131] neg_lo:[0,1] neg_hi:[0,1]
	v_pk_add_f32 v[56:57], v[56:57], v[128:129] neg_lo:[0,1] neg_hi:[0,1]
	s_wait_dscnt 0x0
	v_dual_mul_f32 v128, v125, v117 :: v_dual_mul_f32 v130, v125, v114
	s_delay_alu instid0(VALU_DEP_1) | instskip(NEXT) | instid1(VALU_DEP_2)
	v_pk_fma_f32 v[128:129], v[124:125], v[70:71], v[128:129] op_sel_hi:[1,1,0] neg_lo:[0,0,1] neg_hi:[0,0,1]
	v_pk_fma_f32 v[124:125], v[124:125], v[70:71], v[130:131] op_sel:[1,0,0] op_sel_hi:[0,1,0]
	s_delay_alu instid0(VALU_DEP_1) | instskip(SKIP_1) | instid1(VALU_DEP_2)
	v_mov_b32_e32 v129, v125
	v_pk_mul_f32 v[124:125], v[126:127], v[116:117] op_sel:[0,1]
	v_pk_add_f32 v[94:95], v[94:95], v[128:129] neg_lo:[0,1] neg_hi:[0,1]
	s_delay_alu instid0(VALU_DEP_2) | instskip(SKIP_1) | instid1(VALU_DEP_1)
	v_pk_fma_f32 v[128:129], v[126:127], v[114:115], v[124:125] op_sel:[0,0,1] op_sel_hi:[1,1,0] neg_lo:[0,0,1] neg_hi:[0,0,1]
	v_pk_fma_f32 v[124:125], v[126:127], v[114:115], v[124:125] op_sel:[0,0,1] op_sel_hi:[1,0,0]
	v_mov_b32_e32 v129, v125
	ds_load_2addr_b64 v[124:127], v118 offset0:26 offset1:27
	v_pk_add_f32 v[52:53], v[52:53], v[128:129] neg_lo:[0,1] neg_hi:[0,1]
	s_wait_dscnt 0x0
	v_pk_mul_f32 v[128:129], v[124:125], v[116:117] op_sel:[0,1]
	s_delay_alu instid0(VALU_DEP_1) | instskip(SKIP_1) | instid1(VALU_DEP_1)
	v_pk_fma_f32 v[130:131], v[124:125], v[114:115], v[128:129] op_sel:[0,0,1] op_sel_hi:[1,1,0] neg_lo:[0,0,1] neg_hi:[0,0,1]
	v_pk_fma_f32 v[124:125], v[124:125], v[114:115], v[128:129] op_sel:[0,0,1] op_sel_hi:[1,0,0]
	v_mov_b32_e32 v131, v125
	v_pk_mul_f32 v[124:125], v[126:127], v[116:117] op_sel:[0,1]
	s_delay_alu instid0(VALU_DEP_2) | instskip(NEXT) | instid1(VALU_DEP_2)
	v_pk_add_f32 v[54:55], v[54:55], v[130:131] neg_lo:[0,1] neg_hi:[0,1]
	v_pk_fma_f32 v[128:129], v[126:127], v[114:115], v[124:125] op_sel:[0,0,1] op_sel_hi:[1,1,0] neg_lo:[0,0,1] neg_hi:[0,0,1]
	v_pk_fma_f32 v[124:125], v[126:127], v[114:115], v[124:125] op_sel:[0,0,1] op_sel_hi:[1,0,0]
	s_delay_alu instid0(VALU_DEP_1) | instskip(SKIP_4) | instid1(VALU_DEP_1)
	v_mov_b32_e32 v129, v125
	ds_load_2addr_b64 v[124:127], v118 offset0:28 offset1:29
	v_pk_add_f32 v[50:51], v[50:51], v[128:129] neg_lo:[0,1] neg_hi:[0,1]
	s_wait_dscnt 0x0
	v_pk_mul_f32 v[128:129], v[124:125], v[116:117] op_sel:[0,1]
	v_pk_fma_f32 v[130:131], v[124:125], v[114:115], v[128:129] op_sel:[0,0,1] op_sel_hi:[1,1,0] neg_lo:[0,0,1] neg_hi:[0,0,1]
	v_pk_fma_f32 v[124:125], v[124:125], v[114:115], v[128:129] op_sel:[0,0,1] op_sel_hi:[1,0,0]
	v_dual_mul_f32 v128, v127, v117 :: v_dual_mov_b32 v124, v127
	s_delay_alu instid0(VALU_DEP_2) | instskip(NEXT) | instid1(VALU_DEP_2)
	v_dual_mov_b32 v131, v125 :: v_dual_mov_b32 v125, v126
	v_pk_fma_f32 v[128:129], v[126:127], v[70:71], v[128:129] op_sel_hi:[1,1,0] neg_lo:[0,0,1] neg_hi:[0,0,1]
	v_mul_f32_e32 v126, v127, v114
	s_delay_alu instid0(VALU_DEP_3) | instskip(NEXT) | instid1(VALU_DEP_2)
	v_pk_add_f32 v[90:91], v[90:91], v[130:131] neg_lo:[0,1] neg_hi:[0,1]
	v_pk_fma_f32 v[124:125], v[124:125], v[70:71], v[126:127] op_sel_hi:[1,1,0]
	s_delay_alu instid0(VALU_DEP_1) | instskip(SKIP_4) | instid1(VALU_DEP_1)
	v_mov_b32_e32 v129, v125
	ds_load_2addr_b64 v[124:127], v118 offset0:30 offset1:31
	v_pk_add_f32 v[38:39], v[38:39], v[128:129] neg_lo:[0,1] neg_hi:[0,1]
	s_wait_dscnt 0x0
	v_pk_mul_f32 v[128:129], v[124:125], v[116:117] op_sel:[0,1]
	v_pk_fma_f32 v[130:131], v[124:125], v[114:115], v[128:129] op_sel:[0,0,1] op_sel_hi:[1,1,0] neg_lo:[0,0,1] neg_hi:[0,0,1]
	v_pk_fma_f32 v[124:125], v[124:125], v[114:115], v[128:129] op_sel:[0,0,1] op_sel_hi:[1,0,0]
	s_delay_alu instid0(VALU_DEP_1) | instskip(SKIP_1) | instid1(VALU_DEP_1)
	v_mov_b32_e32 v131, v125
	v_pk_mul_f32 v[124:125], v[126:127], v[116:117] op_sel:[0,1]
	v_pk_fma_f32 v[128:129], v[126:127], v[114:115], v[124:125] op_sel:[0,0,1] op_sel_hi:[1,1,0] neg_lo:[0,0,1] neg_hi:[0,0,1]
	v_pk_fma_f32 v[124:125], v[126:127], v[114:115], v[124:125] op_sel:[0,0,1] op_sel_hi:[1,0,0]
	s_delay_alu instid0(VALU_DEP_1)
	v_mov_b32_e32 v129, v125
	ds_load_2addr_b64 v[124:127], v118 offset0:32 offset1:33
	v_pk_add_f32 v[40:41], v[40:41], v[130:131] neg_lo:[0,1] neg_hi:[0,1]
	v_pk_add_f32 v[36:37], v[36:37], v[128:129] neg_lo:[0,1] neg_hi:[0,1]
	s_wait_dscnt 0x0
	v_pk_mul_f32 v[128:129], v[124:125], v[116:117] op_sel:[0,1]
	s_delay_alu instid0(VALU_DEP_1) | instskip(SKIP_1) | instid1(VALU_DEP_1)
	v_pk_fma_f32 v[130:131], v[124:125], v[114:115], v[128:129] op_sel:[0,0,1] op_sel_hi:[1,1,0] neg_lo:[0,0,1] neg_hi:[0,0,1]
	v_pk_fma_f32 v[124:125], v[124:125], v[114:115], v[128:129] op_sel:[0,0,1] op_sel_hi:[1,0,0]
	v_mov_b32_e32 v131, v125
	v_pk_mul_f32 v[124:125], v[126:127], v[116:117] op_sel:[0,1]
	s_delay_alu instid0(VALU_DEP_1) | instskip(SKIP_1) | instid1(VALU_DEP_1)
	v_pk_fma_f32 v[128:129], v[126:127], v[114:115], v[124:125] op_sel:[0,0,1] op_sel_hi:[1,1,0] neg_lo:[0,0,1] neg_hi:[0,0,1]
	v_pk_fma_f32 v[124:125], v[126:127], v[114:115], v[124:125] op_sel:[0,0,1] op_sel_hi:[1,0,0]
	v_mov_b32_e32 v129, v125
	ds_load_2addr_b64 v[124:127], v118 offset0:34 offset1:35
	v_pk_add_f32 v[88:89], v[88:89], v[130:131] neg_lo:[0,1] neg_hi:[0,1]
	v_pk_add_f32 v[32:33], v[32:33], v[128:129] neg_lo:[0,1] neg_hi:[0,1]
	s_wait_dscnt 0x0
	v_dual_mul_f32 v128, v125, v117 :: v_dual_mul_f32 v130, v125, v114
	s_delay_alu instid0(VALU_DEP_1) | instskip(NEXT) | instid1(VALU_DEP_2)
	v_pk_fma_f32 v[128:129], v[124:125], v[70:71], v[128:129] op_sel_hi:[1,1,0] neg_lo:[0,0,1] neg_hi:[0,0,1]
	v_pk_fma_f32 v[124:125], v[124:125], v[70:71], v[130:131] op_sel:[1,0,0] op_sel_hi:[0,1,0]
	s_delay_alu instid0(VALU_DEP_1) | instskip(SKIP_1) | instid1(VALU_DEP_2)
	v_mov_b32_e32 v129, v125
	v_pk_mul_f32 v[124:125], v[126:127], v[116:117] op_sel:[0,1]
	v_pk_add_f32 v[34:35], v[34:35], v[128:129] neg_lo:[0,1] neg_hi:[0,1]
	s_delay_alu instid0(VALU_DEP_2) | instskip(SKIP_1) | instid1(VALU_DEP_1)
	v_pk_fma_f32 v[128:129], v[126:127], v[114:115], v[124:125] op_sel:[0,0,1] op_sel_hi:[1,1,0] neg_lo:[0,0,1] neg_hi:[0,0,1]
	v_pk_fma_f32 v[124:125], v[126:127], v[114:115], v[124:125] op_sel:[0,0,1] op_sel_hi:[1,0,0]
	v_mov_b32_e32 v129, v125
	ds_load_2addr_b64 v[124:127], v118 offset0:36 offset1:37
	v_pk_add_f32 v[30:31], v[30:31], v[128:129] neg_lo:[0,1] neg_hi:[0,1]
	s_wait_dscnt 0x0
	v_pk_mul_f32 v[128:129], v[124:125], v[116:117] op_sel:[0,1]
	s_delay_alu instid0(VALU_DEP_1) | instskip(SKIP_1) | instid1(VALU_DEP_1)
	v_pk_fma_f32 v[130:131], v[124:125], v[114:115], v[128:129] op_sel:[0,0,1] op_sel_hi:[1,1,0] neg_lo:[0,0,1] neg_hi:[0,0,1]
	v_pk_fma_f32 v[124:125], v[124:125], v[114:115], v[128:129] op_sel:[0,0,1] op_sel_hi:[1,0,0]
	v_mov_b32_e32 v131, v125
	v_pk_mul_f32 v[124:125], v[126:127], v[116:117] op_sel:[0,1]
	s_delay_alu instid0(VALU_DEP_2) | instskip(NEXT) | instid1(VALU_DEP_2)
	v_pk_add_f32 v[86:87], v[86:87], v[130:131] neg_lo:[0,1] neg_hi:[0,1]
	v_pk_fma_f32 v[128:129], v[126:127], v[114:115], v[124:125] op_sel:[0,0,1] op_sel_hi:[1,1,0] neg_lo:[0,0,1] neg_hi:[0,0,1]
	v_pk_fma_f32 v[124:125], v[126:127], v[114:115], v[124:125] op_sel:[0,0,1] op_sel_hi:[1,0,0]
	s_delay_alu instid0(VALU_DEP_1) | instskip(SKIP_4) | instid1(VALU_DEP_1)
	v_mov_b32_e32 v129, v125
	ds_load_2addr_b64 v[124:127], v118 offset0:38 offset1:39
	v_pk_add_f32 v[24:25], v[24:25], v[128:129] neg_lo:[0,1] neg_hi:[0,1]
	s_wait_dscnt 0x0
	v_pk_mul_f32 v[128:129], v[124:125], v[116:117] op_sel:[0,1]
	v_pk_fma_f32 v[130:131], v[124:125], v[114:115], v[128:129] op_sel:[0,0,1] op_sel_hi:[1,1,0] neg_lo:[0,0,1] neg_hi:[0,0,1]
	v_pk_fma_f32 v[124:125], v[124:125], v[114:115], v[128:129] op_sel:[0,0,1] op_sel_hi:[1,0,0]
	v_dual_mul_f32 v128, v127, v117 :: v_dual_mov_b32 v124, v127
	s_delay_alu instid0(VALU_DEP_2) | instskip(NEXT) | instid1(VALU_DEP_2)
	v_dual_mov_b32 v131, v125 :: v_dual_mov_b32 v125, v126
	v_pk_fma_f32 v[128:129], v[126:127], v[70:71], v[128:129] op_sel_hi:[1,1,0] neg_lo:[0,0,1] neg_hi:[0,0,1]
	v_mul_f32_e32 v126, v127, v114
	s_delay_alu instid0(VALU_DEP_3) | instskip(NEXT) | instid1(VALU_DEP_2)
	v_pk_add_f32 v[26:27], v[26:27], v[130:131] neg_lo:[0,1] neg_hi:[0,1]
	v_pk_fma_f32 v[124:125], v[124:125], v[70:71], v[126:127] op_sel_hi:[1,1,0]
	s_delay_alu instid0(VALU_DEP_1) | instskip(SKIP_4) | instid1(VALU_DEP_1)
	v_mov_b32_e32 v129, v125
	ds_load_2addr_b64 v[124:127], v118 offset0:40 offset1:41
	v_pk_add_f32 v[22:23], v[22:23], v[128:129] neg_lo:[0,1] neg_hi:[0,1]
	s_wait_dscnt 0x0
	v_pk_mul_f32 v[128:129], v[124:125], v[116:117] op_sel:[0,1]
	v_pk_fma_f32 v[130:131], v[124:125], v[114:115], v[128:129] op_sel:[0,0,1] op_sel_hi:[1,1,0] neg_lo:[0,0,1] neg_hi:[0,0,1]
	v_pk_fma_f32 v[124:125], v[124:125], v[114:115], v[128:129] op_sel:[0,0,1] op_sel_hi:[1,0,0]
	s_delay_alu instid0(VALU_DEP_1) | instskip(SKIP_1) | instid1(VALU_DEP_1)
	v_mov_b32_e32 v131, v125
	v_pk_mul_f32 v[124:125], v[126:127], v[116:117] op_sel:[0,1]
	v_pk_fma_f32 v[128:129], v[126:127], v[114:115], v[124:125] op_sel:[0,0,1] op_sel_hi:[1,1,0] neg_lo:[0,0,1] neg_hi:[0,0,1]
	v_pk_fma_f32 v[124:125], v[126:127], v[114:115], v[124:125] op_sel:[0,0,1] op_sel_hi:[1,0,0]
	s_delay_alu instid0(VALU_DEP_1)
	v_mov_b32_e32 v129, v125
	ds_load_2addr_b64 v[124:127], v118 offset0:42 offset1:43
	v_pk_add_f32 v[84:85], v[84:85], v[130:131] neg_lo:[0,1] neg_hi:[0,1]
	v_pk_add_f32 v[18:19], v[18:19], v[128:129] neg_lo:[0,1] neg_hi:[0,1]
	s_wait_dscnt 0x0
	v_pk_mul_f32 v[128:129], v[124:125], v[116:117] op_sel:[0,1]
	s_delay_alu instid0(VALU_DEP_1) | instskip(SKIP_1) | instid1(VALU_DEP_1)
	v_pk_fma_f32 v[130:131], v[124:125], v[114:115], v[128:129] op_sel:[0,0,1] op_sel_hi:[1,1,0] neg_lo:[0,0,1] neg_hi:[0,0,1]
	v_pk_fma_f32 v[124:125], v[124:125], v[114:115], v[128:129] op_sel:[0,0,1] op_sel_hi:[1,0,0]
	v_mov_b32_e32 v131, v125
	v_pk_mul_f32 v[124:125], v[126:127], v[116:117] op_sel:[0,1]
	s_delay_alu instid0(VALU_DEP_1) | instskip(SKIP_1) | instid1(VALU_DEP_1)
	v_pk_fma_f32 v[128:129], v[126:127], v[114:115], v[124:125] op_sel:[0,0,1] op_sel_hi:[1,1,0] neg_lo:[0,0,1] neg_hi:[0,0,1]
	v_pk_fma_f32 v[124:125], v[126:127], v[114:115], v[124:125] op_sel:[0,0,1] op_sel_hi:[1,0,0]
	v_mov_b32_e32 v129, v125
	ds_load_2addr_b64 v[124:127], v118 offset0:44 offset1:45
	v_pk_add_f32 v[20:21], v[20:21], v[130:131] neg_lo:[0,1] neg_hi:[0,1]
	v_pk_add_f32 v[16:17], v[16:17], v[128:129] neg_lo:[0,1] neg_hi:[0,1]
	s_wait_dscnt 0x0
	v_dual_mul_f32 v128, v125, v117 :: v_dual_mul_f32 v130, v125, v114
	s_delay_alu instid0(VALU_DEP_1) | instskip(NEXT) | instid1(VALU_DEP_2)
	v_pk_fma_f32 v[128:129], v[124:125], v[70:71], v[128:129] op_sel_hi:[1,1,0] neg_lo:[0,0,1] neg_hi:[0,0,1]
	v_pk_fma_f32 v[124:125], v[124:125], v[70:71], v[130:131] op_sel:[1,0,0] op_sel_hi:[0,1,0]
	s_delay_alu instid0(VALU_DEP_1) | instskip(SKIP_1) | instid1(VALU_DEP_2)
	v_mov_b32_e32 v129, v125
	v_pk_mul_f32 v[124:125], v[126:127], v[116:117] op_sel:[0,1]
	v_pk_add_f32 v[82:83], v[82:83], v[128:129] neg_lo:[0,1] neg_hi:[0,1]
	s_delay_alu instid0(VALU_DEP_2) | instskip(SKIP_1) | instid1(VALU_DEP_1)
	v_pk_fma_f32 v[128:129], v[126:127], v[114:115], v[124:125] op_sel:[0,0,1] op_sel_hi:[1,1,0] neg_lo:[0,0,1] neg_hi:[0,0,1]
	v_pk_fma_f32 v[124:125], v[126:127], v[114:115], v[124:125] op_sel:[0,0,1] op_sel_hi:[1,0,0]
	v_mov_b32_e32 v129, v125
	ds_load_2addr_b64 v[124:127], v118 offset0:46 offset1:47
	v_pk_add_f32 v[10:11], v[10:11], v[128:129] neg_lo:[0,1] neg_hi:[0,1]
	s_wait_dscnt 0x0
	v_pk_mul_f32 v[128:129], v[124:125], v[116:117] op_sel:[0,1]
	s_delay_alu instid0(VALU_DEP_1) | instskip(SKIP_1) | instid1(VALU_DEP_1)
	v_pk_fma_f32 v[130:131], v[124:125], v[114:115], v[128:129] op_sel:[0,0,1] op_sel_hi:[1,1,0] neg_lo:[0,0,1] neg_hi:[0,0,1]
	v_pk_fma_f32 v[124:125], v[124:125], v[114:115], v[128:129] op_sel:[0,0,1] op_sel_hi:[1,0,0]
	v_mov_b32_e32 v131, v125
	v_pk_mul_f32 v[124:125], v[126:127], v[116:117] op_sel:[0,1]
	s_delay_alu instid0(VALU_DEP_2) | instskip(NEXT) | instid1(VALU_DEP_2)
	v_pk_add_f32 v[12:13], v[12:13], v[130:131] neg_lo:[0,1] neg_hi:[0,1]
	v_pk_fma_f32 v[128:129], v[126:127], v[114:115], v[124:125] op_sel:[0,0,1] op_sel_hi:[1,1,0] neg_lo:[0,0,1] neg_hi:[0,0,1]
	v_pk_fma_f32 v[124:125], v[126:127], v[114:115], v[124:125] op_sel:[0,0,1] op_sel_hi:[1,0,0]
	s_delay_alu instid0(VALU_DEP_1) | instskip(SKIP_4) | instid1(VALU_DEP_1)
	v_mov_b32_e32 v129, v125
	ds_load_2addr_b64 v[124:127], v118 offset0:48 offset1:49
	v_pk_add_f32 v[8:9], v[8:9], v[128:129] neg_lo:[0,1] neg_hi:[0,1]
	s_wait_dscnt 0x0
	v_pk_mul_f32 v[128:129], v[124:125], v[116:117] op_sel:[0,1]
	v_pk_fma_f32 v[130:131], v[124:125], v[114:115], v[128:129] op_sel:[0,0,1] op_sel_hi:[1,1,0] neg_lo:[0,0,1] neg_hi:[0,0,1]
	v_pk_fma_f32 v[124:125], v[124:125], v[114:115], v[128:129] op_sel:[0,0,1] op_sel_hi:[1,0,0]
	v_dual_mul_f32 v128, v127, v117 :: v_dual_mov_b32 v124, v127
	s_delay_alu instid0(VALU_DEP_2) | instskip(NEXT) | instid1(VALU_DEP_2)
	v_dual_mov_b32 v131, v125 :: v_dual_mov_b32 v125, v126
	v_pk_fma_f32 v[128:129], v[126:127], v[70:71], v[128:129] op_sel_hi:[1,1,0] neg_lo:[0,0,1] neg_hi:[0,0,1]
	v_mul_f32_e32 v126, v127, v114
	s_delay_alu instid0(VALU_DEP_3) | instskip(NEXT) | instid1(VALU_DEP_2)
	v_pk_add_f32 v[66:67], v[66:67], v[130:131] neg_lo:[0,1] neg_hi:[0,1]
	v_pk_fma_f32 v[124:125], v[124:125], v[70:71], v[126:127] op_sel_hi:[1,1,0]
	s_delay_alu instid0(VALU_DEP_1) | instskip(SKIP_4) | instid1(VALU_DEP_1)
	v_mov_b32_e32 v129, v125
	ds_load_2addr_b64 v[124:127], v118 offset0:50 offset1:51
	v_pk_add_f32 v[6:7], v[6:7], v[128:129] neg_lo:[0,1] neg_hi:[0,1]
	s_wait_dscnt 0x0
	v_pk_mul_f32 v[128:129], v[124:125], v[116:117] op_sel:[0,1]
	v_pk_fma_f32 v[130:131], v[124:125], v[114:115], v[128:129] op_sel:[0,0,1] op_sel_hi:[1,1,0] neg_lo:[0,0,1] neg_hi:[0,0,1]
	v_pk_fma_f32 v[124:125], v[124:125], v[114:115], v[128:129] op_sel:[0,0,1] op_sel_hi:[1,0,0]
	s_delay_alu instid0(VALU_DEP_1) | instskip(SKIP_1) | instid1(VALU_DEP_1)
	v_mov_b32_e32 v131, v125
	v_pk_mul_f32 v[124:125], v[126:127], v[116:117] op_sel:[0,1]
	v_pk_fma_f32 v[128:129], v[126:127], v[114:115], v[124:125] op_sel:[0,0,1] op_sel_hi:[1,1,0] neg_lo:[0,0,1] neg_hi:[0,0,1]
	v_pk_fma_f32 v[124:125], v[126:127], v[114:115], v[124:125] op_sel:[0,0,1] op_sel_hi:[1,0,0]
	s_delay_alu instid0(VALU_DEP_1)
	v_mov_b32_e32 v129, v125
	ds_load_2addr_b64 v[124:127], v118 offset0:52 offset1:53
	v_pk_add_f32 v[46:47], v[46:47], v[130:131] neg_lo:[0,1] neg_hi:[0,1]
	v_pk_add_f32 v[28:29], v[28:29], v[128:129] neg_lo:[0,1] neg_hi:[0,1]
	s_wait_dscnt 0x0
	v_pk_mul_f32 v[128:129], v[124:125], v[116:117] op_sel:[0,1]
	v_pk_mul_f32 v[116:117], v[126:127], v[116:117] op_sel:[0,1]
	s_delay_alu instid0(VALU_DEP_2) | instskip(SKIP_1) | instid1(VALU_DEP_1)
	v_pk_fma_f32 v[130:131], v[124:125], v[114:115], v[128:129] op_sel:[0,0,1] op_sel_hi:[1,1,0] neg_lo:[0,0,1] neg_hi:[0,0,1]
	v_pk_fma_f32 v[124:125], v[124:125], v[114:115], v[128:129] op_sel:[0,0,1] op_sel_hi:[1,0,0]
	v_mov_b32_e32 v131, v125
	s_delay_alu instid0(VALU_DEP_4) | instskip(SKIP_1) | instid1(VALU_DEP_1)
	v_pk_fma_f32 v[124:125], v[126:127], v[114:115], v[116:117] op_sel:[0,0,1] op_sel_hi:[1,1,0] neg_lo:[0,0,1] neg_hi:[0,0,1]
	v_pk_fma_f32 v[114:115], v[126:127], v[114:115], v[116:117] op_sel:[0,0,1] op_sel_hi:[1,0,0]
	v_mov_b32_e32 v125, v115
	s_delay_alu instid0(VALU_DEP_4) | instskip(NEXT) | instid1(VALU_DEP_2)
	v_pk_add_f32 v[14:15], v[14:15], v[130:131] neg_lo:[0,1] neg_hi:[0,1]
	v_pk_add_f32 v[112:113], v[112:113], v[124:125] neg_lo:[0,1] neg_hi:[0,1]
.LBB106_335:
	s_or_b32 exec_lo, exec_lo, s0
	v_lshl_add_u32 v114, v122, 3, v118
	s_barrier_signal -1
	s_barrier_wait -1
	ds_store_b64 v114, v[98:99]
	s_wait_dscnt 0x0
	s_barrier_signal -1
	s_barrier_wait -1
	ds_load_b64 v[116:117], v118 offset:128
	v_mov_b32_e32 v114, 16
	s_cmp_lt_i32 s18, 18
	s_cbranch_scc1 .LBB106_338
; %bb.336:
	v_add3_u32 v115, v119, 0, 0x88
	v_mov_b32_e32 v114, 16
	s_mov_b32 s0, 17
.LBB106_337:                            ; =>This Inner Loop Header: Depth=1
	ds_load_b64 v[124:125], v115
	s_wait_dscnt 0x1
	v_cmp_gt_f32_e32 vcc_lo, 0, v116
	v_cndmask_b32_e64 v126, v116, -v116, vcc_lo
	v_cmp_gt_f32_e32 vcc_lo, 0, v117
	v_cndmask_b32_e64 v128, v117, -v117, vcc_lo
	s_wait_dscnt 0x0
	v_cmp_gt_f32_e32 vcc_lo, 0, v124
	v_cndmask_b32_e64 v127, v124, -v124, vcc_lo
	v_cmp_gt_f32_e32 vcc_lo, 0, v125
	v_cndmask_b32_e64 v129, v125, -v125, vcc_lo
	s_delay_alu instid0(VALU_DEP_1) | instskip(NEXT) | instid1(VALU_DEP_1)
	v_pk_add_f32 v[126:127], v[126:127], v[128:129]
	v_cmp_lt_f32_e32 vcc_lo, v126, v127
	v_dual_add_nc_u32 v115, 8, v115 :: v_dual_cndmask_b32 v117, v117, v125, vcc_lo
	v_cndmask_b32_e32 v116, v116, v124, vcc_lo
	v_cndmask_b32_e64 v114, v114, s0, vcc_lo
	s_add_co_i32 s0, s0, 1
	s_delay_alu instid0(SALU_CYCLE_1)
	s_cmp_lg_u32 s18, s0
	s_cbranch_scc1 .LBB106_337
.LBB106_338:
	s_wait_dscnt 0x0
	v_cmp_eq_f32_e32 vcc_lo, 0, v116
	v_cmp_eq_f32_e64 s0, 0, v117
	s_and_b32 s0, vcc_lo, s0
	s_delay_alu instid0(SALU_CYCLE_1) | instskip(NEXT) | instid1(SALU_CYCLE_1)
	s_and_saveexec_b32 s1, s0
	s_xor_b32 s0, exec_lo, s1
; %bb.339:
	v_cmp_ne_u32_e32 vcc_lo, 0, v120
	v_cndmask_b32_e32 v120, 17, v120, vcc_lo
; %bb.340:
	s_and_not1_saveexec_b32 s0, s0
	s_cbranch_execz .LBB106_346
; %bb.341:
	v_cmp_ngt_f32_e64 s1, |v116|, |v117|
	s_and_saveexec_b32 s12, s1
	s_delay_alu instid0(SALU_CYCLE_1)
	s_xor_b32 s1, exec_lo, s12
	s_cbranch_execz .LBB106_343
; %bb.342:
	v_div_scale_f32 v115, null, v117, v117, v116
	v_div_scale_f32 v125, vcc_lo, v116, v117, v116
	s_delay_alu instid0(VALU_DEP_2) | instskip(SKIP_1) | instid1(TRANS32_DEP_1)
	v_rcp_f32_e32 v123, v115
	v_nop
	v_fma_f32 v124, -v115, v123, 1.0
	s_delay_alu instid0(VALU_DEP_1) | instskip(NEXT) | instid1(VALU_DEP_1)
	v_fmac_f32_e32 v123, v124, v123
	v_mul_f32_e32 v124, v125, v123
	s_delay_alu instid0(VALU_DEP_1) | instskip(NEXT) | instid1(VALU_DEP_1)
	v_fma_f32 v126, -v115, v124, v125
	v_fmac_f32_e32 v124, v126, v123
	s_delay_alu instid0(VALU_DEP_1) | instskip(NEXT) | instid1(VALU_DEP_1)
	v_fma_f32 v115, -v115, v124, v125
	v_div_fmas_f32 v115, v115, v123, v124
	s_delay_alu instid0(VALU_DEP_1) | instskip(NEXT) | instid1(VALU_DEP_1)
	v_div_fixup_f32 v115, v115, v117, v116
	v_fmac_f32_e32 v117, v116, v115
	s_delay_alu instid0(VALU_DEP_1) | instskip(SKIP_1) | instid1(VALU_DEP_2)
	v_div_scale_f32 v116, null, v117, v117, 1.0
	v_div_scale_f32 v125, vcc_lo, 1.0, v117, 1.0
	v_rcp_f32_e32 v123, v116
	v_nop
	s_delay_alu instid0(TRANS32_DEP_1) | instskip(NEXT) | instid1(VALU_DEP_1)
	v_fma_f32 v124, -v116, v123, 1.0
	v_fmac_f32_e32 v123, v124, v123
	s_delay_alu instid0(VALU_DEP_1) | instskip(NEXT) | instid1(VALU_DEP_1)
	v_mul_f32_e32 v124, v125, v123
	v_fma_f32 v126, -v116, v124, v125
	s_delay_alu instid0(VALU_DEP_1) | instskip(NEXT) | instid1(VALU_DEP_1)
	v_fmac_f32_e32 v124, v126, v123
	v_fma_f32 v116, -v116, v124, v125
	s_delay_alu instid0(VALU_DEP_1) | instskip(NEXT) | instid1(VALU_DEP_1)
	v_div_fmas_f32 v116, v116, v123, v124
	v_div_fixup_f32 v117, v116, v117, 1.0
	s_delay_alu instid0(VALU_DEP_1)
	v_mul_f32_e32 v116, v115, v117
	v_xor_b32_e32 v117, 0x80000000, v117
.LBB106_343:
	s_and_not1_saveexec_b32 s1, s1
	s_cbranch_execz .LBB106_345
; %bb.344:
	s_delay_alu instid0(VALU_DEP_1) | instskip(SKIP_1) | instid1(VALU_DEP_2)
	v_div_scale_f32 v115, null, v116, v116, v117
	v_div_scale_f32 v125, vcc_lo, v117, v116, v117
	v_rcp_f32_e32 v123, v115
	v_nop
	s_delay_alu instid0(TRANS32_DEP_1) | instskip(NEXT) | instid1(VALU_DEP_1)
	v_fma_f32 v124, -v115, v123, 1.0
	v_fmac_f32_e32 v123, v124, v123
	s_delay_alu instid0(VALU_DEP_1) | instskip(NEXT) | instid1(VALU_DEP_1)
	v_mul_f32_e32 v124, v125, v123
	v_fma_f32 v126, -v115, v124, v125
	s_delay_alu instid0(VALU_DEP_1) | instskip(NEXT) | instid1(VALU_DEP_1)
	v_fmac_f32_e32 v124, v126, v123
	v_fma_f32 v115, -v115, v124, v125
	s_delay_alu instid0(VALU_DEP_1) | instskip(NEXT) | instid1(VALU_DEP_1)
	v_div_fmas_f32 v115, v115, v123, v124
	v_div_fixup_f32 v115, v115, v116, v117
	s_delay_alu instid0(VALU_DEP_1) | instskip(NEXT) | instid1(VALU_DEP_1)
	v_fmac_f32_e32 v116, v117, v115
	v_div_scale_f32 v117, null, v116, v116, 1.0
	s_delay_alu instid0(VALU_DEP_1) | instskip(SKIP_1) | instid1(TRANS32_DEP_1)
	v_rcp_f32_e32 v123, v117
	v_nop
	v_fma_f32 v124, -v117, v123, 1.0
	s_delay_alu instid0(VALU_DEP_1) | instskip(SKIP_1) | instid1(VALU_DEP_1)
	v_fmac_f32_e32 v123, v124, v123
	v_div_scale_f32 v124, vcc_lo, 1.0, v116, 1.0
	v_mul_f32_e32 v125, v124, v123
	s_delay_alu instid0(VALU_DEP_1) | instskip(NEXT) | instid1(VALU_DEP_1)
	v_fma_f32 v126, -v117, v125, v124
	v_fmac_f32_e32 v125, v126, v123
	s_delay_alu instid0(VALU_DEP_1) | instskip(NEXT) | instid1(VALU_DEP_1)
	v_fma_f32 v117, -v117, v125, v124
	v_div_fmas_f32 v117, v117, v123, v125
	s_delay_alu instid0(VALU_DEP_1) | instskip(NEXT) | instid1(VALU_DEP_1)
	v_div_fixup_f32 v116, v117, v116, 1.0
	v_mul_f32_e64 v117, v115, -v116
.LBB106_345:
	s_or_b32 exec_lo, exec_lo, s1
.LBB106_346:
	s_delay_alu instid0(SALU_CYCLE_1) | instskip(NEXT) | instid1(SALU_CYCLE_1)
	s_or_b32 exec_lo, exec_lo, s0
	s_mov_b32 s0, exec_lo
	v_cmpx_ne_u32_e64 v122, v114
	s_xor_b32 s0, exec_lo, s0
	s_cbranch_execz .LBB106_352
; %bb.347:
	s_mov_b32 s1, exec_lo
	v_cmpx_eq_u32_e32 16, v122
	s_cbranch_execz .LBB106_351
; %bb.348:
	v_cmp_ne_u32_e32 vcc_lo, 16, v114
	s_xor_b32 s12, s16, -1
	s_delay_alu instid0(SALU_CYCLE_1) | instskip(NEXT) | instid1(SALU_CYCLE_1)
	s_and_b32 s13, s12, vcc_lo
	s_and_saveexec_b32 s12, s13
	s_cbranch_execz .LBB106_350
; %bb.349:
	v_ashrrev_i32_e32 v115, 31, v114
	s_delay_alu instid0(VALU_DEP_1)
	v_lshl_add_u64 v[122:123], v[114:115], 2, v[4:5]
	s_clause 0x1
	global_load_b32 v115, v[122:123], off
	global_load_b32 v121, v[4:5], off offset:64
	s_wait_loadcnt 0x1
	global_store_b32 v[4:5], v115, off offset:64
	s_wait_loadcnt 0x0
	global_store_b32 v[122:123], v121, off
.LBB106_350:
	s_wait_xcnt 0x0
	s_or_b32 exec_lo, exec_lo, s12
	v_dual_mov_b32 v122, v114 :: v_dual_mov_b32 v121, v114
.LBB106_351:
	s_or_b32 exec_lo, exec_lo, s1
.LBB106_352:
	s_and_not1_saveexec_b32 s0, s0
	s_cbranch_execz .LBB106_354
; %bb.353:
	v_mov_b32_e32 v122, 16
	ds_store_2addr_b64 v118, v[64:65], v[68:69] offset0:17 offset1:18
	ds_store_2addr_b64 v118, v[62:63], v[96:97] offset0:19 offset1:20
	;; [unrolled: 1-line block ×18, first 2 shown]
	ds_store_b64 v118, v[112:113] offset:424
.LBB106_354:
	s_or_b32 exec_lo, exec_lo, s0
	s_delay_alu instid0(SALU_CYCLE_1)
	s_mov_b32 s0, exec_lo
	s_wait_storecnt_dscnt 0x0
	s_barrier_signal -1
	s_barrier_wait -1
	v_cmpx_lt_i32_e32 16, v122
	s_cbranch_execz .LBB106_356
; %bb.355:
	v_pk_mul_f32 v[124:125], v[116:117], v[98:99] op_sel:[1,1] op_sel_hi:[0,1]
	s_delay_alu instid0(VALU_DEP_1)
	v_pk_fma_f32 v[114:115], v[116:117], v[98:99], v[124:125] op_sel_hi:[1,0,1] neg_lo:[0,0,1] neg_hi:[0,0,1]
	v_pk_fma_f32 v[116:117], v[116:117], v[98:99], v[124:125] op_sel_hi:[1,0,1]
	ds_load_2addr_b64 v[124:127], v118 offset0:17 offset1:18
	v_dual_mov_b32 v98, v114 :: v_dual_mov_b32 v99, v117
	s_wait_dscnt 0x0
	v_pk_mul_f32 v[128:129], v[124:125], v[116:117] op_sel:[0,1]
	s_delay_alu instid0(VALU_DEP_1) | instskip(SKIP_1) | instid1(VALU_DEP_1)
	v_pk_fma_f32 v[130:131], v[124:125], v[114:115], v[128:129] op_sel:[0,0,1] op_sel_hi:[1,1,0] neg_lo:[0,0,1] neg_hi:[0,0,1]
	v_pk_fma_f32 v[124:125], v[124:125], v[114:115], v[128:129] op_sel:[0,0,1] op_sel_hi:[1,0,0]
	v_mov_b32_e32 v131, v125
	v_pk_mul_f32 v[124:125], v[126:127], v[116:117] op_sel:[0,1]
	s_delay_alu instid0(VALU_DEP_1) | instskip(SKIP_1) | instid1(VALU_DEP_1)
	v_pk_fma_f32 v[128:129], v[126:127], v[114:115], v[124:125] op_sel:[0,0,1] op_sel_hi:[1,1,0] neg_lo:[0,0,1] neg_hi:[0,0,1]
	v_pk_fma_f32 v[124:125], v[126:127], v[114:115], v[124:125] op_sel:[0,0,1] op_sel_hi:[1,0,0]
	v_mov_b32_e32 v129, v125
	ds_load_2addr_b64 v[124:127], v118 offset0:19 offset1:20
	v_pk_add_f32 v[64:65], v[64:65], v[130:131] neg_lo:[0,1] neg_hi:[0,1]
	v_pk_add_f32 v[68:69], v[68:69], v[128:129] neg_lo:[0,1] neg_hi:[0,1]
	s_wait_dscnt 0x0
	v_pk_mul_f32 v[128:129], v[124:125], v[116:117] op_sel:[0,1]
	s_delay_alu instid0(VALU_DEP_1) | instskip(SKIP_2) | instid1(VALU_DEP_2)
	v_pk_fma_f32 v[130:131], v[124:125], v[114:115], v[128:129] op_sel:[0,0,1] op_sel_hi:[1,1,0] neg_lo:[0,0,1] neg_hi:[0,0,1]
	v_pk_fma_f32 v[124:125], v[124:125], v[114:115], v[128:129] op_sel:[0,0,1] op_sel_hi:[1,0,0]
	v_dual_mul_f32 v128, v127, v117 :: v_dual_mov_b32 v124, v127
	v_dual_mov_b32 v131, v125 :: v_dual_mov_b32 v125, v126
	s_delay_alu instid0(VALU_DEP_2) | instskip(SKIP_1) | instid1(VALU_DEP_3)
	v_pk_fma_f32 v[128:129], v[126:127], v[98:99], v[128:129] op_sel_hi:[1,1,0] neg_lo:[0,0,1] neg_hi:[0,0,1]
	v_mul_f32_e32 v126, v127, v114
	v_pk_add_f32 v[62:63], v[62:63], v[130:131] neg_lo:[0,1] neg_hi:[0,1]
	s_delay_alu instid0(VALU_DEP_2) | instskip(NEXT) | instid1(VALU_DEP_1)
	v_pk_fma_f32 v[124:125], v[124:125], v[98:99], v[126:127] op_sel_hi:[1,1,0]
	v_mov_b32_e32 v129, v125
	ds_load_2addr_b64 v[124:127], v118 offset0:21 offset1:22
	v_pk_add_f32 v[96:97], v[96:97], v[128:129] neg_lo:[0,1] neg_hi:[0,1]
	s_wait_dscnt 0x0
	v_pk_mul_f32 v[128:129], v[124:125], v[116:117] op_sel:[0,1]
	s_delay_alu instid0(VALU_DEP_1) | instskip(SKIP_1) | instid1(VALU_DEP_1)
	v_pk_fma_f32 v[130:131], v[124:125], v[114:115], v[128:129] op_sel:[0,0,1] op_sel_hi:[1,1,0] neg_lo:[0,0,1] neg_hi:[0,0,1]
	v_pk_fma_f32 v[124:125], v[124:125], v[114:115], v[128:129] op_sel:[0,0,1] op_sel_hi:[1,0,0]
	v_mov_b32_e32 v131, v125
	v_pk_mul_f32 v[124:125], v[126:127], v[116:117] op_sel:[0,1]
	s_delay_alu instid0(VALU_DEP_1) | instskip(SKIP_1) | instid1(VALU_DEP_1)
	v_pk_fma_f32 v[128:129], v[126:127], v[114:115], v[124:125] op_sel:[0,0,1] op_sel_hi:[1,1,0] neg_lo:[0,0,1] neg_hi:[0,0,1]
	v_pk_fma_f32 v[124:125], v[126:127], v[114:115], v[124:125] op_sel:[0,0,1] op_sel_hi:[1,0,0]
	v_mov_b32_e32 v129, v125
	ds_load_2addr_b64 v[124:127], v118 offset0:23 offset1:24
	v_pk_add_f32 v[58:59], v[58:59], v[130:131] neg_lo:[0,1] neg_hi:[0,1]
	v_pk_add_f32 v[60:61], v[60:61], v[128:129] neg_lo:[0,1] neg_hi:[0,1]
	s_wait_dscnt 0x0
	v_pk_mul_f32 v[128:129], v[124:125], v[116:117] op_sel:[0,1]
	s_delay_alu instid0(VALU_DEP_1) | instskip(SKIP_1) | instid1(VALU_DEP_1)
	v_pk_fma_f32 v[130:131], v[124:125], v[114:115], v[128:129] op_sel:[0,0,1] op_sel_hi:[1,1,0] neg_lo:[0,0,1] neg_hi:[0,0,1]
	v_pk_fma_f32 v[124:125], v[124:125], v[114:115], v[128:129] op_sel:[0,0,1] op_sel_hi:[1,0,0]
	v_mov_b32_e32 v131, v125
	v_pk_mul_f32 v[124:125], v[126:127], v[116:117] op_sel:[0,1]
	s_delay_alu instid0(VALU_DEP_1) | instskip(SKIP_1) | instid1(VALU_DEP_1)
	v_pk_fma_f32 v[128:129], v[126:127], v[114:115], v[124:125] op_sel:[0,0,1] op_sel_hi:[1,1,0] neg_lo:[0,0,1] neg_hi:[0,0,1]
	v_pk_fma_f32 v[124:125], v[126:127], v[114:115], v[124:125] op_sel:[0,0,1] op_sel_hi:[1,0,0]
	v_mov_b32_e32 v129, v125
	ds_load_2addr_b64 v[124:127], v118 offset0:25 offset1:26
	v_pk_add_f32 v[56:57], v[56:57], v[130:131] neg_lo:[0,1] neg_hi:[0,1]
	v_pk_add_f32 v[94:95], v[94:95], v[128:129] neg_lo:[0,1] neg_hi:[0,1]
	s_wait_dscnt 0x0
	v_dual_mul_f32 v128, v125, v117 :: v_dual_mul_f32 v130, v125, v114
	s_delay_alu instid0(VALU_DEP_1) | instskip(NEXT) | instid1(VALU_DEP_2)
	v_pk_fma_f32 v[128:129], v[124:125], v[98:99], v[128:129] op_sel_hi:[1,1,0] neg_lo:[0,0,1] neg_hi:[0,0,1]
	v_pk_fma_f32 v[124:125], v[124:125], v[98:99], v[130:131] op_sel:[1,0,0] op_sel_hi:[0,1,0]
	s_delay_alu instid0(VALU_DEP_1) | instskip(SKIP_1) | instid1(VALU_DEP_2)
	v_mov_b32_e32 v129, v125
	v_pk_mul_f32 v[124:125], v[126:127], v[116:117] op_sel:[0,1]
	v_pk_add_f32 v[52:53], v[52:53], v[128:129] neg_lo:[0,1] neg_hi:[0,1]
	s_delay_alu instid0(VALU_DEP_2) | instskip(SKIP_1) | instid1(VALU_DEP_1)
	v_pk_fma_f32 v[128:129], v[126:127], v[114:115], v[124:125] op_sel:[0,0,1] op_sel_hi:[1,1,0] neg_lo:[0,0,1] neg_hi:[0,0,1]
	v_pk_fma_f32 v[124:125], v[126:127], v[114:115], v[124:125] op_sel:[0,0,1] op_sel_hi:[1,0,0]
	v_mov_b32_e32 v129, v125
	ds_load_2addr_b64 v[124:127], v118 offset0:27 offset1:28
	v_pk_add_f32 v[54:55], v[54:55], v[128:129] neg_lo:[0,1] neg_hi:[0,1]
	s_wait_dscnt 0x0
	v_pk_mul_f32 v[128:129], v[124:125], v[116:117] op_sel:[0,1]
	s_delay_alu instid0(VALU_DEP_1) | instskip(SKIP_1) | instid1(VALU_DEP_1)
	v_pk_fma_f32 v[130:131], v[124:125], v[114:115], v[128:129] op_sel:[0,0,1] op_sel_hi:[1,1,0] neg_lo:[0,0,1] neg_hi:[0,0,1]
	v_pk_fma_f32 v[124:125], v[124:125], v[114:115], v[128:129] op_sel:[0,0,1] op_sel_hi:[1,0,0]
	v_mov_b32_e32 v131, v125
	v_pk_mul_f32 v[124:125], v[126:127], v[116:117] op_sel:[0,1]
	s_delay_alu instid0(VALU_DEP_2) | instskip(NEXT) | instid1(VALU_DEP_2)
	v_pk_add_f32 v[50:51], v[50:51], v[130:131] neg_lo:[0,1] neg_hi:[0,1]
	v_pk_fma_f32 v[128:129], v[126:127], v[114:115], v[124:125] op_sel:[0,0,1] op_sel_hi:[1,1,0] neg_lo:[0,0,1] neg_hi:[0,0,1]
	v_pk_fma_f32 v[124:125], v[126:127], v[114:115], v[124:125] op_sel:[0,0,1] op_sel_hi:[1,0,0]
	s_delay_alu instid0(VALU_DEP_1) | instskip(SKIP_4) | instid1(VALU_DEP_1)
	v_mov_b32_e32 v129, v125
	ds_load_2addr_b64 v[124:127], v118 offset0:29 offset1:30
	v_pk_add_f32 v[90:91], v[90:91], v[128:129] neg_lo:[0,1] neg_hi:[0,1]
	s_wait_dscnt 0x0
	v_pk_mul_f32 v[128:129], v[124:125], v[116:117] op_sel:[0,1]
	v_pk_fma_f32 v[130:131], v[124:125], v[114:115], v[128:129] op_sel:[0,0,1] op_sel_hi:[1,1,0] neg_lo:[0,0,1] neg_hi:[0,0,1]
	v_pk_fma_f32 v[124:125], v[124:125], v[114:115], v[128:129] op_sel:[0,0,1] op_sel_hi:[1,0,0]
	v_dual_mul_f32 v128, v127, v117 :: v_dual_mov_b32 v124, v127
	s_delay_alu instid0(VALU_DEP_2) | instskip(NEXT) | instid1(VALU_DEP_2)
	v_dual_mov_b32 v131, v125 :: v_dual_mov_b32 v125, v126
	v_pk_fma_f32 v[128:129], v[126:127], v[98:99], v[128:129] op_sel_hi:[1,1,0] neg_lo:[0,0,1] neg_hi:[0,0,1]
	v_mul_f32_e32 v126, v127, v114
	s_delay_alu instid0(VALU_DEP_3) | instskip(NEXT) | instid1(VALU_DEP_2)
	v_pk_add_f32 v[38:39], v[38:39], v[130:131] neg_lo:[0,1] neg_hi:[0,1]
	v_pk_fma_f32 v[124:125], v[124:125], v[98:99], v[126:127] op_sel_hi:[1,1,0]
	s_delay_alu instid0(VALU_DEP_1) | instskip(SKIP_4) | instid1(VALU_DEP_1)
	v_mov_b32_e32 v129, v125
	ds_load_2addr_b64 v[124:127], v118 offset0:31 offset1:32
	v_pk_add_f32 v[40:41], v[40:41], v[128:129] neg_lo:[0,1] neg_hi:[0,1]
	s_wait_dscnt 0x0
	v_pk_mul_f32 v[128:129], v[124:125], v[116:117] op_sel:[0,1]
	v_pk_fma_f32 v[130:131], v[124:125], v[114:115], v[128:129] op_sel:[0,0,1] op_sel_hi:[1,1,0] neg_lo:[0,0,1] neg_hi:[0,0,1]
	v_pk_fma_f32 v[124:125], v[124:125], v[114:115], v[128:129] op_sel:[0,0,1] op_sel_hi:[1,0,0]
	s_delay_alu instid0(VALU_DEP_1) | instskip(SKIP_1) | instid1(VALU_DEP_1)
	v_mov_b32_e32 v131, v125
	v_pk_mul_f32 v[124:125], v[126:127], v[116:117] op_sel:[0,1]
	v_pk_fma_f32 v[128:129], v[126:127], v[114:115], v[124:125] op_sel:[0,0,1] op_sel_hi:[1,1,0] neg_lo:[0,0,1] neg_hi:[0,0,1]
	v_pk_fma_f32 v[124:125], v[126:127], v[114:115], v[124:125] op_sel:[0,0,1] op_sel_hi:[1,0,0]
	s_delay_alu instid0(VALU_DEP_1)
	v_mov_b32_e32 v129, v125
	ds_load_2addr_b64 v[124:127], v118 offset0:33 offset1:34
	v_pk_add_f32 v[36:37], v[36:37], v[130:131] neg_lo:[0,1] neg_hi:[0,1]
	v_pk_add_f32 v[88:89], v[88:89], v[128:129] neg_lo:[0,1] neg_hi:[0,1]
	s_wait_dscnt 0x0
	v_pk_mul_f32 v[128:129], v[124:125], v[116:117] op_sel:[0,1]
	s_delay_alu instid0(VALU_DEP_1) | instskip(SKIP_1) | instid1(VALU_DEP_1)
	v_pk_fma_f32 v[130:131], v[124:125], v[114:115], v[128:129] op_sel:[0,0,1] op_sel_hi:[1,1,0] neg_lo:[0,0,1] neg_hi:[0,0,1]
	v_pk_fma_f32 v[124:125], v[124:125], v[114:115], v[128:129] op_sel:[0,0,1] op_sel_hi:[1,0,0]
	v_mov_b32_e32 v131, v125
	v_pk_mul_f32 v[124:125], v[126:127], v[116:117] op_sel:[0,1]
	s_delay_alu instid0(VALU_DEP_1) | instskip(SKIP_1) | instid1(VALU_DEP_1)
	v_pk_fma_f32 v[128:129], v[126:127], v[114:115], v[124:125] op_sel:[0,0,1] op_sel_hi:[1,1,0] neg_lo:[0,0,1] neg_hi:[0,0,1]
	v_pk_fma_f32 v[124:125], v[126:127], v[114:115], v[124:125] op_sel:[0,0,1] op_sel_hi:[1,0,0]
	v_mov_b32_e32 v129, v125
	ds_load_2addr_b64 v[124:127], v118 offset0:35 offset1:36
	v_pk_add_f32 v[32:33], v[32:33], v[130:131] neg_lo:[0,1] neg_hi:[0,1]
	v_pk_add_f32 v[34:35], v[34:35], v[128:129] neg_lo:[0,1] neg_hi:[0,1]
	s_wait_dscnt 0x0
	v_dual_mul_f32 v128, v125, v117 :: v_dual_mul_f32 v130, v125, v114
	s_delay_alu instid0(VALU_DEP_1) | instskip(NEXT) | instid1(VALU_DEP_2)
	v_pk_fma_f32 v[128:129], v[124:125], v[98:99], v[128:129] op_sel_hi:[1,1,0] neg_lo:[0,0,1] neg_hi:[0,0,1]
	v_pk_fma_f32 v[124:125], v[124:125], v[98:99], v[130:131] op_sel:[1,0,0] op_sel_hi:[0,1,0]
	s_delay_alu instid0(VALU_DEP_1) | instskip(SKIP_1) | instid1(VALU_DEP_2)
	v_mov_b32_e32 v129, v125
	v_pk_mul_f32 v[124:125], v[126:127], v[116:117] op_sel:[0,1]
	v_pk_add_f32 v[30:31], v[30:31], v[128:129] neg_lo:[0,1] neg_hi:[0,1]
	s_delay_alu instid0(VALU_DEP_2) | instskip(SKIP_1) | instid1(VALU_DEP_1)
	v_pk_fma_f32 v[128:129], v[126:127], v[114:115], v[124:125] op_sel:[0,0,1] op_sel_hi:[1,1,0] neg_lo:[0,0,1] neg_hi:[0,0,1]
	v_pk_fma_f32 v[124:125], v[126:127], v[114:115], v[124:125] op_sel:[0,0,1] op_sel_hi:[1,0,0]
	v_mov_b32_e32 v129, v125
	ds_load_2addr_b64 v[124:127], v118 offset0:37 offset1:38
	v_pk_add_f32 v[86:87], v[86:87], v[128:129] neg_lo:[0,1] neg_hi:[0,1]
	s_wait_dscnt 0x0
	v_pk_mul_f32 v[128:129], v[124:125], v[116:117] op_sel:[0,1]
	s_delay_alu instid0(VALU_DEP_1) | instskip(SKIP_1) | instid1(VALU_DEP_1)
	v_pk_fma_f32 v[130:131], v[124:125], v[114:115], v[128:129] op_sel:[0,0,1] op_sel_hi:[1,1,0] neg_lo:[0,0,1] neg_hi:[0,0,1]
	v_pk_fma_f32 v[124:125], v[124:125], v[114:115], v[128:129] op_sel:[0,0,1] op_sel_hi:[1,0,0]
	v_mov_b32_e32 v131, v125
	v_pk_mul_f32 v[124:125], v[126:127], v[116:117] op_sel:[0,1]
	s_delay_alu instid0(VALU_DEP_2) | instskip(NEXT) | instid1(VALU_DEP_2)
	v_pk_add_f32 v[24:25], v[24:25], v[130:131] neg_lo:[0,1] neg_hi:[0,1]
	v_pk_fma_f32 v[128:129], v[126:127], v[114:115], v[124:125] op_sel:[0,0,1] op_sel_hi:[1,1,0] neg_lo:[0,0,1] neg_hi:[0,0,1]
	v_pk_fma_f32 v[124:125], v[126:127], v[114:115], v[124:125] op_sel:[0,0,1] op_sel_hi:[1,0,0]
	s_delay_alu instid0(VALU_DEP_1) | instskip(SKIP_4) | instid1(VALU_DEP_1)
	v_mov_b32_e32 v129, v125
	ds_load_2addr_b64 v[124:127], v118 offset0:39 offset1:40
	v_pk_add_f32 v[26:27], v[26:27], v[128:129] neg_lo:[0,1] neg_hi:[0,1]
	s_wait_dscnt 0x0
	v_pk_mul_f32 v[128:129], v[124:125], v[116:117] op_sel:[0,1]
	v_pk_fma_f32 v[130:131], v[124:125], v[114:115], v[128:129] op_sel:[0,0,1] op_sel_hi:[1,1,0] neg_lo:[0,0,1] neg_hi:[0,0,1]
	v_pk_fma_f32 v[124:125], v[124:125], v[114:115], v[128:129] op_sel:[0,0,1] op_sel_hi:[1,0,0]
	v_dual_mul_f32 v128, v127, v117 :: v_dual_mov_b32 v124, v127
	s_delay_alu instid0(VALU_DEP_2) | instskip(NEXT) | instid1(VALU_DEP_2)
	v_dual_mov_b32 v131, v125 :: v_dual_mov_b32 v125, v126
	v_pk_fma_f32 v[128:129], v[126:127], v[98:99], v[128:129] op_sel_hi:[1,1,0] neg_lo:[0,0,1] neg_hi:[0,0,1]
	v_mul_f32_e32 v126, v127, v114
	s_delay_alu instid0(VALU_DEP_3) | instskip(NEXT) | instid1(VALU_DEP_2)
	v_pk_add_f32 v[22:23], v[22:23], v[130:131] neg_lo:[0,1] neg_hi:[0,1]
	v_pk_fma_f32 v[124:125], v[124:125], v[98:99], v[126:127] op_sel_hi:[1,1,0]
	s_delay_alu instid0(VALU_DEP_1) | instskip(SKIP_4) | instid1(VALU_DEP_1)
	v_mov_b32_e32 v129, v125
	ds_load_2addr_b64 v[124:127], v118 offset0:41 offset1:42
	v_pk_add_f32 v[84:85], v[84:85], v[128:129] neg_lo:[0,1] neg_hi:[0,1]
	s_wait_dscnt 0x0
	v_pk_mul_f32 v[128:129], v[124:125], v[116:117] op_sel:[0,1]
	v_pk_fma_f32 v[130:131], v[124:125], v[114:115], v[128:129] op_sel:[0,0,1] op_sel_hi:[1,1,0] neg_lo:[0,0,1] neg_hi:[0,0,1]
	v_pk_fma_f32 v[124:125], v[124:125], v[114:115], v[128:129] op_sel:[0,0,1] op_sel_hi:[1,0,0]
	s_delay_alu instid0(VALU_DEP_1) | instskip(SKIP_1) | instid1(VALU_DEP_1)
	v_mov_b32_e32 v131, v125
	v_pk_mul_f32 v[124:125], v[126:127], v[116:117] op_sel:[0,1]
	v_pk_fma_f32 v[128:129], v[126:127], v[114:115], v[124:125] op_sel:[0,0,1] op_sel_hi:[1,1,0] neg_lo:[0,0,1] neg_hi:[0,0,1]
	v_pk_fma_f32 v[124:125], v[126:127], v[114:115], v[124:125] op_sel:[0,0,1] op_sel_hi:[1,0,0]
	s_delay_alu instid0(VALU_DEP_1)
	v_mov_b32_e32 v129, v125
	ds_load_2addr_b64 v[124:127], v118 offset0:43 offset1:44
	v_pk_add_f32 v[18:19], v[18:19], v[130:131] neg_lo:[0,1] neg_hi:[0,1]
	v_pk_add_f32 v[20:21], v[20:21], v[128:129] neg_lo:[0,1] neg_hi:[0,1]
	s_wait_dscnt 0x0
	v_pk_mul_f32 v[128:129], v[124:125], v[116:117] op_sel:[0,1]
	s_delay_alu instid0(VALU_DEP_1) | instskip(SKIP_1) | instid1(VALU_DEP_1)
	v_pk_fma_f32 v[130:131], v[124:125], v[114:115], v[128:129] op_sel:[0,0,1] op_sel_hi:[1,1,0] neg_lo:[0,0,1] neg_hi:[0,0,1]
	v_pk_fma_f32 v[124:125], v[124:125], v[114:115], v[128:129] op_sel:[0,0,1] op_sel_hi:[1,0,0]
	v_mov_b32_e32 v131, v125
	v_pk_mul_f32 v[124:125], v[126:127], v[116:117] op_sel:[0,1]
	s_delay_alu instid0(VALU_DEP_1) | instskip(SKIP_1) | instid1(VALU_DEP_1)
	v_pk_fma_f32 v[128:129], v[126:127], v[114:115], v[124:125] op_sel:[0,0,1] op_sel_hi:[1,1,0] neg_lo:[0,0,1] neg_hi:[0,0,1]
	v_pk_fma_f32 v[124:125], v[126:127], v[114:115], v[124:125] op_sel:[0,0,1] op_sel_hi:[1,0,0]
	v_mov_b32_e32 v129, v125
	ds_load_2addr_b64 v[124:127], v118 offset0:45 offset1:46
	v_pk_add_f32 v[16:17], v[16:17], v[130:131] neg_lo:[0,1] neg_hi:[0,1]
	v_pk_add_f32 v[82:83], v[82:83], v[128:129] neg_lo:[0,1] neg_hi:[0,1]
	s_wait_dscnt 0x0
	v_dual_mul_f32 v128, v125, v117 :: v_dual_mul_f32 v130, v125, v114
	s_delay_alu instid0(VALU_DEP_1) | instskip(NEXT) | instid1(VALU_DEP_2)
	v_pk_fma_f32 v[128:129], v[124:125], v[98:99], v[128:129] op_sel_hi:[1,1,0] neg_lo:[0,0,1] neg_hi:[0,0,1]
	v_pk_fma_f32 v[124:125], v[124:125], v[98:99], v[130:131] op_sel:[1,0,0] op_sel_hi:[0,1,0]
	s_delay_alu instid0(VALU_DEP_1) | instskip(SKIP_1) | instid1(VALU_DEP_2)
	v_mov_b32_e32 v129, v125
	v_pk_mul_f32 v[124:125], v[126:127], v[116:117] op_sel:[0,1]
	v_pk_add_f32 v[10:11], v[10:11], v[128:129] neg_lo:[0,1] neg_hi:[0,1]
	s_delay_alu instid0(VALU_DEP_2) | instskip(SKIP_1) | instid1(VALU_DEP_1)
	v_pk_fma_f32 v[128:129], v[126:127], v[114:115], v[124:125] op_sel:[0,0,1] op_sel_hi:[1,1,0] neg_lo:[0,0,1] neg_hi:[0,0,1]
	v_pk_fma_f32 v[124:125], v[126:127], v[114:115], v[124:125] op_sel:[0,0,1] op_sel_hi:[1,0,0]
	v_mov_b32_e32 v129, v125
	ds_load_2addr_b64 v[124:127], v118 offset0:47 offset1:48
	v_pk_add_f32 v[12:13], v[12:13], v[128:129] neg_lo:[0,1] neg_hi:[0,1]
	s_wait_dscnt 0x0
	v_pk_mul_f32 v[128:129], v[124:125], v[116:117] op_sel:[0,1]
	s_delay_alu instid0(VALU_DEP_1) | instskip(SKIP_1) | instid1(VALU_DEP_1)
	v_pk_fma_f32 v[130:131], v[124:125], v[114:115], v[128:129] op_sel:[0,0,1] op_sel_hi:[1,1,0] neg_lo:[0,0,1] neg_hi:[0,0,1]
	v_pk_fma_f32 v[124:125], v[124:125], v[114:115], v[128:129] op_sel:[0,0,1] op_sel_hi:[1,0,0]
	v_mov_b32_e32 v131, v125
	v_pk_mul_f32 v[124:125], v[126:127], v[116:117] op_sel:[0,1]
	s_delay_alu instid0(VALU_DEP_2) | instskip(NEXT) | instid1(VALU_DEP_2)
	v_pk_add_f32 v[8:9], v[8:9], v[130:131] neg_lo:[0,1] neg_hi:[0,1]
	v_pk_fma_f32 v[128:129], v[126:127], v[114:115], v[124:125] op_sel:[0,0,1] op_sel_hi:[1,1,0] neg_lo:[0,0,1] neg_hi:[0,0,1]
	v_pk_fma_f32 v[124:125], v[126:127], v[114:115], v[124:125] op_sel:[0,0,1] op_sel_hi:[1,0,0]
	s_delay_alu instid0(VALU_DEP_1) | instskip(SKIP_4) | instid1(VALU_DEP_1)
	v_mov_b32_e32 v129, v125
	ds_load_2addr_b64 v[124:127], v118 offset0:49 offset1:50
	v_pk_add_f32 v[66:67], v[66:67], v[128:129] neg_lo:[0,1] neg_hi:[0,1]
	s_wait_dscnt 0x0
	v_pk_mul_f32 v[128:129], v[124:125], v[116:117] op_sel:[0,1]
	v_pk_fma_f32 v[130:131], v[124:125], v[114:115], v[128:129] op_sel:[0,0,1] op_sel_hi:[1,1,0] neg_lo:[0,0,1] neg_hi:[0,0,1]
	v_pk_fma_f32 v[124:125], v[124:125], v[114:115], v[128:129] op_sel:[0,0,1] op_sel_hi:[1,0,0]
	v_dual_mul_f32 v128, v127, v117 :: v_dual_mov_b32 v124, v127
	s_delay_alu instid0(VALU_DEP_2) | instskip(NEXT) | instid1(VALU_DEP_2)
	v_dual_mov_b32 v131, v125 :: v_dual_mov_b32 v125, v126
	v_pk_fma_f32 v[128:129], v[126:127], v[98:99], v[128:129] op_sel_hi:[1,1,0] neg_lo:[0,0,1] neg_hi:[0,0,1]
	v_mul_f32_e32 v126, v127, v114
	s_delay_alu instid0(VALU_DEP_3) | instskip(NEXT) | instid1(VALU_DEP_2)
	v_pk_add_f32 v[6:7], v[6:7], v[130:131] neg_lo:[0,1] neg_hi:[0,1]
	v_pk_fma_f32 v[124:125], v[124:125], v[98:99], v[126:127] op_sel_hi:[1,1,0]
	s_delay_alu instid0(VALU_DEP_1) | instskip(SKIP_4) | instid1(VALU_DEP_1)
	v_mov_b32_e32 v129, v125
	ds_load_2addr_b64 v[124:127], v118 offset0:51 offset1:52
	v_pk_add_f32 v[46:47], v[46:47], v[128:129] neg_lo:[0,1] neg_hi:[0,1]
	s_wait_dscnt 0x0
	v_pk_mul_f32 v[128:129], v[124:125], v[116:117] op_sel:[0,1]
	v_pk_fma_f32 v[130:131], v[124:125], v[114:115], v[128:129] op_sel:[0,0,1] op_sel_hi:[1,1,0] neg_lo:[0,0,1] neg_hi:[0,0,1]
	v_pk_fma_f32 v[124:125], v[124:125], v[114:115], v[128:129] op_sel:[0,0,1] op_sel_hi:[1,0,0]
	s_delay_alu instid0(VALU_DEP_1) | instskip(SKIP_1) | instid1(VALU_DEP_1)
	v_mov_b32_e32 v131, v125
	v_pk_mul_f32 v[124:125], v[126:127], v[116:117] op_sel:[0,1]
	v_pk_fma_f32 v[128:129], v[126:127], v[114:115], v[124:125] op_sel:[0,0,1] op_sel_hi:[1,1,0] neg_lo:[0,0,1] neg_hi:[0,0,1]
	v_pk_fma_f32 v[124:125], v[126:127], v[114:115], v[124:125] op_sel:[0,0,1] op_sel_hi:[1,0,0]
	s_delay_alu instid0(VALU_DEP_1)
	v_mov_b32_e32 v129, v125
	ds_load_b64 v[124:125], v118 offset:424
	v_pk_add_f32 v[28:29], v[28:29], v[130:131] neg_lo:[0,1] neg_hi:[0,1]
	v_pk_add_f32 v[14:15], v[14:15], v[128:129] neg_lo:[0,1] neg_hi:[0,1]
	s_wait_dscnt 0x0
	v_pk_mul_f32 v[116:117], v[124:125], v[116:117] op_sel:[0,1]
	s_delay_alu instid0(VALU_DEP_1) | instskip(SKIP_1) | instid1(VALU_DEP_1)
	v_pk_fma_f32 v[126:127], v[124:125], v[114:115], v[116:117] op_sel:[0,0,1] op_sel_hi:[1,1,0] neg_lo:[0,0,1] neg_hi:[0,0,1]
	v_pk_fma_f32 v[114:115], v[124:125], v[114:115], v[116:117] op_sel:[0,0,1] op_sel_hi:[1,0,0]
	v_mov_b32_e32 v127, v115
	s_delay_alu instid0(VALU_DEP_1)
	v_pk_add_f32 v[112:113], v[112:113], v[126:127] neg_lo:[0,1] neg_hi:[0,1]
.LBB106_356:
	s_or_b32 exec_lo, exec_lo, s0
	v_lshl_add_u32 v114, v122, 3, v118
	s_barrier_signal -1
	s_barrier_wait -1
	ds_store_b64 v114, v[64:65]
	s_wait_dscnt 0x0
	s_barrier_signal -1
	s_barrier_wait -1
	ds_load_b64 v[116:117], v118 offset:136
	v_mov_b32_e32 v114, 17
	s_cmp_lt_i32 s18, 19
	s_cbranch_scc1 .LBB106_359
; %bb.357:
	v_add3_u32 v115, v119, 0, 0x90
	v_mov_b32_e32 v114, 17
	s_mov_b32 s0, 18
.LBB106_358:                            ; =>This Inner Loop Header: Depth=1
	ds_load_b64 v[124:125], v115
	s_wait_dscnt 0x1
	v_cmp_gt_f32_e32 vcc_lo, 0, v116
	v_cndmask_b32_e64 v126, v116, -v116, vcc_lo
	v_cmp_gt_f32_e32 vcc_lo, 0, v117
	v_cndmask_b32_e64 v128, v117, -v117, vcc_lo
	s_wait_dscnt 0x0
	v_cmp_gt_f32_e32 vcc_lo, 0, v124
	v_cndmask_b32_e64 v127, v124, -v124, vcc_lo
	v_cmp_gt_f32_e32 vcc_lo, 0, v125
	v_cndmask_b32_e64 v129, v125, -v125, vcc_lo
	s_delay_alu instid0(VALU_DEP_1) | instskip(NEXT) | instid1(VALU_DEP_1)
	v_pk_add_f32 v[126:127], v[126:127], v[128:129]
	v_cmp_lt_f32_e32 vcc_lo, v126, v127
	v_dual_add_nc_u32 v115, 8, v115 :: v_dual_cndmask_b32 v117, v117, v125, vcc_lo
	v_cndmask_b32_e32 v116, v116, v124, vcc_lo
	v_cndmask_b32_e64 v114, v114, s0, vcc_lo
	s_add_co_i32 s0, s0, 1
	s_delay_alu instid0(SALU_CYCLE_1)
	s_cmp_lg_u32 s18, s0
	s_cbranch_scc1 .LBB106_358
.LBB106_359:
	s_wait_dscnt 0x0
	v_cmp_eq_f32_e32 vcc_lo, 0, v116
	v_cmp_eq_f32_e64 s0, 0, v117
	s_and_b32 s0, vcc_lo, s0
	s_delay_alu instid0(SALU_CYCLE_1) | instskip(NEXT) | instid1(SALU_CYCLE_1)
	s_and_saveexec_b32 s1, s0
	s_xor_b32 s0, exec_lo, s1
; %bb.360:
	v_cmp_ne_u32_e32 vcc_lo, 0, v120
	v_cndmask_b32_e32 v120, 18, v120, vcc_lo
; %bb.361:
	s_and_not1_saveexec_b32 s0, s0
	s_cbranch_execz .LBB106_367
; %bb.362:
	v_cmp_ngt_f32_e64 s1, |v116|, |v117|
	s_and_saveexec_b32 s12, s1
	s_delay_alu instid0(SALU_CYCLE_1)
	s_xor_b32 s1, exec_lo, s12
	s_cbranch_execz .LBB106_364
; %bb.363:
	v_div_scale_f32 v115, null, v117, v117, v116
	v_div_scale_f32 v125, vcc_lo, v116, v117, v116
	s_delay_alu instid0(VALU_DEP_2) | instskip(SKIP_1) | instid1(TRANS32_DEP_1)
	v_rcp_f32_e32 v123, v115
	v_nop
	v_fma_f32 v124, -v115, v123, 1.0
	s_delay_alu instid0(VALU_DEP_1) | instskip(NEXT) | instid1(VALU_DEP_1)
	v_fmac_f32_e32 v123, v124, v123
	v_mul_f32_e32 v124, v125, v123
	s_delay_alu instid0(VALU_DEP_1) | instskip(NEXT) | instid1(VALU_DEP_1)
	v_fma_f32 v126, -v115, v124, v125
	v_fmac_f32_e32 v124, v126, v123
	s_delay_alu instid0(VALU_DEP_1) | instskip(NEXT) | instid1(VALU_DEP_1)
	v_fma_f32 v115, -v115, v124, v125
	v_div_fmas_f32 v115, v115, v123, v124
	s_delay_alu instid0(VALU_DEP_1) | instskip(NEXT) | instid1(VALU_DEP_1)
	v_div_fixup_f32 v115, v115, v117, v116
	v_fmac_f32_e32 v117, v116, v115
	s_delay_alu instid0(VALU_DEP_1) | instskip(SKIP_1) | instid1(VALU_DEP_2)
	v_div_scale_f32 v116, null, v117, v117, 1.0
	v_div_scale_f32 v125, vcc_lo, 1.0, v117, 1.0
	v_rcp_f32_e32 v123, v116
	v_nop
	s_delay_alu instid0(TRANS32_DEP_1) | instskip(NEXT) | instid1(VALU_DEP_1)
	v_fma_f32 v124, -v116, v123, 1.0
	v_fmac_f32_e32 v123, v124, v123
	s_delay_alu instid0(VALU_DEP_1) | instskip(NEXT) | instid1(VALU_DEP_1)
	v_mul_f32_e32 v124, v125, v123
	v_fma_f32 v126, -v116, v124, v125
	s_delay_alu instid0(VALU_DEP_1) | instskip(NEXT) | instid1(VALU_DEP_1)
	v_fmac_f32_e32 v124, v126, v123
	v_fma_f32 v116, -v116, v124, v125
	s_delay_alu instid0(VALU_DEP_1) | instskip(NEXT) | instid1(VALU_DEP_1)
	v_div_fmas_f32 v116, v116, v123, v124
	v_div_fixup_f32 v117, v116, v117, 1.0
	s_delay_alu instid0(VALU_DEP_1)
	v_mul_f32_e32 v116, v115, v117
	v_xor_b32_e32 v117, 0x80000000, v117
.LBB106_364:
	s_and_not1_saveexec_b32 s1, s1
	s_cbranch_execz .LBB106_366
; %bb.365:
	s_delay_alu instid0(VALU_DEP_1) | instskip(SKIP_1) | instid1(VALU_DEP_2)
	v_div_scale_f32 v115, null, v116, v116, v117
	v_div_scale_f32 v125, vcc_lo, v117, v116, v117
	v_rcp_f32_e32 v123, v115
	v_nop
	s_delay_alu instid0(TRANS32_DEP_1) | instskip(NEXT) | instid1(VALU_DEP_1)
	v_fma_f32 v124, -v115, v123, 1.0
	v_fmac_f32_e32 v123, v124, v123
	s_delay_alu instid0(VALU_DEP_1) | instskip(NEXT) | instid1(VALU_DEP_1)
	v_mul_f32_e32 v124, v125, v123
	v_fma_f32 v126, -v115, v124, v125
	s_delay_alu instid0(VALU_DEP_1) | instskip(NEXT) | instid1(VALU_DEP_1)
	v_fmac_f32_e32 v124, v126, v123
	v_fma_f32 v115, -v115, v124, v125
	s_delay_alu instid0(VALU_DEP_1) | instskip(NEXT) | instid1(VALU_DEP_1)
	v_div_fmas_f32 v115, v115, v123, v124
	v_div_fixup_f32 v115, v115, v116, v117
	s_delay_alu instid0(VALU_DEP_1) | instskip(NEXT) | instid1(VALU_DEP_1)
	v_fmac_f32_e32 v116, v117, v115
	v_div_scale_f32 v117, null, v116, v116, 1.0
	s_delay_alu instid0(VALU_DEP_1) | instskip(SKIP_1) | instid1(TRANS32_DEP_1)
	v_rcp_f32_e32 v123, v117
	v_nop
	v_fma_f32 v124, -v117, v123, 1.0
	s_delay_alu instid0(VALU_DEP_1) | instskip(SKIP_1) | instid1(VALU_DEP_1)
	v_fmac_f32_e32 v123, v124, v123
	v_div_scale_f32 v124, vcc_lo, 1.0, v116, 1.0
	v_mul_f32_e32 v125, v124, v123
	s_delay_alu instid0(VALU_DEP_1) | instskip(NEXT) | instid1(VALU_DEP_1)
	v_fma_f32 v126, -v117, v125, v124
	v_fmac_f32_e32 v125, v126, v123
	s_delay_alu instid0(VALU_DEP_1) | instskip(NEXT) | instid1(VALU_DEP_1)
	v_fma_f32 v117, -v117, v125, v124
	v_div_fmas_f32 v117, v117, v123, v125
	s_delay_alu instid0(VALU_DEP_1) | instskip(NEXT) | instid1(VALU_DEP_1)
	v_div_fixup_f32 v116, v117, v116, 1.0
	v_mul_f32_e64 v117, v115, -v116
.LBB106_366:
	s_or_b32 exec_lo, exec_lo, s1
.LBB106_367:
	s_delay_alu instid0(SALU_CYCLE_1) | instskip(NEXT) | instid1(SALU_CYCLE_1)
	s_or_b32 exec_lo, exec_lo, s0
	s_mov_b32 s0, exec_lo
	v_cmpx_ne_u32_e64 v122, v114
	s_xor_b32 s0, exec_lo, s0
	s_cbranch_execz .LBB106_373
; %bb.368:
	s_mov_b32 s1, exec_lo
	v_cmpx_eq_u32_e32 17, v122
	s_cbranch_execz .LBB106_372
; %bb.369:
	v_cmp_ne_u32_e32 vcc_lo, 17, v114
	s_xor_b32 s12, s16, -1
	s_delay_alu instid0(SALU_CYCLE_1) | instskip(NEXT) | instid1(SALU_CYCLE_1)
	s_and_b32 s13, s12, vcc_lo
	s_and_saveexec_b32 s12, s13
	s_cbranch_execz .LBB106_371
; %bb.370:
	v_ashrrev_i32_e32 v115, 31, v114
	s_delay_alu instid0(VALU_DEP_1)
	v_lshl_add_u64 v[122:123], v[114:115], 2, v[4:5]
	s_clause 0x1
	global_load_b32 v115, v[122:123], off
	global_load_b32 v121, v[4:5], off offset:68
	s_wait_loadcnt 0x1
	global_store_b32 v[4:5], v115, off offset:68
	s_wait_loadcnt 0x0
	global_store_b32 v[122:123], v121, off
.LBB106_371:
	s_wait_xcnt 0x0
	s_or_b32 exec_lo, exec_lo, s12
	v_dual_mov_b32 v122, v114 :: v_dual_mov_b32 v121, v114
.LBB106_372:
	s_or_b32 exec_lo, exec_lo, s1
.LBB106_373:
	s_and_not1_saveexec_b32 s0, s0
	s_cbranch_execz .LBB106_375
; %bb.374:
	v_dual_mov_b32 v114, v68 :: v_dual_mov_b32 v115, v69
	v_dual_mov_b32 v122, v62 :: v_dual_mov_b32 v123, v63
	;; [unrolled: 1-line block ×4, first 2 shown]
	ds_store_2addr_b64 v118, v[114:115], v[122:123] offset0:18 offset1:19
	ds_store_2addr_b64 v118, v[124:125], v[126:127] offset0:20 offset1:21
	v_dual_mov_b32 v114, v60 :: v_dual_mov_b32 v115, v61
	v_dual_mov_b32 v122, v56 :: v_dual_mov_b32 v123, v57
	;; [unrolled: 1-line block ×12, first 2 shown]
	ds_store_2addr_b64 v118, v[114:115], v[122:123] offset0:22 offset1:23
	ds_store_2addr_b64 v118, v[124:125], v[126:127] offset0:24 offset1:25
	ds_store_2addr_b64 v118, v[128:129], v[130:131] offset0:26 offset1:27
	ds_store_2addr_b64 v118, v[132:133], v[134:135] offset0:28 offset1:29
	ds_store_2addr_b64 v118, v[136:137], v[138:139] offset0:30 offset1:31
	ds_store_2addr_b64 v118, v[140:141], v[142:143] offset0:32 offset1:33
	v_dual_mov_b32 v114, v34 :: v_dual_mov_b32 v115, v35
	v_dual_mov_b32 v122, v30 :: v_dual_mov_b32 v123, v31
	;; [unrolled: 1-line block ×12, first 2 shown]
	ds_store_2addr_b64 v118, v[114:115], v[122:123] offset0:34 offset1:35
	ds_store_2addr_b64 v118, v[124:125], v[126:127] offset0:36 offset1:37
	;; [unrolled: 1-line block ×6, first 2 shown]
	v_dual_mov_b32 v114, v12 :: v_dual_mov_b32 v115, v13
	v_dual_mov_b32 v124, v8 :: v_dual_mov_b32 v125, v9
	;; [unrolled: 1-line block ×7, first 2 shown]
	v_mov_b32_e32 v135, v15
	ds_store_2addr_b64 v118, v[114:115], v[124:125] offset0:46 offset1:47
	ds_store_2addr_b64 v118, v[126:127], v[128:129] offset0:48 offset1:49
	;; [unrolled: 1-line block ×4, first 2 shown]
.LBB106_375:
	s_or_b32 exec_lo, exec_lo, s0
	s_delay_alu instid0(SALU_CYCLE_1)
	s_mov_b32 s0, exec_lo
	s_wait_storecnt_dscnt 0x0
	s_barrier_signal -1
	s_barrier_wait -1
	v_cmpx_lt_i32_e32 17, v122
	s_cbranch_execz .LBB106_377
; %bb.376:
	v_pk_mul_f32 v[124:125], v[116:117], v[64:65] op_sel:[1,1] op_sel_hi:[0,1]
	s_delay_alu instid0(VALU_DEP_1)
	v_pk_fma_f32 v[114:115], v[116:117], v[64:65], v[124:125] op_sel_hi:[1,0,1] neg_lo:[0,0,1] neg_hi:[0,0,1]
	v_pk_fma_f32 v[116:117], v[116:117], v[64:65], v[124:125] op_sel_hi:[1,0,1]
	ds_load_2addr_b64 v[124:127], v118 offset0:18 offset1:19
	v_dual_mov_b32 v64, v114 :: v_dual_mov_b32 v65, v117
	s_wait_dscnt 0x0
	v_pk_mul_f32 v[128:129], v[124:125], v[116:117] op_sel:[0,1]
	s_delay_alu instid0(VALU_DEP_1) | instskip(SKIP_1) | instid1(VALU_DEP_1)
	v_pk_fma_f32 v[130:131], v[124:125], v[114:115], v[128:129] op_sel:[0,0,1] op_sel_hi:[1,1,0] neg_lo:[0,0,1] neg_hi:[0,0,1]
	v_pk_fma_f32 v[124:125], v[124:125], v[114:115], v[128:129] op_sel:[0,0,1] op_sel_hi:[1,0,0]
	v_mov_b32_e32 v131, v125
	v_pk_mul_f32 v[124:125], v[126:127], v[116:117] op_sel:[0,1]
	s_delay_alu instid0(VALU_DEP_1) | instskip(SKIP_1) | instid1(VALU_DEP_1)
	v_pk_fma_f32 v[128:129], v[126:127], v[114:115], v[124:125] op_sel:[0,0,1] op_sel_hi:[1,1,0] neg_lo:[0,0,1] neg_hi:[0,0,1]
	v_pk_fma_f32 v[124:125], v[126:127], v[114:115], v[124:125] op_sel:[0,0,1] op_sel_hi:[1,0,0]
	v_mov_b32_e32 v129, v125
	ds_load_2addr_b64 v[124:127], v118 offset0:20 offset1:21
	v_pk_add_f32 v[68:69], v[68:69], v[130:131] neg_lo:[0,1] neg_hi:[0,1]
	v_pk_add_f32 v[62:63], v[62:63], v[128:129] neg_lo:[0,1] neg_hi:[0,1]
	s_wait_dscnt 0x0
	v_pk_mul_f32 v[128:129], v[124:125], v[116:117] op_sel:[0,1]
	s_delay_alu instid0(VALU_DEP_1) | instskip(SKIP_2) | instid1(VALU_DEP_2)
	v_pk_fma_f32 v[130:131], v[124:125], v[114:115], v[128:129] op_sel:[0,0,1] op_sel_hi:[1,1,0] neg_lo:[0,0,1] neg_hi:[0,0,1]
	v_pk_fma_f32 v[124:125], v[124:125], v[114:115], v[128:129] op_sel:[0,0,1] op_sel_hi:[1,0,0]
	v_dual_mul_f32 v128, v127, v117 :: v_dual_mov_b32 v124, v127
	v_dual_mov_b32 v131, v125 :: v_dual_mov_b32 v125, v126
	s_delay_alu instid0(VALU_DEP_2) | instskip(SKIP_1) | instid1(VALU_DEP_3)
	v_pk_fma_f32 v[128:129], v[126:127], v[64:65], v[128:129] op_sel_hi:[1,1,0] neg_lo:[0,0,1] neg_hi:[0,0,1]
	v_mul_f32_e32 v126, v127, v114
	v_pk_add_f32 v[96:97], v[96:97], v[130:131] neg_lo:[0,1] neg_hi:[0,1]
	s_delay_alu instid0(VALU_DEP_2) | instskip(NEXT) | instid1(VALU_DEP_1)
	v_pk_fma_f32 v[124:125], v[124:125], v[64:65], v[126:127] op_sel_hi:[1,1,0]
	v_mov_b32_e32 v129, v125
	ds_load_2addr_b64 v[124:127], v118 offset0:22 offset1:23
	v_pk_add_f32 v[58:59], v[58:59], v[128:129] neg_lo:[0,1] neg_hi:[0,1]
	s_wait_dscnt 0x0
	v_pk_mul_f32 v[128:129], v[124:125], v[116:117] op_sel:[0,1]
	s_delay_alu instid0(VALU_DEP_1) | instskip(SKIP_1) | instid1(VALU_DEP_1)
	v_pk_fma_f32 v[130:131], v[124:125], v[114:115], v[128:129] op_sel:[0,0,1] op_sel_hi:[1,1,0] neg_lo:[0,0,1] neg_hi:[0,0,1]
	v_pk_fma_f32 v[124:125], v[124:125], v[114:115], v[128:129] op_sel:[0,0,1] op_sel_hi:[1,0,0]
	v_mov_b32_e32 v131, v125
	v_pk_mul_f32 v[124:125], v[126:127], v[116:117] op_sel:[0,1]
	s_delay_alu instid0(VALU_DEP_1) | instskip(SKIP_1) | instid1(VALU_DEP_1)
	v_pk_fma_f32 v[128:129], v[126:127], v[114:115], v[124:125] op_sel:[0,0,1] op_sel_hi:[1,1,0] neg_lo:[0,0,1] neg_hi:[0,0,1]
	v_pk_fma_f32 v[124:125], v[126:127], v[114:115], v[124:125] op_sel:[0,0,1] op_sel_hi:[1,0,0]
	v_mov_b32_e32 v129, v125
	ds_load_2addr_b64 v[124:127], v118 offset0:24 offset1:25
	v_pk_add_f32 v[60:61], v[60:61], v[130:131] neg_lo:[0,1] neg_hi:[0,1]
	v_pk_add_f32 v[56:57], v[56:57], v[128:129] neg_lo:[0,1] neg_hi:[0,1]
	s_wait_dscnt 0x0
	v_pk_mul_f32 v[128:129], v[124:125], v[116:117] op_sel:[0,1]
	s_delay_alu instid0(VALU_DEP_1) | instskip(SKIP_1) | instid1(VALU_DEP_1)
	v_pk_fma_f32 v[130:131], v[124:125], v[114:115], v[128:129] op_sel:[0,0,1] op_sel_hi:[1,1,0] neg_lo:[0,0,1] neg_hi:[0,0,1]
	v_pk_fma_f32 v[124:125], v[124:125], v[114:115], v[128:129] op_sel:[0,0,1] op_sel_hi:[1,0,0]
	v_mov_b32_e32 v131, v125
	v_pk_mul_f32 v[124:125], v[126:127], v[116:117] op_sel:[0,1]
	s_delay_alu instid0(VALU_DEP_1) | instskip(SKIP_1) | instid1(VALU_DEP_1)
	v_pk_fma_f32 v[128:129], v[126:127], v[114:115], v[124:125] op_sel:[0,0,1] op_sel_hi:[1,1,0] neg_lo:[0,0,1] neg_hi:[0,0,1]
	v_pk_fma_f32 v[124:125], v[126:127], v[114:115], v[124:125] op_sel:[0,0,1] op_sel_hi:[1,0,0]
	v_mov_b32_e32 v129, v125
	ds_load_2addr_b64 v[124:127], v118 offset0:26 offset1:27
	v_pk_add_f32 v[94:95], v[94:95], v[130:131] neg_lo:[0,1] neg_hi:[0,1]
	v_pk_add_f32 v[52:53], v[52:53], v[128:129] neg_lo:[0,1] neg_hi:[0,1]
	s_wait_dscnt 0x0
	v_dual_mul_f32 v128, v125, v117 :: v_dual_mul_f32 v130, v125, v114
	s_delay_alu instid0(VALU_DEP_1) | instskip(NEXT) | instid1(VALU_DEP_2)
	v_pk_fma_f32 v[128:129], v[124:125], v[64:65], v[128:129] op_sel_hi:[1,1,0] neg_lo:[0,0,1] neg_hi:[0,0,1]
	v_pk_fma_f32 v[124:125], v[124:125], v[64:65], v[130:131] op_sel:[1,0,0] op_sel_hi:[0,1,0]
	s_delay_alu instid0(VALU_DEP_1) | instskip(SKIP_1) | instid1(VALU_DEP_2)
	v_mov_b32_e32 v129, v125
	v_pk_mul_f32 v[124:125], v[126:127], v[116:117] op_sel:[0,1]
	v_pk_add_f32 v[54:55], v[54:55], v[128:129] neg_lo:[0,1] neg_hi:[0,1]
	s_delay_alu instid0(VALU_DEP_2) | instskip(SKIP_1) | instid1(VALU_DEP_1)
	v_pk_fma_f32 v[128:129], v[126:127], v[114:115], v[124:125] op_sel:[0,0,1] op_sel_hi:[1,1,0] neg_lo:[0,0,1] neg_hi:[0,0,1]
	v_pk_fma_f32 v[124:125], v[126:127], v[114:115], v[124:125] op_sel:[0,0,1] op_sel_hi:[1,0,0]
	v_mov_b32_e32 v129, v125
	ds_load_2addr_b64 v[124:127], v118 offset0:28 offset1:29
	v_pk_add_f32 v[50:51], v[50:51], v[128:129] neg_lo:[0,1] neg_hi:[0,1]
	s_wait_dscnt 0x0
	v_pk_mul_f32 v[128:129], v[124:125], v[116:117] op_sel:[0,1]
	s_delay_alu instid0(VALU_DEP_1) | instskip(SKIP_1) | instid1(VALU_DEP_1)
	v_pk_fma_f32 v[130:131], v[124:125], v[114:115], v[128:129] op_sel:[0,0,1] op_sel_hi:[1,1,0] neg_lo:[0,0,1] neg_hi:[0,0,1]
	v_pk_fma_f32 v[124:125], v[124:125], v[114:115], v[128:129] op_sel:[0,0,1] op_sel_hi:[1,0,0]
	v_mov_b32_e32 v131, v125
	v_pk_mul_f32 v[124:125], v[126:127], v[116:117] op_sel:[0,1]
	s_delay_alu instid0(VALU_DEP_2) | instskip(NEXT) | instid1(VALU_DEP_2)
	v_pk_add_f32 v[90:91], v[90:91], v[130:131] neg_lo:[0,1] neg_hi:[0,1]
	v_pk_fma_f32 v[128:129], v[126:127], v[114:115], v[124:125] op_sel:[0,0,1] op_sel_hi:[1,1,0] neg_lo:[0,0,1] neg_hi:[0,0,1]
	v_pk_fma_f32 v[124:125], v[126:127], v[114:115], v[124:125] op_sel:[0,0,1] op_sel_hi:[1,0,0]
	s_delay_alu instid0(VALU_DEP_1) | instskip(SKIP_4) | instid1(VALU_DEP_1)
	v_mov_b32_e32 v129, v125
	ds_load_2addr_b64 v[124:127], v118 offset0:30 offset1:31
	v_pk_add_f32 v[38:39], v[38:39], v[128:129] neg_lo:[0,1] neg_hi:[0,1]
	s_wait_dscnt 0x0
	v_pk_mul_f32 v[128:129], v[124:125], v[116:117] op_sel:[0,1]
	v_pk_fma_f32 v[130:131], v[124:125], v[114:115], v[128:129] op_sel:[0,0,1] op_sel_hi:[1,1,0] neg_lo:[0,0,1] neg_hi:[0,0,1]
	v_pk_fma_f32 v[124:125], v[124:125], v[114:115], v[128:129] op_sel:[0,0,1] op_sel_hi:[1,0,0]
	v_dual_mul_f32 v128, v127, v117 :: v_dual_mov_b32 v124, v127
	s_delay_alu instid0(VALU_DEP_2) | instskip(NEXT) | instid1(VALU_DEP_2)
	v_dual_mov_b32 v131, v125 :: v_dual_mov_b32 v125, v126
	v_pk_fma_f32 v[128:129], v[126:127], v[64:65], v[128:129] op_sel_hi:[1,1,0] neg_lo:[0,0,1] neg_hi:[0,0,1]
	v_mul_f32_e32 v126, v127, v114
	s_delay_alu instid0(VALU_DEP_3) | instskip(NEXT) | instid1(VALU_DEP_2)
	v_pk_add_f32 v[40:41], v[40:41], v[130:131] neg_lo:[0,1] neg_hi:[0,1]
	v_pk_fma_f32 v[124:125], v[124:125], v[64:65], v[126:127] op_sel_hi:[1,1,0]
	s_delay_alu instid0(VALU_DEP_1) | instskip(SKIP_4) | instid1(VALU_DEP_1)
	v_mov_b32_e32 v129, v125
	ds_load_2addr_b64 v[124:127], v118 offset0:32 offset1:33
	v_pk_add_f32 v[36:37], v[36:37], v[128:129] neg_lo:[0,1] neg_hi:[0,1]
	s_wait_dscnt 0x0
	v_pk_mul_f32 v[128:129], v[124:125], v[116:117] op_sel:[0,1]
	v_pk_fma_f32 v[130:131], v[124:125], v[114:115], v[128:129] op_sel:[0,0,1] op_sel_hi:[1,1,0] neg_lo:[0,0,1] neg_hi:[0,0,1]
	v_pk_fma_f32 v[124:125], v[124:125], v[114:115], v[128:129] op_sel:[0,0,1] op_sel_hi:[1,0,0]
	s_delay_alu instid0(VALU_DEP_1) | instskip(SKIP_1) | instid1(VALU_DEP_1)
	v_mov_b32_e32 v131, v125
	v_pk_mul_f32 v[124:125], v[126:127], v[116:117] op_sel:[0,1]
	v_pk_fma_f32 v[128:129], v[126:127], v[114:115], v[124:125] op_sel:[0,0,1] op_sel_hi:[1,1,0] neg_lo:[0,0,1] neg_hi:[0,0,1]
	v_pk_fma_f32 v[124:125], v[126:127], v[114:115], v[124:125] op_sel:[0,0,1] op_sel_hi:[1,0,0]
	s_delay_alu instid0(VALU_DEP_1)
	v_mov_b32_e32 v129, v125
	ds_load_2addr_b64 v[124:127], v118 offset0:34 offset1:35
	v_pk_add_f32 v[88:89], v[88:89], v[130:131] neg_lo:[0,1] neg_hi:[0,1]
	v_pk_add_f32 v[32:33], v[32:33], v[128:129] neg_lo:[0,1] neg_hi:[0,1]
	s_wait_dscnt 0x0
	v_pk_mul_f32 v[128:129], v[124:125], v[116:117] op_sel:[0,1]
	s_delay_alu instid0(VALU_DEP_1) | instskip(SKIP_1) | instid1(VALU_DEP_1)
	v_pk_fma_f32 v[130:131], v[124:125], v[114:115], v[128:129] op_sel:[0,0,1] op_sel_hi:[1,1,0] neg_lo:[0,0,1] neg_hi:[0,0,1]
	v_pk_fma_f32 v[124:125], v[124:125], v[114:115], v[128:129] op_sel:[0,0,1] op_sel_hi:[1,0,0]
	v_mov_b32_e32 v131, v125
	v_pk_mul_f32 v[124:125], v[126:127], v[116:117] op_sel:[0,1]
	s_delay_alu instid0(VALU_DEP_1) | instskip(SKIP_1) | instid1(VALU_DEP_1)
	v_pk_fma_f32 v[128:129], v[126:127], v[114:115], v[124:125] op_sel:[0,0,1] op_sel_hi:[1,1,0] neg_lo:[0,0,1] neg_hi:[0,0,1]
	v_pk_fma_f32 v[124:125], v[126:127], v[114:115], v[124:125] op_sel:[0,0,1] op_sel_hi:[1,0,0]
	v_mov_b32_e32 v129, v125
	ds_load_2addr_b64 v[124:127], v118 offset0:36 offset1:37
	v_pk_add_f32 v[34:35], v[34:35], v[130:131] neg_lo:[0,1] neg_hi:[0,1]
	v_pk_add_f32 v[30:31], v[30:31], v[128:129] neg_lo:[0,1] neg_hi:[0,1]
	s_wait_dscnt 0x0
	v_dual_mul_f32 v128, v125, v117 :: v_dual_mul_f32 v130, v125, v114
	s_delay_alu instid0(VALU_DEP_1) | instskip(NEXT) | instid1(VALU_DEP_2)
	v_pk_fma_f32 v[128:129], v[124:125], v[64:65], v[128:129] op_sel_hi:[1,1,0] neg_lo:[0,0,1] neg_hi:[0,0,1]
	v_pk_fma_f32 v[124:125], v[124:125], v[64:65], v[130:131] op_sel:[1,0,0] op_sel_hi:[0,1,0]
	s_delay_alu instid0(VALU_DEP_1) | instskip(SKIP_1) | instid1(VALU_DEP_2)
	v_mov_b32_e32 v129, v125
	v_pk_mul_f32 v[124:125], v[126:127], v[116:117] op_sel:[0,1]
	v_pk_add_f32 v[86:87], v[86:87], v[128:129] neg_lo:[0,1] neg_hi:[0,1]
	s_delay_alu instid0(VALU_DEP_2) | instskip(SKIP_1) | instid1(VALU_DEP_1)
	v_pk_fma_f32 v[128:129], v[126:127], v[114:115], v[124:125] op_sel:[0,0,1] op_sel_hi:[1,1,0] neg_lo:[0,0,1] neg_hi:[0,0,1]
	v_pk_fma_f32 v[124:125], v[126:127], v[114:115], v[124:125] op_sel:[0,0,1] op_sel_hi:[1,0,0]
	v_mov_b32_e32 v129, v125
	ds_load_2addr_b64 v[124:127], v118 offset0:38 offset1:39
	v_pk_add_f32 v[24:25], v[24:25], v[128:129] neg_lo:[0,1] neg_hi:[0,1]
	s_wait_dscnt 0x0
	v_pk_mul_f32 v[128:129], v[124:125], v[116:117] op_sel:[0,1]
	s_delay_alu instid0(VALU_DEP_1) | instskip(SKIP_1) | instid1(VALU_DEP_1)
	v_pk_fma_f32 v[130:131], v[124:125], v[114:115], v[128:129] op_sel:[0,0,1] op_sel_hi:[1,1,0] neg_lo:[0,0,1] neg_hi:[0,0,1]
	v_pk_fma_f32 v[124:125], v[124:125], v[114:115], v[128:129] op_sel:[0,0,1] op_sel_hi:[1,0,0]
	v_mov_b32_e32 v131, v125
	v_pk_mul_f32 v[124:125], v[126:127], v[116:117] op_sel:[0,1]
	s_delay_alu instid0(VALU_DEP_2) | instskip(NEXT) | instid1(VALU_DEP_2)
	v_pk_add_f32 v[26:27], v[26:27], v[130:131] neg_lo:[0,1] neg_hi:[0,1]
	v_pk_fma_f32 v[128:129], v[126:127], v[114:115], v[124:125] op_sel:[0,0,1] op_sel_hi:[1,1,0] neg_lo:[0,0,1] neg_hi:[0,0,1]
	v_pk_fma_f32 v[124:125], v[126:127], v[114:115], v[124:125] op_sel:[0,0,1] op_sel_hi:[1,0,0]
	s_delay_alu instid0(VALU_DEP_1) | instskip(SKIP_4) | instid1(VALU_DEP_1)
	v_mov_b32_e32 v129, v125
	ds_load_2addr_b64 v[124:127], v118 offset0:40 offset1:41
	v_pk_add_f32 v[22:23], v[22:23], v[128:129] neg_lo:[0,1] neg_hi:[0,1]
	s_wait_dscnt 0x0
	v_pk_mul_f32 v[128:129], v[124:125], v[116:117] op_sel:[0,1]
	v_pk_fma_f32 v[130:131], v[124:125], v[114:115], v[128:129] op_sel:[0,0,1] op_sel_hi:[1,1,0] neg_lo:[0,0,1] neg_hi:[0,0,1]
	v_pk_fma_f32 v[124:125], v[124:125], v[114:115], v[128:129] op_sel:[0,0,1] op_sel_hi:[1,0,0]
	v_dual_mul_f32 v128, v127, v117 :: v_dual_mov_b32 v124, v127
	s_delay_alu instid0(VALU_DEP_2) | instskip(NEXT) | instid1(VALU_DEP_2)
	v_dual_mov_b32 v131, v125 :: v_dual_mov_b32 v125, v126
	v_pk_fma_f32 v[128:129], v[126:127], v[64:65], v[128:129] op_sel_hi:[1,1,0] neg_lo:[0,0,1] neg_hi:[0,0,1]
	v_mul_f32_e32 v126, v127, v114
	s_delay_alu instid0(VALU_DEP_3) | instskip(NEXT) | instid1(VALU_DEP_2)
	v_pk_add_f32 v[84:85], v[84:85], v[130:131] neg_lo:[0,1] neg_hi:[0,1]
	v_pk_fma_f32 v[124:125], v[124:125], v[64:65], v[126:127] op_sel_hi:[1,1,0]
	s_delay_alu instid0(VALU_DEP_1) | instskip(SKIP_4) | instid1(VALU_DEP_1)
	v_mov_b32_e32 v129, v125
	ds_load_2addr_b64 v[124:127], v118 offset0:42 offset1:43
	v_pk_add_f32 v[18:19], v[18:19], v[128:129] neg_lo:[0,1] neg_hi:[0,1]
	s_wait_dscnt 0x0
	v_pk_mul_f32 v[128:129], v[124:125], v[116:117] op_sel:[0,1]
	v_pk_fma_f32 v[130:131], v[124:125], v[114:115], v[128:129] op_sel:[0,0,1] op_sel_hi:[1,1,0] neg_lo:[0,0,1] neg_hi:[0,0,1]
	v_pk_fma_f32 v[124:125], v[124:125], v[114:115], v[128:129] op_sel:[0,0,1] op_sel_hi:[1,0,0]
	s_delay_alu instid0(VALU_DEP_1) | instskip(SKIP_1) | instid1(VALU_DEP_1)
	v_mov_b32_e32 v131, v125
	v_pk_mul_f32 v[124:125], v[126:127], v[116:117] op_sel:[0,1]
	v_pk_fma_f32 v[128:129], v[126:127], v[114:115], v[124:125] op_sel:[0,0,1] op_sel_hi:[1,1,0] neg_lo:[0,0,1] neg_hi:[0,0,1]
	v_pk_fma_f32 v[124:125], v[126:127], v[114:115], v[124:125] op_sel:[0,0,1] op_sel_hi:[1,0,0]
	s_delay_alu instid0(VALU_DEP_1)
	v_mov_b32_e32 v129, v125
	ds_load_2addr_b64 v[124:127], v118 offset0:44 offset1:45
	v_pk_add_f32 v[20:21], v[20:21], v[130:131] neg_lo:[0,1] neg_hi:[0,1]
	v_pk_add_f32 v[16:17], v[16:17], v[128:129] neg_lo:[0,1] neg_hi:[0,1]
	s_wait_dscnt 0x0
	v_pk_mul_f32 v[128:129], v[124:125], v[116:117] op_sel:[0,1]
	s_delay_alu instid0(VALU_DEP_1) | instskip(SKIP_1) | instid1(VALU_DEP_1)
	v_pk_fma_f32 v[130:131], v[124:125], v[114:115], v[128:129] op_sel:[0,0,1] op_sel_hi:[1,1,0] neg_lo:[0,0,1] neg_hi:[0,0,1]
	v_pk_fma_f32 v[124:125], v[124:125], v[114:115], v[128:129] op_sel:[0,0,1] op_sel_hi:[1,0,0]
	v_mov_b32_e32 v131, v125
	v_pk_mul_f32 v[124:125], v[126:127], v[116:117] op_sel:[0,1]
	s_delay_alu instid0(VALU_DEP_1) | instskip(SKIP_1) | instid1(VALU_DEP_1)
	v_pk_fma_f32 v[128:129], v[126:127], v[114:115], v[124:125] op_sel:[0,0,1] op_sel_hi:[1,1,0] neg_lo:[0,0,1] neg_hi:[0,0,1]
	v_pk_fma_f32 v[124:125], v[126:127], v[114:115], v[124:125] op_sel:[0,0,1] op_sel_hi:[1,0,0]
	v_mov_b32_e32 v129, v125
	ds_load_2addr_b64 v[124:127], v118 offset0:46 offset1:47
	v_pk_add_f32 v[82:83], v[82:83], v[130:131] neg_lo:[0,1] neg_hi:[0,1]
	v_pk_add_f32 v[10:11], v[10:11], v[128:129] neg_lo:[0,1] neg_hi:[0,1]
	s_wait_dscnt 0x0
	v_dual_mul_f32 v128, v125, v117 :: v_dual_mul_f32 v130, v125, v114
	s_delay_alu instid0(VALU_DEP_1) | instskip(NEXT) | instid1(VALU_DEP_2)
	v_pk_fma_f32 v[128:129], v[124:125], v[64:65], v[128:129] op_sel_hi:[1,1,0] neg_lo:[0,0,1] neg_hi:[0,0,1]
	v_pk_fma_f32 v[124:125], v[124:125], v[64:65], v[130:131] op_sel:[1,0,0] op_sel_hi:[0,1,0]
	s_delay_alu instid0(VALU_DEP_1) | instskip(SKIP_1) | instid1(VALU_DEP_2)
	v_mov_b32_e32 v129, v125
	v_pk_mul_f32 v[124:125], v[126:127], v[116:117] op_sel:[0,1]
	v_pk_add_f32 v[12:13], v[12:13], v[128:129] neg_lo:[0,1] neg_hi:[0,1]
	s_delay_alu instid0(VALU_DEP_2) | instskip(SKIP_1) | instid1(VALU_DEP_1)
	v_pk_fma_f32 v[128:129], v[126:127], v[114:115], v[124:125] op_sel:[0,0,1] op_sel_hi:[1,1,0] neg_lo:[0,0,1] neg_hi:[0,0,1]
	v_pk_fma_f32 v[124:125], v[126:127], v[114:115], v[124:125] op_sel:[0,0,1] op_sel_hi:[1,0,0]
	v_mov_b32_e32 v129, v125
	ds_load_2addr_b64 v[124:127], v118 offset0:48 offset1:49
	v_pk_add_f32 v[8:9], v[8:9], v[128:129] neg_lo:[0,1] neg_hi:[0,1]
	s_wait_dscnt 0x0
	v_pk_mul_f32 v[128:129], v[124:125], v[116:117] op_sel:[0,1]
	s_delay_alu instid0(VALU_DEP_1) | instskip(SKIP_1) | instid1(VALU_DEP_1)
	v_pk_fma_f32 v[130:131], v[124:125], v[114:115], v[128:129] op_sel:[0,0,1] op_sel_hi:[1,1,0] neg_lo:[0,0,1] neg_hi:[0,0,1]
	v_pk_fma_f32 v[124:125], v[124:125], v[114:115], v[128:129] op_sel:[0,0,1] op_sel_hi:[1,0,0]
	v_mov_b32_e32 v131, v125
	v_pk_mul_f32 v[124:125], v[126:127], v[116:117] op_sel:[0,1]
	s_delay_alu instid0(VALU_DEP_2) | instskip(NEXT) | instid1(VALU_DEP_2)
	v_pk_add_f32 v[66:67], v[66:67], v[130:131] neg_lo:[0,1] neg_hi:[0,1]
	v_pk_fma_f32 v[128:129], v[126:127], v[114:115], v[124:125] op_sel:[0,0,1] op_sel_hi:[1,1,0] neg_lo:[0,0,1] neg_hi:[0,0,1]
	v_pk_fma_f32 v[124:125], v[126:127], v[114:115], v[124:125] op_sel:[0,0,1] op_sel_hi:[1,0,0]
	s_delay_alu instid0(VALU_DEP_1) | instskip(SKIP_4) | instid1(VALU_DEP_1)
	v_mov_b32_e32 v129, v125
	ds_load_2addr_b64 v[124:127], v118 offset0:50 offset1:51
	v_pk_add_f32 v[6:7], v[6:7], v[128:129] neg_lo:[0,1] neg_hi:[0,1]
	s_wait_dscnt 0x0
	v_pk_mul_f32 v[128:129], v[124:125], v[116:117] op_sel:[0,1]
	v_pk_fma_f32 v[130:131], v[124:125], v[114:115], v[128:129] op_sel:[0,0,1] op_sel_hi:[1,1,0] neg_lo:[0,0,1] neg_hi:[0,0,1]
	v_pk_fma_f32 v[124:125], v[124:125], v[114:115], v[128:129] op_sel:[0,0,1] op_sel_hi:[1,0,0]
	v_dual_mul_f32 v128, v127, v117 :: v_dual_mov_b32 v124, v127
	s_delay_alu instid0(VALU_DEP_2) | instskip(NEXT) | instid1(VALU_DEP_2)
	v_dual_mov_b32 v131, v125 :: v_dual_mov_b32 v125, v126
	v_pk_fma_f32 v[128:129], v[126:127], v[64:65], v[128:129] op_sel_hi:[1,1,0] neg_lo:[0,0,1] neg_hi:[0,0,1]
	v_mul_f32_e32 v126, v127, v114
	s_delay_alu instid0(VALU_DEP_3) | instskip(NEXT) | instid1(VALU_DEP_2)
	v_pk_add_f32 v[46:47], v[46:47], v[130:131] neg_lo:[0,1] neg_hi:[0,1]
	v_pk_fma_f32 v[124:125], v[124:125], v[64:65], v[126:127] op_sel_hi:[1,1,0]
	s_delay_alu instid0(VALU_DEP_1)
	v_mov_b32_e32 v129, v125
	ds_load_2addr_b64 v[124:127], v118 offset0:52 offset1:53
	v_pk_add_f32 v[28:29], v[28:29], v[128:129] neg_lo:[0,1] neg_hi:[0,1]
	s_wait_dscnt 0x0
	v_pk_mul_f32 v[128:129], v[124:125], v[116:117] op_sel:[0,1]
	v_mul_f32_e32 v116, v127, v117
	s_delay_alu instid0(VALU_DEP_2) | instskip(SKIP_2) | instid1(VALU_DEP_4)
	v_pk_fma_f32 v[130:131], v[124:125], v[114:115], v[128:129] op_sel:[0,0,1] op_sel_hi:[1,1,0] neg_lo:[0,0,1] neg_hi:[0,0,1]
	v_pk_fma_f32 v[124:125], v[124:125], v[114:115], v[128:129] op_sel:[0,0,1] op_sel_hi:[1,0,0]
	v_dual_mov_b32 v124, v127 :: v_dual_mul_f32 v114, v127, v114
	v_pk_fma_f32 v[116:117], v[126:127], v[64:65], v[116:117] op_sel_hi:[1,1,0] neg_lo:[0,0,1] neg_hi:[0,0,1]
	s_delay_alu instid0(VALU_DEP_3) | instskip(NEXT) | instid1(VALU_DEP_1)
	v_dual_mov_b32 v131, v125 :: v_dual_mov_b32 v125, v126
	v_pk_add_f32 v[14:15], v[14:15], v[130:131] neg_lo:[0,1] neg_hi:[0,1]
	s_delay_alu instid0(VALU_DEP_2) | instskip(NEXT) | instid1(VALU_DEP_1)
	v_pk_fma_f32 v[114:115], v[124:125], v[64:65], v[114:115] op_sel_hi:[1,1,0]
	v_mov_b32_e32 v117, v115
	s_delay_alu instid0(VALU_DEP_1)
	v_pk_add_f32 v[112:113], v[112:113], v[116:117] neg_lo:[0,1] neg_hi:[0,1]
.LBB106_377:
	s_or_b32 exec_lo, exec_lo, s0
	v_lshl_add_u32 v114, v122, 3, v118
	s_barrier_signal -1
	s_barrier_wait -1
	ds_store_b64 v114, v[68:69]
	s_wait_dscnt 0x0
	s_barrier_signal -1
	s_barrier_wait -1
	ds_load_b64 v[116:117], v118 offset:144
	v_mov_b32_e32 v114, 18
	s_cmp_lt_i32 s18, 20
	s_cbranch_scc1 .LBB106_380
; %bb.378:
	v_add3_u32 v115, v119, 0, 0x98
	v_mov_b32_e32 v114, 18
	s_mov_b32 s0, 19
.LBB106_379:                            ; =>This Inner Loop Header: Depth=1
	ds_load_b64 v[124:125], v115
	s_wait_dscnt 0x1
	v_cmp_gt_f32_e32 vcc_lo, 0, v116
	v_cndmask_b32_e64 v126, v116, -v116, vcc_lo
	v_cmp_gt_f32_e32 vcc_lo, 0, v117
	v_cndmask_b32_e64 v128, v117, -v117, vcc_lo
	s_wait_dscnt 0x0
	v_cmp_gt_f32_e32 vcc_lo, 0, v124
	v_cndmask_b32_e64 v127, v124, -v124, vcc_lo
	v_cmp_gt_f32_e32 vcc_lo, 0, v125
	v_cndmask_b32_e64 v129, v125, -v125, vcc_lo
	s_delay_alu instid0(VALU_DEP_1) | instskip(NEXT) | instid1(VALU_DEP_1)
	v_pk_add_f32 v[126:127], v[126:127], v[128:129]
	v_cmp_lt_f32_e32 vcc_lo, v126, v127
	v_dual_add_nc_u32 v115, 8, v115 :: v_dual_cndmask_b32 v117, v117, v125, vcc_lo
	v_cndmask_b32_e32 v116, v116, v124, vcc_lo
	v_cndmask_b32_e64 v114, v114, s0, vcc_lo
	s_add_co_i32 s0, s0, 1
	s_delay_alu instid0(SALU_CYCLE_1)
	s_cmp_lg_u32 s18, s0
	s_cbranch_scc1 .LBB106_379
.LBB106_380:
	s_wait_dscnt 0x0
	v_cmp_eq_f32_e32 vcc_lo, 0, v116
	v_cmp_eq_f32_e64 s0, 0, v117
	s_and_b32 s0, vcc_lo, s0
	s_delay_alu instid0(SALU_CYCLE_1) | instskip(NEXT) | instid1(SALU_CYCLE_1)
	s_and_saveexec_b32 s1, s0
	s_xor_b32 s0, exec_lo, s1
; %bb.381:
	v_cmp_ne_u32_e32 vcc_lo, 0, v120
	v_cndmask_b32_e32 v120, 19, v120, vcc_lo
; %bb.382:
	s_and_not1_saveexec_b32 s0, s0
	s_cbranch_execz .LBB106_388
; %bb.383:
	v_cmp_ngt_f32_e64 s1, |v116|, |v117|
	s_and_saveexec_b32 s12, s1
	s_delay_alu instid0(SALU_CYCLE_1)
	s_xor_b32 s1, exec_lo, s12
	s_cbranch_execz .LBB106_385
; %bb.384:
	v_div_scale_f32 v115, null, v117, v117, v116
	v_div_scale_f32 v125, vcc_lo, v116, v117, v116
	s_delay_alu instid0(VALU_DEP_2) | instskip(SKIP_1) | instid1(TRANS32_DEP_1)
	v_rcp_f32_e32 v123, v115
	v_nop
	v_fma_f32 v124, -v115, v123, 1.0
	s_delay_alu instid0(VALU_DEP_1) | instskip(NEXT) | instid1(VALU_DEP_1)
	v_fmac_f32_e32 v123, v124, v123
	v_mul_f32_e32 v124, v125, v123
	s_delay_alu instid0(VALU_DEP_1) | instskip(NEXT) | instid1(VALU_DEP_1)
	v_fma_f32 v126, -v115, v124, v125
	v_fmac_f32_e32 v124, v126, v123
	s_delay_alu instid0(VALU_DEP_1) | instskip(NEXT) | instid1(VALU_DEP_1)
	v_fma_f32 v115, -v115, v124, v125
	v_div_fmas_f32 v115, v115, v123, v124
	s_delay_alu instid0(VALU_DEP_1) | instskip(NEXT) | instid1(VALU_DEP_1)
	v_div_fixup_f32 v115, v115, v117, v116
	v_fmac_f32_e32 v117, v116, v115
	s_delay_alu instid0(VALU_DEP_1) | instskip(SKIP_1) | instid1(VALU_DEP_2)
	v_div_scale_f32 v116, null, v117, v117, 1.0
	v_div_scale_f32 v125, vcc_lo, 1.0, v117, 1.0
	v_rcp_f32_e32 v123, v116
	v_nop
	s_delay_alu instid0(TRANS32_DEP_1) | instskip(NEXT) | instid1(VALU_DEP_1)
	v_fma_f32 v124, -v116, v123, 1.0
	v_fmac_f32_e32 v123, v124, v123
	s_delay_alu instid0(VALU_DEP_1) | instskip(NEXT) | instid1(VALU_DEP_1)
	v_mul_f32_e32 v124, v125, v123
	v_fma_f32 v126, -v116, v124, v125
	s_delay_alu instid0(VALU_DEP_1) | instskip(NEXT) | instid1(VALU_DEP_1)
	v_fmac_f32_e32 v124, v126, v123
	v_fma_f32 v116, -v116, v124, v125
	s_delay_alu instid0(VALU_DEP_1) | instskip(NEXT) | instid1(VALU_DEP_1)
	v_div_fmas_f32 v116, v116, v123, v124
	v_div_fixup_f32 v117, v116, v117, 1.0
	s_delay_alu instid0(VALU_DEP_1)
	v_mul_f32_e32 v116, v115, v117
	v_xor_b32_e32 v117, 0x80000000, v117
.LBB106_385:
	s_and_not1_saveexec_b32 s1, s1
	s_cbranch_execz .LBB106_387
; %bb.386:
	s_delay_alu instid0(VALU_DEP_1) | instskip(SKIP_1) | instid1(VALU_DEP_2)
	v_div_scale_f32 v115, null, v116, v116, v117
	v_div_scale_f32 v125, vcc_lo, v117, v116, v117
	v_rcp_f32_e32 v123, v115
	v_nop
	s_delay_alu instid0(TRANS32_DEP_1) | instskip(NEXT) | instid1(VALU_DEP_1)
	v_fma_f32 v124, -v115, v123, 1.0
	v_fmac_f32_e32 v123, v124, v123
	s_delay_alu instid0(VALU_DEP_1) | instskip(NEXT) | instid1(VALU_DEP_1)
	v_mul_f32_e32 v124, v125, v123
	v_fma_f32 v126, -v115, v124, v125
	s_delay_alu instid0(VALU_DEP_1) | instskip(NEXT) | instid1(VALU_DEP_1)
	v_fmac_f32_e32 v124, v126, v123
	v_fma_f32 v115, -v115, v124, v125
	s_delay_alu instid0(VALU_DEP_1) | instskip(NEXT) | instid1(VALU_DEP_1)
	v_div_fmas_f32 v115, v115, v123, v124
	v_div_fixup_f32 v115, v115, v116, v117
	s_delay_alu instid0(VALU_DEP_1) | instskip(NEXT) | instid1(VALU_DEP_1)
	v_fmac_f32_e32 v116, v117, v115
	v_div_scale_f32 v117, null, v116, v116, 1.0
	s_delay_alu instid0(VALU_DEP_1) | instskip(SKIP_1) | instid1(TRANS32_DEP_1)
	v_rcp_f32_e32 v123, v117
	v_nop
	v_fma_f32 v124, -v117, v123, 1.0
	s_delay_alu instid0(VALU_DEP_1) | instskip(SKIP_1) | instid1(VALU_DEP_1)
	v_fmac_f32_e32 v123, v124, v123
	v_div_scale_f32 v124, vcc_lo, 1.0, v116, 1.0
	v_mul_f32_e32 v125, v124, v123
	s_delay_alu instid0(VALU_DEP_1) | instskip(NEXT) | instid1(VALU_DEP_1)
	v_fma_f32 v126, -v117, v125, v124
	v_fmac_f32_e32 v125, v126, v123
	s_delay_alu instid0(VALU_DEP_1) | instskip(NEXT) | instid1(VALU_DEP_1)
	v_fma_f32 v117, -v117, v125, v124
	v_div_fmas_f32 v117, v117, v123, v125
	s_delay_alu instid0(VALU_DEP_1) | instskip(NEXT) | instid1(VALU_DEP_1)
	v_div_fixup_f32 v116, v117, v116, 1.0
	v_mul_f32_e64 v117, v115, -v116
.LBB106_387:
	s_or_b32 exec_lo, exec_lo, s1
.LBB106_388:
	s_delay_alu instid0(SALU_CYCLE_1) | instskip(NEXT) | instid1(SALU_CYCLE_1)
	s_or_b32 exec_lo, exec_lo, s0
	s_mov_b32 s0, exec_lo
	v_cmpx_ne_u32_e64 v122, v114
	s_xor_b32 s0, exec_lo, s0
	s_cbranch_execz .LBB106_394
; %bb.389:
	s_mov_b32 s1, exec_lo
	v_cmpx_eq_u32_e32 18, v122
	s_cbranch_execz .LBB106_393
; %bb.390:
	v_cmp_ne_u32_e32 vcc_lo, 18, v114
	s_xor_b32 s12, s16, -1
	s_delay_alu instid0(SALU_CYCLE_1) | instskip(NEXT) | instid1(SALU_CYCLE_1)
	s_and_b32 s13, s12, vcc_lo
	s_and_saveexec_b32 s12, s13
	s_cbranch_execz .LBB106_392
; %bb.391:
	v_ashrrev_i32_e32 v115, 31, v114
	s_delay_alu instid0(VALU_DEP_1)
	v_lshl_add_u64 v[122:123], v[114:115], 2, v[4:5]
	s_clause 0x1
	global_load_b32 v115, v[122:123], off
	global_load_b32 v121, v[4:5], off offset:72
	s_wait_loadcnt 0x1
	global_store_b32 v[4:5], v115, off offset:72
	s_wait_loadcnt 0x0
	global_store_b32 v[122:123], v121, off
.LBB106_392:
	s_wait_xcnt 0x0
	s_or_b32 exec_lo, exec_lo, s12
	v_dual_mov_b32 v122, v114 :: v_dual_mov_b32 v121, v114
.LBB106_393:
	s_or_b32 exec_lo, exec_lo, s1
.LBB106_394:
	s_and_not1_saveexec_b32 s0, s0
	s_cbranch_execz .LBB106_396
; %bb.395:
	v_mov_b32_e32 v122, 18
	ds_store_2addr_b64 v118, v[62:63], v[96:97] offset0:19 offset1:20
	ds_store_2addr_b64 v118, v[58:59], v[60:61] offset0:21 offset1:22
	;; [unrolled: 1-line block ×17, first 2 shown]
	ds_store_b64 v118, v[112:113] offset:424
.LBB106_396:
	s_or_b32 exec_lo, exec_lo, s0
	s_delay_alu instid0(SALU_CYCLE_1)
	s_mov_b32 s0, exec_lo
	s_wait_storecnt_dscnt 0x0
	s_barrier_signal -1
	s_barrier_wait -1
	v_cmpx_lt_i32_e32 18, v122
	s_cbranch_execz .LBB106_398
; %bb.397:
	v_pk_mul_f32 v[124:125], v[116:117], v[68:69] op_sel:[1,1] op_sel_hi:[0,1]
	s_delay_alu instid0(VALU_DEP_1)
	v_pk_fma_f32 v[114:115], v[116:117], v[68:69], v[124:125] op_sel_hi:[1,0,1] neg_lo:[0,0,1] neg_hi:[0,0,1]
	v_pk_fma_f32 v[116:117], v[116:117], v[68:69], v[124:125] op_sel_hi:[1,0,1]
	ds_load_2addr_b64 v[124:127], v118 offset0:19 offset1:20
	v_dual_mov_b32 v68, v114 :: v_dual_mov_b32 v69, v117
	s_wait_dscnt 0x0
	v_pk_mul_f32 v[128:129], v[124:125], v[116:117] op_sel:[0,1]
	s_delay_alu instid0(VALU_DEP_1) | instskip(SKIP_1) | instid1(VALU_DEP_1)
	v_pk_fma_f32 v[130:131], v[124:125], v[114:115], v[128:129] op_sel:[0,0,1] op_sel_hi:[1,1,0] neg_lo:[0,0,1] neg_hi:[0,0,1]
	v_pk_fma_f32 v[124:125], v[124:125], v[114:115], v[128:129] op_sel:[0,0,1] op_sel_hi:[1,0,0]
	v_mov_b32_e32 v131, v125
	v_pk_mul_f32 v[124:125], v[126:127], v[116:117] op_sel:[0,1]
	s_delay_alu instid0(VALU_DEP_1) | instskip(SKIP_1) | instid1(VALU_DEP_1)
	v_pk_fma_f32 v[128:129], v[126:127], v[114:115], v[124:125] op_sel:[0,0,1] op_sel_hi:[1,1,0] neg_lo:[0,0,1] neg_hi:[0,0,1]
	v_pk_fma_f32 v[124:125], v[126:127], v[114:115], v[124:125] op_sel:[0,0,1] op_sel_hi:[1,0,0]
	v_mov_b32_e32 v129, v125
	ds_load_2addr_b64 v[124:127], v118 offset0:21 offset1:22
	v_pk_add_f32 v[62:63], v[62:63], v[130:131] neg_lo:[0,1] neg_hi:[0,1]
	v_pk_add_f32 v[96:97], v[96:97], v[128:129] neg_lo:[0,1] neg_hi:[0,1]
	s_wait_dscnt 0x0
	v_pk_mul_f32 v[128:129], v[124:125], v[116:117] op_sel:[0,1]
	s_delay_alu instid0(VALU_DEP_1) | instskip(SKIP_2) | instid1(VALU_DEP_2)
	v_pk_fma_f32 v[130:131], v[124:125], v[114:115], v[128:129] op_sel:[0,0,1] op_sel_hi:[1,1,0] neg_lo:[0,0,1] neg_hi:[0,0,1]
	v_pk_fma_f32 v[124:125], v[124:125], v[114:115], v[128:129] op_sel:[0,0,1] op_sel_hi:[1,0,0]
	v_dual_mul_f32 v128, v127, v117 :: v_dual_mov_b32 v124, v127
	v_dual_mov_b32 v131, v125 :: v_dual_mov_b32 v125, v126
	s_delay_alu instid0(VALU_DEP_2) | instskip(SKIP_1) | instid1(VALU_DEP_3)
	v_pk_fma_f32 v[128:129], v[126:127], v[68:69], v[128:129] op_sel_hi:[1,1,0] neg_lo:[0,0,1] neg_hi:[0,0,1]
	v_mul_f32_e32 v126, v127, v114
	v_pk_add_f32 v[58:59], v[58:59], v[130:131] neg_lo:[0,1] neg_hi:[0,1]
	s_delay_alu instid0(VALU_DEP_2) | instskip(NEXT) | instid1(VALU_DEP_1)
	v_pk_fma_f32 v[124:125], v[124:125], v[68:69], v[126:127] op_sel_hi:[1,1,0]
	v_mov_b32_e32 v129, v125
	ds_load_2addr_b64 v[124:127], v118 offset0:23 offset1:24
	v_pk_add_f32 v[60:61], v[60:61], v[128:129] neg_lo:[0,1] neg_hi:[0,1]
	s_wait_dscnt 0x0
	v_pk_mul_f32 v[128:129], v[124:125], v[116:117] op_sel:[0,1]
	s_delay_alu instid0(VALU_DEP_1) | instskip(SKIP_1) | instid1(VALU_DEP_1)
	v_pk_fma_f32 v[130:131], v[124:125], v[114:115], v[128:129] op_sel:[0,0,1] op_sel_hi:[1,1,0] neg_lo:[0,0,1] neg_hi:[0,0,1]
	v_pk_fma_f32 v[124:125], v[124:125], v[114:115], v[128:129] op_sel:[0,0,1] op_sel_hi:[1,0,0]
	v_mov_b32_e32 v131, v125
	v_pk_mul_f32 v[124:125], v[126:127], v[116:117] op_sel:[0,1]
	s_delay_alu instid0(VALU_DEP_1) | instskip(SKIP_1) | instid1(VALU_DEP_1)
	v_pk_fma_f32 v[128:129], v[126:127], v[114:115], v[124:125] op_sel:[0,0,1] op_sel_hi:[1,1,0] neg_lo:[0,0,1] neg_hi:[0,0,1]
	v_pk_fma_f32 v[124:125], v[126:127], v[114:115], v[124:125] op_sel:[0,0,1] op_sel_hi:[1,0,0]
	v_mov_b32_e32 v129, v125
	ds_load_2addr_b64 v[124:127], v118 offset0:25 offset1:26
	v_pk_add_f32 v[56:57], v[56:57], v[130:131] neg_lo:[0,1] neg_hi:[0,1]
	v_pk_add_f32 v[94:95], v[94:95], v[128:129] neg_lo:[0,1] neg_hi:[0,1]
	s_wait_dscnt 0x0
	v_pk_mul_f32 v[128:129], v[124:125], v[116:117] op_sel:[0,1]
	s_delay_alu instid0(VALU_DEP_1) | instskip(SKIP_1) | instid1(VALU_DEP_1)
	v_pk_fma_f32 v[130:131], v[124:125], v[114:115], v[128:129] op_sel:[0,0,1] op_sel_hi:[1,1,0] neg_lo:[0,0,1] neg_hi:[0,0,1]
	v_pk_fma_f32 v[124:125], v[124:125], v[114:115], v[128:129] op_sel:[0,0,1] op_sel_hi:[1,0,0]
	v_mov_b32_e32 v131, v125
	v_pk_mul_f32 v[124:125], v[126:127], v[116:117] op_sel:[0,1]
	s_delay_alu instid0(VALU_DEP_1) | instskip(SKIP_1) | instid1(VALU_DEP_1)
	v_pk_fma_f32 v[128:129], v[126:127], v[114:115], v[124:125] op_sel:[0,0,1] op_sel_hi:[1,1,0] neg_lo:[0,0,1] neg_hi:[0,0,1]
	v_pk_fma_f32 v[124:125], v[126:127], v[114:115], v[124:125] op_sel:[0,0,1] op_sel_hi:[1,0,0]
	v_mov_b32_e32 v129, v125
	ds_load_2addr_b64 v[124:127], v118 offset0:27 offset1:28
	v_pk_add_f32 v[52:53], v[52:53], v[130:131] neg_lo:[0,1] neg_hi:[0,1]
	v_pk_add_f32 v[54:55], v[54:55], v[128:129] neg_lo:[0,1] neg_hi:[0,1]
	s_wait_dscnt 0x0
	v_dual_mul_f32 v128, v125, v117 :: v_dual_mul_f32 v130, v125, v114
	s_delay_alu instid0(VALU_DEP_1) | instskip(NEXT) | instid1(VALU_DEP_2)
	v_pk_fma_f32 v[128:129], v[124:125], v[68:69], v[128:129] op_sel_hi:[1,1,0] neg_lo:[0,0,1] neg_hi:[0,0,1]
	v_pk_fma_f32 v[124:125], v[124:125], v[68:69], v[130:131] op_sel:[1,0,0] op_sel_hi:[0,1,0]
	s_delay_alu instid0(VALU_DEP_1) | instskip(SKIP_1) | instid1(VALU_DEP_2)
	v_mov_b32_e32 v129, v125
	v_pk_mul_f32 v[124:125], v[126:127], v[116:117] op_sel:[0,1]
	v_pk_add_f32 v[50:51], v[50:51], v[128:129] neg_lo:[0,1] neg_hi:[0,1]
	s_delay_alu instid0(VALU_DEP_2) | instskip(SKIP_1) | instid1(VALU_DEP_1)
	v_pk_fma_f32 v[128:129], v[126:127], v[114:115], v[124:125] op_sel:[0,0,1] op_sel_hi:[1,1,0] neg_lo:[0,0,1] neg_hi:[0,0,1]
	v_pk_fma_f32 v[124:125], v[126:127], v[114:115], v[124:125] op_sel:[0,0,1] op_sel_hi:[1,0,0]
	v_mov_b32_e32 v129, v125
	ds_load_2addr_b64 v[124:127], v118 offset0:29 offset1:30
	v_pk_add_f32 v[90:91], v[90:91], v[128:129] neg_lo:[0,1] neg_hi:[0,1]
	s_wait_dscnt 0x0
	v_pk_mul_f32 v[128:129], v[124:125], v[116:117] op_sel:[0,1]
	s_delay_alu instid0(VALU_DEP_1) | instskip(SKIP_1) | instid1(VALU_DEP_1)
	v_pk_fma_f32 v[130:131], v[124:125], v[114:115], v[128:129] op_sel:[0,0,1] op_sel_hi:[1,1,0] neg_lo:[0,0,1] neg_hi:[0,0,1]
	v_pk_fma_f32 v[124:125], v[124:125], v[114:115], v[128:129] op_sel:[0,0,1] op_sel_hi:[1,0,0]
	v_mov_b32_e32 v131, v125
	v_pk_mul_f32 v[124:125], v[126:127], v[116:117] op_sel:[0,1]
	s_delay_alu instid0(VALU_DEP_2) | instskip(NEXT) | instid1(VALU_DEP_2)
	v_pk_add_f32 v[38:39], v[38:39], v[130:131] neg_lo:[0,1] neg_hi:[0,1]
	v_pk_fma_f32 v[128:129], v[126:127], v[114:115], v[124:125] op_sel:[0,0,1] op_sel_hi:[1,1,0] neg_lo:[0,0,1] neg_hi:[0,0,1]
	v_pk_fma_f32 v[124:125], v[126:127], v[114:115], v[124:125] op_sel:[0,0,1] op_sel_hi:[1,0,0]
	s_delay_alu instid0(VALU_DEP_1) | instskip(SKIP_4) | instid1(VALU_DEP_1)
	v_mov_b32_e32 v129, v125
	ds_load_2addr_b64 v[124:127], v118 offset0:31 offset1:32
	v_pk_add_f32 v[40:41], v[40:41], v[128:129] neg_lo:[0,1] neg_hi:[0,1]
	s_wait_dscnt 0x0
	v_pk_mul_f32 v[128:129], v[124:125], v[116:117] op_sel:[0,1]
	v_pk_fma_f32 v[130:131], v[124:125], v[114:115], v[128:129] op_sel:[0,0,1] op_sel_hi:[1,1,0] neg_lo:[0,0,1] neg_hi:[0,0,1]
	v_pk_fma_f32 v[124:125], v[124:125], v[114:115], v[128:129] op_sel:[0,0,1] op_sel_hi:[1,0,0]
	v_dual_mul_f32 v128, v127, v117 :: v_dual_mov_b32 v124, v127
	s_delay_alu instid0(VALU_DEP_2) | instskip(NEXT) | instid1(VALU_DEP_2)
	v_dual_mov_b32 v131, v125 :: v_dual_mov_b32 v125, v126
	v_pk_fma_f32 v[128:129], v[126:127], v[68:69], v[128:129] op_sel_hi:[1,1,0] neg_lo:[0,0,1] neg_hi:[0,0,1]
	v_mul_f32_e32 v126, v127, v114
	s_delay_alu instid0(VALU_DEP_3) | instskip(NEXT) | instid1(VALU_DEP_2)
	v_pk_add_f32 v[36:37], v[36:37], v[130:131] neg_lo:[0,1] neg_hi:[0,1]
	v_pk_fma_f32 v[124:125], v[124:125], v[68:69], v[126:127] op_sel_hi:[1,1,0]
	s_delay_alu instid0(VALU_DEP_1) | instskip(SKIP_4) | instid1(VALU_DEP_1)
	v_mov_b32_e32 v129, v125
	ds_load_2addr_b64 v[124:127], v118 offset0:33 offset1:34
	v_pk_add_f32 v[88:89], v[88:89], v[128:129] neg_lo:[0,1] neg_hi:[0,1]
	s_wait_dscnt 0x0
	v_pk_mul_f32 v[128:129], v[124:125], v[116:117] op_sel:[0,1]
	v_pk_fma_f32 v[130:131], v[124:125], v[114:115], v[128:129] op_sel:[0,0,1] op_sel_hi:[1,1,0] neg_lo:[0,0,1] neg_hi:[0,0,1]
	v_pk_fma_f32 v[124:125], v[124:125], v[114:115], v[128:129] op_sel:[0,0,1] op_sel_hi:[1,0,0]
	s_delay_alu instid0(VALU_DEP_1) | instskip(SKIP_1) | instid1(VALU_DEP_1)
	v_mov_b32_e32 v131, v125
	v_pk_mul_f32 v[124:125], v[126:127], v[116:117] op_sel:[0,1]
	v_pk_fma_f32 v[128:129], v[126:127], v[114:115], v[124:125] op_sel:[0,0,1] op_sel_hi:[1,1,0] neg_lo:[0,0,1] neg_hi:[0,0,1]
	v_pk_fma_f32 v[124:125], v[126:127], v[114:115], v[124:125] op_sel:[0,0,1] op_sel_hi:[1,0,0]
	s_delay_alu instid0(VALU_DEP_1)
	v_mov_b32_e32 v129, v125
	ds_load_2addr_b64 v[124:127], v118 offset0:35 offset1:36
	v_pk_add_f32 v[32:33], v[32:33], v[130:131] neg_lo:[0,1] neg_hi:[0,1]
	v_pk_add_f32 v[34:35], v[34:35], v[128:129] neg_lo:[0,1] neg_hi:[0,1]
	s_wait_dscnt 0x0
	v_pk_mul_f32 v[128:129], v[124:125], v[116:117] op_sel:[0,1]
	s_delay_alu instid0(VALU_DEP_1) | instskip(SKIP_1) | instid1(VALU_DEP_1)
	v_pk_fma_f32 v[130:131], v[124:125], v[114:115], v[128:129] op_sel:[0,0,1] op_sel_hi:[1,1,0] neg_lo:[0,0,1] neg_hi:[0,0,1]
	v_pk_fma_f32 v[124:125], v[124:125], v[114:115], v[128:129] op_sel:[0,0,1] op_sel_hi:[1,0,0]
	v_mov_b32_e32 v131, v125
	v_pk_mul_f32 v[124:125], v[126:127], v[116:117] op_sel:[0,1]
	s_delay_alu instid0(VALU_DEP_1) | instskip(SKIP_1) | instid1(VALU_DEP_1)
	v_pk_fma_f32 v[128:129], v[126:127], v[114:115], v[124:125] op_sel:[0,0,1] op_sel_hi:[1,1,0] neg_lo:[0,0,1] neg_hi:[0,0,1]
	v_pk_fma_f32 v[124:125], v[126:127], v[114:115], v[124:125] op_sel:[0,0,1] op_sel_hi:[1,0,0]
	v_mov_b32_e32 v129, v125
	ds_load_2addr_b64 v[124:127], v118 offset0:37 offset1:38
	v_pk_add_f32 v[30:31], v[30:31], v[130:131] neg_lo:[0,1] neg_hi:[0,1]
	v_pk_add_f32 v[86:87], v[86:87], v[128:129] neg_lo:[0,1] neg_hi:[0,1]
	s_wait_dscnt 0x0
	v_dual_mul_f32 v128, v125, v117 :: v_dual_mul_f32 v130, v125, v114
	s_delay_alu instid0(VALU_DEP_1) | instskip(NEXT) | instid1(VALU_DEP_2)
	v_pk_fma_f32 v[128:129], v[124:125], v[68:69], v[128:129] op_sel_hi:[1,1,0] neg_lo:[0,0,1] neg_hi:[0,0,1]
	v_pk_fma_f32 v[124:125], v[124:125], v[68:69], v[130:131] op_sel:[1,0,0] op_sel_hi:[0,1,0]
	s_delay_alu instid0(VALU_DEP_1) | instskip(SKIP_1) | instid1(VALU_DEP_2)
	v_mov_b32_e32 v129, v125
	v_pk_mul_f32 v[124:125], v[126:127], v[116:117] op_sel:[0,1]
	v_pk_add_f32 v[24:25], v[24:25], v[128:129] neg_lo:[0,1] neg_hi:[0,1]
	s_delay_alu instid0(VALU_DEP_2) | instskip(SKIP_1) | instid1(VALU_DEP_1)
	v_pk_fma_f32 v[128:129], v[126:127], v[114:115], v[124:125] op_sel:[0,0,1] op_sel_hi:[1,1,0] neg_lo:[0,0,1] neg_hi:[0,0,1]
	v_pk_fma_f32 v[124:125], v[126:127], v[114:115], v[124:125] op_sel:[0,0,1] op_sel_hi:[1,0,0]
	v_mov_b32_e32 v129, v125
	ds_load_2addr_b64 v[124:127], v118 offset0:39 offset1:40
	v_pk_add_f32 v[26:27], v[26:27], v[128:129] neg_lo:[0,1] neg_hi:[0,1]
	s_wait_dscnt 0x0
	v_pk_mul_f32 v[128:129], v[124:125], v[116:117] op_sel:[0,1]
	s_delay_alu instid0(VALU_DEP_1) | instskip(SKIP_1) | instid1(VALU_DEP_1)
	v_pk_fma_f32 v[130:131], v[124:125], v[114:115], v[128:129] op_sel:[0,0,1] op_sel_hi:[1,1,0] neg_lo:[0,0,1] neg_hi:[0,0,1]
	v_pk_fma_f32 v[124:125], v[124:125], v[114:115], v[128:129] op_sel:[0,0,1] op_sel_hi:[1,0,0]
	v_mov_b32_e32 v131, v125
	v_pk_mul_f32 v[124:125], v[126:127], v[116:117] op_sel:[0,1]
	s_delay_alu instid0(VALU_DEP_2) | instskip(NEXT) | instid1(VALU_DEP_2)
	v_pk_add_f32 v[22:23], v[22:23], v[130:131] neg_lo:[0,1] neg_hi:[0,1]
	v_pk_fma_f32 v[128:129], v[126:127], v[114:115], v[124:125] op_sel:[0,0,1] op_sel_hi:[1,1,0] neg_lo:[0,0,1] neg_hi:[0,0,1]
	v_pk_fma_f32 v[124:125], v[126:127], v[114:115], v[124:125] op_sel:[0,0,1] op_sel_hi:[1,0,0]
	s_delay_alu instid0(VALU_DEP_1) | instskip(SKIP_4) | instid1(VALU_DEP_1)
	v_mov_b32_e32 v129, v125
	ds_load_2addr_b64 v[124:127], v118 offset0:41 offset1:42
	v_pk_add_f32 v[84:85], v[84:85], v[128:129] neg_lo:[0,1] neg_hi:[0,1]
	s_wait_dscnt 0x0
	v_pk_mul_f32 v[128:129], v[124:125], v[116:117] op_sel:[0,1]
	v_pk_fma_f32 v[130:131], v[124:125], v[114:115], v[128:129] op_sel:[0,0,1] op_sel_hi:[1,1,0] neg_lo:[0,0,1] neg_hi:[0,0,1]
	v_pk_fma_f32 v[124:125], v[124:125], v[114:115], v[128:129] op_sel:[0,0,1] op_sel_hi:[1,0,0]
	v_dual_mul_f32 v128, v127, v117 :: v_dual_mov_b32 v124, v127
	s_delay_alu instid0(VALU_DEP_2) | instskip(NEXT) | instid1(VALU_DEP_2)
	v_dual_mov_b32 v131, v125 :: v_dual_mov_b32 v125, v126
	v_pk_fma_f32 v[128:129], v[126:127], v[68:69], v[128:129] op_sel_hi:[1,1,0] neg_lo:[0,0,1] neg_hi:[0,0,1]
	v_mul_f32_e32 v126, v127, v114
	s_delay_alu instid0(VALU_DEP_3) | instskip(NEXT) | instid1(VALU_DEP_2)
	v_pk_add_f32 v[18:19], v[18:19], v[130:131] neg_lo:[0,1] neg_hi:[0,1]
	v_pk_fma_f32 v[124:125], v[124:125], v[68:69], v[126:127] op_sel_hi:[1,1,0]
	s_delay_alu instid0(VALU_DEP_1) | instskip(SKIP_4) | instid1(VALU_DEP_1)
	v_mov_b32_e32 v129, v125
	ds_load_2addr_b64 v[124:127], v118 offset0:43 offset1:44
	v_pk_add_f32 v[20:21], v[20:21], v[128:129] neg_lo:[0,1] neg_hi:[0,1]
	s_wait_dscnt 0x0
	v_pk_mul_f32 v[128:129], v[124:125], v[116:117] op_sel:[0,1]
	v_pk_fma_f32 v[130:131], v[124:125], v[114:115], v[128:129] op_sel:[0,0,1] op_sel_hi:[1,1,0] neg_lo:[0,0,1] neg_hi:[0,0,1]
	v_pk_fma_f32 v[124:125], v[124:125], v[114:115], v[128:129] op_sel:[0,0,1] op_sel_hi:[1,0,0]
	s_delay_alu instid0(VALU_DEP_1) | instskip(SKIP_1) | instid1(VALU_DEP_1)
	v_mov_b32_e32 v131, v125
	v_pk_mul_f32 v[124:125], v[126:127], v[116:117] op_sel:[0,1]
	v_pk_fma_f32 v[128:129], v[126:127], v[114:115], v[124:125] op_sel:[0,0,1] op_sel_hi:[1,1,0] neg_lo:[0,0,1] neg_hi:[0,0,1]
	v_pk_fma_f32 v[124:125], v[126:127], v[114:115], v[124:125] op_sel:[0,0,1] op_sel_hi:[1,0,0]
	s_delay_alu instid0(VALU_DEP_1)
	v_mov_b32_e32 v129, v125
	ds_load_2addr_b64 v[124:127], v118 offset0:45 offset1:46
	v_pk_add_f32 v[16:17], v[16:17], v[130:131] neg_lo:[0,1] neg_hi:[0,1]
	v_pk_add_f32 v[82:83], v[82:83], v[128:129] neg_lo:[0,1] neg_hi:[0,1]
	s_wait_dscnt 0x0
	v_pk_mul_f32 v[128:129], v[124:125], v[116:117] op_sel:[0,1]
	s_delay_alu instid0(VALU_DEP_1) | instskip(SKIP_1) | instid1(VALU_DEP_1)
	v_pk_fma_f32 v[130:131], v[124:125], v[114:115], v[128:129] op_sel:[0,0,1] op_sel_hi:[1,1,0] neg_lo:[0,0,1] neg_hi:[0,0,1]
	v_pk_fma_f32 v[124:125], v[124:125], v[114:115], v[128:129] op_sel:[0,0,1] op_sel_hi:[1,0,0]
	v_mov_b32_e32 v131, v125
	v_pk_mul_f32 v[124:125], v[126:127], v[116:117] op_sel:[0,1]
	s_delay_alu instid0(VALU_DEP_1) | instskip(SKIP_1) | instid1(VALU_DEP_1)
	v_pk_fma_f32 v[128:129], v[126:127], v[114:115], v[124:125] op_sel:[0,0,1] op_sel_hi:[1,1,0] neg_lo:[0,0,1] neg_hi:[0,0,1]
	v_pk_fma_f32 v[124:125], v[126:127], v[114:115], v[124:125] op_sel:[0,0,1] op_sel_hi:[1,0,0]
	v_mov_b32_e32 v129, v125
	ds_load_2addr_b64 v[124:127], v118 offset0:47 offset1:48
	v_pk_add_f32 v[10:11], v[10:11], v[130:131] neg_lo:[0,1] neg_hi:[0,1]
	v_pk_add_f32 v[12:13], v[12:13], v[128:129] neg_lo:[0,1] neg_hi:[0,1]
	s_wait_dscnt 0x0
	v_dual_mul_f32 v128, v125, v117 :: v_dual_mul_f32 v130, v125, v114
	s_delay_alu instid0(VALU_DEP_1) | instskip(NEXT) | instid1(VALU_DEP_2)
	v_pk_fma_f32 v[128:129], v[124:125], v[68:69], v[128:129] op_sel_hi:[1,1,0] neg_lo:[0,0,1] neg_hi:[0,0,1]
	v_pk_fma_f32 v[124:125], v[124:125], v[68:69], v[130:131] op_sel:[1,0,0] op_sel_hi:[0,1,0]
	s_delay_alu instid0(VALU_DEP_1) | instskip(SKIP_1) | instid1(VALU_DEP_2)
	v_mov_b32_e32 v129, v125
	v_pk_mul_f32 v[124:125], v[126:127], v[116:117] op_sel:[0,1]
	v_pk_add_f32 v[8:9], v[8:9], v[128:129] neg_lo:[0,1] neg_hi:[0,1]
	s_delay_alu instid0(VALU_DEP_2) | instskip(SKIP_1) | instid1(VALU_DEP_1)
	v_pk_fma_f32 v[128:129], v[126:127], v[114:115], v[124:125] op_sel:[0,0,1] op_sel_hi:[1,1,0] neg_lo:[0,0,1] neg_hi:[0,0,1]
	v_pk_fma_f32 v[124:125], v[126:127], v[114:115], v[124:125] op_sel:[0,0,1] op_sel_hi:[1,0,0]
	v_mov_b32_e32 v129, v125
	ds_load_2addr_b64 v[124:127], v118 offset0:49 offset1:50
	v_pk_add_f32 v[66:67], v[66:67], v[128:129] neg_lo:[0,1] neg_hi:[0,1]
	s_wait_dscnt 0x0
	v_pk_mul_f32 v[128:129], v[124:125], v[116:117] op_sel:[0,1]
	s_delay_alu instid0(VALU_DEP_1) | instskip(SKIP_1) | instid1(VALU_DEP_1)
	v_pk_fma_f32 v[130:131], v[124:125], v[114:115], v[128:129] op_sel:[0,0,1] op_sel_hi:[1,1,0] neg_lo:[0,0,1] neg_hi:[0,0,1]
	v_pk_fma_f32 v[124:125], v[124:125], v[114:115], v[128:129] op_sel:[0,0,1] op_sel_hi:[1,0,0]
	v_mov_b32_e32 v131, v125
	v_pk_mul_f32 v[124:125], v[126:127], v[116:117] op_sel:[0,1]
	s_delay_alu instid0(VALU_DEP_2) | instskip(NEXT) | instid1(VALU_DEP_2)
	v_pk_add_f32 v[6:7], v[6:7], v[130:131] neg_lo:[0,1] neg_hi:[0,1]
	v_pk_fma_f32 v[128:129], v[126:127], v[114:115], v[124:125] op_sel:[0,0,1] op_sel_hi:[1,1,0] neg_lo:[0,0,1] neg_hi:[0,0,1]
	v_pk_fma_f32 v[124:125], v[126:127], v[114:115], v[124:125] op_sel:[0,0,1] op_sel_hi:[1,0,0]
	s_delay_alu instid0(VALU_DEP_1) | instskip(SKIP_4) | instid1(VALU_DEP_1)
	v_mov_b32_e32 v129, v125
	ds_load_2addr_b64 v[124:127], v118 offset0:51 offset1:52
	v_pk_add_f32 v[46:47], v[46:47], v[128:129] neg_lo:[0,1] neg_hi:[0,1]
	s_wait_dscnt 0x0
	v_pk_mul_f32 v[128:129], v[124:125], v[116:117] op_sel:[0,1]
	v_pk_fma_f32 v[130:131], v[124:125], v[114:115], v[128:129] op_sel:[0,0,1] op_sel_hi:[1,1,0] neg_lo:[0,0,1] neg_hi:[0,0,1]
	v_pk_fma_f32 v[124:125], v[124:125], v[114:115], v[128:129] op_sel:[0,0,1] op_sel_hi:[1,0,0]
	v_dual_mul_f32 v128, v127, v117 :: v_dual_mov_b32 v124, v127
	s_delay_alu instid0(VALU_DEP_2) | instskip(NEXT) | instid1(VALU_DEP_2)
	v_dual_mov_b32 v131, v125 :: v_dual_mov_b32 v125, v126
	v_pk_fma_f32 v[128:129], v[126:127], v[68:69], v[128:129] op_sel_hi:[1,1,0] neg_lo:[0,0,1] neg_hi:[0,0,1]
	v_mul_f32_e32 v126, v127, v114
	s_delay_alu instid0(VALU_DEP_3) | instskip(NEXT) | instid1(VALU_DEP_2)
	v_pk_add_f32 v[28:29], v[28:29], v[130:131] neg_lo:[0,1] neg_hi:[0,1]
	v_pk_fma_f32 v[124:125], v[124:125], v[68:69], v[126:127] op_sel_hi:[1,1,0]
	s_delay_alu instid0(VALU_DEP_1) | instskip(SKIP_4) | instid1(VALU_DEP_1)
	v_mov_b32_e32 v129, v125
	ds_load_b64 v[124:125], v118 offset:424
	v_pk_add_f32 v[14:15], v[14:15], v[128:129] neg_lo:[0,1] neg_hi:[0,1]
	s_wait_dscnt 0x0
	v_pk_mul_f32 v[116:117], v[124:125], v[116:117] op_sel:[0,1]
	v_pk_fma_f32 v[126:127], v[124:125], v[114:115], v[116:117] op_sel:[0,0,1] op_sel_hi:[1,1,0] neg_lo:[0,0,1] neg_hi:[0,0,1]
	v_pk_fma_f32 v[114:115], v[124:125], v[114:115], v[116:117] op_sel:[0,0,1] op_sel_hi:[1,0,0]
	s_delay_alu instid0(VALU_DEP_1) | instskip(NEXT) | instid1(VALU_DEP_1)
	v_mov_b32_e32 v127, v115
	v_pk_add_f32 v[112:113], v[112:113], v[126:127] neg_lo:[0,1] neg_hi:[0,1]
.LBB106_398:
	s_or_b32 exec_lo, exec_lo, s0
	v_lshl_add_u32 v114, v122, 3, v118
	s_barrier_signal -1
	s_barrier_wait -1
	ds_store_b64 v114, v[62:63]
	s_wait_dscnt 0x0
	s_barrier_signal -1
	s_barrier_wait -1
	ds_load_b64 v[116:117], v118 offset:152
	v_mov_b32_e32 v114, 19
	s_cmp_lt_i32 s18, 21
	s_cbranch_scc1 .LBB106_401
; %bb.399:
	v_add3_u32 v115, v119, 0, 0xa0
	v_mov_b32_e32 v114, 19
	s_mov_b32 s0, 20
.LBB106_400:                            ; =>This Inner Loop Header: Depth=1
	ds_load_b64 v[124:125], v115
	s_wait_dscnt 0x1
	v_cmp_gt_f32_e32 vcc_lo, 0, v116
	v_cndmask_b32_e64 v126, v116, -v116, vcc_lo
	v_cmp_gt_f32_e32 vcc_lo, 0, v117
	v_cndmask_b32_e64 v128, v117, -v117, vcc_lo
	s_wait_dscnt 0x0
	v_cmp_gt_f32_e32 vcc_lo, 0, v124
	v_cndmask_b32_e64 v127, v124, -v124, vcc_lo
	v_cmp_gt_f32_e32 vcc_lo, 0, v125
	v_cndmask_b32_e64 v129, v125, -v125, vcc_lo
	s_delay_alu instid0(VALU_DEP_1) | instskip(NEXT) | instid1(VALU_DEP_1)
	v_pk_add_f32 v[126:127], v[126:127], v[128:129]
	v_cmp_lt_f32_e32 vcc_lo, v126, v127
	v_dual_add_nc_u32 v115, 8, v115 :: v_dual_cndmask_b32 v117, v117, v125, vcc_lo
	v_cndmask_b32_e32 v116, v116, v124, vcc_lo
	v_cndmask_b32_e64 v114, v114, s0, vcc_lo
	s_add_co_i32 s0, s0, 1
	s_delay_alu instid0(SALU_CYCLE_1)
	s_cmp_lg_u32 s18, s0
	s_cbranch_scc1 .LBB106_400
.LBB106_401:
	s_wait_dscnt 0x0
	v_cmp_eq_f32_e32 vcc_lo, 0, v116
	v_cmp_eq_f32_e64 s0, 0, v117
	s_and_b32 s0, vcc_lo, s0
	s_delay_alu instid0(SALU_CYCLE_1) | instskip(NEXT) | instid1(SALU_CYCLE_1)
	s_and_saveexec_b32 s1, s0
	s_xor_b32 s0, exec_lo, s1
; %bb.402:
	v_cmp_ne_u32_e32 vcc_lo, 0, v120
	v_cndmask_b32_e32 v120, 20, v120, vcc_lo
; %bb.403:
	s_and_not1_saveexec_b32 s0, s0
	s_cbranch_execz .LBB106_409
; %bb.404:
	v_cmp_ngt_f32_e64 s1, |v116|, |v117|
	s_and_saveexec_b32 s12, s1
	s_delay_alu instid0(SALU_CYCLE_1)
	s_xor_b32 s1, exec_lo, s12
	s_cbranch_execz .LBB106_406
; %bb.405:
	v_div_scale_f32 v115, null, v117, v117, v116
	v_div_scale_f32 v125, vcc_lo, v116, v117, v116
	s_delay_alu instid0(VALU_DEP_2) | instskip(SKIP_1) | instid1(TRANS32_DEP_1)
	v_rcp_f32_e32 v123, v115
	v_nop
	v_fma_f32 v124, -v115, v123, 1.0
	s_delay_alu instid0(VALU_DEP_1) | instskip(NEXT) | instid1(VALU_DEP_1)
	v_fmac_f32_e32 v123, v124, v123
	v_mul_f32_e32 v124, v125, v123
	s_delay_alu instid0(VALU_DEP_1) | instskip(NEXT) | instid1(VALU_DEP_1)
	v_fma_f32 v126, -v115, v124, v125
	v_fmac_f32_e32 v124, v126, v123
	s_delay_alu instid0(VALU_DEP_1) | instskip(NEXT) | instid1(VALU_DEP_1)
	v_fma_f32 v115, -v115, v124, v125
	v_div_fmas_f32 v115, v115, v123, v124
	s_delay_alu instid0(VALU_DEP_1) | instskip(NEXT) | instid1(VALU_DEP_1)
	v_div_fixup_f32 v115, v115, v117, v116
	v_fmac_f32_e32 v117, v116, v115
	s_delay_alu instid0(VALU_DEP_1) | instskip(SKIP_1) | instid1(VALU_DEP_2)
	v_div_scale_f32 v116, null, v117, v117, 1.0
	v_div_scale_f32 v125, vcc_lo, 1.0, v117, 1.0
	v_rcp_f32_e32 v123, v116
	v_nop
	s_delay_alu instid0(TRANS32_DEP_1) | instskip(NEXT) | instid1(VALU_DEP_1)
	v_fma_f32 v124, -v116, v123, 1.0
	v_fmac_f32_e32 v123, v124, v123
	s_delay_alu instid0(VALU_DEP_1) | instskip(NEXT) | instid1(VALU_DEP_1)
	v_mul_f32_e32 v124, v125, v123
	v_fma_f32 v126, -v116, v124, v125
	s_delay_alu instid0(VALU_DEP_1) | instskip(NEXT) | instid1(VALU_DEP_1)
	v_fmac_f32_e32 v124, v126, v123
	v_fma_f32 v116, -v116, v124, v125
	s_delay_alu instid0(VALU_DEP_1) | instskip(NEXT) | instid1(VALU_DEP_1)
	v_div_fmas_f32 v116, v116, v123, v124
	v_div_fixup_f32 v117, v116, v117, 1.0
	s_delay_alu instid0(VALU_DEP_1)
	v_mul_f32_e32 v116, v115, v117
	v_xor_b32_e32 v117, 0x80000000, v117
.LBB106_406:
	s_and_not1_saveexec_b32 s1, s1
	s_cbranch_execz .LBB106_408
; %bb.407:
	s_delay_alu instid0(VALU_DEP_1) | instskip(SKIP_1) | instid1(VALU_DEP_2)
	v_div_scale_f32 v115, null, v116, v116, v117
	v_div_scale_f32 v125, vcc_lo, v117, v116, v117
	v_rcp_f32_e32 v123, v115
	v_nop
	s_delay_alu instid0(TRANS32_DEP_1) | instskip(NEXT) | instid1(VALU_DEP_1)
	v_fma_f32 v124, -v115, v123, 1.0
	v_fmac_f32_e32 v123, v124, v123
	s_delay_alu instid0(VALU_DEP_1) | instskip(NEXT) | instid1(VALU_DEP_1)
	v_mul_f32_e32 v124, v125, v123
	v_fma_f32 v126, -v115, v124, v125
	s_delay_alu instid0(VALU_DEP_1) | instskip(NEXT) | instid1(VALU_DEP_1)
	v_fmac_f32_e32 v124, v126, v123
	v_fma_f32 v115, -v115, v124, v125
	s_delay_alu instid0(VALU_DEP_1) | instskip(NEXT) | instid1(VALU_DEP_1)
	v_div_fmas_f32 v115, v115, v123, v124
	v_div_fixup_f32 v115, v115, v116, v117
	s_delay_alu instid0(VALU_DEP_1) | instskip(NEXT) | instid1(VALU_DEP_1)
	v_fmac_f32_e32 v116, v117, v115
	v_div_scale_f32 v117, null, v116, v116, 1.0
	s_delay_alu instid0(VALU_DEP_1) | instskip(SKIP_1) | instid1(TRANS32_DEP_1)
	v_rcp_f32_e32 v123, v117
	v_nop
	v_fma_f32 v124, -v117, v123, 1.0
	s_delay_alu instid0(VALU_DEP_1) | instskip(SKIP_1) | instid1(VALU_DEP_1)
	v_fmac_f32_e32 v123, v124, v123
	v_div_scale_f32 v124, vcc_lo, 1.0, v116, 1.0
	v_mul_f32_e32 v125, v124, v123
	s_delay_alu instid0(VALU_DEP_1) | instskip(NEXT) | instid1(VALU_DEP_1)
	v_fma_f32 v126, -v117, v125, v124
	v_fmac_f32_e32 v125, v126, v123
	s_delay_alu instid0(VALU_DEP_1) | instskip(NEXT) | instid1(VALU_DEP_1)
	v_fma_f32 v117, -v117, v125, v124
	v_div_fmas_f32 v117, v117, v123, v125
	s_delay_alu instid0(VALU_DEP_1) | instskip(NEXT) | instid1(VALU_DEP_1)
	v_div_fixup_f32 v116, v117, v116, 1.0
	v_mul_f32_e64 v117, v115, -v116
.LBB106_408:
	s_or_b32 exec_lo, exec_lo, s1
.LBB106_409:
	s_delay_alu instid0(SALU_CYCLE_1) | instskip(NEXT) | instid1(SALU_CYCLE_1)
	s_or_b32 exec_lo, exec_lo, s0
	s_mov_b32 s0, exec_lo
	v_cmpx_ne_u32_e64 v122, v114
	s_xor_b32 s0, exec_lo, s0
	s_cbranch_execz .LBB106_415
; %bb.410:
	s_mov_b32 s1, exec_lo
	v_cmpx_eq_u32_e32 19, v122
	s_cbranch_execz .LBB106_414
; %bb.411:
	v_cmp_ne_u32_e32 vcc_lo, 19, v114
	s_xor_b32 s12, s16, -1
	s_delay_alu instid0(SALU_CYCLE_1) | instskip(NEXT) | instid1(SALU_CYCLE_1)
	s_and_b32 s13, s12, vcc_lo
	s_and_saveexec_b32 s12, s13
	s_cbranch_execz .LBB106_413
; %bb.412:
	v_ashrrev_i32_e32 v115, 31, v114
	s_delay_alu instid0(VALU_DEP_1)
	v_lshl_add_u64 v[122:123], v[114:115], 2, v[4:5]
	s_clause 0x1
	global_load_b32 v115, v[122:123], off
	global_load_b32 v121, v[4:5], off offset:76
	s_wait_loadcnt 0x1
	global_store_b32 v[4:5], v115, off offset:76
	s_wait_loadcnt 0x0
	global_store_b32 v[122:123], v121, off
.LBB106_413:
	s_wait_xcnt 0x0
	s_or_b32 exec_lo, exec_lo, s12
	v_dual_mov_b32 v122, v114 :: v_dual_mov_b32 v121, v114
.LBB106_414:
	s_or_b32 exec_lo, exec_lo, s1
.LBB106_415:
	s_and_not1_saveexec_b32 s0, s0
	s_cbranch_execz .LBB106_417
; %bb.416:
	v_dual_mov_b32 v114, v96 :: v_dual_mov_b32 v115, v97
	v_dual_mov_b32 v122, v58 :: v_dual_mov_b32 v123, v59
	;; [unrolled: 1-line block ×12, first 2 shown]
	ds_store_2addr_b64 v118, v[114:115], v[122:123] offset0:20 offset1:21
	ds_store_2addr_b64 v118, v[124:125], v[126:127] offset0:22 offset1:23
	;; [unrolled: 1-line block ×6, first 2 shown]
	v_dual_mov_b32 v114, v88 :: v_dual_mov_b32 v115, v89
	v_dual_mov_b32 v122, v32 :: v_dual_mov_b32 v123, v33
	;; [unrolled: 1-line block ×12, first 2 shown]
	ds_store_2addr_b64 v118, v[114:115], v[122:123] offset0:32 offset1:33
	ds_store_2addr_b64 v118, v[124:125], v[126:127] offset0:34 offset1:35
	;; [unrolled: 1-line block ×6, first 2 shown]
	v_dual_mov_b32 v114, v82 :: v_dual_mov_b32 v115, v83
	v_dual_mov_b32 v124, v10 :: v_dual_mov_b32 v125, v11
	;; [unrolled: 1-line block ×9, first 2 shown]
	v_mov_b32_e32 v139, v15
	ds_store_2addr_b64 v118, v[114:115], v[124:125] offset0:44 offset1:45
	ds_store_2addr_b64 v118, v[126:127], v[128:129] offset0:46 offset1:47
	;; [unrolled: 1-line block ×5, first 2 shown]
.LBB106_417:
	s_or_b32 exec_lo, exec_lo, s0
	s_delay_alu instid0(SALU_CYCLE_1)
	s_mov_b32 s0, exec_lo
	s_wait_storecnt_dscnt 0x0
	s_barrier_signal -1
	s_barrier_wait -1
	v_cmpx_lt_i32_e32 19, v122
	s_cbranch_execz .LBB106_419
; %bb.418:
	v_pk_mul_f32 v[124:125], v[116:117], v[62:63] op_sel:[1,1] op_sel_hi:[0,1]
	s_delay_alu instid0(VALU_DEP_1)
	v_pk_fma_f32 v[114:115], v[116:117], v[62:63], v[124:125] op_sel_hi:[1,0,1] neg_lo:[0,0,1] neg_hi:[0,0,1]
	v_pk_fma_f32 v[116:117], v[116:117], v[62:63], v[124:125] op_sel_hi:[1,0,1]
	ds_load_2addr_b64 v[124:127], v118 offset0:20 offset1:21
	v_dual_mov_b32 v62, v114 :: v_dual_mov_b32 v63, v117
	s_wait_dscnt 0x0
	v_pk_mul_f32 v[128:129], v[124:125], v[116:117] op_sel:[0,1]
	s_delay_alu instid0(VALU_DEP_1) | instskip(SKIP_1) | instid1(VALU_DEP_1)
	v_pk_fma_f32 v[130:131], v[124:125], v[114:115], v[128:129] op_sel:[0,0,1] op_sel_hi:[1,1,0] neg_lo:[0,0,1] neg_hi:[0,0,1]
	v_pk_fma_f32 v[124:125], v[124:125], v[114:115], v[128:129] op_sel:[0,0,1] op_sel_hi:[1,0,0]
	v_mov_b32_e32 v131, v125
	v_pk_mul_f32 v[124:125], v[126:127], v[116:117] op_sel:[0,1]
	s_delay_alu instid0(VALU_DEP_1) | instskip(SKIP_1) | instid1(VALU_DEP_1)
	v_pk_fma_f32 v[128:129], v[126:127], v[114:115], v[124:125] op_sel:[0,0,1] op_sel_hi:[1,1,0] neg_lo:[0,0,1] neg_hi:[0,0,1]
	v_pk_fma_f32 v[124:125], v[126:127], v[114:115], v[124:125] op_sel:[0,0,1] op_sel_hi:[1,0,0]
	v_mov_b32_e32 v129, v125
	ds_load_2addr_b64 v[124:127], v118 offset0:22 offset1:23
	v_pk_add_f32 v[96:97], v[96:97], v[130:131] neg_lo:[0,1] neg_hi:[0,1]
	v_pk_add_f32 v[58:59], v[58:59], v[128:129] neg_lo:[0,1] neg_hi:[0,1]
	s_wait_dscnt 0x0
	v_pk_mul_f32 v[128:129], v[124:125], v[116:117] op_sel:[0,1]
	s_delay_alu instid0(VALU_DEP_1) | instskip(SKIP_2) | instid1(VALU_DEP_2)
	v_pk_fma_f32 v[130:131], v[124:125], v[114:115], v[128:129] op_sel:[0,0,1] op_sel_hi:[1,1,0] neg_lo:[0,0,1] neg_hi:[0,0,1]
	v_pk_fma_f32 v[124:125], v[124:125], v[114:115], v[128:129] op_sel:[0,0,1] op_sel_hi:[1,0,0]
	v_dual_mul_f32 v128, v127, v117 :: v_dual_mov_b32 v124, v127
	v_dual_mov_b32 v131, v125 :: v_dual_mov_b32 v125, v126
	s_delay_alu instid0(VALU_DEP_2) | instskip(SKIP_1) | instid1(VALU_DEP_3)
	v_pk_fma_f32 v[128:129], v[126:127], v[62:63], v[128:129] op_sel_hi:[1,1,0] neg_lo:[0,0,1] neg_hi:[0,0,1]
	v_mul_f32_e32 v126, v127, v114
	v_pk_add_f32 v[60:61], v[60:61], v[130:131] neg_lo:[0,1] neg_hi:[0,1]
	s_delay_alu instid0(VALU_DEP_2) | instskip(NEXT) | instid1(VALU_DEP_1)
	v_pk_fma_f32 v[124:125], v[124:125], v[62:63], v[126:127] op_sel_hi:[1,1,0]
	v_mov_b32_e32 v129, v125
	ds_load_2addr_b64 v[124:127], v118 offset0:24 offset1:25
	v_pk_add_f32 v[56:57], v[56:57], v[128:129] neg_lo:[0,1] neg_hi:[0,1]
	s_wait_dscnt 0x0
	v_pk_mul_f32 v[128:129], v[124:125], v[116:117] op_sel:[0,1]
	s_delay_alu instid0(VALU_DEP_1) | instskip(SKIP_1) | instid1(VALU_DEP_1)
	v_pk_fma_f32 v[130:131], v[124:125], v[114:115], v[128:129] op_sel:[0,0,1] op_sel_hi:[1,1,0] neg_lo:[0,0,1] neg_hi:[0,0,1]
	v_pk_fma_f32 v[124:125], v[124:125], v[114:115], v[128:129] op_sel:[0,0,1] op_sel_hi:[1,0,0]
	v_mov_b32_e32 v131, v125
	v_pk_mul_f32 v[124:125], v[126:127], v[116:117] op_sel:[0,1]
	s_delay_alu instid0(VALU_DEP_1) | instskip(SKIP_1) | instid1(VALU_DEP_1)
	v_pk_fma_f32 v[128:129], v[126:127], v[114:115], v[124:125] op_sel:[0,0,1] op_sel_hi:[1,1,0] neg_lo:[0,0,1] neg_hi:[0,0,1]
	v_pk_fma_f32 v[124:125], v[126:127], v[114:115], v[124:125] op_sel:[0,0,1] op_sel_hi:[1,0,0]
	v_mov_b32_e32 v129, v125
	ds_load_2addr_b64 v[124:127], v118 offset0:26 offset1:27
	v_pk_add_f32 v[94:95], v[94:95], v[130:131] neg_lo:[0,1] neg_hi:[0,1]
	v_pk_add_f32 v[52:53], v[52:53], v[128:129] neg_lo:[0,1] neg_hi:[0,1]
	s_wait_dscnt 0x0
	v_pk_mul_f32 v[128:129], v[124:125], v[116:117] op_sel:[0,1]
	s_delay_alu instid0(VALU_DEP_1) | instskip(SKIP_1) | instid1(VALU_DEP_1)
	v_pk_fma_f32 v[130:131], v[124:125], v[114:115], v[128:129] op_sel:[0,0,1] op_sel_hi:[1,1,0] neg_lo:[0,0,1] neg_hi:[0,0,1]
	v_pk_fma_f32 v[124:125], v[124:125], v[114:115], v[128:129] op_sel:[0,0,1] op_sel_hi:[1,0,0]
	v_mov_b32_e32 v131, v125
	v_pk_mul_f32 v[124:125], v[126:127], v[116:117] op_sel:[0,1]
	s_delay_alu instid0(VALU_DEP_1) | instskip(SKIP_1) | instid1(VALU_DEP_1)
	v_pk_fma_f32 v[128:129], v[126:127], v[114:115], v[124:125] op_sel:[0,0,1] op_sel_hi:[1,1,0] neg_lo:[0,0,1] neg_hi:[0,0,1]
	v_pk_fma_f32 v[124:125], v[126:127], v[114:115], v[124:125] op_sel:[0,0,1] op_sel_hi:[1,0,0]
	v_mov_b32_e32 v129, v125
	ds_load_2addr_b64 v[124:127], v118 offset0:28 offset1:29
	v_pk_add_f32 v[54:55], v[54:55], v[130:131] neg_lo:[0,1] neg_hi:[0,1]
	v_pk_add_f32 v[50:51], v[50:51], v[128:129] neg_lo:[0,1] neg_hi:[0,1]
	s_wait_dscnt 0x0
	v_dual_mul_f32 v128, v125, v117 :: v_dual_mul_f32 v130, v125, v114
	s_delay_alu instid0(VALU_DEP_1) | instskip(NEXT) | instid1(VALU_DEP_2)
	v_pk_fma_f32 v[128:129], v[124:125], v[62:63], v[128:129] op_sel_hi:[1,1,0] neg_lo:[0,0,1] neg_hi:[0,0,1]
	v_pk_fma_f32 v[124:125], v[124:125], v[62:63], v[130:131] op_sel:[1,0,0] op_sel_hi:[0,1,0]
	s_delay_alu instid0(VALU_DEP_1) | instskip(SKIP_1) | instid1(VALU_DEP_2)
	v_mov_b32_e32 v129, v125
	v_pk_mul_f32 v[124:125], v[126:127], v[116:117] op_sel:[0,1]
	v_pk_add_f32 v[90:91], v[90:91], v[128:129] neg_lo:[0,1] neg_hi:[0,1]
	s_delay_alu instid0(VALU_DEP_2) | instskip(SKIP_1) | instid1(VALU_DEP_1)
	v_pk_fma_f32 v[128:129], v[126:127], v[114:115], v[124:125] op_sel:[0,0,1] op_sel_hi:[1,1,0] neg_lo:[0,0,1] neg_hi:[0,0,1]
	v_pk_fma_f32 v[124:125], v[126:127], v[114:115], v[124:125] op_sel:[0,0,1] op_sel_hi:[1,0,0]
	v_mov_b32_e32 v129, v125
	ds_load_2addr_b64 v[124:127], v118 offset0:30 offset1:31
	v_pk_add_f32 v[38:39], v[38:39], v[128:129] neg_lo:[0,1] neg_hi:[0,1]
	s_wait_dscnt 0x0
	v_pk_mul_f32 v[128:129], v[124:125], v[116:117] op_sel:[0,1]
	s_delay_alu instid0(VALU_DEP_1) | instskip(SKIP_1) | instid1(VALU_DEP_1)
	v_pk_fma_f32 v[130:131], v[124:125], v[114:115], v[128:129] op_sel:[0,0,1] op_sel_hi:[1,1,0] neg_lo:[0,0,1] neg_hi:[0,0,1]
	v_pk_fma_f32 v[124:125], v[124:125], v[114:115], v[128:129] op_sel:[0,0,1] op_sel_hi:[1,0,0]
	v_mov_b32_e32 v131, v125
	v_pk_mul_f32 v[124:125], v[126:127], v[116:117] op_sel:[0,1]
	s_delay_alu instid0(VALU_DEP_2) | instskip(NEXT) | instid1(VALU_DEP_2)
	v_pk_add_f32 v[40:41], v[40:41], v[130:131] neg_lo:[0,1] neg_hi:[0,1]
	v_pk_fma_f32 v[128:129], v[126:127], v[114:115], v[124:125] op_sel:[0,0,1] op_sel_hi:[1,1,0] neg_lo:[0,0,1] neg_hi:[0,0,1]
	v_pk_fma_f32 v[124:125], v[126:127], v[114:115], v[124:125] op_sel:[0,0,1] op_sel_hi:[1,0,0]
	s_delay_alu instid0(VALU_DEP_1) | instskip(SKIP_4) | instid1(VALU_DEP_1)
	v_mov_b32_e32 v129, v125
	ds_load_2addr_b64 v[124:127], v118 offset0:32 offset1:33
	v_pk_add_f32 v[36:37], v[36:37], v[128:129] neg_lo:[0,1] neg_hi:[0,1]
	s_wait_dscnt 0x0
	v_pk_mul_f32 v[128:129], v[124:125], v[116:117] op_sel:[0,1]
	v_pk_fma_f32 v[130:131], v[124:125], v[114:115], v[128:129] op_sel:[0,0,1] op_sel_hi:[1,1,0] neg_lo:[0,0,1] neg_hi:[0,0,1]
	v_pk_fma_f32 v[124:125], v[124:125], v[114:115], v[128:129] op_sel:[0,0,1] op_sel_hi:[1,0,0]
	v_dual_mul_f32 v128, v127, v117 :: v_dual_mov_b32 v124, v127
	s_delay_alu instid0(VALU_DEP_2) | instskip(NEXT) | instid1(VALU_DEP_2)
	v_dual_mov_b32 v131, v125 :: v_dual_mov_b32 v125, v126
	v_pk_fma_f32 v[128:129], v[126:127], v[62:63], v[128:129] op_sel_hi:[1,1,0] neg_lo:[0,0,1] neg_hi:[0,0,1]
	v_mul_f32_e32 v126, v127, v114
	s_delay_alu instid0(VALU_DEP_3) | instskip(NEXT) | instid1(VALU_DEP_2)
	v_pk_add_f32 v[88:89], v[88:89], v[130:131] neg_lo:[0,1] neg_hi:[0,1]
	v_pk_fma_f32 v[124:125], v[124:125], v[62:63], v[126:127] op_sel_hi:[1,1,0]
	s_delay_alu instid0(VALU_DEP_1) | instskip(SKIP_4) | instid1(VALU_DEP_1)
	v_mov_b32_e32 v129, v125
	ds_load_2addr_b64 v[124:127], v118 offset0:34 offset1:35
	v_pk_add_f32 v[32:33], v[32:33], v[128:129] neg_lo:[0,1] neg_hi:[0,1]
	s_wait_dscnt 0x0
	v_pk_mul_f32 v[128:129], v[124:125], v[116:117] op_sel:[0,1]
	v_pk_fma_f32 v[130:131], v[124:125], v[114:115], v[128:129] op_sel:[0,0,1] op_sel_hi:[1,1,0] neg_lo:[0,0,1] neg_hi:[0,0,1]
	v_pk_fma_f32 v[124:125], v[124:125], v[114:115], v[128:129] op_sel:[0,0,1] op_sel_hi:[1,0,0]
	s_delay_alu instid0(VALU_DEP_1) | instskip(SKIP_1) | instid1(VALU_DEP_1)
	v_mov_b32_e32 v131, v125
	v_pk_mul_f32 v[124:125], v[126:127], v[116:117] op_sel:[0,1]
	v_pk_fma_f32 v[128:129], v[126:127], v[114:115], v[124:125] op_sel:[0,0,1] op_sel_hi:[1,1,0] neg_lo:[0,0,1] neg_hi:[0,0,1]
	v_pk_fma_f32 v[124:125], v[126:127], v[114:115], v[124:125] op_sel:[0,0,1] op_sel_hi:[1,0,0]
	s_delay_alu instid0(VALU_DEP_1)
	v_mov_b32_e32 v129, v125
	ds_load_2addr_b64 v[124:127], v118 offset0:36 offset1:37
	v_pk_add_f32 v[34:35], v[34:35], v[130:131] neg_lo:[0,1] neg_hi:[0,1]
	v_pk_add_f32 v[30:31], v[30:31], v[128:129] neg_lo:[0,1] neg_hi:[0,1]
	s_wait_dscnt 0x0
	v_pk_mul_f32 v[128:129], v[124:125], v[116:117] op_sel:[0,1]
	s_delay_alu instid0(VALU_DEP_1) | instskip(SKIP_1) | instid1(VALU_DEP_1)
	v_pk_fma_f32 v[130:131], v[124:125], v[114:115], v[128:129] op_sel:[0,0,1] op_sel_hi:[1,1,0] neg_lo:[0,0,1] neg_hi:[0,0,1]
	v_pk_fma_f32 v[124:125], v[124:125], v[114:115], v[128:129] op_sel:[0,0,1] op_sel_hi:[1,0,0]
	v_mov_b32_e32 v131, v125
	v_pk_mul_f32 v[124:125], v[126:127], v[116:117] op_sel:[0,1]
	s_delay_alu instid0(VALU_DEP_1) | instskip(SKIP_1) | instid1(VALU_DEP_1)
	v_pk_fma_f32 v[128:129], v[126:127], v[114:115], v[124:125] op_sel:[0,0,1] op_sel_hi:[1,1,0] neg_lo:[0,0,1] neg_hi:[0,0,1]
	v_pk_fma_f32 v[124:125], v[126:127], v[114:115], v[124:125] op_sel:[0,0,1] op_sel_hi:[1,0,0]
	v_mov_b32_e32 v129, v125
	ds_load_2addr_b64 v[124:127], v118 offset0:38 offset1:39
	v_pk_add_f32 v[86:87], v[86:87], v[130:131] neg_lo:[0,1] neg_hi:[0,1]
	v_pk_add_f32 v[24:25], v[24:25], v[128:129] neg_lo:[0,1] neg_hi:[0,1]
	s_wait_dscnt 0x0
	v_dual_mul_f32 v128, v125, v117 :: v_dual_mul_f32 v130, v125, v114
	s_delay_alu instid0(VALU_DEP_1) | instskip(NEXT) | instid1(VALU_DEP_2)
	v_pk_fma_f32 v[128:129], v[124:125], v[62:63], v[128:129] op_sel_hi:[1,1,0] neg_lo:[0,0,1] neg_hi:[0,0,1]
	v_pk_fma_f32 v[124:125], v[124:125], v[62:63], v[130:131] op_sel:[1,0,0] op_sel_hi:[0,1,0]
	s_delay_alu instid0(VALU_DEP_1) | instskip(SKIP_1) | instid1(VALU_DEP_2)
	v_mov_b32_e32 v129, v125
	v_pk_mul_f32 v[124:125], v[126:127], v[116:117] op_sel:[0,1]
	v_pk_add_f32 v[26:27], v[26:27], v[128:129] neg_lo:[0,1] neg_hi:[0,1]
	s_delay_alu instid0(VALU_DEP_2) | instskip(SKIP_1) | instid1(VALU_DEP_1)
	v_pk_fma_f32 v[128:129], v[126:127], v[114:115], v[124:125] op_sel:[0,0,1] op_sel_hi:[1,1,0] neg_lo:[0,0,1] neg_hi:[0,0,1]
	v_pk_fma_f32 v[124:125], v[126:127], v[114:115], v[124:125] op_sel:[0,0,1] op_sel_hi:[1,0,0]
	v_mov_b32_e32 v129, v125
	ds_load_2addr_b64 v[124:127], v118 offset0:40 offset1:41
	v_pk_add_f32 v[22:23], v[22:23], v[128:129] neg_lo:[0,1] neg_hi:[0,1]
	s_wait_dscnt 0x0
	v_pk_mul_f32 v[128:129], v[124:125], v[116:117] op_sel:[0,1]
	s_delay_alu instid0(VALU_DEP_1) | instskip(SKIP_1) | instid1(VALU_DEP_1)
	v_pk_fma_f32 v[130:131], v[124:125], v[114:115], v[128:129] op_sel:[0,0,1] op_sel_hi:[1,1,0] neg_lo:[0,0,1] neg_hi:[0,0,1]
	v_pk_fma_f32 v[124:125], v[124:125], v[114:115], v[128:129] op_sel:[0,0,1] op_sel_hi:[1,0,0]
	v_mov_b32_e32 v131, v125
	v_pk_mul_f32 v[124:125], v[126:127], v[116:117] op_sel:[0,1]
	s_delay_alu instid0(VALU_DEP_2) | instskip(NEXT) | instid1(VALU_DEP_2)
	v_pk_add_f32 v[84:85], v[84:85], v[130:131] neg_lo:[0,1] neg_hi:[0,1]
	v_pk_fma_f32 v[128:129], v[126:127], v[114:115], v[124:125] op_sel:[0,0,1] op_sel_hi:[1,1,0] neg_lo:[0,0,1] neg_hi:[0,0,1]
	v_pk_fma_f32 v[124:125], v[126:127], v[114:115], v[124:125] op_sel:[0,0,1] op_sel_hi:[1,0,0]
	s_delay_alu instid0(VALU_DEP_1) | instskip(SKIP_4) | instid1(VALU_DEP_1)
	v_mov_b32_e32 v129, v125
	ds_load_2addr_b64 v[124:127], v118 offset0:42 offset1:43
	v_pk_add_f32 v[18:19], v[18:19], v[128:129] neg_lo:[0,1] neg_hi:[0,1]
	s_wait_dscnt 0x0
	v_pk_mul_f32 v[128:129], v[124:125], v[116:117] op_sel:[0,1]
	v_pk_fma_f32 v[130:131], v[124:125], v[114:115], v[128:129] op_sel:[0,0,1] op_sel_hi:[1,1,0] neg_lo:[0,0,1] neg_hi:[0,0,1]
	v_pk_fma_f32 v[124:125], v[124:125], v[114:115], v[128:129] op_sel:[0,0,1] op_sel_hi:[1,0,0]
	v_dual_mul_f32 v128, v127, v117 :: v_dual_mov_b32 v124, v127
	s_delay_alu instid0(VALU_DEP_2) | instskip(NEXT) | instid1(VALU_DEP_2)
	v_dual_mov_b32 v131, v125 :: v_dual_mov_b32 v125, v126
	v_pk_fma_f32 v[128:129], v[126:127], v[62:63], v[128:129] op_sel_hi:[1,1,0] neg_lo:[0,0,1] neg_hi:[0,0,1]
	v_mul_f32_e32 v126, v127, v114
	s_delay_alu instid0(VALU_DEP_3) | instskip(NEXT) | instid1(VALU_DEP_2)
	v_pk_add_f32 v[20:21], v[20:21], v[130:131] neg_lo:[0,1] neg_hi:[0,1]
	v_pk_fma_f32 v[124:125], v[124:125], v[62:63], v[126:127] op_sel_hi:[1,1,0]
	s_delay_alu instid0(VALU_DEP_1) | instskip(SKIP_4) | instid1(VALU_DEP_1)
	v_mov_b32_e32 v129, v125
	ds_load_2addr_b64 v[124:127], v118 offset0:44 offset1:45
	v_pk_add_f32 v[16:17], v[16:17], v[128:129] neg_lo:[0,1] neg_hi:[0,1]
	s_wait_dscnt 0x0
	v_pk_mul_f32 v[128:129], v[124:125], v[116:117] op_sel:[0,1]
	v_pk_fma_f32 v[130:131], v[124:125], v[114:115], v[128:129] op_sel:[0,0,1] op_sel_hi:[1,1,0] neg_lo:[0,0,1] neg_hi:[0,0,1]
	v_pk_fma_f32 v[124:125], v[124:125], v[114:115], v[128:129] op_sel:[0,0,1] op_sel_hi:[1,0,0]
	s_delay_alu instid0(VALU_DEP_1) | instskip(SKIP_1) | instid1(VALU_DEP_1)
	v_mov_b32_e32 v131, v125
	v_pk_mul_f32 v[124:125], v[126:127], v[116:117] op_sel:[0,1]
	v_pk_fma_f32 v[128:129], v[126:127], v[114:115], v[124:125] op_sel:[0,0,1] op_sel_hi:[1,1,0] neg_lo:[0,0,1] neg_hi:[0,0,1]
	v_pk_fma_f32 v[124:125], v[126:127], v[114:115], v[124:125] op_sel:[0,0,1] op_sel_hi:[1,0,0]
	s_delay_alu instid0(VALU_DEP_1)
	v_mov_b32_e32 v129, v125
	ds_load_2addr_b64 v[124:127], v118 offset0:46 offset1:47
	v_pk_add_f32 v[82:83], v[82:83], v[130:131] neg_lo:[0,1] neg_hi:[0,1]
	v_pk_add_f32 v[10:11], v[10:11], v[128:129] neg_lo:[0,1] neg_hi:[0,1]
	s_wait_dscnt 0x0
	v_pk_mul_f32 v[128:129], v[124:125], v[116:117] op_sel:[0,1]
	s_delay_alu instid0(VALU_DEP_1) | instskip(SKIP_1) | instid1(VALU_DEP_1)
	v_pk_fma_f32 v[130:131], v[124:125], v[114:115], v[128:129] op_sel:[0,0,1] op_sel_hi:[1,1,0] neg_lo:[0,0,1] neg_hi:[0,0,1]
	v_pk_fma_f32 v[124:125], v[124:125], v[114:115], v[128:129] op_sel:[0,0,1] op_sel_hi:[1,0,0]
	v_mov_b32_e32 v131, v125
	v_pk_mul_f32 v[124:125], v[126:127], v[116:117] op_sel:[0,1]
	s_delay_alu instid0(VALU_DEP_1) | instskip(SKIP_1) | instid1(VALU_DEP_1)
	v_pk_fma_f32 v[128:129], v[126:127], v[114:115], v[124:125] op_sel:[0,0,1] op_sel_hi:[1,1,0] neg_lo:[0,0,1] neg_hi:[0,0,1]
	v_pk_fma_f32 v[124:125], v[126:127], v[114:115], v[124:125] op_sel:[0,0,1] op_sel_hi:[1,0,0]
	v_mov_b32_e32 v129, v125
	ds_load_2addr_b64 v[124:127], v118 offset0:48 offset1:49
	v_pk_add_f32 v[12:13], v[12:13], v[130:131] neg_lo:[0,1] neg_hi:[0,1]
	v_pk_add_f32 v[8:9], v[8:9], v[128:129] neg_lo:[0,1] neg_hi:[0,1]
	s_wait_dscnt 0x0
	v_dual_mul_f32 v128, v125, v117 :: v_dual_mul_f32 v130, v125, v114
	s_delay_alu instid0(VALU_DEP_1) | instskip(NEXT) | instid1(VALU_DEP_2)
	v_pk_fma_f32 v[128:129], v[124:125], v[62:63], v[128:129] op_sel_hi:[1,1,0] neg_lo:[0,0,1] neg_hi:[0,0,1]
	v_pk_fma_f32 v[124:125], v[124:125], v[62:63], v[130:131] op_sel:[1,0,0] op_sel_hi:[0,1,0]
	s_delay_alu instid0(VALU_DEP_1) | instskip(SKIP_1) | instid1(VALU_DEP_2)
	v_mov_b32_e32 v129, v125
	v_pk_mul_f32 v[124:125], v[126:127], v[116:117] op_sel:[0,1]
	v_pk_add_f32 v[66:67], v[66:67], v[128:129] neg_lo:[0,1] neg_hi:[0,1]
	s_delay_alu instid0(VALU_DEP_2) | instskip(SKIP_1) | instid1(VALU_DEP_1)
	v_pk_fma_f32 v[128:129], v[126:127], v[114:115], v[124:125] op_sel:[0,0,1] op_sel_hi:[1,1,0] neg_lo:[0,0,1] neg_hi:[0,0,1]
	v_pk_fma_f32 v[124:125], v[126:127], v[114:115], v[124:125] op_sel:[0,0,1] op_sel_hi:[1,0,0]
	v_mov_b32_e32 v129, v125
	ds_load_2addr_b64 v[124:127], v118 offset0:50 offset1:51
	v_pk_add_f32 v[6:7], v[6:7], v[128:129] neg_lo:[0,1] neg_hi:[0,1]
	s_wait_dscnt 0x0
	v_pk_mul_f32 v[128:129], v[124:125], v[116:117] op_sel:[0,1]
	s_delay_alu instid0(VALU_DEP_1) | instskip(SKIP_1) | instid1(VALU_DEP_1)
	v_pk_fma_f32 v[130:131], v[124:125], v[114:115], v[128:129] op_sel:[0,0,1] op_sel_hi:[1,1,0] neg_lo:[0,0,1] neg_hi:[0,0,1]
	v_pk_fma_f32 v[124:125], v[124:125], v[114:115], v[128:129] op_sel:[0,0,1] op_sel_hi:[1,0,0]
	v_mov_b32_e32 v131, v125
	v_pk_mul_f32 v[124:125], v[126:127], v[116:117] op_sel:[0,1]
	s_delay_alu instid0(VALU_DEP_2) | instskip(NEXT) | instid1(VALU_DEP_2)
	v_pk_add_f32 v[46:47], v[46:47], v[130:131] neg_lo:[0,1] neg_hi:[0,1]
	v_pk_fma_f32 v[128:129], v[126:127], v[114:115], v[124:125] op_sel:[0,0,1] op_sel_hi:[1,1,0] neg_lo:[0,0,1] neg_hi:[0,0,1]
	v_pk_fma_f32 v[124:125], v[126:127], v[114:115], v[124:125] op_sel:[0,0,1] op_sel_hi:[1,0,0]
	s_delay_alu instid0(VALU_DEP_1)
	v_mov_b32_e32 v129, v125
	ds_load_2addr_b64 v[124:127], v118 offset0:52 offset1:53
	v_pk_add_f32 v[28:29], v[28:29], v[128:129] neg_lo:[0,1] neg_hi:[0,1]
	s_wait_dscnt 0x0
	v_pk_mul_f32 v[128:129], v[124:125], v[116:117] op_sel:[0,1]
	v_pk_mul_f32 v[116:117], v[126:127], v[116:117] op_sel:[0,1]
	s_delay_alu instid0(VALU_DEP_2) | instskip(SKIP_1) | instid1(VALU_DEP_1)
	v_pk_fma_f32 v[130:131], v[124:125], v[114:115], v[128:129] op_sel:[0,0,1] op_sel_hi:[1,1,0] neg_lo:[0,0,1] neg_hi:[0,0,1]
	v_pk_fma_f32 v[124:125], v[124:125], v[114:115], v[128:129] op_sel:[0,0,1] op_sel_hi:[1,0,0]
	v_mov_b32_e32 v131, v125
	s_delay_alu instid0(VALU_DEP_4) | instskip(SKIP_1) | instid1(VALU_DEP_3)
	v_pk_fma_f32 v[124:125], v[126:127], v[114:115], v[116:117] op_sel:[0,0,1] op_sel_hi:[1,1,0] neg_lo:[0,0,1] neg_hi:[0,0,1]
	v_pk_fma_f32 v[114:115], v[126:127], v[114:115], v[116:117] op_sel:[0,0,1] op_sel_hi:[1,0,0]
	v_pk_add_f32 v[14:15], v[14:15], v[130:131] neg_lo:[0,1] neg_hi:[0,1]
	s_delay_alu instid0(VALU_DEP_2) | instskip(NEXT) | instid1(VALU_DEP_1)
	v_mov_b32_e32 v125, v115
	v_pk_add_f32 v[112:113], v[112:113], v[124:125] neg_lo:[0,1] neg_hi:[0,1]
.LBB106_419:
	s_or_b32 exec_lo, exec_lo, s0
	v_lshl_add_u32 v114, v122, 3, v118
	s_barrier_signal -1
	s_barrier_wait -1
	ds_store_b64 v114, v[96:97]
	s_wait_dscnt 0x0
	s_barrier_signal -1
	s_barrier_wait -1
	ds_load_b64 v[116:117], v118 offset:160
	v_mov_b32_e32 v114, 20
	s_cmp_lt_i32 s18, 22
	s_cbranch_scc1 .LBB106_422
; %bb.420:
	v_add3_u32 v115, v119, 0, 0xa8
	v_mov_b32_e32 v114, 20
	s_mov_b32 s0, 21
.LBB106_421:                            ; =>This Inner Loop Header: Depth=1
	ds_load_b64 v[124:125], v115
	s_wait_dscnt 0x1
	v_cmp_gt_f32_e32 vcc_lo, 0, v116
	v_cndmask_b32_e64 v126, v116, -v116, vcc_lo
	v_cmp_gt_f32_e32 vcc_lo, 0, v117
	v_cndmask_b32_e64 v128, v117, -v117, vcc_lo
	s_wait_dscnt 0x0
	v_cmp_gt_f32_e32 vcc_lo, 0, v124
	v_cndmask_b32_e64 v127, v124, -v124, vcc_lo
	v_cmp_gt_f32_e32 vcc_lo, 0, v125
	v_cndmask_b32_e64 v129, v125, -v125, vcc_lo
	s_delay_alu instid0(VALU_DEP_1) | instskip(NEXT) | instid1(VALU_DEP_1)
	v_pk_add_f32 v[126:127], v[126:127], v[128:129]
	v_cmp_lt_f32_e32 vcc_lo, v126, v127
	v_dual_add_nc_u32 v115, 8, v115 :: v_dual_cndmask_b32 v117, v117, v125, vcc_lo
	v_cndmask_b32_e32 v116, v116, v124, vcc_lo
	v_cndmask_b32_e64 v114, v114, s0, vcc_lo
	s_add_co_i32 s0, s0, 1
	s_delay_alu instid0(SALU_CYCLE_1)
	s_cmp_lg_u32 s18, s0
	s_cbranch_scc1 .LBB106_421
.LBB106_422:
	s_wait_dscnt 0x0
	v_cmp_eq_f32_e32 vcc_lo, 0, v116
	v_cmp_eq_f32_e64 s0, 0, v117
	s_and_b32 s0, vcc_lo, s0
	s_delay_alu instid0(SALU_CYCLE_1) | instskip(NEXT) | instid1(SALU_CYCLE_1)
	s_and_saveexec_b32 s1, s0
	s_xor_b32 s0, exec_lo, s1
; %bb.423:
	v_cmp_ne_u32_e32 vcc_lo, 0, v120
	v_cndmask_b32_e32 v120, 21, v120, vcc_lo
; %bb.424:
	s_and_not1_saveexec_b32 s0, s0
	s_cbranch_execz .LBB106_430
; %bb.425:
	v_cmp_ngt_f32_e64 s1, |v116|, |v117|
	s_and_saveexec_b32 s12, s1
	s_delay_alu instid0(SALU_CYCLE_1)
	s_xor_b32 s1, exec_lo, s12
	s_cbranch_execz .LBB106_427
; %bb.426:
	v_div_scale_f32 v115, null, v117, v117, v116
	v_div_scale_f32 v125, vcc_lo, v116, v117, v116
	s_delay_alu instid0(VALU_DEP_2) | instskip(SKIP_1) | instid1(TRANS32_DEP_1)
	v_rcp_f32_e32 v123, v115
	v_nop
	v_fma_f32 v124, -v115, v123, 1.0
	s_delay_alu instid0(VALU_DEP_1) | instskip(NEXT) | instid1(VALU_DEP_1)
	v_fmac_f32_e32 v123, v124, v123
	v_mul_f32_e32 v124, v125, v123
	s_delay_alu instid0(VALU_DEP_1) | instskip(NEXT) | instid1(VALU_DEP_1)
	v_fma_f32 v126, -v115, v124, v125
	v_fmac_f32_e32 v124, v126, v123
	s_delay_alu instid0(VALU_DEP_1) | instskip(NEXT) | instid1(VALU_DEP_1)
	v_fma_f32 v115, -v115, v124, v125
	v_div_fmas_f32 v115, v115, v123, v124
	s_delay_alu instid0(VALU_DEP_1) | instskip(NEXT) | instid1(VALU_DEP_1)
	v_div_fixup_f32 v115, v115, v117, v116
	v_fmac_f32_e32 v117, v116, v115
	s_delay_alu instid0(VALU_DEP_1) | instskip(SKIP_1) | instid1(VALU_DEP_2)
	v_div_scale_f32 v116, null, v117, v117, 1.0
	v_div_scale_f32 v125, vcc_lo, 1.0, v117, 1.0
	v_rcp_f32_e32 v123, v116
	v_nop
	s_delay_alu instid0(TRANS32_DEP_1) | instskip(NEXT) | instid1(VALU_DEP_1)
	v_fma_f32 v124, -v116, v123, 1.0
	v_fmac_f32_e32 v123, v124, v123
	s_delay_alu instid0(VALU_DEP_1) | instskip(NEXT) | instid1(VALU_DEP_1)
	v_mul_f32_e32 v124, v125, v123
	v_fma_f32 v126, -v116, v124, v125
	s_delay_alu instid0(VALU_DEP_1) | instskip(NEXT) | instid1(VALU_DEP_1)
	v_fmac_f32_e32 v124, v126, v123
	v_fma_f32 v116, -v116, v124, v125
	s_delay_alu instid0(VALU_DEP_1) | instskip(NEXT) | instid1(VALU_DEP_1)
	v_div_fmas_f32 v116, v116, v123, v124
	v_div_fixup_f32 v117, v116, v117, 1.0
	s_delay_alu instid0(VALU_DEP_1)
	v_mul_f32_e32 v116, v115, v117
	v_xor_b32_e32 v117, 0x80000000, v117
.LBB106_427:
	s_and_not1_saveexec_b32 s1, s1
	s_cbranch_execz .LBB106_429
; %bb.428:
	s_delay_alu instid0(VALU_DEP_1) | instskip(SKIP_1) | instid1(VALU_DEP_2)
	v_div_scale_f32 v115, null, v116, v116, v117
	v_div_scale_f32 v125, vcc_lo, v117, v116, v117
	v_rcp_f32_e32 v123, v115
	v_nop
	s_delay_alu instid0(TRANS32_DEP_1) | instskip(NEXT) | instid1(VALU_DEP_1)
	v_fma_f32 v124, -v115, v123, 1.0
	v_fmac_f32_e32 v123, v124, v123
	s_delay_alu instid0(VALU_DEP_1) | instskip(NEXT) | instid1(VALU_DEP_1)
	v_mul_f32_e32 v124, v125, v123
	v_fma_f32 v126, -v115, v124, v125
	s_delay_alu instid0(VALU_DEP_1) | instskip(NEXT) | instid1(VALU_DEP_1)
	v_fmac_f32_e32 v124, v126, v123
	v_fma_f32 v115, -v115, v124, v125
	s_delay_alu instid0(VALU_DEP_1) | instskip(NEXT) | instid1(VALU_DEP_1)
	v_div_fmas_f32 v115, v115, v123, v124
	v_div_fixup_f32 v115, v115, v116, v117
	s_delay_alu instid0(VALU_DEP_1) | instskip(NEXT) | instid1(VALU_DEP_1)
	v_fmac_f32_e32 v116, v117, v115
	v_div_scale_f32 v117, null, v116, v116, 1.0
	s_delay_alu instid0(VALU_DEP_1) | instskip(SKIP_1) | instid1(TRANS32_DEP_1)
	v_rcp_f32_e32 v123, v117
	v_nop
	v_fma_f32 v124, -v117, v123, 1.0
	s_delay_alu instid0(VALU_DEP_1) | instskip(SKIP_1) | instid1(VALU_DEP_1)
	v_fmac_f32_e32 v123, v124, v123
	v_div_scale_f32 v124, vcc_lo, 1.0, v116, 1.0
	v_mul_f32_e32 v125, v124, v123
	s_delay_alu instid0(VALU_DEP_1) | instskip(NEXT) | instid1(VALU_DEP_1)
	v_fma_f32 v126, -v117, v125, v124
	v_fmac_f32_e32 v125, v126, v123
	s_delay_alu instid0(VALU_DEP_1) | instskip(NEXT) | instid1(VALU_DEP_1)
	v_fma_f32 v117, -v117, v125, v124
	v_div_fmas_f32 v117, v117, v123, v125
	s_delay_alu instid0(VALU_DEP_1) | instskip(NEXT) | instid1(VALU_DEP_1)
	v_div_fixup_f32 v116, v117, v116, 1.0
	v_mul_f32_e64 v117, v115, -v116
.LBB106_429:
	s_or_b32 exec_lo, exec_lo, s1
.LBB106_430:
	s_delay_alu instid0(SALU_CYCLE_1) | instskip(NEXT) | instid1(SALU_CYCLE_1)
	s_or_b32 exec_lo, exec_lo, s0
	s_mov_b32 s0, exec_lo
	v_cmpx_ne_u32_e64 v122, v114
	s_xor_b32 s0, exec_lo, s0
	s_cbranch_execz .LBB106_436
; %bb.431:
	s_mov_b32 s1, exec_lo
	v_cmpx_eq_u32_e32 20, v122
	s_cbranch_execz .LBB106_435
; %bb.432:
	v_cmp_ne_u32_e32 vcc_lo, 20, v114
	s_xor_b32 s12, s16, -1
	s_delay_alu instid0(SALU_CYCLE_1) | instskip(NEXT) | instid1(SALU_CYCLE_1)
	s_and_b32 s13, s12, vcc_lo
	s_and_saveexec_b32 s12, s13
	s_cbranch_execz .LBB106_434
; %bb.433:
	v_ashrrev_i32_e32 v115, 31, v114
	s_delay_alu instid0(VALU_DEP_1)
	v_lshl_add_u64 v[122:123], v[114:115], 2, v[4:5]
	s_clause 0x1
	global_load_b32 v115, v[122:123], off
	global_load_b32 v121, v[4:5], off offset:80
	s_wait_loadcnt 0x1
	global_store_b32 v[4:5], v115, off offset:80
	s_wait_loadcnt 0x0
	global_store_b32 v[122:123], v121, off
.LBB106_434:
	s_wait_xcnt 0x0
	s_or_b32 exec_lo, exec_lo, s12
	v_dual_mov_b32 v122, v114 :: v_dual_mov_b32 v121, v114
.LBB106_435:
	s_or_b32 exec_lo, exec_lo, s1
.LBB106_436:
	s_and_not1_saveexec_b32 s0, s0
	s_cbranch_execz .LBB106_438
; %bb.437:
	v_mov_b32_e32 v122, 20
	ds_store_2addr_b64 v118, v[58:59], v[60:61] offset0:21 offset1:22
	ds_store_2addr_b64 v118, v[56:57], v[94:95] offset0:23 offset1:24
	;; [unrolled: 1-line block ×16, first 2 shown]
	ds_store_b64 v118, v[112:113] offset:424
.LBB106_438:
	s_or_b32 exec_lo, exec_lo, s0
	s_delay_alu instid0(SALU_CYCLE_1)
	s_mov_b32 s0, exec_lo
	s_wait_storecnt_dscnt 0x0
	s_barrier_signal -1
	s_barrier_wait -1
	v_cmpx_lt_i32_e32 20, v122
	s_cbranch_execz .LBB106_440
; %bb.439:
	v_pk_mul_f32 v[124:125], v[116:117], v[96:97] op_sel:[1,1] op_sel_hi:[0,1]
	s_delay_alu instid0(VALU_DEP_1)
	v_pk_fma_f32 v[114:115], v[116:117], v[96:97], v[124:125] op_sel_hi:[1,0,1] neg_lo:[0,0,1] neg_hi:[0,0,1]
	v_pk_fma_f32 v[116:117], v[116:117], v[96:97], v[124:125] op_sel_hi:[1,0,1]
	ds_load_2addr_b64 v[124:127], v118 offset0:21 offset1:22
	v_dual_mov_b32 v96, v114 :: v_dual_mov_b32 v97, v117
	s_wait_dscnt 0x0
	v_pk_mul_f32 v[128:129], v[124:125], v[116:117] op_sel:[0,1]
	s_delay_alu instid0(VALU_DEP_1) | instskip(SKIP_1) | instid1(VALU_DEP_1)
	v_pk_fma_f32 v[130:131], v[124:125], v[114:115], v[128:129] op_sel:[0,0,1] op_sel_hi:[1,1,0] neg_lo:[0,0,1] neg_hi:[0,0,1]
	v_pk_fma_f32 v[124:125], v[124:125], v[114:115], v[128:129] op_sel:[0,0,1] op_sel_hi:[1,0,0]
	v_mov_b32_e32 v131, v125
	v_pk_mul_f32 v[124:125], v[126:127], v[116:117] op_sel:[0,1]
	s_delay_alu instid0(VALU_DEP_1) | instskip(SKIP_1) | instid1(VALU_DEP_1)
	v_pk_fma_f32 v[128:129], v[126:127], v[114:115], v[124:125] op_sel:[0,0,1] op_sel_hi:[1,1,0] neg_lo:[0,0,1] neg_hi:[0,0,1]
	v_pk_fma_f32 v[124:125], v[126:127], v[114:115], v[124:125] op_sel:[0,0,1] op_sel_hi:[1,0,0]
	v_mov_b32_e32 v129, v125
	ds_load_2addr_b64 v[124:127], v118 offset0:23 offset1:24
	v_pk_add_f32 v[58:59], v[58:59], v[130:131] neg_lo:[0,1] neg_hi:[0,1]
	v_pk_add_f32 v[60:61], v[60:61], v[128:129] neg_lo:[0,1] neg_hi:[0,1]
	s_wait_dscnt 0x0
	v_pk_mul_f32 v[128:129], v[124:125], v[116:117] op_sel:[0,1]
	s_delay_alu instid0(VALU_DEP_1) | instskip(SKIP_2) | instid1(VALU_DEP_2)
	v_pk_fma_f32 v[130:131], v[124:125], v[114:115], v[128:129] op_sel:[0,0,1] op_sel_hi:[1,1,0] neg_lo:[0,0,1] neg_hi:[0,0,1]
	v_pk_fma_f32 v[124:125], v[124:125], v[114:115], v[128:129] op_sel:[0,0,1] op_sel_hi:[1,0,0]
	v_dual_mul_f32 v128, v127, v117 :: v_dual_mov_b32 v124, v127
	v_dual_mov_b32 v131, v125 :: v_dual_mov_b32 v125, v126
	s_delay_alu instid0(VALU_DEP_2) | instskip(SKIP_1) | instid1(VALU_DEP_3)
	v_pk_fma_f32 v[128:129], v[126:127], v[96:97], v[128:129] op_sel_hi:[1,1,0] neg_lo:[0,0,1] neg_hi:[0,0,1]
	v_mul_f32_e32 v126, v127, v114
	v_pk_add_f32 v[56:57], v[56:57], v[130:131] neg_lo:[0,1] neg_hi:[0,1]
	s_delay_alu instid0(VALU_DEP_2) | instskip(NEXT) | instid1(VALU_DEP_1)
	v_pk_fma_f32 v[124:125], v[124:125], v[96:97], v[126:127] op_sel_hi:[1,1,0]
	v_mov_b32_e32 v129, v125
	ds_load_2addr_b64 v[124:127], v118 offset0:25 offset1:26
	v_pk_add_f32 v[94:95], v[94:95], v[128:129] neg_lo:[0,1] neg_hi:[0,1]
	s_wait_dscnt 0x0
	v_pk_mul_f32 v[128:129], v[124:125], v[116:117] op_sel:[0,1]
	s_delay_alu instid0(VALU_DEP_1) | instskip(SKIP_1) | instid1(VALU_DEP_1)
	v_pk_fma_f32 v[130:131], v[124:125], v[114:115], v[128:129] op_sel:[0,0,1] op_sel_hi:[1,1,0] neg_lo:[0,0,1] neg_hi:[0,0,1]
	v_pk_fma_f32 v[124:125], v[124:125], v[114:115], v[128:129] op_sel:[0,0,1] op_sel_hi:[1,0,0]
	v_mov_b32_e32 v131, v125
	v_pk_mul_f32 v[124:125], v[126:127], v[116:117] op_sel:[0,1]
	s_delay_alu instid0(VALU_DEP_1) | instskip(SKIP_1) | instid1(VALU_DEP_1)
	v_pk_fma_f32 v[128:129], v[126:127], v[114:115], v[124:125] op_sel:[0,0,1] op_sel_hi:[1,1,0] neg_lo:[0,0,1] neg_hi:[0,0,1]
	v_pk_fma_f32 v[124:125], v[126:127], v[114:115], v[124:125] op_sel:[0,0,1] op_sel_hi:[1,0,0]
	v_mov_b32_e32 v129, v125
	ds_load_2addr_b64 v[124:127], v118 offset0:27 offset1:28
	v_pk_add_f32 v[52:53], v[52:53], v[130:131] neg_lo:[0,1] neg_hi:[0,1]
	v_pk_add_f32 v[54:55], v[54:55], v[128:129] neg_lo:[0,1] neg_hi:[0,1]
	s_wait_dscnt 0x0
	v_pk_mul_f32 v[128:129], v[124:125], v[116:117] op_sel:[0,1]
	s_delay_alu instid0(VALU_DEP_1) | instskip(SKIP_1) | instid1(VALU_DEP_1)
	v_pk_fma_f32 v[130:131], v[124:125], v[114:115], v[128:129] op_sel:[0,0,1] op_sel_hi:[1,1,0] neg_lo:[0,0,1] neg_hi:[0,0,1]
	v_pk_fma_f32 v[124:125], v[124:125], v[114:115], v[128:129] op_sel:[0,0,1] op_sel_hi:[1,0,0]
	v_mov_b32_e32 v131, v125
	v_pk_mul_f32 v[124:125], v[126:127], v[116:117] op_sel:[0,1]
	s_delay_alu instid0(VALU_DEP_1) | instskip(SKIP_1) | instid1(VALU_DEP_1)
	v_pk_fma_f32 v[128:129], v[126:127], v[114:115], v[124:125] op_sel:[0,0,1] op_sel_hi:[1,1,0] neg_lo:[0,0,1] neg_hi:[0,0,1]
	v_pk_fma_f32 v[124:125], v[126:127], v[114:115], v[124:125] op_sel:[0,0,1] op_sel_hi:[1,0,0]
	v_mov_b32_e32 v129, v125
	ds_load_2addr_b64 v[124:127], v118 offset0:29 offset1:30
	v_pk_add_f32 v[50:51], v[50:51], v[130:131] neg_lo:[0,1] neg_hi:[0,1]
	v_pk_add_f32 v[90:91], v[90:91], v[128:129] neg_lo:[0,1] neg_hi:[0,1]
	s_wait_dscnt 0x0
	v_dual_mul_f32 v128, v125, v117 :: v_dual_mul_f32 v130, v125, v114
	s_delay_alu instid0(VALU_DEP_1) | instskip(NEXT) | instid1(VALU_DEP_2)
	v_pk_fma_f32 v[128:129], v[124:125], v[96:97], v[128:129] op_sel_hi:[1,1,0] neg_lo:[0,0,1] neg_hi:[0,0,1]
	v_pk_fma_f32 v[124:125], v[124:125], v[96:97], v[130:131] op_sel:[1,0,0] op_sel_hi:[0,1,0]
	s_delay_alu instid0(VALU_DEP_1) | instskip(SKIP_1) | instid1(VALU_DEP_2)
	v_mov_b32_e32 v129, v125
	v_pk_mul_f32 v[124:125], v[126:127], v[116:117] op_sel:[0,1]
	v_pk_add_f32 v[38:39], v[38:39], v[128:129] neg_lo:[0,1] neg_hi:[0,1]
	s_delay_alu instid0(VALU_DEP_2) | instskip(SKIP_1) | instid1(VALU_DEP_1)
	v_pk_fma_f32 v[128:129], v[126:127], v[114:115], v[124:125] op_sel:[0,0,1] op_sel_hi:[1,1,0] neg_lo:[0,0,1] neg_hi:[0,0,1]
	v_pk_fma_f32 v[124:125], v[126:127], v[114:115], v[124:125] op_sel:[0,0,1] op_sel_hi:[1,0,0]
	v_mov_b32_e32 v129, v125
	ds_load_2addr_b64 v[124:127], v118 offset0:31 offset1:32
	v_pk_add_f32 v[40:41], v[40:41], v[128:129] neg_lo:[0,1] neg_hi:[0,1]
	s_wait_dscnt 0x0
	v_pk_mul_f32 v[128:129], v[124:125], v[116:117] op_sel:[0,1]
	s_delay_alu instid0(VALU_DEP_1) | instskip(SKIP_1) | instid1(VALU_DEP_1)
	v_pk_fma_f32 v[130:131], v[124:125], v[114:115], v[128:129] op_sel:[0,0,1] op_sel_hi:[1,1,0] neg_lo:[0,0,1] neg_hi:[0,0,1]
	v_pk_fma_f32 v[124:125], v[124:125], v[114:115], v[128:129] op_sel:[0,0,1] op_sel_hi:[1,0,0]
	v_mov_b32_e32 v131, v125
	v_pk_mul_f32 v[124:125], v[126:127], v[116:117] op_sel:[0,1]
	s_delay_alu instid0(VALU_DEP_2) | instskip(NEXT) | instid1(VALU_DEP_2)
	v_pk_add_f32 v[36:37], v[36:37], v[130:131] neg_lo:[0,1] neg_hi:[0,1]
	v_pk_fma_f32 v[128:129], v[126:127], v[114:115], v[124:125] op_sel:[0,0,1] op_sel_hi:[1,1,0] neg_lo:[0,0,1] neg_hi:[0,0,1]
	v_pk_fma_f32 v[124:125], v[126:127], v[114:115], v[124:125] op_sel:[0,0,1] op_sel_hi:[1,0,0]
	s_delay_alu instid0(VALU_DEP_1) | instskip(SKIP_4) | instid1(VALU_DEP_1)
	v_mov_b32_e32 v129, v125
	ds_load_2addr_b64 v[124:127], v118 offset0:33 offset1:34
	v_pk_add_f32 v[88:89], v[88:89], v[128:129] neg_lo:[0,1] neg_hi:[0,1]
	s_wait_dscnt 0x0
	v_pk_mul_f32 v[128:129], v[124:125], v[116:117] op_sel:[0,1]
	v_pk_fma_f32 v[130:131], v[124:125], v[114:115], v[128:129] op_sel:[0,0,1] op_sel_hi:[1,1,0] neg_lo:[0,0,1] neg_hi:[0,0,1]
	v_pk_fma_f32 v[124:125], v[124:125], v[114:115], v[128:129] op_sel:[0,0,1] op_sel_hi:[1,0,0]
	v_dual_mul_f32 v128, v127, v117 :: v_dual_mov_b32 v124, v127
	s_delay_alu instid0(VALU_DEP_2) | instskip(NEXT) | instid1(VALU_DEP_2)
	v_dual_mov_b32 v131, v125 :: v_dual_mov_b32 v125, v126
	v_pk_fma_f32 v[128:129], v[126:127], v[96:97], v[128:129] op_sel_hi:[1,1,0] neg_lo:[0,0,1] neg_hi:[0,0,1]
	v_mul_f32_e32 v126, v127, v114
	s_delay_alu instid0(VALU_DEP_3) | instskip(NEXT) | instid1(VALU_DEP_2)
	v_pk_add_f32 v[32:33], v[32:33], v[130:131] neg_lo:[0,1] neg_hi:[0,1]
	v_pk_fma_f32 v[124:125], v[124:125], v[96:97], v[126:127] op_sel_hi:[1,1,0]
	s_delay_alu instid0(VALU_DEP_1) | instskip(SKIP_4) | instid1(VALU_DEP_1)
	v_mov_b32_e32 v129, v125
	ds_load_2addr_b64 v[124:127], v118 offset0:35 offset1:36
	v_pk_add_f32 v[34:35], v[34:35], v[128:129] neg_lo:[0,1] neg_hi:[0,1]
	s_wait_dscnt 0x0
	v_pk_mul_f32 v[128:129], v[124:125], v[116:117] op_sel:[0,1]
	v_pk_fma_f32 v[130:131], v[124:125], v[114:115], v[128:129] op_sel:[0,0,1] op_sel_hi:[1,1,0] neg_lo:[0,0,1] neg_hi:[0,0,1]
	v_pk_fma_f32 v[124:125], v[124:125], v[114:115], v[128:129] op_sel:[0,0,1] op_sel_hi:[1,0,0]
	s_delay_alu instid0(VALU_DEP_1) | instskip(SKIP_1) | instid1(VALU_DEP_1)
	v_mov_b32_e32 v131, v125
	v_pk_mul_f32 v[124:125], v[126:127], v[116:117] op_sel:[0,1]
	v_pk_fma_f32 v[128:129], v[126:127], v[114:115], v[124:125] op_sel:[0,0,1] op_sel_hi:[1,1,0] neg_lo:[0,0,1] neg_hi:[0,0,1]
	v_pk_fma_f32 v[124:125], v[126:127], v[114:115], v[124:125] op_sel:[0,0,1] op_sel_hi:[1,0,0]
	s_delay_alu instid0(VALU_DEP_1)
	v_mov_b32_e32 v129, v125
	ds_load_2addr_b64 v[124:127], v118 offset0:37 offset1:38
	v_pk_add_f32 v[30:31], v[30:31], v[130:131] neg_lo:[0,1] neg_hi:[0,1]
	v_pk_add_f32 v[86:87], v[86:87], v[128:129] neg_lo:[0,1] neg_hi:[0,1]
	s_wait_dscnt 0x0
	v_pk_mul_f32 v[128:129], v[124:125], v[116:117] op_sel:[0,1]
	s_delay_alu instid0(VALU_DEP_1) | instskip(SKIP_1) | instid1(VALU_DEP_1)
	v_pk_fma_f32 v[130:131], v[124:125], v[114:115], v[128:129] op_sel:[0,0,1] op_sel_hi:[1,1,0] neg_lo:[0,0,1] neg_hi:[0,0,1]
	v_pk_fma_f32 v[124:125], v[124:125], v[114:115], v[128:129] op_sel:[0,0,1] op_sel_hi:[1,0,0]
	v_mov_b32_e32 v131, v125
	v_pk_mul_f32 v[124:125], v[126:127], v[116:117] op_sel:[0,1]
	s_delay_alu instid0(VALU_DEP_1) | instskip(SKIP_1) | instid1(VALU_DEP_1)
	v_pk_fma_f32 v[128:129], v[126:127], v[114:115], v[124:125] op_sel:[0,0,1] op_sel_hi:[1,1,0] neg_lo:[0,0,1] neg_hi:[0,0,1]
	v_pk_fma_f32 v[124:125], v[126:127], v[114:115], v[124:125] op_sel:[0,0,1] op_sel_hi:[1,0,0]
	v_mov_b32_e32 v129, v125
	ds_load_2addr_b64 v[124:127], v118 offset0:39 offset1:40
	v_pk_add_f32 v[24:25], v[24:25], v[130:131] neg_lo:[0,1] neg_hi:[0,1]
	v_pk_add_f32 v[26:27], v[26:27], v[128:129] neg_lo:[0,1] neg_hi:[0,1]
	s_wait_dscnt 0x0
	v_dual_mul_f32 v128, v125, v117 :: v_dual_mul_f32 v130, v125, v114
	s_delay_alu instid0(VALU_DEP_1) | instskip(NEXT) | instid1(VALU_DEP_2)
	v_pk_fma_f32 v[128:129], v[124:125], v[96:97], v[128:129] op_sel_hi:[1,1,0] neg_lo:[0,0,1] neg_hi:[0,0,1]
	v_pk_fma_f32 v[124:125], v[124:125], v[96:97], v[130:131] op_sel:[1,0,0] op_sel_hi:[0,1,0]
	s_delay_alu instid0(VALU_DEP_1) | instskip(SKIP_1) | instid1(VALU_DEP_2)
	v_mov_b32_e32 v129, v125
	v_pk_mul_f32 v[124:125], v[126:127], v[116:117] op_sel:[0,1]
	v_pk_add_f32 v[22:23], v[22:23], v[128:129] neg_lo:[0,1] neg_hi:[0,1]
	s_delay_alu instid0(VALU_DEP_2) | instskip(SKIP_1) | instid1(VALU_DEP_1)
	v_pk_fma_f32 v[128:129], v[126:127], v[114:115], v[124:125] op_sel:[0,0,1] op_sel_hi:[1,1,0] neg_lo:[0,0,1] neg_hi:[0,0,1]
	v_pk_fma_f32 v[124:125], v[126:127], v[114:115], v[124:125] op_sel:[0,0,1] op_sel_hi:[1,0,0]
	v_mov_b32_e32 v129, v125
	ds_load_2addr_b64 v[124:127], v118 offset0:41 offset1:42
	v_pk_add_f32 v[84:85], v[84:85], v[128:129] neg_lo:[0,1] neg_hi:[0,1]
	s_wait_dscnt 0x0
	v_pk_mul_f32 v[128:129], v[124:125], v[116:117] op_sel:[0,1]
	s_delay_alu instid0(VALU_DEP_1) | instskip(SKIP_1) | instid1(VALU_DEP_1)
	v_pk_fma_f32 v[130:131], v[124:125], v[114:115], v[128:129] op_sel:[0,0,1] op_sel_hi:[1,1,0] neg_lo:[0,0,1] neg_hi:[0,0,1]
	v_pk_fma_f32 v[124:125], v[124:125], v[114:115], v[128:129] op_sel:[0,0,1] op_sel_hi:[1,0,0]
	v_mov_b32_e32 v131, v125
	v_pk_mul_f32 v[124:125], v[126:127], v[116:117] op_sel:[0,1]
	s_delay_alu instid0(VALU_DEP_2) | instskip(NEXT) | instid1(VALU_DEP_2)
	v_pk_add_f32 v[18:19], v[18:19], v[130:131] neg_lo:[0,1] neg_hi:[0,1]
	v_pk_fma_f32 v[128:129], v[126:127], v[114:115], v[124:125] op_sel:[0,0,1] op_sel_hi:[1,1,0] neg_lo:[0,0,1] neg_hi:[0,0,1]
	v_pk_fma_f32 v[124:125], v[126:127], v[114:115], v[124:125] op_sel:[0,0,1] op_sel_hi:[1,0,0]
	s_delay_alu instid0(VALU_DEP_1) | instskip(SKIP_4) | instid1(VALU_DEP_1)
	v_mov_b32_e32 v129, v125
	ds_load_2addr_b64 v[124:127], v118 offset0:43 offset1:44
	v_pk_add_f32 v[20:21], v[20:21], v[128:129] neg_lo:[0,1] neg_hi:[0,1]
	s_wait_dscnt 0x0
	v_pk_mul_f32 v[128:129], v[124:125], v[116:117] op_sel:[0,1]
	v_pk_fma_f32 v[130:131], v[124:125], v[114:115], v[128:129] op_sel:[0,0,1] op_sel_hi:[1,1,0] neg_lo:[0,0,1] neg_hi:[0,0,1]
	v_pk_fma_f32 v[124:125], v[124:125], v[114:115], v[128:129] op_sel:[0,0,1] op_sel_hi:[1,0,0]
	v_dual_mul_f32 v128, v127, v117 :: v_dual_mov_b32 v124, v127
	s_delay_alu instid0(VALU_DEP_2) | instskip(NEXT) | instid1(VALU_DEP_2)
	v_dual_mov_b32 v131, v125 :: v_dual_mov_b32 v125, v126
	v_pk_fma_f32 v[128:129], v[126:127], v[96:97], v[128:129] op_sel_hi:[1,1,0] neg_lo:[0,0,1] neg_hi:[0,0,1]
	v_mul_f32_e32 v126, v127, v114
	s_delay_alu instid0(VALU_DEP_3) | instskip(NEXT) | instid1(VALU_DEP_2)
	v_pk_add_f32 v[16:17], v[16:17], v[130:131] neg_lo:[0,1] neg_hi:[0,1]
	v_pk_fma_f32 v[124:125], v[124:125], v[96:97], v[126:127] op_sel_hi:[1,1,0]
	s_delay_alu instid0(VALU_DEP_1) | instskip(SKIP_4) | instid1(VALU_DEP_1)
	v_mov_b32_e32 v129, v125
	ds_load_2addr_b64 v[124:127], v118 offset0:45 offset1:46
	v_pk_add_f32 v[82:83], v[82:83], v[128:129] neg_lo:[0,1] neg_hi:[0,1]
	s_wait_dscnt 0x0
	v_pk_mul_f32 v[128:129], v[124:125], v[116:117] op_sel:[0,1]
	v_pk_fma_f32 v[130:131], v[124:125], v[114:115], v[128:129] op_sel:[0,0,1] op_sel_hi:[1,1,0] neg_lo:[0,0,1] neg_hi:[0,0,1]
	v_pk_fma_f32 v[124:125], v[124:125], v[114:115], v[128:129] op_sel:[0,0,1] op_sel_hi:[1,0,0]
	s_delay_alu instid0(VALU_DEP_1) | instskip(SKIP_1) | instid1(VALU_DEP_1)
	v_mov_b32_e32 v131, v125
	v_pk_mul_f32 v[124:125], v[126:127], v[116:117] op_sel:[0,1]
	v_pk_fma_f32 v[128:129], v[126:127], v[114:115], v[124:125] op_sel:[0,0,1] op_sel_hi:[1,1,0] neg_lo:[0,0,1] neg_hi:[0,0,1]
	v_pk_fma_f32 v[124:125], v[126:127], v[114:115], v[124:125] op_sel:[0,0,1] op_sel_hi:[1,0,0]
	s_delay_alu instid0(VALU_DEP_1)
	v_mov_b32_e32 v129, v125
	ds_load_2addr_b64 v[124:127], v118 offset0:47 offset1:48
	v_pk_add_f32 v[10:11], v[10:11], v[130:131] neg_lo:[0,1] neg_hi:[0,1]
	v_pk_add_f32 v[12:13], v[12:13], v[128:129] neg_lo:[0,1] neg_hi:[0,1]
	s_wait_dscnt 0x0
	v_pk_mul_f32 v[128:129], v[124:125], v[116:117] op_sel:[0,1]
	s_delay_alu instid0(VALU_DEP_1) | instskip(SKIP_1) | instid1(VALU_DEP_1)
	v_pk_fma_f32 v[130:131], v[124:125], v[114:115], v[128:129] op_sel:[0,0,1] op_sel_hi:[1,1,0] neg_lo:[0,0,1] neg_hi:[0,0,1]
	v_pk_fma_f32 v[124:125], v[124:125], v[114:115], v[128:129] op_sel:[0,0,1] op_sel_hi:[1,0,0]
	v_mov_b32_e32 v131, v125
	v_pk_mul_f32 v[124:125], v[126:127], v[116:117] op_sel:[0,1]
	s_delay_alu instid0(VALU_DEP_1) | instskip(SKIP_1) | instid1(VALU_DEP_1)
	v_pk_fma_f32 v[128:129], v[126:127], v[114:115], v[124:125] op_sel:[0,0,1] op_sel_hi:[1,1,0] neg_lo:[0,0,1] neg_hi:[0,0,1]
	v_pk_fma_f32 v[124:125], v[126:127], v[114:115], v[124:125] op_sel:[0,0,1] op_sel_hi:[1,0,0]
	v_mov_b32_e32 v129, v125
	ds_load_2addr_b64 v[124:127], v118 offset0:49 offset1:50
	v_pk_add_f32 v[8:9], v[8:9], v[130:131] neg_lo:[0,1] neg_hi:[0,1]
	v_pk_add_f32 v[66:67], v[66:67], v[128:129] neg_lo:[0,1] neg_hi:[0,1]
	s_wait_dscnt 0x0
	v_dual_mul_f32 v128, v125, v117 :: v_dual_mul_f32 v130, v125, v114
	s_delay_alu instid0(VALU_DEP_1) | instskip(NEXT) | instid1(VALU_DEP_2)
	v_pk_fma_f32 v[128:129], v[124:125], v[96:97], v[128:129] op_sel_hi:[1,1,0] neg_lo:[0,0,1] neg_hi:[0,0,1]
	v_pk_fma_f32 v[124:125], v[124:125], v[96:97], v[130:131] op_sel:[1,0,0] op_sel_hi:[0,1,0]
	s_delay_alu instid0(VALU_DEP_1) | instskip(SKIP_1) | instid1(VALU_DEP_2)
	v_mov_b32_e32 v129, v125
	v_pk_mul_f32 v[124:125], v[126:127], v[116:117] op_sel:[0,1]
	v_pk_add_f32 v[6:7], v[6:7], v[128:129] neg_lo:[0,1] neg_hi:[0,1]
	s_delay_alu instid0(VALU_DEP_2) | instskip(SKIP_1) | instid1(VALU_DEP_1)
	v_pk_fma_f32 v[128:129], v[126:127], v[114:115], v[124:125] op_sel:[0,0,1] op_sel_hi:[1,1,0] neg_lo:[0,0,1] neg_hi:[0,0,1]
	v_pk_fma_f32 v[124:125], v[126:127], v[114:115], v[124:125] op_sel:[0,0,1] op_sel_hi:[1,0,0]
	v_mov_b32_e32 v129, v125
	ds_load_2addr_b64 v[124:127], v118 offset0:51 offset1:52
	v_pk_add_f32 v[46:47], v[46:47], v[128:129] neg_lo:[0,1] neg_hi:[0,1]
	s_wait_dscnt 0x0
	v_pk_mul_f32 v[128:129], v[124:125], v[116:117] op_sel:[0,1]
	s_delay_alu instid0(VALU_DEP_1) | instskip(SKIP_1) | instid1(VALU_DEP_1)
	v_pk_fma_f32 v[130:131], v[124:125], v[114:115], v[128:129] op_sel:[0,0,1] op_sel_hi:[1,1,0] neg_lo:[0,0,1] neg_hi:[0,0,1]
	v_pk_fma_f32 v[124:125], v[124:125], v[114:115], v[128:129] op_sel:[0,0,1] op_sel_hi:[1,0,0]
	v_mov_b32_e32 v131, v125
	v_pk_mul_f32 v[124:125], v[126:127], v[116:117] op_sel:[0,1]
	s_delay_alu instid0(VALU_DEP_2) | instskip(NEXT) | instid1(VALU_DEP_2)
	v_pk_add_f32 v[28:29], v[28:29], v[130:131] neg_lo:[0,1] neg_hi:[0,1]
	v_pk_fma_f32 v[128:129], v[126:127], v[114:115], v[124:125] op_sel:[0,0,1] op_sel_hi:[1,1,0] neg_lo:[0,0,1] neg_hi:[0,0,1]
	v_pk_fma_f32 v[124:125], v[126:127], v[114:115], v[124:125] op_sel:[0,0,1] op_sel_hi:[1,0,0]
	s_delay_alu instid0(VALU_DEP_1) | instskip(SKIP_4) | instid1(VALU_DEP_1)
	v_mov_b32_e32 v129, v125
	ds_load_b64 v[124:125], v118 offset:424
	v_pk_add_f32 v[14:15], v[14:15], v[128:129] neg_lo:[0,1] neg_hi:[0,1]
	s_wait_dscnt 0x0
	v_pk_mul_f32 v[116:117], v[124:125], v[116:117] op_sel:[0,1]
	v_pk_fma_f32 v[126:127], v[124:125], v[114:115], v[116:117] op_sel:[0,0,1] op_sel_hi:[1,1,0] neg_lo:[0,0,1] neg_hi:[0,0,1]
	v_pk_fma_f32 v[114:115], v[124:125], v[114:115], v[116:117] op_sel:[0,0,1] op_sel_hi:[1,0,0]
	s_delay_alu instid0(VALU_DEP_1) | instskip(NEXT) | instid1(VALU_DEP_1)
	v_mov_b32_e32 v127, v115
	v_pk_add_f32 v[112:113], v[112:113], v[126:127] neg_lo:[0,1] neg_hi:[0,1]
.LBB106_440:
	s_or_b32 exec_lo, exec_lo, s0
	v_lshl_add_u32 v114, v122, 3, v118
	s_barrier_signal -1
	s_barrier_wait -1
	ds_store_b64 v114, v[58:59]
	s_wait_dscnt 0x0
	s_barrier_signal -1
	s_barrier_wait -1
	ds_load_b64 v[116:117], v118 offset:168
	v_mov_b32_e32 v114, 21
	s_cmp_lt_i32 s18, 23
	s_cbranch_scc1 .LBB106_443
; %bb.441:
	v_add3_u32 v115, v119, 0, 0xb0
	v_mov_b32_e32 v114, 21
	s_mov_b32 s0, 22
.LBB106_442:                            ; =>This Inner Loop Header: Depth=1
	ds_load_b64 v[124:125], v115
	s_wait_dscnt 0x1
	v_cmp_gt_f32_e32 vcc_lo, 0, v116
	v_cndmask_b32_e64 v126, v116, -v116, vcc_lo
	v_cmp_gt_f32_e32 vcc_lo, 0, v117
	v_cndmask_b32_e64 v128, v117, -v117, vcc_lo
	s_wait_dscnt 0x0
	v_cmp_gt_f32_e32 vcc_lo, 0, v124
	v_cndmask_b32_e64 v127, v124, -v124, vcc_lo
	v_cmp_gt_f32_e32 vcc_lo, 0, v125
	v_cndmask_b32_e64 v129, v125, -v125, vcc_lo
	s_delay_alu instid0(VALU_DEP_1) | instskip(NEXT) | instid1(VALU_DEP_1)
	v_pk_add_f32 v[126:127], v[126:127], v[128:129]
	v_cmp_lt_f32_e32 vcc_lo, v126, v127
	v_dual_add_nc_u32 v115, 8, v115 :: v_dual_cndmask_b32 v117, v117, v125, vcc_lo
	v_cndmask_b32_e32 v116, v116, v124, vcc_lo
	v_cndmask_b32_e64 v114, v114, s0, vcc_lo
	s_add_co_i32 s0, s0, 1
	s_delay_alu instid0(SALU_CYCLE_1)
	s_cmp_lg_u32 s18, s0
	s_cbranch_scc1 .LBB106_442
.LBB106_443:
	s_wait_dscnt 0x0
	v_cmp_eq_f32_e32 vcc_lo, 0, v116
	v_cmp_eq_f32_e64 s0, 0, v117
	s_and_b32 s0, vcc_lo, s0
	s_delay_alu instid0(SALU_CYCLE_1) | instskip(NEXT) | instid1(SALU_CYCLE_1)
	s_and_saveexec_b32 s1, s0
	s_xor_b32 s0, exec_lo, s1
; %bb.444:
	v_cmp_ne_u32_e32 vcc_lo, 0, v120
	v_cndmask_b32_e32 v120, 22, v120, vcc_lo
; %bb.445:
	s_and_not1_saveexec_b32 s0, s0
	s_cbranch_execz .LBB106_451
; %bb.446:
	v_cmp_ngt_f32_e64 s1, |v116|, |v117|
	s_and_saveexec_b32 s12, s1
	s_delay_alu instid0(SALU_CYCLE_1)
	s_xor_b32 s1, exec_lo, s12
	s_cbranch_execz .LBB106_448
; %bb.447:
	v_div_scale_f32 v115, null, v117, v117, v116
	v_div_scale_f32 v125, vcc_lo, v116, v117, v116
	s_delay_alu instid0(VALU_DEP_2) | instskip(SKIP_1) | instid1(TRANS32_DEP_1)
	v_rcp_f32_e32 v123, v115
	v_nop
	v_fma_f32 v124, -v115, v123, 1.0
	s_delay_alu instid0(VALU_DEP_1) | instskip(NEXT) | instid1(VALU_DEP_1)
	v_fmac_f32_e32 v123, v124, v123
	v_mul_f32_e32 v124, v125, v123
	s_delay_alu instid0(VALU_DEP_1) | instskip(NEXT) | instid1(VALU_DEP_1)
	v_fma_f32 v126, -v115, v124, v125
	v_fmac_f32_e32 v124, v126, v123
	s_delay_alu instid0(VALU_DEP_1) | instskip(NEXT) | instid1(VALU_DEP_1)
	v_fma_f32 v115, -v115, v124, v125
	v_div_fmas_f32 v115, v115, v123, v124
	s_delay_alu instid0(VALU_DEP_1) | instskip(NEXT) | instid1(VALU_DEP_1)
	v_div_fixup_f32 v115, v115, v117, v116
	v_fmac_f32_e32 v117, v116, v115
	s_delay_alu instid0(VALU_DEP_1) | instskip(SKIP_1) | instid1(VALU_DEP_2)
	v_div_scale_f32 v116, null, v117, v117, 1.0
	v_div_scale_f32 v125, vcc_lo, 1.0, v117, 1.0
	v_rcp_f32_e32 v123, v116
	v_nop
	s_delay_alu instid0(TRANS32_DEP_1) | instskip(NEXT) | instid1(VALU_DEP_1)
	v_fma_f32 v124, -v116, v123, 1.0
	v_fmac_f32_e32 v123, v124, v123
	s_delay_alu instid0(VALU_DEP_1) | instskip(NEXT) | instid1(VALU_DEP_1)
	v_mul_f32_e32 v124, v125, v123
	v_fma_f32 v126, -v116, v124, v125
	s_delay_alu instid0(VALU_DEP_1) | instskip(NEXT) | instid1(VALU_DEP_1)
	v_fmac_f32_e32 v124, v126, v123
	v_fma_f32 v116, -v116, v124, v125
	s_delay_alu instid0(VALU_DEP_1) | instskip(NEXT) | instid1(VALU_DEP_1)
	v_div_fmas_f32 v116, v116, v123, v124
	v_div_fixup_f32 v117, v116, v117, 1.0
	s_delay_alu instid0(VALU_DEP_1)
	v_mul_f32_e32 v116, v115, v117
	v_xor_b32_e32 v117, 0x80000000, v117
.LBB106_448:
	s_and_not1_saveexec_b32 s1, s1
	s_cbranch_execz .LBB106_450
; %bb.449:
	s_delay_alu instid0(VALU_DEP_1) | instskip(SKIP_1) | instid1(VALU_DEP_2)
	v_div_scale_f32 v115, null, v116, v116, v117
	v_div_scale_f32 v125, vcc_lo, v117, v116, v117
	v_rcp_f32_e32 v123, v115
	v_nop
	s_delay_alu instid0(TRANS32_DEP_1) | instskip(NEXT) | instid1(VALU_DEP_1)
	v_fma_f32 v124, -v115, v123, 1.0
	v_fmac_f32_e32 v123, v124, v123
	s_delay_alu instid0(VALU_DEP_1) | instskip(NEXT) | instid1(VALU_DEP_1)
	v_mul_f32_e32 v124, v125, v123
	v_fma_f32 v126, -v115, v124, v125
	s_delay_alu instid0(VALU_DEP_1) | instskip(NEXT) | instid1(VALU_DEP_1)
	v_fmac_f32_e32 v124, v126, v123
	v_fma_f32 v115, -v115, v124, v125
	s_delay_alu instid0(VALU_DEP_1) | instskip(NEXT) | instid1(VALU_DEP_1)
	v_div_fmas_f32 v115, v115, v123, v124
	v_div_fixup_f32 v115, v115, v116, v117
	s_delay_alu instid0(VALU_DEP_1) | instskip(NEXT) | instid1(VALU_DEP_1)
	v_fmac_f32_e32 v116, v117, v115
	v_div_scale_f32 v117, null, v116, v116, 1.0
	s_delay_alu instid0(VALU_DEP_1) | instskip(SKIP_1) | instid1(TRANS32_DEP_1)
	v_rcp_f32_e32 v123, v117
	v_nop
	v_fma_f32 v124, -v117, v123, 1.0
	s_delay_alu instid0(VALU_DEP_1) | instskip(SKIP_1) | instid1(VALU_DEP_1)
	v_fmac_f32_e32 v123, v124, v123
	v_div_scale_f32 v124, vcc_lo, 1.0, v116, 1.0
	v_mul_f32_e32 v125, v124, v123
	s_delay_alu instid0(VALU_DEP_1) | instskip(NEXT) | instid1(VALU_DEP_1)
	v_fma_f32 v126, -v117, v125, v124
	v_fmac_f32_e32 v125, v126, v123
	s_delay_alu instid0(VALU_DEP_1) | instskip(NEXT) | instid1(VALU_DEP_1)
	v_fma_f32 v117, -v117, v125, v124
	v_div_fmas_f32 v117, v117, v123, v125
	s_delay_alu instid0(VALU_DEP_1) | instskip(NEXT) | instid1(VALU_DEP_1)
	v_div_fixup_f32 v116, v117, v116, 1.0
	v_mul_f32_e64 v117, v115, -v116
.LBB106_450:
	s_or_b32 exec_lo, exec_lo, s1
.LBB106_451:
	s_delay_alu instid0(SALU_CYCLE_1) | instskip(NEXT) | instid1(SALU_CYCLE_1)
	s_or_b32 exec_lo, exec_lo, s0
	s_mov_b32 s0, exec_lo
	v_cmpx_ne_u32_e64 v122, v114
	s_xor_b32 s0, exec_lo, s0
	s_cbranch_execz .LBB106_457
; %bb.452:
	s_mov_b32 s1, exec_lo
	v_cmpx_eq_u32_e32 21, v122
	s_cbranch_execz .LBB106_456
; %bb.453:
	v_cmp_ne_u32_e32 vcc_lo, 21, v114
	s_xor_b32 s12, s16, -1
	s_delay_alu instid0(SALU_CYCLE_1) | instskip(NEXT) | instid1(SALU_CYCLE_1)
	s_and_b32 s13, s12, vcc_lo
	s_and_saveexec_b32 s12, s13
	s_cbranch_execz .LBB106_455
; %bb.454:
	v_ashrrev_i32_e32 v115, 31, v114
	s_delay_alu instid0(VALU_DEP_1)
	v_lshl_add_u64 v[122:123], v[114:115], 2, v[4:5]
	s_clause 0x1
	global_load_b32 v115, v[122:123], off
	global_load_b32 v121, v[4:5], off offset:84
	s_wait_loadcnt 0x1
	global_store_b32 v[4:5], v115, off offset:84
	s_wait_loadcnt 0x0
	global_store_b32 v[122:123], v121, off
.LBB106_455:
	s_wait_xcnt 0x0
	s_or_b32 exec_lo, exec_lo, s12
	v_dual_mov_b32 v122, v114 :: v_dual_mov_b32 v121, v114
.LBB106_456:
	s_or_b32 exec_lo, exec_lo, s1
.LBB106_457:
	s_and_not1_saveexec_b32 s0, s0
	s_cbranch_execz .LBB106_459
; %bb.458:
	v_dual_mov_b32 v114, v60 :: v_dual_mov_b32 v115, v61
	v_dual_mov_b32 v122, v56 :: v_dual_mov_b32 v123, v57
	;; [unrolled: 1-line block ×12, first 2 shown]
	ds_store_2addr_b64 v118, v[114:115], v[122:123] offset0:22 offset1:23
	ds_store_2addr_b64 v118, v[124:125], v[126:127] offset0:24 offset1:25
	;; [unrolled: 1-line block ×6, first 2 shown]
	v_dual_mov_b32 v114, v34 :: v_dual_mov_b32 v115, v35
	v_dual_mov_b32 v122, v30 :: v_dual_mov_b32 v123, v31
	;; [unrolled: 1-line block ×12, first 2 shown]
	ds_store_2addr_b64 v118, v[114:115], v[122:123] offset0:34 offset1:35
	ds_store_2addr_b64 v118, v[124:125], v[126:127] offset0:36 offset1:37
	;; [unrolled: 1-line block ×6, first 2 shown]
	v_dual_mov_b32 v114, v12 :: v_dual_mov_b32 v115, v13
	v_dual_mov_b32 v124, v8 :: v_dual_mov_b32 v125, v9
	;; [unrolled: 1-line block ×7, first 2 shown]
	v_mov_b32_e32 v135, v15
	ds_store_2addr_b64 v118, v[114:115], v[124:125] offset0:46 offset1:47
	ds_store_2addr_b64 v118, v[126:127], v[128:129] offset0:48 offset1:49
	;; [unrolled: 1-line block ×4, first 2 shown]
.LBB106_459:
	s_or_b32 exec_lo, exec_lo, s0
	s_delay_alu instid0(SALU_CYCLE_1)
	s_mov_b32 s0, exec_lo
	s_wait_storecnt_dscnt 0x0
	s_barrier_signal -1
	s_barrier_wait -1
	v_cmpx_lt_i32_e32 21, v122
	s_cbranch_execz .LBB106_461
; %bb.460:
	v_pk_mul_f32 v[124:125], v[116:117], v[58:59] op_sel:[1,1] op_sel_hi:[0,1]
	s_delay_alu instid0(VALU_DEP_1)
	v_pk_fma_f32 v[114:115], v[116:117], v[58:59], v[124:125] op_sel_hi:[1,0,1] neg_lo:[0,0,1] neg_hi:[0,0,1]
	v_pk_fma_f32 v[116:117], v[116:117], v[58:59], v[124:125] op_sel_hi:[1,0,1]
	ds_load_2addr_b64 v[124:127], v118 offset0:22 offset1:23
	v_dual_mov_b32 v58, v114 :: v_dual_mov_b32 v59, v117
	s_wait_dscnt 0x0
	v_pk_mul_f32 v[128:129], v[124:125], v[116:117] op_sel:[0,1]
	s_delay_alu instid0(VALU_DEP_1) | instskip(SKIP_1) | instid1(VALU_DEP_1)
	v_pk_fma_f32 v[130:131], v[124:125], v[114:115], v[128:129] op_sel:[0,0,1] op_sel_hi:[1,1,0] neg_lo:[0,0,1] neg_hi:[0,0,1]
	v_pk_fma_f32 v[124:125], v[124:125], v[114:115], v[128:129] op_sel:[0,0,1] op_sel_hi:[1,0,0]
	v_mov_b32_e32 v131, v125
	v_pk_mul_f32 v[124:125], v[126:127], v[116:117] op_sel:[0,1]
	s_delay_alu instid0(VALU_DEP_1) | instskip(SKIP_1) | instid1(VALU_DEP_1)
	v_pk_fma_f32 v[128:129], v[126:127], v[114:115], v[124:125] op_sel:[0,0,1] op_sel_hi:[1,1,0] neg_lo:[0,0,1] neg_hi:[0,0,1]
	v_pk_fma_f32 v[124:125], v[126:127], v[114:115], v[124:125] op_sel:[0,0,1] op_sel_hi:[1,0,0]
	v_mov_b32_e32 v129, v125
	ds_load_2addr_b64 v[124:127], v118 offset0:24 offset1:25
	v_pk_add_f32 v[60:61], v[60:61], v[130:131] neg_lo:[0,1] neg_hi:[0,1]
	v_pk_add_f32 v[56:57], v[56:57], v[128:129] neg_lo:[0,1] neg_hi:[0,1]
	s_wait_dscnt 0x0
	v_pk_mul_f32 v[128:129], v[124:125], v[116:117] op_sel:[0,1]
	s_delay_alu instid0(VALU_DEP_1) | instskip(SKIP_2) | instid1(VALU_DEP_2)
	v_pk_fma_f32 v[130:131], v[124:125], v[114:115], v[128:129] op_sel:[0,0,1] op_sel_hi:[1,1,0] neg_lo:[0,0,1] neg_hi:[0,0,1]
	v_pk_fma_f32 v[124:125], v[124:125], v[114:115], v[128:129] op_sel:[0,0,1] op_sel_hi:[1,0,0]
	v_dual_mul_f32 v128, v127, v117 :: v_dual_mov_b32 v124, v127
	v_dual_mov_b32 v131, v125 :: v_dual_mov_b32 v125, v126
	s_delay_alu instid0(VALU_DEP_2) | instskip(SKIP_1) | instid1(VALU_DEP_3)
	v_pk_fma_f32 v[128:129], v[126:127], v[58:59], v[128:129] op_sel_hi:[1,1,0] neg_lo:[0,0,1] neg_hi:[0,0,1]
	v_mul_f32_e32 v126, v127, v114
	v_pk_add_f32 v[94:95], v[94:95], v[130:131] neg_lo:[0,1] neg_hi:[0,1]
	s_delay_alu instid0(VALU_DEP_2) | instskip(NEXT) | instid1(VALU_DEP_1)
	v_pk_fma_f32 v[124:125], v[124:125], v[58:59], v[126:127] op_sel_hi:[1,1,0]
	v_mov_b32_e32 v129, v125
	ds_load_2addr_b64 v[124:127], v118 offset0:26 offset1:27
	v_pk_add_f32 v[52:53], v[52:53], v[128:129] neg_lo:[0,1] neg_hi:[0,1]
	s_wait_dscnt 0x0
	v_pk_mul_f32 v[128:129], v[124:125], v[116:117] op_sel:[0,1]
	s_delay_alu instid0(VALU_DEP_1) | instskip(SKIP_1) | instid1(VALU_DEP_1)
	v_pk_fma_f32 v[130:131], v[124:125], v[114:115], v[128:129] op_sel:[0,0,1] op_sel_hi:[1,1,0] neg_lo:[0,0,1] neg_hi:[0,0,1]
	v_pk_fma_f32 v[124:125], v[124:125], v[114:115], v[128:129] op_sel:[0,0,1] op_sel_hi:[1,0,0]
	v_mov_b32_e32 v131, v125
	v_pk_mul_f32 v[124:125], v[126:127], v[116:117] op_sel:[0,1]
	s_delay_alu instid0(VALU_DEP_1) | instskip(SKIP_1) | instid1(VALU_DEP_1)
	v_pk_fma_f32 v[128:129], v[126:127], v[114:115], v[124:125] op_sel:[0,0,1] op_sel_hi:[1,1,0] neg_lo:[0,0,1] neg_hi:[0,0,1]
	v_pk_fma_f32 v[124:125], v[126:127], v[114:115], v[124:125] op_sel:[0,0,1] op_sel_hi:[1,0,0]
	v_mov_b32_e32 v129, v125
	ds_load_2addr_b64 v[124:127], v118 offset0:28 offset1:29
	v_pk_add_f32 v[54:55], v[54:55], v[130:131] neg_lo:[0,1] neg_hi:[0,1]
	v_pk_add_f32 v[50:51], v[50:51], v[128:129] neg_lo:[0,1] neg_hi:[0,1]
	s_wait_dscnt 0x0
	v_pk_mul_f32 v[128:129], v[124:125], v[116:117] op_sel:[0,1]
	s_delay_alu instid0(VALU_DEP_1) | instskip(SKIP_1) | instid1(VALU_DEP_1)
	v_pk_fma_f32 v[130:131], v[124:125], v[114:115], v[128:129] op_sel:[0,0,1] op_sel_hi:[1,1,0] neg_lo:[0,0,1] neg_hi:[0,0,1]
	v_pk_fma_f32 v[124:125], v[124:125], v[114:115], v[128:129] op_sel:[0,0,1] op_sel_hi:[1,0,0]
	v_mov_b32_e32 v131, v125
	v_pk_mul_f32 v[124:125], v[126:127], v[116:117] op_sel:[0,1]
	s_delay_alu instid0(VALU_DEP_1) | instskip(SKIP_1) | instid1(VALU_DEP_1)
	v_pk_fma_f32 v[128:129], v[126:127], v[114:115], v[124:125] op_sel:[0,0,1] op_sel_hi:[1,1,0] neg_lo:[0,0,1] neg_hi:[0,0,1]
	v_pk_fma_f32 v[124:125], v[126:127], v[114:115], v[124:125] op_sel:[0,0,1] op_sel_hi:[1,0,0]
	v_mov_b32_e32 v129, v125
	ds_load_2addr_b64 v[124:127], v118 offset0:30 offset1:31
	v_pk_add_f32 v[90:91], v[90:91], v[130:131] neg_lo:[0,1] neg_hi:[0,1]
	v_pk_add_f32 v[38:39], v[38:39], v[128:129] neg_lo:[0,1] neg_hi:[0,1]
	s_wait_dscnt 0x0
	v_dual_mul_f32 v128, v125, v117 :: v_dual_mul_f32 v130, v125, v114
	s_delay_alu instid0(VALU_DEP_1) | instskip(NEXT) | instid1(VALU_DEP_2)
	v_pk_fma_f32 v[128:129], v[124:125], v[58:59], v[128:129] op_sel_hi:[1,1,0] neg_lo:[0,0,1] neg_hi:[0,0,1]
	v_pk_fma_f32 v[124:125], v[124:125], v[58:59], v[130:131] op_sel:[1,0,0] op_sel_hi:[0,1,0]
	s_delay_alu instid0(VALU_DEP_1) | instskip(SKIP_1) | instid1(VALU_DEP_2)
	v_mov_b32_e32 v129, v125
	v_pk_mul_f32 v[124:125], v[126:127], v[116:117] op_sel:[0,1]
	v_pk_add_f32 v[40:41], v[40:41], v[128:129] neg_lo:[0,1] neg_hi:[0,1]
	s_delay_alu instid0(VALU_DEP_2) | instskip(SKIP_1) | instid1(VALU_DEP_1)
	v_pk_fma_f32 v[128:129], v[126:127], v[114:115], v[124:125] op_sel:[0,0,1] op_sel_hi:[1,1,0] neg_lo:[0,0,1] neg_hi:[0,0,1]
	v_pk_fma_f32 v[124:125], v[126:127], v[114:115], v[124:125] op_sel:[0,0,1] op_sel_hi:[1,0,0]
	v_mov_b32_e32 v129, v125
	ds_load_2addr_b64 v[124:127], v118 offset0:32 offset1:33
	v_pk_add_f32 v[36:37], v[36:37], v[128:129] neg_lo:[0,1] neg_hi:[0,1]
	s_wait_dscnt 0x0
	v_pk_mul_f32 v[128:129], v[124:125], v[116:117] op_sel:[0,1]
	s_delay_alu instid0(VALU_DEP_1) | instskip(SKIP_1) | instid1(VALU_DEP_1)
	v_pk_fma_f32 v[130:131], v[124:125], v[114:115], v[128:129] op_sel:[0,0,1] op_sel_hi:[1,1,0] neg_lo:[0,0,1] neg_hi:[0,0,1]
	v_pk_fma_f32 v[124:125], v[124:125], v[114:115], v[128:129] op_sel:[0,0,1] op_sel_hi:[1,0,0]
	v_mov_b32_e32 v131, v125
	v_pk_mul_f32 v[124:125], v[126:127], v[116:117] op_sel:[0,1]
	s_delay_alu instid0(VALU_DEP_2) | instskip(NEXT) | instid1(VALU_DEP_2)
	v_pk_add_f32 v[88:89], v[88:89], v[130:131] neg_lo:[0,1] neg_hi:[0,1]
	v_pk_fma_f32 v[128:129], v[126:127], v[114:115], v[124:125] op_sel:[0,0,1] op_sel_hi:[1,1,0] neg_lo:[0,0,1] neg_hi:[0,0,1]
	v_pk_fma_f32 v[124:125], v[126:127], v[114:115], v[124:125] op_sel:[0,0,1] op_sel_hi:[1,0,0]
	s_delay_alu instid0(VALU_DEP_1) | instskip(SKIP_4) | instid1(VALU_DEP_1)
	v_mov_b32_e32 v129, v125
	ds_load_2addr_b64 v[124:127], v118 offset0:34 offset1:35
	v_pk_add_f32 v[32:33], v[32:33], v[128:129] neg_lo:[0,1] neg_hi:[0,1]
	s_wait_dscnt 0x0
	v_pk_mul_f32 v[128:129], v[124:125], v[116:117] op_sel:[0,1]
	v_pk_fma_f32 v[130:131], v[124:125], v[114:115], v[128:129] op_sel:[0,0,1] op_sel_hi:[1,1,0] neg_lo:[0,0,1] neg_hi:[0,0,1]
	v_pk_fma_f32 v[124:125], v[124:125], v[114:115], v[128:129] op_sel:[0,0,1] op_sel_hi:[1,0,0]
	v_dual_mul_f32 v128, v127, v117 :: v_dual_mov_b32 v124, v127
	s_delay_alu instid0(VALU_DEP_2) | instskip(NEXT) | instid1(VALU_DEP_2)
	v_dual_mov_b32 v131, v125 :: v_dual_mov_b32 v125, v126
	v_pk_fma_f32 v[128:129], v[126:127], v[58:59], v[128:129] op_sel_hi:[1,1,0] neg_lo:[0,0,1] neg_hi:[0,0,1]
	v_mul_f32_e32 v126, v127, v114
	s_delay_alu instid0(VALU_DEP_3) | instskip(NEXT) | instid1(VALU_DEP_2)
	v_pk_add_f32 v[34:35], v[34:35], v[130:131] neg_lo:[0,1] neg_hi:[0,1]
	v_pk_fma_f32 v[124:125], v[124:125], v[58:59], v[126:127] op_sel_hi:[1,1,0]
	s_delay_alu instid0(VALU_DEP_1) | instskip(SKIP_4) | instid1(VALU_DEP_1)
	v_mov_b32_e32 v129, v125
	ds_load_2addr_b64 v[124:127], v118 offset0:36 offset1:37
	v_pk_add_f32 v[30:31], v[30:31], v[128:129] neg_lo:[0,1] neg_hi:[0,1]
	s_wait_dscnt 0x0
	v_pk_mul_f32 v[128:129], v[124:125], v[116:117] op_sel:[0,1]
	v_pk_fma_f32 v[130:131], v[124:125], v[114:115], v[128:129] op_sel:[0,0,1] op_sel_hi:[1,1,0] neg_lo:[0,0,1] neg_hi:[0,0,1]
	v_pk_fma_f32 v[124:125], v[124:125], v[114:115], v[128:129] op_sel:[0,0,1] op_sel_hi:[1,0,0]
	s_delay_alu instid0(VALU_DEP_1) | instskip(SKIP_1) | instid1(VALU_DEP_1)
	v_mov_b32_e32 v131, v125
	v_pk_mul_f32 v[124:125], v[126:127], v[116:117] op_sel:[0,1]
	v_pk_fma_f32 v[128:129], v[126:127], v[114:115], v[124:125] op_sel:[0,0,1] op_sel_hi:[1,1,0] neg_lo:[0,0,1] neg_hi:[0,0,1]
	v_pk_fma_f32 v[124:125], v[126:127], v[114:115], v[124:125] op_sel:[0,0,1] op_sel_hi:[1,0,0]
	s_delay_alu instid0(VALU_DEP_1)
	v_mov_b32_e32 v129, v125
	ds_load_2addr_b64 v[124:127], v118 offset0:38 offset1:39
	v_pk_add_f32 v[86:87], v[86:87], v[130:131] neg_lo:[0,1] neg_hi:[0,1]
	v_pk_add_f32 v[24:25], v[24:25], v[128:129] neg_lo:[0,1] neg_hi:[0,1]
	s_wait_dscnt 0x0
	v_pk_mul_f32 v[128:129], v[124:125], v[116:117] op_sel:[0,1]
	s_delay_alu instid0(VALU_DEP_1) | instskip(SKIP_1) | instid1(VALU_DEP_1)
	v_pk_fma_f32 v[130:131], v[124:125], v[114:115], v[128:129] op_sel:[0,0,1] op_sel_hi:[1,1,0] neg_lo:[0,0,1] neg_hi:[0,0,1]
	v_pk_fma_f32 v[124:125], v[124:125], v[114:115], v[128:129] op_sel:[0,0,1] op_sel_hi:[1,0,0]
	v_mov_b32_e32 v131, v125
	v_pk_mul_f32 v[124:125], v[126:127], v[116:117] op_sel:[0,1]
	s_delay_alu instid0(VALU_DEP_1) | instskip(SKIP_1) | instid1(VALU_DEP_1)
	v_pk_fma_f32 v[128:129], v[126:127], v[114:115], v[124:125] op_sel:[0,0,1] op_sel_hi:[1,1,0] neg_lo:[0,0,1] neg_hi:[0,0,1]
	v_pk_fma_f32 v[124:125], v[126:127], v[114:115], v[124:125] op_sel:[0,0,1] op_sel_hi:[1,0,0]
	v_mov_b32_e32 v129, v125
	ds_load_2addr_b64 v[124:127], v118 offset0:40 offset1:41
	v_pk_add_f32 v[26:27], v[26:27], v[130:131] neg_lo:[0,1] neg_hi:[0,1]
	v_pk_add_f32 v[22:23], v[22:23], v[128:129] neg_lo:[0,1] neg_hi:[0,1]
	s_wait_dscnt 0x0
	v_dual_mul_f32 v128, v125, v117 :: v_dual_mul_f32 v130, v125, v114
	s_delay_alu instid0(VALU_DEP_1) | instskip(NEXT) | instid1(VALU_DEP_2)
	v_pk_fma_f32 v[128:129], v[124:125], v[58:59], v[128:129] op_sel_hi:[1,1,0] neg_lo:[0,0,1] neg_hi:[0,0,1]
	v_pk_fma_f32 v[124:125], v[124:125], v[58:59], v[130:131] op_sel:[1,0,0] op_sel_hi:[0,1,0]
	s_delay_alu instid0(VALU_DEP_1) | instskip(SKIP_1) | instid1(VALU_DEP_2)
	v_mov_b32_e32 v129, v125
	v_pk_mul_f32 v[124:125], v[126:127], v[116:117] op_sel:[0,1]
	v_pk_add_f32 v[84:85], v[84:85], v[128:129] neg_lo:[0,1] neg_hi:[0,1]
	s_delay_alu instid0(VALU_DEP_2) | instskip(SKIP_1) | instid1(VALU_DEP_1)
	v_pk_fma_f32 v[128:129], v[126:127], v[114:115], v[124:125] op_sel:[0,0,1] op_sel_hi:[1,1,0] neg_lo:[0,0,1] neg_hi:[0,0,1]
	v_pk_fma_f32 v[124:125], v[126:127], v[114:115], v[124:125] op_sel:[0,0,1] op_sel_hi:[1,0,0]
	v_mov_b32_e32 v129, v125
	ds_load_2addr_b64 v[124:127], v118 offset0:42 offset1:43
	v_pk_add_f32 v[18:19], v[18:19], v[128:129] neg_lo:[0,1] neg_hi:[0,1]
	s_wait_dscnt 0x0
	v_pk_mul_f32 v[128:129], v[124:125], v[116:117] op_sel:[0,1]
	s_delay_alu instid0(VALU_DEP_1) | instskip(SKIP_1) | instid1(VALU_DEP_1)
	v_pk_fma_f32 v[130:131], v[124:125], v[114:115], v[128:129] op_sel:[0,0,1] op_sel_hi:[1,1,0] neg_lo:[0,0,1] neg_hi:[0,0,1]
	v_pk_fma_f32 v[124:125], v[124:125], v[114:115], v[128:129] op_sel:[0,0,1] op_sel_hi:[1,0,0]
	v_mov_b32_e32 v131, v125
	v_pk_mul_f32 v[124:125], v[126:127], v[116:117] op_sel:[0,1]
	s_delay_alu instid0(VALU_DEP_2) | instskip(NEXT) | instid1(VALU_DEP_2)
	v_pk_add_f32 v[20:21], v[20:21], v[130:131] neg_lo:[0,1] neg_hi:[0,1]
	v_pk_fma_f32 v[128:129], v[126:127], v[114:115], v[124:125] op_sel:[0,0,1] op_sel_hi:[1,1,0] neg_lo:[0,0,1] neg_hi:[0,0,1]
	v_pk_fma_f32 v[124:125], v[126:127], v[114:115], v[124:125] op_sel:[0,0,1] op_sel_hi:[1,0,0]
	s_delay_alu instid0(VALU_DEP_1) | instskip(SKIP_4) | instid1(VALU_DEP_1)
	v_mov_b32_e32 v129, v125
	ds_load_2addr_b64 v[124:127], v118 offset0:44 offset1:45
	v_pk_add_f32 v[16:17], v[16:17], v[128:129] neg_lo:[0,1] neg_hi:[0,1]
	s_wait_dscnt 0x0
	v_pk_mul_f32 v[128:129], v[124:125], v[116:117] op_sel:[0,1]
	v_pk_fma_f32 v[130:131], v[124:125], v[114:115], v[128:129] op_sel:[0,0,1] op_sel_hi:[1,1,0] neg_lo:[0,0,1] neg_hi:[0,0,1]
	v_pk_fma_f32 v[124:125], v[124:125], v[114:115], v[128:129] op_sel:[0,0,1] op_sel_hi:[1,0,0]
	v_dual_mul_f32 v128, v127, v117 :: v_dual_mov_b32 v124, v127
	s_delay_alu instid0(VALU_DEP_2) | instskip(NEXT) | instid1(VALU_DEP_2)
	v_dual_mov_b32 v131, v125 :: v_dual_mov_b32 v125, v126
	v_pk_fma_f32 v[128:129], v[126:127], v[58:59], v[128:129] op_sel_hi:[1,1,0] neg_lo:[0,0,1] neg_hi:[0,0,1]
	v_mul_f32_e32 v126, v127, v114
	s_delay_alu instid0(VALU_DEP_3) | instskip(NEXT) | instid1(VALU_DEP_2)
	v_pk_add_f32 v[82:83], v[82:83], v[130:131] neg_lo:[0,1] neg_hi:[0,1]
	v_pk_fma_f32 v[124:125], v[124:125], v[58:59], v[126:127] op_sel_hi:[1,1,0]
	s_delay_alu instid0(VALU_DEP_1) | instskip(SKIP_4) | instid1(VALU_DEP_1)
	v_mov_b32_e32 v129, v125
	ds_load_2addr_b64 v[124:127], v118 offset0:46 offset1:47
	v_pk_add_f32 v[10:11], v[10:11], v[128:129] neg_lo:[0,1] neg_hi:[0,1]
	s_wait_dscnt 0x0
	v_pk_mul_f32 v[128:129], v[124:125], v[116:117] op_sel:[0,1]
	v_pk_fma_f32 v[130:131], v[124:125], v[114:115], v[128:129] op_sel:[0,0,1] op_sel_hi:[1,1,0] neg_lo:[0,0,1] neg_hi:[0,0,1]
	v_pk_fma_f32 v[124:125], v[124:125], v[114:115], v[128:129] op_sel:[0,0,1] op_sel_hi:[1,0,0]
	s_delay_alu instid0(VALU_DEP_1) | instskip(SKIP_1) | instid1(VALU_DEP_1)
	v_mov_b32_e32 v131, v125
	v_pk_mul_f32 v[124:125], v[126:127], v[116:117] op_sel:[0,1]
	v_pk_fma_f32 v[128:129], v[126:127], v[114:115], v[124:125] op_sel:[0,0,1] op_sel_hi:[1,1,0] neg_lo:[0,0,1] neg_hi:[0,0,1]
	v_pk_fma_f32 v[124:125], v[126:127], v[114:115], v[124:125] op_sel:[0,0,1] op_sel_hi:[1,0,0]
	s_delay_alu instid0(VALU_DEP_1)
	v_mov_b32_e32 v129, v125
	ds_load_2addr_b64 v[124:127], v118 offset0:48 offset1:49
	v_pk_add_f32 v[12:13], v[12:13], v[130:131] neg_lo:[0,1] neg_hi:[0,1]
	v_pk_add_f32 v[8:9], v[8:9], v[128:129] neg_lo:[0,1] neg_hi:[0,1]
	s_wait_dscnt 0x0
	v_pk_mul_f32 v[128:129], v[124:125], v[116:117] op_sel:[0,1]
	s_delay_alu instid0(VALU_DEP_1) | instskip(SKIP_1) | instid1(VALU_DEP_1)
	v_pk_fma_f32 v[130:131], v[124:125], v[114:115], v[128:129] op_sel:[0,0,1] op_sel_hi:[1,1,0] neg_lo:[0,0,1] neg_hi:[0,0,1]
	v_pk_fma_f32 v[124:125], v[124:125], v[114:115], v[128:129] op_sel:[0,0,1] op_sel_hi:[1,0,0]
	v_mov_b32_e32 v131, v125
	v_pk_mul_f32 v[124:125], v[126:127], v[116:117] op_sel:[0,1]
	s_delay_alu instid0(VALU_DEP_1) | instskip(SKIP_1) | instid1(VALU_DEP_1)
	v_pk_fma_f32 v[128:129], v[126:127], v[114:115], v[124:125] op_sel:[0,0,1] op_sel_hi:[1,1,0] neg_lo:[0,0,1] neg_hi:[0,0,1]
	v_pk_fma_f32 v[124:125], v[126:127], v[114:115], v[124:125] op_sel:[0,0,1] op_sel_hi:[1,0,0]
	v_mov_b32_e32 v129, v125
	ds_load_2addr_b64 v[124:127], v118 offset0:50 offset1:51
	v_pk_add_f32 v[66:67], v[66:67], v[130:131] neg_lo:[0,1] neg_hi:[0,1]
	v_pk_add_f32 v[6:7], v[6:7], v[128:129] neg_lo:[0,1] neg_hi:[0,1]
	s_wait_dscnt 0x0
	v_dual_mul_f32 v128, v125, v117 :: v_dual_mul_f32 v130, v125, v114
	s_delay_alu instid0(VALU_DEP_1) | instskip(NEXT) | instid1(VALU_DEP_2)
	v_pk_fma_f32 v[128:129], v[124:125], v[58:59], v[128:129] op_sel_hi:[1,1,0] neg_lo:[0,0,1] neg_hi:[0,0,1]
	v_pk_fma_f32 v[124:125], v[124:125], v[58:59], v[130:131] op_sel:[1,0,0] op_sel_hi:[0,1,0]
	s_delay_alu instid0(VALU_DEP_1) | instskip(SKIP_1) | instid1(VALU_DEP_2)
	v_mov_b32_e32 v129, v125
	v_pk_mul_f32 v[124:125], v[126:127], v[116:117] op_sel:[0,1]
	v_pk_add_f32 v[46:47], v[46:47], v[128:129] neg_lo:[0,1] neg_hi:[0,1]
	s_delay_alu instid0(VALU_DEP_2) | instskip(SKIP_1) | instid1(VALU_DEP_1)
	v_pk_fma_f32 v[128:129], v[126:127], v[114:115], v[124:125] op_sel:[0,0,1] op_sel_hi:[1,1,0] neg_lo:[0,0,1] neg_hi:[0,0,1]
	v_pk_fma_f32 v[124:125], v[126:127], v[114:115], v[124:125] op_sel:[0,0,1] op_sel_hi:[1,0,0]
	v_mov_b32_e32 v129, v125
	ds_load_2addr_b64 v[124:127], v118 offset0:52 offset1:53
	v_pk_add_f32 v[28:29], v[28:29], v[128:129] neg_lo:[0,1] neg_hi:[0,1]
	s_wait_dscnt 0x0
	v_pk_mul_f32 v[128:129], v[124:125], v[116:117] op_sel:[0,1]
	v_pk_mul_f32 v[116:117], v[126:127], v[116:117] op_sel:[0,1]
	s_delay_alu instid0(VALU_DEP_2) | instskip(SKIP_1) | instid1(VALU_DEP_1)
	v_pk_fma_f32 v[130:131], v[124:125], v[114:115], v[128:129] op_sel:[0,0,1] op_sel_hi:[1,1,0] neg_lo:[0,0,1] neg_hi:[0,0,1]
	v_pk_fma_f32 v[124:125], v[124:125], v[114:115], v[128:129] op_sel:[0,0,1] op_sel_hi:[1,0,0]
	v_mov_b32_e32 v131, v125
	s_delay_alu instid0(VALU_DEP_4) | instskip(SKIP_1) | instid1(VALU_DEP_3)
	v_pk_fma_f32 v[124:125], v[126:127], v[114:115], v[116:117] op_sel:[0,0,1] op_sel_hi:[1,1,0] neg_lo:[0,0,1] neg_hi:[0,0,1]
	v_pk_fma_f32 v[114:115], v[126:127], v[114:115], v[116:117] op_sel:[0,0,1] op_sel_hi:[1,0,0]
	v_pk_add_f32 v[14:15], v[14:15], v[130:131] neg_lo:[0,1] neg_hi:[0,1]
	s_delay_alu instid0(VALU_DEP_2) | instskip(NEXT) | instid1(VALU_DEP_1)
	v_mov_b32_e32 v125, v115
	v_pk_add_f32 v[112:113], v[112:113], v[124:125] neg_lo:[0,1] neg_hi:[0,1]
.LBB106_461:
	s_or_b32 exec_lo, exec_lo, s0
	v_lshl_add_u32 v114, v122, 3, v118
	s_barrier_signal -1
	s_barrier_wait -1
	ds_store_b64 v114, v[60:61]
	s_wait_dscnt 0x0
	s_barrier_signal -1
	s_barrier_wait -1
	ds_load_b64 v[116:117], v118 offset:176
	v_mov_b32_e32 v114, 22
	s_cmp_lt_i32 s18, 24
	s_cbranch_scc1 .LBB106_464
; %bb.462:
	v_add3_u32 v115, v119, 0, 0xb8
	v_mov_b32_e32 v114, 22
	s_mov_b32 s0, 23
.LBB106_463:                            ; =>This Inner Loop Header: Depth=1
	ds_load_b64 v[124:125], v115
	s_wait_dscnt 0x1
	v_cmp_gt_f32_e32 vcc_lo, 0, v116
	v_cndmask_b32_e64 v126, v116, -v116, vcc_lo
	v_cmp_gt_f32_e32 vcc_lo, 0, v117
	v_cndmask_b32_e64 v128, v117, -v117, vcc_lo
	s_wait_dscnt 0x0
	v_cmp_gt_f32_e32 vcc_lo, 0, v124
	v_cndmask_b32_e64 v127, v124, -v124, vcc_lo
	v_cmp_gt_f32_e32 vcc_lo, 0, v125
	v_cndmask_b32_e64 v129, v125, -v125, vcc_lo
	s_delay_alu instid0(VALU_DEP_1) | instskip(NEXT) | instid1(VALU_DEP_1)
	v_pk_add_f32 v[126:127], v[126:127], v[128:129]
	v_cmp_lt_f32_e32 vcc_lo, v126, v127
	v_dual_add_nc_u32 v115, 8, v115 :: v_dual_cndmask_b32 v117, v117, v125, vcc_lo
	v_cndmask_b32_e32 v116, v116, v124, vcc_lo
	v_cndmask_b32_e64 v114, v114, s0, vcc_lo
	s_add_co_i32 s0, s0, 1
	s_delay_alu instid0(SALU_CYCLE_1)
	s_cmp_lg_u32 s18, s0
	s_cbranch_scc1 .LBB106_463
.LBB106_464:
	s_wait_dscnt 0x0
	v_cmp_eq_f32_e32 vcc_lo, 0, v116
	v_cmp_eq_f32_e64 s0, 0, v117
	s_and_b32 s0, vcc_lo, s0
	s_delay_alu instid0(SALU_CYCLE_1) | instskip(NEXT) | instid1(SALU_CYCLE_1)
	s_and_saveexec_b32 s1, s0
	s_xor_b32 s0, exec_lo, s1
; %bb.465:
	v_cmp_ne_u32_e32 vcc_lo, 0, v120
	v_cndmask_b32_e32 v120, 23, v120, vcc_lo
; %bb.466:
	s_and_not1_saveexec_b32 s0, s0
	s_cbranch_execz .LBB106_472
; %bb.467:
	v_cmp_ngt_f32_e64 s1, |v116|, |v117|
	s_and_saveexec_b32 s12, s1
	s_delay_alu instid0(SALU_CYCLE_1)
	s_xor_b32 s1, exec_lo, s12
	s_cbranch_execz .LBB106_469
; %bb.468:
	v_div_scale_f32 v115, null, v117, v117, v116
	v_div_scale_f32 v125, vcc_lo, v116, v117, v116
	s_delay_alu instid0(VALU_DEP_2) | instskip(SKIP_1) | instid1(TRANS32_DEP_1)
	v_rcp_f32_e32 v123, v115
	v_nop
	v_fma_f32 v124, -v115, v123, 1.0
	s_delay_alu instid0(VALU_DEP_1) | instskip(NEXT) | instid1(VALU_DEP_1)
	v_fmac_f32_e32 v123, v124, v123
	v_mul_f32_e32 v124, v125, v123
	s_delay_alu instid0(VALU_DEP_1) | instskip(NEXT) | instid1(VALU_DEP_1)
	v_fma_f32 v126, -v115, v124, v125
	v_fmac_f32_e32 v124, v126, v123
	s_delay_alu instid0(VALU_DEP_1) | instskip(NEXT) | instid1(VALU_DEP_1)
	v_fma_f32 v115, -v115, v124, v125
	v_div_fmas_f32 v115, v115, v123, v124
	s_delay_alu instid0(VALU_DEP_1) | instskip(NEXT) | instid1(VALU_DEP_1)
	v_div_fixup_f32 v115, v115, v117, v116
	v_fmac_f32_e32 v117, v116, v115
	s_delay_alu instid0(VALU_DEP_1) | instskip(SKIP_1) | instid1(VALU_DEP_2)
	v_div_scale_f32 v116, null, v117, v117, 1.0
	v_div_scale_f32 v125, vcc_lo, 1.0, v117, 1.0
	v_rcp_f32_e32 v123, v116
	v_nop
	s_delay_alu instid0(TRANS32_DEP_1) | instskip(NEXT) | instid1(VALU_DEP_1)
	v_fma_f32 v124, -v116, v123, 1.0
	v_fmac_f32_e32 v123, v124, v123
	s_delay_alu instid0(VALU_DEP_1) | instskip(NEXT) | instid1(VALU_DEP_1)
	v_mul_f32_e32 v124, v125, v123
	v_fma_f32 v126, -v116, v124, v125
	s_delay_alu instid0(VALU_DEP_1) | instskip(NEXT) | instid1(VALU_DEP_1)
	v_fmac_f32_e32 v124, v126, v123
	v_fma_f32 v116, -v116, v124, v125
	s_delay_alu instid0(VALU_DEP_1) | instskip(NEXT) | instid1(VALU_DEP_1)
	v_div_fmas_f32 v116, v116, v123, v124
	v_div_fixup_f32 v117, v116, v117, 1.0
	s_delay_alu instid0(VALU_DEP_1)
	v_mul_f32_e32 v116, v115, v117
	v_xor_b32_e32 v117, 0x80000000, v117
.LBB106_469:
	s_and_not1_saveexec_b32 s1, s1
	s_cbranch_execz .LBB106_471
; %bb.470:
	s_delay_alu instid0(VALU_DEP_1) | instskip(SKIP_1) | instid1(VALU_DEP_2)
	v_div_scale_f32 v115, null, v116, v116, v117
	v_div_scale_f32 v125, vcc_lo, v117, v116, v117
	v_rcp_f32_e32 v123, v115
	v_nop
	s_delay_alu instid0(TRANS32_DEP_1) | instskip(NEXT) | instid1(VALU_DEP_1)
	v_fma_f32 v124, -v115, v123, 1.0
	v_fmac_f32_e32 v123, v124, v123
	s_delay_alu instid0(VALU_DEP_1) | instskip(NEXT) | instid1(VALU_DEP_1)
	v_mul_f32_e32 v124, v125, v123
	v_fma_f32 v126, -v115, v124, v125
	s_delay_alu instid0(VALU_DEP_1) | instskip(NEXT) | instid1(VALU_DEP_1)
	v_fmac_f32_e32 v124, v126, v123
	v_fma_f32 v115, -v115, v124, v125
	s_delay_alu instid0(VALU_DEP_1) | instskip(NEXT) | instid1(VALU_DEP_1)
	v_div_fmas_f32 v115, v115, v123, v124
	v_div_fixup_f32 v115, v115, v116, v117
	s_delay_alu instid0(VALU_DEP_1) | instskip(NEXT) | instid1(VALU_DEP_1)
	v_fmac_f32_e32 v116, v117, v115
	v_div_scale_f32 v117, null, v116, v116, 1.0
	s_delay_alu instid0(VALU_DEP_1) | instskip(SKIP_1) | instid1(TRANS32_DEP_1)
	v_rcp_f32_e32 v123, v117
	v_nop
	v_fma_f32 v124, -v117, v123, 1.0
	s_delay_alu instid0(VALU_DEP_1) | instskip(SKIP_1) | instid1(VALU_DEP_1)
	v_fmac_f32_e32 v123, v124, v123
	v_div_scale_f32 v124, vcc_lo, 1.0, v116, 1.0
	v_mul_f32_e32 v125, v124, v123
	s_delay_alu instid0(VALU_DEP_1) | instskip(NEXT) | instid1(VALU_DEP_1)
	v_fma_f32 v126, -v117, v125, v124
	v_fmac_f32_e32 v125, v126, v123
	s_delay_alu instid0(VALU_DEP_1) | instskip(NEXT) | instid1(VALU_DEP_1)
	v_fma_f32 v117, -v117, v125, v124
	v_div_fmas_f32 v117, v117, v123, v125
	s_delay_alu instid0(VALU_DEP_1) | instskip(NEXT) | instid1(VALU_DEP_1)
	v_div_fixup_f32 v116, v117, v116, 1.0
	v_mul_f32_e64 v117, v115, -v116
.LBB106_471:
	s_or_b32 exec_lo, exec_lo, s1
.LBB106_472:
	s_delay_alu instid0(SALU_CYCLE_1) | instskip(NEXT) | instid1(SALU_CYCLE_1)
	s_or_b32 exec_lo, exec_lo, s0
	s_mov_b32 s0, exec_lo
	v_cmpx_ne_u32_e64 v122, v114
	s_xor_b32 s0, exec_lo, s0
	s_cbranch_execz .LBB106_478
; %bb.473:
	s_mov_b32 s1, exec_lo
	v_cmpx_eq_u32_e32 22, v122
	s_cbranch_execz .LBB106_477
; %bb.474:
	v_cmp_ne_u32_e32 vcc_lo, 22, v114
	s_xor_b32 s12, s16, -1
	s_delay_alu instid0(SALU_CYCLE_1) | instskip(NEXT) | instid1(SALU_CYCLE_1)
	s_and_b32 s13, s12, vcc_lo
	s_and_saveexec_b32 s12, s13
	s_cbranch_execz .LBB106_476
; %bb.475:
	v_ashrrev_i32_e32 v115, 31, v114
	s_delay_alu instid0(VALU_DEP_1)
	v_lshl_add_u64 v[122:123], v[114:115], 2, v[4:5]
	s_clause 0x1
	global_load_b32 v115, v[122:123], off
	global_load_b32 v121, v[4:5], off offset:88
	s_wait_loadcnt 0x1
	global_store_b32 v[4:5], v115, off offset:88
	s_wait_loadcnt 0x0
	global_store_b32 v[122:123], v121, off
.LBB106_476:
	s_wait_xcnt 0x0
	s_or_b32 exec_lo, exec_lo, s12
	v_dual_mov_b32 v122, v114 :: v_dual_mov_b32 v121, v114
.LBB106_477:
	s_or_b32 exec_lo, exec_lo, s1
.LBB106_478:
	s_and_not1_saveexec_b32 s0, s0
	s_cbranch_execz .LBB106_480
; %bb.479:
	v_mov_b32_e32 v122, 22
	ds_store_2addr_b64 v118, v[56:57], v[94:95] offset0:23 offset1:24
	ds_store_2addr_b64 v118, v[52:53], v[54:55] offset0:25 offset1:26
	;; [unrolled: 1-line block ×15, first 2 shown]
	ds_store_b64 v118, v[112:113] offset:424
.LBB106_480:
	s_or_b32 exec_lo, exec_lo, s0
	s_delay_alu instid0(SALU_CYCLE_1)
	s_mov_b32 s0, exec_lo
	s_wait_storecnt_dscnt 0x0
	s_barrier_signal -1
	s_barrier_wait -1
	v_cmpx_lt_i32_e32 22, v122
	s_cbranch_execz .LBB106_482
; %bb.481:
	v_pk_mul_f32 v[124:125], v[116:117], v[60:61] op_sel:[1,1] op_sel_hi:[0,1]
	s_delay_alu instid0(VALU_DEP_1)
	v_pk_fma_f32 v[114:115], v[116:117], v[60:61], v[124:125] op_sel_hi:[1,0,1] neg_lo:[0,0,1] neg_hi:[0,0,1]
	v_pk_fma_f32 v[116:117], v[116:117], v[60:61], v[124:125] op_sel_hi:[1,0,1]
	ds_load_2addr_b64 v[124:127], v118 offset0:23 offset1:24
	v_dual_mov_b32 v60, v114 :: v_dual_mov_b32 v61, v117
	s_wait_dscnt 0x0
	v_pk_mul_f32 v[128:129], v[124:125], v[116:117] op_sel:[0,1]
	s_delay_alu instid0(VALU_DEP_1) | instskip(SKIP_1) | instid1(VALU_DEP_1)
	v_pk_fma_f32 v[130:131], v[124:125], v[114:115], v[128:129] op_sel:[0,0,1] op_sel_hi:[1,1,0] neg_lo:[0,0,1] neg_hi:[0,0,1]
	v_pk_fma_f32 v[124:125], v[124:125], v[114:115], v[128:129] op_sel:[0,0,1] op_sel_hi:[1,0,0]
	v_mov_b32_e32 v131, v125
	v_pk_mul_f32 v[124:125], v[126:127], v[116:117] op_sel:[0,1]
	s_delay_alu instid0(VALU_DEP_1) | instskip(SKIP_1) | instid1(VALU_DEP_1)
	v_pk_fma_f32 v[128:129], v[126:127], v[114:115], v[124:125] op_sel:[0,0,1] op_sel_hi:[1,1,0] neg_lo:[0,0,1] neg_hi:[0,0,1]
	v_pk_fma_f32 v[124:125], v[126:127], v[114:115], v[124:125] op_sel:[0,0,1] op_sel_hi:[1,0,0]
	v_mov_b32_e32 v129, v125
	ds_load_2addr_b64 v[124:127], v118 offset0:25 offset1:26
	v_pk_add_f32 v[56:57], v[56:57], v[130:131] neg_lo:[0,1] neg_hi:[0,1]
	v_pk_add_f32 v[94:95], v[94:95], v[128:129] neg_lo:[0,1] neg_hi:[0,1]
	s_wait_dscnt 0x0
	v_pk_mul_f32 v[128:129], v[124:125], v[116:117] op_sel:[0,1]
	s_delay_alu instid0(VALU_DEP_1) | instskip(SKIP_2) | instid1(VALU_DEP_2)
	v_pk_fma_f32 v[130:131], v[124:125], v[114:115], v[128:129] op_sel:[0,0,1] op_sel_hi:[1,1,0] neg_lo:[0,0,1] neg_hi:[0,0,1]
	v_pk_fma_f32 v[124:125], v[124:125], v[114:115], v[128:129] op_sel:[0,0,1] op_sel_hi:[1,0,0]
	v_dual_mul_f32 v128, v127, v117 :: v_dual_mov_b32 v124, v127
	v_dual_mov_b32 v131, v125 :: v_dual_mov_b32 v125, v126
	s_delay_alu instid0(VALU_DEP_2) | instskip(SKIP_1) | instid1(VALU_DEP_3)
	v_pk_fma_f32 v[128:129], v[126:127], v[60:61], v[128:129] op_sel_hi:[1,1,0] neg_lo:[0,0,1] neg_hi:[0,0,1]
	v_mul_f32_e32 v126, v127, v114
	v_pk_add_f32 v[52:53], v[52:53], v[130:131] neg_lo:[0,1] neg_hi:[0,1]
	s_delay_alu instid0(VALU_DEP_2) | instskip(NEXT) | instid1(VALU_DEP_1)
	v_pk_fma_f32 v[124:125], v[124:125], v[60:61], v[126:127] op_sel_hi:[1,1,0]
	v_mov_b32_e32 v129, v125
	ds_load_2addr_b64 v[124:127], v118 offset0:27 offset1:28
	v_pk_add_f32 v[54:55], v[54:55], v[128:129] neg_lo:[0,1] neg_hi:[0,1]
	s_wait_dscnt 0x0
	v_pk_mul_f32 v[128:129], v[124:125], v[116:117] op_sel:[0,1]
	s_delay_alu instid0(VALU_DEP_1) | instskip(SKIP_1) | instid1(VALU_DEP_1)
	v_pk_fma_f32 v[130:131], v[124:125], v[114:115], v[128:129] op_sel:[0,0,1] op_sel_hi:[1,1,0] neg_lo:[0,0,1] neg_hi:[0,0,1]
	v_pk_fma_f32 v[124:125], v[124:125], v[114:115], v[128:129] op_sel:[0,0,1] op_sel_hi:[1,0,0]
	v_mov_b32_e32 v131, v125
	v_pk_mul_f32 v[124:125], v[126:127], v[116:117] op_sel:[0,1]
	s_delay_alu instid0(VALU_DEP_1) | instskip(SKIP_1) | instid1(VALU_DEP_1)
	v_pk_fma_f32 v[128:129], v[126:127], v[114:115], v[124:125] op_sel:[0,0,1] op_sel_hi:[1,1,0] neg_lo:[0,0,1] neg_hi:[0,0,1]
	v_pk_fma_f32 v[124:125], v[126:127], v[114:115], v[124:125] op_sel:[0,0,1] op_sel_hi:[1,0,0]
	v_mov_b32_e32 v129, v125
	ds_load_2addr_b64 v[124:127], v118 offset0:29 offset1:30
	v_pk_add_f32 v[50:51], v[50:51], v[130:131] neg_lo:[0,1] neg_hi:[0,1]
	v_pk_add_f32 v[90:91], v[90:91], v[128:129] neg_lo:[0,1] neg_hi:[0,1]
	s_wait_dscnt 0x0
	v_pk_mul_f32 v[128:129], v[124:125], v[116:117] op_sel:[0,1]
	s_delay_alu instid0(VALU_DEP_1) | instskip(SKIP_1) | instid1(VALU_DEP_1)
	v_pk_fma_f32 v[130:131], v[124:125], v[114:115], v[128:129] op_sel:[0,0,1] op_sel_hi:[1,1,0] neg_lo:[0,0,1] neg_hi:[0,0,1]
	v_pk_fma_f32 v[124:125], v[124:125], v[114:115], v[128:129] op_sel:[0,0,1] op_sel_hi:[1,0,0]
	v_mov_b32_e32 v131, v125
	v_pk_mul_f32 v[124:125], v[126:127], v[116:117] op_sel:[0,1]
	s_delay_alu instid0(VALU_DEP_1) | instskip(SKIP_1) | instid1(VALU_DEP_1)
	v_pk_fma_f32 v[128:129], v[126:127], v[114:115], v[124:125] op_sel:[0,0,1] op_sel_hi:[1,1,0] neg_lo:[0,0,1] neg_hi:[0,0,1]
	v_pk_fma_f32 v[124:125], v[126:127], v[114:115], v[124:125] op_sel:[0,0,1] op_sel_hi:[1,0,0]
	v_mov_b32_e32 v129, v125
	ds_load_2addr_b64 v[124:127], v118 offset0:31 offset1:32
	v_pk_add_f32 v[38:39], v[38:39], v[130:131] neg_lo:[0,1] neg_hi:[0,1]
	v_pk_add_f32 v[40:41], v[40:41], v[128:129] neg_lo:[0,1] neg_hi:[0,1]
	s_wait_dscnt 0x0
	v_dual_mul_f32 v128, v125, v117 :: v_dual_mul_f32 v130, v125, v114
	s_delay_alu instid0(VALU_DEP_1) | instskip(NEXT) | instid1(VALU_DEP_2)
	v_pk_fma_f32 v[128:129], v[124:125], v[60:61], v[128:129] op_sel_hi:[1,1,0] neg_lo:[0,0,1] neg_hi:[0,0,1]
	v_pk_fma_f32 v[124:125], v[124:125], v[60:61], v[130:131] op_sel:[1,0,0] op_sel_hi:[0,1,0]
	s_delay_alu instid0(VALU_DEP_1) | instskip(SKIP_1) | instid1(VALU_DEP_2)
	v_mov_b32_e32 v129, v125
	v_pk_mul_f32 v[124:125], v[126:127], v[116:117] op_sel:[0,1]
	v_pk_add_f32 v[36:37], v[36:37], v[128:129] neg_lo:[0,1] neg_hi:[0,1]
	s_delay_alu instid0(VALU_DEP_2) | instskip(SKIP_1) | instid1(VALU_DEP_1)
	v_pk_fma_f32 v[128:129], v[126:127], v[114:115], v[124:125] op_sel:[0,0,1] op_sel_hi:[1,1,0] neg_lo:[0,0,1] neg_hi:[0,0,1]
	v_pk_fma_f32 v[124:125], v[126:127], v[114:115], v[124:125] op_sel:[0,0,1] op_sel_hi:[1,0,0]
	v_mov_b32_e32 v129, v125
	ds_load_2addr_b64 v[124:127], v118 offset0:33 offset1:34
	v_pk_add_f32 v[88:89], v[88:89], v[128:129] neg_lo:[0,1] neg_hi:[0,1]
	s_wait_dscnt 0x0
	v_pk_mul_f32 v[128:129], v[124:125], v[116:117] op_sel:[0,1]
	s_delay_alu instid0(VALU_DEP_1) | instskip(SKIP_1) | instid1(VALU_DEP_1)
	v_pk_fma_f32 v[130:131], v[124:125], v[114:115], v[128:129] op_sel:[0,0,1] op_sel_hi:[1,1,0] neg_lo:[0,0,1] neg_hi:[0,0,1]
	v_pk_fma_f32 v[124:125], v[124:125], v[114:115], v[128:129] op_sel:[0,0,1] op_sel_hi:[1,0,0]
	v_mov_b32_e32 v131, v125
	v_pk_mul_f32 v[124:125], v[126:127], v[116:117] op_sel:[0,1]
	s_delay_alu instid0(VALU_DEP_2) | instskip(NEXT) | instid1(VALU_DEP_2)
	v_pk_add_f32 v[32:33], v[32:33], v[130:131] neg_lo:[0,1] neg_hi:[0,1]
	v_pk_fma_f32 v[128:129], v[126:127], v[114:115], v[124:125] op_sel:[0,0,1] op_sel_hi:[1,1,0] neg_lo:[0,0,1] neg_hi:[0,0,1]
	v_pk_fma_f32 v[124:125], v[126:127], v[114:115], v[124:125] op_sel:[0,0,1] op_sel_hi:[1,0,0]
	s_delay_alu instid0(VALU_DEP_1) | instskip(SKIP_4) | instid1(VALU_DEP_1)
	v_mov_b32_e32 v129, v125
	ds_load_2addr_b64 v[124:127], v118 offset0:35 offset1:36
	v_pk_add_f32 v[34:35], v[34:35], v[128:129] neg_lo:[0,1] neg_hi:[0,1]
	s_wait_dscnt 0x0
	v_pk_mul_f32 v[128:129], v[124:125], v[116:117] op_sel:[0,1]
	v_pk_fma_f32 v[130:131], v[124:125], v[114:115], v[128:129] op_sel:[0,0,1] op_sel_hi:[1,1,0] neg_lo:[0,0,1] neg_hi:[0,0,1]
	v_pk_fma_f32 v[124:125], v[124:125], v[114:115], v[128:129] op_sel:[0,0,1] op_sel_hi:[1,0,0]
	v_dual_mul_f32 v128, v127, v117 :: v_dual_mov_b32 v124, v127
	s_delay_alu instid0(VALU_DEP_2) | instskip(NEXT) | instid1(VALU_DEP_2)
	v_dual_mov_b32 v131, v125 :: v_dual_mov_b32 v125, v126
	v_pk_fma_f32 v[128:129], v[126:127], v[60:61], v[128:129] op_sel_hi:[1,1,0] neg_lo:[0,0,1] neg_hi:[0,0,1]
	v_mul_f32_e32 v126, v127, v114
	s_delay_alu instid0(VALU_DEP_3) | instskip(NEXT) | instid1(VALU_DEP_2)
	v_pk_add_f32 v[30:31], v[30:31], v[130:131] neg_lo:[0,1] neg_hi:[0,1]
	v_pk_fma_f32 v[124:125], v[124:125], v[60:61], v[126:127] op_sel_hi:[1,1,0]
	s_delay_alu instid0(VALU_DEP_1) | instskip(SKIP_4) | instid1(VALU_DEP_1)
	v_mov_b32_e32 v129, v125
	ds_load_2addr_b64 v[124:127], v118 offset0:37 offset1:38
	v_pk_add_f32 v[86:87], v[86:87], v[128:129] neg_lo:[0,1] neg_hi:[0,1]
	s_wait_dscnt 0x0
	v_pk_mul_f32 v[128:129], v[124:125], v[116:117] op_sel:[0,1]
	v_pk_fma_f32 v[130:131], v[124:125], v[114:115], v[128:129] op_sel:[0,0,1] op_sel_hi:[1,1,0] neg_lo:[0,0,1] neg_hi:[0,0,1]
	v_pk_fma_f32 v[124:125], v[124:125], v[114:115], v[128:129] op_sel:[0,0,1] op_sel_hi:[1,0,0]
	s_delay_alu instid0(VALU_DEP_1) | instskip(SKIP_1) | instid1(VALU_DEP_1)
	v_mov_b32_e32 v131, v125
	v_pk_mul_f32 v[124:125], v[126:127], v[116:117] op_sel:[0,1]
	v_pk_fma_f32 v[128:129], v[126:127], v[114:115], v[124:125] op_sel:[0,0,1] op_sel_hi:[1,1,0] neg_lo:[0,0,1] neg_hi:[0,0,1]
	v_pk_fma_f32 v[124:125], v[126:127], v[114:115], v[124:125] op_sel:[0,0,1] op_sel_hi:[1,0,0]
	s_delay_alu instid0(VALU_DEP_1)
	v_mov_b32_e32 v129, v125
	ds_load_2addr_b64 v[124:127], v118 offset0:39 offset1:40
	v_pk_add_f32 v[24:25], v[24:25], v[130:131] neg_lo:[0,1] neg_hi:[0,1]
	v_pk_add_f32 v[26:27], v[26:27], v[128:129] neg_lo:[0,1] neg_hi:[0,1]
	s_wait_dscnt 0x0
	v_pk_mul_f32 v[128:129], v[124:125], v[116:117] op_sel:[0,1]
	s_delay_alu instid0(VALU_DEP_1) | instskip(SKIP_1) | instid1(VALU_DEP_1)
	v_pk_fma_f32 v[130:131], v[124:125], v[114:115], v[128:129] op_sel:[0,0,1] op_sel_hi:[1,1,0] neg_lo:[0,0,1] neg_hi:[0,0,1]
	v_pk_fma_f32 v[124:125], v[124:125], v[114:115], v[128:129] op_sel:[0,0,1] op_sel_hi:[1,0,0]
	v_mov_b32_e32 v131, v125
	v_pk_mul_f32 v[124:125], v[126:127], v[116:117] op_sel:[0,1]
	s_delay_alu instid0(VALU_DEP_1) | instskip(SKIP_1) | instid1(VALU_DEP_1)
	v_pk_fma_f32 v[128:129], v[126:127], v[114:115], v[124:125] op_sel:[0,0,1] op_sel_hi:[1,1,0] neg_lo:[0,0,1] neg_hi:[0,0,1]
	v_pk_fma_f32 v[124:125], v[126:127], v[114:115], v[124:125] op_sel:[0,0,1] op_sel_hi:[1,0,0]
	v_mov_b32_e32 v129, v125
	ds_load_2addr_b64 v[124:127], v118 offset0:41 offset1:42
	v_pk_add_f32 v[22:23], v[22:23], v[130:131] neg_lo:[0,1] neg_hi:[0,1]
	v_pk_add_f32 v[84:85], v[84:85], v[128:129] neg_lo:[0,1] neg_hi:[0,1]
	s_wait_dscnt 0x0
	v_dual_mul_f32 v128, v125, v117 :: v_dual_mul_f32 v130, v125, v114
	s_delay_alu instid0(VALU_DEP_1) | instskip(NEXT) | instid1(VALU_DEP_2)
	v_pk_fma_f32 v[128:129], v[124:125], v[60:61], v[128:129] op_sel_hi:[1,1,0] neg_lo:[0,0,1] neg_hi:[0,0,1]
	v_pk_fma_f32 v[124:125], v[124:125], v[60:61], v[130:131] op_sel:[1,0,0] op_sel_hi:[0,1,0]
	s_delay_alu instid0(VALU_DEP_1) | instskip(SKIP_1) | instid1(VALU_DEP_2)
	v_mov_b32_e32 v129, v125
	v_pk_mul_f32 v[124:125], v[126:127], v[116:117] op_sel:[0,1]
	v_pk_add_f32 v[18:19], v[18:19], v[128:129] neg_lo:[0,1] neg_hi:[0,1]
	s_delay_alu instid0(VALU_DEP_2) | instskip(SKIP_1) | instid1(VALU_DEP_1)
	v_pk_fma_f32 v[128:129], v[126:127], v[114:115], v[124:125] op_sel:[0,0,1] op_sel_hi:[1,1,0] neg_lo:[0,0,1] neg_hi:[0,0,1]
	v_pk_fma_f32 v[124:125], v[126:127], v[114:115], v[124:125] op_sel:[0,0,1] op_sel_hi:[1,0,0]
	v_mov_b32_e32 v129, v125
	ds_load_2addr_b64 v[124:127], v118 offset0:43 offset1:44
	v_pk_add_f32 v[20:21], v[20:21], v[128:129] neg_lo:[0,1] neg_hi:[0,1]
	s_wait_dscnt 0x0
	v_pk_mul_f32 v[128:129], v[124:125], v[116:117] op_sel:[0,1]
	s_delay_alu instid0(VALU_DEP_1) | instskip(SKIP_1) | instid1(VALU_DEP_1)
	v_pk_fma_f32 v[130:131], v[124:125], v[114:115], v[128:129] op_sel:[0,0,1] op_sel_hi:[1,1,0] neg_lo:[0,0,1] neg_hi:[0,0,1]
	v_pk_fma_f32 v[124:125], v[124:125], v[114:115], v[128:129] op_sel:[0,0,1] op_sel_hi:[1,0,0]
	v_mov_b32_e32 v131, v125
	v_pk_mul_f32 v[124:125], v[126:127], v[116:117] op_sel:[0,1]
	s_delay_alu instid0(VALU_DEP_2) | instskip(NEXT) | instid1(VALU_DEP_2)
	v_pk_add_f32 v[16:17], v[16:17], v[130:131] neg_lo:[0,1] neg_hi:[0,1]
	v_pk_fma_f32 v[128:129], v[126:127], v[114:115], v[124:125] op_sel:[0,0,1] op_sel_hi:[1,1,0] neg_lo:[0,0,1] neg_hi:[0,0,1]
	v_pk_fma_f32 v[124:125], v[126:127], v[114:115], v[124:125] op_sel:[0,0,1] op_sel_hi:[1,0,0]
	s_delay_alu instid0(VALU_DEP_1) | instskip(SKIP_4) | instid1(VALU_DEP_1)
	v_mov_b32_e32 v129, v125
	ds_load_2addr_b64 v[124:127], v118 offset0:45 offset1:46
	v_pk_add_f32 v[82:83], v[82:83], v[128:129] neg_lo:[0,1] neg_hi:[0,1]
	s_wait_dscnt 0x0
	v_pk_mul_f32 v[128:129], v[124:125], v[116:117] op_sel:[0,1]
	v_pk_fma_f32 v[130:131], v[124:125], v[114:115], v[128:129] op_sel:[0,0,1] op_sel_hi:[1,1,0] neg_lo:[0,0,1] neg_hi:[0,0,1]
	v_pk_fma_f32 v[124:125], v[124:125], v[114:115], v[128:129] op_sel:[0,0,1] op_sel_hi:[1,0,0]
	v_dual_mul_f32 v128, v127, v117 :: v_dual_mov_b32 v124, v127
	s_delay_alu instid0(VALU_DEP_2) | instskip(NEXT) | instid1(VALU_DEP_2)
	v_dual_mov_b32 v131, v125 :: v_dual_mov_b32 v125, v126
	v_pk_fma_f32 v[128:129], v[126:127], v[60:61], v[128:129] op_sel_hi:[1,1,0] neg_lo:[0,0,1] neg_hi:[0,0,1]
	v_mul_f32_e32 v126, v127, v114
	s_delay_alu instid0(VALU_DEP_3) | instskip(NEXT) | instid1(VALU_DEP_2)
	v_pk_add_f32 v[10:11], v[10:11], v[130:131] neg_lo:[0,1] neg_hi:[0,1]
	v_pk_fma_f32 v[124:125], v[124:125], v[60:61], v[126:127] op_sel_hi:[1,1,0]
	s_delay_alu instid0(VALU_DEP_1) | instskip(SKIP_4) | instid1(VALU_DEP_1)
	v_mov_b32_e32 v129, v125
	ds_load_2addr_b64 v[124:127], v118 offset0:47 offset1:48
	v_pk_add_f32 v[12:13], v[12:13], v[128:129] neg_lo:[0,1] neg_hi:[0,1]
	s_wait_dscnt 0x0
	v_pk_mul_f32 v[128:129], v[124:125], v[116:117] op_sel:[0,1]
	v_pk_fma_f32 v[130:131], v[124:125], v[114:115], v[128:129] op_sel:[0,0,1] op_sel_hi:[1,1,0] neg_lo:[0,0,1] neg_hi:[0,0,1]
	v_pk_fma_f32 v[124:125], v[124:125], v[114:115], v[128:129] op_sel:[0,0,1] op_sel_hi:[1,0,0]
	s_delay_alu instid0(VALU_DEP_1) | instskip(SKIP_1) | instid1(VALU_DEP_1)
	v_mov_b32_e32 v131, v125
	v_pk_mul_f32 v[124:125], v[126:127], v[116:117] op_sel:[0,1]
	v_pk_fma_f32 v[128:129], v[126:127], v[114:115], v[124:125] op_sel:[0,0,1] op_sel_hi:[1,1,0] neg_lo:[0,0,1] neg_hi:[0,0,1]
	v_pk_fma_f32 v[124:125], v[126:127], v[114:115], v[124:125] op_sel:[0,0,1] op_sel_hi:[1,0,0]
	s_delay_alu instid0(VALU_DEP_1)
	v_mov_b32_e32 v129, v125
	ds_load_2addr_b64 v[124:127], v118 offset0:49 offset1:50
	v_pk_add_f32 v[8:9], v[8:9], v[130:131] neg_lo:[0,1] neg_hi:[0,1]
	v_pk_add_f32 v[66:67], v[66:67], v[128:129] neg_lo:[0,1] neg_hi:[0,1]
	s_wait_dscnt 0x0
	v_pk_mul_f32 v[128:129], v[124:125], v[116:117] op_sel:[0,1]
	s_delay_alu instid0(VALU_DEP_1) | instskip(SKIP_1) | instid1(VALU_DEP_1)
	v_pk_fma_f32 v[130:131], v[124:125], v[114:115], v[128:129] op_sel:[0,0,1] op_sel_hi:[1,1,0] neg_lo:[0,0,1] neg_hi:[0,0,1]
	v_pk_fma_f32 v[124:125], v[124:125], v[114:115], v[128:129] op_sel:[0,0,1] op_sel_hi:[1,0,0]
	v_mov_b32_e32 v131, v125
	v_pk_mul_f32 v[124:125], v[126:127], v[116:117] op_sel:[0,1]
	s_delay_alu instid0(VALU_DEP_1) | instskip(SKIP_1) | instid1(VALU_DEP_1)
	v_pk_fma_f32 v[128:129], v[126:127], v[114:115], v[124:125] op_sel:[0,0,1] op_sel_hi:[1,1,0] neg_lo:[0,0,1] neg_hi:[0,0,1]
	v_pk_fma_f32 v[124:125], v[126:127], v[114:115], v[124:125] op_sel:[0,0,1] op_sel_hi:[1,0,0]
	v_mov_b32_e32 v129, v125
	ds_load_2addr_b64 v[124:127], v118 offset0:51 offset1:52
	v_pk_add_f32 v[6:7], v[6:7], v[130:131] neg_lo:[0,1] neg_hi:[0,1]
	v_pk_add_f32 v[46:47], v[46:47], v[128:129] neg_lo:[0,1] neg_hi:[0,1]
	s_wait_dscnt 0x0
	v_dual_mul_f32 v128, v125, v117 :: v_dual_mul_f32 v130, v125, v114
	s_delay_alu instid0(VALU_DEP_1) | instskip(NEXT) | instid1(VALU_DEP_2)
	v_pk_fma_f32 v[128:129], v[124:125], v[60:61], v[128:129] op_sel_hi:[1,1,0] neg_lo:[0,0,1] neg_hi:[0,0,1]
	v_pk_fma_f32 v[124:125], v[124:125], v[60:61], v[130:131] op_sel:[1,0,0] op_sel_hi:[0,1,0]
	s_delay_alu instid0(VALU_DEP_1) | instskip(SKIP_1) | instid1(VALU_DEP_2)
	v_mov_b32_e32 v129, v125
	v_pk_mul_f32 v[124:125], v[126:127], v[116:117] op_sel:[0,1]
	v_pk_add_f32 v[28:29], v[28:29], v[128:129] neg_lo:[0,1] neg_hi:[0,1]
	s_delay_alu instid0(VALU_DEP_2) | instskip(SKIP_1) | instid1(VALU_DEP_1)
	v_pk_fma_f32 v[128:129], v[126:127], v[114:115], v[124:125] op_sel:[0,0,1] op_sel_hi:[1,1,0] neg_lo:[0,0,1] neg_hi:[0,0,1]
	v_pk_fma_f32 v[124:125], v[126:127], v[114:115], v[124:125] op_sel:[0,0,1] op_sel_hi:[1,0,0]
	v_mov_b32_e32 v129, v125
	ds_load_b64 v[124:125], v118 offset:424
	v_pk_add_f32 v[14:15], v[14:15], v[128:129] neg_lo:[0,1] neg_hi:[0,1]
	s_wait_dscnt 0x0
	v_pk_mul_f32 v[116:117], v[124:125], v[116:117] op_sel:[0,1]
	s_delay_alu instid0(VALU_DEP_1) | instskip(SKIP_1) | instid1(VALU_DEP_1)
	v_pk_fma_f32 v[126:127], v[124:125], v[114:115], v[116:117] op_sel:[0,0,1] op_sel_hi:[1,1,0] neg_lo:[0,0,1] neg_hi:[0,0,1]
	v_pk_fma_f32 v[114:115], v[124:125], v[114:115], v[116:117] op_sel:[0,0,1] op_sel_hi:[1,0,0]
	v_mov_b32_e32 v127, v115
	s_delay_alu instid0(VALU_DEP_1)
	v_pk_add_f32 v[112:113], v[112:113], v[126:127] neg_lo:[0,1] neg_hi:[0,1]
.LBB106_482:
	s_or_b32 exec_lo, exec_lo, s0
	v_lshl_add_u32 v114, v122, 3, v118
	s_barrier_signal -1
	s_barrier_wait -1
	ds_store_b64 v114, v[56:57]
	s_wait_dscnt 0x0
	s_barrier_signal -1
	s_barrier_wait -1
	ds_load_b64 v[116:117], v118 offset:184
	v_mov_b32_e32 v114, 23
	s_cmp_lt_i32 s18, 25
	s_cbranch_scc1 .LBB106_485
; %bb.483:
	v_add3_u32 v115, v119, 0, 0xc0
	v_mov_b32_e32 v114, 23
	s_mov_b32 s0, 24
.LBB106_484:                            ; =>This Inner Loop Header: Depth=1
	ds_load_b64 v[124:125], v115
	s_wait_dscnt 0x1
	v_cmp_gt_f32_e32 vcc_lo, 0, v116
	v_cndmask_b32_e64 v126, v116, -v116, vcc_lo
	v_cmp_gt_f32_e32 vcc_lo, 0, v117
	v_cndmask_b32_e64 v128, v117, -v117, vcc_lo
	s_wait_dscnt 0x0
	v_cmp_gt_f32_e32 vcc_lo, 0, v124
	v_cndmask_b32_e64 v127, v124, -v124, vcc_lo
	v_cmp_gt_f32_e32 vcc_lo, 0, v125
	v_cndmask_b32_e64 v129, v125, -v125, vcc_lo
	s_delay_alu instid0(VALU_DEP_1) | instskip(NEXT) | instid1(VALU_DEP_1)
	v_pk_add_f32 v[126:127], v[126:127], v[128:129]
	v_cmp_lt_f32_e32 vcc_lo, v126, v127
	v_dual_add_nc_u32 v115, 8, v115 :: v_dual_cndmask_b32 v117, v117, v125, vcc_lo
	v_cndmask_b32_e32 v116, v116, v124, vcc_lo
	v_cndmask_b32_e64 v114, v114, s0, vcc_lo
	s_add_co_i32 s0, s0, 1
	s_delay_alu instid0(SALU_CYCLE_1)
	s_cmp_lg_u32 s18, s0
	s_cbranch_scc1 .LBB106_484
.LBB106_485:
	s_wait_dscnt 0x0
	v_cmp_eq_f32_e32 vcc_lo, 0, v116
	v_cmp_eq_f32_e64 s0, 0, v117
	s_and_b32 s0, vcc_lo, s0
	s_delay_alu instid0(SALU_CYCLE_1) | instskip(NEXT) | instid1(SALU_CYCLE_1)
	s_and_saveexec_b32 s1, s0
	s_xor_b32 s0, exec_lo, s1
; %bb.486:
	v_cmp_ne_u32_e32 vcc_lo, 0, v120
	v_cndmask_b32_e32 v120, 24, v120, vcc_lo
; %bb.487:
	s_and_not1_saveexec_b32 s0, s0
	s_cbranch_execz .LBB106_493
; %bb.488:
	v_cmp_ngt_f32_e64 s1, |v116|, |v117|
	s_and_saveexec_b32 s12, s1
	s_delay_alu instid0(SALU_CYCLE_1)
	s_xor_b32 s1, exec_lo, s12
	s_cbranch_execz .LBB106_490
; %bb.489:
	v_div_scale_f32 v115, null, v117, v117, v116
	v_div_scale_f32 v125, vcc_lo, v116, v117, v116
	s_delay_alu instid0(VALU_DEP_2) | instskip(SKIP_1) | instid1(TRANS32_DEP_1)
	v_rcp_f32_e32 v123, v115
	v_nop
	v_fma_f32 v124, -v115, v123, 1.0
	s_delay_alu instid0(VALU_DEP_1) | instskip(NEXT) | instid1(VALU_DEP_1)
	v_fmac_f32_e32 v123, v124, v123
	v_mul_f32_e32 v124, v125, v123
	s_delay_alu instid0(VALU_DEP_1) | instskip(NEXT) | instid1(VALU_DEP_1)
	v_fma_f32 v126, -v115, v124, v125
	v_fmac_f32_e32 v124, v126, v123
	s_delay_alu instid0(VALU_DEP_1) | instskip(NEXT) | instid1(VALU_DEP_1)
	v_fma_f32 v115, -v115, v124, v125
	v_div_fmas_f32 v115, v115, v123, v124
	s_delay_alu instid0(VALU_DEP_1) | instskip(NEXT) | instid1(VALU_DEP_1)
	v_div_fixup_f32 v115, v115, v117, v116
	v_fmac_f32_e32 v117, v116, v115
	s_delay_alu instid0(VALU_DEP_1) | instskip(SKIP_1) | instid1(VALU_DEP_2)
	v_div_scale_f32 v116, null, v117, v117, 1.0
	v_div_scale_f32 v125, vcc_lo, 1.0, v117, 1.0
	v_rcp_f32_e32 v123, v116
	v_nop
	s_delay_alu instid0(TRANS32_DEP_1) | instskip(NEXT) | instid1(VALU_DEP_1)
	v_fma_f32 v124, -v116, v123, 1.0
	v_fmac_f32_e32 v123, v124, v123
	s_delay_alu instid0(VALU_DEP_1) | instskip(NEXT) | instid1(VALU_DEP_1)
	v_mul_f32_e32 v124, v125, v123
	v_fma_f32 v126, -v116, v124, v125
	s_delay_alu instid0(VALU_DEP_1) | instskip(NEXT) | instid1(VALU_DEP_1)
	v_fmac_f32_e32 v124, v126, v123
	v_fma_f32 v116, -v116, v124, v125
	s_delay_alu instid0(VALU_DEP_1) | instskip(NEXT) | instid1(VALU_DEP_1)
	v_div_fmas_f32 v116, v116, v123, v124
	v_div_fixup_f32 v117, v116, v117, 1.0
	s_delay_alu instid0(VALU_DEP_1)
	v_mul_f32_e32 v116, v115, v117
	v_xor_b32_e32 v117, 0x80000000, v117
.LBB106_490:
	s_and_not1_saveexec_b32 s1, s1
	s_cbranch_execz .LBB106_492
; %bb.491:
	s_delay_alu instid0(VALU_DEP_1) | instskip(SKIP_1) | instid1(VALU_DEP_2)
	v_div_scale_f32 v115, null, v116, v116, v117
	v_div_scale_f32 v125, vcc_lo, v117, v116, v117
	v_rcp_f32_e32 v123, v115
	v_nop
	s_delay_alu instid0(TRANS32_DEP_1) | instskip(NEXT) | instid1(VALU_DEP_1)
	v_fma_f32 v124, -v115, v123, 1.0
	v_fmac_f32_e32 v123, v124, v123
	s_delay_alu instid0(VALU_DEP_1) | instskip(NEXT) | instid1(VALU_DEP_1)
	v_mul_f32_e32 v124, v125, v123
	v_fma_f32 v126, -v115, v124, v125
	s_delay_alu instid0(VALU_DEP_1) | instskip(NEXT) | instid1(VALU_DEP_1)
	v_fmac_f32_e32 v124, v126, v123
	v_fma_f32 v115, -v115, v124, v125
	s_delay_alu instid0(VALU_DEP_1) | instskip(NEXT) | instid1(VALU_DEP_1)
	v_div_fmas_f32 v115, v115, v123, v124
	v_div_fixup_f32 v115, v115, v116, v117
	s_delay_alu instid0(VALU_DEP_1) | instskip(NEXT) | instid1(VALU_DEP_1)
	v_fmac_f32_e32 v116, v117, v115
	v_div_scale_f32 v117, null, v116, v116, 1.0
	s_delay_alu instid0(VALU_DEP_1) | instskip(SKIP_1) | instid1(TRANS32_DEP_1)
	v_rcp_f32_e32 v123, v117
	v_nop
	v_fma_f32 v124, -v117, v123, 1.0
	s_delay_alu instid0(VALU_DEP_1) | instskip(SKIP_1) | instid1(VALU_DEP_1)
	v_fmac_f32_e32 v123, v124, v123
	v_div_scale_f32 v124, vcc_lo, 1.0, v116, 1.0
	v_mul_f32_e32 v125, v124, v123
	s_delay_alu instid0(VALU_DEP_1) | instskip(NEXT) | instid1(VALU_DEP_1)
	v_fma_f32 v126, -v117, v125, v124
	v_fmac_f32_e32 v125, v126, v123
	s_delay_alu instid0(VALU_DEP_1) | instskip(NEXT) | instid1(VALU_DEP_1)
	v_fma_f32 v117, -v117, v125, v124
	v_div_fmas_f32 v117, v117, v123, v125
	s_delay_alu instid0(VALU_DEP_1) | instskip(NEXT) | instid1(VALU_DEP_1)
	v_div_fixup_f32 v116, v117, v116, 1.0
	v_mul_f32_e64 v117, v115, -v116
.LBB106_492:
	s_or_b32 exec_lo, exec_lo, s1
.LBB106_493:
	s_delay_alu instid0(SALU_CYCLE_1) | instskip(NEXT) | instid1(SALU_CYCLE_1)
	s_or_b32 exec_lo, exec_lo, s0
	s_mov_b32 s0, exec_lo
	v_cmpx_ne_u32_e64 v122, v114
	s_xor_b32 s0, exec_lo, s0
	s_cbranch_execz .LBB106_499
; %bb.494:
	s_mov_b32 s1, exec_lo
	v_cmpx_eq_u32_e32 23, v122
	s_cbranch_execz .LBB106_498
; %bb.495:
	v_cmp_ne_u32_e32 vcc_lo, 23, v114
	s_xor_b32 s12, s16, -1
	s_delay_alu instid0(SALU_CYCLE_1) | instskip(NEXT) | instid1(SALU_CYCLE_1)
	s_and_b32 s13, s12, vcc_lo
	s_and_saveexec_b32 s12, s13
	s_cbranch_execz .LBB106_497
; %bb.496:
	v_ashrrev_i32_e32 v115, 31, v114
	s_delay_alu instid0(VALU_DEP_1)
	v_lshl_add_u64 v[122:123], v[114:115], 2, v[4:5]
	s_clause 0x1
	global_load_b32 v115, v[122:123], off
	global_load_b32 v121, v[4:5], off offset:92
	s_wait_loadcnt 0x1
	global_store_b32 v[4:5], v115, off offset:92
	s_wait_loadcnt 0x0
	global_store_b32 v[122:123], v121, off
.LBB106_497:
	s_wait_xcnt 0x0
	s_or_b32 exec_lo, exec_lo, s12
	v_dual_mov_b32 v122, v114 :: v_dual_mov_b32 v121, v114
.LBB106_498:
	s_or_b32 exec_lo, exec_lo, s1
.LBB106_499:
	s_and_not1_saveexec_b32 s0, s0
	s_cbranch_execz .LBB106_501
; %bb.500:
	v_dual_mov_b32 v114, v94 :: v_dual_mov_b32 v115, v95
	v_dual_mov_b32 v122, v52 :: v_dual_mov_b32 v123, v53
	;; [unrolled: 1-line block ×8, first 2 shown]
	ds_store_2addr_b64 v118, v[114:115], v[122:123] offset0:24 offset1:25
	ds_store_2addr_b64 v118, v[124:125], v[126:127] offset0:26 offset1:27
	ds_store_2addr_b64 v118, v[128:129], v[130:131] offset0:28 offset1:29
	ds_store_2addr_b64 v118, v[132:133], v[134:135] offset0:30 offset1:31
	v_dual_mov_b32 v114, v88 :: v_dual_mov_b32 v115, v89
	v_dual_mov_b32 v122, v32 :: v_dual_mov_b32 v123, v33
	;; [unrolled: 1-line block ×12, first 2 shown]
	ds_store_2addr_b64 v118, v[114:115], v[122:123] offset0:32 offset1:33
	ds_store_2addr_b64 v118, v[124:125], v[126:127] offset0:34 offset1:35
	;; [unrolled: 1-line block ×6, first 2 shown]
	v_dual_mov_b32 v114, v82 :: v_dual_mov_b32 v115, v83
	v_dual_mov_b32 v124, v10 :: v_dual_mov_b32 v125, v11
	;; [unrolled: 1-line block ×9, first 2 shown]
	v_mov_b32_e32 v139, v15
	ds_store_2addr_b64 v118, v[114:115], v[124:125] offset0:44 offset1:45
	ds_store_2addr_b64 v118, v[126:127], v[128:129] offset0:46 offset1:47
	ds_store_2addr_b64 v118, v[130:131], v[132:133] offset0:48 offset1:49
	ds_store_2addr_b64 v118, v[134:135], v[136:137] offset0:50 offset1:51
	ds_store_2addr_b64 v118, v[138:139], v[112:113] offset0:52 offset1:53
.LBB106_501:
	s_or_b32 exec_lo, exec_lo, s0
	s_delay_alu instid0(SALU_CYCLE_1)
	s_mov_b32 s0, exec_lo
	s_wait_storecnt_dscnt 0x0
	s_barrier_signal -1
	s_barrier_wait -1
	v_cmpx_lt_i32_e32 23, v122
	s_cbranch_execz .LBB106_503
; %bb.502:
	v_pk_mul_f32 v[124:125], v[116:117], v[56:57] op_sel:[1,1] op_sel_hi:[0,1]
	s_delay_alu instid0(VALU_DEP_1)
	v_pk_fma_f32 v[114:115], v[116:117], v[56:57], v[124:125] op_sel_hi:[1,0,1] neg_lo:[0,0,1] neg_hi:[0,0,1]
	v_pk_fma_f32 v[116:117], v[116:117], v[56:57], v[124:125] op_sel_hi:[1,0,1]
	ds_load_2addr_b64 v[124:127], v118 offset0:24 offset1:25
	v_dual_mov_b32 v56, v114 :: v_dual_mov_b32 v57, v117
	s_wait_dscnt 0x0
	v_pk_mul_f32 v[128:129], v[124:125], v[116:117] op_sel:[0,1]
	s_delay_alu instid0(VALU_DEP_1) | instskip(SKIP_1) | instid1(VALU_DEP_1)
	v_pk_fma_f32 v[130:131], v[124:125], v[114:115], v[128:129] op_sel:[0,0,1] op_sel_hi:[1,1,0] neg_lo:[0,0,1] neg_hi:[0,0,1]
	v_pk_fma_f32 v[124:125], v[124:125], v[114:115], v[128:129] op_sel:[0,0,1] op_sel_hi:[1,0,0]
	v_mov_b32_e32 v131, v125
	v_pk_mul_f32 v[124:125], v[126:127], v[116:117] op_sel:[0,1]
	s_delay_alu instid0(VALU_DEP_1) | instskip(SKIP_1) | instid1(VALU_DEP_1)
	v_pk_fma_f32 v[128:129], v[126:127], v[114:115], v[124:125] op_sel:[0,0,1] op_sel_hi:[1,1,0] neg_lo:[0,0,1] neg_hi:[0,0,1]
	v_pk_fma_f32 v[124:125], v[126:127], v[114:115], v[124:125] op_sel:[0,0,1] op_sel_hi:[1,0,0]
	v_mov_b32_e32 v129, v125
	ds_load_2addr_b64 v[124:127], v118 offset0:26 offset1:27
	v_pk_add_f32 v[94:95], v[94:95], v[130:131] neg_lo:[0,1] neg_hi:[0,1]
	v_pk_add_f32 v[52:53], v[52:53], v[128:129] neg_lo:[0,1] neg_hi:[0,1]
	s_wait_dscnt 0x0
	v_pk_mul_f32 v[128:129], v[124:125], v[116:117] op_sel:[0,1]
	s_delay_alu instid0(VALU_DEP_1) | instskip(SKIP_2) | instid1(VALU_DEP_2)
	v_pk_fma_f32 v[130:131], v[124:125], v[114:115], v[128:129] op_sel:[0,0,1] op_sel_hi:[1,1,0] neg_lo:[0,0,1] neg_hi:[0,0,1]
	v_pk_fma_f32 v[124:125], v[124:125], v[114:115], v[128:129] op_sel:[0,0,1] op_sel_hi:[1,0,0]
	v_dual_mul_f32 v128, v127, v117 :: v_dual_mov_b32 v124, v127
	v_dual_mov_b32 v131, v125 :: v_dual_mov_b32 v125, v126
	s_delay_alu instid0(VALU_DEP_2) | instskip(SKIP_1) | instid1(VALU_DEP_3)
	v_pk_fma_f32 v[128:129], v[126:127], v[56:57], v[128:129] op_sel_hi:[1,1,0] neg_lo:[0,0,1] neg_hi:[0,0,1]
	v_mul_f32_e32 v126, v127, v114
	v_pk_add_f32 v[54:55], v[54:55], v[130:131] neg_lo:[0,1] neg_hi:[0,1]
	s_delay_alu instid0(VALU_DEP_2) | instskip(NEXT) | instid1(VALU_DEP_1)
	v_pk_fma_f32 v[124:125], v[124:125], v[56:57], v[126:127] op_sel_hi:[1,1,0]
	v_mov_b32_e32 v129, v125
	ds_load_2addr_b64 v[124:127], v118 offset0:28 offset1:29
	v_pk_add_f32 v[50:51], v[50:51], v[128:129] neg_lo:[0,1] neg_hi:[0,1]
	s_wait_dscnt 0x0
	v_pk_mul_f32 v[128:129], v[124:125], v[116:117] op_sel:[0,1]
	s_delay_alu instid0(VALU_DEP_1) | instskip(SKIP_1) | instid1(VALU_DEP_1)
	v_pk_fma_f32 v[130:131], v[124:125], v[114:115], v[128:129] op_sel:[0,0,1] op_sel_hi:[1,1,0] neg_lo:[0,0,1] neg_hi:[0,0,1]
	v_pk_fma_f32 v[124:125], v[124:125], v[114:115], v[128:129] op_sel:[0,0,1] op_sel_hi:[1,0,0]
	v_mov_b32_e32 v131, v125
	v_pk_mul_f32 v[124:125], v[126:127], v[116:117] op_sel:[0,1]
	s_delay_alu instid0(VALU_DEP_1) | instskip(SKIP_1) | instid1(VALU_DEP_1)
	v_pk_fma_f32 v[128:129], v[126:127], v[114:115], v[124:125] op_sel:[0,0,1] op_sel_hi:[1,1,0] neg_lo:[0,0,1] neg_hi:[0,0,1]
	v_pk_fma_f32 v[124:125], v[126:127], v[114:115], v[124:125] op_sel:[0,0,1] op_sel_hi:[1,0,0]
	v_mov_b32_e32 v129, v125
	ds_load_2addr_b64 v[124:127], v118 offset0:30 offset1:31
	v_pk_add_f32 v[90:91], v[90:91], v[130:131] neg_lo:[0,1] neg_hi:[0,1]
	v_pk_add_f32 v[38:39], v[38:39], v[128:129] neg_lo:[0,1] neg_hi:[0,1]
	s_wait_dscnt 0x0
	v_pk_mul_f32 v[128:129], v[124:125], v[116:117] op_sel:[0,1]
	s_delay_alu instid0(VALU_DEP_1) | instskip(SKIP_1) | instid1(VALU_DEP_1)
	v_pk_fma_f32 v[130:131], v[124:125], v[114:115], v[128:129] op_sel:[0,0,1] op_sel_hi:[1,1,0] neg_lo:[0,0,1] neg_hi:[0,0,1]
	v_pk_fma_f32 v[124:125], v[124:125], v[114:115], v[128:129] op_sel:[0,0,1] op_sel_hi:[1,0,0]
	v_mov_b32_e32 v131, v125
	v_pk_mul_f32 v[124:125], v[126:127], v[116:117] op_sel:[0,1]
	s_delay_alu instid0(VALU_DEP_1) | instskip(SKIP_1) | instid1(VALU_DEP_1)
	v_pk_fma_f32 v[128:129], v[126:127], v[114:115], v[124:125] op_sel:[0,0,1] op_sel_hi:[1,1,0] neg_lo:[0,0,1] neg_hi:[0,0,1]
	v_pk_fma_f32 v[124:125], v[126:127], v[114:115], v[124:125] op_sel:[0,0,1] op_sel_hi:[1,0,0]
	v_mov_b32_e32 v129, v125
	ds_load_2addr_b64 v[124:127], v118 offset0:32 offset1:33
	v_pk_add_f32 v[40:41], v[40:41], v[130:131] neg_lo:[0,1] neg_hi:[0,1]
	v_pk_add_f32 v[36:37], v[36:37], v[128:129] neg_lo:[0,1] neg_hi:[0,1]
	s_wait_dscnt 0x0
	v_dual_mul_f32 v128, v125, v117 :: v_dual_mul_f32 v130, v125, v114
	s_delay_alu instid0(VALU_DEP_1) | instskip(NEXT) | instid1(VALU_DEP_2)
	v_pk_fma_f32 v[128:129], v[124:125], v[56:57], v[128:129] op_sel_hi:[1,1,0] neg_lo:[0,0,1] neg_hi:[0,0,1]
	v_pk_fma_f32 v[124:125], v[124:125], v[56:57], v[130:131] op_sel:[1,0,0] op_sel_hi:[0,1,0]
	s_delay_alu instid0(VALU_DEP_1) | instskip(SKIP_1) | instid1(VALU_DEP_2)
	v_mov_b32_e32 v129, v125
	v_pk_mul_f32 v[124:125], v[126:127], v[116:117] op_sel:[0,1]
	v_pk_add_f32 v[88:89], v[88:89], v[128:129] neg_lo:[0,1] neg_hi:[0,1]
	s_delay_alu instid0(VALU_DEP_2) | instskip(SKIP_1) | instid1(VALU_DEP_1)
	v_pk_fma_f32 v[128:129], v[126:127], v[114:115], v[124:125] op_sel:[0,0,1] op_sel_hi:[1,1,0] neg_lo:[0,0,1] neg_hi:[0,0,1]
	v_pk_fma_f32 v[124:125], v[126:127], v[114:115], v[124:125] op_sel:[0,0,1] op_sel_hi:[1,0,0]
	v_mov_b32_e32 v129, v125
	ds_load_2addr_b64 v[124:127], v118 offset0:34 offset1:35
	v_pk_add_f32 v[32:33], v[32:33], v[128:129] neg_lo:[0,1] neg_hi:[0,1]
	s_wait_dscnt 0x0
	v_pk_mul_f32 v[128:129], v[124:125], v[116:117] op_sel:[0,1]
	s_delay_alu instid0(VALU_DEP_1) | instskip(SKIP_1) | instid1(VALU_DEP_1)
	v_pk_fma_f32 v[130:131], v[124:125], v[114:115], v[128:129] op_sel:[0,0,1] op_sel_hi:[1,1,0] neg_lo:[0,0,1] neg_hi:[0,0,1]
	v_pk_fma_f32 v[124:125], v[124:125], v[114:115], v[128:129] op_sel:[0,0,1] op_sel_hi:[1,0,0]
	v_mov_b32_e32 v131, v125
	v_pk_mul_f32 v[124:125], v[126:127], v[116:117] op_sel:[0,1]
	s_delay_alu instid0(VALU_DEP_2) | instskip(NEXT) | instid1(VALU_DEP_2)
	v_pk_add_f32 v[34:35], v[34:35], v[130:131] neg_lo:[0,1] neg_hi:[0,1]
	v_pk_fma_f32 v[128:129], v[126:127], v[114:115], v[124:125] op_sel:[0,0,1] op_sel_hi:[1,1,0] neg_lo:[0,0,1] neg_hi:[0,0,1]
	v_pk_fma_f32 v[124:125], v[126:127], v[114:115], v[124:125] op_sel:[0,0,1] op_sel_hi:[1,0,0]
	s_delay_alu instid0(VALU_DEP_1) | instskip(SKIP_4) | instid1(VALU_DEP_1)
	v_mov_b32_e32 v129, v125
	ds_load_2addr_b64 v[124:127], v118 offset0:36 offset1:37
	v_pk_add_f32 v[30:31], v[30:31], v[128:129] neg_lo:[0,1] neg_hi:[0,1]
	s_wait_dscnt 0x0
	v_pk_mul_f32 v[128:129], v[124:125], v[116:117] op_sel:[0,1]
	v_pk_fma_f32 v[130:131], v[124:125], v[114:115], v[128:129] op_sel:[0,0,1] op_sel_hi:[1,1,0] neg_lo:[0,0,1] neg_hi:[0,0,1]
	v_pk_fma_f32 v[124:125], v[124:125], v[114:115], v[128:129] op_sel:[0,0,1] op_sel_hi:[1,0,0]
	v_dual_mul_f32 v128, v127, v117 :: v_dual_mov_b32 v124, v127
	s_delay_alu instid0(VALU_DEP_2) | instskip(NEXT) | instid1(VALU_DEP_2)
	v_dual_mov_b32 v131, v125 :: v_dual_mov_b32 v125, v126
	v_pk_fma_f32 v[128:129], v[126:127], v[56:57], v[128:129] op_sel_hi:[1,1,0] neg_lo:[0,0,1] neg_hi:[0,0,1]
	v_mul_f32_e32 v126, v127, v114
	s_delay_alu instid0(VALU_DEP_3) | instskip(NEXT) | instid1(VALU_DEP_2)
	v_pk_add_f32 v[86:87], v[86:87], v[130:131] neg_lo:[0,1] neg_hi:[0,1]
	v_pk_fma_f32 v[124:125], v[124:125], v[56:57], v[126:127] op_sel_hi:[1,1,0]
	s_delay_alu instid0(VALU_DEP_1) | instskip(SKIP_4) | instid1(VALU_DEP_1)
	v_mov_b32_e32 v129, v125
	ds_load_2addr_b64 v[124:127], v118 offset0:38 offset1:39
	v_pk_add_f32 v[24:25], v[24:25], v[128:129] neg_lo:[0,1] neg_hi:[0,1]
	s_wait_dscnt 0x0
	v_pk_mul_f32 v[128:129], v[124:125], v[116:117] op_sel:[0,1]
	v_pk_fma_f32 v[130:131], v[124:125], v[114:115], v[128:129] op_sel:[0,0,1] op_sel_hi:[1,1,0] neg_lo:[0,0,1] neg_hi:[0,0,1]
	v_pk_fma_f32 v[124:125], v[124:125], v[114:115], v[128:129] op_sel:[0,0,1] op_sel_hi:[1,0,0]
	s_delay_alu instid0(VALU_DEP_1) | instskip(SKIP_1) | instid1(VALU_DEP_1)
	v_mov_b32_e32 v131, v125
	v_pk_mul_f32 v[124:125], v[126:127], v[116:117] op_sel:[0,1]
	v_pk_fma_f32 v[128:129], v[126:127], v[114:115], v[124:125] op_sel:[0,0,1] op_sel_hi:[1,1,0] neg_lo:[0,0,1] neg_hi:[0,0,1]
	v_pk_fma_f32 v[124:125], v[126:127], v[114:115], v[124:125] op_sel:[0,0,1] op_sel_hi:[1,0,0]
	s_delay_alu instid0(VALU_DEP_1)
	v_mov_b32_e32 v129, v125
	ds_load_2addr_b64 v[124:127], v118 offset0:40 offset1:41
	v_pk_add_f32 v[26:27], v[26:27], v[130:131] neg_lo:[0,1] neg_hi:[0,1]
	v_pk_add_f32 v[22:23], v[22:23], v[128:129] neg_lo:[0,1] neg_hi:[0,1]
	s_wait_dscnt 0x0
	v_pk_mul_f32 v[128:129], v[124:125], v[116:117] op_sel:[0,1]
	s_delay_alu instid0(VALU_DEP_1) | instskip(SKIP_1) | instid1(VALU_DEP_1)
	v_pk_fma_f32 v[130:131], v[124:125], v[114:115], v[128:129] op_sel:[0,0,1] op_sel_hi:[1,1,0] neg_lo:[0,0,1] neg_hi:[0,0,1]
	v_pk_fma_f32 v[124:125], v[124:125], v[114:115], v[128:129] op_sel:[0,0,1] op_sel_hi:[1,0,0]
	v_mov_b32_e32 v131, v125
	v_pk_mul_f32 v[124:125], v[126:127], v[116:117] op_sel:[0,1]
	s_delay_alu instid0(VALU_DEP_1) | instskip(SKIP_1) | instid1(VALU_DEP_1)
	v_pk_fma_f32 v[128:129], v[126:127], v[114:115], v[124:125] op_sel:[0,0,1] op_sel_hi:[1,1,0] neg_lo:[0,0,1] neg_hi:[0,0,1]
	v_pk_fma_f32 v[124:125], v[126:127], v[114:115], v[124:125] op_sel:[0,0,1] op_sel_hi:[1,0,0]
	v_mov_b32_e32 v129, v125
	ds_load_2addr_b64 v[124:127], v118 offset0:42 offset1:43
	v_pk_add_f32 v[84:85], v[84:85], v[130:131] neg_lo:[0,1] neg_hi:[0,1]
	v_pk_add_f32 v[18:19], v[18:19], v[128:129] neg_lo:[0,1] neg_hi:[0,1]
	s_wait_dscnt 0x0
	v_dual_mul_f32 v128, v125, v117 :: v_dual_mul_f32 v130, v125, v114
	s_delay_alu instid0(VALU_DEP_1) | instskip(NEXT) | instid1(VALU_DEP_2)
	v_pk_fma_f32 v[128:129], v[124:125], v[56:57], v[128:129] op_sel_hi:[1,1,0] neg_lo:[0,0,1] neg_hi:[0,0,1]
	v_pk_fma_f32 v[124:125], v[124:125], v[56:57], v[130:131] op_sel:[1,0,0] op_sel_hi:[0,1,0]
	s_delay_alu instid0(VALU_DEP_1) | instskip(SKIP_1) | instid1(VALU_DEP_2)
	v_mov_b32_e32 v129, v125
	v_pk_mul_f32 v[124:125], v[126:127], v[116:117] op_sel:[0,1]
	v_pk_add_f32 v[20:21], v[20:21], v[128:129] neg_lo:[0,1] neg_hi:[0,1]
	s_delay_alu instid0(VALU_DEP_2) | instskip(SKIP_1) | instid1(VALU_DEP_1)
	v_pk_fma_f32 v[128:129], v[126:127], v[114:115], v[124:125] op_sel:[0,0,1] op_sel_hi:[1,1,0] neg_lo:[0,0,1] neg_hi:[0,0,1]
	v_pk_fma_f32 v[124:125], v[126:127], v[114:115], v[124:125] op_sel:[0,0,1] op_sel_hi:[1,0,0]
	v_mov_b32_e32 v129, v125
	ds_load_2addr_b64 v[124:127], v118 offset0:44 offset1:45
	v_pk_add_f32 v[16:17], v[16:17], v[128:129] neg_lo:[0,1] neg_hi:[0,1]
	s_wait_dscnt 0x0
	v_pk_mul_f32 v[128:129], v[124:125], v[116:117] op_sel:[0,1]
	s_delay_alu instid0(VALU_DEP_1) | instskip(SKIP_1) | instid1(VALU_DEP_1)
	v_pk_fma_f32 v[130:131], v[124:125], v[114:115], v[128:129] op_sel:[0,0,1] op_sel_hi:[1,1,0] neg_lo:[0,0,1] neg_hi:[0,0,1]
	v_pk_fma_f32 v[124:125], v[124:125], v[114:115], v[128:129] op_sel:[0,0,1] op_sel_hi:[1,0,0]
	v_mov_b32_e32 v131, v125
	v_pk_mul_f32 v[124:125], v[126:127], v[116:117] op_sel:[0,1]
	s_delay_alu instid0(VALU_DEP_2) | instskip(NEXT) | instid1(VALU_DEP_2)
	v_pk_add_f32 v[82:83], v[82:83], v[130:131] neg_lo:[0,1] neg_hi:[0,1]
	v_pk_fma_f32 v[128:129], v[126:127], v[114:115], v[124:125] op_sel:[0,0,1] op_sel_hi:[1,1,0] neg_lo:[0,0,1] neg_hi:[0,0,1]
	v_pk_fma_f32 v[124:125], v[126:127], v[114:115], v[124:125] op_sel:[0,0,1] op_sel_hi:[1,0,0]
	s_delay_alu instid0(VALU_DEP_1) | instskip(SKIP_4) | instid1(VALU_DEP_1)
	v_mov_b32_e32 v129, v125
	ds_load_2addr_b64 v[124:127], v118 offset0:46 offset1:47
	v_pk_add_f32 v[10:11], v[10:11], v[128:129] neg_lo:[0,1] neg_hi:[0,1]
	s_wait_dscnt 0x0
	v_pk_mul_f32 v[128:129], v[124:125], v[116:117] op_sel:[0,1]
	v_pk_fma_f32 v[130:131], v[124:125], v[114:115], v[128:129] op_sel:[0,0,1] op_sel_hi:[1,1,0] neg_lo:[0,0,1] neg_hi:[0,0,1]
	v_pk_fma_f32 v[124:125], v[124:125], v[114:115], v[128:129] op_sel:[0,0,1] op_sel_hi:[1,0,0]
	v_dual_mul_f32 v128, v127, v117 :: v_dual_mov_b32 v124, v127
	s_delay_alu instid0(VALU_DEP_2) | instskip(NEXT) | instid1(VALU_DEP_2)
	v_dual_mov_b32 v131, v125 :: v_dual_mov_b32 v125, v126
	v_pk_fma_f32 v[128:129], v[126:127], v[56:57], v[128:129] op_sel_hi:[1,1,0] neg_lo:[0,0,1] neg_hi:[0,0,1]
	v_mul_f32_e32 v126, v127, v114
	s_delay_alu instid0(VALU_DEP_3) | instskip(NEXT) | instid1(VALU_DEP_2)
	v_pk_add_f32 v[12:13], v[12:13], v[130:131] neg_lo:[0,1] neg_hi:[0,1]
	v_pk_fma_f32 v[124:125], v[124:125], v[56:57], v[126:127] op_sel_hi:[1,1,0]
	s_delay_alu instid0(VALU_DEP_1) | instskip(SKIP_4) | instid1(VALU_DEP_1)
	v_mov_b32_e32 v129, v125
	ds_load_2addr_b64 v[124:127], v118 offset0:48 offset1:49
	v_pk_add_f32 v[8:9], v[8:9], v[128:129] neg_lo:[0,1] neg_hi:[0,1]
	s_wait_dscnt 0x0
	v_pk_mul_f32 v[128:129], v[124:125], v[116:117] op_sel:[0,1]
	v_pk_fma_f32 v[130:131], v[124:125], v[114:115], v[128:129] op_sel:[0,0,1] op_sel_hi:[1,1,0] neg_lo:[0,0,1] neg_hi:[0,0,1]
	v_pk_fma_f32 v[124:125], v[124:125], v[114:115], v[128:129] op_sel:[0,0,1] op_sel_hi:[1,0,0]
	s_delay_alu instid0(VALU_DEP_1) | instskip(SKIP_1) | instid1(VALU_DEP_1)
	v_mov_b32_e32 v131, v125
	v_pk_mul_f32 v[124:125], v[126:127], v[116:117] op_sel:[0,1]
	v_pk_fma_f32 v[128:129], v[126:127], v[114:115], v[124:125] op_sel:[0,0,1] op_sel_hi:[1,1,0] neg_lo:[0,0,1] neg_hi:[0,0,1]
	v_pk_fma_f32 v[124:125], v[126:127], v[114:115], v[124:125] op_sel:[0,0,1] op_sel_hi:[1,0,0]
	s_delay_alu instid0(VALU_DEP_1)
	v_mov_b32_e32 v129, v125
	ds_load_2addr_b64 v[124:127], v118 offset0:50 offset1:51
	v_pk_add_f32 v[66:67], v[66:67], v[130:131] neg_lo:[0,1] neg_hi:[0,1]
	v_pk_add_f32 v[6:7], v[6:7], v[128:129] neg_lo:[0,1] neg_hi:[0,1]
	s_wait_dscnt 0x0
	v_pk_mul_f32 v[128:129], v[124:125], v[116:117] op_sel:[0,1]
	s_delay_alu instid0(VALU_DEP_1) | instskip(SKIP_1) | instid1(VALU_DEP_1)
	v_pk_fma_f32 v[130:131], v[124:125], v[114:115], v[128:129] op_sel:[0,0,1] op_sel_hi:[1,1,0] neg_lo:[0,0,1] neg_hi:[0,0,1]
	v_pk_fma_f32 v[124:125], v[124:125], v[114:115], v[128:129] op_sel:[0,0,1] op_sel_hi:[1,0,0]
	v_mov_b32_e32 v131, v125
	v_pk_mul_f32 v[124:125], v[126:127], v[116:117] op_sel:[0,1]
	s_delay_alu instid0(VALU_DEP_1) | instskip(SKIP_1) | instid1(VALU_DEP_1)
	v_pk_fma_f32 v[128:129], v[126:127], v[114:115], v[124:125] op_sel:[0,0,1] op_sel_hi:[1,1,0] neg_lo:[0,0,1] neg_hi:[0,0,1]
	v_pk_fma_f32 v[124:125], v[126:127], v[114:115], v[124:125] op_sel:[0,0,1] op_sel_hi:[1,0,0]
	v_mov_b32_e32 v129, v125
	ds_load_2addr_b64 v[124:127], v118 offset0:52 offset1:53
	v_pk_add_f32 v[46:47], v[46:47], v[130:131] neg_lo:[0,1] neg_hi:[0,1]
	v_pk_add_f32 v[28:29], v[28:29], v[128:129] neg_lo:[0,1] neg_hi:[0,1]
	s_wait_dscnt 0x0
	v_mul_f32_e32 v116, v125, v117
	s_delay_alu instid0(VALU_DEP_1) | instskip(SKIP_1) | instid1(VALU_DEP_1)
	v_pk_fma_f32 v[128:129], v[124:125], v[56:57], v[116:117] op_sel_hi:[1,1,0] neg_lo:[0,0,1] neg_hi:[0,0,1]
	v_dual_mul_f32 v116, v125, v114 :: v_dual_mul_f32 v114, v127, v114
	v_pk_fma_f32 v[124:125], v[124:125], v[56:57], v[116:117] op_sel:[1,0,0] op_sel_hi:[0,1,0]
	v_dual_mov_b32 v124, v127 :: v_dual_mul_f32 v116, v127, v117
	s_delay_alu instid0(VALU_DEP_2) | instskip(NEXT) | instid1(VALU_DEP_2)
	v_dual_mov_b32 v129, v125 :: v_dual_mov_b32 v125, v126
	v_pk_fma_f32 v[116:117], v[126:127], v[56:57], v[116:117] op_sel_hi:[1,1,0] neg_lo:[0,0,1] neg_hi:[0,0,1]
	s_delay_alu instid0(VALU_DEP_2) | instskip(NEXT) | instid1(VALU_DEP_3)
	v_pk_add_f32 v[14:15], v[14:15], v[128:129] neg_lo:[0,1] neg_hi:[0,1]
	v_pk_fma_f32 v[114:115], v[124:125], v[56:57], v[114:115] op_sel_hi:[1,1,0]
	s_delay_alu instid0(VALU_DEP_1) | instskip(NEXT) | instid1(VALU_DEP_1)
	v_mov_b32_e32 v117, v115
	v_pk_add_f32 v[112:113], v[112:113], v[116:117] neg_lo:[0,1] neg_hi:[0,1]
.LBB106_503:
	s_or_b32 exec_lo, exec_lo, s0
	v_lshl_add_u32 v114, v122, 3, v118
	s_barrier_signal -1
	s_barrier_wait -1
	ds_store_b64 v114, v[94:95]
	s_wait_dscnt 0x0
	s_barrier_signal -1
	s_barrier_wait -1
	ds_load_b64 v[116:117], v118 offset:192
	v_mov_b32_e32 v114, 24
	s_cmp_lt_i32 s18, 26
	s_cbranch_scc1 .LBB106_506
; %bb.504:
	v_add3_u32 v115, v119, 0, 0xc8
	v_mov_b32_e32 v114, 24
	s_mov_b32 s0, 25
.LBB106_505:                            ; =>This Inner Loop Header: Depth=1
	ds_load_b64 v[124:125], v115
	s_wait_dscnt 0x1
	v_cmp_gt_f32_e32 vcc_lo, 0, v116
	v_cndmask_b32_e64 v126, v116, -v116, vcc_lo
	v_cmp_gt_f32_e32 vcc_lo, 0, v117
	v_cndmask_b32_e64 v128, v117, -v117, vcc_lo
	s_wait_dscnt 0x0
	v_cmp_gt_f32_e32 vcc_lo, 0, v124
	v_cndmask_b32_e64 v127, v124, -v124, vcc_lo
	v_cmp_gt_f32_e32 vcc_lo, 0, v125
	v_cndmask_b32_e64 v129, v125, -v125, vcc_lo
	s_delay_alu instid0(VALU_DEP_1) | instskip(NEXT) | instid1(VALU_DEP_1)
	v_pk_add_f32 v[126:127], v[126:127], v[128:129]
	v_cmp_lt_f32_e32 vcc_lo, v126, v127
	v_dual_add_nc_u32 v115, 8, v115 :: v_dual_cndmask_b32 v117, v117, v125, vcc_lo
	v_cndmask_b32_e32 v116, v116, v124, vcc_lo
	v_cndmask_b32_e64 v114, v114, s0, vcc_lo
	s_add_co_i32 s0, s0, 1
	s_delay_alu instid0(SALU_CYCLE_1)
	s_cmp_lg_u32 s18, s0
	s_cbranch_scc1 .LBB106_505
.LBB106_506:
	s_wait_dscnt 0x0
	v_cmp_eq_f32_e32 vcc_lo, 0, v116
	v_cmp_eq_f32_e64 s0, 0, v117
	s_and_b32 s0, vcc_lo, s0
	s_delay_alu instid0(SALU_CYCLE_1) | instskip(NEXT) | instid1(SALU_CYCLE_1)
	s_and_saveexec_b32 s1, s0
	s_xor_b32 s0, exec_lo, s1
; %bb.507:
	v_cmp_ne_u32_e32 vcc_lo, 0, v120
	v_cndmask_b32_e32 v120, 25, v120, vcc_lo
; %bb.508:
	s_and_not1_saveexec_b32 s0, s0
	s_cbranch_execz .LBB106_514
; %bb.509:
	v_cmp_ngt_f32_e64 s1, |v116|, |v117|
	s_and_saveexec_b32 s12, s1
	s_delay_alu instid0(SALU_CYCLE_1)
	s_xor_b32 s1, exec_lo, s12
	s_cbranch_execz .LBB106_511
; %bb.510:
	v_div_scale_f32 v115, null, v117, v117, v116
	v_div_scale_f32 v125, vcc_lo, v116, v117, v116
	s_delay_alu instid0(VALU_DEP_2) | instskip(SKIP_1) | instid1(TRANS32_DEP_1)
	v_rcp_f32_e32 v123, v115
	v_nop
	v_fma_f32 v124, -v115, v123, 1.0
	s_delay_alu instid0(VALU_DEP_1) | instskip(NEXT) | instid1(VALU_DEP_1)
	v_fmac_f32_e32 v123, v124, v123
	v_mul_f32_e32 v124, v125, v123
	s_delay_alu instid0(VALU_DEP_1) | instskip(NEXT) | instid1(VALU_DEP_1)
	v_fma_f32 v126, -v115, v124, v125
	v_fmac_f32_e32 v124, v126, v123
	s_delay_alu instid0(VALU_DEP_1) | instskip(NEXT) | instid1(VALU_DEP_1)
	v_fma_f32 v115, -v115, v124, v125
	v_div_fmas_f32 v115, v115, v123, v124
	s_delay_alu instid0(VALU_DEP_1) | instskip(NEXT) | instid1(VALU_DEP_1)
	v_div_fixup_f32 v115, v115, v117, v116
	v_fmac_f32_e32 v117, v116, v115
	s_delay_alu instid0(VALU_DEP_1) | instskip(SKIP_1) | instid1(VALU_DEP_2)
	v_div_scale_f32 v116, null, v117, v117, 1.0
	v_div_scale_f32 v125, vcc_lo, 1.0, v117, 1.0
	v_rcp_f32_e32 v123, v116
	v_nop
	s_delay_alu instid0(TRANS32_DEP_1) | instskip(NEXT) | instid1(VALU_DEP_1)
	v_fma_f32 v124, -v116, v123, 1.0
	v_fmac_f32_e32 v123, v124, v123
	s_delay_alu instid0(VALU_DEP_1) | instskip(NEXT) | instid1(VALU_DEP_1)
	v_mul_f32_e32 v124, v125, v123
	v_fma_f32 v126, -v116, v124, v125
	s_delay_alu instid0(VALU_DEP_1) | instskip(NEXT) | instid1(VALU_DEP_1)
	v_fmac_f32_e32 v124, v126, v123
	v_fma_f32 v116, -v116, v124, v125
	s_delay_alu instid0(VALU_DEP_1) | instskip(NEXT) | instid1(VALU_DEP_1)
	v_div_fmas_f32 v116, v116, v123, v124
	v_div_fixup_f32 v117, v116, v117, 1.0
	s_delay_alu instid0(VALU_DEP_1)
	v_mul_f32_e32 v116, v115, v117
	v_xor_b32_e32 v117, 0x80000000, v117
.LBB106_511:
	s_and_not1_saveexec_b32 s1, s1
	s_cbranch_execz .LBB106_513
; %bb.512:
	s_delay_alu instid0(VALU_DEP_1) | instskip(SKIP_1) | instid1(VALU_DEP_2)
	v_div_scale_f32 v115, null, v116, v116, v117
	v_div_scale_f32 v125, vcc_lo, v117, v116, v117
	v_rcp_f32_e32 v123, v115
	v_nop
	s_delay_alu instid0(TRANS32_DEP_1) | instskip(NEXT) | instid1(VALU_DEP_1)
	v_fma_f32 v124, -v115, v123, 1.0
	v_fmac_f32_e32 v123, v124, v123
	s_delay_alu instid0(VALU_DEP_1) | instskip(NEXT) | instid1(VALU_DEP_1)
	v_mul_f32_e32 v124, v125, v123
	v_fma_f32 v126, -v115, v124, v125
	s_delay_alu instid0(VALU_DEP_1) | instskip(NEXT) | instid1(VALU_DEP_1)
	v_fmac_f32_e32 v124, v126, v123
	v_fma_f32 v115, -v115, v124, v125
	s_delay_alu instid0(VALU_DEP_1) | instskip(NEXT) | instid1(VALU_DEP_1)
	v_div_fmas_f32 v115, v115, v123, v124
	v_div_fixup_f32 v115, v115, v116, v117
	s_delay_alu instid0(VALU_DEP_1) | instskip(NEXT) | instid1(VALU_DEP_1)
	v_fmac_f32_e32 v116, v117, v115
	v_div_scale_f32 v117, null, v116, v116, 1.0
	s_delay_alu instid0(VALU_DEP_1) | instskip(SKIP_1) | instid1(TRANS32_DEP_1)
	v_rcp_f32_e32 v123, v117
	v_nop
	v_fma_f32 v124, -v117, v123, 1.0
	s_delay_alu instid0(VALU_DEP_1) | instskip(SKIP_1) | instid1(VALU_DEP_1)
	v_fmac_f32_e32 v123, v124, v123
	v_div_scale_f32 v124, vcc_lo, 1.0, v116, 1.0
	v_mul_f32_e32 v125, v124, v123
	s_delay_alu instid0(VALU_DEP_1) | instskip(NEXT) | instid1(VALU_DEP_1)
	v_fma_f32 v126, -v117, v125, v124
	v_fmac_f32_e32 v125, v126, v123
	s_delay_alu instid0(VALU_DEP_1) | instskip(NEXT) | instid1(VALU_DEP_1)
	v_fma_f32 v117, -v117, v125, v124
	v_div_fmas_f32 v117, v117, v123, v125
	s_delay_alu instid0(VALU_DEP_1) | instskip(NEXT) | instid1(VALU_DEP_1)
	v_div_fixup_f32 v116, v117, v116, 1.0
	v_mul_f32_e64 v117, v115, -v116
.LBB106_513:
	s_or_b32 exec_lo, exec_lo, s1
.LBB106_514:
	s_delay_alu instid0(SALU_CYCLE_1) | instskip(NEXT) | instid1(SALU_CYCLE_1)
	s_or_b32 exec_lo, exec_lo, s0
	s_mov_b32 s0, exec_lo
	v_cmpx_ne_u32_e64 v122, v114
	s_xor_b32 s0, exec_lo, s0
	s_cbranch_execz .LBB106_520
; %bb.515:
	s_mov_b32 s1, exec_lo
	v_cmpx_eq_u32_e32 24, v122
	s_cbranch_execz .LBB106_519
; %bb.516:
	v_cmp_ne_u32_e32 vcc_lo, 24, v114
	s_xor_b32 s12, s16, -1
	s_delay_alu instid0(SALU_CYCLE_1) | instskip(NEXT) | instid1(SALU_CYCLE_1)
	s_and_b32 s13, s12, vcc_lo
	s_and_saveexec_b32 s12, s13
	s_cbranch_execz .LBB106_518
; %bb.517:
	v_ashrrev_i32_e32 v115, 31, v114
	s_delay_alu instid0(VALU_DEP_1)
	v_lshl_add_u64 v[122:123], v[114:115], 2, v[4:5]
	s_clause 0x1
	global_load_b32 v115, v[122:123], off
	global_load_b32 v121, v[4:5], off offset:96
	s_wait_loadcnt 0x1
	global_store_b32 v[4:5], v115, off offset:96
	s_wait_loadcnt 0x0
	global_store_b32 v[122:123], v121, off
.LBB106_518:
	s_wait_xcnt 0x0
	s_or_b32 exec_lo, exec_lo, s12
	v_dual_mov_b32 v122, v114 :: v_dual_mov_b32 v121, v114
.LBB106_519:
	s_or_b32 exec_lo, exec_lo, s1
.LBB106_520:
	s_and_not1_saveexec_b32 s0, s0
	s_cbranch_execz .LBB106_522
; %bb.521:
	v_mov_b32_e32 v122, 24
	ds_store_2addr_b64 v118, v[52:53], v[54:55] offset0:25 offset1:26
	ds_store_2addr_b64 v118, v[50:51], v[90:91] offset0:27 offset1:28
	;; [unrolled: 1-line block ×14, first 2 shown]
	ds_store_b64 v118, v[112:113] offset:424
.LBB106_522:
	s_or_b32 exec_lo, exec_lo, s0
	s_delay_alu instid0(SALU_CYCLE_1)
	s_mov_b32 s0, exec_lo
	s_wait_storecnt_dscnt 0x0
	s_barrier_signal -1
	s_barrier_wait -1
	v_cmpx_lt_i32_e32 24, v122
	s_cbranch_execz .LBB106_524
; %bb.523:
	v_pk_mul_f32 v[124:125], v[116:117], v[94:95] op_sel:[1,1] op_sel_hi:[0,1]
	s_delay_alu instid0(VALU_DEP_1)
	v_pk_fma_f32 v[114:115], v[116:117], v[94:95], v[124:125] op_sel_hi:[1,0,1] neg_lo:[0,0,1] neg_hi:[0,0,1]
	v_pk_fma_f32 v[116:117], v[116:117], v[94:95], v[124:125] op_sel_hi:[1,0,1]
	ds_load_2addr_b64 v[124:127], v118 offset0:25 offset1:26
	v_dual_mov_b32 v94, v114 :: v_dual_mov_b32 v95, v117
	s_wait_dscnt 0x0
	v_pk_mul_f32 v[128:129], v[124:125], v[116:117] op_sel:[0,1]
	s_delay_alu instid0(VALU_DEP_1) | instskip(SKIP_1) | instid1(VALU_DEP_1)
	v_pk_fma_f32 v[130:131], v[124:125], v[114:115], v[128:129] op_sel:[0,0,1] op_sel_hi:[1,1,0] neg_lo:[0,0,1] neg_hi:[0,0,1]
	v_pk_fma_f32 v[124:125], v[124:125], v[114:115], v[128:129] op_sel:[0,0,1] op_sel_hi:[1,0,0]
	v_mov_b32_e32 v131, v125
	v_pk_mul_f32 v[124:125], v[126:127], v[116:117] op_sel:[0,1]
	s_delay_alu instid0(VALU_DEP_1) | instskip(SKIP_1) | instid1(VALU_DEP_1)
	v_pk_fma_f32 v[128:129], v[126:127], v[114:115], v[124:125] op_sel:[0,0,1] op_sel_hi:[1,1,0] neg_lo:[0,0,1] neg_hi:[0,0,1]
	v_pk_fma_f32 v[124:125], v[126:127], v[114:115], v[124:125] op_sel:[0,0,1] op_sel_hi:[1,0,0]
	v_mov_b32_e32 v129, v125
	ds_load_2addr_b64 v[124:127], v118 offset0:27 offset1:28
	v_pk_add_f32 v[52:53], v[52:53], v[130:131] neg_lo:[0,1] neg_hi:[0,1]
	v_pk_add_f32 v[54:55], v[54:55], v[128:129] neg_lo:[0,1] neg_hi:[0,1]
	s_wait_dscnt 0x0
	v_pk_mul_f32 v[128:129], v[124:125], v[116:117] op_sel:[0,1]
	s_delay_alu instid0(VALU_DEP_1) | instskip(SKIP_2) | instid1(VALU_DEP_2)
	v_pk_fma_f32 v[130:131], v[124:125], v[114:115], v[128:129] op_sel:[0,0,1] op_sel_hi:[1,1,0] neg_lo:[0,0,1] neg_hi:[0,0,1]
	v_pk_fma_f32 v[124:125], v[124:125], v[114:115], v[128:129] op_sel:[0,0,1] op_sel_hi:[1,0,0]
	v_dual_mul_f32 v128, v127, v117 :: v_dual_mov_b32 v124, v127
	v_dual_mov_b32 v131, v125 :: v_dual_mov_b32 v125, v126
	s_delay_alu instid0(VALU_DEP_2) | instskip(SKIP_1) | instid1(VALU_DEP_3)
	v_pk_fma_f32 v[128:129], v[126:127], v[94:95], v[128:129] op_sel_hi:[1,1,0] neg_lo:[0,0,1] neg_hi:[0,0,1]
	v_mul_f32_e32 v126, v127, v114
	v_pk_add_f32 v[50:51], v[50:51], v[130:131] neg_lo:[0,1] neg_hi:[0,1]
	s_delay_alu instid0(VALU_DEP_2) | instskip(NEXT) | instid1(VALU_DEP_1)
	v_pk_fma_f32 v[124:125], v[124:125], v[94:95], v[126:127] op_sel_hi:[1,1,0]
	v_mov_b32_e32 v129, v125
	ds_load_2addr_b64 v[124:127], v118 offset0:29 offset1:30
	v_pk_add_f32 v[90:91], v[90:91], v[128:129] neg_lo:[0,1] neg_hi:[0,1]
	s_wait_dscnt 0x0
	v_pk_mul_f32 v[128:129], v[124:125], v[116:117] op_sel:[0,1]
	s_delay_alu instid0(VALU_DEP_1) | instskip(SKIP_1) | instid1(VALU_DEP_1)
	v_pk_fma_f32 v[130:131], v[124:125], v[114:115], v[128:129] op_sel:[0,0,1] op_sel_hi:[1,1,0] neg_lo:[0,0,1] neg_hi:[0,0,1]
	v_pk_fma_f32 v[124:125], v[124:125], v[114:115], v[128:129] op_sel:[0,0,1] op_sel_hi:[1,0,0]
	v_mov_b32_e32 v131, v125
	v_pk_mul_f32 v[124:125], v[126:127], v[116:117] op_sel:[0,1]
	s_delay_alu instid0(VALU_DEP_1) | instskip(SKIP_1) | instid1(VALU_DEP_1)
	v_pk_fma_f32 v[128:129], v[126:127], v[114:115], v[124:125] op_sel:[0,0,1] op_sel_hi:[1,1,0] neg_lo:[0,0,1] neg_hi:[0,0,1]
	v_pk_fma_f32 v[124:125], v[126:127], v[114:115], v[124:125] op_sel:[0,0,1] op_sel_hi:[1,0,0]
	v_mov_b32_e32 v129, v125
	ds_load_2addr_b64 v[124:127], v118 offset0:31 offset1:32
	v_pk_add_f32 v[38:39], v[38:39], v[130:131] neg_lo:[0,1] neg_hi:[0,1]
	v_pk_add_f32 v[40:41], v[40:41], v[128:129] neg_lo:[0,1] neg_hi:[0,1]
	s_wait_dscnt 0x0
	v_pk_mul_f32 v[128:129], v[124:125], v[116:117] op_sel:[0,1]
	s_delay_alu instid0(VALU_DEP_1) | instskip(SKIP_1) | instid1(VALU_DEP_1)
	v_pk_fma_f32 v[130:131], v[124:125], v[114:115], v[128:129] op_sel:[0,0,1] op_sel_hi:[1,1,0] neg_lo:[0,0,1] neg_hi:[0,0,1]
	v_pk_fma_f32 v[124:125], v[124:125], v[114:115], v[128:129] op_sel:[0,0,1] op_sel_hi:[1,0,0]
	v_mov_b32_e32 v131, v125
	v_pk_mul_f32 v[124:125], v[126:127], v[116:117] op_sel:[0,1]
	s_delay_alu instid0(VALU_DEP_1) | instskip(SKIP_1) | instid1(VALU_DEP_1)
	v_pk_fma_f32 v[128:129], v[126:127], v[114:115], v[124:125] op_sel:[0,0,1] op_sel_hi:[1,1,0] neg_lo:[0,0,1] neg_hi:[0,0,1]
	v_pk_fma_f32 v[124:125], v[126:127], v[114:115], v[124:125] op_sel:[0,0,1] op_sel_hi:[1,0,0]
	v_mov_b32_e32 v129, v125
	ds_load_2addr_b64 v[124:127], v118 offset0:33 offset1:34
	v_pk_add_f32 v[36:37], v[36:37], v[130:131] neg_lo:[0,1] neg_hi:[0,1]
	v_pk_add_f32 v[88:89], v[88:89], v[128:129] neg_lo:[0,1] neg_hi:[0,1]
	s_wait_dscnt 0x0
	v_dual_mul_f32 v128, v125, v117 :: v_dual_mul_f32 v130, v125, v114
	s_delay_alu instid0(VALU_DEP_1) | instskip(NEXT) | instid1(VALU_DEP_2)
	v_pk_fma_f32 v[128:129], v[124:125], v[94:95], v[128:129] op_sel_hi:[1,1,0] neg_lo:[0,0,1] neg_hi:[0,0,1]
	v_pk_fma_f32 v[124:125], v[124:125], v[94:95], v[130:131] op_sel:[1,0,0] op_sel_hi:[0,1,0]
	s_delay_alu instid0(VALU_DEP_1) | instskip(SKIP_1) | instid1(VALU_DEP_2)
	v_mov_b32_e32 v129, v125
	v_pk_mul_f32 v[124:125], v[126:127], v[116:117] op_sel:[0,1]
	v_pk_add_f32 v[32:33], v[32:33], v[128:129] neg_lo:[0,1] neg_hi:[0,1]
	s_delay_alu instid0(VALU_DEP_2) | instskip(SKIP_1) | instid1(VALU_DEP_1)
	v_pk_fma_f32 v[128:129], v[126:127], v[114:115], v[124:125] op_sel:[0,0,1] op_sel_hi:[1,1,0] neg_lo:[0,0,1] neg_hi:[0,0,1]
	v_pk_fma_f32 v[124:125], v[126:127], v[114:115], v[124:125] op_sel:[0,0,1] op_sel_hi:[1,0,0]
	v_mov_b32_e32 v129, v125
	ds_load_2addr_b64 v[124:127], v118 offset0:35 offset1:36
	v_pk_add_f32 v[34:35], v[34:35], v[128:129] neg_lo:[0,1] neg_hi:[0,1]
	s_wait_dscnt 0x0
	v_pk_mul_f32 v[128:129], v[124:125], v[116:117] op_sel:[0,1]
	s_delay_alu instid0(VALU_DEP_1) | instskip(SKIP_1) | instid1(VALU_DEP_1)
	v_pk_fma_f32 v[130:131], v[124:125], v[114:115], v[128:129] op_sel:[0,0,1] op_sel_hi:[1,1,0] neg_lo:[0,0,1] neg_hi:[0,0,1]
	v_pk_fma_f32 v[124:125], v[124:125], v[114:115], v[128:129] op_sel:[0,0,1] op_sel_hi:[1,0,0]
	v_mov_b32_e32 v131, v125
	v_pk_mul_f32 v[124:125], v[126:127], v[116:117] op_sel:[0,1]
	s_delay_alu instid0(VALU_DEP_2) | instskip(NEXT) | instid1(VALU_DEP_2)
	v_pk_add_f32 v[30:31], v[30:31], v[130:131] neg_lo:[0,1] neg_hi:[0,1]
	v_pk_fma_f32 v[128:129], v[126:127], v[114:115], v[124:125] op_sel:[0,0,1] op_sel_hi:[1,1,0] neg_lo:[0,0,1] neg_hi:[0,0,1]
	v_pk_fma_f32 v[124:125], v[126:127], v[114:115], v[124:125] op_sel:[0,0,1] op_sel_hi:[1,0,0]
	s_delay_alu instid0(VALU_DEP_1) | instskip(SKIP_4) | instid1(VALU_DEP_1)
	v_mov_b32_e32 v129, v125
	ds_load_2addr_b64 v[124:127], v118 offset0:37 offset1:38
	v_pk_add_f32 v[86:87], v[86:87], v[128:129] neg_lo:[0,1] neg_hi:[0,1]
	s_wait_dscnt 0x0
	v_pk_mul_f32 v[128:129], v[124:125], v[116:117] op_sel:[0,1]
	v_pk_fma_f32 v[130:131], v[124:125], v[114:115], v[128:129] op_sel:[0,0,1] op_sel_hi:[1,1,0] neg_lo:[0,0,1] neg_hi:[0,0,1]
	v_pk_fma_f32 v[124:125], v[124:125], v[114:115], v[128:129] op_sel:[0,0,1] op_sel_hi:[1,0,0]
	v_dual_mul_f32 v128, v127, v117 :: v_dual_mov_b32 v124, v127
	s_delay_alu instid0(VALU_DEP_2) | instskip(NEXT) | instid1(VALU_DEP_2)
	v_dual_mov_b32 v131, v125 :: v_dual_mov_b32 v125, v126
	v_pk_fma_f32 v[128:129], v[126:127], v[94:95], v[128:129] op_sel_hi:[1,1,0] neg_lo:[0,0,1] neg_hi:[0,0,1]
	v_mul_f32_e32 v126, v127, v114
	s_delay_alu instid0(VALU_DEP_3) | instskip(NEXT) | instid1(VALU_DEP_2)
	v_pk_add_f32 v[24:25], v[24:25], v[130:131] neg_lo:[0,1] neg_hi:[0,1]
	v_pk_fma_f32 v[124:125], v[124:125], v[94:95], v[126:127] op_sel_hi:[1,1,0]
	s_delay_alu instid0(VALU_DEP_1) | instskip(SKIP_4) | instid1(VALU_DEP_1)
	v_mov_b32_e32 v129, v125
	ds_load_2addr_b64 v[124:127], v118 offset0:39 offset1:40
	v_pk_add_f32 v[26:27], v[26:27], v[128:129] neg_lo:[0,1] neg_hi:[0,1]
	s_wait_dscnt 0x0
	v_pk_mul_f32 v[128:129], v[124:125], v[116:117] op_sel:[0,1]
	v_pk_fma_f32 v[130:131], v[124:125], v[114:115], v[128:129] op_sel:[0,0,1] op_sel_hi:[1,1,0] neg_lo:[0,0,1] neg_hi:[0,0,1]
	v_pk_fma_f32 v[124:125], v[124:125], v[114:115], v[128:129] op_sel:[0,0,1] op_sel_hi:[1,0,0]
	s_delay_alu instid0(VALU_DEP_1) | instskip(SKIP_1) | instid1(VALU_DEP_1)
	v_mov_b32_e32 v131, v125
	v_pk_mul_f32 v[124:125], v[126:127], v[116:117] op_sel:[0,1]
	v_pk_fma_f32 v[128:129], v[126:127], v[114:115], v[124:125] op_sel:[0,0,1] op_sel_hi:[1,1,0] neg_lo:[0,0,1] neg_hi:[0,0,1]
	v_pk_fma_f32 v[124:125], v[126:127], v[114:115], v[124:125] op_sel:[0,0,1] op_sel_hi:[1,0,0]
	s_delay_alu instid0(VALU_DEP_1)
	v_mov_b32_e32 v129, v125
	ds_load_2addr_b64 v[124:127], v118 offset0:41 offset1:42
	v_pk_add_f32 v[22:23], v[22:23], v[130:131] neg_lo:[0,1] neg_hi:[0,1]
	v_pk_add_f32 v[84:85], v[84:85], v[128:129] neg_lo:[0,1] neg_hi:[0,1]
	s_wait_dscnt 0x0
	v_pk_mul_f32 v[128:129], v[124:125], v[116:117] op_sel:[0,1]
	s_delay_alu instid0(VALU_DEP_1) | instskip(SKIP_1) | instid1(VALU_DEP_1)
	v_pk_fma_f32 v[130:131], v[124:125], v[114:115], v[128:129] op_sel:[0,0,1] op_sel_hi:[1,1,0] neg_lo:[0,0,1] neg_hi:[0,0,1]
	v_pk_fma_f32 v[124:125], v[124:125], v[114:115], v[128:129] op_sel:[0,0,1] op_sel_hi:[1,0,0]
	v_mov_b32_e32 v131, v125
	v_pk_mul_f32 v[124:125], v[126:127], v[116:117] op_sel:[0,1]
	s_delay_alu instid0(VALU_DEP_1) | instskip(SKIP_1) | instid1(VALU_DEP_1)
	v_pk_fma_f32 v[128:129], v[126:127], v[114:115], v[124:125] op_sel:[0,0,1] op_sel_hi:[1,1,0] neg_lo:[0,0,1] neg_hi:[0,0,1]
	v_pk_fma_f32 v[124:125], v[126:127], v[114:115], v[124:125] op_sel:[0,0,1] op_sel_hi:[1,0,0]
	v_mov_b32_e32 v129, v125
	ds_load_2addr_b64 v[124:127], v118 offset0:43 offset1:44
	v_pk_add_f32 v[18:19], v[18:19], v[130:131] neg_lo:[0,1] neg_hi:[0,1]
	v_pk_add_f32 v[20:21], v[20:21], v[128:129] neg_lo:[0,1] neg_hi:[0,1]
	s_wait_dscnt 0x0
	v_dual_mul_f32 v128, v125, v117 :: v_dual_mul_f32 v130, v125, v114
	s_delay_alu instid0(VALU_DEP_1) | instskip(NEXT) | instid1(VALU_DEP_2)
	v_pk_fma_f32 v[128:129], v[124:125], v[94:95], v[128:129] op_sel_hi:[1,1,0] neg_lo:[0,0,1] neg_hi:[0,0,1]
	v_pk_fma_f32 v[124:125], v[124:125], v[94:95], v[130:131] op_sel:[1,0,0] op_sel_hi:[0,1,0]
	s_delay_alu instid0(VALU_DEP_1) | instskip(SKIP_1) | instid1(VALU_DEP_2)
	v_mov_b32_e32 v129, v125
	v_pk_mul_f32 v[124:125], v[126:127], v[116:117] op_sel:[0,1]
	v_pk_add_f32 v[16:17], v[16:17], v[128:129] neg_lo:[0,1] neg_hi:[0,1]
	s_delay_alu instid0(VALU_DEP_2) | instskip(SKIP_1) | instid1(VALU_DEP_1)
	v_pk_fma_f32 v[128:129], v[126:127], v[114:115], v[124:125] op_sel:[0,0,1] op_sel_hi:[1,1,0] neg_lo:[0,0,1] neg_hi:[0,0,1]
	v_pk_fma_f32 v[124:125], v[126:127], v[114:115], v[124:125] op_sel:[0,0,1] op_sel_hi:[1,0,0]
	v_mov_b32_e32 v129, v125
	ds_load_2addr_b64 v[124:127], v118 offset0:45 offset1:46
	v_pk_add_f32 v[82:83], v[82:83], v[128:129] neg_lo:[0,1] neg_hi:[0,1]
	s_wait_dscnt 0x0
	v_pk_mul_f32 v[128:129], v[124:125], v[116:117] op_sel:[0,1]
	s_delay_alu instid0(VALU_DEP_1) | instskip(SKIP_1) | instid1(VALU_DEP_1)
	v_pk_fma_f32 v[130:131], v[124:125], v[114:115], v[128:129] op_sel:[0,0,1] op_sel_hi:[1,1,0] neg_lo:[0,0,1] neg_hi:[0,0,1]
	v_pk_fma_f32 v[124:125], v[124:125], v[114:115], v[128:129] op_sel:[0,0,1] op_sel_hi:[1,0,0]
	v_mov_b32_e32 v131, v125
	v_pk_mul_f32 v[124:125], v[126:127], v[116:117] op_sel:[0,1]
	s_delay_alu instid0(VALU_DEP_2) | instskip(NEXT) | instid1(VALU_DEP_2)
	v_pk_add_f32 v[10:11], v[10:11], v[130:131] neg_lo:[0,1] neg_hi:[0,1]
	v_pk_fma_f32 v[128:129], v[126:127], v[114:115], v[124:125] op_sel:[0,0,1] op_sel_hi:[1,1,0] neg_lo:[0,0,1] neg_hi:[0,0,1]
	v_pk_fma_f32 v[124:125], v[126:127], v[114:115], v[124:125] op_sel:[0,0,1] op_sel_hi:[1,0,0]
	s_delay_alu instid0(VALU_DEP_1) | instskip(SKIP_4) | instid1(VALU_DEP_1)
	v_mov_b32_e32 v129, v125
	ds_load_2addr_b64 v[124:127], v118 offset0:47 offset1:48
	v_pk_add_f32 v[12:13], v[12:13], v[128:129] neg_lo:[0,1] neg_hi:[0,1]
	s_wait_dscnt 0x0
	v_pk_mul_f32 v[128:129], v[124:125], v[116:117] op_sel:[0,1]
	v_pk_fma_f32 v[130:131], v[124:125], v[114:115], v[128:129] op_sel:[0,0,1] op_sel_hi:[1,1,0] neg_lo:[0,0,1] neg_hi:[0,0,1]
	v_pk_fma_f32 v[124:125], v[124:125], v[114:115], v[128:129] op_sel:[0,0,1] op_sel_hi:[1,0,0]
	v_dual_mul_f32 v128, v127, v117 :: v_dual_mov_b32 v124, v127
	s_delay_alu instid0(VALU_DEP_2) | instskip(NEXT) | instid1(VALU_DEP_2)
	v_dual_mov_b32 v131, v125 :: v_dual_mov_b32 v125, v126
	v_pk_fma_f32 v[128:129], v[126:127], v[94:95], v[128:129] op_sel_hi:[1,1,0] neg_lo:[0,0,1] neg_hi:[0,0,1]
	v_mul_f32_e32 v126, v127, v114
	s_delay_alu instid0(VALU_DEP_3) | instskip(NEXT) | instid1(VALU_DEP_2)
	v_pk_add_f32 v[8:9], v[8:9], v[130:131] neg_lo:[0,1] neg_hi:[0,1]
	v_pk_fma_f32 v[124:125], v[124:125], v[94:95], v[126:127] op_sel_hi:[1,1,0]
	s_delay_alu instid0(VALU_DEP_1) | instskip(SKIP_4) | instid1(VALU_DEP_1)
	v_mov_b32_e32 v129, v125
	ds_load_2addr_b64 v[124:127], v118 offset0:49 offset1:50
	v_pk_add_f32 v[66:67], v[66:67], v[128:129] neg_lo:[0,1] neg_hi:[0,1]
	s_wait_dscnt 0x0
	v_pk_mul_f32 v[128:129], v[124:125], v[116:117] op_sel:[0,1]
	v_pk_fma_f32 v[130:131], v[124:125], v[114:115], v[128:129] op_sel:[0,0,1] op_sel_hi:[1,1,0] neg_lo:[0,0,1] neg_hi:[0,0,1]
	v_pk_fma_f32 v[124:125], v[124:125], v[114:115], v[128:129] op_sel:[0,0,1] op_sel_hi:[1,0,0]
	s_delay_alu instid0(VALU_DEP_1) | instskip(SKIP_1) | instid1(VALU_DEP_1)
	v_mov_b32_e32 v131, v125
	v_pk_mul_f32 v[124:125], v[126:127], v[116:117] op_sel:[0,1]
	v_pk_fma_f32 v[128:129], v[126:127], v[114:115], v[124:125] op_sel:[0,0,1] op_sel_hi:[1,1,0] neg_lo:[0,0,1] neg_hi:[0,0,1]
	v_pk_fma_f32 v[124:125], v[126:127], v[114:115], v[124:125] op_sel:[0,0,1] op_sel_hi:[1,0,0]
	s_delay_alu instid0(VALU_DEP_1)
	v_mov_b32_e32 v129, v125
	ds_load_2addr_b64 v[124:127], v118 offset0:51 offset1:52
	v_pk_add_f32 v[6:7], v[6:7], v[130:131] neg_lo:[0,1] neg_hi:[0,1]
	v_pk_add_f32 v[46:47], v[46:47], v[128:129] neg_lo:[0,1] neg_hi:[0,1]
	s_wait_dscnt 0x0
	v_pk_mul_f32 v[128:129], v[124:125], v[116:117] op_sel:[0,1]
	s_delay_alu instid0(VALU_DEP_1) | instskip(SKIP_1) | instid1(VALU_DEP_1)
	v_pk_fma_f32 v[130:131], v[124:125], v[114:115], v[128:129] op_sel:[0,0,1] op_sel_hi:[1,1,0] neg_lo:[0,0,1] neg_hi:[0,0,1]
	v_pk_fma_f32 v[124:125], v[124:125], v[114:115], v[128:129] op_sel:[0,0,1] op_sel_hi:[1,0,0]
	v_mov_b32_e32 v131, v125
	v_pk_mul_f32 v[124:125], v[126:127], v[116:117] op_sel:[0,1]
	s_delay_alu instid0(VALU_DEP_1) | instskip(SKIP_1) | instid1(VALU_DEP_1)
	v_pk_fma_f32 v[128:129], v[126:127], v[114:115], v[124:125] op_sel:[0,0,1] op_sel_hi:[1,1,0] neg_lo:[0,0,1] neg_hi:[0,0,1]
	v_pk_fma_f32 v[124:125], v[126:127], v[114:115], v[124:125] op_sel:[0,0,1] op_sel_hi:[1,0,0]
	v_mov_b32_e32 v129, v125
	ds_load_b64 v[124:125], v118 offset:424
	v_pk_add_f32 v[28:29], v[28:29], v[130:131] neg_lo:[0,1] neg_hi:[0,1]
	v_pk_add_f32 v[14:15], v[14:15], v[128:129] neg_lo:[0,1] neg_hi:[0,1]
	s_wait_dscnt 0x0
	v_pk_mul_f32 v[116:117], v[124:125], v[116:117] op_sel:[0,1]
	s_delay_alu instid0(VALU_DEP_1) | instskip(SKIP_1) | instid1(VALU_DEP_1)
	v_pk_fma_f32 v[126:127], v[124:125], v[114:115], v[116:117] op_sel:[0,0,1] op_sel_hi:[1,1,0] neg_lo:[0,0,1] neg_hi:[0,0,1]
	v_pk_fma_f32 v[114:115], v[124:125], v[114:115], v[116:117] op_sel:[0,0,1] op_sel_hi:[1,0,0]
	v_mov_b32_e32 v127, v115
	s_delay_alu instid0(VALU_DEP_1)
	v_pk_add_f32 v[112:113], v[112:113], v[126:127] neg_lo:[0,1] neg_hi:[0,1]
.LBB106_524:
	s_or_b32 exec_lo, exec_lo, s0
	v_lshl_add_u32 v114, v122, 3, v118
	s_barrier_signal -1
	s_barrier_wait -1
	ds_store_b64 v114, v[52:53]
	s_wait_dscnt 0x0
	s_barrier_signal -1
	s_barrier_wait -1
	ds_load_b64 v[116:117], v118 offset:200
	v_mov_b32_e32 v114, 25
	s_cmp_lt_i32 s18, 27
	s_cbranch_scc1 .LBB106_527
; %bb.525:
	v_add3_u32 v115, v119, 0, 0xd0
	v_mov_b32_e32 v114, 25
	s_mov_b32 s0, 26
.LBB106_526:                            ; =>This Inner Loop Header: Depth=1
	ds_load_b64 v[124:125], v115
	s_wait_dscnt 0x1
	v_cmp_gt_f32_e32 vcc_lo, 0, v116
	v_cndmask_b32_e64 v126, v116, -v116, vcc_lo
	v_cmp_gt_f32_e32 vcc_lo, 0, v117
	v_cndmask_b32_e64 v128, v117, -v117, vcc_lo
	s_wait_dscnt 0x0
	v_cmp_gt_f32_e32 vcc_lo, 0, v124
	v_cndmask_b32_e64 v127, v124, -v124, vcc_lo
	v_cmp_gt_f32_e32 vcc_lo, 0, v125
	v_cndmask_b32_e64 v129, v125, -v125, vcc_lo
	s_delay_alu instid0(VALU_DEP_1) | instskip(NEXT) | instid1(VALU_DEP_1)
	v_pk_add_f32 v[126:127], v[126:127], v[128:129]
	v_cmp_lt_f32_e32 vcc_lo, v126, v127
	v_dual_add_nc_u32 v115, 8, v115 :: v_dual_cndmask_b32 v117, v117, v125, vcc_lo
	v_cndmask_b32_e32 v116, v116, v124, vcc_lo
	v_cndmask_b32_e64 v114, v114, s0, vcc_lo
	s_add_co_i32 s0, s0, 1
	s_delay_alu instid0(SALU_CYCLE_1)
	s_cmp_lg_u32 s18, s0
	s_cbranch_scc1 .LBB106_526
.LBB106_527:
	s_wait_dscnt 0x0
	v_cmp_eq_f32_e32 vcc_lo, 0, v116
	v_cmp_eq_f32_e64 s0, 0, v117
	s_and_b32 s0, vcc_lo, s0
	s_delay_alu instid0(SALU_CYCLE_1) | instskip(NEXT) | instid1(SALU_CYCLE_1)
	s_and_saveexec_b32 s1, s0
	s_xor_b32 s0, exec_lo, s1
; %bb.528:
	v_cmp_ne_u32_e32 vcc_lo, 0, v120
	v_cndmask_b32_e32 v120, 26, v120, vcc_lo
; %bb.529:
	s_and_not1_saveexec_b32 s0, s0
	s_cbranch_execz .LBB106_535
; %bb.530:
	v_cmp_ngt_f32_e64 s1, |v116|, |v117|
	s_and_saveexec_b32 s12, s1
	s_delay_alu instid0(SALU_CYCLE_1)
	s_xor_b32 s1, exec_lo, s12
	s_cbranch_execz .LBB106_532
; %bb.531:
	v_div_scale_f32 v115, null, v117, v117, v116
	v_div_scale_f32 v125, vcc_lo, v116, v117, v116
	s_delay_alu instid0(VALU_DEP_2) | instskip(SKIP_1) | instid1(TRANS32_DEP_1)
	v_rcp_f32_e32 v123, v115
	v_nop
	v_fma_f32 v124, -v115, v123, 1.0
	s_delay_alu instid0(VALU_DEP_1) | instskip(NEXT) | instid1(VALU_DEP_1)
	v_fmac_f32_e32 v123, v124, v123
	v_mul_f32_e32 v124, v125, v123
	s_delay_alu instid0(VALU_DEP_1) | instskip(NEXT) | instid1(VALU_DEP_1)
	v_fma_f32 v126, -v115, v124, v125
	v_fmac_f32_e32 v124, v126, v123
	s_delay_alu instid0(VALU_DEP_1) | instskip(NEXT) | instid1(VALU_DEP_1)
	v_fma_f32 v115, -v115, v124, v125
	v_div_fmas_f32 v115, v115, v123, v124
	s_delay_alu instid0(VALU_DEP_1) | instskip(NEXT) | instid1(VALU_DEP_1)
	v_div_fixup_f32 v115, v115, v117, v116
	v_fmac_f32_e32 v117, v116, v115
	s_delay_alu instid0(VALU_DEP_1) | instskip(SKIP_1) | instid1(VALU_DEP_2)
	v_div_scale_f32 v116, null, v117, v117, 1.0
	v_div_scale_f32 v125, vcc_lo, 1.0, v117, 1.0
	v_rcp_f32_e32 v123, v116
	v_nop
	s_delay_alu instid0(TRANS32_DEP_1) | instskip(NEXT) | instid1(VALU_DEP_1)
	v_fma_f32 v124, -v116, v123, 1.0
	v_fmac_f32_e32 v123, v124, v123
	s_delay_alu instid0(VALU_DEP_1) | instskip(NEXT) | instid1(VALU_DEP_1)
	v_mul_f32_e32 v124, v125, v123
	v_fma_f32 v126, -v116, v124, v125
	s_delay_alu instid0(VALU_DEP_1) | instskip(NEXT) | instid1(VALU_DEP_1)
	v_fmac_f32_e32 v124, v126, v123
	v_fma_f32 v116, -v116, v124, v125
	s_delay_alu instid0(VALU_DEP_1) | instskip(NEXT) | instid1(VALU_DEP_1)
	v_div_fmas_f32 v116, v116, v123, v124
	v_div_fixup_f32 v117, v116, v117, 1.0
	s_delay_alu instid0(VALU_DEP_1)
	v_mul_f32_e32 v116, v115, v117
	v_xor_b32_e32 v117, 0x80000000, v117
.LBB106_532:
	s_and_not1_saveexec_b32 s1, s1
	s_cbranch_execz .LBB106_534
; %bb.533:
	s_delay_alu instid0(VALU_DEP_1) | instskip(SKIP_1) | instid1(VALU_DEP_2)
	v_div_scale_f32 v115, null, v116, v116, v117
	v_div_scale_f32 v125, vcc_lo, v117, v116, v117
	v_rcp_f32_e32 v123, v115
	v_nop
	s_delay_alu instid0(TRANS32_DEP_1) | instskip(NEXT) | instid1(VALU_DEP_1)
	v_fma_f32 v124, -v115, v123, 1.0
	v_fmac_f32_e32 v123, v124, v123
	s_delay_alu instid0(VALU_DEP_1) | instskip(NEXT) | instid1(VALU_DEP_1)
	v_mul_f32_e32 v124, v125, v123
	v_fma_f32 v126, -v115, v124, v125
	s_delay_alu instid0(VALU_DEP_1) | instskip(NEXT) | instid1(VALU_DEP_1)
	v_fmac_f32_e32 v124, v126, v123
	v_fma_f32 v115, -v115, v124, v125
	s_delay_alu instid0(VALU_DEP_1) | instskip(NEXT) | instid1(VALU_DEP_1)
	v_div_fmas_f32 v115, v115, v123, v124
	v_div_fixup_f32 v115, v115, v116, v117
	s_delay_alu instid0(VALU_DEP_1) | instskip(NEXT) | instid1(VALU_DEP_1)
	v_fmac_f32_e32 v116, v117, v115
	v_div_scale_f32 v117, null, v116, v116, 1.0
	s_delay_alu instid0(VALU_DEP_1) | instskip(SKIP_1) | instid1(TRANS32_DEP_1)
	v_rcp_f32_e32 v123, v117
	v_nop
	v_fma_f32 v124, -v117, v123, 1.0
	s_delay_alu instid0(VALU_DEP_1) | instskip(SKIP_1) | instid1(VALU_DEP_1)
	v_fmac_f32_e32 v123, v124, v123
	v_div_scale_f32 v124, vcc_lo, 1.0, v116, 1.0
	v_mul_f32_e32 v125, v124, v123
	s_delay_alu instid0(VALU_DEP_1) | instskip(NEXT) | instid1(VALU_DEP_1)
	v_fma_f32 v126, -v117, v125, v124
	v_fmac_f32_e32 v125, v126, v123
	s_delay_alu instid0(VALU_DEP_1) | instskip(NEXT) | instid1(VALU_DEP_1)
	v_fma_f32 v117, -v117, v125, v124
	v_div_fmas_f32 v117, v117, v123, v125
	s_delay_alu instid0(VALU_DEP_1) | instskip(NEXT) | instid1(VALU_DEP_1)
	v_div_fixup_f32 v116, v117, v116, 1.0
	v_mul_f32_e64 v117, v115, -v116
.LBB106_534:
	s_or_b32 exec_lo, exec_lo, s1
.LBB106_535:
	s_delay_alu instid0(SALU_CYCLE_1) | instskip(NEXT) | instid1(SALU_CYCLE_1)
	s_or_b32 exec_lo, exec_lo, s0
	s_mov_b32 s0, exec_lo
	v_cmpx_ne_u32_e64 v122, v114
	s_xor_b32 s0, exec_lo, s0
	s_cbranch_execz .LBB106_541
; %bb.536:
	s_mov_b32 s1, exec_lo
	v_cmpx_eq_u32_e32 25, v122
	s_cbranch_execz .LBB106_540
; %bb.537:
	v_cmp_ne_u32_e32 vcc_lo, 25, v114
	s_xor_b32 s12, s16, -1
	s_delay_alu instid0(SALU_CYCLE_1) | instskip(NEXT) | instid1(SALU_CYCLE_1)
	s_and_b32 s13, s12, vcc_lo
	s_and_saveexec_b32 s12, s13
	s_cbranch_execz .LBB106_539
; %bb.538:
	v_ashrrev_i32_e32 v115, 31, v114
	s_delay_alu instid0(VALU_DEP_1)
	v_lshl_add_u64 v[122:123], v[114:115], 2, v[4:5]
	s_clause 0x1
	global_load_b32 v115, v[122:123], off
	global_load_b32 v121, v[4:5], off offset:100
	s_wait_loadcnt 0x1
	global_store_b32 v[4:5], v115, off offset:100
	s_wait_loadcnt 0x0
	global_store_b32 v[122:123], v121, off
.LBB106_539:
	s_wait_xcnt 0x0
	s_or_b32 exec_lo, exec_lo, s12
	v_dual_mov_b32 v122, v114 :: v_dual_mov_b32 v121, v114
.LBB106_540:
	s_or_b32 exec_lo, exec_lo, s1
.LBB106_541:
	s_and_not1_saveexec_b32 s0, s0
	s_cbranch_execz .LBB106_543
; %bb.542:
	v_dual_mov_b32 v114, v54 :: v_dual_mov_b32 v115, v55
	v_dual_mov_b32 v122, v50 :: v_dual_mov_b32 v123, v51
	;; [unrolled: 1-line block ×8, first 2 shown]
	ds_store_2addr_b64 v118, v[114:115], v[122:123] offset0:26 offset1:27
	ds_store_2addr_b64 v118, v[124:125], v[126:127] offset0:28 offset1:29
	;; [unrolled: 1-line block ×4, first 2 shown]
	v_dual_mov_b32 v114, v34 :: v_dual_mov_b32 v115, v35
	v_dual_mov_b32 v122, v30 :: v_dual_mov_b32 v123, v31
	;; [unrolled: 1-line block ×12, first 2 shown]
	ds_store_2addr_b64 v118, v[114:115], v[122:123] offset0:34 offset1:35
	ds_store_2addr_b64 v118, v[124:125], v[126:127] offset0:36 offset1:37
	;; [unrolled: 1-line block ×6, first 2 shown]
	v_dual_mov_b32 v114, v12 :: v_dual_mov_b32 v115, v13
	v_dual_mov_b32 v124, v8 :: v_dual_mov_b32 v125, v9
	;; [unrolled: 1-line block ×7, first 2 shown]
	v_mov_b32_e32 v135, v15
	ds_store_2addr_b64 v118, v[114:115], v[124:125] offset0:46 offset1:47
	ds_store_2addr_b64 v118, v[126:127], v[128:129] offset0:48 offset1:49
	;; [unrolled: 1-line block ×4, first 2 shown]
.LBB106_543:
	s_or_b32 exec_lo, exec_lo, s0
	s_delay_alu instid0(SALU_CYCLE_1)
	s_mov_b32 s0, exec_lo
	s_wait_storecnt_dscnt 0x0
	s_barrier_signal -1
	s_barrier_wait -1
	v_cmpx_lt_i32_e32 25, v122
	s_cbranch_execz .LBB106_545
; %bb.544:
	v_pk_mul_f32 v[124:125], v[116:117], v[52:53] op_sel:[1,1] op_sel_hi:[0,1]
	s_delay_alu instid0(VALU_DEP_1)
	v_pk_fma_f32 v[114:115], v[116:117], v[52:53], v[124:125] op_sel_hi:[1,0,1] neg_lo:[0,0,1] neg_hi:[0,0,1]
	v_pk_fma_f32 v[116:117], v[116:117], v[52:53], v[124:125] op_sel_hi:[1,0,1]
	ds_load_2addr_b64 v[124:127], v118 offset0:26 offset1:27
	v_dual_mov_b32 v52, v114 :: v_dual_mov_b32 v53, v117
	s_wait_dscnt 0x0
	v_pk_mul_f32 v[128:129], v[124:125], v[116:117] op_sel:[0,1]
	s_delay_alu instid0(VALU_DEP_1) | instskip(SKIP_1) | instid1(VALU_DEP_1)
	v_pk_fma_f32 v[130:131], v[124:125], v[114:115], v[128:129] op_sel:[0,0,1] op_sel_hi:[1,1,0] neg_lo:[0,0,1] neg_hi:[0,0,1]
	v_pk_fma_f32 v[124:125], v[124:125], v[114:115], v[128:129] op_sel:[0,0,1] op_sel_hi:[1,0,0]
	v_mov_b32_e32 v131, v125
	v_pk_mul_f32 v[124:125], v[126:127], v[116:117] op_sel:[0,1]
	s_delay_alu instid0(VALU_DEP_1) | instskip(SKIP_1) | instid1(VALU_DEP_1)
	v_pk_fma_f32 v[128:129], v[126:127], v[114:115], v[124:125] op_sel:[0,0,1] op_sel_hi:[1,1,0] neg_lo:[0,0,1] neg_hi:[0,0,1]
	v_pk_fma_f32 v[124:125], v[126:127], v[114:115], v[124:125] op_sel:[0,0,1] op_sel_hi:[1,0,0]
	v_mov_b32_e32 v129, v125
	ds_load_2addr_b64 v[124:127], v118 offset0:28 offset1:29
	v_pk_add_f32 v[54:55], v[54:55], v[130:131] neg_lo:[0,1] neg_hi:[0,1]
	v_pk_add_f32 v[50:51], v[50:51], v[128:129] neg_lo:[0,1] neg_hi:[0,1]
	s_wait_dscnt 0x0
	v_pk_mul_f32 v[128:129], v[124:125], v[116:117] op_sel:[0,1]
	s_delay_alu instid0(VALU_DEP_1) | instskip(SKIP_2) | instid1(VALU_DEP_2)
	v_pk_fma_f32 v[130:131], v[124:125], v[114:115], v[128:129] op_sel:[0,0,1] op_sel_hi:[1,1,0] neg_lo:[0,0,1] neg_hi:[0,0,1]
	v_pk_fma_f32 v[124:125], v[124:125], v[114:115], v[128:129] op_sel:[0,0,1] op_sel_hi:[1,0,0]
	v_dual_mul_f32 v128, v127, v117 :: v_dual_mov_b32 v124, v127
	v_dual_mov_b32 v131, v125 :: v_dual_mov_b32 v125, v126
	s_delay_alu instid0(VALU_DEP_2) | instskip(SKIP_1) | instid1(VALU_DEP_3)
	v_pk_fma_f32 v[128:129], v[126:127], v[52:53], v[128:129] op_sel_hi:[1,1,0] neg_lo:[0,0,1] neg_hi:[0,0,1]
	v_mul_f32_e32 v126, v127, v114
	v_pk_add_f32 v[90:91], v[90:91], v[130:131] neg_lo:[0,1] neg_hi:[0,1]
	s_delay_alu instid0(VALU_DEP_2) | instskip(NEXT) | instid1(VALU_DEP_1)
	v_pk_fma_f32 v[124:125], v[124:125], v[52:53], v[126:127] op_sel_hi:[1,1,0]
	v_mov_b32_e32 v129, v125
	ds_load_2addr_b64 v[124:127], v118 offset0:30 offset1:31
	v_pk_add_f32 v[38:39], v[38:39], v[128:129] neg_lo:[0,1] neg_hi:[0,1]
	s_wait_dscnt 0x0
	v_pk_mul_f32 v[128:129], v[124:125], v[116:117] op_sel:[0,1]
	s_delay_alu instid0(VALU_DEP_1) | instskip(SKIP_1) | instid1(VALU_DEP_1)
	v_pk_fma_f32 v[130:131], v[124:125], v[114:115], v[128:129] op_sel:[0,0,1] op_sel_hi:[1,1,0] neg_lo:[0,0,1] neg_hi:[0,0,1]
	v_pk_fma_f32 v[124:125], v[124:125], v[114:115], v[128:129] op_sel:[0,0,1] op_sel_hi:[1,0,0]
	v_mov_b32_e32 v131, v125
	v_pk_mul_f32 v[124:125], v[126:127], v[116:117] op_sel:[0,1]
	s_delay_alu instid0(VALU_DEP_1) | instskip(SKIP_1) | instid1(VALU_DEP_1)
	v_pk_fma_f32 v[128:129], v[126:127], v[114:115], v[124:125] op_sel:[0,0,1] op_sel_hi:[1,1,0] neg_lo:[0,0,1] neg_hi:[0,0,1]
	v_pk_fma_f32 v[124:125], v[126:127], v[114:115], v[124:125] op_sel:[0,0,1] op_sel_hi:[1,0,0]
	v_mov_b32_e32 v129, v125
	ds_load_2addr_b64 v[124:127], v118 offset0:32 offset1:33
	v_pk_add_f32 v[40:41], v[40:41], v[130:131] neg_lo:[0,1] neg_hi:[0,1]
	v_pk_add_f32 v[36:37], v[36:37], v[128:129] neg_lo:[0,1] neg_hi:[0,1]
	s_wait_dscnt 0x0
	v_pk_mul_f32 v[128:129], v[124:125], v[116:117] op_sel:[0,1]
	s_delay_alu instid0(VALU_DEP_1) | instskip(SKIP_1) | instid1(VALU_DEP_1)
	v_pk_fma_f32 v[130:131], v[124:125], v[114:115], v[128:129] op_sel:[0,0,1] op_sel_hi:[1,1,0] neg_lo:[0,0,1] neg_hi:[0,0,1]
	v_pk_fma_f32 v[124:125], v[124:125], v[114:115], v[128:129] op_sel:[0,0,1] op_sel_hi:[1,0,0]
	v_mov_b32_e32 v131, v125
	v_pk_mul_f32 v[124:125], v[126:127], v[116:117] op_sel:[0,1]
	s_delay_alu instid0(VALU_DEP_1) | instskip(SKIP_1) | instid1(VALU_DEP_1)
	v_pk_fma_f32 v[128:129], v[126:127], v[114:115], v[124:125] op_sel:[0,0,1] op_sel_hi:[1,1,0] neg_lo:[0,0,1] neg_hi:[0,0,1]
	v_pk_fma_f32 v[124:125], v[126:127], v[114:115], v[124:125] op_sel:[0,0,1] op_sel_hi:[1,0,0]
	v_mov_b32_e32 v129, v125
	ds_load_2addr_b64 v[124:127], v118 offset0:34 offset1:35
	v_pk_add_f32 v[88:89], v[88:89], v[130:131] neg_lo:[0,1] neg_hi:[0,1]
	v_pk_add_f32 v[32:33], v[32:33], v[128:129] neg_lo:[0,1] neg_hi:[0,1]
	s_wait_dscnt 0x0
	v_dual_mul_f32 v128, v125, v117 :: v_dual_mul_f32 v130, v125, v114
	s_delay_alu instid0(VALU_DEP_1) | instskip(NEXT) | instid1(VALU_DEP_2)
	v_pk_fma_f32 v[128:129], v[124:125], v[52:53], v[128:129] op_sel_hi:[1,1,0] neg_lo:[0,0,1] neg_hi:[0,0,1]
	v_pk_fma_f32 v[124:125], v[124:125], v[52:53], v[130:131] op_sel:[1,0,0] op_sel_hi:[0,1,0]
	s_delay_alu instid0(VALU_DEP_1) | instskip(SKIP_1) | instid1(VALU_DEP_2)
	v_mov_b32_e32 v129, v125
	v_pk_mul_f32 v[124:125], v[126:127], v[116:117] op_sel:[0,1]
	v_pk_add_f32 v[34:35], v[34:35], v[128:129] neg_lo:[0,1] neg_hi:[0,1]
	s_delay_alu instid0(VALU_DEP_2) | instskip(SKIP_1) | instid1(VALU_DEP_1)
	v_pk_fma_f32 v[128:129], v[126:127], v[114:115], v[124:125] op_sel:[0,0,1] op_sel_hi:[1,1,0] neg_lo:[0,0,1] neg_hi:[0,0,1]
	v_pk_fma_f32 v[124:125], v[126:127], v[114:115], v[124:125] op_sel:[0,0,1] op_sel_hi:[1,0,0]
	v_mov_b32_e32 v129, v125
	ds_load_2addr_b64 v[124:127], v118 offset0:36 offset1:37
	v_pk_add_f32 v[30:31], v[30:31], v[128:129] neg_lo:[0,1] neg_hi:[0,1]
	s_wait_dscnt 0x0
	v_pk_mul_f32 v[128:129], v[124:125], v[116:117] op_sel:[0,1]
	s_delay_alu instid0(VALU_DEP_1) | instskip(SKIP_1) | instid1(VALU_DEP_1)
	v_pk_fma_f32 v[130:131], v[124:125], v[114:115], v[128:129] op_sel:[0,0,1] op_sel_hi:[1,1,0] neg_lo:[0,0,1] neg_hi:[0,0,1]
	v_pk_fma_f32 v[124:125], v[124:125], v[114:115], v[128:129] op_sel:[0,0,1] op_sel_hi:[1,0,0]
	v_mov_b32_e32 v131, v125
	v_pk_mul_f32 v[124:125], v[126:127], v[116:117] op_sel:[0,1]
	s_delay_alu instid0(VALU_DEP_2) | instskip(NEXT) | instid1(VALU_DEP_2)
	v_pk_add_f32 v[86:87], v[86:87], v[130:131] neg_lo:[0,1] neg_hi:[0,1]
	v_pk_fma_f32 v[128:129], v[126:127], v[114:115], v[124:125] op_sel:[0,0,1] op_sel_hi:[1,1,0] neg_lo:[0,0,1] neg_hi:[0,0,1]
	v_pk_fma_f32 v[124:125], v[126:127], v[114:115], v[124:125] op_sel:[0,0,1] op_sel_hi:[1,0,0]
	s_delay_alu instid0(VALU_DEP_1) | instskip(SKIP_4) | instid1(VALU_DEP_1)
	v_mov_b32_e32 v129, v125
	ds_load_2addr_b64 v[124:127], v118 offset0:38 offset1:39
	v_pk_add_f32 v[24:25], v[24:25], v[128:129] neg_lo:[0,1] neg_hi:[0,1]
	s_wait_dscnt 0x0
	v_pk_mul_f32 v[128:129], v[124:125], v[116:117] op_sel:[0,1]
	v_pk_fma_f32 v[130:131], v[124:125], v[114:115], v[128:129] op_sel:[0,0,1] op_sel_hi:[1,1,0] neg_lo:[0,0,1] neg_hi:[0,0,1]
	v_pk_fma_f32 v[124:125], v[124:125], v[114:115], v[128:129] op_sel:[0,0,1] op_sel_hi:[1,0,0]
	v_dual_mul_f32 v128, v127, v117 :: v_dual_mov_b32 v124, v127
	s_delay_alu instid0(VALU_DEP_2) | instskip(NEXT) | instid1(VALU_DEP_2)
	v_dual_mov_b32 v131, v125 :: v_dual_mov_b32 v125, v126
	v_pk_fma_f32 v[128:129], v[126:127], v[52:53], v[128:129] op_sel_hi:[1,1,0] neg_lo:[0,0,1] neg_hi:[0,0,1]
	v_mul_f32_e32 v126, v127, v114
	s_delay_alu instid0(VALU_DEP_3) | instskip(NEXT) | instid1(VALU_DEP_2)
	v_pk_add_f32 v[26:27], v[26:27], v[130:131] neg_lo:[0,1] neg_hi:[0,1]
	v_pk_fma_f32 v[124:125], v[124:125], v[52:53], v[126:127] op_sel_hi:[1,1,0]
	s_delay_alu instid0(VALU_DEP_1) | instskip(SKIP_4) | instid1(VALU_DEP_1)
	v_mov_b32_e32 v129, v125
	ds_load_2addr_b64 v[124:127], v118 offset0:40 offset1:41
	v_pk_add_f32 v[22:23], v[22:23], v[128:129] neg_lo:[0,1] neg_hi:[0,1]
	s_wait_dscnt 0x0
	v_pk_mul_f32 v[128:129], v[124:125], v[116:117] op_sel:[0,1]
	v_pk_fma_f32 v[130:131], v[124:125], v[114:115], v[128:129] op_sel:[0,0,1] op_sel_hi:[1,1,0] neg_lo:[0,0,1] neg_hi:[0,0,1]
	v_pk_fma_f32 v[124:125], v[124:125], v[114:115], v[128:129] op_sel:[0,0,1] op_sel_hi:[1,0,0]
	s_delay_alu instid0(VALU_DEP_1) | instskip(SKIP_1) | instid1(VALU_DEP_1)
	v_mov_b32_e32 v131, v125
	v_pk_mul_f32 v[124:125], v[126:127], v[116:117] op_sel:[0,1]
	v_pk_fma_f32 v[128:129], v[126:127], v[114:115], v[124:125] op_sel:[0,0,1] op_sel_hi:[1,1,0] neg_lo:[0,0,1] neg_hi:[0,0,1]
	v_pk_fma_f32 v[124:125], v[126:127], v[114:115], v[124:125] op_sel:[0,0,1] op_sel_hi:[1,0,0]
	s_delay_alu instid0(VALU_DEP_1)
	v_mov_b32_e32 v129, v125
	ds_load_2addr_b64 v[124:127], v118 offset0:42 offset1:43
	v_pk_add_f32 v[84:85], v[84:85], v[130:131] neg_lo:[0,1] neg_hi:[0,1]
	v_pk_add_f32 v[18:19], v[18:19], v[128:129] neg_lo:[0,1] neg_hi:[0,1]
	s_wait_dscnt 0x0
	v_pk_mul_f32 v[128:129], v[124:125], v[116:117] op_sel:[0,1]
	s_delay_alu instid0(VALU_DEP_1) | instskip(SKIP_1) | instid1(VALU_DEP_1)
	v_pk_fma_f32 v[130:131], v[124:125], v[114:115], v[128:129] op_sel:[0,0,1] op_sel_hi:[1,1,0] neg_lo:[0,0,1] neg_hi:[0,0,1]
	v_pk_fma_f32 v[124:125], v[124:125], v[114:115], v[128:129] op_sel:[0,0,1] op_sel_hi:[1,0,0]
	v_mov_b32_e32 v131, v125
	v_pk_mul_f32 v[124:125], v[126:127], v[116:117] op_sel:[0,1]
	s_delay_alu instid0(VALU_DEP_1) | instskip(SKIP_1) | instid1(VALU_DEP_1)
	v_pk_fma_f32 v[128:129], v[126:127], v[114:115], v[124:125] op_sel:[0,0,1] op_sel_hi:[1,1,0] neg_lo:[0,0,1] neg_hi:[0,0,1]
	v_pk_fma_f32 v[124:125], v[126:127], v[114:115], v[124:125] op_sel:[0,0,1] op_sel_hi:[1,0,0]
	v_mov_b32_e32 v129, v125
	ds_load_2addr_b64 v[124:127], v118 offset0:44 offset1:45
	v_pk_add_f32 v[20:21], v[20:21], v[130:131] neg_lo:[0,1] neg_hi:[0,1]
	v_pk_add_f32 v[16:17], v[16:17], v[128:129] neg_lo:[0,1] neg_hi:[0,1]
	s_wait_dscnt 0x0
	v_dual_mul_f32 v128, v125, v117 :: v_dual_mul_f32 v130, v125, v114
	s_delay_alu instid0(VALU_DEP_1) | instskip(NEXT) | instid1(VALU_DEP_2)
	v_pk_fma_f32 v[128:129], v[124:125], v[52:53], v[128:129] op_sel_hi:[1,1,0] neg_lo:[0,0,1] neg_hi:[0,0,1]
	v_pk_fma_f32 v[124:125], v[124:125], v[52:53], v[130:131] op_sel:[1,0,0] op_sel_hi:[0,1,0]
	s_delay_alu instid0(VALU_DEP_1) | instskip(SKIP_1) | instid1(VALU_DEP_2)
	v_mov_b32_e32 v129, v125
	v_pk_mul_f32 v[124:125], v[126:127], v[116:117] op_sel:[0,1]
	v_pk_add_f32 v[82:83], v[82:83], v[128:129] neg_lo:[0,1] neg_hi:[0,1]
	s_delay_alu instid0(VALU_DEP_2) | instskip(SKIP_1) | instid1(VALU_DEP_1)
	v_pk_fma_f32 v[128:129], v[126:127], v[114:115], v[124:125] op_sel:[0,0,1] op_sel_hi:[1,1,0] neg_lo:[0,0,1] neg_hi:[0,0,1]
	v_pk_fma_f32 v[124:125], v[126:127], v[114:115], v[124:125] op_sel:[0,0,1] op_sel_hi:[1,0,0]
	v_mov_b32_e32 v129, v125
	ds_load_2addr_b64 v[124:127], v118 offset0:46 offset1:47
	v_pk_add_f32 v[10:11], v[10:11], v[128:129] neg_lo:[0,1] neg_hi:[0,1]
	s_wait_dscnt 0x0
	v_pk_mul_f32 v[128:129], v[124:125], v[116:117] op_sel:[0,1]
	s_delay_alu instid0(VALU_DEP_1) | instskip(SKIP_1) | instid1(VALU_DEP_1)
	v_pk_fma_f32 v[130:131], v[124:125], v[114:115], v[128:129] op_sel:[0,0,1] op_sel_hi:[1,1,0] neg_lo:[0,0,1] neg_hi:[0,0,1]
	v_pk_fma_f32 v[124:125], v[124:125], v[114:115], v[128:129] op_sel:[0,0,1] op_sel_hi:[1,0,0]
	v_mov_b32_e32 v131, v125
	v_pk_mul_f32 v[124:125], v[126:127], v[116:117] op_sel:[0,1]
	s_delay_alu instid0(VALU_DEP_2) | instskip(NEXT) | instid1(VALU_DEP_2)
	v_pk_add_f32 v[12:13], v[12:13], v[130:131] neg_lo:[0,1] neg_hi:[0,1]
	v_pk_fma_f32 v[128:129], v[126:127], v[114:115], v[124:125] op_sel:[0,0,1] op_sel_hi:[1,1,0] neg_lo:[0,0,1] neg_hi:[0,0,1]
	v_pk_fma_f32 v[124:125], v[126:127], v[114:115], v[124:125] op_sel:[0,0,1] op_sel_hi:[1,0,0]
	s_delay_alu instid0(VALU_DEP_1) | instskip(SKIP_4) | instid1(VALU_DEP_1)
	v_mov_b32_e32 v129, v125
	ds_load_2addr_b64 v[124:127], v118 offset0:48 offset1:49
	v_pk_add_f32 v[8:9], v[8:9], v[128:129] neg_lo:[0,1] neg_hi:[0,1]
	s_wait_dscnt 0x0
	v_pk_mul_f32 v[128:129], v[124:125], v[116:117] op_sel:[0,1]
	v_pk_fma_f32 v[130:131], v[124:125], v[114:115], v[128:129] op_sel:[0,0,1] op_sel_hi:[1,1,0] neg_lo:[0,0,1] neg_hi:[0,0,1]
	v_pk_fma_f32 v[124:125], v[124:125], v[114:115], v[128:129] op_sel:[0,0,1] op_sel_hi:[1,0,0]
	v_dual_mul_f32 v128, v127, v117 :: v_dual_mov_b32 v124, v127
	s_delay_alu instid0(VALU_DEP_2) | instskip(NEXT) | instid1(VALU_DEP_2)
	v_dual_mov_b32 v131, v125 :: v_dual_mov_b32 v125, v126
	v_pk_fma_f32 v[128:129], v[126:127], v[52:53], v[128:129] op_sel_hi:[1,1,0] neg_lo:[0,0,1] neg_hi:[0,0,1]
	v_mul_f32_e32 v126, v127, v114
	s_delay_alu instid0(VALU_DEP_3) | instskip(NEXT) | instid1(VALU_DEP_2)
	v_pk_add_f32 v[66:67], v[66:67], v[130:131] neg_lo:[0,1] neg_hi:[0,1]
	v_pk_fma_f32 v[124:125], v[124:125], v[52:53], v[126:127] op_sel_hi:[1,1,0]
	s_delay_alu instid0(VALU_DEP_1) | instskip(SKIP_4) | instid1(VALU_DEP_1)
	v_mov_b32_e32 v129, v125
	ds_load_2addr_b64 v[124:127], v118 offset0:50 offset1:51
	v_pk_add_f32 v[6:7], v[6:7], v[128:129] neg_lo:[0,1] neg_hi:[0,1]
	s_wait_dscnt 0x0
	v_pk_mul_f32 v[128:129], v[124:125], v[116:117] op_sel:[0,1]
	v_pk_fma_f32 v[130:131], v[124:125], v[114:115], v[128:129] op_sel:[0,0,1] op_sel_hi:[1,1,0] neg_lo:[0,0,1] neg_hi:[0,0,1]
	v_pk_fma_f32 v[124:125], v[124:125], v[114:115], v[128:129] op_sel:[0,0,1] op_sel_hi:[1,0,0]
	s_delay_alu instid0(VALU_DEP_1) | instskip(SKIP_1) | instid1(VALU_DEP_1)
	v_mov_b32_e32 v131, v125
	v_pk_mul_f32 v[124:125], v[126:127], v[116:117] op_sel:[0,1]
	v_pk_fma_f32 v[128:129], v[126:127], v[114:115], v[124:125] op_sel:[0,0,1] op_sel_hi:[1,1,0] neg_lo:[0,0,1] neg_hi:[0,0,1]
	v_pk_fma_f32 v[124:125], v[126:127], v[114:115], v[124:125] op_sel:[0,0,1] op_sel_hi:[1,0,0]
	s_delay_alu instid0(VALU_DEP_1)
	v_mov_b32_e32 v129, v125
	ds_load_2addr_b64 v[124:127], v118 offset0:52 offset1:53
	v_pk_add_f32 v[46:47], v[46:47], v[130:131] neg_lo:[0,1] neg_hi:[0,1]
	v_pk_add_f32 v[28:29], v[28:29], v[128:129] neg_lo:[0,1] neg_hi:[0,1]
	s_wait_dscnt 0x0
	v_pk_mul_f32 v[128:129], v[124:125], v[116:117] op_sel:[0,1]
	v_pk_mul_f32 v[116:117], v[126:127], v[116:117] op_sel:[0,1]
	s_delay_alu instid0(VALU_DEP_2) | instskip(SKIP_1) | instid1(VALU_DEP_1)
	v_pk_fma_f32 v[130:131], v[124:125], v[114:115], v[128:129] op_sel:[0,0,1] op_sel_hi:[1,1,0] neg_lo:[0,0,1] neg_hi:[0,0,1]
	v_pk_fma_f32 v[124:125], v[124:125], v[114:115], v[128:129] op_sel:[0,0,1] op_sel_hi:[1,0,0]
	v_mov_b32_e32 v131, v125
	s_delay_alu instid0(VALU_DEP_4) | instskip(SKIP_1) | instid1(VALU_DEP_1)
	v_pk_fma_f32 v[124:125], v[126:127], v[114:115], v[116:117] op_sel:[0,0,1] op_sel_hi:[1,1,0] neg_lo:[0,0,1] neg_hi:[0,0,1]
	v_pk_fma_f32 v[114:115], v[126:127], v[114:115], v[116:117] op_sel:[0,0,1] op_sel_hi:[1,0,0]
	v_mov_b32_e32 v125, v115
	s_delay_alu instid0(VALU_DEP_4) | instskip(NEXT) | instid1(VALU_DEP_2)
	v_pk_add_f32 v[14:15], v[14:15], v[130:131] neg_lo:[0,1] neg_hi:[0,1]
	v_pk_add_f32 v[112:113], v[112:113], v[124:125] neg_lo:[0,1] neg_hi:[0,1]
.LBB106_545:
	s_or_b32 exec_lo, exec_lo, s0
	v_lshl_add_u32 v114, v122, 3, v118
	s_barrier_signal -1
	s_barrier_wait -1
	ds_store_b64 v114, v[54:55]
	s_wait_dscnt 0x0
	s_barrier_signal -1
	s_barrier_wait -1
	ds_load_b64 v[116:117], v118 offset:208
	v_mov_b32_e32 v114, 26
	s_cmp_lt_i32 s18, 28
	s_cbranch_scc1 .LBB106_548
; %bb.546:
	v_add3_u32 v115, v119, 0, 0xd8
	v_mov_b32_e32 v114, 26
	s_mov_b32 s0, 27
.LBB106_547:                            ; =>This Inner Loop Header: Depth=1
	ds_load_b64 v[124:125], v115
	s_wait_dscnt 0x1
	v_cmp_gt_f32_e32 vcc_lo, 0, v116
	v_cndmask_b32_e64 v126, v116, -v116, vcc_lo
	v_cmp_gt_f32_e32 vcc_lo, 0, v117
	v_cndmask_b32_e64 v128, v117, -v117, vcc_lo
	s_wait_dscnt 0x0
	v_cmp_gt_f32_e32 vcc_lo, 0, v124
	v_cndmask_b32_e64 v127, v124, -v124, vcc_lo
	v_cmp_gt_f32_e32 vcc_lo, 0, v125
	v_cndmask_b32_e64 v129, v125, -v125, vcc_lo
	s_delay_alu instid0(VALU_DEP_1) | instskip(NEXT) | instid1(VALU_DEP_1)
	v_pk_add_f32 v[126:127], v[126:127], v[128:129]
	v_cmp_lt_f32_e32 vcc_lo, v126, v127
	v_dual_add_nc_u32 v115, 8, v115 :: v_dual_cndmask_b32 v117, v117, v125, vcc_lo
	v_cndmask_b32_e32 v116, v116, v124, vcc_lo
	v_cndmask_b32_e64 v114, v114, s0, vcc_lo
	s_add_co_i32 s0, s0, 1
	s_delay_alu instid0(SALU_CYCLE_1)
	s_cmp_lg_u32 s18, s0
	s_cbranch_scc1 .LBB106_547
.LBB106_548:
	s_wait_dscnt 0x0
	v_cmp_eq_f32_e32 vcc_lo, 0, v116
	v_cmp_eq_f32_e64 s0, 0, v117
	s_and_b32 s0, vcc_lo, s0
	s_delay_alu instid0(SALU_CYCLE_1) | instskip(NEXT) | instid1(SALU_CYCLE_1)
	s_and_saveexec_b32 s1, s0
	s_xor_b32 s0, exec_lo, s1
; %bb.549:
	v_cmp_ne_u32_e32 vcc_lo, 0, v120
	v_cndmask_b32_e32 v120, 27, v120, vcc_lo
; %bb.550:
	s_and_not1_saveexec_b32 s0, s0
	s_cbranch_execz .LBB106_556
; %bb.551:
	v_cmp_ngt_f32_e64 s1, |v116|, |v117|
	s_and_saveexec_b32 s12, s1
	s_delay_alu instid0(SALU_CYCLE_1)
	s_xor_b32 s1, exec_lo, s12
	s_cbranch_execz .LBB106_553
; %bb.552:
	v_div_scale_f32 v115, null, v117, v117, v116
	v_div_scale_f32 v125, vcc_lo, v116, v117, v116
	s_delay_alu instid0(VALU_DEP_2) | instskip(SKIP_1) | instid1(TRANS32_DEP_1)
	v_rcp_f32_e32 v123, v115
	v_nop
	v_fma_f32 v124, -v115, v123, 1.0
	s_delay_alu instid0(VALU_DEP_1) | instskip(NEXT) | instid1(VALU_DEP_1)
	v_fmac_f32_e32 v123, v124, v123
	v_mul_f32_e32 v124, v125, v123
	s_delay_alu instid0(VALU_DEP_1) | instskip(NEXT) | instid1(VALU_DEP_1)
	v_fma_f32 v126, -v115, v124, v125
	v_fmac_f32_e32 v124, v126, v123
	s_delay_alu instid0(VALU_DEP_1) | instskip(NEXT) | instid1(VALU_DEP_1)
	v_fma_f32 v115, -v115, v124, v125
	v_div_fmas_f32 v115, v115, v123, v124
	s_delay_alu instid0(VALU_DEP_1) | instskip(NEXT) | instid1(VALU_DEP_1)
	v_div_fixup_f32 v115, v115, v117, v116
	v_fmac_f32_e32 v117, v116, v115
	s_delay_alu instid0(VALU_DEP_1) | instskip(SKIP_1) | instid1(VALU_DEP_2)
	v_div_scale_f32 v116, null, v117, v117, 1.0
	v_div_scale_f32 v125, vcc_lo, 1.0, v117, 1.0
	v_rcp_f32_e32 v123, v116
	v_nop
	s_delay_alu instid0(TRANS32_DEP_1) | instskip(NEXT) | instid1(VALU_DEP_1)
	v_fma_f32 v124, -v116, v123, 1.0
	v_fmac_f32_e32 v123, v124, v123
	s_delay_alu instid0(VALU_DEP_1) | instskip(NEXT) | instid1(VALU_DEP_1)
	v_mul_f32_e32 v124, v125, v123
	v_fma_f32 v126, -v116, v124, v125
	s_delay_alu instid0(VALU_DEP_1) | instskip(NEXT) | instid1(VALU_DEP_1)
	v_fmac_f32_e32 v124, v126, v123
	v_fma_f32 v116, -v116, v124, v125
	s_delay_alu instid0(VALU_DEP_1) | instskip(NEXT) | instid1(VALU_DEP_1)
	v_div_fmas_f32 v116, v116, v123, v124
	v_div_fixup_f32 v117, v116, v117, 1.0
	s_delay_alu instid0(VALU_DEP_1)
	v_mul_f32_e32 v116, v115, v117
	v_xor_b32_e32 v117, 0x80000000, v117
.LBB106_553:
	s_and_not1_saveexec_b32 s1, s1
	s_cbranch_execz .LBB106_555
; %bb.554:
	s_delay_alu instid0(VALU_DEP_1) | instskip(SKIP_1) | instid1(VALU_DEP_2)
	v_div_scale_f32 v115, null, v116, v116, v117
	v_div_scale_f32 v125, vcc_lo, v117, v116, v117
	v_rcp_f32_e32 v123, v115
	v_nop
	s_delay_alu instid0(TRANS32_DEP_1) | instskip(NEXT) | instid1(VALU_DEP_1)
	v_fma_f32 v124, -v115, v123, 1.0
	v_fmac_f32_e32 v123, v124, v123
	s_delay_alu instid0(VALU_DEP_1) | instskip(NEXT) | instid1(VALU_DEP_1)
	v_mul_f32_e32 v124, v125, v123
	v_fma_f32 v126, -v115, v124, v125
	s_delay_alu instid0(VALU_DEP_1) | instskip(NEXT) | instid1(VALU_DEP_1)
	v_fmac_f32_e32 v124, v126, v123
	v_fma_f32 v115, -v115, v124, v125
	s_delay_alu instid0(VALU_DEP_1) | instskip(NEXT) | instid1(VALU_DEP_1)
	v_div_fmas_f32 v115, v115, v123, v124
	v_div_fixup_f32 v115, v115, v116, v117
	s_delay_alu instid0(VALU_DEP_1) | instskip(NEXT) | instid1(VALU_DEP_1)
	v_fmac_f32_e32 v116, v117, v115
	v_div_scale_f32 v117, null, v116, v116, 1.0
	s_delay_alu instid0(VALU_DEP_1) | instskip(SKIP_1) | instid1(TRANS32_DEP_1)
	v_rcp_f32_e32 v123, v117
	v_nop
	v_fma_f32 v124, -v117, v123, 1.0
	s_delay_alu instid0(VALU_DEP_1) | instskip(SKIP_1) | instid1(VALU_DEP_1)
	v_fmac_f32_e32 v123, v124, v123
	v_div_scale_f32 v124, vcc_lo, 1.0, v116, 1.0
	v_mul_f32_e32 v125, v124, v123
	s_delay_alu instid0(VALU_DEP_1) | instskip(NEXT) | instid1(VALU_DEP_1)
	v_fma_f32 v126, -v117, v125, v124
	v_fmac_f32_e32 v125, v126, v123
	s_delay_alu instid0(VALU_DEP_1) | instskip(NEXT) | instid1(VALU_DEP_1)
	v_fma_f32 v117, -v117, v125, v124
	v_div_fmas_f32 v117, v117, v123, v125
	s_delay_alu instid0(VALU_DEP_1) | instskip(NEXT) | instid1(VALU_DEP_1)
	v_div_fixup_f32 v116, v117, v116, 1.0
	v_mul_f32_e64 v117, v115, -v116
.LBB106_555:
	s_or_b32 exec_lo, exec_lo, s1
.LBB106_556:
	s_delay_alu instid0(SALU_CYCLE_1) | instskip(NEXT) | instid1(SALU_CYCLE_1)
	s_or_b32 exec_lo, exec_lo, s0
	s_mov_b32 s0, exec_lo
	v_cmpx_ne_u32_e64 v122, v114
	s_xor_b32 s0, exec_lo, s0
	s_cbranch_execz .LBB106_562
; %bb.557:
	s_mov_b32 s1, exec_lo
	v_cmpx_eq_u32_e32 26, v122
	s_cbranch_execz .LBB106_561
; %bb.558:
	v_cmp_ne_u32_e32 vcc_lo, 26, v114
	s_xor_b32 s12, s16, -1
	s_delay_alu instid0(SALU_CYCLE_1) | instskip(NEXT) | instid1(SALU_CYCLE_1)
	s_and_b32 s13, s12, vcc_lo
	s_and_saveexec_b32 s12, s13
	s_cbranch_execz .LBB106_560
; %bb.559:
	v_ashrrev_i32_e32 v115, 31, v114
	s_delay_alu instid0(VALU_DEP_1)
	v_lshl_add_u64 v[122:123], v[114:115], 2, v[4:5]
	s_clause 0x1
	global_load_b32 v115, v[122:123], off
	global_load_b32 v121, v[4:5], off offset:104
	s_wait_loadcnt 0x1
	global_store_b32 v[4:5], v115, off offset:104
	s_wait_loadcnt 0x0
	global_store_b32 v[122:123], v121, off
.LBB106_560:
	s_wait_xcnt 0x0
	s_or_b32 exec_lo, exec_lo, s12
	v_dual_mov_b32 v122, v114 :: v_dual_mov_b32 v121, v114
.LBB106_561:
	s_or_b32 exec_lo, exec_lo, s1
.LBB106_562:
	s_and_not1_saveexec_b32 s0, s0
	s_cbranch_execz .LBB106_564
; %bb.563:
	v_mov_b32_e32 v122, 26
	ds_store_2addr_b64 v118, v[50:51], v[90:91] offset0:27 offset1:28
	ds_store_2addr_b64 v118, v[38:39], v[40:41] offset0:29 offset1:30
	;; [unrolled: 1-line block ×13, first 2 shown]
	ds_store_b64 v118, v[112:113] offset:424
.LBB106_564:
	s_or_b32 exec_lo, exec_lo, s0
	s_delay_alu instid0(SALU_CYCLE_1)
	s_mov_b32 s0, exec_lo
	s_wait_storecnt_dscnt 0x0
	s_barrier_signal -1
	s_barrier_wait -1
	v_cmpx_lt_i32_e32 26, v122
	s_cbranch_execz .LBB106_566
; %bb.565:
	v_pk_mul_f32 v[124:125], v[116:117], v[54:55] op_sel:[1,1] op_sel_hi:[0,1]
	s_delay_alu instid0(VALU_DEP_1)
	v_pk_fma_f32 v[114:115], v[116:117], v[54:55], v[124:125] op_sel_hi:[1,0,1] neg_lo:[0,0,1] neg_hi:[0,0,1]
	v_pk_fma_f32 v[116:117], v[116:117], v[54:55], v[124:125] op_sel_hi:[1,0,1]
	ds_load_2addr_b64 v[124:127], v118 offset0:27 offset1:28
	v_dual_mov_b32 v54, v114 :: v_dual_mov_b32 v55, v117
	s_wait_dscnt 0x0
	v_pk_mul_f32 v[128:129], v[124:125], v[116:117] op_sel:[0,1]
	s_delay_alu instid0(VALU_DEP_1) | instskip(SKIP_1) | instid1(VALU_DEP_1)
	v_pk_fma_f32 v[130:131], v[124:125], v[114:115], v[128:129] op_sel:[0,0,1] op_sel_hi:[1,1,0] neg_lo:[0,0,1] neg_hi:[0,0,1]
	v_pk_fma_f32 v[124:125], v[124:125], v[114:115], v[128:129] op_sel:[0,0,1] op_sel_hi:[1,0,0]
	v_mov_b32_e32 v131, v125
	v_pk_mul_f32 v[124:125], v[126:127], v[116:117] op_sel:[0,1]
	s_delay_alu instid0(VALU_DEP_1) | instskip(SKIP_1) | instid1(VALU_DEP_1)
	v_pk_fma_f32 v[128:129], v[126:127], v[114:115], v[124:125] op_sel:[0,0,1] op_sel_hi:[1,1,0] neg_lo:[0,0,1] neg_hi:[0,0,1]
	v_pk_fma_f32 v[124:125], v[126:127], v[114:115], v[124:125] op_sel:[0,0,1] op_sel_hi:[1,0,0]
	v_mov_b32_e32 v129, v125
	ds_load_2addr_b64 v[124:127], v118 offset0:29 offset1:30
	v_pk_add_f32 v[50:51], v[50:51], v[130:131] neg_lo:[0,1] neg_hi:[0,1]
	v_pk_add_f32 v[90:91], v[90:91], v[128:129] neg_lo:[0,1] neg_hi:[0,1]
	s_wait_dscnt 0x0
	v_pk_mul_f32 v[128:129], v[124:125], v[116:117] op_sel:[0,1]
	s_delay_alu instid0(VALU_DEP_1) | instskip(SKIP_2) | instid1(VALU_DEP_2)
	v_pk_fma_f32 v[130:131], v[124:125], v[114:115], v[128:129] op_sel:[0,0,1] op_sel_hi:[1,1,0] neg_lo:[0,0,1] neg_hi:[0,0,1]
	v_pk_fma_f32 v[124:125], v[124:125], v[114:115], v[128:129] op_sel:[0,0,1] op_sel_hi:[1,0,0]
	v_dual_mul_f32 v128, v127, v117 :: v_dual_mov_b32 v124, v127
	v_dual_mov_b32 v131, v125 :: v_dual_mov_b32 v125, v126
	s_delay_alu instid0(VALU_DEP_2) | instskip(SKIP_1) | instid1(VALU_DEP_3)
	v_pk_fma_f32 v[128:129], v[126:127], v[54:55], v[128:129] op_sel_hi:[1,1,0] neg_lo:[0,0,1] neg_hi:[0,0,1]
	v_mul_f32_e32 v126, v127, v114
	v_pk_add_f32 v[38:39], v[38:39], v[130:131] neg_lo:[0,1] neg_hi:[0,1]
	s_delay_alu instid0(VALU_DEP_2) | instskip(NEXT) | instid1(VALU_DEP_1)
	v_pk_fma_f32 v[124:125], v[124:125], v[54:55], v[126:127] op_sel_hi:[1,1,0]
	v_mov_b32_e32 v129, v125
	ds_load_2addr_b64 v[124:127], v118 offset0:31 offset1:32
	v_pk_add_f32 v[40:41], v[40:41], v[128:129] neg_lo:[0,1] neg_hi:[0,1]
	s_wait_dscnt 0x0
	v_pk_mul_f32 v[128:129], v[124:125], v[116:117] op_sel:[0,1]
	s_delay_alu instid0(VALU_DEP_1) | instskip(SKIP_1) | instid1(VALU_DEP_1)
	v_pk_fma_f32 v[130:131], v[124:125], v[114:115], v[128:129] op_sel:[0,0,1] op_sel_hi:[1,1,0] neg_lo:[0,0,1] neg_hi:[0,0,1]
	v_pk_fma_f32 v[124:125], v[124:125], v[114:115], v[128:129] op_sel:[0,0,1] op_sel_hi:[1,0,0]
	v_mov_b32_e32 v131, v125
	v_pk_mul_f32 v[124:125], v[126:127], v[116:117] op_sel:[0,1]
	s_delay_alu instid0(VALU_DEP_1) | instskip(SKIP_1) | instid1(VALU_DEP_1)
	v_pk_fma_f32 v[128:129], v[126:127], v[114:115], v[124:125] op_sel:[0,0,1] op_sel_hi:[1,1,0] neg_lo:[0,0,1] neg_hi:[0,0,1]
	v_pk_fma_f32 v[124:125], v[126:127], v[114:115], v[124:125] op_sel:[0,0,1] op_sel_hi:[1,0,0]
	v_mov_b32_e32 v129, v125
	ds_load_2addr_b64 v[124:127], v118 offset0:33 offset1:34
	v_pk_add_f32 v[36:37], v[36:37], v[130:131] neg_lo:[0,1] neg_hi:[0,1]
	v_pk_add_f32 v[88:89], v[88:89], v[128:129] neg_lo:[0,1] neg_hi:[0,1]
	s_wait_dscnt 0x0
	v_pk_mul_f32 v[128:129], v[124:125], v[116:117] op_sel:[0,1]
	s_delay_alu instid0(VALU_DEP_1) | instskip(SKIP_1) | instid1(VALU_DEP_1)
	v_pk_fma_f32 v[130:131], v[124:125], v[114:115], v[128:129] op_sel:[0,0,1] op_sel_hi:[1,1,0] neg_lo:[0,0,1] neg_hi:[0,0,1]
	v_pk_fma_f32 v[124:125], v[124:125], v[114:115], v[128:129] op_sel:[0,0,1] op_sel_hi:[1,0,0]
	v_mov_b32_e32 v131, v125
	v_pk_mul_f32 v[124:125], v[126:127], v[116:117] op_sel:[0,1]
	s_delay_alu instid0(VALU_DEP_1) | instskip(SKIP_1) | instid1(VALU_DEP_1)
	v_pk_fma_f32 v[128:129], v[126:127], v[114:115], v[124:125] op_sel:[0,0,1] op_sel_hi:[1,1,0] neg_lo:[0,0,1] neg_hi:[0,0,1]
	v_pk_fma_f32 v[124:125], v[126:127], v[114:115], v[124:125] op_sel:[0,0,1] op_sel_hi:[1,0,0]
	v_mov_b32_e32 v129, v125
	ds_load_2addr_b64 v[124:127], v118 offset0:35 offset1:36
	v_pk_add_f32 v[32:33], v[32:33], v[130:131] neg_lo:[0,1] neg_hi:[0,1]
	v_pk_add_f32 v[34:35], v[34:35], v[128:129] neg_lo:[0,1] neg_hi:[0,1]
	s_wait_dscnt 0x0
	v_dual_mul_f32 v128, v125, v117 :: v_dual_mul_f32 v130, v125, v114
	s_delay_alu instid0(VALU_DEP_1) | instskip(NEXT) | instid1(VALU_DEP_2)
	v_pk_fma_f32 v[128:129], v[124:125], v[54:55], v[128:129] op_sel_hi:[1,1,0] neg_lo:[0,0,1] neg_hi:[0,0,1]
	v_pk_fma_f32 v[124:125], v[124:125], v[54:55], v[130:131] op_sel:[1,0,0] op_sel_hi:[0,1,0]
	s_delay_alu instid0(VALU_DEP_1) | instskip(SKIP_1) | instid1(VALU_DEP_2)
	v_mov_b32_e32 v129, v125
	v_pk_mul_f32 v[124:125], v[126:127], v[116:117] op_sel:[0,1]
	v_pk_add_f32 v[30:31], v[30:31], v[128:129] neg_lo:[0,1] neg_hi:[0,1]
	s_delay_alu instid0(VALU_DEP_2) | instskip(SKIP_1) | instid1(VALU_DEP_1)
	v_pk_fma_f32 v[128:129], v[126:127], v[114:115], v[124:125] op_sel:[0,0,1] op_sel_hi:[1,1,0] neg_lo:[0,0,1] neg_hi:[0,0,1]
	v_pk_fma_f32 v[124:125], v[126:127], v[114:115], v[124:125] op_sel:[0,0,1] op_sel_hi:[1,0,0]
	v_mov_b32_e32 v129, v125
	ds_load_2addr_b64 v[124:127], v118 offset0:37 offset1:38
	v_pk_add_f32 v[86:87], v[86:87], v[128:129] neg_lo:[0,1] neg_hi:[0,1]
	s_wait_dscnt 0x0
	v_pk_mul_f32 v[128:129], v[124:125], v[116:117] op_sel:[0,1]
	s_delay_alu instid0(VALU_DEP_1) | instskip(SKIP_1) | instid1(VALU_DEP_1)
	v_pk_fma_f32 v[130:131], v[124:125], v[114:115], v[128:129] op_sel:[0,0,1] op_sel_hi:[1,1,0] neg_lo:[0,0,1] neg_hi:[0,0,1]
	v_pk_fma_f32 v[124:125], v[124:125], v[114:115], v[128:129] op_sel:[0,0,1] op_sel_hi:[1,0,0]
	v_mov_b32_e32 v131, v125
	v_pk_mul_f32 v[124:125], v[126:127], v[116:117] op_sel:[0,1]
	s_delay_alu instid0(VALU_DEP_2) | instskip(NEXT) | instid1(VALU_DEP_2)
	v_pk_add_f32 v[24:25], v[24:25], v[130:131] neg_lo:[0,1] neg_hi:[0,1]
	v_pk_fma_f32 v[128:129], v[126:127], v[114:115], v[124:125] op_sel:[0,0,1] op_sel_hi:[1,1,0] neg_lo:[0,0,1] neg_hi:[0,0,1]
	v_pk_fma_f32 v[124:125], v[126:127], v[114:115], v[124:125] op_sel:[0,0,1] op_sel_hi:[1,0,0]
	s_delay_alu instid0(VALU_DEP_1) | instskip(SKIP_4) | instid1(VALU_DEP_1)
	v_mov_b32_e32 v129, v125
	ds_load_2addr_b64 v[124:127], v118 offset0:39 offset1:40
	v_pk_add_f32 v[26:27], v[26:27], v[128:129] neg_lo:[0,1] neg_hi:[0,1]
	s_wait_dscnt 0x0
	v_pk_mul_f32 v[128:129], v[124:125], v[116:117] op_sel:[0,1]
	v_pk_fma_f32 v[130:131], v[124:125], v[114:115], v[128:129] op_sel:[0,0,1] op_sel_hi:[1,1,0] neg_lo:[0,0,1] neg_hi:[0,0,1]
	v_pk_fma_f32 v[124:125], v[124:125], v[114:115], v[128:129] op_sel:[0,0,1] op_sel_hi:[1,0,0]
	v_dual_mul_f32 v128, v127, v117 :: v_dual_mov_b32 v124, v127
	s_delay_alu instid0(VALU_DEP_2) | instskip(NEXT) | instid1(VALU_DEP_2)
	v_dual_mov_b32 v131, v125 :: v_dual_mov_b32 v125, v126
	v_pk_fma_f32 v[128:129], v[126:127], v[54:55], v[128:129] op_sel_hi:[1,1,0] neg_lo:[0,0,1] neg_hi:[0,0,1]
	v_mul_f32_e32 v126, v127, v114
	s_delay_alu instid0(VALU_DEP_3) | instskip(NEXT) | instid1(VALU_DEP_2)
	v_pk_add_f32 v[22:23], v[22:23], v[130:131] neg_lo:[0,1] neg_hi:[0,1]
	v_pk_fma_f32 v[124:125], v[124:125], v[54:55], v[126:127] op_sel_hi:[1,1,0]
	s_delay_alu instid0(VALU_DEP_1) | instskip(SKIP_4) | instid1(VALU_DEP_1)
	v_mov_b32_e32 v129, v125
	ds_load_2addr_b64 v[124:127], v118 offset0:41 offset1:42
	v_pk_add_f32 v[84:85], v[84:85], v[128:129] neg_lo:[0,1] neg_hi:[0,1]
	s_wait_dscnt 0x0
	v_pk_mul_f32 v[128:129], v[124:125], v[116:117] op_sel:[0,1]
	v_pk_fma_f32 v[130:131], v[124:125], v[114:115], v[128:129] op_sel:[0,0,1] op_sel_hi:[1,1,0] neg_lo:[0,0,1] neg_hi:[0,0,1]
	v_pk_fma_f32 v[124:125], v[124:125], v[114:115], v[128:129] op_sel:[0,0,1] op_sel_hi:[1,0,0]
	s_delay_alu instid0(VALU_DEP_1) | instskip(SKIP_1) | instid1(VALU_DEP_1)
	v_mov_b32_e32 v131, v125
	v_pk_mul_f32 v[124:125], v[126:127], v[116:117] op_sel:[0,1]
	v_pk_fma_f32 v[128:129], v[126:127], v[114:115], v[124:125] op_sel:[0,0,1] op_sel_hi:[1,1,0] neg_lo:[0,0,1] neg_hi:[0,0,1]
	v_pk_fma_f32 v[124:125], v[126:127], v[114:115], v[124:125] op_sel:[0,0,1] op_sel_hi:[1,0,0]
	s_delay_alu instid0(VALU_DEP_1)
	v_mov_b32_e32 v129, v125
	ds_load_2addr_b64 v[124:127], v118 offset0:43 offset1:44
	v_pk_add_f32 v[18:19], v[18:19], v[130:131] neg_lo:[0,1] neg_hi:[0,1]
	v_pk_add_f32 v[20:21], v[20:21], v[128:129] neg_lo:[0,1] neg_hi:[0,1]
	s_wait_dscnt 0x0
	v_pk_mul_f32 v[128:129], v[124:125], v[116:117] op_sel:[0,1]
	s_delay_alu instid0(VALU_DEP_1) | instskip(SKIP_1) | instid1(VALU_DEP_1)
	v_pk_fma_f32 v[130:131], v[124:125], v[114:115], v[128:129] op_sel:[0,0,1] op_sel_hi:[1,1,0] neg_lo:[0,0,1] neg_hi:[0,0,1]
	v_pk_fma_f32 v[124:125], v[124:125], v[114:115], v[128:129] op_sel:[0,0,1] op_sel_hi:[1,0,0]
	v_mov_b32_e32 v131, v125
	v_pk_mul_f32 v[124:125], v[126:127], v[116:117] op_sel:[0,1]
	s_delay_alu instid0(VALU_DEP_1) | instskip(SKIP_1) | instid1(VALU_DEP_1)
	v_pk_fma_f32 v[128:129], v[126:127], v[114:115], v[124:125] op_sel:[0,0,1] op_sel_hi:[1,1,0] neg_lo:[0,0,1] neg_hi:[0,0,1]
	v_pk_fma_f32 v[124:125], v[126:127], v[114:115], v[124:125] op_sel:[0,0,1] op_sel_hi:[1,0,0]
	v_mov_b32_e32 v129, v125
	ds_load_2addr_b64 v[124:127], v118 offset0:45 offset1:46
	v_pk_add_f32 v[16:17], v[16:17], v[130:131] neg_lo:[0,1] neg_hi:[0,1]
	v_pk_add_f32 v[82:83], v[82:83], v[128:129] neg_lo:[0,1] neg_hi:[0,1]
	s_wait_dscnt 0x0
	v_dual_mul_f32 v128, v125, v117 :: v_dual_mul_f32 v130, v125, v114
	s_delay_alu instid0(VALU_DEP_1) | instskip(NEXT) | instid1(VALU_DEP_2)
	v_pk_fma_f32 v[128:129], v[124:125], v[54:55], v[128:129] op_sel_hi:[1,1,0] neg_lo:[0,0,1] neg_hi:[0,0,1]
	v_pk_fma_f32 v[124:125], v[124:125], v[54:55], v[130:131] op_sel:[1,0,0] op_sel_hi:[0,1,0]
	s_delay_alu instid0(VALU_DEP_1) | instskip(SKIP_1) | instid1(VALU_DEP_2)
	v_mov_b32_e32 v129, v125
	v_pk_mul_f32 v[124:125], v[126:127], v[116:117] op_sel:[0,1]
	v_pk_add_f32 v[10:11], v[10:11], v[128:129] neg_lo:[0,1] neg_hi:[0,1]
	s_delay_alu instid0(VALU_DEP_2) | instskip(SKIP_1) | instid1(VALU_DEP_1)
	v_pk_fma_f32 v[128:129], v[126:127], v[114:115], v[124:125] op_sel:[0,0,1] op_sel_hi:[1,1,0] neg_lo:[0,0,1] neg_hi:[0,0,1]
	v_pk_fma_f32 v[124:125], v[126:127], v[114:115], v[124:125] op_sel:[0,0,1] op_sel_hi:[1,0,0]
	v_mov_b32_e32 v129, v125
	ds_load_2addr_b64 v[124:127], v118 offset0:47 offset1:48
	v_pk_add_f32 v[12:13], v[12:13], v[128:129] neg_lo:[0,1] neg_hi:[0,1]
	s_wait_dscnt 0x0
	v_pk_mul_f32 v[128:129], v[124:125], v[116:117] op_sel:[0,1]
	s_delay_alu instid0(VALU_DEP_1) | instskip(SKIP_1) | instid1(VALU_DEP_1)
	v_pk_fma_f32 v[130:131], v[124:125], v[114:115], v[128:129] op_sel:[0,0,1] op_sel_hi:[1,1,0] neg_lo:[0,0,1] neg_hi:[0,0,1]
	v_pk_fma_f32 v[124:125], v[124:125], v[114:115], v[128:129] op_sel:[0,0,1] op_sel_hi:[1,0,0]
	v_mov_b32_e32 v131, v125
	v_pk_mul_f32 v[124:125], v[126:127], v[116:117] op_sel:[0,1]
	s_delay_alu instid0(VALU_DEP_2) | instskip(NEXT) | instid1(VALU_DEP_2)
	v_pk_add_f32 v[8:9], v[8:9], v[130:131] neg_lo:[0,1] neg_hi:[0,1]
	v_pk_fma_f32 v[128:129], v[126:127], v[114:115], v[124:125] op_sel:[0,0,1] op_sel_hi:[1,1,0] neg_lo:[0,0,1] neg_hi:[0,0,1]
	v_pk_fma_f32 v[124:125], v[126:127], v[114:115], v[124:125] op_sel:[0,0,1] op_sel_hi:[1,0,0]
	s_delay_alu instid0(VALU_DEP_1) | instskip(SKIP_4) | instid1(VALU_DEP_1)
	v_mov_b32_e32 v129, v125
	ds_load_2addr_b64 v[124:127], v118 offset0:49 offset1:50
	v_pk_add_f32 v[66:67], v[66:67], v[128:129] neg_lo:[0,1] neg_hi:[0,1]
	s_wait_dscnt 0x0
	v_pk_mul_f32 v[128:129], v[124:125], v[116:117] op_sel:[0,1]
	v_pk_fma_f32 v[130:131], v[124:125], v[114:115], v[128:129] op_sel:[0,0,1] op_sel_hi:[1,1,0] neg_lo:[0,0,1] neg_hi:[0,0,1]
	v_pk_fma_f32 v[124:125], v[124:125], v[114:115], v[128:129] op_sel:[0,0,1] op_sel_hi:[1,0,0]
	v_dual_mul_f32 v128, v127, v117 :: v_dual_mov_b32 v124, v127
	s_delay_alu instid0(VALU_DEP_2) | instskip(NEXT) | instid1(VALU_DEP_2)
	v_dual_mov_b32 v131, v125 :: v_dual_mov_b32 v125, v126
	v_pk_fma_f32 v[128:129], v[126:127], v[54:55], v[128:129] op_sel_hi:[1,1,0] neg_lo:[0,0,1] neg_hi:[0,0,1]
	v_mul_f32_e32 v126, v127, v114
	s_delay_alu instid0(VALU_DEP_3) | instskip(NEXT) | instid1(VALU_DEP_2)
	v_pk_add_f32 v[6:7], v[6:7], v[130:131] neg_lo:[0,1] neg_hi:[0,1]
	v_pk_fma_f32 v[124:125], v[124:125], v[54:55], v[126:127] op_sel_hi:[1,1,0]
	s_delay_alu instid0(VALU_DEP_1) | instskip(SKIP_4) | instid1(VALU_DEP_1)
	v_mov_b32_e32 v129, v125
	ds_load_2addr_b64 v[124:127], v118 offset0:51 offset1:52
	v_pk_add_f32 v[46:47], v[46:47], v[128:129] neg_lo:[0,1] neg_hi:[0,1]
	s_wait_dscnt 0x0
	v_pk_mul_f32 v[128:129], v[124:125], v[116:117] op_sel:[0,1]
	v_pk_fma_f32 v[130:131], v[124:125], v[114:115], v[128:129] op_sel:[0,0,1] op_sel_hi:[1,1,0] neg_lo:[0,0,1] neg_hi:[0,0,1]
	v_pk_fma_f32 v[124:125], v[124:125], v[114:115], v[128:129] op_sel:[0,0,1] op_sel_hi:[1,0,0]
	s_delay_alu instid0(VALU_DEP_1) | instskip(SKIP_1) | instid1(VALU_DEP_1)
	v_mov_b32_e32 v131, v125
	v_pk_mul_f32 v[124:125], v[126:127], v[116:117] op_sel:[0,1]
	v_pk_fma_f32 v[128:129], v[126:127], v[114:115], v[124:125] op_sel:[0,0,1] op_sel_hi:[1,1,0] neg_lo:[0,0,1] neg_hi:[0,0,1]
	v_pk_fma_f32 v[124:125], v[126:127], v[114:115], v[124:125] op_sel:[0,0,1] op_sel_hi:[1,0,0]
	s_delay_alu instid0(VALU_DEP_1)
	v_mov_b32_e32 v129, v125
	ds_load_b64 v[124:125], v118 offset:424
	v_pk_add_f32 v[28:29], v[28:29], v[130:131] neg_lo:[0,1] neg_hi:[0,1]
	v_pk_add_f32 v[14:15], v[14:15], v[128:129] neg_lo:[0,1] neg_hi:[0,1]
	s_wait_dscnt 0x0
	v_pk_mul_f32 v[116:117], v[124:125], v[116:117] op_sel:[0,1]
	s_delay_alu instid0(VALU_DEP_1) | instskip(SKIP_1) | instid1(VALU_DEP_1)
	v_pk_fma_f32 v[126:127], v[124:125], v[114:115], v[116:117] op_sel:[0,0,1] op_sel_hi:[1,1,0] neg_lo:[0,0,1] neg_hi:[0,0,1]
	v_pk_fma_f32 v[114:115], v[124:125], v[114:115], v[116:117] op_sel:[0,0,1] op_sel_hi:[1,0,0]
	v_mov_b32_e32 v127, v115
	s_delay_alu instid0(VALU_DEP_1)
	v_pk_add_f32 v[112:113], v[112:113], v[126:127] neg_lo:[0,1] neg_hi:[0,1]
.LBB106_566:
	s_or_b32 exec_lo, exec_lo, s0
	v_lshl_add_u32 v114, v122, 3, v118
	s_barrier_signal -1
	s_barrier_wait -1
	ds_store_b64 v114, v[50:51]
	s_wait_dscnt 0x0
	s_barrier_signal -1
	s_barrier_wait -1
	ds_load_b64 v[116:117], v118 offset:216
	v_mov_b32_e32 v114, 27
	s_cmp_lt_i32 s18, 29
	s_cbranch_scc1 .LBB106_569
; %bb.567:
	v_add3_u32 v115, v119, 0, 0xe0
	v_mov_b32_e32 v114, 27
	s_mov_b32 s0, 28
.LBB106_568:                            ; =>This Inner Loop Header: Depth=1
	ds_load_b64 v[124:125], v115
	s_wait_dscnt 0x1
	v_cmp_gt_f32_e32 vcc_lo, 0, v116
	v_cndmask_b32_e64 v126, v116, -v116, vcc_lo
	v_cmp_gt_f32_e32 vcc_lo, 0, v117
	v_cndmask_b32_e64 v128, v117, -v117, vcc_lo
	s_wait_dscnt 0x0
	v_cmp_gt_f32_e32 vcc_lo, 0, v124
	v_cndmask_b32_e64 v127, v124, -v124, vcc_lo
	v_cmp_gt_f32_e32 vcc_lo, 0, v125
	v_cndmask_b32_e64 v129, v125, -v125, vcc_lo
	s_delay_alu instid0(VALU_DEP_1) | instskip(NEXT) | instid1(VALU_DEP_1)
	v_pk_add_f32 v[126:127], v[126:127], v[128:129]
	v_cmp_lt_f32_e32 vcc_lo, v126, v127
	v_dual_add_nc_u32 v115, 8, v115 :: v_dual_cndmask_b32 v117, v117, v125, vcc_lo
	v_cndmask_b32_e32 v116, v116, v124, vcc_lo
	v_cndmask_b32_e64 v114, v114, s0, vcc_lo
	s_add_co_i32 s0, s0, 1
	s_delay_alu instid0(SALU_CYCLE_1)
	s_cmp_lg_u32 s18, s0
	s_cbranch_scc1 .LBB106_568
.LBB106_569:
	s_wait_dscnt 0x0
	v_cmp_eq_f32_e32 vcc_lo, 0, v116
	v_cmp_eq_f32_e64 s0, 0, v117
	s_and_b32 s0, vcc_lo, s0
	s_delay_alu instid0(SALU_CYCLE_1) | instskip(NEXT) | instid1(SALU_CYCLE_1)
	s_and_saveexec_b32 s1, s0
	s_xor_b32 s0, exec_lo, s1
; %bb.570:
	v_cmp_ne_u32_e32 vcc_lo, 0, v120
	v_cndmask_b32_e32 v120, 28, v120, vcc_lo
; %bb.571:
	s_and_not1_saveexec_b32 s0, s0
	s_cbranch_execz .LBB106_577
; %bb.572:
	v_cmp_ngt_f32_e64 s1, |v116|, |v117|
	s_and_saveexec_b32 s12, s1
	s_delay_alu instid0(SALU_CYCLE_1)
	s_xor_b32 s1, exec_lo, s12
	s_cbranch_execz .LBB106_574
; %bb.573:
	v_div_scale_f32 v115, null, v117, v117, v116
	v_div_scale_f32 v125, vcc_lo, v116, v117, v116
	s_delay_alu instid0(VALU_DEP_2) | instskip(SKIP_1) | instid1(TRANS32_DEP_1)
	v_rcp_f32_e32 v123, v115
	v_nop
	v_fma_f32 v124, -v115, v123, 1.0
	s_delay_alu instid0(VALU_DEP_1) | instskip(NEXT) | instid1(VALU_DEP_1)
	v_fmac_f32_e32 v123, v124, v123
	v_mul_f32_e32 v124, v125, v123
	s_delay_alu instid0(VALU_DEP_1) | instskip(NEXT) | instid1(VALU_DEP_1)
	v_fma_f32 v126, -v115, v124, v125
	v_fmac_f32_e32 v124, v126, v123
	s_delay_alu instid0(VALU_DEP_1) | instskip(NEXT) | instid1(VALU_DEP_1)
	v_fma_f32 v115, -v115, v124, v125
	v_div_fmas_f32 v115, v115, v123, v124
	s_delay_alu instid0(VALU_DEP_1) | instskip(NEXT) | instid1(VALU_DEP_1)
	v_div_fixup_f32 v115, v115, v117, v116
	v_fmac_f32_e32 v117, v116, v115
	s_delay_alu instid0(VALU_DEP_1) | instskip(SKIP_1) | instid1(VALU_DEP_2)
	v_div_scale_f32 v116, null, v117, v117, 1.0
	v_div_scale_f32 v125, vcc_lo, 1.0, v117, 1.0
	v_rcp_f32_e32 v123, v116
	v_nop
	s_delay_alu instid0(TRANS32_DEP_1) | instskip(NEXT) | instid1(VALU_DEP_1)
	v_fma_f32 v124, -v116, v123, 1.0
	v_fmac_f32_e32 v123, v124, v123
	s_delay_alu instid0(VALU_DEP_1) | instskip(NEXT) | instid1(VALU_DEP_1)
	v_mul_f32_e32 v124, v125, v123
	v_fma_f32 v126, -v116, v124, v125
	s_delay_alu instid0(VALU_DEP_1) | instskip(NEXT) | instid1(VALU_DEP_1)
	v_fmac_f32_e32 v124, v126, v123
	v_fma_f32 v116, -v116, v124, v125
	s_delay_alu instid0(VALU_DEP_1) | instskip(NEXT) | instid1(VALU_DEP_1)
	v_div_fmas_f32 v116, v116, v123, v124
	v_div_fixup_f32 v117, v116, v117, 1.0
	s_delay_alu instid0(VALU_DEP_1)
	v_mul_f32_e32 v116, v115, v117
	v_xor_b32_e32 v117, 0x80000000, v117
.LBB106_574:
	s_and_not1_saveexec_b32 s1, s1
	s_cbranch_execz .LBB106_576
; %bb.575:
	s_delay_alu instid0(VALU_DEP_1) | instskip(SKIP_1) | instid1(VALU_DEP_2)
	v_div_scale_f32 v115, null, v116, v116, v117
	v_div_scale_f32 v125, vcc_lo, v117, v116, v117
	v_rcp_f32_e32 v123, v115
	v_nop
	s_delay_alu instid0(TRANS32_DEP_1) | instskip(NEXT) | instid1(VALU_DEP_1)
	v_fma_f32 v124, -v115, v123, 1.0
	v_fmac_f32_e32 v123, v124, v123
	s_delay_alu instid0(VALU_DEP_1) | instskip(NEXT) | instid1(VALU_DEP_1)
	v_mul_f32_e32 v124, v125, v123
	v_fma_f32 v126, -v115, v124, v125
	s_delay_alu instid0(VALU_DEP_1) | instskip(NEXT) | instid1(VALU_DEP_1)
	v_fmac_f32_e32 v124, v126, v123
	v_fma_f32 v115, -v115, v124, v125
	s_delay_alu instid0(VALU_DEP_1) | instskip(NEXT) | instid1(VALU_DEP_1)
	v_div_fmas_f32 v115, v115, v123, v124
	v_div_fixup_f32 v115, v115, v116, v117
	s_delay_alu instid0(VALU_DEP_1) | instskip(NEXT) | instid1(VALU_DEP_1)
	v_fmac_f32_e32 v116, v117, v115
	v_div_scale_f32 v117, null, v116, v116, 1.0
	s_delay_alu instid0(VALU_DEP_1) | instskip(SKIP_1) | instid1(TRANS32_DEP_1)
	v_rcp_f32_e32 v123, v117
	v_nop
	v_fma_f32 v124, -v117, v123, 1.0
	s_delay_alu instid0(VALU_DEP_1) | instskip(SKIP_1) | instid1(VALU_DEP_1)
	v_fmac_f32_e32 v123, v124, v123
	v_div_scale_f32 v124, vcc_lo, 1.0, v116, 1.0
	v_mul_f32_e32 v125, v124, v123
	s_delay_alu instid0(VALU_DEP_1) | instskip(NEXT) | instid1(VALU_DEP_1)
	v_fma_f32 v126, -v117, v125, v124
	v_fmac_f32_e32 v125, v126, v123
	s_delay_alu instid0(VALU_DEP_1) | instskip(NEXT) | instid1(VALU_DEP_1)
	v_fma_f32 v117, -v117, v125, v124
	v_div_fmas_f32 v117, v117, v123, v125
	s_delay_alu instid0(VALU_DEP_1) | instskip(NEXT) | instid1(VALU_DEP_1)
	v_div_fixup_f32 v116, v117, v116, 1.0
	v_mul_f32_e64 v117, v115, -v116
.LBB106_576:
	s_or_b32 exec_lo, exec_lo, s1
.LBB106_577:
	s_delay_alu instid0(SALU_CYCLE_1) | instskip(NEXT) | instid1(SALU_CYCLE_1)
	s_or_b32 exec_lo, exec_lo, s0
	s_mov_b32 s0, exec_lo
	v_cmpx_ne_u32_e64 v122, v114
	s_xor_b32 s0, exec_lo, s0
	s_cbranch_execz .LBB106_583
; %bb.578:
	s_mov_b32 s1, exec_lo
	v_cmpx_eq_u32_e32 27, v122
	s_cbranch_execz .LBB106_582
; %bb.579:
	v_cmp_ne_u32_e32 vcc_lo, 27, v114
	s_xor_b32 s12, s16, -1
	s_delay_alu instid0(SALU_CYCLE_1) | instskip(NEXT) | instid1(SALU_CYCLE_1)
	s_and_b32 s13, s12, vcc_lo
	s_and_saveexec_b32 s12, s13
	s_cbranch_execz .LBB106_581
; %bb.580:
	v_ashrrev_i32_e32 v115, 31, v114
	s_delay_alu instid0(VALU_DEP_1)
	v_lshl_add_u64 v[122:123], v[114:115], 2, v[4:5]
	s_clause 0x1
	global_load_b32 v115, v[122:123], off
	global_load_b32 v121, v[4:5], off offset:108
	s_wait_loadcnt 0x1
	global_store_b32 v[4:5], v115, off offset:108
	s_wait_loadcnt 0x0
	global_store_b32 v[122:123], v121, off
.LBB106_581:
	s_wait_xcnt 0x0
	s_or_b32 exec_lo, exec_lo, s12
	v_dual_mov_b32 v122, v114 :: v_dual_mov_b32 v121, v114
.LBB106_582:
	s_or_b32 exec_lo, exec_lo, s1
.LBB106_583:
	s_and_not1_saveexec_b32 s0, s0
	s_cbranch_execz .LBB106_585
; %bb.584:
	v_dual_mov_b32 v114, v90 :: v_dual_mov_b32 v115, v91
	v_dual_mov_b32 v122, v38 :: v_dual_mov_b32 v123, v39
	;; [unrolled: 1-line block ×4, first 2 shown]
	ds_store_2addr_b64 v118, v[114:115], v[122:123] offset0:28 offset1:29
	ds_store_2addr_b64 v118, v[124:125], v[126:127] offset0:30 offset1:31
	v_dual_mov_b32 v114, v88 :: v_dual_mov_b32 v115, v89
	v_dual_mov_b32 v122, v32 :: v_dual_mov_b32 v123, v33
	;; [unrolled: 1-line block ×12, first 2 shown]
	ds_store_2addr_b64 v118, v[114:115], v[122:123] offset0:32 offset1:33
	ds_store_2addr_b64 v118, v[124:125], v[126:127] offset0:34 offset1:35
	;; [unrolled: 1-line block ×6, first 2 shown]
	v_dual_mov_b32 v114, v82 :: v_dual_mov_b32 v115, v83
	v_dual_mov_b32 v124, v10 :: v_dual_mov_b32 v125, v11
	;; [unrolled: 1-line block ×9, first 2 shown]
	v_mov_b32_e32 v139, v15
	ds_store_2addr_b64 v118, v[114:115], v[124:125] offset0:44 offset1:45
	ds_store_2addr_b64 v118, v[126:127], v[128:129] offset0:46 offset1:47
	;; [unrolled: 1-line block ×5, first 2 shown]
.LBB106_585:
	s_or_b32 exec_lo, exec_lo, s0
	s_delay_alu instid0(SALU_CYCLE_1)
	s_mov_b32 s0, exec_lo
	s_wait_storecnt_dscnt 0x0
	s_barrier_signal -1
	s_barrier_wait -1
	v_cmpx_lt_i32_e32 27, v122
	s_cbranch_execz .LBB106_587
; %bb.586:
	v_pk_mul_f32 v[124:125], v[116:117], v[50:51] op_sel:[1,1] op_sel_hi:[0,1]
	s_delay_alu instid0(VALU_DEP_1)
	v_pk_fma_f32 v[114:115], v[116:117], v[50:51], v[124:125] op_sel_hi:[1,0,1] neg_lo:[0,0,1] neg_hi:[0,0,1]
	v_pk_fma_f32 v[116:117], v[116:117], v[50:51], v[124:125] op_sel_hi:[1,0,1]
	ds_load_2addr_b64 v[124:127], v118 offset0:28 offset1:29
	v_dual_mov_b32 v50, v114 :: v_dual_mov_b32 v51, v117
	s_wait_dscnt 0x0
	v_pk_mul_f32 v[128:129], v[124:125], v[116:117] op_sel:[0,1]
	s_delay_alu instid0(VALU_DEP_1) | instskip(SKIP_1) | instid1(VALU_DEP_1)
	v_pk_fma_f32 v[130:131], v[124:125], v[114:115], v[128:129] op_sel:[0,0,1] op_sel_hi:[1,1,0] neg_lo:[0,0,1] neg_hi:[0,0,1]
	v_pk_fma_f32 v[124:125], v[124:125], v[114:115], v[128:129] op_sel:[0,0,1] op_sel_hi:[1,0,0]
	v_mov_b32_e32 v131, v125
	v_pk_mul_f32 v[124:125], v[126:127], v[116:117] op_sel:[0,1]
	s_delay_alu instid0(VALU_DEP_1) | instskip(SKIP_1) | instid1(VALU_DEP_1)
	v_pk_fma_f32 v[128:129], v[126:127], v[114:115], v[124:125] op_sel:[0,0,1] op_sel_hi:[1,1,0] neg_lo:[0,0,1] neg_hi:[0,0,1]
	v_pk_fma_f32 v[124:125], v[126:127], v[114:115], v[124:125] op_sel:[0,0,1] op_sel_hi:[1,0,0]
	v_mov_b32_e32 v129, v125
	ds_load_2addr_b64 v[124:127], v118 offset0:30 offset1:31
	v_pk_add_f32 v[90:91], v[90:91], v[130:131] neg_lo:[0,1] neg_hi:[0,1]
	v_pk_add_f32 v[38:39], v[38:39], v[128:129] neg_lo:[0,1] neg_hi:[0,1]
	s_wait_dscnt 0x0
	v_pk_mul_f32 v[128:129], v[124:125], v[116:117] op_sel:[0,1]
	s_delay_alu instid0(VALU_DEP_1) | instskip(SKIP_2) | instid1(VALU_DEP_2)
	v_pk_fma_f32 v[130:131], v[124:125], v[114:115], v[128:129] op_sel:[0,0,1] op_sel_hi:[1,1,0] neg_lo:[0,0,1] neg_hi:[0,0,1]
	v_pk_fma_f32 v[124:125], v[124:125], v[114:115], v[128:129] op_sel:[0,0,1] op_sel_hi:[1,0,0]
	v_dual_mul_f32 v128, v127, v117 :: v_dual_mov_b32 v124, v127
	v_dual_mov_b32 v131, v125 :: v_dual_mov_b32 v125, v126
	s_delay_alu instid0(VALU_DEP_2) | instskip(SKIP_1) | instid1(VALU_DEP_3)
	v_pk_fma_f32 v[128:129], v[126:127], v[50:51], v[128:129] op_sel_hi:[1,1,0] neg_lo:[0,0,1] neg_hi:[0,0,1]
	v_mul_f32_e32 v126, v127, v114
	v_pk_add_f32 v[40:41], v[40:41], v[130:131] neg_lo:[0,1] neg_hi:[0,1]
	s_delay_alu instid0(VALU_DEP_2) | instskip(NEXT) | instid1(VALU_DEP_1)
	v_pk_fma_f32 v[124:125], v[124:125], v[50:51], v[126:127] op_sel_hi:[1,1,0]
	v_mov_b32_e32 v129, v125
	ds_load_2addr_b64 v[124:127], v118 offset0:32 offset1:33
	v_pk_add_f32 v[36:37], v[36:37], v[128:129] neg_lo:[0,1] neg_hi:[0,1]
	s_wait_dscnt 0x0
	v_pk_mul_f32 v[128:129], v[124:125], v[116:117] op_sel:[0,1]
	s_delay_alu instid0(VALU_DEP_1) | instskip(SKIP_1) | instid1(VALU_DEP_1)
	v_pk_fma_f32 v[130:131], v[124:125], v[114:115], v[128:129] op_sel:[0,0,1] op_sel_hi:[1,1,0] neg_lo:[0,0,1] neg_hi:[0,0,1]
	v_pk_fma_f32 v[124:125], v[124:125], v[114:115], v[128:129] op_sel:[0,0,1] op_sel_hi:[1,0,0]
	v_mov_b32_e32 v131, v125
	v_pk_mul_f32 v[124:125], v[126:127], v[116:117] op_sel:[0,1]
	s_delay_alu instid0(VALU_DEP_1) | instskip(SKIP_1) | instid1(VALU_DEP_1)
	v_pk_fma_f32 v[128:129], v[126:127], v[114:115], v[124:125] op_sel:[0,0,1] op_sel_hi:[1,1,0] neg_lo:[0,0,1] neg_hi:[0,0,1]
	v_pk_fma_f32 v[124:125], v[126:127], v[114:115], v[124:125] op_sel:[0,0,1] op_sel_hi:[1,0,0]
	v_mov_b32_e32 v129, v125
	ds_load_2addr_b64 v[124:127], v118 offset0:34 offset1:35
	v_pk_add_f32 v[88:89], v[88:89], v[130:131] neg_lo:[0,1] neg_hi:[0,1]
	v_pk_add_f32 v[32:33], v[32:33], v[128:129] neg_lo:[0,1] neg_hi:[0,1]
	s_wait_dscnt 0x0
	v_pk_mul_f32 v[128:129], v[124:125], v[116:117] op_sel:[0,1]
	s_delay_alu instid0(VALU_DEP_1) | instskip(SKIP_1) | instid1(VALU_DEP_1)
	v_pk_fma_f32 v[130:131], v[124:125], v[114:115], v[128:129] op_sel:[0,0,1] op_sel_hi:[1,1,0] neg_lo:[0,0,1] neg_hi:[0,0,1]
	v_pk_fma_f32 v[124:125], v[124:125], v[114:115], v[128:129] op_sel:[0,0,1] op_sel_hi:[1,0,0]
	v_mov_b32_e32 v131, v125
	v_pk_mul_f32 v[124:125], v[126:127], v[116:117] op_sel:[0,1]
	s_delay_alu instid0(VALU_DEP_1) | instskip(SKIP_1) | instid1(VALU_DEP_1)
	v_pk_fma_f32 v[128:129], v[126:127], v[114:115], v[124:125] op_sel:[0,0,1] op_sel_hi:[1,1,0] neg_lo:[0,0,1] neg_hi:[0,0,1]
	v_pk_fma_f32 v[124:125], v[126:127], v[114:115], v[124:125] op_sel:[0,0,1] op_sel_hi:[1,0,0]
	v_mov_b32_e32 v129, v125
	ds_load_2addr_b64 v[124:127], v118 offset0:36 offset1:37
	v_pk_add_f32 v[34:35], v[34:35], v[130:131] neg_lo:[0,1] neg_hi:[0,1]
	v_pk_add_f32 v[30:31], v[30:31], v[128:129] neg_lo:[0,1] neg_hi:[0,1]
	s_wait_dscnt 0x0
	v_dual_mul_f32 v128, v125, v117 :: v_dual_mul_f32 v130, v125, v114
	s_delay_alu instid0(VALU_DEP_1) | instskip(NEXT) | instid1(VALU_DEP_2)
	v_pk_fma_f32 v[128:129], v[124:125], v[50:51], v[128:129] op_sel_hi:[1,1,0] neg_lo:[0,0,1] neg_hi:[0,0,1]
	v_pk_fma_f32 v[124:125], v[124:125], v[50:51], v[130:131] op_sel:[1,0,0] op_sel_hi:[0,1,0]
	s_delay_alu instid0(VALU_DEP_1) | instskip(SKIP_1) | instid1(VALU_DEP_2)
	v_mov_b32_e32 v129, v125
	v_pk_mul_f32 v[124:125], v[126:127], v[116:117] op_sel:[0,1]
	v_pk_add_f32 v[86:87], v[86:87], v[128:129] neg_lo:[0,1] neg_hi:[0,1]
	s_delay_alu instid0(VALU_DEP_2) | instskip(SKIP_1) | instid1(VALU_DEP_1)
	v_pk_fma_f32 v[128:129], v[126:127], v[114:115], v[124:125] op_sel:[0,0,1] op_sel_hi:[1,1,0] neg_lo:[0,0,1] neg_hi:[0,0,1]
	v_pk_fma_f32 v[124:125], v[126:127], v[114:115], v[124:125] op_sel:[0,0,1] op_sel_hi:[1,0,0]
	v_mov_b32_e32 v129, v125
	ds_load_2addr_b64 v[124:127], v118 offset0:38 offset1:39
	v_pk_add_f32 v[24:25], v[24:25], v[128:129] neg_lo:[0,1] neg_hi:[0,1]
	s_wait_dscnt 0x0
	v_pk_mul_f32 v[128:129], v[124:125], v[116:117] op_sel:[0,1]
	s_delay_alu instid0(VALU_DEP_1) | instskip(SKIP_1) | instid1(VALU_DEP_1)
	v_pk_fma_f32 v[130:131], v[124:125], v[114:115], v[128:129] op_sel:[0,0,1] op_sel_hi:[1,1,0] neg_lo:[0,0,1] neg_hi:[0,0,1]
	v_pk_fma_f32 v[124:125], v[124:125], v[114:115], v[128:129] op_sel:[0,0,1] op_sel_hi:[1,0,0]
	v_mov_b32_e32 v131, v125
	v_pk_mul_f32 v[124:125], v[126:127], v[116:117] op_sel:[0,1]
	s_delay_alu instid0(VALU_DEP_2) | instskip(NEXT) | instid1(VALU_DEP_2)
	v_pk_add_f32 v[26:27], v[26:27], v[130:131] neg_lo:[0,1] neg_hi:[0,1]
	v_pk_fma_f32 v[128:129], v[126:127], v[114:115], v[124:125] op_sel:[0,0,1] op_sel_hi:[1,1,0] neg_lo:[0,0,1] neg_hi:[0,0,1]
	v_pk_fma_f32 v[124:125], v[126:127], v[114:115], v[124:125] op_sel:[0,0,1] op_sel_hi:[1,0,0]
	s_delay_alu instid0(VALU_DEP_1) | instskip(SKIP_4) | instid1(VALU_DEP_1)
	v_mov_b32_e32 v129, v125
	ds_load_2addr_b64 v[124:127], v118 offset0:40 offset1:41
	v_pk_add_f32 v[22:23], v[22:23], v[128:129] neg_lo:[0,1] neg_hi:[0,1]
	s_wait_dscnt 0x0
	v_pk_mul_f32 v[128:129], v[124:125], v[116:117] op_sel:[0,1]
	v_pk_fma_f32 v[130:131], v[124:125], v[114:115], v[128:129] op_sel:[0,0,1] op_sel_hi:[1,1,0] neg_lo:[0,0,1] neg_hi:[0,0,1]
	v_pk_fma_f32 v[124:125], v[124:125], v[114:115], v[128:129] op_sel:[0,0,1] op_sel_hi:[1,0,0]
	v_dual_mul_f32 v128, v127, v117 :: v_dual_mov_b32 v124, v127
	s_delay_alu instid0(VALU_DEP_2) | instskip(NEXT) | instid1(VALU_DEP_2)
	v_dual_mov_b32 v131, v125 :: v_dual_mov_b32 v125, v126
	v_pk_fma_f32 v[128:129], v[126:127], v[50:51], v[128:129] op_sel_hi:[1,1,0] neg_lo:[0,0,1] neg_hi:[0,0,1]
	v_mul_f32_e32 v126, v127, v114
	s_delay_alu instid0(VALU_DEP_3) | instskip(NEXT) | instid1(VALU_DEP_2)
	v_pk_add_f32 v[84:85], v[84:85], v[130:131] neg_lo:[0,1] neg_hi:[0,1]
	v_pk_fma_f32 v[124:125], v[124:125], v[50:51], v[126:127] op_sel_hi:[1,1,0]
	s_delay_alu instid0(VALU_DEP_1) | instskip(SKIP_4) | instid1(VALU_DEP_1)
	v_mov_b32_e32 v129, v125
	ds_load_2addr_b64 v[124:127], v118 offset0:42 offset1:43
	v_pk_add_f32 v[18:19], v[18:19], v[128:129] neg_lo:[0,1] neg_hi:[0,1]
	s_wait_dscnt 0x0
	v_pk_mul_f32 v[128:129], v[124:125], v[116:117] op_sel:[0,1]
	v_pk_fma_f32 v[130:131], v[124:125], v[114:115], v[128:129] op_sel:[0,0,1] op_sel_hi:[1,1,0] neg_lo:[0,0,1] neg_hi:[0,0,1]
	v_pk_fma_f32 v[124:125], v[124:125], v[114:115], v[128:129] op_sel:[0,0,1] op_sel_hi:[1,0,0]
	s_delay_alu instid0(VALU_DEP_1) | instskip(SKIP_1) | instid1(VALU_DEP_1)
	v_mov_b32_e32 v131, v125
	v_pk_mul_f32 v[124:125], v[126:127], v[116:117] op_sel:[0,1]
	v_pk_fma_f32 v[128:129], v[126:127], v[114:115], v[124:125] op_sel:[0,0,1] op_sel_hi:[1,1,0] neg_lo:[0,0,1] neg_hi:[0,0,1]
	v_pk_fma_f32 v[124:125], v[126:127], v[114:115], v[124:125] op_sel:[0,0,1] op_sel_hi:[1,0,0]
	s_delay_alu instid0(VALU_DEP_1)
	v_mov_b32_e32 v129, v125
	ds_load_2addr_b64 v[124:127], v118 offset0:44 offset1:45
	v_pk_add_f32 v[20:21], v[20:21], v[130:131] neg_lo:[0,1] neg_hi:[0,1]
	v_pk_add_f32 v[16:17], v[16:17], v[128:129] neg_lo:[0,1] neg_hi:[0,1]
	s_wait_dscnt 0x0
	v_pk_mul_f32 v[128:129], v[124:125], v[116:117] op_sel:[0,1]
	s_delay_alu instid0(VALU_DEP_1) | instskip(SKIP_1) | instid1(VALU_DEP_1)
	v_pk_fma_f32 v[130:131], v[124:125], v[114:115], v[128:129] op_sel:[0,0,1] op_sel_hi:[1,1,0] neg_lo:[0,0,1] neg_hi:[0,0,1]
	v_pk_fma_f32 v[124:125], v[124:125], v[114:115], v[128:129] op_sel:[0,0,1] op_sel_hi:[1,0,0]
	v_mov_b32_e32 v131, v125
	v_pk_mul_f32 v[124:125], v[126:127], v[116:117] op_sel:[0,1]
	s_delay_alu instid0(VALU_DEP_1) | instskip(SKIP_1) | instid1(VALU_DEP_1)
	v_pk_fma_f32 v[128:129], v[126:127], v[114:115], v[124:125] op_sel:[0,0,1] op_sel_hi:[1,1,0] neg_lo:[0,0,1] neg_hi:[0,0,1]
	v_pk_fma_f32 v[124:125], v[126:127], v[114:115], v[124:125] op_sel:[0,0,1] op_sel_hi:[1,0,0]
	v_mov_b32_e32 v129, v125
	ds_load_2addr_b64 v[124:127], v118 offset0:46 offset1:47
	v_pk_add_f32 v[82:83], v[82:83], v[130:131] neg_lo:[0,1] neg_hi:[0,1]
	v_pk_add_f32 v[10:11], v[10:11], v[128:129] neg_lo:[0,1] neg_hi:[0,1]
	s_wait_dscnt 0x0
	v_dual_mul_f32 v128, v125, v117 :: v_dual_mul_f32 v130, v125, v114
	s_delay_alu instid0(VALU_DEP_1) | instskip(NEXT) | instid1(VALU_DEP_2)
	v_pk_fma_f32 v[128:129], v[124:125], v[50:51], v[128:129] op_sel_hi:[1,1,0] neg_lo:[0,0,1] neg_hi:[0,0,1]
	v_pk_fma_f32 v[124:125], v[124:125], v[50:51], v[130:131] op_sel:[1,0,0] op_sel_hi:[0,1,0]
	s_delay_alu instid0(VALU_DEP_1) | instskip(SKIP_1) | instid1(VALU_DEP_2)
	v_mov_b32_e32 v129, v125
	v_pk_mul_f32 v[124:125], v[126:127], v[116:117] op_sel:[0,1]
	v_pk_add_f32 v[12:13], v[12:13], v[128:129] neg_lo:[0,1] neg_hi:[0,1]
	s_delay_alu instid0(VALU_DEP_2) | instskip(SKIP_1) | instid1(VALU_DEP_1)
	v_pk_fma_f32 v[128:129], v[126:127], v[114:115], v[124:125] op_sel:[0,0,1] op_sel_hi:[1,1,0] neg_lo:[0,0,1] neg_hi:[0,0,1]
	v_pk_fma_f32 v[124:125], v[126:127], v[114:115], v[124:125] op_sel:[0,0,1] op_sel_hi:[1,0,0]
	v_mov_b32_e32 v129, v125
	ds_load_2addr_b64 v[124:127], v118 offset0:48 offset1:49
	v_pk_add_f32 v[8:9], v[8:9], v[128:129] neg_lo:[0,1] neg_hi:[0,1]
	s_wait_dscnt 0x0
	v_pk_mul_f32 v[128:129], v[124:125], v[116:117] op_sel:[0,1]
	s_delay_alu instid0(VALU_DEP_1) | instskip(SKIP_1) | instid1(VALU_DEP_1)
	v_pk_fma_f32 v[130:131], v[124:125], v[114:115], v[128:129] op_sel:[0,0,1] op_sel_hi:[1,1,0] neg_lo:[0,0,1] neg_hi:[0,0,1]
	v_pk_fma_f32 v[124:125], v[124:125], v[114:115], v[128:129] op_sel:[0,0,1] op_sel_hi:[1,0,0]
	v_mov_b32_e32 v131, v125
	v_pk_mul_f32 v[124:125], v[126:127], v[116:117] op_sel:[0,1]
	s_delay_alu instid0(VALU_DEP_2) | instskip(NEXT) | instid1(VALU_DEP_2)
	v_pk_add_f32 v[66:67], v[66:67], v[130:131] neg_lo:[0,1] neg_hi:[0,1]
	v_pk_fma_f32 v[128:129], v[126:127], v[114:115], v[124:125] op_sel:[0,0,1] op_sel_hi:[1,1,0] neg_lo:[0,0,1] neg_hi:[0,0,1]
	v_pk_fma_f32 v[124:125], v[126:127], v[114:115], v[124:125] op_sel:[0,0,1] op_sel_hi:[1,0,0]
	s_delay_alu instid0(VALU_DEP_1) | instskip(SKIP_4) | instid1(VALU_DEP_1)
	v_mov_b32_e32 v129, v125
	ds_load_2addr_b64 v[124:127], v118 offset0:50 offset1:51
	v_pk_add_f32 v[6:7], v[6:7], v[128:129] neg_lo:[0,1] neg_hi:[0,1]
	s_wait_dscnt 0x0
	v_pk_mul_f32 v[128:129], v[124:125], v[116:117] op_sel:[0,1]
	v_pk_fma_f32 v[130:131], v[124:125], v[114:115], v[128:129] op_sel:[0,0,1] op_sel_hi:[1,1,0] neg_lo:[0,0,1] neg_hi:[0,0,1]
	v_pk_fma_f32 v[124:125], v[124:125], v[114:115], v[128:129] op_sel:[0,0,1] op_sel_hi:[1,0,0]
	v_dual_mul_f32 v128, v127, v117 :: v_dual_mov_b32 v124, v127
	s_delay_alu instid0(VALU_DEP_2) | instskip(NEXT) | instid1(VALU_DEP_2)
	v_dual_mov_b32 v131, v125 :: v_dual_mov_b32 v125, v126
	v_pk_fma_f32 v[128:129], v[126:127], v[50:51], v[128:129] op_sel_hi:[1,1,0] neg_lo:[0,0,1] neg_hi:[0,0,1]
	v_mul_f32_e32 v126, v127, v114
	s_delay_alu instid0(VALU_DEP_3) | instskip(NEXT) | instid1(VALU_DEP_2)
	v_pk_add_f32 v[46:47], v[46:47], v[130:131] neg_lo:[0,1] neg_hi:[0,1]
	v_pk_fma_f32 v[124:125], v[124:125], v[50:51], v[126:127] op_sel_hi:[1,1,0]
	s_delay_alu instid0(VALU_DEP_1)
	v_mov_b32_e32 v129, v125
	ds_load_2addr_b64 v[124:127], v118 offset0:52 offset1:53
	v_pk_add_f32 v[28:29], v[28:29], v[128:129] neg_lo:[0,1] neg_hi:[0,1]
	s_wait_dscnt 0x0
	v_pk_mul_f32 v[128:129], v[124:125], v[116:117] op_sel:[0,1]
	v_pk_mul_f32 v[116:117], v[126:127], v[116:117] op_sel:[0,1]
	s_delay_alu instid0(VALU_DEP_2) | instskip(SKIP_1) | instid1(VALU_DEP_1)
	v_pk_fma_f32 v[130:131], v[124:125], v[114:115], v[128:129] op_sel:[0,0,1] op_sel_hi:[1,1,0] neg_lo:[0,0,1] neg_hi:[0,0,1]
	v_pk_fma_f32 v[124:125], v[124:125], v[114:115], v[128:129] op_sel:[0,0,1] op_sel_hi:[1,0,0]
	v_mov_b32_e32 v131, v125
	s_delay_alu instid0(VALU_DEP_4) | instskip(SKIP_1) | instid1(VALU_DEP_1)
	v_pk_fma_f32 v[124:125], v[126:127], v[114:115], v[116:117] op_sel:[0,0,1] op_sel_hi:[1,1,0] neg_lo:[0,0,1] neg_hi:[0,0,1]
	v_pk_fma_f32 v[114:115], v[126:127], v[114:115], v[116:117] op_sel:[0,0,1] op_sel_hi:[1,0,0]
	v_mov_b32_e32 v125, v115
	s_delay_alu instid0(VALU_DEP_4) | instskip(NEXT) | instid1(VALU_DEP_2)
	v_pk_add_f32 v[14:15], v[14:15], v[130:131] neg_lo:[0,1] neg_hi:[0,1]
	v_pk_add_f32 v[112:113], v[112:113], v[124:125] neg_lo:[0,1] neg_hi:[0,1]
.LBB106_587:
	s_or_b32 exec_lo, exec_lo, s0
	v_lshl_add_u32 v114, v122, 3, v118
	s_barrier_signal -1
	s_barrier_wait -1
	ds_store_b64 v114, v[90:91]
	s_wait_dscnt 0x0
	s_barrier_signal -1
	s_barrier_wait -1
	ds_load_b64 v[116:117], v118 offset:224
	v_mov_b32_e32 v114, 28
	s_cmp_lt_i32 s18, 30
	s_cbranch_scc1 .LBB106_590
; %bb.588:
	v_add3_u32 v115, v119, 0, 0xe8
	v_mov_b32_e32 v114, 28
	s_mov_b32 s0, 29
.LBB106_589:                            ; =>This Inner Loop Header: Depth=1
	ds_load_b64 v[124:125], v115
	s_wait_dscnt 0x1
	v_cmp_gt_f32_e32 vcc_lo, 0, v116
	v_cndmask_b32_e64 v126, v116, -v116, vcc_lo
	v_cmp_gt_f32_e32 vcc_lo, 0, v117
	v_cndmask_b32_e64 v128, v117, -v117, vcc_lo
	s_wait_dscnt 0x0
	v_cmp_gt_f32_e32 vcc_lo, 0, v124
	v_cndmask_b32_e64 v127, v124, -v124, vcc_lo
	v_cmp_gt_f32_e32 vcc_lo, 0, v125
	v_cndmask_b32_e64 v129, v125, -v125, vcc_lo
	s_delay_alu instid0(VALU_DEP_1) | instskip(NEXT) | instid1(VALU_DEP_1)
	v_pk_add_f32 v[126:127], v[126:127], v[128:129]
	v_cmp_lt_f32_e32 vcc_lo, v126, v127
	v_dual_add_nc_u32 v115, 8, v115 :: v_dual_cndmask_b32 v117, v117, v125, vcc_lo
	v_cndmask_b32_e32 v116, v116, v124, vcc_lo
	v_cndmask_b32_e64 v114, v114, s0, vcc_lo
	s_add_co_i32 s0, s0, 1
	s_delay_alu instid0(SALU_CYCLE_1)
	s_cmp_lg_u32 s18, s0
	s_cbranch_scc1 .LBB106_589
.LBB106_590:
	s_wait_dscnt 0x0
	v_cmp_eq_f32_e32 vcc_lo, 0, v116
	v_cmp_eq_f32_e64 s0, 0, v117
	s_and_b32 s0, vcc_lo, s0
	s_delay_alu instid0(SALU_CYCLE_1) | instskip(NEXT) | instid1(SALU_CYCLE_1)
	s_and_saveexec_b32 s1, s0
	s_xor_b32 s0, exec_lo, s1
; %bb.591:
	v_cmp_ne_u32_e32 vcc_lo, 0, v120
	v_cndmask_b32_e32 v120, 29, v120, vcc_lo
; %bb.592:
	s_and_not1_saveexec_b32 s0, s0
	s_cbranch_execz .LBB106_598
; %bb.593:
	v_cmp_ngt_f32_e64 s1, |v116|, |v117|
	s_and_saveexec_b32 s12, s1
	s_delay_alu instid0(SALU_CYCLE_1)
	s_xor_b32 s1, exec_lo, s12
	s_cbranch_execz .LBB106_595
; %bb.594:
	v_div_scale_f32 v115, null, v117, v117, v116
	v_div_scale_f32 v125, vcc_lo, v116, v117, v116
	s_delay_alu instid0(VALU_DEP_2) | instskip(SKIP_1) | instid1(TRANS32_DEP_1)
	v_rcp_f32_e32 v123, v115
	v_nop
	v_fma_f32 v124, -v115, v123, 1.0
	s_delay_alu instid0(VALU_DEP_1) | instskip(NEXT) | instid1(VALU_DEP_1)
	v_fmac_f32_e32 v123, v124, v123
	v_mul_f32_e32 v124, v125, v123
	s_delay_alu instid0(VALU_DEP_1) | instskip(NEXT) | instid1(VALU_DEP_1)
	v_fma_f32 v126, -v115, v124, v125
	v_fmac_f32_e32 v124, v126, v123
	s_delay_alu instid0(VALU_DEP_1) | instskip(NEXT) | instid1(VALU_DEP_1)
	v_fma_f32 v115, -v115, v124, v125
	v_div_fmas_f32 v115, v115, v123, v124
	s_delay_alu instid0(VALU_DEP_1) | instskip(NEXT) | instid1(VALU_DEP_1)
	v_div_fixup_f32 v115, v115, v117, v116
	v_fmac_f32_e32 v117, v116, v115
	s_delay_alu instid0(VALU_DEP_1) | instskip(SKIP_1) | instid1(VALU_DEP_2)
	v_div_scale_f32 v116, null, v117, v117, 1.0
	v_div_scale_f32 v125, vcc_lo, 1.0, v117, 1.0
	v_rcp_f32_e32 v123, v116
	v_nop
	s_delay_alu instid0(TRANS32_DEP_1) | instskip(NEXT) | instid1(VALU_DEP_1)
	v_fma_f32 v124, -v116, v123, 1.0
	v_fmac_f32_e32 v123, v124, v123
	s_delay_alu instid0(VALU_DEP_1) | instskip(NEXT) | instid1(VALU_DEP_1)
	v_mul_f32_e32 v124, v125, v123
	v_fma_f32 v126, -v116, v124, v125
	s_delay_alu instid0(VALU_DEP_1) | instskip(NEXT) | instid1(VALU_DEP_1)
	v_fmac_f32_e32 v124, v126, v123
	v_fma_f32 v116, -v116, v124, v125
	s_delay_alu instid0(VALU_DEP_1) | instskip(NEXT) | instid1(VALU_DEP_1)
	v_div_fmas_f32 v116, v116, v123, v124
	v_div_fixup_f32 v117, v116, v117, 1.0
	s_delay_alu instid0(VALU_DEP_1)
	v_mul_f32_e32 v116, v115, v117
	v_xor_b32_e32 v117, 0x80000000, v117
.LBB106_595:
	s_and_not1_saveexec_b32 s1, s1
	s_cbranch_execz .LBB106_597
; %bb.596:
	s_delay_alu instid0(VALU_DEP_1) | instskip(SKIP_1) | instid1(VALU_DEP_2)
	v_div_scale_f32 v115, null, v116, v116, v117
	v_div_scale_f32 v125, vcc_lo, v117, v116, v117
	v_rcp_f32_e32 v123, v115
	v_nop
	s_delay_alu instid0(TRANS32_DEP_1) | instskip(NEXT) | instid1(VALU_DEP_1)
	v_fma_f32 v124, -v115, v123, 1.0
	v_fmac_f32_e32 v123, v124, v123
	s_delay_alu instid0(VALU_DEP_1) | instskip(NEXT) | instid1(VALU_DEP_1)
	v_mul_f32_e32 v124, v125, v123
	v_fma_f32 v126, -v115, v124, v125
	s_delay_alu instid0(VALU_DEP_1) | instskip(NEXT) | instid1(VALU_DEP_1)
	v_fmac_f32_e32 v124, v126, v123
	v_fma_f32 v115, -v115, v124, v125
	s_delay_alu instid0(VALU_DEP_1) | instskip(NEXT) | instid1(VALU_DEP_1)
	v_div_fmas_f32 v115, v115, v123, v124
	v_div_fixup_f32 v115, v115, v116, v117
	s_delay_alu instid0(VALU_DEP_1) | instskip(NEXT) | instid1(VALU_DEP_1)
	v_fmac_f32_e32 v116, v117, v115
	v_div_scale_f32 v117, null, v116, v116, 1.0
	s_delay_alu instid0(VALU_DEP_1) | instskip(SKIP_1) | instid1(TRANS32_DEP_1)
	v_rcp_f32_e32 v123, v117
	v_nop
	v_fma_f32 v124, -v117, v123, 1.0
	s_delay_alu instid0(VALU_DEP_1) | instskip(SKIP_1) | instid1(VALU_DEP_1)
	v_fmac_f32_e32 v123, v124, v123
	v_div_scale_f32 v124, vcc_lo, 1.0, v116, 1.0
	v_mul_f32_e32 v125, v124, v123
	s_delay_alu instid0(VALU_DEP_1) | instskip(NEXT) | instid1(VALU_DEP_1)
	v_fma_f32 v126, -v117, v125, v124
	v_fmac_f32_e32 v125, v126, v123
	s_delay_alu instid0(VALU_DEP_1) | instskip(NEXT) | instid1(VALU_DEP_1)
	v_fma_f32 v117, -v117, v125, v124
	v_div_fmas_f32 v117, v117, v123, v125
	s_delay_alu instid0(VALU_DEP_1) | instskip(NEXT) | instid1(VALU_DEP_1)
	v_div_fixup_f32 v116, v117, v116, 1.0
	v_mul_f32_e64 v117, v115, -v116
.LBB106_597:
	s_or_b32 exec_lo, exec_lo, s1
.LBB106_598:
	s_delay_alu instid0(SALU_CYCLE_1) | instskip(NEXT) | instid1(SALU_CYCLE_1)
	s_or_b32 exec_lo, exec_lo, s0
	s_mov_b32 s0, exec_lo
	v_cmpx_ne_u32_e64 v122, v114
	s_xor_b32 s0, exec_lo, s0
	s_cbranch_execz .LBB106_604
; %bb.599:
	s_mov_b32 s1, exec_lo
	v_cmpx_eq_u32_e32 28, v122
	s_cbranch_execz .LBB106_603
; %bb.600:
	v_cmp_ne_u32_e32 vcc_lo, 28, v114
	s_xor_b32 s12, s16, -1
	s_delay_alu instid0(SALU_CYCLE_1) | instskip(NEXT) | instid1(SALU_CYCLE_1)
	s_and_b32 s13, s12, vcc_lo
	s_and_saveexec_b32 s12, s13
	s_cbranch_execz .LBB106_602
; %bb.601:
	v_ashrrev_i32_e32 v115, 31, v114
	s_delay_alu instid0(VALU_DEP_1)
	v_lshl_add_u64 v[122:123], v[114:115], 2, v[4:5]
	s_clause 0x1
	global_load_b32 v115, v[122:123], off
	global_load_b32 v121, v[4:5], off offset:112
	s_wait_loadcnt 0x1
	global_store_b32 v[4:5], v115, off offset:112
	s_wait_loadcnt 0x0
	global_store_b32 v[122:123], v121, off
.LBB106_602:
	s_wait_xcnt 0x0
	s_or_b32 exec_lo, exec_lo, s12
	v_dual_mov_b32 v122, v114 :: v_dual_mov_b32 v121, v114
.LBB106_603:
	s_or_b32 exec_lo, exec_lo, s1
.LBB106_604:
	s_and_not1_saveexec_b32 s0, s0
	s_cbranch_execz .LBB106_606
; %bb.605:
	v_mov_b32_e32 v122, 28
	ds_store_2addr_b64 v118, v[38:39], v[40:41] offset0:29 offset1:30
	ds_store_2addr_b64 v118, v[36:37], v[88:89] offset0:31 offset1:32
	;; [unrolled: 1-line block ×12, first 2 shown]
	ds_store_b64 v118, v[112:113] offset:424
.LBB106_606:
	s_or_b32 exec_lo, exec_lo, s0
	s_delay_alu instid0(SALU_CYCLE_1)
	s_mov_b32 s0, exec_lo
	s_wait_storecnt_dscnt 0x0
	s_barrier_signal -1
	s_barrier_wait -1
	v_cmpx_lt_i32_e32 28, v122
	s_cbranch_execz .LBB106_608
; %bb.607:
	v_pk_mul_f32 v[124:125], v[116:117], v[90:91] op_sel:[1,1] op_sel_hi:[0,1]
	s_delay_alu instid0(VALU_DEP_1)
	v_pk_fma_f32 v[114:115], v[116:117], v[90:91], v[124:125] op_sel_hi:[1,0,1] neg_lo:[0,0,1] neg_hi:[0,0,1]
	v_pk_fma_f32 v[116:117], v[116:117], v[90:91], v[124:125] op_sel_hi:[1,0,1]
	ds_load_2addr_b64 v[124:127], v118 offset0:29 offset1:30
	v_dual_mov_b32 v90, v114 :: v_dual_mov_b32 v91, v117
	s_wait_dscnt 0x0
	v_pk_mul_f32 v[128:129], v[124:125], v[116:117] op_sel:[0,1]
	s_delay_alu instid0(VALU_DEP_1) | instskip(SKIP_1) | instid1(VALU_DEP_1)
	v_pk_fma_f32 v[130:131], v[124:125], v[114:115], v[128:129] op_sel:[0,0,1] op_sel_hi:[1,1,0] neg_lo:[0,0,1] neg_hi:[0,0,1]
	v_pk_fma_f32 v[124:125], v[124:125], v[114:115], v[128:129] op_sel:[0,0,1] op_sel_hi:[1,0,0]
	v_mov_b32_e32 v131, v125
	v_pk_mul_f32 v[124:125], v[126:127], v[116:117] op_sel:[0,1]
	s_delay_alu instid0(VALU_DEP_1) | instskip(SKIP_1) | instid1(VALU_DEP_1)
	v_pk_fma_f32 v[128:129], v[126:127], v[114:115], v[124:125] op_sel:[0,0,1] op_sel_hi:[1,1,0] neg_lo:[0,0,1] neg_hi:[0,0,1]
	v_pk_fma_f32 v[124:125], v[126:127], v[114:115], v[124:125] op_sel:[0,0,1] op_sel_hi:[1,0,0]
	v_mov_b32_e32 v129, v125
	ds_load_2addr_b64 v[124:127], v118 offset0:31 offset1:32
	v_pk_add_f32 v[38:39], v[38:39], v[130:131] neg_lo:[0,1] neg_hi:[0,1]
	v_pk_add_f32 v[40:41], v[40:41], v[128:129] neg_lo:[0,1] neg_hi:[0,1]
	s_wait_dscnt 0x0
	v_pk_mul_f32 v[128:129], v[124:125], v[116:117] op_sel:[0,1]
	s_delay_alu instid0(VALU_DEP_1) | instskip(SKIP_2) | instid1(VALU_DEP_2)
	v_pk_fma_f32 v[130:131], v[124:125], v[114:115], v[128:129] op_sel:[0,0,1] op_sel_hi:[1,1,0] neg_lo:[0,0,1] neg_hi:[0,0,1]
	v_pk_fma_f32 v[124:125], v[124:125], v[114:115], v[128:129] op_sel:[0,0,1] op_sel_hi:[1,0,0]
	v_dual_mul_f32 v128, v127, v117 :: v_dual_mov_b32 v124, v127
	v_dual_mov_b32 v131, v125 :: v_dual_mov_b32 v125, v126
	s_delay_alu instid0(VALU_DEP_2) | instskip(SKIP_1) | instid1(VALU_DEP_3)
	v_pk_fma_f32 v[128:129], v[126:127], v[90:91], v[128:129] op_sel_hi:[1,1,0] neg_lo:[0,0,1] neg_hi:[0,0,1]
	v_mul_f32_e32 v126, v127, v114
	v_pk_add_f32 v[36:37], v[36:37], v[130:131] neg_lo:[0,1] neg_hi:[0,1]
	s_delay_alu instid0(VALU_DEP_2) | instskip(NEXT) | instid1(VALU_DEP_1)
	v_pk_fma_f32 v[124:125], v[124:125], v[90:91], v[126:127] op_sel_hi:[1,1,0]
	v_mov_b32_e32 v129, v125
	ds_load_2addr_b64 v[124:127], v118 offset0:33 offset1:34
	v_pk_add_f32 v[88:89], v[88:89], v[128:129] neg_lo:[0,1] neg_hi:[0,1]
	s_wait_dscnt 0x0
	v_pk_mul_f32 v[128:129], v[124:125], v[116:117] op_sel:[0,1]
	s_delay_alu instid0(VALU_DEP_1) | instskip(SKIP_1) | instid1(VALU_DEP_1)
	v_pk_fma_f32 v[130:131], v[124:125], v[114:115], v[128:129] op_sel:[0,0,1] op_sel_hi:[1,1,0] neg_lo:[0,0,1] neg_hi:[0,0,1]
	v_pk_fma_f32 v[124:125], v[124:125], v[114:115], v[128:129] op_sel:[0,0,1] op_sel_hi:[1,0,0]
	v_mov_b32_e32 v131, v125
	v_pk_mul_f32 v[124:125], v[126:127], v[116:117] op_sel:[0,1]
	s_delay_alu instid0(VALU_DEP_1) | instskip(SKIP_1) | instid1(VALU_DEP_1)
	v_pk_fma_f32 v[128:129], v[126:127], v[114:115], v[124:125] op_sel:[0,0,1] op_sel_hi:[1,1,0] neg_lo:[0,0,1] neg_hi:[0,0,1]
	v_pk_fma_f32 v[124:125], v[126:127], v[114:115], v[124:125] op_sel:[0,0,1] op_sel_hi:[1,0,0]
	v_mov_b32_e32 v129, v125
	ds_load_2addr_b64 v[124:127], v118 offset0:35 offset1:36
	v_pk_add_f32 v[32:33], v[32:33], v[130:131] neg_lo:[0,1] neg_hi:[0,1]
	v_pk_add_f32 v[34:35], v[34:35], v[128:129] neg_lo:[0,1] neg_hi:[0,1]
	s_wait_dscnt 0x0
	v_pk_mul_f32 v[128:129], v[124:125], v[116:117] op_sel:[0,1]
	s_delay_alu instid0(VALU_DEP_1) | instskip(SKIP_1) | instid1(VALU_DEP_1)
	v_pk_fma_f32 v[130:131], v[124:125], v[114:115], v[128:129] op_sel:[0,0,1] op_sel_hi:[1,1,0] neg_lo:[0,0,1] neg_hi:[0,0,1]
	v_pk_fma_f32 v[124:125], v[124:125], v[114:115], v[128:129] op_sel:[0,0,1] op_sel_hi:[1,0,0]
	v_mov_b32_e32 v131, v125
	v_pk_mul_f32 v[124:125], v[126:127], v[116:117] op_sel:[0,1]
	s_delay_alu instid0(VALU_DEP_1) | instskip(SKIP_1) | instid1(VALU_DEP_1)
	v_pk_fma_f32 v[128:129], v[126:127], v[114:115], v[124:125] op_sel:[0,0,1] op_sel_hi:[1,1,0] neg_lo:[0,0,1] neg_hi:[0,0,1]
	v_pk_fma_f32 v[124:125], v[126:127], v[114:115], v[124:125] op_sel:[0,0,1] op_sel_hi:[1,0,0]
	v_mov_b32_e32 v129, v125
	ds_load_2addr_b64 v[124:127], v118 offset0:37 offset1:38
	v_pk_add_f32 v[30:31], v[30:31], v[130:131] neg_lo:[0,1] neg_hi:[0,1]
	v_pk_add_f32 v[86:87], v[86:87], v[128:129] neg_lo:[0,1] neg_hi:[0,1]
	s_wait_dscnt 0x0
	v_dual_mul_f32 v128, v125, v117 :: v_dual_mul_f32 v130, v125, v114
	s_delay_alu instid0(VALU_DEP_1) | instskip(NEXT) | instid1(VALU_DEP_2)
	v_pk_fma_f32 v[128:129], v[124:125], v[90:91], v[128:129] op_sel_hi:[1,1,0] neg_lo:[0,0,1] neg_hi:[0,0,1]
	v_pk_fma_f32 v[124:125], v[124:125], v[90:91], v[130:131] op_sel:[1,0,0] op_sel_hi:[0,1,0]
	s_delay_alu instid0(VALU_DEP_1) | instskip(SKIP_1) | instid1(VALU_DEP_2)
	v_mov_b32_e32 v129, v125
	v_pk_mul_f32 v[124:125], v[126:127], v[116:117] op_sel:[0,1]
	v_pk_add_f32 v[24:25], v[24:25], v[128:129] neg_lo:[0,1] neg_hi:[0,1]
	s_delay_alu instid0(VALU_DEP_2) | instskip(SKIP_1) | instid1(VALU_DEP_1)
	v_pk_fma_f32 v[128:129], v[126:127], v[114:115], v[124:125] op_sel:[0,0,1] op_sel_hi:[1,1,0] neg_lo:[0,0,1] neg_hi:[0,0,1]
	v_pk_fma_f32 v[124:125], v[126:127], v[114:115], v[124:125] op_sel:[0,0,1] op_sel_hi:[1,0,0]
	v_mov_b32_e32 v129, v125
	ds_load_2addr_b64 v[124:127], v118 offset0:39 offset1:40
	v_pk_add_f32 v[26:27], v[26:27], v[128:129] neg_lo:[0,1] neg_hi:[0,1]
	s_wait_dscnt 0x0
	v_pk_mul_f32 v[128:129], v[124:125], v[116:117] op_sel:[0,1]
	s_delay_alu instid0(VALU_DEP_1) | instskip(SKIP_1) | instid1(VALU_DEP_1)
	v_pk_fma_f32 v[130:131], v[124:125], v[114:115], v[128:129] op_sel:[0,0,1] op_sel_hi:[1,1,0] neg_lo:[0,0,1] neg_hi:[0,0,1]
	v_pk_fma_f32 v[124:125], v[124:125], v[114:115], v[128:129] op_sel:[0,0,1] op_sel_hi:[1,0,0]
	v_mov_b32_e32 v131, v125
	v_pk_mul_f32 v[124:125], v[126:127], v[116:117] op_sel:[0,1]
	s_delay_alu instid0(VALU_DEP_2) | instskip(NEXT) | instid1(VALU_DEP_2)
	v_pk_add_f32 v[22:23], v[22:23], v[130:131] neg_lo:[0,1] neg_hi:[0,1]
	v_pk_fma_f32 v[128:129], v[126:127], v[114:115], v[124:125] op_sel:[0,0,1] op_sel_hi:[1,1,0] neg_lo:[0,0,1] neg_hi:[0,0,1]
	v_pk_fma_f32 v[124:125], v[126:127], v[114:115], v[124:125] op_sel:[0,0,1] op_sel_hi:[1,0,0]
	s_delay_alu instid0(VALU_DEP_1) | instskip(SKIP_4) | instid1(VALU_DEP_1)
	v_mov_b32_e32 v129, v125
	ds_load_2addr_b64 v[124:127], v118 offset0:41 offset1:42
	v_pk_add_f32 v[84:85], v[84:85], v[128:129] neg_lo:[0,1] neg_hi:[0,1]
	s_wait_dscnt 0x0
	v_pk_mul_f32 v[128:129], v[124:125], v[116:117] op_sel:[0,1]
	v_pk_fma_f32 v[130:131], v[124:125], v[114:115], v[128:129] op_sel:[0,0,1] op_sel_hi:[1,1,0] neg_lo:[0,0,1] neg_hi:[0,0,1]
	v_pk_fma_f32 v[124:125], v[124:125], v[114:115], v[128:129] op_sel:[0,0,1] op_sel_hi:[1,0,0]
	v_dual_mul_f32 v128, v127, v117 :: v_dual_mov_b32 v124, v127
	s_delay_alu instid0(VALU_DEP_2) | instskip(NEXT) | instid1(VALU_DEP_2)
	v_dual_mov_b32 v131, v125 :: v_dual_mov_b32 v125, v126
	v_pk_fma_f32 v[128:129], v[126:127], v[90:91], v[128:129] op_sel_hi:[1,1,0] neg_lo:[0,0,1] neg_hi:[0,0,1]
	v_mul_f32_e32 v126, v127, v114
	s_delay_alu instid0(VALU_DEP_3) | instskip(NEXT) | instid1(VALU_DEP_2)
	v_pk_add_f32 v[18:19], v[18:19], v[130:131] neg_lo:[0,1] neg_hi:[0,1]
	v_pk_fma_f32 v[124:125], v[124:125], v[90:91], v[126:127] op_sel_hi:[1,1,0]
	s_delay_alu instid0(VALU_DEP_1) | instskip(SKIP_4) | instid1(VALU_DEP_1)
	v_mov_b32_e32 v129, v125
	ds_load_2addr_b64 v[124:127], v118 offset0:43 offset1:44
	v_pk_add_f32 v[20:21], v[20:21], v[128:129] neg_lo:[0,1] neg_hi:[0,1]
	s_wait_dscnt 0x0
	v_pk_mul_f32 v[128:129], v[124:125], v[116:117] op_sel:[0,1]
	v_pk_fma_f32 v[130:131], v[124:125], v[114:115], v[128:129] op_sel:[0,0,1] op_sel_hi:[1,1,0] neg_lo:[0,0,1] neg_hi:[0,0,1]
	v_pk_fma_f32 v[124:125], v[124:125], v[114:115], v[128:129] op_sel:[0,0,1] op_sel_hi:[1,0,0]
	s_delay_alu instid0(VALU_DEP_1) | instskip(SKIP_1) | instid1(VALU_DEP_1)
	v_mov_b32_e32 v131, v125
	v_pk_mul_f32 v[124:125], v[126:127], v[116:117] op_sel:[0,1]
	v_pk_fma_f32 v[128:129], v[126:127], v[114:115], v[124:125] op_sel:[0,0,1] op_sel_hi:[1,1,0] neg_lo:[0,0,1] neg_hi:[0,0,1]
	v_pk_fma_f32 v[124:125], v[126:127], v[114:115], v[124:125] op_sel:[0,0,1] op_sel_hi:[1,0,0]
	s_delay_alu instid0(VALU_DEP_1)
	v_mov_b32_e32 v129, v125
	ds_load_2addr_b64 v[124:127], v118 offset0:45 offset1:46
	v_pk_add_f32 v[16:17], v[16:17], v[130:131] neg_lo:[0,1] neg_hi:[0,1]
	v_pk_add_f32 v[82:83], v[82:83], v[128:129] neg_lo:[0,1] neg_hi:[0,1]
	s_wait_dscnt 0x0
	v_pk_mul_f32 v[128:129], v[124:125], v[116:117] op_sel:[0,1]
	s_delay_alu instid0(VALU_DEP_1) | instskip(SKIP_1) | instid1(VALU_DEP_1)
	v_pk_fma_f32 v[130:131], v[124:125], v[114:115], v[128:129] op_sel:[0,0,1] op_sel_hi:[1,1,0] neg_lo:[0,0,1] neg_hi:[0,0,1]
	v_pk_fma_f32 v[124:125], v[124:125], v[114:115], v[128:129] op_sel:[0,0,1] op_sel_hi:[1,0,0]
	v_mov_b32_e32 v131, v125
	v_pk_mul_f32 v[124:125], v[126:127], v[116:117] op_sel:[0,1]
	s_delay_alu instid0(VALU_DEP_1) | instskip(SKIP_1) | instid1(VALU_DEP_1)
	v_pk_fma_f32 v[128:129], v[126:127], v[114:115], v[124:125] op_sel:[0,0,1] op_sel_hi:[1,1,0] neg_lo:[0,0,1] neg_hi:[0,0,1]
	v_pk_fma_f32 v[124:125], v[126:127], v[114:115], v[124:125] op_sel:[0,0,1] op_sel_hi:[1,0,0]
	v_mov_b32_e32 v129, v125
	ds_load_2addr_b64 v[124:127], v118 offset0:47 offset1:48
	v_pk_add_f32 v[10:11], v[10:11], v[130:131] neg_lo:[0,1] neg_hi:[0,1]
	v_pk_add_f32 v[12:13], v[12:13], v[128:129] neg_lo:[0,1] neg_hi:[0,1]
	s_wait_dscnt 0x0
	v_dual_mul_f32 v128, v125, v117 :: v_dual_mul_f32 v130, v125, v114
	s_delay_alu instid0(VALU_DEP_1) | instskip(NEXT) | instid1(VALU_DEP_2)
	v_pk_fma_f32 v[128:129], v[124:125], v[90:91], v[128:129] op_sel_hi:[1,1,0] neg_lo:[0,0,1] neg_hi:[0,0,1]
	v_pk_fma_f32 v[124:125], v[124:125], v[90:91], v[130:131] op_sel:[1,0,0] op_sel_hi:[0,1,0]
	s_delay_alu instid0(VALU_DEP_1) | instskip(SKIP_1) | instid1(VALU_DEP_2)
	v_mov_b32_e32 v129, v125
	v_pk_mul_f32 v[124:125], v[126:127], v[116:117] op_sel:[0,1]
	v_pk_add_f32 v[8:9], v[8:9], v[128:129] neg_lo:[0,1] neg_hi:[0,1]
	s_delay_alu instid0(VALU_DEP_2) | instskip(SKIP_1) | instid1(VALU_DEP_1)
	v_pk_fma_f32 v[128:129], v[126:127], v[114:115], v[124:125] op_sel:[0,0,1] op_sel_hi:[1,1,0] neg_lo:[0,0,1] neg_hi:[0,0,1]
	v_pk_fma_f32 v[124:125], v[126:127], v[114:115], v[124:125] op_sel:[0,0,1] op_sel_hi:[1,0,0]
	v_mov_b32_e32 v129, v125
	ds_load_2addr_b64 v[124:127], v118 offset0:49 offset1:50
	v_pk_add_f32 v[66:67], v[66:67], v[128:129] neg_lo:[0,1] neg_hi:[0,1]
	s_wait_dscnt 0x0
	v_pk_mul_f32 v[128:129], v[124:125], v[116:117] op_sel:[0,1]
	s_delay_alu instid0(VALU_DEP_1) | instskip(SKIP_1) | instid1(VALU_DEP_1)
	v_pk_fma_f32 v[130:131], v[124:125], v[114:115], v[128:129] op_sel:[0,0,1] op_sel_hi:[1,1,0] neg_lo:[0,0,1] neg_hi:[0,0,1]
	v_pk_fma_f32 v[124:125], v[124:125], v[114:115], v[128:129] op_sel:[0,0,1] op_sel_hi:[1,0,0]
	v_mov_b32_e32 v131, v125
	v_pk_mul_f32 v[124:125], v[126:127], v[116:117] op_sel:[0,1]
	s_delay_alu instid0(VALU_DEP_2) | instskip(NEXT) | instid1(VALU_DEP_2)
	v_pk_add_f32 v[6:7], v[6:7], v[130:131] neg_lo:[0,1] neg_hi:[0,1]
	v_pk_fma_f32 v[128:129], v[126:127], v[114:115], v[124:125] op_sel:[0,0,1] op_sel_hi:[1,1,0] neg_lo:[0,0,1] neg_hi:[0,0,1]
	v_pk_fma_f32 v[124:125], v[126:127], v[114:115], v[124:125] op_sel:[0,0,1] op_sel_hi:[1,0,0]
	s_delay_alu instid0(VALU_DEP_1) | instskip(SKIP_4) | instid1(VALU_DEP_1)
	v_mov_b32_e32 v129, v125
	ds_load_2addr_b64 v[124:127], v118 offset0:51 offset1:52
	v_pk_add_f32 v[46:47], v[46:47], v[128:129] neg_lo:[0,1] neg_hi:[0,1]
	s_wait_dscnt 0x0
	v_pk_mul_f32 v[128:129], v[124:125], v[116:117] op_sel:[0,1]
	v_pk_fma_f32 v[130:131], v[124:125], v[114:115], v[128:129] op_sel:[0,0,1] op_sel_hi:[1,1,0] neg_lo:[0,0,1] neg_hi:[0,0,1]
	v_pk_fma_f32 v[124:125], v[124:125], v[114:115], v[128:129] op_sel:[0,0,1] op_sel_hi:[1,0,0]
	v_dual_mul_f32 v128, v127, v117 :: v_dual_mov_b32 v124, v127
	s_delay_alu instid0(VALU_DEP_2) | instskip(NEXT) | instid1(VALU_DEP_2)
	v_dual_mov_b32 v131, v125 :: v_dual_mov_b32 v125, v126
	v_pk_fma_f32 v[128:129], v[126:127], v[90:91], v[128:129] op_sel_hi:[1,1,0] neg_lo:[0,0,1] neg_hi:[0,0,1]
	v_mul_f32_e32 v126, v127, v114
	s_delay_alu instid0(VALU_DEP_3) | instskip(NEXT) | instid1(VALU_DEP_2)
	v_pk_add_f32 v[28:29], v[28:29], v[130:131] neg_lo:[0,1] neg_hi:[0,1]
	v_pk_fma_f32 v[124:125], v[124:125], v[90:91], v[126:127] op_sel_hi:[1,1,0]
	s_delay_alu instid0(VALU_DEP_1) | instskip(SKIP_4) | instid1(VALU_DEP_1)
	v_mov_b32_e32 v129, v125
	ds_load_b64 v[124:125], v118 offset:424
	v_pk_add_f32 v[14:15], v[14:15], v[128:129] neg_lo:[0,1] neg_hi:[0,1]
	s_wait_dscnt 0x0
	v_pk_mul_f32 v[116:117], v[124:125], v[116:117] op_sel:[0,1]
	v_pk_fma_f32 v[126:127], v[124:125], v[114:115], v[116:117] op_sel:[0,0,1] op_sel_hi:[1,1,0] neg_lo:[0,0,1] neg_hi:[0,0,1]
	v_pk_fma_f32 v[114:115], v[124:125], v[114:115], v[116:117] op_sel:[0,0,1] op_sel_hi:[1,0,0]
	s_delay_alu instid0(VALU_DEP_1) | instskip(NEXT) | instid1(VALU_DEP_1)
	v_mov_b32_e32 v127, v115
	v_pk_add_f32 v[112:113], v[112:113], v[126:127] neg_lo:[0,1] neg_hi:[0,1]
.LBB106_608:
	s_or_b32 exec_lo, exec_lo, s0
	v_lshl_add_u32 v114, v122, 3, v118
	s_barrier_signal -1
	s_barrier_wait -1
	ds_store_b64 v114, v[38:39]
	s_wait_dscnt 0x0
	s_barrier_signal -1
	s_barrier_wait -1
	ds_load_b64 v[116:117], v118 offset:232
	v_mov_b32_e32 v114, 29
	s_cmp_lt_i32 s18, 31
	s_cbranch_scc1 .LBB106_611
; %bb.609:
	v_add3_u32 v115, v119, 0, 0xf0
	v_mov_b32_e32 v114, 29
	s_mov_b32 s0, 30
.LBB106_610:                            ; =>This Inner Loop Header: Depth=1
	ds_load_b64 v[124:125], v115
	s_wait_dscnt 0x1
	v_cmp_gt_f32_e32 vcc_lo, 0, v116
	v_cndmask_b32_e64 v126, v116, -v116, vcc_lo
	v_cmp_gt_f32_e32 vcc_lo, 0, v117
	v_cndmask_b32_e64 v128, v117, -v117, vcc_lo
	s_wait_dscnt 0x0
	v_cmp_gt_f32_e32 vcc_lo, 0, v124
	v_cndmask_b32_e64 v127, v124, -v124, vcc_lo
	v_cmp_gt_f32_e32 vcc_lo, 0, v125
	v_cndmask_b32_e64 v129, v125, -v125, vcc_lo
	s_delay_alu instid0(VALU_DEP_1) | instskip(NEXT) | instid1(VALU_DEP_1)
	v_pk_add_f32 v[126:127], v[126:127], v[128:129]
	v_cmp_lt_f32_e32 vcc_lo, v126, v127
	v_dual_add_nc_u32 v115, 8, v115 :: v_dual_cndmask_b32 v117, v117, v125, vcc_lo
	v_cndmask_b32_e32 v116, v116, v124, vcc_lo
	v_cndmask_b32_e64 v114, v114, s0, vcc_lo
	s_add_co_i32 s0, s0, 1
	s_delay_alu instid0(SALU_CYCLE_1)
	s_cmp_lg_u32 s18, s0
	s_cbranch_scc1 .LBB106_610
.LBB106_611:
	s_wait_dscnt 0x0
	v_cmp_eq_f32_e32 vcc_lo, 0, v116
	v_cmp_eq_f32_e64 s0, 0, v117
	s_and_b32 s0, vcc_lo, s0
	s_delay_alu instid0(SALU_CYCLE_1) | instskip(NEXT) | instid1(SALU_CYCLE_1)
	s_and_saveexec_b32 s1, s0
	s_xor_b32 s0, exec_lo, s1
; %bb.612:
	v_cmp_ne_u32_e32 vcc_lo, 0, v120
	v_cndmask_b32_e32 v120, 30, v120, vcc_lo
; %bb.613:
	s_and_not1_saveexec_b32 s0, s0
	s_cbranch_execz .LBB106_619
; %bb.614:
	v_cmp_ngt_f32_e64 s1, |v116|, |v117|
	s_and_saveexec_b32 s12, s1
	s_delay_alu instid0(SALU_CYCLE_1)
	s_xor_b32 s1, exec_lo, s12
	s_cbranch_execz .LBB106_616
; %bb.615:
	v_div_scale_f32 v115, null, v117, v117, v116
	v_div_scale_f32 v125, vcc_lo, v116, v117, v116
	s_delay_alu instid0(VALU_DEP_2) | instskip(SKIP_1) | instid1(TRANS32_DEP_1)
	v_rcp_f32_e32 v123, v115
	v_nop
	v_fma_f32 v124, -v115, v123, 1.0
	s_delay_alu instid0(VALU_DEP_1) | instskip(NEXT) | instid1(VALU_DEP_1)
	v_fmac_f32_e32 v123, v124, v123
	v_mul_f32_e32 v124, v125, v123
	s_delay_alu instid0(VALU_DEP_1) | instskip(NEXT) | instid1(VALU_DEP_1)
	v_fma_f32 v126, -v115, v124, v125
	v_fmac_f32_e32 v124, v126, v123
	s_delay_alu instid0(VALU_DEP_1) | instskip(NEXT) | instid1(VALU_DEP_1)
	v_fma_f32 v115, -v115, v124, v125
	v_div_fmas_f32 v115, v115, v123, v124
	s_delay_alu instid0(VALU_DEP_1) | instskip(NEXT) | instid1(VALU_DEP_1)
	v_div_fixup_f32 v115, v115, v117, v116
	v_fmac_f32_e32 v117, v116, v115
	s_delay_alu instid0(VALU_DEP_1) | instskip(SKIP_1) | instid1(VALU_DEP_2)
	v_div_scale_f32 v116, null, v117, v117, 1.0
	v_div_scale_f32 v125, vcc_lo, 1.0, v117, 1.0
	v_rcp_f32_e32 v123, v116
	v_nop
	s_delay_alu instid0(TRANS32_DEP_1) | instskip(NEXT) | instid1(VALU_DEP_1)
	v_fma_f32 v124, -v116, v123, 1.0
	v_fmac_f32_e32 v123, v124, v123
	s_delay_alu instid0(VALU_DEP_1) | instskip(NEXT) | instid1(VALU_DEP_1)
	v_mul_f32_e32 v124, v125, v123
	v_fma_f32 v126, -v116, v124, v125
	s_delay_alu instid0(VALU_DEP_1) | instskip(NEXT) | instid1(VALU_DEP_1)
	v_fmac_f32_e32 v124, v126, v123
	v_fma_f32 v116, -v116, v124, v125
	s_delay_alu instid0(VALU_DEP_1) | instskip(NEXT) | instid1(VALU_DEP_1)
	v_div_fmas_f32 v116, v116, v123, v124
	v_div_fixup_f32 v117, v116, v117, 1.0
	s_delay_alu instid0(VALU_DEP_1)
	v_mul_f32_e32 v116, v115, v117
	v_xor_b32_e32 v117, 0x80000000, v117
.LBB106_616:
	s_and_not1_saveexec_b32 s1, s1
	s_cbranch_execz .LBB106_618
; %bb.617:
	s_delay_alu instid0(VALU_DEP_1) | instskip(SKIP_1) | instid1(VALU_DEP_2)
	v_div_scale_f32 v115, null, v116, v116, v117
	v_div_scale_f32 v125, vcc_lo, v117, v116, v117
	v_rcp_f32_e32 v123, v115
	v_nop
	s_delay_alu instid0(TRANS32_DEP_1) | instskip(NEXT) | instid1(VALU_DEP_1)
	v_fma_f32 v124, -v115, v123, 1.0
	v_fmac_f32_e32 v123, v124, v123
	s_delay_alu instid0(VALU_DEP_1) | instskip(NEXT) | instid1(VALU_DEP_1)
	v_mul_f32_e32 v124, v125, v123
	v_fma_f32 v126, -v115, v124, v125
	s_delay_alu instid0(VALU_DEP_1) | instskip(NEXT) | instid1(VALU_DEP_1)
	v_fmac_f32_e32 v124, v126, v123
	v_fma_f32 v115, -v115, v124, v125
	s_delay_alu instid0(VALU_DEP_1) | instskip(NEXT) | instid1(VALU_DEP_1)
	v_div_fmas_f32 v115, v115, v123, v124
	v_div_fixup_f32 v115, v115, v116, v117
	s_delay_alu instid0(VALU_DEP_1) | instskip(NEXT) | instid1(VALU_DEP_1)
	v_fmac_f32_e32 v116, v117, v115
	v_div_scale_f32 v117, null, v116, v116, 1.0
	s_delay_alu instid0(VALU_DEP_1) | instskip(SKIP_1) | instid1(TRANS32_DEP_1)
	v_rcp_f32_e32 v123, v117
	v_nop
	v_fma_f32 v124, -v117, v123, 1.0
	s_delay_alu instid0(VALU_DEP_1) | instskip(SKIP_1) | instid1(VALU_DEP_1)
	v_fmac_f32_e32 v123, v124, v123
	v_div_scale_f32 v124, vcc_lo, 1.0, v116, 1.0
	v_mul_f32_e32 v125, v124, v123
	s_delay_alu instid0(VALU_DEP_1) | instskip(NEXT) | instid1(VALU_DEP_1)
	v_fma_f32 v126, -v117, v125, v124
	v_fmac_f32_e32 v125, v126, v123
	s_delay_alu instid0(VALU_DEP_1) | instskip(NEXT) | instid1(VALU_DEP_1)
	v_fma_f32 v117, -v117, v125, v124
	v_div_fmas_f32 v117, v117, v123, v125
	s_delay_alu instid0(VALU_DEP_1) | instskip(NEXT) | instid1(VALU_DEP_1)
	v_div_fixup_f32 v116, v117, v116, 1.0
	v_mul_f32_e64 v117, v115, -v116
.LBB106_618:
	s_or_b32 exec_lo, exec_lo, s1
.LBB106_619:
	s_delay_alu instid0(SALU_CYCLE_1) | instskip(NEXT) | instid1(SALU_CYCLE_1)
	s_or_b32 exec_lo, exec_lo, s0
	s_mov_b32 s0, exec_lo
	v_cmpx_ne_u32_e64 v122, v114
	s_xor_b32 s0, exec_lo, s0
	s_cbranch_execz .LBB106_625
; %bb.620:
	s_mov_b32 s1, exec_lo
	v_cmpx_eq_u32_e32 29, v122
	s_cbranch_execz .LBB106_624
; %bb.621:
	v_cmp_ne_u32_e32 vcc_lo, 29, v114
	s_xor_b32 s12, s16, -1
	s_delay_alu instid0(SALU_CYCLE_1) | instskip(NEXT) | instid1(SALU_CYCLE_1)
	s_and_b32 s13, s12, vcc_lo
	s_and_saveexec_b32 s12, s13
	s_cbranch_execz .LBB106_623
; %bb.622:
	v_ashrrev_i32_e32 v115, 31, v114
	s_delay_alu instid0(VALU_DEP_1)
	v_lshl_add_u64 v[122:123], v[114:115], 2, v[4:5]
	s_clause 0x1
	global_load_b32 v115, v[122:123], off
	global_load_b32 v121, v[4:5], off offset:116
	s_wait_loadcnt 0x1
	global_store_b32 v[4:5], v115, off offset:116
	s_wait_loadcnt 0x0
	global_store_b32 v[122:123], v121, off
.LBB106_623:
	s_wait_xcnt 0x0
	s_or_b32 exec_lo, exec_lo, s12
	v_dual_mov_b32 v122, v114 :: v_dual_mov_b32 v121, v114
.LBB106_624:
	s_or_b32 exec_lo, exec_lo, s1
.LBB106_625:
	s_and_not1_saveexec_b32 s0, s0
	s_cbranch_execz .LBB106_627
; %bb.626:
	v_dual_mov_b32 v114, v40 :: v_dual_mov_b32 v115, v41
	v_dual_mov_b32 v122, v36 :: v_dual_mov_b32 v123, v37
	;; [unrolled: 1-line block ×4, first 2 shown]
	ds_store_2addr_b64 v118, v[114:115], v[122:123] offset0:30 offset1:31
	ds_store_2addr_b64 v118, v[124:125], v[126:127] offset0:32 offset1:33
	v_dual_mov_b32 v114, v34 :: v_dual_mov_b32 v115, v35
	v_dual_mov_b32 v122, v30 :: v_dual_mov_b32 v123, v31
	;; [unrolled: 1-line block ×12, first 2 shown]
	ds_store_2addr_b64 v118, v[114:115], v[122:123] offset0:34 offset1:35
	ds_store_2addr_b64 v118, v[124:125], v[126:127] offset0:36 offset1:37
	;; [unrolled: 1-line block ×6, first 2 shown]
	v_dual_mov_b32 v114, v12 :: v_dual_mov_b32 v115, v13
	v_dual_mov_b32 v124, v8 :: v_dual_mov_b32 v125, v9
	;; [unrolled: 1-line block ×7, first 2 shown]
	v_mov_b32_e32 v135, v15
	ds_store_2addr_b64 v118, v[114:115], v[124:125] offset0:46 offset1:47
	ds_store_2addr_b64 v118, v[126:127], v[128:129] offset0:48 offset1:49
	;; [unrolled: 1-line block ×4, first 2 shown]
.LBB106_627:
	s_or_b32 exec_lo, exec_lo, s0
	s_delay_alu instid0(SALU_CYCLE_1)
	s_mov_b32 s0, exec_lo
	s_wait_storecnt_dscnt 0x0
	s_barrier_signal -1
	s_barrier_wait -1
	v_cmpx_lt_i32_e32 29, v122
	s_cbranch_execz .LBB106_629
; %bb.628:
	v_pk_mul_f32 v[124:125], v[116:117], v[38:39] op_sel:[1,1] op_sel_hi:[0,1]
	s_delay_alu instid0(VALU_DEP_1)
	v_pk_fma_f32 v[114:115], v[116:117], v[38:39], v[124:125] op_sel_hi:[1,0,1] neg_lo:[0,0,1] neg_hi:[0,0,1]
	v_pk_fma_f32 v[116:117], v[116:117], v[38:39], v[124:125] op_sel_hi:[1,0,1]
	ds_load_2addr_b64 v[124:127], v118 offset0:30 offset1:31
	v_dual_mov_b32 v38, v114 :: v_dual_mov_b32 v39, v117
	s_wait_dscnt 0x0
	v_pk_mul_f32 v[128:129], v[124:125], v[116:117] op_sel:[0,1]
	s_delay_alu instid0(VALU_DEP_1) | instskip(SKIP_1) | instid1(VALU_DEP_1)
	v_pk_fma_f32 v[130:131], v[124:125], v[114:115], v[128:129] op_sel:[0,0,1] op_sel_hi:[1,1,0] neg_lo:[0,0,1] neg_hi:[0,0,1]
	v_pk_fma_f32 v[124:125], v[124:125], v[114:115], v[128:129] op_sel:[0,0,1] op_sel_hi:[1,0,0]
	v_mov_b32_e32 v131, v125
	v_pk_mul_f32 v[124:125], v[126:127], v[116:117] op_sel:[0,1]
	s_delay_alu instid0(VALU_DEP_1) | instskip(SKIP_1) | instid1(VALU_DEP_1)
	v_pk_fma_f32 v[128:129], v[126:127], v[114:115], v[124:125] op_sel:[0,0,1] op_sel_hi:[1,1,0] neg_lo:[0,0,1] neg_hi:[0,0,1]
	v_pk_fma_f32 v[124:125], v[126:127], v[114:115], v[124:125] op_sel:[0,0,1] op_sel_hi:[1,0,0]
	v_mov_b32_e32 v129, v125
	ds_load_2addr_b64 v[124:127], v118 offset0:32 offset1:33
	v_pk_add_f32 v[40:41], v[40:41], v[130:131] neg_lo:[0,1] neg_hi:[0,1]
	v_pk_add_f32 v[36:37], v[36:37], v[128:129] neg_lo:[0,1] neg_hi:[0,1]
	s_wait_dscnt 0x0
	v_pk_mul_f32 v[128:129], v[124:125], v[116:117] op_sel:[0,1]
	s_delay_alu instid0(VALU_DEP_1) | instskip(SKIP_2) | instid1(VALU_DEP_2)
	v_pk_fma_f32 v[130:131], v[124:125], v[114:115], v[128:129] op_sel:[0,0,1] op_sel_hi:[1,1,0] neg_lo:[0,0,1] neg_hi:[0,0,1]
	v_pk_fma_f32 v[124:125], v[124:125], v[114:115], v[128:129] op_sel:[0,0,1] op_sel_hi:[1,0,0]
	v_dual_mul_f32 v128, v127, v117 :: v_dual_mov_b32 v124, v127
	v_dual_mov_b32 v131, v125 :: v_dual_mov_b32 v125, v126
	s_delay_alu instid0(VALU_DEP_2) | instskip(SKIP_1) | instid1(VALU_DEP_3)
	v_pk_fma_f32 v[128:129], v[126:127], v[38:39], v[128:129] op_sel_hi:[1,1,0] neg_lo:[0,0,1] neg_hi:[0,0,1]
	v_mul_f32_e32 v126, v127, v114
	v_pk_add_f32 v[88:89], v[88:89], v[130:131] neg_lo:[0,1] neg_hi:[0,1]
	s_delay_alu instid0(VALU_DEP_2) | instskip(NEXT) | instid1(VALU_DEP_1)
	v_pk_fma_f32 v[124:125], v[124:125], v[38:39], v[126:127] op_sel_hi:[1,1,0]
	v_mov_b32_e32 v129, v125
	ds_load_2addr_b64 v[124:127], v118 offset0:34 offset1:35
	v_pk_add_f32 v[32:33], v[32:33], v[128:129] neg_lo:[0,1] neg_hi:[0,1]
	s_wait_dscnt 0x0
	v_pk_mul_f32 v[128:129], v[124:125], v[116:117] op_sel:[0,1]
	s_delay_alu instid0(VALU_DEP_1) | instskip(SKIP_1) | instid1(VALU_DEP_1)
	v_pk_fma_f32 v[130:131], v[124:125], v[114:115], v[128:129] op_sel:[0,0,1] op_sel_hi:[1,1,0] neg_lo:[0,0,1] neg_hi:[0,0,1]
	v_pk_fma_f32 v[124:125], v[124:125], v[114:115], v[128:129] op_sel:[0,0,1] op_sel_hi:[1,0,0]
	v_mov_b32_e32 v131, v125
	v_pk_mul_f32 v[124:125], v[126:127], v[116:117] op_sel:[0,1]
	s_delay_alu instid0(VALU_DEP_1) | instskip(SKIP_1) | instid1(VALU_DEP_1)
	v_pk_fma_f32 v[128:129], v[126:127], v[114:115], v[124:125] op_sel:[0,0,1] op_sel_hi:[1,1,0] neg_lo:[0,0,1] neg_hi:[0,0,1]
	v_pk_fma_f32 v[124:125], v[126:127], v[114:115], v[124:125] op_sel:[0,0,1] op_sel_hi:[1,0,0]
	v_mov_b32_e32 v129, v125
	ds_load_2addr_b64 v[124:127], v118 offset0:36 offset1:37
	v_pk_add_f32 v[34:35], v[34:35], v[130:131] neg_lo:[0,1] neg_hi:[0,1]
	v_pk_add_f32 v[30:31], v[30:31], v[128:129] neg_lo:[0,1] neg_hi:[0,1]
	s_wait_dscnt 0x0
	v_pk_mul_f32 v[128:129], v[124:125], v[116:117] op_sel:[0,1]
	s_delay_alu instid0(VALU_DEP_1) | instskip(SKIP_1) | instid1(VALU_DEP_1)
	v_pk_fma_f32 v[130:131], v[124:125], v[114:115], v[128:129] op_sel:[0,0,1] op_sel_hi:[1,1,0] neg_lo:[0,0,1] neg_hi:[0,0,1]
	v_pk_fma_f32 v[124:125], v[124:125], v[114:115], v[128:129] op_sel:[0,0,1] op_sel_hi:[1,0,0]
	v_mov_b32_e32 v131, v125
	v_pk_mul_f32 v[124:125], v[126:127], v[116:117] op_sel:[0,1]
	s_delay_alu instid0(VALU_DEP_1) | instskip(SKIP_1) | instid1(VALU_DEP_1)
	v_pk_fma_f32 v[128:129], v[126:127], v[114:115], v[124:125] op_sel:[0,0,1] op_sel_hi:[1,1,0] neg_lo:[0,0,1] neg_hi:[0,0,1]
	v_pk_fma_f32 v[124:125], v[126:127], v[114:115], v[124:125] op_sel:[0,0,1] op_sel_hi:[1,0,0]
	v_mov_b32_e32 v129, v125
	ds_load_2addr_b64 v[124:127], v118 offset0:38 offset1:39
	v_pk_add_f32 v[86:87], v[86:87], v[130:131] neg_lo:[0,1] neg_hi:[0,1]
	v_pk_add_f32 v[24:25], v[24:25], v[128:129] neg_lo:[0,1] neg_hi:[0,1]
	s_wait_dscnt 0x0
	v_dual_mul_f32 v128, v125, v117 :: v_dual_mul_f32 v130, v125, v114
	s_delay_alu instid0(VALU_DEP_1) | instskip(NEXT) | instid1(VALU_DEP_2)
	v_pk_fma_f32 v[128:129], v[124:125], v[38:39], v[128:129] op_sel_hi:[1,1,0] neg_lo:[0,0,1] neg_hi:[0,0,1]
	v_pk_fma_f32 v[124:125], v[124:125], v[38:39], v[130:131] op_sel:[1,0,0] op_sel_hi:[0,1,0]
	s_delay_alu instid0(VALU_DEP_1) | instskip(SKIP_1) | instid1(VALU_DEP_2)
	v_mov_b32_e32 v129, v125
	v_pk_mul_f32 v[124:125], v[126:127], v[116:117] op_sel:[0,1]
	v_pk_add_f32 v[26:27], v[26:27], v[128:129] neg_lo:[0,1] neg_hi:[0,1]
	s_delay_alu instid0(VALU_DEP_2) | instskip(SKIP_1) | instid1(VALU_DEP_1)
	v_pk_fma_f32 v[128:129], v[126:127], v[114:115], v[124:125] op_sel:[0,0,1] op_sel_hi:[1,1,0] neg_lo:[0,0,1] neg_hi:[0,0,1]
	v_pk_fma_f32 v[124:125], v[126:127], v[114:115], v[124:125] op_sel:[0,0,1] op_sel_hi:[1,0,0]
	v_mov_b32_e32 v129, v125
	ds_load_2addr_b64 v[124:127], v118 offset0:40 offset1:41
	v_pk_add_f32 v[22:23], v[22:23], v[128:129] neg_lo:[0,1] neg_hi:[0,1]
	s_wait_dscnt 0x0
	v_pk_mul_f32 v[128:129], v[124:125], v[116:117] op_sel:[0,1]
	s_delay_alu instid0(VALU_DEP_1) | instskip(SKIP_1) | instid1(VALU_DEP_1)
	v_pk_fma_f32 v[130:131], v[124:125], v[114:115], v[128:129] op_sel:[0,0,1] op_sel_hi:[1,1,0] neg_lo:[0,0,1] neg_hi:[0,0,1]
	v_pk_fma_f32 v[124:125], v[124:125], v[114:115], v[128:129] op_sel:[0,0,1] op_sel_hi:[1,0,0]
	v_mov_b32_e32 v131, v125
	v_pk_mul_f32 v[124:125], v[126:127], v[116:117] op_sel:[0,1]
	s_delay_alu instid0(VALU_DEP_2) | instskip(NEXT) | instid1(VALU_DEP_2)
	v_pk_add_f32 v[84:85], v[84:85], v[130:131] neg_lo:[0,1] neg_hi:[0,1]
	v_pk_fma_f32 v[128:129], v[126:127], v[114:115], v[124:125] op_sel:[0,0,1] op_sel_hi:[1,1,0] neg_lo:[0,0,1] neg_hi:[0,0,1]
	v_pk_fma_f32 v[124:125], v[126:127], v[114:115], v[124:125] op_sel:[0,0,1] op_sel_hi:[1,0,0]
	s_delay_alu instid0(VALU_DEP_1) | instskip(SKIP_4) | instid1(VALU_DEP_1)
	v_mov_b32_e32 v129, v125
	ds_load_2addr_b64 v[124:127], v118 offset0:42 offset1:43
	v_pk_add_f32 v[18:19], v[18:19], v[128:129] neg_lo:[0,1] neg_hi:[0,1]
	s_wait_dscnt 0x0
	v_pk_mul_f32 v[128:129], v[124:125], v[116:117] op_sel:[0,1]
	v_pk_fma_f32 v[130:131], v[124:125], v[114:115], v[128:129] op_sel:[0,0,1] op_sel_hi:[1,1,0] neg_lo:[0,0,1] neg_hi:[0,0,1]
	v_pk_fma_f32 v[124:125], v[124:125], v[114:115], v[128:129] op_sel:[0,0,1] op_sel_hi:[1,0,0]
	v_dual_mul_f32 v128, v127, v117 :: v_dual_mov_b32 v124, v127
	s_delay_alu instid0(VALU_DEP_2) | instskip(NEXT) | instid1(VALU_DEP_2)
	v_dual_mov_b32 v131, v125 :: v_dual_mov_b32 v125, v126
	v_pk_fma_f32 v[128:129], v[126:127], v[38:39], v[128:129] op_sel_hi:[1,1,0] neg_lo:[0,0,1] neg_hi:[0,0,1]
	v_mul_f32_e32 v126, v127, v114
	s_delay_alu instid0(VALU_DEP_3) | instskip(NEXT) | instid1(VALU_DEP_2)
	v_pk_add_f32 v[20:21], v[20:21], v[130:131] neg_lo:[0,1] neg_hi:[0,1]
	v_pk_fma_f32 v[124:125], v[124:125], v[38:39], v[126:127] op_sel_hi:[1,1,0]
	s_delay_alu instid0(VALU_DEP_1) | instskip(SKIP_4) | instid1(VALU_DEP_1)
	v_mov_b32_e32 v129, v125
	ds_load_2addr_b64 v[124:127], v118 offset0:44 offset1:45
	v_pk_add_f32 v[16:17], v[16:17], v[128:129] neg_lo:[0,1] neg_hi:[0,1]
	s_wait_dscnt 0x0
	v_pk_mul_f32 v[128:129], v[124:125], v[116:117] op_sel:[0,1]
	v_pk_fma_f32 v[130:131], v[124:125], v[114:115], v[128:129] op_sel:[0,0,1] op_sel_hi:[1,1,0] neg_lo:[0,0,1] neg_hi:[0,0,1]
	v_pk_fma_f32 v[124:125], v[124:125], v[114:115], v[128:129] op_sel:[0,0,1] op_sel_hi:[1,0,0]
	s_delay_alu instid0(VALU_DEP_1) | instskip(SKIP_1) | instid1(VALU_DEP_1)
	v_mov_b32_e32 v131, v125
	v_pk_mul_f32 v[124:125], v[126:127], v[116:117] op_sel:[0,1]
	v_pk_fma_f32 v[128:129], v[126:127], v[114:115], v[124:125] op_sel:[0,0,1] op_sel_hi:[1,1,0] neg_lo:[0,0,1] neg_hi:[0,0,1]
	v_pk_fma_f32 v[124:125], v[126:127], v[114:115], v[124:125] op_sel:[0,0,1] op_sel_hi:[1,0,0]
	s_delay_alu instid0(VALU_DEP_1)
	v_mov_b32_e32 v129, v125
	ds_load_2addr_b64 v[124:127], v118 offset0:46 offset1:47
	v_pk_add_f32 v[82:83], v[82:83], v[130:131] neg_lo:[0,1] neg_hi:[0,1]
	v_pk_add_f32 v[10:11], v[10:11], v[128:129] neg_lo:[0,1] neg_hi:[0,1]
	s_wait_dscnt 0x0
	v_pk_mul_f32 v[128:129], v[124:125], v[116:117] op_sel:[0,1]
	s_delay_alu instid0(VALU_DEP_1) | instskip(SKIP_1) | instid1(VALU_DEP_1)
	v_pk_fma_f32 v[130:131], v[124:125], v[114:115], v[128:129] op_sel:[0,0,1] op_sel_hi:[1,1,0] neg_lo:[0,0,1] neg_hi:[0,0,1]
	v_pk_fma_f32 v[124:125], v[124:125], v[114:115], v[128:129] op_sel:[0,0,1] op_sel_hi:[1,0,0]
	v_mov_b32_e32 v131, v125
	v_pk_mul_f32 v[124:125], v[126:127], v[116:117] op_sel:[0,1]
	s_delay_alu instid0(VALU_DEP_1) | instskip(SKIP_1) | instid1(VALU_DEP_1)
	v_pk_fma_f32 v[128:129], v[126:127], v[114:115], v[124:125] op_sel:[0,0,1] op_sel_hi:[1,1,0] neg_lo:[0,0,1] neg_hi:[0,0,1]
	v_pk_fma_f32 v[124:125], v[126:127], v[114:115], v[124:125] op_sel:[0,0,1] op_sel_hi:[1,0,0]
	v_mov_b32_e32 v129, v125
	ds_load_2addr_b64 v[124:127], v118 offset0:48 offset1:49
	v_pk_add_f32 v[12:13], v[12:13], v[130:131] neg_lo:[0,1] neg_hi:[0,1]
	v_pk_add_f32 v[8:9], v[8:9], v[128:129] neg_lo:[0,1] neg_hi:[0,1]
	s_wait_dscnt 0x0
	v_dual_mul_f32 v128, v125, v117 :: v_dual_mul_f32 v130, v125, v114
	s_delay_alu instid0(VALU_DEP_1) | instskip(NEXT) | instid1(VALU_DEP_2)
	v_pk_fma_f32 v[128:129], v[124:125], v[38:39], v[128:129] op_sel_hi:[1,1,0] neg_lo:[0,0,1] neg_hi:[0,0,1]
	v_pk_fma_f32 v[124:125], v[124:125], v[38:39], v[130:131] op_sel:[1,0,0] op_sel_hi:[0,1,0]
	s_delay_alu instid0(VALU_DEP_1) | instskip(SKIP_1) | instid1(VALU_DEP_2)
	v_mov_b32_e32 v129, v125
	v_pk_mul_f32 v[124:125], v[126:127], v[116:117] op_sel:[0,1]
	v_pk_add_f32 v[66:67], v[66:67], v[128:129] neg_lo:[0,1] neg_hi:[0,1]
	s_delay_alu instid0(VALU_DEP_2) | instskip(SKIP_1) | instid1(VALU_DEP_1)
	v_pk_fma_f32 v[128:129], v[126:127], v[114:115], v[124:125] op_sel:[0,0,1] op_sel_hi:[1,1,0] neg_lo:[0,0,1] neg_hi:[0,0,1]
	v_pk_fma_f32 v[124:125], v[126:127], v[114:115], v[124:125] op_sel:[0,0,1] op_sel_hi:[1,0,0]
	v_mov_b32_e32 v129, v125
	ds_load_2addr_b64 v[124:127], v118 offset0:50 offset1:51
	v_pk_add_f32 v[6:7], v[6:7], v[128:129] neg_lo:[0,1] neg_hi:[0,1]
	s_wait_dscnt 0x0
	v_pk_mul_f32 v[128:129], v[124:125], v[116:117] op_sel:[0,1]
	s_delay_alu instid0(VALU_DEP_1) | instskip(SKIP_1) | instid1(VALU_DEP_1)
	v_pk_fma_f32 v[130:131], v[124:125], v[114:115], v[128:129] op_sel:[0,0,1] op_sel_hi:[1,1,0] neg_lo:[0,0,1] neg_hi:[0,0,1]
	v_pk_fma_f32 v[124:125], v[124:125], v[114:115], v[128:129] op_sel:[0,0,1] op_sel_hi:[1,0,0]
	v_mov_b32_e32 v131, v125
	v_pk_mul_f32 v[124:125], v[126:127], v[116:117] op_sel:[0,1]
	s_delay_alu instid0(VALU_DEP_2) | instskip(NEXT) | instid1(VALU_DEP_2)
	v_pk_add_f32 v[46:47], v[46:47], v[130:131] neg_lo:[0,1] neg_hi:[0,1]
	v_pk_fma_f32 v[128:129], v[126:127], v[114:115], v[124:125] op_sel:[0,0,1] op_sel_hi:[1,1,0] neg_lo:[0,0,1] neg_hi:[0,0,1]
	v_pk_fma_f32 v[124:125], v[126:127], v[114:115], v[124:125] op_sel:[0,0,1] op_sel_hi:[1,0,0]
	s_delay_alu instid0(VALU_DEP_1)
	v_mov_b32_e32 v129, v125
	ds_load_2addr_b64 v[124:127], v118 offset0:52 offset1:53
	v_pk_add_f32 v[28:29], v[28:29], v[128:129] neg_lo:[0,1] neg_hi:[0,1]
	s_wait_dscnt 0x0
	v_pk_mul_f32 v[128:129], v[124:125], v[116:117] op_sel:[0,1]
	v_mul_f32_e32 v116, v127, v117
	s_delay_alu instid0(VALU_DEP_2) | instskip(SKIP_2) | instid1(VALU_DEP_4)
	v_pk_fma_f32 v[130:131], v[124:125], v[114:115], v[128:129] op_sel:[0,0,1] op_sel_hi:[1,1,0] neg_lo:[0,0,1] neg_hi:[0,0,1]
	v_pk_fma_f32 v[124:125], v[124:125], v[114:115], v[128:129] op_sel:[0,0,1] op_sel_hi:[1,0,0]
	v_dual_mov_b32 v124, v127 :: v_dual_mul_f32 v114, v127, v114
	v_pk_fma_f32 v[116:117], v[126:127], v[38:39], v[116:117] op_sel_hi:[1,1,0] neg_lo:[0,0,1] neg_hi:[0,0,1]
	s_delay_alu instid0(VALU_DEP_3) | instskip(NEXT) | instid1(VALU_DEP_1)
	v_dual_mov_b32 v131, v125 :: v_dual_mov_b32 v125, v126
	v_pk_add_f32 v[14:15], v[14:15], v[130:131] neg_lo:[0,1] neg_hi:[0,1]
	s_delay_alu instid0(VALU_DEP_2) | instskip(NEXT) | instid1(VALU_DEP_1)
	v_pk_fma_f32 v[114:115], v[124:125], v[38:39], v[114:115] op_sel_hi:[1,1,0]
	v_mov_b32_e32 v117, v115
	s_delay_alu instid0(VALU_DEP_1)
	v_pk_add_f32 v[112:113], v[112:113], v[116:117] neg_lo:[0,1] neg_hi:[0,1]
.LBB106_629:
	s_or_b32 exec_lo, exec_lo, s0
	v_lshl_add_u32 v114, v122, 3, v118
	s_barrier_signal -1
	s_barrier_wait -1
	ds_store_b64 v114, v[40:41]
	s_wait_dscnt 0x0
	s_barrier_signal -1
	s_barrier_wait -1
	ds_load_b64 v[116:117], v118 offset:240
	v_mov_b32_e32 v114, 30
	s_cmp_lt_i32 s18, 32
	s_cbranch_scc1 .LBB106_632
; %bb.630:
	v_add3_u32 v115, v119, 0, 0xf8
	v_mov_b32_e32 v114, 30
	s_mov_b32 s0, 31
.LBB106_631:                            ; =>This Inner Loop Header: Depth=1
	ds_load_b64 v[124:125], v115
	s_wait_dscnt 0x1
	v_cmp_gt_f32_e32 vcc_lo, 0, v116
	v_cndmask_b32_e64 v126, v116, -v116, vcc_lo
	v_cmp_gt_f32_e32 vcc_lo, 0, v117
	v_cndmask_b32_e64 v128, v117, -v117, vcc_lo
	s_wait_dscnt 0x0
	v_cmp_gt_f32_e32 vcc_lo, 0, v124
	v_cndmask_b32_e64 v127, v124, -v124, vcc_lo
	v_cmp_gt_f32_e32 vcc_lo, 0, v125
	v_cndmask_b32_e64 v129, v125, -v125, vcc_lo
	s_delay_alu instid0(VALU_DEP_1) | instskip(NEXT) | instid1(VALU_DEP_1)
	v_pk_add_f32 v[126:127], v[126:127], v[128:129]
	v_cmp_lt_f32_e32 vcc_lo, v126, v127
	v_dual_add_nc_u32 v115, 8, v115 :: v_dual_cndmask_b32 v117, v117, v125, vcc_lo
	v_cndmask_b32_e32 v116, v116, v124, vcc_lo
	v_cndmask_b32_e64 v114, v114, s0, vcc_lo
	s_add_co_i32 s0, s0, 1
	s_delay_alu instid0(SALU_CYCLE_1)
	s_cmp_lg_u32 s18, s0
	s_cbranch_scc1 .LBB106_631
.LBB106_632:
	s_wait_dscnt 0x0
	v_cmp_eq_f32_e32 vcc_lo, 0, v116
	v_cmp_eq_f32_e64 s0, 0, v117
	s_and_b32 s0, vcc_lo, s0
	s_delay_alu instid0(SALU_CYCLE_1) | instskip(NEXT) | instid1(SALU_CYCLE_1)
	s_and_saveexec_b32 s1, s0
	s_xor_b32 s0, exec_lo, s1
; %bb.633:
	v_cmp_ne_u32_e32 vcc_lo, 0, v120
	v_cndmask_b32_e32 v120, 31, v120, vcc_lo
; %bb.634:
	s_and_not1_saveexec_b32 s0, s0
	s_cbranch_execz .LBB106_640
; %bb.635:
	v_cmp_ngt_f32_e64 s1, |v116|, |v117|
	s_and_saveexec_b32 s12, s1
	s_delay_alu instid0(SALU_CYCLE_1)
	s_xor_b32 s1, exec_lo, s12
	s_cbranch_execz .LBB106_637
; %bb.636:
	v_div_scale_f32 v115, null, v117, v117, v116
	v_div_scale_f32 v125, vcc_lo, v116, v117, v116
	s_delay_alu instid0(VALU_DEP_2) | instskip(SKIP_1) | instid1(TRANS32_DEP_1)
	v_rcp_f32_e32 v123, v115
	v_nop
	v_fma_f32 v124, -v115, v123, 1.0
	s_delay_alu instid0(VALU_DEP_1) | instskip(NEXT) | instid1(VALU_DEP_1)
	v_fmac_f32_e32 v123, v124, v123
	v_mul_f32_e32 v124, v125, v123
	s_delay_alu instid0(VALU_DEP_1) | instskip(NEXT) | instid1(VALU_DEP_1)
	v_fma_f32 v126, -v115, v124, v125
	v_fmac_f32_e32 v124, v126, v123
	s_delay_alu instid0(VALU_DEP_1) | instskip(NEXT) | instid1(VALU_DEP_1)
	v_fma_f32 v115, -v115, v124, v125
	v_div_fmas_f32 v115, v115, v123, v124
	s_delay_alu instid0(VALU_DEP_1) | instskip(NEXT) | instid1(VALU_DEP_1)
	v_div_fixup_f32 v115, v115, v117, v116
	v_fmac_f32_e32 v117, v116, v115
	s_delay_alu instid0(VALU_DEP_1) | instskip(SKIP_1) | instid1(VALU_DEP_2)
	v_div_scale_f32 v116, null, v117, v117, 1.0
	v_div_scale_f32 v125, vcc_lo, 1.0, v117, 1.0
	v_rcp_f32_e32 v123, v116
	v_nop
	s_delay_alu instid0(TRANS32_DEP_1) | instskip(NEXT) | instid1(VALU_DEP_1)
	v_fma_f32 v124, -v116, v123, 1.0
	v_fmac_f32_e32 v123, v124, v123
	s_delay_alu instid0(VALU_DEP_1) | instskip(NEXT) | instid1(VALU_DEP_1)
	v_mul_f32_e32 v124, v125, v123
	v_fma_f32 v126, -v116, v124, v125
	s_delay_alu instid0(VALU_DEP_1) | instskip(NEXT) | instid1(VALU_DEP_1)
	v_fmac_f32_e32 v124, v126, v123
	v_fma_f32 v116, -v116, v124, v125
	s_delay_alu instid0(VALU_DEP_1) | instskip(NEXT) | instid1(VALU_DEP_1)
	v_div_fmas_f32 v116, v116, v123, v124
	v_div_fixup_f32 v117, v116, v117, 1.0
	s_delay_alu instid0(VALU_DEP_1)
	v_mul_f32_e32 v116, v115, v117
	v_xor_b32_e32 v117, 0x80000000, v117
.LBB106_637:
	s_and_not1_saveexec_b32 s1, s1
	s_cbranch_execz .LBB106_639
; %bb.638:
	s_delay_alu instid0(VALU_DEP_1) | instskip(SKIP_1) | instid1(VALU_DEP_2)
	v_div_scale_f32 v115, null, v116, v116, v117
	v_div_scale_f32 v125, vcc_lo, v117, v116, v117
	v_rcp_f32_e32 v123, v115
	v_nop
	s_delay_alu instid0(TRANS32_DEP_1) | instskip(NEXT) | instid1(VALU_DEP_1)
	v_fma_f32 v124, -v115, v123, 1.0
	v_fmac_f32_e32 v123, v124, v123
	s_delay_alu instid0(VALU_DEP_1) | instskip(NEXT) | instid1(VALU_DEP_1)
	v_mul_f32_e32 v124, v125, v123
	v_fma_f32 v126, -v115, v124, v125
	s_delay_alu instid0(VALU_DEP_1) | instskip(NEXT) | instid1(VALU_DEP_1)
	v_fmac_f32_e32 v124, v126, v123
	v_fma_f32 v115, -v115, v124, v125
	s_delay_alu instid0(VALU_DEP_1) | instskip(NEXT) | instid1(VALU_DEP_1)
	v_div_fmas_f32 v115, v115, v123, v124
	v_div_fixup_f32 v115, v115, v116, v117
	s_delay_alu instid0(VALU_DEP_1) | instskip(NEXT) | instid1(VALU_DEP_1)
	v_fmac_f32_e32 v116, v117, v115
	v_div_scale_f32 v117, null, v116, v116, 1.0
	s_delay_alu instid0(VALU_DEP_1) | instskip(SKIP_1) | instid1(TRANS32_DEP_1)
	v_rcp_f32_e32 v123, v117
	v_nop
	v_fma_f32 v124, -v117, v123, 1.0
	s_delay_alu instid0(VALU_DEP_1) | instskip(SKIP_1) | instid1(VALU_DEP_1)
	v_fmac_f32_e32 v123, v124, v123
	v_div_scale_f32 v124, vcc_lo, 1.0, v116, 1.0
	v_mul_f32_e32 v125, v124, v123
	s_delay_alu instid0(VALU_DEP_1) | instskip(NEXT) | instid1(VALU_DEP_1)
	v_fma_f32 v126, -v117, v125, v124
	v_fmac_f32_e32 v125, v126, v123
	s_delay_alu instid0(VALU_DEP_1) | instskip(NEXT) | instid1(VALU_DEP_1)
	v_fma_f32 v117, -v117, v125, v124
	v_div_fmas_f32 v117, v117, v123, v125
	s_delay_alu instid0(VALU_DEP_1) | instskip(NEXT) | instid1(VALU_DEP_1)
	v_div_fixup_f32 v116, v117, v116, 1.0
	v_mul_f32_e64 v117, v115, -v116
.LBB106_639:
	s_or_b32 exec_lo, exec_lo, s1
.LBB106_640:
	s_delay_alu instid0(SALU_CYCLE_1) | instskip(NEXT) | instid1(SALU_CYCLE_1)
	s_or_b32 exec_lo, exec_lo, s0
	s_mov_b32 s0, exec_lo
	v_cmpx_ne_u32_e64 v122, v114
	s_xor_b32 s0, exec_lo, s0
	s_cbranch_execz .LBB106_646
; %bb.641:
	s_mov_b32 s1, exec_lo
	v_cmpx_eq_u32_e32 30, v122
	s_cbranch_execz .LBB106_645
; %bb.642:
	v_cmp_ne_u32_e32 vcc_lo, 30, v114
	s_xor_b32 s12, s16, -1
	s_delay_alu instid0(SALU_CYCLE_1) | instskip(NEXT) | instid1(SALU_CYCLE_1)
	s_and_b32 s13, s12, vcc_lo
	s_and_saveexec_b32 s12, s13
	s_cbranch_execz .LBB106_644
; %bb.643:
	v_ashrrev_i32_e32 v115, 31, v114
	s_delay_alu instid0(VALU_DEP_1)
	v_lshl_add_u64 v[122:123], v[114:115], 2, v[4:5]
	s_clause 0x1
	global_load_b32 v115, v[122:123], off
	global_load_b32 v121, v[4:5], off offset:120
	s_wait_loadcnt 0x1
	global_store_b32 v[4:5], v115, off offset:120
	s_wait_loadcnt 0x0
	global_store_b32 v[122:123], v121, off
.LBB106_644:
	s_wait_xcnt 0x0
	s_or_b32 exec_lo, exec_lo, s12
	v_dual_mov_b32 v122, v114 :: v_dual_mov_b32 v121, v114
.LBB106_645:
	s_or_b32 exec_lo, exec_lo, s1
.LBB106_646:
	s_and_not1_saveexec_b32 s0, s0
	s_cbranch_execz .LBB106_648
; %bb.647:
	v_mov_b32_e32 v122, 30
	ds_store_2addr_b64 v118, v[36:37], v[88:89] offset0:31 offset1:32
	ds_store_2addr_b64 v118, v[32:33], v[34:35] offset0:33 offset1:34
	;; [unrolled: 1-line block ×11, first 2 shown]
	ds_store_b64 v118, v[112:113] offset:424
.LBB106_648:
	s_or_b32 exec_lo, exec_lo, s0
	s_delay_alu instid0(SALU_CYCLE_1)
	s_mov_b32 s0, exec_lo
	s_wait_storecnt_dscnt 0x0
	s_barrier_signal -1
	s_barrier_wait -1
	v_cmpx_lt_i32_e32 30, v122
	s_cbranch_execz .LBB106_650
; %bb.649:
	v_pk_mul_f32 v[124:125], v[116:117], v[40:41] op_sel:[1,1] op_sel_hi:[0,1]
	s_delay_alu instid0(VALU_DEP_1)
	v_pk_fma_f32 v[114:115], v[116:117], v[40:41], v[124:125] op_sel_hi:[1,0,1] neg_lo:[0,0,1] neg_hi:[0,0,1]
	v_pk_fma_f32 v[116:117], v[116:117], v[40:41], v[124:125] op_sel_hi:[1,0,1]
	ds_load_2addr_b64 v[124:127], v118 offset0:31 offset1:32
	v_dual_mov_b32 v40, v114 :: v_dual_mov_b32 v41, v117
	s_wait_dscnt 0x0
	v_pk_mul_f32 v[128:129], v[124:125], v[116:117] op_sel:[0,1]
	s_delay_alu instid0(VALU_DEP_1) | instskip(SKIP_1) | instid1(VALU_DEP_1)
	v_pk_fma_f32 v[130:131], v[124:125], v[114:115], v[128:129] op_sel:[0,0,1] op_sel_hi:[1,1,0] neg_lo:[0,0,1] neg_hi:[0,0,1]
	v_pk_fma_f32 v[124:125], v[124:125], v[114:115], v[128:129] op_sel:[0,0,1] op_sel_hi:[1,0,0]
	v_mov_b32_e32 v131, v125
	v_pk_mul_f32 v[124:125], v[126:127], v[116:117] op_sel:[0,1]
	s_delay_alu instid0(VALU_DEP_1) | instskip(SKIP_1) | instid1(VALU_DEP_1)
	v_pk_fma_f32 v[128:129], v[126:127], v[114:115], v[124:125] op_sel:[0,0,1] op_sel_hi:[1,1,0] neg_lo:[0,0,1] neg_hi:[0,0,1]
	v_pk_fma_f32 v[124:125], v[126:127], v[114:115], v[124:125] op_sel:[0,0,1] op_sel_hi:[1,0,0]
	v_mov_b32_e32 v129, v125
	ds_load_2addr_b64 v[124:127], v118 offset0:33 offset1:34
	v_pk_add_f32 v[36:37], v[36:37], v[130:131] neg_lo:[0,1] neg_hi:[0,1]
	v_pk_add_f32 v[88:89], v[88:89], v[128:129] neg_lo:[0,1] neg_hi:[0,1]
	s_wait_dscnt 0x0
	v_pk_mul_f32 v[128:129], v[124:125], v[116:117] op_sel:[0,1]
	s_delay_alu instid0(VALU_DEP_1) | instskip(SKIP_2) | instid1(VALU_DEP_2)
	v_pk_fma_f32 v[130:131], v[124:125], v[114:115], v[128:129] op_sel:[0,0,1] op_sel_hi:[1,1,0] neg_lo:[0,0,1] neg_hi:[0,0,1]
	v_pk_fma_f32 v[124:125], v[124:125], v[114:115], v[128:129] op_sel:[0,0,1] op_sel_hi:[1,0,0]
	v_dual_mul_f32 v128, v127, v117 :: v_dual_mov_b32 v124, v127
	v_dual_mov_b32 v131, v125 :: v_dual_mov_b32 v125, v126
	s_delay_alu instid0(VALU_DEP_2) | instskip(SKIP_1) | instid1(VALU_DEP_3)
	v_pk_fma_f32 v[128:129], v[126:127], v[40:41], v[128:129] op_sel_hi:[1,1,0] neg_lo:[0,0,1] neg_hi:[0,0,1]
	v_mul_f32_e32 v126, v127, v114
	v_pk_add_f32 v[32:33], v[32:33], v[130:131] neg_lo:[0,1] neg_hi:[0,1]
	s_delay_alu instid0(VALU_DEP_2) | instskip(NEXT) | instid1(VALU_DEP_1)
	v_pk_fma_f32 v[124:125], v[124:125], v[40:41], v[126:127] op_sel_hi:[1,1,0]
	v_mov_b32_e32 v129, v125
	ds_load_2addr_b64 v[124:127], v118 offset0:35 offset1:36
	v_pk_add_f32 v[34:35], v[34:35], v[128:129] neg_lo:[0,1] neg_hi:[0,1]
	s_wait_dscnt 0x0
	v_pk_mul_f32 v[128:129], v[124:125], v[116:117] op_sel:[0,1]
	s_delay_alu instid0(VALU_DEP_1) | instskip(SKIP_1) | instid1(VALU_DEP_1)
	v_pk_fma_f32 v[130:131], v[124:125], v[114:115], v[128:129] op_sel:[0,0,1] op_sel_hi:[1,1,0] neg_lo:[0,0,1] neg_hi:[0,0,1]
	v_pk_fma_f32 v[124:125], v[124:125], v[114:115], v[128:129] op_sel:[0,0,1] op_sel_hi:[1,0,0]
	v_mov_b32_e32 v131, v125
	v_pk_mul_f32 v[124:125], v[126:127], v[116:117] op_sel:[0,1]
	s_delay_alu instid0(VALU_DEP_1) | instskip(SKIP_1) | instid1(VALU_DEP_1)
	v_pk_fma_f32 v[128:129], v[126:127], v[114:115], v[124:125] op_sel:[0,0,1] op_sel_hi:[1,1,0] neg_lo:[0,0,1] neg_hi:[0,0,1]
	v_pk_fma_f32 v[124:125], v[126:127], v[114:115], v[124:125] op_sel:[0,0,1] op_sel_hi:[1,0,0]
	v_mov_b32_e32 v129, v125
	ds_load_2addr_b64 v[124:127], v118 offset0:37 offset1:38
	v_pk_add_f32 v[30:31], v[30:31], v[130:131] neg_lo:[0,1] neg_hi:[0,1]
	v_pk_add_f32 v[86:87], v[86:87], v[128:129] neg_lo:[0,1] neg_hi:[0,1]
	s_wait_dscnt 0x0
	v_pk_mul_f32 v[128:129], v[124:125], v[116:117] op_sel:[0,1]
	s_delay_alu instid0(VALU_DEP_1) | instskip(SKIP_1) | instid1(VALU_DEP_1)
	v_pk_fma_f32 v[130:131], v[124:125], v[114:115], v[128:129] op_sel:[0,0,1] op_sel_hi:[1,1,0] neg_lo:[0,0,1] neg_hi:[0,0,1]
	v_pk_fma_f32 v[124:125], v[124:125], v[114:115], v[128:129] op_sel:[0,0,1] op_sel_hi:[1,0,0]
	v_mov_b32_e32 v131, v125
	v_pk_mul_f32 v[124:125], v[126:127], v[116:117] op_sel:[0,1]
	s_delay_alu instid0(VALU_DEP_1) | instskip(SKIP_1) | instid1(VALU_DEP_1)
	v_pk_fma_f32 v[128:129], v[126:127], v[114:115], v[124:125] op_sel:[0,0,1] op_sel_hi:[1,1,0] neg_lo:[0,0,1] neg_hi:[0,0,1]
	v_pk_fma_f32 v[124:125], v[126:127], v[114:115], v[124:125] op_sel:[0,0,1] op_sel_hi:[1,0,0]
	v_mov_b32_e32 v129, v125
	ds_load_2addr_b64 v[124:127], v118 offset0:39 offset1:40
	v_pk_add_f32 v[24:25], v[24:25], v[130:131] neg_lo:[0,1] neg_hi:[0,1]
	v_pk_add_f32 v[26:27], v[26:27], v[128:129] neg_lo:[0,1] neg_hi:[0,1]
	s_wait_dscnt 0x0
	v_dual_mul_f32 v128, v125, v117 :: v_dual_mul_f32 v130, v125, v114
	s_delay_alu instid0(VALU_DEP_1) | instskip(NEXT) | instid1(VALU_DEP_2)
	v_pk_fma_f32 v[128:129], v[124:125], v[40:41], v[128:129] op_sel_hi:[1,1,0] neg_lo:[0,0,1] neg_hi:[0,0,1]
	v_pk_fma_f32 v[124:125], v[124:125], v[40:41], v[130:131] op_sel:[1,0,0] op_sel_hi:[0,1,0]
	s_delay_alu instid0(VALU_DEP_1) | instskip(SKIP_1) | instid1(VALU_DEP_2)
	v_mov_b32_e32 v129, v125
	v_pk_mul_f32 v[124:125], v[126:127], v[116:117] op_sel:[0,1]
	v_pk_add_f32 v[22:23], v[22:23], v[128:129] neg_lo:[0,1] neg_hi:[0,1]
	s_delay_alu instid0(VALU_DEP_2) | instskip(SKIP_1) | instid1(VALU_DEP_1)
	v_pk_fma_f32 v[128:129], v[126:127], v[114:115], v[124:125] op_sel:[0,0,1] op_sel_hi:[1,1,0] neg_lo:[0,0,1] neg_hi:[0,0,1]
	v_pk_fma_f32 v[124:125], v[126:127], v[114:115], v[124:125] op_sel:[0,0,1] op_sel_hi:[1,0,0]
	v_mov_b32_e32 v129, v125
	ds_load_2addr_b64 v[124:127], v118 offset0:41 offset1:42
	v_pk_add_f32 v[84:85], v[84:85], v[128:129] neg_lo:[0,1] neg_hi:[0,1]
	s_wait_dscnt 0x0
	v_pk_mul_f32 v[128:129], v[124:125], v[116:117] op_sel:[0,1]
	s_delay_alu instid0(VALU_DEP_1) | instskip(SKIP_1) | instid1(VALU_DEP_1)
	v_pk_fma_f32 v[130:131], v[124:125], v[114:115], v[128:129] op_sel:[0,0,1] op_sel_hi:[1,1,0] neg_lo:[0,0,1] neg_hi:[0,0,1]
	v_pk_fma_f32 v[124:125], v[124:125], v[114:115], v[128:129] op_sel:[0,0,1] op_sel_hi:[1,0,0]
	v_mov_b32_e32 v131, v125
	v_pk_mul_f32 v[124:125], v[126:127], v[116:117] op_sel:[0,1]
	s_delay_alu instid0(VALU_DEP_2) | instskip(NEXT) | instid1(VALU_DEP_2)
	v_pk_add_f32 v[18:19], v[18:19], v[130:131] neg_lo:[0,1] neg_hi:[0,1]
	v_pk_fma_f32 v[128:129], v[126:127], v[114:115], v[124:125] op_sel:[0,0,1] op_sel_hi:[1,1,0] neg_lo:[0,0,1] neg_hi:[0,0,1]
	v_pk_fma_f32 v[124:125], v[126:127], v[114:115], v[124:125] op_sel:[0,0,1] op_sel_hi:[1,0,0]
	s_delay_alu instid0(VALU_DEP_1) | instskip(SKIP_4) | instid1(VALU_DEP_1)
	v_mov_b32_e32 v129, v125
	ds_load_2addr_b64 v[124:127], v118 offset0:43 offset1:44
	v_pk_add_f32 v[20:21], v[20:21], v[128:129] neg_lo:[0,1] neg_hi:[0,1]
	s_wait_dscnt 0x0
	v_pk_mul_f32 v[128:129], v[124:125], v[116:117] op_sel:[0,1]
	v_pk_fma_f32 v[130:131], v[124:125], v[114:115], v[128:129] op_sel:[0,0,1] op_sel_hi:[1,1,0] neg_lo:[0,0,1] neg_hi:[0,0,1]
	v_pk_fma_f32 v[124:125], v[124:125], v[114:115], v[128:129] op_sel:[0,0,1] op_sel_hi:[1,0,0]
	v_dual_mul_f32 v128, v127, v117 :: v_dual_mov_b32 v124, v127
	s_delay_alu instid0(VALU_DEP_2) | instskip(NEXT) | instid1(VALU_DEP_2)
	v_dual_mov_b32 v131, v125 :: v_dual_mov_b32 v125, v126
	v_pk_fma_f32 v[128:129], v[126:127], v[40:41], v[128:129] op_sel_hi:[1,1,0] neg_lo:[0,0,1] neg_hi:[0,0,1]
	v_mul_f32_e32 v126, v127, v114
	s_delay_alu instid0(VALU_DEP_3) | instskip(NEXT) | instid1(VALU_DEP_2)
	v_pk_add_f32 v[16:17], v[16:17], v[130:131] neg_lo:[0,1] neg_hi:[0,1]
	v_pk_fma_f32 v[124:125], v[124:125], v[40:41], v[126:127] op_sel_hi:[1,1,0]
	s_delay_alu instid0(VALU_DEP_1) | instskip(SKIP_4) | instid1(VALU_DEP_1)
	v_mov_b32_e32 v129, v125
	ds_load_2addr_b64 v[124:127], v118 offset0:45 offset1:46
	v_pk_add_f32 v[82:83], v[82:83], v[128:129] neg_lo:[0,1] neg_hi:[0,1]
	s_wait_dscnt 0x0
	v_pk_mul_f32 v[128:129], v[124:125], v[116:117] op_sel:[0,1]
	v_pk_fma_f32 v[130:131], v[124:125], v[114:115], v[128:129] op_sel:[0,0,1] op_sel_hi:[1,1,0] neg_lo:[0,0,1] neg_hi:[0,0,1]
	v_pk_fma_f32 v[124:125], v[124:125], v[114:115], v[128:129] op_sel:[0,0,1] op_sel_hi:[1,0,0]
	s_delay_alu instid0(VALU_DEP_1) | instskip(SKIP_1) | instid1(VALU_DEP_1)
	v_mov_b32_e32 v131, v125
	v_pk_mul_f32 v[124:125], v[126:127], v[116:117] op_sel:[0,1]
	v_pk_fma_f32 v[128:129], v[126:127], v[114:115], v[124:125] op_sel:[0,0,1] op_sel_hi:[1,1,0] neg_lo:[0,0,1] neg_hi:[0,0,1]
	v_pk_fma_f32 v[124:125], v[126:127], v[114:115], v[124:125] op_sel:[0,0,1] op_sel_hi:[1,0,0]
	s_delay_alu instid0(VALU_DEP_1)
	v_mov_b32_e32 v129, v125
	ds_load_2addr_b64 v[124:127], v118 offset0:47 offset1:48
	v_pk_add_f32 v[10:11], v[10:11], v[130:131] neg_lo:[0,1] neg_hi:[0,1]
	v_pk_add_f32 v[12:13], v[12:13], v[128:129] neg_lo:[0,1] neg_hi:[0,1]
	s_wait_dscnt 0x0
	v_pk_mul_f32 v[128:129], v[124:125], v[116:117] op_sel:[0,1]
	s_delay_alu instid0(VALU_DEP_1) | instskip(SKIP_1) | instid1(VALU_DEP_1)
	v_pk_fma_f32 v[130:131], v[124:125], v[114:115], v[128:129] op_sel:[0,0,1] op_sel_hi:[1,1,0] neg_lo:[0,0,1] neg_hi:[0,0,1]
	v_pk_fma_f32 v[124:125], v[124:125], v[114:115], v[128:129] op_sel:[0,0,1] op_sel_hi:[1,0,0]
	v_mov_b32_e32 v131, v125
	v_pk_mul_f32 v[124:125], v[126:127], v[116:117] op_sel:[0,1]
	s_delay_alu instid0(VALU_DEP_1) | instskip(SKIP_1) | instid1(VALU_DEP_1)
	v_pk_fma_f32 v[128:129], v[126:127], v[114:115], v[124:125] op_sel:[0,0,1] op_sel_hi:[1,1,0] neg_lo:[0,0,1] neg_hi:[0,0,1]
	v_pk_fma_f32 v[124:125], v[126:127], v[114:115], v[124:125] op_sel:[0,0,1] op_sel_hi:[1,0,0]
	v_mov_b32_e32 v129, v125
	ds_load_2addr_b64 v[124:127], v118 offset0:49 offset1:50
	v_pk_add_f32 v[8:9], v[8:9], v[130:131] neg_lo:[0,1] neg_hi:[0,1]
	v_pk_add_f32 v[66:67], v[66:67], v[128:129] neg_lo:[0,1] neg_hi:[0,1]
	s_wait_dscnt 0x0
	v_dual_mul_f32 v128, v125, v117 :: v_dual_mul_f32 v130, v125, v114
	s_delay_alu instid0(VALU_DEP_1) | instskip(NEXT) | instid1(VALU_DEP_2)
	v_pk_fma_f32 v[128:129], v[124:125], v[40:41], v[128:129] op_sel_hi:[1,1,0] neg_lo:[0,0,1] neg_hi:[0,0,1]
	v_pk_fma_f32 v[124:125], v[124:125], v[40:41], v[130:131] op_sel:[1,0,0] op_sel_hi:[0,1,0]
	s_delay_alu instid0(VALU_DEP_1) | instskip(SKIP_1) | instid1(VALU_DEP_2)
	v_mov_b32_e32 v129, v125
	v_pk_mul_f32 v[124:125], v[126:127], v[116:117] op_sel:[0,1]
	v_pk_add_f32 v[6:7], v[6:7], v[128:129] neg_lo:[0,1] neg_hi:[0,1]
	s_delay_alu instid0(VALU_DEP_2) | instskip(SKIP_1) | instid1(VALU_DEP_1)
	v_pk_fma_f32 v[128:129], v[126:127], v[114:115], v[124:125] op_sel:[0,0,1] op_sel_hi:[1,1,0] neg_lo:[0,0,1] neg_hi:[0,0,1]
	v_pk_fma_f32 v[124:125], v[126:127], v[114:115], v[124:125] op_sel:[0,0,1] op_sel_hi:[1,0,0]
	v_mov_b32_e32 v129, v125
	ds_load_2addr_b64 v[124:127], v118 offset0:51 offset1:52
	v_pk_add_f32 v[46:47], v[46:47], v[128:129] neg_lo:[0,1] neg_hi:[0,1]
	s_wait_dscnt 0x0
	v_pk_mul_f32 v[128:129], v[124:125], v[116:117] op_sel:[0,1]
	s_delay_alu instid0(VALU_DEP_1) | instskip(SKIP_1) | instid1(VALU_DEP_1)
	v_pk_fma_f32 v[130:131], v[124:125], v[114:115], v[128:129] op_sel:[0,0,1] op_sel_hi:[1,1,0] neg_lo:[0,0,1] neg_hi:[0,0,1]
	v_pk_fma_f32 v[124:125], v[124:125], v[114:115], v[128:129] op_sel:[0,0,1] op_sel_hi:[1,0,0]
	v_mov_b32_e32 v131, v125
	v_pk_mul_f32 v[124:125], v[126:127], v[116:117] op_sel:[0,1]
	s_delay_alu instid0(VALU_DEP_2) | instskip(NEXT) | instid1(VALU_DEP_2)
	v_pk_add_f32 v[28:29], v[28:29], v[130:131] neg_lo:[0,1] neg_hi:[0,1]
	v_pk_fma_f32 v[128:129], v[126:127], v[114:115], v[124:125] op_sel:[0,0,1] op_sel_hi:[1,1,0] neg_lo:[0,0,1] neg_hi:[0,0,1]
	v_pk_fma_f32 v[124:125], v[126:127], v[114:115], v[124:125] op_sel:[0,0,1] op_sel_hi:[1,0,0]
	s_delay_alu instid0(VALU_DEP_1) | instskip(SKIP_4) | instid1(VALU_DEP_1)
	v_mov_b32_e32 v129, v125
	ds_load_b64 v[124:125], v118 offset:424
	v_pk_add_f32 v[14:15], v[14:15], v[128:129] neg_lo:[0,1] neg_hi:[0,1]
	s_wait_dscnt 0x0
	v_pk_mul_f32 v[116:117], v[124:125], v[116:117] op_sel:[0,1]
	v_pk_fma_f32 v[126:127], v[124:125], v[114:115], v[116:117] op_sel:[0,0,1] op_sel_hi:[1,1,0] neg_lo:[0,0,1] neg_hi:[0,0,1]
	v_pk_fma_f32 v[114:115], v[124:125], v[114:115], v[116:117] op_sel:[0,0,1] op_sel_hi:[1,0,0]
	s_delay_alu instid0(VALU_DEP_1) | instskip(NEXT) | instid1(VALU_DEP_1)
	v_mov_b32_e32 v127, v115
	v_pk_add_f32 v[112:113], v[112:113], v[126:127] neg_lo:[0,1] neg_hi:[0,1]
.LBB106_650:
	s_or_b32 exec_lo, exec_lo, s0
	v_lshl_add_u32 v114, v122, 3, v118
	s_barrier_signal -1
	s_barrier_wait -1
	ds_store_b64 v114, v[36:37]
	s_wait_dscnt 0x0
	s_barrier_signal -1
	s_barrier_wait -1
	ds_load_b64 v[116:117], v118 offset:248
	v_mov_b32_e32 v114, 31
	s_cmp_lt_i32 s18, 33
	s_cbranch_scc1 .LBB106_653
; %bb.651:
	v_add3_u32 v115, v119, 0, 0x100
	v_mov_b32_e32 v114, 31
	s_mov_b32 s0, 32
.LBB106_652:                            ; =>This Inner Loop Header: Depth=1
	ds_load_b64 v[124:125], v115
	s_wait_dscnt 0x1
	v_cmp_gt_f32_e32 vcc_lo, 0, v116
	v_cndmask_b32_e64 v126, v116, -v116, vcc_lo
	v_cmp_gt_f32_e32 vcc_lo, 0, v117
	v_cndmask_b32_e64 v128, v117, -v117, vcc_lo
	s_wait_dscnt 0x0
	v_cmp_gt_f32_e32 vcc_lo, 0, v124
	v_cndmask_b32_e64 v127, v124, -v124, vcc_lo
	v_cmp_gt_f32_e32 vcc_lo, 0, v125
	v_cndmask_b32_e64 v129, v125, -v125, vcc_lo
	s_delay_alu instid0(VALU_DEP_1) | instskip(NEXT) | instid1(VALU_DEP_1)
	v_pk_add_f32 v[126:127], v[126:127], v[128:129]
	v_cmp_lt_f32_e32 vcc_lo, v126, v127
	v_dual_add_nc_u32 v115, 8, v115 :: v_dual_cndmask_b32 v117, v117, v125, vcc_lo
	v_cndmask_b32_e32 v116, v116, v124, vcc_lo
	v_cndmask_b32_e64 v114, v114, s0, vcc_lo
	s_add_co_i32 s0, s0, 1
	s_delay_alu instid0(SALU_CYCLE_1)
	s_cmp_lg_u32 s18, s0
	s_cbranch_scc1 .LBB106_652
.LBB106_653:
	s_wait_dscnt 0x0
	v_cmp_eq_f32_e32 vcc_lo, 0, v116
	v_cmp_eq_f32_e64 s0, 0, v117
	s_and_b32 s0, vcc_lo, s0
	s_delay_alu instid0(SALU_CYCLE_1) | instskip(NEXT) | instid1(SALU_CYCLE_1)
	s_and_saveexec_b32 s1, s0
	s_xor_b32 s0, exec_lo, s1
; %bb.654:
	v_cmp_ne_u32_e32 vcc_lo, 0, v120
	v_cndmask_b32_e32 v120, 32, v120, vcc_lo
; %bb.655:
	s_and_not1_saveexec_b32 s0, s0
	s_cbranch_execz .LBB106_661
; %bb.656:
	v_cmp_ngt_f32_e64 s1, |v116|, |v117|
	s_and_saveexec_b32 s12, s1
	s_delay_alu instid0(SALU_CYCLE_1)
	s_xor_b32 s1, exec_lo, s12
	s_cbranch_execz .LBB106_658
; %bb.657:
	v_div_scale_f32 v115, null, v117, v117, v116
	v_div_scale_f32 v125, vcc_lo, v116, v117, v116
	s_delay_alu instid0(VALU_DEP_2) | instskip(SKIP_1) | instid1(TRANS32_DEP_1)
	v_rcp_f32_e32 v123, v115
	v_nop
	v_fma_f32 v124, -v115, v123, 1.0
	s_delay_alu instid0(VALU_DEP_1) | instskip(NEXT) | instid1(VALU_DEP_1)
	v_fmac_f32_e32 v123, v124, v123
	v_mul_f32_e32 v124, v125, v123
	s_delay_alu instid0(VALU_DEP_1) | instskip(NEXT) | instid1(VALU_DEP_1)
	v_fma_f32 v126, -v115, v124, v125
	v_fmac_f32_e32 v124, v126, v123
	s_delay_alu instid0(VALU_DEP_1) | instskip(NEXT) | instid1(VALU_DEP_1)
	v_fma_f32 v115, -v115, v124, v125
	v_div_fmas_f32 v115, v115, v123, v124
	s_delay_alu instid0(VALU_DEP_1) | instskip(NEXT) | instid1(VALU_DEP_1)
	v_div_fixup_f32 v115, v115, v117, v116
	v_fmac_f32_e32 v117, v116, v115
	s_delay_alu instid0(VALU_DEP_1) | instskip(SKIP_1) | instid1(VALU_DEP_2)
	v_div_scale_f32 v116, null, v117, v117, 1.0
	v_div_scale_f32 v125, vcc_lo, 1.0, v117, 1.0
	v_rcp_f32_e32 v123, v116
	v_nop
	s_delay_alu instid0(TRANS32_DEP_1) | instskip(NEXT) | instid1(VALU_DEP_1)
	v_fma_f32 v124, -v116, v123, 1.0
	v_fmac_f32_e32 v123, v124, v123
	s_delay_alu instid0(VALU_DEP_1) | instskip(NEXT) | instid1(VALU_DEP_1)
	v_mul_f32_e32 v124, v125, v123
	v_fma_f32 v126, -v116, v124, v125
	s_delay_alu instid0(VALU_DEP_1) | instskip(NEXT) | instid1(VALU_DEP_1)
	v_fmac_f32_e32 v124, v126, v123
	v_fma_f32 v116, -v116, v124, v125
	s_delay_alu instid0(VALU_DEP_1) | instskip(NEXT) | instid1(VALU_DEP_1)
	v_div_fmas_f32 v116, v116, v123, v124
	v_div_fixup_f32 v117, v116, v117, 1.0
	s_delay_alu instid0(VALU_DEP_1)
	v_mul_f32_e32 v116, v115, v117
	v_xor_b32_e32 v117, 0x80000000, v117
.LBB106_658:
	s_and_not1_saveexec_b32 s1, s1
	s_cbranch_execz .LBB106_660
; %bb.659:
	s_delay_alu instid0(VALU_DEP_1) | instskip(SKIP_1) | instid1(VALU_DEP_2)
	v_div_scale_f32 v115, null, v116, v116, v117
	v_div_scale_f32 v125, vcc_lo, v117, v116, v117
	v_rcp_f32_e32 v123, v115
	v_nop
	s_delay_alu instid0(TRANS32_DEP_1) | instskip(NEXT) | instid1(VALU_DEP_1)
	v_fma_f32 v124, -v115, v123, 1.0
	v_fmac_f32_e32 v123, v124, v123
	s_delay_alu instid0(VALU_DEP_1) | instskip(NEXT) | instid1(VALU_DEP_1)
	v_mul_f32_e32 v124, v125, v123
	v_fma_f32 v126, -v115, v124, v125
	s_delay_alu instid0(VALU_DEP_1) | instskip(NEXT) | instid1(VALU_DEP_1)
	v_fmac_f32_e32 v124, v126, v123
	v_fma_f32 v115, -v115, v124, v125
	s_delay_alu instid0(VALU_DEP_1) | instskip(NEXT) | instid1(VALU_DEP_1)
	v_div_fmas_f32 v115, v115, v123, v124
	v_div_fixup_f32 v115, v115, v116, v117
	s_delay_alu instid0(VALU_DEP_1) | instskip(NEXT) | instid1(VALU_DEP_1)
	v_fmac_f32_e32 v116, v117, v115
	v_div_scale_f32 v117, null, v116, v116, 1.0
	s_delay_alu instid0(VALU_DEP_1) | instskip(SKIP_1) | instid1(TRANS32_DEP_1)
	v_rcp_f32_e32 v123, v117
	v_nop
	v_fma_f32 v124, -v117, v123, 1.0
	s_delay_alu instid0(VALU_DEP_1) | instskip(SKIP_1) | instid1(VALU_DEP_1)
	v_fmac_f32_e32 v123, v124, v123
	v_div_scale_f32 v124, vcc_lo, 1.0, v116, 1.0
	v_mul_f32_e32 v125, v124, v123
	s_delay_alu instid0(VALU_DEP_1) | instskip(NEXT) | instid1(VALU_DEP_1)
	v_fma_f32 v126, -v117, v125, v124
	v_fmac_f32_e32 v125, v126, v123
	s_delay_alu instid0(VALU_DEP_1) | instskip(NEXT) | instid1(VALU_DEP_1)
	v_fma_f32 v117, -v117, v125, v124
	v_div_fmas_f32 v117, v117, v123, v125
	s_delay_alu instid0(VALU_DEP_1) | instskip(NEXT) | instid1(VALU_DEP_1)
	v_div_fixup_f32 v116, v117, v116, 1.0
	v_mul_f32_e64 v117, v115, -v116
.LBB106_660:
	s_or_b32 exec_lo, exec_lo, s1
.LBB106_661:
	s_delay_alu instid0(SALU_CYCLE_1) | instskip(NEXT) | instid1(SALU_CYCLE_1)
	s_or_b32 exec_lo, exec_lo, s0
	s_mov_b32 s0, exec_lo
	v_cmpx_ne_u32_e64 v122, v114
	s_xor_b32 s0, exec_lo, s0
	s_cbranch_execz .LBB106_667
; %bb.662:
	s_mov_b32 s1, exec_lo
	v_cmpx_eq_u32_e32 31, v122
	s_cbranch_execz .LBB106_666
; %bb.663:
	v_cmp_ne_u32_e32 vcc_lo, 31, v114
	s_xor_b32 s12, s16, -1
	s_delay_alu instid0(SALU_CYCLE_1) | instskip(NEXT) | instid1(SALU_CYCLE_1)
	s_and_b32 s13, s12, vcc_lo
	s_and_saveexec_b32 s12, s13
	s_cbranch_execz .LBB106_665
; %bb.664:
	v_ashrrev_i32_e32 v115, 31, v114
	s_delay_alu instid0(VALU_DEP_1)
	v_lshl_add_u64 v[122:123], v[114:115], 2, v[4:5]
	s_clause 0x1
	global_load_b32 v115, v[122:123], off
	global_load_b32 v121, v[4:5], off offset:124
	s_wait_loadcnt 0x1
	global_store_b32 v[4:5], v115, off offset:124
	s_wait_loadcnt 0x0
	global_store_b32 v[122:123], v121, off
.LBB106_665:
	s_wait_xcnt 0x0
	s_or_b32 exec_lo, exec_lo, s12
	v_dual_mov_b32 v122, v114 :: v_dual_mov_b32 v121, v114
.LBB106_666:
	s_or_b32 exec_lo, exec_lo, s1
.LBB106_667:
	s_and_not1_saveexec_b32 s0, s0
	s_cbranch_execz .LBB106_669
; %bb.668:
	v_dual_mov_b32 v114, v88 :: v_dual_mov_b32 v115, v89
	v_dual_mov_b32 v122, v32 :: v_dual_mov_b32 v123, v33
	;; [unrolled: 1-line block ×12, first 2 shown]
	ds_store_2addr_b64 v118, v[114:115], v[122:123] offset0:32 offset1:33
	ds_store_2addr_b64 v118, v[124:125], v[126:127] offset0:34 offset1:35
	ds_store_2addr_b64 v118, v[128:129], v[130:131] offset0:36 offset1:37
	ds_store_2addr_b64 v118, v[132:133], v[134:135] offset0:38 offset1:39
	ds_store_2addr_b64 v118, v[136:137], v[138:139] offset0:40 offset1:41
	ds_store_2addr_b64 v118, v[140:141], v[142:143] offset0:42 offset1:43
	v_dual_mov_b32 v114, v82 :: v_dual_mov_b32 v115, v83
	v_dual_mov_b32 v124, v10 :: v_dual_mov_b32 v125, v11
	;; [unrolled: 1-line block ×9, first 2 shown]
	v_mov_b32_e32 v139, v15
	ds_store_2addr_b64 v118, v[114:115], v[124:125] offset0:44 offset1:45
	ds_store_2addr_b64 v118, v[126:127], v[128:129] offset0:46 offset1:47
	;; [unrolled: 1-line block ×5, first 2 shown]
.LBB106_669:
	s_or_b32 exec_lo, exec_lo, s0
	s_delay_alu instid0(SALU_CYCLE_1)
	s_mov_b32 s0, exec_lo
	s_wait_storecnt_dscnt 0x0
	s_barrier_signal -1
	s_barrier_wait -1
	v_cmpx_lt_i32_e32 31, v122
	s_cbranch_execz .LBB106_671
; %bb.670:
	v_pk_mul_f32 v[124:125], v[116:117], v[36:37] op_sel:[1,1] op_sel_hi:[0,1]
	s_delay_alu instid0(VALU_DEP_1)
	v_pk_fma_f32 v[114:115], v[116:117], v[36:37], v[124:125] op_sel_hi:[1,0,1] neg_lo:[0,0,1] neg_hi:[0,0,1]
	v_pk_fma_f32 v[116:117], v[116:117], v[36:37], v[124:125] op_sel_hi:[1,0,1]
	ds_load_2addr_b64 v[124:127], v118 offset0:32 offset1:33
	v_dual_mov_b32 v36, v114 :: v_dual_mov_b32 v37, v117
	s_wait_dscnt 0x0
	v_pk_mul_f32 v[128:129], v[124:125], v[116:117] op_sel:[0,1]
	s_delay_alu instid0(VALU_DEP_1) | instskip(SKIP_1) | instid1(VALU_DEP_1)
	v_pk_fma_f32 v[130:131], v[124:125], v[114:115], v[128:129] op_sel:[0,0,1] op_sel_hi:[1,1,0] neg_lo:[0,0,1] neg_hi:[0,0,1]
	v_pk_fma_f32 v[124:125], v[124:125], v[114:115], v[128:129] op_sel:[0,0,1] op_sel_hi:[1,0,0]
	v_mov_b32_e32 v131, v125
	v_pk_mul_f32 v[124:125], v[126:127], v[116:117] op_sel:[0,1]
	s_delay_alu instid0(VALU_DEP_1) | instskip(SKIP_1) | instid1(VALU_DEP_1)
	v_pk_fma_f32 v[128:129], v[126:127], v[114:115], v[124:125] op_sel:[0,0,1] op_sel_hi:[1,1,0] neg_lo:[0,0,1] neg_hi:[0,0,1]
	v_pk_fma_f32 v[124:125], v[126:127], v[114:115], v[124:125] op_sel:[0,0,1] op_sel_hi:[1,0,0]
	v_mov_b32_e32 v129, v125
	ds_load_2addr_b64 v[124:127], v118 offset0:34 offset1:35
	v_pk_add_f32 v[88:89], v[88:89], v[130:131] neg_lo:[0,1] neg_hi:[0,1]
	v_pk_add_f32 v[32:33], v[32:33], v[128:129] neg_lo:[0,1] neg_hi:[0,1]
	s_wait_dscnt 0x0
	v_pk_mul_f32 v[128:129], v[124:125], v[116:117] op_sel:[0,1]
	s_delay_alu instid0(VALU_DEP_1) | instskip(SKIP_2) | instid1(VALU_DEP_2)
	v_pk_fma_f32 v[130:131], v[124:125], v[114:115], v[128:129] op_sel:[0,0,1] op_sel_hi:[1,1,0] neg_lo:[0,0,1] neg_hi:[0,0,1]
	v_pk_fma_f32 v[124:125], v[124:125], v[114:115], v[128:129] op_sel:[0,0,1] op_sel_hi:[1,0,0]
	v_dual_mul_f32 v128, v127, v117 :: v_dual_mov_b32 v124, v127
	v_dual_mov_b32 v131, v125 :: v_dual_mov_b32 v125, v126
	s_delay_alu instid0(VALU_DEP_2) | instskip(SKIP_1) | instid1(VALU_DEP_3)
	v_pk_fma_f32 v[128:129], v[126:127], v[36:37], v[128:129] op_sel_hi:[1,1,0] neg_lo:[0,0,1] neg_hi:[0,0,1]
	v_mul_f32_e32 v126, v127, v114
	v_pk_add_f32 v[34:35], v[34:35], v[130:131] neg_lo:[0,1] neg_hi:[0,1]
	s_delay_alu instid0(VALU_DEP_2) | instskip(NEXT) | instid1(VALU_DEP_1)
	v_pk_fma_f32 v[124:125], v[124:125], v[36:37], v[126:127] op_sel_hi:[1,1,0]
	v_mov_b32_e32 v129, v125
	ds_load_2addr_b64 v[124:127], v118 offset0:36 offset1:37
	v_pk_add_f32 v[30:31], v[30:31], v[128:129] neg_lo:[0,1] neg_hi:[0,1]
	s_wait_dscnt 0x0
	v_pk_mul_f32 v[128:129], v[124:125], v[116:117] op_sel:[0,1]
	s_delay_alu instid0(VALU_DEP_1) | instskip(SKIP_1) | instid1(VALU_DEP_1)
	v_pk_fma_f32 v[130:131], v[124:125], v[114:115], v[128:129] op_sel:[0,0,1] op_sel_hi:[1,1,0] neg_lo:[0,0,1] neg_hi:[0,0,1]
	v_pk_fma_f32 v[124:125], v[124:125], v[114:115], v[128:129] op_sel:[0,0,1] op_sel_hi:[1,0,0]
	v_mov_b32_e32 v131, v125
	v_pk_mul_f32 v[124:125], v[126:127], v[116:117] op_sel:[0,1]
	s_delay_alu instid0(VALU_DEP_1) | instskip(SKIP_1) | instid1(VALU_DEP_1)
	v_pk_fma_f32 v[128:129], v[126:127], v[114:115], v[124:125] op_sel:[0,0,1] op_sel_hi:[1,1,0] neg_lo:[0,0,1] neg_hi:[0,0,1]
	v_pk_fma_f32 v[124:125], v[126:127], v[114:115], v[124:125] op_sel:[0,0,1] op_sel_hi:[1,0,0]
	v_mov_b32_e32 v129, v125
	ds_load_2addr_b64 v[124:127], v118 offset0:38 offset1:39
	v_pk_add_f32 v[86:87], v[86:87], v[130:131] neg_lo:[0,1] neg_hi:[0,1]
	v_pk_add_f32 v[24:25], v[24:25], v[128:129] neg_lo:[0,1] neg_hi:[0,1]
	s_wait_dscnt 0x0
	v_pk_mul_f32 v[128:129], v[124:125], v[116:117] op_sel:[0,1]
	s_delay_alu instid0(VALU_DEP_1) | instskip(SKIP_1) | instid1(VALU_DEP_1)
	v_pk_fma_f32 v[130:131], v[124:125], v[114:115], v[128:129] op_sel:[0,0,1] op_sel_hi:[1,1,0] neg_lo:[0,0,1] neg_hi:[0,0,1]
	v_pk_fma_f32 v[124:125], v[124:125], v[114:115], v[128:129] op_sel:[0,0,1] op_sel_hi:[1,0,0]
	v_mov_b32_e32 v131, v125
	v_pk_mul_f32 v[124:125], v[126:127], v[116:117] op_sel:[0,1]
	s_delay_alu instid0(VALU_DEP_1) | instskip(SKIP_1) | instid1(VALU_DEP_1)
	v_pk_fma_f32 v[128:129], v[126:127], v[114:115], v[124:125] op_sel:[0,0,1] op_sel_hi:[1,1,0] neg_lo:[0,0,1] neg_hi:[0,0,1]
	v_pk_fma_f32 v[124:125], v[126:127], v[114:115], v[124:125] op_sel:[0,0,1] op_sel_hi:[1,0,0]
	v_mov_b32_e32 v129, v125
	ds_load_2addr_b64 v[124:127], v118 offset0:40 offset1:41
	v_pk_add_f32 v[26:27], v[26:27], v[130:131] neg_lo:[0,1] neg_hi:[0,1]
	v_pk_add_f32 v[22:23], v[22:23], v[128:129] neg_lo:[0,1] neg_hi:[0,1]
	s_wait_dscnt 0x0
	v_dual_mul_f32 v128, v125, v117 :: v_dual_mul_f32 v130, v125, v114
	s_delay_alu instid0(VALU_DEP_1) | instskip(NEXT) | instid1(VALU_DEP_2)
	v_pk_fma_f32 v[128:129], v[124:125], v[36:37], v[128:129] op_sel_hi:[1,1,0] neg_lo:[0,0,1] neg_hi:[0,0,1]
	v_pk_fma_f32 v[124:125], v[124:125], v[36:37], v[130:131] op_sel:[1,0,0] op_sel_hi:[0,1,0]
	s_delay_alu instid0(VALU_DEP_1) | instskip(SKIP_1) | instid1(VALU_DEP_2)
	v_mov_b32_e32 v129, v125
	v_pk_mul_f32 v[124:125], v[126:127], v[116:117] op_sel:[0,1]
	v_pk_add_f32 v[84:85], v[84:85], v[128:129] neg_lo:[0,1] neg_hi:[0,1]
	s_delay_alu instid0(VALU_DEP_2) | instskip(SKIP_1) | instid1(VALU_DEP_1)
	v_pk_fma_f32 v[128:129], v[126:127], v[114:115], v[124:125] op_sel:[0,0,1] op_sel_hi:[1,1,0] neg_lo:[0,0,1] neg_hi:[0,0,1]
	v_pk_fma_f32 v[124:125], v[126:127], v[114:115], v[124:125] op_sel:[0,0,1] op_sel_hi:[1,0,0]
	v_mov_b32_e32 v129, v125
	ds_load_2addr_b64 v[124:127], v118 offset0:42 offset1:43
	v_pk_add_f32 v[18:19], v[18:19], v[128:129] neg_lo:[0,1] neg_hi:[0,1]
	s_wait_dscnt 0x0
	v_pk_mul_f32 v[128:129], v[124:125], v[116:117] op_sel:[0,1]
	s_delay_alu instid0(VALU_DEP_1) | instskip(SKIP_1) | instid1(VALU_DEP_1)
	v_pk_fma_f32 v[130:131], v[124:125], v[114:115], v[128:129] op_sel:[0,0,1] op_sel_hi:[1,1,0] neg_lo:[0,0,1] neg_hi:[0,0,1]
	v_pk_fma_f32 v[124:125], v[124:125], v[114:115], v[128:129] op_sel:[0,0,1] op_sel_hi:[1,0,0]
	v_mov_b32_e32 v131, v125
	v_pk_mul_f32 v[124:125], v[126:127], v[116:117] op_sel:[0,1]
	s_delay_alu instid0(VALU_DEP_2) | instskip(NEXT) | instid1(VALU_DEP_2)
	v_pk_add_f32 v[20:21], v[20:21], v[130:131] neg_lo:[0,1] neg_hi:[0,1]
	v_pk_fma_f32 v[128:129], v[126:127], v[114:115], v[124:125] op_sel:[0,0,1] op_sel_hi:[1,1,0] neg_lo:[0,0,1] neg_hi:[0,0,1]
	v_pk_fma_f32 v[124:125], v[126:127], v[114:115], v[124:125] op_sel:[0,0,1] op_sel_hi:[1,0,0]
	s_delay_alu instid0(VALU_DEP_1) | instskip(SKIP_4) | instid1(VALU_DEP_1)
	v_mov_b32_e32 v129, v125
	ds_load_2addr_b64 v[124:127], v118 offset0:44 offset1:45
	v_pk_add_f32 v[16:17], v[16:17], v[128:129] neg_lo:[0,1] neg_hi:[0,1]
	s_wait_dscnt 0x0
	v_pk_mul_f32 v[128:129], v[124:125], v[116:117] op_sel:[0,1]
	v_pk_fma_f32 v[130:131], v[124:125], v[114:115], v[128:129] op_sel:[0,0,1] op_sel_hi:[1,1,0] neg_lo:[0,0,1] neg_hi:[0,0,1]
	v_pk_fma_f32 v[124:125], v[124:125], v[114:115], v[128:129] op_sel:[0,0,1] op_sel_hi:[1,0,0]
	v_dual_mul_f32 v128, v127, v117 :: v_dual_mov_b32 v124, v127
	s_delay_alu instid0(VALU_DEP_2) | instskip(NEXT) | instid1(VALU_DEP_2)
	v_dual_mov_b32 v131, v125 :: v_dual_mov_b32 v125, v126
	v_pk_fma_f32 v[128:129], v[126:127], v[36:37], v[128:129] op_sel_hi:[1,1,0] neg_lo:[0,0,1] neg_hi:[0,0,1]
	v_mul_f32_e32 v126, v127, v114
	s_delay_alu instid0(VALU_DEP_3) | instskip(NEXT) | instid1(VALU_DEP_2)
	v_pk_add_f32 v[82:83], v[82:83], v[130:131] neg_lo:[0,1] neg_hi:[0,1]
	v_pk_fma_f32 v[124:125], v[124:125], v[36:37], v[126:127] op_sel_hi:[1,1,0]
	s_delay_alu instid0(VALU_DEP_1) | instskip(SKIP_4) | instid1(VALU_DEP_1)
	v_mov_b32_e32 v129, v125
	ds_load_2addr_b64 v[124:127], v118 offset0:46 offset1:47
	v_pk_add_f32 v[10:11], v[10:11], v[128:129] neg_lo:[0,1] neg_hi:[0,1]
	s_wait_dscnt 0x0
	v_pk_mul_f32 v[128:129], v[124:125], v[116:117] op_sel:[0,1]
	v_pk_fma_f32 v[130:131], v[124:125], v[114:115], v[128:129] op_sel:[0,0,1] op_sel_hi:[1,1,0] neg_lo:[0,0,1] neg_hi:[0,0,1]
	v_pk_fma_f32 v[124:125], v[124:125], v[114:115], v[128:129] op_sel:[0,0,1] op_sel_hi:[1,0,0]
	s_delay_alu instid0(VALU_DEP_1) | instskip(SKIP_1) | instid1(VALU_DEP_1)
	v_mov_b32_e32 v131, v125
	v_pk_mul_f32 v[124:125], v[126:127], v[116:117] op_sel:[0,1]
	v_pk_fma_f32 v[128:129], v[126:127], v[114:115], v[124:125] op_sel:[0,0,1] op_sel_hi:[1,1,0] neg_lo:[0,0,1] neg_hi:[0,0,1]
	v_pk_fma_f32 v[124:125], v[126:127], v[114:115], v[124:125] op_sel:[0,0,1] op_sel_hi:[1,0,0]
	s_delay_alu instid0(VALU_DEP_1)
	v_mov_b32_e32 v129, v125
	ds_load_2addr_b64 v[124:127], v118 offset0:48 offset1:49
	v_pk_add_f32 v[12:13], v[12:13], v[130:131] neg_lo:[0,1] neg_hi:[0,1]
	v_pk_add_f32 v[8:9], v[8:9], v[128:129] neg_lo:[0,1] neg_hi:[0,1]
	s_wait_dscnt 0x0
	v_pk_mul_f32 v[128:129], v[124:125], v[116:117] op_sel:[0,1]
	s_delay_alu instid0(VALU_DEP_1) | instskip(SKIP_1) | instid1(VALU_DEP_1)
	v_pk_fma_f32 v[130:131], v[124:125], v[114:115], v[128:129] op_sel:[0,0,1] op_sel_hi:[1,1,0] neg_lo:[0,0,1] neg_hi:[0,0,1]
	v_pk_fma_f32 v[124:125], v[124:125], v[114:115], v[128:129] op_sel:[0,0,1] op_sel_hi:[1,0,0]
	v_mov_b32_e32 v131, v125
	v_pk_mul_f32 v[124:125], v[126:127], v[116:117] op_sel:[0,1]
	s_delay_alu instid0(VALU_DEP_1) | instskip(SKIP_1) | instid1(VALU_DEP_1)
	v_pk_fma_f32 v[128:129], v[126:127], v[114:115], v[124:125] op_sel:[0,0,1] op_sel_hi:[1,1,0] neg_lo:[0,0,1] neg_hi:[0,0,1]
	v_pk_fma_f32 v[124:125], v[126:127], v[114:115], v[124:125] op_sel:[0,0,1] op_sel_hi:[1,0,0]
	v_mov_b32_e32 v129, v125
	ds_load_2addr_b64 v[124:127], v118 offset0:50 offset1:51
	v_pk_add_f32 v[66:67], v[66:67], v[130:131] neg_lo:[0,1] neg_hi:[0,1]
	v_pk_add_f32 v[6:7], v[6:7], v[128:129] neg_lo:[0,1] neg_hi:[0,1]
	s_wait_dscnt 0x0
	v_dual_mul_f32 v128, v125, v117 :: v_dual_mul_f32 v130, v125, v114
	s_delay_alu instid0(VALU_DEP_1) | instskip(NEXT) | instid1(VALU_DEP_2)
	v_pk_fma_f32 v[128:129], v[124:125], v[36:37], v[128:129] op_sel_hi:[1,1,0] neg_lo:[0,0,1] neg_hi:[0,0,1]
	v_pk_fma_f32 v[124:125], v[124:125], v[36:37], v[130:131] op_sel:[1,0,0] op_sel_hi:[0,1,0]
	s_delay_alu instid0(VALU_DEP_1) | instskip(SKIP_1) | instid1(VALU_DEP_2)
	v_mov_b32_e32 v129, v125
	v_pk_mul_f32 v[124:125], v[126:127], v[116:117] op_sel:[0,1]
	v_pk_add_f32 v[46:47], v[46:47], v[128:129] neg_lo:[0,1] neg_hi:[0,1]
	s_delay_alu instid0(VALU_DEP_2) | instskip(SKIP_1) | instid1(VALU_DEP_1)
	v_pk_fma_f32 v[128:129], v[126:127], v[114:115], v[124:125] op_sel:[0,0,1] op_sel_hi:[1,1,0] neg_lo:[0,0,1] neg_hi:[0,0,1]
	v_pk_fma_f32 v[124:125], v[126:127], v[114:115], v[124:125] op_sel:[0,0,1] op_sel_hi:[1,0,0]
	v_mov_b32_e32 v129, v125
	ds_load_2addr_b64 v[124:127], v118 offset0:52 offset1:53
	v_pk_add_f32 v[28:29], v[28:29], v[128:129] neg_lo:[0,1] neg_hi:[0,1]
	s_wait_dscnt 0x0
	v_pk_mul_f32 v[128:129], v[124:125], v[116:117] op_sel:[0,1]
	v_pk_mul_f32 v[116:117], v[126:127], v[116:117] op_sel:[0,1]
	s_delay_alu instid0(VALU_DEP_2) | instskip(SKIP_1) | instid1(VALU_DEP_1)
	v_pk_fma_f32 v[130:131], v[124:125], v[114:115], v[128:129] op_sel:[0,0,1] op_sel_hi:[1,1,0] neg_lo:[0,0,1] neg_hi:[0,0,1]
	v_pk_fma_f32 v[124:125], v[124:125], v[114:115], v[128:129] op_sel:[0,0,1] op_sel_hi:[1,0,0]
	v_mov_b32_e32 v131, v125
	s_delay_alu instid0(VALU_DEP_4) | instskip(SKIP_1) | instid1(VALU_DEP_3)
	v_pk_fma_f32 v[124:125], v[126:127], v[114:115], v[116:117] op_sel:[0,0,1] op_sel_hi:[1,1,0] neg_lo:[0,0,1] neg_hi:[0,0,1]
	v_pk_fma_f32 v[114:115], v[126:127], v[114:115], v[116:117] op_sel:[0,0,1] op_sel_hi:[1,0,0]
	v_pk_add_f32 v[14:15], v[14:15], v[130:131] neg_lo:[0,1] neg_hi:[0,1]
	s_delay_alu instid0(VALU_DEP_2) | instskip(NEXT) | instid1(VALU_DEP_1)
	v_mov_b32_e32 v125, v115
	v_pk_add_f32 v[112:113], v[112:113], v[124:125] neg_lo:[0,1] neg_hi:[0,1]
.LBB106_671:
	s_or_b32 exec_lo, exec_lo, s0
	v_lshl_add_u32 v114, v122, 3, v118
	s_barrier_signal -1
	s_barrier_wait -1
	ds_store_b64 v114, v[88:89]
	s_wait_dscnt 0x0
	s_barrier_signal -1
	s_barrier_wait -1
	ds_load_b64 v[116:117], v118 offset:256
	v_mov_b32_e32 v114, 32
	s_cmp_lt_i32 s18, 34
	s_cbranch_scc1 .LBB106_674
; %bb.672:
	v_add3_u32 v115, v119, 0, 0x108
	v_mov_b32_e32 v114, 32
	s_mov_b32 s0, 33
.LBB106_673:                            ; =>This Inner Loop Header: Depth=1
	ds_load_b64 v[124:125], v115
	s_wait_dscnt 0x1
	v_cmp_gt_f32_e32 vcc_lo, 0, v116
	v_cndmask_b32_e64 v126, v116, -v116, vcc_lo
	v_cmp_gt_f32_e32 vcc_lo, 0, v117
	v_cndmask_b32_e64 v128, v117, -v117, vcc_lo
	s_wait_dscnt 0x0
	v_cmp_gt_f32_e32 vcc_lo, 0, v124
	v_cndmask_b32_e64 v127, v124, -v124, vcc_lo
	v_cmp_gt_f32_e32 vcc_lo, 0, v125
	v_cndmask_b32_e64 v129, v125, -v125, vcc_lo
	s_delay_alu instid0(VALU_DEP_1) | instskip(NEXT) | instid1(VALU_DEP_1)
	v_pk_add_f32 v[126:127], v[126:127], v[128:129]
	v_cmp_lt_f32_e32 vcc_lo, v126, v127
	v_dual_add_nc_u32 v115, 8, v115 :: v_dual_cndmask_b32 v117, v117, v125, vcc_lo
	v_cndmask_b32_e32 v116, v116, v124, vcc_lo
	v_cndmask_b32_e64 v114, v114, s0, vcc_lo
	s_add_co_i32 s0, s0, 1
	s_delay_alu instid0(SALU_CYCLE_1)
	s_cmp_lg_u32 s18, s0
	s_cbranch_scc1 .LBB106_673
.LBB106_674:
	s_wait_dscnt 0x0
	v_cmp_eq_f32_e32 vcc_lo, 0, v116
	v_cmp_eq_f32_e64 s0, 0, v117
	s_and_b32 s0, vcc_lo, s0
	s_delay_alu instid0(SALU_CYCLE_1) | instskip(NEXT) | instid1(SALU_CYCLE_1)
	s_and_saveexec_b32 s1, s0
	s_xor_b32 s0, exec_lo, s1
; %bb.675:
	v_cmp_ne_u32_e32 vcc_lo, 0, v120
	v_cndmask_b32_e32 v120, 33, v120, vcc_lo
; %bb.676:
	s_and_not1_saveexec_b32 s0, s0
	s_cbranch_execz .LBB106_682
; %bb.677:
	v_cmp_ngt_f32_e64 s1, |v116|, |v117|
	s_and_saveexec_b32 s12, s1
	s_delay_alu instid0(SALU_CYCLE_1)
	s_xor_b32 s1, exec_lo, s12
	s_cbranch_execz .LBB106_679
; %bb.678:
	v_div_scale_f32 v115, null, v117, v117, v116
	v_div_scale_f32 v125, vcc_lo, v116, v117, v116
	s_delay_alu instid0(VALU_DEP_2) | instskip(SKIP_1) | instid1(TRANS32_DEP_1)
	v_rcp_f32_e32 v123, v115
	v_nop
	v_fma_f32 v124, -v115, v123, 1.0
	s_delay_alu instid0(VALU_DEP_1) | instskip(NEXT) | instid1(VALU_DEP_1)
	v_fmac_f32_e32 v123, v124, v123
	v_mul_f32_e32 v124, v125, v123
	s_delay_alu instid0(VALU_DEP_1) | instskip(NEXT) | instid1(VALU_DEP_1)
	v_fma_f32 v126, -v115, v124, v125
	v_fmac_f32_e32 v124, v126, v123
	s_delay_alu instid0(VALU_DEP_1) | instskip(NEXT) | instid1(VALU_DEP_1)
	v_fma_f32 v115, -v115, v124, v125
	v_div_fmas_f32 v115, v115, v123, v124
	s_delay_alu instid0(VALU_DEP_1) | instskip(NEXT) | instid1(VALU_DEP_1)
	v_div_fixup_f32 v115, v115, v117, v116
	v_fmac_f32_e32 v117, v116, v115
	s_delay_alu instid0(VALU_DEP_1) | instskip(SKIP_1) | instid1(VALU_DEP_2)
	v_div_scale_f32 v116, null, v117, v117, 1.0
	v_div_scale_f32 v125, vcc_lo, 1.0, v117, 1.0
	v_rcp_f32_e32 v123, v116
	v_nop
	s_delay_alu instid0(TRANS32_DEP_1) | instskip(NEXT) | instid1(VALU_DEP_1)
	v_fma_f32 v124, -v116, v123, 1.0
	v_fmac_f32_e32 v123, v124, v123
	s_delay_alu instid0(VALU_DEP_1) | instskip(NEXT) | instid1(VALU_DEP_1)
	v_mul_f32_e32 v124, v125, v123
	v_fma_f32 v126, -v116, v124, v125
	s_delay_alu instid0(VALU_DEP_1) | instskip(NEXT) | instid1(VALU_DEP_1)
	v_fmac_f32_e32 v124, v126, v123
	v_fma_f32 v116, -v116, v124, v125
	s_delay_alu instid0(VALU_DEP_1) | instskip(NEXT) | instid1(VALU_DEP_1)
	v_div_fmas_f32 v116, v116, v123, v124
	v_div_fixup_f32 v117, v116, v117, 1.0
	s_delay_alu instid0(VALU_DEP_1)
	v_mul_f32_e32 v116, v115, v117
	v_xor_b32_e32 v117, 0x80000000, v117
.LBB106_679:
	s_and_not1_saveexec_b32 s1, s1
	s_cbranch_execz .LBB106_681
; %bb.680:
	s_delay_alu instid0(VALU_DEP_1) | instskip(SKIP_1) | instid1(VALU_DEP_2)
	v_div_scale_f32 v115, null, v116, v116, v117
	v_div_scale_f32 v125, vcc_lo, v117, v116, v117
	v_rcp_f32_e32 v123, v115
	v_nop
	s_delay_alu instid0(TRANS32_DEP_1) | instskip(NEXT) | instid1(VALU_DEP_1)
	v_fma_f32 v124, -v115, v123, 1.0
	v_fmac_f32_e32 v123, v124, v123
	s_delay_alu instid0(VALU_DEP_1) | instskip(NEXT) | instid1(VALU_DEP_1)
	v_mul_f32_e32 v124, v125, v123
	v_fma_f32 v126, -v115, v124, v125
	s_delay_alu instid0(VALU_DEP_1) | instskip(NEXT) | instid1(VALU_DEP_1)
	v_fmac_f32_e32 v124, v126, v123
	v_fma_f32 v115, -v115, v124, v125
	s_delay_alu instid0(VALU_DEP_1) | instskip(NEXT) | instid1(VALU_DEP_1)
	v_div_fmas_f32 v115, v115, v123, v124
	v_div_fixup_f32 v115, v115, v116, v117
	s_delay_alu instid0(VALU_DEP_1) | instskip(NEXT) | instid1(VALU_DEP_1)
	v_fmac_f32_e32 v116, v117, v115
	v_div_scale_f32 v117, null, v116, v116, 1.0
	s_delay_alu instid0(VALU_DEP_1) | instskip(SKIP_1) | instid1(TRANS32_DEP_1)
	v_rcp_f32_e32 v123, v117
	v_nop
	v_fma_f32 v124, -v117, v123, 1.0
	s_delay_alu instid0(VALU_DEP_1) | instskip(SKIP_1) | instid1(VALU_DEP_1)
	v_fmac_f32_e32 v123, v124, v123
	v_div_scale_f32 v124, vcc_lo, 1.0, v116, 1.0
	v_mul_f32_e32 v125, v124, v123
	s_delay_alu instid0(VALU_DEP_1) | instskip(NEXT) | instid1(VALU_DEP_1)
	v_fma_f32 v126, -v117, v125, v124
	v_fmac_f32_e32 v125, v126, v123
	s_delay_alu instid0(VALU_DEP_1) | instskip(NEXT) | instid1(VALU_DEP_1)
	v_fma_f32 v117, -v117, v125, v124
	v_div_fmas_f32 v117, v117, v123, v125
	s_delay_alu instid0(VALU_DEP_1) | instskip(NEXT) | instid1(VALU_DEP_1)
	v_div_fixup_f32 v116, v117, v116, 1.0
	v_mul_f32_e64 v117, v115, -v116
.LBB106_681:
	s_or_b32 exec_lo, exec_lo, s1
.LBB106_682:
	s_delay_alu instid0(SALU_CYCLE_1) | instskip(NEXT) | instid1(SALU_CYCLE_1)
	s_or_b32 exec_lo, exec_lo, s0
	s_mov_b32 s0, exec_lo
	v_cmpx_ne_u32_e64 v122, v114
	s_xor_b32 s0, exec_lo, s0
	s_cbranch_execz .LBB106_688
; %bb.683:
	s_mov_b32 s1, exec_lo
	v_cmpx_eq_u32_e32 32, v122
	s_cbranch_execz .LBB106_687
; %bb.684:
	v_cmp_ne_u32_e32 vcc_lo, 32, v114
	s_xor_b32 s12, s16, -1
	s_delay_alu instid0(SALU_CYCLE_1) | instskip(NEXT) | instid1(SALU_CYCLE_1)
	s_and_b32 s13, s12, vcc_lo
	s_and_saveexec_b32 s12, s13
	s_cbranch_execz .LBB106_686
; %bb.685:
	v_ashrrev_i32_e32 v115, 31, v114
	s_delay_alu instid0(VALU_DEP_1)
	v_lshl_add_u64 v[122:123], v[114:115], 2, v[4:5]
	s_clause 0x1
	global_load_b32 v115, v[122:123], off
	global_load_b32 v121, v[4:5], off offset:128
	s_wait_loadcnt 0x1
	global_store_b32 v[4:5], v115, off offset:128
	s_wait_loadcnt 0x0
	global_store_b32 v[122:123], v121, off
.LBB106_686:
	s_wait_xcnt 0x0
	s_or_b32 exec_lo, exec_lo, s12
	v_dual_mov_b32 v122, v114 :: v_dual_mov_b32 v121, v114
.LBB106_687:
	s_or_b32 exec_lo, exec_lo, s1
.LBB106_688:
	s_and_not1_saveexec_b32 s0, s0
	s_cbranch_execz .LBB106_690
; %bb.689:
	v_mov_b32_e32 v122, 32
	ds_store_2addr_b64 v118, v[32:33], v[34:35] offset0:33 offset1:34
	ds_store_2addr_b64 v118, v[30:31], v[86:87] offset0:35 offset1:36
	;; [unrolled: 1-line block ×10, first 2 shown]
	ds_store_b64 v118, v[112:113] offset:424
.LBB106_690:
	s_or_b32 exec_lo, exec_lo, s0
	s_delay_alu instid0(SALU_CYCLE_1)
	s_mov_b32 s0, exec_lo
	s_wait_storecnt_dscnt 0x0
	s_barrier_signal -1
	s_barrier_wait -1
	v_cmpx_lt_i32_e32 32, v122
	s_cbranch_execz .LBB106_692
; %bb.691:
	v_pk_mul_f32 v[124:125], v[116:117], v[88:89] op_sel:[1,1] op_sel_hi:[0,1]
	s_delay_alu instid0(VALU_DEP_1)
	v_pk_fma_f32 v[114:115], v[116:117], v[88:89], v[124:125] op_sel_hi:[1,0,1] neg_lo:[0,0,1] neg_hi:[0,0,1]
	v_pk_fma_f32 v[116:117], v[116:117], v[88:89], v[124:125] op_sel_hi:[1,0,1]
	ds_load_2addr_b64 v[124:127], v118 offset0:33 offset1:34
	v_dual_mov_b32 v88, v114 :: v_dual_mov_b32 v89, v117
	s_wait_dscnt 0x0
	v_pk_mul_f32 v[128:129], v[124:125], v[116:117] op_sel:[0,1]
	s_delay_alu instid0(VALU_DEP_1) | instskip(SKIP_1) | instid1(VALU_DEP_1)
	v_pk_fma_f32 v[130:131], v[124:125], v[114:115], v[128:129] op_sel:[0,0,1] op_sel_hi:[1,1,0] neg_lo:[0,0,1] neg_hi:[0,0,1]
	v_pk_fma_f32 v[124:125], v[124:125], v[114:115], v[128:129] op_sel:[0,0,1] op_sel_hi:[1,0,0]
	v_mov_b32_e32 v131, v125
	v_pk_mul_f32 v[124:125], v[126:127], v[116:117] op_sel:[0,1]
	s_delay_alu instid0(VALU_DEP_1) | instskip(SKIP_1) | instid1(VALU_DEP_1)
	v_pk_fma_f32 v[128:129], v[126:127], v[114:115], v[124:125] op_sel:[0,0,1] op_sel_hi:[1,1,0] neg_lo:[0,0,1] neg_hi:[0,0,1]
	v_pk_fma_f32 v[124:125], v[126:127], v[114:115], v[124:125] op_sel:[0,0,1] op_sel_hi:[1,0,0]
	v_mov_b32_e32 v129, v125
	ds_load_2addr_b64 v[124:127], v118 offset0:35 offset1:36
	v_pk_add_f32 v[32:33], v[32:33], v[130:131] neg_lo:[0,1] neg_hi:[0,1]
	v_pk_add_f32 v[34:35], v[34:35], v[128:129] neg_lo:[0,1] neg_hi:[0,1]
	s_wait_dscnt 0x0
	v_pk_mul_f32 v[128:129], v[124:125], v[116:117] op_sel:[0,1]
	s_delay_alu instid0(VALU_DEP_1) | instskip(SKIP_2) | instid1(VALU_DEP_2)
	v_pk_fma_f32 v[130:131], v[124:125], v[114:115], v[128:129] op_sel:[0,0,1] op_sel_hi:[1,1,0] neg_lo:[0,0,1] neg_hi:[0,0,1]
	v_pk_fma_f32 v[124:125], v[124:125], v[114:115], v[128:129] op_sel:[0,0,1] op_sel_hi:[1,0,0]
	v_dual_mul_f32 v128, v127, v117 :: v_dual_mov_b32 v124, v127
	v_dual_mov_b32 v131, v125 :: v_dual_mov_b32 v125, v126
	s_delay_alu instid0(VALU_DEP_2) | instskip(SKIP_1) | instid1(VALU_DEP_3)
	v_pk_fma_f32 v[128:129], v[126:127], v[88:89], v[128:129] op_sel_hi:[1,1,0] neg_lo:[0,0,1] neg_hi:[0,0,1]
	v_mul_f32_e32 v126, v127, v114
	v_pk_add_f32 v[30:31], v[30:31], v[130:131] neg_lo:[0,1] neg_hi:[0,1]
	s_delay_alu instid0(VALU_DEP_2) | instskip(NEXT) | instid1(VALU_DEP_1)
	v_pk_fma_f32 v[124:125], v[124:125], v[88:89], v[126:127] op_sel_hi:[1,1,0]
	v_mov_b32_e32 v129, v125
	ds_load_2addr_b64 v[124:127], v118 offset0:37 offset1:38
	v_pk_add_f32 v[86:87], v[86:87], v[128:129] neg_lo:[0,1] neg_hi:[0,1]
	s_wait_dscnt 0x0
	v_pk_mul_f32 v[128:129], v[124:125], v[116:117] op_sel:[0,1]
	s_delay_alu instid0(VALU_DEP_1) | instskip(SKIP_1) | instid1(VALU_DEP_1)
	v_pk_fma_f32 v[130:131], v[124:125], v[114:115], v[128:129] op_sel:[0,0,1] op_sel_hi:[1,1,0] neg_lo:[0,0,1] neg_hi:[0,0,1]
	v_pk_fma_f32 v[124:125], v[124:125], v[114:115], v[128:129] op_sel:[0,0,1] op_sel_hi:[1,0,0]
	v_mov_b32_e32 v131, v125
	v_pk_mul_f32 v[124:125], v[126:127], v[116:117] op_sel:[0,1]
	s_delay_alu instid0(VALU_DEP_1) | instskip(SKIP_1) | instid1(VALU_DEP_1)
	v_pk_fma_f32 v[128:129], v[126:127], v[114:115], v[124:125] op_sel:[0,0,1] op_sel_hi:[1,1,0] neg_lo:[0,0,1] neg_hi:[0,0,1]
	v_pk_fma_f32 v[124:125], v[126:127], v[114:115], v[124:125] op_sel:[0,0,1] op_sel_hi:[1,0,0]
	v_mov_b32_e32 v129, v125
	ds_load_2addr_b64 v[124:127], v118 offset0:39 offset1:40
	v_pk_add_f32 v[24:25], v[24:25], v[130:131] neg_lo:[0,1] neg_hi:[0,1]
	v_pk_add_f32 v[26:27], v[26:27], v[128:129] neg_lo:[0,1] neg_hi:[0,1]
	s_wait_dscnt 0x0
	v_pk_mul_f32 v[128:129], v[124:125], v[116:117] op_sel:[0,1]
	s_delay_alu instid0(VALU_DEP_1) | instskip(SKIP_1) | instid1(VALU_DEP_1)
	v_pk_fma_f32 v[130:131], v[124:125], v[114:115], v[128:129] op_sel:[0,0,1] op_sel_hi:[1,1,0] neg_lo:[0,0,1] neg_hi:[0,0,1]
	v_pk_fma_f32 v[124:125], v[124:125], v[114:115], v[128:129] op_sel:[0,0,1] op_sel_hi:[1,0,0]
	v_mov_b32_e32 v131, v125
	v_pk_mul_f32 v[124:125], v[126:127], v[116:117] op_sel:[0,1]
	s_delay_alu instid0(VALU_DEP_1) | instskip(SKIP_1) | instid1(VALU_DEP_1)
	v_pk_fma_f32 v[128:129], v[126:127], v[114:115], v[124:125] op_sel:[0,0,1] op_sel_hi:[1,1,0] neg_lo:[0,0,1] neg_hi:[0,0,1]
	v_pk_fma_f32 v[124:125], v[126:127], v[114:115], v[124:125] op_sel:[0,0,1] op_sel_hi:[1,0,0]
	v_mov_b32_e32 v129, v125
	ds_load_2addr_b64 v[124:127], v118 offset0:41 offset1:42
	v_pk_add_f32 v[22:23], v[22:23], v[130:131] neg_lo:[0,1] neg_hi:[0,1]
	v_pk_add_f32 v[84:85], v[84:85], v[128:129] neg_lo:[0,1] neg_hi:[0,1]
	s_wait_dscnt 0x0
	v_dual_mul_f32 v128, v125, v117 :: v_dual_mul_f32 v130, v125, v114
	s_delay_alu instid0(VALU_DEP_1) | instskip(NEXT) | instid1(VALU_DEP_2)
	v_pk_fma_f32 v[128:129], v[124:125], v[88:89], v[128:129] op_sel_hi:[1,1,0] neg_lo:[0,0,1] neg_hi:[0,0,1]
	v_pk_fma_f32 v[124:125], v[124:125], v[88:89], v[130:131] op_sel:[1,0,0] op_sel_hi:[0,1,0]
	s_delay_alu instid0(VALU_DEP_1) | instskip(SKIP_1) | instid1(VALU_DEP_2)
	v_mov_b32_e32 v129, v125
	v_pk_mul_f32 v[124:125], v[126:127], v[116:117] op_sel:[0,1]
	v_pk_add_f32 v[18:19], v[18:19], v[128:129] neg_lo:[0,1] neg_hi:[0,1]
	s_delay_alu instid0(VALU_DEP_2) | instskip(SKIP_1) | instid1(VALU_DEP_1)
	v_pk_fma_f32 v[128:129], v[126:127], v[114:115], v[124:125] op_sel:[0,0,1] op_sel_hi:[1,1,0] neg_lo:[0,0,1] neg_hi:[0,0,1]
	v_pk_fma_f32 v[124:125], v[126:127], v[114:115], v[124:125] op_sel:[0,0,1] op_sel_hi:[1,0,0]
	v_mov_b32_e32 v129, v125
	ds_load_2addr_b64 v[124:127], v118 offset0:43 offset1:44
	v_pk_add_f32 v[20:21], v[20:21], v[128:129] neg_lo:[0,1] neg_hi:[0,1]
	s_wait_dscnt 0x0
	v_pk_mul_f32 v[128:129], v[124:125], v[116:117] op_sel:[0,1]
	s_delay_alu instid0(VALU_DEP_1) | instskip(SKIP_1) | instid1(VALU_DEP_1)
	v_pk_fma_f32 v[130:131], v[124:125], v[114:115], v[128:129] op_sel:[0,0,1] op_sel_hi:[1,1,0] neg_lo:[0,0,1] neg_hi:[0,0,1]
	v_pk_fma_f32 v[124:125], v[124:125], v[114:115], v[128:129] op_sel:[0,0,1] op_sel_hi:[1,0,0]
	v_mov_b32_e32 v131, v125
	v_pk_mul_f32 v[124:125], v[126:127], v[116:117] op_sel:[0,1]
	s_delay_alu instid0(VALU_DEP_2) | instskip(NEXT) | instid1(VALU_DEP_2)
	v_pk_add_f32 v[16:17], v[16:17], v[130:131] neg_lo:[0,1] neg_hi:[0,1]
	v_pk_fma_f32 v[128:129], v[126:127], v[114:115], v[124:125] op_sel:[0,0,1] op_sel_hi:[1,1,0] neg_lo:[0,0,1] neg_hi:[0,0,1]
	v_pk_fma_f32 v[124:125], v[126:127], v[114:115], v[124:125] op_sel:[0,0,1] op_sel_hi:[1,0,0]
	s_delay_alu instid0(VALU_DEP_1) | instskip(SKIP_4) | instid1(VALU_DEP_1)
	v_mov_b32_e32 v129, v125
	ds_load_2addr_b64 v[124:127], v118 offset0:45 offset1:46
	v_pk_add_f32 v[82:83], v[82:83], v[128:129] neg_lo:[0,1] neg_hi:[0,1]
	s_wait_dscnt 0x0
	v_pk_mul_f32 v[128:129], v[124:125], v[116:117] op_sel:[0,1]
	v_pk_fma_f32 v[130:131], v[124:125], v[114:115], v[128:129] op_sel:[0,0,1] op_sel_hi:[1,1,0] neg_lo:[0,0,1] neg_hi:[0,0,1]
	v_pk_fma_f32 v[124:125], v[124:125], v[114:115], v[128:129] op_sel:[0,0,1] op_sel_hi:[1,0,0]
	v_dual_mul_f32 v128, v127, v117 :: v_dual_mov_b32 v124, v127
	s_delay_alu instid0(VALU_DEP_2) | instskip(NEXT) | instid1(VALU_DEP_2)
	v_dual_mov_b32 v131, v125 :: v_dual_mov_b32 v125, v126
	v_pk_fma_f32 v[128:129], v[126:127], v[88:89], v[128:129] op_sel_hi:[1,1,0] neg_lo:[0,0,1] neg_hi:[0,0,1]
	v_mul_f32_e32 v126, v127, v114
	s_delay_alu instid0(VALU_DEP_3) | instskip(NEXT) | instid1(VALU_DEP_2)
	v_pk_add_f32 v[10:11], v[10:11], v[130:131] neg_lo:[0,1] neg_hi:[0,1]
	v_pk_fma_f32 v[124:125], v[124:125], v[88:89], v[126:127] op_sel_hi:[1,1,0]
	s_delay_alu instid0(VALU_DEP_1) | instskip(SKIP_4) | instid1(VALU_DEP_1)
	v_mov_b32_e32 v129, v125
	ds_load_2addr_b64 v[124:127], v118 offset0:47 offset1:48
	v_pk_add_f32 v[12:13], v[12:13], v[128:129] neg_lo:[0,1] neg_hi:[0,1]
	s_wait_dscnt 0x0
	v_pk_mul_f32 v[128:129], v[124:125], v[116:117] op_sel:[0,1]
	v_pk_fma_f32 v[130:131], v[124:125], v[114:115], v[128:129] op_sel:[0,0,1] op_sel_hi:[1,1,0] neg_lo:[0,0,1] neg_hi:[0,0,1]
	v_pk_fma_f32 v[124:125], v[124:125], v[114:115], v[128:129] op_sel:[0,0,1] op_sel_hi:[1,0,0]
	s_delay_alu instid0(VALU_DEP_1) | instskip(SKIP_1) | instid1(VALU_DEP_1)
	v_mov_b32_e32 v131, v125
	v_pk_mul_f32 v[124:125], v[126:127], v[116:117] op_sel:[0,1]
	v_pk_fma_f32 v[128:129], v[126:127], v[114:115], v[124:125] op_sel:[0,0,1] op_sel_hi:[1,1,0] neg_lo:[0,0,1] neg_hi:[0,0,1]
	v_pk_fma_f32 v[124:125], v[126:127], v[114:115], v[124:125] op_sel:[0,0,1] op_sel_hi:[1,0,0]
	s_delay_alu instid0(VALU_DEP_1)
	v_mov_b32_e32 v129, v125
	ds_load_2addr_b64 v[124:127], v118 offset0:49 offset1:50
	v_pk_add_f32 v[8:9], v[8:9], v[130:131] neg_lo:[0,1] neg_hi:[0,1]
	v_pk_add_f32 v[66:67], v[66:67], v[128:129] neg_lo:[0,1] neg_hi:[0,1]
	s_wait_dscnt 0x0
	v_pk_mul_f32 v[128:129], v[124:125], v[116:117] op_sel:[0,1]
	s_delay_alu instid0(VALU_DEP_1) | instskip(SKIP_1) | instid1(VALU_DEP_1)
	v_pk_fma_f32 v[130:131], v[124:125], v[114:115], v[128:129] op_sel:[0,0,1] op_sel_hi:[1,1,0] neg_lo:[0,0,1] neg_hi:[0,0,1]
	v_pk_fma_f32 v[124:125], v[124:125], v[114:115], v[128:129] op_sel:[0,0,1] op_sel_hi:[1,0,0]
	v_mov_b32_e32 v131, v125
	v_pk_mul_f32 v[124:125], v[126:127], v[116:117] op_sel:[0,1]
	s_delay_alu instid0(VALU_DEP_1) | instskip(SKIP_1) | instid1(VALU_DEP_1)
	v_pk_fma_f32 v[128:129], v[126:127], v[114:115], v[124:125] op_sel:[0,0,1] op_sel_hi:[1,1,0] neg_lo:[0,0,1] neg_hi:[0,0,1]
	v_pk_fma_f32 v[124:125], v[126:127], v[114:115], v[124:125] op_sel:[0,0,1] op_sel_hi:[1,0,0]
	v_mov_b32_e32 v129, v125
	ds_load_2addr_b64 v[124:127], v118 offset0:51 offset1:52
	v_pk_add_f32 v[6:7], v[6:7], v[130:131] neg_lo:[0,1] neg_hi:[0,1]
	v_pk_add_f32 v[46:47], v[46:47], v[128:129] neg_lo:[0,1] neg_hi:[0,1]
	s_wait_dscnt 0x0
	v_dual_mul_f32 v128, v125, v117 :: v_dual_mul_f32 v130, v125, v114
	s_delay_alu instid0(VALU_DEP_1) | instskip(NEXT) | instid1(VALU_DEP_2)
	v_pk_fma_f32 v[128:129], v[124:125], v[88:89], v[128:129] op_sel_hi:[1,1,0] neg_lo:[0,0,1] neg_hi:[0,0,1]
	v_pk_fma_f32 v[124:125], v[124:125], v[88:89], v[130:131] op_sel:[1,0,0] op_sel_hi:[0,1,0]
	s_delay_alu instid0(VALU_DEP_1) | instskip(SKIP_1) | instid1(VALU_DEP_2)
	v_mov_b32_e32 v129, v125
	v_pk_mul_f32 v[124:125], v[126:127], v[116:117] op_sel:[0,1]
	v_pk_add_f32 v[28:29], v[28:29], v[128:129] neg_lo:[0,1] neg_hi:[0,1]
	s_delay_alu instid0(VALU_DEP_2) | instskip(SKIP_1) | instid1(VALU_DEP_1)
	v_pk_fma_f32 v[128:129], v[126:127], v[114:115], v[124:125] op_sel:[0,0,1] op_sel_hi:[1,1,0] neg_lo:[0,0,1] neg_hi:[0,0,1]
	v_pk_fma_f32 v[124:125], v[126:127], v[114:115], v[124:125] op_sel:[0,0,1] op_sel_hi:[1,0,0]
	v_mov_b32_e32 v129, v125
	ds_load_b64 v[124:125], v118 offset:424
	v_pk_add_f32 v[14:15], v[14:15], v[128:129] neg_lo:[0,1] neg_hi:[0,1]
	s_wait_dscnt 0x0
	v_pk_mul_f32 v[116:117], v[124:125], v[116:117] op_sel:[0,1]
	s_delay_alu instid0(VALU_DEP_1) | instskip(SKIP_1) | instid1(VALU_DEP_1)
	v_pk_fma_f32 v[126:127], v[124:125], v[114:115], v[116:117] op_sel:[0,0,1] op_sel_hi:[1,1,0] neg_lo:[0,0,1] neg_hi:[0,0,1]
	v_pk_fma_f32 v[114:115], v[124:125], v[114:115], v[116:117] op_sel:[0,0,1] op_sel_hi:[1,0,0]
	v_mov_b32_e32 v127, v115
	s_delay_alu instid0(VALU_DEP_1)
	v_pk_add_f32 v[112:113], v[112:113], v[126:127] neg_lo:[0,1] neg_hi:[0,1]
.LBB106_692:
	s_or_b32 exec_lo, exec_lo, s0
	v_lshl_add_u32 v114, v122, 3, v118
	s_barrier_signal -1
	s_barrier_wait -1
	ds_store_b64 v114, v[32:33]
	s_wait_dscnt 0x0
	s_barrier_signal -1
	s_barrier_wait -1
	ds_load_b64 v[116:117], v118 offset:264
	v_mov_b32_e32 v114, 33
	s_cmp_lt_i32 s18, 35
	s_cbranch_scc1 .LBB106_695
; %bb.693:
	v_add3_u32 v115, v119, 0, 0x110
	v_mov_b32_e32 v114, 33
	s_mov_b32 s0, 34
.LBB106_694:                            ; =>This Inner Loop Header: Depth=1
	ds_load_b64 v[124:125], v115
	s_wait_dscnt 0x1
	v_cmp_gt_f32_e32 vcc_lo, 0, v116
	v_cndmask_b32_e64 v126, v116, -v116, vcc_lo
	v_cmp_gt_f32_e32 vcc_lo, 0, v117
	v_cndmask_b32_e64 v128, v117, -v117, vcc_lo
	s_wait_dscnt 0x0
	v_cmp_gt_f32_e32 vcc_lo, 0, v124
	v_cndmask_b32_e64 v127, v124, -v124, vcc_lo
	v_cmp_gt_f32_e32 vcc_lo, 0, v125
	v_cndmask_b32_e64 v129, v125, -v125, vcc_lo
	s_delay_alu instid0(VALU_DEP_1) | instskip(NEXT) | instid1(VALU_DEP_1)
	v_pk_add_f32 v[126:127], v[126:127], v[128:129]
	v_cmp_lt_f32_e32 vcc_lo, v126, v127
	v_dual_add_nc_u32 v115, 8, v115 :: v_dual_cndmask_b32 v117, v117, v125, vcc_lo
	v_cndmask_b32_e32 v116, v116, v124, vcc_lo
	v_cndmask_b32_e64 v114, v114, s0, vcc_lo
	s_add_co_i32 s0, s0, 1
	s_delay_alu instid0(SALU_CYCLE_1)
	s_cmp_lg_u32 s18, s0
	s_cbranch_scc1 .LBB106_694
.LBB106_695:
	s_wait_dscnt 0x0
	v_cmp_eq_f32_e32 vcc_lo, 0, v116
	v_cmp_eq_f32_e64 s0, 0, v117
	s_and_b32 s0, vcc_lo, s0
	s_delay_alu instid0(SALU_CYCLE_1) | instskip(NEXT) | instid1(SALU_CYCLE_1)
	s_and_saveexec_b32 s1, s0
	s_xor_b32 s0, exec_lo, s1
; %bb.696:
	v_cmp_ne_u32_e32 vcc_lo, 0, v120
	v_cndmask_b32_e32 v120, 34, v120, vcc_lo
; %bb.697:
	s_and_not1_saveexec_b32 s0, s0
	s_cbranch_execz .LBB106_703
; %bb.698:
	v_cmp_ngt_f32_e64 s1, |v116|, |v117|
	s_and_saveexec_b32 s12, s1
	s_delay_alu instid0(SALU_CYCLE_1)
	s_xor_b32 s1, exec_lo, s12
	s_cbranch_execz .LBB106_700
; %bb.699:
	v_div_scale_f32 v115, null, v117, v117, v116
	v_div_scale_f32 v125, vcc_lo, v116, v117, v116
	s_delay_alu instid0(VALU_DEP_2) | instskip(SKIP_1) | instid1(TRANS32_DEP_1)
	v_rcp_f32_e32 v123, v115
	v_nop
	v_fma_f32 v124, -v115, v123, 1.0
	s_delay_alu instid0(VALU_DEP_1) | instskip(NEXT) | instid1(VALU_DEP_1)
	v_fmac_f32_e32 v123, v124, v123
	v_mul_f32_e32 v124, v125, v123
	s_delay_alu instid0(VALU_DEP_1) | instskip(NEXT) | instid1(VALU_DEP_1)
	v_fma_f32 v126, -v115, v124, v125
	v_fmac_f32_e32 v124, v126, v123
	s_delay_alu instid0(VALU_DEP_1) | instskip(NEXT) | instid1(VALU_DEP_1)
	v_fma_f32 v115, -v115, v124, v125
	v_div_fmas_f32 v115, v115, v123, v124
	s_delay_alu instid0(VALU_DEP_1) | instskip(NEXT) | instid1(VALU_DEP_1)
	v_div_fixup_f32 v115, v115, v117, v116
	v_fmac_f32_e32 v117, v116, v115
	s_delay_alu instid0(VALU_DEP_1) | instskip(SKIP_1) | instid1(VALU_DEP_2)
	v_div_scale_f32 v116, null, v117, v117, 1.0
	v_div_scale_f32 v125, vcc_lo, 1.0, v117, 1.0
	v_rcp_f32_e32 v123, v116
	v_nop
	s_delay_alu instid0(TRANS32_DEP_1) | instskip(NEXT) | instid1(VALU_DEP_1)
	v_fma_f32 v124, -v116, v123, 1.0
	v_fmac_f32_e32 v123, v124, v123
	s_delay_alu instid0(VALU_DEP_1) | instskip(NEXT) | instid1(VALU_DEP_1)
	v_mul_f32_e32 v124, v125, v123
	v_fma_f32 v126, -v116, v124, v125
	s_delay_alu instid0(VALU_DEP_1) | instskip(NEXT) | instid1(VALU_DEP_1)
	v_fmac_f32_e32 v124, v126, v123
	v_fma_f32 v116, -v116, v124, v125
	s_delay_alu instid0(VALU_DEP_1) | instskip(NEXT) | instid1(VALU_DEP_1)
	v_div_fmas_f32 v116, v116, v123, v124
	v_div_fixup_f32 v117, v116, v117, 1.0
	s_delay_alu instid0(VALU_DEP_1)
	v_mul_f32_e32 v116, v115, v117
	v_xor_b32_e32 v117, 0x80000000, v117
.LBB106_700:
	s_and_not1_saveexec_b32 s1, s1
	s_cbranch_execz .LBB106_702
; %bb.701:
	s_delay_alu instid0(VALU_DEP_1) | instskip(SKIP_1) | instid1(VALU_DEP_2)
	v_div_scale_f32 v115, null, v116, v116, v117
	v_div_scale_f32 v125, vcc_lo, v117, v116, v117
	v_rcp_f32_e32 v123, v115
	v_nop
	s_delay_alu instid0(TRANS32_DEP_1) | instskip(NEXT) | instid1(VALU_DEP_1)
	v_fma_f32 v124, -v115, v123, 1.0
	v_fmac_f32_e32 v123, v124, v123
	s_delay_alu instid0(VALU_DEP_1) | instskip(NEXT) | instid1(VALU_DEP_1)
	v_mul_f32_e32 v124, v125, v123
	v_fma_f32 v126, -v115, v124, v125
	s_delay_alu instid0(VALU_DEP_1) | instskip(NEXT) | instid1(VALU_DEP_1)
	v_fmac_f32_e32 v124, v126, v123
	v_fma_f32 v115, -v115, v124, v125
	s_delay_alu instid0(VALU_DEP_1) | instskip(NEXT) | instid1(VALU_DEP_1)
	v_div_fmas_f32 v115, v115, v123, v124
	v_div_fixup_f32 v115, v115, v116, v117
	s_delay_alu instid0(VALU_DEP_1) | instskip(NEXT) | instid1(VALU_DEP_1)
	v_fmac_f32_e32 v116, v117, v115
	v_div_scale_f32 v117, null, v116, v116, 1.0
	s_delay_alu instid0(VALU_DEP_1) | instskip(SKIP_1) | instid1(TRANS32_DEP_1)
	v_rcp_f32_e32 v123, v117
	v_nop
	v_fma_f32 v124, -v117, v123, 1.0
	s_delay_alu instid0(VALU_DEP_1) | instskip(SKIP_1) | instid1(VALU_DEP_1)
	v_fmac_f32_e32 v123, v124, v123
	v_div_scale_f32 v124, vcc_lo, 1.0, v116, 1.0
	v_mul_f32_e32 v125, v124, v123
	s_delay_alu instid0(VALU_DEP_1) | instskip(NEXT) | instid1(VALU_DEP_1)
	v_fma_f32 v126, -v117, v125, v124
	v_fmac_f32_e32 v125, v126, v123
	s_delay_alu instid0(VALU_DEP_1) | instskip(NEXT) | instid1(VALU_DEP_1)
	v_fma_f32 v117, -v117, v125, v124
	v_div_fmas_f32 v117, v117, v123, v125
	s_delay_alu instid0(VALU_DEP_1) | instskip(NEXT) | instid1(VALU_DEP_1)
	v_div_fixup_f32 v116, v117, v116, 1.0
	v_mul_f32_e64 v117, v115, -v116
.LBB106_702:
	s_or_b32 exec_lo, exec_lo, s1
.LBB106_703:
	s_delay_alu instid0(SALU_CYCLE_1) | instskip(NEXT) | instid1(SALU_CYCLE_1)
	s_or_b32 exec_lo, exec_lo, s0
	s_mov_b32 s0, exec_lo
	v_cmpx_ne_u32_e64 v122, v114
	s_xor_b32 s0, exec_lo, s0
	s_cbranch_execz .LBB106_709
; %bb.704:
	s_mov_b32 s1, exec_lo
	v_cmpx_eq_u32_e32 33, v122
	s_cbranch_execz .LBB106_708
; %bb.705:
	v_cmp_ne_u32_e32 vcc_lo, 33, v114
	s_xor_b32 s12, s16, -1
	s_delay_alu instid0(SALU_CYCLE_1) | instskip(NEXT) | instid1(SALU_CYCLE_1)
	s_and_b32 s13, s12, vcc_lo
	s_and_saveexec_b32 s12, s13
	s_cbranch_execz .LBB106_707
; %bb.706:
	v_ashrrev_i32_e32 v115, 31, v114
	s_delay_alu instid0(VALU_DEP_1)
	v_lshl_add_u64 v[122:123], v[114:115], 2, v[4:5]
	s_clause 0x1
	global_load_b32 v115, v[122:123], off
	global_load_b32 v121, v[4:5], off offset:132
	s_wait_loadcnt 0x1
	global_store_b32 v[4:5], v115, off offset:132
	s_wait_loadcnt 0x0
	global_store_b32 v[122:123], v121, off
.LBB106_707:
	s_wait_xcnt 0x0
	s_or_b32 exec_lo, exec_lo, s12
	v_dual_mov_b32 v122, v114 :: v_dual_mov_b32 v121, v114
.LBB106_708:
	s_or_b32 exec_lo, exec_lo, s1
.LBB106_709:
	s_and_not1_saveexec_b32 s0, s0
	s_cbranch_execz .LBB106_711
; %bb.710:
	v_dual_mov_b32 v114, v34 :: v_dual_mov_b32 v115, v35
	v_dual_mov_b32 v122, v30 :: v_dual_mov_b32 v123, v31
	;; [unrolled: 1-line block ×12, first 2 shown]
	ds_store_2addr_b64 v118, v[114:115], v[122:123] offset0:34 offset1:35
	ds_store_2addr_b64 v118, v[124:125], v[126:127] offset0:36 offset1:37
	;; [unrolled: 1-line block ×6, first 2 shown]
	v_dual_mov_b32 v114, v12 :: v_dual_mov_b32 v115, v13
	v_dual_mov_b32 v124, v8 :: v_dual_mov_b32 v125, v9
	v_dual_mov_b32 v122, 33 :: v_dual_mov_b32 v126, v66
	v_dual_mov_b32 v127, v67 :: v_dual_mov_b32 v128, v6
	v_dual_mov_b32 v129, v7 :: v_dual_mov_b32 v130, v46
	v_dual_mov_b32 v131, v47 :: v_dual_mov_b32 v132, v28
	v_dual_mov_b32 v133, v29 :: v_dual_mov_b32 v134, v14
	v_mov_b32_e32 v135, v15
	ds_store_2addr_b64 v118, v[114:115], v[124:125] offset0:46 offset1:47
	ds_store_2addr_b64 v118, v[126:127], v[128:129] offset0:48 offset1:49
	;; [unrolled: 1-line block ×4, first 2 shown]
.LBB106_711:
	s_or_b32 exec_lo, exec_lo, s0
	s_delay_alu instid0(SALU_CYCLE_1)
	s_mov_b32 s0, exec_lo
	s_wait_storecnt_dscnt 0x0
	s_barrier_signal -1
	s_barrier_wait -1
	v_cmpx_lt_i32_e32 33, v122
	s_cbranch_execz .LBB106_713
; %bb.712:
	v_pk_mul_f32 v[124:125], v[116:117], v[32:33] op_sel:[1,1] op_sel_hi:[0,1]
	s_delay_alu instid0(VALU_DEP_1)
	v_pk_fma_f32 v[114:115], v[116:117], v[32:33], v[124:125] op_sel_hi:[1,0,1] neg_lo:[0,0,1] neg_hi:[0,0,1]
	v_pk_fma_f32 v[116:117], v[116:117], v[32:33], v[124:125] op_sel_hi:[1,0,1]
	ds_load_2addr_b64 v[124:127], v118 offset0:34 offset1:35
	v_dual_mov_b32 v32, v114 :: v_dual_mov_b32 v33, v117
	s_wait_dscnt 0x0
	v_pk_mul_f32 v[128:129], v[124:125], v[116:117] op_sel:[0,1]
	s_delay_alu instid0(VALU_DEP_1) | instskip(SKIP_1) | instid1(VALU_DEP_1)
	v_pk_fma_f32 v[130:131], v[124:125], v[114:115], v[128:129] op_sel:[0,0,1] op_sel_hi:[1,1,0] neg_lo:[0,0,1] neg_hi:[0,0,1]
	v_pk_fma_f32 v[124:125], v[124:125], v[114:115], v[128:129] op_sel:[0,0,1] op_sel_hi:[1,0,0]
	v_mov_b32_e32 v131, v125
	v_pk_mul_f32 v[124:125], v[126:127], v[116:117] op_sel:[0,1]
	s_delay_alu instid0(VALU_DEP_1) | instskip(SKIP_1) | instid1(VALU_DEP_1)
	v_pk_fma_f32 v[128:129], v[126:127], v[114:115], v[124:125] op_sel:[0,0,1] op_sel_hi:[1,1,0] neg_lo:[0,0,1] neg_hi:[0,0,1]
	v_pk_fma_f32 v[124:125], v[126:127], v[114:115], v[124:125] op_sel:[0,0,1] op_sel_hi:[1,0,0]
	v_mov_b32_e32 v129, v125
	ds_load_2addr_b64 v[124:127], v118 offset0:36 offset1:37
	v_pk_add_f32 v[34:35], v[34:35], v[130:131] neg_lo:[0,1] neg_hi:[0,1]
	v_pk_add_f32 v[30:31], v[30:31], v[128:129] neg_lo:[0,1] neg_hi:[0,1]
	s_wait_dscnt 0x0
	v_pk_mul_f32 v[128:129], v[124:125], v[116:117] op_sel:[0,1]
	s_delay_alu instid0(VALU_DEP_1) | instskip(SKIP_2) | instid1(VALU_DEP_2)
	v_pk_fma_f32 v[130:131], v[124:125], v[114:115], v[128:129] op_sel:[0,0,1] op_sel_hi:[1,1,0] neg_lo:[0,0,1] neg_hi:[0,0,1]
	v_pk_fma_f32 v[124:125], v[124:125], v[114:115], v[128:129] op_sel:[0,0,1] op_sel_hi:[1,0,0]
	v_dual_mul_f32 v128, v127, v117 :: v_dual_mov_b32 v124, v127
	v_dual_mov_b32 v131, v125 :: v_dual_mov_b32 v125, v126
	s_delay_alu instid0(VALU_DEP_2) | instskip(SKIP_1) | instid1(VALU_DEP_3)
	v_pk_fma_f32 v[128:129], v[126:127], v[32:33], v[128:129] op_sel_hi:[1,1,0] neg_lo:[0,0,1] neg_hi:[0,0,1]
	v_mul_f32_e32 v126, v127, v114
	v_pk_add_f32 v[86:87], v[86:87], v[130:131] neg_lo:[0,1] neg_hi:[0,1]
	s_delay_alu instid0(VALU_DEP_2) | instskip(NEXT) | instid1(VALU_DEP_1)
	v_pk_fma_f32 v[124:125], v[124:125], v[32:33], v[126:127] op_sel_hi:[1,1,0]
	v_mov_b32_e32 v129, v125
	ds_load_2addr_b64 v[124:127], v118 offset0:38 offset1:39
	v_pk_add_f32 v[24:25], v[24:25], v[128:129] neg_lo:[0,1] neg_hi:[0,1]
	s_wait_dscnt 0x0
	v_pk_mul_f32 v[128:129], v[124:125], v[116:117] op_sel:[0,1]
	s_delay_alu instid0(VALU_DEP_1) | instskip(SKIP_1) | instid1(VALU_DEP_1)
	v_pk_fma_f32 v[130:131], v[124:125], v[114:115], v[128:129] op_sel:[0,0,1] op_sel_hi:[1,1,0] neg_lo:[0,0,1] neg_hi:[0,0,1]
	v_pk_fma_f32 v[124:125], v[124:125], v[114:115], v[128:129] op_sel:[0,0,1] op_sel_hi:[1,0,0]
	v_mov_b32_e32 v131, v125
	v_pk_mul_f32 v[124:125], v[126:127], v[116:117] op_sel:[0,1]
	s_delay_alu instid0(VALU_DEP_1) | instskip(SKIP_1) | instid1(VALU_DEP_1)
	v_pk_fma_f32 v[128:129], v[126:127], v[114:115], v[124:125] op_sel:[0,0,1] op_sel_hi:[1,1,0] neg_lo:[0,0,1] neg_hi:[0,0,1]
	v_pk_fma_f32 v[124:125], v[126:127], v[114:115], v[124:125] op_sel:[0,0,1] op_sel_hi:[1,0,0]
	v_mov_b32_e32 v129, v125
	ds_load_2addr_b64 v[124:127], v118 offset0:40 offset1:41
	v_pk_add_f32 v[26:27], v[26:27], v[130:131] neg_lo:[0,1] neg_hi:[0,1]
	v_pk_add_f32 v[22:23], v[22:23], v[128:129] neg_lo:[0,1] neg_hi:[0,1]
	s_wait_dscnt 0x0
	v_pk_mul_f32 v[128:129], v[124:125], v[116:117] op_sel:[0,1]
	s_delay_alu instid0(VALU_DEP_1) | instskip(SKIP_1) | instid1(VALU_DEP_1)
	v_pk_fma_f32 v[130:131], v[124:125], v[114:115], v[128:129] op_sel:[0,0,1] op_sel_hi:[1,1,0] neg_lo:[0,0,1] neg_hi:[0,0,1]
	v_pk_fma_f32 v[124:125], v[124:125], v[114:115], v[128:129] op_sel:[0,0,1] op_sel_hi:[1,0,0]
	v_mov_b32_e32 v131, v125
	v_pk_mul_f32 v[124:125], v[126:127], v[116:117] op_sel:[0,1]
	s_delay_alu instid0(VALU_DEP_1) | instskip(SKIP_1) | instid1(VALU_DEP_1)
	v_pk_fma_f32 v[128:129], v[126:127], v[114:115], v[124:125] op_sel:[0,0,1] op_sel_hi:[1,1,0] neg_lo:[0,0,1] neg_hi:[0,0,1]
	v_pk_fma_f32 v[124:125], v[126:127], v[114:115], v[124:125] op_sel:[0,0,1] op_sel_hi:[1,0,0]
	v_mov_b32_e32 v129, v125
	ds_load_2addr_b64 v[124:127], v118 offset0:42 offset1:43
	v_pk_add_f32 v[84:85], v[84:85], v[130:131] neg_lo:[0,1] neg_hi:[0,1]
	v_pk_add_f32 v[18:19], v[18:19], v[128:129] neg_lo:[0,1] neg_hi:[0,1]
	s_wait_dscnt 0x0
	v_dual_mul_f32 v128, v125, v117 :: v_dual_mul_f32 v130, v125, v114
	s_delay_alu instid0(VALU_DEP_1) | instskip(NEXT) | instid1(VALU_DEP_2)
	v_pk_fma_f32 v[128:129], v[124:125], v[32:33], v[128:129] op_sel_hi:[1,1,0] neg_lo:[0,0,1] neg_hi:[0,0,1]
	v_pk_fma_f32 v[124:125], v[124:125], v[32:33], v[130:131] op_sel:[1,0,0] op_sel_hi:[0,1,0]
	s_delay_alu instid0(VALU_DEP_1) | instskip(SKIP_1) | instid1(VALU_DEP_2)
	v_mov_b32_e32 v129, v125
	v_pk_mul_f32 v[124:125], v[126:127], v[116:117] op_sel:[0,1]
	v_pk_add_f32 v[20:21], v[20:21], v[128:129] neg_lo:[0,1] neg_hi:[0,1]
	s_delay_alu instid0(VALU_DEP_2) | instskip(SKIP_1) | instid1(VALU_DEP_1)
	v_pk_fma_f32 v[128:129], v[126:127], v[114:115], v[124:125] op_sel:[0,0,1] op_sel_hi:[1,1,0] neg_lo:[0,0,1] neg_hi:[0,0,1]
	v_pk_fma_f32 v[124:125], v[126:127], v[114:115], v[124:125] op_sel:[0,0,1] op_sel_hi:[1,0,0]
	v_mov_b32_e32 v129, v125
	ds_load_2addr_b64 v[124:127], v118 offset0:44 offset1:45
	v_pk_add_f32 v[16:17], v[16:17], v[128:129] neg_lo:[0,1] neg_hi:[0,1]
	s_wait_dscnt 0x0
	v_pk_mul_f32 v[128:129], v[124:125], v[116:117] op_sel:[0,1]
	s_delay_alu instid0(VALU_DEP_1) | instskip(SKIP_1) | instid1(VALU_DEP_1)
	v_pk_fma_f32 v[130:131], v[124:125], v[114:115], v[128:129] op_sel:[0,0,1] op_sel_hi:[1,1,0] neg_lo:[0,0,1] neg_hi:[0,0,1]
	v_pk_fma_f32 v[124:125], v[124:125], v[114:115], v[128:129] op_sel:[0,0,1] op_sel_hi:[1,0,0]
	v_mov_b32_e32 v131, v125
	v_pk_mul_f32 v[124:125], v[126:127], v[116:117] op_sel:[0,1]
	s_delay_alu instid0(VALU_DEP_2) | instskip(NEXT) | instid1(VALU_DEP_2)
	v_pk_add_f32 v[82:83], v[82:83], v[130:131] neg_lo:[0,1] neg_hi:[0,1]
	v_pk_fma_f32 v[128:129], v[126:127], v[114:115], v[124:125] op_sel:[0,0,1] op_sel_hi:[1,1,0] neg_lo:[0,0,1] neg_hi:[0,0,1]
	v_pk_fma_f32 v[124:125], v[126:127], v[114:115], v[124:125] op_sel:[0,0,1] op_sel_hi:[1,0,0]
	s_delay_alu instid0(VALU_DEP_1) | instskip(SKIP_4) | instid1(VALU_DEP_1)
	v_mov_b32_e32 v129, v125
	ds_load_2addr_b64 v[124:127], v118 offset0:46 offset1:47
	v_pk_add_f32 v[10:11], v[10:11], v[128:129] neg_lo:[0,1] neg_hi:[0,1]
	s_wait_dscnt 0x0
	v_pk_mul_f32 v[128:129], v[124:125], v[116:117] op_sel:[0,1]
	v_pk_fma_f32 v[130:131], v[124:125], v[114:115], v[128:129] op_sel:[0,0,1] op_sel_hi:[1,1,0] neg_lo:[0,0,1] neg_hi:[0,0,1]
	v_pk_fma_f32 v[124:125], v[124:125], v[114:115], v[128:129] op_sel:[0,0,1] op_sel_hi:[1,0,0]
	v_dual_mul_f32 v128, v127, v117 :: v_dual_mov_b32 v124, v127
	s_delay_alu instid0(VALU_DEP_2) | instskip(NEXT) | instid1(VALU_DEP_2)
	v_dual_mov_b32 v131, v125 :: v_dual_mov_b32 v125, v126
	v_pk_fma_f32 v[128:129], v[126:127], v[32:33], v[128:129] op_sel_hi:[1,1,0] neg_lo:[0,0,1] neg_hi:[0,0,1]
	v_mul_f32_e32 v126, v127, v114
	s_delay_alu instid0(VALU_DEP_3) | instskip(NEXT) | instid1(VALU_DEP_2)
	v_pk_add_f32 v[12:13], v[12:13], v[130:131] neg_lo:[0,1] neg_hi:[0,1]
	v_pk_fma_f32 v[124:125], v[124:125], v[32:33], v[126:127] op_sel_hi:[1,1,0]
	s_delay_alu instid0(VALU_DEP_1) | instskip(SKIP_4) | instid1(VALU_DEP_1)
	v_mov_b32_e32 v129, v125
	ds_load_2addr_b64 v[124:127], v118 offset0:48 offset1:49
	v_pk_add_f32 v[8:9], v[8:9], v[128:129] neg_lo:[0,1] neg_hi:[0,1]
	s_wait_dscnt 0x0
	v_pk_mul_f32 v[128:129], v[124:125], v[116:117] op_sel:[0,1]
	v_pk_fma_f32 v[130:131], v[124:125], v[114:115], v[128:129] op_sel:[0,0,1] op_sel_hi:[1,1,0] neg_lo:[0,0,1] neg_hi:[0,0,1]
	v_pk_fma_f32 v[124:125], v[124:125], v[114:115], v[128:129] op_sel:[0,0,1] op_sel_hi:[1,0,0]
	s_delay_alu instid0(VALU_DEP_1) | instskip(SKIP_1) | instid1(VALU_DEP_1)
	v_mov_b32_e32 v131, v125
	v_pk_mul_f32 v[124:125], v[126:127], v[116:117] op_sel:[0,1]
	v_pk_fma_f32 v[128:129], v[126:127], v[114:115], v[124:125] op_sel:[0,0,1] op_sel_hi:[1,1,0] neg_lo:[0,0,1] neg_hi:[0,0,1]
	v_pk_fma_f32 v[124:125], v[126:127], v[114:115], v[124:125] op_sel:[0,0,1] op_sel_hi:[1,0,0]
	s_delay_alu instid0(VALU_DEP_1)
	v_mov_b32_e32 v129, v125
	ds_load_2addr_b64 v[124:127], v118 offset0:50 offset1:51
	v_pk_add_f32 v[66:67], v[66:67], v[130:131] neg_lo:[0,1] neg_hi:[0,1]
	v_pk_add_f32 v[6:7], v[6:7], v[128:129] neg_lo:[0,1] neg_hi:[0,1]
	s_wait_dscnt 0x0
	v_pk_mul_f32 v[128:129], v[124:125], v[116:117] op_sel:[0,1]
	s_delay_alu instid0(VALU_DEP_1) | instskip(SKIP_1) | instid1(VALU_DEP_1)
	v_pk_fma_f32 v[130:131], v[124:125], v[114:115], v[128:129] op_sel:[0,0,1] op_sel_hi:[1,1,0] neg_lo:[0,0,1] neg_hi:[0,0,1]
	v_pk_fma_f32 v[124:125], v[124:125], v[114:115], v[128:129] op_sel:[0,0,1] op_sel_hi:[1,0,0]
	v_mov_b32_e32 v131, v125
	v_pk_mul_f32 v[124:125], v[126:127], v[116:117] op_sel:[0,1]
	s_delay_alu instid0(VALU_DEP_1) | instskip(SKIP_1) | instid1(VALU_DEP_1)
	v_pk_fma_f32 v[128:129], v[126:127], v[114:115], v[124:125] op_sel:[0,0,1] op_sel_hi:[1,1,0] neg_lo:[0,0,1] neg_hi:[0,0,1]
	v_pk_fma_f32 v[124:125], v[126:127], v[114:115], v[124:125] op_sel:[0,0,1] op_sel_hi:[1,0,0]
	v_mov_b32_e32 v129, v125
	ds_load_2addr_b64 v[124:127], v118 offset0:52 offset1:53
	v_pk_add_f32 v[46:47], v[46:47], v[130:131] neg_lo:[0,1] neg_hi:[0,1]
	v_pk_add_f32 v[28:29], v[28:29], v[128:129] neg_lo:[0,1] neg_hi:[0,1]
	s_wait_dscnt 0x0
	v_dual_mul_f32 v128, v125, v117 :: v_dual_mul_f32 v130, v125, v114
	v_pk_mul_f32 v[116:117], v[126:127], v[116:117] op_sel:[0,1]
	s_delay_alu instid0(VALU_DEP_2) | instskip(NEXT) | instid1(VALU_DEP_3)
	v_pk_fma_f32 v[128:129], v[124:125], v[32:33], v[128:129] op_sel_hi:[1,1,0] neg_lo:[0,0,1] neg_hi:[0,0,1]
	v_pk_fma_f32 v[124:125], v[124:125], v[32:33], v[130:131] op_sel:[1,0,0] op_sel_hi:[0,1,0]
	s_delay_alu instid0(VALU_DEP_1) | instskip(NEXT) | instid1(VALU_DEP_4)
	v_mov_b32_e32 v129, v125
	v_pk_fma_f32 v[124:125], v[126:127], v[114:115], v[116:117] op_sel:[0,0,1] op_sel_hi:[1,1,0] neg_lo:[0,0,1] neg_hi:[0,0,1]
	v_pk_fma_f32 v[114:115], v[126:127], v[114:115], v[116:117] op_sel:[0,0,1] op_sel_hi:[1,0,0]
	s_delay_alu instid0(VALU_DEP_1) | instskip(NEXT) | instid1(VALU_DEP_4)
	v_mov_b32_e32 v125, v115
	v_pk_add_f32 v[14:15], v[14:15], v[128:129] neg_lo:[0,1] neg_hi:[0,1]
	s_delay_alu instid0(VALU_DEP_2)
	v_pk_add_f32 v[112:113], v[112:113], v[124:125] neg_lo:[0,1] neg_hi:[0,1]
.LBB106_713:
	s_or_b32 exec_lo, exec_lo, s0
	v_lshl_add_u32 v114, v122, 3, v118
	s_barrier_signal -1
	s_barrier_wait -1
	ds_store_b64 v114, v[34:35]
	s_wait_dscnt 0x0
	s_barrier_signal -1
	s_barrier_wait -1
	ds_load_b64 v[116:117], v118 offset:272
	v_mov_b32_e32 v114, 34
	s_cmp_lt_i32 s18, 36
	s_cbranch_scc1 .LBB106_716
; %bb.714:
	v_add3_u32 v115, v119, 0, 0x118
	v_mov_b32_e32 v114, 34
	s_mov_b32 s0, 35
.LBB106_715:                            ; =>This Inner Loop Header: Depth=1
	ds_load_b64 v[124:125], v115
	s_wait_dscnt 0x1
	v_cmp_gt_f32_e32 vcc_lo, 0, v116
	v_cndmask_b32_e64 v126, v116, -v116, vcc_lo
	v_cmp_gt_f32_e32 vcc_lo, 0, v117
	v_cndmask_b32_e64 v128, v117, -v117, vcc_lo
	s_wait_dscnt 0x0
	v_cmp_gt_f32_e32 vcc_lo, 0, v124
	v_cndmask_b32_e64 v127, v124, -v124, vcc_lo
	v_cmp_gt_f32_e32 vcc_lo, 0, v125
	v_cndmask_b32_e64 v129, v125, -v125, vcc_lo
	s_delay_alu instid0(VALU_DEP_1) | instskip(NEXT) | instid1(VALU_DEP_1)
	v_pk_add_f32 v[126:127], v[126:127], v[128:129]
	v_cmp_lt_f32_e32 vcc_lo, v126, v127
	v_dual_add_nc_u32 v115, 8, v115 :: v_dual_cndmask_b32 v117, v117, v125, vcc_lo
	v_cndmask_b32_e32 v116, v116, v124, vcc_lo
	v_cndmask_b32_e64 v114, v114, s0, vcc_lo
	s_add_co_i32 s0, s0, 1
	s_delay_alu instid0(SALU_CYCLE_1)
	s_cmp_lg_u32 s18, s0
	s_cbranch_scc1 .LBB106_715
.LBB106_716:
	s_wait_dscnt 0x0
	v_cmp_eq_f32_e32 vcc_lo, 0, v116
	v_cmp_eq_f32_e64 s0, 0, v117
	s_and_b32 s0, vcc_lo, s0
	s_delay_alu instid0(SALU_CYCLE_1) | instskip(NEXT) | instid1(SALU_CYCLE_1)
	s_and_saveexec_b32 s1, s0
	s_xor_b32 s0, exec_lo, s1
; %bb.717:
	v_cmp_ne_u32_e32 vcc_lo, 0, v120
	v_cndmask_b32_e32 v120, 35, v120, vcc_lo
; %bb.718:
	s_and_not1_saveexec_b32 s0, s0
	s_cbranch_execz .LBB106_724
; %bb.719:
	v_cmp_ngt_f32_e64 s1, |v116|, |v117|
	s_and_saveexec_b32 s12, s1
	s_delay_alu instid0(SALU_CYCLE_1)
	s_xor_b32 s1, exec_lo, s12
	s_cbranch_execz .LBB106_721
; %bb.720:
	v_div_scale_f32 v115, null, v117, v117, v116
	v_div_scale_f32 v125, vcc_lo, v116, v117, v116
	s_delay_alu instid0(VALU_DEP_2) | instskip(SKIP_1) | instid1(TRANS32_DEP_1)
	v_rcp_f32_e32 v123, v115
	v_nop
	v_fma_f32 v124, -v115, v123, 1.0
	s_delay_alu instid0(VALU_DEP_1) | instskip(NEXT) | instid1(VALU_DEP_1)
	v_fmac_f32_e32 v123, v124, v123
	v_mul_f32_e32 v124, v125, v123
	s_delay_alu instid0(VALU_DEP_1) | instskip(NEXT) | instid1(VALU_DEP_1)
	v_fma_f32 v126, -v115, v124, v125
	v_fmac_f32_e32 v124, v126, v123
	s_delay_alu instid0(VALU_DEP_1) | instskip(NEXT) | instid1(VALU_DEP_1)
	v_fma_f32 v115, -v115, v124, v125
	v_div_fmas_f32 v115, v115, v123, v124
	s_delay_alu instid0(VALU_DEP_1) | instskip(NEXT) | instid1(VALU_DEP_1)
	v_div_fixup_f32 v115, v115, v117, v116
	v_fmac_f32_e32 v117, v116, v115
	s_delay_alu instid0(VALU_DEP_1) | instskip(SKIP_1) | instid1(VALU_DEP_2)
	v_div_scale_f32 v116, null, v117, v117, 1.0
	v_div_scale_f32 v125, vcc_lo, 1.0, v117, 1.0
	v_rcp_f32_e32 v123, v116
	v_nop
	s_delay_alu instid0(TRANS32_DEP_1) | instskip(NEXT) | instid1(VALU_DEP_1)
	v_fma_f32 v124, -v116, v123, 1.0
	v_fmac_f32_e32 v123, v124, v123
	s_delay_alu instid0(VALU_DEP_1) | instskip(NEXT) | instid1(VALU_DEP_1)
	v_mul_f32_e32 v124, v125, v123
	v_fma_f32 v126, -v116, v124, v125
	s_delay_alu instid0(VALU_DEP_1) | instskip(NEXT) | instid1(VALU_DEP_1)
	v_fmac_f32_e32 v124, v126, v123
	v_fma_f32 v116, -v116, v124, v125
	s_delay_alu instid0(VALU_DEP_1) | instskip(NEXT) | instid1(VALU_DEP_1)
	v_div_fmas_f32 v116, v116, v123, v124
	v_div_fixup_f32 v117, v116, v117, 1.0
	s_delay_alu instid0(VALU_DEP_1)
	v_mul_f32_e32 v116, v115, v117
	v_xor_b32_e32 v117, 0x80000000, v117
.LBB106_721:
	s_and_not1_saveexec_b32 s1, s1
	s_cbranch_execz .LBB106_723
; %bb.722:
	s_delay_alu instid0(VALU_DEP_1) | instskip(SKIP_1) | instid1(VALU_DEP_2)
	v_div_scale_f32 v115, null, v116, v116, v117
	v_div_scale_f32 v125, vcc_lo, v117, v116, v117
	v_rcp_f32_e32 v123, v115
	v_nop
	s_delay_alu instid0(TRANS32_DEP_1) | instskip(NEXT) | instid1(VALU_DEP_1)
	v_fma_f32 v124, -v115, v123, 1.0
	v_fmac_f32_e32 v123, v124, v123
	s_delay_alu instid0(VALU_DEP_1) | instskip(NEXT) | instid1(VALU_DEP_1)
	v_mul_f32_e32 v124, v125, v123
	v_fma_f32 v126, -v115, v124, v125
	s_delay_alu instid0(VALU_DEP_1) | instskip(NEXT) | instid1(VALU_DEP_1)
	v_fmac_f32_e32 v124, v126, v123
	v_fma_f32 v115, -v115, v124, v125
	s_delay_alu instid0(VALU_DEP_1) | instskip(NEXT) | instid1(VALU_DEP_1)
	v_div_fmas_f32 v115, v115, v123, v124
	v_div_fixup_f32 v115, v115, v116, v117
	s_delay_alu instid0(VALU_DEP_1) | instskip(NEXT) | instid1(VALU_DEP_1)
	v_fmac_f32_e32 v116, v117, v115
	v_div_scale_f32 v117, null, v116, v116, 1.0
	s_delay_alu instid0(VALU_DEP_1) | instskip(SKIP_1) | instid1(TRANS32_DEP_1)
	v_rcp_f32_e32 v123, v117
	v_nop
	v_fma_f32 v124, -v117, v123, 1.0
	s_delay_alu instid0(VALU_DEP_1) | instskip(SKIP_1) | instid1(VALU_DEP_1)
	v_fmac_f32_e32 v123, v124, v123
	v_div_scale_f32 v124, vcc_lo, 1.0, v116, 1.0
	v_mul_f32_e32 v125, v124, v123
	s_delay_alu instid0(VALU_DEP_1) | instskip(NEXT) | instid1(VALU_DEP_1)
	v_fma_f32 v126, -v117, v125, v124
	v_fmac_f32_e32 v125, v126, v123
	s_delay_alu instid0(VALU_DEP_1) | instskip(NEXT) | instid1(VALU_DEP_1)
	v_fma_f32 v117, -v117, v125, v124
	v_div_fmas_f32 v117, v117, v123, v125
	s_delay_alu instid0(VALU_DEP_1) | instskip(NEXT) | instid1(VALU_DEP_1)
	v_div_fixup_f32 v116, v117, v116, 1.0
	v_mul_f32_e64 v117, v115, -v116
.LBB106_723:
	s_or_b32 exec_lo, exec_lo, s1
.LBB106_724:
	s_delay_alu instid0(SALU_CYCLE_1) | instskip(NEXT) | instid1(SALU_CYCLE_1)
	s_or_b32 exec_lo, exec_lo, s0
	s_mov_b32 s0, exec_lo
	v_cmpx_ne_u32_e64 v122, v114
	s_xor_b32 s0, exec_lo, s0
	s_cbranch_execz .LBB106_730
; %bb.725:
	s_mov_b32 s1, exec_lo
	v_cmpx_eq_u32_e32 34, v122
	s_cbranch_execz .LBB106_729
; %bb.726:
	v_cmp_ne_u32_e32 vcc_lo, 34, v114
	s_xor_b32 s12, s16, -1
	s_delay_alu instid0(SALU_CYCLE_1) | instskip(NEXT) | instid1(SALU_CYCLE_1)
	s_and_b32 s13, s12, vcc_lo
	s_and_saveexec_b32 s12, s13
	s_cbranch_execz .LBB106_728
; %bb.727:
	v_ashrrev_i32_e32 v115, 31, v114
	s_delay_alu instid0(VALU_DEP_1)
	v_lshl_add_u64 v[122:123], v[114:115], 2, v[4:5]
	s_clause 0x1
	global_load_b32 v115, v[122:123], off
	global_load_b32 v121, v[4:5], off offset:136
	s_wait_loadcnt 0x1
	global_store_b32 v[4:5], v115, off offset:136
	s_wait_loadcnt 0x0
	global_store_b32 v[122:123], v121, off
.LBB106_728:
	s_wait_xcnt 0x0
	s_or_b32 exec_lo, exec_lo, s12
	v_dual_mov_b32 v122, v114 :: v_dual_mov_b32 v121, v114
.LBB106_729:
	s_or_b32 exec_lo, exec_lo, s1
.LBB106_730:
	s_and_not1_saveexec_b32 s0, s0
	s_cbranch_execz .LBB106_732
; %bb.731:
	v_mov_b32_e32 v122, 34
	ds_store_2addr_b64 v118, v[30:31], v[86:87] offset0:35 offset1:36
	ds_store_2addr_b64 v118, v[24:25], v[26:27] offset0:37 offset1:38
	;; [unrolled: 1-line block ×9, first 2 shown]
	ds_store_b64 v118, v[112:113] offset:424
.LBB106_732:
	s_or_b32 exec_lo, exec_lo, s0
	s_delay_alu instid0(SALU_CYCLE_1)
	s_mov_b32 s0, exec_lo
	s_wait_storecnt_dscnt 0x0
	s_barrier_signal -1
	s_barrier_wait -1
	v_cmpx_lt_i32_e32 34, v122
	s_cbranch_execz .LBB106_734
; %bb.733:
	v_pk_mul_f32 v[124:125], v[116:117], v[34:35] op_sel:[1,1] op_sel_hi:[0,1]
	s_delay_alu instid0(VALU_DEP_1)
	v_pk_fma_f32 v[114:115], v[116:117], v[34:35], v[124:125] op_sel_hi:[1,0,1] neg_lo:[0,0,1] neg_hi:[0,0,1]
	v_pk_fma_f32 v[116:117], v[116:117], v[34:35], v[124:125] op_sel_hi:[1,0,1]
	ds_load_2addr_b64 v[124:127], v118 offset0:35 offset1:36
	v_dual_mov_b32 v34, v114 :: v_dual_mov_b32 v35, v117
	s_wait_dscnt 0x0
	v_pk_mul_f32 v[128:129], v[124:125], v[116:117] op_sel:[0,1]
	s_delay_alu instid0(VALU_DEP_1) | instskip(SKIP_1) | instid1(VALU_DEP_1)
	v_pk_fma_f32 v[130:131], v[124:125], v[114:115], v[128:129] op_sel:[0,0,1] op_sel_hi:[1,1,0] neg_lo:[0,0,1] neg_hi:[0,0,1]
	v_pk_fma_f32 v[124:125], v[124:125], v[114:115], v[128:129] op_sel:[0,0,1] op_sel_hi:[1,0,0]
	v_mov_b32_e32 v131, v125
	v_pk_mul_f32 v[124:125], v[126:127], v[116:117] op_sel:[0,1]
	s_delay_alu instid0(VALU_DEP_1) | instskip(SKIP_1) | instid1(VALU_DEP_1)
	v_pk_fma_f32 v[128:129], v[126:127], v[114:115], v[124:125] op_sel:[0,0,1] op_sel_hi:[1,1,0] neg_lo:[0,0,1] neg_hi:[0,0,1]
	v_pk_fma_f32 v[124:125], v[126:127], v[114:115], v[124:125] op_sel:[0,0,1] op_sel_hi:[1,0,0]
	v_mov_b32_e32 v129, v125
	ds_load_2addr_b64 v[124:127], v118 offset0:37 offset1:38
	v_pk_add_f32 v[30:31], v[30:31], v[130:131] neg_lo:[0,1] neg_hi:[0,1]
	v_pk_add_f32 v[86:87], v[86:87], v[128:129] neg_lo:[0,1] neg_hi:[0,1]
	s_wait_dscnt 0x0
	v_pk_mul_f32 v[128:129], v[124:125], v[116:117] op_sel:[0,1]
	s_delay_alu instid0(VALU_DEP_1) | instskip(SKIP_2) | instid1(VALU_DEP_2)
	v_pk_fma_f32 v[130:131], v[124:125], v[114:115], v[128:129] op_sel:[0,0,1] op_sel_hi:[1,1,0] neg_lo:[0,0,1] neg_hi:[0,0,1]
	v_pk_fma_f32 v[124:125], v[124:125], v[114:115], v[128:129] op_sel:[0,0,1] op_sel_hi:[1,0,0]
	v_dual_mul_f32 v128, v127, v117 :: v_dual_mov_b32 v124, v127
	v_dual_mov_b32 v131, v125 :: v_dual_mov_b32 v125, v126
	s_delay_alu instid0(VALU_DEP_2) | instskip(SKIP_1) | instid1(VALU_DEP_3)
	v_pk_fma_f32 v[128:129], v[126:127], v[34:35], v[128:129] op_sel_hi:[1,1,0] neg_lo:[0,0,1] neg_hi:[0,0,1]
	v_mul_f32_e32 v126, v127, v114
	v_pk_add_f32 v[24:25], v[24:25], v[130:131] neg_lo:[0,1] neg_hi:[0,1]
	s_delay_alu instid0(VALU_DEP_2) | instskip(NEXT) | instid1(VALU_DEP_1)
	v_pk_fma_f32 v[124:125], v[124:125], v[34:35], v[126:127] op_sel_hi:[1,1,0]
	v_mov_b32_e32 v129, v125
	ds_load_2addr_b64 v[124:127], v118 offset0:39 offset1:40
	v_pk_add_f32 v[26:27], v[26:27], v[128:129] neg_lo:[0,1] neg_hi:[0,1]
	s_wait_dscnt 0x0
	v_pk_mul_f32 v[128:129], v[124:125], v[116:117] op_sel:[0,1]
	s_delay_alu instid0(VALU_DEP_1) | instskip(SKIP_1) | instid1(VALU_DEP_1)
	v_pk_fma_f32 v[130:131], v[124:125], v[114:115], v[128:129] op_sel:[0,0,1] op_sel_hi:[1,1,0] neg_lo:[0,0,1] neg_hi:[0,0,1]
	v_pk_fma_f32 v[124:125], v[124:125], v[114:115], v[128:129] op_sel:[0,0,1] op_sel_hi:[1,0,0]
	v_mov_b32_e32 v131, v125
	v_pk_mul_f32 v[124:125], v[126:127], v[116:117] op_sel:[0,1]
	s_delay_alu instid0(VALU_DEP_1) | instskip(SKIP_1) | instid1(VALU_DEP_1)
	v_pk_fma_f32 v[128:129], v[126:127], v[114:115], v[124:125] op_sel:[0,0,1] op_sel_hi:[1,1,0] neg_lo:[0,0,1] neg_hi:[0,0,1]
	v_pk_fma_f32 v[124:125], v[126:127], v[114:115], v[124:125] op_sel:[0,0,1] op_sel_hi:[1,0,0]
	v_mov_b32_e32 v129, v125
	ds_load_2addr_b64 v[124:127], v118 offset0:41 offset1:42
	v_pk_add_f32 v[22:23], v[22:23], v[130:131] neg_lo:[0,1] neg_hi:[0,1]
	v_pk_add_f32 v[84:85], v[84:85], v[128:129] neg_lo:[0,1] neg_hi:[0,1]
	s_wait_dscnt 0x0
	v_pk_mul_f32 v[128:129], v[124:125], v[116:117] op_sel:[0,1]
	s_delay_alu instid0(VALU_DEP_1) | instskip(SKIP_1) | instid1(VALU_DEP_1)
	v_pk_fma_f32 v[130:131], v[124:125], v[114:115], v[128:129] op_sel:[0,0,1] op_sel_hi:[1,1,0] neg_lo:[0,0,1] neg_hi:[0,0,1]
	v_pk_fma_f32 v[124:125], v[124:125], v[114:115], v[128:129] op_sel:[0,0,1] op_sel_hi:[1,0,0]
	v_mov_b32_e32 v131, v125
	v_pk_mul_f32 v[124:125], v[126:127], v[116:117] op_sel:[0,1]
	s_delay_alu instid0(VALU_DEP_1) | instskip(SKIP_1) | instid1(VALU_DEP_1)
	v_pk_fma_f32 v[128:129], v[126:127], v[114:115], v[124:125] op_sel:[0,0,1] op_sel_hi:[1,1,0] neg_lo:[0,0,1] neg_hi:[0,0,1]
	v_pk_fma_f32 v[124:125], v[126:127], v[114:115], v[124:125] op_sel:[0,0,1] op_sel_hi:[1,0,0]
	v_mov_b32_e32 v129, v125
	ds_load_2addr_b64 v[124:127], v118 offset0:43 offset1:44
	v_pk_add_f32 v[18:19], v[18:19], v[130:131] neg_lo:[0,1] neg_hi:[0,1]
	v_pk_add_f32 v[20:21], v[20:21], v[128:129] neg_lo:[0,1] neg_hi:[0,1]
	s_wait_dscnt 0x0
	v_dual_mul_f32 v128, v125, v117 :: v_dual_mul_f32 v130, v125, v114
	s_delay_alu instid0(VALU_DEP_1) | instskip(NEXT) | instid1(VALU_DEP_2)
	v_pk_fma_f32 v[128:129], v[124:125], v[34:35], v[128:129] op_sel_hi:[1,1,0] neg_lo:[0,0,1] neg_hi:[0,0,1]
	v_pk_fma_f32 v[124:125], v[124:125], v[34:35], v[130:131] op_sel:[1,0,0] op_sel_hi:[0,1,0]
	s_delay_alu instid0(VALU_DEP_1) | instskip(SKIP_1) | instid1(VALU_DEP_2)
	v_mov_b32_e32 v129, v125
	v_pk_mul_f32 v[124:125], v[126:127], v[116:117] op_sel:[0,1]
	v_pk_add_f32 v[16:17], v[16:17], v[128:129] neg_lo:[0,1] neg_hi:[0,1]
	s_delay_alu instid0(VALU_DEP_2) | instskip(SKIP_1) | instid1(VALU_DEP_1)
	v_pk_fma_f32 v[128:129], v[126:127], v[114:115], v[124:125] op_sel:[0,0,1] op_sel_hi:[1,1,0] neg_lo:[0,0,1] neg_hi:[0,0,1]
	v_pk_fma_f32 v[124:125], v[126:127], v[114:115], v[124:125] op_sel:[0,0,1] op_sel_hi:[1,0,0]
	v_mov_b32_e32 v129, v125
	ds_load_2addr_b64 v[124:127], v118 offset0:45 offset1:46
	v_pk_add_f32 v[82:83], v[82:83], v[128:129] neg_lo:[0,1] neg_hi:[0,1]
	s_wait_dscnt 0x0
	v_pk_mul_f32 v[128:129], v[124:125], v[116:117] op_sel:[0,1]
	s_delay_alu instid0(VALU_DEP_1) | instskip(SKIP_1) | instid1(VALU_DEP_1)
	v_pk_fma_f32 v[130:131], v[124:125], v[114:115], v[128:129] op_sel:[0,0,1] op_sel_hi:[1,1,0] neg_lo:[0,0,1] neg_hi:[0,0,1]
	v_pk_fma_f32 v[124:125], v[124:125], v[114:115], v[128:129] op_sel:[0,0,1] op_sel_hi:[1,0,0]
	v_mov_b32_e32 v131, v125
	v_pk_mul_f32 v[124:125], v[126:127], v[116:117] op_sel:[0,1]
	s_delay_alu instid0(VALU_DEP_2) | instskip(NEXT) | instid1(VALU_DEP_2)
	v_pk_add_f32 v[10:11], v[10:11], v[130:131] neg_lo:[0,1] neg_hi:[0,1]
	v_pk_fma_f32 v[128:129], v[126:127], v[114:115], v[124:125] op_sel:[0,0,1] op_sel_hi:[1,1,0] neg_lo:[0,0,1] neg_hi:[0,0,1]
	v_pk_fma_f32 v[124:125], v[126:127], v[114:115], v[124:125] op_sel:[0,0,1] op_sel_hi:[1,0,0]
	s_delay_alu instid0(VALU_DEP_1) | instskip(SKIP_4) | instid1(VALU_DEP_1)
	v_mov_b32_e32 v129, v125
	ds_load_2addr_b64 v[124:127], v118 offset0:47 offset1:48
	v_pk_add_f32 v[12:13], v[12:13], v[128:129] neg_lo:[0,1] neg_hi:[0,1]
	s_wait_dscnt 0x0
	v_pk_mul_f32 v[128:129], v[124:125], v[116:117] op_sel:[0,1]
	v_pk_fma_f32 v[130:131], v[124:125], v[114:115], v[128:129] op_sel:[0,0,1] op_sel_hi:[1,1,0] neg_lo:[0,0,1] neg_hi:[0,0,1]
	v_pk_fma_f32 v[124:125], v[124:125], v[114:115], v[128:129] op_sel:[0,0,1] op_sel_hi:[1,0,0]
	v_dual_mul_f32 v128, v127, v117 :: v_dual_mov_b32 v124, v127
	s_delay_alu instid0(VALU_DEP_2) | instskip(NEXT) | instid1(VALU_DEP_2)
	v_dual_mov_b32 v131, v125 :: v_dual_mov_b32 v125, v126
	v_pk_fma_f32 v[128:129], v[126:127], v[34:35], v[128:129] op_sel_hi:[1,1,0] neg_lo:[0,0,1] neg_hi:[0,0,1]
	v_mul_f32_e32 v126, v127, v114
	s_delay_alu instid0(VALU_DEP_3) | instskip(NEXT) | instid1(VALU_DEP_2)
	v_pk_add_f32 v[8:9], v[8:9], v[130:131] neg_lo:[0,1] neg_hi:[0,1]
	v_pk_fma_f32 v[124:125], v[124:125], v[34:35], v[126:127] op_sel_hi:[1,1,0]
	s_delay_alu instid0(VALU_DEP_1) | instskip(SKIP_4) | instid1(VALU_DEP_1)
	v_mov_b32_e32 v129, v125
	ds_load_2addr_b64 v[124:127], v118 offset0:49 offset1:50
	v_pk_add_f32 v[66:67], v[66:67], v[128:129] neg_lo:[0,1] neg_hi:[0,1]
	s_wait_dscnt 0x0
	v_pk_mul_f32 v[128:129], v[124:125], v[116:117] op_sel:[0,1]
	v_pk_fma_f32 v[130:131], v[124:125], v[114:115], v[128:129] op_sel:[0,0,1] op_sel_hi:[1,1,0] neg_lo:[0,0,1] neg_hi:[0,0,1]
	v_pk_fma_f32 v[124:125], v[124:125], v[114:115], v[128:129] op_sel:[0,0,1] op_sel_hi:[1,0,0]
	s_delay_alu instid0(VALU_DEP_1) | instskip(SKIP_1) | instid1(VALU_DEP_1)
	v_mov_b32_e32 v131, v125
	v_pk_mul_f32 v[124:125], v[126:127], v[116:117] op_sel:[0,1]
	v_pk_fma_f32 v[128:129], v[126:127], v[114:115], v[124:125] op_sel:[0,0,1] op_sel_hi:[1,1,0] neg_lo:[0,0,1] neg_hi:[0,0,1]
	v_pk_fma_f32 v[124:125], v[126:127], v[114:115], v[124:125] op_sel:[0,0,1] op_sel_hi:[1,0,0]
	s_delay_alu instid0(VALU_DEP_1)
	v_mov_b32_e32 v129, v125
	ds_load_2addr_b64 v[124:127], v118 offset0:51 offset1:52
	v_pk_add_f32 v[6:7], v[6:7], v[130:131] neg_lo:[0,1] neg_hi:[0,1]
	v_pk_add_f32 v[46:47], v[46:47], v[128:129] neg_lo:[0,1] neg_hi:[0,1]
	s_wait_dscnt 0x0
	v_pk_mul_f32 v[128:129], v[124:125], v[116:117] op_sel:[0,1]
	s_delay_alu instid0(VALU_DEP_1) | instskip(SKIP_1) | instid1(VALU_DEP_1)
	v_pk_fma_f32 v[130:131], v[124:125], v[114:115], v[128:129] op_sel:[0,0,1] op_sel_hi:[1,1,0] neg_lo:[0,0,1] neg_hi:[0,0,1]
	v_pk_fma_f32 v[124:125], v[124:125], v[114:115], v[128:129] op_sel:[0,0,1] op_sel_hi:[1,0,0]
	v_mov_b32_e32 v131, v125
	v_pk_mul_f32 v[124:125], v[126:127], v[116:117] op_sel:[0,1]
	s_delay_alu instid0(VALU_DEP_1) | instskip(SKIP_1) | instid1(VALU_DEP_1)
	v_pk_fma_f32 v[128:129], v[126:127], v[114:115], v[124:125] op_sel:[0,0,1] op_sel_hi:[1,1,0] neg_lo:[0,0,1] neg_hi:[0,0,1]
	v_pk_fma_f32 v[124:125], v[126:127], v[114:115], v[124:125] op_sel:[0,0,1] op_sel_hi:[1,0,0]
	v_mov_b32_e32 v129, v125
	ds_load_b64 v[124:125], v118 offset:424
	v_pk_add_f32 v[28:29], v[28:29], v[130:131] neg_lo:[0,1] neg_hi:[0,1]
	v_pk_add_f32 v[14:15], v[14:15], v[128:129] neg_lo:[0,1] neg_hi:[0,1]
	s_wait_dscnt 0x0
	v_pk_mul_f32 v[116:117], v[124:125], v[116:117] op_sel:[0,1]
	s_delay_alu instid0(VALU_DEP_1) | instskip(SKIP_1) | instid1(VALU_DEP_1)
	v_pk_fma_f32 v[126:127], v[124:125], v[114:115], v[116:117] op_sel:[0,0,1] op_sel_hi:[1,1,0] neg_lo:[0,0,1] neg_hi:[0,0,1]
	v_pk_fma_f32 v[114:115], v[124:125], v[114:115], v[116:117] op_sel:[0,0,1] op_sel_hi:[1,0,0]
	v_mov_b32_e32 v127, v115
	s_delay_alu instid0(VALU_DEP_1)
	v_pk_add_f32 v[112:113], v[112:113], v[126:127] neg_lo:[0,1] neg_hi:[0,1]
.LBB106_734:
	s_or_b32 exec_lo, exec_lo, s0
	v_lshl_add_u32 v114, v122, 3, v118
	s_barrier_signal -1
	s_barrier_wait -1
	ds_store_b64 v114, v[30:31]
	s_wait_dscnt 0x0
	s_barrier_signal -1
	s_barrier_wait -1
	ds_load_b64 v[114:115], v118 offset:280
	v_mov_b32_e32 v116, 35
	s_cmp_lt_i32 s18, 37
	s_cbranch_scc1 .LBB106_737
; %bb.735:
	v_add3_u32 v117, v119, 0, 0x120
	v_mov_b32_e32 v116, 35
	s_mov_b32 s0, 36
.LBB106_736:                            ; =>This Inner Loop Header: Depth=1
	ds_load_b64 v[124:125], v117
	s_wait_dscnt 0x1
	v_cmp_gt_f32_e32 vcc_lo, 0, v114
	v_cndmask_b32_e64 v126, v114, -v114, vcc_lo
	v_cmp_gt_f32_e32 vcc_lo, 0, v115
	v_cndmask_b32_e64 v128, v115, -v115, vcc_lo
	s_wait_dscnt 0x0
	v_cmp_gt_f32_e32 vcc_lo, 0, v124
	v_cndmask_b32_e64 v127, v124, -v124, vcc_lo
	v_cmp_gt_f32_e32 vcc_lo, 0, v125
	v_cndmask_b32_e64 v129, v125, -v125, vcc_lo
	s_delay_alu instid0(VALU_DEP_1) | instskip(NEXT) | instid1(VALU_DEP_1)
	v_pk_add_f32 v[126:127], v[126:127], v[128:129]
	v_cmp_lt_f32_e32 vcc_lo, v126, v127
	v_dual_cndmask_b32 v114, v114, v124 :: v_dual_add_nc_u32 v117, 8, v117
	v_cndmask_b32_e32 v115, v115, v125, vcc_lo
	v_cndmask_b32_e64 v116, v116, s0, vcc_lo
	s_add_co_i32 s0, s0, 1
	s_delay_alu instid0(SALU_CYCLE_1)
	s_cmp_lg_u32 s18, s0
	s_cbranch_scc1 .LBB106_736
.LBB106_737:
	s_wait_dscnt 0x0
	v_cmp_eq_f32_e32 vcc_lo, 0, v114
	v_cmp_eq_f32_e64 s0, 0, v115
	s_and_b32 s0, vcc_lo, s0
	s_delay_alu instid0(SALU_CYCLE_1) | instskip(NEXT) | instid1(SALU_CYCLE_1)
	s_and_saveexec_b32 s1, s0
	s_xor_b32 s0, exec_lo, s1
; %bb.738:
	v_cmp_ne_u32_e32 vcc_lo, 0, v120
	v_cndmask_b32_e32 v120, 36, v120, vcc_lo
; %bb.739:
	s_and_not1_saveexec_b32 s0, s0
	s_cbranch_execz .LBB106_745
; %bb.740:
	v_cmp_ngt_f32_e64 s1, |v114|, |v115|
	s_and_saveexec_b32 s12, s1
	s_delay_alu instid0(SALU_CYCLE_1)
	s_xor_b32 s1, exec_lo, s12
	s_cbranch_execz .LBB106_742
; %bb.741:
	v_div_scale_f32 v117, null, v115, v115, v114
	v_div_scale_f32 v125, vcc_lo, v114, v115, v114
	s_delay_alu instid0(VALU_DEP_2) | instskip(SKIP_1) | instid1(TRANS32_DEP_1)
	v_rcp_f32_e32 v123, v117
	v_nop
	v_fma_f32 v124, -v117, v123, 1.0
	s_delay_alu instid0(VALU_DEP_1) | instskip(NEXT) | instid1(VALU_DEP_1)
	v_fmac_f32_e32 v123, v124, v123
	v_mul_f32_e32 v124, v125, v123
	s_delay_alu instid0(VALU_DEP_1) | instskip(NEXT) | instid1(VALU_DEP_1)
	v_fma_f32 v126, -v117, v124, v125
	v_fmac_f32_e32 v124, v126, v123
	s_delay_alu instid0(VALU_DEP_1) | instskip(NEXT) | instid1(VALU_DEP_1)
	v_fma_f32 v117, -v117, v124, v125
	v_div_fmas_f32 v117, v117, v123, v124
	s_delay_alu instid0(VALU_DEP_1) | instskip(NEXT) | instid1(VALU_DEP_1)
	v_div_fixup_f32 v117, v117, v115, v114
	v_fmac_f32_e32 v115, v114, v117
	s_delay_alu instid0(VALU_DEP_1) | instskip(SKIP_1) | instid1(VALU_DEP_2)
	v_div_scale_f32 v114, null, v115, v115, 1.0
	v_div_scale_f32 v125, vcc_lo, 1.0, v115, 1.0
	v_rcp_f32_e32 v123, v114
	v_nop
	s_delay_alu instid0(TRANS32_DEP_1) | instskip(NEXT) | instid1(VALU_DEP_1)
	v_fma_f32 v124, -v114, v123, 1.0
	v_fmac_f32_e32 v123, v124, v123
	s_delay_alu instid0(VALU_DEP_1) | instskip(NEXT) | instid1(VALU_DEP_1)
	v_mul_f32_e32 v124, v125, v123
	v_fma_f32 v126, -v114, v124, v125
	s_delay_alu instid0(VALU_DEP_1) | instskip(NEXT) | instid1(VALU_DEP_1)
	v_fmac_f32_e32 v124, v126, v123
	v_fma_f32 v114, -v114, v124, v125
	s_delay_alu instid0(VALU_DEP_1) | instskip(NEXT) | instid1(VALU_DEP_1)
	v_div_fmas_f32 v114, v114, v123, v124
	v_div_fixup_f32 v115, v114, v115, 1.0
	s_delay_alu instid0(VALU_DEP_1)
	v_mul_f32_e32 v114, v117, v115
	v_xor_b32_e32 v115, 0x80000000, v115
.LBB106_742:
	s_and_not1_saveexec_b32 s1, s1
	s_cbranch_execz .LBB106_744
; %bb.743:
	s_delay_alu instid0(VALU_DEP_1) | instskip(SKIP_1) | instid1(VALU_DEP_2)
	v_div_scale_f32 v117, null, v114, v114, v115
	v_div_scale_f32 v125, vcc_lo, v115, v114, v115
	v_rcp_f32_e32 v123, v117
	v_nop
	s_delay_alu instid0(TRANS32_DEP_1) | instskip(NEXT) | instid1(VALU_DEP_1)
	v_fma_f32 v124, -v117, v123, 1.0
	v_fmac_f32_e32 v123, v124, v123
	s_delay_alu instid0(VALU_DEP_1) | instskip(NEXT) | instid1(VALU_DEP_1)
	v_mul_f32_e32 v124, v125, v123
	v_fma_f32 v126, -v117, v124, v125
	s_delay_alu instid0(VALU_DEP_1) | instskip(NEXT) | instid1(VALU_DEP_1)
	v_fmac_f32_e32 v124, v126, v123
	v_fma_f32 v117, -v117, v124, v125
	s_delay_alu instid0(VALU_DEP_1) | instskip(NEXT) | instid1(VALU_DEP_1)
	v_div_fmas_f32 v117, v117, v123, v124
	v_div_fixup_f32 v117, v117, v114, v115
	s_delay_alu instid0(VALU_DEP_1) | instskip(NEXT) | instid1(VALU_DEP_1)
	v_fmac_f32_e32 v114, v115, v117
	v_div_scale_f32 v115, null, v114, v114, 1.0
	s_delay_alu instid0(VALU_DEP_1) | instskip(SKIP_1) | instid1(TRANS32_DEP_1)
	v_rcp_f32_e32 v123, v115
	v_nop
	v_fma_f32 v124, -v115, v123, 1.0
	s_delay_alu instid0(VALU_DEP_1) | instskip(SKIP_1) | instid1(VALU_DEP_1)
	v_fmac_f32_e32 v123, v124, v123
	v_div_scale_f32 v124, vcc_lo, 1.0, v114, 1.0
	v_mul_f32_e32 v125, v124, v123
	s_delay_alu instid0(VALU_DEP_1) | instskip(NEXT) | instid1(VALU_DEP_1)
	v_fma_f32 v126, -v115, v125, v124
	v_fmac_f32_e32 v125, v126, v123
	s_delay_alu instid0(VALU_DEP_1) | instskip(NEXT) | instid1(VALU_DEP_1)
	v_fma_f32 v115, -v115, v125, v124
	v_div_fmas_f32 v115, v115, v123, v125
	s_delay_alu instid0(VALU_DEP_1) | instskip(NEXT) | instid1(VALU_DEP_1)
	v_div_fixup_f32 v114, v115, v114, 1.0
	v_mul_f32_e64 v115, v117, -v114
.LBB106_744:
	s_or_b32 exec_lo, exec_lo, s1
.LBB106_745:
	s_delay_alu instid0(SALU_CYCLE_1) | instskip(NEXT) | instid1(SALU_CYCLE_1)
	s_or_b32 exec_lo, exec_lo, s0
	s_mov_b32 s0, exec_lo
	v_cmpx_ne_u32_e64 v122, v116
	s_xor_b32 s0, exec_lo, s0
	s_cbranch_execz .LBB106_751
; %bb.746:
	s_mov_b32 s1, exec_lo
	v_cmpx_eq_u32_e32 35, v122
	s_cbranch_execz .LBB106_750
; %bb.747:
	v_cmp_ne_u32_e32 vcc_lo, 35, v116
	s_xor_b32 s12, s16, -1
	s_delay_alu instid0(SALU_CYCLE_1) | instskip(NEXT) | instid1(SALU_CYCLE_1)
	s_and_b32 s13, s12, vcc_lo
	s_and_saveexec_b32 s12, s13
	s_cbranch_execz .LBB106_749
; %bb.748:
	v_ashrrev_i32_e32 v117, 31, v116
	s_delay_alu instid0(VALU_DEP_1)
	v_lshl_add_u64 v[122:123], v[116:117], 2, v[4:5]
	s_clause 0x1
	global_load_b32 v117, v[122:123], off
	global_load_b32 v121, v[4:5], off offset:140
	s_wait_loadcnt 0x1
	global_store_b32 v[4:5], v117, off offset:140
	s_wait_loadcnt 0x0
	global_store_b32 v[122:123], v121, off
.LBB106_749:
	s_wait_xcnt 0x0
	s_or_b32 exec_lo, exec_lo, s12
	v_dual_mov_b32 v122, v116 :: v_dual_mov_b32 v121, v116
.LBB106_750:
	s_or_b32 exec_lo, exec_lo, s1
.LBB106_751:
	s_and_not1_saveexec_b32 s0, s0
	s_cbranch_execz .LBB106_753
; %bb.752:
	v_dual_mov_b32 v116, v86 :: v_dual_mov_b32 v117, v87
	v_dual_mov_b32 v122, v24 :: v_dual_mov_b32 v123, v25
	;; [unrolled: 1-line block ×8, first 2 shown]
	ds_store_2addr_b64 v118, v[116:117], v[122:123] offset0:36 offset1:37
	ds_store_2addr_b64 v118, v[124:125], v[126:127] offset0:38 offset1:39
	;; [unrolled: 1-line block ×4, first 2 shown]
	v_dual_mov_b32 v116, v82 :: v_dual_mov_b32 v117, v83
	v_dual_mov_b32 v124, v10 :: v_dual_mov_b32 v125, v11
	;; [unrolled: 1-line block ×9, first 2 shown]
	v_mov_b32_e32 v139, v15
	ds_store_2addr_b64 v118, v[116:117], v[124:125] offset0:44 offset1:45
	ds_store_2addr_b64 v118, v[126:127], v[128:129] offset0:46 offset1:47
	;; [unrolled: 1-line block ×5, first 2 shown]
.LBB106_753:
	s_or_b32 exec_lo, exec_lo, s0
	s_delay_alu instid0(SALU_CYCLE_1)
	s_mov_b32 s0, exec_lo
	s_wait_storecnt_dscnt 0x0
	s_barrier_signal -1
	s_barrier_wait -1
	v_cmpx_lt_i32_e32 35, v122
	s_cbranch_execz .LBB106_755
; %bb.754:
	v_pk_mul_f32 v[124:125], v[114:115], v[30:31] op_sel:[1,1] op_sel_hi:[0,1]
	s_delay_alu instid0(VALU_DEP_1)
	v_pk_fma_f32 v[116:117], v[114:115], v[30:31], v[124:125] op_sel_hi:[1,0,1] neg_lo:[0,0,1] neg_hi:[0,0,1]
	v_pk_fma_f32 v[114:115], v[114:115], v[30:31], v[124:125] op_sel_hi:[1,0,1]
	ds_load_2addr_b64 v[124:127], v118 offset0:36 offset1:37
	v_dual_mov_b32 v30, v116 :: v_dual_mov_b32 v31, v115
	s_wait_dscnt 0x0
	v_pk_mul_f32 v[128:129], v[124:125], v[114:115] op_sel:[0,1]
	s_delay_alu instid0(VALU_DEP_1) | instskip(SKIP_1) | instid1(VALU_DEP_1)
	v_pk_fma_f32 v[130:131], v[124:125], v[116:117], v[128:129] op_sel:[0,0,1] op_sel_hi:[1,1,0] neg_lo:[0,0,1] neg_hi:[0,0,1]
	v_pk_fma_f32 v[124:125], v[124:125], v[116:117], v[128:129] op_sel:[0,0,1] op_sel_hi:[1,0,0]
	v_mov_b32_e32 v131, v125
	v_pk_mul_f32 v[124:125], v[126:127], v[114:115] op_sel:[0,1]
	s_delay_alu instid0(VALU_DEP_1) | instskip(SKIP_1) | instid1(VALU_DEP_1)
	v_pk_fma_f32 v[128:129], v[126:127], v[116:117], v[124:125] op_sel:[0,0,1] op_sel_hi:[1,1,0] neg_lo:[0,0,1] neg_hi:[0,0,1]
	v_pk_fma_f32 v[124:125], v[126:127], v[116:117], v[124:125] op_sel:[0,0,1] op_sel_hi:[1,0,0]
	v_mov_b32_e32 v129, v125
	ds_load_2addr_b64 v[124:127], v118 offset0:38 offset1:39
	v_pk_add_f32 v[86:87], v[86:87], v[130:131] neg_lo:[0,1] neg_hi:[0,1]
	v_pk_add_f32 v[24:25], v[24:25], v[128:129] neg_lo:[0,1] neg_hi:[0,1]
	s_wait_dscnt 0x0
	v_pk_mul_f32 v[128:129], v[124:125], v[114:115] op_sel:[0,1]
	s_delay_alu instid0(VALU_DEP_1) | instskip(SKIP_2) | instid1(VALU_DEP_2)
	v_pk_fma_f32 v[130:131], v[124:125], v[116:117], v[128:129] op_sel:[0,0,1] op_sel_hi:[1,1,0] neg_lo:[0,0,1] neg_hi:[0,0,1]
	v_pk_fma_f32 v[124:125], v[124:125], v[116:117], v[128:129] op_sel:[0,0,1] op_sel_hi:[1,0,0]
	v_dual_mul_f32 v128, v127, v115 :: v_dual_mov_b32 v124, v127
	v_dual_mov_b32 v131, v125 :: v_dual_mov_b32 v125, v126
	s_delay_alu instid0(VALU_DEP_2) | instskip(SKIP_1) | instid1(VALU_DEP_3)
	v_pk_fma_f32 v[128:129], v[126:127], v[30:31], v[128:129] op_sel_hi:[1,1,0] neg_lo:[0,0,1] neg_hi:[0,0,1]
	v_mul_f32_e32 v126, v127, v116
	v_pk_add_f32 v[26:27], v[26:27], v[130:131] neg_lo:[0,1] neg_hi:[0,1]
	s_delay_alu instid0(VALU_DEP_2) | instskip(NEXT) | instid1(VALU_DEP_1)
	v_pk_fma_f32 v[124:125], v[124:125], v[30:31], v[126:127] op_sel_hi:[1,1,0]
	v_mov_b32_e32 v129, v125
	ds_load_2addr_b64 v[124:127], v118 offset0:40 offset1:41
	v_pk_add_f32 v[22:23], v[22:23], v[128:129] neg_lo:[0,1] neg_hi:[0,1]
	s_wait_dscnt 0x0
	v_pk_mul_f32 v[128:129], v[124:125], v[114:115] op_sel:[0,1]
	s_delay_alu instid0(VALU_DEP_1) | instskip(SKIP_1) | instid1(VALU_DEP_1)
	v_pk_fma_f32 v[130:131], v[124:125], v[116:117], v[128:129] op_sel:[0,0,1] op_sel_hi:[1,1,0] neg_lo:[0,0,1] neg_hi:[0,0,1]
	v_pk_fma_f32 v[124:125], v[124:125], v[116:117], v[128:129] op_sel:[0,0,1] op_sel_hi:[1,0,0]
	v_mov_b32_e32 v131, v125
	v_pk_mul_f32 v[124:125], v[126:127], v[114:115] op_sel:[0,1]
	s_delay_alu instid0(VALU_DEP_1) | instskip(SKIP_1) | instid1(VALU_DEP_1)
	v_pk_fma_f32 v[128:129], v[126:127], v[116:117], v[124:125] op_sel:[0,0,1] op_sel_hi:[1,1,0] neg_lo:[0,0,1] neg_hi:[0,0,1]
	v_pk_fma_f32 v[124:125], v[126:127], v[116:117], v[124:125] op_sel:[0,0,1] op_sel_hi:[1,0,0]
	v_mov_b32_e32 v129, v125
	ds_load_2addr_b64 v[124:127], v118 offset0:42 offset1:43
	v_pk_add_f32 v[84:85], v[84:85], v[130:131] neg_lo:[0,1] neg_hi:[0,1]
	v_pk_add_f32 v[18:19], v[18:19], v[128:129] neg_lo:[0,1] neg_hi:[0,1]
	s_wait_dscnt 0x0
	v_pk_mul_f32 v[128:129], v[124:125], v[114:115] op_sel:[0,1]
	s_delay_alu instid0(VALU_DEP_1) | instskip(SKIP_1) | instid1(VALU_DEP_1)
	v_pk_fma_f32 v[130:131], v[124:125], v[116:117], v[128:129] op_sel:[0,0,1] op_sel_hi:[1,1,0] neg_lo:[0,0,1] neg_hi:[0,0,1]
	v_pk_fma_f32 v[124:125], v[124:125], v[116:117], v[128:129] op_sel:[0,0,1] op_sel_hi:[1,0,0]
	v_mov_b32_e32 v131, v125
	v_pk_mul_f32 v[124:125], v[126:127], v[114:115] op_sel:[0,1]
	s_delay_alu instid0(VALU_DEP_1) | instskip(SKIP_1) | instid1(VALU_DEP_1)
	v_pk_fma_f32 v[128:129], v[126:127], v[116:117], v[124:125] op_sel:[0,0,1] op_sel_hi:[1,1,0] neg_lo:[0,0,1] neg_hi:[0,0,1]
	v_pk_fma_f32 v[124:125], v[126:127], v[116:117], v[124:125] op_sel:[0,0,1] op_sel_hi:[1,0,0]
	v_mov_b32_e32 v129, v125
	ds_load_2addr_b64 v[124:127], v118 offset0:44 offset1:45
	v_pk_add_f32 v[20:21], v[20:21], v[130:131] neg_lo:[0,1] neg_hi:[0,1]
	v_pk_add_f32 v[16:17], v[16:17], v[128:129] neg_lo:[0,1] neg_hi:[0,1]
	s_wait_dscnt 0x0
	v_dual_mul_f32 v128, v125, v115 :: v_dual_mul_f32 v130, v125, v116
	s_delay_alu instid0(VALU_DEP_1) | instskip(NEXT) | instid1(VALU_DEP_2)
	v_pk_fma_f32 v[128:129], v[124:125], v[30:31], v[128:129] op_sel_hi:[1,1,0] neg_lo:[0,0,1] neg_hi:[0,0,1]
	v_pk_fma_f32 v[124:125], v[124:125], v[30:31], v[130:131] op_sel:[1,0,0] op_sel_hi:[0,1,0]
	s_delay_alu instid0(VALU_DEP_1) | instskip(SKIP_1) | instid1(VALU_DEP_2)
	v_mov_b32_e32 v129, v125
	v_pk_mul_f32 v[124:125], v[126:127], v[114:115] op_sel:[0,1]
	v_pk_add_f32 v[82:83], v[82:83], v[128:129] neg_lo:[0,1] neg_hi:[0,1]
	s_delay_alu instid0(VALU_DEP_2) | instskip(SKIP_1) | instid1(VALU_DEP_1)
	v_pk_fma_f32 v[128:129], v[126:127], v[116:117], v[124:125] op_sel:[0,0,1] op_sel_hi:[1,1,0] neg_lo:[0,0,1] neg_hi:[0,0,1]
	v_pk_fma_f32 v[124:125], v[126:127], v[116:117], v[124:125] op_sel:[0,0,1] op_sel_hi:[1,0,0]
	v_mov_b32_e32 v129, v125
	ds_load_2addr_b64 v[124:127], v118 offset0:46 offset1:47
	v_pk_add_f32 v[10:11], v[10:11], v[128:129] neg_lo:[0,1] neg_hi:[0,1]
	s_wait_dscnt 0x0
	v_pk_mul_f32 v[128:129], v[124:125], v[114:115] op_sel:[0,1]
	s_delay_alu instid0(VALU_DEP_1) | instskip(SKIP_1) | instid1(VALU_DEP_1)
	v_pk_fma_f32 v[130:131], v[124:125], v[116:117], v[128:129] op_sel:[0,0,1] op_sel_hi:[1,1,0] neg_lo:[0,0,1] neg_hi:[0,0,1]
	v_pk_fma_f32 v[124:125], v[124:125], v[116:117], v[128:129] op_sel:[0,0,1] op_sel_hi:[1,0,0]
	v_mov_b32_e32 v131, v125
	v_pk_mul_f32 v[124:125], v[126:127], v[114:115] op_sel:[0,1]
	s_delay_alu instid0(VALU_DEP_2) | instskip(NEXT) | instid1(VALU_DEP_2)
	v_pk_add_f32 v[12:13], v[12:13], v[130:131] neg_lo:[0,1] neg_hi:[0,1]
	v_pk_fma_f32 v[128:129], v[126:127], v[116:117], v[124:125] op_sel:[0,0,1] op_sel_hi:[1,1,0] neg_lo:[0,0,1] neg_hi:[0,0,1]
	v_pk_fma_f32 v[124:125], v[126:127], v[116:117], v[124:125] op_sel:[0,0,1] op_sel_hi:[1,0,0]
	s_delay_alu instid0(VALU_DEP_1) | instskip(SKIP_4) | instid1(VALU_DEP_1)
	v_mov_b32_e32 v129, v125
	ds_load_2addr_b64 v[124:127], v118 offset0:48 offset1:49
	v_pk_add_f32 v[8:9], v[8:9], v[128:129] neg_lo:[0,1] neg_hi:[0,1]
	s_wait_dscnt 0x0
	v_pk_mul_f32 v[128:129], v[124:125], v[114:115] op_sel:[0,1]
	v_pk_fma_f32 v[130:131], v[124:125], v[116:117], v[128:129] op_sel:[0,0,1] op_sel_hi:[1,1,0] neg_lo:[0,0,1] neg_hi:[0,0,1]
	v_pk_fma_f32 v[124:125], v[124:125], v[116:117], v[128:129] op_sel:[0,0,1] op_sel_hi:[1,0,0]
	v_dual_mul_f32 v128, v127, v115 :: v_dual_mov_b32 v124, v127
	s_delay_alu instid0(VALU_DEP_2) | instskip(NEXT) | instid1(VALU_DEP_2)
	v_dual_mov_b32 v131, v125 :: v_dual_mov_b32 v125, v126
	v_pk_fma_f32 v[128:129], v[126:127], v[30:31], v[128:129] op_sel_hi:[1,1,0] neg_lo:[0,0,1] neg_hi:[0,0,1]
	v_mul_f32_e32 v126, v127, v116
	s_delay_alu instid0(VALU_DEP_3) | instskip(NEXT) | instid1(VALU_DEP_2)
	v_pk_add_f32 v[66:67], v[66:67], v[130:131] neg_lo:[0,1] neg_hi:[0,1]
	v_pk_fma_f32 v[124:125], v[124:125], v[30:31], v[126:127] op_sel_hi:[1,1,0]
	s_delay_alu instid0(VALU_DEP_1) | instskip(SKIP_4) | instid1(VALU_DEP_1)
	v_mov_b32_e32 v129, v125
	ds_load_2addr_b64 v[124:127], v118 offset0:50 offset1:51
	v_pk_add_f32 v[6:7], v[6:7], v[128:129] neg_lo:[0,1] neg_hi:[0,1]
	s_wait_dscnt 0x0
	v_pk_mul_f32 v[128:129], v[124:125], v[114:115] op_sel:[0,1]
	v_pk_fma_f32 v[130:131], v[124:125], v[116:117], v[128:129] op_sel:[0,0,1] op_sel_hi:[1,1,0] neg_lo:[0,0,1] neg_hi:[0,0,1]
	v_pk_fma_f32 v[124:125], v[124:125], v[116:117], v[128:129] op_sel:[0,0,1] op_sel_hi:[1,0,0]
	s_delay_alu instid0(VALU_DEP_1) | instskip(SKIP_1) | instid1(VALU_DEP_1)
	v_mov_b32_e32 v131, v125
	v_pk_mul_f32 v[124:125], v[126:127], v[114:115] op_sel:[0,1]
	v_pk_fma_f32 v[128:129], v[126:127], v[116:117], v[124:125] op_sel:[0,0,1] op_sel_hi:[1,1,0] neg_lo:[0,0,1] neg_hi:[0,0,1]
	v_pk_fma_f32 v[124:125], v[126:127], v[116:117], v[124:125] op_sel:[0,0,1] op_sel_hi:[1,0,0]
	s_delay_alu instid0(VALU_DEP_1)
	v_mov_b32_e32 v129, v125
	ds_load_2addr_b64 v[124:127], v118 offset0:52 offset1:53
	v_pk_add_f32 v[46:47], v[46:47], v[130:131] neg_lo:[0,1] neg_hi:[0,1]
	v_pk_add_f32 v[28:29], v[28:29], v[128:129] neg_lo:[0,1] neg_hi:[0,1]
	s_wait_dscnt 0x0
	v_pk_mul_f32 v[128:129], v[124:125], v[114:115] op_sel:[0,1]
	v_mul_f32_e32 v114, v127, v115
	s_delay_alu instid0(VALU_DEP_2) | instskip(SKIP_2) | instid1(VALU_DEP_4)
	v_pk_fma_f32 v[130:131], v[124:125], v[116:117], v[128:129] op_sel:[0,0,1] op_sel_hi:[1,1,0] neg_lo:[0,0,1] neg_hi:[0,0,1]
	v_pk_fma_f32 v[124:125], v[124:125], v[116:117], v[128:129] op_sel:[0,0,1] op_sel_hi:[1,0,0]
	v_dual_mov_b32 v124, v127 :: v_dual_mul_f32 v116, v127, v116
	v_pk_fma_f32 v[114:115], v[126:127], v[30:31], v[114:115] op_sel_hi:[1,1,0] neg_lo:[0,0,1] neg_hi:[0,0,1]
	s_delay_alu instid0(VALU_DEP_3) | instskip(NEXT) | instid1(VALU_DEP_1)
	v_dual_mov_b32 v131, v125 :: v_dual_mov_b32 v125, v126
	v_pk_add_f32 v[14:15], v[14:15], v[130:131] neg_lo:[0,1] neg_hi:[0,1]
	s_delay_alu instid0(VALU_DEP_2) | instskip(NEXT) | instid1(VALU_DEP_1)
	v_pk_fma_f32 v[116:117], v[124:125], v[30:31], v[116:117] op_sel_hi:[1,1,0]
	v_mov_b32_e32 v115, v117
	s_delay_alu instid0(VALU_DEP_1)
	v_pk_add_f32 v[112:113], v[112:113], v[114:115] neg_lo:[0,1] neg_hi:[0,1]
.LBB106_755:
	s_or_b32 exec_lo, exec_lo, s0
	v_lshl_add_u32 v114, v122, 3, v118
	s_barrier_signal -1
	s_barrier_wait -1
	ds_store_b64 v114, v[86:87]
	s_wait_dscnt 0x0
	s_barrier_signal -1
	s_barrier_wait -1
	ds_load_b64 v[114:115], v118 offset:288
	v_mov_b32_e32 v116, 36
	s_cmp_lt_i32 s18, 38
	s_cbranch_scc1 .LBB106_758
; %bb.756:
	v_add3_u32 v117, v119, 0, 0x128
	v_mov_b32_e32 v116, 36
	s_mov_b32 s0, 37
.LBB106_757:                            ; =>This Inner Loop Header: Depth=1
	ds_load_b64 v[124:125], v117
	s_wait_dscnt 0x1
	v_cmp_gt_f32_e32 vcc_lo, 0, v114
	v_cndmask_b32_e64 v126, v114, -v114, vcc_lo
	v_cmp_gt_f32_e32 vcc_lo, 0, v115
	v_cndmask_b32_e64 v128, v115, -v115, vcc_lo
	s_wait_dscnt 0x0
	v_cmp_gt_f32_e32 vcc_lo, 0, v124
	v_cndmask_b32_e64 v127, v124, -v124, vcc_lo
	v_cmp_gt_f32_e32 vcc_lo, 0, v125
	v_cndmask_b32_e64 v129, v125, -v125, vcc_lo
	s_delay_alu instid0(VALU_DEP_1) | instskip(NEXT) | instid1(VALU_DEP_1)
	v_pk_add_f32 v[126:127], v[126:127], v[128:129]
	v_cmp_lt_f32_e32 vcc_lo, v126, v127
	v_dual_cndmask_b32 v114, v114, v124 :: v_dual_add_nc_u32 v117, 8, v117
	v_cndmask_b32_e32 v115, v115, v125, vcc_lo
	v_cndmask_b32_e64 v116, v116, s0, vcc_lo
	s_add_co_i32 s0, s0, 1
	s_delay_alu instid0(SALU_CYCLE_1)
	s_cmp_lg_u32 s18, s0
	s_cbranch_scc1 .LBB106_757
.LBB106_758:
	s_wait_dscnt 0x0
	v_cmp_eq_f32_e32 vcc_lo, 0, v114
	v_cmp_eq_f32_e64 s0, 0, v115
	s_and_b32 s0, vcc_lo, s0
	s_delay_alu instid0(SALU_CYCLE_1) | instskip(NEXT) | instid1(SALU_CYCLE_1)
	s_and_saveexec_b32 s1, s0
	s_xor_b32 s0, exec_lo, s1
; %bb.759:
	v_cmp_ne_u32_e32 vcc_lo, 0, v120
	v_cndmask_b32_e32 v120, 37, v120, vcc_lo
; %bb.760:
	s_and_not1_saveexec_b32 s0, s0
	s_cbranch_execz .LBB106_766
; %bb.761:
	v_cmp_ngt_f32_e64 s1, |v114|, |v115|
	s_and_saveexec_b32 s12, s1
	s_delay_alu instid0(SALU_CYCLE_1)
	s_xor_b32 s1, exec_lo, s12
	s_cbranch_execz .LBB106_763
; %bb.762:
	v_div_scale_f32 v117, null, v115, v115, v114
	v_div_scale_f32 v125, vcc_lo, v114, v115, v114
	s_delay_alu instid0(VALU_DEP_2) | instskip(SKIP_1) | instid1(TRANS32_DEP_1)
	v_rcp_f32_e32 v123, v117
	v_nop
	v_fma_f32 v124, -v117, v123, 1.0
	s_delay_alu instid0(VALU_DEP_1) | instskip(NEXT) | instid1(VALU_DEP_1)
	v_fmac_f32_e32 v123, v124, v123
	v_mul_f32_e32 v124, v125, v123
	s_delay_alu instid0(VALU_DEP_1) | instskip(NEXT) | instid1(VALU_DEP_1)
	v_fma_f32 v126, -v117, v124, v125
	v_fmac_f32_e32 v124, v126, v123
	s_delay_alu instid0(VALU_DEP_1) | instskip(NEXT) | instid1(VALU_DEP_1)
	v_fma_f32 v117, -v117, v124, v125
	v_div_fmas_f32 v117, v117, v123, v124
	s_delay_alu instid0(VALU_DEP_1) | instskip(NEXT) | instid1(VALU_DEP_1)
	v_div_fixup_f32 v117, v117, v115, v114
	v_fmac_f32_e32 v115, v114, v117
	s_delay_alu instid0(VALU_DEP_1) | instskip(SKIP_1) | instid1(VALU_DEP_2)
	v_div_scale_f32 v114, null, v115, v115, 1.0
	v_div_scale_f32 v125, vcc_lo, 1.0, v115, 1.0
	v_rcp_f32_e32 v123, v114
	v_nop
	s_delay_alu instid0(TRANS32_DEP_1) | instskip(NEXT) | instid1(VALU_DEP_1)
	v_fma_f32 v124, -v114, v123, 1.0
	v_fmac_f32_e32 v123, v124, v123
	s_delay_alu instid0(VALU_DEP_1) | instskip(NEXT) | instid1(VALU_DEP_1)
	v_mul_f32_e32 v124, v125, v123
	v_fma_f32 v126, -v114, v124, v125
	s_delay_alu instid0(VALU_DEP_1) | instskip(NEXT) | instid1(VALU_DEP_1)
	v_fmac_f32_e32 v124, v126, v123
	v_fma_f32 v114, -v114, v124, v125
	s_delay_alu instid0(VALU_DEP_1) | instskip(NEXT) | instid1(VALU_DEP_1)
	v_div_fmas_f32 v114, v114, v123, v124
	v_div_fixup_f32 v115, v114, v115, 1.0
	s_delay_alu instid0(VALU_DEP_1)
	v_mul_f32_e32 v114, v117, v115
	v_xor_b32_e32 v115, 0x80000000, v115
.LBB106_763:
	s_and_not1_saveexec_b32 s1, s1
	s_cbranch_execz .LBB106_765
; %bb.764:
	s_delay_alu instid0(VALU_DEP_1) | instskip(SKIP_1) | instid1(VALU_DEP_2)
	v_div_scale_f32 v117, null, v114, v114, v115
	v_div_scale_f32 v125, vcc_lo, v115, v114, v115
	v_rcp_f32_e32 v123, v117
	v_nop
	s_delay_alu instid0(TRANS32_DEP_1) | instskip(NEXT) | instid1(VALU_DEP_1)
	v_fma_f32 v124, -v117, v123, 1.0
	v_fmac_f32_e32 v123, v124, v123
	s_delay_alu instid0(VALU_DEP_1) | instskip(NEXT) | instid1(VALU_DEP_1)
	v_mul_f32_e32 v124, v125, v123
	v_fma_f32 v126, -v117, v124, v125
	s_delay_alu instid0(VALU_DEP_1) | instskip(NEXT) | instid1(VALU_DEP_1)
	v_fmac_f32_e32 v124, v126, v123
	v_fma_f32 v117, -v117, v124, v125
	s_delay_alu instid0(VALU_DEP_1) | instskip(NEXT) | instid1(VALU_DEP_1)
	v_div_fmas_f32 v117, v117, v123, v124
	v_div_fixup_f32 v117, v117, v114, v115
	s_delay_alu instid0(VALU_DEP_1) | instskip(NEXT) | instid1(VALU_DEP_1)
	v_fmac_f32_e32 v114, v115, v117
	v_div_scale_f32 v115, null, v114, v114, 1.0
	s_delay_alu instid0(VALU_DEP_1) | instskip(SKIP_1) | instid1(TRANS32_DEP_1)
	v_rcp_f32_e32 v123, v115
	v_nop
	v_fma_f32 v124, -v115, v123, 1.0
	s_delay_alu instid0(VALU_DEP_1) | instskip(SKIP_1) | instid1(VALU_DEP_1)
	v_fmac_f32_e32 v123, v124, v123
	v_div_scale_f32 v124, vcc_lo, 1.0, v114, 1.0
	v_mul_f32_e32 v125, v124, v123
	s_delay_alu instid0(VALU_DEP_1) | instskip(NEXT) | instid1(VALU_DEP_1)
	v_fma_f32 v126, -v115, v125, v124
	v_fmac_f32_e32 v125, v126, v123
	s_delay_alu instid0(VALU_DEP_1) | instskip(NEXT) | instid1(VALU_DEP_1)
	v_fma_f32 v115, -v115, v125, v124
	v_div_fmas_f32 v115, v115, v123, v125
	s_delay_alu instid0(VALU_DEP_1) | instskip(NEXT) | instid1(VALU_DEP_1)
	v_div_fixup_f32 v114, v115, v114, 1.0
	v_mul_f32_e64 v115, v117, -v114
.LBB106_765:
	s_or_b32 exec_lo, exec_lo, s1
.LBB106_766:
	s_delay_alu instid0(SALU_CYCLE_1) | instskip(NEXT) | instid1(SALU_CYCLE_1)
	s_or_b32 exec_lo, exec_lo, s0
	s_mov_b32 s0, exec_lo
	v_cmpx_ne_u32_e64 v122, v116
	s_xor_b32 s0, exec_lo, s0
	s_cbranch_execz .LBB106_772
; %bb.767:
	s_mov_b32 s1, exec_lo
	v_cmpx_eq_u32_e32 36, v122
	s_cbranch_execz .LBB106_771
; %bb.768:
	v_cmp_ne_u32_e32 vcc_lo, 36, v116
	s_xor_b32 s12, s16, -1
	s_delay_alu instid0(SALU_CYCLE_1) | instskip(NEXT) | instid1(SALU_CYCLE_1)
	s_and_b32 s13, s12, vcc_lo
	s_and_saveexec_b32 s12, s13
	s_cbranch_execz .LBB106_770
; %bb.769:
	v_ashrrev_i32_e32 v117, 31, v116
	s_delay_alu instid0(VALU_DEP_1)
	v_lshl_add_u64 v[122:123], v[116:117], 2, v[4:5]
	s_clause 0x1
	global_load_b32 v117, v[122:123], off
	global_load_b32 v121, v[4:5], off offset:144
	s_wait_loadcnt 0x1
	global_store_b32 v[4:5], v117, off offset:144
	s_wait_loadcnt 0x0
	global_store_b32 v[122:123], v121, off
.LBB106_770:
	s_wait_xcnt 0x0
	s_or_b32 exec_lo, exec_lo, s12
	v_dual_mov_b32 v122, v116 :: v_dual_mov_b32 v121, v116
.LBB106_771:
	s_or_b32 exec_lo, exec_lo, s1
.LBB106_772:
	s_and_not1_saveexec_b32 s0, s0
	s_cbranch_execz .LBB106_774
; %bb.773:
	v_mov_b32_e32 v122, 36
	ds_store_2addr_b64 v118, v[24:25], v[26:27] offset0:37 offset1:38
	ds_store_2addr_b64 v118, v[22:23], v[84:85] offset0:39 offset1:40
	;; [unrolled: 1-line block ×8, first 2 shown]
	ds_store_b64 v118, v[112:113] offset:424
.LBB106_774:
	s_or_b32 exec_lo, exec_lo, s0
	s_delay_alu instid0(SALU_CYCLE_1)
	s_mov_b32 s0, exec_lo
	s_wait_storecnt_dscnt 0x0
	s_barrier_signal -1
	s_barrier_wait -1
	v_cmpx_lt_i32_e32 36, v122
	s_cbranch_execz .LBB106_776
; %bb.775:
	v_pk_mul_f32 v[124:125], v[114:115], v[86:87] op_sel:[1,1] op_sel_hi:[0,1]
	s_delay_alu instid0(VALU_DEP_1)
	v_pk_fma_f32 v[116:117], v[114:115], v[86:87], v[124:125] op_sel_hi:[1,0,1] neg_lo:[0,0,1] neg_hi:[0,0,1]
	v_pk_fma_f32 v[114:115], v[114:115], v[86:87], v[124:125] op_sel_hi:[1,0,1]
	ds_load_2addr_b64 v[124:127], v118 offset0:37 offset1:38
	v_dual_mov_b32 v86, v116 :: v_dual_mov_b32 v87, v115
	s_wait_dscnt 0x0
	v_pk_mul_f32 v[128:129], v[124:125], v[114:115] op_sel:[0,1]
	s_delay_alu instid0(VALU_DEP_1) | instskip(SKIP_1) | instid1(VALU_DEP_1)
	v_pk_fma_f32 v[130:131], v[124:125], v[116:117], v[128:129] op_sel:[0,0,1] op_sel_hi:[1,1,0] neg_lo:[0,0,1] neg_hi:[0,0,1]
	v_pk_fma_f32 v[124:125], v[124:125], v[116:117], v[128:129] op_sel:[0,0,1] op_sel_hi:[1,0,0]
	v_mov_b32_e32 v131, v125
	v_pk_mul_f32 v[124:125], v[126:127], v[114:115] op_sel:[0,1]
	s_delay_alu instid0(VALU_DEP_1) | instskip(SKIP_1) | instid1(VALU_DEP_1)
	v_pk_fma_f32 v[128:129], v[126:127], v[116:117], v[124:125] op_sel:[0,0,1] op_sel_hi:[1,1,0] neg_lo:[0,0,1] neg_hi:[0,0,1]
	v_pk_fma_f32 v[124:125], v[126:127], v[116:117], v[124:125] op_sel:[0,0,1] op_sel_hi:[1,0,0]
	v_mov_b32_e32 v129, v125
	ds_load_2addr_b64 v[124:127], v118 offset0:39 offset1:40
	v_pk_add_f32 v[24:25], v[24:25], v[130:131] neg_lo:[0,1] neg_hi:[0,1]
	v_pk_add_f32 v[26:27], v[26:27], v[128:129] neg_lo:[0,1] neg_hi:[0,1]
	s_wait_dscnt 0x0
	v_pk_mul_f32 v[128:129], v[124:125], v[114:115] op_sel:[0,1]
	s_delay_alu instid0(VALU_DEP_1) | instskip(SKIP_2) | instid1(VALU_DEP_2)
	v_pk_fma_f32 v[130:131], v[124:125], v[116:117], v[128:129] op_sel:[0,0,1] op_sel_hi:[1,1,0] neg_lo:[0,0,1] neg_hi:[0,0,1]
	v_pk_fma_f32 v[124:125], v[124:125], v[116:117], v[128:129] op_sel:[0,0,1] op_sel_hi:[1,0,0]
	v_dual_mul_f32 v128, v127, v115 :: v_dual_mov_b32 v124, v127
	v_dual_mov_b32 v131, v125 :: v_dual_mov_b32 v125, v126
	s_delay_alu instid0(VALU_DEP_2) | instskip(SKIP_1) | instid1(VALU_DEP_3)
	v_pk_fma_f32 v[128:129], v[126:127], v[86:87], v[128:129] op_sel_hi:[1,1,0] neg_lo:[0,0,1] neg_hi:[0,0,1]
	v_mul_f32_e32 v126, v127, v116
	v_pk_add_f32 v[22:23], v[22:23], v[130:131] neg_lo:[0,1] neg_hi:[0,1]
	s_delay_alu instid0(VALU_DEP_2) | instskip(NEXT) | instid1(VALU_DEP_1)
	v_pk_fma_f32 v[124:125], v[124:125], v[86:87], v[126:127] op_sel_hi:[1,1,0]
	v_mov_b32_e32 v129, v125
	ds_load_2addr_b64 v[124:127], v118 offset0:41 offset1:42
	v_pk_add_f32 v[84:85], v[84:85], v[128:129] neg_lo:[0,1] neg_hi:[0,1]
	s_wait_dscnt 0x0
	v_pk_mul_f32 v[128:129], v[124:125], v[114:115] op_sel:[0,1]
	s_delay_alu instid0(VALU_DEP_1) | instskip(SKIP_1) | instid1(VALU_DEP_1)
	v_pk_fma_f32 v[130:131], v[124:125], v[116:117], v[128:129] op_sel:[0,0,1] op_sel_hi:[1,1,0] neg_lo:[0,0,1] neg_hi:[0,0,1]
	v_pk_fma_f32 v[124:125], v[124:125], v[116:117], v[128:129] op_sel:[0,0,1] op_sel_hi:[1,0,0]
	v_mov_b32_e32 v131, v125
	v_pk_mul_f32 v[124:125], v[126:127], v[114:115] op_sel:[0,1]
	s_delay_alu instid0(VALU_DEP_1) | instskip(SKIP_1) | instid1(VALU_DEP_1)
	v_pk_fma_f32 v[128:129], v[126:127], v[116:117], v[124:125] op_sel:[0,0,1] op_sel_hi:[1,1,0] neg_lo:[0,0,1] neg_hi:[0,0,1]
	v_pk_fma_f32 v[124:125], v[126:127], v[116:117], v[124:125] op_sel:[0,0,1] op_sel_hi:[1,0,0]
	v_mov_b32_e32 v129, v125
	ds_load_2addr_b64 v[124:127], v118 offset0:43 offset1:44
	v_pk_add_f32 v[18:19], v[18:19], v[130:131] neg_lo:[0,1] neg_hi:[0,1]
	v_pk_add_f32 v[20:21], v[20:21], v[128:129] neg_lo:[0,1] neg_hi:[0,1]
	s_wait_dscnt 0x0
	v_pk_mul_f32 v[128:129], v[124:125], v[114:115] op_sel:[0,1]
	s_delay_alu instid0(VALU_DEP_1) | instskip(SKIP_1) | instid1(VALU_DEP_1)
	v_pk_fma_f32 v[130:131], v[124:125], v[116:117], v[128:129] op_sel:[0,0,1] op_sel_hi:[1,1,0] neg_lo:[0,0,1] neg_hi:[0,0,1]
	v_pk_fma_f32 v[124:125], v[124:125], v[116:117], v[128:129] op_sel:[0,0,1] op_sel_hi:[1,0,0]
	v_mov_b32_e32 v131, v125
	v_pk_mul_f32 v[124:125], v[126:127], v[114:115] op_sel:[0,1]
	s_delay_alu instid0(VALU_DEP_1) | instskip(SKIP_1) | instid1(VALU_DEP_1)
	v_pk_fma_f32 v[128:129], v[126:127], v[116:117], v[124:125] op_sel:[0,0,1] op_sel_hi:[1,1,0] neg_lo:[0,0,1] neg_hi:[0,0,1]
	v_pk_fma_f32 v[124:125], v[126:127], v[116:117], v[124:125] op_sel:[0,0,1] op_sel_hi:[1,0,0]
	v_mov_b32_e32 v129, v125
	ds_load_2addr_b64 v[124:127], v118 offset0:45 offset1:46
	v_pk_add_f32 v[16:17], v[16:17], v[130:131] neg_lo:[0,1] neg_hi:[0,1]
	v_pk_add_f32 v[82:83], v[82:83], v[128:129] neg_lo:[0,1] neg_hi:[0,1]
	s_wait_dscnt 0x0
	v_dual_mul_f32 v128, v125, v115 :: v_dual_mul_f32 v130, v125, v116
	s_delay_alu instid0(VALU_DEP_1) | instskip(NEXT) | instid1(VALU_DEP_2)
	v_pk_fma_f32 v[128:129], v[124:125], v[86:87], v[128:129] op_sel_hi:[1,1,0] neg_lo:[0,0,1] neg_hi:[0,0,1]
	v_pk_fma_f32 v[124:125], v[124:125], v[86:87], v[130:131] op_sel:[1,0,0] op_sel_hi:[0,1,0]
	s_delay_alu instid0(VALU_DEP_1) | instskip(SKIP_1) | instid1(VALU_DEP_2)
	v_mov_b32_e32 v129, v125
	v_pk_mul_f32 v[124:125], v[126:127], v[114:115] op_sel:[0,1]
	v_pk_add_f32 v[10:11], v[10:11], v[128:129] neg_lo:[0,1] neg_hi:[0,1]
	s_delay_alu instid0(VALU_DEP_2) | instskip(SKIP_1) | instid1(VALU_DEP_1)
	v_pk_fma_f32 v[128:129], v[126:127], v[116:117], v[124:125] op_sel:[0,0,1] op_sel_hi:[1,1,0] neg_lo:[0,0,1] neg_hi:[0,0,1]
	v_pk_fma_f32 v[124:125], v[126:127], v[116:117], v[124:125] op_sel:[0,0,1] op_sel_hi:[1,0,0]
	v_mov_b32_e32 v129, v125
	ds_load_2addr_b64 v[124:127], v118 offset0:47 offset1:48
	v_pk_add_f32 v[12:13], v[12:13], v[128:129] neg_lo:[0,1] neg_hi:[0,1]
	s_wait_dscnt 0x0
	v_pk_mul_f32 v[128:129], v[124:125], v[114:115] op_sel:[0,1]
	s_delay_alu instid0(VALU_DEP_1) | instskip(SKIP_1) | instid1(VALU_DEP_1)
	v_pk_fma_f32 v[130:131], v[124:125], v[116:117], v[128:129] op_sel:[0,0,1] op_sel_hi:[1,1,0] neg_lo:[0,0,1] neg_hi:[0,0,1]
	v_pk_fma_f32 v[124:125], v[124:125], v[116:117], v[128:129] op_sel:[0,0,1] op_sel_hi:[1,0,0]
	v_mov_b32_e32 v131, v125
	v_pk_mul_f32 v[124:125], v[126:127], v[114:115] op_sel:[0,1]
	s_delay_alu instid0(VALU_DEP_2) | instskip(NEXT) | instid1(VALU_DEP_2)
	v_pk_add_f32 v[8:9], v[8:9], v[130:131] neg_lo:[0,1] neg_hi:[0,1]
	v_pk_fma_f32 v[128:129], v[126:127], v[116:117], v[124:125] op_sel:[0,0,1] op_sel_hi:[1,1,0] neg_lo:[0,0,1] neg_hi:[0,0,1]
	v_pk_fma_f32 v[124:125], v[126:127], v[116:117], v[124:125] op_sel:[0,0,1] op_sel_hi:[1,0,0]
	s_delay_alu instid0(VALU_DEP_1) | instskip(SKIP_4) | instid1(VALU_DEP_1)
	v_mov_b32_e32 v129, v125
	ds_load_2addr_b64 v[124:127], v118 offset0:49 offset1:50
	v_pk_add_f32 v[66:67], v[66:67], v[128:129] neg_lo:[0,1] neg_hi:[0,1]
	s_wait_dscnt 0x0
	v_pk_mul_f32 v[128:129], v[124:125], v[114:115] op_sel:[0,1]
	v_pk_fma_f32 v[130:131], v[124:125], v[116:117], v[128:129] op_sel:[0,0,1] op_sel_hi:[1,1,0] neg_lo:[0,0,1] neg_hi:[0,0,1]
	v_pk_fma_f32 v[124:125], v[124:125], v[116:117], v[128:129] op_sel:[0,0,1] op_sel_hi:[1,0,0]
	v_dual_mul_f32 v128, v127, v115 :: v_dual_mov_b32 v124, v127
	s_delay_alu instid0(VALU_DEP_2) | instskip(NEXT) | instid1(VALU_DEP_2)
	v_dual_mov_b32 v131, v125 :: v_dual_mov_b32 v125, v126
	v_pk_fma_f32 v[128:129], v[126:127], v[86:87], v[128:129] op_sel_hi:[1,1,0] neg_lo:[0,0,1] neg_hi:[0,0,1]
	v_mul_f32_e32 v126, v127, v116
	s_delay_alu instid0(VALU_DEP_3) | instskip(NEXT) | instid1(VALU_DEP_2)
	v_pk_add_f32 v[6:7], v[6:7], v[130:131] neg_lo:[0,1] neg_hi:[0,1]
	v_pk_fma_f32 v[124:125], v[124:125], v[86:87], v[126:127] op_sel_hi:[1,1,0]
	s_delay_alu instid0(VALU_DEP_1) | instskip(SKIP_4) | instid1(VALU_DEP_1)
	v_mov_b32_e32 v129, v125
	ds_load_2addr_b64 v[124:127], v118 offset0:51 offset1:52
	v_pk_add_f32 v[46:47], v[46:47], v[128:129] neg_lo:[0,1] neg_hi:[0,1]
	s_wait_dscnt 0x0
	v_pk_mul_f32 v[128:129], v[124:125], v[114:115] op_sel:[0,1]
	v_pk_fma_f32 v[130:131], v[124:125], v[116:117], v[128:129] op_sel:[0,0,1] op_sel_hi:[1,1,0] neg_lo:[0,0,1] neg_hi:[0,0,1]
	v_pk_fma_f32 v[124:125], v[124:125], v[116:117], v[128:129] op_sel:[0,0,1] op_sel_hi:[1,0,0]
	s_delay_alu instid0(VALU_DEP_1) | instskip(SKIP_1) | instid1(VALU_DEP_1)
	v_mov_b32_e32 v131, v125
	v_pk_mul_f32 v[124:125], v[126:127], v[114:115] op_sel:[0,1]
	v_pk_fma_f32 v[128:129], v[126:127], v[116:117], v[124:125] op_sel:[0,0,1] op_sel_hi:[1,1,0] neg_lo:[0,0,1] neg_hi:[0,0,1]
	v_pk_fma_f32 v[124:125], v[126:127], v[116:117], v[124:125] op_sel:[0,0,1] op_sel_hi:[1,0,0]
	s_delay_alu instid0(VALU_DEP_1)
	v_mov_b32_e32 v129, v125
	ds_load_b64 v[124:125], v118 offset:424
	v_pk_add_f32 v[28:29], v[28:29], v[130:131] neg_lo:[0,1] neg_hi:[0,1]
	v_pk_add_f32 v[14:15], v[14:15], v[128:129] neg_lo:[0,1] neg_hi:[0,1]
	s_wait_dscnt 0x0
	v_pk_mul_f32 v[114:115], v[124:125], v[114:115] op_sel:[0,1]
	s_delay_alu instid0(VALU_DEP_1) | instskip(SKIP_1) | instid1(VALU_DEP_1)
	v_pk_fma_f32 v[126:127], v[124:125], v[116:117], v[114:115] op_sel:[0,0,1] op_sel_hi:[1,1,0] neg_lo:[0,0,1] neg_hi:[0,0,1]
	v_pk_fma_f32 v[114:115], v[124:125], v[116:117], v[114:115] op_sel:[0,0,1] op_sel_hi:[1,0,0]
	v_mov_b32_e32 v127, v115
	s_delay_alu instid0(VALU_DEP_1)
	v_pk_add_f32 v[112:113], v[112:113], v[126:127] neg_lo:[0,1] neg_hi:[0,1]
.LBB106_776:
	s_or_b32 exec_lo, exec_lo, s0
	v_lshl_add_u32 v114, v122, 3, v118
	s_barrier_signal -1
	s_barrier_wait -1
	ds_store_b64 v114, v[24:25]
	s_wait_dscnt 0x0
	s_barrier_signal -1
	s_barrier_wait -1
	ds_load_b64 v[114:115], v118 offset:296
	v_mov_b32_e32 v116, 37
	s_cmp_lt_i32 s18, 39
	s_cbranch_scc1 .LBB106_779
; %bb.777:
	v_add3_u32 v117, v119, 0, 0x130
	v_mov_b32_e32 v116, 37
	s_mov_b32 s0, 38
.LBB106_778:                            ; =>This Inner Loop Header: Depth=1
	ds_load_b64 v[124:125], v117
	s_wait_dscnt 0x1
	v_cmp_gt_f32_e32 vcc_lo, 0, v114
	v_cndmask_b32_e64 v126, v114, -v114, vcc_lo
	v_cmp_gt_f32_e32 vcc_lo, 0, v115
	v_cndmask_b32_e64 v128, v115, -v115, vcc_lo
	s_wait_dscnt 0x0
	v_cmp_gt_f32_e32 vcc_lo, 0, v124
	v_cndmask_b32_e64 v127, v124, -v124, vcc_lo
	v_cmp_gt_f32_e32 vcc_lo, 0, v125
	v_cndmask_b32_e64 v129, v125, -v125, vcc_lo
	s_delay_alu instid0(VALU_DEP_1) | instskip(NEXT) | instid1(VALU_DEP_1)
	v_pk_add_f32 v[126:127], v[126:127], v[128:129]
	v_cmp_lt_f32_e32 vcc_lo, v126, v127
	v_dual_cndmask_b32 v114, v114, v124 :: v_dual_add_nc_u32 v117, 8, v117
	v_cndmask_b32_e32 v115, v115, v125, vcc_lo
	v_cndmask_b32_e64 v116, v116, s0, vcc_lo
	s_add_co_i32 s0, s0, 1
	s_delay_alu instid0(SALU_CYCLE_1)
	s_cmp_lg_u32 s18, s0
	s_cbranch_scc1 .LBB106_778
.LBB106_779:
	s_wait_dscnt 0x0
	v_cmp_eq_f32_e32 vcc_lo, 0, v114
	v_cmp_eq_f32_e64 s0, 0, v115
	s_and_b32 s0, vcc_lo, s0
	s_delay_alu instid0(SALU_CYCLE_1) | instskip(NEXT) | instid1(SALU_CYCLE_1)
	s_and_saveexec_b32 s1, s0
	s_xor_b32 s0, exec_lo, s1
; %bb.780:
	v_cmp_ne_u32_e32 vcc_lo, 0, v120
	v_cndmask_b32_e32 v120, 38, v120, vcc_lo
; %bb.781:
	s_and_not1_saveexec_b32 s0, s0
	s_cbranch_execz .LBB106_787
; %bb.782:
	v_cmp_ngt_f32_e64 s1, |v114|, |v115|
	s_and_saveexec_b32 s12, s1
	s_delay_alu instid0(SALU_CYCLE_1)
	s_xor_b32 s1, exec_lo, s12
	s_cbranch_execz .LBB106_784
; %bb.783:
	v_div_scale_f32 v117, null, v115, v115, v114
	v_div_scale_f32 v125, vcc_lo, v114, v115, v114
	s_delay_alu instid0(VALU_DEP_2) | instskip(SKIP_1) | instid1(TRANS32_DEP_1)
	v_rcp_f32_e32 v123, v117
	v_nop
	v_fma_f32 v124, -v117, v123, 1.0
	s_delay_alu instid0(VALU_DEP_1) | instskip(NEXT) | instid1(VALU_DEP_1)
	v_fmac_f32_e32 v123, v124, v123
	v_mul_f32_e32 v124, v125, v123
	s_delay_alu instid0(VALU_DEP_1) | instskip(NEXT) | instid1(VALU_DEP_1)
	v_fma_f32 v126, -v117, v124, v125
	v_fmac_f32_e32 v124, v126, v123
	s_delay_alu instid0(VALU_DEP_1) | instskip(NEXT) | instid1(VALU_DEP_1)
	v_fma_f32 v117, -v117, v124, v125
	v_div_fmas_f32 v117, v117, v123, v124
	s_delay_alu instid0(VALU_DEP_1) | instskip(NEXT) | instid1(VALU_DEP_1)
	v_div_fixup_f32 v117, v117, v115, v114
	v_fmac_f32_e32 v115, v114, v117
	s_delay_alu instid0(VALU_DEP_1) | instskip(SKIP_1) | instid1(VALU_DEP_2)
	v_div_scale_f32 v114, null, v115, v115, 1.0
	v_div_scale_f32 v125, vcc_lo, 1.0, v115, 1.0
	v_rcp_f32_e32 v123, v114
	v_nop
	s_delay_alu instid0(TRANS32_DEP_1) | instskip(NEXT) | instid1(VALU_DEP_1)
	v_fma_f32 v124, -v114, v123, 1.0
	v_fmac_f32_e32 v123, v124, v123
	s_delay_alu instid0(VALU_DEP_1) | instskip(NEXT) | instid1(VALU_DEP_1)
	v_mul_f32_e32 v124, v125, v123
	v_fma_f32 v126, -v114, v124, v125
	s_delay_alu instid0(VALU_DEP_1) | instskip(NEXT) | instid1(VALU_DEP_1)
	v_fmac_f32_e32 v124, v126, v123
	v_fma_f32 v114, -v114, v124, v125
	s_delay_alu instid0(VALU_DEP_1) | instskip(NEXT) | instid1(VALU_DEP_1)
	v_div_fmas_f32 v114, v114, v123, v124
	v_div_fixup_f32 v115, v114, v115, 1.0
	s_delay_alu instid0(VALU_DEP_1)
	v_mul_f32_e32 v114, v117, v115
	v_xor_b32_e32 v115, 0x80000000, v115
.LBB106_784:
	s_and_not1_saveexec_b32 s1, s1
	s_cbranch_execz .LBB106_786
; %bb.785:
	s_delay_alu instid0(VALU_DEP_1) | instskip(SKIP_1) | instid1(VALU_DEP_2)
	v_div_scale_f32 v117, null, v114, v114, v115
	v_div_scale_f32 v125, vcc_lo, v115, v114, v115
	v_rcp_f32_e32 v123, v117
	v_nop
	s_delay_alu instid0(TRANS32_DEP_1) | instskip(NEXT) | instid1(VALU_DEP_1)
	v_fma_f32 v124, -v117, v123, 1.0
	v_fmac_f32_e32 v123, v124, v123
	s_delay_alu instid0(VALU_DEP_1) | instskip(NEXT) | instid1(VALU_DEP_1)
	v_mul_f32_e32 v124, v125, v123
	v_fma_f32 v126, -v117, v124, v125
	s_delay_alu instid0(VALU_DEP_1) | instskip(NEXT) | instid1(VALU_DEP_1)
	v_fmac_f32_e32 v124, v126, v123
	v_fma_f32 v117, -v117, v124, v125
	s_delay_alu instid0(VALU_DEP_1) | instskip(NEXT) | instid1(VALU_DEP_1)
	v_div_fmas_f32 v117, v117, v123, v124
	v_div_fixup_f32 v117, v117, v114, v115
	s_delay_alu instid0(VALU_DEP_1) | instskip(NEXT) | instid1(VALU_DEP_1)
	v_fmac_f32_e32 v114, v115, v117
	v_div_scale_f32 v115, null, v114, v114, 1.0
	s_delay_alu instid0(VALU_DEP_1) | instskip(SKIP_1) | instid1(TRANS32_DEP_1)
	v_rcp_f32_e32 v123, v115
	v_nop
	v_fma_f32 v124, -v115, v123, 1.0
	s_delay_alu instid0(VALU_DEP_1) | instskip(SKIP_1) | instid1(VALU_DEP_1)
	v_fmac_f32_e32 v123, v124, v123
	v_div_scale_f32 v124, vcc_lo, 1.0, v114, 1.0
	v_mul_f32_e32 v125, v124, v123
	s_delay_alu instid0(VALU_DEP_1) | instskip(NEXT) | instid1(VALU_DEP_1)
	v_fma_f32 v126, -v115, v125, v124
	v_fmac_f32_e32 v125, v126, v123
	s_delay_alu instid0(VALU_DEP_1) | instskip(NEXT) | instid1(VALU_DEP_1)
	v_fma_f32 v115, -v115, v125, v124
	v_div_fmas_f32 v115, v115, v123, v125
	s_delay_alu instid0(VALU_DEP_1) | instskip(NEXT) | instid1(VALU_DEP_1)
	v_div_fixup_f32 v114, v115, v114, 1.0
	v_mul_f32_e64 v115, v117, -v114
.LBB106_786:
	s_or_b32 exec_lo, exec_lo, s1
.LBB106_787:
	s_delay_alu instid0(SALU_CYCLE_1) | instskip(NEXT) | instid1(SALU_CYCLE_1)
	s_or_b32 exec_lo, exec_lo, s0
	s_mov_b32 s0, exec_lo
	v_cmpx_ne_u32_e64 v122, v116
	s_xor_b32 s0, exec_lo, s0
	s_cbranch_execz .LBB106_793
; %bb.788:
	s_mov_b32 s1, exec_lo
	v_cmpx_eq_u32_e32 37, v122
	s_cbranch_execz .LBB106_792
; %bb.789:
	v_cmp_ne_u32_e32 vcc_lo, 37, v116
	s_xor_b32 s12, s16, -1
	s_delay_alu instid0(SALU_CYCLE_1) | instskip(NEXT) | instid1(SALU_CYCLE_1)
	s_and_b32 s13, s12, vcc_lo
	s_and_saveexec_b32 s12, s13
	s_cbranch_execz .LBB106_791
; %bb.790:
	v_ashrrev_i32_e32 v117, 31, v116
	s_delay_alu instid0(VALU_DEP_1)
	v_lshl_add_u64 v[122:123], v[116:117], 2, v[4:5]
	s_clause 0x1
	global_load_b32 v117, v[122:123], off
	global_load_b32 v121, v[4:5], off offset:148
	s_wait_loadcnt 0x1
	global_store_b32 v[4:5], v117, off offset:148
	s_wait_loadcnt 0x0
	global_store_b32 v[122:123], v121, off
.LBB106_791:
	s_wait_xcnt 0x0
	s_or_b32 exec_lo, exec_lo, s12
	v_dual_mov_b32 v122, v116 :: v_dual_mov_b32 v121, v116
.LBB106_792:
	s_or_b32 exec_lo, exec_lo, s1
.LBB106_793:
	s_and_not1_saveexec_b32 s0, s0
	s_cbranch_execz .LBB106_795
; %bb.794:
	v_dual_mov_b32 v116, v26 :: v_dual_mov_b32 v117, v27
	v_dual_mov_b32 v122, v22 :: v_dual_mov_b32 v123, v23
	;; [unrolled: 1-line block ×8, first 2 shown]
	ds_store_2addr_b64 v118, v[116:117], v[122:123] offset0:38 offset1:39
	ds_store_2addr_b64 v118, v[124:125], v[126:127] offset0:40 offset1:41
	ds_store_2addr_b64 v118, v[128:129], v[130:131] offset0:42 offset1:43
	ds_store_2addr_b64 v118, v[132:133], v[134:135] offset0:44 offset1:45
	v_dual_mov_b32 v116, v12 :: v_dual_mov_b32 v117, v13
	v_dual_mov_b32 v124, v8 :: v_dual_mov_b32 v125, v9
	v_dual_mov_b32 v122, 37 :: v_dual_mov_b32 v126, v66
	v_dual_mov_b32 v127, v67 :: v_dual_mov_b32 v128, v6
	v_dual_mov_b32 v129, v7 :: v_dual_mov_b32 v130, v46
	v_dual_mov_b32 v131, v47 :: v_dual_mov_b32 v132, v28
	v_dual_mov_b32 v133, v29 :: v_dual_mov_b32 v134, v14
	v_mov_b32_e32 v135, v15
	ds_store_2addr_b64 v118, v[116:117], v[124:125] offset0:46 offset1:47
	ds_store_2addr_b64 v118, v[126:127], v[128:129] offset0:48 offset1:49
	;; [unrolled: 1-line block ×4, first 2 shown]
.LBB106_795:
	s_or_b32 exec_lo, exec_lo, s0
	s_delay_alu instid0(SALU_CYCLE_1)
	s_mov_b32 s0, exec_lo
	s_wait_storecnt_dscnt 0x0
	s_barrier_signal -1
	s_barrier_wait -1
	v_cmpx_lt_i32_e32 37, v122
	s_cbranch_execz .LBB106_797
; %bb.796:
	v_pk_mul_f32 v[124:125], v[114:115], v[24:25] op_sel:[1,1] op_sel_hi:[0,1]
	s_delay_alu instid0(VALU_DEP_1)
	v_pk_fma_f32 v[116:117], v[114:115], v[24:25], v[124:125] op_sel_hi:[1,0,1] neg_lo:[0,0,1] neg_hi:[0,0,1]
	v_pk_fma_f32 v[114:115], v[114:115], v[24:25], v[124:125] op_sel_hi:[1,0,1]
	ds_load_2addr_b64 v[124:127], v118 offset0:38 offset1:39
	v_dual_mov_b32 v24, v116 :: v_dual_mov_b32 v25, v115
	s_wait_dscnt 0x0
	v_pk_mul_f32 v[128:129], v[124:125], v[114:115] op_sel:[0,1]
	s_delay_alu instid0(VALU_DEP_1) | instskip(SKIP_1) | instid1(VALU_DEP_1)
	v_pk_fma_f32 v[130:131], v[124:125], v[116:117], v[128:129] op_sel:[0,0,1] op_sel_hi:[1,1,0] neg_lo:[0,0,1] neg_hi:[0,0,1]
	v_pk_fma_f32 v[124:125], v[124:125], v[116:117], v[128:129] op_sel:[0,0,1] op_sel_hi:[1,0,0]
	v_mov_b32_e32 v131, v125
	v_pk_mul_f32 v[124:125], v[126:127], v[114:115] op_sel:[0,1]
	s_delay_alu instid0(VALU_DEP_1) | instskip(SKIP_1) | instid1(VALU_DEP_1)
	v_pk_fma_f32 v[128:129], v[126:127], v[116:117], v[124:125] op_sel:[0,0,1] op_sel_hi:[1,1,0] neg_lo:[0,0,1] neg_hi:[0,0,1]
	v_pk_fma_f32 v[124:125], v[126:127], v[116:117], v[124:125] op_sel:[0,0,1] op_sel_hi:[1,0,0]
	v_mov_b32_e32 v129, v125
	ds_load_2addr_b64 v[124:127], v118 offset0:40 offset1:41
	v_pk_add_f32 v[26:27], v[26:27], v[130:131] neg_lo:[0,1] neg_hi:[0,1]
	v_pk_add_f32 v[22:23], v[22:23], v[128:129] neg_lo:[0,1] neg_hi:[0,1]
	s_wait_dscnt 0x0
	v_pk_mul_f32 v[128:129], v[124:125], v[114:115] op_sel:[0,1]
	s_delay_alu instid0(VALU_DEP_1) | instskip(SKIP_2) | instid1(VALU_DEP_2)
	v_pk_fma_f32 v[130:131], v[124:125], v[116:117], v[128:129] op_sel:[0,0,1] op_sel_hi:[1,1,0] neg_lo:[0,0,1] neg_hi:[0,0,1]
	v_pk_fma_f32 v[124:125], v[124:125], v[116:117], v[128:129] op_sel:[0,0,1] op_sel_hi:[1,0,0]
	v_dual_mul_f32 v128, v127, v115 :: v_dual_mov_b32 v124, v127
	v_dual_mov_b32 v131, v125 :: v_dual_mov_b32 v125, v126
	s_delay_alu instid0(VALU_DEP_2) | instskip(SKIP_1) | instid1(VALU_DEP_3)
	v_pk_fma_f32 v[128:129], v[126:127], v[24:25], v[128:129] op_sel_hi:[1,1,0] neg_lo:[0,0,1] neg_hi:[0,0,1]
	v_mul_f32_e32 v126, v127, v116
	v_pk_add_f32 v[84:85], v[84:85], v[130:131] neg_lo:[0,1] neg_hi:[0,1]
	s_delay_alu instid0(VALU_DEP_2) | instskip(NEXT) | instid1(VALU_DEP_1)
	v_pk_fma_f32 v[124:125], v[124:125], v[24:25], v[126:127] op_sel_hi:[1,1,0]
	v_mov_b32_e32 v129, v125
	ds_load_2addr_b64 v[124:127], v118 offset0:42 offset1:43
	v_pk_add_f32 v[18:19], v[18:19], v[128:129] neg_lo:[0,1] neg_hi:[0,1]
	s_wait_dscnt 0x0
	v_pk_mul_f32 v[128:129], v[124:125], v[114:115] op_sel:[0,1]
	s_delay_alu instid0(VALU_DEP_1) | instskip(SKIP_1) | instid1(VALU_DEP_1)
	v_pk_fma_f32 v[130:131], v[124:125], v[116:117], v[128:129] op_sel:[0,0,1] op_sel_hi:[1,1,0] neg_lo:[0,0,1] neg_hi:[0,0,1]
	v_pk_fma_f32 v[124:125], v[124:125], v[116:117], v[128:129] op_sel:[0,0,1] op_sel_hi:[1,0,0]
	v_mov_b32_e32 v131, v125
	v_pk_mul_f32 v[124:125], v[126:127], v[114:115] op_sel:[0,1]
	s_delay_alu instid0(VALU_DEP_1) | instskip(SKIP_1) | instid1(VALU_DEP_1)
	v_pk_fma_f32 v[128:129], v[126:127], v[116:117], v[124:125] op_sel:[0,0,1] op_sel_hi:[1,1,0] neg_lo:[0,0,1] neg_hi:[0,0,1]
	v_pk_fma_f32 v[124:125], v[126:127], v[116:117], v[124:125] op_sel:[0,0,1] op_sel_hi:[1,0,0]
	v_mov_b32_e32 v129, v125
	ds_load_2addr_b64 v[124:127], v118 offset0:44 offset1:45
	v_pk_add_f32 v[20:21], v[20:21], v[130:131] neg_lo:[0,1] neg_hi:[0,1]
	v_pk_add_f32 v[16:17], v[16:17], v[128:129] neg_lo:[0,1] neg_hi:[0,1]
	s_wait_dscnt 0x0
	v_pk_mul_f32 v[128:129], v[124:125], v[114:115] op_sel:[0,1]
	s_delay_alu instid0(VALU_DEP_1) | instskip(SKIP_1) | instid1(VALU_DEP_1)
	v_pk_fma_f32 v[130:131], v[124:125], v[116:117], v[128:129] op_sel:[0,0,1] op_sel_hi:[1,1,0] neg_lo:[0,0,1] neg_hi:[0,0,1]
	v_pk_fma_f32 v[124:125], v[124:125], v[116:117], v[128:129] op_sel:[0,0,1] op_sel_hi:[1,0,0]
	v_mov_b32_e32 v131, v125
	v_pk_mul_f32 v[124:125], v[126:127], v[114:115] op_sel:[0,1]
	s_delay_alu instid0(VALU_DEP_1) | instskip(SKIP_1) | instid1(VALU_DEP_1)
	v_pk_fma_f32 v[128:129], v[126:127], v[116:117], v[124:125] op_sel:[0,0,1] op_sel_hi:[1,1,0] neg_lo:[0,0,1] neg_hi:[0,0,1]
	v_pk_fma_f32 v[124:125], v[126:127], v[116:117], v[124:125] op_sel:[0,0,1] op_sel_hi:[1,0,0]
	v_mov_b32_e32 v129, v125
	ds_load_2addr_b64 v[124:127], v118 offset0:46 offset1:47
	v_pk_add_f32 v[82:83], v[82:83], v[130:131] neg_lo:[0,1] neg_hi:[0,1]
	v_pk_add_f32 v[10:11], v[10:11], v[128:129] neg_lo:[0,1] neg_hi:[0,1]
	s_wait_dscnt 0x0
	v_dual_mul_f32 v128, v125, v115 :: v_dual_mul_f32 v130, v125, v116
	s_delay_alu instid0(VALU_DEP_1) | instskip(NEXT) | instid1(VALU_DEP_2)
	v_pk_fma_f32 v[128:129], v[124:125], v[24:25], v[128:129] op_sel_hi:[1,1,0] neg_lo:[0,0,1] neg_hi:[0,0,1]
	v_pk_fma_f32 v[124:125], v[124:125], v[24:25], v[130:131] op_sel:[1,0,0] op_sel_hi:[0,1,0]
	s_delay_alu instid0(VALU_DEP_1) | instskip(SKIP_1) | instid1(VALU_DEP_2)
	v_mov_b32_e32 v129, v125
	v_pk_mul_f32 v[124:125], v[126:127], v[114:115] op_sel:[0,1]
	v_pk_add_f32 v[12:13], v[12:13], v[128:129] neg_lo:[0,1] neg_hi:[0,1]
	s_delay_alu instid0(VALU_DEP_2) | instskip(SKIP_1) | instid1(VALU_DEP_1)
	v_pk_fma_f32 v[128:129], v[126:127], v[116:117], v[124:125] op_sel:[0,0,1] op_sel_hi:[1,1,0] neg_lo:[0,0,1] neg_hi:[0,0,1]
	v_pk_fma_f32 v[124:125], v[126:127], v[116:117], v[124:125] op_sel:[0,0,1] op_sel_hi:[1,0,0]
	v_mov_b32_e32 v129, v125
	ds_load_2addr_b64 v[124:127], v118 offset0:48 offset1:49
	v_pk_add_f32 v[8:9], v[8:9], v[128:129] neg_lo:[0,1] neg_hi:[0,1]
	s_wait_dscnt 0x0
	v_pk_mul_f32 v[128:129], v[124:125], v[114:115] op_sel:[0,1]
	s_delay_alu instid0(VALU_DEP_1) | instskip(SKIP_1) | instid1(VALU_DEP_1)
	v_pk_fma_f32 v[130:131], v[124:125], v[116:117], v[128:129] op_sel:[0,0,1] op_sel_hi:[1,1,0] neg_lo:[0,0,1] neg_hi:[0,0,1]
	v_pk_fma_f32 v[124:125], v[124:125], v[116:117], v[128:129] op_sel:[0,0,1] op_sel_hi:[1,0,0]
	v_mov_b32_e32 v131, v125
	v_pk_mul_f32 v[124:125], v[126:127], v[114:115] op_sel:[0,1]
	s_delay_alu instid0(VALU_DEP_2) | instskip(NEXT) | instid1(VALU_DEP_2)
	v_pk_add_f32 v[66:67], v[66:67], v[130:131] neg_lo:[0,1] neg_hi:[0,1]
	v_pk_fma_f32 v[128:129], v[126:127], v[116:117], v[124:125] op_sel:[0,0,1] op_sel_hi:[1,1,0] neg_lo:[0,0,1] neg_hi:[0,0,1]
	v_pk_fma_f32 v[124:125], v[126:127], v[116:117], v[124:125] op_sel:[0,0,1] op_sel_hi:[1,0,0]
	s_delay_alu instid0(VALU_DEP_1) | instskip(SKIP_4) | instid1(VALU_DEP_1)
	v_mov_b32_e32 v129, v125
	ds_load_2addr_b64 v[124:127], v118 offset0:50 offset1:51
	v_pk_add_f32 v[6:7], v[6:7], v[128:129] neg_lo:[0,1] neg_hi:[0,1]
	s_wait_dscnt 0x0
	v_pk_mul_f32 v[128:129], v[124:125], v[114:115] op_sel:[0,1]
	v_pk_fma_f32 v[130:131], v[124:125], v[116:117], v[128:129] op_sel:[0,0,1] op_sel_hi:[1,1,0] neg_lo:[0,0,1] neg_hi:[0,0,1]
	v_pk_fma_f32 v[124:125], v[124:125], v[116:117], v[128:129] op_sel:[0,0,1] op_sel_hi:[1,0,0]
	v_dual_mul_f32 v128, v127, v115 :: v_dual_mov_b32 v124, v127
	s_delay_alu instid0(VALU_DEP_2) | instskip(NEXT) | instid1(VALU_DEP_2)
	v_dual_mov_b32 v131, v125 :: v_dual_mov_b32 v125, v126
	v_pk_fma_f32 v[128:129], v[126:127], v[24:25], v[128:129] op_sel_hi:[1,1,0] neg_lo:[0,0,1] neg_hi:[0,0,1]
	v_mul_f32_e32 v126, v127, v116
	s_delay_alu instid0(VALU_DEP_3) | instskip(NEXT) | instid1(VALU_DEP_2)
	v_pk_add_f32 v[46:47], v[46:47], v[130:131] neg_lo:[0,1] neg_hi:[0,1]
	v_pk_fma_f32 v[124:125], v[124:125], v[24:25], v[126:127] op_sel_hi:[1,1,0]
	s_delay_alu instid0(VALU_DEP_1)
	v_mov_b32_e32 v129, v125
	ds_load_2addr_b64 v[124:127], v118 offset0:52 offset1:53
	v_pk_add_f32 v[28:29], v[28:29], v[128:129] neg_lo:[0,1] neg_hi:[0,1]
	s_wait_dscnt 0x0
	v_pk_mul_f32 v[128:129], v[124:125], v[114:115] op_sel:[0,1]
	v_pk_mul_f32 v[114:115], v[126:127], v[114:115] op_sel:[0,1]
	s_delay_alu instid0(VALU_DEP_2) | instskip(SKIP_1) | instid1(VALU_DEP_1)
	v_pk_fma_f32 v[130:131], v[124:125], v[116:117], v[128:129] op_sel:[0,0,1] op_sel_hi:[1,1,0] neg_lo:[0,0,1] neg_hi:[0,0,1]
	v_pk_fma_f32 v[124:125], v[124:125], v[116:117], v[128:129] op_sel:[0,0,1] op_sel_hi:[1,0,0]
	v_mov_b32_e32 v131, v125
	s_delay_alu instid0(VALU_DEP_4) | instskip(SKIP_1) | instid1(VALU_DEP_1)
	v_pk_fma_f32 v[124:125], v[126:127], v[116:117], v[114:115] op_sel:[0,0,1] op_sel_hi:[1,1,0] neg_lo:[0,0,1] neg_hi:[0,0,1]
	v_pk_fma_f32 v[114:115], v[126:127], v[116:117], v[114:115] op_sel:[0,0,1] op_sel_hi:[1,0,0]
	v_mov_b32_e32 v125, v115
	s_delay_alu instid0(VALU_DEP_4) | instskip(NEXT) | instid1(VALU_DEP_2)
	v_pk_add_f32 v[14:15], v[14:15], v[130:131] neg_lo:[0,1] neg_hi:[0,1]
	v_pk_add_f32 v[112:113], v[112:113], v[124:125] neg_lo:[0,1] neg_hi:[0,1]
.LBB106_797:
	s_or_b32 exec_lo, exec_lo, s0
	v_lshl_add_u32 v114, v122, 3, v118
	s_barrier_signal -1
	s_barrier_wait -1
	ds_store_b64 v114, v[26:27]
	s_wait_dscnt 0x0
	s_barrier_signal -1
	s_barrier_wait -1
	ds_load_b64 v[114:115], v118 offset:304
	v_mov_b32_e32 v116, 38
	s_cmp_lt_i32 s18, 40
	s_cbranch_scc1 .LBB106_800
; %bb.798:
	v_add3_u32 v117, v119, 0, 0x138
	v_mov_b32_e32 v116, 38
	s_mov_b32 s0, 39
.LBB106_799:                            ; =>This Inner Loop Header: Depth=1
	ds_load_b64 v[124:125], v117
	s_wait_dscnt 0x1
	v_cmp_gt_f32_e32 vcc_lo, 0, v114
	v_cndmask_b32_e64 v126, v114, -v114, vcc_lo
	v_cmp_gt_f32_e32 vcc_lo, 0, v115
	v_cndmask_b32_e64 v128, v115, -v115, vcc_lo
	s_wait_dscnt 0x0
	v_cmp_gt_f32_e32 vcc_lo, 0, v124
	v_cndmask_b32_e64 v127, v124, -v124, vcc_lo
	v_cmp_gt_f32_e32 vcc_lo, 0, v125
	v_cndmask_b32_e64 v129, v125, -v125, vcc_lo
	s_delay_alu instid0(VALU_DEP_1) | instskip(NEXT) | instid1(VALU_DEP_1)
	v_pk_add_f32 v[126:127], v[126:127], v[128:129]
	v_cmp_lt_f32_e32 vcc_lo, v126, v127
	v_dual_cndmask_b32 v114, v114, v124 :: v_dual_add_nc_u32 v117, 8, v117
	v_cndmask_b32_e32 v115, v115, v125, vcc_lo
	v_cndmask_b32_e64 v116, v116, s0, vcc_lo
	s_add_co_i32 s0, s0, 1
	s_delay_alu instid0(SALU_CYCLE_1)
	s_cmp_lg_u32 s18, s0
	s_cbranch_scc1 .LBB106_799
.LBB106_800:
	s_wait_dscnt 0x0
	v_cmp_eq_f32_e32 vcc_lo, 0, v114
	v_cmp_eq_f32_e64 s0, 0, v115
	s_and_b32 s0, vcc_lo, s0
	s_delay_alu instid0(SALU_CYCLE_1) | instskip(NEXT) | instid1(SALU_CYCLE_1)
	s_and_saveexec_b32 s1, s0
	s_xor_b32 s0, exec_lo, s1
; %bb.801:
	v_cmp_ne_u32_e32 vcc_lo, 0, v120
	v_cndmask_b32_e32 v120, 39, v120, vcc_lo
; %bb.802:
	s_and_not1_saveexec_b32 s0, s0
	s_cbranch_execz .LBB106_808
; %bb.803:
	v_cmp_ngt_f32_e64 s1, |v114|, |v115|
	s_and_saveexec_b32 s12, s1
	s_delay_alu instid0(SALU_CYCLE_1)
	s_xor_b32 s1, exec_lo, s12
	s_cbranch_execz .LBB106_805
; %bb.804:
	v_div_scale_f32 v117, null, v115, v115, v114
	v_div_scale_f32 v125, vcc_lo, v114, v115, v114
	s_delay_alu instid0(VALU_DEP_2) | instskip(SKIP_1) | instid1(TRANS32_DEP_1)
	v_rcp_f32_e32 v123, v117
	v_nop
	v_fma_f32 v124, -v117, v123, 1.0
	s_delay_alu instid0(VALU_DEP_1) | instskip(NEXT) | instid1(VALU_DEP_1)
	v_fmac_f32_e32 v123, v124, v123
	v_mul_f32_e32 v124, v125, v123
	s_delay_alu instid0(VALU_DEP_1) | instskip(NEXT) | instid1(VALU_DEP_1)
	v_fma_f32 v126, -v117, v124, v125
	v_fmac_f32_e32 v124, v126, v123
	s_delay_alu instid0(VALU_DEP_1) | instskip(NEXT) | instid1(VALU_DEP_1)
	v_fma_f32 v117, -v117, v124, v125
	v_div_fmas_f32 v117, v117, v123, v124
	s_delay_alu instid0(VALU_DEP_1) | instskip(NEXT) | instid1(VALU_DEP_1)
	v_div_fixup_f32 v117, v117, v115, v114
	v_fmac_f32_e32 v115, v114, v117
	s_delay_alu instid0(VALU_DEP_1) | instskip(SKIP_1) | instid1(VALU_DEP_2)
	v_div_scale_f32 v114, null, v115, v115, 1.0
	v_div_scale_f32 v125, vcc_lo, 1.0, v115, 1.0
	v_rcp_f32_e32 v123, v114
	v_nop
	s_delay_alu instid0(TRANS32_DEP_1) | instskip(NEXT) | instid1(VALU_DEP_1)
	v_fma_f32 v124, -v114, v123, 1.0
	v_fmac_f32_e32 v123, v124, v123
	s_delay_alu instid0(VALU_DEP_1) | instskip(NEXT) | instid1(VALU_DEP_1)
	v_mul_f32_e32 v124, v125, v123
	v_fma_f32 v126, -v114, v124, v125
	s_delay_alu instid0(VALU_DEP_1) | instskip(NEXT) | instid1(VALU_DEP_1)
	v_fmac_f32_e32 v124, v126, v123
	v_fma_f32 v114, -v114, v124, v125
	s_delay_alu instid0(VALU_DEP_1) | instskip(NEXT) | instid1(VALU_DEP_1)
	v_div_fmas_f32 v114, v114, v123, v124
	v_div_fixup_f32 v115, v114, v115, 1.0
	s_delay_alu instid0(VALU_DEP_1)
	v_mul_f32_e32 v114, v117, v115
	v_xor_b32_e32 v115, 0x80000000, v115
.LBB106_805:
	s_and_not1_saveexec_b32 s1, s1
	s_cbranch_execz .LBB106_807
; %bb.806:
	s_delay_alu instid0(VALU_DEP_1) | instskip(SKIP_1) | instid1(VALU_DEP_2)
	v_div_scale_f32 v117, null, v114, v114, v115
	v_div_scale_f32 v125, vcc_lo, v115, v114, v115
	v_rcp_f32_e32 v123, v117
	v_nop
	s_delay_alu instid0(TRANS32_DEP_1) | instskip(NEXT) | instid1(VALU_DEP_1)
	v_fma_f32 v124, -v117, v123, 1.0
	v_fmac_f32_e32 v123, v124, v123
	s_delay_alu instid0(VALU_DEP_1) | instskip(NEXT) | instid1(VALU_DEP_1)
	v_mul_f32_e32 v124, v125, v123
	v_fma_f32 v126, -v117, v124, v125
	s_delay_alu instid0(VALU_DEP_1) | instskip(NEXT) | instid1(VALU_DEP_1)
	v_fmac_f32_e32 v124, v126, v123
	v_fma_f32 v117, -v117, v124, v125
	s_delay_alu instid0(VALU_DEP_1) | instskip(NEXT) | instid1(VALU_DEP_1)
	v_div_fmas_f32 v117, v117, v123, v124
	v_div_fixup_f32 v117, v117, v114, v115
	s_delay_alu instid0(VALU_DEP_1) | instskip(NEXT) | instid1(VALU_DEP_1)
	v_fmac_f32_e32 v114, v115, v117
	v_div_scale_f32 v115, null, v114, v114, 1.0
	s_delay_alu instid0(VALU_DEP_1) | instskip(SKIP_1) | instid1(TRANS32_DEP_1)
	v_rcp_f32_e32 v123, v115
	v_nop
	v_fma_f32 v124, -v115, v123, 1.0
	s_delay_alu instid0(VALU_DEP_1) | instskip(SKIP_1) | instid1(VALU_DEP_1)
	v_fmac_f32_e32 v123, v124, v123
	v_div_scale_f32 v124, vcc_lo, 1.0, v114, 1.0
	v_mul_f32_e32 v125, v124, v123
	s_delay_alu instid0(VALU_DEP_1) | instskip(NEXT) | instid1(VALU_DEP_1)
	v_fma_f32 v126, -v115, v125, v124
	v_fmac_f32_e32 v125, v126, v123
	s_delay_alu instid0(VALU_DEP_1) | instskip(NEXT) | instid1(VALU_DEP_1)
	v_fma_f32 v115, -v115, v125, v124
	v_div_fmas_f32 v115, v115, v123, v125
	s_delay_alu instid0(VALU_DEP_1) | instskip(NEXT) | instid1(VALU_DEP_1)
	v_div_fixup_f32 v114, v115, v114, 1.0
	v_mul_f32_e64 v115, v117, -v114
.LBB106_807:
	s_or_b32 exec_lo, exec_lo, s1
.LBB106_808:
	s_delay_alu instid0(SALU_CYCLE_1) | instskip(NEXT) | instid1(SALU_CYCLE_1)
	s_or_b32 exec_lo, exec_lo, s0
	s_mov_b32 s0, exec_lo
	v_cmpx_ne_u32_e64 v122, v116
	s_xor_b32 s0, exec_lo, s0
	s_cbranch_execz .LBB106_814
; %bb.809:
	s_mov_b32 s1, exec_lo
	v_cmpx_eq_u32_e32 38, v122
	s_cbranch_execz .LBB106_813
; %bb.810:
	v_cmp_ne_u32_e32 vcc_lo, 38, v116
	s_xor_b32 s12, s16, -1
	s_delay_alu instid0(SALU_CYCLE_1) | instskip(NEXT) | instid1(SALU_CYCLE_1)
	s_and_b32 s13, s12, vcc_lo
	s_and_saveexec_b32 s12, s13
	s_cbranch_execz .LBB106_812
; %bb.811:
	v_ashrrev_i32_e32 v117, 31, v116
	s_delay_alu instid0(VALU_DEP_1)
	v_lshl_add_u64 v[122:123], v[116:117], 2, v[4:5]
	s_clause 0x1
	global_load_b32 v117, v[122:123], off
	global_load_b32 v121, v[4:5], off offset:152
	s_wait_loadcnt 0x1
	global_store_b32 v[4:5], v117, off offset:152
	s_wait_loadcnt 0x0
	global_store_b32 v[122:123], v121, off
.LBB106_812:
	s_wait_xcnt 0x0
	s_or_b32 exec_lo, exec_lo, s12
	v_dual_mov_b32 v122, v116 :: v_dual_mov_b32 v121, v116
.LBB106_813:
	s_or_b32 exec_lo, exec_lo, s1
.LBB106_814:
	s_and_not1_saveexec_b32 s0, s0
	s_cbranch_execz .LBB106_816
; %bb.815:
	v_mov_b32_e32 v122, 38
	ds_store_2addr_b64 v118, v[22:23], v[84:85] offset0:39 offset1:40
	ds_store_2addr_b64 v118, v[18:19], v[20:21] offset0:41 offset1:42
	;; [unrolled: 1-line block ×7, first 2 shown]
	ds_store_b64 v118, v[112:113] offset:424
.LBB106_816:
	s_or_b32 exec_lo, exec_lo, s0
	s_delay_alu instid0(SALU_CYCLE_1)
	s_mov_b32 s0, exec_lo
	s_wait_storecnt_dscnt 0x0
	s_barrier_signal -1
	s_barrier_wait -1
	v_cmpx_lt_i32_e32 38, v122
	s_cbranch_execz .LBB106_818
; %bb.817:
	v_pk_mul_f32 v[124:125], v[114:115], v[26:27] op_sel:[1,1] op_sel_hi:[0,1]
	s_delay_alu instid0(VALU_DEP_1)
	v_pk_fma_f32 v[116:117], v[114:115], v[26:27], v[124:125] op_sel_hi:[1,0,1] neg_lo:[0,0,1] neg_hi:[0,0,1]
	v_pk_fma_f32 v[114:115], v[114:115], v[26:27], v[124:125] op_sel_hi:[1,0,1]
	ds_load_2addr_b64 v[124:127], v118 offset0:39 offset1:40
	v_dual_mov_b32 v26, v116 :: v_dual_mov_b32 v27, v115
	s_wait_dscnt 0x0
	v_pk_mul_f32 v[128:129], v[124:125], v[114:115] op_sel:[0,1]
	s_delay_alu instid0(VALU_DEP_1) | instskip(SKIP_1) | instid1(VALU_DEP_1)
	v_pk_fma_f32 v[130:131], v[124:125], v[116:117], v[128:129] op_sel:[0,0,1] op_sel_hi:[1,1,0] neg_lo:[0,0,1] neg_hi:[0,0,1]
	v_pk_fma_f32 v[124:125], v[124:125], v[116:117], v[128:129] op_sel:[0,0,1] op_sel_hi:[1,0,0]
	v_mov_b32_e32 v131, v125
	v_pk_mul_f32 v[124:125], v[126:127], v[114:115] op_sel:[0,1]
	s_delay_alu instid0(VALU_DEP_1) | instskip(SKIP_1) | instid1(VALU_DEP_1)
	v_pk_fma_f32 v[128:129], v[126:127], v[116:117], v[124:125] op_sel:[0,0,1] op_sel_hi:[1,1,0] neg_lo:[0,0,1] neg_hi:[0,0,1]
	v_pk_fma_f32 v[124:125], v[126:127], v[116:117], v[124:125] op_sel:[0,0,1] op_sel_hi:[1,0,0]
	v_mov_b32_e32 v129, v125
	ds_load_2addr_b64 v[124:127], v118 offset0:41 offset1:42
	v_pk_add_f32 v[22:23], v[22:23], v[130:131] neg_lo:[0,1] neg_hi:[0,1]
	v_pk_add_f32 v[84:85], v[84:85], v[128:129] neg_lo:[0,1] neg_hi:[0,1]
	s_wait_dscnt 0x0
	v_pk_mul_f32 v[128:129], v[124:125], v[114:115] op_sel:[0,1]
	s_delay_alu instid0(VALU_DEP_1) | instskip(SKIP_2) | instid1(VALU_DEP_2)
	v_pk_fma_f32 v[130:131], v[124:125], v[116:117], v[128:129] op_sel:[0,0,1] op_sel_hi:[1,1,0] neg_lo:[0,0,1] neg_hi:[0,0,1]
	v_pk_fma_f32 v[124:125], v[124:125], v[116:117], v[128:129] op_sel:[0,0,1] op_sel_hi:[1,0,0]
	v_dual_mul_f32 v128, v127, v115 :: v_dual_mov_b32 v124, v127
	v_dual_mov_b32 v131, v125 :: v_dual_mov_b32 v125, v126
	s_delay_alu instid0(VALU_DEP_2) | instskip(SKIP_1) | instid1(VALU_DEP_3)
	v_pk_fma_f32 v[128:129], v[126:127], v[26:27], v[128:129] op_sel_hi:[1,1,0] neg_lo:[0,0,1] neg_hi:[0,0,1]
	v_mul_f32_e32 v126, v127, v116
	v_pk_add_f32 v[18:19], v[18:19], v[130:131] neg_lo:[0,1] neg_hi:[0,1]
	s_delay_alu instid0(VALU_DEP_2) | instskip(NEXT) | instid1(VALU_DEP_1)
	v_pk_fma_f32 v[124:125], v[124:125], v[26:27], v[126:127] op_sel_hi:[1,1,0]
	v_mov_b32_e32 v129, v125
	ds_load_2addr_b64 v[124:127], v118 offset0:43 offset1:44
	v_pk_add_f32 v[20:21], v[20:21], v[128:129] neg_lo:[0,1] neg_hi:[0,1]
	s_wait_dscnt 0x0
	v_pk_mul_f32 v[128:129], v[124:125], v[114:115] op_sel:[0,1]
	s_delay_alu instid0(VALU_DEP_1) | instskip(SKIP_1) | instid1(VALU_DEP_1)
	v_pk_fma_f32 v[130:131], v[124:125], v[116:117], v[128:129] op_sel:[0,0,1] op_sel_hi:[1,1,0] neg_lo:[0,0,1] neg_hi:[0,0,1]
	v_pk_fma_f32 v[124:125], v[124:125], v[116:117], v[128:129] op_sel:[0,0,1] op_sel_hi:[1,0,0]
	v_mov_b32_e32 v131, v125
	v_pk_mul_f32 v[124:125], v[126:127], v[114:115] op_sel:[0,1]
	s_delay_alu instid0(VALU_DEP_1) | instskip(SKIP_1) | instid1(VALU_DEP_1)
	v_pk_fma_f32 v[128:129], v[126:127], v[116:117], v[124:125] op_sel:[0,0,1] op_sel_hi:[1,1,0] neg_lo:[0,0,1] neg_hi:[0,0,1]
	v_pk_fma_f32 v[124:125], v[126:127], v[116:117], v[124:125] op_sel:[0,0,1] op_sel_hi:[1,0,0]
	v_mov_b32_e32 v129, v125
	ds_load_2addr_b64 v[124:127], v118 offset0:45 offset1:46
	v_pk_add_f32 v[16:17], v[16:17], v[130:131] neg_lo:[0,1] neg_hi:[0,1]
	v_pk_add_f32 v[82:83], v[82:83], v[128:129] neg_lo:[0,1] neg_hi:[0,1]
	s_wait_dscnt 0x0
	v_pk_mul_f32 v[128:129], v[124:125], v[114:115] op_sel:[0,1]
	s_delay_alu instid0(VALU_DEP_1) | instskip(SKIP_1) | instid1(VALU_DEP_1)
	v_pk_fma_f32 v[130:131], v[124:125], v[116:117], v[128:129] op_sel:[0,0,1] op_sel_hi:[1,1,0] neg_lo:[0,0,1] neg_hi:[0,0,1]
	v_pk_fma_f32 v[124:125], v[124:125], v[116:117], v[128:129] op_sel:[0,0,1] op_sel_hi:[1,0,0]
	v_mov_b32_e32 v131, v125
	v_pk_mul_f32 v[124:125], v[126:127], v[114:115] op_sel:[0,1]
	s_delay_alu instid0(VALU_DEP_1) | instskip(SKIP_1) | instid1(VALU_DEP_1)
	v_pk_fma_f32 v[128:129], v[126:127], v[116:117], v[124:125] op_sel:[0,0,1] op_sel_hi:[1,1,0] neg_lo:[0,0,1] neg_hi:[0,0,1]
	v_pk_fma_f32 v[124:125], v[126:127], v[116:117], v[124:125] op_sel:[0,0,1] op_sel_hi:[1,0,0]
	v_mov_b32_e32 v129, v125
	ds_load_2addr_b64 v[124:127], v118 offset0:47 offset1:48
	v_pk_add_f32 v[10:11], v[10:11], v[130:131] neg_lo:[0,1] neg_hi:[0,1]
	v_pk_add_f32 v[12:13], v[12:13], v[128:129] neg_lo:[0,1] neg_hi:[0,1]
	s_wait_dscnt 0x0
	v_dual_mul_f32 v128, v125, v115 :: v_dual_mul_f32 v130, v125, v116
	s_delay_alu instid0(VALU_DEP_1) | instskip(NEXT) | instid1(VALU_DEP_2)
	v_pk_fma_f32 v[128:129], v[124:125], v[26:27], v[128:129] op_sel_hi:[1,1,0] neg_lo:[0,0,1] neg_hi:[0,0,1]
	v_pk_fma_f32 v[124:125], v[124:125], v[26:27], v[130:131] op_sel:[1,0,0] op_sel_hi:[0,1,0]
	s_delay_alu instid0(VALU_DEP_1) | instskip(SKIP_1) | instid1(VALU_DEP_2)
	v_mov_b32_e32 v129, v125
	v_pk_mul_f32 v[124:125], v[126:127], v[114:115] op_sel:[0,1]
	v_pk_add_f32 v[8:9], v[8:9], v[128:129] neg_lo:[0,1] neg_hi:[0,1]
	s_delay_alu instid0(VALU_DEP_2) | instskip(SKIP_1) | instid1(VALU_DEP_1)
	v_pk_fma_f32 v[128:129], v[126:127], v[116:117], v[124:125] op_sel:[0,0,1] op_sel_hi:[1,1,0] neg_lo:[0,0,1] neg_hi:[0,0,1]
	v_pk_fma_f32 v[124:125], v[126:127], v[116:117], v[124:125] op_sel:[0,0,1] op_sel_hi:[1,0,0]
	v_mov_b32_e32 v129, v125
	ds_load_2addr_b64 v[124:127], v118 offset0:49 offset1:50
	v_pk_add_f32 v[66:67], v[66:67], v[128:129] neg_lo:[0,1] neg_hi:[0,1]
	s_wait_dscnt 0x0
	v_pk_mul_f32 v[128:129], v[124:125], v[114:115] op_sel:[0,1]
	s_delay_alu instid0(VALU_DEP_1) | instskip(SKIP_1) | instid1(VALU_DEP_1)
	v_pk_fma_f32 v[130:131], v[124:125], v[116:117], v[128:129] op_sel:[0,0,1] op_sel_hi:[1,1,0] neg_lo:[0,0,1] neg_hi:[0,0,1]
	v_pk_fma_f32 v[124:125], v[124:125], v[116:117], v[128:129] op_sel:[0,0,1] op_sel_hi:[1,0,0]
	v_mov_b32_e32 v131, v125
	v_pk_mul_f32 v[124:125], v[126:127], v[114:115] op_sel:[0,1]
	s_delay_alu instid0(VALU_DEP_2) | instskip(NEXT) | instid1(VALU_DEP_2)
	v_pk_add_f32 v[6:7], v[6:7], v[130:131] neg_lo:[0,1] neg_hi:[0,1]
	v_pk_fma_f32 v[128:129], v[126:127], v[116:117], v[124:125] op_sel:[0,0,1] op_sel_hi:[1,1,0] neg_lo:[0,0,1] neg_hi:[0,0,1]
	v_pk_fma_f32 v[124:125], v[126:127], v[116:117], v[124:125] op_sel:[0,0,1] op_sel_hi:[1,0,0]
	s_delay_alu instid0(VALU_DEP_1) | instskip(SKIP_4) | instid1(VALU_DEP_1)
	v_mov_b32_e32 v129, v125
	ds_load_2addr_b64 v[124:127], v118 offset0:51 offset1:52
	v_pk_add_f32 v[46:47], v[46:47], v[128:129] neg_lo:[0,1] neg_hi:[0,1]
	s_wait_dscnt 0x0
	v_pk_mul_f32 v[128:129], v[124:125], v[114:115] op_sel:[0,1]
	v_pk_fma_f32 v[130:131], v[124:125], v[116:117], v[128:129] op_sel:[0,0,1] op_sel_hi:[1,1,0] neg_lo:[0,0,1] neg_hi:[0,0,1]
	v_pk_fma_f32 v[124:125], v[124:125], v[116:117], v[128:129] op_sel:[0,0,1] op_sel_hi:[1,0,0]
	v_dual_mul_f32 v128, v127, v115 :: v_dual_mov_b32 v124, v127
	s_delay_alu instid0(VALU_DEP_2) | instskip(NEXT) | instid1(VALU_DEP_2)
	v_dual_mov_b32 v131, v125 :: v_dual_mov_b32 v125, v126
	v_pk_fma_f32 v[128:129], v[126:127], v[26:27], v[128:129] op_sel_hi:[1,1,0] neg_lo:[0,0,1] neg_hi:[0,0,1]
	v_mul_f32_e32 v126, v127, v116
	s_delay_alu instid0(VALU_DEP_3) | instskip(NEXT) | instid1(VALU_DEP_2)
	v_pk_add_f32 v[28:29], v[28:29], v[130:131] neg_lo:[0,1] neg_hi:[0,1]
	v_pk_fma_f32 v[124:125], v[124:125], v[26:27], v[126:127] op_sel_hi:[1,1,0]
	s_delay_alu instid0(VALU_DEP_1) | instskip(SKIP_4) | instid1(VALU_DEP_1)
	v_mov_b32_e32 v129, v125
	ds_load_b64 v[124:125], v118 offset:424
	v_pk_add_f32 v[14:15], v[14:15], v[128:129] neg_lo:[0,1] neg_hi:[0,1]
	s_wait_dscnt 0x0
	v_pk_mul_f32 v[114:115], v[124:125], v[114:115] op_sel:[0,1]
	v_pk_fma_f32 v[126:127], v[124:125], v[116:117], v[114:115] op_sel:[0,0,1] op_sel_hi:[1,1,0] neg_lo:[0,0,1] neg_hi:[0,0,1]
	v_pk_fma_f32 v[114:115], v[124:125], v[116:117], v[114:115] op_sel:[0,0,1] op_sel_hi:[1,0,0]
	s_delay_alu instid0(VALU_DEP_1) | instskip(NEXT) | instid1(VALU_DEP_1)
	v_mov_b32_e32 v127, v115
	v_pk_add_f32 v[112:113], v[112:113], v[126:127] neg_lo:[0,1] neg_hi:[0,1]
.LBB106_818:
	s_or_b32 exec_lo, exec_lo, s0
	v_lshl_add_u32 v114, v122, 3, v118
	s_barrier_signal -1
	s_barrier_wait -1
	ds_store_b64 v114, v[22:23]
	s_wait_dscnt 0x0
	s_barrier_signal -1
	s_barrier_wait -1
	ds_load_b64 v[114:115], v118 offset:312
	v_mov_b32_e32 v116, 39
	s_cmp_lt_i32 s18, 41
	s_cbranch_scc1 .LBB106_821
; %bb.819:
	v_add3_u32 v117, v119, 0, 0x140
	v_mov_b32_e32 v116, 39
	s_mov_b32 s0, 40
.LBB106_820:                            ; =>This Inner Loop Header: Depth=1
	ds_load_b64 v[124:125], v117
	s_wait_dscnt 0x1
	v_cmp_gt_f32_e32 vcc_lo, 0, v114
	v_cndmask_b32_e64 v126, v114, -v114, vcc_lo
	v_cmp_gt_f32_e32 vcc_lo, 0, v115
	v_cndmask_b32_e64 v128, v115, -v115, vcc_lo
	s_wait_dscnt 0x0
	v_cmp_gt_f32_e32 vcc_lo, 0, v124
	v_cndmask_b32_e64 v127, v124, -v124, vcc_lo
	v_cmp_gt_f32_e32 vcc_lo, 0, v125
	v_cndmask_b32_e64 v129, v125, -v125, vcc_lo
	s_delay_alu instid0(VALU_DEP_1) | instskip(NEXT) | instid1(VALU_DEP_1)
	v_pk_add_f32 v[126:127], v[126:127], v[128:129]
	v_cmp_lt_f32_e32 vcc_lo, v126, v127
	v_dual_cndmask_b32 v114, v114, v124 :: v_dual_add_nc_u32 v117, 8, v117
	v_cndmask_b32_e32 v115, v115, v125, vcc_lo
	v_cndmask_b32_e64 v116, v116, s0, vcc_lo
	s_add_co_i32 s0, s0, 1
	s_delay_alu instid0(SALU_CYCLE_1)
	s_cmp_lg_u32 s18, s0
	s_cbranch_scc1 .LBB106_820
.LBB106_821:
	s_wait_dscnt 0x0
	v_cmp_eq_f32_e32 vcc_lo, 0, v114
	v_cmp_eq_f32_e64 s0, 0, v115
	s_and_b32 s0, vcc_lo, s0
	s_delay_alu instid0(SALU_CYCLE_1) | instskip(NEXT) | instid1(SALU_CYCLE_1)
	s_and_saveexec_b32 s1, s0
	s_xor_b32 s0, exec_lo, s1
; %bb.822:
	v_cmp_ne_u32_e32 vcc_lo, 0, v120
	v_cndmask_b32_e32 v120, 40, v120, vcc_lo
; %bb.823:
	s_and_not1_saveexec_b32 s0, s0
	s_cbranch_execz .LBB106_829
; %bb.824:
	v_cmp_ngt_f32_e64 s1, |v114|, |v115|
	s_and_saveexec_b32 s12, s1
	s_delay_alu instid0(SALU_CYCLE_1)
	s_xor_b32 s1, exec_lo, s12
	s_cbranch_execz .LBB106_826
; %bb.825:
	v_div_scale_f32 v117, null, v115, v115, v114
	v_div_scale_f32 v125, vcc_lo, v114, v115, v114
	s_delay_alu instid0(VALU_DEP_2) | instskip(SKIP_1) | instid1(TRANS32_DEP_1)
	v_rcp_f32_e32 v123, v117
	v_nop
	v_fma_f32 v124, -v117, v123, 1.0
	s_delay_alu instid0(VALU_DEP_1) | instskip(NEXT) | instid1(VALU_DEP_1)
	v_fmac_f32_e32 v123, v124, v123
	v_mul_f32_e32 v124, v125, v123
	s_delay_alu instid0(VALU_DEP_1) | instskip(NEXT) | instid1(VALU_DEP_1)
	v_fma_f32 v126, -v117, v124, v125
	v_fmac_f32_e32 v124, v126, v123
	s_delay_alu instid0(VALU_DEP_1) | instskip(NEXT) | instid1(VALU_DEP_1)
	v_fma_f32 v117, -v117, v124, v125
	v_div_fmas_f32 v117, v117, v123, v124
	s_delay_alu instid0(VALU_DEP_1) | instskip(NEXT) | instid1(VALU_DEP_1)
	v_div_fixup_f32 v117, v117, v115, v114
	v_fmac_f32_e32 v115, v114, v117
	s_delay_alu instid0(VALU_DEP_1) | instskip(SKIP_1) | instid1(VALU_DEP_2)
	v_div_scale_f32 v114, null, v115, v115, 1.0
	v_div_scale_f32 v125, vcc_lo, 1.0, v115, 1.0
	v_rcp_f32_e32 v123, v114
	v_nop
	s_delay_alu instid0(TRANS32_DEP_1) | instskip(NEXT) | instid1(VALU_DEP_1)
	v_fma_f32 v124, -v114, v123, 1.0
	v_fmac_f32_e32 v123, v124, v123
	s_delay_alu instid0(VALU_DEP_1) | instskip(NEXT) | instid1(VALU_DEP_1)
	v_mul_f32_e32 v124, v125, v123
	v_fma_f32 v126, -v114, v124, v125
	s_delay_alu instid0(VALU_DEP_1) | instskip(NEXT) | instid1(VALU_DEP_1)
	v_fmac_f32_e32 v124, v126, v123
	v_fma_f32 v114, -v114, v124, v125
	s_delay_alu instid0(VALU_DEP_1) | instskip(NEXT) | instid1(VALU_DEP_1)
	v_div_fmas_f32 v114, v114, v123, v124
	v_div_fixup_f32 v115, v114, v115, 1.0
	s_delay_alu instid0(VALU_DEP_1)
	v_mul_f32_e32 v114, v117, v115
	v_xor_b32_e32 v115, 0x80000000, v115
.LBB106_826:
	s_and_not1_saveexec_b32 s1, s1
	s_cbranch_execz .LBB106_828
; %bb.827:
	s_delay_alu instid0(VALU_DEP_1) | instskip(SKIP_1) | instid1(VALU_DEP_2)
	v_div_scale_f32 v117, null, v114, v114, v115
	v_div_scale_f32 v125, vcc_lo, v115, v114, v115
	v_rcp_f32_e32 v123, v117
	v_nop
	s_delay_alu instid0(TRANS32_DEP_1) | instskip(NEXT) | instid1(VALU_DEP_1)
	v_fma_f32 v124, -v117, v123, 1.0
	v_fmac_f32_e32 v123, v124, v123
	s_delay_alu instid0(VALU_DEP_1) | instskip(NEXT) | instid1(VALU_DEP_1)
	v_mul_f32_e32 v124, v125, v123
	v_fma_f32 v126, -v117, v124, v125
	s_delay_alu instid0(VALU_DEP_1) | instskip(NEXT) | instid1(VALU_DEP_1)
	v_fmac_f32_e32 v124, v126, v123
	v_fma_f32 v117, -v117, v124, v125
	s_delay_alu instid0(VALU_DEP_1) | instskip(NEXT) | instid1(VALU_DEP_1)
	v_div_fmas_f32 v117, v117, v123, v124
	v_div_fixup_f32 v117, v117, v114, v115
	s_delay_alu instid0(VALU_DEP_1) | instskip(NEXT) | instid1(VALU_DEP_1)
	v_fmac_f32_e32 v114, v115, v117
	v_div_scale_f32 v115, null, v114, v114, 1.0
	s_delay_alu instid0(VALU_DEP_1) | instskip(SKIP_1) | instid1(TRANS32_DEP_1)
	v_rcp_f32_e32 v123, v115
	v_nop
	v_fma_f32 v124, -v115, v123, 1.0
	s_delay_alu instid0(VALU_DEP_1) | instskip(SKIP_1) | instid1(VALU_DEP_1)
	v_fmac_f32_e32 v123, v124, v123
	v_div_scale_f32 v124, vcc_lo, 1.0, v114, 1.0
	v_mul_f32_e32 v125, v124, v123
	s_delay_alu instid0(VALU_DEP_1) | instskip(NEXT) | instid1(VALU_DEP_1)
	v_fma_f32 v126, -v115, v125, v124
	v_fmac_f32_e32 v125, v126, v123
	s_delay_alu instid0(VALU_DEP_1) | instskip(NEXT) | instid1(VALU_DEP_1)
	v_fma_f32 v115, -v115, v125, v124
	v_div_fmas_f32 v115, v115, v123, v125
	s_delay_alu instid0(VALU_DEP_1) | instskip(NEXT) | instid1(VALU_DEP_1)
	v_div_fixup_f32 v114, v115, v114, 1.0
	v_mul_f32_e64 v115, v117, -v114
.LBB106_828:
	s_or_b32 exec_lo, exec_lo, s1
.LBB106_829:
	s_delay_alu instid0(SALU_CYCLE_1) | instskip(NEXT) | instid1(SALU_CYCLE_1)
	s_or_b32 exec_lo, exec_lo, s0
	s_mov_b32 s0, exec_lo
	v_cmpx_ne_u32_e64 v122, v116
	s_xor_b32 s0, exec_lo, s0
	s_cbranch_execz .LBB106_835
; %bb.830:
	s_mov_b32 s1, exec_lo
	v_cmpx_eq_u32_e32 39, v122
	s_cbranch_execz .LBB106_834
; %bb.831:
	v_cmp_ne_u32_e32 vcc_lo, 39, v116
	s_xor_b32 s12, s16, -1
	s_delay_alu instid0(SALU_CYCLE_1) | instskip(NEXT) | instid1(SALU_CYCLE_1)
	s_and_b32 s13, s12, vcc_lo
	s_and_saveexec_b32 s12, s13
	s_cbranch_execz .LBB106_833
; %bb.832:
	v_ashrrev_i32_e32 v117, 31, v116
	s_delay_alu instid0(VALU_DEP_1)
	v_lshl_add_u64 v[122:123], v[116:117], 2, v[4:5]
	s_clause 0x1
	global_load_b32 v117, v[122:123], off
	global_load_b32 v121, v[4:5], off offset:156
	s_wait_loadcnt 0x1
	global_store_b32 v[4:5], v117, off offset:156
	s_wait_loadcnt 0x0
	global_store_b32 v[122:123], v121, off
.LBB106_833:
	s_wait_xcnt 0x0
	s_or_b32 exec_lo, exec_lo, s12
	v_dual_mov_b32 v122, v116 :: v_dual_mov_b32 v121, v116
.LBB106_834:
	s_or_b32 exec_lo, exec_lo, s1
.LBB106_835:
	s_and_not1_saveexec_b32 s0, s0
	s_cbranch_execz .LBB106_837
; %bb.836:
	v_dual_mov_b32 v116, v84 :: v_dual_mov_b32 v117, v85
	v_dual_mov_b32 v122, v18 :: v_dual_mov_b32 v123, v19
	;; [unrolled: 1-line block ×4, first 2 shown]
	ds_store_2addr_b64 v118, v[116:117], v[122:123] offset0:40 offset1:41
	ds_store_2addr_b64 v118, v[124:125], v[126:127] offset0:42 offset1:43
	v_dual_mov_b32 v116, v82 :: v_dual_mov_b32 v117, v83
	v_dual_mov_b32 v124, v10 :: v_dual_mov_b32 v125, v11
	;; [unrolled: 1-line block ×9, first 2 shown]
	v_mov_b32_e32 v139, v15
	ds_store_2addr_b64 v118, v[116:117], v[124:125] offset0:44 offset1:45
	ds_store_2addr_b64 v118, v[126:127], v[128:129] offset0:46 offset1:47
	;; [unrolled: 1-line block ×5, first 2 shown]
.LBB106_837:
	s_or_b32 exec_lo, exec_lo, s0
	s_delay_alu instid0(SALU_CYCLE_1)
	s_mov_b32 s0, exec_lo
	s_wait_storecnt_dscnt 0x0
	s_barrier_signal -1
	s_barrier_wait -1
	v_cmpx_lt_i32_e32 39, v122
	s_cbranch_execz .LBB106_839
; %bb.838:
	v_pk_mul_f32 v[116:117], v[114:115], v[22:23] op_sel:[1,1] op_sel_hi:[0,1]
	s_delay_alu instid0(VALU_DEP_1)
	v_pk_fma_f32 v[124:125], v[114:115], v[22:23], v[116:117] op_sel_hi:[1,0,1] neg_lo:[0,0,1] neg_hi:[0,0,1]
	v_pk_fma_f32 v[126:127], v[114:115], v[22:23], v[116:117] op_sel_hi:[1,0,1]
	ds_load_2addr_b64 v[114:117], v118 offset0:40 offset1:41
	v_dual_mov_b32 v22, v124 :: v_dual_mov_b32 v23, v127
	s_wait_dscnt 0x0
	v_pk_mul_f32 v[128:129], v[114:115], v[126:127] op_sel:[0,1]
	s_delay_alu instid0(VALU_DEP_1) | instskip(SKIP_1) | instid1(VALU_DEP_1)
	v_pk_fma_f32 v[130:131], v[114:115], v[124:125], v[128:129] op_sel:[0,0,1] op_sel_hi:[1,1,0] neg_lo:[0,0,1] neg_hi:[0,0,1]
	v_pk_fma_f32 v[114:115], v[114:115], v[124:125], v[128:129] op_sel:[0,0,1] op_sel_hi:[1,0,0]
	v_mov_b32_e32 v131, v115
	v_pk_mul_f32 v[114:115], v[116:117], v[126:127] op_sel:[0,1]
	s_delay_alu instid0(VALU_DEP_1) | instskip(SKIP_1) | instid1(VALU_DEP_1)
	v_pk_fma_f32 v[128:129], v[116:117], v[124:125], v[114:115] op_sel:[0,0,1] op_sel_hi:[1,1,0] neg_lo:[0,0,1] neg_hi:[0,0,1]
	v_pk_fma_f32 v[114:115], v[116:117], v[124:125], v[114:115] op_sel:[0,0,1] op_sel_hi:[1,0,0]
	v_mov_b32_e32 v129, v115
	ds_load_2addr_b64 v[114:117], v118 offset0:42 offset1:43
	v_pk_add_f32 v[84:85], v[84:85], v[130:131] neg_lo:[0,1] neg_hi:[0,1]
	v_pk_add_f32 v[18:19], v[18:19], v[128:129] neg_lo:[0,1] neg_hi:[0,1]
	s_wait_dscnt 0x0
	v_pk_mul_f32 v[128:129], v[114:115], v[126:127] op_sel:[0,1]
	s_delay_alu instid0(VALU_DEP_1) | instskip(SKIP_2) | instid1(VALU_DEP_2)
	v_pk_fma_f32 v[130:131], v[114:115], v[124:125], v[128:129] op_sel:[0,0,1] op_sel_hi:[1,1,0] neg_lo:[0,0,1] neg_hi:[0,0,1]
	v_pk_fma_f32 v[114:115], v[114:115], v[124:125], v[128:129] op_sel:[0,0,1] op_sel_hi:[1,0,0]
	v_dual_mul_f32 v128, v117, v127 :: v_dual_mov_b32 v114, v117
	v_dual_mov_b32 v131, v115 :: v_dual_mov_b32 v115, v116
	s_delay_alu instid0(VALU_DEP_2) | instskip(SKIP_1) | instid1(VALU_DEP_3)
	v_pk_fma_f32 v[128:129], v[116:117], v[22:23], v[128:129] op_sel_hi:[1,1,0] neg_lo:[0,0,1] neg_hi:[0,0,1]
	v_mul_f32_e32 v116, v117, v124
	v_pk_add_f32 v[20:21], v[20:21], v[130:131] neg_lo:[0,1] neg_hi:[0,1]
	s_delay_alu instid0(VALU_DEP_2) | instskip(NEXT) | instid1(VALU_DEP_1)
	v_pk_fma_f32 v[114:115], v[114:115], v[22:23], v[116:117] op_sel_hi:[1,1,0]
	v_mov_b32_e32 v129, v115
	ds_load_2addr_b64 v[114:117], v118 offset0:44 offset1:45
	v_pk_add_f32 v[16:17], v[16:17], v[128:129] neg_lo:[0,1] neg_hi:[0,1]
	s_wait_dscnt 0x0
	v_pk_mul_f32 v[128:129], v[114:115], v[126:127] op_sel:[0,1]
	s_delay_alu instid0(VALU_DEP_1) | instskip(SKIP_1) | instid1(VALU_DEP_1)
	v_pk_fma_f32 v[130:131], v[114:115], v[124:125], v[128:129] op_sel:[0,0,1] op_sel_hi:[1,1,0] neg_lo:[0,0,1] neg_hi:[0,0,1]
	v_pk_fma_f32 v[114:115], v[114:115], v[124:125], v[128:129] op_sel:[0,0,1] op_sel_hi:[1,0,0]
	v_mov_b32_e32 v131, v115
	v_pk_mul_f32 v[114:115], v[116:117], v[126:127] op_sel:[0,1]
	s_delay_alu instid0(VALU_DEP_1) | instskip(SKIP_1) | instid1(VALU_DEP_1)
	v_pk_fma_f32 v[128:129], v[116:117], v[124:125], v[114:115] op_sel:[0,0,1] op_sel_hi:[1,1,0] neg_lo:[0,0,1] neg_hi:[0,0,1]
	v_pk_fma_f32 v[114:115], v[116:117], v[124:125], v[114:115] op_sel:[0,0,1] op_sel_hi:[1,0,0]
	v_mov_b32_e32 v129, v115
	ds_load_2addr_b64 v[114:117], v118 offset0:46 offset1:47
	v_pk_add_f32 v[82:83], v[82:83], v[130:131] neg_lo:[0,1] neg_hi:[0,1]
	v_pk_add_f32 v[10:11], v[10:11], v[128:129] neg_lo:[0,1] neg_hi:[0,1]
	s_wait_dscnt 0x0
	v_pk_mul_f32 v[128:129], v[114:115], v[126:127] op_sel:[0,1]
	s_delay_alu instid0(VALU_DEP_1) | instskip(SKIP_1) | instid1(VALU_DEP_1)
	v_pk_fma_f32 v[130:131], v[114:115], v[124:125], v[128:129] op_sel:[0,0,1] op_sel_hi:[1,1,0] neg_lo:[0,0,1] neg_hi:[0,0,1]
	v_pk_fma_f32 v[114:115], v[114:115], v[124:125], v[128:129] op_sel:[0,0,1] op_sel_hi:[1,0,0]
	v_mov_b32_e32 v131, v115
	v_pk_mul_f32 v[114:115], v[116:117], v[126:127] op_sel:[0,1]
	s_delay_alu instid0(VALU_DEP_1) | instskip(SKIP_1) | instid1(VALU_DEP_1)
	v_pk_fma_f32 v[128:129], v[116:117], v[124:125], v[114:115] op_sel:[0,0,1] op_sel_hi:[1,1,0] neg_lo:[0,0,1] neg_hi:[0,0,1]
	v_pk_fma_f32 v[114:115], v[116:117], v[124:125], v[114:115] op_sel:[0,0,1] op_sel_hi:[1,0,0]
	v_mov_b32_e32 v129, v115
	ds_load_2addr_b64 v[114:117], v118 offset0:48 offset1:49
	v_pk_add_f32 v[12:13], v[12:13], v[130:131] neg_lo:[0,1] neg_hi:[0,1]
	v_pk_add_f32 v[8:9], v[8:9], v[128:129] neg_lo:[0,1] neg_hi:[0,1]
	s_wait_dscnt 0x0
	v_dual_mul_f32 v128, v115, v127 :: v_dual_mul_f32 v130, v115, v124
	s_delay_alu instid0(VALU_DEP_1) | instskip(NEXT) | instid1(VALU_DEP_2)
	v_pk_fma_f32 v[128:129], v[114:115], v[22:23], v[128:129] op_sel_hi:[1,1,0] neg_lo:[0,0,1] neg_hi:[0,0,1]
	v_pk_fma_f32 v[114:115], v[114:115], v[22:23], v[130:131] op_sel:[1,0,0] op_sel_hi:[0,1,0]
	s_delay_alu instid0(VALU_DEP_1) | instskip(SKIP_1) | instid1(VALU_DEP_2)
	v_mov_b32_e32 v129, v115
	v_pk_mul_f32 v[114:115], v[116:117], v[126:127] op_sel:[0,1]
	v_pk_add_f32 v[66:67], v[66:67], v[128:129] neg_lo:[0,1] neg_hi:[0,1]
	s_delay_alu instid0(VALU_DEP_2) | instskip(SKIP_1) | instid1(VALU_DEP_1)
	v_pk_fma_f32 v[128:129], v[116:117], v[124:125], v[114:115] op_sel:[0,0,1] op_sel_hi:[1,1,0] neg_lo:[0,0,1] neg_hi:[0,0,1]
	v_pk_fma_f32 v[114:115], v[116:117], v[124:125], v[114:115] op_sel:[0,0,1] op_sel_hi:[1,0,0]
	v_mov_b32_e32 v129, v115
	ds_load_2addr_b64 v[114:117], v118 offset0:50 offset1:51
	v_pk_add_f32 v[6:7], v[6:7], v[128:129] neg_lo:[0,1] neg_hi:[0,1]
	s_wait_dscnt 0x0
	v_pk_mul_f32 v[128:129], v[114:115], v[126:127] op_sel:[0,1]
	s_delay_alu instid0(VALU_DEP_1) | instskip(SKIP_1) | instid1(VALU_DEP_1)
	v_pk_fma_f32 v[130:131], v[114:115], v[124:125], v[128:129] op_sel:[0,0,1] op_sel_hi:[1,1,0] neg_lo:[0,0,1] neg_hi:[0,0,1]
	v_pk_fma_f32 v[114:115], v[114:115], v[124:125], v[128:129] op_sel:[0,0,1] op_sel_hi:[1,0,0]
	v_mov_b32_e32 v131, v115
	v_pk_mul_f32 v[114:115], v[116:117], v[126:127] op_sel:[0,1]
	s_delay_alu instid0(VALU_DEP_2) | instskip(NEXT) | instid1(VALU_DEP_2)
	v_pk_add_f32 v[46:47], v[46:47], v[130:131] neg_lo:[0,1] neg_hi:[0,1]
	v_pk_fma_f32 v[128:129], v[116:117], v[124:125], v[114:115] op_sel:[0,0,1] op_sel_hi:[1,1,0] neg_lo:[0,0,1] neg_hi:[0,0,1]
	v_pk_fma_f32 v[114:115], v[116:117], v[124:125], v[114:115] op_sel:[0,0,1] op_sel_hi:[1,0,0]
	s_delay_alu instid0(VALU_DEP_1) | instskip(SKIP_4) | instid1(VALU_DEP_1)
	v_mov_b32_e32 v129, v115
	ds_load_2addr_b64 v[114:117], v118 offset0:52 offset1:53
	v_pk_add_f32 v[28:29], v[28:29], v[128:129] neg_lo:[0,1] neg_hi:[0,1]
	s_wait_dscnt 0x0
	v_pk_mul_f32 v[128:129], v[114:115], v[126:127] op_sel:[0,1]
	v_pk_fma_f32 v[130:131], v[114:115], v[124:125], v[128:129] op_sel:[0,0,1] op_sel_hi:[1,1,0] neg_lo:[0,0,1] neg_hi:[0,0,1]
	v_pk_fma_f32 v[114:115], v[114:115], v[124:125], v[128:129] op_sel:[0,0,1] op_sel_hi:[1,0,0]
	s_delay_alu instid0(VALU_DEP_1) | instskip(SKIP_1) | instid1(VALU_DEP_2)
	v_mov_b32_e32 v131, v115
	v_pk_mul_f32 v[114:115], v[116:117], v[126:127] op_sel:[0,1]
	v_pk_add_f32 v[14:15], v[14:15], v[130:131] neg_lo:[0,1] neg_hi:[0,1]
	s_delay_alu instid0(VALU_DEP_2) | instskip(SKIP_1) | instid1(VALU_DEP_1)
	v_pk_fma_f32 v[126:127], v[116:117], v[124:125], v[114:115] op_sel:[0,0,1] op_sel_hi:[1,1,0] neg_lo:[0,0,1] neg_hi:[0,0,1]
	v_pk_fma_f32 v[114:115], v[116:117], v[124:125], v[114:115] op_sel:[0,0,1] op_sel_hi:[1,0,0]
	v_mov_b32_e32 v127, v115
	s_delay_alu instid0(VALU_DEP_1)
	v_pk_add_f32 v[112:113], v[112:113], v[126:127] neg_lo:[0,1] neg_hi:[0,1]
.LBB106_839:
	s_or_b32 exec_lo, exec_lo, s0
	v_lshl_add_u32 v114, v122, 3, v118
	s_barrier_signal -1
	s_barrier_wait -1
	ds_store_b64 v114, v[84:85]
	s_wait_dscnt 0x0
	s_barrier_signal -1
	s_barrier_wait -1
	ds_load_b64 v[114:115], v118 offset:320
	v_mov_b32_e32 v116, 40
	s_cmp_lt_i32 s18, 42
	s_cbranch_scc1 .LBB106_842
; %bb.840:
	v_add3_u32 v117, v119, 0, 0x148
	v_mov_b32_e32 v116, 40
	s_mov_b32 s0, 41
.LBB106_841:                            ; =>This Inner Loop Header: Depth=1
	ds_load_b64 v[124:125], v117
	s_wait_dscnt 0x1
	v_cmp_gt_f32_e32 vcc_lo, 0, v114
	v_cndmask_b32_e64 v126, v114, -v114, vcc_lo
	v_cmp_gt_f32_e32 vcc_lo, 0, v115
	v_cndmask_b32_e64 v128, v115, -v115, vcc_lo
	s_wait_dscnt 0x0
	v_cmp_gt_f32_e32 vcc_lo, 0, v124
	v_cndmask_b32_e64 v127, v124, -v124, vcc_lo
	v_cmp_gt_f32_e32 vcc_lo, 0, v125
	v_cndmask_b32_e64 v129, v125, -v125, vcc_lo
	s_delay_alu instid0(VALU_DEP_1) | instskip(NEXT) | instid1(VALU_DEP_1)
	v_pk_add_f32 v[126:127], v[126:127], v[128:129]
	v_cmp_lt_f32_e32 vcc_lo, v126, v127
	v_dual_cndmask_b32 v114, v114, v124 :: v_dual_add_nc_u32 v117, 8, v117
	v_cndmask_b32_e32 v115, v115, v125, vcc_lo
	v_cndmask_b32_e64 v116, v116, s0, vcc_lo
	s_add_co_i32 s0, s0, 1
	s_delay_alu instid0(SALU_CYCLE_1)
	s_cmp_lg_u32 s18, s0
	s_cbranch_scc1 .LBB106_841
.LBB106_842:
	s_wait_dscnt 0x0
	v_cmp_eq_f32_e32 vcc_lo, 0, v114
	v_cmp_eq_f32_e64 s0, 0, v115
	s_and_b32 s0, vcc_lo, s0
	s_delay_alu instid0(SALU_CYCLE_1) | instskip(NEXT) | instid1(SALU_CYCLE_1)
	s_and_saveexec_b32 s1, s0
	s_xor_b32 s0, exec_lo, s1
; %bb.843:
	v_cmp_ne_u32_e32 vcc_lo, 0, v120
	v_cndmask_b32_e32 v120, 41, v120, vcc_lo
; %bb.844:
	s_and_not1_saveexec_b32 s0, s0
	s_cbranch_execz .LBB106_850
; %bb.845:
	v_cmp_ngt_f32_e64 s1, |v114|, |v115|
	s_and_saveexec_b32 s12, s1
	s_delay_alu instid0(SALU_CYCLE_1)
	s_xor_b32 s1, exec_lo, s12
	s_cbranch_execz .LBB106_847
; %bb.846:
	v_div_scale_f32 v117, null, v115, v115, v114
	v_div_scale_f32 v125, vcc_lo, v114, v115, v114
	s_delay_alu instid0(VALU_DEP_2) | instskip(SKIP_1) | instid1(TRANS32_DEP_1)
	v_rcp_f32_e32 v123, v117
	v_nop
	v_fma_f32 v124, -v117, v123, 1.0
	s_delay_alu instid0(VALU_DEP_1) | instskip(NEXT) | instid1(VALU_DEP_1)
	v_fmac_f32_e32 v123, v124, v123
	v_mul_f32_e32 v124, v125, v123
	s_delay_alu instid0(VALU_DEP_1) | instskip(NEXT) | instid1(VALU_DEP_1)
	v_fma_f32 v126, -v117, v124, v125
	v_fmac_f32_e32 v124, v126, v123
	s_delay_alu instid0(VALU_DEP_1) | instskip(NEXT) | instid1(VALU_DEP_1)
	v_fma_f32 v117, -v117, v124, v125
	v_div_fmas_f32 v117, v117, v123, v124
	s_delay_alu instid0(VALU_DEP_1) | instskip(NEXT) | instid1(VALU_DEP_1)
	v_div_fixup_f32 v117, v117, v115, v114
	v_fmac_f32_e32 v115, v114, v117
	s_delay_alu instid0(VALU_DEP_1) | instskip(SKIP_1) | instid1(VALU_DEP_2)
	v_div_scale_f32 v114, null, v115, v115, 1.0
	v_div_scale_f32 v125, vcc_lo, 1.0, v115, 1.0
	v_rcp_f32_e32 v123, v114
	v_nop
	s_delay_alu instid0(TRANS32_DEP_1) | instskip(NEXT) | instid1(VALU_DEP_1)
	v_fma_f32 v124, -v114, v123, 1.0
	v_fmac_f32_e32 v123, v124, v123
	s_delay_alu instid0(VALU_DEP_1) | instskip(NEXT) | instid1(VALU_DEP_1)
	v_mul_f32_e32 v124, v125, v123
	v_fma_f32 v126, -v114, v124, v125
	s_delay_alu instid0(VALU_DEP_1) | instskip(NEXT) | instid1(VALU_DEP_1)
	v_fmac_f32_e32 v124, v126, v123
	v_fma_f32 v114, -v114, v124, v125
	s_delay_alu instid0(VALU_DEP_1) | instskip(NEXT) | instid1(VALU_DEP_1)
	v_div_fmas_f32 v114, v114, v123, v124
	v_div_fixup_f32 v115, v114, v115, 1.0
	s_delay_alu instid0(VALU_DEP_1)
	v_mul_f32_e32 v114, v117, v115
	v_xor_b32_e32 v115, 0x80000000, v115
.LBB106_847:
	s_and_not1_saveexec_b32 s1, s1
	s_cbranch_execz .LBB106_849
; %bb.848:
	s_delay_alu instid0(VALU_DEP_1) | instskip(SKIP_1) | instid1(VALU_DEP_2)
	v_div_scale_f32 v117, null, v114, v114, v115
	v_div_scale_f32 v125, vcc_lo, v115, v114, v115
	v_rcp_f32_e32 v123, v117
	v_nop
	s_delay_alu instid0(TRANS32_DEP_1) | instskip(NEXT) | instid1(VALU_DEP_1)
	v_fma_f32 v124, -v117, v123, 1.0
	v_fmac_f32_e32 v123, v124, v123
	s_delay_alu instid0(VALU_DEP_1) | instskip(NEXT) | instid1(VALU_DEP_1)
	v_mul_f32_e32 v124, v125, v123
	v_fma_f32 v126, -v117, v124, v125
	s_delay_alu instid0(VALU_DEP_1) | instskip(NEXT) | instid1(VALU_DEP_1)
	v_fmac_f32_e32 v124, v126, v123
	v_fma_f32 v117, -v117, v124, v125
	s_delay_alu instid0(VALU_DEP_1) | instskip(NEXT) | instid1(VALU_DEP_1)
	v_div_fmas_f32 v117, v117, v123, v124
	v_div_fixup_f32 v117, v117, v114, v115
	s_delay_alu instid0(VALU_DEP_1) | instskip(NEXT) | instid1(VALU_DEP_1)
	v_fmac_f32_e32 v114, v115, v117
	v_div_scale_f32 v115, null, v114, v114, 1.0
	s_delay_alu instid0(VALU_DEP_1) | instskip(SKIP_1) | instid1(TRANS32_DEP_1)
	v_rcp_f32_e32 v123, v115
	v_nop
	v_fma_f32 v124, -v115, v123, 1.0
	s_delay_alu instid0(VALU_DEP_1) | instskip(SKIP_1) | instid1(VALU_DEP_1)
	v_fmac_f32_e32 v123, v124, v123
	v_div_scale_f32 v124, vcc_lo, 1.0, v114, 1.0
	v_mul_f32_e32 v125, v124, v123
	s_delay_alu instid0(VALU_DEP_1) | instskip(NEXT) | instid1(VALU_DEP_1)
	v_fma_f32 v126, -v115, v125, v124
	v_fmac_f32_e32 v125, v126, v123
	s_delay_alu instid0(VALU_DEP_1) | instskip(NEXT) | instid1(VALU_DEP_1)
	v_fma_f32 v115, -v115, v125, v124
	v_div_fmas_f32 v115, v115, v123, v125
	s_delay_alu instid0(VALU_DEP_1) | instskip(NEXT) | instid1(VALU_DEP_1)
	v_div_fixup_f32 v114, v115, v114, 1.0
	v_mul_f32_e64 v115, v117, -v114
.LBB106_849:
	s_or_b32 exec_lo, exec_lo, s1
.LBB106_850:
	s_delay_alu instid0(SALU_CYCLE_1) | instskip(NEXT) | instid1(SALU_CYCLE_1)
	s_or_b32 exec_lo, exec_lo, s0
	s_mov_b32 s0, exec_lo
	v_cmpx_ne_u32_e64 v122, v116
	s_xor_b32 s0, exec_lo, s0
	s_cbranch_execz .LBB106_856
; %bb.851:
	s_mov_b32 s1, exec_lo
	v_cmpx_eq_u32_e32 40, v122
	s_cbranch_execz .LBB106_855
; %bb.852:
	v_cmp_ne_u32_e32 vcc_lo, 40, v116
	s_xor_b32 s12, s16, -1
	s_delay_alu instid0(SALU_CYCLE_1) | instskip(NEXT) | instid1(SALU_CYCLE_1)
	s_and_b32 s13, s12, vcc_lo
	s_and_saveexec_b32 s12, s13
	s_cbranch_execz .LBB106_854
; %bb.853:
	v_ashrrev_i32_e32 v117, 31, v116
	s_delay_alu instid0(VALU_DEP_1)
	v_lshl_add_u64 v[122:123], v[116:117], 2, v[4:5]
	s_clause 0x1
	global_load_b32 v117, v[122:123], off
	global_load_b32 v121, v[4:5], off offset:160
	s_wait_loadcnt 0x1
	global_store_b32 v[4:5], v117, off offset:160
	s_wait_loadcnt 0x0
	global_store_b32 v[122:123], v121, off
.LBB106_854:
	s_wait_xcnt 0x0
	s_or_b32 exec_lo, exec_lo, s12
	v_dual_mov_b32 v122, v116 :: v_dual_mov_b32 v121, v116
.LBB106_855:
	s_or_b32 exec_lo, exec_lo, s1
.LBB106_856:
	s_and_not1_saveexec_b32 s0, s0
	s_cbranch_execz .LBB106_858
; %bb.857:
	v_mov_b32_e32 v122, 40
	ds_store_2addr_b64 v118, v[18:19], v[20:21] offset0:41 offset1:42
	ds_store_2addr_b64 v118, v[16:17], v[82:83] offset0:43 offset1:44
	;; [unrolled: 1-line block ×6, first 2 shown]
	ds_store_b64 v118, v[112:113] offset:424
.LBB106_858:
	s_or_b32 exec_lo, exec_lo, s0
	s_delay_alu instid0(SALU_CYCLE_1)
	s_mov_b32 s0, exec_lo
	s_wait_storecnt_dscnt 0x0
	s_barrier_signal -1
	s_barrier_wait -1
	v_cmpx_lt_i32_e32 40, v122
	s_cbranch_execz .LBB106_860
; %bb.859:
	v_pk_mul_f32 v[116:117], v[114:115], v[84:85] op_sel:[1,1] op_sel_hi:[0,1]
	s_delay_alu instid0(VALU_DEP_1)
	v_pk_fma_f32 v[124:125], v[114:115], v[84:85], v[116:117] op_sel_hi:[1,0,1] neg_lo:[0,0,1] neg_hi:[0,0,1]
	v_pk_fma_f32 v[126:127], v[114:115], v[84:85], v[116:117] op_sel_hi:[1,0,1]
	ds_load_2addr_b64 v[114:117], v118 offset0:41 offset1:42
	v_dual_mov_b32 v84, v124 :: v_dual_mov_b32 v85, v127
	s_wait_dscnt 0x0
	v_pk_mul_f32 v[128:129], v[114:115], v[126:127] op_sel:[0,1]
	s_delay_alu instid0(VALU_DEP_1) | instskip(SKIP_1) | instid1(VALU_DEP_1)
	v_pk_fma_f32 v[130:131], v[114:115], v[124:125], v[128:129] op_sel:[0,0,1] op_sel_hi:[1,1,0] neg_lo:[0,0,1] neg_hi:[0,0,1]
	v_pk_fma_f32 v[114:115], v[114:115], v[124:125], v[128:129] op_sel:[0,0,1] op_sel_hi:[1,0,0]
	v_mov_b32_e32 v131, v115
	v_pk_mul_f32 v[114:115], v[116:117], v[126:127] op_sel:[0,1]
	s_delay_alu instid0(VALU_DEP_1) | instskip(SKIP_1) | instid1(VALU_DEP_1)
	v_pk_fma_f32 v[128:129], v[116:117], v[124:125], v[114:115] op_sel:[0,0,1] op_sel_hi:[1,1,0] neg_lo:[0,0,1] neg_hi:[0,0,1]
	v_pk_fma_f32 v[114:115], v[116:117], v[124:125], v[114:115] op_sel:[0,0,1] op_sel_hi:[1,0,0]
	v_mov_b32_e32 v129, v115
	ds_load_2addr_b64 v[114:117], v118 offset0:43 offset1:44
	v_pk_add_f32 v[18:19], v[18:19], v[130:131] neg_lo:[0,1] neg_hi:[0,1]
	v_pk_add_f32 v[20:21], v[20:21], v[128:129] neg_lo:[0,1] neg_hi:[0,1]
	s_wait_dscnt 0x0
	v_pk_mul_f32 v[128:129], v[114:115], v[126:127] op_sel:[0,1]
	s_delay_alu instid0(VALU_DEP_1) | instskip(SKIP_2) | instid1(VALU_DEP_2)
	v_pk_fma_f32 v[130:131], v[114:115], v[124:125], v[128:129] op_sel:[0,0,1] op_sel_hi:[1,1,0] neg_lo:[0,0,1] neg_hi:[0,0,1]
	v_pk_fma_f32 v[114:115], v[114:115], v[124:125], v[128:129] op_sel:[0,0,1] op_sel_hi:[1,0,0]
	v_dual_mul_f32 v128, v117, v127 :: v_dual_mov_b32 v114, v117
	v_dual_mov_b32 v131, v115 :: v_dual_mov_b32 v115, v116
	s_delay_alu instid0(VALU_DEP_2) | instskip(SKIP_1) | instid1(VALU_DEP_3)
	v_pk_fma_f32 v[128:129], v[116:117], v[84:85], v[128:129] op_sel_hi:[1,1,0] neg_lo:[0,0,1] neg_hi:[0,0,1]
	v_mul_f32_e32 v116, v117, v124
	v_pk_add_f32 v[16:17], v[16:17], v[130:131] neg_lo:[0,1] neg_hi:[0,1]
	s_delay_alu instid0(VALU_DEP_2) | instskip(NEXT) | instid1(VALU_DEP_1)
	v_pk_fma_f32 v[114:115], v[114:115], v[84:85], v[116:117] op_sel_hi:[1,1,0]
	v_mov_b32_e32 v129, v115
	ds_load_2addr_b64 v[114:117], v118 offset0:45 offset1:46
	v_pk_add_f32 v[82:83], v[82:83], v[128:129] neg_lo:[0,1] neg_hi:[0,1]
	s_wait_dscnt 0x0
	v_pk_mul_f32 v[128:129], v[114:115], v[126:127] op_sel:[0,1]
	s_delay_alu instid0(VALU_DEP_1) | instskip(SKIP_1) | instid1(VALU_DEP_1)
	v_pk_fma_f32 v[130:131], v[114:115], v[124:125], v[128:129] op_sel:[0,0,1] op_sel_hi:[1,1,0] neg_lo:[0,0,1] neg_hi:[0,0,1]
	v_pk_fma_f32 v[114:115], v[114:115], v[124:125], v[128:129] op_sel:[0,0,1] op_sel_hi:[1,0,0]
	v_mov_b32_e32 v131, v115
	v_pk_mul_f32 v[114:115], v[116:117], v[126:127] op_sel:[0,1]
	s_delay_alu instid0(VALU_DEP_1) | instskip(SKIP_1) | instid1(VALU_DEP_1)
	v_pk_fma_f32 v[128:129], v[116:117], v[124:125], v[114:115] op_sel:[0,0,1] op_sel_hi:[1,1,0] neg_lo:[0,0,1] neg_hi:[0,0,1]
	v_pk_fma_f32 v[114:115], v[116:117], v[124:125], v[114:115] op_sel:[0,0,1] op_sel_hi:[1,0,0]
	v_mov_b32_e32 v129, v115
	ds_load_2addr_b64 v[114:117], v118 offset0:47 offset1:48
	v_pk_add_f32 v[10:11], v[10:11], v[130:131] neg_lo:[0,1] neg_hi:[0,1]
	v_pk_add_f32 v[12:13], v[12:13], v[128:129] neg_lo:[0,1] neg_hi:[0,1]
	s_wait_dscnt 0x0
	v_pk_mul_f32 v[128:129], v[114:115], v[126:127] op_sel:[0,1]
	s_delay_alu instid0(VALU_DEP_1) | instskip(SKIP_1) | instid1(VALU_DEP_1)
	v_pk_fma_f32 v[130:131], v[114:115], v[124:125], v[128:129] op_sel:[0,0,1] op_sel_hi:[1,1,0] neg_lo:[0,0,1] neg_hi:[0,0,1]
	v_pk_fma_f32 v[114:115], v[114:115], v[124:125], v[128:129] op_sel:[0,0,1] op_sel_hi:[1,0,0]
	v_mov_b32_e32 v131, v115
	v_pk_mul_f32 v[114:115], v[116:117], v[126:127] op_sel:[0,1]
	s_delay_alu instid0(VALU_DEP_1) | instskip(SKIP_1) | instid1(VALU_DEP_1)
	v_pk_fma_f32 v[128:129], v[116:117], v[124:125], v[114:115] op_sel:[0,0,1] op_sel_hi:[1,1,0] neg_lo:[0,0,1] neg_hi:[0,0,1]
	v_pk_fma_f32 v[114:115], v[116:117], v[124:125], v[114:115] op_sel:[0,0,1] op_sel_hi:[1,0,0]
	v_mov_b32_e32 v129, v115
	ds_load_2addr_b64 v[114:117], v118 offset0:49 offset1:50
	v_pk_add_f32 v[8:9], v[8:9], v[130:131] neg_lo:[0,1] neg_hi:[0,1]
	v_pk_add_f32 v[66:67], v[66:67], v[128:129] neg_lo:[0,1] neg_hi:[0,1]
	s_wait_dscnt 0x0
	v_dual_mul_f32 v128, v115, v127 :: v_dual_mul_f32 v130, v115, v124
	s_delay_alu instid0(VALU_DEP_1) | instskip(NEXT) | instid1(VALU_DEP_2)
	v_pk_fma_f32 v[128:129], v[114:115], v[84:85], v[128:129] op_sel_hi:[1,1,0] neg_lo:[0,0,1] neg_hi:[0,0,1]
	v_pk_fma_f32 v[114:115], v[114:115], v[84:85], v[130:131] op_sel:[1,0,0] op_sel_hi:[0,1,0]
	s_delay_alu instid0(VALU_DEP_1) | instskip(SKIP_1) | instid1(VALU_DEP_2)
	v_mov_b32_e32 v129, v115
	v_pk_mul_f32 v[114:115], v[116:117], v[126:127] op_sel:[0,1]
	v_pk_add_f32 v[6:7], v[6:7], v[128:129] neg_lo:[0,1] neg_hi:[0,1]
	s_delay_alu instid0(VALU_DEP_2) | instskip(SKIP_1) | instid1(VALU_DEP_1)
	v_pk_fma_f32 v[128:129], v[116:117], v[124:125], v[114:115] op_sel:[0,0,1] op_sel_hi:[1,1,0] neg_lo:[0,0,1] neg_hi:[0,0,1]
	v_pk_fma_f32 v[114:115], v[116:117], v[124:125], v[114:115] op_sel:[0,0,1] op_sel_hi:[1,0,0]
	v_mov_b32_e32 v129, v115
	ds_load_2addr_b64 v[114:117], v118 offset0:51 offset1:52
	v_pk_add_f32 v[46:47], v[46:47], v[128:129] neg_lo:[0,1] neg_hi:[0,1]
	s_wait_dscnt 0x0
	v_pk_mul_f32 v[128:129], v[114:115], v[126:127] op_sel:[0,1]
	s_delay_alu instid0(VALU_DEP_1) | instskip(SKIP_1) | instid1(VALU_DEP_1)
	v_pk_fma_f32 v[130:131], v[114:115], v[124:125], v[128:129] op_sel:[0,0,1] op_sel_hi:[1,1,0] neg_lo:[0,0,1] neg_hi:[0,0,1]
	v_pk_fma_f32 v[114:115], v[114:115], v[124:125], v[128:129] op_sel:[0,0,1] op_sel_hi:[1,0,0]
	v_mov_b32_e32 v131, v115
	v_pk_mul_f32 v[114:115], v[116:117], v[126:127] op_sel:[0,1]
	s_delay_alu instid0(VALU_DEP_2) | instskip(NEXT) | instid1(VALU_DEP_2)
	v_pk_add_f32 v[28:29], v[28:29], v[130:131] neg_lo:[0,1] neg_hi:[0,1]
	v_pk_fma_f32 v[128:129], v[116:117], v[124:125], v[114:115] op_sel:[0,0,1] op_sel_hi:[1,1,0] neg_lo:[0,0,1] neg_hi:[0,0,1]
	v_pk_fma_f32 v[114:115], v[116:117], v[124:125], v[114:115] op_sel:[0,0,1] op_sel_hi:[1,0,0]
	s_delay_alu instid0(VALU_DEP_1) | instskip(SKIP_4) | instid1(VALU_DEP_1)
	v_mov_b32_e32 v129, v115
	ds_load_b64 v[114:115], v118 offset:424
	v_pk_add_f32 v[14:15], v[14:15], v[128:129] neg_lo:[0,1] neg_hi:[0,1]
	s_wait_dscnt 0x0
	v_pk_mul_f32 v[116:117], v[114:115], v[126:127] op_sel:[0,1]
	v_pk_fma_f32 v[126:127], v[114:115], v[124:125], v[116:117] op_sel:[0,0,1] op_sel_hi:[1,1,0] neg_lo:[0,0,1] neg_hi:[0,0,1]
	v_pk_fma_f32 v[114:115], v[114:115], v[124:125], v[116:117] op_sel:[0,0,1] op_sel_hi:[1,0,0]
	s_delay_alu instid0(VALU_DEP_1) | instskip(NEXT) | instid1(VALU_DEP_1)
	v_mov_b32_e32 v127, v115
	v_pk_add_f32 v[112:113], v[112:113], v[126:127] neg_lo:[0,1] neg_hi:[0,1]
.LBB106_860:
	s_or_b32 exec_lo, exec_lo, s0
	v_lshl_add_u32 v114, v122, 3, v118
	s_barrier_signal -1
	s_barrier_wait -1
	ds_store_b64 v114, v[18:19]
	s_wait_dscnt 0x0
	s_barrier_signal -1
	s_barrier_wait -1
	ds_load_b64 v[114:115], v118 offset:328
	v_mov_b32_e32 v116, 41
	s_cmp_lt_i32 s18, 43
	s_cbranch_scc1 .LBB106_863
; %bb.861:
	v_add3_u32 v117, v119, 0, 0x150
	v_mov_b32_e32 v116, 41
	s_mov_b32 s0, 42
.LBB106_862:                            ; =>This Inner Loop Header: Depth=1
	ds_load_b64 v[124:125], v117
	s_wait_dscnt 0x1
	v_cmp_gt_f32_e32 vcc_lo, 0, v114
	v_cndmask_b32_e64 v126, v114, -v114, vcc_lo
	v_cmp_gt_f32_e32 vcc_lo, 0, v115
	v_cndmask_b32_e64 v128, v115, -v115, vcc_lo
	s_wait_dscnt 0x0
	v_cmp_gt_f32_e32 vcc_lo, 0, v124
	v_cndmask_b32_e64 v127, v124, -v124, vcc_lo
	v_cmp_gt_f32_e32 vcc_lo, 0, v125
	v_cndmask_b32_e64 v129, v125, -v125, vcc_lo
	s_delay_alu instid0(VALU_DEP_1) | instskip(NEXT) | instid1(VALU_DEP_1)
	v_pk_add_f32 v[126:127], v[126:127], v[128:129]
	v_cmp_lt_f32_e32 vcc_lo, v126, v127
	v_dual_cndmask_b32 v114, v114, v124 :: v_dual_add_nc_u32 v117, 8, v117
	v_cndmask_b32_e32 v115, v115, v125, vcc_lo
	v_cndmask_b32_e64 v116, v116, s0, vcc_lo
	s_add_co_i32 s0, s0, 1
	s_delay_alu instid0(SALU_CYCLE_1)
	s_cmp_lg_u32 s18, s0
	s_cbranch_scc1 .LBB106_862
.LBB106_863:
	s_wait_dscnt 0x0
	v_cmp_eq_f32_e32 vcc_lo, 0, v114
	v_cmp_eq_f32_e64 s0, 0, v115
	s_and_b32 s0, vcc_lo, s0
	s_delay_alu instid0(SALU_CYCLE_1) | instskip(NEXT) | instid1(SALU_CYCLE_1)
	s_and_saveexec_b32 s1, s0
	s_xor_b32 s0, exec_lo, s1
; %bb.864:
	v_cmp_ne_u32_e32 vcc_lo, 0, v120
	v_cndmask_b32_e32 v120, 42, v120, vcc_lo
; %bb.865:
	s_and_not1_saveexec_b32 s0, s0
	s_cbranch_execz .LBB106_871
; %bb.866:
	v_cmp_ngt_f32_e64 s1, |v114|, |v115|
	s_and_saveexec_b32 s12, s1
	s_delay_alu instid0(SALU_CYCLE_1)
	s_xor_b32 s1, exec_lo, s12
	s_cbranch_execz .LBB106_868
; %bb.867:
	v_div_scale_f32 v117, null, v115, v115, v114
	v_div_scale_f32 v125, vcc_lo, v114, v115, v114
	s_delay_alu instid0(VALU_DEP_2) | instskip(SKIP_1) | instid1(TRANS32_DEP_1)
	v_rcp_f32_e32 v123, v117
	v_nop
	v_fma_f32 v124, -v117, v123, 1.0
	s_delay_alu instid0(VALU_DEP_1) | instskip(NEXT) | instid1(VALU_DEP_1)
	v_fmac_f32_e32 v123, v124, v123
	v_mul_f32_e32 v124, v125, v123
	s_delay_alu instid0(VALU_DEP_1) | instskip(NEXT) | instid1(VALU_DEP_1)
	v_fma_f32 v126, -v117, v124, v125
	v_fmac_f32_e32 v124, v126, v123
	s_delay_alu instid0(VALU_DEP_1) | instskip(NEXT) | instid1(VALU_DEP_1)
	v_fma_f32 v117, -v117, v124, v125
	v_div_fmas_f32 v117, v117, v123, v124
	s_delay_alu instid0(VALU_DEP_1) | instskip(NEXT) | instid1(VALU_DEP_1)
	v_div_fixup_f32 v117, v117, v115, v114
	v_fmac_f32_e32 v115, v114, v117
	s_delay_alu instid0(VALU_DEP_1) | instskip(SKIP_1) | instid1(VALU_DEP_2)
	v_div_scale_f32 v114, null, v115, v115, 1.0
	v_div_scale_f32 v125, vcc_lo, 1.0, v115, 1.0
	v_rcp_f32_e32 v123, v114
	v_nop
	s_delay_alu instid0(TRANS32_DEP_1) | instskip(NEXT) | instid1(VALU_DEP_1)
	v_fma_f32 v124, -v114, v123, 1.0
	v_fmac_f32_e32 v123, v124, v123
	s_delay_alu instid0(VALU_DEP_1) | instskip(NEXT) | instid1(VALU_DEP_1)
	v_mul_f32_e32 v124, v125, v123
	v_fma_f32 v126, -v114, v124, v125
	s_delay_alu instid0(VALU_DEP_1) | instskip(NEXT) | instid1(VALU_DEP_1)
	v_fmac_f32_e32 v124, v126, v123
	v_fma_f32 v114, -v114, v124, v125
	s_delay_alu instid0(VALU_DEP_1) | instskip(NEXT) | instid1(VALU_DEP_1)
	v_div_fmas_f32 v114, v114, v123, v124
	v_div_fixup_f32 v115, v114, v115, 1.0
	s_delay_alu instid0(VALU_DEP_1)
	v_mul_f32_e32 v114, v117, v115
	v_xor_b32_e32 v115, 0x80000000, v115
.LBB106_868:
	s_and_not1_saveexec_b32 s1, s1
	s_cbranch_execz .LBB106_870
; %bb.869:
	s_delay_alu instid0(VALU_DEP_1) | instskip(SKIP_1) | instid1(VALU_DEP_2)
	v_div_scale_f32 v117, null, v114, v114, v115
	v_div_scale_f32 v125, vcc_lo, v115, v114, v115
	v_rcp_f32_e32 v123, v117
	v_nop
	s_delay_alu instid0(TRANS32_DEP_1) | instskip(NEXT) | instid1(VALU_DEP_1)
	v_fma_f32 v124, -v117, v123, 1.0
	v_fmac_f32_e32 v123, v124, v123
	s_delay_alu instid0(VALU_DEP_1) | instskip(NEXT) | instid1(VALU_DEP_1)
	v_mul_f32_e32 v124, v125, v123
	v_fma_f32 v126, -v117, v124, v125
	s_delay_alu instid0(VALU_DEP_1) | instskip(NEXT) | instid1(VALU_DEP_1)
	v_fmac_f32_e32 v124, v126, v123
	v_fma_f32 v117, -v117, v124, v125
	s_delay_alu instid0(VALU_DEP_1) | instskip(NEXT) | instid1(VALU_DEP_1)
	v_div_fmas_f32 v117, v117, v123, v124
	v_div_fixup_f32 v117, v117, v114, v115
	s_delay_alu instid0(VALU_DEP_1) | instskip(NEXT) | instid1(VALU_DEP_1)
	v_fmac_f32_e32 v114, v115, v117
	v_div_scale_f32 v115, null, v114, v114, 1.0
	s_delay_alu instid0(VALU_DEP_1) | instskip(SKIP_1) | instid1(TRANS32_DEP_1)
	v_rcp_f32_e32 v123, v115
	v_nop
	v_fma_f32 v124, -v115, v123, 1.0
	s_delay_alu instid0(VALU_DEP_1) | instskip(SKIP_1) | instid1(VALU_DEP_1)
	v_fmac_f32_e32 v123, v124, v123
	v_div_scale_f32 v124, vcc_lo, 1.0, v114, 1.0
	v_mul_f32_e32 v125, v124, v123
	s_delay_alu instid0(VALU_DEP_1) | instskip(NEXT) | instid1(VALU_DEP_1)
	v_fma_f32 v126, -v115, v125, v124
	v_fmac_f32_e32 v125, v126, v123
	s_delay_alu instid0(VALU_DEP_1) | instskip(NEXT) | instid1(VALU_DEP_1)
	v_fma_f32 v115, -v115, v125, v124
	v_div_fmas_f32 v115, v115, v123, v125
	s_delay_alu instid0(VALU_DEP_1) | instskip(NEXT) | instid1(VALU_DEP_1)
	v_div_fixup_f32 v114, v115, v114, 1.0
	v_mul_f32_e64 v115, v117, -v114
.LBB106_870:
	s_or_b32 exec_lo, exec_lo, s1
.LBB106_871:
	s_delay_alu instid0(SALU_CYCLE_1) | instskip(NEXT) | instid1(SALU_CYCLE_1)
	s_or_b32 exec_lo, exec_lo, s0
	s_mov_b32 s0, exec_lo
	v_cmpx_ne_u32_e64 v122, v116
	s_xor_b32 s0, exec_lo, s0
	s_cbranch_execz .LBB106_877
; %bb.872:
	s_mov_b32 s1, exec_lo
	v_cmpx_eq_u32_e32 41, v122
	s_cbranch_execz .LBB106_876
; %bb.873:
	v_cmp_ne_u32_e32 vcc_lo, 41, v116
	s_xor_b32 s12, s16, -1
	s_delay_alu instid0(SALU_CYCLE_1) | instskip(NEXT) | instid1(SALU_CYCLE_1)
	s_and_b32 s13, s12, vcc_lo
	s_and_saveexec_b32 s12, s13
	s_cbranch_execz .LBB106_875
; %bb.874:
	v_ashrrev_i32_e32 v117, 31, v116
	s_delay_alu instid0(VALU_DEP_1)
	v_lshl_add_u64 v[122:123], v[116:117], 2, v[4:5]
	s_clause 0x1
	global_load_b32 v117, v[122:123], off
	global_load_b32 v121, v[4:5], off offset:164
	s_wait_loadcnt 0x1
	global_store_b32 v[4:5], v117, off offset:164
	s_wait_loadcnt 0x0
	global_store_b32 v[122:123], v121, off
.LBB106_875:
	s_wait_xcnt 0x0
	s_or_b32 exec_lo, exec_lo, s12
	v_dual_mov_b32 v122, v116 :: v_dual_mov_b32 v121, v116
.LBB106_876:
	s_or_b32 exec_lo, exec_lo, s1
.LBB106_877:
	s_and_not1_saveexec_b32 s0, s0
	s_cbranch_execz .LBB106_879
; %bb.878:
	v_dual_mov_b32 v116, v20 :: v_dual_mov_b32 v117, v21
	v_dual_mov_b32 v122, v16 :: v_dual_mov_b32 v123, v17
	;; [unrolled: 1-line block ×4, first 2 shown]
	ds_store_2addr_b64 v118, v[116:117], v[122:123] offset0:42 offset1:43
	ds_store_2addr_b64 v118, v[124:125], v[126:127] offset0:44 offset1:45
	v_dual_mov_b32 v116, v12 :: v_dual_mov_b32 v117, v13
	v_dual_mov_b32 v124, v8 :: v_dual_mov_b32 v125, v9
	;; [unrolled: 1-line block ×7, first 2 shown]
	v_mov_b32_e32 v135, v15
	ds_store_2addr_b64 v118, v[116:117], v[124:125] offset0:46 offset1:47
	ds_store_2addr_b64 v118, v[126:127], v[128:129] offset0:48 offset1:49
	;; [unrolled: 1-line block ×4, first 2 shown]
.LBB106_879:
	s_or_b32 exec_lo, exec_lo, s0
	s_delay_alu instid0(SALU_CYCLE_1)
	s_mov_b32 s0, exec_lo
	s_wait_storecnt_dscnt 0x0
	s_barrier_signal -1
	s_barrier_wait -1
	v_cmpx_lt_i32_e32 41, v122
	s_cbranch_execz .LBB106_881
; %bb.880:
	v_pk_mul_f32 v[116:117], v[114:115], v[18:19] op_sel:[1,1] op_sel_hi:[0,1]
	s_delay_alu instid0(VALU_DEP_1)
	v_pk_fma_f32 v[124:125], v[114:115], v[18:19], v[116:117] op_sel_hi:[1,0,1] neg_lo:[0,0,1] neg_hi:[0,0,1]
	v_pk_fma_f32 v[126:127], v[114:115], v[18:19], v[116:117] op_sel_hi:[1,0,1]
	ds_load_2addr_b64 v[114:117], v118 offset0:42 offset1:43
	v_dual_mov_b32 v18, v124 :: v_dual_mov_b32 v19, v127
	s_wait_dscnt 0x0
	v_pk_mul_f32 v[128:129], v[114:115], v[126:127] op_sel:[0,1]
	s_delay_alu instid0(VALU_DEP_1) | instskip(SKIP_1) | instid1(VALU_DEP_1)
	v_pk_fma_f32 v[130:131], v[114:115], v[124:125], v[128:129] op_sel:[0,0,1] op_sel_hi:[1,1,0] neg_lo:[0,0,1] neg_hi:[0,0,1]
	v_pk_fma_f32 v[114:115], v[114:115], v[124:125], v[128:129] op_sel:[0,0,1] op_sel_hi:[1,0,0]
	v_mov_b32_e32 v131, v115
	v_pk_mul_f32 v[114:115], v[116:117], v[126:127] op_sel:[0,1]
	s_delay_alu instid0(VALU_DEP_1) | instskip(SKIP_1) | instid1(VALU_DEP_1)
	v_pk_fma_f32 v[128:129], v[116:117], v[124:125], v[114:115] op_sel:[0,0,1] op_sel_hi:[1,1,0] neg_lo:[0,0,1] neg_hi:[0,0,1]
	v_pk_fma_f32 v[114:115], v[116:117], v[124:125], v[114:115] op_sel:[0,0,1] op_sel_hi:[1,0,0]
	v_mov_b32_e32 v129, v115
	ds_load_2addr_b64 v[114:117], v118 offset0:44 offset1:45
	v_pk_add_f32 v[20:21], v[20:21], v[130:131] neg_lo:[0,1] neg_hi:[0,1]
	v_pk_add_f32 v[16:17], v[16:17], v[128:129] neg_lo:[0,1] neg_hi:[0,1]
	s_wait_dscnt 0x0
	v_pk_mul_f32 v[128:129], v[114:115], v[126:127] op_sel:[0,1]
	s_delay_alu instid0(VALU_DEP_1) | instskip(SKIP_2) | instid1(VALU_DEP_2)
	v_pk_fma_f32 v[130:131], v[114:115], v[124:125], v[128:129] op_sel:[0,0,1] op_sel_hi:[1,1,0] neg_lo:[0,0,1] neg_hi:[0,0,1]
	v_pk_fma_f32 v[114:115], v[114:115], v[124:125], v[128:129] op_sel:[0,0,1] op_sel_hi:[1,0,0]
	v_dual_mul_f32 v128, v117, v127 :: v_dual_mov_b32 v114, v117
	v_dual_mov_b32 v131, v115 :: v_dual_mov_b32 v115, v116
	s_delay_alu instid0(VALU_DEP_2) | instskip(SKIP_1) | instid1(VALU_DEP_3)
	v_pk_fma_f32 v[128:129], v[116:117], v[18:19], v[128:129] op_sel_hi:[1,1,0] neg_lo:[0,0,1] neg_hi:[0,0,1]
	v_mul_f32_e32 v116, v117, v124
	v_pk_add_f32 v[82:83], v[82:83], v[130:131] neg_lo:[0,1] neg_hi:[0,1]
	s_delay_alu instid0(VALU_DEP_2) | instskip(NEXT) | instid1(VALU_DEP_1)
	v_pk_fma_f32 v[114:115], v[114:115], v[18:19], v[116:117] op_sel_hi:[1,1,0]
	v_mov_b32_e32 v129, v115
	ds_load_2addr_b64 v[114:117], v118 offset0:46 offset1:47
	v_pk_add_f32 v[10:11], v[10:11], v[128:129] neg_lo:[0,1] neg_hi:[0,1]
	s_wait_dscnt 0x0
	v_pk_mul_f32 v[128:129], v[114:115], v[126:127] op_sel:[0,1]
	s_delay_alu instid0(VALU_DEP_1) | instskip(SKIP_1) | instid1(VALU_DEP_1)
	v_pk_fma_f32 v[130:131], v[114:115], v[124:125], v[128:129] op_sel:[0,0,1] op_sel_hi:[1,1,0] neg_lo:[0,0,1] neg_hi:[0,0,1]
	v_pk_fma_f32 v[114:115], v[114:115], v[124:125], v[128:129] op_sel:[0,0,1] op_sel_hi:[1,0,0]
	v_mov_b32_e32 v131, v115
	v_pk_mul_f32 v[114:115], v[116:117], v[126:127] op_sel:[0,1]
	s_delay_alu instid0(VALU_DEP_1) | instskip(SKIP_1) | instid1(VALU_DEP_1)
	v_pk_fma_f32 v[128:129], v[116:117], v[124:125], v[114:115] op_sel:[0,0,1] op_sel_hi:[1,1,0] neg_lo:[0,0,1] neg_hi:[0,0,1]
	v_pk_fma_f32 v[114:115], v[116:117], v[124:125], v[114:115] op_sel:[0,0,1] op_sel_hi:[1,0,0]
	v_mov_b32_e32 v129, v115
	ds_load_2addr_b64 v[114:117], v118 offset0:48 offset1:49
	v_pk_add_f32 v[12:13], v[12:13], v[130:131] neg_lo:[0,1] neg_hi:[0,1]
	v_pk_add_f32 v[8:9], v[8:9], v[128:129] neg_lo:[0,1] neg_hi:[0,1]
	s_wait_dscnt 0x0
	v_pk_mul_f32 v[128:129], v[114:115], v[126:127] op_sel:[0,1]
	s_delay_alu instid0(VALU_DEP_1) | instskip(SKIP_1) | instid1(VALU_DEP_1)
	v_pk_fma_f32 v[130:131], v[114:115], v[124:125], v[128:129] op_sel:[0,0,1] op_sel_hi:[1,1,0] neg_lo:[0,0,1] neg_hi:[0,0,1]
	v_pk_fma_f32 v[114:115], v[114:115], v[124:125], v[128:129] op_sel:[0,0,1] op_sel_hi:[1,0,0]
	v_mov_b32_e32 v131, v115
	v_pk_mul_f32 v[114:115], v[116:117], v[126:127] op_sel:[0,1]
	s_delay_alu instid0(VALU_DEP_1) | instskip(SKIP_1) | instid1(VALU_DEP_1)
	v_pk_fma_f32 v[128:129], v[116:117], v[124:125], v[114:115] op_sel:[0,0,1] op_sel_hi:[1,1,0] neg_lo:[0,0,1] neg_hi:[0,0,1]
	v_pk_fma_f32 v[114:115], v[116:117], v[124:125], v[114:115] op_sel:[0,0,1] op_sel_hi:[1,0,0]
	v_mov_b32_e32 v129, v115
	ds_load_2addr_b64 v[114:117], v118 offset0:50 offset1:51
	v_pk_add_f32 v[66:67], v[66:67], v[130:131] neg_lo:[0,1] neg_hi:[0,1]
	v_pk_add_f32 v[6:7], v[6:7], v[128:129] neg_lo:[0,1] neg_hi:[0,1]
	s_wait_dscnt 0x0
	v_dual_mul_f32 v128, v115, v127 :: v_dual_mul_f32 v130, v115, v124
	s_delay_alu instid0(VALU_DEP_1) | instskip(NEXT) | instid1(VALU_DEP_2)
	v_pk_fma_f32 v[128:129], v[114:115], v[18:19], v[128:129] op_sel_hi:[1,1,0] neg_lo:[0,0,1] neg_hi:[0,0,1]
	v_pk_fma_f32 v[114:115], v[114:115], v[18:19], v[130:131] op_sel:[1,0,0] op_sel_hi:[0,1,0]
	s_delay_alu instid0(VALU_DEP_1) | instskip(SKIP_1) | instid1(VALU_DEP_2)
	v_mov_b32_e32 v129, v115
	v_pk_mul_f32 v[114:115], v[116:117], v[126:127] op_sel:[0,1]
	v_pk_add_f32 v[46:47], v[46:47], v[128:129] neg_lo:[0,1] neg_hi:[0,1]
	s_delay_alu instid0(VALU_DEP_2) | instskip(SKIP_1) | instid1(VALU_DEP_1)
	v_pk_fma_f32 v[128:129], v[116:117], v[124:125], v[114:115] op_sel:[0,0,1] op_sel_hi:[1,1,0] neg_lo:[0,0,1] neg_hi:[0,0,1]
	v_pk_fma_f32 v[114:115], v[116:117], v[124:125], v[114:115] op_sel:[0,0,1] op_sel_hi:[1,0,0]
	v_mov_b32_e32 v129, v115
	ds_load_2addr_b64 v[114:117], v118 offset0:52 offset1:53
	v_pk_add_f32 v[28:29], v[28:29], v[128:129] neg_lo:[0,1] neg_hi:[0,1]
	s_wait_dscnt 0x0
	v_pk_mul_f32 v[128:129], v[114:115], v[126:127] op_sel:[0,1]
	v_mul_f32_e32 v126, v117, v127
	s_delay_alu instid0(VALU_DEP_2) | instskip(SKIP_2) | instid1(VALU_DEP_4)
	v_pk_fma_f32 v[130:131], v[114:115], v[124:125], v[128:129] op_sel:[0,0,1] op_sel_hi:[1,1,0] neg_lo:[0,0,1] neg_hi:[0,0,1]
	v_pk_fma_f32 v[114:115], v[114:115], v[124:125], v[128:129] op_sel:[0,0,1] op_sel_hi:[1,0,0]
	v_mov_b32_e32 v114, v117
	v_pk_fma_f32 v[126:127], v[116:117], v[18:19], v[126:127] op_sel_hi:[1,1,0] neg_lo:[0,0,1] neg_hi:[0,0,1]
	s_delay_alu instid0(VALU_DEP_3) | instskip(SKIP_1) | instid1(VALU_DEP_2)
	v_dual_mov_b32 v131, v115 :: v_dual_mov_b32 v115, v116
	v_mul_f32_e32 v116, v117, v124
	v_pk_add_f32 v[14:15], v[14:15], v[130:131] neg_lo:[0,1] neg_hi:[0,1]
	s_delay_alu instid0(VALU_DEP_2) | instskip(NEXT) | instid1(VALU_DEP_1)
	v_pk_fma_f32 v[114:115], v[114:115], v[18:19], v[116:117] op_sel_hi:[1,1,0]
	v_mov_b32_e32 v127, v115
	s_delay_alu instid0(VALU_DEP_1)
	v_pk_add_f32 v[112:113], v[112:113], v[126:127] neg_lo:[0,1] neg_hi:[0,1]
.LBB106_881:
	s_or_b32 exec_lo, exec_lo, s0
	v_lshl_add_u32 v114, v122, 3, v118
	s_barrier_signal -1
	s_barrier_wait -1
	ds_store_b64 v114, v[20:21]
	s_wait_dscnt 0x0
	s_barrier_signal -1
	s_barrier_wait -1
	ds_load_b64 v[114:115], v118 offset:336
	v_mov_b32_e32 v116, 42
	s_cmp_lt_i32 s18, 44
	s_cbranch_scc1 .LBB106_884
; %bb.882:
	v_add3_u32 v117, v119, 0, 0x158
	v_mov_b32_e32 v116, 42
	s_mov_b32 s0, 43
.LBB106_883:                            ; =>This Inner Loop Header: Depth=1
	ds_load_b64 v[124:125], v117
	s_wait_dscnt 0x1
	v_cmp_gt_f32_e32 vcc_lo, 0, v114
	v_cndmask_b32_e64 v126, v114, -v114, vcc_lo
	v_cmp_gt_f32_e32 vcc_lo, 0, v115
	v_cndmask_b32_e64 v128, v115, -v115, vcc_lo
	s_wait_dscnt 0x0
	v_cmp_gt_f32_e32 vcc_lo, 0, v124
	v_cndmask_b32_e64 v127, v124, -v124, vcc_lo
	v_cmp_gt_f32_e32 vcc_lo, 0, v125
	v_cndmask_b32_e64 v129, v125, -v125, vcc_lo
	s_delay_alu instid0(VALU_DEP_1) | instskip(NEXT) | instid1(VALU_DEP_1)
	v_pk_add_f32 v[126:127], v[126:127], v[128:129]
	v_cmp_lt_f32_e32 vcc_lo, v126, v127
	v_dual_cndmask_b32 v114, v114, v124 :: v_dual_add_nc_u32 v117, 8, v117
	v_cndmask_b32_e32 v115, v115, v125, vcc_lo
	v_cndmask_b32_e64 v116, v116, s0, vcc_lo
	s_add_co_i32 s0, s0, 1
	s_delay_alu instid0(SALU_CYCLE_1)
	s_cmp_lg_u32 s18, s0
	s_cbranch_scc1 .LBB106_883
.LBB106_884:
	s_wait_dscnt 0x0
	v_cmp_eq_f32_e32 vcc_lo, 0, v114
	v_cmp_eq_f32_e64 s0, 0, v115
	s_and_b32 s0, vcc_lo, s0
	s_delay_alu instid0(SALU_CYCLE_1) | instskip(NEXT) | instid1(SALU_CYCLE_1)
	s_and_saveexec_b32 s1, s0
	s_xor_b32 s0, exec_lo, s1
; %bb.885:
	v_cmp_ne_u32_e32 vcc_lo, 0, v120
	v_cndmask_b32_e32 v120, 43, v120, vcc_lo
; %bb.886:
	s_and_not1_saveexec_b32 s0, s0
	s_cbranch_execz .LBB106_892
; %bb.887:
	v_cmp_ngt_f32_e64 s1, |v114|, |v115|
	s_and_saveexec_b32 s12, s1
	s_delay_alu instid0(SALU_CYCLE_1)
	s_xor_b32 s1, exec_lo, s12
	s_cbranch_execz .LBB106_889
; %bb.888:
	v_div_scale_f32 v117, null, v115, v115, v114
	v_div_scale_f32 v125, vcc_lo, v114, v115, v114
	s_delay_alu instid0(VALU_DEP_2) | instskip(SKIP_1) | instid1(TRANS32_DEP_1)
	v_rcp_f32_e32 v123, v117
	v_nop
	v_fma_f32 v124, -v117, v123, 1.0
	s_delay_alu instid0(VALU_DEP_1) | instskip(NEXT) | instid1(VALU_DEP_1)
	v_fmac_f32_e32 v123, v124, v123
	v_mul_f32_e32 v124, v125, v123
	s_delay_alu instid0(VALU_DEP_1) | instskip(NEXT) | instid1(VALU_DEP_1)
	v_fma_f32 v126, -v117, v124, v125
	v_fmac_f32_e32 v124, v126, v123
	s_delay_alu instid0(VALU_DEP_1) | instskip(NEXT) | instid1(VALU_DEP_1)
	v_fma_f32 v117, -v117, v124, v125
	v_div_fmas_f32 v117, v117, v123, v124
	s_delay_alu instid0(VALU_DEP_1) | instskip(NEXT) | instid1(VALU_DEP_1)
	v_div_fixup_f32 v117, v117, v115, v114
	v_fmac_f32_e32 v115, v114, v117
	s_delay_alu instid0(VALU_DEP_1) | instskip(SKIP_1) | instid1(VALU_DEP_2)
	v_div_scale_f32 v114, null, v115, v115, 1.0
	v_div_scale_f32 v125, vcc_lo, 1.0, v115, 1.0
	v_rcp_f32_e32 v123, v114
	v_nop
	s_delay_alu instid0(TRANS32_DEP_1) | instskip(NEXT) | instid1(VALU_DEP_1)
	v_fma_f32 v124, -v114, v123, 1.0
	v_fmac_f32_e32 v123, v124, v123
	s_delay_alu instid0(VALU_DEP_1) | instskip(NEXT) | instid1(VALU_DEP_1)
	v_mul_f32_e32 v124, v125, v123
	v_fma_f32 v126, -v114, v124, v125
	s_delay_alu instid0(VALU_DEP_1) | instskip(NEXT) | instid1(VALU_DEP_1)
	v_fmac_f32_e32 v124, v126, v123
	v_fma_f32 v114, -v114, v124, v125
	s_delay_alu instid0(VALU_DEP_1) | instskip(NEXT) | instid1(VALU_DEP_1)
	v_div_fmas_f32 v114, v114, v123, v124
	v_div_fixup_f32 v115, v114, v115, 1.0
	s_delay_alu instid0(VALU_DEP_1)
	v_mul_f32_e32 v114, v117, v115
	v_xor_b32_e32 v115, 0x80000000, v115
.LBB106_889:
	s_and_not1_saveexec_b32 s1, s1
	s_cbranch_execz .LBB106_891
; %bb.890:
	s_delay_alu instid0(VALU_DEP_1) | instskip(SKIP_1) | instid1(VALU_DEP_2)
	v_div_scale_f32 v117, null, v114, v114, v115
	v_div_scale_f32 v125, vcc_lo, v115, v114, v115
	v_rcp_f32_e32 v123, v117
	v_nop
	s_delay_alu instid0(TRANS32_DEP_1) | instskip(NEXT) | instid1(VALU_DEP_1)
	v_fma_f32 v124, -v117, v123, 1.0
	v_fmac_f32_e32 v123, v124, v123
	s_delay_alu instid0(VALU_DEP_1) | instskip(NEXT) | instid1(VALU_DEP_1)
	v_mul_f32_e32 v124, v125, v123
	v_fma_f32 v126, -v117, v124, v125
	s_delay_alu instid0(VALU_DEP_1) | instskip(NEXT) | instid1(VALU_DEP_1)
	v_fmac_f32_e32 v124, v126, v123
	v_fma_f32 v117, -v117, v124, v125
	s_delay_alu instid0(VALU_DEP_1) | instskip(NEXT) | instid1(VALU_DEP_1)
	v_div_fmas_f32 v117, v117, v123, v124
	v_div_fixup_f32 v117, v117, v114, v115
	s_delay_alu instid0(VALU_DEP_1) | instskip(NEXT) | instid1(VALU_DEP_1)
	v_fmac_f32_e32 v114, v115, v117
	v_div_scale_f32 v115, null, v114, v114, 1.0
	s_delay_alu instid0(VALU_DEP_1) | instskip(SKIP_1) | instid1(TRANS32_DEP_1)
	v_rcp_f32_e32 v123, v115
	v_nop
	v_fma_f32 v124, -v115, v123, 1.0
	s_delay_alu instid0(VALU_DEP_1) | instskip(SKIP_1) | instid1(VALU_DEP_1)
	v_fmac_f32_e32 v123, v124, v123
	v_div_scale_f32 v124, vcc_lo, 1.0, v114, 1.0
	v_mul_f32_e32 v125, v124, v123
	s_delay_alu instid0(VALU_DEP_1) | instskip(NEXT) | instid1(VALU_DEP_1)
	v_fma_f32 v126, -v115, v125, v124
	v_fmac_f32_e32 v125, v126, v123
	s_delay_alu instid0(VALU_DEP_1) | instskip(NEXT) | instid1(VALU_DEP_1)
	v_fma_f32 v115, -v115, v125, v124
	v_div_fmas_f32 v115, v115, v123, v125
	s_delay_alu instid0(VALU_DEP_1) | instskip(NEXT) | instid1(VALU_DEP_1)
	v_div_fixup_f32 v114, v115, v114, 1.0
	v_mul_f32_e64 v115, v117, -v114
.LBB106_891:
	s_or_b32 exec_lo, exec_lo, s1
.LBB106_892:
	s_delay_alu instid0(SALU_CYCLE_1) | instskip(NEXT) | instid1(SALU_CYCLE_1)
	s_or_b32 exec_lo, exec_lo, s0
	s_mov_b32 s0, exec_lo
	v_cmpx_ne_u32_e64 v122, v116
	s_xor_b32 s0, exec_lo, s0
	s_cbranch_execz .LBB106_898
; %bb.893:
	s_mov_b32 s1, exec_lo
	v_cmpx_eq_u32_e32 42, v122
	s_cbranch_execz .LBB106_897
; %bb.894:
	v_cmp_ne_u32_e32 vcc_lo, 42, v116
	s_xor_b32 s12, s16, -1
	s_delay_alu instid0(SALU_CYCLE_1) | instskip(NEXT) | instid1(SALU_CYCLE_1)
	s_and_b32 s13, s12, vcc_lo
	s_and_saveexec_b32 s12, s13
	s_cbranch_execz .LBB106_896
; %bb.895:
	v_ashrrev_i32_e32 v117, 31, v116
	s_delay_alu instid0(VALU_DEP_1)
	v_lshl_add_u64 v[122:123], v[116:117], 2, v[4:5]
	s_clause 0x1
	global_load_b32 v117, v[122:123], off
	global_load_b32 v121, v[4:5], off offset:168
	s_wait_loadcnt 0x1
	global_store_b32 v[4:5], v117, off offset:168
	s_wait_loadcnt 0x0
	global_store_b32 v[122:123], v121, off
.LBB106_896:
	s_wait_xcnt 0x0
	s_or_b32 exec_lo, exec_lo, s12
	v_dual_mov_b32 v122, v116 :: v_dual_mov_b32 v121, v116
.LBB106_897:
	s_or_b32 exec_lo, exec_lo, s1
.LBB106_898:
	s_and_not1_saveexec_b32 s0, s0
	s_cbranch_execz .LBB106_900
; %bb.899:
	v_mov_b32_e32 v122, 42
	ds_store_2addr_b64 v118, v[16:17], v[82:83] offset0:43 offset1:44
	ds_store_2addr_b64 v118, v[10:11], v[12:13] offset0:45 offset1:46
	;; [unrolled: 1-line block ×5, first 2 shown]
	ds_store_b64 v118, v[112:113] offset:424
.LBB106_900:
	s_or_b32 exec_lo, exec_lo, s0
	s_delay_alu instid0(SALU_CYCLE_1)
	s_mov_b32 s0, exec_lo
	s_wait_storecnt_dscnt 0x0
	s_barrier_signal -1
	s_barrier_wait -1
	v_cmpx_lt_i32_e32 42, v122
	s_cbranch_execz .LBB106_902
; %bb.901:
	v_pk_mul_f32 v[116:117], v[114:115], v[20:21] op_sel:[1,1] op_sel_hi:[0,1]
	s_delay_alu instid0(VALU_DEP_1)
	v_pk_fma_f32 v[124:125], v[114:115], v[20:21], v[116:117] op_sel_hi:[1,0,1] neg_lo:[0,0,1] neg_hi:[0,0,1]
	v_pk_fma_f32 v[126:127], v[114:115], v[20:21], v[116:117] op_sel_hi:[1,0,1]
	ds_load_2addr_b64 v[114:117], v118 offset0:43 offset1:44
	v_dual_mov_b32 v20, v124 :: v_dual_mov_b32 v21, v127
	s_wait_dscnt 0x0
	v_pk_mul_f32 v[128:129], v[114:115], v[126:127] op_sel:[0,1]
	s_delay_alu instid0(VALU_DEP_1) | instskip(SKIP_1) | instid1(VALU_DEP_1)
	v_pk_fma_f32 v[130:131], v[114:115], v[124:125], v[128:129] op_sel:[0,0,1] op_sel_hi:[1,1,0] neg_lo:[0,0,1] neg_hi:[0,0,1]
	v_pk_fma_f32 v[114:115], v[114:115], v[124:125], v[128:129] op_sel:[0,0,1] op_sel_hi:[1,0,0]
	v_mov_b32_e32 v131, v115
	v_pk_mul_f32 v[114:115], v[116:117], v[126:127] op_sel:[0,1]
	s_delay_alu instid0(VALU_DEP_1) | instskip(SKIP_1) | instid1(VALU_DEP_1)
	v_pk_fma_f32 v[128:129], v[116:117], v[124:125], v[114:115] op_sel:[0,0,1] op_sel_hi:[1,1,0] neg_lo:[0,0,1] neg_hi:[0,0,1]
	v_pk_fma_f32 v[114:115], v[116:117], v[124:125], v[114:115] op_sel:[0,0,1] op_sel_hi:[1,0,0]
	v_mov_b32_e32 v129, v115
	ds_load_2addr_b64 v[114:117], v118 offset0:45 offset1:46
	v_pk_add_f32 v[16:17], v[16:17], v[130:131] neg_lo:[0,1] neg_hi:[0,1]
	v_pk_add_f32 v[82:83], v[82:83], v[128:129] neg_lo:[0,1] neg_hi:[0,1]
	s_wait_dscnt 0x0
	v_pk_mul_f32 v[128:129], v[114:115], v[126:127] op_sel:[0,1]
	s_delay_alu instid0(VALU_DEP_1) | instskip(SKIP_2) | instid1(VALU_DEP_2)
	v_pk_fma_f32 v[130:131], v[114:115], v[124:125], v[128:129] op_sel:[0,0,1] op_sel_hi:[1,1,0] neg_lo:[0,0,1] neg_hi:[0,0,1]
	v_pk_fma_f32 v[114:115], v[114:115], v[124:125], v[128:129] op_sel:[0,0,1] op_sel_hi:[1,0,0]
	v_dual_mul_f32 v128, v117, v127 :: v_dual_mov_b32 v114, v117
	v_dual_mov_b32 v131, v115 :: v_dual_mov_b32 v115, v116
	s_delay_alu instid0(VALU_DEP_2) | instskip(SKIP_1) | instid1(VALU_DEP_3)
	v_pk_fma_f32 v[128:129], v[116:117], v[20:21], v[128:129] op_sel_hi:[1,1,0] neg_lo:[0,0,1] neg_hi:[0,0,1]
	v_mul_f32_e32 v116, v117, v124
	v_pk_add_f32 v[10:11], v[10:11], v[130:131] neg_lo:[0,1] neg_hi:[0,1]
	s_delay_alu instid0(VALU_DEP_2) | instskip(NEXT) | instid1(VALU_DEP_1)
	v_pk_fma_f32 v[114:115], v[114:115], v[20:21], v[116:117] op_sel_hi:[1,1,0]
	v_mov_b32_e32 v129, v115
	ds_load_2addr_b64 v[114:117], v118 offset0:47 offset1:48
	v_pk_add_f32 v[12:13], v[12:13], v[128:129] neg_lo:[0,1] neg_hi:[0,1]
	s_wait_dscnt 0x0
	v_pk_mul_f32 v[128:129], v[114:115], v[126:127] op_sel:[0,1]
	s_delay_alu instid0(VALU_DEP_1) | instskip(SKIP_1) | instid1(VALU_DEP_1)
	v_pk_fma_f32 v[130:131], v[114:115], v[124:125], v[128:129] op_sel:[0,0,1] op_sel_hi:[1,1,0] neg_lo:[0,0,1] neg_hi:[0,0,1]
	v_pk_fma_f32 v[114:115], v[114:115], v[124:125], v[128:129] op_sel:[0,0,1] op_sel_hi:[1,0,0]
	v_mov_b32_e32 v131, v115
	v_pk_mul_f32 v[114:115], v[116:117], v[126:127] op_sel:[0,1]
	s_delay_alu instid0(VALU_DEP_1) | instskip(SKIP_1) | instid1(VALU_DEP_1)
	v_pk_fma_f32 v[128:129], v[116:117], v[124:125], v[114:115] op_sel:[0,0,1] op_sel_hi:[1,1,0] neg_lo:[0,0,1] neg_hi:[0,0,1]
	v_pk_fma_f32 v[114:115], v[116:117], v[124:125], v[114:115] op_sel:[0,0,1] op_sel_hi:[1,0,0]
	v_mov_b32_e32 v129, v115
	ds_load_2addr_b64 v[114:117], v118 offset0:49 offset1:50
	v_pk_add_f32 v[8:9], v[8:9], v[130:131] neg_lo:[0,1] neg_hi:[0,1]
	v_pk_add_f32 v[66:67], v[66:67], v[128:129] neg_lo:[0,1] neg_hi:[0,1]
	s_wait_dscnt 0x0
	v_pk_mul_f32 v[128:129], v[114:115], v[126:127] op_sel:[0,1]
	s_delay_alu instid0(VALU_DEP_1) | instskip(SKIP_1) | instid1(VALU_DEP_1)
	v_pk_fma_f32 v[130:131], v[114:115], v[124:125], v[128:129] op_sel:[0,0,1] op_sel_hi:[1,1,0] neg_lo:[0,0,1] neg_hi:[0,0,1]
	v_pk_fma_f32 v[114:115], v[114:115], v[124:125], v[128:129] op_sel:[0,0,1] op_sel_hi:[1,0,0]
	v_mov_b32_e32 v131, v115
	v_pk_mul_f32 v[114:115], v[116:117], v[126:127] op_sel:[0,1]
	s_delay_alu instid0(VALU_DEP_1) | instskip(SKIP_1) | instid1(VALU_DEP_1)
	v_pk_fma_f32 v[128:129], v[116:117], v[124:125], v[114:115] op_sel:[0,0,1] op_sel_hi:[1,1,0] neg_lo:[0,0,1] neg_hi:[0,0,1]
	v_pk_fma_f32 v[114:115], v[116:117], v[124:125], v[114:115] op_sel:[0,0,1] op_sel_hi:[1,0,0]
	v_mov_b32_e32 v129, v115
	ds_load_2addr_b64 v[114:117], v118 offset0:51 offset1:52
	v_pk_add_f32 v[6:7], v[6:7], v[130:131] neg_lo:[0,1] neg_hi:[0,1]
	v_pk_add_f32 v[46:47], v[46:47], v[128:129] neg_lo:[0,1] neg_hi:[0,1]
	s_wait_dscnt 0x0
	v_dual_mul_f32 v128, v115, v127 :: v_dual_mul_f32 v130, v115, v124
	s_delay_alu instid0(VALU_DEP_1) | instskip(NEXT) | instid1(VALU_DEP_2)
	v_pk_fma_f32 v[128:129], v[114:115], v[20:21], v[128:129] op_sel_hi:[1,1,0] neg_lo:[0,0,1] neg_hi:[0,0,1]
	v_pk_fma_f32 v[114:115], v[114:115], v[20:21], v[130:131] op_sel:[1,0,0] op_sel_hi:[0,1,0]
	s_delay_alu instid0(VALU_DEP_1) | instskip(SKIP_1) | instid1(VALU_DEP_2)
	v_mov_b32_e32 v129, v115
	v_pk_mul_f32 v[114:115], v[116:117], v[126:127] op_sel:[0,1]
	v_pk_add_f32 v[28:29], v[28:29], v[128:129] neg_lo:[0,1] neg_hi:[0,1]
	s_delay_alu instid0(VALU_DEP_2) | instskip(SKIP_1) | instid1(VALU_DEP_1)
	v_pk_fma_f32 v[128:129], v[116:117], v[124:125], v[114:115] op_sel:[0,0,1] op_sel_hi:[1,1,0] neg_lo:[0,0,1] neg_hi:[0,0,1]
	v_pk_fma_f32 v[114:115], v[116:117], v[124:125], v[114:115] op_sel:[0,0,1] op_sel_hi:[1,0,0]
	v_mov_b32_e32 v129, v115
	ds_load_b64 v[114:115], v118 offset:424
	v_pk_add_f32 v[14:15], v[14:15], v[128:129] neg_lo:[0,1] neg_hi:[0,1]
	s_wait_dscnt 0x0
	v_pk_mul_f32 v[116:117], v[114:115], v[126:127] op_sel:[0,1]
	s_delay_alu instid0(VALU_DEP_1) | instskip(SKIP_1) | instid1(VALU_DEP_1)
	v_pk_fma_f32 v[126:127], v[114:115], v[124:125], v[116:117] op_sel:[0,0,1] op_sel_hi:[1,1,0] neg_lo:[0,0,1] neg_hi:[0,0,1]
	v_pk_fma_f32 v[114:115], v[114:115], v[124:125], v[116:117] op_sel:[0,0,1] op_sel_hi:[1,0,0]
	v_mov_b32_e32 v127, v115
	s_delay_alu instid0(VALU_DEP_1)
	v_pk_add_f32 v[112:113], v[112:113], v[126:127] neg_lo:[0,1] neg_hi:[0,1]
.LBB106_902:
	s_or_b32 exec_lo, exec_lo, s0
	v_lshl_add_u32 v114, v122, 3, v118
	s_barrier_signal -1
	s_barrier_wait -1
	ds_store_b64 v114, v[16:17]
	s_wait_dscnt 0x0
	s_barrier_signal -1
	s_barrier_wait -1
	ds_load_b64 v[114:115], v118 offset:344
	v_mov_b32_e32 v116, 43
	s_cmp_lt_i32 s18, 45
	s_cbranch_scc1 .LBB106_905
; %bb.903:
	v_add3_u32 v117, v119, 0, 0x160
	v_mov_b32_e32 v116, 43
	s_mov_b32 s0, 44
.LBB106_904:                            ; =>This Inner Loop Header: Depth=1
	ds_load_b64 v[124:125], v117
	s_wait_dscnt 0x1
	v_cmp_gt_f32_e32 vcc_lo, 0, v114
	v_cndmask_b32_e64 v126, v114, -v114, vcc_lo
	v_cmp_gt_f32_e32 vcc_lo, 0, v115
	v_cndmask_b32_e64 v128, v115, -v115, vcc_lo
	s_wait_dscnt 0x0
	v_cmp_gt_f32_e32 vcc_lo, 0, v124
	v_cndmask_b32_e64 v127, v124, -v124, vcc_lo
	v_cmp_gt_f32_e32 vcc_lo, 0, v125
	v_cndmask_b32_e64 v129, v125, -v125, vcc_lo
	s_delay_alu instid0(VALU_DEP_1) | instskip(NEXT) | instid1(VALU_DEP_1)
	v_pk_add_f32 v[126:127], v[126:127], v[128:129]
	v_cmp_lt_f32_e32 vcc_lo, v126, v127
	v_dual_cndmask_b32 v114, v114, v124 :: v_dual_add_nc_u32 v117, 8, v117
	v_cndmask_b32_e32 v115, v115, v125, vcc_lo
	v_cndmask_b32_e64 v116, v116, s0, vcc_lo
	s_add_co_i32 s0, s0, 1
	s_delay_alu instid0(SALU_CYCLE_1)
	s_cmp_lg_u32 s18, s0
	s_cbranch_scc1 .LBB106_904
.LBB106_905:
	s_wait_dscnt 0x0
	v_cmp_eq_f32_e32 vcc_lo, 0, v114
	v_cmp_eq_f32_e64 s0, 0, v115
	s_and_b32 s0, vcc_lo, s0
	s_delay_alu instid0(SALU_CYCLE_1) | instskip(NEXT) | instid1(SALU_CYCLE_1)
	s_and_saveexec_b32 s1, s0
	s_xor_b32 s0, exec_lo, s1
; %bb.906:
	v_cmp_ne_u32_e32 vcc_lo, 0, v120
	v_cndmask_b32_e32 v120, 44, v120, vcc_lo
; %bb.907:
	s_and_not1_saveexec_b32 s0, s0
	s_cbranch_execz .LBB106_913
; %bb.908:
	v_cmp_ngt_f32_e64 s1, |v114|, |v115|
	s_and_saveexec_b32 s12, s1
	s_delay_alu instid0(SALU_CYCLE_1)
	s_xor_b32 s1, exec_lo, s12
	s_cbranch_execz .LBB106_910
; %bb.909:
	v_div_scale_f32 v117, null, v115, v115, v114
	v_div_scale_f32 v125, vcc_lo, v114, v115, v114
	s_delay_alu instid0(VALU_DEP_2) | instskip(SKIP_1) | instid1(TRANS32_DEP_1)
	v_rcp_f32_e32 v123, v117
	v_nop
	v_fma_f32 v124, -v117, v123, 1.0
	s_delay_alu instid0(VALU_DEP_1) | instskip(NEXT) | instid1(VALU_DEP_1)
	v_fmac_f32_e32 v123, v124, v123
	v_mul_f32_e32 v124, v125, v123
	s_delay_alu instid0(VALU_DEP_1) | instskip(NEXT) | instid1(VALU_DEP_1)
	v_fma_f32 v126, -v117, v124, v125
	v_fmac_f32_e32 v124, v126, v123
	s_delay_alu instid0(VALU_DEP_1) | instskip(NEXT) | instid1(VALU_DEP_1)
	v_fma_f32 v117, -v117, v124, v125
	v_div_fmas_f32 v117, v117, v123, v124
	s_delay_alu instid0(VALU_DEP_1) | instskip(NEXT) | instid1(VALU_DEP_1)
	v_div_fixup_f32 v117, v117, v115, v114
	v_fmac_f32_e32 v115, v114, v117
	s_delay_alu instid0(VALU_DEP_1) | instskip(SKIP_1) | instid1(VALU_DEP_2)
	v_div_scale_f32 v114, null, v115, v115, 1.0
	v_div_scale_f32 v125, vcc_lo, 1.0, v115, 1.0
	v_rcp_f32_e32 v123, v114
	v_nop
	s_delay_alu instid0(TRANS32_DEP_1) | instskip(NEXT) | instid1(VALU_DEP_1)
	v_fma_f32 v124, -v114, v123, 1.0
	v_fmac_f32_e32 v123, v124, v123
	s_delay_alu instid0(VALU_DEP_1) | instskip(NEXT) | instid1(VALU_DEP_1)
	v_mul_f32_e32 v124, v125, v123
	v_fma_f32 v126, -v114, v124, v125
	s_delay_alu instid0(VALU_DEP_1) | instskip(NEXT) | instid1(VALU_DEP_1)
	v_fmac_f32_e32 v124, v126, v123
	v_fma_f32 v114, -v114, v124, v125
	s_delay_alu instid0(VALU_DEP_1) | instskip(NEXT) | instid1(VALU_DEP_1)
	v_div_fmas_f32 v114, v114, v123, v124
	v_div_fixup_f32 v115, v114, v115, 1.0
	s_delay_alu instid0(VALU_DEP_1)
	v_mul_f32_e32 v114, v117, v115
	v_xor_b32_e32 v115, 0x80000000, v115
.LBB106_910:
	s_and_not1_saveexec_b32 s1, s1
	s_cbranch_execz .LBB106_912
; %bb.911:
	s_delay_alu instid0(VALU_DEP_1) | instskip(SKIP_1) | instid1(VALU_DEP_2)
	v_div_scale_f32 v117, null, v114, v114, v115
	v_div_scale_f32 v125, vcc_lo, v115, v114, v115
	v_rcp_f32_e32 v123, v117
	v_nop
	s_delay_alu instid0(TRANS32_DEP_1) | instskip(NEXT) | instid1(VALU_DEP_1)
	v_fma_f32 v124, -v117, v123, 1.0
	v_fmac_f32_e32 v123, v124, v123
	s_delay_alu instid0(VALU_DEP_1) | instskip(NEXT) | instid1(VALU_DEP_1)
	v_mul_f32_e32 v124, v125, v123
	v_fma_f32 v126, -v117, v124, v125
	s_delay_alu instid0(VALU_DEP_1) | instskip(NEXT) | instid1(VALU_DEP_1)
	v_fmac_f32_e32 v124, v126, v123
	v_fma_f32 v117, -v117, v124, v125
	s_delay_alu instid0(VALU_DEP_1) | instskip(NEXT) | instid1(VALU_DEP_1)
	v_div_fmas_f32 v117, v117, v123, v124
	v_div_fixup_f32 v117, v117, v114, v115
	s_delay_alu instid0(VALU_DEP_1) | instskip(NEXT) | instid1(VALU_DEP_1)
	v_fmac_f32_e32 v114, v115, v117
	v_div_scale_f32 v115, null, v114, v114, 1.0
	s_delay_alu instid0(VALU_DEP_1) | instskip(SKIP_1) | instid1(TRANS32_DEP_1)
	v_rcp_f32_e32 v123, v115
	v_nop
	v_fma_f32 v124, -v115, v123, 1.0
	s_delay_alu instid0(VALU_DEP_1) | instskip(SKIP_1) | instid1(VALU_DEP_1)
	v_fmac_f32_e32 v123, v124, v123
	v_div_scale_f32 v124, vcc_lo, 1.0, v114, 1.0
	v_mul_f32_e32 v125, v124, v123
	s_delay_alu instid0(VALU_DEP_1) | instskip(NEXT) | instid1(VALU_DEP_1)
	v_fma_f32 v126, -v115, v125, v124
	v_fmac_f32_e32 v125, v126, v123
	s_delay_alu instid0(VALU_DEP_1) | instskip(NEXT) | instid1(VALU_DEP_1)
	v_fma_f32 v115, -v115, v125, v124
	v_div_fmas_f32 v115, v115, v123, v125
	s_delay_alu instid0(VALU_DEP_1) | instskip(NEXT) | instid1(VALU_DEP_1)
	v_div_fixup_f32 v114, v115, v114, 1.0
	v_mul_f32_e64 v115, v117, -v114
.LBB106_912:
	s_or_b32 exec_lo, exec_lo, s1
.LBB106_913:
	s_delay_alu instid0(SALU_CYCLE_1) | instskip(NEXT) | instid1(SALU_CYCLE_1)
	s_or_b32 exec_lo, exec_lo, s0
	s_mov_b32 s0, exec_lo
	v_cmpx_ne_u32_e64 v122, v116
	s_xor_b32 s0, exec_lo, s0
	s_cbranch_execz .LBB106_919
; %bb.914:
	s_mov_b32 s1, exec_lo
	v_cmpx_eq_u32_e32 43, v122
	s_cbranch_execz .LBB106_918
; %bb.915:
	v_cmp_ne_u32_e32 vcc_lo, 43, v116
	s_xor_b32 s12, s16, -1
	s_delay_alu instid0(SALU_CYCLE_1) | instskip(NEXT) | instid1(SALU_CYCLE_1)
	s_and_b32 s13, s12, vcc_lo
	s_and_saveexec_b32 s12, s13
	s_cbranch_execz .LBB106_917
; %bb.916:
	v_ashrrev_i32_e32 v117, 31, v116
	s_delay_alu instid0(VALU_DEP_1)
	v_lshl_add_u64 v[122:123], v[116:117], 2, v[4:5]
	s_clause 0x1
	global_load_b32 v117, v[122:123], off
	global_load_b32 v121, v[4:5], off offset:172
	s_wait_loadcnt 0x1
	global_store_b32 v[4:5], v117, off offset:172
	s_wait_loadcnt 0x0
	global_store_b32 v[122:123], v121, off
.LBB106_917:
	s_wait_xcnt 0x0
	s_or_b32 exec_lo, exec_lo, s12
	v_dual_mov_b32 v122, v116 :: v_dual_mov_b32 v121, v116
.LBB106_918:
	s_or_b32 exec_lo, exec_lo, s1
.LBB106_919:
	s_and_not1_saveexec_b32 s0, s0
	s_cbranch_execz .LBB106_921
; %bb.920:
	v_dual_mov_b32 v116, v82 :: v_dual_mov_b32 v117, v83
	v_dual_mov_b32 v124, v10 :: v_dual_mov_b32 v125, v11
	;; [unrolled: 1-line block ×9, first 2 shown]
	v_mov_b32_e32 v139, v15
	ds_store_2addr_b64 v118, v[116:117], v[124:125] offset0:44 offset1:45
	ds_store_2addr_b64 v118, v[126:127], v[128:129] offset0:46 offset1:47
	;; [unrolled: 1-line block ×5, first 2 shown]
.LBB106_921:
	s_or_b32 exec_lo, exec_lo, s0
	s_delay_alu instid0(SALU_CYCLE_1)
	s_mov_b32 s0, exec_lo
	s_wait_storecnt_dscnt 0x0
	s_barrier_signal -1
	s_barrier_wait -1
	v_cmpx_lt_i32_e32 43, v122
	s_cbranch_execz .LBB106_923
; %bb.922:
	v_pk_mul_f32 v[116:117], v[114:115], v[16:17] op_sel:[1,1] op_sel_hi:[0,1]
	s_delay_alu instid0(VALU_DEP_1)
	v_pk_fma_f32 v[124:125], v[114:115], v[16:17], v[116:117] op_sel_hi:[1,0,1] neg_lo:[0,0,1] neg_hi:[0,0,1]
	v_pk_fma_f32 v[126:127], v[114:115], v[16:17], v[116:117] op_sel_hi:[1,0,1]
	ds_load_2addr_b64 v[114:117], v118 offset0:44 offset1:45
	v_dual_mov_b32 v16, v124 :: v_dual_mov_b32 v17, v127
	s_wait_dscnt 0x0
	v_pk_mul_f32 v[128:129], v[114:115], v[126:127] op_sel:[0,1]
	s_delay_alu instid0(VALU_DEP_1) | instskip(SKIP_1) | instid1(VALU_DEP_1)
	v_pk_fma_f32 v[130:131], v[114:115], v[124:125], v[128:129] op_sel:[0,0,1] op_sel_hi:[1,1,0] neg_lo:[0,0,1] neg_hi:[0,0,1]
	v_pk_fma_f32 v[114:115], v[114:115], v[124:125], v[128:129] op_sel:[0,0,1] op_sel_hi:[1,0,0]
	v_mov_b32_e32 v131, v115
	v_pk_mul_f32 v[114:115], v[116:117], v[126:127] op_sel:[0,1]
	s_delay_alu instid0(VALU_DEP_1) | instskip(SKIP_1) | instid1(VALU_DEP_1)
	v_pk_fma_f32 v[128:129], v[116:117], v[124:125], v[114:115] op_sel:[0,0,1] op_sel_hi:[1,1,0] neg_lo:[0,0,1] neg_hi:[0,0,1]
	v_pk_fma_f32 v[114:115], v[116:117], v[124:125], v[114:115] op_sel:[0,0,1] op_sel_hi:[1,0,0]
	v_mov_b32_e32 v129, v115
	ds_load_2addr_b64 v[114:117], v118 offset0:46 offset1:47
	v_pk_add_f32 v[82:83], v[82:83], v[130:131] neg_lo:[0,1] neg_hi:[0,1]
	v_pk_add_f32 v[10:11], v[10:11], v[128:129] neg_lo:[0,1] neg_hi:[0,1]
	s_wait_dscnt 0x0
	v_pk_mul_f32 v[128:129], v[114:115], v[126:127] op_sel:[0,1]
	s_delay_alu instid0(VALU_DEP_1) | instskip(SKIP_2) | instid1(VALU_DEP_2)
	v_pk_fma_f32 v[130:131], v[114:115], v[124:125], v[128:129] op_sel:[0,0,1] op_sel_hi:[1,1,0] neg_lo:[0,0,1] neg_hi:[0,0,1]
	v_pk_fma_f32 v[114:115], v[114:115], v[124:125], v[128:129] op_sel:[0,0,1] op_sel_hi:[1,0,0]
	v_dual_mul_f32 v128, v117, v127 :: v_dual_mov_b32 v114, v117
	v_dual_mov_b32 v131, v115 :: v_dual_mov_b32 v115, v116
	s_delay_alu instid0(VALU_DEP_2) | instskip(SKIP_1) | instid1(VALU_DEP_3)
	v_pk_fma_f32 v[128:129], v[116:117], v[16:17], v[128:129] op_sel_hi:[1,1,0] neg_lo:[0,0,1] neg_hi:[0,0,1]
	v_mul_f32_e32 v116, v117, v124
	v_pk_add_f32 v[12:13], v[12:13], v[130:131] neg_lo:[0,1] neg_hi:[0,1]
	s_delay_alu instid0(VALU_DEP_2) | instskip(NEXT) | instid1(VALU_DEP_1)
	v_pk_fma_f32 v[114:115], v[114:115], v[16:17], v[116:117] op_sel_hi:[1,1,0]
	v_mov_b32_e32 v129, v115
	ds_load_2addr_b64 v[114:117], v118 offset0:48 offset1:49
	v_pk_add_f32 v[8:9], v[8:9], v[128:129] neg_lo:[0,1] neg_hi:[0,1]
	s_wait_dscnt 0x0
	v_pk_mul_f32 v[128:129], v[114:115], v[126:127] op_sel:[0,1]
	s_delay_alu instid0(VALU_DEP_1) | instskip(SKIP_1) | instid1(VALU_DEP_1)
	v_pk_fma_f32 v[130:131], v[114:115], v[124:125], v[128:129] op_sel:[0,0,1] op_sel_hi:[1,1,0] neg_lo:[0,0,1] neg_hi:[0,0,1]
	v_pk_fma_f32 v[114:115], v[114:115], v[124:125], v[128:129] op_sel:[0,0,1] op_sel_hi:[1,0,0]
	v_mov_b32_e32 v131, v115
	v_pk_mul_f32 v[114:115], v[116:117], v[126:127] op_sel:[0,1]
	s_delay_alu instid0(VALU_DEP_1) | instskip(SKIP_1) | instid1(VALU_DEP_1)
	v_pk_fma_f32 v[128:129], v[116:117], v[124:125], v[114:115] op_sel:[0,0,1] op_sel_hi:[1,1,0] neg_lo:[0,0,1] neg_hi:[0,0,1]
	v_pk_fma_f32 v[114:115], v[116:117], v[124:125], v[114:115] op_sel:[0,0,1] op_sel_hi:[1,0,0]
	v_mov_b32_e32 v129, v115
	ds_load_2addr_b64 v[114:117], v118 offset0:50 offset1:51
	v_pk_add_f32 v[66:67], v[66:67], v[130:131] neg_lo:[0,1] neg_hi:[0,1]
	v_pk_add_f32 v[6:7], v[6:7], v[128:129] neg_lo:[0,1] neg_hi:[0,1]
	s_wait_dscnt 0x0
	v_pk_mul_f32 v[128:129], v[114:115], v[126:127] op_sel:[0,1]
	s_delay_alu instid0(VALU_DEP_1) | instskip(SKIP_1) | instid1(VALU_DEP_1)
	v_pk_fma_f32 v[130:131], v[114:115], v[124:125], v[128:129] op_sel:[0,0,1] op_sel_hi:[1,1,0] neg_lo:[0,0,1] neg_hi:[0,0,1]
	v_pk_fma_f32 v[114:115], v[114:115], v[124:125], v[128:129] op_sel:[0,0,1] op_sel_hi:[1,0,0]
	v_mov_b32_e32 v131, v115
	v_pk_mul_f32 v[114:115], v[116:117], v[126:127] op_sel:[0,1]
	s_delay_alu instid0(VALU_DEP_1) | instskip(SKIP_1) | instid1(VALU_DEP_1)
	v_pk_fma_f32 v[128:129], v[116:117], v[124:125], v[114:115] op_sel:[0,0,1] op_sel_hi:[1,1,0] neg_lo:[0,0,1] neg_hi:[0,0,1]
	v_pk_fma_f32 v[114:115], v[116:117], v[124:125], v[114:115] op_sel:[0,0,1] op_sel_hi:[1,0,0]
	v_mov_b32_e32 v129, v115
	ds_load_2addr_b64 v[114:117], v118 offset0:52 offset1:53
	v_pk_add_f32 v[46:47], v[46:47], v[130:131] neg_lo:[0,1] neg_hi:[0,1]
	v_pk_add_f32 v[28:29], v[28:29], v[128:129] neg_lo:[0,1] neg_hi:[0,1]
	s_wait_dscnt 0x0
	v_dual_mul_f32 v128, v115, v127 :: v_dual_mul_f32 v130, v115, v124
	s_delay_alu instid0(VALU_DEP_1) | instskip(NEXT) | instid1(VALU_DEP_2)
	v_pk_fma_f32 v[128:129], v[114:115], v[16:17], v[128:129] op_sel_hi:[1,1,0] neg_lo:[0,0,1] neg_hi:[0,0,1]
	v_pk_fma_f32 v[114:115], v[114:115], v[16:17], v[130:131] op_sel:[1,0,0] op_sel_hi:[0,1,0]
	s_delay_alu instid0(VALU_DEP_1) | instskip(SKIP_1) | instid1(VALU_DEP_1)
	v_mov_b32_e32 v129, v115
	v_pk_mul_f32 v[114:115], v[116:117], v[126:127] op_sel:[0,1]
	v_pk_fma_f32 v[126:127], v[116:117], v[124:125], v[114:115] op_sel:[0,0,1] op_sel_hi:[1,1,0] neg_lo:[0,0,1] neg_hi:[0,0,1]
	v_pk_fma_f32 v[114:115], v[116:117], v[124:125], v[114:115] op_sel:[0,0,1] op_sel_hi:[1,0,0]
	s_delay_alu instid0(VALU_DEP_1) | instskip(SKIP_1) | instid1(VALU_DEP_2)
	v_mov_b32_e32 v127, v115
	v_pk_add_f32 v[14:15], v[14:15], v[128:129] neg_lo:[0,1] neg_hi:[0,1]
	v_pk_add_f32 v[112:113], v[112:113], v[126:127] neg_lo:[0,1] neg_hi:[0,1]
.LBB106_923:
	s_or_b32 exec_lo, exec_lo, s0
	v_lshl_add_u32 v114, v122, 3, v118
	s_barrier_signal -1
	s_barrier_wait -1
	ds_store_b64 v114, v[82:83]
	s_wait_dscnt 0x0
	s_barrier_signal -1
	s_barrier_wait -1
	ds_load_b64 v[114:115], v118 offset:352
	v_mov_b32_e32 v116, 44
	s_cmp_lt_i32 s18, 46
	s_cbranch_scc1 .LBB106_926
; %bb.924:
	v_add3_u32 v117, v119, 0, 0x168
	v_mov_b32_e32 v116, 44
	s_mov_b32 s0, 45
.LBB106_925:                            ; =>This Inner Loop Header: Depth=1
	ds_load_b64 v[124:125], v117
	s_wait_dscnt 0x1
	v_cmp_gt_f32_e32 vcc_lo, 0, v114
	v_cndmask_b32_e64 v126, v114, -v114, vcc_lo
	v_cmp_gt_f32_e32 vcc_lo, 0, v115
	v_cndmask_b32_e64 v128, v115, -v115, vcc_lo
	s_wait_dscnt 0x0
	v_cmp_gt_f32_e32 vcc_lo, 0, v124
	v_cndmask_b32_e64 v127, v124, -v124, vcc_lo
	v_cmp_gt_f32_e32 vcc_lo, 0, v125
	v_cndmask_b32_e64 v129, v125, -v125, vcc_lo
	s_delay_alu instid0(VALU_DEP_1) | instskip(NEXT) | instid1(VALU_DEP_1)
	v_pk_add_f32 v[126:127], v[126:127], v[128:129]
	v_cmp_lt_f32_e32 vcc_lo, v126, v127
	v_dual_cndmask_b32 v114, v114, v124 :: v_dual_add_nc_u32 v117, 8, v117
	v_cndmask_b32_e32 v115, v115, v125, vcc_lo
	v_cndmask_b32_e64 v116, v116, s0, vcc_lo
	s_add_co_i32 s0, s0, 1
	s_delay_alu instid0(SALU_CYCLE_1)
	s_cmp_lg_u32 s18, s0
	s_cbranch_scc1 .LBB106_925
.LBB106_926:
	s_wait_dscnt 0x0
	v_cmp_eq_f32_e32 vcc_lo, 0, v114
	v_cmp_eq_f32_e64 s0, 0, v115
	s_and_b32 s0, vcc_lo, s0
	s_delay_alu instid0(SALU_CYCLE_1) | instskip(NEXT) | instid1(SALU_CYCLE_1)
	s_and_saveexec_b32 s1, s0
	s_xor_b32 s0, exec_lo, s1
; %bb.927:
	v_cmp_ne_u32_e32 vcc_lo, 0, v120
	v_cndmask_b32_e32 v120, 45, v120, vcc_lo
; %bb.928:
	s_and_not1_saveexec_b32 s0, s0
	s_cbranch_execz .LBB106_934
; %bb.929:
	v_cmp_ngt_f32_e64 s1, |v114|, |v115|
	s_and_saveexec_b32 s12, s1
	s_delay_alu instid0(SALU_CYCLE_1)
	s_xor_b32 s1, exec_lo, s12
	s_cbranch_execz .LBB106_931
; %bb.930:
	v_div_scale_f32 v117, null, v115, v115, v114
	v_div_scale_f32 v125, vcc_lo, v114, v115, v114
	s_delay_alu instid0(VALU_DEP_2) | instskip(SKIP_1) | instid1(TRANS32_DEP_1)
	v_rcp_f32_e32 v123, v117
	v_nop
	v_fma_f32 v124, -v117, v123, 1.0
	s_delay_alu instid0(VALU_DEP_1) | instskip(NEXT) | instid1(VALU_DEP_1)
	v_fmac_f32_e32 v123, v124, v123
	v_mul_f32_e32 v124, v125, v123
	s_delay_alu instid0(VALU_DEP_1) | instskip(NEXT) | instid1(VALU_DEP_1)
	v_fma_f32 v126, -v117, v124, v125
	v_fmac_f32_e32 v124, v126, v123
	s_delay_alu instid0(VALU_DEP_1) | instskip(NEXT) | instid1(VALU_DEP_1)
	v_fma_f32 v117, -v117, v124, v125
	v_div_fmas_f32 v117, v117, v123, v124
	s_delay_alu instid0(VALU_DEP_1) | instskip(NEXT) | instid1(VALU_DEP_1)
	v_div_fixup_f32 v117, v117, v115, v114
	v_fmac_f32_e32 v115, v114, v117
	s_delay_alu instid0(VALU_DEP_1) | instskip(SKIP_1) | instid1(VALU_DEP_2)
	v_div_scale_f32 v114, null, v115, v115, 1.0
	v_div_scale_f32 v125, vcc_lo, 1.0, v115, 1.0
	v_rcp_f32_e32 v123, v114
	v_nop
	s_delay_alu instid0(TRANS32_DEP_1) | instskip(NEXT) | instid1(VALU_DEP_1)
	v_fma_f32 v124, -v114, v123, 1.0
	v_fmac_f32_e32 v123, v124, v123
	s_delay_alu instid0(VALU_DEP_1) | instskip(NEXT) | instid1(VALU_DEP_1)
	v_mul_f32_e32 v124, v125, v123
	v_fma_f32 v126, -v114, v124, v125
	s_delay_alu instid0(VALU_DEP_1) | instskip(NEXT) | instid1(VALU_DEP_1)
	v_fmac_f32_e32 v124, v126, v123
	v_fma_f32 v114, -v114, v124, v125
	s_delay_alu instid0(VALU_DEP_1) | instskip(NEXT) | instid1(VALU_DEP_1)
	v_div_fmas_f32 v114, v114, v123, v124
	v_div_fixup_f32 v115, v114, v115, 1.0
	s_delay_alu instid0(VALU_DEP_1)
	v_mul_f32_e32 v114, v117, v115
	v_xor_b32_e32 v115, 0x80000000, v115
.LBB106_931:
	s_and_not1_saveexec_b32 s1, s1
	s_cbranch_execz .LBB106_933
; %bb.932:
	s_delay_alu instid0(VALU_DEP_1) | instskip(SKIP_1) | instid1(VALU_DEP_2)
	v_div_scale_f32 v117, null, v114, v114, v115
	v_div_scale_f32 v125, vcc_lo, v115, v114, v115
	v_rcp_f32_e32 v123, v117
	v_nop
	s_delay_alu instid0(TRANS32_DEP_1) | instskip(NEXT) | instid1(VALU_DEP_1)
	v_fma_f32 v124, -v117, v123, 1.0
	v_fmac_f32_e32 v123, v124, v123
	s_delay_alu instid0(VALU_DEP_1) | instskip(NEXT) | instid1(VALU_DEP_1)
	v_mul_f32_e32 v124, v125, v123
	v_fma_f32 v126, -v117, v124, v125
	s_delay_alu instid0(VALU_DEP_1) | instskip(NEXT) | instid1(VALU_DEP_1)
	v_fmac_f32_e32 v124, v126, v123
	v_fma_f32 v117, -v117, v124, v125
	s_delay_alu instid0(VALU_DEP_1) | instskip(NEXT) | instid1(VALU_DEP_1)
	v_div_fmas_f32 v117, v117, v123, v124
	v_div_fixup_f32 v117, v117, v114, v115
	s_delay_alu instid0(VALU_DEP_1) | instskip(NEXT) | instid1(VALU_DEP_1)
	v_fmac_f32_e32 v114, v115, v117
	v_div_scale_f32 v115, null, v114, v114, 1.0
	s_delay_alu instid0(VALU_DEP_1) | instskip(SKIP_1) | instid1(TRANS32_DEP_1)
	v_rcp_f32_e32 v123, v115
	v_nop
	v_fma_f32 v124, -v115, v123, 1.0
	s_delay_alu instid0(VALU_DEP_1) | instskip(SKIP_1) | instid1(VALU_DEP_1)
	v_fmac_f32_e32 v123, v124, v123
	v_div_scale_f32 v124, vcc_lo, 1.0, v114, 1.0
	v_mul_f32_e32 v125, v124, v123
	s_delay_alu instid0(VALU_DEP_1) | instskip(NEXT) | instid1(VALU_DEP_1)
	v_fma_f32 v126, -v115, v125, v124
	v_fmac_f32_e32 v125, v126, v123
	s_delay_alu instid0(VALU_DEP_1) | instskip(NEXT) | instid1(VALU_DEP_1)
	v_fma_f32 v115, -v115, v125, v124
	v_div_fmas_f32 v115, v115, v123, v125
	s_delay_alu instid0(VALU_DEP_1) | instskip(NEXT) | instid1(VALU_DEP_1)
	v_div_fixup_f32 v114, v115, v114, 1.0
	v_mul_f32_e64 v115, v117, -v114
.LBB106_933:
	s_or_b32 exec_lo, exec_lo, s1
.LBB106_934:
	s_delay_alu instid0(SALU_CYCLE_1) | instskip(NEXT) | instid1(SALU_CYCLE_1)
	s_or_b32 exec_lo, exec_lo, s0
	s_mov_b32 s0, exec_lo
	v_cmpx_ne_u32_e64 v122, v116
	s_xor_b32 s0, exec_lo, s0
	s_cbranch_execz .LBB106_940
; %bb.935:
	s_mov_b32 s1, exec_lo
	v_cmpx_eq_u32_e32 44, v122
	s_cbranch_execz .LBB106_939
; %bb.936:
	v_cmp_ne_u32_e32 vcc_lo, 44, v116
	s_xor_b32 s12, s16, -1
	s_delay_alu instid0(SALU_CYCLE_1) | instskip(NEXT) | instid1(SALU_CYCLE_1)
	s_and_b32 s13, s12, vcc_lo
	s_and_saveexec_b32 s12, s13
	s_cbranch_execz .LBB106_938
; %bb.937:
	v_ashrrev_i32_e32 v117, 31, v116
	s_delay_alu instid0(VALU_DEP_1)
	v_lshl_add_u64 v[122:123], v[116:117], 2, v[4:5]
	s_clause 0x1
	global_load_b32 v117, v[122:123], off
	global_load_b32 v121, v[4:5], off offset:176
	s_wait_loadcnt 0x1
	global_store_b32 v[4:5], v117, off offset:176
	s_wait_loadcnt 0x0
	global_store_b32 v[122:123], v121, off
.LBB106_938:
	s_wait_xcnt 0x0
	s_or_b32 exec_lo, exec_lo, s12
	v_dual_mov_b32 v122, v116 :: v_dual_mov_b32 v121, v116
.LBB106_939:
	s_or_b32 exec_lo, exec_lo, s1
.LBB106_940:
	s_and_not1_saveexec_b32 s0, s0
	s_cbranch_execz .LBB106_942
; %bb.941:
	v_mov_b32_e32 v122, 44
	ds_store_2addr_b64 v118, v[10:11], v[12:13] offset0:45 offset1:46
	ds_store_2addr_b64 v118, v[8:9], v[66:67] offset0:47 offset1:48
	;; [unrolled: 1-line block ×4, first 2 shown]
	ds_store_b64 v118, v[112:113] offset:424
.LBB106_942:
	s_or_b32 exec_lo, exec_lo, s0
	s_delay_alu instid0(SALU_CYCLE_1)
	s_mov_b32 s0, exec_lo
	s_wait_storecnt_dscnt 0x0
	s_barrier_signal -1
	s_barrier_wait -1
	v_cmpx_lt_i32_e32 44, v122
	s_cbranch_execz .LBB106_944
; %bb.943:
	v_pk_mul_f32 v[116:117], v[114:115], v[82:83] op_sel:[1,1] op_sel_hi:[0,1]
	s_delay_alu instid0(VALU_DEP_1)
	v_pk_fma_f32 v[124:125], v[114:115], v[82:83], v[116:117] op_sel_hi:[1,0,1] neg_lo:[0,0,1] neg_hi:[0,0,1]
	v_pk_fma_f32 v[126:127], v[114:115], v[82:83], v[116:117] op_sel_hi:[1,0,1]
	ds_load_2addr_b64 v[114:117], v118 offset0:45 offset1:46
	v_dual_mov_b32 v82, v124 :: v_dual_mov_b32 v83, v127
	s_wait_dscnt 0x0
	v_pk_mul_f32 v[128:129], v[114:115], v[126:127] op_sel:[0,1]
	s_delay_alu instid0(VALU_DEP_1) | instskip(SKIP_1) | instid1(VALU_DEP_1)
	v_pk_fma_f32 v[130:131], v[114:115], v[124:125], v[128:129] op_sel:[0,0,1] op_sel_hi:[1,1,0] neg_lo:[0,0,1] neg_hi:[0,0,1]
	v_pk_fma_f32 v[114:115], v[114:115], v[124:125], v[128:129] op_sel:[0,0,1] op_sel_hi:[1,0,0]
	v_mov_b32_e32 v131, v115
	v_pk_mul_f32 v[114:115], v[116:117], v[126:127] op_sel:[0,1]
	s_delay_alu instid0(VALU_DEP_1) | instskip(SKIP_1) | instid1(VALU_DEP_1)
	v_pk_fma_f32 v[128:129], v[116:117], v[124:125], v[114:115] op_sel:[0,0,1] op_sel_hi:[1,1,0] neg_lo:[0,0,1] neg_hi:[0,0,1]
	v_pk_fma_f32 v[114:115], v[116:117], v[124:125], v[114:115] op_sel:[0,0,1] op_sel_hi:[1,0,0]
	v_mov_b32_e32 v129, v115
	ds_load_2addr_b64 v[114:117], v118 offset0:47 offset1:48
	v_pk_add_f32 v[10:11], v[10:11], v[130:131] neg_lo:[0,1] neg_hi:[0,1]
	v_pk_add_f32 v[12:13], v[12:13], v[128:129] neg_lo:[0,1] neg_hi:[0,1]
	s_wait_dscnt 0x0
	v_pk_mul_f32 v[128:129], v[114:115], v[126:127] op_sel:[0,1]
	s_delay_alu instid0(VALU_DEP_1) | instskip(SKIP_2) | instid1(VALU_DEP_2)
	v_pk_fma_f32 v[130:131], v[114:115], v[124:125], v[128:129] op_sel:[0,0,1] op_sel_hi:[1,1,0] neg_lo:[0,0,1] neg_hi:[0,0,1]
	v_pk_fma_f32 v[114:115], v[114:115], v[124:125], v[128:129] op_sel:[0,0,1] op_sel_hi:[1,0,0]
	v_dual_mul_f32 v128, v117, v127 :: v_dual_mov_b32 v114, v117
	v_dual_mov_b32 v131, v115 :: v_dual_mov_b32 v115, v116
	s_delay_alu instid0(VALU_DEP_2) | instskip(SKIP_1) | instid1(VALU_DEP_3)
	v_pk_fma_f32 v[128:129], v[116:117], v[82:83], v[128:129] op_sel_hi:[1,1,0] neg_lo:[0,0,1] neg_hi:[0,0,1]
	v_mul_f32_e32 v116, v117, v124
	v_pk_add_f32 v[8:9], v[8:9], v[130:131] neg_lo:[0,1] neg_hi:[0,1]
	s_delay_alu instid0(VALU_DEP_2) | instskip(NEXT) | instid1(VALU_DEP_1)
	v_pk_fma_f32 v[114:115], v[114:115], v[82:83], v[116:117] op_sel_hi:[1,1,0]
	v_mov_b32_e32 v129, v115
	ds_load_2addr_b64 v[114:117], v118 offset0:49 offset1:50
	v_pk_add_f32 v[66:67], v[66:67], v[128:129] neg_lo:[0,1] neg_hi:[0,1]
	s_wait_dscnt 0x0
	v_pk_mul_f32 v[128:129], v[114:115], v[126:127] op_sel:[0,1]
	s_delay_alu instid0(VALU_DEP_1) | instskip(SKIP_1) | instid1(VALU_DEP_1)
	v_pk_fma_f32 v[130:131], v[114:115], v[124:125], v[128:129] op_sel:[0,0,1] op_sel_hi:[1,1,0] neg_lo:[0,0,1] neg_hi:[0,0,1]
	v_pk_fma_f32 v[114:115], v[114:115], v[124:125], v[128:129] op_sel:[0,0,1] op_sel_hi:[1,0,0]
	v_mov_b32_e32 v131, v115
	v_pk_mul_f32 v[114:115], v[116:117], v[126:127] op_sel:[0,1]
	s_delay_alu instid0(VALU_DEP_1) | instskip(SKIP_1) | instid1(VALU_DEP_1)
	v_pk_fma_f32 v[128:129], v[116:117], v[124:125], v[114:115] op_sel:[0,0,1] op_sel_hi:[1,1,0] neg_lo:[0,0,1] neg_hi:[0,0,1]
	v_pk_fma_f32 v[114:115], v[116:117], v[124:125], v[114:115] op_sel:[0,0,1] op_sel_hi:[1,0,0]
	v_mov_b32_e32 v129, v115
	ds_load_2addr_b64 v[114:117], v118 offset0:51 offset1:52
	v_pk_add_f32 v[6:7], v[6:7], v[130:131] neg_lo:[0,1] neg_hi:[0,1]
	v_pk_add_f32 v[46:47], v[46:47], v[128:129] neg_lo:[0,1] neg_hi:[0,1]
	s_wait_dscnt 0x0
	v_pk_mul_f32 v[128:129], v[114:115], v[126:127] op_sel:[0,1]
	s_delay_alu instid0(VALU_DEP_1) | instskip(SKIP_1) | instid1(VALU_DEP_1)
	v_pk_fma_f32 v[130:131], v[114:115], v[124:125], v[128:129] op_sel:[0,0,1] op_sel_hi:[1,1,0] neg_lo:[0,0,1] neg_hi:[0,0,1]
	v_pk_fma_f32 v[114:115], v[114:115], v[124:125], v[128:129] op_sel:[0,0,1] op_sel_hi:[1,0,0]
	v_mov_b32_e32 v131, v115
	v_pk_mul_f32 v[114:115], v[116:117], v[126:127] op_sel:[0,1]
	s_delay_alu instid0(VALU_DEP_1) | instskip(SKIP_1) | instid1(VALU_DEP_1)
	v_pk_fma_f32 v[128:129], v[116:117], v[124:125], v[114:115] op_sel:[0,0,1] op_sel_hi:[1,1,0] neg_lo:[0,0,1] neg_hi:[0,0,1]
	v_pk_fma_f32 v[114:115], v[116:117], v[124:125], v[114:115] op_sel:[0,0,1] op_sel_hi:[1,0,0]
	v_mov_b32_e32 v129, v115
	ds_load_b64 v[114:115], v118 offset:424
	v_pk_add_f32 v[28:29], v[28:29], v[130:131] neg_lo:[0,1] neg_hi:[0,1]
	v_pk_add_f32 v[14:15], v[14:15], v[128:129] neg_lo:[0,1] neg_hi:[0,1]
	s_wait_dscnt 0x0
	v_pk_mul_f32 v[116:117], v[114:115], v[126:127] op_sel:[0,1]
	s_delay_alu instid0(VALU_DEP_1) | instskip(SKIP_1) | instid1(VALU_DEP_1)
	v_pk_fma_f32 v[126:127], v[114:115], v[124:125], v[116:117] op_sel:[0,0,1] op_sel_hi:[1,1,0] neg_lo:[0,0,1] neg_hi:[0,0,1]
	v_pk_fma_f32 v[114:115], v[114:115], v[124:125], v[116:117] op_sel:[0,0,1] op_sel_hi:[1,0,0]
	v_mov_b32_e32 v127, v115
	s_delay_alu instid0(VALU_DEP_1)
	v_pk_add_f32 v[112:113], v[112:113], v[126:127] neg_lo:[0,1] neg_hi:[0,1]
.LBB106_944:
	s_or_b32 exec_lo, exec_lo, s0
	v_lshl_add_u32 v114, v122, 3, v118
	s_barrier_signal -1
	s_barrier_wait -1
	ds_store_b64 v114, v[10:11]
	s_wait_dscnt 0x0
	s_barrier_signal -1
	s_barrier_wait -1
	ds_load_b64 v[114:115], v118 offset:360
	v_mov_b32_e32 v116, 45
	s_cmp_lt_i32 s18, 47
	s_cbranch_scc1 .LBB106_947
; %bb.945:
	v_add3_u32 v117, v119, 0, 0x170
	v_mov_b32_e32 v116, 45
	s_mov_b32 s0, 46
.LBB106_946:                            ; =>This Inner Loop Header: Depth=1
	ds_load_b64 v[124:125], v117
	s_wait_dscnt 0x1
	v_cmp_gt_f32_e32 vcc_lo, 0, v114
	v_cndmask_b32_e64 v126, v114, -v114, vcc_lo
	v_cmp_gt_f32_e32 vcc_lo, 0, v115
	v_cndmask_b32_e64 v128, v115, -v115, vcc_lo
	s_wait_dscnt 0x0
	v_cmp_gt_f32_e32 vcc_lo, 0, v124
	v_cndmask_b32_e64 v127, v124, -v124, vcc_lo
	v_cmp_gt_f32_e32 vcc_lo, 0, v125
	v_cndmask_b32_e64 v129, v125, -v125, vcc_lo
	s_delay_alu instid0(VALU_DEP_1) | instskip(NEXT) | instid1(VALU_DEP_1)
	v_pk_add_f32 v[126:127], v[126:127], v[128:129]
	v_cmp_lt_f32_e32 vcc_lo, v126, v127
	v_dual_cndmask_b32 v114, v114, v124 :: v_dual_add_nc_u32 v117, 8, v117
	v_cndmask_b32_e32 v115, v115, v125, vcc_lo
	v_cndmask_b32_e64 v116, v116, s0, vcc_lo
	s_add_co_i32 s0, s0, 1
	s_delay_alu instid0(SALU_CYCLE_1)
	s_cmp_lg_u32 s18, s0
	s_cbranch_scc1 .LBB106_946
.LBB106_947:
	s_wait_dscnt 0x0
	v_cmp_eq_f32_e32 vcc_lo, 0, v114
	v_cmp_eq_f32_e64 s0, 0, v115
	s_and_b32 s0, vcc_lo, s0
	s_delay_alu instid0(SALU_CYCLE_1) | instskip(NEXT) | instid1(SALU_CYCLE_1)
	s_and_saveexec_b32 s1, s0
	s_xor_b32 s0, exec_lo, s1
; %bb.948:
	v_cmp_ne_u32_e32 vcc_lo, 0, v120
	v_cndmask_b32_e32 v120, 46, v120, vcc_lo
; %bb.949:
	s_and_not1_saveexec_b32 s0, s0
	s_cbranch_execz .LBB106_955
; %bb.950:
	v_cmp_ngt_f32_e64 s1, |v114|, |v115|
	s_and_saveexec_b32 s12, s1
	s_delay_alu instid0(SALU_CYCLE_1)
	s_xor_b32 s1, exec_lo, s12
	s_cbranch_execz .LBB106_952
; %bb.951:
	v_div_scale_f32 v117, null, v115, v115, v114
	v_div_scale_f32 v125, vcc_lo, v114, v115, v114
	s_delay_alu instid0(VALU_DEP_2) | instskip(SKIP_1) | instid1(TRANS32_DEP_1)
	v_rcp_f32_e32 v123, v117
	v_nop
	v_fma_f32 v124, -v117, v123, 1.0
	s_delay_alu instid0(VALU_DEP_1) | instskip(NEXT) | instid1(VALU_DEP_1)
	v_fmac_f32_e32 v123, v124, v123
	v_mul_f32_e32 v124, v125, v123
	s_delay_alu instid0(VALU_DEP_1) | instskip(NEXT) | instid1(VALU_DEP_1)
	v_fma_f32 v126, -v117, v124, v125
	v_fmac_f32_e32 v124, v126, v123
	s_delay_alu instid0(VALU_DEP_1) | instskip(NEXT) | instid1(VALU_DEP_1)
	v_fma_f32 v117, -v117, v124, v125
	v_div_fmas_f32 v117, v117, v123, v124
	s_delay_alu instid0(VALU_DEP_1) | instskip(NEXT) | instid1(VALU_DEP_1)
	v_div_fixup_f32 v117, v117, v115, v114
	v_fmac_f32_e32 v115, v114, v117
	s_delay_alu instid0(VALU_DEP_1) | instskip(SKIP_1) | instid1(VALU_DEP_2)
	v_div_scale_f32 v114, null, v115, v115, 1.0
	v_div_scale_f32 v125, vcc_lo, 1.0, v115, 1.0
	v_rcp_f32_e32 v123, v114
	v_nop
	s_delay_alu instid0(TRANS32_DEP_1) | instskip(NEXT) | instid1(VALU_DEP_1)
	v_fma_f32 v124, -v114, v123, 1.0
	v_fmac_f32_e32 v123, v124, v123
	s_delay_alu instid0(VALU_DEP_1) | instskip(NEXT) | instid1(VALU_DEP_1)
	v_mul_f32_e32 v124, v125, v123
	v_fma_f32 v126, -v114, v124, v125
	s_delay_alu instid0(VALU_DEP_1) | instskip(NEXT) | instid1(VALU_DEP_1)
	v_fmac_f32_e32 v124, v126, v123
	v_fma_f32 v114, -v114, v124, v125
	s_delay_alu instid0(VALU_DEP_1) | instskip(NEXT) | instid1(VALU_DEP_1)
	v_div_fmas_f32 v114, v114, v123, v124
	v_div_fixup_f32 v115, v114, v115, 1.0
	s_delay_alu instid0(VALU_DEP_1)
	v_mul_f32_e32 v114, v117, v115
	v_xor_b32_e32 v115, 0x80000000, v115
.LBB106_952:
	s_and_not1_saveexec_b32 s1, s1
	s_cbranch_execz .LBB106_954
; %bb.953:
	s_delay_alu instid0(VALU_DEP_1) | instskip(SKIP_1) | instid1(VALU_DEP_2)
	v_div_scale_f32 v117, null, v114, v114, v115
	v_div_scale_f32 v125, vcc_lo, v115, v114, v115
	v_rcp_f32_e32 v123, v117
	v_nop
	s_delay_alu instid0(TRANS32_DEP_1) | instskip(NEXT) | instid1(VALU_DEP_1)
	v_fma_f32 v124, -v117, v123, 1.0
	v_fmac_f32_e32 v123, v124, v123
	s_delay_alu instid0(VALU_DEP_1) | instskip(NEXT) | instid1(VALU_DEP_1)
	v_mul_f32_e32 v124, v125, v123
	v_fma_f32 v126, -v117, v124, v125
	s_delay_alu instid0(VALU_DEP_1) | instskip(NEXT) | instid1(VALU_DEP_1)
	v_fmac_f32_e32 v124, v126, v123
	v_fma_f32 v117, -v117, v124, v125
	s_delay_alu instid0(VALU_DEP_1) | instskip(NEXT) | instid1(VALU_DEP_1)
	v_div_fmas_f32 v117, v117, v123, v124
	v_div_fixup_f32 v117, v117, v114, v115
	s_delay_alu instid0(VALU_DEP_1) | instskip(NEXT) | instid1(VALU_DEP_1)
	v_fmac_f32_e32 v114, v115, v117
	v_div_scale_f32 v115, null, v114, v114, 1.0
	s_delay_alu instid0(VALU_DEP_1) | instskip(SKIP_1) | instid1(TRANS32_DEP_1)
	v_rcp_f32_e32 v123, v115
	v_nop
	v_fma_f32 v124, -v115, v123, 1.0
	s_delay_alu instid0(VALU_DEP_1) | instskip(SKIP_1) | instid1(VALU_DEP_1)
	v_fmac_f32_e32 v123, v124, v123
	v_div_scale_f32 v124, vcc_lo, 1.0, v114, 1.0
	v_mul_f32_e32 v125, v124, v123
	s_delay_alu instid0(VALU_DEP_1) | instskip(NEXT) | instid1(VALU_DEP_1)
	v_fma_f32 v126, -v115, v125, v124
	v_fmac_f32_e32 v125, v126, v123
	s_delay_alu instid0(VALU_DEP_1) | instskip(NEXT) | instid1(VALU_DEP_1)
	v_fma_f32 v115, -v115, v125, v124
	v_div_fmas_f32 v115, v115, v123, v125
	s_delay_alu instid0(VALU_DEP_1) | instskip(NEXT) | instid1(VALU_DEP_1)
	v_div_fixup_f32 v114, v115, v114, 1.0
	v_mul_f32_e64 v115, v117, -v114
.LBB106_954:
	s_or_b32 exec_lo, exec_lo, s1
.LBB106_955:
	s_delay_alu instid0(SALU_CYCLE_1) | instskip(NEXT) | instid1(SALU_CYCLE_1)
	s_or_b32 exec_lo, exec_lo, s0
	s_mov_b32 s0, exec_lo
	v_cmpx_ne_u32_e64 v122, v116
	s_xor_b32 s0, exec_lo, s0
	s_cbranch_execz .LBB106_961
; %bb.956:
	s_mov_b32 s1, exec_lo
	v_cmpx_eq_u32_e32 45, v122
	s_cbranch_execz .LBB106_960
; %bb.957:
	v_cmp_ne_u32_e32 vcc_lo, 45, v116
	s_xor_b32 s12, s16, -1
	s_delay_alu instid0(SALU_CYCLE_1) | instskip(NEXT) | instid1(SALU_CYCLE_1)
	s_and_b32 s13, s12, vcc_lo
	s_and_saveexec_b32 s12, s13
	s_cbranch_execz .LBB106_959
; %bb.958:
	v_ashrrev_i32_e32 v117, 31, v116
	s_delay_alu instid0(VALU_DEP_1)
	v_lshl_add_u64 v[122:123], v[116:117], 2, v[4:5]
	s_clause 0x1
	global_load_b32 v117, v[122:123], off
	global_load_b32 v121, v[4:5], off offset:180
	s_wait_loadcnt 0x1
	global_store_b32 v[4:5], v117, off offset:180
	s_wait_loadcnt 0x0
	global_store_b32 v[122:123], v121, off
.LBB106_959:
	s_wait_xcnt 0x0
	s_or_b32 exec_lo, exec_lo, s12
	v_dual_mov_b32 v122, v116 :: v_dual_mov_b32 v121, v116
.LBB106_960:
	s_or_b32 exec_lo, exec_lo, s1
.LBB106_961:
	s_and_not1_saveexec_b32 s0, s0
	s_cbranch_execz .LBB106_963
; %bb.962:
	v_dual_mov_b32 v116, v12 :: v_dual_mov_b32 v117, v13
	v_dual_mov_b32 v124, v8 :: v_dual_mov_b32 v125, v9
	v_dual_mov_b32 v122, 45 :: v_dual_mov_b32 v126, v66
	v_dual_mov_b32 v127, v67 :: v_dual_mov_b32 v128, v6
	v_dual_mov_b32 v129, v7 :: v_dual_mov_b32 v130, v46
	v_dual_mov_b32 v131, v47 :: v_dual_mov_b32 v132, v28
	v_dual_mov_b32 v133, v29 :: v_dual_mov_b32 v134, v14
	v_mov_b32_e32 v135, v15
	ds_store_2addr_b64 v118, v[116:117], v[124:125] offset0:46 offset1:47
	ds_store_2addr_b64 v118, v[126:127], v[128:129] offset0:48 offset1:49
	;; [unrolled: 1-line block ×4, first 2 shown]
.LBB106_963:
	s_or_b32 exec_lo, exec_lo, s0
	s_delay_alu instid0(SALU_CYCLE_1)
	s_mov_b32 s0, exec_lo
	s_wait_storecnt_dscnt 0x0
	s_barrier_signal -1
	s_barrier_wait -1
	v_cmpx_lt_i32_e32 45, v122
	s_cbranch_execz .LBB106_965
; %bb.964:
	v_pk_mul_f32 v[116:117], v[114:115], v[10:11] op_sel:[1,1] op_sel_hi:[0,1]
	s_delay_alu instid0(VALU_DEP_1)
	v_pk_fma_f32 v[124:125], v[114:115], v[10:11], v[116:117] op_sel_hi:[1,0,1] neg_lo:[0,0,1] neg_hi:[0,0,1]
	v_pk_fma_f32 v[126:127], v[114:115], v[10:11], v[116:117] op_sel_hi:[1,0,1]
	ds_load_2addr_b64 v[114:117], v118 offset0:46 offset1:47
	v_dual_mov_b32 v10, v124 :: v_dual_mov_b32 v11, v127
	s_wait_dscnt 0x0
	v_pk_mul_f32 v[128:129], v[114:115], v[126:127] op_sel:[0,1]
	s_delay_alu instid0(VALU_DEP_1) | instskip(SKIP_1) | instid1(VALU_DEP_1)
	v_pk_fma_f32 v[130:131], v[114:115], v[124:125], v[128:129] op_sel:[0,0,1] op_sel_hi:[1,1,0] neg_lo:[0,0,1] neg_hi:[0,0,1]
	v_pk_fma_f32 v[114:115], v[114:115], v[124:125], v[128:129] op_sel:[0,0,1] op_sel_hi:[1,0,0]
	v_mov_b32_e32 v131, v115
	v_pk_mul_f32 v[114:115], v[116:117], v[126:127] op_sel:[0,1]
	s_delay_alu instid0(VALU_DEP_1) | instskip(SKIP_1) | instid1(VALU_DEP_1)
	v_pk_fma_f32 v[128:129], v[116:117], v[124:125], v[114:115] op_sel:[0,0,1] op_sel_hi:[1,1,0] neg_lo:[0,0,1] neg_hi:[0,0,1]
	v_pk_fma_f32 v[114:115], v[116:117], v[124:125], v[114:115] op_sel:[0,0,1] op_sel_hi:[1,0,0]
	v_mov_b32_e32 v129, v115
	ds_load_2addr_b64 v[114:117], v118 offset0:48 offset1:49
	v_pk_add_f32 v[12:13], v[12:13], v[130:131] neg_lo:[0,1] neg_hi:[0,1]
	v_pk_add_f32 v[8:9], v[8:9], v[128:129] neg_lo:[0,1] neg_hi:[0,1]
	s_wait_dscnt 0x0
	v_pk_mul_f32 v[128:129], v[114:115], v[126:127] op_sel:[0,1]
	s_delay_alu instid0(VALU_DEP_1) | instskip(SKIP_2) | instid1(VALU_DEP_2)
	v_pk_fma_f32 v[130:131], v[114:115], v[124:125], v[128:129] op_sel:[0,0,1] op_sel_hi:[1,1,0] neg_lo:[0,0,1] neg_hi:[0,0,1]
	v_pk_fma_f32 v[114:115], v[114:115], v[124:125], v[128:129] op_sel:[0,0,1] op_sel_hi:[1,0,0]
	v_dual_mul_f32 v128, v117, v127 :: v_dual_mov_b32 v114, v117
	v_dual_mov_b32 v131, v115 :: v_dual_mov_b32 v115, v116
	s_delay_alu instid0(VALU_DEP_2) | instskip(SKIP_1) | instid1(VALU_DEP_3)
	v_pk_fma_f32 v[128:129], v[116:117], v[10:11], v[128:129] op_sel_hi:[1,1,0] neg_lo:[0,0,1] neg_hi:[0,0,1]
	v_mul_f32_e32 v116, v117, v124
	v_pk_add_f32 v[66:67], v[66:67], v[130:131] neg_lo:[0,1] neg_hi:[0,1]
	s_delay_alu instid0(VALU_DEP_2) | instskip(NEXT) | instid1(VALU_DEP_1)
	v_pk_fma_f32 v[114:115], v[114:115], v[10:11], v[116:117] op_sel_hi:[1,1,0]
	v_mov_b32_e32 v129, v115
	ds_load_2addr_b64 v[114:117], v118 offset0:50 offset1:51
	v_pk_add_f32 v[6:7], v[6:7], v[128:129] neg_lo:[0,1] neg_hi:[0,1]
	s_wait_dscnt 0x0
	v_pk_mul_f32 v[128:129], v[114:115], v[126:127] op_sel:[0,1]
	s_delay_alu instid0(VALU_DEP_1) | instskip(SKIP_1) | instid1(VALU_DEP_1)
	v_pk_fma_f32 v[130:131], v[114:115], v[124:125], v[128:129] op_sel:[0,0,1] op_sel_hi:[1,1,0] neg_lo:[0,0,1] neg_hi:[0,0,1]
	v_pk_fma_f32 v[114:115], v[114:115], v[124:125], v[128:129] op_sel:[0,0,1] op_sel_hi:[1,0,0]
	v_mov_b32_e32 v131, v115
	v_pk_mul_f32 v[114:115], v[116:117], v[126:127] op_sel:[0,1]
	s_delay_alu instid0(VALU_DEP_1) | instskip(SKIP_1) | instid1(VALU_DEP_1)
	v_pk_fma_f32 v[128:129], v[116:117], v[124:125], v[114:115] op_sel:[0,0,1] op_sel_hi:[1,1,0] neg_lo:[0,0,1] neg_hi:[0,0,1]
	v_pk_fma_f32 v[114:115], v[116:117], v[124:125], v[114:115] op_sel:[0,0,1] op_sel_hi:[1,0,0]
	v_mov_b32_e32 v129, v115
	ds_load_2addr_b64 v[114:117], v118 offset0:52 offset1:53
	v_pk_add_f32 v[46:47], v[46:47], v[130:131] neg_lo:[0,1] neg_hi:[0,1]
	v_pk_add_f32 v[28:29], v[28:29], v[128:129] neg_lo:[0,1] neg_hi:[0,1]
	s_wait_dscnt 0x0
	v_pk_mul_f32 v[128:129], v[114:115], v[126:127] op_sel:[0,1]
	s_delay_alu instid0(VALU_DEP_1) | instskip(SKIP_1) | instid1(VALU_DEP_1)
	v_pk_fma_f32 v[130:131], v[114:115], v[124:125], v[128:129] op_sel:[0,0,1] op_sel_hi:[1,1,0] neg_lo:[0,0,1] neg_hi:[0,0,1]
	v_pk_fma_f32 v[114:115], v[114:115], v[124:125], v[128:129] op_sel:[0,0,1] op_sel_hi:[1,0,0]
	v_mov_b32_e32 v131, v115
	v_pk_mul_f32 v[114:115], v[116:117], v[126:127] op_sel:[0,1]
	s_delay_alu instid0(VALU_DEP_1) | instskip(SKIP_1) | instid1(VALU_DEP_1)
	v_pk_fma_f32 v[126:127], v[116:117], v[124:125], v[114:115] op_sel:[0,0,1] op_sel_hi:[1,1,0] neg_lo:[0,0,1] neg_hi:[0,0,1]
	v_pk_fma_f32 v[114:115], v[116:117], v[124:125], v[114:115] op_sel:[0,0,1] op_sel_hi:[1,0,0]
	v_mov_b32_e32 v127, v115
	v_pk_add_f32 v[14:15], v[14:15], v[130:131] neg_lo:[0,1] neg_hi:[0,1]
	s_delay_alu instid0(VALU_DEP_2)
	v_pk_add_f32 v[112:113], v[112:113], v[126:127] neg_lo:[0,1] neg_hi:[0,1]
.LBB106_965:
	s_or_b32 exec_lo, exec_lo, s0
	v_lshl_add_u32 v114, v122, 3, v118
	s_barrier_signal -1
	s_barrier_wait -1
	ds_store_b64 v114, v[12:13]
	s_wait_dscnt 0x0
	s_barrier_signal -1
	s_barrier_wait -1
	ds_load_b64 v[114:115], v118 offset:368
	v_mov_b32_e32 v116, 46
	s_cmp_lt_i32 s18, 48
	s_cbranch_scc1 .LBB106_968
; %bb.966:
	v_add3_u32 v117, v119, 0, 0x178
	v_mov_b32_e32 v116, 46
	s_mov_b32 s0, 47
.LBB106_967:                            ; =>This Inner Loop Header: Depth=1
	ds_load_b64 v[124:125], v117
	s_wait_dscnt 0x1
	v_cmp_gt_f32_e32 vcc_lo, 0, v114
	v_cndmask_b32_e64 v126, v114, -v114, vcc_lo
	v_cmp_gt_f32_e32 vcc_lo, 0, v115
	v_cndmask_b32_e64 v128, v115, -v115, vcc_lo
	s_wait_dscnt 0x0
	v_cmp_gt_f32_e32 vcc_lo, 0, v124
	v_cndmask_b32_e64 v127, v124, -v124, vcc_lo
	v_cmp_gt_f32_e32 vcc_lo, 0, v125
	v_cndmask_b32_e64 v129, v125, -v125, vcc_lo
	s_delay_alu instid0(VALU_DEP_1) | instskip(NEXT) | instid1(VALU_DEP_1)
	v_pk_add_f32 v[126:127], v[126:127], v[128:129]
	v_cmp_lt_f32_e32 vcc_lo, v126, v127
	v_dual_cndmask_b32 v114, v114, v124 :: v_dual_add_nc_u32 v117, 8, v117
	v_cndmask_b32_e32 v115, v115, v125, vcc_lo
	v_cndmask_b32_e64 v116, v116, s0, vcc_lo
	s_add_co_i32 s0, s0, 1
	s_delay_alu instid0(SALU_CYCLE_1)
	s_cmp_lg_u32 s18, s0
	s_cbranch_scc1 .LBB106_967
.LBB106_968:
	s_wait_dscnt 0x0
	v_cmp_eq_f32_e32 vcc_lo, 0, v114
	v_cmp_eq_f32_e64 s0, 0, v115
	s_and_b32 s0, vcc_lo, s0
	s_delay_alu instid0(SALU_CYCLE_1) | instskip(NEXT) | instid1(SALU_CYCLE_1)
	s_and_saveexec_b32 s1, s0
	s_xor_b32 s0, exec_lo, s1
; %bb.969:
	v_cmp_ne_u32_e32 vcc_lo, 0, v120
	v_cndmask_b32_e32 v120, 47, v120, vcc_lo
; %bb.970:
	s_and_not1_saveexec_b32 s0, s0
	s_cbranch_execz .LBB106_976
; %bb.971:
	v_cmp_ngt_f32_e64 s1, |v114|, |v115|
	s_and_saveexec_b32 s12, s1
	s_delay_alu instid0(SALU_CYCLE_1)
	s_xor_b32 s1, exec_lo, s12
	s_cbranch_execz .LBB106_973
; %bb.972:
	v_div_scale_f32 v117, null, v115, v115, v114
	v_div_scale_f32 v125, vcc_lo, v114, v115, v114
	s_delay_alu instid0(VALU_DEP_2) | instskip(SKIP_1) | instid1(TRANS32_DEP_1)
	v_rcp_f32_e32 v123, v117
	v_nop
	v_fma_f32 v124, -v117, v123, 1.0
	s_delay_alu instid0(VALU_DEP_1) | instskip(NEXT) | instid1(VALU_DEP_1)
	v_fmac_f32_e32 v123, v124, v123
	v_mul_f32_e32 v124, v125, v123
	s_delay_alu instid0(VALU_DEP_1) | instskip(NEXT) | instid1(VALU_DEP_1)
	v_fma_f32 v126, -v117, v124, v125
	v_fmac_f32_e32 v124, v126, v123
	s_delay_alu instid0(VALU_DEP_1) | instskip(NEXT) | instid1(VALU_DEP_1)
	v_fma_f32 v117, -v117, v124, v125
	v_div_fmas_f32 v117, v117, v123, v124
	s_delay_alu instid0(VALU_DEP_1) | instskip(NEXT) | instid1(VALU_DEP_1)
	v_div_fixup_f32 v117, v117, v115, v114
	v_fmac_f32_e32 v115, v114, v117
	s_delay_alu instid0(VALU_DEP_1) | instskip(SKIP_1) | instid1(VALU_DEP_2)
	v_div_scale_f32 v114, null, v115, v115, 1.0
	v_div_scale_f32 v125, vcc_lo, 1.0, v115, 1.0
	v_rcp_f32_e32 v123, v114
	v_nop
	s_delay_alu instid0(TRANS32_DEP_1) | instskip(NEXT) | instid1(VALU_DEP_1)
	v_fma_f32 v124, -v114, v123, 1.0
	v_fmac_f32_e32 v123, v124, v123
	s_delay_alu instid0(VALU_DEP_1) | instskip(NEXT) | instid1(VALU_DEP_1)
	v_mul_f32_e32 v124, v125, v123
	v_fma_f32 v126, -v114, v124, v125
	s_delay_alu instid0(VALU_DEP_1) | instskip(NEXT) | instid1(VALU_DEP_1)
	v_fmac_f32_e32 v124, v126, v123
	v_fma_f32 v114, -v114, v124, v125
	s_delay_alu instid0(VALU_DEP_1) | instskip(NEXT) | instid1(VALU_DEP_1)
	v_div_fmas_f32 v114, v114, v123, v124
	v_div_fixup_f32 v115, v114, v115, 1.0
	s_delay_alu instid0(VALU_DEP_1)
	v_mul_f32_e32 v114, v117, v115
	v_xor_b32_e32 v115, 0x80000000, v115
.LBB106_973:
	s_and_not1_saveexec_b32 s1, s1
	s_cbranch_execz .LBB106_975
; %bb.974:
	s_delay_alu instid0(VALU_DEP_1) | instskip(SKIP_1) | instid1(VALU_DEP_2)
	v_div_scale_f32 v117, null, v114, v114, v115
	v_div_scale_f32 v125, vcc_lo, v115, v114, v115
	v_rcp_f32_e32 v123, v117
	v_nop
	s_delay_alu instid0(TRANS32_DEP_1) | instskip(NEXT) | instid1(VALU_DEP_1)
	v_fma_f32 v124, -v117, v123, 1.0
	v_fmac_f32_e32 v123, v124, v123
	s_delay_alu instid0(VALU_DEP_1) | instskip(NEXT) | instid1(VALU_DEP_1)
	v_mul_f32_e32 v124, v125, v123
	v_fma_f32 v126, -v117, v124, v125
	s_delay_alu instid0(VALU_DEP_1) | instskip(NEXT) | instid1(VALU_DEP_1)
	v_fmac_f32_e32 v124, v126, v123
	v_fma_f32 v117, -v117, v124, v125
	s_delay_alu instid0(VALU_DEP_1) | instskip(NEXT) | instid1(VALU_DEP_1)
	v_div_fmas_f32 v117, v117, v123, v124
	v_div_fixup_f32 v117, v117, v114, v115
	s_delay_alu instid0(VALU_DEP_1) | instskip(NEXT) | instid1(VALU_DEP_1)
	v_fmac_f32_e32 v114, v115, v117
	v_div_scale_f32 v115, null, v114, v114, 1.0
	s_delay_alu instid0(VALU_DEP_1) | instskip(SKIP_1) | instid1(TRANS32_DEP_1)
	v_rcp_f32_e32 v123, v115
	v_nop
	v_fma_f32 v124, -v115, v123, 1.0
	s_delay_alu instid0(VALU_DEP_1) | instskip(SKIP_1) | instid1(VALU_DEP_1)
	v_fmac_f32_e32 v123, v124, v123
	v_div_scale_f32 v124, vcc_lo, 1.0, v114, 1.0
	v_mul_f32_e32 v125, v124, v123
	s_delay_alu instid0(VALU_DEP_1) | instskip(NEXT) | instid1(VALU_DEP_1)
	v_fma_f32 v126, -v115, v125, v124
	v_fmac_f32_e32 v125, v126, v123
	s_delay_alu instid0(VALU_DEP_1) | instskip(NEXT) | instid1(VALU_DEP_1)
	v_fma_f32 v115, -v115, v125, v124
	v_div_fmas_f32 v115, v115, v123, v125
	s_delay_alu instid0(VALU_DEP_1) | instskip(NEXT) | instid1(VALU_DEP_1)
	v_div_fixup_f32 v114, v115, v114, 1.0
	v_mul_f32_e64 v115, v117, -v114
.LBB106_975:
	s_or_b32 exec_lo, exec_lo, s1
.LBB106_976:
	s_delay_alu instid0(SALU_CYCLE_1) | instskip(NEXT) | instid1(SALU_CYCLE_1)
	s_or_b32 exec_lo, exec_lo, s0
	s_mov_b32 s0, exec_lo
	v_cmpx_ne_u32_e64 v122, v116
	s_xor_b32 s0, exec_lo, s0
	s_cbranch_execz .LBB106_982
; %bb.977:
	s_mov_b32 s1, exec_lo
	v_cmpx_eq_u32_e32 46, v122
	s_cbranch_execz .LBB106_981
; %bb.978:
	v_cmp_ne_u32_e32 vcc_lo, 46, v116
	s_xor_b32 s12, s16, -1
	s_delay_alu instid0(SALU_CYCLE_1) | instskip(NEXT) | instid1(SALU_CYCLE_1)
	s_and_b32 s13, s12, vcc_lo
	s_and_saveexec_b32 s12, s13
	s_cbranch_execz .LBB106_980
; %bb.979:
	v_ashrrev_i32_e32 v117, 31, v116
	s_delay_alu instid0(VALU_DEP_1)
	v_lshl_add_u64 v[122:123], v[116:117], 2, v[4:5]
	s_clause 0x1
	global_load_b32 v117, v[122:123], off
	global_load_b32 v121, v[4:5], off offset:184
	s_wait_loadcnt 0x1
	global_store_b32 v[4:5], v117, off offset:184
	s_wait_loadcnt 0x0
	global_store_b32 v[122:123], v121, off
.LBB106_980:
	s_wait_xcnt 0x0
	s_or_b32 exec_lo, exec_lo, s12
	v_dual_mov_b32 v122, v116 :: v_dual_mov_b32 v121, v116
.LBB106_981:
	s_or_b32 exec_lo, exec_lo, s1
.LBB106_982:
	s_and_not1_saveexec_b32 s0, s0
	s_cbranch_execz .LBB106_984
; %bb.983:
	v_mov_b32_e32 v122, 46
	ds_store_2addr_b64 v118, v[8:9], v[66:67] offset0:47 offset1:48
	ds_store_2addr_b64 v118, v[6:7], v[46:47] offset0:49 offset1:50
	;; [unrolled: 1-line block ×3, first 2 shown]
	ds_store_b64 v118, v[112:113] offset:424
.LBB106_984:
	s_or_b32 exec_lo, exec_lo, s0
	s_delay_alu instid0(SALU_CYCLE_1)
	s_mov_b32 s0, exec_lo
	s_wait_storecnt_dscnt 0x0
	s_barrier_signal -1
	s_barrier_wait -1
	v_cmpx_lt_i32_e32 46, v122
	s_cbranch_execz .LBB106_986
; %bb.985:
	v_pk_mul_f32 v[116:117], v[114:115], v[12:13] op_sel:[1,1] op_sel_hi:[0,1]
	s_delay_alu instid0(VALU_DEP_1)
	v_pk_fma_f32 v[124:125], v[114:115], v[12:13], v[116:117] op_sel_hi:[1,0,1] neg_lo:[0,0,1] neg_hi:[0,0,1]
	v_pk_fma_f32 v[126:127], v[114:115], v[12:13], v[116:117] op_sel_hi:[1,0,1]
	ds_load_2addr_b64 v[114:117], v118 offset0:47 offset1:48
	v_dual_mov_b32 v12, v124 :: v_dual_mov_b32 v13, v127
	s_wait_dscnt 0x0
	v_pk_mul_f32 v[128:129], v[114:115], v[126:127] op_sel:[0,1]
	s_delay_alu instid0(VALU_DEP_1) | instskip(SKIP_1) | instid1(VALU_DEP_1)
	v_pk_fma_f32 v[130:131], v[114:115], v[124:125], v[128:129] op_sel:[0,0,1] op_sel_hi:[1,1,0] neg_lo:[0,0,1] neg_hi:[0,0,1]
	v_pk_fma_f32 v[114:115], v[114:115], v[124:125], v[128:129] op_sel:[0,0,1] op_sel_hi:[1,0,0]
	v_mov_b32_e32 v131, v115
	v_pk_mul_f32 v[114:115], v[116:117], v[126:127] op_sel:[0,1]
	s_delay_alu instid0(VALU_DEP_1) | instskip(SKIP_1) | instid1(VALU_DEP_1)
	v_pk_fma_f32 v[128:129], v[116:117], v[124:125], v[114:115] op_sel:[0,0,1] op_sel_hi:[1,1,0] neg_lo:[0,0,1] neg_hi:[0,0,1]
	v_pk_fma_f32 v[114:115], v[116:117], v[124:125], v[114:115] op_sel:[0,0,1] op_sel_hi:[1,0,0]
	v_mov_b32_e32 v129, v115
	ds_load_2addr_b64 v[114:117], v118 offset0:49 offset1:50
	v_pk_add_f32 v[8:9], v[8:9], v[130:131] neg_lo:[0,1] neg_hi:[0,1]
	v_pk_add_f32 v[66:67], v[66:67], v[128:129] neg_lo:[0,1] neg_hi:[0,1]
	s_wait_dscnt 0x0
	v_pk_mul_f32 v[128:129], v[114:115], v[126:127] op_sel:[0,1]
	s_delay_alu instid0(VALU_DEP_1) | instskip(SKIP_2) | instid1(VALU_DEP_2)
	v_pk_fma_f32 v[130:131], v[114:115], v[124:125], v[128:129] op_sel:[0,0,1] op_sel_hi:[1,1,0] neg_lo:[0,0,1] neg_hi:[0,0,1]
	v_pk_fma_f32 v[114:115], v[114:115], v[124:125], v[128:129] op_sel:[0,0,1] op_sel_hi:[1,0,0]
	v_dual_mul_f32 v128, v117, v127 :: v_dual_mov_b32 v114, v117
	v_dual_mov_b32 v131, v115 :: v_dual_mov_b32 v115, v116
	s_delay_alu instid0(VALU_DEP_2) | instskip(SKIP_1) | instid1(VALU_DEP_3)
	v_pk_fma_f32 v[128:129], v[116:117], v[12:13], v[128:129] op_sel_hi:[1,1,0] neg_lo:[0,0,1] neg_hi:[0,0,1]
	v_mul_f32_e32 v116, v117, v124
	v_pk_add_f32 v[6:7], v[6:7], v[130:131] neg_lo:[0,1] neg_hi:[0,1]
	s_delay_alu instid0(VALU_DEP_2) | instskip(NEXT) | instid1(VALU_DEP_1)
	v_pk_fma_f32 v[114:115], v[114:115], v[12:13], v[116:117] op_sel_hi:[1,1,0]
	v_mov_b32_e32 v129, v115
	ds_load_2addr_b64 v[114:117], v118 offset0:51 offset1:52
	v_pk_add_f32 v[46:47], v[46:47], v[128:129] neg_lo:[0,1] neg_hi:[0,1]
	s_wait_dscnt 0x0
	v_pk_mul_f32 v[128:129], v[114:115], v[126:127] op_sel:[0,1]
	s_delay_alu instid0(VALU_DEP_1) | instskip(SKIP_1) | instid1(VALU_DEP_1)
	v_pk_fma_f32 v[130:131], v[114:115], v[124:125], v[128:129] op_sel:[0,0,1] op_sel_hi:[1,1,0] neg_lo:[0,0,1] neg_hi:[0,0,1]
	v_pk_fma_f32 v[114:115], v[114:115], v[124:125], v[128:129] op_sel:[0,0,1] op_sel_hi:[1,0,0]
	v_mov_b32_e32 v131, v115
	v_pk_mul_f32 v[114:115], v[116:117], v[126:127] op_sel:[0,1]
	s_delay_alu instid0(VALU_DEP_1) | instskip(SKIP_1) | instid1(VALU_DEP_1)
	v_pk_fma_f32 v[128:129], v[116:117], v[124:125], v[114:115] op_sel:[0,0,1] op_sel_hi:[1,1,0] neg_lo:[0,0,1] neg_hi:[0,0,1]
	v_pk_fma_f32 v[114:115], v[116:117], v[124:125], v[114:115] op_sel:[0,0,1] op_sel_hi:[1,0,0]
	v_mov_b32_e32 v129, v115
	ds_load_b64 v[114:115], v118 offset:424
	v_pk_add_f32 v[28:29], v[28:29], v[130:131] neg_lo:[0,1] neg_hi:[0,1]
	v_pk_add_f32 v[14:15], v[14:15], v[128:129] neg_lo:[0,1] neg_hi:[0,1]
	s_wait_dscnt 0x0
	v_pk_mul_f32 v[116:117], v[114:115], v[126:127] op_sel:[0,1]
	s_delay_alu instid0(VALU_DEP_1) | instskip(SKIP_1) | instid1(VALU_DEP_1)
	v_pk_fma_f32 v[126:127], v[114:115], v[124:125], v[116:117] op_sel:[0,0,1] op_sel_hi:[1,1,0] neg_lo:[0,0,1] neg_hi:[0,0,1]
	v_pk_fma_f32 v[114:115], v[114:115], v[124:125], v[116:117] op_sel:[0,0,1] op_sel_hi:[1,0,0]
	v_mov_b32_e32 v127, v115
	s_delay_alu instid0(VALU_DEP_1)
	v_pk_add_f32 v[112:113], v[112:113], v[126:127] neg_lo:[0,1] neg_hi:[0,1]
.LBB106_986:
	s_or_b32 exec_lo, exec_lo, s0
	v_lshl_add_u32 v114, v122, 3, v118
	s_barrier_signal -1
	s_barrier_wait -1
	ds_store_b64 v114, v[8:9]
	s_wait_dscnt 0x0
	s_barrier_signal -1
	s_barrier_wait -1
	ds_load_b64 v[114:115], v118 offset:376
	v_mov_b32_e32 v116, 47
	s_cmp_lt_i32 s18, 49
	s_cbranch_scc1 .LBB106_989
; %bb.987:
	v_add3_u32 v117, v119, 0, 0x180
	v_mov_b32_e32 v116, 47
	s_mov_b32 s0, 48
.LBB106_988:                            ; =>This Inner Loop Header: Depth=1
	ds_load_b64 v[124:125], v117
	s_wait_dscnt 0x1
	v_cmp_gt_f32_e32 vcc_lo, 0, v114
	v_cndmask_b32_e64 v126, v114, -v114, vcc_lo
	v_cmp_gt_f32_e32 vcc_lo, 0, v115
	v_cndmask_b32_e64 v128, v115, -v115, vcc_lo
	s_wait_dscnt 0x0
	v_cmp_gt_f32_e32 vcc_lo, 0, v124
	v_cndmask_b32_e64 v127, v124, -v124, vcc_lo
	v_cmp_gt_f32_e32 vcc_lo, 0, v125
	v_cndmask_b32_e64 v129, v125, -v125, vcc_lo
	s_delay_alu instid0(VALU_DEP_1) | instskip(NEXT) | instid1(VALU_DEP_1)
	v_pk_add_f32 v[126:127], v[126:127], v[128:129]
	v_cmp_lt_f32_e32 vcc_lo, v126, v127
	v_dual_cndmask_b32 v114, v114, v124 :: v_dual_add_nc_u32 v117, 8, v117
	v_cndmask_b32_e32 v115, v115, v125, vcc_lo
	v_cndmask_b32_e64 v116, v116, s0, vcc_lo
	s_add_co_i32 s0, s0, 1
	s_delay_alu instid0(SALU_CYCLE_1)
	s_cmp_lg_u32 s18, s0
	s_cbranch_scc1 .LBB106_988
.LBB106_989:
	s_wait_dscnt 0x0
	v_cmp_eq_f32_e32 vcc_lo, 0, v114
	v_cmp_eq_f32_e64 s0, 0, v115
	s_and_b32 s0, vcc_lo, s0
	s_delay_alu instid0(SALU_CYCLE_1) | instskip(NEXT) | instid1(SALU_CYCLE_1)
	s_and_saveexec_b32 s1, s0
	s_xor_b32 s0, exec_lo, s1
; %bb.990:
	v_cmp_ne_u32_e32 vcc_lo, 0, v120
	v_cndmask_b32_e32 v120, 48, v120, vcc_lo
; %bb.991:
	s_and_not1_saveexec_b32 s0, s0
	s_cbranch_execz .LBB106_997
; %bb.992:
	v_cmp_ngt_f32_e64 s1, |v114|, |v115|
	s_and_saveexec_b32 s12, s1
	s_delay_alu instid0(SALU_CYCLE_1)
	s_xor_b32 s1, exec_lo, s12
	s_cbranch_execz .LBB106_994
; %bb.993:
	v_div_scale_f32 v117, null, v115, v115, v114
	v_div_scale_f32 v125, vcc_lo, v114, v115, v114
	s_delay_alu instid0(VALU_DEP_2) | instskip(SKIP_1) | instid1(TRANS32_DEP_1)
	v_rcp_f32_e32 v123, v117
	v_nop
	v_fma_f32 v124, -v117, v123, 1.0
	s_delay_alu instid0(VALU_DEP_1) | instskip(NEXT) | instid1(VALU_DEP_1)
	v_fmac_f32_e32 v123, v124, v123
	v_mul_f32_e32 v124, v125, v123
	s_delay_alu instid0(VALU_DEP_1) | instskip(NEXT) | instid1(VALU_DEP_1)
	v_fma_f32 v126, -v117, v124, v125
	v_fmac_f32_e32 v124, v126, v123
	s_delay_alu instid0(VALU_DEP_1) | instskip(NEXT) | instid1(VALU_DEP_1)
	v_fma_f32 v117, -v117, v124, v125
	v_div_fmas_f32 v117, v117, v123, v124
	s_delay_alu instid0(VALU_DEP_1) | instskip(NEXT) | instid1(VALU_DEP_1)
	v_div_fixup_f32 v117, v117, v115, v114
	v_fmac_f32_e32 v115, v114, v117
	s_delay_alu instid0(VALU_DEP_1) | instskip(SKIP_1) | instid1(VALU_DEP_2)
	v_div_scale_f32 v114, null, v115, v115, 1.0
	v_div_scale_f32 v125, vcc_lo, 1.0, v115, 1.0
	v_rcp_f32_e32 v123, v114
	v_nop
	s_delay_alu instid0(TRANS32_DEP_1) | instskip(NEXT) | instid1(VALU_DEP_1)
	v_fma_f32 v124, -v114, v123, 1.0
	v_fmac_f32_e32 v123, v124, v123
	s_delay_alu instid0(VALU_DEP_1) | instskip(NEXT) | instid1(VALU_DEP_1)
	v_mul_f32_e32 v124, v125, v123
	v_fma_f32 v126, -v114, v124, v125
	s_delay_alu instid0(VALU_DEP_1) | instskip(NEXT) | instid1(VALU_DEP_1)
	v_fmac_f32_e32 v124, v126, v123
	v_fma_f32 v114, -v114, v124, v125
	s_delay_alu instid0(VALU_DEP_1) | instskip(NEXT) | instid1(VALU_DEP_1)
	v_div_fmas_f32 v114, v114, v123, v124
	v_div_fixup_f32 v115, v114, v115, 1.0
	s_delay_alu instid0(VALU_DEP_1)
	v_mul_f32_e32 v114, v117, v115
	v_xor_b32_e32 v115, 0x80000000, v115
.LBB106_994:
	s_and_not1_saveexec_b32 s1, s1
	s_cbranch_execz .LBB106_996
; %bb.995:
	s_delay_alu instid0(VALU_DEP_1) | instskip(SKIP_1) | instid1(VALU_DEP_2)
	v_div_scale_f32 v117, null, v114, v114, v115
	v_div_scale_f32 v125, vcc_lo, v115, v114, v115
	v_rcp_f32_e32 v123, v117
	v_nop
	s_delay_alu instid0(TRANS32_DEP_1) | instskip(NEXT) | instid1(VALU_DEP_1)
	v_fma_f32 v124, -v117, v123, 1.0
	v_fmac_f32_e32 v123, v124, v123
	s_delay_alu instid0(VALU_DEP_1) | instskip(NEXT) | instid1(VALU_DEP_1)
	v_mul_f32_e32 v124, v125, v123
	v_fma_f32 v126, -v117, v124, v125
	s_delay_alu instid0(VALU_DEP_1) | instskip(NEXT) | instid1(VALU_DEP_1)
	v_fmac_f32_e32 v124, v126, v123
	v_fma_f32 v117, -v117, v124, v125
	s_delay_alu instid0(VALU_DEP_1) | instskip(NEXT) | instid1(VALU_DEP_1)
	v_div_fmas_f32 v117, v117, v123, v124
	v_div_fixup_f32 v117, v117, v114, v115
	s_delay_alu instid0(VALU_DEP_1) | instskip(NEXT) | instid1(VALU_DEP_1)
	v_fmac_f32_e32 v114, v115, v117
	v_div_scale_f32 v115, null, v114, v114, 1.0
	s_delay_alu instid0(VALU_DEP_1) | instskip(SKIP_1) | instid1(TRANS32_DEP_1)
	v_rcp_f32_e32 v123, v115
	v_nop
	v_fma_f32 v124, -v115, v123, 1.0
	s_delay_alu instid0(VALU_DEP_1) | instskip(SKIP_1) | instid1(VALU_DEP_1)
	v_fmac_f32_e32 v123, v124, v123
	v_div_scale_f32 v124, vcc_lo, 1.0, v114, 1.0
	v_mul_f32_e32 v125, v124, v123
	s_delay_alu instid0(VALU_DEP_1) | instskip(NEXT) | instid1(VALU_DEP_1)
	v_fma_f32 v126, -v115, v125, v124
	v_fmac_f32_e32 v125, v126, v123
	s_delay_alu instid0(VALU_DEP_1) | instskip(NEXT) | instid1(VALU_DEP_1)
	v_fma_f32 v115, -v115, v125, v124
	v_div_fmas_f32 v115, v115, v123, v125
	s_delay_alu instid0(VALU_DEP_1) | instskip(NEXT) | instid1(VALU_DEP_1)
	v_div_fixup_f32 v114, v115, v114, 1.0
	v_mul_f32_e64 v115, v117, -v114
.LBB106_996:
	s_or_b32 exec_lo, exec_lo, s1
.LBB106_997:
	s_delay_alu instid0(SALU_CYCLE_1) | instskip(NEXT) | instid1(SALU_CYCLE_1)
	s_or_b32 exec_lo, exec_lo, s0
	s_mov_b32 s0, exec_lo
	v_cmpx_ne_u32_e64 v122, v116
	s_xor_b32 s0, exec_lo, s0
	s_cbranch_execz .LBB106_1003
; %bb.998:
	s_mov_b32 s1, exec_lo
	v_cmpx_eq_u32_e32 47, v122
	s_cbranch_execz .LBB106_1002
; %bb.999:
	v_cmp_ne_u32_e32 vcc_lo, 47, v116
	s_xor_b32 s12, s16, -1
	s_delay_alu instid0(SALU_CYCLE_1) | instskip(NEXT) | instid1(SALU_CYCLE_1)
	s_and_b32 s13, s12, vcc_lo
	s_and_saveexec_b32 s12, s13
	s_cbranch_execz .LBB106_1001
; %bb.1000:
	v_ashrrev_i32_e32 v117, 31, v116
	s_delay_alu instid0(VALU_DEP_1)
	v_lshl_add_u64 v[122:123], v[116:117], 2, v[4:5]
	s_clause 0x1
	global_load_b32 v117, v[122:123], off
	global_load_b32 v121, v[4:5], off offset:188
	s_wait_loadcnt 0x1
	global_store_b32 v[4:5], v117, off offset:188
	s_wait_loadcnt 0x0
	global_store_b32 v[122:123], v121, off
.LBB106_1001:
	s_wait_xcnt 0x0
	s_or_b32 exec_lo, exec_lo, s12
	v_dual_mov_b32 v122, v116 :: v_dual_mov_b32 v121, v116
.LBB106_1002:
	s_or_b32 exec_lo, exec_lo, s1
.LBB106_1003:
	s_and_not1_saveexec_b32 s0, s0
	s_cbranch_execz .LBB106_1005
; %bb.1004:
	v_dual_mov_b32 v116, v66 :: v_dual_mov_b32 v117, v67
	v_dual_mov_b32 v124, v6 :: v_dual_mov_b32 v125, v7
	;; [unrolled: 1-line block ×5, first 2 shown]
	v_mov_b32_e32 v131, v15
	ds_store_2addr_b64 v118, v[116:117], v[124:125] offset0:48 offset1:49
	ds_store_2addr_b64 v118, v[126:127], v[128:129] offset0:50 offset1:51
	;; [unrolled: 1-line block ×3, first 2 shown]
.LBB106_1005:
	s_or_b32 exec_lo, exec_lo, s0
	s_delay_alu instid0(SALU_CYCLE_1)
	s_mov_b32 s0, exec_lo
	s_wait_storecnt_dscnt 0x0
	s_barrier_signal -1
	s_barrier_wait -1
	v_cmpx_lt_i32_e32 47, v122
	s_cbranch_execz .LBB106_1007
; %bb.1006:
	v_pk_mul_f32 v[116:117], v[114:115], v[8:9] op_sel:[1,1] op_sel_hi:[0,1]
	s_delay_alu instid0(VALU_DEP_1)
	v_pk_fma_f32 v[124:125], v[114:115], v[8:9], v[116:117] op_sel_hi:[1,0,1] neg_lo:[0,0,1] neg_hi:[0,0,1]
	v_pk_fma_f32 v[126:127], v[114:115], v[8:9], v[116:117] op_sel_hi:[1,0,1]
	ds_load_2addr_b64 v[114:117], v118 offset0:48 offset1:49
	v_dual_mov_b32 v8, v124 :: v_dual_mov_b32 v9, v127
	s_wait_dscnt 0x0
	v_pk_mul_f32 v[128:129], v[114:115], v[126:127] op_sel:[0,1]
	s_delay_alu instid0(VALU_DEP_1) | instskip(SKIP_1) | instid1(VALU_DEP_1)
	v_pk_fma_f32 v[130:131], v[114:115], v[124:125], v[128:129] op_sel:[0,0,1] op_sel_hi:[1,1,0] neg_lo:[0,0,1] neg_hi:[0,0,1]
	v_pk_fma_f32 v[114:115], v[114:115], v[124:125], v[128:129] op_sel:[0,0,1] op_sel_hi:[1,0,0]
	v_mov_b32_e32 v131, v115
	v_pk_mul_f32 v[114:115], v[116:117], v[126:127] op_sel:[0,1]
	s_delay_alu instid0(VALU_DEP_1) | instskip(SKIP_1) | instid1(VALU_DEP_1)
	v_pk_fma_f32 v[128:129], v[116:117], v[124:125], v[114:115] op_sel:[0,0,1] op_sel_hi:[1,1,0] neg_lo:[0,0,1] neg_hi:[0,0,1]
	v_pk_fma_f32 v[114:115], v[116:117], v[124:125], v[114:115] op_sel:[0,0,1] op_sel_hi:[1,0,0]
	v_mov_b32_e32 v129, v115
	ds_load_2addr_b64 v[114:117], v118 offset0:50 offset1:51
	v_pk_add_f32 v[66:67], v[66:67], v[130:131] neg_lo:[0,1] neg_hi:[0,1]
	v_pk_add_f32 v[6:7], v[6:7], v[128:129] neg_lo:[0,1] neg_hi:[0,1]
	s_wait_dscnt 0x0
	v_pk_mul_f32 v[128:129], v[114:115], v[126:127] op_sel:[0,1]
	s_delay_alu instid0(VALU_DEP_1) | instskip(SKIP_2) | instid1(VALU_DEP_2)
	v_pk_fma_f32 v[130:131], v[114:115], v[124:125], v[128:129] op_sel:[0,0,1] op_sel_hi:[1,1,0] neg_lo:[0,0,1] neg_hi:[0,0,1]
	v_pk_fma_f32 v[114:115], v[114:115], v[124:125], v[128:129] op_sel:[0,0,1] op_sel_hi:[1,0,0]
	v_dual_mul_f32 v128, v117, v127 :: v_dual_mov_b32 v114, v117
	v_dual_mov_b32 v131, v115 :: v_dual_mov_b32 v115, v116
	s_delay_alu instid0(VALU_DEP_2) | instskip(SKIP_1) | instid1(VALU_DEP_3)
	v_pk_fma_f32 v[128:129], v[116:117], v[8:9], v[128:129] op_sel_hi:[1,1,0] neg_lo:[0,0,1] neg_hi:[0,0,1]
	v_mul_f32_e32 v116, v117, v124
	v_pk_add_f32 v[46:47], v[46:47], v[130:131] neg_lo:[0,1] neg_hi:[0,1]
	s_delay_alu instid0(VALU_DEP_2) | instskip(NEXT) | instid1(VALU_DEP_1)
	v_pk_fma_f32 v[114:115], v[114:115], v[8:9], v[116:117] op_sel_hi:[1,1,0]
	v_mov_b32_e32 v129, v115
	ds_load_2addr_b64 v[114:117], v118 offset0:52 offset1:53
	v_pk_add_f32 v[28:29], v[28:29], v[128:129] neg_lo:[0,1] neg_hi:[0,1]
	s_wait_dscnt 0x0
	v_pk_mul_f32 v[128:129], v[114:115], v[126:127] op_sel:[0,1]
	v_mul_f32_e32 v126, v117, v127
	s_delay_alu instid0(VALU_DEP_2) | instskip(SKIP_2) | instid1(VALU_DEP_4)
	v_pk_fma_f32 v[130:131], v[114:115], v[124:125], v[128:129] op_sel:[0,0,1] op_sel_hi:[1,1,0] neg_lo:[0,0,1] neg_hi:[0,0,1]
	v_pk_fma_f32 v[114:115], v[114:115], v[124:125], v[128:129] op_sel:[0,0,1] op_sel_hi:[1,0,0]
	v_mov_b32_e32 v114, v117
	v_pk_fma_f32 v[126:127], v[116:117], v[8:9], v[126:127] op_sel_hi:[1,1,0] neg_lo:[0,0,1] neg_hi:[0,0,1]
	s_delay_alu instid0(VALU_DEP_3) | instskip(SKIP_1) | instid1(VALU_DEP_2)
	v_dual_mov_b32 v131, v115 :: v_dual_mov_b32 v115, v116
	v_mul_f32_e32 v116, v117, v124
	v_pk_add_f32 v[14:15], v[14:15], v[130:131] neg_lo:[0,1] neg_hi:[0,1]
	s_delay_alu instid0(VALU_DEP_2) | instskip(NEXT) | instid1(VALU_DEP_1)
	v_pk_fma_f32 v[114:115], v[114:115], v[8:9], v[116:117] op_sel_hi:[1,1,0]
	v_mov_b32_e32 v127, v115
	s_delay_alu instid0(VALU_DEP_1)
	v_pk_add_f32 v[112:113], v[112:113], v[126:127] neg_lo:[0,1] neg_hi:[0,1]
.LBB106_1007:
	s_or_b32 exec_lo, exec_lo, s0
	v_lshl_add_u32 v114, v122, 3, v118
	s_barrier_signal -1
	s_barrier_wait -1
	ds_store_b64 v114, v[66:67]
	s_wait_dscnt 0x0
	s_barrier_signal -1
	s_barrier_wait -1
	ds_load_b64 v[114:115], v118 offset:384
	v_mov_b32_e32 v116, 48
	s_cmp_lt_i32 s18, 50
	s_cbranch_scc1 .LBB106_1010
; %bb.1008:
	v_add3_u32 v117, v119, 0, 0x188
	v_mov_b32_e32 v116, 48
	s_mov_b32 s0, 49
.LBB106_1009:                           ; =>This Inner Loop Header: Depth=1
	ds_load_b64 v[124:125], v117
	s_wait_dscnt 0x1
	v_cmp_gt_f32_e32 vcc_lo, 0, v114
	v_cndmask_b32_e64 v126, v114, -v114, vcc_lo
	v_cmp_gt_f32_e32 vcc_lo, 0, v115
	v_cndmask_b32_e64 v128, v115, -v115, vcc_lo
	s_wait_dscnt 0x0
	v_cmp_gt_f32_e32 vcc_lo, 0, v124
	v_cndmask_b32_e64 v127, v124, -v124, vcc_lo
	v_cmp_gt_f32_e32 vcc_lo, 0, v125
	v_cndmask_b32_e64 v129, v125, -v125, vcc_lo
	s_delay_alu instid0(VALU_DEP_1) | instskip(NEXT) | instid1(VALU_DEP_1)
	v_pk_add_f32 v[126:127], v[126:127], v[128:129]
	v_cmp_lt_f32_e32 vcc_lo, v126, v127
	v_dual_cndmask_b32 v114, v114, v124 :: v_dual_add_nc_u32 v117, 8, v117
	v_cndmask_b32_e32 v115, v115, v125, vcc_lo
	v_cndmask_b32_e64 v116, v116, s0, vcc_lo
	s_add_co_i32 s0, s0, 1
	s_delay_alu instid0(SALU_CYCLE_1)
	s_cmp_lg_u32 s18, s0
	s_cbranch_scc1 .LBB106_1009
.LBB106_1010:
	s_wait_dscnt 0x0
	v_cmp_eq_f32_e32 vcc_lo, 0, v114
	v_cmp_eq_f32_e64 s0, 0, v115
	s_and_b32 s0, vcc_lo, s0
	s_delay_alu instid0(SALU_CYCLE_1) | instskip(NEXT) | instid1(SALU_CYCLE_1)
	s_and_saveexec_b32 s1, s0
	s_xor_b32 s0, exec_lo, s1
; %bb.1011:
	v_cmp_ne_u32_e32 vcc_lo, 0, v120
	v_cndmask_b32_e32 v120, 49, v120, vcc_lo
; %bb.1012:
	s_and_not1_saveexec_b32 s0, s0
	s_cbranch_execz .LBB106_1018
; %bb.1013:
	v_cmp_ngt_f32_e64 s1, |v114|, |v115|
	s_and_saveexec_b32 s12, s1
	s_delay_alu instid0(SALU_CYCLE_1)
	s_xor_b32 s1, exec_lo, s12
	s_cbranch_execz .LBB106_1015
; %bb.1014:
	v_div_scale_f32 v117, null, v115, v115, v114
	v_div_scale_f32 v125, vcc_lo, v114, v115, v114
	s_delay_alu instid0(VALU_DEP_2) | instskip(SKIP_1) | instid1(TRANS32_DEP_1)
	v_rcp_f32_e32 v123, v117
	v_nop
	v_fma_f32 v124, -v117, v123, 1.0
	s_delay_alu instid0(VALU_DEP_1) | instskip(NEXT) | instid1(VALU_DEP_1)
	v_fmac_f32_e32 v123, v124, v123
	v_mul_f32_e32 v124, v125, v123
	s_delay_alu instid0(VALU_DEP_1) | instskip(NEXT) | instid1(VALU_DEP_1)
	v_fma_f32 v126, -v117, v124, v125
	v_fmac_f32_e32 v124, v126, v123
	s_delay_alu instid0(VALU_DEP_1) | instskip(NEXT) | instid1(VALU_DEP_1)
	v_fma_f32 v117, -v117, v124, v125
	v_div_fmas_f32 v117, v117, v123, v124
	s_delay_alu instid0(VALU_DEP_1) | instskip(NEXT) | instid1(VALU_DEP_1)
	v_div_fixup_f32 v117, v117, v115, v114
	v_fmac_f32_e32 v115, v114, v117
	s_delay_alu instid0(VALU_DEP_1) | instskip(SKIP_1) | instid1(VALU_DEP_2)
	v_div_scale_f32 v114, null, v115, v115, 1.0
	v_div_scale_f32 v125, vcc_lo, 1.0, v115, 1.0
	v_rcp_f32_e32 v123, v114
	v_nop
	s_delay_alu instid0(TRANS32_DEP_1) | instskip(NEXT) | instid1(VALU_DEP_1)
	v_fma_f32 v124, -v114, v123, 1.0
	v_fmac_f32_e32 v123, v124, v123
	s_delay_alu instid0(VALU_DEP_1) | instskip(NEXT) | instid1(VALU_DEP_1)
	v_mul_f32_e32 v124, v125, v123
	v_fma_f32 v126, -v114, v124, v125
	s_delay_alu instid0(VALU_DEP_1) | instskip(NEXT) | instid1(VALU_DEP_1)
	v_fmac_f32_e32 v124, v126, v123
	v_fma_f32 v114, -v114, v124, v125
	s_delay_alu instid0(VALU_DEP_1) | instskip(NEXT) | instid1(VALU_DEP_1)
	v_div_fmas_f32 v114, v114, v123, v124
	v_div_fixup_f32 v115, v114, v115, 1.0
	s_delay_alu instid0(VALU_DEP_1)
	v_mul_f32_e32 v114, v117, v115
	v_xor_b32_e32 v115, 0x80000000, v115
.LBB106_1015:
	s_and_not1_saveexec_b32 s1, s1
	s_cbranch_execz .LBB106_1017
; %bb.1016:
	s_delay_alu instid0(VALU_DEP_1) | instskip(SKIP_1) | instid1(VALU_DEP_2)
	v_div_scale_f32 v117, null, v114, v114, v115
	v_div_scale_f32 v125, vcc_lo, v115, v114, v115
	v_rcp_f32_e32 v123, v117
	v_nop
	s_delay_alu instid0(TRANS32_DEP_1) | instskip(NEXT) | instid1(VALU_DEP_1)
	v_fma_f32 v124, -v117, v123, 1.0
	v_fmac_f32_e32 v123, v124, v123
	s_delay_alu instid0(VALU_DEP_1) | instskip(NEXT) | instid1(VALU_DEP_1)
	v_mul_f32_e32 v124, v125, v123
	v_fma_f32 v126, -v117, v124, v125
	s_delay_alu instid0(VALU_DEP_1) | instskip(NEXT) | instid1(VALU_DEP_1)
	v_fmac_f32_e32 v124, v126, v123
	v_fma_f32 v117, -v117, v124, v125
	s_delay_alu instid0(VALU_DEP_1) | instskip(NEXT) | instid1(VALU_DEP_1)
	v_div_fmas_f32 v117, v117, v123, v124
	v_div_fixup_f32 v117, v117, v114, v115
	s_delay_alu instid0(VALU_DEP_1) | instskip(NEXT) | instid1(VALU_DEP_1)
	v_fmac_f32_e32 v114, v115, v117
	v_div_scale_f32 v115, null, v114, v114, 1.0
	s_delay_alu instid0(VALU_DEP_1) | instskip(SKIP_1) | instid1(TRANS32_DEP_1)
	v_rcp_f32_e32 v123, v115
	v_nop
	v_fma_f32 v124, -v115, v123, 1.0
	s_delay_alu instid0(VALU_DEP_1) | instskip(SKIP_1) | instid1(VALU_DEP_1)
	v_fmac_f32_e32 v123, v124, v123
	v_div_scale_f32 v124, vcc_lo, 1.0, v114, 1.0
	v_mul_f32_e32 v125, v124, v123
	s_delay_alu instid0(VALU_DEP_1) | instskip(NEXT) | instid1(VALU_DEP_1)
	v_fma_f32 v126, -v115, v125, v124
	v_fmac_f32_e32 v125, v126, v123
	s_delay_alu instid0(VALU_DEP_1) | instskip(NEXT) | instid1(VALU_DEP_1)
	v_fma_f32 v115, -v115, v125, v124
	v_div_fmas_f32 v115, v115, v123, v125
	s_delay_alu instid0(VALU_DEP_1) | instskip(NEXT) | instid1(VALU_DEP_1)
	v_div_fixup_f32 v114, v115, v114, 1.0
	v_mul_f32_e64 v115, v117, -v114
.LBB106_1017:
	s_or_b32 exec_lo, exec_lo, s1
.LBB106_1018:
	s_delay_alu instid0(SALU_CYCLE_1) | instskip(NEXT) | instid1(SALU_CYCLE_1)
	s_or_b32 exec_lo, exec_lo, s0
	s_mov_b32 s0, exec_lo
	v_cmpx_ne_u32_e64 v122, v116
	s_xor_b32 s0, exec_lo, s0
	s_cbranch_execz .LBB106_1024
; %bb.1019:
	s_mov_b32 s1, exec_lo
	v_cmpx_eq_u32_e32 48, v122
	s_cbranch_execz .LBB106_1023
; %bb.1020:
	v_cmp_ne_u32_e32 vcc_lo, 48, v116
	s_xor_b32 s12, s16, -1
	s_delay_alu instid0(SALU_CYCLE_1) | instskip(NEXT) | instid1(SALU_CYCLE_1)
	s_and_b32 s13, s12, vcc_lo
	s_and_saveexec_b32 s12, s13
	s_cbranch_execz .LBB106_1022
; %bb.1021:
	v_ashrrev_i32_e32 v117, 31, v116
	s_delay_alu instid0(VALU_DEP_1)
	v_lshl_add_u64 v[122:123], v[116:117], 2, v[4:5]
	s_clause 0x1
	global_load_b32 v117, v[122:123], off
	global_load_b32 v121, v[4:5], off offset:192
	s_wait_loadcnt 0x1
	global_store_b32 v[4:5], v117, off offset:192
	s_wait_loadcnt 0x0
	global_store_b32 v[122:123], v121, off
.LBB106_1022:
	s_wait_xcnt 0x0
	s_or_b32 exec_lo, exec_lo, s12
	v_dual_mov_b32 v122, v116 :: v_dual_mov_b32 v121, v116
.LBB106_1023:
	s_or_b32 exec_lo, exec_lo, s1
.LBB106_1024:
	s_and_not1_saveexec_b32 s0, s0
	s_cbranch_execz .LBB106_1026
; %bb.1025:
	v_mov_b32_e32 v122, 48
	ds_store_2addr_b64 v118, v[6:7], v[46:47] offset0:49 offset1:50
	ds_store_2addr_b64 v118, v[28:29], v[14:15] offset0:51 offset1:52
	ds_store_b64 v118, v[112:113] offset:424
.LBB106_1026:
	s_or_b32 exec_lo, exec_lo, s0
	s_delay_alu instid0(SALU_CYCLE_1)
	s_mov_b32 s0, exec_lo
	s_wait_storecnt_dscnt 0x0
	s_barrier_signal -1
	s_barrier_wait -1
	v_cmpx_lt_i32_e32 48, v122
	s_cbranch_execz .LBB106_1028
; %bb.1027:
	v_pk_mul_f32 v[116:117], v[114:115], v[66:67] op_sel:[1,1] op_sel_hi:[0,1]
	s_delay_alu instid0(VALU_DEP_1)
	v_pk_fma_f32 v[124:125], v[114:115], v[66:67], v[116:117] op_sel_hi:[1,0,1] neg_lo:[0,0,1] neg_hi:[0,0,1]
	v_pk_fma_f32 v[126:127], v[114:115], v[66:67], v[116:117] op_sel_hi:[1,0,1]
	ds_load_2addr_b64 v[114:117], v118 offset0:49 offset1:50
	v_dual_mov_b32 v66, v124 :: v_dual_mov_b32 v67, v127
	s_wait_dscnt 0x0
	v_pk_mul_f32 v[128:129], v[114:115], v[126:127] op_sel:[0,1]
	s_delay_alu instid0(VALU_DEP_1) | instskip(SKIP_1) | instid1(VALU_DEP_1)
	v_pk_fma_f32 v[130:131], v[114:115], v[124:125], v[128:129] op_sel:[0,0,1] op_sel_hi:[1,1,0] neg_lo:[0,0,1] neg_hi:[0,0,1]
	v_pk_fma_f32 v[114:115], v[114:115], v[124:125], v[128:129] op_sel:[0,0,1] op_sel_hi:[1,0,0]
	v_mov_b32_e32 v131, v115
	v_pk_mul_f32 v[114:115], v[116:117], v[126:127] op_sel:[0,1]
	s_delay_alu instid0(VALU_DEP_1) | instskip(SKIP_1) | instid1(VALU_DEP_1)
	v_pk_fma_f32 v[128:129], v[116:117], v[124:125], v[114:115] op_sel:[0,0,1] op_sel_hi:[1,1,0] neg_lo:[0,0,1] neg_hi:[0,0,1]
	v_pk_fma_f32 v[114:115], v[116:117], v[124:125], v[114:115] op_sel:[0,0,1] op_sel_hi:[1,0,0]
	v_mov_b32_e32 v129, v115
	ds_load_2addr_b64 v[114:117], v118 offset0:51 offset1:52
	v_pk_add_f32 v[6:7], v[6:7], v[130:131] neg_lo:[0,1] neg_hi:[0,1]
	v_pk_add_f32 v[46:47], v[46:47], v[128:129] neg_lo:[0,1] neg_hi:[0,1]
	s_wait_dscnt 0x0
	v_pk_mul_f32 v[128:129], v[114:115], v[126:127] op_sel:[0,1]
	s_delay_alu instid0(VALU_DEP_1) | instskip(SKIP_2) | instid1(VALU_DEP_2)
	v_pk_fma_f32 v[130:131], v[114:115], v[124:125], v[128:129] op_sel:[0,0,1] op_sel_hi:[1,1,0] neg_lo:[0,0,1] neg_hi:[0,0,1]
	v_pk_fma_f32 v[114:115], v[114:115], v[124:125], v[128:129] op_sel:[0,0,1] op_sel_hi:[1,0,0]
	v_dual_mul_f32 v128, v117, v127 :: v_dual_mov_b32 v114, v117
	v_dual_mov_b32 v131, v115 :: v_dual_mov_b32 v115, v116
	s_delay_alu instid0(VALU_DEP_2) | instskip(SKIP_1) | instid1(VALU_DEP_3)
	v_pk_fma_f32 v[128:129], v[116:117], v[66:67], v[128:129] op_sel_hi:[1,1,0] neg_lo:[0,0,1] neg_hi:[0,0,1]
	v_mul_f32_e32 v116, v117, v124
	v_pk_add_f32 v[28:29], v[28:29], v[130:131] neg_lo:[0,1] neg_hi:[0,1]
	s_delay_alu instid0(VALU_DEP_2) | instskip(NEXT) | instid1(VALU_DEP_1)
	v_pk_fma_f32 v[114:115], v[114:115], v[66:67], v[116:117] op_sel_hi:[1,1,0]
	v_mov_b32_e32 v129, v115
	ds_load_b64 v[114:115], v118 offset:424
	v_pk_add_f32 v[14:15], v[14:15], v[128:129] neg_lo:[0,1] neg_hi:[0,1]
	s_wait_dscnt 0x0
	v_pk_mul_f32 v[116:117], v[114:115], v[126:127] op_sel:[0,1]
	s_delay_alu instid0(VALU_DEP_1) | instskip(SKIP_1) | instid1(VALU_DEP_1)
	v_pk_fma_f32 v[126:127], v[114:115], v[124:125], v[116:117] op_sel:[0,0,1] op_sel_hi:[1,1,0] neg_lo:[0,0,1] neg_hi:[0,0,1]
	v_pk_fma_f32 v[114:115], v[114:115], v[124:125], v[116:117] op_sel:[0,0,1] op_sel_hi:[1,0,0]
	v_mov_b32_e32 v127, v115
	s_delay_alu instid0(VALU_DEP_1)
	v_pk_add_f32 v[112:113], v[112:113], v[126:127] neg_lo:[0,1] neg_hi:[0,1]
.LBB106_1028:
	s_or_b32 exec_lo, exec_lo, s0
	v_lshl_add_u32 v114, v122, 3, v118
	s_barrier_signal -1
	s_barrier_wait -1
	ds_store_b64 v114, v[6:7]
	s_wait_dscnt 0x0
	s_barrier_signal -1
	s_barrier_wait -1
	ds_load_b64 v[114:115], v118 offset:392
	v_mov_b32_e32 v116, 49
	s_cmp_lt_i32 s18, 51
	s_cbranch_scc1 .LBB106_1031
; %bb.1029:
	v_add3_u32 v117, v119, 0, 0x190
	v_mov_b32_e32 v116, 49
	s_mov_b32 s0, 50
.LBB106_1030:                           ; =>This Inner Loop Header: Depth=1
	ds_load_b64 v[124:125], v117
	s_wait_dscnt 0x1
	v_cmp_gt_f32_e32 vcc_lo, 0, v114
	v_cndmask_b32_e64 v126, v114, -v114, vcc_lo
	v_cmp_gt_f32_e32 vcc_lo, 0, v115
	v_cndmask_b32_e64 v128, v115, -v115, vcc_lo
	s_wait_dscnt 0x0
	v_cmp_gt_f32_e32 vcc_lo, 0, v124
	v_cndmask_b32_e64 v127, v124, -v124, vcc_lo
	v_cmp_gt_f32_e32 vcc_lo, 0, v125
	v_cndmask_b32_e64 v129, v125, -v125, vcc_lo
	s_delay_alu instid0(VALU_DEP_1) | instskip(NEXT) | instid1(VALU_DEP_1)
	v_pk_add_f32 v[126:127], v[126:127], v[128:129]
	v_cmp_lt_f32_e32 vcc_lo, v126, v127
	v_dual_cndmask_b32 v114, v114, v124 :: v_dual_add_nc_u32 v117, 8, v117
	v_cndmask_b32_e32 v115, v115, v125, vcc_lo
	v_cndmask_b32_e64 v116, v116, s0, vcc_lo
	s_add_co_i32 s0, s0, 1
	s_delay_alu instid0(SALU_CYCLE_1)
	s_cmp_lg_u32 s18, s0
	s_cbranch_scc1 .LBB106_1030
.LBB106_1031:
	s_wait_dscnt 0x0
	v_cmp_eq_f32_e32 vcc_lo, 0, v114
	v_cmp_eq_f32_e64 s0, 0, v115
	s_and_b32 s0, vcc_lo, s0
	s_delay_alu instid0(SALU_CYCLE_1) | instskip(NEXT) | instid1(SALU_CYCLE_1)
	s_and_saveexec_b32 s1, s0
	s_xor_b32 s0, exec_lo, s1
; %bb.1032:
	v_cmp_ne_u32_e32 vcc_lo, 0, v120
	v_cndmask_b32_e32 v120, 50, v120, vcc_lo
; %bb.1033:
	s_and_not1_saveexec_b32 s0, s0
	s_cbranch_execz .LBB106_1039
; %bb.1034:
	v_cmp_ngt_f32_e64 s1, |v114|, |v115|
	s_and_saveexec_b32 s12, s1
	s_delay_alu instid0(SALU_CYCLE_1)
	s_xor_b32 s1, exec_lo, s12
	s_cbranch_execz .LBB106_1036
; %bb.1035:
	v_div_scale_f32 v117, null, v115, v115, v114
	v_div_scale_f32 v125, vcc_lo, v114, v115, v114
	s_delay_alu instid0(VALU_DEP_2) | instskip(SKIP_1) | instid1(TRANS32_DEP_1)
	v_rcp_f32_e32 v123, v117
	v_nop
	v_fma_f32 v124, -v117, v123, 1.0
	s_delay_alu instid0(VALU_DEP_1) | instskip(NEXT) | instid1(VALU_DEP_1)
	v_fmac_f32_e32 v123, v124, v123
	v_mul_f32_e32 v124, v125, v123
	s_delay_alu instid0(VALU_DEP_1) | instskip(NEXT) | instid1(VALU_DEP_1)
	v_fma_f32 v126, -v117, v124, v125
	v_fmac_f32_e32 v124, v126, v123
	s_delay_alu instid0(VALU_DEP_1) | instskip(NEXT) | instid1(VALU_DEP_1)
	v_fma_f32 v117, -v117, v124, v125
	v_div_fmas_f32 v117, v117, v123, v124
	s_delay_alu instid0(VALU_DEP_1) | instskip(NEXT) | instid1(VALU_DEP_1)
	v_div_fixup_f32 v117, v117, v115, v114
	v_fmac_f32_e32 v115, v114, v117
	s_delay_alu instid0(VALU_DEP_1) | instskip(SKIP_1) | instid1(VALU_DEP_2)
	v_div_scale_f32 v114, null, v115, v115, 1.0
	v_div_scale_f32 v125, vcc_lo, 1.0, v115, 1.0
	v_rcp_f32_e32 v123, v114
	v_nop
	s_delay_alu instid0(TRANS32_DEP_1) | instskip(NEXT) | instid1(VALU_DEP_1)
	v_fma_f32 v124, -v114, v123, 1.0
	v_fmac_f32_e32 v123, v124, v123
	s_delay_alu instid0(VALU_DEP_1) | instskip(NEXT) | instid1(VALU_DEP_1)
	v_mul_f32_e32 v124, v125, v123
	v_fma_f32 v126, -v114, v124, v125
	s_delay_alu instid0(VALU_DEP_1) | instskip(NEXT) | instid1(VALU_DEP_1)
	v_fmac_f32_e32 v124, v126, v123
	v_fma_f32 v114, -v114, v124, v125
	s_delay_alu instid0(VALU_DEP_1) | instskip(NEXT) | instid1(VALU_DEP_1)
	v_div_fmas_f32 v114, v114, v123, v124
	v_div_fixup_f32 v115, v114, v115, 1.0
	s_delay_alu instid0(VALU_DEP_1)
	v_mul_f32_e32 v114, v117, v115
	v_xor_b32_e32 v115, 0x80000000, v115
.LBB106_1036:
	s_and_not1_saveexec_b32 s1, s1
	s_cbranch_execz .LBB106_1038
; %bb.1037:
	s_delay_alu instid0(VALU_DEP_1) | instskip(SKIP_1) | instid1(VALU_DEP_2)
	v_div_scale_f32 v117, null, v114, v114, v115
	v_div_scale_f32 v125, vcc_lo, v115, v114, v115
	v_rcp_f32_e32 v123, v117
	v_nop
	s_delay_alu instid0(TRANS32_DEP_1) | instskip(NEXT) | instid1(VALU_DEP_1)
	v_fma_f32 v124, -v117, v123, 1.0
	v_fmac_f32_e32 v123, v124, v123
	s_delay_alu instid0(VALU_DEP_1) | instskip(NEXT) | instid1(VALU_DEP_1)
	v_mul_f32_e32 v124, v125, v123
	v_fma_f32 v126, -v117, v124, v125
	s_delay_alu instid0(VALU_DEP_1) | instskip(NEXT) | instid1(VALU_DEP_1)
	v_fmac_f32_e32 v124, v126, v123
	v_fma_f32 v117, -v117, v124, v125
	s_delay_alu instid0(VALU_DEP_1) | instskip(NEXT) | instid1(VALU_DEP_1)
	v_div_fmas_f32 v117, v117, v123, v124
	v_div_fixup_f32 v117, v117, v114, v115
	s_delay_alu instid0(VALU_DEP_1) | instskip(NEXT) | instid1(VALU_DEP_1)
	v_fmac_f32_e32 v114, v115, v117
	v_div_scale_f32 v115, null, v114, v114, 1.0
	s_delay_alu instid0(VALU_DEP_1) | instskip(SKIP_1) | instid1(TRANS32_DEP_1)
	v_rcp_f32_e32 v123, v115
	v_nop
	v_fma_f32 v124, -v115, v123, 1.0
	s_delay_alu instid0(VALU_DEP_1) | instskip(SKIP_1) | instid1(VALU_DEP_1)
	v_fmac_f32_e32 v123, v124, v123
	v_div_scale_f32 v124, vcc_lo, 1.0, v114, 1.0
	v_mul_f32_e32 v125, v124, v123
	s_delay_alu instid0(VALU_DEP_1) | instskip(NEXT) | instid1(VALU_DEP_1)
	v_fma_f32 v126, -v115, v125, v124
	v_fmac_f32_e32 v125, v126, v123
	s_delay_alu instid0(VALU_DEP_1) | instskip(NEXT) | instid1(VALU_DEP_1)
	v_fma_f32 v115, -v115, v125, v124
	v_div_fmas_f32 v115, v115, v123, v125
	s_delay_alu instid0(VALU_DEP_1) | instskip(NEXT) | instid1(VALU_DEP_1)
	v_div_fixup_f32 v114, v115, v114, 1.0
	v_mul_f32_e64 v115, v117, -v114
.LBB106_1038:
	s_or_b32 exec_lo, exec_lo, s1
.LBB106_1039:
	s_delay_alu instid0(SALU_CYCLE_1) | instskip(NEXT) | instid1(SALU_CYCLE_1)
	s_or_b32 exec_lo, exec_lo, s0
	s_mov_b32 s0, exec_lo
	v_cmpx_ne_u32_e64 v122, v116
	s_xor_b32 s0, exec_lo, s0
	s_cbranch_execz .LBB106_1045
; %bb.1040:
	s_mov_b32 s1, exec_lo
	v_cmpx_eq_u32_e32 49, v122
	s_cbranch_execz .LBB106_1044
; %bb.1041:
	v_cmp_ne_u32_e32 vcc_lo, 49, v116
	s_xor_b32 s12, s16, -1
	s_delay_alu instid0(SALU_CYCLE_1) | instskip(NEXT) | instid1(SALU_CYCLE_1)
	s_and_b32 s13, s12, vcc_lo
	s_and_saveexec_b32 s12, s13
	s_cbranch_execz .LBB106_1043
; %bb.1042:
	v_ashrrev_i32_e32 v117, 31, v116
	s_delay_alu instid0(VALU_DEP_1)
	v_lshl_add_u64 v[122:123], v[116:117], 2, v[4:5]
	s_clause 0x1
	global_load_b32 v117, v[122:123], off
	global_load_b32 v121, v[4:5], off offset:196
	s_wait_loadcnt 0x1
	global_store_b32 v[4:5], v117, off offset:196
	s_wait_loadcnt 0x0
	global_store_b32 v[122:123], v121, off
.LBB106_1043:
	s_wait_xcnt 0x0
	s_or_b32 exec_lo, exec_lo, s12
	v_dual_mov_b32 v122, v116 :: v_dual_mov_b32 v121, v116
.LBB106_1044:
	s_or_b32 exec_lo, exec_lo, s1
.LBB106_1045:
	s_and_not1_saveexec_b32 s0, s0
	s_cbranch_execz .LBB106_1047
; %bb.1046:
	v_dual_mov_b32 v116, v46 :: v_dual_mov_b32 v117, v47
	v_dual_mov_b32 v124, v28 :: v_dual_mov_b32 v125, v29
	;; [unrolled: 1-line block ×3, first 2 shown]
	v_mov_b32_e32 v127, v15
	ds_store_2addr_b64 v118, v[116:117], v[124:125] offset0:50 offset1:51
	ds_store_2addr_b64 v118, v[126:127], v[112:113] offset0:52 offset1:53
.LBB106_1047:
	s_or_b32 exec_lo, exec_lo, s0
	s_delay_alu instid0(SALU_CYCLE_1)
	s_mov_b32 s0, exec_lo
	s_wait_storecnt_dscnt 0x0
	s_barrier_signal -1
	s_barrier_wait -1
	v_cmpx_lt_i32_e32 49, v122
	s_cbranch_execz .LBB106_1049
; %bb.1048:
	ds_load_2addr_b64 v[124:127], v118 offset0:50 offset1:51
	ds_load_2addr_b64 v[128:131], v118 offset0:52 offset1:53
	v_pk_mul_f32 v[116:117], v[114:115], v[6:7] op_sel:[1,1] op_sel_hi:[0,1]
	s_delay_alu instid0(VALU_DEP_1) | instskip(SKIP_1) | instid1(VALU_DEP_1)
	v_pk_fma_f32 v[132:133], v[114:115], v[6:7], v[116:117] op_sel_hi:[1,0,1] neg_lo:[0,0,1] neg_hi:[0,0,1]
	v_pk_fma_f32 v[114:115], v[114:115], v[6:7], v[116:117] op_sel_hi:[1,0,1]
	v_dual_mov_b32 v6, v132 :: v_dual_mov_b32 v7, v115
	s_wait_dscnt 0x1
	s_delay_alu instid0(VALU_DEP_2)
	v_pk_mul_f32 v[116:117], v[124:125], v[114:115] op_sel:[0,1]
	s_wait_dscnt 0x0
	v_mov_b32_e32 v134, v131
	v_pk_mul_f32 v[136:137], v[126:127], v[114:115] op_sel:[0,1]
	v_pk_mul_f32 v[138:139], v[128:129], v[114:115] op_sel:[0,1]
	v_pk_fma_f32 v[140:141], v[124:125], v[132:133], v[116:117] op_sel:[0,0,1] op_sel_hi:[1,1,0] neg_lo:[0,0,1] neg_hi:[0,0,1]
	v_pk_fma_f32 v[116:117], v[124:125], v[132:133], v[116:117] op_sel:[0,0,1] op_sel_hi:[1,0,0]
	s_delay_alu instid0(VALU_DEP_1) | instskip(NEXT) | instid1(VALU_DEP_1)
	v_dual_mov_b32 v135, v130 :: v_dual_mov_b32 v141, v117
	v_pk_mul_f32 v[124:125], v[134:135], v[114:115] op_sel:[0,1]
	v_pk_fma_f32 v[134:135], v[126:127], v[132:133], v[136:137] op_sel:[0,0,1] op_sel_hi:[1,0,0]
	v_pk_fma_f32 v[126:127], v[126:127], v[132:133], v[136:137] op_sel:[0,0,1] op_sel_hi:[1,1,0] neg_lo:[0,0,1] neg_hi:[0,0,1]
	v_pk_fma_f32 v[136:137], v[128:129], v[132:133], v[138:139] op_sel:[0,0,1] op_sel_hi:[1,0,0]
	v_pk_fma_f32 v[128:129], v[128:129], v[132:133], v[138:139] op_sel:[0,0,1] op_sel_hi:[1,1,0] neg_lo:[0,0,1] neg_hi:[0,0,1]
	v_pk_fma_f32 v[116:117], v[130:131], v[132:133], v[124:125] op_sel_hi:[1,0,1]
	v_pk_fma_f32 v[124:125], v[130:131], v[132:133], v[124:125] neg_lo:[0,0,1] neg_hi:[0,0,1]
	s_delay_alu instid0(VALU_DEP_4) | instskip(SKIP_1) | instid1(VALU_DEP_4)
	v_dual_mov_b32 v127, v135 :: v_dual_mov_b32 v129, v137
	v_pk_add_f32 v[46:47], v[46:47], v[140:141] neg_lo:[0,1] neg_hi:[0,1]
	v_mov_b32_e32 v125, v117
	s_delay_alu instid0(VALU_DEP_3) | instskip(NEXT) | instid1(VALU_DEP_4)
	v_pk_add_f32 v[28:29], v[28:29], v[126:127] neg_lo:[0,1] neg_hi:[0,1]
	v_pk_add_f32 v[14:15], v[14:15], v[128:129] neg_lo:[0,1] neg_hi:[0,1]
	s_delay_alu instid0(VALU_DEP_3)
	v_pk_add_f32 v[112:113], v[112:113], v[124:125] neg_lo:[0,1] neg_hi:[0,1]
.LBB106_1049:
	s_or_b32 exec_lo, exec_lo, s0
	v_lshl_add_u32 v114, v122, 3, v118
	s_barrier_signal -1
	s_barrier_wait -1
	ds_store_b64 v114, v[46:47]
	s_wait_dscnt 0x0
	s_barrier_signal -1
	s_barrier_wait -1
	ds_load_b64 v[114:115], v118 offset:400
	v_mov_b32_e32 v116, 50
	s_cmp_lt_i32 s18, 52
	s_cbranch_scc1 .LBB106_1052
; %bb.1050:
	v_add3_u32 v117, v119, 0, 0x198
	v_mov_b32_e32 v116, 50
	s_mov_b32 s0, 51
.LBB106_1051:                           ; =>This Inner Loop Header: Depth=1
	ds_load_b64 v[124:125], v117
	s_wait_dscnt 0x1
	v_cmp_gt_f32_e32 vcc_lo, 0, v114
	v_cndmask_b32_e64 v126, v114, -v114, vcc_lo
	v_cmp_gt_f32_e32 vcc_lo, 0, v115
	v_cndmask_b32_e64 v128, v115, -v115, vcc_lo
	s_wait_dscnt 0x0
	v_cmp_gt_f32_e32 vcc_lo, 0, v124
	v_cndmask_b32_e64 v127, v124, -v124, vcc_lo
	v_cmp_gt_f32_e32 vcc_lo, 0, v125
	v_cndmask_b32_e64 v129, v125, -v125, vcc_lo
	s_delay_alu instid0(VALU_DEP_1) | instskip(NEXT) | instid1(VALU_DEP_1)
	v_pk_add_f32 v[126:127], v[126:127], v[128:129]
	v_cmp_lt_f32_e32 vcc_lo, v126, v127
	v_dual_cndmask_b32 v114, v114, v124 :: v_dual_add_nc_u32 v117, 8, v117
	v_cndmask_b32_e32 v115, v115, v125, vcc_lo
	v_cndmask_b32_e64 v116, v116, s0, vcc_lo
	s_add_co_i32 s0, s0, 1
	s_delay_alu instid0(SALU_CYCLE_1)
	s_cmp_lg_u32 s18, s0
	s_cbranch_scc1 .LBB106_1051
.LBB106_1052:
	s_wait_dscnt 0x0
	v_cmp_eq_f32_e32 vcc_lo, 0, v114
	v_cmp_eq_f32_e64 s0, 0, v115
	s_and_b32 s0, vcc_lo, s0
	s_delay_alu instid0(SALU_CYCLE_1) | instskip(NEXT) | instid1(SALU_CYCLE_1)
	s_and_saveexec_b32 s1, s0
	s_xor_b32 s0, exec_lo, s1
; %bb.1053:
	v_cmp_ne_u32_e32 vcc_lo, 0, v120
	v_cndmask_b32_e32 v120, 51, v120, vcc_lo
; %bb.1054:
	s_and_not1_saveexec_b32 s0, s0
	s_cbranch_execz .LBB106_1060
; %bb.1055:
	v_cmp_ngt_f32_e64 s1, |v114|, |v115|
	s_and_saveexec_b32 s12, s1
	s_delay_alu instid0(SALU_CYCLE_1)
	s_xor_b32 s1, exec_lo, s12
	s_cbranch_execz .LBB106_1057
; %bb.1056:
	v_div_scale_f32 v117, null, v115, v115, v114
	v_div_scale_f32 v125, vcc_lo, v114, v115, v114
	s_delay_alu instid0(VALU_DEP_2) | instskip(SKIP_1) | instid1(TRANS32_DEP_1)
	v_rcp_f32_e32 v123, v117
	v_nop
	v_fma_f32 v124, -v117, v123, 1.0
	s_delay_alu instid0(VALU_DEP_1) | instskip(NEXT) | instid1(VALU_DEP_1)
	v_fmac_f32_e32 v123, v124, v123
	v_mul_f32_e32 v124, v125, v123
	s_delay_alu instid0(VALU_DEP_1) | instskip(NEXT) | instid1(VALU_DEP_1)
	v_fma_f32 v126, -v117, v124, v125
	v_fmac_f32_e32 v124, v126, v123
	s_delay_alu instid0(VALU_DEP_1) | instskip(NEXT) | instid1(VALU_DEP_1)
	v_fma_f32 v117, -v117, v124, v125
	v_div_fmas_f32 v117, v117, v123, v124
	s_delay_alu instid0(VALU_DEP_1) | instskip(NEXT) | instid1(VALU_DEP_1)
	v_div_fixup_f32 v117, v117, v115, v114
	v_fmac_f32_e32 v115, v114, v117
	s_delay_alu instid0(VALU_DEP_1) | instskip(SKIP_1) | instid1(VALU_DEP_2)
	v_div_scale_f32 v114, null, v115, v115, 1.0
	v_div_scale_f32 v125, vcc_lo, 1.0, v115, 1.0
	v_rcp_f32_e32 v123, v114
	v_nop
	s_delay_alu instid0(TRANS32_DEP_1) | instskip(NEXT) | instid1(VALU_DEP_1)
	v_fma_f32 v124, -v114, v123, 1.0
	v_fmac_f32_e32 v123, v124, v123
	s_delay_alu instid0(VALU_DEP_1) | instskip(NEXT) | instid1(VALU_DEP_1)
	v_mul_f32_e32 v124, v125, v123
	v_fma_f32 v126, -v114, v124, v125
	s_delay_alu instid0(VALU_DEP_1) | instskip(NEXT) | instid1(VALU_DEP_1)
	v_fmac_f32_e32 v124, v126, v123
	v_fma_f32 v114, -v114, v124, v125
	s_delay_alu instid0(VALU_DEP_1) | instskip(NEXT) | instid1(VALU_DEP_1)
	v_div_fmas_f32 v114, v114, v123, v124
	v_div_fixup_f32 v115, v114, v115, 1.0
	s_delay_alu instid0(VALU_DEP_1)
	v_mul_f32_e32 v114, v117, v115
	v_xor_b32_e32 v115, 0x80000000, v115
.LBB106_1057:
	s_and_not1_saveexec_b32 s1, s1
	s_cbranch_execz .LBB106_1059
; %bb.1058:
	s_delay_alu instid0(VALU_DEP_1) | instskip(SKIP_1) | instid1(VALU_DEP_2)
	v_div_scale_f32 v117, null, v114, v114, v115
	v_div_scale_f32 v125, vcc_lo, v115, v114, v115
	v_rcp_f32_e32 v123, v117
	v_nop
	s_delay_alu instid0(TRANS32_DEP_1) | instskip(NEXT) | instid1(VALU_DEP_1)
	v_fma_f32 v124, -v117, v123, 1.0
	v_fmac_f32_e32 v123, v124, v123
	s_delay_alu instid0(VALU_DEP_1) | instskip(NEXT) | instid1(VALU_DEP_1)
	v_mul_f32_e32 v124, v125, v123
	v_fma_f32 v126, -v117, v124, v125
	s_delay_alu instid0(VALU_DEP_1) | instskip(NEXT) | instid1(VALU_DEP_1)
	v_fmac_f32_e32 v124, v126, v123
	v_fma_f32 v117, -v117, v124, v125
	s_delay_alu instid0(VALU_DEP_1) | instskip(NEXT) | instid1(VALU_DEP_1)
	v_div_fmas_f32 v117, v117, v123, v124
	v_div_fixup_f32 v117, v117, v114, v115
	s_delay_alu instid0(VALU_DEP_1) | instskip(NEXT) | instid1(VALU_DEP_1)
	v_fmac_f32_e32 v114, v115, v117
	v_div_scale_f32 v115, null, v114, v114, 1.0
	s_delay_alu instid0(VALU_DEP_1) | instskip(SKIP_1) | instid1(TRANS32_DEP_1)
	v_rcp_f32_e32 v123, v115
	v_nop
	v_fma_f32 v124, -v115, v123, 1.0
	s_delay_alu instid0(VALU_DEP_1) | instskip(SKIP_1) | instid1(VALU_DEP_1)
	v_fmac_f32_e32 v123, v124, v123
	v_div_scale_f32 v124, vcc_lo, 1.0, v114, 1.0
	v_mul_f32_e32 v125, v124, v123
	s_delay_alu instid0(VALU_DEP_1) | instskip(NEXT) | instid1(VALU_DEP_1)
	v_fma_f32 v126, -v115, v125, v124
	v_fmac_f32_e32 v125, v126, v123
	s_delay_alu instid0(VALU_DEP_1) | instskip(NEXT) | instid1(VALU_DEP_1)
	v_fma_f32 v115, -v115, v125, v124
	v_div_fmas_f32 v115, v115, v123, v125
	s_delay_alu instid0(VALU_DEP_1) | instskip(NEXT) | instid1(VALU_DEP_1)
	v_div_fixup_f32 v114, v115, v114, 1.0
	v_mul_f32_e64 v115, v117, -v114
.LBB106_1059:
	s_or_b32 exec_lo, exec_lo, s1
.LBB106_1060:
	s_delay_alu instid0(SALU_CYCLE_1) | instskip(NEXT) | instid1(SALU_CYCLE_1)
	s_or_b32 exec_lo, exec_lo, s0
	s_mov_b32 s0, exec_lo
	v_cmpx_ne_u32_e64 v122, v116
	s_xor_b32 s0, exec_lo, s0
	s_cbranch_execz .LBB106_1066
; %bb.1061:
	s_mov_b32 s1, exec_lo
	v_cmpx_eq_u32_e32 50, v122
	s_cbranch_execz .LBB106_1065
; %bb.1062:
	v_cmp_ne_u32_e32 vcc_lo, 50, v116
	s_xor_b32 s12, s16, -1
	s_delay_alu instid0(SALU_CYCLE_1) | instskip(NEXT) | instid1(SALU_CYCLE_1)
	s_and_b32 s13, s12, vcc_lo
	s_and_saveexec_b32 s12, s13
	s_cbranch_execz .LBB106_1064
; %bb.1063:
	v_ashrrev_i32_e32 v117, 31, v116
	s_delay_alu instid0(VALU_DEP_1)
	v_lshl_add_u64 v[122:123], v[116:117], 2, v[4:5]
	s_clause 0x1
	global_load_b32 v117, v[122:123], off
	global_load_b32 v121, v[4:5], off offset:200
	s_wait_loadcnt 0x1
	global_store_b32 v[4:5], v117, off offset:200
	s_wait_loadcnt 0x0
	global_store_b32 v[122:123], v121, off
.LBB106_1064:
	s_wait_xcnt 0x0
	s_or_b32 exec_lo, exec_lo, s12
	v_dual_mov_b32 v122, v116 :: v_dual_mov_b32 v121, v116
.LBB106_1065:
	s_or_b32 exec_lo, exec_lo, s1
.LBB106_1066:
	s_and_not1_saveexec_b32 s0, s0
	s_cbranch_execz .LBB106_1068
; %bb.1067:
	v_mov_b32_e32 v122, 50
	ds_store_2addr_b64 v118, v[28:29], v[14:15] offset0:51 offset1:52
	ds_store_b64 v118, v[112:113] offset:424
.LBB106_1068:
	s_or_b32 exec_lo, exec_lo, s0
	s_delay_alu instid0(SALU_CYCLE_1)
	s_mov_b32 s0, exec_lo
	s_wait_storecnt_dscnt 0x0
	s_barrier_signal -1
	s_barrier_wait -1
	v_cmpx_lt_i32_e32 50, v122
	s_cbranch_execz .LBB106_1070
; %bb.1069:
	ds_load_2addr_b64 v[124:127], v118 offset0:51 offset1:52
	ds_load_b64 v[116:117], v118 offset:424
	v_pk_mul_f32 v[128:129], v[114:115], v[46:47] op_sel:[1,1] op_sel_hi:[0,1]
	s_delay_alu instid0(VALU_DEP_1) | instskip(SKIP_2) | instid1(VALU_DEP_2)
	v_pk_fma_f32 v[130:131], v[114:115], v[46:47], v[128:129] op_sel_hi:[1,0,1]
	v_pk_fma_f32 v[46:47], v[114:115], v[46:47], v[128:129] op_sel_hi:[1,0,1] neg_lo:[0,0,1] neg_hi:[0,0,1]
	s_wait_dscnt 0x1
	v_pk_mul_f32 v[114:115], v[124:125], v[130:131] op_sel:[0,1]
	v_pk_mul_f32 v[128:129], v[126:127], v[130:131] op_sel:[0,1]
	s_wait_dscnt 0x0
	v_pk_mul_f32 v[132:133], v[116:117], v[130:131] op_sel:[1,1] op_sel_hi:[0,1]
	s_delay_alu instid0(VALU_DEP_3) | instskip(SKIP_2) | instid1(VALU_DEP_4)
	v_pk_fma_f32 v[134:135], v[124:125], v[46:47], v[114:115] op_sel:[0,0,1] op_sel_hi:[1,1,0] neg_lo:[0,0,1] neg_hi:[0,0,1]
	v_pk_fma_f32 v[114:115], v[124:125], v[46:47], v[114:115] op_sel:[0,0,1] op_sel_hi:[1,0,0]
	v_pk_fma_f32 v[124:125], v[126:127], v[46:47], v[128:129] op_sel:[0,0,1] op_sel_hi:[1,0,0]
	v_pk_fma_f32 v[136:137], v[116:117], v[46:47], v[132:133] op_sel_hi:[1,0,1]
	v_pk_fma_f32 v[126:127], v[126:127], v[46:47], v[128:129] op_sel:[0,0,1] op_sel_hi:[1,1,0] neg_lo:[0,0,1] neg_hi:[0,0,1]
	v_pk_fma_f32 v[116:117], v[116:117], v[46:47], v[132:133] neg_lo:[0,0,1] neg_hi:[0,0,1]
	s_delay_alu instid0(VALU_DEP_4) | instskip(NEXT) | instid1(VALU_DEP_4)
	v_dual_mov_b32 v135, v115 :: v_dual_mov_b32 v127, v125
	v_dual_mov_b32 v117, v137 :: v_dual_mov_b32 v47, v131
	s_delay_alu instid0(VALU_DEP_2) | instskip(NEXT) | instid1(VALU_DEP_3)
	v_pk_add_f32 v[28:29], v[28:29], v[134:135] neg_lo:[0,1] neg_hi:[0,1]
	v_pk_add_f32 v[14:15], v[14:15], v[126:127] neg_lo:[0,1] neg_hi:[0,1]
	s_delay_alu instid0(VALU_DEP_3)
	v_pk_add_f32 v[112:113], v[112:113], v[116:117] neg_lo:[0,1] neg_hi:[0,1]
.LBB106_1070:
	s_or_b32 exec_lo, exec_lo, s0
	v_lshl_add_u32 v114, v122, 3, v118
	s_barrier_signal -1
	s_barrier_wait -1
	ds_store_b64 v114, v[28:29]
	s_wait_dscnt 0x0
	s_barrier_signal -1
	s_barrier_wait -1
	ds_load_b64 v[114:115], v118 offset:408
	v_mov_b32_e32 v116, 51
	s_cmp_lt_i32 s18, 53
	s_cbranch_scc1 .LBB106_1073
; %bb.1071:
	v_add3_u32 v117, v119, 0, 0x1a0
	v_mov_b32_e32 v116, 51
	s_mov_b32 s0, 52
.LBB106_1072:                           ; =>This Inner Loop Header: Depth=1
	ds_load_b64 v[124:125], v117
	s_wait_dscnt 0x1
	v_cmp_gt_f32_e32 vcc_lo, 0, v114
	v_cndmask_b32_e64 v126, v114, -v114, vcc_lo
	v_cmp_gt_f32_e32 vcc_lo, 0, v115
	v_cndmask_b32_e64 v128, v115, -v115, vcc_lo
	s_wait_dscnt 0x0
	v_cmp_gt_f32_e32 vcc_lo, 0, v124
	v_cndmask_b32_e64 v127, v124, -v124, vcc_lo
	v_cmp_gt_f32_e32 vcc_lo, 0, v125
	v_cndmask_b32_e64 v129, v125, -v125, vcc_lo
	s_delay_alu instid0(VALU_DEP_1) | instskip(NEXT) | instid1(VALU_DEP_1)
	v_pk_add_f32 v[126:127], v[126:127], v[128:129]
	v_cmp_lt_f32_e32 vcc_lo, v126, v127
	v_dual_cndmask_b32 v114, v114, v124 :: v_dual_add_nc_u32 v117, 8, v117
	v_cndmask_b32_e32 v115, v115, v125, vcc_lo
	v_cndmask_b32_e64 v116, v116, s0, vcc_lo
	s_add_co_i32 s0, s0, 1
	s_delay_alu instid0(SALU_CYCLE_1)
	s_cmp_lg_u32 s18, s0
	s_cbranch_scc1 .LBB106_1072
.LBB106_1073:
	s_wait_dscnt 0x0
	v_cmp_eq_f32_e32 vcc_lo, 0, v114
	v_cmp_eq_f32_e64 s0, 0, v115
	s_and_b32 s0, vcc_lo, s0
	s_delay_alu instid0(SALU_CYCLE_1) | instskip(NEXT) | instid1(SALU_CYCLE_1)
	s_and_saveexec_b32 s1, s0
	s_xor_b32 s0, exec_lo, s1
; %bb.1074:
	v_cmp_ne_u32_e32 vcc_lo, 0, v120
	v_cndmask_b32_e32 v120, 52, v120, vcc_lo
; %bb.1075:
	s_and_not1_saveexec_b32 s0, s0
	s_cbranch_execz .LBB106_1081
; %bb.1076:
	v_cmp_ngt_f32_e64 s1, |v114|, |v115|
	s_and_saveexec_b32 s12, s1
	s_delay_alu instid0(SALU_CYCLE_1)
	s_xor_b32 s1, exec_lo, s12
	s_cbranch_execz .LBB106_1078
; %bb.1077:
	v_div_scale_f32 v117, null, v115, v115, v114
	v_div_scale_f32 v125, vcc_lo, v114, v115, v114
	s_delay_alu instid0(VALU_DEP_2) | instskip(SKIP_1) | instid1(TRANS32_DEP_1)
	v_rcp_f32_e32 v123, v117
	v_nop
	v_fma_f32 v124, -v117, v123, 1.0
	s_delay_alu instid0(VALU_DEP_1) | instskip(NEXT) | instid1(VALU_DEP_1)
	v_fmac_f32_e32 v123, v124, v123
	v_mul_f32_e32 v124, v125, v123
	s_delay_alu instid0(VALU_DEP_1) | instskip(NEXT) | instid1(VALU_DEP_1)
	v_fma_f32 v126, -v117, v124, v125
	v_fmac_f32_e32 v124, v126, v123
	s_delay_alu instid0(VALU_DEP_1) | instskip(NEXT) | instid1(VALU_DEP_1)
	v_fma_f32 v117, -v117, v124, v125
	v_div_fmas_f32 v117, v117, v123, v124
	s_delay_alu instid0(VALU_DEP_1) | instskip(NEXT) | instid1(VALU_DEP_1)
	v_div_fixup_f32 v117, v117, v115, v114
	v_fmac_f32_e32 v115, v114, v117
	s_delay_alu instid0(VALU_DEP_1) | instskip(SKIP_1) | instid1(VALU_DEP_2)
	v_div_scale_f32 v114, null, v115, v115, 1.0
	v_div_scale_f32 v125, vcc_lo, 1.0, v115, 1.0
	v_rcp_f32_e32 v123, v114
	v_nop
	s_delay_alu instid0(TRANS32_DEP_1) | instskip(NEXT) | instid1(VALU_DEP_1)
	v_fma_f32 v124, -v114, v123, 1.0
	v_fmac_f32_e32 v123, v124, v123
	s_delay_alu instid0(VALU_DEP_1) | instskip(NEXT) | instid1(VALU_DEP_1)
	v_mul_f32_e32 v124, v125, v123
	v_fma_f32 v126, -v114, v124, v125
	s_delay_alu instid0(VALU_DEP_1) | instskip(NEXT) | instid1(VALU_DEP_1)
	v_fmac_f32_e32 v124, v126, v123
	v_fma_f32 v114, -v114, v124, v125
	s_delay_alu instid0(VALU_DEP_1) | instskip(NEXT) | instid1(VALU_DEP_1)
	v_div_fmas_f32 v114, v114, v123, v124
	v_div_fixup_f32 v115, v114, v115, 1.0
	s_delay_alu instid0(VALU_DEP_1)
	v_mul_f32_e32 v114, v117, v115
	v_xor_b32_e32 v115, 0x80000000, v115
.LBB106_1078:
	s_and_not1_saveexec_b32 s1, s1
	s_cbranch_execz .LBB106_1080
; %bb.1079:
	s_delay_alu instid0(VALU_DEP_1) | instskip(SKIP_1) | instid1(VALU_DEP_2)
	v_div_scale_f32 v117, null, v114, v114, v115
	v_div_scale_f32 v125, vcc_lo, v115, v114, v115
	v_rcp_f32_e32 v123, v117
	v_nop
	s_delay_alu instid0(TRANS32_DEP_1) | instskip(NEXT) | instid1(VALU_DEP_1)
	v_fma_f32 v124, -v117, v123, 1.0
	v_fmac_f32_e32 v123, v124, v123
	s_delay_alu instid0(VALU_DEP_1) | instskip(NEXT) | instid1(VALU_DEP_1)
	v_mul_f32_e32 v124, v125, v123
	v_fma_f32 v126, -v117, v124, v125
	s_delay_alu instid0(VALU_DEP_1) | instskip(NEXT) | instid1(VALU_DEP_1)
	v_fmac_f32_e32 v124, v126, v123
	v_fma_f32 v117, -v117, v124, v125
	s_delay_alu instid0(VALU_DEP_1) | instskip(NEXT) | instid1(VALU_DEP_1)
	v_div_fmas_f32 v117, v117, v123, v124
	v_div_fixup_f32 v117, v117, v114, v115
	s_delay_alu instid0(VALU_DEP_1) | instskip(NEXT) | instid1(VALU_DEP_1)
	v_fmac_f32_e32 v114, v115, v117
	v_div_scale_f32 v115, null, v114, v114, 1.0
	s_delay_alu instid0(VALU_DEP_1) | instskip(SKIP_1) | instid1(TRANS32_DEP_1)
	v_rcp_f32_e32 v123, v115
	v_nop
	v_fma_f32 v124, -v115, v123, 1.0
	s_delay_alu instid0(VALU_DEP_1) | instskip(SKIP_1) | instid1(VALU_DEP_1)
	v_fmac_f32_e32 v123, v124, v123
	v_div_scale_f32 v124, vcc_lo, 1.0, v114, 1.0
	v_mul_f32_e32 v125, v124, v123
	s_delay_alu instid0(VALU_DEP_1) | instskip(NEXT) | instid1(VALU_DEP_1)
	v_fma_f32 v126, -v115, v125, v124
	v_fmac_f32_e32 v125, v126, v123
	s_delay_alu instid0(VALU_DEP_1) | instskip(NEXT) | instid1(VALU_DEP_1)
	v_fma_f32 v115, -v115, v125, v124
	v_div_fmas_f32 v115, v115, v123, v125
	s_delay_alu instid0(VALU_DEP_1) | instskip(NEXT) | instid1(VALU_DEP_1)
	v_div_fixup_f32 v114, v115, v114, 1.0
	v_mul_f32_e64 v115, v117, -v114
.LBB106_1080:
	s_or_b32 exec_lo, exec_lo, s1
.LBB106_1081:
	s_delay_alu instid0(SALU_CYCLE_1) | instskip(NEXT) | instid1(SALU_CYCLE_1)
	s_or_b32 exec_lo, exec_lo, s0
	s_mov_b32 s0, exec_lo
	v_cmpx_ne_u32_e64 v122, v116
	s_xor_b32 s0, exec_lo, s0
	s_cbranch_execz .LBB106_1087
; %bb.1082:
	s_mov_b32 s1, exec_lo
	v_cmpx_eq_u32_e32 51, v122
	s_cbranch_execz .LBB106_1086
; %bb.1083:
	v_cmp_ne_u32_e32 vcc_lo, 51, v116
	s_xor_b32 s12, s16, -1
	s_delay_alu instid0(SALU_CYCLE_1) | instskip(NEXT) | instid1(SALU_CYCLE_1)
	s_and_b32 s13, s12, vcc_lo
	s_and_saveexec_b32 s12, s13
	s_cbranch_execz .LBB106_1085
; %bb.1084:
	v_ashrrev_i32_e32 v117, 31, v116
	s_delay_alu instid0(VALU_DEP_1)
	v_lshl_add_u64 v[122:123], v[116:117], 2, v[4:5]
	s_clause 0x1
	global_load_b32 v117, v[122:123], off
	global_load_b32 v121, v[4:5], off offset:204
	s_wait_loadcnt 0x1
	global_store_b32 v[4:5], v117, off offset:204
	s_wait_loadcnt 0x0
	global_store_b32 v[122:123], v121, off
.LBB106_1085:
	s_wait_xcnt 0x0
	s_or_b32 exec_lo, exec_lo, s12
	v_dual_mov_b32 v122, v116 :: v_dual_mov_b32 v121, v116
.LBB106_1086:
	s_or_b32 exec_lo, exec_lo, s1
.LBB106_1087:
	s_and_not1_saveexec_b32 s0, s0
; %bb.1088:
	v_dual_mov_b32 v116, v14 :: v_dual_mov_b32 v117, v15
	v_mov_b32_e32 v122, 51
	ds_store_2addr_b64 v118, v[116:117], v[112:113] offset0:52 offset1:53
; %bb.1089:
	s_or_b32 exec_lo, exec_lo, s0
	s_delay_alu instid0(SALU_CYCLE_1)
	s_mov_b32 s0, exec_lo
	s_wait_storecnt_dscnt 0x0
	s_barrier_signal -1
	s_barrier_wait -1
	v_cmpx_lt_i32_e32 51, v122
	s_cbranch_execz .LBB106_1091
; %bb.1090:
	ds_load_2addr_b64 v[124:127], v118 offset0:52 offset1:53
	v_pk_mul_f32 v[116:117], v[114:115], v[28:29] op_sel:[1,1] op_sel_hi:[0,1]
	s_delay_alu instid0(VALU_DEP_1) | instskip(SKIP_3) | instid1(VALU_DEP_3)
	v_pk_fma_f32 v[128:129], v[114:115], v[28:29], v[116:117] op_sel_hi:[1,0,1]
	v_pk_fma_f32 v[28:29], v[114:115], v[28:29], v[116:117] op_sel_hi:[1,0,1] neg_lo:[0,0,1] neg_hi:[0,0,1]
	s_wait_dscnt 0x0
	v_dual_mov_b32 v130, v127 :: v_dual_mov_b32 v131, v126
	v_pk_mul_f32 v[114:115], v[124:125], v[128:129] op_sel:[0,1]
	s_delay_alu instid0(VALU_DEP_2) | instskip(NEXT) | instid1(VALU_DEP_2)
	v_pk_mul_f32 v[116:117], v[130:131], v[128:129] op_sel:[0,1]
	v_pk_fma_f32 v[130:131], v[124:125], v[28:29], v[114:115] op_sel:[0,0,1] op_sel_hi:[1,0,0]
	v_pk_fma_f32 v[114:115], v[124:125], v[28:29], v[114:115] op_sel:[0,0,1] op_sel_hi:[1,1,0] neg_lo:[0,0,1] neg_hi:[0,0,1]
	s_delay_alu instid0(VALU_DEP_3) | instskip(SKIP_1) | instid1(VALU_DEP_4)
	v_pk_fma_f32 v[132:133], v[126:127], v[28:29], v[116:117] op_sel_hi:[1,0,1]
	v_pk_fma_f32 v[116:117], v[126:127], v[28:29], v[116:117] neg_lo:[0,0,1] neg_hi:[0,0,1]
	v_dual_mov_b32 v115, v131 :: v_dual_mov_b32 v29, v129
	s_delay_alu instid0(VALU_DEP_3) | instskip(NEXT) | instid1(VALU_DEP_2)
	v_mov_b32_e32 v117, v133
	v_pk_add_f32 v[14:15], v[14:15], v[114:115] neg_lo:[0,1] neg_hi:[0,1]
	s_delay_alu instid0(VALU_DEP_2)
	v_pk_add_f32 v[112:113], v[112:113], v[116:117] neg_lo:[0,1] neg_hi:[0,1]
.LBB106_1091:
	s_or_b32 exec_lo, exec_lo, s0
	v_lshl_add_u32 v114, v122, 3, v118
	s_barrier_signal -1
	s_barrier_wait -1
	ds_store_b64 v114, v[14:15]
	s_wait_dscnt 0x0
	s_barrier_signal -1
	s_barrier_wait -1
	ds_load_b64 v[114:115], v118 offset:416
	v_mov_b32_e32 v116, 52
	s_cmp_lt_i32 s18, 54
	s_cbranch_scc1 .LBB106_1094
; %bb.1092:
	v_add3_u32 v117, v119, 0, 0x1a8
	v_mov_b32_e32 v116, 52
	s_mov_b32 s0, 53
.LBB106_1093:                           ; =>This Inner Loop Header: Depth=1
	ds_load_b64 v[124:125], v117
	s_wait_dscnt 0x1
	v_cmp_gt_f32_e32 vcc_lo, 0, v114
	v_cndmask_b32_e64 v126, v114, -v114, vcc_lo
	v_cmp_gt_f32_e32 vcc_lo, 0, v115
	v_cndmask_b32_e64 v128, v115, -v115, vcc_lo
	s_wait_dscnt 0x0
	v_cmp_gt_f32_e32 vcc_lo, 0, v124
	v_cndmask_b32_e64 v127, v124, -v124, vcc_lo
	v_cmp_gt_f32_e32 vcc_lo, 0, v125
	v_cndmask_b32_e64 v129, v125, -v125, vcc_lo
	s_delay_alu instid0(VALU_DEP_1) | instskip(NEXT) | instid1(VALU_DEP_1)
	v_pk_add_f32 v[126:127], v[126:127], v[128:129]
	v_cmp_lt_f32_e32 vcc_lo, v126, v127
	v_dual_cndmask_b32 v114, v114, v124 :: v_dual_add_nc_u32 v117, 8, v117
	v_cndmask_b32_e32 v115, v115, v125, vcc_lo
	v_cndmask_b32_e64 v116, v116, s0, vcc_lo
	s_add_co_i32 s0, s0, 1
	s_delay_alu instid0(SALU_CYCLE_1)
	s_cmp_lg_u32 s18, s0
	s_cbranch_scc1 .LBB106_1093
.LBB106_1094:
	s_wait_dscnt 0x0
	v_cmp_eq_f32_e32 vcc_lo, 0, v114
	v_cmp_eq_f32_e64 s0, 0, v115
	s_and_b32 s0, vcc_lo, s0
	s_delay_alu instid0(SALU_CYCLE_1) | instskip(NEXT) | instid1(SALU_CYCLE_1)
	s_and_saveexec_b32 s1, s0
	s_xor_b32 s0, exec_lo, s1
; %bb.1095:
	v_cmp_ne_u32_e32 vcc_lo, 0, v120
	v_cndmask_b32_e32 v120, 53, v120, vcc_lo
; %bb.1096:
	s_and_not1_saveexec_b32 s0, s0
	s_cbranch_execz .LBB106_1102
; %bb.1097:
	v_cmp_ngt_f32_e64 s1, |v114|, |v115|
	s_and_saveexec_b32 s12, s1
	s_delay_alu instid0(SALU_CYCLE_1)
	s_xor_b32 s1, exec_lo, s12
	s_cbranch_execz .LBB106_1099
; %bb.1098:
	v_div_scale_f32 v117, null, v115, v115, v114
	v_div_scale_f32 v125, vcc_lo, v114, v115, v114
	s_delay_alu instid0(VALU_DEP_2) | instskip(SKIP_1) | instid1(TRANS32_DEP_1)
	v_rcp_f32_e32 v123, v117
	v_nop
	v_fma_f32 v124, -v117, v123, 1.0
	s_delay_alu instid0(VALU_DEP_1) | instskip(NEXT) | instid1(VALU_DEP_1)
	v_fmac_f32_e32 v123, v124, v123
	v_mul_f32_e32 v124, v125, v123
	s_delay_alu instid0(VALU_DEP_1) | instskip(NEXT) | instid1(VALU_DEP_1)
	v_fma_f32 v126, -v117, v124, v125
	v_fmac_f32_e32 v124, v126, v123
	s_delay_alu instid0(VALU_DEP_1) | instskip(NEXT) | instid1(VALU_DEP_1)
	v_fma_f32 v117, -v117, v124, v125
	v_div_fmas_f32 v117, v117, v123, v124
	s_delay_alu instid0(VALU_DEP_1) | instskip(NEXT) | instid1(VALU_DEP_1)
	v_div_fixup_f32 v117, v117, v115, v114
	v_fmac_f32_e32 v115, v114, v117
	s_delay_alu instid0(VALU_DEP_1) | instskip(SKIP_1) | instid1(VALU_DEP_2)
	v_div_scale_f32 v114, null, v115, v115, 1.0
	v_div_scale_f32 v125, vcc_lo, 1.0, v115, 1.0
	v_rcp_f32_e32 v123, v114
	v_nop
	s_delay_alu instid0(TRANS32_DEP_1) | instskip(NEXT) | instid1(VALU_DEP_1)
	v_fma_f32 v124, -v114, v123, 1.0
	v_fmac_f32_e32 v123, v124, v123
	s_delay_alu instid0(VALU_DEP_1) | instskip(NEXT) | instid1(VALU_DEP_1)
	v_mul_f32_e32 v124, v125, v123
	v_fma_f32 v126, -v114, v124, v125
	s_delay_alu instid0(VALU_DEP_1) | instskip(NEXT) | instid1(VALU_DEP_1)
	v_fmac_f32_e32 v124, v126, v123
	v_fma_f32 v114, -v114, v124, v125
	s_delay_alu instid0(VALU_DEP_1) | instskip(NEXT) | instid1(VALU_DEP_1)
	v_div_fmas_f32 v114, v114, v123, v124
	v_div_fixup_f32 v115, v114, v115, 1.0
	s_delay_alu instid0(VALU_DEP_1)
	v_mul_f32_e32 v114, v117, v115
	v_xor_b32_e32 v115, 0x80000000, v115
.LBB106_1099:
	s_and_not1_saveexec_b32 s1, s1
	s_cbranch_execz .LBB106_1101
; %bb.1100:
	s_delay_alu instid0(VALU_DEP_1) | instskip(SKIP_1) | instid1(VALU_DEP_2)
	v_div_scale_f32 v117, null, v114, v114, v115
	v_div_scale_f32 v125, vcc_lo, v115, v114, v115
	v_rcp_f32_e32 v123, v117
	v_nop
	s_delay_alu instid0(TRANS32_DEP_1) | instskip(NEXT) | instid1(VALU_DEP_1)
	v_fma_f32 v124, -v117, v123, 1.0
	v_fmac_f32_e32 v123, v124, v123
	s_delay_alu instid0(VALU_DEP_1) | instskip(NEXT) | instid1(VALU_DEP_1)
	v_mul_f32_e32 v124, v125, v123
	v_fma_f32 v126, -v117, v124, v125
	s_delay_alu instid0(VALU_DEP_1) | instskip(NEXT) | instid1(VALU_DEP_1)
	v_fmac_f32_e32 v124, v126, v123
	v_fma_f32 v117, -v117, v124, v125
	s_delay_alu instid0(VALU_DEP_1) | instskip(NEXT) | instid1(VALU_DEP_1)
	v_div_fmas_f32 v117, v117, v123, v124
	v_div_fixup_f32 v117, v117, v114, v115
	s_delay_alu instid0(VALU_DEP_1) | instskip(NEXT) | instid1(VALU_DEP_1)
	v_fmac_f32_e32 v114, v115, v117
	v_div_scale_f32 v115, null, v114, v114, 1.0
	s_delay_alu instid0(VALU_DEP_1) | instskip(SKIP_1) | instid1(TRANS32_DEP_1)
	v_rcp_f32_e32 v123, v115
	v_nop
	v_fma_f32 v124, -v115, v123, 1.0
	s_delay_alu instid0(VALU_DEP_1) | instskip(SKIP_1) | instid1(VALU_DEP_1)
	v_fmac_f32_e32 v123, v124, v123
	v_div_scale_f32 v124, vcc_lo, 1.0, v114, 1.0
	v_mul_f32_e32 v125, v124, v123
	s_delay_alu instid0(VALU_DEP_1) | instskip(NEXT) | instid1(VALU_DEP_1)
	v_fma_f32 v126, -v115, v125, v124
	v_fmac_f32_e32 v125, v126, v123
	s_delay_alu instid0(VALU_DEP_1) | instskip(NEXT) | instid1(VALU_DEP_1)
	v_fma_f32 v115, -v115, v125, v124
	v_div_fmas_f32 v115, v115, v123, v125
	s_delay_alu instid0(VALU_DEP_1) | instskip(NEXT) | instid1(VALU_DEP_1)
	v_div_fixup_f32 v114, v115, v114, 1.0
	v_mul_f32_e64 v115, v117, -v114
.LBB106_1101:
	s_or_b32 exec_lo, exec_lo, s1
.LBB106_1102:
	s_delay_alu instid0(SALU_CYCLE_1) | instskip(NEXT) | instid1(SALU_CYCLE_1)
	s_or_b32 exec_lo, exec_lo, s0
	s_mov_b32 s0, exec_lo
	v_cmpx_ne_u32_e64 v122, v116
	s_xor_b32 s0, exec_lo, s0
	s_cbranch_execz .LBB106_1108
; %bb.1103:
	s_mov_b32 s1, exec_lo
	v_cmpx_eq_u32_e32 52, v122
	s_cbranch_execz .LBB106_1107
; %bb.1104:
	v_cmp_ne_u32_e32 vcc_lo, 52, v116
	s_xor_b32 s12, s16, -1
	s_delay_alu instid0(SALU_CYCLE_1) | instskip(NEXT) | instid1(SALU_CYCLE_1)
	s_and_b32 s13, s12, vcc_lo
	s_and_saveexec_b32 s12, s13
	s_cbranch_execz .LBB106_1106
; %bb.1105:
	v_ashrrev_i32_e32 v117, 31, v116
	s_delay_alu instid0(VALU_DEP_1)
	v_lshl_add_u64 v[122:123], v[116:117], 2, v[4:5]
	s_clause 0x1
	global_load_b32 v117, v[122:123], off
	global_load_b32 v121, v[4:5], off offset:208
	s_wait_loadcnt 0x1
	global_store_b32 v[4:5], v117, off offset:208
	s_wait_loadcnt 0x0
	global_store_b32 v[122:123], v121, off
.LBB106_1106:
	s_wait_xcnt 0x0
	s_or_b32 exec_lo, exec_lo, s12
	v_dual_mov_b32 v122, v116 :: v_dual_mov_b32 v121, v116
.LBB106_1107:
	s_or_b32 exec_lo, exec_lo, s1
.LBB106_1108:
	s_and_not1_saveexec_b32 s0, s0
; %bb.1109:
	v_mov_b32_e32 v122, 52
	ds_store_b64 v118, v[112:113] offset:424
; %bb.1110:
	s_or_b32 exec_lo, exec_lo, s0
	s_delay_alu instid0(SALU_CYCLE_1)
	s_mov_b32 s0, exec_lo
	s_wait_storecnt_dscnt 0x0
	s_barrier_signal -1
	s_barrier_wait -1
	v_cmpx_lt_i32_e32 52, v122
	s_cbranch_execz .LBB106_1112
; %bb.1111:
	ds_load_b64 v[116:117], v118 offset:424
	v_pk_mul_f32 v[124:125], v[114:115], v[14:15] op_sel:[1,1] op_sel_hi:[0,1]
	s_delay_alu instid0(VALU_DEP_1) | instskip(SKIP_2) | instid1(VALU_DEP_2)
	v_pk_fma_f32 v[126:127], v[114:115], v[14:15], v[124:125] op_sel_hi:[1,0,1]
	v_pk_fma_f32 v[14:15], v[114:115], v[14:15], v[124:125] op_sel_hi:[1,0,1] neg_lo:[0,0,1] neg_hi:[0,0,1]
	s_wait_dscnt 0x0
	v_pk_mul_f32 v[114:115], v[116:117], v[126:127] op_sel:[1,1] op_sel_hi:[0,1]
	s_delay_alu instid0(VALU_DEP_1) | instskip(SKIP_1) | instid1(VALU_DEP_2)
	v_pk_fma_f32 v[124:125], v[116:117], v[14:15], v[114:115] op_sel_hi:[1,0,1]
	v_pk_fma_f32 v[114:115], v[116:117], v[14:15], v[114:115] neg_lo:[0,0,1] neg_hi:[0,0,1]
	v_dual_mov_b32 v15, v127 :: v_dual_mov_b32 v115, v125
	s_delay_alu instid0(VALU_DEP_1)
	v_pk_add_f32 v[112:113], v[112:113], v[114:115] neg_lo:[0,1] neg_hi:[0,1]
.LBB106_1112:
	s_or_b32 exec_lo, exec_lo, s0
	v_lshl_add_u32 v114, v122, 3, v118
	s_barrier_signal -1
	s_barrier_wait -1
	ds_store_b64 v114, v[112:113]
	s_wait_dscnt 0x0
	s_barrier_signal -1
	s_barrier_wait -1
	ds_load_b64 v[114:115], v118 offset:424
	v_mov_b32_e32 v116, 53
	s_cmp_lt_i32 s18, 55
	s_cbranch_scc1 .LBB106_1115
; %bb.1113:
	v_add3_u32 v117, v119, 0, 0x1b0
	v_mov_b32_e32 v116, 53
	s_mov_b32 s0, 54
.LBB106_1114:                           ; =>This Inner Loop Header: Depth=1
	ds_load_b64 v[118:119], v117
	s_wait_dscnt 0x1
	v_cmp_gt_f32_e32 vcc_lo, 0, v114
	v_cndmask_b32_e64 v124, v114, -v114, vcc_lo
	v_cmp_gt_f32_e32 vcc_lo, 0, v115
	v_cndmask_b32_e64 v126, v115, -v115, vcc_lo
	s_wait_dscnt 0x0
	v_cmp_gt_f32_e32 vcc_lo, 0, v118
	v_cndmask_b32_e64 v125, v118, -v118, vcc_lo
	v_cmp_gt_f32_e32 vcc_lo, 0, v119
	v_cndmask_b32_e64 v127, v119, -v119, vcc_lo
	s_delay_alu instid0(VALU_DEP_1) | instskip(NEXT) | instid1(VALU_DEP_1)
	v_pk_add_f32 v[124:125], v[124:125], v[126:127]
	v_cmp_lt_f32_e32 vcc_lo, v124, v125
	v_dual_add_nc_u32 v117, 8, v117 :: v_dual_cndmask_b32 v115, v115, v119, vcc_lo
	v_cndmask_b32_e32 v114, v114, v118, vcc_lo
	v_cndmask_b32_e64 v116, v116, s0, vcc_lo
	s_add_co_i32 s0, s0, 1
	s_delay_alu instid0(SALU_CYCLE_1)
	s_cmp_lg_u32 s18, s0
	s_cbranch_scc1 .LBB106_1114
.LBB106_1115:
	s_wait_dscnt 0x0
	v_cmp_eq_f32_e32 vcc_lo, 0, v114
	v_cmp_eq_f32_e64 s0, 0, v115
	s_and_b32 s0, vcc_lo, s0
	s_delay_alu instid0(SALU_CYCLE_1) | instskip(NEXT) | instid1(SALU_CYCLE_1)
	s_and_saveexec_b32 s1, s0
	s_xor_b32 s0, exec_lo, s1
; %bb.1116:
	v_cmp_ne_u32_e32 vcc_lo, 0, v120
	v_cndmask_b32_e32 v120, 54, v120, vcc_lo
; %bb.1117:
	s_and_not1_saveexec_b32 s0, s0
	s_cbranch_execz .LBB106_1123
; %bb.1118:
	v_cmp_ngt_f32_e64 s1, |v114|, |v115|
	s_and_saveexec_b32 s12, s1
	s_delay_alu instid0(SALU_CYCLE_1)
	s_xor_b32 s1, exec_lo, s12
	s_cbranch_execz .LBB106_1120
; %bb.1119:
	v_div_scale_f32 v117, null, v115, v115, v114
	v_div_scale_f32 v123, vcc_lo, v114, v115, v114
	s_delay_alu instid0(VALU_DEP_2) | instskip(SKIP_1) | instid1(TRANS32_DEP_1)
	v_rcp_f32_e32 v118, v117
	v_nop
	v_fma_f32 v119, -v117, v118, 1.0
	s_delay_alu instid0(VALU_DEP_1) | instskip(NEXT) | instid1(VALU_DEP_1)
	v_fmac_f32_e32 v118, v119, v118
	v_mul_f32_e32 v119, v123, v118
	s_delay_alu instid0(VALU_DEP_1) | instskip(NEXT) | instid1(VALU_DEP_1)
	v_fma_f32 v124, -v117, v119, v123
	v_fmac_f32_e32 v119, v124, v118
	s_delay_alu instid0(VALU_DEP_1) | instskip(NEXT) | instid1(VALU_DEP_1)
	v_fma_f32 v117, -v117, v119, v123
	v_div_fmas_f32 v117, v117, v118, v119
	s_delay_alu instid0(VALU_DEP_1) | instskip(NEXT) | instid1(VALU_DEP_1)
	v_div_fixup_f32 v117, v117, v115, v114
	v_fmac_f32_e32 v115, v114, v117
	s_delay_alu instid0(VALU_DEP_1) | instskip(SKIP_1) | instid1(VALU_DEP_2)
	v_div_scale_f32 v114, null, v115, v115, 1.0
	v_div_scale_f32 v123, vcc_lo, 1.0, v115, 1.0
	v_rcp_f32_e32 v118, v114
	v_nop
	s_delay_alu instid0(TRANS32_DEP_1) | instskip(NEXT) | instid1(VALU_DEP_1)
	v_fma_f32 v119, -v114, v118, 1.0
	v_fmac_f32_e32 v118, v119, v118
	s_delay_alu instid0(VALU_DEP_1) | instskip(NEXT) | instid1(VALU_DEP_1)
	v_mul_f32_e32 v119, v123, v118
	v_fma_f32 v124, -v114, v119, v123
	s_delay_alu instid0(VALU_DEP_1) | instskip(NEXT) | instid1(VALU_DEP_1)
	v_fmac_f32_e32 v119, v124, v118
	v_fma_f32 v114, -v114, v119, v123
	s_delay_alu instid0(VALU_DEP_1) | instskip(NEXT) | instid1(VALU_DEP_1)
	v_div_fmas_f32 v114, v114, v118, v119
	v_div_fixup_f32 v115, v114, v115, 1.0
	s_delay_alu instid0(VALU_DEP_1)
	v_mul_f32_e32 v114, v117, v115
	v_xor_b32_e32 v115, 0x80000000, v115
.LBB106_1120:
	s_and_not1_saveexec_b32 s1, s1
	s_cbranch_execz .LBB106_1122
; %bb.1121:
	s_delay_alu instid0(VALU_DEP_1) | instskip(SKIP_1) | instid1(VALU_DEP_2)
	v_div_scale_f32 v117, null, v114, v114, v115
	v_div_scale_f32 v123, vcc_lo, v115, v114, v115
	v_rcp_f32_e32 v118, v117
	v_nop
	s_delay_alu instid0(TRANS32_DEP_1) | instskip(NEXT) | instid1(VALU_DEP_1)
	v_fma_f32 v119, -v117, v118, 1.0
	v_fmac_f32_e32 v118, v119, v118
	s_delay_alu instid0(VALU_DEP_1) | instskip(NEXT) | instid1(VALU_DEP_1)
	v_mul_f32_e32 v119, v123, v118
	v_fma_f32 v124, -v117, v119, v123
	s_delay_alu instid0(VALU_DEP_1) | instskip(NEXT) | instid1(VALU_DEP_1)
	v_fmac_f32_e32 v119, v124, v118
	v_fma_f32 v117, -v117, v119, v123
	s_delay_alu instid0(VALU_DEP_1) | instskip(NEXT) | instid1(VALU_DEP_1)
	v_div_fmas_f32 v117, v117, v118, v119
	v_div_fixup_f32 v117, v117, v114, v115
	s_delay_alu instid0(VALU_DEP_1) | instskip(NEXT) | instid1(VALU_DEP_1)
	v_fmac_f32_e32 v114, v115, v117
	v_div_scale_f32 v115, null, v114, v114, 1.0
	s_delay_alu instid0(VALU_DEP_1) | instskip(SKIP_1) | instid1(TRANS32_DEP_1)
	v_rcp_f32_e32 v118, v115
	v_nop
	v_fma_f32 v119, -v115, v118, 1.0
	s_delay_alu instid0(VALU_DEP_1) | instskip(SKIP_1) | instid1(VALU_DEP_1)
	v_fmac_f32_e32 v118, v119, v118
	v_div_scale_f32 v119, vcc_lo, 1.0, v114, 1.0
	v_mul_f32_e32 v123, v119, v118
	s_delay_alu instid0(VALU_DEP_1) | instskip(NEXT) | instid1(VALU_DEP_1)
	v_fma_f32 v124, -v115, v123, v119
	v_fmac_f32_e32 v123, v124, v118
	s_delay_alu instid0(VALU_DEP_1) | instskip(NEXT) | instid1(VALU_DEP_1)
	v_fma_f32 v115, -v115, v123, v119
	v_div_fmas_f32 v115, v115, v118, v123
	s_delay_alu instid0(VALU_DEP_1) | instskip(NEXT) | instid1(VALU_DEP_1)
	v_div_fixup_f32 v114, v115, v114, 1.0
	v_mul_f32_e64 v115, v117, -v114
.LBB106_1122:
	s_or_b32 exec_lo, exec_lo, s1
.LBB106_1123:
	s_delay_alu instid0(SALU_CYCLE_1)
	s_or_b32 exec_lo, exec_lo, s0
	v_mov_b32_e32 v118, 53
	s_mov_b32 s0, exec_lo
	v_cmpx_ne_u32_e64 v122, v116
	s_cbranch_execz .LBB106_1129
; %bb.1124:
	s_mov_b32 s1, exec_lo
	v_cmpx_eq_u32_e32 53, v122
	s_cbranch_execz .LBB106_1128
; %bb.1125:
	v_cmp_ne_u32_e32 vcc_lo, 53, v116
	s_xor_b32 s12, s16, -1
	s_delay_alu instid0(SALU_CYCLE_1) | instskip(NEXT) | instid1(SALU_CYCLE_1)
	s_and_b32 s13, s12, vcc_lo
	s_and_saveexec_b32 s12, s13
	s_cbranch_execz .LBB106_1127
; %bb.1126:
	v_ashrrev_i32_e32 v117, 31, v116
	s_delay_alu instid0(VALU_DEP_1)
	v_lshl_add_u64 v[118:119], v[116:117], 2, v[4:5]
	s_clause 0x1
	global_load_b32 v117, v[118:119], off
	global_load_b32 v121, v[4:5], off offset:212
	s_wait_loadcnt 0x1
	global_store_b32 v[4:5], v117, off offset:212
	s_wait_loadcnt 0x0
	global_store_b32 v[118:119], v121, off
.LBB106_1127:
	s_wait_xcnt 0x0
	s_or_b32 exec_lo, exec_lo, s12
	v_dual_mov_b32 v122, v116 :: v_dual_mov_b32 v121, v116
.LBB106_1128:
	s_or_b32 exec_lo, exec_lo, s1
	s_delay_alu instid0(VALU_DEP_1)
	v_mov_b32_e32 v118, v122
.LBB106_1129:
	s_or_b32 exec_lo, exec_lo, s0
	s_delay_alu instid0(VALU_DEP_1)
	v_ashrrev_i32_e32 v119, 31, v118
	s_mov_b32 s0, exec_lo
	s_wait_storecnt 0x0
	s_barrier_signal -1
	s_barrier_wait -1
	s_barrier_signal -1
	s_barrier_wait -1
	v_cmpx_gt_i32_e32 54, v118
	s_cbranch_execz .LBB106_1131
; %bb.1130:
	v_mul_u64_e32 v[4:5], s[10:11], v[2:3]
	v_add3_u32 v116, v121, s17, 1
	s_delay_alu instid0(VALU_DEP_2) | instskip(NEXT) | instid1(VALU_DEP_1)
	v_lshl_add_u64 v[4:5], v[4:5], 2, s[6:7]
	v_lshl_add_u64 v[4:5], s[8:9], 2, v[4:5]
	s_delay_alu instid0(VALU_DEP_1)
	v_lshl_add_u64 v[4:5], v[118:119], 2, v[4:5]
	global_store_b32 v[4:5], v116, off
.LBB106_1131:
	s_wait_xcnt 0x0
	s_or_b32 exec_lo, exec_lo, s0
	s_delay_alu instid0(SALU_CYCLE_1)
	s_mov_b32 s1, exec_lo
	v_cmpx_eq_u32_e32 0, v118
	s_cbranch_execz .LBB106_1134
; %bb.1132:
	s_wait_kmcnt 0x0
	v_lshl_add_u64 v[2:3], v[2:3], 2, s[4:5]
	v_cmp_ne_u32_e64 s0, 0, v120
	global_load_b32 v4, v[2:3], off
	s_wait_loadcnt 0x0
	v_cmp_eq_u32_e32 vcc_lo, 0, v4
	s_and_b32 s0, vcc_lo, s0
	s_wait_xcnt 0x0
	s_and_b32 exec_lo, exec_lo, s0
	s_cbranch_execz .LBB106_1134
; %bb.1133:
	v_add_nc_u32_e32 v4, s17, v120
	global_store_b32 v[2:3], v4, off
.LBB106_1134:
	s_wait_xcnt 0x0
	s_or_b32 exec_lo, exec_lo, s1
	v_add3_u32 v4, s2, s2, v118
	v_pk_mul_f32 v[2:3], v[114:115], v[112:113] op_sel:[1,1] op_sel_hi:[0,1]
	v_cmp_lt_i32_e32 vcc_lo, 53, v118
	v_lshl_add_u64 v[118:119], v[118:119], 3, v[0:1]
	s_delay_alu instid0(VALU_DEP_4) | instskip(NEXT) | instid1(VALU_DEP_4)
	v_add_nc_u32_e32 v116, s2, v4
	v_pk_fma_f32 v[138:139], v[114:115], v[112:113], v[2:3] op_sel_hi:[1,0,1]
	v_pk_fma_f32 v[2:3], v[114:115], v[112:113], v[2:3] neg_lo:[0,0,1] neg_hi:[0,0,1]
	global_store_b64 v[118:119], v[110:111], off
	s_wait_xcnt 0x0
	v_lshl_add_u64 v[110:111], s[2:3], 3, v[118:119]
	v_dual_cndmask_b32 v3, v113, v139 :: v_dual_add_nc_u32 v120, s2, v116
	v_dual_cndmask_b32 v2, v112, v2 :: v_dual_ashrrev_i32 v5, 31, v4
	global_store_b64 v[110:111], v[108:109], off
	v_add_nc_u32_e32 v122, s2, v120
	v_lshl_add_u64 v[4:5], v[4:5], 3, v[0:1]
	s_delay_alu instid0(VALU_DEP_2) | instskip(SKIP_2) | instid1(VALU_DEP_1)
	v_add_nc_u32_e32 v124, s2, v122
	global_store_b64 v[4:5], v[106:107], off
	v_dual_add_nc_u32 v126, s2, v124 :: v_dual_ashrrev_i32 v125, 31, v124
	v_add_nc_u32_e32 v128, s2, v126
	s_delay_alu instid0(VALU_DEP_1) | instskip(NEXT) | instid1(VALU_DEP_1)
	v_add_nc_u32_e32 v130, s2, v128
	v_dual_add_nc_u32 v132, s2, v130 :: v_dual_ashrrev_i32 v121, 31, v120
	v_ashrrev_i32_e32 v123, 31, v122
	s_delay_alu instid0(VALU_DEP_2) | instskip(SKIP_1) | instid1(VALU_DEP_3)
	v_dual_ashrrev_i32 v131, 31, v130 :: v_dual_add_nc_u32 v134, s2, v132
	s_wait_xcnt 0x0
	v_lshl_add_u64 v[106:107], v[120:121], 3, v[0:1]
	s_delay_alu instid0(VALU_DEP_2) | instskip(SKIP_1) | instid1(VALU_DEP_1)
	v_dual_ashrrev_i32 v129, 31, v128 :: v_dual_ashrrev_i32 v135, 31, v134
	v_add_nc_u32_e32 v136, s2, v134
	v_dual_ashrrev_i32 v127, 31, v126 :: v_dual_add_nc_u32 v114, s2, v136
	s_delay_alu instid0(VALU_DEP_1) | instskip(NEXT) | instid1(VALU_DEP_2)
	v_lshl_add_u64 v[120:121], v[126:127], 3, v[0:1]
	v_add_nc_u32_e32 v112, s2, v114
	s_delay_alu instid0(VALU_DEP_1) | instskip(NEXT) | instid1(VALU_DEP_1)
	v_dual_add_nc_u32 v138, s2, v112 :: v_dual_ashrrev_i32 v113, 31, v112
	v_dual_add_nc_u32 v118, s2, v138 :: v_dual_ashrrev_i32 v137, 31, v136
	v_ashrrev_i32_e32 v115, 31, v114
	s_delay_alu instid0(VALU_DEP_2) | instskip(SKIP_1) | instid1(VALU_DEP_2)
	v_dual_add_nc_u32 v108, s2, v118 :: v_dual_ashrrev_i32 v133, 31, v132
	v_ashrrev_i32_e32 v139, 31, v138
	v_dual_ashrrev_i32 v119, 31, v118 :: v_dual_add_nc_u32 v110, s2, v108
	v_ashrrev_i32_e32 v117, 31, v116
	s_delay_alu instid0(VALU_DEP_2) | instskip(NEXT) | instid1(VALU_DEP_2)
	v_dual_ashrrev_i32 v109, 31, v108 :: v_dual_ashrrev_i32 v111, 31, v110
	v_lshl_add_u64 v[4:5], v[116:117], 3, v[0:1]
	v_add_nc_u32_e32 v116, s2, v110
	s_clause 0x1
	global_store_b64 v[4:5], v[104:105], off
	global_store_b64 v[106:107], v[92:93], off
	s_wait_xcnt 0x1
	v_add_nc_u32_e32 v4, s2, v116
	v_lshl_add_u64 v[104:105], v[122:123], 3, v[0:1]
	s_wait_xcnt 0x0
	v_lshl_add_u64 v[106:107], v[124:125], 3, v[0:1]
	v_lshl_add_u64 v[122:123], v[128:129], 3, v[0:1]
	s_clause 0x3
	global_store_b64 v[104:105], v[44:45], off
	global_store_b64 v[106:107], v[48:49], off
	;; [unrolled: 1-line block ×4, first 2 shown]
	v_add_nc_u32_e32 v92, s2, v4
	s_wait_xcnt 0x2
	v_lshl_add_u64 v[48:49], v[130:131], 3, v[0:1]
	s_wait_xcnt 0x0
	v_lshl_add_u64 v[102:103], v[132:133], 3, v[0:1]
	v_lshl_add_u64 v[104:105], v[134:135], 3, v[0:1]
	;; [unrolled: 1-line block ×3, first 2 shown]
	v_add_nc_u32_e32 v124, s2, v92
	s_clause 0x3
	global_store_b64 v[48:49], v[78:79], off
	global_store_b64 v[102:103], v[80:81], off
	;; [unrolled: 1-line block ×4, first 2 shown]
	s_wait_xcnt 0x3
	v_lshl_add_u64 v[78:79], v[114:115], 3, v[0:1]
	s_wait_xcnt 0x2
	v_lshl_add_u64 v[80:81], v[112:113], 3, v[0:1]
	;; [unrolled: 2-line block ×3, first 2 shown]
	v_add_nc_u32_e32 v42, s2, v124
	v_lshl_add_u64 v[102:103], v[118:119], 3, v[0:1]
	s_clause 0x3
	global_store_b64 v[78:79], v[72:73], off
	global_store_b64 v[80:81], v[74:75], off
	;; [unrolled: 1-line block ×4, first 2 shown]
	v_dual_ashrrev_i32 v5, 31, v4 :: v_dual_add_nc_u32 v44, s2, v42
	s_wait_xcnt 0x2
	v_lshl_add_u64 v[74:75], v[108:109], 3, v[0:1]
	v_ashrrev_i32_e32 v125, 31, v124
	v_lshl_add_u64 v[78:79], v[110:111], 3, v[0:1]
	v_lshl_add_u64 v[4:5], v[4:5], 3, v[0:1]
	v_dual_add_nc_u32 v120, s2, v44 :: v_dual_ashrrev_i32 v45, 31, v44
	s_delay_alu instid0(VALU_DEP_1) | instskip(NEXT) | instid1(VALU_DEP_2)
	v_dual_ashrrev_i32 v43, 31, v42 :: v_dual_add_nc_u32 v48, s2, v120
	v_lshl_add_u64 v[44:45], v[44:45], 3, v[0:1]
	v_ashrrev_i32_e32 v121, 31, v120
	s_delay_alu instid0(VALU_DEP_3) | instskip(NEXT) | instid1(VALU_DEP_4)
	v_lshl_add_u64 v[42:43], v[42:43], 3, v[0:1]
	v_add_nc_u32_e32 v76, s2, v48
	s_delay_alu instid0(VALU_DEP_1) | instskip(SKIP_1) | instid1(VALU_DEP_1)
	v_add_nc_u32_e32 v104, s2, v76
	s_wait_xcnt 0x1
	v_add_nc_u32_e32 v70, s2, v104
	s_delay_alu instid0(VALU_DEP_1) | instskip(NEXT) | instid1(VALU_DEP_1)
	v_dual_ashrrev_i32 v117, 31, v116 :: v_dual_add_nc_u32 v72, s2, v70
	v_lshl_add_u64 v[80:81], v[116:117], 3, v[0:1]
	s_clause 0x3
	global_store_b64 v[74:75], v[64:65], off
	global_store_b64 v[78:79], v[68:69], off
	;; [unrolled: 1-line block ×4, first 2 shown]
	s_wait_xcnt 0x4
	v_dual_add_nc_u32 v98, s2, v72 :: v_dual_ashrrev_i32 v73, 31, v72
	v_ashrrev_i32_e32 v93, 31, v92
	s_wait_xcnt 0x2
	v_lshl_add_u64 v[68:69], v[124:125], 3, v[0:1]
	s_wait_xcnt 0x0
	v_dual_ashrrev_i32 v49, 31, v48 :: v_dual_add_nc_u32 v4, s2, v98
	v_ashrrev_i32_e32 v99, 31, v98
	v_lshl_add_u64 v[64:65], v[92:93], 3, v[0:1]
	s_clause 0x3
	global_store_b64 v[64:65], v[58:59], off
	global_store_b64 v[68:69], v[60:61], off
	;; [unrolled: 1-line block ×4, first 2 shown]
	v_add_nc_u32_e32 v62, s2, v4
	v_ashrrev_i32_e32 v77, 31, v76
	s_wait_xcnt 0x1
	v_lshl_add_u64 v[56:57], v[120:121], 3, v[0:1]
	v_lshl_add_u64 v[48:49], v[48:49], 3, v[0:1]
	v_dual_ashrrev_i32 v5, 31, v4 :: v_dual_add_nc_u32 v74, s2, v62
	v_dual_ashrrev_i32 v105, 31, v104 :: v_dual_ashrrev_i32 v63, 31, v62
	v_lshl_add_u64 v[58:59], v[76:77], 3, v[0:1]
	s_delay_alu instid0(VALU_DEP_3) | instskip(NEXT) | instid1(VALU_DEP_4)
	v_lshl_add_u64 v[4:5], v[4:5], 3, v[0:1]
	v_dual_add_nc_u32 v42, s2, v74 :: v_dual_ashrrev_i32 v75, 31, v74
	s_delay_alu instid0(VALU_DEP_4)
	v_lshl_add_u64 v[60:61], v[104:105], 3, v[0:1]
	s_clause 0x3
	global_store_b64 v[56:57], v[52:53], off
	global_store_b64 v[48:49], v[54:55], off
	;; [unrolled: 1-line block ×4, first 2 shown]
	s_wait_xcnt 0x4
	v_add_nc_u32_e32 v44, s2, v42
	v_ashrrev_i32_e32 v71, 31, v70
	v_ashrrev_i32_e32 v43, 31, v42
	s_wait_xcnt 0x2
	v_lshl_add_u64 v[54:55], v[72:73], 3, v[0:1]
	v_lshl_add_u64 v[56:57], v[98:99], 3, v[0:1]
	v_add_nc_u32_e32 v64, s2, v44
	v_lshl_add_u64 v[52:53], v[70:71], 3, v[0:1]
	s_clause 0x3
	global_store_b64 v[52:53], v[38:39], off
	global_store_b64 v[54:55], v[40:41], off
	;; [unrolled: 1-line block ×4, first 2 shown]
	v_add_nc_u32_e32 v48, s2, v64
	s_wait_xcnt 0x3
	v_lshl_add_u64 v[38:39], v[62:63], 3, v[0:1]
	s_wait_xcnt 0x2
	v_lshl_add_u64 v[40:41], v[74:75], 3, v[0:1]
	v_lshl_add_u64 v[42:43], v[42:43], 3, v[0:1]
	v_add_nc_u32_e32 v50, s2, v48
	s_delay_alu instid0(VALU_DEP_1) | instskip(SKIP_1) | instid1(VALU_DEP_2)
	v_dual_ashrrev_i32 v45, 31, v44 :: v_dual_ashrrev_i32 v51, 31, v50
	v_add_nc_u32_e32 v58, s2, v50
	v_lshl_add_u64 v[44:45], v[44:45], 3, v[0:1]
	s_clause 0x3
	global_store_b64 v[38:39], v[32:33], off
	global_store_b64 v[40:41], v[34:35], off
	global_store_b64 v[42:43], v[30:31], off
	global_store_b64 v[44:45], v[86:87], off
	s_wait_xcnt 0x2
	v_lshl_add_u64 v[40:41], v[50:51], 3, v[0:1]
	v_dual_add_nc_u32 v4, s2, v58 :: v_dual_ashrrev_i32 v59, 31, v58
	s_delay_alu instid0(VALU_DEP_1) | instskip(SKIP_1) | instid1(VALU_DEP_2)
	v_add_nc_u32_e32 v36, s2, v4
	s_wait_xcnt 0x1
	v_lshl_add_u64 v[42:43], v[58:59], 3, v[0:1]
	s_delay_alu instid0(VALU_DEP_2) | instskip(NEXT) | instid1(VALU_DEP_1)
	v_dual_add_nc_u32 v52, s2, v36 :: v_dual_ashrrev_i32 v37, 31, v36
	v_dual_add_nc_u32 v30, s2, v52 :: v_dual_ashrrev_i32 v53, 31, v52
	v_ashrrev_i32_e32 v65, 31, v64
	s_delay_alu instid0(VALU_DEP_2) | instskip(SKIP_1) | instid1(VALU_DEP_3)
	v_dual_ashrrev_i32 v49, 31, v48 :: v_dual_ashrrev_i32 v31, 31, v30
	v_add_nc_u32_e32 v32, s2, v30
	v_lshl_add_u64 v[34:35], v[64:65], 3, v[0:1]
	s_delay_alu instid0(VALU_DEP_3)
	v_lshl_add_u64 v[38:39], v[48:49], 3, v[0:1]
	s_clause 0x3
	global_store_b64 v[34:35], v[24:25], off
	global_store_b64 v[38:39], v[26:27], off
	;; [unrolled: 1-line block ×4, first 2 shown]
	s_wait_xcnt 0x4
	v_add_nc_u32_e32 v44, s2, v32
	s_wait_xcnt 0x2
	v_lshl_add_u64 v[26:27], v[36:37], 3, v[0:1]
	v_lshl_add_u64 v[34:35], v[52:53], 3, v[0:1]
	;; [unrolled: 1-line block ×3, first 2 shown]
	s_wait_xcnt 0x1
	v_add_nc_u32_e32 v22, s2, v44
	s_delay_alu instid0(VALU_DEP_1) | instskip(SKIP_1) | instid1(VALU_DEP_2)
	v_dual_add_nc_u32 v24, s2, v22 :: v_dual_ashrrev_i32 v45, 31, v44
	v_dual_ashrrev_i32 v5, 31, v4 :: v_dual_ashrrev_i32 v23, 31, v22
	v_dual_add_nc_u32 v36, s2, v24 :: v_dual_ashrrev_i32 v25, 31, v24
	s_delay_alu instid0(VALU_DEP_2)
	v_lshl_add_u64 v[4:5], v[4:5], 3, v[0:1]
	s_clause 0x3
	global_store_b64 v[4:5], v[18:19], off
	global_store_b64 v[26:27], v[20:21], off
	;; [unrolled: 1-line block ×4, first 2 shown]
	s_wait_xcnt 0x3
	v_add_nc_u32_e32 v4, s2, v36
	s_wait_xcnt 0x2
	v_lshl_add_u64 v[20:21], v[44:45], 3, v[0:1]
	v_lshl_add_u64 v[22:23], v[22:23], 3, v[0:1]
	;; [unrolled: 1-line block ×3, first 2 shown]
	s_wait_xcnt 0x1
	v_dual_add_nc_u32 v16, s2, v4 :: v_dual_ashrrev_i32 v5, 31, v4
	s_delay_alu instid0(VALU_DEP_1) | instskip(SKIP_2) | instid1(VALU_DEP_4)
	v_dual_add_nc_u32 v26, s2, v16 :: v_dual_ashrrev_i32 v17, 31, v16
	v_ashrrev_i32_e32 v33, 31, v32
	v_ashrrev_i32_e32 v37, 31, v36
	v_lshl_add_u64 v[4:5], v[4:5], 3, v[0:1]
	s_delay_alu instid0(VALU_DEP_4) | instskip(NEXT) | instid1(VALU_DEP_4)
	v_ashrrev_i32_e32 v27, 31, v26
	v_lshl_add_u64 v[18:19], v[32:33], 3, v[0:1]
	s_clause 0x3
	global_store_b64 v[18:19], v[10:11], off
	global_store_b64 v[20:21], v[12:13], off
	global_store_b64 v[22:23], v[8:9], off
	global_store_b64 v[24:25], v[66:67], off
	s_wait_xcnt 0x1
	v_add_nc_u32_e32 v8, s2, v26
	v_lshl_add_u64 v[10:11], v[36:37], 3, v[0:1]
	v_lshl_add_u64 v[12:13], v[16:17], 3, v[0:1]
	;; [unrolled: 1-line block ×3, first 2 shown]
	s_delay_alu instid0(VALU_DEP_4) | instskip(NEXT) | instid1(VALU_DEP_1)
	v_ashrrev_i32_e32 v9, 31, v8
	v_lshl_add_u64 v[0:1], v[8:9], 3, v[0:1]
	s_clause 0x4
	global_store_b64 v[10:11], v[6:7], off
	global_store_b64 v[4:5], v[46:47], off
	;; [unrolled: 1-line block ×5, first 2 shown]
.LBB106_1135:
	s_sendmsg sendmsg(MSG_DEALLOC_VGPRS)
	s_endpgm
	.section	.rodata,"a",@progbits
	.p2align	6, 0x0
	.amdhsa_kernel _ZN9rocsolver6v33100L18getf2_small_kernelILi54E19rocblas_complex_numIfEiiPS3_EEvT1_T3_lS5_lPS5_llPT2_S5_S5_S7_l
		.amdhsa_group_segment_fixed_size 0
		.amdhsa_private_segment_fixed_size 0
		.amdhsa_kernarg_size 352
		.amdhsa_user_sgpr_count 2
		.amdhsa_user_sgpr_dispatch_ptr 0
		.amdhsa_user_sgpr_queue_ptr 0
		.amdhsa_user_sgpr_kernarg_segment_ptr 1
		.amdhsa_user_sgpr_dispatch_id 0
		.amdhsa_user_sgpr_kernarg_preload_length 0
		.amdhsa_user_sgpr_kernarg_preload_offset 0
		.amdhsa_user_sgpr_private_segment_size 0
		.amdhsa_wavefront_size32 1
		.amdhsa_uses_dynamic_stack 0
		.amdhsa_enable_private_segment 0
		.amdhsa_system_sgpr_workgroup_id_x 1
		.amdhsa_system_sgpr_workgroup_id_y 1
		.amdhsa_system_sgpr_workgroup_id_z 0
		.amdhsa_system_sgpr_workgroup_info 0
		.amdhsa_system_vgpr_workitem_id 1
		.amdhsa_next_free_vgpr 144
		.amdhsa_next_free_sgpr 19
		.amdhsa_named_barrier_count 0
		.amdhsa_reserve_vcc 1
		.amdhsa_float_round_mode_32 0
		.amdhsa_float_round_mode_16_64 0
		.amdhsa_float_denorm_mode_32 3
		.amdhsa_float_denorm_mode_16_64 3
		.amdhsa_fp16_overflow 0
		.amdhsa_memory_ordered 1
		.amdhsa_forward_progress 1
		.amdhsa_inst_pref_size 255
		.amdhsa_round_robin_scheduling 0
		.amdhsa_exception_fp_ieee_invalid_op 0
		.amdhsa_exception_fp_denorm_src 0
		.amdhsa_exception_fp_ieee_div_zero 0
		.amdhsa_exception_fp_ieee_overflow 0
		.amdhsa_exception_fp_ieee_underflow 0
		.amdhsa_exception_fp_ieee_inexact 0
		.amdhsa_exception_int_div_zero 0
	.end_amdhsa_kernel
	.section	.text._ZN9rocsolver6v33100L18getf2_small_kernelILi54E19rocblas_complex_numIfEiiPS3_EEvT1_T3_lS5_lPS5_llPT2_S5_S5_S7_l,"axG",@progbits,_ZN9rocsolver6v33100L18getf2_small_kernelILi54E19rocblas_complex_numIfEiiPS3_EEvT1_T3_lS5_lPS5_llPT2_S5_S5_S7_l,comdat
.Lfunc_end106:
	.size	_ZN9rocsolver6v33100L18getf2_small_kernelILi54E19rocblas_complex_numIfEiiPS3_EEvT1_T3_lS5_lPS5_llPT2_S5_S5_S7_l, .Lfunc_end106-_ZN9rocsolver6v33100L18getf2_small_kernelILi54E19rocblas_complex_numIfEiiPS3_EEvT1_T3_lS5_lPS5_llPT2_S5_S5_S7_l
                                        ; -- End function
	.set _ZN9rocsolver6v33100L18getf2_small_kernelILi54E19rocblas_complex_numIfEiiPS3_EEvT1_T3_lS5_lPS5_llPT2_S5_S5_S7_l.num_vgpr, 144
	.set _ZN9rocsolver6v33100L18getf2_small_kernelILi54E19rocblas_complex_numIfEiiPS3_EEvT1_T3_lS5_lPS5_llPT2_S5_S5_S7_l.num_agpr, 0
	.set _ZN9rocsolver6v33100L18getf2_small_kernelILi54E19rocblas_complex_numIfEiiPS3_EEvT1_T3_lS5_lPS5_llPT2_S5_S5_S7_l.numbered_sgpr, 19
	.set _ZN9rocsolver6v33100L18getf2_small_kernelILi54E19rocblas_complex_numIfEiiPS3_EEvT1_T3_lS5_lPS5_llPT2_S5_S5_S7_l.num_named_barrier, 0
	.set _ZN9rocsolver6v33100L18getf2_small_kernelILi54E19rocblas_complex_numIfEiiPS3_EEvT1_T3_lS5_lPS5_llPT2_S5_S5_S7_l.private_seg_size, 0
	.set _ZN9rocsolver6v33100L18getf2_small_kernelILi54E19rocblas_complex_numIfEiiPS3_EEvT1_T3_lS5_lPS5_llPT2_S5_S5_S7_l.uses_vcc, 1
	.set _ZN9rocsolver6v33100L18getf2_small_kernelILi54E19rocblas_complex_numIfEiiPS3_EEvT1_T3_lS5_lPS5_llPT2_S5_S5_S7_l.uses_flat_scratch, 0
	.set _ZN9rocsolver6v33100L18getf2_small_kernelILi54E19rocblas_complex_numIfEiiPS3_EEvT1_T3_lS5_lPS5_llPT2_S5_S5_S7_l.has_dyn_sized_stack, 0
	.set _ZN9rocsolver6v33100L18getf2_small_kernelILi54E19rocblas_complex_numIfEiiPS3_EEvT1_T3_lS5_lPS5_llPT2_S5_S5_S7_l.has_recursion, 0
	.set _ZN9rocsolver6v33100L18getf2_small_kernelILi54E19rocblas_complex_numIfEiiPS3_EEvT1_T3_lS5_lPS5_llPT2_S5_S5_S7_l.has_indirect_call, 0
	.section	.AMDGPU.csdata,"",@progbits
; Kernel info:
; codeLenInByte = 137044
; TotalNumSgprs: 21
; NumVgprs: 144
; ScratchSize: 0
; MemoryBound: 0
; FloatMode: 240
; IeeeMode: 1
; LDSByteSize: 0 bytes/workgroup (compile time only)
; SGPRBlocks: 0
; VGPRBlocks: 8
; NumSGPRsForWavesPerEU: 21
; NumVGPRsForWavesPerEU: 144
; NamedBarCnt: 0
; Occupancy: 7
; WaveLimiterHint : 0
; COMPUTE_PGM_RSRC2:SCRATCH_EN: 0
; COMPUTE_PGM_RSRC2:USER_SGPR: 2
; COMPUTE_PGM_RSRC2:TRAP_HANDLER: 0
; COMPUTE_PGM_RSRC2:TGID_X_EN: 1
; COMPUTE_PGM_RSRC2:TGID_Y_EN: 1
; COMPUTE_PGM_RSRC2:TGID_Z_EN: 0
; COMPUTE_PGM_RSRC2:TIDIG_COMP_CNT: 1
	.section	.text._ZN9rocsolver6v33100L23getf2_npvt_small_kernelILi54E19rocblas_complex_numIfEiiPS3_EEvT1_T3_lS5_lPT2_S5_S5_,"axG",@progbits,_ZN9rocsolver6v33100L23getf2_npvt_small_kernelILi54E19rocblas_complex_numIfEiiPS3_EEvT1_T3_lS5_lPT2_S5_S5_,comdat
	.globl	_ZN9rocsolver6v33100L23getf2_npvt_small_kernelILi54E19rocblas_complex_numIfEiiPS3_EEvT1_T3_lS5_lPT2_S5_S5_ ; -- Begin function _ZN9rocsolver6v33100L23getf2_npvt_small_kernelILi54E19rocblas_complex_numIfEiiPS3_EEvT1_T3_lS5_lPT2_S5_S5_
	.p2align	8
	.type	_ZN9rocsolver6v33100L23getf2_npvt_small_kernelILi54E19rocblas_complex_numIfEiiPS3_EEvT1_T3_lS5_lPT2_S5_S5_,@function
_ZN9rocsolver6v33100L23getf2_npvt_small_kernelILi54E19rocblas_complex_numIfEiiPS3_EEvT1_T3_lS5_lPT2_S5_S5_: ; @_ZN9rocsolver6v33100L23getf2_npvt_small_kernelILi54E19rocblas_complex_numIfEiiPS3_EEvT1_T3_lS5_lPT2_S5_S5_
; %bb.0:
	s_clause 0x1
	s_load_u16 s14, s[0:1], 0x46
	s_load_b64 s[2:3], s[0:1], 0x30
	s_bfe_u32 s4, ttmp6, 0x40010
	s_bfe_u32 s5, ttmp6, 0x40004
	s_add_co_i32 s4, s4, 1
	s_getreg_b32 s6, hwreg(HW_REG_IB_STS2, 6, 4)
	s_mul_i32 s4, ttmp7, s4
	v_bfe_u32 v42, v0, 10, 10
	s_add_co_i32 s5, s5, s4
	s_cmp_eq_u32 s6, 0
	s_cselect_b32 s4, ttmp7, s5
	s_wait_kmcnt 0x0
	v_mad_u32 v114, s4, s14, v42
	s_delay_alu instid0(VALU_DEP_1)
	v_cmp_gt_i32_e32 vcc_lo, s2, v114
	s_and_saveexec_b32 s2, vcc_lo
	s_cbranch_execz .LBB107_489
; %bb.1:
	s_clause 0x1
	s_load_b32 s12, s[0:1], 0x18
	s_load_b128 s[8:11], s[0:1], 0x8
	v_and_b32_e32 v138, 0x3ff, v0
	s_load_b128 s[4:7], s[0:1], 0x20
	s_mulk_i32 s14, 0x1b0
	v_mad_u32_u24 v148, 0x1b0, v42, 0
	v_ashrrev_i32_e32 v115, 31, v114
	s_wait_xcnt 0x0
	v_cmp_ne_u32_e64 s1, 0, v138
	v_cmp_eq_u32_e64 s0, 0, v138
	v_mov_b32_e32 v35, 0
	s_wait_kmcnt 0x0
	v_add3_u32 v28, s12, s12, v138
	s_ashr_i32 s13, s12, 31
	v_mul_u64_e32 v[16:17], s[4:5], v[114:115]
	s_delay_alu instid0(VALU_DEP_2) | instskip(NEXT) | instid1(VALU_DEP_1)
	v_dual_add_nc_u32 v20, s12, v28 :: v_dual_ashrrev_i32 v29, 31, v28
	v_add_nc_u32_e32 v22, s12, v20
	s_delay_alu instid0(VALU_DEP_1) | instskip(NEXT) | instid1(VALU_DEP_1)
	v_add_nc_u32_e32 v24, s12, v22
	v_add_nc_u32_e32 v26, s12, v24
	s_delay_alu instid0(VALU_DEP_1) | instskip(NEXT) | instid1(VALU_DEP_1)
	v_dual_add_nc_u32 v12, s12, v26 :: v_dual_ashrrev_i32 v21, 31, v20
	v_dual_ashrrev_i32 v23, 31, v22 :: v_dual_add_nc_u32 v14, s12, v12
	s_delay_alu instid0(VALU_DEP_1) | instskip(SKIP_2) | instid1(VALU_DEP_3)
	v_add_nc_u32_e32 v18, s12, v14
	v_lshl_add_u64 v[16:17], v[16:17], 3, s[8:9]
	v_ashrrev_i32_e32 v27, 31, v26
	v_dual_add_nc_u32 v8, s12, v18 :: v_dual_ashrrev_i32 v13, 31, v12
	v_ashrrev_i32_e32 v15, 31, v14
	s_delay_alu instid0(VALU_DEP_4) | instskip(NEXT) | instid1(VALU_DEP_3)
	v_lshl_add_u64 v[52:53], s[10:11], 3, v[16:17]
	v_dual_add_nc_u32 v0, s12, v8 :: v_dual_ashrrev_i32 v9, 31, v8
	s_delay_alu instid0(VALU_DEP_2) | instskip(SKIP_1) | instid1(VALU_DEP_3)
	v_lshl_add_u64 v[168:169], v[28:29], 3, v[52:53]
	v_lshl_add_u64 v[170:171], v[12:13], 3, v[52:53]
	v_add_nc_u32_e32 v4, s12, v0
	v_lshl_add_u64 v[180:181], v[14:15], 3, v[52:53]
	v_ashrrev_i32_e32 v1, 31, v0
	v_lshl_add_u64 v[184:185], v[22:23], 3, v[52:53]
	v_lshl_add_u64 v[166:167], v[26:27], 3, v[52:53]
	v_add_nc_u32_e32 v2, s12, v4
	v_lshl_add_u64 v[182:183], v[20:21], 3, v[52:53]
	v_lshl_add_u64 v[198:199], v[0:1], 3, v[52:53]
	;; [unrolled: 1-line block ×3, first 2 shown]
	s_delay_alu instid0(VALU_DEP_4) | instskip(NEXT) | instid1(VALU_DEP_1)
	v_dual_add_nc_u32 v6, s12, v2 :: v_dual_ashrrev_i32 v5, 31, v4
	v_dual_ashrrev_i32 v7, 31, v6 :: v_dual_add_nc_u32 v10, s12, v6
	s_delay_alu instid0(VALU_DEP_2) | instskip(SKIP_1) | instid1(VALU_DEP_3)
	v_lshl_add_u64 v[200:201], v[4:5], 3, v[52:53]
	v_ashrrev_i32_e32 v3, 31, v2
	v_lshl_add_u64 v[218:219], v[6:7], 3, v[52:53]
	s_delay_alu instid0(VALU_DEP_4) | instskip(NEXT) | instid1(VALU_DEP_3)
	v_dual_add_nc_u32 v30, s12, v10 :: v_dual_ashrrev_i32 v11, 31, v10
	v_lshl_add_u64 v[204:205], v[2:3], 3, v[52:53]
	s_delay_alu instid0(VALU_DEP_2) | instskip(SKIP_1) | instid1(VALU_DEP_4)
	v_add_nc_u32_e32 v32, s12, v30
	v_lshlrev_b32_e32 v34, 3, v138
	v_lshl_add_u64 v[220:221], v[10:11], 3, v[52:53]
	s_delay_alu instid0(VALU_DEP_3) | instskip(NEXT) | instid1(VALU_DEP_3)
	v_add_nc_u32_e32 v48, s12, v32
	v_add_nc_u64_e32 v[16:17], v[52:53], v[34:35]
	s_delay_alu instid0(VALU_DEP_2) | instskip(SKIP_2) | instid1(VALU_DEP_4)
	v_add_nc_u32_e32 v50, s12, v48
	v_ashrrev_i32_e32 v25, 31, v24
	v_ashrrev_i32_e32 v49, 31, v48
	v_lshl_add_u64 v[202:203], s[12:13], 3, v[16:17]
	s_delay_alu instid0(VALU_DEP_4) | instskip(NEXT) | instid1(VALU_DEP_4)
	v_add_nc_u32_e32 v66, s12, v50
	v_lshl_add_u64 v[164:165], v[24:25], 3, v[52:53]
	s_clause 0x3
	global_load_b64 v[26:27], v[184:185], off
	global_load_b64 v[22:23], v[164:165], off
	;; [unrolled: 1-line block ×4, first 2 shown]
	v_add_nc_u32_e32 v28, s12, v66
	v_ashrrev_i32_e32 v19, 31, v18
	v_ashrrev_i32_e32 v51, 31, v50
	s_clause 0x3
	global_load_b64 v[54:55], v[16:17], off
	global_load_b64 v[56:57], v[202:203], off
	;; [unrolled: 1-line block ×4, first 2 shown]
	v_lshl_add_u64 v[226:227], v[48:49], 3, v[52:53]
	v_add_nc_u32_e32 v68, s12, v28
	v_lshl_add_u64 v[186:187], v[18:19], 3, v[52:53]
	v_dual_ashrrev_i32 v29, 31, v28 :: v_dual_ashrrev_i32 v67, 31, v66
	v_lshl_add_u64 v[228:229], v[50:51], 3, v[52:53]
	s_delay_alu instid0(VALU_DEP_4) | instskip(NEXT) | instid1(VALU_DEP_3)
	v_dual_add_nc_u32 v12, s12, v68 :: v_dual_ashrrev_i32 v69, 31, v68
	v_lshl_add_u64 v[232:233], v[28:29], 3, v[52:53]
	s_delay_alu instid0(VALU_DEP_4)
	v_lshl_add_u64 v[230:231], v[66:67], 3, v[52:53]
	s_clause 0x3
	global_load_b64 v[40:41], v[180:181], off
	global_load_b64 v[36:37], v[186:187], off
	global_load_b64 v[38:39], v[188:189], off
	global_load_b64 v[34:35], v[198:199], off
	v_add_nc_u32_e32 v14, s12, v12
	v_lshl_add_u64 v[234:235], v[68:69], 3, v[52:53]
	s_clause 0x3
	global_load_b64 v[64:65], v[200:201], off
	global_load_b64 v[60:61], v[204:205], off
	;; [unrolled: 1-line block ×4, first 2 shown]
	v_dual_add_nc_u32 v8, s12, v14 :: v_dual_ashrrev_i32 v13, 31, v12
	s_delay_alu instid0(VALU_DEP_1) | instskip(NEXT) | instid1(VALU_DEP_2)
	v_add_nc_u32_e32 v0, s12, v8
	v_lshl_add_u64 v[236:237], v[12:13], 3, v[52:53]
	v_ashrrev_i32_e32 v9, 31, v8
	s_delay_alu instid0(VALU_DEP_3) | instskip(NEXT) | instid1(VALU_DEP_2)
	v_dual_add_nc_u32 v4, s12, v0 :: v_dual_ashrrev_i32 v31, 31, v30
	v_lshl_add_u64 v[240:241], v[8:9], 3, v[52:53]
	s_delay_alu instid0(VALU_DEP_2) | instskip(SKIP_1) | instid1(VALU_DEP_4)
	v_add_nc_u32_e32 v2, s12, v4
	v_ashrrev_i32_e32 v33, 31, v32
	v_lshl_add_u64 v[222:223], v[30:31], 3, v[52:53]
	s_delay_alu instid0(VALU_DEP_3) | instskip(NEXT) | instid1(VALU_DEP_3)
	v_add_nc_u32_e32 v6, s12, v2
	v_lshl_add_u64 v[224:225], v[32:33], 3, v[52:53]
	v_ashrrev_i32_e32 v5, 31, v4
	s_clause 0x3
	global_load_b64 v[80:81], v[222:223], off
	global_load_b64 v[76:77], v[224:225], off
	;; [unrolled: 1-line block ×4, first 2 shown]
	v_dual_add_nc_u32 v10, s12, v6 :: v_dual_ashrrev_i32 v7, 31, v6
	v_lshl_add_u64 v[244:245], v[4:5], 3, v[52:53]
	s_clause 0x3
	global_load_b64 v[96:97], v[230:231], off
	global_load_b64 v[92:93], v[232:233], off
	;; [unrolled: 1-line block ×4, first 2 shown]
	v_ashrrev_i32_e32 v3, 31, v2
	v_add_nc_u32_e32 v18, s12, v10
	v_lshl_add_u64 v[248:249], v[6:7], 3, v[52:53]
	v_ashrrev_i32_e32 v11, 31, v10
	s_delay_alu instid0(VALU_DEP_4) | instskip(NEXT) | instid1(VALU_DEP_4)
	v_lshl_add_u64 v[246:247], v[2:3], 3, v[52:53]
	v_dual_add_nc_u32 v30, s12, v18 :: v_dual_ashrrev_i32 v19, 31, v18
	s_delay_alu instid0(VALU_DEP_3) | instskip(NEXT) | instid1(VALU_DEP_2)
	v_lshl_add_u64 v[250:251], v[10:11], 3, v[52:53]
	v_add_nc_u32_e32 v32, s12, v30
	s_delay_alu instid0(VALU_DEP_3) | instskip(NEXT) | instid1(VALU_DEP_2)
	v_lshl_add_u64 v[252:253], v[18:19], 3, v[52:53]
	v_dual_add_nc_u32 v28, s12, v32 :: v_dual_ashrrev_i32 v15, 31, v14
	v_dual_ashrrev_i32 v31, 31, v30 :: v_dual_ashrrev_i32 v33, 31, v32
	s_delay_alu instid0(VALU_DEP_2) | instskip(NEXT) | instid1(VALU_DEP_3)
	v_add_nc_u32_e32 v12, s12, v28
	v_lshl_add_u64 v[238:239], v[14:15], 3, v[52:53]
	v_ashrrev_i32_e32 v29, 31, v28
	s_delay_alu instid0(VALU_DEP_4) | instskip(SKIP_4) | instid1(VALU_DEP_3)
	v_lshl_add_u64 v[254:255], v[30:31], 3, v[52:53]
	v_lshl_add_u64 v[30:31], v[32:33], 3, v[52:53]
	v_add_nc_u32_e32 v14, s12, v12
	v_ashrrev_i32_e32 v1, 31, v0
	v_lshl_add_u64 v[28:29], v[28:29], 3, v[52:53]
	v_dual_ashrrev_i32 v13, 31, v12 :: v_dual_add_nc_u32 v8, s12, v14
	s_delay_alu instid0(VALU_DEP_3)
	v_lshl_add_u64 v[242:243], v[0:1], 3, v[52:53]
	v_ashrrev_i32_e32 v15, 31, v14
	s_clause 0x3
	global_load_b64 v[112:113], v[238:239], off
	global_load_b64 v[108:109], v[240:241], off
	;; [unrolled: 1-line block ×4, first 2 shown]
	v_add_nc_u32_e32 v0, s12, v8
	s_clause 0x3
	global_load_b64 v[130:131], v[246:247], off
	global_load_b64 v[126:127], v[248:249], off
	;; [unrolled: 1-line block ×4, first 2 shown]
	v_lshl_add_u64 v[48:49], v[14:15], 3, v[52:53]
	scratch_store_b64 off, v[30:31], off    ; 8-byte Folded Spill
	global_load_b64 v[144:145], v[28:29], off
	v_add_nc_u32_e32 v2, s12, v0
	s_clause 0x1
	global_load_b64 v[146:147], v[254:255], off
	global_load_b64 v[142:143], v[30:31], off
	v_lshl_add_u64 v[32:33], v[12:13], 3, v[52:53]
	v_dual_ashrrev_i32 v9, 31, v8 :: v_dual_add_nc_u32 v4, s12, v2
	s_clause 0x2
	scratch_store_b64 off, v[28:29], off offset:8
	scratch_store_b64 off, v[48:49], off offset:24
	;; [unrolled: 1-line block ×3, first 2 shown]
	v_ashrrev_i32_e32 v1, 31, v0
	v_add_nc_u32_e32 v6, s12, v4
	s_clause 0x1
	global_load_b64 v[140:141], v[32:33], off
	global_load_b64 v[162:163], v[48:49], off
	v_ashrrev_i32_e32 v3, 31, v2
	v_add_nc_u32_e32 v10, s12, v6
	s_delay_alu instid0(VALU_DEP_2) | instskip(NEXT) | instid1(VALU_DEP_2)
	v_lshl_add_u64 v[2:3], v[2:3], 3, v[52:53]
	v_add_nc_u32_e32 v18, s12, v10
	global_load_b64 v[156:157], v[2:3], off
	v_dual_add_nc_u32 v12, s12, v18 :: v_dual_ashrrev_i32 v19, 31, v18
	s_delay_alu instid0(VALU_DEP_1) | instskip(SKIP_1) | instid1(VALU_DEP_3)
	v_dual_ashrrev_i32 v11, 31, v10 :: v_dual_ashrrev_i32 v13, 31, v12
	v_add_nc_u32_e32 v14, s12, v12
	v_lshl_add_u64 v[18:19], v[18:19], 3, v[52:53]
	v_ashrrev_i32_e32 v5, 31, v4
	s_delay_alu instid0(VALU_DEP_4)
	v_lshl_add_u64 v[10:11], v[10:11], 3, v[52:53]
	global_load_b64 v[172:173], v[18:19], off
	s_wait_xcnt 0x6
	v_lshl_add_u64 v[28:29], v[8:9], 3, v[52:53]
	v_dual_add_nc_u32 v8, s12, v14 :: v_dual_ashrrev_i32 v15, 31, v14
	v_ashrrev_i32_e32 v7, 31, v6
	s_wait_xcnt 0x3
	v_lshl_add_u64 v[32:33], v[4:5], 3, v[52:53]
	global_load_b64 v[158:159], v[28:29], off
	v_ashrrev_i32_e32 v9, 31, v8
	v_lshl_add_u64 v[30:31], v[0:1], 3, v[52:53]
	v_add_nc_u32_e32 v0, s12, v8
	v_lshl_add_u64 v[14:15], v[14:15], 3, v[52:53]
	s_clause 0x3
	scratch_store_b64 off, v[28:29], off offset:32
	scratch_store_b64 off, v[2:3], off offset:48
	;; [unrolled: 1-line block ×4, first 2 shown]
	v_lshl_add_u64 v[8:9], v[8:9], 3, v[52:53]
	s_clause 0x1
	global_load_b64 v[176:177], v[10:11], off
	global_load_b64 v[192:193], v[14:15], off
	s_wait_xcnt 0x5
	v_lshl_add_u64 v[28:29], v[6:7], 3, v[52:53]
	v_ashrrev_i32_e32 v1, 31, v0
	global_load_b64 v[194:195], v[8:9], off
	s_wait_xcnt 0x5
	v_add_nc_u32_e32 v2, s12, v0
	s_clause 0x1
	scratch_store_b64 off, v[10:11], off offset:72
	scratch_store_b64 off, v[28:29], off offset:64
	s_clause 0x2
	global_load_b64 v[160:161], v[30:31], off
	global_load_b64 v[178:179], v[32:33], off
	;; [unrolled: 1-line block ×3, first 2 shown]
	v_add_nc_u32_e32 v4, s12, v2
	s_wait_xcnt 0x2
	v_lshl_add_u64 v[30:31], v[12:13], 3, v[52:53]
	s_clause 0x1
	scratch_store_b64 off, v[14:15], off offset:96
	scratch_store_b64 off, v[18:19], off offset:80
	v_dual_add_nc_u32 v6, s12, v4 :: v_dual_ashrrev_i32 v5, 31, v4
	global_load_b64 v[196:197], v[30:31], off
	scratch_store_b64 off, v[30:31], off offset:88 ; 8-byte Folded Spill
	v_add_nc_u32_e32 v10, s12, v6
	v_ashrrev_i32_e32 v3, 31, v2
	v_lshl_add_u64 v[4:5], v[4:5], 3, v[52:53]
	v_ashrrev_i32_e32 v7, 31, v6
	s_delay_alu instid0(VALU_DEP_4) | instskip(NEXT) | instid1(VALU_DEP_4)
	v_dual_add_nc_u32 v12, s12, v10 :: v_dual_ashrrev_i32 v11, 31, v10
	v_lshl_add_u64 v[2:3], v[2:3], 3, v[52:53]
	s_clause 0x1
	scratch_store_b64 off, v[8:9], off offset:104
	scratch_store_b64 off, v[4:5], off offset:136
	v_ashrrev_i32_e32 v13, 31, v12
	s_wait_xcnt 0x1
	v_lshl_add_u64 v[8:9], v[10:11], 3, v[52:53]
	s_clause 0x1
	global_load_b64 v[212:213], v[2:3], off
	global_load_b64 v[208:209], v[4:5], off
	v_lshl_add_u64 v[6:7], v[6:7], 3, v[52:53]
	v_lshl_add_u64 v[10:11], v[12:13], 3, v[52:53]
	global_load_b64 v[206:207], v[8:9], off
	s_clause 0x1
	scratch_store_b64 off, v[2:3], off offset:120
	scratch_store_b64 off, v[8:9], off offset:152
	s_clause 0x1
	global_load_b64 v[210:211], v[6:7], off
	global_load_b64 v[214:215], v[10:11], off
	v_lshl_add_u64 v[18:19], v[0:1], 3, v[52:53]
	v_add_nc_u32_e32 v0, s12, v12
	scratch_store_b64 off, v[10:11], off offset:160 ; 8-byte Folded Spill
	global_load_b64 v[190:191], v[18:19], off
	v_ashrrev_i32_e32 v1, 31, v0
	s_delay_alu instid0(VALU_DEP_1)
	v_lshl_add_u64 v[0:1], v[0:1], 3, v[52:53]
	s_clause 0x2
	scratch_store_b64 off, v[18:19], off offset:112
	scratch_store_b64 off, v[6:7], off offset:144
	;; [unrolled: 1-line block ×3, first 2 shown]
	global_load_b64 v[216:217], v[0:1], off
	s_wait_xcnt 0x0
	v_lshlrev_b32_e32 v0, 3, v42
	s_delay_alu instid0(VALU_DEP_1)
	v_add3_u32 v139, 0, s14, v0
	s_and_saveexec_b32 s4, s0
	s_cbranch_execz .LBB107_8
; %bb.2:
	s_wait_loadcnt 0x31
	ds_store_b64 v139, v[54:55]
	s_wait_loadcnt 0x2f
	ds_store_2addr_b64 v148, v[56:57], v[46:47] offset0:1 offset1:2
	s_wait_loadcnt 0x2e
	ds_store_2addr_b64 v148, v[44:45], v[26:27] offset0:3 offset1:4
	ds_store_2addr_b64 v148, v[22:23], v[24:25] offset0:5 offset1:6
	s_wait_loadcnt 0x2d
	ds_store_2addr_b64 v148, v[20:21], v[40:41] offset0:7 offset1:8
	s_wait_loadcnt 0x2b
	;; [unrolled: 2-line block ×19, first 2 shown]
	ds_store_2addr_b64 v148, v[172:173], v[196:197] offset0:43 offset1:44
	ds_store_2addr_b64 v148, v[192:193], v[194:195] offset0:45 offset1:46
	s_wait_loadcnt 0x1
	ds_store_2addr_b64 v148, v[190:191], v[212:213] offset0:47 offset1:48
	ds_store_2addr_b64 v148, v[208:209], v[210:211] offset0:49 offset1:50
	;; [unrolled: 1-line block ×3, first 2 shown]
	s_wait_loadcnt 0x0
	ds_store_b64 v148, v[216:217] offset:424
	ds_load_b64 v[0:1], v139
	s_wait_dscnt 0x0
	v_cmp_neq_f32_e32 vcc_lo, 0, v0
	v_cmp_neq_f32_e64 s2, 0, v1
	s_or_b32 s2, vcc_lo, s2
	s_delay_alu instid0(SALU_CYCLE_1)
	s_and_b32 exec_lo, exec_lo, s2
	s_cbranch_execz .LBB107_8
; %bb.3:
	v_cmp_ngt_f32_e64 s2, |v0|, |v1|
                                        ; implicit-def: $vgpr2_vgpr3
	s_and_saveexec_b32 s5, s2
	s_delay_alu instid0(SALU_CYCLE_1)
	s_xor_b32 s2, exec_lo, s5
	s_cbranch_execz .LBB107_5
; %bb.4:
	v_div_scale_f32 v2, null, v1, v1, v0
	v_div_scale_f32 v5, vcc_lo, v0, v1, v0
	s_delay_alu instid0(VALU_DEP_2) | instskip(SKIP_1) | instid1(TRANS32_DEP_1)
	v_rcp_f32_e32 v3, v2
	v_nop
	v_fma_f32 v4, -v2, v3, 1.0
	s_delay_alu instid0(VALU_DEP_1) | instskip(NEXT) | instid1(VALU_DEP_1)
	v_fmac_f32_e32 v3, v4, v3
	v_mul_f32_e32 v4, v5, v3
	s_delay_alu instid0(VALU_DEP_1) | instskip(NEXT) | instid1(VALU_DEP_1)
	v_fma_f32 v6, -v2, v4, v5
	v_fmac_f32_e32 v4, v6, v3
	s_delay_alu instid0(VALU_DEP_1) | instskip(NEXT) | instid1(VALU_DEP_1)
	v_fma_f32 v2, -v2, v4, v5
	v_div_fmas_f32 v2, v2, v3, v4
	s_delay_alu instid0(VALU_DEP_1) | instskip(NEXT) | instid1(VALU_DEP_1)
	v_div_fixup_f32 v2, v2, v1, v0
	v_fmac_f32_e32 v1, v0, v2
	s_delay_alu instid0(VALU_DEP_1) | instskip(SKIP_1) | instid1(VALU_DEP_2)
	v_div_scale_f32 v0, null, v1, v1, 1.0
	v_div_scale_f32 v5, vcc_lo, 1.0, v1, 1.0
	v_rcp_f32_e32 v3, v0
	v_nop
	s_delay_alu instid0(TRANS32_DEP_1) | instskip(NEXT) | instid1(VALU_DEP_1)
	v_fma_f32 v4, -v0, v3, 1.0
	v_fmac_f32_e32 v3, v4, v3
	s_delay_alu instid0(VALU_DEP_1) | instskip(NEXT) | instid1(VALU_DEP_1)
	v_mul_f32_e32 v4, v5, v3
	v_fma_f32 v6, -v0, v4, v5
	s_delay_alu instid0(VALU_DEP_1) | instskip(NEXT) | instid1(VALU_DEP_1)
	v_fmac_f32_e32 v4, v6, v3
	v_fma_f32 v0, -v0, v4, v5
	s_delay_alu instid0(VALU_DEP_1) | instskip(NEXT) | instid1(VALU_DEP_1)
	v_div_fmas_f32 v0, v0, v3, v4
	v_div_fixup_f32 v0, v0, v1, 1.0
	s_delay_alu instid0(VALU_DEP_1)
	v_mul_f32_e32 v2, v2, v0
	v_xor_b32_e32 v3, 0x80000000, v0
                                        ; implicit-def: $vgpr0_vgpr1
.LBB107_5:
	s_and_not1_saveexec_b32 s2, s2
	s_cbranch_execz .LBB107_7
; %bb.6:
	v_div_scale_f32 v2, null, v0, v0, v1
	v_div_scale_f32 v5, vcc_lo, v1, v0, v1
	s_delay_alu instid0(VALU_DEP_2) | instskip(SKIP_1) | instid1(TRANS32_DEP_1)
	v_rcp_f32_e32 v3, v2
	v_nop
	v_fma_f32 v4, -v2, v3, 1.0
	s_delay_alu instid0(VALU_DEP_1) | instskip(NEXT) | instid1(VALU_DEP_1)
	v_fmac_f32_e32 v3, v4, v3
	v_mul_f32_e32 v4, v5, v3
	s_delay_alu instid0(VALU_DEP_1) | instskip(NEXT) | instid1(VALU_DEP_1)
	v_fma_f32 v6, -v2, v4, v5
	v_fmac_f32_e32 v4, v6, v3
	s_delay_alu instid0(VALU_DEP_1) | instskip(NEXT) | instid1(VALU_DEP_1)
	v_fma_f32 v2, -v2, v4, v5
	v_div_fmas_f32 v2, v2, v3, v4
	s_delay_alu instid0(VALU_DEP_1) | instskip(NEXT) | instid1(VALU_DEP_1)
	v_div_fixup_f32 v3, v2, v0, v1
	v_fmac_f32_e32 v0, v1, v3
	s_delay_alu instid0(VALU_DEP_1) | instskip(NEXT) | instid1(VALU_DEP_1)
	v_div_scale_f32 v1, null, v0, v0, 1.0
	v_rcp_f32_e32 v2, v1
	v_nop
	s_delay_alu instid0(TRANS32_DEP_1) | instskip(NEXT) | instid1(VALU_DEP_1)
	v_fma_f32 v4, -v1, v2, 1.0
	v_fmac_f32_e32 v2, v4, v2
	v_div_scale_f32 v4, vcc_lo, 1.0, v0, 1.0
	s_delay_alu instid0(VALU_DEP_1) | instskip(NEXT) | instid1(VALU_DEP_1)
	v_mul_f32_e32 v5, v4, v2
	v_fma_f32 v6, -v1, v5, v4
	s_delay_alu instid0(VALU_DEP_1) | instskip(NEXT) | instid1(VALU_DEP_1)
	v_fmac_f32_e32 v5, v6, v2
	v_fma_f32 v1, -v1, v5, v4
	s_delay_alu instid0(VALU_DEP_1) | instskip(NEXT) | instid1(VALU_DEP_1)
	v_div_fmas_f32 v1, v1, v2, v5
	v_div_fixup_f32 v2, v1, v0, 1.0
	s_delay_alu instid0(VALU_DEP_1)
	v_mul_f32_e64 v3, v3, -v2
.LBB107_7:
	s_or_b32 exec_lo, exec_lo, s2
	ds_store_b64 v139, v[2:3]
.LBB107_8:
	s_or_b32 exec_lo, exec_lo, s4
	s_wait_storecnt 0x0
	s_wait_loadcnt_dscnt 0x0
	s_barrier_signal -1
	s_barrier_wait -1
	ds_load_b64 v[0:1], v139
	s_wait_dscnt 0x0
	scratch_store_b64 off, v[0:1], off offset:168 ; 8-byte Folded Spill
	s_wait_xcnt 0x0
	s_and_saveexec_b32 s2, s1
	s_cbranch_execz .LBB107_10
; %bb.9:
	scratch_load_b64 v[4:5], off, off offset:168 ; 8-byte Folded Reload
	s_wait_loadcnt 0x0
	v_pk_mul_f32 v[2:3], v[4:5], v[54:55] op_sel:[1,1] op_sel_hi:[0,1]
	s_delay_alu instid0(VALU_DEP_1)
	v_pk_fma_f32 v[0:1], v[4:5], v[54:55], v[2:3] op_sel_hi:[1,0,1] neg_lo:[0,0,1] neg_hi:[0,0,1]
	v_pk_fma_f32 v[2:3], v[4:5], v[54:55], v[2:3] op_sel_hi:[1,0,1]
	ds_load_2addr_b64 v[4:7], v148 offset0:1 offset1:2
	v_dual_mov_b32 v54, v0 :: v_dual_mov_b32 v55, v3
	s_wait_dscnt 0x0
	v_pk_mul_f32 v[8:9], v[4:5], v[2:3] op_sel:[0,1]
	s_delay_alu instid0(VALU_DEP_1) | instskip(SKIP_1) | instid1(VALU_DEP_1)
	v_pk_fma_f32 v[10:11], v[4:5], v[0:1], v[8:9] op_sel:[0,0,1] op_sel_hi:[1,1,0] neg_lo:[0,0,1] neg_hi:[0,0,1]
	v_pk_fma_f32 v[4:5], v[4:5], v[0:1], v[8:9] op_sel:[0,0,1] op_sel_hi:[1,0,0]
	v_mov_b32_e32 v11, v5
	v_pk_mul_f32 v[4:5], v[6:7], v[2:3] op_sel:[0,1]
	s_delay_alu instid0(VALU_DEP_1) | instskip(SKIP_1) | instid1(VALU_DEP_1)
	v_pk_fma_f32 v[8:9], v[6:7], v[0:1], v[4:5] op_sel:[0,0,1] op_sel_hi:[1,1,0] neg_lo:[0,0,1] neg_hi:[0,0,1]
	v_pk_fma_f32 v[4:5], v[6:7], v[0:1], v[4:5] op_sel:[0,0,1] op_sel_hi:[1,0,0]
	v_mov_b32_e32 v9, v5
	ds_load_2addr_b64 v[4:7], v148 offset0:3 offset1:4
	v_pk_add_f32 v[56:57], v[56:57], v[10:11] neg_lo:[0,1] neg_hi:[0,1]
	v_pk_add_f32 v[46:47], v[46:47], v[8:9] neg_lo:[0,1] neg_hi:[0,1]
	s_wait_dscnt 0x0
	v_pk_mul_f32 v[8:9], v[4:5], v[2:3] op_sel:[0,1]
	s_delay_alu instid0(VALU_DEP_1) | instskip(SKIP_2) | instid1(VALU_DEP_2)
	v_pk_fma_f32 v[10:11], v[4:5], v[0:1], v[8:9] op_sel:[0,0,1] op_sel_hi:[1,1,0] neg_lo:[0,0,1] neg_hi:[0,0,1]
	v_pk_fma_f32 v[4:5], v[4:5], v[0:1], v[8:9] op_sel:[0,0,1] op_sel_hi:[1,0,0]
	v_dual_mul_f32 v8, v7, v3 :: v_dual_mov_b32 v4, v7
	v_dual_mov_b32 v11, v5 :: v_dual_mov_b32 v5, v6
	s_delay_alu instid0(VALU_DEP_2) | instskip(SKIP_1) | instid1(VALU_DEP_3)
	v_pk_fma_f32 v[8:9], v[6:7], v[54:55], v[8:9] op_sel_hi:[1,1,0] neg_lo:[0,0,1] neg_hi:[0,0,1]
	v_mul_f32_e32 v6, v7, v0
	v_pk_add_f32 v[44:45], v[44:45], v[10:11] neg_lo:[0,1] neg_hi:[0,1]
	s_delay_alu instid0(VALU_DEP_2) | instskip(NEXT) | instid1(VALU_DEP_1)
	v_pk_fma_f32 v[4:5], v[4:5], v[54:55], v[6:7] op_sel_hi:[1,1,0]
	v_mov_b32_e32 v9, v5
	ds_load_2addr_b64 v[4:7], v148 offset0:5 offset1:6
	v_pk_add_f32 v[26:27], v[26:27], v[8:9] neg_lo:[0,1] neg_hi:[0,1]
	s_wait_dscnt 0x0
	v_pk_mul_f32 v[8:9], v[4:5], v[2:3] op_sel:[0,1]
	s_delay_alu instid0(VALU_DEP_1) | instskip(SKIP_1) | instid1(VALU_DEP_1)
	v_pk_fma_f32 v[10:11], v[4:5], v[0:1], v[8:9] op_sel:[0,0,1] op_sel_hi:[1,1,0] neg_lo:[0,0,1] neg_hi:[0,0,1]
	v_pk_fma_f32 v[4:5], v[4:5], v[0:1], v[8:9] op_sel:[0,0,1] op_sel_hi:[1,0,0]
	v_mov_b32_e32 v11, v5
	v_pk_mul_f32 v[4:5], v[6:7], v[2:3] op_sel:[0,1]
	s_delay_alu instid0(VALU_DEP_1) | instskip(SKIP_1) | instid1(VALU_DEP_1)
	v_pk_fma_f32 v[8:9], v[6:7], v[0:1], v[4:5] op_sel:[0,0,1] op_sel_hi:[1,1,0] neg_lo:[0,0,1] neg_hi:[0,0,1]
	v_pk_fma_f32 v[4:5], v[6:7], v[0:1], v[4:5] op_sel:[0,0,1] op_sel_hi:[1,0,0]
	v_mov_b32_e32 v9, v5
	ds_load_2addr_b64 v[4:7], v148 offset0:7 offset1:8
	v_pk_add_f32 v[22:23], v[22:23], v[10:11] neg_lo:[0,1] neg_hi:[0,1]
	v_pk_add_f32 v[24:25], v[24:25], v[8:9] neg_lo:[0,1] neg_hi:[0,1]
	s_wait_dscnt 0x0
	v_pk_mul_f32 v[8:9], v[4:5], v[2:3] op_sel:[0,1]
	s_delay_alu instid0(VALU_DEP_1) | instskip(SKIP_1) | instid1(VALU_DEP_1)
	v_pk_fma_f32 v[10:11], v[4:5], v[0:1], v[8:9] op_sel:[0,0,1] op_sel_hi:[1,1,0] neg_lo:[0,0,1] neg_hi:[0,0,1]
	v_pk_fma_f32 v[4:5], v[4:5], v[0:1], v[8:9] op_sel:[0,0,1] op_sel_hi:[1,0,0]
	v_mov_b32_e32 v11, v5
	v_pk_mul_f32 v[4:5], v[6:7], v[2:3] op_sel:[0,1]
	s_delay_alu instid0(VALU_DEP_1) | instskip(SKIP_1) | instid1(VALU_DEP_1)
	v_pk_fma_f32 v[8:9], v[6:7], v[0:1], v[4:5] op_sel:[0,0,1] op_sel_hi:[1,1,0] neg_lo:[0,0,1] neg_hi:[0,0,1]
	v_pk_fma_f32 v[4:5], v[6:7], v[0:1], v[4:5] op_sel:[0,0,1] op_sel_hi:[1,0,0]
	v_mov_b32_e32 v9, v5
	ds_load_2addr_b64 v[4:7], v148 offset0:9 offset1:10
	v_pk_add_f32 v[20:21], v[20:21], v[10:11] neg_lo:[0,1] neg_hi:[0,1]
	v_pk_add_f32 v[40:41], v[40:41], v[8:9] neg_lo:[0,1] neg_hi:[0,1]
	s_wait_dscnt 0x0
	v_dual_mul_f32 v8, v5, v3 :: v_dual_mul_f32 v10, v5, v0
	s_delay_alu instid0(VALU_DEP_1) | instskip(NEXT) | instid1(VALU_DEP_2)
	v_pk_fma_f32 v[8:9], v[4:5], v[54:55], v[8:9] op_sel_hi:[1,1,0] neg_lo:[0,0,1] neg_hi:[0,0,1]
	v_pk_fma_f32 v[4:5], v[4:5], v[54:55], v[10:11] op_sel:[1,0,0] op_sel_hi:[0,1,0]
	s_delay_alu instid0(VALU_DEP_1) | instskip(SKIP_1) | instid1(VALU_DEP_2)
	v_mov_b32_e32 v9, v5
	v_pk_mul_f32 v[4:5], v[6:7], v[2:3] op_sel:[0,1]
	v_pk_add_f32 v[36:37], v[36:37], v[8:9] neg_lo:[0,1] neg_hi:[0,1]
	s_delay_alu instid0(VALU_DEP_2) | instskip(SKIP_1) | instid1(VALU_DEP_1)
	v_pk_fma_f32 v[8:9], v[6:7], v[0:1], v[4:5] op_sel:[0,0,1] op_sel_hi:[1,1,0] neg_lo:[0,0,1] neg_hi:[0,0,1]
	v_pk_fma_f32 v[4:5], v[6:7], v[0:1], v[4:5] op_sel:[0,0,1] op_sel_hi:[1,0,0]
	v_mov_b32_e32 v9, v5
	ds_load_2addr_b64 v[4:7], v148 offset0:11 offset1:12
	v_pk_add_f32 v[38:39], v[38:39], v[8:9] neg_lo:[0,1] neg_hi:[0,1]
	s_wait_dscnt 0x0
	v_pk_mul_f32 v[8:9], v[4:5], v[2:3] op_sel:[0,1]
	s_delay_alu instid0(VALU_DEP_1) | instskip(SKIP_1) | instid1(VALU_DEP_1)
	v_pk_fma_f32 v[10:11], v[4:5], v[0:1], v[8:9] op_sel:[0,0,1] op_sel_hi:[1,1,0] neg_lo:[0,0,1] neg_hi:[0,0,1]
	v_pk_fma_f32 v[4:5], v[4:5], v[0:1], v[8:9] op_sel:[0,0,1] op_sel_hi:[1,0,0]
	v_mov_b32_e32 v11, v5
	v_pk_mul_f32 v[4:5], v[6:7], v[2:3] op_sel:[0,1]
	s_delay_alu instid0(VALU_DEP_2) | instskip(NEXT) | instid1(VALU_DEP_2)
	v_pk_add_f32 v[34:35], v[34:35], v[10:11] neg_lo:[0,1] neg_hi:[0,1]
	v_pk_fma_f32 v[8:9], v[6:7], v[0:1], v[4:5] op_sel:[0,0,1] op_sel_hi:[1,1,0] neg_lo:[0,0,1] neg_hi:[0,0,1]
	v_pk_fma_f32 v[4:5], v[6:7], v[0:1], v[4:5] op_sel:[0,0,1] op_sel_hi:[1,0,0]
	s_delay_alu instid0(VALU_DEP_1) | instskip(SKIP_4) | instid1(VALU_DEP_1)
	v_mov_b32_e32 v9, v5
	ds_load_2addr_b64 v[4:7], v148 offset0:13 offset1:14
	v_pk_add_f32 v[64:65], v[64:65], v[8:9] neg_lo:[0,1] neg_hi:[0,1]
	s_wait_dscnt 0x0
	v_pk_mul_f32 v[8:9], v[4:5], v[2:3] op_sel:[0,1]
	v_pk_fma_f32 v[10:11], v[4:5], v[0:1], v[8:9] op_sel:[0,0,1] op_sel_hi:[1,1,0] neg_lo:[0,0,1] neg_hi:[0,0,1]
	v_pk_fma_f32 v[4:5], v[4:5], v[0:1], v[8:9] op_sel:[0,0,1] op_sel_hi:[1,0,0]
	v_dual_mul_f32 v8, v7, v3 :: v_dual_mov_b32 v4, v7
	s_delay_alu instid0(VALU_DEP_2) | instskip(NEXT) | instid1(VALU_DEP_2)
	v_dual_mov_b32 v11, v5 :: v_dual_mov_b32 v5, v6
	v_pk_fma_f32 v[8:9], v[6:7], v[54:55], v[8:9] op_sel_hi:[1,1,0] neg_lo:[0,0,1] neg_hi:[0,0,1]
	v_mul_f32_e32 v6, v7, v0
	s_delay_alu instid0(VALU_DEP_3) | instskip(NEXT) | instid1(VALU_DEP_2)
	v_pk_add_f32 v[60:61], v[60:61], v[10:11] neg_lo:[0,1] neg_hi:[0,1]
	v_pk_fma_f32 v[4:5], v[4:5], v[54:55], v[6:7] op_sel_hi:[1,1,0]
	s_delay_alu instid0(VALU_DEP_1) | instskip(SKIP_4) | instid1(VALU_DEP_1)
	v_mov_b32_e32 v9, v5
	ds_load_2addr_b64 v[4:7], v148 offset0:15 offset1:16
	v_pk_add_f32 v[62:63], v[62:63], v[8:9] neg_lo:[0,1] neg_hi:[0,1]
	s_wait_dscnt 0x0
	v_pk_mul_f32 v[8:9], v[4:5], v[2:3] op_sel:[0,1]
	v_pk_fma_f32 v[10:11], v[4:5], v[0:1], v[8:9] op_sel:[0,0,1] op_sel_hi:[1,1,0] neg_lo:[0,0,1] neg_hi:[0,0,1]
	v_pk_fma_f32 v[4:5], v[4:5], v[0:1], v[8:9] op_sel:[0,0,1] op_sel_hi:[1,0,0]
	s_delay_alu instid0(VALU_DEP_1) | instskip(SKIP_1) | instid1(VALU_DEP_1)
	v_mov_b32_e32 v11, v5
	v_pk_mul_f32 v[4:5], v[6:7], v[2:3] op_sel:[0,1]
	v_pk_fma_f32 v[8:9], v[6:7], v[0:1], v[4:5] op_sel:[0,0,1] op_sel_hi:[1,1,0] neg_lo:[0,0,1] neg_hi:[0,0,1]
	v_pk_fma_f32 v[4:5], v[6:7], v[0:1], v[4:5] op_sel:[0,0,1] op_sel_hi:[1,0,0]
	s_delay_alu instid0(VALU_DEP_1)
	v_mov_b32_e32 v9, v5
	ds_load_2addr_b64 v[4:7], v148 offset0:17 offset1:18
	v_pk_add_f32 v[58:59], v[58:59], v[10:11] neg_lo:[0,1] neg_hi:[0,1]
	v_pk_add_f32 v[80:81], v[80:81], v[8:9] neg_lo:[0,1] neg_hi:[0,1]
	s_wait_dscnt 0x0
	v_pk_mul_f32 v[8:9], v[4:5], v[2:3] op_sel:[0,1]
	s_delay_alu instid0(VALU_DEP_1) | instskip(SKIP_1) | instid1(VALU_DEP_1)
	v_pk_fma_f32 v[10:11], v[4:5], v[0:1], v[8:9] op_sel:[0,0,1] op_sel_hi:[1,1,0] neg_lo:[0,0,1] neg_hi:[0,0,1]
	v_pk_fma_f32 v[4:5], v[4:5], v[0:1], v[8:9] op_sel:[0,0,1] op_sel_hi:[1,0,0]
	v_mov_b32_e32 v11, v5
	v_pk_mul_f32 v[4:5], v[6:7], v[2:3] op_sel:[0,1]
	s_delay_alu instid0(VALU_DEP_1) | instskip(SKIP_1) | instid1(VALU_DEP_1)
	v_pk_fma_f32 v[8:9], v[6:7], v[0:1], v[4:5] op_sel:[0,0,1] op_sel_hi:[1,1,0] neg_lo:[0,0,1] neg_hi:[0,0,1]
	v_pk_fma_f32 v[4:5], v[6:7], v[0:1], v[4:5] op_sel:[0,0,1] op_sel_hi:[1,0,0]
	v_mov_b32_e32 v9, v5
	ds_load_2addr_b64 v[4:7], v148 offset0:19 offset1:20
	v_pk_add_f32 v[76:77], v[76:77], v[10:11] neg_lo:[0,1] neg_hi:[0,1]
	v_pk_add_f32 v[78:79], v[78:79], v[8:9] neg_lo:[0,1] neg_hi:[0,1]
	s_wait_dscnt 0x0
	v_dual_mul_f32 v8, v5, v3 :: v_dual_mul_f32 v10, v5, v0
	s_delay_alu instid0(VALU_DEP_1) | instskip(NEXT) | instid1(VALU_DEP_2)
	v_pk_fma_f32 v[8:9], v[4:5], v[54:55], v[8:9] op_sel_hi:[1,1,0] neg_lo:[0,0,1] neg_hi:[0,0,1]
	v_pk_fma_f32 v[4:5], v[4:5], v[54:55], v[10:11] op_sel:[1,0,0] op_sel_hi:[0,1,0]
	s_delay_alu instid0(VALU_DEP_1) | instskip(SKIP_1) | instid1(VALU_DEP_2)
	v_mov_b32_e32 v9, v5
	v_pk_mul_f32 v[4:5], v[6:7], v[2:3] op_sel:[0,1]
	v_pk_add_f32 v[74:75], v[74:75], v[8:9] neg_lo:[0,1] neg_hi:[0,1]
	s_delay_alu instid0(VALU_DEP_2) | instskip(SKIP_1) | instid1(VALU_DEP_1)
	v_pk_fma_f32 v[8:9], v[6:7], v[0:1], v[4:5] op_sel:[0,0,1] op_sel_hi:[1,1,0] neg_lo:[0,0,1] neg_hi:[0,0,1]
	v_pk_fma_f32 v[4:5], v[6:7], v[0:1], v[4:5] op_sel:[0,0,1] op_sel_hi:[1,0,0]
	v_mov_b32_e32 v9, v5
	ds_load_2addr_b64 v[4:7], v148 offset0:21 offset1:22
	v_pk_add_f32 v[96:97], v[96:97], v[8:9] neg_lo:[0,1] neg_hi:[0,1]
	s_wait_dscnt 0x0
	v_pk_mul_f32 v[8:9], v[4:5], v[2:3] op_sel:[0,1]
	s_delay_alu instid0(VALU_DEP_1) | instskip(SKIP_1) | instid1(VALU_DEP_1)
	v_pk_fma_f32 v[10:11], v[4:5], v[0:1], v[8:9] op_sel:[0,0,1] op_sel_hi:[1,1,0] neg_lo:[0,0,1] neg_hi:[0,0,1]
	v_pk_fma_f32 v[4:5], v[4:5], v[0:1], v[8:9] op_sel:[0,0,1] op_sel_hi:[1,0,0]
	v_mov_b32_e32 v11, v5
	v_pk_mul_f32 v[4:5], v[6:7], v[2:3] op_sel:[0,1]
	s_delay_alu instid0(VALU_DEP_2) | instskip(NEXT) | instid1(VALU_DEP_2)
	v_pk_add_f32 v[92:93], v[92:93], v[10:11] neg_lo:[0,1] neg_hi:[0,1]
	v_pk_fma_f32 v[8:9], v[6:7], v[0:1], v[4:5] op_sel:[0,0,1] op_sel_hi:[1,1,0] neg_lo:[0,0,1] neg_hi:[0,0,1]
	v_pk_fma_f32 v[4:5], v[6:7], v[0:1], v[4:5] op_sel:[0,0,1] op_sel_hi:[1,0,0]
	s_delay_alu instid0(VALU_DEP_1) | instskip(SKIP_4) | instid1(VALU_DEP_1)
	v_mov_b32_e32 v9, v5
	ds_load_2addr_b64 v[4:7], v148 offset0:23 offset1:24
	v_pk_add_f32 v[94:95], v[94:95], v[8:9] neg_lo:[0,1] neg_hi:[0,1]
	s_wait_dscnt 0x0
	v_pk_mul_f32 v[8:9], v[4:5], v[2:3] op_sel:[0,1]
	v_pk_fma_f32 v[10:11], v[4:5], v[0:1], v[8:9] op_sel:[0,0,1] op_sel_hi:[1,1,0] neg_lo:[0,0,1] neg_hi:[0,0,1]
	v_pk_fma_f32 v[4:5], v[4:5], v[0:1], v[8:9] op_sel:[0,0,1] op_sel_hi:[1,0,0]
	v_dual_mul_f32 v8, v7, v3 :: v_dual_mov_b32 v4, v7
	s_delay_alu instid0(VALU_DEP_2) | instskip(NEXT) | instid1(VALU_DEP_2)
	v_dual_mov_b32 v11, v5 :: v_dual_mov_b32 v5, v6
	v_pk_fma_f32 v[8:9], v[6:7], v[54:55], v[8:9] op_sel_hi:[1,1,0] neg_lo:[0,0,1] neg_hi:[0,0,1]
	v_mul_f32_e32 v6, v7, v0
	s_delay_alu instid0(VALU_DEP_3) | instskip(NEXT) | instid1(VALU_DEP_2)
	v_pk_add_f32 v[90:91], v[90:91], v[10:11] neg_lo:[0,1] neg_hi:[0,1]
	v_pk_fma_f32 v[4:5], v[4:5], v[54:55], v[6:7] op_sel_hi:[1,1,0]
	s_delay_alu instid0(VALU_DEP_1) | instskip(SKIP_4) | instid1(VALU_DEP_1)
	v_mov_b32_e32 v9, v5
	ds_load_2addr_b64 v[4:7], v148 offset0:25 offset1:26
	v_pk_add_f32 v[112:113], v[112:113], v[8:9] neg_lo:[0,1] neg_hi:[0,1]
	s_wait_dscnt 0x0
	v_pk_mul_f32 v[8:9], v[4:5], v[2:3] op_sel:[0,1]
	v_pk_fma_f32 v[10:11], v[4:5], v[0:1], v[8:9] op_sel:[0,0,1] op_sel_hi:[1,1,0] neg_lo:[0,0,1] neg_hi:[0,0,1]
	v_pk_fma_f32 v[4:5], v[4:5], v[0:1], v[8:9] op_sel:[0,0,1] op_sel_hi:[1,0,0]
	s_delay_alu instid0(VALU_DEP_1) | instskip(SKIP_1) | instid1(VALU_DEP_1)
	v_mov_b32_e32 v11, v5
	v_pk_mul_f32 v[4:5], v[6:7], v[2:3] op_sel:[0,1]
	v_pk_fma_f32 v[8:9], v[6:7], v[0:1], v[4:5] op_sel:[0,0,1] op_sel_hi:[1,1,0] neg_lo:[0,0,1] neg_hi:[0,0,1]
	v_pk_fma_f32 v[4:5], v[6:7], v[0:1], v[4:5] op_sel:[0,0,1] op_sel_hi:[1,0,0]
	s_delay_alu instid0(VALU_DEP_1)
	v_mov_b32_e32 v9, v5
	ds_load_2addr_b64 v[4:7], v148 offset0:27 offset1:28
	v_pk_add_f32 v[108:109], v[108:109], v[10:11] neg_lo:[0,1] neg_hi:[0,1]
	v_pk_add_f32 v[110:111], v[110:111], v[8:9] neg_lo:[0,1] neg_hi:[0,1]
	s_wait_dscnt 0x0
	v_pk_mul_f32 v[8:9], v[4:5], v[2:3] op_sel:[0,1]
	s_delay_alu instid0(VALU_DEP_1) | instskip(SKIP_1) | instid1(VALU_DEP_1)
	v_pk_fma_f32 v[10:11], v[4:5], v[0:1], v[8:9] op_sel:[0,0,1] op_sel_hi:[1,1,0] neg_lo:[0,0,1] neg_hi:[0,0,1]
	v_pk_fma_f32 v[4:5], v[4:5], v[0:1], v[8:9] op_sel:[0,0,1] op_sel_hi:[1,0,0]
	v_mov_b32_e32 v11, v5
	v_pk_mul_f32 v[4:5], v[6:7], v[2:3] op_sel:[0,1]
	s_delay_alu instid0(VALU_DEP_1) | instskip(SKIP_1) | instid1(VALU_DEP_1)
	v_pk_fma_f32 v[8:9], v[6:7], v[0:1], v[4:5] op_sel:[0,0,1] op_sel_hi:[1,1,0] neg_lo:[0,0,1] neg_hi:[0,0,1]
	v_pk_fma_f32 v[4:5], v[6:7], v[0:1], v[4:5] op_sel:[0,0,1] op_sel_hi:[1,0,0]
	v_mov_b32_e32 v9, v5
	ds_load_2addr_b64 v[4:7], v148 offset0:29 offset1:30
	v_pk_add_f32 v[106:107], v[106:107], v[10:11] neg_lo:[0,1] neg_hi:[0,1]
	v_pk_add_f32 v[130:131], v[130:131], v[8:9] neg_lo:[0,1] neg_hi:[0,1]
	s_wait_dscnt 0x0
	v_dual_mul_f32 v8, v5, v3 :: v_dual_mul_f32 v10, v5, v0
	s_delay_alu instid0(VALU_DEP_1) | instskip(NEXT) | instid1(VALU_DEP_2)
	v_pk_fma_f32 v[8:9], v[4:5], v[54:55], v[8:9] op_sel_hi:[1,1,0] neg_lo:[0,0,1] neg_hi:[0,0,1]
	v_pk_fma_f32 v[4:5], v[4:5], v[54:55], v[10:11] op_sel:[1,0,0] op_sel_hi:[0,1,0]
	s_delay_alu instid0(VALU_DEP_1) | instskip(SKIP_1) | instid1(VALU_DEP_2)
	v_mov_b32_e32 v9, v5
	v_pk_mul_f32 v[4:5], v[6:7], v[2:3] op_sel:[0,1]
	v_pk_add_f32 v[126:127], v[126:127], v[8:9] neg_lo:[0,1] neg_hi:[0,1]
	s_delay_alu instid0(VALU_DEP_2) | instskip(SKIP_1) | instid1(VALU_DEP_1)
	v_pk_fma_f32 v[8:9], v[6:7], v[0:1], v[4:5] op_sel:[0,0,1] op_sel_hi:[1,1,0] neg_lo:[0,0,1] neg_hi:[0,0,1]
	v_pk_fma_f32 v[4:5], v[6:7], v[0:1], v[4:5] op_sel:[0,0,1] op_sel_hi:[1,0,0]
	v_mov_b32_e32 v9, v5
	ds_load_2addr_b64 v[4:7], v148 offset0:31 offset1:32
	v_pk_add_f32 v[128:129], v[128:129], v[8:9] neg_lo:[0,1] neg_hi:[0,1]
	s_wait_dscnt 0x0
	v_pk_mul_f32 v[8:9], v[4:5], v[2:3] op_sel:[0,1]
	s_delay_alu instid0(VALU_DEP_1) | instskip(SKIP_1) | instid1(VALU_DEP_1)
	v_pk_fma_f32 v[10:11], v[4:5], v[0:1], v[8:9] op_sel:[0,0,1] op_sel_hi:[1,1,0] neg_lo:[0,0,1] neg_hi:[0,0,1]
	v_pk_fma_f32 v[4:5], v[4:5], v[0:1], v[8:9] op_sel:[0,0,1] op_sel_hi:[1,0,0]
	v_mov_b32_e32 v11, v5
	v_pk_mul_f32 v[4:5], v[6:7], v[2:3] op_sel:[0,1]
	s_delay_alu instid0(VALU_DEP_2) | instskip(NEXT) | instid1(VALU_DEP_2)
	v_pk_add_f32 v[124:125], v[124:125], v[10:11] neg_lo:[0,1] neg_hi:[0,1]
	v_pk_fma_f32 v[8:9], v[6:7], v[0:1], v[4:5] op_sel:[0,0,1] op_sel_hi:[1,1,0] neg_lo:[0,0,1] neg_hi:[0,0,1]
	v_pk_fma_f32 v[4:5], v[6:7], v[0:1], v[4:5] op_sel:[0,0,1] op_sel_hi:[1,0,0]
	s_delay_alu instid0(VALU_DEP_1) | instskip(SKIP_4) | instid1(VALU_DEP_1)
	v_mov_b32_e32 v9, v5
	ds_load_2addr_b64 v[4:7], v148 offset0:33 offset1:34
	v_pk_add_f32 v[146:147], v[146:147], v[8:9] neg_lo:[0,1] neg_hi:[0,1]
	s_wait_dscnt 0x0
	v_pk_mul_f32 v[8:9], v[4:5], v[2:3] op_sel:[0,1]
	v_pk_fma_f32 v[10:11], v[4:5], v[0:1], v[8:9] op_sel:[0,0,1] op_sel_hi:[1,1,0] neg_lo:[0,0,1] neg_hi:[0,0,1]
	v_pk_fma_f32 v[4:5], v[4:5], v[0:1], v[8:9] op_sel:[0,0,1] op_sel_hi:[1,0,0]
	v_dual_mul_f32 v8, v7, v3 :: v_dual_mov_b32 v4, v7
	s_delay_alu instid0(VALU_DEP_2) | instskip(NEXT) | instid1(VALU_DEP_2)
	v_dual_mov_b32 v11, v5 :: v_dual_mov_b32 v5, v6
	v_pk_fma_f32 v[8:9], v[6:7], v[54:55], v[8:9] op_sel_hi:[1,1,0] neg_lo:[0,0,1] neg_hi:[0,0,1]
	v_mul_f32_e32 v6, v7, v0
	s_delay_alu instid0(VALU_DEP_3) | instskip(NEXT) | instid1(VALU_DEP_2)
	v_pk_add_f32 v[142:143], v[142:143], v[10:11] neg_lo:[0,1] neg_hi:[0,1]
	v_pk_fma_f32 v[4:5], v[4:5], v[54:55], v[6:7] op_sel_hi:[1,1,0]
	s_delay_alu instid0(VALU_DEP_1) | instskip(SKIP_4) | instid1(VALU_DEP_1)
	v_mov_b32_e32 v9, v5
	ds_load_2addr_b64 v[4:7], v148 offset0:35 offset1:36
	v_pk_add_f32 v[144:145], v[144:145], v[8:9] neg_lo:[0,1] neg_hi:[0,1]
	s_wait_dscnt 0x0
	v_pk_mul_f32 v[8:9], v[4:5], v[2:3] op_sel:[0,1]
	v_pk_fma_f32 v[10:11], v[4:5], v[0:1], v[8:9] op_sel:[0,0,1] op_sel_hi:[1,1,0] neg_lo:[0,0,1] neg_hi:[0,0,1]
	v_pk_fma_f32 v[4:5], v[4:5], v[0:1], v[8:9] op_sel:[0,0,1] op_sel_hi:[1,0,0]
	s_delay_alu instid0(VALU_DEP_1) | instskip(SKIP_1) | instid1(VALU_DEP_1)
	v_mov_b32_e32 v11, v5
	v_pk_mul_f32 v[4:5], v[6:7], v[2:3] op_sel:[0,1]
	v_pk_fma_f32 v[8:9], v[6:7], v[0:1], v[4:5] op_sel:[0,0,1] op_sel_hi:[1,1,0] neg_lo:[0,0,1] neg_hi:[0,0,1]
	v_pk_fma_f32 v[4:5], v[6:7], v[0:1], v[4:5] op_sel:[0,0,1] op_sel_hi:[1,0,0]
	s_delay_alu instid0(VALU_DEP_1)
	v_mov_b32_e32 v9, v5
	ds_load_2addr_b64 v[4:7], v148 offset0:37 offset1:38
	v_pk_add_f32 v[140:141], v[140:141], v[10:11] neg_lo:[0,1] neg_hi:[0,1]
	v_pk_add_f32 v[162:163], v[162:163], v[8:9] neg_lo:[0,1] neg_hi:[0,1]
	s_wait_dscnt 0x0
	v_pk_mul_f32 v[8:9], v[4:5], v[2:3] op_sel:[0,1]
	s_delay_alu instid0(VALU_DEP_1) | instskip(SKIP_1) | instid1(VALU_DEP_1)
	v_pk_fma_f32 v[10:11], v[4:5], v[0:1], v[8:9] op_sel:[0,0,1] op_sel_hi:[1,1,0] neg_lo:[0,0,1] neg_hi:[0,0,1]
	v_pk_fma_f32 v[4:5], v[4:5], v[0:1], v[8:9] op_sel:[0,0,1] op_sel_hi:[1,0,0]
	v_mov_b32_e32 v11, v5
	v_pk_mul_f32 v[4:5], v[6:7], v[2:3] op_sel:[0,1]
	s_delay_alu instid0(VALU_DEP_1) | instskip(SKIP_1) | instid1(VALU_DEP_1)
	v_pk_fma_f32 v[8:9], v[6:7], v[0:1], v[4:5] op_sel:[0,0,1] op_sel_hi:[1,1,0] neg_lo:[0,0,1] neg_hi:[0,0,1]
	v_pk_fma_f32 v[4:5], v[6:7], v[0:1], v[4:5] op_sel:[0,0,1] op_sel_hi:[1,0,0]
	v_mov_b32_e32 v9, v5
	ds_load_2addr_b64 v[4:7], v148 offset0:39 offset1:40
	v_pk_add_f32 v[158:159], v[158:159], v[10:11] neg_lo:[0,1] neg_hi:[0,1]
	v_pk_add_f32 v[160:161], v[160:161], v[8:9] neg_lo:[0,1] neg_hi:[0,1]
	s_wait_dscnt 0x0
	v_dual_mul_f32 v8, v5, v3 :: v_dual_mul_f32 v10, v5, v0
	s_delay_alu instid0(VALU_DEP_1) | instskip(NEXT) | instid1(VALU_DEP_2)
	v_pk_fma_f32 v[8:9], v[4:5], v[54:55], v[8:9] op_sel_hi:[1,1,0] neg_lo:[0,0,1] neg_hi:[0,0,1]
	v_pk_fma_f32 v[4:5], v[4:5], v[54:55], v[10:11] op_sel:[1,0,0] op_sel_hi:[0,1,0]
	s_delay_alu instid0(VALU_DEP_1) | instskip(SKIP_1) | instid1(VALU_DEP_2)
	v_mov_b32_e32 v9, v5
	v_pk_mul_f32 v[4:5], v[6:7], v[2:3] op_sel:[0,1]
	v_pk_add_f32 v[156:157], v[156:157], v[8:9] neg_lo:[0,1] neg_hi:[0,1]
	s_delay_alu instid0(VALU_DEP_2) | instskip(SKIP_1) | instid1(VALU_DEP_1)
	v_pk_fma_f32 v[8:9], v[6:7], v[0:1], v[4:5] op_sel:[0,0,1] op_sel_hi:[1,1,0] neg_lo:[0,0,1] neg_hi:[0,0,1]
	v_pk_fma_f32 v[4:5], v[6:7], v[0:1], v[4:5] op_sel:[0,0,1] op_sel_hi:[1,0,0]
	v_mov_b32_e32 v9, v5
	ds_load_2addr_b64 v[4:7], v148 offset0:41 offset1:42
	v_pk_add_f32 v[178:179], v[178:179], v[8:9] neg_lo:[0,1] neg_hi:[0,1]
	s_wait_dscnt 0x0
	v_pk_mul_f32 v[8:9], v[4:5], v[2:3] op_sel:[0,1]
	s_delay_alu instid0(VALU_DEP_1) | instskip(SKIP_1) | instid1(VALU_DEP_1)
	v_pk_fma_f32 v[10:11], v[4:5], v[0:1], v[8:9] op_sel:[0,0,1] op_sel_hi:[1,1,0] neg_lo:[0,0,1] neg_hi:[0,0,1]
	v_pk_fma_f32 v[4:5], v[4:5], v[0:1], v[8:9] op_sel:[0,0,1] op_sel_hi:[1,0,0]
	v_mov_b32_e32 v11, v5
	v_pk_mul_f32 v[4:5], v[6:7], v[2:3] op_sel:[0,1]
	s_delay_alu instid0(VALU_DEP_2) | instskip(NEXT) | instid1(VALU_DEP_2)
	v_pk_add_f32 v[174:175], v[174:175], v[10:11] neg_lo:[0,1] neg_hi:[0,1]
	v_pk_fma_f32 v[8:9], v[6:7], v[0:1], v[4:5] op_sel:[0,0,1] op_sel_hi:[1,1,0] neg_lo:[0,0,1] neg_hi:[0,0,1]
	v_pk_fma_f32 v[4:5], v[6:7], v[0:1], v[4:5] op_sel:[0,0,1] op_sel_hi:[1,0,0]
	s_delay_alu instid0(VALU_DEP_1) | instskip(SKIP_4) | instid1(VALU_DEP_1)
	v_mov_b32_e32 v9, v5
	ds_load_2addr_b64 v[4:7], v148 offset0:43 offset1:44
	v_pk_add_f32 v[176:177], v[176:177], v[8:9] neg_lo:[0,1] neg_hi:[0,1]
	s_wait_dscnt 0x0
	v_pk_mul_f32 v[8:9], v[4:5], v[2:3] op_sel:[0,1]
	v_pk_fma_f32 v[10:11], v[4:5], v[0:1], v[8:9] op_sel:[0,0,1] op_sel_hi:[1,1,0] neg_lo:[0,0,1] neg_hi:[0,0,1]
	v_pk_fma_f32 v[4:5], v[4:5], v[0:1], v[8:9] op_sel:[0,0,1] op_sel_hi:[1,0,0]
	v_dual_mul_f32 v8, v7, v3 :: v_dual_mov_b32 v4, v7
	s_delay_alu instid0(VALU_DEP_2) | instskip(NEXT) | instid1(VALU_DEP_2)
	v_dual_mov_b32 v11, v5 :: v_dual_mov_b32 v5, v6
	v_pk_fma_f32 v[8:9], v[6:7], v[54:55], v[8:9] op_sel_hi:[1,1,0] neg_lo:[0,0,1] neg_hi:[0,0,1]
	v_mul_f32_e32 v6, v7, v0
	s_delay_alu instid0(VALU_DEP_3) | instskip(NEXT) | instid1(VALU_DEP_2)
	v_pk_add_f32 v[172:173], v[172:173], v[10:11] neg_lo:[0,1] neg_hi:[0,1]
	v_pk_fma_f32 v[4:5], v[4:5], v[54:55], v[6:7] op_sel_hi:[1,1,0]
	s_delay_alu instid0(VALU_DEP_1) | instskip(SKIP_4) | instid1(VALU_DEP_1)
	v_mov_b32_e32 v9, v5
	ds_load_2addr_b64 v[4:7], v148 offset0:45 offset1:46
	v_pk_add_f32 v[196:197], v[196:197], v[8:9] neg_lo:[0,1] neg_hi:[0,1]
	s_wait_dscnt 0x0
	v_pk_mul_f32 v[8:9], v[4:5], v[2:3] op_sel:[0,1]
	v_pk_fma_f32 v[10:11], v[4:5], v[0:1], v[8:9] op_sel:[0,0,1] op_sel_hi:[1,1,0] neg_lo:[0,0,1] neg_hi:[0,0,1]
	v_pk_fma_f32 v[4:5], v[4:5], v[0:1], v[8:9] op_sel:[0,0,1] op_sel_hi:[1,0,0]
	s_delay_alu instid0(VALU_DEP_1) | instskip(SKIP_1) | instid1(VALU_DEP_1)
	v_mov_b32_e32 v11, v5
	v_pk_mul_f32 v[4:5], v[6:7], v[2:3] op_sel:[0,1]
	v_pk_fma_f32 v[8:9], v[6:7], v[0:1], v[4:5] op_sel:[0,0,1] op_sel_hi:[1,1,0] neg_lo:[0,0,1] neg_hi:[0,0,1]
	v_pk_fma_f32 v[4:5], v[6:7], v[0:1], v[4:5] op_sel:[0,0,1] op_sel_hi:[1,0,0]
	s_delay_alu instid0(VALU_DEP_1)
	v_mov_b32_e32 v9, v5
	ds_load_2addr_b64 v[4:7], v148 offset0:47 offset1:48
	v_pk_add_f32 v[192:193], v[192:193], v[10:11] neg_lo:[0,1] neg_hi:[0,1]
	v_pk_add_f32 v[194:195], v[194:195], v[8:9] neg_lo:[0,1] neg_hi:[0,1]
	s_wait_dscnt 0x0
	v_pk_mul_f32 v[8:9], v[4:5], v[2:3] op_sel:[0,1]
	s_delay_alu instid0(VALU_DEP_1) | instskip(SKIP_1) | instid1(VALU_DEP_1)
	v_pk_fma_f32 v[10:11], v[4:5], v[0:1], v[8:9] op_sel:[0,0,1] op_sel_hi:[1,1,0] neg_lo:[0,0,1] neg_hi:[0,0,1]
	v_pk_fma_f32 v[4:5], v[4:5], v[0:1], v[8:9] op_sel:[0,0,1] op_sel_hi:[1,0,0]
	v_mov_b32_e32 v11, v5
	v_pk_mul_f32 v[4:5], v[6:7], v[2:3] op_sel:[0,1]
	s_delay_alu instid0(VALU_DEP_1) | instskip(SKIP_1) | instid1(VALU_DEP_1)
	v_pk_fma_f32 v[8:9], v[6:7], v[0:1], v[4:5] op_sel:[0,0,1] op_sel_hi:[1,1,0] neg_lo:[0,0,1] neg_hi:[0,0,1]
	v_pk_fma_f32 v[4:5], v[6:7], v[0:1], v[4:5] op_sel:[0,0,1] op_sel_hi:[1,0,0]
	v_mov_b32_e32 v9, v5
	ds_load_2addr_b64 v[4:7], v148 offset0:49 offset1:50
	v_pk_add_f32 v[190:191], v[190:191], v[10:11] neg_lo:[0,1] neg_hi:[0,1]
	v_pk_add_f32 v[212:213], v[212:213], v[8:9] neg_lo:[0,1] neg_hi:[0,1]
	s_wait_dscnt 0x0
	v_dual_mul_f32 v8, v5, v3 :: v_dual_mul_f32 v10, v5, v0
	s_delay_alu instid0(VALU_DEP_1) | instskip(NEXT) | instid1(VALU_DEP_2)
	v_pk_fma_f32 v[8:9], v[4:5], v[54:55], v[8:9] op_sel_hi:[1,1,0] neg_lo:[0,0,1] neg_hi:[0,0,1]
	v_pk_fma_f32 v[4:5], v[4:5], v[54:55], v[10:11] op_sel:[1,0,0] op_sel_hi:[0,1,0]
	s_delay_alu instid0(VALU_DEP_1) | instskip(SKIP_1) | instid1(VALU_DEP_2)
	v_mov_b32_e32 v9, v5
	v_pk_mul_f32 v[4:5], v[6:7], v[2:3] op_sel:[0,1]
	v_pk_add_f32 v[208:209], v[208:209], v[8:9] neg_lo:[0,1] neg_hi:[0,1]
	s_delay_alu instid0(VALU_DEP_2) | instskip(SKIP_1) | instid1(VALU_DEP_1)
	v_pk_fma_f32 v[8:9], v[6:7], v[0:1], v[4:5] op_sel:[0,0,1] op_sel_hi:[1,1,0] neg_lo:[0,0,1] neg_hi:[0,0,1]
	v_pk_fma_f32 v[4:5], v[6:7], v[0:1], v[4:5] op_sel:[0,0,1] op_sel_hi:[1,0,0]
	v_mov_b32_e32 v9, v5
	ds_load_2addr_b64 v[4:7], v148 offset0:51 offset1:52
	v_pk_add_f32 v[210:211], v[210:211], v[8:9] neg_lo:[0,1] neg_hi:[0,1]
	s_wait_dscnt 0x0
	v_pk_mul_f32 v[8:9], v[4:5], v[2:3] op_sel:[0,1]
	s_delay_alu instid0(VALU_DEP_1) | instskip(SKIP_1) | instid1(VALU_DEP_1)
	v_pk_fma_f32 v[10:11], v[4:5], v[0:1], v[8:9] op_sel:[0,0,1] op_sel_hi:[1,1,0] neg_lo:[0,0,1] neg_hi:[0,0,1]
	v_pk_fma_f32 v[4:5], v[4:5], v[0:1], v[8:9] op_sel:[0,0,1] op_sel_hi:[1,0,0]
	v_mov_b32_e32 v11, v5
	v_pk_mul_f32 v[4:5], v[6:7], v[2:3] op_sel:[0,1]
	s_delay_alu instid0(VALU_DEP_2) | instskip(NEXT) | instid1(VALU_DEP_2)
	v_pk_add_f32 v[206:207], v[206:207], v[10:11] neg_lo:[0,1] neg_hi:[0,1]
	v_pk_fma_f32 v[8:9], v[6:7], v[0:1], v[4:5] op_sel:[0,0,1] op_sel_hi:[1,1,0] neg_lo:[0,0,1] neg_hi:[0,0,1]
	v_pk_fma_f32 v[4:5], v[6:7], v[0:1], v[4:5] op_sel:[0,0,1] op_sel_hi:[1,0,0]
	s_delay_alu instid0(VALU_DEP_1) | instskip(SKIP_4) | instid1(VALU_DEP_1)
	v_mov_b32_e32 v9, v5
	ds_load_b64 v[4:5], v148 offset:424
	v_pk_add_f32 v[214:215], v[214:215], v[8:9] neg_lo:[0,1] neg_hi:[0,1]
	s_wait_dscnt 0x0
	v_pk_mul_f32 v[2:3], v[4:5], v[2:3] op_sel:[0,1]
	v_pk_fma_f32 v[6:7], v[4:5], v[0:1], v[2:3] op_sel:[0,0,1] op_sel_hi:[1,1,0] neg_lo:[0,0,1] neg_hi:[0,0,1]
	v_pk_fma_f32 v[0:1], v[4:5], v[0:1], v[2:3] op_sel:[0,0,1] op_sel_hi:[1,0,0]
	s_delay_alu instid0(VALU_DEP_1) | instskip(NEXT) | instid1(VALU_DEP_1)
	v_mov_b32_e32 v7, v1
	v_pk_add_f32 v[216:217], v[216:217], v[6:7] neg_lo:[0,1] neg_hi:[0,1]
.LBB107_10:
	s_wait_xcnt 0x0
	s_or_b32 exec_lo, exec_lo, s2
	s_delay_alu instid0(SALU_CYCLE_1)
	s_mov_b32 s2, exec_lo
	s_wait_storecnt 0x0
	s_barrier_signal -1
	s_barrier_wait -1
	v_cmpx_eq_u32_e32 1, v138
	s_cbranch_execz .LBB107_17
; %bb.11:
	v_dual_mov_b32 v0, v46 :: v_dual_mov_b32 v1, v47
	v_dual_mov_b32 v2, v44 :: v_dual_mov_b32 v3, v45
	;; [unrolled: 1-line block ×4, first 2 shown]
	ds_store_b64 v139, v[56:57]
	ds_store_2addr_b64 v148, v[0:1], v[2:3] offset0:2 offset1:3
	ds_store_2addr_b64 v148, v[4:5], v[6:7] offset0:4 offset1:5
	v_dual_mov_b32 v0, v24 :: v_dual_mov_b32 v1, v25
	v_dual_mov_b32 v2, v20 :: v_dual_mov_b32 v3, v21
	v_dual_mov_b32 v4, v40 :: v_dual_mov_b32 v5, v41
	v_dual_mov_b32 v6, v36 :: v_dual_mov_b32 v7, v37
	v_dual_mov_b32 v8, v38 :: v_dual_mov_b32 v9, v39
	v_dual_mov_b32 v10, v34 :: v_dual_mov_b32 v11, v35
	v_dual_mov_b32 v12, v64 :: v_dual_mov_b32 v13, v65
	v_dual_mov_b32 v14, v60 :: v_dual_mov_b32 v15, v61
	v_dual_mov_b32 v18, v62 :: v_dual_mov_b32 v19, v63
	v_dual_mov_b32 v28, v58 :: v_dual_mov_b32 v29, v59
	v_dual_mov_b32 v30, v80 :: v_dual_mov_b32 v31, v81
	v_dual_mov_b32 v32, v76 :: v_dual_mov_b32 v33, v77
	ds_store_2addr_b64 v148, v[0:1], v[2:3] offset0:6 offset1:7
	ds_store_2addr_b64 v148, v[4:5], v[6:7] offset0:8 offset1:9
	ds_store_2addr_b64 v148, v[8:9], v[10:11] offset0:10 offset1:11
	ds_store_2addr_b64 v148, v[12:13], v[14:15] offset0:12 offset1:13
	ds_store_2addr_b64 v148, v[18:19], v[28:29] offset0:14 offset1:15
	ds_store_2addr_b64 v148, v[30:31], v[32:33] offset0:16 offset1:17
	v_dual_mov_b32 v0, v78 :: v_dual_mov_b32 v1, v79
	v_dual_mov_b32 v2, v74 :: v_dual_mov_b32 v3, v75
	v_dual_mov_b32 v4, v96 :: v_dual_mov_b32 v5, v97
	v_dual_mov_b32 v6, v92 :: v_dual_mov_b32 v7, v93
	v_dual_mov_b32 v8, v94 :: v_dual_mov_b32 v9, v95
	v_dual_mov_b32 v10, v90 :: v_dual_mov_b32 v11, v91
	v_dual_mov_b32 v12, v112 :: v_dual_mov_b32 v13, v113
	v_dual_mov_b32 v14, v108 :: v_dual_mov_b32 v15, v109
	v_dual_mov_b32 v18, v110 :: v_dual_mov_b32 v19, v111
	v_dual_mov_b32 v28, v106 :: v_dual_mov_b32 v29, v107
	v_dual_mov_b32 v30, v130 :: v_dual_mov_b32 v31, v131
	v_dual_mov_b32 v32, v126 :: v_dual_mov_b32 v33, v127
	ds_store_2addr_b64 v148, v[0:1], v[2:3] offset0:18 offset1:19
	ds_store_2addr_b64 v148, v[4:5], v[6:7] offset0:20 offset1:21
	ds_store_2addr_b64 v148, v[8:9], v[10:11] offset0:22 offset1:23
	ds_store_2addr_b64 v148, v[12:13], v[14:15] offset0:24 offset1:25
	;; [unrolled: 18-line block ×3, first 2 shown]
	ds_store_2addr_b64 v148, v[18:19], v[28:29] offset0:38 offset1:39
	ds_store_2addr_b64 v148, v[30:31], v[32:33] offset0:40 offset1:41
	v_dual_mov_b32 v0, v176 :: v_dual_mov_b32 v1, v177
	v_dual_mov_b32 v2, v172 :: v_dual_mov_b32 v3, v173
	;; [unrolled: 1-line block ×11, first 2 shown]
	ds_store_2addr_b64 v148, v[0:1], v[2:3] offset0:42 offset1:43
	ds_store_2addr_b64 v148, v[4:5], v[6:7] offset0:44 offset1:45
	;; [unrolled: 1-line block ×6, first 2 shown]
	ds_load_b64 v[0:1], v139
	s_wait_dscnt 0x0
	v_cmp_neq_f32_e32 vcc_lo, 0, v0
	v_cmp_neq_f32_e64 s1, 0, v1
	s_or_b32 s1, vcc_lo, s1
	s_delay_alu instid0(SALU_CYCLE_1)
	s_and_b32 exec_lo, exec_lo, s1
	s_cbranch_execz .LBB107_17
; %bb.12:
	v_cmp_ngt_f32_e64 s1, |v0|, |v1|
                                        ; implicit-def: $vgpr2_vgpr3
	s_and_saveexec_b32 s4, s1
	s_delay_alu instid0(SALU_CYCLE_1)
	s_xor_b32 s1, exec_lo, s4
	s_cbranch_execz .LBB107_14
; %bb.13:
	v_div_scale_f32 v2, null, v1, v1, v0
	v_div_scale_f32 v5, vcc_lo, v0, v1, v0
	s_delay_alu instid0(VALU_DEP_2) | instskip(SKIP_1) | instid1(TRANS32_DEP_1)
	v_rcp_f32_e32 v3, v2
	v_nop
	v_fma_f32 v4, -v2, v3, 1.0
	s_delay_alu instid0(VALU_DEP_1) | instskip(NEXT) | instid1(VALU_DEP_1)
	v_fmac_f32_e32 v3, v4, v3
	v_mul_f32_e32 v4, v5, v3
	s_delay_alu instid0(VALU_DEP_1) | instskip(NEXT) | instid1(VALU_DEP_1)
	v_fma_f32 v6, -v2, v4, v5
	v_fmac_f32_e32 v4, v6, v3
	s_delay_alu instid0(VALU_DEP_1) | instskip(NEXT) | instid1(VALU_DEP_1)
	v_fma_f32 v2, -v2, v4, v5
	v_div_fmas_f32 v2, v2, v3, v4
	s_delay_alu instid0(VALU_DEP_1) | instskip(NEXT) | instid1(VALU_DEP_1)
	v_div_fixup_f32 v2, v2, v1, v0
	v_fmac_f32_e32 v1, v0, v2
	s_delay_alu instid0(VALU_DEP_1) | instskip(SKIP_1) | instid1(VALU_DEP_2)
	v_div_scale_f32 v0, null, v1, v1, 1.0
	v_div_scale_f32 v5, vcc_lo, 1.0, v1, 1.0
	v_rcp_f32_e32 v3, v0
	v_nop
	s_delay_alu instid0(TRANS32_DEP_1) | instskip(NEXT) | instid1(VALU_DEP_1)
	v_fma_f32 v4, -v0, v3, 1.0
	v_fmac_f32_e32 v3, v4, v3
	s_delay_alu instid0(VALU_DEP_1) | instskip(NEXT) | instid1(VALU_DEP_1)
	v_mul_f32_e32 v4, v5, v3
	v_fma_f32 v6, -v0, v4, v5
	s_delay_alu instid0(VALU_DEP_1) | instskip(NEXT) | instid1(VALU_DEP_1)
	v_fmac_f32_e32 v4, v6, v3
	v_fma_f32 v0, -v0, v4, v5
	s_delay_alu instid0(VALU_DEP_1) | instskip(NEXT) | instid1(VALU_DEP_1)
	v_div_fmas_f32 v0, v0, v3, v4
	v_div_fixup_f32 v0, v0, v1, 1.0
	s_delay_alu instid0(VALU_DEP_1)
	v_mul_f32_e32 v2, v2, v0
	v_xor_b32_e32 v3, 0x80000000, v0
                                        ; implicit-def: $vgpr0_vgpr1
.LBB107_14:
	s_and_not1_saveexec_b32 s1, s1
	s_cbranch_execz .LBB107_16
; %bb.15:
	v_div_scale_f32 v2, null, v0, v0, v1
	v_div_scale_f32 v5, vcc_lo, v1, v0, v1
	s_delay_alu instid0(VALU_DEP_2) | instskip(SKIP_1) | instid1(TRANS32_DEP_1)
	v_rcp_f32_e32 v3, v2
	v_nop
	v_fma_f32 v4, -v2, v3, 1.0
	s_delay_alu instid0(VALU_DEP_1) | instskip(NEXT) | instid1(VALU_DEP_1)
	v_fmac_f32_e32 v3, v4, v3
	v_mul_f32_e32 v4, v5, v3
	s_delay_alu instid0(VALU_DEP_1) | instskip(NEXT) | instid1(VALU_DEP_1)
	v_fma_f32 v6, -v2, v4, v5
	v_fmac_f32_e32 v4, v6, v3
	s_delay_alu instid0(VALU_DEP_1) | instskip(NEXT) | instid1(VALU_DEP_1)
	v_fma_f32 v2, -v2, v4, v5
	v_div_fmas_f32 v2, v2, v3, v4
	s_delay_alu instid0(VALU_DEP_1) | instskip(NEXT) | instid1(VALU_DEP_1)
	v_div_fixup_f32 v3, v2, v0, v1
	v_fmac_f32_e32 v0, v1, v3
	s_delay_alu instid0(VALU_DEP_1) | instskip(NEXT) | instid1(VALU_DEP_1)
	v_div_scale_f32 v1, null, v0, v0, 1.0
	v_rcp_f32_e32 v2, v1
	v_nop
	s_delay_alu instid0(TRANS32_DEP_1) | instskip(NEXT) | instid1(VALU_DEP_1)
	v_fma_f32 v4, -v1, v2, 1.0
	v_fmac_f32_e32 v2, v4, v2
	v_div_scale_f32 v4, vcc_lo, 1.0, v0, 1.0
	s_delay_alu instid0(VALU_DEP_1) | instskip(NEXT) | instid1(VALU_DEP_1)
	v_mul_f32_e32 v5, v4, v2
	v_fma_f32 v6, -v1, v5, v4
	s_delay_alu instid0(VALU_DEP_1) | instskip(NEXT) | instid1(VALU_DEP_1)
	v_fmac_f32_e32 v5, v6, v2
	v_fma_f32 v1, -v1, v5, v4
	s_delay_alu instid0(VALU_DEP_1) | instskip(NEXT) | instid1(VALU_DEP_1)
	v_div_fmas_f32 v1, v1, v2, v5
	v_div_fixup_f32 v2, v1, v0, 1.0
	s_delay_alu instid0(VALU_DEP_1)
	v_mul_f32_e64 v3, v3, -v2
.LBB107_16:
	s_or_b32 exec_lo, exec_lo, s1
	ds_store_b64 v139, v[2:3]
.LBB107_17:
	s_or_b32 exec_lo, exec_lo, s2
	s_wait_dscnt 0x0
	s_barrier_signal -1
	s_barrier_wait -1
	ds_load_b64 v[0:1], v139
	s_mov_b32 s1, exec_lo
	s_wait_dscnt 0x0
	scratch_store_b64 off, v[0:1], off offset:176 ; 8-byte Folded Spill
	s_wait_xcnt 0x0
	v_cmpx_lt_u32_e32 1, v138
	s_cbranch_execz .LBB107_19
; %bb.18:
	scratch_load_b64 v[4:5], off, off offset:176 ; 8-byte Folded Reload
	s_wait_loadcnt 0x0
	v_pk_mul_f32 v[2:3], v[4:5], v[56:57] op_sel:[1,1] op_sel_hi:[0,1]
	s_delay_alu instid0(VALU_DEP_1)
	v_pk_fma_f32 v[0:1], v[4:5], v[56:57], v[2:3] op_sel_hi:[1,0,1] neg_lo:[0,0,1] neg_hi:[0,0,1]
	v_pk_fma_f32 v[2:3], v[4:5], v[56:57], v[2:3] op_sel_hi:[1,0,1]
	ds_load_2addr_b64 v[4:7], v148 offset0:2 offset1:3
	v_dual_mov_b32 v56, v0 :: v_dual_mov_b32 v57, v3
	s_wait_dscnt 0x0
	v_pk_mul_f32 v[8:9], v[4:5], v[2:3] op_sel:[0,1]
	s_delay_alu instid0(VALU_DEP_1) | instskip(SKIP_1) | instid1(VALU_DEP_1)
	v_pk_fma_f32 v[10:11], v[4:5], v[0:1], v[8:9] op_sel:[0,0,1] op_sel_hi:[1,1,0] neg_lo:[0,0,1] neg_hi:[0,0,1]
	v_pk_fma_f32 v[4:5], v[4:5], v[0:1], v[8:9] op_sel:[0,0,1] op_sel_hi:[1,0,0]
	v_mov_b32_e32 v11, v5
	v_pk_mul_f32 v[4:5], v[6:7], v[2:3] op_sel:[0,1]
	s_delay_alu instid0(VALU_DEP_1) | instskip(SKIP_1) | instid1(VALU_DEP_1)
	v_pk_fma_f32 v[8:9], v[6:7], v[0:1], v[4:5] op_sel:[0,0,1] op_sel_hi:[1,1,0] neg_lo:[0,0,1] neg_hi:[0,0,1]
	v_pk_fma_f32 v[4:5], v[6:7], v[0:1], v[4:5] op_sel:[0,0,1] op_sel_hi:[1,0,0]
	v_mov_b32_e32 v9, v5
	ds_load_2addr_b64 v[4:7], v148 offset0:4 offset1:5
	v_pk_add_f32 v[46:47], v[46:47], v[10:11] neg_lo:[0,1] neg_hi:[0,1]
	v_pk_add_f32 v[44:45], v[44:45], v[8:9] neg_lo:[0,1] neg_hi:[0,1]
	s_wait_dscnt 0x0
	v_pk_mul_f32 v[8:9], v[4:5], v[2:3] op_sel:[0,1]
	s_delay_alu instid0(VALU_DEP_1) | instskip(SKIP_2) | instid1(VALU_DEP_2)
	v_pk_fma_f32 v[10:11], v[4:5], v[0:1], v[8:9] op_sel:[0,0,1] op_sel_hi:[1,1,0] neg_lo:[0,0,1] neg_hi:[0,0,1]
	v_pk_fma_f32 v[4:5], v[4:5], v[0:1], v[8:9] op_sel:[0,0,1] op_sel_hi:[1,0,0]
	v_dual_mul_f32 v8, v7, v3 :: v_dual_mov_b32 v4, v7
	v_dual_mov_b32 v11, v5 :: v_dual_mov_b32 v5, v6
	s_delay_alu instid0(VALU_DEP_2) | instskip(SKIP_1) | instid1(VALU_DEP_3)
	v_pk_fma_f32 v[8:9], v[6:7], v[56:57], v[8:9] op_sel_hi:[1,1,0] neg_lo:[0,0,1] neg_hi:[0,0,1]
	v_mul_f32_e32 v6, v7, v0
	v_pk_add_f32 v[26:27], v[26:27], v[10:11] neg_lo:[0,1] neg_hi:[0,1]
	s_delay_alu instid0(VALU_DEP_2) | instskip(NEXT) | instid1(VALU_DEP_1)
	v_pk_fma_f32 v[4:5], v[4:5], v[56:57], v[6:7] op_sel_hi:[1,1,0]
	v_mov_b32_e32 v9, v5
	ds_load_2addr_b64 v[4:7], v148 offset0:6 offset1:7
	v_pk_add_f32 v[22:23], v[22:23], v[8:9] neg_lo:[0,1] neg_hi:[0,1]
	s_wait_dscnt 0x0
	v_pk_mul_f32 v[8:9], v[4:5], v[2:3] op_sel:[0,1]
	s_delay_alu instid0(VALU_DEP_1) | instskip(SKIP_1) | instid1(VALU_DEP_1)
	v_pk_fma_f32 v[10:11], v[4:5], v[0:1], v[8:9] op_sel:[0,0,1] op_sel_hi:[1,1,0] neg_lo:[0,0,1] neg_hi:[0,0,1]
	v_pk_fma_f32 v[4:5], v[4:5], v[0:1], v[8:9] op_sel:[0,0,1] op_sel_hi:[1,0,0]
	v_mov_b32_e32 v11, v5
	v_pk_mul_f32 v[4:5], v[6:7], v[2:3] op_sel:[0,1]
	s_delay_alu instid0(VALU_DEP_1) | instskip(SKIP_1) | instid1(VALU_DEP_1)
	v_pk_fma_f32 v[8:9], v[6:7], v[0:1], v[4:5] op_sel:[0,0,1] op_sel_hi:[1,1,0] neg_lo:[0,0,1] neg_hi:[0,0,1]
	v_pk_fma_f32 v[4:5], v[6:7], v[0:1], v[4:5] op_sel:[0,0,1] op_sel_hi:[1,0,0]
	v_mov_b32_e32 v9, v5
	ds_load_2addr_b64 v[4:7], v148 offset0:8 offset1:9
	v_pk_add_f32 v[24:25], v[24:25], v[10:11] neg_lo:[0,1] neg_hi:[0,1]
	v_pk_add_f32 v[20:21], v[20:21], v[8:9] neg_lo:[0,1] neg_hi:[0,1]
	s_wait_dscnt 0x0
	v_pk_mul_f32 v[8:9], v[4:5], v[2:3] op_sel:[0,1]
	s_delay_alu instid0(VALU_DEP_1) | instskip(SKIP_1) | instid1(VALU_DEP_1)
	v_pk_fma_f32 v[10:11], v[4:5], v[0:1], v[8:9] op_sel:[0,0,1] op_sel_hi:[1,1,0] neg_lo:[0,0,1] neg_hi:[0,0,1]
	v_pk_fma_f32 v[4:5], v[4:5], v[0:1], v[8:9] op_sel:[0,0,1] op_sel_hi:[1,0,0]
	v_mov_b32_e32 v11, v5
	v_pk_mul_f32 v[4:5], v[6:7], v[2:3] op_sel:[0,1]
	s_delay_alu instid0(VALU_DEP_1) | instskip(SKIP_1) | instid1(VALU_DEP_1)
	v_pk_fma_f32 v[8:9], v[6:7], v[0:1], v[4:5] op_sel:[0,0,1] op_sel_hi:[1,1,0] neg_lo:[0,0,1] neg_hi:[0,0,1]
	v_pk_fma_f32 v[4:5], v[6:7], v[0:1], v[4:5] op_sel:[0,0,1] op_sel_hi:[1,0,0]
	v_mov_b32_e32 v9, v5
	ds_load_2addr_b64 v[4:7], v148 offset0:10 offset1:11
	v_pk_add_f32 v[40:41], v[40:41], v[10:11] neg_lo:[0,1] neg_hi:[0,1]
	v_pk_add_f32 v[36:37], v[36:37], v[8:9] neg_lo:[0,1] neg_hi:[0,1]
	s_wait_dscnt 0x0
	v_dual_mul_f32 v8, v5, v3 :: v_dual_mul_f32 v10, v5, v0
	s_delay_alu instid0(VALU_DEP_1) | instskip(NEXT) | instid1(VALU_DEP_2)
	v_pk_fma_f32 v[8:9], v[4:5], v[56:57], v[8:9] op_sel_hi:[1,1,0] neg_lo:[0,0,1] neg_hi:[0,0,1]
	v_pk_fma_f32 v[4:5], v[4:5], v[56:57], v[10:11] op_sel:[1,0,0] op_sel_hi:[0,1,0]
	s_delay_alu instid0(VALU_DEP_1) | instskip(SKIP_1) | instid1(VALU_DEP_2)
	v_mov_b32_e32 v9, v5
	v_pk_mul_f32 v[4:5], v[6:7], v[2:3] op_sel:[0,1]
	v_pk_add_f32 v[38:39], v[38:39], v[8:9] neg_lo:[0,1] neg_hi:[0,1]
	s_delay_alu instid0(VALU_DEP_2) | instskip(SKIP_1) | instid1(VALU_DEP_1)
	v_pk_fma_f32 v[8:9], v[6:7], v[0:1], v[4:5] op_sel:[0,0,1] op_sel_hi:[1,1,0] neg_lo:[0,0,1] neg_hi:[0,0,1]
	v_pk_fma_f32 v[4:5], v[6:7], v[0:1], v[4:5] op_sel:[0,0,1] op_sel_hi:[1,0,0]
	v_mov_b32_e32 v9, v5
	ds_load_2addr_b64 v[4:7], v148 offset0:12 offset1:13
	v_pk_add_f32 v[34:35], v[34:35], v[8:9] neg_lo:[0,1] neg_hi:[0,1]
	s_wait_dscnt 0x0
	v_pk_mul_f32 v[8:9], v[4:5], v[2:3] op_sel:[0,1]
	s_delay_alu instid0(VALU_DEP_1) | instskip(SKIP_1) | instid1(VALU_DEP_1)
	v_pk_fma_f32 v[10:11], v[4:5], v[0:1], v[8:9] op_sel:[0,0,1] op_sel_hi:[1,1,0] neg_lo:[0,0,1] neg_hi:[0,0,1]
	v_pk_fma_f32 v[4:5], v[4:5], v[0:1], v[8:9] op_sel:[0,0,1] op_sel_hi:[1,0,0]
	v_mov_b32_e32 v11, v5
	v_pk_mul_f32 v[4:5], v[6:7], v[2:3] op_sel:[0,1]
	s_delay_alu instid0(VALU_DEP_2) | instskip(NEXT) | instid1(VALU_DEP_2)
	v_pk_add_f32 v[64:65], v[64:65], v[10:11] neg_lo:[0,1] neg_hi:[0,1]
	v_pk_fma_f32 v[8:9], v[6:7], v[0:1], v[4:5] op_sel:[0,0,1] op_sel_hi:[1,1,0] neg_lo:[0,0,1] neg_hi:[0,0,1]
	v_pk_fma_f32 v[4:5], v[6:7], v[0:1], v[4:5] op_sel:[0,0,1] op_sel_hi:[1,0,0]
	s_delay_alu instid0(VALU_DEP_1) | instskip(SKIP_4) | instid1(VALU_DEP_1)
	v_mov_b32_e32 v9, v5
	ds_load_2addr_b64 v[4:7], v148 offset0:14 offset1:15
	v_pk_add_f32 v[60:61], v[60:61], v[8:9] neg_lo:[0,1] neg_hi:[0,1]
	s_wait_dscnt 0x0
	v_pk_mul_f32 v[8:9], v[4:5], v[2:3] op_sel:[0,1]
	v_pk_fma_f32 v[10:11], v[4:5], v[0:1], v[8:9] op_sel:[0,0,1] op_sel_hi:[1,1,0] neg_lo:[0,0,1] neg_hi:[0,0,1]
	v_pk_fma_f32 v[4:5], v[4:5], v[0:1], v[8:9] op_sel:[0,0,1] op_sel_hi:[1,0,0]
	v_dual_mul_f32 v8, v7, v3 :: v_dual_mov_b32 v4, v7
	s_delay_alu instid0(VALU_DEP_2) | instskip(NEXT) | instid1(VALU_DEP_2)
	v_dual_mov_b32 v11, v5 :: v_dual_mov_b32 v5, v6
	v_pk_fma_f32 v[8:9], v[6:7], v[56:57], v[8:9] op_sel_hi:[1,1,0] neg_lo:[0,0,1] neg_hi:[0,0,1]
	v_mul_f32_e32 v6, v7, v0
	s_delay_alu instid0(VALU_DEP_3) | instskip(NEXT) | instid1(VALU_DEP_2)
	v_pk_add_f32 v[62:63], v[62:63], v[10:11] neg_lo:[0,1] neg_hi:[0,1]
	v_pk_fma_f32 v[4:5], v[4:5], v[56:57], v[6:7] op_sel_hi:[1,1,0]
	s_delay_alu instid0(VALU_DEP_1) | instskip(SKIP_4) | instid1(VALU_DEP_1)
	v_mov_b32_e32 v9, v5
	ds_load_2addr_b64 v[4:7], v148 offset0:16 offset1:17
	v_pk_add_f32 v[58:59], v[58:59], v[8:9] neg_lo:[0,1] neg_hi:[0,1]
	s_wait_dscnt 0x0
	v_pk_mul_f32 v[8:9], v[4:5], v[2:3] op_sel:[0,1]
	v_pk_fma_f32 v[10:11], v[4:5], v[0:1], v[8:9] op_sel:[0,0,1] op_sel_hi:[1,1,0] neg_lo:[0,0,1] neg_hi:[0,0,1]
	v_pk_fma_f32 v[4:5], v[4:5], v[0:1], v[8:9] op_sel:[0,0,1] op_sel_hi:[1,0,0]
	s_delay_alu instid0(VALU_DEP_1) | instskip(SKIP_1) | instid1(VALU_DEP_1)
	v_mov_b32_e32 v11, v5
	v_pk_mul_f32 v[4:5], v[6:7], v[2:3] op_sel:[0,1]
	v_pk_fma_f32 v[8:9], v[6:7], v[0:1], v[4:5] op_sel:[0,0,1] op_sel_hi:[1,1,0] neg_lo:[0,0,1] neg_hi:[0,0,1]
	v_pk_fma_f32 v[4:5], v[6:7], v[0:1], v[4:5] op_sel:[0,0,1] op_sel_hi:[1,0,0]
	s_delay_alu instid0(VALU_DEP_1)
	v_mov_b32_e32 v9, v5
	ds_load_2addr_b64 v[4:7], v148 offset0:18 offset1:19
	v_pk_add_f32 v[80:81], v[80:81], v[10:11] neg_lo:[0,1] neg_hi:[0,1]
	v_pk_add_f32 v[76:77], v[76:77], v[8:9] neg_lo:[0,1] neg_hi:[0,1]
	s_wait_dscnt 0x0
	v_pk_mul_f32 v[8:9], v[4:5], v[2:3] op_sel:[0,1]
	s_delay_alu instid0(VALU_DEP_1) | instskip(SKIP_1) | instid1(VALU_DEP_1)
	v_pk_fma_f32 v[10:11], v[4:5], v[0:1], v[8:9] op_sel:[0,0,1] op_sel_hi:[1,1,0] neg_lo:[0,0,1] neg_hi:[0,0,1]
	v_pk_fma_f32 v[4:5], v[4:5], v[0:1], v[8:9] op_sel:[0,0,1] op_sel_hi:[1,0,0]
	v_mov_b32_e32 v11, v5
	v_pk_mul_f32 v[4:5], v[6:7], v[2:3] op_sel:[0,1]
	s_delay_alu instid0(VALU_DEP_1) | instskip(SKIP_1) | instid1(VALU_DEP_1)
	v_pk_fma_f32 v[8:9], v[6:7], v[0:1], v[4:5] op_sel:[0,0,1] op_sel_hi:[1,1,0] neg_lo:[0,0,1] neg_hi:[0,0,1]
	v_pk_fma_f32 v[4:5], v[6:7], v[0:1], v[4:5] op_sel:[0,0,1] op_sel_hi:[1,0,0]
	v_mov_b32_e32 v9, v5
	ds_load_2addr_b64 v[4:7], v148 offset0:20 offset1:21
	v_pk_add_f32 v[78:79], v[78:79], v[10:11] neg_lo:[0,1] neg_hi:[0,1]
	v_pk_add_f32 v[74:75], v[74:75], v[8:9] neg_lo:[0,1] neg_hi:[0,1]
	s_wait_dscnt 0x0
	v_dual_mul_f32 v8, v5, v3 :: v_dual_mul_f32 v10, v5, v0
	s_delay_alu instid0(VALU_DEP_1) | instskip(NEXT) | instid1(VALU_DEP_2)
	v_pk_fma_f32 v[8:9], v[4:5], v[56:57], v[8:9] op_sel_hi:[1,1,0] neg_lo:[0,0,1] neg_hi:[0,0,1]
	v_pk_fma_f32 v[4:5], v[4:5], v[56:57], v[10:11] op_sel:[1,0,0] op_sel_hi:[0,1,0]
	s_delay_alu instid0(VALU_DEP_1) | instskip(SKIP_1) | instid1(VALU_DEP_2)
	v_mov_b32_e32 v9, v5
	v_pk_mul_f32 v[4:5], v[6:7], v[2:3] op_sel:[0,1]
	v_pk_add_f32 v[96:97], v[96:97], v[8:9] neg_lo:[0,1] neg_hi:[0,1]
	s_delay_alu instid0(VALU_DEP_2) | instskip(SKIP_1) | instid1(VALU_DEP_1)
	v_pk_fma_f32 v[8:9], v[6:7], v[0:1], v[4:5] op_sel:[0,0,1] op_sel_hi:[1,1,0] neg_lo:[0,0,1] neg_hi:[0,0,1]
	v_pk_fma_f32 v[4:5], v[6:7], v[0:1], v[4:5] op_sel:[0,0,1] op_sel_hi:[1,0,0]
	v_mov_b32_e32 v9, v5
	ds_load_2addr_b64 v[4:7], v148 offset0:22 offset1:23
	v_pk_add_f32 v[92:93], v[92:93], v[8:9] neg_lo:[0,1] neg_hi:[0,1]
	s_wait_dscnt 0x0
	v_pk_mul_f32 v[8:9], v[4:5], v[2:3] op_sel:[0,1]
	s_delay_alu instid0(VALU_DEP_1) | instskip(SKIP_1) | instid1(VALU_DEP_1)
	v_pk_fma_f32 v[10:11], v[4:5], v[0:1], v[8:9] op_sel:[0,0,1] op_sel_hi:[1,1,0] neg_lo:[0,0,1] neg_hi:[0,0,1]
	v_pk_fma_f32 v[4:5], v[4:5], v[0:1], v[8:9] op_sel:[0,0,1] op_sel_hi:[1,0,0]
	v_mov_b32_e32 v11, v5
	v_pk_mul_f32 v[4:5], v[6:7], v[2:3] op_sel:[0,1]
	s_delay_alu instid0(VALU_DEP_2) | instskip(NEXT) | instid1(VALU_DEP_2)
	v_pk_add_f32 v[94:95], v[94:95], v[10:11] neg_lo:[0,1] neg_hi:[0,1]
	v_pk_fma_f32 v[8:9], v[6:7], v[0:1], v[4:5] op_sel:[0,0,1] op_sel_hi:[1,1,0] neg_lo:[0,0,1] neg_hi:[0,0,1]
	v_pk_fma_f32 v[4:5], v[6:7], v[0:1], v[4:5] op_sel:[0,0,1] op_sel_hi:[1,0,0]
	s_delay_alu instid0(VALU_DEP_1) | instskip(SKIP_4) | instid1(VALU_DEP_1)
	v_mov_b32_e32 v9, v5
	ds_load_2addr_b64 v[4:7], v148 offset0:24 offset1:25
	v_pk_add_f32 v[90:91], v[90:91], v[8:9] neg_lo:[0,1] neg_hi:[0,1]
	s_wait_dscnt 0x0
	v_pk_mul_f32 v[8:9], v[4:5], v[2:3] op_sel:[0,1]
	v_pk_fma_f32 v[10:11], v[4:5], v[0:1], v[8:9] op_sel:[0,0,1] op_sel_hi:[1,1,0] neg_lo:[0,0,1] neg_hi:[0,0,1]
	v_pk_fma_f32 v[4:5], v[4:5], v[0:1], v[8:9] op_sel:[0,0,1] op_sel_hi:[1,0,0]
	v_dual_mul_f32 v8, v7, v3 :: v_dual_mov_b32 v4, v7
	s_delay_alu instid0(VALU_DEP_2) | instskip(NEXT) | instid1(VALU_DEP_2)
	v_dual_mov_b32 v11, v5 :: v_dual_mov_b32 v5, v6
	v_pk_fma_f32 v[8:9], v[6:7], v[56:57], v[8:9] op_sel_hi:[1,1,0] neg_lo:[0,0,1] neg_hi:[0,0,1]
	v_mul_f32_e32 v6, v7, v0
	s_delay_alu instid0(VALU_DEP_3) | instskip(NEXT) | instid1(VALU_DEP_2)
	v_pk_add_f32 v[112:113], v[112:113], v[10:11] neg_lo:[0,1] neg_hi:[0,1]
	v_pk_fma_f32 v[4:5], v[4:5], v[56:57], v[6:7] op_sel_hi:[1,1,0]
	s_delay_alu instid0(VALU_DEP_1) | instskip(SKIP_4) | instid1(VALU_DEP_1)
	v_mov_b32_e32 v9, v5
	ds_load_2addr_b64 v[4:7], v148 offset0:26 offset1:27
	v_pk_add_f32 v[108:109], v[108:109], v[8:9] neg_lo:[0,1] neg_hi:[0,1]
	s_wait_dscnt 0x0
	v_pk_mul_f32 v[8:9], v[4:5], v[2:3] op_sel:[0,1]
	v_pk_fma_f32 v[10:11], v[4:5], v[0:1], v[8:9] op_sel:[0,0,1] op_sel_hi:[1,1,0] neg_lo:[0,0,1] neg_hi:[0,0,1]
	v_pk_fma_f32 v[4:5], v[4:5], v[0:1], v[8:9] op_sel:[0,0,1] op_sel_hi:[1,0,0]
	s_delay_alu instid0(VALU_DEP_1) | instskip(SKIP_1) | instid1(VALU_DEP_1)
	v_mov_b32_e32 v11, v5
	v_pk_mul_f32 v[4:5], v[6:7], v[2:3] op_sel:[0,1]
	v_pk_fma_f32 v[8:9], v[6:7], v[0:1], v[4:5] op_sel:[0,0,1] op_sel_hi:[1,1,0] neg_lo:[0,0,1] neg_hi:[0,0,1]
	v_pk_fma_f32 v[4:5], v[6:7], v[0:1], v[4:5] op_sel:[0,0,1] op_sel_hi:[1,0,0]
	s_delay_alu instid0(VALU_DEP_1)
	v_mov_b32_e32 v9, v5
	ds_load_2addr_b64 v[4:7], v148 offset0:28 offset1:29
	v_pk_add_f32 v[110:111], v[110:111], v[10:11] neg_lo:[0,1] neg_hi:[0,1]
	v_pk_add_f32 v[106:107], v[106:107], v[8:9] neg_lo:[0,1] neg_hi:[0,1]
	s_wait_dscnt 0x0
	v_pk_mul_f32 v[8:9], v[4:5], v[2:3] op_sel:[0,1]
	s_delay_alu instid0(VALU_DEP_1) | instskip(SKIP_1) | instid1(VALU_DEP_1)
	v_pk_fma_f32 v[10:11], v[4:5], v[0:1], v[8:9] op_sel:[0,0,1] op_sel_hi:[1,1,0] neg_lo:[0,0,1] neg_hi:[0,0,1]
	v_pk_fma_f32 v[4:5], v[4:5], v[0:1], v[8:9] op_sel:[0,0,1] op_sel_hi:[1,0,0]
	v_mov_b32_e32 v11, v5
	v_pk_mul_f32 v[4:5], v[6:7], v[2:3] op_sel:[0,1]
	s_delay_alu instid0(VALU_DEP_1) | instskip(SKIP_1) | instid1(VALU_DEP_1)
	v_pk_fma_f32 v[8:9], v[6:7], v[0:1], v[4:5] op_sel:[0,0,1] op_sel_hi:[1,1,0] neg_lo:[0,0,1] neg_hi:[0,0,1]
	v_pk_fma_f32 v[4:5], v[6:7], v[0:1], v[4:5] op_sel:[0,0,1] op_sel_hi:[1,0,0]
	v_mov_b32_e32 v9, v5
	ds_load_2addr_b64 v[4:7], v148 offset0:30 offset1:31
	v_pk_add_f32 v[130:131], v[130:131], v[10:11] neg_lo:[0,1] neg_hi:[0,1]
	v_pk_add_f32 v[126:127], v[126:127], v[8:9] neg_lo:[0,1] neg_hi:[0,1]
	s_wait_dscnt 0x0
	v_dual_mul_f32 v8, v5, v3 :: v_dual_mul_f32 v10, v5, v0
	s_delay_alu instid0(VALU_DEP_1) | instskip(NEXT) | instid1(VALU_DEP_2)
	v_pk_fma_f32 v[8:9], v[4:5], v[56:57], v[8:9] op_sel_hi:[1,1,0] neg_lo:[0,0,1] neg_hi:[0,0,1]
	v_pk_fma_f32 v[4:5], v[4:5], v[56:57], v[10:11] op_sel:[1,0,0] op_sel_hi:[0,1,0]
	s_delay_alu instid0(VALU_DEP_1) | instskip(SKIP_1) | instid1(VALU_DEP_2)
	v_mov_b32_e32 v9, v5
	v_pk_mul_f32 v[4:5], v[6:7], v[2:3] op_sel:[0,1]
	v_pk_add_f32 v[128:129], v[128:129], v[8:9] neg_lo:[0,1] neg_hi:[0,1]
	s_delay_alu instid0(VALU_DEP_2) | instskip(SKIP_1) | instid1(VALU_DEP_1)
	v_pk_fma_f32 v[8:9], v[6:7], v[0:1], v[4:5] op_sel:[0,0,1] op_sel_hi:[1,1,0] neg_lo:[0,0,1] neg_hi:[0,0,1]
	v_pk_fma_f32 v[4:5], v[6:7], v[0:1], v[4:5] op_sel:[0,0,1] op_sel_hi:[1,0,0]
	v_mov_b32_e32 v9, v5
	ds_load_2addr_b64 v[4:7], v148 offset0:32 offset1:33
	v_pk_add_f32 v[124:125], v[124:125], v[8:9] neg_lo:[0,1] neg_hi:[0,1]
	s_wait_dscnt 0x0
	v_pk_mul_f32 v[8:9], v[4:5], v[2:3] op_sel:[0,1]
	s_delay_alu instid0(VALU_DEP_1) | instskip(SKIP_1) | instid1(VALU_DEP_1)
	v_pk_fma_f32 v[10:11], v[4:5], v[0:1], v[8:9] op_sel:[0,0,1] op_sel_hi:[1,1,0] neg_lo:[0,0,1] neg_hi:[0,0,1]
	v_pk_fma_f32 v[4:5], v[4:5], v[0:1], v[8:9] op_sel:[0,0,1] op_sel_hi:[1,0,0]
	v_mov_b32_e32 v11, v5
	v_pk_mul_f32 v[4:5], v[6:7], v[2:3] op_sel:[0,1]
	s_delay_alu instid0(VALU_DEP_2) | instskip(NEXT) | instid1(VALU_DEP_2)
	v_pk_add_f32 v[146:147], v[146:147], v[10:11] neg_lo:[0,1] neg_hi:[0,1]
	v_pk_fma_f32 v[8:9], v[6:7], v[0:1], v[4:5] op_sel:[0,0,1] op_sel_hi:[1,1,0] neg_lo:[0,0,1] neg_hi:[0,0,1]
	v_pk_fma_f32 v[4:5], v[6:7], v[0:1], v[4:5] op_sel:[0,0,1] op_sel_hi:[1,0,0]
	s_delay_alu instid0(VALU_DEP_1) | instskip(SKIP_4) | instid1(VALU_DEP_1)
	v_mov_b32_e32 v9, v5
	ds_load_2addr_b64 v[4:7], v148 offset0:34 offset1:35
	v_pk_add_f32 v[142:143], v[142:143], v[8:9] neg_lo:[0,1] neg_hi:[0,1]
	s_wait_dscnt 0x0
	v_pk_mul_f32 v[8:9], v[4:5], v[2:3] op_sel:[0,1]
	v_pk_fma_f32 v[10:11], v[4:5], v[0:1], v[8:9] op_sel:[0,0,1] op_sel_hi:[1,1,0] neg_lo:[0,0,1] neg_hi:[0,0,1]
	v_pk_fma_f32 v[4:5], v[4:5], v[0:1], v[8:9] op_sel:[0,0,1] op_sel_hi:[1,0,0]
	v_dual_mul_f32 v8, v7, v3 :: v_dual_mov_b32 v4, v7
	s_delay_alu instid0(VALU_DEP_2) | instskip(NEXT) | instid1(VALU_DEP_2)
	v_dual_mov_b32 v11, v5 :: v_dual_mov_b32 v5, v6
	v_pk_fma_f32 v[8:9], v[6:7], v[56:57], v[8:9] op_sel_hi:[1,1,0] neg_lo:[0,0,1] neg_hi:[0,0,1]
	v_mul_f32_e32 v6, v7, v0
	s_delay_alu instid0(VALU_DEP_3) | instskip(NEXT) | instid1(VALU_DEP_2)
	v_pk_add_f32 v[144:145], v[144:145], v[10:11] neg_lo:[0,1] neg_hi:[0,1]
	v_pk_fma_f32 v[4:5], v[4:5], v[56:57], v[6:7] op_sel_hi:[1,1,0]
	s_delay_alu instid0(VALU_DEP_1) | instskip(SKIP_4) | instid1(VALU_DEP_1)
	v_mov_b32_e32 v9, v5
	ds_load_2addr_b64 v[4:7], v148 offset0:36 offset1:37
	v_pk_add_f32 v[140:141], v[140:141], v[8:9] neg_lo:[0,1] neg_hi:[0,1]
	s_wait_dscnt 0x0
	v_pk_mul_f32 v[8:9], v[4:5], v[2:3] op_sel:[0,1]
	v_pk_fma_f32 v[10:11], v[4:5], v[0:1], v[8:9] op_sel:[0,0,1] op_sel_hi:[1,1,0] neg_lo:[0,0,1] neg_hi:[0,0,1]
	v_pk_fma_f32 v[4:5], v[4:5], v[0:1], v[8:9] op_sel:[0,0,1] op_sel_hi:[1,0,0]
	s_delay_alu instid0(VALU_DEP_1) | instskip(SKIP_1) | instid1(VALU_DEP_1)
	v_mov_b32_e32 v11, v5
	v_pk_mul_f32 v[4:5], v[6:7], v[2:3] op_sel:[0,1]
	v_pk_fma_f32 v[8:9], v[6:7], v[0:1], v[4:5] op_sel:[0,0,1] op_sel_hi:[1,1,0] neg_lo:[0,0,1] neg_hi:[0,0,1]
	v_pk_fma_f32 v[4:5], v[6:7], v[0:1], v[4:5] op_sel:[0,0,1] op_sel_hi:[1,0,0]
	s_delay_alu instid0(VALU_DEP_1)
	v_mov_b32_e32 v9, v5
	ds_load_2addr_b64 v[4:7], v148 offset0:38 offset1:39
	v_pk_add_f32 v[162:163], v[162:163], v[10:11] neg_lo:[0,1] neg_hi:[0,1]
	v_pk_add_f32 v[158:159], v[158:159], v[8:9] neg_lo:[0,1] neg_hi:[0,1]
	s_wait_dscnt 0x0
	v_pk_mul_f32 v[8:9], v[4:5], v[2:3] op_sel:[0,1]
	s_delay_alu instid0(VALU_DEP_1) | instskip(SKIP_1) | instid1(VALU_DEP_1)
	v_pk_fma_f32 v[10:11], v[4:5], v[0:1], v[8:9] op_sel:[0,0,1] op_sel_hi:[1,1,0] neg_lo:[0,0,1] neg_hi:[0,0,1]
	v_pk_fma_f32 v[4:5], v[4:5], v[0:1], v[8:9] op_sel:[0,0,1] op_sel_hi:[1,0,0]
	v_mov_b32_e32 v11, v5
	v_pk_mul_f32 v[4:5], v[6:7], v[2:3] op_sel:[0,1]
	s_delay_alu instid0(VALU_DEP_1) | instskip(SKIP_1) | instid1(VALU_DEP_1)
	v_pk_fma_f32 v[8:9], v[6:7], v[0:1], v[4:5] op_sel:[0,0,1] op_sel_hi:[1,1,0] neg_lo:[0,0,1] neg_hi:[0,0,1]
	v_pk_fma_f32 v[4:5], v[6:7], v[0:1], v[4:5] op_sel:[0,0,1] op_sel_hi:[1,0,0]
	v_mov_b32_e32 v9, v5
	ds_load_2addr_b64 v[4:7], v148 offset0:40 offset1:41
	v_pk_add_f32 v[160:161], v[160:161], v[10:11] neg_lo:[0,1] neg_hi:[0,1]
	v_pk_add_f32 v[156:157], v[156:157], v[8:9] neg_lo:[0,1] neg_hi:[0,1]
	s_wait_dscnt 0x0
	v_dual_mul_f32 v8, v5, v3 :: v_dual_mul_f32 v10, v5, v0
	s_delay_alu instid0(VALU_DEP_1) | instskip(NEXT) | instid1(VALU_DEP_2)
	v_pk_fma_f32 v[8:9], v[4:5], v[56:57], v[8:9] op_sel_hi:[1,1,0] neg_lo:[0,0,1] neg_hi:[0,0,1]
	v_pk_fma_f32 v[4:5], v[4:5], v[56:57], v[10:11] op_sel:[1,0,0] op_sel_hi:[0,1,0]
	s_delay_alu instid0(VALU_DEP_1) | instskip(SKIP_1) | instid1(VALU_DEP_2)
	v_mov_b32_e32 v9, v5
	v_pk_mul_f32 v[4:5], v[6:7], v[2:3] op_sel:[0,1]
	v_pk_add_f32 v[178:179], v[178:179], v[8:9] neg_lo:[0,1] neg_hi:[0,1]
	s_delay_alu instid0(VALU_DEP_2) | instskip(SKIP_1) | instid1(VALU_DEP_1)
	v_pk_fma_f32 v[8:9], v[6:7], v[0:1], v[4:5] op_sel:[0,0,1] op_sel_hi:[1,1,0] neg_lo:[0,0,1] neg_hi:[0,0,1]
	v_pk_fma_f32 v[4:5], v[6:7], v[0:1], v[4:5] op_sel:[0,0,1] op_sel_hi:[1,0,0]
	v_mov_b32_e32 v9, v5
	ds_load_2addr_b64 v[4:7], v148 offset0:42 offset1:43
	v_pk_add_f32 v[174:175], v[174:175], v[8:9] neg_lo:[0,1] neg_hi:[0,1]
	s_wait_dscnt 0x0
	v_pk_mul_f32 v[8:9], v[4:5], v[2:3] op_sel:[0,1]
	s_delay_alu instid0(VALU_DEP_1) | instskip(SKIP_1) | instid1(VALU_DEP_1)
	v_pk_fma_f32 v[10:11], v[4:5], v[0:1], v[8:9] op_sel:[0,0,1] op_sel_hi:[1,1,0] neg_lo:[0,0,1] neg_hi:[0,0,1]
	v_pk_fma_f32 v[4:5], v[4:5], v[0:1], v[8:9] op_sel:[0,0,1] op_sel_hi:[1,0,0]
	v_mov_b32_e32 v11, v5
	v_pk_mul_f32 v[4:5], v[6:7], v[2:3] op_sel:[0,1]
	s_delay_alu instid0(VALU_DEP_2) | instskip(NEXT) | instid1(VALU_DEP_2)
	v_pk_add_f32 v[176:177], v[176:177], v[10:11] neg_lo:[0,1] neg_hi:[0,1]
	v_pk_fma_f32 v[8:9], v[6:7], v[0:1], v[4:5] op_sel:[0,0,1] op_sel_hi:[1,1,0] neg_lo:[0,0,1] neg_hi:[0,0,1]
	v_pk_fma_f32 v[4:5], v[6:7], v[0:1], v[4:5] op_sel:[0,0,1] op_sel_hi:[1,0,0]
	s_delay_alu instid0(VALU_DEP_1) | instskip(SKIP_4) | instid1(VALU_DEP_1)
	v_mov_b32_e32 v9, v5
	ds_load_2addr_b64 v[4:7], v148 offset0:44 offset1:45
	v_pk_add_f32 v[172:173], v[172:173], v[8:9] neg_lo:[0,1] neg_hi:[0,1]
	s_wait_dscnt 0x0
	v_pk_mul_f32 v[8:9], v[4:5], v[2:3] op_sel:[0,1]
	v_pk_fma_f32 v[10:11], v[4:5], v[0:1], v[8:9] op_sel:[0,0,1] op_sel_hi:[1,1,0] neg_lo:[0,0,1] neg_hi:[0,0,1]
	v_pk_fma_f32 v[4:5], v[4:5], v[0:1], v[8:9] op_sel:[0,0,1] op_sel_hi:[1,0,0]
	v_dual_mul_f32 v8, v7, v3 :: v_dual_mov_b32 v4, v7
	s_delay_alu instid0(VALU_DEP_2) | instskip(NEXT) | instid1(VALU_DEP_2)
	v_dual_mov_b32 v11, v5 :: v_dual_mov_b32 v5, v6
	v_pk_fma_f32 v[8:9], v[6:7], v[56:57], v[8:9] op_sel_hi:[1,1,0] neg_lo:[0,0,1] neg_hi:[0,0,1]
	v_mul_f32_e32 v6, v7, v0
	s_delay_alu instid0(VALU_DEP_3) | instskip(NEXT) | instid1(VALU_DEP_2)
	v_pk_add_f32 v[196:197], v[196:197], v[10:11] neg_lo:[0,1] neg_hi:[0,1]
	v_pk_fma_f32 v[4:5], v[4:5], v[56:57], v[6:7] op_sel_hi:[1,1,0]
	s_delay_alu instid0(VALU_DEP_1) | instskip(SKIP_4) | instid1(VALU_DEP_1)
	v_mov_b32_e32 v9, v5
	ds_load_2addr_b64 v[4:7], v148 offset0:46 offset1:47
	v_pk_add_f32 v[192:193], v[192:193], v[8:9] neg_lo:[0,1] neg_hi:[0,1]
	s_wait_dscnt 0x0
	v_pk_mul_f32 v[8:9], v[4:5], v[2:3] op_sel:[0,1]
	v_pk_fma_f32 v[10:11], v[4:5], v[0:1], v[8:9] op_sel:[0,0,1] op_sel_hi:[1,1,0] neg_lo:[0,0,1] neg_hi:[0,0,1]
	v_pk_fma_f32 v[4:5], v[4:5], v[0:1], v[8:9] op_sel:[0,0,1] op_sel_hi:[1,0,0]
	s_delay_alu instid0(VALU_DEP_1) | instskip(SKIP_1) | instid1(VALU_DEP_1)
	v_mov_b32_e32 v11, v5
	v_pk_mul_f32 v[4:5], v[6:7], v[2:3] op_sel:[0,1]
	v_pk_fma_f32 v[8:9], v[6:7], v[0:1], v[4:5] op_sel:[0,0,1] op_sel_hi:[1,1,0] neg_lo:[0,0,1] neg_hi:[0,0,1]
	v_pk_fma_f32 v[4:5], v[6:7], v[0:1], v[4:5] op_sel:[0,0,1] op_sel_hi:[1,0,0]
	s_delay_alu instid0(VALU_DEP_1)
	v_mov_b32_e32 v9, v5
	ds_load_2addr_b64 v[4:7], v148 offset0:48 offset1:49
	v_pk_add_f32 v[194:195], v[194:195], v[10:11] neg_lo:[0,1] neg_hi:[0,1]
	v_pk_add_f32 v[190:191], v[190:191], v[8:9] neg_lo:[0,1] neg_hi:[0,1]
	s_wait_dscnt 0x0
	v_pk_mul_f32 v[8:9], v[4:5], v[2:3] op_sel:[0,1]
	s_delay_alu instid0(VALU_DEP_1) | instskip(SKIP_1) | instid1(VALU_DEP_1)
	v_pk_fma_f32 v[10:11], v[4:5], v[0:1], v[8:9] op_sel:[0,0,1] op_sel_hi:[1,1,0] neg_lo:[0,0,1] neg_hi:[0,0,1]
	v_pk_fma_f32 v[4:5], v[4:5], v[0:1], v[8:9] op_sel:[0,0,1] op_sel_hi:[1,0,0]
	v_mov_b32_e32 v11, v5
	v_pk_mul_f32 v[4:5], v[6:7], v[2:3] op_sel:[0,1]
	s_delay_alu instid0(VALU_DEP_1) | instskip(SKIP_1) | instid1(VALU_DEP_1)
	v_pk_fma_f32 v[8:9], v[6:7], v[0:1], v[4:5] op_sel:[0,0,1] op_sel_hi:[1,1,0] neg_lo:[0,0,1] neg_hi:[0,0,1]
	v_pk_fma_f32 v[4:5], v[6:7], v[0:1], v[4:5] op_sel:[0,0,1] op_sel_hi:[1,0,0]
	v_mov_b32_e32 v9, v5
	ds_load_2addr_b64 v[4:7], v148 offset0:50 offset1:51
	v_pk_add_f32 v[212:213], v[212:213], v[10:11] neg_lo:[0,1] neg_hi:[0,1]
	v_pk_add_f32 v[208:209], v[208:209], v[8:9] neg_lo:[0,1] neg_hi:[0,1]
	s_wait_dscnt 0x0
	v_dual_mul_f32 v8, v5, v3 :: v_dual_mul_f32 v10, v5, v0
	s_delay_alu instid0(VALU_DEP_1) | instskip(NEXT) | instid1(VALU_DEP_2)
	v_pk_fma_f32 v[8:9], v[4:5], v[56:57], v[8:9] op_sel_hi:[1,1,0] neg_lo:[0,0,1] neg_hi:[0,0,1]
	v_pk_fma_f32 v[4:5], v[4:5], v[56:57], v[10:11] op_sel:[1,0,0] op_sel_hi:[0,1,0]
	s_delay_alu instid0(VALU_DEP_1) | instskip(SKIP_1) | instid1(VALU_DEP_2)
	v_mov_b32_e32 v9, v5
	v_pk_mul_f32 v[4:5], v[6:7], v[2:3] op_sel:[0,1]
	v_pk_add_f32 v[210:211], v[210:211], v[8:9] neg_lo:[0,1] neg_hi:[0,1]
	s_delay_alu instid0(VALU_DEP_2) | instskip(SKIP_1) | instid1(VALU_DEP_1)
	v_pk_fma_f32 v[8:9], v[6:7], v[0:1], v[4:5] op_sel:[0,0,1] op_sel_hi:[1,1,0] neg_lo:[0,0,1] neg_hi:[0,0,1]
	v_pk_fma_f32 v[4:5], v[6:7], v[0:1], v[4:5] op_sel:[0,0,1] op_sel_hi:[1,0,0]
	v_mov_b32_e32 v9, v5
	ds_load_2addr_b64 v[4:7], v148 offset0:52 offset1:53
	v_pk_add_f32 v[206:207], v[206:207], v[8:9] neg_lo:[0,1] neg_hi:[0,1]
	s_wait_dscnt 0x0
	v_pk_mul_f32 v[8:9], v[4:5], v[2:3] op_sel:[0,1]
	v_pk_mul_f32 v[2:3], v[6:7], v[2:3] op_sel:[0,1]
	s_delay_alu instid0(VALU_DEP_2) | instskip(SKIP_1) | instid1(VALU_DEP_1)
	v_pk_fma_f32 v[10:11], v[4:5], v[0:1], v[8:9] op_sel:[0,0,1] op_sel_hi:[1,1,0] neg_lo:[0,0,1] neg_hi:[0,0,1]
	v_pk_fma_f32 v[4:5], v[4:5], v[0:1], v[8:9] op_sel:[0,0,1] op_sel_hi:[1,0,0]
	v_mov_b32_e32 v11, v5
	s_delay_alu instid0(VALU_DEP_4) | instskip(SKIP_1) | instid1(VALU_DEP_3)
	v_pk_fma_f32 v[4:5], v[6:7], v[0:1], v[2:3] op_sel:[0,0,1] op_sel_hi:[1,1,0] neg_lo:[0,0,1] neg_hi:[0,0,1]
	v_pk_fma_f32 v[0:1], v[6:7], v[0:1], v[2:3] op_sel:[0,0,1] op_sel_hi:[1,0,0]
	v_pk_add_f32 v[214:215], v[214:215], v[10:11] neg_lo:[0,1] neg_hi:[0,1]
	s_delay_alu instid0(VALU_DEP_2) | instskip(NEXT) | instid1(VALU_DEP_1)
	v_mov_b32_e32 v5, v1
	v_pk_add_f32 v[216:217], v[216:217], v[4:5] neg_lo:[0,1] neg_hi:[0,1]
.LBB107_19:
	s_wait_xcnt 0x0
	s_or_b32 exec_lo, exec_lo, s1
	s_delay_alu instid0(SALU_CYCLE_1)
	s_mov_b32 s2, exec_lo
	s_wait_storecnt 0x0
	s_barrier_signal -1
	s_barrier_wait -1
	v_cmpx_eq_u32_e32 2, v138
	s_cbranch_execz .LBB107_26
; %bb.20:
	ds_store_b64 v139, v[46:47]
	ds_store_2addr_b64 v148, v[44:45], v[26:27] offset0:3 offset1:4
	ds_store_2addr_b64 v148, v[22:23], v[24:25] offset0:5 offset1:6
	;; [unrolled: 1-line block ×25, first 2 shown]
	ds_store_b64 v148, v[216:217] offset:424
	ds_load_b64 v[0:1], v139
	s_wait_dscnt 0x0
	v_cmp_neq_f32_e32 vcc_lo, 0, v0
	v_cmp_neq_f32_e64 s1, 0, v1
	s_or_b32 s1, vcc_lo, s1
	s_delay_alu instid0(SALU_CYCLE_1)
	s_and_b32 exec_lo, exec_lo, s1
	s_cbranch_execz .LBB107_26
; %bb.21:
	v_cmp_ngt_f32_e64 s1, |v0|, |v1|
                                        ; implicit-def: $vgpr2_vgpr3
	s_and_saveexec_b32 s4, s1
	s_delay_alu instid0(SALU_CYCLE_1)
	s_xor_b32 s1, exec_lo, s4
	s_cbranch_execz .LBB107_23
; %bb.22:
	v_div_scale_f32 v2, null, v1, v1, v0
	v_div_scale_f32 v5, vcc_lo, v0, v1, v0
	s_delay_alu instid0(VALU_DEP_2) | instskip(SKIP_1) | instid1(TRANS32_DEP_1)
	v_rcp_f32_e32 v3, v2
	v_nop
	v_fma_f32 v4, -v2, v3, 1.0
	s_delay_alu instid0(VALU_DEP_1) | instskip(NEXT) | instid1(VALU_DEP_1)
	v_fmac_f32_e32 v3, v4, v3
	v_mul_f32_e32 v4, v5, v3
	s_delay_alu instid0(VALU_DEP_1) | instskip(NEXT) | instid1(VALU_DEP_1)
	v_fma_f32 v6, -v2, v4, v5
	v_fmac_f32_e32 v4, v6, v3
	s_delay_alu instid0(VALU_DEP_1) | instskip(NEXT) | instid1(VALU_DEP_1)
	v_fma_f32 v2, -v2, v4, v5
	v_div_fmas_f32 v2, v2, v3, v4
	s_delay_alu instid0(VALU_DEP_1) | instskip(NEXT) | instid1(VALU_DEP_1)
	v_div_fixup_f32 v2, v2, v1, v0
	v_fmac_f32_e32 v1, v0, v2
	s_delay_alu instid0(VALU_DEP_1) | instskip(SKIP_1) | instid1(VALU_DEP_2)
	v_div_scale_f32 v0, null, v1, v1, 1.0
	v_div_scale_f32 v5, vcc_lo, 1.0, v1, 1.0
	v_rcp_f32_e32 v3, v0
	v_nop
	s_delay_alu instid0(TRANS32_DEP_1) | instskip(NEXT) | instid1(VALU_DEP_1)
	v_fma_f32 v4, -v0, v3, 1.0
	v_fmac_f32_e32 v3, v4, v3
	s_delay_alu instid0(VALU_DEP_1) | instskip(NEXT) | instid1(VALU_DEP_1)
	v_mul_f32_e32 v4, v5, v3
	v_fma_f32 v6, -v0, v4, v5
	s_delay_alu instid0(VALU_DEP_1) | instskip(NEXT) | instid1(VALU_DEP_1)
	v_fmac_f32_e32 v4, v6, v3
	v_fma_f32 v0, -v0, v4, v5
	s_delay_alu instid0(VALU_DEP_1) | instskip(NEXT) | instid1(VALU_DEP_1)
	v_div_fmas_f32 v0, v0, v3, v4
	v_div_fixup_f32 v0, v0, v1, 1.0
	s_delay_alu instid0(VALU_DEP_1)
	v_mul_f32_e32 v2, v2, v0
	v_xor_b32_e32 v3, 0x80000000, v0
                                        ; implicit-def: $vgpr0_vgpr1
.LBB107_23:
	s_and_not1_saveexec_b32 s1, s1
	s_cbranch_execz .LBB107_25
; %bb.24:
	v_div_scale_f32 v2, null, v0, v0, v1
	v_div_scale_f32 v5, vcc_lo, v1, v0, v1
	s_delay_alu instid0(VALU_DEP_2) | instskip(SKIP_1) | instid1(TRANS32_DEP_1)
	v_rcp_f32_e32 v3, v2
	v_nop
	v_fma_f32 v4, -v2, v3, 1.0
	s_delay_alu instid0(VALU_DEP_1) | instskip(NEXT) | instid1(VALU_DEP_1)
	v_fmac_f32_e32 v3, v4, v3
	v_mul_f32_e32 v4, v5, v3
	s_delay_alu instid0(VALU_DEP_1) | instskip(NEXT) | instid1(VALU_DEP_1)
	v_fma_f32 v6, -v2, v4, v5
	v_fmac_f32_e32 v4, v6, v3
	s_delay_alu instid0(VALU_DEP_1) | instskip(NEXT) | instid1(VALU_DEP_1)
	v_fma_f32 v2, -v2, v4, v5
	v_div_fmas_f32 v2, v2, v3, v4
	s_delay_alu instid0(VALU_DEP_1) | instskip(NEXT) | instid1(VALU_DEP_1)
	v_div_fixup_f32 v3, v2, v0, v1
	v_fmac_f32_e32 v0, v1, v3
	s_delay_alu instid0(VALU_DEP_1) | instskip(NEXT) | instid1(VALU_DEP_1)
	v_div_scale_f32 v1, null, v0, v0, 1.0
	v_rcp_f32_e32 v2, v1
	v_nop
	s_delay_alu instid0(TRANS32_DEP_1) | instskip(NEXT) | instid1(VALU_DEP_1)
	v_fma_f32 v4, -v1, v2, 1.0
	v_fmac_f32_e32 v2, v4, v2
	v_div_scale_f32 v4, vcc_lo, 1.0, v0, 1.0
	s_delay_alu instid0(VALU_DEP_1) | instskip(NEXT) | instid1(VALU_DEP_1)
	v_mul_f32_e32 v5, v4, v2
	v_fma_f32 v6, -v1, v5, v4
	s_delay_alu instid0(VALU_DEP_1) | instskip(NEXT) | instid1(VALU_DEP_1)
	v_fmac_f32_e32 v5, v6, v2
	v_fma_f32 v1, -v1, v5, v4
	s_delay_alu instid0(VALU_DEP_1) | instskip(NEXT) | instid1(VALU_DEP_1)
	v_div_fmas_f32 v1, v1, v2, v5
	v_div_fixup_f32 v2, v1, v0, 1.0
	s_delay_alu instid0(VALU_DEP_1)
	v_mul_f32_e64 v3, v3, -v2
.LBB107_25:
	s_or_b32 exec_lo, exec_lo, s1
	ds_store_b64 v139, v[2:3]
.LBB107_26:
	s_or_b32 exec_lo, exec_lo, s2
	s_wait_dscnt 0x0
	s_barrier_signal -1
	s_barrier_wait -1
	ds_load_b64 v[0:1], v139
	s_mov_b32 s1, exec_lo
	s_wait_dscnt 0x0
	scratch_store_b64 off, v[0:1], off offset:184 ; 8-byte Folded Spill
	s_wait_xcnt 0x0
	v_cmpx_lt_u32_e32 2, v138
	s_cbranch_execz .LBB107_28
; %bb.27:
	scratch_load_b64 v[4:5], off, off offset:184 ; 8-byte Folded Reload
	s_wait_loadcnt 0x0
	v_pk_mul_f32 v[2:3], v[4:5], v[46:47] op_sel:[1,1] op_sel_hi:[0,1]
	s_delay_alu instid0(VALU_DEP_1)
	v_pk_fma_f32 v[0:1], v[4:5], v[46:47], v[2:3] op_sel_hi:[1,0,1] neg_lo:[0,0,1] neg_hi:[0,0,1]
	v_pk_fma_f32 v[2:3], v[4:5], v[46:47], v[2:3] op_sel_hi:[1,0,1]
	ds_load_2addr_b64 v[4:7], v148 offset0:3 offset1:4
	v_dual_mov_b32 v46, v0 :: v_dual_mov_b32 v47, v3
	s_wait_dscnt 0x0
	v_pk_mul_f32 v[8:9], v[4:5], v[2:3] op_sel:[0,1]
	s_delay_alu instid0(VALU_DEP_1) | instskip(SKIP_1) | instid1(VALU_DEP_1)
	v_pk_fma_f32 v[10:11], v[4:5], v[0:1], v[8:9] op_sel:[0,0,1] op_sel_hi:[1,1,0] neg_lo:[0,0,1] neg_hi:[0,0,1]
	v_pk_fma_f32 v[4:5], v[4:5], v[0:1], v[8:9] op_sel:[0,0,1] op_sel_hi:[1,0,0]
	v_mov_b32_e32 v11, v5
	v_pk_mul_f32 v[4:5], v[6:7], v[2:3] op_sel:[0,1]
	s_delay_alu instid0(VALU_DEP_1) | instskip(SKIP_1) | instid1(VALU_DEP_1)
	v_pk_fma_f32 v[8:9], v[6:7], v[0:1], v[4:5] op_sel:[0,0,1] op_sel_hi:[1,1,0] neg_lo:[0,0,1] neg_hi:[0,0,1]
	v_pk_fma_f32 v[4:5], v[6:7], v[0:1], v[4:5] op_sel:[0,0,1] op_sel_hi:[1,0,0]
	v_mov_b32_e32 v9, v5
	ds_load_2addr_b64 v[4:7], v148 offset0:5 offset1:6
	v_pk_add_f32 v[44:45], v[44:45], v[10:11] neg_lo:[0,1] neg_hi:[0,1]
	v_pk_add_f32 v[26:27], v[26:27], v[8:9] neg_lo:[0,1] neg_hi:[0,1]
	s_wait_dscnt 0x0
	v_pk_mul_f32 v[8:9], v[4:5], v[2:3] op_sel:[0,1]
	s_delay_alu instid0(VALU_DEP_1) | instskip(SKIP_2) | instid1(VALU_DEP_2)
	v_pk_fma_f32 v[10:11], v[4:5], v[0:1], v[8:9] op_sel:[0,0,1] op_sel_hi:[1,1,0] neg_lo:[0,0,1] neg_hi:[0,0,1]
	v_pk_fma_f32 v[4:5], v[4:5], v[0:1], v[8:9] op_sel:[0,0,1] op_sel_hi:[1,0,0]
	v_dual_mul_f32 v8, v7, v3 :: v_dual_mov_b32 v4, v7
	v_dual_mov_b32 v11, v5 :: v_dual_mov_b32 v5, v6
	s_delay_alu instid0(VALU_DEP_2) | instskip(SKIP_1) | instid1(VALU_DEP_3)
	v_pk_fma_f32 v[8:9], v[6:7], v[46:47], v[8:9] op_sel_hi:[1,1,0] neg_lo:[0,0,1] neg_hi:[0,0,1]
	v_mul_f32_e32 v6, v7, v0
	v_pk_add_f32 v[22:23], v[22:23], v[10:11] neg_lo:[0,1] neg_hi:[0,1]
	s_delay_alu instid0(VALU_DEP_2) | instskip(NEXT) | instid1(VALU_DEP_1)
	v_pk_fma_f32 v[4:5], v[4:5], v[46:47], v[6:7] op_sel_hi:[1,1,0]
	v_mov_b32_e32 v9, v5
	ds_load_2addr_b64 v[4:7], v148 offset0:7 offset1:8
	v_pk_add_f32 v[24:25], v[24:25], v[8:9] neg_lo:[0,1] neg_hi:[0,1]
	s_wait_dscnt 0x0
	v_pk_mul_f32 v[8:9], v[4:5], v[2:3] op_sel:[0,1]
	s_delay_alu instid0(VALU_DEP_1) | instskip(SKIP_1) | instid1(VALU_DEP_1)
	v_pk_fma_f32 v[10:11], v[4:5], v[0:1], v[8:9] op_sel:[0,0,1] op_sel_hi:[1,1,0] neg_lo:[0,0,1] neg_hi:[0,0,1]
	v_pk_fma_f32 v[4:5], v[4:5], v[0:1], v[8:9] op_sel:[0,0,1] op_sel_hi:[1,0,0]
	v_mov_b32_e32 v11, v5
	v_pk_mul_f32 v[4:5], v[6:7], v[2:3] op_sel:[0,1]
	s_delay_alu instid0(VALU_DEP_1) | instskip(SKIP_1) | instid1(VALU_DEP_1)
	v_pk_fma_f32 v[8:9], v[6:7], v[0:1], v[4:5] op_sel:[0,0,1] op_sel_hi:[1,1,0] neg_lo:[0,0,1] neg_hi:[0,0,1]
	v_pk_fma_f32 v[4:5], v[6:7], v[0:1], v[4:5] op_sel:[0,0,1] op_sel_hi:[1,0,0]
	v_mov_b32_e32 v9, v5
	ds_load_2addr_b64 v[4:7], v148 offset0:9 offset1:10
	v_pk_add_f32 v[20:21], v[20:21], v[10:11] neg_lo:[0,1] neg_hi:[0,1]
	v_pk_add_f32 v[40:41], v[40:41], v[8:9] neg_lo:[0,1] neg_hi:[0,1]
	s_wait_dscnt 0x0
	v_pk_mul_f32 v[8:9], v[4:5], v[2:3] op_sel:[0,1]
	s_delay_alu instid0(VALU_DEP_1) | instskip(SKIP_1) | instid1(VALU_DEP_1)
	v_pk_fma_f32 v[10:11], v[4:5], v[0:1], v[8:9] op_sel:[0,0,1] op_sel_hi:[1,1,0] neg_lo:[0,0,1] neg_hi:[0,0,1]
	v_pk_fma_f32 v[4:5], v[4:5], v[0:1], v[8:9] op_sel:[0,0,1] op_sel_hi:[1,0,0]
	v_mov_b32_e32 v11, v5
	v_pk_mul_f32 v[4:5], v[6:7], v[2:3] op_sel:[0,1]
	s_delay_alu instid0(VALU_DEP_1) | instskip(SKIP_1) | instid1(VALU_DEP_1)
	v_pk_fma_f32 v[8:9], v[6:7], v[0:1], v[4:5] op_sel:[0,0,1] op_sel_hi:[1,1,0] neg_lo:[0,0,1] neg_hi:[0,0,1]
	v_pk_fma_f32 v[4:5], v[6:7], v[0:1], v[4:5] op_sel:[0,0,1] op_sel_hi:[1,0,0]
	v_mov_b32_e32 v9, v5
	ds_load_2addr_b64 v[4:7], v148 offset0:11 offset1:12
	v_pk_add_f32 v[36:37], v[36:37], v[10:11] neg_lo:[0,1] neg_hi:[0,1]
	v_pk_add_f32 v[38:39], v[38:39], v[8:9] neg_lo:[0,1] neg_hi:[0,1]
	s_wait_dscnt 0x0
	v_dual_mul_f32 v8, v5, v3 :: v_dual_mul_f32 v10, v5, v0
	s_delay_alu instid0(VALU_DEP_1) | instskip(NEXT) | instid1(VALU_DEP_2)
	v_pk_fma_f32 v[8:9], v[4:5], v[46:47], v[8:9] op_sel_hi:[1,1,0] neg_lo:[0,0,1] neg_hi:[0,0,1]
	v_pk_fma_f32 v[4:5], v[4:5], v[46:47], v[10:11] op_sel:[1,0,0] op_sel_hi:[0,1,0]
	s_delay_alu instid0(VALU_DEP_1) | instskip(SKIP_1) | instid1(VALU_DEP_2)
	v_mov_b32_e32 v9, v5
	v_pk_mul_f32 v[4:5], v[6:7], v[2:3] op_sel:[0,1]
	v_pk_add_f32 v[34:35], v[34:35], v[8:9] neg_lo:[0,1] neg_hi:[0,1]
	s_delay_alu instid0(VALU_DEP_2) | instskip(SKIP_1) | instid1(VALU_DEP_1)
	v_pk_fma_f32 v[8:9], v[6:7], v[0:1], v[4:5] op_sel:[0,0,1] op_sel_hi:[1,1,0] neg_lo:[0,0,1] neg_hi:[0,0,1]
	v_pk_fma_f32 v[4:5], v[6:7], v[0:1], v[4:5] op_sel:[0,0,1] op_sel_hi:[1,0,0]
	v_mov_b32_e32 v9, v5
	ds_load_2addr_b64 v[4:7], v148 offset0:13 offset1:14
	v_pk_add_f32 v[64:65], v[64:65], v[8:9] neg_lo:[0,1] neg_hi:[0,1]
	s_wait_dscnt 0x0
	v_pk_mul_f32 v[8:9], v[4:5], v[2:3] op_sel:[0,1]
	s_delay_alu instid0(VALU_DEP_1) | instskip(SKIP_1) | instid1(VALU_DEP_1)
	v_pk_fma_f32 v[10:11], v[4:5], v[0:1], v[8:9] op_sel:[0,0,1] op_sel_hi:[1,1,0] neg_lo:[0,0,1] neg_hi:[0,0,1]
	v_pk_fma_f32 v[4:5], v[4:5], v[0:1], v[8:9] op_sel:[0,0,1] op_sel_hi:[1,0,0]
	v_mov_b32_e32 v11, v5
	v_pk_mul_f32 v[4:5], v[6:7], v[2:3] op_sel:[0,1]
	s_delay_alu instid0(VALU_DEP_2) | instskip(NEXT) | instid1(VALU_DEP_2)
	v_pk_add_f32 v[60:61], v[60:61], v[10:11] neg_lo:[0,1] neg_hi:[0,1]
	v_pk_fma_f32 v[8:9], v[6:7], v[0:1], v[4:5] op_sel:[0,0,1] op_sel_hi:[1,1,0] neg_lo:[0,0,1] neg_hi:[0,0,1]
	v_pk_fma_f32 v[4:5], v[6:7], v[0:1], v[4:5] op_sel:[0,0,1] op_sel_hi:[1,0,0]
	s_delay_alu instid0(VALU_DEP_1) | instskip(SKIP_4) | instid1(VALU_DEP_1)
	v_mov_b32_e32 v9, v5
	ds_load_2addr_b64 v[4:7], v148 offset0:15 offset1:16
	v_pk_add_f32 v[62:63], v[62:63], v[8:9] neg_lo:[0,1] neg_hi:[0,1]
	s_wait_dscnt 0x0
	v_pk_mul_f32 v[8:9], v[4:5], v[2:3] op_sel:[0,1]
	v_pk_fma_f32 v[10:11], v[4:5], v[0:1], v[8:9] op_sel:[0,0,1] op_sel_hi:[1,1,0] neg_lo:[0,0,1] neg_hi:[0,0,1]
	v_pk_fma_f32 v[4:5], v[4:5], v[0:1], v[8:9] op_sel:[0,0,1] op_sel_hi:[1,0,0]
	v_dual_mul_f32 v8, v7, v3 :: v_dual_mov_b32 v4, v7
	s_delay_alu instid0(VALU_DEP_2) | instskip(NEXT) | instid1(VALU_DEP_2)
	v_dual_mov_b32 v11, v5 :: v_dual_mov_b32 v5, v6
	v_pk_fma_f32 v[8:9], v[6:7], v[46:47], v[8:9] op_sel_hi:[1,1,0] neg_lo:[0,0,1] neg_hi:[0,0,1]
	v_mul_f32_e32 v6, v7, v0
	s_delay_alu instid0(VALU_DEP_3) | instskip(NEXT) | instid1(VALU_DEP_2)
	v_pk_add_f32 v[58:59], v[58:59], v[10:11] neg_lo:[0,1] neg_hi:[0,1]
	v_pk_fma_f32 v[4:5], v[4:5], v[46:47], v[6:7] op_sel_hi:[1,1,0]
	s_delay_alu instid0(VALU_DEP_1) | instskip(SKIP_4) | instid1(VALU_DEP_1)
	v_mov_b32_e32 v9, v5
	ds_load_2addr_b64 v[4:7], v148 offset0:17 offset1:18
	v_pk_add_f32 v[80:81], v[80:81], v[8:9] neg_lo:[0,1] neg_hi:[0,1]
	s_wait_dscnt 0x0
	v_pk_mul_f32 v[8:9], v[4:5], v[2:3] op_sel:[0,1]
	v_pk_fma_f32 v[10:11], v[4:5], v[0:1], v[8:9] op_sel:[0,0,1] op_sel_hi:[1,1,0] neg_lo:[0,0,1] neg_hi:[0,0,1]
	v_pk_fma_f32 v[4:5], v[4:5], v[0:1], v[8:9] op_sel:[0,0,1] op_sel_hi:[1,0,0]
	s_delay_alu instid0(VALU_DEP_1) | instskip(SKIP_1) | instid1(VALU_DEP_1)
	v_mov_b32_e32 v11, v5
	v_pk_mul_f32 v[4:5], v[6:7], v[2:3] op_sel:[0,1]
	v_pk_fma_f32 v[8:9], v[6:7], v[0:1], v[4:5] op_sel:[0,0,1] op_sel_hi:[1,1,0] neg_lo:[0,0,1] neg_hi:[0,0,1]
	v_pk_fma_f32 v[4:5], v[6:7], v[0:1], v[4:5] op_sel:[0,0,1] op_sel_hi:[1,0,0]
	s_delay_alu instid0(VALU_DEP_1)
	v_mov_b32_e32 v9, v5
	ds_load_2addr_b64 v[4:7], v148 offset0:19 offset1:20
	v_pk_add_f32 v[76:77], v[76:77], v[10:11] neg_lo:[0,1] neg_hi:[0,1]
	v_pk_add_f32 v[78:79], v[78:79], v[8:9] neg_lo:[0,1] neg_hi:[0,1]
	s_wait_dscnt 0x0
	v_pk_mul_f32 v[8:9], v[4:5], v[2:3] op_sel:[0,1]
	s_delay_alu instid0(VALU_DEP_1) | instskip(SKIP_1) | instid1(VALU_DEP_1)
	v_pk_fma_f32 v[10:11], v[4:5], v[0:1], v[8:9] op_sel:[0,0,1] op_sel_hi:[1,1,0] neg_lo:[0,0,1] neg_hi:[0,0,1]
	v_pk_fma_f32 v[4:5], v[4:5], v[0:1], v[8:9] op_sel:[0,0,1] op_sel_hi:[1,0,0]
	v_mov_b32_e32 v11, v5
	v_pk_mul_f32 v[4:5], v[6:7], v[2:3] op_sel:[0,1]
	s_delay_alu instid0(VALU_DEP_1) | instskip(SKIP_1) | instid1(VALU_DEP_1)
	v_pk_fma_f32 v[8:9], v[6:7], v[0:1], v[4:5] op_sel:[0,0,1] op_sel_hi:[1,1,0] neg_lo:[0,0,1] neg_hi:[0,0,1]
	v_pk_fma_f32 v[4:5], v[6:7], v[0:1], v[4:5] op_sel:[0,0,1] op_sel_hi:[1,0,0]
	v_mov_b32_e32 v9, v5
	ds_load_2addr_b64 v[4:7], v148 offset0:21 offset1:22
	v_pk_add_f32 v[74:75], v[74:75], v[10:11] neg_lo:[0,1] neg_hi:[0,1]
	v_pk_add_f32 v[96:97], v[96:97], v[8:9] neg_lo:[0,1] neg_hi:[0,1]
	s_wait_dscnt 0x0
	v_dual_mul_f32 v8, v5, v3 :: v_dual_mul_f32 v10, v5, v0
	s_delay_alu instid0(VALU_DEP_1) | instskip(NEXT) | instid1(VALU_DEP_2)
	v_pk_fma_f32 v[8:9], v[4:5], v[46:47], v[8:9] op_sel_hi:[1,1,0] neg_lo:[0,0,1] neg_hi:[0,0,1]
	v_pk_fma_f32 v[4:5], v[4:5], v[46:47], v[10:11] op_sel:[1,0,0] op_sel_hi:[0,1,0]
	s_delay_alu instid0(VALU_DEP_1) | instskip(SKIP_1) | instid1(VALU_DEP_2)
	v_mov_b32_e32 v9, v5
	v_pk_mul_f32 v[4:5], v[6:7], v[2:3] op_sel:[0,1]
	v_pk_add_f32 v[92:93], v[92:93], v[8:9] neg_lo:[0,1] neg_hi:[0,1]
	s_delay_alu instid0(VALU_DEP_2) | instskip(SKIP_1) | instid1(VALU_DEP_1)
	v_pk_fma_f32 v[8:9], v[6:7], v[0:1], v[4:5] op_sel:[0,0,1] op_sel_hi:[1,1,0] neg_lo:[0,0,1] neg_hi:[0,0,1]
	v_pk_fma_f32 v[4:5], v[6:7], v[0:1], v[4:5] op_sel:[0,0,1] op_sel_hi:[1,0,0]
	v_mov_b32_e32 v9, v5
	ds_load_2addr_b64 v[4:7], v148 offset0:23 offset1:24
	v_pk_add_f32 v[94:95], v[94:95], v[8:9] neg_lo:[0,1] neg_hi:[0,1]
	s_wait_dscnt 0x0
	v_pk_mul_f32 v[8:9], v[4:5], v[2:3] op_sel:[0,1]
	s_delay_alu instid0(VALU_DEP_1) | instskip(SKIP_1) | instid1(VALU_DEP_1)
	v_pk_fma_f32 v[10:11], v[4:5], v[0:1], v[8:9] op_sel:[0,0,1] op_sel_hi:[1,1,0] neg_lo:[0,0,1] neg_hi:[0,0,1]
	v_pk_fma_f32 v[4:5], v[4:5], v[0:1], v[8:9] op_sel:[0,0,1] op_sel_hi:[1,0,0]
	v_mov_b32_e32 v11, v5
	v_pk_mul_f32 v[4:5], v[6:7], v[2:3] op_sel:[0,1]
	s_delay_alu instid0(VALU_DEP_2) | instskip(NEXT) | instid1(VALU_DEP_2)
	v_pk_add_f32 v[90:91], v[90:91], v[10:11] neg_lo:[0,1] neg_hi:[0,1]
	v_pk_fma_f32 v[8:9], v[6:7], v[0:1], v[4:5] op_sel:[0,0,1] op_sel_hi:[1,1,0] neg_lo:[0,0,1] neg_hi:[0,0,1]
	v_pk_fma_f32 v[4:5], v[6:7], v[0:1], v[4:5] op_sel:[0,0,1] op_sel_hi:[1,0,0]
	s_delay_alu instid0(VALU_DEP_1) | instskip(SKIP_4) | instid1(VALU_DEP_1)
	v_mov_b32_e32 v9, v5
	ds_load_2addr_b64 v[4:7], v148 offset0:25 offset1:26
	v_pk_add_f32 v[112:113], v[112:113], v[8:9] neg_lo:[0,1] neg_hi:[0,1]
	s_wait_dscnt 0x0
	v_pk_mul_f32 v[8:9], v[4:5], v[2:3] op_sel:[0,1]
	v_pk_fma_f32 v[10:11], v[4:5], v[0:1], v[8:9] op_sel:[0,0,1] op_sel_hi:[1,1,0] neg_lo:[0,0,1] neg_hi:[0,0,1]
	v_pk_fma_f32 v[4:5], v[4:5], v[0:1], v[8:9] op_sel:[0,0,1] op_sel_hi:[1,0,0]
	v_dual_mul_f32 v8, v7, v3 :: v_dual_mov_b32 v4, v7
	s_delay_alu instid0(VALU_DEP_2) | instskip(NEXT) | instid1(VALU_DEP_2)
	v_dual_mov_b32 v11, v5 :: v_dual_mov_b32 v5, v6
	v_pk_fma_f32 v[8:9], v[6:7], v[46:47], v[8:9] op_sel_hi:[1,1,0] neg_lo:[0,0,1] neg_hi:[0,0,1]
	v_mul_f32_e32 v6, v7, v0
	s_delay_alu instid0(VALU_DEP_3) | instskip(NEXT) | instid1(VALU_DEP_2)
	v_pk_add_f32 v[108:109], v[108:109], v[10:11] neg_lo:[0,1] neg_hi:[0,1]
	v_pk_fma_f32 v[4:5], v[4:5], v[46:47], v[6:7] op_sel_hi:[1,1,0]
	s_delay_alu instid0(VALU_DEP_1) | instskip(SKIP_4) | instid1(VALU_DEP_1)
	v_mov_b32_e32 v9, v5
	ds_load_2addr_b64 v[4:7], v148 offset0:27 offset1:28
	v_pk_add_f32 v[110:111], v[110:111], v[8:9] neg_lo:[0,1] neg_hi:[0,1]
	s_wait_dscnt 0x0
	v_pk_mul_f32 v[8:9], v[4:5], v[2:3] op_sel:[0,1]
	v_pk_fma_f32 v[10:11], v[4:5], v[0:1], v[8:9] op_sel:[0,0,1] op_sel_hi:[1,1,0] neg_lo:[0,0,1] neg_hi:[0,0,1]
	v_pk_fma_f32 v[4:5], v[4:5], v[0:1], v[8:9] op_sel:[0,0,1] op_sel_hi:[1,0,0]
	s_delay_alu instid0(VALU_DEP_1) | instskip(SKIP_1) | instid1(VALU_DEP_1)
	v_mov_b32_e32 v11, v5
	v_pk_mul_f32 v[4:5], v[6:7], v[2:3] op_sel:[0,1]
	v_pk_fma_f32 v[8:9], v[6:7], v[0:1], v[4:5] op_sel:[0,0,1] op_sel_hi:[1,1,0] neg_lo:[0,0,1] neg_hi:[0,0,1]
	v_pk_fma_f32 v[4:5], v[6:7], v[0:1], v[4:5] op_sel:[0,0,1] op_sel_hi:[1,0,0]
	s_delay_alu instid0(VALU_DEP_1)
	v_mov_b32_e32 v9, v5
	ds_load_2addr_b64 v[4:7], v148 offset0:29 offset1:30
	v_pk_add_f32 v[106:107], v[106:107], v[10:11] neg_lo:[0,1] neg_hi:[0,1]
	v_pk_add_f32 v[130:131], v[130:131], v[8:9] neg_lo:[0,1] neg_hi:[0,1]
	s_wait_dscnt 0x0
	v_pk_mul_f32 v[8:9], v[4:5], v[2:3] op_sel:[0,1]
	s_delay_alu instid0(VALU_DEP_1) | instskip(SKIP_1) | instid1(VALU_DEP_1)
	v_pk_fma_f32 v[10:11], v[4:5], v[0:1], v[8:9] op_sel:[0,0,1] op_sel_hi:[1,1,0] neg_lo:[0,0,1] neg_hi:[0,0,1]
	v_pk_fma_f32 v[4:5], v[4:5], v[0:1], v[8:9] op_sel:[0,0,1] op_sel_hi:[1,0,0]
	v_mov_b32_e32 v11, v5
	v_pk_mul_f32 v[4:5], v[6:7], v[2:3] op_sel:[0,1]
	s_delay_alu instid0(VALU_DEP_1) | instskip(SKIP_1) | instid1(VALU_DEP_1)
	v_pk_fma_f32 v[8:9], v[6:7], v[0:1], v[4:5] op_sel:[0,0,1] op_sel_hi:[1,1,0] neg_lo:[0,0,1] neg_hi:[0,0,1]
	v_pk_fma_f32 v[4:5], v[6:7], v[0:1], v[4:5] op_sel:[0,0,1] op_sel_hi:[1,0,0]
	v_mov_b32_e32 v9, v5
	ds_load_2addr_b64 v[4:7], v148 offset0:31 offset1:32
	v_pk_add_f32 v[126:127], v[126:127], v[10:11] neg_lo:[0,1] neg_hi:[0,1]
	v_pk_add_f32 v[128:129], v[128:129], v[8:9] neg_lo:[0,1] neg_hi:[0,1]
	s_wait_dscnt 0x0
	v_dual_mul_f32 v8, v5, v3 :: v_dual_mul_f32 v10, v5, v0
	s_delay_alu instid0(VALU_DEP_1) | instskip(NEXT) | instid1(VALU_DEP_2)
	v_pk_fma_f32 v[8:9], v[4:5], v[46:47], v[8:9] op_sel_hi:[1,1,0] neg_lo:[0,0,1] neg_hi:[0,0,1]
	v_pk_fma_f32 v[4:5], v[4:5], v[46:47], v[10:11] op_sel:[1,0,0] op_sel_hi:[0,1,0]
	s_delay_alu instid0(VALU_DEP_1) | instskip(SKIP_1) | instid1(VALU_DEP_2)
	v_mov_b32_e32 v9, v5
	v_pk_mul_f32 v[4:5], v[6:7], v[2:3] op_sel:[0,1]
	v_pk_add_f32 v[124:125], v[124:125], v[8:9] neg_lo:[0,1] neg_hi:[0,1]
	s_delay_alu instid0(VALU_DEP_2) | instskip(SKIP_1) | instid1(VALU_DEP_1)
	v_pk_fma_f32 v[8:9], v[6:7], v[0:1], v[4:5] op_sel:[0,0,1] op_sel_hi:[1,1,0] neg_lo:[0,0,1] neg_hi:[0,0,1]
	v_pk_fma_f32 v[4:5], v[6:7], v[0:1], v[4:5] op_sel:[0,0,1] op_sel_hi:[1,0,0]
	v_mov_b32_e32 v9, v5
	ds_load_2addr_b64 v[4:7], v148 offset0:33 offset1:34
	v_pk_add_f32 v[146:147], v[146:147], v[8:9] neg_lo:[0,1] neg_hi:[0,1]
	s_wait_dscnt 0x0
	v_pk_mul_f32 v[8:9], v[4:5], v[2:3] op_sel:[0,1]
	s_delay_alu instid0(VALU_DEP_1) | instskip(SKIP_1) | instid1(VALU_DEP_1)
	v_pk_fma_f32 v[10:11], v[4:5], v[0:1], v[8:9] op_sel:[0,0,1] op_sel_hi:[1,1,0] neg_lo:[0,0,1] neg_hi:[0,0,1]
	v_pk_fma_f32 v[4:5], v[4:5], v[0:1], v[8:9] op_sel:[0,0,1] op_sel_hi:[1,0,0]
	v_mov_b32_e32 v11, v5
	v_pk_mul_f32 v[4:5], v[6:7], v[2:3] op_sel:[0,1]
	s_delay_alu instid0(VALU_DEP_2) | instskip(NEXT) | instid1(VALU_DEP_2)
	v_pk_add_f32 v[142:143], v[142:143], v[10:11] neg_lo:[0,1] neg_hi:[0,1]
	v_pk_fma_f32 v[8:9], v[6:7], v[0:1], v[4:5] op_sel:[0,0,1] op_sel_hi:[1,1,0] neg_lo:[0,0,1] neg_hi:[0,0,1]
	v_pk_fma_f32 v[4:5], v[6:7], v[0:1], v[4:5] op_sel:[0,0,1] op_sel_hi:[1,0,0]
	s_delay_alu instid0(VALU_DEP_1) | instskip(SKIP_4) | instid1(VALU_DEP_1)
	v_mov_b32_e32 v9, v5
	ds_load_2addr_b64 v[4:7], v148 offset0:35 offset1:36
	v_pk_add_f32 v[144:145], v[144:145], v[8:9] neg_lo:[0,1] neg_hi:[0,1]
	s_wait_dscnt 0x0
	v_pk_mul_f32 v[8:9], v[4:5], v[2:3] op_sel:[0,1]
	v_pk_fma_f32 v[10:11], v[4:5], v[0:1], v[8:9] op_sel:[0,0,1] op_sel_hi:[1,1,0] neg_lo:[0,0,1] neg_hi:[0,0,1]
	v_pk_fma_f32 v[4:5], v[4:5], v[0:1], v[8:9] op_sel:[0,0,1] op_sel_hi:[1,0,0]
	v_dual_mul_f32 v8, v7, v3 :: v_dual_mov_b32 v4, v7
	s_delay_alu instid0(VALU_DEP_2) | instskip(NEXT) | instid1(VALU_DEP_2)
	v_dual_mov_b32 v11, v5 :: v_dual_mov_b32 v5, v6
	v_pk_fma_f32 v[8:9], v[6:7], v[46:47], v[8:9] op_sel_hi:[1,1,0] neg_lo:[0,0,1] neg_hi:[0,0,1]
	v_mul_f32_e32 v6, v7, v0
	s_delay_alu instid0(VALU_DEP_3) | instskip(NEXT) | instid1(VALU_DEP_2)
	v_pk_add_f32 v[140:141], v[140:141], v[10:11] neg_lo:[0,1] neg_hi:[0,1]
	v_pk_fma_f32 v[4:5], v[4:5], v[46:47], v[6:7] op_sel_hi:[1,1,0]
	s_delay_alu instid0(VALU_DEP_1) | instskip(SKIP_4) | instid1(VALU_DEP_1)
	v_mov_b32_e32 v9, v5
	ds_load_2addr_b64 v[4:7], v148 offset0:37 offset1:38
	v_pk_add_f32 v[162:163], v[162:163], v[8:9] neg_lo:[0,1] neg_hi:[0,1]
	s_wait_dscnt 0x0
	v_pk_mul_f32 v[8:9], v[4:5], v[2:3] op_sel:[0,1]
	v_pk_fma_f32 v[10:11], v[4:5], v[0:1], v[8:9] op_sel:[0,0,1] op_sel_hi:[1,1,0] neg_lo:[0,0,1] neg_hi:[0,0,1]
	v_pk_fma_f32 v[4:5], v[4:5], v[0:1], v[8:9] op_sel:[0,0,1] op_sel_hi:[1,0,0]
	s_delay_alu instid0(VALU_DEP_1) | instskip(SKIP_1) | instid1(VALU_DEP_1)
	v_mov_b32_e32 v11, v5
	v_pk_mul_f32 v[4:5], v[6:7], v[2:3] op_sel:[0,1]
	v_pk_fma_f32 v[8:9], v[6:7], v[0:1], v[4:5] op_sel:[0,0,1] op_sel_hi:[1,1,0] neg_lo:[0,0,1] neg_hi:[0,0,1]
	v_pk_fma_f32 v[4:5], v[6:7], v[0:1], v[4:5] op_sel:[0,0,1] op_sel_hi:[1,0,0]
	s_delay_alu instid0(VALU_DEP_1)
	v_mov_b32_e32 v9, v5
	ds_load_2addr_b64 v[4:7], v148 offset0:39 offset1:40
	v_pk_add_f32 v[158:159], v[158:159], v[10:11] neg_lo:[0,1] neg_hi:[0,1]
	v_pk_add_f32 v[160:161], v[160:161], v[8:9] neg_lo:[0,1] neg_hi:[0,1]
	s_wait_dscnt 0x0
	v_pk_mul_f32 v[8:9], v[4:5], v[2:3] op_sel:[0,1]
	s_delay_alu instid0(VALU_DEP_1) | instskip(SKIP_1) | instid1(VALU_DEP_1)
	v_pk_fma_f32 v[10:11], v[4:5], v[0:1], v[8:9] op_sel:[0,0,1] op_sel_hi:[1,1,0] neg_lo:[0,0,1] neg_hi:[0,0,1]
	v_pk_fma_f32 v[4:5], v[4:5], v[0:1], v[8:9] op_sel:[0,0,1] op_sel_hi:[1,0,0]
	v_mov_b32_e32 v11, v5
	v_pk_mul_f32 v[4:5], v[6:7], v[2:3] op_sel:[0,1]
	s_delay_alu instid0(VALU_DEP_1) | instskip(SKIP_1) | instid1(VALU_DEP_1)
	v_pk_fma_f32 v[8:9], v[6:7], v[0:1], v[4:5] op_sel:[0,0,1] op_sel_hi:[1,1,0] neg_lo:[0,0,1] neg_hi:[0,0,1]
	v_pk_fma_f32 v[4:5], v[6:7], v[0:1], v[4:5] op_sel:[0,0,1] op_sel_hi:[1,0,0]
	v_mov_b32_e32 v9, v5
	ds_load_2addr_b64 v[4:7], v148 offset0:41 offset1:42
	v_pk_add_f32 v[156:157], v[156:157], v[10:11] neg_lo:[0,1] neg_hi:[0,1]
	v_pk_add_f32 v[178:179], v[178:179], v[8:9] neg_lo:[0,1] neg_hi:[0,1]
	s_wait_dscnt 0x0
	v_dual_mul_f32 v8, v5, v3 :: v_dual_mul_f32 v10, v5, v0
	s_delay_alu instid0(VALU_DEP_1) | instskip(NEXT) | instid1(VALU_DEP_2)
	v_pk_fma_f32 v[8:9], v[4:5], v[46:47], v[8:9] op_sel_hi:[1,1,0] neg_lo:[0,0,1] neg_hi:[0,0,1]
	v_pk_fma_f32 v[4:5], v[4:5], v[46:47], v[10:11] op_sel:[1,0,0] op_sel_hi:[0,1,0]
	s_delay_alu instid0(VALU_DEP_1) | instskip(SKIP_1) | instid1(VALU_DEP_2)
	v_mov_b32_e32 v9, v5
	v_pk_mul_f32 v[4:5], v[6:7], v[2:3] op_sel:[0,1]
	v_pk_add_f32 v[174:175], v[174:175], v[8:9] neg_lo:[0,1] neg_hi:[0,1]
	s_delay_alu instid0(VALU_DEP_2) | instskip(SKIP_1) | instid1(VALU_DEP_1)
	v_pk_fma_f32 v[8:9], v[6:7], v[0:1], v[4:5] op_sel:[0,0,1] op_sel_hi:[1,1,0] neg_lo:[0,0,1] neg_hi:[0,0,1]
	v_pk_fma_f32 v[4:5], v[6:7], v[0:1], v[4:5] op_sel:[0,0,1] op_sel_hi:[1,0,0]
	v_mov_b32_e32 v9, v5
	ds_load_2addr_b64 v[4:7], v148 offset0:43 offset1:44
	v_pk_add_f32 v[176:177], v[176:177], v[8:9] neg_lo:[0,1] neg_hi:[0,1]
	s_wait_dscnt 0x0
	v_pk_mul_f32 v[8:9], v[4:5], v[2:3] op_sel:[0,1]
	s_delay_alu instid0(VALU_DEP_1) | instskip(SKIP_1) | instid1(VALU_DEP_1)
	v_pk_fma_f32 v[10:11], v[4:5], v[0:1], v[8:9] op_sel:[0,0,1] op_sel_hi:[1,1,0] neg_lo:[0,0,1] neg_hi:[0,0,1]
	v_pk_fma_f32 v[4:5], v[4:5], v[0:1], v[8:9] op_sel:[0,0,1] op_sel_hi:[1,0,0]
	v_mov_b32_e32 v11, v5
	v_pk_mul_f32 v[4:5], v[6:7], v[2:3] op_sel:[0,1]
	s_delay_alu instid0(VALU_DEP_2) | instskip(NEXT) | instid1(VALU_DEP_2)
	v_pk_add_f32 v[172:173], v[172:173], v[10:11] neg_lo:[0,1] neg_hi:[0,1]
	v_pk_fma_f32 v[8:9], v[6:7], v[0:1], v[4:5] op_sel:[0,0,1] op_sel_hi:[1,1,0] neg_lo:[0,0,1] neg_hi:[0,0,1]
	v_pk_fma_f32 v[4:5], v[6:7], v[0:1], v[4:5] op_sel:[0,0,1] op_sel_hi:[1,0,0]
	s_delay_alu instid0(VALU_DEP_1) | instskip(SKIP_4) | instid1(VALU_DEP_1)
	v_mov_b32_e32 v9, v5
	ds_load_2addr_b64 v[4:7], v148 offset0:45 offset1:46
	v_pk_add_f32 v[196:197], v[196:197], v[8:9] neg_lo:[0,1] neg_hi:[0,1]
	s_wait_dscnt 0x0
	v_pk_mul_f32 v[8:9], v[4:5], v[2:3] op_sel:[0,1]
	v_pk_fma_f32 v[10:11], v[4:5], v[0:1], v[8:9] op_sel:[0,0,1] op_sel_hi:[1,1,0] neg_lo:[0,0,1] neg_hi:[0,0,1]
	v_pk_fma_f32 v[4:5], v[4:5], v[0:1], v[8:9] op_sel:[0,0,1] op_sel_hi:[1,0,0]
	v_dual_mul_f32 v8, v7, v3 :: v_dual_mov_b32 v4, v7
	s_delay_alu instid0(VALU_DEP_2) | instskip(NEXT) | instid1(VALU_DEP_2)
	v_dual_mov_b32 v11, v5 :: v_dual_mov_b32 v5, v6
	v_pk_fma_f32 v[8:9], v[6:7], v[46:47], v[8:9] op_sel_hi:[1,1,0] neg_lo:[0,0,1] neg_hi:[0,0,1]
	v_mul_f32_e32 v6, v7, v0
	s_delay_alu instid0(VALU_DEP_3) | instskip(NEXT) | instid1(VALU_DEP_2)
	v_pk_add_f32 v[192:193], v[192:193], v[10:11] neg_lo:[0,1] neg_hi:[0,1]
	v_pk_fma_f32 v[4:5], v[4:5], v[46:47], v[6:7] op_sel_hi:[1,1,0]
	s_delay_alu instid0(VALU_DEP_1) | instskip(SKIP_4) | instid1(VALU_DEP_1)
	v_mov_b32_e32 v9, v5
	ds_load_2addr_b64 v[4:7], v148 offset0:47 offset1:48
	v_pk_add_f32 v[194:195], v[194:195], v[8:9] neg_lo:[0,1] neg_hi:[0,1]
	s_wait_dscnt 0x0
	v_pk_mul_f32 v[8:9], v[4:5], v[2:3] op_sel:[0,1]
	v_pk_fma_f32 v[10:11], v[4:5], v[0:1], v[8:9] op_sel:[0,0,1] op_sel_hi:[1,1,0] neg_lo:[0,0,1] neg_hi:[0,0,1]
	v_pk_fma_f32 v[4:5], v[4:5], v[0:1], v[8:9] op_sel:[0,0,1] op_sel_hi:[1,0,0]
	s_delay_alu instid0(VALU_DEP_1) | instskip(SKIP_1) | instid1(VALU_DEP_1)
	v_mov_b32_e32 v11, v5
	v_pk_mul_f32 v[4:5], v[6:7], v[2:3] op_sel:[0,1]
	v_pk_fma_f32 v[8:9], v[6:7], v[0:1], v[4:5] op_sel:[0,0,1] op_sel_hi:[1,1,0] neg_lo:[0,0,1] neg_hi:[0,0,1]
	v_pk_fma_f32 v[4:5], v[6:7], v[0:1], v[4:5] op_sel:[0,0,1] op_sel_hi:[1,0,0]
	s_delay_alu instid0(VALU_DEP_1)
	v_mov_b32_e32 v9, v5
	ds_load_2addr_b64 v[4:7], v148 offset0:49 offset1:50
	v_pk_add_f32 v[190:191], v[190:191], v[10:11] neg_lo:[0,1] neg_hi:[0,1]
	v_pk_add_f32 v[212:213], v[212:213], v[8:9] neg_lo:[0,1] neg_hi:[0,1]
	s_wait_dscnt 0x0
	v_pk_mul_f32 v[8:9], v[4:5], v[2:3] op_sel:[0,1]
	s_delay_alu instid0(VALU_DEP_1) | instskip(SKIP_1) | instid1(VALU_DEP_1)
	v_pk_fma_f32 v[10:11], v[4:5], v[0:1], v[8:9] op_sel:[0,0,1] op_sel_hi:[1,1,0] neg_lo:[0,0,1] neg_hi:[0,0,1]
	v_pk_fma_f32 v[4:5], v[4:5], v[0:1], v[8:9] op_sel:[0,0,1] op_sel_hi:[1,0,0]
	v_mov_b32_e32 v11, v5
	v_pk_mul_f32 v[4:5], v[6:7], v[2:3] op_sel:[0,1]
	s_delay_alu instid0(VALU_DEP_1) | instskip(SKIP_1) | instid1(VALU_DEP_1)
	v_pk_fma_f32 v[8:9], v[6:7], v[0:1], v[4:5] op_sel:[0,0,1] op_sel_hi:[1,1,0] neg_lo:[0,0,1] neg_hi:[0,0,1]
	v_pk_fma_f32 v[4:5], v[6:7], v[0:1], v[4:5] op_sel:[0,0,1] op_sel_hi:[1,0,0]
	v_mov_b32_e32 v9, v5
	ds_load_2addr_b64 v[4:7], v148 offset0:51 offset1:52
	v_pk_add_f32 v[208:209], v[208:209], v[10:11] neg_lo:[0,1] neg_hi:[0,1]
	v_pk_add_f32 v[210:211], v[210:211], v[8:9] neg_lo:[0,1] neg_hi:[0,1]
	s_wait_dscnt 0x0
	v_dual_mul_f32 v8, v5, v3 :: v_dual_mul_f32 v10, v5, v0
	s_delay_alu instid0(VALU_DEP_1) | instskip(NEXT) | instid1(VALU_DEP_2)
	v_pk_fma_f32 v[8:9], v[4:5], v[46:47], v[8:9] op_sel_hi:[1,1,0] neg_lo:[0,0,1] neg_hi:[0,0,1]
	v_pk_fma_f32 v[4:5], v[4:5], v[46:47], v[10:11] op_sel:[1,0,0] op_sel_hi:[0,1,0]
	s_delay_alu instid0(VALU_DEP_1) | instskip(SKIP_1) | instid1(VALU_DEP_2)
	v_mov_b32_e32 v9, v5
	v_pk_mul_f32 v[4:5], v[6:7], v[2:3] op_sel:[0,1]
	v_pk_add_f32 v[206:207], v[206:207], v[8:9] neg_lo:[0,1] neg_hi:[0,1]
	s_delay_alu instid0(VALU_DEP_2) | instskip(SKIP_1) | instid1(VALU_DEP_1)
	v_pk_fma_f32 v[8:9], v[6:7], v[0:1], v[4:5] op_sel:[0,0,1] op_sel_hi:[1,1,0] neg_lo:[0,0,1] neg_hi:[0,0,1]
	v_pk_fma_f32 v[4:5], v[6:7], v[0:1], v[4:5] op_sel:[0,0,1] op_sel_hi:[1,0,0]
	v_mov_b32_e32 v9, v5
	ds_load_b64 v[4:5], v148 offset:424
	v_pk_add_f32 v[214:215], v[214:215], v[8:9] neg_lo:[0,1] neg_hi:[0,1]
	s_wait_dscnt 0x0
	v_pk_mul_f32 v[2:3], v[4:5], v[2:3] op_sel:[0,1]
	s_delay_alu instid0(VALU_DEP_1) | instskip(SKIP_1) | instid1(VALU_DEP_1)
	v_pk_fma_f32 v[6:7], v[4:5], v[0:1], v[2:3] op_sel:[0,0,1] op_sel_hi:[1,1,0] neg_lo:[0,0,1] neg_hi:[0,0,1]
	v_pk_fma_f32 v[0:1], v[4:5], v[0:1], v[2:3] op_sel:[0,0,1] op_sel_hi:[1,0,0]
	v_mov_b32_e32 v7, v1
	s_delay_alu instid0(VALU_DEP_1)
	v_pk_add_f32 v[216:217], v[216:217], v[6:7] neg_lo:[0,1] neg_hi:[0,1]
.LBB107_28:
	s_wait_xcnt 0x0
	s_or_b32 exec_lo, exec_lo, s1
	s_delay_alu instid0(SALU_CYCLE_1)
	s_mov_b32 s2, exec_lo
	s_wait_storecnt 0x0
	s_barrier_signal -1
	s_barrier_wait -1
	v_cmpx_eq_u32_e32 3, v138
	s_cbranch_execz .LBB107_35
; %bb.29:
	v_dual_mov_b32 v0, v26 :: v_dual_mov_b32 v1, v27
	v_dual_mov_b32 v2, v22 :: v_dual_mov_b32 v3, v23
	;; [unrolled: 1-line block ×4, first 2 shown]
	ds_store_b64 v139, v[44:45]
	ds_store_2addr_b64 v148, v[0:1], v[2:3] offset0:4 offset1:5
	ds_store_2addr_b64 v148, v[4:5], v[6:7] offset0:6 offset1:7
	v_dual_mov_b32 v0, v40 :: v_dual_mov_b32 v1, v41
	v_dual_mov_b32 v2, v36 :: v_dual_mov_b32 v3, v37
	v_dual_mov_b32 v4, v38 :: v_dual_mov_b32 v5, v39
	v_dual_mov_b32 v6, v34 :: v_dual_mov_b32 v7, v35
	v_dual_mov_b32 v8, v64 :: v_dual_mov_b32 v9, v65
	v_dual_mov_b32 v10, v60 :: v_dual_mov_b32 v11, v61
	v_dual_mov_b32 v12, v62 :: v_dual_mov_b32 v13, v63
	v_dual_mov_b32 v14, v58 :: v_dual_mov_b32 v15, v59
	v_dual_mov_b32 v18, v80 :: v_dual_mov_b32 v19, v81
	v_dual_mov_b32 v28, v76 :: v_dual_mov_b32 v29, v77
	v_dual_mov_b32 v30, v78 :: v_dual_mov_b32 v31, v79
	v_dual_mov_b32 v32, v74 :: v_dual_mov_b32 v33, v75
	ds_store_2addr_b64 v148, v[0:1], v[2:3] offset0:8 offset1:9
	ds_store_2addr_b64 v148, v[4:5], v[6:7] offset0:10 offset1:11
	ds_store_2addr_b64 v148, v[8:9], v[10:11] offset0:12 offset1:13
	ds_store_2addr_b64 v148, v[12:13], v[14:15] offset0:14 offset1:15
	ds_store_2addr_b64 v148, v[18:19], v[28:29] offset0:16 offset1:17
	ds_store_2addr_b64 v148, v[30:31], v[32:33] offset0:18 offset1:19
	v_dual_mov_b32 v0, v96 :: v_dual_mov_b32 v1, v97
	v_dual_mov_b32 v2, v92 :: v_dual_mov_b32 v3, v93
	v_dual_mov_b32 v4, v94 :: v_dual_mov_b32 v5, v95
	v_dual_mov_b32 v6, v90 :: v_dual_mov_b32 v7, v91
	v_dual_mov_b32 v8, v112 :: v_dual_mov_b32 v9, v113
	v_dual_mov_b32 v10, v108 :: v_dual_mov_b32 v11, v109
	v_dual_mov_b32 v12, v110 :: v_dual_mov_b32 v13, v111
	v_dual_mov_b32 v14, v106 :: v_dual_mov_b32 v15, v107
	v_dual_mov_b32 v18, v130 :: v_dual_mov_b32 v19, v131
	v_dual_mov_b32 v28, v126 :: v_dual_mov_b32 v29, v127
	v_dual_mov_b32 v30, v128 :: v_dual_mov_b32 v31, v129
	v_dual_mov_b32 v32, v124 :: v_dual_mov_b32 v33, v125
	ds_store_2addr_b64 v148, v[0:1], v[2:3] offset0:20 offset1:21
	ds_store_2addr_b64 v148, v[4:5], v[6:7] offset0:22 offset1:23
	ds_store_2addr_b64 v148, v[8:9], v[10:11] offset0:24 offset1:25
	ds_store_2addr_b64 v148, v[12:13], v[14:15] offset0:26 offset1:27
	;; [unrolled: 18-line block ×3, first 2 shown]
	ds_store_2addr_b64 v148, v[18:19], v[28:29] offset0:40 offset1:41
	ds_store_2addr_b64 v148, v[30:31], v[32:33] offset0:42 offset1:43
	v_dual_mov_b32 v0, v196 :: v_dual_mov_b32 v1, v197
	v_dual_mov_b32 v2, v192 :: v_dual_mov_b32 v3, v193
	v_dual_mov_b32 v4, v194 :: v_dual_mov_b32 v5, v195
	v_dual_mov_b32 v6, v190 :: v_dual_mov_b32 v7, v191
	v_dual_mov_b32 v8, v212 :: v_dual_mov_b32 v9, v213
	v_dual_mov_b32 v10, v208 :: v_dual_mov_b32 v11, v209
	v_dual_mov_b32 v12, v210 :: v_dual_mov_b32 v13, v211
	v_dual_mov_b32 v14, v206 :: v_dual_mov_b32 v15, v207
	v_dual_mov_b32 v18, v214 :: v_dual_mov_b32 v19, v215
	ds_store_2addr_b64 v148, v[0:1], v[2:3] offset0:44 offset1:45
	ds_store_2addr_b64 v148, v[4:5], v[6:7] offset0:46 offset1:47
	ds_store_2addr_b64 v148, v[8:9], v[10:11] offset0:48 offset1:49
	ds_store_2addr_b64 v148, v[12:13], v[14:15] offset0:50 offset1:51
	ds_store_2addr_b64 v148, v[18:19], v[216:217] offset0:52 offset1:53
	ds_load_b64 v[0:1], v139
	s_wait_dscnt 0x0
	v_cmp_neq_f32_e32 vcc_lo, 0, v0
	v_cmp_neq_f32_e64 s1, 0, v1
	s_or_b32 s1, vcc_lo, s1
	s_delay_alu instid0(SALU_CYCLE_1)
	s_and_b32 exec_lo, exec_lo, s1
	s_cbranch_execz .LBB107_35
; %bb.30:
	v_cmp_ngt_f32_e64 s1, |v0|, |v1|
                                        ; implicit-def: $vgpr2_vgpr3
	s_and_saveexec_b32 s4, s1
	s_delay_alu instid0(SALU_CYCLE_1)
	s_xor_b32 s1, exec_lo, s4
	s_cbranch_execz .LBB107_32
; %bb.31:
	v_div_scale_f32 v2, null, v1, v1, v0
	v_div_scale_f32 v5, vcc_lo, v0, v1, v0
	s_delay_alu instid0(VALU_DEP_2) | instskip(SKIP_1) | instid1(TRANS32_DEP_1)
	v_rcp_f32_e32 v3, v2
	v_nop
	v_fma_f32 v4, -v2, v3, 1.0
	s_delay_alu instid0(VALU_DEP_1) | instskip(NEXT) | instid1(VALU_DEP_1)
	v_fmac_f32_e32 v3, v4, v3
	v_mul_f32_e32 v4, v5, v3
	s_delay_alu instid0(VALU_DEP_1) | instskip(NEXT) | instid1(VALU_DEP_1)
	v_fma_f32 v6, -v2, v4, v5
	v_fmac_f32_e32 v4, v6, v3
	s_delay_alu instid0(VALU_DEP_1) | instskip(NEXT) | instid1(VALU_DEP_1)
	v_fma_f32 v2, -v2, v4, v5
	v_div_fmas_f32 v2, v2, v3, v4
	s_delay_alu instid0(VALU_DEP_1) | instskip(NEXT) | instid1(VALU_DEP_1)
	v_div_fixup_f32 v2, v2, v1, v0
	v_fmac_f32_e32 v1, v0, v2
	s_delay_alu instid0(VALU_DEP_1) | instskip(SKIP_1) | instid1(VALU_DEP_2)
	v_div_scale_f32 v0, null, v1, v1, 1.0
	v_div_scale_f32 v5, vcc_lo, 1.0, v1, 1.0
	v_rcp_f32_e32 v3, v0
	v_nop
	s_delay_alu instid0(TRANS32_DEP_1) | instskip(NEXT) | instid1(VALU_DEP_1)
	v_fma_f32 v4, -v0, v3, 1.0
	v_fmac_f32_e32 v3, v4, v3
	s_delay_alu instid0(VALU_DEP_1) | instskip(NEXT) | instid1(VALU_DEP_1)
	v_mul_f32_e32 v4, v5, v3
	v_fma_f32 v6, -v0, v4, v5
	s_delay_alu instid0(VALU_DEP_1) | instskip(NEXT) | instid1(VALU_DEP_1)
	v_fmac_f32_e32 v4, v6, v3
	v_fma_f32 v0, -v0, v4, v5
	s_delay_alu instid0(VALU_DEP_1) | instskip(NEXT) | instid1(VALU_DEP_1)
	v_div_fmas_f32 v0, v0, v3, v4
	v_div_fixup_f32 v0, v0, v1, 1.0
	s_delay_alu instid0(VALU_DEP_1)
	v_mul_f32_e32 v2, v2, v0
	v_xor_b32_e32 v3, 0x80000000, v0
                                        ; implicit-def: $vgpr0_vgpr1
.LBB107_32:
	s_and_not1_saveexec_b32 s1, s1
	s_cbranch_execz .LBB107_34
; %bb.33:
	v_div_scale_f32 v2, null, v0, v0, v1
	v_div_scale_f32 v5, vcc_lo, v1, v0, v1
	s_delay_alu instid0(VALU_DEP_2) | instskip(SKIP_1) | instid1(TRANS32_DEP_1)
	v_rcp_f32_e32 v3, v2
	v_nop
	v_fma_f32 v4, -v2, v3, 1.0
	s_delay_alu instid0(VALU_DEP_1) | instskip(NEXT) | instid1(VALU_DEP_1)
	v_fmac_f32_e32 v3, v4, v3
	v_mul_f32_e32 v4, v5, v3
	s_delay_alu instid0(VALU_DEP_1) | instskip(NEXT) | instid1(VALU_DEP_1)
	v_fma_f32 v6, -v2, v4, v5
	v_fmac_f32_e32 v4, v6, v3
	s_delay_alu instid0(VALU_DEP_1) | instskip(NEXT) | instid1(VALU_DEP_1)
	v_fma_f32 v2, -v2, v4, v5
	v_div_fmas_f32 v2, v2, v3, v4
	s_delay_alu instid0(VALU_DEP_1) | instskip(NEXT) | instid1(VALU_DEP_1)
	v_div_fixup_f32 v3, v2, v0, v1
	v_fmac_f32_e32 v0, v1, v3
	s_delay_alu instid0(VALU_DEP_1) | instskip(NEXT) | instid1(VALU_DEP_1)
	v_div_scale_f32 v1, null, v0, v0, 1.0
	v_rcp_f32_e32 v2, v1
	v_nop
	s_delay_alu instid0(TRANS32_DEP_1) | instskip(NEXT) | instid1(VALU_DEP_1)
	v_fma_f32 v4, -v1, v2, 1.0
	v_fmac_f32_e32 v2, v4, v2
	v_div_scale_f32 v4, vcc_lo, 1.0, v0, 1.0
	s_delay_alu instid0(VALU_DEP_1) | instskip(NEXT) | instid1(VALU_DEP_1)
	v_mul_f32_e32 v5, v4, v2
	v_fma_f32 v6, -v1, v5, v4
	s_delay_alu instid0(VALU_DEP_1) | instskip(NEXT) | instid1(VALU_DEP_1)
	v_fmac_f32_e32 v5, v6, v2
	v_fma_f32 v1, -v1, v5, v4
	s_delay_alu instid0(VALU_DEP_1) | instskip(NEXT) | instid1(VALU_DEP_1)
	v_div_fmas_f32 v1, v1, v2, v5
	v_div_fixup_f32 v2, v1, v0, 1.0
	s_delay_alu instid0(VALU_DEP_1)
	v_mul_f32_e64 v3, v3, -v2
.LBB107_34:
	s_or_b32 exec_lo, exec_lo, s1
	ds_store_b64 v139, v[2:3]
.LBB107_35:
	s_or_b32 exec_lo, exec_lo, s2
	s_wait_dscnt 0x0
	s_barrier_signal -1
	s_barrier_wait -1
	ds_load_b64 v[0:1], v139
	s_mov_b32 s1, exec_lo
	s_wait_dscnt 0x0
	scratch_store_b64 off, v[0:1], off offset:192 ; 8-byte Folded Spill
	s_wait_xcnt 0x0
	v_cmpx_lt_u32_e32 3, v138
	s_cbranch_execz .LBB107_37
; %bb.36:
	scratch_load_b64 v[4:5], off, off offset:192 ; 8-byte Folded Reload
	s_wait_loadcnt 0x0
	v_pk_mul_f32 v[2:3], v[4:5], v[44:45] op_sel:[1,1] op_sel_hi:[0,1]
	s_delay_alu instid0(VALU_DEP_1)
	v_pk_fma_f32 v[0:1], v[4:5], v[44:45], v[2:3] op_sel_hi:[1,0,1] neg_lo:[0,0,1] neg_hi:[0,0,1]
	v_pk_fma_f32 v[2:3], v[4:5], v[44:45], v[2:3] op_sel_hi:[1,0,1]
	ds_load_2addr_b64 v[4:7], v148 offset0:4 offset1:5
	v_dual_mov_b32 v44, v0 :: v_dual_mov_b32 v45, v3
	s_wait_dscnt 0x0
	v_pk_mul_f32 v[8:9], v[4:5], v[2:3] op_sel:[0,1]
	s_delay_alu instid0(VALU_DEP_1) | instskip(SKIP_1) | instid1(VALU_DEP_1)
	v_pk_fma_f32 v[10:11], v[4:5], v[0:1], v[8:9] op_sel:[0,0,1] op_sel_hi:[1,1,0] neg_lo:[0,0,1] neg_hi:[0,0,1]
	v_pk_fma_f32 v[4:5], v[4:5], v[0:1], v[8:9] op_sel:[0,0,1] op_sel_hi:[1,0,0]
	v_mov_b32_e32 v11, v5
	v_pk_mul_f32 v[4:5], v[6:7], v[2:3] op_sel:[0,1]
	s_delay_alu instid0(VALU_DEP_1) | instskip(SKIP_1) | instid1(VALU_DEP_1)
	v_pk_fma_f32 v[8:9], v[6:7], v[0:1], v[4:5] op_sel:[0,0,1] op_sel_hi:[1,1,0] neg_lo:[0,0,1] neg_hi:[0,0,1]
	v_pk_fma_f32 v[4:5], v[6:7], v[0:1], v[4:5] op_sel:[0,0,1] op_sel_hi:[1,0,0]
	v_mov_b32_e32 v9, v5
	ds_load_2addr_b64 v[4:7], v148 offset0:6 offset1:7
	v_pk_add_f32 v[26:27], v[26:27], v[10:11] neg_lo:[0,1] neg_hi:[0,1]
	v_pk_add_f32 v[22:23], v[22:23], v[8:9] neg_lo:[0,1] neg_hi:[0,1]
	s_wait_dscnt 0x0
	v_pk_mul_f32 v[8:9], v[4:5], v[2:3] op_sel:[0,1]
	s_delay_alu instid0(VALU_DEP_1) | instskip(SKIP_2) | instid1(VALU_DEP_2)
	v_pk_fma_f32 v[10:11], v[4:5], v[0:1], v[8:9] op_sel:[0,0,1] op_sel_hi:[1,1,0] neg_lo:[0,0,1] neg_hi:[0,0,1]
	v_pk_fma_f32 v[4:5], v[4:5], v[0:1], v[8:9] op_sel:[0,0,1] op_sel_hi:[1,0,0]
	v_dual_mul_f32 v8, v7, v3 :: v_dual_mov_b32 v4, v7
	v_dual_mov_b32 v11, v5 :: v_dual_mov_b32 v5, v6
	s_delay_alu instid0(VALU_DEP_2) | instskip(SKIP_1) | instid1(VALU_DEP_3)
	v_pk_fma_f32 v[8:9], v[6:7], v[44:45], v[8:9] op_sel_hi:[1,1,0] neg_lo:[0,0,1] neg_hi:[0,0,1]
	v_mul_f32_e32 v6, v7, v0
	v_pk_add_f32 v[24:25], v[24:25], v[10:11] neg_lo:[0,1] neg_hi:[0,1]
	s_delay_alu instid0(VALU_DEP_2) | instskip(NEXT) | instid1(VALU_DEP_1)
	v_pk_fma_f32 v[4:5], v[4:5], v[44:45], v[6:7] op_sel_hi:[1,1,0]
	v_mov_b32_e32 v9, v5
	ds_load_2addr_b64 v[4:7], v148 offset0:8 offset1:9
	v_pk_add_f32 v[20:21], v[20:21], v[8:9] neg_lo:[0,1] neg_hi:[0,1]
	s_wait_dscnt 0x0
	v_pk_mul_f32 v[8:9], v[4:5], v[2:3] op_sel:[0,1]
	s_delay_alu instid0(VALU_DEP_1) | instskip(SKIP_1) | instid1(VALU_DEP_1)
	v_pk_fma_f32 v[10:11], v[4:5], v[0:1], v[8:9] op_sel:[0,0,1] op_sel_hi:[1,1,0] neg_lo:[0,0,1] neg_hi:[0,0,1]
	v_pk_fma_f32 v[4:5], v[4:5], v[0:1], v[8:9] op_sel:[0,0,1] op_sel_hi:[1,0,0]
	v_mov_b32_e32 v11, v5
	v_pk_mul_f32 v[4:5], v[6:7], v[2:3] op_sel:[0,1]
	s_delay_alu instid0(VALU_DEP_1) | instskip(SKIP_1) | instid1(VALU_DEP_1)
	v_pk_fma_f32 v[8:9], v[6:7], v[0:1], v[4:5] op_sel:[0,0,1] op_sel_hi:[1,1,0] neg_lo:[0,0,1] neg_hi:[0,0,1]
	v_pk_fma_f32 v[4:5], v[6:7], v[0:1], v[4:5] op_sel:[0,0,1] op_sel_hi:[1,0,0]
	v_mov_b32_e32 v9, v5
	ds_load_2addr_b64 v[4:7], v148 offset0:10 offset1:11
	v_pk_add_f32 v[40:41], v[40:41], v[10:11] neg_lo:[0,1] neg_hi:[0,1]
	v_pk_add_f32 v[36:37], v[36:37], v[8:9] neg_lo:[0,1] neg_hi:[0,1]
	s_wait_dscnt 0x0
	v_pk_mul_f32 v[8:9], v[4:5], v[2:3] op_sel:[0,1]
	s_delay_alu instid0(VALU_DEP_1) | instskip(SKIP_1) | instid1(VALU_DEP_1)
	v_pk_fma_f32 v[10:11], v[4:5], v[0:1], v[8:9] op_sel:[0,0,1] op_sel_hi:[1,1,0] neg_lo:[0,0,1] neg_hi:[0,0,1]
	v_pk_fma_f32 v[4:5], v[4:5], v[0:1], v[8:9] op_sel:[0,0,1] op_sel_hi:[1,0,0]
	v_mov_b32_e32 v11, v5
	v_pk_mul_f32 v[4:5], v[6:7], v[2:3] op_sel:[0,1]
	s_delay_alu instid0(VALU_DEP_1) | instskip(SKIP_1) | instid1(VALU_DEP_1)
	v_pk_fma_f32 v[8:9], v[6:7], v[0:1], v[4:5] op_sel:[0,0,1] op_sel_hi:[1,1,0] neg_lo:[0,0,1] neg_hi:[0,0,1]
	v_pk_fma_f32 v[4:5], v[6:7], v[0:1], v[4:5] op_sel:[0,0,1] op_sel_hi:[1,0,0]
	v_mov_b32_e32 v9, v5
	ds_load_2addr_b64 v[4:7], v148 offset0:12 offset1:13
	v_pk_add_f32 v[38:39], v[38:39], v[10:11] neg_lo:[0,1] neg_hi:[0,1]
	v_pk_add_f32 v[34:35], v[34:35], v[8:9] neg_lo:[0,1] neg_hi:[0,1]
	s_wait_dscnt 0x0
	v_dual_mul_f32 v8, v5, v3 :: v_dual_mul_f32 v10, v5, v0
	s_delay_alu instid0(VALU_DEP_1) | instskip(NEXT) | instid1(VALU_DEP_2)
	v_pk_fma_f32 v[8:9], v[4:5], v[44:45], v[8:9] op_sel_hi:[1,1,0] neg_lo:[0,0,1] neg_hi:[0,0,1]
	v_pk_fma_f32 v[4:5], v[4:5], v[44:45], v[10:11] op_sel:[1,0,0] op_sel_hi:[0,1,0]
	s_delay_alu instid0(VALU_DEP_1) | instskip(SKIP_1) | instid1(VALU_DEP_2)
	v_mov_b32_e32 v9, v5
	v_pk_mul_f32 v[4:5], v[6:7], v[2:3] op_sel:[0,1]
	v_pk_add_f32 v[64:65], v[64:65], v[8:9] neg_lo:[0,1] neg_hi:[0,1]
	s_delay_alu instid0(VALU_DEP_2) | instskip(SKIP_1) | instid1(VALU_DEP_1)
	v_pk_fma_f32 v[8:9], v[6:7], v[0:1], v[4:5] op_sel:[0,0,1] op_sel_hi:[1,1,0] neg_lo:[0,0,1] neg_hi:[0,0,1]
	v_pk_fma_f32 v[4:5], v[6:7], v[0:1], v[4:5] op_sel:[0,0,1] op_sel_hi:[1,0,0]
	v_mov_b32_e32 v9, v5
	ds_load_2addr_b64 v[4:7], v148 offset0:14 offset1:15
	v_pk_add_f32 v[60:61], v[60:61], v[8:9] neg_lo:[0,1] neg_hi:[0,1]
	s_wait_dscnt 0x0
	v_pk_mul_f32 v[8:9], v[4:5], v[2:3] op_sel:[0,1]
	s_delay_alu instid0(VALU_DEP_1) | instskip(SKIP_1) | instid1(VALU_DEP_1)
	v_pk_fma_f32 v[10:11], v[4:5], v[0:1], v[8:9] op_sel:[0,0,1] op_sel_hi:[1,1,0] neg_lo:[0,0,1] neg_hi:[0,0,1]
	v_pk_fma_f32 v[4:5], v[4:5], v[0:1], v[8:9] op_sel:[0,0,1] op_sel_hi:[1,0,0]
	v_mov_b32_e32 v11, v5
	v_pk_mul_f32 v[4:5], v[6:7], v[2:3] op_sel:[0,1]
	s_delay_alu instid0(VALU_DEP_2) | instskip(NEXT) | instid1(VALU_DEP_2)
	v_pk_add_f32 v[62:63], v[62:63], v[10:11] neg_lo:[0,1] neg_hi:[0,1]
	v_pk_fma_f32 v[8:9], v[6:7], v[0:1], v[4:5] op_sel:[0,0,1] op_sel_hi:[1,1,0] neg_lo:[0,0,1] neg_hi:[0,0,1]
	v_pk_fma_f32 v[4:5], v[6:7], v[0:1], v[4:5] op_sel:[0,0,1] op_sel_hi:[1,0,0]
	s_delay_alu instid0(VALU_DEP_1) | instskip(SKIP_4) | instid1(VALU_DEP_1)
	v_mov_b32_e32 v9, v5
	ds_load_2addr_b64 v[4:7], v148 offset0:16 offset1:17
	v_pk_add_f32 v[58:59], v[58:59], v[8:9] neg_lo:[0,1] neg_hi:[0,1]
	s_wait_dscnt 0x0
	v_pk_mul_f32 v[8:9], v[4:5], v[2:3] op_sel:[0,1]
	v_pk_fma_f32 v[10:11], v[4:5], v[0:1], v[8:9] op_sel:[0,0,1] op_sel_hi:[1,1,0] neg_lo:[0,0,1] neg_hi:[0,0,1]
	v_pk_fma_f32 v[4:5], v[4:5], v[0:1], v[8:9] op_sel:[0,0,1] op_sel_hi:[1,0,0]
	v_dual_mul_f32 v8, v7, v3 :: v_dual_mov_b32 v4, v7
	s_delay_alu instid0(VALU_DEP_2) | instskip(NEXT) | instid1(VALU_DEP_2)
	v_dual_mov_b32 v11, v5 :: v_dual_mov_b32 v5, v6
	v_pk_fma_f32 v[8:9], v[6:7], v[44:45], v[8:9] op_sel_hi:[1,1,0] neg_lo:[0,0,1] neg_hi:[0,0,1]
	v_mul_f32_e32 v6, v7, v0
	s_delay_alu instid0(VALU_DEP_3) | instskip(NEXT) | instid1(VALU_DEP_2)
	v_pk_add_f32 v[80:81], v[80:81], v[10:11] neg_lo:[0,1] neg_hi:[0,1]
	v_pk_fma_f32 v[4:5], v[4:5], v[44:45], v[6:7] op_sel_hi:[1,1,0]
	s_delay_alu instid0(VALU_DEP_1) | instskip(SKIP_4) | instid1(VALU_DEP_1)
	v_mov_b32_e32 v9, v5
	ds_load_2addr_b64 v[4:7], v148 offset0:18 offset1:19
	v_pk_add_f32 v[76:77], v[76:77], v[8:9] neg_lo:[0,1] neg_hi:[0,1]
	s_wait_dscnt 0x0
	v_pk_mul_f32 v[8:9], v[4:5], v[2:3] op_sel:[0,1]
	v_pk_fma_f32 v[10:11], v[4:5], v[0:1], v[8:9] op_sel:[0,0,1] op_sel_hi:[1,1,0] neg_lo:[0,0,1] neg_hi:[0,0,1]
	v_pk_fma_f32 v[4:5], v[4:5], v[0:1], v[8:9] op_sel:[0,0,1] op_sel_hi:[1,0,0]
	s_delay_alu instid0(VALU_DEP_1) | instskip(SKIP_1) | instid1(VALU_DEP_1)
	v_mov_b32_e32 v11, v5
	v_pk_mul_f32 v[4:5], v[6:7], v[2:3] op_sel:[0,1]
	v_pk_fma_f32 v[8:9], v[6:7], v[0:1], v[4:5] op_sel:[0,0,1] op_sel_hi:[1,1,0] neg_lo:[0,0,1] neg_hi:[0,0,1]
	v_pk_fma_f32 v[4:5], v[6:7], v[0:1], v[4:5] op_sel:[0,0,1] op_sel_hi:[1,0,0]
	s_delay_alu instid0(VALU_DEP_1)
	v_mov_b32_e32 v9, v5
	ds_load_2addr_b64 v[4:7], v148 offset0:20 offset1:21
	v_pk_add_f32 v[78:79], v[78:79], v[10:11] neg_lo:[0,1] neg_hi:[0,1]
	v_pk_add_f32 v[74:75], v[74:75], v[8:9] neg_lo:[0,1] neg_hi:[0,1]
	s_wait_dscnt 0x0
	v_pk_mul_f32 v[8:9], v[4:5], v[2:3] op_sel:[0,1]
	s_delay_alu instid0(VALU_DEP_1) | instskip(SKIP_1) | instid1(VALU_DEP_1)
	v_pk_fma_f32 v[10:11], v[4:5], v[0:1], v[8:9] op_sel:[0,0,1] op_sel_hi:[1,1,0] neg_lo:[0,0,1] neg_hi:[0,0,1]
	v_pk_fma_f32 v[4:5], v[4:5], v[0:1], v[8:9] op_sel:[0,0,1] op_sel_hi:[1,0,0]
	v_mov_b32_e32 v11, v5
	v_pk_mul_f32 v[4:5], v[6:7], v[2:3] op_sel:[0,1]
	s_delay_alu instid0(VALU_DEP_1) | instskip(SKIP_1) | instid1(VALU_DEP_1)
	v_pk_fma_f32 v[8:9], v[6:7], v[0:1], v[4:5] op_sel:[0,0,1] op_sel_hi:[1,1,0] neg_lo:[0,0,1] neg_hi:[0,0,1]
	v_pk_fma_f32 v[4:5], v[6:7], v[0:1], v[4:5] op_sel:[0,0,1] op_sel_hi:[1,0,0]
	v_mov_b32_e32 v9, v5
	ds_load_2addr_b64 v[4:7], v148 offset0:22 offset1:23
	v_pk_add_f32 v[96:97], v[96:97], v[10:11] neg_lo:[0,1] neg_hi:[0,1]
	v_pk_add_f32 v[92:93], v[92:93], v[8:9] neg_lo:[0,1] neg_hi:[0,1]
	s_wait_dscnt 0x0
	v_dual_mul_f32 v8, v5, v3 :: v_dual_mul_f32 v10, v5, v0
	s_delay_alu instid0(VALU_DEP_1) | instskip(NEXT) | instid1(VALU_DEP_2)
	v_pk_fma_f32 v[8:9], v[4:5], v[44:45], v[8:9] op_sel_hi:[1,1,0] neg_lo:[0,0,1] neg_hi:[0,0,1]
	v_pk_fma_f32 v[4:5], v[4:5], v[44:45], v[10:11] op_sel:[1,0,0] op_sel_hi:[0,1,0]
	s_delay_alu instid0(VALU_DEP_1) | instskip(SKIP_1) | instid1(VALU_DEP_2)
	v_mov_b32_e32 v9, v5
	v_pk_mul_f32 v[4:5], v[6:7], v[2:3] op_sel:[0,1]
	v_pk_add_f32 v[94:95], v[94:95], v[8:9] neg_lo:[0,1] neg_hi:[0,1]
	s_delay_alu instid0(VALU_DEP_2) | instskip(SKIP_1) | instid1(VALU_DEP_1)
	v_pk_fma_f32 v[8:9], v[6:7], v[0:1], v[4:5] op_sel:[0,0,1] op_sel_hi:[1,1,0] neg_lo:[0,0,1] neg_hi:[0,0,1]
	v_pk_fma_f32 v[4:5], v[6:7], v[0:1], v[4:5] op_sel:[0,0,1] op_sel_hi:[1,0,0]
	v_mov_b32_e32 v9, v5
	ds_load_2addr_b64 v[4:7], v148 offset0:24 offset1:25
	v_pk_add_f32 v[90:91], v[90:91], v[8:9] neg_lo:[0,1] neg_hi:[0,1]
	s_wait_dscnt 0x0
	v_pk_mul_f32 v[8:9], v[4:5], v[2:3] op_sel:[0,1]
	s_delay_alu instid0(VALU_DEP_1) | instskip(SKIP_1) | instid1(VALU_DEP_1)
	v_pk_fma_f32 v[10:11], v[4:5], v[0:1], v[8:9] op_sel:[0,0,1] op_sel_hi:[1,1,0] neg_lo:[0,0,1] neg_hi:[0,0,1]
	v_pk_fma_f32 v[4:5], v[4:5], v[0:1], v[8:9] op_sel:[0,0,1] op_sel_hi:[1,0,0]
	v_mov_b32_e32 v11, v5
	v_pk_mul_f32 v[4:5], v[6:7], v[2:3] op_sel:[0,1]
	s_delay_alu instid0(VALU_DEP_2) | instskip(NEXT) | instid1(VALU_DEP_2)
	v_pk_add_f32 v[112:113], v[112:113], v[10:11] neg_lo:[0,1] neg_hi:[0,1]
	v_pk_fma_f32 v[8:9], v[6:7], v[0:1], v[4:5] op_sel:[0,0,1] op_sel_hi:[1,1,0] neg_lo:[0,0,1] neg_hi:[0,0,1]
	v_pk_fma_f32 v[4:5], v[6:7], v[0:1], v[4:5] op_sel:[0,0,1] op_sel_hi:[1,0,0]
	s_delay_alu instid0(VALU_DEP_1) | instskip(SKIP_4) | instid1(VALU_DEP_1)
	v_mov_b32_e32 v9, v5
	ds_load_2addr_b64 v[4:7], v148 offset0:26 offset1:27
	v_pk_add_f32 v[108:109], v[108:109], v[8:9] neg_lo:[0,1] neg_hi:[0,1]
	s_wait_dscnt 0x0
	v_pk_mul_f32 v[8:9], v[4:5], v[2:3] op_sel:[0,1]
	v_pk_fma_f32 v[10:11], v[4:5], v[0:1], v[8:9] op_sel:[0,0,1] op_sel_hi:[1,1,0] neg_lo:[0,0,1] neg_hi:[0,0,1]
	v_pk_fma_f32 v[4:5], v[4:5], v[0:1], v[8:9] op_sel:[0,0,1] op_sel_hi:[1,0,0]
	v_dual_mul_f32 v8, v7, v3 :: v_dual_mov_b32 v4, v7
	s_delay_alu instid0(VALU_DEP_2) | instskip(NEXT) | instid1(VALU_DEP_2)
	v_dual_mov_b32 v11, v5 :: v_dual_mov_b32 v5, v6
	v_pk_fma_f32 v[8:9], v[6:7], v[44:45], v[8:9] op_sel_hi:[1,1,0] neg_lo:[0,0,1] neg_hi:[0,0,1]
	v_mul_f32_e32 v6, v7, v0
	s_delay_alu instid0(VALU_DEP_3) | instskip(NEXT) | instid1(VALU_DEP_2)
	v_pk_add_f32 v[110:111], v[110:111], v[10:11] neg_lo:[0,1] neg_hi:[0,1]
	v_pk_fma_f32 v[4:5], v[4:5], v[44:45], v[6:7] op_sel_hi:[1,1,0]
	s_delay_alu instid0(VALU_DEP_1) | instskip(SKIP_4) | instid1(VALU_DEP_1)
	v_mov_b32_e32 v9, v5
	ds_load_2addr_b64 v[4:7], v148 offset0:28 offset1:29
	v_pk_add_f32 v[106:107], v[106:107], v[8:9] neg_lo:[0,1] neg_hi:[0,1]
	s_wait_dscnt 0x0
	v_pk_mul_f32 v[8:9], v[4:5], v[2:3] op_sel:[0,1]
	v_pk_fma_f32 v[10:11], v[4:5], v[0:1], v[8:9] op_sel:[0,0,1] op_sel_hi:[1,1,0] neg_lo:[0,0,1] neg_hi:[0,0,1]
	v_pk_fma_f32 v[4:5], v[4:5], v[0:1], v[8:9] op_sel:[0,0,1] op_sel_hi:[1,0,0]
	s_delay_alu instid0(VALU_DEP_1) | instskip(SKIP_1) | instid1(VALU_DEP_1)
	v_mov_b32_e32 v11, v5
	v_pk_mul_f32 v[4:5], v[6:7], v[2:3] op_sel:[0,1]
	v_pk_fma_f32 v[8:9], v[6:7], v[0:1], v[4:5] op_sel:[0,0,1] op_sel_hi:[1,1,0] neg_lo:[0,0,1] neg_hi:[0,0,1]
	v_pk_fma_f32 v[4:5], v[6:7], v[0:1], v[4:5] op_sel:[0,0,1] op_sel_hi:[1,0,0]
	s_delay_alu instid0(VALU_DEP_1)
	v_mov_b32_e32 v9, v5
	ds_load_2addr_b64 v[4:7], v148 offset0:30 offset1:31
	v_pk_add_f32 v[130:131], v[130:131], v[10:11] neg_lo:[0,1] neg_hi:[0,1]
	v_pk_add_f32 v[126:127], v[126:127], v[8:9] neg_lo:[0,1] neg_hi:[0,1]
	s_wait_dscnt 0x0
	v_pk_mul_f32 v[8:9], v[4:5], v[2:3] op_sel:[0,1]
	s_delay_alu instid0(VALU_DEP_1) | instskip(SKIP_1) | instid1(VALU_DEP_1)
	v_pk_fma_f32 v[10:11], v[4:5], v[0:1], v[8:9] op_sel:[0,0,1] op_sel_hi:[1,1,0] neg_lo:[0,0,1] neg_hi:[0,0,1]
	v_pk_fma_f32 v[4:5], v[4:5], v[0:1], v[8:9] op_sel:[0,0,1] op_sel_hi:[1,0,0]
	v_mov_b32_e32 v11, v5
	v_pk_mul_f32 v[4:5], v[6:7], v[2:3] op_sel:[0,1]
	s_delay_alu instid0(VALU_DEP_1) | instskip(SKIP_1) | instid1(VALU_DEP_1)
	v_pk_fma_f32 v[8:9], v[6:7], v[0:1], v[4:5] op_sel:[0,0,1] op_sel_hi:[1,1,0] neg_lo:[0,0,1] neg_hi:[0,0,1]
	v_pk_fma_f32 v[4:5], v[6:7], v[0:1], v[4:5] op_sel:[0,0,1] op_sel_hi:[1,0,0]
	v_mov_b32_e32 v9, v5
	ds_load_2addr_b64 v[4:7], v148 offset0:32 offset1:33
	v_pk_add_f32 v[128:129], v[128:129], v[10:11] neg_lo:[0,1] neg_hi:[0,1]
	v_pk_add_f32 v[124:125], v[124:125], v[8:9] neg_lo:[0,1] neg_hi:[0,1]
	s_wait_dscnt 0x0
	v_dual_mul_f32 v8, v5, v3 :: v_dual_mul_f32 v10, v5, v0
	s_delay_alu instid0(VALU_DEP_1) | instskip(NEXT) | instid1(VALU_DEP_2)
	v_pk_fma_f32 v[8:9], v[4:5], v[44:45], v[8:9] op_sel_hi:[1,1,0] neg_lo:[0,0,1] neg_hi:[0,0,1]
	v_pk_fma_f32 v[4:5], v[4:5], v[44:45], v[10:11] op_sel:[1,0,0] op_sel_hi:[0,1,0]
	s_delay_alu instid0(VALU_DEP_1) | instskip(SKIP_1) | instid1(VALU_DEP_2)
	v_mov_b32_e32 v9, v5
	v_pk_mul_f32 v[4:5], v[6:7], v[2:3] op_sel:[0,1]
	v_pk_add_f32 v[146:147], v[146:147], v[8:9] neg_lo:[0,1] neg_hi:[0,1]
	s_delay_alu instid0(VALU_DEP_2) | instskip(SKIP_1) | instid1(VALU_DEP_1)
	v_pk_fma_f32 v[8:9], v[6:7], v[0:1], v[4:5] op_sel:[0,0,1] op_sel_hi:[1,1,0] neg_lo:[0,0,1] neg_hi:[0,0,1]
	v_pk_fma_f32 v[4:5], v[6:7], v[0:1], v[4:5] op_sel:[0,0,1] op_sel_hi:[1,0,0]
	v_mov_b32_e32 v9, v5
	ds_load_2addr_b64 v[4:7], v148 offset0:34 offset1:35
	v_pk_add_f32 v[142:143], v[142:143], v[8:9] neg_lo:[0,1] neg_hi:[0,1]
	s_wait_dscnt 0x0
	v_pk_mul_f32 v[8:9], v[4:5], v[2:3] op_sel:[0,1]
	s_delay_alu instid0(VALU_DEP_1) | instskip(SKIP_1) | instid1(VALU_DEP_1)
	v_pk_fma_f32 v[10:11], v[4:5], v[0:1], v[8:9] op_sel:[0,0,1] op_sel_hi:[1,1,0] neg_lo:[0,0,1] neg_hi:[0,0,1]
	v_pk_fma_f32 v[4:5], v[4:5], v[0:1], v[8:9] op_sel:[0,0,1] op_sel_hi:[1,0,0]
	v_mov_b32_e32 v11, v5
	v_pk_mul_f32 v[4:5], v[6:7], v[2:3] op_sel:[0,1]
	s_delay_alu instid0(VALU_DEP_2) | instskip(NEXT) | instid1(VALU_DEP_2)
	v_pk_add_f32 v[144:145], v[144:145], v[10:11] neg_lo:[0,1] neg_hi:[0,1]
	v_pk_fma_f32 v[8:9], v[6:7], v[0:1], v[4:5] op_sel:[0,0,1] op_sel_hi:[1,1,0] neg_lo:[0,0,1] neg_hi:[0,0,1]
	v_pk_fma_f32 v[4:5], v[6:7], v[0:1], v[4:5] op_sel:[0,0,1] op_sel_hi:[1,0,0]
	s_delay_alu instid0(VALU_DEP_1) | instskip(SKIP_4) | instid1(VALU_DEP_1)
	v_mov_b32_e32 v9, v5
	ds_load_2addr_b64 v[4:7], v148 offset0:36 offset1:37
	v_pk_add_f32 v[140:141], v[140:141], v[8:9] neg_lo:[0,1] neg_hi:[0,1]
	s_wait_dscnt 0x0
	v_pk_mul_f32 v[8:9], v[4:5], v[2:3] op_sel:[0,1]
	v_pk_fma_f32 v[10:11], v[4:5], v[0:1], v[8:9] op_sel:[0,0,1] op_sel_hi:[1,1,0] neg_lo:[0,0,1] neg_hi:[0,0,1]
	v_pk_fma_f32 v[4:5], v[4:5], v[0:1], v[8:9] op_sel:[0,0,1] op_sel_hi:[1,0,0]
	v_dual_mul_f32 v8, v7, v3 :: v_dual_mov_b32 v4, v7
	s_delay_alu instid0(VALU_DEP_2) | instskip(NEXT) | instid1(VALU_DEP_2)
	v_dual_mov_b32 v11, v5 :: v_dual_mov_b32 v5, v6
	v_pk_fma_f32 v[8:9], v[6:7], v[44:45], v[8:9] op_sel_hi:[1,1,0] neg_lo:[0,0,1] neg_hi:[0,0,1]
	v_mul_f32_e32 v6, v7, v0
	s_delay_alu instid0(VALU_DEP_3) | instskip(NEXT) | instid1(VALU_DEP_2)
	v_pk_add_f32 v[162:163], v[162:163], v[10:11] neg_lo:[0,1] neg_hi:[0,1]
	v_pk_fma_f32 v[4:5], v[4:5], v[44:45], v[6:7] op_sel_hi:[1,1,0]
	s_delay_alu instid0(VALU_DEP_1) | instskip(SKIP_4) | instid1(VALU_DEP_1)
	v_mov_b32_e32 v9, v5
	ds_load_2addr_b64 v[4:7], v148 offset0:38 offset1:39
	v_pk_add_f32 v[158:159], v[158:159], v[8:9] neg_lo:[0,1] neg_hi:[0,1]
	s_wait_dscnt 0x0
	v_pk_mul_f32 v[8:9], v[4:5], v[2:3] op_sel:[0,1]
	v_pk_fma_f32 v[10:11], v[4:5], v[0:1], v[8:9] op_sel:[0,0,1] op_sel_hi:[1,1,0] neg_lo:[0,0,1] neg_hi:[0,0,1]
	v_pk_fma_f32 v[4:5], v[4:5], v[0:1], v[8:9] op_sel:[0,0,1] op_sel_hi:[1,0,0]
	s_delay_alu instid0(VALU_DEP_1) | instskip(SKIP_1) | instid1(VALU_DEP_1)
	v_mov_b32_e32 v11, v5
	v_pk_mul_f32 v[4:5], v[6:7], v[2:3] op_sel:[0,1]
	v_pk_fma_f32 v[8:9], v[6:7], v[0:1], v[4:5] op_sel:[0,0,1] op_sel_hi:[1,1,0] neg_lo:[0,0,1] neg_hi:[0,0,1]
	v_pk_fma_f32 v[4:5], v[6:7], v[0:1], v[4:5] op_sel:[0,0,1] op_sel_hi:[1,0,0]
	s_delay_alu instid0(VALU_DEP_1)
	v_mov_b32_e32 v9, v5
	ds_load_2addr_b64 v[4:7], v148 offset0:40 offset1:41
	v_pk_add_f32 v[160:161], v[160:161], v[10:11] neg_lo:[0,1] neg_hi:[0,1]
	v_pk_add_f32 v[156:157], v[156:157], v[8:9] neg_lo:[0,1] neg_hi:[0,1]
	s_wait_dscnt 0x0
	v_pk_mul_f32 v[8:9], v[4:5], v[2:3] op_sel:[0,1]
	s_delay_alu instid0(VALU_DEP_1) | instskip(SKIP_1) | instid1(VALU_DEP_1)
	v_pk_fma_f32 v[10:11], v[4:5], v[0:1], v[8:9] op_sel:[0,0,1] op_sel_hi:[1,1,0] neg_lo:[0,0,1] neg_hi:[0,0,1]
	v_pk_fma_f32 v[4:5], v[4:5], v[0:1], v[8:9] op_sel:[0,0,1] op_sel_hi:[1,0,0]
	v_mov_b32_e32 v11, v5
	v_pk_mul_f32 v[4:5], v[6:7], v[2:3] op_sel:[0,1]
	s_delay_alu instid0(VALU_DEP_1) | instskip(SKIP_1) | instid1(VALU_DEP_1)
	v_pk_fma_f32 v[8:9], v[6:7], v[0:1], v[4:5] op_sel:[0,0,1] op_sel_hi:[1,1,0] neg_lo:[0,0,1] neg_hi:[0,0,1]
	v_pk_fma_f32 v[4:5], v[6:7], v[0:1], v[4:5] op_sel:[0,0,1] op_sel_hi:[1,0,0]
	v_mov_b32_e32 v9, v5
	ds_load_2addr_b64 v[4:7], v148 offset0:42 offset1:43
	v_pk_add_f32 v[178:179], v[178:179], v[10:11] neg_lo:[0,1] neg_hi:[0,1]
	v_pk_add_f32 v[174:175], v[174:175], v[8:9] neg_lo:[0,1] neg_hi:[0,1]
	s_wait_dscnt 0x0
	v_dual_mul_f32 v8, v5, v3 :: v_dual_mul_f32 v10, v5, v0
	s_delay_alu instid0(VALU_DEP_1) | instskip(NEXT) | instid1(VALU_DEP_2)
	v_pk_fma_f32 v[8:9], v[4:5], v[44:45], v[8:9] op_sel_hi:[1,1,0] neg_lo:[0,0,1] neg_hi:[0,0,1]
	v_pk_fma_f32 v[4:5], v[4:5], v[44:45], v[10:11] op_sel:[1,0,0] op_sel_hi:[0,1,0]
	s_delay_alu instid0(VALU_DEP_1) | instskip(SKIP_1) | instid1(VALU_DEP_2)
	v_mov_b32_e32 v9, v5
	v_pk_mul_f32 v[4:5], v[6:7], v[2:3] op_sel:[0,1]
	v_pk_add_f32 v[176:177], v[176:177], v[8:9] neg_lo:[0,1] neg_hi:[0,1]
	s_delay_alu instid0(VALU_DEP_2) | instskip(SKIP_1) | instid1(VALU_DEP_1)
	v_pk_fma_f32 v[8:9], v[6:7], v[0:1], v[4:5] op_sel:[0,0,1] op_sel_hi:[1,1,0] neg_lo:[0,0,1] neg_hi:[0,0,1]
	v_pk_fma_f32 v[4:5], v[6:7], v[0:1], v[4:5] op_sel:[0,0,1] op_sel_hi:[1,0,0]
	v_mov_b32_e32 v9, v5
	ds_load_2addr_b64 v[4:7], v148 offset0:44 offset1:45
	v_pk_add_f32 v[172:173], v[172:173], v[8:9] neg_lo:[0,1] neg_hi:[0,1]
	s_wait_dscnt 0x0
	v_pk_mul_f32 v[8:9], v[4:5], v[2:3] op_sel:[0,1]
	s_delay_alu instid0(VALU_DEP_1) | instskip(SKIP_1) | instid1(VALU_DEP_1)
	v_pk_fma_f32 v[10:11], v[4:5], v[0:1], v[8:9] op_sel:[0,0,1] op_sel_hi:[1,1,0] neg_lo:[0,0,1] neg_hi:[0,0,1]
	v_pk_fma_f32 v[4:5], v[4:5], v[0:1], v[8:9] op_sel:[0,0,1] op_sel_hi:[1,0,0]
	v_mov_b32_e32 v11, v5
	v_pk_mul_f32 v[4:5], v[6:7], v[2:3] op_sel:[0,1]
	s_delay_alu instid0(VALU_DEP_2) | instskip(NEXT) | instid1(VALU_DEP_2)
	v_pk_add_f32 v[196:197], v[196:197], v[10:11] neg_lo:[0,1] neg_hi:[0,1]
	v_pk_fma_f32 v[8:9], v[6:7], v[0:1], v[4:5] op_sel:[0,0,1] op_sel_hi:[1,1,0] neg_lo:[0,0,1] neg_hi:[0,0,1]
	v_pk_fma_f32 v[4:5], v[6:7], v[0:1], v[4:5] op_sel:[0,0,1] op_sel_hi:[1,0,0]
	s_delay_alu instid0(VALU_DEP_1) | instskip(SKIP_4) | instid1(VALU_DEP_1)
	v_mov_b32_e32 v9, v5
	ds_load_2addr_b64 v[4:7], v148 offset0:46 offset1:47
	v_pk_add_f32 v[192:193], v[192:193], v[8:9] neg_lo:[0,1] neg_hi:[0,1]
	s_wait_dscnt 0x0
	v_pk_mul_f32 v[8:9], v[4:5], v[2:3] op_sel:[0,1]
	v_pk_fma_f32 v[10:11], v[4:5], v[0:1], v[8:9] op_sel:[0,0,1] op_sel_hi:[1,1,0] neg_lo:[0,0,1] neg_hi:[0,0,1]
	v_pk_fma_f32 v[4:5], v[4:5], v[0:1], v[8:9] op_sel:[0,0,1] op_sel_hi:[1,0,0]
	v_dual_mul_f32 v8, v7, v3 :: v_dual_mov_b32 v4, v7
	s_delay_alu instid0(VALU_DEP_2) | instskip(NEXT) | instid1(VALU_DEP_2)
	v_dual_mov_b32 v11, v5 :: v_dual_mov_b32 v5, v6
	v_pk_fma_f32 v[8:9], v[6:7], v[44:45], v[8:9] op_sel_hi:[1,1,0] neg_lo:[0,0,1] neg_hi:[0,0,1]
	v_mul_f32_e32 v6, v7, v0
	s_delay_alu instid0(VALU_DEP_3) | instskip(NEXT) | instid1(VALU_DEP_2)
	v_pk_add_f32 v[194:195], v[194:195], v[10:11] neg_lo:[0,1] neg_hi:[0,1]
	v_pk_fma_f32 v[4:5], v[4:5], v[44:45], v[6:7] op_sel_hi:[1,1,0]
	s_delay_alu instid0(VALU_DEP_1) | instskip(SKIP_4) | instid1(VALU_DEP_1)
	v_mov_b32_e32 v9, v5
	ds_load_2addr_b64 v[4:7], v148 offset0:48 offset1:49
	v_pk_add_f32 v[190:191], v[190:191], v[8:9] neg_lo:[0,1] neg_hi:[0,1]
	s_wait_dscnt 0x0
	v_pk_mul_f32 v[8:9], v[4:5], v[2:3] op_sel:[0,1]
	v_pk_fma_f32 v[10:11], v[4:5], v[0:1], v[8:9] op_sel:[0,0,1] op_sel_hi:[1,1,0] neg_lo:[0,0,1] neg_hi:[0,0,1]
	v_pk_fma_f32 v[4:5], v[4:5], v[0:1], v[8:9] op_sel:[0,0,1] op_sel_hi:[1,0,0]
	s_delay_alu instid0(VALU_DEP_1) | instskip(SKIP_1) | instid1(VALU_DEP_1)
	v_mov_b32_e32 v11, v5
	v_pk_mul_f32 v[4:5], v[6:7], v[2:3] op_sel:[0,1]
	v_pk_fma_f32 v[8:9], v[6:7], v[0:1], v[4:5] op_sel:[0,0,1] op_sel_hi:[1,1,0] neg_lo:[0,0,1] neg_hi:[0,0,1]
	v_pk_fma_f32 v[4:5], v[6:7], v[0:1], v[4:5] op_sel:[0,0,1] op_sel_hi:[1,0,0]
	s_delay_alu instid0(VALU_DEP_1)
	v_mov_b32_e32 v9, v5
	ds_load_2addr_b64 v[4:7], v148 offset0:50 offset1:51
	v_pk_add_f32 v[212:213], v[212:213], v[10:11] neg_lo:[0,1] neg_hi:[0,1]
	v_pk_add_f32 v[208:209], v[208:209], v[8:9] neg_lo:[0,1] neg_hi:[0,1]
	s_wait_dscnt 0x0
	v_pk_mul_f32 v[8:9], v[4:5], v[2:3] op_sel:[0,1]
	s_delay_alu instid0(VALU_DEP_1) | instskip(SKIP_1) | instid1(VALU_DEP_1)
	v_pk_fma_f32 v[10:11], v[4:5], v[0:1], v[8:9] op_sel:[0,0,1] op_sel_hi:[1,1,0] neg_lo:[0,0,1] neg_hi:[0,0,1]
	v_pk_fma_f32 v[4:5], v[4:5], v[0:1], v[8:9] op_sel:[0,0,1] op_sel_hi:[1,0,0]
	v_mov_b32_e32 v11, v5
	v_pk_mul_f32 v[4:5], v[6:7], v[2:3] op_sel:[0,1]
	s_delay_alu instid0(VALU_DEP_1) | instskip(SKIP_1) | instid1(VALU_DEP_1)
	v_pk_fma_f32 v[8:9], v[6:7], v[0:1], v[4:5] op_sel:[0,0,1] op_sel_hi:[1,1,0] neg_lo:[0,0,1] neg_hi:[0,0,1]
	v_pk_fma_f32 v[4:5], v[6:7], v[0:1], v[4:5] op_sel:[0,0,1] op_sel_hi:[1,0,0]
	v_mov_b32_e32 v9, v5
	ds_load_2addr_b64 v[4:7], v148 offset0:52 offset1:53
	v_pk_add_f32 v[210:211], v[210:211], v[10:11] neg_lo:[0,1] neg_hi:[0,1]
	v_pk_add_f32 v[206:207], v[206:207], v[8:9] neg_lo:[0,1] neg_hi:[0,1]
	s_wait_dscnt 0x0
	v_dual_mul_f32 v8, v5, v3 :: v_dual_mul_f32 v10, v5, v0
	v_pk_mul_f32 v[2:3], v[6:7], v[2:3] op_sel:[0,1]
	s_delay_alu instid0(VALU_DEP_2) | instskip(NEXT) | instid1(VALU_DEP_3)
	v_pk_fma_f32 v[8:9], v[4:5], v[44:45], v[8:9] op_sel_hi:[1,1,0] neg_lo:[0,0,1] neg_hi:[0,0,1]
	v_pk_fma_f32 v[4:5], v[4:5], v[44:45], v[10:11] op_sel:[1,0,0] op_sel_hi:[0,1,0]
	s_delay_alu instid0(VALU_DEP_1) | instskip(NEXT) | instid1(VALU_DEP_4)
	v_mov_b32_e32 v9, v5
	v_pk_fma_f32 v[4:5], v[6:7], v[0:1], v[2:3] op_sel:[0,0,1] op_sel_hi:[1,1,0] neg_lo:[0,0,1] neg_hi:[0,0,1]
	v_pk_fma_f32 v[0:1], v[6:7], v[0:1], v[2:3] op_sel:[0,0,1] op_sel_hi:[1,0,0]
	s_delay_alu instid0(VALU_DEP_1) | instskip(NEXT) | instid1(VALU_DEP_4)
	v_mov_b32_e32 v5, v1
	v_pk_add_f32 v[214:215], v[214:215], v[8:9] neg_lo:[0,1] neg_hi:[0,1]
	s_delay_alu instid0(VALU_DEP_2)
	v_pk_add_f32 v[216:217], v[216:217], v[4:5] neg_lo:[0,1] neg_hi:[0,1]
.LBB107_37:
	s_wait_xcnt 0x0
	s_or_b32 exec_lo, exec_lo, s1
	s_delay_alu instid0(SALU_CYCLE_1)
	s_mov_b32 s2, exec_lo
	s_wait_storecnt 0x0
	s_barrier_signal -1
	s_barrier_wait -1
	v_cmpx_eq_u32_e32 4, v138
	s_cbranch_execz .LBB107_44
; %bb.38:
	ds_store_b64 v139, v[26:27]
	ds_store_2addr_b64 v148, v[22:23], v[24:25] offset0:5 offset1:6
	ds_store_2addr_b64 v148, v[20:21], v[40:41] offset0:7 offset1:8
	;; [unrolled: 1-line block ×24, first 2 shown]
	ds_store_b64 v148, v[216:217] offset:424
	ds_load_b64 v[0:1], v139
	s_wait_dscnt 0x0
	v_cmp_neq_f32_e32 vcc_lo, 0, v0
	v_cmp_neq_f32_e64 s1, 0, v1
	s_or_b32 s1, vcc_lo, s1
	s_delay_alu instid0(SALU_CYCLE_1)
	s_and_b32 exec_lo, exec_lo, s1
	s_cbranch_execz .LBB107_44
; %bb.39:
	v_cmp_ngt_f32_e64 s1, |v0|, |v1|
                                        ; implicit-def: $vgpr2_vgpr3
	s_and_saveexec_b32 s4, s1
	s_delay_alu instid0(SALU_CYCLE_1)
	s_xor_b32 s1, exec_lo, s4
	s_cbranch_execz .LBB107_41
; %bb.40:
	v_div_scale_f32 v2, null, v1, v1, v0
	v_div_scale_f32 v5, vcc_lo, v0, v1, v0
	s_delay_alu instid0(VALU_DEP_2) | instskip(SKIP_1) | instid1(TRANS32_DEP_1)
	v_rcp_f32_e32 v3, v2
	v_nop
	v_fma_f32 v4, -v2, v3, 1.0
	s_delay_alu instid0(VALU_DEP_1) | instskip(NEXT) | instid1(VALU_DEP_1)
	v_fmac_f32_e32 v3, v4, v3
	v_mul_f32_e32 v4, v5, v3
	s_delay_alu instid0(VALU_DEP_1) | instskip(NEXT) | instid1(VALU_DEP_1)
	v_fma_f32 v6, -v2, v4, v5
	v_fmac_f32_e32 v4, v6, v3
	s_delay_alu instid0(VALU_DEP_1) | instskip(NEXT) | instid1(VALU_DEP_1)
	v_fma_f32 v2, -v2, v4, v5
	v_div_fmas_f32 v2, v2, v3, v4
	s_delay_alu instid0(VALU_DEP_1) | instskip(NEXT) | instid1(VALU_DEP_1)
	v_div_fixup_f32 v2, v2, v1, v0
	v_fmac_f32_e32 v1, v0, v2
	s_delay_alu instid0(VALU_DEP_1) | instskip(SKIP_1) | instid1(VALU_DEP_2)
	v_div_scale_f32 v0, null, v1, v1, 1.0
	v_div_scale_f32 v5, vcc_lo, 1.0, v1, 1.0
	v_rcp_f32_e32 v3, v0
	v_nop
	s_delay_alu instid0(TRANS32_DEP_1) | instskip(NEXT) | instid1(VALU_DEP_1)
	v_fma_f32 v4, -v0, v3, 1.0
	v_fmac_f32_e32 v3, v4, v3
	s_delay_alu instid0(VALU_DEP_1) | instskip(NEXT) | instid1(VALU_DEP_1)
	v_mul_f32_e32 v4, v5, v3
	v_fma_f32 v6, -v0, v4, v5
	s_delay_alu instid0(VALU_DEP_1) | instskip(NEXT) | instid1(VALU_DEP_1)
	v_fmac_f32_e32 v4, v6, v3
	v_fma_f32 v0, -v0, v4, v5
	s_delay_alu instid0(VALU_DEP_1) | instskip(NEXT) | instid1(VALU_DEP_1)
	v_div_fmas_f32 v0, v0, v3, v4
	v_div_fixup_f32 v0, v0, v1, 1.0
	s_delay_alu instid0(VALU_DEP_1)
	v_mul_f32_e32 v2, v2, v0
	v_xor_b32_e32 v3, 0x80000000, v0
                                        ; implicit-def: $vgpr0_vgpr1
.LBB107_41:
	s_and_not1_saveexec_b32 s1, s1
	s_cbranch_execz .LBB107_43
; %bb.42:
	v_div_scale_f32 v2, null, v0, v0, v1
	v_div_scale_f32 v5, vcc_lo, v1, v0, v1
	s_delay_alu instid0(VALU_DEP_2) | instskip(SKIP_1) | instid1(TRANS32_DEP_1)
	v_rcp_f32_e32 v3, v2
	v_nop
	v_fma_f32 v4, -v2, v3, 1.0
	s_delay_alu instid0(VALU_DEP_1) | instskip(NEXT) | instid1(VALU_DEP_1)
	v_fmac_f32_e32 v3, v4, v3
	v_mul_f32_e32 v4, v5, v3
	s_delay_alu instid0(VALU_DEP_1) | instskip(NEXT) | instid1(VALU_DEP_1)
	v_fma_f32 v6, -v2, v4, v5
	v_fmac_f32_e32 v4, v6, v3
	s_delay_alu instid0(VALU_DEP_1) | instskip(NEXT) | instid1(VALU_DEP_1)
	v_fma_f32 v2, -v2, v4, v5
	v_div_fmas_f32 v2, v2, v3, v4
	s_delay_alu instid0(VALU_DEP_1) | instskip(NEXT) | instid1(VALU_DEP_1)
	v_div_fixup_f32 v3, v2, v0, v1
	v_fmac_f32_e32 v0, v1, v3
	s_delay_alu instid0(VALU_DEP_1) | instskip(NEXT) | instid1(VALU_DEP_1)
	v_div_scale_f32 v1, null, v0, v0, 1.0
	v_rcp_f32_e32 v2, v1
	v_nop
	s_delay_alu instid0(TRANS32_DEP_1) | instskip(NEXT) | instid1(VALU_DEP_1)
	v_fma_f32 v4, -v1, v2, 1.0
	v_fmac_f32_e32 v2, v4, v2
	v_div_scale_f32 v4, vcc_lo, 1.0, v0, 1.0
	s_delay_alu instid0(VALU_DEP_1) | instskip(NEXT) | instid1(VALU_DEP_1)
	v_mul_f32_e32 v5, v4, v2
	v_fma_f32 v6, -v1, v5, v4
	s_delay_alu instid0(VALU_DEP_1) | instskip(NEXT) | instid1(VALU_DEP_1)
	v_fmac_f32_e32 v5, v6, v2
	v_fma_f32 v1, -v1, v5, v4
	s_delay_alu instid0(VALU_DEP_1) | instskip(NEXT) | instid1(VALU_DEP_1)
	v_div_fmas_f32 v1, v1, v2, v5
	v_div_fixup_f32 v2, v1, v0, 1.0
	s_delay_alu instid0(VALU_DEP_1)
	v_mul_f32_e64 v3, v3, -v2
.LBB107_43:
	s_or_b32 exec_lo, exec_lo, s1
	ds_store_b64 v139, v[2:3]
.LBB107_44:
	s_or_b32 exec_lo, exec_lo, s2
	s_wait_dscnt 0x0
	s_barrier_signal -1
	s_barrier_wait -1
	ds_load_b64 v[0:1], v139
	s_mov_b32 s1, exec_lo
	s_wait_dscnt 0x0
	scratch_store_b64 off, v[0:1], off offset:200 ; 8-byte Folded Spill
	s_wait_xcnt 0x0
	v_cmpx_lt_u32_e32 4, v138
	s_cbranch_execz .LBB107_46
; %bb.45:
	scratch_load_b64 v[4:5], off, off offset:200 ; 8-byte Folded Reload
	s_wait_loadcnt 0x0
	v_pk_mul_f32 v[2:3], v[4:5], v[26:27] op_sel:[1,1] op_sel_hi:[0,1]
	s_delay_alu instid0(VALU_DEP_1)
	v_pk_fma_f32 v[0:1], v[4:5], v[26:27], v[2:3] op_sel_hi:[1,0,1] neg_lo:[0,0,1] neg_hi:[0,0,1]
	v_pk_fma_f32 v[2:3], v[4:5], v[26:27], v[2:3] op_sel_hi:[1,0,1]
	ds_load_2addr_b64 v[4:7], v148 offset0:5 offset1:6
	v_dual_mov_b32 v26, v0 :: v_dual_mov_b32 v27, v3
	s_wait_dscnt 0x0
	v_pk_mul_f32 v[8:9], v[4:5], v[2:3] op_sel:[0,1]
	s_delay_alu instid0(VALU_DEP_1) | instskip(SKIP_1) | instid1(VALU_DEP_1)
	v_pk_fma_f32 v[10:11], v[4:5], v[0:1], v[8:9] op_sel:[0,0,1] op_sel_hi:[1,1,0] neg_lo:[0,0,1] neg_hi:[0,0,1]
	v_pk_fma_f32 v[4:5], v[4:5], v[0:1], v[8:9] op_sel:[0,0,1] op_sel_hi:[1,0,0]
	v_mov_b32_e32 v11, v5
	v_pk_mul_f32 v[4:5], v[6:7], v[2:3] op_sel:[0,1]
	s_delay_alu instid0(VALU_DEP_1) | instskip(SKIP_1) | instid1(VALU_DEP_1)
	v_pk_fma_f32 v[8:9], v[6:7], v[0:1], v[4:5] op_sel:[0,0,1] op_sel_hi:[1,1,0] neg_lo:[0,0,1] neg_hi:[0,0,1]
	v_pk_fma_f32 v[4:5], v[6:7], v[0:1], v[4:5] op_sel:[0,0,1] op_sel_hi:[1,0,0]
	v_mov_b32_e32 v9, v5
	ds_load_2addr_b64 v[4:7], v148 offset0:7 offset1:8
	v_pk_add_f32 v[22:23], v[22:23], v[10:11] neg_lo:[0,1] neg_hi:[0,1]
	v_pk_add_f32 v[24:25], v[24:25], v[8:9] neg_lo:[0,1] neg_hi:[0,1]
	s_wait_dscnt 0x0
	v_pk_mul_f32 v[8:9], v[4:5], v[2:3] op_sel:[0,1]
	s_delay_alu instid0(VALU_DEP_1) | instskip(SKIP_2) | instid1(VALU_DEP_2)
	v_pk_fma_f32 v[10:11], v[4:5], v[0:1], v[8:9] op_sel:[0,0,1] op_sel_hi:[1,1,0] neg_lo:[0,0,1] neg_hi:[0,0,1]
	v_pk_fma_f32 v[4:5], v[4:5], v[0:1], v[8:9] op_sel:[0,0,1] op_sel_hi:[1,0,0]
	v_dual_mul_f32 v8, v7, v3 :: v_dual_mov_b32 v4, v7
	v_dual_mov_b32 v11, v5 :: v_dual_mov_b32 v5, v6
	s_delay_alu instid0(VALU_DEP_2) | instskip(SKIP_1) | instid1(VALU_DEP_3)
	v_pk_fma_f32 v[8:9], v[6:7], v[26:27], v[8:9] op_sel_hi:[1,1,0] neg_lo:[0,0,1] neg_hi:[0,0,1]
	v_mul_f32_e32 v6, v7, v0
	v_pk_add_f32 v[20:21], v[20:21], v[10:11] neg_lo:[0,1] neg_hi:[0,1]
	s_delay_alu instid0(VALU_DEP_2) | instskip(NEXT) | instid1(VALU_DEP_1)
	v_pk_fma_f32 v[4:5], v[4:5], v[26:27], v[6:7] op_sel_hi:[1,1,0]
	v_mov_b32_e32 v9, v5
	ds_load_2addr_b64 v[4:7], v148 offset0:9 offset1:10
	v_pk_add_f32 v[40:41], v[40:41], v[8:9] neg_lo:[0,1] neg_hi:[0,1]
	s_wait_dscnt 0x0
	v_pk_mul_f32 v[8:9], v[4:5], v[2:3] op_sel:[0,1]
	s_delay_alu instid0(VALU_DEP_1) | instskip(SKIP_1) | instid1(VALU_DEP_1)
	v_pk_fma_f32 v[10:11], v[4:5], v[0:1], v[8:9] op_sel:[0,0,1] op_sel_hi:[1,1,0] neg_lo:[0,0,1] neg_hi:[0,0,1]
	v_pk_fma_f32 v[4:5], v[4:5], v[0:1], v[8:9] op_sel:[0,0,1] op_sel_hi:[1,0,0]
	v_mov_b32_e32 v11, v5
	v_pk_mul_f32 v[4:5], v[6:7], v[2:3] op_sel:[0,1]
	s_delay_alu instid0(VALU_DEP_1) | instskip(SKIP_1) | instid1(VALU_DEP_1)
	v_pk_fma_f32 v[8:9], v[6:7], v[0:1], v[4:5] op_sel:[0,0,1] op_sel_hi:[1,1,0] neg_lo:[0,0,1] neg_hi:[0,0,1]
	v_pk_fma_f32 v[4:5], v[6:7], v[0:1], v[4:5] op_sel:[0,0,1] op_sel_hi:[1,0,0]
	v_mov_b32_e32 v9, v5
	ds_load_2addr_b64 v[4:7], v148 offset0:11 offset1:12
	v_pk_add_f32 v[36:37], v[36:37], v[10:11] neg_lo:[0,1] neg_hi:[0,1]
	v_pk_add_f32 v[38:39], v[38:39], v[8:9] neg_lo:[0,1] neg_hi:[0,1]
	s_wait_dscnt 0x0
	v_pk_mul_f32 v[8:9], v[4:5], v[2:3] op_sel:[0,1]
	s_delay_alu instid0(VALU_DEP_1) | instskip(SKIP_1) | instid1(VALU_DEP_1)
	v_pk_fma_f32 v[10:11], v[4:5], v[0:1], v[8:9] op_sel:[0,0,1] op_sel_hi:[1,1,0] neg_lo:[0,0,1] neg_hi:[0,0,1]
	v_pk_fma_f32 v[4:5], v[4:5], v[0:1], v[8:9] op_sel:[0,0,1] op_sel_hi:[1,0,0]
	v_mov_b32_e32 v11, v5
	v_pk_mul_f32 v[4:5], v[6:7], v[2:3] op_sel:[0,1]
	s_delay_alu instid0(VALU_DEP_1) | instskip(SKIP_1) | instid1(VALU_DEP_1)
	v_pk_fma_f32 v[8:9], v[6:7], v[0:1], v[4:5] op_sel:[0,0,1] op_sel_hi:[1,1,0] neg_lo:[0,0,1] neg_hi:[0,0,1]
	v_pk_fma_f32 v[4:5], v[6:7], v[0:1], v[4:5] op_sel:[0,0,1] op_sel_hi:[1,0,0]
	v_mov_b32_e32 v9, v5
	ds_load_2addr_b64 v[4:7], v148 offset0:13 offset1:14
	v_pk_add_f32 v[34:35], v[34:35], v[10:11] neg_lo:[0,1] neg_hi:[0,1]
	v_pk_add_f32 v[64:65], v[64:65], v[8:9] neg_lo:[0,1] neg_hi:[0,1]
	s_wait_dscnt 0x0
	v_dual_mul_f32 v8, v5, v3 :: v_dual_mul_f32 v10, v5, v0
	s_delay_alu instid0(VALU_DEP_1) | instskip(NEXT) | instid1(VALU_DEP_2)
	v_pk_fma_f32 v[8:9], v[4:5], v[26:27], v[8:9] op_sel_hi:[1,1,0] neg_lo:[0,0,1] neg_hi:[0,0,1]
	v_pk_fma_f32 v[4:5], v[4:5], v[26:27], v[10:11] op_sel:[1,0,0] op_sel_hi:[0,1,0]
	s_delay_alu instid0(VALU_DEP_1) | instskip(SKIP_1) | instid1(VALU_DEP_2)
	v_mov_b32_e32 v9, v5
	v_pk_mul_f32 v[4:5], v[6:7], v[2:3] op_sel:[0,1]
	v_pk_add_f32 v[60:61], v[60:61], v[8:9] neg_lo:[0,1] neg_hi:[0,1]
	s_delay_alu instid0(VALU_DEP_2) | instskip(SKIP_1) | instid1(VALU_DEP_1)
	v_pk_fma_f32 v[8:9], v[6:7], v[0:1], v[4:5] op_sel:[0,0,1] op_sel_hi:[1,1,0] neg_lo:[0,0,1] neg_hi:[0,0,1]
	v_pk_fma_f32 v[4:5], v[6:7], v[0:1], v[4:5] op_sel:[0,0,1] op_sel_hi:[1,0,0]
	v_mov_b32_e32 v9, v5
	ds_load_2addr_b64 v[4:7], v148 offset0:15 offset1:16
	v_pk_add_f32 v[62:63], v[62:63], v[8:9] neg_lo:[0,1] neg_hi:[0,1]
	s_wait_dscnt 0x0
	v_pk_mul_f32 v[8:9], v[4:5], v[2:3] op_sel:[0,1]
	s_delay_alu instid0(VALU_DEP_1) | instskip(SKIP_1) | instid1(VALU_DEP_1)
	v_pk_fma_f32 v[10:11], v[4:5], v[0:1], v[8:9] op_sel:[0,0,1] op_sel_hi:[1,1,0] neg_lo:[0,0,1] neg_hi:[0,0,1]
	v_pk_fma_f32 v[4:5], v[4:5], v[0:1], v[8:9] op_sel:[0,0,1] op_sel_hi:[1,0,0]
	v_mov_b32_e32 v11, v5
	v_pk_mul_f32 v[4:5], v[6:7], v[2:3] op_sel:[0,1]
	s_delay_alu instid0(VALU_DEP_2) | instskip(NEXT) | instid1(VALU_DEP_2)
	v_pk_add_f32 v[58:59], v[58:59], v[10:11] neg_lo:[0,1] neg_hi:[0,1]
	v_pk_fma_f32 v[8:9], v[6:7], v[0:1], v[4:5] op_sel:[0,0,1] op_sel_hi:[1,1,0] neg_lo:[0,0,1] neg_hi:[0,0,1]
	v_pk_fma_f32 v[4:5], v[6:7], v[0:1], v[4:5] op_sel:[0,0,1] op_sel_hi:[1,0,0]
	s_delay_alu instid0(VALU_DEP_1) | instskip(SKIP_4) | instid1(VALU_DEP_1)
	v_mov_b32_e32 v9, v5
	ds_load_2addr_b64 v[4:7], v148 offset0:17 offset1:18
	v_pk_add_f32 v[80:81], v[80:81], v[8:9] neg_lo:[0,1] neg_hi:[0,1]
	s_wait_dscnt 0x0
	v_pk_mul_f32 v[8:9], v[4:5], v[2:3] op_sel:[0,1]
	v_pk_fma_f32 v[10:11], v[4:5], v[0:1], v[8:9] op_sel:[0,0,1] op_sel_hi:[1,1,0] neg_lo:[0,0,1] neg_hi:[0,0,1]
	v_pk_fma_f32 v[4:5], v[4:5], v[0:1], v[8:9] op_sel:[0,0,1] op_sel_hi:[1,0,0]
	v_dual_mul_f32 v8, v7, v3 :: v_dual_mov_b32 v4, v7
	s_delay_alu instid0(VALU_DEP_2) | instskip(NEXT) | instid1(VALU_DEP_2)
	v_dual_mov_b32 v11, v5 :: v_dual_mov_b32 v5, v6
	v_pk_fma_f32 v[8:9], v[6:7], v[26:27], v[8:9] op_sel_hi:[1,1,0] neg_lo:[0,0,1] neg_hi:[0,0,1]
	v_mul_f32_e32 v6, v7, v0
	s_delay_alu instid0(VALU_DEP_3) | instskip(NEXT) | instid1(VALU_DEP_2)
	v_pk_add_f32 v[76:77], v[76:77], v[10:11] neg_lo:[0,1] neg_hi:[0,1]
	v_pk_fma_f32 v[4:5], v[4:5], v[26:27], v[6:7] op_sel_hi:[1,1,0]
	s_delay_alu instid0(VALU_DEP_1) | instskip(SKIP_4) | instid1(VALU_DEP_1)
	v_mov_b32_e32 v9, v5
	ds_load_2addr_b64 v[4:7], v148 offset0:19 offset1:20
	v_pk_add_f32 v[78:79], v[78:79], v[8:9] neg_lo:[0,1] neg_hi:[0,1]
	s_wait_dscnt 0x0
	v_pk_mul_f32 v[8:9], v[4:5], v[2:3] op_sel:[0,1]
	v_pk_fma_f32 v[10:11], v[4:5], v[0:1], v[8:9] op_sel:[0,0,1] op_sel_hi:[1,1,0] neg_lo:[0,0,1] neg_hi:[0,0,1]
	v_pk_fma_f32 v[4:5], v[4:5], v[0:1], v[8:9] op_sel:[0,0,1] op_sel_hi:[1,0,0]
	s_delay_alu instid0(VALU_DEP_1) | instskip(SKIP_1) | instid1(VALU_DEP_1)
	v_mov_b32_e32 v11, v5
	v_pk_mul_f32 v[4:5], v[6:7], v[2:3] op_sel:[0,1]
	v_pk_fma_f32 v[8:9], v[6:7], v[0:1], v[4:5] op_sel:[0,0,1] op_sel_hi:[1,1,0] neg_lo:[0,0,1] neg_hi:[0,0,1]
	v_pk_fma_f32 v[4:5], v[6:7], v[0:1], v[4:5] op_sel:[0,0,1] op_sel_hi:[1,0,0]
	s_delay_alu instid0(VALU_DEP_1)
	v_mov_b32_e32 v9, v5
	ds_load_2addr_b64 v[4:7], v148 offset0:21 offset1:22
	v_pk_add_f32 v[74:75], v[74:75], v[10:11] neg_lo:[0,1] neg_hi:[0,1]
	v_pk_add_f32 v[96:97], v[96:97], v[8:9] neg_lo:[0,1] neg_hi:[0,1]
	s_wait_dscnt 0x0
	v_pk_mul_f32 v[8:9], v[4:5], v[2:3] op_sel:[0,1]
	s_delay_alu instid0(VALU_DEP_1) | instskip(SKIP_1) | instid1(VALU_DEP_1)
	v_pk_fma_f32 v[10:11], v[4:5], v[0:1], v[8:9] op_sel:[0,0,1] op_sel_hi:[1,1,0] neg_lo:[0,0,1] neg_hi:[0,0,1]
	v_pk_fma_f32 v[4:5], v[4:5], v[0:1], v[8:9] op_sel:[0,0,1] op_sel_hi:[1,0,0]
	v_mov_b32_e32 v11, v5
	v_pk_mul_f32 v[4:5], v[6:7], v[2:3] op_sel:[0,1]
	s_delay_alu instid0(VALU_DEP_1) | instskip(SKIP_1) | instid1(VALU_DEP_1)
	v_pk_fma_f32 v[8:9], v[6:7], v[0:1], v[4:5] op_sel:[0,0,1] op_sel_hi:[1,1,0] neg_lo:[0,0,1] neg_hi:[0,0,1]
	v_pk_fma_f32 v[4:5], v[6:7], v[0:1], v[4:5] op_sel:[0,0,1] op_sel_hi:[1,0,0]
	v_mov_b32_e32 v9, v5
	ds_load_2addr_b64 v[4:7], v148 offset0:23 offset1:24
	v_pk_add_f32 v[92:93], v[92:93], v[10:11] neg_lo:[0,1] neg_hi:[0,1]
	v_pk_add_f32 v[94:95], v[94:95], v[8:9] neg_lo:[0,1] neg_hi:[0,1]
	s_wait_dscnt 0x0
	v_dual_mul_f32 v8, v5, v3 :: v_dual_mul_f32 v10, v5, v0
	s_delay_alu instid0(VALU_DEP_1) | instskip(NEXT) | instid1(VALU_DEP_2)
	v_pk_fma_f32 v[8:9], v[4:5], v[26:27], v[8:9] op_sel_hi:[1,1,0] neg_lo:[0,0,1] neg_hi:[0,0,1]
	v_pk_fma_f32 v[4:5], v[4:5], v[26:27], v[10:11] op_sel:[1,0,0] op_sel_hi:[0,1,0]
	s_delay_alu instid0(VALU_DEP_1) | instskip(SKIP_1) | instid1(VALU_DEP_2)
	v_mov_b32_e32 v9, v5
	v_pk_mul_f32 v[4:5], v[6:7], v[2:3] op_sel:[0,1]
	v_pk_add_f32 v[90:91], v[90:91], v[8:9] neg_lo:[0,1] neg_hi:[0,1]
	s_delay_alu instid0(VALU_DEP_2) | instskip(SKIP_1) | instid1(VALU_DEP_1)
	v_pk_fma_f32 v[8:9], v[6:7], v[0:1], v[4:5] op_sel:[0,0,1] op_sel_hi:[1,1,0] neg_lo:[0,0,1] neg_hi:[0,0,1]
	v_pk_fma_f32 v[4:5], v[6:7], v[0:1], v[4:5] op_sel:[0,0,1] op_sel_hi:[1,0,0]
	v_mov_b32_e32 v9, v5
	ds_load_2addr_b64 v[4:7], v148 offset0:25 offset1:26
	v_pk_add_f32 v[112:113], v[112:113], v[8:9] neg_lo:[0,1] neg_hi:[0,1]
	s_wait_dscnt 0x0
	v_pk_mul_f32 v[8:9], v[4:5], v[2:3] op_sel:[0,1]
	s_delay_alu instid0(VALU_DEP_1) | instskip(SKIP_1) | instid1(VALU_DEP_1)
	v_pk_fma_f32 v[10:11], v[4:5], v[0:1], v[8:9] op_sel:[0,0,1] op_sel_hi:[1,1,0] neg_lo:[0,0,1] neg_hi:[0,0,1]
	v_pk_fma_f32 v[4:5], v[4:5], v[0:1], v[8:9] op_sel:[0,0,1] op_sel_hi:[1,0,0]
	v_mov_b32_e32 v11, v5
	v_pk_mul_f32 v[4:5], v[6:7], v[2:3] op_sel:[0,1]
	s_delay_alu instid0(VALU_DEP_2) | instskip(NEXT) | instid1(VALU_DEP_2)
	v_pk_add_f32 v[108:109], v[108:109], v[10:11] neg_lo:[0,1] neg_hi:[0,1]
	v_pk_fma_f32 v[8:9], v[6:7], v[0:1], v[4:5] op_sel:[0,0,1] op_sel_hi:[1,1,0] neg_lo:[0,0,1] neg_hi:[0,0,1]
	v_pk_fma_f32 v[4:5], v[6:7], v[0:1], v[4:5] op_sel:[0,0,1] op_sel_hi:[1,0,0]
	s_delay_alu instid0(VALU_DEP_1) | instskip(SKIP_4) | instid1(VALU_DEP_1)
	v_mov_b32_e32 v9, v5
	ds_load_2addr_b64 v[4:7], v148 offset0:27 offset1:28
	v_pk_add_f32 v[110:111], v[110:111], v[8:9] neg_lo:[0,1] neg_hi:[0,1]
	s_wait_dscnt 0x0
	v_pk_mul_f32 v[8:9], v[4:5], v[2:3] op_sel:[0,1]
	v_pk_fma_f32 v[10:11], v[4:5], v[0:1], v[8:9] op_sel:[0,0,1] op_sel_hi:[1,1,0] neg_lo:[0,0,1] neg_hi:[0,0,1]
	v_pk_fma_f32 v[4:5], v[4:5], v[0:1], v[8:9] op_sel:[0,0,1] op_sel_hi:[1,0,0]
	v_dual_mul_f32 v8, v7, v3 :: v_dual_mov_b32 v4, v7
	s_delay_alu instid0(VALU_DEP_2) | instskip(NEXT) | instid1(VALU_DEP_2)
	v_dual_mov_b32 v11, v5 :: v_dual_mov_b32 v5, v6
	v_pk_fma_f32 v[8:9], v[6:7], v[26:27], v[8:9] op_sel_hi:[1,1,0] neg_lo:[0,0,1] neg_hi:[0,0,1]
	v_mul_f32_e32 v6, v7, v0
	s_delay_alu instid0(VALU_DEP_3) | instskip(NEXT) | instid1(VALU_DEP_2)
	v_pk_add_f32 v[106:107], v[106:107], v[10:11] neg_lo:[0,1] neg_hi:[0,1]
	v_pk_fma_f32 v[4:5], v[4:5], v[26:27], v[6:7] op_sel_hi:[1,1,0]
	s_delay_alu instid0(VALU_DEP_1) | instskip(SKIP_4) | instid1(VALU_DEP_1)
	v_mov_b32_e32 v9, v5
	ds_load_2addr_b64 v[4:7], v148 offset0:29 offset1:30
	v_pk_add_f32 v[130:131], v[130:131], v[8:9] neg_lo:[0,1] neg_hi:[0,1]
	s_wait_dscnt 0x0
	v_pk_mul_f32 v[8:9], v[4:5], v[2:3] op_sel:[0,1]
	v_pk_fma_f32 v[10:11], v[4:5], v[0:1], v[8:9] op_sel:[0,0,1] op_sel_hi:[1,1,0] neg_lo:[0,0,1] neg_hi:[0,0,1]
	v_pk_fma_f32 v[4:5], v[4:5], v[0:1], v[8:9] op_sel:[0,0,1] op_sel_hi:[1,0,0]
	s_delay_alu instid0(VALU_DEP_1) | instskip(SKIP_1) | instid1(VALU_DEP_1)
	v_mov_b32_e32 v11, v5
	v_pk_mul_f32 v[4:5], v[6:7], v[2:3] op_sel:[0,1]
	v_pk_fma_f32 v[8:9], v[6:7], v[0:1], v[4:5] op_sel:[0,0,1] op_sel_hi:[1,1,0] neg_lo:[0,0,1] neg_hi:[0,0,1]
	v_pk_fma_f32 v[4:5], v[6:7], v[0:1], v[4:5] op_sel:[0,0,1] op_sel_hi:[1,0,0]
	s_delay_alu instid0(VALU_DEP_1)
	v_mov_b32_e32 v9, v5
	ds_load_2addr_b64 v[4:7], v148 offset0:31 offset1:32
	v_pk_add_f32 v[126:127], v[126:127], v[10:11] neg_lo:[0,1] neg_hi:[0,1]
	v_pk_add_f32 v[128:129], v[128:129], v[8:9] neg_lo:[0,1] neg_hi:[0,1]
	s_wait_dscnt 0x0
	v_pk_mul_f32 v[8:9], v[4:5], v[2:3] op_sel:[0,1]
	s_delay_alu instid0(VALU_DEP_1) | instskip(SKIP_1) | instid1(VALU_DEP_1)
	v_pk_fma_f32 v[10:11], v[4:5], v[0:1], v[8:9] op_sel:[0,0,1] op_sel_hi:[1,1,0] neg_lo:[0,0,1] neg_hi:[0,0,1]
	v_pk_fma_f32 v[4:5], v[4:5], v[0:1], v[8:9] op_sel:[0,0,1] op_sel_hi:[1,0,0]
	v_mov_b32_e32 v11, v5
	v_pk_mul_f32 v[4:5], v[6:7], v[2:3] op_sel:[0,1]
	s_delay_alu instid0(VALU_DEP_1) | instskip(SKIP_1) | instid1(VALU_DEP_1)
	v_pk_fma_f32 v[8:9], v[6:7], v[0:1], v[4:5] op_sel:[0,0,1] op_sel_hi:[1,1,0] neg_lo:[0,0,1] neg_hi:[0,0,1]
	v_pk_fma_f32 v[4:5], v[6:7], v[0:1], v[4:5] op_sel:[0,0,1] op_sel_hi:[1,0,0]
	v_mov_b32_e32 v9, v5
	ds_load_2addr_b64 v[4:7], v148 offset0:33 offset1:34
	v_pk_add_f32 v[124:125], v[124:125], v[10:11] neg_lo:[0,1] neg_hi:[0,1]
	v_pk_add_f32 v[146:147], v[146:147], v[8:9] neg_lo:[0,1] neg_hi:[0,1]
	s_wait_dscnt 0x0
	v_dual_mul_f32 v8, v5, v3 :: v_dual_mul_f32 v10, v5, v0
	s_delay_alu instid0(VALU_DEP_1) | instskip(NEXT) | instid1(VALU_DEP_2)
	v_pk_fma_f32 v[8:9], v[4:5], v[26:27], v[8:9] op_sel_hi:[1,1,0] neg_lo:[0,0,1] neg_hi:[0,0,1]
	v_pk_fma_f32 v[4:5], v[4:5], v[26:27], v[10:11] op_sel:[1,0,0] op_sel_hi:[0,1,0]
	s_delay_alu instid0(VALU_DEP_1) | instskip(SKIP_1) | instid1(VALU_DEP_2)
	v_mov_b32_e32 v9, v5
	v_pk_mul_f32 v[4:5], v[6:7], v[2:3] op_sel:[0,1]
	v_pk_add_f32 v[142:143], v[142:143], v[8:9] neg_lo:[0,1] neg_hi:[0,1]
	s_delay_alu instid0(VALU_DEP_2) | instskip(SKIP_1) | instid1(VALU_DEP_1)
	v_pk_fma_f32 v[8:9], v[6:7], v[0:1], v[4:5] op_sel:[0,0,1] op_sel_hi:[1,1,0] neg_lo:[0,0,1] neg_hi:[0,0,1]
	v_pk_fma_f32 v[4:5], v[6:7], v[0:1], v[4:5] op_sel:[0,0,1] op_sel_hi:[1,0,0]
	v_mov_b32_e32 v9, v5
	ds_load_2addr_b64 v[4:7], v148 offset0:35 offset1:36
	v_pk_add_f32 v[144:145], v[144:145], v[8:9] neg_lo:[0,1] neg_hi:[0,1]
	s_wait_dscnt 0x0
	v_pk_mul_f32 v[8:9], v[4:5], v[2:3] op_sel:[0,1]
	s_delay_alu instid0(VALU_DEP_1) | instskip(SKIP_1) | instid1(VALU_DEP_1)
	v_pk_fma_f32 v[10:11], v[4:5], v[0:1], v[8:9] op_sel:[0,0,1] op_sel_hi:[1,1,0] neg_lo:[0,0,1] neg_hi:[0,0,1]
	v_pk_fma_f32 v[4:5], v[4:5], v[0:1], v[8:9] op_sel:[0,0,1] op_sel_hi:[1,0,0]
	v_mov_b32_e32 v11, v5
	v_pk_mul_f32 v[4:5], v[6:7], v[2:3] op_sel:[0,1]
	s_delay_alu instid0(VALU_DEP_2) | instskip(NEXT) | instid1(VALU_DEP_2)
	v_pk_add_f32 v[140:141], v[140:141], v[10:11] neg_lo:[0,1] neg_hi:[0,1]
	v_pk_fma_f32 v[8:9], v[6:7], v[0:1], v[4:5] op_sel:[0,0,1] op_sel_hi:[1,1,0] neg_lo:[0,0,1] neg_hi:[0,0,1]
	v_pk_fma_f32 v[4:5], v[6:7], v[0:1], v[4:5] op_sel:[0,0,1] op_sel_hi:[1,0,0]
	s_delay_alu instid0(VALU_DEP_1) | instskip(SKIP_4) | instid1(VALU_DEP_1)
	v_mov_b32_e32 v9, v5
	ds_load_2addr_b64 v[4:7], v148 offset0:37 offset1:38
	v_pk_add_f32 v[162:163], v[162:163], v[8:9] neg_lo:[0,1] neg_hi:[0,1]
	s_wait_dscnt 0x0
	v_pk_mul_f32 v[8:9], v[4:5], v[2:3] op_sel:[0,1]
	v_pk_fma_f32 v[10:11], v[4:5], v[0:1], v[8:9] op_sel:[0,0,1] op_sel_hi:[1,1,0] neg_lo:[0,0,1] neg_hi:[0,0,1]
	v_pk_fma_f32 v[4:5], v[4:5], v[0:1], v[8:9] op_sel:[0,0,1] op_sel_hi:[1,0,0]
	v_dual_mul_f32 v8, v7, v3 :: v_dual_mov_b32 v4, v7
	s_delay_alu instid0(VALU_DEP_2) | instskip(NEXT) | instid1(VALU_DEP_2)
	v_dual_mov_b32 v11, v5 :: v_dual_mov_b32 v5, v6
	v_pk_fma_f32 v[8:9], v[6:7], v[26:27], v[8:9] op_sel_hi:[1,1,0] neg_lo:[0,0,1] neg_hi:[0,0,1]
	v_mul_f32_e32 v6, v7, v0
	s_delay_alu instid0(VALU_DEP_3) | instskip(NEXT) | instid1(VALU_DEP_2)
	v_pk_add_f32 v[158:159], v[158:159], v[10:11] neg_lo:[0,1] neg_hi:[0,1]
	v_pk_fma_f32 v[4:5], v[4:5], v[26:27], v[6:7] op_sel_hi:[1,1,0]
	s_delay_alu instid0(VALU_DEP_1) | instskip(SKIP_4) | instid1(VALU_DEP_1)
	v_mov_b32_e32 v9, v5
	ds_load_2addr_b64 v[4:7], v148 offset0:39 offset1:40
	v_pk_add_f32 v[160:161], v[160:161], v[8:9] neg_lo:[0,1] neg_hi:[0,1]
	s_wait_dscnt 0x0
	v_pk_mul_f32 v[8:9], v[4:5], v[2:3] op_sel:[0,1]
	v_pk_fma_f32 v[10:11], v[4:5], v[0:1], v[8:9] op_sel:[0,0,1] op_sel_hi:[1,1,0] neg_lo:[0,0,1] neg_hi:[0,0,1]
	v_pk_fma_f32 v[4:5], v[4:5], v[0:1], v[8:9] op_sel:[0,0,1] op_sel_hi:[1,0,0]
	s_delay_alu instid0(VALU_DEP_1) | instskip(SKIP_1) | instid1(VALU_DEP_1)
	v_mov_b32_e32 v11, v5
	v_pk_mul_f32 v[4:5], v[6:7], v[2:3] op_sel:[0,1]
	v_pk_fma_f32 v[8:9], v[6:7], v[0:1], v[4:5] op_sel:[0,0,1] op_sel_hi:[1,1,0] neg_lo:[0,0,1] neg_hi:[0,0,1]
	v_pk_fma_f32 v[4:5], v[6:7], v[0:1], v[4:5] op_sel:[0,0,1] op_sel_hi:[1,0,0]
	s_delay_alu instid0(VALU_DEP_1)
	v_mov_b32_e32 v9, v5
	ds_load_2addr_b64 v[4:7], v148 offset0:41 offset1:42
	v_pk_add_f32 v[156:157], v[156:157], v[10:11] neg_lo:[0,1] neg_hi:[0,1]
	v_pk_add_f32 v[178:179], v[178:179], v[8:9] neg_lo:[0,1] neg_hi:[0,1]
	s_wait_dscnt 0x0
	v_pk_mul_f32 v[8:9], v[4:5], v[2:3] op_sel:[0,1]
	s_delay_alu instid0(VALU_DEP_1) | instskip(SKIP_1) | instid1(VALU_DEP_1)
	v_pk_fma_f32 v[10:11], v[4:5], v[0:1], v[8:9] op_sel:[0,0,1] op_sel_hi:[1,1,0] neg_lo:[0,0,1] neg_hi:[0,0,1]
	v_pk_fma_f32 v[4:5], v[4:5], v[0:1], v[8:9] op_sel:[0,0,1] op_sel_hi:[1,0,0]
	v_mov_b32_e32 v11, v5
	v_pk_mul_f32 v[4:5], v[6:7], v[2:3] op_sel:[0,1]
	s_delay_alu instid0(VALU_DEP_1) | instskip(SKIP_1) | instid1(VALU_DEP_1)
	v_pk_fma_f32 v[8:9], v[6:7], v[0:1], v[4:5] op_sel:[0,0,1] op_sel_hi:[1,1,0] neg_lo:[0,0,1] neg_hi:[0,0,1]
	v_pk_fma_f32 v[4:5], v[6:7], v[0:1], v[4:5] op_sel:[0,0,1] op_sel_hi:[1,0,0]
	v_mov_b32_e32 v9, v5
	ds_load_2addr_b64 v[4:7], v148 offset0:43 offset1:44
	v_pk_add_f32 v[174:175], v[174:175], v[10:11] neg_lo:[0,1] neg_hi:[0,1]
	v_pk_add_f32 v[176:177], v[176:177], v[8:9] neg_lo:[0,1] neg_hi:[0,1]
	s_wait_dscnt 0x0
	v_dual_mul_f32 v8, v5, v3 :: v_dual_mul_f32 v10, v5, v0
	s_delay_alu instid0(VALU_DEP_1) | instskip(NEXT) | instid1(VALU_DEP_2)
	v_pk_fma_f32 v[8:9], v[4:5], v[26:27], v[8:9] op_sel_hi:[1,1,0] neg_lo:[0,0,1] neg_hi:[0,0,1]
	v_pk_fma_f32 v[4:5], v[4:5], v[26:27], v[10:11] op_sel:[1,0,0] op_sel_hi:[0,1,0]
	s_delay_alu instid0(VALU_DEP_1) | instskip(SKIP_1) | instid1(VALU_DEP_2)
	v_mov_b32_e32 v9, v5
	v_pk_mul_f32 v[4:5], v[6:7], v[2:3] op_sel:[0,1]
	v_pk_add_f32 v[172:173], v[172:173], v[8:9] neg_lo:[0,1] neg_hi:[0,1]
	s_delay_alu instid0(VALU_DEP_2) | instskip(SKIP_1) | instid1(VALU_DEP_1)
	v_pk_fma_f32 v[8:9], v[6:7], v[0:1], v[4:5] op_sel:[0,0,1] op_sel_hi:[1,1,0] neg_lo:[0,0,1] neg_hi:[0,0,1]
	v_pk_fma_f32 v[4:5], v[6:7], v[0:1], v[4:5] op_sel:[0,0,1] op_sel_hi:[1,0,0]
	v_mov_b32_e32 v9, v5
	ds_load_2addr_b64 v[4:7], v148 offset0:45 offset1:46
	v_pk_add_f32 v[196:197], v[196:197], v[8:9] neg_lo:[0,1] neg_hi:[0,1]
	s_wait_dscnt 0x0
	v_pk_mul_f32 v[8:9], v[4:5], v[2:3] op_sel:[0,1]
	s_delay_alu instid0(VALU_DEP_1) | instskip(SKIP_1) | instid1(VALU_DEP_1)
	v_pk_fma_f32 v[10:11], v[4:5], v[0:1], v[8:9] op_sel:[0,0,1] op_sel_hi:[1,1,0] neg_lo:[0,0,1] neg_hi:[0,0,1]
	v_pk_fma_f32 v[4:5], v[4:5], v[0:1], v[8:9] op_sel:[0,0,1] op_sel_hi:[1,0,0]
	v_mov_b32_e32 v11, v5
	v_pk_mul_f32 v[4:5], v[6:7], v[2:3] op_sel:[0,1]
	s_delay_alu instid0(VALU_DEP_2) | instskip(NEXT) | instid1(VALU_DEP_2)
	v_pk_add_f32 v[192:193], v[192:193], v[10:11] neg_lo:[0,1] neg_hi:[0,1]
	v_pk_fma_f32 v[8:9], v[6:7], v[0:1], v[4:5] op_sel:[0,0,1] op_sel_hi:[1,1,0] neg_lo:[0,0,1] neg_hi:[0,0,1]
	v_pk_fma_f32 v[4:5], v[6:7], v[0:1], v[4:5] op_sel:[0,0,1] op_sel_hi:[1,0,0]
	s_delay_alu instid0(VALU_DEP_1) | instskip(SKIP_4) | instid1(VALU_DEP_1)
	v_mov_b32_e32 v9, v5
	ds_load_2addr_b64 v[4:7], v148 offset0:47 offset1:48
	v_pk_add_f32 v[194:195], v[194:195], v[8:9] neg_lo:[0,1] neg_hi:[0,1]
	s_wait_dscnt 0x0
	v_pk_mul_f32 v[8:9], v[4:5], v[2:3] op_sel:[0,1]
	v_pk_fma_f32 v[10:11], v[4:5], v[0:1], v[8:9] op_sel:[0,0,1] op_sel_hi:[1,1,0] neg_lo:[0,0,1] neg_hi:[0,0,1]
	v_pk_fma_f32 v[4:5], v[4:5], v[0:1], v[8:9] op_sel:[0,0,1] op_sel_hi:[1,0,0]
	v_dual_mul_f32 v8, v7, v3 :: v_dual_mov_b32 v4, v7
	s_delay_alu instid0(VALU_DEP_2) | instskip(NEXT) | instid1(VALU_DEP_2)
	v_dual_mov_b32 v11, v5 :: v_dual_mov_b32 v5, v6
	v_pk_fma_f32 v[8:9], v[6:7], v[26:27], v[8:9] op_sel_hi:[1,1,0] neg_lo:[0,0,1] neg_hi:[0,0,1]
	v_mul_f32_e32 v6, v7, v0
	s_delay_alu instid0(VALU_DEP_3) | instskip(NEXT) | instid1(VALU_DEP_2)
	v_pk_add_f32 v[190:191], v[190:191], v[10:11] neg_lo:[0,1] neg_hi:[0,1]
	v_pk_fma_f32 v[4:5], v[4:5], v[26:27], v[6:7] op_sel_hi:[1,1,0]
	s_delay_alu instid0(VALU_DEP_1) | instskip(SKIP_4) | instid1(VALU_DEP_1)
	v_mov_b32_e32 v9, v5
	ds_load_2addr_b64 v[4:7], v148 offset0:49 offset1:50
	v_pk_add_f32 v[212:213], v[212:213], v[8:9] neg_lo:[0,1] neg_hi:[0,1]
	s_wait_dscnt 0x0
	v_pk_mul_f32 v[8:9], v[4:5], v[2:3] op_sel:[0,1]
	v_pk_fma_f32 v[10:11], v[4:5], v[0:1], v[8:9] op_sel:[0,0,1] op_sel_hi:[1,1,0] neg_lo:[0,0,1] neg_hi:[0,0,1]
	v_pk_fma_f32 v[4:5], v[4:5], v[0:1], v[8:9] op_sel:[0,0,1] op_sel_hi:[1,0,0]
	s_delay_alu instid0(VALU_DEP_1) | instskip(SKIP_1) | instid1(VALU_DEP_1)
	v_mov_b32_e32 v11, v5
	v_pk_mul_f32 v[4:5], v[6:7], v[2:3] op_sel:[0,1]
	v_pk_fma_f32 v[8:9], v[6:7], v[0:1], v[4:5] op_sel:[0,0,1] op_sel_hi:[1,1,0] neg_lo:[0,0,1] neg_hi:[0,0,1]
	v_pk_fma_f32 v[4:5], v[6:7], v[0:1], v[4:5] op_sel:[0,0,1] op_sel_hi:[1,0,0]
	s_delay_alu instid0(VALU_DEP_1)
	v_mov_b32_e32 v9, v5
	ds_load_2addr_b64 v[4:7], v148 offset0:51 offset1:52
	v_pk_add_f32 v[208:209], v[208:209], v[10:11] neg_lo:[0,1] neg_hi:[0,1]
	v_pk_add_f32 v[210:211], v[210:211], v[8:9] neg_lo:[0,1] neg_hi:[0,1]
	s_wait_dscnt 0x0
	v_pk_mul_f32 v[8:9], v[4:5], v[2:3] op_sel:[0,1]
	s_delay_alu instid0(VALU_DEP_1) | instskip(SKIP_1) | instid1(VALU_DEP_1)
	v_pk_fma_f32 v[10:11], v[4:5], v[0:1], v[8:9] op_sel:[0,0,1] op_sel_hi:[1,1,0] neg_lo:[0,0,1] neg_hi:[0,0,1]
	v_pk_fma_f32 v[4:5], v[4:5], v[0:1], v[8:9] op_sel:[0,0,1] op_sel_hi:[1,0,0]
	v_mov_b32_e32 v11, v5
	v_pk_mul_f32 v[4:5], v[6:7], v[2:3] op_sel:[0,1]
	s_delay_alu instid0(VALU_DEP_1) | instskip(SKIP_1) | instid1(VALU_DEP_1)
	v_pk_fma_f32 v[8:9], v[6:7], v[0:1], v[4:5] op_sel:[0,0,1] op_sel_hi:[1,1,0] neg_lo:[0,0,1] neg_hi:[0,0,1]
	v_pk_fma_f32 v[4:5], v[6:7], v[0:1], v[4:5] op_sel:[0,0,1] op_sel_hi:[1,0,0]
	v_mov_b32_e32 v9, v5
	ds_load_b64 v[4:5], v148 offset:424
	v_pk_add_f32 v[206:207], v[206:207], v[10:11] neg_lo:[0,1] neg_hi:[0,1]
	v_pk_add_f32 v[214:215], v[214:215], v[8:9] neg_lo:[0,1] neg_hi:[0,1]
	s_wait_dscnt 0x0
	v_pk_mul_f32 v[2:3], v[4:5], v[2:3] op_sel:[0,1]
	s_delay_alu instid0(VALU_DEP_1) | instskip(SKIP_1) | instid1(VALU_DEP_1)
	v_pk_fma_f32 v[6:7], v[4:5], v[0:1], v[2:3] op_sel:[0,0,1] op_sel_hi:[1,1,0] neg_lo:[0,0,1] neg_hi:[0,0,1]
	v_pk_fma_f32 v[0:1], v[4:5], v[0:1], v[2:3] op_sel:[0,0,1] op_sel_hi:[1,0,0]
	v_mov_b32_e32 v7, v1
	s_delay_alu instid0(VALU_DEP_1)
	v_pk_add_f32 v[216:217], v[216:217], v[6:7] neg_lo:[0,1] neg_hi:[0,1]
.LBB107_46:
	s_wait_xcnt 0x0
	s_or_b32 exec_lo, exec_lo, s1
	s_delay_alu instid0(SALU_CYCLE_1)
	s_mov_b32 s2, exec_lo
	s_wait_storecnt 0x0
	s_barrier_signal -1
	s_barrier_wait -1
	v_cmpx_eq_u32_e32 5, v138
	s_cbranch_execz .LBB107_53
; %bb.47:
	v_dual_mov_b32 v0, v24 :: v_dual_mov_b32 v1, v25
	v_dual_mov_b32 v2, v20 :: v_dual_mov_b32 v3, v21
	;; [unrolled: 1-line block ×10, first 2 shown]
	ds_store_b64 v139, v[22:23]
	v_dual_mov_b32 v30, v80 :: v_dual_mov_b32 v31, v81
	v_dual_mov_b32 v32, v76 :: v_dual_mov_b32 v33, v77
	ds_store_2addr_b64 v148, v[0:1], v[2:3] offset0:6 offset1:7
	ds_store_2addr_b64 v148, v[4:5], v[6:7] offset0:8 offset1:9
	ds_store_2addr_b64 v148, v[8:9], v[10:11] offset0:10 offset1:11
	ds_store_2addr_b64 v148, v[12:13], v[14:15] offset0:12 offset1:13
	ds_store_2addr_b64 v148, v[18:19], v[28:29] offset0:14 offset1:15
	ds_store_2addr_b64 v148, v[30:31], v[32:33] offset0:16 offset1:17
	v_dual_mov_b32 v0, v78 :: v_dual_mov_b32 v1, v79
	v_dual_mov_b32 v2, v74 :: v_dual_mov_b32 v3, v75
	v_dual_mov_b32 v4, v96 :: v_dual_mov_b32 v5, v97
	v_dual_mov_b32 v6, v92 :: v_dual_mov_b32 v7, v93
	v_dual_mov_b32 v8, v94 :: v_dual_mov_b32 v9, v95
	v_dual_mov_b32 v10, v90 :: v_dual_mov_b32 v11, v91
	v_dual_mov_b32 v12, v112 :: v_dual_mov_b32 v13, v113
	v_dual_mov_b32 v14, v108 :: v_dual_mov_b32 v15, v109
	v_dual_mov_b32 v18, v110 :: v_dual_mov_b32 v19, v111
	v_dual_mov_b32 v28, v106 :: v_dual_mov_b32 v29, v107
	v_dual_mov_b32 v30, v130 :: v_dual_mov_b32 v31, v131
	v_dual_mov_b32 v32, v126 :: v_dual_mov_b32 v33, v127
	ds_store_2addr_b64 v148, v[0:1], v[2:3] offset0:18 offset1:19
	ds_store_2addr_b64 v148, v[4:5], v[6:7] offset0:20 offset1:21
	ds_store_2addr_b64 v148, v[8:9], v[10:11] offset0:22 offset1:23
	ds_store_2addr_b64 v148, v[12:13], v[14:15] offset0:24 offset1:25
	ds_store_2addr_b64 v148, v[18:19], v[28:29] offset0:26 offset1:27
	ds_store_2addr_b64 v148, v[30:31], v[32:33] offset0:28 offset1:29
	v_dual_mov_b32 v0, v128 :: v_dual_mov_b32 v1, v129
	v_dual_mov_b32 v2, v124 :: v_dual_mov_b32 v3, v125
	v_dual_mov_b32 v4, v146 :: v_dual_mov_b32 v5, v147
	v_dual_mov_b32 v6, v142 :: v_dual_mov_b32 v7, v143
	v_dual_mov_b32 v8, v144 :: v_dual_mov_b32 v9, v145
	v_dual_mov_b32 v10, v140 :: v_dual_mov_b32 v11, v141
	v_dual_mov_b32 v12, v162 :: v_dual_mov_b32 v13, v163
	v_dual_mov_b32 v14, v158 :: v_dual_mov_b32 v15, v159
	v_dual_mov_b32 v18, v160 :: v_dual_mov_b32 v19, v161
	v_dual_mov_b32 v28, v156 :: v_dual_mov_b32 v29, v157
	;; [unrolled: 18-line block ×3, first 2 shown]
	v_dual_mov_b32 v30, v214 :: v_dual_mov_b32 v31, v215
	ds_store_2addr_b64 v148, v[0:1], v[2:3] offset0:42 offset1:43
	ds_store_2addr_b64 v148, v[4:5], v[6:7] offset0:44 offset1:45
	;; [unrolled: 1-line block ×6, first 2 shown]
	ds_load_b64 v[0:1], v139
	s_wait_dscnt 0x0
	v_cmp_neq_f32_e32 vcc_lo, 0, v0
	v_cmp_neq_f32_e64 s1, 0, v1
	s_or_b32 s1, vcc_lo, s1
	s_delay_alu instid0(SALU_CYCLE_1)
	s_and_b32 exec_lo, exec_lo, s1
	s_cbranch_execz .LBB107_53
; %bb.48:
	v_cmp_ngt_f32_e64 s1, |v0|, |v1|
                                        ; implicit-def: $vgpr2_vgpr3
	s_and_saveexec_b32 s4, s1
	s_delay_alu instid0(SALU_CYCLE_1)
	s_xor_b32 s1, exec_lo, s4
	s_cbranch_execz .LBB107_50
; %bb.49:
	v_div_scale_f32 v2, null, v1, v1, v0
	v_div_scale_f32 v5, vcc_lo, v0, v1, v0
	s_delay_alu instid0(VALU_DEP_2) | instskip(SKIP_1) | instid1(TRANS32_DEP_1)
	v_rcp_f32_e32 v3, v2
	v_nop
	v_fma_f32 v4, -v2, v3, 1.0
	s_delay_alu instid0(VALU_DEP_1) | instskip(NEXT) | instid1(VALU_DEP_1)
	v_fmac_f32_e32 v3, v4, v3
	v_mul_f32_e32 v4, v5, v3
	s_delay_alu instid0(VALU_DEP_1) | instskip(NEXT) | instid1(VALU_DEP_1)
	v_fma_f32 v6, -v2, v4, v5
	v_fmac_f32_e32 v4, v6, v3
	s_delay_alu instid0(VALU_DEP_1) | instskip(NEXT) | instid1(VALU_DEP_1)
	v_fma_f32 v2, -v2, v4, v5
	v_div_fmas_f32 v2, v2, v3, v4
	s_delay_alu instid0(VALU_DEP_1) | instskip(NEXT) | instid1(VALU_DEP_1)
	v_div_fixup_f32 v2, v2, v1, v0
	v_fmac_f32_e32 v1, v0, v2
	s_delay_alu instid0(VALU_DEP_1) | instskip(SKIP_1) | instid1(VALU_DEP_2)
	v_div_scale_f32 v0, null, v1, v1, 1.0
	v_div_scale_f32 v5, vcc_lo, 1.0, v1, 1.0
	v_rcp_f32_e32 v3, v0
	v_nop
	s_delay_alu instid0(TRANS32_DEP_1) | instskip(NEXT) | instid1(VALU_DEP_1)
	v_fma_f32 v4, -v0, v3, 1.0
	v_fmac_f32_e32 v3, v4, v3
	s_delay_alu instid0(VALU_DEP_1) | instskip(NEXT) | instid1(VALU_DEP_1)
	v_mul_f32_e32 v4, v5, v3
	v_fma_f32 v6, -v0, v4, v5
	s_delay_alu instid0(VALU_DEP_1) | instskip(NEXT) | instid1(VALU_DEP_1)
	v_fmac_f32_e32 v4, v6, v3
	v_fma_f32 v0, -v0, v4, v5
	s_delay_alu instid0(VALU_DEP_1) | instskip(NEXT) | instid1(VALU_DEP_1)
	v_div_fmas_f32 v0, v0, v3, v4
	v_div_fixup_f32 v0, v0, v1, 1.0
	s_delay_alu instid0(VALU_DEP_1)
	v_mul_f32_e32 v2, v2, v0
	v_xor_b32_e32 v3, 0x80000000, v0
                                        ; implicit-def: $vgpr0_vgpr1
.LBB107_50:
	s_and_not1_saveexec_b32 s1, s1
	s_cbranch_execz .LBB107_52
; %bb.51:
	v_div_scale_f32 v2, null, v0, v0, v1
	v_div_scale_f32 v5, vcc_lo, v1, v0, v1
	s_delay_alu instid0(VALU_DEP_2) | instskip(SKIP_1) | instid1(TRANS32_DEP_1)
	v_rcp_f32_e32 v3, v2
	v_nop
	v_fma_f32 v4, -v2, v3, 1.0
	s_delay_alu instid0(VALU_DEP_1) | instskip(NEXT) | instid1(VALU_DEP_1)
	v_fmac_f32_e32 v3, v4, v3
	v_mul_f32_e32 v4, v5, v3
	s_delay_alu instid0(VALU_DEP_1) | instskip(NEXT) | instid1(VALU_DEP_1)
	v_fma_f32 v6, -v2, v4, v5
	v_fmac_f32_e32 v4, v6, v3
	s_delay_alu instid0(VALU_DEP_1) | instskip(NEXT) | instid1(VALU_DEP_1)
	v_fma_f32 v2, -v2, v4, v5
	v_div_fmas_f32 v2, v2, v3, v4
	s_delay_alu instid0(VALU_DEP_1) | instskip(NEXT) | instid1(VALU_DEP_1)
	v_div_fixup_f32 v3, v2, v0, v1
	v_fmac_f32_e32 v0, v1, v3
	s_delay_alu instid0(VALU_DEP_1) | instskip(NEXT) | instid1(VALU_DEP_1)
	v_div_scale_f32 v1, null, v0, v0, 1.0
	v_rcp_f32_e32 v2, v1
	v_nop
	s_delay_alu instid0(TRANS32_DEP_1) | instskip(NEXT) | instid1(VALU_DEP_1)
	v_fma_f32 v4, -v1, v2, 1.0
	v_fmac_f32_e32 v2, v4, v2
	v_div_scale_f32 v4, vcc_lo, 1.0, v0, 1.0
	s_delay_alu instid0(VALU_DEP_1) | instskip(NEXT) | instid1(VALU_DEP_1)
	v_mul_f32_e32 v5, v4, v2
	v_fma_f32 v6, -v1, v5, v4
	s_delay_alu instid0(VALU_DEP_1) | instskip(NEXT) | instid1(VALU_DEP_1)
	v_fmac_f32_e32 v5, v6, v2
	v_fma_f32 v1, -v1, v5, v4
	s_delay_alu instid0(VALU_DEP_1) | instskip(NEXT) | instid1(VALU_DEP_1)
	v_div_fmas_f32 v1, v1, v2, v5
	v_div_fixup_f32 v2, v1, v0, 1.0
	s_delay_alu instid0(VALU_DEP_1)
	v_mul_f32_e64 v3, v3, -v2
.LBB107_52:
	s_or_b32 exec_lo, exec_lo, s1
	ds_store_b64 v139, v[2:3]
.LBB107_53:
	s_or_b32 exec_lo, exec_lo, s2
	s_wait_dscnt 0x0
	s_barrier_signal -1
	s_barrier_wait -1
	ds_load_b64 v[0:1], v139
	s_mov_b32 s1, exec_lo
	s_wait_dscnt 0x0
	scratch_store_b64 off, v[0:1], off offset:208 ; 8-byte Folded Spill
	s_wait_xcnt 0x0
	v_cmpx_lt_u32_e32 5, v138
	s_cbranch_execz .LBB107_55
; %bb.54:
	scratch_load_b64 v[4:5], off, off offset:208 ; 8-byte Folded Reload
	s_wait_loadcnt 0x0
	v_pk_mul_f32 v[2:3], v[4:5], v[22:23] op_sel:[1,1] op_sel_hi:[0,1]
	s_delay_alu instid0(VALU_DEP_1)
	v_pk_fma_f32 v[0:1], v[4:5], v[22:23], v[2:3] op_sel_hi:[1,0,1] neg_lo:[0,0,1] neg_hi:[0,0,1]
	v_pk_fma_f32 v[2:3], v[4:5], v[22:23], v[2:3] op_sel_hi:[1,0,1]
	ds_load_2addr_b64 v[4:7], v148 offset0:6 offset1:7
	v_dual_mov_b32 v22, v0 :: v_dual_mov_b32 v23, v3
	s_wait_dscnt 0x0
	v_pk_mul_f32 v[8:9], v[4:5], v[2:3] op_sel:[0,1]
	s_delay_alu instid0(VALU_DEP_1) | instskip(SKIP_1) | instid1(VALU_DEP_1)
	v_pk_fma_f32 v[10:11], v[4:5], v[0:1], v[8:9] op_sel:[0,0,1] op_sel_hi:[1,1,0] neg_lo:[0,0,1] neg_hi:[0,0,1]
	v_pk_fma_f32 v[4:5], v[4:5], v[0:1], v[8:9] op_sel:[0,0,1] op_sel_hi:[1,0,0]
	v_mov_b32_e32 v11, v5
	v_pk_mul_f32 v[4:5], v[6:7], v[2:3] op_sel:[0,1]
	s_delay_alu instid0(VALU_DEP_1) | instskip(SKIP_1) | instid1(VALU_DEP_1)
	v_pk_fma_f32 v[8:9], v[6:7], v[0:1], v[4:5] op_sel:[0,0,1] op_sel_hi:[1,1,0] neg_lo:[0,0,1] neg_hi:[0,0,1]
	v_pk_fma_f32 v[4:5], v[6:7], v[0:1], v[4:5] op_sel:[0,0,1] op_sel_hi:[1,0,0]
	v_mov_b32_e32 v9, v5
	ds_load_2addr_b64 v[4:7], v148 offset0:8 offset1:9
	v_pk_add_f32 v[24:25], v[24:25], v[10:11] neg_lo:[0,1] neg_hi:[0,1]
	v_pk_add_f32 v[20:21], v[20:21], v[8:9] neg_lo:[0,1] neg_hi:[0,1]
	s_wait_dscnt 0x0
	v_pk_mul_f32 v[8:9], v[4:5], v[2:3] op_sel:[0,1]
	s_delay_alu instid0(VALU_DEP_1) | instskip(SKIP_2) | instid1(VALU_DEP_2)
	v_pk_fma_f32 v[10:11], v[4:5], v[0:1], v[8:9] op_sel:[0,0,1] op_sel_hi:[1,1,0] neg_lo:[0,0,1] neg_hi:[0,0,1]
	v_pk_fma_f32 v[4:5], v[4:5], v[0:1], v[8:9] op_sel:[0,0,1] op_sel_hi:[1,0,0]
	v_dual_mul_f32 v8, v7, v3 :: v_dual_mov_b32 v4, v7
	v_dual_mov_b32 v11, v5 :: v_dual_mov_b32 v5, v6
	s_delay_alu instid0(VALU_DEP_2) | instskip(SKIP_1) | instid1(VALU_DEP_3)
	v_pk_fma_f32 v[8:9], v[6:7], v[22:23], v[8:9] op_sel_hi:[1,1,0] neg_lo:[0,0,1] neg_hi:[0,0,1]
	v_mul_f32_e32 v6, v7, v0
	v_pk_add_f32 v[40:41], v[40:41], v[10:11] neg_lo:[0,1] neg_hi:[0,1]
	s_delay_alu instid0(VALU_DEP_2) | instskip(NEXT) | instid1(VALU_DEP_1)
	v_pk_fma_f32 v[4:5], v[4:5], v[22:23], v[6:7] op_sel_hi:[1,1,0]
	v_mov_b32_e32 v9, v5
	ds_load_2addr_b64 v[4:7], v148 offset0:10 offset1:11
	v_pk_add_f32 v[36:37], v[36:37], v[8:9] neg_lo:[0,1] neg_hi:[0,1]
	s_wait_dscnt 0x0
	v_pk_mul_f32 v[8:9], v[4:5], v[2:3] op_sel:[0,1]
	s_delay_alu instid0(VALU_DEP_1) | instskip(SKIP_1) | instid1(VALU_DEP_1)
	v_pk_fma_f32 v[10:11], v[4:5], v[0:1], v[8:9] op_sel:[0,0,1] op_sel_hi:[1,1,0] neg_lo:[0,0,1] neg_hi:[0,0,1]
	v_pk_fma_f32 v[4:5], v[4:5], v[0:1], v[8:9] op_sel:[0,0,1] op_sel_hi:[1,0,0]
	v_mov_b32_e32 v11, v5
	v_pk_mul_f32 v[4:5], v[6:7], v[2:3] op_sel:[0,1]
	s_delay_alu instid0(VALU_DEP_1) | instskip(SKIP_1) | instid1(VALU_DEP_1)
	v_pk_fma_f32 v[8:9], v[6:7], v[0:1], v[4:5] op_sel:[0,0,1] op_sel_hi:[1,1,0] neg_lo:[0,0,1] neg_hi:[0,0,1]
	v_pk_fma_f32 v[4:5], v[6:7], v[0:1], v[4:5] op_sel:[0,0,1] op_sel_hi:[1,0,0]
	v_mov_b32_e32 v9, v5
	ds_load_2addr_b64 v[4:7], v148 offset0:12 offset1:13
	v_pk_add_f32 v[38:39], v[38:39], v[10:11] neg_lo:[0,1] neg_hi:[0,1]
	v_pk_add_f32 v[34:35], v[34:35], v[8:9] neg_lo:[0,1] neg_hi:[0,1]
	s_wait_dscnt 0x0
	v_pk_mul_f32 v[8:9], v[4:5], v[2:3] op_sel:[0,1]
	s_delay_alu instid0(VALU_DEP_1) | instskip(SKIP_1) | instid1(VALU_DEP_1)
	v_pk_fma_f32 v[10:11], v[4:5], v[0:1], v[8:9] op_sel:[0,0,1] op_sel_hi:[1,1,0] neg_lo:[0,0,1] neg_hi:[0,0,1]
	v_pk_fma_f32 v[4:5], v[4:5], v[0:1], v[8:9] op_sel:[0,0,1] op_sel_hi:[1,0,0]
	v_mov_b32_e32 v11, v5
	v_pk_mul_f32 v[4:5], v[6:7], v[2:3] op_sel:[0,1]
	s_delay_alu instid0(VALU_DEP_1) | instskip(SKIP_1) | instid1(VALU_DEP_1)
	v_pk_fma_f32 v[8:9], v[6:7], v[0:1], v[4:5] op_sel:[0,0,1] op_sel_hi:[1,1,0] neg_lo:[0,0,1] neg_hi:[0,0,1]
	v_pk_fma_f32 v[4:5], v[6:7], v[0:1], v[4:5] op_sel:[0,0,1] op_sel_hi:[1,0,0]
	v_mov_b32_e32 v9, v5
	ds_load_2addr_b64 v[4:7], v148 offset0:14 offset1:15
	v_pk_add_f32 v[64:65], v[64:65], v[10:11] neg_lo:[0,1] neg_hi:[0,1]
	v_pk_add_f32 v[60:61], v[60:61], v[8:9] neg_lo:[0,1] neg_hi:[0,1]
	s_wait_dscnt 0x0
	v_dual_mul_f32 v8, v5, v3 :: v_dual_mul_f32 v10, v5, v0
	s_delay_alu instid0(VALU_DEP_1) | instskip(NEXT) | instid1(VALU_DEP_2)
	v_pk_fma_f32 v[8:9], v[4:5], v[22:23], v[8:9] op_sel_hi:[1,1,0] neg_lo:[0,0,1] neg_hi:[0,0,1]
	v_pk_fma_f32 v[4:5], v[4:5], v[22:23], v[10:11] op_sel:[1,0,0] op_sel_hi:[0,1,0]
	s_delay_alu instid0(VALU_DEP_1) | instskip(SKIP_1) | instid1(VALU_DEP_2)
	v_mov_b32_e32 v9, v5
	v_pk_mul_f32 v[4:5], v[6:7], v[2:3] op_sel:[0,1]
	v_pk_add_f32 v[62:63], v[62:63], v[8:9] neg_lo:[0,1] neg_hi:[0,1]
	s_delay_alu instid0(VALU_DEP_2) | instskip(SKIP_1) | instid1(VALU_DEP_1)
	v_pk_fma_f32 v[8:9], v[6:7], v[0:1], v[4:5] op_sel:[0,0,1] op_sel_hi:[1,1,0] neg_lo:[0,0,1] neg_hi:[0,0,1]
	v_pk_fma_f32 v[4:5], v[6:7], v[0:1], v[4:5] op_sel:[0,0,1] op_sel_hi:[1,0,0]
	v_mov_b32_e32 v9, v5
	ds_load_2addr_b64 v[4:7], v148 offset0:16 offset1:17
	v_pk_add_f32 v[58:59], v[58:59], v[8:9] neg_lo:[0,1] neg_hi:[0,1]
	s_wait_dscnt 0x0
	v_pk_mul_f32 v[8:9], v[4:5], v[2:3] op_sel:[0,1]
	s_delay_alu instid0(VALU_DEP_1) | instskip(SKIP_1) | instid1(VALU_DEP_1)
	v_pk_fma_f32 v[10:11], v[4:5], v[0:1], v[8:9] op_sel:[0,0,1] op_sel_hi:[1,1,0] neg_lo:[0,0,1] neg_hi:[0,0,1]
	v_pk_fma_f32 v[4:5], v[4:5], v[0:1], v[8:9] op_sel:[0,0,1] op_sel_hi:[1,0,0]
	v_mov_b32_e32 v11, v5
	v_pk_mul_f32 v[4:5], v[6:7], v[2:3] op_sel:[0,1]
	s_delay_alu instid0(VALU_DEP_2) | instskip(NEXT) | instid1(VALU_DEP_2)
	v_pk_add_f32 v[80:81], v[80:81], v[10:11] neg_lo:[0,1] neg_hi:[0,1]
	v_pk_fma_f32 v[8:9], v[6:7], v[0:1], v[4:5] op_sel:[0,0,1] op_sel_hi:[1,1,0] neg_lo:[0,0,1] neg_hi:[0,0,1]
	v_pk_fma_f32 v[4:5], v[6:7], v[0:1], v[4:5] op_sel:[0,0,1] op_sel_hi:[1,0,0]
	s_delay_alu instid0(VALU_DEP_1) | instskip(SKIP_4) | instid1(VALU_DEP_1)
	v_mov_b32_e32 v9, v5
	ds_load_2addr_b64 v[4:7], v148 offset0:18 offset1:19
	v_pk_add_f32 v[76:77], v[76:77], v[8:9] neg_lo:[0,1] neg_hi:[0,1]
	s_wait_dscnt 0x0
	v_pk_mul_f32 v[8:9], v[4:5], v[2:3] op_sel:[0,1]
	v_pk_fma_f32 v[10:11], v[4:5], v[0:1], v[8:9] op_sel:[0,0,1] op_sel_hi:[1,1,0] neg_lo:[0,0,1] neg_hi:[0,0,1]
	v_pk_fma_f32 v[4:5], v[4:5], v[0:1], v[8:9] op_sel:[0,0,1] op_sel_hi:[1,0,0]
	v_dual_mul_f32 v8, v7, v3 :: v_dual_mov_b32 v4, v7
	s_delay_alu instid0(VALU_DEP_2) | instskip(NEXT) | instid1(VALU_DEP_2)
	v_dual_mov_b32 v11, v5 :: v_dual_mov_b32 v5, v6
	v_pk_fma_f32 v[8:9], v[6:7], v[22:23], v[8:9] op_sel_hi:[1,1,0] neg_lo:[0,0,1] neg_hi:[0,0,1]
	v_mul_f32_e32 v6, v7, v0
	s_delay_alu instid0(VALU_DEP_3) | instskip(NEXT) | instid1(VALU_DEP_2)
	v_pk_add_f32 v[78:79], v[78:79], v[10:11] neg_lo:[0,1] neg_hi:[0,1]
	v_pk_fma_f32 v[4:5], v[4:5], v[22:23], v[6:7] op_sel_hi:[1,1,0]
	s_delay_alu instid0(VALU_DEP_1) | instskip(SKIP_4) | instid1(VALU_DEP_1)
	v_mov_b32_e32 v9, v5
	ds_load_2addr_b64 v[4:7], v148 offset0:20 offset1:21
	v_pk_add_f32 v[74:75], v[74:75], v[8:9] neg_lo:[0,1] neg_hi:[0,1]
	s_wait_dscnt 0x0
	v_pk_mul_f32 v[8:9], v[4:5], v[2:3] op_sel:[0,1]
	v_pk_fma_f32 v[10:11], v[4:5], v[0:1], v[8:9] op_sel:[0,0,1] op_sel_hi:[1,1,0] neg_lo:[0,0,1] neg_hi:[0,0,1]
	v_pk_fma_f32 v[4:5], v[4:5], v[0:1], v[8:9] op_sel:[0,0,1] op_sel_hi:[1,0,0]
	s_delay_alu instid0(VALU_DEP_1) | instskip(SKIP_1) | instid1(VALU_DEP_1)
	v_mov_b32_e32 v11, v5
	v_pk_mul_f32 v[4:5], v[6:7], v[2:3] op_sel:[0,1]
	v_pk_fma_f32 v[8:9], v[6:7], v[0:1], v[4:5] op_sel:[0,0,1] op_sel_hi:[1,1,0] neg_lo:[0,0,1] neg_hi:[0,0,1]
	v_pk_fma_f32 v[4:5], v[6:7], v[0:1], v[4:5] op_sel:[0,0,1] op_sel_hi:[1,0,0]
	s_delay_alu instid0(VALU_DEP_1)
	v_mov_b32_e32 v9, v5
	ds_load_2addr_b64 v[4:7], v148 offset0:22 offset1:23
	v_pk_add_f32 v[96:97], v[96:97], v[10:11] neg_lo:[0,1] neg_hi:[0,1]
	v_pk_add_f32 v[92:93], v[92:93], v[8:9] neg_lo:[0,1] neg_hi:[0,1]
	s_wait_dscnt 0x0
	v_pk_mul_f32 v[8:9], v[4:5], v[2:3] op_sel:[0,1]
	s_delay_alu instid0(VALU_DEP_1) | instskip(SKIP_1) | instid1(VALU_DEP_1)
	v_pk_fma_f32 v[10:11], v[4:5], v[0:1], v[8:9] op_sel:[0,0,1] op_sel_hi:[1,1,0] neg_lo:[0,0,1] neg_hi:[0,0,1]
	v_pk_fma_f32 v[4:5], v[4:5], v[0:1], v[8:9] op_sel:[0,0,1] op_sel_hi:[1,0,0]
	v_mov_b32_e32 v11, v5
	v_pk_mul_f32 v[4:5], v[6:7], v[2:3] op_sel:[0,1]
	s_delay_alu instid0(VALU_DEP_1) | instskip(SKIP_1) | instid1(VALU_DEP_1)
	v_pk_fma_f32 v[8:9], v[6:7], v[0:1], v[4:5] op_sel:[0,0,1] op_sel_hi:[1,1,0] neg_lo:[0,0,1] neg_hi:[0,0,1]
	v_pk_fma_f32 v[4:5], v[6:7], v[0:1], v[4:5] op_sel:[0,0,1] op_sel_hi:[1,0,0]
	v_mov_b32_e32 v9, v5
	ds_load_2addr_b64 v[4:7], v148 offset0:24 offset1:25
	v_pk_add_f32 v[94:95], v[94:95], v[10:11] neg_lo:[0,1] neg_hi:[0,1]
	v_pk_add_f32 v[90:91], v[90:91], v[8:9] neg_lo:[0,1] neg_hi:[0,1]
	s_wait_dscnt 0x0
	v_dual_mul_f32 v8, v5, v3 :: v_dual_mul_f32 v10, v5, v0
	s_delay_alu instid0(VALU_DEP_1) | instskip(NEXT) | instid1(VALU_DEP_2)
	v_pk_fma_f32 v[8:9], v[4:5], v[22:23], v[8:9] op_sel_hi:[1,1,0] neg_lo:[0,0,1] neg_hi:[0,0,1]
	v_pk_fma_f32 v[4:5], v[4:5], v[22:23], v[10:11] op_sel:[1,0,0] op_sel_hi:[0,1,0]
	s_delay_alu instid0(VALU_DEP_1) | instskip(SKIP_1) | instid1(VALU_DEP_2)
	v_mov_b32_e32 v9, v5
	v_pk_mul_f32 v[4:5], v[6:7], v[2:3] op_sel:[0,1]
	v_pk_add_f32 v[112:113], v[112:113], v[8:9] neg_lo:[0,1] neg_hi:[0,1]
	s_delay_alu instid0(VALU_DEP_2) | instskip(SKIP_1) | instid1(VALU_DEP_1)
	v_pk_fma_f32 v[8:9], v[6:7], v[0:1], v[4:5] op_sel:[0,0,1] op_sel_hi:[1,1,0] neg_lo:[0,0,1] neg_hi:[0,0,1]
	v_pk_fma_f32 v[4:5], v[6:7], v[0:1], v[4:5] op_sel:[0,0,1] op_sel_hi:[1,0,0]
	v_mov_b32_e32 v9, v5
	ds_load_2addr_b64 v[4:7], v148 offset0:26 offset1:27
	v_pk_add_f32 v[108:109], v[108:109], v[8:9] neg_lo:[0,1] neg_hi:[0,1]
	s_wait_dscnt 0x0
	v_pk_mul_f32 v[8:9], v[4:5], v[2:3] op_sel:[0,1]
	s_delay_alu instid0(VALU_DEP_1) | instskip(SKIP_1) | instid1(VALU_DEP_1)
	v_pk_fma_f32 v[10:11], v[4:5], v[0:1], v[8:9] op_sel:[0,0,1] op_sel_hi:[1,1,0] neg_lo:[0,0,1] neg_hi:[0,0,1]
	v_pk_fma_f32 v[4:5], v[4:5], v[0:1], v[8:9] op_sel:[0,0,1] op_sel_hi:[1,0,0]
	v_mov_b32_e32 v11, v5
	v_pk_mul_f32 v[4:5], v[6:7], v[2:3] op_sel:[0,1]
	s_delay_alu instid0(VALU_DEP_2) | instskip(NEXT) | instid1(VALU_DEP_2)
	v_pk_add_f32 v[110:111], v[110:111], v[10:11] neg_lo:[0,1] neg_hi:[0,1]
	v_pk_fma_f32 v[8:9], v[6:7], v[0:1], v[4:5] op_sel:[0,0,1] op_sel_hi:[1,1,0] neg_lo:[0,0,1] neg_hi:[0,0,1]
	v_pk_fma_f32 v[4:5], v[6:7], v[0:1], v[4:5] op_sel:[0,0,1] op_sel_hi:[1,0,0]
	s_delay_alu instid0(VALU_DEP_1) | instskip(SKIP_4) | instid1(VALU_DEP_1)
	v_mov_b32_e32 v9, v5
	ds_load_2addr_b64 v[4:7], v148 offset0:28 offset1:29
	v_pk_add_f32 v[106:107], v[106:107], v[8:9] neg_lo:[0,1] neg_hi:[0,1]
	s_wait_dscnt 0x0
	v_pk_mul_f32 v[8:9], v[4:5], v[2:3] op_sel:[0,1]
	v_pk_fma_f32 v[10:11], v[4:5], v[0:1], v[8:9] op_sel:[0,0,1] op_sel_hi:[1,1,0] neg_lo:[0,0,1] neg_hi:[0,0,1]
	v_pk_fma_f32 v[4:5], v[4:5], v[0:1], v[8:9] op_sel:[0,0,1] op_sel_hi:[1,0,0]
	v_dual_mul_f32 v8, v7, v3 :: v_dual_mov_b32 v4, v7
	s_delay_alu instid0(VALU_DEP_2) | instskip(NEXT) | instid1(VALU_DEP_2)
	v_dual_mov_b32 v11, v5 :: v_dual_mov_b32 v5, v6
	v_pk_fma_f32 v[8:9], v[6:7], v[22:23], v[8:9] op_sel_hi:[1,1,0] neg_lo:[0,0,1] neg_hi:[0,0,1]
	v_mul_f32_e32 v6, v7, v0
	s_delay_alu instid0(VALU_DEP_3) | instskip(NEXT) | instid1(VALU_DEP_2)
	v_pk_add_f32 v[130:131], v[130:131], v[10:11] neg_lo:[0,1] neg_hi:[0,1]
	v_pk_fma_f32 v[4:5], v[4:5], v[22:23], v[6:7] op_sel_hi:[1,1,0]
	s_delay_alu instid0(VALU_DEP_1) | instskip(SKIP_4) | instid1(VALU_DEP_1)
	v_mov_b32_e32 v9, v5
	ds_load_2addr_b64 v[4:7], v148 offset0:30 offset1:31
	v_pk_add_f32 v[126:127], v[126:127], v[8:9] neg_lo:[0,1] neg_hi:[0,1]
	s_wait_dscnt 0x0
	v_pk_mul_f32 v[8:9], v[4:5], v[2:3] op_sel:[0,1]
	v_pk_fma_f32 v[10:11], v[4:5], v[0:1], v[8:9] op_sel:[0,0,1] op_sel_hi:[1,1,0] neg_lo:[0,0,1] neg_hi:[0,0,1]
	v_pk_fma_f32 v[4:5], v[4:5], v[0:1], v[8:9] op_sel:[0,0,1] op_sel_hi:[1,0,0]
	s_delay_alu instid0(VALU_DEP_1) | instskip(SKIP_1) | instid1(VALU_DEP_1)
	v_mov_b32_e32 v11, v5
	v_pk_mul_f32 v[4:5], v[6:7], v[2:3] op_sel:[0,1]
	v_pk_fma_f32 v[8:9], v[6:7], v[0:1], v[4:5] op_sel:[0,0,1] op_sel_hi:[1,1,0] neg_lo:[0,0,1] neg_hi:[0,0,1]
	v_pk_fma_f32 v[4:5], v[6:7], v[0:1], v[4:5] op_sel:[0,0,1] op_sel_hi:[1,0,0]
	s_delay_alu instid0(VALU_DEP_1)
	v_mov_b32_e32 v9, v5
	ds_load_2addr_b64 v[4:7], v148 offset0:32 offset1:33
	v_pk_add_f32 v[128:129], v[128:129], v[10:11] neg_lo:[0,1] neg_hi:[0,1]
	v_pk_add_f32 v[124:125], v[124:125], v[8:9] neg_lo:[0,1] neg_hi:[0,1]
	s_wait_dscnt 0x0
	v_pk_mul_f32 v[8:9], v[4:5], v[2:3] op_sel:[0,1]
	s_delay_alu instid0(VALU_DEP_1) | instskip(SKIP_1) | instid1(VALU_DEP_1)
	v_pk_fma_f32 v[10:11], v[4:5], v[0:1], v[8:9] op_sel:[0,0,1] op_sel_hi:[1,1,0] neg_lo:[0,0,1] neg_hi:[0,0,1]
	v_pk_fma_f32 v[4:5], v[4:5], v[0:1], v[8:9] op_sel:[0,0,1] op_sel_hi:[1,0,0]
	v_mov_b32_e32 v11, v5
	v_pk_mul_f32 v[4:5], v[6:7], v[2:3] op_sel:[0,1]
	s_delay_alu instid0(VALU_DEP_1) | instskip(SKIP_1) | instid1(VALU_DEP_1)
	v_pk_fma_f32 v[8:9], v[6:7], v[0:1], v[4:5] op_sel:[0,0,1] op_sel_hi:[1,1,0] neg_lo:[0,0,1] neg_hi:[0,0,1]
	v_pk_fma_f32 v[4:5], v[6:7], v[0:1], v[4:5] op_sel:[0,0,1] op_sel_hi:[1,0,0]
	v_mov_b32_e32 v9, v5
	ds_load_2addr_b64 v[4:7], v148 offset0:34 offset1:35
	v_pk_add_f32 v[146:147], v[146:147], v[10:11] neg_lo:[0,1] neg_hi:[0,1]
	v_pk_add_f32 v[142:143], v[142:143], v[8:9] neg_lo:[0,1] neg_hi:[0,1]
	s_wait_dscnt 0x0
	v_dual_mul_f32 v8, v5, v3 :: v_dual_mul_f32 v10, v5, v0
	s_delay_alu instid0(VALU_DEP_1) | instskip(NEXT) | instid1(VALU_DEP_2)
	v_pk_fma_f32 v[8:9], v[4:5], v[22:23], v[8:9] op_sel_hi:[1,1,0] neg_lo:[0,0,1] neg_hi:[0,0,1]
	v_pk_fma_f32 v[4:5], v[4:5], v[22:23], v[10:11] op_sel:[1,0,0] op_sel_hi:[0,1,0]
	s_delay_alu instid0(VALU_DEP_1) | instskip(SKIP_1) | instid1(VALU_DEP_2)
	v_mov_b32_e32 v9, v5
	v_pk_mul_f32 v[4:5], v[6:7], v[2:3] op_sel:[0,1]
	v_pk_add_f32 v[144:145], v[144:145], v[8:9] neg_lo:[0,1] neg_hi:[0,1]
	s_delay_alu instid0(VALU_DEP_2) | instskip(SKIP_1) | instid1(VALU_DEP_1)
	v_pk_fma_f32 v[8:9], v[6:7], v[0:1], v[4:5] op_sel:[0,0,1] op_sel_hi:[1,1,0] neg_lo:[0,0,1] neg_hi:[0,0,1]
	v_pk_fma_f32 v[4:5], v[6:7], v[0:1], v[4:5] op_sel:[0,0,1] op_sel_hi:[1,0,0]
	v_mov_b32_e32 v9, v5
	ds_load_2addr_b64 v[4:7], v148 offset0:36 offset1:37
	v_pk_add_f32 v[140:141], v[140:141], v[8:9] neg_lo:[0,1] neg_hi:[0,1]
	s_wait_dscnt 0x0
	v_pk_mul_f32 v[8:9], v[4:5], v[2:3] op_sel:[0,1]
	s_delay_alu instid0(VALU_DEP_1) | instskip(SKIP_1) | instid1(VALU_DEP_1)
	v_pk_fma_f32 v[10:11], v[4:5], v[0:1], v[8:9] op_sel:[0,0,1] op_sel_hi:[1,1,0] neg_lo:[0,0,1] neg_hi:[0,0,1]
	v_pk_fma_f32 v[4:5], v[4:5], v[0:1], v[8:9] op_sel:[0,0,1] op_sel_hi:[1,0,0]
	v_mov_b32_e32 v11, v5
	v_pk_mul_f32 v[4:5], v[6:7], v[2:3] op_sel:[0,1]
	s_delay_alu instid0(VALU_DEP_2) | instskip(NEXT) | instid1(VALU_DEP_2)
	v_pk_add_f32 v[162:163], v[162:163], v[10:11] neg_lo:[0,1] neg_hi:[0,1]
	v_pk_fma_f32 v[8:9], v[6:7], v[0:1], v[4:5] op_sel:[0,0,1] op_sel_hi:[1,1,0] neg_lo:[0,0,1] neg_hi:[0,0,1]
	v_pk_fma_f32 v[4:5], v[6:7], v[0:1], v[4:5] op_sel:[0,0,1] op_sel_hi:[1,0,0]
	s_delay_alu instid0(VALU_DEP_1) | instskip(SKIP_4) | instid1(VALU_DEP_1)
	v_mov_b32_e32 v9, v5
	ds_load_2addr_b64 v[4:7], v148 offset0:38 offset1:39
	v_pk_add_f32 v[158:159], v[158:159], v[8:9] neg_lo:[0,1] neg_hi:[0,1]
	s_wait_dscnt 0x0
	v_pk_mul_f32 v[8:9], v[4:5], v[2:3] op_sel:[0,1]
	v_pk_fma_f32 v[10:11], v[4:5], v[0:1], v[8:9] op_sel:[0,0,1] op_sel_hi:[1,1,0] neg_lo:[0,0,1] neg_hi:[0,0,1]
	v_pk_fma_f32 v[4:5], v[4:5], v[0:1], v[8:9] op_sel:[0,0,1] op_sel_hi:[1,0,0]
	v_dual_mul_f32 v8, v7, v3 :: v_dual_mov_b32 v4, v7
	s_delay_alu instid0(VALU_DEP_2) | instskip(NEXT) | instid1(VALU_DEP_2)
	v_dual_mov_b32 v11, v5 :: v_dual_mov_b32 v5, v6
	v_pk_fma_f32 v[8:9], v[6:7], v[22:23], v[8:9] op_sel_hi:[1,1,0] neg_lo:[0,0,1] neg_hi:[0,0,1]
	v_mul_f32_e32 v6, v7, v0
	s_delay_alu instid0(VALU_DEP_3) | instskip(NEXT) | instid1(VALU_DEP_2)
	v_pk_add_f32 v[160:161], v[160:161], v[10:11] neg_lo:[0,1] neg_hi:[0,1]
	v_pk_fma_f32 v[4:5], v[4:5], v[22:23], v[6:7] op_sel_hi:[1,1,0]
	s_delay_alu instid0(VALU_DEP_1) | instskip(SKIP_4) | instid1(VALU_DEP_1)
	v_mov_b32_e32 v9, v5
	ds_load_2addr_b64 v[4:7], v148 offset0:40 offset1:41
	v_pk_add_f32 v[156:157], v[156:157], v[8:9] neg_lo:[0,1] neg_hi:[0,1]
	s_wait_dscnt 0x0
	v_pk_mul_f32 v[8:9], v[4:5], v[2:3] op_sel:[0,1]
	v_pk_fma_f32 v[10:11], v[4:5], v[0:1], v[8:9] op_sel:[0,0,1] op_sel_hi:[1,1,0] neg_lo:[0,0,1] neg_hi:[0,0,1]
	v_pk_fma_f32 v[4:5], v[4:5], v[0:1], v[8:9] op_sel:[0,0,1] op_sel_hi:[1,0,0]
	s_delay_alu instid0(VALU_DEP_1) | instskip(SKIP_1) | instid1(VALU_DEP_1)
	v_mov_b32_e32 v11, v5
	v_pk_mul_f32 v[4:5], v[6:7], v[2:3] op_sel:[0,1]
	v_pk_fma_f32 v[8:9], v[6:7], v[0:1], v[4:5] op_sel:[0,0,1] op_sel_hi:[1,1,0] neg_lo:[0,0,1] neg_hi:[0,0,1]
	v_pk_fma_f32 v[4:5], v[6:7], v[0:1], v[4:5] op_sel:[0,0,1] op_sel_hi:[1,0,0]
	s_delay_alu instid0(VALU_DEP_1)
	v_mov_b32_e32 v9, v5
	ds_load_2addr_b64 v[4:7], v148 offset0:42 offset1:43
	v_pk_add_f32 v[178:179], v[178:179], v[10:11] neg_lo:[0,1] neg_hi:[0,1]
	v_pk_add_f32 v[174:175], v[174:175], v[8:9] neg_lo:[0,1] neg_hi:[0,1]
	s_wait_dscnt 0x0
	v_pk_mul_f32 v[8:9], v[4:5], v[2:3] op_sel:[0,1]
	s_delay_alu instid0(VALU_DEP_1) | instskip(SKIP_1) | instid1(VALU_DEP_1)
	v_pk_fma_f32 v[10:11], v[4:5], v[0:1], v[8:9] op_sel:[0,0,1] op_sel_hi:[1,1,0] neg_lo:[0,0,1] neg_hi:[0,0,1]
	v_pk_fma_f32 v[4:5], v[4:5], v[0:1], v[8:9] op_sel:[0,0,1] op_sel_hi:[1,0,0]
	v_mov_b32_e32 v11, v5
	v_pk_mul_f32 v[4:5], v[6:7], v[2:3] op_sel:[0,1]
	s_delay_alu instid0(VALU_DEP_1) | instskip(SKIP_1) | instid1(VALU_DEP_1)
	v_pk_fma_f32 v[8:9], v[6:7], v[0:1], v[4:5] op_sel:[0,0,1] op_sel_hi:[1,1,0] neg_lo:[0,0,1] neg_hi:[0,0,1]
	v_pk_fma_f32 v[4:5], v[6:7], v[0:1], v[4:5] op_sel:[0,0,1] op_sel_hi:[1,0,0]
	v_mov_b32_e32 v9, v5
	ds_load_2addr_b64 v[4:7], v148 offset0:44 offset1:45
	v_pk_add_f32 v[176:177], v[176:177], v[10:11] neg_lo:[0,1] neg_hi:[0,1]
	v_pk_add_f32 v[172:173], v[172:173], v[8:9] neg_lo:[0,1] neg_hi:[0,1]
	s_wait_dscnt 0x0
	v_dual_mul_f32 v8, v5, v3 :: v_dual_mul_f32 v10, v5, v0
	s_delay_alu instid0(VALU_DEP_1) | instskip(NEXT) | instid1(VALU_DEP_2)
	v_pk_fma_f32 v[8:9], v[4:5], v[22:23], v[8:9] op_sel_hi:[1,1,0] neg_lo:[0,0,1] neg_hi:[0,0,1]
	v_pk_fma_f32 v[4:5], v[4:5], v[22:23], v[10:11] op_sel:[1,0,0] op_sel_hi:[0,1,0]
	s_delay_alu instid0(VALU_DEP_1) | instskip(SKIP_1) | instid1(VALU_DEP_2)
	v_mov_b32_e32 v9, v5
	v_pk_mul_f32 v[4:5], v[6:7], v[2:3] op_sel:[0,1]
	v_pk_add_f32 v[196:197], v[196:197], v[8:9] neg_lo:[0,1] neg_hi:[0,1]
	s_delay_alu instid0(VALU_DEP_2) | instskip(SKIP_1) | instid1(VALU_DEP_1)
	v_pk_fma_f32 v[8:9], v[6:7], v[0:1], v[4:5] op_sel:[0,0,1] op_sel_hi:[1,1,0] neg_lo:[0,0,1] neg_hi:[0,0,1]
	v_pk_fma_f32 v[4:5], v[6:7], v[0:1], v[4:5] op_sel:[0,0,1] op_sel_hi:[1,0,0]
	v_mov_b32_e32 v9, v5
	ds_load_2addr_b64 v[4:7], v148 offset0:46 offset1:47
	v_pk_add_f32 v[192:193], v[192:193], v[8:9] neg_lo:[0,1] neg_hi:[0,1]
	s_wait_dscnt 0x0
	v_pk_mul_f32 v[8:9], v[4:5], v[2:3] op_sel:[0,1]
	s_delay_alu instid0(VALU_DEP_1) | instskip(SKIP_1) | instid1(VALU_DEP_1)
	v_pk_fma_f32 v[10:11], v[4:5], v[0:1], v[8:9] op_sel:[0,0,1] op_sel_hi:[1,1,0] neg_lo:[0,0,1] neg_hi:[0,0,1]
	v_pk_fma_f32 v[4:5], v[4:5], v[0:1], v[8:9] op_sel:[0,0,1] op_sel_hi:[1,0,0]
	v_mov_b32_e32 v11, v5
	v_pk_mul_f32 v[4:5], v[6:7], v[2:3] op_sel:[0,1]
	s_delay_alu instid0(VALU_DEP_2) | instskip(NEXT) | instid1(VALU_DEP_2)
	v_pk_add_f32 v[194:195], v[194:195], v[10:11] neg_lo:[0,1] neg_hi:[0,1]
	v_pk_fma_f32 v[8:9], v[6:7], v[0:1], v[4:5] op_sel:[0,0,1] op_sel_hi:[1,1,0] neg_lo:[0,0,1] neg_hi:[0,0,1]
	v_pk_fma_f32 v[4:5], v[6:7], v[0:1], v[4:5] op_sel:[0,0,1] op_sel_hi:[1,0,0]
	s_delay_alu instid0(VALU_DEP_1) | instskip(SKIP_4) | instid1(VALU_DEP_1)
	v_mov_b32_e32 v9, v5
	ds_load_2addr_b64 v[4:7], v148 offset0:48 offset1:49
	v_pk_add_f32 v[190:191], v[190:191], v[8:9] neg_lo:[0,1] neg_hi:[0,1]
	s_wait_dscnt 0x0
	v_pk_mul_f32 v[8:9], v[4:5], v[2:3] op_sel:[0,1]
	v_pk_fma_f32 v[10:11], v[4:5], v[0:1], v[8:9] op_sel:[0,0,1] op_sel_hi:[1,1,0] neg_lo:[0,0,1] neg_hi:[0,0,1]
	v_pk_fma_f32 v[4:5], v[4:5], v[0:1], v[8:9] op_sel:[0,0,1] op_sel_hi:[1,0,0]
	v_dual_mul_f32 v8, v7, v3 :: v_dual_mov_b32 v4, v7
	s_delay_alu instid0(VALU_DEP_2) | instskip(NEXT) | instid1(VALU_DEP_2)
	v_dual_mov_b32 v11, v5 :: v_dual_mov_b32 v5, v6
	v_pk_fma_f32 v[8:9], v[6:7], v[22:23], v[8:9] op_sel_hi:[1,1,0] neg_lo:[0,0,1] neg_hi:[0,0,1]
	v_mul_f32_e32 v6, v7, v0
	s_delay_alu instid0(VALU_DEP_3) | instskip(NEXT) | instid1(VALU_DEP_2)
	v_pk_add_f32 v[212:213], v[212:213], v[10:11] neg_lo:[0,1] neg_hi:[0,1]
	v_pk_fma_f32 v[4:5], v[4:5], v[22:23], v[6:7] op_sel_hi:[1,1,0]
	s_delay_alu instid0(VALU_DEP_1) | instskip(SKIP_4) | instid1(VALU_DEP_1)
	v_mov_b32_e32 v9, v5
	ds_load_2addr_b64 v[4:7], v148 offset0:50 offset1:51
	v_pk_add_f32 v[208:209], v[208:209], v[8:9] neg_lo:[0,1] neg_hi:[0,1]
	s_wait_dscnt 0x0
	v_pk_mul_f32 v[8:9], v[4:5], v[2:3] op_sel:[0,1]
	v_pk_fma_f32 v[10:11], v[4:5], v[0:1], v[8:9] op_sel:[0,0,1] op_sel_hi:[1,1,0] neg_lo:[0,0,1] neg_hi:[0,0,1]
	v_pk_fma_f32 v[4:5], v[4:5], v[0:1], v[8:9] op_sel:[0,0,1] op_sel_hi:[1,0,0]
	s_delay_alu instid0(VALU_DEP_1) | instskip(SKIP_1) | instid1(VALU_DEP_1)
	v_mov_b32_e32 v11, v5
	v_pk_mul_f32 v[4:5], v[6:7], v[2:3] op_sel:[0,1]
	v_pk_fma_f32 v[8:9], v[6:7], v[0:1], v[4:5] op_sel:[0,0,1] op_sel_hi:[1,1,0] neg_lo:[0,0,1] neg_hi:[0,0,1]
	v_pk_fma_f32 v[4:5], v[6:7], v[0:1], v[4:5] op_sel:[0,0,1] op_sel_hi:[1,0,0]
	s_delay_alu instid0(VALU_DEP_1)
	v_mov_b32_e32 v9, v5
	ds_load_2addr_b64 v[4:7], v148 offset0:52 offset1:53
	v_pk_add_f32 v[210:211], v[210:211], v[10:11] neg_lo:[0,1] neg_hi:[0,1]
	v_pk_add_f32 v[206:207], v[206:207], v[8:9] neg_lo:[0,1] neg_hi:[0,1]
	s_wait_dscnt 0x0
	v_pk_mul_f32 v[8:9], v[4:5], v[2:3] op_sel:[0,1]
	v_mul_f32_e32 v2, v7, v3
	s_delay_alu instid0(VALU_DEP_2) | instskip(SKIP_2) | instid1(VALU_DEP_4)
	v_pk_fma_f32 v[10:11], v[4:5], v[0:1], v[8:9] op_sel:[0,0,1] op_sel_hi:[1,1,0] neg_lo:[0,0,1] neg_hi:[0,0,1]
	v_pk_fma_f32 v[4:5], v[4:5], v[0:1], v[8:9] op_sel:[0,0,1] op_sel_hi:[1,0,0]
	v_dual_mov_b32 v4, v7 :: v_dual_mul_f32 v0, v7, v0
	v_pk_fma_f32 v[2:3], v[6:7], v[22:23], v[2:3] op_sel_hi:[1,1,0] neg_lo:[0,0,1] neg_hi:[0,0,1]
	s_delay_alu instid0(VALU_DEP_3) | instskip(NEXT) | instid1(VALU_DEP_1)
	v_dual_mov_b32 v11, v5 :: v_dual_mov_b32 v5, v6
	v_pk_add_f32 v[214:215], v[214:215], v[10:11] neg_lo:[0,1] neg_hi:[0,1]
	s_delay_alu instid0(VALU_DEP_2) | instskip(NEXT) | instid1(VALU_DEP_1)
	v_pk_fma_f32 v[0:1], v[4:5], v[22:23], v[0:1] op_sel_hi:[1,1,0]
	v_mov_b32_e32 v3, v1
	s_delay_alu instid0(VALU_DEP_1)
	v_pk_add_f32 v[216:217], v[216:217], v[2:3] neg_lo:[0,1] neg_hi:[0,1]
.LBB107_55:
	s_wait_xcnt 0x0
	s_or_b32 exec_lo, exec_lo, s1
	s_delay_alu instid0(SALU_CYCLE_1)
	s_mov_b32 s2, exec_lo
	s_wait_storecnt 0x0
	s_barrier_signal -1
	s_barrier_wait -1
	v_cmpx_eq_u32_e32 6, v138
	s_cbranch_execz .LBB107_62
; %bb.56:
	ds_store_b64 v139, v[24:25]
	ds_store_2addr_b64 v148, v[20:21], v[40:41] offset0:7 offset1:8
	ds_store_2addr_b64 v148, v[36:37], v[38:39] offset0:9 offset1:10
	;; [unrolled: 1-line block ×23, first 2 shown]
	ds_store_b64 v148, v[216:217] offset:424
	ds_load_b64 v[0:1], v139
	s_wait_dscnt 0x0
	v_cmp_neq_f32_e32 vcc_lo, 0, v0
	v_cmp_neq_f32_e64 s1, 0, v1
	s_or_b32 s1, vcc_lo, s1
	s_delay_alu instid0(SALU_CYCLE_1)
	s_and_b32 exec_lo, exec_lo, s1
	s_cbranch_execz .LBB107_62
; %bb.57:
	v_cmp_ngt_f32_e64 s1, |v0|, |v1|
                                        ; implicit-def: $vgpr2_vgpr3
	s_and_saveexec_b32 s4, s1
	s_delay_alu instid0(SALU_CYCLE_1)
	s_xor_b32 s1, exec_lo, s4
	s_cbranch_execz .LBB107_59
; %bb.58:
	v_div_scale_f32 v2, null, v1, v1, v0
	v_div_scale_f32 v5, vcc_lo, v0, v1, v0
	s_delay_alu instid0(VALU_DEP_2) | instskip(SKIP_1) | instid1(TRANS32_DEP_1)
	v_rcp_f32_e32 v3, v2
	v_nop
	v_fma_f32 v4, -v2, v3, 1.0
	s_delay_alu instid0(VALU_DEP_1) | instskip(NEXT) | instid1(VALU_DEP_1)
	v_fmac_f32_e32 v3, v4, v3
	v_mul_f32_e32 v4, v5, v3
	s_delay_alu instid0(VALU_DEP_1) | instskip(NEXT) | instid1(VALU_DEP_1)
	v_fma_f32 v6, -v2, v4, v5
	v_fmac_f32_e32 v4, v6, v3
	s_delay_alu instid0(VALU_DEP_1) | instskip(NEXT) | instid1(VALU_DEP_1)
	v_fma_f32 v2, -v2, v4, v5
	v_div_fmas_f32 v2, v2, v3, v4
	s_delay_alu instid0(VALU_DEP_1) | instskip(NEXT) | instid1(VALU_DEP_1)
	v_div_fixup_f32 v2, v2, v1, v0
	v_fmac_f32_e32 v1, v0, v2
	s_delay_alu instid0(VALU_DEP_1) | instskip(SKIP_1) | instid1(VALU_DEP_2)
	v_div_scale_f32 v0, null, v1, v1, 1.0
	v_div_scale_f32 v5, vcc_lo, 1.0, v1, 1.0
	v_rcp_f32_e32 v3, v0
	v_nop
	s_delay_alu instid0(TRANS32_DEP_1) | instskip(NEXT) | instid1(VALU_DEP_1)
	v_fma_f32 v4, -v0, v3, 1.0
	v_fmac_f32_e32 v3, v4, v3
	s_delay_alu instid0(VALU_DEP_1) | instskip(NEXT) | instid1(VALU_DEP_1)
	v_mul_f32_e32 v4, v5, v3
	v_fma_f32 v6, -v0, v4, v5
	s_delay_alu instid0(VALU_DEP_1) | instskip(NEXT) | instid1(VALU_DEP_1)
	v_fmac_f32_e32 v4, v6, v3
	v_fma_f32 v0, -v0, v4, v5
	s_delay_alu instid0(VALU_DEP_1) | instskip(NEXT) | instid1(VALU_DEP_1)
	v_div_fmas_f32 v0, v0, v3, v4
	v_div_fixup_f32 v0, v0, v1, 1.0
	s_delay_alu instid0(VALU_DEP_1)
	v_mul_f32_e32 v2, v2, v0
	v_xor_b32_e32 v3, 0x80000000, v0
                                        ; implicit-def: $vgpr0_vgpr1
.LBB107_59:
	s_and_not1_saveexec_b32 s1, s1
	s_cbranch_execz .LBB107_61
; %bb.60:
	v_div_scale_f32 v2, null, v0, v0, v1
	v_div_scale_f32 v5, vcc_lo, v1, v0, v1
	s_delay_alu instid0(VALU_DEP_2) | instskip(SKIP_1) | instid1(TRANS32_DEP_1)
	v_rcp_f32_e32 v3, v2
	v_nop
	v_fma_f32 v4, -v2, v3, 1.0
	s_delay_alu instid0(VALU_DEP_1) | instskip(NEXT) | instid1(VALU_DEP_1)
	v_fmac_f32_e32 v3, v4, v3
	v_mul_f32_e32 v4, v5, v3
	s_delay_alu instid0(VALU_DEP_1) | instskip(NEXT) | instid1(VALU_DEP_1)
	v_fma_f32 v6, -v2, v4, v5
	v_fmac_f32_e32 v4, v6, v3
	s_delay_alu instid0(VALU_DEP_1) | instskip(NEXT) | instid1(VALU_DEP_1)
	v_fma_f32 v2, -v2, v4, v5
	v_div_fmas_f32 v2, v2, v3, v4
	s_delay_alu instid0(VALU_DEP_1) | instskip(NEXT) | instid1(VALU_DEP_1)
	v_div_fixup_f32 v3, v2, v0, v1
	v_fmac_f32_e32 v0, v1, v3
	s_delay_alu instid0(VALU_DEP_1) | instskip(NEXT) | instid1(VALU_DEP_1)
	v_div_scale_f32 v1, null, v0, v0, 1.0
	v_rcp_f32_e32 v2, v1
	v_nop
	s_delay_alu instid0(TRANS32_DEP_1) | instskip(NEXT) | instid1(VALU_DEP_1)
	v_fma_f32 v4, -v1, v2, 1.0
	v_fmac_f32_e32 v2, v4, v2
	v_div_scale_f32 v4, vcc_lo, 1.0, v0, 1.0
	s_delay_alu instid0(VALU_DEP_1) | instskip(NEXT) | instid1(VALU_DEP_1)
	v_mul_f32_e32 v5, v4, v2
	v_fma_f32 v6, -v1, v5, v4
	s_delay_alu instid0(VALU_DEP_1) | instskip(NEXT) | instid1(VALU_DEP_1)
	v_fmac_f32_e32 v5, v6, v2
	v_fma_f32 v1, -v1, v5, v4
	s_delay_alu instid0(VALU_DEP_1) | instskip(NEXT) | instid1(VALU_DEP_1)
	v_div_fmas_f32 v1, v1, v2, v5
	v_div_fixup_f32 v2, v1, v0, 1.0
	s_delay_alu instid0(VALU_DEP_1)
	v_mul_f32_e64 v3, v3, -v2
.LBB107_61:
	s_or_b32 exec_lo, exec_lo, s1
	ds_store_b64 v139, v[2:3]
.LBB107_62:
	s_or_b32 exec_lo, exec_lo, s2
	s_wait_dscnt 0x0
	s_barrier_signal -1
	s_barrier_wait -1
	ds_load_b64 v[0:1], v139
	s_mov_b32 s1, exec_lo
	s_wait_dscnt 0x0
	scratch_store_b64 off, v[0:1], off offset:216 ; 8-byte Folded Spill
	s_wait_xcnt 0x0
	v_cmpx_lt_u32_e32 6, v138
	s_cbranch_execz .LBB107_64
; %bb.63:
	scratch_load_b64 v[4:5], off, off offset:216 ; 8-byte Folded Reload
	s_wait_loadcnt 0x0
	v_pk_mul_f32 v[2:3], v[4:5], v[24:25] op_sel:[1,1] op_sel_hi:[0,1]
	s_delay_alu instid0(VALU_DEP_1)
	v_pk_fma_f32 v[0:1], v[4:5], v[24:25], v[2:3] op_sel_hi:[1,0,1] neg_lo:[0,0,1] neg_hi:[0,0,1]
	v_pk_fma_f32 v[2:3], v[4:5], v[24:25], v[2:3] op_sel_hi:[1,0,1]
	ds_load_2addr_b64 v[4:7], v148 offset0:7 offset1:8
	v_dual_mov_b32 v24, v0 :: v_dual_mov_b32 v25, v3
	s_wait_dscnt 0x0
	v_pk_mul_f32 v[8:9], v[4:5], v[2:3] op_sel:[0,1]
	s_delay_alu instid0(VALU_DEP_1) | instskip(SKIP_1) | instid1(VALU_DEP_1)
	v_pk_fma_f32 v[10:11], v[4:5], v[0:1], v[8:9] op_sel:[0,0,1] op_sel_hi:[1,1,0] neg_lo:[0,0,1] neg_hi:[0,0,1]
	v_pk_fma_f32 v[4:5], v[4:5], v[0:1], v[8:9] op_sel:[0,0,1] op_sel_hi:[1,0,0]
	v_mov_b32_e32 v11, v5
	v_pk_mul_f32 v[4:5], v[6:7], v[2:3] op_sel:[0,1]
	s_delay_alu instid0(VALU_DEP_1) | instskip(SKIP_1) | instid1(VALU_DEP_1)
	v_pk_fma_f32 v[8:9], v[6:7], v[0:1], v[4:5] op_sel:[0,0,1] op_sel_hi:[1,1,0] neg_lo:[0,0,1] neg_hi:[0,0,1]
	v_pk_fma_f32 v[4:5], v[6:7], v[0:1], v[4:5] op_sel:[0,0,1] op_sel_hi:[1,0,0]
	v_mov_b32_e32 v9, v5
	ds_load_2addr_b64 v[4:7], v148 offset0:9 offset1:10
	v_pk_add_f32 v[20:21], v[20:21], v[10:11] neg_lo:[0,1] neg_hi:[0,1]
	v_pk_add_f32 v[40:41], v[40:41], v[8:9] neg_lo:[0,1] neg_hi:[0,1]
	s_wait_dscnt 0x0
	v_pk_mul_f32 v[8:9], v[4:5], v[2:3] op_sel:[0,1]
	s_delay_alu instid0(VALU_DEP_1) | instskip(SKIP_2) | instid1(VALU_DEP_2)
	v_pk_fma_f32 v[10:11], v[4:5], v[0:1], v[8:9] op_sel:[0,0,1] op_sel_hi:[1,1,0] neg_lo:[0,0,1] neg_hi:[0,0,1]
	v_pk_fma_f32 v[4:5], v[4:5], v[0:1], v[8:9] op_sel:[0,0,1] op_sel_hi:[1,0,0]
	v_dual_mul_f32 v8, v7, v3 :: v_dual_mov_b32 v4, v7
	v_dual_mov_b32 v11, v5 :: v_dual_mov_b32 v5, v6
	s_delay_alu instid0(VALU_DEP_2) | instskip(SKIP_1) | instid1(VALU_DEP_3)
	v_pk_fma_f32 v[8:9], v[6:7], v[24:25], v[8:9] op_sel_hi:[1,1,0] neg_lo:[0,0,1] neg_hi:[0,0,1]
	v_mul_f32_e32 v6, v7, v0
	v_pk_add_f32 v[36:37], v[36:37], v[10:11] neg_lo:[0,1] neg_hi:[0,1]
	s_delay_alu instid0(VALU_DEP_2) | instskip(NEXT) | instid1(VALU_DEP_1)
	v_pk_fma_f32 v[4:5], v[4:5], v[24:25], v[6:7] op_sel_hi:[1,1,0]
	v_mov_b32_e32 v9, v5
	ds_load_2addr_b64 v[4:7], v148 offset0:11 offset1:12
	v_pk_add_f32 v[38:39], v[38:39], v[8:9] neg_lo:[0,1] neg_hi:[0,1]
	s_wait_dscnt 0x0
	v_pk_mul_f32 v[8:9], v[4:5], v[2:3] op_sel:[0,1]
	s_delay_alu instid0(VALU_DEP_1) | instskip(SKIP_1) | instid1(VALU_DEP_1)
	v_pk_fma_f32 v[10:11], v[4:5], v[0:1], v[8:9] op_sel:[0,0,1] op_sel_hi:[1,1,0] neg_lo:[0,0,1] neg_hi:[0,0,1]
	v_pk_fma_f32 v[4:5], v[4:5], v[0:1], v[8:9] op_sel:[0,0,1] op_sel_hi:[1,0,0]
	v_mov_b32_e32 v11, v5
	v_pk_mul_f32 v[4:5], v[6:7], v[2:3] op_sel:[0,1]
	s_delay_alu instid0(VALU_DEP_1) | instskip(SKIP_1) | instid1(VALU_DEP_1)
	v_pk_fma_f32 v[8:9], v[6:7], v[0:1], v[4:5] op_sel:[0,0,1] op_sel_hi:[1,1,0] neg_lo:[0,0,1] neg_hi:[0,0,1]
	v_pk_fma_f32 v[4:5], v[6:7], v[0:1], v[4:5] op_sel:[0,0,1] op_sel_hi:[1,0,0]
	v_mov_b32_e32 v9, v5
	ds_load_2addr_b64 v[4:7], v148 offset0:13 offset1:14
	v_pk_add_f32 v[34:35], v[34:35], v[10:11] neg_lo:[0,1] neg_hi:[0,1]
	v_pk_add_f32 v[64:65], v[64:65], v[8:9] neg_lo:[0,1] neg_hi:[0,1]
	s_wait_dscnt 0x0
	v_pk_mul_f32 v[8:9], v[4:5], v[2:3] op_sel:[0,1]
	s_delay_alu instid0(VALU_DEP_1) | instskip(SKIP_1) | instid1(VALU_DEP_1)
	v_pk_fma_f32 v[10:11], v[4:5], v[0:1], v[8:9] op_sel:[0,0,1] op_sel_hi:[1,1,0] neg_lo:[0,0,1] neg_hi:[0,0,1]
	v_pk_fma_f32 v[4:5], v[4:5], v[0:1], v[8:9] op_sel:[0,0,1] op_sel_hi:[1,0,0]
	v_mov_b32_e32 v11, v5
	v_pk_mul_f32 v[4:5], v[6:7], v[2:3] op_sel:[0,1]
	s_delay_alu instid0(VALU_DEP_1) | instskip(SKIP_1) | instid1(VALU_DEP_1)
	v_pk_fma_f32 v[8:9], v[6:7], v[0:1], v[4:5] op_sel:[0,0,1] op_sel_hi:[1,1,0] neg_lo:[0,0,1] neg_hi:[0,0,1]
	v_pk_fma_f32 v[4:5], v[6:7], v[0:1], v[4:5] op_sel:[0,0,1] op_sel_hi:[1,0,0]
	v_mov_b32_e32 v9, v5
	ds_load_2addr_b64 v[4:7], v148 offset0:15 offset1:16
	v_pk_add_f32 v[60:61], v[60:61], v[10:11] neg_lo:[0,1] neg_hi:[0,1]
	v_pk_add_f32 v[62:63], v[62:63], v[8:9] neg_lo:[0,1] neg_hi:[0,1]
	s_wait_dscnt 0x0
	v_dual_mul_f32 v8, v5, v3 :: v_dual_mul_f32 v10, v5, v0
	s_delay_alu instid0(VALU_DEP_1) | instskip(NEXT) | instid1(VALU_DEP_2)
	v_pk_fma_f32 v[8:9], v[4:5], v[24:25], v[8:9] op_sel_hi:[1,1,0] neg_lo:[0,0,1] neg_hi:[0,0,1]
	v_pk_fma_f32 v[4:5], v[4:5], v[24:25], v[10:11] op_sel:[1,0,0] op_sel_hi:[0,1,0]
	s_delay_alu instid0(VALU_DEP_1) | instskip(SKIP_1) | instid1(VALU_DEP_2)
	v_mov_b32_e32 v9, v5
	v_pk_mul_f32 v[4:5], v[6:7], v[2:3] op_sel:[0,1]
	v_pk_add_f32 v[58:59], v[58:59], v[8:9] neg_lo:[0,1] neg_hi:[0,1]
	s_delay_alu instid0(VALU_DEP_2) | instskip(SKIP_1) | instid1(VALU_DEP_1)
	v_pk_fma_f32 v[8:9], v[6:7], v[0:1], v[4:5] op_sel:[0,0,1] op_sel_hi:[1,1,0] neg_lo:[0,0,1] neg_hi:[0,0,1]
	v_pk_fma_f32 v[4:5], v[6:7], v[0:1], v[4:5] op_sel:[0,0,1] op_sel_hi:[1,0,0]
	v_mov_b32_e32 v9, v5
	ds_load_2addr_b64 v[4:7], v148 offset0:17 offset1:18
	v_pk_add_f32 v[80:81], v[80:81], v[8:9] neg_lo:[0,1] neg_hi:[0,1]
	s_wait_dscnt 0x0
	v_pk_mul_f32 v[8:9], v[4:5], v[2:3] op_sel:[0,1]
	s_delay_alu instid0(VALU_DEP_1) | instskip(SKIP_1) | instid1(VALU_DEP_1)
	v_pk_fma_f32 v[10:11], v[4:5], v[0:1], v[8:9] op_sel:[0,0,1] op_sel_hi:[1,1,0] neg_lo:[0,0,1] neg_hi:[0,0,1]
	v_pk_fma_f32 v[4:5], v[4:5], v[0:1], v[8:9] op_sel:[0,0,1] op_sel_hi:[1,0,0]
	v_mov_b32_e32 v11, v5
	v_pk_mul_f32 v[4:5], v[6:7], v[2:3] op_sel:[0,1]
	s_delay_alu instid0(VALU_DEP_2) | instskip(NEXT) | instid1(VALU_DEP_2)
	v_pk_add_f32 v[76:77], v[76:77], v[10:11] neg_lo:[0,1] neg_hi:[0,1]
	v_pk_fma_f32 v[8:9], v[6:7], v[0:1], v[4:5] op_sel:[0,0,1] op_sel_hi:[1,1,0] neg_lo:[0,0,1] neg_hi:[0,0,1]
	v_pk_fma_f32 v[4:5], v[6:7], v[0:1], v[4:5] op_sel:[0,0,1] op_sel_hi:[1,0,0]
	s_delay_alu instid0(VALU_DEP_1) | instskip(SKIP_4) | instid1(VALU_DEP_1)
	v_mov_b32_e32 v9, v5
	ds_load_2addr_b64 v[4:7], v148 offset0:19 offset1:20
	v_pk_add_f32 v[78:79], v[78:79], v[8:9] neg_lo:[0,1] neg_hi:[0,1]
	s_wait_dscnt 0x0
	v_pk_mul_f32 v[8:9], v[4:5], v[2:3] op_sel:[0,1]
	v_pk_fma_f32 v[10:11], v[4:5], v[0:1], v[8:9] op_sel:[0,0,1] op_sel_hi:[1,1,0] neg_lo:[0,0,1] neg_hi:[0,0,1]
	v_pk_fma_f32 v[4:5], v[4:5], v[0:1], v[8:9] op_sel:[0,0,1] op_sel_hi:[1,0,0]
	v_dual_mul_f32 v8, v7, v3 :: v_dual_mov_b32 v4, v7
	s_delay_alu instid0(VALU_DEP_2) | instskip(NEXT) | instid1(VALU_DEP_2)
	v_dual_mov_b32 v11, v5 :: v_dual_mov_b32 v5, v6
	v_pk_fma_f32 v[8:9], v[6:7], v[24:25], v[8:9] op_sel_hi:[1,1,0] neg_lo:[0,0,1] neg_hi:[0,0,1]
	v_mul_f32_e32 v6, v7, v0
	s_delay_alu instid0(VALU_DEP_3) | instskip(NEXT) | instid1(VALU_DEP_2)
	v_pk_add_f32 v[74:75], v[74:75], v[10:11] neg_lo:[0,1] neg_hi:[0,1]
	v_pk_fma_f32 v[4:5], v[4:5], v[24:25], v[6:7] op_sel_hi:[1,1,0]
	s_delay_alu instid0(VALU_DEP_1) | instskip(SKIP_4) | instid1(VALU_DEP_1)
	v_mov_b32_e32 v9, v5
	ds_load_2addr_b64 v[4:7], v148 offset0:21 offset1:22
	v_pk_add_f32 v[96:97], v[96:97], v[8:9] neg_lo:[0,1] neg_hi:[0,1]
	s_wait_dscnt 0x0
	v_pk_mul_f32 v[8:9], v[4:5], v[2:3] op_sel:[0,1]
	v_pk_fma_f32 v[10:11], v[4:5], v[0:1], v[8:9] op_sel:[0,0,1] op_sel_hi:[1,1,0] neg_lo:[0,0,1] neg_hi:[0,0,1]
	v_pk_fma_f32 v[4:5], v[4:5], v[0:1], v[8:9] op_sel:[0,0,1] op_sel_hi:[1,0,0]
	s_delay_alu instid0(VALU_DEP_1) | instskip(SKIP_1) | instid1(VALU_DEP_1)
	v_mov_b32_e32 v11, v5
	v_pk_mul_f32 v[4:5], v[6:7], v[2:3] op_sel:[0,1]
	v_pk_fma_f32 v[8:9], v[6:7], v[0:1], v[4:5] op_sel:[0,0,1] op_sel_hi:[1,1,0] neg_lo:[0,0,1] neg_hi:[0,0,1]
	v_pk_fma_f32 v[4:5], v[6:7], v[0:1], v[4:5] op_sel:[0,0,1] op_sel_hi:[1,0,0]
	s_delay_alu instid0(VALU_DEP_1)
	v_mov_b32_e32 v9, v5
	ds_load_2addr_b64 v[4:7], v148 offset0:23 offset1:24
	v_pk_add_f32 v[92:93], v[92:93], v[10:11] neg_lo:[0,1] neg_hi:[0,1]
	v_pk_add_f32 v[94:95], v[94:95], v[8:9] neg_lo:[0,1] neg_hi:[0,1]
	s_wait_dscnt 0x0
	v_pk_mul_f32 v[8:9], v[4:5], v[2:3] op_sel:[0,1]
	s_delay_alu instid0(VALU_DEP_1) | instskip(SKIP_1) | instid1(VALU_DEP_1)
	v_pk_fma_f32 v[10:11], v[4:5], v[0:1], v[8:9] op_sel:[0,0,1] op_sel_hi:[1,1,0] neg_lo:[0,0,1] neg_hi:[0,0,1]
	v_pk_fma_f32 v[4:5], v[4:5], v[0:1], v[8:9] op_sel:[0,0,1] op_sel_hi:[1,0,0]
	v_mov_b32_e32 v11, v5
	v_pk_mul_f32 v[4:5], v[6:7], v[2:3] op_sel:[0,1]
	s_delay_alu instid0(VALU_DEP_1) | instskip(SKIP_1) | instid1(VALU_DEP_1)
	v_pk_fma_f32 v[8:9], v[6:7], v[0:1], v[4:5] op_sel:[0,0,1] op_sel_hi:[1,1,0] neg_lo:[0,0,1] neg_hi:[0,0,1]
	v_pk_fma_f32 v[4:5], v[6:7], v[0:1], v[4:5] op_sel:[0,0,1] op_sel_hi:[1,0,0]
	v_mov_b32_e32 v9, v5
	ds_load_2addr_b64 v[4:7], v148 offset0:25 offset1:26
	v_pk_add_f32 v[90:91], v[90:91], v[10:11] neg_lo:[0,1] neg_hi:[0,1]
	v_pk_add_f32 v[112:113], v[112:113], v[8:9] neg_lo:[0,1] neg_hi:[0,1]
	s_wait_dscnt 0x0
	v_dual_mul_f32 v8, v5, v3 :: v_dual_mul_f32 v10, v5, v0
	s_delay_alu instid0(VALU_DEP_1) | instskip(NEXT) | instid1(VALU_DEP_2)
	v_pk_fma_f32 v[8:9], v[4:5], v[24:25], v[8:9] op_sel_hi:[1,1,0] neg_lo:[0,0,1] neg_hi:[0,0,1]
	v_pk_fma_f32 v[4:5], v[4:5], v[24:25], v[10:11] op_sel:[1,0,0] op_sel_hi:[0,1,0]
	s_delay_alu instid0(VALU_DEP_1) | instskip(SKIP_1) | instid1(VALU_DEP_2)
	v_mov_b32_e32 v9, v5
	v_pk_mul_f32 v[4:5], v[6:7], v[2:3] op_sel:[0,1]
	v_pk_add_f32 v[108:109], v[108:109], v[8:9] neg_lo:[0,1] neg_hi:[0,1]
	s_delay_alu instid0(VALU_DEP_2) | instskip(SKIP_1) | instid1(VALU_DEP_1)
	v_pk_fma_f32 v[8:9], v[6:7], v[0:1], v[4:5] op_sel:[0,0,1] op_sel_hi:[1,1,0] neg_lo:[0,0,1] neg_hi:[0,0,1]
	v_pk_fma_f32 v[4:5], v[6:7], v[0:1], v[4:5] op_sel:[0,0,1] op_sel_hi:[1,0,0]
	v_mov_b32_e32 v9, v5
	ds_load_2addr_b64 v[4:7], v148 offset0:27 offset1:28
	v_pk_add_f32 v[110:111], v[110:111], v[8:9] neg_lo:[0,1] neg_hi:[0,1]
	s_wait_dscnt 0x0
	v_pk_mul_f32 v[8:9], v[4:5], v[2:3] op_sel:[0,1]
	s_delay_alu instid0(VALU_DEP_1) | instskip(SKIP_1) | instid1(VALU_DEP_1)
	v_pk_fma_f32 v[10:11], v[4:5], v[0:1], v[8:9] op_sel:[0,0,1] op_sel_hi:[1,1,0] neg_lo:[0,0,1] neg_hi:[0,0,1]
	v_pk_fma_f32 v[4:5], v[4:5], v[0:1], v[8:9] op_sel:[0,0,1] op_sel_hi:[1,0,0]
	v_mov_b32_e32 v11, v5
	v_pk_mul_f32 v[4:5], v[6:7], v[2:3] op_sel:[0,1]
	s_delay_alu instid0(VALU_DEP_2) | instskip(NEXT) | instid1(VALU_DEP_2)
	v_pk_add_f32 v[106:107], v[106:107], v[10:11] neg_lo:[0,1] neg_hi:[0,1]
	v_pk_fma_f32 v[8:9], v[6:7], v[0:1], v[4:5] op_sel:[0,0,1] op_sel_hi:[1,1,0] neg_lo:[0,0,1] neg_hi:[0,0,1]
	v_pk_fma_f32 v[4:5], v[6:7], v[0:1], v[4:5] op_sel:[0,0,1] op_sel_hi:[1,0,0]
	s_delay_alu instid0(VALU_DEP_1) | instskip(SKIP_4) | instid1(VALU_DEP_1)
	v_mov_b32_e32 v9, v5
	ds_load_2addr_b64 v[4:7], v148 offset0:29 offset1:30
	v_pk_add_f32 v[130:131], v[130:131], v[8:9] neg_lo:[0,1] neg_hi:[0,1]
	s_wait_dscnt 0x0
	v_pk_mul_f32 v[8:9], v[4:5], v[2:3] op_sel:[0,1]
	v_pk_fma_f32 v[10:11], v[4:5], v[0:1], v[8:9] op_sel:[0,0,1] op_sel_hi:[1,1,0] neg_lo:[0,0,1] neg_hi:[0,0,1]
	v_pk_fma_f32 v[4:5], v[4:5], v[0:1], v[8:9] op_sel:[0,0,1] op_sel_hi:[1,0,0]
	v_dual_mul_f32 v8, v7, v3 :: v_dual_mov_b32 v4, v7
	s_delay_alu instid0(VALU_DEP_2) | instskip(NEXT) | instid1(VALU_DEP_2)
	v_dual_mov_b32 v11, v5 :: v_dual_mov_b32 v5, v6
	v_pk_fma_f32 v[8:9], v[6:7], v[24:25], v[8:9] op_sel_hi:[1,1,0] neg_lo:[0,0,1] neg_hi:[0,0,1]
	v_mul_f32_e32 v6, v7, v0
	s_delay_alu instid0(VALU_DEP_3) | instskip(NEXT) | instid1(VALU_DEP_2)
	v_pk_add_f32 v[126:127], v[126:127], v[10:11] neg_lo:[0,1] neg_hi:[0,1]
	v_pk_fma_f32 v[4:5], v[4:5], v[24:25], v[6:7] op_sel_hi:[1,1,0]
	s_delay_alu instid0(VALU_DEP_1) | instskip(SKIP_4) | instid1(VALU_DEP_1)
	v_mov_b32_e32 v9, v5
	ds_load_2addr_b64 v[4:7], v148 offset0:31 offset1:32
	v_pk_add_f32 v[128:129], v[128:129], v[8:9] neg_lo:[0,1] neg_hi:[0,1]
	s_wait_dscnt 0x0
	v_pk_mul_f32 v[8:9], v[4:5], v[2:3] op_sel:[0,1]
	v_pk_fma_f32 v[10:11], v[4:5], v[0:1], v[8:9] op_sel:[0,0,1] op_sel_hi:[1,1,0] neg_lo:[0,0,1] neg_hi:[0,0,1]
	v_pk_fma_f32 v[4:5], v[4:5], v[0:1], v[8:9] op_sel:[0,0,1] op_sel_hi:[1,0,0]
	s_delay_alu instid0(VALU_DEP_1) | instskip(SKIP_1) | instid1(VALU_DEP_1)
	v_mov_b32_e32 v11, v5
	v_pk_mul_f32 v[4:5], v[6:7], v[2:3] op_sel:[0,1]
	v_pk_fma_f32 v[8:9], v[6:7], v[0:1], v[4:5] op_sel:[0,0,1] op_sel_hi:[1,1,0] neg_lo:[0,0,1] neg_hi:[0,0,1]
	v_pk_fma_f32 v[4:5], v[6:7], v[0:1], v[4:5] op_sel:[0,0,1] op_sel_hi:[1,0,0]
	s_delay_alu instid0(VALU_DEP_1)
	v_mov_b32_e32 v9, v5
	ds_load_2addr_b64 v[4:7], v148 offset0:33 offset1:34
	v_pk_add_f32 v[124:125], v[124:125], v[10:11] neg_lo:[0,1] neg_hi:[0,1]
	v_pk_add_f32 v[146:147], v[146:147], v[8:9] neg_lo:[0,1] neg_hi:[0,1]
	s_wait_dscnt 0x0
	v_pk_mul_f32 v[8:9], v[4:5], v[2:3] op_sel:[0,1]
	s_delay_alu instid0(VALU_DEP_1) | instskip(SKIP_1) | instid1(VALU_DEP_1)
	v_pk_fma_f32 v[10:11], v[4:5], v[0:1], v[8:9] op_sel:[0,0,1] op_sel_hi:[1,1,0] neg_lo:[0,0,1] neg_hi:[0,0,1]
	v_pk_fma_f32 v[4:5], v[4:5], v[0:1], v[8:9] op_sel:[0,0,1] op_sel_hi:[1,0,0]
	v_mov_b32_e32 v11, v5
	v_pk_mul_f32 v[4:5], v[6:7], v[2:3] op_sel:[0,1]
	s_delay_alu instid0(VALU_DEP_1) | instskip(SKIP_1) | instid1(VALU_DEP_1)
	v_pk_fma_f32 v[8:9], v[6:7], v[0:1], v[4:5] op_sel:[0,0,1] op_sel_hi:[1,1,0] neg_lo:[0,0,1] neg_hi:[0,0,1]
	v_pk_fma_f32 v[4:5], v[6:7], v[0:1], v[4:5] op_sel:[0,0,1] op_sel_hi:[1,0,0]
	v_mov_b32_e32 v9, v5
	ds_load_2addr_b64 v[4:7], v148 offset0:35 offset1:36
	v_pk_add_f32 v[142:143], v[142:143], v[10:11] neg_lo:[0,1] neg_hi:[0,1]
	v_pk_add_f32 v[144:145], v[144:145], v[8:9] neg_lo:[0,1] neg_hi:[0,1]
	s_wait_dscnt 0x0
	v_dual_mul_f32 v8, v5, v3 :: v_dual_mul_f32 v10, v5, v0
	s_delay_alu instid0(VALU_DEP_1) | instskip(NEXT) | instid1(VALU_DEP_2)
	v_pk_fma_f32 v[8:9], v[4:5], v[24:25], v[8:9] op_sel_hi:[1,1,0] neg_lo:[0,0,1] neg_hi:[0,0,1]
	v_pk_fma_f32 v[4:5], v[4:5], v[24:25], v[10:11] op_sel:[1,0,0] op_sel_hi:[0,1,0]
	s_delay_alu instid0(VALU_DEP_1) | instskip(SKIP_1) | instid1(VALU_DEP_2)
	v_mov_b32_e32 v9, v5
	v_pk_mul_f32 v[4:5], v[6:7], v[2:3] op_sel:[0,1]
	v_pk_add_f32 v[140:141], v[140:141], v[8:9] neg_lo:[0,1] neg_hi:[0,1]
	s_delay_alu instid0(VALU_DEP_2) | instskip(SKIP_1) | instid1(VALU_DEP_1)
	v_pk_fma_f32 v[8:9], v[6:7], v[0:1], v[4:5] op_sel:[0,0,1] op_sel_hi:[1,1,0] neg_lo:[0,0,1] neg_hi:[0,0,1]
	v_pk_fma_f32 v[4:5], v[6:7], v[0:1], v[4:5] op_sel:[0,0,1] op_sel_hi:[1,0,0]
	v_mov_b32_e32 v9, v5
	ds_load_2addr_b64 v[4:7], v148 offset0:37 offset1:38
	v_pk_add_f32 v[162:163], v[162:163], v[8:9] neg_lo:[0,1] neg_hi:[0,1]
	s_wait_dscnt 0x0
	v_pk_mul_f32 v[8:9], v[4:5], v[2:3] op_sel:[0,1]
	s_delay_alu instid0(VALU_DEP_1) | instskip(SKIP_1) | instid1(VALU_DEP_1)
	v_pk_fma_f32 v[10:11], v[4:5], v[0:1], v[8:9] op_sel:[0,0,1] op_sel_hi:[1,1,0] neg_lo:[0,0,1] neg_hi:[0,0,1]
	v_pk_fma_f32 v[4:5], v[4:5], v[0:1], v[8:9] op_sel:[0,0,1] op_sel_hi:[1,0,0]
	v_mov_b32_e32 v11, v5
	v_pk_mul_f32 v[4:5], v[6:7], v[2:3] op_sel:[0,1]
	s_delay_alu instid0(VALU_DEP_2) | instskip(NEXT) | instid1(VALU_DEP_2)
	v_pk_add_f32 v[158:159], v[158:159], v[10:11] neg_lo:[0,1] neg_hi:[0,1]
	v_pk_fma_f32 v[8:9], v[6:7], v[0:1], v[4:5] op_sel:[0,0,1] op_sel_hi:[1,1,0] neg_lo:[0,0,1] neg_hi:[0,0,1]
	v_pk_fma_f32 v[4:5], v[6:7], v[0:1], v[4:5] op_sel:[0,0,1] op_sel_hi:[1,0,0]
	s_delay_alu instid0(VALU_DEP_1) | instskip(SKIP_4) | instid1(VALU_DEP_1)
	v_mov_b32_e32 v9, v5
	ds_load_2addr_b64 v[4:7], v148 offset0:39 offset1:40
	v_pk_add_f32 v[160:161], v[160:161], v[8:9] neg_lo:[0,1] neg_hi:[0,1]
	s_wait_dscnt 0x0
	v_pk_mul_f32 v[8:9], v[4:5], v[2:3] op_sel:[0,1]
	v_pk_fma_f32 v[10:11], v[4:5], v[0:1], v[8:9] op_sel:[0,0,1] op_sel_hi:[1,1,0] neg_lo:[0,0,1] neg_hi:[0,0,1]
	v_pk_fma_f32 v[4:5], v[4:5], v[0:1], v[8:9] op_sel:[0,0,1] op_sel_hi:[1,0,0]
	v_dual_mul_f32 v8, v7, v3 :: v_dual_mov_b32 v4, v7
	s_delay_alu instid0(VALU_DEP_2) | instskip(NEXT) | instid1(VALU_DEP_2)
	v_dual_mov_b32 v11, v5 :: v_dual_mov_b32 v5, v6
	v_pk_fma_f32 v[8:9], v[6:7], v[24:25], v[8:9] op_sel_hi:[1,1,0] neg_lo:[0,0,1] neg_hi:[0,0,1]
	v_mul_f32_e32 v6, v7, v0
	s_delay_alu instid0(VALU_DEP_3) | instskip(NEXT) | instid1(VALU_DEP_2)
	v_pk_add_f32 v[156:157], v[156:157], v[10:11] neg_lo:[0,1] neg_hi:[0,1]
	v_pk_fma_f32 v[4:5], v[4:5], v[24:25], v[6:7] op_sel_hi:[1,1,0]
	s_delay_alu instid0(VALU_DEP_1) | instskip(SKIP_4) | instid1(VALU_DEP_1)
	v_mov_b32_e32 v9, v5
	ds_load_2addr_b64 v[4:7], v148 offset0:41 offset1:42
	v_pk_add_f32 v[178:179], v[178:179], v[8:9] neg_lo:[0,1] neg_hi:[0,1]
	s_wait_dscnt 0x0
	v_pk_mul_f32 v[8:9], v[4:5], v[2:3] op_sel:[0,1]
	v_pk_fma_f32 v[10:11], v[4:5], v[0:1], v[8:9] op_sel:[0,0,1] op_sel_hi:[1,1,0] neg_lo:[0,0,1] neg_hi:[0,0,1]
	v_pk_fma_f32 v[4:5], v[4:5], v[0:1], v[8:9] op_sel:[0,0,1] op_sel_hi:[1,0,0]
	s_delay_alu instid0(VALU_DEP_1) | instskip(SKIP_1) | instid1(VALU_DEP_1)
	v_mov_b32_e32 v11, v5
	v_pk_mul_f32 v[4:5], v[6:7], v[2:3] op_sel:[0,1]
	v_pk_fma_f32 v[8:9], v[6:7], v[0:1], v[4:5] op_sel:[0,0,1] op_sel_hi:[1,1,0] neg_lo:[0,0,1] neg_hi:[0,0,1]
	v_pk_fma_f32 v[4:5], v[6:7], v[0:1], v[4:5] op_sel:[0,0,1] op_sel_hi:[1,0,0]
	s_delay_alu instid0(VALU_DEP_1)
	v_mov_b32_e32 v9, v5
	ds_load_2addr_b64 v[4:7], v148 offset0:43 offset1:44
	v_pk_add_f32 v[174:175], v[174:175], v[10:11] neg_lo:[0,1] neg_hi:[0,1]
	v_pk_add_f32 v[176:177], v[176:177], v[8:9] neg_lo:[0,1] neg_hi:[0,1]
	s_wait_dscnt 0x0
	v_pk_mul_f32 v[8:9], v[4:5], v[2:3] op_sel:[0,1]
	s_delay_alu instid0(VALU_DEP_1) | instskip(SKIP_1) | instid1(VALU_DEP_1)
	v_pk_fma_f32 v[10:11], v[4:5], v[0:1], v[8:9] op_sel:[0,0,1] op_sel_hi:[1,1,0] neg_lo:[0,0,1] neg_hi:[0,0,1]
	v_pk_fma_f32 v[4:5], v[4:5], v[0:1], v[8:9] op_sel:[0,0,1] op_sel_hi:[1,0,0]
	v_mov_b32_e32 v11, v5
	v_pk_mul_f32 v[4:5], v[6:7], v[2:3] op_sel:[0,1]
	s_delay_alu instid0(VALU_DEP_1) | instskip(SKIP_1) | instid1(VALU_DEP_1)
	v_pk_fma_f32 v[8:9], v[6:7], v[0:1], v[4:5] op_sel:[0,0,1] op_sel_hi:[1,1,0] neg_lo:[0,0,1] neg_hi:[0,0,1]
	v_pk_fma_f32 v[4:5], v[6:7], v[0:1], v[4:5] op_sel:[0,0,1] op_sel_hi:[1,0,0]
	v_mov_b32_e32 v9, v5
	ds_load_2addr_b64 v[4:7], v148 offset0:45 offset1:46
	v_pk_add_f32 v[172:173], v[172:173], v[10:11] neg_lo:[0,1] neg_hi:[0,1]
	v_pk_add_f32 v[196:197], v[196:197], v[8:9] neg_lo:[0,1] neg_hi:[0,1]
	s_wait_dscnt 0x0
	v_dual_mul_f32 v8, v5, v3 :: v_dual_mul_f32 v10, v5, v0
	s_delay_alu instid0(VALU_DEP_1) | instskip(NEXT) | instid1(VALU_DEP_2)
	v_pk_fma_f32 v[8:9], v[4:5], v[24:25], v[8:9] op_sel_hi:[1,1,0] neg_lo:[0,0,1] neg_hi:[0,0,1]
	v_pk_fma_f32 v[4:5], v[4:5], v[24:25], v[10:11] op_sel:[1,0,0] op_sel_hi:[0,1,0]
	s_delay_alu instid0(VALU_DEP_1) | instskip(SKIP_1) | instid1(VALU_DEP_2)
	v_mov_b32_e32 v9, v5
	v_pk_mul_f32 v[4:5], v[6:7], v[2:3] op_sel:[0,1]
	v_pk_add_f32 v[192:193], v[192:193], v[8:9] neg_lo:[0,1] neg_hi:[0,1]
	s_delay_alu instid0(VALU_DEP_2) | instskip(SKIP_1) | instid1(VALU_DEP_1)
	v_pk_fma_f32 v[8:9], v[6:7], v[0:1], v[4:5] op_sel:[0,0,1] op_sel_hi:[1,1,0] neg_lo:[0,0,1] neg_hi:[0,0,1]
	v_pk_fma_f32 v[4:5], v[6:7], v[0:1], v[4:5] op_sel:[0,0,1] op_sel_hi:[1,0,0]
	v_mov_b32_e32 v9, v5
	ds_load_2addr_b64 v[4:7], v148 offset0:47 offset1:48
	v_pk_add_f32 v[194:195], v[194:195], v[8:9] neg_lo:[0,1] neg_hi:[0,1]
	s_wait_dscnt 0x0
	v_pk_mul_f32 v[8:9], v[4:5], v[2:3] op_sel:[0,1]
	s_delay_alu instid0(VALU_DEP_1) | instskip(SKIP_1) | instid1(VALU_DEP_1)
	v_pk_fma_f32 v[10:11], v[4:5], v[0:1], v[8:9] op_sel:[0,0,1] op_sel_hi:[1,1,0] neg_lo:[0,0,1] neg_hi:[0,0,1]
	v_pk_fma_f32 v[4:5], v[4:5], v[0:1], v[8:9] op_sel:[0,0,1] op_sel_hi:[1,0,0]
	v_mov_b32_e32 v11, v5
	v_pk_mul_f32 v[4:5], v[6:7], v[2:3] op_sel:[0,1]
	s_delay_alu instid0(VALU_DEP_2) | instskip(NEXT) | instid1(VALU_DEP_2)
	v_pk_add_f32 v[190:191], v[190:191], v[10:11] neg_lo:[0,1] neg_hi:[0,1]
	v_pk_fma_f32 v[8:9], v[6:7], v[0:1], v[4:5] op_sel:[0,0,1] op_sel_hi:[1,1,0] neg_lo:[0,0,1] neg_hi:[0,0,1]
	v_pk_fma_f32 v[4:5], v[6:7], v[0:1], v[4:5] op_sel:[0,0,1] op_sel_hi:[1,0,0]
	s_delay_alu instid0(VALU_DEP_1) | instskip(SKIP_4) | instid1(VALU_DEP_1)
	v_mov_b32_e32 v9, v5
	ds_load_2addr_b64 v[4:7], v148 offset0:49 offset1:50
	v_pk_add_f32 v[212:213], v[212:213], v[8:9] neg_lo:[0,1] neg_hi:[0,1]
	s_wait_dscnt 0x0
	v_pk_mul_f32 v[8:9], v[4:5], v[2:3] op_sel:[0,1]
	v_pk_fma_f32 v[10:11], v[4:5], v[0:1], v[8:9] op_sel:[0,0,1] op_sel_hi:[1,1,0] neg_lo:[0,0,1] neg_hi:[0,0,1]
	v_pk_fma_f32 v[4:5], v[4:5], v[0:1], v[8:9] op_sel:[0,0,1] op_sel_hi:[1,0,0]
	v_dual_mul_f32 v8, v7, v3 :: v_dual_mov_b32 v4, v7
	s_delay_alu instid0(VALU_DEP_2) | instskip(NEXT) | instid1(VALU_DEP_2)
	v_dual_mov_b32 v11, v5 :: v_dual_mov_b32 v5, v6
	v_pk_fma_f32 v[8:9], v[6:7], v[24:25], v[8:9] op_sel_hi:[1,1,0] neg_lo:[0,0,1] neg_hi:[0,0,1]
	v_mul_f32_e32 v6, v7, v0
	s_delay_alu instid0(VALU_DEP_3) | instskip(NEXT) | instid1(VALU_DEP_2)
	v_pk_add_f32 v[208:209], v[208:209], v[10:11] neg_lo:[0,1] neg_hi:[0,1]
	v_pk_fma_f32 v[4:5], v[4:5], v[24:25], v[6:7] op_sel_hi:[1,1,0]
	s_delay_alu instid0(VALU_DEP_1) | instskip(SKIP_4) | instid1(VALU_DEP_1)
	v_mov_b32_e32 v9, v5
	ds_load_2addr_b64 v[4:7], v148 offset0:51 offset1:52
	v_pk_add_f32 v[210:211], v[210:211], v[8:9] neg_lo:[0,1] neg_hi:[0,1]
	s_wait_dscnt 0x0
	v_pk_mul_f32 v[8:9], v[4:5], v[2:3] op_sel:[0,1]
	v_pk_fma_f32 v[10:11], v[4:5], v[0:1], v[8:9] op_sel:[0,0,1] op_sel_hi:[1,1,0] neg_lo:[0,0,1] neg_hi:[0,0,1]
	v_pk_fma_f32 v[4:5], v[4:5], v[0:1], v[8:9] op_sel:[0,0,1] op_sel_hi:[1,0,0]
	s_delay_alu instid0(VALU_DEP_1) | instskip(SKIP_1) | instid1(VALU_DEP_1)
	v_mov_b32_e32 v11, v5
	v_pk_mul_f32 v[4:5], v[6:7], v[2:3] op_sel:[0,1]
	v_pk_fma_f32 v[8:9], v[6:7], v[0:1], v[4:5] op_sel:[0,0,1] op_sel_hi:[1,1,0] neg_lo:[0,0,1] neg_hi:[0,0,1]
	v_pk_fma_f32 v[4:5], v[6:7], v[0:1], v[4:5] op_sel:[0,0,1] op_sel_hi:[1,0,0]
	s_delay_alu instid0(VALU_DEP_1)
	v_mov_b32_e32 v9, v5
	ds_load_b64 v[4:5], v148 offset:424
	v_pk_add_f32 v[206:207], v[206:207], v[10:11] neg_lo:[0,1] neg_hi:[0,1]
	v_pk_add_f32 v[214:215], v[214:215], v[8:9] neg_lo:[0,1] neg_hi:[0,1]
	s_wait_dscnt 0x0
	v_pk_mul_f32 v[2:3], v[4:5], v[2:3] op_sel:[0,1]
	s_delay_alu instid0(VALU_DEP_1) | instskip(SKIP_1) | instid1(VALU_DEP_1)
	v_pk_fma_f32 v[6:7], v[4:5], v[0:1], v[2:3] op_sel:[0,0,1] op_sel_hi:[1,1,0] neg_lo:[0,0,1] neg_hi:[0,0,1]
	v_pk_fma_f32 v[0:1], v[4:5], v[0:1], v[2:3] op_sel:[0,0,1] op_sel_hi:[1,0,0]
	v_mov_b32_e32 v7, v1
	s_delay_alu instid0(VALU_DEP_1)
	v_pk_add_f32 v[216:217], v[216:217], v[6:7] neg_lo:[0,1] neg_hi:[0,1]
.LBB107_64:
	s_wait_xcnt 0x0
	s_or_b32 exec_lo, exec_lo, s1
	s_delay_alu instid0(SALU_CYCLE_1)
	s_mov_b32 s2, exec_lo
	s_wait_storecnt 0x0
	s_barrier_signal -1
	s_barrier_wait -1
	v_cmpx_eq_u32_e32 7, v138
	s_cbranch_execz .LBB107_71
; %bb.65:
	v_dual_mov_b32 v0, v40 :: v_dual_mov_b32 v1, v41
	v_dual_mov_b32 v2, v36 :: v_dual_mov_b32 v3, v37
	ds_store_b64 v139, v[20:21]
	ds_store_2addr_b64 v148, v[0:1], v[2:3] offset0:8 offset1:9
	v_dual_mov_b32 v0, v38 :: v_dual_mov_b32 v1, v39
	v_dual_mov_b32 v2, v34 :: v_dual_mov_b32 v3, v35
	ds_store_2addr_b64 v148, v[0:1], v[2:3] offset0:10 offset1:11
	v_dual_mov_b32 v0, v64 :: v_dual_mov_b32 v1, v65
	v_dual_mov_b32 v2, v60 :: v_dual_mov_b32 v3, v61
	;; [unrolled: 3-line block ×21, first 2 shown]
	ds_store_2addr_b64 v148, v[0:1], v[2:3] offset0:50 offset1:51
	v_dual_mov_b32 v0, v214 :: v_dual_mov_b32 v1, v215
	ds_store_2addr_b64 v148, v[0:1], v[216:217] offset0:52 offset1:53
	ds_load_b64 v[0:1], v139
	s_wait_dscnt 0x0
	v_cmp_neq_f32_e32 vcc_lo, 0, v0
	v_cmp_neq_f32_e64 s1, 0, v1
	s_or_b32 s1, vcc_lo, s1
	s_delay_alu instid0(SALU_CYCLE_1)
	s_and_b32 exec_lo, exec_lo, s1
	s_cbranch_execz .LBB107_71
; %bb.66:
	v_cmp_ngt_f32_e64 s1, |v0|, |v1|
                                        ; implicit-def: $vgpr2_vgpr3
	s_and_saveexec_b32 s4, s1
	s_delay_alu instid0(SALU_CYCLE_1)
	s_xor_b32 s1, exec_lo, s4
	s_cbranch_execz .LBB107_68
; %bb.67:
	v_div_scale_f32 v2, null, v1, v1, v0
	v_div_scale_f32 v5, vcc_lo, v0, v1, v0
	s_delay_alu instid0(VALU_DEP_2) | instskip(SKIP_1) | instid1(TRANS32_DEP_1)
	v_rcp_f32_e32 v3, v2
	v_nop
	v_fma_f32 v4, -v2, v3, 1.0
	s_delay_alu instid0(VALU_DEP_1) | instskip(NEXT) | instid1(VALU_DEP_1)
	v_fmac_f32_e32 v3, v4, v3
	v_mul_f32_e32 v4, v5, v3
	s_delay_alu instid0(VALU_DEP_1) | instskip(NEXT) | instid1(VALU_DEP_1)
	v_fma_f32 v6, -v2, v4, v5
	v_fmac_f32_e32 v4, v6, v3
	s_delay_alu instid0(VALU_DEP_1) | instskip(NEXT) | instid1(VALU_DEP_1)
	v_fma_f32 v2, -v2, v4, v5
	v_div_fmas_f32 v2, v2, v3, v4
	s_delay_alu instid0(VALU_DEP_1) | instskip(NEXT) | instid1(VALU_DEP_1)
	v_div_fixup_f32 v2, v2, v1, v0
	v_fmac_f32_e32 v1, v0, v2
	s_delay_alu instid0(VALU_DEP_1) | instskip(SKIP_1) | instid1(VALU_DEP_2)
	v_div_scale_f32 v0, null, v1, v1, 1.0
	v_div_scale_f32 v5, vcc_lo, 1.0, v1, 1.0
	v_rcp_f32_e32 v3, v0
	v_nop
	s_delay_alu instid0(TRANS32_DEP_1) | instskip(NEXT) | instid1(VALU_DEP_1)
	v_fma_f32 v4, -v0, v3, 1.0
	v_fmac_f32_e32 v3, v4, v3
	s_delay_alu instid0(VALU_DEP_1) | instskip(NEXT) | instid1(VALU_DEP_1)
	v_mul_f32_e32 v4, v5, v3
	v_fma_f32 v6, -v0, v4, v5
	s_delay_alu instid0(VALU_DEP_1) | instskip(NEXT) | instid1(VALU_DEP_1)
	v_fmac_f32_e32 v4, v6, v3
	v_fma_f32 v0, -v0, v4, v5
	s_delay_alu instid0(VALU_DEP_1) | instskip(NEXT) | instid1(VALU_DEP_1)
	v_div_fmas_f32 v0, v0, v3, v4
	v_div_fixup_f32 v0, v0, v1, 1.0
	s_delay_alu instid0(VALU_DEP_1)
	v_mul_f32_e32 v2, v2, v0
	v_xor_b32_e32 v3, 0x80000000, v0
                                        ; implicit-def: $vgpr0_vgpr1
.LBB107_68:
	s_and_not1_saveexec_b32 s1, s1
	s_cbranch_execz .LBB107_70
; %bb.69:
	v_div_scale_f32 v2, null, v0, v0, v1
	v_div_scale_f32 v5, vcc_lo, v1, v0, v1
	s_delay_alu instid0(VALU_DEP_2) | instskip(SKIP_1) | instid1(TRANS32_DEP_1)
	v_rcp_f32_e32 v3, v2
	v_nop
	v_fma_f32 v4, -v2, v3, 1.0
	s_delay_alu instid0(VALU_DEP_1) | instskip(NEXT) | instid1(VALU_DEP_1)
	v_fmac_f32_e32 v3, v4, v3
	v_mul_f32_e32 v4, v5, v3
	s_delay_alu instid0(VALU_DEP_1) | instskip(NEXT) | instid1(VALU_DEP_1)
	v_fma_f32 v6, -v2, v4, v5
	v_fmac_f32_e32 v4, v6, v3
	s_delay_alu instid0(VALU_DEP_1) | instskip(NEXT) | instid1(VALU_DEP_1)
	v_fma_f32 v2, -v2, v4, v5
	v_div_fmas_f32 v2, v2, v3, v4
	s_delay_alu instid0(VALU_DEP_1) | instskip(NEXT) | instid1(VALU_DEP_1)
	v_div_fixup_f32 v3, v2, v0, v1
	v_fmac_f32_e32 v0, v1, v3
	s_delay_alu instid0(VALU_DEP_1) | instskip(NEXT) | instid1(VALU_DEP_1)
	v_div_scale_f32 v1, null, v0, v0, 1.0
	v_rcp_f32_e32 v2, v1
	v_nop
	s_delay_alu instid0(TRANS32_DEP_1) | instskip(NEXT) | instid1(VALU_DEP_1)
	v_fma_f32 v4, -v1, v2, 1.0
	v_fmac_f32_e32 v2, v4, v2
	v_div_scale_f32 v4, vcc_lo, 1.0, v0, 1.0
	s_delay_alu instid0(VALU_DEP_1) | instskip(NEXT) | instid1(VALU_DEP_1)
	v_mul_f32_e32 v5, v4, v2
	v_fma_f32 v6, -v1, v5, v4
	s_delay_alu instid0(VALU_DEP_1) | instskip(NEXT) | instid1(VALU_DEP_1)
	v_fmac_f32_e32 v5, v6, v2
	v_fma_f32 v1, -v1, v5, v4
	s_delay_alu instid0(VALU_DEP_1) | instskip(NEXT) | instid1(VALU_DEP_1)
	v_div_fmas_f32 v1, v1, v2, v5
	v_div_fixup_f32 v2, v1, v0, 1.0
	s_delay_alu instid0(VALU_DEP_1)
	v_mul_f32_e64 v3, v3, -v2
.LBB107_70:
	s_or_b32 exec_lo, exec_lo, s1
	ds_store_b64 v139, v[2:3]
.LBB107_71:
	s_or_b32 exec_lo, exec_lo, s2
	s_wait_dscnt 0x0
	s_barrier_signal -1
	s_barrier_wait -1
	ds_load_b64 v[0:1], v139
	s_mov_b32 s1, exec_lo
	s_wait_dscnt 0x0
	scratch_store_b64 off, v[0:1], off offset:224 ; 8-byte Folded Spill
	s_wait_xcnt 0x0
	v_cmpx_lt_u32_e32 7, v138
	s_cbranch_execz .LBB107_73
; %bb.72:
	scratch_load_b64 v[4:5], off, off offset:224 ; 8-byte Folded Reload
	s_wait_loadcnt 0x0
	v_pk_mul_f32 v[2:3], v[4:5], v[20:21] op_sel:[1,1] op_sel_hi:[0,1]
	s_delay_alu instid0(VALU_DEP_1)
	v_pk_fma_f32 v[0:1], v[4:5], v[20:21], v[2:3] op_sel_hi:[1,0,1] neg_lo:[0,0,1] neg_hi:[0,0,1]
	v_pk_fma_f32 v[2:3], v[4:5], v[20:21], v[2:3] op_sel_hi:[1,0,1]
	ds_load_2addr_b64 v[4:7], v148 offset0:8 offset1:9
	v_dual_mov_b32 v20, v0 :: v_dual_mov_b32 v21, v3
	s_wait_dscnt 0x0
	v_pk_mul_f32 v[8:9], v[4:5], v[2:3] op_sel:[0,1]
	s_delay_alu instid0(VALU_DEP_1) | instskip(SKIP_1) | instid1(VALU_DEP_1)
	v_pk_fma_f32 v[10:11], v[4:5], v[0:1], v[8:9] op_sel:[0,0,1] op_sel_hi:[1,1,0] neg_lo:[0,0,1] neg_hi:[0,0,1]
	v_pk_fma_f32 v[4:5], v[4:5], v[0:1], v[8:9] op_sel:[0,0,1] op_sel_hi:[1,0,0]
	v_mov_b32_e32 v11, v5
	v_pk_mul_f32 v[4:5], v[6:7], v[2:3] op_sel:[0,1]
	s_delay_alu instid0(VALU_DEP_1) | instskip(SKIP_1) | instid1(VALU_DEP_1)
	v_pk_fma_f32 v[8:9], v[6:7], v[0:1], v[4:5] op_sel:[0,0,1] op_sel_hi:[1,1,0] neg_lo:[0,0,1] neg_hi:[0,0,1]
	v_pk_fma_f32 v[4:5], v[6:7], v[0:1], v[4:5] op_sel:[0,0,1] op_sel_hi:[1,0,0]
	v_mov_b32_e32 v9, v5
	ds_load_2addr_b64 v[4:7], v148 offset0:10 offset1:11
	v_pk_add_f32 v[40:41], v[40:41], v[10:11] neg_lo:[0,1] neg_hi:[0,1]
	v_pk_add_f32 v[36:37], v[36:37], v[8:9] neg_lo:[0,1] neg_hi:[0,1]
	s_wait_dscnt 0x0
	v_pk_mul_f32 v[8:9], v[4:5], v[2:3] op_sel:[0,1]
	s_delay_alu instid0(VALU_DEP_1) | instskip(SKIP_2) | instid1(VALU_DEP_2)
	v_pk_fma_f32 v[10:11], v[4:5], v[0:1], v[8:9] op_sel:[0,0,1] op_sel_hi:[1,1,0] neg_lo:[0,0,1] neg_hi:[0,0,1]
	v_pk_fma_f32 v[4:5], v[4:5], v[0:1], v[8:9] op_sel:[0,0,1] op_sel_hi:[1,0,0]
	v_dual_mul_f32 v8, v7, v3 :: v_dual_mov_b32 v4, v7
	v_dual_mov_b32 v11, v5 :: v_dual_mov_b32 v5, v6
	s_delay_alu instid0(VALU_DEP_2) | instskip(SKIP_1) | instid1(VALU_DEP_3)
	v_pk_fma_f32 v[8:9], v[6:7], v[20:21], v[8:9] op_sel_hi:[1,1,0] neg_lo:[0,0,1] neg_hi:[0,0,1]
	v_mul_f32_e32 v6, v7, v0
	v_pk_add_f32 v[38:39], v[38:39], v[10:11] neg_lo:[0,1] neg_hi:[0,1]
	s_delay_alu instid0(VALU_DEP_2) | instskip(NEXT) | instid1(VALU_DEP_1)
	v_pk_fma_f32 v[4:5], v[4:5], v[20:21], v[6:7] op_sel_hi:[1,1,0]
	v_mov_b32_e32 v9, v5
	ds_load_2addr_b64 v[4:7], v148 offset0:12 offset1:13
	v_pk_add_f32 v[34:35], v[34:35], v[8:9] neg_lo:[0,1] neg_hi:[0,1]
	s_wait_dscnt 0x0
	v_pk_mul_f32 v[8:9], v[4:5], v[2:3] op_sel:[0,1]
	s_delay_alu instid0(VALU_DEP_1) | instskip(SKIP_1) | instid1(VALU_DEP_1)
	v_pk_fma_f32 v[10:11], v[4:5], v[0:1], v[8:9] op_sel:[0,0,1] op_sel_hi:[1,1,0] neg_lo:[0,0,1] neg_hi:[0,0,1]
	v_pk_fma_f32 v[4:5], v[4:5], v[0:1], v[8:9] op_sel:[0,0,1] op_sel_hi:[1,0,0]
	v_mov_b32_e32 v11, v5
	v_pk_mul_f32 v[4:5], v[6:7], v[2:3] op_sel:[0,1]
	s_delay_alu instid0(VALU_DEP_1) | instskip(SKIP_1) | instid1(VALU_DEP_1)
	v_pk_fma_f32 v[8:9], v[6:7], v[0:1], v[4:5] op_sel:[0,0,1] op_sel_hi:[1,1,0] neg_lo:[0,0,1] neg_hi:[0,0,1]
	v_pk_fma_f32 v[4:5], v[6:7], v[0:1], v[4:5] op_sel:[0,0,1] op_sel_hi:[1,0,0]
	v_mov_b32_e32 v9, v5
	ds_load_2addr_b64 v[4:7], v148 offset0:14 offset1:15
	v_pk_add_f32 v[64:65], v[64:65], v[10:11] neg_lo:[0,1] neg_hi:[0,1]
	v_pk_add_f32 v[60:61], v[60:61], v[8:9] neg_lo:[0,1] neg_hi:[0,1]
	s_wait_dscnt 0x0
	v_pk_mul_f32 v[8:9], v[4:5], v[2:3] op_sel:[0,1]
	s_delay_alu instid0(VALU_DEP_1) | instskip(SKIP_1) | instid1(VALU_DEP_1)
	v_pk_fma_f32 v[10:11], v[4:5], v[0:1], v[8:9] op_sel:[0,0,1] op_sel_hi:[1,1,0] neg_lo:[0,0,1] neg_hi:[0,0,1]
	v_pk_fma_f32 v[4:5], v[4:5], v[0:1], v[8:9] op_sel:[0,0,1] op_sel_hi:[1,0,0]
	v_mov_b32_e32 v11, v5
	v_pk_mul_f32 v[4:5], v[6:7], v[2:3] op_sel:[0,1]
	s_delay_alu instid0(VALU_DEP_1) | instskip(SKIP_1) | instid1(VALU_DEP_1)
	v_pk_fma_f32 v[8:9], v[6:7], v[0:1], v[4:5] op_sel:[0,0,1] op_sel_hi:[1,1,0] neg_lo:[0,0,1] neg_hi:[0,0,1]
	v_pk_fma_f32 v[4:5], v[6:7], v[0:1], v[4:5] op_sel:[0,0,1] op_sel_hi:[1,0,0]
	v_mov_b32_e32 v9, v5
	ds_load_2addr_b64 v[4:7], v148 offset0:16 offset1:17
	v_pk_add_f32 v[62:63], v[62:63], v[10:11] neg_lo:[0,1] neg_hi:[0,1]
	v_pk_add_f32 v[58:59], v[58:59], v[8:9] neg_lo:[0,1] neg_hi:[0,1]
	s_wait_dscnt 0x0
	v_dual_mul_f32 v8, v5, v3 :: v_dual_mul_f32 v10, v5, v0
	s_delay_alu instid0(VALU_DEP_1) | instskip(NEXT) | instid1(VALU_DEP_2)
	v_pk_fma_f32 v[8:9], v[4:5], v[20:21], v[8:9] op_sel_hi:[1,1,0] neg_lo:[0,0,1] neg_hi:[0,0,1]
	v_pk_fma_f32 v[4:5], v[4:5], v[20:21], v[10:11] op_sel:[1,0,0] op_sel_hi:[0,1,0]
	s_delay_alu instid0(VALU_DEP_1) | instskip(SKIP_1) | instid1(VALU_DEP_2)
	v_mov_b32_e32 v9, v5
	v_pk_mul_f32 v[4:5], v[6:7], v[2:3] op_sel:[0,1]
	v_pk_add_f32 v[80:81], v[80:81], v[8:9] neg_lo:[0,1] neg_hi:[0,1]
	s_delay_alu instid0(VALU_DEP_2) | instskip(SKIP_1) | instid1(VALU_DEP_1)
	v_pk_fma_f32 v[8:9], v[6:7], v[0:1], v[4:5] op_sel:[0,0,1] op_sel_hi:[1,1,0] neg_lo:[0,0,1] neg_hi:[0,0,1]
	v_pk_fma_f32 v[4:5], v[6:7], v[0:1], v[4:5] op_sel:[0,0,1] op_sel_hi:[1,0,0]
	v_mov_b32_e32 v9, v5
	ds_load_2addr_b64 v[4:7], v148 offset0:18 offset1:19
	v_pk_add_f32 v[76:77], v[76:77], v[8:9] neg_lo:[0,1] neg_hi:[0,1]
	s_wait_dscnt 0x0
	v_pk_mul_f32 v[8:9], v[4:5], v[2:3] op_sel:[0,1]
	s_delay_alu instid0(VALU_DEP_1) | instskip(SKIP_1) | instid1(VALU_DEP_1)
	v_pk_fma_f32 v[10:11], v[4:5], v[0:1], v[8:9] op_sel:[0,0,1] op_sel_hi:[1,1,0] neg_lo:[0,0,1] neg_hi:[0,0,1]
	v_pk_fma_f32 v[4:5], v[4:5], v[0:1], v[8:9] op_sel:[0,0,1] op_sel_hi:[1,0,0]
	v_mov_b32_e32 v11, v5
	v_pk_mul_f32 v[4:5], v[6:7], v[2:3] op_sel:[0,1]
	s_delay_alu instid0(VALU_DEP_2) | instskip(NEXT) | instid1(VALU_DEP_2)
	v_pk_add_f32 v[78:79], v[78:79], v[10:11] neg_lo:[0,1] neg_hi:[0,1]
	v_pk_fma_f32 v[8:9], v[6:7], v[0:1], v[4:5] op_sel:[0,0,1] op_sel_hi:[1,1,0] neg_lo:[0,0,1] neg_hi:[0,0,1]
	v_pk_fma_f32 v[4:5], v[6:7], v[0:1], v[4:5] op_sel:[0,0,1] op_sel_hi:[1,0,0]
	s_delay_alu instid0(VALU_DEP_1) | instskip(SKIP_4) | instid1(VALU_DEP_1)
	v_mov_b32_e32 v9, v5
	ds_load_2addr_b64 v[4:7], v148 offset0:20 offset1:21
	v_pk_add_f32 v[74:75], v[74:75], v[8:9] neg_lo:[0,1] neg_hi:[0,1]
	s_wait_dscnt 0x0
	v_pk_mul_f32 v[8:9], v[4:5], v[2:3] op_sel:[0,1]
	v_pk_fma_f32 v[10:11], v[4:5], v[0:1], v[8:9] op_sel:[0,0,1] op_sel_hi:[1,1,0] neg_lo:[0,0,1] neg_hi:[0,0,1]
	v_pk_fma_f32 v[4:5], v[4:5], v[0:1], v[8:9] op_sel:[0,0,1] op_sel_hi:[1,0,0]
	v_dual_mul_f32 v8, v7, v3 :: v_dual_mov_b32 v4, v7
	s_delay_alu instid0(VALU_DEP_2) | instskip(NEXT) | instid1(VALU_DEP_2)
	v_dual_mov_b32 v11, v5 :: v_dual_mov_b32 v5, v6
	v_pk_fma_f32 v[8:9], v[6:7], v[20:21], v[8:9] op_sel_hi:[1,1,0] neg_lo:[0,0,1] neg_hi:[0,0,1]
	v_mul_f32_e32 v6, v7, v0
	s_delay_alu instid0(VALU_DEP_3) | instskip(NEXT) | instid1(VALU_DEP_2)
	v_pk_add_f32 v[96:97], v[96:97], v[10:11] neg_lo:[0,1] neg_hi:[0,1]
	v_pk_fma_f32 v[4:5], v[4:5], v[20:21], v[6:7] op_sel_hi:[1,1,0]
	s_delay_alu instid0(VALU_DEP_1) | instskip(SKIP_4) | instid1(VALU_DEP_1)
	v_mov_b32_e32 v9, v5
	ds_load_2addr_b64 v[4:7], v148 offset0:22 offset1:23
	v_pk_add_f32 v[92:93], v[92:93], v[8:9] neg_lo:[0,1] neg_hi:[0,1]
	s_wait_dscnt 0x0
	v_pk_mul_f32 v[8:9], v[4:5], v[2:3] op_sel:[0,1]
	v_pk_fma_f32 v[10:11], v[4:5], v[0:1], v[8:9] op_sel:[0,0,1] op_sel_hi:[1,1,0] neg_lo:[0,0,1] neg_hi:[0,0,1]
	v_pk_fma_f32 v[4:5], v[4:5], v[0:1], v[8:9] op_sel:[0,0,1] op_sel_hi:[1,0,0]
	s_delay_alu instid0(VALU_DEP_1) | instskip(SKIP_1) | instid1(VALU_DEP_1)
	v_mov_b32_e32 v11, v5
	v_pk_mul_f32 v[4:5], v[6:7], v[2:3] op_sel:[0,1]
	v_pk_fma_f32 v[8:9], v[6:7], v[0:1], v[4:5] op_sel:[0,0,1] op_sel_hi:[1,1,0] neg_lo:[0,0,1] neg_hi:[0,0,1]
	v_pk_fma_f32 v[4:5], v[6:7], v[0:1], v[4:5] op_sel:[0,0,1] op_sel_hi:[1,0,0]
	s_delay_alu instid0(VALU_DEP_1)
	v_mov_b32_e32 v9, v5
	ds_load_2addr_b64 v[4:7], v148 offset0:24 offset1:25
	v_pk_add_f32 v[94:95], v[94:95], v[10:11] neg_lo:[0,1] neg_hi:[0,1]
	v_pk_add_f32 v[90:91], v[90:91], v[8:9] neg_lo:[0,1] neg_hi:[0,1]
	s_wait_dscnt 0x0
	v_pk_mul_f32 v[8:9], v[4:5], v[2:3] op_sel:[0,1]
	s_delay_alu instid0(VALU_DEP_1) | instskip(SKIP_1) | instid1(VALU_DEP_1)
	v_pk_fma_f32 v[10:11], v[4:5], v[0:1], v[8:9] op_sel:[0,0,1] op_sel_hi:[1,1,0] neg_lo:[0,0,1] neg_hi:[0,0,1]
	v_pk_fma_f32 v[4:5], v[4:5], v[0:1], v[8:9] op_sel:[0,0,1] op_sel_hi:[1,0,0]
	v_mov_b32_e32 v11, v5
	v_pk_mul_f32 v[4:5], v[6:7], v[2:3] op_sel:[0,1]
	s_delay_alu instid0(VALU_DEP_1) | instskip(SKIP_1) | instid1(VALU_DEP_1)
	v_pk_fma_f32 v[8:9], v[6:7], v[0:1], v[4:5] op_sel:[0,0,1] op_sel_hi:[1,1,0] neg_lo:[0,0,1] neg_hi:[0,0,1]
	v_pk_fma_f32 v[4:5], v[6:7], v[0:1], v[4:5] op_sel:[0,0,1] op_sel_hi:[1,0,0]
	v_mov_b32_e32 v9, v5
	ds_load_2addr_b64 v[4:7], v148 offset0:26 offset1:27
	v_pk_add_f32 v[112:113], v[112:113], v[10:11] neg_lo:[0,1] neg_hi:[0,1]
	v_pk_add_f32 v[108:109], v[108:109], v[8:9] neg_lo:[0,1] neg_hi:[0,1]
	s_wait_dscnt 0x0
	v_dual_mul_f32 v8, v5, v3 :: v_dual_mul_f32 v10, v5, v0
	s_delay_alu instid0(VALU_DEP_1) | instskip(NEXT) | instid1(VALU_DEP_2)
	v_pk_fma_f32 v[8:9], v[4:5], v[20:21], v[8:9] op_sel_hi:[1,1,0] neg_lo:[0,0,1] neg_hi:[0,0,1]
	v_pk_fma_f32 v[4:5], v[4:5], v[20:21], v[10:11] op_sel:[1,0,0] op_sel_hi:[0,1,0]
	s_delay_alu instid0(VALU_DEP_1) | instskip(SKIP_1) | instid1(VALU_DEP_2)
	v_mov_b32_e32 v9, v5
	v_pk_mul_f32 v[4:5], v[6:7], v[2:3] op_sel:[0,1]
	v_pk_add_f32 v[110:111], v[110:111], v[8:9] neg_lo:[0,1] neg_hi:[0,1]
	s_delay_alu instid0(VALU_DEP_2) | instskip(SKIP_1) | instid1(VALU_DEP_1)
	v_pk_fma_f32 v[8:9], v[6:7], v[0:1], v[4:5] op_sel:[0,0,1] op_sel_hi:[1,1,0] neg_lo:[0,0,1] neg_hi:[0,0,1]
	v_pk_fma_f32 v[4:5], v[6:7], v[0:1], v[4:5] op_sel:[0,0,1] op_sel_hi:[1,0,0]
	v_mov_b32_e32 v9, v5
	ds_load_2addr_b64 v[4:7], v148 offset0:28 offset1:29
	v_pk_add_f32 v[106:107], v[106:107], v[8:9] neg_lo:[0,1] neg_hi:[0,1]
	s_wait_dscnt 0x0
	v_pk_mul_f32 v[8:9], v[4:5], v[2:3] op_sel:[0,1]
	s_delay_alu instid0(VALU_DEP_1) | instskip(SKIP_1) | instid1(VALU_DEP_1)
	v_pk_fma_f32 v[10:11], v[4:5], v[0:1], v[8:9] op_sel:[0,0,1] op_sel_hi:[1,1,0] neg_lo:[0,0,1] neg_hi:[0,0,1]
	v_pk_fma_f32 v[4:5], v[4:5], v[0:1], v[8:9] op_sel:[0,0,1] op_sel_hi:[1,0,0]
	v_mov_b32_e32 v11, v5
	v_pk_mul_f32 v[4:5], v[6:7], v[2:3] op_sel:[0,1]
	s_delay_alu instid0(VALU_DEP_2) | instskip(NEXT) | instid1(VALU_DEP_2)
	v_pk_add_f32 v[130:131], v[130:131], v[10:11] neg_lo:[0,1] neg_hi:[0,1]
	v_pk_fma_f32 v[8:9], v[6:7], v[0:1], v[4:5] op_sel:[0,0,1] op_sel_hi:[1,1,0] neg_lo:[0,0,1] neg_hi:[0,0,1]
	v_pk_fma_f32 v[4:5], v[6:7], v[0:1], v[4:5] op_sel:[0,0,1] op_sel_hi:[1,0,0]
	s_delay_alu instid0(VALU_DEP_1) | instskip(SKIP_4) | instid1(VALU_DEP_1)
	v_mov_b32_e32 v9, v5
	ds_load_2addr_b64 v[4:7], v148 offset0:30 offset1:31
	v_pk_add_f32 v[126:127], v[126:127], v[8:9] neg_lo:[0,1] neg_hi:[0,1]
	s_wait_dscnt 0x0
	v_pk_mul_f32 v[8:9], v[4:5], v[2:3] op_sel:[0,1]
	v_pk_fma_f32 v[10:11], v[4:5], v[0:1], v[8:9] op_sel:[0,0,1] op_sel_hi:[1,1,0] neg_lo:[0,0,1] neg_hi:[0,0,1]
	v_pk_fma_f32 v[4:5], v[4:5], v[0:1], v[8:9] op_sel:[0,0,1] op_sel_hi:[1,0,0]
	v_dual_mul_f32 v8, v7, v3 :: v_dual_mov_b32 v4, v7
	s_delay_alu instid0(VALU_DEP_2) | instskip(NEXT) | instid1(VALU_DEP_2)
	v_dual_mov_b32 v11, v5 :: v_dual_mov_b32 v5, v6
	v_pk_fma_f32 v[8:9], v[6:7], v[20:21], v[8:9] op_sel_hi:[1,1,0] neg_lo:[0,0,1] neg_hi:[0,0,1]
	v_mul_f32_e32 v6, v7, v0
	s_delay_alu instid0(VALU_DEP_3) | instskip(NEXT) | instid1(VALU_DEP_2)
	v_pk_add_f32 v[128:129], v[128:129], v[10:11] neg_lo:[0,1] neg_hi:[0,1]
	v_pk_fma_f32 v[4:5], v[4:5], v[20:21], v[6:7] op_sel_hi:[1,1,0]
	s_delay_alu instid0(VALU_DEP_1) | instskip(SKIP_4) | instid1(VALU_DEP_1)
	v_mov_b32_e32 v9, v5
	ds_load_2addr_b64 v[4:7], v148 offset0:32 offset1:33
	v_pk_add_f32 v[124:125], v[124:125], v[8:9] neg_lo:[0,1] neg_hi:[0,1]
	s_wait_dscnt 0x0
	v_pk_mul_f32 v[8:9], v[4:5], v[2:3] op_sel:[0,1]
	v_pk_fma_f32 v[10:11], v[4:5], v[0:1], v[8:9] op_sel:[0,0,1] op_sel_hi:[1,1,0] neg_lo:[0,0,1] neg_hi:[0,0,1]
	v_pk_fma_f32 v[4:5], v[4:5], v[0:1], v[8:9] op_sel:[0,0,1] op_sel_hi:[1,0,0]
	s_delay_alu instid0(VALU_DEP_1) | instskip(SKIP_1) | instid1(VALU_DEP_1)
	v_mov_b32_e32 v11, v5
	v_pk_mul_f32 v[4:5], v[6:7], v[2:3] op_sel:[0,1]
	v_pk_fma_f32 v[8:9], v[6:7], v[0:1], v[4:5] op_sel:[0,0,1] op_sel_hi:[1,1,0] neg_lo:[0,0,1] neg_hi:[0,0,1]
	v_pk_fma_f32 v[4:5], v[6:7], v[0:1], v[4:5] op_sel:[0,0,1] op_sel_hi:[1,0,0]
	s_delay_alu instid0(VALU_DEP_1)
	v_mov_b32_e32 v9, v5
	ds_load_2addr_b64 v[4:7], v148 offset0:34 offset1:35
	v_pk_add_f32 v[146:147], v[146:147], v[10:11] neg_lo:[0,1] neg_hi:[0,1]
	v_pk_add_f32 v[142:143], v[142:143], v[8:9] neg_lo:[0,1] neg_hi:[0,1]
	s_wait_dscnt 0x0
	v_pk_mul_f32 v[8:9], v[4:5], v[2:3] op_sel:[0,1]
	s_delay_alu instid0(VALU_DEP_1) | instskip(SKIP_1) | instid1(VALU_DEP_1)
	v_pk_fma_f32 v[10:11], v[4:5], v[0:1], v[8:9] op_sel:[0,0,1] op_sel_hi:[1,1,0] neg_lo:[0,0,1] neg_hi:[0,0,1]
	v_pk_fma_f32 v[4:5], v[4:5], v[0:1], v[8:9] op_sel:[0,0,1] op_sel_hi:[1,0,0]
	v_mov_b32_e32 v11, v5
	v_pk_mul_f32 v[4:5], v[6:7], v[2:3] op_sel:[0,1]
	s_delay_alu instid0(VALU_DEP_1) | instskip(SKIP_1) | instid1(VALU_DEP_1)
	v_pk_fma_f32 v[8:9], v[6:7], v[0:1], v[4:5] op_sel:[0,0,1] op_sel_hi:[1,1,0] neg_lo:[0,0,1] neg_hi:[0,0,1]
	v_pk_fma_f32 v[4:5], v[6:7], v[0:1], v[4:5] op_sel:[0,0,1] op_sel_hi:[1,0,0]
	v_mov_b32_e32 v9, v5
	ds_load_2addr_b64 v[4:7], v148 offset0:36 offset1:37
	v_pk_add_f32 v[144:145], v[144:145], v[10:11] neg_lo:[0,1] neg_hi:[0,1]
	v_pk_add_f32 v[140:141], v[140:141], v[8:9] neg_lo:[0,1] neg_hi:[0,1]
	s_wait_dscnt 0x0
	v_dual_mul_f32 v8, v5, v3 :: v_dual_mul_f32 v10, v5, v0
	s_delay_alu instid0(VALU_DEP_1) | instskip(NEXT) | instid1(VALU_DEP_2)
	v_pk_fma_f32 v[8:9], v[4:5], v[20:21], v[8:9] op_sel_hi:[1,1,0] neg_lo:[0,0,1] neg_hi:[0,0,1]
	v_pk_fma_f32 v[4:5], v[4:5], v[20:21], v[10:11] op_sel:[1,0,0] op_sel_hi:[0,1,0]
	s_delay_alu instid0(VALU_DEP_1) | instskip(SKIP_1) | instid1(VALU_DEP_2)
	v_mov_b32_e32 v9, v5
	v_pk_mul_f32 v[4:5], v[6:7], v[2:3] op_sel:[0,1]
	v_pk_add_f32 v[162:163], v[162:163], v[8:9] neg_lo:[0,1] neg_hi:[0,1]
	s_delay_alu instid0(VALU_DEP_2) | instskip(SKIP_1) | instid1(VALU_DEP_1)
	v_pk_fma_f32 v[8:9], v[6:7], v[0:1], v[4:5] op_sel:[0,0,1] op_sel_hi:[1,1,0] neg_lo:[0,0,1] neg_hi:[0,0,1]
	v_pk_fma_f32 v[4:5], v[6:7], v[0:1], v[4:5] op_sel:[0,0,1] op_sel_hi:[1,0,0]
	v_mov_b32_e32 v9, v5
	ds_load_2addr_b64 v[4:7], v148 offset0:38 offset1:39
	v_pk_add_f32 v[158:159], v[158:159], v[8:9] neg_lo:[0,1] neg_hi:[0,1]
	s_wait_dscnt 0x0
	v_pk_mul_f32 v[8:9], v[4:5], v[2:3] op_sel:[0,1]
	s_delay_alu instid0(VALU_DEP_1) | instskip(SKIP_1) | instid1(VALU_DEP_1)
	v_pk_fma_f32 v[10:11], v[4:5], v[0:1], v[8:9] op_sel:[0,0,1] op_sel_hi:[1,1,0] neg_lo:[0,0,1] neg_hi:[0,0,1]
	v_pk_fma_f32 v[4:5], v[4:5], v[0:1], v[8:9] op_sel:[0,0,1] op_sel_hi:[1,0,0]
	v_mov_b32_e32 v11, v5
	v_pk_mul_f32 v[4:5], v[6:7], v[2:3] op_sel:[0,1]
	s_delay_alu instid0(VALU_DEP_2) | instskip(NEXT) | instid1(VALU_DEP_2)
	v_pk_add_f32 v[160:161], v[160:161], v[10:11] neg_lo:[0,1] neg_hi:[0,1]
	v_pk_fma_f32 v[8:9], v[6:7], v[0:1], v[4:5] op_sel:[0,0,1] op_sel_hi:[1,1,0] neg_lo:[0,0,1] neg_hi:[0,0,1]
	v_pk_fma_f32 v[4:5], v[6:7], v[0:1], v[4:5] op_sel:[0,0,1] op_sel_hi:[1,0,0]
	s_delay_alu instid0(VALU_DEP_1) | instskip(SKIP_4) | instid1(VALU_DEP_1)
	v_mov_b32_e32 v9, v5
	ds_load_2addr_b64 v[4:7], v148 offset0:40 offset1:41
	v_pk_add_f32 v[156:157], v[156:157], v[8:9] neg_lo:[0,1] neg_hi:[0,1]
	s_wait_dscnt 0x0
	v_pk_mul_f32 v[8:9], v[4:5], v[2:3] op_sel:[0,1]
	v_pk_fma_f32 v[10:11], v[4:5], v[0:1], v[8:9] op_sel:[0,0,1] op_sel_hi:[1,1,0] neg_lo:[0,0,1] neg_hi:[0,0,1]
	v_pk_fma_f32 v[4:5], v[4:5], v[0:1], v[8:9] op_sel:[0,0,1] op_sel_hi:[1,0,0]
	v_dual_mul_f32 v8, v7, v3 :: v_dual_mov_b32 v4, v7
	s_delay_alu instid0(VALU_DEP_2) | instskip(NEXT) | instid1(VALU_DEP_2)
	v_dual_mov_b32 v11, v5 :: v_dual_mov_b32 v5, v6
	v_pk_fma_f32 v[8:9], v[6:7], v[20:21], v[8:9] op_sel_hi:[1,1,0] neg_lo:[0,0,1] neg_hi:[0,0,1]
	v_mul_f32_e32 v6, v7, v0
	s_delay_alu instid0(VALU_DEP_3) | instskip(NEXT) | instid1(VALU_DEP_2)
	v_pk_add_f32 v[178:179], v[178:179], v[10:11] neg_lo:[0,1] neg_hi:[0,1]
	v_pk_fma_f32 v[4:5], v[4:5], v[20:21], v[6:7] op_sel_hi:[1,1,0]
	s_delay_alu instid0(VALU_DEP_1) | instskip(SKIP_4) | instid1(VALU_DEP_1)
	v_mov_b32_e32 v9, v5
	ds_load_2addr_b64 v[4:7], v148 offset0:42 offset1:43
	v_pk_add_f32 v[174:175], v[174:175], v[8:9] neg_lo:[0,1] neg_hi:[0,1]
	s_wait_dscnt 0x0
	v_pk_mul_f32 v[8:9], v[4:5], v[2:3] op_sel:[0,1]
	v_pk_fma_f32 v[10:11], v[4:5], v[0:1], v[8:9] op_sel:[0,0,1] op_sel_hi:[1,1,0] neg_lo:[0,0,1] neg_hi:[0,0,1]
	v_pk_fma_f32 v[4:5], v[4:5], v[0:1], v[8:9] op_sel:[0,0,1] op_sel_hi:[1,0,0]
	s_delay_alu instid0(VALU_DEP_1) | instskip(SKIP_1) | instid1(VALU_DEP_1)
	v_mov_b32_e32 v11, v5
	v_pk_mul_f32 v[4:5], v[6:7], v[2:3] op_sel:[0,1]
	v_pk_fma_f32 v[8:9], v[6:7], v[0:1], v[4:5] op_sel:[0,0,1] op_sel_hi:[1,1,0] neg_lo:[0,0,1] neg_hi:[0,0,1]
	v_pk_fma_f32 v[4:5], v[6:7], v[0:1], v[4:5] op_sel:[0,0,1] op_sel_hi:[1,0,0]
	s_delay_alu instid0(VALU_DEP_1)
	v_mov_b32_e32 v9, v5
	ds_load_2addr_b64 v[4:7], v148 offset0:44 offset1:45
	v_pk_add_f32 v[176:177], v[176:177], v[10:11] neg_lo:[0,1] neg_hi:[0,1]
	v_pk_add_f32 v[172:173], v[172:173], v[8:9] neg_lo:[0,1] neg_hi:[0,1]
	s_wait_dscnt 0x0
	v_pk_mul_f32 v[8:9], v[4:5], v[2:3] op_sel:[0,1]
	s_delay_alu instid0(VALU_DEP_1) | instskip(SKIP_1) | instid1(VALU_DEP_1)
	v_pk_fma_f32 v[10:11], v[4:5], v[0:1], v[8:9] op_sel:[0,0,1] op_sel_hi:[1,1,0] neg_lo:[0,0,1] neg_hi:[0,0,1]
	v_pk_fma_f32 v[4:5], v[4:5], v[0:1], v[8:9] op_sel:[0,0,1] op_sel_hi:[1,0,0]
	v_mov_b32_e32 v11, v5
	v_pk_mul_f32 v[4:5], v[6:7], v[2:3] op_sel:[0,1]
	s_delay_alu instid0(VALU_DEP_1) | instskip(SKIP_1) | instid1(VALU_DEP_1)
	v_pk_fma_f32 v[8:9], v[6:7], v[0:1], v[4:5] op_sel:[0,0,1] op_sel_hi:[1,1,0] neg_lo:[0,0,1] neg_hi:[0,0,1]
	v_pk_fma_f32 v[4:5], v[6:7], v[0:1], v[4:5] op_sel:[0,0,1] op_sel_hi:[1,0,0]
	v_mov_b32_e32 v9, v5
	ds_load_2addr_b64 v[4:7], v148 offset0:46 offset1:47
	v_pk_add_f32 v[196:197], v[196:197], v[10:11] neg_lo:[0,1] neg_hi:[0,1]
	v_pk_add_f32 v[192:193], v[192:193], v[8:9] neg_lo:[0,1] neg_hi:[0,1]
	s_wait_dscnt 0x0
	v_dual_mul_f32 v8, v5, v3 :: v_dual_mul_f32 v10, v5, v0
	s_delay_alu instid0(VALU_DEP_1) | instskip(NEXT) | instid1(VALU_DEP_2)
	v_pk_fma_f32 v[8:9], v[4:5], v[20:21], v[8:9] op_sel_hi:[1,1,0] neg_lo:[0,0,1] neg_hi:[0,0,1]
	v_pk_fma_f32 v[4:5], v[4:5], v[20:21], v[10:11] op_sel:[1,0,0] op_sel_hi:[0,1,0]
	s_delay_alu instid0(VALU_DEP_1) | instskip(SKIP_1) | instid1(VALU_DEP_2)
	v_mov_b32_e32 v9, v5
	v_pk_mul_f32 v[4:5], v[6:7], v[2:3] op_sel:[0,1]
	v_pk_add_f32 v[194:195], v[194:195], v[8:9] neg_lo:[0,1] neg_hi:[0,1]
	s_delay_alu instid0(VALU_DEP_2) | instskip(SKIP_1) | instid1(VALU_DEP_1)
	v_pk_fma_f32 v[8:9], v[6:7], v[0:1], v[4:5] op_sel:[0,0,1] op_sel_hi:[1,1,0] neg_lo:[0,0,1] neg_hi:[0,0,1]
	v_pk_fma_f32 v[4:5], v[6:7], v[0:1], v[4:5] op_sel:[0,0,1] op_sel_hi:[1,0,0]
	v_mov_b32_e32 v9, v5
	ds_load_2addr_b64 v[4:7], v148 offset0:48 offset1:49
	v_pk_add_f32 v[190:191], v[190:191], v[8:9] neg_lo:[0,1] neg_hi:[0,1]
	s_wait_dscnt 0x0
	v_pk_mul_f32 v[8:9], v[4:5], v[2:3] op_sel:[0,1]
	s_delay_alu instid0(VALU_DEP_1) | instskip(SKIP_1) | instid1(VALU_DEP_1)
	v_pk_fma_f32 v[10:11], v[4:5], v[0:1], v[8:9] op_sel:[0,0,1] op_sel_hi:[1,1,0] neg_lo:[0,0,1] neg_hi:[0,0,1]
	v_pk_fma_f32 v[4:5], v[4:5], v[0:1], v[8:9] op_sel:[0,0,1] op_sel_hi:[1,0,0]
	v_mov_b32_e32 v11, v5
	v_pk_mul_f32 v[4:5], v[6:7], v[2:3] op_sel:[0,1]
	s_delay_alu instid0(VALU_DEP_2) | instskip(NEXT) | instid1(VALU_DEP_2)
	v_pk_add_f32 v[212:213], v[212:213], v[10:11] neg_lo:[0,1] neg_hi:[0,1]
	v_pk_fma_f32 v[8:9], v[6:7], v[0:1], v[4:5] op_sel:[0,0,1] op_sel_hi:[1,1,0] neg_lo:[0,0,1] neg_hi:[0,0,1]
	v_pk_fma_f32 v[4:5], v[6:7], v[0:1], v[4:5] op_sel:[0,0,1] op_sel_hi:[1,0,0]
	s_delay_alu instid0(VALU_DEP_1) | instskip(SKIP_4) | instid1(VALU_DEP_1)
	v_mov_b32_e32 v9, v5
	ds_load_2addr_b64 v[4:7], v148 offset0:50 offset1:51
	v_pk_add_f32 v[208:209], v[208:209], v[8:9] neg_lo:[0,1] neg_hi:[0,1]
	s_wait_dscnt 0x0
	v_pk_mul_f32 v[8:9], v[4:5], v[2:3] op_sel:[0,1]
	v_pk_fma_f32 v[10:11], v[4:5], v[0:1], v[8:9] op_sel:[0,0,1] op_sel_hi:[1,1,0] neg_lo:[0,0,1] neg_hi:[0,0,1]
	v_pk_fma_f32 v[4:5], v[4:5], v[0:1], v[8:9] op_sel:[0,0,1] op_sel_hi:[1,0,0]
	v_dual_mul_f32 v8, v7, v3 :: v_dual_mov_b32 v4, v7
	s_delay_alu instid0(VALU_DEP_2) | instskip(NEXT) | instid1(VALU_DEP_2)
	v_dual_mov_b32 v11, v5 :: v_dual_mov_b32 v5, v6
	v_pk_fma_f32 v[8:9], v[6:7], v[20:21], v[8:9] op_sel_hi:[1,1,0] neg_lo:[0,0,1] neg_hi:[0,0,1]
	v_mul_f32_e32 v6, v7, v0
	s_delay_alu instid0(VALU_DEP_3) | instskip(NEXT) | instid1(VALU_DEP_2)
	v_pk_add_f32 v[210:211], v[210:211], v[10:11] neg_lo:[0,1] neg_hi:[0,1]
	v_pk_fma_f32 v[4:5], v[4:5], v[20:21], v[6:7] op_sel_hi:[1,1,0]
	s_delay_alu instid0(VALU_DEP_1)
	v_mov_b32_e32 v9, v5
	ds_load_2addr_b64 v[4:7], v148 offset0:52 offset1:53
	v_pk_add_f32 v[206:207], v[206:207], v[8:9] neg_lo:[0,1] neg_hi:[0,1]
	s_wait_dscnt 0x0
	v_pk_mul_f32 v[8:9], v[4:5], v[2:3] op_sel:[0,1]
	v_pk_mul_f32 v[2:3], v[6:7], v[2:3] op_sel:[0,1]
	s_delay_alu instid0(VALU_DEP_2) | instskip(SKIP_1) | instid1(VALU_DEP_1)
	v_pk_fma_f32 v[10:11], v[4:5], v[0:1], v[8:9] op_sel:[0,0,1] op_sel_hi:[1,1,0] neg_lo:[0,0,1] neg_hi:[0,0,1]
	v_pk_fma_f32 v[4:5], v[4:5], v[0:1], v[8:9] op_sel:[0,0,1] op_sel_hi:[1,0,0]
	v_mov_b32_e32 v11, v5
	s_delay_alu instid0(VALU_DEP_4) | instskip(SKIP_1) | instid1(VALU_DEP_1)
	v_pk_fma_f32 v[4:5], v[6:7], v[0:1], v[2:3] op_sel:[0,0,1] op_sel_hi:[1,1,0] neg_lo:[0,0,1] neg_hi:[0,0,1]
	v_pk_fma_f32 v[0:1], v[6:7], v[0:1], v[2:3] op_sel:[0,0,1] op_sel_hi:[1,0,0]
	v_mov_b32_e32 v5, v1
	s_delay_alu instid0(VALU_DEP_4) | instskip(NEXT) | instid1(VALU_DEP_2)
	v_pk_add_f32 v[214:215], v[214:215], v[10:11] neg_lo:[0,1] neg_hi:[0,1]
	v_pk_add_f32 v[216:217], v[216:217], v[4:5] neg_lo:[0,1] neg_hi:[0,1]
.LBB107_73:
	s_wait_xcnt 0x0
	s_or_b32 exec_lo, exec_lo, s1
	s_delay_alu instid0(SALU_CYCLE_1)
	s_mov_b32 s2, exec_lo
	s_wait_storecnt 0x0
	s_barrier_signal -1
	s_barrier_wait -1
	v_cmpx_eq_u32_e32 8, v138
	s_cbranch_execz .LBB107_80
; %bb.74:
	ds_store_b64 v139, v[40:41]
	ds_store_2addr_b64 v148, v[36:37], v[38:39] offset0:9 offset1:10
	ds_store_2addr_b64 v148, v[34:35], v[64:65] offset0:11 offset1:12
	;; [unrolled: 1-line block ×22, first 2 shown]
	ds_store_b64 v148, v[216:217] offset:424
	ds_load_b64 v[0:1], v139
	s_wait_dscnt 0x0
	v_cmp_neq_f32_e32 vcc_lo, 0, v0
	v_cmp_neq_f32_e64 s1, 0, v1
	s_or_b32 s1, vcc_lo, s1
	s_delay_alu instid0(SALU_CYCLE_1)
	s_and_b32 exec_lo, exec_lo, s1
	s_cbranch_execz .LBB107_80
; %bb.75:
	v_cmp_ngt_f32_e64 s1, |v0|, |v1|
                                        ; implicit-def: $vgpr2_vgpr3
	s_and_saveexec_b32 s4, s1
	s_delay_alu instid0(SALU_CYCLE_1)
	s_xor_b32 s1, exec_lo, s4
	s_cbranch_execz .LBB107_77
; %bb.76:
	v_div_scale_f32 v2, null, v1, v1, v0
	v_div_scale_f32 v5, vcc_lo, v0, v1, v0
	s_delay_alu instid0(VALU_DEP_2) | instskip(SKIP_1) | instid1(TRANS32_DEP_1)
	v_rcp_f32_e32 v3, v2
	v_nop
	v_fma_f32 v4, -v2, v3, 1.0
	s_delay_alu instid0(VALU_DEP_1) | instskip(NEXT) | instid1(VALU_DEP_1)
	v_fmac_f32_e32 v3, v4, v3
	v_mul_f32_e32 v4, v5, v3
	s_delay_alu instid0(VALU_DEP_1) | instskip(NEXT) | instid1(VALU_DEP_1)
	v_fma_f32 v6, -v2, v4, v5
	v_fmac_f32_e32 v4, v6, v3
	s_delay_alu instid0(VALU_DEP_1) | instskip(NEXT) | instid1(VALU_DEP_1)
	v_fma_f32 v2, -v2, v4, v5
	v_div_fmas_f32 v2, v2, v3, v4
	s_delay_alu instid0(VALU_DEP_1) | instskip(NEXT) | instid1(VALU_DEP_1)
	v_div_fixup_f32 v2, v2, v1, v0
	v_fmac_f32_e32 v1, v0, v2
	s_delay_alu instid0(VALU_DEP_1) | instskip(SKIP_1) | instid1(VALU_DEP_2)
	v_div_scale_f32 v0, null, v1, v1, 1.0
	v_div_scale_f32 v5, vcc_lo, 1.0, v1, 1.0
	v_rcp_f32_e32 v3, v0
	v_nop
	s_delay_alu instid0(TRANS32_DEP_1) | instskip(NEXT) | instid1(VALU_DEP_1)
	v_fma_f32 v4, -v0, v3, 1.0
	v_fmac_f32_e32 v3, v4, v3
	s_delay_alu instid0(VALU_DEP_1) | instskip(NEXT) | instid1(VALU_DEP_1)
	v_mul_f32_e32 v4, v5, v3
	v_fma_f32 v6, -v0, v4, v5
	s_delay_alu instid0(VALU_DEP_1) | instskip(NEXT) | instid1(VALU_DEP_1)
	v_fmac_f32_e32 v4, v6, v3
	v_fma_f32 v0, -v0, v4, v5
	s_delay_alu instid0(VALU_DEP_1) | instskip(NEXT) | instid1(VALU_DEP_1)
	v_div_fmas_f32 v0, v0, v3, v4
	v_div_fixup_f32 v0, v0, v1, 1.0
	s_delay_alu instid0(VALU_DEP_1)
	v_mul_f32_e32 v2, v2, v0
	v_xor_b32_e32 v3, 0x80000000, v0
                                        ; implicit-def: $vgpr0_vgpr1
.LBB107_77:
	s_and_not1_saveexec_b32 s1, s1
	s_cbranch_execz .LBB107_79
; %bb.78:
	v_div_scale_f32 v2, null, v0, v0, v1
	v_div_scale_f32 v5, vcc_lo, v1, v0, v1
	s_delay_alu instid0(VALU_DEP_2) | instskip(SKIP_1) | instid1(TRANS32_DEP_1)
	v_rcp_f32_e32 v3, v2
	v_nop
	v_fma_f32 v4, -v2, v3, 1.0
	s_delay_alu instid0(VALU_DEP_1) | instskip(NEXT) | instid1(VALU_DEP_1)
	v_fmac_f32_e32 v3, v4, v3
	v_mul_f32_e32 v4, v5, v3
	s_delay_alu instid0(VALU_DEP_1) | instskip(NEXT) | instid1(VALU_DEP_1)
	v_fma_f32 v6, -v2, v4, v5
	v_fmac_f32_e32 v4, v6, v3
	s_delay_alu instid0(VALU_DEP_1) | instskip(NEXT) | instid1(VALU_DEP_1)
	v_fma_f32 v2, -v2, v4, v5
	v_div_fmas_f32 v2, v2, v3, v4
	s_delay_alu instid0(VALU_DEP_1) | instskip(NEXT) | instid1(VALU_DEP_1)
	v_div_fixup_f32 v3, v2, v0, v1
	v_fmac_f32_e32 v0, v1, v3
	s_delay_alu instid0(VALU_DEP_1) | instskip(NEXT) | instid1(VALU_DEP_1)
	v_div_scale_f32 v1, null, v0, v0, 1.0
	v_rcp_f32_e32 v2, v1
	v_nop
	s_delay_alu instid0(TRANS32_DEP_1) | instskip(NEXT) | instid1(VALU_DEP_1)
	v_fma_f32 v4, -v1, v2, 1.0
	v_fmac_f32_e32 v2, v4, v2
	v_div_scale_f32 v4, vcc_lo, 1.0, v0, 1.0
	s_delay_alu instid0(VALU_DEP_1) | instskip(NEXT) | instid1(VALU_DEP_1)
	v_mul_f32_e32 v5, v4, v2
	v_fma_f32 v6, -v1, v5, v4
	s_delay_alu instid0(VALU_DEP_1) | instskip(NEXT) | instid1(VALU_DEP_1)
	v_fmac_f32_e32 v5, v6, v2
	v_fma_f32 v1, -v1, v5, v4
	s_delay_alu instid0(VALU_DEP_1) | instskip(NEXT) | instid1(VALU_DEP_1)
	v_div_fmas_f32 v1, v1, v2, v5
	v_div_fixup_f32 v2, v1, v0, 1.0
	s_delay_alu instid0(VALU_DEP_1)
	v_mul_f32_e64 v3, v3, -v2
.LBB107_79:
	s_or_b32 exec_lo, exec_lo, s1
	ds_store_b64 v139, v[2:3]
.LBB107_80:
	s_or_b32 exec_lo, exec_lo, s2
	s_wait_dscnt 0x0
	s_barrier_signal -1
	s_barrier_wait -1
	ds_load_b64 v[0:1], v139
	s_mov_b32 s1, exec_lo
	s_wait_dscnt 0x0
	scratch_store_b64 off, v[0:1], off offset:232 ; 8-byte Folded Spill
	s_wait_xcnt 0x0
	v_cmpx_lt_u32_e32 8, v138
	s_cbranch_execz .LBB107_82
; %bb.81:
	scratch_load_b64 v[4:5], off, off offset:232 ; 8-byte Folded Reload
	s_wait_loadcnt 0x0
	v_pk_mul_f32 v[2:3], v[4:5], v[40:41] op_sel:[1,1] op_sel_hi:[0,1]
	s_delay_alu instid0(VALU_DEP_1)
	v_pk_fma_f32 v[0:1], v[4:5], v[40:41], v[2:3] op_sel_hi:[1,0,1] neg_lo:[0,0,1] neg_hi:[0,0,1]
	v_pk_fma_f32 v[2:3], v[4:5], v[40:41], v[2:3] op_sel_hi:[1,0,1]
	ds_load_2addr_b64 v[4:7], v148 offset0:9 offset1:10
	v_dual_mov_b32 v40, v0 :: v_dual_mov_b32 v41, v3
	s_wait_dscnt 0x0
	v_pk_mul_f32 v[8:9], v[4:5], v[2:3] op_sel:[0,1]
	s_delay_alu instid0(VALU_DEP_1) | instskip(SKIP_1) | instid1(VALU_DEP_1)
	v_pk_fma_f32 v[10:11], v[4:5], v[0:1], v[8:9] op_sel:[0,0,1] op_sel_hi:[1,1,0] neg_lo:[0,0,1] neg_hi:[0,0,1]
	v_pk_fma_f32 v[4:5], v[4:5], v[0:1], v[8:9] op_sel:[0,0,1] op_sel_hi:[1,0,0]
	v_mov_b32_e32 v11, v5
	v_pk_mul_f32 v[4:5], v[6:7], v[2:3] op_sel:[0,1]
	s_delay_alu instid0(VALU_DEP_1) | instskip(SKIP_1) | instid1(VALU_DEP_1)
	v_pk_fma_f32 v[8:9], v[6:7], v[0:1], v[4:5] op_sel:[0,0,1] op_sel_hi:[1,1,0] neg_lo:[0,0,1] neg_hi:[0,0,1]
	v_pk_fma_f32 v[4:5], v[6:7], v[0:1], v[4:5] op_sel:[0,0,1] op_sel_hi:[1,0,0]
	v_mov_b32_e32 v9, v5
	ds_load_2addr_b64 v[4:7], v148 offset0:11 offset1:12
	v_pk_add_f32 v[36:37], v[36:37], v[10:11] neg_lo:[0,1] neg_hi:[0,1]
	v_pk_add_f32 v[38:39], v[38:39], v[8:9] neg_lo:[0,1] neg_hi:[0,1]
	s_wait_dscnt 0x0
	v_pk_mul_f32 v[8:9], v[4:5], v[2:3] op_sel:[0,1]
	s_delay_alu instid0(VALU_DEP_1) | instskip(SKIP_2) | instid1(VALU_DEP_2)
	v_pk_fma_f32 v[10:11], v[4:5], v[0:1], v[8:9] op_sel:[0,0,1] op_sel_hi:[1,1,0] neg_lo:[0,0,1] neg_hi:[0,0,1]
	v_pk_fma_f32 v[4:5], v[4:5], v[0:1], v[8:9] op_sel:[0,0,1] op_sel_hi:[1,0,0]
	v_dual_mul_f32 v8, v7, v3 :: v_dual_mov_b32 v4, v7
	v_dual_mov_b32 v11, v5 :: v_dual_mov_b32 v5, v6
	s_delay_alu instid0(VALU_DEP_2) | instskip(SKIP_1) | instid1(VALU_DEP_3)
	v_pk_fma_f32 v[8:9], v[6:7], v[40:41], v[8:9] op_sel_hi:[1,1,0] neg_lo:[0,0,1] neg_hi:[0,0,1]
	v_mul_f32_e32 v6, v7, v0
	v_pk_add_f32 v[34:35], v[34:35], v[10:11] neg_lo:[0,1] neg_hi:[0,1]
	s_delay_alu instid0(VALU_DEP_2) | instskip(NEXT) | instid1(VALU_DEP_1)
	v_pk_fma_f32 v[4:5], v[4:5], v[40:41], v[6:7] op_sel_hi:[1,1,0]
	v_mov_b32_e32 v9, v5
	ds_load_2addr_b64 v[4:7], v148 offset0:13 offset1:14
	v_pk_add_f32 v[64:65], v[64:65], v[8:9] neg_lo:[0,1] neg_hi:[0,1]
	s_wait_dscnt 0x0
	v_pk_mul_f32 v[8:9], v[4:5], v[2:3] op_sel:[0,1]
	s_delay_alu instid0(VALU_DEP_1) | instskip(SKIP_1) | instid1(VALU_DEP_1)
	v_pk_fma_f32 v[10:11], v[4:5], v[0:1], v[8:9] op_sel:[0,0,1] op_sel_hi:[1,1,0] neg_lo:[0,0,1] neg_hi:[0,0,1]
	v_pk_fma_f32 v[4:5], v[4:5], v[0:1], v[8:9] op_sel:[0,0,1] op_sel_hi:[1,0,0]
	v_mov_b32_e32 v11, v5
	v_pk_mul_f32 v[4:5], v[6:7], v[2:3] op_sel:[0,1]
	s_delay_alu instid0(VALU_DEP_1) | instskip(SKIP_1) | instid1(VALU_DEP_1)
	v_pk_fma_f32 v[8:9], v[6:7], v[0:1], v[4:5] op_sel:[0,0,1] op_sel_hi:[1,1,0] neg_lo:[0,0,1] neg_hi:[0,0,1]
	v_pk_fma_f32 v[4:5], v[6:7], v[0:1], v[4:5] op_sel:[0,0,1] op_sel_hi:[1,0,0]
	v_mov_b32_e32 v9, v5
	ds_load_2addr_b64 v[4:7], v148 offset0:15 offset1:16
	v_pk_add_f32 v[60:61], v[60:61], v[10:11] neg_lo:[0,1] neg_hi:[0,1]
	v_pk_add_f32 v[62:63], v[62:63], v[8:9] neg_lo:[0,1] neg_hi:[0,1]
	s_wait_dscnt 0x0
	v_pk_mul_f32 v[8:9], v[4:5], v[2:3] op_sel:[0,1]
	s_delay_alu instid0(VALU_DEP_1) | instskip(SKIP_1) | instid1(VALU_DEP_1)
	v_pk_fma_f32 v[10:11], v[4:5], v[0:1], v[8:9] op_sel:[0,0,1] op_sel_hi:[1,1,0] neg_lo:[0,0,1] neg_hi:[0,0,1]
	v_pk_fma_f32 v[4:5], v[4:5], v[0:1], v[8:9] op_sel:[0,0,1] op_sel_hi:[1,0,0]
	v_mov_b32_e32 v11, v5
	v_pk_mul_f32 v[4:5], v[6:7], v[2:3] op_sel:[0,1]
	s_delay_alu instid0(VALU_DEP_1) | instskip(SKIP_1) | instid1(VALU_DEP_1)
	v_pk_fma_f32 v[8:9], v[6:7], v[0:1], v[4:5] op_sel:[0,0,1] op_sel_hi:[1,1,0] neg_lo:[0,0,1] neg_hi:[0,0,1]
	v_pk_fma_f32 v[4:5], v[6:7], v[0:1], v[4:5] op_sel:[0,0,1] op_sel_hi:[1,0,0]
	v_mov_b32_e32 v9, v5
	ds_load_2addr_b64 v[4:7], v148 offset0:17 offset1:18
	v_pk_add_f32 v[58:59], v[58:59], v[10:11] neg_lo:[0,1] neg_hi:[0,1]
	v_pk_add_f32 v[80:81], v[80:81], v[8:9] neg_lo:[0,1] neg_hi:[0,1]
	s_wait_dscnt 0x0
	v_dual_mul_f32 v8, v5, v3 :: v_dual_mul_f32 v10, v5, v0
	s_delay_alu instid0(VALU_DEP_1) | instskip(NEXT) | instid1(VALU_DEP_2)
	v_pk_fma_f32 v[8:9], v[4:5], v[40:41], v[8:9] op_sel_hi:[1,1,0] neg_lo:[0,0,1] neg_hi:[0,0,1]
	v_pk_fma_f32 v[4:5], v[4:5], v[40:41], v[10:11] op_sel:[1,0,0] op_sel_hi:[0,1,0]
	s_delay_alu instid0(VALU_DEP_1) | instskip(SKIP_1) | instid1(VALU_DEP_2)
	v_mov_b32_e32 v9, v5
	v_pk_mul_f32 v[4:5], v[6:7], v[2:3] op_sel:[0,1]
	v_pk_add_f32 v[76:77], v[76:77], v[8:9] neg_lo:[0,1] neg_hi:[0,1]
	s_delay_alu instid0(VALU_DEP_2) | instskip(SKIP_1) | instid1(VALU_DEP_1)
	v_pk_fma_f32 v[8:9], v[6:7], v[0:1], v[4:5] op_sel:[0,0,1] op_sel_hi:[1,1,0] neg_lo:[0,0,1] neg_hi:[0,0,1]
	v_pk_fma_f32 v[4:5], v[6:7], v[0:1], v[4:5] op_sel:[0,0,1] op_sel_hi:[1,0,0]
	v_mov_b32_e32 v9, v5
	ds_load_2addr_b64 v[4:7], v148 offset0:19 offset1:20
	v_pk_add_f32 v[78:79], v[78:79], v[8:9] neg_lo:[0,1] neg_hi:[0,1]
	s_wait_dscnt 0x0
	v_pk_mul_f32 v[8:9], v[4:5], v[2:3] op_sel:[0,1]
	s_delay_alu instid0(VALU_DEP_1) | instskip(SKIP_1) | instid1(VALU_DEP_1)
	v_pk_fma_f32 v[10:11], v[4:5], v[0:1], v[8:9] op_sel:[0,0,1] op_sel_hi:[1,1,0] neg_lo:[0,0,1] neg_hi:[0,0,1]
	v_pk_fma_f32 v[4:5], v[4:5], v[0:1], v[8:9] op_sel:[0,0,1] op_sel_hi:[1,0,0]
	v_mov_b32_e32 v11, v5
	v_pk_mul_f32 v[4:5], v[6:7], v[2:3] op_sel:[0,1]
	s_delay_alu instid0(VALU_DEP_2) | instskip(NEXT) | instid1(VALU_DEP_2)
	v_pk_add_f32 v[74:75], v[74:75], v[10:11] neg_lo:[0,1] neg_hi:[0,1]
	v_pk_fma_f32 v[8:9], v[6:7], v[0:1], v[4:5] op_sel:[0,0,1] op_sel_hi:[1,1,0] neg_lo:[0,0,1] neg_hi:[0,0,1]
	v_pk_fma_f32 v[4:5], v[6:7], v[0:1], v[4:5] op_sel:[0,0,1] op_sel_hi:[1,0,0]
	s_delay_alu instid0(VALU_DEP_1) | instskip(SKIP_4) | instid1(VALU_DEP_1)
	v_mov_b32_e32 v9, v5
	ds_load_2addr_b64 v[4:7], v148 offset0:21 offset1:22
	v_pk_add_f32 v[96:97], v[96:97], v[8:9] neg_lo:[0,1] neg_hi:[0,1]
	s_wait_dscnt 0x0
	v_pk_mul_f32 v[8:9], v[4:5], v[2:3] op_sel:[0,1]
	v_pk_fma_f32 v[10:11], v[4:5], v[0:1], v[8:9] op_sel:[0,0,1] op_sel_hi:[1,1,0] neg_lo:[0,0,1] neg_hi:[0,0,1]
	v_pk_fma_f32 v[4:5], v[4:5], v[0:1], v[8:9] op_sel:[0,0,1] op_sel_hi:[1,0,0]
	v_dual_mul_f32 v8, v7, v3 :: v_dual_mov_b32 v4, v7
	s_delay_alu instid0(VALU_DEP_2) | instskip(NEXT) | instid1(VALU_DEP_2)
	v_dual_mov_b32 v11, v5 :: v_dual_mov_b32 v5, v6
	v_pk_fma_f32 v[8:9], v[6:7], v[40:41], v[8:9] op_sel_hi:[1,1,0] neg_lo:[0,0,1] neg_hi:[0,0,1]
	v_mul_f32_e32 v6, v7, v0
	s_delay_alu instid0(VALU_DEP_3) | instskip(NEXT) | instid1(VALU_DEP_2)
	v_pk_add_f32 v[92:93], v[92:93], v[10:11] neg_lo:[0,1] neg_hi:[0,1]
	v_pk_fma_f32 v[4:5], v[4:5], v[40:41], v[6:7] op_sel_hi:[1,1,0]
	s_delay_alu instid0(VALU_DEP_1) | instskip(SKIP_4) | instid1(VALU_DEP_1)
	v_mov_b32_e32 v9, v5
	ds_load_2addr_b64 v[4:7], v148 offset0:23 offset1:24
	v_pk_add_f32 v[94:95], v[94:95], v[8:9] neg_lo:[0,1] neg_hi:[0,1]
	s_wait_dscnt 0x0
	v_pk_mul_f32 v[8:9], v[4:5], v[2:3] op_sel:[0,1]
	v_pk_fma_f32 v[10:11], v[4:5], v[0:1], v[8:9] op_sel:[0,0,1] op_sel_hi:[1,1,0] neg_lo:[0,0,1] neg_hi:[0,0,1]
	v_pk_fma_f32 v[4:5], v[4:5], v[0:1], v[8:9] op_sel:[0,0,1] op_sel_hi:[1,0,0]
	s_delay_alu instid0(VALU_DEP_1) | instskip(SKIP_1) | instid1(VALU_DEP_1)
	v_mov_b32_e32 v11, v5
	v_pk_mul_f32 v[4:5], v[6:7], v[2:3] op_sel:[0,1]
	v_pk_fma_f32 v[8:9], v[6:7], v[0:1], v[4:5] op_sel:[0,0,1] op_sel_hi:[1,1,0] neg_lo:[0,0,1] neg_hi:[0,0,1]
	v_pk_fma_f32 v[4:5], v[6:7], v[0:1], v[4:5] op_sel:[0,0,1] op_sel_hi:[1,0,0]
	s_delay_alu instid0(VALU_DEP_1)
	v_mov_b32_e32 v9, v5
	ds_load_2addr_b64 v[4:7], v148 offset0:25 offset1:26
	v_pk_add_f32 v[90:91], v[90:91], v[10:11] neg_lo:[0,1] neg_hi:[0,1]
	v_pk_add_f32 v[112:113], v[112:113], v[8:9] neg_lo:[0,1] neg_hi:[0,1]
	s_wait_dscnt 0x0
	v_pk_mul_f32 v[8:9], v[4:5], v[2:3] op_sel:[0,1]
	s_delay_alu instid0(VALU_DEP_1) | instskip(SKIP_1) | instid1(VALU_DEP_1)
	v_pk_fma_f32 v[10:11], v[4:5], v[0:1], v[8:9] op_sel:[0,0,1] op_sel_hi:[1,1,0] neg_lo:[0,0,1] neg_hi:[0,0,1]
	v_pk_fma_f32 v[4:5], v[4:5], v[0:1], v[8:9] op_sel:[0,0,1] op_sel_hi:[1,0,0]
	v_mov_b32_e32 v11, v5
	v_pk_mul_f32 v[4:5], v[6:7], v[2:3] op_sel:[0,1]
	s_delay_alu instid0(VALU_DEP_1) | instskip(SKIP_1) | instid1(VALU_DEP_1)
	v_pk_fma_f32 v[8:9], v[6:7], v[0:1], v[4:5] op_sel:[0,0,1] op_sel_hi:[1,1,0] neg_lo:[0,0,1] neg_hi:[0,0,1]
	v_pk_fma_f32 v[4:5], v[6:7], v[0:1], v[4:5] op_sel:[0,0,1] op_sel_hi:[1,0,0]
	v_mov_b32_e32 v9, v5
	ds_load_2addr_b64 v[4:7], v148 offset0:27 offset1:28
	v_pk_add_f32 v[108:109], v[108:109], v[10:11] neg_lo:[0,1] neg_hi:[0,1]
	v_pk_add_f32 v[110:111], v[110:111], v[8:9] neg_lo:[0,1] neg_hi:[0,1]
	s_wait_dscnt 0x0
	v_dual_mul_f32 v8, v5, v3 :: v_dual_mul_f32 v10, v5, v0
	s_delay_alu instid0(VALU_DEP_1) | instskip(NEXT) | instid1(VALU_DEP_2)
	v_pk_fma_f32 v[8:9], v[4:5], v[40:41], v[8:9] op_sel_hi:[1,1,0] neg_lo:[0,0,1] neg_hi:[0,0,1]
	v_pk_fma_f32 v[4:5], v[4:5], v[40:41], v[10:11] op_sel:[1,0,0] op_sel_hi:[0,1,0]
	s_delay_alu instid0(VALU_DEP_1) | instskip(SKIP_1) | instid1(VALU_DEP_2)
	v_mov_b32_e32 v9, v5
	v_pk_mul_f32 v[4:5], v[6:7], v[2:3] op_sel:[0,1]
	v_pk_add_f32 v[106:107], v[106:107], v[8:9] neg_lo:[0,1] neg_hi:[0,1]
	s_delay_alu instid0(VALU_DEP_2) | instskip(SKIP_1) | instid1(VALU_DEP_1)
	v_pk_fma_f32 v[8:9], v[6:7], v[0:1], v[4:5] op_sel:[0,0,1] op_sel_hi:[1,1,0] neg_lo:[0,0,1] neg_hi:[0,0,1]
	v_pk_fma_f32 v[4:5], v[6:7], v[0:1], v[4:5] op_sel:[0,0,1] op_sel_hi:[1,0,0]
	v_mov_b32_e32 v9, v5
	ds_load_2addr_b64 v[4:7], v148 offset0:29 offset1:30
	v_pk_add_f32 v[130:131], v[130:131], v[8:9] neg_lo:[0,1] neg_hi:[0,1]
	s_wait_dscnt 0x0
	v_pk_mul_f32 v[8:9], v[4:5], v[2:3] op_sel:[0,1]
	s_delay_alu instid0(VALU_DEP_1) | instskip(SKIP_1) | instid1(VALU_DEP_1)
	v_pk_fma_f32 v[10:11], v[4:5], v[0:1], v[8:9] op_sel:[0,0,1] op_sel_hi:[1,1,0] neg_lo:[0,0,1] neg_hi:[0,0,1]
	v_pk_fma_f32 v[4:5], v[4:5], v[0:1], v[8:9] op_sel:[0,0,1] op_sel_hi:[1,0,0]
	v_mov_b32_e32 v11, v5
	v_pk_mul_f32 v[4:5], v[6:7], v[2:3] op_sel:[0,1]
	s_delay_alu instid0(VALU_DEP_2) | instskip(NEXT) | instid1(VALU_DEP_2)
	v_pk_add_f32 v[126:127], v[126:127], v[10:11] neg_lo:[0,1] neg_hi:[0,1]
	v_pk_fma_f32 v[8:9], v[6:7], v[0:1], v[4:5] op_sel:[0,0,1] op_sel_hi:[1,1,0] neg_lo:[0,0,1] neg_hi:[0,0,1]
	v_pk_fma_f32 v[4:5], v[6:7], v[0:1], v[4:5] op_sel:[0,0,1] op_sel_hi:[1,0,0]
	s_delay_alu instid0(VALU_DEP_1) | instskip(SKIP_4) | instid1(VALU_DEP_1)
	v_mov_b32_e32 v9, v5
	ds_load_2addr_b64 v[4:7], v148 offset0:31 offset1:32
	v_pk_add_f32 v[128:129], v[128:129], v[8:9] neg_lo:[0,1] neg_hi:[0,1]
	s_wait_dscnt 0x0
	v_pk_mul_f32 v[8:9], v[4:5], v[2:3] op_sel:[0,1]
	v_pk_fma_f32 v[10:11], v[4:5], v[0:1], v[8:9] op_sel:[0,0,1] op_sel_hi:[1,1,0] neg_lo:[0,0,1] neg_hi:[0,0,1]
	v_pk_fma_f32 v[4:5], v[4:5], v[0:1], v[8:9] op_sel:[0,0,1] op_sel_hi:[1,0,0]
	v_dual_mul_f32 v8, v7, v3 :: v_dual_mov_b32 v4, v7
	s_delay_alu instid0(VALU_DEP_2) | instskip(NEXT) | instid1(VALU_DEP_2)
	v_dual_mov_b32 v11, v5 :: v_dual_mov_b32 v5, v6
	v_pk_fma_f32 v[8:9], v[6:7], v[40:41], v[8:9] op_sel_hi:[1,1,0] neg_lo:[0,0,1] neg_hi:[0,0,1]
	v_mul_f32_e32 v6, v7, v0
	s_delay_alu instid0(VALU_DEP_3) | instskip(NEXT) | instid1(VALU_DEP_2)
	v_pk_add_f32 v[124:125], v[124:125], v[10:11] neg_lo:[0,1] neg_hi:[0,1]
	v_pk_fma_f32 v[4:5], v[4:5], v[40:41], v[6:7] op_sel_hi:[1,1,0]
	s_delay_alu instid0(VALU_DEP_1) | instskip(SKIP_4) | instid1(VALU_DEP_1)
	v_mov_b32_e32 v9, v5
	ds_load_2addr_b64 v[4:7], v148 offset0:33 offset1:34
	v_pk_add_f32 v[146:147], v[146:147], v[8:9] neg_lo:[0,1] neg_hi:[0,1]
	s_wait_dscnt 0x0
	v_pk_mul_f32 v[8:9], v[4:5], v[2:3] op_sel:[0,1]
	v_pk_fma_f32 v[10:11], v[4:5], v[0:1], v[8:9] op_sel:[0,0,1] op_sel_hi:[1,1,0] neg_lo:[0,0,1] neg_hi:[0,0,1]
	v_pk_fma_f32 v[4:5], v[4:5], v[0:1], v[8:9] op_sel:[0,0,1] op_sel_hi:[1,0,0]
	s_delay_alu instid0(VALU_DEP_1) | instskip(SKIP_1) | instid1(VALU_DEP_1)
	v_mov_b32_e32 v11, v5
	v_pk_mul_f32 v[4:5], v[6:7], v[2:3] op_sel:[0,1]
	v_pk_fma_f32 v[8:9], v[6:7], v[0:1], v[4:5] op_sel:[0,0,1] op_sel_hi:[1,1,0] neg_lo:[0,0,1] neg_hi:[0,0,1]
	v_pk_fma_f32 v[4:5], v[6:7], v[0:1], v[4:5] op_sel:[0,0,1] op_sel_hi:[1,0,0]
	s_delay_alu instid0(VALU_DEP_1)
	v_mov_b32_e32 v9, v5
	ds_load_2addr_b64 v[4:7], v148 offset0:35 offset1:36
	v_pk_add_f32 v[142:143], v[142:143], v[10:11] neg_lo:[0,1] neg_hi:[0,1]
	v_pk_add_f32 v[144:145], v[144:145], v[8:9] neg_lo:[0,1] neg_hi:[0,1]
	s_wait_dscnt 0x0
	v_pk_mul_f32 v[8:9], v[4:5], v[2:3] op_sel:[0,1]
	s_delay_alu instid0(VALU_DEP_1) | instskip(SKIP_1) | instid1(VALU_DEP_1)
	v_pk_fma_f32 v[10:11], v[4:5], v[0:1], v[8:9] op_sel:[0,0,1] op_sel_hi:[1,1,0] neg_lo:[0,0,1] neg_hi:[0,0,1]
	v_pk_fma_f32 v[4:5], v[4:5], v[0:1], v[8:9] op_sel:[0,0,1] op_sel_hi:[1,0,0]
	v_mov_b32_e32 v11, v5
	v_pk_mul_f32 v[4:5], v[6:7], v[2:3] op_sel:[0,1]
	s_delay_alu instid0(VALU_DEP_1) | instskip(SKIP_1) | instid1(VALU_DEP_1)
	v_pk_fma_f32 v[8:9], v[6:7], v[0:1], v[4:5] op_sel:[0,0,1] op_sel_hi:[1,1,0] neg_lo:[0,0,1] neg_hi:[0,0,1]
	v_pk_fma_f32 v[4:5], v[6:7], v[0:1], v[4:5] op_sel:[0,0,1] op_sel_hi:[1,0,0]
	v_mov_b32_e32 v9, v5
	ds_load_2addr_b64 v[4:7], v148 offset0:37 offset1:38
	v_pk_add_f32 v[140:141], v[140:141], v[10:11] neg_lo:[0,1] neg_hi:[0,1]
	v_pk_add_f32 v[162:163], v[162:163], v[8:9] neg_lo:[0,1] neg_hi:[0,1]
	s_wait_dscnt 0x0
	v_dual_mul_f32 v8, v5, v3 :: v_dual_mul_f32 v10, v5, v0
	s_delay_alu instid0(VALU_DEP_1) | instskip(NEXT) | instid1(VALU_DEP_2)
	v_pk_fma_f32 v[8:9], v[4:5], v[40:41], v[8:9] op_sel_hi:[1,1,0] neg_lo:[0,0,1] neg_hi:[0,0,1]
	v_pk_fma_f32 v[4:5], v[4:5], v[40:41], v[10:11] op_sel:[1,0,0] op_sel_hi:[0,1,0]
	s_delay_alu instid0(VALU_DEP_1) | instskip(SKIP_1) | instid1(VALU_DEP_2)
	v_mov_b32_e32 v9, v5
	v_pk_mul_f32 v[4:5], v[6:7], v[2:3] op_sel:[0,1]
	v_pk_add_f32 v[158:159], v[158:159], v[8:9] neg_lo:[0,1] neg_hi:[0,1]
	s_delay_alu instid0(VALU_DEP_2) | instskip(SKIP_1) | instid1(VALU_DEP_1)
	v_pk_fma_f32 v[8:9], v[6:7], v[0:1], v[4:5] op_sel:[0,0,1] op_sel_hi:[1,1,0] neg_lo:[0,0,1] neg_hi:[0,0,1]
	v_pk_fma_f32 v[4:5], v[6:7], v[0:1], v[4:5] op_sel:[0,0,1] op_sel_hi:[1,0,0]
	v_mov_b32_e32 v9, v5
	ds_load_2addr_b64 v[4:7], v148 offset0:39 offset1:40
	v_pk_add_f32 v[160:161], v[160:161], v[8:9] neg_lo:[0,1] neg_hi:[0,1]
	s_wait_dscnt 0x0
	v_pk_mul_f32 v[8:9], v[4:5], v[2:3] op_sel:[0,1]
	s_delay_alu instid0(VALU_DEP_1) | instskip(SKIP_1) | instid1(VALU_DEP_1)
	v_pk_fma_f32 v[10:11], v[4:5], v[0:1], v[8:9] op_sel:[0,0,1] op_sel_hi:[1,1,0] neg_lo:[0,0,1] neg_hi:[0,0,1]
	v_pk_fma_f32 v[4:5], v[4:5], v[0:1], v[8:9] op_sel:[0,0,1] op_sel_hi:[1,0,0]
	v_mov_b32_e32 v11, v5
	v_pk_mul_f32 v[4:5], v[6:7], v[2:3] op_sel:[0,1]
	s_delay_alu instid0(VALU_DEP_2) | instskip(NEXT) | instid1(VALU_DEP_2)
	v_pk_add_f32 v[156:157], v[156:157], v[10:11] neg_lo:[0,1] neg_hi:[0,1]
	v_pk_fma_f32 v[8:9], v[6:7], v[0:1], v[4:5] op_sel:[0,0,1] op_sel_hi:[1,1,0] neg_lo:[0,0,1] neg_hi:[0,0,1]
	v_pk_fma_f32 v[4:5], v[6:7], v[0:1], v[4:5] op_sel:[0,0,1] op_sel_hi:[1,0,0]
	s_delay_alu instid0(VALU_DEP_1) | instskip(SKIP_4) | instid1(VALU_DEP_1)
	v_mov_b32_e32 v9, v5
	ds_load_2addr_b64 v[4:7], v148 offset0:41 offset1:42
	v_pk_add_f32 v[178:179], v[178:179], v[8:9] neg_lo:[0,1] neg_hi:[0,1]
	s_wait_dscnt 0x0
	v_pk_mul_f32 v[8:9], v[4:5], v[2:3] op_sel:[0,1]
	v_pk_fma_f32 v[10:11], v[4:5], v[0:1], v[8:9] op_sel:[0,0,1] op_sel_hi:[1,1,0] neg_lo:[0,0,1] neg_hi:[0,0,1]
	v_pk_fma_f32 v[4:5], v[4:5], v[0:1], v[8:9] op_sel:[0,0,1] op_sel_hi:[1,0,0]
	v_dual_mul_f32 v8, v7, v3 :: v_dual_mov_b32 v4, v7
	s_delay_alu instid0(VALU_DEP_2) | instskip(NEXT) | instid1(VALU_DEP_2)
	v_dual_mov_b32 v11, v5 :: v_dual_mov_b32 v5, v6
	v_pk_fma_f32 v[8:9], v[6:7], v[40:41], v[8:9] op_sel_hi:[1,1,0] neg_lo:[0,0,1] neg_hi:[0,0,1]
	v_mul_f32_e32 v6, v7, v0
	s_delay_alu instid0(VALU_DEP_3) | instskip(NEXT) | instid1(VALU_DEP_2)
	v_pk_add_f32 v[174:175], v[174:175], v[10:11] neg_lo:[0,1] neg_hi:[0,1]
	v_pk_fma_f32 v[4:5], v[4:5], v[40:41], v[6:7] op_sel_hi:[1,1,0]
	s_delay_alu instid0(VALU_DEP_1) | instskip(SKIP_4) | instid1(VALU_DEP_1)
	v_mov_b32_e32 v9, v5
	ds_load_2addr_b64 v[4:7], v148 offset0:43 offset1:44
	v_pk_add_f32 v[176:177], v[176:177], v[8:9] neg_lo:[0,1] neg_hi:[0,1]
	s_wait_dscnt 0x0
	v_pk_mul_f32 v[8:9], v[4:5], v[2:3] op_sel:[0,1]
	v_pk_fma_f32 v[10:11], v[4:5], v[0:1], v[8:9] op_sel:[0,0,1] op_sel_hi:[1,1,0] neg_lo:[0,0,1] neg_hi:[0,0,1]
	v_pk_fma_f32 v[4:5], v[4:5], v[0:1], v[8:9] op_sel:[0,0,1] op_sel_hi:[1,0,0]
	s_delay_alu instid0(VALU_DEP_1) | instskip(SKIP_1) | instid1(VALU_DEP_1)
	v_mov_b32_e32 v11, v5
	v_pk_mul_f32 v[4:5], v[6:7], v[2:3] op_sel:[0,1]
	v_pk_fma_f32 v[8:9], v[6:7], v[0:1], v[4:5] op_sel:[0,0,1] op_sel_hi:[1,1,0] neg_lo:[0,0,1] neg_hi:[0,0,1]
	v_pk_fma_f32 v[4:5], v[6:7], v[0:1], v[4:5] op_sel:[0,0,1] op_sel_hi:[1,0,0]
	s_delay_alu instid0(VALU_DEP_1)
	v_mov_b32_e32 v9, v5
	ds_load_2addr_b64 v[4:7], v148 offset0:45 offset1:46
	v_pk_add_f32 v[172:173], v[172:173], v[10:11] neg_lo:[0,1] neg_hi:[0,1]
	v_pk_add_f32 v[196:197], v[196:197], v[8:9] neg_lo:[0,1] neg_hi:[0,1]
	s_wait_dscnt 0x0
	v_pk_mul_f32 v[8:9], v[4:5], v[2:3] op_sel:[0,1]
	s_delay_alu instid0(VALU_DEP_1) | instskip(SKIP_1) | instid1(VALU_DEP_1)
	v_pk_fma_f32 v[10:11], v[4:5], v[0:1], v[8:9] op_sel:[0,0,1] op_sel_hi:[1,1,0] neg_lo:[0,0,1] neg_hi:[0,0,1]
	v_pk_fma_f32 v[4:5], v[4:5], v[0:1], v[8:9] op_sel:[0,0,1] op_sel_hi:[1,0,0]
	v_mov_b32_e32 v11, v5
	v_pk_mul_f32 v[4:5], v[6:7], v[2:3] op_sel:[0,1]
	s_delay_alu instid0(VALU_DEP_1) | instskip(SKIP_1) | instid1(VALU_DEP_1)
	v_pk_fma_f32 v[8:9], v[6:7], v[0:1], v[4:5] op_sel:[0,0,1] op_sel_hi:[1,1,0] neg_lo:[0,0,1] neg_hi:[0,0,1]
	v_pk_fma_f32 v[4:5], v[6:7], v[0:1], v[4:5] op_sel:[0,0,1] op_sel_hi:[1,0,0]
	v_mov_b32_e32 v9, v5
	ds_load_2addr_b64 v[4:7], v148 offset0:47 offset1:48
	v_pk_add_f32 v[192:193], v[192:193], v[10:11] neg_lo:[0,1] neg_hi:[0,1]
	v_pk_add_f32 v[194:195], v[194:195], v[8:9] neg_lo:[0,1] neg_hi:[0,1]
	s_wait_dscnt 0x0
	v_dual_mul_f32 v8, v5, v3 :: v_dual_mul_f32 v10, v5, v0
	s_delay_alu instid0(VALU_DEP_1) | instskip(NEXT) | instid1(VALU_DEP_2)
	v_pk_fma_f32 v[8:9], v[4:5], v[40:41], v[8:9] op_sel_hi:[1,1,0] neg_lo:[0,0,1] neg_hi:[0,0,1]
	v_pk_fma_f32 v[4:5], v[4:5], v[40:41], v[10:11] op_sel:[1,0,0] op_sel_hi:[0,1,0]
	s_delay_alu instid0(VALU_DEP_1) | instskip(SKIP_1) | instid1(VALU_DEP_2)
	v_mov_b32_e32 v9, v5
	v_pk_mul_f32 v[4:5], v[6:7], v[2:3] op_sel:[0,1]
	v_pk_add_f32 v[190:191], v[190:191], v[8:9] neg_lo:[0,1] neg_hi:[0,1]
	s_delay_alu instid0(VALU_DEP_2) | instskip(SKIP_1) | instid1(VALU_DEP_1)
	v_pk_fma_f32 v[8:9], v[6:7], v[0:1], v[4:5] op_sel:[0,0,1] op_sel_hi:[1,1,0] neg_lo:[0,0,1] neg_hi:[0,0,1]
	v_pk_fma_f32 v[4:5], v[6:7], v[0:1], v[4:5] op_sel:[0,0,1] op_sel_hi:[1,0,0]
	v_mov_b32_e32 v9, v5
	ds_load_2addr_b64 v[4:7], v148 offset0:49 offset1:50
	v_pk_add_f32 v[212:213], v[212:213], v[8:9] neg_lo:[0,1] neg_hi:[0,1]
	s_wait_dscnt 0x0
	v_pk_mul_f32 v[8:9], v[4:5], v[2:3] op_sel:[0,1]
	s_delay_alu instid0(VALU_DEP_1) | instskip(SKIP_1) | instid1(VALU_DEP_1)
	v_pk_fma_f32 v[10:11], v[4:5], v[0:1], v[8:9] op_sel:[0,0,1] op_sel_hi:[1,1,0] neg_lo:[0,0,1] neg_hi:[0,0,1]
	v_pk_fma_f32 v[4:5], v[4:5], v[0:1], v[8:9] op_sel:[0,0,1] op_sel_hi:[1,0,0]
	v_mov_b32_e32 v11, v5
	v_pk_mul_f32 v[4:5], v[6:7], v[2:3] op_sel:[0,1]
	s_delay_alu instid0(VALU_DEP_2) | instskip(NEXT) | instid1(VALU_DEP_2)
	v_pk_add_f32 v[208:209], v[208:209], v[10:11] neg_lo:[0,1] neg_hi:[0,1]
	v_pk_fma_f32 v[8:9], v[6:7], v[0:1], v[4:5] op_sel:[0,0,1] op_sel_hi:[1,1,0] neg_lo:[0,0,1] neg_hi:[0,0,1]
	v_pk_fma_f32 v[4:5], v[6:7], v[0:1], v[4:5] op_sel:[0,0,1] op_sel_hi:[1,0,0]
	s_delay_alu instid0(VALU_DEP_1) | instskip(SKIP_4) | instid1(VALU_DEP_1)
	v_mov_b32_e32 v9, v5
	ds_load_2addr_b64 v[4:7], v148 offset0:51 offset1:52
	v_pk_add_f32 v[210:211], v[210:211], v[8:9] neg_lo:[0,1] neg_hi:[0,1]
	s_wait_dscnt 0x0
	v_pk_mul_f32 v[8:9], v[4:5], v[2:3] op_sel:[0,1]
	v_pk_fma_f32 v[10:11], v[4:5], v[0:1], v[8:9] op_sel:[0,0,1] op_sel_hi:[1,1,0] neg_lo:[0,0,1] neg_hi:[0,0,1]
	v_pk_fma_f32 v[4:5], v[4:5], v[0:1], v[8:9] op_sel:[0,0,1] op_sel_hi:[1,0,0]
	v_dual_mul_f32 v8, v7, v3 :: v_dual_mov_b32 v4, v7
	s_delay_alu instid0(VALU_DEP_2) | instskip(NEXT) | instid1(VALU_DEP_2)
	v_dual_mov_b32 v11, v5 :: v_dual_mov_b32 v5, v6
	v_pk_fma_f32 v[8:9], v[6:7], v[40:41], v[8:9] op_sel_hi:[1,1,0] neg_lo:[0,0,1] neg_hi:[0,0,1]
	v_mul_f32_e32 v6, v7, v0
	s_delay_alu instid0(VALU_DEP_3) | instskip(NEXT) | instid1(VALU_DEP_2)
	v_pk_add_f32 v[206:207], v[206:207], v[10:11] neg_lo:[0,1] neg_hi:[0,1]
	v_pk_fma_f32 v[4:5], v[4:5], v[40:41], v[6:7] op_sel_hi:[1,1,0]
	s_delay_alu instid0(VALU_DEP_1) | instskip(SKIP_4) | instid1(VALU_DEP_1)
	v_mov_b32_e32 v9, v5
	ds_load_b64 v[4:5], v148 offset:424
	v_pk_add_f32 v[214:215], v[214:215], v[8:9] neg_lo:[0,1] neg_hi:[0,1]
	s_wait_dscnt 0x0
	v_pk_mul_f32 v[2:3], v[4:5], v[2:3] op_sel:[0,1]
	v_pk_fma_f32 v[6:7], v[4:5], v[0:1], v[2:3] op_sel:[0,0,1] op_sel_hi:[1,1,0] neg_lo:[0,0,1] neg_hi:[0,0,1]
	v_pk_fma_f32 v[0:1], v[4:5], v[0:1], v[2:3] op_sel:[0,0,1] op_sel_hi:[1,0,0]
	s_delay_alu instid0(VALU_DEP_1) | instskip(NEXT) | instid1(VALU_DEP_1)
	v_mov_b32_e32 v7, v1
	v_pk_add_f32 v[216:217], v[216:217], v[6:7] neg_lo:[0,1] neg_hi:[0,1]
.LBB107_82:
	s_wait_xcnt 0x0
	s_or_b32 exec_lo, exec_lo, s1
	s_delay_alu instid0(SALU_CYCLE_1)
	s_mov_b32 s2, exec_lo
	s_wait_storecnt 0x0
	s_barrier_signal -1
	s_barrier_wait -1
	v_cmpx_eq_u32_e32 9, v138
	s_cbranch_execz .LBB107_89
; %bb.83:
	v_dual_mov_b32 v0, v38 :: v_dual_mov_b32 v1, v39
	v_dual_mov_b32 v2, v34 :: v_dual_mov_b32 v3, v35
	ds_store_b64 v139, v[36:37]
	ds_store_2addr_b64 v148, v[0:1], v[2:3] offset0:10 offset1:11
	v_dual_mov_b32 v0, v64 :: v_dual_mov_b32 v1, v65
	v_dual_mov_b32 v2, v60 :: v_dual_mov_b32 v3, v61
	ds_store_2addr_b64 v148, v[0:1], v[2:3] offset0:12 offset1:13
	v_dual_mov_b32 v0, v62 :: v_dual_mov_b32 v1, v63
	v_dual_mov_b32 v2, v58 :: v_dual_mov_b32 v3, v59
	;; [unrolled: 3-line block ×20, first 2 shown]
	ds_store_2addr_b64 v148, v[0:1], v[2:3] offset0:50 offset1:51
	v_dual_mov_b32 v0, v214 :: v_dual_mov_b32 v1, v215
	ds_store_2addr_b64 v148, v[0:1], v[216:217] offset0:52 offset1:53
	ds_load_b64 v[0:1], v139
	s_wait_dscnt 0x0
	v_cmp_neq_f32_e32 vcc_lo, 0, v0
	v_cmp_neq_f32_e64 s1, 0, v1
	s_or_b32 s1, vcc_lo, s1
	s_delay_alu instid0(SALU_CYCLE_1)
	s_and_b32 exec_lo, exec_lo, s1
	s_cbranch_execz .LBB107_89
; %bb.84:
	v_cmp_ngt_f32_e64 s1, |v0|, |v1|
                                        ; implicit-def: $vgpr2_vgpr3
	s_and_saveexec_b32 s4, s1
	s_delay_alu instid0(SALU_CYCLE_1)
	s_xor_b32 s1, exec_lo, s4
	s_cbranch_execz .LBB107_86
; %bb.85:
	v_div_scale_f32 v2, null, v1, v1, v0
	v_div_scale_f32 v5, vcc_lo, v0, v1, v0
	s_delay_alu instid0(VALU_DEP_2) | instskip(SKIP_1) | instid1(TRANS32_DEP_1)
	v_rcp_f32_e32 v3, v2
	v_nop
	v_fma_f32 v4, -v2, v3, 1.0
	s_delay_alu instid0(VALU_DEP_1) | instskip(NEXT) | instid1(VALU_DEP_1)
	v_fmac_f32_e32 v3, v4, v3
	v_mul_f32_e32 v4, v5, v3
	s_delay_alu instid0(VALU_DEP_1) | instskip(NEXT) | instid1(VALU_DEP_1)
	v_fma_f32 v6, -v2, v4, v5
	v_fmac_f32_e32 v4, v6, v3
	s_delay_alu instid0(VALU_DEP_1) | instskip(NEXT) | instid1(VALU_DEP_1)
	v_fma_f32 v2, -v2, v4, v5
	v_div_fmas_f32 v2, v2, v3, v4
	s_delay_alu instid0(VALU_DEP_1) | instskip(NEXT) | instid1(VALU_DEP_1)
	v_div_fixup_f32 v2, v2, v1, v0
	v_fmac_f32_e32 v1, v0, v2
	s_delay_alu instid0(VALU_DEP_1) | instskip(SKIP_1) | instid1(VALU_DEP_2)
	v_div_scale_f32 v0, null, v1, v1, 1.0
	v_div_scale_f32 v5, vcc_lo, 1.0, v1, 1.0
	v_rcp_f32_e32 v3, v0
	v_nop
	s_delay_alu instid0(TRANS32_DEP_1) | instskip(NEXT) | instid1(VALU_DEP_1)
	v_fma_f32 v4, -v0, v3, 1.0
	v_fmac_f32_e32 v3, v4, v3
	s_delay_alu instid0(VALU_DEP_1) | instskip(NEXT) | instid1(VALU_DEP_1)
	v_mul_f32_e32 v4, v5, v3
	v_fma_f32 v6, -v0, v4, v5
	s_delay_alu instid0(VALU_DEP_1) | instskip(NEXT) | instid1(VALU_DEP_1)
	v_fmac_f32_e32 v4, v6, v3
	v_fma_f32 v0, -v0, v4, v5
	s_delay_alu instid0(VALU_DEP_1) | instskip(NEXT) | instid1(VALU_DEP_1)
	v_div_fmas_f32 v0, v0, v3, v4
	v_div_fixup_f32 v0, v0, v1, 1.0
	s_delay_alu instid0(VALU_DEP_1)
	v_mul_f32_e32 v2, v2, v0
	v_xor_b32_e32 v3, 0x80000000, v0
                                        ; implicit-def: $vgpr0_vgpr1
.LBB107_86:
	s_and_not1_saveexec_b32 s1, s1
	s_cbranch_execz .LBB107_88
; %bb.87:
	v_div_scale_f32 v2, null, v0, v0, v1
	v_div_scale_f32 v5, vcc_lo, v1, v0, v1
	s_delay_alu instid0(VALU_DEP_2) | instskip(SKIP_1) | instid1(TRANS32_DEP_1)
	v_rcp_f32_e32 v3, v2
	v_nop
	v_fma_f32 v4, -v2, v3, 1.0
	s_delay_alu instid0(VALU_DEP_1) | instskip(NEXT) | instid1(VALU_DEP_1)
	v_fmac_f32_e32 v3, v4, v3
	v_mul_f32_e32 v4, v5, v3
	s_delay_alu instid0(VALU_DEP_1) | instskip(NEXT) | instid1(VALU_DEP_1)
	v_fma_f32 v6, -v2, v4, v5
	v_fmac_f32_e32 v4, v6, v3
	s_delay_alu instid0(VALU_DEP_1) | instskip(NEXT) | instid1(VALU_DEP_1)
	v_fma_f32 v2, -v2, v4, v5
	v_div_fmas_f32 v2, v2, v3, v4
	s_delay_alu instid0(VALU_DEP_1) | instskip(NEXT) | instid1(VALU_DEP_1)
	v_div_fixup_f32 v3, v2, v0, v1
	v_fmac_f32_e32 v0, v1, v3
	s_delay_alu instid0(VALU_DEP_1) | instskip(NEXT) | instid1(VALU_DEP_1)
	v_div_scale_f32 v1, null, v0, v0, 1.0
	v_rcp_f32_e32 v2, v1
	v_nop
	s_delay_alu instid0(TRANS32_DEP_1) | instskip(NEXT) | instid1(VALU_DEP_1)
	v_fma_f32 v4, -v1, v2, 1.0
	v_fmac_f32_e32 v2, v4, v2
	v_div_scale_f32 v4, vcc_lo, 1.0, v0, 1.0
	s_delay_alu instid0(VALU_DEP_1) | instskip(NEXT) | instid1(VALU_DEP_1)
	v_mul_f32_e32 v5, v4, v2
	v_fma_f32 v6, -v1, v5, v4
	s_delay_alu instid0(VALU_DEP_1) | instskip(NEXT) | instid1(VALU_DEP_1)
	v_fmac_f32_e32 v5, v6, v2
	v_fma_f32 v1, -v1, v5, v4
	s_delay_alu instid0(VALU_DEP_1) | instskip(NEXT) | instid1(VALU_DEP_1)
	v_div_fmas_f32 v1, v1, v2, v5
	v_div_fixup_f32 v2, v1, v0, 1.0
	s_delay_alu instid0(VALU_DEP_1)
	v_mul_f32_e64 v3, v3, -v2
.LBB107_88:
	s_or_b32 exec_lo, exec_lo, s1
	ds_store_b64 v139, v[2:3]
.LBB107_89:
	s_or_b32 exec_lo, exec_lo, s2
	s_wait_dscnt 0x0
	s_barrier_signal -1
	s_barrier_wait -1
	ds_load_b64 v[0:1], v139
	s_mov_b32 s1, exec_lo
	s_wait_dscnt 0x0
	scratch_store_b64 off, v[0:1], off offset:240 ; 8-byte Folded Spill
	s_wait_xcnt 0x0
	v_cmpx_lt_u32_e32 9, v138
	s_cbranch_execz .LBB107_91
; %bb.90:
	scratch_load_b64 v[4:5], off, off offset:240 ; 8-byte Folded Reload
	s_wait_loadcnt 0x0
	v_pk_mul_f32 v[2:3], v[4:5], v[36:37] op_sel:[1,1] op_sel_hi:[0,1]
	s_delay_alu instid0(VALU_DEP_1)
	v_pk_fma_f32 v[0:1], v[4:5], v[36:37], v[2:3] op_sel_hi:[1,0,1] neg_lo:[0,0,1] neg_hi:[0,0,1]
	v_pk_fma_f32 v[2:3], v[4:5], v[36:37], v[2:3] op_sel_hi:[1,0,1]
	ds_load_2addr_b64 v[4:7], v148 offset0:10 offset1:11
	v_dual_mov_b32 v36, v0 :: v_dual_mov_b32 v37, v3
	s_wait_dscnt 0x0
	v_pk_mul_f32 v[8:9], v[4:5], v[2:3] op_sel:[0,1]
	s_delay_alu instid0(VALU_DEP_1) | instskip(SKIP_1) | instid1(VALU_DEP_1)
	v_pk_fma_f32 v[10:11], v[4:5], v[0:1], v[8:9] op_sel:[0,0,1] op_sel_hi:[1,1,0] neg_lo:[0,0,1] neg_hi:[0,0,1]
	v_pk_fma_f32 v[4:5], v[4:5], v[0:1], v[8:9] op_sel:[0,0,1] op_sel_hi:[1,0,0]
	v_mov_b32_e32 v11, v5
	v_pk_mul_f32 v[4:5], v[6:7], v[2:3] op_sel:[0,1]
	s_delay_alu instid0(VALU_DEP_1) | instskip(SKIP_1) | instid1(VALU_DEP_1)
	v_pk_fma_f32 v[8:9], v[6:7], v[0:1], v[4:5] op_sel:[0,0,1] op_sel_hi:[1,1,0] neg_lo:[0,0,1] neg_hi:[0,0,1]
	v_pk_fma_f32 v[4:5], v[6:7], v[0:1], v[4:5] op_sel:[0,0,1] op_sel_hi:[1,0,0]
	v_mov_b32_e32 v9, v5
	ds_load_2addr_b64 v[4:7], v148 offset0:12 offset1:13
	v_pk_add_f32 v[38:39], v[38:39], v[10:11] neg_lo:[0,1] neg_hi:[0,1]
	v_pk_add_f32 v[34:35], v[34:35], v[8:9] neg_lo:[0,1] neg_hi:[0,1]
	s_wait_dscnt 0x0
	v_pk_mul_f32 v[8:9], v[4:5], v[2:3] op_sel:[0,1]
	s_delay_alu instid0(VALU_DEP_1) | instskip(SKIP_2) | instid1(VALU_DEP_2)
	v_pk_fma_f32 v[10:11], v[4:5], v[0:1], v[8:9] op_sel:[0,0,1] op_sel_hi:[1,1,0] neg_lo:[0,0,1] neg_hi:[0,0,1]
	v_pk_fma_f32 v[4:5], v[4:5], v[0:1], v[8:9] op_sel:[0,0,1] op_sel_hi:[1,0,0]
	v_dual_mul_f32 v8, v7, v3 :: v_dual_mov_b32 v4, v7
	v_dual_mov_b32 v11, v5 :: v_dual_mov_b32 v5, v6
	s_delay_alu instid0(VALU_DEP_2) | instskip(SKIP_1) | instid1(VALU_DEP_3)
	v_pk_fma_f32 v[8:9], v[6:7], v[36:37], v[8:9] op_sel_hi:[1,1,0] neg_lo:[0,0,1] neg_hi:[0,0,1]
	v_mul_f32_e32 v6, v7, v0
	v_pk_add_f32 v[64:65], v[64:65], v[10:11] neg_lo:[0,1] neg_hi:[0,1]
	s_delay_alu instid0(VALU_DEP_2) | instskip(NEXT) | instid1(VALU_DEP_1)
	v_pk_fma_f32 v[4:5], v[4:5], v[36:37], v[6:7] op_sel_hi:[1,1,0]
	v_mov_b32_e32 v9, v5
	ds_load_2addr_b64 v[4:7], v148 offset0:14 offset1:15
	v_pk_add_f32 v[60:61], v[60:61], v[8:9] neg_lo:[0,1] neg_hi:[0,1]
	s_wait_dscnt 0x0
	v_pk_mul_f32 v[8:9], v[4:5], v[2:3] op_sel:[0,1]
	s_delay_alu instid0(VALU_DEP_1) | instskip(SKIP_1) | instid1(VALU_DEP_1)
	v_pk_fma_f32 v[10:11], v[4:5], v[0:1], v[8:9] op_sel:[0,0,1] op_sel_hi:[1,1,0] neg_lo:[0,0,1] neg_hi:[0,0,1]
	v_pk_fma_f32 v[4:5], v[4:5], v[0:1], v[8:9] op_sel:[0,0,1] op_sel_hi:[1,0,0]
	v_mov_b32_e32 v11, v5
	v_pk_mul_f32 v[4:5], v[6:7], v[2:3] op_sel:[0,1]
	s_delay_alu instid0(VALU_DEP_1) | instskip(SKIP_1) | instid1(VALU_DEP_1)
	v_pk_fma_f32 v[8:9], v[6:7], v[0:1], v[4:5] op_sel:[0,0,1] op_sel_hi:[1,1,0] neg_lo:[0,0,1] neg_hi:[0,0,1]
	v_pk_fma_f32 v[4:5], v[6:7], v[0:1], v[4:5] op_sel:[0,0,1] op_sel_hi:[1,0,0]
	v_mov_b32_e32 v9, v5
	ds_load_2addr_b64 v[4:7], v148 offset0:16 offset1:17
	v_pk_add_f32 v[62:63], v[62:63], v[10:11] neg_lo:[0,1] neg_hi:[0,1]
	v_pk_add_f32 v[58:59], v[58:59], v[8:9] neg_lo:[0,1] neg_hi:[0,1]
	s_wait_dscnt 0x0
	v_pk_mul_f32 v[8:9], v[4:5], v[2:3] op_sel:[0,1]
	s_delay_alu instid0(VALU_DEP_1) | instskip(SKIP_1) | instid1(VALU_DEP_1)
	v_pk_fma_f32 v[10:11], v[4:5], v[0:1], v[8:9] op_sel:[0,0,1] op_sel_hi:[1,1,0] neg_lo:[0,0,1] neg_hi:[0,0,1]
	v_pk_fma_f32 v[4:5], v[4:5], v[0:1], v[8:9] op_sel:[0,0,1] op_sel_hi:[1,0,0]
	v_mov_b32_e32 v11, v5
	v_pk_mul_f32 v[4:5], v[6:7], v[2:3] op_sel:[0,1]
	s_delay_alu instid0(VALU_DEP_1) | instskip(SKIP_1) | instid1(VALU_DEP_1)
	v_pk_fma_f32 v[8:9], v[6:7], v[0:1], v[4:5] op_sel:[0,0,1] op_sel_hi:[1,1,0] neg_lo:[0,0,1] neg_hi:[0,0,1]
	v_pk_fma_f32 v[4:5], v[6:7], v[0:1], v[4:5] op_sel:[0,0,1] op_sel_hi:[1,0,0]
	v_mov_b32_e32 v9, v5
	ds_load_2addr_b64 v[4:7], v148 offset0:18 offset1:19
	v_pk_add_f32 v[80:81], v[80:81], v[10:11] neg_lo:[0,1] neg_hi:[0,1]
	v_pk_add_f32 v[76:77], v[76:77], v[8:9] neg_lo:[0,1] neg_hi:[0,1]
	s_wait_dscnt 0x0
	v_dual_mul_f32 v8, v5, v3 :: v_dual_mul_f32 v10, v5, v0
	s_delay_alu instid0(VALU_DEP_1) | instskip(NEXT) | instid1(VALU_DEP_2)
	v_pk_fma_f32 v[8:9], v[4:5], v[36:37], v[8:9] op_sel_hi:[1,1,0] neg_lo:[0,0,1] neg_hi:[0,0,1]
	v_pk_fma_f32 v[4:5], v[4:5], v[36:37], v[10:11] op_sel:[1,0,0] op_sel_hi:[0,1,0]
	s_delay_alu instid0(VALU_DEP_1) | instskip(SKIP_1) | instid1(VALU_DEP_2)
	v_mov_b32_e32 v9, v5
	v_pk_mul_f32 v[4:5], v[6:7], v[2:3] op_sel:[0,1]
	v_pk_add_f32 v[78:79], v[78:79], v[8:9] neg_lo:[0,1] neg_hi:[0,1]
	s_delay_alu instid0(VALU_DEP_2) | instskip(SKIP_1) | instid1(VALU_DEP_1)
	v_pk_fma_f32 v[8:9], v[6:7], v[0:1], v[4:5] op_sel:[0,0,1] op_sel_hi:[1,1,0] neg_lo:[0,0,1] neg_hi:[0,0,1]
	v_pk_fma_f32 v[4:5], v[6:7], v[0:1], v[4:5] op_sel:[0,0,1] op_sel_hi:[1,0,0]
	v_mov_b32_e32 v9, v5
	ds_load_2addr_b64 v[4:7], v148 offset0:20 offset1:21
	v_pk_add_f32 v[74:75], v[74:75], v[8:9] neg_lo:[0,1] neg_hi:[0,1]
	s_wait_dscnt 0x0
	v_pk_mul_f32 v[8:9], v[4:5], v[2:3] op_sel:[0,1]
	s_delay_alu instid0(VALU_DEP_1) | instskip(SKIP_1) | instid1(VALU_DEP_1)
	v_pk_fma_f32 v[10:11], v[4:5], v[0:1], v[8:9] op_sel:[0,0,1] op_sel_hi:[1,1,0] neg_lo:[0,0,1] neg_hi:[0,0,1]
	v_pk_fma_f32 v[4:5], v[4:5], v[0:1], v[8:9] op_sel:[0,0,1] op_sel_hi:[1,0,0]
	v_mov_b32_e32 v11, v5
	v_pk_mul_f32 v[4:5], v[6:7], v[2:3] op_sel:[0,1]
	s_delay_alu instid0(VALU_DEP_2) | instskip(NEXT) | instid1(VALU_DEP_2)
	v_pk_add_f32 v[96:97], v[96:97], v[10:11] neg_lo:[0,1] neg_hi:[0,1]
	v_pk_fma_f32 v[8:9], v[6:7], v[0:1], v[4:5] op_sel:[0,0,1] op_sel_hi:[1,1,0] neg_lo:[0,0,1] neg_hi:[0,0,1]
	v_pk_fma_f32 v[4:5], v[6:7], v[0:1], v[4:5] op_sel:[0,0,1] op_sel_hi:[1,0,0]
	s_delay_alu instid0(VALU_DEP_1) | instskip(SKIP_4) | instid1(VALU_DEP_1)
	v_mov_b32_e32 v9, v5
	ds_load_2addr_b64 v[4:7], v148 offset0:22 offset1:23
	v_pk_add_f32 v[92:93], v[92:93], v[8:9] neg_lo:[0,1] neg_hi:[0,1]
	s_wait_dscnt 0x0
	v_pk_mul_f32 v[8:9], v[4:5], v[2:3] op_sel:[0,1]
	v_pk_fma_f32 v[10:11], v[4:5], v[0:1], v[8:9] op_sel:[0,0,1] op_sel_hi:[1,1,0] neg_lo:[0,0,1] neg_hi:[0,0,1]
	v_pk_fma_f32 v[4:5], v[4:5], v[0:1], v[8:9] op_sel:[0,0,1] op_sel_hi:[1,0,0]
	v_dual_mul_f32 v8, v7, v3 :: v_dual_mov_b32 v4, v7
	s_delay_alu instid0(VALU_DEP_2) | instskip(NEXT) | instid1(VALU_DEP_2)
	v_dual_mov_b32 v11, v5 :: v_dual_mov_b32 v5, v6
	v_pk_fma_f32 v[8:9], v[6:7], v[36:37], v[8:9] op_sel_hi:[1,1,0] neg_lo:[0,0,1] neg_hi:[0,0,1]
	v_mul_f32_e32 v6, v7, v0
	s_delay_alu instid0(VALU_DEP_3) | instskip(NEXT) | instid1(VALU_DEP_2)
	v_pk_add_f32 v[94:95], v[94:95], v[10:11] neg_lo:[0,1] neg_hi:[0,1]
	v_pk_fma_f32 v[4:5], v[4:5], v[36:37], v[6:7] op_sel_hi:[1,1,0]
	s_delay_alu instid0(VALU_DEP_1) | instskip(SKIP_4) | instid1(VALU_DEP_1)
	v_mov_b32_e32 v9, v5
	ds_load_2addr_b64 v[4:7], v148 offset0:24 offset1:25
	v_pk_add_f32 v[90:91], v[90:91], v[8:9] neg_lo:[0,1] neg_hi:[0,1]
	s_wait_dscnt 0x0
	v_pk_mul_f32 v[8:9], v[4:5], v[2:3] op_sel:[0,1]
	v_pk_fma_f32 v[10:11], v[4:5], v[0:1], v[8:9] op_sel:[0,0,1] op_sel_hi:[1,1,0] neg_lo:[0,0,1] neg_hi:[0,0,1]
	v_pk_fma_f32 v[4:5], v[4:5], v[0:1], v[8:9] op_sel:[0,0,1] op_sel_hi:[1,0,0]
	s_delay_alu instid0(VALU_DEP_1) | instskip(SKIP_1) | instid1(VALU_DEP_1)
	v_mov_b32_e32 v11, v5
	v_pk_mul_f32 v[4:5], v[6:7], v[2:3] op_sel:[0,1]
	v_pk_fma_f32 v[8:9], v[6:7], v[0:1], v[4:5] op_sel:[0,0,1] op_sel_hi:[1,1,0] neg_lo:[0,0,1] neg_hi:[0,0,1]
	v_pk_fma_f32 v[4:5], v[6:7], v[0:1], v[4:5] op_sel:[0,0,1] op_sel_hi:[1,0,0]
	s_delay_alu instid0(VALU_DEP_1)
	v_mov_b32_e32 v9, v5
	ds_load_2addr_b64 v[4:7], v148 offset0:26 offset1:27
	v_pk_add_f32 v[112:113], v[112:113], v[10:11] neg_lo:[0,1] neg_hi:[0,1]
	v_pk_add_f32 v[108:109], v[108:109], v[8:9] neg_lo:[0,1] neg_hi:[0,1]
	s_wait_dscnt 0x0
	v_pk_mul_f32 v[8:9], v[4:5], v[2:3] op_sel:[0,1]
	s_delay_alu instid0(VALU_DEP_1) | instskip(SKIP_1) | instid1(VALU_DEP_1)
	v_pk_fma_f32 v[10:11], v[4:5], v[0:1], v[8:9] op_sel:[0,0,1] op_sel_hi:[1,1,0] neg_lo:[0,0,1] neg_hi:[0,0,1]
	v_pk_fma_f32 v[4:5], v[4:5], v[0:1], v[8:9] op_sel:[0,0,1] op_sel_hi:[1,0,0]
	v_mov_b32_e32 v11, v5
	v_pk_mul_f32 v[4:5], v[6:7], v[2:3] op_sel:[0,1]
	s_delay_alu instid0(VALU_DEP_1) | instskip(SKIP_1) | instid1(VALU_DEP_1)
	v_pk_fma_f32 v[8:9], v[6:7], v[0:1], v[4:5] op_sel:[0,0,1] op_sel_hi:[1,1,0] neg_lo:[0,0,1] neg_hi:[0,0,1]
	v_pk_fma_f32 v[4:5], v[6:7], v[0:1], v[4:5] op_sel:[0,0,1] op_sel_hi:[1,0,0]
	v_mov_b32_e32 v9, v5
	ds_load_2addr_b64 v[4:7], v148 offset0:28 offset1:29
	v_pk_add_f32 v[110:111], v[110:111], v[10:11] neg_lo:[0,1] neg_hi:[0,1]
	v_pk_add_f32 v[106:107], v[106:107], v[8:9] neg_lo:[0,1] neg_hi:[0,1]
	s_wait_dscnt 0x0
	v_dual_mul_f32 v8, v5, v3 :: v_dual_mul_f32 v10, v5, v0
	s_delay_alu instid0(VALU_DEP_1) | instskip(NEXT) | instid1(VALU_DEP_2)
	v_pk_fma_f32 v[8:9], v[4:5], v[36:37], v[8:9] op_sel_hi:[1,1,0] neg_lo:[0,0,1] neg_hi:[0,0,1]
	v_pk_fma_f32 v[4:5], v[4:5], v[36:37], v[10:11] op_sel:[1,0,0] op_sel_hi:[0,1,0]
	s_delay_alu instid0(VALU_DEP_1) | instskip(SKIP_1) | instid1(VALU_DEP_2)
	v_mov_b32_e32 v9, v5
	v_pk_mul_f32 v[4:5], v[6:7], v[2:3] op_sel:[0,1]
	v_pk_add_f32 v[130:131], v[130:131], v[8:9] neg_lo:[0,1] neg_hi:[0,1]
	s_delay_alu instid0(VALU_DEP_2) | instskip(SKIP_1) | instid1(VALU_DEP_1)
	v_pk_fma_f32 v[8:9], v[6:7], v[0:1], v[4:5] op_sel:[0,0,1] op_sel_hi:[1,1,0] neg_lo:[0,0,1] neg_hi:[0,0,1]
	v_pk_fma_f32 v[4:5], v[6:7], v[0:1], v[4:5] op_sel:[0,0,1] op_sel_hi:[1,0,0]
	v_mov_b32_e32 v9, v5
	ds_load_2addr_b64 v[4:7], v148 offset0:30 offset1:31
	v_pk_add_f32 v[126:127], v[126:127], v[8:9] neg_lo:[0,1] neg_hi:[0,1]
	s_wait_dscnt 0x0
	v_pk_mul_f32 v[8:9], v[4:5], v[2:3] op_sel:[0,1]
	s_delay_alu instid0(VALU_DEP_1) | instskip(SKIP_1) | instid1(VALU_DEP_1)
	v_pk_fma_f32 v[10:11], v[4:5], v[0:1], v[8:9] op_sel:[0,0,1] op_sel_hi:[1,1,0] neg_lo:[0,0,1] neg_hi:[0,0,1]
	v_pk_fma_f32 v[4:5], v[4:5], v[0:1], v[8:9] op_sel:[0,0,1] op_sel_hi:[1,0,0]
	v_mov_b32_e32 v11, v5
	v_pk_mul_f32 v[4:5], v[6:7], v[2:3] op_sel:[0,1]
	s_delay_alu instid0(VALU_DEP_2) | instskip(NEXT) | instid1(VALU_DEP_2)
	v_pk_add_f32 v[128:129], v[128:129], v[10:11] neg_lo:[0,1] neg_hi:[0,1]
	v_pk_fma_f32 v[8:9], v[6:7], v[0:1], v[4:5] op_sel:[0,0,1] op_sel_hi:[1,1,0] neg_lo:[0,0,1] neg_hi:[0,0,1]
	v_pk_fma_f32 v[4:5], v[6:7], v[0:1], v[4:5] op_sel:[0,0,1] op_sel_hi:[1,0,0]
	s_delay_alu instid0(VALU_DEP_1) | instskip(SKIP_4) | instid1(VALU_DEP_1)
	v_mov_b32_e32 v9, v5
	ds_load_2addr_b64 v[4:7], v148 offset0:32 offset1:33
	v_pk_add_f32 v[124:125], v[124:125], v[8:9] neg_lo:[0,1] neg_hi:[0,1]
	s_wait_dscnt 0x0
	v_pk_mul_f32 v[8:9], v[4:5], v[2:3] op_sel:[0,1]
	v_pk_fma_f32 v[10:11], v[4:5], v[0:1], v[8:9] op_sel:[0,0,1] op_sel_hi:[1,1,0] neg_lo:[0,0,1] neg_hi:[0,0,1]
	v_pk_fma_f32 v[4:5], v[4:5], v[0:1], v[8:9] op_sel:[0,0,1] op_sel_hi:[1,0,0]
	v_dual_mul_f32 v8, v7, v3 :: v_dual_mov_b32 v4, v7
	s_delay_alu instid0(VALU_DEP_2) | instskip(NEXT) | instid1(VALU_DEP_2)
	v_dual_mov_b32 v11, v5 :: v_dual_mov_b32 v5, v6
	v_pk_fma_f32 v[8:9], v[6:7], v[36:37], v[8:9] op_sel_hi:[1,1,0] neg_lo:[0,0,1] neg_hi:[0,0,1]
	v_mul_f32_e32 v6, v7, v0
	s_delay_alu instid0(VALU_DEP_3) | instskip(NEXT) | instid1(VALU_DEP_2)
	v_pk_add_f32 v[146:147], v[146:147], v[10:11] neg_lo:[0,1] neg_hi:[0,1]
	v_pk_fma_f32 v[4:5], v[4:5], v[36:37], v[6:7] op_sel_hi:[1,1,0]
	s_delay_alu instid0(VALU_DEP_1) | instskip(SKIP_4) | instid1(VALU_DEP_1)
	v_mov_b32_e32 v9, v5
	ds_load_2addr_b64 v[4:7], v148 offset0:34 offset1:35
	v_pk_add_f32 v[142:143], v[142:143], v[8:9] neg_lo:[0,1] neg_hi:[0,1]
	s_wait_dscnt 0x0
	v_pk_mul_f32 v[8:9], v[4:5], v[2:3] op_sel:[0,1]
	v_pk_fma_f32 v[10:11], v[4:5], v[0:1], v[8:9] op_sel:[0,0,1] op_sel_hi:[1,1,0] neg_lo:[0,0,1] neg_hi:[0,0,1]
	v_pk_fma_f32 v[4:5], v[4:5], v[0:1], v[8:9] op_sel:[0,0,1] op_sel_hi:[1,0,0]
	s_delay_alu instid0(VALU_DEP_1) | instskip(SKIP_1) | instid1(VALU_DEP_1)
	v_mov_b32_e32 v11, v5
	v_pk_mul_f32 v[4:5], v[6:7], v[2:3] op_sel:[0,1]
	v_pk_fma_f32 v[8:9], v[6:7], v[0:1], v[4:5] op_sel:[0,0,1] op_sel_hi:[1,1,0] neg_lo:[0,0,1] neg_hi:[0,0,1]
	v_pk_fma_f32 v[4:5], v[6:7], v[0:1], v[4:5] op_sel:[0,0,1] op_sel_hi:[1,0,0]
	s_delay_alu instid0(VALU_DEP_1)
	v_mov_b32_e32 v9, v5
	ds_load_2addr_b64 v[4:7], v148 offset0:36 offset1:37
	v_pk_add_f32 v[144:145], v[144:145], v[10:11] neg_lo:[0,1] neg_hi:[0,1]
	v_pk_add_f32 v[140:141], v[140:141], v[8:9] neg_lo:[0,1] neg_hi:[0,1]
	s_wait_dscnt 0x0
	v_pk_mul_f32 v[8:9], v[4:5], v[2:3] op_sel:[0,1]
	s_delay_alu instid0(VALU_DEP_1) | instskip(SKIP_1) | instid1(VALU_DEP_1)
	v_pk_fma_f32 v[10:11], v[4:5], v[0:1], v[8:9] op_sel:[0,0,1] op_sel_hi:[1,1,0] neg_lo:[0,0,1] neg_hi:[0,0,1]
	v_pk_fma_f32 v[4:5], v[4:5], v[0:1], v[8:9] op_sel:[0,0,1] op_sel_hi:[1,0,0]
	v_mov_b32_e32 v11, v5
	v_pk_mul_f32 v[4:5], v[6:7], v[2:3] op_sel:[0,1]
	s_delay_alu instid0(VALU_DEP_1) | instskip(SKIP_1) | instid1(VALU_DEP_1)
	v_pk_fma_f32 v[8:9], v[6:7], v[0:1], v[4:5] op_sel:[0,0,1] op_sel_hi:[1,1,0] neg_lo:[0,0,1] neg_hi:[0,0,1]
	v_pk_fma_f32 v[4:5], v[6:7], v[0:1], v[4:5] op_sel:[0,0,1] op_sel_hi:[1,0,0]
	v_mov_b32_e32 v9, v5
	ds_load_2addr_b64 v[4:7], v148 offset0:38 offset1:39
	v_pk_add_f32 v[162:163], v[162:163], v[10:11] neg_lo:[0,1] neg_hi:[0,1]
	v_pk_add_f32 v[158:159], v[158:159], v[8:9] neg_lo:[0,1] neg_hi:[0,1]
	s_wait_dscnt 0x0
	v_dual_mul_f32 v8, v5, v3 :: v_dual_mul_f32 v10, v5, v0
	s_delay_alu instid0(VALU_DEP_1) | instskip(NEXT) | instid1(VALU_DEP_2)
	v_pk_fma_f32 v[8:9], v[4:5], v[36:37], v[8:9] op_sel_hi:[1,1,0] neg_lo:[0,0,1] neg_hi:[0,0,1]
	v_pk_fma_f32 v[4:5], v[4:5], v[36:37], v[10:11] op_sel:[1,0,0] op_sel_hi:[0,1,0]
	s_delay_alu instid0(VALU_DEP_1) | instskip(SKIP_1) | instid1(VALU_DEP_2)
	v_mov_b32_e32 v9, v5
	v_pk_mul_f32 v[4:5], v[6:7], v[2:3] op_sel:[0,1]
	v_pk_add_f32 v[160:161], v[160:161], v[8:9] neg_lo:[0,1] neg_hi:[0,1]
	s_delay_alu instid0(VALU_DEP_2) | instskip(SKIP_1) | instid1(VALU_DEP_1)
	v_pk_fma_f32 v[8:9], v[6:7], v[0:1], v[4:5] op_sel:[0,0,1] op_sel_hi:[1,1,0] neg_lo:[0,0,1] neg_hi:[0,0,1]
	v_pk_fma_f32 v[4:5], v[6:7], v[0:1], v[4:5] op_sel:[0,0,1] op_sel_hi:[1,0,0]
	v_mov_b32_e32 v9, v5
	ds_load_2addr_b64 v[4:7], v148 offset0:40 offset1:41
	v_pk_add_f32 v[156:157], v[156:157], v[8:9] neg_lo:[0,1] neg_hi:[0,1]
	s_wait_dscnt 0x0
	v_pk_mul_f32 v[8:9], v[4:5], v[2:3] op_sel:[0,1]
	s_delay_alu instid0(VALU_DEP_1) | instskip(SKIP_1) | instid1(VALU_DEP_1)
	v_pk_fma_f32 v[10:11], v[4:5], v[0:1], v[8:9] op_sel:[0,0,1] op_sel_hi:[1,1,0] neg_lo:[0,0,1] neg_hi:[0,0,1]
	v_pk_fma_f32 v[4:5], v[4:5], v[0:1], v[8:9] op_sel:[0,0,1] op_sel_hi:[1,0,0]
	v_mov_b32_e32 v11, v5
	v_pk_mul_f32 v[4:5], v[6:7], v[2:3] op_sel:[0,1]
	s_delay_alu instid0(VALU_DEP_2) | instskip(NEXT) | instid1(VALU_DEP_2)
	v_pk_add_f32 v[178:179], v[178:179], v[10:11] neg_lo:[0,1] neg_hi:[0,1]
	v_pk_fma_f32 v[8:9], v[6:7], v[0:1], v[4:5] op_sel:[0,0,1] op_sel_hi:[1,1,0] neg_lo:[0,0,1] neg_hi:[0,0,1]
	v_pk_fma_f32 v[4:5], v[6:7], v[0:1], v[4:5] op_sel:[0,0,1] op_sel_hi:[1,0,0]
	s_delay_alu instid0(VALU_DEP_1) | instskip(SKIP_4) | instid1(VALU_DEP_1)
	v_mov_b32_e32 v9, v5
	ds_load_2addr_b64 v[4:7], v148 offset0:42 offset1:43
	v_pk_add_f32 v[174:175], v[174:175], v[8:9] neg_lo:[0,1] neg_hi:[0,1]
	s_wait_dscnt 0x0
	v_pk_mul_f32 v[8:9], v[4:5], v[2:3] op_sel:[0,1]
	v_pk_fma_f32 v[10:11], v[4:5], v[0:1], v[8:9] op_sel:[0,0,1] op_sel_hi:[1,1,0] neg_lo:[0,0,1] neg_hi:[0,0,1]
	v_pk_fma_f32 v[4:5], v[4:5], v[0:1], v[8:9] op_sel:[0,0,1] op_sel_hi:[1,0,0]
	v_dual_mul_f32 v8, v7, v3 :: v_dual_mov_b32 v4, v7
	s_delay_alu instid0(VALU_DEP_2) | instskip(NEXT) | instid1(VALU_DEP_2)
	v_dual_mov_b32 v11, v5 :: v_dual_mov_b32 v5, v6
	v_pk_fma_f32 v[8:9], v[6:7], v[36:37], v[8:9] op_sel_hi:[1,1,0] neg_lo:[0,0,1] neg_hi:[0,0,1]
	v_mul_f32_e32 v6, v7, v0
	s_delay_alu instid0(VALU_DEP_3) | instskip(NEXT) | instid1(VALU_DEP_2)
	v_pk_add_f32 v[176:177], v[176:177], v[10:11] neg_lo:[0,1] neg_hi:[0,1]
	v_pk_fma_f32 v[4:5], v[4:5], v[36:37], v[6:7] op_sel_hi:[1,1,0]
	s_delay_alu instid0(VALU_DEP_1) | instskip(SKIP_4) | instid1(VALU_DEP_1)
	v_mov_b32_e32 v9, v5
	ds_load_2addr_b64 v[4:7], v148 offset0:44 offset1:45
	v_pk_add_f32 v[172:173], v[172:173], v[8:9] neg_lo:[0,1] neg_hi:[0,1]
	s_wait_dscnt 0x0
	v_pk_mul_f32 v[8:9], v[4:5], v[2:3] op_sel:[0,1]
	v_pk_fma_f32 v[10:11], v[4:5], v[0:1], v[8:9] op_sel:[0,0,1] op_sel_hi:[1,1,0] neg_lo:[0,0,1] neg_hi:[0,0,1]
	v_pk_fma_f32 v[4:5], v[4:5], v[0:1], v[8:9] op_sel:[0,0,1] op_sel_hi:[1,0,0]
	s_delay_alu instid0(VALU_DEP_1) | instskip(SKIP_1) | instid1(VALU_DEP_1)
	v_mov_b32_e32 v11, v5
	v_pk_mul_f32 v[4:5], v[6:7], v[2:3] op_sel:[0,1]
	v_pk_fma_f32 v[8:9], v[6:7], v[0:1], v[4:5] op_sel:[0,0,1] op_sel_hi:[1,1,0] neg_lo:[0,0,1] neg_hi:[0,0,1]
	v_pk_fma_f32 v[4:5], v[6:7], v[0:1], v[4:5] op_sel:[0,0,1] op_sel_hi:[1,0,0]
	s_delay_alu instid0(VALU_DEP_1)
	v_mov_b32_e32 v9, v5
	ds_load_2addr_b64 v[4:7], v148 offset0:46 offset1:47
	v_pk_add_f32 v[196:197], v[196:197], v[10:11] neg_lo:[0,1] neg_hi:[0,1]
	v_pk_add_f32 v[192:193], v[192:193], v[8:9] neg_lo:[0,1] neg_hi:[0,1]
	s_wait_dscnt 0x0
	v_pk_mul_f32 v[8:9], v[4:5], v[2:3] op_sel:[0,1]
	s_delay_alu instid0(VALU_DEP_1) | instskip(SKIP_1) | instid1(VALU_DEP_1)
	v_pk_fma_f32 v[10:11], v[4:5], v[0:1], v[8:9] op_sel:[0,0,1] op_sel_hi:[1,1,0] neg_lo:[0,0,1] neg_hi:[0,0,1]
	v_pk_fma_f32 v[4:5], v[4:5], v[0:1], v[8:9] op_sel:[0,0,1] op_sel_hi:[1,0,0]
	v_mov_b32_e32 v11, v5
	v_pk_mul_f32 v[4:5], v[6:7], v[2:3] op_sel:[0,1]
	s_delay_alu instid0(VALU_DEP_1) | instskip(SKIP_1) | instid1(VALU_DEP_1)
	v_pk_fma_f32 v[8:9], v[6:7], v[0:1], v[4:5] op_sel:[0,0,1] op_sel_hi:[1,1,0] neg_lo:[0,0,1] neg_hi:[0,0,1]
	v_pk_fma_f32 v[4:5], v[6:7], v[0:1], v[4:5] op_sel:[0,0,1] op_sel_hi:[1,0,0]
	v_mov_b32_e32 v9, v5
	ds_load_2addr_b64 v[4:7], v148 offset0:48 offset1:49
	v_pk_add_f32 v[194:195], v[194:195], v[10:11] neg_lo:[0,1] neg_hi:[0,1]
	v_pk_add_f32 v[190:191], v[190:191], v[8:9] neg_lo:[0,1] neg_hi:[0,1]
	s_wait_dscnt 0x0
	v_dual_mul_f32 v8, v5, v3 :: v_dual_mul_f32 v10, v5, v0
	s_delay_alu instid0(VALU_DEP_1) | instskip(NEXT) | instid1(VALU_DEP_2)
	v_pk_fma_f32 v[8:9], v[4:5], v[36:37], v[8:9] op_sel_hi:[1,1,0] neg_lo:[0,0,1] neg_hi:[0,0,1]
	v_pk_fma_f32 v[4:5], v[4:5], v[36:37], v[10:11] op_sel:[1,0,0] op_sel_hi:[0,1,0]
	s_delay_alu instid0(VALU_DEP_1) | instskip(SKIP_1) | instid1(VALU_DEP_2)
	v_mov_b32_e32 v9, v5
	v_pk_mul_f32 v[4:5], v[6:7], v[2:3] op_sel:[0,1]
	v_pk_add_f32 v[212:213], v[212:213], v[8:9] neg_lo:[0,1] neg_hi:[0,1]
	s_delay_alu instid0(VALU_DEP_2) | instskip(SKIP_1) | instid1(VALU_DEP_1)
	v_pk_fma_f32 v[8:9], v[6:7], v[0:1], v[4:5] op_sel:[0,0,1] op_sel_hi:[1,1,0] neg_lo:[0,0,1] neg_hi:[0,0,1]
	v_pk_fma_f32 v[4:5], v[6:7], v[0:1], v[4:5] op_sel:[0,0,1] op_sel_hi:[1,0,0]
	v_mov_b32_e32 v9, v5
	ds_load_2addr_b64 v[4:7], v148 offset0:50 offset1:51
	v_pk_add_f32 v[208:209], v[208:209], v[8:9] neg_lo:[0,1] neg_hi:[0,1]
	s_wait_dscnt 0x0
	v_pk_mul_f32 v[8:9], v[4:5], v[2:3] op_sel:[0,1]
	s_delay_alu instid0(VALU_DEP_1) | instskip(SKIP_1) | instid1(VALU_DEP_1)
	v_pk_fma_f32 v[10:11], v[4:5], v[0:1], v[8:9] op_sel:[0,0,1] op_sel_hi:[1,1,0] neg_lo:[0,0,1] neg_hi:[0,0,1]
	v_pk_fma_f32 v[4:5], v[4:5], v[0:1], v[8:9] op_sel:[0,0,1] op_sel_hi:[1,0,0]
	v_mov_b32_e32 v11, v5
	v_pk_mul_f32 v[4:5], v[6:7], v[2:3] op_sel:[0,1]
	s_delay_alu instid0(VALU_DEP_2) | instskip(NEXT) | instid1(VALU_DEP_2)
	v_pk_add_f32 v[210:211], v[210:211], v[10:11] neg_lo:[0,1] neg_hi:[0,1]
	v_pk_fma_f32 v[8:9], v[6:7], v[0:1], v[4:5] op_sel:[0,0,1] op_sel_hi:[1,1,0] neg_lo:[0,0,1] neg_hi:[0,0,1]
	v_pk_fma_f32 v[4:5], v[6:7], v[0:1], v[4:5] op_sel:[0,0,1] op_sel_hi:[1,0,0]
	s_delay_alu instid0(VALU_DEP_1)
	v_mov_b32_e32 v9, v5
	ds_load_2addr_b64 v[4:7], v148 offset0:52 offset1:53
	v_pk_add_f32 v[206:207], v[206:207], v[8:9] neg_lo:[0,1] neg_hi:[0,1]
	s_wait_dscnt 0x0
	v_pk_mul_f32 v[8:9], v[4:5], v[2:3] op_sel:[0,1]
	v_pk_mul_f32 v[2:3], v[6:7], v[2:3] op_sel:[0,1]
	s_delay_alu instid0(VALU_DEP_2) | instskip(SKIP_1) | instid1(VALU_DEP_1)
	v_pk_fma_f32 v[10:11], v[4:5], v[0:1], v[8:9] op_sel:[0,0,1] op_sel_hi:[1,1,0] neg_lo:[0,0,1] neg_hi:[0,0,1]
	v_pk_fma_f32 v[4:5], v[4:5], v[0:1], v[8:9] op_sel:[0,0,1] op_sel_hi:[1,0,0]
	v_mov_b32_e32 v11, v5
	s_delay_alu instid0(VALU_DEP_4) | instskip(SKIP_1) | instid1(VALU_DEP_3)
	v_pk_fma_f32 v[4:5], v[6:7], v[0:1], v[2:3] op_sel:[0,0,1] op_sel_hi:[1,1,0] neg_lo:[0,0,1] neg_hi:[0,0,1]
	v_pk_fma_f32 v[0:1], v[6:7], v[0:1], v[2:3] op_sel:[0,0,1] op_sel_hi:[1,0,0]
	v_pk_add_f32 v[214:215], v[214:215], v[10:11] neg_lo:[0,1] neg_hi:[0,1]
	s_delay_alu instid0(VALU_DEP_2) | instskip(NEXT) | instid1(VALU_DEP_1)
	v_mov_b32_e32 v5, v1
	v_pk_add_f32 v[216:217], v[216:217], v[4:5] neg_lo:[0,1] neg_hi:[0,1]
.LBB107_91:
	s_wait_xcnt 0x0
	s_or_b32 exec_lo, exec_lo, s1
	s_delay_alu instid0(SALU_CYCLE_1)
	s_mov_b32 s2, exec_lo
	s_wait_storecnt 0x0
	s_barrier_signal -1
	s_barrier_wait -1
	v_cmpx_eq_u32_e32 10, v138
	s_cbranch_execz .LBB107_98
; %bb.92:
	ds_store_b64 v139, v[38:39]
	ds_store_2addr_b64 v148, v[34:35], v[64:65] offset0:11 offset1:12
	ds_store_2addr_b64 v148, v[60:61], v[62:63] offset0:13 offset1:14
	;; [unrolled: 1-line block ×21, first 2 shown]
	ds_store_b64 v148, v[216:217] offset:424
	ds_load_b64 v[0:1], v139
	s_wait_dscnt 0x0
	v_cmp_neq_f32_e32 vcc_lo, 0, v0
	v_cmp_neq_f32_e64 s1, 0, v1
	s_or_b32 s1, vcc_lo, s1
	s_delay_alu instid0(SALU_CYCLE_1)
	s_and_b32 exec_lo, exec_lo, s1
	s_cbranch_execz .LBB107_98
; %bb.93:
	v_cmp_ngt_f32_e64 s1, |v0|, |v1|
                                        ; implicit-def: $vgpr2_vgpr3
	s_and_saveexec_b32 s4, s1
	s_delay_alu instid0(SALU_CYCLE_1)
	s_xor_b32 s1, exec_lo, s4
	s_cbranch_execz .LBB107_95
; %bb.94:
	v_div_scale_f32 v2, null, v1, v1, v0
	v_div_scale_f32 v5, vcc_lo, v0, v1, v0
	s_delay_alu instid0(VALU_DEP_2) | instskip(SKIP_1) | instid1(TRANS32_DEP_1)
	v_rcp_f32_e32 v3, v2
	v_nop
	v_fma_f32 v4, -v2, v3, 1.0
	s_delay_alu instid0(VALU_DEP_1) | instskip(NEXT) | instid1(VALU_DEP_1)
	v_fmac_f32_e32 v3, v4, v3
	v_mul_f32_e32 v4, v5, v3
	s_delay_alu instid0(VALU_DEP_1) | instskip(NEXT) | instid1(VALU_DEP_1)
	v_fma_f32 v6, -v2, v4, v5
	v_fmac_f32_e32 v4, v6, v3
	s_delay_alu instid0(VALU_DEP_1) | instskip(NEXT) | instid1(VALU_DEP_1)
	v_fma_f32 v2, -v2, v4, v5
	v_div_fmas_f32 v2, v2, v3, v4
	s_delay_alu instid0(VALU_DEP_1) | instskip(NEXT) | instid1(VALU_DEP_1)
	v_div_fixup_f32 v2, v2, v1, v0
	v_fmac_f32_e32 v1, v0, v2
	s_delay_alu instid0(VALU_DEP_1) | instskip(SKIP_1) | instid1(VALU_DEP_2)
	v_div_scale_f32 v0, null, v1, v1, 1.0
	v_div_scale_f32 v5, vcc_lo, 1.0, v1, 1.0
	v_rcp_f32_e32 v3, v0
	v_nop
	s_delay_alu instid0(TRANS32_DEP_1) | instskip(NEXT) | instid1(VALU_DEP_1)
	v_fma_f32 v4, -v0, v3, 1.0
	v_fmac_f32_e32 v3, v4, v3
	s_delay_alu instid0(VALU_DEP_1) | instskip(NEXT) | instid1(VALU_DEP_1)
	v_mul_f32_e32 v4, v5, v3
	v_fma_f32 v6, -v0, v4, v5
	s_delay_alu instid0(VALU_DEP_1) | instskip(NEXT) | instid1(VALU_DEP_1)
	v_fmac_f32_e32 v4, v6, v3
	v_fma_f32 v0, -v0, v4, v5
	s_delay_alu instid0(VALU_DEP_1) | instskip(NEXT) | instid1(VALU_DEP_1)
	v_div_fmas_f32 v0, v0, v3, v4
	v_div_fixup_f32 v0, v0, v1, 1.0
	s_delay_alu instid0(VALU_DEP_1)
	v_mul_f32_e32 v2, v2, v0
	v_xor_b32_e32 v3, 0x80000000, v0
                                        ; implicit-def: $vgpr0_vgpr1
.LBB107_95:
	s_and_not1_saveexec_b32 s1, s1
	s_cbranch_execz .LBB107_97
; %bb.96:
	v_div_scale_f32 v2, null, v0, v0, v1
	v_div_scale_f32 v5, vcc_lo, v1, v0, v1
	s_delay_alu instid0(VALU_DEP_2) | instskip(SKIP_1) | instid1(TRANS32_DEP_1)
	v_rcp_f32_e32 v3, v2
	v_nop
	v_fma_f32 v4, -v2, v3, 1.0
	s_delay_alu instid0(VALU_DEP_1) | instskip(NEXT) | instid1(VALU_DEP_1)
	v_fmac_f32_e32 v3, v4, v3
	v_mul_f32_e32 v4, v5, v3
	s_delay_alu instid0(VALU_DEP_1) | instskip(NEXT) | instid1(VALU_DEP_1)
	v_fma_f32 v6, -v2, v4, v5
	v_fmac_f32_e32 v4, v6, v3
	s_delay_alu instid0(VALU_DEP_1) | instskip(NEXT) | instid1(VALU_DEP_1)
	v_fma_f32 v2, -v2, v4, v5
	v_div_fmas_f32 v2, v2, v3, v4
	s_delay_alu instid0(VALU_DEP_1) | instskip(NEXT) | instid1(VALU_DEP_1)
	v_div_fixup_f32 v3, v2, v0, v1
	v_fmac_f32_e32 v0, v1, v3
	s_delay_alu instid0(VALU_DEP_1) | instskip(NEXT) | instid1(VALU_DEP_1)
	v_div_scale_f32 v1, null, v0, v0, 1.0
	v_rcp_f32_e32 v2, v1
	v_nop
	s_delay_alu instid0(TRANS32_DEP_1) | instskip(NEXT) | instid1(VALU_DEP_1)
	v_fma_f32 v4, -v1, v2, 1.0
	v_fmac_f32_e32 v2, v4, v2
	v_div_scale_f32 v4, vcc_lo, 1.0, v0, 1.0
	s_delay_alu instid0(VALU_DEP_1) | instskip(NEXT) | instid1(VALU_DEP_1)
	v_mul_f32_e32 v5, v4, v2
	v_fma_f32 v6, -v1, v5, v4
	s_delay_alu instid0(VALU_DEP_1) | instskip(NEXT) | instid1(VALU_DEP_1)
	v_fmac_f32_e32 v5, v6, v2
	v_fma_f32 v1, -v1, v5, v4
	s_delay_alu instid0(VALU_DEP_1) | instskip(NEXT) | instid1(VALU_DEP_1)
	v_div_fmas_f32 v1, v1, v2, v5
	v_div_fixup_f32 v2, v1, v0, 1.0
	s_delay_alu instid0(VALU_DEP_1)
	v_mul_f32_e64 v3, v3, -v2
.LBB107_97:
	s_or_b32 exec_lo, exec_lo, s1
	ds_store_b64 v139, v[2:3]
.LBB107_98:
	s_or_b32 exec_lo, exec_lo, s2
	s_wait_dscnt 0x0
	s_barrier_signal -1
	s_barrier_wait -1
	ds_load_b64 v[0:1], v139
	s_mov_b32 s1, exec_lo
	s_wait_dscnt 0x0
	scratch_store_b64 off, v[0:1], off offset:248 ; 8-byte Folded Spill
	s_wait_xcnt 0x0
	v_cmpx_lt_u32_e32 10, v138
	s_cbranch_execz .LBB107_100
; %bb.99:
	scratch_load_b64 v[4:5], off, off offset:248 ; 8-byte Folded Reload
	s_wait_loadcnt 0x0
	v_pk_mul_f32 v[2:3], v[4:5], v[38:39] op_sel:[1,1] op_sel_hi:[0,1]
	s_delay_alu instid0(VALU_DEP_1)
	v_pk_fma_f32 v[0:1], v[4:5], v[38:39], v[2:3] op_sel_hi:[1,0,1] neg_lo:[0,0,1] neg_hi:[0,0,1]
	v_pk_fma_f32 v[2:3], v[4:5], v[38:39], v[2:3] op_sel_hi:[1,0,1]
	ds_load_2addr_b64 v[4:7], v148 offset0:11 offset1:12
	v_dual_mov_b32 v38, v0 :: v_dual_mov_b32 v39, v3
	s_wait_dscnt 0x0
	v_pk_mul_f32 v[8:9], v[4:5], v[2:3] op_sel:[0,1]
	s_delay_alu instid0(VALU_DEP_1) | instskip(SKIP_1) | instid1(VALU_DEP_1)
	v_pk_fma_f32 v[10:11], v[4:5], v[0:1], v[8:9] op_sel:[0,0,1] op_sel_hi:[1,1,0] neg_lo:[0,0,1] neg_hi:[0,0,1]
	v_pk_fma_f32 v[4:5], v[4:5], v[0:1], v[8:9] op_sel:[0,0,1] op_sel_hi:[1,0,0]
	v_mov_b32_e32 v11, v5
	v_pk_mul_f32 v[4:5], v[6:7], v[2:3] op_sel:[0,1]
	s_delay_alu instid0(VALU_DEP_1) | instskip(SKIP_1) | instid1(VALU_DEP_1)
	v_pk_fma_f32 v[8:9], v[6:7], v[0:1], v[4:5] op_sel:[0,0,1] op_sel_hi:[1,1,0] neg_lo:[0,0,1] neg_hi:[0,0,1]
	v_pk_fma_f32 v[4:5], v[6:7], v[0:1], v[4:5] op_sel:[0,0,1] op_sel_hi:[1,0,0]
	v_mov_b32_e32 v9, v5
	ds_load_2addr_b64 v[4:7], v148 offset0:13 offset1:14
	v_pk_add_f32 v[34:35], v[34:35], v[10:11] neg_lo:[0,1] neg_hi:[0,1]
	v_pk_add_f32 v[64:65], v[64:65], v[8:9] neg_lo:[0,1] neg_hi:[0,1]
	s_wait_dscnt 0x0
	v_pk_mul_f32 v[8:9], v[4:5], v[2:3] op_sel:[0,1]
	s_delay_alu instid0(VALU_DEP_1) | instskip(SKIP_2) | instid1(VALU_DEP_2)
	v_pk_fma_f32 v[10:11], v[4:5], v[0:1], v[8:9] op_sel:[0,0,1] op_sel_hi:[1,1,0] neg_lo:[0,0,1] neg_hi:[0,0,1]
	v_pk_fma_f32 v[4:5], v[4:5], v[0:1], v[8:9] op_sel:[0,0,1] op_sel_hi:[1,0,0]
	v_dual_mul_f32 v8, v7, v3 :: v_dual_mov_b32 v4, v7
	v_dual_mov_b32 v11, v5 :: v_dual_mov_b32 v5, v6
	s_delay_alu instid0(VALU_DEP_2) | instskip(SKIP_1) | instid1(VALU_DEP_3)
	v_pk_fma_f32 v[8:9], v[6:7], v[38:39], v[8:9] op_sel_hi:[1,1,0] neg_lo:[0,0,1] neg_hi:[0,0,1]
	v_mul_f32_e32 v6, v7, v0
	v_pk_add_f32 v[60:61], v[60:61], v[10:11] neg_lo:[0,1] neg_hi:[0,1]
	s_delay_alu instid0(VALU_DEP_2) | instskip(NEXT) | instid1(VALU_DEP_1)
	v_pk_fma_f32 v[4:5], v[4:5], v[38:39], v[6:7] op_sel_hi:[1,1,0]
	v_mov_b32_e32 v9, v5
	ds_load_2addr_b64 v[4:7], v148 offset0:15 offset1:16
	v_pk_add_f32 v[62:63], v[62:63], v[8:9] neg_lo:[0,1] neg_hi:[0,1]
	s_wait_dscnt 0x0
	v_pk_mul_f32 v[8:9], v[4:5], v[2:3] op_sel:[0,1]
	s_delay_alu instid0(VALU_DEP_1) | instskip(SKIP_1) | instid1(VALU_DEP_1)
	v_pk_fma_f32 v[10:11], v[4:5], v[0:1], v[8:9] op_sel:[0,0,1] op_sel_hi:[1,1,0] neg_lo:[0,0,1] neg_hi:[0,0,1]
	v_pk_fma_f32 v[4:5], v[4:5], v[0:1], v[8:9] op_sel:[0,0,1] op_sel_hi:[1,0,0]
	v_mov_b32_e32 v11, v5
	v_pk_mul_f32 v[4:5], v[6:7], v[2:3] op_sel:[0,1]
	s_delay_alu instid0(VALU_DEP_1) | instskip(SKIP_1) | instid1(VALU_DEP_1)
	v_pk_fma_f32 v[8:9], v[6:7], v[0:1], v[4:5] op_sel:[0,0,1] op_sel_hi:[1,1,0] neg_lo:[0,0,1] neg_hi:[0,0,1]
	v_pk_fma_f32 v[4:5], v[6:7], v[0:1], v[4:5] op_sel:[0,0,1] op_sel_hi:[1,0,0]
	v_mov_b32_e32 v9, v5
	ds_load_2addr_b64 v[4:7], v148 offset0:17 offset1:18
	v_pk_add_f32 v[58:59], v[58:59], v[10:11] neg_lo:[0,1] neg_hi:[0,1]
	v_pk_add_f32 v[80:81], v[80:81], v[8:9] neg_lo:[0,1] neg_hi:[0,1]
	s_wait_dscnt 0x0
	v_pk_mul_f32 v[8:9], v[4:5], v[2:3] op_sel:[0,1]
	s_delay_alu instid0(VALU_DEP_1) | instskip(SKIP_1) | instid1(VALU_DEP_1)
	v_pk_fma_f32 v[10:11], v[4:5], v[0:1], v[8:9] op_sel:[0,0,1] op_sel_hi:[1,1,0] neg_lo:[0,0,1] neg_hi:[0,0,1]
	v_pk_fma_f32 v[4:5], v[4:5], v[0:1], v[8:9] op_sel:[0,0,1] op_sel_hi:[1,0,0]
	v_mov_b32_e32 v11, v5
	v_pk_mul_f32 v[4:5], v[6:7], v[2:3] op_sel:[0,1]
	s_delay_alu instid0(VALU_DEP_1) | instskip(SKIP_1) | instid1(VALU_DEP_1)
	v_pk_fma_f32 v[8:9], v[6:7], v[0:1], v[4:5] op_sel:[0,0,1] op_sel_hi:[1,1,0] neg_lo:[0,0,1] neg_hi:[0,0,1]
	v_pk_fma_f32 v[4:5], v[6:7], v[0:1], v[4:5] op_sel:[0,0,1] op_sel_hi:[1,0,0]
	v_mov_b32_e32 v9, v5
	ds_load_2addr_b64 v[4:7], v148 offset0:19 offset1:20
	v_pk_add_f32 v[76:77], v[76:77], v[10:11] neg_lo:[0,1] neg_hi:[0,1]
	v_pk_add_f32 v[78:79], v[78:79], v[8:9] neg_lo:[0,1] neg_hi:[0,1]
	s_wait_dscnt 0x0
	v_dual_mul_f32 v8, v5, v3 :: v_dual_mul_f32 v10, v5, v0
	s_delay_alu instid0(VALU_DEP_1) | instskip(NEXT) | instid1(VALU_DEP_2)
	v_pk_fma_f32 v[8:9], v[4:5], v[38:39], v[8:9] op_sel_hi:[1,1,0] neg_lo:[0,0,1] neg_hi:[0,0,1]
	v_pk_fma_f32 v[4:5], v[4:5], v[38:39], v[10:11] op_sel:[1,0,0] op_sel_hi:[0,1,0]
	s_delay_alu instid0(VALU_DEP_1) | instskip(SKIP_1) | instid1(VALU_DEP_2)
	v_mov_b32_e32 v9, v5
	v_pk_mul_f32 v[4:5], v[6:7], v[2:3] op_sel:[0,1]
	v_pk_add_f32 v[74:75], v[74:75], v[8:9] neg_lo:[0,1] neg_hi:[0,1]
	s_delay_alu instid0(VALU_DEP_2) | instskip(SKIP_1) | instid1(VALU_DEP_1)
	v_pk_fma_f32 v[8:9], v[6:7], v[0:1], v[4:5] op_sel:[0,0,1] op_sel_hi:[1,1,0] neg_lo:[0,0,1] neg_hi:[0,0,1]
	v_pk_fma_f32 v[4:5], v[6:7], v[0:1], v[4:5] op_sel:[0,0,1] op_sel_hi:[1,0,0]
	v_mov_b32_e32 v9, v5
	ds_load_2addr_b64 v[4:7], v148 offset0:21 offset1:22
	v_pk_add_f32 v[96:97], v[96:97], v[8:9] neg_lo:[0,1] neg_hi:[0,1]
	s_wait_dscnt 0x0
	v_pk_mul_f32 v[8:9], v[4:5], v[2:3] op_sel:[0,1]
	s_delay_alu instid0(VALU_DEP_1) | instskip(SKIP_1) | instid1(VALU_DEP_1)
	v_pk_fma_f32 v[10:11], v[4:5], v[0:1], v[8:9] op_sel:[0,0,1] op_sel_hi:[1,1,0] neg_lo:[0,0,1] neg_hi:[0,0,1]
	v_pk_fma_f32 v[4:5], v[4:5], v[0:1], v[8:9] op_sel:[0,0,1] op_sel_hi:[1,0,0]
	v_mov_b32_e32 v11, v5
	v_pk_mul_f32 v[4:5], v[6:7], v[2:3] op_sel:[0,1]
	s_delay_alu instid0(VALU_DEP_2) | instskip(NEXT) | instid1(VALU_DEP_2)
	v_pk_add_f32 v[92:93], v[92:93], v[10:11] neg_lo:[0,1] neg_hi:[0,1]
	v_pk_fma_f32 v[8:9], v[6:7], v[0:1], v[4:5] op_sel:[0,0,1] op_sel_hi:[1,1,0] neg_lo:[0,0,1] neg_hi:[0,0,1]
	v_pk_fma_f32 v[4:5], v[6:7], v[0:1], v[4:5] op_sel:[0,0,1] op_sel_hi:[1,0,0]
	s_delay_alu instid0(VALU_DEP_1) | instskip(SKIP_4) | instid1(VALU_DEP_1)
	v_mov_b32_e32 v9, v5
	ds_load_2addr_b64 v[4:7], v148 offset0:23 offset1:24
	v_pk_add_f32 v[94:95], v[94:95], v[8:9] neg_lo:[0,1] neg_hi:[0,1]
	s_wait_dscnt 0x0
	v_pk_mul_f32 v[8:9], v[4:5], v[2:3] op_sel:[0,1]
	v_pk_fma_f32 v[10:11], v[4:5], v[0:1], v[8:9] op_sel:[0,0,1] op_sel_hi:[1,1,0] neg_lo:[0,0,1] neg_hi:[0,0,1]
	v_pk_fma_f32 v[4:5], v[4:5], v[0:1], v[8:9] op_sel:[0,0,1] op_sel_hi:[1,0,0]
	v_dual_mul_f32 v8, v7, v3 :: v_dual_mov_b32 v4, v7
	s_delay_alu instid0(VALU_DEP_2) | instskip(NEXT) | instid1(VALU_DEP_2)
	v_dual_mov_b32 v11, v5 :: v_dual_mov_b32 v5, v6
	v_pk_fma_f32 v[8:9], v[6:7], v[38:39], v[8:9] op_sel_hi:[1,1,0] neg_lo:[0,0,1] neg_hi:[0,0,1]
	v_mul_f32_e32 v6, v7, v0
	s_delay_alu instid0(VALU_DEP_3) | instskip(NEXT) | instid1(VALU_DEP_2)
	v_pk_add_f32 v[90:91], v[90:91], v[10:11] neg_lo:[0,1] neg_hi:[0,1]
	v_pk_fma_f32 v[4:5], v[4:5], v[38:39], v[6:7] op_sel_hi:[1,1,0]
	s_delay_alu instid0(VALU_DEP_1) | instskip(SKIP_4) | instid1(VALU_DEP_1)
	v_mov_b32_e32 v9, v5
	ds_load_2addr_b64 v[4:7], v148 offset0:25 offset1:26
	v_pk_add_f32 v[112:113], v[112:113], v[8:9] neg_lo:[0,1] neg_hi:[0,1]
	s_wait_dscnt 0x0
	v_pk_mul_f32 v[8:9], v[4:5], v[2:3] op_sel:[0,1]
	v_pk_fma_f32 v[10:11], v[4:5], v[0:1], v[8:9] op_sel:[0,0,1] op_sel_hi:[1,1,0] neg_lo:[0,0,1] neg_hi:[0,0,1]
	v_pk_fma_f32 v[4:5], v[4:5], v[0:1], v[8:9] op_sel:[0,0,1] op_sel_hi:[1,0,0]
	s_delay_alu instid0(VALU_DEP_1) | instskip(SKIP_1) | instid1(VALU_DEP_1)
	v_mov_b32_e32 v11, v5
	v_pk_mul_f32 v[4:5], v[6:7], v[2:3] op_sel:[0,1]
	v_pk_fma_f32 v[8:9], v[6:7], v[0:1], v[4:5] op_sel:[0,0,1] op_sel_hi:[1,1,0] neg_lo:[0,0,1] neg_hi:[0,0,1]
	v_pk_fma_f32 v[4:5], v[6:7], v[0:1], v[4:5] op_sel:[0,0,1] op_sel_hi:[1,0,0]
	s_delay_alu instid0(VALU_DEP_1)
	v_mov_b32_e32 v9, v5
	ds_load_2addr_b64 v[4:7], v148 offset0:27 offset1:28
	v_pk_add_f32 v[108:109], v[108:109], v[10:11] neg_lo:[0,1] neg_hi:[0,1]
	v_pk_add_f32 v[110:111], v[110:111], v[8:9] neg_lo:[0,1] neg_hi:[0,1]
	s_wait_dscnt 0x0
	v_pk_mul_f32 v[8:9], v[4:5], v[2:3] op_sel:[0,1]
	s_delay_alu instid0(VALU_DEP_1) | instskip(SKIP_1) | instid1(VALU_DEP_1)
	v_pk_fma_f32 v[10:11], v[4:5], v[0:1], v[8:9] op_sel:[0,0,1] op_sel_hi:[1,1,0] neg_lo:[0,0,1] neg_hi:[0,0,1]
	v_pk_fma_f32 v[4:5], v[4:5], v[0:1], v[8:9] op_sel:[0,0,1] op_sel_hi:[1,0,0]
	v_mov_b32_e32 v11, v5
	v_pk_mul_f32 v[4:5], v[6:7], v[2:3] op_sel:[0,1]
	s_delay_alu instid0(VALU_DEP_1) | instskip(SKIP_1) | instid1(VALU_DEP_1)
	v_pk_fma_f32 v[8:9], v[6:7], v[0:1], v[4:5] op_sel:[0,0,1] op_sel_hi:[1,1,0] neg_lo:[0,0,1] neg_hi:[0,0,1]
	v_pk_fma_f32 v[4:5], v[6:7], v[0:1], v[4:5] op_sel:[0,0,1] op_sel_hi:[1,0,0]
	v_mov_b32_e32 v9, v5
	ds_load_2addr_b64 v[4:7], v148 offset0:29 offset1:30
	v_pk_add_f32 v[106:107], v[106:107], v[10:11] neg_lo:[0,1] neg_hi:[0,1]
	v_pk_add_f32 v[130:131], v[130:131], v[8:9] neg_lo:[0,1] neg_hi:[0,1]
	s_wait_dscnt 0x0
	v_dual_mul_f32 v8, v5, v3 :: v_dual_mul_f32 v10, v5, v0
	s_delay_alu instid0(VALU_DEP_1) | instskip(NEXT) | instid1(VALU_DEP_2)
	v_pk_fma_f32 v[8:9], v[4:5], v[38:39], v[8:9] op_sel_hi:[1,1,0] neg_lo:[0,0,1] neg_hi:[0,0,1]
	v_pk_fma_f32 v[4:5], v[4:5], v[38:39], v[10:11] op_sel:[1,0,0] op_sel_hi:[0,1,0]
	s_delay_alu instid0(VALU_DEP_1) | instskip(SKIP_1) | instid1(VALU_DEP_2)
	v_mov_b32_e32 v9, v5
	v_pk_mul_f32 v[4:5], v[6:7], v[2:3] op_sel:[0,1]
	v_pk_add_f32 v[126:127], v[126:127], v[8:9] neg_lo:[0,1] neg_hi:[0,1]
	s_delay_alu instid0(VALU_DEP_2) | instskip(SKIP_1) | instid1(VALU_DEP_1)
	v_pk_fma_f32 v[8:9], v[6:7], v[0:1], v[4:5] op_sel:[0,0,1] op_sel_hi:[1,1,0] neg_lo:[0,0,1] neg_hi:[0,0,1]
	v_pk_fma_f32 v[4:5], v[6:7], v[0:1], v[4:5] op_sel:[0,0,1] op_sel_hi:[1,0,0]
	v_mov_b32_e32 v9, v5
	ds_load_2addr_b64 v[4:7], v148 offset0:31 offset1:32
	v_pk_add_f32 v[128:129], v[128:129], v[8:9] neg_lo:[0,1] neg_hi:[0,1]
	s_wait_dscnt 0x0
	v_pk_mul_f32 v[8:9], v[4:5], v[2:3] op_sel:[0,1]
	s_delay_alu instid0(VALU_DEP_1) | instskip(SKIP_1) | instid1(VALU_DEP_1)
	v_pk_fma_f32 v[10:11], v[4:5], v[0:1], v[8:9] op_sel:[0,0,1] op_sel_hi:[1,1,0] neg_lo:[0,0,1] neg_hi:[0,0,1]
	v_pk_fma_f32 v[4:5], v[4:5], v[0:1], v[8:9] op_sel:[0,0,1] op_sel_hi:[1,0,0]
	v_mov_b32_e32 v11, v5
	v_pk_mul_f32 v[4:5], v[6:7], v[2:3] op_sel:[0,1]
	s_delay_alu instid0(VALU_DEP_2) | instskip(NEXT) | instid1(VALU_DEP_2)
	v_pk_add_f32 v[124:125], v[124:125], v[10:11] neg_lo:[0,1] neg_hi:[0,1]
	v_pk_fma_f32 v[8:9], v[6:7], v[0:1], v[4:5] op_sel:[0,0,1] op_sel_hi:[1,1,0] neg_lo:[0,0,1] neg_hi:[0,0,1]
	v_pk_fma_f32 v[4:5], v[6:7], v[0:1], v[4:5] op_sel:[0,0,1] op_sel_hi:[1,0,0]
	s_delay_alu instid0(VALU_DEP_1) | instskip(SKIP_4) | instid1(VALU_DEP_1)
	v_mov_b32_e32 v9, v5
	ds_load_2addr_b64 v[4:7], v148 offset0:33 offset1:34
	v_pk_add_f32 v[146:147], v[146:147], v[8:9] neg_lo:[0,1] neg_hi:[0,1]
	s_wait_dscnt 0x0
	v_pk_mul_f32 v[8:9], v[4:5], v[2:3] op_sel:[0,1]
	v_pk_fma_f32 v[10:11], v[4:5], v[0:1], v[8:9] op_sel:[0,0,1] op_sel_hi:[1,1,0] neg_lo:[0,0,1] neg_hi:[0,0,1]
	v_pk_fma_f32 v[4:5], v[4:5], v[0:1], v[8:9] op_sel:[0,0,1] op_sel_hi:[1,0,0]
	v_dual_mul_f32 v8, v7, v3 :: v_dual_mov_b32 v4, v7
	s_delay_alu instid0(VALU_DEP_2) | instskip(NEXT) | instid1(VALU_DEP_2)
	v_dual_mov_b32 v11, v5 :: v_dual_mov_b32 v5, v6
	v_pk_fma_f32 v[8:9], v[6:7], v[38:39], v[8:9] op_sel_hi:[1,1,0] neg_lo:[0,0,1] neg_hi:[0,0,1]
	v_mul_f32_e32 v6, v7, v0
	s_delay_alu instid0(VALU_DEP_3) | instskip(NEXT) | instid1(VALU_DEP_2)
	v_pk_add_f32 v[142:143], v[142:143], v[10:11] neg_lo:[0,1] neg_hi:[0,1]
	v_pk_fma_f32 v[4:5], v[4:5], v[38:39], v[6:7] op_sel_hi:[1,1,0]
	s_delay_alu instid0(VALU_DEP_1) | instskip(SKIP_4) | instid1(VALU_DEP_1)
	v_mov_b32_e32 v9, v5
	ds_load_2addr_b64 v[4:7], v148 offset0:35 offset1:36
	v_pk_add_f32 v[144:145], v[144:145], v[8:9] neg_lo:[0,1] neg_hi:[0,1]
	s_wait_dscnt 0x0
	v_pk_mul_f32 v[8:9], v[4:5], v[2:3] op_sel:[0,1]
	v_pk_fma_f32 v[10:11], v[4:5], v[0:1], v[8:9] op_sel:[0,0,1] op_sel_hi:[1,1,0] neg_lo:[0,0,1] neg_hi:[0,0,1]
	v_pk_fma_f32 v[4:5], v[4:5], v[0:1], v[8:9] op_sel:[0,0,1] op_sel_hi:[1,0,0]
	s_delay_alu instid0(VALU_DEP_1) | instskip(SKIP_1) | instid1(VALU_DEP_1)
	v_mov_b32_e32 v11, v5
	v_pk_mul_f32 v[4:5], v[6:7], v[2:3] op_sel:[0,1]
	v_pk_fma_f32 v[8:9], v[6:7], v[0:1], v[4:5] op_sel:[0,0,1] op_sel_hi:[1,1,0] neg_lo:[0,0,1] neg_hi:[0,0,1]
	v_pk_fma_f32 v[4:5], v[6:7], v[0:1], v[4:5] op_sel:[0,0,1] op_sel_hi:[1,0,0]
	s_delay_alu instid0(VALU_DEP_1)
	v_mov_b32_e32 v9, v5
	ds_load_2addr_b64 v[4:7], v148 offset0:37 offset1:38
	v_pk_add_f32 v[140:141], v[140:141], v[10:11] neg_lo:[0,1] neg_hi:[0,1]
	v_pk_add_f32 v[162:163], v[162:163], v[8:9] neg_lo:[0,1] neg_hi:[0,1]
	s_wait_dscnt 0x0
	v_pk_mul_f32 v[8:9], v[4:5], v[2:3] op_sel:[0,1]
	s_delay_alu instid0(VALU_DEP_1) | instskip(SKIP_1) | instid1(VALU_DEP_1)
	v_pk_fma_f32 v[10:11], v[4:5], v[0:1], v[8:9] op_sel:[0,0,1] op_sel_hi:[1,1,0] neg_lo:[0,0,1] neg_hi:[0,0,1]
	v_pk_fma_f32 v[4:5], v[4:5], v[0:1], v[8:9] op_sel:[0,0,1] op_sel_hi:[1,0,0]
	v_mov_b32_e32 v11, v5
	v_pk_mul_f32 v[4:5], v[6:7], v[2:3] op_sel:[0,1]
	s_delay_alu instid0(VALU_DEP_1) | instskip(SKIP_1) | instid1(VALU_DEP_1)
	v_pk_fma_f32 v[8:9], v[6:7], v[0:1], v[4:5] op_sel:[0,0,1] op_sel_hi:[1,1,0] neg_lo:[0,0,1] neg_hi:[0,0,1]
	v_pk_fma_f32 v[4:5], v[6:7], v[0:1], v[4:5] op_sel:[0,0,1] op_sel_hi:[1,0,0]
	v_mov_b32_e32 v9, v5
	ds_load_2addr_b64 v[4:7], v148 offset0:39 offset1:40
	v_pk_add_f32 v[158:159], v[158:159], v[10:11] neg_lo:[0,1] neg_hi:[0,1]
	v_pk_add_f32 v[160:161], v[160:161], v[8:9] neg_lo:[0,1] neg_hi:[0,1]
	s_wait_dscnt 0x0
	v_dual_mul_f32 v8, v5, v3 :: v_dual_mul_f32 v10, v5, v0
	s_delay_alu instid0(VALU_DEP_1) | instskip(NEXT) | instid1(VALU_DEP_2)
	v_pk_fma_f32 v[8:9], v[4:5], v[38:39], v[8:9] op_sel_hi:[1,1,0] neg_lo:[0,0,1] neg_hi:[0,0,1]
	v_pk_fma_f32 v[4:5], v[4:5], v[38:39], v[10:11] op_sel:[1,0,0] op_sel_hi:[0,1,0]
	s_delay_alu instid0(VALU_DEP_1) | instskip(SKIP_1) | instid1(VALU_DEP_2)
	v_mov_b32_e32 v9, v5
	v_pk_mul_f32 v[4:5], v[6:7], v[2:3] op_sel:[0,1]
	v_pk_add_f32 v[156:157], v[156:157], v[8:9] neg_lo:[0,1] neg_hi:[0,1]
	s_delay_alu instid0(VALU_DEP_2) | instskip(SKIP_1) | instid1(VALU_DEP_1)
	v_pk_fma_f32 v[8:9], v[6:7], v[0:1], v[4:5] op_sel:[0,0,1] op_sel_hi:[1,1,0] neg_lo:[0,0,1] neg_hi:[0,0,1]
	v_pk_fma_f32 v[4:5], v[6:7], v[0:1], v[4:5] op_sel:[0,0,1] op_sel_hi:[1,0,0]
	v_mov_b32_e32 v9, v5
	ds_load_2addr_b64 v[4:7], v148 offset0:41 offset1:42
	v_pk_add_f32 v[178:179], v[178:179], v[8:9] neg_lo:[0,1] neg_hi:[0,1]
	s_wait_dscnt 0x0
	v_pk_mul_f32 v[8:9], v[4:5], v[2:3] op_sel:[0,1]
	s_delay_alu instid0(VALU_DEP_1) | instskip(SKIP_1) | instid1(VALU_DEP_1)
	v_pk_fma_f32 v[10:11], v[4:5], v[0:1], v[8:9] op_sel:[0,0,1] op_sel_hi:[1,1,0] neg_lo:[0,0,1] neg_hi:[0,0,1]
	v_pk_fma_f32 v[4:5], v[4:5], v[0:1], v[8:9] op_sel:[0,0,1] op_sel_hi:[1,0,0]
	v_mov_b32_e32 v11, v5
	v_pk_mul_f32 v[4:5], v[6:7], v[2:3] op_sel:[0,1]
	s_delay_alu instid0(VALU_DEP_2) | instskip(NEXT) | instid1(VALU_DEP_2)
	v_pk_add_f32 v[174:175], v[174:175], v[10:11] neg_lo:[0,1] neg_hi:[0,1]
	v_pk_fma_f32 v[8:9], v[6:7], v[0:1], v[4:5] op_sel:[0,0,1] op_sel_hi:[1,1,0] neg_lo:[0,0,1] neg_hi:[0,0,1]
	v_pk_fma_f32 v[4:5], v[6:7], v[0:1], v[4:5] op_sel:[0,0,1] op_sel_hi:[1,0,0]
	s_delay_alu instid0(VALU_DEP_1) | instskip(SKIP_4) | instid1(VALU_DEP_1)
	v_mov_b32_e32 v9, v5
	ds_load_2addr_b64 v[4:7], v148 offset0:43 offset1:44
	v_pk_add_f32 v[176:177], v[176:177], v[8:9] neg_lo:[0,1] neg_hi:[0,1]
	s_wait_dscnt 0x0
	v_pk_mul_f32 v[8:9], v[4:5], v[2:3] op_sel:[0,1]
	v_pk_fma_f32 v[10:11], v[4:5], v[0:1], v[8:9] op_sel:[0,0,1] op_sel_hi:[1,1,0] neg_lo:[0,0,1] neg_hi:[0,0,1]
	v_pk_fma_f32 v[4:5], v[4:5], v[0:1], v[8:9] op_sel:[0,0,1] op_sel_hi:[1,0,0]
	v_dual_mul_f32 v8, v7, v3 :: v_dual_mov_b32 v4, v7
	s_delay_alu instid0(VALU_DEP_2) | instskip(NEXT) | instid1(VALU_DEP_2)
	v_dual_mov_b32 v11, v5 :: v_dual_mov_b32 v5, v6
	v_pk_fma_f32 v[8:9], v[6:7], v[38:39], v[8:9] op_sel_hi:[1,1,0] neg_lo:[0,0,1] neg_hi:[0,0,1]
	v_mul_f32_e32 v6, v7, v0
	s_delay_alu instid0(VALU_DEP_3) | instskip(NEXT) | instid1(VALU_DEP_2)
	v_pk_add_f32 v[172:173], v[172:173], v[10:11] neg_lo:[0,1] neg_hi:[0,1]
	v_pk_fma_f32 v[4:5], v[4:5], v[38:39], v[6:7] op_sel_hi:[1,1,0]
	s_delay_alu instid0(VALU_DEP_1) | instskip(SKIP_4) | instid1(VALU_DEP_1)
	v_mov_b32_e32 v9, v5
	ds_load_2addr_b64 v[4:7], v148 offset0:45 offset1:46
	v_pk_add_f32 v[196:197], v[196:197], v[8:9] neg_lo:[0,1] neg_hi:[0,1]
	s_wait_dscnt 0x0
	v_pk_mul_f32 v[8:9], v[4:5], v[2:3] op_sel:[0,1]
	v_pk_fma_f32 v[10:11], v[4:5], v[0:1], v[8:9] op_sel:[0,0,1] op_sel_hi:[1,1,0] neg_lo:[0,0,1] neg_hi:[0,0,1]
	v_pk_fma_f32 v[4:5], v[4:5], v[0:1], v[8:9] op_sel:[0,0,1] op_sel_hi:[1,0,0]
	s_delay_alu instid0(VALU_DEP_1) | instskip(SKIP_1) | instid1(VALU_DEP_1)
	v_mov_b32_e32 v11, v5
	v_pk_mul_f32 v[4:5], v[6:7], v[2:3] op_sel:[0,1]
	v_pk_fma_f32 v[8:9], v[6:7], v[0:1], v[4:5] op_sel:[0,0,1] op_sel_hi:[1,1,0] neg_lo:[0,0,1] neg_hi:[0,0,1]
	v_pk_fma_f32 v[4:5], v[6:7], v[0:1], v[4:5] op_sel:[0,0,1] op_sel_hi:[1,0,0]
	s_delay_alu instid0(VALU_DEP_1)
	v_mov_b32_e32 v9, v5
	ds_load_2addr_b64 v[4:7], v148 offset0:47 offset1:48
	v_pk_add_f32 v[192:193], v[192:193], v[10:11] neg_lo:[0,1] neg_hi:[0,1]
	v_pk_add_f32 v[194:195], v[194:195], v[8:9] neg_lo:[0,1] neg_hi:[0,1]
	s_wait_dscnt 0x0
	v_pk_mul_f32 v[8:9], v[4:5], v[2:3] op_sel:[0,1]
	s_delay_alu instid0(VALU_DEP_1) | instskip(SKIP_1) | instid1(VALU_DEP_1)
	v_pk_fma_f32 v[10:11], v[4:5], v[0:1], v[8:9] op_sel:[0,0,1] op_sel_hi:[1,1,0] neg_lo:[0,0,1] neg_hi:[0,0,1]
	v_pk_fma_f32 v[4:5], v[4:5], v[0:1], v[8:9] op_sel:[0,0,1] op_sel_hi:[1,0,0]
	v_mov_b32_e32 v11, v5
	v_pk_mul_f32 v[4:5], v[6:7], v[2:3] op_sel:[0,1]
	s_delay_alu instid0(VALU_DEP_1) | instskip(SKIP_1) | instid1(VALU_DEP_1)
	v_pk_fma_f32 v[8:9], v[6:7], v[0:1], v[4:5] op_sel:[0,0,1] op_sel_hi:[1,1,0] neg_lo:[0,0,1] neg_hi:[0,0,1]
	v_pk_fma_f32 v[4:5], v[6:7], v[0:1], v[4:5] op_sel:[0,0,1] op_sel_hi:[1,0,0]
	v_mov_b32_e32 v9, v5
	ds_load_2addr_b64 v[4:7], v148 offset0:49 offset1:50
	v_pk_add_f32 v[190:191], v[190:191], v[10:11] neg_lo:[0,1] neg_hi:[0,1]
	v_pk_add_f32 v[212:213], v[212:213], v[8:9] neg_lo:[0,1] neg_hi:[0,1]
	s_wait_dscnt 0x0
	v_dual_mul_f32 v8, v5, v3 :: v_dual_mul_f32 v10, v5, v0
	s_delay_alu instid0(VALU_DEP_1) | instskip(NEXT) | instid1(VALU_DEP_2)
	v_pk_fma_f32 v[8:9], v[4:5], v[38:39], v[8:9] op_sel_hi:[1,1,0] neg_lo:[0,0,1] neg_hi:[0,0,1]
	v_pk_fma_f32 v[4:5], v[4:5], v[38:39], v[10:11] op_sel:[1,0,0] op_sel_hi:[0,1,0]
	s_delay_alu instid0(VALU_DEP_1) | instskip(SKIP_1) | instid1(VALU_DEP_2)
	v_mov_b32_e32 v9, v5
	v_pk_mul_f32 v[4:5], v[6:7], v[2:3] op_sel:[0,1]
	v_pk_add_f32 v[208:209], v[208:209], v[8:9] neg_lo:[0,1] neg_hi:[0,1]
	s_delay_alu instid0(VALU_DEP_2) | instskip(SKIP_1) | instid1(VALU_DEP_1)
	v_pk_fma_f32 v[8:9], v[6:7], v[0:1], v[4:5] op_sel:[0,0,1] op_sel_hi:[1,1,0] neg_lo:[0,0,1] neg_hi:[0,0,1]
	v_pk_fma_f32 v[4:5], v[6:7], v[0:1], v[4:5] op_sel:[0,0,1] op_sel_hi:[1,0,0]
	v_mov_b32_e32 v9, v5
	ds_load_2addr_b64 v[4:7], v148 offset0:51 offset1:52
	v_pk_add_f32 v[210:211], v[210:211], v[8:9] neg_lo:[0,1] neg_hi:[0,1]
	s_wait_dscnt 0x0
	v_pk_mul_f32 v[8:9], v[4:5], v[2:3] op_sel:[0,1]
	s_delay_alu instid0(VALU_DEP_1) | instskip(SKIP_1) | instid1(VALU_DEP_1)
	v_pk_fma_f32 v[10:11], v[4:5], v[0:1], v[8:9] op_sel:[0,0,1] op_sel_hi:[1,1,0] neg_lo:[0,0,1] neg_hi:[0,0,1]
	v_pk_fma_f32 v[4:5], v[4:5], v[0:1], v[8:9] op_sel:[0,0,1] op_sel_hi:[1,0,0]
	v_mov_b32_e32 v11, v5
	v_pk_mul_f32 v[4:5], v[6:7], v[2:3] op_sel:[0,1]
	s_delay_alu instid0(VALU_DEP_2) | instskip(NEXT) | instid1(VALU_DEP_2)
	v_pk_add_f32 v[206:207], v[206:207], v[10:11] neg_lo:[0,1] neg_hi:[0,1]
	v_pk_fma_f32 v[8:9], v[6:7], v[0:1], v[4:5] op_sel:[0,0,1] op_sel_hi:[1,1,0] neg_lo:[0,0,1] neg_hi:[0,0,1]
	v_pk_fma_f32 v[4:5], v[6:7], v[0:1], v[4:5] op_sel:[0,0,1] op_sel_hi:[1,0,0]
	s_delay_alu instid0(VALU_DEP_1) | instskip(SKIP_4) | instid1(VALU_DEP_1)
	v_mov_b32_e32 v9, v5
	ds_load_b64 v[4:5], v148 offset:424
	v_pk_add_f32 v[214:215], v[214:215], v[8:9] neg_lo:[0,1] neg_hi:[0,1]
	s_wait_dscnt 0x0
	v_pk_mul_f32 v[2:3], v[4:5], v[2:3] op_sel:[0,1]
	v_pk_fma_f32 v[6:7], v[4:5], v[0:1], v[2:3] op_sel:[0,0,1] op_sel_hi:[1,1,0] neg_lo:[0,0,1] neg_hi:[0,0,1]
	v_pk_fma_f32 v[0:1], v[4:5], v[0:1], v[2:3] op_sel:[0,0,1] op_sel_hi:[1,0,0]
	s_delay_alu instid0(VALU_DEP_1) | instskip(NEXT) | instid1(VALU_DEP_1)
	v_mov_b32_e32 v7, v1
	v_pk_add_f32 v[216:217], v[216:217], v[6:7] neg_lo:[0,1] neg_hi:[0,1]
.LBB107_100:
	s_wait_xcnt 0x0
	s_or_b32 exec_lo, exec_lo, s1
	s_delay_alu instid0(SALU_CYCLE_1)
	s_mov_b32 s2, exec_lo
	s_wait_storecnt 0x0
	s_barrier_signal -1
	s_barrier_wait -1
	v_cmpx_eq_u32_e32 11, v138
	s_cbranch_execz .LBB107_107
; %bb.101:
	v_dual_mov_b32 v0, v64 :: v_dual_mov_b32 v1, v65
	v_dual_mov_b32 v2, v60 :: v_dual_mov_b32 v3, v61
	ds_store_b64 v139, v[34:35]
	ds_store_2addr_b64 v148, v[0:1], v[2:3] offset0:12 offset1:13
	v_dual_mov_b32 v0, v62 :: v_dual_mov_b32 v1, v63
	v_dual_mov_b32 v2, v58 :: v_dual_mov_b32 v3, v59
	ds_store_2addr_b64 v148, v[0:1], v[2:3] offset0:14 offset1:15
	v_dual_mov_b32 v0, v80 :: v_dual_mov_b32 v1, v81
	v_dual_mov_b32 v2, v76 :: v_dual_mov_b32 v3, v77
	;; [unrolled: 3-line block ×19, first 2 shown]
	ds_store_2addr_b64 v148, v[0:1], v[2:3] offset0:50 offset1:51
	v_dual_mov_b32 v0, v214 :: v_dual_mov_b32 v1, v215
	ds_store_2addr_b64 v148, v[0:1], v[216:217] offset0:52 offset1:53
	ds_load_b64 v[0:1], v139
	s_wait_dscnt 0x0
	v_cmp_neq_f32_e32 vcc_lo, 0, v0
	v_cmp_neq_f32_e64 s1, 0, v1
	s_or_b32 s1, vcc_lo, s1
	s_delay_alu instid0(SALU_CYCLE_1)
	s_and_b32 exec_lo, exec_lo, s1
	s_cbranch_execz .LBB107_107
; %bb.102:
	v_cmp_ngt_f32_e64 s1, |v0|, |v1|
                                        ; implicit-def: $vgpr2_vgpr3
	s_and_saveexec_b32 s4, s1
	s_delay_alu instid0(SALU_CYCLE_1)
	s_xor_b32 s1, exec_lo, s4
	s_cbranch_execz .LBB107_104
; %bb.103:
	v_div_scale_f32 v2, null, v1, v1, v0
	v_div_scale_f32 v5, vcc_lo, v0, v1, v0
	s_delay_alu instid0(VALU_DEP_2) | instskip(SKIP_1) | instid1(TRANS32_DEP_1)
	v_rcp_f32_e32 v3, v2
	v_nop
	v_fma_f32 v4, -v2, v3, 1.0
	s_delay_alu instid0(VALU_DEP_1) | instskip(NEXT) | instid1(VALU_DEP_1)
	v_fmac_f32_e32 v3, v4, v3
	v_mul_f32_e32 v4, v5, v3
	s_delay_alu instid0(VALU_DEP_1) | instskip(NEXT) | instid1(VALU_DEP_1)
	v_fma_f32 v6, -v2, v4, v5
	v_fmac_f32_e32 v4, v6, v3
	s_delay_alu instid0(VALU_DEP_1) | instskip(NEXT) | instid1(VALU_DEP_1)
	v_fma_f32 v2, -v2, v4, v5
	v_div_fmas_f32 v2, v2, v3, v4
	s_delay_alu instid0(VALU_DEP_1) | instskip(NEXT) | instid1(VALU_DEP_1)
	v_div_fixup_f32 v2, v2, v1, v0
	v_fmac_f32_e32 v1, v0, v2
	s_delay_alu instid0(VALU_DEP_1) | instskip(SKIP_1) | instid1(VALU_DEP_2)
	v_div_scale_f32 v0, null, v1, v1, 1.0
	v_div_scale_f32 v5, vcc_lo, 1.0, v1, 1.0
	v_rcp_f32_e32 v3, v0
	v_nop
	s_delay_alu instid0(TRANS32_DEP_1) | instskip(NEXT) | instid1(VALU_DEP_1)
	v_fma_f32 v4, -v0, v3, 1.0
	v_fmac_f32_e32 v3, v4, v3
	s_delay_alu instid0(VALU_DEP_1) | instskip(NEXT) | instid1(VALU_DEP_1)
	v_mul_f32_e32 v4, v5, v3
	v_fma_f32 v6, -v0, v4, v5
	s_delay_alu instid0(VALU_DEP_1) | instskip(NEXT) | instid1(VALU_DEP_1)
	v_fmac_f32_e32 v4, v6, v3
	v_fma_f32 v0, -v0, v4, v5
	s_delay_alu instid0(VALU_DEP_1) | instskip(NEXT) | instid1(VALU_DEP_1)
	v_div_fmas_f32 v0, v0, v3, v4
	v_div_fixup_f32 v0, v0, v1, 1.0
	s_delay_alu instid0(VALU_DEP_1)
	v_mul_f32_e32 v2, v2, v0
	v_xor_b32_e32 v3, 0x80000000, v0
                                        ; implicit-def: $vgpr0_vgpr1
.LBB107_104:
	s_and_not1_saveexec_b32 s1, s1
	s_cbranch_execz .LBB107_106
; %bb.105:
	v_div_scale_f32 v2, null, v0, v0, v1
	v_div_scale_f32 v5, vcc_lo, v1, v0, v1
	s_delay_alu instid0(VALU_DEP_2) | instskip(SKIP_1) | instid1(TRANS32_DEP_1)
	v_rcp_f32_e32 v3, v2
	v_nop
	v_fma_f32 v4, -v2, v3, 1.0
	s_delay_alu instid0(VALU_DEP_1) | instskip(NEXT) | instid1(VALU_DEP_1)
	v_fmac_f32_e32 v3, v4, v3
	v_mul_f32_e32 v4, v5, v3
	s_delay_alu instid0(VALU_DEP_1) | instskip(NEXT) | instid1(VALU_DEP_1)
	v_fma_f32 v6, -v2, v4, v5
	v_fmac_f32_e32 v4, v6, v3
	s_delay_alu instid0(VALU_DEP_1) | instskip(NEXT) | instid1(VALU_DEP_1)
	v_fma_f32 v2, -v2, v4, v5
	v_div_fmas_f32 v2, v2, v3, v4
	s_delay_alu instid0(VALU_DEP_1) | instskip(NEXT) | instid1(VALU_DEP_1)
	v_div_fixup_f32 v3, v2, v0, v1
	v_fmac_f32_e32 v0, v1, v3
	s_delay_alu instid0(VALU_DEP_1) | instskip(NEXT) | instid1(VALU_DEP_1)
	v_div_scale_f32 v1, null, v0, v0, 1.0
	v_rcp_f32_e32 v2, v1
	v_nop
	s_delay_alu instid0(TRANS32_DEP_1) | instskip(NEXT) | instid1(VALU_DEP_1)
	v_fma_f32 v4, -v1, v2, 1.0
	v_fmac_f32_e32 v2, v4, v2
	v_div_scale_f32 v4, vcc_lo, 1.0, v0, 1.0
	s_delay_alu instid0(VALU_DEP_1) | instskip(NEXT) | instid1(VALU_DEP_1)
	v_mul_f32_e32 v5, v4, v2
	v_fma_f32 v6, -v1, v5, v4
	s_delay_alu instid0(VALU_DEP_1) | instskip(NEXT) | instid1(VALU_DEP_1)
	v_fmac_f32_e32 v5, v6, v2
	v_fma_f32 v1, -v1, v5, v4
	s_delay_alu instid0(VALU_DEP_1) | instskip(NEXT) | instid1(VALU_DEP_1)
	v_div_fmas_f32 v1, v1, v2, v5
	v_div_fixup_f32 v2, v1, v0, 1.0
	s_delay_alu instid0(VALU_DEP_1)
	v_mul_f32_e64 v3, v3, -v2
.LBB107_106:
	s_or_b32 exec_lo, exec_lo, s1
	ds_store_b64 v139, v[2:3]
.LBB107_107:
	s_or_b32 exec_lo, exec_lo, s2
	s_wait_dscnt 0x0
	s_barrier_signal -1
	s_barrier_wait -1
	ds_load_b64 v[0:1], v139
	s_mov_b32 s1, exec_lo
	s_wait_dscnt 0x0
	scratch_store_b64 off, v[0:1], off offset:256 ; 8-byte Folded Spill
	s_wait_xcnt 0x0
	v_cmpx_lt_u32_e32 11, v138
	s_cbranch_execz .LBB107_109
; %bb.108:
	scratch_load_b64 v[4:5], off, off offset:256 ; 8-byte Folded Reload
	s_wait_loadcnt 0x0
	v_pk_mul_f32 v[2:3], v[4:5], v[34:35] op_sel:[1,1] op_sel_hi:[0,1]
	s_delay_alu instid0(VALU_DEP_1)
	v_pk_fma_f32 v[0:1], v[4:5], v[34:35], v[2:3] op_sel_hi:[1,0,1] neg_lo:[0,0,1] neg_hi:[0,0,1]
	v_pk_fma_f32 v[2:3], v[4:5], v[34:35], v[2:3] op_sel_hi:[1,0,1]
	ds_load_2addr_b64 v[4:7], v148 offset0:12 offset1:13
	v_dual_mov_b32 v34, v0 :: v_dual_mov_b32 v35, v3
	s_wait_dscnt 0x0
	v_pk_mul_f32 v[8:9], v[4:5], v[2:3] op_sel:[0,1]
	s_delay_alu instid0(VALU_DEP_1) | instskip(SKIP_1) | instid1(VALU_DEP_1)
	v_pk_fma_f32 v[10:11], v[4:5], v[0:1], v[8:9] op_sel:[0,0,1] op_sel_hi:[1,1,0] neg_lo:[0,0,1] neg_hi:[0,0,1]
	v_pk_fma_f32 v[4:5], v[4:5], v[0:1], v[8:9] op_sel:[0,0,1] op_sel_hi:[1,0,0]
	v_mov_b32_e32 v11, v5
	v_pk_mul_f32 v[4:5], v[6:7], v[2:3] op_sel:[0,1]
	s_delay_alu instid0(VALU_DEP_1) | instskip(SKIP_1) | instid1(VALU_DEP_1)
	v_pk_fma_f32 v[8:9], v[6:7], v[0:1], v[4:5] op_sel:[0,0,1] op_sel_hi:[1,1,0] neg_lo:[0,0,1] neg_hi:[0,0,1]
	v_pk_fma_f32 v[4:5], v[6:7], v[0:1], v[4:5] op_sel:[0,0,1] op_sel_hi:[1,0,0]
	v_mov_b32_e32 v9, v5
	ds_load_2addr_b64 v[4:7], v148 offset0:14 offset1:15
	v_pk_add_f32 v[64:65], v[64:65], v[10:11] neg_lo:[0,1] neg_hi:[0,1]
	v_pk_add_f32 v[60:61], v[60:61], v[8:9] neg_lo:[0,1] neg_hi:[0,1]
	s_wait_dscnt 0x0
	v_pk_mul_f32 v[8:9], v[4:5], v[2:3] op_sel:[0,1]
	s_delay_alu instid0(VALU_DEP_1) | instskip(SKIP_2) | instid1(VALU_DEP_2)
	v_pk_fma_f32 v[10:11], v[4:5], v[0:1], v[8:9] op_sel:[0,0,1] op_sel_hi:[1,1,0] neg_lo:[0,0,1] neg_hi:[0,0,1]
	v_pk_fma_f32 v[4:5], v[4:5], v[0:1], v[8:9] op_sel:[0,0,1] op_sel_hi:[1,0,0]
	v_dual_mul_f32 v8, v7, v3 :: v_dual_mov_b32 v4, v7
	v_dual_mov_b32 v11, v5 :: v_dual_mov_b32 v5, v6
	s_delay_alu instid0(VALU_DEP_2) | instskip(SKIP_1) | instid1(VALU_DEP_3)
	v_pk_fma_f32 v[8:9], v[6:7], v[34:35], v[8:9] op_sel_hi:[1,1,0] neg_lo:[0,0,1] neg_hi:[0,0,1]
	v_mul_f32_e32 v6, v7, v0
	v_pk_add_f32 v[62:63], v[62:63], v[10:11] neg_lo:[0,1] neg_hi:[0,1]
	s_delay_alu instid0(VALU_DEP_2) | instskip(NEXT) | instid1(VALU_DEP_1)
	v_pk_fma_f32 v[4:5], v[4:5], v[34:35], v[6:7] op_sel_hi:[1,1,0]
	v_mov_b32_e32 v9, v5
	ds_load_2addr_b64 v[4:7], v148 offset0:16 offset1:17
	v_pk_add_f32 v[58:59], v[58:59], v[8:9] neg_lo:[0,1] neg_hi:[0,1]
	s_wait_dscnt 0x0
	v_pk_mul_f32 v[8:9], v[4:5], v[2:3] op_sel:[0,1]
	s_delay_alu instid0(VALU_DEP_1) | instskip(SKIP_1) | instid1(VALU_DEP_1)
	v_pk_fma_f32 v[10:11], v[4:5], v[0:1], v[8:9] op_sel:[0,0,1] op_sel_hi:[1,1,0] neg_lo:[0,0,1] neg_hi:[0,0,1]
	v_pk_fma_f32 v[4:5], v[4:5], v[0:1], v[8:9] op_sel:[0,0,1] op_sel_hi:[1,0,0]
	v_mov_b32_e32 v11, v5
	v_pk_mul_f32 v[4:5], v[6:7], v[2:3] op_sel:[0,1]
	s_delay_alu instid0(VALU_DEP_1) | instskip(SKIP_1) | instid1(VALU_DEP_1)
	v_pk_fma_f32 v[8:9], v[6:7], v[0:1], v[4:5] op_sel:[0,0,1] op_sel_hi:[1,1,0] neg_lo:[0,0,1] neg_hi:[0,0,1]
	v_pk_fma_f32 v[4:5], v[6:7], v[0:1], v[4:5] op_sel:[0,0,1] op_sel_hi:[1,0,0]
	v_mov_b32_e32 v9, v5
	ds_load_2addr_b64 v[4:7], v148 offset0:18 offset1:19
	v_pk_add_f32 v[80:81], v[80:81], v[10:11] neg_lo:[0,1] neg_hi:[0,1]
	v_pk_add_f32 v[76:77], v[76:77], v[8:9] neg_lo:[0,1] neg_hi:[0,1]
	s_wait_dscnt 0x0
	v_pk_mul_f32 v[8:9], v[4:5], v[2:3] op_sel:[0,1]
	s_delay_alu instid0(VALU_DEP_1) | instskip(SKIP_1) | instid1(VALU_DEP_1)
	v_pk_fma_f32 v[10:11], v[4:5], v[0:1], v[8:9] op_sel:[0,0,1] op_sel_hi:[1,1,0] neg_lo:[0,0,1] neg_hi:[0,0,1]
	v_pk_fma_f32 v[4:5], v[4:5], v[0:1], v[8:9] op_sel:[0,0,1] op_sel_hi:[1,0,0]
	v_mov_b32_e32 v11, v5
	v_pk_mul_f32 v[4:5], v[6:7], v[2:3] op_sel:[0,1]
	s_delay_alu instid0(VALU_DEP_1) | instskip(SKIP_1) | instid1(VALU_DEP_1)
	v_pk_fma_f32 v[8:9], v[6:7], v[0:1], v[4:5] op_sel:[0,0,1] op_sel_hi:[1,1,0] neg_lo:[0,0,1] neg_hi:[0,0,1]
	v_pk_fma_f32 v[4:5], v[6:7], v[0:1], v[4:5] op_sel:[0,0,1] op_sel_hi:[1,0,0]
	v_mov_b32_e32 v9, v5
	ds_load_2addr_b64 v[4:7], v148 offset0:20 offset1:21
	v_pk_add_f32 v[78:79], v[78:79], v[10:11] neg_lo:[0,1] neg_hi:[0,1]
	v_pk_add_f32 v[74:75], v[74:75], v[8:9] neg_lo:[0,1] neg_hi:[0,1]
	s_wait_dscnt 0x0
	v_dual_mul_f32 v8, v5, v3 :: v_dual_mul_f32 v10, v5, v0
	s_delay_alu instid0(VALU_DEP_1) | instskip(NEXT) | instid1(VALU_DEP_2)
	v_pk_fma_f32 v[8:9], v[4:5], v[34:35], v[8:9] op_sel_hi:[1,1,0] neg_lo:[0,0,1] neg_hi:[0,0,1]
	v_pk_fma_f32 v[4:5], v[4:5], v[34:35], v[10:11] op_sel:[1,0,0] op_sel_hi:[0,1,0]
	s_delay_alu instid0(VALU_DEP_1) | instskip(SKIP_1) | instid1(VALU_DEP_2)
	v_mov_b32_e32 v9, v5
	v_pk_mul_f32 v[4:5], v[6:7], v[2:3] op_sel:[0,1]
	v_pk_add_f32 v[96:97], v[96:97], v[8:9] neg_lo:[0,1] neg_hi:[0,1]
	s_delay_alu instid0(VALU_DEP_2) | instskip(SKIP_1) | instid1(VALU_DEP_1)
	v_pk_fma_f32 v[8:9], v[6:7], v[0:1], v[4:5] op_sel:[0,0,1] op_sel_hi:[1,1,0] neg_lo:[0,0,1] neg_hi:[0,0,1]
	v_pk_fma_f32 v[4:5], v[6:7], v[0:1], v[4:5] op_sel:[0,0,1] op_sel_hi:[1,0,0]
	v_mov_b32_e32 v9, v5
	ds_load_2addr_b64 v[4:7], v148 offset0:22 offset1:23
	v_pk_add_f32 v[92:93], v[92:93], v[8:9] neg_lo:[0,1] neg_hi:[0,1]
	s_wait_dscnt 0x0
	v_pk_mul_f32 v[8:9], v[4:5], v[2:3] op_sel:[0,1]
	s_delay_alu instid0(VALU_DEP_1) | instskip(SKIP_1) | instid1(VALU_DEP_1)
	v_pk_fma_f32 v[10:11], v[4:5], v[0:1], v[8:9] op_sel:[0,0,1] op_sel_hi:[1,1,0] neg_lo:[0,0,1] neg_hi:[0,0,1]
	v_pk_fma_f32 v[4:5], v[4:5], v[0:1], v[8:9] op_sel:[0,0,1] op_sel_hi:[1,0,0]
	v_mov_b32_e32 v11, v5
	v_pk_mul_f32 v[4:5], v[6:7], v[2:3] op_sel:[0,1]
	s_delay_alu instid0(VALU_DEP_2) | instskip(NEXT) | instid1(VALU_DEP_2)
	v_pk_add_f32 v[94:95], v[94:95], v[10:11] neg_lo:[0,1] neg_hi:[0,1]
	v_pk_fma_f32 v[8:9], v[6:7], v[0:1], v[4:5] op_sel:[0,0,1] op_sel_hi:[1,1,0] neg_lo:[0,0,1] neg_hi:[0,0,1]
	v_pk_fma_f32 v[4:5], v[6:7], v[0:1], v[4:5] op_sel:[0,0,1] op_sel_hi:[1,0,0]
	s_delay_alu instid0(VALU_DEP_1) | instskip(SKIP_4) | instid1(VALU_DEP_1)
	v_mov_b32_e32 v9, v5
	ds_load_2addr_b64 v[4:7], v148 offset0:24 offset1:25
	v_pk_add_f32 v[90:91], v[90:91], v[8:9] neg_lo:[0,1] neg_hi:[0,1]
	s_wait_dscnt 0x0
	v_pk_mul_f32 v[8:9], v[4:5], v[2:3] op_sel:[0,1]
	v_pk_fma_f32 v[10:11], v[4:5], v[0:1], v[8:9] op_sel:[0,0,1] op_sel_hi:[1,1,0] neg_lo:[0,0,1] neg_hi:[0,0,1]
	v_pk_fma_f32 v[4:5], v[4:5], v[0:1], v[8:9] op_sel:[0,0,1] op_sel_hi:[1,0,0]
	v_dual_mul_f32 v8, v7, v3 :: v_dual_mov_b32 v4, v7
	s_delay_alu instid0(VALU_DEP_2) | instskip(NEXT) | instid1(VALU_DEP_2)
	v_dual_mov_b32 v11, v5 :: v_dual_mov_b32 v5, v6
	v_pk_fma_f32 v[8:9], v[6:7], v[34:35], v[8:9] op_sel_hi:[1,1,0] neg_lo:[0,0,1] neg_hi:[0,0,1]
	v_mul_f32_e32 v6, v7, v0
	s_delay_alu instid0(VALU_DEP_3) | instskip(NEXT) | instid1(VALU_DEP_2)
	v_pk_add_f32 v[112:113], v[112:113], v[10:11] neg_lo:[0,1] neg_hi:[0,1]
	v_pk_fma_f32 v[4:5], v[4:5], v[34:35], v[6:7] op_sel_hi:[1,1,0]
	s_delay_alu instid0(VALU_DEP_1) | instskip(SKIP_4) | instid1(VALU_DEP_1)
	v_mov_b32_e32 v9, v5
	ds_load_2addr_b64 v[4:7], v148 offset0:26 offset1:27
	v_pk_add_f32 v[108:109], v[108:109], v[8:9] neg_lo:[0,1] neg_hi:[0,1]
	s_wait_dscnt 0x0
	v_pk_mul_f32 v[8:9], v[4:5], v[2:3] op_sel:[0,1]
	v_pk_fma_f32 v[10:11], v[4:5], v[0:1], v[8:9] op_sel:[0,0,1] op_sel_hi:[1,1,0] neg_lo:[0,0,1] neg_hi:[0,0,1]
	v_pk_fma_f32 v[4:5], v[4:5], v[0:1], v[8:9] op_sel:[0,0,1] op_sel_hi:[1,0,0]
	s_delay_alu instid0(VALU_DEP_1) | instskip(SKIP_1) | instid1(VALU_DEP_1)
	v_mov_b32_e32 v11, v5
	v_pk_mul_f32 v[4:5], v[6:7], v[2:3] op_sel:[0,1]
	v_pk_fma_f32 v[8:9], v[6:7], v[0:1], v[4:5] op_sel:[0,0,1] op_sel_hi:[1,1,0] neg_lo:[0,0,1] neg_hi:[0,0,1]
	v_pk_fma_f32 v[4:5], v[6:7], v[0:1], v[4:5] op_sel:[0,0,1] op_sel_hi:[1,0,0]
	s_delay_alu instid0(VALU_DEP_1)
	v_mov_b32_e32 v9, v5
	ds_load_2addr_b64 v[4:7], v148 offset0:28 offset1:29
	v_pk_add_f32 v[110:111], v[110:111], v[10:11] neg_lo:[0,1] neg_hi:[0,1]
	v_pk_add_f32 v[106:107], v[106:107], v[8:9] neg_lo:[0,1] neg_hi:[0,1]
	s_wait_dscnt 0x0
	v_pk_mul_f32 v[8:9], v[4:5], v[2:3] op_sel:[0,1]
	s_delay_alu instid0(VALU_DEP_1) | instskip(SKIP_1) | instid1(VALU_DEP_1)
	v_pk_fma_f32 v[10:11], v[4:5], v[0:1], v[8:9] op_sel:[0,0,1] op_sel_hi:[1,1,0] neg_lo:[0,0,1] neg_hi:[0,0,1]
	v_pk_fma_f32 v[4:5], v[4:5], v[0:1], v[8:9] op_sel:[0,0,1] op_sel_hi:[1,0,0]
	v_mov_b32_e32 v11, v5
	v_pk_mul_f32 v[4:5], v[6:7], v[2:3] op_sel:[0,1]
	s_delay_alu instid0(VALU_DEP_1) | instskip(SKIP_1) | instid1(VALU_DEP_1)
	v_pk_fma_f32 v[8:9], v[6:7], v[0:1], v[4:5] op_sel:[0,0,1] op_sel_hi:[1,1,0] neg_lo:[0,0,1] neg_hi:[0,0,1]
	v_pk_fma_f32 v[4:5], v[6:7], v[0:1], v[4:5] op_sel:[0,0,1] op_sel_hi:[1,0,0]
	v_mov_b32_e32 v9, v5
	ds_load_2addr_b64 v[4:7], v148 offset0:30 offset1:31
	v_pk_add_f32 v[130:131], v[130:131], v[10:11] neg_lo:[0,1] neg_hi:[0,1]
	v_pk_add_f32 v[126:127], v[126:127], v[8:9] neg_lo:[0,1] neg_hi:[0,1]
	s_wait_dscnt 0x0
	v_dual_mul_f32 v8, v5, v3 :: v_dual_mul_f32 v10, v5, v0
	s_delay_alu instid0(VALU_DEP_1) | instskip(NEXT) | instid1(VALU_DEP_2)
	v_pk_fma_f32 v[8:9], v[4:5], v[34:35], v[8:9] op_sel_hi:[1,1,0] neg_lo:[0,0,1] neg_hi:[0,0,1]
	v_pk_fma_f32 v[4:5], v[4:5], v[34:35], v[10:11] op_sel:[1,0,0] op_sel_hi:[0,1,0]
	s_delay_alu instid0(VALU_DEP_1) | instskip(SKIP_1) | instid1(VALU_DEP_2)
	v_mov_b32_e32 v9, v5
	v_pk_mul_f32 v[4:5], v[6:7], v[2:3] op_sel:[0,1]
	v_pk_add_f32 v[128:129], v[128:129], v[8:9] neg_lo:[0,1] neg_hi:[0,1]
	s_delay_alu instid0(VALU_DEP_2) | instskip(SKIP_1) | instid1(VALU_DEP_1)
	v_pk_fma_f32 v[8:9], v[6:7], v[0:1], v[4:5] op_sel:[0,0,1] op_sel_hi:[1,1,0] neg_lo:[0,0,1] neg_hi:[0,0,1]
	v_pk_fma_f32 v[4:5], v[6:7], v[0:1], v[4:5] op_sel:[0,0,1] op_sel_hi:[1,0,0]
	v_mov_b32_e32 v9, v5
	ds_load_2addr_b64 v[4:7], v148 offset0:32 offset1:33
	v_pk_add_f32 v[124:125], v[124:125], v[8:9] neg_lo:[0,1] neg_hi:[0,1]
	s_wait_dscnt 0x0
	v_pk_mul_f32 v[8:9], v[4:5], v[2:3] op_sel:[0,1]
	s_delay_alu instid0(VALU_DEP_1) | instskip(SKIP_1) | instid1(VALU_DEP_1)
	v_pk_fma_f32 v[10:11], v[4:5], v[0:1], v[8:9] op_sel:[0,0,1] op_sel_hi:[1,1,0] neg_lo:[0,0,1] neg_hi:[0,0,1]
	v_pk_fma_f32 v[4:5], v[4:5], v[0:1], v[8:9] op_sel:[0,0,1] op_sel_hi:[1,0,0]
	v_mov_b32_e32 v11, v5
	v_pk_mul_f32 v[4:5], v[6:7], v[2:3] op_sel:[0,1]
	s_delay_alu instid0(VALU_DEP_2) | instskip(NEXT) | instid1(VALU_DEP_2)
	v_pk_add_f32 v[146:147], v[146:147], v[10:11] neg_lo:[0,1] neg_hi:[0,1]
	v_pk_fma_f32 v[8:9], v[6:7], v[0:1], v[4:5] op_sel:[0,0,1] op_sel_hi:[1,1,0] neg_lo:[0,0,1] neg_hi:[0,0,1]
	v_pk_fma_f32 v[4:5], v[6:7], v[0:1], v[4:5] op_sel:[0,0,1] op_sel_hi:[1,0,0]
	s_delay_alu instid0(VALU_DEP_1) | instskip(SKIP_4) | instid1(VALU_DEP_1)
	v_mov_b32_e32 v9, v5
	ds_load_2addr_b64 v[4:7], v148 offset0:34 offset1:35
	v_pk_add_f32 v[142:143], v[142:143], v[8:9] neg_lo:[0,1] neg_hi:[0,1]
	s_wait_dscnt 0x0
	v_pk_mul_f32 v[8:9], v[4:5], v[2:3] op_sel:[0,1]
	v_pk_fma_f32 v[10:11], v[4:5], v[0:1], v[8:9] op_sel:[0,0,1] op_sel_hi:[1,1,0] neg_lo:[0,0,1] neg_hi:[0,0,1]
	v_pk_fma_f32 v[4:5], v[4:5], v[0:1], v[8:9] op_sel:[0,0,1] op_sel_hi:[1,0,0]
	v_dual_mul_f32 v8, v7, v3 :: v_dual_mov_b32 v4, v7
	s_delay_alu instid0(VALU_DEP_2) | instskip(NEXT) | instid1(VALU_DEP_2)
	v_dual_mov_b32 v11, v5 :: v_dual_mov_b32 v5, v6
	v_pk_fma_f32 v[8:9], v[6:7], v[34:35], v[8:9] op_sel_hi:[1,1,0] neg_lo:[0,0,1] neg_hi:[0,0,1]
	v_mul_f32_e32 v6, v7, v0
	s_delay_alu instid0(VALU_DEP_3) | instskip(NEXT) | instid1(VALU_DEP_2)
	v_pk_add_f32 v[144:145], v[144:145], v[10:11] neg_lo:[0,1] neg_hi:[0,1]
	v_pk_fma_f32 v[4:5], v[4:5], v[34:35], v[6:7] op_sel_hi:[1,1,0]
	s_delay_alu instid0(VALU_DEP_1) | instskip(SKIP_4) | instid1(VALU_DEP_1)
	v_mov_b32_e32 v9, v5
	ds_load_2addr_b64 v[4:7], v148 offset0:36 offset1:37
	v_pk_add_f32 v[140:141], v[140:141], v[8:9] neg_lo:[0,1] neg_hi:[0,1]
	s_wait_dscnt 0x0
	v_pk_mul_f32 v[8:9], v[4:5], v[2:3] op_sel:[0,1]
	v_pk_fma_f32 v[10:11], v[4:5], v[0:1], v[8:9] op_sel:[0,0,1] op_sel_hi:[1,1,0] neg_lo:[0,0,1] neg_hi:[0,0,1]
	v_pk_fma_f32 v[4:5], v[4:5], v[0:1], v[8:9] op_sel:[0,0,1] op_sel_hi:[1,0,0]
	s_delay_alu instid0(VALU_DEP_1) | instskip(SKIP_1) | instid1(VALU_DEP_1)
	v_mov_b32_e32 v11, v5
	v_pk_mul_f32 v[4:5], v[6:7], v[2:3] op_sel:[0,1]
	v_pk_fma_f32 v[8:9], v[6:7], v[0:1], v[4:5] op_sel:[0,0,1] op_sel_hi:[1,1,0] neg_lo:[0,0,1] neg_hi:[0,0,1]
	v_pk_fma_f32 v[4:5], v[6:7], v[0:1], v[4:5] op_sel:[0,0,1] op_sel_hi:[1,0,0]
	s_delay_alu instid0(VALU_DEP_1)
	v_mov_b32_e32 v9, v5
	ds_load_2addr_b64 v[4:7], v148 offset0:38 offset1:39
	v_pk_add_f32 v[162:163], v[162:163], v[10:11] neg_lo:[0,1] neg_hi:[0,1]
	v_pk_add_f32 v[158:159], v[158:159], v[8:9] neg_lo:[0,1] neg_hi:[0,1]
	s_wait_dscnt 0x0
	v_pk_mul_f32 v[8:9], v[4:5], v[2:3] op_sel:[0,1]
	s_delay_alu instid0(VALU_DEP_1) | instskip(SKIP_1) | instid1(VALU_DEP_1)
	v_pk_fma_f32 v[10:11], v[4:5], v[0:1], v[8:9] op_sel:[0,0,1] op_sel_hi:[1,1,0] neg_lo:[0,0,1] neg_hi:[0,0,1]
	v_pk_fma_f32 v[4:5], v[4:5], v[0:1], v[8:9] op_sel:[0,0,1] op_sel_hi:[1,0,0]
	v_mov_b32_e32 v11, v5
	v_pk_mul_f32 v[4:5], v[6:7], v[2:3] op_sel:[0,1]
	s_delay_alu instid0(VALU_DEP_1) | instskip(SKIP_1) | instid1(VALU_DEP_1)
	v_pk_fma_f32 v[8:9], v[6:7], v[0:1], v[4:5] op_sel:[0,0,1] op_sel_hi:[1,1,0] neg_lo:[0,0,1] neg_hi:[0,0,1]
	v_pk_fma_f32 v[4:5], v[6:7], v[0:1], v[4:5] op_sel:[0,0,1] op_sel_hi:[1,0,0]
	v_mov_b32_e32 v9, v5
	ds_load_2addr_b64 v[4:7], v148 offset0:40 offset1:41
	v_pk_add_f32 v[160:161], v[160:161], v[10:11] neg_lo:[0,1] neg_hi:[0,1]
	v_pk_add_f32 v[156:157], v[156:157], v[8:9] neg_lo:[0,1] neg_hi:[0,1]
	s_wait_dscnt 0x0
	v_dual_mul_f32 v8, v5, v3 :: v_dual_mul_f32 v10, v5, v0
	s_delay_alu instid0(VALU_DEP_1) | instskip(NEXT) | instid1(VALU_DEP_2)
	v_pk_fma_f32 v[8:9], v[4:5], v[34:35], v[8:9] op_sel_hi:[1,1,0] neg_lo:[0,0,1] neg_hi:[0,0,1]
	v_pk_fma_f32 v[4:5], v[4:5], v[34:35], v[10:11] op_sel:[1,0,0] op_sel_hi:[0,1,0]
	s_delay_alu instid0(VALU_DEP_1) | instskip(SKIP_1) | instid1(VALU_DEP_2)
	v_mov_b32_e32 v9, v5
	v_pk_mul_f32 v[4:5], v[6:7], v[2:3] op_sel:[0,1]
	v_pk_add_f32 v[178:179], v[178:179], v[8:9] neg_lo:[0,1] neg_hi:[0,1]
	s_delay_alu instid0(VALU_DEP_2) | instskip(SKIP_1) | instid1(VALU_DEP_1)
	v_pk_fma_f32 v[8:9], v[6:7], v[0:1], v[4:5] op_sel:[0,0,1] op_sel_hi:[1,1,0] neg_lo:[0,0,1] neg_hi:[0,0,1]
	v_pk_fma_f32 v[4:5], v[6:7], v[0:1], v[4:5] op_sel:[0,0,1] op_sel_hi:[1,0,0]
	v_mov_b32_e32 v9, v5
	ds_load_2addr_b64 v[4:7], v148 offset0:42 offset1:43
	v_pk_add_f32 v[174:175], v[174:175], v[8:9] neg_lo:[0,1] neg_hi:[0,1]
	s_wait_dscnt 0x0
	v_pk_mul_f32 v[8:9], v[4:5], v[2:3] op_sel:[0,1]
	s_delay_alu instid0(VALU_DEP_1) | instskip(SKIP_1) | instid1(VALU_DEP_1)
	v_pk_fma_f32 v[10:11], v[4:5], v[0:1], v[8:9] op_sel:[0,0,1] op_sel_hi:[1,1,0] neg_lo:[0,0,1] neg_hi:[0,0,1]
	v_pk_fma_f32 v[4:5], v[4:5], v[0:1], v[8:9] op_sel:[0,0,1] op_sel_hi:[1,0,0]
	v_mov_b32_e32 v11, v5
	v_pk_mul_f32 v[4:5], v[6:7], v[2:3] op_sel:[0,1]
	s_delay_alu instid0(VALU_DEP_2) | instskip(NEXT) | instid1(VALU_DEP_2)
	v_pk_add_f32 v[176:177], v[176:177], v[10:11] neg_lo:[0,1] neg_hi:[0,1]
	v_pk_fma_f32 v[8:9], v[6:7], v[0:1], v[4:5] op_sel:[0,0,1] op_sel_hi:[1,1,0] neg_lo:[0,0,1] neg_hi:[0,0,1]
	v_pk_fma_f32 v[4:5], v[6:7], v[0:1], v[4:5] op_sel:[0,0,1] op_sel_hi:[1,0,0]
	s_delay_alu instid0(VALU_DEP_1) | instskip(SKIP_4) | instid1(VALU_DEP_1)
	v_mov_b32_e32 v9, v5
	ds_load_2addr_b64 v[4:7], v148 offset0:44 offset1:45
	v_pk_add_f32 v[172:173], v[172:173], v[8:9] neg_lo:[0,1] neg_hi:[0,1]
	s_wait_dscnt 0x0
	v_pk_mul_f32 v[8:9], v[4:5], v[2:3] op_sel:[0,1]
	v_pk_fma_f32 v[10:11], v[4:5], v[0:1], v[8:9] op_sel:[0,0,1] op_sel_hi:[1,1,0] neg_lo:[0,0,1] neg_hi:[0,0,1]
	v_pk_fma_f32 v[4:5], v[4:5], v[0:1], v[8:9] op_sel:[0,0,1] op_sel_hi:[1,0,0]
	v_dual_mul_f32 v8, v7, v3 :: v_dual_mov_b32 v4, v7
	s_delay_alu instid0(VALU_DEP_2) | instskip(NEXT) | instid1(VALU_DEP_2)
	v_dual_mov_b32 v11, v5 :: v_dual_mov_b32 v5, v6
	v_pk_fma_f32 v[8:9], v[6:7], v[34:35], v[8:9] op_sel_hi:[1,1,0] neg_lo:[0,0,1] neg_hi:[0,0,1]
	v_mul_f32_e32 v6, v7, v0
	s_delay_alu instid0(VALU_DEP_3) | instskip(NEXT) | instid1(VALU_DEP_2)
	v_pk_add_f32 v[196:197], v[196:197], v[10:11] neg_lo:[0,1] neg_hi:[0,1]
	v_pk_fma_f32 v[4:5], v[4:5], v[34:35], v[6:7] op_sel_hi:[1,1,0]
	s_delay_alu instid0(VALU_DEP_1) | instskip(SKIP_4) | instid1(VALU_DEP_1)
	v_mov_b32_e32 v9, v5
	ds_load_2addr_b64 v[4:7], v148 offset0:46 offset1:47
	v_pk_add_f32 v[192:193], v[192:193], v[8:9] neg_lo:[0,1] neg_hi:[0,1]
	s_wait_dscnt 0x0
	v_pk_mul_f32 v[8:9], v[4:5], v[2:3] op_sel:[0,1]
	v_pk_fma_f32 v[10:11], v[4:5], v[0:1], v[8:9] op_sel:[0,0,1] op_sel_hi:[1,1,0] neg_lo:[0,0,1] neg_hi:[0,0,1]
	v_pk_fma_f32 v[4:5], v[4:5], v[0:1], v[8:9] op_sel:[0,0,1] op_sel_hi:[1,0,0]
	s_delay_alu instid0(VALU_DEP_1) | instskip(SKIP_1) | instid1(VALU_DEP_1)
	v_mov_b32_e32 v11, v5
	v_pk_mul_f32 v[4:5], v[6:7], v[2:3] op_sel:[0,1]
	v_pk_fma_f32 v[8:9], v[6:7], v[0:1], v[4:5] op_sel:[0,0,1] op_sel_hi:[1,1,0] neg_lo:[0,0,1] neg_hi:[0,0,1]
	v_pk_fma_f32 v[4:5], v[6:7], v[0:1], v[4:5] op_sel:[0,0,1] op_sel_hi:[1,0,0]
	s_delay_alu instid0(VALU_DEP_1)
	v_mov_b32_e32 v9, v5
	ds_load_2addr_b64 v[4:7], v148 offset0:48 offset1:49
	v_pk_add_f32 v[194:195], v[194:195], v[10:11] neg_lo:[0,1] neg_hi:[0,1]
	v_pk_add_f32 v[190:191], v[190:191], v[8:9] neg_lo:[0,1] neg_hi:[0,1]
	s_wait_dscnt 0x0
	v_pk_mul_f32 v[8:9], v[4:5], v[2:3] op_sel:[0,1]
	s_delay_alu instid0(VALU_DEP_1) | instskip(SKIP_1) | instid1(VALU_DEP_1)
	v_pk_fma_f32 v[10:11], v[4:5], v[0:1], v[8:9] op_sel:[0,0,1] op_sel_hi:[1,1,0] neg_lo:[0,0,1] neg_hi:[0,0,1]
	v_pk_fma_f32 v[4:5], v[4:5], v[0:1], v[8:9] op_sel:[0,0,1] op_sel_hi:[1,0,0]
	v_mov_b32_e32 v11, v5
	v_pk_mul_f32 v[4:5], v[6:7], v[2:3] op_sel:[0,1]
	s_delay_alu instid0(VALU_DEP_1) | instskip(SKIP_1) | instid1(VALU_DEP_1)
	v_pk_fma_f32 v[8:9], v[6:7], v[0:1], v[4:5] op_sel:[0,0,1] op_sel_hi:[1,1,0] neg_lo:[0,0,1] neg_hi:[0,0,1]
	v_pk_fma_f32 v[4:5], v[6:7], v[0:1], v[4:5] op_sel:[0,0,1] op_sel_hi:[1,0,0]
	v_mov_b32_e32 v9, v5
	ds_load_2addr_b64 v[4:7], v148 offset0:50 offset1:51
	v_pk_add_f32 v[212:213], v[212:213], v[10:11] neg_lo:[0,1] neg_hi:[0,1]
	v_pk_add_f32 v[208:209], v[208:209], v[8:9] neg_lo:[0,1] neg_hi:[0,1]
	s_wait_dscnt 0x0
	v_dual_mul_f32 v8, v5, v3 :: v_dual_mul_f32 v10, v5, v0
	s_delay_alu instid0(VALU_DEP_1) | instskip(NEXT) | instid1(VALU_DEP_2)
	v_pk_fma_f32 v[8:9], v[4:5], v[34:35], v[8:9] op_sel_hi:[1,1,0] neg_lo:[0,0,1] neg_hi:[0,0,1]
	v_pk_fma_f32 v[4:5], v[4:5], v[34:35], v[10:11] op_sel:[1,0,0] op_sel_hi:[0,1,0]
	s_delay_alu instid0(VALU_DEP_1) | instskip(SKIP_1) | instid1(VALU_DEP_2)
	v_mov_b32_e32 v9, v5
	v_pk_mul_f32 v[4:5], v[6:7], v[2:3] op_sel:[0,1]
	v_pk_add_f32 v[210:211], v[210:211], v[8:9] neg_lo:[0,1] neg_hi:[0,1]
	s_delay_alu instid0(VALU_DEP_2) | instskip(SKIP_1) | instid1(VALU_DEP_1)
	v_pk_fma_f32 v[8:9], v[6:7], v[0:1], v[4:5] op_sel:[0,0,1] op_sel_hi:[1,1,0] neg_lo:[0,0,1] neg_hi:[0,0,1]
	v_pk_fma_f32 v[4:5], v[6:7], v[0:1], v[4:5] op_sel:[0,0,1] op_sel_hi:[1,0,0]
	v_mov_b32_e32 v9, v5
	ds_load_2addr_b64 v[4:7], v148 offset0:52 offset1:53
	v_pk_add_f32 v[206:207], v[206:207], v[8:9] neg_lo:[0,1] neg_hi:[0,1]
	s_wait_dscnt 0x0
	v_pk_mul_f32 v[8:9], v[4:5], v[2:3] op_sel:[0,1]
	v_mul_f32_e32 v2, v7, v3
	s_delay_alu instid0(VALU_DEP_2) | instskip(SKIP_2) | instid1(VALU_DEP_4)
	v_pk_fma_f32 v[10:11], v[4:5], v[0:1], v[8:9] op_sel:[0,0,1] op_sel_hi:[1,1,0] neg_lo:[0,0,1] neg_hi:[0,0,1]
	v_pk_fma_f32 v[4:5], v[4:5], v[0:1], v[8:9] op_sel:[0,0,1] op_sel_hi:[1,0,0]
	v_dual_mov_b32 v4, v7 :: v_dual_mul_f32 v0, v7, v0
	v_pk_fma_f32 v[2:3], v[6:7], v[34:35], v[2:3] op_sel_hi:[1,1,0] neg_lo:[0,0,1] neg_hi:[0,0,1]
	s_delay_alu instid0(VALU_DEP_3) | instskip(NEXT) | instid1(VALU_DEP_1)
	v_dual_mov_b32 v11, v5 :: v_dual_mov_b32 v5, v6
	v_pk_add_f32 v[214:215], v[214:215], v[10:11] neg_lo:[0,1] neg_hi:[0,1]
	s_delay_alu instid0(VALU_DEP_2) | instskip(NEXT) | instid1(VALU_DEP_1)
	v_pk_fma_f32 v[0:1], v[4:5], v[34:35], v[0:1] op_sel_hi:[1,1,0]
	v_mov_b32_e32 v3, v1
	s_delay_alu instid0(VALU_DEP_1)
	v_pk_add_f32 v[216:217], v[216:217], v[2:3] neg_lo:[0,1] neg_hi:[0,1]
.LBB107_109:
	s_wait_xcnt 0x0
	s_or_b32 exec_lo, exec_lo, s1
	s_delay_alu instid0(SALU_CYCLE_1)
	s_mov_b32 s2, exec_lo
	s_wait_storecnt 0x0
	s_barrier_signal -1
	s_barrier_wait -1
	v_cmpx_eq_u32_e32 12, v138
	s_cbranch_execz .LBB107_116
; %bb.110:
	ds_store_b64 v139, v[64:65]
	ds_store_2addr_b64 v148, v[60:61], v[62:63] offset0:13 offset1:14
	ds_store_2addr_b64 v148, v[58:59], v[80:81] offset0:15 offset1:16
	;; [unrolled: 1-line block ×20, first 2 shown]
	ds_store_b64 v148, v[216:217] offset:424
	ds_load_b64 v[0:1], v139
	s_wait_dscnt 0x0
	v_cmp_neq_f32_e32 vcc_lo, 0, v0
	v_cmp_neq_f32_e64 s1, 0, v1
	s_or_b32 s1, vcc_lo, s1
	s_delay_alu instid0(SALU_CYCLE_1)
	s_and_b32 exec_lo, exec_lo, s1
	s_cbranch_execz .LBB107_116
; %bb.111:
	v_cmp_ngt_f32_e64 s1, |v0|, |v1|
                                        ; implicit-def: $vgpr2_vgpr3
	s_and_saveexec_b32 s4, s1
	s_delay_alu instid0(SALU_CYCLE_1)
	s_xor_b32 s1, exec_lo, s4
	s_cbranch_execz .LBB107_113
; %bb.112:
	v_div_scale_f32 v2, null, v1, v1, v0
	v_div_scale_f32 v5, vcc_lo, v0, v1, v0
	s_delay_alu instid0(VALU_DEP_2) | instskip(SKIP_1) | instid1(TRANS32_DEP_1)
	v_rcp_f32_e32 v3, v2
	v_nop
	v_fma_f32 v4, -v2, v3, 1.0
	s_delay_alu instid0(VALU_DEP_1) | instskip(NEXT) | instid1(VALU_DEP_1)
	v_fmac_f32_e32 v3, v4, v3
	v_mul_f32_e32 v4, v5, v3
	s_delay_alu instid0(VALU_DEP_1) | instskip(NEXT) | instid1(VALU_DEP_1)
	v_fma_f32 v6, -v2, v4, v5
	v_fmac_f32_e32 v4, v6, v3
	s_delay_alu instid0(VALU_DEP_1) | instskip(NEXT) | instid1(VALU_DEP_1)
	v_fma_f32 v2, -v2, v4, v5
	v_div_fmas_f32 v2, v2, v3, v4
	s_delay_alu instid0(VALU_DEP_1) | instskip(NEXT) | instid1(VALU_DEP_1)
	v_div_fixup_f32 v2, v2, v1, v0
	v_fmac_f32_e32 v1, v0, v2
	s_delay_alu instid0(VALU_DEP_1) | instskip(SKIP_1) | instid1(VALU_DEP_2)
	v_div_scale_f32 v0, null, v1, v1, 1.0
	v_div_scale_f32 v5, vcc_lo, 1.0, v1, 1.0
	v_rcp_f32_e32 v3, v0
	v_nop
	s_delay_alu instid0(TRANS32_DEP_1) | instskip(NEXT) | instid1(VALU_DEP_1)
	v_fma_f32 v4, -v0, v3, 1.0
	v_fmac_f32_e32 v3, v4, v3
	s_delay_alu instid0(VALU_DEP_1) | instskip(NEXT) | instid1(VALU_DEP_1)
	v_mul_f32_e32 v4, v5, v3
	v_fma_f32 v6, -v0, v4, v5
	s_delay_alu instid0(VALU_DEP_1) | instskip(NEXT) | instid1(VALU_DEP_1)
	v_fmac_f32_e32 v4, v6, v3
	v_fma_f32 v0, -v0, v4, v5
	s_delay_alu instid0(VALU_DEP_1) | instskip(NEXT) | instid1(VALU_DEP_1)
	v_div_fmas_f32 v0, v0, v3, v4
	v_div_fixup_f32 v0, v0, v1, 1.0
	s_delay_alu instid0(VALU_DEP_1)
	v_mul_f32_e32 v2, v2, v0
	v_xor_b32_e32 v3, 0x80000000, v0
                                        ; implicit-def: $vgpr0_vgpr1
.LBB107_113:
	s_and_not1_saveexec_b32 s1, s1
	s_cbranch_execz .LBB107_115
; %bb.114:
	v_div_scale_f32 v2, null, v0, v0, v1
	v_div_scale_f32 v5, vcc_lo, v1, v0, v1
	s_delay_alu instid0(VALU_DEP_2) | instskip(SKIP_1) | instid1(TRANS32_DEP_1)
	v_rcp_f32_e32 v3, v2
	v_nop
	v_fma_f32 v4, -v2, v3, 1.0
	s_delay_alu instid0(VALU_DEP_1) | instskip(NEXT) | instid1(VALU_DEP_1)
	v_fmac_f32_e32 v3, v4, v3
	v_mul_f32_e32 v4, v5, v3
	s_delay_alu instid0(VALU_DEP_1) | instskip(NEXT) | instid1(VALU_DEP_1)
	v_fma_f32 v6, -v2, v4, v5
	v_fmac_f32_e32 v4, v6, v3
	s_delay_alu instid0(VALU_DEP_1) | instskip(NEXT) | instid1(VALU_DEP_1)
	v_fma_f32 v2, -v2, v4, v5
	v_div_fmas_f32 v2, v2, v3, v4
	s_delay_alu instid0(VALU_DEP_1) | instskip(NEXT) | instid1(VALU_DEP_1)
	v_div_fixup_f32 v3, v2, v0, v1
	v_fmac_f32_e32 v0, v1, v3
	s_delay_alu instid0(VALU_DEP_1) | instskip(NEXT) | instid1(VALU_DEP_1)
	v_div_scale_f32 v1, null, v0, v0, 1.0
	v_rcp_f32_e32 v2, v1
	v_nop
	s_delay_alu instid0(TRANS32_DEP_1) | instskip(NEXT) | instid1(VALU_DEP_1)
	v_fma_f32 v4, -v1, v2, 1.0
	v_fmac_f32_e32 v2, v4, v2
	v_div_scale_f32 v4, vcc_lo, 1.0, v0, 1.0
	s_delay_alu instid0(VALU_DEP_1) | instskip(NEXT) | instid1(VALU_DEP_1)
	v_mul_f32_e32 v5, v4, v2
	v_fma_f32 v6, -v1, v5, v4
	s_delay_alu instid0(VALU_DEP_1) | instskip(NEXT) | instid1(VALU_DEP_1)
	v_fmac_f32_e32 v5, v6, v2
	v_fma_f32 v1, -v1, v5, v4
	s_delay_alu instid0(VALU_DEP_1) | instskip(NEXT) | instid1(VALU_DEP_1)
	v_div_fmas_f32 v1, v1, v2, v5
	v_div_fixup_f32 v2, v1, v0, 1.0
	s_delay_alu instid0(VALU_DEP_1)
	v_mul_f32_e64 v3, v3, -v2
.LBB107_115:
	s_or_b32 exec_lo, exec_lo, s1
	ds_store_b64 v139, v[2:3]
.LBB107_116:
	s_or_b32 exec_lo, exec_lo, s2
	s_wait_dscnt 0x0
	s_barrier_signal -1
	s_barrier_wait -1
	ds_load_b64 v[0:1], v139
	s_mov_b32 s1, exec_lo
	s_wait_dscnt 0x0
	scratch_store_b64 off, v[0:1], off offset:264 ; 8-byte Folded Spill
	s_wait_xcnt 0x0
	v_cmpx_lt_u32_e32 12, v138
	s_cbranch_execz .LBB107_118
; %bb.117:
	scratch_load_b64 v[4:5], off, off offset:264 ; 8-byte Folded Reload
	s_wait_loadcnt 0x0
	v_pk_mul_f32 v[2:3], v[4:5], v[64:65] op_sel:[1,1] op_sel_hi:[0,1]
	s_delay_alu instid0(VALU_DEP_1)
	v_pk_fma_f32 v[0:1], v[4:5], v[64:65], v[2:3] op_sel_hi:[1,0,1] neg_lo:[0,0,1] neg_hi:[0,0,1]
	v_pk_fma_f32 v[2:3], v[4:5], v[64:65], v[2:3] op_sel_hi:[1,0,1]
	ds_load_2addr_b64 v[4:7], v148 offset0:13 offset1:14
	v_dual_mov_b32 v64, v0 :: v_dual_mov_b32 v65, v3
	s_wait_dscnt 0x0
	v_pk_mul_f32 v[8:9], v[4:5], v[2:3] op_sel:[0,1]
	s_delay_alu instid0(VALU_DEP_1) | instskip(SKIP_1) | instid1(VALU_DEP_1)
	v_pk_fma_f32 v[10:11], v[4:5], v[0:1], v[8:9] op_sel:[0,0,1] op_sel_hi:[1,1,0] neg_lo:[0,0,1] neg_hi:[0,0,1]
	v_pk_fma_f32 v[4:5], v[4:5], v[0:1], v[8:9] op_sel:[0,0,1] op_sel_hi:[1,0,0]
	v_mov_b32_e32 v11, v5
	v_pk_mul_f32 v[4:5], v[6:7], v[2:3] op_sel:[0,1]
	s_delay_alu instid0(VALU_DEP_1) | instskip(SKIP_1) | instid1(VALU_DEP_1)
	v_pk_fma_f32 v[8:9], v[6:7], v[0:1], v[4:5] op_sel:[0,0,1] op_sel_hi:[1,1,0] neg_lo:[0,0,1] neg_hi:[0,0,1]
	v_pk_fma_f32 v[4:5], v[6:7], v[0:1], v[4:5] op_sel:[0,0,1] op_sel_hi:[1,0,0]
	v_mov_b32_e32 v9, v5
	ds_load_2addr_b64 v[4:7], v148 offset0:15 offset1:16
	v_pk_add_f32 v[60:61], v[60:61], v[10:11] neg_lo:[0,1] neg_hi:[0,1]
	v_pk_add_f32 v[62:63], v[62:63], v[8:9] neg_lo:[0,1] neg_hi:[0,1]
	s_wait_dscnt 0x0
	v_pk_mul_f32 v[8:9], v[4:5], v[2:3] op_sel:[0,1]
	s_delay_alu instid0(VALU_DEP_1) | instskip(SKIP_2) | instid1(VALU_DEP_2)
	v_pk_fma_f32 v[10:11], v[4:5], v[0:1], v[8:9] op_sel:[0,0,1] op_sel_hi:[1,1,0] neg_lo:[0,0,1] neg_hi:[0,0,1]
	v_pk_fma_f32 v[4:5], v[4:5], v[0:1], v[8:9] op_sel:[0,0,1] op_sel_hi:[1,0,0]
	v_dual_mul_f32 v8, v7, v3 :: v_dual_mov_b32 v4, v7
	v_dual_mov_b32 v11, v5 :: v_dual_mov_b32 v5, v6
	s_delay_alu instid0(VALU_DEP_2) | instskip(SKIP_1) | instid1(VALU_DEP_3)
	v_pk_fma_f32 v[8:9], v[6:7], v[64:65], v[8:9] op_sel_hi:[1,1,0] neg_lo:[0,0,1] neg_hi:[0,0,1]
	v_mul_f32_e32 v6, v7, v0
	v_pk_add_f32 v[58:59], v[58:59], v[10:11] neg_lo:[0,1] neg_hi:[0,1]
	s_delay_alu instid0(VALU_DEP_2) | instskip(NEXT) | instid1(VALU_DEP_1)
	v_pk_fma_f32 v[4:5], v[4:5], v[64:65], v[6:7] op_sel_hi:[1,1,0]
	v_mov_b32_e32 v9, v5
	ds_load_2addr_b64 v[4:7], v148 offset0:17 offset1:18
	v_pk_add_f32 v[80:81], v[80:81], v[8:9] neg_lo:[0,1] neg_hi:[0,1]
	s_wait_dscnt 0x0
	v_pk_mul_f32 v[8:9], v[4:5], v[2:3] op_sel:[0,1]
	s_delay_alu instid0(VALU_DEP_1) | instskip(SKIP_1) | instid1(VALU_DEP_1)
	v_pk_fma_f32 v[10:11], v[4:5], v[0:1], v[8:9] op_sel:[0,0,1] op_sel_hi:[1,1,0] neg_lo:[0,0,1] neg_hi:[0,0,1]
	v_pk_fma_f32 v[4:5], v[4:5], v[0:1], v[8:9] op_sel:[0,0,1] op_sel_hi:[1,0,0]
	v_mov_b32_e32 v11, v5
	v_pk_mul_f32 v[4:5], v[6:7], v[2:3] op_sel:[0,1]
	s_delay_alu instid0(VALU_DEP_1) | instskip(SKIP_1) | instid1(VALU_DEP_1)
	v_pk_fma_f32 v[8:9], v[6:7], v[0:1], v[4:5] op_sel:[0,0,1] op_sel_hi:[1,1,0] neg_lo:[0,0,1] neg_hi:[0,0,1]
	v_pk_fma_f32 v[4:5], v[6:7], v[0:1], v[4:5] op_sel:[0,0,1] op_sel_hi:[1,0,0]
	v_mov_b32_e32 v9, v5
	ds_load_2addr_b64 v[4:7], v148 offset0:19 offset1:20
	v_pk_add_f32 v[76:77], v[76:77], v[10:11] neg_lo:[0,1] neg_hi:[0,1]
	v_pk_add_f32 v[78:79], v[78:79], v[8:9] neg_lo:[0,1] neg_hi:[0,1]
	s_wait_dscnt 0x0
	v_pk_mul_f32 v[8:9], v[4:5], v[2:3] op_sel:[0,1]
	s_delay_alu instid0(VALU_DEP_1) | instskip(SKIP_1) | instid1(VALU_DEP_1)
	v_pk_fma_f32 v[10:11], v[4:5], v[0:1], v[8:9] op_sel:[0,0,1] op_sel_hi:[1,1,0] neg_lo:[0,0,1] neg_hi:[0,0,1]
	v_pk_fma_f32 v[4:5], v[4:5], v[0:1], v[8:9] op_sel:[0,0,1] op_sel_hi:[1,0,0]
	v_mov_b32_e32 v11, v5
	v_pk_mul_f32 v[4:5], v[6:7], v[2:3] op_sel:[0,1]
	s_delay_alu instid0(VALU_DEP_1) | instskip(SKIP_1) | instid1(VALU_DEP_1)
	v_pk_fma_f32 v[8:9], v[6:7], v[0:1], v[4:5] op_sel:[0,0,1] op_sel_hi:[1,1,0] neg_lo:[0,0,1] neg_hi:[0,0,1]
	v_pk_fma_f32 v[4:5], v[6:7], v[0:1], v[4:5] op_sel:[0,0,1] op_sel_hi:[1,0,0]
	v_mov_b32_e32 v9, v5
	ds_load_2addr_b64 v[4:7], v148 offset0:21 offset1:22
	v_pk_add_f32 v[74:75], v[74:75], v[10:11] neg_lo:[0,1] neg_hi:[0,1]
	v_pk_add_f32 v[96:97], v[96:97], v[8:9] neg_lo:[0,1] neg_hi:[0,1]
	s_wait_dscnt 0x0
	v_dual_mul_f32 v8, v5, v3 :: v_dual_mul_f32 v10, v5, v0
	s_delay_alu instid0(VALU_DEP_1) | instskip(NEXT) | instid1(VALU_DEP_2)
	v_pk_fma_f32 v[8:9], v[4:5], v[64:65], v[8:9] op_sel_hi:[1,1,0] neg_lo:[0,0,1] neg_hi:[0,0,1]
	v_pk_fma_f32 v[4:5], v[4:5], v[64:65], v[10:11] op_sel:[1,0,0] op_sel_hi:[0,1,0]
	s_delay_alu instid0(VALU_DEP_1) | instskip(SKIP_1) | instid1(VALU_DEP_2)
	v_mov_b32_e32 v9, v5
	v_pk_mul_f32 v[4:5], v[6:7], v[2:3] op_sel:[0,1]
	v_pk_add_f32 v[92:93], v[92:93], v[8:9] neg_lo:[0,1] neg_hi:[0,1]
	s_delay_alu instid0(VALU_DEP_2) | instskip(SKIP_1) | instid1(VALU_DEP_1)
	v_pk_fma_f32 v[8:9], v[6:7], v[0:1], v[4:5] op_sel:[0,0,1] op_sel_hi:[1,1,0] neg_lo:[0,0,1] neg_hi:[0,0,1]
	v_pk_fma_f32 v[4:5], v[6:7], v[0:1], v[4:5] op_sel:[0,0,1] op_sel_hi:[1,0,0]
	v_mov_b32_e32 v9, v5
	ds_load_2addr_b64 v[4:7], v148 offset0:23 offset1:24
	v_pk_add_f32 v[94:95], v[94:95], v[8:9] neg_lo:[0,1] neg_hi:[0,1]
	s_wait_dscnt 0x0
	v_pk_mul_f32 v[8:9], v[4:5], v[2:3] op_sel:[0,1]
	s_delay_alu instid0(VALU_DEP_1) | instskip(SKIP_1) | instid1(VALU_DEP_1)
	v_pk_fma_f32 v[10:11], v[4:5], v[0:1], v[8:9] op_sel:[0,0,1] op_sel_hi:[1,1,0] neg_lo:[0,0,1] neg_hi:[0,0,1]
	v_pk_fma_f32 v[4:5], v[4:5], v[0:1], v[8:9] op_sel:[0,0,1] op_sel_hi:[1,0,0]
	v_mov_b32_e32 v11, v5
	v_pk_mul_f32 v[4:5], v[6:7], v[2:3] op_sel:[0,1]
	s_delay_alu instid0(VALU_DEP_2) | instskip(NEXT) | instid1(VALU_DEP_2)
	v_pk_add_f32 v[90:91], v[90:91], v[10:11] neg_lo:[0,1] neg_hi:[0,1]
	v_pk_fma_f32 v[8:9], v[6:7], v[0:1], v[4:5] op_sel:[0,0,1] op_sel_hi:[1,1,0] neg_lo:[0,0,1] neg_hi:[0,0,1]
	v_pk_fma_f32 v[4:5], v[6:7], v[0:1], v[4:5] op_sel:[0,0,1] op_sel_hi:[1,0,0]
	s_delay_alu instid0(VALU_DEP_1) | instskip(SKIP_4) | instid1(VALU_DEP_1)
	v_mov_b32_e32 v9, v5
	ds_load_2addr_b64 v[4:7], v148 offset0:25 offset1:26
	v_pk_add_f32 v[112:113], v[112:113], v[8:9] neg_lo:[0,1] neg_hi:[0,1]
	s_wait_dscnt 0x0
	v_pk_mul_f32 v[8:9], v[4:5], v[2:3] op_sel:[0,1]
	v_pk_fma_f32 v[10:11], v[4:5], v[0:1], v[8:9] op_sel:[0,0,1] op_sel_hi:[1,1,0] neg_lo:[0,0,1] neg_hi:[0,0,1]
	v_pk_fma_f32 v[4:5], v[4:5], v[0:1], v[8:9] op_sel:[0,0,1] op_sel_hi:[1,0,0]
	v_dual_mul_f32 v8, v7, v3 :: v_dual_mov_b32 v4, v7
	s_delay_alu instid0(VALU_DEP_2) | instskip(NEXT) | instid1(VALU_DEP_2)
	v_dual_mov_b32 v11, v5 :: v_dual_mov_b32 v5, v6
	v_pk_fma_f32 v[8:9], v[6:7], v[64:65], v[8:9] op_sel_hi:[1,1,0] neg_lo:[0,0,1] neg_hi:[0,0,1]
	v_mul_f32_e32 v6, v7, v0
	s_delay_alu instid0(VALU_DEP_3) | instskip(NEXT) | instid1(VALU_DEP_2)
	v_pk_add_f32 v[108:109], v[108:109], v[10:11] neg_lo:[0,1] neg_hi:[0,1]
	v_pk_fma_f32 v[4:5], v[4:5], v[64:65], v[6:7] op_sel_hi:[1,1,0]
	s_delay_alu instid0(VALU_DEP_1) | instskip(SKIP_4) | instid1(VALU_DEP_1)
	v_mov_b32_e32 v9, v5
	ds_load_2addr_b64 v[4:7], v148 offset0:27 offset1:28
	v_pk_add_f32 v[110:111], v[110:111], v[8:9] neg_lo:[0,1] neg_hi:[0,1]
	s_wait_dscnt 0x0
	v_pk_mul_f32 v[8:9], v[4:5], v[2:3] op_sel:[0,1]
	v_pk_fma_f32 v[10:11], v[4:5], v[0:1], v[8:9] op_sel:[0,0,1] op_sel_hi:[1,1,0] neg_lo:[0,0,1] neg_hi:[0,0,1]
	v_pk_fma_f32 v[4:5], v[4:5], v[0:1], v[8:9] op_sel:[0,0,1] op_sel_hi:[1,0,0]
	s_delay_alu instid0(VALU_DEP_1) | instskip(SKIP_1) | instid1(VALU_DEP_1)
	v_mov_b32_e32 v11, v5
	v_pk_mul_f32 v[4:5], v[6:7], v[2:3] op_sel:[0,1]
	v_pk_fma_f32 v[8:9], v[6:7], v[0:1], v[4:5] op_sel:[0,0,1] op_sel_hi:[1,1,0] neg_lo:[0,0,1] neg_hi:[0,0,1]
	v_pk_fma_f32 v[4:5], v[6:7], v[0:1], v[4:5] op_sel:[0,0,1] op_sel_hi:[1,0,0]
	s_delay_alu instid0(VALU_DEP_1)
	v_mov_b32_e32 v9, v5
	ds_load_2addr_b64 v[4:7], v148 offset0:29 offset1:30
	v_pk_add_f32 v[106:107], v[106:107], v[10:11] neg_lo:[0,1] neg_hi:[0,1]
	v_pk_add_f32 v[130:131], v[130:131], v[8:9] neg_lo:[0,1] neg_hi:[0,1]
	s_wait_dscnt 0x0
	v_pk_mul_f32 v[8:9], v[4:5], v[2:3] op_sel:[0,1]
	s_delay_alu instid0(VALU_DEP_1) | instskip(SKIP_1) | instid1(VALU_DEP_1)
	v_pk_fma_f32 v[10:11], v[4:5], v[0:1], v[8:9] op_sel:[0,0,1] op_sel_hi:[1,1,0] neg_lo:[0,0,1] neg_hi:[0,0,1]
	v_pk_fma_f32 v[4:5], v[4:5], v[0:1], v[8:9] op_sel:[0,0,1] op_sel_hi:[1,0,0]
	v_mov_b32_e32 v11, v5
	v_pk_mul_f32 v[4:5], v[6:7], v[2:3] op_sel:[0,1]
	s_delay_alu instid0(VALU_DEP_1) | instskip(SKIP_1) | instid1(VALU_DEP_1)
	v_pk_fma_f32 v[8:9], v[6:7], v[0:1], v[4:5] op_sel:[0,0,1] op_sel_hi:[1,1,0] neg_lo:[0,0,1] neg_hi:[0,0,1]
	v_pk_fma_f32 v[4:5], v[6:7], v[0:1], v[4:5] op_sel:[0,0,1] op_sel_hi:[1,0,0]
	v_mov_b32_e32 v9, v5
	ds_load_2addr_b64 v[4:7], v148 offset0:31 offset1:32
	v_pk_add_f32 v[126:127], v[126:127], v[10:11] neg_lo:[0,1] neg_hi:[0,1]
	v_pk_add_f32 v[128:129], v[128:129], v[8:9] neg_lo:[0,1] neg_hi:[0,1]
	s_wait_dscnt 0x0
	v_dual_mul_f32 v8, v5, v3 :: v_dual_mul_f32 v10, v5, v0
	s_delay_alu instid0(VALU_DEP_1) | instskip(NEXT) | instid1(VALU_DEP_2)
	v_pk_fma_f32 v[8:9], v[4:5], v[64:65], v[8:9] op_sel_hi:[1,1,0] neg_lo:[0,0,1] neg_hi:[0,0,1]
	v_pk_fma_f32 v[4:5], v[4:5], v[64:65], v[10:11] op_sel:[1,0,0] op_sel_hi:[0,1,0]
	s_delay_alu instid0(VALU_DEP_1) | instskip(SKIP_1) | instid1(VALU_DEP_2)
	v_mov_b32_e32 v9, v5
	v_pk_mul_f32 v[4:5], v[6:7], v[2:3] op_sel:[0,1]
	v_pk_add_f32 v[124:125], v[124:125], v[8:9] neg_lo:[0,1] neg_hi:[0,1]
	s_delay_alu instid0(VALU_DEP_2) | instskip(SKIP_1) | instid1(VALU_DEP_1)
	v_pk_fma_f32 v[8:9], v[6:7], v[0:1], v[4:5] op_sel:[0,0,1] op_sel_hi:[1,1,0] neg_lo:[0,0,1] neg_hi:[0,0,1]
	v_pk_fma_f32 v[4:5], v[6:7], v[0:1], v[4:5] op_sel:[0,0,1] op_sel_hi:[1,0,0]
	v_mov_b32_e32 v9, v5
	ds_load_2addr_b64 v[4:7], v148 offset0:33 offset1:34
	v_pk_add_f32 v[146:147], v[146:147], v[8:9] neg_lo:[0,1] neg_hi:[0,1]
	s_wait_dscnt 0x0
	v_pk_mul_f32 v[8:9], v[4:5], v[2:3] op_sel:[0,1]
	s_delay_alu instid0(VALU_DEP_1) | instskip(SKIP_1) | instid1(VALU_DEP_1)
	v_pk_fma_f32 v[10:11], v[4:5], v[0:1], v[8:9] op_sel:[0,0,1] op_sel_hi:[1,1,0] neg_lo:[0,0,1] neg_hi:[0,0,1]
	v_pk_fma_f32 v[4:5], v[4:5], v[0:1], v[8:9] op_sel:[0,0,1] op_sel_hi:[1,0,0]
	v_mov_b32_e32 v11, v5
	v_pk_mul_f32 v[4:5], v[6:7], v[2:3] op_sel:[0,1]
	s_delay_alu instid0(VALU_DEP_2) | instskip(NEXT) | instid1(VALU_DEP_2)
	v_pk_add_f32 v[142:143], v[142:143], v[10:11] neg_lo:[0,1] neg_hi:[0,1]
	v_pk_fma_f32 v[8:9], v[6:7], v[0:1], v[4:5] op_sel:[0,0,1] op_sel_hi:[1,1,0] neg_lo:[0,0,1] neg_hi:[0,0,1]
	v_pk_fma_f32 v[4:5], v[6:7], v[0:1], v[4:5] op_sel:[0,0,1] op_sel_hi:[1,0,0]
	s_delay_alu instid0(VALU_DEP_1) | instskip(SKIP_4) | instid1(VALU_DEP_1)
	v_mov_b32_e32 v9, v5
	ds_load_2addr_b64 v[4:7], v148 offset0:35 offset1:36
	v_pk_add_f32 v[144:145], v[144:145], v[8:9] neg_lo:[0,1] neg_hi:[0,1]
	s_wait_dscnt 0x0
	v_pk_mul_f32 v[8:9], v[4:5], v[2:3] op_sel:[0,1]
	v_pk_fma_f32 v[10:11], v[4:5], v[0:1], v[8:9] op_sel:[0,0,1] op_sel_hi:[1,1,0] neg_lo:[0,0,1] neg_hi:[0,0,1]
	v_pk_fma_f32 v[4:5], v[4:5], v[0:1], v[8:9] op_sel:[0,0,1] op_sel_hi:[1,0,0]
	v_dual_mul_f32 v8, v7, v3 :: v_dual_mov_b32 v4, v7
	s_delay_alu instid0(VALU_DEP_2) | instskip(NEXT) | instid1(VALU_DEP_2)
	v_dual_mov_b32 v11, v5 :: v_dual_mov_b32 v5, v6
	v_pk_fma_f32 v[8:9], v[6:7], v[64:65], v[8:9] op_sel_hi:[1,1,0] neg_lo:[0,0,1] neg_hi:[0,0,1]
	v_mul_f32_e32 v6, v7, v0
	s_delay_alu instid0(VALU_DEP_3) | instskip(NEXT) | instid1(VALU_DEP_2)
	v_pk_add_f32 v[140:141], v[140:141], v[10:11] neg_lo:[0,1] neg_hi:[0,1]
	v_pk_fma_f32 v[4:5], v[4:5], v[64:65], v[6:7] op_sel_hi:[1,1,0]
	s_delay_alu instid0(VALU_DEP_1) | instskip(SKIP_4) | instid1(VALU_DEP_1)
	v_mov_b32_e32 v9, v5
	ds_load_2addr_b64 v[4:7], v148 offset0:37 offset1:38
	v_pk_add_f32 v[162:163], v[162:163], v[8:9] neg_lo:[0,1] neg_hi:[0,1]
	s_wait_dscnt 0x0
	v_pk_mul_f32 v[8:9], v[4:5], v[2:3] op_sel:[0,1]
	v_pk_fma_f32 v[10:11], v[4:5], v[0:1], v[8:9] op_sel:[0,0,1] op_sel_hi:[1,1,0] neg_lo:[0,0,1] neg_hi:[0,0,1]
	v_pk_fma_f32 v[4:5], v[4:5], v[0:1], v[8:9] op_sel:[0,0,1] op_sel_hi:[1,0,0]
	s_delay_alu instid0(VALU_DEP_1) | instskip(SKIP_1) | instid1(VALU_DEP_1)
	v_mov_b32_e32 v11, v5
	v_pk_mul_f32 v[4:5], v[6:7], v[2:3] op_sel:[0,1]
	v_pk_fma_f32 v[8:9], v[6:7], v[0:1], v[4:5] op_sel:[0,0,1] op_sel_hi:[1,1,0] neg_lo:[0,0,1] neg_hi:[0,0,1]
	v_pk_fma_f32 v[4:5], v[6:7], v[0:1], v[4:5] op_sel:[0,0,1] op_sel_hi:[1,0,0]
	s_delay_alu instid0(VALU_DEP_1)
	v_mov_b32_e32 v9, v5
	ds_load_2addr_b64 v[4:7], v148 offset0:39 offset1:40
	v_pk_add_f32 v[158:159], v[158:159], v[10:11] neg_lo:[0,1] neg_hi:[0,1]
	v_pk_add_f32 v[160:161], v[160:161], v[8:9] neg_lo:[0,1] neg_hi:[0,1]
	s_wait_dscnt 0x0
	v_pk_mul_f32 v[8:9], v[4:5], v[2:3] op_sel:[0,1]
	s_delay_alu instid0(VALU_DEP_1) | instskip(SKIP_1) | instid1(VALU_DEP_1)
	v_pk_fma_f32 v[10:11], v[4:5], v[0:1], v[8:9] op_sel:[0,0,1] op_sel_hi:[1,1,0] neg_lo:[0,0,1] neg_hi:[0,0,1]
	v_pk_fma_f32 v[4:5], v[4:5], v[0:1], v[8:9] op_sel:[0,0,1] op_sel_hi:[1,0,0]
	v_mov_b32_e32 v11, v5
	v_pk_mul_f32 v[4:5], v[6:7], v[2:3] op_sel:[0,1]
	s_delay_alu instid0(VALU_DEP_1) | instskip(SKIP_1) | instid1(VALU_DEP_1)
	v_pk_fma_f32 v[8:9], v[6:7], v[0:1], v[4:5] op_sel:[0,0,1] op_sel_hi:[1,1,0] neg_lo:[0,0,1] neg_hi:[0,0,1]
	v_pk_fma_f32 v[4:5], v[6:7], v[0:1], v[4:5] op_sel:[0,0,1] op_sel_hi:[1,0,0]
	v_mov_b32_e32 v9, v5
	ds_load_2addr_b64 v[4:7], v148 offset0:41 offset1:42
	v_pk_add_f32 v[156:157], v[156:157], v[10:11] neg_lo:[0,1] neg_hi:[0,1]
	v_pk_add_f32 v[178:179], v[178:179], v[8:9] neg_lo:[0,1] neg_hi:[0,1]
	s_wait_dscnt 0x0
	v_dual_mul_f32 v8, v5, v3 :: v_dual_mul_f32 v10, v5, v0
	s_delay_alu instid0(VALU_DEP_1) | instskip(NEXT) | instid1(VALU_DEP_2)
	v_pk_fma_f32 v[8:9], v[4:5], v[64:65], v[8:9] op_sel_hi:[1,1,0] neg_lo:[0,0,1] neg_hi:[0,0,1]
	v_pk_fma_f32 v[4:5], v[4:5], v[64:65], v[10:11] op_sel:[1,0,0] op_sel_hi:[0,1,0]
	s_delay_alu instid0(VALU_DEP_1) | instskip(SKIP_1) | instid1(VALU_DEP_2)
	v_mov_b32_e32 v9, v5
	v_pk_mul_f32 v[4:5], v[6:7], v[2:3] op_sel:[0,1]
	v_pk_add_f32 v[174:175], v[174:175], v[8:9] neg_lo:[0,1] neg_hi:[0,1]
	s_delay_alu instid0(VALU_DEP_2) | instskip(SKIP_1) | instid1(VALU_DEP_1)
	v_pk_fma_f32 v[8:9], v[6:7], v[0:1], v[4:5] op_sel:[0,0,1] op_sel_hi:[1,1,0] neg_lo:[0,0,1] neg_hi:[0,0,1]
	v_pk_fma_f32 v[4:5], v[6:7], v[0:1], v[4:5] op_sel:[0,0,1] op_sel_hi:[1,0,0]
	v_mov_b32_e32 v9, v5
	ds_load_2addr_b64 v[4:7], v148 offset0:43 offset1:44
	v_pk_add_f32 v[176:177], v[176:177], v[8:9] neg_lo:[0,1] neg_hi:[0,1]
	s_wait_dscnt 0x0
	v_pk_mul_f32 v[8:9], v[4:5], v[2:3] op_sel:[0,1]
	s_delay_alu instid0(VALU_DEP_1) | instskip(SKIP_1) | instid1(VALU_DEP_1)
	v_pk_fma_f32 v[10:11], v[4:5], v[0:1], v[8:9] op_sel:[0,0,1] op_sel_hi:[1,1,0] neg_lo:[0,0,1] neg_hi:[0,0,1]
	v_pk_fma_f32 v[4:5], v[4:5], v[0:1], v[8:9] op_sel:[0,0,1] op_sel_hi:[1,0,0]
	v_mov_b32_e32 v11, v5
	v_pk_mul_f32 v[4:5], v[6:7], v[2:3] op_sel:[0,1]
	s_delay_alu instid0(VALU_DEP_2) | instskip(NEXT) | instid1(VALU_DEP_2)
	v_pk_add_f32 v[172:173], v[172:173], v[10:11] neg_lo:[0,1] neg_hi:[0,1]
	v_pk_fma_f32 v[8:9], v[6:7], v[0:1], v[4:5] op_sel:[0,0,1] op_sel_hi:[1,1,0] neg_lo:[0,0,1] neg_hi:[0,0,1]
	v_pk_fma_f32 v[4:5], v[6:7], v[0:1], v[4:5] op_sel:[0,0,1] op_sel_hi:[1,0,0]
	s_delay_alu instid0(VALU_DEP_1) | instskip(SKIP_4) | instid1(VALU_DEP_1)
	v_mov_b32_e32 v9, v5
	ds_load_2addr_b64 v[4:7], v148 offset0:45 offset1:46
	v_pk_add_f32 v[196:197], v[196:197], v[8:9] neg_lo:[0,1] neg_hi:[0,1]
	s_wait_dscnt 0x0
	v_pk_mul_f32 v[8:9], v[4:5], v[2:3] op_sel:[0,1]
	v_pk_fma_f32 v[10:11], v[4:5], v[0:1], v[8:9] op_sel:[0,0,1] op_sel_hi:[1,1,0] neg_lo:[0,0,1] neg_hi:[0,0,1]
	v_pk_fma_f32 v[4:5], v[4:5], v[0:1], v[8:9] op_sel:[0,0,1] op_sel_hi:[1,0,0]
	v_dual_mul_f32 v8, v7, v3 :: v_dual_mov_b32 v4, v7
	s_delay_alu instid0(VALU_DEP_2) | instskip(NEXT) | instid1(VALU_DEP_2)
	v_dual_mov_b32 v11, v5 :: v_dual_mov_b32 v5, v6
	v_pk_fma_f32 v[8:9], v[6:7], v[64:65], v[8:9] op_sel_hi:[1,1,0] neg_lo:[0,0,1] neg_hi:[0,0,1]
	v_mul_f32_e32 v6, v7, v0
	s_delay_alu instid0(VALU_DEP_3) | instskip(NEXT) | instid1(VALU_DEP_2)
	v_pk_add_f32 v[192:193], v[192:193], v[10:11] neg_lo:[0,1] neg_hi:[0,1]
	v_pk_fma_f32 v[4:5], v[4:5], v[64:65], v[6:7] op_sel_hi:[1,1,0]
	s_delay_alu instid0(VALU_DEP_1) | instskip(SKIP_4) | instid1(VALU_DEP_1)
	v_mov_b32_e32 v9, v5
	ds_load_2addr_b64 v[4:7], v148 offset0:47 offset1:48
	v_pk_add_f32 v[194:195], v[194:195], v[8:9] neg_lo:[0,1] neg_hi:[0,1]
	s_wait_dscnt 0x0
	v_pk_mul_f32 v[8:9], v[4:5], v[2:3] op_sel:[0,1]
	v_pk_fma_f32 v[10:11], v[4:5], v[0:1], v[8:9] op_sel:[0,0,1] op_sel_hi:[1,1,0] neg_lo:[0,0,1] neg_hi:[0,0,1]
	v_pk_fma_f32 v[4:5], v[4:5], v[0:1], v[8:9] op_sel:[0,0,1] op_sel_hi:[1,0,0]
	s_delay_alu instid0(VALU_DEP_1) | instskip(SKIP_1) | instid1(VALU_DEP_1)
	v_mov_b32_e32 v11, v5
	v_pk_mul_f32 v[4:5], v[6:7], v[2:3] op_sel:[0,1]
	v_pk_fma_f32 v[8:9], v[6:7], v[0:1], v[4:5] op_sel:[0,0,1] op_sel_hi:[1,1,0] neg_lo:[0,0,1] neg_hi:[0,0,1]
	v_pk_fma_f32 v[4:5], v[6:7], v[0:1], v[4:5] op_sel:[0,0,1] op_sel_hi:[1,0,0]
	s_delay_alu instid0(VALU_DEP_1)
	v_mov_b32_e32 v9, v5
	ds_load_2addr_b64 v[4:7], v148 offset0:49 offset1:50
	v_pk_add_f32 v[190:191], v[190:191], v[10:11] neg_lo:[0,1] neg_hi:[0,1]
	v_pk_add_f32 v[212:213], v[212:213], v[8:9] neg_lo:[0,1] neg_hi:[0,1]
	s_wait_dscnt 0x0
	v_pk_mul_f32 v[8:9], v[4:5], v[2:3] op_sel:[0,1]
	s_delay_alu instid0(VALU_DEP_1) | instskip(SKIP_1) | instid1(VALU_DEP_1)
	v_pk_fma_f32 v[10:11], v[4:5], v[0:1], v[8:9] op_sel:[0,0,1] op_sel_hi:[1,1,0] neg_lo:[0,0,1] neg_hi:[0,0,1]
	v_pk_fma_f32 v[4:5], v[4:5], v[0:1], v[8:9] op_sel:[0,0,1] op_sel_hi:[1,0,0]
	v_mov_b32_e32 v11, v5
	v_pk_mul_f32 v[4:5], v[6:7], v[2:3] op_sel:[0,1]
	s_delay_alu instid0(VALU_DEP_1) | instskip(SKIP_1) | instid1(VALU_DEP_1)
	v_pk_fma_f32 v[8:9], v[6:7], v[0:1], v[4:5] op_sel:[0,0,1] op_sel_hi:[1,1,0] neg_lo:[0,0,1] neg_hi:[0,0,1]
	v_pk_fma_f32 v[4:5], v[6:7], v[0:1], v[4:5] op_sel:[0,0,1] op_sel_hi:[1,0,0]
	v_mov_b32_e32 v9, v5
	ds_load_2addr_b64 v[4:7], v148 offset0:51 offset1:52
	v_pk_add_f32 v[208:209], v[208:209], v[10:11] neg_lo:[0,1] neg_hi:[0,1]
	v_pk_add_f32 v[210:211], v[210:211], v[8:9] neg_lo:[0,1] neg_hi:[0,1]
	s_wait_dscnt 0x0
	v_dual_mul_f32 v8, v5, v3 :: v_dual_mul_f32 v10, v5, v0
	s_delay_alu instid0(VALU_DEP_1) | instskip(NEXT) | instid1(VALU_DEP_2)
	v_pk_fma_f32 v[8:9], v[4:5], v[64:65], v[8:9] op_sel_hi:[1,1,0] neg_lo:[0,0,1] neg_hi:[0,0,1]
	v_pk_fma_f32 v[4:5], v[4:5], v[64:65], v[10:11] op_sel:[1,0,0] op_sel_hi:[0,1,0]
	s_delay_alu instid0(VALU_DEP_1) | instskip(SKIP_1) | instid1(VALU_DEP_2)
	v_mov_b32_e32 v9, v5
	v_pk_mul_f32 v[4:5], v[6:7], v[2:3] op_sel:[0,1]
	v_pk_add_f32 v[206:207], v[206:207], v[8:9] neg_lo:[0,1] neg_hi:[0,1]
	s_delay_alu instid0(VALU_DEP_2) | instskip(SKIP_1) | instid1(VALU_DEP_1)
	v_pk_fma_f32 v[8:9], v[6:7], v[0:1], v[4:5] op_sel:[0,0,1] op_sel_hi:[1,1,0] neg_lo:[0,0,1] neg_hi:[0,0,1]
	v_pk_fma_f32 v[4:5], v[6:7], v[0:1], v[4:5] op_sel:[0,0,1] op_sel_hi:[1,0,0]
	v_mov_b32_e32 v9, v5
	ds_load_b64 v[4:5], v148 offset:424
	v_pk_add_f32 v[214:215], v[214:215], v[8:9] neg_lo:[0,1] neg_hi:[0,1]
	s_wait_dscnt 0x0
	v_pk_mul_f32 v[2:3], v[4:5], v[2:3] op_sel:[0,1]
	s_delay_alu instid0(VALU_DEP_1) | instskip(SKIP_1) | instid1(VALU_DEP_1)
	v_pk_fma_f32 v[6:7], v[4:5], v[0:1], v[2:3] op_sel:[0,0,1] op_sel_hi:[1,1,0] neg_lo:[0,0,1] neg_hi:[0,0,1]
	v_pk_fma_f32 v[0:1], v[4:5], v[0:1], v[2:3] op_sel:[0,0,1] op_sel_hi:[1,0,0]
	v_mov_b32_e32 v7, v1
	s_delay_alu instid0(VALU_DEP_1)
	v_pk_add_f32 v[216:217], v[216:217], v[6:7] neg_lo:[0,1] neg_hi:[0,1]
.LBB107_118:
	s_wait_xcnt 0x0
	s_or_b32 exec_lo, exec_lo, s1
	s_delay_alu instid0(SALU_CYCLE_1)
	s_mov_b32 s2, exec_lo
	s_wait_storecnt 0x0
	s_barrier_signal -1
	s_barrier_wait -1
	v_cmpx_eq_u32_e32 13, v138
	s_cbranch_execz .LBB107_125
; %bb.119:
	v_dual_mov_b32 v0, v62 :: v_dual_mov_b32 v1, v63
	v_dual_mov_b32 v2, v58 :: v_dual_mov_b32 v3, v59
	ds_store_b64 v139, v[60:61]
	ds_store_2addr_b64 v148, v[0:1], v[2:3] offset0:14 offset1:15
	v_dual_mov_b32 v0, v80 :: v_dual_mov_b32 v1, v81
	v_dual_mov_b32 v2, v76 :: v_dual_mov_b32 v3, v77
	ds_store_2addr_b64 v148, v[0:1], v[2:3] offset0:16 offset1:17
	v_dual_mov_b32 v0, v78 :: v_dual_mov_b32 v1, v79
	v_dual_mov_b32 v2, v74 :: v_dual_mov_b32 v3, v75
	;; [unrolled: 3-line block ×18, first 2 shown]
	ds_store_2addr_b64 v148, v[0:1], v[2:3] offset0:50 offset1:51
	v_dual_mov_b32 v0, v214 :: v_dual_mov_b32 v1, v215
	ds_store_2addr_b64 v148, v[0:1], v[216:217] offset0:52 offset1:53
	ds_load_b64 v[0:1], v139
	s_wait_dscnt 0x0
	v_cmp_neq_f32_e32 vcc_lo, 0, v0
	v_cmp_neq_f32_e64 s1, 0, v1
	s_or_b32 s1, vcc_lo, s1
	s_delay_alu instid0(SALU_CYCLE_1)
	s_and_b32 exec_lo, exec_lo, s1
	s_cbranch_execz .LBB107_125
; %bb.120:
	v_cmp_ngt_f32_e64 s1, |v0|, |v1|
                                        ; implicit-def: $vgpr2_vgpr3
	s_and_saveexec_b32 s4, s1
	s_delay_alu instid0(SALU_CYCLE_1)
	s_xor_b32 s1, exec_lo, s4
	s_cbranch_execz .LBB107_122
; %bb.121:
	v_div_scale_f32 v2, null, v1, v1, v0
	v_div_scale_f32 v5, vcc_lo, v0, v1, v0
	s_delay_alu instid0(VALU_DEP_2) | instskip(SKIP_1) | instid1(TRANS32_DEP_1)
	v_rcp_f32_e32 v3, v2
	v_nop
	v_fma_f32 v4, -v2, v3, 1.0
	s_delay_alu instid0(VALU_DEP_1) | instskip(NEXT) | instid1(VALU_DEP_1)
	v_fmac_f32_e32 v3, v4, v3
	v_mul_f32_e32 v4, v5, v3
	s_delay_alu instid0(VALU_DEP_1) | instskip(NEXT) | instid1(VALU_DEP_1)
	v_fma_f32 v6, -v2, v4, v5
	v_fmac_f32_e32 v4, v6, v3
	s_delay_alu instid0(VALU_DEP_1) | instskip(NEXT) | instid1(VALU_DEP_1)
	v_fma_f32 v2, -v2, v4, v5
	v_div_fmas_f32 v2, v2, v3, v4
	s_delay_alu instid0(VALU_DEP_1) | instskip(NEXT) | instid1(VALU_DEP_1)
	v_div_fixup_f32 v2, v2, v1, v0
	v_fmac_f32_e32 v1, v0, v2
	s_delay_alu instid0(VALU_DEP_1) | instskip(SKIP_1) | instid1(VALU_DEP_2)
	v_div_scale_f32 v0, null, v1, v1, 1.0
	v_div_scale_f32 v5, vcc_lo, 1.0, v1, 1.0
	v_rcp_f32_e32 v3, v0
	v_nop
	s_delay_alu instid0(TRANS32_DEP_1) | instskip(NEXT) | instid1(VALU_DEP_1)
	v_fma_f32 v4, -v0, v3, 1.0
	v_fmac_f32_e32 v3, v4, v3
	s_delay_alu instid0(VALU_DEP_1) | instskip(NEXT) | instid1(VALU_DEP_1)
	v_mul_f32_e32 v4, v5, v3
	v_fma_f32 v6, -v0, v4, v5
	s_delay_alu instid0(VALU_DEP_1) | instskip(NEXT) | instid1(VALU_DEP_1)
	v_fmac_f32_e32 v4, v6, v3
	v_fma_f32 v0, -v0, v4, v5
	s_delay_alu instid0(VALU_DEP_1) | instskip(NEXT) | instid1(VALU_DEP_1)
	v_div_fmas_f32 v0, v0, v3, v4
	v_div_fixup_f32 v0, v0, v1, 1.0
	s_delay_alu instid0(VALU_DEP_1)
	v_mul_f32_e32 v2, v2, v0
	v_xor_b32_e32 v3, 0x80000000, v0
                                        ; implicit-def: $vgpr0_vgpr1
.LBB107_122:
	s_and_not1_saveexec_b32 s1, s1
	s_cbranch_execz .LBB107_124
; %bb.123:
	v_div_scale_f32 v2, null, v0, v0, v1
	v_div_scale_f32 v5, vcc_lo, v1, v0, v1
	s_delay_alu instid0(VALU_DEP_2) | instskip(SKIP_1) | instid1(TRANS32_DEP_1)
	v_rcp_f32_e32 v3, v2
	v_nop
	v_fma_f32 v4, -v2, v3, 1.0
	s_delay_alu instid0(VALU_DEP_1) | instskip(NEXT) | instid1(VALU_DEP_1)
	v_fmac_f32_e32 v3, v4, v3
	v_mul_f32_e32 v4, v5, v3
	s_delay_alu instid0(VALU_DEP_1) | instskip(NEXT) | instid1(VALU_DEP_1)
	v_fma_f32 v6, -v2, v4, v5
	v_fmac_f32_e32 v4, v6, v3
	s_delay_alu instid0(VALU_DEP_1) | instskip(NEXT) | instid1(VALU_DEP_1)
	v_fma_f32 v2, -v2, v4, v5
	v_div_fmas_f32 v2, v2, v3, v4
	s_delay_alu instid0(VALU_DEP_1) | instskip(NEXT) | instid1(VALU_DEP_1)
	v_div_fixup_f32 v3, v2, v0, v1
	v_fmac_f32_e32 v0, v1, v3
	s_delay_alu instid0(VALU_DEP_1) | instskip(NEXT) | instid1(VALU_DEP_1)
	v_div_scale_f32 v1, null, v0, v0, 1.0
	v_rcp_f32_e32 v2, v1
	v_nop
	s_delay_alu instid0(TRANS32_DEP_1) | instskip(NEXT) | instid1(VALU_DEP_1)
	v_fma_f32 v4, -v1, v2, 1.0
	v_fmac_f32_e32 v2, v4, v2
	v_div_scale_f32 v4, vcc_lo, 1.0, v0, 1.0
	s_delay_alu instid0(VALU_DEP_1) | instskip(NEXT) | instid1(VALU_DEP_1)
	v_mul_f32_e32 v5, v4, v2
	v_fma_f32 v6, -v1, v5, v4
	s_delay_alu instid0(VALU_DEP_1) | instskip(NEXT) | instid1(VALU_DEP_1)
	v_fmac_f32_e32 v5, v6, v2
	v_fma_f32 v1, -v1, v5, v4
	s_delay_alu instid0(VALU_DEP_1) | instskip(NEXT) | instid1(VALU_DEP_1)
	v_div_fmas_f32 v1, v1, v2, v5
	v_div_fixup_f32 v2, v1, v0, 1.0
	s_delay_alu instid0(VALU_DEP_1)
	v_mul_f32_e64 v3, v3, -v2
.LBB107_124:
	s_or_b32 exec_lo, exec_lo, s1
	ds_store_b64 v139, v[2:3]
.LBB107_125:
	s_or_b32 exec_lo, exec_lo, s2
	s_wait_dscnt 0x0
	s_barrier_signal -1
	s_barrier_wait -1
	ds_load_b64 v[0:1], v139
	s_mov_b32 s1, exec_lo
	s_wait_dscnt 0x0
	scratch_store_b64 off, v[0:1], off offset:272 ; 8-byte Folded Spill
	s_wait_xcnt 0x0
	v_cmpx_lt_u32_e32 13, v138
	s_cbranch_execz .LBB107_127
; %bb.126:
	scratch_load_b64 v[4:5], off, off offset:272 ; 8-byte Folded Reload
	s_wait_loadcnt 0x0
	v_pk_mul_f32 v[2:3], v[4:5], v[60:61] op_sel:[1,1] op_sel_hi:[0,1]
	s_delay_alu instid0(VALU_DEP_1)
	v_pk_fma_f32 v[0:1], v[4:5], v[60:61], v[2:3] op_sel_hi:[1,0,1] neg_lo:[0,0,1] neg_hi:[0,0,1]
	v_pk_fma_f32 v[2:3], v[4:5], v[60:61], v[2:3] op_sel_hi:[1,0,1]
	ds_load_2addr_b64 v[4:7], v148 offset0:14 offset1:15
	v_dual_mov_b32 v60, v0 :: v_dual_mov_b32 v61, v3
	s_wait_dscnt 0x0
	v_pk_mul_f32 v[8:9], v[4:5], v[2:3] op_sel:[0,1]
	s_delay_alu instid0(VALU_DEP_1) | instskip(SKIP_1) | instid1(VALU_DEP_1)
	v_pk_fma_f32 v[10:11], v[4:5], v[0:1], v[8:9] op_sel:[0,0,1] op_sel_hi:[1,1,0] neg_lo:[0,0,1] neg_hi:[0,0,1]
	v_pk_fma_f32 v[4:5], v[4:5], v[0:1], v[8:9] op_sel:[0,0,1] op_sel_hi:[1,0,0]
	v_mov_b32_e32 v11, v5
	v_pk_mul_f32 v[4:5], v[6:7], v[2:3] op_sel:[0,1]
	s_delay_alu instid0(VALU_DEP_1) | instskip(SKIP_1) | instid1(VALU_DEP_1)
	v_pk_fma_f32 v[8:9], v[6:7], v[0:1], v[4:5] op_sel:[0,0,1] op_sel_hi:[1,1,0] neg_lo:[0,0,1] neg_hi:[0,0,1]
	v_pk_fma_f32 v[4:5], v[6:7], v[0:1], v[4:5] op_sel:[0,0,1] op_sel_hi:[1,0,0]
	v_mov_b32_e32 v9, v5
	ds_load_2addr_b64 v[4:7], v148 offset0:16 offset1:17
	v_pk_add_f32 v[62:63], v[62:63], v[10:11] neg_lo:[0,1] neg_hi:[0,1]
	v_pk_add_f32 v[58:59], v[58:59], v[8:9] neg_lo:[0,1] neg_hi:[0,1]
	s_wait_dscnt 0x0
	v_pk_mul_f32 v[8:9], v[4:5], v[2:3] op_sel:[0,1]
	s_delay_alu instid0(VALU_DEP_1) | instskip(SKIP_2) | instid1(VALU_DEP_2)
	v_pk_fma_f32 v[10:11], v[4:5], v[0:1], v[8:9] op_sel:[0,0,1] op_sel_hi:[1,1,0] neg_lo:[0,0,1] neg_hi:[0,0,1]
	v_pk_fma_f32 v[4:5], v[4:5], v[0:1], v[8:9] op_sel:[0,0,1] op_sel_hi:[1,0,0]
	v_dual_mul_f32 v8, v7, v3 :: v_dual_mov_b32 v4, v7
	v_dual_mov_b32 v11, v5 :: v_dual_mov_b32 v5, v6
	s_delay_alu instid0(VALU_DEP_2) | instskip(SKIP_1) | instid1(VALU_DEP_3)
	v_pk_fma_f32 v[8:9], v[6:7], v[60:61], v[8:9] op_sel_hi:[1,1,0] neg_lo:[0,0,1] neg_hi:[0,0,1]
	v_mul_f32_e32 v6, v7, v0
	v_pk_add_f32 v[80:81], v[80:81], v[10:11] neg_lo:[0,1] neg_hi:[0,1]
	s_delay_alu instid0(VALU_DEP_2) | instskip(NEXT) | instid1(VALU_DEP_1)
	v_pk_fma_f32 v[4:5], v[4:5], v[60:61], v[6:7] op_sel_hi:[1,1,0]
	v_mov_b32_e32 v9, v5
	ds_load_2addr_b64 v[4:7], v148 offset0:18 offset1:19
	v_pk_add_f32 v[76:77], v[76:77], v[8:9] neg_lo:[0,1] neg_hi:[0,1]
	s_wait_dscnt 0x0
	v_pk_mul_f32 v[8:9], v[4:5], v[2:3] op_sel:[0,1]
	s_delay_alu instid0(VALU_DEP_1) | instskip(SKIP_1) | instid1(VALU_DEP_1)
	v_pk_fma_f32 v[10:11], v[4:5], v[0:1], v[8:9] op_sel:[0,0,1] op_sel_hi:[1,1,0] neg_lo:[0,0,1] neg_hi:[0,0,1]
	v_pk_fma_f32 v[4:5], v[4:5], v[0:1], v[8:9] op_sel:[0,0,1] op_sel_hi:[1,0,0]
	v_mov_b32_e32 v11, v5
	v_pk_mul_f32 v[4:5], v[6:7], v[2:3] op_sel:[0,1]
	s_delay_alu instid0(VALU_DEP_1) | instskip(SKIP_1) | instid1(VALU_DEP_1)
	v_pk_fma_f32 v[8:9], v[6:7], v[0:1], v[4:5] op_sel:[0,0,1] op_sel_hi:[1,1,0] neg_lo:[0,0,1] neg_hi:[0,0,1]
	v_pk_fma_f32 v[4:5], v[6:7], v[0:1], v[4:5] op_sel:[0,0,1] op_sel_hi:[1,0,0]
	v_mov_b32_e32 v9, v5
	ds_load_2addr_b64 v[4:7], v148 offset0:20 offset1:21
	v_pk_add_f32 v[78:79], v[78:79], v[10:11] neg_lo:[0,1] neg_hi:[0,1]
	v_pk_add_f32 v[74:75], v[74:75], v[8:9] neg_lo:[0,1] neg_hi:[0,1]
	s_wait_dscnt 0x0
	v_pk_mul_f32 v[8:9], v[4:5], v[2:3] op_sel:[0,1]
	s_delay_alu instid0(VALU_DEP_1) | instskip(SKIP_1) | instid1(VALU_DEP_1)
	v_pk_fma_f32 v[10:11], v[4:5], v[0:1], v[8:9] op_sel:[0,0,1] op_sel_hi:[1,1,0] neg_lo:[0,0,1] neg_hi:[0,0,1]
	v_pk_fma_f32 v[4:5], v[4:5], v[0:1], v[8:9] op_sel:[0,0,1] op_sel_hi:[1,0,0]
	v_mov_b32_e32 v11, v5
	v_pk_mul_f32 v[4:5], v[6:7], v[2:3] op_sel:[0,1]
	s_delay_alu instid0(VALU_DEP_1) | instskip(SKIP_1) | instid1(VALU_DEP_1)
	v_pk_fma_f32 v[8:9], v[6:7], v[0:1], v[4:5] op_sel:[0,0,1] op_sel_hi:[1,1,0] neg_lo:[0,0,1] neg_hi:[0,0,1]
	v_pk_fma_f32 v[4:5], v[6:7], v[0:1], v[4:5] op_sel:[0,0,1] op_sel_hi:[1,0,0]
	v_mov_b32_e32 v9, v5
	ds_load_2addr_b64 v[4:7], v148 offset0:22 offset1:23
	v_pk_add_f32 v[96:97], v[96:97], v[10:11] neg_lo:[0,1] neg_hi:[0,1]
	v_pk_add_f32 v[92:93], v[92:93], v[8:9] neg_lo:[0,1] neg_hi:[0,1]
	s_wait_dscnt 0x0
	v_dual_mul_f32 v8, v5, v3 :: v_dual_mul_f32 v10, v5, v0
	s_delay_alu instid0(VALU_DEP_1) | instskip(NEXT) | instid1(VALU_DEP_2)
	v_pk_fma_f32 v[8:9], v[4:5], v[60:61], v[8:9] op_sel_hi:[1,1,0] neg_lo:[0,0,1] neg_hi:[0,0,1]
	v_pk_fma_f32 v[4:5], v[4:5], v[60:61], v[10:11] op_sel:[1,0,0] op_sel_hi:[0,1,0]
	s_delay_alu instid0(VALU_DEP_1) | instskip(SKIP_1) | instid1(VALU_DEP_2)
	v_mov_b32_e32 v9, v5
	v_pk_mul_f32 v[4:5], v[6:7], v[2:3] op_sel:[0,1]
	v_pk_add_f32 v[94:95], v[94:95], v[8:9] neg_lo:[0,1] neg_hi:[0,1]
	s_delay_alu instid0(VALU_DEP_2) | instskip(SKIP_1) | instid1(VALU_DEP_1)
	v_pk_fma_f32 v[8:9], v[6:7], v[0:1], v[4:5] op_sel:[0,0,1] op_sel_hi:[1,1,0] neg_lo:[0,0,1] neg_hi:[0,0,1]
	v_pk_fma_f32 v[4:5], v[6:7], v[0:1], v[4:5] op_sel:[0,0,1] op_sel_hi:[1,0,0]
	v_mov_b32_e32 v9, v5
	ds_load_2addr_b64 v[4:7], v148 offset0:24 offset1:25
	v_pk_add_f32 v[90:91], v[90:91], v[8:9] neg_lo:[0,1] neg_hi:[0,1]
	s_wait_dscnt 0x0
	v_pk_mul_f32 v[8:9], v[4:5], v[2:3] op_sel:[0,1]
	s_delay_alu instid0(VALU_DEP_1) | instskip(SKIP_1) | instid1(VALU_DEP_1)
	v_pk_fma_f32 v[10:11], v[4:5], v[0:1], v[8:9] op_sel:[0,0,1] op_sel_hi:[1,1,0] neg_lo:[0,0,1] neg_hi:[0,0,1]
	v_pk_fma_f32 v[4:5], v[4:5], v[0:1], v[8:9] op_sel:[0,0,1] op_sel_hi:[1,0,0]
	v_mov_b32_e32 v11, v5
	v_pk_mul_f32 v[4:5], v[6:7], v[2:3] op_sel:[0,1]
	s_delay_alu instid0(VALU_DEP_2) | instskip(NEXT) | instid1(VALU_DEP_2)
	v_pk_add_f32 v[112:113], v[112:113], v[10:11] neg_lo:[0,1] neg_hi:[0,1]
	v_pk_fma_f32 v[8:9], v[6:7], v[0:1], v[4:5] op_sel:[0,0,1] op_sel_hi:[1,1,0] neg_lo:[0,0,1] neg_hi:[0,0,1]
	v_pk_fma_f32 v[4:5], v[6:7], v[0:1], v[4:5] op_sel:[0,0,1] op_sel_hi:[1,0,0]
	s_delay_alu instid0(VALU_DEP_1) | instskip(SKIP_4) | instid1(VALU_DEP_1)
	v_mov_b32_e32 v9, v5
	ds_load_2addr_b64 v[4:7], v148 offset0:26 offset1:27
	v_pk_add_f32 v[108:109], v[108:109], v[8:9] neg_lo:[0,1] neg_hi:[0,1]
	s_wait_dscnt 0x0
	v_pk_mul_f32 v[8:9], v[4:5], v[2:3] op_sel:[0,1]
	v_pk_fma_f32 v[10:11], v[4:5], v[0:1], v[8:9] op_sel:[0,0,1] op_sel_hi:[1,1,0] neg_lo:[0,0,1] neg_hi:[0,0,1]
	v_pk_fma_f32 v[4:5], v[4:5], v[0:1], v[8:9] op_sel:[0,0,1] op_sel_hi:[1,0,0]
	v_dual_mul_f32 v8, v7, v3 :: v_dual_mov_b32 v4, v7
	s_delay_alu instid0(VALU_DEP_2) | instskip(NEXT) | instid1(VALU_DEP_2)
	v_dual_mov_b32 v11, v5 :: v_dual_mov_b32 v5, v6
	v_pk_fma_f32 v[8:9], v[6:7], v[60:61], v[8:9] op_sel_hi:[1,1,0] neg_lo:[0,0,1] neg_hi:[0,0,1]
	v_mul_f32_e32 v6, v7, v0
	s_delay_alu instid0(VALU_DEP_3) | instskip(NEXT) | instid1(VALU_DEP_2)
	v_pk_add_f32 v[110:111], v[110:111], v[10:11] neg_lo:[0,1] neg_hi:[0,1]
	v_pk_fma_f32 v[4:5], v[4:5], v[60:61], v[6:7] op_sel_hi:[1,1,0]
	s_delay_alu instid0(VALU_DEP_1) | instskip(SKIP_4) | instid1(VALU_DEP_1)
	v_mov_b32_e32 v9, v5
	ds_load_2addr_b64 v[4:7], v148 offset0:28 offset1:29
	v_pk_add_f32 v[106:107], v[106:107], v[8:9] neg_lo:[0,1] neg_hi:[0,1]
	s_wait_dscnt 0x0
	v_pk_mul_f32 v[8:9], v[4:5], v[2:3] op_sel:[0,1]
	v_pk_fma_f32 v[10:11], v[4:5], v[0:1], v[8:9] op_sel:[0,0,1] op_sel_hi:[1,1,0] neg_lo:[0,0,1] neg_hi:[0,0,1]
	v_pk_fma_f32 v[4:5], v[4:5], v[0:1], v[8:9] op_sel:[0,0,1] op_sel_hi:[1,0,0]
	s_delay_alu instid0(VALU_DEP_1) | instskip(SKIP_1) | instid1(VALU_DEP_1)
	v_mov_b32_e32 v11, v5
	v_pk_mul_f32 v[4:5], v[6:7], v[2:3] op_sel:[0,1]
	v_pk_fma_f32 v[8:9], v[6:7], v[0:1], v[4:5] op_sel:[0,0,1] op_sel_hi:[1,1,0] neg_lo:[0,0,1] neg_hi:[0,0,1]
	v_pk_fma_f32 v[4:5], v[6:7], v[0:1], v[4:5] op_sel:[0,0,1] op_sel_hi:[1,0,0]
	s_delay_alu instid0(VALU_DEP_1)
	v_mov_b32_e32 v9, v5
	ds_load_2addr_b64 v[4:7], v148 offset0:30 offset1:31
	v_pk_add_f32 v[130:131], v[130:131], v[10:11] neg_lo:[0,1] neg_hi:[0,1]
	v_pk_add_f32 v[126:127], v[126:127], v[8:9] neg_lo:[0,1] neg_hi:[0,1]
	s_wait_dscnt 0x0
	v_pk_mul_f32 v[8:9], v[4:5], v[2:3] op_sel:[0,1]
	s_delay_alu instid0(VALU_DEP_1) | instskip(SKIP_1) | instid1(VALU_DEP_1)
	v_pk_fma_f32 v[10:11], v[4:5], v[0:1], v[8:9] op_sel:[0,0,1] op_sel_hi:[1,1,0] neg_lo:[0,0,1] neg_hi:[0,0,1]
	v_pk_fma_f32 v[4:5], v[4:5], v[0:1], v[8:9] op_sel:[0,0,1] op_sel_hi:[1,0,0]
	v_mov_b32_e32 v11, v5
	v_pk_mul_f32 v[4:5], v[6:7], v[2:3] op_sel:[0,1]
	s_delay_alu instid0(VALU_DEP_1) | instskip(SKIP_1) | instid1(VALU_DEP_1)
	v_pk_fma_f32 v[8:9], v[6:7], v[0:1], v[4:5] op_sel:[0,0,1] op_sel_hi:[1,1,0] neg_lo:[0,0,1] neg_hi:[0,0,1]
	v_pk_fma_f32 v[4:5], v[6:7], v[0:1], v[4:5] op_sel:[0,0,1] op_sel_hi:[1,0,0]
	v_mov_b32_e32 v9, v5
	ds_load_2addr_b64 v[4:7], v148 offset0:32 offset1:33
	v_pk_add_f32 v[128:129], v[128:129], v[10:11] neg_lo:[0,1] neg_hi:[0,1]
	v_pk_add_f32 v[124:125], v[124:125], v[8:9] neg_lo:[0,1] neg_hi:[0,1]
	s_wait_dscnt 0x0
	v_dual_mul_f32 v8, v5, v3 :: v_dual_mul_f32 v10, v5, v0
	s_delay_alu instid0(VALU_DEP_1) | instskip(NEXT) | instid1(VALU_DEP_2)
	v_pk_fma_f32 v[8:9], v[4:5], v[60:61], v[8:9] op_sel_hi:[1,1,0] neg_lo:[0,0,1] neg_hi:[0,0,1]
	v_pk_fma_f32 v[4:5], v[4:5], v[60:61], v[10:11] op_sel:[1,0,0] op_sel_hi:[0,1,0]
	s_delay_alu instid0(VALU_DEP_1) | instskip(SKIP_1) | instid1(VALU_DEP_2)
	v_mov_b32_e32 v9, v5
	v_pk_mul_f32 v[4:5], v[6:7], v[2:3] op_sel:[0,1]
	v_pk_add_f32 v[146:147], v[146:147], v[8:9] neg_lo:[0,1] neg_hi:[0,1]
	s_delay_alu instid0(VALU_DEP_2) | instskip(SKIP_1) | instid1(VALU_DEP_1)
	v_pk_fma_f32 v[8:9], v[6:7], v[0:1], v[4:5] op_sel:[0,0,1] op_sel_hi:[1,1,0] neg_lo:[0,0,1] neg_hi:[0,0,1]
	v_pk_fma_f32 v[4:5], v[6:7], v[0:1], v[4:5] op_sel:[0,0,1] op_sel_hi:[1,0,0]
	v_mov_b32_e32 v9, v5
	ds_load_2addr_b64 v[4:7], v148 offset0:34 offset1:35
	v_pk_add_f32 v[142:143], v[142:143], v[8:9] neg_lo:[0,1] neg_hi:[0,1]
	s_wait_dscnt 0x0
	v_pk_mul_f32 v[8:9], v[4:5], v[2:3] op_sel:[0,1]
	s_delay_alu instid0(VALU_DEP_1) | instskip(SKIP_1) | instid1(VALU_DEP_1)
	v_pk_fma_f32 v[10:11], v[4:5], v[0:1], v[8:9] op_sel:[0,0,1] op_sel_hi:[1,1,0] neg_lo:[0,0,1] neg_hi:[0,0,1]
	v_pk_fma_f32 v[4:5], v[4:5], v[0:1], v[8:9] op_sel:[0,0,1] op_sel_hi:[1,0,0]
	v_mov_b32_e32 v11, v5
	v_pk_mul_f32 v[4:5], v[6:7], v[2:3] op_sel:[0,1]
	s_delay_alu instid0(VALU_DEP_2) | instskip(NEXT) | instid1(VALU_DEP_2)
	v_pk_add_f32 v[144:145], v[144:145], v[10:11] neg_lo:[0,1] neg_hi:[0,1]
	v_pk_fma_f32 v[8:9], v[6:7], v[0:1], v[4:5] op_sel:[0,0,1] op_sel_hi:[1,1,0] neg_lo:[0,0,1] neg_hi:[0,0,1]
	v_pk_fma_f32 v[4:5], v[6:7], v[0:1], v[4:5] op_sel:[0,0,1] op_sel_hi:[1,0,0]
	s_delay_alu instid0(VALU_DEP_1) | instskip(SKIP_4) | instid1(VALU_DEP_1)
	v_mov_b32_e32 v9, v5
	ds_load_2addr_b64 v[4:7], v148 offset0:36 offset1:37
	v_pk_add_f32 v[140:141], v[140:141], v[8:9] neg_lo:[0,1] neg_hi:[0,1]
	s_wait_dscnt 0x0
	v_pk_mul_f32 v[8:9], v[4:5], v[2:3] op_sel:[0,1]
	v_pk_fma_f32 v[10:11], v[4:5], v[0:1], v[8:9] op_sel:[0,0,1] op_sel_hi:[1,1,0] neg_lo:[0,0,1] neg_hi:[0,0,1]
	v_pk_fma_f32 v[4:5], v[4:5], v[0:1], v[8:9] op_sel:[0,0,1] op_sel_hi:[1,0,0]
	v_dual_mul_f32 v8, v7, v3 :: v_dual_mov_b32 v4, v7
	s_delay_alu instid0(VALU_DEP_2) | instskip(NEXT) | instid1(VALU_DEP_2)
	v_dual_mov_b32 v11, v5 :: v_dual_mov_b32 v5, v6
	v_pk_fma_f32 v[8:9], v[6:7], v[60:61], v[8:9] op_sel_hi:[1,1,0] neg_lo:[0,0,1] neg_hi:[0,0,1]
	v_mul_f32_e32 v6, v7, v0
	s_delay_alu instid0(VALU_DEP_3) | instskip(NEXT) | instid1(VALU_DEP_2)
	v_pk_add_f32 v[162:163], v[162:163], v[10:11] neg_lo:[0,1] neg_hi:[0,1]
	v_pk_fma_f32 v[4:5], v[4:5], v[60:61], v[6:7] op_sel_hi:[1,1,0]
	s_delay_alu instid0(VALU_DEP_1) | instskip(SKIP_4) | instid1(VALU_DEP_1)
	v_mov_b32_e32 v9, v5
	ds_load_2addr_b64 v[4:7], v148 offset0:38 offset1:39
	v_pk_add_f32 v[158:159], v[158:159], v[8:9] neg_lo:[0,1] neg_hi:[0,1]
	s_wait_dscnt 0x0
	v_pk_mul_f32 v[8:9], v[4:5], v[2:3] op_sel:[0,1]
	v_pk_fma_f32 v[10:11], v[4:5], v[0:1], v[8:9] op_sel:[0,0,1] op_sel_hi:[1,1,0] neg_lo:[0,0,1] neg_hi:[0,0,1]
	v_pk_fma_f32 v[4:5], v[4:5], v[0:1], v[8:9] op_sel:[0,0,1] op_sel_hi:[1,0,0]
	s_delay_alu instid0(VALU_DEP_1) | instskip(SKIP_1) | instid1(VALU_DEP_1)
	v_mov_b32_e32 v11, v5
	v_pk_mul_f32 v[4:5], v[6:7], v[2:3] op_sel:[0,1]
	v_pk_fma_f32 v[8:9], v[6:7], v[0:1], v[4:5] op_sel:[0,0,1] op_sel_hi:[1,1,0] neg_lo:[0,0,1] neg_hi:[0,0,1]
	v_pk_fma_f32 v[4:5], v[6:7], v[0:1], v[4:5] op_sel:[0,0,1] op_sel_hi:[1,0,0]
	s_delay_alu instid0(VALU_DEP_1)
	v_mov_b32_e32 v9, v5
	ds_load_2addr_b64 v[4:7], v148 offset0:40 offset1:41
	v_pk_add_f32 v[160:161], v[160:161], v[10:11] neg_lo:[0,1] neg_hi:[0,1]
	v_pk_add_f32 v[156:157], v[156:157], v[8:9] neg_lo:[0,1] neg_hi:[0,1]
	s_wait_dscnt 0x0
	v_pk_mul_f32 v[8:9], v[4:5], v[2:3] op_sel:[0,1]
	s_delay_alu instid0(VALU_DEP_1) | instskip(SKIP_1) | instid1(VALU_DEP_1)
	v_pk_fma_f32 v[10:11], v[4:5], v[0:1], v[8:9] op_sel:[0,0,1] op_sel_hi:[1,1,0] neg_lo:[0,0,1] neg_hi:[0,0,1]
	v_pk_fma_f32 v[4:5], v[4:5], v[0:1], v[8:9] op_sel:[0,0,1] op_sel_hi:[1,0,0]
	v_mov_b32_e32 v11, v5
	v_pk_mul_f32 v[4:5], v[6:7], v[2:3] op_sel:[0,1]
	s_delay_alu instid0(VALU_DEP_1) | instskip(SKIP_1) | instid1(VALU_DEP_1)
	v_pk_fma_f32 v[8:9], v[6:7], v[0:1], v[4:5] op_sel:[0,0,1] op_sel_hi:[1,1,0] neg_lo:[0,0,1] neg_hi:[0,0,1]
	v_pk_fma_f32 v[4:5], v[6:7], v[0:1], v[4:5] op_sel:[0,0,1] op_sel_hi:[1,0,0]
	v_mov_b32_e32 v9, v5
	ds_load_2addr_b64 v[4:7], v148 offset0:42 offset1:43
	v_pk_add_f32 v[178:179], v[178:179], v[10:11] neg_lo:[0,1] neg_hi:[0,1]
	v_pk_add_f32 v[174:175], v[174:175], v[8:9] neg_lo:[0,1] neg_hi:[0,1]
	s_wait_dscnt 0x0
	v_dual_mul_f32 v8, v5, v3 :: v_dual_mul_f32 v10, v5, v0
	s_delay_alu instid0(VALU_DEP_1) | instskip(NEXT) | instid1(VALU_DEP_2)
	v_pk_fma_f32 v[8:9], v[4:5], v[60:61], v[8:9] op_sel_hi:[1,1,0] neg_lo:[0,0,1] neg_hi:[0,0,1]
	v_pk_fma_f32 v[4:5], v[4:5], v[60:61], v[10:11] op_sel:[1,0,0] op_sel_hi:[0,1,0]
	s_delay_alu instid0(VALU_DEP_1) | instskip(SKIP_1) | instid1(VALU_DEP_2)
	v_mov_b32_e32 v9, v5
	v_pk_mul_f32 v[4:5], v[6:7], v[2:3] op_sel:[0,1]
	v_pk_add_f32 v[176:177], v[176:177], v[8:9] neg_lo:[0,1] neg_hi:[0,1]
	s_delay_alu instid0(VALU_DEP_2) | instskip(SKIP_1) | instid1(VALU_DEP_1)
	v_pk_fma_f32 v[8:9], v[6:7], v[0:1], v[4:5] op_sel:[0,0,1] op_sel_hi:[1,1,0] neg_lo:[0,0,1] neg_hi:[0,0,1]
	v_pk_fma_f32 v[4:5], v[6:7], v[0:1], v[4:5] op_sel:[0,0,1] op_sel_hi:[1,0,0]
	v_mov_b32_e32 v9, v5
	ds_load_2addr_b64 v[4:7], v148 offset0:44 offset1:45
	v_pk_add_f32 v[172:173], v[172:173], v[8:9] neg_lo:[0,1] neg_hi:[0,1]
	s_wait_dscnt 0x0
	v_pk_mul_f32 v[8:9], v[4:5], v[2:3] op_sel:[0,1]
	s_delay_alu instid0(VALU_DEP_1) | instskip(SKIP_1) | instid1(VALU_DEP_1)
	v_pk_fma_f32 v[10:11], v[4:5], v[0:1], v[8:9] op_sel:[0,0,1] op_sel_hi:[1,1,0] neg_lo:[0,0,1] neg_hi:[0,0,1]
	v_pk_fma_f32 v[4:5], v[4:5], v[0:1], v[8:9] op_sel:[0,0,1] op_sel_hi:[1,0,0]
	v_mov_b32_e32 v11, v5
	v_pk_mul_f32 v[4:5], v[6:7], v[2:3] op_sel:[0,1]
	s_delay_alu instid0(VALU_DEP_2) | instskip(NEXT) | instid1(VALU_DEP_2)
	v_pk_add_f32 v[196:197], v[196:197], v[10:11] neg_lo:[0,1] neg_hi:[0,1]
	v_pk_fma_f32 v[8:9], v[6:7], v[0:1], v[4:5] op_sel:[0,0,1] op_sel_hi:[1,1,0] neg_lo:[0,0,1] neg_hi:[0,0,1]
	v_pk_fma_f32 v[4:5], v[6:7], v[0:1], v[4:5] op_sel:[0,0,1] op_sel_hi:[1,0,0]
	s_delay_alu instid0(VALU_DEP_1) | instskip(SKIP_4) | instid1(VALU_DEP_1)
	v_mov_b32_e32 v9, v5
	ds_load_2addr_b64 v[4:7], v148 offset0:46 offset1:47
	v_pk_add_f32 v[192:193], v[192:193], v[8:9] neg_lo:[0,1] neg_hi:[0,1]
	s_wait_dscnt 0x0
	v_pk_mul_f32 v[8:9], v[4:5], v[2:3] op_sel:[0,1]
	v_pk_fma_f32 v[10:11], v[4:5], v[0:1], v[8:9] op_sel:[0,0,1] op_sel_hi:[1,1,0] neg_lo:[0,0,1] neg_hi:[0,0,1]
	v_pk_fma_f32 v[4:5], v[4:5], v[0:1], v[8:9] op_sel:[0,0,1] op_sel_hi:[1,0,0]
	v_dual_mul_f32 v8, v7, v3 :: v_dual_mov_b32 v4, v7
	s_delay_alu instid0(VALU_DEP_2) | instskip(NEXT) | instid1(VALU_DEP_2)
	v_dual_mov_b32 v11, v5 :: v_dual_mov_b32 v5, v6
	v_pk_fma_f32 v[8:9], v[6:7], v[60:61], v[8:9] op_sel_hi:[1,1,0] neg_lo:[0,0,1] neg_hi:[0,0,1]
	v_mul_f32_e32 v6, v7, v0
	s_delay_alu instid0(VALU_DEP_3) | instskip(NEXT) | instid1(VALU_DEP_2)
	v_pk_add_f32 v[194:195], v[194:195], v[10:11] neg_lo:[0,1] neg_hi:[0,1]
	v_pk_fma_f32 v[4:5], v[4:5], v[60:61], v[6:7] op_sel_hi:[1,1,0]
	s_delay_alu instid0(VALU_DEP_1) | instskip(SKIP_4) | instid1(VALU_DEP_1)
	v_mov_b32_e32 v9, v5
	ds_load_2addr_b64 v[4:7], v148 offset0:48 offset1:49
	v_pk_add_f32 v[190:191], v[190:191], v[8:9] neg_lo:[0,1] neg_hi:[0,1]
	s_wait_dscnt 0x0
	v_pk_mul_f32 v[8:9], v[4:5], v[2:3] op_sel:[0,1]
	v_pk_fma_f32 v[10:11], v[4:5], v[0:1], v[8:9] op_sel:[0,0,1] op_sel_hi:[1,1,0] neg_lo:[0,0,1] neg_hi:[0,0,1]
	v_pk_fma_f32 v[4:5], v[4:5], v[0:1], v[8:9] op_sel:[0,0,1] op_sel_hi:[1,0,0]
	s_delay_alu instid0(VALU_DEP_1) | instskip(SKIP_1) | instid1(VALU_DEP_1)
	v_mov_b32_e32 v11, v5
	v_pk_mul_f32 v[4:5], v[6:7], v[2:3] op_sel:[0,1]
	v_pk_fma_f32 v[8:9], v[6:7], v[0:1], v[4:5] op_sel:[0,0,1] op_sel_hi:[1,1,0] neg_lo:[0,0,1] neg_hi:[0,0,1]
	v_pk_fma_f32 v[4:5], v[6:7], v[0:1], v[4:5] op_sel:[0,0,1] op_sel_hi:[1,0,0]
	s_delay_alu instid0(VALU_DEP_1)
	v_mov_b32_e32 v9, v5
	ds_load_2addr_b64 v[4:7], v148 offset0:50 offset1:51
	v_pk_add_f32 v[212:213], v[212:213], v[10:11] neg_lo:[0,1] neg_hi:[0,1]
	v_pk_add_f32 v[208:209], v[208:209], v[8:9] neg_lo:[0,1] neg_hi:[0,1]
	s_wait_dscnt 0x0
	v_pk_mul_f32 v[8:9], v[4:5], v[2:3] op_sel:[0,1]
	s_delay_alu instid0(VALU_DEP_1) | instskip(SKIP_1) | instid1(VALU_DEP_1)
	v_pk_fma_f32 v[10:11], v[4:5], v[0:1], v[8:9] op_sel:[0,0,1] op_sel_hi:[1,1,0] neg_lo:[0,0,1] neg_hi:[0,0,1]
	v_pk_fma_f32 v[4:5], v[4:5], v[0:1], v[8:9] op_sel:[0,0,1] op_sel_hi:[1,0,0]
	v_mov_b32_e32 v11, v5
	v_pk_mul_f32 v[4:5], v[6:7], v[2:3] op_sel:[0,1]
	s_delay_alu instid0(VALU_DEP_1) | instskip(SKIP_1) | instid1(VALU_DEP_1)
	v_pk_fma_f32 v[8:9], v[6:7], v[0:1], v[4:5] op_sel:[0,0,1] op_sel_hi:[1,1,0] neg_lo:[0,0,1] neg_hi:[0,0,1]
	v_pk_fma_f32 v[4:5], v[6:7], v[0:1], v[4:5] op_sel:[0,0,1] op_sel_hi:[1,0,0]
	v_mov_b32_e32 v9, v5
	ds_load_2addr_b64 v[4:7], v148 offset0:52 offset1:53
	v_pk_add_f32 v[210:211], v[210:211], v[10:11] neg_lo:[0,1] neg_hi:[0,1]
	v_pk_add_f32 v[206:207], v[206:207], v[8:9] neg_lo:[0,1] neg_hi:[0,1]
	s_wait_dscnt 0x0
	v_dual_mul_f32 v8, v5, v3 :: v_dual_mul_f32 v10, v5, v0
	v_pk_mul_f32 v[2:3], v[6:7], v[2:3] op_sel:[0,1]
	s_delay_alu instid0(VALU_DEP_2) | instskip(NEXT) | instid1(VALU_DEP_3)
	v_pk_fma_f32 v[8:9], v[4:5], v[60:61], v[8:9] op_sel_hi:[1,1,0] neg_lo:[0,0,1] neg_hi:[0,0,1]
	v_pk_fma_f32 v[4:5], v[4:5], v[60:61], v[10:11] op_sel:[1,0,0] op_sel_hi:[0,1,0]
	s_delay_alu instid0(VALU_DEP_1) | instskip(NEXT) | instid1(VALU_DEP_4)
	v_mov_b32_e32 v9, v5
	v_pk_fma_f32 v[4:5], v[6:7], v[0:1], v[2:3] op_sel:[0,0,1] op_sel_hi:[1,1,0] neg_lo:[0,0,1] neg_hi:[0,0,1]
	v_pk_fma_f32 v[0:1], v[6:7], v[0:1], v[2:3] op_sel:[0,0,1] op_sel_hi:[1,0,0]
	s_delay_alu instid0(VALU_DEP_1) | instskip(NEXT) | instid1(VALU_DEP_4)
	v_mov_b32_e32 v5, v1
	v_pk_add_f32 v[214:215], v[214:215], v[8:9] neg_lo:[0,1] neg_hi:[0,1]
	s_delay_alu instid0(VALU_DEP_2)
	v_pk_add_f32 v[216:217], v[216:217], v[4:5] neg_lo:[0,1] neg_hi:[0,1]
.LBB107_127:
	s_wait_xcnt 0x0
	s_or_b32 exec_lo, exec_lo, s1
	s_delay_alu instid0(SALU_CYCLE_1)
	s_mov_b32 s2, exec_lo
	s_wait_storecnt 0x0
	s_barrier_signal -1
	s_barrier_wait -1
	v_cmpx_eq_u32_e32 14, v138
	s_cbranch_execz .LBB107_134
; %bb.128:
	ds_store_b64 v139, v[62:63]
	ds_store_2addr_b64 v148, v[58:59], v[80:81] offset0:15 offset1:16
	ds_store_2addr_b64 v148, v[76:77], v[78:79] offset0:17 offset1:18
	;; [unrolled: 1-line block ×19, first 2 shown]
	ds_store_b64 v148, v[216:217] offset:424
	ds_load_b64 v[0:1], v139
	s_wait_dscnt 0x0
	v_cmp_neq_f32_e32 vcc_lo, 0, v0
	v_cmp_neq_f32_e64 s1, 0, v1
	s_or_b32 s1, vcc_lo, s1
	s_delay_alu instid0(SALU_CYCLE_1)
	s_and_b32 exec_lo, exec_lo, s1
	s_cbranch_execz .LBB107_134
; %bb.129:
	v_cmp_ngt_f32_e64 s1, |v0|, |v1|
                                        ; implicit-def: $vgpr2_vgpr3
	s_and_saveexec_b32 s4, s1
	s_delay_alu instid0(SALU_CYCLE_1)
	s_xor_b32 s1, exec_lo, s4
	s_cbranch_execz .LBB107_131
; %bb.130:
	v_div_scale_f32 v2, null, v1, v1, v0
	v_div_scale_f32 v5, vcc_lo, v0, v1, v0
	s_delay_alu instid0(VALU_DEP_2) | instskip(SKIP_1) | instid1(TRANS32_DEP_1)
	v_rcp_f32_e32 v3, v2
	v_nop
	v_fma_f32 v4, -v2, v3, 1.0
	s_delay_alu instid0(VALU_DEP_1) | instskip(NEXT) | instid1(VALU_DEP_1)
	v_fmac_f32_e32 v3, v4, v3
	v_mul_f32_e32 v4, v5, v3
	s_delay_alu instid0(VALU_DEP_1) | instskip(NEXT) | instid1(VALU_DEP_1)
	v_fma_f32 v6, -v2, v4, v5
	v_fmac_f32_e32 v4, v6, v3
	s_delay_alu instid0(VALU_DEP_1) | instskip(NEXT) | instid1(VALU_DEP_1)
	v_fma_f32 v2, -v2, v4, v5
	v_div_fmas_f32 v2, v2, v3, v4
	s_delay_alu instid0(VALU_DEP_1) | instskip(NEXT) | instid1(VALU_DEP_1)
	v_div_fixup_f32 v2, v2, v1, v0
	v_fmac_f32_e32 v1, v0, v2
	s_delay_alu instid0(VALU_DEP_1) | instskip(SKIP_1) | instid1(VALU_DEP_2)
	v_div_scale_f32 v0, null, v1, v1, 1.0
	v_div_scale_f32 v5, vcc_lo, 1.0, v1, 1.0
	v_rcp_f32_e32 v3, v0
	v_nop
	s_delay_alu instid0(TRANS32_DEP_1) | instskip(NEXT) | instid1(VALU_DEP_1)
	v_fma_f32 v4, -v0, v3, 1.0
	v_fmac_f32_e32 v3, v4, v3
	s_delay_alu instid0(VALU_DEP_1) | instskip(NEXT) | instid1(VALU_DEP_1)
	v_mul_f32_e32 v4, v5, v3
	v_fma_f32 v6, -v0, v4, v5
	s_delay_alu instid0(VALU_DEP_1) | instskip(NEXT) | instid1(VALU_DEP_1)
	v_fmac_f32_e32 v4, v6, v3
	v_fma_f32 v0, -v0, v4, v5
	s_delay_alu instid0(VALU_DEP_1) | instskip(NEXT) | instid1(VALU_DEP_1)
	v_div_fmas_f32 v0, v0, v3, v4
	v_div_fixup_f32 v0, v0, v1, 1.0
	s_delay_alu instid0(VALU_DEP_1)
	v_mul_f32_e32 v2, v2, v0
	v_xor_b32_e32 v3, 0x80000000, v0
                                        ; implicit-def: $vgpr0_vgpr1
.LBB107_131:
	s_and_not1_saveexec_b32 s1, s1
	s_cbranch_execz .LBB107_133
; %bb.132:
	v_div_scale_f32 v2, null, v0, v0, v1
	v_div_scale_f32 v5, vcc_lo, v1, v0, v1
	s_delay_alu instid0(VALU_DEP_2) | instskip(SKIP_1) | instid1(TRANS32_DEP_1)
	v_rcp_f32_e32 v3, v2
	v_nop
	v_fma_f32 v4, -v2, v3, 1.0
	s_delay_alu instid0(VALU_DEP_1) | instskip(NEXT) | instid1(VALU_DEP_1)
	v_fmac_f32_e32 v3, v4, v3
	v_mul_f32_e32 v4, v5, v3
	s_delay_alu instid0(VALU_DEP_1) | instskip(NEXT) | instid1(VALU_DEP_1)
	v_fma_f32 v6, -v2, v4, v5
	v_fmac_f32_e32 v4, v6, v3
	s_delay_alu instid0(VALU_DEP_1) | instskip(NEXT) | instid1(VALU_DEP_1)
	v_fma_f32 v2, -v2, v4, v5
	v_div_fmas_f32 v2, v2, v3, v4
	s_delay_alu instid0(VALU_DEP_1) | instskip(NEXT) | instid1(VALU_DEP_1)
	v_div_fixup_f32 v3, v2, v0, v1
	v_fmac_f32_e32 v0, v1, v3
	s_delay_alu instid0(VALU_DEP_1) | instskip(NEXT) | instid1(VALU_DEP_1)
	v_div_scale_f32 v1, null, v0, v0, 1.0
	v_rcp_f32_e32 v2, v1
	v_nop
	s_delay_alu instid0(TRANS32_DEP_1) | instskip(NEXT) | instid1(VALU_DEP_1)
	v_fma_f32 v4, -v1, v2, 1.0
	v_fmac_f32_e32 v2, v4, v2
	v_div_scale_f32 v4, vcc_lo, 1.0, v0, 1.0
	s_delay_alu instid0(VALU_DEP_1) | instskip(NEXT) | instid1(VALU_DEP_1)
	v_mul_f32_e32 v5, v4, v2
	v_fma_f32 v6, -v1, v5, v4
	s_delay_alu instid0(VALU_DEP_1) | instskip(NEXT) | instid1(VALU_DEP_1)
	v_fmac_f32_e32 v5, v6, v2
	v_fma_f32 v1, -v1, v5, v4
	s_delay_alu instid0(VALU_DEP_1) | instskip(NEXT) | instid1(VALU_DEP_1)
	v_div_fmas_f32 v1, v1, v2, v5
	v_div_fixup_f32 v2, v1, v0, 1.0
	s_delay_alu instid0(VALU_DEP_1)
	v_mul_f32_e64 v3, v3, -v2
.LBB107_133:
	s_or_b32 exec_lo, exec_lo, s1
	ds_store_b64 v139, v[2:3]
.LBB107_134:
	s_or_b32 exec_lo, exec_lo, s2
	s_wait_dscnt 0x0
	s_barrier_signal -1
	s_barrier_wait -1
	ds_load_b64 v[0:1], v139
	s_mov_b32 s1, exec_lo
	s_wait_dscnt 0x0
	scratch_store_b64 off, v[0:1], off offset:280 ; 8-byte Folded Spill
	s_wait_xcnt 0x0
	v_cmpx_lt_u32_e32 14, v138
	s_cbranch_execz .LBB107_136
; %bb.135:
	scratch_load_b64 v[4:5], off, off offset:280 ; 8-byte Folded Reload
	s_wait_loadcnt 0x0
	v_pk_mul_f32 v[2:3], v[4:5], v[62:63] op_sel:[1,1] op_sel_hi:[0,1]
	s_delay_alu instid0(VALU_DEP_1)
	v_pk_fma_f32 v[0:1], v[4:5], v[62:63], v[2:3] op_sel_hi:[1,0,1] neg_lo:[0,0,1] neg_hi:[0,0,1]
	v_pk_fma_f32 v[2:3], v[4:5], v[62:63], v[2:3] op_sel_hi:[1,0,1]
	ds_load_2addr_b64 v[4:7], v148 offset0:15 offset1:16
	v_dual_mov_b32 v62, v0 :: v_dual_mov_b32 v63, v3
	s_wait_dscnt 0x0
	v_pk_mul_f32 v[8:9], v[4:5], v[2:3] op_sel:[0,1]
	s_delay_alu instid0(VALU_DEP_1) | instskip(SKIP_1) | instid1(VALU_DEP_1)
	v_pk_fma_f32 v[10:11], v[4:5], v[0:1], v[8:9] op_sel:[0,0,1] op_sel_hi:[1,1,0] neg_lo:[0,0,1] neg_hi:[0,0,1]
	v_pk_fma_f32 v[4:5], v[4:5], v[0:1], v[8:9] op_sel:[0,0,1] op_sel_hi:[1,0,0]
	v_mov_b32_e32 v11, v5
	v_pk_mul_f32 v[4:5], v[6:7], v[2:3] op_sel:[0,1]
	s_delay_alu instid0(VALU_DEP_1) | instskip(SKIP_1) | instid1(VALU_DEP_1)
	v_pk_fma_f32 v[8:9], v[6:7], v[0:1], v[4:5] op_sel:[0,0,1] op_sel_hi:[1,1,0] neg_lo:[0,0,1] neg_hi:[0,0,1]
	v_pk_fma_f32 v[4:5], v[6:7], v[0:1], v[4:5] op_sel:[0,0,1] op_sel_hi:[1,0,0]
	v_mov_b32_e32 v9, v5
	ds_load_2addr_b64 v[4:7], v148 offset0:17 offset1:18
	v_pk_add_f32 v[58:59], v[58:59], v[10:11] neg_lo:[0,1] neg_hi:[0,1]
	v_pk_add_f32 v[80:81], v[80:81], v[8:9] neg_lo:[0,1] neg_hi:[0,1]
	s_wait_dscnt 0x0
	v_pk_mul_f32 v[8:9], v[4:5], v[2:3] op_sel:[0,1]
	s_delay_alu instid0(VALU_DEP_1) | instskip(SKIP_2) | instid1(VALU_DEP_2)
	v_pk_fma_f32 v[10:11], v[4:5], v[0:1], v[8:9] op_sel:[0,0,1] op_sel_hi:[1,1,0] neg_lo:[0,0,1] neg_hi:[0,0,1]
	v_pk_fma_f32 v[4:5], v[4:5], v[0:1], v[8:9] op_sel:[0,0,1] op_sel_hi:[1,0,0]
	v_dual_mul_f32 v8, v7, v3 :: v_dual_mov_b32 v4, v7
	v_dual_mov_b32 v11, v5 :: v_dual_mov_b32 v5, v6
	s_delay_alu instid0(VALU_DEP_2) | instskip(SKIP_1) | instid1(VALU_DEP_3)
	v_pk_fma_f32 v[8:9], v[6:7], v[62:63], v[8:9] op_sel_hi:[1,1,0] neg_lo:[0,0,1] neg_hi:[0,0,1]
	v_mul_f32_e32 v6, v7, v0
	v_pk_add_f32 v[76:77], v[76:77], v[10:11] neg_lo:[0,1] neg_hi:[0,1]
	s_delay_alu instid0(VALU_DEP_2) | instskip(NEXT) | instid1(VALU_DEP_1)
	v_pk_fma_f32 v[4:5], v[4:5], v[62:63], v[6:7] op_sel_hi:[1,1,0]
	v_mov_b32_e32 v9, v5
	ds_load_2addr_b64 v[4:7], v148 offset0:19 offset1:20
	v_pk_add_f32 v[78:79], v[78:79], v[8:9] neg_lo:[0,1] neg_hi:[0,1]
	s_wait_dscnt 0x0
	v_pk_mul_f32 v[8:9], v[4:5], v[2:3] op_sel:[0,1]
	s_delay_alu instid0(VALU_DEP_1) | instskip(SKIP_1) | instid1(VALU_DEP_1)
	v_pk_fma_f32 v[10:11], v[4:5], v[0:1], v[8:9] op_sel:[0,0,1] op_sel_hi:[1,1,0] neg_lo:[0,0,1] neg_hi:[0,0,1]
	v_pk_fma_f32 v[4:5], v[4:5], v[0:1], v[8:9] op_sel:[0,0,1] op_sel_hi:[1,0,0]
	v_mov_b32_e32 v11, v5
	v_pk_mul_f32 v[4:5], v[6:7], v[2:3] op_sel:[0,1]
	s_delay_alu instid0(VALU_DEP_1) | instskip(SKIP_1) | instid1(VALU_DEP_1)
	v_pk_fma_f32 v[8:9], v[6:7], v[0:1], v[4:5] op_sel:[0,0,1] op_sel_hi:[1,1,0] neg_lo:[0,0,1] neg_hi:[0,0,1]
	v_pk_fma_f32 v[4:5], v[6:7], v[0:1], v[4:5] op_sel:[0,0,1] op_sel_hi:[1,0,0]
	v_mov_b32_e32 v9, v5
	ds_load_2addr_b64 v[4:7], v148 offset0:21 offset1:22
	v_pk_add_f32 v[74:75], v[74:75], v[10:11] neg_lo:[0,1] neg_hi:[0,1]
	v_pk_add_f32 v[96:97], v[96:97], v[8:9] neg_lo:[0,1] neg_hi:[0,1]
	s_wait_dscnt 0x0
	v_pk_mul_f32 v[8:9], v[4:5], v[2:3] op_sel:[0,1]
	s_delay_alu instid0(VALU_DEP_1) | instskip(SKIP_1) | instid1(VALU_DEP_1)
	v_pk_fma_f32 v[10:11], v[4:5], v[0:1], v[8:9] op_sel:[0,0,1] op_sel_hi:[1,1,0] neg_lo:[0,0,1] neg_hi:[0,0,1]
	v_pk_fma_f32 v[4:5], v[4:5], v[0:1], v[8:9] op_sel:[0,0,1] op_sel_hi:[1,0,0]
	v_mov_b32_e32 v11, v5
	v_pk_mul_f32 v[4:5], v[6:7], v[2:3] op_sel:[0,1]
	s_delay_alu instid0(VALU_DEP_1) | instskip(SKIP_1) | instid1(VALU_DEP_1)
	v_pk_fma_f32 v[8:9], v[6:7], v[0:1], v[4:5] op_sel:[0,0,1] op_sel_hi:[1,1,0] neg_lo:[0,0,1] neg_hi:[0,0,1]
	v_pk_fma_f32 v[4:5], v[6:7], v[0:1], v[4:5] op_sel:[0,0,1] op_sel_hi:[1,0,0]
	v_mov_b32_e32 v9, v5
	ds_load_2addr_b64 v[4:7], v148 offset0:23 offset1:24
	v_pk_add_f32 v[92:93], v[92:93], v[10:11] neg_lo:[0,1] neg_hi:[0,1]
	v_pk_add_f32 v[94:95], v[94:95], v[8:9] neg_lo:[0,1] neg_hi:[0,1]
	s_wait_dscnt 0x0
	v_dual_mul_f32 v8, v5, v3 :: v_dual_mul_f32 v10, v5, v0
	s_delay_alu instid0(VALU_DEP_1) | instskip(NEXT) | instid1(VALU_DEP_2)
	v_pk_fma_f32 v[8:9], v[4:5], v[62:63], v[8:9] op_sel_hi:[1,1,0] neg_lo:[0,0,1] neg_hi:[0,0,1]
	v_pk_fma_f32 v[4:5], v[4:5], v[62:63], v[10:11] op_sel:[1,0,0] op_sel_hi:[0,1,0]
	s_delay_alu instid0(VALU_DEP_1) | instskip(SKIP_1) | instid1(VALU_DEP_2)
	v_mov_b32_e32 v9, v5
	v_pk_mul_f32 v[4:5], v[6:7], v[2:3] op_sel:[0,1]
	v_pk_add_f32 v[90:91], v[90:91], v[8:9] neg_lo:[0,1] neg_hi:[0,1]
	s_delay_alu instid0(VALU_DEP_2) | instskip(SKIP_1) | instid1(VALU_DEP_1)
	v_pk_fma_f32 v[8:9], v[6:7], v[0:1], v[4:5] op_sel:[0,0,1] op_sel_hi:[1,1,0] neg_lo:[0,0,1] neg_hi:[0,0,1]
	v_pk_fma_f32 v[4:5], v[6:7], v[0:1], v[4:5] op_sel:[0,0,1] op_sel_hi:[1,0,0]
	v_mov_b32_e32 v9, v5
	ds_load_2addr_b64 v[4:7], v148 offset0:25 offset1:26
	v_pk_add_f32 v[112:113], v[112:113], v[8:9] neg_lo:[0,1] neg_hi:[0,1]
	s_wait_dscnt 0x0
	v_pk_mul_f32 v[8:9], v[4:5], v[2:3] op_sel:[0,1]
	s_delay_alu instid0(VALU_DEP_1) | instskip(SKIP_1) | instid1(VALU_DEP_1)
	v_pk_fma_f32 v[10:11], v[4:5], v[0:1], v[8:9] op_sel:[0,0,1] op_sel_hi:[1,1,0] neg_lo:[0,0,1] neg_hi:[0,0,1]
	v_pk_fma_f32 v[4:5], v[4:5], v[0:1], v[8:9] op_sel:[0,0,1] op_sel_hi:[1,0,0]
	v_mov_b32_e32 v11, v5
	v_pk_mul_f32 v[4:5], v[6:7], v[2:3] op_sel:[0,1]
	s_delay_alu instid0(VALU_DEP_2) | instskip(NEXT) | instid1(VALU_DEP_2)
	v_pk_add_f32 v[108:109], v[108:109], v[10:11] neg_lo:[0,1] neg_hi:[0,1]
	v_pk_fma_f32 v[8:9], v[6:7], v[0:1], v[4:5] op_sel:[0,0,1] op_sel_hi:[1,1,0] neg_lo:[0,0,1] neg_hi:[0,0,1]
	v_pk_fma_f32 v[4:5], v[6:7], v[0:1], v[4:5] op_sel:[0,0,1] op_sel_hi:[1,0,0]
	s_delay_alu instid0(VALU_DEP_1) | instskip(SKIP_4) | instid1(VALU_DEP_1)
	v_mov_b32_e32 v9, v5
	ds_load_2addr_b64 v[4:7], v148 offset0:27 offset1:28
	v_pk_add_f32 v[110:111], v[110:111], v[8:9] neg_lo:[0,1] neg_hi:[0,1]
	s_wait_dscnt 0x0
	v_pk_mul_f32 v[8:9], v[4:5], v[2:3] op_sel:[0,1]
	v_pk_fma_f32 v[10:11], v[4:5], v[0:1], v[8:9] op_sel:[0,0,1] op_sel_hi:[1,1,0] neg_lo:[0,0,1] neg_hi:[0,0,1]
	v_pk_fma_f32 v[4:5], v[4:5], v[0:1], v[8:9] op_sel:[0,0,1] op_sel_hi:[1,0,0]
	v_dual_mul_f32 v8, v7, v3 :: v_dual_mov_b32 v4, v7
	s_delay_alu instid0(VALU_DEP_2) | instskip(NEXT) | instid1(VALU_DEP_2)
	v_dual_mov_b32 v11, v5 :: v_dual_mov_b32 v5, v6
	v_pk_fma_f32 v[8:9], v[6:7], v[62:63], v[8:9] op_sel_hi:[1,1,0] neg_lo:[0,0,1] neg_hi:[0,0,1]
	v_mul_f32_e32 v6, v7, v0
	s_delay_alu instid0(VALU_DEP_3) | instskip(NEXT) | instid1(VALU_DEP_2)
	v_pk_add_f32 v[106:107], v[106:107], v[10:11] neg_lo:[0,1] neg_hi:[0,1]
	v_pk_fma_f32 v[4:5], v[4:5], v[62:63], v[6:7] op_sel_hi:[1,1,0]
	s_delay_alu instid0(VALU_DEP_1) | instskip(SKIP_4) | instid1(VALU_DEP_1)
	v_mov_b32_e32 v9, v5
	ds_load_2addr_b64 v[4:7], v148 offset0:29 offset1:30
	v_pk_add_f32 v[130:131], v[130:131], v[8:9] neg_lo:[0,1] neg_hi:[0,1]
	s_wait_dscnt 0x0
	v_pk_mul_f32 v[8:9], v[4:5], v[2:3] op_sel:[0,1]
	v_pk_fma_f32 v[10:11], v[4:5], v[0:1], v[8:9] op_sel:[0,0,1] op_sel_hi:[1,1,0] neg_lo:[0,0,1] neg_hi:[0,0,1]
	v_pk_fma_f32 v[4:5], v[4:5], v[0:1], v[8:9] op_sel:[0,0,1] op_sel_hi:[1,0,0]
	s_delay_alu instid0(VALU_DEP_1) | instskip(SKIP_1) | instid1(VALU_DEP_1)
	v_mov_b32_e32 v11, v5
	v_pk_mul_f32 v[4:5], v[6:7], v[2:3] op_sel:[0,1]
	v_pk_fma_f32 v[8:9], v[6:7], v[0:1], v[4:5] op_sel:[0,0,1] op_sel_hi:[1,1,0] neg_lo:[0,0,1] neg_hi:[0,0,1]
	v_pk_fma_f32 v[4:5], v[6:7], v[0:1], v[4:5] op_sel:[0,0,1] op_sel_hi:[1,0,0]
	s_delay_alu instid0(VALU_DEP_1)
	v_mov_b32_e32 v9, v5
	ds_load_2addr_b64 v[4:7], v148 offset0:31 offset1:32
	v_pk_add_f32 v[126:127], v[126:127], v[10:11] neg_lo:[0,1] neg_hi:[0,1]
	v_pk_add_f32 v[128:129], v[128:129], v[8:9] neg_lo:[0,1] neg_hi:[0,1]
	s_wait_dscnt 0x0
	v_pk_mul_f32 v[8:9], v[4:5], v[2:3] op_sel:[0,1]
	s_delay_alu instid0(VALU_DEP_1) | instskip(SKIP_1) | instid1(VALU_DEP_1)
	v_pk_fma_f32 v[10:11], v[4:5], v[0:1], v[8:9] op_sel:[0,0,1] op_sel_hi:[1,1,0] neg_lo:[0,0,1] neg_hi:[0,0,1]
	v_pk_fma_f32 v[4:5], v[4:5], v[0:1], v[8:9] op_sel:[0,0,1] op_sel_hi:[1,0,0]
	v_mov_b32_e32 v11, v5
	v_pk_mul_f32 v[4:5], v[6:7], v[2:3] op_sel:[0,1]
	s_delay_alu instid0(VALU_DEP_1) | instskip(SKIP_1) | instid1(VALU_DEP_1)
	v_pk_fma_f32 v[8:9], v[6:7], v[0:1], v[4:5] op_sel:[0,0,1] op_sel_hi:[1,1,0] neg_lo:[0,0,1] neg_hi:[0,0,1]
	v_pk_fma_f32 v[4:5], v[6:7], v[0:1], v[4:5] op_sel:[0,0,1] op_sel_hi:[1,0,0]
	v_mov_b32_e32 v9, v5
	ds_load_2addr_b64 v[4:7], v148 offset0:33 offset1:34
	v_pk_add_f32 v[124:125], v[124:125], v[10:11] neg_lo:[0,1] neg_hi:[0,1]
	v_pk_add_f32 v[146:147], v[146:147], v[8:9] neg_lo:[0,1] neg_hi:[0,1]
	s_wait_dscnt 0x0
	v_dual_mul_f32 v8, v5, v3 :: v_dual_mul_f32 v10, v5, v0
	s_delay_alu instid0(VALU_DEP_1) | instskip(NEXT) | instid1(VALU_DEP_2)
	v_pk_fma_f32 v[8:9], v[4:5], v[62:63], v[8:9] op_sel_hi:[1,1,0] neg_lo:[0,0,1] neg_hi:[0,0,1]
	v_pk_fma_f32 v[4:5], v[4:5], v[62:63], v[10:11] op_sel:[1,0,0] op_sel_hi:[0,1,0]
	s_delay_alu instid0(VALU_DEP_1) | instskip(SKIP_1) | instid1(VALU_DEP_2)
	v_mov_b32_e32 v9, v5
	v_pk_mul_f32 v[4:5], v[6:7], v[2:3] op_sel:[0,1]
	v_pk_add_f32 v[142:143], v[142:143], v[8:9] neg_lo:[0,1] neg_hi:[0,1]
	s_delay_alu instid0(VALU_DEP_2) | instskip(SKIP_1) | instid1(VALU_DEP_1)
	v_pk_fma_f32 v[8:9], v[6:7], v[0:1], v[4:5] op_sel:[0,0,1] op_sel_hi:[1,1,0] neg_lo:[0,0,1] neg_hi:[0,0,1]
	v_pk_fma_f32 v[4:5], v[6:7], v[0:1], v[4:5] op_sel:[0,0,1] op_sel_hi:[1,0,0]
	v_mov_b32_e32 v9, v5
	ds_load_2addr_b64 v[4:7], v148 offset0:35 offset1:36
	v_pk_add_f32 v[144:145], v[144:145], v[8:9] neg_lo:[0,1] neg_hi:[0,1]
	s_wait_dscnt 0x0
	v_pk_mul_f32 v[8:9], v[4:5], v[2:3] op_sel:[0,1]
	s_delay_alu instid0(VALU_DEP_1) | instskip(SKIP_1) | instid1(VALU_DEP_1)
	v_pk_fma_f32 v[10:11], v[4:5], v[0:1], v[8:9] op_sel:[0,0,1] op_sel_hi:[1,1,0] neg_lo:[0,0,1] neg_hi:[0,0,1]
	v_pk_fma_f32 v[4:5], v[4:5], v[0:1], v[8:9] op_sel:[0,0,1] op_sel_hi:[1,0,0]
	v_mov_b32_e32 v11, v5
	v_pk_mul_f32 v[4:5], v[6:7], v[2:3] op_sel:[0,1]
	s_delay_alu instid0(VALU_DEP_2) | instskip(NEXT) | instid1(VALU_DEP_2)
	v_pk_add_f32 v[140:141], v[140:141], v[10:11] neg_lo:[0,1] neg_hi:[0,1]
	v_pk_fma_f32 v[8:9], v[6:7], v[0:1], v[4:5] op_sel:[0,0,1] op_sel_hi:[1,1,0] neg_lo:[0,0,1] neg_hi:[0,0,1]
	v_pk_fma_f32 v[4:5], v[6:7], v[0:1], v[4:5] op_sel:[0,0,1] op_sel_hi:[1,0,0]
	s_delay_alu instid0(VALU_DEP_1) | instskip(SKIP_4) | instid1(VALU_DEP_1)
	v_mov_b32_e32 v9, v5
	ds_load_2addr_b64 v[4:7], v148 offset0:37 offset1:38
	v_pk_add_f32 v[162:163], v[162:163], v[8:9] neg_lo:[0,1] neg_hi:[0,1]
	s_wait_dscnt 0x0
	v_pk_mul_f32 v[8:9], v[4:5], v[2:3] op_sel:[0,1]
	v_pk_fma_f32 v[10:11], v[4:5], v[0:1], v[8:9] op_sel:[0,0,1] op_sel_hi:[1,1,0] neg_lo:[0,0,1] neg_hi:[0,0,1]
	v_pk_fma_f32 v[4:5], v[4:5], v[0:1], v[8:9] op_sel:[0,0,1] op_sel_hi:[1,0,0]
	v_dual_mul_f32 v8, v7, v3 :: v_dual_mov_b32 v4, v7
	s_delay_alu instid0(VALU_DEP_2) | instskip(NEXT) | instid1(VALU_DEP_2)
	v_dual_mov_b32 v11, v5 :: v_dual_mov_b32 v5, v6
	v_pk_fma_f32 v[8:9], v[6:7], v[62:63], v[8:9] op_sel_hi:[1,1,0] neg_lo:[0,0,1] neg_hi:[0,0,1]
	v_mul_f32_e32 v6, v7, v0
	s_delay_alu instid0(VALU_DEP_3) | instskip(NEXT) | instid1(VALU_DEP_2)
	v_pk_add_f32 v[158:159], v[158:159], v[10:11] neg_lo:[0,1] neg_hi:[0,1]
	v_pk_fma_f32 v[4:5], v[4:5], v[62:63], v[6:7] op_sel_hi:[1,1,0]
	s_delay_alu instid0(VALU_DEP_1) | instskip(SKIP_4) | instid1(VALU_DEP_1)
	v_mov_b32_e32 v9, v5
	ds_load_2addr_b64 v[4:7], v148 offset0:39 offset1:40
	v_pk_add_f32 v[160:161], v[160:161], v[8:9] neg_lo:[0,1] neg_hi:[0,1]
	s_wait_dscnt 0x0
	v_pk_mul_f32 v[8:9], v[4:5], v[2:3] op_sel:[0,1]
	v_pk_fma_f32 v[10:11], v[4:5], v[0:1], v[8:9] op_sel:[0,0,1] op_sel_hi:[1,1,0] neg_lo:[0,0,1] neg_hi:[0,0,1]
	v_pk_fma_f32 v[4:5], v[4:5], v[0:1], v[8:9] op_sel:[0,0,1] op_sel_hi:[1,0,0]
	s_delay_alu instid0(VALU_DEP_1) | instskip(SKIP_1) | instid1(VALU_DEP_1)
	v_mov_b32_e32 v11, v5
	v_pk_mul_f32 v[4:5], v[6:7], v[2:3] op_sel:[0,1]
	v_pk_fma_f32 v[8:9], v[6:7], v[0:1], v[4:5] op_sel:[0,0,1] op_sel_hi:[1,1,0] neg_lo:[0,0,1] neg_hi:[0,0,1]
	v_pk_fma_f32 v[4:5], v[6:7], v[0:1], v[4:5] op_sel:[0,0,1] op_sel_hi:[1,0,0]
	s_delay_alu instid0(VALU_DEP_1)
	v_mov_b32_e32 v9, v5
	ds_load_2addr_b64 v[4:7], v148 offset0:41 offset1:42
	v_pk_add_f32 v[156:157], v[156:157], v[10:11] neg_lo:[0,1] neg_hi:[0,1]
	v_pk_add_f32 v[178:179], v[178:179], v[8:9] neg_lo:[0,1] neg_hi:[0,1]
	s_wait_dscnt 0x0
	v_pk_mul_f32 v[8:9], v[4:5], v[2:3] op_sel:[0,1]
	s_delay_alu instid0(VALU_DEP_1) | instskip(SKIP_1) | instid1(VALU_DEP_1)
	v_pk_fma_f32 v[10:11], v[4:5], v[0:1], v[8:9] op_sel:[0,0,1] op_sel_hi:[1,1,0] neg_lo:[0,0,1] neg_hi:[0,0,1]
	v_pk_fma_f32 v[4:5], v[4:5], v[0:1], v[8:9] op_sel:[0,0,1] op_sel_hi:[1,0,0]
	v_mov_b32_e32 v11, v5
	v_pk_mul_f32 v[4:5], v[6:7], v[2:3] op_sel:[0,1]
	s_delay_alu instid0(VALU_DEP_1) | instskip(SKIP_1) | instid1(VALU_DEP_1)
	v_pk_fma_f32 v[8:9], v[6:7], v[0:1], v[4:5] op_sel:[0,0,1] op_sel_hi:[1,1,0] neg_lo:[0,0,1] neg_hi:[0,0,1]
	v_pk_fma_f32 v[4:5], v[6:7], v[0:1], v[4:5] op_sel:[0,0,1] op_sel_hi:[1,0,0]
	v_mov_b32_e32 v9, v5
	ds_load_2addr_b64 v[4:7], v148 offset0:43 offset1:44
	v_pk_add_f32 v[174:175], v[174:175], v[10:11] neg_lo:[0,1] neg_hi:[0,1]
	v_pk_add_f32 v[176:177], v[176:177], v[8:9] neg_lo:[0,1] neg_hi:[0,1]
	s_wait_dscnt 0x0
	v_dual_mul_f32 v8, v5, v3 :: v_dual_mul_f32 v10, v5, v0
	s_delay_alu instid0(VALU_DEP_1) | instskip(NEXT) | instid1(VALU_DEP_2)
	v_pk_fma_f32 v[8:9], v[4:5], v[62:63], v[8:9] op_sel_hi:[1,1,0] neg_lo:[0,0,1] neg_hi:[0,0,1]
	v_pk_fma_f32 v[4:5], v[4:5], v[62:63], v[10:11] op_sel:[1,0,0] op_sel_hi:[0,1,0]
	s_delay_alu instid0(VALU_DEP_1) | instskip(SKIP_1) | instid1(VALU_DEP_2)
	v_mov_b32_e32 v9, v5
	v_pk_mul_f32 v[4:5], v[6:7], v[2:3] op_sel:[0,1]
	v_pk_add_f32 v[172:173], v[172:173], v[8:9] neg_lo:[0,1] neg_hi:[0,1]
	s_delay_alu instid0(VALU_DEP_2) | instskip(SKIP_1) | instid1(VALU_DEP_1)
	v_pk_fma_f32 v[8:9], v[6:7], v[0:1], v[4:5] op_sel:[0,0,1] op_sel_hi:[1,1,0] neg_lo:[0,0,1] neg_hi:[0,0,1]
	v_pk_fma_f32 v[4:5], v[6:7], v[0:1], v[4:5] op_sel:[0,0,1] op_sel_hi:[1,0,0]
	v_mov_b32_e32 v9, v5
	ds_load_2addr_b64 v[4:7], v148 offset0:45 offset1:46
	v_pk_add_f32 v[196:197], v[196:197], v[8:9] neg_lo:[0,1] neg_hi:[0,1]
	s_wait_dscnt 0x0
	v_pk_mul_f32 v[8:9], v[4:5], v[2:3] op_sel:[0,1]
	s_delay_alu instid0(VALU_DEP_1) | instskip(SKIP_1) | instid1(VALU_DEP_1)
	v_pk_fma_f32 v[10:11], v[4:5], v[0:1], v[8:9] op_sel:[0,0,1] op_sel_hi:[1,1,0] neg_lo:[0,0,1] neg_hi:[0,0,1]
	v_pk_fma_f32 v[4:5], v[4:5], v[0:1], v[8:9] op_sel:[0,0,1] op_sel_hi:[1,0,0]
	v_mov_b32_e32 v11, v5
	v_pk_mul_f32 v[4:5], v[6:7], v[2:3] op_sel:[0,1]
	s_delay_alu instid0(VALU_DEP_2) | instskip(NEXT) | instid1(VALU_DEP_2)
	v_pk_add_f32 v[192:193], v[192:193], v[10:11] neg_lo:[0,1] neg_hi:[0,1]
	v_pk_fma_f32 v[8:9], v[6:7], v[0:1], v[4:5] op_sel:[0,0,1] op_sel_hi:[1,1,0] neg_lo:[0,0,1] neg_hi:[0,0,1]
	v_pk_fma_f32 v[4:5], v[6:7], v[0:1], v[4:5] op_sel:[0,0,1] op_sel_hi:[1,0,0]
	s_delay_alu instid0(VALU_DEP_1) | instskip(SKIP_4) | instid1(VALU_DEP_1)
	v_mov_b32_e32 v9, v5
	ds_load_2addr_b64 v[4:7], v148 offset0:47 offset1:48
	v_pk_add_f32 v[194:195], v[194:195], v[8:9] neg_lo:[0,1] neg_hi:[0,1]
	s_wait_dscnt 0x0
	v_pk_mul_f32 v[8:9], v[4:5], v[2:3] op_sel:[0,1]
	v_pk_fma_f32 v[10:11], v[4:5], v[0:1], v[8:9] op_sel:[0,0,1] op_sel_hi:[1,1,0] neg_lo:[0,0,1] neg_hi:[0,0,1]
	v_pk_fma_f32 v[4:5], v[4:5], v[0:1], v[8:9] op_sel:[0,0,1] op_sel_hi:[1,0,0]
	v_dual_mul_f32 v8, v7, v3 :: v_dual_mov_b32 v4, v7
	s_delay_alu instid0(VALU_DEP_2) | instskip(NEXT) | instid1(VALU_DEP_2)
	v_dual_mov_b32 v11, v5 :: v_dual_mov_b32 v5, v6
	v_pk_fma_f32 v[8:9], v[6:7], v[62:63], v[8:9] op_sel_hi:[1,1,0] neg_lo:[0,0,1] neg_hi:[0,0,1]
	v_mul_f32_e32 v6, v7, v0
	s_delay_alu instid0(VALU_DEP_3) | instskip(NEXT) | instid1(VALU_DEP_2)
	v_pk_add_f32 v[190:191], v[190:191], v[10:11] neg_lo:[0,1] neg_hi:[0,1]
	v_pk_fma_f32 v[4:5], v[4:5], v[62:63], v[6:7] op_sel_hi:[1,1,0]
	s_delay_alu instid0(VALU_DEP_1) | instskip(SKIP_4) | instid1(VALU_DEP_1)
	v_mov_b32_e32 v9, v5
	ds_load_2addr_b64 v[4:7], v148 offset0:49 offset1:50
	v_pk_add_f32 v[212:213], v[212:213], v[8:9] neg_lo:[0,1] neg_hi:[0,1]
	s_wait_dscnt 0x0
	v_pk_mul_f32 v[8:9], v[4:5], v[2:3] op_sel:[0,1]
	v_pk_fma_f32 v[10:11], v[4:5], v[0:1], v[8:9] op_sel:[0,0,1] op_sel_hi:[1,1,0] neg_lo:[0,0,1] neg_hi:[0,0,1]
	v_pk_fma_f32 v[4:5], v[4:5], v[0:1], v[8:9] op_sel:[0,0,1] op_sel_hi:[1,0,0]
	s_delay_alu instid0(VALU_DEP_1) | instskip(SKIP_1) | instid1(VALU_DEP_1)
	v_mov_b32_e32 v11, v5
	v_pk_mul_f32 v[4:5], v[6:7], v[2:3] op_sel:[0,1]
	v_pk_fma_f32 v[8:9], v[6:7], v[0:1], v[4:5] op_sel:[0,0,1] op_sel_hi:[1,1,0] neg_lo:[0,0,1] neg_hi:[0,0,1]
	v_pk_fma_f32 v[4:5], v[6:7], v[0:1], v[4:5] op_sel:[0,0,1] op_sel_hi:[1,0,0]
	s_delay_alu instid0(VALU_DEP_1)
	v_mov_b32_e32 v9, v5
	ds_load_2addr_b64 v[4:7], v148 offset0:51 offset1:52
	v_pk_add_f32 v[208:209], v[208:209], v[10:11] neg_lo:[0,1] neg_hi:[0,1]
	v_pk_add_f32 v[210:211], v[210:211], v[8:9] neg_lo:[0,1] neg_hi:[0,1]
	s_wait_dscnt 0x0
	v_pk_mul_f32 v[8:9], v[4:5], v[2:3] op_sel:[0,1]
	s_delay_alu instid0(VALU_DEP_1) | instskip(SKIP_1) | instid1(VALU_DEP_1)
	v_pk_fma_f32 v[10:11], v[4:5], v[0:1], v[8:9] op_sel:[0,0,1] op_sel_hi:[1,1,0] neg_lo:[0,0,1] neg_hi:[0,0,1]
	v_pk_fma_f32 v[4:5], v[4:5], v[0:1], v[8:9] op_sel:[0,0,1] op_sel_hi:[1,0,0]
	v_mov_b32_e32 v11, v5
	v_pk_mul_f32 v[4:5], v[6:7], v[2:3] op_sel:[0,1]
	s_delay_alu instid0(VALU_DEP_1) | instskip(SKIP_1) | instid1(VALU_DEP_1)
	v_pk_fma_f32 v[8:9], v[6:7], v[0:1], v[4:5] op_sel:[0,0,1] op_sel_hi:[1,1,0] neg_lo:[0,0,1] neg_hi:[0,0,1]
	v_pk_fma_f32 v[4:5], v[6:7], v[0:1], v[4:5] op_sel:[0,0,1] op_sel_hi:[1,0,0]
	v_mov_b32_e32 v9, v5
	ds_load_b64 v[4:5], v148 offset:424
	v_pk_add_f32 v[206:207], v[206:207], v[10:11] neg_lo:[0,1] neg_hi:[0,1]
	v_pk_add_f32 v[214:215], v[214:215], v[8:9] neg_lo:[0,1] neg_hi:[0,1]
	s_wait_dscnt 0x0
	v_pk_mul_f32 v[2:3], v[4:5], v[2:3] op_sel:[0,1]
	s_delay_alu instid0(VALU_DEP_1) | instskip(SKIP_1) | instid1(VALU_DEP_1)
	v_pk_fma_f32 v[6:7], v[4:5], v[0:1], v[2:3] op_sel:[0,0,1] op_sel_hi:[1,1,0] neg_lo:[0,0,1] neg_hi:[0,0,1]
	v_pk_fma_f32 v[0:1], v[4:5], v[0:1], v[2:3] op_sel:[0,0,1] op_sel_hi:[1,0,0]
	v_mov_b32_e32 v7, v1
	s_delay_alu instid0(VALU_DEP_1)
	v_pk_add_f32 v[216:217], v[216:217], v[6:7] neg_lo:[0,1] neg_hi:[0,1]
.LBB107_136:
	s_wait_xcnt 0x0
	s_or_b32 exec_lo, exec_lo, s1
	s_delay_alu instid0(SALU_CYCLE_1)
	s_mov_b32 s2, exec_lo
	s_wait_storecnt 0x0
	s_barrier_signal -1
	s_barrier_wait -1
	v_cmpx_eq_u32_e32 15, v138
	s_cbranch_execz .LBB107_143
; %bb.137:
	v_dual_mov_b32 v0, v80 :: v_dual_mov_b32 v1, v81
	v_dual_mov_b32 v2, v76 :: v_dual_mov_b32 v3, v77
	ds_store_b64 v139, v[58:59]
	ds_store_2addr_b64 v148, v[0:1], v[2:3] offset0:16 offset1:17
	v_dual_mov_b32 v0, v78 :: v_dual_mov_b32 v1, v79
	v_dual_mov_b32 v2, v74 :: v_dual_mov_b32 v3, v75
	ds_store_2addr_b64 v148, v[0:1], v[2:3] offset0:18 offset1:19
	v_dual_mov_b32 v0, v96 :: v_dual_mov_b32 v1, v97
	v_dual_mov_b32 v2, v92 :: v_dual_mov_b32 v3, v93
	;; [unrolled: 3-line block ×17, first 2 shown]
	ds_store_2addr_b64 v148, v[0:1], v[2:3] offset0:50 offset1:51
	v_dual_mov_b32 v0, v214 :: v_dual_mov_b32 v1, v215
	ds_store_2addr_b64 v148, v[0:1], v[216:217] offset0:52 offset1:53
	ds_load_b64 v[0:1], v139
	s_wait_dscnt 0x0
	v_cmp_neq_f32_e32 vcc_lo, 0, v0
	v_cmp_neq_f32_e64 s1, 0, v1
	s_or_b32 s1, vcc_lo, s1
	s_delay_alu instid0(SALU_CYCLE_1)
	s_and_b32 exec_lo, exec_lo, s1
	s_cbranch_execz .LBB107_143
; %bb.138:
	v_cmp_ngt_f32_e64 s1, |v0|, |v1|
                                        ; implicit-def: $vgpr2_vgpr3
	s_and_saveexec_b32 s4, s1
	s_delay_alu instid0(SALU_CYCLE_1)
	s_xor_b32 s1, exec_lo, s4
	s_cbranch_execz .LBB107_140
; %bb.139:
	v_div_scale_f32 v2, null, v1, v1, v0
	v_div_scale_f32 v5, vcc_lo, v0, v1, v0
	s_delay_alu instid0(VALU_DEP_2) | instskip(SKIP_1) | instid1(TRANS32_DEP_1)
	v_rcp_f32_e32 v3, v2
	v_nop
	v_fma_f32 v4, -v2, v3, 1.0
	s_delay_alu instid0(VALU_DEP_1) | instskip(NEXT) | instid1(VALU_DEP_1)
	v_fmac_f32_e32 v3, v4, v3
	v_mul_f32_e32 v4, v5, v3
	s_delay_alu instid0(VALU_DEP_1) | instskip(NEXT) | instid1(VALU_DEP_1)
	v_fma_f32 v6, -v2, v4, v5
	v_fmac_f32_e32 v4, v6, v3
	s_delay_alu instid0(VALU_DEP_1) | instskip(NEXT) | instid1(VALU_DEP_1)
	v_fma_f32 v2, -v2, v4, v5
	v_div_fmas_f32 v2, v2, v3, v4
	s_delay_alu instid0(VALU_DEP_1) | instskip(NEXT) | instid1(VALU_DEP_1)
	v_div_fixup_f32 v2, v2, v1, v0
	v_fmac_f32_e32 v1, v0, v2
	s_delay_alu instid0(VALU_DEP_1) | instskip(SKIP_1) | instid1(VALU_DEP_2)
	v_div_scale_f32 v0, null, v1, v1, 1.0
	v_div_scale_f32 v5, vcc_lo, 1.0, v1, 1.0
	v_rcp_f32_e32 v3, v0
	v_nop
	s_delay_alu instid0(TRANS32_DEP_1) | instskip(NEXT) | instid1(VALU_DEP_1)
	v_fma_f32 v4, -v0, v3, 1.0
	v_fmac_f32_e32 v3, v4, v3
	s_delay_alu instid0(VALU_DEP_1) | instskip(NEXT) | instid1(VALU_DEP_1)
	v_mul_f32_e32 v4, v5, v3
	v_fma_f32 v6, -v0, v4, v5
	s_delay_alu instid0(VALU_DEP_1) | instskip(NEXT) | instid1(VALU_DEP_1)
	v_fmac_f32_e32 v4, v6, v3
	v_fma_f32 v0, -v0, v4, v5
	s_delay_alu instid0(VALU_DEP_1) | instskip(NEXT) | instid1(VALU_DEP_1)
	v_div_fmas_f32 v0, v0, v3, v4
	v_div_fixup_f32 v0, v0, v1, 1.0
	s_delay_alu instid0(VALU_DEP_1)
	v_mul_f32_e32 v2, v2, v0
	v_xor_b32_e32 v3, 0x80000000, v0
                                        ; implicit-def: $vgpr0_vgpr1
.LBB107_140:
	s_and_not1_saveexec_b32 s1, s1
	s_cbranch_execz .LBB107_142
; %bb.141:
	v_div_scale_f32 v2, null, v0, v0, v1
	v_div_scale_f32 v5, vcc_lo, v1, v0, v1
	s_delay_alu instid0(VALU_DEP_2) | instskip(SKIP_1) | instid1(TRANS32_DEP_1)
	v_rcp_f32_e32 v3, v2
	v_nop
	v_fma_f32 v4, -v2, v3, 1.0
	s_delay_alu instid0(VALU_DEP_1) | instskip(NEXT) | instid1(VALU_DEP_1)
	v_fmac_f32_e32 v3, v4, v3
	v_mul_f32_e32 v4, v5, v3
	s_delay_alu instid0(VALU_DEP_1) | instskip(NEXT) | instid1(VALU_DEP_1)
	v_fma_f32 v6, -v2, v4, v5
	v_fmac_f32_e32 v4, v6, v3
	s_delay_alu instid0(VALU_DEP_1) | instskip(NEXT) | instid1(VALU_DEP_1)
	v_fma_f32 v2, -v2, v4, v5
	v_div_fmas_f32 v2, v2, v3, v4
	s_delay_alu instid0(VALU_DEP_1) | instskip(NEXT) | instid1(VALU_DEP_1)
	v_div_fixup_f32 v3, v2, v0, v1
	v_fmac_f32_e32 v0, v1, v3
	s_delay_alu instid0(VALU_DEP_1) | instskip(NEXT) | instid1(VALU_DEP_1)
	v_div_scale_f32 v1, null, v0, v0, 1.0
	v_rcp_f32_e32 v2, v1
	v_nop
	s_delay_alu instid0(TRANS32_DEP_1) | instskip(NEXT) | instid1(VALU_DEP_1)
	v_fma_f32 v4, -v1, v2, 1.0
	v_fmac_f32_e32 v2, v4, v2
	v_div_scale_f32 v4, vcc_lo, 1.0, v0, 1.0
	s_delay_alu instid0(VALU_DEP_1) | instskip(NEXT) | instid1(VALU_DEP_1)
	v_mul_f32_e32 v5, v4, v2
	v_fma_f32 v6, -v1, v5, v4
	s_delay_alu instid0(VALU_DEP_1) | instskip(NEXT) | instid1(VALU_DEP_1)
	v_fmac_f32_e32 v5, v6, v2
	v_fma_f32 v1, -v1, v5, v4
	s_delay_alu instid0(VALU_DEP_1) | instskip(NEXT) | instid1(VALU_DEP_1)
	v_div_fmas_f32 v1, v1, v2, v5
	v_div_fixup_f32 v2, v1, v0, 1.0
	s_delay_alu instid0(VALU_DEP_1)
	v_mul_f32_e64 v3, v3, -v2
.LBB107_142:
	s_or_b32 exec_lo, exec_lo, s1
	ds_store_b64 v139, v[2:3]
.LBB107_143:
	s_or_b32 exec_lo, exec_lo, s2
	s_wait_dscnt 0x0
	s_barrier_signal -1
	s_barrier_wait -1
	ds_load_b64 v[0:1], v139
	s_mov_b32 s1, exec_lo
	s_wait_dscnt 0x0
	scratch_store_b64 off, v[0:1], off offset:288 ; 8-byte Folded Spill
	s_wait_xcnt 0x0
	v_cmpx_lt_u32_e32 15, v138
	s_cbranch_execz .LBB107_145
; %bb.144:
	scratch_load_b64 v[4:5], off, off offset:288 ; 8-byte Folded Reload
	s_wait_loadcnt 0x0
	v_pk_mul_f32 v[2:3], v[4:5], v[58:59] op_sel:[1,1] op_sel_hi:[0,1]
	s_delay_alu instid0(VALU_DEP_1)
	v_pk_fma_f32 v[0:1], v[4:5], v[58:59], v[2:3] op_sel_hi:[1,0,1] neg_lo:[0,0,1] neg_hi:[0,0,1]
	v_pk_fma_f32 v[2:3], v[4:5], v[58:59], v[2:3] op_sel_hi:[1,0,1]
	ds_load_2addr_b64 v[4:7], v148 offset0:16 offset1:17
	v_dual_mov_b32 v58, v0 :: v_dual_mov_b32 v59, v3
	s_wait_dscnt 0x0
	v_pk_mul_f32 v[8:9], v[4:5], v[2:3] op_sel:[0,1]
	s_delay_alu instid0(VALU_DEP_1) | instskip(SKIP_1) | instid1(VALU_DEP_1)
	v_pk_fma_f32 v[10:11], v[4:5], v[0:1], v[8:9] op_sel:[0,0,1] op_sel_hi:[1,1,0] neg_lo:[0,0,1] neg_hi:[0,0,1]
	v_pk_fma_f32 v[4:5], v[4:5], v[0:1], v[8:9] op_sel:[0,0,1] op_sel_hi:[1,0,0]
	v_mov_b32_e32 v11, v5
	v_pk_mul_f32 v[4:5], v[6:7], v[2:3] op_sel:[0,1]
	s_delay_alu instid0(VALU_DEP_1) | instskip(SKIP_1) | instid1(VALU_DEP_1)
	v_pk_fma_f32 v[8:9], v[6:7], v[0:1], v[4:5] op_sel:[0,0,1] op_sel_hi:[1,1,0] neg_lo:[0,0,1] neg_hi:[0,0,1]
	v_pk_fma_f32 v[4:5], v[6:7], v[0:1], v[4:5] op_sel:[0,0,1] op_sel_hi:[1,0,0]
	v_mov_b32_e32 v9, v5
	ds_load_2addr_b64 v[4:7], v148 offset0:18 offset1:19
	v_pk_add_f32 v[80:81], v[80:81], v[10:11] neg_lo:[0,1] neg_hi:[0,1]
	v_pk_add_f32 v[76:77], v[76:77], v[8:9] neg_lo:[0,1] neg_hi:[0,1]
	s_wait_dscnt 0x0
	v_pk_mul_f32 v[8:9], v[4:5], v[2:3] op_sel:[0,1]
	s_delay_alu instid0(VALU_DEP_1) | instskip(SKIP_2) | instid1(VALU_DEP_2)
	v_pk_fma_f32 v[10:11], v[4:5], v[0:1], v[8:9] op_sel:[0,0,1] op_sel_hi:[1,1,0] neg_lo:[0,0,1] neg_hi:[0,0,1]
	v_pk_fma_f32 v[4:5], v[4:5], v[0:1], v[8:9] op_sel:[0,0,1] op_sel_hi:[1,0,0]
	v_dual_mul_f32 v8, v7, v3 :: v_dual_mov_b32 v4, v7
	v_dual_mov_b32 v11, v5 :: v_dual_mov_b32 v5, v6
	s_delay_alu instid0(VALU_DEP_2) | instskip(SKIP_1) | instid1(VALU_DEP_3)
	v_pk_fma_f32 v[8:9], v[6:7], v[58:59], v[8:9] op_sel_hi:[1,1,0] neg_lo:[0,0,1] neg_hi:[0,0,1]
	v_mul_f32_e32 v6, v7, v0
	v_pk_add_f32 v[78:79], v[78:79], v[10:11] neg_lo:[0,1] neg_hi:[0,1]
	s_delay_alu instid0(VALU_DEP_2) | instskip(NEXT) | instid1(VALU_DEP_1)
	v_pk_fma_f32 v[4:5], v[4:5], v[58:59], v[6:7] op_sel_hi:[1,1,0]
	v_mov_b32_e32 v9, v5
	ds_load_2addr_b64 v[4:7], v148 offset0:20 offset1:21
	v_pk_add_f32 v[74:75], v[74:75], v[8:9] neg_lo:[0,1] neg_hi:[0,1]
	s_wait_dscnt 0x0
	v_pk_mul_f32 v[8:9], v[4:5], v[2:3] op_sel:[0,1]
	s_delay_alu instid0(VALU_DEP_1) | instskip(SKIP_1) | instid1(VALU_DEP_1)
	v_pk_fma_f32 v[10:11], v[4:5], v[0:1], v[8:9] op_sel:[0,0,1] op_sel_hi:[1,1,0] neg_lo:[0,0,1] neg_hi:[0,0,1]
	v_pk_fma_f32 v[4:5], v[4:5], v[0:1], v[8:9] op_sel:[0,0,1] op_sel_hi:[1,0,0]
	v_mov_b32_e32 v11, v5
	v_pk_mul_f32 v[4:5], v[6:7], v[2:3] op_sel:[0,1]
	s_delay_alu instid0(VALU_DEP_1) | instskip(SKIP_1) | instid1(VALU_DEP_1)
	v_pk_fma_f32 v[8:9], v[6:7], v[0:1], v[4:5] op_sel:[0,0,1] op_sel_hi:[1,1,0] neg_lo:[0,0,1] neg_hi:[0,0,1]
	v_pk_fma_f32 v[4:5], v[6:7], v[0:1], v[4:5] op_sel:[0,0,1] op_sel_hi:[1,0,0]
	v_mov_b32_e32 v9, v5
	ds_load_2addr_b64 v[4:7], v148 offset0:22 offset1:23
	v_pk_add_f32 v[96:97], v[96:97], v[10:11] neg_lo:[0,1] neg_hi:[0,1]
	v_pk_add_f32 v[92:93], v[92:93], v[8:9] neg_lo:[0,1] neg_hi:[0,1]
	s_wait_dscnt 0x0
	v_pk_mul_f32 v[8:9], v[4:5], v[2:3] op_sel:[0,1]
	s_delay_alu instid0(VALU_DEP_1) | instskip(SKIP_1) | instid1(VALU_DEP_1)
	v_pk_fma_f32 v[10:11], v[4:5], v[0:1], v[8:9] op_sel:[0,0,1] op_sel_hi:[1,1,0] neg_lo:[0,0,1] neg_hi:[0,0,1]
	v_pk_fma_f32 v[4:5], v[4:5], v[0:1], v[8:9] op_sel:[0,0,1] op_sel_hi:[1,0,0]
	v_mov_b32_e32 v11, v5
	v_pk_mul_f32 v[4:5], v[6:7], v[2:3] op_sel:[0,1]
	s_delay_alu instid0(VALU_DEP_1) | instskip(SKIP_1) | instid1(VALU_DEP_1)
	v_pk_fma_f32 v[8:9], v[6:7], v[0:1], v[4:5] op_sel:[0,0,1] op_sel_hi:[1,1,0] neg_lo:[0,0,1] neg_hi:[0,0,1]
	v_pk_fma_f32 v[4:5], v[6:7], v[0:1], v[4:5] op_sel:[0,0,1] op_sel_hi:[1,0,0]
	v_mov_b32_e32 v9, v5
	ds_load_2addr_b64 v[4:7], v148 offset0:24 offset1:25
	v_pk_add_f32 v[94:95], v[94:95], v[10:11] neg_lo:[0,1] neg_hi:[0,1]
	v_pk_add_f32 v[90:91], v[90:91], v[8:9] neg_lo:[0,1] neg_hi:[0,1]
	s_wait_dscnt 0x0
	v_dual_mul_f32 v8, v5, v3 :: v_dual_mul_f32 v10, v5, v0
	s_delay_alu instid0(VALU_DEP_1) | instskip(NEXT) | instid1(VALU_DEP_2)
	v_pk_fma_f32 v[8:9], v[4:5], v[58:59], v[8:9] op_sel_hi:[1,1,0] neg_lo:[0,0,1] neg_hi:[0,0,1]
	v_pk_fma_f32 v[4:5], v[4:5], v[58:59], v[10:11] op_sel:[1,0,0] op_sel_hi:[0,1,0]
	s_delay_alu instid0(VALU_DEP_1) | instskip(SKIP_1) | instid1(VALU_DEP_2)
	v_mov_b32_e32 v9, v5
	v_pk_mul_f32 v[4:5], v[6:7], v[2:3] op_sel:[0,1]
	v_pk_add_f32 v[112:113], v[112:113], v[8:9] neg_lo:[0,1] neg_hi:[0,1]
	s_delay_alu instid0(VALU_DEP_2) | instskip(SKIP_1) | instid1(VALU_DEP_1)
	v_pk_fma_f32 v[8:9], v[6:7], v[0:1], v[4:5] op_sel:[0,0,1] op_sel_hi:[1,1,0] neg_lo:[0,0,1] neg_hi:[0,0,1]
	v_pk_fma_f32 v[4:5], v[6:7], v[0:1], v[4:5] op_sel:[0,0,1] op_sel_hi:[1,0,0]
	v_mov_b32_e32 v9, v5
	ds_load_2addr_b64 v[4:7], v148 offset0:26 offset1:27
	v_pk_add_f32 v[108:109], v[108:109], v[8:9] neg_lo:[0,1] neg_hi:[0,1]
	s_wait_dscnt 0x0
	v_pk_mul_f32 v[8:9], v[4:5], v[2:3] op_sel:[0,1]
	s_delay_alu instid0(VALU_DEP_1) | instskip(SKIP_1) | instid1(VALU_DEP_1)
	v_pk_fma_f32 v[10:11], v[4:5], v[0:1], v[8:9] op_sel:[0,0,1] op_sel_hi:[1,1,0] neg_lo:[0,0,1] neg_hi:[0,0,1]
	v_pk_fma_f32 v[4:5], v[4:5], v[0:1], v[8:9] op_sel:[0,0,1] op_sel_hi:[1,0,0]
	v_mov_b32_e32 v11, v5
	v_pk_mul_f32 v[4:5], v[6:7], v[2:3] op_sel:[0,1]
	s_delay_alu instid0(VALU_DEP_2) | instskip(NEXT) | instid1(VALU_DEP_2)
	v_pk_add_f32 v[110:111], v[110:111], v[10:11] neg_lo:[0,1] neg_hi:[0,1]
	v_pk_fma_f32 v[8:9], v[6:7], v[0:1], v[4:5] op_sel:[0,0,1] op_sel_hi:[1,1,0] neg_lo:[0,0,1] neg_hi:[0,0,1]
	v_pk_fma_f32 v[4:5], v[6:7], v[0:1], v[4:5] op_sel:[0,0,1] op_sel_hi:[1,0,0]
	s_delay_alu instid0(VALU_DEP_1) | instskip(SKIP_4) | instid1(VALU_DEP_1)
	v_mov_b32_e32 v9, v5
	ds_load_2addr_b64 v[4:7], v148 offset0:28 offset1:29
	v_pk_add_f32 v[106:107], v[106:107], v[8:9] neg_lo:[0,1] neg_hi:[0,1]
	s_wait_dscnt 0x0
	v_pk_mul_f32 v[8:9], v[4:5], v[2:3] op_sel:[0,1]
	v_pk_fma_f32 v[10:11], v[4:5], v[0:1], v[8:9] op_sel:[0,0,1] op_sel_hi:[1,1,0] neg_lo:[0,0,1] neg_hi:[0,0,1]
	v_pk_fma_f32 v[4:5], v[4:5], v[0:1], v[8:9] op_sel:[0,0,1] op_sel_hi:[1,0,0]
	v_dual_mul_f32 v8, v7, v3 :: v_dual_mov_b32 v4, v7
	s_delay_alu instid0(VALU_DEP_2) | instskip(NEXT) | instid1(VALU_DEP_2)
	v_dual_mov_b32 v11, v5 :: v_dual_mov_b32 v5, v6
	v_pk_fma_f32 v[8:9], v[6:7], v[58:59], v[8:9] op_sel_hi:[1,1,0] neg_lo:[0,0,1] neg_hi:[0,0,1]
	v_mul_f32_e32 v6, v7, v0
	s_delay_alu instid0(VALU_DEP_3) | instskip(NEXT) | instid1(VALU_DEP_2)
	v_pk_add_f32 v[130:131], v[130:131], v[10:11] neg_lo:[0,1] neg_hi:[0,1]
	v_pk_fma_f32 v[4:5], v[4:5], v[58:59], v[6:7] op_sel_hi:[1,1,0]
	s_delay_alu instid0(VALU_DEP_1) | instskip(SKIP_4) | instid1(VALU_DEP_1)
	v_mov_b32_e32 v9, v5
	ds_load_2addr_b64 v[4:7], v148 offset0:30 offset1:31
	v_pk_add_f32 v[126:127], v[126:127], v[8:9] neg_lo:[0,1] neg_hi:[0,1]
	s_wait_dscnt 0x0
	v_pk_mul_f32 v[8:9], v[4:5], v[2:3] op_sel:[0,1]
	v_pk_fma_f32 v[10:11], v[4:5], v[0:1], v[8:9] op_sel:[0,0,1] op_sel_hi:[1,1,0] neg_lo:[0,0,1] neg_hi:[0,0,1]
	v_pk_fma_f32 v[4:5], v[4:5], v[0:1], v[8:9] op_sel:[0,0,1] op_sel_hi:[1,0,0]
	s_delay_alu instid0(VALU_DEP_1) | instskip(SKIP_1) | instid1(VALU_DEP_1)
	v_mov_b32_e32 v11, v5
	v_pk_mul_f32 v[4:5], v[6:7], v[2:3] op_sel:[0,1]
	v_pk_fma_f32 v[8:9], v[6:7], v[0:1], v[4:5] op_sel:[0,0,1] op_sel_hi:[1,1,0] neg_lo:[0,0,1] neg_hi:[0,0,1]
	v_pk_fma_f32 v[4:5], v[6:7], v[0:1], v[4:5] op_sel:[0,0,1] op_sel_hi:[1,0,0]
	s_delay_alu instid0(VALU_DEP_1)
	v_mov_b32_e32 v9, v5
	ds_load_2addr_b64 v[4:7], v148 offset0:32 offset1:33
	v_pk_add_f32 v[128:129], v[128:129], v[10:11] neg_lo:[0,1] neg_hi:[0,1]
	v_pk_add_f32 v[124:125], v[124:125], v[8:9] neg_lo:[0,1] neg_hi:[0,1]
	s_wait_dscnt 0x0
	v_pk_mul_f32 v[8:9], v[4:5], v[2:3] op_sel:[0,1]
	s_delay_alu instid0(VALU_DEP_1) | instskip(SKIP_1) | instid1(VALU_DEP_1)
	v_pk_fma_f32 v[10:11], v[4:5], v[0:1], v[8:9] op_sel:[0,0,1] op_sel_hi:[1,1,0] neg_lo:[0,0,1] neg_hi:[0,0,1]
	v_pk_fma_f32 v[4:5], v[4:5], v[0:1], v[8:9] op_sel:[0,0,1] op_sel_hi:[1,0,0]
	v_mov_b32_e32 v11, v5
	v_pk_mul_f32 v[4:5], v[6:7], v[2:3] op_sel:[0,1]
	s_delay_alu instid0(VALU_DEP_1) | instskip(SKIP_1) | instid1(VALU_DEP_1)
	v_pk_fma_f32 v[8:9], v[6:7], v[0:1], v[4:5] op_sel:[0,0,1] op_sel_hi:[1,1,0] neg_lo:[0,0,1] neg_hi:[0,0,1]
	v_pk_fma_f32 v[4:5], v[6:7], v[0:1], v[4:5] op_sel:[0,0,1] op_sel_hi:[1,0,0]
	v_mov_b32_e32 v9, v5
	ds_load_2addr_b64 v[4:7], v148 offset0:34 offset1:35
	v_pk_add_f32 v[146:147], v[146:147], v[10:11] neg_lo:[0,1] neg_hi:[0,1]
	v_pk_add_f32 v[142:143], v[142:143], v[8:9] neg_lo:[0,1] neg_hi:[0,1]
	s_wait_dscnt 0x0
	v_dual_mul_f32 v8, v5, v3 :: v_dual_mul_f32 v10, v5, v0
	s_delay_alu instid0(VALU_DEP_1) | instskip(NEXT) | instid1(VALU_DEP_2)
	v_pk_fma_f32 v[8:9], v[4:5], v[58:59], v[8:9] op_sel_hi:[1,1,0] neg_lo:[0,0,1] neg_hi:[0,0,1]
	v_pk_fma_f32 v[4:5], v[4:5], v[58:59], v[10:11] op_sel:[1,0,0] op_sel_hi:[0,1,0]
	s_delay_alu instid0(VALU_DEP_1) | instskip(SKIP_1) | instid1(VALU_DEP_2)
	v_mov_b32_e32 v9, v5
	v_pk_mul_f32 v[4:5], v[6:7], v[2:3] op_sel:[0,1]
	v_pk_add_f32 v[144:145], v[144:145], v[8:9] neg_lo:[0,1] neg_hi:[0,1]
	s_delay_alu instid0(VALU_DEP_2) | instskip(SKIP_1) | instid1(VALU_DEP_1)
	v_pk_fma_f32 v[8:9], v[6:7], v[0:1], v[4:5] op_sel:[0,0,1] op_sel_hi:[1,1,0] neg_lo:[0,0,1] neg_hi:[0,0,1]
	v_pk_fma_f32 v[4:5], v[6:7], v[0:1], v[4:5] op_sel:[0,0,1] op_sel_hi:[1,0,0]
	v_mov_b32_e32 v9, v5
	ds_load_2addr_b64 v[4:7], v148 offset0:36 offset1:37
	v_pk_add_f32 v[140:141], v[140:141], v[8:9] neg_lo:[0,1] neg_hi:[0,1]
	s_wait_dscnt 0x0
	v_pk_mul_f32 v[8:9], v[4:5], v[2:3] op_sel:[0,1]
	s_delay_alu instid0(VALU_DEP_1) | instskip(SKIP_1) | instid1(VALU_DEP_1)
	v_pk_fma_f32 v[10:11], v[4:5], v[0:1], v[8:9] op_sel:[0,0,1] op_sel_hi:[1,1,0] neg_lo:[0,0,1] neg_hi:[0,0,1]
	v_pk_fma_f32 v[4:5], v[4:5], v[0:1], v[8:9] op_sel:[0,0,1] op_sel_hi:[1,0,0]
	v_mov_b32_e32 v11, v5
	v_pk_mul_f32 v[4:5], v[6:7], v[2:3] op_sel:[0,1]
	s_delay_alu instid0(VALU_DEP_2) | instskip(NEXT) | instid1(VALU_DEP_2)
	v_pk_add_f32 v[162:163], v[162:163], v[10:11] neg_lo:[0,1] neg_hi:[0,1]
	v_pk_fma_f32 v[8:9], v[6:7], v[0:1], v[4:5] op_sel:[0,0,1] op_sel_hi:[1,1,0] neg_lo:[0,0,1] neg_hi:[0,0,1]
	v_pk_fma_f32 v[4:5], v[6:7], v[0:1], v[4:5] op_sel:[0,0,1] op_sel_hi:[1,0,0]
	s_delay_alu instid0(VALU_DEP_1) | instskip(SKIP_4) | instid1(VALU_DEP_1)
	v_mov_b32_e32 v9, v5
	ds_load_2addr_b64 v[4:7], v148 offset0:38 offset1:39
	v_pk_add_f32 v[158:159], v[158:159], v[8:9] neg_lo:[0,1] neg_hi:[0,1]
	s_wait_dscnt 0x0
	v_pk_mul_f32 v[8:9], v[4:5], v[2:3] op_sel:[0,1]
	v_pk_fma_f32 v[10:11], v[4:5], v[0:1], v[8:9] op_sel:[0,0,1] op_sel_hi:[1,1,0] neg_lo:[0,0,1] neg_hi:[0,0,1]
	v_pk_fma_f32 v[4:5], v[4:5], v[0:1], v[8:9] op_sel:[0,0,1] op_sel_hi:[1,0,0]
	v_dual_mul_f32 v8, v7, v3 :: v_dual_mov_b32 v4, v7
	s_delay_alu instid0(VALU_DEP_2) | instskip(NEXT) | instid1(VALU_DEP_2)
	v_dual_mov_b32 v11, v5 :: v_dual_mov_b32 v5, v6
	v_pk_fma_f32 v[8:9], v[6:7], v[58:59], v[8:9] op_sel_hi:[1,1,0] neg_lo:[0,0,1] neg_hi:[0,0,1]
	v_mul_f32_e32 v6, v7, v0
	s_delay_alu instid0(VALU_DEP_3) | instskip(NEXT) | instid1(VALU_DEP_2)
	v_pk_add_f32 v[160:161], v[160:161], v[10:11] neg_lo:[0,1] neg_hi:[0,1]
	v_pk_fma_f32 v[4:5], v[4:5], v[58:59], v[6:7] op_sel_hi:[1,1,0]
	s_delay_alu instid0(VALU_DEP_1) | instskip(SKIP_4) | instid1(VALU_DEP_1)
	v_mov_b32_e32 v9, v5
	ds_load_2addr_b64 v[4:7], v148 offset0:40 offset1:41
	v_pk_add_f32 v[156:157], v[156:157], v[8:9] neg_lo:[0,1] neg_hi:[0,1]
	s_wait_dscnt 0x0
	v_pk_mul_f32 v[8:9], v[4:5], v[2:3] op_sel:[0,1]
	v_pk_fma_f32 v[10:11], v[4:5], v[0:1], v[8:9] op_sel:[0,0,1] op_sel_hi:[1,1,0] neg_lo:[0,0,1] neg_hi:[0,0,1]
	v_pk_fma_f32 v[4:5], v[4:5], v[0:1], v[8:9] op_sel:[0,0,1] op_sel_hi:[1,0,0]
	s_delay_alu instid0(VALU_DEP_1) | instskip(SKIP_1) | instid1(VALU_DEP_1)
	v_mov_b32_e32 v11, v5
	v_pk_mul_f32 v[4:5], v[6:7], v[2:3] op_sel:[0,1]
	v_pk_fma_f32 v[8:9], v[6:7], v[0:1], v[4:5] op_sel:[0,0,1] op_sel_hi:[1,1,0] neg_lo:[0,0,1] neg_hi:[0,0,1]
	v_pk_fma_f32 v[4:5], v[6:7], v[0:1], v[4:5] op_sel:[0,0,1] op_sel_hi:[1,0,0]
	s_delay_alu instid0(VALU_DEP_1)
	v_mov_b32_e32 v9, v5
	ds_load_2addr_b64 v[4:7], v148 offset0:42 offset1:43
	v_pk_add_f32 v[178:179], v[178:179], v[10:11] neg_lo:[0,1] neg_hi:[0,1]
	v_pk_add_f32 v[174:175], v[174:175], v[8:9] neg_lo:[0,1] neg_hi:[0,1]
	s_wait_dscnt 0x0
	v_pk_mul_f32 v[8:9], v[4:5], v[2:3] op_sel:[0,1]
	s_delay_alu instid0(VALU_DEP_1) | instskip(SKIP_1) | instid1(VALU_DEP_1)
	v_pk_fma_f32 v[10:11], v[4:5], v[0:1], v[8:9] op_sel:[0,0,1] op_sel_hi:[1,1,0] neg_lo:[0,0,1] neg_hi:[0,0,1]
	v_pk_fma_f32 v[4:5], v[4:5], v[0:1], v[8:9] op_sel:[0,0,1] op_sel_hi:[1,0,0]
	v_mov_b32_e32 v11, v5
	v_pk_mul_f32 v[4:5], v[6:7], v[2:3] op_sel:[0,1]
	s_delay_alu instid0(VALU_DEP_1) | instskip(SKIP_1) | instid1(VALU_DEP_1)
	v_pk_fma_f32 v[8:9], v[6:7], v[0:1], v[4:5] op_sel:[0,0,1] op_sel_hi:[1,1,0] neg_lo:[0,0,1] neg_hi:[0,0,1]
	v_pk_fma_f32 v[4:5], v[6:7], v[0:1], v[4:5] op_sel:[0,0,1] op_sel_hi:[1,0,0]
	v_mov_b32_e32 v9, v5
	ds_load_2addr_b64 v[4:7], v148 offset0:44 offset1:45
	v_pk_add_f32 v[176:177], v[176:177], v[10:11] neg_lo:[0,1] neg_hi:[0,1]
	v_pk_add_f32 v[172:173], v[172:173], v[8:9] neg_lo:[0,1] neg_hi:[0,1]
	s_wait_dscnt 0x0
	v_dual_mul_f32 v8, v5, v3 :: v_dual_mul_f32 v10, v5, v0
	s_delay_alu instid0(VALU_DEP_1) | instskip(NEXT) | instid1(VALU_DEP_2)
	v_pk_fma_f32 v[8:9], v[4:5], v[58:59], v[8:9] op_sel_hi:[1,1,0] neg_lo:[0,0,1] neg_hi:[0,0,1]
	v_pk_fma_f32 v[4:5], v[4:5], v[58:59], v[10:11] op_sel:[1,0,0] op_sel_hi:[0,1,0]
	s_delay_alu instid0(VALU_DEP_1) | instskip(SKIP_1) | instid1(VALU_DEP_2)
	v_mov_b32_e32 v9, v5
	v_pk_mul_f32 v[4:5], v[6:7], v[2:3] op_sel:[0,1]
	v_pk_add_f32 v[196:197], v[196:197], v[8:9] neg_lo:[0,1] neg_hi:[0,1]
	s_delay_alu instid0(VALU_DEP_2) | instskip(SKIP_1) | instid1(VALU_DEP_1)
	v_pk_fma_f32 v[8:9], v[6:7], v[0:1], v[4:5] op_sel:[0,0,1] op_sel_hi:[1,1,0] neg_lo:[0,0,1] neg_hi:[0,0,1]
	v_pk_fma_f32 v[4:5], v[6:7], v[0:1], v[4:5] op_sel:[0,0,1] op_sel_hi:[1,0,0]
	v_mov_b32_e32 v9, v5
	ds_load_2addr_b64 v[4:7], v148 offset0:46 offset1:47
	v_pk_add_f32 v[192:193], v[192:193], v[8:9] neg_lo:[0,1] neg_hi:[0,1]
	s_wait_dscnt 0x0
	v_pk_mul_f32 v[8:9], v[4:5], v[2:3] op_sel:[0,1]
	s_delay_alu instid0(VALU_DEP_1) | instskip(SKIP_1) | instid1(VALU_DEP_1)
	v_pk_fma_f32 v[10:11], v[4:5], v[0:1], v[8:9] op_sel:[0,0,1] op_sel_hi:[1,1,0] neg_lo:[0,0,1] neg_hi:[0,0,1]
	v_pk_fma_f32 v[4:5], v[4:5], v[0:1], v[8:9] op_sel:[0,0,1] op_sel_hi:[1,0,0]
	v_mov_b32_e32 v11, v5
	v_pk_mul_f32 v[4:5], v[6:7], v[2:3] op_sel:[0,1]
	s_delay_alu instid0(VALU_DEP_2) | instskip(NEXT) | instid1(VALU_DEP_2)
	v_pk_add_f32 v[194:195], v[194:195], v[10:11] neg_lo:[0,1] neg_hi:[0,1]
	v_pk_fma_f32 v[8:9], v[6:7], v[0:1], v[4:5] op_sel:[0,0,1] op_sel_hi:[1,1,0] neg_lo:[0,0,1] neg_hi:[0,0,1]
	v_pk_fma_f32 v[4:5], v[6:7], v[0:1], v[4:5] op_sel:[0,0,1] op_sel_hi:[1,0,0]
	s_delay_alu instid0(VALU_DEP_1) | instskip(SKIP_4) | instid1(VALU_DEP_1)
	v_mov_b32_e32 v9, v5
	ds_load_2addr_b64 v[4:7], v148 offset0:48 offset1:49
	v_pk_add_f32 v[190:191], v[190:191], v[8:9] neg_lo:[0,1] neg_hi:[0,1]
	s_wait_dscnt 0x0
	v_pk_mul_f32 v[8:9], v[4:5], v[2:3] op_sel:[0,1]
	v_pk_fma_f32 v[10:11], v[4:5], v[0:1], v[8:9] op_sel:[0,0,1] op_sel_hi:[1,1,0] neg_lo:[0,0,1] neg_hi:[0,0,1]
	v_pk_fma_f32 v[4:5], v[4:5], v[0:1], v[8:9] op_sel:[0,0,1] op_sel_hi:[1,0,0]
	v_dual_mul_f32 v8, v7, v3 :: v_dual_mov_b32 v4, v7
	s_delay_alu instid0(VALU_DEP_2) | instskip(NEXT) | instid1(VALU_DEP_2)
	v_dual_mov_b32 v11, v5 :: v_dual_mov_b32 v5, v6
	v_pk_fma_f32 v[8:9], v[6:7], v[58:59], v[8:9] op_sel_hi:[1,1,0] neg_lo:[0,0,1] neg_hi:[0,0,1]
	v_mul_f32_e32 v6, v7, v0
	s_delay_alu instid0(VALU_DEP_3) | instskip(NEXT) | instid1(VALU_DEP_2)
	v_pk_add_f32 v[212:213], v[212:213], v[10:11] neg_lo:[0,1] neg_hi:[0,1]
	v_pk_fma_f32 v[4:5], v[4:5], v[58:59], v[6:7] op_sel_hi:[1,1,0]
	s_delay_alu instid0(VALU_DEP_1) | instskip(SKIP_4) | instid1(VALU_DEP_1)
	v_mov_b32_e32 v9, v5
	ds_load_2addr_b64 v[4:7], v148 offset0:50 offset1:51
	v_pk_add_f32 v[208:209], v[208:209], v[8:9] neg_lo:[0,1] neg_hi:[0,1]
	s_wait_dscnt 0x0
	v_pk_mul_f32 v[8:9], v[4:5], v[2:3] op_sel:[0,1]
	v_pk_fma_f32 v[10:11], v[4:5], v[0:1], v[8:9] op_sel:[0,0,1] op_sel_hi:[1,1,0] neg_lo:[0,0,1] neg_hi:[0,0,1]
	v_pk_fma_f32 v[4:5], v[4:5], v[0:1], v[8:9] op_sel:[0,0,1] op_sel_hi:[1,0,0]
	s_delay_alu instid0(VALU_DEP_1) | instskip(SKIP_1) | instid1(VALU_DEP_1)
	v_mov_b32_e32 v11, v5
	v_pk_mul_f32 v[4:5], v[6:7], v[2:3] op_sel:[0,1]
	v_pk_fma_f32 v[8:9], v[6:7], v[0:1], v[4:5] op_sel:[0,0,1] op_sel_hi:[1,1,0] neg_lo:[0,0,1] neg_hi:[0,0,1]
	v_pk_fma_f32 v[4:5], v[6:7], v[0:1], v[4:5] op_sel:[0,0,1] op_sel_hi:[1,0,0]
	s_delay_alu instid0(VALU_DEP_1)
	v_mov_b32_e32 v9, v5
	ds_load_2addr_b64 v[4:7], v148 offset0:52 offset1:53
	v_pk_add_f32 v[210:211], v[210:211], v[10:11] neg_lo:[0,1] neg_hi:[0,1]
	v_pk_add_f32 v[206:207], v[206:207], v[8:9] neg_lo:[0,1] neg_hi:[0,1]
	s_wait_dscnt 0x0
	v_pk_mul_f32 v[8:9], v[4:5], v[2:3] op_sel:[0,1]
	v_pk_mul_f32 v[2:3], v[6:7], v[2:3] op_sel:[0,1]
	s_delay_alu instid0(VALU_DEP_2) | instskip(SKIP_1) | instid1(VALU_DEP_1)
	v_pk_fma_f32 v[10:11], v[4:5], v[0:1], v[8:9] op_sel:[0,0,1] op_sel_hi:[1,1,0] neg_lo:[0,0,1] neg_hi:[0,0,1]
	v_pk_fma_f32 v[4:5], v[4:5], v[0:1], v[8:9] op_sel:[0,0,1] op_sel_hi:[1,0,0]
	v_mov_b32_e32 v11, v5
	s_delay_alu instid0(VALU_DEP_4) | instskip(SKIP_1) | instid1(VALU_DEP_1)
	v_pk_fma_f32 v[4:5], v[6:7], v[0:1], v[2:3] op_sel:[0,0,1] op_sel_hi:[1,1,0] neg_lo:[0,0,1] neg_hi:[0,0,1]
	v_pk_fma_f32 v[0:1], v[6:7], v[0:1], v[2:3] op_sel:[0,0,1] op_sel_hi:[1,0,0]
	v_mov_b32_e32 v5, v1
	s_delay_alu instid0(VALU_DEP_4) | instskip(NEXT) | instid1(VALU_DEP_2)
	v_pk_add_f32 v[214:215], v[214:215], v[10:11] neg_lo:[0,1] neg_hi:[0,1]
	v_pk_add_f32 v[216:217], v[216:217], v[4:5] neg_lo:[0,1] neg_hi:[0,1]
.LBB107_145:
	s_wait_xcnt 0x0
	s_or_b32 exec_lo, exec_lo, s1
	s_delay_alu instid0(SALU_CYCLE_1)
	s_mov_b32 s2, exec_lo
	s_wait_storecnt 0x0
	s_barrier_signal -1
	s_barrier_wait -1
	v_cmpx_eq_u32_e32 16, v138
	s_cbranch_execz .LBB107_152
; %bb.146:
	ds_store_b64 v139, v[80:81]
	ds_store_2addr_b64 v148, v[76:77], v[78:79] offset0:17 offset1:18
	ds_store_2addr_b64 v148, v[74:75], v[96:97] offset0:19 offset1:20
	;; [unrolled: 1-line block ×18, first 2 shown]
	ds_store_b64 v148, v[216:217] offset:424
	ds_load_b64 v[0:1], v139
	s_wait_dscnt 0x0
	v_cmp_neq_f32_e32 vcc_lo, 0, v0
	v_cmp_neq_f32_e64 s1, 0, v1
	s_or_b32 s1, vcc_lo, s1
	s_delay_alu instid0(SALU_CYCLE_1)
	s_and_b32 exec_lo, exec_lo, s1
	s_cbranch_execz .LBB107_152
; %bb.147:
	v_cmp_ngt_f32_e64 s1, |v0|, |v1|
                                        ; implicit-def: $vgpr2_vgpr3
	s_and_saveexec_b32 s4, s1
	s_delay_alu instid0(SALU_CYCLE_1)
	s_xor_b32 s1, exec_lo, s4
	s_cbranch_execz .LBB107_149
; %bb.148:
	v_div_scale_f32 v2, null, v1, v1, v0
	v_div_scale_f32 v5, vcc_lo, v0, v1, v0
	s_delay_alu instid0(VALU_DEP_2) | instskip(SKIP_1) | instid1(TRANS32_DEP_1)
	v_rcp_f32_e32 v3, v2
	v_nop
	v_fma_f32 v4, -v2, v3, 1.0
	s_delay_alu instid0(VALU_DEP_1) | instskip(NEXT) | instid1(VALU_DEP_1)
	v_fmac_f32_e32 v3, v4, v3
	v_mul_f32_e32 v4, v5, v3
	s_delay_alu instid0(VALU_DEP_1) | instskip(NEXT) | instid1(VALU_DEP_1)
	v_fma_f32 v6, -v2, v4, v5
	v_fmac_f32_e32 v4, v6, v3
	s_delay_alu instid0(VALU_DEP_1) | instskip(NEXT) | instid1(VALU_DEP_1)
	v_fma_f32 v2, -v2, v4, v5
	v_div_fmas_f32 v2, v2, v3, v4
	s_delay_alu instid0(VALU_DEP_1) | instskip(NEXT) | instid1(VALU_DEP_1)
	v_div_fixup_f32 v2, v2, v1, v0
	v_fmac_f32_e32 v1, v0, v2
	s_delay_alu instid0(VALU_DEP_1) | instskip(SKIP_1) | instid1(VALU_DEP_2)
	v_div_scale_f32 v0, null, v1, v1, 1.0
	v_div_scale_f32 v5, vcc_lo, 1.0, v1, 1.0
	v_rcp_f32_e32 v3, v0
	v_nop
	s_delay_alu instid0(TRANS32_DEP_1) | instskip(NEXT) | instid1(VALU_DEP_1)
	v_fma_f32 v4, -v0, v3, 1.0
	v_fmac_f32_e32 v3, v4, v3
	s_delay_alu instid0(VALU_DEP_1) | instskip(NEXT) | instid1(VALU_DEP_1)
	v_mul_f32_e32 v4, v5, v3
	v_fma_f32 v6, -v0, v4, v5
	s_delay_alu instid0(VALU_DEP_1) | instskip(NEXT) | instid1(VALU_DEP_1)
	v_fmac_f32_e32 v4, v6, v3
	v_fma_f32 v0, -v0, v4, v5
	s_delay_alu instid0(VALU_DEP_1) | instskip(NEXT) | instid1(VALU_DEP_1)
	v_div_fmas_f32 v0, v0, v3, v4
	v_div_fixup_f32 v0, v0, v1, 1.0
	s_delay_alu instid0(VALU_DEP_1)
	v_mul_f32_e32 v2, v2, v0
	v_xor_b32_e32 v3, 0x80000000, v0
                                        ; implicit-def: $vgpr0_vgpr1
.LBB107_149:
	s_and_not1_saveexec_b32 s1, s1
	s_cbranch_execz .LBB107_151
; %bb.150:
	v_div_scale_f32 v2, null, v0, v0, v1
	v_div_scale_f32 v5, vcc_lo, v1, v0, v1
	s_delay_alu instid0(VALU_DEP_2) | instskip(SKIP_1) | instid1(TRANS32_DEP_1)
	v_rcp_f32_e32 v3, v2
	v_nop
	v_fma_f32 v4, -v2, v3, 1.0
	s_delay_alu instid0(VALU_DEP_1) | instskip(NEXT) | instid1(VALU_DEP_1)
	v_fmac_f32_e32 v3, v4, v3
	v_mul_f32_e32 v4, v5, v3
	s_delay_alu instid0(VALU_DEP_1) | instskip(NEXT) | instid1(VALU_DEP_1)
	v_fma_f32 v6, -v2, v4, v5
	v_fmac_f32_e32 v4, v6, v3
	s_delay_alu instid0(VALU_DEP_1) | instskip(NEXT) | instid1(VALU_DEP_1)
	v_fma_f32 v2, -v2, v4, v5
	v_div_fmas_f32 v2, v2, v3, v4
	s_delay_alu instid0(VALU_DEP_1) | instskip(NEXT) | instid1(VALU_DEP_1)
	v_div_fixup_f32 v3, v2, v0, v1
	v_fmac_f32_e32 v0, v1, v3
	s_delay_alu instid0(VALU_DEP_1) | instskip(NEXT) | instid1(VALU_DEP_1)
	v_div_scale_f32 v1, null, v0, v0, 1.0
	v_rcp_f32_e32 v2, v1
	v_nop
	s_delay_alu instid0(TRANS32_DEP_1) | instskip(NEXT) | instid1(VALU_DEP_1)
	v_fma_f32 v4, -v1, v2, 1.0
	v_fmac_f32_e32 v2, v4, v2
	v_div_scale_f32 v4, vcc_lo, 1.0, v0, 1.0
	s_delay_alu instid0(VALU_DEP_1) | instskip(NEXT) | instid1(VALU_DEP_1)
	v_mul_f32_e32 v5, v4, v2
	v_fma_f32 v6, -v1, v5, v4
	s_delay_alu instid0(VALU_DEP_1) | instskip(NEXT) | instid1(VALU_DEP_1)
	v_fmac_f32_e32 v5, v6, v2
	v_fma_f32 v1, -v1, v5, v4
	s_delay_alu instid0(VALU_DEP_1) | instskip(NEXT) | instid1(VALU_DEP_1)
	v_div_fmas_f32 v1, v1, v2, v5
	v_div_fixup_f32 v2, v1, v0, 1.0
	s_delay_alu instid0(VALU_DEP_1)
	v_mul_f32_e64 v3, v3, -v2
.LBB107_151:
	s_or_b32 exec_lo, exec_lo, s1
	ds_store_b64 v139, v[2:3]
.LBB107_152:
	s_or_b32 exec_lo, exec_lo, s2
	s_wait_dscnt 0x0
	s_barrier_signal -1
	s_barrier_wait -1
	ds_load_b64 v[0:1], v139
	s_mov_b32 s1, exec_lo
	s_wait_dscnt 0x0
	scratch_store_b64 off, v[0:1], off offset:296 ; 8-byte Folded Spill
	s_wait_xcnt 0x0
	v_cmpx_lt_u32_e32 16, v138
	s_cbranch_execz .LBB107_154
; %bb.153:
	scratch_load_b64 v[4:5], off, off offset:296 ; 8-byte Folded Reload
	s_wait_loadcnt 0x0
	v_pk_mul_f32 v[2:3], v[4:5], v[80:81] op_sel:[1,1] op_sel_hi:[0,1]
	s_delay_alu instid0(VALU_DEP_1)
	v_pk_fma_f32 v[0:1], v[4:5], v[80:81], v[2:3] op_sel_hi:[1,0,1] neg_lo:[0,0,1] neg_hi:[0,0,1]
	v_pk_fma_f32 v[2:3], v[4:5], v[80:81], v[2:3] op_sel_hi:[1,0,1]
	ds_load_2addr_b64 v[4:7], v148 offset0:17 offset1:18
	v_dual_mov_b32 v80, v0 :: v_dual_mov_b32 v81, v3
	s_wait_dscnt 0x0
	v_pk_mul_f32 v[8:9], v[4:5], v[2:3] op_sel:[0,1]
	s_delay_alu instid0(VALU_DEP_1) | instskip(SKIP_1) | instid1(VALU_DEP_1)
	v_pk_fma_f32 v[10:11], v[4:5], v[0:1], v[8:9] op_sel:[0,0,1] op_sel_hi:[1,1,0] neg_lo:[0,0,1] neg_hi:[0,0,1]
	v_pk_fma_f32 v[4:5], v[4:5], v[0:1], v[8:9] op_sel:[0,0,1] op_sel_hi:[1,0,0]
	v_mov_b32_e32 v11, v5
	v_pk_mul_f32 v[4:5], v[6:7], v[2:3] op_sel:[0,1]
	s_delay_alu instid0(VALU_DEP_1) | instskip(SKIP_1) | instid1(VALU_DEP_1)
	v_pk_fma_f32 v[8:9], v[6:7], v[0:1], v[4:5] op_sel:[0,0,1] op_sel_hi:[1,1,0] neg_lo:[0,0,1] neg_hi:[0,0,1]
	v_pk_fma_f32 v[4:5], v[6:7], v[0:1], v[4:5] op_sel:[0,0,1] op_sel_hi:[1,0,0]
	v_mov_b32_e32 v9, v5
	ds_load_2addr_b64 v[4:7], v148 offset0:19 offset1:20
	v_pk_add_f32 v[76:77], v[76:77], v[10:11] neg_lo:[0,1] neg_hi:[0,1]
	v_pk_add_f32 v[78:79], v[78:79], v[8:9] neg_lo:[0,1] neg_hi:[0,1]
	s_wait_dscnt 0x0
	v_pk_mul_f32 v[8:9], v[4:5], v[2:3] op_sel:[0,1]
	s_delay_alu instid0(VALU_DEP_1) | instskip(SKIP_2) | instid1(VALU_DEP_2)
	v_pk_fma_f32 v[10:11], v[4:5], v[0:1], v[8:9] op_sel:[0,0,1] op_sel_hi:[1,1,0] neg_lo:[0,0,1] neg_hi:[0,0,1]
	v_pk_fma_f32 v[4:5], v[4:5], v[0:1], v[8:9] op_sel:[0,0,1] op_sel_hi:[1,0,0]
	v_dual_mul_f32 v8, v7, v3 :: v_dual_mov_b32 v4, v7
	v_dual_mov_b32 v11, v5 :: v_dual_mov_b32 v5, v6
	s_delay_alu instid0(VALU_DEP_2) | instskip(SKIP_1) | instid1(VALU_DEP_3)
	v_pk_fma_f32 v[8:9], v[6:7], v[80:81], v[8:9] op_sel_hi:[1,1,0] neg_lo:[0,0,1] neg_hi:[0,0,1]
	v_mul_f32_e32 v6, v7, v0
	v_pk_add_f32 v[74:75], v[74:75], v[10:11] neg_lo:[0,1] neg_hi:[0,1]
	s_delay_alu instid0(VALU_DEP_2) | instskip(NEXT) | instid1(VALU_DEP_1)
	v_pk_fma_f32 v[4:5], v[4:5], v[80:81], v[6:7] op_sel_hi:[1,1,0]
	v_mov_b32_e32 v9, v5
	ds_load_2addr_b64 v[4:7], v148 offset0:21 offset1:22
	v_pk_add_f32 v[96:97], v[96:97], v[8:9] neg_lo:[0,1] neg_hi:[0,1]
	s_wait_dscnt 0x0
	v_pk_mul_f32 v[8:9], v[4:5], v[2:3] op_sel:[0,1]
	s_delay_alu instid0(VALU_DEP_1) | instskip(SKIP_1) | instid1(VALU_DEP_1)
	v_pk_fma_f32 v[10:11], v[4:5], v[0:1], v[8:9] op_sel:[0,0,1] op_sel_hi:[1,1,0] neg_lo:[0,0,1] neg_hi:[0,0,1]
	v_pk_fma_f32 v[4:5], v[4:5], v[0:1], v[8:9] op_sel:[0,0,1] op_sel_hi:[1,0,0]
	v_mov_b32_e32 v11, v5
	v_pk_mul_f32 v[4:5], v[6:7], v[2:3] op_sel:[0,1]
	s_delay_alu instid0(VALU_DEP_1) | instskip(SKIP_1) | instid1(VALU_DEP_1)
	v_pk_fma_f32 v[8:9], v[6:7], v[0:1], v[4:5] op_sel:[0,0,1] op_sel_hi:[1,1,0] neg_lo:[0,0,1] neg_hi:[0,0,1]
	v_pk_fma_f32 v[4:5], v[6:7], v[0:1], v[4:5] op_sel:[0,0,1] op_sel_hi:[1,0,0]
	v_mov_b32_e32 v9, v5
	ds_load_2addr_b64 v[4:7], v148 offset0:23 offset1:24
	v_pk_add_f32 v[92:93], v[92:93], v[10:11] neg_lo:[0,1] neg_hi:[0,1]
	v_pk_add_f32 v[94:95], v[94:95], v[8:9] neg_lo:[0,1] neg_hi:[0,1]
	s_wait_dscnt 0x0
	v_pk_mul_f32 v[8:9], v[4:5], v[2:3] op_sel:[0,1]
	s_delay_alu instid0(VALU_DEP_1) | instskip(SKIP_1) | instid1(VALU_DEP_1)
	v_pk_fma_f32 v[10:11], v[4:5], v[0:1], v[8:9] op_sel:[0,0,1] op_sel_hi:[1,1,0] neg_lo:[0,0,1] neg_hi:[0,0,1]
	v_pk_fma_f32 v[4:5], v[4:5], v[0:1], v[8:9] op_sel:[0,0,1] op_sel_hi:[1,0,0]
	v_mov_b32_e32 v11, v5
	v_pk_mul_f32 v[4:5], v[6:7], v[2:3] op_sel:[0,1]
	s_delay_alu instid0(VALU_DEP_1) | instskip(SKIP_1) | instid1(VALU_DEP_1)
	v_pk_fma_f32 v[8:9], v[6:7], v[0:1], v[4:5] op_sel:[0,0,1] op_sel_hi:[1,1,0] neg_lo:[0,0,1] neg_hi:[0,0,1]
	v_pk_fma_f32 v[4:5], v[6:7], v[0:1], v[4:5] op_sel:[0,0,1] op_sel_hi:[1,0,0]
	v_mov_b32_e32 v9, v5
	ds_load_2addr_b64 v[4:7], v148 offset0:25 offset1:26
	v_pk_add_f32 v[90:91], v[90:91], v[10:11] neg_lo:[0,1] neg_hi:[0,1]
	v_pk_add_f32 v[112:113], v[112:113], v[8:9] neg_lo:[0,1] neg_hi:[0,1]
	s_wait_dscnt 0x0
	v_dual_mul_f32 v8, v5, v3 :: v_dual_mul_f32 v10, v5, v0
	s_delay_alu instid0(VALU_DEP_1) | instskip(NEXT) | instid1(VALU_DEP_2)
	v_pk_fma_f32 v[8:9], v[4:5], v[80:81], v[8:9] op_sel_hi:[1,1,0] neg_lo:[0,0,1] neg_hi:[0,0,1]
	v_pk_fma_f32 v[4:5], v[4:5], v[80:81], v[10:11] op_sel:[1,0,0] op_sel_hi:[0,1,0]
	s_delay_alu instid0(VALU_DEP_1) | instskip(SKIP_1) | instid1(VALU_DEP_2)
	v_mov_b32_e32 v9, v5
	v_pk_mul_f32 v[4:5], v[6:7], v[2:3] op_sel:[0,1]
	v_pk_add_f32 v[108:109], v[108:109], v[8:9] neg_lo:[0,1] neg_hi:[0,1]
	s_delay_alu instid0(VALU_DEP_2) | instskip(SKIP_1) | instid1(VALU_DEP_1)
	v_pk_fma_f32 v[8:9], v[6:7], v[0:1], v[4:5] op_sel:[0,0,1] op_sel_hi:[1,1,0] neg_lo:[0,0,1] neg_hi:[0,0,1]
	v_pk_fma_f32 v[4:5], v[6:7], v[0:1], v[4:5] op_sel:[0,0,1] op_sel_hi:[1,0,0]
	v_mov_b32_e32 v9, v5
	ds_load_2addr_b64 v[4:7], v148 offset0:27 offset1:28
	v_pk_add_f32 v[110:111], v[110:111], v[8:9] neg_lo:[0,1] neg_hi:[0,1]
	s_wait_dscnt 0x0
	v_pk_mul_f32 v[8:9], v[4:5], v[2:3] op_sel:[0,1]
	s_delay_alu instid0(VALU_DEP_1) | instskip(SKIP_1) | instid1(VALU_DEP_1)
	v_pk_fma_f32 v[10:11], v[4:5], v[0:1], v[8:9] op_sel:[0,0,1] op_sel_hi:[1,1,0] neg_lo:[0,0,1] neg_hi:[0,0,1]
	v_pk_fma_f32 v[4:5], v[4:5], v[0:1], v[8:9] op_sel:[0,0,1] op_sel_hi:[1,0,0]
	v_mov_b32_e32 v11, v5
	v_pk_mul_f32 v[4:5], v[6:7], v[2:3] op_sel:[0,1]
	s_delay_alu instid0(VALU_DEP_2) | instskip(NEXT) | instid1(VALU_DEP_2)
	v_pk_add_f32 v[106:107], v[106:107], v[10:11] neg_lo:[0,1] neg_hi:[0,1]
	v_pk_fma_f32 v[8:9], v[6:7], v[0:1], v[4:5] op_sel:[0,0,1] op_sel_hi:[1,1,0] neg_lo:[0,0,1] neg_hi:[0,0,1]
	v_pk_fma_f32 v[4:5], v[6:7], v[0:1], v[4:5] op_sel:[0,0,1] op_sel_hi:[1,0,0]
	s_delay_alu instid0(VALU_DEP_1) | instskip(SKIP_4) | instid1(VALU_DEP_1)
	v_mov_b32_e32 v9, v5
	ds_load_2addr_b64 v[4:7], v148 offset0:29 offset1:30
	v_pk_add_f32 v[130:131], v[130:131], v[8:9] neg_lo:[0,1] neg_hi:[0,1]
	s_wait_dscnt 0x0
	v_pk_mul_f32 v[8:9], v[4:5], v[2:3] op_sel:[0,1]
	v_pk_fma_f32 v[10:11], v[4:5], v[0:1], v[8:9] op_sel:[0,0,1] op_sel_hi:[1,1,0] neg_lo:[0,0,1] neg_hi:[0,0,1]
	v_pk_fma_f32 v[4:5], v[4:5], v[0:1], v[8:9] op_sel:[0,0,1] op_sel_hi:[1,0,0]
	v_dual_mul_f32 v8, v7, v3 :: v_dual_mov_b32 v4, v7
	s_delay_alu instid0(VALU_DEP_2) | instskip(NEXT) | instid1(VALU_DEP_2)
	v_dual_mov_b32 v11, v5 :: v_dual_mov_b32 v5, v6
	v_pk_fma_f32 v[8:9], v[6:7], v[80:81], v[8:9] op_sel_hi:[1,1,0] neg_lo:[0,0,1] neg_hi:[0,0,1]
	v_mul_f32_e32 v6, v7, v0
	s_delay_alu instid0(VALU_DEP_3) | instskip(NEXT) | instid1(VALU_DEP_2)
	v_pk_add_f32 v[126:127], v[126:127], v[10:11] neg_lo:[0,1] neg_hi:[0,1]
	v_pk_fma_f32 v[4:5], v[4:5], v[80:81], v[6:7] op_sel_hi:[1,1,0]
	s_delay_alu instid0(VALU_DEP_1) | instskip(SKIP_4) | instid1(VALU_DEP_1)
	v_mov_b32_e32 v9, v5
	ds_load_2addr_b64 v[4:7], v148 offset0:31 offset1:32
	v_pk_add_f32 v[128:129], v[128:129], v[8:9] neg_lo:[0,1] neg_hi:[0,1]
	s_wait_dscnt 0x0
	v_pk_mul_f32 v[8:9], v[4:5], v[2:3] op_sel:[0,1]
	v_pk_fma_f32 v[10:11], v[4:5], v[0:1], v[8:9] op_sel:[0,0,1] op_sel_hi:[1,1,0] neg_lo:[0,0,1] neg_hi:[0,0,1]
	v_pk_fma_f32 v[4:5], v[4:5], v[0:1], v[8:9] op_sel:[0,0,1] op_sel_hi:[1,0,0]
	s_delay_alu instid0(VALU_DEP_1) | instskip(SKIP_1) | instid1(VALU_DEP_1)
	v_mov_b32_e32 v11, v5
	v_pk_mul_f32 v[4:5], v[6:7], v[2:3] op_sel:[0,1]
	v_pk_fma_f32 v[8:9], v[6:7], v[0:1], v[4:5] op_sel:[0,0,1] op_sel_hi:[1,1,0] neg_lo:[0,0,1] neg_hi:[0,0,1]
	v_pk_fma_f32 v[4:5], v[6:7], v[0:1], v[4:5] op_sel:[0,0,1] op_sel_hi:[1,0,0]
	s_delay_alu instid0(VALU_DEP_1)
	v_mov_b32_e32 v9, v5
	ds_load_2addr_b64 v[4:7], v148 offset0:33 offset1:34
	v_pk_add_f32 v[124:125], v[124:125], v[10:11] neg_lo:[0,1] neg_hi:[0,1]
	v_pk_add_f32 v[146:147], v[146:147], v[8:9] neg_lo:[0,1] neg_hi:[0,1]
	s_wait_dscnt 0x0
	v_pk_mul_f32 v[8:9], v[4:5], v[2:3] op_sel:[0,1]
	s_delay_alu instid0(VALU_DEP_1) | instskip(SKIP_1) | instid1(VALU_DEP_1)
	v_pk_fma_f32 v[10:11], v[4:5], v[0:1], v[8:9] op_sel:[0,0,1] op_sel_hi:[1,1,0] neg_lo:[0,0,1] neg_hi:[0,0,1]
	v_pk_fma_f32 v[4:5], v[4:5], v[0:1], v[8:9] op_sel:[0,0,1] op_sel_hi:[1,0,0]
	v_mov_b32_e32 v11, v5
	v_pk_mul_f32 v[4:5], v[6:7], v[2:3] op_sel:[0,1]
	s_delay_alu instid0(VALU_DEP_1) | instskip(SKIP_1) | instid1(VALU_DEP_1)
	v_pk_fma_f32 v[8:9], v[6:7], v[0:1], v[4:5] op_sel:[0,0,1] op_sel_hi:[1,1,0] neg_lo:[0,0,1] neg_hi:[0,0,1]
	v_pk_fma_f32 v[4:5], v[6:7], v[0:1], v[4:5] op_sel:[0,0,1] op_sel_hi:[1,0,0]
	v_mov_b32_e32 v9, v5
	ds_load_2addr_b64 v[4:7], v148 offset0:35 offset1:36
	v_pk_add_f32 v[142:143], v[142:143], v[10:11] neg_lo:[0,1] neg_hi:[0,1]
	v_pk_add_f32 v[144:145], v[144:145], v[8:9] neg_lo:[0,1] neg_hi:[0,1]
	s_wait_dscnt 0x0
	v_dual_mul_f32 v8, v5, v3 :: v_dual_mul_f32 v10, v5, v0
	s_delay_alu instid0(VALU_DEP_1) | instskip(NEXT) | instid1(VALU_DEP_2)
	v_pk_fma_f32 v[8:9], v[4:5], v[80:81], v[8:9] op_sel_hi:[1,1,0] neg_lo:[0,0,1] neg_hi:[0,0,1]
	v_pk_fma_f32 v[4:5], v[4:5], v[80:81], v[10:11] op_sel:[1,0,0] op_sel_hi:[0,1,0]
	s_delay_alu instid0(VALU_DEP_1) | instskip(SKIP_1) | instid1(VALU_DEP_2)
	v_mov_b32_e32 v9, v5
	v_pk_mul_f32 v[4:5], v[6:7], v[2:3] op_sel:[0,1]
	v_pk_add_f32 v[140:141], v[140:141], v[8:9] neg_lo:[0,1] neg_hi:[0,1]
	s_delay_alu instid0(VALU_DEP_2) | instskip(SKIP_1) | instid1(VALU_DEP_1)
	v_pk_fma_f32 v[8:9], v[6:7], v[0:1], v[4:5] op_sel:[0,0,1] op_sel_hi:[1,1,0] neg_lo:[0,0,1] neg_hi:[0,0,1]
	v_pk_fma_f32 v[4:5], v[6:7], v[0:1], v[4:5] op_sel:[0,0,1] op_sel_hi:[1,0,0]
	v_mov_b32_e32 v9, v5
	ds_load_2addr_b64 v[4:7], v148 offset0:37 offset1:38
	v_pk_add_f32 v[162:163], v[162:163], v[8:9] neg_lo:[0,1] neg_hi:[0,1]
	s_wait_dscnt 0x0
	v_pk_mul_f32 v[8:9], v[4:5], v[2:3] op_sel:[0,1]
	s_delay_alu instid0(VALU_DEP_1) | instskip(SKIP_1) | instid1(VALU_DEP_1)
	v_pk_fma_f32 v[10:11], v[4:5], v[0:1], v[8:9] op_sel:[0,0,1] op_sel_hi:[1,1,0] neg_lo:[0,0,1] neg_hi:[0,0,1]
	v_pk_fma_f32 v[4:5], v[4:5], v[0:1], v[8:9] op_sel:[0,0,1] op_sel_hi:[1,0,0]
	v_mov_b32_e32 v11, v5
	v_pk_mul_f32 v[4:5], v[6:7], v[2:3] op_sel:[0,1]
	s_delay_alu instid0(VALU_DEP_2) | instskip(NEXT) | instid1(VALU_DEP_2)
	v_pk_add_f32 v[158:159], v[158:159], v[10:11] neg_lo:[0,1] neg_hi:[0,1]
	v_pk_fma_f32 v[8:9], v[6:7], v[0:1], v[4:5] op_sel:[0,0,1] op_sel_hi:[1,1,0] neg_lo:[0,0,1] neg_hi:[0,0,1]
	v_pk_fma_f32 v[4:5], v[6:7], v[0:1], v[4:5] op_sel:[0,0,1] op_sel_hi:[1,0,0]
	s_delay_alu instid0(VALU_DEP_1) | instskip(SKIP_4) | instid1(VALU_DEP_1)
	v_mov_b32_e32 v9, v5
	ds_load_2addr_b64 v[4:7], v148 offset0:39 offset1:40
	v_pk_add_f32 v[160:161], v[160:161], v[8:9] neg_lo:[0,1] neg_hi:[0,1]
	s_wait_dscnt 0x0
	v_pk_mul_f32 v[8:9], v[4:5], v[2:3] op_sel:[0,1]
	v_pk_fma_f32 v[10:11], v[4:5], v[0:1], v[8:9] op_sel:[0,0,1] op_sel_hi:[1,1,0] neg_lo:[0,0,1] neg_hi:[0,0,1]
	v_pk_fma_f32 v[4:5], v[4:5], v[0:1], v[8:9] op_sel:[0,0,1] op_sel_hi:[1,0,0]
	v_dual_mul_f32 v8, v7, v3 :: v_dual_mov_b32 v4, v7
	s_delay_alu instid0(VALU_DEP_2) | instskip(NEXT) | instid1(VALU_DEP_2)
	v_dual_mov_b32 v11, v5 :: v_dual_mov_b32 v5, v6
	v_pk_fma_f32 v[8:9], v[6:7], v[80:81], v[8:9] op_sel_hi:[1,1,0] neg_lo:[0,0,1] neg_hi:[0,0,1]
	v_mul_f32_e32 v6, v7, v0
	s_delay_alu instid0(VALU_DEP_3) | instskip(NEXT) | instid1(VALU_DEP_2)
	v_pk_add_f32 v[156:157], v[156:157], v[10:11] neg_lo:[0,1] neg_hi:[0,1]
	v_pk_fma_f32 v[4:5], v[4:5], v[80:81], v[6:7] op_sel_hi:[1,1,0]
	s_delay_alu instid0(VALU_DEP_1) | instskip(SKIP_4) | instid1(VALU_DEP_1)
	v_mov_b32_e32 v9, v5
	ds_load_2addr_b64 v[4:7], v148 offset0:41 offset1:42
	v_pk_add_f32 v[178:179], v[178:179], v[8:9] neg_lo:[0,1] neg_hi:[0,1]
	s_wait_dscnt 0x0
	v_pk_mul_f32 v[8:9], v[4:5], v[2:3] op_sel:[0,1]
	v_pk_fma_f32 v[10:11], v[4:5], v[0:1], v[8:9] op_sel:[0,0,1] op_sel_hi:[1,1,0] neg_lo:[0,0,1] neg_hi:[0,0,1]
	v_pk_fma_f32 v[4:5], v[4:5], v[0:1], v[8:9] op_sel:[0,0,1] op_sel_hi:[1,0,0]
	s_delay_alu instid0(VALU_DEP_1) | instskip(SKIP_1) | instid1(VALU_DEP_1)
	v_mov_b32_e32 v11, v5
	v_pk_mul_f32 v[4:5], v[6:7], v[2:3] op_sel:[0,1]
	v_pk_fma_f32 v[8:9], v[6:7], v[0:1], v[4:5] op_sel:[0,0,1] op_sel_hi:[1,1,0] neg_lo:[0,0,1] neg_hi:[0,0,1]
	v_pk_fma_f32 v[4:5], v[6:7], v[0:1], v[4:5] op_sel:[0,0,1] op_sel_hi:[1,0,0]
	s_delay_alu instid0(VALU_DEP_1)
	v_mov_b32_e32 v9, v5
	ds_load_2addr_b64 v[4:7], v148 offset0:43 offset1:44
	v_pk_add_f32 v[174:175], v[174:175], v[10:11] neg_lo:[0,1] neg_hi:[0,1]
	v_pk_add_f32 v[176:177], v[176:177], v[8:9] neg_lo:[0,1] neg_hi:[0,1]
	s_wait_dscnt 0x0
	v_pk_mul_f32 v[8:9], v[4:5], v[2:3] op_sel:[0,1]
	s_delay_alu instid0(VALU_DEP_1) | instskip(SKIP_1) | instid1(VALU_DEP_1)
	v_pk_fma_f32 v[10:11], v[4:5], v[0:1], v[8:9] op_sel:[0,0,1] op_sel_hi:[1,1,0] neg_lo:[0,0,1] neg_hi:[0,0,1]
	v_pk_fma_f32 v[4:5], v[4:5], v[0:1], v[8:9] op_sel:[0,0,1] op_sel_hi:[1,0,0]
	v_mov_b32_e32 v11, v5
	v_pk_mul_f32 v[4:5], v[6:7], v[2:3] op_sel:[0,1]
	s_delay_alu instid0(VALU_DEP_1) | instskip(SKIP_1) | instid1(VALU_DEP_1)
	v_pk_fma_f32 v[8:9], v[6:7], v[0:1], v[4:5] op_sel:[0,0,1] op_sel_hi:[1,1,0] neg_lo:[0,0,1] neg_hi:[0,0,1]
	v_pk_fma_f32 v[4:5], v[6:7], v[0:1], v[4:5] op_sel:[0,0,1] op_sel_hi:[1,0,0]
	v_mov_b32_e32 v9, v5
	ds_load_2addr_b64 v[4:7], v148 offset0:45 offset1:46
	v_pk_add_f32 v[172:173], v[172:173], v[10:11] neg_lo:[0,1] neg_hi:[0,1]
	v_pk_add_f32 v[196:197], v[196:197], v[8:9] neg_lo:[0,1] neg_hi:[0,1]
	s_wait_dscnt 0x0
	v_dual_mul_f32 v8, v5, v3 :: v_dual_mul_f32 v10, v5, v0
	s_delay_alu instid0(VALU_DEP_1) | instskip(NEXT) | instid1(VALU_DEP_2)
	v_pk_fma_f32 v[8:9], v[4:5], v[80:81], v[8:9] op_sel_hi:[1,1,0] neg_lo:[0,0,1] neg_hi:[0,0,1]
	v_pk_fma_f32 v[4:5], v[4:5], v[80:81], v[10:11] op_sel:[1,0,0] op_sel_hi:[0,1,0]
	s_delay_alu instid0(VALU_DEP_1) | instskip(SKIP_1) | instid1(VALU_DEP_2)
	v_mov_b32_e32 v9, v5
	v_pk_mul_f32 v[4:5], v[6:7], v[2:3] op_sel:[0,1]
	v_pk_add_f32 v[192:193], v[192:193], v[8:9] neg_lo:[0,1] neg_hi:[0,1]
	s_delay_alu instid0(VALU_DEP_2) | instskip(SKIP_1) | instid1(VALU_DEP_1)
	v_pk_fma_f32 v[8:9], v[6:7], v[0:1], v[4:5] op_sel:[0,0,1] op_sel_hi:[1,1,0] neg_lo:[0,0,1] neg_hi:[0,0,1]
	v_pk_fma_f32 v[4:5], v[6:7], v[0:1], v[4:5] op_sel:[0,0,1] op_sel_hi:[1,0,0]
	v_mov_b32_e32 v9, v5
	ds_load_2addr_b64 v[4:7], v148 offset0:47 offset1:48
	v_pk_add_f32 v[194:195], v[194:195], v[8:9] neg_lo:[0,1] neg_hi:[0,1]
	s_wait_dscnt 0x0
	v_pk_mul_f32 v[8:9], v[4:5], v[2:3] op_sel:[0,1]
	s_delay_alu instid0(VALU_DEP_1) | instskip(SKIP_1) | instid1(VALU_DEP_1)
	v_pk_fma_f32 v[10:11], v[4:5], v[0:1], v[8:9] op_sel:[0,0,1] op_sel_hi:[1,1,0] neg_lo:[0,0,1] neg_hi:[0,0,1]
	v_pk_fma_f32 v[4:5], v[4:5], v[0:1], v[8:9] op_sel:[0,0,1] op_sel_hi:[1,0,0]
	v_mov_b32_e32 v11, v5
	v_pk_mul_f32 v[4:5], v[6:7], v[2:3] op_sel:[0,1]
	s_delay_alu instid0(VALU_DEP_2) | instskip(NEXT) | instid1(VALU_DEP_2)
	v_pk_add_f32 v[190:191], v[190:191], v[10:11] neg_lo:[0,1] neg_hi:[0,1]
	v_pk_fma_f32 v[8:9], v[6:7], v[0:1], v[4:5] op_sel:[0,0,1] op_sel_hi:[1,1,0] neg_lo:[0,0,1] neg_hi:[0,0,1]
	v_pk_fma_f32 v[4:5], v[6:7], v[0:1], v[4:5] op_sel:[0,0,1] op_sel_hi:[1,0,0]
	s_delay_alu instid0(VALU_DEP_1) | instskip(SKIP_4) | instid1(VALU_DEP_1)
	v_mov_b32_e32 v9, v5
	ds_load_2addr_b64 v[4:7], v148 offset0:49 offset1:50
	v_pk_add_f32 v[212:213], v[212:213], v[8:9] neg_lo:[0,1] neg_hi:[0,1]
	s_wait_dscnt 0x0
	v_pk_mul_f32 v[8:9], v[4:5], v[2:3] op_sel:[0,1]
	v_pk_fma_f32 v[10:11], v[4:5], v[0:1], v[8:9] op_sel:[0,0,1] op_sel_hi:[1,1,0] neg_lo:[0,0,1] neg_hi:[0,0,1]
	v_pk_fma_f32 v[4:5], v[4:5], v[0:1], v[8:9] op_sel:[0,0,1] op_sel_hi:[1,0,0]
	v_dual_mul_f32 v8, v7, v3 :: v_dual_mov_b32 v4, v7
	s_delay_alu instid0(VALU_DEP_2) | instskip(NEXT) | instid1(VALU_DEP_2)
	v_dual_mov_b32 v11, v5 :: v_dual_mov_b32 v5, v6
	v_pk_fma_f32 v[8:9], v[6:7], v[80:81], v[8:9] op_sel_hi:[1,1,0] neg_lo:[0,0,1] neg_hi:[0,0,1]
	v_mul_f32_e32 v6, v7, v0
	s_delay_alu instid0(VALU_DEP_3) | instskip(NEXT) | instid1(VALU_DEP_2)
	v_pk_add_f32 v[208:209], v[208:209], v[10:11] neg_lo:[0,1] neg_hi:[0,1]
	v_pk_fma_f32 v[4:5], v[4:5], v[80:81], v[6:7] op_sel_hi:[1,1,0]
	s_delay_alu instid0(VALU_DEP_1) | instskip(SKIP_4) | instid1(VALU_DEP_1)
	v_mov_b32_e32 v9, v5
	ds_load_2addr_b64 v[4:7], v148 offset0:51 offset1:52
	v_pk_add_f32 v[210:211], v[210:211], v[8:9] neg_lo:[0,1] neg_hi:[0,1]
	s_wait_dscnt 0x0
	v_pk_mul_f32 v[8:9], v[4:5], v[2:3] op_sel:[0,1]
	v_pk_fma_f32 v[10:11], v[4:5], v[0:1], v[8:9] op_sel:[0,0,1] op_sel_hi:[1,1,0] neg_lo:[0,0,1] neg_hi:[0,0,1]
	v_pk_fma_f32 v[4:5], v[4:5], v[0:1], v[8:9] op_sel:[0,0,1] op_sel_hi:[1,0,0]
	s_delay_alu instid0(VALU_DEP_1) | instskip(SKIP_1) | instid1(VALU_DEP_1)
	v_mov_b32_e32 v11, v5
	v_pk_mul_f32 v[4:5], v[6:7], v[2:3] op_sel:[0,1]
	v_pk_fma_f32 v[8:9], v[6:7], v[0:1], v[4:5] op_sel:[0,0,1] op_sel_hi:[1,1,0] neg_lo:[0,0,1] neg_hi:[0,0,1]
	v_pk_fma_f32 v[4:5], v[6:7], v[0:1], v[4:5] op_sel:[0,0,1] op_sel_hi:[1,0,0]
	s_delay_alu instid0(VALU_DEP_1)
	v_mov_b32_e32 v9, v5
	ds_load_b64 v[4:5], v148 offset:424
	v_pk_add_f32 v[206:207], v[206:207], v[10:11] neg_lo:[0,1] neg_hi:[0,1]
	v_pk_add_f32 v[214:215], v[214:215], v[8:9] neg_lo:[0,1] neg_hi:[0,1]
	s_wait_dscnt 0x0
	v_pk_mul_f32 v[2:3], v[4:5], v[2:3] op_sel:[0,1]
	s_delay_alu instid0(VALU_DEP_1) | instskip(SKIP_1) | instid1(VALU_DEP_1)
	v_pk_fma_f32 v[6:7], v[4:5], v[0:1], v[2:3] op_sel:[0,0,1] op_sel_hi:[1,1,0] neg_lo:[0,0,1] neg_hi:[0,0,1]
	v_pk_fma_f32 v[0:1], v[4:5], v[0:1], v[2:3] op_sel:[0,0,1] op_sel_hi:[1,0,0]
	v_mov_b32_e32 v7, v1
	s_delay_alu instid0(VALU_DEP_1)
	v_pk_add_f32 v[216:217], v[216:217], v[6:7] neg_lo:[0,1] neg_hi:[0,1]
.LBB107_154:
	s_wait_xcnt 0x0
	s_or_b32 exec_lo, exec_lo, s1
	s_delay_alu instid0(SALU_CYCLE_1)
	s_mov_b32 s2, exec_lo
	s_wait_storecnt 0x0
	s_barrier_signal -1
	s_barrier_wait -1
	v_cmpx_eq_u32_e32 17, v138
	s_cbranch_execz .LBB107_161
; %bb.155:
	v_dual_mov_b32 v0, v78 :: v_dual_mov_b32 v1, v79
	v_dual_mov_b32 v2, v74 :: v_dual_mov_b32 v3, v75
	ds_store_b64 v139, v[76:77]
	ds_store_2addr_b64 v148, v[0:1], v[2:3] offset0:18 offset1:19
	v_dual_mov_b32 v0, v96 :: v_dual_mov_b32 v1, v97
	v_dual_mov_b32 v2, v92 :: v_dual_mov_b32 v3, v93
	ds_store_2addr_b64 v148, v[0:1], v[2:3] offset0:20 offset1:21
	v_dual_mov_b32 v0, v94 :: v_dual_mov_b32 v1, v95
	v_dual_mov_b32 v2, v90 :: v_dual_mov_b32 v3, v91
	ds_store_2addr_b64 v148, v[0:1], v[2:3] offset0:22 offset1:23
	v_dual_mov_b32 v0, v112 :: v_dual_mov_b32 v1, v113
	v_dual_mov_b32 v2, v108 :: v_dual_mov_b32 v3, v109
	ds_store_2addr_b64 v148, v[0:1], v[2:3] offset0:24 offset1:25
	v_dual_mov_b32 v0, v110 :: v_dual_mov_b32 v1, v111
	v_dual_mov_b32 v2, v106 :: v_dual_mov_b32 v3, v107
	ds_store_2addr_b64 v148, v[0:1], v[2:3] offset0:26 offset1:27
	v_dual_mov_b32 v0, v130 :: v_dual_mov_b32 v1, v131
	v_dual_mov_b32 v2, v126 :: v_dual_mov_b32 v3, v127
	ds_store_2addr_b64 v148, v[0:1], v[2:3] offset0:28 offset1:29
	v_dual_mov_b32 v0, v128 :: v_dual_mov_b32 v1, v129
	v_dual_mov_b32 v2, v124 :: v_dual_mov_b32 v3, v125
	ds_store_2addr_b64 v148, v[0:1], v[2:3] offset0:30 offset1:31
	v_dual_mov_b32 v0, v146 :: v_dual_mov_b32 v1, v147
	v_dual_mov_b32 v2, v142 :: v_dual_mov_b32 v3, v143
	ds_store_2addr_b64 v148, v[0:1], v[2:3] offset0:32 offset1:33
	v_dual_mov_b32 v0, v144 :: v_dual_mov_b32 v1, v145
	v_dual_mov_b32 v2, v140 :: v_dual_mov_b32 v3, v141
	ds_store_2addr_b64 v148, v[0:1], v[2:3] offset0:34 offset1:35
	v_dual_mov_b32 v0, v162 :: v_dual_mov_b32 v1, v163
	v_dual_mov_b32 v2, v158 :: v_dual_mov_b32 v3, v159
	ds_store_2addr_b64 v148, v[0:1], v[2:3] offset0:36 offset1:37
	v_dual_mov_b32 v0, v160 :: v_dual_mov_b32 v1, v161
	v_dual_mov_b32 v2, v156 :: v_dual_mov_b32 v3, v157
	ds_store_2addr_b64 v148, v[0:1], v[2:3] offset0:38 offset1:39
	v_dual_mov_b32 v0, v178 :: v_dual_mov_b32 v1, v179
	v_dual_mov_b32 v2, v174 :: v_dual_mov_b32 v3, v175
	ds_store_2addr_b64 v148, v[0:1], v[2:3] offset0:40 offset1:41
	v_dual_mov_b32 v0, v176 :: v_dual_mov_b32 v1, v177
	v_dual_mov_b32 v2, v172 :: v_dual_mov_b32 v3, v173
	ds_store_2addr_b64 v148, v[0:1], v[2:3] offset0:42 offset1:43
	v_dual_mov_b32 v0, v196 :: v_dual_mov_b32 v1, v197
	v_dual_mov_b32 v2, v192 :: v_dual_mov_b32 v3, v193
	ds_store_2addr_b64 v148, v[0:1], v[2:3] offset0:44 offset1:45
	v_dual_mov_b32 v0, v194 :: v_dual_mov_b32 v1, v195
	v_dual_mov_b32 v2, v190 :: v_dual_mov_b32 v3, v191
	ds_store_2addr_b64 v148, v[0:1], v[2:3] offset0:46 offset1:47
	v_dual_mov_b32 v0, v212 :: v_dual_mov_b32 v1, v213
	v_dual_mov_b32 v2, v208 :: v_dual_mov_b32 v3, v209
	ds_store_2addr_b64 v148, v[0:1], v[2:3] offset0:48 offset1:49
	v_dual_mov_b32 v0, v210 :: v_dual_mov_b32 v1, v211
	v_dual_mov_b32 v2, v206 :: v_dual_mov_b32 v3, v207
	ds_store_2addr_b64 v148, v[0:1], v[2:3] offset0:50 offset1:51
	v_dual_mov_b32 v0, v214 :: v_dual_mov_b32 v1, v215
	ds_store_2addr_b64 v148, v[0:1], v[216:217] offset0:52 offset1:53
	ds_load_b64 v[0:1], v139
	s_wait_dscnt 0x0
	v_cmp_neq_f32_e32 vcc_lo, 0, v0
	v_cmp_neq_f32_e64 s1, 0, v1
	s_or_b32 s1, vcc_lo, s1
	s_delay_alu instid0(SALU_CYCLE_1)
	s_and_b32 exec_lo, exec_lo, s1
	s_cbranch_execz .LBB107_161
; %bb.156:
	v_cmp_ngt_f32_e64 s1, |v0|, |v1|
                                        ; implicit-def: $vgpr2_vgpr3
	s_and_saveexec_b32 s4, s1
	s_delay_alu instid0(SALU_CYCLE_1)
	s_xor_b32 s1, exec_lo, s4
	s_cbranch_execz .LBB107_158
; %bb.157:
	v_div_scale_f32 v2, null, v1, v1, v0
	v_div_scale_f32 v5, vcc_lo, v0, v1, v0
	s_delay_alu instid0(VALU_DEP_2) | instskip(SKIP_1) | instid1(TRANS32_DEP_1)
	v_rcp_f32_e32 v3, v2
	v_nop
	v_fma_f32 v4, -v2, v3, 1.0
	s_delay_alu instid0(VALU_DEP_1) | instskip(NEXT) | instid1(VALU_DEP_1)
	v_fmac_f32_e32 v3, v4, v3
	v_mul_f32_e32 v4, v5, v3
	s_delay_alu instid0(VALU_DEP_1) | instskip(NEXT) | instid1(VALU_DEP_1)
	v_fma_f32 v6, -v2, v4, v5
	v_fmac_f32_e32 v4, v6, v3
	s_delay_alu instid0(VALU_DEP_1) | instskip(NEXT) | instid1(VALU_DEP_1)
	v_fma_f32 v2, -v2, v4, v5
	v_div_fmas_f32 v2, v2, v3, v4
	s_delay_alu instid0(VALU_DEP_1) | instskip(NEXT) | instid1(VALU_DEP_1)
	v_div_fixup_f32 v2, v2, v1, v0
	v_fmac_f32_e32 v1, v0, v2
	s_delay_alu instid0(VALU_DEP_1) | instskip(SKIP_1) | instid1(VALU_DEP_2)
	v_div_scale_f32 v0, null, v1, v1, 1.0
	v_div_scale_f32 v5, vcc_lo, 1.0, v1, 1.0
	v_rcp_f32_e32 v3, v0
	v_nop
	s_delay_alu instid0(TRANS32_DEP_1) | instskip(NEXT) | instid1(VALU_DEP_1)
	v_fma_f32 v4, -v0, v3, 1.0
	v_fmac_f32_e32 v3, v4, v3
	s_delay_alu instid0(VALU_DEP_1) | instskip(NEXT) | instid1(VALU_DEP_1)
	v_mul_f32_e32 v4, v5, v3
	v_fma_f32 v6, -v0, v4, v5
	s_delay_alu instid0(VALU_DEP_1) | instskip(NEXT) | instid1(VALU_DEP_1)
	v_fmac_f32_e32 v4, v6, v3
	v_fma_f32 v0, -v0, v4, v5
	s_delay_alu instid0(VALU_DEP_1) | instskip(NEXT) | instid1(VALU_DEP_1)
	v_div_fmas_f32 v0, v0, v3, v4
	v_div_fixup_f32 v0, v0, v1, 1.0
	s_delay_alu instid0(VALU_DEP_1)
	v_mul_f32_e32 v2, v2, v0
	v_xor_b32_e32 v3, 0x80000000, v0
                                        ; implicit-def: $vgpr0_vgpr1
.LBB107_158:
	s_and_not1_saveexec_b32 s1, s1
	s_cbranch_execz .LBB107_160
; %bb.159:
	v_div_scale_f32 v2, null, v0, v0, v1
	v_div_scale_f32 v5, vcc_lo, v1, v0, v1
	s_delay_alu instid0(VALU_DEP_2) | instskip(SKIP_1) | instid1(TRANS32_DEP_1)
	v_rcp_f32_e32 v3, v2
	v_nop
	v_fma_f32 v4, -v2, v3, 1.0
	s_delay_alu instid0(VALU_DEP_1) | instskip(NEXT) | instid1(VALU_DEP_1)
	v_fmac_f32_e32 v3, v4, v3
	v_mul_f32_e32 v4, v5, v3
	s_delay_alu instid0(VALU_DEP_1) | instskip(NEXT) | instid1(VALU_DEP_1)
	v_fma_f32 v6, -v2, v4, v5
	v_fmac_f32_e32 v4, v6, v3
	s_delay_alu instid0(VALU_DEP_1) | instskip(NEXT) | instid1(VALU_DEP_1)
	v_fma_f32 v2, -v2, v4, v5
	v_div_fmas_f32 v2, v2, v3, v4
	s_delay_alu instid0(VALU_DEP_1) | instskip(NEXT) | instid1(VALU_DEP_1)
	v_div_fixup_f32 v3, v2, v0, v1
	v_fmac_f32_e32 v0, v1, v3
	s_delay_alu instid0(VALU_DEP_1) | instskip(NEXT) | instid1(VALU_DEP_1)
	v_div_scale_f32 v1, null, v0, v0, 1.0
	v_rcp_f32_e32 v2, v1
	v_nop
	s_delay_alu instid0(TRANS32_DEP_1) | instskip(NEXT) | instid1(VALU_DEP_1)
	v_fma_f32 v4, -v1, v2, 1.0
	v_fmac_f32_e32 v2, v4, v2
	v_div_scale_f32 v4, vcc_lo, 1.0, v0, 1.0
	s_delay_alu instid0(VALU_DEP_1) | instskip(NEXT) | instid1(VALU_DEP_1)
	v_mul_f32_e32 v5, v4, v2
	v_fma_f32 v6, -v1, v5, v4
	s_delay_alu instid0(VALU_DEP_1) | instskip(NEXT) | instid1(VALU_DEP_1)
	v_fmac_f32_e32 v5, v6, v2
	v_fma_f32 v1, -v1, v5, v4
	s_delay_alu instid0(VALU_DEP_1) | instskip(NEXT) | instid1(VALU_DEP_1)
	v_div_fmas_f32 v1, v1, v2, v5
	v_div_fixup_f32 v2, v1, v0, 1.0
	s_delay_alu instid0(VALU_DEP_1)
	v_mul_f32_e64 v3, v3, -v2
.LBB107_160:
	s_or_b32 exec_lo, exec_lo, s1
	ds_store_b64 v139, v[2:3]
.LBB107_161:
	s_or_b32 exec_lo, exec_lo, s2
	s_wait_dscnt 0x0
	s_barrier_signal -1
	s_barrier_wait -1
	ds_load_b64 v[0:1], v139
	s_mov_b32 s1, exec_lo
	s_wait_dscnt 0x0
	scratch_store_b64 off, v[0:1], off offset:304 ; 8-byte Folded Spill
	s_wait_xcnt 0x0
	v_cmpx_lt_u32_e32 17, v138
	s_cbranch_execz .LBB107_163
; %bb.162:
	scratch_load_b64 v[4:5], off, off offset:304 ; 8-byte Folded Reload
	s_wait_loadcnt 0x0
	v_pk_mul_f32 v[2:3], v[4:5], v[76:77] op_sel:[1,1] op_sel_hi:[0,1]
	s_delay_alu instid0(VALU_DEP_1)
	v_pk_fma_f32 v[0:1], v[4:5], v[76:77], v[2:3] op_sel_hi:[1,0,1] neg_lo:[0,0,1] neg_hi:[0,0,1]
	v_pk_fma_f32 v[2:3], v[4:5], v[76:77], v[2:3] op_sel_hi:[1,0,1]
	ds_load_2addr_b64 v[4:7], v148 offset0:18 offset1:19
	v_dual_mov_b32 v76, v0 :: v_dual_mov_b32 v77, v3
	s_wait_dscnt 0x0
	v_pk_mul_f32 v[8:9], v[4:5], v[2:3] op_sel:[0,1]
	s_delay_alu instid0(VALU_DEP_1) | instskip(SKIP_1) | instid1(VALU_DEP_1)
	v_pk_fma_f32 v[10:11], v[4:5], v[0:1], v[8:9] op_sel:[0,0,1] op_sel_hi:[1,1,0] neg_lo:[0,0,1] neg_hi:[0,0,1]
	v_pk_fma_f32 v[4:5], v[4:5], v[0:1], v[8:9] op_sel:[0,0,1] op_sel_hi:[1,0,0]
	v_mov_b32_e32 v11, v5
	v_pk_mul_f32 v[4:5], v[6:7], v[2:3] op_sel:[0,1]
	s_delay_alu instid0(VALU_DEP_1) | instskip(SKIP_1) | instid1(VALU_DEP_1)
	v_pk_fma_f32 v[8:9], v[6:7], v[0:1], v[4:5] op_sel:[0,0,1] op_sel_hi:[1,1,0] neg_lo:[0,0,1] neg_hi:[0,0,1]
	v_pk_fma_f32 v[4:5], v[6:7], v[0:1], v[4:5] op_sel:[0,0,1] op_sel_hi:[1,0,0]
	v_mov_b32_e32 v9, v5
	ds_load_2addr_b64 v[4:7], v148 offset0:20 offset1:21
	v_pk_add_f32 v[78:79], v[78:79], v[10:11] neg_lo:[0,1] neg_hi:[0,1]
	v_pk_add_f32 v[74:75], v[74:75], v[8:9] neg_lo:[0,1] neg_hi:[0,1]
	s_wait_dscnt 0x0
	v_pk_mul_f32 v[8:9], v[4:5], v[2:3] op_sel:[0,1]
	s_delay_alu instid0(VALU_DEP_1) | instskip(SKIP_2) | instid1(VALU_DEP_2)
	v_pk_fma_f32 v[10:11], v[4:5], v[0:1], v[8:9] op_sel:[0,0,1] op_sel_hi:[1,1,0] neg_lo:[0,0,1] neg_hi:[0,0,1]
	v_pk_fma_f32 v[4:5], v[4:5], v[0:1], v[8:9] op_sel:[0,0,1] op_sel_hi:[1,0,0]
	v_dual_mul_f32 v8, v7, v3 :: v_dual_mov_b32 v4, v7
	v_dual_mov_b32 v11, v5 :: v_dual_mov_b32 v5, v6
	s_delay_alu instid0(VALU_DEP_2) | instskip(SKIP_1) | instid1(VALU_DEP_3)
	v_pk_fma_f32 v[8:9], v[6:7], v[76:77], v[8:9] op_sel_hi:[1,1,0] neg_lo:[0,0,1] neg_hi:[0,0,1]
	v_mul_f32_e32 v6, v7, v0
	v_pk_add_f32 v[96:97], v[96:97], v[10:11] neg_lo:[0,1] neg_hi:[0,1]
	s_delay_alu instid0(VALU_DEP_2) | instskip(NEXT) | instid1(VALU_DEP_1)
	v_pk_fma_f32 v[4:5], v[4:5], v[76:77], v[6:7] op_sel_hi:[1,1,0]
	v_mov_b32_e32 v9, v5
	ds_load_2addr_b64 v[4:7], v148 offset0:22 offset1:23
	v_pk_add_f32 v[92:93], v[92:93], v[8:9] neg_lo:[0,1] neg_hi:[0,1]
	s_wait_dscnt 0x0
	v_pk_mul_f32 v[8:9], v[4:5], v[2:3] op_sel:[0,1]
	s_delay_alu instid0(VALU_DEP_1) | instskip(SKIP_1) | instid1(VALU_DEP_1)
	v_pk_fma_f32 v[10:11], v[4:5], v[0:1], v[8:9] op_sel:[0,0,1] op_sel_hi:[1,1,0] neg_lo:[0,0,1] neg_hi:[0,0,1]
	v_pk_fma_f32 v[4:5], v[4:5], v[0:1], v[8:9] op_sel:[0,0,1] op_sel_hi:[1,0,0]
	v_mov_b32_e32 v11, v5
	v_pk_mul_f32 v[4:5], v[6:7], v[2:3] op_sel:[0,1]
	s_delay_alu instid0(VALU_DEP_1) | instskip(SKIP_1) | instid1(VALU_DEP_1)
	v_pk_fma_f32 v[8:9], v[6:7], v[0:1], v[4:5] op_sel:[0,0,1] op_sel_hi:[1,1,0] neg_lo:[0,0,1] neg_hi:[0,0,1]
	v_pk_fma_f32 v[4:5], v[6:7], v[0:1], v[4:5] op_sel:[0,0,1] op_sel_hi:[1,0,0]
	v_mov_b32_e32 v9, v5
	ds_load_2addr_b64 v[4:7], v148 offset0:24 offset1:25
	v_pk_add_f32 v[94:95], v[94:95], v[10:11] neg_lo:[0,1] neg_hi:[0,1]
	v_pk_add_f32 v[90:91], v[90:91], v[8:9] neg_lo:[0,1] neg_hi:[0,1]
	s_wait_dscnt 0x0
	v_pk_mul_f32 v[8:9], v[4:5], v[2:3] op_sel:[0,1]
	s_delay_alu instid0(VALU_DEP_1) | instskip(SKIP_1) | instid1(VALU_DEP_1)
	v_pk_fma_f32 v[10:11], v[4:5], v[0:1], v[8:9] op_sel:[0,0,1] op_sel_hi:[1,1,0] neg_lo:[0,0,1] neg_hi:[0,0,1]
	v_pk_fma_f32 v[4:5], v[4:5], v[0:1], v[8:9] op_sel:[0,0,1] op_sel_hi:[1,0,0]
	v_mov_b32_e32 v11, v5
	v_pk_mul_f32 v[4:5], v[6:7], v[2:3] op_sel:[0,1]
	s_delay_alu instid0(VALU_DEP_1) | instskip(SKIP_1) | instid1(VALU_DEP_1)
	v_pk_fma_f32 v[8:9], v[6:7], v[0:1], v[4:5] op_sel:[0,0,1] op_sel_hi:[1,1,0] neg_lo:[0,0,1] neg_hi:[0,0,1]
	v_pk_fma_f32 v[4:5], v[6:7], v[0:1], v[4:5] op_sel:[0,0,1] op_sel_hi:[1,0,0]
	v_mov_b32_e32 v9, v5
	ds_load_2addr_b64 v[4:7], v148 offset0:26 offset1:27
	v_pk_add_f32 v[112:113], v[112:113], v[10:11] neg_lo:[0,1] neg_hi:[0,1]
	v_pk_add_f32 v[108:109], v[108:109], v[8:9] neg_lo:[0,1] neg_hi:[0,1]
	s_wait_dscnt 0x0
	v_dual_mul_f32 v8, v5, v3 :: v_dual_mul_f32 v10, v5, v0
	s_delay_alu instid0(VALU_DEP_1) | instskip(NEXT) | instid1(VALU_DEP_2)
	v_pk_fma_f32 v[8:9], v[4:5], v[76:77], v[8:9] op_sel_hi:[1,1,0] neg_lo:[0,0,1] neg_hi:[0,0,1]
	v_pk_fma_f32 v[4:5], v[4:5], v[76:77], v[10:11] op_sel:[1,0,0] op_sel_hi:[0,1,0]
	s_delay_alu instid0(VALU_DEP_1) | instskip(SKIP_1) | instid1(VALU_DEP_2)
	v_mov_b32_e32 v9, v5
	v_pk_mul_f32 v[4:5], v[6:7], v[2:3] op_sel:[0,1]
	v_pk_add_f32 v[110:111], v[110:111], v[8:9] neg_lo:[0,1] neg_hi:[0,1]
	s_delay_alu instid0(VALU_DEP_2) | instskip(SKIP_1) | instid1(VALU_DEP_1)
	v_pk_fma_f32 v[8:9], v[6:7], v[0:1], v[4:5] op_sel:[0,0,1] op_sel_hi:[1,1,0] neg_lo:[0,0,1] neg_hi:[0,0,1]
	v_pk_fma_f32 v[4:5], v[6:7], v[0:1], v[4:5] op_sel:[0,0,1] op_sel_hi:[1,0,0]
	v_mov_b32_e32 v9, v5
	ds_load_2addr_b64 v[4:7], v148 offset0:28 offset1:29
	v_pk_add_f32 v[106:107], v[106:107], v[8:9] neg_lo:[0,1] neg_hi:[0,1]
	s_wait_dscnt 0x0
	v_pk_mul_f32 v[8:9], v[4:5], v[2:3] op_sel:[0,1]
	s_delay_alu instid0(VALU_DEP_1) | instskip(SKIP_1) | instid1(VALU_DEP_1)
	v_pk_fma_f32 v[10:11], v[4:5], v[0:1], v[8:9] op_sel:[0,0,1] op_sel_hi:[1,1,0] neg_lo:[0,0,1] neg_hi:[0,0,1]
	v_pk_fma_f32 v[4:5], v[4:5], v[0:1], v[8:9] op_sel:[0,0,1] op_sel_hi:[1,0,0]
	v_mov_b32_e32 v11, v5
	v_pk_mul_f32 v[4:5], v[6:7], v[2:3] op_sel:[0,1]
	s_delay_alu instid0(VALU_DEP_2) | instskip(NEXT) | instid1(VALU_DEP_2)
	v_pk_add_f32 v[130:131], v[130:131], v[10:11] neg_lo:[0,1] neg_hi:[0,1]
	v_pk_fma_f32 v[8:9], v[6:7], v[0:1], v[4:5] op_sel:[0,0,1] op_sel_hi:[1,1,0] neg_lo:[0,0,1] neg_hi:[0,0,1]
	v_pk_fma_f32 v[4:5], v[6:7], v[0:1], v[4:5] op_sel:[0,0,1] op_sel_hi:[1,0,0]
	s_delay_alu instid0(VALU_DEP_1) | instskip(SKIP_4) | instid1(VALU_DEP_1)
	v_mov_b32_e32 v9, v5
	ds_load_2addr_b64 v[4:7], v148 offset0:30 offset1:31
	v_pk_add_f32 v[126:127], v[126:127], v[8:9] neg_lo:[0,1] neg_hi:[0,1]
	s_wait_dscnt 0x0
	v_pk_mul_f32 v[8:9], v[4:5], v[2:3] op_sel:[0,1]
	v_pk_fma_f32 v[10:11], v[4:5], v[0:1], v[8:9] op_sel:[0,0,1] op_sel_hi:[1,1,0] neg_lo:[0,0,1] neg_hi:[0,0,1]
	v_pk_fma_f32 v[4:5], v[4:5], v[0:1], v[8:9] op_sel:[0,0,1] op_sel_hi:[1,0,0]
	v_dual_mul_f32 v8, v7, v3 :: v_dual_mov_b32 v4, v7
	s_delay_alu instid0(VALU_DEP_2) | instskip(NEXT) | instid1(VALU_DEP_2)
	v_dual_mov_b32 v11, v5 :: v_dual_mov_b32 v5, v6
	v_pk_fma_f32 v[8:9], v[6:7], v[76:77], v[8:9] op_sel_hi:[1,1,0] neg_lo:[0,0,1] neg_hi:[0,0,1]
	v_mul_f32_e32 v6, v7, v0
	s_delay_alu instid0(VALU_DEP_3) | instskip(NEXT) | instid1(VALU_DEP_2)
	v_pk_add_f32 v[128:129], v[128:129], v[10:11] neg_lo:[0,1] neg_hi:[0,1]
	v_pk_fma_f32 v[4:5], v[4:5], v[76:77], v[6:7] op_sel_hi:[1,1,0]
	s_delay_alu instid0(VALU_DEP_1) | instskip(SKIP_4) | instid1(VALU_DEP_1)
	v_mov_b32_e32 v9, v5
	ds_load_2addr_b64 v[4:7], v148 offset0:32 offset1:33
	v_pk_add_f32 v[124:125], v[124:125], v[8:9] neg_lo:[0,1] neg_hi:[0,1]
	s_wait_dscnt 0x0
	v_pk_mul_f32 v[8:9], v[4:5], v[2:3] op_sel:[0,1]
	v_pk_fma_f32 v[10:11], v[4:5], v[0:1], v[8:9] op_sel:[0,0,1] op_sel_hi:[1,1,0] neg_lo:[0,0,1] neg_hi:[0,0,1]
	v_pk_fma_f32 v[4:5], v[4:5], v[0:1], v[8:9] op_sel:[0,0,1] op_sel_hi:[1,0,0]
	s_delay_alu instid0(VALU_DEP_1) | instskip(SKIP_1) | instid1(VALU_DEP_1)
	v_mov_b32_e32 v11, v5
	v_pk_mul_f32 v[4:5], v[6:7], v[2:3] op_sel:[0,1]
	v_pk_fma_f32 v[8:9], v[6:7], v[0:1], v[4:5] op_sel:[0,0,1] op_sel_hi:[1,1,0] neg_lo:[0,0,1] neg_hi:[0,0,1]
	v_pk_fma_f32 v[4:5], v[6:7], v[0:1], v[4:5] op_sel:[0,0,1] op_sel_hi:[1,0,0]
	s_delay_alu instid0(VALU_DEP_1)
	v_mov_b32_e32 v9, v5
	ds_load_2addr_b64 v[4:7], v148 offset0:34 offset1:35
	v_pk_add_f32 v[146:147], v[146:147], v[10:11] neg_lo:[0,1] neg_hi:[0,1]
	v_pk_add_f32 v[142:143], v[142:143], v[8:9] neg_lo:[0,1] neg_hi:[0,1]
	s_wait_dscnt 0x0
	v_pk_mul_f32 v[8:9], v[4:5], v[2:3] op_sel:[0,1]
	s_delay_alu instid0(VALU_DEP_1) | instskip(SKIP_1) | instid1(VALU_DEP_1)
	v_pk_fma_f32 v[10:11], v[4:5], v[0:1], v[8:9] op_sel:[0,0,1] op_sel_hi:[1,1,0] neg_lo:[0,0,1] neg_hi:[0,0,1]
	v_pk_fma_f32 v[4:5], v[4:5], v[0:1], v[8:9] op_sel:[0,0,1] op_sel_hi:[1,0,0]
	v_mov_b32_e32 v11, v5
	v_pk_mul_f32 v[4:5], v[6:7], v[2:3] op_sel:[0,1]
	s_delay_alu instid0(VALU_DEP_1) | instskip(SKIP_1) | instid1(VALU_DEP_1)
	v_pk_fma_f32 v[8:9], v[6:7], v[0:1], v[4:5] op_sel:[0,0,1] op_sel_hi:[1,1,0] neg_lo:[0,0,1] neg_hi:[0,0,1]
	v_pk_fma_f32 v[4:5], v[6:7], v[0:1], v[4:5] op_sel:[0,0,1] op_sel_hi:[1,0,0]
	v_mov_b32_e32 v9, v5
	ds_load_2addr_b64 v[4:7], v148 offset0:36 offset1:37
	v_pk_add_f32 v[144:145], v[144:145], v[10:11] neg_lo:[0,1] neg_hi:[0,1]
	v_pk_add_f32 v[140:141], v[140:141], v[8:9] neg_lo:[0,1] neg_hi:[0,1]
	s_wait_dscnt 0x0
	v_dual_mul_f32 v8, v5, v3 :: v_dual_mul_f32 v10, v5, v0
	s_delay_alu instid0(VALU_DEP_1) | instskip(NEXT) | instid1(VALU_DEP_2)
	v_pk_fma_f32 v[8:9], v[4:5], v[76:77], v[8:9] op_sel_hi:[1,1,0] neg_lo:[0,0,1] neg_hi:[0,0,1]
	v_pk_fma_f32 v[4:5], v[4:5], v[76:77], v[10:11] op_sel:[1,0,0] op_sel_hi:[0,1,0]
	s_delay_alu instid0(VALU_DEP_1) | instskip(SKIP_1) | instid1(VALU_DEP_2)
	v_mov_b32_e32 v9, v5
	v_pk_mul_f32 v[4:5], v[6:7], v[2:3] op_sel:[0,1]
	v_pk_add_f32 v[162:163], v[162:163], v[8:9] neg_lo:[0,1] neg_hi:[0,1]
	s_delay_alu instid0(VALU_DEP_2) | instskip(SKIP_1) | instid1(VALU_DEP_1)
	v_pk_fma_f32 v[8:9], v[6:7], v[0:1], v[4:5] op_sel:[0,0,1] op_sel_hi:[1,1,0] neg_lo:[0,0,1] neg_hi:[0,0,1]
	v_pk_fma_f32 v[4:5], v[6:7], v[0:1], v[4:5] op_sel:[0,0,1] op_sel_hi:[1,0,0]
	v_mov_b32_e32 v9, v5
	ds_load_2addr_b64 v[4:7], v148 offset0:38 offset1:39
	v_pk_add_f32 v[158:159], v[158:159], v[8:9] neg_lo:[0,1] neg_hi:[0,1]
	s_wait_dscnt 0x0
	v_pk_mul_f32 v[8:9], v[4:5], v[2:3] op_sel:[0,1]
	s_delay_alu instid0(VALU_DEP_1) | instskip(SKIP_1) | instid1(VALU_DEP_1)
	v_pk_fma_f32 v[10:11], v[4:5], v[0:1], v[8:9] op_sel:[0,0,1] op_sel_hi:[1,1,0] neg_lo:[0,0,1] neg_hi:[0,0,1]
	v_pk_fma_f32 v[4:5], v[4:5], v[0:1], v[8:9] op_sel:[0,0,1] op_sel_hi:[1,0,0]
	v_mov_b32_e32 v11, v5
	v_pk_mul_f32 v[4:5], v[6:7], v[2:3] op_sel:[0,1]
	s_delay_alu instid0(VALU_DEP_2) | instskip(NEXT) | instid1(VALU_DEP_2)
	v_pk_add_f32 v[160:161], v[160:161], v[10:11] neg_lo:[0,1] neg_hi:[0,1]
	v_pk_fma_f32 v[8:9], v[6:7], v[0:1], v[4:5] op_sel:[0,0,1] op_sel_hi:[1,1,0] neg_lo:[0,0,1] neg_hi:[0,0,1]
	v_pk_fma_f32 v[4:5], v[6:7], v[0:1], v[4:5] op_sel:[0,0,1] op_sel_hi:[1,0,0]
	s_delay_alu instid0(VALU_DEP_1) | instskip(SKIP_4) | instid1(VALU_DEP_1)
	v_mov_b32_e32 v9, v5
	ds_load_2addr_b64 v[4:7], v148 offset0:40 offset1:41
	v_pk_add_f32 v[156:157], v[156:157], v[8:9] neg_lo:[0,1] neg_hi:[0,1]
	s_wait_dscnt 0x0
	v_pk_mul_f32 v[8:9], v[4:5], v[2:3] op_sel:[0,1]
	v_pk_fma_f32 v[10:11], v[4:5], v[0:1], v[8:9] op_sel:[0,0,1] op_sel_hi:[1,1,0] neg_lo:[0,0,1] neg_hi:[0,0,1]
	v_pk_fma_f32 v[4:5], v[4:5], v[0:1], v[8:9] op_sel:[0,0,1] op_sel_hi:[1,0,0]
	v_dual_mul_f32 v8, v7, v3 :: v_dual_mov_b32 v4, v7
	s_delay_alu instid0(VALU_DEP_2) | instskip(NEXT) | instid1(VALU_DEP_2)
	v_dual_mov_b32 v11, v5 :: v_dual_mov_b32 v5, v6
	v_pk_fma_f32 v[8:9], v[6:7], v[76:77], v[8:9] op_sel_hi:[1,1,0] neg_lo:[0,0,1] neg_hi:[0,0,1]
	v_mul_f32_e32 v6, v7, v0
	s_delay_alu instid0(VALU_DEP_3) | instskip(NEXT) | instid1(VALU_DEP_2)
	v_pk_add_f32 v[178:179], v[178:179], v[10:11] neg_lo:[0,1] neg_hi:[0,1]
	v_pk_fma_f32 v[4:5], v[4:5], v[76:77], v[6:7] op_sel_hi:[1,1,0]
	s_delay_alu instid0(VALU_DEP_1) | instskip(SKIP_4) | instid1(VALU_DEP_1)
	v_mov_b32_e32 v9, v5
	ds_load_2addr_b64 v[4:7], v148 offset0:42 offset1:43
	v_pk_add_f32 v[174:175], v[174:175], v[8:9] neg_lo:[0,1] neg_hi:[0,1]
	s_wait_dscnt 0x0
	v_pk_mul_f32 v[8:9], v[4:5], v[2:3] op_sel:[0,1]
	v_pk_fma_f32 v[10:11], v[4:5], v[0:1], v[8:9] op_sel:[0,0,1] op_sel_hi:[1,1,0] neg_lo:[0,0,1] neg_hi:[0,0,1]
	v_pk_fma_f32 v[4:5], v[4:5], v[0:1], v[8:9] op_sel:[0,0,1] op_sel_hi:[1,0,0]
	s_delay_alu instid0(VALU_DEP_1) | instskip(SKIP_1) | instid1(VALU_DEP_1)
	v_mov_b32_e32 v11, v5
	v_pk_mul_f32 v[4:5], v[6:7], v[2:3] op_sel:[0,1]
	v_pk_fma_f32 v[8:9], v[6:7], v[0:1], v[4:5] op_sel:[0,0,1] op_sel_hi:[1,1,0] neg_lo:[0,0,1] neg_hi:[0,0,1]
	v_pk_fma_f32 v[4:5], v[6:7], v[0:1], v[4:5] op_sel:[0,0,1] op_sel_hi:[1,0,0]
	s_delay_alu instid0(VALU_DEP_1)
	v_mov_b32_e32 v9, v5
	ds_load_2addr_b64 v[4:7], v148 offset0:44 offset1:45
	v_pk_add_f32 v[176:177], v[176:177], v[10:11] neg_lo:[0,1] neg_hi:[0,1]
	v_pk_add_f32 v[172:173], v[172:173], v[8:9] neg_lo:[0,1] neg_hi:[0,1]
	s_wait_dscnt 0x0
	v_pk_mul_f32 v[8:9], v[4:5], v[2:3] op_sel:[0,1]
	s_delay_alu instid0(VALU_DEP_1) | instskip(SKIP_1) | instid1(VALU_DEP_1)
	v_pk_fma_f32 v[10:11], v[4:5], v[0:1], v[8:9] op_sel:[0,0,1] op_sel_hi:[1,1,0] neg_lo:[0,0,1] neg_hi:[0,0,1]
	v_pk_fma_f32 v[4:5], v[4:5], v[0:1], v[8:9] op_sel:[0,0,1] op_sel_hi:[1,0,0]
	v_mov_b32_e32 v11, v5
	v_pk_mul_f32 v[4:5], v[6:7], v[2:3] op_sel:[0,1]
	s_delay_alu instid0(VALU_DEP_1) | instskip(SKIP_1) | instid1(VALU_DEP_1)
	v_pk_fma_f32 v[8:9], v[6:7], v[0:1], v[4:5] op_sel:[0,0,1] op_sel_hi:[1,1,0] neg_lo:[0,0,1] neg_hi:[0,0,1]
	v_pk_fma_f32 v[4:5], v[6:7], v[0:1], v[4:5] op_sel:[0,0,1] op_sel_hi:[1,0,0]
	v_mov_b32_e32 v9, v5
	ds_load_2addr_b64 v[4:7], v148 offset0:46 offset1:47
	v_pk_add_f32 v[196:197], v[196:197], v[10:11] neg_lo:[0,1] neg_hi:[0,1]
	v_pk_add_f32 v[192:193], v[192:193], v[8:9] neg_lo:[0,1] neg_hi:[0,1]
	s_wait_dscnt 0x0
	v_dual_mul_f32 v8, v5, v3 :: v_dual_mul_f32 v10, v5, v0
	s_delay_alu instid0(VALU_DEP_1) | instskip(NEXT) | instid1(VALU_DEP_2)
	v_pk_fma_f32 v[8:9], v[4:5], v[76:77], v[8:9] op_sel_hi:[1,1,0] neg_lo:[0,0,1] neg_hi:[0,0,1]
	v_pk_fma_f32 v[4:5], v[4:5], v[76:77], v[10:11] op_sel:[1,0,0] op_sel_hi:[0,1,0]
	s_delay_alu instid0(VALU_DEP_1) | instskip(SKIP_1) | instid1(VALU_DEP_2)
	v_mov_b32_e32 v9, v5
	v_pk_mul_f32 v[4:5], v[6:7], v[2:3] op_sel:[0,1]
	v_pk_add_f32 v[194:195], v[194:195], v[8:9] neg_lo:[0,1] neg_hi:[0,1]
	s_delay_alu instid0(VALU_DEP_2) | instskip(SKIP_1) | instid1(VALU_DEP_1)
	v_pk_fma_f32 v[8:9], v[6:7], v[0:1], v[4:5] op_sel:[0,0,1] op_sel_hi:[1,1,0] neg_lo:[0,0,1] neg_hi:[0,0,1]
	v_pk_fma_f32 v[4:5], v[6:7], v[0:1], v[4:5] op_sel:[0,0,1] op_sel_hi:[1,0,0]
	v_mov_b32_e32 v9, v5
	ds_load_2addr_b64 v[4:7], v148 offset0:48 offset1:49
	v_pk_add_f32 v[190:191], v[190:191], v[8:9] neg_lo:[0,1] neg_hi:[0,1]
	s_wait_dscnt 0x0
	v_pk_mul_f32 v[8:9], v[4:5], v[2:3] op_sel:[0,1]
	s_delay_alu instid0(VALU_DEP_1) | instskip(SKIP_1) | instid1(VALU_DEP_1)
	v_pk_fma_f32 v[10:11], v[4:5], v[0:1], v[8:9] op_sel:[0,0,1] op_sel_hi:[1,1,0] neg_lo:[0,0,1] neg_hi:[0,0,1]
	v_pk_fma_f32 v[4:5], v[4:5], v[0:1], v[8:9] op_sel:[0,0,1] op_sel_hi:[1,0,0]
	v_mov_b32_e32 v11, v5
	v_pk_mul_f32 v[4:5], v[6:7], v[2:3] op_sel:[0,1]
	s_delay_alu instid0(VALU_DEP_2) | instskip(NEXT) | instid1(VALU_DEP_2)
	v_pk_add_f32 v[212:213], v[212:213], v[10:11] neg_lo:[0,1] neg_hi:[0,1]
	v_pk_fma_f32 v[8:9], v[6:7], v[0:1], v[4:5] op_sel:[0,0,1] op_sel_hi:[1,1,0] neg_lo:[0,0,1] neg_hi:[0,0,1]
	v_pk_fma_f32 v[4:5], v[6:7], v[0:1], v[4:5] op_sel:[0,0,1] op_sel_hi:[1,0,0]
	s_delay_alu instid0(VALU_DEP_1) | instskip(SKIP_4) | instid1(VALU_DEP_1)
	v_mov_b32_e32 v9, v5
	ds_load_2addr_b64 v[4:7], v148 offset0:50 offset1:51
	v_pk_add_f32 v[208:209], v[208:209], v[8:9] neg_lo:[0,1] neg_hi:[0,1]
	s_wait_dscnt 0x0
	v_pk_mul_f32 v[8:9], v[4:5], v[2:3] op_sel:[0,1]
	v_pk_fma_f32 v[10:11], v[4:5], v[0:1], v[8:9] op_sel:[0,0,1] op_sel_hi:[1,1,0] neg_lo:[0,0,1] neg_hi:[0,0,1]
	v_pk_fma_f32 v[4:5], v[4:5], v[0:1], v[8:9] op_sel:[0,0,1] op_sel_hi:[1,0,0]
	v_dual_mul_f32 v8, v7, v3 :: v_dual_mov_b32 v4, v7
	s_delay_alu instid0(VALU_DEP_2) | instskip(NEXT) | instid1(VALU_DEP_2)
	v_dual_mov_b32 v11, v5 :: v_dual_mov_b32 v5, v6
	v_pk_fma_f32 v[8:9], v[6:7], v[76:77], v[8:9] op_sel_hi:[1,1,0] neg_lo:[0,0,1] neg_hi:[0,0,1]
	v_mul_f32_e32 v6, v7, v0
	s_delay_alu instid0(VALU_DEP_3) | instskip(NEXT) | instid1(VALU_DEP_2)
	v_pk_add_f32 v[210:211], v[210:211], v[10:11] neg_lo:[0,1] neg_hi:[0,1]
	v_pk_fma_f32 v[4:5], v[4:5], v[76:77], v[6:7] op_sel_hi:[1,1,0]
	s_delay_alu instid0(VALU_DEP_1)
	v_mov_b32_e32 v9, v5
	ds_load_2addr_b64 v[4:7], v148 offset0:52 offset1:53
	v_pk_add_f32 v[206:207], v[206:207], v[8:9] neg_lo:[0,1] neg_hi:[0,1]
	s_wait_dscnt 0x0
	v_pk_mul_f32 v[8:9], v[4:5], v[2:3] op_sel:[0,1]
	v_mul_f32_e32 v2, v7, v3
	s_delay_alu instid0(VALU_DEP_2) | instskip(SKIP_2) | instid1(VALU_DEP_4)
	v_pk_fma_f32 v[10:11], v[4:5], v[0:1], v[8:9] op_sel:[0,0,1] op_sel_hi:[1,1,0] neg_lo:[0,0,1] neg_hi:[0,0,1]
	v_pk_fma_f32 v[4:5], v[4:5], v[0:1], v[8:9] op_sel:[0,0,1] op_sel_hi:[1,0,0]
	v_dual_mov_b32 v4, v7 :: v_dual_mul_f32 v0, v7, v0
	v_pk_fma_f32 v[2:3], v[6:7], v[76:77], v[2:3] op_sel_hi:[1,1,0] neg_lo:[0,0,1] neg_hi:[0,0,1]
	s_delay_alu instid0(VALU_DEP_3) | instskip(NEXT) | instid1(VALU_DEP_1)
	v_dual_mov_b32 v11, v5 :: v_dual_mov_b32 v5, v6
	v_pk_add_f32 v[214:215], v[214:215], v[10:11] neg_lo:[0,1] neg_hi:[0,1]
	s_delay_alu instid0(VALU_DEP_2) | instskip(NEXT) | instid1(VALU_DEP_1)
	v_pk_fma_f32 v[0:1], v[4:5], v[76:77], v[0:1] op_sel_hi:[1,1,0]
	v_mov_b32_e32 v3, v1
	s_delay_alu instid0(VALU_DEP_1)
	v_pk_add_f32 v[216:217], v[216:217], v[2:3] neg_lo:[0,1] neg_hi:[0,1]
.LBB107_163:
	s_wait_xcnt 0x0
	s_or_b32 exec_lo, exec_lo, s1
	s_delay_alu instid0(SALU_CYCLE_1)
	s_mov_b32 s2, exec_lo
	s_wait_storecnt 0x0
	s_barrier_signal -1
	s_barrier_wait -1
	v_cmpx_eq_u32_e32 18, v138
	s_cbranch_execz .LBB107_170
; %bb.164:
	ds_store_b64 v139, v[78:79]
	ds_store_2addr_b64 v148, v[74:75], v[96:97] offset0:19 offset1:20
	ds_store_2addr_b64 v148, v[92:93], v[94:95] offset0:21 offset1:22
	;; [unrolled: 1-line block ×17, first 2 shown]
	ds_store_b64 v148, v[216:217] offset:424
	ds_load_b64 v[0:1], v139
	s_wait_dscnt 0x0
	v_cmp_neq_f32_e32 vcc_lo, 0, v0
	v_cmp_neq_f32_e64 s1, 0, v1
	s_or_b32 s1, vcc_lo, s1
	s_delay_alu instid0(SALU_CYCLE_1)
	s_and_b32 exec_lo, exec_lo, s1
	s_cbranch_execz .LBB107_170
; %bb.165:
	v_cmp_ngt_f32_e64 s1, |v0|, |v1|
                                        ; implicit-def: $vgpr2_vgpr3
	s_and_saveexec_b32 s4, s1
	s_delay_alu instid0(SALU_CYCLE_1)
	s_xor_b32 s1, exec_lo, s4
	s_cbranch_execz .LBB107_167
; %bb.166:
	v_div_scale_f32 v2, null, v1, v1, v0
	v_div_scale_f32 v5, vcc_lo, v0, v1, v0
	s_delay_alu instid0(VALU_DEP_2) | instskip(SKIP_1) | instid1(TRANS32_DEP_1)
	v_rcp_f32_e32 v3, v2
	v_nop
	v_fma_f32 v4, -v2, v3, 1.0
	s_delay_alu instid0(VALU_DEP_1) | instskip(NEXT) | instid1(VALU_DEP_1)
	v_fmac_f32_e32 v3, v4, v3
	v_mul_f32_e32 v4, v5, v3
	s_delay_alu instid0(VALU_DEP_1) | instskip(NEXT) | instid1(VALU_DEP_1)
	v_fma_f32 v6, -v2, v4, v5
	v_fmac_f32_e32 v4, v6, v3
	s_delay_alu instid0(VALU_DEP_1) | instskip(NEXT) | instid1(VALU_DEP_1)
	v_fma_f32 v2, -v2, v4, v5
	v_div_fmas_f32 v2, v2, v3, v4
	s_delay_alu instid0(VALU_DEP_1) | instskip(NEXT) | instid1(VALU_DEP_1)
	v_div_fixup_f32 v2, v2, v1, v0
	v_fmac_f32_e32 v1, v0, v2
	s_delay_alu instid0(VALU_DEP_1) | instskip(SKIP_1) | instid1(VALU_DEP_2)
	v_div_scale_f32 v0, null, v1, v1, 1.0
	v_div_scale_f32 v5, vcc_lo, 1.0, v1, 1.0
	v_rcp_f32_e32 v3, v0
	v_nop
	s_delay_alu instid0(TRANS32_DEP_1) | instskip(NEXT) | instid1(VALU_DEP_1)
	v_fma_f32 v4, -v0, v3, 1.0
	v_fmac_f32_e32 v3, v4, v3
	s_delay_alu instid0(VALU_DEP_1) | instskip(NEXT) | instid1(VALU_DEP_1)
	v_mul_f32_e32 v4, v5, v3
	v_fma_f32 v6, -v0, v4, v5
	s_delay_alu instid0(VALU_DEP_1) | instskip(NEXT) | instid1(VALU_DEP_1)
	v_fmac_f32_e32 v4, v6, v3
	v_fma_f32 v0, -v0, v4, v5
	s_delay_alu instid0(VALU_DEP_1) | instskip(NEXT) | instid1(VALU_DEP_1)
	v_div_fmas_f32 v0, v0, v3, v4
	v_div_fixup_f32 v0, v0, v1, 1.0
	s_delay_alu instid0(VALU_DEP_1)
	v_mul_f32_e32 v2, v2, v0
	v_xor_b32_e32 v3, 0x80000000, v0
                                        ; implicit-def: $vgpr0_vgpr1
.LBB107_167:
	s_and_not1_saveexec_b32 s1, s1
	s_cbranch_execz .LBB107_169
; %bb.168:
	v_div_scale_f32 v2, null, v0, v0, v1
	v_div_scale_f32 v5, vcc_lo, v1, v0, v1
	s_delay_alu instid0(VALU_DEP_2) | instskip(SKIP_1) | instid1(TRANS32_DEP_1)
	v_rcp_f32_e32 v3, v2
	v_nop
	v_fma_f32 v4, -v2, v3, 1.0
	s_delay_alu instid0(VALU_DEP_1) | instskip(NEXT) | instid1(VALU_DEP_1)
	v_fmac_f32_e32 v3, v4, v3
	v_mul_f32_e32 v4, v5, v3
	s_delay_alu instid0(VALU_DEP_1) | instskip(NEXT) | instid1(VALU_DEP_1)
	v_fma_f32 v6, -v2, v4, v5
	v_fmac_f32_e32 v4, v6, v3
	s_delay_alu instid0(VALU_DEP_1) | instskip(NEXT) | instid1(VALU_DEP_1)
	v_fma_f32 v2, -v2, v4, v5
	v_div_fmas_f32 v2, v2, v3, v4
	s_delay_alu instid0(VALU_DEP_1) | instskip(NEXT) | instid1(VALU_DEP_1)
	v_div_fixup_f32 v3, v2, v0, v1
	v_fmac_f32_e32 v0, v1, v3
	s_delay_alu instid0(VALU_DEP_1) | instskip(NEXT) | instid1(VALU_DEP_1)
	v_div_scale_f32 v1, null, v0, v0, 1.0
	v_rcp_f32_e32 v2, v1
	v_nop
	s_delay_alu instid0(TRANS32_DEP_1) | instskip(NEXT) | instid1(VALU_DEP_1)
	v_fma_f32 v4, -v1, v2, 1.0
	v_fmac_f32_e32 v2, v4, v2
	v_div_scale_f32 v4, vcc_lo, 1.0, v0, 1.0
	s_delay_alu instid0(VALU_DEP_1) | instskip(NEXT) | instid1(VALU_DEP_1)
	v_mul_f32_e32 v5, v4, v2
	v_fma_f32 v6, -v1, v5, v4
	s_delay_alu instid0(VALU_DEP_1) | instskip(NEXT) | instid1(VALU_DEP_1)
	v_fmac_f32_e32 v5, v6, v2
	v_fma_f32 v1, -v1, v5, v4
	s_delay_alu instid0(VALU_DEP_1) | instskip(NEXT) | instid1(VALU_DEP_1)
	v_div_fmas_f32 v1, v1, v2, v5
	v_div_fixup_f32 v2, v1, v0, 1.0
	s_delay_alu instid0(VALU_DEP_1)
	v_mul_f32_e64 v3, v3, -v2
.LBB107_169:
	s_or_b32 exec_lo, exec_lo, s1
	ds_store_b64 v139, v[2:3]
.LBB107_170:
	s_or_b32 exec_lo, exec_lo, s2
	s_wait_dscnt 0x0
	s_barrier_signal -1
	s_barrier_wait -1
	ds_load_b64 v[0:1], v139
	s_mov_b32 s1, exec_lo
	s_wait_dscnt 0x0
	scratch_store_b64 off, v[0:1], off offset:312 ; 8-byte Folded Spill
	s_wait_xcnt 0x0
	v_cmpx_lt_u32_e32 18, v138
	s_cbranch_execz .LBB107_172
; %bb.171:
	scratch_load_b64 v[4:5], off, off offset:312 ; 8-byte Folded Reload
	s_wait_loadcnt 0x0
	v_pk_mul_f32 v[2:3], v[4:5], v[78:79] op_sel:[1,1] op_sel_hi:[0,1]
	s_delay_alu instid0(VALU_DEP_1)
	v_pk_fma_f32 v[0:1], v[4:5], v[78:79], v[2:3] op_sel_hi:[1,0,1] neg_lo:[0,0,1] neg_hi:[0,0,1]
	v_pk_fma_f32 v[2:3], v[4:5], v[78:79], v[2:3] op_sel_hi:[1,0,1]
	ds_load_2addr_b64 v[4:7], v148 offset0:19 offset1:20
	v_dual_mov_b32 v78, v0 :: v_dual_mov_b32 v79, v3
	s_wait_dscnt 0x0
	v_pk_mul_f32 v[8:9], v[4:5], v[2:3] op_sel:[0,1]
	s_delay_alu instid0(VALU_DEP_1) | instskip(SKIP_1) | instid1(VALU_DEP_1)
	v_pk_fma_f32 v[10:11], v[4:5], v[0:1], v[8:9] op_sel:[0,0,1] op_sel_hi:[1,1,0] neg_lo:[0,0,1] neg_hi:[0,0,1]
	v_pk_fma_f32 v[4:5], v[4:5], v[0:1], v[8:9] op_sel:[0,0,1] op_sel_hi:[1,0,0]
	v_mov_b32_e32 v11, v5
	v_pk_mul_f32 v[4:5], v[6:7], v[2:3] op_sel:[0,1]
	s_delay_alu instid0(VALU_DEP_1) | instskip(SKIP_1) | instid1(VALU_DEP_1)
	v_pk_fma_f32 v[8:9], v[6:7], v[0:1], v[4:5] op_sel:[0,0,1] op_sel_hi:[1,1,0] neg_lo:[0,0,1] neg_hi:[0,0,1]
	v_pk_fma_f32 v[4:5], v[6:7], v[0:1], v[4:5] op_sel:[0,0,1] op_sel_hi:[1,0,0]
	v_mov_b32_e32 v9, v5
	ds_load_2addr_b64 v[4:7], v148 offset0:21 offset1:22
	v_pk_add_f32 v[74:75], v[74:75], v[10:11] neg_lo:[0,1] neg_hi:[0,1]
	v_pk_add_f32 v[96:97], v[96:97], v[8:9] neg_lo:[0,1] neg_hi:[0,1]
	s_wait_dscnt 0x0
	v_pk_mul_f32 v[8:9], v[4:5], v[2:3] op_sel:[0,1]
	s_delay_alu instid0(VALU_DEP_1) | instskip(SKIP_2) | instid1(VALU_DEP_2)
	v_pk_fma_f32 v[10:11], v[4:5], v[0:1], v[8:9] op_sel:[0,0,1] op_sel_hi:[1,1,0] neg_lo:[0,0,1] neg_hi:[0,0,1]
	v_pk_fma_f32 v[4:5], v[4:5], v[0:1], v[8:9] op_sel:[0,0,1] op_sel_hi:[1,0,0]
	v_dual_mul_f32 v8, v7, v3 :: v_dual_mov_b32 v4, v7
	v_dual_mov_b32 v11, v5 :: v_dual_mov_b32 v5, v6
	s_delay_alu instid0(VALU_DEP_2) | instskip(SKIP_1) | instid1(VALU_DEP_3)
	v_pk_fma_f32 v[8:9], v[6:7], v[78:79], v[8:9] op_sel_hi:[1,1,0] neg_lo:[0,0,1] neg_hi:[0,0,1]
	v_mul_f32_e32 v6, v7, v0
	v_pk_add_f32 v[92:93], v[92:93], v[10:11] neg_lo:[0,1] neg_hi:[0,1]
	s_delay_alu instid0(VALU_DEP_2) | instskip(NEXT) | instid1(VALU_DEP_1)
	v_pk_fma_f32 v[4:5], v[4:5], v[78:79], v[6:7] op_sel_hi:[1,1,0]
	v_mov_b32_e32 v9, v5
	ds_load_2addr_b64 v[4:7], v148 offset0:23 offset1:24
	v_pk_add_f32 v[94:95], v[94:95], v[8:9] neg_lo:[0,1] neg_hi:[0,1]
	s_wait_dscnt 0x0
	v_pk_mul_f32 v[8:9], v[4:5], v[2:3] op_sel:[0,1]
	s_delay_alu instid0(VALU_DEP_1) | instskip(SKIP_1) | instid1(VALU_DEP_1)
	v_pk_fma_f32 v[10:11], v[4:5], v[0:1], v[8:9] op_sel:[0,0,1] op_sel_hi:[1,1,0] neg_lo:[0,0,1] neg_hi:[0,0,1]
	v_pk_fma_f32 v[4:5], v[4:5], v[0:1], v[8:9] op_sel:[0,0,1] op_sel_hi:[1,0,0]
	v_mov_b32_e32 v11, v5
	v_pk_mul_f32 v[4:5], v[6:7], v[2:3] op_sel:[0,1]
	s_delay_alu instid0(VALU_DEP_1) | instskip(SKIP_1) | instid1(VALU_DEP_1)
	v_pk_fma_f32 v[8:9], v[6:7], v[0:1], v[4:5] op_sel:[0,0,1] op_sel_hi:[1,1,0] neg_lo:[0,0,1] neg_hi:[0,0,1]
	v_pk_fma_f32 v[4:5], v[6:7], v[0:1], v[4:5] op_sel:[0,0,1] op_sel_hi:[1,0,0]
	v_mov_b32_e32 v9, v5
	ds_load_2addr_b64 v[4:7], v148 offset0:25 offset1:26
	v_pk_add_f32 v[90:91], v[90:91], v[10:11] neg_lo:[0,1] neg_hi:[0,1]
	v_pk_add_f32 v[112:113], v[112:113], v[8:9] neg_lo:[0,1] neg_hi:[0,1]
	s_wait_dscnt 0x0
	v_pk_mul_f32 v[8:9], v[4:5], v[2:3] op_sel:[0,1]
	s_delay_alu instid0(VALU_DEP_1) | instskip(SKIP_1) | instid1(VALU_DEP_1)
	v_pk_fma_f32 v[10:11], v[4:5], v[0:1], v[8:9] op_sel:[0,0,1] op_sel_hi:[1,1,0] neg_lo:[0,0,1] neg_hi:[0,0,1]
	v_pk_fma_f32 v[4:5], v[4:5], v[0:1], v[8:9] op_sel:[0,0,1] op_sel_hi:[1,0,0]
	v_mov_b32_e32 v11, v5
	v_pk_mul_f32 v[4:5], v[6:7], v[2:3] op_sel:[0,1]
	s_delay_alu instid0(VALU_DEP_1) | instskip(SKIP_1) | instid1(VALU_DEP_1)
	v_pk_fma_f32 v[8:9], v[6:7], v[0:1], v[4:5] op_sel:[0,0,1] op_sel_hi:[1,1,0] neg_lo:[0,0,1] neg_hi:[0,0,1]
	v_pk_fma_f32 v[4:5], v[6:7], v[0:1], v[4:5] op_sel:[0,0,1] op_sel_hi:[1,0,0]
	v_mov_b32_e32 v9, v5
	ds_load_2addr_b64 v[4:7], v148 offset0:27 offset1:28
	v_pk_add_f32 v[108:109], v[108:109], v[10:11] neg_lo:[0,1] neg_hi:[0,1]
	v_pk_add_f32 v[110:111], v[110:111], v[8:9] neg_lo:[0,1] neg_hi:[0,1]
	s_wait_dscnt 0x0
	v_dual_mul_f32 v8, v5, v3 :: v_dual_mul_f32 v10, v5, v0
	s_delay_alu instid0(VALU_DEP_1) | instskip(NEXT) | instid1(VALU_DEP_2)
	v_pk_fma_f32 v[8:9], v[4:5], v[78:79], v[8:9] op_sel_hi:[1,1,0] neg_lo:[0,0,1] neg_hi:[0,0,1]
	v_pk_fma_f32 v[4:5], v[4:5], v[78:79], v[10:11] op_sel:[1,0,0] op_sel_hi:[0,1,0]
	s_delay_alu instid0(VALU_DEP_1) | instskip(SKIP_1) | instid1(VALU_DEP_2)
	v_mov_b32_e32 v9, v5
	v_pk_mul_f32 v[4:5], v[6:7], v[2:3] op_sel:[0,1]
	v_pk_add_f32 v[106:107], v[106:107], v[8:9] neg_lo:[0,1] neg_hi:[0,1]
	s_delay_alu instid0(VALU_DEP_2) | instskip(SKIP_1) | instid1(VALU_DEP_1)
	v_pk_fma_f32 v[8:9], v[6:7], v[0:1], v[4:5] op_sel:[0,0,1] op_sel_hi:[1,1,0] neg_lo:[0,0,1] neg_hi:[0,0,1]
	v_pk_fma_f32 v[4:5], v[6:7], v[0:1], v[4:5] op_sel:[0,0,1] op_sel_hi:[1,0,0]
	v_mov_b32_e32 v9, v5
	ds_load_2addr_b64 v[4:7], v148 offset0:29 offset1:30
	v_pk_add_f32 v[130:131], v[130:131], v[8:9] neg_lo:[0,1] neg_hi:[0,1]
	s_wait_dscnt 0x0
	v_pk_mul_f32 v[8:9], v[4:5], v[2:3] op_sel:[0,1]
	s_delay_alu instid0(VALU_DEP_1) | instskip(SKIP_1) | instid1(VALU_DEP_1)
	v_pk_fma_f32 v[10:11], v[4:5], v[0:1], v[8:9] op_sel:[0,0,1] op_sel_hi:[1,1,0] neg_lo:[0,0,1] neg_hi:[0,0,1]
	v_pk_fma_f32 v[4:5], v[4:5], v[0:1], v[8:9] op_sel:[0,0,1] op_sel_hi:[1,0,0]
	v_mov_b32_e32 v11, v5
	v_pk_mul_f32 v[4:5], v[6:7], v[2:3] op_sel:[0,1]
	s_delay_alu instid0(VALU_DEP_2) | instskip(NEXT) | instid1(VALU_DEP_2)
	v_pk_add_f32 v[126:127], v[126:127], v[10:11] neg_lo:[0,1] neg_hi:[0,1]
	v_pk_fma_f32 v[8:9], v[6:7], v[0:1], v[4:5] op_sel:[0,0,1] op_sel_hi:[1,1,0] neg_lo:[0,0,1] neg_hi:[0,0,1]
	v_pk_fma_f32 v[4:5], v[6:7], v[0:1], v[4:5] op_sel:[0,0,1] op_sel_hi:[1,0,0]
	s_delay_alu instid0(VALU_DEP_1) | instskip(SKIP_4) | instid1(VALU_DEP_1)
	v_mov_b32_e32 v9, v5
	ds_load_2addr_b64 v[4:7], v148 offset0:31 offset1:32
	v_pk_add_f32 v[128:129], v[128:129], v[8:9] neg_lo:[0,1] neg_hi:[0,1]
	s_wait_dscnt 0x0
	v_pk_mul_f32 v[8:9], v[4:5], v[2:3] op_sel:[0,1]
	v_pk_fma_f32 v[10:11], v[4:5], v[0:1], v[8:9] op_sel:[0,0,1] op_sel_hi:[1,1,0] neg_lo:[0,0,1] neg_hi:[0,0,1]
	v_pk_fma_f32 v[4:5], v[4:5], v[0:1], v[8:9] op_sel:[0,0,1] op_sel_hi:[1,0,0]
	v_dual_mul_f32 v8, v7, v3 :: v_dual_mov_b32 v4, v7
	s_delay_alu instid0(VALU_DEP_2) | instskip(NEXT) | instid1(VALU_DEP_2)
	v_dual_mov_b32 v11, v5 :: v_dual_mov_b32 v5, v6
	v_pk_fma_f32 v[8:9], v[6:7], v[78:79], v[8:9] op_sel_hi:[1,1,0] neg_lo:[0,0,1] neg_hi:[0,0,1]
	v_mul_f32_e32 v6, v7, v0
	s_delay_alu instid0(VALU_DEP_3) | instskip(NEXT) | instid1(VALU_DEP_2)
	v_pk_add_f32 v[124:125], v[124:125], v[10:11] neg_lo:[0,1] neg_hi:[0,1]
	v_pk_fma_f32 v[4:5], v[4:5], v[78:79], v[6:7] op_sel_hi:[1,1,0]
	s_delay_alu instid0(VALU_DEP_1) | instskip(SKIP_4) | instid1(VALU_DEP_1)
	v_mov_b32_e32 v9, v5
	ds_load_2addr_b64 v[4:7], v148 offset0:33 offset1:34
	v_pk_add_f32 v[146:147], v[146:147], v[8:9] neg_lo:[0,1] neg_hi:[0,1]
	s_wait_dscnt 0x0
	v_pk_mul_f32 v[8:9], v[4:5], v[2:3] op_sel:[0,1]
	v_pk_fma_f32 v[10:11], v[4:5], v[0:1], v[8:9] op_sel:[0,0,1] op_sel_hi:[1,1,0] neg_lo:[0,0,1] neg_hi:[0,0,1]
	v_pk_fma_f32 v[4:5], v[4:5], v[0:1], v[8:9] op_sel:[0,0,1] op_sel_hi:[1,0,0]
	s_delay_alu instid0(VALU_DEP_1) | instskip(SKIP_1) | instid1(VALU_DEP_1)
	v_mov_b32_e32 v11, v5
	v_pk_mul_f32 v[4:5], v[6:7], v[2:3] op_sel:[0,1]
	v_pk_fma_f32 v[8:9], v[6:7], v[0:1], v[4:5] op_sel:[0,0,1] op_sel_hi:[1,1,0] neg_lo:[0,0,1] neg_hi:[0,0,1]
	v_pk_fma_f32 v[4:5], v[6:7], v[0:1], v[4:5] op_sel:[0,0,1] op_sel_hi:[1,0,0]
	s_delay_alu instid0(VALU_DEP_1)
	v_mov_b32_e32 v9, v5
	ds_load_2addr_b64 v[4:7], v148 offset0:35 offset1:36
	v_pk_add_f32 v[142:143], v[142:143], v[10:11] neg_lo:[0,1] neg_hi:[0,1]
	v_pk_add_f32 v[144:145], v[144:145], v[8:9] neg_lo:[0,1] neg_hi:[0,1]
	s_wait_dscnt 0x0
	v_pk_mul_f32 v[8:9], v[4:5], v[2:3] op_sel:[0,1]
	s_delay_alu instid0(VALU_DEP_1) | instskip(SKIP_1) | instid1(VALU_DEP_1)
	v_pk_fma_f32 v[10:11], v[4:5], v[0:1], v[8:9] op_sel:[0,0,1] op_sel_hi:[1,1,0] neg_lo:[0,0,1] neg_hi:[0,0,1]
	v_pk_fma_f32 v[4:5], v[4:5], v[0:1], v[8:9] op_sel:[0,0,1] op_sel_hi:[1,0,0]
	v_mov_b32_e32 v11, v5
	v_pk_mul_f32 v[4:5], v[6:7], v[2:3] op_sel:[0,1]
	s_delay_alu instid0(VALU_DEP_1) | instskip(SKIP_1) | instid1(VALU_DEP_1)
	v_pk_fma_f32 v[8:9], v[6:7], v[0:1], v[4:5] op_sel:[0,0,1] op_sel_hi:[1,1,0] neg_lo:[0,0,1] neg_hi:[0,0,1]
	v_pk_fma_f32 v[4:5], v[6:7], v[0:1], v[4:5] op_sel:[0,0,1] op_sel_hi:[1,0,0]
	v_mov_b32_e32 v9, v5
	ds_load_2addr_b64 v[4:7], v148 offset0:37 offset1:38
	v_pk_add_f32 v[140:141], v[140:141], v[10:11] neg_lo:[0,1] neg_hi:[0,1]
	v_pk_add_f32 v[162:163], v[162:163], v[8:9] neg_lo:[0,1] neg_hi:[0,1]
	s_wait_dscnt 0x0
	v_dual_mul_f32 v8, v5, v3 :: v_dual_mul_f32 v10, v5, v0
	s_delay_alu instid0(VALU_DEP_1) | instskip(NEXT) | instid1(VALU_DEP_2)
	v_pk_fma_f32 v[8:9], v[4:5], v[78:79], v[8:9] op_sel_hi:[1,1,0] neg_lo:[0,0,1] neg_hi:[0,0,1]
	v_pk_fma_f32 v[4:5], v[4:5], v[78:79], v[10:11] op_sel:[1,0,0] op_sel_hi:[0,1,0]
	s_delay_alu instid0(VALU_DEP_1) | instskip(SKIP_1) | instid1(VALU_DEP_2)
	v_mov_b32_e32 v9, v5
	v_pk_mul_f32 v[4:5], v[6:7], v[2:3] op_sel:[0,1]
	v_pk_add_f32 v[158:159], v[158:159], v[8:9] neg_lo:[0,1] neg_hi:[0,1]
	s_delay_alu instid0(VALU_DEP_2) | instskip(SKIP_1) | instid1(VALU_DEP_1)
	v_pk_fma_f32 v[8:9], v[6:7], v[0:1], v[4:5] op_sel:[0,0,1] op_sel_hi:[1,1,0] neg_lo:[0,0,1] neg_hi:[0,0,1]
	v_pk_fma_f32 v[4:5], v[6:7], v[0:1], v[4:5] op_sel:[0,0,1] op_sel_hi:[1,0,0]
	v_mov_b32_e32 v9, v5
	ds_load_2addr_b64 v[4:7], v148 offset0:39 offset1:40
	v_pk_add_f32 v[160:161], v[160:161], v[8:9] neg_lo:[0,1] neg_hi:[0,1]
	s_wait_dscnt 0x0
	v_pk_mul_f32 v[8:9], v[4:5], v[2:3] op_sel:[0,1]
	s_delay_alu instid0(VALU_DEP_1) | instskip(SKIP_1) | instid1(VALU_DEP_1)
	v_pk_fma_f32 v[10:11], v[4:5], v[0:1], v[8:9] op_sel:[0,0,1] op_sel_hi:[1,1,0] neg_lo:[0,0,1] neg_hi:[0,0,1]
	v_pk_fma_f32 v[4:5], v[4:5], v[0:1], v[8:9] op_sel:[0,0,1] op_sel_hi:[1,0,0]
	v_mov_b32_e32 v11, v5
	v_pk_mul_f32 v[4:5], v[6:7], v[2:3] op_sel:[0,1]
	s_delay_alu instid0(VALU_DEP_2) | instskip(NEXT) | instid1(VALU_DEP_2)
	v_pk_add_f32 v[156:157], v[156:157], v[10:11] neg_lo:[0,1] neg_hi:[0,1]
	v_pk_fma_f32 v[8:9], v[6:7], v[0:1], v[4:5] op_sel:[0,0,1] op_sel_hi:[1,1,0] neg_lo:[0,0,1] neg_hi:[0,0,1]
	v_pk_fma_f32 v[4:5], v[6:7], v[0:1], v[4:5] op_sel:[0,0,1] op_sel_hi:[1,0,0]
	s_delay_alu instid0(VALU_DEP_1) | instskip(SKIP_4) | instid1(VALU_DEP_1)
	v_mov_b32_e32 v9, v5
	ds_load_2addr_b64 v[4:7], v148 offset0:41 offset1:42
	v_pk_add_f32 v[178:179], v[178:179], v[8:9] neg_lo:[0,1] neg_hi:[0,1]
	s_wait_dscnt 0x0
	v_pk_mul_f32 v[8:9], v[4:5], v[2:3] op_sel:[0,1]
	v_pk_fma_f32 v[10:11], v[4:5], v[0:1], v[8:9] op_sel:[0,0,1] op_sel_hi:[1,1,0] neg_lo:[0,0,1] neg_hi:[0,0,1]
	v_pk_fma_f32 v[4:5], v[4:5], v[0:1], v[8:9] op_sel:[0,0,1] op_sel_hi:[1,0,0]
	v_dual_mul_f32 v8, v7, v3 :: v_dual_mov_b32 v4, v7
	s_delay_alu instid0(VALU_DEP_2) | instskip(NEXT) | instid1(VALU_DEP_2)
	v_dual_mov_b32 v11, v5 :: v_dual_mov_b32 v5, v6
	v_pk_fma_f32 v[8:9], v[6:7], v[78:79], v[8:9] op_sel_hi:[1,1,0] neg_lo:[0,0,1] neg_hi:[0,0,1]
	v_mul_f32_e32 v6, v7, v0
	s_delay_alu instid0(VALU_DEP_3) | instskip(NEXT) | instid1(VALU_DEP_2)
	v_pk_add_f32 v[174:175], v[174:175], v[10:11] neg_lo:[0,1] neg_hi:[0,1]
	v_pk_fma_f32 v[4:5], v[4:5], v[78:79], v[6:7] op_sel_hi:[1,1,0]
	s_delay_alu instid0(VALU_DEP_1) | instskip(SKIP_4) | instid1(VALU_DEP_1)
	v_mov_b32_e32 v9, v5
	ds_load_2addr_b64 v[4:7], v148 offset0:43 offset1:44
	v_pk_add_f32 v[176:177], v[176:177], v[8:9] neg_lo:[0,1] neg_hi:[0,1]
	s_wait_dscnt 0x0
	v_pk_mul_f32 v[8:9], v[4:5], v[2:3] op_sel:[0,1]
	v_pk_fma_f32 v[10:11], v[4:5], v[0:1], v[8:9] op_sel:[0,0,1] op_sel_hi:[1,1,0] neg_lo:[0,0,1] neg_hi:[0,0,1]
	v_pk_fma_f32 v[4:5], v[4:5], v[0:1], v[8:9] op_sel:[0,0,1] op_sel_hi:[1,0,0]
	s_delay_alu instid0(VALU_DEP_1) | instskip(SKIP_1) | instid1(VALU_DEP_1)
	v_mov_b32_e32 v11, v5
	v_pk_mul_f32 v[4:5], v[6:7], v[2:3] op_sel:[0,1]
	v_pk_fma_f32 v[8:9], v[6:7], v[0:1], v[4:5] op_sel:[0,0,1] op_sel_hi:[1,1,0] neg_lo:[0,0,1] neg_hi:[0,0,1]
	v_pk_fma_f32 v[4:5], v[6:7], v[0:1], v[4:5] op_sel:[0,0,1] op_sel_hi:[1,0,0]
	s_delay_alu instid0(VALU_DEP_1)
	v_mov_b32_e32 v9, v5
	ds_load_2addr_b64 v[4:7], v148 offset0:45 offset1:46
	v_pk_add_f32 v[172:173], v[172:173], v[10:11] neg_lo:[0,1] neg_hi:[0,1]
	v_pk_add_f32 v[196:197], v[196:197], v[8:9] neg_lo:[0,1] neg_hi:[0,1]
	s_wait_dscnt 0x0
	v_pk_mul_f32 v[8:9], v[4:5], v[2:3] op_sel:[0,1]
	s_delay_alu instid0(VALU_DEP_1) | instskip(SKIP_1) | instid1(VALU_DEP_1)
	v_pk_fma_f32 v[10:11], v[4:5], v[0:1], v[8:9] op_sel:[0,0,1] op_sel_hi:[1,1,0] neg_lo:[0,0,1] neg_hi:[0,0,1]
	v_pk_fma_f32 v[4:5], v[4:5], v[0:1], v[8:9] op_sel:[0,0,1] op_sel_hi:[1,0,0]
	v_mov_b32_e32 v11, v5
	v_pk_mul_f32 v[4:5], v[6:7], v[2:3] op_sel:[0,1]
	s_delay_alu instid0(VALU_DEP_1) | instskip(SKIP_1) | instid1(VALU_DEP_1)
	v_pk_fma_f32 v[8:9], v[6:7], v[0:1], v[4:5] op_sel:[0,0,1] op_sel_hi:[1,1,0] neg_lo:[0,0,1] neg_hi:[0,0,1]
	v_pk_fma_f32 v[4:5], v[6:7], v[0:1], v[4:5] op_sel:[0,0,1] op_sel_hi:[1,0,0]
	v_mov_b32_e32 v9, v5
	ds_load_2addr_b64 v[4:7], v148 offset0:47 offset1:48
	v_pk_add_f32 v[192:193], v[192:193], v[10:11] neg_lo:[0,1] neg_hi:[0,1]
	v_pk_add_f32 v[194:195], v[194:195], v[8:9] neg_lo:[0,1] neg_hi:[0,1]
	s_wait_dscnt 0x0
	v_dual_mul_f32 v8, v5, v3 :: v_dual_mul_f32 v10, v5, v0
	s_delay_alu instid0(VALU_DEP_1) | instskip(NEXT) | instid1(VALU_DEP_2)
	v_pk_fma_f32 v[8:9], v[4:5], v[78:79], v[8:9] op_sel_hi:[1,1,0] neg_lo:[0,0,1] neg_hi:[0,0,1]
	v_pk_fma_f32 v[4:5], v[4:5], v[78:79], v[10:11] op_sel:[1,0,0] op_sel_hi:[0,1,0]
	s_delay_alu instid0(VALU_DEP_1) | instskip(SKIP_1) | instid1(VALU_DEP_2)
	v_mov_b32_e32 v9, v5
	v_pk_mul_f32 v[4:5], v[6:7], v[2:3] op_sel:[0,1]
	v_pk_add_f32 v[190:191], v[190:191], v[8:9] neg_lo:[0,1] neg_hi:[0,1]
	s_delay_alu instid0(VALU_DEP_2) | instskip(SKIP_1) | instid1(VALU_DEP_1)
	v_pk_fma_f32 v[8:9], v[6:7], v[0:1], v[4:5] op_sel:[0,0,1] op_sel_hi:[1,1,0] neg_lo:[0,0,1] neg_hi:[0,0,1]
	v_pk_fma_f32 v[4:5], v[6:7], v[0:1], v[4:5] op_sel:[0,0,1] op_sel_hi:[1,0,0]
	v_mov_b32_e32 v9, v5
	ds_load_2addr_b64 v[4:7], v148 offset0:49 offset1:50
	v_pk_add_f32 v[212:213], v[212:213], v[8:9] neg_lo:[0,1] neg_hi:[0,1]
	s_wait_dscnt 0x0
	v_pk_mul_f32 v[8:9], v[4:5], v[2:3] op_sel:[0,1]
	s_delay_alu instid0(VALU_DEP_1) | instskip(SKIP_1) | instid1(VALU_DEP_1)
	v_pk_fma_f32 v[10:11], v[4:5], v[0:1], v[8:9] op_sel:[0,0,1] op_sel_hi:[1,1,0] neg_lo:[0,0,1] neg_hi:[0,0,1]
	v_pk_fma_f32 v[4:5], v[4:5], v[0:1], v[8:9] op_sel:[0,0,1] op_sel_hi:[1,0,0]
	v_mov_b32_e32 v11, v5
	v_pk_mul_f32 v[4:5], v[6:7], v[2:3] op_sel:[0,1]
	s_delay_alu instid0(VALU_DEP_2) | instskip(NEXT) | instid1(VALU_DEP_2)
	v_pk_add_f32 v[208:209], v[208:209], v[10:11] neg_lo:[0,1] neg_hi:[0,1]
	v_pk_fma_f32 v[8:9], v[6:7], v[0:1], v[4:5] op_sel:[0,0,1] op_sel_hi:[1,1,0] neg_lo:[0,0,1] neg_hi:[0,0,1]
	v_pk_fma_f32 v[4:5], v[6:7], v[0:1], v[4:5] op_sel:[0,0,1] op_sel_hi:[1,0,0]
	s_delay_alu instid0(VALU_DEP_1) | instskip(SKIP_4) | instid1(VALU_DEP_1)
	v_mov_b32_e32 v9, v5
	ds_load_2addr_b64 v[4:7], v148 offset0:51 offset1:52
	v_pk_add_f32 v[210:211], v[210:211], v[8:9] neg_lo:[0,1] neg_hi:[0,1]
	s_wait_dscnt 0x0
	v_pk_mul_f32 v[8:9], v[4:5], v[2:3] op_sel:[0,1]
	v_pk_fma_f32 v[10:11], v[4:5], v[0:1], v[8:9] op_sel:[0,0,1] op_sel_hi:[1,1,0] neg_lo:[0,0,1] neg_hi:[0,0,1]
	v_pk_fma_f32 v[4:5], v[4:5], v[0:1], v[8:9] op_sel:[0,0,1] op_sel_hi:[1,0,0]
	v_dual_mul_f32 v8, v7, v3 :: v_dual_mov_b32 v4, v7
	s_delay_alu instid0(VALU_DEP_2) | instskip(NEXT) | instid1(VALU_DEP_2)
	v_dual_mov_b32 v11, v5 :: v_dual_mov_b32 v5, v6
	v_pk_fma_f32 v[8:9], v[6:7], v[78:79], v[8:9] op_sel_hi:[1,1,0] neg_lo:[0,0,1] neg_hi:[0,0,1]
	v_mul_f32_e32 v6, v7, v0
	s_delay_alu instid0(VALU_DEP_3) | instskip(NEXT) | instid1(VALU_DEP_2)
	v_pk_add_f32 v[206:207], v[206:207], v[10:11] neg_lo:[0,1] neg_hi:[0,1]
	v_pk_fma_f32 v[4:5], v[4:5], v[78:79], v[6:7] op_sel_hi:[1,1,0]
	s_delay_alu instid0(VALU_DEP_1) | instskip(SKIP_4) | instid1(VALU_DEP_1)
	v_mov_b32_e32 v9, v5
	ds_load_b64 v[4:5], v148 offset:424
	v_pk_add_f32 v[214:215], v[214:215], v[8:9] neg_lo:[0,1] neg_hi:[0,1]
	s_wait_dscnt 0x0
	v_pk_mul_f32 v[2:3], v[4:5], v[2:3] op_sel:[0,1]
	v_pk_fma_f32 v[6:7], v[4:5], v[0:1], v[2:3] op_sel:[0,0,1] op_sel_hi:[1,1,0] neg_lo:[0,0,1] neg_hi:[0,0,1]
	v_pk_fma_f32 v[0:1], v[4:5], v[0:1], v[2:3] op_sel:[0,0,1] op_sel_hi:[1,0,0]
	s_delay_alu instid0(VALU_DEP_1) | instskip(NEXT) | instid1(VALU_DEP_1)
	v_mov_b32_e32 v7, v1
	v_pk_add_f32 v[216:217], v[216:217], v[6:7] neg_lo:[0,1] neg_hi:[0,1]
.LBB107_172:
	s_wait_xcnt 0x0
	s_or_b32 exec_lo, exec_lo, s1
	s_delay_alu instid0(SALU_CYCLE_1)
	s_mov_b32 s2, exec_lo
	s_wait_storecnt 0x0
	s_barrier_signal -1
	s_barrier_wait -1
	v_cmpx_eq_u32_e32 19, v138
	s_cbranch_execz .LBB107_179
; %bb.173:
	v_dual_mov_b32 v0, v96 :: v_dual_mov_b32 v1, v97
	v_dual_mov_b32 v2, v92 :: v_dual_mov_b32 v3, v93
	ds_store_b64 v139, v[74:75]
	ds_store_2addr_b64 v148, v[0:1], v[2:3] offset0:20 offset1:21
	v_dual_mov_b32 v0, v94 :: v_dual_mov_b32 v1, v95
	v_dual_mov_b32 v2, v90 :: v_dual_mov_b32 v3, v91
	ds_store_2addr_b64 v148, v[0:1], v[2:3] offset0:22 offset1:23
	v_dual_mov_b32 v0, v112 :: v_dual_mov_b32 v1, v113
	v_dual_mov_b32 v2, v108 :: v_dual_mov_b32 v3, v109
	;; [unrolled: 3-line block ×15, first 2 shown]
	ds_store_2addr_b64 v148, v[0:1], v[2:3] offset0:50 offset1:51
	v_dual_mov_b32 v0, v214 :: v_dual_mov_b32 v1, v215
	ds_store_2addr_b64 v148, v[0:1], v[216:217] offset0:52 offset1:53
	ds_load_b64 v[0:1], v139
	s_wait_dscnt 0x0
	v_cmp_neq_f32_e32 vcc_lo, 0, v0
	v_cmp_neq_f32_e64 s1, 0, v1
	s_or_b32 s1, vcc_lo, s1
	s_delay_alu instid0(SALU_CYCLE_1)
	s_and_b32 exec_lo, exec_lo, s1
	s_cbranch_execz .LBB107_179
; %bb.174:
	v_cmp_ngt_f32_e64 s1, |v0|, |v1|
                                        ; implicit-def: $vgpr2_vgpr3
	s_and_saveexec_b32 s4, s1
	s_delay_alu instid0(SALU_CYCLE_1)
	s_xor_b32 s1, exec_lo, s4
	s_cbranch_execz .LBB107_176
; %bb.175:
	v_div_scale_f32 v2, null, v1, v1, v0
	v_div_scale_f32 v5, vcc_lo, v0, v1, v0
	s_delay_alu instid0(VALU_DEP_2) | instskip(SKIP_1) | instid1(TRANS32_DEP_1)
	v_rcp_f32_e32 v3, v2
	v_nop
	v_fma_f32 v4, -v2, v3, 1.0
	s_delay_alu instid0(VALU_DEP_1) | instskip(NEXT) | instid1(VALU_DEP_1)
	v_fmac_f32_e32 v3, v4, v3
	v_mul_f32_e32 v4, v5, v3
	s_delay_alu instid0(VALU_DEP_1) | instskip(NEXT) | instid1(VALU_DEP_1)
	v_fma_f32 v6, -v2, v4, v5
	v_fmac_f32_e32 v4, v6, v3
	s_delay_alu instid0(VALU_DEP_1) | instskip(NEXT) | instid1(VALU_DEP_1)
	v_fma_f32 v2, -v2, v4, v5
	v_div_fmas_f32 v2, v2, v3, v4
	s_delay_alu instid0(VALU_DEP_1) | instskip(NEXT) | instid1(VALU_DEP_1)
	v_div_fixup_f32 v2, v2, v1, v0
	v_fmac_f32_e32 v1, v0, v2
	s_delay_alu instid0(VALU_DEP_1) | instskip(SKIP_1) | instid1(VALU_DEP_2)
	v_div_scale_f32 v0, null, v1, v1, 1.0
	v_div_scale_f32 v5, vcc_lo, 1.0, v1, 1.0
	v_rcp_f32_e32 v3, v0
	v_nop
	s_delay_alu instid0(TRANS32_DEP_1) | instskip(NEXT) | instid1(VALU_DEP_1)
	v_fma_f32 v4, -v0, v3, 1.0
	v_fmac_f32_e32 v3, v4, v3
	s_delay_alu instid0(VALU_DEP_1) | instskip(NEXT) | instid1(VALU_DEP_1)
	v_mul_f32_e32 v4, v5, v3
	v_fma_f32 v6, -v0, v4, v5
	s_delay_alu instid0(VALU_DEP_1) | instskip(NEXT) | instid1(VALU_DEP_1)
	v_fmac_f32_e32 v4, v6, v3
	v_fma_f32 v0, -v0, v4, v5
	s_delay_alu instid0(VALU_DEP_1) | instskip(NEXT) | instid1(VALU_DEP_1)
	v_div_fmas_f32 v0, v0, v3, v4
	v_div_fixup_f32 v0, v0, v1, 1.0
	s_delay_alu instid0(VALU_DEP_1)
	v_mul_f32_e32 v2, v2, v0
	v_xor_b32_e32 v3, 0x80000000, v0
                                        ; implicit-def: $vgpr0_vgpr1
.LBB107_176:
	s_and_not1_saveexec_b32 s1, s1
	s_cbranch_execz .LBB107_178
; %bb.177:
	v_div_scale_f32 v2, null, v0, v0, v1
	v_div_scale_f32 v5, vcc_lo, v1, v0, v1
	s_delay_alu instid0(VALU_DEP_2) | instskip(SKIP_1) | instid1(TRANS32_DEP_1)
	v_rcp_f32_e32 v3, v2
	v_nop
	v_fma_f32 v4, -v2, v3, 1.0
	s_delay_alu instid0(VALU_DEP_1) | instskip(NEXT) | instid1(VALU_DEP_1)
	v_fmac_f32_e32 v3, v4, v3
	v_mul_f32_e32 v4, v5, v3
	s_delay_alu instid0(VALU_DEP_1) | instskip(NEXT) | instid1(VALU_DEP_1)
	v_fma_f32 v6, -v2, v4, v5
	v_fmac_f32_e32 v4, v6, v3
	s_delay_alu instid0(VALU_DEP_1) | instskip(NEXT) | instid1(VALU_DEP_1)
	v_fma_f32 v2, -v2, v4, v5
	v_div_fmas_f32 v2, v2, v3, v4
	s_delay_alu instid0(VALU_DEP_1) | instskip(NEXT) | instid1(VALU_DEP_1)
	v_div_fixup_f32 v3, v2, v0, v1
	v_fmac_f32_e32 v0, v1, v3
	s_delay_alu instid0(VALU_DEP_1) | instskip(NEXT) | instid1(VALU_DEP_1)
	v_div_scale_f32 v1, null, v0, v0, 1.0
	v_rcp_f32_e32 v2, v1
	v_nop
	s_delay_alu instid0(TRANS32_DEP_1) | instskip(NEXT) | instid1(VALU_DEP_1)
	v_fma_f32 v4, -v1, v2, 1.0
	v_fmac_f32_e32 v2, v4, v2
	v_div_scale_f32 v4, vcc_lo, 1.0, v0, 1.0
	s_delay_alu instid0(VALU_DEP_1) | instskip(NEXT) | instid1(VALU_DEP_1)
	v_mul_f32_e32 v5, v4, v2
	v_fma_f32 v6, -v1, v5, v4
	s_delay_alu instid0(VALU_DEP_1) | instskip(NEXT) | instid1(VALU_DEP_1)
	v_fmac_f32_e32 v5, v6, v2
	v_fma_f32 v1, -v1, v5, v4
	s_delay_alu instid0(VALU_DEP_1) | instskip(NEXT) | instid1(VALU_DEP_1)
	v_div_fmas_f32 v1, v1, v2, v5
	v_div_fixup_f32 v2, v1, v0, 1.0
	s_delay_alu instid0(VALU_DEP_1)
	v_mul_f32_e64 v3, v3, -v2
.LBB107_178:
	s_or_b32 exec_lo, exec_lo, s1
	ds_store_b64 v139, v[2:3]
.LBB107_179:
	s_or_b32 exec_lo, exec_lo, s2
	s_wait_dscnt 0x0
	s_barrier_signal -1
	s_barrier_wait -1
	ds_load_b64 v[0:1], v139
	s_mov_b32 s1, exec_lo
	s_wait_dscnt 0x0
	scratch_store_b64 off, v[0:1], off offset:320 ; 8-byte Folded Spill
	s_wait_xcnt 0x0
	v_cmpx_lt_u32_e32 19, v138
	s_cbranch_execz .LBB107_181
; %bb.180:
	scratch_load_b64 v[0:1], off, off offset:320 ; 8-byte Folded Reload
	ds_load_2addr_b64 v[6:9], v148 offset0:20 offset1:21
	s_wait_loadcnt 0x0
	v_pk_mul_f32 v[4:5], v[0:1], v[74:75] op_sel:[1,1] op_sel_hi:[0,1]
	s_delay_alu instid0(VALU_DEP_1) | instskip(SKIP_1) | instid1(VALU_DEP_1)
	v_pk_fma_f32 v[2:3], v[0:1], v[74:75], v[4:5] op_sel_hi:[1,0,1] neg_lo:[0,0,1] neg_hi:[0,0,1]
	v_pk_fma_f32 v[4:5], v[0:1], v[74:75], v[4:5] op_sel_hi:[1,0,1]
	v_dual_mov_b32 v74, v2 :: v_dual_mov_b32 v75, v5
	s_wait_dscnt 0x0
	s_delay_alu instid0(VALU_DEP_2) | instskip(NEXT) | instid1(VALU_DEP_1)
	v_pk_mul_f32 v[10:11], v[6:7], v[4:5] op_sel:[0,1]
	v_pk_fma_f32 v[12:13], v[6:7], v[2:3], v[10:11] op_sel:[0,0,1] op_sel_hi:[1,1,0] neg_lo:[0,0,1] neg_hi:[0,0,1]
	v_pk_fma_f32 v[6:7], v[6:7], v[2:3], v[10:11] op_sel:[0,0,1] op_sel_hi:[1,0,0]
	s_delay_alu instid0(VALU_DEP_1) | instskip(SKIP_1) | instid1(VALU_DEP_1)
	v_mov_b32_e32 v13, v7
	v_pk_mul_f32 v[6:7], v[8:9], v[4:5] op_sel:[0,1]
	v_pk_fma_f32 v[10:11], v[8:9], v[2:3], v[6:7] op_sel:[0,0,1] op_sel_hi:[1,1,0] neg_lo:[0,0,1] neg_hi:[0,0,1]
	v_pk_fma_f32 v[6:7], v[8:9], v[2:3], v[6:7] op_sel:[0,0,1] op_sel_hi:[1,0,0]
	s_delay_alu instid0(VALU_DEP_1)
	v_mov_b32_e32 v11, v7
	ds_load_2addr_b64 v[6:9], v148 offset0:22 offset1:23
	v_pk_add_f32 v[96:97], v[96:97], v[12:13] neg_lo:[0,1] neg_hi:[0,1]
	v_pk_add_f32 v[92:93], v[92:93], v[10:11] neg_lo:[0,1] neg_hi:[0,1]
	s_wait_dscnt 0x0
	v_pk_mul_f32 v[10:11], v[6:7], v[4:5] op_sel:[0,1]
	s_delay_alu instid0(VALU_DEP_1) | instskip(SKIP_2) | instid1(VALU_DEP_2)
	v_pk_fma_f32 v[12:13], v[6:7], v[2:3], v[10:11] op_sel:[0,0,1] op_sel_hi:[1,1,0] neg_lo:[0,0,1] neg_hi:[0,0,1]
	v_pk_fma_f32 v[6:7], v[6:7], v[2:3], v[10:11] op_sel:[0,0,1] op_sel_hi:[1,0,0]
	v_dual_mul_f32 v10, v9, v5 :: v_dual_mov_b32 v6, v9
	v_dual_mov_b32 v13, v7 :: v_dual_mov_b32 v7, v8
	s_delay_alu instid0(VALU_DEP_2) | instskip(SKIP_1) | instid1(VALU_DEP_3)
	v_pk_fma_f32 v[10:11], v[8:9], v[74:75], v[10:11] op_sel_hi:[1,1,0] neg_lo:[0,0,1] neg_hi:[0,0,1]
	v_mul_f32_e32 v8, v9, v2
	v_pk_add_f32 v[94:95], v[94:95], v[12:13] neg_lo:[0,1] neg_hi:[0,1]
	s_delay_alu instid0(VALU_DEP_2) | instskip(NEXT) | instid1(VALU_DEP_1)
	v_pk_fma_f32 v[6:7], v[6:7], v[74:75], v[8:9] op_sel_hi:[1,1,0]
	v_mov_b32_e32 v11, v7
	ds_load_2addr_b64 v[6:9], v148 offset0:24 offset1:25
	v_pk_add_f32 v[90:91], v[90:91], v[10:11] neg_lo:[0,1] neg_hi:[0,1]
	s_wait_dscnt 0x0
	v_pk_mul_f32 v[10:11], v[6:7], v[4:5] op_sel:[0,1]
	s_delay_alu instid0(VALU_DEP_1) | instskip(SKIP_1) | instid1(VALU_DEP_1)
	v_pk_fma_f32 v[12:13], v[6:7], v[2:3], v[10:11] op_sel:[0,0,1] op_sel_hi:[1,1,0] neg_lo:[0,0,1] neg_hi:[0,0,1]
	v_pk_fma_f32 v[6:7], v[6:7], v[2:3], v[10:11] op_sel:[0,0,1] op_sel_hi:[1,0,0]
	v_mov_b32_e32 v13, v7
	v_pk_mul_f32 v[6:7], v[8:9], v[4:5] op_sel:[0,1]
	s_delay_alu instid0(VALU_DEP_1) | instskip(SKIP_1) | instid1(VALU_DEP_1)
	v_pk_fma_f32 v[10:11], v[8:9], v[2:3], v[6:7] op_sel:[0,0,1] op_sel_hi:[1,1,0] neg_lo:[0,0,1] neg_hi:[0,0,1]
	v_pk_fma_f32 v[6:7], v[8:9], v[2:3], v[6:7] op_sel:[0,0,1] op_sel_hi:[1,0,0]
	v_mov_b32_e32 v11, v7
	ds_load_2addr_b64 v[6:9], v148 offset0:26 offset1:27
	v_pk_add_f32 v[112:113], v[112:113], v[12:13] neg_lo:[0,1] neg_hi:[0,1]
	v_pk_add_f32 v[108:109], v[108:109], v[10:11] neg_lo:[0,1] neg_hi:[0,1]
	s_wait_dscnt 0x0
	v_pk_mul_f32 v[10:11], v[6:7], v[4:5] op_sel:[0,1]
	s_delay_alu instid0(VALU_DEP_1) | instskip(SKIP_1) | instid1(VALU_DEP_1)
	v_pk_fma_f32 v[12:13], v[6:7], v[2:3], v[10:11] op_sel:[0,0,1] op_sel_hi:[1,1,0] neg_lo:[0,0,1] neg_hi:[0,0,1]
	v_pk_fma_f32 v[6:7], v[6:7], v[2:3], v[10:11] op_sel:[0,0,1] op_sel_hi:[1,0,0]
	v_mov_b32_e32 v13, v7
	v_pk_mul_f32 v[6:7], v[8:9], v[4:5] op_sel:[0,1]
	s_delay_alu instid0(VALU_DEP_1) | instskip(SKIP_1) | instid1(VALU_DEP_1)
	v_pk_fma_f32 v[10:11], v[8:9], v[2:3], v[6:7] op_sel:[0,0,1] op_sel_hi:[1,1,0] neg_lo:[0,0,1] neg_hi:[0,0,1]
	v_pk_fma_f32 v[6:7], v[8:9], v[2:3], v[6:7] op_sel:[0,0,1] op_sel_hi:[1,0,0]
	v_mov_b32_e32 v11, v7
	ds_load_2addr_b64 v[6:9], v148 offset0:28 offset1:29
	v_pk_add_f32 v[110:111], v[110:111], v[12:13] neg_lo:[0,1] neg_hi:[0,1]
	v_pk_add_f32 v[106:107], v[106:107], v[10:11] neg_lo:[0,1] neg_hi:[0,1]
	s_wait_dscnt 0x0
	v_dual_mul_f32 v10, v7, v5 :: v_dual_mul_f32 v12, v7, v2
	s_delay_alu instid0(VALU_DEP_1) | instskip(NEXT) | instid1(VALU_DEP_2)
	v_pk_fma_f32 v[10:11], v[6:7], v[74:75], v[10:11] op_sel_hi:[1,1,0] neg_lo:[0,0,1] neg_hi:[0,0,1]
	v_pk_fma_f32 v[6:7], v[6:7], v[74:75], v[12:13] op_sel:[1,0,0] op_sel_hi:[0,1,0]
	s_delay_alu instid0(VALU_DEP_1) | instskip(SKIP_1) | instid1(VALU_DEP_2)
	v_mov_b32_e32 v11, v7
	v_pk_mul_f32 v[6:7], v[8:9], v[4:5] op_sel:[0,1]
	v_pk_add_f32 v[130:131], v[130:131], v[10:11] neg_lo:[0,1] neg_hi:[0,1]
	s_delay_alu instid0(VALU_DEP_2) | instskip(SKIP_1) | instid1(VALU_DEP_1)
	v_pk_fma_f32 v[10:11], v[8:9], v[2:3], v[6:7] op_sel:[0,0,1] op_sel_hi:[1,1,0] neg_lo:[0,0,1] neg_hi:[0,0,1]
	v_pk_fma_f32 v[6:7], v[8:9], v[2:3], v[6:7] op_sel:[0,0,1] op_sel_hi:[1,0,0]
	v_mov_b32_e32 v11, v7
	ds_load_2addr_b64 v[6:9], v148 offset0:30 offset1:31
	v_pk_add_f32 v[126:127], v[126:127], v[10:11] neg_lo:[0,1] neg_hi:[0,1]
	s_wait_dscnt 0x0
	v_pk_mul_f32 v[10:11], v[6:7], v[4:5] op_sel:[0,1]
	s_delay_alu instid0(VALU_DEP_1) | instskip(SKIP_1) | instid1(VALU_DEP_1)
	v_pk_fma_f32 v[12:13], v[6:7], v[2:3], v[10:11] op_sel:[0,0,1] op_sel_hi:[1,1,0] neg_lo:[0,0,1] neg_hi:[0,0,1]
	v_pk_fma_f32 v[6:7], v[6:7], v[2:3], v[10:11] op_sel:[0,0,1] op_sel_hi:[1,0,0]
	v_mov_b32_e32 v13, v7
	v_pk_mul_f32 v[6:7], v[8:9], v[4:5] op_sel:[0,1]
	s_delay_alu instid0(VALU_DEP_2) | instskip(NEXT) | instid1(VALU_DEP_2)
	v_pk_add_f32 v[128:129], v[128:129], v[12:13] neg_lo:[0,1] neg_hi:[0,1]
	v_pk_fma_f32 v[10:11], v[8:9], v[2:3], v[6:7] op_sel:[0,0,1] op_sel_hi:[1,1,0] neg_lo:[0,0,1] neg_hi:[0,0,1]
	v_pk_fma_f32 v[6:7], v[8:9], v[2:3], v[6:7] op_sel:[0,0,1] op_sel_hi:[1,0,0]
	s_delay_alu instid0(VALU_DEP_1) | instskip(SKIP_4) | instid1(VALU_DEP_1)
	v_mov_b32_e32 v11, v7
	ds_load_2addr_b64 v[6:9], v148 offset0:32 offset1:33
	v_pk_add_f32 v[124:125], v[124:125], v[10:11] neg_lo:[0,1] neg_hi:[0,1]
	s_wait_dscnt 0x0
	v_pk_mul_f32 v[10:11], v[6:7], v[4:5] op_sel:[0,1]
	v_pk_fma_f32 v[12:13], v[6:7], v[2:3], v[10:11] op_sel:[0,0,1] op_sel_hi:[1,1,0] neg_lo:[0,0,1] neg_hi:[0,0,1]
	v_pk_fma_f32 v[6:7], v[6:7], v[2:3], v[10:11] op_sel:[0,0,1] op_sel_hi:[1,0,0]
	v_dual_mul_f32 v10, v9, v5 :: v_dual_mov_b32 v6, v9
	s_delay_alu instid0(VALU_DEP_2) | instskip(NEXT) | instid1(VALU_DEP_2)
	v_dual_mov_b32 v13, v7 :: v_dual_mov_b32 v7, v8
	v_pk_fma_f32 v[10:11], v[8:9], v[74:75], v[10:11] op_sel_hi:[1,1,0] neg_lo:[0,0,1] neg_hi:[0,0,1]
	v_mul_f32_e32 v8, v9, v2
	s_delay_alu instid0(VALU_DEP_3) | instskip(NEXT) | instid1(VALU_DEP_2)
	v_pk_add_f32 v[146:147], v[146:147], v[12:13] neg_lo:[0,1] neg_hi:[0,1]
	v_pk_fma_f32 v[6:7], v[6:7], v[74:75], v[8:9] op_sel_hi:[1,1,0]
	s_delay_alu instid0(VALU_DEP_1) | instskip(SKIP_4) | instid1(VALU_DEP_1)
	v_mov_b32_e32 v11, v7
	ds_load_2addr_b64 v[6:9], v148 offset0:34 offset1:35
	v_pk_add_f32 v[142:143], v[142:143], v[10:11] neg_lo:[0,1] neg_hi:[0,1]
	s_wait_dscnt 0x0
	v_pk_mul_f32 v[10:11], v[6:7], v[4:5] op_sel:[0,1]
	v_pk_fma_f32 v[12:13], v[6:7], v[2:3], v[10:11] op_sel:[0,0,1] op_sel_hi:[1,1,0] neg_lo:[0,0,1] neg_hi:[0,0,1]
	v_pk_fma_f32 v[6:7], v[6:7], v[2:3], v[10:11] op_sel:[0,0,1] op_sel_hi:[1,0,0]
	s_delay_alu instid0(VALU_DEP_1) | instskip(SKIP_1) | instid1(VALU_DEP_1)
	v_mov_b32_e32 v13, v7
	v_pk_mul_f32 v[6:7], v[8:9], v[4:5] op_sel:[0,1]
	v_pk_fma_f32 v[10:11], v[8:9], v[2:3], v[6:7] op_sel:[0,0,1] op_sel_hi:[1,1,0] neg_lo:[0,0,1] neg_hi:[0,0,1]
	v_pk_fma_f32 v[6:7], v[8:9], v[2:3], v[6:7] op_sel:[0,0,1] op_sel_hi:[1,0,0]
	s_delay_alu instid0(VALU_DEP_1)
	v_mov_b32_e32 v11, v7
	ds_load_2addr_b64 v[6:9], v148 offset0:36 offset1:37
	v_pk_add_f32 v[144:145], v[144:145], v[12:13] neg_lo:[0,1] neg_hi:[0,1]
	v_pk_add_f32 v[140:141], v[140:141], v[10:11] neg_lo:[0,1] neg_hi:[0,1]
	s_wait_dscnt 0x0
	v_pk_mul_f32 v[10:11], v[6:7], v[4:5] op_sel:[0,1]
	s_delay_alu instid0(VALU_DEP_1) | instskip(SKIP_1) | instid1(VALU_DEP_1)
	v_pk_fma_f32 v[12:13], v[6:7], v[2:3], v[10:11] op_sel:[0,0,1] op_sel_hi:[1,1,0] neg_lo:[0,0,1] neg_hi:[0,0,1]
	v_pk_fma_f32 v[6:7], v[6:7], v[2:3], v[10:11] op_sel:[0,0,1] op_sel_hi:[1,0,0]
	v_mov_b32_e32 v13, v7
	v_pk_mul_f32 v[6:7], v[8:9], v[4:5] op_sel:[0,1]
	s_delay_alu instid0(VALU_DEP_1) | instskip(SKIP_1) | instid1(VALU_DEP_1)
	v_pk_fma_f32 v[10:11], v[8:9], v[2:3], v[6:7] op_sel:[0,0,1] op_sel_hi:[1,1,0] neg_lo:[0,0,1] neg_hi:[0,0,1]
	v_pk_fma_f32 v[6:7], v[8:9], v[2:3], v[6:7] op_sel:[0,0,1] op_sel_hi:[1,0,0]
	v_mov_b32_e32 v11, v7
	ds_load_2addr_b64 v[6:9], v148 offset0:38 offset1:39
	v_pk_add_f32 v[162:163], v[162:163], v[12:13] neg_lo:[0,1] neg_hi:[0,1]
	v_pk_add_f32 v[158:159], v[158:159], v[10:11] neg_lo:[0,1] neg_hi:[0,1]
	s_wait_dscnt 0x0
	v_dual_mul_f32 v10, v7, v5 :: v_dual_mul_f32 v12, v7, v2
	s_delay_alu instid0(VALU_DEP_1) | instskip(NEXT) | instid1(VALU_DEP_2)
	v_pk_fma_f32 v[10:11], v[6:7], v[74:75], v[10:11] op_sel_hi:[1,1,0] neg_lo:[0,0,1] neg_hi:[0,0,1]
	v_pk_fma_f32 v[6:7], v[6:7], v[74:75], v[12:13] op_sel:[1,0,0] op_sel_hi:[0,1,0]
	s_delay_alu instid0(VALU_DEP_1) | instskip(SKIP_1) | instid1(VALU_DEP_2)
	v_mov_b32_e32 v11, v7
	v_pk_mul_f32 v[6:7], v[8:9], v[4:5] op_sel:[0,1]
	v_pk_add_f32 v[160:161], v[160:161], v[10:11] neg_lo:[0,1] neg_hi:[0,1]
	s_delay_alu instid0(VALU_DEP_2) | instskip(SKIP_1) | instid1(VALU_DEP_1)
	v_pk_fma_f32 v[10:11], v[8:9], v[2:3], v[6:7] op_sel:[0,0,1] op_sel_hi:[1,1,0] neg_lo:[0,0,1] neg_hi:[0,0,1]
	v_pk_fma_f32 v[6:7], v[8:9], v[2:3], v[6:7] op_sel:[0,0,1] op_sel_hi:[1,0,0]
	v_mov_b32_e32 v11, v7
	ds_load_2addr_b64 v[6:9], v148 offset0:40 offset1:41
	v_pk_add_f32 v[156:157], v[156:157], v[10:11] neg_lo:[0,1] neg_hi:[0,1]
	s_wait_dscnt 0x0
	v_pk_mul_f32 v[10:11], v[6:7], v[4:5] op_sel:[0,1]
	s_delay_alu instid0(VALU_DEP_1) | instskip(SKIP_1) | instid1(VALU_DEP_1)
	v_pk_fma_f32 v[12:13], v[6:7], v[2:3], v[10:11] op_sel:[0,0,1] op_sel_hi:[1,1,0] neg_lo:[0,0,1] neg_hi:[0,0,1]
	v_pk_fma_f32 v[6:7], v[6:7], v[2:3], v[10:11] op_sel:[0,0,1] op_sel_hi:[1,0,0]
	v_mov_b32_e32 v13, v7
	v_pk_mul_f32 v[6:7], v[8:9], v[4:5] op_sel:[0,1]
	s_delay_alu instid0(VALU_DEP_2) | instskip(NEXT) | instid1(VALU_DEP_2)
	v_pk_add_f32 v[178:179], v[178:179], v[12:13] neg_lo:[0,1] neg_hi:[0,1]
	v_pk_fma_f32 v[10:11], v[8:9], v[2:3], v[6:7] op_sel:[0,0,1] op_sel_hi:[1,1,0] neg_lo:[0,0,1] neg_hi:[0,0,1]
	v_pk_fma_f32 v[6:7], v[8:9], v[2:3], v[6:7] op_sel:[0,0,1] op_sel_hi:[1,0,0]
	s_delay_alu instid0(VALU_DEP_1) | instskip(SKIP_4) | instid1(VALU_DEP_1)
	v_mov_b32_e32 v11, v7
	ds_load_2addr_b64 v[6:9], v148 offset0:42 offset1:43
	v_pk_add_f32 v[174:175], v[174:175], v[10:11] neg_lo:[0,1] neg_hi:[0,1]
	s_wait_dscnt 0x0
	v_pk_mul_f32 v[10:11], v[6:7], v[4:5] op_sel:[0,1]
	v_pk_fma_f32 v[12:13], v[6:7], v[2:3], v[10:11] op_sel:[0,0,1] op_sel_hi:[1,1,0] neg_lo:[0,0,1] neg_hi:[0,0,1]
	v_pk_fma_f32 v[6:7], v[6:7], v[2:3], v[10:11] op_sel:[0,0,1] op_sel_hi:[1,0,0]
	v_dual_mul_f32 v10, v9, v5 :: v_dual_mov_b32 v6, v9
	s_delay_alu instid0(VALU_DEP_2) | instskip(NEXT) | instid1(VALU_DEP_2)
	v_dual_mov_b32 v13, v7 :: v_dual_mov_b32 v7, v8
	v_pk_fma_f32 v[10:11], v[8:9], v[74:75], v[10:11] op_sel_hi:[1,1,0] neg_lo:[0,0,1] neg_hi:[0,0,1]
	v_mul_f32_e32 v8, v9, v2
	s_delay_alu instid0(VALU_DEP_3) | instskip(NEXT) | instid1(VALU_DEP_2)
	v_pk_add_f32 v[176:177], v[176:177], v[12:13] neg_lo:[0,1] neg_hi:[0,1]
	v_pk_fma_f32 v[6:7], v[6:7], v[74:75], v[8:9] op_sel_hi:[1,1,0]
	s_delay_alu instid0(VALU_DEP_1) | instskip(SKIP_4) | instid1(VALU_DEP_1)
	v_mov_b32_e32 v11, v7
	ds_load_2addr_b64 v[6:9], v148 offset0:44 offset1:45
	v_pk_add_f32 v[172:173], v[172:173], v[10:11] neg_lo:[0,1] neg_hi:[0,1]
	s_wait_dscnt 0x0
	v_pk_mul_f32 v[10:11], v[6:7], v[4:5] op_sel:[0,1]
	v_pk_fma_f32 v[12:13], v[6:7], v[2:3], v[10:11] op_sel:[0,0,1] op_sel_hi:[1,1,0] neg_lo:[0,0,1] neg_hi:[0,0,1]
	v_pk_fma_f32 v[6:7], v[6:7], v[2:3], v[10:11] op_sel:[0,0,1] op_sel_hi:[1,0,0]
	s_delay_alu instid0(VALU_DEP_1) | instskip(SKIP_1) | instid1(VALU_DEP_1)
	v_mov_b32_e32 v13, v7
	v_pk_mul_f32 v[6:7], v[8:9], v[4:5] op_sel:[0,1]
	v_pk_fma_f32 v[10:11], v[8:9], v[2:3], v[6:7] op_sel:[0,0,1] op_sel_hi:[1,1,0] neg_lo:[0,0,1] neg_hi:[0,0,1]
	v_pk_fma_f32 v[6:7], v[8:9], v[2:3], v[6:7] op_sel:[0,0,1] op_sel_hi:[1,0,0]
	s_delay_alu instid0(VALU_DEP_1)
	v_mov_b32_e32 v11, v7
	ds_load_2addr_b64 v[6:9], v148 offset0:46 offset1:47
	v_pk_add_f32 v[196:197], v[196:197], v[12:13] neg_lo:[0,1] neg_hi:[0,1]
	v_pk_add_f32 v[192:193], v[192:193], v[10:11] neg_lo:[0,1] neg_hi:[0,1]
	s_wait_dscnt 0x0
	v_pk_mul_f32 v[10:11], v[6:7], v[4:5] op_sel:[0,1]
	s_delay_alu instid0(VALU_DEP_1) | instskip(SKIP_1) | instid1(VALU_DEP_1)
	v_pk_fma_f32 v[12:13], v[6:7], v[2:3], v[10:11] op_sel:[0,0,1] op_sel_hi:[1,1,0] neg_lo:[0,0,1] neg_hi:[0,0,1]
	v_pk_fma_f32 v[6:7], v[6:7], v[2:3], v[10:11] op_sel:[0,0,1] op_sel_hi:[1,0,0]
	v_mov_b32_e32 v13, v7
	v_pk_mul_f32 v[6:7], v[8:9], v[4:5] op_sel:[0,1]
	s_delay_alu instid0(VALU_DEP_1) | instskip(SKIP_1) | instid1(VALU_DEP_1)
	v_pk_fma_f32 v[10:11], v[8:9], v[2:3], v[6:7] op_sel:[0,0,1] op_sel_hi:[1,1,0] neg_lo:[0,0,1] neg_hi:[0,0,1]
	v_pk_fma_f32 v[6:7], v[8:9], v[2:3], v[6:7] op_sel:[0,0,1] op_sel_hi:[1,0,0]
	v_mov_b32_e32 v11, v7
	ds_load_2addr_b64 v[6:9], v148 offset0:48 offset1:49
	v_pk_add_f32 v[194:195], v[194:195], v[12:13] neg_lo:[0,1] neg_hi:[0,1]
	v_pk_add_f32 v[190:191], v[190:191], v[10:11] neg_lo:[0,1] neg_hi:[0,1]
	s_wait_dscnt 0x0
	v_dual_mul_f32 v10, v7, v5 :: v_dual_mul_f32 v12, v7, v2
	s_delay_alu instid0(VALU_DEP_1) | instskip(NEXT) | instid1(VALU_DEP_2)
	v_pk_fma_f32 v[10:11], v[6:7], v[74:75], v[10:11] op_sel_hi:[1,1,0] neg_lo:[0,0,1] neg_hi:[0,0,1]
	v_pk_fma_f32 v[6:7], v[6:7], v[74:75], v[12:13] op_sel:[1,0,0] op_sel_hi:[0,1,0]
	s_delay_alu instid0(VALU_DEP_1) | instskip(SKIP_1) | instid1(VALU_DEP_2)
	v_mov_b32_e32 v11, v7
	v_pk_mul_f32 v[6:7], v[8:9], v[4:5] op_sel:[0,1]
	v_pk_add_f32 v[212:213], v[212:213], v[10:11] neg_lo:[0,1] neg_hi:[0,1]
	s_delay_alu instid0(VALU_DEP_2) | instskip(SKIP_1) | instid1(VALU_DEP_1)
	v_pk_fma_f32 v[10:11], v[8:9], v[2:3], v[6:7] op_sel:[0,0,1] op_sel_hi:[1,1,0] neg_lo:[0,0,1] neg_hi:[0,0,1]
	v_pk_fma_f32 v[6:7], v[8:9], v[2:3], v[6:7] op_sel:[0,0,1] op_sel_hi:[1,0,0]
	v_mov_b32_e32 v11, v7
	ds_load_2addr_b64 v[6:9], v148 offset0:50 offset1:51
	v_pk_add_f32 v[208:209], v[208:209], v[10:11] neg_lo:[0,1] neg_hi:[0,1]
	s_wait_dscnt 0x0
	v_pk_mul_f32 v[10:11], v[6:7], v[4:5] op_sel:[0,1]
	s_delay_alu instid0(VALU_DEP_1) | instskip(SKIP_1) | instid1(VALU_DEP_1)
	v_pk_fma_f32 v[12:13], v[6:7], v[2:3], v[10:11] op_sel:[0,0,1] op_sel_hi:[1,1,0] neg_lo:[0,0,1] neg_hi:[0,0,1]
	v_pk_fma_f32 v[6:7], v[6:7], v[2:3], v[10:11] op_sel:[0,0,1] op_sel_hi:[1,0,0]
	v_mov_b32_e32 v13, v7
	v_pk_mul_f32 v[6:7], v[8:9], v[4:5] op_sel:[0,1]
	s_delay_alu instid0(VALU_DEP_2) | instskip(NEXT) | instid1(VALU_DEP_2)
	v_pk_add_f32 v[210:211], v[210:211], v[12:13] neg_lo:[0,1] neg_hi:[0,1]
	v_pk_fma_f32 v[10:11], v[8:9], v[2:3], v[6:7] op_sel:[0,0,1] op_sel_hi:[1,1,0] neg_lo:[0,0,1] neg_hi:[0,0,1]
	v_pk_fma_f32 v[6:7], v[8:9], v[2:3], v[6:7] op_sel:[0,0,1] op_sel_hi:[1,0,0]
	s_delay_alu instid0(VALU_DEP_1)
	v_mov_b32_e32 v11, v7
	ds_load_2addr_b64 v[6:9], v148 offset0:52 offset1:53
	v_pk_add_f32 v[206:207], v[206:207], v[10:11] neg_lo:[0,1] neg_hi:[0,1]
	s_wait_dscnt 0x0
	v_pk_mul_f32 v[10:11], v[6:7], v[4:5] op_sel:[0,1]
	v_pk_mul_f32 v[4:5], v[8:9], v[4:5] op_sel:[0,1]
	s_delay_alu instid0(VALU_DEP_2) | instskip(SKIP_1) | instid1(VALU_DEP_1)
	v_pk_fma_f32 v[12:13], v[6:7], v[2:3], v[10:11] op_sel:[0,0,1] op_sel_hi:[1,1,0] neg_lo:[0,0,1] neg_hi:[0,0,1]
	v_pk_fma_f32 v[6:7], v[6:7], v[2:3], v[10:11] op_sel:[0,0,1] op_sel_hi:[1,0,0]
	v_mov_b32_e32 v13, v7
	s_delay_alu instid0(VALU_DEP_4) | instskip(SKIP_1) | instid1(VALU_DEP_3)
	v_pk_fma_f32 v[6:7], v[8:9], v[2:3], v[4:5] op_sel:[0,0,1] op_sel_hi:[1,1,0] neg_lo:[0,0,1] neg_hi:[0,0,1]
	v_pk_fma_f32 v[2:3], v[8:9], v[2:3], v[4:5] op_sel:[0,0,1] op_sel_hi:[1,0,0]
	v_pk_add_f32 v[214:215], v[214:215], v[12:13] neg_lo:[0,1] neg_hi:[0,1]
	s_delay_alu instid0(VALU_DEP_2) | instskip(NEXT) | instid1(VALU_DEP_1)
	v_mov_b32_e32 v7, v3
	v_pk_add_f32 v[216:217], v[216:217], v[6:7] neg_lo:[0,1] neg_hi:[0,1]
.LBB107_181:
	s_wait_xcnt 0x0
	s_or_b32 exec_lo, exec_lo, s1
	s_delay_alu instid0(SALU_CYCLE_1)
	s_mov_b32 s2, exec_lo
	s_wait_storecnt 0x0
	s_barrier_signal -1
	s_barrier_wait -1
	v_cmpx_eq_u32_e32 20, v138
	s_cbranch_execz .LBB107_188
; %bb.182:
	ds_store_b64 v139, v[96:97]
	ds_store_2addr_b64 v148, v[92:93], v[94:95] offset0:21 offset1:22
	ds_store_2addr_b64 v148, v[90:91], v[112:113] offset0:23 offset1:24
	;; [unrolled: 1-line block ×16, first 2 shown]
	ds_store_b64 v148, v[216:217] offset:424
	ds_load_b64 v[2:3], v139
	s_wait_dscnt 0x0
	v_cmp_neq_f32_e32 vcc_lo, 0, v2
	v_cmp_neq_f32_e64 s1, 0, v3
	s_or_b32 s1, vcc_lo, s1
	s_delay_alu instid0(SALU_CYCLE_1)
	s_and_b32 exec_lo, exec_lo, s1
	s_cbranch_execz .LBB107_188
; %bb.183:
	v_cmp_ngt_f32_e64 s1, |v2|, |v3|
                                        ; implicit-def: $vgpr4_vgpr5
	s_and_saveexec_b32 s4, s1
	s_delay_alu instid0(SALU_CYCLE_1)
	s_xor_b32 s1, exec_lo, s4
	s_cbranch_execz .LBB107_185
; %bb.184:
	v_div_scale_f32 v4, null, v3, v3, v2
	v_div_scale_f32 v7, vcc_lo, v2, v3, v2
	s_delay_alu instid0(VALU_DEP_2) | instskip(SKIP_1) | instid1(TRANS32_DEP_1)
	v_rcp_f32_e32 v5, v4
	v_nop
	v_fma_f32 v6, -v4, v5, 1.0
	s_delay_alu instid0(VALU_DEP_1) | instskip(NEXT) | instid1(VALU_DEP_1)
	v_fmac_f32_e32 v5, v6, v5
	v_mul_f32_e32 v6, v7, v5
	s_delay_alu instid0(VALU_DEP_1) | instskip(NEXT) | instid1(VALU_DEP_1)
	v_fma_f32 v8, -v4, v6, v7
	v_fmac_f32_e32 v6, v8, v5
	s_delay_alu instid0(VALU_DEP_1) | instskip(NEXT) | instid1(VALU_DEP_1)
	v_fma_f32 v4, -v4, v6, v7
	v_div_fmas_f32 v4, v4, v5, v6
	s_delay_alu instid0(VALU_DEP_1) | instskip(NEXT) | instid1(VALU_DEP_1)
	v_div_fixup_f32 v4, v4, v3, v2
	v_fmac_f32_e32 v3, v2, v4
	s_delay_alu instid0(VALU_DEP_1) | instskip(SKIP_1) | instid1(VALU_DEP_2)
	v_div_scale_f32 v2, null, v3, v3, 1.0
	v_div_scale_f32 v7, vcc_lo, 1.0, v3, 1.0
	v_rcp_f32_e32 v5, v2
	v_nop
	s_delay_alu instid0(TRANS32_DEP_1) | instskip(NEXT) | instid1(VALU_DEP_1)
	v_fma_f32 v6, -v2, v5, 1.0
	v_fmac_f32_e32 v5, v6, v5
	s_delay_alu instid0(VALU_DEP_1) | instskip(NEXT) | instid1(VALU_DEP_1)
	v_mul_f32_e32 v6, v7, v5
	v_fma_f32 v8, -v2, v6, v7
	s_delay_alu instid0(VALU_DEP_1) | instskip(NEXT) | instid1(VALU_DEP_1)
	v_fmac_f32_e32 v6, v8, v5
	v_fma_f32 v2, -v2, v6, v7
	s_delay_alu instid0(VALU_DEP_1) | instskip(NEXT) | instid1(VALU_DEP_1)
	v_div_fmas_f32 v2, v2, v5, v6
	v_div_fixup_f32 v2, v2, v3, 1.0
	s_delay_alu instid0(VALU_DEP_1)
	v_mul_f32_e32 v4, v4, v2
	v_xor_b32_e32 v5, 0x80000000, v2
                                        ; implicit-def: $vgpr2_vgpr3
.LBB107_185:
	s_and_not1_saveexec_b32 s1, s1
	s_cbranch_execz .LBB107_187
; %bb.186:
	v_div_scale_f32 v4, null, v2, v2, v3
	v_div_scale_f32 v7, vcc_lo, v3, v2, v3
	s_delay_alu instid0(VALU_DEP_2) | instskip(SKIP_1) | instid1(TRANS32_DEP_1)
	v_rcp_f32_e32 v5, v4
	v_nop
	v_fma_f32 v6, -v4, v5, 1.0
	s_delay_alu instid0(VALU_DEP_1) | instskip(NEXT) | instid1(VALU_DEP_1)
	v_fmac_f32_e32 v5, v6, v5
	v_mul_f32_e32 v6, v7, v5
	s_delay_alu instid0(VALU_DEP_1) | instskip(NEXT) | instid1(VALU_DEP_1)
	v_fma_f32 v8, -v4, v6, v7
	v_fmac_f32_e32 v6, v8, v5
	s_delay_alu instid0(VALU_DEP_1) | instskip(NEXT) | instid1(VALU_DEP_1)
	v_fma_f32 v4, -v4, v6, v7
	v_div_fmas_f32 v4, v4, v5, v6
	s_delay_alu instid0(VALU_DEP_1) | instskip(NEXT) | instid1(VALU_DEP_1)
	v_div_fixup_f32 v5, v4, v2, v3
	v_fmac_f32_e32 v2, v3, v5
	s_delay_alu instid0(VALU_DEP_1) | instskip(NEXT) | instid1(VALU_DEP_1)
	v_div_scale_f32 v3, null, v2, v2, 1.0
	v_rcp_f32_e32 v4, v3
	v_nop
	s_delay_alu instid0(TRANS32_DEP_1) | instskip(NEXT) | instid1(VALU_DEP_1)
	v_fma_f32 v6, -v3, v4, 1.0
	v_fmac_f32_e32 v4, v6, v4
	v_div_scale_f32 v6, vcc_lo, 1.0, v2, 1.0
	s_delay_alu instid0(VALU_DEP_1) | instskip(NEXT) | instid1(VALU_DEP_1)
	v_mul_f32_e32 v7, v6, v4
	v_fma_f32 v8, -v3, v7, v6
	s_delay_alu instid0(VALU_DEP_1) | instskip(NEXT) | instid1(VALU_DEP_1)
	v_fmac_f32_e32 v7, v8, v4
	v_fma_f32 v3, -v3, v7, v6
	s_delay_alu instid0(VALU_DEP_1) | instskip(NEXT) | instid1(VALU_DEP_1)
	v_div_fmas_f32 v3, v3, v4, v7
	v_div_fixup_f32 v4, v3, v2, 1.0
	s_delay_alu instid0(VALU_DEP_1)
	v_mul_f32_e64 v5, v5, -v4
.LBB107_187:
	s_or_b32 exec_lo, exec_lo, s1
	ds_store_b64 v139, v[4:5]
.LBB107_188:
	s_or_b32 exec_lo, exec_lo, s2
	s_wait_dscnt 0x0
	s_barrier_signal -1
	s_barrier_wait -1
	ds_load_b64 v[2:3], v139
	s_mov_b32 s1, exec_lo
	v_cmpx_lt_u32_e32 20, v138
	s_cbranch_execz .LBB107_190
; %bb.189:
	ds_load_2addr_b64 v[8:11], v148 offset0:21 offset1:22
	s_wait_dscnt 0x1
	v_pk_mul_f32 v[6:7], v[2:3], v[96:97] op_sel:[1,1] op_sel_hi:[0,1]
	s_delay_alu instid0(VALU_DEP_1) | instskip(SKIP_1) | instid1(VALU_DEP_1)
	v_pk_fma_f32 v[4:5], v[2:3], v[96:97], v[6:7] op_sel_hi:[1,0,1] neg_lo:[0,0,1] neg_hi:[0,0,1]
	v_pk_fma_f32 v[6:7], v[2:3], v[96:97], v[6:7] op_sel_hi:[1,0,1]
	v_dual_mov_b32 v96, v4 :: v_dual_mov_b32 v97, v7
	s_wait_dscnt 0x0
	s_delay_alu instid0(VALU_DEP_2) | instskip(NEXT) | instid1(VALU_DEP_1)
	v_pk_mul_f32 v[12:13], v[8:9], v[6:7] op_sel:[0,1]
	v_pk_fma_f32 v[14:15], v[8:9], v[4:5], v[12:13] op_sel:[0,0,1] op_sel_hi:[1,1,0] neg_lo:[0,0,1] neg_hi:[0,0,1]
	v_pk_fma_f32 v[8:9], v[8:9], v[4:5], v[12:13] op_sel:[0,0,1] op_sel_hi:[1,0,0]
	s_delay_alu instid0(VALU_DEP_1) | instskip(SKIP_1) | instid1(VALU_DEP_1)
	v_mov_b32_e32 v15, v9
	v_pk_mul_f32 v[8:9], v[10:11], v[6:7] op_sel:[0,1]
	v_pk_fma_f32 v[12:13], v[10:11], v[4:5], v[8:9] op_sel:[0,0,1] op_sel_hi:[1,1,0] neg_lo:[0,0,1] neg_hi:[0,0,1]
	v_pk_fma_f32 v[8:9], v[10:11], v[4:5], v[8:9] op_sel:[0,0,1] op_sel_hi:[1,0,0]
	s_delay_alu instid0(VALU_DEP_1)
	v_mov_b32_e32 v13, v9
	ds_load_2addr_b64 v[8:11], v148 offset0:23 offset1:24
	v_pk_add_f32 v[92:93], v[92:93], v[14:15] neg_lo:[0,1] neg_hi:[0,1]
	v_pk_add_f32 v[94:95], v[94:95], v[12:13] neg_lo:[0,1] neg_hi:[0,1]
	s_wait_dscnt 0x0
	v_pk_mul_f32 v[12:13], v[8:9], v[6:7] op_sel:[0,1]
	s_delay_alu instid0(VALU_DEP_1) | instskip(SKIP_2) | instid1(VALU_DEP_2)
	v_pk_fma_f32 v[14:15], v[8:9], v[4:5], v[12:13] op_sel:[0,0,1] op_sel_hi:[1,1,0] neg_lo:[0,0,1] neg_hi:[0,0,1]
	v_pk_fma_f32 v[8:9], v[8:9], v[4:5], v[12:13] op_sel:[0,0,1] op_sel_hi:[1,0,0]
	v_dual_mul_f32 v12, v11, v7 :: v_dual_mov_b32 v8, v11
	v_dual_mov_b32 v15, v9 :: v_dual_mov_b32 v9, v10
	s_delay_alu instid0(VALU_DEP_2) | instskip(SKIP_1) | instid1(VALU_DEP_3)
	v_pk_fma_f32 v[12:13], v[10:11], v[96:97], v[12:13] op_sel_hi:[1,1,0] neg_lo:[0,0,1] neg_hi:[0,0,1]
	v_mul_f32_e32 v10, v11, v4
	v_pk_add_f32 v[90:91], v[90:91], v[14:15] neg_lo:[0,1] neg_hi:[0,1]
	s_delay_alu instid0(VALU_DEP_2) | instskip(NEXT) | instid1(VALU_DEP_1)
	v_pk_fma_f32 v[8:9], v[8:9], v[96:97], v[10:11] op_sel_hi:[1,1,0]
	v_mov_b32_e32 v13, v9
	ds_load_2addr_b64 v[8:11], v148 offset0:25 offset1:26
	v_pk_add_f32 v[112:113], v[112:113], v[12:13] neg_lo:[0,1] neg_hi:[0,1]
	s_wait_dscnt 0x0
	v_pk_mul_f32 v[12:13], v[8:9], v[6:7] op_sel:[0,1]
	s_delay_alu instid0(VALU_DEP_1) | instskip(SKIP_1) | instid1(VALU_DEP_1)
	v_pk_fma_f32 v[14:15], v[8:9], v[4:5], v[12:13] op_sel:[0,0,1] op_sel_hi:[1,1,0] neg_lo:[0,0,1] neg_hi:[0,0,1]
	v_pk_fma_f32 v[8:9], v[8:9], v[4:5], v[12:13] op_sel:[0,0,1] op_sel_hi:[1,0,0]
	v_mov_b32_e32 v15, v9
	v_pk_mul_f32 v[8:9], v[10:11], v[6:7] op_sel:[0,1]
	s_delay_alu instid0(VALU_DEP_1) | instskip(SKIP_1) | instid1(VALU_DEP_1)
	v_pk_fma_f32 v[12:13], v[10:11], v[4:5], v[8:9] op_sel:[0,0,1] op_sel_hi:[1,1,0] neg_lo:[0,0,1] neg_hi:[0,0,1]
	v_pk_fma_f32 v[8:9], v[10:11], v[4:5], v[8:9] op_sel:[0,0,1] op_sel_hi:[1,0,0]
	v_mov_b32_e32 v13, v9
	ds_load_2addr_b64 v[8:11], v148 offset0:27 offset1:28
	v_pk_add_f32 v[108:109], v[108:109], v[14:15] neg_lo:[0,1] neg_hi:[0,1]
	v_pk_add_f32 v[110:111], v[110:111], v[12:13] neg_lo:[0,1] neg_hi:[0,1]
	s_wait_dscnt 0x0
	v_pk_mul_f32 v[12:13], v[8:9], v[6:7] op_sel:[0,1]
	s_delay_alu instid0(VALU_DEP_1) | instskip(SKIP_1) | instid1(VALU_DEP_1)
	v_pk_fma_f32 v[14:15], v[8:9], v[4:5], v[12:13] op_sel:[0,0,1] op_sel_hi:[1,1,0] neg_lo:[0,0,1] neg_hi:[0,0,1]
	v_pk_fma_f32 v[8:9], v[8:9], v[4:5], v[12:13] op_sel:[0,0,1] op_sel_hi:[1,0,0]
	v_mov_b32_e32 v15, v9
	v_pk_mul_f32 v[8:9], v[10:11], v[6:7] op_sel:[0,1]
	s_delay_alu instid0(VALU_DEP_1) | instskip(SKIP_1) | instid1(VALU_DEP_1)
	v_pk_fma_f32 v[12:13], v[10:11], v[4:5], v[8:9] op_sel:[0,0,1] op_sel_hi:[1,1,0] neg_lo:[0,0,1] neg_hi:[0,0,1]
	v_pk_fma_f32 v[8:9], v[10:11], v[4:5], v[8:9] op_sel:[0,0,1] op_sel_hi:[1,0,0]
	v_mov_b32_e32 v13, v9
	ds_load_2addr_b64 v[8:11], v148 offset0:29 offset1:30
	v_pk_add_f32 v[106:107], v[106:107], v[14:15] neg_lo:[0,1] neg_hi:[0,1]
	v_pk_add_f32 v[130:131], v[130:131], v[12:13] neg_lo:[0,1] neg_hi:[0,1]
	s_wait_dscnt 0x0
	v_dual_mul_f32 v12, v9, v7 :: v_dual_mul_f32 v14, v9, v4
	s_delay_alu instid0(VALU_DEP_1) | instskip(NEXT) | instid1(VALU_DEP_2)
	v_pk_fma_f32 v[12:13], v[8:9], v[96:97], v[12:13] op_sel_hi:[1,1,0] neg_lo:[0,0,1] neg_hi:[0,0,1]
	v_pk_fma_f32 v[8:9], v[8:9], v[96:97], v[14:15] op_sel:[1,0,0] op_sel_hi:[0,1,0]
	s_delay_alu instid0(VALU_DEP_1) | instskip(SKIP_1) | instid1(VALU_DEP_2)
	v_mov_b32_e32 v13, v9
	v_pk_mul_f32 v[8:9], v[10:11], v[6:7] op_sel:[0,1]
	v_pk_add_f32 v[126:127], v[126:127], v[12:13] neg_lo:[0,1] neg_hi:[0,1]
	s_delay_alu instid0(VALU_DEP_2) | instskip(SKIP_1) | instid1(VALU_DEP_1)
	v_pk_fma_f32 v[12:13], v[10:11], v[4:5], v[8:9] op_sel:[0,0,1] op_sel_hi:[1,1,0] neg_lo:[0,0,1] neg_hi:[0,0,1]
	v_pk_fma_f32 v[8:9], v[10:11], v[4:5], v[8:9] op_sel:[0,0,1] op_sel_hi:[1,0,0]
	v_mov_b32_e32 v13, v9
	ds_load_2addr_b64 v[8:11], v148 offset0:31 offset1:32
	v_pk_add_f32 v[128:129], v[128:129], v[12:13] neg_lo:[0,1] neg_hi:[0,1]
	s_wait_dscnt 0x0
	v_pk_mul_f32 v[12:13], v[8:9], v[6:7] op_sel:[0,1]
	s_delay_alu instid0(VALU_DEP_1) | instskip(SKIP_1) | instid1(VALU_DEP_1)
	v_pk_fma_f32 v[14:15], v[8:9], v[4:5], v[12:13] op_sel:[0,0,1] op_sel_hi:[1,1,0] neg_lo:[0,0,1] neg_hi:[0,0,1]
	v_pk_fma_f32 v[8:9], v[8:9], v[4:5], v[12:13] op_sel:[0,0,1] op_sel_hi:[1,0,0]
	v_mov_b32_e32 v15, v9
	v_pk_mul_f32 v[8:9], v[10:11], v[6:7] op_sel:[0,1]
	s_delay_alu instid0(VALU_DEP_2) | instskip(NEXT) | instid1(VALU_DEP_2)
	v_pk_add_f32 v[124:125], v[124:125], v[14:15] neg_lo:[0,1] neg_hi:[0,1]
	v_pk_fma_f32 v[12:13], v[10:11], v[4:5], v[8:9] op_sel:[0,0,1] op_sel_hi:[1,1,0] neg_lo:[0,0,1] neg_hi:[0,0,1]
	v_pk_fma_f32 v[8:9], v[10:11], v[4:5], v[8:9] op_sel:[0,0,1] op_sel_hi:[1,0,0]
	s_delay_alu instid0(VALU_DEP_1) | instskip(SKIP_4) | instid1(VALU_DEP_1)
	v_mov_b32_e32 v13, v9
	ds_load_2addr_b64 v[8:11], v148 offset0:33 offset1:34
	v_pk_add_f32 v[146:147], v[146:147], v[12:13] neg_lo:[0,1] neg_hi:[0,1]
	s_wait_dscnt 0x0
	v_pk_mul_f32 v[12:13], v[8:9], v[6:7] op_sel:[0,1]
	v_pk_fma_f32 v[14:15], v[8:9], v[4:5], v[12:13] op_sel:[0,0,1] op_sel_hi:[1,1,0] neg_lo:[0,0,1] neg_hi:[0,0,1]
	v_pk_fma_f32 v[8:9], v[8:9], v[4:5], v[12:13] op_sel:[0,0,1] op_sel_hi:[1,0,0]
	v_dual_mul_f32 v12, v11, v7 :: v_dual_mov_b32 v8, v11
	s_delay_alu instid0(VALU_DEP_2) | instskip(NEXT) | instid1(VALU_DEP_2)
	v_dual_mov_b32 v15, v9 :: v_dual_mov_b32 v9, v10
	v_pk_fma_f32 v[12:13], v[10:11], v[96:97], v[12:13] op_sel_hi:[1,1,0] neg_lo:[0,0,1] neg_hi:[0,0,1]
	v_mul_f32_e32 v10, v11, v4
	s_delay_alu instid0(VALU_DEP_3) | instskip(NEXT) | instid1(VALU_DEP_2)
	v_pk_add_f32 v[142:143], v[142:143], v[14:15] neg_lo:[0,1] neg_hi:[0,1]
	v_pk_fma_f32 v[8:9], v[8:9], v[96:97], v[10:11] op_sel_hi:[1,1,0]
	s_delay_alu instid0(VALU_DEP_1) | instskip(SKIP_4) | instid1(VALU_DEP_1)
	v_mov_b32_e32 v13, v9
	ds_load_2addr_b64 v[8:11], v148 offset0:35 offset1:36
	v_pk_add_f32 v[144:145], v[144:145], v[12:13] neg_lo:[0,1] neg_hi:[0,1]
	s_wait_dscnt 0x0
	v_pk_mul_f32 v[12:13], v[8:9], v[6:7] op_sel:[0,1]
	v_pk_fma_f32 v[14:15], v[8:9], v[4:5], v[12:13] op_sel:[0,0,1] op_sel_hi:[1,1,0] neg_lo:[0,0,1] neg_hi:[0,0,1]
	v_pk_fma_f32 v[8:9], v[8:9], v[4:5], v[12:13] op_sel:[0,0,1] op_sel_hi:[1,0,0]
	s_delay_alu instid0(VALU_DEP_1) | instskip(SKIP_1) | instid1(VALU_DEP_1)
	v_mov_b32_e32 v15, v9
	v_pk_mul_f32 v[8:9], v[10:11], v[6:7] op_sel:[0,1]
	v_pk_fma_f32 v[12:13], v[10:11], v[4:5], v[8:9] op_sel:[0,0,1] op_sel_hi:[1,1,0] neg_lo:[0,0,1] neg_hi:[0,0,1]
	v_pk_fma_f32 v[8:9], v[10:11], v[4:5], v[8:9] op_sel:[0,0,1] op_sel_hi:[1,0,0]
	s_delay_alu instid0(VALU_DEP_1)
	v_mov_b32_e32 v13, v9
	ds_load_2addr_b64 v[8:11], v148 offset0:37 offset1:38
	v_pk_add_f32 v[140:141], v[140:141], v[14:15] neg_lo:[0,1] neg_hi:[0,1]
	v_pk_add_f32 v[162:163], v[162:163], v[12:13] neg_lo:[0,1] neg_hi:[0,1]
	s_wait_dscnt 0x0
	v_pk_mul_f32 v[12:13], v[8:9], v[6:7] op_sel:[0,1]
	s_delay_alu instid0(VALU_DEP_1) | instskip(SKIP_1) | instid1(VALU_DEP_1)
	v_pk_fma_f32 v[14:15], v[8:9], v[4:5], v[12:13] op_sel:[0,0,1] op_sel_hi:[1,1,0] neg_lo:[0,0,1] neg_hi:[0,0,1]
	v_pk_fma_f32 v[8:9], v[8:9], v[4:5], v[12:13] op_sel:[0,0,1] op_sel_hi:[1,0,0]
	v_mov_b32_e32 v15, v9
	v_pk_mul_f32 v[8:9], v[10:11], v[6:7] op_sel:[0,1]
	s_delay_alu instid0(VALU_DEP_1) | instskip(SKIP_1) | instid1(VALU_DEP_1)
	v_pk_fma_f32 v[12:13], v[10:11], v[4:5], v[8:9] op_sel:[0,0,1] op_sel_hi:[1,1,0] neg_lo:[0,0,1] neg_hi:[0,0,1]
	v_pk_fma_f32 v[8:9], v[10:11], v[4:5], v[8:9] op_sel:[0,0,1] op_sel_hi:[1,0,0]
	v_mov_b32_e32 v13, v9
	ds_load_2addr_b64 v[8:11], v148 offset0:39 offset1:40
	v_pk_add_f32 v[158:159], v[158:159], v[14:15] neg_lo:[0,1] neg_hi:[0,1]
	v_pk_add_f32 v[160:161], v[160:161], v[12:13] neg_lo:[0,1] neg_hi:[0,1]
	s_wait_dscnt 0x0
	v_dual_mul_f32 v12, v9, v7 :: v_dual_mul_f32 v14, v9, v4
	s_delay_alu instid0(VALU_DEP_1) | instskip(NEXT) | instid1(VALU_DEP_2)
	v_pk_fma_f32 v[12:13], v[8:9], v[96:97], v[12:13] op_sel_hi:[1,1,0] neg_lo:[0,0,1] neg_hi:[0,0,1]
	v_pk_fma_f32 v[8:9], v[8:9], v[96:97], v[14:15] op_sel:[1,0,0] op_sel_hi:[0,1,0]
	s_delay_alu instid0(VALU_DEP_1) | instskip(SKIP_1) | instid1(VALU_DEP_2)
	v_mov_b32_e32 v13, v9
	v_pk_mul_f32 v[8:9], v[10:11], v[6:7] op_sel:[0,1]
	v_pk_add_f32 v[156:157], v[156:157], v[12:13] neg_lo:[0,1] neg_hi:[0,1]
	s_delay_alu instid0(VALU_DEP_2) | instskip(SKIP_1) | instid1(VALU_DEP_1)
	v_pk_fma_f32 v[12:13], v[10:11], v[4:5], v[8:9] op_sel:[0,0,1] op_sel_hi:[1,1,0] neg_lo:[0,0,1] neg_hi:[0,0,1]
	v_pk_fma_f32 v[8:9], v[10:11], v[4:5], v[8:9] op_sel:[0,0,1] op_sel_hi:[1,0,0]
	v_mov_b32_e32 v13, v9
	ds_load_2addr_b64 v[8:11], v148 offset0:41 offset1:42
	v_pk_add_f32 v[178:179], v[178:179], v[12:13] neg_lo:[0,1] neg_hi:[0,1]
	s_wait_dscnt 0x0
	v_pk_mul_f32 v[12:13], v[8:9], v[6:7] op_sel:[0,1]
	s_delay_alu instid0(VALU_DEP_1) | instskip(SKIP_1) | instid1(VALU_DEP_1)
	v_pk_fma_f32 v[14:15], v[8:9], v[4:5], v[12:13] op_sel:[0,0,1] op_sel_hi:[1,1,0] neg_lo:[0,0,1] neg_hi:[0,0,1]
	v_pk_fma_f32 v[8:9], v[8:9], v[4:5], v[12:13] op_sel:[0,0,1] op_sel_hi:[1,0,0]
	v_mov_b32_e32 v15, v9
	v_pk_mul_f32 v[8:9], v[10:11], v[6:7] op_sel:[0,1]
	s_delay_alu instid0(VALU_DEP_2) | instskip(NEXT) | instid1(VALU_DEP_2)
	v_pk_add_f32 v[174:175], v[174:175], v[14:15] neg_lo:[0,1] neg_hi:[0,1]
	v_pk_fma_f32 v[12:13], v[10:11], v[4:5], v[8:9] op_sel:[0,0,1] op_sel_hi:[1,1,0] neg_lo:[0,0,1] neg_hi:[0,0,1]
	v_pk_fma_f32 v[8:9], v[10:11], v[4:5], v[8:9] op_sel:[0,0,1] op_sel_hi:[1,0,0]
	s_delay_alu instid0(VALU_DEP_1) | instskip(SKIP_4) | instid1(VALU_DEP_1)
	v_mov_b32_e32 v13, v9
	ds_load_2addr_b64 v[8:11], v148 offset0:43 offset1:44
	v_pk_add_f32 v[176:177], v[176:177], v[12:13] neg_lo:[0,1] neg_hi:[0,1]
	s_wait_dscnt 0x0
	v_pk_mul_f32 v[12:13], v[8:9], v[6:7] op_sel:[0,1]
	v_pk_fma_f32 v[14:15], v[8:9], v[4:5], v[12:13] op_sel:[0,0,1] op_sel_hi:[1,1,0] neg_lo:[0,0,1] neg_hi:[0,0,1]
	v_pk_fma_f32 v[8:9], v[8:9], v[4:5], v[12:13] op_sel:[0,0,1] op_sel_hi:[1,0,0]
	v_dual_mul_f32 v12, v11, v7 :: v_dual_mov_b32 v8, v11
	s_delay_alu instid0(VALU_DEP_2) | instskip(NEXT) | instid1(VALU_DEP_2)
	v_dual_mov_b32 v15, v9 :: v_dual_mov_b32 v9, v10
	v_pk_fma_f32 v[12:13], v[10:11], v[96:97], v[12:13] op_sel_hi:[1,1,0] neg_lo:[0,0,1] neg_hi:[0,0,1]
	v_mul_f32_e32 v10, v11, v4
	s_delay_alu instid0(VALU_DEP_3) | instskip(NEXT) | instid1(VALU_DEP_2)
	v_pk_add_f32 v[172:173], v[172:173], v[14:15] neg_lo:[0,1] neg_hi:[0,1]
	v_pk_fma_f32 v[8:9], v[8:9], v[96:97], v[10:11] op_sel_hi:[1,1,0]
	s_delay_alu instid0(VALU_DEP_1) | instskip(SKIP_4) | instid1(VALU_DEP_1)
	v_mov_b32_e32 v13, v9
	ds_load_2addr_b64 v[8:11], v148 offset0:45 offset1:46
	v_pk_add_f32 v[196:197], v[196:197], v[12:13] neg_lo:[0,1] neg_hi:[0,1]
	s_wait_dscnt 0x0
	v_pk_mul_f32 v[12:13], v[8:9], v[6:7] op_sel:[0,1]
	v_pk_fma_f32 v[14:15], v[8:9], v[4:5], v[12:13] op_sel:[0,0,1] op_sel_hi:[1,1,0] neg_lo:[0,0,1] neg_hi:[0,0,1]
	v_pk_fma_f32 v[8:9], v[8:9], v[4:5], v[12:13] op_sel:[0,0,1] op_sel_hi:[1,0,0]
	s_delay_alu instid0(VALU_DEP_1) | instskip(SKIP_1) | instid1(VALU_DEP_1)
	v_mov_b32_e32 v15, v9
	v_pk_mul_f32 v[8:9], v[10:11], v[6:7] op_sel:[0,1]
	v_pk_fma_f32 v[12:13], v[10:11], v[4:5], v[8:9] op_sel:[0,0,1] op_sel_hi:[1,1,0] neg_lo:[0,0,1] neg_hi:[0,0,1]
	v_pk_fma_f32 v[8:9], v[10:11], v[4:5], v[8:9] op_sel:[0,0,1] op_sel_hi:[1,0,0]
	s_delay_alu instid0(VALU_DEP_1)
	v_mov_b32_e32 v13, v9
	ds_load_2addr_b64 v[8:11], v148 offset0:47 offset1:48
	v_pk_add_f32 v[192:193], v[192:193], v[14:15] neg_lo:[0,1] neg_hi:[0,1]
	v_pk_add_f32 v[194:195], v[194:195], v[12:13] neg_lo:[0,1] neg_hi:[0,1]
	s_wait_dscnt 0x0
	v_pk_mul_f32 v[12:13], v[8:9], v[6:7] op_sel:[0,1]
	s_delay_alu instid0(VALU_DEP_1) | instskip(SKIP_1) | instid1(VALU_DEP_1)
	v_pk_fma_f32 v[14:15], v[8:9], v[4:5], v[12:13] op_sel:[0,0,1] op_sel_hi:[1,1,0] neg_lo:[0,0,1] neg_hi:[0,0,1]
	v_pk_fma_f32 v[8:9], v[8:9], v[4:5], v[12:13] op_sel:[0,0,1] op_sel_hi:[1,0,0]
	v_mov_b32_e32 v15, v9
	v_pk_mul_f32 v[8:9], v[10:11], v[6:7] op_sel:[0,1]
	s_delay_alu instid0(VALU_DEP_1) | instskip(SKIP_1) | instid1(VALU_DEP_1)
	v_pk_fma_f32 v[12:13], v[10:11], v[4:5], v[8:9] op_sel:[0,0,1] op_sel_hi:[1,1,0] neg_lo:[0,0,1] neg_hi:[0,0,1]
	v_pk_fma_f32 v[8:9], v[10:11], v[4:5], v[8:9] op_sel:[0,0,1] op_sel_hi:[1,0,0]
	v_mov_b32_e32 v13, v9
	ds_load_2addr_b64 v[8:11], v148 offset0:49 offset1:50
	v_pk_add_f32 v[190:191], v[190:191], v[14:15] neg_lo:[0,1] neg_hi:[0,1]
	v_pk_add_f32 v[212:213], v[212:213], v[12:13] neg_lo:[0,1] neg_hi:[0,1]
	s_wait_dscnt 0x0
	v_dual_mul_f32 v12, v9, v7 :: v_dual_mul_f32 v14, v9, v4
	s_delay_alu instid0(VALU_DEP_1) | instskip(NEXT) | instid1(VALU_DEP_2)
	v_pk_fma_f32 v[12:13], v[8:9], v[96:97], v[12:13] op_sel_hi:[1,1,0] neg_lo:[0,0,1] neg_hi:[0,0,1]
	v_pk_fma_f32 v[8:9], v[8:9], v[96:97], v[14:15] op_sel:[1,0,0] op_sel_hi:[0,1,0]
	s_delay_alu instid0(VALU_DEP_1) | instskip(SKIP_1) | instid1(VALU_DEP_2)
	v_mov_b32_e32 v13, v9
	v_pk_mul_f32 v[8:9], v[10:11], v[6:7] op_sel:[0,1]
	v_pk_add_f32 v[208:209], v[208:209], v[12:13] neg_lo:[0,1] neg_hi:[0,1]
	s_delay_alu instid0(VALU_DEP_2) | instskip(SKIP_1) | instid1(VALU_DEP_1)
	v_pk_fma_f32 v[12:13], v[10:11], v[4:5], v[8:9] op_sel:[0,0,1] op_sel_hi:[1,1,0] neg_lo:[0,0,1] neg_hi:[0,0,1]
	v_pk_fma_f32 v[8:9], v[10:11], v[4:5], v[8:9] op_sel:[0,0,1] op_sel_hi:[1,0,0]
	v_mov_b32_e32 v13, v9
	ds_load_2addr_b64 v[8:11], v148 offset0:51 offset1:52
	v_pk_add_f32 v[210:211], v[210:211], v[12:13] neg_lo:[0,1] neg_hi:[0,1]
	s_wait_dscnt 0x0
	v_pk_mul_f32 v[12:13], v[8:9], v[6:7] op_sel:[0,1]
	s_delay_alu instid0(VALU_DEP_1) | instskip(SKIP_1) | instid1(VALU_DEP_1)
	v_pk_fma_f32 v[14:15], v[8:9], v[4:5], v[12:13] op_sel:[0,0,1] op_sel_hi:[1,1,0] neg_lo:[0,0,1] neg_hi:[0,0,1]
	v_pk_fma_f32 v[8:9], v[8:9], v[4:5], v[12:13] op_sel:[0,0,1] op_sel_hi:[1,0,0]
	v_mov_b32_e32 v15, v9
	v_pk_mul_f32 v[8:9], v[10:11], v[6:7] op_sel:[0,1]
	s_delay_alu instid0(VALU_DEP_2) | instskip(NEXT) | instid1(VALU_DEP_2)
	v_pk_add_f32 v[206:207], v[206:207], v[14:15] neg_lo:[0,1] neg_hi:[0,1]
	v_pk_fma_f32 v[12:13], v[10:11], v[4:5], v[8:9] op_sel:[0,0,1] op_sel_hi:[1,1,0] neg_lo:[0,0,1] neg_hi:[0,0,1]
	v_pk_fma_f32 v[8:9], v[10:11], v[4:5], v[8:9] op_sel:[0,0,1] op_sel_hi:[1,0,0]
	s_delay_alu instid0(VALU_DEP_1) | instskip(SKIP_4) | instid1(VALU_DEP_1)
	v_mov_b32_e32 v13, v9
	ds_load_b64 v[8:9], v148 offset:424
	v_pk_add_f32 v[214:215], v[214:215], v[12:13] neg_lo:[0,1] neg_hi:[0,1]
	s_wait_dscnt 0x0
	v_pk_mul_f32 v[6:7], v[8:9], v[6:7] op_sel:[0,1]
	v_pk_fma_f32 v[10:11], v[8:9], v[4:5], v[6:7] op_sel:[0,0,1] op_sel_hi:[1,1,0] neg_lo:[0,0,1] neg_hi:[0,0,1]
	v_pk_fma_f32 v[4:5], v[8:9], v[4:5], v[6:7] op_sel:[0,0,1] op_sel_hi:[1,0,0]
	s_delay_alu instid0(VALU_DEP_1) | instskip(NEXT) | instid1(VALU_DEP_1)
	v_mov_b32_e32 v11, v5
	v_pk_add_f32 v[216:217], v[216:217], v[10:11] neg_lo:[0,1] neg_hi:[0,1]
.LBB107_190:
	s_or_b32 exec_lo, exec_lo, s1
	s_delay_alu instid0(SALU_CYCLE_1)
	s_mov_b32 s2, exec_lo
	s_wait_dscnt 0x0
	s_barrier_signal -1
	s_barrier_wait -1
	v_cmpx_eq_u32_e32 21, v138
	s_cbranch_execz .LBB107_197
; %bb.191:
	v_dual_mov_b32 v4, v94 :: v_dual_mov_b32 v5, v95
	v_dual_mov_b32 v6, v90 :: v_dual_mov_b32 v7, v91
	ds_store_b64 v139, v[92:93]
	ds_store_2addr_b64 v148, v[4:5], v[6:7] offset0:22 offset1:23
	v_dual_mov_b32 v4, v112 :: v_dual_mov_b32 v5, v113
	v_dual_mov_b32 v6, v108 :: v_dual_mov_b32 v7, v109
	ds_store_2addr_b64 v148, v[4:5], v[6:7] offset0:24 offset1:25
	v_dual_mov_b32 v4, v110 :: v_dual_mov_b32 v5, v111
	v_dual_mov_b32 v6, v106 :: v_dual_mov_b32 v7, v107
	;; [unrolled: 3-line block ×14, first 2 shown]
	ds_store_2addr_b64 v148, v[4:5], v[6:7] offset0:50 offset1:51
	v_dual_mov_b32 v4, v214 :: v_dual_mov_b32 v5, v215
	ds_store_2addr_b64 v148, v[4:5], v[216:217] offset0:52 offset1:53
	ds_load_b64 v[4:5], v139
	s_wait_dscnt 0x0
	v_cmp_neq_f32_e32 vcc_lo, 0, v4
	v_cmp_neq_f32_e64 s1, 0, v5
	s_or_b32 s1, vcc_lo, s1
	s_delay_alu instid0(SALU_CYCLE_1)
	s_and_b32 exec_lo, exec_lo, s1
	s_cbranch_execz .LBB107_197
; %bb.192:
	v_cmp_ngt_f32_e64 s1, |v4|, |v5|
                                        ; implicit-def: $vgpr6_vgpr7
	s_and_saveexec_b32 s4, s1
	s_delay_alu instid0(SALU_CYCLE_1)
	s_xor_b32 s1, exec_lo, s4
	s_cbranch_execz .LBB107_194
; %bb.193:
	v_div_scale_f32 v6, null, v5, v5, v4
	v_div_scale_f32 v9, vcc_lo, v4, v5, v4
	s_delay_alu instid0(VALU_DEP_2) | instskip(SKIP_1) | instid1(TRANS32_DEP_1)
	v_rcp_f32_e32 v7, v6
	v_nop
	v_fma_f32 v8, -v6, v7, 1.0
	s_delay_alu instid0(VALU_DEP_1) | instskip(NEXT) | instid1(VALU_DEP_1)
	v_fmac_f32_e32 v7, v8, v7
	v_mul_f32_e32 v8, v9, v7
	s_delay_alu instid0(VALU_DEP_1) | instskip(NEXT) | instid1(VALU_DEP_1)
	v_fma_f32 v10, -v6, v8, v9
	v_fmac_f32_e32 v8, v10, v7
	s_delay_alu instid0(VALU_DEP_1) | instskip(NEXT) | instid1(VALU_DEP_1)
	v_fma_f32 v6, -v6, v8, v9
	v_div_fmas_f32 v6, v6, v7, v8
	s_delay_alu instid0(VALU_DEP_1) | instskip(NEXT) | instid1(VALU_DEP_1)
	v_div_fixup_f32 v6, v6, v5, v4
	v_fmac_f32_e32 v5, v4, v6
	s_delay_alu instid0(VALU_DEP_1) | instskip(SKIP_1) | instid1(VALU_DEP_2)
	v_div_scale_f32 v4, null, v5, v5, 1.0
	v_div_scale_f32 v9, vcc_lo, 1.0, v5, 1.0
	v_rcp_f32_e32 v7, v4
	v_nop
	s_delay_alu instid0(TRANS32_DEP_1) | instskip(NEXT) | instid1(VALU_DEP_1)
	v_fma_f32 v8, -v4, v7, 1.0
	v_fmac_f32_e32 v7, v8, v7
	s_delay_alu instid0(VALU_DEP_1) | instskip(NEXT) | instid1(VALU_DEP_1)
	v_mul_f32_e32 v8, v9, v7
	v_fma_f32 v10, -v4, v8, v9
	s_delay_alu instid0(VALU_DEP_1) | instskip(NEXT) | instid1(VALU_DEP_1)
	v_fmac_f32_e32 v8, v10, v7
	v_fma_f32 v4, -v4, v8, v9
	s_delay_alu instid0(VALU_DEP_1) | instskip(NEXT) | instid1(VALU_DEP_1)
	v_div_fmas_f32 v4, v4, v7, v8
	v_div_fixup_f32 v4, v4, v5, 1.0
	s_delay_alu instid0(VALU_DEP_1)
	v_mul_f32_e32 v6, v6, v4
	v_xor_b32_e32 v7, 0x80000000, v4
                                        ; implicit-def: $vgpr4_vgpr5
.LBB107_194:
	s_and_not1_saveexec_b32 s1, s1
	s_cbranch_execz .LBB107_196
; %bb.195:
	v_div_scale_f32 v6, null, v4, v4, v5
	v_div_scale_f32 v9, vcc_lo, v5, v4, v5
	s_delay_alu instid0(VALU_DEP_2) | instskip(SKIP_1) | instid1(TRANS32_DEP_1)
	v_rcp_f32_e32 v7, v6
	v_nop
	v_fma_f32 v8, -v6, v7, 1.0
	s_delay_alu instid0(VALU_DEP_1) | instskip(NEXT) | instid1(VALU_DEP_1)
	v_fmac_f32_e32 v7, v8, v7
	v_mul_f32_e32 v8, v9, v7
	s_delay_alu instid0(VALU_DEP_1) | instskip(NEXT) | instid1(VALU_DEP_1)
	v_fma_f32 v10, -v6, v8, v9
	v_fmac_f32_e32 v8, v10, v7
	s_delay_alu instid0(VALU_DEP_1) | instskip(NEXT) | instid1(VALU_DEP_1)
	v_fma_f32 v6, -v6, v8, v9
	v_div_fmas_f32 v6, v6, v7, v8
	s_delay_alu instid0(VALU_DEP_1) | instskip(NEXT) | instid1(VALU_DEP_1)
	v_div_fixup_f32 v7, v6, v4, v5
	v_fmac_f32_e32 v4, v5, v7
	s_delay_alu instid0(VALU_DEP_1) | instskip(NEXT) | instid1(VALU_DEP_1)
	v_div_scale_f32 v5, null, v4, v4, 1.0
	v_rcp_f32_e32 v6, v5
	v_nop
	s_delay_alu instid0(TRANS32_DEP_1) | instskip(NEXT) | instid1(VALU_DEP_1)
	v_fma_f32 v8, -v5, v6, 1.0
	v_fmac_f32_e32 v6, v8, v6
	v_div_scale_f32 v8, vcc_lo, 1.0, v4, 1.0
	s_delay_alu instid0(VALU_DEP_1) | instskip(NEXT) | instid1(VALU_DEP_1)
	v_mul_f32_e32 v9, v8, v6
	v_fma_f32 v10, -v5, v9, v8
	s_delay_alu instid0(VALU_DEP_1) | instskip(NEXT) | instid1(VALU_DEP_1)
	v_fmac_f32_e32 v9, v10, v6
	v_fma_f32 v5, -v5, v9, v8
	s_delay_alu instid0(VALU_DEP_1) | instskip(NEXT) | instid1(VALU_DEP_1)
	v_div_fmas_f32 v5, v5, v6, v9
	v_div_fixup_f32 v6, v5, v4, 1.0
	s_delay_alu instid0(VALU_DEP_1)
	v_mul_f32_e64 v7, v7, -v6
.LBB107_196:
	s_or_b32 exec_lo, exec_lo, s1
	ds_store_b64 v139, v[6:7]
.LBB107_197:
	s_or_b32 exec_lo, exec_lo, s2
	s_wait_dscnt 0x0
	s_barrier_signal -1
	s_barrier_wait -1
	ds_load_b64 v[4:5], v139
	s_mov_b32 s1, exec_lo
	v_cmpx_lt_u32_e32 21, v138
	s_cbranch_execz .LBB107_199
; %bb.198:
	ds_load_2addr_b64 v[10:13], v148 offset0:22 offset1:23
	s_wait_dscnt 0x1
	v_pk_mul_f32 v[8:9], v[4:5], v[92:93] op_sel:[1,1] op_sel_hi:[0,1]
	s_delay_alu instid0(VALU_DEP_1) | instskip(SKIP_1) | instid1(VALU_DEP_1)
	v_pk_fma_f32 v[6:7], v[4:5], v[92:93], v[8:9] op_sel_hi:[1,0,1] neg_lo:[0,0,1] neg_hi:[0,0,1]
	v_pk_fma_f32 v[8:9], v[4:5], v[92:93], v[8:9] op_sel_hi:[1,0,1]
	v_dual_mov_b32 v92, v6 :: v_dual_mov_b32 v93, v9
	s_wait_dscnt 0x0
	s_delay_alu instid0(VALU_DEP_2) | instskip(NEXT) | instid1(VALU_DEP_1)
	v_pk_mul_f32 v[14:15], v[10:11], v[8:9] op_sel:[0,1]
	v_pk_fma_f32 v[18:19], v[10:11], v[6:7], v[14:15] op_sel:[0,0,1] op_sel_hi:[1,1,0] neg_lo:[0,0,1] neg_hi:[0,0,1]
	v_pk_fma_f32 v[10:11], v[10:11], v[6:7], v[14:15] op_sel:[0,0,1] op_sel_hi:[1,0,0]
	s_delay_alu instid0(VALU_DEP_1) | instskip(SKIP_1) | instid1(VALU_DEP_1)
	v_mov_b32_e32 v19, v11
	v_pk_mul_f32 v[10:11], v[12:13], v[8:9] op_sel:[0,1]
	v_pk_fma_f32 v[14:15], v[12:13], v[6:7], v[10:11] op_sel:[0,0,1] op_sel_hi:[1,1,0] neg_lo:[0,0,1] neg_hi:[0,0,1]
	v_pk_fma_f32 v[10:11], v[12:13], v[6:7], v[10:11] op_sel:[0,0,1] op_sel_hi:[1,0,0]
	s_delay_alu instid0(VALU_DEP_1)
	v_mov_b32_e32 v15, v11
	ds_load_2addr_b64 v[10:13], v148 offset0:24 offset1:25
	v_pk_add_f32 v[94:95], v[94:95], v[18:19] neg_lo:[0,1] neg_hi:[0,1]
	v_pk_add_f32 v[90:91], v[90:91], v[14:15] neg_lo:[0,1] neg_hi:[0,1]
	s_wait_dscnt 0x0
	v_pk_mul_f32 v[14:15], v[10:11], v[8:9] op_sel:[0,1]
	s_delay_alu instid0(VALU_DEP_1) | instskip(SKIP_2) | instid1(VALU_DEP_2)
	v_pk_fma_f32 v[18:19], v[10:11], v[6:7], v[14:15] op_sel:[0,0,1] op_sel_hi:[1,1,0] neg_lo:[0,0,1] neg_hi:[0,0,1]
	v_pk_fma_f32 v[10:11], v[10:11], v[6:7], v[14:15] op_sel:[0,0,1] op_sel_hi:[1,0,0]
	v_dual_mul_f32 v14, v13, v9 :: v_dual_mov_b32 v10, v13
	v_dual_mov_b32 v19, v11 :: v_dual_mov_b32 v11, v12
	s_delay_alu instid0(VALU_DEP_2) | instskip(SKIP_1) | instid1(VALU_DEP_3)
	v_pk_fma_f32 v[14:15], v[12:13], v[92:93], v[14:15] op_sel_hi:[1,1,0] neg_lo:[0,0,1] neg_hi:[0,0,1]
	v_mul_f32_e32 v12, v13, v6
	v_pk_add_f32 v[112:113], v[112:113], v[18:19] neg_lo:[0,1] neg_hi:[0,1]
	s_delay_alu instid0(VALU_DEP_2) | instskip(NEXT) | instid1(VALU_DEP_1)
	v_pk_fma_f32 v[10:11], v[10:11], v[92:93], v[12:13] op_sel_hi:[1,1,0]
	v_mov_b32_e32 v15, v11
	ds_load_2addr_b64 v[10:13], v148 offset0:26 offset1:27
	v_pk_add_f32 v[108:109], v[108:109], v[14:15] neg_lo:[0,1] neg_hi:[0,1]
	s_wait_dscnt 0x0
	v_pk_mul_f32 v[14:15], v[10:11], v[8:9] op_sel:[0,1]
	s_delay_alu instid0(VALU_DEP_1) | instskip(SKIP_1) | instid1(VALU_DEP_1)
	v_pk_fma_f32 v[18:19], v[10:11], v[6:7], v[14:15] op_sel:[0,0,1] op_sel_hi:[1,1,0] neg_lo:[0,0,1] neg_hi:[0,0,1]
	v_pk_fma_f32 v[10:11], v[10:11], v[6:7], v[14:15] op_sel:[0,0,1] op_sel_hi:[1,0,0]
	v_mov_b32_e32 v19, v11
	v_pk_mul_f32 v[10:11], v[12:13], v[8:9] op_sel:[0,1]
	s_delay_alu instid0(VALU_DEP_1) | instskip(SKIP_1) | instid1(VALU_DEP_1)
	v_pk_fma_f32 v[14:15], v[12:13], v[6:7], v[10:11] op_sel:[0,0,1] op_sel_hi:[1,1,0] neg_lo:[0,0,1] neg_hi:[0,0,1]
	v_pk_fma_f32 v[10:11], v[12:13], v[6:7], v[10:11] op_sel:[0,0,1] op_sel_hi:[1,0,0]
	v_mov_b32_e32 v15, v11
	ds_load_2addr_b64 v[10:13], v148 offset0:28 offset1:29
	v_pk_add_f32 v[110:111], v[110:111], v[18:19] neg_lo:[0,1] neg_hi:[0,1]
	v_pk_add_f32 v[106:107], v[106:107], v[14:15] neg_lo:[0,1] neg_hi:[0,1]
	s_wait_dscnt 0x0
	v_pk_mul_f32 v[14:15], v[10:11], v[8:9] op_sel:[0,1]
	s_delay_alu instid0(VALU_DEP_1) | instskip(SKIP_1) | instid1(VALU_DEP_1)
	v_pk_fma_f32 v[18:19], v[10:11], v[6:7], v[14:15] op_sel:[0,0,1] op_sel_hi:[1,1,0] neg_lo:[0,0,1] neg_hi:[0,0,1]
	v_pk_fma_f32 v[10:11], v[10:11], v[6:7], v[14:15] op_sel:[0,0,1] op_sel_hi:[1,0,0]
	v_mov_b32_e32 v19, v11
	v_pk_mul_f32 v[10:11], v[12:13], v[8:9] op_sel:[0,1]
	s_delay_alu instid0(VALU_DEP_1) | instskip(SKIP_1) | instid1(VALU_DEP_1)
	v_pk_fma_f32 v[14:15], v[12:13], v[6:7], v[10:11] op_sel:[0,0,1] op_sel_hi:[1,1,0] neg_lo:[0,0,1] neg_hi:[0,0,1]
	v_pk_fma_f32 v[10:11], v[12:13], v[6:7], v[10:11] op_sel:[0,0,1] op_sel_hi:[1,0,0]
	v_mov_b32_e32 v15, v11
	ds_load_2addr_b64 v[10:13], v148 offset0:30 offset1:31
	v_pk_add_f32 v[130:131], v[130:131], v[18:19] neg_lo:[0,1] neg_hi:[0,1]
	v_pk_add_f32 v[126:127], v[126:127], v[14:15] neg_lo:[0,1] neg_hi:[0,1]
	s_wait_dscnt 0x0
	v_dual_mul_f32 v14, v11, v9 :: v_dual_mul_f32 v18, v11, v6
	s_delay_alu instid0(VALU_DEP_1) | instskip(NEXT) | instid1(VALU_DEP_2)
	v_pk_fma_f32 v[14:15], v[10:11], v[92:93], v[14:15] op_sel_hi:[1,1,0] neg_lo:[0,0,1] neg_hi:[0,0,1]
	v_pk_fma_f32 v[10:11], v[10:11], v[92:93], v[18:19] op_sel:[1,0,0] op_sel_hi:[0,1,0]
	s_delay_alu instid0(VALU_DEP_1) | instskip(SKIP_1) | instid1(VALU_DEP_2)
	v_mov_b32_e32 v15, v11
	v_pk_mul_f32 v[10:11], v[12:13], v[8:9] op_sel:[0,1]
	v_pk_add_f32 v[128:129], v[128:129], v[14:15] neg_lo:[0,1] neg_hi:[0,1]
	s_delay_alu instid0(VALU_DEP_2) | instskip(SKIP_1) | instid1(VALU_DEP_1)
	v_pk_fma_f32 v[14:15], v[12:13], v[6:7], v[10:11] op_sel:[0,0,1] op_sel_hi:[1,1,0] neg_lo:[0,0,1] neg_hi:[0,0,1]
	v_pk_fma_f32 v[10:11], v[12:13], v[6:7], v[10:11] op_sel:[0,0,1] op_sel_hi:[1,0,0]
	v_mov_b32_e32 v15, v11
	ds_load_2addr_b64 v[10:13], v148 offset0:32 offset1:33
	v_pk_add_f32 v[124:125], v[124:125], v[14:15] neg_lo:[0,1] neg_hi:[0,1]
	s_wait_dscnt 0x0
	v_pk_mul_f32 v[14:15], v[10:11], v[8:9] op_sel:[0,1]
	s_delay_alu instid0(VALU_DEP_1) | instskip(SKIP_1) | instid1(VALU_DEP_1)
	v_pk_fma_f32 v[18:19], v[10:11], v[6:7], v[14:15] op_sel:[0,0,1] op_sel_hi:[1,1,0] neg_lo:[0,0,1] neg_hi:[0,0,1]
	v_pk_fma_f32 v[10:11], v[10:11], v[6:7], v[14:15] op_sel:[0,0,1] op_sel_hi:[1,0,0]
	v_mov_b32_e32 v19, v11
	v_pk_mul_f32 v[10:11], v[12:13], v[8:9] op_sel:[0,1]
	s_delay_alu instid0(VALU_DEP_2) | instskip(NEXT) | instid1(VALU_DEP_2)
	v_pk_add_f32 v[146:147], v[146:147], v[18:19] neg_lo:[0,1] neg_hi:[0,1]
	v_pk_fma_f32 v[14:15], v[12:13], v[6:7], v[10:11] op_sel:[0,0,1] op_sel_hi:[1,1,0] neg_lo:[0,0,1] neg_hi:[0,0,1]
	v_pk_fma_f32 v[10:11], v[12:13], v[6:7], v[10:11] op_sel:[0,0,1] op_sel_hi:[1,0,0]
	s_delay_alu instid0(VALU_DEP_1) | instskip(SKIP_4) | instid1(VALU_DEP_1)
	v_mov_b32_e32 v15, v11
	ds_load_2addr_b64 v[10:13], v148 offset0:34 offset1:35
	v_pk_add_f32 v[142:143], v[142:143], v[14:15] neg_lo:[0,1] neg_hi:[0,1]
	s_wait_dscnt 0x0
	v_pk_mul_f32 v[14:15], v[10:11], v[8:9] op_sel:[0,1]
	v_pk_fma_f32 v[18:19], v[10:11], v[6:7], v[14:15] op_sel:[0,0,1] op_sel_hi:[1,1,0] neg_lo:[0,0,1] neg_hi:[0,0,1]
	v_pk_fma_f32 v[10:11], v[10:11], v[6:7], v[14:15] op_sel:[0,0,1] op_sel_hi:[1,0,0]
	v_dual_mul_f32 v14, v13, v9 :: v_dual_mov_b32 v10, v13
	s_delay_alu instid0(VALU_DEP_2) | instskip(NEXT) | instid1(VALU_DEP_2)
	v_dual_mov_b32 v19, v11 :: v_dual_mov_b32 v11, v12
	v_pk_fma_f32 v[14:15], v[12:13], v[92:93], v[14:15] op_sel_hi:[1,1,0] neg_lo:[0,0,1] neg_hi:[0,0,1]
	v_mul_f32_e32 v12, v13, v6
	s_delay_alu instid0(VALU_DEP_3) | instskip(NEXT) | instid1(VALU_DEP_2)
	v_pk_add_f32 v[144:145], v[144:145], v[18:19] neg_lo:[0,1] neg_hi:[0,1]
	v_pk_fma_f32 v[10:11], v[10:11], v[92:93], v[12:13] op_sel_hi:[1,1,0]
	s_delay_alu instid0(VALU_DEP_1) | instskip(SKIP_4) | instid1(VALU_DEP_1)
	v_mov_b32_e32 v15, v11
	ds_load_2addr_b64 v[10:13], v148 offset0:36 offset1:37
	v_pk_add_f32 v[140:141], v[140:141], v[14:15] neg_lo:[0,1] neg_hi:[0,1]
	s_wait_dscnt 0x0
	v_pk_mul_f32 v[14:15], v[10:11], v[8:9] op_sel:[0,1]
	v_pk_fma_f32 v[18:19], v[10:11], v[6:7], v[14:15] op_sel:[0,0,1] op_sel_hi:[1,1,0] neg_lo:[0,0,1] neg_hi:[0,0,1]
	v_pk_fma_f32 v[10:11], v[10:11], v[6:7], v[14:15] op_sel:[0,0,1] op_sel_hi:[1,0,0]
	s_delay_alu instid0(VALU_DEP_1) | instskip(SKIP_1) | instid1(VALU_DEP_1)
	v_mov_b32_e32 v19, v11
	v_pk_mul_f32 v[10:11], v[12:13], v[8:9] op_sel:[0,1]
	v_pk_fma_f32 v[14:15], v[12:13], v[6:7], v[10:11] op_sel:[0,0,1] op_sel_hi:[1,1,0] neg_lo:[0,0,1] neg_hi:[0,0,1]
	v_pk_fma_f32 v[10:11], v[12:13], v[6:7], v[10:11] op_sel:[0,0,1] op_sel_hi:[1,0,0]
	s_delay_alu instid0(VALU_DEP_1)
	v_mov_b32_e32 v15, v11
	ds_load_2addr_b64 v[10:13], v148 offset0:38 offset1:39
	v_pk_add_f32 v[162:163], v[162:163], v[18:19] neg_lo:[0,1] neg_hi:[0,1]
	v_pk_add_f32 v[158:159], v[158:159], v[14:15] neg_lo:[0,1] neg_hi:[0,1]
	s_wait_dscnt 0x0
	v_pk_mul_f32 v[14:15], v[10:11], v[8:9] op_sel:[0,1]
	s_delay_alu instid0(VALU_DEP_1) | instskip(SKIP_1) | instid1(VALU_DEP_1)
	v_pk_fma_f32 v[18:19], v[10:11], v[6:7], v[14:15] op_sel:[0,0,1] op_sel_hi:[1,1,0] neg_lo:[0,0,1] neg_hi:[0,0,1]
	v_pk_fma_f32 v[10:11], v[10:11], v[6:7], v[14:15] op_sel:[0,0,1] op_sel_hi:[1,0,0]
	v_mov_b32_e32 v19, v11
	v_pk_mul_f32 v[10:11], v[12:13], v[8:9] op_sel:[0,1]
	s_delay_alu instid0(VALU_DEP_1) | instskip(SKIP_1) | instid1(VALU_DEP_1)
	v_pk_fma_f32 v[14:15], v[12:13], v[6:7], v[10:11] op_sel:[0,0,1] op_sel_hi:[1,1,0] neg_lo:[0,0,1] neg_hi:[0,0,1]
	v_pk_fma_f32 v[10:11], v[12:13], v[6:7], v[10:11] op_sel:[0,0,1] op_sel_hi:[1,0,0]
	v_mov_b32_e32 v15, v11
	ds_load_2addr_b64 v[10:13], v148 offset0:40 offset1:41
	v_pk_add_f32 v[160:161], v[160:161], v[18:19] neg_lo:[0,1] neg_hi:[0,1]
	v_pk_add_f32 v[156:157], v[156:157], v[14:15] neg_lo:[0,1] neg_hi:[0,1]
	s_wait_dscnt 0x0
	v_dual_mul_f32 v14, v11, v9 :: v_dual_mul_f32 v18, v11, v6
	s_delay_alu instid0(VALU_DEP_1) | instskip(NEXT) | instid1(VALU_DEP_2)
	v_pk_fma_f32 v[14:15], v[10:11], v[92:93], v[14:15] op_sel_hi:[1,1,0] neg_lo:[0,0,1] neg_hi:[0,0,1]
	v_pk_fma_f32 v[10:11], v[10:11], v[92:93], v[18:19] op_sel:[1,0,0] op_sel_hi:[0,1,0]
	s_delay_alu instid0(VALU_DEP_1) | instskip(SKIP_1) | instid1(VALU_DEP_2)
	v_mov_b32_e32 v15, v11
	v_pk_mul_f32 v[10:11], v[12:13], v[8:9] op_sel:[0,1]
	v_pk_add_f32 v[178:179], v[178:179], v[14:15] neg_lo:[0,1] neg_hi:[0,1]
	s_delay_alu instid0(VALU_DEP_2) | instskip(SKIP_1) | instid1(VALU_DEP_1)
	v_pk_fma_f32 v[14:15], v[12:13], v[6:7], v[10:11] op_sel:[0,0,1] op_sel_hi:[1,1,0] neg_lo:[0,0,1] neg_hi:[0,0,1]
	v_pk_fma_f32 v[10:11], v[12:13], v[6:7], v[10:11] op_sel:[0,0,1] op_sel_hi:[1,0,0]
	v_mov_b32_e32 v15, v11
	ds_load_2addr_b64 v[10:13], v148 offset0:42 offset1:43
	v_pk_add_f32 v[174:175], v[174:175], v[14:15] neg_lo:[0,1] neg_hi:[0,1]
	s_wait_dscnt 0x0
	v_pk_mul_f32 v[14:15], v[10:11], v[8:9] op_sel:[0,1]
	s_delay_alu instid0(VALU_DEP_1) | instskip(SKIP_1) | instid1(VALU_DEP_1)
	v_pk_fma_f32 v[18:19], v[10:11], v[6:7], v[14:15] op_sel:[0,0,1] op_sel_hi:[1,1,0] neg_lo:[0,0,1] neg_hi:[0,0,1]
	v_pk_fma_f32 v[10:11], v[10:11], v[6:7], v[14:15] op_sel:[0,0,1] op_sel_hi:[1,0,0]
	v_mov_b32_e32 v19, v11
	v_pk_mul_f32 v[10:11], v[12:13], v[8:9] op_sel:[0,1]
	s_delay_alu instid0(VALU_DEP_2) | instskip(NEXT) | instid1(VALU_DEP_2)
	v_pk_add_f32 v[176:177], v[176:177], v[18:19] neg_lo:[0,1] neg_hi:[0,1]
	v_pk_fma_f32 v[14:15], v[12:13], v[6:7], v[10:11] op_sel:[0,0,1] op_sel_hi:[1,1,0] neg_lo:[0,0,1] neg_hi:[0,0,1]
	v_pk_fma_f32 v[10:11], v[12:13], v[6:7], v[10:11] op_sel:[0,0,1] op_sel_hi:[1,0,0]
	s_delay_alu instid0(VALU_DEP_1) | instskip(SKIP_4) | instid1(VALU_DEP_1)
	v_mov_b32_e32 v15, v11
	ds_load_2addr_b64 v[10:13], v148 offset0:44 offset1:45
	v_pk_add_f32 v[172:173], v[172:173], v[14:15] neg_lo:[0,1] neg_hi:[0,1]
	s_wait_dscnt 0x0
	v_pk_mul_f32 v[14:15], v[10:11], v[8:9] op_sel:[0,1]
	v_pk_fma_f32 v[18:19], v[10:11], v[6:7], v[14:15] op_sel:[0,0,1] op_sel_hi:[1,1,0] neg_lo:[0,0,1] neg_hi:[0,0,1]
	v_pk_fma_f32 v[10:11], v[10:11], v[6:7], v[14:15] op_sel:[0,0,1] op_sel_hi:[1,0,0]
	v_dual_mul_f32 v14, v13, v9 :: v_dual_mov_b32 v10, v13
	s_delay_alu instid0(VALU_DEP_2) | instskip(NEXT) | instid1(VALU_DEP_2)
	v_dual_mov_b32 v19, v11 :: v_dual_mov_b32 v11, v12
	v_pk_fma_f32 v[14:15], v[12:13], v[92:93], v[14:15] op_sel_hi:[1,1,0] neg_lo:[0,0,1] neg_hi:[0,0,1]
	v_mul_f32_e32 v12, v13, v6
	s_delay_alu instid0(VALU_DEP_3) | instskip(NEXT) | instid1(VALU_DEP_2)
	v_pk_add_f32 v[196:197], v[196:197], v[18:19] neg_lo:[0,1] neg_hi:[0,1]
	v_pk_fma_f32 v[10:11], v[10:11], v[92:93], v[12:13] op_sel_hi:[1,1,0]
	s_delay_alu instid0(VALU_DEP_1) | instskip(SKIP_4) | instid1(VALU_DEP_1)
	v_mov_b32_e32 v15, v11
	ds_load_2addr_b64 v[10:13], v148 offset0:46 offset1:47
	v_pk_add_f32 v[192:193], v[192:193], v[14:15] neg_lo:[0,1] neg_hi:[0,1]
	s_wait_dscnt 0x0
	v_pk_mul_f32 v[14:15], v[10:11], v[8:9] op_sel:[0,1]
	v_pk_fma_f32 v[18:19], v[10:11], v[6:7], v[14:15] op_sel:[0,0,1] op_sel_hi:[1,1,0] neg_lo:[0,0,1] neg_hi:[0,0,1]
	v_pk_fma_f32 v[10:11], v[10:11], v[6:7], v[14:15] op_sel:[0,0,1] op_sel_hi:[1,0,0]
	s_delay_alu instid0(VALU_DEP_1) | instskip(SKIP_1) | instid1(VALU_DEP_1)
	v_mov_b32_e32 v19, v11
	v_pk_mul_f32 v[10:11], v[12:13], v[8:9] op_sel:[0,1]
	v_pk_fma_f32 v[14:15], v[12:13], v[6:7], v[10:11] op_sel:[0,0,1] op_sel_hi:[1,1,0] neg_lo:[0,0,1] neg_hi:[0,0,1]
	v_pk_fma_f32 v[10:11], v[12:13], v[6:7], v[10:11] op_sel:[0,0,1] op_sel_hi:[1,0,0]
	s_delay_alu instid0(VALU_DEP_1)
	v_mov_b32_e32 v15, v11
	ds_load_2addr_b64 v[10:13], v148 offset0:48 offset1:49
	v_pk_add_f32 v[194:195], v[194:195], v[18:19] neg_lo:[0,1] neg_hi:[0,1]
	v_pk_add_f32 v[190:191], v[190:191], v[14:15] neg_lo:[0,1] neg_hi:[0,1]
	s_wait_dscnt 0x0
	v_pk_mul_f32 v[14:15], v[10:11], v[8:9] op_sel:[0,1]
	s_delay_alu instid0(VALU_DEP_1) | instskip(SKIP_1) | instid1(VALU_DEP_1)
	v_pk_fma_f32 v[18:19], v[10:11], v[6:7], v[14:15] op_sel:[0,0,1] op_sel_hi:[1,1,0] neg_lo:[0,0,1] neg_hi:[0,0,1]
	v_pk_fma_f32 v[10:11], v[10:11], v[6:7], v[14:15] op_sel:[0,0,1] op_sel_hi:[1,0,0]
	v_mov_b32_e32 v19, v11
	v_pk_mul_f32 v[10:11], v[12:13], v[8:9] op_sel:[0,1]
	s_delay_alu instid0(VALU_DEP_1) | instskip(SKIP_1) | instid1(VALU_DEP_1)
	v_pk_fma_f32 v[14:15], v[12:13], v[6:7], v[10:11] op_sel:[0,0,1] op_sel_hi:[1,1,0] neg_lo:[0,0,1] neg_hi:[0,0,1]
	v_pk_fma_f32 v[10:11], v[12:13], v[6:7], v[10:11] op_sel:[0,0,1] op_sel_hi:[1,0,0]
	v_mov_b32_e32 v15, v11
	ds_load_2addr_b64 v[10:13], v148 offset0:50 offset1:51
	v_pk_add_f32 v[212:213], v[212:213], v[18:19] neg_lo:[0,1] neg_hi:[0,1]
	v_pk_add_f32 v[208:209], v[208:209], v[14:15] neg_lo:[0,1] neg_hi:[0,1]
	s_wait_dscnt 0x0
	v_dual_mul_f32 v14, v11, v9 :: v_dual_mul_f32 v18, v11, v6
	s_delay_alu instid0(VALU_DEP_1) | instskip(NEXT) | instid1(VALU_DEP_2)
	v_pk_fma_f32 v[14:15], v[10:11], v[92:93], v[14:15] op_sel_hi:[1,1,0] neg_lo:[0,0,1] neg_hi:[0,0,1]
	v_pk_fma_f32 v[10:11], v[10:11], v[92:93], v[18:19] op_sel:[1,0,0] op_sel_hi:[0,1,0]
	s_delay_alu instid0(VALU_DEP_1) | instskip(SKIP_1) | instid1(VALU_DEP_2)
	v_mov_b32_e32 v15, v11
	v_pk_mul_f32 v[10:11], v[12:13], v[8:9] op_sel:[0,1]
	v_pk_add_f32 v[210:211], v[210:211], v[14:15] neg_lo:[0,1] neg_hi:[0,1]
	s_delay_alu instid0(VALU_DEP_2) | instskip(SKIP_1) | instid1(VALU_DEP_1)
	v_pk_fma_f32 v[14:15], v[12:13], v[6:7], v[10:11] op_sel:[0,0,1] op_sel_hi:[1,1,0] neg_lo:[0,0,1] neg_hi:[0,0,1]
	v_pk_fma_f32 v[10:11], v[12:13], v[6:7], v[10:11] op_sel:[0,0,1] op_sel_hi:[1,0,0]
	v_mov_b32_e32 v15, v11
	ds_load_2addr_b64 v[10:13], v148 offset0:52 offset1:53
	v_pk_add_f32 v[206:207], v[206:207], v[14:15] neg_lo:[0,1] neg_hi:[0,1]
	s_wait_dscnt 0x0
	v_pk_mul_f32 v[14:15], v[10:11], v[8:9] op_sel:[0,1]
	v_pk_mul_f32 v[8:9], v[12:13], v[8:9] op_sel:[0,1]
	s_delay_alu instid0(VALU_DEP_2) | instskip(SKIP_1) | instid1(VALU_DEP_1)
	v_pk_fma_f32 v[18:19], v[10:11], v[6:7], v[14:15] op_sel:[0,0,1] op_sel_hi:[1,1,0] neg_lo:[0,0,1] neg_hi:[0,0,1]
	v_pk_fma_f32 v[10:11], v[10:11], v[6:7], v[14:15] op_sel:[0,0,1] op_sel_hi:[1,0,0]
	v_mov_b32_e32 v19, v11
	s_delay_alu instid0(VALU_DEP_4) | instskip(SKIP_1) | instid1(VALU_DEP_3)
	v_pk_fma_f32 v[10:11], v[12:13], v[6:7], v[8:9] op_sel:[0,0,1] op_sel_hi:[1,1,0] neg_lo:[0,0,1] neg_hi:[0,0,1]
	v_pk_fma_f32 v[6:7], v[12:13], v[6:7], v[8:9] op_sel:[0,0,1] op_sel_hi:[1,0,0]
	v_pk_add_f32 v[214:215], v[214:215], v[18:19] neg_lo:[0,1] neg_hi:[0,1]
	s_delay_alu instid0(VALU_DEP_2) | instskip(NEXT) | instid1(VALU_DEP_1)
	v_mov_b32_e32 v11, v7
	v_pk_add_f32 v[216:217], v[216:217], v[10:11] neg_lo:[0,1] neg_hi:[0,1]
.LBB107_199:
	s_or_b32 exec_lo, exec_lo, s1
	s_delay_alu instid0(SALU_CYCLE_1)
	s_mov_b32 s2, exec_lo
	s_wait_dscnt 0x0
	s_barrier_signal -1
	s_barrier_wait -1
	v_cmpx_eq_u32_e32 22, v138
	s_cbranch_execz .LBB107_206
; %bb.200:
	ds_store_b64 v139, v[94:95]
	ds_store_2addr_b64 v148, v[90:91], v[112:113] offset0:23 offset1:24
	ds_store_2addr_b64 v148, v[108:109], v[110:111] offset0:25 offset1:26
	;; [unrolled: 1-line block ×15, first 2 shown]
	ds_store_b64 v148, v[216:217] offset:424
	ds_load_b64 v[6:7], v139
	s_wait_dscnt 0x0
	v_cmp_neq_f32_e32 vcc_lo, 0, v6
	v_cmp_neq_f32_e64 s1, 0, v7
	s_or_b32 s1, vcc_lo, s1
	s_delay_alu instid0(SALU_CYCLE_1)
	s_and_b32 exec_lo, exec_lo, s1
	s_cbranch_execz .LBB107_206
; %bb.201:
	v_cmp_ngt_f32_e64 s1, |v6|, |v7|
                                        ; implicit-def: $vgpr8_vgpr9
	s_and_saveexec_b32 s4, s1
	s_delay_alu instid0(SALU_CYCLE_1)
	s_xor_b32 s1, exec_lo, s4
	s_cbranch_execz .LBB107_203
; %bb.202:
	v_div_scale_f32 v8, null, v7, v7, v6
	v_div_scale_f32 v11, vcc_lo, v6, v7, v6
	s_delay_alu instid0(VALU_DEP_2) | instskip(SKIP_1) | instid1(TRANS32_DEP_1)
	v_rcp_f32_e32 v9, v8
	v_nop
	v_fma_f32 v10, -v8, v9, 1.0
	s_delay_alu instid0(VALU_DEP_1) | instskip(NEXT) | instid1(VALU_DEP_1)
	v_fmac_f32_e32 v9, v10, v9
	v_mul_f32_e32 v10, v11, v9
	s_delay_alu instid0(VALU_DEP_1) | instskip(NEXT) | instid1(VALU_DEP_1)
	v_fma_f32 v12, -v8, v10, v11
	v_fmac_f32_e32 v10, v12, v9
	s_delay_alu instid0(VALU_DEP_1) | instskip(NEXT) | instid1(VALU_DEP_1)
	v_fma_f32 v8, -v8, v10, v11
	v_div_fmas_f32 v8, v8, v9, v10
	s_delay_alu instid0(VALU_DEP_1) | instskip(NEXT) | instid1(VALU_DEP_1)
	v_div_fixup_f32 v8, v8, v7, v6
	v_fmac_f32_e32 v7, v6, v8
	s_delay_alu instid0(VALU_DEP_1) | instskip(SKIP_1) | instid1(VALU_DEP_2)
	v_div_scale_f32 v6, null, v7, v7, 1.0
	v_div_scale_f32 v11, vcc_lo, 1.0, v7, 1.0
	v_rcp_f32_e32 v9, v6
	v_nop
	s_delay_alu instid0(TRANS32_DEP_1) | instskip(NEXT) | instid1(VALU_DEP_1)
	v_fma_f32 v10, -v6, v9, 1.0
	v_fmac_f32_e32 v9, v10, v9
	s_delay_alu instid0(VALU_DEP_1) | instskip(NEXT) | instid1(VALU_DEP_1)
	v_mul_f32_e32 v10, v11, v9
	v_fma_f32 v12, -v6, v10, v11
	s_delay_alu instid0(VALU_DEP_1) | instskip(NEXT) | instid1(VALU_DEP_1)
	v_fmac_f32_e32 v10, v12, v9
	v_fma_f32 v6, -v6, v10, v11
	s_delay_alu instid0(VALU_DEP_1) | instskip(NEXT) | instid1(VALU_DEP_1)
	v_div_fmas_f32 v6, v6, v9, v10
	v_div_fixup_f32 v6, v6, v7, 1.0
	s_delay_alu instid0(VALU_DEP_1)
	v_mul_f32_e32 v8, v8, v6
	v_xor_b32_e32 v9, 0x80000000, v6
                                        ; implicit-def: $vgpr6_vgpr7
.LBB107_203:
	s_and_not1_saveexec_b32 s1, s1
	s_cbranch_execz .LBB107_205
; %bb.204:
	v_div_scale_f32 v8, null, v6, v6, v7
	v_div_scale_f32 v11, vcc_lo, v7, v6, v7
	s_delay_alu instid0(VALU_DEP_2) | instskip(SKIP_1) | instid1(TRANS32_DEP_1)
	v_rcp_f32_e32 v9, v8
	v_nop
	v_fma_f32 v10, -v8, v9, 1.0
	s_delay_alu instid0(VALU_DEP_1) | instskip(NEXT) | instid1(VALU_DEP_1)
	v_fmac_f32_e32 v9, v10, v9
	v_mul_f32_e32 v10, v11, v9
	s_delay_alu instid0(VALU_DEP_1) | instskip(NEXT) | instid1(VALU_DEP_1)
	v_fma_f32 v12, -v8, v10, v11
	v_fmac_f32_e32 v10, v12, v9
	s_delay_alu instid0(VALU_DEP_1) | instskip(NEXT) | instid1(VALU_DEP_1)
	v_fma_f32 v8, -v8, v10, v11
	v_div_fmas_f32 v8, v8, v9, v10
	s_delay_alu instid0(VALU_DEP_1) | instskip(NEXT) | instid1(VALU_DEP_1)
	v_div_fixup_f32 v9, v8, v6, v7
	v_fmac_f32_e32 v6, v7, v9
	s_delay_alu instid0(VALU_DEP_1) | instskip(NEXT) | instid1(VALU_DEP_1)
	v_div_scale_f32 v7, null, v6, v6, 1.0
	v_rcp_f32_e32 v8, v7
	v_nop
	s_delay_alu instid0(TRANS32_DEP_1) | instskip(NEXT) | instid1(VALU_DEP_1)
	v_fma_f32 v10, -v7, v8, 1.0
	v_fmac_f32_e32 v8, v10, v8
	v_div_scale_f32 v10, vcc_lo, 1.0, v6, 1.0
	s_delay_alu instid0(VALU_DEP_1) | instskip(NEXT) | instid1(VALU_DEP_1)
	v_mul_f32_e32 v11, v10, v8
	v_fma_f32 v12, -v7, v11, v10
	s_delay_alu instid0(VALU_DEP_1) | instskip(NEXT) | instid1(VALU_DEP_1)
	v_fmac_f32_e32 v11, v12, v8
	v_fma_f32 v7, -v7, v11, v10
	s_delay_alu instid0(VALU_DEP_1) | instskip(NEXT) | instid1(VALU_DEP_1)
	v_div_fmas_f32 v7, v7, v8, v11
	v_div_fixup_f32 v8, v7, v6, 1.0
	s_delay_alu instid0(VALU_DEP_1)
	v_mul_f32_e64 v9, v9, -v8
.LBB107_205:
	s_or_b32 exec_lo, exec_lo, s1
	ds_store_b64 v139, v[8:9]
.LBB107_206:
	s_or_b32 exec_lo, exec_lo, s2
	s_wait_dscnt 0x0
	s_barrier_signal -1
	s_barrier_wait -1
	ds_load_b64 v[6:7], v139
	s_mov_b32 s1, exec_lo
	v_cmpx_lt_u32_e32 22, v138
	s_cbranch_execz .LBB107_208
; %bb.207:
	ds_load_2addr_b64 v[12:15], v148 offset0:23 offset1:24
	s_wait_dscnt 0x1
	v_pk_mul_f32 v[10:11], v[6:7], v[94:95] op_sel:[1,1] op_sel_hi:[0,1]
	s_delay_alu instid0(VALU_DEP_1) | instskip(SKIP_1) | instid1(VALU_DEP_1)
	v_pk_fma_f32 v[8:9], v[6:7], v[94:95], v[10:11] op_sel_hi:[1,0,1] neg_lo:[0,0,1] neg_hi:[0,0,1]
	v_pk_fma_f32 v[10:11], v[6:7], v[94:95], v[10:11] op_sel_hi:[1,0,1]
	v_dual_mov_b32 v94, v8 :: v_dual_mov_b32 v95, v11
	s_wait_dscnt 0x0
	s_delay_alu instid0(VALU_DEP_2) | instskip(NEXT) | instid1(VALU_DEP_1)
	v_pk_mul_f32 v[18:19], v[12:13], v[10:11] op_sel:[0,1]
	v_pk_fma_f32 v[28:29], v[12:13], v[8:9], v[18:19] op_sel:[0,0,1] op_sel_hi:[1,1,0] neg_lo:[0,0,1] neg_hi:[0,0,1]
	v_pk_fma_f32 v[12:13], v[12:13], v[8:9], v[18:19] op_sel:[0,0,1] op_sel_hi:[1,0,0]
	s_delay_alu instid0(VALU_DEP_1) | instskip(SKIP_1) | instid1(VALU_DEP_1)
	v_mov_b32_e32 v29, v13
	v_pk_mul_f32 v[12:13], v[14:15], v[10:11] op_sel:[0,1]
	v_pk_fma_f32 v[18:19], v[14:15], v[8:9], v[12:13] op_sel:[0,0,1] op_sel_hi:[1,1,0] neg_lo:[0,0,1] neg_hi:[0,0,1]
	v_pk_fma_f32 v[12:13], v[14:15], v[8:9], v[12:13] op_sel:[0,0,1] op_sel_hi:[1,0,0]
	s_delay_alu instid0(VALU_DEP_1)
	v_mov_b32_e32 v19, v13
	ds_load_2addr_b64 v[12:15], v148 offset0:25 offset1:26
	v_pk_add_f32 v[90:91], v[90:91], v[28:29] neg_lo:[0,1] neg_hi:[0,1]
	v_pk_add_f32 v[112:113], v[112:113], v[18:19] neg_lo:[0,1] neg_hi:[0,1]
	s_wait_dscnt 0x0
	v_pk_mul_f32 v[18:19], v[12:13], v[10:11] op_sel:[0,1]
	s_delay_alu instid0(VALU_DEP_1) | instskip(SKIP_2) | instid1(VALU_DEP_2)
	v_pk_fma_f32 v[28:29], v[12:13], v[8:9], v[18:19] op_sel:[0,0,1] op_sel_hi:[1,1,0] neg_lo:[0,0,1] neg_hi:[0,0,1]
	v_pk_fma_f32 v[12:13], v[12:13], v[8:9], v[18:19] op_sel:[0,0,1] op_sel_hi:[1,0,0]
	v_dual_mul_f32 v18, v15, v11 :: v_dual_mov_b32 v12, v15
	v_dual_mov_b32 v29, v13 :: v_dual_mov_b32 v13, v14
	s_delay_alu instid0(VALU_DEP_2) | instskip(SKIP_1) | instid1(VALU_DEP_3)
	v_pk_fma_f32 v[18:19], v[14:15], v[94:95], v[18:19] op_sel_hi:[1,1,0] neg_lo:[0,0,1] neg_hi:[0,0,1]
	v_mul_f32_e32 v14, v15, v8
	v_pk_add_f32 v[108:109], v[108:109], v[28:29] neg_lo:[0,1] neg_hi:[0,1]
	s_delay_alu instid0(VALU_DEP_2) | instskip(NEXT) | instid1(VALU_DEP_1)
	v_pk_fma_f32 v[12:13], v[12:13], v[94:95], v[14:15] op_sel_hi:[1,1,0]
	v_mov_b32_e32 v19, v13
	ds_load_2addr_b64 v[12:15], v148 offset0:27 offset1:28
	v_pk_add_f32 v[110:111], v[110:111], v[18:19] neg_lo:[0,1] neg_hi:[0,1]
	s_wait_dscnt 0x0
	v_pk_mul_f32 v[18:19], v[12:13], v[10:11] op_sel:[0,1]
	s_delay_alu instid0(VALU_DEP_1) | instskip(SKIP_1) | instid1(VALU_DEP_1)
	v_pk_fma_f32 v[28:29], v[12:13], v[8:9], v[18:19] op_sel:[0,0,1] op_sel_hi:[1,1,0] neg_lo:[0,0,1] neg_hi:[0,0,1]
	v_pk_fma_f32 v[12:13], v[12:13], v[8:9], v[18:19] op_sel:[0,0,1] op_sel_hi:[1,0,0]
	v_mov_b32_e32 v29, v13
	v_pk_mul_f32 v[12:13], v[14:15], v[10:11] op_sel:[0,1]
	s_delay_alu instid0(VALU_DEP_1) | instskip(SKIP_1) | instid1(VALU_DEP_1)
	v_pk_fma_f32 v[18:19], v[14:15], v[8:9], v[12:13] op_sel:[0,0,1] op_sel_hi:[1,1,0] neg_lo:[0,0,1] neg_hi:[0,0,1]
	v_pk_fma_f32 v[12:13], v[14:15], v[8:9], v[12:13] op_sel:[0,0,1] op_sel_hi:[1,0,0]
	v_mov_b32_e32 v19, v13
	ds_load_2addr_b64 v[12:15], v148 offset0:29 offset1:30
	v_pk_add_f32 v[106:107], v[106:107], v[28:29] neg_lo:[0,1] neg_hi:[0,1]
	v_pk_add_f32 v[130:131], v[130:131], v[18:19] neg_lo:[0,1] neg_hi:[0,1]
	s_wait_dscnt 0x0
	v_pk_mul_f32 v[18:19], v[12:13], v[10:11] op_sel:[0,1]
	s_delay_alu instid0(VALU_DEP_1) | instskip(SKIP_1) | instid1(VALU_DEP_1)
	v_pk_fma_f32 v[28:29], v[12:13], v[8:9], v[18:19] op_sel:[0,0,1] op_sel_hi:[1,1,0] neg_lo:[0,0,1] neg_hi:[0,0,1]
	v_pk_fma_f32 v[12:13], v[12:13], v[8:9], v[18:19] op_sel:[0,0,1] op_sel_hi:[1,0,0]
	v_mov_b32_e32 v29, v13
	v_pk_mul_f32 v[12:13], v[14:15], v[10:11] op_sel:[0,1]
	s_delay_alu instid0(VALU_DEP_1) | instskip(SKIP_1) | instid1(VALU_DEP_1)
	v_pk_fma_f32 v[18:19], v[14:15], v[8:9], v[12:13] op_sel:[0,0,1] op_sel_hi:[1,1,0] neg_lo:[0,0,1] neg_hi:[0,0,1]
	v_pk_fma_f32 v[12:13], v[14:15], v[8:9], v[12:13] op_sel:[0,0,1] op_sel_hi:[1,0,0]
	v_mov_b32_e32 v19, v13
	ds_load_2addr_b64 v[12:15], v148 offset0:31 offset1:32
	v_pk_add_f32 v[126:127], v[126:127], v[28:29] neg_lo:[0,1] neg_hi:[0,1]
	v_pk_add_f32 v[128:129], v[128:129], v[18:19] neg_lo:[0,1] neg_hi:[0,1]
	s_wait_dscnt 0x0
	v_dual_mul_f32 v18, v13, v11 :: v_dual_mul_f32 v28, v13, v8
	s_delay_alu instid0(VALU_DEP_1) | instskip(NEXT) | instid1(VALU_DEP_2)
	v_pk_fma_f32 v[18:19], v[12:13], v[94:95], v[18:19] op_sel_hi:[1,1,0] neg_lo:[0,0,1] neg_hi:[0,0,1]
	v_pk_fma_f32 v[12:13], v[12:13], v[94:95], v[28:29] op_sel:[1,0,0] op_sel_hi:[0,1,0]
	s_delay_alu instid0(VALU_DEP_1) | instskip(SKIP_1) | instid1(VALU_DEP_2)
	v_mov_b32_e32 v19, v13
	v_pk_mul_f32 v[12:13], v[14:15], v[10:11] op_sel:[0,1]
	v_pk_add_f32 v[124:125], v[124:125], v[18:19] neg_lo:[0,1] neg_hi:[0,1]
	s_delay_alu instid0(VALU_DEP_2) | instskip(SKIP_1) | instid1(VALU_DEP_1)
	v_pk_fma_f32 v[18:19], v[14:15], v[8:9], v[12:13] op_sel:[0,0,1] op_sel_hi:[1,1,0] neg_lo:[0,0,1] neg_hi:[0,0,1]
	v_pk_fma_f32 v[12:13], v[14:15], v[8:9], v[12:13] op_sel:[0,0,1] op_sel_hi:[1,0,0]
	v_mov_b32_e32 v19, v13
	ds_load_2addr_b64 v[12:15], v148 offset0:33 offset1:34
	v_pk_add_f32 v[146:147], v[146:147], v[18:19] neg_lo:[0,1] neg_hi:[0,1]
	s_wait_dscnt 0x0
	v_pk_mul_f32 v[18:19], v[12:13], v[10:11] op_sel:[0,1]
	s_delay_alu instid0(VALU_DEP_1) | instskip(SKIP_1) | instid1(VALU_DEP_1)
	v_pk_fma_f32 v[28:29], v[12:13], v[8:9], v[18:19] op_sel:[0,0,1] op_sel_hi:[1,1,0] neg_lo:[0,0,1] neg_hi:[0,0,1]
	v_pk_fma_f32 v[12:13], v[12:13], v[8:9], v[18:19] op_sel:[0,0,1] op_sel_hi:[1,0,0]
	v_mov_b32_e32 v29, v13
	v_pk_mul_f32 v[12:13], v[14:15], v[10:11] op_sel:[0,1]
	s_delay_alu instid0(VALU_DEP_2) | instskip(NEXT) | instid1(VALU_DEP_2)
	v_pk_add_f32 v[142:143], v[142:143], v[28:29] neg_lo:[0,1] neg_hi:[0,1]
	v_pk_fma_f32 v[18:19], v[14:15], v[8:9], v[12:13] op_sel:[0,0,1] op_sel_hi:[1,1,0] neg_lo:[0,0,1] neg_hi:[0,0,1]
	v_pk_fma_f32 v[12:13], v[14:15], v[8:9], v[12:13] op_sel:[0,0,1] op_sel_hi:[1,0,0]
	s_delay_alu instid0(VALU_DEP_1) | instskip(SKIP_4) | instid1(VALU_DEP_1)
	v_mov_b32_e32 v19, v13
	ds_load_2addr_b64 v[12:15], v148 offset0:35 offset1:36
	v_pk_add_f32 v[144:145], v[144:145], v[18:19] neg_lo:[0,1] neg_hi:[0,1]
	s_wait_dscnt 0x0
	v_pk_mul_f32 v[18:19], v[12:13], v[10:11] op_sel:[0,1]
	v_pk_fma_f32 v[28:29], v[12:13], v[8:9], v[18:19] op_sel:[0,0,1] op_sel_hi:[1,1,0] neg_lo:[0,0,1] neg_hi:[0,0,1]
	v_pk_fma_f32 v[12:13], v[12:13], v[8:9], v[18:19] op_sel:[0,0,1] op_sel_hi:[1,0,0]
	v_dual_mul_f32 v18, v15, v11 :: v_dual_mov_b32 v12, v15
	s_delay_alu instid0(VALU_DEP_2) | instskip(NEXT) | instid1(VALU_DEP_2)
	v_dual_mov_b32 v29, v13 :: v_dual_mov_b32 v13, v14
	v_pk_fma_f32 v[18:19], v[14:15], v[94:95], v[18:19] op_sel_hi:[1,1,0] neg_lo:[0,0,1] neg_hi:[0,0,1]
	v_mul_f32_e32 v14, v15, v8
	s_delay_alu instid0(VALU_DEP_3) | instskip(NEXT) | instid1(VALU_DEP_2)
	v_pk_add_f32 v[140:141], v[140:141], v[28:29] neg_lo:[0,1] neg_hi:[0,1]
	v_pk_fma_f32 v[12:13], v[12:13], v[94:95], v[14:15] op_sel_hi:[1,1,0]
	s_delay_alu instid0(VALU_DEP_1) | instskip(SKIP_4) | instid1(VALU_DEP_1)
	v_mov_b32_e32 v19, v13
	ds_load_2addr_b64 v[12:15], v148 offset0:37 offset1:38
	v_pk_add_f32 v[162:163], v[162:163], v[18:19] neg_lo:[0,1] neg_hi:[0,1]
	s_wait_dscnt 0x0
	v_pk_mul_f32 v[18:19], v[12:13], v[10:11] op_sel:[0,1]
	v_pk_fma_f32 v[28:29], v[12:13], v[8:9], v[18:19] op_sel:[0,0,1] op_sel_hi:[1,1,0] neg_lo:[0,0,1] neg_hi:[0,0,1]
	v_pk_fma_f32 v[12:13], v[12:13], v[8:9], v[18:19] op_sel:[0,0,1] op_sel_hi:[1,0,0]
	s_delay_alu instid0(VALU_DEP_1) | instskip(SKIP_1) | instid1(VALU_DEP_1)
	v_mov_b32_e32 v29, v13
	v_pk_mul_f32 v[12:13], v[14:15], v[10:11] op_sel:[0,1]
	v_pk_fma_f32 v[18:19], v[14:15], v[8:9], v[12:13] op_sel:[0,0,1] op_sel_hi:[1,1,0] neg_lo:[0,0,1] neg_hi:[0,0,1]
	v_pk_fma_f32 v[12:13], v[14:15], v[8:9], v[12:13] op_sel:[0,0,1] op_sel_hi:[1,0,0]
	s_delay_alu instid0(VALU_DEP_1)
	v_mov_b32_e32 v19, v13
	ds_load_2addr_b64 v[12:15], v148 offset0:39 offset1:40
	v_pk_add_f32 v[158:159], v[158:159], v[28:29] neg_lo:[0,1] neg_hi:[0,1]
	v_pk_add_f32 v[160:161], v[160:161], v[18:19] neg_lo:[0,1] neg_hi:[0,1]
	s_wait_dscnt 0x0
	v_pk_mul_f32 v[18:19], v[12:13], v[10:11] op_sel:[0,1]
	s_delay_alu instid0(VALU_DEP_1) | instskip(SKIP_1) | instid1(VALU_DEP_1)
	v_pk_fma_f32 v[28:29], v[12:13], v[8:9], v[18:19] op_sel:[0,0,1] op_sel_hi:[1,1,0] neg_lo:[0,0,1] neg_hi:[0,0,1]
	v_pk_fma_f32 v[12:13], v[12:13], v[8:9], v[18:19] op_sel:[0,0,1] op_sel_hi:[1,0,0]
	v_mov_b32_e32 v29, v13
	v_pk_mul_f32 v[12:13], v[14:15], v[10:11] op_sel:[0,1]
	s_delay_alu instid0(VALU_DEP_1) | instskip(SKIP_1) | instid1(VALU_DEP_1)
	v_pk_fma_f32 v[18:19], v[14:15], v[8:9], v[12:13] op_sel:[0,0,1] op_sel_hi:[1,1,0] neg_lo:[0,0,1] neg_hi:[0,0,1]
	v_pk_fma_f32 v[12:13], v[14:15], v[8:9], v[12:13] op_sel:[0,0,1] op_sel_hi:[1,0,0]
	v_mov_b32_e32 v19, v13
	ds_load_2addr_b64 v[12:15], v148 offset0:41 offset1:42
	v_pk_add_f32 v[156:157], v[156:157], v[28:29] neg_lo:[0,1] neg_hi:[0,1]
	v_pk_add_f32 v[178:179], v[178:179], v[18:19] neg_lo:[0,1] neg_hi:[0,1]
	s_wait_dscnt 0x0
	v_dual_mul_f32 v18, v13, v11 :: v_dual_mul_f32 v28, v13, v8
	s_delay_alu instid0(VALU_DEP_1) | instskip(NEXT) | instid1(VALU_DEP_2)
	v_pk_fma_f32 v[18:19], v[12:13], v[94:95], v[18:19] op_sel_hi:[1,1,0] neg_lo:[0,0,1] neg_hi:[0,0,1]
	v_pk_fma_f32 v[12:13], v[12:13], v[94:95], v[28:29] op_sel:[1,0,0] op_sel_hi:[0,1,0]
	s_delay_alu instid0(VALU_DEP_1) | instskip(SKIP_1) | instid1(VALU_DEP_2)
	v_mov_b32_e32 v19, v13
	v_pk_mul_f32 v[12:13], v[14:15], v[10:11] op_sel:[0,1]
	v_pk_add_f32 v[174:175], v[174:175], v[18:19] neg_lo:[0,1] neg_hi:[0,1]
	s_delay_alu instid0(VALU_DEP_2) | instskip(SKIP_1) | instid1(VALU_DEP_1)
	v_pk_fma_f32 v[18:19], v[14:15], v[8:9], v[12:13] op_sel:[0,0,1] op_sel_hi:[1,1,0] neg_lo:[0,0,1] neg_hi:[0,0,1]
	v_pk_fma_f32 v[12:13], v[14:15], v[8:9], v[12:13] op_sel:[0,0,1] op_sel_hi:[1,0,0]
	v_mov_b32_e32 v19, v13
	ds_load_2addr_b64 v[12:15], v148 offset0:43 offset1:44
	v_pk_add_f32 v[176:177], v[176:177], v[18:19] neg_lo:[0,1] neg_hi:[0,1]
	s_wait_dscnt 0x0
	v_pk_mul_f32 v[18:19], v[12:13], v[10:11] op_sel:[0,1]
	s_delay_alu instid0(VALU_DEP_1) | instskip(SKIP_1) | instid1(VALU_DEP_1)
	v_pk_fma_f32 v[28:29], v[12:13], v[8:9], v[18:19] op_sel:[0,0,1] op_sel_hi:[1,1,0] neg_lo:[0,0,1] neg_hi:[0,0,1]
	v_pk_fma_f32 v[12:13], v[12:13], v[8:9], v[18:19] op_sel:[0,0,1] op_sel_hi:[1,0,0]
	v_mov_b32_e32 v29, v13
	v_pk_mul_f32 v[12:13], v[14:15], v[10:11] op_sel:[0,1]
	s_delay_alu instid0(VALU_DEP_2) | instskip(NEXT) | instid1(VALU_DEP_2)
	v_pk_add_f32 v[172:173], v[172:173], v[28:29] neg_lo:[0,1] neg_hi:[0,1]
	v_pk_fma_f32 v[18:19], v[14:15], v[8:9], v[12:13] op_sel:[0,0,1] op_sel_hi:[1,1,0] neg_lo:[0,0,1] neg_hi:[0,0,1]
	v_pk_fma_f32 v[12:13], v[14:15], v[8:9], v[12:13] op_sel:[0,0,1] op_sel_hi:[1,0,0]
	s_delay_alu instid0(VALU_DEP_1) | instskip(SKIP_4) | instid1(VALU_DEP_1)
	v_mov_b32_e32 v19, v13
	ds_load_2addr_b64 v[12:15], v148 offset0:45 offset1:46
	v_pk_add_f32 v[196:197], v[196:197], v[18:19] neg_lo:[0,1] neg_hi:[0,1]
	s_wait_dscnt 0x0
	v_pk_mul_f32 v[18:19], v[12:13], v[10:11] op_sel:[0,1]
	v_pk_fma_f32 v[28:29], v[12:13], v[8:9], v[18:19] op_sel:[0,0,1] op_sel_hi:[1,1,0] neg_lo:[0,0,1] neg_hi:[0,0,1]
	v_pk_fma_f32 v[12:13], v[12:13], v[8:9], v[18:19] op_sel:[0,0,1] op_sel_hi:[1,0,0]
	v_dual_mul_f32 v18, v15, v11 :: v_dual_mov_b32 v12, v15
	s_delay_alu instid0(VALU_DEP_2) | instskip(NEXT) | instid1(VALU_DEP_2)
	v_dual_mov_b32 v29, v13 :: v_dual_mov_b32 v13, v14
	v_pk_fma_f32 v[18:19], v[14:15], v[94:95], v[18:19] op_sel_hi:[1,1,0] neg_lo:[0,0,1] neg_hi:[0,0,1]
	v_mul_f32_e32 v14, v15, v8
	s_delay_alu instid0(VALU_DEP_3) | instskip(NEXT) | instid1(VALU_DEP_2)
	v_pk_add_f32 v[192:193], v[192:193], v[28:29] neg_lo:[0,1] neg_hi:[0,1]
	v_pk_fma_f32 v[12:13], v[12:13], v[94:95], v[14:15] op_sel_hi:[1,1,0]
	s_delay_alu instid0(VALU_DEP_1) | instskip(SKIP_4) | instid1(VALU_DEP_1)
	v_mov_b32_e32 v19, v13
	ds_load_2addr_b64 v[12:15], v148 offset0:47 offset1:48
	v_pk_add_f32 v[194:195], v[194:195], v[18:19] neg_lo:[0,1] neg_hi:[0,1]
	s_wait_dscnt 0x0
	v_pk_mul_f32 v[18:19], v[12:13], v[10:11] op_sel:[0,1]
	v_pk_fma_f32 v[28:29], v[12:13], v[8:9], v[18:19] op_sel:[0,0,1] op_sel_hi:[1,1,0] neg_lo:[0,0,1] neg_hi:[0,0,1]
	v_pk_fma_f32 v[12:13], v[12:13], v[8:9], v[18:19] op_sel:[0,0,1] op_sel_hi:[1,0,0]
	s_delay_alu instid0(VALU_DEP_1) | instskip(SKIP_1) | instid1(VALU_DEP_1)
	v_mov_b32_e32 v29, v13
	v_pk_mul_f32 v[12:13], v[14:15], v[10:11] op_sel:[0,1]
	v_pk_fma_f32 v[18:19], v[14:15], v[8:9], v[12:13] op_sel:[0,0,1] op_sel_hi:[1,1,0] neg_lo:[0,0,1] neg_hi:[0,0,1]
	v_pk_fma_f32 v[12:13], v[14:15], v[8:9], v[12:13] op_sel:[0,0,1] op_sel_hi:[1,0,0]
	s_delay_alu instid0(VALU_DEP_1)
	v_mov_b32_e32 v19, v13
	ds_load_2addr_b64 v[12:15], v148 offset0:49 offset1:50
	v_pk_add_f32 v[190:191], v[190:191], v[28:29] neg_lo:[0,1] neg_hi:[0,1]
	v_pk_add_f32 v[212:213], v[212:213], v[18:19] neg_lo:[0,1] neg_hi:[0,1]
	s_wait_dscnt 0x0
	v_pk_mul_f32 v[18:19], v[12:13], v[10:11] op_sel:[0,1]
	s_delay_alu instid0(VALU_DEP_1) | instskip(SKIP_1) | instid1(VALU_DEP_1)
	v_pk_fma_f32 v[28:29], v[12:13], v[8:9], v[18:19] op_sel:[0,0,1] op_sel_hi:[1,1,0] neg_lo:[0,0,1] neg_hi:[0,0,1]
	v_pk_fma_f32 v[12:13], v[12:13], v[8:9], v[18:19] op_sel:[0,0,1] op_sel_hi:[1,0,0]
	v_mov_b32_e32 v29, v13
	v_pk_mul_f32 v[12:13], v[14:15], v[10:11] op_sel:[0,1]
	s_delay_alu instid0(VALU_DEP_1) | instskip(SKIP_1) | instid1(VALU_DEP_1)
	v_pk_fma_f32 v[18:19], v[14:15], v[8:9], v[12:13] op_sel:[0,0,1] op_sel_hi:[1,1,0] neg_lo:[0,0,1] neg_hi:[0,0,1]
	v_pk_fma_f32 v[12:13], v[14:15], v[8:9], v[12:13] op_sel:[0,0,1] op_sel_hi:[1,0,0]
	v_mov_b32_e32 v19, v13
	ds_load_2addr_b64 v[12:15], v148 offset0:51 offset1:52
	v_pk_add_f32 v[208:209], v[208:209], v[28:29] neg_lo:[0,1] neg_hi:[0,1]
	v_pk_add_f32 v[210:211], v[210:211], v[18:19] neg_lo:[0,1] neg_hi:[0,1]
	s_wait_dscnt 0x0
	v_dual_mul_f32 v18, v13, v11 :: v_dual_mul_f32 v28, v13, v8
	s_delay_alu instid0(VALU_DEP_1) | instskip(NEXT) | instid1(VALU_DEP_2)
	v_pk_fma_f32 v[18:19], v[12:13], v[94:95], v[18:19] op_sel_hi:[1,1,0] neg_lo:[0,0,1] neg_hi:[0,0,1]
	v_pk_fma_f32 v[12:13], v[12:13], v[94:95], v[28:29] op_sel:[1,0,0] op_sel_hi:[0,1,0]
	s_delay_alu instid0(VALU_DEP_1) | instskip(SKIP_1) | instid1(VALU_DEP_2)
	v_mov_b32_e32 v19, v13
	v_pk_mul_f32 v[12:13], v[14:15], v[10:11] op_sel:[0,1]
	v_pk_add_f32 v[206:207], v[206:207], v[18:19] neg_lo:[0,1] neg_hi:[0,1]
	s_delay_alu instid0(VALU_DEP_2) | instskip(SKIP_1) | instid1(VALU_DEP_1)
	v_pk_fma_f32 v[18:19], v[14:15], v[8:9], v[12:13] op_sel:[0,0,1] op_sel_hi:[1,1,0] neg_lo:[0,0,1] neg_hi:[0,0,1]
	v_pk_fma_f32 v[12:13], v[14:15], v[8:9], v[12:13] op_sel:[0,0,1] op_sel_hi:[1,0,0]
	v_mov_b32_e32 v19, v13
	ds_load_b64 v[12:13], v148 offset:424
	v_pk_add_f32 v[214:215], v[214:215], v[18:19] neg_lo:[0,1] neg_hi:[0,1]
	s_wait_dscnt 0x0
	v_pk_mul_f32 v[10:11], v[12:13], v[10:11] op_sel:[0,1]
	s_delay_alu instid0(VALU_DEP_1) | instskip(SKIP_1) | instid1(VALU_DEP_1)
	v_pk_fma_f32 v[14:15], v[12:13], v[8:9], v[10:11] op_sel:[0,0,1] op_sel_hi:[1,1,0] neg_lo:[0,0,1] neg_hi:[0,0,1]
	v_pk_fma_f32 v[8:9], v[12:13], v[8:9], v[10:11] op_sel:[0,0,1] op_sel_hi:[1,0,0]
	v_mov_b32_e32 v15, v9
	s_delay_alu instid0(VALU_DEP_1)
	v_pk_add_f32 v[216:217], v[216:217], v[14:15] neg_lo:[0,1] neg_hi:[0,1]
.LBB107_208:
	s_or_b32 exec_lo, exec_lo, s1
	s_delay_alu instid0(SALU_CYCLE_1)
	s_mov_b32 s2, exec_lo
	s_wait_dscnt 0x0
	s_barrier_signal -1
	s_barrier_wait -1
	v_cmpx_eq_u32_e32 23, v138
	s_cbranch_execz .LBB107_215
; %bb.209:
	v_dual_mov_b32 v8, v112 :: v_dual_mov_b32 v9, v113
	v_dual_mov_b32 v10, v108 :: v_dual_mov_b32 v11, v109
	ds_store_b64 v139, v[90:91]
	ds_store_2addr_b64 v148, v[8:9], v[10:11] offset0:24 offset1:25
	v_dual_mov_b32 v8, v110 :: v_dual_mov_b32 v9, v111
	v_dual_mov_b32 v10, v106 :: v_dual_mov_b32 v11, v107
	ds_store_2addr_b64 v148, v[8:9], v[10:11] offset0:26 offset1:27
	v_dual_mov_b32 v8, v130 :: v_dual_mov_b32 v9, v131
	v_dual_mov_b32 v10, v126 :: v_dual_mov_b32 v11, v127
	;; [unrolled: 3-line block ×13, first 2 shown]
	ds_store_2addr_b64 v148, v[8:9], v[10:11] offset0:50 offset1:51
	v_dual_mov_b32 v8, v214 :: v_dual_mov_b32 v9, v215
	ds_store_2addr_b64 v148, v[8:9], v[216:217] offset0:52 offset1:53
	ds_load_b64 v[8:9], v139
	s_wait_dscnt 0x0
	v_cmp_neq_f32_e32 vcc_lo, 0, v8
	v_cmp_neq_f32_e64 s1, 0, v9
	s_or_b32 s1, vcc_lo, s1
	s_delay_alu instid0(SALU_CYCLE_1)
	s_and_b32 exec_lo, exec_lo, s1
	s_cbranch_execz .LBB107_215
; %bb.210:
	v_cmp_ngt_f32_e64 s1, |v8|, |v9|
                                        ; implicit-def: $vgpr10_vgpr11
	s_and_saveexec_b32 s4, s1
	s_delay_alu instid0(SALU_CYCLE_1)
	s_xor_b32 s1, exec_lo, s4
	s_cbranch_execz .LBB107_212
; %bb.211:
	v_div_scale_f32 v10, null, v9, v9, v8
	v_div_scale_f32 v13, vcc_lo, v8, v9, v8
	s_delay_alu instid0(VALU_DEP_2) | instskip(SKIP_1) | instid1(TRANS32_DEP_1)
	v_rcp_f32_e32 v11, v10
	v_nop
	v_fma_f32 v12, -v10, v11, 1.0
	s_delay_alu instid0(VALU_DEP_1) | instskip(NEXT) | instid1(VALU_DEP_1)
	v_fmac_f32_e32 v11, v12, v11
	v_mul_f32_e32 v12, v13, v11
	s_delay_alu instid0(VALU_DEP_1) | instskip(NEXT) | instid1(VALU_DEP_1)
	v_fma_f32 v14, -v10, v12, v13
	v_fmac_f32_e32 v12, v14, v11
	s_delay_alu instid0(VALU_DEP_1) | instskip(NEXT) | instid1(VALU_DEP_1)
	v_fma_f32 v10, -v10, v12, v13
	v_div_fmas_f32 v10, v10, v11, v12
	s_delay_alu instid0(VALU_DEP_1) | instskip(NEXT) | instid1(VALU_DEP_1)
	v_div_fixup_f32 v10, v10, v9, v8
	v_fmac_f32_e32 v9, v8, v10
	s_delay_alu instid0(VALU_DEP_1) | instskip(SKIP_1) | instid1(VALU_DEP_2)
	v_div_scale_f32 v8, null, v9, v9, 1.0
	v_div_scale_f32 v13, vcc_lo, 1.0, v9, 1.0
	v_rcp_f32_e32 v11, v8
	v_nop
	s_delay_alu instid0(TRANS32_DEP_1) | instskip(NEXT) | instid1(VALU_DEP_1)
	v_fma_f32 v12, -v8, v11, 1.0
	v_fmac_f32_e32 v11, v12, v11
	s_delay_alu instid0(VALU_DEP_1) | instskip(NEXT) | instid1(VALU_DEP_1)
	v_mul_f32_e32 v12, v13, v11
	v_fma_f32 v14, -v8, v12, v13
	s_delay_alu instid0(VALU_DEP_1) | instskip(NEXT) | instid1(VALU_DEP_1)
	v_fmac_f32_e32 v12, v14, v11
	v_fma_f32 v8, -v8, v12, v13
	s_delay_alu instid0(VALU_DEP_1) | instskip(NEXT) | instid1(VALU_DEP_1)
	v_div_fmas_f32 v8, v8, v11, v12
	v_div_fixup_f32 v8, v8, v9, 1.0
	s_delay_alu instid0(VALU_DEP_1)
	v_mul_f32_e32 v10, v10, v8
	v_xor_b32_e32 v11, 0x80000000, v8
                                        ; implicit-def: $vgpr8_vgpr9
.LBB107_212:
	s_and_not1_saveexec_b32 s1, s1
	s_cbranch_execz .LBB107_214
; %bb.213:
	v_div_scale_f32 v10, null, v8, v8, v9
	v_div_scale_f32 v13, vcc_lo, v9, v8, v9
	s_delay_alu instid0(VALU_DEP_2) | instskip(SKIP_1) | instid1(TRANS32_DEP_1)
	v_rcp_f32_e32 v11, v10
	v_nop
	v_fma_f32 v12, -v10, v11, 1.0
	s_delay_alu instid0(VALU_DEP_1) | instskip(NEXT) | instid1(VALU_DEP_1)
	v_fmac_f32_e32 v11, v12, v11
	v_mul_f32_e32 v12, v13, v11
	s_delay_alu instid0(VALU_DEP_1) | instskip(NEXT) | instid1(VALU_DEP_1)
	v_fma_f32 v14, -v10, v12, v13
	v_fmac_f32_e32 v12, v14, v11
	s_delay_alu instid0(VALU_DEP_1) | instskip(NEXT) | instid1(VALU_DEP_1)
	v_fma_f32 v10, -v10, v12, v13
	v_div_fmas_f32 v10, v10, v11, v12
	s_delay_alu instid0(VALU_DEP_1) | instskip(NEXT) | instid1(VALU_DEP_1)
	v_div_fixup_f32 v11, v10, v8, v9
	v_fmac_f32_e32 v8, v9, v11
	s_delay_alu instid0(VALU_DEP_1) | instskip(NEXT) | instid1(VALU_DEP_1)
	v_div_scale_f32 v9, null, v8, v8, 1.0
	v_rcp_f32_e32 v10, v9
	v_nop
	s_delay_alu instid0(TRANS32_DEP_1) | instskip(NEXT) | instid1(VALU_DEP_1)
	v_fma_f32 v12, -v9, v10, 1.0
	v_fmac_f32_e32 v10, v12, v10
	v_div_scale_f32 v12, vcc_lo, 1.0, v8, 1.0
	s_delay_alu instid0(VALU_DEP_1) | instskip(NEXT) | instid1(VALU_DEP_1)
	v_mul_f32_e32 v13, v12, v10
	v_fma_f32 v14, -v9, v13, v12
	s_delay_alu instid0(VALU_DEP_1) | instskip(NEXT) | instid1(VALU_DEP_1)
	v_fmac_f32_e32 v13, v14, v10
	v_fma_f32 v9, -v9, v13, v12
	s_delay_alu instid0(VALU_DEP_1) | instskip(NEXT) | instid1(VALU_DEP_1)
	v_div_fmas_f32 v9, v9, v10, v13
	v_div_fixup_f32 v10, v9, v8, 1.0
	s_delay_alu instid0(VALU_DEP_1)
	v_mul_f32_e64 v11, v11, -v10
.LBB107_214:
	s_or_b32 exec_lo, exec_lo, s1
	ds_store_b64 v139, v[10:11]
.LBB107_215:
	s_or_b32 exec_lo, exec_lo, s2
	s_wait_dscnt 0x0
	s_barrier_signal -1
	s_barrier_wait -1
	ds_load_b64 v[8:9], v139
	s_mov_b32 s1, exec_lo
	v_cmpx_lt_u32_e32 23, v138
	s_cbranch_execz .LBB107_217
; %bb.216:
	ds_load_2addr_b64 v[28:31], v148 offset0:24 offset1:25
	s_wait_dscnt 0x1
	v_pk_mul_f32 v[12:13], v[8:9], v[90:91] op_sel:[1,1] op_sel_hi:[0,1]
	s_delay_alu instid0(VALU_DEP_1) | instskip(SKIP_1) | instid1(VALU_DEP_1)
	v_pk_fma_f32 v[10:11], v[8:9], v[90:91], v[12:13] op_sel_hi:[1,0,1] neg_lo:[0,0,1] neg_hi:[0,0,1]
	v_pk_fma_f32 v[12:13], v[8:9], v[90:91], v[12:13] op_sel_hi:[1,0,1]
	v_dual_mov_b32 v90, v10 :: v_dual_mov_b32 v91, v13
	s_wait_dscnt 0x0
	s_delay_alu instid0(VALU_DEP_2) | instskip(NEXT) | instid1(VALU_DEP_1)
	v_pk_mul_f32 v[14:15], v[28:29], v[12:13] op_sel:[0,1]
	v_pk_fma_f32 v[18:19], v[28:29], v[10:11], v[14:15] op_sel:[0,0,1] op_sel_hi:[1,1,0] neg_lo:[0,0,1] neg_hi:[0,0,1]
	v_pk_fma_f32 v[14:15], v[28:29], v[10:11], v[14:15] op_sel:[0,0,1] op_sel_hi:[1,0,0]
	s_delay_alu instid0(VALU_DEP_1) | instskip(SKIP_1) | instid1(VALU_DEP_2)
	v_mov_b32_e32 v19, v15
	v_pk_mul_f32 v[14:15], v[30:31], v[12:13] op_sel:[0,1]
	v_pk_add_f32 v[112:113], v[112:113], v[18:19] neg_lo:[0,1] neg_hi:[0,1]
	s_delay_alu instid0(VALU_DEP_2) | instskip(SKIP_3) | instid1(VALU_DEP_1)
	v_pk_fma_f32 v[18:19], v[30:31], v[10:11], v[14:15] op_sel:[0,0,1] op_sel_hi:[1,1,0] neg_lo:[0,0,1] neg_hi:[0,0,1]
	v_pk_fma_f32 v[14:15], v[30:31], v[10:11], v[14:15] op_sel:[0,0,1] op_sel_hi:[1,0,0]
	ds_load_2addr_b64 v[28:31], v148 offset0:26 offset1:27
	v_mov_b32_e32 v19, v15
	v_pk_add_f32 v[108:109], v[108:109], v[18:19] neg_lo:[0,1] neg_hi:[0,1]
	s_wait_dscnt 0x0
	v_pk_mul_f32 v[14:15], v[28:29], v[12:13] op_sel:[0,1]
	s_delay_alu instid0(VALU_DEP_1) | instskip(SKIP_2) | instid1(VALU_DEP_2)
	v_pk_fma_f32 v[18:19], v[28:29], v[10:11], v[14:15] op_sel:[0,0,1] op_sel_hi:[1,1,0] neg_lo:[0,0,1] neg_hi:[0,0,1]
	v_pk_fma_f32 v[14:15], v[28:29], v[10:11], v[14:15] op_sel:[0,0,1] op_sel_hi:[1,0,0]
	v_dual_mov_b32 v14, v31 :: v_dual_mul_f32 v28, v31, v10
	v_dual_mov_b32 v19, v15 :: v_dual_mov_b32 v15, v30
	s_delay_alu instid0(VALU_DEP_1) | instskip(SKIP_1) | instid1(VALU_DEP_3)
	v_pk_add_f32 v[110:111], v[110:111], v[18:19] neg_lo:[0,1] neg_hi:[0,1]
	v_mul_f32_e32 v18, v31, v13
	v_pk_fma_f32 v[14:15], v[14:15], v[90:91], v[28:29] op_sel_hi:[1,1,0]
	s_delay_alu instid0(VALU_DEP_2) | instskip(SKIP_2) | instid1(VALU_DEP_1)
	v_pk_fma_f32 v[18:19], v[30:31], v[90:91], v[18:19] op_sel_hi:[1,1,0] neg_lo:[0,0,1] neg_hi:[0,0,1]
	ds_load_2addr_b64 v[28:31], v148 offset0:28 offset1:29
	v_mov_b32_e32 v19, v15
	v_pk_add_f32 v[106:107], v[106:107], v[18:19] neg_lo:[0,1] neg_hi:[0,1]
	s_wait_dscnt 0x0
	v_pk_mul_f32 v[14:15], v[28:29], v[12:13] op_sel:[0,1]
	s_delay_alu instid0(VALU_DEP_1) | instskip(SKIP_1) | instid1(VALU_DEP_1)
	v_pk_fma_f32 v[18:19], v[28:29], v[10:11], v[14:15] op_sel:[0,0,1] op_sel_hi:[1,1,0] neg_lo:[0,0,1] neg_hi:[0,0,1]
	v_pk_fma_f32 v[14:15], v[28:29], v[10:11], v[14:15] op_sel:[0,0,1] op_sel_hi:[1,0,0]
	v_mov_b32_e32 v19, v15
	v_pk_mul_f32 v[14:15], v[30:31], v[12:13] op_sel:[0,1]
	s_delay_alu instid0(VALU_DEP_2) | instskip(NEXT) | instid1(VALU_DEP_2)
	v_pk_add_f32 v[130:131], v[130:131], v[18:19] neg_lo:[0,1] neg_hi:[0,1]
	v_pk_fma_f32 v[18:19], v[30:31], v[10:11], v[14:15] op_sel:[0,0,1] op_sel_hi:[1,1,0] neg_lo:[0,0,1] neg_hi:[0,0,1]
	v_pk_fma_f32 v[14:15], v[30:31], v[10:11], v[14:15] op_sel:[0,0,1] op_sel_hi:[1,0,0]
	ds_load_2addr_b64 v[28:31], v148 offset0:30 offset1:31
	v_mov_b32_e32 v19, v15
	s_delay_alu instid0(VALU_DEP_1) | instskip(SKIP_2) | instid1(VALU_DEP_1)
	v_pk_add_f32 v[126:127], v[126:127], v[18:19] neg_lo:[0,1] neg_hi:[0,1]
	s_wait_dscnt 0x0
	v_pk_mul_f32 v[14:15], v[28:29], v[12:13] op_sel:[0,1]
	v_pk_fma_f32 v[18:19], v[28:29], v[10:11], v[14:15] op_sel:[0,0,1] op_sel_hi:[1,1,0] neg_lo:[0,0,1] neg_hi:[0,0,1]
	v_pk_fma_f32 v[14:15], v[28:29], v[10:11], v[14:15] op_sel:[0,0,1] op_sel_hi:[1,0,0]
	s_delay_alu instid0(VALU_DEP_1) | instskip(SKIP_1) | instid1(VALU_DEP_2)
	v_mov_b32_e32 v19, v15
	v_pk_mul_f32 v[14:15], v[30:31], v[12:13] op_sel:[0,1]
	v_pk_add_f32 v[128:129], v[128:129], v[18:19] neg_lo:[0,1] neg_hi:[0,1]
	s_delay_alu instid0(VALU_DEP_2) | instskip(SKIP_3) | instid1(VALU_DEP_1)
	v_pk_fma_f32 v[18:19], v[30:31], v[10:11], v[14:15] op_sel:[0,0,1] op_sel_hi:[1,1,0] neg_lo:[0,0,1] neg_hi:[0,0,1]
	v_pk_fma_f32 v[14:15], v[30:31], v[10:11], v[14:15] op_sel:[0,0,1] op_sel_hi:[1,0,0]
	ds_load_2addr_b64 v[28:31], v148 offset0:32 offset1:33
	v_mov_b32_e32 v19, v15
	v_pk_add_f32 v[124:125], v[124:125], v[18:19] neg_lo:[0,1] neg_hi:[0,1]
	s_wait_dscnt 0x0
	v_dual_mul_f32 v18, v29, v10 :: v_dual_mul_f32 v14, v29, v13
	s_delay_alu instid0(VALU_DEP_1) | instskip(NEXT) | instid1(VALU_DEP_2)
	v_pk_fma_f32 v[18:19], v[28:29], v[90:91], v[18:19] op_sel:[1,0,0] op_sel_hi:[0,1,0]
	v_pk_fma_f32 v[14:15], v[28:29], v[90:91], v[14:15] op_sel_hi:[1,1,0] neg_lo:[0,0,1] neg_hi:[0,0,1]
	s_delay_alu instid0(VALU_DEP_2) | instskip(NEXT) | instid1(VALU_DEP_1)
	v_mov_b32_e32 v15, v19
	v_pk_add_f32 v[146:147], v[146:147], v[14:15] neg_lo:[0,1] neg_hi:[0,1]
	v_pk_mul_f32 v[14:15], v[30:31], v[12:13] op_sel:[0,1]
	s_delay_alu instid0(VALU_DEP_1) | instskip(SKIP_3) | instid1(VALU_DEP_1)
	v_pk_fma_f32 v[18:19], v[30:31], v[10:11], v[14:15] op_sel:[0,0,1] op_sel_hi:[1,1,0] neg_lo:[0,0,1] neg_hi:[0,0,1]
	v_pk_fma_f32 v[14:15], v[30:31], v[10:11], v[14:15] op_sel:[0,0,1] op_sel_hi:[1,0,0]
	ds_load_2addr_b64 v[28:31], v148 offset0:34 offset1:35
	v_mov_b32_e32 v19, v15
	v_pk_add_f32 v[142:143], v[142:143], v[18:19] neg_lo:[0,1] neg_hi:[0,1]
	s_wait_dscnt 0x0
	v_pk_mul_f32 v[14:15], v[28:29], v[12:13] op_sel:[0,1]
	s_delay_alu instid0(VALU_DEP_1) | instskip(SKIP_1) | instid1(VALU_DEP_1)
	v_pk_fma_f32 v[18:19], v[28:29], v[10:11], v[14:15] op_sel:[0,0,1] op_sel_hi:[1,1,0] neg_lo:[0,0,1] neg_hi:[0,0,1]
	v_pk_fma_f32 v[14:15], v[28:29], v[10:11], v[14:15] op_sel:[0,0,1] op_sel_hi:[1,0,0]
	v_mov_b32_e32 v19, v15
	v_pk_mul_f32 v[14:15], v[30:31], v[12:13] op_sel:[0,1]
	s_delay_alu instid0(VALU_DEP_2) | instskip(NEXT) | instid1(VALU_DEP_2)
	v_pk_add_f32 v[144:145], v[144:145], v[18:19] neg_lo:[0,1] neg_hi:[0,1]
	v_pk_fma_f32 v[18:19], v[30:31], v[10:11], v[14:15] op_sel:[0,0,1] op_sel_hi:[1,1,0] neg_lo:[0,0,1] neg_hi:[0,0,1]
	v_pk_fma_f32 v[14:15], v[30:31], v[10:11], v[14:15] op_sel:[0,0,1] op_sel_hi:[1,0,0]
	ds_load_2addr_b64 v[28:31], v148 offset0:36 offset1:37
	v_mov_b32_e32 v19, v15
	s_delay_alu instid0(VALU_DEP_1) | instskip(SKIP_2) | instid1(VALU_DEP_1)
	v_pk_add_f32 v[140:141], v[140:141], v[18:19] neg_lo:[0,1] neg_hi:[0,1]
	s_wait_dscnt 0x0
	v_pk_mul_f32 v[14:15], v[28:29], v[12:13] op_sel:[0,1]
	v_pk_fma_f32 v[18:19], v[28:29], v[10:11], v[14:15] op_sel:[0,0,1] op_sel_hi:[1,1,0] neg_lo:[0,0,1] neg_hi:[0,0,1]
	v_pk_fma_f32 v[14:15], v[28:29], v[10:11], v[14:15] op_sel:[0,0,1] op_sel_hi:[1,0,0]
	v_dual_mov_b32 v14, v31 :: v_dual_mul_f32 v28, v31, v10
	s_delay_alu instid0(VALU_DEP_2) | instskip(NEXT) | instid1(VALU_DEP_1)
	v_dual_mov_b32 v19, v15 :: v_dual_mov_b32 v15, v30
	v_pk_add_f32 v[162:163], v[162:163], v[18:19] neg_lo:[0,1] neg_hi:[0,1]
	v_mul_f32_e32 v18, v31, v13
	s_delay_alu instid0(VALU_DEP_3) | instskip(NEXT) | instid1(VALU_DEP_2)
	v_pk_fma_f32 v[14:15], v[14:15], v[90:91], v[28:29] op_sel_hi:[1,1,0]
	v_pk_fma_f32 v[18:19], v[30:31], v[90:91], v[18:19] op_sel_hi:[1,1,0] neg_lo:[0,0,1] neg_hi:[0,0,1]
	ds_load_2addr_b64 v[28:31], v148 offset0:38 offset1:39
	v_mov_b32_e32 v19, v15
	s_delay_alu instid0(VALU_DEP_1) | instskip(SKIP_2) | instid1(VALU_DEP_1)
	v_pk_add_f32 v[158:159], v[158:159], v[18:19] neg_lo:[0,1] neg_hi:[0,1]
	s_wait_dscnt 0x0
	v_pk_mul_f32 v[14:15], v[28:29], v[12:13] op_sel:[0,1]
	v_pk_fma_f32 v[18:19], v[28:29], v[10:11], v[14:15] op_sel:[0,0,1] op_sel_hi:[1,1,0] neg_lo:[0,0,1] neg_hi:[0,0,1]
	v_pk_fma_f32 v[14:15], v[28:29], v[10:11], v[14:15] op_sel:[0,0,1] op_sel_hi:[1,0,0]
	s_delay_alu instid0(VALU_DEP_1) | instskip(SKIP_1) | instid1(VALU_DEP_2)
	v_mov_b32_e32 v19, v15
	v_pk_mul_f32 v[14:15], v[30:31], v[12:13] op_sel:[0,1]
	v_pk_add_f32 v[160:161], v[160:161], v[18:19] neg_lo:[0,1] neg_hi:[0,1]
	s_delay_alu instid0(VALU_DEP_2) | instskip(SKIP_3) | instid1(VALU_DEP_1)
	v_pk_fma_f32 v[18:19], v[30:31], v[10:11], v[14:15] op_sel:[0,0,1] op_sel_hi:[1,1,0] neg_lo:[0,0,1] neg_hi:[0,0,1]
	v_pk_fma_f32 v[14:15], v[30:31], v[10:11], v[14:15] op_sel:[0,0,1] op_sel_hi:[1,0,0]
	ds_load_2addr_b64 v[28:31], v148 offset0:40 offset1:41
	v_mov_b32_e32 v19, v15
	v_pk_add_f32 v[156:157], v[156:157], v[18:19] neg_lo:[0,1] neg_hi:[0,1]
	s_wait_dscnt 0x0
	v_pk_mul_f32 v[14:15], v[28:29], v[12:13] op_sel:[0,1]
	s_delay_alu instid0(VALU_DEP_1) | instskip(SKIP_1) | instid1(VALU_DEP_1)
	v_pk_fma_f32 v[18:19], v[28:29], v[10:11], v[14:15] op_sel:[0,0,1] op_sel_hi:[1,1,0] neg_lo:[0,0,1] neg_hi:[0,0,1]
	v_pk_fma_f32 v[14:15], v[28:29], v[10:11], v[14:15] op_sel:[0,0,1] op_sel_hi:[1,0,0]
	v_mov_b32_e32 v19, v15
	v_pk_mul_f32 v[14:15], v[30:31], v[12:13] op_sel:[0,1]
	s_delay_alu instid0(VALU_DEP_2) | instskip(NEXT) | instid1(VALU_DEP_2)
	v_pk_add_f32 v[178:179], v[178:179], v[18:19] neg_lo:[0,1] neg_hi:[0,1]
	v_pk_fma_f32 v[18:19], v[30:31], v[10:11], v[14:15] op_sel:[0,0,1] op_sel_hi:[1,1,0] neg_lo:[0,0,1] neg_hi:[0,0,1]
	v_pk_fma_f32 v[14:15], v[30:31], v[10:11], v[14:15] op_sel:[0,0,1] op_sel_hi:[1,0,0]
	ds_load_2addr_b64 v[28:31], v148 offset0:42 offset1:43
	v_mov_b32_e32 v19, v15
	s_delay_alu instid0(VALU_DEP_1) | instskip(SKIP_2) | instid1(VALU_DEP_1)
	v_pk_add_f32 v[174:175], v[174:175], v[18:19] neg_lo:[0,1] neg_hi:[0,1]
	s_wait_dscnt 0x0
	v_dual_mul_f32 v18, v29, v10 :: v_dual_mul_f32 v14, v29, v13
	v_pk_fma_f32 v[18:19], v[28:29], v[90:91], v[18:19] op_sel:[1,0,0] op_sel_hi:[0,1,0]
	s_delay_alu instid0(VALU_DEP_2) | instskip(NEXT) | instid1(VALU_DEP_2)
	v_pk_fma_f32 v[14:15], v[28:29], v[90:91], v[14:15] op_sel_hi:[1,1,0] neg_lo:[0,0,1] neg_hi:[0,0,1]
	v_mov_b32_e32 v15, v19
	s_delay_alu instid0(VALU_DEP_1) | instskip(SKIP_1) | instid1(VALU_DEP_1)
	v_pk_add_f32 v[176:177], v[176:177], v[14:15] neg_lo:[0,1] neg_hi:[0,1]
	v_pk_mul_f32 v[14:15], v[30:31], v[12:13] op_sel:[0,1]
	v_pk_fma_f32 v[18:19], v[30:31], v[10:11], v[14:15] op_sel:[0,0,1] op_sel_hi:[1,1,0] neg_lo:[0,0,1] neg_hi:[0,0,1]
	v_pk_fma_f32 v[14:15], v[30:31], v[10:11], v[14:15] op_sel:[0,0,1] op_sel_hi:[1,0,0]
	ds_load_2addr_b64 v[28:31], v148 offset0:44 offset1:45
	v_mov_b32_e32 v19, v15
	s_delay_alu instid0(VALU_DEP_1) | instskip(SKIP_2) | instid1(VALU_DEP_1)
	v_pk_add_f32 v[172:173], v[172:173], v[18:19] neg_lo:[0,1] neg_hi:[0,1]
	s_wait_dscnt 0x0
	v_pk_mul_f32 v[14:15], v[28:29], v[12:13] op_sel:[0,1]
	v_pk_fma_f32 v[18:19], v[28:29], v[10:11], v[14:15] op_sel:[0,0,1] op_sel_hi:[1,1,0] neg_lo:[0,0,1] neg_hi:[0,0,1]
	v_pk_fma_f32 v[14:15], v[28:29], v[10:11], v[14:15] op_sel:[0,0,1] op_sel_hi:[1,0,0]
	s_delay_alu instid0(VALU_DEP_1) | instskip(SKIP_1) | instid1(VALU_DEP_2)
	v_mov_b32_e32 v19, v15
	v_pk_mul_f32 v[14:15], v[30:31], v[12:13] op_sel:[0,1]
	v_pk_add_f32 v[196:197], v[196:197], v[18:19] neg_lo:[0,1] neg_hi:[0,1]
	s_delay_alu instid0(VALU_DEP_2) | instskip(SKIP_3) | instid1(VALU_DEP_1)
	v_pk_fma_f32 v[18:19], v[30:31], v[10:11], v[14:15] op_sel:[0,0,1] op_sel_hi:[1,1,0] neg_lo:[0,0,1] neg_hi:[0,0,1]
	v_pk_fma_f32 v[14:15], v[30:31], v[10:11], v[14:15] op_sel:[0,0,1] op_sel_hi:[1,0,0]
	ds_load_2addr_b64 v[28:31], v148 offset0:46 offset1:47
	v_mov_b32_e32 v19, v15
	v_pk_add_f32 v[192:193], v[192:193], v[18:19] neg_lo:[0,1] neg_hi:[0,1]
	s_wait_dscnt 0x0
	v_pk_mul_f32 v[14:15], v[28:29], v[12:13] op_sel:[0,1]
	s_delay_alu instid0(VALU_DEP_1) | instskip(SKIP_2) | instid1(VALU_DEP_2)
	v_pk_fma_f32 v[18:19], v[28:29], v[10:11], v[14:15] op_sel:[0,0,1] op_sel_hi:[1,1,0] neg_lo:[0,0,1] neg_hi:[0,0,1]
	v_pk_fma_f32 v[14:15], v[28:29], v[10:11], v[14:15] op_sel:[0,0,1] op_sel_hi:[1,0,0]
	v_dual_mov_b32 v14, v31 :: v_dual_mul_f32 v28, v31, v10
	v_dual_mov_b32 v19, v15 :: v_dual_mov_b32 v15, v30
	s_delay_alu instid0(VALU_DEP_1) | instskip(SKIP_1) | instid1(VALU_DEP_3)
	v_pk_add_f32 v[194:195], v[194:195], v[18:19] neg_lo:[0,1] neg_hi:[0,1]
	v_mul_f32_e32 v18, v31, v13
	v_pk_fma_f32 v[14:15], v[14:15], v[90:91], v[28:29] op_sel_hi:[1,1,0]
	s_delay_alu instid0(VALU_DEP_2) | instskip(SKIP_2) | instid1(VALU_DEP_1)
	v_pk_fma_f32 v[18:19], v[30:31], v[90:91], v[18:19] op_sel_hi:[1,1,0] neg_lo:[0,0,1] neg_hi:[0,0,1]
	ds_load_2addr_b64 v[28:31], v148 offset0:48 offset1:49
	v_mov_b32_e32 v19, v15
	v_pk_add_f32 v[190:191], v[190:191], v[18:19] neg_lo:[0,1] neg_hi:[0,1]
	s_wait_dscnt 0x0
	v_pk_mul_f32 v[14:15], v[28:29], v[12:13] op_sel:[0,1]
	s_delay_alu instid0(VALU_DEP_1) | instskip(SKIP_1) | instid1(VALU_DEP_1)
	v_pk_fma_f32 v[18:19], v[28:29], v[10:11], v[14:15] op_sel:[0,0,1] op_sel_hi:[1,1,0] neg_lo:[0,0,1] neg_hi:[0,0,1]
	v_pk_fma_f32 v[14:15], v[28:29], v[10:11], v[14:15] op_sel:[0,0,1] op_sel_hi:[1,0,0]
	v_mov_b32_e32 v19, v15
	v_pk_mul_f32 v[14:15], v[30:31], v[12:13] op_sel:[0,1]
	s_delay_alu instid0(VALU_DEP_2) | instskip(NEXT) | instid1(VALU_DEP_2)
	v_pk_add_f32 v[212:213], v[212:213], v[18:19] neg_lo:[0,1] neg_hi:[0,1]
	v_pk_fma_f32 v[18:19], v[30:31], v[10:11], v[14:15] op_sel:[0,0,1] op_sel_hi:[1,1,0] neg_lo:[0,0,1] neg_hi:[0,0,1]
	v_pk_fma_f32 v[14:15], v[30:31], v[10:11], v[14:15] op_sel:[0,0,1] op_sel_hi:[1,0,0]
	ds_load_2addr_b64 v[28:31], v148 offset0:50 offset1:51
	v_mov_b32_e32 v19, v15
	s_delay_alu instid0(VALU_DEP_1) | instskip(SKIP_2) | instid1(VALU_DEP_1)
	v_pk_add_f32 v[208:209], v[208:209], v[18:19] neg_lo:[0,1] neg_hi:[0,1]
	s_wait_dscnt 0x0
	v_pk_mul_f32 v[14:15], v[28:29], v[12:13] op_sel:[0,1]
	v_pk_fma_f32 v[18:19], v[28:29], v[10:11], v[14:15] op_sel:[0,0,1] op_sel_hi:[1,1,0] neg_lo:[0,0,1] neg_hi:[0,0,1]
	v_pk_fma_f32 v[14:15], v[28:29], v[10:11], v[14:15] op_sel:[0,0,1] op_sel_hi:[1,0,0]
	s_delay_alu instid0(VALU_DEP_1) | instskip(SKIP_1) | instid1(VALU_DEP_2)
	v_mov_b32_e32 v19, v15
	v_pk_mul_f32 v[14:15], v[30:31], v[12:13] op_sel:[0,1]
	v_pk_add_f32 v[210:211], v[210:211], v[18:19] neg_lo:[0,1] neg_hi:[0,1]
	s_delay_alu instid0(VALU_DEP_2) | instskip(SKIP_3) | instid1(VALU_DEP_1)
	v_pk_fma_f32 v[18:19], v[30:31], v[10:11], v[14:15] op_sel:[0,0,1] op_sel_hi:[1,1,0] neg_lo:[0,0,1] neg_hi:[0,0,1]
	v_pk_fma_f32 v[14:15], v[30:31], v[10:11], v[14:15] op_sel:[0,0,1] op_sel_hi:[1,0,0]
	ds_load_2addr_b64 v[28:31], v148 offset0:52 offset1:53
	v_mov_b32_e32 v19, v15
	v_pk_add_f32 v[206:207], v[206:207], v[18:19] neg_lo:[0,1] neg_hi:[0,1]
	s_wait_dscnt 0x0
	v_mul_f32_e32 v12, v29, v13
	s_delay_alu instid0(VALU_DEP_1) | instskip(SKIP_1) | instid1(VALU_DEP_1)
	v_pk_fma_f32 v[14:15], v[28:29], v[90:91], v[12:13] op_sel_hi:[1,1,0] neg_lo:[0,0,1] neg_hi:[0,0,1]
	v_dual_mul_f32 v12, v29, v10 :: v_dual_mul_f32 v10, v31, v10
	v_pk_fma_f32 v[18:19], v[28:29], v[90:91], v[12:13] op_sel:[1,0,0] op_sel_hi:[0,1,0]
	v_mul_f32_e32 v12, v31, v13
	s_delay_alu instid0(VALU_DEP_2) | instskip(NEXT) | instid1(VALU_DEP_2)
	v_mov_b32_e32 v15, v19
	v_pk_fma_f32 v[12:13], v[30:31], v[90:91], v[12:13] op_sel_hi:[1,1,0] neg_lo:[0,0,1] neg_hi:[0,0,1]
	s_delay_alu instid0(VALU_DEP_2) | instskip(SKIP_1) | instid1(VALU_DEP_1)
	v_pk_add_f32 v[214:215], v[214:215], v[14:15] neg_lo:[0,1] neg_hi:[0,1]
	v_dual_mov_b32 v14, v31 :: v_dual_mov_b32 v15, v30
	v_pk_fma_f32 v[10:11], v[14:15], v[90:91], v[10:11] op_sel_hi:[1,1,0]
	s_delay_alu instid0(VALU_DEP_1) | instskip(NEXT) | instid1(VALU_DEP_1)
	v_mov_b32_e32 v13, v11
	v_pk_add_f32 v[216:217], v[216:217], v[12:13] neg_lo:[0,1] neg_hi:[0,1]
.LBB107_217:
	s_or_b32 exec_lo, exec_lo, s1
	s_delay_alu instid0(SALU_CYCLE_1)
	s_mov_b32 s2, exec_lo
	s_wait_dscnt 0x0
	s_barrier_signal -1
	s_barrier_wait -1
	v_cmpx_eq_u32_e32 24, v138
	s_cbranch_execz .LBB107_224
; %bb.218:
	ds_store_b64 v139, v[112:113]
	ds_store_2addr_b64 v148, v[108:109], v[110:111] offset0:25 offset1:26
	ds_store_2addr_b64 v148, v[106:107], v[130:131] offset0:27 offset1:28
	;; [unrolled: 1-line block ×14, first 2 shown]
	ds_store_b64 v148, v[216:217] offset:424
	ds_load_b64 v[10:11], v139
	s_wait_dscnt 0x0
	v_cmp_neq_f32_e32 vcc_lo, 0, v10
	v_cmp_neq_f32_e64 s1, 0, v11
	s_or_b32 s1, vcc_lo, s1
	s_delay_alu instid0(SALU_CYCLE_1)
	s_and_b32 exec_lo, exec_lo, s1
	s_cbranch_execz .LBB107_224
; %bb.219:
	v_cmp_ngt_f32_e64 s1, |v10|, |v11|
                                        ; implicit-def: $vgpr12_vgpr13
	s_and_saveexec_b32 s4, s1
	s_delay_alu instid0(SALU_CYCLE_1)
	s_xor_b32 s1, exec_lo, s4
	s_cbranch_execz .LBB107_221
; %bb.220:
	v_div_scale_f32 v12, null, v11, v11, v10
	v_div_scale_f32 v15, vcc_lo, v10, v11, v10
	s_delay_alu instid0(VALU_DEP_2) | instskip(SKIP_1) | instid1(TRANS32_DEP_1)
	v_rcp_f32_e32 v13, v12
	v_nop
	v_fma_f32 v14, -v12, v13, 1.0
	s_delay_alu instid0(VALU_DEP_1) | instskip(NEXT) | instid1(VALU_DEP_1)
	v_fmac_f32_e32 v13, v14, v13
	v_mul_f32_e32 v14, v15, v13
	s_delay_alu instid0(VALU_DEP_1) | instskip(NEXT) | instid1(VALU_DEP_1)
	v_fma_f32 v18, -v12, v14, v15
	v_fmac_f32_e32 v14, v18, v13
	s_delay_alu instid0(VALU_DEP_1) | instskip(NEXT) | instid1(VALU_DEP_1)
	v_fma_f32 v12, -v12, v14, v15
	v_div_fmas_f32 v12, v12, v13, v14
	s_delay_alu instid0(VALU_DEP_1) | instskip(NEXT) | instid1(VALU_DEP_1)
	v_div_fixup_f32 v12, v12, v11, v10
	v_fmac_f32_e32 v11, v10, v12
	s_delay_alu instid0(VALU_DEP_1) | instskip(SKIP_1) | instid1(VALU_DEP_2)
	v_div_scale_f32 v10, null, v11, v11, 1.0
	v_div_scale_f32 v15, vcc_lo, 1.0, v11, 1.0
	v_rcp_f32_e32 v13, v10
	v_nop
	s_delay_alu instid0(TRANS32_DEP_1) | instskip(NEXT) | instid1(VALU_DEP_1)
	v_fma_f32 v14, -v10, v13, 1.0
	v_fmac_f32_e32 v13, v14, v13
	s_delay_alu instid0(VALU_DEP_1) | instskip(NEXT) | instid1(VALU_DEP_1)
	v_mul_f32_e32 v14, v15, v13
	v_fma_f32 v18, -v10, v14, v15
	s_delay_alu instid0(VALU_DEP_1) | instskip(NEXT) | instid1(VALU_DEP_1)
	v_fmac_f32_e32 v14, v18, v13
	v_fma_f32 v10, -v10, v14, v15
	s_delay_alu instid0(VALU_DEP_1) | instskip(NEXT) | instid1(VALU_DEP_1)
	v_div_fmas_f32 v10, v10, v13, v14
	v_div_fixup_f32 v10, v10, v11, 1.0
	s_delay_alu instid0(VALU_DEP_1)
	v_mul_f32_e32 v12, v12, v10
	v_xor_b32_e32 v13, 0x80000000, v10
                                        ; implicit-def: $vgpr10_vgpr11
.LBB107_221:
	s_and_not1_saveexec_b32 s1, s1
	s_cbranch_execz .LBB107_223
; %bb.222:
	v_div_scale_f32 v12, null, v10, v10, v11
	v_div_scale_f32 v15, vcc_lo, v11, v10, v11
	s_delay_alu instid0(VALU_DEP_2) | instskip(SKIP_1) | instid1(TRANS32_DEP_1)
	v_rcp_f32_e32 v13, v12
	v_nop
	v_fma_f32 v14, -v12, v13, 1.0
	s_delay_alu instid0(VALU_DEP_1) | instskip(NEXT) | instid1(VALU_DEP_1)
	v_fmac_f32_e32 v13, v14, v13
	v_mul_f32_e32 v14, v15, v13
	s_delay_alu instid0(VALU_DEP_1) | instskip(NEXT) | instid1(VALU_DEP_1)
	v_fma_f32 v18, -v12, v14, v15
	v_fmac_f32_e32 v14, v18, v13
	s_delay_alu instid0(VALU_DEP_1) | instskip(NEXT) | instid1(VALU_DEP_1)
	v_fma_f32 v12, -v12, v14, v15
	v_div_fmas_f32 v12, v12, v13, v14
	s_delay_alu instid0(VALU_DEP_1) | instskip(NEXT) | instid1(VALU_DEP_1)
	v_div_fixup_f32 v13, v12, v10, v11
	v_fmac_f32_e32 v10, v11, v13
	s_delay_alu instid0(VALU_DEP_1) | instskip(NEXT) | instid1(VALU_DEP_1)
	v_div_scale_f32 v11, null, v10, v10, 1.0
	v_rcp_f32_e32 v12, v11
	v_nop
	s_delay_alu instid0(TRANS32_DEP_1) | instskip(NEXT) | instid1(VALU_DEP_1)
	v_fma_f32 v14, -v11, v12, 1.0
	v_fmac_f32_e32 v12, v14, v12
	v_div_scale_f32 v14, vcc_lo, 1.0, v10, 1.0
	s_delay_alu instid0(VALU_DEP_1) | instskip(NEXT) | instid1(VALU_DEP_1)
	v_mul_f32_e32 v15, v14, v12
	v_fma_f32 v18, -v11, v15, v14
	s_delay_alu instid0(VALU_DEP_1) | instskip(NEXT) | instid1(VALU_DEP_1)
	v_fmac_f32_e32 v15, v18, v12
	v_fma_f32 v11, -v11, v15, v14
	s_delay_alu instid0(VALU_DEP_1) | instskip(NEXT) | instid1(VALU_DEP_1)
	v_div_fmas_f32 v11, v11, v12, v15
	v_div_fixup_f32 v12, v11, v10, 1.0
	s_delay_alu instid0(VALU_DEP_1)
	v_mul_f32_e64 v13, v13, -v12
.LBB107_223:
	s_or_b32 exec_lo, exec_lo, s1
	ds_store_b64 v139, v[12:13]
.LBB107_224:
	s_or_b32 exec_lo, exec_lo, s2
	s_wait_dscnt 0x0
	s_barrier_signal -1
	s_barrier_wait -1
	ds_load_b64 v[10:11], v139
	s_mov_b32 s1, exec_lo
	v_cmpx_lt_u32_e32 24, v138
	s_cbranch_execz .LBB107_226
; %bb.225:
	ds_load_2addr_b64 v[28:31], v148 offset0:25 offset1:26
	s_wait_dscnt 0x1
	v_pk_mul_f32 v[14:15], v[10:11], v[112:113] op_sel:[1,1] op_sel_hi:[0,1]
	s_delay_alu instid0(VALU_DEP_1) | instskip(SKIP_1) | instid1(VALU_DEP_1)
	v_pk_fma_f32 v[12:13], v[10:11], v[112:113], v[14:15] op_sel_hi:[1,0,1] neg_lo:[0,0,1] neg_hi:[0,0,1]
	v_pk_fma_f32 v[14:15], v[10:11], v[112:113], v[14:15] op_sel_hi:[1,0,1]
	v_dual_mov_b32 v112, v12 :: v_dual_mov_b32 v113, v15
	s_wait_dscnt 0x0
	s_delay_alu instid0(VALU_DEP_2) | instskip(NEXT) | instid1(VALU_DEP_1)
	v_pk_mul_f32 v[18:19], v[28:29], v[14:15] op_sel:[0,1]
	v_pk_fma_f32 v[32:33], v[28:29], v[12:13], v[18:19] op_sel:[0,0,1] op_sel_hi:[1,1,0] neg_lo:[0,0,1] neg_hi:[0,0,1]
	v_pk_fma_f32 v[18:19], v[28:29], v[12:13], v[18:19] op_sel:[0,0,1] op_sel_hi:[1,0,0]
	s_delay_alu instid0(VALU_DEP_1) | instskip(SKIP_1) | instid1(VALU_DEP_1)
	v_mov_b32_e32 v33, v19
	v_pk_mul_f32 v[18:19], v[30:31], v[14:15] op_sel:[0,1]
	v_pk_fma_f32 v[28:29], v[30:31], v[12:13], v[18:19] op_sel:[0,0,1] op_sel_hi:[1,1,0] neg_lo:[0,0,1] neg_hi:[0,0,1]
	v_pk_fma_f32 v[18:19], v[30:31], v[12:13], v[18:19] op_sel:[0,0,1] op_sel_hi:[1,0,0]
	s_delay_alu instid0(VALU_DEP_1) | instskip(SKIP_1) | instid1(VALU_DEP_2)
	v_mov_b32_e32 v29, v19
	v_pk_add_f32 v[108:109], v[108:109], v[32:33] neg_lo:[0,1] neg_hi:[0,1]
	v_pk_add_f32 v[110:111], v[110:111], v[28:29] neg_lo:[0,1] neg_hi:[0,1]
	ds_load_2addr_b64 v[28:31], v148 offset0:27 offset1:28
	s_wait_dscnt 0x0
	v_pk_mul_f32 v[18:19], v[28:29], v[14:15] op_sel:[0,1]
	s_delay_alu instid0(VALU_DEP_1) | instskip(SKIP_2) | instid1(VALU_DEP_2)
	v_pk_fma_f32 v[32:33], v[28:29], v[12:13], v[18:19] op_sel:[0,0,1] op_sel_hi:[1,1,0] neg_lo:[0,0,1] neg_hi:[0,0,1]
	v_pk_fma_f32 v[18:19], v[28:29], v[12:13], v[18:19] op_sel:[0,0,1] op_sel_hi:[1,0,0]
	v_dual_mul_f32 v28, v31, v15 :: v_dual_mov_b32 v18, v31
	v_dual_mov_b32 v33, v19 :: v_dual_mov_b32 v19, v30
	s_delay_alu instid0(VALU_DEP_2) | instskip(SKIP_1) | instid1(VALU_DEP_3)
	v_pk_fma_f32 v[28:29], v[30:31], v[112:113], v[28:29] op_sel_hi:[1,1,0] neg_lo:[0,0,1] neg_hi:[0,0,1]
	v_mul_f32_e32 v30, v31, v12
	v_pk_add_f32 v[106:107], v[106:107], v[32:33] neg_lo:[0,1] neg_hi:[0,1]
	s_delay_alu instid0(VALU_DEP_2) | instskip(NEXT) | instid1(VALU_DEP_1)
	v_pk_fma_f32 v[18:19], v[18:19], v[112:113], v[30:31] op_sel_hi:[1,1,0]
	v_mov_b32_e32 v29, v19
	s_delay_alu instid0(VALU_DEP_1) | instskip(SKIP_3) | instid1(VALU_DEP_1)
	v_pk_add_f32 v[130:131], v[130:131], v[28:29] neg_lo:[0,1] neg_hi:[0,1]
	ds_load_2addr_b64 v[28:31], v148 offset0:29 offset1:30
	s_wait_dscnt 0x0
	v_pk_mul_f32 v[18:19], v[28:29], v[14:15] op_sel:[0,1]
	v_pk_fma_f32 v[32:33], v[28:29], v[12:13], v[18:19] op_sel:[0,0,1] op_sel_hi:[1,1,0] neg_lo:[0,0,1] neg_hi:[0,0,1]
	v_pk_fma_f32 v[18:19], v[28:29], v[12:13], v[18:19] op_sel:[0,0,1] op_sel_hi:[1,0,0]
	s_delay_alu instid0(VALU_DEP_1) | instskip(SKIP_1) | instid1(VALU_DEP_2)
	v_mov_b32_e32 v33, v19
	v_pk_mul_f32 v[18:19], v[30:31], v[14:15] op_sel:[0,1]
	v_pk_add_f32 v[126:127], v[126:127], v[32:33] neg_lo:[0,1] neg_hi:[0,1]
	s_delay_alu instid0(VALU_DEP_2) | instskip(SKIP_1) | instid1(VALU_DEP_1)
	v_pk_fma_f32 v[28:29], v[30:31], v[12:13], v[18:19] op_sel:[0,0,1] op_sel_hi:[1,1,0] neg_lo:[0,0,1] neg_hi:[0,0,1]
	v_pk_fma_f32 v[18:19], v[30:31], v[12:13], v[18:19] op_sel:[0,0,1] op_sel_hi:[1,0,0]
	v_mov_b32_e32 v29, v19
	s_delay_alu instid0(VALU_DEP_1) | instskip(SKIP_3) | instid1(VALU_DEP_1)
	v_pk_add_f32 v[128:129], v[128:129], v[28:29] neg_lo:[0,1] neg_hi:[0,1]
	ds_load_2addr_b64 v[28:31], v148 offset0:31 offset1:32
	s_wait_dscnt 0x0
	v_pk_mul_f32 v[18:19], v[28:29], v[14:15] op_sel:[0,1]
	v_pk_fma_f32 v[32:33], v[28:29], v[12:13], v[18:19] op_sel:[0,0,1] op_sel_hi:[1,1,0] neg_lo:[0,0,1] neg_hi:[0,0,1]
	v_pk_fma_f32 v[18:19], v[28:29], v[12:13], v[18:19] op_sel:[0,0,1] op_sel_hi:[1,0,0]
	s_delay_alu instid0(VALU_DEP_1) | instskip(SKIP_1) | instid1(VALU_DEP_2)
	v_mov_b32_e32 v33, v19
	v_pk_mul_f32 v[18:19], v[30:31], v[14:15] op_sel:[0,1]
	v_pk_add_f32 v[124:125], v[124:125], v[32:33] neg_lo:[0,1] neg_hi:[0,1]
	s_delay_alu instid0(VALU_DEP_2) | instskip(SKIP_1) | instid1(VALU_DEP_1)
	v_pk_fma_f32 v[28:29], v[30:31], v[12:13], v[18:19] op_sel:[0,0,1] op_sel_hi:[1,1,0] neg_lo:[0,0,1] neg_hi:[0,0,1]
	v_pk_fma_f32 v[18:19], v[30:31], v[12:13], v[18:19] op_sel:[0,0,1] op_sel_hi:[1,0,0]
	v_mov_b32_e32 v29, v19
	s_delay_alu instid0(VALU_DEP_1) | instskip(SKIP_3) | instid1(VALU_DEP_1)
	v_pk_add_f32 v[146:147], v[146:147], v[28:29] neg_lo:[0,1] neg_hi:[0,1]
	ds_load_2addr_b64 v[28:31], v148 offset0:33 offset1:34
	s_wait_dscnt 0x0
	v_dual_mul_f32 v18, v29, v15 :: v_dual_mul_f32 v32, v29, v12
	v_pk_fma_f32 v[18:19], v[28:29], v[112:113], v[18:19] op_sel_hi:[1,1,0] neg_lo:[0,0,1] neg_hi:[0,0,1]
	s_delay_alu instid0(VALU_DEP_2) | instskip(NEXT) | instid1(VALU_DEP_1)
	v_pk_fma_f32 v[28:29], v[28:29], v[112:113], v[32:33] op_sel:[1,0,0] op_sel_hi:[0,1,0]
	v_mov_b32_e32 v19, v29
	s_delay_alu instid0(VALU_DEP_1) | instskip(SKIP_1) | instid1(VALU_DEP_1)
	v_pk_add_f32 v[142:143], v[142:143], v[18:19] neg_lo:[0,1] neg_hi:[0,1]
	v_pk_mul_f32 v[18:19], v[30:31], v[14:15] op_sel:[0,1]
	v_pk_fma_f32 v[28:29], v[30:31], v[12:13], v[18:19] op_sel:[0,0,1] op_sel_hi:[1,1,0] neg_lo:[0,0,1] neg_hi:[0,0,1]
	v_pk_fma_f32 v[18:19], v[30:31], v[12:13], v[18:19] op_sel:[0,0,1] op_sel_hi:[1,0,0]
	s_delay_alu instid0(VALU_DEP_1) | instskip(NEXT) | instid1(VALU_DEP_1)
	v_mov_b32_e32 v29, v19
	v_pk_add_f32 v[144:145], v[144:145], v[28:29] neg_lo:[0,1] neg_hi:[0,1]
	ds_load_2addr_b64 v[28:31], v148 offset0:35 offset1:36
	s_wait_dscnt 0x0
	v_pk_mul_f32 v[18:19], v[28:29], v[14:15] op_sel:[0,1]
	s_delay_alu instid0(VALU_DEP_1) | instskip(SKIP_1) | instid1(VALU_DEP_1)
	v_pk_fma_f32 v[32:33], v[28:29], v[12:13], v[18:19] op_sel:[0,0,1] op_sel_hi:[1,1,0] neg_lo:[0,0,1] neg_hi:[0,0,1]
	v_pk_fma_f32 v[18:19], v[28:29], v[12:13], v[18:19] op_sel:[0,0,1] op_sel_hi:[1,0,0]
	v_mov_b32_e32 v33, v19
	v_pk_mul_f32 v[18:19], v[30:31], v[14:15] op_sel:[0,1]
	s_delay_alu instid0(VALU_DEP_2) | instskip(NEXT) | instid1(VALU_DEP_2)
	v_pk_add_f32 v[140:141], v[140:141], v[32:33] neg_lo:[0,1] neg_hi:[0,1]
	v_pk_fma_f32 v[28:29], v[30:31], v[12:13], v[18:19] op_sel:[0,0,1] op_sel_hi:[1,1,0] neg_lo:[0,0,1] neg_hi:[0,0,1]
	v_pk_fma_f32 v[18:19], v[30:31], v[12:13], v[18:19] op_sel:[0,0,1] op_sel_hi:[1,0,0]
	s_delay_alu instid0(VALU_DEP_1) | instskip(NEXT) | instid1(VALU_DEP_1)
	v_mov_b32_e32 v29, v19
	v_pk_add_f32 v[162:163], v[162:163], v[28:29] neg_lo:[0,1] neg_hi:[0,1]
	ds_load_2addr_b64 v[28:31], v148 offset0:37 offset1:38
	s_wait_dscnt 0x0
	v_pk_mul_f32 v[18:19], v[28:29], v[14:15] op_sel:[0,1]
	s_delay_alu instid0(VALU_DEP_1) | instskip(SKIP_2) | instid1(VALU_DEP_2)
	v_pk_fma_f32 v[32:33], v[28:29], v[12:13], v[18:19] op_sel:[0,0,1] op_sel_hi:[1,1,0] neg_lo:[0,0,1] neg_hi:[0,0,1]
	v_pk_fma_f32 v[18:19], v[28:29], v[12:13], v[18:19] op_sel:[0,0,1] op_sel_hi:[1,0,0]
	v_dual_mul_f32 v28, v31, v15 :: v_dual_mov_b32 v18, v31
	v_dual_mov_b32 v33, v19 :: v_dual_mov_b32 v19, v30
	s_delay_alu instid0(VALU_DEP_2) | instskip(SKIP_1) | instid1(VALU_DEP_3)
	v_pk_fma_f32 v[28:29], v[30:31], v[112:113], v[28:29] op_sel_hi:[1,1,0] neg_lo:[0,0,1] neg_hi:[0,0,1]
	v_mul_f32_e32 v30, v31, v12
	v_pk_add_f32 v[158:159], v[158:159], v[32:33] neg_lo:[0,1] neg_hi:[0,1]
	s_delay_alu instid0(VALU_DEP_2) | instskip(NEXT) | instid1(VALU_DEP_1)
	v_pk_fma_f32 v[18:19], v[18:19], v[112:113], v[30:31] op_sel_hi:[1,1,0]
	v_mov_b32_e32 v29, v19
	s_delay_alu instid0(VALU_DEP_1) | instskip(SKIP_3) | instid1(VALU_DEP_1)
	v_pk_add_f32 v[160:161], v[160:161], v[28:29] neg_lo:[0,1] neg_hi:[0,1]
	ds_load_2addr_b64 v[28:31], v148 offset0:39 offset1:40
	s_wait_dscnt 0x0
	v_pk_mul_f32 v[18:19], v[28:29], v[14:15] op_sel:[0,1]
	v_pk_fma_f32 v[32:33], v[28:29], v[12:13], v[18:19] op_sel:[0,0,1] op_sel_hi:[1,1,0] neg_lo:[0,0,1] neg_hi:[0,0,1]
	v_pk_fma_f32 v[18:19], v[28:29], v[12:13], v[18:19] op_sel:[0,0,1] op_sel_hi:[1,0,0]
	s_delay_alu instid0(VALU_DEP_1) | instskip(SKIP_1) | instid1(VALU_DEP_2)
	v_mov_b32_e32 v33, v19
	v_pk_mul_f32 v[18:19], v[30:31], v[14:15] op_sel:[0,1]
	v_pk_add_f32 v[156:157], v[156:157], v[32:33] neg_lo:[0,1] neg_hi:[0,1]
	s_delay_alu instid0(VALU_DEP_2) | instskip(SKIP_1) | instid1(VALU_DEP_1)
	v_pk_fma_f32 v[28:29], v[30:31], v[12:13], v[18:19] op_sel:[0,0,1] op_sel_hi:[1,1,0] neg_lo:[0,0,1] neg_hi:[0,0,1]
	v_pk_fma_f32 v[18:19], v[30:31], v[12:13], v[18:19] op_sel:[0,0,1] op_sel_hi:[1,0,0]
	v_mov_b32_e32 v29, v19
	s_delay_alu instid0(VALU_DEP_1) | instskip(SKIP_3) | instid1(VALU_DEP_1)
	v_pk_add_f32 v[178:179], v[178:179], v[28:29] neg_lo:[0,1] neg_hi:[0,1]
	ds_load_2addr_b64 v[28:31], v148 offset0:41 offset1:42
	s_wait_dscnt 0x0
	v_pk_mul_f32 v[18:19], v[28:29], v[14:15] op_sel:[0,1]
	v_pk_fma_f32 v[32:33], v[28:29], v[12:13], v[18:19] op_sel:[0,0,1] op_sel_hi:[1,1,0] neg_lo:[0,0,1] neg_hi:[0,0,1]
	v_pk_fma_f32 v[18:19], v[28:29], v[12:13], v[18:19] op_sel:[0,0,1] op_sel_hi:[1,0,0]
	s_delay_alu instid0(VALU_DEP_1) | instskip(SKIP_1) | instid1(VALU_DEP_2)
	v_mov_b32_e32 v33, v19
	v_pk_mul_f32 v[18:19], v[30:31], v[14:15] op_sel:[0,1]
	v_pk_add_f32 v[174:175], v[174:175], v[32:33] neg_lo:[0,1] neg_hi:[0,1]
	s_delay_alu instid0(VALU_DEP_2) | instskip(SKIP_1) | instid1(VALU_DEP_1)
	v_pk_fma_f32 v[28:29], v[30:31], v[12:13], v[18:19] op_sel:[0,0,1] op_sel_hi:[1,1,0] neg_lo:[0,0,1] neg_hi:[0,0,1]
	v_pk_fma_f32 v[18:19], v[30:31], v[12:13], v[18:19] op_sel:[0,0,1] op_sel_hi:[1,0,0]
	v_mov_b32_e32 v29, v19
	s_delay_alu instid0(VALU_DEP_1) | instskip(SKIP_3) | instid1(VALU_DEP_1)
	v_pk_add_f32 v[176:177], v[176:177], v[28:29] neg_lo:[0,1] neg_hi:[0,1]
	ds_load_2addr_b64 v[28:31], v148 offset0:43 offset1:44
	s_wait_dscnt 0x0
	v_dual_mul_f32 v18, v29, v15 :: v_dual_mul_f32 v32, v29, v12
	v_pk_fma_f32 v[18:19], v[28:29], v[112:113], v[18:19] op_sel_hi:[1,1,0] neg_lo:[0,0,1] neg_hi:[0,0,1]
	s_delay_alu instid0(VALU_DEP_2) | instskip(NEXT) | instid1(VALU_DEP_1)
	v_pk_fma_f32 v[28:29], v[28:29], v[112:113], v[32:33] op_sel:[1,0,0] op_sel_hi:[0,1,0]
	v_mov_b32_e32 v19, v29
	s_delay_alu instid0(VALU_DEP_1) | instskip(SKIP_1) | instid1(VALU_DEP_1)
	v_pk_add_f32 v[172:173], v[172:173], v[18:19] neg_lo:[0,1] neg_hi:[0,1]
	v_pk_mul_f32 v[18:19], v[30:31], v[14:15] op_sel:[0,1]
	v_pk_fma_f32 v[28:29], v[30:31], v[12:13], v[18:19] op_sel:[0,0,1] op_sel_hi:[1,1,0] neg_lo:[0,0,1] neg_hi:[0,0,1]
	v_pk_fma_f32 v[18:19], v[30:31], v[12:13], v[18:19] op_sel:[0,0,1] op_sel_hi:[1,0,0]
	s_delay_alu instid0(VALU_DEP_1) | instskip(NEXT) | instid1(VALU_DEP_1)
	v_mov_b32_e32 v29, v19
	v_pk_add_f32 v[196:197], v[196:197], v[28:29] neg_lo:[0,1] neg_hi:[0,1]
	ds_load_2addr_b64 v[28:31], v148 offset0:45 offset1:46
	s_wait_dscnt 0x0
	v_pk_mul_f32 v[18:19], v[28:29], v[14:15] op_sel:[0,1]
	s_delay_alu instid0(VALU_DEP_1) | instskip(SKIP_1) | instid1(VALU_DEP_1)
	v_pk_fma_f32 v[32:33], v[28:29], v[12:13], v[18:19] op_sel:[0,0,1] op_sel_hi:[1,1,0] neg_lo:[0,0,1] neg_hi:[0,0,1]
	v_pk_fma_f32 v[18:19], v[28:29], v[12:13], v[18:19] op_sel:[0,0,1] op_sel_hi:[1,0,0]
	v_mov_b32_e32 v33, v19
	v_pk_mul_f32 v[18:19], v[30:31], v[14:15] op_sel:[0,1]
	s_delay_alu instid0(VALU_DEP_2) | instskip(NEXT) | instid1(VALU_DEP_2)
	v_pk_add_f32 v[192:193], v[192:193], v[32:33] neg_lo:[0,1] neg_hi:[0,1]
	v_pk_fma_f32 v[28:29], v[30:31], v[12:13], v[18:19] op_sel:[0,0,1] op_sel_hi:[1,1,0] neg_lo:[0,0,1] neg_hi:[0,0,1]
	v_pk_fma_f32 v[18:19], v[30:31], v[12:13], v[18:19] op_sel:[0,0,1] op_sel_hi:[1,0,0]
	s_delay_alu instid0(VALU_DEP_1) | instskip(NEXT) | instid1(VALU_DEP_1)
	v_mov_b32_e32 v29, v19
	v_pk_add_f32 v[194:195], v[194:195], v[28:29] neg_lo:[0,1] neg_hi:[0,1]
	ds_load_2addr_b64 v[28:31], v148 offset0:47 offset1:48
	s_wait_dscnt 0x0
	v_pk_mul_f32 v[18:19], v[28:29], v[14:15] op_sel:[0,1]
	s_delay_alu instid0(VALU_DEP_1) | instskip(SKIP_2) | instid1(VALU_DEP_2)
	v_pk_fma_f32 v[32:33], v[28:29], v[12:13], v[18:19] op_sel:[0,0,1] op_sel_hi:[1,1,0] neg_lo:[0,0,1] neg_hi:[0,0,1]
	v_pk_fma_f32 v[18:19], v[28:29], v[12:13], v[18:19] op_sel:[0,0,1] op_sel_hi:[1,0,0]
	v_dual_mul_f32 v28, v31, v15 :: v_dual_mov_b32 v18, v31
	v_dual_mov_b32 v33, v19 :: v_dual_mov_b32 v19, v30
	s_delay_alu instid0(VALU_DEP_2) | instskip(SKIP_1) | instid1(VALU_DEP_3)
	v_pk_fma_f32 v[28:29], v[30:31], v[112:113], v[28:29] op_sel_hi:[1,1,0] neg_lo:[0,0,1] neg_hi:[0,0,1]
	v_mul_f32_e32 v30, v31, v12
	v_pk_add_f32 v[190:191], v[190:191], v[32:33] neg_lo:[0,1] neg_hi:[0,1]
	s_delay_alu instid0(VALU_DEP_2) | instskip(NEXT) | instid1(VALU_DEP_1)
	v_pk_fma_f32 v[18:19], v[18:19], v[112:113], v[30:31] op_sel_hi:[1,1,0]
	v_mov_b32_e32 v29, v19
	s_delay_alu instid0(VALU_DEP_1) | instskip(SKIP_3) | instid1(VALU_DEP_1)
	v_pk_add_f32 v[212:213], v[212:213], v[28:29] neg_lo:[0,1] neg_hi:[0,1]
	ds_load_2addr_b64 v[28:31], v148 offset0:49 offset1:50
	s_wait_dscnt 0x0
	v_pk_mul_f32 v[18:19], v[28:29], v[14:15] op_sel:[0,1]
	v_pk_fma_f32 v[32:33], v[28:29], v[12:13], v[18:19] op_sel:[0,0,1] op_sel_hi:[1,1,0] neg_lo:[0,0,1] neg_hi:[0,0,1]
	v_pk_fma_f32 v[18:19], v[28:29], v[12:13], v[18:19] op_sel:[0,0,1] op_sel_hi:[1,0,0]
	s_delay_alu instid0(VALU_DEP_1) | instskip(SKIP_1) | instid1(VALU_DEP_2)
	v_mov_b32_e32 v33, v19
	v_pk_mul_f32 v[18:19], v[30:31], v[14:15] op_sel:[0,1]
	v_pk_add_f32 v[208:209], v[208:209], v[32:33] neg_lo:[0,1] neg_hi:[0,1]
	s_delay_alu instid0(VALU_DEP_2) | instskip(SKIP_1) | instid1(VALU_DEP_1)
	v_pk_fma_f32 v[28:29], v[30:31], v[12:13], v[18:19] op_sel:[0,0,1] op_sel_hi:[1,1,0] neg_lo:[0,0,1] neg_hi:[0,0,1]
	v_pk_fma_f32 v[18:19], v[30:31], v[12:13], v[18:19] op_sel:[0,0,1] op_sel_hi:[1,0,0]
	v_mov_b32_e32 v29, v19
	s_delay_alu instid0(VALU_DEP_1) | instskip(SKIP_3) | instid1(VALU_DEP_1)
	v_pk_add_f32 v[210:211], v[210:211], v[28:29] neg_lo:[0,1] neg_hi:[0,1]
	ds_load_2addr_b64 v[28:31], v148 offset0:51 offset1:52
	s_wait_dscnt 0x0
	v_pk_mul_f32 v[18:19], v[28:29], v[14:15] op_sel:[0,1]
	v_pk_fma_f32 v[32:33], v[28:29], v[12:13], v[18:19] op_sel:[0,0,1] op_sel_hi:[1,1,0] neg_lo:[0,0,1] neg_hi:[0,0,1]
	v_pk_fma_f32 v[18:19], v[28:29], v[12:13], v[18:19] op_sel:[0,0,1] op_sel_hi:[1,0,0]
	s_delay_alu instid0(VALU_DEP_1) | instskip(SKIP_1) | instid1(VALU_DEP_2)
	v_mov_b32_e32 v33, v19
	v_pk_mul_f32 v[18:19], v[30:31], v[14:15] op_sel:[0,1]
	v_pk_add_f32 v[206:207], v[206:207], v[32:33] neg_lo:[0,1] neg_hi:[0,1]
	s_delay_alu instid0(VALU_DEP_2) | instskip(SKIP_1) | instid1(VALU_DEP_1)
	v_pk_fma_f32 v[28:29], v[30:31], v[12:13], v[18:19] op_sel:[0,0,1] op_sel_hi:[1,1,0] neg_lo:[0,0,1] neg_hi:[0,0,1]
	v_pk_fma_f32 v[18:19], v[30:31], v[12:13], v[18:19] op_sel:[0,0,1] op_sel_hi:[1,0,0]
	v_mov_b32_e32 v29, v19
	ds_load_b64 v[18:19], v148 offset:424
	v_pk_add_f32 v[214:215], v[214:215], v[28:29] neg_lo:[0,1] neg_hi:[0,1]
	s_wait_dscnt 0x0
	v_pk_mul_f32 v[14:15], v[18:19], v[14:15] op_sel:[0,1]
	s_delay_alu instid0(VALU_DEP_1) | instskip(SKIP_1) | instid1(VALU_DEP_1)
	v_pk_fma_f32 v[28:29], v[18:19], v[12:13], v[14:15] op_sel:[0,0,1] op_sel_hi:[1,1,0] neg_lo:[0,0,1] neg_hi:[0,0,1]
	v_pk_fma_f32 v[12:13], v[18:19], v[12:13], v[14:15] op_sel:[0,0,1] op_sel_hi:[1,0,0]
	v_mov_b32_e32 v29, v13
	s_delay_alu instid0(VALU_DEP_1)
	v_pk_add_f32 v[216:217], v[216:217], v[28:29] neg_lo:[0,1] neg_hi:[0,1]
.LBB107_226:
	s_or_b32 exec_lo, exec_lo, s1
	s_delay_alu instid0(SALU_CYCLE_1)
	s_mov_b32 s2, exec_lo
	s_wait_dscnt 0x0
	s_barrier_signal -1
	s_barrier_wait -1
	v_cmpx_eq_u32_e32 25, v138
	s_cbranch_execz .LBB107_233
; %bb.227:
	v_dual_mov_b32 v12, v110 :: v_dual_mov_b32 v13, v111
	v_dual_mov_b32 v14, v106 :: v_dual_mov_b32 v15, v107
	ds_store_b64 v139, v[108:109]
	ds_store_2addr_b64 v148, v[12:13], v[14:15] offset0:26 offset1:27
	v_dual_mov_b32 v12, v130 :: v_dual_mov_b32 v13, v131
	v_dual_mov_b32 v14, v126 :: v_dual_mov_b32 v15, v127
	ds_store_2addr_b64 v148, v[12:13], v[14:15] offset0:28 offset1:29
	v_dual_mov_b32 v12, v128 :: v_dual_mov_b32 v13, v129
	v_dual_mov_b32 v14, v124 :: v_dual_mov_b32 v15, v125
	;; [unrolled: 3-line block ×12, first 2 shown]
	ds_store_2addr_b64 v148, v[12:13], v[14:15] offset0:50 offset1:51
	v_dual_mov_b32 v12, v214 :: v_dual_mov_b32 v13, v215
	ds_store_2addr_b64 v148, v[12:13], v[216:217] offset0:52 offset1:53
	ds_load_b64 v[12:13], v139
	s_wait_dscnt 0x0
	v_cmp_neq_f32_e32 vcc_lo, 0, v12
	v_cmp_neq_f32_e64 s1, 0, v13
	s_or_b32 s1, vcc_lo, s1
	s_delay_alu instid0(SALU_CYCLE_1)
	s_and_b32 exec_lo, exec_lo, s1
	s_cbranch_execz .LBB107_233
; %bb.228:
	v_cmp_ngt_f32_e64 s1, |v12|, |v13|
                                        ; implicit-def: $vgpr14_vgpr15
	s_and_saveexec_b32 s4, s1
	s_delay_alu instid0(SALU_CYCLE_1)
	s_xor_b32 s1, exec_lo, s4
	s_cbranch_execz .LBB107_230
; %bb.229:
	v_div_scale_f32 v14, null, v13, v13, v12
	v_div_scale_f32 v19, vcc_lo, v12, v13, v12
	s_delay_alu instid0(VALU_DEP_2) | instskip(SKIP_1) | instid1(TRANS32_DEP_1)
	v_rcp_f32_e32 v15, v14
	v_nop
	v_fma_f32 v18, -v14, v15, 1.0
	s_delay_alu instid0(VALU_DEP_1) | instskip(NEXT) | instid1(VALU_DEP_1)
	v_fmac_f32_e32 v15, v18, v15
	v_mul_f32_e32 v18, v19, v15
	s_delay_alu instid0(VALU_DEP_1) | instskip(NEXT) | instid1(VALU_DEP_1)
	v_fma_f32 v28, -v14, v18, v19
	v_fmac_f32_e32 v18, v28, v15
	s_delay_alu instid0(VALU_DEP_1) | instskip(NEXT) | instid1(VALU_DEP_1)
	v_fma_f32 v14, -v14, v18, v19
	v_div_fmas_f32 v14, v14, v15, v18
	s_delay_alu instid0(VALU_DEP_1) | instskip(NEXT) | instid1(VALU_DEP_1)
	v_div_fixup_f32 v14, v14, v13, v12
	v_fmac_f32_e32 v13, v12, v14
	s_delay_alu instid0(VALU_DEP_1) | instskip(SKIP_1) | instid1(VALU_DEP_2)
	v_div_scale_f32 v12, null, v13, v13, 1.0
	v_div_scale_f32 v19, vcc_lo, 1.0, v13, 1.0
	v_rcp_f32_e32 v15, v12
	v_nop
	s_delay_alu instid0(TRANS32_DEP_1) | instskip(NEXT) | instid1(VALU_DEP_1)
	v_fma_f32 v18, -v12, v15, 1.0
	v_fmac_f32_e32 v15, v18, v15
	s_delay_alu instid0(VALU_DEP_1) | instskip(NEXT) | instid1(VALU_DEP_1)
	v_mul_f32_e32 v18, v19, v15
	v_fma_f32 v28, -v12, v18, v19
	s_delay_alu instid0(VALU_DEP_1) | instskip(NEXT) | instid1(VALU_DEP_1)
	v_fmac_f32_e32 v18, v28, v15
	v_fma_f32 v12, -v12, v18, v19
	s_delay_alu instid0(VALU_DEP_1) | instskip(NEXT) | instid1(VALU_DEP_1)
	v_div_fmas_f32 v12, v12, v15, v18
	v_div_fixup_f32 v12, v12, v13, 1.0
	s_delay_alu instid0(VALU_DEP_1)
	v_mul_f32_e32 v14, v14, v12
	v_xor_b32_e32 v15, 0x80000000, v12
                                        ; implicit-def: $vgpr12_vgpr13
.LBB107_230:
	s_and_not1_saveexec_b32 s1, s1
	s_cbranch_execz .LBB107_232
; %bb.231:
	v_div_scale_f32 v14, null, v12, v12, v13
	v_div_scale_f32 v19, vcc_lo, v13, v12, v13
	s_delay_alu instid0(VALU_DEP_2) | instskip(SKIP_1) | instid1(TRANS32_DEP_1)
	v_rcp_f32_e32 v15, v14
	v_nop
	v_fma_f32 v18, -v14, v15, 1.0
	s_delay_alu instid0(VALU_DEP_1) | instskip(NEXT) | instid1(VALU_DEP_1)
	v_fmac_f32_e32 v15, v18, v15
	v_mul_f32_e32 v18, v19, v15
	s_delay_alu instid0(VALU_DEP_1) | instskip(NEXT) | instid1(VALU_DEP_1)
	v_fma_f32 v28, -v14, v18, v19
	v_fmac_f32_e32 v18, v28, v15
	s_delay_alu instid0(VALU_DEP_1) | instskip(NEXT) | instid1(VALU_DEP_1)
	v_fma_f32 v14, -v14, v18, v19
	v_div_fmas_f32 v14, v14, v15, v18
	s_delay_alu instid0(VALU_DEP_1) | instskip(NEXT) | instid1(VALU_DEP_1)
	v_div_fixup_f32 v15, v14, v12, v13
	v_fmac_f32_e32 v12, v13, v15
	s_delay_alu instid0(VALU_DEP_1) | instskip(NEXT) | instid1(VALU_DEP_1)
	v_div_scale_f32 v13, null, v12, v12, 1.0
	v_rcp_f32_e32 v14, v13
	v_nop
	s_delay_alu instid0(TRANS32_DEP_1) | instskip(NEXT) | instid1(VALU_DEP_1)
	v_fma_f32 v18, -v13, v14, 1.0
	v_fmac_f32_e32 v14, v18, v14
	v_div_scale_f32 v18, vcc_lo, 1.0, v12, 1.0
	s_delay_alu instid0(VALU_DEP_1) | instskip(NEXT) | instid1(VALU_DEP_1)
	v_mul_f32_e32 v19, v18, v14
	v_fma_f32 v28, -v13, v19, v18
	s_delay_alu instid0(VALU_DEP_1) | instskip(NEXT) | instid1(VALU_DEP_1)
	v_fmac_f32_e32 v19, v28, v14
	v_fma_f32 v13, -v13, v19, v18
	s_delay_alu instid0(VALU_DEP_1) | instskip(NEXT) | instid1(VALU_DEP_1)
	v_div_fmas_f32 v13, v13, v14, v19
	v_div_fixup_f32 v14, v13, v12, 1.0
	s_delay_alu instid0(VALU_DEP_1)
	v_mul_f32_e64 v15, v15, -v14
.LBB107_232:
	s_or_b32 exec_lo, exec_lo, s1
	ds_store_b64 v139, v[14:15]
.LBB107_233:
	s_or_b32 exec_lo, exec_lo, s2
	s_wait_dscnt 0x0
	s_barrier_signal -1
	s_barrier_wait -1
	ds_load_b64 v[12:13], v139
	s_mov_b32 s1, exec_lo
	v_cmpx_lt_u32_e32 25, v138
	s_cbranch_execz .LBB107_235
; %bb.234:
	ds_load_2addr_b64 v[28:31], v148 offset0:26 offset1:27
	s_wait_dscnt 0x1
	v_pk_mul_f32 v[18:19], v[12:13], v[108:109] op_sel:[1,1] op_sel_hi:[0,1]
	s_delay_alu instid0(VALU_DEP_1) | instskip(SKIP_1) | instid1(VALU_DEP_1)
	v_pk_fma_f32 v[14:15], v[12:13], v[108:109], v[18:19] op_sel_hi:[1,0,1] neg_lo:[0,0,1] neg_hi:[0,0,1]
	v_pk_fma_f32 v[18:19], v[12:13], v[108:109], v[18:19] op_sel_hi:[1,0,1]
	v_dual_mov_b32 v108, v14 :: v_dual_mov_b32 v109, v19
	s_wait_dscnt 0x0
	s_delay_alu instid0(VALU_DEP_2) | instskip(NEXT) | instid1(VALU_DEP_1)
	v_pk_mul_f32 v[32:33], v[28:29], v[18:19] op_sel:[0,1]
	v_pk_fma_f32 v[42:43], v[28:29], v[14:15], v[32:33] op_sel:[0,0,1] op_sel_hi:[1,1,0] neg_lo:[0,0,1] neg_hi:[0,0,1]
	v_pk_fma_f32 v[28:29], v[28:29], v[14:15], v[32:33] op_sel:[0,0,1] op_sel_hi:[1,0,0]
	s_delay_alu instid0(VALU_DEP_1) | instskip(SKIP_1) | instid1(VALU_DEP_1)
	v_mov_b32_e32 v43, v29
	v_pk_mul_f32 v[28:29], v[30:31], v[18:19] op_sel:[0,1]
	v_pk_fma_f32 v[32:33], v[30:31], v[14:15], v[28:29] op_sel:[0,0,1] op_sel_hi:[1,1,0] neg_lo:[0,0,1] neg_hi:[0,0,1]
	v_pk_fma_f32 v[28:29], v[30:31], v[14:15], v[28:29] op_sel:[0,0,1] op_sel_hi:[1,0,0]
	s_delay_alu instid0(VALU_DEP_1)
	v_mov_b32_e32 v33, v29
	ds_load_2addr_b64 v[28:31], v148 offset0:28 offset1:29
	v_pk_add_f32 v[110:111], v[110:111], v[42:43] neg_lo:[0,1] neg_hi:[0,1]
	v_pk_add_f32 v[106:107], v[106:107], v[32:33] neg_lo:[0,1] neg_hi:[0,1]
	s_wait_dscnt 0x0
	v_pk_mul_f32 v[32:33], v[28:29], v[18:19] op_sel:[0,1]
	s_delay_alu instid0(VALU_DEP_1) | instskip(SKIP_2) | instid1(VALU_DEP_2)
	v_pk_fma_f32 v[42:43], v[28:29], v[14:15], v[32:33] op_sel:[0,0,1] op_sel_hi:[1,1,0] neg_lo:[0,0,1] neg_hi:[0,0,1]
	v_pk_fma_f32 v[28:29], v[28:29], v[14:15], v[32:33] op_sel:[0,0,1] op_sel_hi:[1,0,0]
	v_dual_mul_f32 v32, v31, v19 :: v_dual_mov_b32 v28, v31
	v_dual_mov_b32 v43, v29 :: v_dual_mov_b32 v29, v30
	s_delay_alu instid0(VALU_DEP_2) | instskip(SKIP_1) | instid1(VALU_DEP_3)
	v_pk_fma_f32 v[32:33], v[30:31], v[108:109], v[32:33] op_sel_hi:[1,1,0] neg_lo:[0,0,1] neg_hi:[0,0,1]
	v_mul_f32_e32 v30, v31, v14
	v_pk_add_f32 v[130:131], v[130:131], v[42:43] neg_lo:[0,1] neg_hi:[0,1]
	s_delay_alu instid0(VALU_DEP_2) | instskip(NEXT) | instid1(VALU_DEP_1)
	v_pk_fma_f32 v[28:29], v[28:29], v[108:109], v[30:31] op_sel_hi:[1,1,0]
	v_mov_b32_e32 v33, v29
	ds_load_2addr_b64 v[28:31], v148 offset0:30 offset1:31
	v_pk_add_f32 v[126:127], v[126:127], v[32:33] neg_lo:[0,1] neg_hi:[0,1]
	s_wait_dscnt 0x0
	v_pk_mul_f32 v[32:33], v[28:29], v[18:19] op_sel:[0,1]
	s_delay_alu instid0(VALU_DEP_1) | instskip(SKIP_1) | instid1(VALU_DEP_1)
	v_pk_fma_f32 v[42:43], v[28:29], v[14:15], v[32:33] op_sel:[0,0,1] op_sel_hi:[1,1,0] neg_lo:[0,0,1] neg_hi:[0,0,1]
	v_pk_fma_f32 v[28:29], v[28:29], v[14:15], v[32:33] op_sel:[0,0,1] op_sel_hi:[1,0,0]
	v_mov_b32_e32 v43, v29
	v_pk_mul_f32 v[28:29], v[30:31], v[18:19] op_sel:[0,1]
	s_delay_alu instid0(VALU_DEP_1) | instskip(SKIP_1) | instid1(VALU_DEP_1)
	v_pk_fma_f32 v[32:33], v[30:31], v[14:15], v[28:29] op_sel:[0,0,1] op_sel_hi:[1,1,0] neg_lo:[0,0,1] neg_hi:[0,0,1]
	v_pk_fma_f32 v[28:29], v[30:31], v[14:15], v[28:29] op_sel:[0,0,1] op_sel_hi:[1,0,0]
	v_mov_b32_e32 v33, v29
	ds_load_2addr_b64 v[28:31], v148 offset0:32 offset1:33
	v_pk_add_f32 v[128:129], v[128:129], v[42:43] neg_lo:[0,1] neg_hi:[0,1]
	v_pk_add_f32 v[124:125], v[124:125], v[32:33] neg_lo:[0,1] neg_hi:[0,1]
	s_wait_dscnt 0x0
	v_pk_mul_f32 v[32:33], v[28:29], v[18:19] op_sel:[0,1]
	s_delay_alu instid0(VALU_DEP_1) | instskip(SKIP_1) | instid1(VALU_DEP_1)
	v_pk_fma_f32 v[42:43], v[28:29], v[14:15], v[32:33] op_sel:[0,0,1] op_sel_hi:[1,1,0] neg_lo:[0,0,1] neg_hi:[0,0,1]
	v_pk_fma_f32 v[28:29], v[28:29], v[14:15], v[32:33] op_sel:[0,0,1] op_sel_hi:[1,0,0]
	v_mov_b32_e32 v43, v29
	v_pk_mul_f32 v[28:29], v[30:31], v[18:19] op_sel:[0,1]
	s_delay_alu instid0(VALU_DEP_1) | instskip(SKIP_1) | instid1(VALU_DEP_1)
	v_pk_fma_f32 v[32:33], v[30:31], v[14:15], v[28:29] op_sel:[0,0,1] op_sel_hi:[1,1,0] neg_lo:[0,0,1] neg_hi:[0,0,1]
	v_pk_fma_f32 v[28:29], v[30:31], v[14:15], v[28:29] op_sel:[0,0,1] op_sel_hi:[1,0,0]
	v_mov_b32_e32 v33, v29
	ds_load_2addr_b64 v[28:31], v148 offset0:34 offset1:35
	v_pk_add_f32 v[146:147], v[146:147], v[42:43] neg_lo:[0,1] neg_hi:[0,1]
	v_pk_add_f32 v[142:143], v[142:143], v[32:33] neg_lo:[0,1] neg_hi:[0,1]
	s_wait_dscnt 0x0
	v_dual_mul_f32 v32, v29, v19 :: v_dual_mul_f32 v42, v29, v14
	s_delay_alu instid0(VALU_DEP_1) | instskip(NEXT) | instid1(VALU_DEP_2)
	v_pk_fma_f32 v[32:33], v[28:29], v[108:109], v[32:33] op_sel_hi:[1,1,0] neg_lo:[0,0,1] neg_hi:[0,0,1]
	v_pk_fma_f32 v[28:29], v[28:29], v[108:109], v[42:43] op_sel:[1,0,0] op_sel_hi:[0,1,0]
	s_delay_alu instid0(VALU_DEP_1) | instskip(SKIP_1) | instid1(VALU_DEP_2)
	v_mov_b32_e32 v33, v29
	v_pk_mul_f32 v[28:29], v[30:31], v[18:19] op_sel:[0,1]
	v_pk_add_f32 v[144:145], v[144:145], v[32:33] neg_lo:[0,1] neg_hi:[0,1]
	s_delay_alu instid0(VALU_DEP_2) | instskip(SKIP_1) | instid1(VALU_DEP_1)
	v_pk_fma_f32 v[32:33], v[30:31], v[14:15], v[28:29] op_sel:[0,0,1] op_sel_hi:[1,1,0] neg_lo:[0,0,1] neg_hi:[0,0,1]
	v_pk_fma_f32 v[28:29], v[30:31], v[14:15], v[28:29] op_sel:[0,0,1] op_sel_hi:[1,0,0]
	v_mov_b32_e32 v33, v29
	ds_load_2addr_b64 v[28:31], v148 offset0:36 offset1:37
	v_pk_add_f32 v[140:141], v[140:141], v[32:33] neg_lo:[0,1] neg_hi:[0,1]
	s_wait_dscnt 0x0
	v_pk_mul_f32 v[32:33], v[28:29], v[18:19] op_sel:[0,1]
	s_delay_alu instid0(VALU_DEP_1) | instskip(SKIP_1) | instid1(VALU_DEP_1)
	v_pk_fma_f32 v[42:43], v[28:29], v[14:15], v[32:33] op_sel:[0,0,1] op_sel_hi:[1,1,0] neg_lo:[0,0,1] neg_hi:[0,0,1]
	v_pk_fma_f32 v[28:29], v[28:29], v[14:15], v[32:33] op_sel:[0,0,1] op_sel_hi:[1,0,0]
	v_mov_b32_e32 v43, v29
	v_pk_mul_f32 v[28:29], v[30:31], v[18:19] op_sel:[0,1]
	s_delay_alu instid0(VALU_DEP_2) | instskip(NEXT) | instid1(VALU_DEP_2)
	v_pk_add_f32 v[162:163], v[162:163], v[42:43] neg_lo:[0,1] neg_hi:[0,1]
	v_pk_fma_f32 v[32:33], v[30:31], v[14:15], v[28:29] op_sel:[0,0,1] op_sel_hi:[1,1,0] neg_lo:[0,0,1] neg_hi:[0,0,1]
	v_pk_fma_f32 v[28:29], v[30:31], v[14:15], v[28:29] op_sel:[0,0,1] op_sel_hi:[1,0,0]
	s_delay_alu instid0(VALU_DEP_1) | instskip(SKIP_4) | instid1(VALU_DEP_1)
	v_mov_b32_e32 v33, v29
	ds_load_2addr_b64 v[28:31], v148 offset0:38 offset1:39
	v_pk_add_f32 v[158:159], v[158:159], v[32:33] neg_lo:[0,1] neg_hi:[0,1]
	s_wait_dscnt 0x0
	v_pk_mul_f32 v[32:33], v[28:29], v[18:19] op_sel:[0,1]
	v_pk_fma_f32 v[42:43], v[28:29], v[14:15], v[32:33] op_sel:[0,0,1] op_sel_hi:[1,1,0] neg_lo:[0,0,1] neg_hi:[0,0,1]
	v_pk_fma_f32 v[28:29], v[28:29], v[14:15], v[32:33] op_sel:[0,0,1] op_sel_hi:[1,0,0]
	v_dual_mul_f32 v32, v31, v19 :: v_dual_mov_b32 v28, v31
	s_delay_alu instid0(VALU_DEP_2) | instskip(NEXT) | instid1(VALU_DEP_2)
	v_dual_mov_b32 v43, v29 :: v_dual_mov_b32 v29, v30
	v_pk_fma_f32 v[32:33], v[30:31], v[108:109], v[32:33] op_sel_hi:[1,1,0] neg_lo:[0,0,1] neg_hi:[0,0,1]
	v_mul_f32_e32 v30, v31, v14
	s_delay_alu instid0(VALU_DEP_3) | instskip(NEXT) | instid1(VALU_DEP_2)
	v_pk_add_f32 v[160:161], v[160:161], v[42:43] neg_lo:[0,1] neg_hi:[0,1]
	v_pk_fma_f32 v[28:29], v[28:29], v[108:109], v[30:31] op_sel_hi:[1,1,0]
	s_delay_alu instid0(VALU_DEP_1) | instskip(SKIP_4) | instid1(VALU_DEP_1)
	v_mov_b32_e32 v33, v29
	ds_load_2addr_b64 v[28:31], v148 offset0:40 offset1:41
	v_pk_add_f32 v[156:157], v[156:157], v[32:33] neg_lo:[0,1] neg_hi:[0,1]
	s_wait_dscnt 0x0
	v_pk_mul_f32 v[32:33], v[28:29], v[18:19] op_sel:[0,1]
	v_pk_fma_f32 v[42:43], v[28:29], v[14:15], v[32:33] op_sel:[0,0,1] op_sel_hi:[1,1,0] neg_lo:[0,0,1] neg_hi:[0,0,1]
	v_pk_fma_f32 v[28:29], v[28:29], v[14:15], v[32:33] op_sel:[0,0,1] op_sel_hi:[1,0,0]
	s_delay_alu instid0(VALU_DEP_1) | instskip(SKIP_1) | instid1(VALU_DEP_1)
	v_mov_b32_e32 v43, v29
	v_pk_mul_f32 v[28:29], v[30:31], v[18:19] op_sel:[0,1]
	v_pk_fma_f32 v[32:33], v[30:31], v[14:15], v[28:29] op_sel:[0,0,1] op_sel_hi:[1,1,0] neg_lo:[0,0,1] neg_hi:[0,0,1]
	v_pk_fma_f32 v[28:29], v[30:31], v[14:15], v[28:29] op_sel:[0,0,1] op_sel_hi:[1,0,0]
	s_delay_alu instid0(VALU_DEP_1)
	v_mov_b32_e32 v33, v29
	ds_load_2addr_b64 v[28:31], v148 offset0:42 offset1:43
	v_pk_add_f32 v[178:179], v[178:179], v[42:43] neg_lo:[0,1] neg_hi:[0,1]
	v_pk_add_f32 v[174:175], v[174:175], v[32:33] neg_lo:[0,1] neg_hi:[0,1]
	s_wait_dscnt 0x0
	v_pk_mul_f32 v[32:33], v[28:29], v[18:19] op_sel:[0,1]
	s_delay_alu instid0(VALU_DEP_1) | instskip(SKIP_1) | instid1(VALU_DEP_1)
	v_pk_fma_f32 v[42:43], v[28:29], v[14:15], v[32:33] op_sel:[0,0,1] op_sel_hi:[1,1,0] neg_lo:[0,0,1] neg_hi:[0,0,1]
	v_pk_fma_f32 v[28:29], v[28:29], v[14:15], v[32:33] op_sel:[0,0,1] op_sel_hi:[1,0,0]
	v_mov_b32_e32 v43, v29
	v_pk_mul_f32 v[28:29], v[30:31], v[18:19] op_sel:[0,1]
	s_delay_alu instid0(VALU_DEP_1) | instskip(SKIP_1) | instid1(VALU_DEP_1)
	v_pk_fma_f32 v[32:33], v[30:31], v[14:15], v[28:29] op_sel:[0,0,1] op_sel_hi:[1,1,0] neg_lo:[0,0,1] neg_hi:[0,0,1]
	v_pk_fma_f32 v[28:29], v[30:31], v[14:15], v[28:29] op_sel:[0,0,1] op_sel_hi:[1,0,0]
	v_mov_b32_e32 v33, v29
	ds_load_2addr_b64 v[28:31], v148 offset0:44 offset1:45
	v_pk_add_f32 v[176:177], v[176:177], v[42:43] neg_lo:[0,1] neg_hi:[0,1]
	v_pk_add_f32 v[172:173], v[172:173], v[32:33] neg_lo:[0,1] neg_hi:[0,1]
	s_wait_dscnt 0x0
	v_dual_mul_f32 v32, v29, v19 :: v_dual_mul_f32 v42, v29, v14
	s_delay_alu instid0(VALU_DEP_1) | instskip(NEXT) | instid1(VALU_DEP_2)
	v_pk_fma_f32 v[32:33], v[28:29], v[108:109], v[32:33] op_sel_hi:[1,1,0] neg_lo:[0,0,1] neg_hi:[0,0,1]
	v_pk_fma_f32 v[28:29], v[28:29], v[108:109], v[42:43] op_sel:[1,0,0] op_sel_hi:[0,1,0]
	s_delay_alu instid0(VALU_DEP_1) | instskip(SKIP_1) | instid1(VALU_DEP_2)
	v_mov_b32_e32 v33, v29
	v_pk_mul_f32 v[28:29], v[30:31], v[18:19] op_sel:[0,1]
	v_pk_add_f32 v[196:197], v[196:197], v[32:33] neg_lo:[0,1] neg_hi:[0,1]
	s_delay_alu instid0(VALU_DEP_2) | instskip(SKIP_1) | instid1(VALU_DEP_1)
	v_pk_fma_f32 v[32:33], v[30:31], v[14:15], v[28:29] op_sel:[0,0,1] op_sel_hi:[1,1,0] neg_lo:[0,0,1] neg_hi:[0,0,1]
	v_pk_fma_f32 v[28:29], v[30:31], v[14:15], v[28:29] op_sel:[0,0,1] op_sel_hi:[1,0,0]
	v_mov_b32_e32 v33, v29
	ds_load_2addr_b64 v[28:31], v148 offset0:46 offset1:47
	v_pk_add_f32 v[192:193], v[192:193], v[32:33] neg_lo:[0,1] neg_hi:[0,1]
	s_wait_dscnt 0x0
	v_pk_mul_f32 v[32:33], v[28:29], v[18:19] op_sel:[0,1]
	s_delay_alu instid0(VALU_DEP_1) | instskip(SKIP_1) | instid1(VALU_DEP_1)
	v_pk_fma_f32 v[42:43], v[28:29], v[14:15], v[32:33] op_sel:[0,0,1] op_sel_hi:[1,1,0] neg_lo:[0,0,1] neg_hi:[0,0,1]
	v_pk_fma_f32 v[28:29], v[28:29], v[14:15], v[32:33] op_sel:[0,0,1] op_sel_hi:[1,0,0]
	v_mov_b32_e32 v43, v29
	v_pk_mul_f32 v[28:29], v[30:31], v[18:19] op_sel:[0,1]
	s_delay_alu instid0(VALU_DEP_2) | instskip(NEXT) | instid1(VALU_DEP_2)
	v_pk_add_f32 v[194:195], v[194:195], v[42:43] neg_lo:[0,1] neg_hi:[0,1]
	v_pk_fma_f32 v[32:33], v[30:31], v[14:15], v[28:29] op_sel:[0,0,1] op_sel_hi:[1,1,0] neg_lo:[0,0,1] neg_hi:[0,0,1]
	v_pk_fma_f32 v[28:29], v[30:31], v[14:15], v[28:29] op_sel:[0,0,1] op_sel_hi:[1,0,0]
	s_delay_alu instid0(VALU_DEP_1) | instskip(SKIP_4) | instid1(VALU_DEP_1)
	v_mov_b32_e32 v33, v29
	ds_load_2addr_b64 v[28:31], v148 offset0:48 offset1:49
	v_pk_add_f32 v[190:191], v[190:191], v[32:33] neg_lo:[0,1] neg_hi:[0,1]
	s_wait_dscnt 0x0
	v_pk_mul_f32 v[32:33], v[28:29], v[18:19] op_sel:[0,1]
	v_pk_fma_f32 v[42:43], v[28:29], v[14:15], v[32:33] op_sel:[0,0,1] op_sel_hi:[1,1,0] neg_lo:[0,0,1] neg_hi:[0,0,1]
	v_pk_fma_f32 v[28:29], v[28:29], v[14:15], v[32:33] op_sel:[0,0,1] op_sel_hi:[1,0,0]
	v_dual_mul_f32 v32, v31, v19 :: v_dual_mov_b32 v28, v31
	s_delay_alu instid0(VALU_DEP_2) | instskip(NEXT) | instid1(VALU_DEP_2)
	v_dual_mov_b32 v43, v29 :: v_dual_mov_b32 v29, v30
	v_pk_fma_f32 v[32:33], v[30:31], v[108:109], v[32:33] op_sel_hi:[1,1,0] neg_lo:[0,0,1] neg_hi:[0,0,1]
	v_mul_f32_e32 v30, v31, v14
	s_delay_alu instid0(VALU_DEP_3) | instskip(NEXT) | instid1(VALU_DEP_2)
	v_pk_add_f32 v[212:213], v[212:213], v[42:43] neg_lo:[0,1] neg_hi:[0,1]
	v_pk_fma_f32 v[28:29], v[28:29], v[108:109], v[30:31] op_sel_hi:[1,1,0]
	s_delay_alu instid0(VALU_DEP_1) | instskip(SKIP_4) | instid1(VALU_DEP_1)
	v_mov_b32_e32 v33, v29
	ds_load_2addr_b64 v[28:31], v148 offset0:50 offset1:51
	v_pk_add_f32 v[208:209], v[208:209], v[32:33] neg_lo:[0,1] neg_hi:[0,1]
	s_wait_dscnt 0x0
	v_pk_mul_f32 v[32:33], v[28:29], v[18:19] op_sel:[0,1]
	v_pk_fma_f32 v[42:43], v[28:29], v[14:15], v[32:33] op_sel:[0,0,1] op_sel_hi:[1,1,0] neg_lo:[0,0,1] neg_hi:[0,0,1]
	v_pk_fma_f32 v[28:29], v[28:29], v[14:15], v[32:33] op_sel:[0,0,1] op_sel_hi:[1,0,0]
	s_delay_alu instid0(VALU_DEP_1) | instskip(SKIP_1) | instid1(VALU_DEP_1)
	v_mov_b32_e32 v43, v29
	v_pk_mul_f32 v[28:29], v[30:31], v[18:19] op_sel:[0,1]
	v_pk_fma_f32 v[32:33], v[30:31], v[14:15], v[28:29] op_sel:[0,0,1] op_sel_hi:[1,1,0] neg_lo:[0,0,1] neg_hi:[0,0,1]
	v_pk_fma_f32 v[28:29], v[30:31], v[14:15], v[28:29] op_sel:[0,0,1] op_sel_hi:[1,0,0]
	s_delay_alu instid0(VALU_DEP_1)
	v_mov_b32_e32 v33, v29
	ds_load_2addr_b64 v[28:31], v148 offset0:52 offset1:53
	v_pk_add_f32 v[210:211], v[210:211], v[42:43] neg_lo:[0,1] neg_hi:[0,1]
	v_pk_add_f32 v[206:207], v[206:207], v[32:33] neg_lo:[0,1] neg_hi:[0,1]
	s_wait_dscnt 0x0
	v_pk_mul_f32 v[32:33], v[28:29], v[18:19] op_sel:[0,1]
	v_pk_mul_f32 v[18:19], v[30:31], v[18:19] op_sel:[0,1]
	s_delay_alu instid0(VALU_DEP_2) | instskip(SKIP_1) | instid1(VALU_DEP_1)
	v_pk_fma_f32 v[42:43], v[28:29], v[14:15], v[32:33] op_sel:[0,0,1] op_sel_hi:[1,1,0] neg_lo:[0,0,1] neg_hi:[0,0,1]
	v_pk_fma_f32 v[28:29], v[28:29], v[14:15], v[32:33] op_sel:[0,0,1] op_sel_hi:[1,0,0]
	v_mov_b32_e32 v43, v29
	s_delay_alu instid0(VALU_DEP_4) | instskip(SKIP_1) | instid1(VALU_DEP_1)
	v_pk_fma_f32 v[28:29], v[30:31], v[14:15], v[18:19] op_sel:[0,0,1] op_sel_hi:[1,1,0] neg_lo:[0,0,1] neg_hi:[0,0,1]
	v_pk_fma_f32 v[14:15], v[30:31], v[14:15], v[18:19] op_sel:[0,0,1] op_sel_hi:[1,0,0]
	v_mov_b32_e32 v29, v15
	s_delay_alu instid0(VALU_DEP_4) | instskip(NEXT) | instid1(VALU_DEP_2)
	v_pk_add_f32 v[214:215], v[214:215], v[42:43] neg_lo:[0,1] neg_hi:[0,1]
	v_pk_add_f32 v[216:217], v[216:217], v[28:29] neg_lo:[0,1] neg_hi:[0,1]
.LBB107_235:
	s_or_b32 exec_lo, exec_lo, s1
	s_delay_alu instid0(SALU_CYCLE_1)
	s_mov_b32 s2, exec_lo
	s_wait_dscnt 0x0
	s_barrier_signal -1
	s_barrier_wait -1
	v_cmpx_eq_u32_e32 26, v138
	s_cbranch_execz .LBB107_242
; %bb.236:
	ds_store_b64 v139, v[110:111]
	ds_store_2addr_b64 v148, v[106:107], v[130:131] offset0:27 offset1:28
	ds_store_2addr_b64 v148, v[126:127], v[128:129] offset0:29 offset1:30
	;; [unrolled: 1-line block ×13, first 2 shown]
	ds_store_b64 v148, v[216:217] offset:424
	ds_load_b64 v[14:15], v139
	s_wait_dscnt 0x0
	v_cmp_neq_f32_e32 vcc_lo, 0, v14
	v_cmp_neq_f32_e64 s1, 0, v15
	s_or_b32 s1, vcc_lo, s1
	s_delay_alu instid0(SALU_CYCLE_1)
	s_and_b32 exec_lo, exec_lo, s1
	s_cbranch_execz .LBB107_242
; %bb.237:
	v_cmp_ngt_f32_e64 s1, |v14|, |v15|
                                        ; implicit-def: $vgpr18_vgpr19
	s_and_saveexec_b32 s4, s1
	s_delay_alu instid0(SALU_CYCLE_1)
	s_xor_b32 s1, exec_lo, s4
	s_cbranch_execz .LBB107_239
; %bb.238:
	v_div_scale_f32 v18, null, v15, v15, v14
	v_div_scale_f32 v29, vcc_lo, v14, v15, v14
	s_delay_alu instid0(VALU_DEP_2) | instskip(SKIP_1) | instid1(TRANS32_DEP_1)
	v_rcp_f32_e32 v19, v18
	v_nop
	v_fma_f32 v28, -v18, v19, 1.0
	s_delay_alu instid0(VALU_DEP_1) | instskip(NEXT) | instid1(VALU_DEP_1)
	v_fmac_f32_e32 v19, v28, v19
	v_mul_f32_e32 v28, v29, v19
	s_delay_alu instid0(VALU_DEP_1) | instskip(NEXT) | instid1(VALU_DEP_1)
	v_fma_f32 v30, -v18, v28, v29
	v_fmac_f32_e32 v28, v30, v19
	s_delay_alu instid0(VALU_DEP_1) | instskip(NEXT) | instid1(VALU_DEP_1)
	v_fma_f32 v18, -v18, v28, v29
	v_div_fmas_f32 v18, v18, v19, v28
	s_delay_alu instid0(VALU_DEP_1) | instskip(NEXT) | instid1(VALU_DEP_1)
	v_div_fixup_f32 v18, v18, v15, v14
	v_fmac_f32_e32 v15, v14, v18
	s_delay_alu instid0(VALU_DEP_1) | instskip(SKIP_1) | instid1(VALU_DEP_2)
	v_div_scale_f32 v14, null, v15, v15, 1.0
	v_div_scale_f32 v29, vcc_lo, 1.0, v15, 1.0
	v_rcp_f32_e32 v19, v14
	v_nop
	s_delay_alu instid0(TRANS32_DEP_1) | instskip(NEXT) | instid1(VALU_DEP_1)
	v_fma_f32 v28, -v14, v19, 1.0
	v_fmac_f32_e32 v19, v28, v19
	s_delay_alu instid0(VALU_DEP_1) | instskip(NEXT) | instid1(VALU_DEP_1)
	v_mul_f32_e32 v28, v29, v19
	v_fma_f32 v30, -v14, v28, v29
	s_delay_alu instid0(VALU_DEP_1) | instskip(NEXT) | instid1(VALU_DEP_1)
	v_fmac_f32_e32 v28, v30, v19
	v_fma_f32 v14, -v14, v28, v29
	s_delay_alu instid0(VALU_DEP_1) | instskip(NEXT) | instid1(VALU_DEP_1)
	v_div_fmas_f32 v14, v14, v19, v28
	v_div_fixup_f32 v14, v14, v15, 1.0
	s_delay_alu instid0(VALU_DEP_1)
	v_mul_f32_e32 v18, v18, v14
	v_xor_b32_e32 v19, 0x80000000, v14
                                        ; implicit-def: $vgpr14_vgpr15
.LBB107_239:
	s_and_not1_saveexec_b32 s1, s1
	s_cbranch_execz .LBB107_241
; %bb.240:
	v_div_scale_f32 v18, null, v14, v14, v15
	v_div_scale_f32 v29, vcc_lo, v15, v14, v15
	s_delay_alu instid0(VALU_DEP_2) | instskip(SKIP_1) | instid1(TRANS32_DEP_1)
	v_rcp_f32_e32 v19, v18
	v_nop
	v_fma_f32 v28, -v18, v19, 1.0
	s_delay_alu instid0(VALU_DEP_1) | instskip(NEXT) | instid1(VALU_DEP_1)
	v_fmac_f32_e32 v19, v28, v19
	v_mul_f32_e32 v28, v29, v19
	s_delay_alu instid0(VALU_DEP_1) | instskip(NEXT) | instid1(VALU_DEP_1)
	v_fma_f32 v30, -v18, v28, v29
	v_fmac_f32_e32 v28, v30, v19
	s_delay_alu instid0(VALU_DEP_1) | instskip(NEXT) | instid1(VALU_DEP_1)
	v_fma_f32 v18, -v18, v28, v29
	v_div_fmas_f32 v18, v18, v19, v28
	s_delay_alu instid0(VALU_DEP_1) | instskip(NEXT) | instid1(VALU_DEP_1)
	v_div_fixup_f32 v19, v18, v14, v15
	v_fmac_f32_e32 v14, v15, v19
	s_delay_alu instid0(VALU_DEP_1) | instskip(NEXT) | instid1(VALU_DEP_1)
	v_div_scale_f32 v15, null, v14, v14, 1.0
	v_rcp_f32_e32 v18, v15
	v_nop
	s_delay_alu instid0(TRANS32_DEP_1) | instskip(NEXT) | instid1(VALU_DEP_1)
	v_fma_f32 v28, -v15, v18, 1.0
	v_fmac_f32_e32 v18, v28, v18
	v_div_scale_f32 v28, vcc_lo, 1.0, v14, 1.0
	s_delay_alu instid0(VALU_DEP_1) | instskip(NEXT) | instid1(VALU_DEP_1)
	v_mul_f32_e32 v29, v28, v18
	v_fma_f32 v30, -v15, v29, v28
	s_delay_alu instid0(VALU_DEP_1) | instskip(NEXT) | instid1(VALU_DEP_1)
	v_fmac_f32_e32 v29, v30, v18
	v_fma_f32 v15, -v15, v29, v28
	s_delay_alu instid0(VALU_DEP_1) | instskip(NEXT) | instid1(VALU_DEP_1)
	v_div_fmas_f32 v15, v15, v18, v29
	v_div_fixup_f32 v18, v15, v14, 1.0
	s_delay_alu instid0(VALU_DEP_1)
	v_mul_f32_e64 v19, v19, -v18
.LBB107_241:
	s_or_b32 exec_lo, exec_lo, s1
	ds_store_b64 v139, v[18:19]
.LBB107_242:
	s_or_b32 exec_lo, exec_lo, s2
	s_wait_dscnt 0x0
	s_barrier_signal -1
	s_barrier_wait -1
	ds_load_b64 v[14:15], v139
	s_mov_b32 s1, exec_lo
	v_cmpx_lt_u32_e32 26, v138
	s_cbranch_execz .LBB107_244
; %bb.243:
	ds_load_2addr_b64 v[30:33], v148 offset0:27 offset1:28
	s_wait_dscnt 0x1
	v_pk_mul_f32 v[28:29], v[14:15], v[110:111] op_sel:[1,1] op_sel_hi:[0,1]
	s_delay_alu instid0(VALU_DEP_1) | instskip(SKIP_1) | instid1(VALU_DEP_1)
	v_pk_fma_f32 v[18:19], v[14:15], v[110:111], v[28:29] op_sel_hi:[1,0,1] neg_lo:[0,0,1] neg_hi:[0,0,1]
	v_pk_fma_f32 v[28:29], v[14:15], v[110:111], v[28:29] op_sel_hi:[1,0,1]
	v_dual_mov_b32 v110, v18 :: v_dual_mov_b32 v111, v29
	s_wait_dscnt 0x0
	s_delay_alu instid0(VALU_DEP_2) | instskip(NEXT) | instid1(VALU_DEP_1)
	v_pk_mul_f32 v[42:43], v[30:31], v[28:29] op_sel:[0,1]
	v_pk_fma_f32 v[48:49], v[30:31], v[18:19], v[42:43] op_sel:[0,0,1] op_sel_hi:[1,1,0] neg_lo:[0,0,1] neg_hi:[0,0,1]
	v_pk_fma_f32 v[30:31], v[30:31], v[18:19], v[42:43] op_sel:[0,0,1] op_sel_hi:[1,0,0]
	s_delay_alu instid0(VALU_DEP_1) | instskip(SKIP_1) | instid1(VALU_DEP_1)
	v_mov_b32_e32 v49, v31
	v_pk_mul_f32 v[30:31], v[32:33], v[28:29] op_sel:[0,1]
	v_pk_fma_f32 v[42:43], v[32:33], v[18:19], v[30:31] op_sel:[0,0,1] op_sel_hi:[1,1,0] neg_lo:[0,0,1] neg_hi:[0,0,1]
	v_pk_fma_f32 v[30:31], v[32:33], v[18:19], v[30:31] op_sel:[0,0,1] op_sel_hi:[1,0,0]
	s_delay_alu instid0(VALU_DEP_1)
	v_mov_b32_e32 v43, v31
	ds_load_2addr_b64 v[30:33], v148 offset0:29 offset1:30
	v_pk_add_f32 v[106:107], v[106:107], v[48:49] neg_lo:[0,1] neg_hi:[0,1]
	v_pk_add_f32 v[130:131], v[130:131], v[42:43] neg_lo:[0,1] neg_hi:[0,1]
	s_wait_dscnt 0x0
	v_pk_mul_f32 v[42:43], v[30:31], v[28:29] op_sel:[0,1]
	s_delay_alu instid0(VALU_DEP_1) | instskip(SKIP_2) | instid1(VALU_DEP_2)
	v_pk_fma_f32 v[48:49], v[30:31], v[18:19], v[42:43] op_sel:[0,0,1] op_sel_hi:[1,1,0] neg_lo:[0,0,1] neg_hi:[0,0,1]
	v_pk_fma_f32 v[30:31], v[30:31], v[18:19], v[42:43] op_sel:[0,0,1] op_sel_hi:[1,0,0]
	v_dual_mul_f32 v42, v33, v29 :: v_dual_mov_b32 v30, v33
	v_dual_mov_b32 v49, v31 :: v_dual_mov_b32 v31, v32
	s_delay_alu instid0(VALU_DEP_2) | instskip(SKIP_1) | instid1(VALU_DEP_3)
	v_pk_fma_f32 v[42:43], v[32:33], v[110:111], v[42:43] op_sel_hi:[1,1,0] neg_lo:[0,0,1] neg_hi:[0,0,1]
	v_mul_f32_e32 v32, v33, v18
	v_pk_add_f32 v[126:127], v[126:127], v[48:49] neg_lo:[0,1] neg_hi:[0,1]
	s_delay_alu instid0(VALU_DEP_2) | instskip(NEXT) | instid1(VALU_DEP_1)
	v_pk_fma_f32 v[30:31], v[30:31], v[110:111], v[32:33] op_sel_hi:[1,1,0]
	v_mov_b32_e32 v43, v31
	ds_load_2addr_b64 v[30:33], v148 offset0:31 offset1:32
	v_pk_add_f32 v[128:129], v[128:129], v[42:43] neg_lo:[0,1] neg_hi:[0,1]
	s_wait_dscnt 0x0
	v_pk_mul_f32 v[42:43], v[30:31], v[28:29] op_sel:[0,1]
	s_delay_alu instid0(VALU_DEP_1) | instskip(SKIP_1) | instid1(VALU_DEP_1)
	v_pk_fma_f32 v[48:49], v[30:31], v[18:19], v[42:43] op_sel:[0,0,1] op_sel_hi:[1,1,0] neg_lo:[0,0,1] neg_hi:[0,0,1]
	v_pk_fma_f32 v[30:31], v[30:31], v[18:19], v[42:43] op_sel:[0,0,1] op_sel_hi:[1,0,0]
	v_mov_b32_e32 v49, v31
	v_pk_mul_f32 v[30:31], v[32:33], v[28:29] op_sel:[0,1]
	s_delay_alu instid0(VALU_DEP_1) | instskip(SKIP_1) | instid1(VALU_DEP_1)
	v_pk_fma_f32 v[42:43], v[32:33], v[18:19], v[30:31] op_sel:[0,0,1] op_sel_hi:[1,1,0] neg_lo:[0,0,1] neg_hi:[0,0,1]
	v_pk_fma_f32 v[30:31], v[32:33], v[18:19], v[30:31] op_sel:[0,0,1] op_sel_hi:[1,0,0]
	v_mov_b32_e32 v43, v31
	ds_load_2addr_b64 v[30:33], v148 offset0:33 offset1:34
	v_pk_add_f32 v[124:125], v[124:125], v[48:49] neg_lo:[0,1] neg_hi:[0,1]
	v_pk_add_f32 v[146:147], v[146:147], v[42:43] neg_lo:[0,1] neg_hi:[0,1]
	s_wait_dscnt 0x0
	v_pk_mul_f32 v[42:43], v[30:31], v[28:29] op_sel:[0,1]
	s_delay_alu instid0(VALU_DEP_1) | instskip(SKIP_1) | instid1(VALU_DEP_1)
	v_pk_fma_f32 v[48:49], v[30:31], v[18:19], v[42:43] op_sel:[0,0,1] op_sel_hi:[1,1,0] neg_lo:[0,0,1] neg_hi:[0,0,1]
	v_pk_fma_f32 v[30:31], v[30:31], v[18:19], v[42:43] op_sel:[0,0,1] op_sel_hi:[1,0,0]
	v_mov_b32_e32 v49, v31
	v_pk_mul_f32 v[30:31], v[32:33], v[28:29] op_sel:[0,1]
	s_delay_alu instid0(VALU_DEP_1) | instskip(SKIP_1) | instid1(VALU_DEP_1)
	v_pk_fma_f32 v[42:43], v[32:33], v[18:19], v[30:31] op_sel:[0,0,1] op_sel_hi:[1,1,0] neg_lo:[0,0,1] neg_hi:[0,0,1]
	v_pk_fma_f32 v[30:31], v[32:33], v[18:19], v[30:31] op_sel:[0,0,1] op_sel_hi:[1,0,0]
	v_mov_b32_e32 v43, v31
	ds_load_2addr_b64 v[30:33], v148 offset0:35 offset1:36
	v_pk_add_f32 v[142:143], v[142:143], v[48:49] neg_lo:[0,1] neg_hi:[0,1]
	v_pk_add_f32 v[144:145], v[144:145], v[42:43] neg_lo:[0,1] neg_hi:[0,1]
	s_wait_dscnt 0x0
	v_dual_mul_f32 v42, v31, v29 :: v_dual_mul_f32 v48, v31, v18
	s_delay_alu instid0(VALU_DEP_1) | instskip(NEXT) | instid1(VALU_DEP_2)
	v_pk_fma_f32 v[42:43], v[30:31], v[110:111], v[42:43] op_sel_hi:[1,1,0] neg_lo:[0,0,1] neg_hi:[0,0,1]
	v_pk_fma_f32 v[30:31], v[30:31], v[110:111], v[48:49] op_sel:[1,0,0] op_sel_hi:[0,1,0]
	s_delay_alu instid0(VALU_DEP_1) | instskip(SKIP_1) | instid1(VALU_DEP_2)
	v_mov_b32_e32 v43, v31
	v_pk_mul_f32 v[30:31], v[32:33], v[28:29] op_sel:[0,1]
	v_pk_add_f32 v[140:141], v[140:141], v[42:43] neg_lo:[0,1] neg_hi:[0,1]
	s_delay_alu instid0(VALU_DEP_2) | instskip(SKIP_1) | instid1(VALU_DEP_1)
	v_pk_fma_f32 v[42:43], v[32:33], v[18:19], v[30:31] op_sel:[0,0,1] op_sel_hi:[1,1,0] neg_lo:[0,0,1] neg_hi:[0,0,1]
	v_pk_fma_f32 v[30:31], v[32:33], v[18:19], v[30:31] op_sel:[0,0,1] op_sel_hi:[1,0,0]
	v_mov_b32_e32 v43, v31
	ds_load_2addr_b64 v[30:33], v148 offset0:37 offset1:38
	v_pk_add_f32 v[162:163], v[162:163], v[42:43] neg_lo:[0,1] neg_hi:[0,1]
	s_wait_dscnt 0x0
	v_pk_mul_f32 v[42:43], v[30:31], v[28:29] op_sel:[0,1]
	s_delay_alu instid0(VALU_DEP_1) | instskip(SKIP_1) | instid1(VALU_DEP_1)
	v_pk_fma_f32 v[48:49], v[30:31], v[18:19], v[42:43] op_sel:[0,0,1] op_sel_hi:[1,1,0] neg_lo:[0,0,1] neg_hi:[0,0,1]
	v_pk_fma_f32 v[30:31], v[30:31], v[18:19], v[42:43] op_sel:[0,0,1] op_sel_hi:[1,0,0]
	v_mov_b32_e32 v49, v31
	v_pk_mul_f32 v[30:31], v[32:33], v[28:29] op_sel:[0,1]
	s_delay_alu instid0(VALU_DEP_2) | instskip(NEXT) | instid1(VALU_DEP_2)
	v_pk_add_f32 v[158:159], v[158:159], v[48:49] neg_lo:[0,1] neg_hi:[0,1]
	v_pk_fma_f32 v[42:43], v[32:33], v[18:19], v[30:31] op_sel:[0,0,1] op_sel_hi:[1,1,0] neg_lo:[0,0,1] neg_hi:[0,0,1]
	v_pk_fma_f32 v[30:31], v[32:33], v[18:19], v[30:31] op_sel:[0,0,1] op_sel_hi:[1,0,0]
	s_delay_alu instid0(VALU_DEP_1) | instskip(SKIP_4) | instid1(VALU_DEP_1)
	v_mov_b32_e32 v43, v31
	ds_load_2addr_b64 v[30:33], v148 offset0:39 offset1:40
	v_pk_add_f32 v[160:161], v[160:161], v[42:43] neg_lo:[0,1] neg_hi:[0,1]
	s_wait_dscnt 0x0
	v_pk_mul_f32 v[42:43], v[30:31], v[28:29] op_sel:[0,1]
	v_pk_fma_f32 v[48:49], v[30:31], v[18:19], v[42:43] op_sel:[0,0,1] op_sel_hi:[1,1,0] neg_lo:[0,0,1] neg_hi:[0,0,1]
	v_pk_fma_f32 v[30:31], v[30:31], v[18:19], v[42:43] op_sel:[0,0,1] op_sel_hi:[1,0,0]
	v_dual_mul_f32 v42, v33, v29 :: v_dual_mov_b32 v30, v33
	s_delay_alu instid0(VALU_DEP_2) | instskip(NEXT) | instid1(VALU_DEP_2)
	v_dual_mov_b32 v49, v31 :: v_dual_mov_b32 v31, v32
	v_pk_fma_f32 v[42:43], v[32:33], v[110:111], v[42:43] op_sel_hi:[1,1,0] neg_lo:[0,0,1] neg_hi:[0,0,1]
	v_mul_f32_e32 v32, v33, v18
	s_delay_alu instid0(VALU_DEP_3) | instskip(NEXT) | instid1(VALU_DEP_2)
	v_pk_add_f32 v[156:157], v[156:157], v[48:49] neg_lo:[0,1] neg_hi:[0,1]
	v_pk_fma_f32 v[30:31], v[30:31], v[110:111], v[32:33] op_sel_hi:[1,1,0]
	s_delay_alu instid0(VALU_DEP_1) | instskip(SKIP_4) | instid1(VALU_DEP_1)
	v_mov_b32_e32 v43, v31
	ds_load_2addr_b64 v[30:33], v148 offset0:41 offset1:42
	v_pk_add_f32 v[178:179], v[178:179], v[42:43] neg_lo:[0,1] neg_hi:[0,1]
	s_wait_dscnt 0x0
	v_pk_mul_f32 v[42:43], v[30:31], v[28:29] op_sel:[0,1]
	v_pk_fma_f32 v[48:49], v[30:31], v[18:19], v[42:43] op_sel:[0,0,1] op_sel_hi:[1,1,0] neg_lo:[0,0,1] neg_hi:[0,0,1]
	v_pk_fma_f32 v[30:31], v[30:31], v[18:19], v[42:43] op_sel:[0,0,1] op_sel_hi:[1,0,0]
	s_delay_alu instid0(VALU_DEP_1) | instskip(SKIP_1) | instid1(VALU_DEP_1)
	v_mov_b32_e32 v49, v31
	v_pk_mul_f32 v[30:31], v[32:33], v[28:29] op_sel:[0,1]
	v_pk_fma_f32 v[42:43], v[32:33], v[18:19], v[30:31] op_sel:[0,0,1] op_sel_hi:[1,1,0] neg_lo:[0,0,1] neg_hi:[0,0,1]
	v_pk_fma_f32 v[30:31], v[32:33], v[18:19], v[30:31] op_sel:[0,0,1] op_sel_hi:[1,0,0]
	s_delay_alu instid0(VALU_DEP_1)
	v_mov_b32_e32 v43, v31
	ds_load_2addr_b64 v[30:33], v148 offset0:43 offset1:44
	v_pk_add_f32 v[174:175], v[174:175], v[48:49] neg_lo:[0,1] neg_hi:[0,1]
	v_pk_add_f32 v[176:177], v[176:177], v[42:43] neg_lo:[0,1] neg_hi:[0,1]
	s_wait_dscnt 0x0
	v_pk_mul_f32 v[42:43], v[30:31], v[28:29] op_sel:[0,1]
	s_delay_alu instid0(VALU_DEP_1) | instskip(SKIP_1) | instid1(VALU_DEP_1)
	v_pk_fma_f32 v[48:49], v[30:31], v[18:19], v[42:43] op_sel:[0,0,1] op_sel_hi:[1,1,0] neg_lo:[0,0,1] neg_hi:[0,0,1]
	v_pk_fma_f32 v[30:31], v[30:31], v[18:19], v[42:43] op_sel:[0,0,1] op_sel_hi:[1,0,0]
	v_mov_b32_e32 v49, v31
	v_pk_mul_f32 v[30:31], v[32:33], v[28:29] op_sel:[0,1]
	s_delay_alu instid0(VALU_DEP_1) | instskip(SKIP_1) | instid1(VALU_DEP_1)
	v_pk_fma_f32 v[42:43], v[32:33], v[18:19], v[30:31] op_sel:[0,0,1] op_sel_hi:[1,1,0] neg_lo:[0,0,1] neg_hi:[0,0,1]
	v_pk_fma_f32 v[30:31], v[32:33], v[18:19], v[30:31] op_sel:[0,0,1] op_sel_hi:[1,0,0]
	v_mov_b32_e32 v43, v31
	ds_load_2addr_b64 v[30:33], v148 offset0:45 offset1:46
	v_pk_add_f32 v[172:173], v[172:173], v[48:49] neg_lo:[0,1] neg_hi:[0,1]
	v_pk_add_f32 v[196:197], v[196:197], v[42:43] neg_lo:[0,1] neg_hi:[0,1]
	s_wait_dscnt 0x0
	v_dual_mul_f32 v42, v31, v29 :: v_dual_mul_f32 v48, v31, v18
	s_delay_alu instid0(VALU_DEP_1) | instskip(NEXT) | instid1(VALU_DEP_2)
	v_pk_fma_f32 v[42:43], v[30:31], v[110:111], v[42:43] op_sel_hi:[1,1,0] neg_lo:[0,0,1] neg_hi:[0,0,1]
	v_pk_fma_f32 v[30:31], v[30:31], v[110:111], v[48:49] op_sel:[1,0,0] op_sel_hi:[0,1,0]
	s_delay_alu instid0(VALU_DEP_1) | instskip(SKIP_1) | instid1(VALU_DEP_2)
	v_mov_b32_e32 v43, v31
	v_pk_mul_f32 v[30:31], v[32:33], v[28:29] op_sel:[0,1]
	v_pk_add_f32 v[192:193], v[192:193], v[42:43] neg_lo:[0,1] neg_hi:[0,1]
	s_delay_alu instid0(VALU_DEP_2) | instskip(SKIP_1) | instid1(VALU_DEP_1)
	v_pk_fma_f32 v[42:43], v[32:33], v[18:19], v[30:31] op_sel:[0,0,1] op_sel_hi:[1,1,0] neg_lo:[0,0,1] neg_hi:[0,0,1]
	v_pk_fma_f32 v[30:31], v[32:33], v[18:19], v[30:31] op_sel:[0,0,1] op_sel_hi:[1,0,0]
	v_mov_b32_e32 v43, v31
	ds_load_2addr_b64 v[30:33], v148 offset0:47 offset1:48
	v_pk_add_f32 v[194:195], v[194:195], v[42:43] neg_lo:[0,1] neg_hi:[0,1]
	s_wait_dscnt 0x0
	v_pk_mul_f32 v[42:43], v[30:31], v[28:29] op_sel:[0,1]
	s_delay_alu instid0(VALU_DEP_1) | instskip(SKIP_1) | instid1(VALU_DEP_1)
	v_pk_fma_f32 v[48:49], v[30:31], v[18:19], v[42:43] op_sel:[0,0,1] op_sel_hi:[1,1,0] neg_lo:[0,0,1] neg_hi:[0,0,1]
	v_pk_fma_f32 v[30:31], v[30:31], v[18:19], v[42:43] op_sel:[0,0,1] op_sel_hi:[1,0,0]
	v_mov_b32_e32 v49, v31
	v_pk_mul_f32 v[30:31], v[32:33], v[28:29] op_sel:[0,1]
	s_delay_alu instid0(VALU_DEP_2) | instskip(NEXT) | instid1(VALU_DEP_2)
	v_pk_add_f32 v[190:191], v[190:191], v[48:49] neg_lo:[0,1] neg_hi:[0,1]
	v_pk_fma_f32 v[42:43], v[32:33], v[18:19], v[30:31] op_sel:[0,0,1] op_sel_hi:[1,1,0] neg_lo:[0,0,1] neg_hi:[0,0,1]
	v_pk_fma_f32 v[30:31], v[32:33], v[18:19], v[30:31] op_sel:[0,0,1] op_sel_hi:[1,0,0]
	s_delay_alu instid0(VALU_DEP_1) | instskip(SKIP_4) | instid1(VALU_DEP_1)
	v_mov_b32_e32 v43, v31
	ds_load_2addr_b64 v[30:33], v148 offset0:49 offset1:50
	v_pk_add_f32 v[212:213], v[212:213], v[42:43] neg_lo:[0,1] neg_hi:[0,1]
	s_wait_dscnt 0x0
	v_pk_mul_f32 v[42:43], v[30:31], v[28:29] op_sel:[0,1]
	v_pk_fma_f32 v[48:49], v[30:31], v[18:19], v[42:43] op_sel:[0,0,1] op_sel_hi:[1,1,0] neg_lo:[0,0,1] neg_hi:[0,0,1]
	v_pk_fma_f32 v[30:31], v[30:31], v[18:19], v[42:43] op_sel:[0,0,1] op_sel_hi:[1,0,0]
	v_dual_mul_f32 v42, v33, v29 :: v_dual_mov_b32 v30, v33
	s_delay_alu instid0(VALU_DEP_2) | instskip(NEXT) | instid1(VALU_DEP_2)
	v_dual_mov_b32 v49, v31 :: v_dual_mov_b32 v31, v32
	v_pk_fma_f32 v[42:43], v[32:33], v[110:111], v[42:43] op_sel_hi:[1,1,0] neg_lo:[0,0,1] neg_hi:[0,0,1]
	v_mul_f32_e32 v32, v33, v18
	s_delay_alu instid0(VALU_DEP_3) | instskip(NEXT) | instid1(VALU_DEP_2)
	v_pk_add_f32 v[208:209], v[208:209], v[48:49] neg_lo:[0,1] neg_hi:[0,1]
	v_pk_fma_f32 v[30:31], v[30:31], v[110:111], v[32:33] op_sel_hi:[1,1,0]
	s_delay_alu instid0(VALU_DEP_1) | instskip(SKIP_4) | instid1(VALU_DEP_1)
	v_mov_b32_e32 v43, v31
	ds_load_2addr_b64 v[30:33], v148 offset0:51 offset1:52
	v_pk_add_f32 v[210:211], v[210:211], v[42:43] neg_lo:[0,1] neg_hi:[0,1]
	s_wait_dscnt 0x0
	v_pk_mul_f32 v[42:43], v[30:31], v[28:29] op_sel:[0,1]
	v_pk_fma_f32 v[48:49], v[30:31], v[18:19], v[42:43] op_sel:[0,0,1] op_sel_hi:[1,1,0] neg_lo:[0,0,1] neg_hi:[0,0,1]
	v_pk_fma_f32 v[30:31], v[30:31], v[18:19], v[42:43] op_sel:[0,0,1] op_sel_hi:[1,0,0]
	s_delay_alu instid0(VALU_DEP_1) | instskip(SKIP_1) | instid1(VALU_DEP_1)
	v_mov_b32_e32 v49, v31
	v_pk_mul_f32 v[30:31], v[32:33], v[28:29] op_sel:[0,1]
	v_pk_fma_f32 v[42:43], v[32:33], v[18:19], v[30:31] op_sel:[0,0,1] op_sel_hi:[1,1,0] neg_lo:[0,0,1] neg_hi:[0,0,1]
	v_pk_fma_f32 v[30:31], v[32:33], v[18:19], v[30:31] op_sel:[0,0,1] op_sel_hi:[1,0,0]
	s_delay_alu instid0(VALU_DEP_1)
	v_mov_b32_e32 v43, v31
	ds_load_b64 v[30:31], v148 offset:424
	v_pk_add_f32 v[206:207], v[206:207], v[48:49] neg_lo:[0,1] neg_hi:[0,1]
	v_pk_add_f32 v[214:215], v[214:215], v[42:43] neg_lo:[0,1] neg_hi:[0,1]
	s_wait_dscnt 0x0
	v_pk_mul_f32 v[28:29], v[30:31], v[28:29] op_sel:[0,1]
	s_delay_alu instid0(VALU_DEP_1) | instskip(SKIP_1) | instid1(VALU_DEP_1)
	v_pk_fma_f32 v[32:33], v[30:31], v[18:19], v[28:29] op_sel:[0,0,1] op_sel_hi:[1,1,0] neg_lo:[0,0,1] neg_hi:[0,0,1]
	v_pk_fma_f32 v[18:19], v[30:31], v[18:19], v[28:29] op_sel:[0,0,1] op_sel_hi:[1,0,0]
	v_mov_b32_e32 v33, v19
	s_delay_alu instid0(VALU_DEP_1)
	v_pk_add_f32 v[216:217], v[216:217], v[32:33] neg_lo:[0,1] neg_hi:[0,1]
.LBB107_244:
	s_or_b32 exec_lo, exec_lo, s1
	s_delay_alu instid0(SALU_CYCLE_1)
	s_mov_b32 s2, exec_lo
	s_wait_dscnt 0x0
	s_barrier_signal -1
	s_barrier_wait -1
	v_cmpx_eq_u32_e32 27, v138
	s_cbranch_execz .LBB107_251
; %bb.245:
	v_dual_mov_b32 v18, v130 :: v_dual_mov_b32 v19, v131
	v_dual_mov_b32 v28, v126 :: v_dual_mov_b32 v29, v127
	ds_store_b64 v139, v[106:107]
	ds_store_2addr_b64 v148, v[18:19], v[28:29] offset0:28 offset1:29
	v_dual_mov_b32 v18, v128 :: v_dual_mov_b32 v19, v129
	v_dual_mov_b32 v28, v124 :: v_dual_mov_b32 v29, v125
	ds_store_2addr_b64 v148, v[18:19], v[28:29] offset0:30 offset1:31
	v_dual_mov_b32 v18, v146 :: v_dual_mov_b32 v19, v147
	v_dual_mov_b32 v28, v142 :: v_dual_mov_b32 v29, v143
	;; [unrolled: 3-line block ×11, first 2 shown]
	ds_store_2addr_b64 v148, v[18:19], v[28:29] offset0:50 offset1:51
	v_dual_mov_b32 v18, v214 :: v_dual_mov_b32 v19, v215
	ds_store_2addr_b64 v148, v[18:19], v[216:217] offset0:52 offset1:53
	ds_load_b64 v[18:19], v139
	s_wait_dscnt 0x0
	v_cmp_neq_f32_e32 vcc_lo, 0, v18
	v_cmp_neq_f32_e64 s1, 0, v19
	s_or_b32 s1, vcc_lo, s1
	s_delay_alu instid0(SALU_CYCLE_1)
	s_and_b32 exec_lo, exec_lo, s1
	s_cbranch_execz .LBB107_251
; %bb.246:
	v_cmp_ngt_f32_e64 s1, |v18|, |v19|
                                        ; implicit-def: $vgpr28_vgpr29
	s_and_saveexec_b32 s4, s1
	s_delay_alu instid0(SALU_CYCLE_1)
	s_xor_b32 s1, exec_lo, s4
	s_cbranch_execz .LBB107_248
; %bb.247:
	v_div_scale_f32 v28, null, v19, v19, v18
	v_div_scale_f32 v31, vcc_lo, v18, v19, v18
	s_delay_alu instid0(VALU_DEP_2) | instskip(SKIP_1) | instid1(TRANS32_DEP_1)
	v_rcp_f32_e32 v29, v28
	v_nop
	v_fma_f32 v30, -v28, v29, 1.0
	s_delay_alu instid0(VALU_DEP_1) | instskip(NEXT) | instid1(VALU_DEP_1)
	v_fmac_f32_e32 v29, v30, v29
	v_mul_f32_e32 v30, v31, v29
	s_delay_alu instid0(VALU_DEP_1) | instskip(NEXT) | instid1(VALU_DEP_1)
	v_fma_f32 v32, -v28, v30, v31
	v_fmac_f32_e32 v30, v32, v29
	s_delay_alu instid0(VALU_DEP_1) | instskip(NEXT) | instid1(VALU_DEP_1)
	v_fma_f32 v28, -v28, v30, v31
	v_div_fmas_f32 v28, v28, v29, v30
	s_delay_alu instid0(VALU_DEP_1) | instskip(NEXT) | instid1(VALU_DEP_1)
	v_div_fixup_f32 v28, v28, v19, v18
	v_fmac_f32_e32 v19, v18, v28
	s_delay_alu instid0(VALU_DEP_1) | instskip(SKIP_1) | instid1(VALU_DEP_2)
	v_div_scale_f32 v18, null, v19, v19, 1.0
	v_div_scale_f32 v31, vcc_lo, 1.0, v19, 1.0
	v_rcp_f32_e32 v29, v18
	v_nop
	s_delay_alu instid0(TRANS32_DEP_1) | instskip(NEXT) | instid1(VALU_DEP_1)
	v_fma_f32 v30, -v18, v29, 1.0
	v_fmac_f32_e32 v29, v30, v29
	s_delay_alu instid0(VALU_DEP_1) | instskip(NEXT) | instid1(VALU_DEP_1)
	v_mul_f32_e32 v30, v31, v29
	v_fma_f32 v32, -v18, v30, v31
	s_delay_alu instid0(VALU_DEP_1) | instskip(NEXT) | instid1(VALU_DEP_1)
	v_fmac_f32_e32 v30, v32, v29
	v_fma_f32 v18, -v18, v30, v31
	s_delay_alu instid0(VALU_DEP_1) | instskip(NEXT) | instid1(VALU_DEP_1)
	v_div_fmas_f32 v18, v18, v29, v30
	v_div_fixup_f32 v18, v18, v19, 1.0
	s_delay_alu instid0(VALU_DEP_1)
	v_mul_f32_e32 v28, v28, v18
	v_xor_b32_e32 v29, 0x80000000, v18
                                        ; implicit-def: $vgpr18_vgpr19
.LBB107_248:
	s_and_not1_saveexec_b32 s1, s1
	s_cbranch_execz .LBB107_250
; %bb.249:
	v_div_scale_f32 v28, null, v18, v18, v19
	v_div_scale_f32 v31, vcc_lo, v19, v18, v19
	s_delay_alu instid0(VALU_DEP_2) | instskip(SKIP_1) | instid1(TRANS32_DEP_1)
	v_rcp_f32_e32 v29, v28
	v_nop
	v_fma_f32 v30, -v28, v29, 1.0
	s_delay_alu instid0(VALU_DEP_1) | instskip(NEXT) | instid1(VALU_DEP_1)
	v_fmac_f32_e32 v29, v30, v29
	v_mul_f32_e32 v30, v31, v29
	s_delay_alu instid0(VALU_DEP_1) | instskip(NEXT) | instid1(VALU_DEP_1)
	v_fma_f32 v32, -v28, v30, v31
	v_fmac_f32_e32 v30, v32, v29
	s_delay_alu instid0(VALU_DEP_1) | instskip(NEXT) | instid1(VALU_DEP_1)
	v_fma_f32 v28, -v28, v30, v31
	v_div_fmas_f32 v28, v28, v29, v30
	s_delay_alu instid0(VALU_DEP_1) | instskip(NEXT) | instid1(VALU_DEP_1)
	v_div_fixup_f32 v29, v28, v18, v19
	v_fmac_f32_e32 v18, v19, v29
	s_delay_alu instid0(VALU_DEP_1) | instskip(NEXT) | instid1(VALU_DEP_1)
	v_div_scale_f32 v19, null, v18, v18, 1.0
	v_rcp_f32_e32 v28, v19
	v_nop
	s_delay_alu instid0(TRANS32_DEP_1) | instskip(NEXT) | instid1(VALU_DEP_1)
	v_fma_f32 v30, -v19, v28, 1.0
	v_fmac_f32_e32 v28, v30, v28
	v_div_scale_f32 v30, vcc_lo, 1.0, v18, 1.0
	s_delay_alu instid0(VALU_DEP_1) | instskip(NEXT) | instid1(VALU_DEP_1)
	v_mul_f32_e32 v31, v30, v28
	v_fma_f32 v32, -v19, v31, v30
	s_delay_alu instid0(VALU_DEP_1) | instskip(NEXT) | instid1(VALU_DEP_1)
	v_fmac_f32_e32 v31, v32, v28
	v_fma_f32 v19, -v19, v31, v30
	s_delay_alu instid0(VALU_DEP_1) | instskip(NEXT) | instid1(VALU_DEP_1)
	v_div_fmas_f32 v19, v19, v28, v31
	v_div_fixup_f32 v28, v19, v18, 1.0
	s_delay_alu instid0(VALU_DEP_1)
	v_mul_f32_e64 v29, v29, -v28
.LBB107_250:
	s_or_b32 exec_lo, exec_lo, s1
	ds_store_b64 v139, v[28:29]
.LBB107_251:
	s_or_b32 exec_lo, exec_lo, s2
	s_wait_dscnt 0x0
	s_barrier_signal -1
	s_barrier_wait -1
	ds_load_b64 v[18:19], v139
	s_mov_b32 s1, exec_lo
	v_cmpx_lt_u32_e32 27, v138
	s_cbranch_execz .LBB107_253
; %bb.252:
	ds_load_2addr_b64 v[48:51], v148 offset0:28 offset1:29
	s_wait_dscnt 0x1
	v_pk_mul_f32 v[30:31], v[18:19], v[106:107] op_sel:[1,1] op_sel_hi:[0,1]
	s_delay_alu instid0(VALU_DEP_1) | instskip(SKIP_1) | instid1(VALU_DEP_1)
	v_pk_fma_f32 v[28:29], v[18:19], v[106:107], v[30:31] op_sel_hi:[1,0,1] neg_lo:[0,0,1] neg_hi:[0,0,1]
	v_pk_fma_f32 v[30:31], v[18:19], v[106:107], v[30:31] op_sel_hi:[1,0,1]
	v_dual_mov_b32 v106, v28 :: v_dual_mov_b32 v107, v31
	s_wait_dscnt 0x0
	s_delay_alu instid0(VALU_DEP_2) | instskip(NEXT) | instid1(VALU_DEP_1)
	v_pk_mul_f32 v[32:33], v[48:49], v[30:31] op_sel:[0,1]
	v_pk_fma_f32 v[42:43], v[48:49], v[28:29], v[32:33] op_sel:[0,0,1] op_sel_hi:[1,1,0] neg_lo:[0,0,1] neg_hi:[0,0,1]
	v_pk_fma_f32 v[32:33], v[48:49], v[28:29], v[32:33] op_sel:[0,0,1] op_sel_hi:[1,0,0]
	s_delay_alu instid0(VALU_DEP_1) | instskip(SKIP_1) | instid1(VALU_DEP_2)
	v_mov_b32_e32 v43, v33
	v_pk_mul_f32 v[32:33], v[50:51], v[30:31] op_sel:[0,1]
	v_pk_add_f32 v[130:131], v[130:131], v[42:43] neg_lo:[0,1] neg_hi:[0,1]
	s_delay_alu instid0(VALU_DEP_2) | instskip(SKIP_3) | instid1(VALU_DEP_1)
	v_pk_fma_f32 v[42:43], v[50:51], v[28:29], v[32:33] op_sel:[0,0,1] op_sel_hi:[1,1,0] neg_lo:[0,0,1] neg_hi:[0,0,1]
	v_pk_fma_f32 v[32:33], v[50:51], v[28:29], v[32:33] op_sel:[0,0,1] op_sel_hi:[1,0,0]
	ds_load_2addr_b64 v[48:51], v148 offset0:30 offset1:31
	v_mov_b32_e32 v43, v33
	v_pk_add_f32 v[126:127], v[126:127], v[42:43] neg_lo:[0,1] neg_hi:[0,1]
	s_wait_dscnt 0x0
	v_pk_mul_f32 v[32:33], v[48:49], v[30:31] op_sel:[0,1]
	s_delay_alu instid0(VALU_DEP_1) | instskip(SKIP_2) | instid1(VALU_DEP_2)
	v_pk_fma_f32 v[42:43], v[48:49], v[28:29], v[32:33] op_sel:[0,0,1] op_sel_hi:[1,1,0] neg_lo:[0,0,1] neg_hi:[0,0,1]
	v_pk_fma_f32 v[32:33], v[48:49], v[28:29], v[32:33] op_sel:[0,0,1] op_sel_hi:[1,0,0]
	v_dual_mov_b32 v32, v51 :: v_dual_mul_f32 v48, v51, v28
	v_dual_mov_b32 v43, v33 :: v_dual_mov_b32 v33, v50
	s_delay_alu instid0(VALU_DEP_1) | instskip(SKIP_1) | instid1(VALU_DEP_3)
	v_pk_add_f32 v[128:129], v[128:129], v[42:43] neg_lo:[0,1] neg_hi:[0,1]
	v_mul_f32_e32 v42, v51, v31
	v_pk_fma_f32 v[32:33], v[32:33], v[106:107], v[48:49] op_sel_hi:[1,1,0]
	s_delay_alu instid0(VALU_DEP_2) | instskip(SKIP_2) | instid1(VALU_DEP_1)
	v_pk_fma_f32 v[42:43], v[50:51], v[106:107], v[42:43] op_sel_hi:[1,1,0] neg_lo:[0,0,1] neg_hi:[0,0,1]
	ds_load_2addr_b64 v[48:51], v148 offset0:32 offset1:33
	v_mov_b32_e32 v43, v33
	v_pk_add_f32 v[124:125], v[124:125], v[42:43] neg_lo:[0,1] neg_hi:[0,1]
	s_wait_dscnt 0x0
	v_pk_mul_f32 v[32:33], v[48:49], v[30:31] op_sel:[0,1]
	s_delay_alu instid0(VALU_DEP_1) | instskip(SKIP_1) | instid1(VALU_DEP_1)
	v_pk_fma_f32 v[42:43], v[48:49], v[28:29], v[32:33] op_sel:[0,0,1] op_sel_hi:[1,1,0] neg_lo:[0,0,1] neg_hi:[0,0,1]
	v_pk_fma_f32 v[32:33], v[48:49], v[28:29], v[32:33] op_sel:[0,0,1] op_sel_hi:[1,0,0]
	v_mov_b32_e32 v43, v33
	v_pk_mul_f32 v[32:33], v[50:51], v[30:31] op_sel:[0,1]
	s_delay_alu instid0(VALU_DEP_2) | instskip(NEXT) | instid1(VALU_DEP_2)
	v_pk_add_f32 v[146:147], v[146:147], v[42:43] neg_lo:[0,1] neg_hi:[0,1]
	v_pk_fma_f32 v[42:43], v[50:51], v[28:29], v[32:33] op_sel:[0,0,1] op_sel_hi:[1,1,0] neg_lo:[0,0,1] neg_hi:[0,0,1]
	v_pk_fma_f32 v[32:33], v[50:51], v[28:29], v[32:33] op_sel:[0,0,1] op_sel_hi:[1,0,0]
	ds_load_2addr_b64 v[48:51], v148 offset0:34 offset1:35
	v_mov_b32_e32 v43, v33
	s_delay_alu instid0(VALU_DEP_1) | instskip(SKIP_2) | instid1(VALU_DEP_1)
	v_pk_add_f32 v[142:143], v[142:143], v[42:43] neg_lo:[0,1] neg_hi:[0,1]
	s_wait_dscnt 0x0
	v_pk_mul_f32 v[32:33], v[48:49], v[30:31] op_sel:[0,1]
	v_pk_fma_f32 v[42:43], v[48:49], v[28:29], v[32:33] op_sel:[0,0,1] op_sel_hi:[1,1,0] neg_lo:[0,0,1] neg_hi:[0,0,1]
	v_pk_fma_f32 v[32:33], v[48:49], v[28:29], v[32:33] op_sel:[0,0,1] op_sel_hi:[1,0,0]
	s_delay_alu instid0(VALU_DEP_1) | instskip(SKIP_1) | instid1(VALU_DEP_2)
	v_mov_b32_e32 v43, v33
	v_pk_mul_f32 v[32:33], v[50:51], v[30:31] op_sel:[0,1]
	v_pk_add_f32 v[144:145], v[144:145], v[42:43] neg_lo:[0,1] neg_hi:[0,1]
	s_delay_alu instid0(VALU_DEP_2) | instskip(SKIP_3) | instid1(VALU_DEP_1)
	v_pk_fma_f32 v[42:43], v[50:51], v[28:29], v[32:33] op_sel:[0,0,1] op_sel_hi:[1,1,0] neg_lo:[0,0,1] neg_hi:[0,0,1]
	v_pk_fma_f32 v[32:33], v[50:51], v[28:29], v[32:33] op_sel:[0,0,1] op_sel_hi:[1,0,0]
	ds_load_2addr_b64 v[48:51], v148 offset0:36 offset1:37
	v_mov_b32_e32 v43, v33
	v_pk_add_f32 v[140:141], v[140:141], v[42:43] neg_lo:[0,1] neg_hi:[0,1]
	s_wait_dscnt 0x0
	v_dual_mul_f32 v32, v49, v31 :: v_dual_mul_f32 v42, v49, v28
	s_delay_alu instid0(VALU_DEP_1) | instskip(NEXT) | instid1(VALU_DEP_2)
	v_pk_fma_f32 v[32:33], v[48:49], v[106:107], v[32:33] op_sel_hi:[1,1,0] neg_lo:[0,0,1] neg_hi:[0,0,1]
	v_pk_fma_f32 v[42:43], v[48:49], v[106:107], v[42:43] op_sel:[1,0,0] op_sel_hi:[0,1,0]
	s_delay_alu instid0(VALU_DEP_1) | instskip(NEXT) | instid1(VALU_DEP_1)
	v_mov_b32_e32 v33, v43
	v_pk_add_f32 v[162:163], v[162:163], v[32:33] neg_lo:[0,1] neg_hi:[0,1]
	v_pk_mul_f32 v[32:33], v[50:51], v[30:31] op_sel:[0,1]
	s_delay_alu instid0(VALU_DEP_1) | instskip(SKIP_3) | instid1(VALU_DEP_1)
	v_pk_fma_f32 v[42:43], v[50:51], v[28:29], v[32:33] op_sel:[0,0,1] op_sel_hi:[1,1,0] neg_lo:[0,0,1] neg_hi:[0,0,1]
	v_pk_fma_f32 v[32:33], v[50:51], v[28:29], v[32:33] op_sel:[0,0,1] op_sel_hi:[1,0,0]
	ds_load_2addr_b64 v[48:51], v148 offset0:38 offset1:39
	v_mov_b32_e32 v43, v33
	v_pk_add_f32 v[158:159], v[158:159], v[42:43] neg_lo:[0,1] neg_hi:[0,1]
	s_wait_dscnt 0x0
	v_pk_mul_f32 v[32:33], v[48:49], v[30:31] op_sel:[0,1]
	s_delay_alu instid0(VALU_DEP_1) | instskip(SKIP_1) | instid1(VALU_DEP_1)
	v_pk_fma_f32 v[42:43], v[48:49], v[28:29], v[32:33] op_sel:[0,0,1] op_sel_hi:[1,1,0] neg_lo:[0,0,1] neg_hi:[0,0,1]
	v_pk_fma_f32 v[32:33], v[48:49], v[28:29], v[32:33] op_sel:[0,0,1] op_sel_hi:[1,0,0]
	v_mov_b32_e32 v43, v33
	v_pk_mul_f32 v[32:33], v[50:51], v[30:31] op_sel:[0,1]
	s_delay_alu instid0(VALU_DEP_2) | instskip(NEXT) | instid1(VALU_DEP_2)
	v_pk_add_f32 v[160:161], v[160:161], v[42:43] neg_lo:[0,1] neg_hi:[0,1]
	v_pk_fma_f32 v[42:43], v[50:51], v[28:29], v[32:33] op_sel:[0,0,1] op_sel_hi:[1,1,0] neg_lo:[0,0,1] neg_hi:[0,0,1]
	v_pk_fma_f32 v[32:33], v[50:51], v[28:29], v[32:33] op_sel:[0,0,1] op_sel_hi:[1,0,0]
	ds_load_2addr_b64 v[48:51], v148 offset0:40 offset1:41
	v_mov_b32_e32 v43, v33
	s_delay_alu instid0(VALU_DEP_1) | instskip(SKIP_2) | instid1(VALU_DEP_1)
	v_pk_add_f32 v[156:157], v[156:157], v[42:43] neg_lo:[0,1] neg_hi:[0,1]
	s_wait_dscnt 0x0
	v_pk_mul_f32 v[32:33], v[48:49], v[30:31] op_sel:[0,1]
	v_pk_fma_f32 v[42:43], v[48:49], v[28:29], v[32:33] op_sel:[0,0,1] op_sel_hi:[1,1,0] neg_lo:[0,0,1] neg_hi:[0,0,1]
	v_pk_fma_f32 v[32:33], v[48:49], v[28:29], v[32:33] op_sel:[0,0,1] op_sel_hi:[1,0,0]
	v_dual_mov_b32 v32, v51 :: v_dual_mul_f32 v48, v51, v28
	s_delay_alu instid0(VALU_DEP_2) | instskip(NEXT) | instid1(VALU_DEP_1)
	v_dual_mov_b32 v43, v33 :: v_dual_mov_b32 v33, v50
	v_pk_add_f32 v[178:179], v[178:179], v[42:43] neg_lo:[0,1] neg_hi:[0,1]
	v_mul_f32_e32 v42, v51, v31
	s_delay_alu instid0(VALU_DEP_3) | instskip(NEXT) | instid1(VALU_DEP_2)
	v_pk_fma_f32 v[32:33], v[32:33], v[106:107], v[48:49] op_sel_hi:[1,1,0]
	v_pk_fma_f32 v[42:43], v[50:51], v[106:107], v[42:43] op_sel_hi:[1,1,0] neg_lo:[0,0,1] neg_hi:[0,0,1]
	ds_load_2addr_b64 v[48:51], v148 offset0:42 offset1:43
	v_mov_b32_e32 v43, v33
	s_delay_alu instid0(VALU_DEP_1) | instskip(SKIP_2) | instid1(VALU_DEP_1)
	v_pk_add_f32 v[174:175], v[174:175], v[42:43] neg_lo:[0,1] neg_hi:[0,1]
	s_wait_dscnt 0x0
	v_pk_mul_f32 v[32:33], v[48:49], v[30:31] op_sel:[0,1]
	v_pk_fma_f32 v[42:43], v[48:49], v[28:29], v[32:33] op_sel:[0,0,1] op_sel_hi:[1,1,0] neg_lo:[0,0,1] neg_hi:[0,0,1]
	v_pk_fma_f32 v[32:33], v[48:49], v[28:29], v[32:33] op_sel:[0,0,1] op_sel_hi:[1,0,0]
	s_delay_alu instid0(VALU_DEP_1) | instskip(SKIP_1) | instid1(VALU_DEP_2)
	v_mov_b32_e32 v43, v33
	v_pk_mul_f32 v[32:33], v[50:51], v[30:31] op_sel:[0,1]
	v_pk_add_f32 v[176:177], v[176:177], v[42:43] neg_lo:[0,1] neg_hi:[0,1]
	s_delay_alu instid0(VALU_DEP_2) | instskip(SKIP_3) | instid1(VALU_DEP_1)
	v_pk_fma_f32 v[42:43], v[50:51], v[28:29], v[32:33] op_sel:[0,0,1] op_sel_hi:[1,1,0] neg_lo:[0,0,1] neg_hi:[0,0,1]
	v_pk_fma_f32 v[32:33], v[50:51], v[28:29], v[32:33] op_sel:[0,0,1] op_sel_hi:[1,0,0]
	ds_load_2addr_b64 v[48:51], v148 offset0:44 offset1:45
	v_mov_b32_e32 v43, v33
	v_pk_add_f32 v[172:173], v[172:173], v[42:43] neg_lo:[0,1] neg_hi:[0,1]
	s_wait_dscnt 0x0
	v_pk_mul_f32 v[32:33], v[48:49], v[30:31] op_sel:[0,1]
	s_delay_alu instid0(VALU_DEP_1) | instskip(SKIP_1) | instid1(VALU_DEP_1)
	v_pk_fma_f32 v[42:43], v[48:49], v[28:29], v[32:33] op_sel:[0,0,1] op_sel_hi:[1,1,0] neg_lo:[0,0,1] neg_hi:[0,0,1]
	v_pk_fma_f32 v[32:33], v[48:49], v[28:29], v[32:33] op_sel:[0,0,1] op_sel_hi:[1,0,0]
	v_mov_b32_e32 v43, v33
	v_pk_mul_f32 v[32:33], v[50:51], v[30:31] op_sel:[0,1]
	s_delay_alu instid0(VALU_DEP_2) | instskip(NEXT) | instid1(VALU_DEP_2)
	v_pk_add_f32 v[196:197], v[196:197], v[42:43] neg_lo:[0,1] neg_hi:[0,1]
	v_pk_fma_f32 v[42:43], v[50:51], v[28:29], v[32:33] op_sel:[0,0,1] op_sel_hi:[1,1,0] neg_lo:[0,0,1] neg_hi:[0,0,1]
	v_pk_fma_f32 v[32:33], v[50:51], v[28:29], v[32:33] op_sel:[0,0,1] op_sel_hi:[1,0,0]
	ds_load_2addr_b64 v[48:51], v148 offset0:46 offset1:47
	v_mov_b32_e32 v43, v33
	s_delay_alu instid0(VALU_DEP_1) | instskip(SKIP_2) | instid1(VALU_DEP_1)
	v_pk_add_f32 v[192:193], v[192:193], v[42:43] neg_lo:[0,1] neg_hi:[0,1]
	s_wait_dscnt 0x0
	v_dual_mul_f32 v42, v49, v28 :: v_dual_mul_f32 v32, v49, v31
	v_pk_fma_f32 v[42:43], v[48:49], v[106:107], v[42:43] op_sel:[1,0,0] op_sel_hi:[0,1,0]
	s_delay_alu instid0(VALU_DEP_2) | instskip(NEXT) | instid1(VALU_DEP_2)
	v_pk_fma_f32 v[32:33], v[48:49], v[106:107], v[32:33] op_sel_hi:[1,1,0] neg_lo:[0,0,1] neg_hi:[0,0,1]
	v_mov_b32_e32 v33, v43
	s_delay_alu instid0(VALU_DEP_1) | instskip(SKIP_1) | instid1(VALU_DEP_1)
	v_pk_add_f32 v[194:195], v[194:195], v[32:33] neg_lo:[0,1] neg_hi:[0,1]
	v_pk_mul_f32 v[32:33], v[50:51], v[30:31] op_sel:[0,1]
	v_pk_fma_f32 v[42:43], v[50:51], v[28:29], v[32:33] op_sel:[0,0,1] op_sel_hi:[1,1,0] neg_lo:[0,0,1] neg_hi:[0,0,1]
	v_pk_fma_f32 v[32:33], v[50:51], v[28:29], v[32:33] op_sel:[0,0,1] op_sel_hi:[1,0,0]
	ds_load_2addr_b64 v[48:51], v148 offset0:48 offset1:49
	v_mov_b32_e32 v43, v33
	s_delay_alu instid0(VALU_DEP_1) | instskip(SKIP_2) | instid1(VALU_DEP_1)
	v_pk_add_f32 v[190:191], v[190:191], v[42:43] neg_lo:[0,1] neg_hi:[0,1]
	s_wait_dscnt 0x0
	v_pk_mul_f32 v[32:33], v[48:49], v[30:31] op_sel:[0,1]
	v_pk_fma_f32 v[42:43], v[48:49], v[28:29], v[32:33] op_sel:[0,0,1] op_sel_hi:[1,1,0] neg_lo:[0,0,1] neg_hi:[0,0,1]
	v_pk_fma_f32 v[32:33], v[48:49], v[28:29], v[32:33] op_sel:[0,0,1] op_sel_hi:[1,0,0]
	s_delay_alu instid0(VALU_DEP_1) | instskip(SKIP_1) | instid1(VALU_DEP_2)
	v_mov_b32_e32 v43, v33
	v_pk_mul_f32 v[32:33], v[50:51], v[30:31] op_sel:[0,1]
	v_pk_add_f32 v[212:213], v[212:213], v[42:43] neg_lo:[0,1] neg_hi:[0,1]
	s_delay_alu instid0(VALU_DEP_2) | instskip(SKIP_3) | instid1(VALU_DEP_1)
	v_pk_fma_f32 v[42:43], v[50:51], v[28:29], v[32:33] op_sel:[0,0,1] op_sel_hi:[1,1,0] neg_lo:[0,0,1] neg_hi:[0,0,1]
	v_pk_fma_f32 v[32:33], v[50:51], v[28:29], v[32:33] op_sel:[0,0,1] op_sel_hi:[1,0,0]
	ds_load_2addr_b64 v[48:51], v148 offset0:50 offset1:51
	v_mov_b32_e32 v43, v33
	v_pk_add_f32 v[208:209], v[208:209], v[42:43] neg_lo:[0,1] neg_hi:[0,1]
	s_wait_dscnt 0x0
	v_pk_mul_f32 v[32:33], v[48:49], v[30:31] op_sel:[0,1]
	s_delay_alu instid0(VALU_DEP_1) | instskip(SKIP_2) | instid1(VALU_DEP_2)
	v_pk_fma_f32 v[42:43], v[48:49], v[28:29], v[32:33] op_sel:[0,0,1] op_sel_hi:[1,1,0] neg_lo:[0,0,1] neg_hi:[0,0,1]
	v_pk_fma_f32 v[32:33], v[48:49], v[28:29], v[32:33] op_sel:[0,0,1] op_sel_hi:[1,0,0]
	v_dual_mov_b32 v32, v51 :: v_dual_mul_f32 v48, v51, v28
	v_dual_mov_b32 v43, v33 :: v_dual_mov_b32 v33, v50
	s_delay_alu instid0(VALU_DEP_1) | instskip(SKIP_1) | instid1(VALU_DEP_3)
	v_pk_add_f32 v[210:211], v[210:211], v[42:43] neg_lo:[0,1] neg_hi:[0,1]
	v_mul_f32_e32 v42, v51, v31
	v_pk_fma_f32 v[32:33], v[32:33], v[106:107], v[48:49] op_sel_hi:[1,1,0]
	s_delay_alu instid0(VALU_DEP_2) | instskip(SKIP_2) | instid1(VALU_DEP_1)
	v_pk_fma_f32 v[42:43], v[50:51], v[106:107], v[42:43] op_sel_hi:[1,1,0] neg_lo:[0,0,1] neg_hi:[0,0,1]
	ds_load_2addr_b64 v[48:51], v148 offset0:52 offset1:53
	v_mov_b32_e32 v43, v33
	v_pk_add_f32 v[206:207], v[206:207], v[42:43] neg_lo:[0,1] neg_hi:[0,1]
	s_wait_dscnt 0x0
	v_pk_mul_f32 v[32:33], v[48:49], v[30:31] op_sel:[0,1]
	v_pk_mul_f32 v[30:31], v[50:51], v[30:31] op_sel:[0,1]
	s_delay_alu instid0(VALU_DEP_2) | instskip(SKIP_1) | instid1(VALU_DEP_1)
	v_pk_fma_f32 v[42:43], v[48:49], v[28:29], v[32:33] op_sel:[0,0,1] op_sel_hi:[1,1,0] neg_lo:[0,0,1] neg_hi:[0,0,1]
	v_pk_fma_f32 v[32:33], v[48:49], v[28:29], v[32:33] op_sel:[0,0,1] op_sel_hi:[1,0,0]
	v_mov_b32_e32 v43, v33
	s_delay_alu instid0(VALU_DEP_4) | instskip(SKIP_1) | instid1(VALU_DEP_3)
	v_pk_fma_f32 v[32:33], v[50:51], v[28:29], v[30:31] op_sel:[0,0,1] op_sel_hi:[1,1,0] neg_lo:[0,0,1] neg_hi:[0,0,1]
	v_pk_fma_f32 v[28:29], v[50:51], v[28:29], v[30:31] op_sel:[0,0,1] op_sel_hi:[1,0,0]
	v_pk_add_f32 v[214:215], v[214:215], v[42:43] neg_lo:[0,1] neg_hi:[0,1]
	s_delay_alu instid0(VALU_DEP_2) | instskip(NEXT) | instid1(VALU_DEP_1)
	v_mov_b32_e32 v33, v29
	v_pk_add_f32 v[216:217], v[216:217], v[32:33] neg_lo:[0,1] neg_hi:[0,1]
.LBB107_253:
	s_or_b32 exec_lo, exec_lo, s1
	s_delay_alu instid0(SALU_CYCLE_1)
	s_mov_b32 s2, exec_lo
	s_wait_dscnt 0x0
	s_barrier_signal -1
	s_barrier_wait -1
	v_cmpx_eq_u32_e32 28, v138
	s_cbranch_execz .LBB107_260
; %bb.254:
	ds_store_b64 v139, v[130:131]
	ds_store_2addr_b64 v148, v[126:127], v[128:129] offset0:29 offset1:30
	ds_store_2addr_b64 v148, v[124:125], v[146:147] offset0:31 offset1:32
	ds_store_2addr_b64 v148, v[142:143], v[144:145] offset0:33 offset1:34
	ds_store_2addr_b64 v148, v[140:141], v[162:163] offset0:35 offset1:36
	ds_store_2addr_b64 v148, v[158:159], v[160:161] offset0:37 offset1:38
	ds_store_2addr_b64 v148, v[156:157], v[178:179] offset0:39 offset1:40
	ds_store_2addr_b64 v148, v[174:175], v[176:177] offset0:41 offset1:42
	ds_store_2addr_b64 v148, v[172:173], v[196:197] offset0:43 offset1:44
	ds_store_2addr_b64 v148, v[192:193], v[194:195] offset0:45 offset1:46
	ds_store_2addr_b64 v148, v[190:191], v[212:213] offset0:47 offset1:48
	ds_store_2addr_b64 v148, v[208:209], v[210:211] offset0:49 offset1:50
	ds_store_2addr_b64 v148, v[206:207], v[214:215] offset0:51 offset1:52
	ds_store_b64 v148, v[216:217] offset:424
	ds_load_b64 v[28:29], v139
	s_wait_dscnt 0x0
	v_cmp_neq_f32_e32 vcc_lo, 0, v28
	v_cmp_neq_f32_e64 s1, 0, v29
	s_or_b32 s1, vcc_lo, s1
	s_delay_alu instid0(SALU_CYCLE_1)
	s_and_b32 exec_lo, exec_lo, s1
	s_cbranch_execz .LBB107_260
; %bb.255:
	v_cmp_ngt_f32_e64 s1, |v28|, |v29|
                                        ; implicit-def: $vgpr30_vgpr31
	s_and_saveexec_b32 s4, s1
	s_delay_alu instid0(SALU_CYCLE_1)
	s_xor_b32 s1, exec_lo, s4
	s_cbranch_execz .LBB107_257
; %bb.256:
	v_div_scale_f32 v30, null, v29, v29, v28
	v_div_scale_f32 v33, vcc_lo, v28, v29, v28
	s_delay_alu instid0(VALU_DEP_2) | instskip(SKIP_1) | instid1(TRANS32_DEP_1)
	v_rcp_f32_e32 v31, v30
	v_nop
	v_fma_f32 v32, -v30, v31, 1.0
	s_delay_alu instid0(VALU_DEP_1) | instskip(NEXT) | instid1(VALU_DEP_1)
	v_fmac_f32_e32 v31, v32, v31
	v_mul_f32_e32 v32, v33, v31
	s_delay_alu instid0(VALU_DEP_1) | instskip(NEXT) | instid1(VALU_DEP_1)
	v_fma_f32 v42, -v30, v32, v33
	v_fmac_f32_e32 v32, v42, v31
	s_delay_alu instid0(VALU_DEP_1) | instskip(NEXT) | instid1(VALU_DEP_1)
	v_fma_f32 v30, -v30, v32, v33
	v_div_fmas_f32 v30, v30, v31, v32
	s_delay_alu instid0(VALU_DEP_1) | instskip(NEXT) | instid1(VALU_DEP_1)
	v_div_fixup_f32 v30, v30, v29, v28
	v_fmac_f32_e32 v29, v28, v30
	s_delay_alu instid0(VALU_DEP_1) | instskip(SKIP_1) | instid1(VALU_DEP_2)
	v_div_scale_f32 v28, null, v29, v29, 1.0
	v_div_scale_f32 v33, vcc_lo, 1.0, v29, 1.0
	v_rcp_f32_e32 v31, v28
	v_nop
	s_delay_alu instid0(TRANS32_DEP_1) | instskip(NEXT) | instid1(VALU_DEP_1)
	v_fma_f32 v32, -v28, v31, 1.0
	v_fmac_f32_e32 v31, v32, v31
	s_delay_alu instid0(VALU_DEP_1) | instskip(NEXT) | instid1(VALU_DEP_1)
	v_mul_f32_e32 v32, v33, v31
	v_fma_f32 v42, -v28, v32, v33
	s_delay_alu instid0(VALU_DEP_1) | instskip(NEXT) | instid1(VALU_DEP_1)
	v_fmac_f32_e32 v32, v42, v31
	v_fma_f32 v28, -v28, v32, v33
	s_delay_alu instid0(VALU_DEP_1) | instskip(NEXT) | instid1(VALU_DEP_1)
	v_div_fmas_f32 v28, v28, v31, v32
	v_div_fixup_f32 v28, v28, v29, 1.0
	s_delay_alu instid0(VALU_DEP_1)
	v_mul_f32_e32 v30, v30, v28
	v_xor_b32_e32 v31, 0x80000000, v28
                                        ; implicit-def: $vgpr28_vgpr29
.LBB107_257:
	s_and_not1_saveexec_b32 s1, s1
	s_cbranch_execz .LBB107_259
; %bb.258:
	v_div_scale_f32 v30, null, v28, v28, v29
	v_div_scale_f32 v33, vcc_lo, v29, v28, v29
	s_delay_alu instid0(VALU_DEP_2) | instskip(SKIP_1) | instid1(TRANS32_DEP_1)
	v_rcp_f32_e32 v31, v30
	v_nop
	v_fma_f32 v32, -v30, v31, 1.0
	s_delay_alu instid0(VALU_DEP_1) | instskip(NEXT) | instid1(VALU_DEP_1)
	v_fmac_f32_e32 v31, v32, v31
	v_mul_f32_e32 v32, v33, v31
	s_delay_alu instid0(VALU_DEP_1) | instskip(NEXT) | instid1(VALU_DEP_1)
	v_fma_f32 v42, -v30, v32, v33
	v_fmac_f32_e32 v32, v42, v31
	s_delay_alu instid0(VALU_DEP_1) | instskip(NEXT) | instid1(VALU_DEP_1)
	v_fma_f32 v30, -v30, v32, v33
	v_div_fmas_f32 v30, v30, v31, v32
	s_delay_alu instid0(VALU_DEP_1) | instskip(NEXT) | instid1(VALU_DEP_1)
	v_div_fixup_f32 v31, v30, v28, v29
	v_fmac_f32_e32 v28, v29, v31
	s_delay_alu instid0(VALU_DEP_1) | instskip(NEXT) | instid1(VALU_DEP_1)
	v_div_scale_f32 v29, null, v28, v28, 1.0
	v_rcp_f32_e32 v30, v29
	v_nop
	s_delay_alu instid0(TRANS32_DEP_1) | instskip(NEXT) | instid1(VALU_DEP_1)
	v_fma_f32 v32, -v29, v30, 1.0
	v_fmac_f32_e32 v30, v32, v30
	v_div_scale_f32 v32, vcc_lo, 1.0, v28, 1.0
	s_delay_alu instid0(VALU_DEP_1) | instskip(NEXT) | instid1(VALU_DEP_1)
	v_mul_f32_e32 v33, v32, v30
	v_fma_f32 v42, -v29, v33, v32
	s_delay_alu instid0(VALU_DEP_1) | instskip(NEXT) | instid1(VALU_DEP_1)
	v_fmac_f32_e32 v33, v42, v30
	v_fma_f32 v29, -v29, v33, v32
	s_delay_alu instid0(VALU_DEP_1) | instskip(NEXT) | instid1(VALU_DEP_1)
	v_div_fmas_f32 v29, v29, v30, v33
	v_div_fixup_f32 v30, v29, v28, 1.0
	s_delay_alu instid0(VALU_DEP_1)
	v_mul_f32_e64 v31, v31, -v30
.LBB107_259:
	s_or_b32 exec_lo, exec_lo, s1
	ds_store_b64 v139, v[30:31]
.LBB107_260:
	s_or_b32 exec_lo, exec_lo, s2
	s_wait_dscnt 0x0
	s_barrier_signal -1
	s_barrier_wait -1
	ds_load_b64 v[28:29], v139
	s_mov_b32 s1, exec_lo
	v_cmpx_lt_u32_e32 28, v138
	s_cbranch_execz .LBB107_262
; %bb.261:
	ds_load_2addr_b64 v[48:51], v148 offset0:29 offset1:30
	s_wait_dscnt 0x1
	v_pk_mul_f32 v[32:33], v[28:29], v[130:131] op_sel:[1,1] op_sel_hi:[0,1]
	s_delay_alu instid0(VALU_DEP_1) | instskip(SKIP_1) | instid1(VALU_DEP_1)
	v_pk_fma_f32 v[30:31], v[28:29], v[130:131], v[32:33] op_sel_hi:[1,0,1] neg_lo:[0,0,1] neg_hi:[0,0,1]
	v_pk_fma_f32 v[32:33], v[28:29], v[130:131], v[32:33] op_sel_hi:[1,0,1]
	v_dual_mov_b32 v130, v30 :: v_dual_mov_b32 v131, v33
	s_wait_dscnt 0x0
	s_delay_alu instid0(VALU_DEP_2) | instskip(NEXT) | instid1(VALU_DEP_1)
	v_pk_mul_f32 v[42:43], v[48:49], v[32:33] op_sel:[0,1]
	v_pk_fma_f32 v[52:53], v[48:49], v[30:31], v[42:43] op_sel:[0,0,1] op_sel_hi:[1,1,0] neg_lo:[0,0,1] neg_hi:[0,0,1]
	v_pk_fma_f32 v[42:43], v[48:49], v[30:31], v[42:43] op_sel:[0,0,1] op_sel_hi:[1,0,0]
	s_delay_alu instid0(VALU_DEP_1) | instskip(SKIP_1) | instid1(VALU_DEP_1)
	v_mov_b32_e32 v53, v43
	v_pk_mul_f32 v[42:43], v[50:51], v[32:33] op_sel:[0,1]
	v_pk_fma_f32 v[48:49], v[50:51], v[30:31], v[42:43] op_sel:[0,0,1] op_sel_hi:[1,1,0] neg_lo:[0,0,1] neg_hi:[0,0,1]
	v_pk_fma_f32 v[42:43], v[50:51], v[30:31], v[42:43] op_sel:[0,0,1] op_sel_hi:[1,0,0]
	s_delay_alu instid0(VALU_DEP_1) | instskip(SKIP_1) | instid1(VALU_DEP_2)
	v_mov_b32_e32 v49, v43
	v_pk_add_f32 v[126:127], v[126:127], v[52:53] neg_lo:[0,1] neg_hi:[0,1]
	v_pk_add_f32 v[128:129], v[128:129], v[48:49] neg_lo:[0,1] neg_hi:[0,1]
	ds_load_2addr_b64 v[48:51], v148 offset0:31 offset1:32
	s_wait_dscnt 0x0
	v_pk_mul_f32 v[42:43], v[48:49], v[32:33] op_sel:[0,1]
	s_delay_alu instid0(VALU_DEP_1) | instskip(SKIP_2) | instid1(VALU_DEP_2)
	v_pk_fma_f32 v[52:53], v[48:49], v[30:31], v[42:43] op_sel:[0,0,1] op_sel_hi:[1,1,0] neg_lo:[0,0,1] neg_hi:[0,0,1]
	v_pk_fma_f32 v[42:43], v[48:49], v[30:31], v[42:43] op_sel:[0,0,1] op_sel_hi:[1,0,0]
	v_dual_mul_f32 v48, v51, v33 :: v_dual_mov_b32 v42, v51
	v_dual_mov_b32 v53, v43 :: v_dual_mov_b32 v43, v50
	s_delay_alu instid0(VALU_DEP_2) | instskip(SKIP_1) | instid1(VALU_DEP_3)
	v_pk_fma_f32 v[48:49], v[50:51], v[130:131], v[48:49] op_sel_hi:[1,1,0] neg_lo:[0,0,1] neg_hi:[0,0,1]
	v_mul_f32_e32 v50, v51, v30
	v_pk_add_f32 v[124:125], v[124:125], v[52:53] neg_lo:[0,1] neg_hi:[0,1]
	s_delay_alu instid0(VALU_DEP_2) | instskip(NEXT) | instid1(VALU_DEP_1)
	v_pk_fma_f32 v[42:43], v[42:43], v[130:131], v[50:51] op_sel_hi:[1,1,0]
	v_mov_b32_e32 v49, v43
	s_delay_alu instid0(VALU_DEP_1) | instskip(SKIP_3) | instid1(VALU_DEP_1)
	v_pk_add_f32 v[146:147], v[146:147], v[48:49] neg_lo:[0,1] neg_hi:[0,1]
	ds_load_2addr_b64 v[48:51], v148 offset0:33 offset1:34
	s_wait_dscnt 0x0
	v_pk_mul_f32 v[42:43], v[48:49], v[32:33] op_sel:[0,1]
	v_pk_fma_f32 v[52:53], v[48:49], v[30:31], v[42:43] op_sel:[0,0,1] op_sel_hi:[1,1,0] neg_lo:[0,0,1] neg_hi:[0,0,1]
	v_pk_fma_f32 v[42:43], v[48:49], v[30:31], v[42:43] op_sel:[0,0,1] op_sel_hi:[1,0,0]
	s_delay_alu instid0(VALU_DEP_1) | instskip(SKIP_1) | instid1(VALU_DEP_2)
	v_mov_b32_e32 v53, v43
	v_pk_mul_f32 v[42:43], v[50:51], v[32:33] op_sel:[0,1]
	v_pk_add_f32 v[142:143], v[142:143], v[52:53] neg_lo:[0,1] neg_hi:[0,1]
	s_delay_alu instid0(VALU_DEP_2) | instskip(SKIP_1) | instid1(VALU_DEP_1)
	v_pk_fma_f32 v[48:49], v[50:51], v[30:31], v[42:43] op_sel:[0,0,1] op_sel_hi:[1,1,0] neg_lo:[0,0,1] neg_hi:[0,0,1]
	v_pk_fma_f32 v[42:43], v[50:51], v[30:31], v[42:43] op_sel:[0,0,1] op_sel_hi:[1,0,0]
	v_mov_b32_e32 v49, v43
	s_delay_alu instid0(VALU_DEP_1) | instskip(SKIP_3) | instid1(VALU_DEP_1)
	v_pk_add_f32 v[144:145], v[144:145], v[48:49] neg_lo:[0,1] neg_hi:[0,1]
	ds_load_2addr_b64 v[48:51], v148 offset0:35 offset1:36
	s_wait_dscnt 0x0
	v_pk_mul_f32 v[42:43], v[48:49], v[32:33] op_sel:[0,1]
	v_pk_fma_f32 v[52:53], v[48:49], v[30:31], v[42:43] op_sel:[0,0,1] op_sel_hi:[1,1,0] neg_lo:[0,0,1] neg_hi:[0,0,1]
	v_pk_fma_f32 v[42:43], v[48:49], v[30:31], v[42:43] op_sel:[0,0,1] op_sel_hi:[1,0,0]
	s_delay_alu instid0(VALU_DEP_1) | instskip(SKIP_1) | instid1(VALU_DEP_2)
	v_mov_b32_e32 v53, v43
	v_pk_mul_f32 v[42:43], v[50:51], v[32:33] op_sel:[0,1]
	v_pk_add_f32 v[140:141], v[140:141], v[52:53] neg_lo:[0,1] neg_hi:[0,1]
	s_delay_alu instid0(VALU_DEP_2) | instskip(SKIP_1) | instid1(VALU_DEP_1)
	v_pk_fma_f32 v[48:49], v[50:51], v[30:31], v[42:43] op_sel:[0,0,1] op_sel_hi:[1,1,0] neg_lo:[0,0,1] neg_hi:[0,0,1]
	v_pk_fma_f32 v[42:43], v[50:51], v[30:31], v[42:43] op_sel:[0,0,1] op_sel_hi:[1,0,0]
	v_mov_b32_e32 v49, v43
	s_delay_alu instid0(VALU_DEP_1) | instskip(SKIP_3) | instid1(VALU_DEP_1)
	v_pk_add_f32 v[162:163], v[162:163], v[48:49] neg_lo:[0,1] neg_hi:[0,1]
	ds_load_2addr_b64 v[48:51], v148 offset0:37 offset1:38
	s_wait_dscnt 0x0
	v_dual_mul_f32 v42, v49, v33 :: v_dual_mul_f32 v52, v49, v30
	v_pk_fma_f32 v[42:43], v[48:49], v[130:131], v[42:43] op_sel_hi:[1,1,0] neg_lo:[0,0,1] neg_hi:[0,0,1]
	s_delay_alu instid0(VALU_DEP_2) | instskip(NEXT) | instid1(VALU_DEP_1)
	v_pk_fma_f32 v[48:49], v[48:49], v[130:131], v[52:53] op_sel:[1,0,0] op_sel_hi:[0,1,0]
	v_mov_b32_e32 v43, v49
	s_delay_alu instid0(VALU_DEP_1) | instskip(SKIP_1) | instid1(VALU_DEP_1)
	v_pk_add_f32 v[158:159], v[158:159], v[42:43] neg_lo:[0,1] neg_hi:[0,1]
	v_pk_mul_f32 v[42:43], v[50:51], v[32:33] op_sel:[0,1]
	v_pk_fma_f32 v[48:49], v[50:51], v[30:31], v[42:43] op_sel:[0,0,1] op_sel_hi:[1,1,0] neg_lo:[0,0,1] neg_hi:[0,0,1]
	v_pk_fma_f32 v[42:43], v[50:51], v[30:31], v[42:43] op_sel:[0,0,1] op_sel_hi:[1,0,0]
	s_delay_alu instid0(VALU_DEP_1) | instskip(NEXT) | instid1(VALU_DEP_1)
	v_mov_b32_e32 v49, v43
	v_pk_add_f32 v[160:161], v[160:161], v[48:49] neg_lo:[0,1] neg_hi:[0,1]
	ds_load_2addr_b64 v[48:51], v148 offset0:39 offset1:40
	s_wait_dscnt 0x0
	v_pk_mul_f32 v[42:43], v[48:49], v[32:33] op_sel:[0,1]
	s_delay_alu instid0(VALU_DEP_1) | instskip(SKIP_1) | instid1(VALU_DEP_1)
	v_pk_fma_f32 v[52:53], v[48:49], v[30:31], v[42:43] op_sel:[0,0,1] op_sel_hi:[1,1,0] neg_lo:[0,0,1] neg_hi:[0,0,1]
	v_pk_fma_f32 v[42:43], v[48:49], v[30:31], v[42:43] op_sel:[0,0,1] op_sel_hi:[1,0,0]
	v_mov_b32_e32 v53, v43
	v_pk_mul_f32 v[42:43], v[50:51], v[32:33] op_sel:[0,1]
	s_delay_alu instid0(VALU_DEP_2) | instskip(NEXT) | instid1(VALU_DEP_2)
	v_pk_add_f32 v[156:157], v[156:157], v[52:53] neg_lo:[0,1] neg_hi:[0,1]
	v_pk_fma_f32 v[48:49], v[50:51], v[30:31], v[42:43] op_sel:[0,0,1] op_sel_hi:[1,1,0] neg_lo:[0,0,1] neg_hi:[0,0,1]
	v_pk_fma_f32 v[42:43], v[50:51], v[30:31], v[42:43] op_sel:[0,0,1] op_sel_hi:[1,0,0]
	s_delay_alu instid0(VALU_DEP_1) | instskip(NEXT) | instid1(VALU_DEP_1)
	v_mov_b32_e32 v49, v43
	v_pk_add_f32 v[178:179], v[178:179], v[48:49] neg_lo:[0,1] neg_hi:[0,1]
	ds_load_2addr_b64 v[48:51], v148 offset0:41 offset1:42
	s_wait_dscnt 0x0
	v_pk_mul_f32 v[42:43], v[48:49], v[32:33] op_sel:[0,1]
	s_delay_alu instid0(VALU_DEP_1) | instskip(SKIP_2) | instid1(VALU_DEP_2)
	v_pk_fma_f32 v[52:53], v[48:49], v[30:31], v[42:43] op_sel:[0,0,1] op_sel_hi:[1,1,0] neg_lo:[0,0,1] neg_hi:[0,0,1]
	v_pk_fma_f32 v[42:43], v[48:49], v[30:31], v[42:43] op_sel:[0,0,1] op_sel_hi:[1,0,0]
	v_dual_mul_f32 v48, v51, v33 :: v_dual_mov_b32 v42, v51
	v_dual_mov_b32 v53, v43 :: v_dual_mov_b32 v43, v50
	s_delay_alu instid0(VALU_DEP_2) | instskip(SKIP_1) | instid1(VALU_DEP_3)
	v_pk_fma_f32 v[48:49], v[50:51], v[130:131], v[48:49] op_sel_hi:[1,1,0] neg_lo:[0,0,1] neg_hi:[0,0,1]
	v_mul_f32_e32 v50, v51, v30
	v_pk_add_f32 v[174:175], v[174:175], v[52:53] neg_lo:[0,1] neg_hi:[0,1]
	s_delay_alu instid0(VALU_DEP_2) | instskip(NEXT) | instid1(VALU_DEP_1)
	v_pk_fma_f32 v[42:43], v[42:43], v[130:131], v[50:51] op_sel_hi:[1,1,0]
	v_mov_b32_e32 v49, v43
	s_delay_alu instid0(VALU_DEP_1) | instskip(SKIP_3) | instid1(VALU_DEP_1)
	v_pk_add_f32 v[176:177], v[176:177], v[48:49] neg_lo:[0,1] neg_hi:[0,1]
	ds_load_2addr_b64 v[48:51], v148 offset0:43 offset1:44
	s_wait_dscnt 0x0
	v_pk_mul_f32 v[42:43], v[48:49], v[32:33] op_sel:[0,1]
	v_pk_fma_f32 v[52:53], v[48:49], v[30:31], v[42:43] op_sel:[0,0,1] op_sel_hi:[1,1,0] neg_lo:[0,0,1] neg_hi:[0,0,1]
	v_pk_fma_f32 v[42:43], v[48:49], v[30:31], v[42:43] op_sel:[0,0,1] op_sel_hi:[1,0,0]
	s_delay_alu instid0(VALU_DEP_1) | instskip(SKIP_1) | instid1(VALU_DEP_2)
	v_mov_b32_e32 v53, v43
	v_pk_mul_f32 v[42:43], v[50:51], v[32:33] op_sel:[0,1]
	v_pk_add_f32 v[172:173], v[172:173], v[52:53] neg_lo:[0,1] neg_hi:[0,1]
	s_delay_alu instid0(VALU_DEP_2) | instskip(SKIP_1) | instid1(VALU_DEP_1)
	v_pk_fma_f32 v[48:49], v[50:51], v[30:31], v[42:43] op_sel:[0,0,1] op_sel_hi:[1,1,0] neg_lo:[0,0,1] neg_hi:[0,0,1]
	v_pk_fma_f32 v[42:43], v[50:51], v[30:31], v[42:43] op_sel:[0,0,1] op_sel_hi:[1,0,0]
	v_mov_b32_e32 v49, v43
	s_delay_alu instid0(VALU_DEP_1) | instskip(SKIP_3) | instid1(VALU_DEP_1)
	v_pk_add_f32 v[196:197], v[196:197], v[48:49] neg_lo:[0,1] neg_hi:[0,1]
	ds_load_2addr_b64 v[48:51], v148 offset0:45 offset1:46
	s_wait_dscnt 0x0
	v_pk_mul_f32 v[42:43], v[48:49], v[32:33] op_sel:[0,1]
	v_pk_fma_f32 v[52:53], v[48:49], v[30:31], v[42:43] op_sel:[0,0,1] op_sel_hi:[1,1,0] neg_lo:[0,0,1] neg_hi:[0,0,1]
	v_pk_fma_f32 v[42:43], v[48:49], v[30:31], v[42:43] op_sel:[0,0,1] op_sel_hi:[1,0,0]
	s_delay_alu instid0(VALU_DEP_1) | instskip(SKIP_1) | instid1(VALU_DEP_2)
	v_mov_b32_e32 v53, v43
	v_pk_mul_f32 v[42:43], v[50:51], v[32:33] op_sel:[0,1]
	v_pk_add_f32 v[192:193], v[192:193], v[52:53] neg_lo:[0,1] neg_hi:[0,1]
	s_delay_alu instid0(VALU_DEP_2) | instskip(SKIP_1) | instid1(VALU_DEP_1)
	v_pk_fma_f32 v[48:49], v[50:51], v[30:31], v[42:43] op_sel:[0,0,1] op_sel_hi:[1,1,0] neg_lo:[0,0,1] neg_hi:[0,0,1]
	v_pk_fma_f32 v[42:43], v[50:51], v[30:31], v[42:43] op_sel:[0,0,1] op_sel_hi:[1,0,0]
	v_mov_b32_e32 v49, v43
	s_delay_alu instid0(VALU_DEP_1) | instskip(SKIP_3) | instid1(VALU_DEP_1)
	v_pk_add_f32 v[194:195], v[194:195], v[48:49] neg_lo:[0,1] neg_hi:[0,1]
	ds_load_2addr_b64 v[48:51], v148 offset0:47 offset1:48
	s_wait_dscnt 0x0
	v_dual_mul_f32 v42, v49, v33 :: v_dual_mul_f32 v52, v49, v30
	v_pk_fma_f32 v[42:43], v[48:49], v[130:131], v[42:43] op_sel_hi:[1,1,0] neg_lo:[0,0,1] neg_hi:[0,0,1]
	s_delay_alu instid0(VALU_DEP_2) | instskip(NEXT) | instid1(VALU_DEP_1)
	v_pk_fma_f32 v[48:49], v[48:49], v[130:131], v[52:53] op_sel:[1,0,0] op_sel_hi:[0,1,0]
	v_mov_b32_e32 v43, v49
	s_delay_alu instid0(VALU_DEP_1) | instskip(SKIP_1) | instid1(VALU_DEP_1)
	v_pk_add_f32 v[190:191], v[190:191], v[42:43] neg_lo:[0,1] neg_hi:[0,1]
	v_pk_mul_f32 v[42:43], v[50:51], v[32:33] op_sel:[0,1]
	v_pk_fma_f32 v[48:49], v[50:51], v[30:31], v[42:43] op_sel:[0,0,1] op_sel_hi:[1,1,0] neg_lo:[0,0,1] neg_hi:[0,0,1]
	v_pk_fma_f32 v[42:43], v[50:51], v[30:31], v[42:43] op_sel:[0,0,1] op_sel_hi:[1,0,0]
	s_delay_alu instid0(VALU_DEP_1) | instskip(NEXT) | instid1(VALU_DEP_1)
	v_mov_b32_e32 v49, v43
	v_pk_add_f32 v[212:213], v[212:213], v[48:49] neg_lo:[0,1] neg_hi:[0,1]
	ds_load_2addr_b64 v[48:51], v148 offset0:49 offset1:50
	s_wait_dscnt 0x0
	v_pk_mul_f32 v[42:43], v[48:49], v[32:33] op_sel:[0,1]
	s_delay_alu instid0(VALU_DEP_1) | instskip(SKIP_1) | instid1(VALU_DEP_1)
	v_pk_fma_f32 v[52:53], v[48:49], v[30:31], v[42:43] op_sel:[0,0,1] op_sel_hi:[1,1,0] neg_lo:[0,0,1] neg_hi:[0,0,1]
	v_pk_fma_f32 v[42:43], v[48:49], v[30:31], v[42:43] op_sel:[0,0,1] op_sel_hi:[1,0,0]
	v_mov_b32_e32 v53, v43
	v_pk_mul_f32 v[42:43], v[50:51], v[32:33] op_sel:[0,1]
	s_delay_alu instid0(VALU_DEP_2) | instskip(NEXT) | instid1(VALU_DEP_2)
	v_pk_add_f32 v[208:209], v[208:209], v[52:53] neg_lo:[0,1] neg_hi:[0,1]
	v_pk_fma_f32 v[48:49], v[50:51], v[30:31], v[42:43] op_sel:[0,0,1] op_sel_hi:[1,1,0] neg_lo:[0,0,1] neg_hi:[0,0,1]
	v_pk_fma_f32 v[42:43], v[50:51], v[30:31], v[42:43] op_sel:[0,0,1] op_sel_hi:[1,0,0]
	s_delay_alu instid0(VALU_DEP_1) | instskip(NEXT) | instid1(VALU_DEP_1)
	v_mov_b32_e32 v49, v43
	v_pk_add_f32 v[210:211], v[210:211], v[48:49] neg_lo:[0,1] neg_hi:[0,1]
	ds_load_2addr_b64 v[48:51], v148 offset0:51 offset1:52
	s_wait_dscnt 0x0
	v_pk_mul_f32 v[42:43], v[48:49], v[32:33] op_sel:[0,1]
	s_delay_alu instid0(VALU_DEP_1) | instskip(SKIP_2) | instid1(VALU_DEP_2)
	v_pk_fma_f32 v[52:53], v[48:49], v[30:31], v[42:43] op_sel:[0,0,1] op_sel_hi:[1,1,0] neg_lo:[0,0,1] neg_hi:[0,0,1]
	v_pk_fma_f32 v[42:43], v[48:49], v[30:31], v[42:43] op_sel:[0,0,1] op_sel_hi:[1,0,0]
	v_dual_mul_f32 v48, v51, v33 :: v_dual_mov_b32 v42, v51
	v_dual_mov_b32 v53, v43 :: v_dual_mov_b32 v43, v50
	s_delay_alu instid0(VALU_DEP_2) | instskip(SKIP_1) | instid1(VALU_DEP_3)
	v_pk_fma_f32 v[48:49], v[50:51], v[130:131], v[48:49] op_sel_hi:[1,1,0] neg_lo:[0,0,1] neg_hi:[0,0,1]
	v_mul_f32_e32 v50, v51, v30
	v_pk_add_f32 v[206:207], v[206:207], v[52:53] neg_lo:[0,1] neg_hi:[0,1]
	s_delay_alu instid0(VALU_DEP_2) | instskip(NEXT) | instid1(VALU_DEP_1)
	v_pk_fma_f32 v[42:43], v[42:43], v[130:131], v[50:51] op_sel_hi:[1,1,0]
	v_mov_b32_e32 v49, v43
	ds_load_b64 v[42:43], v148 offset:424
	v_pk_add_f32 v[214:215], v[214:215], v[48:49] neg_lo:[0,1] neg_hi:[0,1]
	s_wait_dscnt 0x0
	v_pk_mul_f32 v[32:33], v[42:43], v[32:33] op_sel:[0,1]
	s_delay_alu instid0(VALU_DEP_1) | instskip(SKIP_1) | instid1(VALU_DEP_1)
	v_pk_fma_f32 v[48:49], v[42:43], v[30:31], v[32:33] op_sel:[0,0,1] op_sel_hi:[1,1,0] neg_lo:[0,0,1] neg_hi:[0,0,1]
	v_pk_fma_f32 v[30:31], v[42:43], v[30:31], v[32:33] op_sel:[0,0,1] op_sel_hi:[1,0,0]
	v_mov_b32_e32 v49, v31
	s_delay_alu instid0(VALU_DEP_1)
	v_pk_add_f32 v[216:217], v[216:217], v[48:49] neg_lo:[0,1] neg_hi:[0,1]
.LBB107_262:
	s_or_b32 exec_lo, exec_lo, s1
	s_delay_alu instid0(SALU_CYCLE_1)
	s_mov_b32 s2, exec_lo
	s_wait_dscnt 0x0
	s_barrier_signal -1
	s_barrier_wait -1
	v_cmpx_eq_u32_e32 29, v138
	s_cbranch_execz .LBB107_269
; %bb.263:
	v_dual_mov_b32 v30, v128 :: v_dual_mov_b32 v31, v129
	v_dual_mov_b32 v32, v124 :: v_dual_mov_b32 v33, v125
	ds_store_b64 v139, v[126:127]
	ds_store_2addr_b64 v148, v[30:31], v[32:33] offset0:30 offset1:31
	v_dual_mov_b32 v30, v146 :: v_dual_mov_b32 v31, v147
	v_dual_mov_b32 v32, v142 :: v_dual_mov_b32 v33, v143
	ds_store_2addr_b64 v148, v[30:31], v[32:33] offset0:32 offset1:33
	v_dual_mov_b32 v30, v144 :: v_dual_mov_b32 v31, v145
	v_dual_mov_b32 v32, v140 :: v_dual_mov_b32 v33, v141
	;; [unrolled: 3-line block ×10, first 2 shown]
	ds_store_2addr_b64 v148, v[30:31], v[32:33] offset0:50 offset1:51
	v_dual_mov_b32 v30, v214 :: v_dual_mov_b32 v31, v215
	ds_store_2addr_b64 v148, v[30:31], v[216:217] offset0:52 offset1:53
	ds_load_b64 v[30:31], v139
	s_wait_dscnt 0x0
	v_cmp_neq_f32_e32 vcc_lo, 0, v30
	v_cmp_neq_f32_e64 s1, 0, v31
	s_or_b32 s1, vcc_lo, s1
	s_delay_alu instid0(SALU_CYCLE_1)
	s_and_b32 exec_lo, exec_lo, s1
	s_cbranch_execz .LBB107_269
; %bb.264:
	v_cmp_ngt_f32_e64 s1, |v30|, |v31|
                                        ; implicit-def: $vgpr32_vgpr33
	s_and_saveexec_b32 s4, s1
	s_delay_alu instid0(SALU_CYCLE_1)
	s_xor_b32 s1, exec_lo, s4
	s_cbranch_execz .LBB107_266
; %bb.265:
	v_div_scale_f32 v32, null, v31, v31, v30
	v_div_scale_f32 v43, vcc_lo, v30, v31, v30
	s_delay_alu instid0(VALU_DEP_2) | instskip(SKIP_1) | instid1(TRANS32_DEP_1)
	v_rcp_f32_e32 v33, v32
	v_nop
	v_fma_f32 v42, -v32, v33, 1.0
	s_delay_alu instid0(VALU_DEP_1) | instskip(NEXT) | instid1(VALU_DEP_1)
	v_fmac_f32_e32 v33, v42, v33
	v_mul_f32_e32 v42, v43, v33
	s_delay_alu instid0(VALU_DEP_1) | instskip(NEXT) | instid1(VALU_DEP_1)
	v_fma_f32 v48, -v32, v42, v43
	v_fmac_f32_e32 v42, v48, v33
	s_delay_alu instid0(VALU_DEP_1) | instskip(NEXT) | instid1(VALU_DEP_1)
	v_fma_f32 v32, -v32, v42, v43
	v_div_fmas_f32 v32, v32, v33, v42
	s_delay_alu instid0(VALU_DEP_1) | instskip(NEXT) | instid1(VALU_DEP_1)
	v_div_fixup_f32 v32, v32, v31, v30
	v_fmac_f32_e32 v31, v30, v32
	s_delay_alu instid0(VALU_DEP_1) | instskip(SKIP_1) | instid1(VALU_DEP_2)
	v_div_scale_f32 v30, null, v31, v31, 1.0
	v_div_scale_f32 v43, vcc_lo, 1.0, v31, 1.0
	v_rcp_f32_e32 v33, v30
	v_nop
	s_delay_alu instid0(TRANS32_DEP_1) | instskip(NEXT) | instid1(VALU_DEP_1)
	v_fma_f32 v42, -v30, v33, 1.0
	v_fmac_f32_e32 v33, v42, v33
	s_delay_alu instid0(VALU_DEP_1) | instskip(NEXT) | instid1(VALU_DEP_1)
	v_mul_f32_e32 v42, v43, v33
	v_fma_f32 v48, -v30, v42, v43
	s_delay_alu instid0(VALU_DEP_1) | instskip(NEXT) | instid1(VALU_DEP_1)
	v_fmac_f32_e32 v42, v48, v33
	v_fma_f32 v30, -v30, v42, v43
	s_delay_alu instid0(VALU_DEP_1) | instskip(NEXT) | instid1(VALU_DEP_1)
	v_div_fmas_f32 v30, v30, v33, v42
	v_div_fixup_f32 v30, v30, v31, 1.0
	s_delay_alu instid0(VALU_DEP_1)
	v_mul_f32_e32 v32, v32, v30
	v_xor_b32_e32 v33, 0x80000000, v30
                                        ; implicit-def: $vgpr30_vgpr31
.LBB107_266:
	s_and_not1_saveexec_b32 s1, s1
	s_cbranch_execz .LBB107_268
; %bb.267:
	v_div_scale_f32 v32, null, v30, v30, v31
	v_div_scale_f32 v43, vcc_lo, v31, v30, v31
	s_delay_alu instid0(VALU_DEP_2) | instskip(SKIP_1) | instid1(TRANS32_DEP_1)
	v_rcp_f32_e32 v33, v32
	v_nop
	v_fma_f32 v42, -v32, v33, 1.0
	s_delay_alu instid0(VALU_DEP_1) | instskip(NEXT) | instid1(VALU_DEP_1)
	v_fmac_f32_e32 v33, v42, v33
	v_mul_f32_e32 v42, v43, v33
	s_delay_alu instid0(VALU_DEP_1) | instskip(NEXT) | instid1(VALU_DEP_1)
	v_fma_f32 v48, -v32, v42, v43
	v_fmac_f32_e32 v42, v48, v33
	s_delay_alu instid0(VALU_DEP_1) | instskip(NEXT) | instid1(VALU_DEP_1)
	v_fma_f32 v32, -v32, v42, v43
	v_div_fmas_f32 v32, v32, v33, v42
	s_delay_alu instid0(VALU_DEP_1) | instskip(NEXT) | instid1(VALU_DEP_1)
	v_div_fixup_f32 v33, v32, v30, v31
	v_fmac_f32_e32 v30, v31, v33
	s_delay_alu instid0(VALU_DEP_1) | instskip(NEXT) | instid1(VALU_DEP_1)
	v_div_scale_f32 v31, null, v30, v30, 1.0
	v_rcp_f32_e32 v32, v31
	v_nop
	s_delay_alu instid0(TRANS32_DEP_1) | instskip(NEXT) | instid1(VALU_DEP_1)
	v_fma_f32 v42, -v31, v32, 1.0
	v_fmac_f32_e32 v32, v42, v32
	v_div_scale_f32 v42, vcc_lo, 1.0, v30, 1.0
	s_delay_alu instid0(VALU_DEP_1) | instskip(NEXT) | instid1(VALU_DEP_1)
	v_mul_f32_e32 v43, v42, v32
	v_fma_f32 v48, -v31, v43, v42
	s_delay_alu instid0(VALU_DEP_1) | instskip(NEXT) | instid1(VALU_DEP_1)
	v_fmac_f32_e32 v43, v48, v32
	v_fma_f32 v31, -v31, v43, v42
	s_delay_alu instid0(VALU_DEP_1) | instskip(NEXT) | instid1(VALU_DEP_1)
	v_div_fmas_f32 v31, v31, v32, v43
	v_div_fixup_f32 v32, v31, v30, 1.0
	s_delay_alu instid0(VALU_DEP_1)
	v_mul_f32_e64 v33, v33, -v32
.LBB107_268:
	s_or_b32 exec_lo, exec_lo, s1
	ds_store_b64 v139, v[32:33]
.LBB107_269:
	s_or_b32 exec_lo, exec_lo, s2
	s_wait_dscnt 0x0
	s_barrier_signal -1
	s_barrier_wait -1
	ds_load_b64 v[30:31], v139
	s_mov_b32 s1, exec_lo
	v_cmpx_lt_u32_e32 29, v138
	s_cbranch_execz .LBB107_271
; %bb.270:
	ds_load_2addr_b64 v[48:51], v148 offset0:30 offset1:31
	s_wait_dscnt 0x1
	v_pk_mul_f32 v[42:43], v[30:31], v[126:127] op_sel:[1,1] op_sel_hi:[0,1]
	s_delay_alu instid0(VALU_DEP_1) | instskip(SKIP_1) | instid1(VALU_DEP_1)
	v_pk_fma_f32 v[32:33], v[30:31], v[126:127], v[42:43] op_sel_hi:[1,0,1] neg_lo:[0,0,1] neg_hi:[0,0,1]
	v_pk_fma_f32 v[42:43], v[30:31], v[126:127], v[42:43] op_sel_hi:[1,0,1]
	v_dual_mov_b32 v126, v32 :: v_dual_mov_b32 v127, v43
	s_wait_dscnt 0x0
	s_delay_alu instid0(VALU_DEP_2) | instskip(NEXT) | instid1(VALU_DEP_1)
	v_pk_mul_f32 v[52:53], v[48:49], v[42:43] op_sel:[0,1]
	v_pk_fma_f32 v[66:67], v[48:49], v[32:33], v[52:53] op_sel:[0,0,1] op_sel_hi:[1,1,0] neg_lo:[0,0,1] neg_hi:[0,0,1]
	v_pk_fma_f32 v[48:49], v[48:49], v[32:33], v[52:53] op_sel:[0,0,1] op_sel_hi:[1,0,0]
	s_delay_alu instid0(VALU_DEP_1) | instskip(SKIP_1) | instid1(VALU_DEP_1)
	v_mov_b32_e32 v67, v49
	v_pk_mul_f32 v[48:49], v[50:51], v[42:43] op_sel:[0,1]
	v_pk_fma_f32 v[52:53], v[50:51], v[32:33], v[48:49] op_sel:[0,0,1] op_sel_hi:[1,1,0] neg_lo:[0,0,1] neg_hi:[0,0,1]
	v_pk_fma_f32 v[48:49], v[50:51], v[32:33], v[48:49] op_sel:[0,0,1] op_sel_hi:[1,0,0]
	s_delay_alu instid0(VALU_DEP_1)
	v_mov_b32_e32 v53, v49
	ds_load_2addr_b64 v[48:51], v148 offset0:32 offset1:33
	v_pk_add_f32 v[128:129], v[128:129], v[66:67] neg_lo:[0,1] neg_hi:[0,1]
	v_pk_add_f32 v[124:125], v[124:125], v[52:53] neg_lo:[0,1] neg_hi:[0,1]
	s_wait_dscnt 0x0
	v_pk_mul_f32 v[52:53], v[48:49], v[42:43] op_sel:[0,1]
	s_delay_alu instid0(VALU_DEP_1) | instskip(SKIP_2) | instid1(VALU_DEP_2)
	v_pk_fma_f32 v[66:67], v[48:49], v[32:33], v[52:53] op_sel:[0,0,1] op_sel_hi:[1,1,0] neg_lo:[0,0,1] neg_hi:[0,0,1]
	v_pk_fma_f32 v[48:49], v[48:49], v[32:33], v[52:53] op_sel:[0,0,1] op_sel_hi:[1,0,0]
	v_dual_mul_f32 v52, v51, v43 :: v_dual_mov_b32 v48, v51
	v_dual_mov_b32 v67, v49 :: v_dual_mov_b32 v49, v50
	s_delay_alu instid0(VALU_DEP_2) | instskip(SKIP_1) | instid1(VALU_DEP_3)
	v_pk_fma_f32 v[52:53], v[50:51], v[126:127], v[52:53] op_sel_hi:[1,1,0] neg_lo:[0,0,1] neg_hi:[0,0,1]
	v_mul_f32_e32 v50, v51, v32
	v_pk_add_f32 v[146:147], v[146:147], v[66:67] neg_lo:[0,1] neg_hi:[0,1]
	s_delay_alu instid0(VALU_DEP_2) | instskip(NEXT) | instid1(VALU_DEP_1)
	v_pk_fma_f32 v[48:49], v[48:49], v[126:127], v[50:51] op_sel_hi:[1,1,0]
	v_mov_b32_e32 v53, v49
	ds_load_2addr_b64 v[48:51], v148 offset0:34 offset1:35
	v_pk_add_f32 v[142:143], v[142:143], v[52:53] neg_lo:[0,1] neg_hi:[0,1]
	s_wait_dscnt 0x0
	v_pk_mul_f32 v[52:53], v[48:49], v[42:43] op_sel:[0,1]
	s_delay_alu instid0(VALU_DEP_1) | instskip(SKIP_1) | instid1(VALU_DEP_1)
	v_pk_fma_f32 v[66:67], v[48:49], v[32:33], v[52:53] op_sel:[0,0,1] op_sel_hi:[1,1,0] neg_lo:[0,0,1] neg_hi:[0,0,1]
	v_pk_fma_f32 v[48:49], v[48:49], v[32:33], v[52:53] op_sel:[0,0,1] op_sel_hi:[1,0,0]
	v_mov_b32_e32 v67, v49
	v_pk_mul_f32 v[48:49], v[50:51], v[42:43] op_sel:[0,1]
	s_delay_alu instid0(VALU_DEP_1) | instskip(SKIP_1) | instid1(VALU_DEP_1)
	v_pk_fma_f32 v[52:53], v[50:51], v[32:33], v[48:49] op_sel:[0,0,1] op_sel_hi:[1,1,0] neg_lo:[0,0,1] neg_hi:[0,0,1]
	v_pk_fma_f32 v[48:49], v[50:51], v[32:33], v[48:49] op_sel:[0,0,1] op_sel_hi:[1,0,0]
	v_mov_b32_e32 v53, v49
	ds_load_2addr_b64 v[48:51], v148 offset0:36 offset1:37
	v_pk_add_f32 v[144:145], v[144:145], v[66:67] neg_lo:[0,1] neg_hi:[0,1]
	v_pk_add_f32 v[140:141], v[140:141], v[52:53] neg_lo:[0,1] neg_hi:[0,1]
	s_wait_dscnt 0x0
	v_pk_mul_f32 v[52:53], v[48:49], v[42:43] op_sel:[0,1]
	s_delay_alu instid0(VALU_DEP_1) | instskip(SKIP_1) | instid1(VALU_DEP_1)
	v_pk_fma_f32 v[66:67], v[48:49], v[32:33], v[52:53] op_sel:[0,0,1] op_sel_hi:[1,1,0] neg_lo:[0,0,1] neg_hi:[0,0,1]
	v_pk_fma_f32 v[48:49], v[48:49], v[32:33], v[52:53] op_sel:[0,0,1] op_sel_hi:[1,0,0]
	v_mov_b32_e32 v67, v49
	v_pk_mul_f32 v[48:49], v[50:51], v[42:43] op_sel:[0,1]
	s_delay_alu instid0(VALU_DEP_1) | instskip(SKIP_1) | instid1(VALU_DEP_1)
	v_pk_fma_f32 v[52:53], v[50:51], v[32:33], v[48:49] op_sel:[0,0,1] op_sel_hi:[1,1,0] neg_lo:[0,0,1] neg_hi:[0,0,1]
	v_pk_fma_f32 v[48:49], v[50:51], v[32:33], v[48:49] op_sel:[0,0,1] op_sel_hi:[1,0,0]
	v_mov_b32_e32 v53, v49
	ds_load_2addr_b64 v[48:51], v148 offset0:38 offset1:39
	v_pk_add_f32 v[162:163], v[162:163], v[66:67] neg_lo:[0,1] neg_hi:[0,1]
	v_pk_add_f32 v[158:159], v[158:159], v[52:53] neg_lo:[0,1] neg_hi:[0,1]
	s_wait_dscnt 0x0
	v_dual_mul_f32 v52, v49, v43 :: v_dual_mul_f32 v66, v49, v32
	s_delay_alu instid0(VALU_DEP_1) | instskip(NEXT) | instid1(VALU_DEP_2)
	v_pk_fma_f32 v[52:53], v[48:49], v[126:127], v[52:53] op_sel_hi:[1,1,0] neg_lo:[0,0,1] neg_hi:[0,0,1]
	v_pk_fma_f32 v[48:49], v[48:49], v[126:127], v[66:67] op_sel:[1,0,0] op_sel_hi:[0,1,0]
	s_delay_alu instid0(VALU_DEP_1) | instskip(SKIP_1) | instid1(VALU_DEP_2)
	v_mov_b32_e32 v53, v49
	v_pk_mul_f32 v[48:49], v[50:51], v[42:43] op_sel:[0,1]
	v_pk_add_f32 v[160:161], v[160:161], v[52:53] neg_lo:[0,1] neg_hi:[0,1]
	s_delay_alu instid0(VALU_DEP_2) | instskip(SKIP_1) | instid1(VALU_DEP_1)
	v_pk_fma_f32 v[52:53], v[50:51], v[32:33], v[48:49] op_sel:[0,0,1] op_sel_hi:[1,1,0] neg_lo:[0,0,1] neg_hi:[0,0,1]
	v_pk_fma_f32 v[48:49], v[50:51], v[32:33], v[48:49] op_sel:[0,0,1] op_sel_hi:[1,0,0]
	v_mov_b32_e32 v53, v49
	ds_load_2addr_b64 v[48:51], v148 offset0:40 offset1:41
	v_pk_add_f32 v[156:157], v[156:157], v[52:53] neg_lo:[0,1] neg_hi:[0,1]
	s_wait_dscnt 0x0
	v_pk_mul_f32 v[52:53], v[48:49], v[42:43] op_sel:[0,1]
	s_delay_alu instid0(VALU_DEP_1) | instskip(SKIP_1) | instid1(VALU_DEP_1)
	v_pk_fma_f32 v[66:67], v[48:49], v[32:33], v[52:53] op_sel:[0,0,1] op_sel_hi:[1,1,0] neg_lo:[0,0,1] neg_hi:[0,0,1]
	v_pk_fma_f32 v[48:49], v[48:49], v[32:33], v[52:53] op_sel:[0,0,1] op_sel_hi:[1,0,0]
	v_mov_b32_e32 v67, v49
	v_pk_mul_f32 v[48:49], v[50:51], v[42:43] op_sel:[0,1]
	s_delay_alu instid0(VALU_DEP_2) | instskip(NEXT) | instid1(VALU_DEP_2)
	v_pk_add_f32 v[178:179], v[178:179], v[66:67] neg_lo:[0,1] neg_hi:[0,1]
	v_pk_fma_f32 v[52:53], v[50:51], v[32:33], v[48:49] op_sel:[0,0,1] op_sel_hi:[1,1,0] neg_lo:[0,0,1] neg_hi:[0,0,1]
	v_pk_fma_f32 v[48:49], v[50:51], v[32:33], v[48:49] op_sel:[0,0,1] op_sel_hi:[1,0,0]
	s_delay_alu instid0(VALU_DEP_1) | instskip(SKIP_4) | instid1(VALU_DEP_1)
	v_mov_b32_e32 v53, v49
	ds_load_2addr_b64 v[48:51], v148 offset0:42 offset1:43
	v_pk_add_f32 v[174:175], v[174:175], v[52:53] neg_lo:[0,1] neg_hi:[0,1]
	s_wait_dscnt 0x0
	v_pk_mul_f32 v[52:53], v[48:49], v[42:43] op_sel:[0,1]
	v_pk_fma_f32 v[66:67], v[48:49], v[32:33], v[52:53] op_sel:[0,0,1] op_sel_hi:[1,1,0] neg_lo:[0,0,1] neg_hi:[0,0,1]
	v_pk_fma_f32 v[48:49], v[48:49], v[32:33], v[52:53] op_sel:[0,0,1] op_sel_hi:[1,0,0]
	v_dual_mul_f32 v52, v51, v43 :: v_dual_mov_b32 v48, v51
	s_delay_alu instid0(VALU_DEP_2) | instskip(NEXT) | instid1(VALU_DEP_2)
	v_dual_mov_b32 v67, v49 :: v_dual_mov_b32 v49, v50
	v_pk_fma_f32 v[52:53], v[50:51], v[126:127], v[52:53] op_sel_hi:[1,1,0] neg_lo:[0,0,1] neg_hi:[0,0,1]
	v_mul_f32_e32 v50, v51, v32
	s_delay_alu instid0(VALU_DEP_3) | instskip(NEXT) | instid1(VALU_DEP_2)
	v_pk_add_f32 v[176:177], v[176:177], v[66:67] neg_lo:[0,1] neg_hi:[0,1]
	v_pk_fma_f32 v[48:49], v[48:49], v[126:127], v[50:51] op_sel_hi:[1,1,0]
	s_delay_alu instid0(VALU_DEP_1) | instskip(SKIP_4) | instid1(VALU_DEP_1)
	v_mov_b32_e32 v53, v49
	ds_load_2addr_b64 v[48:51], v148 offset0:44 offset1:45
	v_pk_add_f32 v[172:173], v[172:173], v[52:53] neg_lo:[0,1] neg_hi:[0,1]
	s_wait_dscnt 0x0
	v_pk_mul_f32 v[52:53], v[48:49], v[42:43] op_sel:[0,1]
	v_pk_fma_f32 v[66:67], v[48:49], v[32:33], v[52:53] op_sel:[0,0,1] op_sel_hi:[1,1,0] neg_lo:[0,0,1] neg_hi:[0,0,1]
	v_pk_fma_f32 v[48:49], v[48:49], v[32:33], v[52:53] op_sel:[0,0,1] op_sel_hi:[1,0,0]
	s_delay_alu instid0(VALU_DEP_1) | instskip(SKIP_1) | instid1(VALU_DEP_1)
	v_mov_b32_e32 v67, v49
	v_pk_mul_f32 v[48:49], v[50:51], v[42:43] op_sel:[0,1]
	v_pk_fma_f32 v[52:53], v[50:51], v[32:33], v[48:49] op_sel:[0,0,1] op_sel_hi:[1,1,0] neg_lo:[0,0,1] neg_hi:[0,0,1]
	v_pk_fma_f32 v[48:49], v[50:51], v[32:33], v[48:49] op_sel:[0,0,1] op_sel_hi:[1,0,0]
	s_delay_alu instid0(VALU_DEP_1)
	v_mov_b32_e32 v53, v49
	ds_load_2addr_b64 v[48:51], v148 offset0:46 offset1:47
	v_pk_add_f32 v[196:197], v[196:197], v[66:67] neg_lo:[0,1] neg_hi:[0,1]
	v_pk_add_f32 v[192:193], v[192:193], v[52:53] neg_lo:[0,1] neg_hi:[0,1]
	s_wait_dscnt 0x0
	v_pk_mul_f32 v[52:53], v[48:49], v[42:43] op_sel:[0,1]
	s_delay_alu instid0(VALU_DEP_1) | instskip(SKIP_1) | instid1(VALU_DEP_1)
	v_pk_fma_f32 v[66:67], v[48:49], v[32:33], v[52:53] op_sel:[0,0,1] op_sel_hi:[1,1,0] neg_lo:[0,0,1] neg_hi:[0,0,1]
	v_pk_fma_f32 v[48:49], v[48:49], v[32:33], v[52:53] op_sel:[0,0,1] op_sel_hi:[1,0,0]
	v_mov_b32_e32 v67, v49
	v_pk_mul_f32 v[48:49], v[50:51], v[42:43] op_sel:[0,1]
	s_delay_alu instid0(VALU_DEP_1) | instskip(SKIP_1) | instid1(VALU_DEP_1)
	v_pk_fma_f32 v[52:53], v[50:51], v[32:33], v[48:49] op_sel:[0,0,1] op_sel_hi:[1,1,0] neg_lo:[0,0,1] neg_hi:[0,0,1]
	v_pk_fma_f32 v[48:49], v[50:51], v[32:33], v[48:49] op_sel:[0,0,1] op_sel_hi:[1,0,0]
	v_mov_b32_e32 v53, v49
	ds_load_2addr_b64 v[48:51], v148 offset0:48 offset1:49
	v_pk_add_f32 v[194:195], v[194:195], v[66:67] neg_lo:[0,1] neg_hi:[0,1]
	v_pk_add_f32 v[190:191], v[190:191], v[52:53] neg_lo:[0,1] neg_hi:[0,1]
	s_wait_dscnt 0x0
	v_dual_mul_f32 v52, v49, v43 :: v_dual_mul_f32 v66, v49, v32
	s_delay_alu instid0(VALU_DEP_1) | instskip(NEXT) | instid1(VALU_DEP_2)
	v_pk_fma_f32 v[52:53], v[48:49], v[126:127], v[52:53] op_sel_hi:[1,1,0] neg_lo:[0,0,1] neg_hi:[0,0,1]
	v_pk_fma_f32 v[48:49], v[48:49], v[126:127], v[66:67] op_sel:[1,0,0] op_sel_hi:[0,1,0]
	s_delay_alu instid0(VALU_DEP_1) | instskip(SKIP_1) | instid1(VALU_DEP_2)
	v_mov_b32_e32 v53, v49
	v_pk_mul_f32 v[48:49], v[50:51], v[42:43] op_sel:[0,1]
	v_pk_add_f32 v[212:213], v[212:213], v[52:53] neg_lo:[0,1] neg_hi:[0,1]
	s_delay_alu instid0(VALU_DEP_2) | instskip(SKIP_1) | instid1(VALU_DEP_1)
	v_pk_fma_f32 v[52:53], v[50:51], v[32:33], v[48:49] op_sel:[0,0,1] op_sel_hi:[1,1,0] neg_lo:[0,0,1] neg_hi:[0,0,1]
	v_pk_fma_f32 v[48:49], v[50:51], v[32:33], v[48:49] op_sel:[0,0,1] op_sel_hi:[1,0,0]
	v_mov_b32_e32 v53, v49
	ds_load_2addr_b64 v[48:51], v148 offset0:50 offset1:51
	v_pk_add_f32 v[208:209], v[208:209], v[52:53] neg_lo:[0,1] neg_hi:[0,1]
	s_wait_dscnt 0x0
	v_pk_mul_f32 v[52:53], v[48:49], v[42:43] op_sel:[0,1]
	s_delay_alu instid0(VALU_DEP_1) | instskip(SKIP_1) | instid1(VALU_DEP_1)
	v_pk_fma_f32 v[66:67], v[48:49], v[32:33], v[52:53] op_sel:[0,0,1] op_sel_hi:[1,1,0] neg_lo:[0,0,1] neg_hi:[0,0,1]
	v_pk_fma_f32 v[48:49], v[48:49], v[32:33], v[52:53] op_sel:[0,0,1] op_sel_hi:[1,0,0]
	v_mov_b32_e32 v67, v49
	v_pk_mul_f32 v[48:49], v[50:51], v[42:43] op_sel:[0,1]
	s_delay_alu instid0(VALU_DEP_2) | instskip(NEXT) | instid1(VALU_DEP_2)
	v_pk_add_f32 v[210:211], v[210:211], v[66:67] neg_lo:[0,1] neg_hi:[0,1]
	v_pk_fma_f32 v[52:53], v[50:51], v[32:33], v[48:49] op_sel:[0,0,1] op_sel_hi:[1,1,0] neg_lo:[0,0,1] neg_hi:[0,0,1]
	v_pk_fma_f32 v[48:49], v[50:51], v[32:33], v[48:49] op_sel:[0,0,1] op_sel_hi:[1,0,0]
	s_delay_alu instid0(VALU_DEP_1)
	v_mov_b32_e32 v53, v49
	ds_load_2addr_b64 v[48:51], v148 offset0:52 offset1:53
	v_pk_add_f32 v[206:207], v[206:207], v[52:53] neg_lo:[0,1] neg_hi:[0,1]
	s_wait_dscnt 0x0
	v_pk_mul_f32 v[52:53], v[48:49], v[42:43] op_sel:[0,1]
	v_mul_f32_e32 v42, v51, v43
	s_delay_alu instid0(VALU_DEP_2) | instskip(SKIP_2) | instid1(VALU_DEP_4)
	v_pk_fma_f32 v[66:67], v[48:49], v[32:33], v[52:53] op_sel:[0,0,1] op_sel_hi:[1,1,0] neg_lo:[0,0,1] neg_hi:[0,0,1]
	v_pk_fma_f32 v[48:49], v[48:49], v[32:33], v[52:53] op_sel:[0,0,1] op_sel_hi:[1,0,0]
	v_dual_mov_b32 v48, v51 :: v_dual_mul_f32 v32, v51, v32
	v_pk_fma_f32 v[42:43], v[50:51], v[126:127], v[42:43] op_sel_hi:[1,1,0] neg_lo:[0,0,1] neg_hi:[0,0,1]
	s_delay_alu instid0(VALU_DEP_3) | instskip(NEXT) | instid1(VALU_DEP_1)
	v_dual_mov_b32 v67, v49 :: v_dual_mov_b32 v49, v50
	v_pk_add_f32 v[214:215], v[214:215], v[66:67] neg_lo:[0,1] neg_hi:[0,1]
	s_delay_alu instid0(VALU_DEP_2) | instskip(NEXT) | instid1(VALU_DEP_1)
	v_pk_fma_f32 v[32:33], v[48:49], v[126:127], v[32:33] op_sel_hi:[1,1,0]
	v_mov_b32_e32 v43, v33
	s_delay_alu instid0(VALU_DEP_1)
	v_pk_add_f32 v[216:217], v[216:217], v[42:43] neg_lo:[0,1] neg_hi:[0,1]
.LBB107_271:
	s_or_b32 exec_lo, exec_lo, s1
	s_delay_alu instid0(SALU_CYCLE_1)
	s_mov_b32 s2, exec_lo
	s_wait_dscnt 0x0
	s_barrier_signal -1
	s_barrier_wait -1
	v_cmpx_eq_u32_e32 30, v138
	s_cbranch_execz .LBB107_278
; %bb.272:
	ds_store_b64 v139, v[128:129]
	ds_store_2addr_b64 v148, v[124:125], v[146:147] offset0:31 offset1:32
	ds_store_2addr_b64 v148, v[142:143], v[144:145] offset0:33 offset1:34
	;; [unrolled: 1-line block ×11, first 2 shown]
	ds_store_b64 v148, v[216:217] offset:424
	ds_load_b64 v[32:33], v139
	s_wait_dscnt 0x0
	v_cmp_neq_f32_e32 vcc_lo, 0, v32
	v_cmp_neq_f32_e64 s1, 0, v33
	s_or_b32 s1, vcc_lo, s1
	s_delay_alu instid0(SALU_CYCLE_1)
	s_and_b32 exec_lo, exec_lo, s1
	s_cbranch_execz .LBB107_278
; %bb.273:
	v_cmp_ngt_f32_e64 s1, |v32|, |v33|
                                        ; implicit-def: $vgpr42_vgpr43
	s_and_saveexec_b32 s4, s1
	s_delay_alu instid0(SALU_CYCLE_1)
	s_xor_b32 s1, exec_lo, s4
	s_cbranch_execz .LBB107_275
; %bb.274:
	v_div_scale_f32 v42, null, v33, v33, v32
	v_div_scale_f32 v49, vcc_lo, v32, v33, v32
	s_delay_alu instid0(VALU_DEP_2) | instskip(SKIP_1) | instid1(TRANS32_DEP_1)
	v_rcp_f32_e32 v43, v42
	v_nop
	v_fma_f32 v48, -v42, v43, 1.0
	s_delay_alu instid0(VALU_DEP_1) | instskip(NEXT) | instid1(VALU_DEP_1)
	v_fmac_f32_e32 v43, v48, v43
	v_mul_f32_e32 v48, v49, v43
	s_delay_alu instid0(VALU_DEP_1) | instskip(NEXT) | instid1(VALU_DEP_1)
	v_fma_f32 v50, -v42, v48, v49
	v_fmac_f32_e32 v48, v50, v43
	s_delay_alu instid0(VALU_DEP_1) | instskip(NEXT) | instid1(VALU_DEP_1)
	v_fma_f32 v42, -v42, v48, v49
	v_div_fmas_f32 v42, v42, v43, v48
	s_delay_alu instid0(VALU_DEP_1) | instskip(NEXT) | instid1(VALU_DEP_1)
	v_div_fixup_f32 v42, v42, v33, v32
	v_fmac_f32_e32 v33, v32, v42
	s_delay_alu instid0(VALU_DEP_1) | instskip(SKIP_1) | instid1(VALU_DEP_2)
	v_div_scale_f32 v32, null, v33, v33, 1.0
	v_div_scale_f32 v49, vcc_lo, 1.0, v33, 1.0
	v_rcp_f32_e32 v43, v32
	v_nop
	s_delay_alu instid0(TRANS32_DEP_1) | instskip(NEXT) | instid1(VALU_DEP_1)
	v_fma_f32 v48, -v32, v43, 1.0
	v_fmac_f32_e32 v43, v48, v43
	s_delay_alu instid0(VALU_DEP_1) | instskip(NEXT) | instid1(VALU_DEP_1)
	v_mul_f32_e32 v48, v49, v43
	v_fma_f32 v50, -v32, v48, v49
	s_delay_alu instid0(VALU_DEP_1) | instskip(NEXT) | instid1(VALU_DEP_1)
	v_fmac_f32_e32 v48, v50, v43
	v_fma_f32 v32, -v32, v48, v49
	s_delay_alu instid0(VALU_DEP_1) | instskip(NEXT) | instid1(VALU_DEP_1)
	v_div_fmas_f32 v32, v32, v43, v48
	v_div_fixup_f32 v32, v32, v33, 1.0
	s_delay_alu instid0(VALU_DEP_1)
	v_mul_f32_e32 v42, v42, v32
	v_xor_b32_e32 v43, 0x80000000, v32
                                        ; implicit-def: $vgpr32_vgpr33
.LBB107_275:
	s_and_not1_saveexec_b32 s1, s1
	s_cbranch_execz .LBB107_277
; %bb.276:
	v_div_scale_f32 v42, null, v32, v32, v33
	v_div_scale_f32 v49, vcc_lo, v33, v32, v33
	s_delay_alu instid0(VALU_DEP_2) | instskip(SKIP_1) | instid1(TRANS32_DEP_1)
	v_rcp_f32_e32 v43, v42
	v_nop
	v_fma_f32 v48, -v42, v43, 1.0
	s_delay_alu instid0(VALU_DEP_1) | instskip(NEXT) | instid1(VALU_DEP_1)
	v_fmac_f32_e32 v43, v48, v43
	v_mul_f32_e32 v48, v49, v43
	s_delay_alu instid0(VALU_DEP_1) | instskip(NEXT) | instid1(VALU_DEP_1)
	v_fma_f32 v50, -v42, v48, v49
	v_fmac_f32_e32 v48, v50, v43
	s_delay_alu instid0(VALU_DEP_1) | instskip(NEXT) | instid1(VALU_DEP_1)
	v_fma_f32 v42, -v42, v48, v49
	v_div_fmas_f32 v42, v42, v43, v48
	s_delay_alu instid0(VALU_DEP_1) | instskip(NEXT) | instid1(VALU_DEP_1)
	v_div_fixup_f32 v43, v42, v32, v33
	v_fmac_f32_e32 v32, v33, v43
	s_delay_alu instid0(VALU_DEP_1) | instskip(NEXT) | instid1(VALU_DEP_1)
	v_div_scale_f32 v33, null, v32, v32, 1.0
	v_rcp_f32_e32 v42, v33
	v_nop
	s_delay_alu instid0(TRANS32_DEP_1) | instskip(NEXT) | instid1(VALU_DEP_1)
	v_fma_f32 v48, -v33, v42, 1.0
	v_fmac_f32_e32 v42, v48, v42
	v_div_scale_f32 v48, vcc_lo, 1.0, v32, 1.0
	s_delay_alu instid0(VALU_DEP_1) | instskip(NEXT) | instid1(VALU_DEP_1)
	v_mul_f32_e32 v49, v48, v42
	v_fma_f32 v50, -v33, v49, v48
	s_delay_alu instid0(VALU_DEP_1) | instskip(NEXT) | instid1(VALU_DEP_1)
	v_fmac_f32_e32 v49, v50, v42
	v_fma_f32 v33, -v33, v49, v48
	s_delay_alu instid0(VALU_DEP_1) | instskip(NEXT) | instid1(VALU_DEP_1)
	v_div_fmas_f32 v33, v33, v42, v49
	v_div_fixup_f32 v42, v33, v32, 1.0
	s_delay_alu instid0(VALU_DEP_1)
	v_mul_f32_e64 v43, v43, -v42
.LBB107_277:
	s_or_b32 exec_lo, exec_lo, s1
	ds_store_b64 v139, v[42:43]
.LBB107_278:
	s_or_b32 exec_lo, exec_lo, s2
	s_wait_dscnt 0x0
	s_barrier_signal -1
	s_barrier_wait -1
	ds_load_b64 v[32:33], v139
	s_mov_b32 s1, exec_lo
	v_cmpx_lt_u32_e32 30, v138
	s_cbranch_execz .LBB107_280
; %bb.279:
	ds_load_2addr_b64 v[50:53], v148 offset0:31 offset1:32
	s_wait_dscnt 0x1
	v_pk_mul_f32 v[48:49], v[32:33], v[128:129] op_sel:[1,1] op_sel_hi:[0,1]
	s_delay_alu instid0(VALU_DEP_1) | instskip(SKIP_1) | instid1(VALU_DEP_1)
	v_pk_fma_f32 v[42:43], v[32:33], v[128:129], v[48:49] op_sel_hi:[1,0,1] neg_lo:[0,0,1] neg_hi:[0,0,1]
	v_pk_fma_f32 v[48:49], v[32:33], v[128:129], v[48:49] op_sel_hi:[1,0,1]
	v_dual_mov_b32 v128, v42 :: v_dual_mov_b32 v129, v49
	s_wait_dscnt 0x0
	s_delay_alu instid0(VALU_DEP_2) | instskip(NEXT) | instid1(VALU_DEP_1)
	v_pk_mul_f32 v[66:67], v[50:51], v[48:49] op_sel:[0,1]
	v_pk_fma_f32 v[68:69], v[50:51], v[42:43], v[66:67] op_sel:[0,0,1] op_sel_hi:[1,1,0] neg_lo:[0,0,1] neg_hi:[0,0,1]
	v_pk_fma_f32 v[50:51], v[50:51], v[42:43], v[66:67] op_sel:[0,0,1] op_sel_hi:[1,0,0]
	s_delay_alu instid0(VALU_DEP_1) | instskip(SKIP_1) | instid1(VALU_DEP_1)
	v_mov_b32_e32 v69, v51
	v_pk_mul_f32 v[50:51], v[52:53], v[48:49] op_sel:[0,1]
	v_pk_fma_f32 v[66:67], v[52:53], v[42:43], v[50:51] op_sel:[0,0,1] op_sel_hi:[1,1,0] neg_lo:[0,0,1] neg_hi:[0,0,1]
	v_pk_fma_f32 v[50:51], v[52:53], v[42:43], v[50:51] op_sel:[0,0,1] op_sel_hi:[1,0,0]
	s_delay_alu instid0(VALU_DEP_1)
	v_mov_b32_e32 v67, v51
	ds_load_2addr_b64 v[50:53], v148 offset0:33 offset1:34
	v_pk_add_f32 v[124:125], v[124:125], v[68:69] neg_lo:[0,1] neg_hi:[0,1]
	v_pk_add_f32 v[146:147], v[146:147], v[66:67] neg_lo:[0,1] neg_hi:[0,1]
	s_wait_dscnt 0x0
	v_pk_mul_f32 v[66:67], v[50:51], v[48:49] op_sel:[0,1]
	s_delay_alu instid0(VALU_DEP_1) | instskip(SKIP_2) | instid1(VALU_DEP_2)
	v_pk_fma_f32 v[68:69], v[50:51], v[42:43], v[66:67] op_sel:[0,0,1] op_sel_hi:[1,1,0] neg_lo:[0,0,1] neg_hi:[0,0,1]
	v_pk_fma_f32 v[50:51], v[50:51], v[42:43], v[66:67] op_sel:[0,0,1] op_sel_hi:[1,0,0]
	v_dual_mul_f32 v66, v53, v49 :: v_dual_mov_b32 v50, v53
	v_dual_mov_b32 v69, v51 :: v_dual_mov_b32 v51, v52
	s_delay_alu instid0(VALU_DEP_2) | instskip(SKIP_1) | instid1(VALU_DEP_3)
	v_pk_fma_f32 v[66:67], v[52:53], v[128:129], v[66:67] op_sel_hi:[1,1,0] neg_lo:[0,0,1] neg_hi:[0,0,1]
	v_mul_f32_e32 v52, v53, v42
	v_pk_add_f32 v[142:143], v[142:143], v[68:69] neg_lo:[0,1] neg_hi:[0,1]
	s_delay_alu instid0(VALU_DEP_2) | instskip(NEXT) | instid1(VALU_DEP_1)
	v_pk_fma_f32 v[50:51], v[50:51], v[128:129], v[52:53] op_sel_hi:[1,1,0]
	v_mov_b32_e32 v67, v51
	ds_load_2addr_b64 v[50:53], v148 offset0:35 offset1:36
	v_pk_add_f32 v[144:145], v[144:145], v[66:67] neg_lo:[0,1] neg_hi:[0,1]
	s_wait_dscnt 0x0
	v_pk_mul_f32 v[66:67], v[50:51], v[48:49] op_sel:[0,1]
	s_delay_alu instid0(VALU_DEP_1) | instskip(SKIP_1) | instid1(VALU_DEP_1)
	v_pk_fma_f32 v[68:69], v[50:51], v[42:43], v[66:67] op_sel:[0,0,1] op_sel_hi:[1,1,0] neg_lo:[0,0,1] neg_hi:[0,0,1]
	v_pk_fma_f32 v[50:51], v[50:51], v[42:43], v[66:67] op_sel:[0,0,1] op_sel_hi:[1,0,0]
	v_mov_b32_e32 v69, v51
	v_pk_mul_f32 v[50:51], v[52:53], v[48:49] op_sel:[0,1]
	s_delay_alu instid0(VALU_DEP_1) | instskip(SKIP_1) | instid1(VALU_DEP_1)
	v_pk_fma_f32 v[66:67], v[52:53], v[42:43], v[50:51] op_sel:[0,0,1] op_sel_hi:[1,1,0] neg_lo:[0,0,1] neg_hi:[0,0,1]
	v_pk_fma_f32 v[50:51], v[52:53], v[42:43], v[50:51] op_sel:[0,0,1] op_sel_hi:[1,0,0]
	v_mov_b32_e32 v67, v51
	ds_load_2addr_b64 v[50:53], v148 offset0:37 offset1:38
	v_pk_add_f32 v[140:141], v[140:141], v[68:69] neg_lo:[0,1] neg_hi:[0,1]
	v_pk_add_f32 v[162:163], v[162:163], v[66:67] neg_lo:[0,1] neg_hi:[0,1]
	s_wait_dscnt 0x0
	v_pk_mul_f32 v[66:67], v[50:51], v[48:49] op_sel:[0,1]
	s_delay_alu instid0(VALU_DEP_1) | instskip(SKIP_1) | instid1(VALU_DEP_1)
	v_pk_fma_f32 v[68:69], v[50:51], v[42:43], v[66:67] op_sel:[0,0,1] op_sel_hi:[1,1,0] neg_lo:[0,0,1] neg_hi:[0,0,1]
	v_pk_fma_f32 v[50:51], v[50:51], v[42:43], v[66:67] op_sel:[0,0,1] op_sel_hi:[1,0,0]
	v_mov_b32_e32 v69, v51
	v_pk_mul_f32 v[50:51], v[52:53], v[48:49] op_sel:[0,1]
	s_delay_alu instid0(VALU_DEP_1) | instskip(SKIP_1) | instid1(VALU_DEP_1)
	v_pk_fma_f32 v[66:67], v[52:53], v[42:43], v[50:51] op_sel:[0,0,1] op_sel_hi:[1,1,0] neg_lo:[0,0,1] neg_hi:[0,0,1]
	v_pk_fma_f32 v[50:51], v[52:53], v[42:43], v[50:51] op_sel:[0,0,1] op_sel_hi:[1,0,0]
	v_mov_b32_e32 v67, v51
	ds_load_2addr_b64 v[50:53], v148 offset0:39 offset1:40
	v_pk_add_f32 v[158:159], v[158:159], v[68:69] neg_lo:[0,1] neg_hi:[0,1]
	v_pk_add_f32 v[160:161], v[160:161], v[66:67] neg_lo:[0,1] neg_hi:[0,1]
	s_wait_dscnt 0x0
	v_dual_mul_f32 v66, v51, v49 :: v_dual_mul_f32 v68, v51, v42
	s_delay_alu instid0(VALU_DEP_1) | instskip(NEXT) | instid1(VALU_DEP_2)
	v_pk_fma_f32 v[66:67], v[50:51], v[128:129], v[66:67] op_sel_hi:[1,1,0] neg_lo:[0,0,1] neg_hi:[0,0,1]
	v_pk_fma_f32 v[50:51], v[50:51], v[128:129], v[68:69] op_sel:[1,0,0] op_sel_hi:[0,1,0]
	s_delay_alu instid0(VALU_DEP_1) | instskip(SKIP_1) | instid1(VALU_DEP_2)
	v_mov_b32_e32 v67, v51
	v_pk_mul_f32 v[50:51], v[52:53], v[48:49] op_sel:[0,1]
	v_pk_add_f32 v[156:157], v[156:157], v[66:67] neg_lo:[0,1] neg_hi:[0,1]
	s_delay_alu instid0(VALU_DEP_2) | instskip(SKIP_1) | instid1(VALU_DEP_1)
	v_pk_fma_f32 v[66:67], v[52:53], v[42:43], v[50:51] op_sel:[0,0,1] op_sel_hi:[1,1,0] neg_lo:[0,0,1] neg_hi:[0,0,1]
	v_pk_fma_f32 v[50:51], v[52:53], v[42:43], v[50:51] op_sel:[0,0,1] op_sel_hi:[1,0,0]
	v_mov_b32_e32 v67, v51
	ds_load_2addr_b64 v[50:53], v148 offset0:41 offset1:42
	v_pk_add_f32 v[178:179], v[178:179], v[66:67] neg_lo:[0,1] neg_hi:[0,1]
	s_wait_dscnt 0x0
	v_pk_mul_f32 v[66:67], v[50:51], v[48:49] op_sel:[0,1]
	s_delay_alu instid0(VALU_DEP_1) | instskip(SKIP_1) | instid1(VALU_DEP_1)
	v_pk_fma_f32 v[68:69], v[50:51], v[42:43], v[66:67] op_sel:[0,0,1] op_sel_hi:[1,1,0] neg_lo:[0,0,1] neg_hi:[0,0,1]
	v_pk_fma_f32 v[50:51], v[50:51], v[42:43], v[66:67] op_sel:[0,0,1] op_sel_hi:[1,0,0]
	v_mov_b32_e32 v69, v51
	v_pk_mul_f32 v[50:51], v[52:53], v[48:49] op_sel:[0,1]
	s_delay_alu instid0(VALU_DEP_2) | instskip(NEXT) | instid1(VALU_DEP_2)
	v_pk_add_f32 v[174:175], v[174:175], v[68:69] neg_lo:[0,1] neg_hi:[0,1]
	v_pk_fma_f32 v[66:67], v[52:53], v[42:43], v[50:51] op_sel:[0,0,1] op_sel_hi:[1,1,0] neg_lo:[0,0,1] neg_hi:[0,0,1]
	v_pk_fma_f32 v[50:51], v[52:53], v[42:43], v[50:51] op_sel:[0,0,1] op_sel_hi:[1,0,0]
	s_delay_alu instid0(VALU_DEP_1) | instskip(SKIP_4) | instid1(VALU_DEP_1)
	v_mov_b32_e32 v67, v51
	ds_load_2addr_b64 v[50:53], v148 offset0:43 offset1:44
	v_pk_add_f32 v[176:177], v[176:177], v[66:67] neg_lo:[0,1] neg_hi:[0,1]
	s_wait_dscnt 0x0
	v_pk_mul_f32 v[66:67], v[50:51], v[48:49] op_sel:[0,1]
	v_pk_fma_f32 v[68:69], v[50:51], v[42:43], v[66:67] op_sel:[0,0,1] op_sel_hi:[1,1,0] neg_lo:[0,0,1] neg_hi:[0,0,1]
	v_pk_fma_f32 v[50:51], v[50:51], v[42:43], v[66:67] op_sel:[0,0,1] op_sel_hi:[1,0,0]
	v_dual_mul_f32 v66, v53, v49 :: v_dual_mov_b32 v50, v53
	s_delay_alu instid0(VALU_DEP_2) | instskip(NEXT) | instid1(VALU_DEP_2)
	v_dual_mov_b32 v69, v51 :: v_dual_mov_b32 v51, v52
	v_pk_fma_f32 v[66:67], v[52:53], v[128:129], v[66:67] op_sel_hi:[1,1,0] neg_lo:[0,0,1] neg_hi:[0,0,1]
	v_mul_f32_e32 v52, v53, v42
	s_delay_alu instid0(VALU_DEP_3) | instskip(NEXT) | instid1(VALU_DEP_2)
	v_pk_add_f32 v[172:173], v[172:173], v[68:69] neg_lo:[0,1] neg_hi:[0,1]
	v_pk_fma_f32 v[50:51], v[50:51], v[128:129], v[52:53] op_sel_hi:[1,1,0]
	s_delay_alu instid0(VALU_DEP_1) | instskip(SKIP_4) | instid1(VALU_DEP_1)
	v_mov_b32_e32 v67, v51
	ds_load_2addr_b64 v[50:53], v148 offset0:45 offset1:46
	v_pk_add_f32 v[196:197], v[196:197], v[66:67] neg_lo:[0,1] neg_hi:[0,1]
	s_wait_dscnt 0x0
	v_pk_mul_f32 v[66:67], v[50:51], v[48:49] op_sel:[0,1]
	v_pk_fma_f32 v[68:69], v[50:51], v[42:43], v[66:67] op_sel:[0,0,1] op_sel_hi:[1,1,0] neg_lo:[0,0,1] neg_hi:[0,0,1]
	v_pk_fma_f32 v[50:51], v[50:51], v[42:43], v[66:67] op_sel:[0,0,1] op_sel_hi:[1,0,0]
	s_delay_alu instid0(VALU_DEP_1) | instskip(SKIP_1) | instid1(VALU_DEP_1)
	v_mov_b32_e32 v69, v51
	v_pk_mul_f32 v[50:51], v[52:53], v[48:49] op_sel:[0,1]
	v_pk_fma_f32 v[66:67], v[52:53], v[42:43], v[50:51] op_sel:[0,0,1] op_sel_hi:[1,1,0] neg_lo:[0,0,1] neg_hi:[0,0,1]
	v_pk_fma_f32 v[50:51], v[52:53], v[42:43], v[50:51] op_sel:[0,0,1] op_sel_hi:[1,0,0]
	s_delay_alu instid0(VALU_DEP_1)
	v_mov_b32_e32 v67, v51
	ds_load_2addr_b64 v[50:53], v148 offset0:47 offset1:48
	v_pk_add_f32 v[192:193], v[192:193], v[68:69] neg_lo:[0,1] neg_hi:[0,1]
	v_pk_add_f32 v[194:195], v[194:195], v[66:67] neg_lo:[0,1] neg_hi:[0,1]
	s_wait_dscnt 0x0
	v_pk_mul_f32 v[66:67], v[50:51], v[48:49] op_sel:[0,1]
	s_delay_alu instid0(VALU_DEP_1) | instskip(SKIP_1) | instid1(VALU_DEP_1)
	v_pk_fma_f32 v[68:69], v[50:51], v[42:43], v[66:67] op_sel:[0,0,1] op_sel_hi:[1,1,0] neg_lo:[0,0,1] neg_hi:[0,0,1]
	v_pk_fma_f32 v[50:51], v[50:51], v[42:43], v[66:67] op_sel:[0,0,1] op_sel_hi:[1,0,0]
	v_mov_b32_e32 v69, v51
	v_pk_mul_f32 v[50:51], v[52:53], v[48:49] op_sel:[0,1]
	s_delay_alu instid0(VALU_DEP_1) | instskip(SKIP_1) | instid1(VALU_DEP_1)
	v_pk_fma_f32 v[66:67], v[52:53], v[42:43], v[50:51] op_sel:[0,0,1] op_sel_hi:[1,1,0] neg_lo:[0,0,1] neg_hi:[0,0,1]
	v_pk_fma_f32 v[50:51], v[52:53], v[42:43], v[50:51] op_sel:[0,0,1] op_sel_hi:[1,0,0]
	v_mov_b32_e32 v67, v51
	ds_load_2addr_b64 v[50:53], v148 offset0:49 offset1:50
	v_pk_add_f32 v[190:191], v[190:191], v[68:69] neg_lo:[0,1] neg_hi:[0,1]
	v_pk_add_f32 v[212:213], v[212:213], v[66:67] neg_lo:[0,1] neg_hi:[0,1]
	s_wait_dscnt 0x0
	v_dual_mul_f32 v66, v51, v49 :: v_dual_mul_f32 v68, v51, v42
	s_delay_alu instid0(VALU_DEP_1) | instskip(NEXT) | instid1(VALU_DEP_2)
	v_pk_fma_f32 v[66:67], v[50:51], v[128:129], v[66:67] op_sel_hi:[1,1,0] neg_lo:[0,0,1] neg_hi:[0,0,1]
	v_pk_fma_f32 v[50:51], v[50:51], v[128:129], v[68:69] op_sel:[1,0,0] op_sel_hi:[0,1,0]
	s_delay_alu instid0(VALU_DEP_1) | instskip(SKIP_1) | instid1(VALU_DEP_2)
	v_mov_b32_e32 v67, v51
	v_pk_mul_f32 v[50:51], v[52:53], v[48:49] op_sel:[0,1]
	v_pk_add_f32 v[208:209], v[208:209], v[66:67] neg_lo:[0,1] neg_hi:[0,1]
	s_delay_alu instid0(VALU_DEP_2) | instskip(SKIP_1) | instid1(VALU_DEP_1)
	v_pk_fma_f32 v[66:67], v[52:53], v[42:43], v[50:51] op_sel:[0,0,1] op_sel_hi:[1,1,0] neg_lo:[0,0,1] neg_hi:[0,0,1]
	v_pk_fma_f32 v[50:51], v[52:53], v[42:43], v[50:51] op_sel:[0,0,1] op_sel_hi:[1,0,0]
	v_mov_b32_e32 v67, v51
	ds_load_2addr_b64 v[50:53], v148 offset0:51 offset1:52
	v_pk_add_f32 v[210:211], v[210:211], v[66:67] neg_lo:[0,1] neg_hi:[0,1]
	s_wait_dscnt 0x0
	v_pk_mul_f32 v[66:67], v[50:51], v[48:49] op_sel:[0,1]
	s_delay_alu instid0(VALU_DEP_1) | instskip(SKIP_1) | instid1(VALU_DEP_1)
	v_pk_fma_f32 v[68:69], v[50:51], v[42:43], v[66:67] op_sel:[0,0,1] op_sel_hi:[1,1,0] neg_lo:[0,0,1] neg_hi:[0,0,1]
	v_pk_fma_f32 v[50:51], v[50:51], v[42:43], v[66:67] op_sel:[0,0,1] op_sel_hi:[1,0,0]
	v_mov_b32_e32 v69, v51
	v_pk_mul_f32 v[50:51], v[52:53], v[48:49] op_sel:[0,1]
	s_delay_alu instid0(VALU_DEP_2) | instskip(NEXT) | instid1(VALU_DEP_2)
	v_pk_add_f32 v[206:207], v[206:207], v[68:69] neg_lo:[0,1] neg_hi:[0,1]
	v_pk_fma_f32 v[66:67], v[52:53], v[42:43], v[50:51] op_sel:[0,0,1] op_sel_hi:[1,1,0] neg_lo:[0,0,1] neg_hi:[0,0,1]
	v_pk_fma_f32 v[50:51], v[52:53], v[42:43], v[50:51] op_sel:[0,0,1] op_sel_hi:[1,0,0]
	s_delay_alu instid0(VALU_DEP_1) | instskip(SKIP_4) | instid1(VALU_DEP_1)
	v_mov_b32_e32 v67, v51
	ds_load_b64 v[50:51], v148 offset:424
	v_pk_add_f32 v[214:215], v[214:215], v[66:67] neg_lo:[0,1] neg_hi:[0,1]
	s_wait_dscnt 0x0
	v_pk_mul_f32 v[48:49], v[50:51], v[48:49] op_sel:[0,1]
	v_pk_fma_f32 v[52:53], v[50:51], v[42:43], v[48:49] op_sel:[0,0,1] op_sel_hi:[1,1,0] neg_lo:[0,0,1] neg_hi:[0,0,1]
	v_pk_fma_f32 v[42:43], v[50:51], v[42:43], v[48:49] op_sel:[0,0,1] op_sel_hi:[1,0,0]
	s_delay_alu instid0(VALU_DEP_1) | instskip(NEXT) | instid1(VALU_DEP_1)
	v_mov_b32_e32 v53, v43
	v_pk_add_f32 v[216:217], v[216:217], v[52:53] neg_lo:[0,1] neg_hi:[0,1]
.LBB107_280:
	s_or_b32 exec_lo, exec_lo, s1
	s_delay_alu instid0(SALU_CYCLE_1)
	s_mov_b32 s2, exec_lo
	s_wait_dscnt 0x0
	s_barrier_signal -1
	s_barrier_wait -1
	v_cmpx_eq_u32_e32 31, v138
	s_cbranch_execz .LBB107_287
; %bb.281:
	v_dual_mov_b32 v42, v146 :: v_dual_mov_b32 v43, v147
	v_dual_mov_b32 v48, v142 :: v_dual_mov_b32 v49, v143
	ds_store_b64 v139, v[124:125]
	ds_store_2addr_b64 v148, v[42:43], v[48:49] offset0:32 offset1:33
	v_dual_mov_b32 v42, v144 :: v_dual_mov_b32 v43, v145
	v_dual_mov_b32 v48, v140 :: v_dual_mov_b32 v49, v141
	ds_store_2addr_b64 v148, v[42:43], v[48:49] offset0:34 offset1:35
	v_dual_mov_b32 v42, v162 :: v_dual_mov_b32 v43, v163
	v_dual_mov_b32 v48, v158 :: v_dual_mov_b32 v49, v159
	;; [unrolled: 3-line block ×9, first 2 shown]
	ds_store_2addr_b64 v148, v[42:43], v[48:49] offset0:50 offset1:51
	v_dual_mov_b32 v42, v214 :: v_dual_mov_b32 v43, v215
	ds_store_2addr_b64 v148, v[42:43], v[216:217] offset0:52 offset1:53
	ds_load_b64 v[42:43], v139
	s_wait_dscnt 0x0
	v_cmp_neq_f32_e32 vcc_lo, 0, v42
	v_cmp_neq_f32_e64 s1, 0, v43
	s_or_b32 s1, vcc_lo, s1
	s_delay_alu instid0(SALU_CYCLE_1)
	s_and_b32 exec_lo, exec_lo, s1
	s_cbranch_execz .LBB107_287
; %bb.282:
	v_cmp_ngt_f32_e64 s1, |v42|, |v43|
                                        ; implicit-def: $vgpr48_vgpr49
	s_and_saveexec_b32 s4, s1
	s_delay_alu instid0(SALU_CYCLE_1)
	s_xor_b32 s1, exec_lo, s4
	s_cbranch_execz .LBB107_284
; %bb.283:
	v_div_scale_f32 v48, null, v43, v43, v42
	v_div_scale_f32 v51, vcc_lo, v42, v43, v42
	s_delay_alu instid0(VALU_DEP_2) | instskip(SKIP_1) | instid1(TRANS32_DEP_1)
	v_rcp_f32_e32 v49, v48
	v_nop
	v_fma_f32 v50, -v48, v49, 1.0
	s_delay_alu instid0(VALU_DEP_1) | instskip(NEXT) | instid1(VALU_DEP_1)
	v_fmac_f32_e32 v49, v50, v49
	v_mul_f32_e32 v50, v51, v49
	s_delay_alu instid0(VALU_DEP_1) | instskip(NEXT) | instid1(VALU_DEP_1)
	v_fma_f32 v52, -v48, v50, v51
	v_fmac_f32_e32 v50, v52, v49
	s_delay_alu instid0(VALU_DEP_1) | instskip(NEXT) | instid1(VALU_DEP_1)
	v_fma_f32 v48, -v48, v50, v51
	v_div_fmas_f32 v48, v48, v49, v50
	s_delay_alu instid0(VALU_DEP_1) | instskip(NEXT) | instid1(VALU_DEP_1)
	v_div_fixup_f32 v48, v48, v43, v42
	v_fmac_f32_e32 v43, v42, v48
	s_delay_alu instid0(VALU_DEP_1) | instskip(SKIP_1) | instid1(VALU_DEP_2)
	v_div_scale_f32 v42, null, v43, v43, 1.0
	v_div_scale_f32 v51, vcc_lo, 1.0, v43, 1.0
	v_rcp_f32_e32 v49, v42
	v_nop
	s_delay_alu instid0(TRANS32_DEP_1) | instskip(NEXT) | instid1(VALU_DEP_1)
	v_fma_f32 v50, -v42, v49, 1.0
	v_fmac_f32_e32 v49, v50, v49
	s_delay_alu instid0(VALU_DEP_1) | instskip(NEXT) | instid1(VALU_DEP_1)
	v_mul_f32_e32 v50, v51, v49
	v_fma_f32 v52, -v42, v50, v51
	s_delay_alu instid0(VALU_DEP_1) | instskip(NEXT) | instid1(VALU_DEP_1)
	v_fmac_f32_e32 v50, v52, v49
	v_fma_f32 v42, -v42, v50, v51
	s_delay_alu instid0(VALU_DEP_1) | instskip(NEXT) | instid1(VALU_DEP_1)
	v_div_fmas_f32 v42, v42, v49, v50
	v_div_fixup_f32 v42, v42, v43, 1.0
	s_delay_alu instid0(VALU_DEP_1)
	v_mul_f32_e32 v48, v48, v42
	v_xor_b32_e32 v49, 0x80000000, v42
                                        ; implicit-def: $vgpr42_vgpr43
.LBB107_284:
	s_and_not1_saveexec_b32 s1, s1
	s_cbranch_execz .LBB107_286
; %bb.285:
	v_div_scale_f32 v48, null, v42, v42, v43
	v_div_scale_f32 v51, vcc_lo, v43, v42, v43
	s_delay_alu instid0(VALU_DEP_2) | instskip(SKIP_1) | instid1(TRANS32_DEP_1)
	v_rcp_f32_e32 v49, v48
	v_nop
	v_fma_f32 v50, -v48, v49, 1.0
	s_delay_alu instid0(VALU_DEP_1) | instskip(NEXT) | instid1(VALU_DEP_1)
	v_fmac_f32_e32 v49, v50, v49
	v_mul_f32_e32 v50, v51, v49
	s_delay_alu instid0(VALU_DEP_1) | instskip(NEXT) | instid1(VALU_DEP_1)
	v_fma_f32 v52, -v48, v50, v51
	v_fmac_f32_e32 v50, v52, v49
	s_delay_alu instid0(VALU_DEP_1) | instskip(NEXT) | instid1(VALU_DEP_1)
	v_fma_f32 v48, -v48, v50, v51
	v_div_fmas_f32 v48, v48, v49, v50
	s_delay_alu instid0(VALU_DEP_1) | instskip(NEXT) | instid1(VALU_DEP_1)
	v_div_fixup_f32 v49, v48, v42, v43
	v_fmac_f32_e32 v42, v43, v49
	s_delay_alu instid0(VALU_DEP_1) | instskip(NEXT) | instid1(VALU_DEP_1)
	v_div_scale_f32 v43, null, v42, v42, 1.0
	v_rcp_f32_e32 v48, v43
	v_nop
	s_delay_alu instid0(TRANS32_DEP_1) | instskip(NEXT) | instid1(VALU_DEP_1)
	v_fma_f32 v50, -v43, v48, 1.0
	v_fmac_f32_e32 v48, v50, v48
	v_div_scale_f32 v50, vcc_lo, 1.0, v42, 1.0
	s_delay_alu instid0(VALU_DEP_1) | instskip(NEXT) | instid1(VALU_DEP_1)
	v_mul_f32_e32 v51, v50, v48
	v_fma_f32 v52, -v43, v51, v50
	s_delay_alu instid0(VALU_DEP_1) | instskip(NEXT) | instid1(VALU_DEP_1)
	v_fmac_f32_e32 v51, v52, v48
	v_fma_f32 v43, -v43, v51, v50
	s_delay_alu instid0(VALU_DEP_1) | instskip(NEXT) | instid1(VALU_DEP_1)
	v_div_fmas_f32 v43, v43, v48, v51
	v_div_fixup_f32 v48, v43, v42, 1.0
	s_delay_alu instid0(VALU_DEP_1)
	v_mul_f32_e64 v49, v49, -v48
.LBB107_286:
	s_or_b32 exec_lo, exec_lo, s1
	ds_store_b64 v139, v[48:49]
.LBB107_287:
	s_or_b32 exec_lo, exec_lo, s2
	s_wait_dscnt 0x0
	s_barrier_signal -1
	s_barrier_wait -1
	ds_load_b64 v[42:43], v139
	s_mov_b32 s1, exec_lo
	v_cmpx_lt_u32_e32 31, v138
	s_cbranch_execz .LBB107_289
; %bb.288:
	ds_load_2addr_b64 v[66:69], v148 offset0:32 offset1:33
	s_wait_dscnt 0x1
	v_pk_mul_f32 v[50:51], v[42:43], v[124:125] op_sel:[1,1] op_sel_hi:[0,1]
	s_delay_alu instid0(VALU_DEP_1) | instskip(SKIP_1) | instid1(VALU_DEP_1)
	v_pk_fma_f32 v[48:49], v[42:43], v[124:125], v[50:51] op_sel_hi:[1,0,1] neg_lo:[0,0,1] neg_hi:[0,0,1]
	v_pk_fma_f32 v[50:51], v[42:43], v[124:125], v[50:51] op_sel_hi:[1,0,1]
	v_dual_mov_b32 v124, v48 :: v_dual_mov_b32 v125, v51
	s_wait_dscnt 0x0
	s_delay_alu instid0(VALU_DEP_2) | instskip(NEXT) | instid1(VALU_DEP_1)
	v_pk_mul_f32 v[52:53], v[66:67], v[50:51] op_sel:[0,1]
	v_pk_fma_f32 v[70:71], v[66:67], v[48:49], v[52:53] op_sel:[0,0,1] op_sel_hi:[1,1,0] neg_lo:[0,0,1] neg_hi:[0,0,1]
	v_pk_fma_f32 v[52:53], v[66:67], v[48:49], v[52:53] op_sel:[0,0,1] op_sel_hi:[1,0,0]
	s_delay_alu instid0(VALU_DEP_1) | instskip(SKIP_1) | instid1(VALU_DEP_1)
	v_mov_b32_e32 v71, v53
	v_pk_mul_f32 v[52:53], v[68:69], v[50:51] op_sel:[0,1]
	v_pk_fma_f32 v[66:67], v[68:69], v[48:49], v[52:53] op_sel:[0,0,1] op_sel_hi:[1,1,0] neg_lo:[0,0,1] neg_hi:[0,0,1]
	v_pk_fma_f32 v[52:53], v[68:69], v[48:49], v[52:53] op_sel:[0,0,1] op_sel_hi:[1,0,0]
	s_delay_alu instid0(VALU_DEP_1) | instskip(SKIP_1) | instid1(VALU_DEP_2)
	v_mov_b32_e32 v67, v53
	v_pk_add_f32 v[146:147], v[146:147], v[70:71] neg_lo:[0,1] neg_hi:[0,1]
	v_pk_add_f32 v[142:143], v[142:143], v[66:67] neg_lo:[0,1] neg_hi:[0,1]
	ds_load_2addr_b64 v[66:69], v148 offset0:34 offset1:35
	s_wait_dscnt 0x0
	v_pk_mul_f32 v[52:53], v[66:67], v[50:51] op_sel:[0,1]
	s_delay_alu instid0(VALU_DEP_1) | instskip(SKIP_2) | instid1(VALU_DEP_2)
	v_pk_fma_f32 v[70:71], v[66:67], v[48:49], v[52:53] op_sel:[0,0,1] op_sel_hi:[1,1,0] neg_lo:[0,0,1] neg_hi:[0,0,1]
	v_pk_fma_f32 v[52:53], v[66:67], v[48:49], v[52:53] op_sel:[0,0,1] op_sel_hi:[1,0,0]
	v_dual_mul_f32 v66, v69, v51 :: v_dual_mov_b32 v52, v69
	v_dual_mov_b32 v71, v53 :: v_dual_mov_b32 v53, v68
	s_delay_alu instid0(VALU_DEP_2) | instskip(SKIP_1) | instid1(VALU_DEP_3)
	v_pk_fma_f32 v[66:67], v[68:69], v[124:125], v[66:67] op_sel_hi:[1,1,0] neg_lo:[0,0,1] neg_hi:[0,0,1]
	v_mul_f32_e32 v68, v69, v48
	v_pk_add_f32 v[144:145], v[144:145], v[70:71] neg_lo:[0,1] neg_hi:[0,1]
	s_delay_alu instid0(VALU_DEP_2) | instskip(NEXT) | instid1(VALU_DEP_1)
	v_pk_fma_f32 v[52:53], v[52:53], v[124:125], v[68:69] op_sel_hi:[1,1,0]
	v_mov_b32_e32 v67, v53
	s_delay_alu instid0(VALU_DEP_1) | instskip(SKIP_3) | instid1(VALU_DEP_1)
	v_pk_add_f32 v[140:141], v[140:141], v[66:67] neg_lo:[0,1] neg_hi:[0,1]
	ds_load_2addr_b64 v[66:69], v148 offset0:36 offset1:37
	s_wait_dscnt 0x0
	v_pk_mul_f32 v[52:53], v[66:67], v[50:51] op_sel:[0,1]
	v_pk_fma_f32 v[70:71], v[66:67], v[48:49], v[52:53] op_sel:[0,0,1] op_sel_hi:[1,1,0] neg_lo:[0,0,1] neg_hi:[0,0,1]
	v_pk_fma_f32 v[52:53], v[66:67], v[48:49], v[52:53] op_sel:[0,0,1] op_sel_hi:[1,0,0]
	s_delay_alu instid0(VALU_DEP_1) | instskip(SKIP_1) | instid1(VALU_DEP_2)
	v_mov_b32_e32 v71, v53
	v_pk_mul_f32 v[52:53], v[68:69], v[50:51] op_sel:[0,1]
	v_pk_add_f32 v[162:163], v[162:163], v[70:71] neg_lo:[0,1] neg_hi:[0,1]
	s_delay_alu instid0(VALU_DEP_2) | instskip(SKIP_1) | instid1(VALU_DEP_1)
	v_pk_fma_f32 v[66:67], v[68:69], v[48:49], v[52:53] op_sel:[0,0,1] op_sel_hi:[1,1,0] neg_lo:[0,0,1] neg_hi:[0,0,1]
	v_pk_fma_f32 v[52:53], v[68:69], v[48:49], v[52:53] op_sel:[0,0,1] op_sel_hi:[1,0,0]
	v_mov_b32_e32 v67, v53
	s_delay_alu instid0(VALU_DEP_1) | instskip(SKIP_3) | instid1(VALU_DEP_1)
	v_pk_add_f32 v[158:159], v[158:159], v[66:67] neg_lo:[0,1] neg_hi:[0,1]
	ds_load_2addr_b64 v[66:69], v148 offset0:38 offset1:39
	s_wait_dscnt 0x0
	v_pk_mul_f32 v[52:53], v[66:67], v[50:51] op_sel:[0,1]
	v_pk_fma_f32 v[70:71], v[66:67], v[48:49], v[52:53] op_sel:[0,0,1] op_sel_hi:[1,1,0] neg_lo:[0,0,1] neg_hi:[0,0,1]
	v_pk_fma_f32 v[52:53], v[66:67], v[48:49], v[52:53] op_sel:[0,0,1] op_sel_hi:[1,0,0]
	s_delay_alu instid0(VALU_DEP_1) | instskip(SKIP_1) | instid1(VALU_DEP_2)
	v_mov_b32_e32 v71, v53
	v_pk_mul_f32 v[52:53], v[68:69], v[50:51] op_sel:[0,1]
	v_pk_add_f32 v[160:161], v[160:161], v[70:71] neg_lo:[0,1] neg_hi:[0,1]
	s_delay_alu instid0(VALU_DEP_2) | instskip(SKIP_1) | instid1(VALU_DEP_1)
	v_pk_fma_f32 v[66:67], v[68:69], v[48:49], v[52:53] op_sel:[0,0,1] op_sel_hi:[1,1,0] neg_lo:[0,0,1] neg_hi:[0,0,1]
	v_pk_fma_f32 v[52:53], v[68:69], v[48:49], v[52:53] op_sel:[0,0,1] op_sel_hi:[1,0,0]
	v_mov_b32_e32 v67, v53
	s_delay_alu instid0(VALU_DEP_1) | instskip(SKIP_3) | instid1(VALU_DEP_1)
	v_pk_add_f32 v[156:157], v[156:157], v[66:67] neg_lo:[0,1] neg_hi:[0,1]
	ds_load_2addr_b64 v[66:69], v148 offset0:40 offset1:41
	s_wait_dscnt 0x0
	v_dual_mul_f32 v52, v67, v51 :: v_dual_mul_f32 v70, v67, v48
	v_pk_fma_f32 v[52:53], v[66:67], v[124:125], v[52:53] op_sel_hi:[1,1,0] neg_lo:[0,0,1] neg_hi:[0,0,1]
	s_delay_alu instid0(VALU_DEP_2) | instskip(NEXT) | instid1(VALU_DEP_1)
	v_pk_fma_f32 v[66:67], v[66:67], v[124:125], v[70:71] op_sel:[1,0,0] op_sel_hi:[0,1,0]
	v_mov_b32_e32 v53, v67
	s_delay_alu instid0(VALU_DEP_1) | instskip(SKIP_1) | instid1(VALU_DEP_1)
	v_pk_add_f32 v[178:179], v[178:179], v[52:53] neg_lo:[0,1] neg_hi:[0,1]
	v_pk_mul_f32 v[52:53], v[68:69], v[50:51] op_sel:[0,1]
	v_pk_fma_f32 v[66:67], v[68:69], v[48:49], v[52:53] op_sel:[0,0,1] op_sel_hi:[1,1,0] neg_lo:[0,0,1] neg_hi:[0,0,1]
	v_pk_fma_f32 v[52:53], v[68:69], v[48:49], v[52:53] op_sel:[0,0,1] op_sel_hi:[1,0,0]
	s_delay_alu instid0(VALU_DEP_1) | instskip(NEXT) | instid1(VALU_DEP_1)
	v_mov_b32_e32 v67, v53
	v_pk_add_f32 v[174:175], v[174:175], v[66:67] neg_lo:[0,1] neg_hi:[0,1]
	ds_load_2addr_b64 v[66:69], v148 offset0:42 offset1:43
	s_wait_dscnt 0x0
	v_pk_mul_f32 v[52:53], v[66:67], v[50:51] op_sel:[0,1]
	s_delay_alu instid0(VALU_DEP_1) | instskip(SKIP_1) | instid1(VALU_DEP_1)
	v_pk_fma_f32 v[70:71], v[66:67], v[48:49], v[52:53] op_sel:[0,0,1] op_sel_hi:[1,1,0] neg_lo:[0,0,1] neg_hi:[0,0,1]
	v_pk_fma_f32 v[52:53], v[66:67], v[48:49], v[52:53] op_sel:[0,0,1] op_sel_hi:[1,0,0]
	v_mov_b32_e32 v71, v53
	v_pk_mul_f32 v[52:53], v[68:69], v[50:51] op_sel:[0,1]
	s_delay_alu instid0(VALU_DEP_2) | instskip(NEXT) | instid1(VALU_DEP_2)
	v_pk_add_f32 v[176:177], v[176:177], v[70:71] neg_lo:[0,1] neg_hi:[0,1]
	v_pk_fma_f32 v[66:67], v[68:69], v[48:49], v[52:53] op_sel:[0,0,1] op_sel_hi:[1,1,0] neg_lo:[0,0,1] neg_hi:[0,0,1]
	v_pk_fma_f32 v[52:53], v[68:69], v[48:49], v[52:53] op_sel:[0,0,1] op_sel_hi:[1,0,0]
	s_delay_alu instid0(VALU_DEP_1) | instskip(NEXT) | instid1(VALU_DEP_1)
	v_mov_b32_e32 v67, v53
	v_pk_add_f32 v[172:173], v[172:173], v[66:67] neg_lo:[0,1] neg_hi:[0,1]
	ds_load_2addr_b64 v[66:69], v148 offset0:44 offset1:45
	s_wait_dscnt 0x0
	v_pk_mul_f32 v[52:53], v[66:67], v[50:51] op_sel:[0,1]
	s_delay_alu instid0(VALU_DEP_1) | instskip(SKIP_2) | instid1(VALU_DEP_2)
	v_pk_fma_f32 v[70:71], v[66:67], v[48:49], v[52:53] op_sel:[0,0,1] op_sel_hi:[1,1,0] neg_lo:[0,0,1] neg_hi:[0,0,1]
	v_pk_fma_f32 v[52:53], v[66:67], v[48:49], v[52:53] op_sel:[0,0,1] op_sel_hi:[1,0,0]
	v_dual_mul_f32 v66, v69, v51 :: v_dual_mov_b32 v52, v69
	v_dual_mov_b32 v71, v53 :: v_dual_mov_b32 v53, v68
	s_delay_alu instid0(VALU_DEP_2) | instskip(SKIP_1) | instid1(VALU_DEP_3)
	v_pk_fma_f32 v[66:67], v[68:69], v[124:125], v[66:67] op_sel_hi:[1,1,0] neg_lo:[0,0,1] neg_hi:[0,0,1]
	v_mul_f32_e32 v68, v69, v48
	v_pk_add_f32 v[196:197], v[196:197], v[70:71] neg_lo:[0,1] neg_hi:[0,1]
	s_delay_alu instid0(VALU_DEP_2) | instskip(NEXT) | instid1(VALU_DEP_1)
	v_pk_fma_f32 v[52:53], v[52:53], v[124:125], v[68:69] op_sel_hi:[1,1,0]
	v_mov_b32_e32 v67, v53
	s_delay_alu instid0(VALU_DEP_1) | instskip(SKIP_3) | instid1(VALU_DEP_1)
	v_pk_add_f32 v[192:193], v[192:193], v[66:67] neg_lo:[0,1] neg_hi:[0,1]
	ds_load_2addr_b64 v[66:69], v148 offset0:46 offset1:47
	s_wait_dscnt 0x0
	v_pk_mul_f32 v[52:53], v[66:67], v[50:51] op_sel:[0,1]
	v_pk_fma_f32 v[70:71], v[66:67], v[48:49], v[52:53] op_sel:[0,0,1] op_sel_hi:[1,1,0] neg_lo:[0,0,1] neg_hi:[0,0,1]
	v_pk_fma_f32 v[52:53], v[66:67], v[48:49], v[52:53] op_sel:[0,0,1] op_sel_hi:[1,0,0]
	s_delay_alu instid0(VALU_DEP_1) | instskip(SKIP_1) | instid1(VALU_DEP_2)
	v_mov_b32_e32 v71, v53
	v_pk_mul_f32 v[52:53], v[68:69], v[50:51] op_sel:[0,1]
	v_pk_add_f32 v[194:195], v[194:195], v[70:71] neg_lo:[0,1] neg_hi:[0,1]
	s_delay_alu instid0(VALU_DEP_2) | instskip(SKIP_1) | instid1(VALU_DEP_1)
	v_pk_fma_f32 v[66:67], v[68:69], v[48:49], v[52:53] op_sel:[0,0,1] op_sel_hi:[1,1,0] neg_lo:[0,0,1] neg_hi:[0,0,1]
	v_pk_fma_f32 v[52:53], v[68:69], v[48:49], v[52:53] op_sel:[0,0,1] op_sel_hi:[1,0,0]
	v_mov_b32_e32 v67, v53
	s_delay_alu instid0(VALU_DEP_1) | instskip(SKIP_3) | instid1(VALU_DEP_1)
	v_pk_add_f32 v[190:191], v[190:191], v[66:67] neg_lo:[0,1] neg_hi:[0,1]
	ds_load_2addr_b64 v[66:69], v148 offset0:48 offset1:49
	s_wait_dscnt 0x0
	v_pk_mul_f32 v[52:53], v[66:67], v[50:51] op_sel:[0,1]
	v_pk_fma_f32 v[70:71], v[66:67], v[48:49], v[52:53] op_sel:[0,0,1] op_sel_hi:[1,1,0] neg_lo:[0,0,1] neg_hi:[0,0,1]
	v_pk_fma_f32 v[52:53], v[66:67], v[48:49], v[52:53] op_sel:[0,0,1] op_sel_hi:[1,0,0]
	s_delay_alu instid0(VALU_DEP_1) | instskip(SKIP_1) | instid1(VALU_DEP_2)
	v_mov_b32_e32 v71, v53
	v_pk_mul_f32 v[52:53], v[68:69], v[50:51] op_sel:[0,1]
	v_pk_add_f32 v[212:213], v[212:213], v[70:71] neg_lo:[0,1] neg_hi:[0,1]
	s_delay_alu instid0(VALU_DEP_2) | instskip(SKIP_1) | instid1(VALU_DEP_1)
	v_pk_fma_f32 v[66:67], v[68:69], v[48:49], v[52:53] op_sel:[0,0,1] op_sel_hi:[1,1,0] neg_lo:[0,0,1] neg_hi:[0,0,1]
	v_pk_fma_f32 v[52:53], v[68:69], v[48:49], v[52:53] op_sel:[0,0,1] op_sel_hi:[1,0,0]
	v_mov_b32_e32 v67, v53
	s_delay_alu instid0(VALU_DEP_1) | instskip(SKIP_3) | instid1(VALU_DEP_1)
	v_pk_add_f32 v[208:209], v[208:209], v[66:67] neg_lo:[0,1] neg_hi:[0,1]
	ds_load_2addr_b64 v[66:69], v148 offset0:50 offset1:51
	s_wait_dscnt 0x0
	v_dual_mul_f32 v52, v67, v51 :: v_dual_mul_f32 v70, v67, v48
	v_pk_fma_f32 v[52:53], v[66:67], v[124:125], v[52:53] op_sel_hi:[1,1,0] neg_lo:[0,0,1] neg_hi:[0,0,1]
	s_delay_alu instid0(VALU_DEP_2) | instskip(NEXT) | instid1(VALU_DEP_1)
	v_pk_fma_f32 v[66:67], v[66:67], v[124:125], v[70:71] op_sel:[1,0,0] op_sel_hi:[0,1,0]
	v_mov_b32_e32 v53, v67
	s_delay_alu instid0(VALU_DEP_1) | instskip(SKIP_1) | instid1(VALU_DEP_1)
	v_pk_add_f32 v[210:211], v[210:211], v[52:53] neg_lo:[0,1] neg_hi:[0,1]
	v_pk_mul_f32 v[52:53], v[68:69], v[50:51] op_sel:[0,1]
	v_pk_fma_f32 v[66:67], v[68:69], v[48:49], v[52:53] op_sel:[0,0,1] op_sel_hi:[1,1,0] neg_lo:[0,0,1] neg_hi:[0,0,1]
	v_pk_fma_f32 v[52:53], v[68:69], v[48:49], v[52:53] op_sel:[0,0,1] op_sel_hi:[1,0,0]
	s_delay_alu instid0(VALU_DEP_1) | instskip(NEXT) | instid1(VALU_DEP_1)
	v_mov_b32_e32 v67, v53
	v_pk_add_f32 v[206:207], v[206:207], v[66:67] neg_lo:[0,1] neg_hi:[0,1]
	ds_load_2addr_b64 v[66:69], v148 offset0:52 offset1:53
	s_wait_dscnt 0x0
	v_pk_mul_f32 v[52:53], v[66:67], v[50:51] op_sel:[0,1]
	v_pk_mul_f32 v[50:51], v[68:69], v[50:51] op_sel:[0,1]
	s_delay_alu instid0(VALU_DEP_2) | instskip(SKIP_1) | instid1(VALU_DEP_1)
	v_pk_fma_f32 v[70:71], v[66:67], v[48:49], v[52:53] op_sel:[0,0,1] op_sel_hi:[1,1,0] neg_lo:[0,0,1] neg_hi:[0,0,1]
	v_pk_fma_f32 v[52:53], v[66:67], v[48:49], v[52:53] op_sel:[0,0,1] op_sel_hi:[1,0,0]
	v_mov_b32_e32 v71, v53
	s_delay_alu instid0(VALU_DEP_4) | instskip(SKIP_1) | instid1(VALU_DEP_3)
	v_pk_fma_f32 v[52:53], v[68:69], v[48:49], v[50:51] op_sel:[0,0,1] op_sel_hi:[1,1,0] neg_lo:[0,0,1] neg_hi:[0,0,1]
	v_pk_fma_f32 v[48:49], v[68:69], v[48:49], v[50:51] op_sel:[0,0,1] op_sel_hi:[1,0,0]
	v_pk_add_f32 v[214:215], v[214:215], v[70:71] neg_lo:[0,1] neg_hi:[0,1]
	s_delay_alu instid0(VALU_DEP_2) | instskip(NEXT) | instid1(VALU_DEP_1)
	v_mov_b32_e32 v53, v49
	v_pk_add_f32 v[216:217], v[216:217], v[52:53] neg_lo:[0,1] neg_hi:[0,1]
.LBB107_289:
	s_or_b32 exec_lo, exec_lo, s1
	s_delay_alu instid0(SALU_CYCLE_1)
	s_mov_b32 s2, exec_lo
	s_wait_dscnt 0x0
	s_barrier_signal -1
	s_barrier_wait -1
	v_cmpx_eq_u32_e32 32, v138
	s_cbranch_execz .LBB107_296
; %bb.290:
	ds_store_b64 v139, v[146:147]
	ds_store_2addr_b64 v148, v[142:143], v[144:145] offset0:33 offset1:34
	ds_store_2addr_b64 v148, v[140:141], v[162:163] offset0:35 offset1:36
	;; [unrolled: 1-line block ×10, first 2 shown]
	ds_store_b64 v148, v[216:217] offset:424
	ds_load_b64 v[48:49], v139
	s_wait_dscnt 0x0
	v_cmp_neq_f32_e32 vcc_lo, 0, v48
	v_cmp_neq_f32_e64 s1, 0, v49
	s_or_b32 s1, vcc_lo, s1
	s_delay_alu instid0(SALU_CYCLE_1)
	s_and_b32 exec_lo, exec_lo, s1
	s_cbranch_execz .LBB107_296
; %bb.291:
	v_cmp_ngt_f32_e64 s1, |v48|, |v49|
                                        ; implicit-def: $vgpr50_vgpr51
	s_and_saveexec_b32 s4, s1
	s_delay_alu instid0(SALU_CYCLE_1)
	s_xor_b32 s1, exec_lo, s4
	s_cbranch_execz .LBB107_293
; %bb.292:
	v_div_scale_f32 v50, null, v49, v49, v48
	v_div_scale_f32 v53, vcc_lo, v48, v49, v48
	s_delay_alu instid0(VALU_DEP_2) | instskip(SKIP_1) | instid1(TRANS32_DEP_1)
	v_rcp_f32_e32 v51, v50
	v_nop
	v_fma_f32 v52, -v50, v51, 1.0
	s_delay_alu instid0(VALU_DEP_1) | instskip(NEXT) | instid1(VALU_DEP_1)
	v_fmac_f32_e32 v51, v52, v51
	v_mul_f32_e32 v52, v53, v51
	s_delay_alu instid0(VALU_DEP_1) | instskip(NEXT) | instid1(VALU_DEP_1)
	v_fma_f32 v66, -v50, v52, v53
	v_fmac_f32_e32 v52, v66, v51
	s_delay_alu instid0(VALU_DEP_1) | instskip(NEXT) | instid1(VALU_DEP_1)
	v_fma_f32 v50, -v50, v52, v53
	v_div_fmas_f32 v50, v50, v51, v52
	s_delay_alu instid0(VALU_DEP_1) | instskip(NEXT) | instid1(VALU_DEP_1)
	v_div_fixup_f32 v50, v50, v49, v48
	v_fmac_f32_e32 v49, v48, v50
	s_delay_alu instid0(VALU_DEP_1) | instskip(SKIP_1) | instid1(VALU_DEP_2)
	v_div_scale_f32 v48, null, v49, v49, 1.0
	v_div_scale_f32 v53, vcc_lo, 1.0, v49, 1.0
	v_rcp_f32_e32 v51, v48
	v_nop
	s_delay_alu instid0(TRANS32_DEP_1) | instskip(NEXT) | instid1(VALU_DEP_1)
	v_fma_f32 v52, -v48, v51, 1.0
	v_fmac_f32_e32 v51, v52, v51
	s_delay_alu instid0(VALU_DEP_1) | instskip(NEXT) | instid1(VALU_DEP_1)
	v_mul_f32_e32 v52, v53, v51
	v_fma_f32 v66, -v48, v52, v53
	s_delay_alu instid0(VALU_DEP_1) | instskip(NEXT) | instid1(VALU_DEP_1)
	v_fmac_f32_e32 v52, v66, v51
	v_fma_f32 v48, -v48, v52, v53
	s_delay_alu instid0(VALU_DEP_1) | instskip(NEXT) | instid1(VALU_DEP_1)
	v_div_fmas_f32 v48, v48, v51, v52
	v_div_fixup_f32 v48, v48, v49, 1.0
	s_delay_alu instid0(VALU_DEP_1)
	v_mul_f32_e32 v50, v50, v48
	v_xor_b32_e32 v51, 0x80000000, v48
                                        ; implicit-def: $vgpr48_vgpr49
.LBB107_293:
	s_and_not1_saveexec_b32 s1, s1
	s_cbranch_execz .LBB107_295
; %bb.294:
	v_div_scale_f32 v50, null, v48, v48, v49
	v_div_scale_f32 v53, vcc_lo, v49, v48, v49
	s_delay_alu instid0(VALU_DEP_2) | instskip(SKIP_1) | instid1(TRANS32_DEP_1)
	v_rcp_f32_e32 v51, v50
	v_nop
	v_fma_f32 v52, -v50, v51, 1.0
	s_delay_alu instid0(VALU_DEP_1) | instskip(NEXT) | instid1(VALU_DEP_1)
	v_fmac_f32_e32 v51, v52, v51
	v_mul_f32_e32 v52, v53, v51
	s_delay_alu instid0(VALU_DEP_1) | instskip(NEXT) | instid1(VALU_DEP_1)
	v_fma_f32 v66, -v50, v52, v53
	v_fmac_f32_e32 v52, v66, v51
	s_delay_alu instid0(VALU_DEP_1) | instskip(NEXT) | instid1(VALU_DEP_1)
	v_fma_f32 v50, -v50, v52, v53
	v_div_fmas_f32 v50, v50, v51, v52
	s_delay_alu instid0(VALU_DEP_1) | instskip(NEXT) | instid1(VALU_DEP_1)
	v_div_fixup_f32 v51, v50, v48, v49
	v_fmac_f32_e32 v48, v49, v51
	s_delay_alu instid0(VALU_DEP_1) | instskip(NEXT) | instid1(VALU_DEP_1)
	v_div_scale_f32 v49, null, v48, v48, 1.0
	v_rcp_f32_e32 v50, v49
	v_nop
	s_delay_alu instid0(TRANS32_DEP_1) | instskip(NEXT) | instid1(VALU_DEP_1)
	v_fma_f32 v52, -v49, v50, 1.0
	v_fmac_f32_e32 v50, v52, v50
	v_div_scale_f32 v52, vcc_lo, 1.0, v48, 1.0
	s_delay_alu instid0(VALU_DEP_1) | instskip(NEXT) | instid1(VALU_DEP_1)
	v_mul_f32_e32 v53, v52, v50
	v_fma_f32 v66, -v49, v53, v52
	s_delay_alu instid0(VALU_DEP_1) | instskip(NEXT) | instid1(VALU_DEP_1)
	v_fmac_f32_e32 v53, v66, v50
	v_fma_f32 v49, -v49, v53, v52
	s_delay_alu instid0(VALU_DEP_1) | instskip(NEXT) | instid1(VALU_DEP_1)
	v_div_fmas_f32 v49, v49, v50, v53
	v_div_fixup_f32 v50, v49, v48, 1.0
	s_delay_alu instid0(VALU_DEP_1)
	v_mul_f32_e64 v51, v51, -v50
.LBB107_295:
	s_or_b32 exec_lo, exec_lo, s1
	ds_store_b64 v139, v[50:51]
.LBB107_296:
	s_or_b32 exec_lo, exec_lo, s2
	s_wait_dscnt 0x0
	s_barrier_signal -1
	s_barrier_wait -1
	ds_load_b64 v[48:49], v139
	s_mov_b32 s1, exec_lo
	v_cmpx_lt_u32_e32 32, v138
	s_cbranch_execz .LBB107_298
; %bb.297:
	ds_load_2addr_b64 v[66:69], v148 offset0:33 offset1:34
	s_wait_dscnt 0x1
	v_pk_mul_f32 v[52:53], v[48:49], v[146:147] op_sel:[1,1] op_sel_hi:[0,1]
	s_delay_alu instid0(VALU_DEP_1) | instskip(SKIP_1) | instid1(VALU_DEP_1)
	v_pk_fma_f32 v[50:51], v[48:49], v[146:147], v[52:53] op_sel_hi:[1,0,1] neg_lo:[0,0,1] neg_hi:[0,0,1]
	v_pk_fma_f32 v[52:53], v[48:49], v[146:147], v[52:53] op_sel_hi:[1,0,1]
	v_dual_mov_b32 v146, v50 :: v_dual_mov_b32 v147, v53
	s_wait_dscnt 0x0
	s_delay_alu instid0(VALU_DEP_2) | instskip(NEXT) | instid1(VALU_DEP_1)
	v_pk_mul_f32 v[70:71], v[66:67], v[52:53] op_sel:[0,1]
	v_pk_fma_f32 v[72:73], v[66:67], v[50:51], v[70:71] op_sel:[0,0,1] op_sel_hi:[1,1,0] neg_lo:[0,0,1] neg_hi:[0,0,1]
	v_pk_fma_f32 v[66:67], v[66:67], v[50:51], v[70:71] op_sel:[0,0,1] op_sel_hi:[1,0,0]
	s_delay_alu instid0(VALU_DEP_1) | instskip(SKIP_1) | instid1(VALU_DEP_1)
	v_mov_b32_e32 v73, v67
	v_pk_mul_f32 v[66:67], v[68:69], v[52:53] op_sel:[0,1]
	v_pk_fma_f32 v[70:71], v[68:69], v[50:51], v[66:67] op_sel:[0,0,1] op_sel_hi:[1,1,0] neg_lo:[0,0,1] neg_hi:[0,0,1]
	v_pk_fma_f32 v[66:67], v[68:69], v[50:51], v[66:67] op_sel:[0,0,1] op_sel_hi:[1,0,0]
	s_delay_alu instid0(VALU_DEP_1)
	v_mov_b32_e32 v71, v67
	ds_load_2addr_b64 v[66:69], v148 offset0:35 offset1:36
	v_pk_add_f32 v[142:143], v[142:143], v[72:73] neg_lo:[0,1] neg_hi:[0,1]
	v_pk_add_f32 v[144:145], v[144:145], v[70:71] neg_lo:[0,1] neg_hi:[0,1]
	s_wait_dscnt 0x0
	v_pk_mul_f32 v[70:71], v[66:67], v[52:53] op_sel:[0,1]
	s_delay_alu instid0(VALU_DEP_1) | instskip(SKIP_2) | instid1(VALU_DEP_2)
	v_pk_fma_f32 v[72:73], v[66:67], v[50:51], v[70:71] op_sel:[0,0,1] op_sel_hi:[1,1,0] neg_lo:[0,0,1] neg_hi:[0,0,1]
	v_pk_fma_f32 v[66:67], v[66:67], v[50:51], v[70:71] op_sel:[0,0,1] op_sel_hi:[1,0,0]
	v_dual_mul_f32 v70, v69, v53 :: v_dual_mov_b32 v66, v69
	v_dual_mov_b32 v73, v67 :: v_dual_mov_b32 v67, v68
	s_delay_alu instid0(VALU_DEP_2) | instskip(SKIP_1) | instid1(VALU_DEP_3)
	v_pk_fma_f32 v[70:71], v[68:69], v[146:147], v[70:71] op_sel_hi:[1,1,0] neg_lo:[0,0,1] neg_hi:[0,0,1]
	v_mul_f32_e32 v68, v69, v50
	v_pk_add_f32 v[140:141], v[140:141], v[72:73] neg_lo:[0,1] neg_hi:[0,1]
	s_delay_alu instid0(VALU_DEP_2) | instskip(NEXT) | instid1(VALU_DEP_1)
	v_pk_fma_f32 v[66:67], v[66:67], v[146:147], v[68:69] op_sel_hi:[1,1,0]
	v_mov_b32_e32 v71, v67
	ds_load_2addr_b64 v[66:69], v148 offset0:37 offset1:38
	v_pk_add_f32 v[162:163], v[162:163], v[70:71] neg_lo:[0,1] neg_hi:[0,1]
	s_wait_dscnt 0x0
	v_pk_mul_f32 v[70:71], v[66:67], v[52:53] op_sel:[0,1]
	s_delay_alu instid0(VALU_DEP_1) | instskip(SKIP_1) | instid1(VALU_DEP_1)
	v_pk_fma_f32 v[72:73], v[66:67], v[50:51], v[70:71] op_sel:[0,0,1] op_sel_hi:[1,1,0] neg_lo:[0,0,1] neg_hi:[0,0,1]
	v_pk_fma_f32 v[66:67], v[66:67], v[50:51], v[70:71] op_sel:[0,0,1] op_sel_hi:[1,0,0]
	v_mov_b32_e32 v73, v67
	v_pk_mul_f32 v[66:67], v[68:69], v[52:53] op_sel:[0,1]
	s_delay_alu instid0(VALU_DEP_1) | instskip(SKIP_1) | instid1(VALU_DEP_1)
	v_pk_fma_f32 v[70:71], v[68:69], v[50:51], v[66:67] op_sel:[0,0,1] op_sel_hi:[1,1,0] neg_lo:[0,0,1] neg_hi:[0,0,1]
	v_pk_fma_f32 v[66:67], v[68:69], v[50:51], v[66:67] op_sel:[0,0,1] op_sel_hi:[1,0,0]
	v_mov_b32_e32 v71, v67
	ds_load_2addr_b64 v[66:69], v148 offset0:39 offset1:40
	v_pk_add_f32 v[158:159], v[158:159], v[72:73] neg_lo:[0,1] neg_hi:[0,1]
	v_pk_add_f32 v[160:161], v[160:161], v[70:71] neg_lo:[0,1] neg_hi:[0,1]
	s_wait_dscnt 0x0
	v_pk_mul_f32 v[70:71], v[66:67], v[52:53] op_sel:[0,1]
	s_delay_alu instid0(VALU_DEP_1) | instskip(SKIP_1) | instid1(VALU_DEP_1)
	v_pk_fma_f32 v[72:73], v[66:67], v[50:51], v[70:71] op_sel:[0,0,1] op_sel_hi:[1,1,0] neg_lo:[0,0,1] neg_hi:[0,0,1]
	v_pk_fma_f32 v[66:67], v[66:67], v[50:51], v[70:71] op_sel:[0,0,1] op_sel_hi:[1,0,0]
	v_mov_b32_e32 v73, v67
	v_pk_mul_f32 v[66:67], v[68:69], v[52:53] op_sel:[0,1]
	s_delay_alu instid0(VALU_DEP_1) | instskip(SKIP_1) | instid1(VALU_DEP_1)
	v_pk_fma_f32 v[70:71], v[68:69], v[50:51], v[66:67] op_sel:[0,0,1] op_sel_hi:[1,1,0] neg_lo:[0,0,1] neg_hi:[0,0,1]
	v_pk_fma_f32 v[66:67], v[68:69], v[50:51], v[66:67] op_sel:[0,0,1] op_sel_hi:[1,0,0]
	v_mov_b32_e32 v71, v67
	ds_load_2addr_b64 v[66:69], v148 offset0:41 offset1:42
	v_pk_add_f32 v[156:157], v[156:157], v[72:73] neg_lo:[0,1] neg_hi:[0,1]
	v_pk_add_f32 v[178:179], v[178:179], v[70:71] neg_lo:[0,1] neg_hi:[0,1]
	s_wait_dscnt 0x0
	v_dual_mul_f32 v70, v67, v53 :: v_dual_mul_f32 v72, v67, v50
	s_delay_alu instid0(VALU_DEP_1) | instskip(NEXT) | instid1(VALU_DEP_2)
	v_pk_fma_f32 v[70:71], v[66:67], v[146:147], v[70:71] op_sel_hi:[1,1,0] neg_lo:[0,0,1] neg_hi:[0,0,1]
	v_pk_fma_f32 v[66:67], v[66:67], v[146:147], v[72:73] op_sel:[1,0,0] op_sel_hi:[0,1,0]
	s_delay_alu instid0(VALU_DEP_1) | instskip(SKIP_1) | instid1(VALU_DEP_2)
	v_mov_b32_e32 v71, v67
	v_pk_mul_f32 v[66:67], v[68:69], v[52:53] op_sel:[0,1]
	v_pk_add_f32 v[174:175], v[174:175], v[70:71] neg_lo:[0,1] neg_hi:[0,1]
	s_delay_alu instid0(VALU_DEP_2) | instskip(SKIP_1) | instid1(VALU_DEP_1)
	v_pk_fma_f32 v[70:71], v[68:69], v[50:51], v[66:67] op_sel:[0,0,1] op_sel_hi:[1,1,0] neg_lo:[0,0,1] neg_hi:[0,0,1]
	v_pk_fma_f32 v[66:67], v[68:69], v[50:51], v[66:67] op_sel:[0,0,1] op_sel_hi:[1,0,0]
	v_mov_b32_e32 v71, v67
	ds_load_2addr_b64 v[66:69], v148 offset0:43 offset1:44
	v_pk_add_f32 v[176:177], v[176:177], v[70:71] neg_lo:[0,1] neg_hi:[0,1]
	s_wait_dscnt 0x0
	v_pk_mul_f32 v[70:71], v[66:67], v[52:53] op_sel:[0,1]
	s_delay_alu instid0(VALU_DEP_1) | instskip(SKIP_1) | instid1(VALU_DEP_1)
	v_pk_fma_f32 v[72:73], v[66:67], v[50:51], v[70:71] op_sel:[0,0,1] op_sel_hi:[1,1,0] neg_lo:[0,0,1] neg_hi:[0,0,1]
	v_pk_fma_f32 v[66:67], v[66:67], v[50:51], v[70:71] op_sel:[0,0,1] op_sel_hi:[1,0,0]
	v_mov_b32_e32 v73, v67
	v_pk_mul_f32 v[66:67], v[68:69], v[52:53] op_sel:[0,1]
	s_delay_alu instid0(VALU_DEP_2) | instskip(NEXT) | instid1(VALU_DEP_2)
	v_pk_add_f32 v[172:173], v[172:173], v[72:73] neg_lo:[0,1] neg_hi:[0,1]
	v_pk_fma_f32 v[70:71], v[68:69], v[50:51], v[66:67] op_sel:[0,0,1] op_sel_hi:[1,1,0] neg_lo:[0,0,1] neg_hi:[0,0,1]
	v_pk_fma_f32 v[66:67], v[68:69], v[50:51], v[66:67] op_sel:[0,0,1] op_sel_hi:[1,0,0]
	s_delay_alu instid0(VALU_DEP_1) | instskip(SKIP_4) | instid1(VALU_DEP_1)
	v_mov_b32_e32 v71, v67
	ds_load_2addr_b64 v[66:69], v148 offset0:45 offset1:46
	v_pk_add_f32 v[196:197], v[196:197], v[70:71] neg_lo:[0,1] neg_hi:[0,1]
	s_wait_dscnt 0x0
	v_pk_mul_f32 v[70:71], v[66:67], v[52:53] op_sel:[0,1]
	v_pk_fma_f32 v[72:73], v[66:67], v[50:51], v[70:71] op_sel:[0,0,1] op_sel_hi:[1,1,0] neg_lo:[0,0,1] neg_hi:[0,0,1]
	v_pk_fma_f32 v[66:67], v[66:67], v[50:51], v[70:71] op_sel:[0,0,1] op_sel_hi:[1,0,0]
	v_dual_mul_f32 v70, v69, v53 :: v_dual_mov_b32 v66, v69
	s_delay_alu instid0(VALU_DEP_2) | instskip(NEXT) | instid1(VALU_DEP_2)
	v_dual_mov_b32 v73, v67 :: v_dual_mov_b32 v67, v68
	v_pk_fma_f32 v[70:71], v[68:69], v[146:147], v[70:71] op_sel_hi:[1,1,0] neg_lo:[0,0,1] neg_hi:[0,0,1]
	v_mul_f32_e32 v68, v69, v50
	s_delay_alu instid0(VALU_DEP_3) | instskip(NEXT) | instid1(VALU_DEP_2)
	v_pk_add_f32 v[192:193], v[192:193], v[72:73] neg_lo:[0,1] neg_hi:[0,1]
	v_pk_fma_f32 v[66:67], v[66:67], v[146:147], v[68:69] op_sel_hi:[1,1,0]
	s_delay_alu instid0(VALU_DEP_1) | instskip(SKIP_4) | instid1(VALU_DEP_1)
	v_mov_b32_e32 v71, v67
	ds_load_2addr_b64 v[66:69], v148 offset0:47 offset1:48
	v_pk_add_f32 v[194:195], v[194:195], v[70:71] neg_lo:[0,1] neg_hi:[0,1]
	s_wait_dscnt 0x0
	v_pk_mul_f32 v[70:71], v[66:67], v[52:53] op_sel:[0,1]
	v_pk_fma_f32 v[72:73], v[66:67], v[50:51], v[70:71] op_sel:[0,0,1] op_sel_hi:[1,1,0] neg_lo:[0,0,1] neg_hi:[0,0,1]
	v_pk_fma_f32 v[66:67], v[66:67], v[50:51], v[70:71] op_sel:[0,0,1] op_sel_hi:[1,0,0]
	s_delay_alu instid0(VALU_DEP_1) | instskip(SKIP_1) | instid1(VALU_DEP_1)
	v_mov_b32_e32 v73, v67
	v_pk_mul_f32 v[66:67], v[68:69], v[52:53] op_sel:[0,1]
	v_pk_fma_f32 v[70:71], v[68:69], v[50:51], v[66:67] op_sel:[0,0,1] op_sel_hi:[1,1,0] neg_lo:[0,0,1] neg_hi:[0,0,1]
	v_pk_fma_f32 v[66:67], v[68:69], v[50:51], v[66:67] op_sel:[0,0,1] op_sel_hi:[1,0,0]
	s_delay_alu instid0(VALU_DEP_1)
	v_mov_b32_e32 v71, v67
	ds_load_2addr_b64 v[66:69], v148 offset0:49 offset1:50
	v_pk_add_f32 v[190:191], v[190:191], v[72:73] neg_lo:[0,1] neg_hi:[0,1]
	v_pk_add_f32 v[212:213], v[212:213], v[70:71] neg_lo:[0,1] neg_hi:[0,1]
	s_wait_dscnt 0x0
	v_pk_mul_f32 v[70:71], v[66:67], v[52:53] op_sel:[0,1]
	s_delay_alu instid0(VALU_DEP_1) | instskip(SKIP_1) | instid1(VALU_DEP_1)
	v_pk_fma_f32 v[72:73], v[66:67], v[50:51], v[70:71] op_sel:[0,0,1] op_sel_hi:[1,1,0] neg_lo:[0,0,1] neg_hi:[0,0,1]
	v_pk_fma_f32 v[66:67], v[66:67], v[50:51], v[70:71] op_sel:[0,0,1] op_sel_hi:[1,0,0]
	v_mov_b32_e32 v73, v67
	v_pk_mul_f32 v[66:67], v[68:69], v[52:53] op_sel:[0,1]
	s_delay_alu instid0(VALU_DEP_1) | instskip(SKIP_1) | instid1(VALU_DEP_1)
	v_pk_fma_f32 v[70:71], v[68:69], v[50:51], v[66:67] op_sel:[0,0,1] op_sel_hi:[1,1,0] neg_lo:[0,0,1] neg_hi:[0,0,1]
	v_pk_fma_f32 v[66:67], v[68:69], v[50:51], v[66:67] op_sel:[0,0,1] op_sel_hi:[1,0,0]
	v_mov_b32_e32 v71, v67
	ds_load_2addr_b64 v[66:69], v148 offset0:51 offset1:52
	v_pk_add_f32 v[208:209], v[208:209], v[72:73] neg_lo:[0,1] neg_hi:[0,1]
	v_pk_add_f32 v[210:211], v[210:211], v[70:71] neg_lo:[0,1] neg_hi:[0,1]
	s_wait_dscnt 0x0
	v_dual_mul_f32 v70, v67, v53 :: v_dual_mul_f32 v72, v67, v50
	s_delay_alu instid0(VALU_DEP_1) | instskip(NEXT) | instid1(VALU_DEP_2)
	v_pk_fma_f32 v[70:71], v[66:67], v[146:147], v[70:71] op_sel_hi:[1,1,0] neg_lo:[0,0,1] neg_hi:[0,0,1]
	v_pk_fma_f32 v[66:67], v[66:67], v[146:147], v[72:73] op_sel:[1,0,0] op_sel_hi:[0,1,0]
	s_delay_alu instid0(VALU_DEP_1) | instskip(SKIP_1) | instid1(VALU_DEP_2)
	v_mov_b32_e32 v71, v67
	v_pk_mul_f32 v[66:67], v[68:69], v[52:53] op_sel:[0,1]
	v_pk_add_f32 v[206:207], v[206:207], v[70:71] neg_lo:[0,1] neg_hi:[0,1]
	s_delay_alu instid0(VALU_DEP_2) | instskip(SKIP_1) | instid1(VALU_DEP_1)
	v_pk_fma_f32 v[70:71], v[68:69], v[50:51], v[66:67] op_sel:[0,0,1] op_sel_hi:[1,1,0] neg_lo:[0,0,1] neg_hi:[0,0,1]
	v_pk_fma_f32 v[66:67], v[68:69], v[50:51], v[66:67] op_sel:[0,0,1] op_sel_hi:[1,0,0]
	v_mov_b32_e32 v71, v67
	ds_load_b64 v[66:67], v148 offset:424
	v_pk_add_f32 v[214:215], v[214:215], v[70:71] neg_lo:[0,1] neg_hi:[0,1]
	s_wait_dscnt 0x0
	v_pk_mul_f32 v[52:53], v[66:67], v[52:53] op_sel:[0,1]
	s_delay_alu instid0(VALU_DEP_1) | instskip(SKIP_1) | instid1(VALU_DEP_1)
	v_pk_fma_f32 v[68:69], v[66:67], v[50:51], v[52:53] op_sel:[0,0,1] op_sel_hi:[1,1,0] neg_lo:[0,0,1] neg_hi:[0,0,1]
	v_pk_fma_f32 v[50:51], v[66:67], v[50:51], v[52:53] op_sel:[0,0,1] op_sel_hi:[1,0,0]
	v_mov_b32_e32 v69, v51
	s_delay_alu instid0(VALU_DEP_1)
	v_pk_add_f32 v[216:217], v[216:217], v[68:69] neg_lo:[0,1] neg_hi:[0,1]
.LBB107_298:
	s_or_b32 exec_lo, exec_lo, s1
	s_delay_alu instid0(SALU_CYCLE_1)
	s_mov_b32 s2, exec_lo
	s_wait_dscnt 0x0
	s_barrier_signal -1
	s_barrier_wait -1
	v_cmpx_eq_u32_e32 33, v138
	s_cbranch_execz .LBB107_305
; %bb.299:
	v_dual_mov_b32 v50, v144 :: v_dual_mov_b32 v51, v145
	v_dual_mov_b32 v52, v140 :: v_dual_mov_b32 v53, v141
	ds_store_b64 v139, v[142:143]
	ds_store_2addr_b64 v148, v[50:51], v[52:53] offset0:34 offset1:35
	v_dual_mov_b32 v50, v162 :: v_dual_mov_b32 v51, v163
	v_dual_mov_b32 v52, v158 :: v_dual_mov_b32 v53, v159
	ds_store_2addr_b64 v148, v[50:51], v[52:53] offset0:36 offset1:37
	v_dual_mov_b32 v50, v160 :: v_dual_mov_b32 v51, v161
	v_dual_mov_b32 v52, v156 :: v_dual_mov_b32 v53, v157
	ds_store_2addr_b64 v148, v[50:51], v[52:53] offset0:38 offset1:39
	v_dual_mov_b32 v50, v178 :: v_dual_mov_b32 v51, v179
	v_dual_mov_b32 v52, v174 :: v_dual_mov_b32 v53, v175
	ds_store_2addr_b64 v148, v[50:51], v[52:53] offset0:40 offset1:41
	v_dual_mov_b32 v50, v176 :: v_dual_mov_b32 v51, v177
	v_dual_mov_b32 v52, v172 :: v_dual_mov_b32 v53, v173
	ds_store_2addr_b64 v148, v[50:51], v[52:53] offset0:42 offset1:43
	v_dual_mov_b32 v50, v196 :: v_dual_mov_b32 v51, v197
	v_dual_mov_b32 v52, v192 :: v_dual_mov_b32 v53, v193
	ds_store_2addr_b64 v148, v[50:51], v[52:53] offset0:44 offset1:45
	v_dual_mov_b32 v50, v194 :: v_dual_mov_b32 v51, v195
	v_dual_mov_b32 v52, v190 :: v_dual_mov_b32 v53, v191
	ds_store_2addr_b64 v148, v[50:51], v[52:53] offset0:46 offset1:47
	v_dual_mov_b32 v50, v212 :: v_dual_mov_b32 v51, v213
	v_dual_mov_b32 v52, v208 :: v_dual_mov_b32 v53, v209
	ds_store_2addr_b64 v148, v[50:51], v[52:53] offset0:48 offset1:49
	v_dual_mov_b32 v50, v210 :: v_dual_mov_b32 v51, v211
	v_dual_mov_b32 v52, v206 :: v_dual_mov_b32 v53, v207
	ds_store_2addr_b64 v148, v[50:51], v[52:53] offset0:50 offset1:51
	v_dual_mov_b32 v50, v214 :: v_dual_mov_b32 v51, v215
	ds_store_2addr_b64 v148, v[50:51], v[216:217] offset0:52 offset1:53
	ds_load_b64 v[50:51], v139
	s_wait_dscnt 0x0
	v_cmp_neq_f32_e32 vcc_lo, 0, v50
	v_cmp_neq_f32_e64 s1, 0, v51
	s_or_b32 s1, vcc_lo, s1
	s_delay_alu instid0(SALU_CYCLE_1)
	s_and_b32 exec_lo, exec_lo, s1
	s_cbranch_execz .LBB107_305
; %bb.300:
	v_cmp_ngt_f32_e64 s1, |v50|, |v51|
                                        ; implicit-def: $vgpr52_vgpr53
	s_and_saveexec_b32 s4, s1
	s_delay_alu instid0(SALU_CYCLE_1)
	s_xor_b32 s1, exec_lo, s4
	s_cbranch_execz .LBB107_302
; %bb.301:
	v_div_scale_f32 v52, null, v51, v51, v50
	v_div_scale_f32 v67, vcc_lo, v50, v51, v50
	s_delay_alu instid0(VALU_DEP_2) | instskip(SKIP_1) | instid1(TRANS32_DEP_1)
	v_rcp_f32_e32 v53, v52
	v_nop
	v_fma_f32 v66, -v52, v53, 1.0
	s_delay_alu instid0(VALU_DEP_1) | instskip(NEXT) | instid1(VALU_DEP_1)
	v_fmac_f32_e32 v53, v66, v53
	v_mul_f32_e32 v66, v67, v53
	s_delay_alu instid0(VALU_DEP_1) | instskip(NEXT) | instid1(VALU_DEP_1)
	v_fma_f32 v68, -v52, v66, v67
	v_fmac_f32_e32 v66, v68, v53
	s_delay_alu instid0(VALU_DEP_1) | instskip(NEXT) | instid1(VALU_DEP_1)
	v_fma_f32 v52, -v52, v66, v67
	v_div_fmas_f32 v52, v52, v53, v66
	s_delay_alu instid0(VALU_DEP_1) | instskip(NEXT) | instid1(VALU_DEP_1)
	v_div_fixup_f32 v52, v52, v51, v50
	v_fmac_f32_e32 v51, v50, v52
	s_delay_alu instid0(VALU_DEP_1) | instskip(SKIP_1) | instid1(VALU_DEP_2)
	v_div_scale_f32 v50, null, v51, v51, 1.0
	v_div_scale_f32 v67, vcc_lo, 1.0, v51, 1.0
	v_rcp_f32_e32 v53, v50
	v_nop
	s_delay_alu instid0(TRANS32_DEP_1) | instskip(NEXT) | instid1(VALU_DEP_1)
	v_fma_f32 v66, -v50, v53, 1.0
	v_fmac_f32_e32 v53, v66, v53
	s_delay_alu instid0(VALU_DEP_1) | instskip(NEXT) | instid1(VALU_DEP_1)
	v_mul_f32_e32 v66, v67, v53
	v_fma_f32 v68, -v50, v66, v67
	s_delay_alu instid0(VALU_DEP_1) | instskip(NEXT) | instid1(VALU_DEP_1)
	v_fmac_f32_e32 v66, v68, v53
	v_fma_f32 v50, -v50, v66, v67
	s_delay_alu instid0(VALU_DEP_1) | instskip(NEXT) | instid1(VALU_DEP_1)
	v_div_fmas_f32 v50, v50, v53, v66
	v_div_fixup_f32 v50, v50, v51, 1.0
	s_delay_alu instid0(VALU_DEP_1)
	v_mul_f32_e32 v52, v52, v50
	v_xor_b32_e32 v53, 0x80000000, v50
                                        ; implicit-def: $vgpr50_vgpr51
.LBB107_302:
	s_and_not1_saveexec_b32 s1, s1
	s_cbranch_execz .LBB107_304
; %bb.303:
	v_div_scale_f32 v52, null, v50, v50, v51
	v_div_scale_f32 v67, vcc_lo, v51, v50, v51
	s_delay_alu instid0(VALU_DEP_2) | instskip(SKIP_1) | instid1(TRANS32_DEP_1)
	v_rcp_f32_e32 v53, v52
	v_nop
	v_fma_f32 v66, -v52, v53, 1.0
	s_delay_alu instid0(VALU_DEP_1) | instskip(NEXT) | instid1(VALU_DEP_1)
	v_fmac_f32_e32 v53, v66, v53
	v_mul_f32_e32 v66, v67, v53
	s_delay_alu instid0(VALU_DEP_1) | instskip(NEXT) | instid1(VALU_DEP_1)
	v_fma_f32 v68, -v52, v66, v67
	v_fmac_f32_e32 v66, v68, v53
	s_delay_alu instid0(VALU_DEP_1) | instskip(NEXT) | instid1(VALU_DEP_1)
	v_fma_f32 v52, -v52, v66, v67
	v_div_fmas_f32 v52, v52, v53, v66
	s_delay_alu instid0(VALU_DEP_1) | instskip(NEXT) | instid1(VALU_DEP_1)
	v_div_fixup_f32 v53, v52, v50, v51
	v_fmac_f32_e32 v50, v51, v53
	s_delay_alu instid0(VALU_DEP_1) | instskip(NEXT) | instid1(VALU_DEP_1)
	v_div_scale_f32 v51, null, v50, v50, 1.0
	v_rcp_f32_e32 v52, v51
	v_nop
	s_delay_alu instid0(TRANS32_DEP_1) | instskip(NEXT) | instid1(VALU_DEP_1)
	v_fma_f32 v66, -v51, v52, 1.0
	v_fmac_f32_e32 v52, v66, v52
	v_div_scale_f32 v66, vcc_lo, 1.0, v50, 1.0
	s_delay_alu instid0(VALU_DEP_1) | instskip(NEXT) | instid1(VALU_DEP_1)
	v_mul_f32_e32 v67, v66, v52
	v_fma_f32 v68, -v51, v67, v66
	s_delay_alu instid0(VALU_DEP_1) | instskip(NEXT) | instid1(VALU_DEP_1)
	v_fmac_f32_e32 v67, v68, v52
	v_fma_f32 v51, -v51, v67, v66
	s_delay_alu instid0(VALU_DEP_1) | instskip(NEXT) | instid1(VALU_DEP_1)
	v_div_fmas_f32 v51, v51, v52, v67
	v_div_fixup_f32 v52, v51, v50, 1.0
	s_delay_alu instid0(VALU_DEP_1)
	v_mul_f32_e64 v53, v53, -v52
.LBB107_304:
	s_or_b32 exec_lo, exec_lo, s1
	ds_store_b64 v139, v[52:53]
.LBB107_305:
	s_or_b32 exec_lo, exec_lo, s2
	s_wait_dscnt 0x0
	s_barrier_signal -1
	s_barrier_wait -1
	ds_load_b64 v[50:51], v139
	s_mov_b32 s1, exec_lo
	v_cmpx_lt_u32_e32 33, v138
	s_cbranch_execz .LBB107_307
; %bb.306:
	ds_load_2addr_b64 v[68:71], v148 offset0:34 offset1:35
	s_wait_dscnt 0x1
	v_pk_mul_f32 v[66:67], v[50:51], v[142:143] op_sel:[1,1] op_sel_hi:[0,1]
	s_delay_alu instid0(VALU_DEP_1) | instskip(SKIP_1) | instid1(VALU_DEP_1)
	v_pk_fma_f32 v[52:53], v[50:51], v[142:143], v[66:67] op_sel_hi:[1,0,1] neg_lo:[0,0,1] neg_hi:[0,0,1]
	v_pk_fma_f32 v[66:67], v[50:51], v[142:143], v[66:67] op_sel_hi:[1,0,1]
	v_dual_mov_b32 v142, v52 :: v_dual_mov_b32 v143, v67
	s_wait_dscnt 0x0
	s_delay_alu instid0(VALU_DEP_2) | instskip(NEXT) | instid1(VALU_DEP_1)
	v_pk_mul_f32 v[72:73], v[68:69], v[66:67] op_sel:[0,1]
	v_pk_fma_f32 v[82:83], v[68:69], v[52:53], v[72:73] op_sel:[0,0,1] op_sel_hi:[1,1,0] neg_lo:[0,0,1] neg_hi:[0,0,1]
	v_pk_fma_f32 v[68:69], v[68:69], v[52:53], v[72:73] op_sel:[0,0,1] op_sel_hi:[1,0,0]
	s_delay_alu instid0(VALU_DEP_1) | instskip(SKIP_1) | instid1(VALU_DEP_1)
	v_mov_b32_e32 v83, v69
	v_pk_mul_f32 v[68:69], v[70:71], v[66:67] op_sel:[0,1]
	v_pk_fma_f32 v[72:73], v[70:71], v[52:53], v[68:69] op_sel:[0,0,1] op_sel_hi:[1,1,0] neg_lo:[0,0,1] neg_hi:[0,0,1]
	v_pk_fma_f32 v[68:69], v[70:71], v[52:53], v[68:69] op_sel:[0,0,1] op_sel_hi:[1,0,0]
	s_delay_alu instid0(VALU_DEP_1)
	v_mov_b32_e32 v73, v69
	ds_load_2addr_b64 v[68:71], v148 offset0:36 offset1:37
	v_pk_add_f32 v[144:145], v[144:145], v[82:83] neg_lo:[0,1] neg_hi:[0,1]
	v_pk_add_f32 v[140:141], v[140:141], v[72:73] neg_lo:[0,1] neg_hi:[0,1]
	s_wait_dscnt 0x0
	v_pk_mul_f32 v[72:73], v[68:69], v[66:67] op_sel:[0,1]
	s_delay_alu instid0(VALU_DEP_1) | instskip(SKIP_2) | instid1(VALU_DEP_2)
	v_pk_fma_f32 v[82:83], v[68:69], v[52:53], v[72:73] op_sel:[0,0,1] op_sel_hi:[1,1,0] neg_lo:[0,0,1] neg_hi:[0,0,1]
	v_pk_fma_f32 v[68:69], v[68:69], v[52:53], v[72:73] op_sel:[0,0,1] op_sel_hi:[1,0,0]
	v_dual_mul_f32 v72, v71, v67 :: v_dual_mov_b32 v68, v71
	v_dual_mov_b32 v83, v69 :: v_dual_mov_b32 v69, v70
	s_delay_alu instid0(VALU_DEP_2) | instskip(SKIP_1) | instid1(VALU_DEP_3)
	v_pk_fma_f32 v[72:73], v[70:71], v[142:143], v[72:73] op_sel_hi:[1,1,0] neg_lo:[0,0,1] neg_hi:[0,0,1]
	v_mul_f32_e32 v70, v71, v52
	v_pk_add_f32 v[162:163], v[162:163], v[82:83] neg_lo:[0,1] neg_hi:[0,1]
	s_delay_alu instid0(VALU_DEP_2) | instskip(NEXT) | instid1(VALU_DEP_1)
	v_pk_fma_f32 v[68:69], v[68:69], v[142:143], v[70:71] op_sel_hi:[1,1,0]
	v_mov_b32_e32 v73, v69
	ds_load_2addr_b64 v[68:71], v148 offset0:38 offset1:39
	v_pk_add_f32 v[158:159], v[158:159], v[72:73] neg_lo:[0,1] neg_hi:[0,1]
	s_wait_dscnt 0x0
	v_pk_mul_f32 v[72:73], v[68:69], v[66:67] op_sel:[0,1]
	s_delay_alu instid0(VALU_DEP_1) | instskip(SKIP_1) | instid1(VALU_DEP_1)
	v_pk_fma_f32 v[82:83], v[68:69], v[52:53], v[72:73] op_sel:[0,0,1] op_sel_hi:[1,1,0] neg_lo:[0,0,1] neg_hi:[0,0,1]
	v_pk_fma_f32 v[68:69], v[68:69], v[52:53], v[72:73] op_sel:[0,0,1] op_sel_hi:[1,0,0]
	v_mov_b32_e32 v83, v69
	v_pk_mul_f32 v[68:69], v[70:71], v[66:67] op_sel:[0,1]
	s_delay_alu instid0(VALU_DEP_1) | instskip(SKIP_1) | instid1(VALU_DEP_1)
	v_pk_fma_f32 v[72:73], v[70:71], v[52:53], v[68:69] op_sel:[0,0,1] op_sel_hi:[1,1,0] neg_lo:[0,0,1] neg_hi:[0,0,1]
	v_pk_fma_f32 v[68:69], v[70:71], v[52:53], v[68:69] op_sel:[0,0,1] op_sel_hi:[1,0,0]
	v_mov_b32_e32 v73, v69
	ds_load_2addr_b64 v[68:71], v148 offset0:40 offset1:41
	v_pk_add_f32 v[160:161], v[160:161], v[82:83] neg_lo:[0,1] neg_hi:[0,1]
	v_pk_add_f32 v[156:157], v[156:157], v[72:73] neg_lo:[0,1] neg_hi:[0,1]
	s_wait_dscnt 0x0
	v_pk_mul_f32 v[72:73], v[68:69], v[66:67] op_sel:[0,1]
	s_delay_alu instid0(VALU_DEP_1) | instskip(SKIP_1) | instid1(VALU_DEP_1)
	v_pk_fma_f32 v[82:83], v[68:69], v[52:53], v[72:73] op_sel:[0,0,1] op_sel_hi:[1,1,0] neg_lo:[0,0,1] neg_hi:[0,0,1]
	v_pk_fma_f32 v[68:69], v[68:69], v[52:53], v[72:73] op_sel:[0,0,1] op_sel_hi:[1,0,0]
	v_mov_b32_e32 v83, v69
	v_pk_mul_f32 v[68:69], v[70:71], v[66:67] op_sel:[0,1]
	s_delay_alu instid0(VALU_DEP_1) | instskip(SKIP_1) | instid1(VALU_DEP_1)
	v_pk_fma_f32 v[72:73], v[70:71], v[52:53], v[68:69] op_sel:[0,0,1] op_sel_hi:[1,1,0] neg_lo:[0,0,1] neg_hi:[0,0,1]
	v_pk_fma_f32 v[68:69], v[70:71], v[52:53], v[68:69] op_sel:[0,0,1] op_sel_hi:[1,0,0]
	v_mov_b32_e32 v73, v69
	ds_load_2addr_b64 v[68:71], v148 offset0:42 offset1:43
	v_pk_add_f32 v[178:179], v[178:179], v[82:83] neg_lo:[0,1] neg_hi:[0,1]
	v_pk_add_f32 v[174:175], v[174:175], v[72:73] neg_lo:[0,1] neg_hi:[0,1]
	s_wait_dscnt 0x0
	v_dual_mul_f32 v72, v69, v67 :: v_dual_mul_f32 v82, v69, v52
	s_delay_alu instid0(VALU_DEP_1) | instskip(NEXT) | instid1(VALU_DEP_2)
	v_pk_fma_f32 v[72:73], v[68:69], v[142:143], v[72:73] op_sel_hi:[1,1,0] neg_lo:[0,0,1] neg_hi:[0,0,1]
	v_pk_fma_f32 v[68:69], v[68:69], v[142:143], v[82:83] op_sel:[1,0,0] op_sel_hi:[0,1,0]
	s_delay_alu instid0(VALU_DEP_1) | instskip(SKIP_1) | instid1(VALU_DEP_2)
	v_mov_b32_e32 v73, v69
	v_pk_mul_f32 v[68:69], v[70:71], v[66:67] op_sel:[0,1]
	v_pk_add_f32 v[176:177], v[176:177], v[72:73] neg_lo:[0,1] neg_hi:[0,1]
	s_delay_alu instid0(VALU_DEP_2) | instskip(SKIP_1) | instid1(VALU_DEP_1)
	v_pk_fma_f32 v[72:73], v[70:71], v[52:53], v[68:69] op_sel:[0,0,1] op_sel_hi:[1,1,0] neg_lo:[0,0,1] neg_hi:[0,0,1]
	v_pk_fma_f32 v[68:69], v[70:71], v[52:53], v[68:69] op_sel:[0,0,1] op_sel_hi:[1,0,0]
	v_mov_b32_e32 v73, v69
	ds_load_2addr_b64 v[68:71], v148 offset0:44 offset1:45
	v_pk_add_f32 v[172:173], v[172:173], v[72:73] neg_lo:[0,1] neg_hi:[0,1]
	s_wait_dscnt 0x0
	v_pk_mul_f32 v[72:73], v[68:69], v[66:67] op_sel:[0,1]
	s_delay_alu instid0(VALU_DEP_1) | instskip(SKIP_1) | instid1(VALU_DEP_1)
	v_pk_fma_f32 v[82:83], v[68:69], v[52:53], v[72:73] op_sel:[0,0,1] op_sel_hi:[1,1,0] neg_lo:[0,0,1] neg_hi:[0,0,1]
	v_pk_fma_f32 v[68:69], v[68:69], v[52:53], v[72:73] op_sel:[0,0,1] op_sel_hi:[1,0,0]
	v_mov_b32_e32 v83, v69
	v_pk_mul_f32 v[68:69], v[70:71], v[66:67] op_sel:[0,1]
	s_delay_alu instid0(VALU_DEP_2) | instskip(NEXT) | instid1(VALU_DEP_2)
	v_pk_add_f32 v[196:197], v[196:197], v[82:83] neg_lo:[0,1] neg_hi:[0,1]
	v_pk_fma_f32 v[72:73], v[70:71], v[52:53], v[68:69] op_sel:[0,0,1] op_sel_hi:[1,1,0] neg_lo:[0,0,1] neg_hi:[0,0,1]
	v_pk_fma_f32 v[68:69], v[70:71], v[52:53], v[68:69] op_sel:[0,0,1] op_sel_hi:[1,0,0]
	s_delay_alu instid0(VALU_DEP_1) | instskip(SKIP_4) | instid1(VALU_DEP_1)
	v_mov_b32_e32 v73, v69
	ds_load_2addr_b64 v[68:71], v148 offset0:46 offset1:47
	v_pk_add_f32 v[192:193], v[192:193], v[72:73] neg_lo:[0,1] neg_hi:[0,1]
	s_wait_dscnt 0x0
	v_pk_mul_f32 v[72:73], v[68:69], v[66:67] op_sel:[0,1]
	v_pk_fma_f32 v[82:83], v[68:69], v[52:53], v[72:73] op_sel:[0,0,1] op_sel_hi:[1,1,0] neg_lo:[0,0,1] neg_hi:[0,0,1]
	v_pk_fma_f32 v[68:69], v[68:69], v[52:53], v[72:73] op_sel:[0,0,1] op_sel_hi:[1,0,0]
	v_dual_mul_f32 v72, v71, v67 :: v_dual_mov_b32 v68, v71
	s_delay_alu instid0(VALU_DEP_2) | instskip(NEXT) | instid1(VALU_DEP_2)
	v_dual_mov_b32 v83, v69 :: v_dual_mov_b32 v69, v70
	v_pk_fma_f32 v[72:73], v[70:71], v[142:143], v[72:73] op_sel_hi:[1,1,0] neg_lo:[0,0,1] neg_hi:[0,0,1]
	v_mul_f32_e32 v70, v71, v52
	s_delay_alu instid0(VALU_DEP_3) | instskip(NEXT) | instid1(VALU_DEP_2)
	v_pk_add_f32 v[194:195], v[194:195], v[82:83] neg_lo:[0,1] neg_hi:[0,1]
	v_pk_fma_f32 v[68:69], v[68:69], v[142:143], v[70:71] op_sel_hi:[1,1,0]
	s_delay_alu instid0(VALU_DEP_1) | instskip(SKIP_4) | instid1(VALU_DEP_1)
	v_mov_b32_e32 v73, v69
	ds_load_2addr_b64 v[68:71], v148 offset0:48 offset1:49
	v_pk_add_f32 v[190:191], v[190:191], v[72:73] neg_lo:[0,1] neg_hi:[0,1]
	s_wait_dscnt 0x0
	v_pk_mul_f32 v[72:73], v[68:69], v[66:67] op_sel:[0,1]
	v_pk_fma_f32 v[82:83], v[68:69], v[52:53], v[72:73] op_sel:[0,0,1] op_sel_hi:[1,1,0] neg_lo:[0,0,1] neg_hi:[0,0,1]
	v_pk_fma_f32 v[68:69], v[68:69], v[52:53], v[72:73] op_sel:[0,0,1] op_sel_hi:[1,0,0]
	s_delay_alu instid0(VALU_DEP_1) | instskip(SKIP_1) | instid1(VALU_DEP_1)
	v_mov_b32_e32 v83, v69
	v_pk_mul_f32 v[68:69], v[70:71], v[66:67] op_sel:[0,1]
	v_pk_fma_f32 v[72:73], v[70:71], v[52:53], v[68:69] op_sel:[0,0,1] op_sel_hi:[1,1,0] neg_lo:[0,0,1] neg_hi:[0,0,1]
	v_pk_fma_f32 v[68:69], v[70:71], v[52:53], v[68:69] op_sel:[0,0,1] op_sel_hi:[1,0,0]
	s_delay_alu instid0(VALU_DEP_1)
	v_mov_b32_e32 v73, v69
	ds_load_2addr_b64 v[68:71], v148 offset0:50 offset1:51
	v_pk_add_f32 v[212:213], v[212:213], v[82:83] neg_lo:[0,1] neg_hi:[0,1]
	v_pk_add_f32 v[208:209], v[208:209], v[72:73] neg_lo:[0,1] neg_hi:[0,1]
	s_wait_dscnt 0x0
	v_pk_mul_f32 v[72:73], v[68:69], v[66:67] op_sel:[0,1]
	s_delay_alu instid0(VALU_DEP_1) | instskip(SKIP_1) | instid1(VALU_DEP_1)
	v_pk_fma_f32 v[82:83], v[68:69], v[52:53], v[72:73] op_sel:[0,0,1] op_sel_hi:[1,1,0] neg_lo:[0,0,1] neg_hi:[0,0,1]
	v_pk_fma_f32 v[68:69], v[68:69], v[52:53], v[72:73] op_sel:[0,0,1] op_sel_hi:[1,0,0]
	v_mov_b32_e32 v83, v69
	v_pk_mul_f32 v[68:69], v[70:71], v[66:67] op_sel:[0,1]
	s_delay_alu instid0(VALU_DEP_1) | instskip(SKIP_1) | instid1(VALU_DEP_1)
	v_pk_fma_f32 v[72:73], v[70:71], v[52:53], v[68:69] op_sel:[0,0,1] op_sel_hi:[1,1,0] neg_lo:[0,0,1] neg_hi:[0,0,1]
	v_pk_fma_f32 v[68:69], v[70:71], v[52:53], v[68:69] op_sel:[0,0,1] op_sel_hi:[1,0,0]
	v_mov_b32_e32 v73, v69
	ds_load_2addr_b64 v[68:71], v148 offset0:52 offset1:53
	v_pk_add_f32 v[210:211], v[210:211], v[82:83] neg_lo:[0,1] neg_hi:[0,1]
	v_pk_add_f32 v[206:207], v[206:207], v[72:73] neg_lo:[0,1] neg_hi:[0,1]
	s_wait_dscnt 0x0
	v_dual_mul_f32 v72, v69, v67 :: v_dual_mul_f32 v82, v69, v52
	v_pk_mul_f32 v[66:67], v[70:71], v[66:67] op_sel:[0,1]
	s_delay_alu instid0(VALU_DEP_2) | instskip(NEXT) | instid1(VALU_DEP_3)
	v_pk_fma_f32 v[72:73], v[68:69], v[142:143], v[72:73] op_sel_hi:[1,1,0] neg_lo:[0,0,1] neg_hi:[0,0,1]
	v_pk_fma_f32 v[68:69], v[68:69], v[142:143], v[82:83] op_sel:[1,0,0] op_sel_hi:[0,1,0]
	s_delay_alu instid0(VALU_DEP_1) | instskip(NEXT) | instid1(VALU_DEP_4)
	v_mov_b32_e32 v73, v69
	v_pk_fma_f32 v[68:69], v[70:71], v[52:53], v[66:67] op_sel:[0,0,1] op_sel_hi:[1,1,0] neg_lo:[0,0,1] neg_hi:[0,0,1]
	v_pk_fma_f32 v[52:53], v[70:71], v[52:53], v[66:67] op_sel:[0,0,1] op_sel_hi:[1,0,0]
	s_delay_alu instid0(VALU_DEP_1) | instskip(NEXT) | instid1(VALU_DEP_4)
	v_mov_b32_e32 v69, v53
	v_pk_add_f32 v[214:215], v[214:215], v[72:73] neg_lo:[0,1] neg_hi:[0,1]
	s_delay_alu instid0(VALU_DEP_2)
	v_pk_add_f32 v[216:217], v[216:217], v[68:69] neg_lo:[0,1] neg_hi:[0,1]
.LBB107_307:
	s_or_b32 exec_lo, exec_lo, s1
	s_delay_alu instid0(SALU_CYCLE_1)
	s_mov_b32 s2, exec_lo
	s_wait_dscnt 0x0
	s_barrier_signal -1
	s_barrier_wait -1
	v_cmpx_eq_u32_e32 34, v138
	s_cbranch_execz .LBB107_314
; %bb.308:
	ds_store_b64 v139, v[144:145]
	ds_store_2addr_b64 v148, v[140:141], v[162:163] offset0:35 offset1:36
	ds_store_2addr_b64 v148, v[158:159], v[160:161] offset0:37 offset1:38
	;; [unrolled: 1-line block ×9, first 2 shown]
	ds_store_b64 v148, v[216:217] offset:424
	ds_load_b64 v[52:53], v139
	s_wait_dscnt 0x0
	v_cmp_neq_f32_e32 vcc_lo, 0, v52
	v_cmp_neq_f32_e64 s1, 0, v53
	s_or_b32 s1, vcc_lo, s1
	s_delay_alu instid0(SALU_CYCLE_1)
	s_and_b32 exec_lo, exec_lo, s1
	s_cbranch_execz .LBB107_314
; %bb.309:
	v_cmp_ngt_f32_e64 s1, |v52|, |v53|
                                        ; implicit-def: $vgpr66_vgpr67
	s_and_saveexec_b32 s4, s1
	s_delay_alu instid0(SALU_CYCLE_1)
	s_xor_b32 s1, exec_lo, s4
	s_cbranch_execz .LBB107_311
; %bb.310:
	v_div_scale_f32 v66, null, v53, v53, v52
	v_div_scale_f32 v69, vcc_lo, v52, v53, v52
	s_delay_alu instid0(VALU_DEP_2) | instskip(SKIP_1) | instid1(TRANS32_DEP_1)
	v_rcp_f32_e32 v67, v66
	v_nop
	v_fma_f32 v68, -v66, v67, 1.0
	s_delay_alu instid0(VALU_DEP_1) | instskip(NEXT) | instid1(VALU_DEP_1)
	v_fmac_f32_e32 v67, v68, v67
	v_mul_f32_e32 v68, v69, v67
	s_delay_alu instid0(VALU_DEP_1) | instskip(NEXT) | instid1(VALU_DEP_1)
	v_fma_f32 v70, -v66, v68, v69
	v_fmac_f32_e32 v68, v70, v67
	s_delay_alu instid0(VALU_DEP_1) | instskip(NEXT) | instid1(VALU_DEP_1)
	v_fma_f32 v66, -v66, v68, v69
	v_div_fmas_f32 v66, v66, v67, v68
	s_delay_alu instid0(VALU_DEP_1) | instskip(NEXT) | instid1(VALU_DEP_1)
	v_div_fixup_f32 v66, v66, v53, v52
	v_fmac_f32_e32 v53, v52, v66
	s_delay_alu instid0(VALU_DEP_1) | instskip(SKIP_1) | instid1(VALU_DEP_2)
	v_div_scale_f32 v52, null, v53, v53, 1.0
	v_div_scale_f32 v69, vcc_lo, 1.0, v53, 1.0
	v_rcp_f32_e32 v67, v52
	v_nop
	s_delay_alu instid0(TRANS32_DEP_1) | instskip(NEXT) | instid1(VALU_DEP_1)
	v_fma_f32 v68, -v52, v67, 1.0
	v_fmac_f32_e32 v67, v68, v67
	s_delay_alu instid0(VALU_DEP_1) | instskip(NEXT) | instid1(VALU_DEP_1)
	v_mul_f32_e32 v68, v69, v67
	v_fma_f32 v70, -v52, v68, v69
	s_delay_alu instid0(VALU_DEP_1) | instskip(NEXT) | instid1(VALU_DEP_1)
	v_fmac_f32_e32 v68, v70, v67
	v_fma_f32 v52, -v52, v68, v69
	s_delay_alu instid0(VALU_DEP_1) | instskip(NEXT) | instid1(VALU_DEP_1)
	v_div_fmas_f32 v52, v52, v67, v68
	v_div_fixup_f32 v52, v52, v53, 1.0
	s_delay_alu instid0(VALU_DEP_1)
	v_mul_f32_e32 v66, v66, v52
	v_xor_b32_e32 v67, 0x80000000, v52
                                        ; implicit-def: $vgpr52_vgpr53
.LBB107_311:
	s_and_not1_saveexec_b32 s1, s1
	s_cbranch_execz .LBB107_313
; %bb.312:
	v_div_scale_f32 v66, null, v52, v52, v53
	v_div_scale_f32 v69, vcc_lo, v53, v52, v53
	s_delay_alu instid0(VALU_DEP_2) | instskip(SKIP_1) | instid1(TRANS32_DEP_1)
	v_rcp_f32_e32 v67, v66
	v_nop
	v_fma_f32 v68, -v66, v67, 1.0
	s_delay_alu instid0(VALU_DEP_1) | instskip(NEXT) | instid1(VALU_DEP_1)
	v_fmac_f32_e32 v67, v68, v67
	v_mul_f32_e32 v68, v69, v67
	s_delay_alu instid0(VALU_DEP_1) | instskip(NEXT) | instid1(VALU_DEP_1)
	v_fma_f32 v70, -v66, v68, v69
	v_fmac_f32_e32 v68, v70, v67
	s_delay_alu instid0(VALU_DEP_1) | instskip(NEXT) | instid1(VALU_DEP_1)
	v_fma_f32 v66, -v66, v68, v69
	v_div_fmas_f32 v66, v66, v67, v68
	s_delay_alu instid0(VALU_DEP_1) | instskip(NEXT) | instid1(VALU_DEP_1)
	v_div_fixup_f32 v67, v66, v52, v53
	v_fmac_f32_e32 v52, v53, v67
	s_delay_alu instid0(VALU_DEP_1) | instskip(NEXT) | instid1(VALU_DEP_1)
	v_div_scale_f32 v53, null, v52, v52, 1.0
	v_rcp_f32_e32 v66, v53
	v_nop
	s_delay_alu instid0(TRANS32_DEP_1) | instskip(NEXT) | instid1(VALU_DEP_1)
	v_fma_f32 v68, -v53, v66, 1.0
	v_fmac_f32_e32 v66, v68, v66
	v_div_scale_f32 v68, vcc_lo, 1.0, v52, 1.0
	s_delay_alu instid0(VALU_DEP_1) | instskip(NEXT) | instid1(VALU_DEP_1)
	v_mul_f32_e32 v69, v68, v66
	v_fma_f32 v70, -v53, v69, v68
	s_delay_alu instid0(VALU_DEP_1) | instskip(NEXT) | instid1(VALU_DEP_1)
	v_fmac_f32_e32 v69, v70, v66
	v_fma_f32 v53, -v53, v69, v68
	s_delay_alu instid0(VALU_DEP_1) | instskip(NEXT) | instid1(VALU_DEP_1)
	v_div_fmas_f32 v53, v53, v66, v69
	v_div_fixup_f32 v66, v53, v52, 1.0
	s_delay_alu instid0(VALU_DEP_1)
	v_mul_f32_e64 v67, v67, -v66
.LBB107_313:
	s_or_b32 exec_lo, exec_lo, s1
	ds_store_b64 v139, v[66:67]
.LBB107_314:
	s_or_b32 exec_lo, exec_lo, s2
	s_wait_dscnt 0x0
	s_barrier_signal -1
	s_barrier_wait -1
	ds_load_b64 v[52:53], v139
	s_mov_b32 s1, exec_lo
	v_cmpx_lt_u32_e32 34, v138
	s_cbranch_execz .LBB107_316
; %bb.315:
	ds_load_2addr_b64 v[70:73], v148 offset0:35 offset1:36
	s_wait_dscnt 0x1
	v_pk_mul_f32 v[68:69], v[52:53], v[144:145] op_sel:[1,1] op_sel_hi:[0,1]
	s_delay_alu instid0(VALU_DEP_1) | instskip(SKIP_1) | instid1(VALU_DEP_1)
	v_pk_fma_f32 v[66:67], v[52:53], v[144:145], v[68:69] op_sel_hi:[1,0,1] neg_lo:[0,0,1] neg_hi:[0,0,1]
	v_pk_fma_f32 v[68:69], v[52:53], v[144:145], v[68:69] op_sel_hi:[1,0,1]
	v_dual_mov_b32 v144, v66 :: v_dual_mov_b32 v145, v69
	s_wait_dscnt 0x0
	s_delay_alu instid0(VALU_DEP_2) | instskip(NEXT) | instid1(VALU_DEP_1)
	v_pk_mul_f32 v[82:83], v[70:71], v[68:69] op_sel:[0,1]
	v_pk_fma_f32 v[84:85], v[70:71], v[66:67], v[82:83] op_sel:[0,0,1] op_sel_hi:[1,1,0] neg_lo:[0,0,1] neg_hi:[0,0,1]
	v_pk_fma_f32 v[70:71], v[70:71], v[66:67], v[82:83] op_sel:[0,0,1] op_sel_hi:[1,0,0]
	s_delay_alu instid0(VALU_DEP_1) | instskip(SKIP_1) | instid1(VALU_DEP_1)
	v_mov_b32_e32 v85, v71
	v_pk_mul_f32 v[70:71], v[72:73], v[68:69] op_sel:[0,1]
	v_pk_fma_f32 v[82:83], v[72:73], v[66:67], v[70:71] op_sel:[0,0,1] op_sel_hi:[1,1,0] neg_lo:[0,0,1] neg_hi:[0,0,1]
	v_pk_fma_f32 v[70:71], v[72:73], v[66:67], v[70:71] op_sel:[0,0,1] op_sel_hi:[1,0,0]
	s_delay_alu instid0(VALU_DEP_1)
	v_mov_b32_e32 v83, v71
	ds_load_2addr_b64 v[70:73], v148 offset0:37 offset1:38
	v_pk_add_f32 v[140:141], v[140:141], v[84:85] neg_lo:[0,1] neg_hi:[0,1]
	v_pk_add_f32 v[162:163], v[162:163], v[82:83] neg_lo:[0,1] neg_hi:[0,1]
	s_wait_dscnt 0x0
	v_pk_mul_f32 v[82:83], v[70:71], v[68:69] op_sel:[0,1]
	s_delay_alu instid0(VALU_DEP_1) | instskip(SKIP_2) | instid1(VALU_DEP_2)
	v_pk_fma_f32 v[84:85], v[70:71], v[66:67], v[82:83] op_sel:[0,0,1] op_sel_hi:[1,1,0] neg_lo:[0,0,1] neg_hi:[0,0,1]
	v_pk_fma_f32 v[70:71], v[70:71], v[66:67], v[82:83] op_sel:[0,0,1] op_sel_hi:[1,0,0]
	v_dual_mul_f32 v82, v73, v69 :: v_dual_mov_b32 v70, v73
	v_dual_mov_b32 v85, v71 :: v_dual_mov_b32 v71, v72
	s_delay_alu instid0(VALU_DEP_2) | instskip(SKIP_1) | instid1(VALU_DEP_3)
	v_pk_fma_f32 v[82:83], v[72:73], v[144:145], v[82:83] op_sel_hi:[1,1,0] neg_lo:[0,0,1] neg_hi:[0,0,1]
	v_mul_f32_e32 v72, v73, v66
	v_pk_add_f32 v[158:159], v[158:159], v[84:85] neg_lo:[0,1] neg_hi:[0,1]
	s_delay_alu instid0(VALU_DEP_2) | instskip(NEXT) | instid1(VALU_DEP_1)
	v_pk_fma_f32 v[70:71], v[70:71], v[144:145], v[72:73] op_sel_hi:[1,1,0]
	v_mov_b32_e32 v83, v71
	ds_load_2addr_b64 v[70:73], v148 offset0:39 offset1:40
	v_pk_add_f32 v[160:161], v[160:161], v[82:83] neg_lo:[0,1] neg_hi:[0,1]
	s_wait_dscnt 0x0
	v_pk_mul_f32 v[82:83], v[70:71], v[68:69] op_sel:[0,1]
	s_delay_alu instid0(VALU_DEP_1) | instskip(SKIP_1) | instid1(VALU_DEP_1)
	v_pk_fma_f32 v[84:85], v[70:71], v[66:67], v[82:83] op_sel:[0,0,1] op_sel_hi:[1,1,0] neg_lo:[0,0,1] neg_hi:[0,0,1]
	v_pk_fma_f32 v[70:71], v[70:71], v[66:67], v[82:83] op_sel:[0,0,1] op_sel_hi:[1,0,0]
	v_mov_b32_e32 v85, v71
	v_pk_mul_f32 v[70:71], v[72:73], v[68:69] op_sel:[0,1]
	s_delay_alu instid0(VALU_DEP_1) | instskip(SKIP_1) | instid1(VALU_DEP_1)
	v_pk_fma_f32 v[82:83], v[72:73], v[66:67], v[70:71] op_sel:[0,0,1] op_sel_hi:[1,1,0] neg_lo:[0,0,1] neg_hi:[0,0,1]
	v_pk_fma_f32 v[70:71], v[72:73], v[66:67], v[70:71] op_sel:[0,0,1] op_sel_hi:[1,0,0]
	v_mov_b32_e32 v83, v71
	ds_load_2addr_b64 v[70:73], v148 offset0:41 offset1:42
	v_pk_add_f32 v[156:157], v[156:157], v[84:85] neg_lo:[0,1] neg_hi:[0,1]
	v_pk_add_f32 v[178:179], v[178:179], v[82:83] neg_lo:[0,1] neg_hi:[0,1]
	s_wait_dscnt 0x0
	v_pk_mul_f32 v[82:83], v[70:71], v[68:69] op_sel:[0,1]
	s_delay_alu instid0(VALU_DEP_1) | instskip(SKIP_1) | instid1(VALU_DEP_1)
	v_pk_fma_f32 v[84:85], v[70:71], v[66:67], v[82:83] op_sel:[0,0,1] op_sel_hi:[1,1,0] neg_lo:[0,0,1] neg_hi:[0,0,1]
	v_pk_fma_f32 v[70:71], v[70:71], v[66:67], v[82:83] op_sel:[0,0,1] op_sel_hi:[1,0,0]
	v_mov_b32_e32 v85, v71
	v_pk_mul_f32 v[70:71], v[72:73], v[68:69] op_sel:[0,1]
	s_delay_alu instid0(VALU_DEP_1) | instskip(SKIP_1) | instid1(VALU_DEP_1)
	v_pk_fma_f32 v[82:83], v[72:73], v[66:67], v[70:71] op_sel:[0,0,1] op_sel_hi:[1,1,0] neg_lo:[0,0,1] neg_hi:[0,0,1]
	v_pk_fma_f32 v[70:71], v[72:73], v[66:67], v[70:71] op_sel:[0,0,1] op_sel_hi:[1,0,0]
	v_mov_b32_e32 v83, v71
	ds_load_2addr_b64 v[70:73], v148 offset0:43 offset1:44
	v_pk_add_f32 v[174:175], v[174:175], v[84:85] neg_lo:[0,1] neg_hi:[0,1]
	v_pk_add_f32 v[176:177], v[176:177], v[82:83] neg_lo:[0,1] neg_hi:[0,1]
	s_wait_dscnt 0x0
	v_dual_mul_f32 v82, v71, v69 :: v_dual_mul_f32 v84, v71, v66
	s_delay_alu instid0(VALU_DEP_1) | instskip(NEXT) | instid1(VALU_DEP_2)
	v_pk_fma_f32 v[82:83], v[70:71], v[144:145], v[82:83] op_sel_hi:[1,1,0] neg_lo:[0,0,1] neg_hi:[0,0,1]
	v_pk_fma_f32 v[70:71], v[70:71], v[144:145], v[84:85] op_sel:[1,0,0] op_sel_hi:[0,1,0]
	s_delay_alu instid0(VALU_DEP_1) | instskip(SKIP_1) | instid1(VALU_DEP_2)
	v_mov_b32_e32 v83, v71
	v_pk_mul_f32 v[70:71], v[72:73], v[68:69] op_sel:[0,1]
	v_pk_add_f32 v[172:173], v[172:173], v[82:83] neg_lo:[0,1] neg_hi:[0,1]
	s_delay_alu instid0(VALU_DEP_2) | instskip(SKIP_1) | instid1(VALU_DEP_1)
	v_pk_fma_f32 v[82:83], v[72:73], v[66:67], v[70:71] op_sel:[0,0,1] op_sel_hi:[1,1,0] neg_lo:[0,0,1] neg_hi:[0,0,1]
	v_pk_fma_f32 v[70:71], v[72:73], v[66:67], v[70:71] op_sel:[0,0,1] op_sel_hi:[1,0,0]
	v_mov_b32_e32 v83, v71
	ds_load_2addr_b64 v[70:73], v148 offset0:45 offset1:46
	v_pk_add_f32 v[196:197], v[196:197], v[82:83] neg_lo:[0,1] neg_hi:[0,1]
	s_wait_dscnt 0x0
	v_pk_mul_f32 v[82:83], v[70:71], v[68:69] op_sel:[0,1]
	s_delay_alu instid0(VALU_DEP_1) | instskip(SKIP_1) | instid1(VALU_DEP_1)
	v_pk_fma_f32 v[84:85], v[70:71], v[66:67], v[82:83] op_sel:[0,0,1] op_sel_hi:[1,1,0] neg_lo:[0,0,1] neg_hi:[0,0,1]
	v_pk_fma_f32 v[70:71], v[70:71], v[66:67], v[82:83] op_sel:[0,0,1] op_sel_hi:[1,0,0]
	v_mov_b32_e32 v85, v71
	v_pk_mul_f32 v[70:71], v[72:73], v[68:69] op_sel:[0,1]
	s_delay_alu instid0(VALU_DEP_2) | instskip(NEXT) | instid1(VALU_DEP_2)
	v_pk_add_f32 v[192:193], v[192:193], v[84:85] neg_lo:[0,1] neg_hi:[0,1]
	v_pk_fma_f32 v[82:83], v[72:73], v[66:67], v[70:71] op_sel:[0,0,1] op_sel_hi:[1,1,0] neg_lo:[0,0,1] neg_hi:[0,0,1]
	v_pk_fma_f32 v[70:71], v[72:73], v[66:67], v[70:71] op_sel:[0,0,1] op_sel_hi:[1,0,0]
	s_delay_alu instid0(VALU_DEP_1) | instskip(SKIP_4) | instid1(VALU_DEP_1)
	v_mov_b32_e32 v83, v71
	ds_load_2addr_b64 v[70:73], v148 offset0:47 offset1:48
	v_pk_add_f32 v[194:195], v[194:195], v[82:83] neg_lo:[0,1] neg_hi:[0,1]
	s_wait_dscnt 0x0
	v_pk_mul_f32 v[82:83], v[70:71], v[68:69] op_sel:[0,1]
	v_pk_fma_f32 v[84:85], v[70:71], v[66:67], v[82:83] op_sel:[0,0,1] op_sel_hi:[1,1,0] neg_lo:[0,0,1] neg_hi:[0,0,1]
	v_pk_fma_f32 v[70:71], v[70:71], v[66:67], v[82:83] op_sel:[0,0,1] op_sel_hi:[1,0,0]
	v_dual_mul_f32 v82, v73, v69 :: v_dual_mov_b32 v70, v73
	s_delay_alu instid0(VALU_DEP_2) | instskip(NEXT) | instid1(VALU_DEP_2)
	v_dual_mov_b32 v85, v71 :: v_dual_mov_b32 v71, v72
	v_pk_fma_f32 v[82:83], v[72:73], v[144:145], v[82:83] op_sel_hi:[1,1,0] neg_lo:[0,0,1] neg_hi:[0,0,1]
	v_mul_f32_e32 v72, v73, v66
	s_delay_alu instid0(VALU_DEP_3) | instskip(NEXT) | instid1(VALU_DEP_2)
	v_pk_add_f32 v[190:191], v[190:191], v[84:85] neg_lo:[0,1] neg_hi:[0,1]
	v_pk_fma_f32 v[70:71], v[70:71], v[144:145], v[72:73] op_sel_hi:[1,1,0]
	s_delay_alu instid0(VALU_DEP_1) | instskip(SKIP_4) | instid1(VALU_DEP_1)
	v_mov_b32_e32 v83, v71
	ds_load_2addr_b64 v[70:73], v148 offset0:49 offset1:50
	v_pk_add_f32 v[212:213], v[212:213], v[82:83] neg_lo:[0,1] neg_hi:[0,1]
	s_wait_dscnt 0x0
	v_pk_mul_f32 v[82:83], v[70:71], v[68:69] op_sel:[0,1]
	v_pk_fma_f32 v[84:85], v[70:71], v[66:67], v[82:83] op_sel:[0,0,1] op_sel_hi:[1,1,0] neg_lo:[0,0,1] neg_hi:[0,0,1]
	v_pk_fma_f32 v[70:71], v[70:71], v[66:67], v[82:83] op_sel:[0,0,1] op_sel_hi:[1,0,0]
	s_delay_alu instid0(VALU_DEP_1) | instskip(SKIP_1) | instid1(VALU_DEP_1)
	v_mov_b32_e32 v85, v71
	v_pk_mul_f32 v[70:71], v[72:73], v[68:69] op_sel:[0,1]
	v_pk_fma_f32 v[82:83], v[72:73], v[66:67], v[70:71] op_sel:[0,0,1] op_sel_hi:[1,1,0] neg_lo:[0,0,1] neg_hi:[0,0,1]
	v_pk_fma_f32 v[70:71], v[72:73], v[66:67], v[70:71] op_sel:[0,0,1] op_sel_hi:[1,0,0]
	s_delay_alu instid0(VALU_DEP_1)
	v_mov_b32_e32 v83, v71
	ds_load_2addr_b64 v[70:73], v148 offset0:51 offset1:52
	v_pk_add_f32 v[208:209], v[208:209], v[84:85] neg_lo:[0,1] neg_hi:[0,1]
	v_pk_add_f32 v[210:211], v[210:211], v[82:83] neg_lo:[0,1] neg_hi:[0,1]
	s_wait_dscnt 0x0
	v_pk_mul_f32 v[82:83], v[70:71], v[68:69] op_sel:[0,1]
	s_delay_alu instid0(VALU_DEP_1) | instskip(SKIP_1) | instid1(VALU_DEP_1)
	v_pk_fma_f32 v[84:85], v[70:71], v[66:67], v[82:83] op_sel:[0,0,1] op_sel_hi:[1,1,0] neg_lo:[0,0,1] neg_hi:[0,0,1]
	v_pk_fma_f32 v[70:71], v[70:71], v[66:67], v[82:83] op_sel:[0,0,1] op_sel_hi:[1,0,0]
	v_mov_b32_e32 v85, v71
	v_pk_mul_f32 v[70:71], v[72:73], v[68:69] op_sel:[0,1]
	s_delay_alu instid0(VALU_DEP_1) | instskip(SKIP_1) | instid1(VALU_DEP_1)
	v_pk_fma_f32 v[82:83], v[72:73], v[66:67], v[70:71] op_sel:[0,0,1] op_sel_hi:[1,1,0] neg_lo:[0,0,1] neg_hi:[0,0,1]
	v_pk_fma_f32 v[70:71], v[72:73], v[66:67], v[70:71] op_sel:[0,0,1] op_sel_hi:[1,0,0]
	v_mov_b32_e32 v83, v71
	ds_load_b64 v[70:71], v148 offset:424
	v_pk_add_f32 v[206:207], v[206:207], v[84:85] neg_lo:[0,1] neg_hi:[0,1]
	v_pk_add_f32 v[214:215], v[214:215], v[82:83] neg_lo:[0,1] neg_hi:[0,1]
	s_wait_dscnt 0x0
	v_pk_mul_f32 v[68:69], v[70:71], v[68:69] op_sel:[0,1]
	s_delay_alu instid0(VALU_DEP_1) | instskip(SKIP_1) | instid1(VALU_DEP_1)
	v_pk_fma_f32 v[72:73], v[70:71], v[66:67], v[68:69] op_sel:[0,0,1] op_sel_hi:[1,1,0] neg_lo:[0,0,1] neg_hi:[0,0,1]
	v_pk_fma_f32 v[66:67], v[70:71], v[66:67], v[68:69] op_sel:[0,0,1] op_sel_hi:[1,0,0]
	v_mov_b32_e32 v73, v67
	s_delay_alu instid0(VALU_DEP_1)
	v_pk_add_f32 v[216:217], v[216:217], v[72:73] neg_lo:[0,1] neg_hi:[0,1]
.LBB107_316:
	s_or_b32 exec_lo, exec_lo, s1
	s_delay_alu instid0(SALU_CYCLE_1)
	s_mov_b32 s2, exec_lo
	s_wait_dscnt 0x0
	s_barrier_signal -1
	s_barrier_wait -1
	v_cmpx_eq_u32_e32 35, v138
	s_cbranch_execz .LBB107_323
; %bb.317:
	v_dual_mov_b32 v66, v162 :: v_dual_mov_b32 v67, v163
	v_dual_mov_b32 v68, v158 :: v_dual_mov_b32 v69, v159
	ds_store_b64 v139, v[140:141]
	ds_store_2addr_b64 v148, v[66:67], v[68:69] offset0:36 offset1:37
	v_dual_mov_b32 v66, v160 :: v_dual_mov_b32 v67, v161
	v_dual_mov_b32 v68, v156 :: v_dual_mov_b32 v69, v157
	ds_store_2addr_b64 v148, v[66:67], v[68:69] offset0:38 offset1:39
	v_dual_mov_b32 v66, v178 :: v_dual_mov_b32 v67, v179
	v_dual_mov_b32 v68, v174 :: v_dual_mov_b32 v69, v175
	;; [unrolled: 3-line block ×7, first 2 shown]
	ds_store_2addr_b64 v148, v[66:67], v[68:69] offset0:50 offset1:51
	v_dual_mov_b32 v66, v214 :: v_dual_mov_b32 v67, v215
	ds_store_2addr_b64 v148, v[66:67], v[216:217] offset0:52 offset1:53
	ds_load_b64 v[66:67], v139
	s_wait_dscnt 0x0
	v_cmp_neq_f32_e32 vcc_lo, 0, v66
	v_cmp_neq_f32_e64 s1, 0, v67
	s_or_b32 s1, vcc_lo, s1
	s_delay_alu instid0(SALU_CYCLE_1)
	s_and_b32 exec_lo, exec_lo, s1
	s_cbranch_execz .LBB107_323
; %bb.318:
	v_cmp_ngt_f32_e64 s1, |v66|, |v67|
                                        ; implicit-def: $vgpr68_vgpr69
	s_and_saveexec_b32 s4, s1
	s_delay_alu instid0(SALU_CYCLE_1)
	s_xor_b32 s1, exec_lo, s4
	s_cbranch_execz .LBB107_320
; %bb.319:
	v_div_scale_f32 v68, null, v67, v67, v66
	v_div_scale_f32 v71, vcc_lo, v66, v67, v66
	s_delay_alu instid0(VALU_DEP_2) | instskip(SKIP_1) | instid1(TRANS32_DEP_1)
	v_rcp_f32_e32 v69, v68
	v_nop
	v_fma_f32 v70, -v68, v69, 1.0
	s_delay_alu instid0(VALU_DEP_1) | instskip(NEXT) | instid1(VALU_DEP_1)
	v_fmac_f32_e32 v69, v70, v69
	v_mul_f32_e32 v70, v71, v69
	s_delay_alu instid0(VALU_DEP_1) | instskip(NEXT) | instid1(VALU_DEP_1)
	v_fma_f32 v72, -v68, v70, v71
	v_fmac_f32_e32 v70, v72, v69
	s_delay_alu instid0(VALU_DEP_1) | instskip(NEXT) | instid1(VALU_DEP_1)
	v_fma_f32 v68, -v68, v70, v71
	v_div_fmas_f32 v68, v68, v69, v70
	s_delay_alu instid0(VALU_DEP_1) | instskip(NEXT) | instid1(VALU_DEP_1)
	v_div_fixup_f32 v68, v68, v67, v66
	v_fmac_f32_e32 v67, v66, v68
	s_delay_alu instid0(VALU_DEP_1) | instskip(SKIP_1) | instid1(VALU_DEP_2)
	v_div_scale_f32 v66, null, v67, v67, 1.0
	v_div_scale_f32 v71, vcc_lo, 1.0, v67, 1.0
	v_rcp_f32_e32 v69, v66
	v_nop
	s_delay_alu instid0(TRANS32_DEP_1) | instskip(NEXT) | instid1(VALU_DEP_1)
	v_fma_f32 v70, -v66, v69, 1.0
	v_fmac_f32_e32 v69, v70, v69
	s_delay_alu instid0(VALU_DEP_1) | instskip(NEXT) | instid1(VALU_DEP_1)
	v_mul_f32_e32 v70, v71, v69
	v_fma_f32 v72, -v66, v70, v71
	s_delay_alu instid0(VALU_DEP_1) | instskip(NEXT) | instid1(VALU_DEP_1)
	v_fmac_f32_e32 v70, v72, v69
	v_fma_f32 v66, -v66, v70, v71
	s_delay_alu instid0(VALU_DEP_1) | instskip(NEXT) | instid1(VALU_DEP_1)
	v_div_fmas_f32 v66, v66, v69, v70
	v_div_fixup_f32 v66, v66, v67, 1.0
	s_delay_alu instid0(VALU_DEP_1)
	v_mul_f32_e32 v68, v68, v66
	v_xor_b32_e32 v69, 0x80000000, v66
                                        ; implicit-def: $vgpr66_vgpr67
.LBB107_320:
	s_and_not1_saveexec_b32 s1, s1
	s_cbranch_execz .LBB107_322
; %bb.321:
	v_div_scale_f32 v68, null, v66, v66, v67
	v_div_scale_f32 v71, vcc_lo, v67, v66, v67
	s_delay_alu instid0(VALU_DEP_2) | instskip(SKIP_1) | instid1(TRANS32_DEP_1)
	v_rcp_f32_e32 v69, v68
	v_nop
	v_fma_f32 v70, -v68, v69, 1.0
	s_delay_alu instid0(VALU_DEP_1) | instskip(NEXT) | instid1(VALU_DEP_1)
	v_fmac_f32_e32 v69, v70, v69
	v_mul_f32_e32 v70, v71, v69
	s_delay_alu instid0(VALU_DEP_1) | instskip(NEXT) | instid1(VALU_DEP_1)
	v_fma_f32 v72, -v68, v70, v71
	v_fmac_f32_e32 v70, v72, v69
	s_delay_alu instid0(VALU_DEP_1) | instskip(NEXT) | instid1(VALU_DEP_1)
	v_fma_f32 v68, -v68, v70, v71
	v_div_fmas_f32 v68, v68, v69, v70
	s_delay_alu instid0(VALU_DEP_1) | instskip(NEXT) | instid1(VALU_DEP_1)
	v_div_fixup_f32 v69, v68, v66, v67
	v_fmac_f32_e32 v66, v67, v69
	s_delay_alu instid0(VALU_DEP_1) | instskip(NEXT) | instid1(VALU_DEP_1)
	v_div_scale_f32 v67, null, v66, v66, 1.0
	v_rcp_f32_e32 v68, v67
	v_nop
	s_delay_alu instid0(TRANS32_DEP_1) | instskip(NEXT) | instid1(VALU_DEP_1)
	v_fma_f32 v70, -v67, v68, 1.0
	v_fmac_f32_e32 v68, v70, v68
	v_div_scale_f32 v70, vcc_lo, 1.0, v66, 1.0
	s_delay_alu instid0(VALU_DEP_1) | instskip(NEXT) | instid1(VALU_DEP_1)
	v_mul_f32_e32 v71, v70, v68
	v_fma_f32 v72, -v67, v71, v70
	s_delay_alu instid0(VALU_DEP_1) | instskip(NEXT) | instid1(VALU_DEP_1)
	v_fmac_f32_e32 v71, v72, v68
	v_fma_f32 v67, -v67, v71, v70
	s_delay_alu instid0(VALU_DEP_1) | instskip(NEXT) | instid1(VALU_DEP_1)
	v_div_fmas_f32 v67, v67, v68, v71
	v_div_fixup_f32 v68, v67, v66, 1.0
	s_delay_alu instid0(VALU_DEP_1)
	v_mul_f32_e64 v69, v69, -v68
.LBB107_322:
	s_or_b32 exec_lo, exec_lo, s1
	ds_store_b64 v139, v[68:69]
.LBB107_323:
	s_or_b32 exec_lo, exec_lo, s2
	s_wait_dscnt 0x0
	s_barrier_signal -1
	s_barrier_wait -1
	ds_load_b64 v[66:67], v139
	s_mov_b32 s1, exec_lo
	v_cmpx_lt_u32_e32 35, v138
	s_cbranch_execz .LBB107_325
; %bb.324:
	ds_load_2addr_b64 v[82:85], v148 offset0:36 offset1:37
	s_wait_dscnt 0x1
	v_pk_mul_f32 v[70:71], v[66:67], v[140:141] op_sel:[1,1] op_sel_hi:[0,1]
	s_delay_alu instid0(VALU_DEP_1) | instskip(SKIP_1) | instid1(VALU_DEP_1)
	v_pk_fma_f32 v[68:69], v[66:67], v[140:141], v[70:71] op_sel_hi:[1,0,1] neg_lo:[0,0,1] neg_hi:[0,0,1]
	v_pk_fma_f32 v[70:71], v[66:67], v[140:141], v[70:71] op_sel_hi:[1,0,1]
	v_dual_mov_b32 v140, v68 :: v_dual_mov_b32 v141, v71
	s_wait_dscnt 0x0
	s_delay_alu instid0(VALU_DEP_2) | instskip(NEXT) | instid1(VALU_DEP_1)
	v_pk_mul_f32 v[72:73], v[82:83], v[70:71] op_sel:[0,1]
	v_pk_fma_f32 v[86:87], v[82:83], v[68:69], v[72:73] op_sel:[0,0,1] op_sel_hi:[1,1,0] neg_lo:[0,0,1] neg_hi:[0,0,1]
	v_pk_fma_f32 v[72:73], v[82:83], v[68:69], v[72:73] op_sel:[0,0,1] op_sel_hi:[1,0,0]
	s_delay_alu instid0(VALU_DEP_1) | instskip(SKIP_1) | instid1(VALU_DEP_1)
	v_mov_b32_e32 v87, v73
	v_pk_mul_f32 v[72:73], v[84:85], v[70:71] op_sel:[0,1]
	v_pk_fma_f32 v[82:83], v[84:85], v[68:69], v[72:73] op_sel:[0,0,1] op_sel_hi:[1,1,0] neg_lo:[0,0,1] neg_hi:[0,0,1]
	v_pk_fma_f32 v[72:73], v[84:85], v[68:69], v[72:73] op_sel:[0,0,1] op_sel_hi:[1,0,0]
	s_delay_alu instid0(VALU_DEP_1) | instskip(SKIP_1) | instid1(VALU_DEP_2)
	v_mov_b32_e32 v83, v73
	v_pk_add_f32 v[162:163], v[162:163], v[86:87] neg_lo:[0,1] neg_hi:[0,1]
	v_pk_add_f32 v[158:159], v[158:159], v[82:83] neg_lo:[0,1] neg_hi:[0,1]
	ds_load_2addr_b64 v[82:85], v148 offset0:38 offset1:39
	s_wait_dscnt 0x0
	v_pk_mul_f32 v[72:73], v[82:83], v[70:71] op_sel:[0,1]
	s_delay_alu instid0(VALU_DEP_1) | instskip(SKIP_2) | instid1(VALU_DEP_2)
	v_pk_fma_f32 v[86:87], v[82:83], v[68:69], v[72:73] op_sel:[0,0,1] op_sel_hi:[1,1,0] neg_lo:[0,0,1] neg_hi:[0,0,1]
	v_pk_fma_f32 v[72:73], v[82:83], v[68:69], v[72:73] op_sel:[0,0,1] op_sel_hi:[1,0,0]
	v_dual_mul_f32 v82, v85, v71 :: v_dual_mov_b32 v72, v85
	v_dual_mov_b32 v87, v73 :: v_dual_mov_b32 v73, v84
	s_delay_alu instid0(VALU_DEP_2) | instskip(SKIP_1) | instid1(VALU_DEP_3)
	v_pk_fma_f32 v[82:83], v[84:85], v[140:141], v[82:83] op_sel_hi:[1,1,0] neg_lo:[0,0,1] neg_hi:[0,0,1]
	v_mul_f32_e32 v84, v85, v68
	v_pk_add_f32 v[160:161], v[160:161], v[86:87] neg_lo:[0,1] neg_hi:[0,1]
	s_delay_alu instid0(VALU_DEP_2) | instskip(NEXT) | instid1(VALU_DEP_1)
	v_pk_fma_f32 v[72:73], v[72:73], v[140:141], v[84:85] op_sel_hi:[1,1,0]
	v_mov_b32_e32 v83, v73
	s_delay_alu instid0(VALU_DEP_1) | instskip(SKIP_3) | instid1(VALU_DEP_1)
	v_pk_add_f32 v[156:157], v[156:157], v[82:83] neg_lo:[0,1] neg_hi:[0,1]
	ds_load_2addr_b64 v[82:85], v148 offset0:40 offset1:41
	s_wait_dscnt 0x0
	v_pk_mul_f32 v[72:73], v[82:83], v[70:71] op_sel:[0,1]
	v_pk_fma_f32 v[86:87], v[82:83], v[68:69], v[72:73] op_sel:[0,0,1] op_sel_hi:[1,1,0] neg_lo:[0,0,1] neg_hi:[0,0,1]
	v_pk_fma_f32 v[72:73], v[82:83], v[68:69], v[72:73] op_sel:[0,0,1] op_sel_hi:[1,0,0]
	s_delay_alu instid0(VALU_DEP_1) | instskip(SKIP_1) | instid1(VALU_DEP_2)
	v_mov_b32_e32 v87, v73
	v_pk_mul_f32 v[72:73], v[84:85], v[70:71] op_sel:[0,1]
	v_pk_add_f32 v[178:179], v[178:179], v[86:87] neg_lo:[0,1] neg_hi:[0,1]
	s_delay_alu instid0(VALU_DEP_2) | instskip(SKIP_1) | instid1(VALU_DEP_1)
	v_pk_fma_f32 v[82:83], v[84:85], v[68:69], v[72:73] op_sel:[0,0,1] op_sel_hi:[1,1,0] neg_lo:[0,0,1] neg_hi:[0,0,1]
	v_pk_fma_f32 v[72:73], v[84:85], v[68:69], v[72:73] op_sel:[0,0,1] op_sel_hi:[1,0,0]
	v_mov_b32_e32 v83, v73
	s_delay_alu instid0(VALU_DEP_1) | instskip(SKIP_3) | instid1(VALU_DEP_1)
	v_pk_add_f32 v[174:175], v[174:175], v[82:83] neg_lo:[0,1] neg_hi:[0,1]
	ds_load_2addr_b64 v[82:85], v148 offset0:42 offset1:43
	s_wait_dscnt 0x0
	v_pk_mul_f32 v[72:73], v[82:83], v[70:71] op_sel:[0,1]
	v_pk_fma_f32 v[86:87], v[82:83], v[68:69], v[72:73] op_sel:[0,0,1] op_sel_hi:[1,1,0] neg_lo:[0,0,1] neg_hi:[0,0,1]
	v_pk_fma_f32 v[72:73], v[82:83], v[68:69], v[72:73] op_sel:[0,0,1] op_sel_hi:[1,0,0]
	s_delay_alu instid0(VALU_DEP_1) | instskip(SKIP_1) | instid1(VALU_DEP_2)
	v_mov_b32_e32 v87, v73
	v_pk_mul_f32 v[72:73], v[84:85], v[70:71] op_sel:[0,1]
	v_pk_add_f32 v[176:177], v[176:177], v[86:87] neg_lo:[0,1] neg_hi:[0,1]
	s_delay_alu instid0(VALU_DEP_2) | instskip(SKIP_1) | instid1(VALU_DEP_1)
	v_pk_fma_f32 v[82:83], v[84:85], v[68:69], v[72:73] op_sel:[0,0,1] op_sel_hi:[1,1,0] neg_lo:[0,0,1] neg_hi:[0,0,1]
	v_pk_fma_f32 v[72:73], v[84:85], v[68:69], v[72:73] op_sel:[0,0,1] op_sel_hi:[1,0,0]
	v_mov_b32_e32 v83, v73
	s_delay_alu instid0(VALU_DEP_1) | instskip(SKIP_3) | instid1(VALU_DEP_1)
	v_pk_add_f32 v[172:173], v[172:173], v[82:83] neg_lo:[0,1] neg_hi:[0,1]
	ds_load_2addr_b64 v[82:85], v148 offset0:44 offset1:45
	s_wait_dscnt 0x0
	v_dual_mul_f32 v72, v83, v71 :: v_dual_mul_f32 v86, v83, v68
	v_pk_fma_f32 v[72:73], v[82:83], v[140:141], v[72:73] op_sel_hi:[1,1,0] neg_lo:[0,0,1] neg_hi:[0,0,1]
	s_delay_alu instid0(VALU_DEP_2) | instskip(NEXT) | instid1(VALU_DEP_1)
	v_pk_fma_f32 v[82:83], v[82:83], v[140:141], v[86:87] op_sel:[1,0,0] op_sel_hi:[0,1,0]
	v_mov_b32_e32 v73, v83
	s_delay_alu instid0(VALU_DEP_1) | instskip(SKIP_1) | instid1(VALU_DEP_1)
	v_pk_add_f32 v[196:197], v[196:197], v[72:73] neg_lo:[0,1] neg_hi:[0,1]
	v_pk_mul_f32 v[72:73], v[84:85], v[70:71] op_sel:[0,1]
	v_pk_fma_f32 v[82:83], v[84:85], v[68:69], v[72:73] op_sel:[0,0,1] op_sel_hi:[1,1,0] neg_lo:[0,0,1] neg_hi:[0,0,1]
	v_pk_fma_f32 v[72:73], v[84:85], v[68:69], v[72:73] op_sel:[0,0,1] op_sel_hi:[1,0,0]
	s_delay_alu instid0(VALU_DEP_1) | instskip(NEXT) | instid1(VALU_DEP_1)
	v_mov_b32_e32 v83, v73
	v_pk_add_f32 v[192:193], v[192:193], v[82:83] neg_lo:[0,1] neg_hi:[0,1]
	ds_load_2addr_b64 v[82:85], v148 offset0:46 offset1:47
	s_wait_dscnt 0x0
	v_pk_mul_f32 v[72:73], v[82:83], v[70:71] op_sel:[0,1]
	s_delay_alu instid0(VALU_DEP_1) | instskip(SKIP_1) | instid1(VALU_DEP_1)
	v_pk_fma_f32 v[86:87], v[82:83], v[68:69], v[72:73] op_sel:[0,0,1] op_sel_hi:[1,1,0] neg_lo:[0,0,1] neg_hi:[0,0,1]
	v_pk_fma_f32 v[72:73], v[82:83], v[68:69], v[72:73] op_sel:[0,0,1] op_sel_hi:[1,0,0]
	v_mov_b32_e32 v87, v73
	v_pk_mul_f32 v[72:73], v[84:85], v[70:71] op_sel:[0,1]
	s_delay_alu instid0(VALU_DEP_2) | instskip(NEXT) | instid1(VALU_DEP_2)
	v_pk_add_f32 v[194:195], v[194:195], v[86:87] neg_lo:[0,1] neg_hi:[0,1]
	v_pk_fma_f32 v[82:83], v[84:85], v[68:69], v[72:73] op_sel:[0,0,1] op_sel_hi:[1,1,0] neg_lo:[0,0,1] neg_hi:[0,0,1]
	v_pk_fma_f32 v[72:73], v[84:85], v[68:69], v[72:73] op_sel:[0,0,1] op_sel_hi:[1,0,0]
	s_delay_alu instid0(VALU_DEP_1) | instskip(NEXT) | instid1(VALU_DEP_1)
	v_mov_b32_e32 v83, v73
	v_pk_add_f32 v[190:191], v[190:191], v[82:83] neg_lo:[0,1] neg_hi:[0,1]
	ds_load_2addr_b64 v[82:85], v148 offset0:48 offset1:49
	s_wait_dscnt 0x0
	v_pk_mul_f32 v[72:73], v[82:83], v[70:71] op_sel:[0,1]
	s_delay_alu instid0(VALU_DEP_1) | instskip(SKIP_2) | instid1(VALU_DEP_2)
	v_pk_fma_f32 v[86:87], v[82:83], v[68:69], v[72:73] op_sel:[0,0,1] op_sel_hi:[1,1,0] neg_lo:[0,0,1] neg_hi:[0,0,1]
	v_pk_fma_f32 v[72:73], v[82:83], v[68:69], v[72:73] op_sel:[0,0,1] op_sel_hi:[1,0,0]
	v_dual_mul_f32 v82, v85, v71 :: v_dual_mov_b32 v72, v85
	v_dual_mov_b32 v87, v73 :: v_dual_mov_b32 v73, v84
	s_delay_alu instid0(VALU_DEP_2) | instskip(SKIP_1) | instid1(VALU_DEP_3)
	v_pk_fma_f32 v[82:83], v[84:85], v[140:141], v[82:83] op_sel_hi:[1,1,0] neg_lo:[0,0,1] neg_hi:[0,0,1]
	v_mul_f32_e32 v84, v85, v68
	v_pk_add_f32 v[212:213], v[212:213], v[86:87] neg_lo:[0,1] neg_hi:[0,1]
	s_delay_alu instid0(VALU_DEP_2) | instskip(NEXT) | instid1(VALU_DEP_1)
	v_pk_fma_f32 v[72:73], v[72:73], v[140:141], v[84:85] op_sel_hi:[1,1,0]
	v_mov_b32_e32 v83, v73
	s_delay_alu instid0(VALU_DEP_1) | instskip(SKIP_3) | instid1(VALU_DEP_1)
	v_pk_add_f32 v[208:209], v[208:209], v[82:83] neg_lo:[0,1] neg_hi:[0,1]
	ds_load_2addr_b64 v[82:85], v148 offset0:50 offset1:51
	s_wait_dscnt 0x0
	v_pk_mul_f32 v[72:73], v[82:83], v[70:71] op_sel:[0,1]
	v_pk_fma_f32 v[86:87], v[82:83], v[68:69], v[72:73] op_sel:[0,0,1] op_sel_hi:[1,1,0] neg_lo:[0,0,1] neg_hi:[0,0,1]
	v_pk_fma_f32 v[72:73], v[82:83], v[68:69], v[72:73] op_sel:[0,0,1] op_sel_hi:[1,0,0]
	s_delay_alu instid0(VALU_DEP_1) | instskip(SKIP_1) | instid1(VALU_DEP_2)
	v_mov_b32_e32 v87, v73
	v_pk_mul_f32 v[72:73], v[84:85], v[70:71] op_sel:[0,1]
	v_pk_add_f32 v[210:211], v[210:211], v[86:87] neg_lo:[0,1] neg_hi:[0,1]
	s_delay_alu instid0(VALU_DEP_2) | instskip(SKIP_1) | instid1(VALU_DEP_1)
	v_pk_fma_f32 v[82:83], v[84:85], v[68:69], v[72:73] op_sel:[0,0,1] op_sel_hi:[1,1,0] neg_lo:[0,0,1] neg_hi:[0,0,1]
	v_pk_fma_f32 v[72:73], v[84:85], v[68:69], v[72:73] op_sel:[0,0,1] op_sel_hi:[1,0,0]
	v_mov_b32_e32 v83, v73
	s_delay_alu instid0(VALU_DEP_1) | instskip(SKIP_4) | instid1(VALU_DEP_2)
	v_pk_add_f32 v[206:207], v[206:207], v[82:83] neg_lo:[0,1] neg_hi:[0,1]
	ds_load_2addr_b64 v[82:85], v148 offset0:52 offset1:53
	s_wait_dscnt 0x0
	v_pk_mul_f32 v[72:73], v[82:83], v[70:71] op_sel:[0,1]
	v_mul_f32_e32 v70, v85, v71
	v_pk_fma_f32 v[86:87], v[82:83], v[68:69], v[72:73] op_sel:[0,0,1] op_sel_hi:[1,1,0] neg_lo:[0,0,1] neg_hi:[0,0,1]
	v_pk_fma_f32 v[72:73], v[82:83], v[68:69], v[72:73] op_sel:[0,0,1] op_sel_hi:[1,0,0]
	v_dual_mov_b32 v72, v85 :: v_dual_mul_f32 v68, v85, v68
	s_delay_alu instid0(VALU_DEP_4) | instskip(NEXT) | instid1(VALU_DEP_3)
	v_pk_fma_f32 v[70:71], v[84:85], v[140:141], v[70:71] op_sel_hi:[1,1,0] neg_lo:[0,0,1] neg_hi:[0,0,1]
	v_dual_mov_b32 v87, v73 :: v_dual_mov_b32 v73, v84
	s_delay_alu instid0(VALU_DEP_1) | instskip(NEXT) | instid1(VALU_DEP_2)
	v_pk_add_f32 v[214:215], v[214:215], v[86:87] neg_lo:[0,1] neg_hi:[0,1]
	v_pk_fma_f32 v[68:69], v[72:73], v[140:141], v[68:69] op_sel_hi:[1,1,0]
	s_delay_alu instid0(VALU_DEP_1) | instskip(NEXT) | instid1(VALU_DEP_1)
	v_mov_b32_e32 v71, v69
	v_pk_add_f32 v[216:217], v[216:217], v[70:71] neg_lo:[0,1] neg_hi:[0,1]
.LBB107_325:
	s_or_b32 exec_lo, exec_lo, s1
	s_delay_alu instid0(SALU_CYCLE_1)
	s_mov_b32 s2, exec_lo
	s_wait_dscnt 0x0
	s_barrier_signal -1
	s_barrier_wait -1
	v_cmpx_eq_u32_e32 36, v138
	s_cbranch_execz .LBB107_332
; %bb.326:
	ds_store_b64 v139, v[162:163]
	ds_store_2addr_b64 v148, v[158:159], v[160:161] offset0:37 offset1:38
	ds_store_2addr_b64 v148, v[156:157], v[178:179] offset0:39 offset1:40
	;; [unrolled: 1-line block ×8, first 2 shown]
	ds_store_b64 v148, v[216:217] offset:424
	ds_load_b64 v[68:69], v139
	s_wait_dscnt 0x0
	v_cmp_neq_f32_e32 vcc_lo, 0, v68
	v_cmp_neq_f32_e64 s1, 0, v69
	s_or_b32 s1, vcc_lo, s1
	s_delay_alu instid0(SALU_CYCLE_1)
	s_and_b32 exec_lo, exec_lo, s1
	s_cbranch_execz .LBB107_332
; %bb.327:
	v_cmp_ngt_f32_e64 s1, |v68|, |v69|
                                        ; implicit-def: $vgpr70_vgpr71
	s_and_saveexec_b32 s4, s1
	s_delay_alu instid0(SALU_CYCLE_1)
	s_xor_b32 s1, exec_lo, s4
	s_cbranch_execz .LBB107_329
; %bb.328:
	v_div_scale_f32 v70, null, v69, v69, v68
	v_div_scale_f32 v73, vcc_lo, v68, v69, v68
	s_delay_alu instid0(VALU_DEP_2) | instskip(SKIP_1) | instid1(TRANS32_DEP_1)
	v_rcp_f32_e32 v71, v70
	v_nop
	v_fma_f32 v72, -v70, v71, 1.0
	s_delay_alu instid0(VALU_DEP_1) | instskip(NEXT) | instid1(VALU_DEP_1)
	v_fmac_f32_e32 v71, v72, v71
	v_mul_f32_e32 v72, v73, v71
	s_delay_alu instid0(VALU_DEP_1) | instskip(NEXT) | instid1(VALU_DEP_1)
	v_fma_f32 v82, -v70, v72, v73
	v_fmac_f32_e32 v72, v82, v71
	s_delay_alu instid0(VALU_DEP_1) | instskip(NEXT) | instid1(VALU_DEP_1)
	v_fma_f32 v70, -v70, v72, v73
	v_div_fmas_f32 v70, v70, v71, v72
	s_delay_alu instid0(VALU_DEP_1) | instskip(NEXT) | instid1(VALU_DEP_1)
	v_div_fixup_f32 v70, v70, v69, v68
	v_fmac_f32_e32 v69, v68, v70
	s_delay_alu instid0(VALU_DEP_1) | instskip(SKIP_1) | instid1(VALU_DEP_2)
	v_div_scale_f32 v68, null, v69, v69, 1.0
	v_div_scale_f32 v73, vcc_lo, 1.0, v69, 1.0
	v_rcp_f32_e32 v71, v68
	v_nop
	s_delay_alu instid0(TRANS32_DEP_1) | instskip(NEXT) | instid1(VALU_DEP_1)
	v_fma_f32 v72, -v68, v71, 1.0
	v_fmac_f32_e32 v71, v72, v71
	s_delay_alu instid0(VALU_DEP_1) | instskip(NEXT) | instid1(VALU_DEP_1)
	v_mul_f32_e32 v72, v73, v71
	v_fma_f32 v82, -v68, v72, v73
	s_delay_alu instid0(VALU_DEP_1) | instskip(NEXT) | instid1(VALU_DEP_1)
	v_fmac_f32_e32 v72, v82, v71
	v_fma_f32 v68, -v68, v72, v73
	s_delay_alu instid0(VALU_DEP_1) | instskip(NEXT) | instid1(VALU_DEP_1)
	v_div_fmas_f32 v68, v68, v71, v72
	v_div_fixup_f32 v68, v68, v69, 1.0
	s_delay_alu instid0(VALU_DEP_1)
	v_mul_f32_e32 v70, v70, v68
	v_xor_b32_e32 v71, 0x80000000, v68
                                        ; implicit-def: $vgpr68_vgpr69
.LBB107_329:
	s_and_not1_saveexec_b32 s1, s1
	s_cbranch_execz .LBB107_331
; %bb.330:
	v_div_scale_f32 v70, null, v68, v68, v69
	v_div_scale_f32 v73, vcc_lo, v69, v68, v69
	s_delay_alu instid0(VALU_DEP_2) | instskip(SKIP_1) | instid1(TRANS32_DEP_1)
	v_rcp_f32_e32 v71, v70
	v_nop
	v_fma_f32 v72, -v70, v71, 1.0
	s_delay_alu instid0(VALU_DEP_1) | instskip(NEXT) | instid1(VALU_DEP_1)
	v_fmac_f32_e32 v71, v72, v71
	v_mul_f32_e32 v72, v73, v71
	s_delay_alu instid0(VALU_DEP_1) | instskip(NEXT) | instid1(VALU_DEP_1)
	v_fma_f32 v82, -v70, v72, v73
	v_fmac_f32_e32 v72, v82, v71
	s_delay_alu instid0(VALU_DEP_1) | instskip(NEXT) | instid1(VALU_DEP_1)
	v_fma_f32 v70, -v70, v72, v73
	v_div_fmas_f32 v70, v70, v71, v72
	s_delay_alu instid0(VALU_DEP_1) | instskip(NEXT) | instid1(VALU_DEP_1)
	v_div_fixup_f32 v71, v70, v68, v69
	v_fmac_f32_e32 v68, v69, v71
	s_delay_alu instid0(VALU_DEP_1) | instskip(NEXT) | instid1(VALU_DEP_1)
	v_div_scale_f32 v69, null, v68, v68, 1.0
	v_rcp_f32_e32 v70, v69
	v_nop
	s_delay_alu instid0(TRANS32_DEP_1) | instskip(NEXT) | instid1(VALU_DEP_1)
	v_fma_f32 v72, -v69, v70, 1.0
	v_fmac_f32_e32 v70, v72, v70
	v_div_scale_f32 v72, vcc_lo, 1.0, v68, 1.0
	s_delay_alu instid0(VALU_DEP_1) | instskip(NEXT) | instid1(VALU_DEP_1)
	v_mul_f32_e32 v73, v72, v70
	v_fma_f32 v82, -v69, v73, v72
	s_delay_alu instid0(VALU_DEP_1) | instskip(NEXT) | instid1(VALU_DEP_1)
	v_fmac_f32_e32 v73, v82, v70
	v_fma_f32 v69, -v69, v73, v72
	s_delay_alu instid0(VALU_DEP_1) | instskip(NEXT) | instid1(VALU_DEP_1)
	v_div_fmas_f32 v69, v69, v70, v73
	v_div_fixup_f32 v70, v69, v68, 1.0
	s_delay_alu instid0(VALU_DEP_1)
	v_mul_f32_e64 v71, v71, -v70
.LBB107_331:
	s_or_b32 exec_lo, exec_lo, s1
	ds_store_b64 v139, v[70:71]
.LBB107_332:
	s_or_b32 exec_lo, exec_lo, s2
	s_wait_dscnt 0x0
	s_barrier_signal -1
	s_barrier_wait -1
	ds_load_b64 v[68:69], v139
	s_mov_b32 s1, exec_lo
	v_cmpx_lt_u32_e32 36, v138
	s_cbranch_execz .LBB107_334
; %bb.333:
	ds_load_2addr_b64 v[82:85], v148 offset0:37 offset1:38
	s_wait_dscnt 0x1
	v_pk_mul_f32 v[72:73], v[68:69], v[162:163] op_sel:[1,1] op_sel_hi:[0,1]
	s_delay_alu instid0(VALU_DEP_1) | instskip(SKIP_1) | instid1(VALU_DEP_1)
	v_pk_fma_f32 v[70:71], v[68:69], v[162:163], v[72:73] op_sel_hi:[1,0,1] neg_lo:[0,0,1] neg_hi:[0,0,1]
	v_pk_fma_f32 v[72:73], v[68:69], v[162:163], v[72:73] op_sel_hi:[1,0,1]
	v_dual_mov_b32 v162, v70 :: v_dual_mov_b32 v163, v73
	s_wait_dscnt 0x0
	s_delay_alu instid0(VALU_DEP_2) | instskip(NEXT) | instid1(VALU_DEP_1)
	v_pk_mul_f32 v[86:87], v[82:83], v[72:73] op_sel:[0,1]
	v_pk_fma_f32 v[88:89], v[82:83], v[70:71], v[86:87] op_sel:[0,0,1] op_sel_hi:[1,1,0] neg_lo:[0,0,1] neg_hi:[0,0,1]
	v_pk_fma_f32 v[82:83], v[82:83], v[70:71], v[86:87] op_sel:[0,0,1] op_sel_hi:[1,0,0]
	s_delay_alu instid0(VALU_DEP_1) | instskip(SKIP_1) | instid1(VALU_DEP_1)
	v_mov_b32_e32 v89, v83
	v_pk_mul_f32 v[82:83], v[84:85], v[72:73] op_sel:[0,1]
	v_pk_fma_f32 v[86:87], v[84:85], v[70:71], v[82:83] op_sel:[0,0,1] op_sel_hi:[1,1,0] neg_lo:[0,0,1] neg_hi:[0,0,1]
	v_pk_fma_f32 v[82:83], v[84:85], v[70:71], v[82:83] op_sel:[0,0,1] op_sel_hi:[1,0,0]
	s_delay_alu instid0(VALU_DEP_1)
	v_mov_b32_e32 v87, v83
	ds_load_2addr_b64 v[82:85], v148 offset0:39 offset1:40
	v_pk_add_f32 v[158:159], v[158:159], v[88:89] neg_lo:[0,1] neg_hi:[0,1]
	v_pk_add_f32 v[160:161], v[160:161], v[86:87] neg_lo:[0,1] neg_hi:[0,1]
	s_wait_dscnt 0x0
	v_pk_mul_f32 v[86:87], v[82:83], v[72:73] op_sel:[0,1]
	s_delay_alu instid0(VALU_DEP_1) | instskip(SKIP_2) | instid1(VALU_DEP_2)
	v_pk_fma_f32 v[88:89], v[82:83], v[70:71], v[86:87] op_sel:[0,0,1] op_sel_hi:[1,1,0] neg_lo:[0,0,1] neg_hi:[0,0,1]
	v_pk_fma_f32 v[82:83], v[82:83], v[70:71], v[86:87] op_sel:[0,0,1] op_sel_hi:[1,0,0]
	v_dual_mul_f32 v86, v85, v73 :: v_dual_mov_b32 v82, v85
	v_dual_mov_b32 v89, v83 :: v_dual_mov_b32 v83, v84
	s_delay_alu instid0(VALU_DEP_2) | instskip(SKIP_1) | instid1(VALU_DEP_3)
	v_pk_fma_f32 v[86:87], v[84:85], v[162:163], v[86:87] op_sel_hi:[1,1,0] neg_lo:[0,0,1] neg_hi:[0,0,1]
	v_mul_f32_e32 v84, v85, v70
	v_pk_add_f32 v[156:157], v[156:157], v[88:89] neg_lo:[0,1] neg_hi:[0,1]
	s_delay_alu instid0(VALU_DEP_2) | instskip(NEXT) | instid1(VALU_DEP_1)
	v_pk_fma_f32 v[82:83], v[82:83], v[162:163], v[84:85] op_sel_hi:[1,1,0]
	v_mov_b32_e32 v87, v83
	ds_load_2addr_b64 v[82:85], v148 offset0:41 offset1:42
	v_pk_add_f32 v[178:179], v[178:179], v[86:87] neg_lo:[0,1] neg_hi:[0,1]
	s_wait_dscnt 0x0
	v_pk_mul_f32 v[86:87], v[82:83], v[72:73] op_sel:[0,1]
	s_delay_alu instid0(VALU_DEP_1) | instskip(SKIP_1) | instid1(VALU_DEP_1)
	v_pk_fma_f32 v[88:89], v[82:83], v[70:71], v[86:87] op_sel:[0,0,1] op_sel_hi:[1,1,0] neg_lo:[0,0,1] neg_hi:[0,0,1]
	v_pk_fma_f32 v[82:83], v[82:83], v[70:71], v[86:87] op_sel:[0,0,1] op_sel_hi:[1,0,0]
	v_mov_b32_e32 v89, v83
	v_pk_mul_f32 v[82:83], v[84:85], v[72:73] op_sel:[0,1]
	s_delay_alu instid0(VALU_DEP_1) | instskip(SKIP_1) | instid1(VALU_DEP_1)
	v_pk_fma_f32 v[86:87], v[84:85], v[70:71], v[82:83] op_sel:[0,0,1] op_sel_hi:[1,1,0] neg_lo:[0,0,1] neg_hi:[0,0,1]
	v_pk_fma_f32 v[82:83], v[84:85], v[70:71], v[82:83] op_sel:[0,0,1] op_sel_hi:[1,0,0]
	v_mov_b32_e32 v87, v83
	ds_load_2addr_b64 v[82:85], v148 offset0:43 offset1:44
	v_pk_add_f32 v[174:175], v[174:175], v[88:89] neg_lo:[0,1] neg_hi:[0,1]
	v_pk_add_f32 v[176:177], v[176:177], v[86:87] neg_lo:[0,1] neg_hi:[0,1]
	s_wait_dscnt 0x0
	v_pk_mul_f32 v[86:87], v[82:83], v[72:73] op_sel:[0,1]
	s_delay_alu instid0(VALU_DEP_1) | instskip(SKIP_1) | instid1(VALU_DEP_1)
	v_pk_fma_f32 v[88:89], v[82:83], v[70:71], v[86:87] op_sel:[0,0,1] op_sel_hi:[1,1,0] neg_lo:[0,0,1] neg_hi:[0,0,1]
	v_pk_fma_f32 v[82:83], v[82:83], v[70:71], v[86:87] op_sel:[0,0,1] op_sel_hi:[1,0,0]
	v_mov_b32_e32 v89, v83
	v_pk_mul_f32 v[82:83], v[84:85], v[72:73] op_sel:[0,1]
	s_delay_alu instid0(VALU_DEP_1) | instskip(SKIP_1) | instid1(VALU_DEP_1)
	v_pk_fma_f32 v[86:87], v[84:85], v[70:71], v[82:83] op_sel:[0,0,1] op_sel_hi:[1,1,0] neg_lo:[0,0,1] neg_hi:[0,0,1]
	v_pk_fma_f32 v[82:83], v[84:85], v[70:71], v[82:83] op_sel:[0,0,1] op_sel_hi:[1,0,0]
	v_mov_b32_e32 v87, v83
	ds_load_2addr_b64 v[82:85], v148 offset0:45 offset1:46
	v_pk_add_f32 v[172:173], v[172:173], v[88:89] neg_lo:[0,1] neg_hi:[0,1]
	v_pk_add_f32 v[196:197], v[196:197], v[86:87] neg_lo:[0,1] neg_hi:[0,1]
	s_wait_dscnt 0x0
	v_dual_mul_f32 v86, v83, v73 :: v_dual_mul_f32 v88, v83, v70
	s_delay_alu instid0(VALU_DEP_1) | instskip(NEXT) | instid1(VALU_DEP_2)
	v_pk_fma_f32 v[86:87], v[82:83], v[162:163], v[86:87] op_sel_hi:[1,1,0] neg_lo:[0,0,1] neg_hi:[0,0,1]
	v_pk_fma_f32 v[82:83], v[82:83], v[162:163], v[88:89] op_sel:[1,0,0] op_sel_hi:[0,1,0]
	s_delay_alu instid0(VALU_DEP_1) | instskip(SKIP_1) | instid1(VALU_DEP_2)
	v_mov_b32_e32 v87, v83
	v_pk_mul_f32 v[82:83], v[84:85], v[72:73] op_sel:[0,1]
	v_pk_add_f32 v[192:193], v[192:193], v[86:87] neg_lo:[0,1] neg_hi:[0,1]
	s_delay_alu instid0(VALU_DEP_2) | instskip(SKIP_1) | instid1(VALU_DEP_1)
	v_pk_fma_f32 v[86:87], v[84:85], v[70:71], v[82:83] op_sel:[0,0,1] op_sel_hi:[1,1,0] neg_lo:[0,0,1] neg_hi:[0,0,1]
	v_pk_fma_f32 v[82:83], v[84:85], v[70:71], v[82:83] op_sel:[0,0,1] op_sel_hi:[1,0,0]
	v_mov_b32_e32 v87, v83
	ds_load_2addr_b64 v[82:85], v148 offset0:47 offset1:48
	v_pk_add_f32 v[194:195], v[194:195], v[86:87] neg_lo:[0,1] neg_hi:[0,1]
	s_wait_dscnt 0x0
	v_pk_mul_f32 v[86:87], v[82:83], v[72:73] op_sel:[0,1]
	s_delay_alu instid0(VALU_DEP_1) | instskip(SKIP_1) | instid1(VALU_DEP_1)
	v_pk_fma_f32 v[88:89], v[82:83], v[70:71], v[86:87] op_sel:[0,0,1] op_sel_hi:[1,1,0] neg_lo:[0,0,1] neg_hi:[0,0,1]
	v_pk_fma_f32 v[82:83], v[82:83], v[70:71], v[86:87] op_sel:[0,0,1] op_sel_hi:[1,0,0]
	v_mov_b32_e32 v89, v83
	v_pk_mul_f32 v[82:83], v[84:85], v[72:73] op_sel:[0,1]
	s_delay_alu instid0(VALU_DEP_2) | instskip(NEXT) | instid1(VALU_DEP_2)
	v_pk_add_f32 v[190:191], v[190:191], v[88:89] neg_lo:[0,1] neg_hi:[0,1]
	v_pk_fma_f32 v[86:87], v[84:85], v[70:71], v[82:83] op_sel:[0,0,1] op_sel_hi:[1,1,0] neg_lo:[0,0,1] neg_hi:[0,0,1]
	v_pk_fma_f32 v[82:83], v[84:85], v[70:71], v[82:83] op_sel:[0,0,1] op_sel_hi:[1,0,0]
	s_delay_alu instid0(VALU_DEP_1) | instskip(SKIP_4) | instid1(VALU_DEP_1)
	v_mov_b32_e32 v87, v83
	ds_load_2addr_b64 v[82:85], v148 offset0:49 offset1:50
	v_pk_add_f32 v[212:213], v[212:213], v[86:87] neg_lo:[0,1] neg_hi:[0,1]
	s_wait_dscnt 0x0
	v_pk_mul_f32 v[86:87], v[82:83], v[72:73] op_sel:[0,1]
	v_pk_fma_f32 v[88:89], v[82:83], v[70:71], v[86:87] op_sel:[0,0,1] op_sel_hi:[1,1,0] neg_lo:[0,0,1] neg_hi:[0,0,1]
	v_pk_fma_f32 v[82:83], v[82:83], v[70:71], v[86:87] op_sel:[0,0,1] op_sel_hi:[1,0,0]
	v_dual_mul_f32 v86, v85, v73 :: v_dual_mov_b32 v82, v85
	s_delay_alu instid0(VALU_DEP_2) | instskip(NEXT) | instid1(VALU_DEP_2)
	v_dual_mov_b32 v89, v83 :: v_dual_mov_b32 v83, v84
	v_pk_fma_f32 v[86:87], v[84:85], v[162:163], v[86:87] op_sel_hi:[1,1,0] neg_lo:[0,0,1] neg_hi:[0,0,1]
	v_mul_f32_e32 v84, v85, v70
	s_delay_alu instid0(VALU_DEP_3) | instskip(NEXT) | instid1(VALU_DEP_2)
	v_pk_add_f32 v[208:209], v[208:209], v[88:89] neg_lo:[0,1] neg_hi:[0,1]
	v_pk_fma_f32 v[82:83], v[82:83], v[162:163], v[84:85] op_sel_hi:[1,1,0]
	s_delay_alu instid0(VALU_DEP_1) | instskip(SKIP_4) | instid1(VALU_DEP_1)
	v_mov_b32_e32 v87, v83
	ds_load_2addr_b64 v[82:85], v148 offset0:51 offset1:52
	v_pk_add_f32 v[210:211], v[210:211], v[86:87] neg_lo:[0,1] neg_hi:[0,1]
	s_wait_dscnt 0x0
	v_pk_mul_f32 v[86:87], v[82:83], v[72:73] op_sel:[0,1]
	v_pk_fma_f32 v[88:89], v[82:83], v[70:71], v[86:87] op_sel:[0,0,1] op_sel_hi:[1,1,0] neg_lo:[0,0,1] neg_hi:[0,0,1]
	v_pk_fma_f32 v[82:83], v[82:83], v[70:71], v[86:87] op_sel:[0,0,1] op_sel_hi:[1,0,0]
	s_delay_alu instid0(VALU_DEP_1) | instskip(SKIP_1) | instid1(VALU_DEP_1)
	v_mov_b32_e32 v89, v83
	v_pk_mul_f32 v[82:83], v[84:85], v[72:73] op_sel:[0,1]
	v_pk_fma_f32 v[86:87], v[84:85], v[70:71], v[82:83] op_sel:[0,0,1] op_sel_hi:[1,1,0] neg_lo:[0,0,1] neg_hi:[0,0,1]
	v_pk_fma_f32 v[82:83], v[84:85], v[70:71], v[82:83] op_sel:[0,0,1] op_sel_hi:[1,0,0]
	s_delay_alu instid0(VALU_DEP_1)
	v_mov_b32_e32 v87, v83
	ds_load_b64 v[82:83], v148 offset:424
	v_pk_add_f32 v[206:207], v[206:207], v[88:89] neg_lo:[0,1] neg_hi:[0,1]
	v_pk_add_f32 v[214:215], v[214:215], v[86:87] neg_lo:[0,1] neg_hi:[0,1]
	s_wait_dscnt 0x0
	v_pk_mul_f32 v[72:73], v[82:83], v[72:73] op_sel:[0,1]
	s_delay_alu instid0(VALU_DEP_1) | instskip(SKIP_1) | instid1(VALU_DEP_1)
	v_pk_fma_f32 v[84:85], v[82:83], v[70:71], v[72:73] op_sel:[0,0,1] op_sel_hi:[1,1,0] neg_lo:[0,0,1] neg_hi:[0,0,1]
	v_pk_fma_f32 v[70:71], v[82:83], v[70:71], v[72:73] op_sel:[0,0,1] op_sel_hi:[1,0,0]
	v_mov_b32_e32 v85, v71
	s_delay_alu instid0(VALU_DEP_1)
	v_pk_add_f32 v[216:217], v[216:217], v[84:85] neg_lo:[0,1] neg_hi:[0,1]
.LBB107_334:
	s_or_b32 exec_lo, exec_lo, s1
	s_delay_alu instid0(SALU_CYCLE_1)
	s_mov_b32 s2, exec_lo
	s_wait_dscnt 0x0
	s_barrier_signal -1
	s_barrier_wait -1
	v_cmpx_eq_u32_e32 37, v138
	s_cbranch_execz .LBB107_341
; %bb.335:
	v_dual_mov_b32 v70, v160 :: v_dual_mov_b32 v71, v161
	v_dual_mov_b32 v72, v156 :: v_dual_mov_b32 v73, v157
	ds_store_b64 v139, v[158:159]
	ds_store_2addr_b64 v148, v[70:71], v[72:73] offset0:38 offset1:39
	v_dual_mov_b32 v70, v178 :: v_dual_mov_b32 v71, v179
	v_dual_mov_b32 v72, v174 :: v_dual_mov_b32 v73, v175
	ds_store_2addr_b64 v148, v[70:71], v[72:73] offset0:40 offset1:41
	v_dual_mov_b32 v70, v176 :: v_dual_mov_b32 v71, v177
	v_dual_mov_b32 v72, v172 :: v_dual_mov_b32 v73, v173
	ds_store_2addr_b64 v148, v[70:71], v[72:73] offset0:42 offset1:43
	v_dual_mov_b32 v70, v196 :: v_dual_mov_b32 v71, v197
	v_dual_mov_b32 v72, v192 :: v_dual_mov_b32 v73, v193
	ds_store_2addr_b64 v148, v[70:71], v[72:73] offset0:44 offset1:45
	v_dual_mov_b32 v70, v194 :: v_dual_mov_b32 v71, v195
	v_dual_mov_b32 v72, v190 :: v_dual_mov_b32 v73, v191
	ds_store_2addr_b64 v148, v[70:71], v[72:73] offset0:46 offset1:47
	v_dual_mov_b32 v70, v212 :: v_dual_mov_b32 v71, v213
	v_dual_mov_b32 v72, v208 :: v_dual_mov_b32 v73, v209
	ds_store_2addr_b64 v148, v[70:71], v[72:73] offset0:48 offset1:49
	v_dual_mov_b32 v70, v210 :: v_dual_mov_b32 v71, v211
	v_dual_mov_b32 v72, v206 :: v_dual_mov_b32 v73, v207
	ds_store_2addr_b64 v148, v[70:71], v[72:73] offset0:50 offset1:51
	v_dual_mov_b32 v70, v214 :: v_dual_mov_b32 v71, v215
	ds_store_2addr_b64 v148, v[70:71], v[216:217] offset0:52 offset1:53
	ds_load_b64 v[70:71], v139
	s_wait_dscnt 0x0
	v_cmp_neq_f32_e32 vcc_lo, 0, v70
	v_cmp_neq_f32_e64 s1, 0, v71
	s_or_b32 s1, vcc_lo, s1
	s_delay_alu instid0(SALU_CYCLE_1)
	s_and_b32 exec_lo, exec_lo, s1
	s_cbranch_execz .LBB107_341
; %bb.336:
	v_cmp_ngt_f32_e64 s1, |v70|, |v71|
                                        ; implicit-def: $vgpr72_vgpr73
	s_and_saveexec_b32 s4, s1
	s_delay_alu instid0(SALU_CYCLE_1)
	s_xor_b32 s1, exec_lo, s4
	s_cbranch_execz .LBB107_338
; %bb.337:
	v_div_scale_f32 v72, null, v71, v71, v70
	v_div_scale_f32 v83, vcc_lo, v70, v71, v70
	s_delay_alu instid0(VALU_DEP_2) | instskip(SKIP_1) | instid1(TRANS32_DEP_1)
	v_rcp_f32_e32 v73, v72
	v_nop
	v_fma_f32 v82, -v72, v73, 1.0
	s_delay_alu instid0(VALU_DEP_1) | instskip(NEXT) | instid1(VALU_DEP_1)
	v_fmac_f32_e32 v73, v82, v73
	v_mul_f32_e32 v82, v83, v73
	s_delay_alu instid0(VALU_DEP_1) | instskip(NEXT) | instid1(VALU_DEP_1)
	v_fma_f32 v84, -v72, v82, v83
	v_fmac_f32_e32 v82, v84, v73
	s_delay_alu instid0(VALU_DEP_1) | instskip(NEXT) | instid1(VALU_DEP_1)
	v_fma_f32 v72, -v72, v82, v83
	v_div_fmas_f32 v72, v72, v73, v82
	s_delay_alu instid0(VALU_DEP_1) | instskip(NEXT) | instid1(VALU_DEP_1)
	v_div_fixup_f32 v72, v72, v71, v70
	v_fmac_f32_e32 v71, v70, v72
	s_delay_alu instid0(VALU_DEP_1) | instskip(SKIP_1) | instid1(VALU_DEP_2)
	v_div_scale_f32 v70, null, v71, v71, 1.0
	v_div_scale_f32 v83, vcc_lo, 1.0, v71, 1.0
	v_rcp_f32_e32 v73, v70
	v_nop
	s_delay_alu instid0(TRANS32_DEP_1) | instskip(NEXT) | instid1(VALU_DEP_1)
	v_fma_f32 v82, -v70, v73, 1.0
	v_fmac_f32_e32 v73, v82, v73
	s_delay_alu instid0(VALU_DEP_1) | instskip(NEXT) | instid1(VALU_DEP_1)
	v_mul_f32_e32 v82, v83, v73
	v_fma_f32 v84, -v70, v82, v83
	s_delay_alu instid0(VALU_DEP_1) | instskip(NEXT) | instid1(VALU_DEP_1)
	v_fmac_f32_e32 v82, v84, v73
	v_fma_f32 v70, -v70, v82, v83
	s_delay_alu instid0(VALU_DEP_1) | instskip(NEXT) | instid1(VALU_DEP_1)
	v_div_fmas_f32 v70, v70, v73, v82
	v_div_fixup_f32 v70, v70, v71, 1.0
	s_delay_alu instid0(VALU_DEP_1)
	v_mul_f32_e32 v72, v72, v70
	v_xor_b32_e32 v73, 0x80000000, v70
                                        ; implicit-def: $vgpr70_vgpr71
.LBB107_338:
	s_and_not1_saveexec_b32 s1, s1
	s_cbranch_execz .LBB107_340
; %bb.339:
	v_div_scale_f32 v72, null, v70, v70, v71
	v_div_scale_f32 v83, vcc_lo, v71, v70, v71
	s_delay_alu instid0(VALU_DEP_2) | instskip(SKIP_1) | instid1(TRANS32_DEP_1)
	v_rcp_f32_e32 v73, v72
	v_nop
	v_fma_f32 v82, -v72, v73, 1.0
	s_delay_alu instid0(VALU_DEP_1) | instskip(NEXT) | instid1(VALU_DEP_1)
	v_fmac_f32_e32 v73, v82, v73
	v_mul_f32_e32 v82, v83, v73
	s_delay_alu instid0(VALU_DEP_1) | instskip(NEXT) | instid1(VALU_DEP_1)
	v_fma_f32 v84, -v72, v82, v83
	v_fmac_f32_e32 v82, v84, v73
	s_delay_alu instid0(VALU_DEP_1) | instskip(NEXT) | instid1(VALU_DEP_1)
	v_fma_f32 v72, -v72, v82, v83
	v_div_fmas_f32 v72, v72, v73, v82
	s_delay_alu instid0(VALU_DEP_1) | instskip(NEXT) | instid1(VALU_DEP_1)
	v_div_fixup_f32 v73, v72, v70, v71
	v_fmac_f32_e32 v70, v71, v73
	s_delay_alu instid0(VALU_DEP_1) | instskip(NEXT) | instid1(VALU_DEP_1)
	v_div_scale_f32 v71, null, v70, v70, 1.0
	v_rcp_f32_e32 v72, v71
	v_nop
	s_delay_alu instid0(TRANS32_DEP_1) | instskip(NEXT) | instid1(VALU_DEP_1)
	v_fma_f32 v82, -v71, v72, 1.0
	v_fmac_f32_e32 v72, v82, v72
	v_div_scale_f32 v82, vcc_lo, 1.0, v70, 1.0
	s_delay_alu instid0(VALU_DEP_1) | instskip(NEXT) | instid1(VALU_DEP_1)
	v_mul_f32_e32 v83, v82, v72
	v_fma_f32 v84, -v71, v83, v82
	s_delay_alu instid0(VALU_DEP_1) | instskip(NEXT) | instid1(VALU_DEP_1)
	v_fmac_f32_e32 v83, v84, v72
	v_fma_f32 v71, -v71, v83, v82
	s_delay_alu instid0(VALU_DEP_1) | instskip(NEXT) | instid1(VALU_DEP_1)
	v_div_fmas_f32 v71, v71, v72, v83
	v_div_fixup_f32 v72, v71, v70, 1.0
	s_delay_alu instid0(VALU_DEP_1)
	v_mul_f32_e64 v73, v73, -v72
.LBB107_340:
	s_or_b32 exec_lo, exec_lo, s1
	ds_store_b64 v139, v[72:73]
.LBB107_341:
	s_or_b32 exec_lo, exec_lo, s2
	s_wait_dscnt 0x0
	s_barrier_signal -1
	s_barrier_wait -1
	ds_load_b64 v[70:71], v139
	s_mov_b32 s1, exec_lo
	v_cmpx_lt_u32_e32 37, v138
	s_cbranch_execz .LBB107_343
; %bb.342:
	ds_load_2addr_b64 v[84:87], v148 offset0:38 offset1:39
	s_wait_dscnt 0x1
	v_pk_mul_f32 v[82:83], v[70:71], v[158:159] op_sel:[1,1] op_sel_hi:[0,1]
	s_delay_alu instid0(VALU_DEP_1) | instskip(SKIP_1) | instid1(VALU_DEP_1)
	v_pk_fma_f32 v[72:73], v[70:71], v[158:159], v[82:83] op_sel_hi:[1,0,1] neg_lo:[0,0,1] neg_hi:[0,0,1]
	v_pk_fma_f32 v[82:83], v[70:71], v[158:159], v[82:83] op_sel_hi:[1,0,1]
	v_dual_mov_b32 v158, v72 :: v_dual_mov_b32 v159, v83
	s_wait_dscnt 0x0
	s_delay_alu instid0(VALU_DEP_2) | instskip(NEXT) | instid1(VALU_DEP_1)
	v_pk_mul_f32 v[88:89], v[84:85], v[82:83] op_sel:[0,1]
	v_pk_fma_f32 v[98:99], v[84:85], v[72:73], v[88:89] op_sel:[0,0,1] op_sel_hi:[1,1,0] neg_lo:[0,0,1] neg_hi:[0,0,1]
	v_pk_fma_f32 v[84:85], v[84:85], v[72:73], v[88:89] op_sel:[0,0,1] op_sel_hi:[1,0,0]
	s_delay_alu instid0(VALU_DEP_1) | instskip(SKIP_1) | instid1(VALU_DEP_1)
	v_mov_b32_e32 v99, v85
	v_pk_mul_f32 v[84:85], v[86:87], v[82:83] op_sel:[0,1]
	v_pk_fma_f32 v[88:89], v[86:87], v[72:73], v[84:85] op_sel:[0,0,1] op_sel_hi:[1,1,0] neg_lo:[0,0,1] neg_hi:[0,0,1]
	v_pk_fma_f32 v[84:85], v[86:87], v[72:73], v[84:85] op_sel:[0,0,1] op_sel_hi:[1,0,0]
	s_delay_alu instid0(VALU_DEP_1)
	v_mov_b32_e32 v89, v85
	ds_load_2addr_b64 v[84:87], v148 offset0:40 offset1:41
	v_pk_add_f32 v[160:161], v[160:161], v[98:99] neg_lo:[0,1] neg_hi:[0,1]
	v_pk_add_f32 v[156:157], v[156:157], v[88:89] neg_lo:[0,1] neg_hi:[0,1]
	s_wait_dscnt 0x0
	v_pk_mul_f32 v[88:89], v[84:85], v[82:83] op_sel:[0,1]
	s_delay_alu instid0(VALU_DEP_1) | instskip(SKIP_2) | instid1(VALU_DEP_2)
	v_pk_fma_f32 v[98:99], v[84:85], v[72:73], v[88:89] op_sel:[0,0,1] op_sel_hi:[1,1,0] neg_lo:[0,0,1] neg_hi:[0,0,1]
	v_pk_fma_f32 v[84:85], v[84:85], v[72:73], v[88:89] op_sel:[0,0,1] op_sel_hi:[1,0,0]
	v_dual_mul_f32 v88, v87, v83 :: v_dual_mov_b32 v84, v87
	v_dual_mov_b32 v99, v85 :: v_dual_mov_b32 v85, v86
	s_delay_alu instid0(VALU_DEP_2) | instskip(SKIP_1) | instid1(VALU_DEP_3)
	v_pk_fma_f32 v[88:89], v[86:87], v[158:159], v[88:89] op_sel_hi:[1,1,0] neg_lo:[0,0,1] neg_hi:[0,0,1]
	v_mul_f32_e32 v86, v87, v72
	v_pk_add_f32 v[178:179], v[178:179], v[98:99] neg_lo:[0,1] neg_hi:[0,1]
	s_delay_alu instid0(VALU_DEP_2) | instskip(NEXT) | instid1(VALU_DEP_1)
	v_pk_fma_f32 v[84:85], v[84:85], v[158:159], v[86:87] op_sel_hi:[1,1,0]
	v_mov_b32_e32 v89, v85
	ds_load_2addr_b64 v[84:87], v148 offset0:42 offset1:43
	v_pk_add_f32 v[174:175], v[174:175], v[88:89] neg_lo:[0,1] neg_hi:[0,1]
	s_wait_dscnt 0x0
	v_pk_mul_f32 v[88:89], v[84:85], v[82:83] op_sel:[0,1]
	s_delay_alu instid0(VALU_DEP_1) | instskip(SKIP_1) | instid1(VALU_DEP_1)
	v_pk_fma_f32 v[98:99], v[84:85], v[72:73], v[88:89] op_sel:[0,0,1] op_sel_hi:[1,1,0] neg_lo:[0,0,1] neg_hi:[0,0,1]
	v_pk_fma_f32 v[84:85], v[84:85], v[72:73], v[88:89] op_sel:[0,0,1] op_sel_hi:[1,0,0]
	v_mov_b32_e32 v99, v85
	v_pk_mul_f32 v[84:85], v[86:87], v[82:83] op_sel:[0,1]
	s_delay_alu instid0(VALU_DEP_1) | instskip(SKIP_1) | instid1(VALU_DEP_1)
	v_pk_fma_f32 v[88:89], v[86:87], v[72:73], v[84:85] op_sel:[0,0,1] op_sel_hi:[1,1,0] neg_lo:[0,0,1] neg_hi:[0,0,1]
	v_pk_fma_f32 v[84:85], v[86:87], v[72:73], v[84:85] op_sel:[0,0,1] op_sel_hi:[1,0,0]
	v_mov_b32_e32 v89, v85
	ds_load_2addr_b64 v[84:87], v148 offset0:44 offset1:45
	v_pk_add_f32 v[176:177], v[176:177], v[98:99] neg_lo:[0,1] neg_hi:[0,1]
	v_pk_add_f32 v[172:173], v[172:173], v[88:89] neg_lo:[0,1] neg_hi:[0,1]
	s_wait_dscnt 0x0
	v_pk_mul_f32 v[88:89], v[84:85], v[82:83] op_sel:[0,1]
	s_delay_alu instid0(VALU_DEP_1) | instskip(SKIP_1) | instid1(VALU_DEP_1)
	v_pk_fma_f32 v[98:99], v[84:85], v[72:73], v[88:89] op_sel:[0,0,1] op_sel_hi:[1,1,0] neg_lo:[0,0,1] neg_hi:[0,0,1]
	v_pk_fma_f32 v[84:85], v[84:85], v[72:73], v[88:89] op_sel:[0,0,1] op_sel_hi:[1,0,0]
	v_mov_b32_e32 v99, v85
	v_pk_mul_f32 v[84:85], v[86:87], v[82:83] op_sel:[0,1]
	s_delay_alu instid0(VALU_DEP_1) | instskip(SKIP_1) | instid1(VALU_DEP_1)
	v_pk_fma_f32 v[88:89], v[86:87], v[72:73], v[84:85] op_sel:[0,0,1] op_sel_hi:[1,1,0] neg_lo:[0,0,1] neg_hi:[0,0,1]
	v_pk_fma_f32 v[84:85], v[86:87], v[72:73], v[84:85] op_sel:[0,0,1] op_sel_hi:[1,0,0]
	v_mov_b32_e32 v89, v85
	ds_load_2addr_b64 v[84:87], v148 offset0:46 offset1:47
	v_pk_add_f32 v[196:197], v[196:197], v[98:99] neg_lo:[0,1] neg_hi:[0,1]
	v_pk_add_f32 v[192:193], v[192:193], v[88:89] neg_lo:[0,1] neg_hi:[0,1]
	s_wait_dscnt 0x0
	v_dual_mul_f32 v88, v85, v83 :: v_dual_mul_f32 v98, v85, v72
	s_delay_alu instid0(VALU_DEP_1) | instskip(NEXT) | instid1(VALU_DEP_2)
	v_pk_fma_f32 v[88:89], v[84:85], v[158:159], v[88:89] op_sel_hi:[1,1,0] neg_lo:[0,0,1] neg_hi:[0,0,1]
	v_pk_fma_f32 v[84:85], v[84:85], v[158:159], v[98:99] op_sel:[1,0,0] op_sel_hi:[0,1,0]
	s_delay_alu instid0(VALU_DEP_1) | instskip(SKIP_1) | instid1(VALU_DEP_2)
	v_mov_b32_e32 v89, v85
	v_pk_mul_f32 v[84:85], v[86:87], v[82:83] op_sel:[0,1]
	v_pk_add_f32 v[194:195], v[194:195], v[88:89] neg_lo:[0,1] neg_hi:[0,1]
	s_delay_alu instid0(VALU_DEP_2) | instskip(SKIP_1) | instid1(VALU_DEP_1)
	v_pk_fma_f32 v[88:89], v[86:87], v[72:73], v[84:85] op_sel:[0,0,1] op_sel_hi:[1,1,0] neg_lo:[0,0,1] neg_hi:[0,0,1]
	v_pk_fma_f32 v[84:85], v[86:87], v[72:73], v[84:85] op_sel:[0,0,1] op_sel_hi:[1,0,0]
	v_mov_b32_e32 v89, v85
	ds_load_2addr_b64 v[84:87], v148 offset0:48 offset1:49
	v_pk_add_f32 v[190:191], v[190:191], v[88:89] neg_lo:[0,1] neg_hi:[0,1]
	s_wait_dscnt 0x0
	v_pk_mul_f32 v[88:89], v[84:85], v[82:83] op_sel:[0,1]
	s_delay_alu instid0(VALU_DEP_1) | instskip(SKIP_1) | instid1(VALU_DEP_1)
	v_pk_fma_f32 v[98:99], v[84:85], v[72:73], v[88:89] op_sel:[0,0,1] op_sel_hi:[1,1,0] neg_lo:[0,0,1] neg_hi:[0,0,1]
	v_pk_fma_f32 v[84:85], v[84:85], v[72:73], v[88:89] op_sel:[0,0,1] op_sel_hi:[1,0,0]
	v_mov_b32_e32 v99, v85
	v_pk_mul_f32 v[84:85], v[86:87], v[82:83] op_sel:[0,1]
	s_delay_alu instid0(VALU_DEP_2) | instskip(NEXT) | instid1(VALU_DEP_2)
	v_pk_add_f32 v[212:213], v[212:213], v[98:99] neg_lo:[0,1] neg_hi:[0,1]
	v_pk_fma_f32 v[88:89], v[86:87], v[72:73], v[84:85] op_sel:[0,0,1] op_sel_hi:[1,1,0] neg_lo:[0,0,1] neg_hi:[0,0,1]
	v_pk_fma_f32 v[84:85], v[86:87], v[72:73], v[84:85] op_sel:[0,0,1] op_sel_hi:[1,0,0]
	s_delay_alu instid0(VALU_DEP_1) | instskip(SKIP_4) | instid1(VALU_DEP_1)
	v_mov_b32_e32 v89, v85
	ds_load_2addr_b64 v[84:87], v148 offset0:50 offset1:51
	v_pk_add_f32 v[208:209], v[208:209], v[88:89] neg_lo:[0,1] neg_hi:[0,1]
	s_wait_dscnt 0x0
	v_pk_mul_f32 v[88:89], v[84:85], v[82:83] op_sel:[0,1]
	v_pk_fma_f32 v[98:99], v[84:85], v[72:73], v[88:89] op_sel:[0,0,1] op_sel_hi:[1,1,0] neg_lo:[0,0,1] neg_hi:[0,0,1]
	v_pk_fma_f32 v[84:85], v[84:85], v[72:73], v[88:89] op_sel:[0,0,1] op_sel_hi:[1,0,0]
	v_dual_mul_f32 v88, v87, v83 :: v_dual_mov_b32 v84, v87
	s_delay_alu instid0(VALU_DEP_2) | instskip(NEXT) | instid1(VALU_DEP_2)
	v_dual_mov_b32 v99, v85 :: v_dual_mov_b32 v85, v86
	v_pk_fma_f32 v[88:89], v[86:87], v[158:159], v[88:89] op_sel_hi:[1,1,0] neg_lo:[0,0,1] neg_hi:[0,0,1]
	v_mul_f32_e32 v86, v87, v72
	s_delay_alu instid0(VALU_DEP_3) | instskip(NEXT) | instid1(VALU_DEP_2)
	v_pk_add_f32 v[210:211], v[210:211], v[98:99] neg_lo:[0,1] neg_hi:[0,1]
	v_pk_fma_f32 v[84:85], v[84:85], v[158:159], v[86:87] op_sel_hi:[1,1,0]
	s_delay_alu instid0(VALU_DEP_1)
	v_mov_b32_e32 v89, v85
	ds_load_2addr_b64 v[84:87], v148 offset0:52 offset1:53
	v_pk_add_f32 v[206:207], v[206:207], v[88:89] neg_lo:[0,1] neg_hi:[0,1]
	s_wait_dscnt 0x0
	v_pk_mul_f32 v[88:89], v[84:85], v[82:83] op_sel:[0,1]
	v_pk_mul_f32 v[82:83], v[86:87], v[82:83] op_sel:[0,1]
	s_delay_alu instid0(VALU_DEP_2) | instskip(SKIP_1) | instid1(VALU_DEP_1)
	v_pk_fma_f32 v[98:99], v[84:85], v[72:73], v[88:89] op_sel:[0,0,1] op_sel_hi:[1,1,0] neg_lo:[0,0,1] neg_hi:[0,0,1]
	v_pk_fma_f32 v[84:85], v[84:85], v[72:73], v[88:89] op_sel:[0,0,1] op_sel_hi:[1,0,0]
	v_mov_b32_e32 v99, v85
	s_delay_alu instid0(VALU_DEP_4) | instskip(SKIP_1) | instid1(VALU_DEP_1)
	v_pk_fma_f32 v[84:85], v[86:87], v[72:73], v[82:83] op_sel:[0,0,1] op_sel_hi:[1,1,0] neg_lo:[0,0,1] neg_hi:[0,0,1]
	v_pk_fma_f32 v[72:73], v[86:87], v[72:73], v[82:83] op_sel:[0,0,1] op_sel_hi:[1,0,0]
	v_mov_b32_e32 v85, v73
	s_delay_alu instid0(VALU_DEP_4) | instskip(NEXT) | instid1(VALU_DEP_2)
	v_pk_add_f32 v[214:215], v[214:215], v[98:99] neg_lo:[0,1] neg_hi:[0,1]
	v_pk_add_f32 v[216:217], v[216:217], v[84:85] neg_lo:[0,1] neg_hi:[0,1]
.LBB107_343:
	s_or_b32 exec_lo, exec_lo, s1
	s_delay_alu instid0(SALU_CYCLE_1)
	s_mov_b32 s2, exec_lo
	s_wait_dscnt 0x0
	s_barrier_signal -1
	s_barrier_wait -1
	v_cmpx_eq_u32_e32 38, v138
	s_cbranch_execz .LBB107_350
; %bb.344:
	ds_store_b64 v139, v[160:161]
	ds_store_2addr_b64 v148, v[156:157], v[178:179] offset0:39 offset1:40
	ds_store_2addr_b64 v148, v[174:175], v[176:177] offset0:41 offset1:42
	;; [unrolled: 1-line block ×7, first 2 shown]
	ds_store_b64 v148, v[216:217] offset:424
	ds_load_b64 v[72:73], v139
	s_wait_dscnt 0x0
	v_cmp_neq_f32_e32 vcc_lo, 0, v72
	v_cmp_neq_f32_e64 s1, 0, v73
	s_or_b32 s1, vcc_lo, s1
	s_delay_alu instid0(SALU_CYCLE_1)
	s_and_b32 exec_lo, exec_lo, s1
	s_cbranch_execz .LBB107_350
; %bb.345:
	v_cmp_ngt_f32_e64 s1, |v72|, |v73|
                                        ; implicit-def: $vgpr82_vgpr83
	s_and_saveexec_b32 s4, s1
	s_delay_alu instid0(SALU_CYCLE_1)
	s_xor_b32 s1, exec_lo, s4
	s_cbranch_execz .LBB107_347
; %bb.346:
	v_div_scale_f32 v82, null, v73, v73, v72
	v_div_scale_f32 v85, vcc_lo, v72, v73, v72
	s_delay_alu instid0(VALU_DEP_2) | instskip(SKIP_1) | instid1(TRANS32_DEP_1)
	v_rcp_f32_e32 v83, v82
	v_nop
	v_fma_f32 v84, -v82, v83, 1.0
	s_delay_alu instid0(VALU_DEP_1) | instskip(NEXT) | instid1(VALU_DEP_1)
	v_fmac_f32_e32 v83, v84, v83
	v_mul_f32_e32 v84, v85, v83
	s_delay_alu instid0(VALU_DEP_1) | instskip(NEXT) | instid1(VALU_DEP_1)
	v_fma_f32 v86, -v82, v84, v85
	v_fmac_f32_e32 v84, v86, v83
	s_delay_alu instid0(VALU_DEP_1) | instskip(NEXT) | instid1(VALU_DEP_1)
	v_fma_f32 v82, -v82, v84, v85
	v_div_fmas_f32 v82, v82, v83, v84
	s_delay_alu instid0(VALU_DEP_1) | instskip(NEXT) | instid1(VALU_DEP_1)
	v_div_fixup_f32 v82, v82, v73, v72
	v_fmac_f32_e32 v73, v72, v82
	s_delay_alu instid0(VALU_DEP_1) | instskip(SKIP_1) | instid1(VALU_DEP_2)
	v_div_scale_f32 v72, null, v73, v73, 1.0
	v_div_scale_f32 v85, vcc_lo, 1.0, v73, 1.0
	v_rcp_f32_e32 v83, v72
	v_nop
	s_delay_alu instid0(TRANS32_DEP_1) | instskip(NEXT) | instid1(VALU_DEP_1)
	v_fma_f32 v84, -v72, v83, 1.0
	v_fmac_f32_e32 v83, v84, v83
	s_delay_alu instid0(VALU_DEP_1) | instskip(NEXT) | instid1(VALU_DEP_1)
	v_mul_f32_e32 v84, v85, v83
	v_fma_f32 v86, -v72, v84, v85
	s_delay_alu instid0(VALU_DEP_1) | instskip(NEXT) | instid1(VALU_DEP_1)
	v_fmac_f32_e32 v84, v86, v83
	v_fma_f32 v72, -v72, v84, v85
	s_delay_alu instid0(VALU_DEP_1) | instskip(NEXT) | instid1(VALU_DEP_1)
	v_div_fmas_f32 v72, v72, v83, v84
	v_div_fixup_f32 v72, v72, v73, 1.0
	s_delay_alu instid0(VALU_DEP_1)
	v_mul_f32_e32 v82, v82, v72
	v_xor_b32_e32 v83, 0x80000000, v72
                                        ; implicit-def: $vgpr72_vgpr73
.LBB107_347:
	s_and_not1_saveexec_b32 s1, s1
	s_cbranch_execz .LBB107_349
; %bb.348:
	v_div_scale_f32 v82, null, v72, v72, v73
	v_div_scale_f32 v85, vcc_lo, v73, v72, v73
	s_delay_alu instid0(VALU_DEP_2) | instskip(SKIP_1) | instid1(TRANS32_DEP_1)
	v_rcp_f32_e32 v83, v82
	v_nop
	v_fma_f32 v84, -v82, v83, 1.0
	s_delay_alu instid0(VALU_DEP_1) | instskip(NEXT) | instid1(VALU_DEP_1)
	v_fmac_f32_e32 v83, v84, v83
	v_mul_f32_e32 v84, v85, v83
	s_delay_alu instid0(VALU_DEP_1) | instskip(NEXT) | instid1(VALU_DEP_1)
	v_fma_f32 v86, -v82, v84, v85
	v_fmac_f32_e32 v84, v86, v83
	s_delay_alu instid0(VALU_DEP_1) | instskip(NEXT) | instid1(VALU_DEP_1)
	v_fma_f32 v82, -v82, v84, v85
	v_div_fmas_f32 v82, v82, v83, v84
	s_delay_alu instid0(VALU_DEP_1) | instskip(NEXT) | instid1(VALU_DEP_1)
	v_div_fixup_f32 v83, v82, v72, v73
	v_fmac_f32_e32 v72, v73, v83
	s_delay_alu instid0(VALU_DEP_1) | instskip(NEXT) | instid1(VALU_DEP_1)
	v_div_scale_f32 v73, null, v72, v72, 1.0
	v_rcp_f32_e32 v82, v73
	v_nop
	s_delay_alu instid0(TRANS32_DEP_1) | instskip(NEXT) | instid1(VALU_DEP_1)
	v_fma_f32 v84, -v73, v82, 1.0
	v_fmac_f32_e32 v82, v84, v82
	v_div_scale_f32 v84, vcc_lo, 1.0, v72, 1.0
	s_delay_alu instid0(VALU_DEP_1) | instskip(NEXT) | instid1(VALU_DEP_1)
	v_mul_f32_e32 v85, v84, v82
	v_fma_f32 v86, -v73, v85, v84
	s_delay_alu instid0(VALU_DEP_1) | instskip(NEXT) | instid1(VALU_DEP_1)
	v_fmac_f32_e32 v85, v86, v82
	v_fma_f32 v73, -v73, v85, v84
	s_delay_alu instid0(VALU_DEP_1) | instskip(NEXT) | instid1(VALU_DEP_1)
	v_div_fmas_f32 v73, v73, v82, v85
	v_div_fixup_f32 v82, v73, v72, 1.0
	s_delay_alu instid0(VALU_DEP_1)
	v_mul_f32_e64 v83, v83, -v82
.LBB107_349:
	s_or_b32 exec_lo, exec_lo, s1
	ds_store_b64 v139, v[82:83]
.LBB107_350:
	s_or_b32 exec_lo, exec_lo, s2
	s_wait_dscnt 0x0
	s_barrier_signal -1
	s_barrier_wait -1
	ds_load_b64 v[72:73], v139
	s_mov_b32 s1, exec_lo
	v_cmpx_lt_u32_e32 38, v138
	s_cbranch_execz .LBB107_352
; %bb.351:
	ds_load_2addr_b64 v[86:89], v148 offset0:39 offset1:40
	s_wait_dscnt 0x1
	v_pk_mul_f32 v[84:85], v[72:73], v[160:161] op_sel:[1,1] op_sel_hi:[0,1]
	s_delay_alu instid0(VALU_DEP_1) | instskip(SKIP_1) | instid1(VALU_DEP_1)
	v_pk_fma_f32 v[82:83], v[72:73], v[160:161], v[84:85] op_sel_hi:[1,0,1] neg_lo:[0,0,1] neg_hi:[0,0,1]
	v_pk_fma_f32 v[84:85], v[72:73], v[160:161], v[84:85] op_sel_hi:[1,0,1]
	v_dual_mov_b32 v160, v82 :: v_dual_mov_b32 v161, v85
	s_wait_dscnt 0x0
	s_delay_alu instid0(VALU_DEP_2) | instskip(NEXT) | instid1(VALU_DEP_1)
	v_pk_mul_f32 v[98:99], v[86:87], v[84:85] op_sel:[0,1]
	v_pk_fma_f32 v[100:101], v[86:87], v[82:83], v[98:99] op_sel:[0,0,1] op_sel_hi:[1,1,0] neg_lo:[0,0,1] neg_hi:[0,0,1]
	v_pk_fma_f32 v[86:87], v[86:87], v[82:83], v[98:99] op_sel:[0,0,1] op_sel_hi:[1,0,0]
	s_delay_alu instid0(VALU_DEP_1) | instskip(SKIP_1) | instid1(VALU_DEP_1)
	v_mov_b32_e32 v101, v87
	v_pk_mul_f32 v[86:87], v[88:89], v[84:85] op_sel:[0,1]
	v_pk_fma_f32 v[98:99], v[88:89], v[82:83], v[86:87] op_sel:[0,0,1] op_sel_hi:[1,1,0] neg_lo:[0,0,1] neg_hi:[0,0,1]
	v_pk_fma_f32 v[86:87], v[88:89], v[82:83], v[86:87] op_sel:[0,0,1] op_sel_hi:[1,0,0]
	s_delay_alu instid0(VALU_DEP_1)
	v_mov_b32_e32 v99, v87
	ds_load_2addr_b64 v[86:89], v148 offset0:41 offset1:42
	v_pk_add_f32 v[156:157], v[156:157], v[100:101] neg_lo:[0,1] neg_hi:[0,1]
	v_pk_add_f32 v[178:179], v[178:179], v[98:99] neg_lo:[0,1] neg_hi:[0,1]
	s_wait_dscnt 0x0
	v_pk_mul_f32 v[98:99], v[86:87], v[84:85] op_sel:[0,1]
	s_delay_alu instid0(VALU_DEP_1) | instskip(SKIP_2) | instid1(VALU_DEP_2)
	v_pk_fma_f32 v[100:101], v[86:87], v[82:83], v[98:99] op_sel:[0,0,1] op_sel_hi:[1,1,0] neg_lo:[0,0,1] neg_hi:[0,0,1]
	v_pk_fma_f32 v[86:87], v[86:87], v[82:83], v[98:99] op_sel:[0,0,1] op_sel_hi:[1,0,0]
	v_dual_mul_f32 v98, v89, v85 :: v_dual_mov_b32 v86, v89
	v_dual_mov_b32 v101, v87 :: v_dual_mov_b32 v87, v88
	s_delay_alu instid0(VALU_DEP_2) | instskip(SKIP_1) | instid1(VALU_DEP_3)
	v_pk_fma_f32 v[98:99], v[88:89], v[160:161], v[98:99] op_sel_hi:[1,1,0] neg_lo:[0,0,1] neg_hi:[0,0,1]
	v_mul_f32_e32 v88, v89, v82
	v_pk_add_f32 v[174:175], v[174:175], v[100:101] neg_lo:[0,1] neg_hi:[0,1]
	s_delay_alu instid0(VALU_DEP_2) | instskip(NEXT) | instid1(VALU_DEP_1)
	v_pk_fma_f32 v[86:87], v[86:87], v[160:161], v[88:89] op_sel_hi:[1,1,0]
	v_mov_b32_e32 v99, v87
	ds_load_2addr_b64 v[86:89], v148 offset0:43 offset1:44
	v_pk_add_f32 v[176:177], v[176:177], v[98:99] neg_lo:[0,1] neg_hi:[0,1]
	s_wait_dscnt 0x0
	v_pk_mul_f32 v[98:99], v[86:87], v[84:85] op_sel:[0,1]
	s_delay_alu instid0(VALU_DEP_1) | instskip(SKIP_1) | instid1(VALU_DEP_1)
	v_pk_fma_f32 v[100:101], v[86:87], v[82:83], v[98:99] op_sel:[0,0,1] op_sel_hi:[1,1,0] neg_lo:[0,0,1] neg_hi:[0,0,1]
	v_pk_fma_f32 v[86:87], v[86:87], v[82:83], v[98:99] op_sel:[0,0,1] op_sel_hi:[1,0,0]
	v_mov_b32_e32 v101, v87
	v_pk_mul_f32 v[86:87], v[88:89], v[84:85] op_sel:[0,1]
	s_delay_alu instid0(VALU_DEP_1) | instskip(SKIP_1) | instid1(VALU_DEP_1)
	v_pk_fma_f32 v[98:99], v[88:89], v[82:83], v[86:87] op_sel:[0,0,1] op_sel_hi:[1,1,0] neg_lo:[0,0,1] neg_hi:[0,0,1]
	v_pk_fma_f32 v[86:87], v[88:89], v[82:83], v[86:87] op_sel:[0,0,1] op_sel_hi:[1,0,0]
	v_mov_b32_e32 v99, v87
	ds_load_2addr_b64 v[86:89], v148 offset0:45 offset1:46
	v_pk_add_f32 v[172:173], v[172:173], v[100:101] neg_lo:[0,1] neg_hi:[0,1]
	v_pk_add_f32 v[196:197], v[196:197], v[98:99] neg_lo:[0,1] neg_hi:[0,1]
	s_wait_dscnt 0x0
	v_pk_mul_f32 v[98:99], v[86:87], v[84:85] op_sel:[0,1]
	s_delay_alu instid0(VALU_DEP_1) | instskip(SKIP_1) | instid1(VALU_DEP_1)
	v_pk_fma_f32 v[100:101], v[86:87], v[82:83], v[98:99] op_sel:[0,0,1] op_sel_hi:[1,1,0] neg_lo:[0,0,1] neg_hi:[0,0,1]
	v_pk_fma_f32 v[86:87], v[86:87], v[82:83], v[98:99] op_sel:[0,0,1] op_sel_hi:[1,0,0]
	v_mov_b32_e32 v101, v87
	v_pk_mul_f32 v[86:87], v[88:89], v[84:85] op_sel:[0,1]
	s_delay_alu instid0(VALU_DEP_1) | instskip(SKIP_1) | instid1(VALU_DEP_1)
	v_pk_fma_f32 v[98:99], v[88:89], v[82:83], v[86:87] op_sel:[0,0,1] op_sel_hi:[1,1,0] neg_lo:[0,0,1] neg_hi:[0,0,1]
	v_pk_fma_f32 v[86:87], v[88:89], v[82:83], v[86:87] op_sel:[0,0,1] op_sel_hi:[1,0,0]
	v_mov_b32_e32 v99, v87
	ds_load_2addr_b64 v[86:89], v148 offset0:47 offset1:48
	v_pk_add_f32 v[192:193], v[192:193], v[100:101] neg_lo:[0,1] neg_hi:[0,1]
	v_pk_add_f32 v[194:195], v[194:195], v[98:99] neg_lo:[0,1] neg_hi:[0,1]
	s_wait_dscnt 0x0
	v_dual_mul_f32 v98, v87, v85 :: v_dual_mul_f32 v100, v87, v82
	s_delay_alu instid0(VALU_DEP_1) | instskip(NEXT) | instid1(VALU_DEP_2)
	v_pk_fma_f32 v[98:99], v[86:87], v[160:161], v[98:99] op_sel_hi:[1,1,0] neg_lo:[0,0,1] neg_hi:[0,0,1]
	v_pk_fma_f32 v[86:87], v[86:87], v[160:161], v[100:101] op_sel:[1,0,0] op_sel_hi:[0,1,0]
	s_delay_alu instid0(VALU_DEP_1) | instskip(SKIP_1) | instid1(VALU_DEP_2)
	v_mov_b32_e32 v99, v87
	v_pk_mul_f32 v[86:87], v[88:89], v[84:85] op_sel:[0,1]
	v_pk_add_f32 v[190:191], v[190:191], v[98:99] neg_lo:[0,1] neg_hi:[0,1]
	s_delay_alu instid0(VALU_DEP_2) | instskip(SKIP_1) | instid1(VALU_DEP_1)
	v_pk_fma_f32 v[98:99], v[88:89], v[82:83], v[86:87] op_sel:[0,0,1] op_sel_hi:[1,1,0] neg_lo:[0,0,1] neg_hi:[0,0,1]
	v_pk_fma_f32 v[86:87], v[88:89], v[82:83], v[86:87] op_sel:[0,0,1] op_sel_hi:[1,0,0]
	v_mov_b32_e32 v99, v87
	ds_load_2addr_b64 v[86:89], v148 offset0:49 offset1:50
	v_pk_add_f32 v[212:213], v[212:213], v[98:99] neg_lo:[0,1] neg_hi:[0,1]
	s_wait_dscnt 0x0
	v_pk_mul_f32 v[98:99], v[86:87], v[84:85] op_sel:[0,1]
	s_delay_alu instid0(VALU_DEP_1) | instskip(SKIP_1) | instid1(VALU_DEP_1)
	v_pk_fma_f32 v[100:101], v[86:87], v[82:83], v[98:99] op_sel:[0,0,1] op_sel_hi:[1,1,0] neg_lo:[0,0,1] neg_hi:[0,0,1]
	v_pk_fma_f32 v[86:87], v[86:87], v[82:83], v[98:99] op_sel:[0,0,1] op_sel_hi:[1,0,0]
	v_mov_b32_e32 v101, v87
	v_pk_mul_f32 v[86:87], v[88:89], v[84:85] op_sel:[0,1]
	s_delay_alu instid0(VALU_DEP_2) | instskip(NEXT) | instid1(VALU_DEP_2)
	v_pk_add_f32 v[208:209], v[208:209], v[100:101] neg_lo:[0,1] neg_hi:[0,1]
	v_pk_fma_f32 v[98:99], v[88:89], v[82:83], v[86:87] op_sel:[0,0,1] op_sel_hi:[1,1,0] neg_lo:[0,0,1] neg_hi:[0,0,1]
	v_pk_fma_f32 v[86:87], v[88:89], v[82:83], v[86:87] op_sel:[0,0,1] op_sel_hi:[1,0,0]
	s_delay_alu instid0(VALU_DEP_1) | instskip(SKIP_4) | instid1(VALU_DEP_1)
	v_mov_b32_e32 v99, v87
	ds_load_2addr_b64 v[86:89], v148 offset0:51 offset1:52
	v_pk_add_f32 v[210:211], v[210:211], v[98:99] neg_lo:[0,1] neg_hi:[0,1]
	s_wait_dscnt 0x0
	v_pk_mul_f32 v[98:99], v[86:87], v[84:85] op_sel:[0,1]
	v_pk_fma_f32 v[100:101], v[86:87], v[82:83], v[98:99] op_sel:[0,0,1] op_sel_hi:[1,1,0] neg_lo:[0,0,1] neg_hi:[0,0,1]
	v_pk_fma_f32 v[86:87], v[86:87], v[82:83], v[98:99] op_sel:[0,0,1] op_sel_hi:[1,0,0]
	v_dual_mul_f32 v98, v89, v85 :: v_dual_mov_b32 v86, v89
	s_delay_alu instid0(VALU_DEP_2) | instskip(NEXT) | instid1(VALU_DEP_2)
	v_dual_mov_b32 v101, v87 :: v_dual_mov_b32 v87, v88
	v_pk_fma_f32 v[98:99], v[88:89], v[160:161], v[98:99] op_sel_hi:[1,1,0] neg_lo:[0,0,1] neg_hi:[0,0,1]
	v_mul_f32_e32 v88, v89, v82
	s_delay_alu instid0(VALU_DEP_3) | instskip(NEXT) | instid1(VALU_DEP_2)
	v_pk_add_f32 v[206:207], v[206:207], v[100:101] neg_lo:[0,1] neg_hi:[0,1]
	v_pk_fma_f32 v[86:87], v[86:87], v[160:161], v[88:89] op_sel_hi:[1,1,0]
	s_delay_alu instid0(VALU_DEP_1) | instskip(SKIP_4) | instid1(VALU_DEP_1)
	v_mov_b32_e32 v99, v87
	ds_load_b64 v[86:87], v148 offset:424
	v_pk_add_f32 v[214:215], v[214:215], v[98:99] neg_lo:[0,1] neg_hi:[0,1]
	s_wait_dscnt 0x0
	v_pk_mul_f32 v[84:85], v[86:87], v[84:85] op_sel:[0,1]
	v_pk_fma_f32 v[88:89], v[86:87], v[82:83], v[84:85] op_sel:[0,0,1] op_sel_hi:[1,1,0] neg_lo:[0,0,1] neg_hi:[0,0,1]
	v_pk_fma_f32 v[82:83], v[86:87], v[82:83], v[84:85] op_sel:[0,0,1] op_sel_hi:[1,0,0]
	s_delay_alu instid0(VALU_DEP_1) | instskip(NEXT) | instid1(VALU_DEP_1)
	v_mov_b32_e32 v89, v83
	v_pk_add_f32 v[216:217], v[216:217], v[88:89] neg_lo:[0,1] neg_hi:[0,1]
.LBB107_352:
	s_or_b32 exec_lo, exec_lo, s1
	s_delay_alu instid0(SALU_CYCLE_1)
	s_mov_b32 s2, exec_lo
	s_wait_dscnt 0x0
	s_barrier_signal -1
	s_barrier_wait -1
	v_cmpx_eq_u32_e32 39, v138
	s_cbranch_execz .LBB107_359
; %bb.353:
	v_dual_mov_b32 v82, v178 :: v_dual_mov_b32 v83, v179
	v_dual_mov_b32 v84, v174 :: v_dual_mov_b32 v85, v175
	ds_store_b64 v139, v[156:157]
	ds_store_2addr_b64 v148, v[82:83], v[84:85] offset0:40 offset1:41
	v_dual_mov_b32 v82, v176 :: v_dual_mov_b32 v83, v177
	v_dual_mov_b32 v84, v172 :: v_dual_mov_b32 v85, v173
	ds_store_2addr_b64 v148, v[82:83], v[84:85] offset0:42 offset1:43
	v_dual_mov_b32 v82, v196 :: v_dual_mov_b32 v83, v197
	v_dual_mov_b32 v84, v192 :: v_dual_mov_b32 v85, v193
	;; [unrolled: 3-line block ×5, first 2 shown]
	ds_store_2addr_b64 v148, v[82:83], v[84:85] offset0:50 offset1:51
	v_dual_mov_b32 v82, v214 :: v_dual_mov_b32 v83, v215
	ds_store_2addr_b64 v148, v[82:83], v[216:217] offset0:52 offset1:53
	ds_load_b64 v[82:83], v139
	s_wait_dscnt 0x0
	v_cmp_neq_f32_e32 vcc_lo, 0, v82
	v_cmp_neq_f32_e64 s1, 0, v83
	s_or_b32 s1, vcc_lo, s1
	s_delay_alu instid0(SALU_CYCLE_1)
	s_and_b32 exec_lo, exec_lo, s1
	s_cbranch_execz .LBB107_359
; %bb.354:
	v_cmp_ngt_f32_e64 s1, |v82|, |v83|
                                        ; implicit-def: $vgpr84_vgpr85
	s_and_saveexec_b32 s4, s1
	s_delay_alu instid0(SALU_CYCLE_1)
	s_xor_b32 s1, exec_lo, s4
	s_cbranch_execz .LBB107_356
; %bb.355:
	v_div_scale_f32 v84, null, v83, v83, v82
	v_div_scale_f32 v87, vcc_lo, v82, v83, v82
	s_delay_alu instid0(VALU_DEP_2) | instskip(SKIP_1) | instid1(TRANS32_DEP_1)
	v_rcp_f32_e32 v85, v84
	v_nop
	v_fma_f32 v86, -v84, v85, 1.0
	s_delay_alu instid0(VALU_DEP_1) | instskip(NEXT) | instid1(VALU_DEP_1)
	v_fmac_f32_e32 v85, v86, v85
	v_mul_f32_e32 v86, v87, v85
	s_delay_alu instid0(VALU_DEP_1) | instskip(NEXT) | instid1(VALU_DEP_1)
	v_fma_f32 v88, -v84, v86, v87
	v_fmac_f32_e32 v86, v88, v85
	s_delay_alu instid0(VALU_DEP_1) | instskip(NEXT) | instid1(VALU_DEP_1)
	v_fma_f32 v84, -v84, v86, v87
	v_div_fmas_f32 v84, v84, v85, v86
	s_delay_alu instid0(VALU_DEP_1) | instskip(NEXT) | instid1(VALU_DEP_1)
	v_div_fixup_f32 v84, v84, v83, v82
	v_fmac_f32_e32 v83, v82, v84
	s_delay_alu instid0(VALU_DEP_1) | instskip(SKIP_1) | instid1(VALU_DEP_2)
	v_div_scale_f32 v82, null, v83, v83, 1.0
	v_div_scale_f32 v87, vcc_lo, 1.0, v83, 1.0
	v_rcp_f32_e32 v85, v82
	v_nop
	s_delay_alu instid0(TRANS32_DEP_1) | instskip(NEXT) | instid1(VALU_DEP_1)
	v_fma_f32 v86, -v82, v85, 1.0
	v_fmac_f32_e32 v85, v86, v85
	s_delay_alu instid0(VALU_DEP_1) | instskip(NEXT) | instid1(VALU_DEP_1)
	v_mul_f32_e32 v86, v87, v85
	v_fma_f32 v88, -v82, v86, v87
	s_delay_alu instid0(VALU_DEP_1) | instskip(NEXT) | instid1(VALU_DEP_1)
	v_fmac_f32_e32 v86, v88, v85
	v_fma_f32 v82, -v82, v86, v87
	s_delay_alu instid0(VALU_DEP_1) | instskip(NEXT) | instid1(VALU_DEP_1)
	v_div_fmas_f32 v82, v82, v85, v86
	v_div_fixup_f32 v82, v82, v83, 1.0
	s_delay_alu instid0(VALU_DEP_1)
	v_mul_f32_e32 v84, v84, v82
	v_xor_b32_e32 v85, 0x80000000, v82
                                        ; implicit-def: $vgpr82_vgpr83
.LBB107_356:
	s_and_not1_saveexec_b32 s1, s1
	s_cbranch_execz .LBB107_358
; %bb.357:
	v_div_scale_f32 v84, null, v82, v82, v83
	v_div_scale_f32 v87, vcc_lo, v83, v82, v83
	s_delay_alu instid0(VALU_DEP_2) | instskip(SKIP_1) | instid1(TRANS32_DEP_1)
	v_rcp_f32_e32 v85, v84
	v_nop
	v_fma_f32 v86, -v84, v85, 1.0
	s_delay_alu instid0(VALU_DEP_1) | instskip(NEXT) | instid1(VALU_DEP_1)
	v_fmac_f32_e32 v85, v86, v85
	v_mul_f32_e32 v86, v87, v85
	s_delay_alu instid0(VALU_DEP_1) | instskip(NEXT) | instid1(VALU_DEP_1)
	v_fma_f32 v88, -v84, v86, v87
	v_fmac_f32_e32 v86, v88, v85
	s_delay_alu instid0(VALU_DEP_1) | instskip(NEXT) | instid1(VALU_DEP_1)
	v_fma_f32 v84, -v84, v86, v87
	v_div_fmas_f32 v84, v84, v85, v86
	s_delay_alu instid0(VALU_DEP_1) | instskip(NEXT) | instid1(VALU_DEP_1)
	v_div_fixup_f32 v85, v84, v82, v83
	v_fmac_f32_e32 v82, v83, v85
	s_delay_alu instid0(VALU_DEP_1) | instskip(NEXT) | instid1(VALU_DEP_1)
	v_div_scale_f32 v83, null, v82, v82, 1.0
	v_rcp_f32_e32 v84, v83
	v_nop
	s_delay_alu instid0(TRANS32_DEP_1) | instskip(NEXT) | instid1(VALU_DEP_1)
	v_fma_f32 v86, -v83, v84, 1.0
	v_fmac_f32_e32 v84, v86, v84
	v_div_scale_f32 v86, vcc_lo, 1.0, v82, 1.0
	s_delay_alu instid0(VALU_DEP_1) | instskip(NEXT) | instid1(VALU_DEP_1)
	v_mul_f32_e32 v87, v86, v84
	v_fma_f32 v88, -v83, v87, v86
	s_delay_alu instid0(VALU_DEP_1) | instskip(NEXT) | instid1(VALU_DEP_1)
	v_fmac_f32_e32 v87, v88, v84
	v_fma_f32 v83, -v83, v87, v86
	s_delay_alu instid0(VALU_DEP_1) | instskip(NEXT) | instid1(VALU_DEP_1)
	v_div_fmas_f32 v83, v83, v84, v87
	v_div_fixup_f32 v84, v83, v82, 1.0
	s_delay_alu instid0(VALU_DEP_1)
	v_mul_f32_e64 v85, v85, -v84
.LBB107_358:
	s_or_b32 exec_lo, exec_lo, s1
	ds_store_b64 v139, v[84:85]
.LBB107_359:
	s_or_b32 exec_lo, exec_lo, s2
	s_wait_dscnt 0x0
	s_barrier_signal -1
	s_barrier_wait -1
	ds_load_b64 v[82:83], v139
	s_mov_b32 s1, exec_lo
	v_cmpx_lt_u32_e32 39, v138
	s_cbranch_execz .LBB107_361
; %bb.360:
	ds_load_2addr_b64 v[98:101], v148 offset0:40 offset1:41
	s_wait_dscnt 0x1
	v_pk_mul_f32 v[86:87], v[82:83], v[156:157] op_sel:[1,1] op_sel_hi:[0,1]
	s_delay_alu instid0(VALU_DEP_1) | instskip(SKIP_1) | instid1(VALU_DEP_1)
	v_pk_fma_f32 v[84:85], v[82:83], v[156:157], v[86:87] op_sel_hi:[1,0,1] neg_lo:[0,0,1] neg_hi:[0,0,1]
	v_pk_fma_f32 v[86:87], v[82:83], v[156:157], v[86:87] op_sel_hi:[1,0,1]
	v_dual_mov_b32 v156, v84 :: v_dual_mov_b32 v157, v87
	s_wait_dscnt 0x0
	s_delay_alu instid0(VALU_DEP_2) | instskip(NEXT) | instid1(VALU_DEP_1)
	v_pk_mul_f32 v[88:89], v[98:99], v[86:87] op_sel:[0,1]
	v_pk_fma_f32 v[102:103], v[98:99], v[84:85], v[88:89] op_sel:[0,0,1] op_sel_hi:[1,1,0] neg_lo:[0,0,1] neg_hi:[0,0,1]
	v_pk_fma_f32 v[88:89], v[98:99], v[84:85], v[88:89] op_sel:[0,0,1] op_sel_hi:[1,0,0]
	s_delay_alu instid0(VALU_DEP_1) | instskip(SKIP_1) | instid1(VALU_DEP_1)
	v_mov_b32_e32 v103, v89
	v_pk_mul_f32 v[88:89], v[100:101], v[86:87] op_sel:[0,1]
	v_pk_fma_f32 v[98:99], v[100:101], v[84:85], v[88:89] op_sel:[0,0,1] op_sel_hi:[1,1,0] neg_lo:[0,0,1] neg_hi:[0,0,1]
	v_pk_fma_f32 v[88:89], v[100:101], v[84:85], v[88:89] op_sel:[0,0,1] op_sel_hi:[1,0,0]
	s_delay_alu instid0(VALU_DEP_1) | instskip(SKIP_1) | instid1(VALU_DEP_2)
	v_mov_b32_e32 v99, v89
	v_pk_add_f32 v[178:179], v[178:179], v[102:103] neg_lo:[0,1] neg_hi:[0,1]
	v_pk_add_f32 v[174:175], v[174:175], v[98:99] neg_lo:[0,1] neg_hi:[0,1]
	ds_load_2addr_b64 v[98:101], v148 offset0:42 offset1:43
	s_wait_dscnt 0x0
	v_pk_mul_f32 v[88:89], v[98:99], v[86:87] op_sel:[0,1]
	s_delay_alu instid0(VALU_DEP_1) | instskip(SKIP_2) | instid1(VALU_DEP_2)
	v_pk_fma_f32 v[102:103], v[98:99], v[84:85], v[88:89] op_sel:[0,0,1] op_sel_hi:[1,1,0] neg_lo:[0,0,1] neg_hi:[0,0,1]
	v_pk_fma_f32 v[88:89], v[98:99], v[84:85], v[88:89] op_sel:[0,0,1] op_sel_hi:[1,0,0]
	v_dual_mul_f32 v98, v101, v87 :: v_dual_mov_b32 v88, v101
	v_dual_mov_b32 v103, v89 :: v_dual_mov_b32 v89, v100
	s_delay_alu instid0(VALU_DEP_2) | instskip(SKIP_1) | instid1(VALU_DEP_3)
	v_pk_fma_f32 v[98:99], v[100:101], v[156:157], v[98:99] op_sel_hi:[1,1,0] neg_lo:[0,0,1] neg_hi:[0,0,1]
	v_mul_f32_e32 v100, v101, v84
	v_pk_add_f32 v[176:177], v[176:177], v[102:103] neg_lo:[0,1] neg_hi:[0,1]
	s_delay_alu instid0(VALU_DEP_2) | instskip(NEXT) | instid1(VALU_DEP_1)
	v_pk_fma_f32 v[88:89], v[88:89], v[156:157], v[100:101] op_sel_hi:[1,1,0]
	v_mov_b32_e32 v99, v89
	s_delay_alu instid0(VALU_DEP_1) | instskip(SKIP_3) | instid1(VALU_DEP_1)
	v_pk_add_f32 v[172:173], v[172:173], v[98:99] neg_lo:[0,1] neg_hi:[0,1]
	ds_load_2addr_b64 v[98:101], v148 offset0:44 offset1:45
	s_wait_dscnt 0x0
	v_pk_mul_f32 v[88:89], v[98:99], v[86:87] op_sel:[0,1]
	v_pk_fma_f32 v[102:103], v[98:99], v[84:85], v[88:89] op_sel:[0,0,1] op_sel_hi:[1,1,0] neg_lo:[0,0,1] neg_hi:[0,0,1]
	v_pk_fma_f32 v[88:89], v[98:99], v[84:85], v[88:89] op_sel:[0,0,1] op_sel_hi:[1,0,0]
	s_delay_alu instid0(VALU_DEP_1) | instskip(SKIP_1) | instid1(VALU_DEP_2)
	v_mov_b32_e32 v103, v89
	v_pk_mul_f32 v[88:89], v[100:101], v[86:87] op_sel:[0,1]
	v_pk_add_f32 v[196:197], v[196:197], v[102:103] neg_lo:[0,1] neg_hi:[0,1]
	s_delay_alu instid0(VALU_DEP_2) | instskip(SKIP_1) | instid1(VALU_DEP_1)
	v_pk_fma_f32 v[98:99], v[100:101], v[84:85], v[88:89] op_sel:[0,0,1] op_sel_hi:[1,1,0] neg_lo:[0,0,1] neg_hi:[0,0,1]
	v_pk_fma_f32 v[88:89], v[100:101], v[84:85], v[88:89] op_sel:[0,0,1] op_sel_hi:[1,0,0]
	v_mov_b32_e32 v99, v89
	s_delay_alu instid0(VALU_DEP_1) | instskip(SKIP_3) | instid1(VALU_DEP_1)
	v_pk_add_f32 v[192:193], v[192:193], v[98:99] neg_lo:[0,1] neg_hi:[0,1]
	ds_load_2addr_b64 v[98:101], v148 offset0:46 offset1:47
	s_wait_dscnt 0x0
	v_pk_mul_f32 v[88:89], v[98:99], v[86:87] op_sel:[0,1]
	v_pk_fma_f32 v[102:103], v[98:99], v[84:85], v[88:89] op_sel:[0,0,1] op_sel_hi:[1,1,0] neg_lo:[0,0,1] neg_hi:[0,0,1]
	v_pk_fma_f32 v[88:89], v[98:99], v[84:85], v[88:89] op_sel:[0,0,1] op_sel_hi:[1,0,0]
	s_delay_alu instid0(VALU_DEP_1) | instskip(SKIP_1) | instid1(VALU_DEP_2)
	v_mov_b32_e32 v103, v89
	v_pk_mul_f32 v[88:89], v[100:101], v[86:87] op_sel:[0,1]
	v_pk_add_f32 v[194:195], v[194:195], v[102:103] neg_lo:[0,1] neg_hi:[0,1]
	s_delay_alu instid0(VALU_DEP_2) | instskip(SKIP_1) | instid1(VALU_DEP_1)
	v_pk_fma_f32 v[98:99], v[100:101], v[84:85], v[88:89] op_sel:[0,0,1] op_sel_hi:[1,1,0] neg_lo:[0,0,1] neg_hi:[0,0,1]
	v_pk_fma_f32 v[88:89], v[100:101], v[84:85], v[88:89] op_sel:[0,0,1] op_sel_hi:[1,0,0]
	v_mov_b32_e32 v99, v89
	s_delay_alu instid0(VALU_DEP_1) | instskip(SKIP_3) | instid1(VALU_DEP_1)
	v_pk_add_f32 v[190:191], v[190:191], v[98:99] neg_lo:[0,1] neg_hi:[0,1]
	ds_load_2addr_b64 v[98:101], v148 offset0:48 offset1:49
	s_wait_dscnt 0x0
	v_dual_mul_f32 v88, v99, v87 :: v_dual_mul_f32 v102, v99, v84
	v_pk_fma_f32 v[88:89], v[98:99], v[156:157], v[88:89] op_sel_hi:[1,1,0] neg_lo:[0,0,1] neg_hi:[0,0,1]
	s_delay_alu instid0(VALU_DEP_2) | instskip(NEXT) | instid1(VALU_DEP_1)
	v_pk_fma_f32 v[98:99], v[98:99], v[156:157], v[102:103] op_sel:[1,0,0] op_sel_hi:[0,1,0]
	v_mov_b32_e32 v89, v99
	s_delay_alu instid0(VALU_DEP_1) | instskip(SKIP_1) | instid1(VALU_DEP_1)
	v_pk_add_f32 v[212:213], v[212:213], v[88:89] neg_lo:[0,1] neg_hi:[0,1]
	v_pk_mul_f32 v[88:89], v[100:101], v[86:87] op_sel:[0,1]
	v_pk_fma_f32 v[98:99], v[100:101], v[84:85], v[88:89] op_sel:[0,0,1] op_sel_hi:[1,1,0] neg_lo:[0,0,1] neg_hi:[0,0,1]
	v_pk_fma_f32 v[88:89], v[100:101], v[84:85], v[88:89] op_sel:[0,0,1] op_sel_hi:[1,0,0]
	s_delay_alu instid0(VALU_DEP_1) | instskip(NEXT) | instid1(VALU_DEP_1)
	v_mov_b32_e32 v99, v89
	v_pk_add_f32 v[208:209], v[208:209], v[98:99] neg_lo:[0,1] neg_hi:[0,1]
	ds_load_2addr_b64 v[98:101], v148 offset0:50 offset1:51
	s_wait_dscnt 0x0
	v_pk_mul_f32 v[88:89], v[98:99], v[86:87] op_sel:[0,1]
	s_delay_alu instid0(VALU_DEP_1) | instskip(SKIP_1) | instid1(VALU_DEP_1)
	v_pk_fma_f32 v[102:103], v[98:99], v[84:85], v[88:89] op_sel:[0,0,1] op_sel_hi:[1,1,0] neg_lo:[0,0,1] neg_hi:[0,0,1]
	v_pk_fma_f32 v[88:89], v[98:99], v[84:85], v[88:89] op_sel:[0,0,1] op_sel_hi:[1,0,0]
	v_mov_b32_e32 v103, v89
	v_pk_mul_f32 v[88:89], v[100:101], v[86:87] op_sel:[0,1]
	s_delay_alu instid0(VALU_DEP_2) | instskip(NEXT) | instid1(VALU_DEP_2)
	v_pk_add_f32 v[210:211], v[210:211], v[102:103] neg_lo:[0,1] neg_hi:[0,1]
	v_pk_fma_f32 v[98:99], v[100:101], v[84:85], v[88:89] op_sel:[0,0,1] op_sel_hi:[1,1,0] neg_lo:[0,0,1] neg_hi:[0,0,1]
	v_pk_fma_f32 v[88:89], v[100:101], v[84:85], v[88:89] op_sel:[0,0,1] op_sel_hi:[1,0,0]
	s_delay_alu instid0(VALU_DEP_1) | instskip(NEXT) | instid1(VALU_DEP_1)
	v_mov_b32_e32 v99, v89
	v_pk_add_f32 v[206:207], v[206:207], v[98:99] neg_lo:[0,1] neg_hi:[0,1]
	ds_load_2addr_b64 v[98:101], v148 offset0:52 offset1:53
	s_wait_dscnt 0x0
	v_pk_mul_f32 v[88:89], v[98:99], v[86:87] op_sel:[0,1]
	v_pk_mul_f32 v[86:87], v[100:101], v[86:87] op_sel:[0,1]
	s_delay_alu instid0(VALU_DEP_2) | instskip(SKIP_1) | instid1(VALU_DEP_1)
	v_pk_fma_f32 v[102:103], v[98:99], v[84:85], v[88:89] op_sel:[0,0,1] op_sel_hi:[1,1,0] neg_lo:[0,0,1] neg_hi:[0,0,1]
	v_pk_fma_f32 v[88:89], v[98:99], v[84:85], v[88:89] op_sel:[0,0,1] op_sel_hi:[1,0,0]
	v_mov_b32_e32 v103, v89
	s_delay_alu instid0(VALU_DEP_4) | instskip(SKIP_1) | instid1(VALU_DEP_3)
	v_pk_fma_f32 v[88:89], v[100:101], v[84:85], v[86:87] op_sel:[0,0,1] op_sel_hi:[1,1,0] neg_lo:[0,0,1] neg_hi:[0,0,1]
	v_pk_fma_f32 v[84:85], v[100:101], v[84:85], v[86:87] op_sel:[0,0,1] op_sel_hi:[1,0,0]
	v_pk_add_f32 v[214:215], v[214:215], v[102:103] neg_lo:[0,1] neg_hi:[0,1]
	s_delay_alu instid0(VALU_DEP_2) | instskip(NEXT) | instid1(VALU_DEP_1)
	v_mov_b32_e32 v89, v85
	v_pk_add_f32 v[216:217], v[216:217], v[88:89] neg_lo:[0,1] neg_hi:[0,1]
.LBB107_361:
	s_or_b32 exec_lo, exec_lo, s1
	s_delay_alu instid0(SALU_CYCLE_1)
	s_mov_b32 s2, exec_lo
	s_wait_dscnt 0x0
	s_barrier_signal -1
	s_barrier_wait -1
	v_cmpx_eq_u32_e32 40, v138
	s_cbranch_execz .LBB107_368
; %bb.362:
	ds_store_b64 v139, v[178:179]
	ds_store_2addr_b64 v148, v[174:175], v[176:177] offset0:41 offset1:42
	ds_store_2addr_b64 v148, v[172:173], v[196:197] offset0:43 offset1:44
	;; [unrolled: 1-line block ×6, first 2 shown]
	ds_store_b64 v148, v[216:217] offset:424
	ds_load_b64 v[84:85], v139
	s_wait_dscnt 0x0
	v_cmp_neq_f32_e32 vcc_lo, 0, v84
	v_cmp_neq_f32_e64 s1, 0, v85
	s_or_b32 s1, vcc_lo, s1
	s_delay_alu instid0(SALU_CYCLE_1)
	s_and_b32 exec_lo, exec_lo, s1
	s_cbranch_execz .LBB107_368
; %bb.363:
	v_cmp_ngt_f32_e64 s1, |v84|, |v85|
                                        ; implicit-def: $vgpr86_vgpr87
	s_and_saveexec_b32 s4, s1
	s_delay_alu instid0(SALU_CYCLE_1)
	s_xor_b32 s1, exec_lo, s4
	s_cbranch_execz .LBB107_365
; %bb.364:
	v_div_scale_f32 v86, null, v85, v85, v84
	v_div_scale_f32 v89, vcc_lo, v84, v85, v84
	s_delay_alu instid0(VALU_DEP_2) | instskip(SKIP_1) | instid1(TRANS32_DEP_1)
	v_rcp_f32_e32 v87, v86
	v_nop
	v_fma_f32 v88, -v86, v87, 1.0
	s_delay_alu instid0(VALU_DEP_1) | instskip(NEXT) | instid1(VALU_DEP_1)
	v_fmac_f32_e32 v87, v88, v87
	v_mul_f32_e32 v88, v89, v87
	s_delay_alu instid0(VALU_DEP_1) | instskip(NEXT) | instid1(VALU_DEP_1)
	v_fma_f32 v98, -v86, v88, v89
	v_fmac_f32_e32 v88, v98, v87
	s_delay_alu instid0(VALU_DEP_1) | instskip(NEXT) | instid1(VALU_DEP_1)
	v_fma_f32 v86, -v86, v88, v89
	v_div_fmas_f32 v86, v86, v87, v88
	s_delay_alu instid0(VALU_DEP_1) | instskip(NEXT) | instid1(VALU_DEP_1)
	v_div_fixup_f32 v86, v86, v85, v84
	v_fmac_f32_e32 v85, v84, v86
	s_delay_alu instid0(VALU_DEP_1) | instskip(SKIP_1) | instid1(VALU_DEP_2)
	v_div_scale_f32 v84, null, v85, v85, 1.0
	v_div_scale_f32 v89, vcc_lo, 1.0, v85, 1.0
	v_rcp_f32_e32 v87, v84
	v_nop
	s_delay_alu instid0(TRANS32_DEP_1) | instskip(NEXT) | instid1(VALU_DEP_1)
	v_fma_f32 v88, -v84, v87, 1.0
	v_fmac_f32_e32 v87, v88, v87
	s_delay_alu instid0(VALU_DEP_1) | instskip(NEXT) | instid1(VALU_DEP_1)
	v_mul_f32_e32 v88, v89, v87
	v_fma_f32 v98, -v84, v88, v89
	s_delay_alu instid0(VALU_DEP_1) | instskip(NEXT) | instid1(VALU_DEP_1)
	v_fmac_f32_e32 v88, v98, v87
	v_fma_f32 v84, -v84, v88, v89
	s_delay_alu instid0(VALU_DEP_1) | instskip(NEXT) | instid1(VALU_DEP_1)
	v_div_fmas_f32 v84, v84, v87, v88
	v_div_fixup_f32 v84, v84, v85, 1.0
	s_delay_alu instid0(VALU_DEP_1)
	v_mul_f32_e32 v86, v86, v84
	v_xor_b32_e32 v87, 0x80000000, v84
                                        ; implicit-def: $vgpr84_vgpr85
.LBB107_365:
	s_and_not1_saveexec_b32 s1, s1
	s_cbranch_execz .LBB107_367
; %bb.366:
	v_div_scale_f32 v86, null, v84, v84, v85
	v_div_scale_f32 v89, vcc_lo, v85, v84, v85
	s_delay_alu instid0(VALU_DEP_2) | instskip(SKIP_1) | instid1(TRANS32_DEP_1)
	v_rcp_f32_e32 v87, v86
	v_nop
	v_fma_f32 v88, -v86, v87, 1.0
	s_delay_alu instid0(VALU_DEP_1) | instskip(NEXT) | instid1(VALU_DEP_1)
	v_fmac_f32_e32 v87, v88, v87
	v_mul_f32_e32 v88, v89, v87
	s_delay_alu instid0(VALU_DEP_1) | instskip(NEXT) | instid1(VALU_DEP_1)
	v_fma_f32 v98, -v86, v88, v89
	v_fmac_f32_e32 v88, v98, v87
	s_delay_alu instid0(VALU_DEP_1) | instskip(NEXT) | instid1(VALU_DEP_1)
	v_fma_f32 v86, -v86, v88, v89
	v_div_fmas_f32 v86, v86, v87, v88
	s_delay_alu instid0(VALU_DEP_1) | instskip(NEXT) | instid1(VALU_DEP_1)
	v_div_fixup_f32 v87, v86, v84, v85
	v_fmac_f32_e32 v84, v85, v87
	s_delay_alu instid0(VALU_DEP_1) | instskip(NEXT) | instid1(VALU_DEP_1)
	v_div_scale_f32 v85, null, v84, v84, 1.0
	v_rcp_f32_e32 v86, v85
	v_nop
	s_delay_alu instid0(TRANS32_DEP_1) | instskip(NEXT) | instid1(VALU_DEP_1)
	v_fma_f32 v88, -v85, v86, 1.0
	v_fmac_f32_e32 v86, v88, v86
	v_div_scale_f32 v88, vcc_lo, 1.0, v84, 1.0
	s_delay_alu instid0(VALU_DEP_1) | instskip(NEXT) | instid1(VALU_DEP_1)
	v_mul_f32_e32 v89, v88, v86
	v_fma_f32 v98, -v85, v89, v88
	s_delay_alu instid0(VALU_DEP_1) | instskip(NEXT) | instid1(VALU_DEP_1)
	v_fmac_f32_e32 v89, v98, v86
	v_fma_f32 v85, -v85, v89, v88
	s_delay_alu instid0(VALU_DEP_1) | instskip(NEXT) | instid1(VALU_DEP_1)
	v_div_fmas_f32 v85, v85, v86, v89
	v_div_fixup_f32 v86, v85, v84, 1.0
	s_delay_alu instid0(VALU_DEP_1)
	v_mul_f32_e64 v87, v87, -v86
.LBB107_367:
	s_or_b32 exec_lo, exec_lo, s1
	ds_store_b64 v139, v[86:87]
.LBB107_368:
	s_or_b32 exec_lo, exec_lo, s2
	s_wait_dscnt 0x0
	s_barrier_signal -1
	s_barrier_wait -1
	ds_load_b64 v[84:85], v139
	s_mov_b32 s1, exec_lo
	v_cmpx_lt_u32_e32 40, v138
	s_cbranch_execz .LBB107_370
; %bb.369:
	ds_load_2addr_b64 v[98:101], v148 offset0:41 offset1:42
	s_wait_dscnt 0x1
	v_pk_mul_f32 v[88:89], v[84:85], v[178:179] op_sel:[1,1] op_sel_hi:[0,1]
	s_delay_alu instid0(VALU_DEP_1) | instskip(SKIP_1) | instid1(VALU_DEP_1)
	v_pk_fma_f32 v[86:87], v[84:85], v[178:179], v[88:89] op_sel_hi:[1,0,1] neg_lo:[0,0,1] neg_hi:[0,0,1]
	v_pk_fma_f32 v[88:89], v[84:85], v[178:179], v[88:89] op_sel_hi:[1,0,1]
	v_dual_mov_b32 v178, v86 :: v_dual_mov_b32 v179, v89
	s_wait_dscnt 0x0
	s_delay_alu instid0(VALU_DEP_2) | instskip(NEXT) | instid1(VALU_DEP_1)
	v_pk_mul_f32 v[102:103], v[98:99], v[88:89] op_sel:[0,1]
	v_pk_fma_f32 v[104:105], v[98:99], v[86:87], v[102:103] op_sel:[0,0,1] op_sel_hi:[1,1,0] neg_lo:[0,0,1] neg_hi:[0,0,1]
	v_pk_fma_f32 v[98:99], v[98:99], v[86:87], v[102:103] op_sel:[0,0,1] op_sel_hi:[1,0,0]
	s_delay_alu instid0(VALU_DEP_1) | instskip(SKIP_1) | instid1(VALU_DEP_1)
	v_mov_b32_e32 v105, v99
	v_pk_mul_f32 v[98:99], v[100:101], v[88:89] op_sel:[0,1]
	v_pk_fma_f32 v[102:103], v[100:101], v[86:87], v[98:99] op_sel:[0,0,1] op_sel_hi:[1,1,0] neg_lo:[0,0,1] neg_hi:[0,0,1]
	v_pk_fma_f32 v[98:99], v[100:101], v[86:87], v[98:99] op_sel:[0,0,1] op_sel_hi:[1,0,0]
	s_delay_alu instid0(VALU_DEP_1)
	v_mov_b32_e32 v103, v99
	ds_load_2addr_b64 v[98:101], v148 offset0:43 offset1:44
	v_pk_add_f32 v[174:175], v[174:175], v[104:105] neg_lo:[0,1] neg_hi:[0,1]
	v_pk_add_f32 v[176:177], v[176:177], v[102:103] neg_lo:[0,1] neg_hi:[0,1]
	s_wait_dscnt 0x0
	v_pk_mul_f32 v[102:103], v[98:99], v[88:89] op_sel:[0,1]
	s_delay_alu instid0(VALU_DEP_1) | instskip(SKIP_2) | instid1(VALU_DEP_2)
	v_pk_fma_f32 v[104:105], v[98:99], v[86:87], v[102:103] op_sel:[0,0,1] op_sel_hi:[1,1,0] neg_lo:[0,0,1] neg_hi:[0,0,1]
	v_pk_fma_f32 v[98:99], v[98:99], v[86:87], v[102:103] op_sel:[0,0,1] op_sel_hi:[1,0,0]
	v_dual_mul_f32 v102, v101, v89 :: v_dual_mov_b32 v98, v101
	v_dual_mov_b32 v105, v99 :: v_dual_mov_b32 v99, v100
	s_delay_alu instid0(VALU_DEP_2) | instskip(SKIP_1) | instid1(VALU_DEP_3)
	v_pk_fma_f32 v[102:103], v[100:101], v[178:179], v[102:103] op_sel_hi:[1,1,0] neg_lo:[0,0,1] neg_hi:[0,0,1]
	v_mul_f32_e32 v100, v101, v86
	v_pk_add_f32 v[172:173], v[172:173], v[104:105] neg_lo:[0,1] neg_hi:[0,1]
	s_delay_alu instid0(VALU_DEP_2) | instskip(NEXT) | instid1(VALU_DEP_1)
	v_pk_fma_f32 v[98:99], v[98:99], v[178:179], v[100:101] op_sel_hi:[1,1,0]
	v_mov_b32_e32 v103, v99
	ds_load_2addr_b64 v[98:101], v148 offset0:45 offset1:46
	v_pk_add_f32 v[196:197], v[196:197], v[102:103] neg_lo:[0,1] neg_hi:[0,1]
	s_wait_dscnt 0x0
	v_pk_mul_f32 v[102:103], v[98:99], v[88:89] op_sel:[0,1]
	s_delay_alu instid0(VALU_DEP_1) | instskip(SKIP_1) | instid1(VALU_DEP_1)
	v_pk_fma_f32 v[104:105], v[98:99], v[86:87], v[102:103] op_sel:[0,0,1] op_sel_hi:[1,1,0] neg_lo:[0,0,1] neg_hi:[0,0,1]
	v_pk_fma_f32 v[98:99], v[98:99], v[86:87], v[102:103] op_sel:[0,0,1] op_sel_hi:[1,0,0]
	v_mov_b32_e32 v105, v99
	v_pk_mul_f32 v[98:99], v[100:101], v[88:89] op_sel:[0,1]
	s_delay_alu instid0(VALU_DEP_1) | instskip(SKIP_1) | instid1(VALU_DEP_1)
	v_pk_fma_f32 v[102:103], v[100:101], v[86:87], v[98:99] op_sel:[0,0,1] op_sel_hi:[1,1,0] neg_lo:[0,0,1] neg_hi:[0,0,1]
	v_pk_fma_f32 v[98:99], v[100:101], v[86:87], v[98:99] op_sel:[0,0,1] op_sel_hi:[1,0,0]
	v_mov_b32_e32 v103, v99
	ds_load_2addr_b64 v[98:101], v148 offset0:47 offset1:48
	v_pk_add_f32 v[192:193], v[192:193], v[104:105] neg_lo:[0,1] neg_hi:[0,1]
	v_pk_add_f32 v[194:195], v[194:195], v[102:103] neg_lo:[0,1] neg_hi:[0,1]
	s_wait_dscnt 0x0
	v_pk_mul_f32 v[102:103], v[98:99], v[88:89] op_sel:[0,1]
	s_delay_alu instid0(VALU_DEP_1) | instskip(SKIP_1) | instid1(VALU_DEP_1)
	v_pk_fma_f32 v[104:105], v[98:99], v[86:87], v[102:103] op_sel:[0,0,1] op_sel_hi:[1,1,0] neg_lo:[0,0,1] neg_hi:[0,0,1]
	v_pk_fma_f32 v[98:99], v[98:99], v[86:87], v[102:103] op_sel:[0,0,1] op_sel_hi:[1,0,0]
	v_mov_b32_e32 v105, v99
	v_pk_mul_f32 v[98:99], v[100:101], v[88:89] op_sel:[0,1]
	s_delay_alu instid0(VALU_DEP_1) | instskip(SKIP_1) | instid1(VALU_DEP_1)
	v_pk_fma_f32 v[102:103], v[100:101], v[86:87], v[98:99] op_sel:[0,0,1] op_sel_hi:[1,1,0] neg_lo:[0,0,1] neg_hi:[0,0,1]
	v_pk_fma_f32 v[98:99], v[100:101], v[86:87], v[98:99] op_sel:[0,0,1] op_sel_hi:[1,0,0]
	v_mov_b32_e32 v103, v99
	ds_load_2addr_b64 v[98:101], v148 offset0:49 offset1:50
	v_pk_add_f32 v[190:191], v[190:191], v[104:105] neg_lo:[0,1] neg_hi:[0,1]
	v_pk_add_f32 v[212:213], v[212:213], v[102:103] neg_lo:[0,1] neg_hi:[0,1]
	s_wait_dscnt 0x0
	v_dual_mul_f32 v102, v99, v89 :: v_dual_mul_f32 v104, v99, v86
	s_delay_alu instid0(VALU_DEP_1) | instskip(NEXT) | instid1(VALU_DEP_2)
	v_pk_fma_f32 v[102:103], v[98:99], v[178:179], v[102:103] op_sel_hi:[1,1,0] neg_lo:[0,0,1] neg_hi:[0,0,1]
	v_pk_fma_f32 v[98:99], v[98:99], v[178:179], v[104:105] op_sel:[1,0,0] op_sel_hi:[0,1,0]
	s_delay_alu instid0(VALU_DEP_1) | instskip(SKIP_1) | instid1(VALU_DEP_2)
	v_mov_b32_e32 v103, v99
	v_pk_mul_f32 v[98:99], v[100:101], v[88:89] op_sel:[0,1]
	v_pk_add_f32 v[208:209], v[208:209], v[102:103] neg_lo:[0,1] neg_hi:[0,1]
	s_delay_alu instid0(VALU_DEP_2) | instskip(SKIP_1) | instid1(VALU_DEP_1)
	v_pk_fma_f32 v[102:103], v[100:101], v[86:87], v[98:99] op_sel:[0,0,1] op_sel_hi:[1,1,0] neg_lo:[0,0,1] neg_hi:[0,0,1]
	v_pk_fma_f32 v[98:99], v[100:101], v[86:87], v[98:99] op_sel:[0,0,1] op_sel_hi:[1,0,0]
	v_mov_b32_e32 v103, v99
	ds_load_2addr_b64 v[98:101], v148 offset0:51 offset1:52
	v_pk_add_f32 v[210:211], v[210:211], v[102:103] neg_lo:[0,1] neg_hi:[0,1]
	s_wait_dscnt 0x0
	v_pk_mul_f32 v[102:103], v[98:99], v[88:89] op_sel:[0,1]
	s_delay_alu instid0(VALU_DEP_1) | instskip(SKIP_1) | instid1(VALU_DEP_1)
	v_pk_fma_f32 v[104:105], v[98:99], v[86:87], v[102:103] op_sel:[0,0,1] op_sel_hi:[1,1,0] neg_lo:[0,0,1] neg_hi:[0,0,1]
	v_pk_fma_f32 v[98:99], v[98:99], v[86:87], v[102:103] op_sel:[0,0,1] op_sel_hi:[1,0,0]
	v_mov_b32_e32 v105, v99
	v_pk_mul_f32 v[98:99], v[100:101], v[88:89] op_sel:[0,1]
	s_delay_alu instid0(VALU_DEP_2) | instskip(NEXT) | instid1(VALU_DEP_2)
	v_pk_add_f32 v[206:207], v[206:207], v[104:105] neg_lo:[0,1] neg_hi:[0,1]
	v_pk_fma_f32 v[102:103], v[100:101], v[86:87], v[98:99] op_sel:[0,0,1] op_sel_hi:[1,1,0] neg_lo:[0,0,1] neg_hi:[0,0,1]
	v_pk_fma_f32 v[98:99], v[100:101], v[86:87], v[98:99] op_sel:[0,0,1] op_sel_hi:[1,0,0]
	s_delay_alu instid0(VALU_DEP_1) | instskip(SKIP_4) | instid1(VALU_DEP_1)
	v_mov_b32_e32 v103, v99
	ds_load_b64 v[98:99], v148 offset:424
	v_pk_add_f32 v[214:215], v[214:215], v[102:103] neg_lo:[0,1] neg_hi:[0,1]
	s_wait_dscnt 0x0
	v_pk_mul_f32 v[88:89], v[98:99], v[88:89] op_sel:[0,1]
	v_pk_fma_f32 v[100:101], v[98:99], v[86:87], v[88:89] op_sel:[0,0,1] op_sel_hi:[1,1,0] neg_lo:[0,0,1] neg_hi:[0,0,1]
	v_pk_fma_f32 v[86:87], v[98:99], v[86:87], v[88:89] op_sel:[0,0,1] op_sel_hi:[1,0,0]
	s_delay_alu instid0(VALU_DEP_1) | instskip(NEXT) | instid1(VALU_DEP_1)
	v_mov_b32_e32 v101, v87
	v_pk_add_f32 v[216:217], v[216:217], v[100:101] neg_lo:[0,1] neg_hi:[0,1]
.LBB107_370:
	s_or_b32 exec_lo, exec_lo, s1
	s_delay_alu instid0(SALU_CYCLE_1)
	s_mov_b32 s2, exec_lo
	s_wait_dscnt 0x0
	s_barrier_signal -1
	s_barrier_wait -1
	v_cmpx_eq_u32_e32 41, v138
	s_cbranch_execz .LBB107_377
; %bb.371:
	v_dual_mov_b32 v86, v176 :: v_dual_mov_b32 v87, v177
	v_dual_mov_b32 v88, v172 :: v_dual_mov_b32 v89, v173
	ds_store_b64 v139, v[174:175]
	ds_store_2addr_b64 v148, v[86:87], v[88:89] offset0:42 offset1:43
	v_dual_mov_b32 v86, v196 :: v_dual_mov_b32 v87, v197
	v_dual_mov_b32 v88, v192 :: v_dual_mov_b32 v89, v193
	ds_store_2addr_b64 v148, v[86:87], v[88:89] offset0:44 offset1:45
	v_dual_mov_b32 v86, v194 :: v_dual_mov_b32 v87, v195
	v_dual_mov_b32 v88, v190 :: v_dual_mov_b32 v89, v191
	;; [unrolled: 3-line block ×4, first 2 shown]
	ds_store_2addr_b64 v148, v[86:87], v[88:89] offset0:50 offset1:51
	v_dual_mov_b32 v86, v214 :: v_dual_mov_b32 v87, v215
	ds_store_2addr_b64 v148, v[86:87], v[216:217] offset0:52 offset1:53
	ds_load_b64 v[86:87], v139
	s_wait_dscnt 0x0
	v_cmp_neq_f32_e32 vcc_lo, 0, v86
	v_cmp_neq_f32_e64 s1, 0, v87
	s_or_b32 s1, vcc_lo, s1
	s_delay_alu instid0(SALU_CYCLE_1)
	s_and_b32 exec_lo, exec_lo, s1
	s_cbranch_execz .LBB107_377
; %bb.372:
	v_cmp_ngt_f32_e64 s1, |v86|, |v87|
                                        ; implicit-def: $vgpr88_vgpr89
	s_and_saveexec_b32 s4, s1
	s_delay_alu instid0(SALU_CYCLE_1)
	s_xor_b32 s1, exec_lo, s4
	s_cbranch_execz .LBB107_374
; %bb.373:
	v_div_scale_f32 v88, null, v87, v87, v86
	v_div_scale_f32 v99, vcc_lo, v86, v87, v86
	s_delay_alu instid0(VALU_DEP_2) | instskip(SKIP_1) | instid1(TRANS32_DEP_1)
	v_rcp_f32_e32 v89, v88
	v_nop
	v_fma_f32 v98, -v88, v89, 1.0
	s_delay_alu instid0(VALU_DEP_1) | instskip(NEXT) | instid1(VALU_DEP_1)
	v_fmac_f32_e32 v89, v98, v89
	v_mul_f32_e32 v98, v99, v89
	s_delay_alu instid0(VALU_DEP_1) | instskip(NEXT) | instid1(VALU_DEP_1)
	v_fma_f32 v100, -v88, v98, v99
	v_fmac_f32_e32 v98, v100, v89
	s_delay_alu instid0(VALU_DEP_1) | instskip(NEXT) | instid1(VALU_DEP_1)
	v_fma_f32 v88, -v88, v98, v99
	v_div_fmas_f32 v88, v88, v89, v98
	s_delay_alu instid0(VALU_DEP_1) | instskip(NEXT) | instid1(VALU_DEP_1)
	v_div_fixup_f32 v88, v88, v87, v86
	v_fmac_f32_e32 v87, v86, v88
	s_delay_alu instid0(VALU_DEP_1) | instskip(SKIP_1) | instid1(VALU_DEP_2)
	v_div_scale_f32 v86, null, v87, v87, 1.0
	v_div_scale_f32 v99, vcc_lo, 1.0, v87, 1.0
	v_rcp_f32_e32 v89, v86
	v_nop
	s_delay_alu instid0(TRANS32_DEP_1) | instskip(NEXT) | instid1(VALU_DEP_1)
	v_fma_f32 v98, -v86, v89, 1.0
	v_fmac_f32_e32 v89, v98, v89
	s_delay_alu instid0(VALU_DEP_1) | instskip(NEXT) | instid1(VALU_DEP_1)
	v_mul_f32_e32 v98, v99, v89
	v_fma_f32 v100, -v86, v98, v99
	s_delay_alu instid0(VALU_DEP_1) | instskip(NEXT) | instid1(VALU_DEP_1)
	v_fmac_f32_e32 v98, v100, v89
	v_fma_f32 v86, -v86, v98, v99
	s_delay_alu instid0(VALU_DEP_1) | instskip(NEXT) | instid1(VALU_DEP_1)
	v_div_fmas_f32 v86, v86, v89, v98
	v_div_fixup_f32 v86, v86, v87, 1.0
	s_delay_alu instid0(VALU_DEP_1)
	v_mul_f32_e32 v88, v88, v86
	v_xor_b32_e32 v89, 0x80000000, v86
                                        ; implicit-def: $vgpr86_vgpr87
.LBB107_374:
	s_and_not1_saveexec_b32 s1, s1
	s_cbranch_execz .LBB107_376
; %bb.375:
	v_div_scale_f32 v88, null, v86, v86, v87
	v_div_scale_f32 v99, vcc_lo, v87, v86, v87
	s_delay_alu instid0(VALU_DEP_2) | instskip(SKIP_1) | instid1(TRANS32_DEP_1)
	v_rcp_f32_e32 v89, v88
	v_nop
	v_fma_f32 v98, -v88, v89, 1.0
	s_delay_alu instid0(VALU_DEP_1) | instskip(NEXT) | instid1(VALU_DEP_1)
	v_fmac_f32_e32 v89, v98, v89
	v_mul_f32_e32 v98, v99, v89
	s_delay_alu instid0(VALU_DEP_1) | instskip(NEXT) | instid1(VALU_DEP_1)
	v_fma_f32 v100, -v88, v98, v99
	v_fmac_f32_e32 v98, v100, v89
	s_delay_alu instid0(VALU_DEP_1) | instskip(NEXT) | instid1(VALU_DEP_1)
	v_fma_f32 v88, -v88, v98, v99
	v_div_fmas_f32 v88, v88, v89, v98
	s_delay_alu instid0(VALU_DEP_1) | instskip(NEXT) | instid1(VALU_DEP_1)
	v_div_fixup_f32 v89, v88, v86, v87
	v_fmac_f32_e32 v86, v87, v89
	s_delay_alu instid0(VALU_DEP_1) | instskip(NEXT) | instid1(VALU_DEP_1)
	v_div_scale_f32 v87, null, v86, v86, 1.0
	v_rcp_f32_e32 v88, v87
	v_nop
	s_delay_alu instid0(TRANS32_DEP_1) | instskip(NEXT) | instid1(VALU_DEP_1)
	v_fma_f32 v98, -v87, v88, 1.0
	v_fmac_f32_e32 v88, v98, v88
	v_div_scale_f32 v98, vcc_lo, 1.0, v86, 1.0
	s_delay_alu instid0(VALU_DEP_1) | instskip(NEXT) | instid1(VALU_DEP_1)
	v_mul_f32_e32 v99, v98, v88
	v_fma_f32 v100, -v87, v99, v98
	s_delay_alu instid0(VALU_DEP_1) | instskip(NEXT) | instid1(VALU_DEP_1)
	v_fmac_f32_e32 v99, v100, v88
	v_fma_f32 v87, -v87, v99, v98
	s_delay_alu instid0(VALU_DEP_1) | instskip(NEXT) | instid1(VALU_DEP_1)
	v_div_fmas_f32 v87, v87, v88, v99
	v_div_fixup_f32 v88, v87, v86, 1.0
	s_delay_alu instid0(VALU_DEP_1)
	v_mul_f32_e64 v89, v89, -v88
.LBB107_376:
	s_or_b32 exec_lo, exec_lo, s1
	ds_store_b64 v139, v[88:89]
.LBB107_377:
	s_or_b32 exec_lo, exec_lo, s2
	s_wait_dscnt 0x0
	s_barrier_signal -1
	s_barrier_wait -1
	ds_load_b64 v[86:87], v139
	s_mov_b32 s1, exec_lo
	v_cmpx_lt_u32_e32 41, v138
	s_cbranch_execz .LBB107_379
; %bb.378:
	ds_load_2addr_b64 v[100:103], v148 offset0:42 offset1:43
	s_wait_dscnt 0x1
	v_pk_mul_f32 v[98:99], v[86:87], v[174:175] op_sel:[1,1] op_sel_hi:[0,1]
	s_delay_alu instid0(VALU_DEP_1) | instskip(SKIP_1) | instid1(VALU_DEP_1)
	v_pk_fma_f32 v[88:89], v[86:87], v[174:175], v[98:99] op_sel_hi:[1,0,1] neg_lo:[0,0,1] neg_hi:[0,0,1]
	v_pk_fma_f32 v[98:99], v[86:87], v[174:175], v[98:99] op_sel_hi:[1,0,1]
	v_dual_mov_b32 v174, v88 :: v_dual_mov_b32 v175, v99
	s_wait_dscnt 0x0
	s_delay_alu instid0(VALU_DEP_2) | instskip(NEXT) | instid1(VALU_DEP_1)
	v_pk_mul_f32 v[104:105], v[100:101], v[98:99] op_sel:[0,1]
	v_pk_fma_f32 v[116:117], v[100:101], v[88:89], v[104:105] op_sel:[0,0,1] op_sel_hi:[1,1,0] neg_lo:[0,0,1] neg_hi:[0,0,1]
	v_pk_fma_f32 v[100:101], v[100:101], v[88:89], v[104:105] op_sel:[0,0,1] op_sel_hi:[1,0,0]
	s_delay_alu instid0(VALU_DEP_1) | instskip(SKIP_1) | instid1(VALU_DEP_1)
	v_mov_b32_e32 v117, v101
	v_pk_mul_f32 v[100:101], v[102:103], v[98:99] op_sel:[0,1]
	v_pk_fma_f32 v[104:105], v[102:103], v[88:89], v[100:101] op_sel:[0,0,1] op_sel_hi:[1,1,0] neg_lo:[0,0,1] neg_hi:[0,0,1]
	v_pk_fma_f32 v[100:101], v[102:103], v[88:89], v[100:101] op_sel:[0,0,1] op_sel_hi:[1,0,0]
	s_delay_alu instid0(VALU_DEP_1)
	v_mov_b32_e32 v105, v101
	ds_load_2addr_b64 v[100:103], v148 offset0:44 offset1:45
	v_pk_add_f32 v[176:177], v[176:177], v[116:117] neg_lo:[0,1] neg_hi:[0,1]
	v_pk_add_f32 v[172:173], v[172:173], v[104:105] neg_lo:[0,1] neg_hi:[0,1]
	s_wait_dscnt 0x0
	v_pk_mul_f32 v[104:105], v[100:101], v[98:99] op_sel:[0,1]
	s_delay_alu instid0(VALU_DEP_1) | instskip(SKIP_2) | instid1(VALU_DEP_2)
	v_pk_fma_f32 v[116:117], v[100:101], v[88:89], v[104:105] op_sel:[0,0,1] op_sel_hi:[1,1,0] neg_lo:[0,0,1] neg_hi:[0,0,1]
	v_pk_fma_f32 v[100:101], v[100:101], v[88:89], v[104:105] op_sel:[0,0,1] op_sel_hi:[1,0,0]
	v_dual_mul_f32 v104, v103, v99 :: v_dual_mov_b32 v100, v103
	v_dual_mov_b32 v117, v101 :: v_dual_mov_b32 v101, v102
	s_delay_alu instid0(VALU_DEP_2) | instskip(SKIP_1) | instid1(VALU_DEP_3)
	v_pk_fma_f32 v[104:105], v[102:103], v[174:175], v[104:105] op_sel_hi:[1,1,0] neg_lo:[0,0,1] neg_hi:[0,0,1]
	v_mul_f32_e32 v102, v103, v88
	v_pk_add_f32 v[196:197], v[196:197], v[116:117] neg_lo:[0,1] neg_hi:[0,1]
	s_delay_alu instid0(VALU_DEP_2) | instskip(NEXT) | instid1(VALU_DEP_1)
	v_pk_fma_f32 v[100:101], v[100:101], v[174:175], v[102:103] op_sel_hi:[1,1,0]
	v_mov_b32_e32 v105, v101
	ds_load_2addr_b64 v[100:103], v148 offset0:46 offset1:47
	v_pk_add_f32 v[192:193], v[192:193], v[104:105] neg_lo:[0,1] neg_hi:[0,1]
	s_wait_dscnt 0x0
	v_pk_mul_f32 v[104:105], v[100:101], v[98:99] op_sel:[0,1]
	s_delay_alu instid0(VALU_DEP_1) | instskip(SKIP_1) | instid1(VALU_DEP_1)
	v_pk_fma_f32 v[116:117], v[100:101], v[88:89], v[104:105] op_sel:[0,0,1] op_sel_hi:[1,1,0] neg_lo:[0,0,1] neg_hi:[0,0,1]
	v_pk_fma_f32 v[100:101], v[100:101], v[88:89], v[104:105] op_sel:[0,0,1] op_sel_hi:[1,0,0]
	v_mov_b32_e32 v117, v101
	v_pk_mul_f32 v[100:101], v[102:103], v[98:99] op_sel:[0,1]
	s_delay_alu instid0(VALU_DEP_1) | instskip(SKIP_1) | instid1(VALU_DEP_1)
	v_pk_fma_f32 v[104:105], v[102:103], v[88:89], v[100:101] op_sel:[0,0,1] op_sel_hi:[1,1,0] neg_lo:[0,0,1] neg_hi:[0,0,1]
	v_pk_fma_f32 v[100:101], v[102:103], v[88:89], v[100:101] op_sel:[0,0,1] op_sel_hi:[1,0,0]
	v_mov_b32_e32 v105, v101
	ds_load_2addr_b64 v[100:103], v148 offset0:48 offset1:49
	v_pk_add_f32 v[194:195], v[194:195], v[116:117] neg_lo:[0,1] neg_hi:[0,1]
	v_pk_add_f32 v[190:191], v[190:191], v[104:105] neg_lo:[0,1] neg_hi:[0,1]
	s_wait_dscnt 0x0
	v_pk_mul_f32 v[104:105], v[100:101], v[98:99] op_sel:[0,1]
	s_delay_alu instid0(VALU_DEP_1) | instskip(SKIP_1) | instid1(VALU_DEP_1)
	v_pk_fma_f32 v[116:117], v[100:101], v[88:89], v[104:105] op_sel:[0,0,1] op_sel_hi:[1,1,0] neg_lo:[0,0,1] neg_hi:[0,0,1]
	v_pk_fma_f32 v[100:101], v[100:101], v[88:89], v[104:105] op_sel:[0,0,1] op_sel_hi:[1,0,0]
	v_mov_b32_e32 v117, v101
	v_pk_mul_f32 v[100:101], v[102:103], v[98:99] op_sel:[0,1]
	s_delay_alu instid0(VALU_DEP_1) | instskip(SKIP_1) | instid1(VALU_DEP_1)
	v_pk_fma_f32 v[104:105], v[102:103], v[88:89], v[100:101] op_sel:[0,0,1] op_sel_hi:[1,1,0] neg_lo:[0,0,1] neg_hi:[0,0,1]
	v_pk_fma_f32 v[100:101], v[102:103], v[88:89], v[100:101] op_sel:[0,0,1] op_sel_hi:[1,0,0]
	v_mov_b32_e32 v105, v101
	ds_load_2addr_b64 v[100:103], v148 offset0:50 offset1:51
	v_pk_add_f32 v[212:213], v[212:213], v[116:117] neg_lo:[0,1] neg_hi:[0,1]
	v_pk_add_f32 v[208:209], v[208:209], v[104:105] neg_lo:[0,1] neg_hi:[0,1]
	s_wait_dscnt 0x0
	v_dual_mul_f32 v104, v101, v99 :: v_dual_mul_f32 v116, v101, v88
	s_delay_alu instid0(VALU_DEP_1) | instskip(NEXT) | instid1(VALU_DEP_2)
	v_pk_fma_f32 v[104:105], v[100:101], v[174:175], v[104:105] op_sel_hi:[1,1,0] neg_lo:[0,0,1] neg_hi:[0,0,1]
	v_pk_fma_f32 v[100:101], v[100:101], v[174:175], v[116:117] op_sel:[1,0,0] op_sel_hi:[0,1,0]
	s_delay_alu instid0(VALU_DEP_1) | instskip(SKIP_1) | instid1(VALU_DEP_2)
	v_mov_b32_e32 v105, v101
	v_pk_mul_f32 v[100:101], v[102:103], v[98:99] op_sel:[0,1]
	v_pk_add_f32 v[210:211], v[210:211], v[104:105] neg_lo:[0,1] neg_hi:[0,1]
	s_delay_alu instid0(VALU_DEP_2) | instskip(SKIP_1) | instid1(VALU_DEP_1)
	v_pk_fma_f32 v[104:105], v[102:103], v[88:89], v[100:101] op_sel:[0,0,1] op_sel_hi:[1,1,0] neg_lo:[0,0,1] neg_hi:[0,0,1]
	v_pk_fma_f32 v[100:101], v[102:103], v[88:89], v[100:101] op_sel:[0,0,1] op_sel_hi:[1,0,0]
	v_mov_b32_e32 v105, v101
	ds_load_2addr_b64 v[100:103], v148 offset0:52 offset1:53
	v_pk_add_f32 v[206:207], v[206:207], v[104:105] neg_lo:[0,1] neg_hi:[0,1]
	s_wait_dscnt 0x0
	v_pk_mul_f32 v[104:105], v[100:101], v[98:99] op_sel:[0,1]
	v_mul_f32_e32 v98, v103, v99
	s_delay_alu instid0(VALU_DEP_2) | instskip(SKIP_2) | instid1(VALU_DEP_4)
	v_pk_fma_f32 v[116:117], v[100:101], v[88:89], v[104:105] op_sel:[0,0,1] op_sel_hi:[1,1,0] neg_lo:[0,0,1] neg_hi:[0,0,1]
	v_pk_fma_f32 v[100:101], v[100:101], v[88:89], v[104:105] op_sel:[0,0,1] op_sel_hi:[1,0,0]
	v_dual_mov_b32 v100, v103 :: v_dual_mul_f32 v88, v103, v88
	v_pk_fma_f32 v[98:99], v[102:103], v[174:175], v[98:99] op_sel_hi:[1,1,0] neg_lo:[0,0,1] neg_hi:[0,0,1]
	s_delay_alu instid0(VALU_DEP_3) | instskip(NEXT) | instid1(VALU_DEP_1)
	v_dual_mov_b32 v117, v101 :: v_dual_mov_b32 v101, v102
	v_pk_add_f32 v[214:215], v[214:215], v[116:117] neg_lo:[0,1] neg_hi:[0,1]
	s_delay_alu instid0(VALU_DEP_2) | instskip(NEXT) | instid1(VALU_DEP_1)
	v_pk_fma_f32 v[88:89], v[100:101], v[174:175], v[88:89] op_sel_hi:[1,1,0]
	v_mov_b32_e32 v99, v89
	s_delay_alu instid0(VALU_DEP_1)
	v_pk_add_f32 v[216:217], v[216:217], v[98:99] neg_lo:[0,1] neg_hi:[0,1]
.LBB107_379:
	s_or_b32 exec_lo, exec_lo, s1
	s_delay_alu instid0(SALU_CYCLE_1)
	s_mov_b32 s2, exec_lo
	s_wait_dscnt 0x0
	s_barrier_signal -1
	s_barrier_wait -1
	v_cmpx_eq_u32_e32 42, v138
	s_cbranch_execz .LBB107_386
; %bb.380:
	ds_store_b64 v139, v[176:177]
	ds_store_2addr_b64 v148, v[172:173], v[196:197] offset0:43 offset1:44
	ds_store_2addr_b64 v148, v[192:193], v[194:195] offset0:45 offset1:46
	;; [unrolled: 1-line block ×5, first 2 shown]
	ds_store_b64 v148, v[216:217] offset:424
	ds_load_b64 v[88:89], v139
	s_wait_dscnt 0x0
	v_cmp_neq_f32_e32 vcc_lo, 0, v88
	v_cmp_neq_f32_e64 s1, 0, v89
	s_or_b32 s1, vcc_lo, s1
	s_delay_alu instid0(SALU_CYCLE_1)
	s_and_b32 exec_lo, exec_lo, s1
	s_cbranch_execz .LBB107_386
; %bb.381:
	v_cmp_ngt_f32_e64 s1, |v88|, |v89|
                                        ; implicit-def: $vgpr98_vgpr99
	s_and_saveexec_b32 s4, s1
	s_delay_alu instid0(SALU_CYCLE_1)
	s_xor_b32 s1, exec_lo, s4
	s_cbranch_execz .LBB107_383
; %bb.382:
	v_div_scale_f32 v98, null, v89, v89, v88
	v_div_scale_f32 v101, vcc_lo, v88, v89, v88
	s_delay_alu instid0(VALU_DEP_2) | instskip(SKIP_1) | instid1(TRANS32_DEP_1)
	v_rcp_f32_e32 v99, v98
	v_nop
	v_fma_f32 v100, -v98, v99, 1.0
	s_delay_alu instid0(VALU_DEP_1) | instskip(NEXT) | instid1(VALU_DEP_1)
	v_fmac_f32_e32 v99, v100, v99
	v_mul_f32_e32 v100, v101, v99
	s_delay_alu instid0(VALU_DEP_1) | instskip(NEXT) | instid1(VALU_DEP_1)
	v_fma_f32 v102, -v98, v100, v101
	v_fmac_f32_e32 v100, v102, v99
	s_delay_alu instid0(VALU_DEP_1) | instskip(NEXT) | instid1(VALU_DEP_1)
	v_fma_f32 v98, -v98, v100, v101
	v_div_fmas_f32 v98, v98, v99, v100
	s_delay_alu instid0(VALU_DEP_1) | instskip(NEXT) | instid1(VALU_DEP_1)
	v_div_fixup_f32 v98, v98, v89, v88
	v_fmac_f32_e32 v89, v88, v98
	s_delay_alu instid0(VALU_DEP_1) | instskip(SKIP_1) | instid1(VALU_DEP_2)
	v_div_scale_f32 v88, null, v89, v89, 1.0
	v_div_scale_f32 v101, vcc_lo, 1.0, v89, 1.0
	v_rcp_f32_e32 v99, v88
	v_nop
	s_delay_alu instid0(TRANS32_DEP_1) | instskip(NEXT) | instid1(VALU_DEP_1)
	v_fma_f32 v100, -v88, v99, 1.0
	v_fmac_f32_e32 v99, v100, v99
	s_delay_alu instid0(VALU_DEP_1) | instskip(NEXT) | instid1(VALU_DEP_1)
	v_mul_f32_e32 v100, v101, v99
	v_fma_f32 v102, -v88, v100, v101
	s_delay_alu instid0(VALU_DEP_1) | instskip(NEXT) | instid1(VALU_DEP_1)
	v_fmac_f32_e32 v100, v102, v99
	v_fma_f32 v88, -v88, v100, v101
	s_delay_alu instid0(VALU_DEP_1) | instskip(NEXT) | instid1(VALU_DEP_1)
	v_div_fmas_f32 v88, v88, v99, v100
	v_div_fixup_f32 v88, v88, v89, 1.0
	s_delay_alu instid0(VALU_DEP_1)
	v_mul_f32_e32 v98, v98, v88
	v_xor_b32_e32 v99, 0x80000000, v88
                                        ; implicit-def: $vgpr88_vgpr89
.LBB107_383:
	s_and_not1_saveexec_b32 s1, s1
	s_cbranch_execz .LBB107_385
; %bb.384:
	v_div_scale_f32 v98, null, v88, v88, v89
	v_div_scale_f32 v101, vcc_lo, v89, v88, v89
	s_delay_alu instid0(VALU_DEP_2) | instskip(SKIP_1) | instid1(TRANS32_DEP_1)
	v_rcp_f32_e32 v99, v98
	v_nop
	v_fma_f32 v100, -v98, v99, 1.0
	s_delay_alu instid0(VALU_DEP_1) | instskip(NEXT) | instid1(VALU_DEP_1)
	v_fmac_f32_e32 v99, v100, v99
	v_mul_f32_e32 v100, v101, v99
	s_delay_alu instid0(VALU_DEP_1) | instskip(NEXT) | instid1(VALU_DEP_1)
	v_fma_f32 v102, -v98, v100, v101
	v_fmac_f32_e32 v100, v102, v99
	s_delay_alu instid0(VALU_DEP_1) | instskip(NEXT) | instid1(VALU_DEP_1)
	v_fma_f32 v98, -v98, v100, v101
	v_div_fmas_f32 v98, v98, v99, v100
	s_delay_alu instid0(VALU_DEP_1) | instskip(NEXT) | instid1(VALU_DEP_1)
	v_div_fixup_f32 v99, v98, v88, v89
	v_fmac_f32_e32 v88, v89, v99
	s_delay_alu instid0(VALU_DEP_1) | instskip(NEXT) | instid1(VALU_DEP_1)
	v_div_scale_f32 v89, null, v88, v88, 1.0
	v_rcp_f32_e32 v98, v89
	v_nop
	s_delay_alu instid0(TRANS32_DEP_1) | instskip(NEXT) | instid1(VALU_DEP_1)
	v_fma_f32 v100, -v89, v98, 1.0
	v_fmac_f32_e32 v98, v100, v98
	v_div_scale_f32 v100, vcc_lo, 1.0, v88, 1.0
	s_delay_alu instid0(VALU_DEP_1) | instskip(NEXT) | instid1(VALU_DEP_1)
	v_mul_f32_e32 v101, v100, v98
	v_fma_f32 v102, -v89, v101, v100
	s_delay_alu instid0(VALU_DEP_1) | instskip(NEXT) | instid1(VALU_DEP_1)
	v_fmac_f32_e32 v101, v102, v98
	v_fma_f32 v89, -v89, v101, v100
	s_delay_alu instid0(VALU_DEP_1) | instskip(NEXT) | instid1(VALU_DEP_1)
	v_div_fmas_f32 v89, v89, v98, v101
	v_div_fixup_f32 v98, v89, v88, 1.0
	s_delay_alu instid0(VALU_DEP_1)
	v_mul_f32_e64 v99, v99, -v98
.LBB107_385:
	s_or_b32 exec_lo, exec_lo, s1
	ds_store_b64 v139, v[98:99]
.LBB107_386:
	s_or_b32 exec_lo, exec_lo, s2
	s_wait_dscnt 0x0
	s_barrier_signal -1
	s_barrier_wait -1
	ds_load_b64 v[88:89], v139
	s_mov_b32 s1, exec_lo
	v_cmpx_lt_u32_e32 42, v138
	s_cbranch_execz .LBB107_388
; %bb.387:
	ds_load_2addr_b64 v[102:105], v148 offset0:43 offset1:44
	s_wait_dscnt 0x1
	v_pk_mul_f32 v[100:101], v[88:89], v[176:177] op_sel:[1,1] op_sel_hi:[0,1]
	s_delay_alu instid0(VALU_DEP_1) | instskip(SKIP_1) | instid1(VALU_DEP_1)
	v_pk_fma_f32 v[98:99], v[88:89], v[176:177], v[100:101] op_sel_hi:[1,0,1] neg_lo:[0,0,1] neg_hi:[0,0,1]
	v_pk_fma_f32 v[100:101], v[88:89], v[176:177], v[100:101] op_sel_hi:[1,0,1]
	v_dual_mov_b32 v176, v98 :: v_dual_mov_b32 v177, v101
	s_wait_dscnt 0x0
	s_delay_alu instid0(VALU_DEP_2) | instskip(NEXT) | instid1(VALU_DEP_1)
	v_pk_mul_f32 v[116:117], v[102:103], v[100:101] op_sel:[0,1]
	v_pk_fma_f32 v[118:119], v[102:103], v[98:99], v[116:117] op_sel:[0,0,1] op_sel_hi:[1,1,0] neg_lo:[0,0,1] neg_hi:[0,0,1]
	v_pk_fma_f32 v[102:103], v[102:103], v[98:99], v[116:117] op_sel:[0,0,1] op_sel_hi:[1,0,0]
	s_delay_alu instid0(VALU_DEP_1) | instskip(SKIP_1) | instid1(VALU_DEP_1)
	v_mov_b32_e32 v119, v103
	v_pk_mul_f32 v[102:103], v[104:105], v[100:101] op_sel:[0,1]
	v_pk_fma_f32 v[116:117], v[104:105], v[98:99], v[102:103] op_sel:[0,0,1] op_sel_hi:[1,1,0] neg_lo:[0,0,1] neg_hi:[0,0,1]
	v_pk_fma_f32 v[102:103], v[104:105], v[98:99], v[102:103] op_sel:[0,0,1] op_sel_hi:[1,0,0]
	s_delay_alu instid0(VALU_DEP_1)
	v_mov_b32_e32 v117, v103
	ds_load_2addr_b64 v[102:105], v148 offset0:45 offset1:46
	v_pk_add_f32 v[172:173], v[172:173], v[118:119] neg_lo:[0,1] neg_hi:[0,1]
	v_pk_add_f32 v[196:197], v[196:197], v[116:117] neg_lo:[0,1] neg_hi:[0,1]
	s_wait_dscnt 0x0
	v_pk_mul_f32 v[116:117], v[102:103], v[100:101] op_sel:[0,1]
	s_delay_alu instid0(VALU_DEP_1) | instskip(SKIP_2) | instid1(VALU_DEP_2)
	v_pk_fma_f32 v[118:119], v[102:103], v[98:99], v[116:117] op_sel:[0,0,1] op_sel_hi:[1,1,0] neg_lo:[0,0,1] neg_hi:[0,0,1]
	v_pk_fma_f32 v[102:103], v[102:103], v[98:99], v[116:117] op_sel:[0,0,1] op_sel_hi:[1,0,0]
	v_dual_mul_f32 v116, v105, v101 :: v_dual_mov_b32 v102, v105
	v_dual_mov_b32 v119, v103 :: v_dual_mov_b32 v103, v104
	s_delay_alu instid0(VALU_DEP_2) | instskip(SKIP_1) | instid1(VALU_DEP_3)
	v_pk_fma_f32 v[116:117], v[104:105], v[176:177], v[116:117] op_sel_hi:[1,1,0] neg_lo:[0,0,1] neg_hi:[0,0,1]
	v_mul_f32_e32 v104, v105, v98
	v_pk_add_f32 v[192:193], v[192:193], v[118:119] neg_lo:[0,1] neg_hi:[0,1]
	s_delay_alu instid0(VALU_DEP_2) | instskip(NEXT) | instid1(VALU_DEP_1)
	v_pk_fma_f32 v[102:103], v[102:103], v[176:177], v[104:105] op_sel_hi:[1,1,0]
	v_mov_b32_e32 v117, v103
	ds_load_2addr_b64 v[102:105], v148 offset0:47 offset1:48
	v_pk_add_f32 v[194:195], v[194:195], v[116:117] neg_lo:[0,1] neg_hi:[0,1]
	s_wait_dscnt 0x0
	v_pk_mul_f32 v[116:117], v[102:103], v[100:101] op_sel:[0,1]
	s_delay_alu instid0(VALU_DEP_1) | instskip(SKIP_1) | instid1(VALU_DEP_1)
	v_pk_fma_f32 v[118:119], v[102:103], v[98:99], v[116:117] op_sel:[0,0,1] op_sel_hi:[1,1,0] neg_lo:[0,0,1] neg_hi:[0,0,1]
	v_pk_fma_f32 v[102:103], v[102:103], v[98:99], v[116:117] op_sel:[0,0,1] op_sel_hi:[1,0,0]
	v_mov_b32_e32 v119, v103
	v_pk_mul_f32 v[102:103], v[104:105], v[100:101] op_sel:[0,1]
	s_delay_alu instid0(VALU_DEP_1) | instskip(SKIP_1) | instid1(VALU_DEP_1)
	v_pk_fma_f32 v[116:117], v[104:105], v[98:99], v[102:103] op_sel:[0,0,1] op_sel_hi:[1,1,0] neg_lo:[0,0,1] neg_hi:[0,0,1]
	v_pk_fma_f32 v[102:103], v[104:105], v[98:99], v[102:103] op_sel:[0,0,1] op_sel_hi:[1,0,0]
	v_mov_b32_e32 v117, v103
	ds_load_2addr_b64 v[102:105], v148 offset0:49 offset1:50
	v_pk_add_f32 v[190:191], v[190:191], v[118:119] neg_lo:[0,1] neg_hi:[0,1]
	v_pk_add_f32 v[212:213], v[212:213], v[116:117] neg_lo:[0,1] neg_hi:[0,1]
	s_wait_dscnt 0x0
	v_pk_mul_f32 v[116:117], v[102:103], v[100:101] op_sel:[0,1]
	s_delay_alu instid0(VALU_DEP_1) | instskip(SKIP_1) | instid1(VALU_DEP_1)
	v_pk_fma_f32 v[118:119], v[102:103], v[98:99], v[116:117] op_sel:[0,0,1] op_sel_hi:[1,1,0] neg_lo:[0,0,1] neg_hi:[0,0,1]
	v_pk_fma_f32 v[102:103], v[102:103], v[98:99], v[116:117] op_sel:[0,0,1] op_sel_hi:[1,0,0]
	v_mov_b32_e32 v119, v103
	v_pk_mul_f32 v[102:103], v[104:105], v[100:101] op_sel:[0,1]
	s_delay_alu instid0(VALU_DEP_1) | instskip(SKIP_1) | instid1(VALU_DEP_1)
	v_pk_fma_f32 v[116:117], v[104:105], v[98:99], v[102:103] op_sel:[0,0,1] op_sel_hi:[1,1,0] neg_lo:[0,0,1] neg_hi:[0,0,1]
	v_pk_fma_f32 v[102:103], v[104:105], v[98:99], v[102:103] op_sel:[0,0,1] op_sel_hi:[1,0,0]
	v_mov_b32_e32 v117, v103
	ds_load_2addr_b64 v[102:105], v148 offset0:51 offset1:52
	v_pk_add_f32 v[208:209], v[208:209], v[118:119] neg_lo:[0,1] neg_hi:[0,1]
	v_pk_add_f32 v[210:211], v[210:211], v[116:117] neg_lo:[0,1] neg_hi:[0,1]
	s_wait_dscnt 0x0
	v_dual_mul_f32 v116, v103, v101 :: v_dual_mul_f32 v118, v103, v98
	s_delay_alu instid0(VALU_DEP_1) | instskip(NEXT) | instid1(VALU_DEP_2)
	v_pk_fma_f32 v[116:117], v[102:103], v[176:177], v[116:117] op_sel_hi:[1,1,0] neg_lo:[0,0,1] neg_hi:[0,0,1]
	v_pk_fma_f32 v[102:103], v[102:103], v[176:177], v[118:119] op_sel:[1,0,0] op_sel_hi:[0,1,0]
	s_delay_alu instid0(VALU_DEP_1) | instskip(SKIP_1) | instid1(VALU_DEP_2)
	v_mov_b32_e32 v117, v103
	v_pk_mul_f32 v[102:103], v[104:105], v[100:101] op_sel:[0,1]
	v_pk_add_f32 v[206:207], v[206:207], v[116:117] neg_lo:[0,1] neg_hi:[0,1]
	s_delay_alu instid0(VALU_DEP_2) | instskip(SKIP_1) | instid1(VALU_DEP_1)
	v_pk_fma_f32 v[116:117], v[104:105], v[98:99], v[102:103] op_sel:[0,0,1] op_sel_hi:[1,1,0] neg_lo:[0,0,1] neg_hi:[0,0,1]
	v_pk_fma_f32 v[102:103], v[104:105], v[98:99], v[102:103] op_sel:[0,0,1] op_sel_hi:[1,0,0]
	v_mov_b32_e32 v117, v103
	ds_load_b64 v[102:103], v148 offset:424
	v_pk_add_f32 v[214:215], v[214:215], v[116:117] neg_lo:[0,1] neg_hi:[0,1]
	s_wait_dscnt 0x0
	v_pk_mul_f32 v[100:101], v[102:103], v[100:101] op_sel:[0,1]
	s_delay_alu instid0(VALU_DEP_1) | instskip(SKIP_1) | instid1(VALU_DEP_1)
	v_pk_fma_f32 v[104:105], v[102:103], v[98:99], v[100:101] op_sel:[0,0,1] op_sel_hi:[1,1,0] neg_lo:[0,0,1] neg_hi:[0,0,1]
	v_pk_fma_f32 v[98:99], v[102:103], v[98:99], v[100:101] op_sel:[0,0,1] op_sel_hi:[1,0,0]
	v_mov_b32_e32 v105, v99
	s_delay_alu instid0(VALU_DEP_1)
	v_pk_add_f32 v[216:217], v[216:217], v[104:105] neg_lo:[0,1] neg_hi:[0,1]
.LBB107_388:
	s_or_b32 exec_lo, exec_lo, s1
	s_delay_alu instid0(SALU_CYCLE_1)
	s_mov_b32 s2, exec_lo
	s_wait_dscnt 0x0
	s_barrier_signal -1
	s_barrier_wait -1
	v_cmpx_eq_u32_e32 43, v138
	s_cbranch_execz .LBB107_395
; %bb.389:
	v_dual_mov_b32 v98, v196 :: v_dual_mov_b32 v99, v197
	v_dual_mov_b32 v100, v192 :: v_dual_mov_b32 v101, v193
	ds_store_b64 v139, v[172:173]
	ds_store_2addr_b64 v148, v[98:99], v[100:101] offset0:44 offset1:45
	v_dual_mov_b32 v98, v194 :: v_dual_mov_b32 v99, v195
	v_dual_mov_b32 v100, v190 :: v_dual_mov_b32 v101, v191
	ds_store_2addr_b64 v148, v[98:99], v[100:101] offset0:46 offset1:47
	v_dual_mov_b32 v98, v212 :: v_dual_mov_b32 v99, v213
	v_dual_mov_b32 v100, v208 :: v_dual_mov_b32 v101, v209
	;; [unrolled: 3-line block ×3, first 2 shown]
	ds_store_2addr_b64 v148, v[98:99], v[100:101] offset0:50 offset1:51
	v_dual_mov_b32 v98, v214 :: v_dual_mov_b32 v99, v215
	ds_store_2addr_b64 v148, v[98:99], v[216:217] offset0:52 offset1:53
	ds_load_b64 v[98:99], v139
	s_wait_dscnt 0x0
	v_cmp_neq_f32_e32 vcc_lo, 0, v98
	v_cmp_neq_f32_e64 s1, 0, v99
	s_or_b32 s1, vcc_lo, s1
	s_delay_alu instid0(SALU_CYCLE_1)
	s_and_b32 exec_lo, exec_lo, s1
	s_cbranch_execz .LBB107_395
; %bb.390:
	v_cmp_ngt_f32_e64 s1, |v98|, |v99|
                                        ; implicit-def: $vgpr100_vgpr101
	s_and_saveexec_b32 s4, s1
	s_delay_alu instid0(SALU_CYCLE_1)
	s_xor_b32 s1, exec_lo, s4
	s_cbranch_execz .LBB107_392
; %bb.391:
	v_div_scale_f32 v100, null, v99, v99, v98
	v_div_scale_f32 v103, vcc_lo, v98, v99, v98
	s_delay_alu instid0(VALU_DEP_2) | instskip(SKIP_1) | instid1(TRANS32_DEP_1)
	v_rcp_f32_e32 v101, v100
	v_nop
	v_fma_f32 v102, -v100, v101, 1.0
	s_delay_alu instid0(VALU_DEP_1) | instskip(NEXT) | instid1(VALU_DEP_1)
	v_fmac_f32_e32 v101, v102, v101
	v_mul_f32_e32 v102, v103, v101
	s_delay_alu instid0(VALU_DEP_1) | instskip(NEXT) | instid1(VALU_DEP_1)
	v_fma_f32 v104, -v100, v102, v103
	v_fmac_f32_e32 v102, v104, v101
	s_delay_alu instid0(VALU_DEP_1) | instskip(NEXT) | instid1(VALU_DEP_1)
	v_fma_f32 v100, -v100, v102, v103
	v_div_fmas_f32 v100, v100, v101, v102
	s_delay_alu instid0(VALU_DEP_1) | instskip(NEXT) | instid1(VALU_DEP_1)
	v_div_fixup_f32 v100, v100, v99, v98
	v_fmac_f32_e32 v99, v98, v100
	s_delay_alu instid0(VALU_DEP_1) | instskip(SKIP_1) | instid1(VALU_DEP_2)
	v_div_scale_f32 v98, null, v99, v99, 1.0
	v_div_scale_f32 v103, vcc_lo, 1.0, v99, 1.0
	v_rcp_f32_e32 v101, v98
	v_nop
	s_delay_alu instid0(TRANS32_DEP_1) | instskip(NEXT) | instid1(VALU_DEP_1)
	v_fma_f32 v102, -v98, v101, 1.0
	v_fmac_f32_e32 v101, v102, v101
	s_delay_alu instid0(VALU_DEP_1) | instskip(NEXT) | instid1(VALU_DEP_1)
	v_mul_f32_e32 v102, v103, v101
	v_fma_f32 v104, -v98, v102, v103
	s_delay_alu instid0(VALU_DEP_1) | instskip(NEXT) | instid1(VALU_DEP_1)
	v_fmac_f32_e32 v102, v104, v101
	v_fma_f32 v98, -v98, v102, v103
	s_delay_alu instid0(VALU_DEP_1) | instskip(NEXT) | instid1(VALU_DEP_1)
	v_div_fmas_f32 v98, v98, v101, v102
	v_div_fixup_f32 v98, v98, v99, 1.0
	s_delay_alu instid0(VALU_DEP_1)
	v_mul_f32_e32 v100, v100, v98
	v_xor_b32_e32 v101, 0x80000000, v98
                                        ; implicit-def: $vgpr98_vgpr99
.LBB107_392:
	s_and_not1_saveexec_b32 s1, s1
	s_cbranch_execz .LBB107_394
; %bb.393:
	v_div_scale_f32 v100, null, v98, v98, v99
	v_div_scale_f32 v103, vcc_lo, v99, v98, v99
	s_delay_alu instid0(VALU_DEP_2) | instskip(SKIP_1) | instid1(TRANS32_DEP_1)
	v_rcp_f32_e32 v101, v100
	v_nop
	v_fma_f32 v102, -v100, v101, 1.0
	s_delay_alu instid0(VALU_DEP_1) | instskip(NEXT) | instid1(VALU_DEP_1)
	v_fmac_f32_e32 v101, v102, v101
	v_mul_f32_e32 v102, v103, v101
	s_delay_alu instid0(VALU_DEP_1) | instskip(NEXT) | instid1(VALU_DEP_1)
	v_fma_f32 v104, -v100, v102, v103
	v_fmac_f32_e32 v102, v104, v101
	s_delay_alu instid0(VALU_DEP_1) | instskip(NEXT) | instid1(VALU_DEP_1)
	v_fma_f32 v100, -v100, v102, v103
	v_div_fmas_f32 v100, v100, v101, v102
	s_delay_alu instid0(VALU_DEP_1) | instskip(NEXT) | instid1(VALU_DEP_1)
	v_div_fixup_f32 v101, v100, v98, v99
	v_fmac_f32_e32 v98, v99, v101
	s_delay_alu instid0(VALU_DEP_1) | instskip(NEXT) | instid1(VALU_DEP_1)
	v_div_scale_f32 v99, null, v98, v98, 1.0
	v_rcp_f32_e32 v100, v99
	v_nop
	s_delay_alu instid0(TRANS32_DEP_1) | instskip(NEXT) | instid1(VALU_DEP_1)
	v_fma_f32 v102, -v99, v100, 1.0
	v_fmac_f32_e32 v100, v102, v100
	v_div_scale_f32 v102, vcc_lo, 1.0, v98, 1.0
	s_delay_alu instid0(VALU_DEP_1) | instskip(NEXT) | instid1(VALU_DEP_1)
	v_mul_f32_e32 v103, v102, v100
	v_fma_f32 v104, -v99, v103, v102
	s_delay_alu instid0(VALU_DEP_1) | instskip(NEXT) | instid1(VALU_DEP_1)
	v_fmac_f32_e32 v103, v104, v100
	v_fma_f32 v99, -v99, v103, v102
	s_delay_alu instid0(VALU_DEP_1) | instskip(NEXT) | instid1(VALU_DEP_1)
	v_div_fmas_f32 v99, v99, v100, v103
	v_div_fixup_f32 v100, v99, v98, 1.0
	s_delay_alu instid0(VALU_DEP_1)
	v_mul_f32_e64 v101, v101, -v100
.LBB107_394:
	s_or_b32 exec_lo, exec_lo, s1
	ds_store_b64 v139, v[100:101]
.LBB107_395:
	s_or_b32 exec_lo, exec_lo, s2
	s_wait_dscnt 0x0
	s_barrier_signal -1
	s_barrier_wait -1
	ds_load_b64 v[98:99], v139
	s_mov_b32 s1, exec_lo
	v_cmpx_lt_u32_e32 43, v138
	s_cbranch_execz .LBB107_397
; %bb.396:
	ds_load_2addr_b64 v[116:119], v148 offset0:44 offset1:45
	s_wait_dscnt 0x1
	v_pk_mul_f32 v[102:103], v[98:99], v[172:173] op_sel:[1,1] op_sel_hi:[0,1]
	s_delay_alu instid0(VALU_DEP_1) | instskip(SKIP_1) | instid1(VALU_DEP_1)
	v_pk_fma_f32 v[100:101], v[98:99], v[172:173], v[102:103] op_sel_hi:[1,0,1] neg_lo:[0,0,1] neg_hi:[0,0,1]
	v_pk_fma_f32 v[102:103], v[98:99], v[172:173], v[102:103] op_sel_hi:[1,0,1]
	v_dual_mov_b32 v172, v100 :: v_dual_mov_b32 v173, v103
	s_wait_dscnt 0x0
	s_delay_alu instid0(VALU_DEP_2) | instskip(NEXT) | instid1(VALU_DEP_1)
	v_pk_mul_f32 v[104:105], v[116:117], v[102:103] op_sel:[0,1]
	v_pk_fma_f32 v[120:121], v[116:117], v[100:101], v[104:105] op_sel:[0,0,1] op_sel_hi:[1,1,0] neg_lo:[0,0,1] neg_hi:[0,0,1]
	v_pk_fma_f32 v[104:105], v[116:117], v[100:101], v[104:105] op_sel:[0,0,1] op_sel_hi:[1,0,0]
	s_delay_alu instid0(VALU_DEP_1) | instskip(SKIP_1) | instid1(VALU_DEP_1)
	v_mov_b32_e32 v121, v105
	v_pk_mul_f32 v[104:105], v[118:119], v[102:103] op_sel:[0,1]
	v_pk_fma_f32 v[116:117], v[118:119], v[100:101], v[104:105] op_sel:[0,0,1] op_sel_hi:[1,1,0] neg_lo:[0,0,1] neg_hi:[0,0,1]
	v_pk_fma_f32 v[104:105], v[118:119], v[100:101], v[104:105] op_sel:[0,0,1] op_sel_hi:[1,0,0]
	s_delay_alu instid0(VALU_DEP_1) | instskip(SKIP_1) | instid1(VALU_DEP_2)
	v_mov_b32_e32 v117, v105
	v_pk_add_f32 v[196:197], v[196:197], v[120:121] neg_lo:[0,1] neg_hi:[0,1]
	v_pk_add_f32 v[192:193], v[192:193], v[116:117] neg_lo:[0,1] neg_hi:[0,1]
	ds_load_2addr_b64 v[116:119], v148 offset0:46 offset1:47
	s_wait_dscnt 0x0
	v_pk_mul_f32 v[104:105], v[116:117], v[102:103] op_sel:[0,1]
	s_delay_alu instid0(VALU_DEP_1) | instskip(SKIP_2) | instid1(VALU_DEP_2)
	v_pk_fma_f32 v[120:121], v[116:117], v[100:101], v[104:105] op_sel:[0,0,1] op_sel_hi:[1,1,0] neg_lo:[0,0,1] neg_hi:[0,0,1]
	v_pk_fma_f32 v[104:105], v[116:117], v[100:101], v[104:105] op_sel:[0,0,1] op_sel_hi:[1,0,0]
	v_dual_mul_f32 v116, v119, v103 :: v_dual_mov_b32 v104, v119
	v_dual_mov_b32 v121, v105 :: v_dual_mov_b32 v105, v118
	s_delay_alu instid0(VALU_DEP_2) | instskip(SKIP_1) | instid1(VALU_DEP_3)
	v_pk_fma_f32 v[116:117], v[118:119], v[172:173], v[116:117] op_sel_hi:[1,1,0] neg_lo:[0,0,1] neg_hi:[0,0,1]
	v_mul_f32_e32 v118, v119, v100
	v_pk_add_f32 v[194:195], v[194:195], v[120:121] neg_lo:[0,1] neg_hi:[0,1]
	s_delay_alu instid0(VALU_DEP_2) | instskip(NEXT) | instid1(VALU_DEP_1)
	v_pk_fma_f32 v[104:105], v[104:105], v[172:173], v[118:119] op_sel_hi:[1,1,0]
	v_mov_b32_e32 v117, v105
	s_delay_alu instid0(VALU_DEP_1) | instskip(SKIP_3) | instid1(VALU_DEP_1)
	v_pk_add_f32 v[190:191], v[190:191], v[116:117] neg_lo:[0,1] neg_hi:[0,1]
	ds_load_2addr_b64 v[116:119], v148 offset0:48 offset1:49
	s_wait_dscnt 0x0
	v_pk_mul_f32 v[104:105], v[116:117], v[102:103] op_sel:[0,1]
	v_pk_fma_f32 v[120:121], v[116:117], v[100:101], v[104:105] op_sel:[0,0,1] op_sel_hi:[1,1,0] neg_lo:[0,0,1] neg_hi:[0,0,1]
	v_pk_fma_f32 v[104:105], v[116:117], v[100:101], v[104:105] op_sel:[0,0,1] op_sel_hi:[1,0,0]
	s_delay_alu instid0(VALU_DEP_1) | instskip(SKIP_1) | instid1(VALU_DEP_1)
	v_mov_b32_e32 v121, v105
	v_pk_mul_f32 v[104:105], v[118:119], v[102:103] op_sel:[0,1]
	v_pk_fma_f32 v[116:117], v[118:119], v[100:101], v[104:105] op_sel:[0,0,1] op_sel_hi:[1,1,0] neg_lo:[0,0,1] neg_hi:[0,0,1]
	v_pk_fma_f32 v[104:105], v[118:119], v[100:101], v[104:105] op_sel:[0,0,1] op_sel_hi:[1,0,0]
	s_delay_alu instid0(VALU_DEP_1) | instskip(SKIP_1) | instid1(VALU_DEP_2)
	v_mov_b32_e32 v117, v105
	v_pk_add_f32 v[212:213], v[212:213], v[120:121] neg_lo:[0,1] neg_hi:[0,1]
	v_pk_add_f32 v[208:209], v[208:209], v[116:117] neg_lo:[0,1] neg_hi:[0,1]
	ds_load_2addr_b64 v[116:119], v148 offset0:50 offset1:51
	s_wait_dscnt 0x0
	v_pk_mul_f32 v[104:105], v[116:117], v[102:103] op_sel:[0,1]
	s_delay_alu instid0(VALU_DEP_1) | instskip(SKIP_1) | instid1(VALU_DEP_1)
	v_pk_fma_f32 v[120:121], v[116:117], v[100:101], v[104:105] op_sel:[0,0,1] op_sel_hi:[1,1,0] neg_lo:[0,0,1] neg_hi:[0,0,1]
	v_pk_fma_f32 v[104:105], v[116:117], v[100:101], v[104:105] op_sel:[0,0,1] op_sel_hi:[1,0,0]
	v_mov_b32_e32 v121, v105
	v_pk_mul_f32 v[104:105], v[118:119], v[102:103] op_sel:[0,1]
	s_delay_alu instid0(VALU_DEP_1) | instskip(SKIP_1) | instid1(VALU_DEP_1)
	v_pk_fma_f32 v[116:117], v[118:119], v[100:101], v[104:105] op_sel:[0,0,1] op_sel_hi:[1,1,0] neg_lo:[0,0,1] neg_hi:[0,0,1]
	v_pk_fma_f32 v[104:105], v[118:119], v[100:101], v[104:105] op_sel:[0,0,1] op_sel_hi:[1,0,0]
	v_mov_b32_e32 v117, v105
	v_pk_add_f32 v[210:211], v[210:211], v[120:121] neg_lo:[0,1] neg_hi:[0,1]
	s_delay_alu instid0(VALU_DEP_2) | instskip(SKIP_4) | instid1(VALU_DEP_2)
	v_pk_add_f32 v[206:207], v[206:207], v[116:117] neg_lo:[0,1] neg_hi:[0,1]
	ds_load_2addr_b64 v[116:119], v148 offset0:52 offset1:53
	s_wait_dscnt 0x0
	v_dual_mul_f32 v104, v117, v103 :: v_dual_mul_f32 v120, v117, v100
	v_pk_mul_f32 v[102:103], v[118:119], v[102:103] op_sel:[0,1]
	v_pk_fma_f32 v[104:105], v[116:117], v[172:173], v[104:105] op_sel_hi:[1,1,0] neg_lo:[0,0,1] neg_hi:[0,0,1]
	s_delay_alu instid0(VALU_DEP_3) | instskip(NEXT) | instid1(VALU_DEP_1)
	v_pk_fma_f32 v[116:117], v[116:117], v[172:173], v[120:121] op_sel:[1,0,0] op_sel_hi:[0,1,0]
	v_mov_b32_e32 v105, v117
	s_delay_alu instid0(VALU_DEP_1) | instskip(SKIP_2) | instid1(VALU_DEP_1)
	v_pk_add_f32 v[214:215], v[214:215], v[104:105] neg_lo:[0,1] neg_hi:[0,1]
	v_pk_fma_f32 v[104:105], v[118:119], v[100:101], v[102:103] op_sel:[0,0,1] op_sel_hi:[1,1,0] neg_lo:[0,0,1] neg_hi:[0,0,1]
	v_pk_fma_f32 v[100:101], v[118:119], v[100:101], v[102:103] op_sel:[0,0,1] op_sel_hi:[1,0,0]
	v_mov_b32_e32 v105, v101
	s_delay_alu instid0(VALU_DEP_1)
	v_pk_add_f32 v[216:217], v[216:217], v[104:105] neg_lo:[0,1] neg_hi:[0,1]
.LBB107_397:
	s_or_b32 exec_lo, exec_lo, s1
	s_delay_alu instid0(SALU_CYCLE_1)
	s_mov_b32 s2, exec_lo
	s_wait_dscnt 0x0
	s_barrier_signal -1
	s_barrier_wait -1
	v_cmpx_eq_u32_e32 44, v138
	s_cbranch_execz .LBB107_404
; %bb.398:
	ds_store_b64 v139, v[196:197]
	ds_store_2addr_b64 v148, v[192:193], v[194:195] offset0:45 offset1:46
	ds_store_2addr_b64 v148, v[190:191], v[212:213] offset0:47 offset1:48
	;; [unrolled: 1-line block ×4, first 2 shown]
	ds_store_b64 v148, v[216:217] offset:424
	ds_load_b64 v[100:101], v139
	s_wait_dscnt 0x0
	v_cmp_neq_f32_e32 vcc_lo, 0, v100
	v_cmp_neq_f32_e64 s1, 0, v101
	s_or_b32 s1, vcc_lo, s1
	s_delay_alu instid0(SALU_CYCLE_1)
	s_and_b32 exec_lo, exec_lo, s1
	s_cbranch_execz .LBB107_404
; %bb.399:
	v_cmp_ngt_f32_e64 s1, |v100|, |v101|
                                        ; implicit-def: $vgpr102_vgpr103
	s_and_saveexec_b32 s4, s1
	s_delay_alu instid0(SALU_CYCLE_1)
	s_xor_b32 s1, exec_lo, s4
	s_cbranch_execz .LBB107_401
; %bb.400:
	v_div_scale_f32 v102, null, v101, v101, v100
	v_div_scale_f32 v105, vcc_lo, v100, v101, v100
	s_delay_alu instid0(VALU_DEP_2) | instskip(SKIP_1) | instid1(TRANS32_DEP_1)
	v_rcp_f32_e32 v103, v102
	v_nop
	v_fma_f32 v104, -v102, v103, 1.0
	s_delay_alu instid0(VALU_DEP_1) | instskip(NEXT) | instid1(VALU_DEP_1)
	v_fmac_f32_e32 v103, v104, v103
	v_mul_f32_e32 v104, v105, v103
	s_delay_alu instid0(VALU_DEP_1) | instskip(NEXT) | instid1(VALU_DEP_1)
	v_fma_f32 v116, -v102, v104, v105
	v_fmac_f32_e32 v104, v116, v103
	s_delay_alu instid0(VALU_DEP_1) | instskip(NEXT) | instid1(VALU_DEP_1)
	v_fma_f32 v102, -v102, v104, v105
	v_div_fmas_f32 v102, v102, v103, v104
	s_delay_alu instid0(VALU_DEP_1) | instskip(NEXT) | instid1(VALU_DEP_1)
	v_div_fixup_f32 v102, v102, v101, v100
	v_fmac_f32_e32 v101, v100, v102
	s_delay_alu instid0(VALU_DEP_1) | instskip(SKIP_1) | instid1(VALU_DEP_2)
	v_div_scale_f32 v100, null, v101, v101, 1.0
	v_div_scale_f32 v105, vcc_lo, 1.0, v101, 1.0
	v_rcp_f32_e32 v103, v100
	v_nop
	s_delay_alu instid0(TRANS32_DEP_1) | instskip(NEXT) | instid1(VALU_DEP_1)
	v_fma_f32 v104, -v100, v103, 1.0
	v_fmac_f32_e32 v103, v104, v103
	s_delay_alu instid0(VALU_DEP_1) | instskip(NEXT) | instid1(VALU_DEP_1)
	v_mul_f32_e32 v104, v105, v103
	v_fma_f32 v116, -v100, v104, v105
	s_delay_alu instid0(VALU_DEP_1) | instskip(NEXT) | instid1(VALU_DEP_1)
	v_fmac_f32_e32 v104, v116, v103
	v_fma_f32 v100, -v100, v104, v105
	s_delay_alu instid0(VALU_DEP_1) | instskip(NEXT) | instid1(VALU_DEP_1)
	v_div_fmas_f32 v100, v100, v103, v104
	v_div_fixup_f32 v100, v100, v101, 1.0
	s_delay_alu instid0(VALU_DEP_1)
	v_mul_f32_e32 v102, v102, v100
	v_xor_b32_e32 v103, 0x80000000, v100
                                        ; implicit-def: $vgpr100_vgpr101
.LBB107_401:
	s_and_not1_saveexec_b32 s1, s1
	s_cbranch_execz .LBB107_403
; %bb.402:
	v_div_scale_f32 v102, null, v100, v100, v101
	v_div_scale_f32 v105, vcc_lo, v101, v100, v101
	s_delay_alu instid0(VALU_DEP_2) | instskip(SKIP_1) | instid1(TRANS32_DEP_1)
	v_rcp_f32_e32 v103, v102
	v_nop
	v_fma_f32 v104, -v102, v103, 1.0
	s_delay_alu instid0(VALU_DEP_1) | instskip(NEXT) | instid1(VALU_DEP_1)
	v_fmac_f32_e32 v103, v104, v103
	v_mul_f32_e32 v104, v105, v103
	s_delay_alu instid0(VALU_DEP_1) | instskip(NEXT) | instid1(VALU_DEP_1)
	v_fma_f32 v116, -v102, v104, v105
	v_fmac_f32_e32 v104, v116, v103
	s_delay_alu instid0(VALU_DEP_1) | instskip(NEXT) | instid1(VALU_DEP_1)
	v_fma_f32 v102, -v102, v104, v105
	v_div_fmas_f32 v102, v102, v103, v104
	s_delay_alu instid0(VALU_DEP_1) | instskip(NEXT) | instid1(VALU_DEP_1)
	v_div_fixup_f32 v103, v102, v100, v101
	v_fmac_f32_e32 v100, v101, v103
	s_delay_alu instid0(VALU_DEP_1) | instskip(NEXT) | instid1(VALU_DEP_1)
	v_div_scale_f32 v101, null, v100, v100, 1.0
	v_rcp_f32_e32 v102, v101
	v_nop
	s_delay_alu instid0(TRANS32_DEP_1) | instskip(NEXT) | instid1(VALU_DEP_1)
	v_fma_f32 v104, -v101, v102, 1.0
	v_fmac_f32_e32 v102, v104, v102
	v_div_scale_f32 v104, vcc_lo, 1.0, v100, 1.0
	s_delay_alu instid0(VALU_DEP_1) | instskip(NEXT) | instid1(VALU_DEP_1)
	v_mul_f32_e32 v105, v104, v102
	v_fma_f32 v116, -v101, v105, v104
	s_delay_alu instid0(VALU_DEP_1) | instskip(NEXT) | instid1(VALU_DEP_1)
	v_fmac_f32_e32 v105, v116, v102
	v_fma_f32 v101, -v101, v105, v104
	s_delay_alu instid0(VALU_DEP_1) | instskip(NEXT) | instid1(VALU_DEP_1)
	v_div_fmas_f32 v101, v101, v102, v105
	v_div_fixup_f32 v102, v101, v100, 1.0
	s_delay_alu instid0(VALU_DEP_1)
	v_mul_f32_e64 v103, v103, -v102
.LBB107_403:
	s_or_b32 exec_lo, exec_lo, s1
	ds_store_b64 v139, v[102:103]
.LBB107_404:
	s_or_b32 exec_lo, exec_lo, s2
	s_wait_dscnt 0x0
	s_barrier_signal -1
	s_barrier_wait -1
	ds_load_b64 v[100:101], v139
	s_mov_b32 s1, exec_lo
	v_cmpx_lt_u32_e32 44, v138
	s_cbranch_execz .LBB107_406
; %bb.405:
	ds_load_2addr_b64 v[116:119], v148 offset0:45 offset1:46
	s_wait_dscnt 0x1
	v_pk_mul_f32 v[104:105], v[100:101], v[196:197] op_sel:[1,1] op_sel_hi:[0,1]
	s_delay_alu instid0(VALU_DEP_1) | instskip(SKIP_1) | instid1(VALU_DEP_1)
	v_pk_fma_f32 v[102:103], v[100:101], v[196:197], v[104:105] op_sel_hi:[1,0,1] neg_lo:[0,0,1] neg_hi:[0,0,1]
	v_pk_fma_f32 v[104:105], v[100:101], v[196:197], v[104:105] op_sel_hi:[1,0,1]
	v_dual_mov_b32 v196, v102 :: v_dual_mov_b32 v197, v105
	s_wait_dscnt 0x0
	s_delay_alu instid0(VALU_DEP_2) | instskip(NEXT) | instid1(VALU_DEP_1)
	v_pk_mul_f32 v[120:121], v[116:117], v[104:105] op_sel:[0,1]
	v_pk_fma_f32 v[122:123], v[116:117], v[102:103], v[120:121] op_sel:[0,0,1] op_sel_hi:[1,1,0] neg_lo:[0,0,1] neg_hi:[0,0,1]
	v_pk_fma_f32 v[116:117], v[116:117], v[102:103], v[120:121] op_sel:[0,0,1] op_sel_hi:[1,0,0]
	s_delay_alu instid0(VALU_DEP_1) | instskip(SKIP_1) | instid1(VALU_DEP_1)
	v_mov_b32_e32 v123, v117
	v_pk_mul_f32 v[116:117], v[118:119], v[104:105] op_sel:[0,1]
	v_pk_fma_f32 v[120:121], v[118:119], v[102:103], v[116:117] op_sel:[0,0,1] op_sel_hi:[1,1,0] neg_lo:[0,0,1] neg_hi:[0,0,1]
	v_pk_fma_f32 v[116:117], v[118:119], v[102:103], v[116:117] op_sel:[0,0,1] op_sel_hi:[1,0,0]
	s_delay_alu instid0(VALU_DEP_1)
	v_mov_b32_e32 v121, v117
	ds_load_2addr_b64 v[116:119], v148 offset0:47 offset1:48
	v_pk_add_f32 v[192:193], v[192:193], v[122:123] neg_lo:[0,1] neg_hi:[0,1]
	v_pk_add_f32 v[194:195], v[194:195], v[120:121] neg_lo:[0,1] neg_hi:[0,1]
	s_wait_dscnt 0x0
	v_pk_mul_f32 v[120:121], v[116:117], v[104:105] op_sel:[0,1]
	s_delay_alu instid0(VALU_DEP_1) | instskip(SKIP_2) | instid1(VALU_DEP_2)
	v_pk_fma_f32 v[122:123], v[116:117], v[102:103], v[120:121] op_sel:[0,0,1] op_sel_hi:[1,1,0] neg_lo:[0,0,1] neg_hi:[0,0,1]
	v_pk_fma_f32 v[116:117], v[116:117], v[102:103], v[120:121] op_sel:[0,0,1] op_sel_hi:[1,0,0]
	v_dual_mul_f32 v120, v119, v105 :: v_dual_mov_b32 v116, v119
	v_dual_mov_b32 v123, v117 :: v_dual_mov_b32 v117, v118
	s_delay_alu instid0(VALU_DEP_2) | instskip(SKIP_1) | instid1(VALU_DEP_3)
	v_pk_fma_f32 v[120:121], v[118:119], v[196:197], v[120:121] op_sel_hi:[1,1,0] neg_lo:[0,0,1] neg_hi:[0,0,1]
	v_mul_f32_e32 v118, v119, v102
	v_pk_add_f32 v[190:191], v[190:191], v[122:123] neg_lo:[0,1] neg_hi:[0,1]
	s_delay_alu instid0(VALU_DEP_2) | instskip(NEXT) | instid1(VALU_DEP_1)
	v_pk_fma_f32 v[116:117], v[116:117], v[196:197], v[118:119] op_sel_hi:[1,1,0]
	v_mov_b32_e32 v121, v117
	ds_load_2addr_b64 v[116:119], v148 offset0:49 offset1:50
	v_pk_add_f32 v[212:213], v[212:213], v[120:121] neg_lo:[0,1] neg_hi:[0,1]
	s_wait_dscnt 0x0
	v_pk_mul_f32 v[120:121], v[116:117], v[104:105] op_sel:[0,1]
	s_delay_alu instid0(VALU_DEP_1) | instskip(SKIP_1) | instid1(VALU_DEP_1)
	v_pk_fma_f32 v[122:123], v[116:117], v[102:103], v[120:121] op_sel:[0,0,1] op_sel_hi:[1,1,0] neg_lo:[0,0,1] neg_hi:[0,0,1]
	v_pk_fma_f32 v[116:117], v[116:117], v[102:103], v[120:121] op_sel:[0,0,1] op_sel_hi:[1,0,0]
	v_mov_b32_e32 v123, v117
	v_pk_mul_f32 v[116:117], v[118:119], v[104:105] op_sel:[0,1]
	s_delay_alu instid0(VALU_DEP_1) | instskip(SKIP_1) | instid1(VALU_DEP_1)
	v_pk_fma_f32 v[120:121], v[118:119], v[102:103], v[116:117] op_sel:[0,0,1] op_sel_hi:[1,1,0] neg_lo:[0,0,1] neg_hi:[0,0,1]
	v_pk_fma_f32 v[116:117], v[118:119], v[102:103], v[116:117] op_sel:[0,0,1] op_sel_hi:[1,0,0]
	v_mov_b32_e32 v121, v117
	ds_load_2addr_b64 v[116:119], v148 offset0:51 offset1:52
	v_pk_add_f32 v[208:209], v[208:209], v[122:123] neg_lo:[0,1] neg_hi:[0,1]
	v_pk_add_f32 v[210:211], v[210:211], v[120:121] neg_lo:[0,1] neg_hi:[0,1]
	s_wait_dscnt 0x0
	v_pk_mul_f32 v[120:121], v[116:117], v[104:105] op_sel:[0,1]
	s_delay_alu instid0(VALU_DEP_1) | instskip(SKIP_1) | instid1(VALU_DEP_1)
	v_pk_fma_f32 v[122:123], v[116:117], v[102:103], v[120:121] op_sel:[0,0,1] op_sel_hi:[1,1,0] neg_lo:[0,0,1] neg_hi:[0,0,1]
	v_pk_fma_f32 v[116:117], v[116:117], v[102:103], v[120:121] op_sel:[0,0,1] op_sel_hi:[1,0,0]
	v_mov_b32_e32 v123, v117
	v_pk_mul_f32 v[116:117], v[118:119], v[104:105] op_sel:[0,1]
	s_delay_alu instid0(VALU_DEP_1) | instskip(SKIP_1) | instid1(VALU_DEP_1)
	v_pk_fma_f32 v[120:121], v[118:119], v[102:103], v[116:117] op_sel:[0,0,1] op_sel_hi:[1,1,0] neg_lo:[0,0,1] neg_hi:[0,0,1]
	v_pk_fma_f32 v[116:117], v[118:119], v[102:103], v[116:117] op_sel:[0,0,1] op_sel_hi:[1,0,0]
	v_mov_b32_e32 v121, v117
	ds_load_b64 v[116:117], v148 offset:424
	v_pk_add_f32 v[206:207], v[206:207], v[122:123] neg_lo:[0,1] neg_hi:[0,1]
	v_pk_add_f32 v[214:215], v[214:215], v[120:121] neg_lo:[0,1] neg_hi:[0,1]
	s_wait_dscnt 0x0
	v_pk_mul_f32 v[104:105], v[116:117], v[104:105] op_sel:[0,1]
	s_delay_alu instid0(VALU_DEP_1) | instskip(SKIP_1) | instid1(VALU_DEP_1)
	v_pk_fma_f32 v[118:119], v[116:117], v[102:103], v[104:105] op_sel:[0,0,1] op_sel_hi:[1,1,0] neg_lo:[0,0,1] neg_hi:[0,0,1]
	v_pk_fma_f32 v[102:103], v[116:117], v[102:103], v[104:105] op_sel:[0,0,1] op_sel_hi:[1,0,0]
	v_mov_b32_e32 v119, v103
	s_delay_alu instid0(VALU_DEP_1)
	v_pk_add_f32 v[216:217], v[216:217], v[118:119] neg_lo:[0,1] neg_hi:[0,1]
.LBB107_406:
	s_or_b32 exec_lo, exec_lo, s1
	s_delay_alu instid0(SALU_CYCLE_1)
	s_mov_b32 s2, exec_lo
	s_wait_dscnt 0x0
	s_barrier_signal -1
	s_barrier_wait -1
	v_cmpx_eq_u32_e32 45, v138
	s_cbranch_execz .LBB107_413
; %bb.407:
	v_dual_mov_b32 v102, v194 :: v_dual_mov_b32 v103, v195
	v_dual_mov_b32 v104, v190 :: v_dual_mov_b32 v105, v191
	ds_store_b64 v139, v[192:193]
	ds_store_2addr_b64 v148, v[102:103], v[104:105] offset0:46 offset1:47
	v_dual_mov_b32 v102, v212 :: v_dual_mov_b32 v103, v213
	v_dual_mov_b32 v104, v208 :: v_dual_mov_b32 v105, v209
	ds_store_2addr_b64 v148, v[102:103], v[104:105] offset0:48 offset1:49
	v_dual_mov_b32 v102, v210 :: v_dual_mov_b32 v103, v211
	v_dual_mov_b32 v104, v206 :: v_dual_mov_b32 v105, v207
	ds_store_2addr_b64 v148, v[102:103], v[104:105] offset0:50 offset1:51
	v_dual_mov_b32 v102, v214 :: v_dual_mov_b32 v103, v215
	ds_store_2addr_b64 v148, v[102:103], v[216:217] offset0:52 offset1:53
	ds_load_b64 v[102:103], v139
	s_wait_dscnt 0x0
	v_cmp_neq_f32_e32 vcc_lo, 0, v102
	v_cmp_neq_f32_e64 s1, 0, v103
	s_or_b32 s1, vcc_lo, s1
	s_delay_alu instid0(SALU_CYCLE_1)
	s_and_b32 exec_lo, exec_lo, s1
	s_cbranch_execz .LBB107_413
; %bb.408:
	v_cmp_ngt_f32_e64 s1, |v102|, |v103|
                                        ; implicit-def: $vgpr104_vgpr105
	s_and_saveexec_b32 s4, s1
	s_delay_alu instid0(SALU_CYCLE_1)
	s_xor_b32 s1, exec_lo, s4
	s_cbranch_execz .LBB107_410
; %bb.409:
	v_div_scale_f32 v104, null, v103, v103, v102
	v_div_scale_f32 v117, vcc_lo, v102, v103, v102
	s_delay_alu instid0(VALU_DEP_2) | instskip(SKIP_1) | instid1(TRANS32_DEP_1)
	v_rcp_f32_e32 v105, v104
	v_nop
	v_fma_f32 v116, -v104, v105, 1.0
	s_delay_alu instid0(VALU_DEP_1) | instskip(NEXT) | instid1(VALU_DEP_1)
	v_fmac_f32_e32 v105, v116, v105
	v_mul_f32_e32 v116, v117, v105
	s_delay_alu instid0(VALU_DEP_1) | instskip(NEXT) | instid1(VALU_DEP_1)
	v_fma_f32 v118, -v104, v116, v117
	v_fmac_f32_e32 v116, v118, v105
	s_delay_alu instid0(VALU_DEP_1) | instskip(NEXT) | instid1(VALU_DEP_1)
	v_fma_f32 v104, -v104, v116, v117
	v_div_fmas_f32 v104, v104, v105, v116
	s_delay_alu instid0(VALU_DEP_1) | instskip(NEXT) | instid1(VALU_DEP_1)
	v_div_fixup_f32 v104, v104, v103, v102
	v_fmac_f32_e32 v103, v102, v104
	s_delay_alu instid0(VALU_DEP_1) | instskip(SKIP_1) | instid1(VALU_DEP_2)
	v_div_scale_f32 v102, null, v103, v103, 1.0
	v_div_scale_f32 v117, vcc_lo, 1.0, v103, 1.0
	v_rcp_f32_e32 v105, v102
	v_nop
	s_delay_alu instid0(TRANS32_DEP_1) | instskip(NEXT) | instid1(VALU_DEP_1)
	v_fma_f32 v116, -v102, v105, 1.0
	v_fmac_f32_e32 v105, v116, v105
	s_delay_alu instid0(VALU_DEP_1) | instskip(NEXT) | instid1(VALU_DEP_1)
	v_mul_f32_e32 v116, v117, v105
	v_fma_f32 v118, -v102, v116, v117
	s_delay_alu instid0(VALU_DEP_1) | instskip(NEXT) | instid1(VALU_DEP_1)
	v_fmac_f32_e32 v116, v118, v105
	v_fma_f32 v102, -v102, v116, v117
	s_delay_alu instid0(VALU_DEP_1) | instskip(NEXT) | instid1(VALU_DEP_1)
	v_div_fmas_f32 v102, v102, v105, v116
	v_div_fixup_f32 v102, v102, v103, 1.0
	s_delay_alu instid0(VALU_DEP_1)
	v_mul_f32_e32 v104, v104, v102
	v_xor_b32_e32 v105, 0x80000000, v102
                                        ; implicit-def: $vgpr102_vgpr103
.LBB107_410:
	s_and_not1_saveexec_b32 s1, s1
	s_cbranch_execz .LBB107_412
; %bb.411:
	v_div_scale_f32 v104, null, v102, v102, v103
	v_div_scale_f32 v117, vcc_lo, v103, v102, v103
	s_delay_alu instid0(VALU_DEP_2) | instskip(SKIP_1) | instid1(TRANS32_DEP_1)
	v_rcp_f32_e32 v105, v104
	v_nop
	v_fma_f32 v116, -v104, v105, 1.0
	s_delay_alu instid0(VALU_DEP_1) | instskip(NEXT) | instid1(VALU_DEP_1)
	v_fmac_f32_e32 v105, v116, v105
	v_mul_f32_e32 v116, v117, v105
	s_delay_alu instid0(VALU_DEP_1) | instskip(NEXT) | instid1(VALU_DEP_1)
	v_fma_f32 v118, -v104, v116, v117
	v_fmac_f32_e32 v116, v118, v105
	s_delay_alu instid0(VALU_DEP_1) | instskip(NEXT) | instid1(VALU_DEP_1)
	v_fma_f32 v104, -v104, v116, v117
	v_div_fmas_f32 v104, v104, v105, v116
	s_delay_alu instid0(VALU_DEP_1) | instskip(NEXT) | instid1(VALU_DEP_1)
	v_div_fixup_f32 v105, v104, v102, v103
	v_fmac_f32_e32 v102, v103, v105
	s_delay_alu instid0(VALU_DEP_1) | instskip(NEXT) | instid1(VALU_DEP_1)
	v_div_scale_f32 v103, null, v102, v102, 1.0
	v_rcp_f32_e32 v104, v103
	v_nop
	s_delay_alu instid0(TRANS32_DEP_1) | instskip(NEXT) | instid1(VALU_DEP_1)
	v_fma_f32 v116, -v103, v104, 1.0
	v_fmac_f32_e32 v104, v116, v104
	v_div_scale_f32 v116, vcc_lo, 1.0, v102, 1.0
	s_delay_alu instid0(VALU_DEP_1) | instskip(NEXT) | instid1(VALU_DEP_1)
	v_mul_f32_e32 v117, v116, v104
	v_fma_f32 v118, -v103, v117, v116
	s_delay_alu instid0(VALU_DEP_1) | instskip(NEXT) | instid1(VALU_DEP_1)
	v_fmac_f32_e32 v117, v118, v104
	v_fma_f32 v103, -v103, v117, v116
	s_delay_alu instid0(VALU_DEP_1) | instskip(NEXT) | instid1(VALU_DEP_1)
	v_div_fmas_f32 v103, v103, v104, v117
	v_div_fixup_f32 v104, v103, v102, 1.0
	s_delay_alu instid0(VALU_DEP_1)
	v_mul_f32_e64 v105, v105, -v104
.LBB107_412:
	s_or_b32 exec_lo, exec_lo, s1
	ds_store_b64 v139, v[104:105]
.LBB107_413:
	s_or_b32 exec_lo, exec_lo, s2
	s_wait_dscnt 0x0
	s_barrier_signal -1
	s_barrier_wait -1
	ds_load_b64 v[102:103], v139
	s_mov_b32 s1, exec_lo
	v_cmpx_lt_u32_e32 45, v138
	s_cbranch_execz .LBB107_415
; %bb.414:
	ds_load_2addr_b64 v[118:121], v148 offset0:46 offset1:47
	s_wait_dscnt 0x1
	v_pk_mul_f32 v[116:117], v[102:103], v[192:193] op_sel:[1,1] op_sel_hi:[0,1]
	s_delay_alu instid0(VALU_DEP_1) | instskip(SKIP_1) | instid1(VALU_DEP_1)
	v_pk_fma_f32 v[104:105], v[102:103], v[192:193], v[116:117] op_sel_hi:[1,0,1] neg_lo:[0,0,1] neg_hi:[0,0,1]
	v_pk_fma_f32 v[116:117], v[102:103], v[192:193], v[116:117] op_sel_hi:[1,0,1]
	v_dual_mov_b32 v192, v104 :: v_dual_mov_b32 v193, v117
	s_wait_dscnt 0x0
	s_delay_alu instid0(VALU_DEP_2) | instskip(NEXT) | instid1(VALU_DEP_1)
	v_pk_mul_f32 v[122:123], v[118:119], v[116:117] op_sel:[0,1]
	v_pk_fma_f32 v[132:133], v[118:119], v[104:105], v[122:123] op_sel:[0,0,1] op_sel_hi:[1,1,0] neg_lo:[0,0,1] neg_hi:[0,0,1]
	v_pk_fma_f32 v[118:119], v[118:119], v[104:105], v[122:123] op_sel:[0,0,1] op_sel_hi:[1,0,0]
	s_delay_alu instid0(VALU_DEP_1) | instskip(SKIP_1) | instid1(VALU_DEP_1)
	v_mov_b32_e32 v133, v119
	v_pk_mul_f32 v[118:119], v[120:121], v[116:117] op_sel:[0,1]
	v_pk_fma_f32 v[122:123], v[120:121], v[104:105], v[118:119] op_sel:[0,0,1] op_sel_hi:[1,1,0] neg_lo:[0,0,1] neg_hi:[0,0,1]
	v_pk_fma_f32 v[118:119], v[120:121], v[104:105], v[118:119] op_sel:[0,0,1] op_sel_hi:[1,0,0]
	s_delay_alu instid0(VALU_DEP_1)
	v_mov_b32_e32 v123, v119
	ds_load_2addr_b64 v[118:121], v148 offset0:48 offset1:49
	v_pk_add_f32 v[194:195], v[194:195], v[132:133] neg_lo:[0,1] neg_hi:[0,1]
	v_pk_add_f32 v[190:191], v[190:191], v[122:123] neg_lo:[0,1] neg_hi:[0,1]
	s_wait_dscnt 0x0
	v_pk_mul_f32 v[122:123], v[118:119], v[116:117] op_sel:[0,1]
	s_delay_alu instid0(VALU_DEP_1) | instskip(SKIP_2) | instid1(VALU_DEP_2)
	v_pk_fma_f32 v[132:133], v[118:119], v[104:105], v[122:123] op_sel:[0,0,1] op_sel_hi:[1,1,0] neg_lo:[0,0,1] neg_hi:[0,0,1]
	v_pk_fma_f32 v[118:119], v[118:119], v[104:105], v[122:123] op_sel:[0,0,1] op_sel_hi:[1,0,0]
	v_dual_mul_f32 v122, v121, v117 :: v_dual_mov_b32 v118, v121
	v_dual_mov_b32 v133, v119 :: v_dual_mov_b32 v119, v120
	s_delay_alu instid0(VALU_DEP_2) | instskip(SKIP_1) | instid1(VALU_DEP_3)
	v_pk_fma_f32 v[122:123], v[120:121], v[192:193], v[122:123] op_sel_hi:[1,1,0] neg_lo:[0,0,1] neg_hi:[0,0,1]
	v_mul_f32_e32 v120, v121, v104
	v_pk_add_f32 v[212:213], v[212:213], v[132:133] neg_lo:[0,1] neg_hi:[0,1]
	s_delay_alu instid0(VALU_DEP_2) | instskip(NEXT) | instid1(VALU_DEP_1)
	v_pk_fma_f32 v[118:119], v[118:119], v[192:193], v[120:121] op_sel_hi:[1,1,0]
	v_mov_b32_e32 v123, v119
	ds_load_2addr_b64 v[118:121], v148 offset0:50 offset1:51
	v_pk_add_f32 v[208:209], v[208:209], v[122:123] neg_lo:[0,1] neg_hi:[0,1]
	s_wait_dscnt 0x0
	v_pk_mul_f32 v[122:123], v[118:119], v[116:117] op_sel:[0,1]
	s_delay_alu instid0(VALU_DEP_1) | instskip(SKIP_1) | instid1(VALU_DEP_1)
	v_pk_fma_f32 v[132:133], v[118:119], v[104:105], v[122:123] op_sel:[0,0,1] op_sel_hi:[1,1,0] neg_lo:[0,0,1] neg_hi:[0,0,1]
	v_pk_fma_f32 v[118:119], v[118:119], v[104:105], v[122:123] op_sel:[0,0,1] op_sel_hi:[1,0,0]
	v_mov_b32_e32 v133, v119
	v_pk_mul_f32 v[118:119], v[120:121], v[116:117] op_sel:[0,1]
	s_delay_alu instid0(VALU_DEP_1) | instskip(SKIP_1) | instid1(VALU_DEP_1)
	v_pk_fma_f32 v[122:123], v[120:121], v[104:105], v[118:119] op_sel:[0,0,1] op_sel_hi:[1,1,0] neg_lo:[0,0,1] neg_hi:[0,0,1]
	v_pk_fma_f32 v[118:119], v[120:121], v[104:105], v[118:119] op_sel:[0,0,1] op_sel_hi:[1,0,0]
	v_mov_b32_e32 v123, v119
	ds_load_2addr_b64 v[118:121], v148 offset0:52 offset1:53
	v_pk_add_f32 v[210:211], v[210:211], v[132:133] neg_lo:[0,1] neg_hi:[0,1]
	v_pk_add_f32 v[206:207], v[206:207], v[122:123] neg_lo:[0,1] neg_hi:[0,1]
	s_wait_dscnt 0x0
	v_pk_mul_f32 v[122:123], v[118:119], v[116:117] op_sel:[0,1]
	v_pk_mul_f32 v[116:117], v[120:121], v[116:117] op_sel:[0,1]
	s_delay_alu instid0(VALU_DEP_2) | instskip(SKIP_1) | instid1(VALU_DEP_1)
	v_pk_fma_f32 v[132:133], v[118:119], v[104:105], v[122:123] op_sel:[0,0,1] op_sel_hi:[1,1,0] neg_lo:[0,0,1] neg_hi:[0,0,1]
	v_pk_fma_f32 v[118:119], v[118:119], v[104:105], v[122:123] op_sel:[0,0,1] op_sel_hi:[1,0,0]
	v_mov_b32_e32 v133, v119
	s_delay_alu instid0(VALU_DEP_4) | instskip(SKIP_1) | instid1(VALU_DEP_1)
	v_pk_fma_f32 v[118:119], v[120:121], v[104:105], v[116:117] op_sel:[0,0,1] op_sel_hi:[1,1,0] neg_lo:[0,0,1] neg_hi:[0,0,1]
	v_pk_fma_f32 v[104:105], v[120:121], v[104:105], v[116:117] op_sel:[0,0,1] op_sel_hi:[1,0,0]
	v_mov_b32_e32 v119, v105
	s_delay_alu instid0(VALU_DEP_4) | instskip(NEXT) | instid1(VALU_DEP_2)
	v_pk_add_f32 v[214:215], v[214:215], v[132:133] neg_lo:[0,1] neg_hi:[0,1]
	v_pk_add_f32 v[216:217], v[216:217], v[118:119] neg_lo:[0,1] neg_hi:[0,1]
.LBB107_415:
	s_or_b32 exec_lo, exec_lo, s1
	s_delay_alu instid0(SALU_CYCLE_1)
	s_mov_b32 s2, exec_lo
	s_wait_dscnt 0x0
	s_barrier_signal -1
	s_barrier_wait -1
	v_cmpx_eq_u32_e32 46, v138
	s_cbranch_execz .LBB107_422
; %bb.416:
	ds_store_b64 v139, v[194:195]
	ds_store_2addr_b64 v148, v[190:191], v[212:213] offset0:47 offset1:48
	ds_store_2addr_b64 v148, v[208:209], v[210:211] offset0:49 offset1:50
	;; [unrolled: 1-line block ×3, first 2 shown]
	ds_store_b64 v148, v[216:217] offset:424
	ds_load_b64 v[104:105], v139
	s_wait_dscnt 0x0
	v_cmp_neq_f32_e32 vcc_lo, 0, v104
	v_cmp_neq_f32_e64 s1, 0, v105
	s_or_b32 s1, vcc_lo, s1
	s_delay_alu instid0(SALU_CYCLE_1)
	s_and_b32 exec_lo, exec_lo, s1
	s_cbranch_execz .LBB107_422
; %bb.417:
	v_cmp_ngt_f32_e64 s1, |v104|, |v105|
                                        ; implicit-def: $vgpr116_vgpr117
	s_and_saveexec_b32 s4, s1
	s_delay_alu instid0(SALU_CYCLE_1)
	s_xor_b32 s1, exec_lo, s4
	s_cbranch_execz .LBB107_419
; %bb.418:
	v_div_scale_f32 v116, null, v105, v105, v104
	v_div_scale_f32 v119, vcc_lo, v104, v105, v104
	s_delay_alu instid0(VALU_DEP_2) | instskip(SKIP_1) | instid1(TRANS32_DEP_1)
	v_rcp_f32_e32 v117, v116
	v_nop
	v_fma_f32 v118, -v116, v117, 1.0
	s_delay_alu instid0(VALU_DEP_1) | instskip(NEXT) | instid1(VALU_DEP_1)
	v_fmac_f32_e32 v117, v118, v117
	v_mul_f32_e32 v118, v119, v117
	s_delay_alu instid0(VALU_DEP_1) | instskip(NEXT) | instid1(VALU_DEP_1)
	v_fma_f32 v120, -v116, v118, v119
	v_fmac_f32_e32 v118, v120, v117
	s_delay_alu instid0(VALU_DEP_1) | instskip(NEXT) | instid1(VALU_DEP_1)
	v_fma_f32 v116, -v116, v118, v119
	v_div_fmas_f32 v116, v116, v117, v118
	s_delay_alu instid0(VALU_DEP_1) | instskip(NEXT) | instid1(VALU_DEP_1)
	v_div_fixup_f32 v116, v116, v105, v104
	v_fmac_f32_e32 v105, v104, v116
	s_delay_alu instid0(VALU_DEP_1) | instskip(SKIP_1) | instid1(VALU_DEP_2)
	v_div_scale_f32 v104, null, v105, v105, 1.0
	v_div_scale_f32 v119, vcc_lo, 1.0, v105, 1.0
	v_rcp_f32_e32 v117, v104
	v_nop
	s_delay_alu instid0(TRANS32_DEP_1) | instskip(NEXT) | instid1(VALU_DEP_1)
	v_fma_f32 v118, -v104, v117, 1.0
	v_fmac_f32_e32 v117, v118, v117
	s_delay_alu instid0(VALU_DEP_1) | instskip(NEXT) | instid1(VALU_DEP_1)
	v_mul_f32_e32 v118, v119, v117
	v_fma_f32 v120, -v104, v118, v119
	s_delay_alu instid0(VALU_DEP_1) | instskip(NEXT) | instid1(VALU_DEP_1)
	v_fmac_f32_e32 v118, v120, v117
	v_fma_f32 v104, -v104, v118, v119
	s_delay_alu instid0(VALU_DEP_1) | instskip(NEXT) | instid1(VALU_DEP_1)
	v_div_fmas_f32 v104, v104, v117, v118
	v_div_fixup_f32 v104, v104, v105, 1.0
	s_delay_alu instid0(VALU_DEP_1)
	v_mul_f32_e32 v116, v116, v104
	v_xor_b32_e32 v117, 0x80000000, v104
                                        ; implicit-def: $vgpr104_vgpr105
.LBB107_419:
	s_and_not1_saveexec_b32 s1, s1
	s_cbranch_execz .LBB107_421
; %bb.420:
	v_div_scale_f32 v116, null, v104, v104, v105
	v_div_scale_f32 v119, vcc_lo, v105, v104, v105
	s_delay_alu instid0(VALU_DEP_2) | instskip(SKIP_1) | instid1(TRANS32_DEP_1)
	v_rcp_f32_e32 v117, v116
	v_nop
	v_fma_f32 v118, -v116, v117, 1.0
	s_delay_alu instid0(VALU_DEP_1) | instskip(NEXT) | instid1(VALU_DEP_1)
	v_fmac_f32_e32 v117, v118, v117
	v_mul_f32_e32 v118, v119, v117
	s_delay_alu instid0(VALU_DEP_1) | instskip(NEXT) | instid1(VALU_DEP_1)
	v_fma_f32 v120, -v116, v118, v119
	v_fmac_f32_e32 v118, v120, v117
	s_delay_alu instid0(VALU_DEP_1) | instskip(NEXT) | instid1(VALU_DEP_1)
	v_fma_f32 v116, -v116, v118, v119
	v_div_fmas_f32 v116, v116, v117, v118
	s_delay_alu instid0(VALU_DEP_1) | instskip(NEXT) | instid1(VALU_DEP_1)
	v_div_fixup_f32 v117, v116, v104, v105
	v_fmac_f32_e32 v104, v105, v117
	s_delay_alu instid0(VALU_DEP_1) | instskip(NEXT) | instid1(VALU_DEP_1)
	v_div_scale_f32 v105, null, v104, v104, 1.0
	v_rcp_f32_e32 v116, v105
	v_nop
	s_delay_alu instid0(TRANS32_DEP_1) | instskip(NEXT) | instid1(VALU_DEP_1)
	v_fma_f32 v118, -v105, v116, 1.0
	v_fmac_f32_e32 v116, v118, v116
	v_div_scale_f32 v118, vcc_lo, 1.0, v104, 1.0
	s_delay_alu instid0(VALU_DEP_1) | instskip(NEXT) | instid1(VALU_DEP_1)
	v_mul_f32_e32 v119, v118, v116
	v_fma_f32 v120, -v105, v119, v118
	s_delay_alu instid0(VALU_DEP_1) | instskip(NEXT) | instid1(VALU_DEP_1)
	v_fmac_f32_e32 v119, v120, v116
	v_fma_f32 v105, -v105, v119, v118
	s_delay_alu instid0(VALU_DEP_1) | instskip(NEXT) | instid1(VALU_DEP_1)
	v_div_fmas_f32 v105, v105, v116, v119
	v_div_fixup_f32 v116, v105, v104, 1.0
	s_delay_alu instid0(VALU_DEP_1)
	v_mul_f32_e64 v117, v117, -v116
.LBB107_421:
	s_or_b32 exec_lo, exec_lo, s1
	ds_store_b64 v139, v[116:117]
.LBB107_422:
	s_or_b32 exec_lo, exec_lo, s2
	s_wait_dscnt 0x0
	s_barrier_signal -1
	s_barrier_wait -1
	ds_load_b64 v[104:105], v139
	s_mov_b32 s1, exec_lo
	v_cmpx_lt_u32_e32 46, v138
	s_cbranch_execz .LBB107_424
; %bb.423:
	s_wait_dscnt 0x0
	v_pk_mul_f32 v[118:119], v[104:105], v[194:195] op_sel:[1,1] op_sel_hi:[0,1]
	s_delay_alu instid0(VALU_DEP_1)
	v_pk_fma_f32 v[116:117], v[104:105], v[194:195], v[118:119] op_sel_hi:[1,0,1] neg_lo:[0,0,1] neg_hi:[0,0,1]
	v_pk_fma_f32 v[122:123], v[104:105], v[194:195], v[118:119] op_sel_hi:[1,0,1]
	ds_load_2addr_b64 v[118:121], v148 offset0:47 offset1:48
	v_dual_mov_b32 v194, v116 :: v_dual_mov_b32 v195, v123
	s_wait_dscnt 0x0
	v_pk_mul_f32 v[132:133], v[118:119], v[122:123] op_sel:[0,1]
	s_delay_alu instid0(VALU_DEP_1) | instskip(SKIP_1) | instid1(VALU_DEP_1)
	v_pk_fma_f32 v[134:135], v[118:119], v[116:117], v[132:133] op_sel:[0,0,1] op_sel_hi:[1,1,0] neg_lo:[0,0,1] neg_hi:[0,0,1]
	v_pk_fma_f32 v[118:119], v[118:119], v[116:117], v[132:133] op_sel:[0,0,1] op_sel_hi:[1,0,0]
	v_mov_b32_e32 v135, v119
	v_pk_mul_f32 v[118:119], v[120:121], v[122:123] op_sel:[0,1]
	s_delay_alu instid0(VALU_DEP_1) | instskip(SKIP_1) | instid1(VALU_DEP_1)
	v_pk_fma_f32 v[132:133], v[120:121], v[116:117], v[118:119] op_sel:[0,0,1] op_sel_hi:[1,1,0] neg_lo:[0,0,1] neg_hi:[0,0,1]
	v_pk_fma_f32 v[118:119], v[120:121], v[116:117], v[118:119] op_sel:[0,0,1] op_sel_hi:[1,0,0]
	v_mov_b32_e32 v133, v119
	ds_load_2addr_b64 v[118:121], v148 offset0:49 offset1:50
	v_pk_add_f32 v[190:191], v[190:191], v[134:135] neg_lo:[0,1] neg_hi:[0,1]
	v_pk_add_f32 v[212:213], v[212:213], v[132:133] neg_lo:[0,1] neg_hi:[0,1]
	s_wait_dscnt 0x0
	v_pk_mul_f32 v[132:133], v[118:119], v[122:123] op_sel:[0,1]
	s_delay_alu instid0(VALU_DEP_1) | instskip(SKIP_2) | instid1(VALU_DEP_2)
	v_pk_fma_f32 v[134:135], v[118:119], v[116:117], v[132:133] op_sel:[0,0,1] op_sel_hi:[1,1,0] neg_lo:[0,0,1] neg_hi:[0,0,1]
	v_pk_fma_f32 v[118:119], v[118:119], v[116:117], v[132:133] op_sel:[0,0,1] op_sel_hi:[1,0,0]
	v_dual_mul_f32 v132, v121, v123 :: v_dual_mov_b32 v118, v121
	v_dual_mov_b32 v135, v119 :: v_dual_mov_b32 v119, v120
	s_delay_alu instid0(VALU_DEP_2) | instskip(SKIP_1) | instid1(VALU_DEP_3)
	v_pk_fma_f32 v[132:133], v[120:121], v[194:195], v[132:133] op_sel_hi:[1,1,0] neg_lo:[0,0,1] neg_hi:[0,0,1]
	v_mul_f32_e32 v120, v121, v116
	v_pk_add_f32 v[208:209], v[208:209], v[134:135] neg_lo:[0,1] neg_hi:[0,1]
	s_delay_alu instid0(VALU_DEP_2) | instskip(NEXT) | instid1(VALU_DEP_1)
	v_pk_fma_f32 v[118:119], v[118:119], v[194:195], v[120:121] op_sel_hi:[1,1,0]
	v_mov_b32_e32 v133, v119
	ds_load_2addr_b64 v[118:121], v148 offset0:51 offset1:52
	v_pk_add_f32 v[210:211], v[210:211], v[132:133] neg_lo:[0,1] neg_hi:[0,1]
	s_wait_dscnt 0x0
	v_pk_mul_f32 v[132:133], v[118:119], v[122:123] op_sel:[0,1]
	s_delay_alu instid0(VALU_DEP_1) | instskip(SKIP_1) | instid1(VALU_DEP_1)
	v_pk_fma_f32 v[134:135], v[118:119], v[116:117], v[132:133] op_sel:[0,0,1] op_sel_hi:[1,1,0] neg_lo:[0,0,1] neg_hi:[0,0,1]
	v_pk_fma_f32 v[118:119], v[118:119], v[116:117], v[132:133] op_sel:[0,0,1] op_sel_hi:[1,0,0]
	v_mov_b32_e32 v135, v119
	v_pk_mul_f32 v[118:119], v[120:121], v[122:123] op_sel:[0,1]
	s_delay_alu instid0(VALU_DEP_1) | instskip(SKIP_1) | instid1(VALU_DEP_1)
	v_pk_fma_f32 v[132:133], v[120:121], v[116:117], v[118:119] op_sel:[0,0,1] op_sel_hi:[1,1,0] neg_lo:[0,0,1] neg_hi:[0,0,1]
	v_pk_fma_f32 v[118:119], v[120:121], v[116:117], v[118:119] op_sel:[0,0,1] op_sel_hi:[1,0,0]
	v_mov_b32_e32 v133, v119
	ds_load_b64 v[118:119], v148 offset:424
	v_pk_add_f32 v[206:207], v[206:207], v[134:135] neg_lo:[0,1] neg_hi:[0,1]
	v_pk_add_f32 v[214:215], v[214:215], v[132:133] neg_lo:[0,1] neg_hi:[0,1]
	s_wait_dscnt 0x0
	v_pk_mul_f32 v[120:121], v[118:119], v[122:123] op_sel:[0,1]
	s_delay_alu instid0(VALU_DEP_1) | instskip(SKIP_1) | instid1(VALU_DEP_1)
	v_pk_fma_f32 v[122:123], v[118:119], v[116:117], v[120:121] op_sel:[0,0,1] op_sel_hi:[1,1,0] neg_lo:[0,0,1] neg_hi:[0,0,1]
	v_pk_fma_f32 v[116:117], v[118:119], v[116:117], v[120:121] op_sel:[0,0,1] op_sel_hi:[1,0,0]
	v_mov_b32_e32 v123, v117
	s_delay_alu instid0(VALU_DEP_1)
	v_pk_add_f32 v[216:217], v[216:217], v[122:123] neg_lo:[0,1] neg_hi:[0,1]
.LBB107_424:
	s_or_b32 exec_lo, exec_lo, s1
	s_delay_alu instid0(SALU_CYCLE_1)
	s_mov_b32 s2, exec_lo
	s_wait_dscnt 0x0
	s_barrier_signal -1
	s_barrier_wait -1
	v_cmpx_eq_u32_e32 47, v138
	s_cbranch_execz .LBB107_431
; %bb.425:
	v_dual_mov_b32 v116, v212 :: v_dual_mov_b32 v117, v213
	v_dual_mov_b32 v118, v208 :: v_dual_mov_b32 v119, v209
	ds_store_b64 v139, v[190:191]
	ds_store_2addr_b64 v148, v[116:117], v[118:119] offset0:48 offset1:49
	v_dual_mov_b32 v116, v210 :: v_dual_mov_b32 v117, v211
	v_dual_mov_b32 v118, v206 :: v_dual_mov_b32 v119, v207
	ds_store_2addr_b64 v148, v[116:117], v[118:119] offset0:50 offset1:51
	v_dual_mov_b32 v116, v214 :: v_dual_mov_b32 v117, v215
	ds_store_2addr_b64 v148, v[116:117], v[216:217] offset0:52 offset1:53
	ds_load_b64 v[116:117], v139
	s_wait_dscnt 0x0
	v_cmp_neq_f32_e32 vcc_lo, 0, v116
	v_cmp_neq_f32_e64 s1, 0, v117
	s_or_b32 s1, vcc_lo, s1
	s_delay_alu instid0(SALU_CYCLE_1)
	s_and_b32 exec_lo, exec_lo, s1
	s_cbranch_execz .LBB107_431
; %bb.426:
	v_cmp_ngt_f32_e64 s1, |v116|, |v117|
                                        ; implicit-def: $vgpr118_vgpr119
	s_and_saveexec_b32 s4, s1
	s_delay_alu instid0(SALU_CYCLE_1)
	s_xor_b32 s1, exec_lo, s4
	s_cbranch_execz .LBB107_428
; %bb.427:
	v_div_scale_f32 v118, null, v117, v117, v116
	v_div_scale_f32 v121, vcc_lo, v116, v117, v116
	s_delay_alu instid0(VALU_DEP_2) | instskip(SKIP_1) | instid1(TRANS32_DEP_1)
	v_rcp_f32_e32 v119, v118
	v_nop
	v_fma_f32 v120, -v118, v119, 1.0
	s_delay_alu instid0(VALU_DEP_1) | instskip(NEXT) | instid1(VALU_DEP_1)
	v_fmac_f32_e32 v119, v120, v119
	v_mul_f32_e32 v120, v121, v119
	s_delay_alu instid0(VALU_DEP_1) | instskip(NEXT) | instid1(VALU_DEP_1)
	v_fma_f32 v122, -v118, v120, v121
	v_fmac_f32_e32 v120, v122, v119
	s_delay_alu instid0(VALU_DEP_1) | instskip(NEXT) | instid1(VALU_DEP_1)
	v_fma_f32 v118, -v118, v120, v121
	v_div_fmas_f32 v118, v118, v119, v120
	s_delay_alu instid0(VALU_DEP_1) | instskip(NEXT) | instid1(VALU_DEP_1)
	v_div_fixup_f32 v118, v118, v117, v116
	v_fmac_f32_e32 v117, v116, v118
	s_delay_alu instid0(VALU_DEP_1) | instskip(SKIP_1) | instid1(VALU_DEP_2)
	v_div_scale_f32 v116, null, v117, v117, 1.0
	v_div_scale_f32 v121, vcc_lo, 1.0, v117, 1.0
	v_rcp_f32_e32 v119, v116
	v_nop
	s_delay_alu instid0(TRANS32_DEP_1) | instskip(NEXT) | instid1(VALU_DEP_1)
	v_fma_f32 v120, -v116, v119, 1.0
	v_fmac_f32_e32 v119, v120, v119
	s_delay_alu instid0(VALU_DEP_1) | instskip(NEXT) | instid1(VALU_DEP_1)
	v_mul_f32_e32 v120, v121, v119
	v_fma_f32 v122, -v116, v120, v121
	s_delay_alu instid0(VALU_DEP_1) | instskip(NEXT) | instid1(VALU_DEP_1)
	v_fmac_f32_e32 v120, v122, v119
	v_fma_f32 v116, -v116, v120, v121
	s_delay_alu instid0(VALU_DEP_1) | instskip(NEXT) | instid1(VALU_DEP_1)
	v_div_fmas_f32 v116, v116, v119, v120
	v_div_fixup_f32 v116, v116, v117, 1.0
	s_delay_alu instid0(VALU_DEP_1)
	v_mul_f32_e32 v118, v118, v116
	v_xor_b32_e32 v119, 0x80000000, v116
                                        ; implicit-def: $vgpr116_vgpr117
.LBB107_428:
	s_and_not1_saveexec_b32 s1, s1
	s_cbranch_execz .LBB107_430
; %bb.429:
	v_div_scale_f32 v118, null, v116, v116, v117
	v_div_scale_f32 v121, vcc_lo, v117, v116, v117
	s_delay_alu instid0(VALU_DEP_2) | instskip(SKIP_1) | instid1(TRANS32_DEP_1)
	v_rcp_f32_e32 v119, v118
	v_nop
	v_fma_f32 v120, -v118, v119, 1.0
	s_delay_alu instid0(VALU_DEP_1) | instskip(NEXT) | instid1(VALU_DEP_1)
	v_fmac_f32_e32 v119, v120, v119
	v_mul_f32_e32 v120, v121, v119
	s_delay_alu instid0(VALU_DEP_1) | instskip(NEXT) | instid1(VALU_DEP_1)
	v_fma_f32 v122, -v118, v120, v121
	v_fmac_f32_e32 v120, v122, v119
	s_delay_alu instid0(VALU_DEP_1) | instskip(NEXT) | instid1(VALU_DEP_1)
	v_fma_f32 v118, -v118, v120, v121
	v_div_fmas_f32 v118, v118, v119, v120
	s_delay_alu instid0(VALU_DEP_1) | instskip(NEXT) | instid1(VALU_DEP_1)
	v_div_fixup_f32 v119, v118, v116, v117
	v_fmac_f32_e32 v116, v117, v119
	s_delay_alu instid0(VALU_DEP_1) | instskip(NEXT) | instid1(VALU_DEP_1)
	v_div_scale_f32 v117, null, v116, v116, 1.0
	v_rcp_f32_e32 v118, v117
	v_nop
	s_delay_alu instid0(TRANS32_DEP_1) | instskip(NEXT) | instid1(VALU_DEP_1)
	v_fma_f32 v120, -v117, v118, 1.0
	v_fmac_f32_e32 v118, v120, v118
	v_div_scale_f32 v120, vcc_lo, 1.0, v116, 1.0
	s_delay_alu instid0(VALU_DEP_1) | instskip(NEXT) | instid1(VALU_DEP_1)
	v_mul_f32_e32 v121, v120, v118
	v_fma_f32 v122, -v117, v121, v120
	s_delay_alu instid0(VALU_DEP_1) | instskip(NEXT) | instid1(VALU_DEP_1)
	v_fmac_f32_e32 v121, v122, v118
	v_fma_f32 v117, -v117, v121, v120
	s_delay_alu instid0(VALU_DEP_1) | instskip(NEXT) | instid1(VALU_DEP_1)
	v_div_fmas_f32 v117, v117, v118, v121
	v_div_fixup_f32 v118, v117, v116, 1.0
	s_delay_alu instid0(VALU_DEP_1)
	v_mul_f32_e64 v119, v119, -v118
.LBB107_430:
	s_or_b32 exec_lo, exec_lo, s1
	ds_store_b64 v139, v[118:119]
.LBB107_431:
	s_or_b32 exec_lo, exec_lo, s2
	s_wait_dscnt 0x0
	s_barrier_signal -1
	s_barrier_wait -1
	ds_load_b64 v[116:117], v139
	s_mov_b32 s1, exec_lo
	v_cmpx_lt_u32_e32 47, v138
	s_cbranch_execz .LBB107_433
; %bb.432:
	s_wait_dscnt 0x0
	v_pk_mul_f32 v[118:119], v[116:117], v[190:191] op_sel:[1,1] op_sel_hi:[0,1]
	s_delay_alu instid0(VALU_DEP_1)
	v_pk_fma_f32 v[122:123], v[116:117], v[190:191], v[118:119] op_sel_hi:[1,0,1] neg_lo:[0,0,1] neg_hi:[0,0,1]
	v_pk_fma_f32 v[132:133], v[116:117], v[190:191], v[118:119] op_sel_hi:[1,0,1]
	ds_load_2addr_b64 v[118:121], v148 offset0:48 offset1:49
	v_dual_mov_b32 v190, v122 :: v_dual_mov_b32 v191, v133
	s_wait_dscnt 0x0
	v_pk_mul_f32 v[134:135], v[118:119], v[132:133] op_sel:[0,1]
	s_delay_alu instid0(VALU_DEP_1) | instskip(SKIP_1) | instid1(VALU_DEP_1)
	v_pk_fma_f32 v[136:137], v[118:119], v[122:123], v[134:135] op_sel:[0,0,1] op_sel_hi:[1,1,0] neg_lo:[0,0,1] neg_hi:[0,0,1]
	v_pk_fma_f32 v[118:119], v[118:119], v[122:123], v[134:135] op_sel:[0,0,1] op_sel_hi:[1,0,0]
	v_mov_b32_e32 v137, v119
	v_pk_mul_f32 v[118:119], v[120:121], v[132:133] op_sel:[0,1]
	s_delay_alu instid0(VALU_DEP_1) | instskip(SKIP_1) | instid1(VALU_DEP_1)
	v_pk_fma_f32 v[134:135], v[120:121], v[122:123], v[118:119] op_sel:[0,0,1] op_sel_hi:[1,1,0] neg_lo:[0,0,1] neg_hi:[0,0,1]
	v_pk_fma_f32 v[118:119], v[120:121], v[122:123], v[118:119] op_sel:[0,0,1] op_sel_hi:[1,0,0]
	v_mov_b32_e32 v135, v119
	ds_load_2addr_b64 v[118:121], v148 offset0:50 offset1:51
	v_pk_add_f32 v[212:213], v[212:213], v[136:137] neg_lo:[0,1] neg_hi:[0,1]
	v_pk_add_f32 v[208:209], v[208:209], v[134:135] neg_lo:[0,1] neg_hi:[0,1]
	s_wait_dscnt 0x0
	v_pk_mul_f32 v[134:135], v[118:119], v[132:133] op_sel:[0,1]
	s_delay_alu instid0(VALU_DEP_1) | instskip(SKIP_2) | instid1(VALU_DEP_2)
	v_pk_fma_f32 v[136:137], v[118:119], v[122:123], v[134:135] op_sel:[0,0,1] op_sel_hi:[1,1,0] neg_lo:[0,0,1] neg_hi:[0,0,1]
	v_pk_fma_f32 v[118:119], v[118:119], v[122:123], v[134:135] op_sel:[0,0,1] op_sel_hi:[1,0,0]
	v_dual_mul_f32 v134, v121, v133 :: v_dual_mov_b32 v118, v121
	v_dual_mov_b32 v137, v119 :: v_dual_mov_b32 v119, v120
	s_delay_alu instid0(VALU_DEP_2) | instskip(SKIP_1) | instid1(VALU_DEP_3)
	v_pk_fma_f32 v[134:135], v[120:121], v[190:191], v[134:135] op_sel_hi:[1,1,0] neg_lo:[0,0,1] neg_hi:[0,0,1]
	v_mul_f32_e32 v120, v121, v122
	v_pk_add_f32 v[210:211], v[210:211], v[136:137] neg_lo:[0,1] neg_hi:[0,1]
	s_delay_alu instid0(VALU_DEP_2) | instskip(NEXT) | instid1(VALU_DEP_1)
	v_pk_fma_f32 v[118:119], v[118:119], v[190:191], v[120:121] op_sel_hi:[1,1,0]
	v_mov_b32_e32 v135, v119
	ds_load_2addr_b64 v[118:121], v148 offset0:52 offset1:53
	v_pk_add_f32 v[206:207], v[206:207], v[134:135] neg_lo:[0,1] neg_hi:[0,1]
	s_wait_dscnt 0x0
	v_pk_mul_f32 v[134:135], v[118:119], v[132:133] op_sel:[0,1]
	v_mul_f32_e32 v132, v121, v133
	s_delay_alu instid0(VALU_DEP_2) | instskip(SKIP_2) | instid1(VALU_DEP_4)
	v_pk_fma_f32 v[136:137], v[118:119], v[122:123], v[134:135] op_sel:[0,0,1] op_sel_hi:[1,1,0] neg_lo:[0,0,1] neg_hi:[0,0,1]
	v_pk_fma_f32 v[118:119], v[118:119], v[122:123], v[134:135] op_sel:[0,0,1] op_sel_hi:[1,0,0]
	v_mov_b32_e32 v118, v121
	v_pk_fma_f32 v[132:133], v[120:121], v[190:191], v[132:133] op_sel_hi:[1,1,0] neg_lo:[0,0,1] neg_hi:[0,0,1]
	s_delay_alu instid0(VALU_DEP_3) | instskip(SKIP_1) | instid1(VALU_DEP_2)
	v_dual_mov_b32 v137, v119 :: v_dual_mov_b32 v119, v120
	v_mul_f32_e32 v120, v121, v122
	v_pk_add_f32 v[214:215], v[214:215], v[136:137] neg_lo:[0,1] neg_hi:[0,1]
	s_delay_alu instid0(VALU_DEP_2) | instskip(NEXT) | instid1(VALU_DEP_1)
	v_pk_fma_f32 v[118:119], v[118:119], v[190:191], v[120:121] op_sel_hi:[1,1,0]
	v_mov_b32_e32 v133, v119
	s_delay_alu instid0(VALU_DEP_1)
	v_pk_add_f32 v[216:217], v[216:217], v[132:133] neg_lo:[0,1] neg_hi:[0,1]
.LBB107_433:
	s_or_b32 exec_lo, exec_lo, s1
	s_delay_alu instid0(SALU_CYCLE_1)
	s_mov_b32 s2, exec_lo
	s_wait_dscnt 0x0
	s_barrier_signal -1
	s_barrier_wait -1
	v_cmpx_eq_u32_e32 48, v138
	s_cbranch_execz .LBB107_440
; %bb.434:
	ds_store_b64 v139, v[212:213]
	ds_store_2addr_b64 v148, v[208:209], v[210:211] offset0:49 offset1:50
	ds_store_2addr_b64 v148, v[206:207], v[214:215] offset0:51 offset1:52
	ds_store_b64 v148, v[216:217] offset:424
	ds_load_b64 v[118:119], v139
	s_wait_dscnt 0x0
	v_cmp_neq_f32_e32 vcc_lo, 0, v118
	v_cmp_neq_f32_e64 s1, 0, v119
	s_or_b32 s1, vcc_lo, s1
	s_delay_alu instid0(SALU_CYCLE_1)
	s_and_b32 exec_lo, exec_lo, s1
	s_cbranch_execz .LBB107_440
; %bb.435:
	v_cmp_ngt_f32_e64 s1, |v118|, |v119|
                                        ; implicit-def: $vgpr120_vgpr121
	s_and_saveexec_b32 s4, s1
	s_delay_alu instid0(SALU_CYCLE_1)
	s_xor_b32 s1, exec_lo, s4
	s_cbranch_execz .LBB107_437
; %bb.436:
	v_div_scale_f32 v120, null, v119, v119, v118
	v_div_scale_f32 v123, vcc_lo, v118, v119, v118
	s_delay_alu instid0(VALU_DEP_2) | instskip(SKIP_1) | instid1(TRANS32_DEP_1)
	v_rcp_f32_e32 v121, v120
	v_nop
	v_fma_f32 v122, -v120, v121, 1.0
	s_delay_alu instid0(VALU_DEP_1) | instskip(NEXT) | instid1(VALU_DEP_1)
	v_fmac_f32_e32 v121, v122, v121
	v_mul_f32_e32 v122, v123, v121
	s_delay_alu instid0(VALU_DEP_1) | instskip(NEXT) | instid1(VALU_DEP_1)
	v_fma_f32 v132, -v120, v122, v123
	v_fmac_f32_e32 v122, v132, v121
	s_delay_alu instid0(VALU_DEP_1) | instskip(NEXT) | instid1(VALU_DEP_1)
	v_fma_f32 v120, -v120, v122, v123
	v_div_fmas_f32 v120, v120, v121, v122
	s_delay_alu instid0(VALU_DEP_1) | instskip(NEXT) | instid1(VALU_DEP_1)
	v_div_fixup_f32 v120, v120, v119, v118
	v_fmac_f32_e32 v119, v118, v120
	s_delay_alu instid0(VALU_DEP_1) | instskip(SKIP_1) | instid1(VALU_DEP_2)
	v_div_scale_f32 v118, null, v119, v119, 1.0
	v_div_scale_f32 v123, vcc_lo, 1.0, v119, 1.0
	v_rcp_f32_e32 v121, v118
	v_nop
	s_delay_alu instid0(TRANS32_DEP_1) | instskip(NEXT) | instid1(VALU_DEP_1)
	v_fma_f32 v122, -v118, v121, 1.0
	v_fmac_f32_e32 v121, v122, v121
	s_delay_alu instid0(VALU_DEP_1) | instskip(NEXT) | instid1(VALU_DEP_1)
	v_mul_f32_e32 v122, v123, v121
	v_fma_f32 v132, -v118, v122, v123
	s_delay_alu instid0(VALU_DEP_1) | instskip(NEXT) | instid1(VALU_DEP_1)
	v_fmac_f32_e32 v122, v132, v121
	v_fma_f32 v118, -v118, v122, v123
	s_delay_alu instid0(VALU_DEP_1) | instskip(NEXT) | instid1(VALU_DEP_1)
	v_div_fmas_f32 v118, v118, v121, v122
	v_div_fixup_f32 v118, v118, v119, 1.0
	s_delay_alu instid0(VALU_DEP_1)
	v_mul_f32_e32 v120, v120, v118
	v_xor_b32_e32 v121, 0x80000000, v118
                                        ; implicit-def: $vgpr118_vgpr119
.LBB107_437:
	s_and_not1_saveexec_b32 s1, s1
	s_cbranch_execz .LBB107_439
; %bb.438:
	v_div_scale_f32 v120, null, v118, v118, v119
	v_div_scale_f32 v123, vcc_lo, v119, v118, v119
	s_delay_alu instid0(VALU_DEP_2) | instskip(SKIP_1) | instid1(TRANS32_DEP_1)
	v_rcp_f32_e32 v121, v120
	v_nop
	v_fma_f32 v122, -v120, v121, 1.0
	s_delay_alu instid0(VALU_DEP_1) | instskip(NEXT) | instid1(VALU_DEP_1)
	v_fmac_f32_e32 v121, v122, v121
	v_mul_f32_e32 v122, v123, v121
	s_delay_alu instid0(VALU_DEP_1) | instskip(NEXT) | instid1(VALU_DEP_1)
	v_fma_f32 v132, -v120, v122, v123
	v_fmac_f32_e32 v122, v132, v121
	s_delay_alu instid0(VALU_DEP_1) | instskip(NEXT) | instid1(VALU_DEP_1)
	v_fma_f32 v120, -v120, v122, v123
	v_div_fmas_f32 v120, v120, v121, v122
	s_delay_alu instid0(VALU_DEP_1) | instskip(NEXT) | instid1(VALU_DEP_1)
	v_div_fixup_f32 v121, v120, v118, v119
	v_fmac_f32_e32 v118, v119, v121
	s_delay_alu instid0(VALU_DEP_1) | instskip(NEXT) | instid1(VALU_DEP_1)
	v_div_scale_f32 v119, null, v118, v118, 1.0
	v_rcp_f32_e32 v120, v119
	v_nop
	s_delay_alu instid0(TRANS32_DEP_1) | instskip(NEXT) | instid1(VALU_DEP_1)
	v_fma_f32 v122, -v119, v120, 1.0
	v_fmac_f32_e32 v120, v122, v120
	v_div_scale_f32 v122, vcc_lo, 1.0, v118, 1.0
	s_delay_alu instid0(VALU_DEP_1) | instskip(NEXT) | instid1(VALU_DEP_1)
	v_mul_f32_e32 v123, v122, v120
	v_fma_f32 v132, -v119, v123, v122
	s_delay_alu instid0(VALU_DEP_1) | instskip(NEXT) | instid1(VALU_DEP_1)
	v_fmac_f32_e32 v123, v132, v120
	v_fma_f32 v119, -v119, v123, v122
	s_delay_alu instid0(VALU_DEP_1) | instskip(NEXT) | instid1(VALU_DEP_1)
	v_div_fmas_f32 v119, v119, v120, v123
	v_div_fixup_f32 v120, v119, v118, 1.0
	s_delay_alu instid0(VALU_DEP_1)
	v_mul_f32_e64 v121, v121, -v120
.LBB107_439:
	s_or_b32 exec_lo, exec_lo, s1
	ds_store_b64 v139, v[120:121]
.LBB107_440:
	s_or_b32 exec_lo, exec_lo, s2
	s_wait_dscnt 0x0
	s_barrier_signal -1
	s_barrier_wait -1
	ds_load_b64 v[118:119], v139
	s_mov_b32 s1, exec_lo
	v_cmpx_lt_u32_e32 48, v138
	s_cbranch_execz .LBB107_442
; %bb.441:
	s_wait_dscnt 0x0
	v_pk_mul_f32 v[120:121], v[118:119], v[212:213] op_sel:[1,1] op_sel_hi:[0,1]
	s_delay_alu instid0(VALU_DEP_1)
	v_pk_fma_f32 v[132:133], v[118:119], v[212:213], v[120:121] op_sel_hi:[1,0,1] neg_lo:[0,0,1] neg_hi:[0,0,1]
	v_pk_fma_f32 v[134:135], v[118:119], v[212:213], v[120:121] op_sel_hi:[1,0,1]
	ds_load_2addr_b64 v[120:123], v148 offset0:49 offset1:50
	v_dual_mov_b32 v212, v132 :: v_dual_mov_b32 v213, v135
	s_wait_dscnt 0x0
	v_pk_mul_f32 v[136:137], v[120:121], v[134:135] op_sel:[0,1]
	s_delay_alu instid0(VALU_DEP_1) | instskip(SKIP_1) | instid1(VALU_DEP_1)
	v_pk_fma_f32 v[150:151], v[120:121], v[132:133], v[136:137] op_sel:[0,0,1] op_sel_hi:[1,1,0] neg_lo:[0,0,1] neg_hi:[0,0,1]
	v_pk_fma_f32 v[120:121], v[120:121], v[132:133], v[136:137] op_sel:[0,0,1] op_sel_hi:[1,0,0]
	v_mov_b32_e32 v151, v121
	v_pk_mul_f32 v[120:121], v[122:123], v[134:135] op_sel:[0,1]
	s_delay_alu instid0(VALU_DEP_1) | instskip(SKIP_1) | instid1(VALU_DEP_1)
	v_pk_fma_f32 v[136:137], v[122:123], v[132:133], v[120:121] op_sel:[0,0,1] op_sel_hi:[1,1,0] neg_lo:[0,0,1] neg_hi:[0,0,1]
	v_pk_fma_f32 v[120:121], v[122:123], v[132:133], v[120:121] op_sel:[0,0,1] op_sel_hi:[1,0,0]
	v_mov_b32_e32 v137, v121
	ds_load_2addr_b64 v[120:123], v148 offset0:51 offset1:52
	v_pk_add_f32 v[208:209], v[208:209], v[150:151] neg_lo:[0,1] neg_hi:[0,1]
	v_pk_add_f32 v[210:211], v[210:211], v[136:137] neg_lo:[0,1] neg_hi:[0,1]
	s_wait_dscnt 0x0
	v_pk_mul_f32 v[136:137], v[120:121], v[134:135] op_sel:[0,1]
	s_delay_alu instid0(VALU_DEP_1) | instskip(SKIP_2) | instid1(VALU_DEP_2)
	v_pk_fma_f32 v[150:151], v[120:121], v[132:133], v[136:137] op_sel:[0,0,1] op_sel_hi:[1,1,0] neg_lo:[0,0,1] neg_hi:[0,0,1]
	v_pk_fma_f32 v[120:121], v[120:121], v[132:133], v[136:137] op_sel:[0,0,1] op_sel_hi:[1,0,0]
	v_dual_mul_f32 v136, v123, v135 :: v_dual_mov_b32 v120, v123
	v_dual_mov_b32 v151, v121 :: v_dual_mov_b32 v121, v122
	s_delay_alu instid0(VALU_DEP_2) | instskip(SKIP_1) | instid1(VALU_DEP_3)
	v_pk_fma_f32 v[136:137], v[122:123], v[212:213], v[136:137] op_sel_hi:[1,1,0] neg_lo:[0,0,1] neg_hi:[0,0,1]
	v_mul_f32_e32 v122, v123, v132
	v_pk_add_f32 v[206:207], v[206:207], v[150:151] neg_lo:[0,1] neg_hi:[0,1]
	s_delay_alu instid0(VALU_DEP_2) | instskip(NEXT) | instid1(VALU_DEP_1)
	v_pk_fma_f32 v[120:121], v[120:121], v[212:213], v[122:123] op_sel_hi:[1,1,0]
	v_mov_b32_e32 v137, v121
	ds_load_b64 v[120:121], v148 offset:424
	v_pk_add_f32 v[214:215], v[214:215], v[136:137] neg_lo:[0,1] neg_hi:[0,1]
	s_wait_dscnt 0x0
	v_pk_mul_f32 v[122:123], v[120:121], v[134:135] op_sel:[0,1]
	s_delay_alu instid0(VALU_DEP_1) | instskip(SKIP_1) | instid1(VALU_DEP_1)
	v_pk_fma_f32 v[134:135], v[120:121], v[132:133], v[122:123] op_sel:[0,0,1] op_sel_hi:[1,1,0] neg_lo:[0,0,1] neg_hi:[0,0,1]
	v_pk_fma_f32 v[120:121], v[120:121], v[132:133], v[122:123] op_sel:[0,0,1] op_sel_hi:[1,0,0]
	v_mov_b32_e32 v135, v121
	s_delay_alu instid0(VALU_DEP_1)
	v_pk_add_f32 v[216:217], v[216:217], v[134:135] neg_lo:[0,1] neg_hi:[0,1]
.LBB107_442:
	s_or_b32 exec_lo, exec_lo, s1
	s_delay_alu instid0(SALU_CYCLE_1)
	s_mov_b32 s2, exec_lo
	s_wait_dscnt 0x0
	s_barrier_signal -1
	s_barrier_wait -1
	v_cmpx_eq_u32_e32 49, v138
	s_cbranch_execz .LBB107_449
; %bb.443:
	v_dual_mov_b32 v120, v210 :: v_dual_mov_b32 v121, v211
	v_dual_mov_b32 v122, v206 :: v_dual_mov_b32 v123, v207
	ds_store_b64 v139, v[208:209]
	ds_store_2addr_b64 v148, v[120:121], v[122:123] offset0:50 offset1:51
	v_dual_mov_b32 v120, v214 :: v_dual_mov_b32 v121, v215
	ds_store_2addr_b64 v148, v[120:121], v[216:217] offset0:52 offset1:53
	ds_load_b64 v[120:121], v139
	s_wait_dscnt 0x0
	v_cmp_neq_f32_e32 vcc_lo, 0, v120
	v_cmp_neq_f32_e64 s1, 0, v121
	s_or_b32 s1, vcc_lo, s1
	s_delay_alu instid0(SALU_CYCLE_1)
	s_and_b32 exec_lo, exec_lo, s1
	s_cbranch_execz .LBB107_449
; %bb.444:
	v_cmp_ngt_f32_e64 s1, |v120|, |v121|
                                        ; implicit-def: $vgpr122_vgpr123
	s_and_saveexec_b32 s4, s1
	s_delay_alu instid0(SALU_CYCLE_1)
	s_xor_b32 s1, exec_lo, s4
	s_cbranch_execz .LBB107_446
; %bb.445:
	v_div_scale_f32 v122, null, v121, v121, v120
	v_div_scale_f32 v133, vcc_lo, v120, v121, v120
	s_delay_alu instid0(VALU_DEP_2) | instskip(SKIP_1) | instid1(TRANS32_DEP_1)
	v_rcp_f32_e32 v123, v122
	v_nop
	v_fma_f32 v132, -v122, v123, 1.0
	s_delay_alu instid0(VALU_DEP_1) | instskip(NEXT) | instid1(VALU_DEP_1)
	v_fmac_f32_e32 v123, v132, v123
	v_mul_f32_e32 v132, v133, v123
	s_delay_alu instid0(VALU_DEP_1) | instskip(NEXT) | instid1(VALU_DEP_1)
	v_fma_f32 v134, -v122, v132, v133
	v_fmac_f32_e32 v132, v134, v123
	s_delay_alu instid0(VALU_DEP_1) | instskip(NEXT) | instid1(VALU_DEP_1)
	v_fma_f32 v122, -v122, v132, v133
	v_div_fmas_f32 v122, v122, v123, v132
	s_delay_alu instid0(VALU_DEP_1) | instskip(NEXT) | instid1(VALU_DEP_1)
	v_div_fixup_f32 v122, v122, v121, v120
	v_fmac_f32_e32 v121, v120, v122
	s_delay_alu instid0(VALU_DEP_1) | instskip(SKIP_1) | instid1(VALU_DEP_2)
	v_div_scale_f32 v120, null, v121, v121, 1.0
	v_div_scale_f32 v133, vcc_lo, 1.0, v121, 1.0
	v_rcp_f32_e32 v123, v120
	v_nop
	s_delay_alu instid0(TRANS32_DEP_1) | instskip(NEXT) | instid1(VALU_DEP_1)
	v_fma_f32 v132, -v120, v123, 1.0
	v_fmac_f32_e32 v123, v132, v123
	s_delay_alu instid0(VALU_DEP_1) | instskip(NEXT) | instid1(VALU_DEP_1)
	v_mul_f32_e32 v132, v133, v123
	v_fma_f32 v134, -v120, v132, v133
	s_delay_alu instid0(VALU_DEP_1) | instskip(NEXT) | instid1(VALU_DEP_1)
	v_fmac_f32_e32 v132, v134, v123
	v_fma_f32 v120, -v120, v132, v133
	s_delay_alu instid0(VALU_DEP_1) | instskip(NEXT) | instid1(VALU_DEP_1)
	v_div_fmas_f32 v120, v120, v123, v132
	v_div_fixup_f32 v120, v120, v121, 1.0
	s_delay_alu instid0(VALU_DEP_1)
	v_mul_f32_e32 v122, v122, v120
	v_xor_b32_e32 v123, 0x80000000, v120
                                        ; implicit-def: $vgpr120_vgpr121
.LBB107_446:
	s_and_not1_saveexec_b32 s1, s1
	s_cbranch_execz .LBB107_448
; %bb.447:
	v_div_scale_f32 v122, null, v120, v120, v121
	v_div_scale_f32 v133, vcc_lo, v121, v120, v121
	s_delay_alu instid0(VALU_DEP_2) | instskip(SKIP_1) | instid1(TRANS32_DEP_1)
	v_rcp_f32_e32 v123, v122
	v_nop
	v_fma_f32 v132, -v122, v123, 1.0
	s_delay_alu instid0(VALU_DEP_1) | instskip(NEXT) | instid1(VALU_DEP_1)
	v_fmac_f32_e32 v123, v132, v123
	v_mul_f32_e32 v132, v133, v123
	s_delay_alu instid0(VALU_DEP_1) | instskip(NEXT) | instid1(VALU_DEP_1)
	v_fma_f32 v134, -v122, v132, v133
	v_fmac_f32_e32 v132, v134, v123
	s_delay_alu instid0(VALU_DEP_1) | instskip(NEXT) | instid1(VALU_DEP_1)
	v_fma_f32 v122, -v122, v132, v133
	v_div_fmas_f32 v122, v122, v123, v132
	s_delay_alu instid0(VALU_DEP_1) | instskip(NEXT) | instid1(VALU_DEP_1)
	v_div_fixup_f32 v123, v122, v120, v121
	v_fmac_f32_e32 v120, v121, v123
	s_delay_alu instid0(VALU_DEP_1) | instskip(NEXT) | instid1(VALU_DEP_1)
	v_div_scale_f32 v121, null, v120, v120, 1.0
	v_rcp_f32_e32 v122, v121
	v_nop
	s_delay_alu instid0(TRANS32_DEP_1) | instskip(NEXT) | instid1(VALU_DEP_1)
	v_fma_f32 v132, -v121, v122, 1.0
	v_fmac_f32_e32 v122, v132, v122
	v_div_scale_f32 v132, vcc_lo, 1.0, v120, 1.0
	s_delay_alu instid0(VALU_DEP_1) | instskip(NEXT) | instid1(VALU_DEP_1)
	v_mul_f32_e32 v133, v132, v122
	v_fma_f32 v134, -v121, v133, v132
	s_delay_alu instid0(VALU_DEP_1) | instskip(NEXT) | instid1(VALU_DEP_1)
	v_fmac_f32_e32 v133, v134, v122
	v_fma_f32 v121, -v121, v133, v132
	s_delay_alu instid0(VALU_DEP_1) | instskip(NEXT) | instid1(VALU_DEP_1)
	v_div_fmas_f32 v121, v121, v122, v133
	v_div_fixup_f32 v122, v121, v120, 1.0
	s_delay_alu instid0(VALU_DEP_1)
	v_mul_f32_e64 v123, v123, -v122
.LBB107_448:
	s_or_b32 exec_lo, exec_lo, s1
	ds_store_b64 v139, v[122:123]
.LBB107_449:
	s_or_b32 exec_lo, exec_lo, s2
	s_wait_dscnt 0x0
	s_barrier_signal -1
	s_barrier_wait -1
	ds_load_b64 v[122:123], v139
	s_mov_b32 s1, exec_lo
	v_cmpx_lt_u32_e32 49, v138
	s_cbranch_execz .LBB107_451
; %bb.450:
	ds_load_2addr_b64 v[132:135], v148 offset0:50 offset1:51
	s_wait_dscnt 0x1
	v_pk_mul_f32 v[120:121], v[122:123], v[208:209] op_sel:[1,1] op_sel_hi:[0,1]
	s_delay_alu instid0(VALU_DEP_1) | instskip(SKIP_1) | instid1(VALU_DEP_1)
	v_pk_fma_f32 v[136:137], v[122:123], v[208:209], v[120:121] op_sel_hi:[1,0,1] neg_lo:[0,0,1] neg_hi:[0,0,1]
	v_pk_fma_f32 v[120:121], v[122:123], v[208:209], v[120:121] op_sel_hi:[1,0,1]
	v_dual_mov_b32 v208, v136 :: v_dual_mov_b32 v209, v121
	s_wait_dscnt 0x0
	s_delay_alu instid0(VALU_DEP_2) | instskip(NEXT) | instid1(VALU_DEP_1)
	v_pk_mul_f32 v[150:151], v[132:133], v[120:121] op_sel:[0,1]
	v_pk_fma_f32 v[152:153], v[132:133], v[136:137], v[150:151] op_sel:[0,0,1] op_sel_hi:[1,1,0] neg_lo:[0,0,1] neg_hi:[0,0,1]
	v_pk_fma_f32 v[132:133], v[132:133], v[136:137], v[150:151] op_sel:[0,0,1] op_sel_hi:[1,0,0]
	s_delay_alu instid0(VALU_DEP_1) | instskip(SKIP_1) | instid1(VALU_DEP_1)
	v_mov_b32_e32 v153, v133
	v_pk_mul_f32 v[132:133], v[134:135], v[120:121] op_sel:[0,1]
	v_pk_fma_f32 v[150:151], v[134:135], v[136:137], v[132:133] op_sel:[0,0,1] op_sel_hi:[1,1,0] neg_lo:[0,0,1] neg_hi:[0,0,1]
	v_pk_fma_f32 v[132:133], v[134:135], v[136:137], v[132:133] op_sel:[0,0,1] op_sel_hi:[1,0,0]
	s_delay_alu instid0(VALU_DEP_1)
	v_mov_b32_e32 v151, v133
	ds_load_2addr_b64 v[132:135], v148 offset0:52 offset1:53
	v_pk_add_f32 v[210:211], v[210:211], v[152:153] neg_lo:[0,1] neg_hi:[0,1]
	v_pk_add_f32 v[206:207], v[206:207], v[150:151] neg_lo:[0,1] neg_hi:[0,1]
	s_wait_dscnt 0x0
	v_pk_mul_f32 v[150:151], v[132:133], v[120:121] op_sel:[0,1]
	s_delay_alu instid0(VALU_DEP_1) | instskip(SKIP_1) | instid1(VALU_DEP_1)
	v_pk_fma_f32 v[152:153], v[132:133], v[136:137], v[150:151] op_sel:[0,0,1] op_sel_hi:[1,1,0] neg_lo:[0,0,1] neg_hi:[0,0,1]
	v_pk_fma_f32 v[132:133], v[132:133], v[136:137], v[150:151] op_sel:[0,0,1] op_sel_hi:[1,0,0]
	v_dual_mov_b32 v132, v135 :: v_dual_mov_b32 v153, v133
	v_mov_b32_e32 v133, v134
	s_delay_alu instid0(VALU_DEP_2) | instskip(NEXT) | instid1(VALU_DEP_2)
	v_pk_add_f32 v[214:215], v[214:215], v[152:153] neg_lo:[0,1] neg_hi:[0,1]
	v_pk_mul_f32 v[120:121], v[132:133], v[120:121] op_sel:[0,1]
	s_delay_alu instid0(VALU_DEP_1) | instskip(SKIP_1) | instid1(VALU_DEP_1)
	v_pk_fma_f32 v[132:133], v[134:135], v[136:137], v[120:121] neg_lo:[0,0,1] neg_hi:[0,0,1]
	v_pk_fma_f32 v[120:121], v[134:135], v[136:137], v[120:121] op_sel_hi:[1,0,1]
	v_mov_b32_e32 v133, v121
	s_delay_alu instid0(VALU_DEP_1)
	v_pk_add_f32 v[216:217], v[216:217], v[132:133] neg_lo:[0,1] neg_hi:[0,1]
.LBB107_451:
	s_or_b32 exec_lo, exec_lo, s1
	s_delay_alu instid0(SALU_CYCLE_1)
	s_mov_b32 s2, exec_lo
	s_wait_dscnt 0x0
	s_barrier_signal -1
	s_barrier_wait -1
	v_cmpx_eq_u32_e32 50, v138
	s_cbranch_execz .LBB107_458
; %bb.452:
	ds_store_b64 v139, v[210:211]
	ds_store_2addr_b64 v148, v[206:207], v[214:215] offset0:51 offset1:52
	ds_store_b64 v148, v[216:217] offset:424
	ds_load_b64 v[120:121], v139
	s_wait_dscnt 0x0
	v_cmp_neq_f32_e32 vcc_lo, 0, v120
	v_cmp_neq_f32_e64 s1, 0, v121
	s_or_b32 s1, vcc_lo, s1
	s_delay_alu instid0(SALU_CYCLE_1)
	s_and_b32 exec_lo, exec_lo, s1
	s_cbranch_execz .LBB107_458
; %bb.453:
	v_cmp_ngt_f32_e64 s1, |v120|, |v121|
                                        ; implicit-def: $vgpr132_vgpr133
	s_and_saveexec_b32 s4, s1
	s_delay_alu instid0(SALU_CYCLE_1)
	s_xor_b32 s1, exec_lo, s4
	s_cbranch_execz .LBB107_455
; %bb.454:
	v_div_scale_f32 v132, null, v121, v121, v120
	v_div_scale_f32 v135, vcc_lo, v120, v121, v120
	s_delay_alu instid0(VALU_DEP_2) | instskip(SKIP_1) | instid1(TRANS32_DEP_1)
	v_rcp_f32_e32 v133, v132
	v_nop
	v_fma_f32 v134, -v132, v133, 1.0
	s_delay_alu instid0(VALU_DEP_1) | instskip(NEXT) | instid1(VALU_DEP_1)
	v_fmac_f32_e32 v133, v134, v133
	v_mul_f32_e32 v134, v135, v133
	s_delay_alu instid0(VALU_DEP_1) | instskip(NEXT) | instid1(VALU_DEP_1)
	v_fma_f32 v136, -v132, v134, v135
	v_fmac_f32_e32 v134, v136, v133
	s_delay_alu instid0(VALU_DEP_1) | instskip(NEXT) | instid1(VALU_DEP_1)
	v_fma_f32 v132, -v132, v134, v135
	v_div_fmas_f32 v132, v132, v133, v134
	s_delay_alu instid0(VALU_DEP_1) | instskip(NEXT) | instid1(VALU_DEP_1)
	v_div_fixup_f32 v132, v132, v121, v120
	v_fmac_f32_e32 v121, v120, v132
	s_delay_alu instid0(VALU_DEP_1) | instskip(SKIP_1) | instid1(VALU_DEP_2)
	v_div_scale_f32 v120, null, v121, v121, 1.0
	v_div_scale_f32 v135, vcc_lo, 1.0, v121, 1.0
	v_rcp_f32_e32 v133, v120
	v_nop
	s_delay_alu instid0(TRANS32_DEP_1) | instskip(NEXT) | instid1(VALU_DEP_1)
	v_fma_f32 v134, -v120, v133, 1.0
	v_fmac_f32_e32 v133, v134, v133
	s_delay_alu instid0(VALU_DEP_1) | instskip(NEXT) | instid1(VALU_DEP_1)
	v_mul_f32_e32 v134, v135, v133
	v_fma_f32 v136, -v120, v134, v135
	s_delay_alu instid0(VALU_DEP_1) | instskip(NEXT) | instid1(VALU_DEP_1)
	v_fmac_f32_e32 v134, v136, v133
	v_fma_f32 v120, -v120, v134, v135
	s_delay_alu instid0(VALU_DEP_1) | instskip(NEXT) | instid1(VALU_DEP_1)
	v_div_fmas_f32 v120, v120, v133, v134
	v_div_fixup_f32 v120, v120, v121, 1.0
	s_delay_alu instid0(VALU_DEP_1)
	v_mul_f32_e32 v132, v132, v120
	v_xor_b32_e32 v133, 0x80000000, v120
                                        ; implicit-def: $vgpr120_vgpr121
.LBB107_455:
	s_and_not1_saveexec_b32 s1, s1
	s_cbranch_execz .LBB107_457
; %bb.456:
	v_div_scale_f32 v132, null, v120, v120, v121
	v_div_scale_f32 v135, vcc_lo, v121, v120, v121
	s_delay_alu instid0(VALU_DEP_2) | instskip(SKIP_1) | instid1(TRANS32_DEP_1)
	v_rcp_f32_e32 v133, v132
	v_nop
	v_fma_f32 v134, -v132, v133, 1.0
	s_delay_alu instid0(VALU_DEP_1) | instskip(NEXT) | instid1(VALU_DEP_1)
	v_fmac_f32_e32 v133, v134, v133
	v_mul_f32_e32 v134, v135, v133
	s_delay_alu instid0(VALU_DEP_1) | instskip(NEXT) | instid1(VALU_DEP_1)
	v_fma_f32 v136, -v132, v134, v135
	v_fmac_f32_e32 v134, v136, v133
	s_delay_alu instid0(VALU_DEP_1) | instskip(NEXT) | instid1(VALU_DEP_1)
	v_fma_f32 v132, -v132, v134, v135
	v_div_fmas_f32 v132, v132, v133, v134
	s_delay_alu instid0(VALU_DEP_1) | instskip(NEXT) | instid1(VALU_DEP_1)
	v_div_fixup_f32 v133, v132, v120, v121
	v_fmac_f32_e32 v120, v121, v133
	s_delay_alu instid0(VALU_DEP_1) | instskip(NEXT) | instid1(VALU_DEP_1)
	v_div_scale_f32 v121, null, v120, v120, 1.0
	v_rcp_f32_e32 v132, v121
	v_nop
	s_delay_alu instid0(TRANS32_DEP_1) | instskip(NEXT) | instid1(VALU_DEP_1)
	v_fma_f32 v134, -v121, v132, 1.0
	v_fmac_f32_e32 v132, v134, v132
	v_div_scale_f32 v134, vcc_lo, 1.0, v120, 1.0
	s_delay_alu instid0(VALU_DEP_1) | instskip(NEXT) | instid1(VALU_DEP_1)
	v_mul_f32_e32 v135, v134, v132
	v_fma_f32 v136, -v121, v135, v134
	s_delay_alu instid0(VALU_DEP_1) | instskip(NEXT) | instid1(VALU_DEP_1)
	v_fmac_f32_e32 v135, v136, v132
	v_fma_f32 v121, -v121, v135, v134
	s_delay_alu instid0(VALU_DEP_1) | instskip(NEXT) | instid1(VALU_DEP_1)
	v_div_fmas_f32 v121, v121, v132, v135
	v_div_fixup_f32 v132, v121, v120, 1.0
	s_delay_alu instid0(VALU_DEP_1)
	v_mul_f32_e64 v133, v133, -v132
.LBB107_457:
	s_or_b32 exec_lo, exec_lo, s1
	ds_store_b64 v139, v[132:133]
.LBB107_458:
	s_or_b32 exec_lo, exec_lo, s2
	s_wait_dscnt 0x0
	s_barrier_signal -1
	s_barrier_wait -1
	ds_load_b64 v[132:133], v139
	s_mov_b32 s1, exec_lo
	v_cmpx_lt_u32_e32 50, v138
	s_cbranch_execz .LBB107_460
; %bb.459:
	ds_load_2addr_b64 v[134:137], v148 offset0:51 offset1:52
	s_wait_dscnt 0x1
	v_pk_mul_f32 v[120:121], v[132:133], v[210:211] op_sel:[1,1] op_sel_hi:[0,1]
	s_delay_alu instid0(VALU_DEP_1) | instskip(SKIP_1) | instid1(VALU_DEP_1)
	v_pk_fma_f32 v[150:151], v[132:133], v[210:211], v[120:121] op_sel_hi:[1,0,1] neg_lo:[0,0,1] neg_hi:[0,0,1]
	v_pk_fma_f32 v[120:121], v[132:133], v[210:211], v[120:121] op_sel_hi:[1,0,1]
	v_dual_mov_b32 v210, v150 :: v_dual_mov_b32 v211, v121
	s_wait_dscnt 0x0
	s_delay_alu instid0(VALU_DEP_2) | instskip(NEXT) | instid1(VALU_DEP_1)
	v_pk_mul_f32 v[152:153], v[134:135], v[120:121] op_sel:[0,1]
	v_pk_fma_f32 v[154:155], v[134:135], v[150:151], v[152:153] op_sel:[0,0,1] op_sel_hi:[1,1,0] neg_lo:[0,0,1] neg_hi:[0,0,1]
	v_pk_fma_f32 v[134:135], v[134:135], v[150:151], v[152:153] op_sel:[0,0,1] op_sel_hi:[1,0,0]
	s_delay_alu instid0(VALU_DEP_1) | instskip(SKIP_1) | instid1(VALU_DEP_1)
	v_mov_b32_e32 v155, v135
	v_pk_mul_f32 v[134:135], v[136:137], v[120:121] op_sel:[0,1]
	v_pk_fma_f32 v[152:153], v[136:137], v[150:151], v[134:135] op_sel:[0,0,1] op_sel_hi:[1,1,0] neg_lo:[0,0,1] neg_hi:[0,0,1]
	v_pk_fma_f32 v[134:135], v[136:137], v[150:151], v[134:135] op_sel:[0,0,1] op_sel_hi:[1,0,0]
	s_delay_alu instid0(VALU_DEP_1)
	v_mov_b32_e32 v153, v135
	ds_load_b64 v[134:135], v148 offset:424
	v_pk_add_f32 v[206:207], v[206:207], v[154:155] neg_lo:[0,1] neg_hi:[0,1]
	v_pk_add_f32 v[214:215], v[214:215], v[152:153] neg_lo:[0,1] neg_hi:[0,1]
	s_wait_dscnt 0x0
	v_pk_mul_f32 v[120:121], v[134:135], v[120:121] op_sel:[1,1] op_sel_hi:[0,1]
	s_delay_alu instid0(VALU_DEP_1) | instskip(SKIP_1) | instid1(VALU_DEP_1)
	v_pk_fma_f32 v[136:137], v[134:135], v[150:151], v[120:121] neg_lo:[0,0,1] neg_hi:[0,0,1]
	v_pk_fma_f32 v[120:121], v[134:135], v[150:151], v[120:121] op_sel_hi:[1,0,1]
	v_mov_b32_e32 v137, v121
	s_delay_alu instid0(VALU_DEP_1)
	v_pk_add_f32 v[216:217], v[216:217], v[136:137] neg_lo:[0,1] neg_hi:[0,1]
.LBB107_460:
	s_or_b32 exec_lo, exec_lo, s1
	s_delay_alu instid0(SALU_CYCLE_1)
	s_mov_b32 s2, exec_lo
	s_wait_dscnt 0x0
	s_barrier_signal -1
	s_barrier_wait -1
	v_cmpx_eq_u32_e32 51, v138
	s_cbranch_execz .LBB107_467
; %bb.461:
	v_dual_mov_b32 v120, v214 :: v_dual_mov_b32 v121, v215
	ds_store_b64 v139, v[206:207]
	ds_store_2addr_b64 v148, v[120:121], v[216:217] offset0:52 offset1:53
	ds_load_b64 v[120:121], v139
	s_wait_dscnt 0x0
	v_cmp_neq_f32_e32 vcc_lo, 0, v120
	v_cmp_neq_f32_e64 s1, 0, v121
	s_or_b32 s1, vcc_lo, s1
	s_delay_alu instid0(SALU_CYCLE_1)
	s_and_b32 exec_lo, exec_lo, s1
	s_cbranch_execz .LBB107_467
; %bb.462:
	v_cmp_ngt_f32_e64 s1, |v120|, |v121|
                                        ; implicit-def: $vgpr134_vgpr135
	s_and_saveexec_b32 s4, s1
	s_delay_alu instid0(SALU_CYCLE_1)
	s_xor_b32 s1, exec_lo, s4
	s_cbranch_execz .LBB107_464
; %bb.463:
	v_div_scale_f32 v134, null, v121, v121, v120
	v_div_scale_f32 v137, vcc_lo, v120, v121, v120
	s_delay_alu instid0(VALU_DEP_2) | instskip(SKIP_1) | instid1(TRANS32_DEP_1)
	v_rcp_f32_e32 v135, v134
	v_nop
	v_fma_f32 v136, -v134, v135, 1.0
	s_delay_alu instid0(VALU_DEP_1) | instskip(NEXT) | instid1(VALU_DEP_1)
	v_fmac_f32_e32 v135, v136, v135
	v_mul_f32_e32 v136, v137, v135
	s_delay_alu instid0(VALU_DEP_1) | instskip(NEXT) | instid1(VALU_DEP_1)
	v_fma_f32 v149, -v134, v136, v137
	v_fmac_f32_e32 v136, v149, v135
	s_delay_alu instid0(VALU_DEP_1) | instskip(NEXT) | instid1(VALU_DEP_1)
	v_fma_f32 v134, -v134, v136, v137
	v_div_fmas_f32 v134, v134, v135, v136
	s_delay_alu instid0(VALU_DEP_1) | instskip(NEXT) | instid1(VALU_DEP_1)
	v_div_fixup_f32 v134, v134, v121, v120
	v_fmac_f32_e32 v121, v120, v134
	s_delay_alu instid0(VALU_DEP_1) | instskip(SKIP_1) | instid1(VALU_DEP_2)
	v_div_scale_f32 v120, null, v121, v121, 1.0
	v_div_scale_f32 v137, vcc_lo, 1.0, v121, 1.0
	v_rcp_f32_e32 v135, v120
	v_nop
	s_delay_alu instid0(TRANS32_DEP_1) | instskip(NEXT) | instid1(VALU_DEP_1)
	v_fma_f32 v136, -v120, v135, 1.0
	v_fmac_f32_e32 v135, v136, v135
	s_delay_alu instid0(VALU_DEP_1) | instskip(NEXT) | instid1(VALU_DEP_1)
	v_mul_f32_e32 v136, v137, v135
	v_fma_f32 v149, -v120, v136, v137
	s_delay_alu instid0(VALU_DEP_1) | instskip(NEXT) | instid1(VALU_DEP_1)
	v_fmac_f32_e32 v136, v149, v135
	v_fma_f32 v120, -v120, v136, v137
	s_delay_alu instid0(VALU_DEP_1) | instskip(NEXT) | instid1(VALU_DEP_1)
	v_div_fmas_f32 v120, v120, v135, v136
	v_div_fixup_f32 v120, v120, v121, 1.0
	s_delay_alu instid0(VALU_DEP_1)
	v_mul_f32_e32 v134, v134, v120
	v_xor_b32_e32 v135, 0x80000000, v120
                                        ; implicit-def: $vgpr120_vgpr121
.LBB107_464:
	s_and_not1_saveexec_b32 s1, s1
	s_cbranch_execz .LBB107_466
; %bb.465:
	v_div_scale_f32 v134, null, v120, v120, v121
	v_div_scale_f32 v137, vcc_lo, v121, v120, v121
	s_delay_alu instid0(VALU_DEP_2) | instskip(SKIP_1) | instid1(TRANS32_DEP_1)
	v_rcp_f32_e32 v135, v134
	v_nop
	v_fma_f32 v136, -v134, v135, 1.0
	s_delay_alu instid0(VALU_DEP_1) | instskip(NEXT) | instid1(VALU_DEP_1)
	v_fmac_f32_e32 v135, v136, v135
	v_mul_f32_e32 v136, v137, v135
	s_delay_alu instid0(VALU_DEP_1) | instskip(NEXT) | instid1(VALU_DEP_1)
	v_fma_f32 v149, -v134, v136, v137
	v_fmac_f32_e32 v136, v149, v135
	s_delay_alu instid0(VALU_DEP_1) | instskip(NEXT) | instid1(VALU_DEP_1)
	v_fma_f32 v134, -v134, v136, v137
	v_div_fmas_f32 v134, v134, v135, v136
	s_delay_alu instid0(VALU_DEP_1) | instskip(NEXT) | instid1(VALU_DEP_1)
	v_div_fixup_f32 v135, v134, v120, v121
	v_fmac_f32_e32 v120, v121, v135
	s_delay_alu instid0(VALU_DEP_1) | instskip(NEXT) | instid1(VALU_DEP_1)
	v_div_scale_f32 v121, null, v120, v120, 1.0
	v_rcp_f32_e32 v134, v121
	v_nop
	s_delay_alu instid0(TRANS32_DEP_1) | instskip(NEXT) | instid1(VALU_DEP_1)
	v_fma_f32 v136, -v121, v134, 1.0
	v_fmac_f32_e32 v134, v136, v134
	v_div_scale_f32 v136, vcc_lo, 1.0, v120, 1.0
	s_delay_alu instid0(VALU_DEP_1) | instskip(NEXT) | instid1(VALU_DEP_1)
	v_mul_f32_e32 v137, v136, v134
	v_fma_f32 v149, -v121, v137, v136
	s_delay_alu instid0(VALU_DEP_1) | instskip(NEXT) | instid1(VALU_DEP_1)
	v_fmac_f32_e32 v137, v149, v134
	v_fma_f32 v121, -v121, v137, v136
	s_delay_alu instid0(VALU_DEP_1) | instskip(NEXT) | instid1(VALU_DEP_1)
	v_div_fmas_f32 v121, v121, v134, v137
	v_div_fixup_f32 v134, v121, v120, 1.0
	s_delay_alu instid0(VALU_DEP_1)
	v_mul_f32_e64 v135, v135, -v134
.LBB107_466:
	s_or_b32 exec_lo, exec_lo, s1
	ds_store_b64 v139, v[134:135]
.LBB107_467:
	s_or_b32 exec_lo, exec_lo, s2
	s_wait_dscnt 0x0
	s_barrier_signal -1
	s_barrier_wait -1
	ds_load_b64 v[134:135], v139
	s_mov_b32 s1, exec_lo
	v_cmpx_lt_u32_e32 51, v138
	s_cbranch_execz .LBB107_469
; %bb.468:
	ds_load_2addr_b64 v[150:153], v148 offset0:52 offset1:53
	s_wait_dscnt 0x1
	v_pk_mul_f32 v[120:121], v[134:135], v[206:207] op_sel:[1,1] op_sel_hi:[0,1]
	v_mov_b64_e32 v[0:1], v[254:255]
	v_mov_b64_e32 v[254:255], v[114:115]
	v_mov_b64_e32 v[114:115], v[252:253]
	v_mov_b64_e32 v[252:253], v[250:251]
	v_pk_fma_f32 v[136:137], v[134:135], v[206:207], v[120:121] op_sel_hi:[1,0,1] neg_lo:[0,0,1] neg_hi:[0,0,1]
	v_pk_fma_f32 v[120:121], v[134:135], v[206:207], v[120:121] op_sel_hi:[1,0,1]
	v_mov_b64_e32 v[250:251], v[248:249]
	v_mov_b64_e32 v[248:249], v[246:247]
	;; [unrolled: 1-line block ×12, first 2 shown]
	s_wait_dscnt 0x0
	v_pk_mul_f32 v[154:155], v[150:151], v[120:121] op_sel:[0,1]
	v_mov_b64_e32 v[226:227], v[16:17]
	v_mov_b64_e32 v[16:17], v[224:225]
	;; [unrolled: 1-line block ×18, first 2 shown]
	v_pk_fma_f32 v[164:165], v[150:151], v[136:137], v[154:155] op_sel:[0,0,1] op_sel_hi:[1,1,0] neg_lo:[0,0,1] neg_hi:[0,0,1]
	v_pk_fma_f32 v[150:151], v[150:151], v[136:137], v[154:155] op_sel:[0,0,1] op_sel_hi:[1,0,0]
	v_dual_mov_b32 v150, v153 :: v_dual_mov_b32 v206, v136
	s_delay_alu instid0(VALU_DEP_2) | instskip(SKIP_1) | instid1(VALU_DEP_2)
	v_dual_mov_b32 v207, v121 :: v_dual_mov_b32 v165, v151
	v_mov_b32_e32 v151, v152
	v_pk_add_f32 v[214:215], v[214:215], v[164:165] neg_lo:[0,1] neg_hi:[0,1]
	s_delay_alu instid0(VALU_DEP_2)
	v_pk_mul_f32 v[120:121], v[150:151], v[120:121] op_sel:[0,1]
	v_mov_b64_e32 v[164:165], v[166:167]
	v_mov_b64_e32 v[166:167], v[168:169]
	;; [unrolled: 1-line block ×4, first 2 shown]
	v_pk_fma_f32 v[150:151], v[152:153], v[136:137], v[120:121] neg_lo:[0,0,1] neg_hi:[0,0,1]
	v_pk_fma_f32 v[120:121], v[152:153], v[136:137], v[120:121] op_sel_hi:[1,0,1]
	v_mov_b64_e32 v[180:181], v[182:183]
	v_mov_b64_e32 v[182:183], v[184:185]
	;; [unrolled: 1-line block ×4, first 2 shown]
	v_mov_b32_e32 v151, v121
	v_mov_b64_e32 v[188:189], v[198:199]
	v_mov_b64_e32 v[198:199], v[200:201]
	;; [unrolled: 1-line block ×26, first 2 shown]
	v_pk_add_f32 v[216:217], v[216:217], v[150:151] neg_lo:[0,1] neg_hi:[0,1]
.LBB107_469:
	s_or_b32 exec_lo, exec_lo, s1
	s_delay_alu instid0(SALU_CYCLE_1)
	s_mov_b32 s2, exec_lo
	s_wait_dscnt 0x0
	s_barrier_signal -1
	s_barrier_wait -1
	v_cmpx_eq_u32_e32 52, v138
	s_cbranch_execz .LBB107_476
; %bb.470:
	ds_store_b64 v139, v[214:215]
	ds_store_b64 v148, v[216:217] offset:424
	ds_load_b64 v[120:121], v139
	s_wait_dscnt 0x0
	v_cmp_neq_f32_e32 vcc_lo, 0, v120
	v_cmp_neq_f32_e64 s1, 0, v121
	s_or_b32 s1, vcc_lo, s1
	s_delay_alu instid0(SALU_CYCLE_1)
	s_and_b32 exec_lo, exec_lo, s1
	s_cbranch_execz .LBB107_476
; %bb.471:
	v_cmp_ngt_f32_e64 s1, |v120|, |v121|
                                        ; implicit-def: $vgpr136_vgpr137
	s_and_saveexec_b32 s4, s1
	s_delay_alu instid0(SALU_CYCLE_1)
	s_xor_b32 s1, exec_lo, s4
	s_cbranch_execz .LBB107_473
; %bb.472:
	v_div_scale_f32 v136, null, v121, v121, v120
	v_div_scale_f32 v150, vcc_lo, v120, v121, v120
	s_delay_alu instid0(VALU_DEP_2) | instskip(SKIP_1) | instid1(TRANS32_DEP_1)
	v_rcp_f32_e32 v137, v136
	v_nop
	v_fma_f32 v149, -v136, v137, 1.0
	s_delay_alu instid0(VALU_DEP_1) | instskip(NEXT) | instid1(VALU_DEP_1)
	v_fmac_f32_e32 v137, v149, v137
	v_mul_f32_e32 v149, v150, v137
	s_delay_alu instid0(VALU_DEP_1) | instskip(NEXT) | instid1(VALU_DEP_1)
	v_fma_f32 v151, -v136, v149, v150
	v_fmac_f32_e32 v149, v151, v137
	s_delay_alu instid0(VALU_DEP_1) | instskip(NEXT) | instid1(VALU_DEP_1)
	v_fma_f32 v136, -v136, v149, v150
	v_div_fmas_f32 v136, v136, v137, v149
	s_delay_alu instid0(VALU_DEP_1) | instskip(NEXT) | instid1(VALU_DEP_1)
	v_div_fixup_f32 v136, v136, v121, v120
	v_fmac_f32_e32 v121, v120, v136
	s_delay_alu instid0(VALU_DEP_1) | instskip(SKIP_1) | instid1(VALU_DEP_2)
	v_div_scale_f32 v120, null, v121, v121, 1.0
	v_div_scale_f32 v150, vcc_lo, 1.0, v121, 1.0
	v_rcp_f32_e32 v137, v120
	v_nop
	s_delay_alu instid0(TRANS32_DEP_1) | instskip(NEXT) | instid1(VALU_DEP_1)
	v_fma_f32 v149, -v120, v137, 1.0
	v_fmac_f32_e32 v137, v149, v137
	s_delay_alu instid0(VALU_DEP_1) | instskip(NEXT) | instid1(VALU_DEP_1)
	v_mul_f32_e32 v149, v150, v137
	v_fma_f32 v151, -v120, v149, v150
	s_delay_alu instid0(VALU_DEP_1) | instskip(NEXT) | instid1(VALU_DEP_1)
	v_fmac_f32_e32 v149, v151, v137
	v_fma_f32 v120, -v120, v149, v150
	s_delay_alu instid0(VALU_DEP_1) | instskip(NEXT) | instid1(VALU_DEP_1)
	v_div_fmas_f32 v120, v120, v137, v149
	v_div_fixup_f32 v120, v120, v121, 1.0
	s_delay_alu instid0(VALU_DEP_1)
	v_mul_f32_e32 v136, v136, v120
	v_xor_b32_e32 v137, 0x80000000, v120
                                        ; implicit-def: $vgpr120_vgpr121
.LBB107_473:
	s_and_not1_saveexec_b32 s1, s1
	s_cbranch_execz .LBB107_475
; %bb.474:
	v_div_scale_f32 v136, null, v120, v120, v121
	v_div_scale_f32 v150, vcc_lo, v121, v120, v121
	s_delay_alu instid0(VALU_DEP_2) | instskip(SKIP_1) | instid1(TRANS32_DEP_1)
	v_rcp_f32_e32 v137, v136
	v_nop
	v_fma_f32 v149, -v136, v137, 1.0
	s_delay_alu instid0(VALU_DEP_1) | instskip(NEXT) | instid1(VALU_DEP_1)
	v_fmac_f32_e32 v137, v149, v137
	v_mul_f32_e32 v149, v150, v137
	s_delay_alu instid0(VALU_DEP_1) | instskip(NEXT) | instid1(VALU_DEP_1)
	v_fma_f32 v151, -v136, v149, v150
	v_fmac_f32_e32 v149, v151, v137
	s_delay_alu instid0(VALU_DEP_1) | instskip(NEXT) | instid1(VALU_DEP_1)
	v_fma_f32 v136, -v136, v149, v150
	v_div_fmas_f32 v136, v136, v137, v149
	s_delay_alu instid0(VALU_DEP_1) | instskip(NEXT) | instid1(VALU_DEP_1)
	v_div_fixup_f32 v137, v136, v120, v121
	v_fmac_f32_e32 v120, v121, v137
	s_delay_alu instid0(VALU_DEP_1) | instskip(NEXT) | instid1(VALU_DEP_1)
	v_div_scale_f32 v121, null, v120, v120, 1.0
	v_rcp_f32_e32 v136, v121
	v_nop
	s_delay_alu instid0(TRANS32_DEP_1) | instskip(NEXT) | instid1(VALU_DEP_1)
	v_fma_f32 v149, -v121, v136, 1.0
	v_fmac_f32_e32 v136, v149, v136
	v_div_scale_f32 v149, vcc_lo, 1.0, v120, 1.0
	s_delay_alu instid0(VALU_DEP_1) | instskip(NEXT) | instid1(VALU_DEP_1)
	v_mul_f32_e32 v150, v149, v136
	v_fma_f32 v151, -v121, v150, v149
	s_delay_alu instid0(VALU_DEP_1) | instskip(NEXT) | instid1(VALU_DEP_1)
	v_fmac_f32_e32 v150, v151, v136
	v_fma_f32 v121, -v121, v150, v149
	s_delay_alu instid0(VALU_DEP_1) | instskip(NEXT) | instid1(VALU_DEP_1)
	v_div_fmas_f32 v121, v121, v136, v150
	v_div_fixup_f32 v136, v121, v120, 1.0
	s_delay_alu instid0(VALU_DEP_1)
	v_mul_f32_e64 v137, v137, -v136
.LBB107_475:
	s_or_b32 exec_lo, exec_lo, s1
	ds_store_b64 v139, v[136:137]
.LBB107_476:
	s_or_b32 exec_lo, exec_lo, s2
	s_wait_dscnt 0x0
	s_barrier_signal -1
	s_barrier_wait -1
	ds_load_b64 v[136:137], v139
	s_mov_b32 s1, exec_lo
	v_cmpx_lt_u32_e32 52, v138
	s_cbranch_execz .LBB107_478
; %bb.477:
	ds_load_b64 v[120:121], v148 offset:424
	s_wait_dscnt 0x1
	v_pk_mul_f32 v[148:149], v[136:137], v[214:215] op_sel:[1,1] op_sel_hi:[0,1]
	s_delay_alu instid0(VALU_DEP_1) | instskip(SKIP_2) | instid1(VALU_DEP_2)
	v_pk_fma_f32 v[150:151], v[136:137], v[214:215], v[148:149] op_sel_hi:[1,0,1]
	v_pk_fma_f32 v[214:215], v[136:137], v[214:215], v[148:149] op_sel_hi:[1,0,1] neg_lo:[0,0,1] neg_hi:[0,0,1]
	s_wait_dscnt 0x0
	v_pk_mul_f32 v[148:149], v[120:121], v[150:151] op_sel:[1,1] op_sel_hi:[0,1]
	s_delay_alu instid0(VALU_DEP_1) | instskip(SKIP_1) | instid1(VALU_DEP_2)
	v_pk_fma_f32 v[152:153], v[120:121], v[214:215], v[148:149] op_sel_hi:[1,0,1]
	v_pk_fma_f32 v[120:121], v[120:121], v[214:215], v[148:149] neg_lo:[0,0,1] neg_hi:[0,0,1]
	v_dual_mov_b32 v215, v151 :: v_dual_mov_b32 v121, v153
	s_delay_alu instid0(VALU_DEP_1)
	v_pk_add_f32 v[216:217], v[216:217], v[120:121] neg_lo:[0,1] neg_hi:[0,1]
.LBB107_478:
	s_or_b32 exec_lo, exec_lo, s1
	s_delay_alu instid0(SALU_CYCLE_1)
	s_mov_b32 s2, exec_lo
	s_wait_dscnt 0x0
	s_barrier_signal -1
	s_barrier_wait -1
	v_cmpx_eq_u32_e32 53, v138
	s_cbranch_execz .LBB107_485
; %bb.479:
	v_cmp_neq_f32_e32 vcc_lo, 0, v216
	v_cmp_neq_f32_e64 s1, 0, v217
	ds_store_b64 v139, v[216:217]
	s_or_b32 s1, vcc_lo, s1
	s_delay_alu instid0(SALU_CYCLE_1)
	s_and_b32 exec_lo, exec_lo, s1
	s_cbranch_execz .LBB107_485
; %bb.480:
	v_cmp_ngt_f32_e64 s1, |v216|, |v217|
                                        ; implicit-def: $vgpr120_vgpr121
	s_and_saveexec_b32 s4, s1
	s_delay_alu instid0(SALU_CYCLE_1)
	s_xor_b32 s1, exec_lo, s4
	s_cbranch_execz .LBB107_482
; %bb.481:
	v_div_scale_f32 v120, null, v217, v217, v216
	v_div_scale_f32 v149, vcc_lo, v216, v217, v216
	s_delay_alu instid0(VALU_DEP_2) | instskip(SKIP_1) | instid1(TRANS32_DEP_1)
	v_rcp_f32_e32 v121, v120
	v_nop
	v_fma_f32 v148, -v120, v121, 1.0
	s_delay_alu instid0(VALU_DEP_1) | instskip(NEXT) | instid1(VALU_DEP_1)
	v_fmac_f32_e32 v121, v148, v121
	v_mul_f32_e32 v148, v149, v121
	s_delay_alu instid0(VALU_DEP_1) | instskip(NEXT) | instid1(VALU_DEP_1)
	v_fma_f32 v150, -v120, v148, v149
	v_fmac_f32_e32 v148, v150, v121
	s_delay_alu instid0(VALU_DEP_1) | instskip(NEXT) | instid1(VALU_DEP_1)
	v_fma_f32 v120, -v120, v148, v149
	v_div_fmas_f32 v120, v120, v121, v148
	s_delay_alu instid0(VALU_DEP_1) | instskip(NEXT) | instid1(VALU_DEP_1)
	v_div_fixup_f32 v120, v120, v217, v216
	v_fma_f32 v121, v216, v120, v217
	s_delay_alu instid0(VALU_DEP_1) | instskip(SKIP_1) | instid1(VALU_DEP_2)
	v_div_scale_f32 v148, null, v121, v121, 1.0
	v_div_scale_f32 v151, vcc_lo, 1.0, v121, 1.0
	v_rcp_f32_e32 v149, v148
	v_nop
	s_delay_alu instid0(TRANS32_DEP_1) | instskip(NEXT) | instid1(VALU_DEP_1)
	v_fma_f32 v150, -v148, v149, 1.0
	v_fmac_f32_e32 v149, v150, v149
	s_delay_alu instid0(VALU_DEP_1) | instskip(NEXT) | instid1(VALU_DEP_1)
	v_mul_f32_e32 v150, v151, v149
	v_fma_f32 v152, -v148, v150, v151
	s_delay_alu instid0(VALU_DEP_1) | instskip(NEXT) | instid1(VALU_DEP_1)
	v_fmac_f32_e32 v150, v152, v149
	v_fma_f32 v148, -v148, v150, v151
	s_delay_alu instid0(VALU_DEP_1) | instskip(NEXT) | instid1(VALU_DEP_1)
	v_div_fmas_f32 v148, v148, v149, v150
	v_div_fixup_f32 v121, v148, v121, 1.0
	s_delay_alu instid0(VALU_DEP_1)
	v_mul_f32_e32 v120, v120, v121
	v_xor_b32_e32 v121, 0x80000000, v121
.LBB107_482:
	s_and_not1_saveexec_b32 s1, s1
	s_cbranch_execz .LBB107_484
; %bb.483:
	v_div_scale_f32 v120, null, v216, v216, v217
	v_div_scale_f32 v149, vcc_lo, v217, v216, v217
	s_delay_alu instid0(VALU_DEP_2) | instskip(SKIP_1) | instid1(TRANS32_DEP_1)
	v_rcp_f32_e32 v121, v120
	v_nop
	v_fma_f32 v148, -v120, v121, 1.0
	s_delay_alu instid0(VALU_DEP_1) | instskip(NEXT) | instid1(VALU_DEP_1)
	v_fmac_f32_e32 v121, v148, v121
	v_mul_f32_e32 v148, v149, v121
	s_delay_alu instid0(VALU_DEP_1) | instskip(NEXT) | instid1(VALU_DEP_1)
	v_fma_f32 v150, -v120, v148, v149
	v_fmac_f32_e32 v148, v150, v121
	s_delay_alu instid0(VALU_DEP_1) | instskip(NEXT) | instid1(VALU_DEP_1)
	v_fma_f32 v120, -v120, v148, v149
	v_div_fmas_f32 v120, v120, v121, v148
	s_delay_alu instid0(VALU_DEP_1) | instskip(NEXT) | instid1(VALU_DEP_1)
	v_div_fixup_f32 v121, v120, v216, v217
	v_fma_f32 v120, v217, v121, v216
	s_delay_alu instid0(VALU_DEP_1) | instskip(NEXT) | instid1(VALU_DEP_1)
	v_div_scale_f32 v148, null, v120, v120, 1.0
	v_rcp_f32_e32 v149, v148
	v_nop
	s_delay_alu instid0(TRANS32_DEP_1) | instskip(NEXT) | instid1(VALU_DEP_1)
	v_fma_f32 v150, -v148, v149, 1.0
	v_fmac_f32_e32 v149, v150, v149
	v_div_scale_f32 v150, vcc_lo, 1.0, v120, 1.0
	s_delay_alu instid0(VALU_DEP_1) | instskip(NEXT) | instid1(VALU_DEP_1)
	v_mul_f32_e32 v151, v150, v149
	v_fma_f32 v152, -v148, v151, v150
	s_delay_alu instid0(VALU_DEP_1) | instskip(NEXT) | instid1(VALU_DEP_1)
	v_fmac_f32_e32 v151, v152, v149
	v_fma_f32 v148, -v148, v151, v150
	s_delay_alu instid0(VALU_DEP_1) | instskip(NEXT) | instid1(VALU_DEP_1)
	v_div_fmas_f32 v148, v148, v149, v151
	v_div_fixup_f32 v120, v148, v120, 1.0
	s_delay_alu instid0(VALU_DEP_1)
	v_mul_f32_e64 v121, v121, -v120
.LBB107_484:
	s_or_b32 exec_lo, exec_lo, s1
	ds_store_b64 v139, v[120:121]
.LBB107_485:
	s_or_b32 exec_lo, exec_lo, s2
	s_wait_dscnt 0x0
	s_barrier_signal -1
	s_barrier_wait -1
	ds_load_b64 v[120:121], v139
	s_wait_dscnt 0x0
	s_barrier_signal -1
	s_barrier_wait -1
	s_and_saveexec_b32 s2, s0
	s_cbranch_execz .LBB107_488
; %bb.486:
	scratch_load_b64 v[0:1], off, off offset:168 th:TH_LOAD_LU ; 8-byte Folded Reload
	s_wait_loadcnt 0x0
	v_cmp_eq_f32_e32 vcc_lo, 0, v0
	v_cmp_eq_f32_e64 s0, 0, v1
	scratch_load_b64 v[0:1], off, off offset:176 th:TH_LOAD_LU ; 8-byte Folded Reload
	s_and_b32 s1, vcc_lo, s0
	s_delay_alu instid0(SALU_CYCLE_1)
	v_cndmask_b32_e64 v139, 0, 1, s1
	s_wait_loadcnt 0x0
	v_cmp_neq_f32_e32 vcc_lo, 0, v0
	v_cmp_neq_f32_e64 s0, 0, v1
	scratch_load_b64 v[0:1], off, off offset:184 th:TH_LOAD_LU ; 8-byte Folded Reload
	s_or_b32 s0, vcc_lo, s0
	s_delay_alu instid0(SALU_CYCLE_1)
	s_or_b32 vcc_lo, s0, s1
	v_cmp_eq_f32_e64 s1, 0, v121
	v_cndmask_b32_e32 v139, 2, v139, vcc_lo
	s_wait_loadcnt 0x0
	v_cmp_eq_f32_e32 vcc_lo, 0, v0
	v_cmp_eq_f32_e64 s0, 0, v1
	scratch_load_b64 v[0:1], off, off offset:192 th:TH_LOAD_LU ; 8-byte Folded Reload
	s_and_b32 s0, vcc_lo, s0
	v_cmp_eq_u32_e32 vcc_lo, 0, v139
	s_and_b32 s0, s0, vcc_lo
	s_delay_alu instid0(SALU_CYCLE_1)
	v_cndmask_b32_e64 v139, v139, 3, s0
	s_wait_loadcnt 0x0
	v_cmp_eq_f32_e32 vcc_lo, 0, v0
	v_cmp_eq_f32_e64 s0, 0, v1
	scratch_load_b64 v[0:1], off, off offset:200 th:TH_LOAD_LU ; 8-byte Folded Reload
	s_and_b32 s0, vcc_lo, s0
	v_cmp_eq_u32_e32 vcc_lo, 0, v139
	s_and_b32 s0, s0, vcc_lo
	s_delay_alu instid0(SALU_CYCLE_1)
	v_cndmask_b32_e64 v139, v139, 4, s0
	;; [unrolled: 9-line block ×17, first 2 shown]
	s_wait_loadcnt 0x0
	v_cmp_eq_f32_e32 vcc_lo, 0, v0
	v_cmp_eq_f32_e64 s0, 0, v1
	s_and_b32 s0, vcc_lo, s0
	v_cmp_eq_u32_e32 vcc_lo, 0, v139
	s_and_b32 s0, s0, vcc_lo
	v_cmp_eq_f32_e32 vcc_lo, 0, v2
	v_cndmask_b32_e64 v0, v139, 20, s0
	v_cmp_eq_f32_e64 s0, 0, v3
	s_and_b32 s0, vcc_lo, s0
	v_cmp_eq_u32_e32 vcc_lo, 0, v0
	s_and_b32 s0, s0, vcc_lo
	v_cmp_eq_f32_e32 vcc_lo, 0, v4
	v_cndmask_b32_e64 v0, v0, 21, s0
	;; [unrolled: 6-line block ×33, first 2 shown]
	v_cmp_eq_f32_e64 s0, 0, v137
	s_and_b32 s0, vcc_lo, s0
	v_cmp_eq_u32_e32 vcc_lo, 0, v0
	s_and_b32 s0, s0, vcc_lo
	s_delay_alu instid0(SALU_CYCLE_1) | instskip(SKIP_1) | instid1(VALU_DEP_2)
	v_cndmask_b32_e64 v0, v0, 53, s0
	v_cmp_eq_f32_e64 s0, 0, v120
	v_cmp_eq_u32_e32 vcc_lo, 0, v0
	s_and_b32 s0, s0, s1
	s_delay_alu instid0(SALU_CYCLE_1) | instskip(NEXT) | instid1(SALU_CYCLE_1)
	s_and_b32 s0, s0, vcc_lo
	v_cndmask_b32_e64 v2, v0, 54, s0
	v_lshl_add_u64 v[0:1], v[114:115], 2, s[6:7]
	s_delay_alu instid0(VALU_DEP_2) | instskip(SKIP_4) | instid1(SALU_CYCLE_1)
	v_cmp_ne_u32_e64 s0, 0, v2
	global_load_b32 v3, v[0:1], off
	s_wait_loadcnt 0x0
	v_cmp_eq_u32_e32 vcc_lo, 0, v3
	s_and_b32 s0, vcc_lo, s0
	s_and_b32 exec_lo, exec_lo, s0
	s_cbranch_execz .LBB107_488
; %bb.487:
	v_add_nc_u32_e32 v2, s3, v2
	global_store_b32 v[0:1], v2, off
.LBB107_488:
	s_wait_xcnt 0x0
	s_or_b32 exec_lo, exec_lo, s2
	v_pk_mul_f32 v[0:1], v[120:121], v[216:217] op_sel:[1,1] op_sel_hi:[0,1]
	v_cmp_lt_u32_e32 vcc_lo, 53, v138
	s_clause 0x20
	global_store_b64 v[16:17], v[54:55], off
	global_store_b64 v[202:203], v[56:57], off
	;; [unrolled: 1-line block ×33, first 2 shown]
	v_pk_fma_f32 v[2:3], v[120:121], v[216:217], v[0:1] op_sel_hi:[1,0,1]
	v_pk_fma_f32 v[0:1], v[120:121], v[216:217], v[0:1] neg_lo:[0,0,1] neg_hi:[0,0,1]
	s_delay_alu instid0(VALU_DEP_1)
	v_dual_cndmask_b32 v1, v217, v3 :: v_dual_cndmask_b32 v0, v216, v0
	scratch_load_b64 v[2:3], off, off th:TH_LOAD_LU ; 8-byte Folded Reload
	s_wait_loadcnt 0x0
	global_store_b64 v[2:3], v[142:143], off
	scratch_load_b64 v[2:3], off, off offset:8 th:TH_LOAD_LU ; 8-byte Folded Reload
	s_wait_loadcnt 0x0
	global_store_b64 v[2:3], v[144:145], off
	scratch_load_b64 v[2:3], off, off offset:16 th:TH_LOAD_LU ; 8-byte Folded Reload
	;; [unrolled: 3-line block ×20, first 2 shown]
	s_wait_loadcnt 0x0
	global_store_b64 v[2:3], v[0:1], off
.LBB107_489:
	s_sendmsg sendmsg(MSG_DEALLOC_VGPRS)
	s_endpgm
	.section	.rodata,"a",@progbits
	.p2align	6, 0x0
	.amdhsa_kernel _ZN9rocsolver6v33100L23getf2_npvt_small_kernelILi54E19rocblas_complex_numIfEiiPS3_EEvT1_T3_lS5_lPT2_S5_S5_
		.amdhsa_group_segment_fixed_size 0
		.amdhsa_private_segment_fixed_size 332
		.amdhsa_kernarg_size 312
		.amdhsa_user_sgpr_count 2
		.amdhsa_user_sgpr_dispatch_ptr 0
		.amdhsa_user_sgpr_queue_ptr 0
		.amdhsa_user_sgpr_kernarg_segment_ptr 1
		.amdhsa_user_sgpr_dispatch_id 0
		.amdhsa_user_sgpr_kernarg_preload_length 0
		.amdhsa_user_sgpr_kernarg_preload_offset 0
		.amdhsa_user_sgpr_private_segment_size 0
		.amdhsa_wavefront_size32 1
		.amdhsa_uses_dynamic_stack 0
		.amdhsa_enable_private_segment 1
		.amdhsa_system_sgpr_workgroup_id_x 1
		.amdhsa_system_sgpr_workgroup_id_y 1
		.amdhsa_system_sgpr_workgroup_id_z 0
		.amdhsa_system_sgpr_workgroup_info 0
		.amdhsa_system_vgpr_workitem_id 1
		.amdhsa_next_free_vgpr 256
		.amdhsa_next_free_sgpr 15
		.amdhsa_named_barrier_count 0
		.amdhsa_reserve_vcc 1
		.amdhsa_float_round_mode_32 0
		.amdhsa_float_round_mode_16_64 0
		.amdhsa_float_denorm_mode_32 3
		.amdhsa_float_denorm_mode_16_64 3
		.amdhsa_fp16_overflow 0
		.amdhsa_memory_ordered 1
		.amdhsa_forward_progress 1
		.amdhsa_inst_pref_size 255
		.amdhsa_round_robin_scheduling 0
		.amdhsa_exception_fp_ieee_invalid_op 0
		.amdhsa_exception_fp_denorm_src 0
		.amdhsa_exception_fp_ieee_div_zero 0
		.amdhsa_exception_fp_ieee_overflow 0
		.amdhsa_exception_fp_ieee_underflow 0
		.amdhsa_exception_fp_ieee_inexact 0
		.amdhsa_exception_int_div_zero 0
	.end_amdhsa_kernel
	.section	.text._ZN9rocsolver6v33100L23getf2_npvt_small_kernelILi54E19rocblas_complex_numIfEiiPS3_EEvT1_T3_lS5_lPT2_S5_S5_,"axG",@progbits,_ZN9rocsolver6v33100L23getf2_npvt_small_kernelILi54E19rocblas_complex_numIfEiiPS3_EEvT1_T3_lS5_lPT2_S5_S5_,comdat
.Lfunc_end107:
	.size	_ZN9rocsolver6v33100L23getf2_npvt_small_kernelILi54E19rocblas_complex_numIfEiiPS3_EEvT1_T3_lS5_lPT2_S5_S5_, .Lfunc_end107-_ZN9rocsolver6v33100L23getf2_npvt_small_kernelILi54E19rocblas_complex_numIfEiiPS3_EEvT1_T3_lS5_lPT2_S5_S5_
                                        ; -- End function
	.set _ZN9rocsolver6v33100L23getf2_npvt_small_kernelILi54E19rocblas_complex_numIfEiiPS3_EEvT1_T3_lS5_lPT2_S5_S5_.num_vgpr, 256
	.set _ZN9rocsolver6v33100L23getf2_npvt_small_kernelILi54E19rocblas_complex_numIfEiiPS3_EEvT1_T3_lS5_lPT2_S5_S5_.num_agpr, 0
	.set _ZN9rocsolver6v33100L23getf2_npvt_small_kernelILi54E19rocblas_complex_numIfEiiPS3_EEvT1_T3_lS5_lPT2_S5_S5_.numbered_sgpr, 15
	.set _ZN9rocsolver6v33100L23getf2_npvt_small_kernelILi54E19rocblas_complex_numIfEiiPS3_EEvT1_T3_lS5_lPT2_S5_S5_.num_named_barrier, 0
	.set _ZN9rocsolver6v33100L23getf2_npvt_small_kernelILi54E19rocblas_complex_numIfEiiPS3_EEvT1_T3_lS5_lPT2_S5_S5_.private_seg_size, 332
	.set _ZN9rocsolver6v33100L23getf2_npvt_small_kernelILi54E19rocblas_complex_numIfEiiPS3_EEvT1_T3_lS5_lPT2_S5_S5_.uses_vcc, 1
	.set _ZN9rocsolver6v33100L23getf2_npvt_small_kernelILi54E19rocblas_complex_numIfEiiPS3_EEvT1_T3_lS5_lPT2_S5_S5_.uses_flat_scratch, 1
	.set _ZN9rocsolver6v33100L23getf2_npvt_small_kernelILi54E19rocblas_complex_numIfEiiPS3_EEvT1_T3_lS5_lPT2_S5_S5_.has_dyn_sized_stack, 0
	.set _ZN9rocsolver6v33100L23getf2_npvt_small_kernelILi54E19rocblas_complex_numIfEiiPS3_EEvT1_T3_lS5_lPT2_S5_S5_.has_recursion, 0
	.set _ZN9rocsolver6v33100L23getf2_npvt_small_kernelILi54E19rocblas_complex_numIfEiiPS3_EEvT1_T3_lS5_lPT2_S5_S5_.has_indirect_call, 0
	.section	.AMDGPU.csdata,"",@progbits
; Kernel info:
; codeLenInByte = 122128
; TotalNumSgprs: 17
; NumVgprs: 256
; ScratchSize: 332
; MemoryBound: 0
; FloatMode: 240
; IeeeMode: 1
; LDSByteSize: 0 bytes/workgroup (compile time only)
; SGPRBlocks: 0
; VGPRBlocks: 15
; NumSGPRsForWavesPerEU: 17
; NumVGPRsForWavesPerEU: 256
; NamedBarCnt: 0
; Occupancy: 4
; WaveLimiterHint : 0
; COMPUTE_PGM_RSRC2:SCRATCH_EN: 1
; COMPUTE_PGM_RSRC2:USER_SGPR: 2
; COMPUTE_PGM_RSRC2:TRAP_HANDLER: 0
; COMPUTE_PGM_RSRC2:TGID_X_EN: 1
; COMPUTE_PGM_RSRC2:TGID_Y_EN: 1
; COMPUTE_PGM_RSRC2:TGID_Z_EN: 0
; COMPUTE_PGM_RSRC2:TIDIG_COMP_CNT: 1
	.section	.text._ZN9rocsolver6v33100L18getf2_small_kernelILi55E19rocblas_complex_numIfEiiPS3_EEvT1_T3_lS5_lPS5_llPT2_S5_S5_S7_l,"axG",@progbits,_ZN9rocsolver6v33100L18getf2_small_kernelILi55E19rocblas_complex_numIfEiiPS3_EEvT1_T3_lS5_lPS5_llPT2_S5_S5_S7_l,comdat
	.globl	_ZN9rocsolver6v33100L18getf2_small_kernelILi55E19rocblas_complex_numIfEiiPS3_EEvT1_T3_lS5_lPS5_llPT2_S5_S5_S7_l ; -- Begin function _ZN9rocsolver6v33100L18getf2_small_kernelILi55E19rocblas_complex_numIfEiiPS3_EEvT1_T3_lS5_lPS5_llPT2_S5_S5_S7_l
	.p2align	8
	.type	_ZN9rocsolver6v33100L18getf2_small_kernelILi55E19rocblas_complex_numIfEiiPS3_EEvT1_T3_lS5_lPS5_llPT2_S5_S5_S7_l,@function
_ZN9rocsolver6v33100L18getf2_small_kernelILi55E19rocblas_complex_numIfEiiPS3_EEvT1_T3_lS5_lPS5_llPT2_S5_S5_S7_l: ; @_ZN9rocsolver6v33100L18getf2_small_kernelILi55E19rocblas_complex_numIfEiiPS3_EEvT1_T3_lS5_lPS5_llPT2_S5_S5_S7_l
; %bb.0:
	s_clause 0x1
	s_load_u16 s2, s[0:1], 0x6e
	s_load_b64 s[16:17], s[0:1], 0x48
	s_bfe_u32 s3, ttmp6, 0x40010
	s_bfe_u32 s4, ttmp6, 0x40004
	s_add_co_i32 s3, s3, 1
	s_getreg_b32 s5, hwreg(HW_REG_IB_STS2, 6, 4)
	s_mul_i32 s3, ttmp7, s3
	v_bfe_u32 v118, v0, 10, 10
	s_add_co_i32 s4, s4, s3
	s_cmp_eq_u32 s5, 0
	s_cselect_b32 s3, ttmp7, s4
	s_wait_kmcnt 0x0
	v_mad_u32 v2, s3, s2, v118
	s_mov_b32 s2, exec_lo
	s_delay_alu instid0(VALU_DEP_1)
	v_cmpx_gt_i32_e64 s16, v2
	s_cbranch_execnz .LBB108_1
; %bb.1157:
	s_add_pc_i64 .LBB108_1156-.Lpost_addpc2
.Lpost_addpc2:
.LBB108_1:
	s_load_b128 s[4:7], s[0:1], 0x50
	v_mov_b64_e32 v[4:5], 0
	v_ashrrev_i32_e32 v3, 31, v2
	s_wait_kmcnt 0x0
	s_cmp_eq_u64 s[4:5], 0
	s_cselect_b32 s16, -1, 0
	s_delay_alu instid0(SALU_CYCLE_1)
	s_and_b32 vcc_lo, exec_lo, s16
	s_cbranch_vccnz .LBB108_3
; %bb.2:
	v_mul_u64_e32 v[4:5], s[6:7], v[2:3]
	s_delay_alu instid0(VALU_DEP_1)
	v_lshl_add_u64 v[4:5], v[4:5], 2, s[4:5]
.LBB108_3:
	s_clause 0x2
	s_load_b32 s2, s[0:1], 0x18
	s_load_b128 s[12:15], s[0:1], 0x8
	s_load_b32 s18, s[0:1], 0x0
	v_and_b32_e32 v123, 0x3ff, v0
	s_load_b256 s[4:11], s[0:1], 0x20
	s_delay_alu instid0(VALU_DEP_1) | instskip(SKIP_4) | instid1(VALU_DEP_2)
	v_dual_mov_b32 v117, 0 :: v_dual_lshlrev_b32 v116, 3, v123
	s_wait_kmcnt 0x0
	v_add3_u32 v6, s2, s2, v123
	s_ashr_i32 s3, s2, 31
	v_mul_u64_e32 v[0:1], s[4:5], v[2:3]
	v_add_nc_u32_e32 v8, s2, v6
	s_max_i32 s4, s18, 55
	s_cmp_lt_i32 s18, 2
	s_delay_alu instid0(VALU_DEP_1) | instskip(NEXT) | instid1(VALU_DEP_1)
	v_add_nc_u32_e32 v10, s2, v8
	v_add_nc_u32_e32 v12, s2, v10
	s_delay_alu instid0(VALU_DEP_1) | instskip(NEXT) | instid1(VALU_DEP_1)
	v_add_nc_u32_e32 v14, s2, v12
	v_dual_ashrrev_i32 v9, 31, v8 :: v_dual_add_nc_u32 v16, s2, v14
	s_delay_alu instid0(VALU_DEP_1) | instskip(SKIP_1) | instid1(VALU_DEP_1)
	v_dual_ashrrev_i32 v15, 31, v14 :: v_dual_ashrrev_i32 v17, 31, v16
	v_dual_add_nc_u32 v18, s2, v16 :: v_dual_ashrrev_i32 v11, 31, v10
	v_dual_ashrrev_i32 v13, 31, v12 :: v_dual_add_nc_u32 v20, s2, v18
	v_lshl_add_u64 v[0:1], v[0:1], 3, s[12:13]
	s_delay_alu instid0(VALU_DEP_2) | instskip(NEXT) | instid1(VALU_DEP_2)
	v_add_nc_u32_e32 v22, s2, v20
	v_lshl_add_u64 v[0:1], s[14:15], 3, v[0:1]
	s_delay_alu instid0(VALU_DEP_2) | instskip(NEXT) | instid1(VALU_DEP_2)
	v_add_nc_u32_e32 v24, s2, v22
	v_lshl_add_u64 v[10:11], v[10:11], 3, v[0:1]
	v_add_nc_u64_e32 v[42:43], v[0:1], v[116:117]
	v_lshl_add_u64 v[12:13], v[12:13], 3, v[0:1]
	v_lshl_add_u64 v[14:15], v[14:15], 3, v[0:1]
	v_add_nc_u32_e32 v26, s2, v24
	v_lshl_add_u64 v[16:17], v[16:17], 3, v[0:1]
	s_clause 0x3
	global_load_b64 v[96:97], v[10:11], off
	global_load_b64 v[94:95], v[12:13], off
	global_load_b64 v[48:49], v[14:15], off
	global_load_b64 v[46:47], v[16:17], off
	s_wait_xcnt 0x3
	v_lshl_add_u64 v[10:11], s[2:3], 3, v[42:43]
	v_dual_add_nc_u32 v28, s2, v26 :: v_dual_ashrrev_i32 v27, 31, v26
	v_lshl_add_u64 v[8:9], v[8:9], 3, v[0:1]
	v_ashrrev_i32_e32 v21, 31, v20
	s_delay_alu instid0(VALU_DEP_3) | instskip(SKIP_1) | instid1(VALU_DEP_3)
	v_dual_add_nc_u32 v30, s2, v28 :: v_dual_ashrrev_i32 v29, 31, v28
	v_ashrrev_i32_e32 v25, 31, v24
	v_lshl_add_u64 v[20:21], v[20:21], 3, v[0:1]
	s_delay_alu instid0(VALU_DEP_3) | instskip(SKIP_2) | instid1(VALU_DEP_2)
	v_add_nc_u32_e32 v32, s2, v30
	s_wait_xcnt 0x0
	v_lshl_add_u64 v[16:17], v[28:29], 3, v[0:1]
	v_add_nc_u32_e32 v34, s2, v32
	s_delay_alu instid0(VALU_DEP_1) | instskip(NEXT) | instid1(VALU_DEP_1)
	v_add_nc_u32_e32 v36, s2, v34
	v_add_nc_u32_e32 v38, s2, v36
	v_ashrrev_i32_e32 v33, 31, v32
	s_delay_alu instid0(VALU_DEP_2) | instskip(SKIP_1) | instid1(VALU_DEP_2)
	v_dual_ashrrev_i32 v37, 31, v36 :: v_dual_add_nc_u32 v40, s2, v38
	v_ashrrev_i32_e32 v7, 31, v6
	v_dual_ashrrev_i32 v35, 31, v34 :: v_dual_ashrrev_i32 v41, 31, v40
	v_add_nc_u32_e32 v50, s2, v40
	s_delay_alu instid0(VALU_DEP_3)
	v_lshl_add_u64 v[6:7], v[6:7], 3, v[0:1]
	s_clause 0x3
	global_load_b64 v[108:109], v[6:7], off
	global_load_b64 v[106:107], v[8:9], off
	;; [unrolled: 1-line block ×4, first 2 shown]
	v_add_nc_u32_e32 v52, s2, v50
	v_ashrrev_i32_e32 v19, 31, v18
	s_wait_xcnt 0x3
	v_lshl_add_u64 v[6:7], v[24:25], 3, v[0:1]
	s_wait_xcnt 0x0
	v_lshl_add_u64 v[10:11], v[26:27], 3, v[0:1]
	v_lshl_add_u64 v[26:27], v[40:41], 3, v[0:1]
	v_add_nc_u32_e32 v62, s2, v52
	v_lshl_add_u64 v[18:19], v[18:19], 3, v[0:1]
	s_delay_alu instid0(VALU_DEP_2) | instskip(SKIP_1) | instid1(VALU_DEP_2)
	v_dual_ashrrev_i32 v53, 31, v52 :: v_dual_add_nc_u32 v64, s2, v62
	v_ashrrev_i32_e32 v23, 31, v22
	v_dual_ashrrev_i32 v39, 31, v38 :: v_dual_ashrrev_i32 v65, 31, v64
	v_add_nc_u32_e32 v66, s2, v64
	s_delay_alu instid0(VALU_DEP_3)
	v_lshl_add_u64 v[12:13], v[22:23], 3, v[0:1]
	s_clause 0x3
	global_load_b64 v[104:105], v[18:19], off
	global_load_b64 v[102:103], v[20:21], off
	;; [unrolled: 1-line block ×4, first 2 shown]
	v_add_nc_u32_e32 v14, s2, v66
	s_wait_xcnt 0x2
	v_lshl_add_u64 v[20:21], v[32:33], 3, v[0:1]
	v_lshl_add_u64 v[24:25], v[38:39], 3, v[0:1]
	v_ashrrev_i32_e32 v67, 31, v66
	v_lshl_add_u64 v[32:33], v[64:65], 3, v[0:1]
	v_add_nc_u32_e32 v8, s2, v14
	s_wait_xcnt 0x0
	s_delay_alu instid0(VALU_DEP_1) | instskip(NEXT) | instid1(VALU_DEP_1)
	v_dual_add_nc_u32 v6, s2, v8 :: v_dual_ashrrev_i32 v9, 31, v8
	v_add_nc_u32_e32 v12, s2, v6
	v_ashrrev_i32_e32 v31, 31, v30
	v_ashrrev_i32_e32 v7, 31, v6
	s_delay_alu instid0(VALU_DEP_4) | instskip(NEXT) | instid1(VALU_DEP_4)
	v_lshl_add_u64 v[8:9], v[8:9], 3, v[0:1]
	v_add_nc_u32_e32 v22, s2, v12
	s_delay_alu instid0(VALU_DEP_4)
	v_lshl_add_u64 v[18:19], v[30:31], 3, v[0:1]
	s_clause 0x3
	global_load_b64 v[100:101], v[10:11], off
	global_load_b64 v[98:99], v[16:17], off
	;; [unrolled: 1-line block ×4, first 2 shown]
	s_wait_xcnt 0x3
	v_add_nc_u32_e32 v10, s2, v22
	s_wait_xcnt 0x2
	v_lshl_add_u64 v[16:17], v[34:35], 3, v[0:1]
	s_wait_xcnt 0x0
	v_lshl_add_u64 v[20:21], v[36:37], 3, v[0:1]
	s_clause 0x3
	global_load_b64 v[92:93], v[16:17], off
	global_load_b64 v[90:91], v[20:21], off
	;; [unrolled: 1-line block ×4, first 2 shown]
	v_dual_add_nc_u32 v18, s2, v10 :: v_dual_ashrrev_i32 v13, 31, v12
	s_wait_xcnt 0x0
	v_lshl_add_u64 v[26:27], v[52:53], 3, v[0:1]
	v_lshl_add_u64 v[6:7], v[6:7], 3, v[0:1]
	v_ashrrev_i32_e32 v11, 31, v10
	v_add_nc_u32_e32 v30, s2, v18
	s_delay_alu instid0(VALU_DEP_2) | instskip(NEXT) | instid1(VALU_DEP_2)
	v_lshl_add_u64 v[10:11], v[10:11], 3, v[0:1]
	v_add_nc_u32_e32 v16, s2, v30
	v_ashrrev_i32_e32 v15, 31, v14
	s_delay_alu instid0(VALU_DEP_2) | instskip(SKIP_1) | instid1(VALU_DEP_3)
	v_dual_ashrrev_i32 v31, 31, v30 :: v_dual_add_nc_u32 v24, s2, v16
	v_dual_ashrrev_i32 v51, 31, v50 :: v_dual_ashrrev_i32 v17, 31, v16
	v_lshl_add_u64 v[14:15], v[14:15], 3, v[0:1]
	s_delay_alu instid0(VALU_DEP_3) | instskip(NEXT) | instid1(VALU_DEP_3)
	v_add_nc_u32_e32 v34, s2, v24
	v_lshl_add_u64 v[20:21], v[50:51], 3, v[0:1]
	s_delay_alu instid0(VALU_DEP_4) | instskip(NEXT) | instid1(VALU_DEP_3)
	v_lshl_add_u64 v[16:17], v[16:17], 3, v[0:1]
	v_dual_ashrrev_i32 v25, 31, v24 :: v_dual_add_nc_u32 v50, s2, v34
	v_ashrrev_i32_e32 v35, 31, v34
	s_delay_alu instid0(VALU_DEP_2) | instskip(SKIP_1) | instid1(VALU_DEP_2)
	v_add_nc_u32_e32 v52, s2, v50
	v_ashrrev_i32_e32 v63, 31, v62
	v_dual_ashrrev_i32 v23, 31, v22 :: v_dual_ashrrev_i32 v53, 31, v52
	s_delay_alu instid0(VALU_DEP_2)
	v_lshl_add_u64 v[28:29], v[62:63], 3, v[0:1]
	s_clause 0x3
	global_load_b64 v[88:89], v[20:21], off
	global_load_b64 v[86:87], v[26:27], off
	global_load_b64 v[40:41], v[28:29], off
	global_load_b64 v[38:39], v[32:33], off
	s_wait_xcnt 0x3
	v_lshl_add_u64 v[20:21], v[66:67], 3, v[0:1]
	v_add_nc_u32_e32 v62, s2, v52
	s_clause 0x3
	global_load_b64 v[84:85], v[20:21], off
	global_load_b64 v[82:83], v[14:15], off
	;; [unrolled: 1-line block ×4, first 2 shown]
	s_wait_xcnt 0x0
	v_add_nc_u32_e32 v6, s2, v62
	v_lshl_add_u64 v[8:9], v[12:13], 3, v[0:1]
	v_lshl_add_u64 v[14:15], v[22:23], 3, v[0:1]
	v_ashrrev_i32_e32 v63, 31, v62
	s_delay_alu instid0(VALU_DEP_4) | instskip(NEXT) | instid1(VALU_DEP_1)
	v_add_nc_u32_e32 v12, s2, v6
	v_dual_ashrrev_i32 v19, 31, v18 :: v_dual_ashrrev_i32 v13, 31, v12
	v_add_nc_u32_e32 v64, s2, v12
	s_delay_alu instid0(VALU_DEP_2)
	v_lshl_add_u64 v[18:19], v[18:19], 3, v[0:1]
	s_clause 0x3
	global_load_b64 v[80:81], v[8:9], off
	global_load_b64 v[78:79], v[14:15], off
	global_load_b64 v[28:29], v[10:11], off
	global_load_b64 v[26:27], v[18:19], off
	s_wait_xcnt 0x1
	v_lshl_add_u64 v[10:11], v[30:31], 3, v[0:1]
	v_add_nc_u32_e32 v8, s2, v64
	s_wait_xcnt 0x0
	v_lshl_add_u64 v[18:19], v[24:25], 3, v[0:1]
	v_lshl_add_u64 v[24:25], v[34:35], 3, v[0:1]
	s_clause 0x3
	global_load_b64 v[76:77], v[10:11], off
	global_load_b64 v[74:75], v[16:17], off
	;; [unrolled: 1-line block ×4, first 2 shown]
	v_dual_add_nc_u32 v14, s2, v8 :: v_dual_ashrrev_i32 v9, 31, v8
	v_dual_ashrrev_i32 v51, 31, v50 :: v_dual_ashrrev_i32 v65, 31, v64
	v_ashrrev_i32_e32 v7, 31, v6
	s_delay_alu instid0(VALU_DEP_3) | instskip(SKIP_1) | instid1(VALU_DEP_3)
	v_dual_add_nc_u32 v30, s2, v14 :: v_dual_ashrrev_i32 v15, 31, v14
	s_wait_xcnt 0x0
	v_lshl_add_u64 v[24:25], v[50:51], 3, v[0:1]
	v_lshl_add_u64 v[50:51], v[52:53], 3, v[0:1]
	;; [unrolled: 1-line block ×3, first 2 shown]
	v_add_nc_u32_e32 v10, s2, v30
	v_lshl_add_u64 v[6:7], v[6:7], 3, v[0:1]
	s_clause 0x3
	global_load_b64 v[72:73], v[24:25], off
	global_load_b64 v[70:71], v[50:51], off
	;; [unrolled: 1-line block ×4, first 2 shown]
	s_wait_xcnt 0x0
	v_lshl_add_u64 v[6:7], v[12:13], 3, v[0:1]
	v_add_nc_u32_e32 v34, s2, v10
	v_lshl_add_u64 v[52:53], v[64:65], 3, v[0:1]
	v_lshl_add_u64 v[8:9], v[8:9], 3, v[0:1]
	;; [unrolled: 1-line block ×3, first 2 shown]
	s_clause 0x3
	global_load_b64 v[68:69], v[6:7], off
	global_load_b64 v[66:67], v[52:53], off
	global_load_b64 v[14:15], v[8:9], off
	global_load_b64 v[12:13], v[64:65], off
	v_add_nc_u32_e32 v62, s2, v34
	s_delay_alu instid0(VALU_DEP_1) | instskip(NEXT) | instid1(VALU_DEP_1)
	v_add_nc_u32_e32 v24, s2, v62
	v_dual_ashrrev_i32 v31, 31, v30 :: v_dual_ashrrev_i32 v25, 31, v24
	v_add_nc_u32_e32 v50, s2, v24
	s_delay_alu instid0(VALU_DEP_2) | instskip(NEXT) | instid1(VALU_DEP_3)
	v_lshl_add_u64 v[30:31], v[30:31], 3, v[0:1]
	v_lshl_add_u64 v[24:25], v[24:25], 3, v[0:1]
	s_delay_alu instid0(VALU_DEP_3) | instskip(SKIP_1) | instid1(VALU_DEP_1)
	v_dual_add_nc_u32 v114, s2, v50 :: v_dual_ashrrev_i32 v51, 31, v50
	s_wait_xcnt 0x1
	v_dual_add_nc_u32 v8, s2, v114 :: v_dual_ashrrev_i32 v115, 31, v114
	s_delay_alu instid0(VALU_DEP_1) | instskip(SKIP_2) | instid1(VALU_DEP_3)
	v_dual_ashrrev_i32 v35, 31, v34 :: v_dual_ashrrev_i32 v9, 31, v8
	v_dual_add_nc_u32 v120, s2, v8 :: v_dual_ashrrev_i32 v11, 31, v10
	v_ashrrev_i32_e32 v63, 31, v62
	v_lshl_add_u64 v[34:35], v[34:35], 3, v[0:1]
	v_lshl_add_u64 v[114:115], v[114:115], 3, v[0:1]
	s_delay_alu instid0(VALU_DEP_4)
	v_add_nc_u32_e32 v126, s2, v120
	v_lshl_add_u64 v[52:53], v[10:11], 3, v[0:1]
	v_ashrrev_i32_e32 v121, 31, v120
	v_lshl_add_u64 v[124:125], v[62:63], 3, v[0:1]
	s_clause 0x3
	global_load_b64 v[64:65], v[30:31], off
	global_load_b64 v[62:63], v[52:53], off
	;; [unrolled: 1-line block ×4, first 2 shown]
	s_wait_xcnt 0x3
	v_dual_add_nc_u32 v30, s2, v126 :: v_dual_ashrrev_i32 v127, 31, v126
	s_wait_xcnt 0x1
	v_lshl_add_u64 v[34:35], v[50:51], 3, v[0:1]
	s_wait_xcnt 0x0
	v_lshl_add_u64 v[124:125], v[8:9], 3, v[0:1]
	v_lshl_add_u64 v[120:121], v[120:121], 3, v[0:1]
	v_ashrrev_i32_e32 v31, 31, v30
	v_lshl_add_u64 v[126:127], v[126:127], 3, v[0:1]
	s_delay_alu instid0(VALU_DEP_2)
	v_lshl_add_u64 v[128:129], v[30:31], 3, v[0:1]
	s_clause 0x6
	global_load_b64 v[52:53], v[24:25], off
	global_load_b64 v[50:51], v[34:35], off
	;; [unrolled: 1-line block ×4, first 2 shown]
	; meta instruction
	; meta instruction
	;; [unrolled: 1-line block ×4, first 2 shown]
	global_load_b64 v[34:35], v[120:121], off
	global_load_b64 v[24:25], v[126:127], off
	;; [unrolled: 1-line block ×3, first 2 shown]
	s_wait_xcnt 0x2
	v_mul_lo_u32 v121, s4, v118
	s_load_b64 s[4:5], s[0:1], 0x40
	s_delay_alu instid0(VALU_DEP_1) | instskip(NEXT) | instid1(VALU_DEP_1)
	v_lshl_add_u32 v120, v121, 3, 0
	v_dual_lshlrev_b32 v121, 3, v121 :: v_dual_add_nc_u32 v116, v120, v116
	s_wait_loadcnt 0x30
	ds_store_b64 v116, v[112:113]
	s_wait_loadcnt_dscnt 0x0
	s_barrier_signal -1
	s_barrier_wait -1
	ds_load_b64 v[118:119], v120
	s_cbranch_scc1 .LBB108_6
; %bb.4:
	v_add3_u32 v116, v121, 0, 8
	v_mov_b32_e32 v117, 0
	s_wait_xcnt 0x0
	s_mov_b32 s1, 1
.LBB108_5:                              ; =>This Inner Loop Header: Depth=1
	ds_load_b64 v[124:125], v116
	s_wait_dscnt 0x1
	v_cmp_gt_f32_e32 vcc_lo, 0, v118
	v_cmp_gt_f32_e64 s0, 0, v119
	s_delay_alu instid0(VALU_DEP_1) | instskip(SKIP_3) | instid1(VALU_DEP_1)
	v_dual_cndmask_b32 v126, v118, -v118, vcc_lo :: v_dual_cndmask_b32 v128, v119, -v119, s0
	s_wait_dscnt 0x0
	v_cmp_gt_f32_e32 vcc_lo, 0, v124
	v_cmp_gt_f32_e64 s0, 0, v125
	v_dual_cndmask_b32 v127, v124, -v124, vcc_lo :: v_dual_cndmask_b32 v129, v125, -v125, s0
	s_delay_alu instid0(VALU_DEP_1) | instskip(NEXT) | instid1(VALU_DEP_1)
	v_pk_add_f32 v[126:127], v[126:127], v[128:129]
	v_cmp_lt_f32_e32 vcc_lo, v126, v127
	v_dual_cndmask_b32 v119, v119, v125 :: v_dual_add_nc_u32 v116, 8, v116
	v_cndmask_b32_e32 v118, v118, v124, vcc_lo
	v_cndmask_b32_e64 v117, v117, s1, vcc_lo
	s_add_co_i32 s1, s1, 1
	s_delay_alu instid0(SALU_CYCLE_1)
	s_cmp_eq_u32 s18, s1
	s_cbranch_scc0 .LBB108_5
.LBB108_6:
	s_wait_dscnt 0x0
	v_cmp_neq_f32_e32 vcc_lo, 0, v118
	s_wait_xcnt 0x0
	v_cmp_neq_f32_e64 s0, 0, v119
	v_dual_mov_b32 v122, 1 :: v_dual_mov_b32 v125, 1
	s_or_b32 s1, vcc_lo, s0
	s_delay_alu instid0(SALU_CYCLE_1)
	s_and_saveexec_b32 s0, s1
	s_cbranch_execz .LBB108_12
; %bb.7:
	v_cmp_ngt_f32_e64 s1, |v118|, |v119|
	s_and_saveexec_b32 s12, s1
	s_delay_alu instid0(SALU_CYCLE_1)
	s_xor_b32 s1, exec_lo, s12
	s_cbranch_execz .LBB108_9
; %bb.8:
	v_div_scale_f32 v116, null, v119, v119, v118
	v_div_scale_f32 v125, vcc_lo, v118, v119, v118
	s_delay_alu instid0(VALU_DEP_2) | instskip(SKIP_1) | instid1(TRANS32_DEP_1)
	v_rcp_f32_e32 v122, v116
	v_nop
	v_fma_f32 v124, -v116, v122, 1.0
	s_delay_alu instid0(VALU_DEP_1) | instskip(NEXT) | instid1(VALU_DEP_1)
	v_fmac_f32_e32 v122, v124, v122
	v_mul_f32_e32 v124, v125, v122
	s_delay_alu instid0(VALU_DEP_1) | instskip(NEXT) | instid1(VALU_DEP_1)
	v_fma_f32 v126, -v116, v124, v125
	v_fmac_f32_e32 v124, v126, v122
	s_delay_alu instid0(VALU_DEP_1) | instskip(NEXT) | instid1(VALU_DEP_1)
	v_fma_f32 v116, -v116, v124, v125
	v_div_fmas_f32 v116, v116, v122, v124
	s_delay_alu instid0(VALU_DEP_1) | instskip(NEXT) | instid1(VALU_DEP_1)
	v_div_fixup_f32 v116, v116, v119, v118
	v_fmac_f32_e32 v119, v118, v116
	s_delay_alu instid0(VALU_DEP_1) | instskip(SKIP_1) | instid1(VALU_DEP_2)
	v_div_scale_f32 v118, null, v119, v119, 1.0
	v_div_scale_f32 v125, vcc_lo, 1.0, v119, 1.0
	v_rcp_f32_e32 v122, v118
	v_nop
	s_delay_alu instid0(TRANS32_DEP_1) | instskip(NEXT) | instid1(VALU_DEP_1)
	v_fma_f32 v124, -v118, v122, 1.0
	v_fmac_f32_e32 v122, v124, v122
	s_delay_alu instid0(VALU_DEP_1) | instskip(NEXT) | instid1(VALU_DEP_1)
	v_mul_f32_e32 v124, v125, v122
	v_fma_f32 v126, -v118, v124, v125
	s_delay_alu instid0(VALU_DEP_1) | instskip(NEXT) | instid1(VALU_DEP_1)
	v_fmac_f32_e32 v124, v126, v122
	v_fma_f32 v118, -v118, v124, v125
	s_delay_alu instid0(VALU_DEP_1) | instskip(NEXT) | instid1(VALU_DEP_1)
	v_div_fmas_f32 v118, v118, v122, v124
	v_div_fixup_f32 v119, v118, v119, 1.0
	s_delay_alu instid0(VALU_DEP_1)
	v_mul_f32_e32 v118, v116, v119
	v_xor_b32_e32 v119, 0x80000000, v119
.LBB108_9:
	s_and_not1_saveexec_b32 s1, s1
	s_cbranch_execz .LBB108_11
; %bb.10:
	s_delay_alu instid0(VALU_DEP_1) | instskip(SKIP_1) | instid1(VALU_DEP_2)
	v_div_scale_f32 v116, null, v118, v118, v119
	v_div_scale_f32 v125, vcc_lo, v119, v118, v119
	v_rcp_f32_e32 v122, v116
	v_nop
	s_delay_alu instid0(TRANS32_DEP_1) | instskip(NEXT) | instid1(VALU_DEP_1)
	v_fma_f32 v124, -v116, v122, 1.0
	v_fmac_f32_e32 v122, v124, v122
	s_delay_alu instid0(VALU_DEP_1) | instskip(NEXT) | instid1(VALU_DEP_1)
	v_mul_f32_e32 v124, v125, v122
	v_fma_f32 v126, -v116, v124, v125
	s_delay_alu instid0(VALU_DEP_1) | instskip(NEXT) | instid1(VALU_DEP_1)
	v_fmac_f32_e32 v124, v126, v122
	v_fma_f32 v116, -v116, v124, v125
	s_delay_alu instid0(VALU_DEP_1) | instskip(NEXT) | instid1(VALU_DEP_1)
	v_div_fmas_f32 v116, v116, v122, v124
	v_div_fixup_f32 v116, v116, v118, v119
	s_delay_alu instid0(VALU_DEP_1) | instskip(NEXT) | instid1(VALU_DEP_1)
	v_fmac_f32_e32 v118, v119, v116
	v_div_scale_f32 v119, null, v118, v118, 1.0
	s_delay_alu instid0(VALU_DEP_1) | instskip(SKIP_1) | instid1(TRANS32_DEP_1)
	v_rcp_f32_e32 v122, v119
	v_nop
	v_fma_f32 v124, -v119, v122, 1.0
	s_delay_alu instid0(VALU_DEP_1) | instskip(SKIP_1) | instid1(VALU_DEP_1)
	v_fmac_f32_e32 v122, v124, v122
	v_div_scale_f32 v124, vcc_lo, 1.0, v118, 1.0
	v_mul_f32_e32 v125, v124, v122
	s_delay_alu instid0(VALU_DEP_1) | instskip(NEXT) | instid1(VALU_DEP_1)
	v_fma_f32 v126, -v119, v125, v124
	v_fmac_f32_e32 v125, v126, v122
	s_delay_alu instid0(VALU_DEP_1) | instskip(NEXT) | instid1(VALU_DEP_1)
	v_fma_f32 v119, -v119, v125, v124
	v_div_fmas_f32 v119, v119, v122, v125
	s_delay_alu instid0(VALU_DEP_1) | instskip(NEXT) | instid1(VALU_DEP_1)
	v_div_fixup_f32 v118, v119, v118, 1.0
	v_mul_f32_e64 v119, v116, -v118
.LBB108_11:
	s_or_b32 exec_lo, exec_lo, s1
	v_dual_mov_b32 v125, 0 :: v_dual_mov_b32 v122, 2
.LBB108_12:
	s_or_b32 exec_lo, exec_lo, s0
	s_delay_alu instid0(SALU_CYCLE_1)
	s_mov_b32 s0, exec_lo
	v_cmpx_ne_u32_e64 v123, v117
	s_xor_b32 s0, exec_lo, s0
	s_cbranch_execz .LBB108_18
; %bb.13:
	s_mov_b32 s1, exec_lo
	v_cmpx_eq_u32_e32 0, v123
	s_cbranch_execz .LBB108_17
; %bb.14:
	v_cmp_ne_u32_e32 vcc_lo, 0, v117
	s_xor_b32 s12, s16, -1
	s_delay_alu instid0(SALU_CYCLE_1) | instskip(NEXT) | instid1(SALU_CYCLE_1)
	s_and_b32 s13, s12, vcc_lo
	s_and_saveexec_b32 s12, s13
	s_cbranch_execz .LBB108_16
; %bb.15:
	v_dual_mov_b32 v126, v117 :: v_dual_ashrrev_i32 v127, 31, v117
	s_delay_alu instid0(VALU_DEP_1)
	v_lshl_add_u64 v[126:127], v[126:127], 2, v[4:5]
	s_clause 0x1
	global_load_b32 v116, v[126:127], off
	global_load_b32 v123, v[4:5], off
	s_wait_loadcnt 0x1
	global_store_b32 v[4:5], v116, off
	s_wait_loadcnt 0x0
	global_store_b32 v[126:127], v123, off
.LBB108_16:
	s_wait_xcnt 0x0
	s_or_b32 exec_lo, exec_lo, s12
	v_mov_b32_e32 v123, v117
.LBB108_17:
	s_or_b32 exec_lo, exec_lo, s1
.LBB108_18:
	s_or_saveexec_b32 s0, s0
	s_delay_alu instid0(VALU_DEP_1)
	v_mov_b32_e32 v124, v123
	s_xor_b32 exec_lo, exec_lo, s0
	s_cbranch_execz .LBB108_20
; %bb.19:
	v_mov_b32_e32 v124, 0
	ds_store_2addr_b64 v120, v[110:111], v[108:109] offset0:1 offset1:2
	ds_store_2addr_b64 v120, v[106:107], v[96:97] offset0:3 offset1:4
	;; [unrolled: 1-line block ×27, first 2 shown]
.LBB108_20:
	s_or_b32 exec_lo, exec_lo, s0
	s_delay_alu instid0(SALU_CYCLE_1)
	s_mov_b32 s0, exec_lo
	s_wait_storecnt_dscnt 0x0
	s_barrier_signal -1
	s_barrier_wait -1
	v_cmpx_lt_i32_e32 0, v124
	s_cbranch_execz .LBB108_22
; %bb.21:
	v_pk_mul_f32 v[126:127], v[118:119], v[112:113] op_sel:[1,1] op_sel_hi:[0,1]
	s_delay_alu instid0(VALU_DEP_1)
	v_pk_fma_f32 v[116:117], v[118:119], v[112:113], v[126:127] op_sel_hi:[1,0,1] neg_lo:[0,0,1] neg_hi:[0,0,1]
	v_pk_fma_f32 v[118:119], v[118:119], v[112:113], v[126:127] op_sel_hi:[1,0,1]
	ds_load_2addr_b64 v[126:129], v120 offset0:1 offset1:2
	v_dual_mov_b32 v112, v116 :: v_dual_mov_b32 v113, v119
	s_wait_dscnt 0x0
	v_pk_mul_f32 v[130:131], v[126:127], v[118:119] op_sel:[0,1]
	s_delay_alu instid0(VALU_DEP_1) | instskip(SKIP_1) | instid1(VALU_DEP_1)
	v_pk_fma_f32 v[132:133], v[126:127], v[116:117], v[130:131] op_sel:[0,0,1] op_sel_hi:[1,1,0] neg_lo:[0,0,1] neg_hi:[0,0,1]
	v_pk_fma_f32 v[126:127], v[126:127], v[116:117], v[130:131] op_sel:[0,0,1] op_sel_hi:[1,0,0]
	v_mov_b32_e32 v133, v127
	v_pk_mul_f32 v[126:127], v[128:129], v[118:119] op_sel:[0,1]
	s_delay_alu instid0(VALU_DEP_1) | instskip(SKIP_1) | instid1(VALU_DEP_1)
	v_pk_fma_f32 v[130:131], v[128:129], v[116:117], v[126:127] op_sel:[0,0,1] op_sel_hi:[1,1,0] neg_lo:[0,0,1] neg_hi:[0,0,1]
	v_pk_fma_f32 v[126:127], v[128:129], v[116:117], v[126:127] op_sel:[0,0,1] op_sel_hi:[1,0,0]
	v_mov_b32_e32 v131, v127
	ds_load_2addr_b64 v[126:129], v120 offset0:3 offset1:4
	v_pk_add_f32 v[110:111], v[110:111], v[132:133] neg_lo:[0,1] neg_hi:[0,1]
	v_pk_add_f32 v[108:109], v[108:109], v[130:131] neg_lo:[0,1] neg_hi:[0,1]
	s_wait_dscnt 0x0
	v_pk_mul_f32 v[130:131], v[126:127], v[118:119] op_sel:[0,1]
	s_delay_alu instid0(VALU_DEP_1) | instskip(SKIP_2) | instid1(VALU_DEP_2)
	v_pk_fma_f32 v[132:133], v[126:127], v[116:117], v[130:131] op_sel:[0,0,1] op_sel_hi:[1,1,0] neg_lo:[0,0,1] neg_hi:[0,0,1]
	v_pk_fma_f32 v[126:127], v[126:127], v[116:117], v[130:131] op_sel:[0,0,1] op_sel_hi:[1,0,0]
	v_dual_mul_f32 v130, v129, v119 :: v_dual_mov_b32 v126, v129
	v_dual_mov_b32 v133, v127 :: v_dual_mov_b32 v127, v128
	s_delay_alu instid0(VALU_DEP_2) | instskip(SKIP_1) | instid1(VALU_DEP_3)
	v_pk_fma_f32 v[130:131], v[128:129], v[112:113], v[130:131] op_sel_hi:[1,1,0] neg_lo:[0,0,1] neg_hi:[0,0,1]
	v_mul_f32_e32 v128, v129, v116
	v_pk_add_f32 v[106:107], v[106:107], v[132:133] neg_lo:[0,1] neg_hi:[0,1]
	s_delay_alu instid0(VALU_DEP_2) | instskip(NEXT) | instid1(VALU_DEP_1)
	v_pk_fma_f32 v[126:127], v[126:127], v[112:113], v[128:129] op_sel_hi:[1,1,0]
	v_mov_b32_e32 v131, v127
	ds_load_2addr_b64 v[126:129], v120 offset0:5 offset1:6
	v_pk_add_f32 v[96:97], v[96:97], v[130:131] neg_lo:[0,1] neg_hi:[0,1]
	s_wait_dscnt 0x0
	v_pk_mul_f32 v[130:131], v[126:127], v[118:119] op_sel:[0,1]
	s_delay_alu instid0(VALU_DEP_1) | instskip(SKIP_1) | instid1(VALU_DEP_1)
	v_pk_fma_f32 v[132:133], v[126:127], v[116:117], v[130:131] op_sel:[0,0,1] op_sel_hi:[1,1,0] neg_lo:[0,0,1] neg_hi:[0,0,1]
	v_pk_fma_f32 v[126:127], v[126:127], v[116:117], v[130:131] op_sel:[0,0,1] op_sel_hi:[1,0,0]
	v_mov_b32_e32 v133, v127
	v_pk_mul_f32 v[126:127], v[128:129], v[118:119] op_sel:[0,1]
	s_delay_alu instid0(VALU_DEP_1) | instskip(SKIP_1) | instid1(VALU_DEP_1)
	v_pk_fma_f32 v[130:131], v[128:129], v[116:117], v[126:127] op_sel:[0,0,1] op_sel_hi:[1,1,0] neg_lo:[0,0,1] neg_hi:[0,0,1]
	v_pk_fma_f32 v[126:127], v[128:129], v[116:117], v[126:127] op_sel:[0,0,1] op_sel_hi:[1,0,0]
	v_mov_b32_e32 v131, v127
	ds_load_2addr_b64 v[126:129], v120 offset0:7 offset1:8
	v_pk_add_f32 v[94:95], v[94:95], v[132:133] neg_lo:[0,1] neg_hi:[0,1]
	v_pk_add_f32 v[48:49], v[48:49], v[130:131] neg_lo:[0,1] neg_hi:[0,1]
	s_wait_dscnt 0x0
	v_pk_mul_f32 v[130:131], v[126:127], v[118:119] op_sel:[0,1]
	s_delay_alu instid0(VALU_DEP_1) | instskip(SKIP_1) | instid1(VALU_DEP_1)
	v_pk_fma_f32 v[132:133], v[126:127], v[116:117], v[130:131] op_sel:[0,0,1] op_sel_hi:[1,1,0] neg_lo:[0,0,1] neg_hi:[0,0,1]
	v_pk_fma_f32 v[126:127], v[126:127], v[116:117], v[130:131] op_sel:[0,0,1] op_sel_hi:[1,0,0]
	v_mov_b32_e32 v133, v127
	v_pk_mul_f32 v[126:127], v[128:129], v[118:119] op_sel:[0,1]
	s_delay_alu instid0(VALU_DEP_1) | instskip(SKIP_1) | instid1(VALU_DEP_1)
	v_pk_fma_f32 v[130:131], v[128:129], v[116:117], v[126:127] op_sel:[0,0,1] op_sel_hi:[1,1,0] neg_lo:[0,0,1] neg_hi:[0,0,1]
	v_pk_fma_f32 v[126:127], v[128:129], v[116:117], v[126:127] op_sel:[0,0,1] op_sel_hi:[1,0,0]
	v_mov_b32_e32 v131, v127
	ds_load_2addr_b64 v[126:129], v120 offset0:9 offset1:10
	v_pk_add_f32 v[46:47], v[46:47], v[132:133] neg_lo:[0,1] neg_hi:[0,1]
	v_pk_add_f32 v[104:105], v[104:105], v[130:131] neg_lo:[0,1] neg_hi:[0,1]
	s_wait_dscnt 0x0
	v_dual_mul_f32 v130, v127, v119 :: v_dual_mul_f32 v132, v127, v116
	s_delay_alu instid0(VALU_DEP_1) | instskip(NEXT) | instid1(VALU_DEP_2)
	v_pk_fma_f32 v[130:131], v[126:127], v[112:113], v[130:131] op_sel_hi:[1,1,0] neg_lo:[0,0,1] neg_hi:[0,0,1]
	v_pk_fma_f32 v[126:127], v[126:127], v[112:113], v[132:133] op_sel:[1,0,0] op_sel_hi:[0,1,0]
	s_delay_alu instid0(VALU_DEP_1) | instskip(SKIP_1) | instid1(VALU_DEP_2)
	v_mov_b32_e32 v131, v127
	v_pk_mul_f32 v[126:127], v[128:129], v[118:119] op_sel:[0,1]
	v_pk_add_f32 v[102:103], v[102:103], v[130:131] neg_lo:[0,1] neg_hi:[0,1]
	s_delay_alu instid0(VALU_DEP_2) | instskip(SKIP_1) | instid1(VALU_DEP_1)
	v_pk_fma_f32 v[130:131], v[128:129], v[116:117], v[126:127] op_sel:[0,0,1] op_sel_hi:[1,1,0] neg_lo:[0,0,1] neg_hi:[0,0,1]
	v_pk_fma_f32 v[126:127], v[128:129], v[116:117], v[126:127] op_sel:[0,0,1] op_sel_hi:[1,0,0]
	v_mov_b32_e32 v131, v127
	ds_load_2addr_b64 v[126:129], v120 offset0:11 offset1:12
	v_pk_add_f32 v[60:61], v[60:61], v[130:131] neg_lo:[0,1] neg_hi:[0,1]
	s_wait_dscnt 0x0
	v_pk_mul_f32 v[130:131], v[126:127], v[118:119] op_sel:[0,1]
	s_delay_alu instid0(VALU_DEP_1) | instskip(SKIP_1) | instid1(VALU_DEP_1)
	v_pk_fma_f32 v[132:133], v[126:127], v[116:117], v[130:131] op_sel:[0,0,1] op_sel_hi:[1,1,0] neg_lo:[0,0,1] neg_hi:[0,0,1]
	v_pk_fma_f32 v[126:127], v[126:127], v[116:117], v[130:131] op_sel:[0,0,1] op_sel_hi:[1,0,0]
	v_mov_b32_e32 v133, v127
	v_pk_mul_f32 v[126:127], v[128:129], v[118:119] op_sel:[0,1]
	s_delay_alu instid0(VALU_DEP_2) | instskip(NEXT) | instid1(VALU_DEP_2)
	v_pk_add_f32 v[58:59], v[58:59], v[132:133] neg_lo:[0,1] neg_hi:[0,1]
	v_pk_fma_f32 v[130:131], v[128:129], v[116:117], v[126:127] op_sel:[0,0,1] op_sel_hi:[1,1,0] neg_lo:[0,0,1] neg_hi:[0,0,1]
	v_pk_fma_f32 v[126:127], v[128:129], v[116:117], v[126:127] op_sel:[0,0,1] op_sel_hi:[1,0,0]
	s_delay_alu instid0(VALU_DEP_1) | instskip(SKIP_4) | instid1(VALU_DEP_1)
	v_mov_b32_e32 v131, v127
	ds_load_2addr_b64 v[126:129], v120 offset0:13 offset1:14
	v_pk_add_f32 v[100:101], v[100:101], v[130:131] neg_lo:[0,1] neg_hi:[0,1]
	s_wait_dscnt 0x0
	v_pk_mul_f32 v[130:131], v[126:127], v[118:119] op_sel:[0,1]
	v_pk_fma_f32 v[132:133], v[126:127], v[116:117], v[130:131] op_sel:[0,0,1] op_sel_hi:[1,1,0] neg_lo:[0,0,1] neg_hi:[0,0,1]
	v_pk_fma_f32 v[126:127], v[126:127], v[116:117], v[130:131] op_sel:[0,0,1] op_sel_hi:[1,0,0]
	v_dual_mul_f32 v130, v129, v119 :: v_dual_mov_b32 v126, v129
	s_delay_alu instid0(VALU_DEP_2) | instskip(NEXT) | instid1(VALU_DEP_2)
	v_dual_mov_b32 v133, v127 :: v_dual_mov_b32 v127, v128
	v_pk_fma_f32 v[130:131], v[128:129], v[112:113], v[130:131] op_sel_hi:[1,1,0] neg_lo:[0,0,1] neg_hi:[0,0,1]
	v_mul_f32_e32 v128, v129, v116
	s_delay_alu instid0(VALU_DEP_3) | instskip(NEXT) | instid1(VALU_DEP_2)
	v_pk_add_f32 v[98:99], v[98:99], v[132:133] neg_lo:[0,1] neg_hi:[0,1]
	v_pk_fma_f32 v[126:127], v[126:127], v[112:113], v[128:129] op_sel_hi:[1,1,0]
	s_delay_alu instid0(VALU_DEP_1) | instskip(SKIP_4) | instid1(VALU_DEP_1)
	v_mov_b32_e32 v131, v127
	ds_load_2addr_b64 v[126:129], v120 offset0:15 offset1:16
	v_pk_add_f32 v[56:57], v[56:57], v[130:131] neg_lo:[0,1] neg_hi:[0,1]
	s_wait_dscnt 0x0
	v_pk_mul_f32 v[130:131], v[126:127], v[118:119] op_sel:[0,1]
	v_pk_fma_f32 v[132:133], v[126:127], v[116:117], v[130:131] op_sel:[0,0,1] op_sel_hi:[1,1,0] neg_lo:[0,0,1] neg_hi:[0,0,1]
	v_pk_fma_f32 v[126:127], v[126:127], v[116:117], v[130:131] op_sel:[0,0,1] op_sel_hi:[1,0,0]
	s_delay_alu instid0(VALU_DEP_1) | instskip(SKIP_1) | instid1(VALU_DEP_1)
	v_mov_b32_e32 v133, v127
	v_pk_mul_f32 v[126:127], v[128:129], v[118:119] op_sel:[0,1]
	v_pk_fma_f32 v[130:131], v[128:129], v[116:117], v[126:127] op_sel:[0,0,1] op_sel_hi:[1,1,0] neg_lo:[0,0,1] neg_hi:[0,0,1]
	v_pk_fma_f32 v[126:127], v[128:129], v[116:117], v[126:127] op_sel:[0,0,1] op_sel_hi:[1,0,0]
	s_delay_alu instid0(VALU_DEP_1)
	v_mov_b32_e32 v131, v127
	ds_load_2addr_b64 v[126:129], v120 offset0:17 offset1:18
	v_pk_add_f32 v[54:55], v[54:55], v[132:133] neg_lo:[0,1] neg_hi:[0,1]
	v_pk_add_f32 v[92:93], v[92:93], v[130:131] neg_lo:[0,1] neg_hi:[0,1]
	s_wait_dscnt 0x0
	v_pk_mul_f32 v[130:131], v[126:127], v[118:119] op_sel:[0,1]
	s_delay_alu instid0(VALU_DEP_1) | instskip(SKIP_1) | instid1(VALU_DEP_1)
	v_pk_fma_f32 v[132:133], v[126:127], v[116:117], v[130:131] op_sel:[0,0,1] op_sel_hi:[1,1,0] neg_lo:[0,0,1] neg_hi:[0,0,1]
	v_pk_fma_f32 v[126:127], v[126:127], v[116:117], v[130:131] op_sel:[0,0,1] op_sel_hi:[1,0,0]
	v_mov_b32_e32 v133, v127
	v_pk_mul_f32 v[126:127], v[128:129], v[118:119] op_sel:[0,1]
	s_delay_alu instid0(VALU_DEP_1) | instskip(SKIP_1) | instid1(VALU_DEP_1)
	v_pk_fma_f32 v[130:131], v[128:129], v[116:117], v[126:127] op_sel:[0,0,1] op_sel_hi:[1,1,0] neg_lo:[0,0,1] neg_hi:[0,0,1]
	v_pk_fma_f32 v[126:127], v[128:129], v[116:117], v[126:127] op_sel:[0,0,1] op_sel_hi:[1,0,0]
	v_mov_b32_e32 v131, v127
	ds_load_2addr_b64 v[126:129], v120 offset0:19 offset1:20
	v_pk_add_f32 v[90:91], v[90:91], v[132:133] neg_lo:[0,1] neg_hi:[0,1]
	v_pk_add_f32 v[44:45], v[44:45], v[130:131] neg_lo:[0,1] neg_hi:[0,1]
	s_wait_dscnt 0x0
	v_dual_mul_f32 v130, v127, v119 :: v_dual_mul_f32 v132, v127, v116
	s_delay_alu instid0(VALU_DEP_1) | instskip(NEXT) | instid1(VALU_DEP_2)
	v_pk_fma_f32 v[130:131], v[126:127], v[112:113], v[130:131] op_sel_hi:[1,1,0] neg_lo:[0,0,1] neg_hi:[0,0,1]
	v_pk_fma_f32 v[126:127], v[126:127], v[112:113], v[132:133] op_sel:[1,0,0] op_sel_hi:[0,1,0]
	s_delay_alu instid0(VALU_DEP_1) | instskip(SKIP_1) | instid1(VALU_DEP_2)
	v_mov_b32_e32 v131, v127
	v_pk_mul_f32 v[126:127], v[128:129], v[118:119] op_sel:[0,1]
	v_pk_add_f32 v[42:43], v[42:43], v[130:131] neg_lo:[0,1] neg_hi:[0,1]
	s_delay_alu instid0(VALU_DEP_2) | instskip(SKIP_1) | instid1(VALU_DEP_1)
	v_pk_fma_f32 v[130:131], v[128:129], v[116:117], v[126:127] op_sel:[0,0,1] op_sel_hi:[1,1,0] neg_lo:[0,0,1] neg_hi:[0,0,1]
	v_pk_fma_f32 v[126:127], v[128:129], v[116:117], v[126:127] op_sel:[0,0,1] op_sel_hi:[1,0,0]
	v_mov_b32_e32 v131, v127
	ds_load_2addr_b64 v[126:129], v120 offset0:21 offset1:22
	v_pk_add_f32 v[88:89], v[88:89], v[130:131] neg_lo:[0,1] neg_hi:[0,1]
	s_wait_dscnt 0x0
	v_pk_mul_f32 v[130:131], v[126:127], v[118:119] op_sel:[0,1]
	s_delay_alu instid0(VALU_DEP_1) | instskip(SKIP_1) | instid1(VALU_DEP_1)
	v_pk_fma_f32 v[132:133], v[126:127], v[116:117], v[130:131] op_sel:[0,0,1] op_sel_hi:[1,1,0] neg_lo:[0,0,1] neg_hi:[0,0,1]
	v_pk_fma_f32 v[126:127], v[126:127], v[116:117], v[130:131] op_sel:[0,0,1] op_sel_hi:[1,0,0]
	v_mov_b32_e32 v133, v127
	v_pk_mul_f32 v[126:127], v[128:129], v[118:119] op_sel:[0,1]
	s_delay_alu instid0(VALU_DEP_2) | instskip(NEXT) | instid1(VALU_DEP_2)
	v_pk_add_f32 v[86:87], v[86:87], v[132:133] neg_lo:[0,1] neg_hi:[0,1]
	v_pk_fma_f32 v[130:131], v[128:129], v[116:117], v[126:127] op_sel:[0,0,1] op_sel_hi:[1,1,0] neg_lo:[0,0,1] neg_hi:[0,0,1]
	v_pk_fma_f32 v[126:127], v[128:129], v[116:117], v[126:127] op_sel:[0,0,1] op_sel_hi:[1,0,0]
	s_delay_alu instid0(VALU_DEP_1) | instskip(SKIP_4) | instid1(VALU_DEP_1)
	v_mov_b32_e32 v131, v127
	ds_load_2addr_b64 v[126:129], v120 offset0:23 offset1:24
	v_pk_add_f32 v[40:41], v[40:41], v[130:131] neg_lo:[0,1] neg_hi:[0,1]
	s_wait_dscnt 0x0
	v_pk_mul_f32 v[130:131], v[126:127], v[118:119] op_sel:[0,1]
	v_pk_fma_f32 v[132:133], v[126:127], v[116:117], v[130:131] op_sel:[0,0,1] op_sel_hi:[1,1,0] neg_lo:[0,0,1] neg_hi:[0,0,1]
	v_pk_fma_f32 v[126:127], v[126:127], v[116:117], v[130:131] op_sel:[0,0,1] op_sel_hi:[1,0,0]
	v_dual_mul_f32 v130, v129, v119 :: v_dual_mov_b32 v126, v129
	s_delay_alu instid0(VALU_DEP_2) | instskip(NEXT) | instid1(VALU_DEP_2)
	v_dual_mov_b32 v133, v127 :: v_dual_mov_b32 v127, v128
	v_pk_fma_f32 v[130:131], v[128:129], v[112:113], v[130:131] op_sel_hi:[1,1,0] neg_lo:[0,0,1] neg_hi:[0,0,1]
	v_mul_f32_e32 v128, v129, v116
	s_delay_alu instid0(VALU_DEP_3) | instskip(NEXT) | instid1(VALU_DEP_2)
	v_pk_add_f32 v[38:39], v[38:39], v[132:133] neg_lo:[0,1] neg_hi:[0,1]
	v_pk_fma_f32 v[126:127], v[126:127], v[112:113], v[128:129] op_sel_hi:[1,1,0]
	s_delay_alu instid0(VALU_DEP_1) | instskip(SKIP_4) | instid1(VALU_DEP_1)
	v_mov_b32_e32 v131, v127
	ds_load_2addr_b64 v[126:129], v120 offset0:25 offset1:26
	v_pk_add_f32 v[84:85], v[84:85], v[130:131] neg_lo:[0,1] neg_hi:[0,1]
	s_wait_dscnt 0x0
	v_pk_mul_f32 v[130:131], v[126:127], v[118:119] op_sel:[0,1]
	v_pk_fma_f32 v[132:133], v[126:127], v[116:117], v[130:131] op_sel:[0,0,1] op_sel_hi:[1,1,0] neg_lo:[0,0,1] neg_hi:[0,0,1]
	v_pk_fma_f32 v[126:127], v[126:127], v[116:117], v[130:131] op_sel:[0,0,1] op_sel_hi:[1,0,0]
	s_delay_alu instid0(VALU_DEP_1) | instskip(SKIP_1) | instid1(VALU_DEP_1)
	v_mov_b32_e32 v133, v127
	v_pk_mul_f32 v[126:127], v[128:129], v[118:119] op_sel:[0,1]
	v_pk_fma_f32 v[130:131], v[128:129], v[116:117], v[126:127] op_sel:[0,0,1] op_sel_hi:[1,1,0] neg_lo:[0,0,1] neg_hi:[0,0,1]
	v_pk_fma_f32 v[126:127], v[128:129], v[116:117], v[126:127] op_sel:[0,0,1] op_sel_hi:[1,0,0]
	s_delay_alu instid0(VALU_DEP_1)
	v_mov_b32_e32 v131, v127
	ds_load_2addr_b64 v[126:129], v120 offset0:27 offset1:28
	v_pk_add_f32 v[82:83], v[82:83], v[132:133] neg_lo:[0,1] neg_hi:[0,1]
	v_pk_add_f32 v[36:37], v[36:37], v[130:131] neg_lo:[0,1] neg_hi:[0,1]
	s_wait_dscnt 0x0
	v_pk_mul_f32 v[130:131], v[126:127], v[118:119] op_sel:[0,1]
	s_delay_alu instid0(VALU_DEP_1) | instskip(SKIP_1) | instid1(VALU_DEP_1)
	v_pk_fma_f32 v[132:133], v[126:127], v[116:117], v[130:131] op_sel:[0,0,1] op_sel_hi:[1,1,0] neg_lo:[0,0,1] neg_hi:[0,0,1]
	v_pk_fma_f32 v[126:127], v[126:127], v[116:117], v[130:131] op_sel:[0,0,1] op_sel_hi:[1,0,0]
	v_mov_b32_e32 v133, v127
	v_pk_mul_f32 v[126:127], v[128:129], v[118:119] op_sel:[0,1]
	s_delay_alu instid0(VALU_DEP_1) | instskip(SKIP_1) | instid1(VALU_DEP_1)
	v_pk_fma_f32 v[130:131], v[128:129], v[116:117], v[126:127] op_sel:[0,0,1] op_sel_hi:[1,1,0] neg_lo:[0,0,1] neg_hi:[0,0,1]
	v_pk_fma_f32 v[126:127], v[128:129], v[116:117], v[126:127] op_sel:[0,0,1] op_sel_hi:[1,0,0]
	v_mov_b32_e32 v131, v127
	ds_load_2addr_b64 v[126:129], v120 offset0:29 offset1:30
	v_pk_add_f32 v[32:33], v[32:33], v[132:133] neg_lo:[0,1] neg_hi:[0,1]
	v_pk_add_f32 v[80:81], v[80:81], v[130:131] neg_lo:[0,1] neg_hi:[0,1]
	s_wait_dscnt 0x0
	v_dual_mul_f32 v130, v127, v119 :: v_dual_mul_f32 v132, v127, v116
	s_delay_alu instid0(VALU_DEP_1) | instskip(NEXT) | instid1(VALU_DEP_2)
	v_pk_fma_f32 v[130:131], v[126:127], v[112:113], v[130:131] op_sel_hi:[1,1,0] neg_lo:[0,0,1] neg_hi:[0,0,1]
	v_pk_fma_f32 v[126:127], v[126:127], v[112:113], v[132:133] op_sel:[1,0,0] op_sel_hi:[0,1,0]
	s_delay_alu instid0(VALU_DEP_1) | instskip(SKIP_1) | instid1(VALU_DEP_2)
	v_mov_b32_e32 v131, v127
	v_pk_mul_f32 v[126:127], v[128:129], v[118:119] op_sel:[0,1]
	v_pk_add_f32 v[78:79], v[78:79], v[130:131] neg_lo:[0,1] neg_hi:[0,1]
	s_delay_alu instid0(VALU_DEP_2) | instskip(SKIP_1) | instid1(VALU_DEP_1)
	v_pk_fma_f32 v[130:131], v[128:129], v[116:117], v[126:127] op_sel:[0,0,1] op_sel_hi:[1,1,0] neg_lo:[0,0,1] neg_hi:[0,0,1]
	v_pk_fma_f32 v[126:127], v[128:129], v[116:117], v[126:127] op_sel:[0,0,1] op_sel_hi:[1,0,0]
	v_mov_b32_e32 v131, v127
	ds_load_2addr_b64 v[126:129], v120 offset0:31 offset1:32
	v_pk_add_f32 v[28:29], v[28:29], v[130:131] neg_lo:[0,1] neg_hi:[0,1]
	s_wait_dscnt 0x0
	v_pk_mul_f32 v[130:131], v[126:127], v[118:119] op_sel:[0,1]
	s_delay_alu instid0(VALU_DEP_1) | instskip(SKIP_1) | instid1(VALU_DEP_1)
	v_pk_fma_f32 v[132:133], v[126:127], v[116:117], v[130:131] op_sel:[0,0,1] op_sel_hi:[1,1,0] neg_lo:[0,0,1] neg_hi:[0,0,1]
	v_pk_fma_f32 v[126:127], v[126:127], v[116:117], v[130:131] op_sel:[0,0,1] op_sel_hi:[1,0,0]
	v_mov_b32_e32 v133, v127
	v_pk_mul_f32 v[126:127], v[128:129], v[118:119] op_sel:[0,1]
	s_delay_alu instid0(VALU_DEP_2) | instskip(NEXT) | instid1(VALU_DEP_2)
	v_pk_add_f32 v[26:27], v[26:27], v[132:133] neg_lo:[0,1] neg_hi:[0,1]
	v_pk_fma_f32 v[130:131], v[128:129], v[116:117], v[126:127] op_sel:[0,0,1] op_sel_hi:[1,1,0] neg_lo:[0,0,1] neg_hi:[0,0,1]
	v_pk_fma_f32 v[126:127], v[128:129], v[116:117], v[126:127] op_sel:[0,0,1] op_sel_hi:[1,0,0]
	s_delay_alu instid0(VALU_DEP_1) | instskip(SKIP_4) | instid1(VALU_DEP_1)
	v_mov_b32_e32 v131, v127
	ds_load_2addr_b64 v[126:129], v120 offset0:33 offset1:34
	v_pk_add_f32 v[76:77], v[76:77], v[130:131] neg_lo:[0,1] neg_hi:[0,1]
	s_wait_dscnt 0x0
	v_pk_mul_f32 v[130:131], v[126:127], v[118:119] op_sel:[0,1]
	v_pk_fma_f32 v[132:133], v[126:127], v[116:117], v[130:131] op_sel:[0,0,1] op_sel_hi:[1,1,0] neg_lo:[0,0,1] neg_hi:[0,0,1]
	v_pk_fma_f32 v[126:127], v[126:127], v[116:117], v[130:131] op_sel:[0,0,1] op_sel_hi:[1,0,0]
	v_dual_mul_f32 v130, v129, v119 :: v_dual_mov_b32 v126, v129
	s_delay_alu instid0(VALU_DEP_2) | instskip(NEXT) | instid1(VALU_DEP_2)
	v_dual_mov_b32 v133, v127 :: v_dual_mov_b32 v127, v128
	v_pk_fma_f32 v[130:131], v[128:129], v[112:113], v[130:131] op_sel_hi:[1,1,0] neg_lo:[0,0,1] neg_hi:[0,0,1]
	v_mul_f32_e32 v128, v129, v116
	s_delay_alu instid0(VALU_DEP_3) | instskip(NEXT) | instid1(VALU_DEP_2)
	v_pk_add_f32 v[74:75], v[74:75], v[132:133] neg_lo:[0,1] neg_hi:[0,1]
	v_pk_fma_f32 v[126:127], v[126:127], v[112:113], v[128:129] op_sel_hi:[1,1,0]
	s_delay_alu instid0(VALU_DEP_1) | instskip(SKIP_4) | instid1(VALU_DEP_1)
	v_mov_b32_e32 v131, v127
	ds_load_2addr_b64 v[126:129], v120 offset0:35 offset1:36
	v_pk_add_f32 v[22:23], v[22:23], v[130:131] neg_lo:[0,1] neg_hi:[0,1]
	s_wait_dscnt 0x0
	v_pk_mul_f32 v[130:131], v[126:127], v[118:119] op_sel:[0,1]
	v_pk_fma_f32 v[132:133], v[126:127], v[116:117], v[130:131] op_sel:[0,0,1] op_sel_hi:[1,1,0] neg_lo:[0,0,1] neg_hi:[0,0,1]
	v_pk_fma_f32 v[126:127], v[126:127], v[116:117], v[130:131] op_sel:[0,0,1] op_sel_hi:[1,0,0]
	s_delay_alu instid0(VALU_DEP_1) | instskip(SKIP_1) | instid1(VALU_DEP_1)
	v_mov_b32_e32 v133, v127
	v_pk_mul_f32 v[126:127], v[128:129], v[118:119] op_sel:[0,1]
	v_pk_fma_f32 v[130:131], v[128:129], v[116:117], v[126:127] op_sel:[0,0,1] op_sel_hi:[1,1,0] neg_lo:[0,0,1] neg_hi:[0,0,1]
	v_pk_fma_f32 v[126:127], v[128:129], v[116:117], v[126:127] op_sel:[0,0,1] op_sel_hi:[1,0,0]
	s_delay_alu instid0(VALU_DEP_1)
	v_mov_b32_e32 v131, v127
	ds_load_2addr_b64 v[126:129], v120 offset0:37 offset1:38
	v_pk_add_f32 v[20:21], v[20:21], v[132:133] neg_lo:[0,1] neg_hi:[0,1]
	v_pk_add_f32 v[72:73], v[72:73], v[130:131] neg_lo:[0,1] neg_hi:[0,1]
	s_wait_dscnt 0x0
	v_pk_mul_f32 v[130:131], v[126:127], v[118:119] op_sel:[0,1]
	s_delay_alu instid0(VALU_DEP_1) | instskip(SKIP_1) | instid1(VALU_DEP_1)
	v_pk_fma_f32 v[132:133], v[126:127], v[116:117], v[130:131] op_sel:[0,0,1] op_sel_hi:[1,1,0] neg_lo:[0,0,1] neg_hi:[0,0,1]
	v_pk_fma_f32 v[126:127], v[126:127], v[116:117], v[130:131] op_sel:[0,0,1] op_sel_hi:[1,0,0]
	v_mov_b32_e32 v133, v127
	v_pk_mul_f32 v[126:127], v[128:129], v[118:119] op_sel:[0,1]
	s_delay_alu instid0(VALU_DEP_1) | instskip(SKIP_1) | instid1(VALU_DEP_1)
	v_pk_fma_f32 v[130:131], v[128:129], v[116:117], v[126:127] op_sel:[0,0,1] op_sel_hi:[1,1,0] neg_lo:[0,0,1] neg_hi:[0,0,1]
	v_pk_fma_f32 v[126:127], v[128:129], v[116:117], v[126:127] op_sel:[0,0,1] op_sel_hi:[1,0,0]
	v_mov_b32_e32 v131, v127
	ds_load_2addr_b64 v[126:129], v120 offset0:39 offset1:40
	v_pk_add_f32 v[70:71], v[70:71], v[132:133] neg_lo:[0,1] neg_hi:[0,1]
	v_pk_add_f32 v[18:19], v[18:19], v[130:131] neg_lo:[0,1] neg_hi:[0,1]
	s_wait_dscnt 0x0
	v_dual_mul_f32 v130, v127, v119 :: v_dual_mul_f32 v132, v127, v116
	s_delay_alu instid0(VALU_DEP_1) | instskip(NEXT) | instid1(VALU_DEP_2)
	v_pk_fma_f32 v[130:131], v[126:127], v[112:113], v[130:131] op_sel_hi:[1,1,0] neg_lo:[0,0,1] neg_hi:[0,0,1]
	v_pk_fma_f32 v[126:127], v[126:127], v[112:113], v[132:133] op_sel:[1,0,0] op_sel_hi:[0,1,0]
	s_delay_alu instid0(VALU_DEP_1) | instskip(SKIP_1) | instid1(VALU_DEP_2)
	v_mov_b32_e32 v131, v127
	v_pk_mul_f32 v[126:127], v[128:129], v[118:119] op_sel:[0,1]
	v_pk_add_f32 v[16:17], v[16:17], v[130:131] neg_lo:[0,1] neg_hi:[0,1]
	s_delay_alu instid0(VALU_DEP_2) | instskip(SKIP_1) | instid1(VALU_DEP_1)
	v_pk_fma_f32 v[130:131], v[128:129], v[116:117], v[126:127] op_sel:[0,0,1] op_sel_hi:[1,1,0] neg_lo:[0,0,1] neg_hi:[0,0,1]
	v_pk_fma_f32 v[126:127], v[128:129], v[116:117], v[126:127] op_sel:[0,0,1] op_sel_hi:[1,0,0]
	v_mov_b32_e32 v131, v127
	ds_load_2addr_b64 v[126:129], v120 offset0:41 offset1:42
	v_pk_add_f32 v[68:69], v[68:69], v[130:131] neg_lo:[0,1] neg_hi:[0,1]
	s_wait_dscnt 0x0
	v_pk_mul_f32 v[130:131], v[126:127], v[118:119] op_sel:[0,1]
	s_delay_alu instid0(VALU_DEP_1) | instskip(SKIP_1) | instid1(VALU_DEP_1)
	v_pk_fma_f32 v[132:133], v[126:127], v[116:117], v[130:131] op_sel:[0,0,1] op_sel_hi:[1,1,0] neg_lo:[0,0,1] neg_hi:[0,0,1]
	v_pk_fma_f32 v[126:127], v[126:127], v[116:117], v[130:131] op_sel:[0,0,1] op_sel_hi:[1,0,0]
	v_mov_b32_e32 v133, v127
	v_pk_mul_f32 v[126:127], v[128:129], v[118:119] op_sel:[0,1]
	s_delay_alu instid0(VALU_DEP_2) | instskip(NEXT) | instid1(VALU_DEP_2)
	v_pk_add_f32 v[66:67], v[66:67], v[132:133] neg_lo:[0,1] neg_hi:[0,1]
	v_pk_fma_f32 v[130:131], v[128:129], v[116:117], v[126:127] op_sel:[0,0,1] op_sel_hi:[1,1,0] neg_lo:[0,0,1] neg_hi:[0,0,1]
	v_pk_fma_f32 v[126:127], v[128:129], v[116:117], v[126:127] op_sel:[0,0,1] op_sel_hi:[1,0,0]
	s_delay_alu instid0(VALU_DEP_1) | instskip(SKIP_4) | instid1(VALU_DEP_1)
	v_mov_b32_e32 v131, v127
	ds_load_2addr_b64 v[126:129], v120 offset0:43 offset1:44
	v_pk_add_f32 v[14:15], v[14:15], v[130:131] neg_lo:[0,1] neg_hi:[0,1]
	s_wait_dscnt 0x0
	v_pk_mul_f32 v[130:131], v[126:127], v[118:119] op_sel:[0,1]
	v_pk_fma_f32 v[132:133], v[126:127], v[116:117], v[130:131] op_sel:[0,0,1] op_sel_hi:[1,1,0] neg_lo:[0,0,1] neg_hi:[0,0,1]
	v_pk_fma_f32 v[126:127], v[126:127], v[116:117], v[130:131] op_sel:[0,0,1] op_sel_hi:[1,0,0]
	v_dual_mul_f32 v130, v129, v119 :: v_dual_mov_b32 v126, v129
	s_delay_alu instid0(VALU_DEP_2) | instskip(NEXT) | instid1(VALU_DEP_2)
	v_dual_mov_b32 v133, v127 :: v_dual_mov_b32 v127, v128
	v_pk_fma_f32 v[130:131], v[128:129], v[112:113], v[130:131] op_sel_hi:[1,1,0] neg_lo:[0,0,1] neg_hi:[0,0,1]
	v_mul_f32_e32 v128, v129, v116
	s_delay_alu instid0(VALU_DEP_3) | instskip(NEXT) | instid1(VALU_DEP_2)
	v_pk_add_f32 v[12:13], v[12:13], v[132:133] neg_lo:[0,1] neg_hi:[0,1]
	v_pk_fma_f32 v[126:127], v[126:127], v[112:113], v[128:129] op_sel_hi:[1,1,0]
	s_delay_alu instid0(VALU_DEP_1) | instskip(SKIP_4) | instid1(VALU_DEP_1)
	v_mov_b32_e32 v131, v127
	ds_load_2addr_b64 v[126:129], v120 offset0:45 offset1:46
	v_pk_add_f32 v[64:65], v[64:65], v[130:131] neg_lo:[0,1] neg_hi:[0,1]
	s_wait_dscnt 0x0
	v_pk_mul_f32 v[130:131], v[126:127], v[118:119] op_sel:[0,1]
	v_pk_fma_f32 v[132:133], v[126:127], v[116:117], v[130:131] op_sel:[0,0,1] op_sel_hi:[1,1,0] neg_lo:[0,0,1] neg_hi:[0,0,1]
	v_pk_fma_f32 v[126:127], v[126:127], v[116:117], v[130:131] op_sel:[0,0,1] op_sel_hi:[1,0,0]
	s_delay_alu instid0(VALU_DEP_1) | instskip(SKIP_1) | instid1(VALU_DEP_1)
	v_mov_b32_e32 v133, v127
	v_pk_mul_f32 v[126:127], v[128:129], v[118:119] op_sel:[0,1]
	v_pk_fma_f32 v[130:131], v[128:129], v[116:117], v[126:127] op_sel:[0,0,1] op_sel_hi:[1,1,0] neg_lo:[0,0,1] neg_hi:[0,0,1]
	v_pk_fma_f32 v[126:127], v[128:129], v[116:117], v[126:127] op_sel:[0,0,1] op_sel_hi:[1,0,0]
	s_delay_alu instid0(VALU_DEP_1)
	v_mov_b32_e32 v131, v127
	ds_load_2addr_b64 v[126:129], v120 offset0:47 offset1:48
	v_pk_add_f32 v[62:63], v[62:63], v[132:133] neg_lo:[0,1] neg_hi:[0,1]
	v_pk_add_f32 v[10:11], v[10:11], v[130:131] neg_lo:[0,1] neg_hi:[0,1]
	s_wait_dscnt 0x0
	v_pk_mul_f32 v[130:131], v[126:127], v[118:119] op_sel:[0,1]
	s_delay_alu instid0(VALU_DEP_1) | instskip(SKIP_1) | instid1(VALU_DEP_1)
	v_pk_fma_f32 v[132:133], v[126:127], v[116:117], v[130:131] op_sel:[0,0,1] op_sel_hi:[1,1,0] neg_lo:[0,0,1] neg_hi:[0,0,1]
	v_pk_fma_f32 v[126:127], v[126:127], v[116:117], v[130:131] op_sel:[0,0,1] op_sel_hi:[1,0,0]
	v_mov_b32_e32 v133, v127
	v_pk_mul_f32 v[126:127], v[128:129], v[118:119] op_sel:[0,1]
	s_delay_alu instid0(VALU_DEP_1) | instskip(SKIP_1) | instid1(VALU_DEP_1)
	v_pk_fma_f32 v[130:131], v[128:129], v[116:117], v[126:127] op_sel:[0,0,1] op_sel_hi:[1,1,0] neg_lo:[0,0,1] neg_hi:[0,0,1]
	v_pk_fma_f32 v[126:127], v[128:129], v[116:117], v[126:127] op_sel:[0,0,1] op_sel_hi:[1,0,0]
	v_mov_b32_e32 v131, v127
	ds_load_2addr_b64 v[126:129], v120 offset0:49 offset1:50
	v_pk_add_f32 v[6:7], v[6:7], v[132:133] neg_lo:[0,1] neg_hi:[0,1]
	v_pk_add_f32 v[52:53], v[52:53], v[130:131] neg_lo:[0,1] neg_hi:[0,1]
	s_wait_dscnt 0x0
	v_dual_mul_f32 v130, v127, v119 :: v_dual_mul_f32 v132, v127, v116
	s_delay_alu instid0(VALU_DEP_1) | instskip(NEXT) | instid1(VALU_DEP_2)
	v_pk_fma_f32 v[130:131], v[126:127], v[112:113], v[130:131] op_sel_hi:[1,1,0] neg_lo:[0,0,1] neg_hi:[0,0,1]
	v_pk_fma_f32 v[126:127], v[126:127], v[112:113], v[132:133] op_sel:[1,0,0] op_sel_hi:[0,1,0]
	s_delay_alu instid0(VALU_DEP_1) | instskip(SKIP_1) | instid1(VALU_DEP_2)
	v_mov_b32_e32 v131, v127
	v_pk_mul_f32 v[126:127], v[128:129], v[118:119] op_sel:[0,1]
	v_pk_add_f32 v[50:51], v[50:51], v[130:131] neg_lo:[0,1] neg_hi:[0,1]
	s_delay_alu instid0(VALU_DEP_2) | instskip(SKIP_1) | instid1(VALU_DEP_1)
	v_pk_fma_f32 v[130:131], v[128:129], v[116:117], v[126:127] op_sel:[0,0,1] op_sel_hi:[1,1,0] neg_lo:[0,0,1] neg_hi:[0,0,1]
	v_pk_fma_f32 v[126:127], v[128:129], v[116:117], v[126:127] op_sel:[0,0,1] op_sel_hi:[1,0,0]
	v_mov_b32_e32 v131, v127
	ds_load_2addr_b64 v[126:129], v120 offset0:51 offset1:52
	v_pk_add_f32 v[8:9], v[8:9], v[130:131] neg_lo:[0,1] neg_hi:[0,1]
	s_wait_dscnt 0x0
	v_pk_mul_f32 v[130:131], v[126:127], v[118:119] op_sel:[0,1]
	s_delay_alu instid0(VALU_DEP_1) | instskip(SKIP_1) | instid1(VALU_DEP_1)
	v_pk_fma_f32 v[132:133], v[126:127], v[116:117], v[130:131] op_sel:[0,0,1] op_sel_hi:[1,1,0] neg_lo:[0,0,1] neg_hi:[0,0,1]
	v_pk_fma_f32 v[126:127], v[126:127], v[116:117], v[130:131] op_sel:[0,0,1] op_sel_hi:[1,0,0]
	v_mov_b32_e32 v133, v127
	v_pk_mul_f32 v[126:127], v[128:129], v[118:119] op_sel:[0,1]
	s_delay_alu instid0(VALU_DEP_2) | instskip(NEXT) | instid1(VALU_DEP_2)
	v_pk_add_f32 v[30:31], v[30:31], v[132:133] neg_lo:[0,1] neg_hi:[0,1]
	v_pk_fma_f32 v[130:131], v[128:129], v[116:117], v[126:127] op_sel:[0,0,1] op_sel_hi:[1,1,0] neg_lo:[0,0,1] neg_hi:[0,0,1]
	v_pk_fma_f32 v[126:127], v[128:129], v[116:117], v[126:127] op_sel:[0,0,1] op_sel_hi:[1,0,0]
	s_delay_alu instid0(VALU_DEP_1)
	v_mov_b32_e32 v131, v127
	ds_load_2addr_b64 v[126:129], v120 offset0:53 offset1:54
	v_pk_add_f32 v[34:35], v[34:35], v[130:131] neg_lo:[0,1] neg_hi:[0,1]
	s_wait_dscnt 0x0
	v_pk_mul_f32 v[130:131], v[126:127], v[118:119] op_sel:[0,1]
	v_mul_f32_e32 v118, v129, v119
	s_delay_alu instid0(VALU_DEP_2) | instskip(SKIP_2) | instid1(VALU_DEP_4)
	v_pk_fma_f32 v[132:133], v[126:127], v[116:117], v[130:131] op_sel:[0,0,1] op_sel_hi:[1,1,0] neg_lo:[0,0,1] neg_hi:[0,0,1]
	v_pk_fma_f32 v[126:127], v[126:127], v[116:117], v[130:131] op_sel:[0,0,1] op_sel_hi:[1,0,0]
	v_dual_mov_b32 v126, v129 :: v_dual_mul_f32 v116, v129, v116
	v_pk_fma_f32 v[118:119], v[128:129], v[112:113], v[118:119] op_sel_hi:[1,1,0] neg_lo:[0,0,1] neg_hi:[0,0,1]
	s_delay_alu instid0(VALU_DEP_3) | instskip(NEXT) | instid1(VALU_DEP_1)
	v_dual_mov_b32 v133, v127 :: v_dual_mov_b32 v127, v128
	v_pk_add_f32 v[24:25], v[24:25], v[132:133] neg_lo:[0,1] neg_hi:[0,1]
	s_delay_alu instid0(VALU_DEP_2) | instskip(NEXT) | instid1(VALU_DEP_1)
	v_pk_fma_f32 v[116:117], v[126:127], v[112:113], v[116:117] op_sel_hi:[1,1,0]
	v_mov_b32_e32 v119, v117
	s_delay_alu instid0(VALU_DEP_1)
	v_pk_add_f32 v[114:115], v[114:115], v[118:119] neg_lo:[0,1] neg_hi:[0,1]
.LBB108_22:
	s_or_b32 exec_lo, exec_lo, s0
	v_lshl_add_u32 v116, v124, 3, v120
	s_barrier_signal -1
	s_barrier_wait -1
	ds_store_b64 v116, v[110:111]
	s_wait_dscnt 0x0
	s_barrier_signal -1
	s_barrier_wait -1
	ds_load_b64 v[118:119], v120 offset:8
	v_mov_b32_e32 v116, 1
	s_cmp_lt_i32 s18, 3
	s_cbranch_scc1 .LBB108_25
; %bb.23:
	v_add3_u32 v117, v121, 0, 16
	v_mov_b32_e32 v116, 1
	s_mov_b32 s0, 2
.LBB108_24:                             ; =>This Inner Loop Header: Depth=1
	ds_load_b64 v[126:127], v117
	s_wait_dscnt 0x1
	v_cmp_gt_f32_e32 vcc_lo, 0, v118
	v_cndmask_b32_e64 v128, v118, -v118, vcc_lo
	v_cmp_gt_f32_e32 vcc_lo, 0, v119
	v_cndmask_b32_e64 v130, v119, -v119, vcc_lo
	s_wait_dscnt 0x0
	v_cmp_gt_f32_e32 vcc_lo, 0, v126
	v_cndmask_b32_e64 v129, v126, -v126, vcc_lo
	v_cmp_gt_f32_e32 vcc_lo, 0, v127
	v_cndmask_b32_e64 v131, v127, -v127, vcc_lo
	s_delay_alu instid0(VALU_DEP_1) | instskip(NEXT) | instid1(VALU_DEP_1)
	v_pk_add_f32 v[128:129], v[128:129], v[130:131]
	v_cmp_lt_f32_e32 vcc_lo, v128, v129
	v_dual_add_nc_u32 v117, 8, v117 :: v_dual_cndmask_b32 v119, v119, v127, vcc_lo
	v_cndmask_b32_e32 v118, v118, v126, vcc_lo
	v_cndmask_b32_e64 v116, v116, s0, vcc_lo
	s_add_co_i32 s0, s0, 1
	s_delay_alu instid0(SALU_CYCLE_1)
	s_cmp_lg_u32 s18, s0
	s_cbranch_scc1 .LBB108_24
.LBB108_25:
	s_wait_dscnt 0x0
	v_cmp_neq_f32_e32 vcc_lo, 0, v118
	v_cmp_neq_f32_e64 s0, 0, v119
	s_or_b32 s1, vcc_lo, s0
	s_delay_alu instid0(SALU_CYCLE_1)
	s_and_saveexec_b32 s0, s1
	s_cbranch_execz .LBB108_31
; %bb.26:
	v_cmp_ngt_f32_e64 s1, |v118|, |v119|
	s_and_saveexec_b32 s12, s1
	s_delay_alu instid0(SALU_CYCLE_1)
	s_xor_b32 s1, exec_lo, s12
	s_cbranch_execz .LBB108_28
; %bb.27:
	v_div_scale_f32 v117, null, v119, v119, v118
	v_div_scale_f32 v127, vcc_lo, v118, v119, v118
	s_delay_alu instid0(VALU_DEP_2) | instskip(SKIP_1) | instid1(TRANS32_DEP_1)
	v_rcp_f32_e32 v122, v117
	v_nop
	v_fma_f32 v126, -v117, v122, 1.0
	s_delay_alu instid0(VALU_DEP_1) | instskip(NEXT) | instid1(VALU_DEP_1)
	v_fmac_f32_e32 v122, v126, v122
	v_mul_f32_e32 v126, v127, v122
	s_delay_alu instid0(VALU_DEP_1) | instskip(NEXT) | instid1(VALU_DEP_1)
	v_fma_f32 v128, -v117, v126, v127
	v_fmac_f32_e32 v126, v128, v122
	s_delay_alu instid0(VALU_DEP_1) | instskip(NEXT) | instid1(VALU_DEP_1)
	v_fma_f32 v117, -v117, v126, v127
	v_div_fmas_f32 v117, v117, v122, v126
	s_delay_alu instid0(VALU_DEP_1) | instskip(NEXT) | instid1(VALU_DEP_1)
	v_div_fixup_f32 v117, v117, v119, v118
	v_fmac_f32_e32 v119, v118, v117
	s_delay_alu instid0(VALU_DEP_1) | instskip(SKIP_1) | instid1(VALU_DEP_2)
	v_div_scale_f32 v118, null, v119, v119, 1.0
	v_div_scale_f32 v127, vcc_lo, 1.0, v119, 1.0
	v_rcp_f32_e32 v122, v118
	v_nop
	s_delay_alu instid0(TRANS32_DEP_1) | instskip(NEXT) | instid1(VALU_DEP_1)
	v_fma_f32 v126, -v118, v122, 1.0
	v_fmac_f32_e32 v122, v126, v122
	s_delay_alu instid0(VALU_DEP_1) | instskip(NEXT) | instid1(VALU_DEP_1)
	v_mul_f32_e32 v126, v127, v122
	v_fma_f32 v128, -v118, v126, v127
	s_delay_alu instid0(VALU_DEP_1) | instskip(NEXT) | instid1(VALU_DEP_1)
	v_fmac_f32_e32 v126, v128, v122
	v_fma_f32 v118, -v118, v126, v127
	s_delay_alu instid0(VALU_DEP_1) | instskip(NEXT) | instid1(VALU_DEP_1)
	v_div_fmas_f32 v118, v118, v122, v126
	v_div_fixup_f32 v119, v118, v119, 1.0
	s_delay_alu instid0(VALU_DEP_1)
	v_mul_f32_e32 v118, v117, v119
	v_xor_b32_e32 v119, 0x80000000, v119
.LBB108_28:
	s_and_not1_saveexec_b32 s1, s1
	s_cbranch_execz .LBB108_30
; %bb.29:
	s_delay_alu instid0(VALU_DEP_1) | instskip(SKIP_1) | instid1(VALU_DEP_2)
	v_div_scale_f32 v117, null, v118, v118, v119
	v_div_scale_f32 v127, vcc_lo, v119, v118, v119
	v_rcp_f32_e32 v122, v117
	v_nop
	s_delay_alu instid0(TRANS32_DEP_1) | instskip(NEXT) | instid1(VALU_DEP_1)
	v_fma_f32 v126, -v117, v122, 1.0
	v_fmac_f32_e32 v122, v126, v122
	s_delay_alu instid0(VALU_DEP_1) | instskip(NEXT) | instid1(VALU_DEP_1)
	v_mul_f32_e32 v126, v127, v122
	v_fma_f32 v128, -v117, v126, v127
	s_delay_alu instid0(VALU_DEP_1) | instskip(NEXT) | instid1(VALU_DEP_1)
	v_fmac_f32_e32 v126, v128, v122
	v_fma_f32 v117, -v117, v126, v127
	s_delay_alu instid0(VALU_DEP_1) | instskip(NEXT) | instid1(VALU_DEP_1)
	v_div_fmas_f32 v117, v117, v122, v126
	v_div_fixup_f32 v117, v117, v118, v119
	s_delay_alu instid0(VALU_DEP_1) | instskip(NEXT) | instid1(VALU_DEP_1)
	v_fmac_f32_e32 v118, v119, v117
	v_div_scale_f32 v119, null, v118, v118, 1.0
	s_delay_alu instid0(VALU_DEP_1) | instskip(SKIP_1) | instid1(TRANS32_DEP_1)
	v_rcp_f32_e32 v122, v119
	v_nop
	v_fma_f32 v126, -v119, v122, 1.0
	s_delay_alu instid0(VALU_DEP_1) | instskip(SKIP_1) | instid1(VALU_DEP_1)
	v_fmac_f32_e32 v122, v126, v122
	v_div_scale_f32 v126, vcc_lo, 1.0, v118, 1.0
	v_mul_f32_e32 v127, v126, v122
	s_delay_alu instid0(VALU_DEP_1) | instskip(NEXT) | instid1(VALU_DEP_1)
	v_fma_f32 v128, -v119, v127, v126
	v_fmac_f32_e32 v127, v128, v122
	s_delay_alu instid0(VALU_DEP_1) | instskip(NEXT) | instid1(VALU_DEP_1)
	v_fma_f32 v119, -v119, v127, v126
	v_div_fmas_f32 v119, v119, v122, v127
	s_delay_alu instid0(VALU_DEP_1) | instskip(NEXT) | instid1(VALU_DEP_1)
	v_div_fixup_f32 v118, v119, v118, 1.0
	v_mul_f32_e64 v119, v117, -v118
.LBB108_30:
	s_or_b32 exec_lo, exec_lo, s1
	v_mov_b32_e32 v122, v125
.LBB108_31:
	s_or_b32 exec_lo, exec_lo, s0
	s_delay_alu instid0(SALU_CYCLE_1)
	s_mov_b32 s0, exec_lo
	v_cmpx_ne_u32_e64 v124, v116
	s_xor_b32 s0, exec_lo, s0
	s_cbranch_execz .LBB108_37
; %bb.32:
	s_mov_b32 s1, exec_lo
	v_cmpx_eq_u32_e32 1, v124
	s_cbranch_execz .LBB108_36
; %bb.33:
	v_cmp_ne_u32_e32 vcc_lo, 1, v116
	s_xor_b32 s12, s16, -1
	s_delay_alu instid0(SALU_CYCLE_1) | instskip(NEXT) | instid1(SALU_CYCLE_1)
	s_and_b32 s13, s12, vcc_lo
	s_and_saveexec_b32 s12, s13
	s_cbranch_execz .LBB108_35
; %bb.34:
	v_ashrrev_i32_e32 v117, 31, v116
	s_delay_alu instid0(VALU_DEP_1)
	v_lshl_add_u64 v[124:125], v[116:117], 2, v[4:5]
	s_clause 0x1
	global_load_b32 v117, v[124:125], off
	global_load_b32 v123, v[4:5], off offset:4
	s_wait_loadcnt 0x1
	global_store_b32 v[4:5], v117, off offset:4
	s_wait_loadcnt 0x0
	global_store_b32 v[124:125], v123, off
.LBB108_35:
	s_wait_xcnt 0x0
	s_or_b32 exec_lo, exec_lo, s12
	v_dual_mov_b32 v124, v116 :: v_dual_mov_b32 v123, v116
.LBB108_36:
	s_or_b32 exec_lo, exec_lo, s1
.LBB108_37:
	s_and_not1_saveexec_b32 s0, s0
	s_cbranch_execz .LBB108_39
; %bb.38:
	v_dual_mov_b32 v116, v108 :: v_dual_mov_b32 v117, v109
	v_dual_mov_b32 v124, v106 :: v_dual_mov_b32 v125, v107
	ds_store_2addr_b64 v120, v[116:117], v[124:125] offset0:2 offset1:3
	v_dual_mov_b32 v116, v96 :: v_dual_mov_b32 v117, v97
	v_dual_mov_b32 v124, v94 :: v_dual_mov_b32 v125, v95
	ds_store_2addr_b64 v120, v[116:117], v[124:125] offset0:4 offset1:5
	;; [unrolled: 3-line block ×26, first 2 shown]
	ds_store_b64 v120, v[114:115] offset:432
	v_mov_b32_e32 v124, 1
.LBB108_39:
	s_or_b32 exec_lo, exec_lo, s0
	s_delay_alu instid0(SALU_CYCLE_1)
	s_mov_b32 s0, exec_lo
	s_wait_storecnt_dscnt 0x0
	s_barrier_signal -1
	s_barrier_wait -1
	v_cmpx_lt_i32_e32 1, v124
	s_cbranch_execz .LBB108_41
; %bb.40:
	v_pk_mul_f32 v[126:127], v[118:119], v[110:111] op_sel:[1,1] op_sel_hi:[0,1]
	s_delay_alu instid0(VALU_DEP_1)
	v_pk_fma_f32 v[116:117], v[118:119], v[110:111], v[126:127] op_sel_hi:[1,0,1] neg_lo:[0,0,1] neg_hi:[0,0,1]
	v_pk_fma_f32 v[118:119], v[118:119], v[110:111], v[126:127] op_sel_hi:[1,0,1]
	ds_load_2addr_b64 v[126:129], v120 offset0:2 offset1:3
	v_dual_mov_b32 v110, v116 :: v_dual_mov_b32 v111, v119
	s_wait_dscnt 0x0
	v_pk_mul_f32 v[130:131], v[126:127], v[118:119] op_sel:[0,1]
	s_delay_alu instid0(VALU_DEP_1) | instskip(SKIP_1) | instid1(VALU_DEP_1)
	v_pk_fma_f32 v[132:133], v[126:127], v[116:117], v[130:131] op_sel:[0,0,1] op_sel_hi:[1,1,0] neg_lo:[0,0,1] neg_hi:[0,0,1]
	v_pk_fma_f32 v[126:127], v[126:127], v[116:117], v[130:131] op_sel:[0,0,1] op_sel_hi:[1,0,0]
	v_mov_b32_e32 v133, v127
	v_pk_mul_f32 v[126:127], v[128:129], v[118:119] op_sel:[0,1]
	s_delay_alu instid0(VALU_DEP_1) | instskip(SKIP_1) | instid1(VALU_DEP_1)
	v_pk_fma_f32 v[130:131], v[128:129], v[116:117], v[126:127] op_sel:[0,0,1] op_sel_hi:[1,1,0] neg_lo:[0,0,1] neg_hi:[0,0,1]
	v_pk_fma_f32 v[126:127], v[128:129], v[116:117], v[126:127] op_sel:[0,0,1] op_sel_hi:[1,0,0]
	v_mov_b32_e32 v131, v127
	ds_load_2addr_b64 v[126:129], v120 offset0:4 offset1:5
	v_pk_add_f32 v[108:109], v[108:109], v[132:133] neg_lo:[0,1] neg_hi:[0,1]
	v_pk_add_f32 v[106:107], v[106:107], v[130:131] neg_lo:[0,1] neg_hi:[0,1]
	s_wait_dscnt 0x0
	v_pk_mul_f32 v[130:131], v[126:127], v[118:119] op_sel:[0,1]
	s_delay_alu instid0(VALU_DEP_1) | instskip(SKIP_2) | instid1(VALU_DEP_2)
	v_pk_fma_f32 v[132:133], v[126:127], v[116:117], v[130:131] op_sel:[0,0,1] op_sel_hi:[1,1,0] neg_lo:[0,0,1] neg_hi:[0,0,1]
	v_pk_fma_f32 v[126:127], v[126:127], v[116:117], v[130:131] op_sel:[0,0,1] op_sel_hi:[1,0,0]
	v_dual_mul_f32 v130, v129, v119 :: v_dual_mov_b32 v126, v129
	v_dual_mov_b32 v133, v127 :: v_dual_mov_b32 v127, v128
	s_delay_alu instid0(VALU_DEP_2) | instskip(SKIP_1) | instid1(VALU_DEP_3)
	v_pk_fma_f32 v[130:131], v[128:129], v[110:111], v[130:131] op_sel_hi:[1,1,0] neg_lo:[0,0,1] neg_hi:[0,0,1]
	v_mul_f32_e32 v128, v129, v116
	v_pk_add_f32 v[96:97], v[96:97], v[132:133] neg_lo:[0,1] neg_hi:[0,1]
	s_delay_alu instid0(VALU_DEP_2) | instskip(NEXT) | instid1(VALU_DEP_1)
	v_pk_fma_f32 v[126:127], v[126:127], v[110:111], v[128:129] op_sel_hi:[1,1,0]
	v_mov_b32_e32 v131, v127
	ds_load_2addr_b64 v[126:129], v120 offset0:6 offset1:7
	v_pk_add_f32 v[94:95], v[94:95], v[130:131] neg_lo:[0,1] neg_hi:[0,1]
	s_wait_dscnt 0x0
	v_pk_mul_f32 v[130:131], v[126:127], v[118:119] op_sel:[0,1]
	s_delay_alu instid0(VALU_DEP_1) | instskip(SKIP_1) | instid1(VALU_DEP_1)
	v_pk_fma_f32 v[132:133], v[126:127], v[116:117], v[130:131] op_sel:[0,0,1] op_sel_hi:[1,1,0] neg_lo:[0,0,1] neg_hi:[0,0,1]
	v_pk_fma_f32 v[126:127], v[126:127], v[116:117], v[130:131] op_sel:[0,0,1] op_sel_hi:[1,0,0]
	v_mov_b32_e32 v133, v127
	v_pk_mul_f32 v[126:127], v[128:129], v[118:119] op_sel:[0,1]
	s_delay_alu instid0(VALU_DEP_1) | instskip(SKIP_1) | instid1(VALU_DEP_1)
	v_pk_fma_f32 v[130:131], v[128:129], v[116:117], v[126:127] op_sel:[0,0,1] op_sel_hi:[1,1,0] neg_lo:[0,0,1] neg_hi:[0,0,1]
	v_pk_fma_f32 v[126:127], v[128:129], v[116:117], v[126:127] op_sel:[0,0,1] op_sel_hi:[1,0,0]
	v_mov_b32_e32 v131, v127
	ds_load_2addr_b64 v[126:129], v120 offset0:8 offset1:9
	v_pk_add_f32 v[48:49], v[48:49], v[132:133] neg_lo:[0,1] neg_hi:[0,1]
	v_pk_add_f32 v[46:47], v[46:47], v[130:131] neg_lo:[0,1] neg_hi:[0,1]
	s_wait_dscnt 0x0
	v_pk_mul_f32 v[130:131], v[126:127], v[118:119] op_sel:[0,1]
	s_delay_alu instid0(VALU_DEP_1) | instskip(SKIP_1) | instid1(VALU_DEP_1)
	v_pk_fma_f32 v[132:133], v[126:127], v[116:117], v[130:131] op_sel:[0,0,1] op_sel_hi:[1,1,0] neg_lo:[0,0,1] neg_hi:[0,0,1]
	v_pk_fma_f32 v[126:127], v[126:127], v[116:117], v[130:131] op_sel:[0,0,1] op_sel_hi:[1,0,0]
	v_mov_b32_e32 v133, v127
	v_pk_mul_f32 v[126:127], v[128:129], v[118:119] op_sel:[0,1]
	s_delay_alu instid0(VALU_DEP_1) | instskip(SKIP_1) | instid1(VALU_DEP_1)
	v_pk_fma_f32 v[130:131], v[128:129], v[116:117], v[126:127] op_sel:[0,0,1] op_sel_hi:[1,1,0] neg_lo:[0,0,1] neg_hi:[0,0,1]
	v_pk_fma_f32 v[126:127], v[128:129], v[116:117], v[126:127] op_sel:[0,0,1] op_sel_hi:[1,0,0]
	v_mov_b32_e32 v131, v127
	ds_load_2addr_b64 v[126:129], v120 offset0:10 offset1:11
	v_pk_add_f32 v[104:105], v[104:105], v[132:133] neg_lo:[0,1] neg_hi:[0,1]
	v_pk_add_f32 v[102:103], v[102:103], v[130:131] neg_lo:[0,1] neg_hi:[0,1]
	s_wait_dscnt 0x0
	v_dual_mul_f32 v130, v127, v119 :: v_dual_mul_f32 v132, v127, v116
	s_delay_alu instid0(VALU_DEP_1) | instskip(NEXT) | instid1(VALU_DEP_2)
	v_pk_fma_f32 v[130:131], v[126:127], v[110:111], v[130:131] op_sel_hi:[1,1,0] neg_lo:[0,0,1] neg_hi:[0,0,1]
	v_pk_fma_f32 v[126:127], v[126:127], v[110:111], v[132:133] op_sel:[1,0,0] op_sel_hi:[0,1,0]
	s_delay_alu instid0(VALU_DEP_1) | instskip(SKIP_1) | instid1(VALU_DEP_2)
	v_mov_b32_e32 v131, v127
	v_pk_mul_f32 v[126:127], v[128:129], v[118:119] op_sel:[0,1]
	v_pk_add_f32 v[60:61], v[60:61], v[130:131] neg_lo:[0,1] neg_hi:[0,1]
	s_delay_alu instid0(VALU_DEP_2) | instskip(SKIP_1) | instid1(VALU_DEP_1)
	v_pk_fma_f32 v[130:131], v[128:129], v[116:117], v[126:127] op_sel:[0,0,1] op_sel_hi:[1,1,0] neg_lo:[0,0,1] neg_hi:[0,0,1]
	v_pk_fma_f32 v[126:127], v[128:129], v[116:117], v[126:127] op_sel:[0,0,1] op_sel_hi:[1,0,0]
	v_mov_b32_e32 v131, v127
	ds_load_2addr_b64 v[126:129], v120 offset0:12 offset1:13
	v_pk_add_f32 v[58:59], v[58:59], v[130:131] neg_lo:[0,1] neg_hi:[0,1]
	s_wait_dscnt 0x0
	v_pk_mul_f32 v[130:131], v[126:127], v[118:119] op_sel:[0,1]
	s_delay_alu instid0(VALU_DEP_1) | instskip(SKIP_1) | instid1(VALU_DEP_1)
	v_pk_fma_f32 v[132:133], v[126:127], v[116:117], v[130:131] op_sel:[0,0,1] op_sel_hi:[1,1,0] neg_lo:[0,0,1] neg_hi:[0,0,1]
	v_pk_fma_f32 v[126:127], v[126:127], v[116:117], v[130:131] op_sel:[0,0,1] op_sel_hi:[1,0,0]
	v_mov_b32_e32 v133, v127
	v_pk_mul_f32 v[126:127], v[128:129], v[118:119] op_sel:[0,1]
	s_delay_alu instid0(VALU_DEP_2) | instskip(NEXT) | instid1(VALU_DEP_2)
	v_pk_add_f32 v[100:101], v[100:101], v[132:133] neg_lo:[0,1] neg_hi:[0,1]
	v_pk_fma_f32 v[130:131], v[128:129], v[116:117], v[126:127] op_sel:[0,0,1] op_sel_hi:[1,1,0] neg_lo:[0,0,1] neg_hi:[0,0,1]
	v_pk_fma_f32 v[126:127], v[128:129], v[116:117], v[126:127] op_sel:[0,0,1] op_sel_hi:[1,0,0]
	s_delay_alu instid0(VALU_DEP_1) | instskip(SKIP_4) | instid1(VALU_DEP_1)
	v_mov_b32_e32 v131, v127
	ds_load_2addr_b64 v[126:129], v120 offset0:14 offset1:15
	v_pk_add_f32 v[98:99], v[98:99], v[130:131] neg_lo:[0,1] neg_hi:[0,1]
	s_wait_dscnt 0x0
	v_pk_mul_f32 v[130:131], v[126:127], v[118:119] op_sel:[0,1]
	v_pk_fma_f32 v[132:133], v[126:127], v[116:117], v[130:131] op_sel:[0,0,1] op_sel_hi:[1,1,0] neg_lo:[0,0,1] neg_hi:[0,0,1]
	v_pk_fma_f32 v[126:127], v[126:127], v[116:117], v[130:131] op_sel:[0,0,1] op_sel_hi:[1,0,0]
	v_dual_mul_f32 v130, v129, v119 :: v_dual_mov_b32 v126, v129
	s_delay_alu instid0(VALU_DEP_2) | instskip(NEXT) | instid1(VALU_DEP_2)
	v_dual_mov_b32 v133, v127 :: v_dual_mov_b32 v127, v128
	v_pk_fma_f32 v[130:131], v[128:129], v[110:111], v[130:131] op_sel_hi:[1,1,0] neg_lo:[0,0,1] neg_hi:[0,0,1]
	v_mul_f32_e32 v128, v129, v116
	s_delay_alu instid0(VALU_DEP_3) | instskip(NEXT) | instid1(VALU_DEP_2)
	v_pk_add_f32 v[56:57], v[56:57], v[132:133] neg_lo:[0,1] neg_hi:[0,1]
	v_pk_fma_f32 v[126:127], v[126:127], v[110:111], v[128:129] op_sel_hi:[1,1,0]
	s_delay_alu instid0(VALU_DEP_1) | instskip(SKIP_4) | instid1(VALU_DEP_1)
	v_mov_b32_e32 v131, v127
	ds_load_2addr_b64 v[126:129], v120 offset0:16 offset1:17
	v_pk_add_f32 v[54:55], v[54:55], v[130:131] neg_lo:[0,1] neg_hi:[0,1]
	s_wait_dscnt 0x0
	v_pk_mul_f32 v[130:131], v[126:127], v[118:119] op_sel:[0,1]
	v_pk_fma_f32 v[132:133], v[126:127], v[116:117], v[130:131] op_sel:[0,0,1] op_sel_hi:[1,1,0] neg_lo:[0,0,1] neg_hi:[0,0,1]
	v_pk_fma_f32 v[126:127], v[126:127], v[116:117], v[130:131] op_sel:[0,0,1] op_sel_hi:[1,0,0]
	s_delay_alu instid0(VALU_DEP_1) | instskip(SKIP_1) | instid1(VALU_DEP_1)
	v_mov_b32_e32 v133, v127
	v_pk_mul_f32 v[126:127], v[128:129], v[118:119] op_sel:[0,1]
	v_pk_fma_f32 v[130:131], v[128:129], v[116:117], v[126:127] op_sel:[0,0,1] op_sel_hi:[1,1,0] neg_lo:[0,0,1] neg_hi:[0,0,1]
	v_pk_fma_f32 v[126:127], v[128:129], v[116:117], v[126:127] op_sel:[0,0,1] op_sel_hi:[1,0,0]
	s_delay_alu instid0(VALU_DEP_1)
	v_mov_b32_e32 v131, v127
	ds_load_2addr_b64 v[126:129], v120 offset0:18 offset1:19
	v_pk_add_f32 v[92:93], v[92:93], v[132:133] neg_lo:[0,1] neg_hi:[0,1]
	v_pk_add_f32 v[90:91], v[90:91], v[130:131] neg_lo:[0,1] neg_hi:[0,1]
	s_wait_dscnt 0x0
	v_pk_mul_f32 v[130:131], v[126:127], v[118:119] op_sel:[0,1]
	s_delay_alu instid0(VALU_DEP_1) | instskip(SKIP_1) | instid1(VALU_DEP_1)
	v_pk_fma_f32 v[132:133], v[126:127], v[116:117], v[130:131] op_sel:[0,0,1] op_sel_hi:[1,1,0] neg_lo:[0,0,1] neg_hi:[0,0,1]
	v_pk_fma_f32 v[126:127], v[126:127], v[116:117], v[130:131] op_sel:[0,0,1] op_sel_hi:[1,0,0]
	v_mov_b32_e32 v133, v127
	v_pk_mul_f32 v[126:127], v[128:129], v[118:119] op_sel:[0,1]
	s_delay_alu instid0(VALU_DEP_1) | instskip(SKIP_1) | instid1(VALU_DEP_1)
	v_pk_fma_f32 v[130:131], v[128:129], v[116:117], v[126:127] op_sel:[0,0,1] op_sel_hi:[1,1,0] neg_lo:[0,0,1] neg_hi:[0,0,1]
	v_pk_fma_f32 v[126:127], v[128:129], v[116:117], v[126:127] op_sel:[0,0,1] op_sel_hi:[1,0,0]
	v_mov_b32_e32 v131, v127
	ds_load_2addr_b64 v[126:129], v120 offset0:20 offset1:21
	v_pk_add_f32 v[44:45], v[44:45], v[132:133] neg_lo:[0,1] neg_hi:[0,1]
	v_pk_add_f32 v[42:43], v[42:43], v[130:131] neg_lo:[0,1] neg_hi:[0,1]
	s_wait_dscnt 0x0
	v_dual_mul_f32 v130, v127, v119 :: v_dual_mul_f32 v132, v127, v116
	s_delay_alu instid0(VALU_DEP_1) | instskip(NEXT) | instid1(VALU_DEP_2)
	v_pk_fma_f32 v[130:131], v[126:127], v[110:111], v[130:131] op_sel_hi:[1,1,0] neg_lo:[0,0,1] neg_hi:[0,0,1]
	v_pk_fma_f32 v[126:127], v[126:127], v[110:111], v[132:133] op_sel:[1,0,0] op_sel_hi:[0,1,0]
	s_delay_alu instid0(VALU_DEP_1) | instskip(SKIP_1) | instid1(VALU_DEP_2)
	v_mov_b32_e32 v131, v127
	v_pk_mul_f32 v[126:127], v[128:129], v[118:119] op_sel:[0,1]
	v_pk_add_f32 v[88:89], v[88:89], v[130:131] neg_lo:[0,1] neg_hi:[0,1]
	s_delay_alu instid0(VALU_DEP_2) | instskip(SKIP_1) | instid1(VALU_DEP_1)
	v_pk_fma_f32 v[130:131], v[128:129], v[116:117], v[126:127] op_sel:[0,0,1] op_sel_hi:[1,1,0] neg_lo:[0,0,1] neg_hi:[0,0,1]
	v_pk_fma_f32 v[126:127], v[128:129], v[116:117], v[126:127] op_sel:[0,0,1] op_sel_hi:[1,0,0]
	v_mov_b32_e32 v131, v127
	ds_load_2addr_b64 v[126:129], v120 offset0:22 offset1:23
	v_pk_add_f32 v[86:87], v[86:87], v[130:131] neg_lo:[0,1] neg_hi:[0,1]
	s_wait_dscnt 0x0
	v_pk_mul_f32 v[130:131], v[126:127], v[118:119] op_sel:[0,1]
	s_delay_alu instid0(VALU_DEP_1) | instskip(SKIP_1) | instid1(VALU_DEP_1)
	v_pk_fma_f32 v[132:133], v[126:127], v[116:117], v[130:131] op_sel:[0,0,1] op_sel_hi:[1,1,0] neg_lo:[0,0,1] neg_hi:[0,0,1]
	v_pk_fma_f32 v[126:127], v[126:127], v[116:117], v[130:131] op_sel:[0,0,1] op_sel_hi:[1,0,0]
	v_mov_b32_e32 v133, v127
	v_pk_mul_f32 v[126:127], v[128:129], v[118:119] op_sel:[0,1]
	s_delay_alu instid0(VALU_DEP_2) | instskip(NEXT) | instid1(VALU_DEP_2)
	v_pk_add_f32 v[40:41], v[40:41], v[132:133] neg_lo:[0,1] neg_hi:[0,1]
	v_pk_fma_f32 v[130:131], v[128:129], v[116:117], v[126:127] op_sel:[0,0,1] op_sel_hi:[1,1,0] neg_lo:[0,0,1] neg_hi:[0,0,1]
	v_pk_fma_f32 v[126:127], v[128:129], v[116:117], v[126:127] op_sel:[0,0,1] op_sel_hi:[1,0,0]
	s_delay_alu instid0(VALU_DEP_1) | instskip(SKIP_4) | instid1(VALU_DEP_1)
	v_mov_b32_e32 v131, v127
	ds_load_2addr_b64 v[126:129], v120 offset0:24 offset1:25
	v_pk_add_f32 v[38:39], v[38:39], v[130:131] neg_lo:[0,1] neg_hi:[0,1]
	s_wait_dscnt 0x0
	v_pk_mul_f32 v[130:131], v[126:127], v[118:119] op_sel:[0,1]
	v_pk_fma_f32 v[132:133], v[126:127], v[116:117], v[130:131] op_sel:[0,0,1] op_sel_hi:[1,1,0] neg_lo:[0,0,1] neg_hi:[0,0,1]
	v_pk_fma_f32 v[126:127], v[126:127], v[116:117], v[130:131] op_sel:[0,0,1] op_sel_hi:[1,0,0]
	v_dual_mul_f32 v130, v129, v119 :: v_dual_mov_b32 v126, v129
	s_delay_alu instid0(VALU_DEP_2) | instskip(NEXT) | instid1(VALU_DEP_2)
	v_dual_mov_b32 v133, v127 :: v_dual_mov_b32 v127, v128
	v_pk_fma_f32 v[130:131], v[128:129], v[110:111], v[130:131] op_sel_hi:[1,1,0] neg_lo:[0,0,1] neg_hi:[0,0,1]
	v_mul_f32_e32 v128, v129, v116
	s_delay_alu instid0(VALU_DEP_3) | instskip(NEXT) | instid1(VALU_DEP_2)
	v_pk_add_f32 v[84:85], v[84:85], v[132:133] neg_lo:[0,1] neg_hi:[0,1]
	v_pk_fma_f32 v[126:127], v[126:127], v[110:111], v[128:129] op_sel_hi:[1,1,0]
	s_delay_alu instid0(VALU_DEP_1) | instskip(SKIP_4) | instid1(VALU_DEP_1)
	v_mov_b32_e32 v131, v127
	ds_load_2addr_b64 v[126:129], v120 offset0:26 offset1:27
	v_pk_add_f32 v[82:83], v[82:83], v[130:131] neg_lo:[0,1] neg_hi:[0,1]
	s_wait_dscnt 0x0
	v_pk_mul_f32 v[130:131], v[126:127], v[118:119] op_sel:[0,1]
	v_pk_fma_f32 v[132:133], v[126:127], v[116:117], v[130:131] op_sel:[0,0,1] op_sel_hi:[1,1,0] neg_lo:[0,0,1] neg_hi:[0,0,1]
	v_pk_fma_f32 v[126:127], v[126:127], v[116:117], v[130:131] op_sel:[0,0,1] op_sel_hi:[1,0,0]
	s_delay_alu instid0(VALU_DEP_1) | instskip(SKIP_1) | instid1(VALU_DEP_1)
	v_mov_b32_e32 v133, v127
	v_pk_mul_f32 v[126:127], v[128:129], v[118:119] op_sel:[0,1]
	v_pk_fma_f32 v[130:131], v[128:129], v[116:117], v[126:127] op_sel:[0,0,1] op_sel_hi:[1,1,0] neg_lo:[0,0,1] neg_hi:[0,0,1]
	v_pk_fma_f32 v[126:127], v[128:129], v[116:117], v[126:127] op_sel:[0,0,1] op_sel_hi:[1,0,0]
	s_delay_alu instid0(VALU_DEP_1)
	v_mov_b32_e32 v131, v127
	ds_load_2addr_b64 v[126:129], v120 offset0:28 offset1:29
	v_pk_add_f32 v[36:37], v[36:37], v[132:133] neg_lo:[0,1] neg_hi:[0,1]
	v_pk_add_f32 v[32:33], v[32:33], v[130:131] neg_lo:[0,1] neg_hi:[0,1]
	s_wait_dscnt 0x0
	v_pk_mul_f32 v[130:131], v[126:127], v[118:119] op_sel:[0,1]
	s_delay_alu instid0(VALU_DEP_1) | instskip(SKIP_1) | instid1(VALU_DEP_1)
	v_pk_fma_f32 v[132:133], v[126:127], v[116:117], v[130:131] op_sel:[0,0,1] op_sel_hi:[1,1,0] neg_lo:[0,0,1] neg_hi:[0,0,1]
	v_pk_fma_f32 v[126:127], v[126:127], v[116:117], v[130:131] op_sel:[0,0,1] op_sel_hi:[1,0,0]
	v_mov_b32_e32 v133, v127
	v_pk_mul_f32 v[126:127], v[128:129], v[118:119] op_sel:[0,1]
	s_delay_alu instid0(VALU_DEP_1) | instskip(SKIP_1) | instid1(VALU_DEP_1)
	v_pk_fma_f32 v[130:131], v[128:129], v[116:117], v[126:127] op_sel:[0,0,1] op_sel_hi:[1,1,0] neg_lo:[0,0,1] neg_hi:[0,0,1]
	v_pk_fma_f32 v[126:127], v[128:129], v[116:117], v[126:127] op_sel:[0,0,1] op_sel_hi:[1,0,0]
	v_mov_b32_e32 v131, v127
	ds_load_2addr_b64 v[126:129], v120 offset0:30 offset1:31
	v_pk_add_f32 v[80:81], v[80:81], v[132:133] neg_lo:[0,1] neg_hi:[0,1]
	v_pk_add_f32 v[78:79], v[78:79], v[130:131] neg_lo:[0,1] neg_hi:[0,1]
	s_wait_dscnt 0x0
	v_dual_mul_f32 v130, v127, v119 :: v_dual_mul_f32 v132, v127, v116
	s_delay_alu instid0(VALU_DEP_1) | instskip(NEXT) | instid1(VALU_DEP_2)
	v_pk_fma_f32 v[130:131], v[126:127], v[110:111], v[130:131] op_sel_hi:[1,1,0] neg_lo:[0,0,1] neg_hi:[0,0,1]
	v_pk_fma_f32 v[126:127], v[126:127], v[110:111], v[132:133] op_sel:[1,0,0] op_sel_hi:[0,1,0]
	s_delay_alu instid0(VALU_DEP_1) | instskip(SKIP_1) | instid1(VALU_DEP_2)
	v_mov_b32_e32 v131, v127
	v_pk_mul_f32 v[126:127], v[128:129], v[118:119] op_sel:[0,1]
	v_pk_add_f32 v[28:29], v[28:29], v[130:131] neg_lo:[0,1] neg_hi:[0,1]
	s_delay_alu instid0(VALU_DEP_2) | instskip(SKIP_1) | instid1(VALU_DEP_1)
	v_pk_fma_f32 v[130:131], v[128:129], v[116:117], v[126:127] op_sel:[0,0,1] op_sel_hi:[1,1,0] neg_lo:[0,0,1] neg_hi:[0,0,1]
	v_pk_fma_f32 v[126:127], v[128:129], v[116:117], v[126:127] op_sel:[0,0,1] op_sel_hi:[1,0,0]
	v_mov_b32_e32 v131, v127
	ds_load_2addr_b64 v[126:129], v120 offset0:32 offset1:33
	v_pk_add_f32 v[26:27], v[26:27], v[130:131] neg_lo:[0,1] neg_hi:[0,1]
	s_wait_dscnt 0x0
	v_pk_mul_f32 v[130:131], v[126:127], v[118:119] op_sel:[0,1]
	s_delay_alu instid0(VALU_DEP_1) | instskip(SKIP_1) | instid1(VALU_DEP_1)
	v_pk_fma_f32 v[132:133], v[126:127], v[116:117], v[130:131] op_sel:[0,0,1] op_sel_hi:[1,1,0] neg_lo:[0,0,1] neg_hi:[0,0,1]
	v_pk_fma_f32 v[126:127], v[126:127], v[116:117], v[130:131] op_sel:[0,0,1] op_sel_hi:[1,0,0]
	v_mov_b32_e32 v133, v127
	v_pk_mul_f32 v[126:127], v[128:129], v[118:119] op_sel:[0,1]
	s_delay_alu instid0(VALU_DEP_2) | instskip(NEXT) | instid1(VALU_DEP_2)
	v_pk_add_f32 v[76:77], v[76:77], v[132:133] neg_lo:[0,1] neg_hi:[0,1]
	v_pk_fma_f32 v[130:131], v[128:129], v[116:117], v[126:127] op_sel:[0,0,1] op_sel_hi:[1,1,0] neg_lo:[0,0,1] neg_hi:[0,0,1]
	v_pk_fma_f32 v[126:127], v[128:129], v[116:117], v[126:127] op_sel:[0,0,1] op_sel_hi:[1,0,0]
	s_delay_alu instid0(VALU_DEP_1) | instskip(SKIP_4) | instid1(VALU_DEP_1)
	v_mov_b32_e32 v131, v127
	ds_load_2addr_b64 v[126:129], v120 offset0:34 offset1:35
	v_pk_add_f32 v[74:75], v[74:75], v[130:131] neg_lo:[0,1] neg_hi:[0,1]
	s_wait_dscnt 0x0
	v_pk_mul_f32 v[130:131], v[126:127], v[118:119] op_sel:[0,1]
	v_pk_fma_f32 v[132:133], v[126:127], v[116:117], v[130:131] op_sel:[0,0,1] op_sel_hi:[1,1,0] neg_lo:[0,0,1] neg_hi:[0,0,1]
	v_pk_fma_f32 v[126:127], v[126:127], v[116:117], v[130:131] op_sel:[0,0,1] op_sel_hi:[1,0,0]
	v_dual_mul_f32 v130, v129, v119 :: v_dual_mov_b32 v126, v129
	s_delay_alu instid0(VALU_DEP_2) | instskip(NEXT) | instid1(VALU_DEP_2)
	v_dual_mov_b32 v133, v127 :: v_dual_mov_b32 v127, v128
	v_pk_fma_f32 v[130:131], v[128:129], v[110:111], v[130:131] op_sel_hi:[1,1,0] neg_lo:[0,0,1] neg_hi:[0,0,1]
	v_mul_f32_e32 v128, v129, v116
	s_delay_alu instid0(VALU_DEP_3) | instskip(NEXT) | instid1(VALU_DEP_2)
	v_pk_add_f32 v[22:23], v[22:23], v[132:133] neg_lo:[0,1] neg_hi:[0,1]
	v_pk_fma_f32 v[126:127], v[126:127], v[110:111], v[128:129] op_sel_hi:[1,1,0]
	s_delay_alu instid0(VALU_DEP_1) | instskip(SKIP_4) | instid1(VALU_DEP_1)
	v_mov_b32_e32 v131, v127
	ds_load_2addr_b64 v[126:129], v120 offset0:36 offset1:37
	v_pk_add_f32 v[20:21], v[20:21], v[130:131] neg_lo:[0,1] neg_hi:[0,1]
	s_wait_dscnt 0x0
	v_pk_mul_f32 v[130:131], v[126:127], v[118:119] op_sel:[0,1]
	v_pk_fma_f32 v[132:133], v[126:127], v[116:117], v[130:131] op_sel:[0,0,1] op_sel_hi:[1,1,0] neg_lo:[0,0,1] neg_hi:[0,0,1]
	v_pk_fma_f32 v[126:127], v[126:127], v[116:117], v[130:131] op_sel:[0,0,1] op_sel_hi:[1,0,0]
	s_delay_alu instid0(VALU_DEP_1) | instskip(SKIP_1) | instid1(VALU_DEP_1)
	v_mov_b32_e32 v133, v127
	v_pk_mul_f32 v[126:127], v[128:129], v[118:119] op_sel:[0,1]
	v_pk_fma_f32 v[130:131], v[128:129], v[116:117], v[126:127] op_sel:[0,0,1] op_sel_hi:[1,1,0] neg_lo:[0,0,1] neg_hi:[0,0,1]
	v_pk_fma_f32 v[126:127], v[128:129], v[116:117], v[126:127] op_sel:[0,0,1] op_sel_hi:[1,0,0]
	s_delay_alu instid0(VALU_DEP_1)
	v_mov_b32_e32 v131, v127
	ds_load_2addr_b64 v[126:129], v120 offset0:38 offset1:39
	v_pk_add_f32 v[72:73], v[72:73], v[132:133] neg_lo:[0,1] neg_hi:[0,1]
	v_pk_add_f32 v[70:71], v[70:71], v[130:131] neg_lo:[0,1] neg_hi:[0,1]
	s_wait_dscnt 0x0
	v_pk_mul_f32 v[130:131], v[126:127], v[118:119] op_sel:[0,1]
	s_delay_alu instid0(VALU_DEP_1) | instskip(SKIP_1) | instid1(VALU_DEP_1)
	v_pk_fma_f32 v[132:133], v[126:127], v[116:117], v[130:131] op_sel:[0,0,1] op_sel_hi:[1,1,0] neg_lo:[0,0,1] neg_hi:[0,0,1]
	v_pk_fma_f32 v[126:127], v[126:127], v[116:117], v[130:131] op_sel:[0,0,1] op_sel_hi:[1,0,0]
	v_mov_b32_e32 v133, v127
	v_pk_mul_f32 v[126:127], v[128:129], v[118:119] op_sel:[0,1]
	s_delay_alu instid0(VALU_DEP_1) | instskip(SKIP_1) | instid1(VALU_DEP_1)
	v_pk_fma_f32 v[130:131], v[128:129], v[116:117], v[126:127] op_sel:[0,0,1] op_sel_hi:[1,1,0] neg_lo:[0,0,1] neg_hi:[0,0,1]
	v_pk_fma_f32 v[126:127], v[128:129], v[116:117], v[126:127] op_sel:[0,0,1] op_sel_hi:[1,0,0]
	v_mov_b32_e32 v131, v127
	ds_load_2addr_b64 v[126:129], v120 offset0:40 offset1:41
	v_pk_add_f32 v[18:19], v[18:19], v[132:133] neg_lo:[0,1] neg_hi:[0,1]
	v_pk_add_f32 v[16:17], v[16:17], v[130:131] neg_lo:[0,1] neg_hi:[0,1]
	s_wait_dscnt 0x0
	v_dual_mul_f32 v130, v127, v119 :: v_dual_mul_f32 v132, v127, v116
	s_delay_alu instid0(VALU_DEP_1) | instskip(NEXT) | instid1(VALU_DEP_2)
	v_pk_fma_f32 v[130:131], v[126:127], v[110:111], v[130:131] op_sel_hi:[1,1,0] neg_lo:[0,0,1] neg_hi:[0,0,1]
	v_pk_fma_f32 v[126:127], v[126:127], v[110:111], v[132:133] op_sel:[1,0,0] op_sel_hi:[0,1,0]
	s_delay_alu instid0(VALU_DEP_1) | instskip(SKIP_1) | instid1(VALU_DEP_2)
	v_mov_b32_e32 v131, v127
	v_pk_mul_f32 v[126:127], v[128:129], v[118:119] op_sel:[0,1]
	v_pk_add_f32 v[68:69], v[68:69], v[130:131] neg_lo:[0,1] neg_hi:[0,1]
	s_delay_alu instid0(VALU_DEP_2) | instskip(SKIP_1) | instid1(VALU_DEP_1)
	v_pk_fma_f32 v[130:131], v[128:129], v[116:117], v[126:127] op_sel:[0,0,1] op_sel_hi:[1,1,0] neg_lo:[0,0,1] neg_hi:[0,0,1]
	v_pk_fma_f32 v[126:127], v[128:129], v[116:117], v[126:127] op_sel:[0,0,1] op_sel_hi:[1,0,0]
	v_mov_b32_e32 v131, v127
	ds_load_2addr_b64 v[126:129], v120 offset0:42 offset1:43
	v_pk_add_f32 v[66:67], v[66:67], v[130:131] neg_lo:[0,1] neg_hi:[0,1]
	s_wait_dscnt 0x0
	v_pk_mul_f32 v[130:131], v[126:127], v[118:119] op_sel:[0,1]
	s_delay_alu instid0(VALU_DEP_1) | instskip(SKIP_1) | instid1(VALU_DEP_1)
	v_pk_fma_f32 v[132:133], v[126:127], v[116:117], v[130:131] op_sel:[0,0,1] op_sel_hi:[1,1,0] neg_lo:[0,0,1] neg_hi:[0,0,1]
	v_pk_fma_f32 v[126:127], v[126:127], v[116:117], v[130:131] op_sel:[0,0,1] op_sel_hi:[1,0,0]
	v_mov_b32_e32 v133, v127
	v_pk_mul_f32 v[126:127], v[128:129], v[118:119] op_sel:[0,1]
	s_delay_alu instid0(VALU_DEP_2) | instskip(NEXT) | instid1(VALU_DEP_2)
	v_pk_add_f32 v[14:15], v[14:15], v[132:133] neg_lo:[0,1] neg_hi:[0,1]
	v_pk_fma_f32 v[130:131], v[128:129], v[116:117], v[126:127] op_sel:[0,0,1] op_sel_hi:[1,1,0] neg_lo:[0,0,1] neg_hi:[0,0,1]
	v_pk_fma_f32 v[126:127], v[128:129], v[116:117], v[126:127] op_sel:[0,0,1] op_sel_hi:[1,0,0]
	s_delay_alu instid0(VALU_DEP_1) | instskip(SKIP_4) | instid1(VALU_DEP_1)
	v_mov_b32_e32 v131, v127
	ds_load_2addr_b64 v[126:129], v120 offset0:44 offset1:45
	v_pk_add_f32 v[12:13], v[12:13], v[130:131] neg_lo:[0,1] neg_hi:[0,1]
	s_wait_dscnt 0x0
	v_pk_mul_f32 v[130:131], v[126:127], v[118:119] op_sel:[0,1]
	v_pk_fma_f32 v[132:133], v[126:127], v[116:117], v[130:131] op_sel:[0,0,1] op_sel_hi:[1,1,0] neg_lo:[0,0,1] neg_hi:[0,0,1]
	v_pk_fma_f32 v[126:127], v[126:127], v[116:117], v[130:131] op_sel:[0,0,1] op_sel_hi:[1,0,0]
	v_dual_mul_f32 v130, v129, v119 :: v_dual_mov_b32 v126, v129
	s_delay_alu instid0(VALU_DEP_2) | instskip(NEXT) | instid1(VALU_DEP_2)
	v_dual_mov_b32 v133, v127 :: v_dual_mov_b32 v127, v128
	v_pk_fma_f32 v[130:131], v[128:129], v[110:111], v[130:131] op_sel_hi:[1,1,0] neg_lo:[0,0,1] neg_hi:[0,0,1]
	v_mul_f32_e32 v128, v129, v116
	s_delay_alu instid0(VALU_DEP_3) | instskip(NEXT) | instid1(VALU_DEP_2)
	v_pk_add_f32 v[64:65], v[64:65], v[132:133] neg_lo:[0,1] neg_hi:[0,1]
	v_pk_fma_f32 v[126:127], v[126:127], v[110:111], v[128:129] op_sel_hi:[1,1,0]
	s_delay_alu instid0(VALU_DEP_1) | instskip(SKIP_4) | instid1(VALU_DEP_1)
	v_mov_b32_e32 v131, v127
	ds_load_2addr_b64 v[126:129], v120 offset0:46 offset1:47
	v_pk_add_f32 v[62:63], v[62:63], v[130:131] neg_lo:[0,1] neg_hi:[0,1]
	s_wait_dscnt 0x0
	v_pk_mul_f32 v[130:131], v[126:127], v[118:119] op_sel:[0,1]
	v_pk_fma_f32 v[132:133], v[126:127], v[116:117], v[130:131] op_sel:[0,0,1] op_sel_hi:[1,1,0] neg_lo:[0,0,1] neg_hi:[0,0,1]
	v_pk_fma_f32 v[126:127], v[126:127], v[116:117], v[130:131] op_sel:[0,0,1] op_sel_hi:[1,0,0]
	s_delay_alu instid0(VALU_DEP_1) | instskip(SKIP_1) | instid1(VALU_DEP_1)
	v_mov_b32_e32 v133, v127
	v_pk_mul_f32 v[126:127], v[128:129], v[118:119] op_sel:[0,1]
	v_pk_fma_f32 v[130:131], v[128:129], v[116:117], v[126:127] op_sel:[0,0,1] op_sel_hi:[1,1,0] neg_lo:[0,0,1] neg_hi:[0,0,1]
	v_pk_fma_f32 v[126:127], v[128:129], v[116:117], v[126:127] op_sel:[0,0,1] op_sel_hi:[1,0,0]
	s_delay_alu instid0(VALU_DEP_1)
	v_mov_b32_e32 v131, v127
	ds_load_2addr_b64 v[126:129], v120 offset0:48 offset1:49
	v_pk_add_f32 v[10:11], v[10:11], v[132:133] neg_lo:[0,1] neg_hi:[0,1]
	v_pk_add_f32 v[6:7], v[6:7], v[130:131] neg_lo:[0,1] neg_hi:[0,1]
	s_wait_dscnt 0x0
	v_pk_mul_f32 v[130:131], v[126:127], v[118:119] op_sel:[0,1]
	s_delay_alu instid0(VALU_DEP_1) | instskip(SKIP_1) | instid1(VALU_DEP_1)
	v_pk_fma_f32 v[132:133], v[126:127], v[116:117], v[130:131] op_sel:[0,0,1] op_sel_hi:[1,1,0] neg_lo:[0,0,1] neg_hi:[0,0,1]
	v_pk_fma_f32 v[126:127], v[126:127], v[116:117], v[130:131] op_sel:[0,0,1] op_sel_hi:[1,0,0]
	v_mov_b32_e32 v133, v127
	v_pk_mul_f32 v[126:127], v[128:129], v[118:119] op_sel:[0,1]
	s_delay_alu instid0(VALU_DEP_1) | instskip(SKIP_1) | instid1(VALU_DEP_1)
	v_pk_fma_f32 v[130:131], v[128:129], v[116:117], v[126:127] op_sel:[0,0,1] op_sel_hi:[1,1,0] neg_lo:[0,0,1] neg_hi:[0,0,1]
	v_pk_fma_f32 v[126:127], v[128:129], v[116:117], v[126:127] op_sel:[0,0,1] op_sel_hi:[1,0,0]
	v_mov_b32_e32 v131, v127
	ds_load_2addr_b64 v[126:129], v120 offset0:50 offset1:51
	v_pk_add_f32 v[52:53], v[52:53], v[132:133] neg_lo:[0,1] neg_hi:[0,1]
	v_pk_add_f32 v[50:51], v[50:51], v[130:131] neg_lo:[0,1] neg_hi:[0,1]
	s_wait_dscnt 0x0
	v_dual_mul_f32 v130, v127, v119 :: v_dual_mul_f32 v132, v127, v116
	s_delay_alu instid0(VALU_DEP_1) | instskip(NEXT) | instid1(VALU_DEP_2)
	v_pk_fma_f32 v[130:131], v[126:127], v[110:111], v[130:131] op_sel_hi:[1,1,0] neg_lo:[0,0,1] neg_hi:[0,0,1]
	v_pk_fma_f32 v[126:127], v[126:127], v[110:111], v[132:133] op_sel:[1,0,0] op_sel_hi:[0,1,0]
	s_delay_alu instid0(VALU_DEP_1) | instskip(SKIP_1) | instid1(VALU_DEP_2)
	v_mov_b32_e32 v131, v127
	v_pk_mul_f32 v[126:127], v[128:129], v[118:119] op_sel:[0,1]
	v_pk_add_f32 v[8:9], v[8:9], v[130:131] neg_lo:[0,1] neg_hi:[0,1]
	s_delay_alu instid0(VALU_DEP_2) | instskip(SKIP_1) | instid1(VALU_DEP_1)
	v_pk_fma_f32 v[130:131], v[128:129], v[116:117], v[126:127] op_sel:[0,0,1] op_sel_hi:[1,1,0] neg_lo:[0,0,1] neg_hi:[0,0,1]
	v_pk_fma_f32 v[126:127], v[128:129], v[116:117], v[126:127] op_sel:[0,0,1] op_sel_hi:[1,0,0]
	v_mov_b32_e32 v131, v127
	ds_load_2addr_b64 v[126:129], v120 offset0:52 offset1:53
	v_pk_add_f32 v[30:31], v[30:31], v[130:131] neg_lo:[0,1] neg_hi:[0,1]
	s_wait_dscnt 0x0
	v_pk_mul_f32 v[130:131], v[126:127], v[118:119] op_sel:[0,1]
	s_delay_alu instid0(VALU_DEP_1) | instskip(SKIP_1) | instid1(VALU_DEP_1)
	v_pk_fma_f32 v[132:133], v[126:127], v[116:117], v[130:131] op_sel:[0,0,1] op_sel_hi:[1,1,0] neg_lo:[0,0,1] neg_hi:[0,0,1]
	v_pk_fma_f32 v[126:127], v[126:127], v[116:117], v[130:131] op_sel:[0,0,1] op_sel_hi:[1,0,0]
	v_mov_b32_e32 v133, v127
	v_pk_mul_f32 v[126:127], v[128:129], v[118:119] op_sel:[0,1]
	s_delay_alu instid0(VALU_DEP_2) | instskip(NEXT) | instid1(VALU_DEP_2)
	v_pk_add_f32 v[34:35], v[34:35], v[132:133] neg_lo:[0,1] neg_hi:[0,1]
	v_pk_fma_f32 v[130:131], v[128:129], v[116:117], v[126:127] op_sel:[0,0,1] op_sel_hi:[1,1,0] neg_lo:[0,0,1] neg_hi:[0,0,1]
	v_pk_fma_f32 v[126:127], v[128:129], v[116:117], v[126:127] op_sel:[0,0,1] op_sel_hi:[1,0,0]
	s_delay_alu instid0(VALU_DEP_1) | instskip(SKIP_4) | instid1(VALU_DEP_1)
	v_mov_b32_e32 v131, v127
	ds_load_b64 v[126:127], v120 offset:432
	v_pk_add_f32 v[24:25], v[24:25], v[130:131] neg_lo:[0,1] neg_hi:[0,1]
	s_wait_dscnt 0x0
	v_pk_mul_f32 v[118:119], v[126:127], v[118:119] op_sel:[0,1]
	v_pk_fma_f32 v[128:129], v[126:127], v[116:117], v[118:119] op_sel:[0,0,1] op_sel_hi:[1,1,0] neg_lo:[0,0,1] neg_hi:[0,0,1]
	v_pk_fma_f32 v[116:117], v[126:127], v[116:117], v[118:119] op_sel:[0,0,1] op_sel_hi:[1,0,0]
	s_delay_alu instid0(VALU_DEP_1) | instskip(NEXT) | instid1(VALU_DEP_1)
	v_mov_b32_e32 v129, v117
	v_pk_add_f32 v[114:115], v[114:115], v[128:129] neg_lo:[0,1] neg_hi:[0,1]
.LBB108_41:
	s_or_b32 exec_lo, exec_lo, s0
	v_lshl_add_u32 v116, v124, 3, v120
	s_barrier_signal -1
	s_barrier_wait -1
	ds_store_b64 v116, v[108:109]
	s_wait_dscnt 0x0
	s_barrier_signal -1
	s_barrier_wait -1
	ds_load_b64 v[118:119], v120 offset:16
	v_mov_b32_e32 v116, 2
	s_cmp_lt_i32 s18, 4
	s_mov_b32 s0, 3
	s_cbranch_scc1 .LBB108_44
; %bb.42:
	v_add3_u32 v117, v121, 0, 24
	v_mov_b32_e32 v116, 2
.LBB108_43:                             ; =>This Inner Loop Header: Depth=1
	ds_load_b64 v[126:127], v117
	s_wait_dscnt 0x1
	v_cmp_gt_f32_e32 vcc_lo, 0, v118
	v_cndmask_b32_e64 v128, v118, -v118, vcc_lo
	v_cmp_gt_f32_e32 vcc_lo, 0, v119
	v_cndmask_b32_e64 v130, v119, -v119, vcc_lo
	s_wait_dscnt 0x0
	v_cmp_gt_f32_e32 vcc_lo, 0, v126
	v_cndmask_b32_e64 v129, v126, -v126, vcc_lo
	v_cmp_gt_f32_e32 vcc_lo, 0, v127
	v_cndmask_b32_e64 v131, v127, -v127, vcc_lo
	s_delay_alu instid0(VALU_DEP_1) | instskip(NEXT) | instid1(VALU_DEP_1)
	v_pk_add_f32 v[128:129], v[128:129], v[130:131]
	v_cmp_lt_f32_e32 vcc_lo, v128, v129
	v_dual_add_nc_u32 v117, 8, v117 :: v_dual_cndmask_b32 v119, v119, v127, vcc_lo
	v_cndmask_b32_e32 v118, v118, v126, vcc_lo
	v_cndmask_b32_e64 v116, v116, s0, vcc_lo
	s_add_co_i32 s0, s0, 1
	s_delay_alu instid0(SALU_CYCLE_1)
	s_cmp_lg_u32 s18, s0
	s_cbranch_scc1 .LBB108_43
.LBB108_44:
	s_wait_dscnt 0x0
	v_cmp_eq_f32_e32 vcc_lo, 0, v118
	v_cmp_eq_f32_e64 s0, 0, v119
	s_and_b32 s0, vcc_lo, s0
	s_delay_alu instid0(SALU_CYCLE_1) | instskip(NEXT) | instid1(SALU_CYCLE_1)
	s_and_saveexec_b32 s1, s0
	s_xor_b32 s0, exec_lo, s1
; %bb.45:
	v_cmp_ne_u32_e32 vcc_lo, 0, v122
	v_cndmask_b32_e32 v122, 3, v122, vcc_lo
; %bb.46:
	s_and_not1_saveexec_b32 s0, s0
	s_cbranch_execz .LBB108_52
; %bb.47:
	v_cmp_ngt_f32_e64 s1, |v118|, |v119|
	s_and_saveexec_b32 s12, s1
	s_delay_alu instid0(SALU_CYCLE_1)
	s_xor_b32 s1, exec_lo, s12
	s_cbranch_execz .LBB108_49
; %bb.48:
	v_div_scale_f32 v117, null, v119, v119, v118
	v_div_scale_f32 v127, vcc_lo, v118, v119, v118
	s_delay_alu instid0(VALU_DEP_2) | instskip(SKIP_1) | instid1(TRANS32_DEP_1)
	v_rcp_f32_e32 v125, v117
	v_nop
	v_fma_f32 v126, -v117, v125, 1.0
	s_delay_alu instid0(VALU_DEP_1) | instskip(NEXT) | instid1(VALU_DEP_1)
	v_fmac_f32_e32 v125, v126, v125
	v_mul_f32_e32 v126, v127, v125
	s_delay_alu instid0(VALU_DEP_1) | instskip(NEXT) | instid1(VALU_DEP_1)
	v_fma_f32 v128, -v117, v126, v127
	v_fmac_f32_e32 v126, v128, v125
	s_delay_alu instid0(VALU_DEP_1) | instskip(NEXT) | instid1(VALU_DEP_1)
	v_fma_f32 v117, -v117, v126, v127
	v_div_fmas_f32 v117, v117, v125, v126
	s_delay_alu instid0(VALU_DEP_1) | instskip(NEXT) | instid1(VALU_DEP_1)
	v_div_fixup_f32 v117, v117, v119, v118
	v_fmac_f32_e32 v119, v118, v117
	s_delay_alu instid0(VALU_DEP_1) | instskip(SKIP_1) | instid1(VALU_DEP_2)
	v_div_scale_f32 v118, null, v119, v119, 1.0
	v_div_scale_f32 v127, vcc_lo, 1.0, v119, 1.0
	v_rcp_f32_e32 v125, v118
	v_nop
	s_delay_alu instid0(TRANS32_DEP_1) | instskip(NEXT) | instid1(VALU_DEP_1)
	v_fma_f32 v126, -v118, v125, 1.0
	v_fmac_f32_e32 v125, v126, v125
	s_delay_alu instid0(VALU_DEP_1) | instskip(NEXT) | instid1(VALU_DEP_1)
	v_mul_f32_e32 v126, v127, v125
	v_fma_f32 v128, -v118, v126, v127
	s_delay_alu instid0(VALU_DEP_1) | instskip(NEXT) | instid1(VALU_DEP_1)
	v_fmac_f32_e32 v126, v128, v125
	v_fma_f32 v118, -v118, v126, v127
	s_delay_alu instid0(VALU_DEP_1) | instskip(NEXT) | instid1(VALU_DEP_1)
	v_div_fmas_f32 v118, v118, v125, v126
	v_div_fixup_f32 v119, v118, v119, 1.0
	s_delay_alu instid0(VALU_DEP_1)
	v_mul_f32_e32 v118, v117, v119
	v_xor_b32_e32 v119, 0x80000000, v119
.LBB108_49:
	s_and_not1_saveexec_b32 s1, s1
	s_cbranch_execz .LBB108_51
; %bb.50:
	s_delay_alu instid0(VALU_DEP_1) | instskip(SKIP_1) | instid1(VALU_DEP_2)
	v_div_scale_f32 v117, null, v118, v118, v119
	v_div_scale_f32 v127, vcc_lo, v119, v118, v119
	v_rcp_f32_e32 v125, v117
	v_nop
	s_delay_alu instid0(TRANS32_DEP_1) | instskip(NEXT) | instid1(VALU_DEP_1)
	v_fma_f32 v126, -v117, v125, 1.0
	v_fmac_f32_e32 v125, v126, v125
	s_delay_alu instid0(VALU_DEP_1) | instskip(NEXT) | instid1(VALU_DEP_1)
	v_mul_f32_e32 v126, v127, v125
	v_fma_f32 v128, -v117, v126, v127
	s_delay_alu instid0(VALU_DEP_1) | instskip(NEXT) | instid1(VALU_DEP_1)
	v_fmac_f32_e32 v126, v128, v125
	v_fma_f32 v117, -v117, v126, v127
	s_delay_alu instid0(VALU_DEP_1) | instskip(NEXT) | instid1(VALU_DEP_1)
	v_div_fmas_f32 v117, v117, v125, v126
	v_div_fixup_f32 v117, v117, v118, v119
	s_delay_alu instid0(VALU_DEP_1) | instskip(NEXT) | instid1(VALU_DEP_1)
	v_fmac_f32_e32 v118, v119, v117
	v_div_scale_f32 v119, null, v118, v118, 1.0
	s_delay_alu instid0(VALU_DEP_1) | instskip(SKIP_1) | instid1(TRANS32_DEP_1)
	v_rcp_f32_e32 v125, v119
	v_nop
	v_fma_f32 v126, -v119, v125, 1.0
	s_delay_alu instid0(VALU_DEP_1) | instskip(SKIP_1) | instid1(VALU_DEP_1)
	v_fmac_f32_e32 v125, v126, v125
	v_div_scale_f32 v126, vcc_lo, 1.0, v118, 1.0
	v_mul_f32_e32 v127, v126, v125
	s_delay_alu instid0(VALU_DEP_1) | instskip(NEXT) | instid1(VALU_DEP_1)
	v_fma_f32 v128, -v119, v127, v126
	v_fmac_f32_e32 v127, v128, v125
	s_delay_alu instid0(VALU_DEP_1) | instskip(NEXT) | instid1(VALU_DEP_1)
	v_fma_f32 v119, -v119, v127, v126
	v_div_fmas_f32 v119, v119, v125, v127
	s_delay_alu instid0(VALU_DEP_1) | instskip(NEXT) | instid1(VALU_DEP_1)
	v_div_fixup_f32 v118, v119, v118, 1.0
	v_mul_f32_e64 v119, v117, -v118
.LBB108_51:
	s_or_b32 exec_lo, exec_lo, s1
.LBB108_52:
	s_delay_alu instid0(SALU_CYCLE_1) | instskip(NEXT) | instid1(SALU_CYCLE_1)
	s_or_b32 exec_lo, exec_lo, s0
	s_mov_b32 s0, exec_lo
	v_cmpx_ne_u32_e64 v124, v116
	s_xor_b32 s0, exec_lo, s0
	s_cbranch_execz .LBB108_58
; %bb.53:
	s_mov_b32 s1, exec_lo
	v_cmpx_eq_u32_e32 2, v124
	s_cbranch_execz .LBB108_57
; %bb.54:
	v_cmp_ne_u32_e32 vcc_lo, 2, v116
	s_xor_b32 s12, s16, -1
	s_delay_alu instid0(SALU_CYCLE_1) | instskip(NEXT) | instid1(SALU_CYCLE_1)
	s_and_b32 s13, s12, vcc_lo
	s_and_saveexec_b32 s12, s13
	s_cbranch_execz .LBB108_56
; %bb.55:
	v_ashrrev_i32_e32 v117, 31, v116
	s_delay_alu instid0(VALU_DEP_1)
	v_lshl_add_u64 v[124:125], v[116:117], 2, v[4:5]
	s_clause 0x1
	global_load_b32 v117, v[124:125], off
	global_load_b32 v123, v[4:5], off offset:8
	s_wait_loadcnt 0x1
	global_store_b32 v[4:5], v117, off offset:8
	s_wait_loadcnt 0x0
	global_store_b32 v[124:125], v123, off
.LBB108_56:
	s_wait_xcnt 0x0
	s_or_b32 exec_lo, exec_lo, s12
	v_dual_mov_b32 v124, v116 :: v_dual_mov_b32 v123, v116
.LBB108_57:
	s_or_b32 exec_lo, exec_lo, s1
.LBB108_58:
	s_and_not1_saveexec_b32 s0, s0
	s_cbranch_execz .LBB108_60
; %bb.59:
	v_mov_b32_e32 v124, 2
	ds_store_2addr_b64 v120, v[106:107], v[96:97] offset0:3 offset1:4
	ds_store_2addr_b64 v120, v[94:95], v[48:49] offset0:5 offset1:6
	;; [unrolled: 1-line block ×26, first 2 shown]
.LBB108_60:
	s_or_b32 exec_lo, exec_lo, s0
	s_delay_alu instid0(SALU_CYCLE_1)
	s_mov_b32 s0, exec_lo
	s_wait_storecnt_dscnt 0x0
	s_barrier_signal -1
	s_barrier_wait -1
	v_cmpx_lt_i32_e32 2, v124
	s_cbranch_execz .LBB108_62
; %bb.61:
	v_pk_mul_f32 v[126:127], v[118:119], v[108:109] op_sel:[1,1] op_sel_hi:[0,1]
	s_delay_alu instid0(VALU_DEP_1)
	v_pk_fma_f32 v[116:117], v[118:119], v[108:109], v[126:127] op_sel_hi:[1,0,1] neg_lo:[0,0,1] neg_hi:[0,0,1]
	v_pk_fma_f32 v[118:119], v[118:119], v[108:109], v[126:127] op_sel_hi:[1,0,1]
	ds_load_2addr_b64 v[126:129], v120 offset0:3 offset1:4
	v_dual_mov_b32 v108, v116 :: v_dual_mov_b32 v109, v119
	s_wait_dscnt 0x0
	v_pk_mul_f32 v[130:131], v[126:127], v[118:119] op_sel:[0,1]
	s_delay_alu instid0(VALU_DEP_1) | instskip(SKIP_1) | instid1(VALU_DEP_1)
	v_pk_fma_f32 v[132:133], v[126:127], v[116:117], v[130:131] op_sel:[0,0,1] op_sel_hi:[1,1,0] neg_lo:[0,0,1] neg_hi:[0,0,1]
	v_pk_fma_f32 v[126:127], v[126:127], v[116:117], v[130:131] op_sel:[0,0,1] op_sel_hi:[1,0,0]
	v_mov_b32_e32 v133, v127
	v_pk_mul_f32 v[126:127], v[128:129], v[118:119] op_sel:[0,1]
	s_delay_alu instid0(VALU_DEP_1) | instskip(SKIP_1) | instid1(VALU_DEP_1)
	v_pk_fma_f32 v[130:131], v[128:129], v[116:117], v[126:127] op_sel:[0,0,1] op_sel_hi:[1,1,0] neg_lo:[0,0,1] neg_hi:[0,0,1]
	v_pk_fma_f32 v[126:127], v[128:129], v[116:117], v[126:127] op_sel:[0,0,1] op_sel_hi:[1,0,0]
	v_mov_b32_e32 v131, v127
	ds_load_2addr_b64 v[126:129], v120 offset0:5 offset1:6
	v_pk_add_f32 v[106:107], v[106:107], v[132:133] neg_lo:[0,1] neg_hi:[0,1]
	v_pk_add_f32 v[96:97], v[96:97], v[130:131] neg_lo:[0,1] neg_hi:[0,1]
	s_wait_dscnt 0x0
	v_pk_mul_f32 v[130:131], v[126:127], v[118:119] op_sel:[0,1]
	s_delay_alu instid0(VALU_DEP_1) | instskip(SKIP_2) | instid1(VALU_DEP_2)
	v_pk_fma_f32 v[132:133], v[126:127], v[116:117], v[130:131] op_sel:[0,0,1] op_sel_hi:[1,1,0] neg_lo:[0,0,1] neg_hi:[0,0,1]
	v_pk_fma_f32 v[126:127], v[126:127], v[116:117], v[130:131] op_sel:[0,0,1] op_sel_hi:[1,0,0]
	v_dual_mul_f32 v130, v129, v119 :: v_dual_mov_b32 v126, v129
	v_dual_mov_b32 v133, v127 :: v_dual_mov_b32 v127, v128
	s_delay_alu instid0(VALU_DEP_2) | instskip(SKIP_1) | instid1(VALU_DEP_3)
	v_pk_fma_f32 v[130:131], v[128:129], v[108:109], v[130:131] op_sel_hi:[1,1,0] neg_lo:[0,0,1] neg_hi:[0,0,1]
	v_mul_f32_e32 v128, v129, v116
	v_pk_add_f32 v[94:95], v[94:95], v[132:133] neg_lo:[0,1] neg_hi:[0,1]
	s_delay_alu instid0(VALU_DEP_2) | instskip(NEXT) | instid1(VALU_DEP_1)
	v_pk_fma_f32 v[126:127], v[126:127], v[108:109], v[128:129] op_sel_hi:[1,1,0]
	v_mov_b32_e32 v131, v127
	ds_load_2addr_b64 v[126:129], v120 offset0:7 offset1:8
	v_pk_add_f32 v[48:49], v[48:49], v[130:131] neg_lo:[0,1] neg_hi:[0,1]
	s_wait_dscnt 0x0
	v_pk_mul_f32 v[130:131], v[126:127], v[118:119] op_sel:[0,1]
	s_delay_alu instid0(VALU_DEP_1) | instskip(SKIP_1) | instid1(VALU_DEP_1)
	v_pk_fma_f32 v[132:133], v[126:127], v[116:117], v[130:131] op_sel:[0,0,1] op_sel_hi:[1,1,0] neg_lo:[0,0,1] neg_hi:[0,0,1]
	v_pk_fma_f32 v[126:127], v[126:127], v[116:117], v[130:131] op_sel:[0,0,1] op_sel_hi:[1,0,0]
	v_mov_b32_e32 v133, v127
	v_pk_mul_f32 v[126:127], v[128:129], v[118:119] op_sel:[0,1]
	s_delay_alu instid0(VALU_DEP_1) | instskip(SKIP_1) | instid1(VALU_DEP_1)
	v_pk_fma_f32 v[130:131], v[128:129], v[116:117], v[126:127] op_sel:[0,0,1] op_sel_hi:[1,1,0] neg_lo:[0,0,1] neg_hi:[0,0,1]
	v_pk_fma_f32 v[126:127], v[128:129], v[116:117], v[126:127] op_sel:[0,0,1] op_sel_hi:[1,0,0]
	v_mov_b32_e32 v131, v127
	ds_load_2addr_b64 v[126:129], v120 offset0:9 offset1:10
	v_pk_add_f32 v[46:47], v[46:47], v[132:133] neg_lo:[0,1] neg_hi:[0,1]
	v_pk_add_f32 v[104:105], v[104:105], v[130:131] neg_lo:[0,1] neg_hi:[0,1]
	s_wait_dscnt 0x0
	v_pk_mul_f32 v[130:131], v[126:127], v[118:119] op_sel:[0,1]
	s_delay_alu instid0(VALU_DEP_1) | instskip(SKIP_1) | instid1(VALU_DEP_1)
	v_pk_fma_f32 v[132:133], v[126:127], v[116:117], v[130:131] op_sel:[0,0,1] op_sel_hi:[1,1,0] neg_lo:[0,0,1] neg_hi:[0,0,1]
	v_pk_fma_f32 v[126:127], v[126:127], v[116:117], v[130:131] op_sel:[0,0,1] op_sel_hi:[1,0,0]
	v_mov_b32_e32 v133, v127
	v_pk_mul_f32 v[126:127], v[128:129], v[118:119] op_sel:[0,1]
	s_delay_alu instid0(VALU_DEP_1) | instskip(SKIP_1) | instid1(VALU_DEP_1)
	v_pk_fma_f32 v[130:131], v[128:129], v[116:117], v[126:127] op_sel:[0,0,1] op_sel_hi:[1,1,0] neg_lo:[0,0,1] neg_hi:[0,0,1]
	v_pk_fma_f32 v[126:127], v[128:129], v[116:117], v[126:127] op_sel:[0,0,1] op_sel_hi:[1,0,0]
	v_mov_b32_e32 v131, v127
	ds_load_2addr_b64 v[126:129], v120 offset0:11 offset1:12
	v_pk_add_f32 v[102:103], v[102:103], v[132:133] neg_lo:[0,1] neg_hi:[0,1]
	v_pk_add_f32 v[60:61], v[60:61], v[130:131] neg_lo:[0,1] neg_hi:[0,1]
	s_wait_dscnt 0x0
	v_dual_mul_f32 v130, v127, v119 :: v_dual_mul_f32 v132, v127, v116
	s_delay_alu instid0(VALU_DEP_1) | instskip(NEXT) | instid1(VALU_DEP_2)
	v_pk_fma_f32 v[130:131], v[126:127], v[108:109], v[130:131] op_sel_hi:[1,1,0] neg_lo:[0,0,1] neg_hi:[0,0,1]
	v_pk_fma_f32 v[126:127], v[126:127], v[108:109], v[132:133] op_sel:[1,0,0] op_sel_hi:[0,1,0]
	s_delay_alu instid0(VALU_DEP_1) | instskip(SKIP_1) | instid1(VALU_DEP_2)
	v_mov_b32_e32 v131, v127
	v_pk_mul_f32 v[126:127], v[128:129], v[118:119] op_sel:[0,1]
	v_pk_add_f32 v[58:59], v[58:59], v[130:131] neg_lo:[0,1] neg_hi:[0,1]
	s_delay_alu instid0(VALU_DEP_2) | instskip(SKIP_1) | instid1(VALU_DEP_1)
	v_pk_fma_f32 v[130:131], v[128:129], v[116:117], v[126:127] op_sel:[0,0,1] op_sel_hi:[1,1,0] neg_lo:[0,0,1] neg_hi:[0,0,1]
	v_pk_fma_f32 v[126:127], v[128:129], v[116:117], v[126:127] op_sel:[0,0,1] op_sel_hi:[1,0,0]
	v_mov_b32_e32 v131, v127
	ds_load_2addr_b64 v[126:129], v120 offset0:13 offset1:14
	v_pk_add_f32 v[100:101], v[100:101], v[130:131] neg_lo:[0,1] neg_hi:[0,1]
	s_wait_dscnt 0x0
	v_pk_mul_f32 v[130:131], v[126:127], v[118:119] op_sel:[0,1]
	s_delay_alu instid0(VALU_DEP_1) | instskip(SKIP_1) | instid1(VALU_DEP_1)
	v_pk_fma_f32 v[132:133], v[126:127], v[116:117], v[130:131] op_sel:[0,0,1] op_sel_hi:[1,1,0] neg_lo:[0,0,1] neg_hi:[0,0,1]
	v_pk_fma_f32 v[126:127], v[126:127], v[116:117], v[130:131] op_sel:[0,0,1] op_sel_hi:[1,0,0]
	v_mov_b32_e32 v133, v127
	v_pk_mul_f32 v[126:127], v[128:129], v[118:119] op_sel:[0,1]
	s_delay_alu instid0(VALU_DEP_2) | instskip(NEXT) | instid1(VALU_DEP_2)
	v_pk_add_f32 v[98:99], v[98:99], v[132:133] neg_lo:[0,1] neg_hi:[0,1]
	v_pk_fma_f32 v[130:131], v[128:129], v[116:117], v[126:127] op_sel:[0,0,1] op_sel_hi:[1,1,0] neg_lo:[0,0,1] neg_hi:[0,0,1]
	v_pk_fma_f32 v[126:127], v[128:129], v[116:117], v[126:127] op_sel:[0,0,1] op_sel_hi:[1,0,0]
	s_delay_alu instid0(VALU_DEP_1) | instskip(SKIP_4) | instid1(VALU_DEP_1)
	v_mov_b32_e32 v131, v127
	ds_load_2addr_b64 v[126:129], v120 offset0:15 offset1:16
	v_pk_add_f32 v[56:57], v[56:57], v[130:131] neg_lo:[0,1] neg_hi:[0,1]
	s_wait_dscnt 0x0
	v_pk_mul_f32 v[130:131], v[126:127], v[118:119] op_sel:[0,1]
	v_pk_fma_f32 v[132:133], v[126:127], v[116:117], v[130:131] op_sel:[0,0,1] op_sel_hi:[1,1,0] neg_lo:[0,0,1] neg_hi:[0,0,1]
	v_pk_fma_f32 v[126:127], v[126:127], v[116:117], v[130:131] op_sel:[0,0,1] op_sel_hi:[1,0,0]
	v_dual_mul_f32 v130, v129, v119 :: v_dual_mov_b32 v126, v129
	s_delay_alu instid0(VALU_DEP_2) | instskip(NEXT) | instid1(VALU_DEP_2)
	v_dual_mov_b32 v133, v127 :: v_dual_mov_b32 v127, v128
	v_pk_fma_f32 v[130:131], v[128:129], v[108:109], v[130:131] op_sel_hi:[1,1,0] neg_lo:[0,0,1] neg_hi:[0,0,1]
	v_mul_f32_e32 v128, v129, v116
	s_delay_alu instid0(VALU_DEP_3) | instskip(NEXT) | instid1(VALU_DEP_2)
	v_pk_add_f32 v[54:55], v[54:55], v[132:133] neg_lo:[0,1] neg_hi:[0,1]
	v_pk_fma_f32 v[126:127], v[126:127], v[108:109], v[128:129] op_sel_hi:[1,1,0]
	s_delay_alu instid0(VALU_DEP_1) | instskip(SKIP_4) | instid1(VALU_DEP_1)
	v_mov_b32_e32 v131, v127
	ds_load_2addr_b64 v[126:129], v120 offset0:17 offset1:18
	v_pk_add_f32 v[92:93], v[92:93], v[130:131] neg_lo:[0,1] neg_hi:[0,1]
	s_wait_dscnt 0x0
	v_pk_mul_f32 v[130:131], v[126:127], v[118:119] op_sel:[0,1]
	v_pk_fma_f32 v[132:133], v[126:127], v[116:117], v[130:131] op_sel:[0,0,1] op_sel_hi:[1,1,0] neg_lo:[0,0,1] neg_hi:[0,0,1]
	v_pk_fma_f32 v[126:127], v[126:127], v[116:117], v[130:131] op_sel:[0,0,1] op_sel_hi:[1,0,0]
	s_delay_alu instid0(VALU_DEP_1) | instskip(SKIP_1) | instid1(VALU_DEP_1)
	v_mov_b32_e32 v133, v127
	v_pk_mul_f32 v[126:127], v[128:129], v[118:119] op_sel:[0,1]
	v_pk_fma_f32 v[130:131], v[128:129], v[116:117], v[126:127] op_sel:[0,0,1] op_sel_hi:[1,1,0] neg_lo:[0,0,1] neg_hi:[0,0,1]
	v_pk_fma_f32 v[126:127], v[128:129], v[116:117], v[126:127] op_sel:[0,0,1] op_sel_hi:[1,0,0]
	s_delay_alu instid0(VALU_DEP_1)
	v_mov_b32_e32 v131, v127
	ds_load_2addr_b64 v[126:129], v120 offset0:19 offset1:20
	v_pk_add_f32 v[90:91], v[90:91], v[132:133] neg_lo:[0,1] neg_hi:[0,1]
	v_pk_add_f32 v[44:45], v[44:45], v[130:131] neg_lo:[0,1] neg_hi:[0,1]
	s_wait_dscnt 0x0
	v_pk_mul_f32 v[130:131], v[126:127], v[118:119] op_sel:[0,1]
	s_delay_alu instid0(VALU_DEP_1) | instskip(SKIP_1) | instid1(VALU_DEP_1)
	v_pk_fma_f32 v[132:133], v[126:127], v[116:117], v[130:131] op_sel:[0,0,1] op_sel_hi:[1,1,0] neg_lo:[0,0,1] neg_hi:[0,0,1]
	v_pk_fma_f32 v[126:127], v[126:127], v[116:117], v[130:131] op_sel:[0,0,1] op_sel_hi:[1,0,0]
	v_mov_b32_e32 v133, v127
	v_pk_mul_f32 v[126:127], v[128:129], v[118:119] op_sel:[0,1]
	s_delay_alu instid0(VALU_DEP_1) | instskip(SKIP_1) | instid1(VALU_DEP_1)
	v_pk_fma_f32 v[130:131], v[128:129], v[116:117], v[126:127] op_sel:[0,0,1] op_sel_hi:[1,1,0] neg_lo:[0,0,1] neg_hi:[0,0,1]
	v_pk_fma_f32 v[126:127], v[128:129], v[116:117], v[126:127] op_sel:[0,0,1] op_sel_hi:[1,0,0]
	v_mov_b32_e32 v131, v127
	ds_load_2addr_b64 v[126:129], v120 offset0:21 offset1:22
	v_pk_add_f32 v[42:43], v[42:43], v[132:133] neg_lo:[0,1] neg_hi:[0,1]
	v_pk_add_f32 v[88:89], v[88:89], v[130:131] neg_lo:[0,1] neg_hi:[0,1]
	s_wait_dscnt 0x0
	v_dual_mul_f32 v130, v127, v119 :: v_dual_mul_f32 v132, v127, v116
	s_delay_alu instid0(VALU_DEP_1) | instskip(NEXT) | instid1(VALU_DEP_2)
	v_pk_fma_f32 v[130:131], v[126:127], v[108:109], v[130:131] op_sel_hi:[1,1,0] neg_lo:[0,0,1] neg_hi:[0,0,1]
	v_pk_fma_f32 v[126:127], v[126:127], v[108:109], v[132:133] op_sel:[1,0,0] op_sel_hi:[0,1,0]
	s_delay_alu instid0(VALU_DEP_1) | instskip(SKIP_1) | instid1(VALU_DEP_2)
	v_mov_b32_e32 v131, v127
	v_pk_mul_f32 v[126:127], v[128:129], v[118:119] op_sel:[0,1]
	v_pk_add_f32 v[86:87], v[86:87], v[130:131] neg_lo:[0,1] neg_hi:[0,1]
	s_delay_alu instid0(VALU_DEP_2) | instskip(SKIP_1) | instid1(VALU_DEP_1)
	v_pk_fma_f32 v[130:131], v[128:129], v[116:117], v[126:127] op_sel:[0,0,1] op_sel_hi:[1,1,0] neg_lo:[0,0,1] neg_hi:[0,0,1]
	v_pk_fma_f32 v[126:127], v[128:129], v[116:117], v[126:127] op_sel:[0,0,1] op_sel_hi:[1,0,0]
	v_mov_b32_e32 v131, v127
	ds_load_2addr_b64 v[126:129], v120 offset0:23 offset1:24
	v_pk_add_f32 v[40:41], v[40:41], v[130:131] neg_lo:[0,1] neg_hi:[0,1]
	s_wait_dscnt 0x0
	v_pk_mul_f32 v[130:131], v[126:127], v[118:119] op_sel:[0,1]
	s_delay_alu instid0(VALU_DEP_1) | instskip(SKIP_1) | instid1(VALU_DEP_1)
	v_pk_fma_f32 v[132:133], v[126:127], v[116:117], v[130:131] op_sel:[0,0,1] op_sel_hi:[1,1,0] neg_lo:[0,0,1] neg_hi:[0,0,1]
	v_pk_fma_f32 v[126:127], v[126:127], v[116:117], v[130:131] op_sel:[0,0,1] op_sel_hi:[1,0,0]
	v_mov_b32_e32 v133, v127
	v_pk_mul_f32 v[126:127], v[128:129], v[118:119] op_sel:[0,1]
	s_delay_alu instid0(VALU_DEP_2) | instskip(NEXT) | instid1(VALU_DEP_2)
	v_pk_add_f32 v[38:39], v[38:39], v[132:133] neg_lo:[0,1] neg_hi:[0,1]
	v_pk_fma_f32 v[130:131], v[128:129], v[116:117], v[126:127] op_sel:[0,0,1] op_sel_hi:[1,1,0] neg_lo:[0,0,1] neg_hi:[0,0,1]
	v_pk_fma_f32 v[126:127], v[128:129], v[116:117], v[126:127] op_sel:[0,0,1] op_sel_hi:[1,0,0]
	s_delay_alu instid0(VALU_DEP_1) | instskip(SKIP_4) | instid1(VALU_DEP_1)
	v_mov_b32_e32 v131, v127
	ds_load_2addr_b64 v[126:129], v120 offset0:25 offset1:26
	v_pk_add_f32 v[84:85], v[84:85], v[130:131] neg_lo:[0,1] neg_hi:[0,1]
	s_wait_dscnt 0x0
	v_pk_mul_f32 v[130:131], v[126:127], v[118:119] op_sel:[0,1]
	v_pk_fma_f32 v[132:133], v[126:127], v[116:117], v[130:131] op_sel:[0,0,1] op_sel_hi:[1,1,0] neg_lo:[0,0,1] neg_hi:[0,0,1]
	v_pk_fma_f32 v[126:127], v[126:127], v[116:117], v[130:131] op_sel:[0,0,1] op_sel_hi:[1,0,0]
	v_dual_mul_f32 v130, v129, v119 :: v_dual_mov_b32 v126, v129
	s_delay_alu instid0(VALU_DEP_2) | instskip(NEXT) | instid1(VALU_DEP_2)
	v_dual_mov_b32 v133, v127 :: v_dual_mov_b32 v127, v128
	v_pk_fma_f32 v[130:131], v[128:129], v[108:109], v[130:131] op_sel_hi:[1,1,0] neg_lo:[0,0,1] neg_hi:[0,0,1]
	v_mul_f32_e32 v128, v129, v116
	s_delay_alu instid0(VALU_DEP_3) | instskip(NEXT) | instid1(VALU_DEP_2)
	v_pk_add_f32 v[82:83], v[82:83], v[132:133] neg_lo:[0,1] neg_hi:[0,1]
	v_pk_fma_f32 v[126:127], v[126:127], v[108:109], v[128:129] op_sel_hi:[1,1,0]
	s_delay_alu instid0(VALU_DEP_1) | instskip(SKIP_4) | instid1(VALU_DEP_1)
	v_mov_b32_e32 v131, v127
	ds_load_2addr_b64 v[126:129], v120 offset0:27 offset1:28
	v_pk_add_f32 v[36:37], v[36:37], v[130:131] neg_lo:[0,1] neg_hi:[0,1]
	s_wait_dscnt 0x0
	v_pk_mul_f32 v[130:131], v[126:127], v[118:119] op_sel:[0,1]
	v_pk_fma_f32 v[132:133], v[126:127], v[116:117], v[130:131] op_sel:[0,0,1] op_sel_hi:[1,1,0] neg_lo:[0,0,1] neg_hi:[0,0,1]
	v_pk_fma_f32 v[126:127], v[126:127], v[116:117], v[130:131] op_sel:[0,0,1] op_sel_hi:[1,0,0]
	s_delay_alu instid0(VALU_DEP_1) | instskip(SKIP_1) | instid1(VALU_DEP_1)
	v_mov_b32_e32 v133, v127
	v_pk_mul_f32 v[126:127], v[128:129], v[118:119] op_sel:[0,1]
	v_pk_fma_f32 v[130:131], v[128:129], v[116:117], v[126:127] op_sel:[0,0,1] op_sel_hi:[1,1,0] neg_lo:[0,0,1] neg_hi:[0,0,1]
	v_pk_fma_f32 v[126:127], v[128:129], v[116:117], v[126:127] op_sel:[0,0,1] op_sel_hi:[1,0,0]
	s_delay_alu instid0(VALU_DEP_1)
	v_mov_b32_e32 v131, v127
	ds_load_2addr_b64 v[126:129], v120 offset0:29 offset1:30
	v_pk_add_f32 v[32:33], v[32:33], v[132:133] neg_lo:[0,1] neg_hi:[0,1]
	v_pk_add_f32 v[80:81], v[80:81], v[130:131] neg_lo:[0,1] neg_hi:[0,1]
	s_wait_dscnt 0x0
	v_pk_mul_f32 v[130:131], v[126:127], v[118:119] op_sel:[0,1]
	s_delay_alu instid0(VALU_DEP_1) | instskip(SKIP_1) | instid1(VALU_DEP_1)
	v_pk_fma_f32 v[132:133], v[126:127], v[116:117], v[130:131] op_sel:[0,0,1] op_sel_hi:[1,1,0] neg_lo:[0,0,1] neg_hi:[0,0,1]
	v_pk_fma_f32 v[126:127], v[126:127], v[116:117], v[130:131] op_sel:[0,0,1] op_sel_hi:[1,0,0]
	v_mov_b32_e32 v133, v127
	v_pk_mul_f32 v[126:127], v[128:129], v[118:119] op_sel:[0,1]
	s_delay_alu instid0(VALU_DEP_1) | instskip(SKIP_1) | instid1(VALU_DEP_1)
	v_pk_fma_f32 v[130:131], v[128:129], v[116:117], v[126:127] op_sel:[0,0,1] op_sel_hi:[1,1,0] neg_lo:[0,0,1] neg_hi:[0,0,1]
	v_pk_fma_f32 v[126:127], v[128:129], v[116:117], v[126:127] op_sel:[0,0,1] op_sel_hi:[1,0,0]
	v_mov_b32_e32 v131, v127
	ds_load_2addr_b64 v[126:129], v120 offset0:31 offset1:32
	v_pk_add_f32 v[78:79], v[78:79], v[132:133] neg_lo:[0,1] neg_hi:[0,1]
	v_pk_add_f32 v[28:29], v[28:29], v[130:131] neg_lo:[0,1] neg_hi:[0,1]
	s_wait_dscnt 0x0
	v_dual_mul_f32 v130, v127, v119 :: v_dual_mul_f32 v132, v127, v116
	s_delay_alu instid0(VALU_DEP_1) | instskip(NEXT) | instid1(VALU_DEP_2)
	v_pk_fma_f32 v[130:131], v[126:127], v[108:109], v[130:131] op_sel_hi:[1,1,0] neg_lo:[0,0,1] neg_hi:[0,0,1]
	v_pk_fma_f32 v[126:127], v[126:127], v[108:109], v[132:133] op_sel:[1,0,0] op_sel_hi:[0,1,0]
	s_delay_alu instid0(VALU_DEP_1) | instskip(SKIP_1) | instid1(VALU_DEP_2)
	v_mov_b32_e32 v131, v127
	v_pk_mul_f32 v[126:127], v[128:129], v[118:119] op_sel:[0,1]
	v_pk_add_f32 v[26:27], v[26:27], v[130:131] neg_lo:[0,1] neg_hi:[0,1]
	s_delay_alu instid0(VALU_DEP_2) | instskip(SKIP_1) | instid1(VALU_DEP_1)
	v_pk_fma_f32 v[130:131], v[128:129], v[116:117], v[126:127] op_sel:[0,0,1] op_sel_hi:[1,1,0] neg_lo:[0,0,1] neg_hi:[0,0,1]
	v_pk_fma_f32 v[126:127], v[128:129], v[116:117], v[126:127] op_sel:[0,0,1] op_sel_hi:[1,0,0]
	v_mov_b32_e32 v131, v127
	ds_load_2addr_b64 v[126:129], v120 offset0:33 offset1:34
	v_pk_add_f32 v[76:77], v[76:77], v[130:131] neg_lo:[0,1] neg_hi:[0,1]
	s_wait_dscnt 0x0
	v_pk_mul_f32 v[130:131], v[126:127], v[118:119] op_sel:[0,1]
	s_delay_alu instid0(VALU_DEP_1) | instskip(SKIP_1) | instid1(VALU_DEP_1)
	v_pk_fma_f32 v[132:133], v[126:127], v[116:117], v[130:131] op_sel:[0,0,1] op_sel_hi:[1,1,0] neg_lo:[0,0,1] neg_hi:[0,0,1]
	v_pk_fma_f32 v[126:127], v[126:127], v[116:117], v[130:131] op_sel:[0,0,1] op_sel_hi:[1,0,0]
	v_mov_b32_e32 v133, v127
	v_pk_mul_f32 v[126:127], v[128:129], v[118:119] op_sel:[0,1]
	s_delay_alu instid0(VALU_DEP_2) | instskip(NEXT) | instid1(VALU_DEP_2)
	v_pk_add_f32 v[74:75], v[74:75], v[132:133] neg_lo:[0,1] neg_hi:[0,1]
	v_pk_fma_f32 v[130:131], v[128:129], v[116:117], v[126:127] op_sel:[0,0,1] op_sel_hi:[1,1,0] neg_lo:[0,0,1] neg_hi:[0,0,1]
	v_pk_fma_f32 v[126:127], v[128:129], v[116:117], v[126:127] op_sel:[0,0,1] op_sel_hi:[1,0,0]
	s_delay_alu instid0(VALU_DEP_1) | instskip(SKIP_4) | instid1(VALU_DEP_1)
	v_mov_b32_e32 v131, v127
	ds_load_2addr_b64 v[126:129], v120 offset0:35 offset1:36
	v_pk_add_f32 v[22:23], v[22:23], v[130:131] neg_lo:[0,1] neg_hi:[0,1]
	s_wait_dscnt 0x0
	v_pk_mul_f32 v[130:131], v[126:127], v[118:119] op_sel:[0,1]
	v_pk_fma_f32 v[132:133], v[126:127], v[116:117], v[130:131] op_sel:[0,0,1] op_sel_hi:[1,1,0] neg_lo:[0,0,1] neg_hi:[0,0,1]
	v_pk_fma_f32 v[126:127], v[126:127], v[116:117], v[130:131] op_sel:[0,0,1] op_sel_hi:[1,0,0]
	v_dual_mul_f32 v130, v129, v119 :: v_dual_mov_b32 v126, v129
	s_delay_alu instid0(VALU_DEP_2) | instskip(NEXT) | instid1(VALU_DEP_2)
	v_dual_mov_b32 v133, v127 :: v_dual_mov_b32 v127, v128
	v_pk_fma_f32 v[130:131], v[128:129], v[108:109], v[130:131] op_sel_hi:[1,1,0] neg_lo:[0,0,1] neg_hi:[0,0,1]
	v_mul_f32_e32 v128, v129, v116
	s_delay_alu instid0(VALU_DEP_3) | instskip(NEXT) | instid1(VALU_DEP_2)
	v_pk_add_f32 v[20:21], v[20:21], v[132:133] neg_lo:[0,1] neg_hi:[0,1]
	v_pk_fma_f32 v[126:127], v[126:127], v[108:109], v[128:129] op_sel_hi:[1,1,0]
	s_delay_alu instid0(VALU_DEP_1) | instskip(SKIP_4) | instid1(VALU_DEP_1)
	v_mov_b32_e32 v131, v127
	ds_load_2addr_b64 v[126:129], v120 offset0:37 offset1:38
	v_pk_add_f32 v[72:73], v[72:73], v[130:131] neg_lo:[0,1] neg_hi:[0,1]
	s_wait_dscnt 0x0
	v_pk_mul_f32 v[130:131], v[126:127], v[118:119] op_sel:[0,1]
	v_pk_fma_f32 v[132:133], v[126:127], v[116:117], v[130:131] op_sel:[0,0,1] op_sel_hi:[1,1,0] neg_lo:[0,0,1] neg_hi:[0,0,1]
	v_pk_fma_f32 v[126:127], v[126:127], v[116:117], v[130:131] op_sel:[0,0,1] op_sel_hi:[1,0,0]
	s_delay_alu instid0(VALU_DEP_1) | instskip(SKIP_1) | instid1(VALU_DEP_1)
	v_mov_b32_e32 v133, v127
	v_pk_mul_f32 v[126:127], v[128:129], v[118:119] op_sel:[0,1]
	v_pk_fma_f32 v[130:131], v[128:129], v[116:117], v[126:127] op_sel:[0,0,1] op_sel_hi:[1,1,0] neg_lo:[0,0,1] neg_hi:[0,0,1]
	v_pk_fma_f32 v[126:127], v[128:129], v[116:117], v[126:127] op_sel:[0,0,1] op_sel_hi:[1,0,0]
	s_delay_alu instid0(VALU_DEP_1)
	v_mov_b32_e32 v131, v127
	ds_load_2addr_b64 v[126:129], v120 offset0:39 offset1:40
	v_pk_add_f32 v[70:71], v[70:71], v[132:133] neg_lo:[0,1] neg_hi:[0,1]
	v_pk_add_f32 v[18:19], v[18:19], v[130:131] neg_lo:[0,1] neg_hi:[0,1]
	s_wait_dscnt 0x0
	v_pk_mul_f32 v[130:131], v[126:127], v[118:119] op_sel:[0,1]
	s_delay_alu instid0(VALU_DEP_1) | instskip(SKIP_1) | instid1(VALU_DEP_1)
	v_pk_fma_f32 v[132:133], v[126:127], v[116:117], v[130:131] op_sel:[0,0,1] op_sel_hi:[1,1,0] neg_lo:[0,0,1] neg_hi:[0,0,1]
	v_pk_fma_f32 v[126:127], v[126:127], v[116:117], v[130:131] op_sel:[0,0,1] op_sel_hi:[1,0,0]
	v_mov_b32_e32 v133, v127
	v_pk_mul_f32 v[126:127], v[128:129], v[118:119] op_sel:[0,1]
	s_delay_alu instid0(VALU_DEP_1) | instskip(SKIP_1) | instid1(VALU_DEP_1)
	v_pk_fma_f32 v[130:131], v[128:129], v[116:117], v[126:127] op_sel:[0,0,1] op_sel_hi:[1,1,0] neg_lo:[0,0,1] neg_hi:[0,0,1]
	v_pk_fma_f32 v[126:127], v[128:129], v[116:117], v[126:127] op_sel:[0,0,1] op_sel_hi:[1,0,0]
	v_mov_b32_e32 v131, v127
	ds_load_2addr_b64 v[126:129], v120 offset0:41 offset1:42
	v_pk_add_f32 v[16:17], v[16:17], v[132:133] neg_lo:[0,1] neg_hi:[0,1]
	v_pk_add_f32 v[68:69], v[68:69], v[130:131] neg_lo:[0,1] neg_hi:[0,1]
	s_wait_dscnt 0x0
	v_dual_mul_f32 v130, v127, v119 :: v_dual_mul_f32 v132, v127, v116
	s_delay_alu instid0(VALU_DEP_1) | instskip(NEXT) | instid1(VALU_DEP_2)
	v_pk_fma_f32 v[130:131], v[126:127], v[108:109], v[130:131] op_sel_hi:[1,1,0] neg_lo:[0,0,1] neg_hi:[0,0,1]
	v_pk_fma_f32 v[126:127], v[126:127], v[108:109], v[132:133] op_sel:[1,0,0] op_sel_hi:[0,1,0]
	s_delay_alu instid0(VALU_DEP_1) | instskip(SKIP_1) | instid1(VALU_DEP_2)
	v_mov_b32_e32 v131, v127
	v_pk_mul_f32 v[126:127], v[128:129], v[118:119] op_sel:[0,1]
	v_pk_add_f32 v[66:67], v[66:67], v[130:131] neg_lo:[0,1] neg_hi:[0,1]
	s_delay_alu instid0(VALU_DEP_2) | instskip(SKIP_1) | instid1(VALU_DEP_1)
	v_pk_fma_f32 v[130:131], v[128:129], v[116:117], v[126:127] op_sel:[0,0,1] op_sel_hi:[1,1,0] neg_lo:[0,0,1] neg_hi:[0,0,1]
	v_pk_fma_f32 v[126:127], v[128:129], v[116:117], v[126:127] op_sel:[0,0,1] op_sel_hi:[1,0,0]
	v_mov_b32_e32 v131, v127
	ds_load_2addr_b64 v[126:129], v120 offset0:43 offset1:44
	v_pk_add_f32 v[14:15], v[14:15], v[130:131] neg_lo:[0,1] neg_hi:[0,1]
	s_wait_dscnt 0x0
	v_pk_mul_f32 v[130:131], v[126:127], v[118:119] op_sel:[0,1]
	s_delay_alu instid0(VALU_DEP_1) | instskip(SKIP_1) | instid1(VALU_DEP_1)
	v_pk_fma_f32 v[132:133], v[126:127], v[116:117], v[130:131] op_sel:[0,0,1] op_sel_hi:[1,1,0] neg_lo:[0,0,1] neg_hi:[0,0,1]
	v_pk_fma_f32 v[126:127], v[126:127], v[116:117], v[130:131] op_sel:[0,0,1] op_sel_hi:[1,0,0]
	v_mov_b32_e32 v133, v127
	v_pk_mul_f32 v[126:127], v[128:129], v[118:119] op_sel:[0,1]
	s_delay_alu instid0(VALU_DEP_2) | instskip(NEXT) | instid1(VALU_DEP_2)
	v_pk_add_f32 v[12:13], v[12:13], v[132:133] neg_lo:[0,1] neg_hi:[0,1]
	v_pk_fma_f32 v[130:131], v[128:129], v[116:117], v[126:127] op_sel:[0,0,1] op_sel_hi:[1,1,0] neg_lo:[0,0,1] neg_hi:[0,0,1]
	v_pk_fma_f32 v[126:127], v[128:129], v[116:117], v[126:127] op_sel:[0,0,1] op_sel_hi:[1,0,0]
	s_delay_alu instid0(VALU_DEP_1) | instskip(SKIP_4) | instid1(VALU_DEP_1)
	v_mov_b32_e32 v131, v127
	ds_load_2addr_b64 v[126:129], v120 offset0:45 offset1:46
	v_pk_add_f32 v[64:65], v[64:65], v[130:131] neg_lo:[0,1] neg_hi:[0,1]
	s_wait_dscnt 0x0
	v_pk_mul_f32 v[130:131], v[126:127], v[118:119] op_sel:[0,1]
	v_pk_fma_f32 v[132:133], v[126:127], v[116:117], v[130:131] op_sel:[0,0,1] op_sel_hi:[1,1,0] neg_lo:[0,0,1] neg_hi:[0,0,1]
	v_pk_fma_f32 v[126:127], v[126:127], v[116:117], v[130:131] op_sel:[0,0,1] op_sel_hi:[1,0,0]
	v_dual_mul_f32 v130, v129, v119 :: v_dual_mov_b32 v126, v129
	s_delay_alu instid0(VALU_DEP_2) | instskip(NEXT) | instid1(VALU_DEP_2)
	v_dual_mov_b32 v133, v127 :: v_dual_mov_b32 v127, v128
	v_pk_fma_f32 v[130:131], v[128:129], v[108:109], v[130:131] op_sel_hi:[1,1,0] neg_lo:[0,0,1] neg_hi:[0,0,1]
	v_mul_f32_e32 v128, v129, v116
	s_delay_alu instid0(VALU_DEP_3) | instskip(NEXT) | instid1(VALU_DEP_2)
	v_pk_add_f32 v[62:63], v[62:63], v[132:133] neg_lo:[0,1] neg_hi:[0,1]
	v_pk_fma_f32 v[126:127], v[126:127], v[108:109], v[128:129] op_sel_hi:[1,1,0]
	s_delay_alu instid0(VALU_DEP_1) | instskip(SKIP_4) | instid1(VALU_DEP_1)
	v_mov_b32_e32 v131, v127
	ds_load_2addr_b64 v[126:129], v120 offset0:47 offset1:48
	v_pk_add_f32 v[10:11], v[10:11], v[130:131] neg_lo:[0,1] neg_hi:[0,1]
	s_wait_dscnt 0x0
	v_pk_mul_f32 v[130:131], v[126:127], v[118:119] op_sel:[0,1]
	v_pk_fma_f32 v[132:133], v[126:127], v[116:117], v[130:131] op_sel:[0,0,1] op_sel_hi:[1,1,0] neg_lo:[0,0,1] neg_hi:[0,0,1]
	v_pk_fma_f32 v[126:127], v[126:127], v[116:117], v[130:131] op_sel:[0,0,1] op_sel_hi:[1,0,0]
	s_delay_alu instid0(VALU_DEP_1) | instskip(SKIP_1) | instid1(VALU_DEP_1)
	v_mov_b32_e32 v133, v127
	v_pk_mul_f32 v[126:127], v[128:129], v[118:119] op_sel:[0,1]
	v_pk_fma_f32 v[130:131], v[128:129], v[116:117], v[126:127] op_sel:[0,0,1] op_sel_hi:[1,1,0] neg_lo:[0,0,1] neg_hi:[0,0,1]
	v_pk_fma_f32 v[126:127], v[128:129], v[116:117], v[126:127] op_sel:[0,0,1] op_sel_hi:[1,0,0]
	s_delay_alu instid0(VALU_DEP_1)
	v_mov_b32_e32 v131, v127
	ds_load_2addr_b64 v[126:129], v120 offset0:49 offset1:50
	v_pk_add_f32 v[6:7], v[6:7], v[132:133] neg_lo:[0,1] neg_hi:[0,1]
	v_pk_add_f32 v[52:53], v[52:53], v[130:131] neg_lo:[0,1] neg_hi:[0,1]
	s_wait_dscnt 0x0
	v_pk_mul_f32 v[130:131], v[126:127], v[118:119] op_sel:[0,1]
	s_delay_alu instid0(VALU_DEP_1) | instskip(SKIP_1) | instid1(VALU_DEP_1)
	v_pk_fma_f32 v[132:133], v[126:127], v[116:117], v[130:131] op_sel:[0,0,1] op_sel_hi:[1,1,0] neg_lo:[0,0,1] neg_hi:[0,0,1]
	v_pk_fma_f32 v[126:127], v[126:127], v[116:117], v[130:131] op_sel:[0,0,1] op_sel_hi:[1,0,0]
	v_mov_b32_e32 v133, v127
	v_pk_mul_f32 v[126:127], v[128:129], v[118:119] op_sel:[0,1]
	s_delay_alu instid0(VALU_DEP_1) | instskip(SKIP_1) | instid1(VALU_DEP_1)
	v_pk_fma_f32 v[130:131], v[128:129], v[116:117], v[126:127] op_sel:[0,0,1] op_sel_hi:[1,1,0] neg_lo:[0,0,1] neg_hi:[0,0,1]
	v_pk_fma_f32 v[126:127], v[128:129], v[116:117], v[126:127] op_sel:[0,0,1] op_sel_hi:[1,0,0]
	v_mov_b32_e32 v131, v127
	ds_load_2addr_b64 v[126:129], v120 offset0:51 offset1:52
	v_pk_add_f32 v[50:51], v[50:51], v[132:133] neg_lo:[0,1] neg_hi:[0,1]
	v_pk_add_f32 v[8:9], v[8:9], v[130:131] neg_lo:[0,1] neg_hi:[0,1]
	s_wait_dscnt 0x0
	v_dual_mul_f32 v130, v127, v119 :: v_dual_mul_f32 v132, v127, v116
	s_delay_alu instid0(VALU_DEP_1) | instskip(NEXT) | instid1(VALU_DEP_2)
	v_pk_fma_f32 v[130:131], v[126:127], v[108:109], v[130:131] op_sel_hi:[1,1,0] neg_lo:[0,0,1] neg_hi:[0,0,1]
	v_pk_fma_f32 v[126:127], v[126:127], v[108:109], v[132:133] op_sel:[1,0,0] op_sel_hi:[0,1,0]
	s_delay_alu instid0(VALU_DEP_1) | instskip(SKIP_1) | instid1(VALU_DEP_2)
	v_mov_b32_e32 v131, v127
	v_pk_mul_f32 v[126:127], v[128:129], v[118:119] op_sel:[0,1]
	v_pk_add_f32 v[30:31], v[30:31], v[130:131] neg_lo:[0,1] neg_hi:[0,1]
	s_delay_alu instid0(VALU_DEP_2) | instskip(SKIP_1) | instid1(VALU_DEP_1)
	v_pk_fma_f32 v[130:131], v[128:129], v[116:117], v[126:127] op_sel:[0,0,1] op_sel_hi:[1,1,0] neg_lo:[0,0,1] neg_hi:[0,0,1]
	v_pk_fma_f32 v[126:127], v[128:129], v[116:117], v[126:127] op_sel:[0,0,1] op_sel_hi:[1,0,0]
	v_mov_b32_e32 v131, v127
	ds_load_2addr_b64 v[126:129], v120 offset0:53 offset1:54
	v_pk_add_f32 v[34:35], v[34:35], v[130:131] neg_lo:[0,1] neg_hi:[0,1]
	s_wait_dscnt 0x0
	v_pk_mul_f32 v[130:131], v[126:127], v[118:119] op_sel:[0,1]
	v_pk_mul_f32 v[118:119], v[128:129], v[118:119] op_sel:[0,1]
	s_delay_alu instid0(VALU_DEP_2) | instskip(SKIP_1) | instid1(VALU_DEP_1)
	v_pk_fma_f32 v[132:133], v[126:127], v[116:117], v[130:131] op_sel:[0,0,1] op_sel_hi:[1,1,0] neg_lo:[0,0,1] neg_hi:[0,0,1]
	v_pk_fma_f32 v[126:127], v[126:127], v[116:117], v[130:131] op_sel:[0,0,1] op_sel_hi:[1,0,0]
	v_mov_b32_e32 v133, v127
	s_delay_alu instid0(VALU_DEP_4) | instskip(SKIP_1) | instid1(VALU_DEP_3)
	v_pk_fma_f32 v[126:127], v[128:129], v[116:117], v[118:119] op_sel:[0,0,1] op_sel_hi:[1,1,0] neg_lo:[0,0,1] neg_hi:[0,0,1]
	v_pk_fma_f32 v[116:117], v[128:129], v[116:117], v[118:119] op_sel:[0,0,1] op_sel_hi:[1,0,0]
	v_pk_add_f32 v[24:25], v[24:25], v[132:133] neg_lo:[0,1] neg_hi:[0,1]
	s_delay_alu instid0(VALU_DEP_2) | instskip(NEXT) | instid1(VALU_DEP_1)
	v_mov_b32_e32 v127, v117
	v_pk_add_f32 v[114:115], v[114:115], v[126:127] neg_lo:[0,1] neg_hi:[0,1]
.LBB108_62:
	s_or_b32 exec_lo, exec_lo, s0
	v_lshl_add_u32 v116, v124, 3, v120
	s_barrier_signal -1
	s_barrier_wait -1
	ds_store_b64 v116, v[106:107]
	s_wait_dscnt 0x0
	s_barrier_signal -1
	s_barrier_wait -1
	ds_load_b64 v[118:119], v120 offset:24
	v_mov_b32_e32 v116, 3
	s_cmp_lt_i32 s18, 5
	s_cbranch_scc1 .LBB108_65
; %bb.63:
	v_mov_b32_e32 v116, 3
	v_add3_u32 v117, v121, 0, 32
	s_mov_b32 s0, 4
.LBB108_64:                             ; =>This Inner Loop Header: Depth=1
	ds_load_b64 v[126:127], v117
	s_wait_dscnt 0x1
	v_cmp_gt_f32_e32 vcc_lo, 0, v118
	v_cndmask_b32_e64 v128, v118, -v118, vcc_lo
	v_cmp_gt_f32_e32 vcc_lo, 0, v119
	v_cndmask_b32_e64 v130, v119, -v119, vcc_lo
	s_wait_dscnt 0x0
	v_cmp_gt_f32_e32 vcc_lo, 0, v126
	v_cndmask_b32_e64 v129, v126, -v126, vcc_lo
	v_cmp_gt_f32_e32 vcc_lo, 0, v127
	v_cndmask_b32_e64 v131, v127, -v127, vcc_lo
	s_delay_alu instid0(VALU_DEP_1) | instskip(NEXT) | instid1(VALU_DEP_1)
	v_pk_add_f32 v[128:129], v[128:129], v[130:131]
	v_cmp_lt_f32_e32 vcc_lo, v128, v129
	v_dual_add_nc_u32 v117, 8, v117 :: v_dual_cndmask_b32 v119, v119, v127, vcc_lo
	v_cndmask_b32_e32 v118, v118, v126, vcc_lo
	v_cndmask_b32_e64 v116, v116, s0, vcc_lo
	s_add_co_i32 s0, s0, 1
	s_delay_alu instid0(SALU_CYCLE_1)
	s_cmp_lg_u32 s18, s0
	s_cbranch_scc1 .LBB108_64
.LBB108_65:
	s_wait_dscnt 0x0
	v_cmp_eq_f32_e32 vcc_lo, 0, v118
	v_cmp_eq_f32_e64 s0, 0, v119
	s_and_b32 s0, vcc_lo, s0
	s_delay_alu instid0(SALU_CYCLE_1) | instskip(NEXT) | instid1(SALU_CYCLE_1)
	s_and_saveexec_b32 s1, s0
	s_xor_b32 s0, exec_lo, s1
; %bb.66:
	v_cmp_ne_u32_e32 vcc_lo, 0, v122
	v_cndmask_b32_e32 v122, 4, v122, vcc_lo
; %bb.67:
	s_and_not1_saveexec_b32 s0, s0
	s_cbranch_execz .LBB108_73
; %bb.68:
	v_cmp_ngt_f32_e64 s1, |v118|, |v119|
	s_and_saveexec_b32 s12, s1
	s_delay_alu instid0(SALU_CYCLE_1)
	s_xor_b32 s1, exec_lo, s12
	s_cbranch_execz .LBB108_70
; %bb.69:
	v_div_scale_f32 v117, null, v119, v119, v118
	v_div_scale_f32 v127, vcc_lo, v118, v119, v118
	s_delay_alu instid0(VALU_DEP_2) | instskip(SKIP_1) | instid1(TRANS32_DEP_1)
	v_rcp_f32_e32 v125, v117
	v_nop
	v_fma_f32 v126, -v117, v125, 1.0
	s_delay_alu instid0(VALU_DEP_1) | instskip(NEXT) | instid1(VALU_DEP_1)
	v_fmac_f32_e32 v125, v126, v125
	v_mul_f32_e32 v126, v127, v125
	s_delay_alu instid0(VALU_DEP_1) | instskip(NEXT) | instid1(VALU_DEP_1)
	v_fma_f32 v128, -v117, v126, v127
	v_fmac_f32_e32 v126, v128, v125
	s_delay_alu instid0(VALU_DEP_1) | instskip(NEXT) | instid1(VALU_DEP_1)
	v_fma_f32 v117, -v117, v126, v127
	v_div_fmas_f32 v117, v117, v125, v126
	s_delay_alu instid0(VALU_DEP_1) | instskip(NEXT) | instid1(VALU_DEP_1)
	v_div_fixup_f32 v117, v117, v119, v118
	v_fmac_f32_e32 v119, v118, v117
	s_delay_alu instid0(VALU_DEP_1) | instskip(SKIP_1) | instid1(VALU_DEP_2)
	v_div_scale_f32 v118, null, v119, v119, 1.0
	v_div_scale_f32 v127, vcc_lo, 1.0, v119, 1.0
	v_rcp_f32_e32 v125, v118
	v_nop
	s_delay_alu instid0(TRANS32_DEP_1) | instskip(NEXT) | instid1(VALU_DEP_1)
	v_fma_f32 v126, -v118, v125, 1.0
	v_fmac_f32_e32 v125, v126, v125
	s_delay_alu instid0(VALU_DEP_1) | instskip(NEXT) | instid1(VALU_DEP_1)
	v_mul_f32_e32 v126, v127, v125
	v_fma_f32 v128, -v118, v126, v127
	s_delay_alu instid0(VALU_DEP_1) | instskip(NEXT) | instid1(VALU_DEP_1)
	v_fmac_f32_e32 v126, v128, v125
	v_fma_f32 v118, -v118, v126, v127
	s_delay_alu instid0(VALU_DEP_1) | instskip(NEXT) | instid1(VALU_DEP_1)
	v_div_fmas_f32 v118, v118, v125, v126
	v_div_fixup_f32 v119, v118, v119, 1.0
	s_delay_alu instid0(VALU_DEP_1)
	v_mul_f32_e32 v118, v117, v119
	v_xor_b32_e32 v119, 0x80000000, v119
.LBB108_70:
	s_and_not1_saveexec_b32 s1, s1
	s_cbranch_execz .LBB108_72
; %bb.71:
	s_delay_alu instid0(VALU_DEP_1) | instskip(SKIP_1) | instid1(VALU_DEP_2)
	v_div_scale_f32 v117, null, v118, v118, v119
	v_div_scale_f32 v127, vcc_lo, v119, v118, v119
	v_rcp_f32_e32 v125, v117
	v_nop
	s_delay_alu instid0(TRANS32_DEP_1) | instskip(NEXT) | instid1(VALU_DEP_1)
	v_fma_f32 v126, -v117, v125, 1.0
	v_fmac_f32_e32 v125, v126, v125
	s_delay_alu instid0(VALU_DEP_1) | instskip(NEXT) | instid1(VALU_DEP_1)
	v_mul_f32_e32 v126, v127, v125
	v_fma_f32 v128, -v117, v126, v127
	s_delay_alu instid0(VALU_DEP_1) | instskip(NEXT) | instid1(VALU_DEP_1)
	v_fmac_f32_e32 v126, v128, v125
	v_fma_f32 v117, -v117, v126, v127
	s_delay_alu instid0(VALU_DEP_1) | instskip(NEXT) | instid1(VALU_DEP_1)
	v_div_fmas_f32 v117, v117, v125, v126
	v_div_fixup_f32 v117, v117, v118, v119
	s_delay_alu instid0(VALU_DEP_1) | instskip(NEXT) | instid1(VALU_DEP_1)
	v_fmac_f32_e32 v118, v119, v117
	v_div_scale_f32 v119, null, v118, v118, 1.0
	s_delay_alu instid0(VALU_DEP_1) | instskip(SKIP_1) | instid1(TRANS32_DEP_1)
	v_rcp_f32_e32 v125, v119
	v_nop
	v_fma_f32 v126, -v119, v125, 1.0
	s_delay_alu instid0(VALU_DEP_1) | instskip(SKIP_1) | instid1(VALU_DEP_1)
	v_fmac_f32_e32 v125, v126, v125
	v_div_scale_f32 v126, vcc_lo, 1.0, v118, 1.0
	v_mul_f32_e32 v127, v126, v125
	s_delay_alu instid0(VALU_DEP_1) | instskip(NEXT) | instid1(VALU_DEP_1)
	v_fma_f32 v128, -v119, v127, v126
	v_fmac_f32_e32 v127, v128, v125
	s_delay_alu instid0(VALU_DEP_1) | instskip(NEXT) | instid1(VALU_DEP_1)
	v_fma_f32 v119, -v119, v127, v126
	v_div_fmas_f32 v119, v119, v125, v127
	s_delay_alu instid0(VALU_DEP_1) | instskip(NEXT) | instid1(VALU_DEP_1)
	v_div_fixup_f32 v118, v119, v118, 1.0
	v_mul_f32_e64 v119, v117, -v118
.LBB108_72:
	s_or_b32 exec_lo, exec_lo, s1
.LBB108_73:
	s_delay_alu instid0(SALU_CYCLE_1) | instskip(NEXT) | instid1(SALU_CYCLE_1)
	s_or_b32 exec_lo, exec_lo, s0
	s_mov_b32 s0, exec_lo
	v_cmpx_ne_u32_e64 v124, v116
	s_xor_b32 s0, exec_lo, s0
	s_cbranch_execz .LBB108_79
; %bb.74:
	s_mov_b32 s1, exec_lo
	v_cmpx_eq_u32_e32 3, v124
	s_cbranch_execz .LBB108_78
; %bb.75:
	v_cmp_ne_u32_e32 vcc_lo, 3, v116
	s_xor_b32 s12, s16, -1
	s_delay_alu instid0(SALU_CYCLE_1) | instskip(NEXT) | instid1(SALU_CYCLE_1)
	s_and_b32 s13, s12, vcc_lo
	s_and_saveexec_b32 s12, s13
	s_cbranch_execz .LBB108_77
; %bb.76:
	v_ashrrev_i32_e32 v117, 31, v116
	s_delay_alu instid0(VALU_DEP_1)
	v_lshl_add_u64 v[124:125], v[116:117], 2, v[4:5]
	s_clause 0x1
	global_load_b32 v117, v[124:125], off
	global_load_b32 v123, v[4:5], off offset:12
	s_wait_loadcnt 0x1
	global_store_b32 v[4:5], v117, off offset:12
	s_wait_loadcnt 0x0
	global_store_b32 v[124:125], v123, off
.LBB108_77:
	s_wait_xcnt 0x0
	s_or_b32 exec_lo, exec_lo, s12
	v_dual_mov_b32 v124, v116 :: v_dual_mov_b32 v123, v116
.LBB108_78:
	s_or_b32 exec_lo, exec_lo, s1
.LBB108_79:
	s_and_not1_saveexec_b32 s0, s0
	s_cbranch_execz .LBB108_81
; %bb.80:
	v_dual_mov_b32 v116, v96 :: v_dual_mov_b32 v117, v97
	v_dual_mov_b32 v124, v94 :: v_dual_mov_b32 v125, v95
	ds_store_2addr_b64 v120, v[116:117], v[124:125] offset0:4 offset1:5
	v_dual_mov_b32 v116, v48 :: v_dual_mov_b32 v117, v49
	v_dual_mov_b32 v124, v46 :: v_dual_mov_b32 v125, v47
	ds_store_2addr_b64 v120, v[116:117], v[124:125] offset0:6 offset1:7
	;; [unrolled: 3-line block ×25, first 2 shown]
	ds_store_b64 v120, v[114:115] offset:432
	v_mov_b32_e32 v124, 3
.LBB108_81:
	s_or_b32 exec_lo, exec_lo, s0
	s_delay_alu instid0(SALU_CYCLE_1)
	s_mov_b32 s0, exec_lo
	s_wait_storecnt_dscnt 0x0
	s_barrier_signal -1
	s_barrier_wait -1
	v_cmpx_lt_i32_e32 3, v124
	s_cbranch_execz .LBB108_83
; %bb.82:
	v_pk_mul_f32 v[126:127], v[118:119], v[106:107] op_sel:[1,1] op_sel_hi:[0,1]
	s_delay_alu instid0(VALU_DEP_1)
	v_pk_fma_f32 v[116:117], v[118:119], v[106:107], v[126:127] op_sel_hi:[1,0,1] neg_lo:[0,0,1] neg_hi:[0,0,1]
	v_pk_fma_f32 v[118:119], v[118:119], v[106:107], v[126:127] op_sel_hi:[1,0,1]
	ds_load_2addr_b64 v[126:129], v120 offset0:4 offset1:5
	v_dual_mov_b32 v106, v116 :: v_dual_mov_b32 v107, v119
	s_wait_dscnt 0x0
	v_pk_mul_f32 v[130:131], v[126:127], v[118:119] op_sel:[0,1]
	s_delay_alu instid0(VALU_DEP_1) | instskip(SKIP_1) | instid1(VALU_DEP_1)
	v_pk_fma_f32 v[132:133], v[126:127], v[116:117], v[130:131] op_sel:[0,0,1] op_sel_hi:[1,1,0] neg_lo:[0,0,1] neg_hi:[0,0,1]
	v_pk_fma_f32 v[126:127], v[126:127], v[116:117], v[130:131] op_sel:[0,0,1] op_sel_hi:[1,0,0]
	v_mov_b32_e32 v133, v127
	v_pk_mul_f32 v[126:127], v[128:129], v[118:119] op_sel:[0,1]
	s_delay_alu instid0(VALU_DEP_1) | instskip(SKIP_1) | instid1(VALU_DEP_1)
	v_pk_fma_f32 v[130:131], v[128:129], v[116:117], v[126:127] op_sel:[0,0,1] op_sel_hi:[1,1,0] neg_lo:[0,0,1] neg_hi:[0,0,1]
	v_pk_fma_f32 v[126:127], v[128:129], v[116:117], v[126:127] op_sel:[0,0,1] op_sel_hi:[1,0,0]
	v_mov_b32_e32 v131, v127
	ds_load_2addr_b64 v[126:129], v120 offset0:6 offset1:7
	v_pk_add_f32 v[96:97], v[96:97], v[132:133] neg_lo:[0,1] neg_hi:[0,1]
	v_pk_add_f32 v[94:95], v[94:95], v[130:131] neg_lo:[0,1] neg_hi:[0,1]
	s_wait_dscnt 0x0
	v_pk_mul_f32 v[130:131], v[126:127], v[118:119] op_sel:[0,1]
	s_delay_alu instid0(VALU_DEP_1) | instskip(SKIP_2) | instid1(VALU_DEP_2)
	v_pk_fma_f32 v[132:133], v[126:127], v[116:117], v[130:131] op_sel:[0,0,1] op_sel_hi:[1,1,0] neg_lo:[0,0,1] neg_hi:[0,0,1]
	v_pk_fma_f32 v[126:127], v[126:127], v[116:117], v[130:131] op_sel:[0,0,1] op_sel_hi:[1,0,0]
	v_dual_mul_f32 v130, v129, v119 :: v_dual_mov_b32 v126, v129
	v_dual_mov_b32 v133, v127 :: v_dual_mov_b32 v127, v128
	s_delay_alu instid0(VALU_DEP_2) | instskip(SKIP_1) | instid1(VALU_DEP_3)
	v_pk_fma_f32 v[130:131], v[128:129], v[106:107], v[130:131] op_sel_hi:[1,1,0] neg_lo:[0,0,1] neg_hi:[0,0,1]
	v_mul_f32_e32 v128, v129, v116
	v_pk_add_f32 v[48:49], v[48:49], v[132:133] neg_lo:[0,1] neg_hi:[0,1]
	s_delay_alu instid0(VALU_DEP_2) | instskip(NEXT) | instid1(VALU_DEP_1)
	v_pk_fma_f32 v[126:127], v[126:127], v[106:107], v[128:129] op_sel_hi:[1,1,0]
	v_mov_b32_e32 v131, v127
	ds_load_2addr_b64 v[126:129], v120 offset0:8 offset1:9
	v_pk_add_f32 v[46:47], v[46:47], v[130:131] neg_lo:[0,1] neg_hi:[0,1]
	s_wait_dscnt 0x0
	v_pk_mul_f32 v[130:131], v[126:127], v[118:119] op_sel:[0,1]
	s_delay_alu instid0(VALU_DEP_1) | instskip(SKIP_1) | instid1(VALU_DEP_1)
	v_pk_fma_f32 v[132:133], v[126:127], v[116:117], v[130:131] op_sel:[0,0,1] op_sel_hi:[1,1,0] neg_lo:[0,0,1] neg_hi:[0,0,1]
	v_pk_fma_f32 v[126:127], v[126:127], v[116:117], v[130:131] op_sel:[0,0,1] op_sel_hi:[1,0,0]
	v_mov_b32_e32 v133, v127
	v_pk_mul_f32 v[126:127], v[128:129], v[118:119] op_sel:[0,1]
	s_delay_alu instid0(VALU_DEP_1) | instskip(SKIP_1) | instid1(VALU_DEP_1)
	v_pk_fma_f32 v[130:131], v[128:129], v[116:117], v[126:127] op_sel:[0,0,1] op_sel_hi:[1,1,0] neg_lo:[0,0,1] neg_hi:[0,0,1]
	v_pk_fma_f32 v[126:127], v[128:129], v[116:117], v[126:127] op_sel:[0,0,1] op_sel_hi:[1,0,0]
	v_mov_b32_e32 v131, v127
	ds_load_2addr_b64 v[126:129], v120 offset0:10 offset1:11
	v_pk_add_f32 v[104:105], v[104:105], v[132:133] neg_lo:[0,1] neg_hi:[0,1]
	v_pk_add_f32 v[102:103], v[102:103], v[130:131] neg_lo:[0,1] neg_hi:[0,1]
	s_wait_dscnt 0x0
	v_pk_mul_f32 v[130:131], v[126:127], v[118:119] op_sel:[0,1]
	s_delay_alu instid0(VALU_DEP_1) | instskip(SKIP_1) | instid1(VALU_DEP_1)
	v_pk_fma_f32 v[132:133], v[126:127], v[116:117], v[130:131] op_sel:[0,0,1] op_sel_hi:[1,1,0] neg_lo:[0,0,1] neg_hi:[0,0,1]
	v_pk_fma_f32 v[126:127], v[126:127], v[116:117], v[130:131] op_sel:[0,0,1] op_sel_hi:[1,0,0]
	v_mov_b32_e32 v133, v127
	v_pk_mul_f32 v[126:127], v[128:129], v[118:119] op_sel:[0,1]
	s_delay_alu instid0(VALU_DEP_1) | instskip(SKIP_1) | instid1(VALU_DEP_1)
	v_pk_fma_f32 v[130:131], v[128:129], v[116:117], v[126:127] op_sel:[0,0,1] op_sel_hi:[1,1,0] neg_lo:[0,0,1] neg_hi:[0,0,1]
	v_pk_fma_f32 v[126:127], v[128:129], v[116:117], v[126:127] op_sel:[0,0,1] op_sel_hi:[1,0,0]
	v_mov_b32_e32 v131, v127
	ds_load_2addr_b64 v[126:129], v120 offset0:12 offset1:13
	v_pk_add_f32 v[60:61], v[60:61], v[132:133] neg_lo:[0,1] neg_hi:[0,1]
	v_pk_add_f32 v[58:59], v[58:59], v[130:131] neg_lo:[0,1] neg_hi:[0,1]
	s_wait_dscnt 0x0
	v_dual_mul_f32 v130, v127, v119 :: v_dual_mul_f32 v132, v127, v116
	s_delay_alu instid0(VALU_DEP_1) | instskip(NEXT) | instid1(VALU_DEP_2)
	v_pk_fma_f32 v[130:131], v[126:127], v[106:107], v[130:131] op_sel_hi:[1,1,0] neg_lo:[0,0,1] neg_hi:[0,0,1]
	v_pk_fma_f32 v[126:127], v[126:127], v[106:107], v[132:133] op_sel:[1,0,0] op_sel_hi:[0,1,0]
	s_delay_alu instid0(VALU_DEP_1) | instskip(SKIP_1) | instid1(VALU_DEP_2)
	v_mov_b32_e32 v131, v127
	v_pk_mul_f32 v[126:127], v[128:129], v[118:119] op_sel:[0,1]
	v_pk_add_f32 v[100:101], v[100:101], v[130:131] neg_lo:[0,1] neg_hi:[0,1]
	s_delay_alu instid0(VALU_DEP_2) | instskip(SKIP_1) | instid1(VALU_DEP_1)
	v_pk_fma_f32 v[130:131], v[128:129], v[116:117], v[126:127] op_sel:[0,0,1] op_sel_hi:[1,1,0] neg_lo:[0,0,1] neg_hi:[0,0,1]
	v_pk_fma_f32 v[126:127], v[128:129], v[116:117], v[126:127] op_sel:[0,0,1] op_sel_hi:[1,0,0]
	v_mov_b32_e32 v131, v127
	ds_load_2addr_b64 v[126:129], v120 offset0:14 offset1:15
	v_pk_add_f32 v[98:99], v[98:99], v[130:131] neg_lo:[0,1] neg_hi:[0,1]
	s_wait_dscnt 0x0
	v_pk_mul_f32 v[130:131], v[126:127], v[118:119] op_sel:[0,1]
	s_delay_alu instid0(VALU_DEP_1) | instskip(SKIP_1) | instid1(VALU_DEP_1)
	v_pk_fma_f32 v[132:133], v[126:127], v[116:117], v[130:131] op_sel:[0,0,1] op_sel_hi:[1,1,0] neg_lo:[0,0,1] neg_hi:[0,0,1]
	v_pk_fma_f32 v[126:127], v[126:127], v[116:117], v[130:131] op_sel:[0,0,1] op_sel_hi:[1,0,0]
	v_mov_b32_e32 v133, v127
	v_pk_mul_f32 v[126:127], v[128:129], v[118:119] op_sel:[0,1]
	s_delay_alu instid0(VALU_DEP_2) | instskip(NEXT) | instid1(VALU_DEP_2)
	v_pk_add_f32 v[56:57], v[56:57], v[132:133] neg_lo:[0,1] neg_hi:[0,1]
	v_pk_fma_f32 v[130:131], v[128:129], v[116:117], v[126:127] op_sel:[0,0,1] op_sel_hi:[1,1,0] neg_lo:[0,0,1] neg_hi:[0,0,1]
	v_pk_fma_f32 v[126:127], v[128:129], v[116:117], v[126:127] op_sel:[0,0,1] op_sel_hi:[1,0,0]
	s_delay_alu instid0(VALU_DEP_1) | instskip(SKIP_4) | instid1(VALU_DEP_1)
	v_mov_b32_e32 v131, v127
	ds_load_2addr_b64 v[126:129], v120 offset0:16 offset1:17
	v_pk_add_f32 v[54:55], v[54:55], v[130:131] neg_lo:[0,1] neg_hi:[0,1]
	s_wait_dscnt 0x0
	v_pk_mul_f32 v[130:131], v[126:127], v[118:119] op_sel:[0,1]
	v_pk_fma_f32 v[132:133], v[126:127], v[116:117], v[130:131] op_sel:[0,0,1] op_sel_hi:[1,1,0] neg_lo:[0,0,1] neg_hi:[0,0,1]
	v_pk_fma_f32 v[126:127], v[126:127], v[116:117], v[130:131] op_sel:[0,0,1] op_sel_hi:[1,0,0]
	v_dual_mul_f32 v130, v129, v119 :: v_dual_mov_b32 v126, v129
	s_delay_alu instid0(VALU_DEP_2) | instskip(NEXT) | instid1(VALU_DEP_2)
	v_dual_mov_b32 v133, v127 :: v_dual_mov_b32 v127, v128
	v_pk_fma_f32 v[130:131], v[128:129], v[106:107], v[130:131] op_sel_hi:[1,1,0] neg_lo:[0,0,1] neg_hi:[0,0,1]
	v_mul_f32_e32 v128, v129, v116
	s_delay_alu instid0(VALU_DEP_3) | instskip(NEXT) | instid1(VALU_DEP_2)
	v_pk_add_f32 v[92:93], v[92:93], v[132:133] neg_lo:[0,1] neg_hi:[0,1]
	v_pk_fma_f32 v[126:127], v[126:127], v[106:107], v[128:129] op_sel_hi:[1,1,0]
	s_delay_alu instid0(VALU_DEP_1) | instskip(SKIP_4) | instid1(VALU_DEP_1)
	v_mov_b32_e32 v131, v127
	ds_load_2addr_b64 v[126:129], v120 offset0:18 offset1:19
	v_pk_add_f32 v[90:91], v[90:91], v[130:131] neg_lo:[0,1] neg_hi:[0,1]
	s_wait_dscnt 0x0
	v_pk_mul_f32 v[130:131], v[126:127], v[118:119] op_sel:[0,1]
	v_pk_fma_f32 v[132:133], v[126:127], v[116:117], v[130:131] op_sel:[0,0,1] op_sel_hi:[1,1,0] neg_lo:[0,0,1] neg_hi:[0,0,1]
	v_pk_fma_f32 v[126:127], v[126:127], v[116:117], v[130:131] op_sel:[0,0,1] op_sel_hi:[1,0,0]
	s_delay_alu instid0(VALU_DEP_1) | instskip(SKIP_1) | instid1(VALU_DEP_1)
	v_mov_b32_e32 v133, v127
	v_pk_mul_f32 v[126:127], v[128:129], v[118:119] op_sel:[0,1]
	v_pk_fma_f32 v[130:131], v[128:129], v[116:117], v[126:127] op_sel:[0,0,1] op_sel_hi:[1,1,0] neg_lo:[0,0,1] neg_hi:[0,0,1]
	v_pk_fma_f32 v[126:127], v[128:129], v[116:117], v[126:127] op_sel:[0,0,1] op_sel_hi:[1,0,0]
	s_delay_alu instid0(VALU_DEP_1)
	v_mov_b32_e32 v131, v127
	ds_load_2addr_b64 v[126:129], v120 offset0:20 offset1:21
	v_pk_add_f32 v[44:45], v[44:45], v[132:133] neg_lo:[0,1] neg_hi:[0,1]
	v_pk_add_f32 v[42:43], v[42:43], v[130:131] neg_lo:[0,1] neg_hi:[0,1]
	s_wait_dscnt 0x0
	v_pk_mul_f32 v[130:131], v[126:127], v[118:119] op_sel:[0,1]
	s_delay_alu instid0(VALU_DEP_1) | instskip(SKIP_1) | instid1(VALU_DEP_1)
	v_pk_fma_f32 v[132:133], v[126:127], v[116:117], v[130:131] op_sel:[0,0,1] op_sel_hi:[1,1,0] neg_lo:[0,0,1] neg_hi:[0,0,1]
	v_pk_fma_f32 v[126:127], v[126:127], v[116:117], v[130:131] op_sel:[0,0,1] op_sel_hi:[1,0,0]
	v_mov_b32_e32 v133, v127
	v_pk_mul_f32 v[126:127], v[128:129], v[118:119] op_sel:[0,1]
	s_delay_alu instid0(VALU_DEP_1) | instskip(SKIP_1) | instid1(VALU_DEP_1)
	v_pk_fma_f32 v[130:131], v[128:129], v[116:117], v[126:127] op_sel:[0,0,1] op_sel_hi:[1,1,0] neg_lo:[0,0,1] neg_hi:[0,0,1]
	v_pk_fma_f32 v[126:127], v[128:129], v[116:117], v[126:127] op_sel:[0,0,1] op_sel_hi:[1,0,0]
	v_mov_b32_e32 v131, v127
	ds_load_2addr_b64 v[126:129], v120 offset0:22 offset1:23
	v_pk_add_f32 v[88:89], v[88:89], v[132:133] neg_lo:[0,1] neg_hi:[0,1]
	v_pk_add_f32 v[86:87], v[86:87], v[130:131] neg_lo:[0,1] neg_hi:[0,1]
	s_wait_dscnt 0x0
	v_dual_mul_f32 v130, v127, v119 :: v_dual_mul_f32 v132, v127, v116
	s_delay_alu instid0(VALU_DEP_1) | instskip(NEXT) | instid1(VALU_DEP_2)
	v_pk_fma_f32 v[130:131], v[126:127], v[106:107], v[130:131] op_sel_hi:[1,1,0] neg_lo:[0,0,1] neg_hi:[0,0,1]
	v_pk_fma_f32 v[126:127], v[126:127], v[106:107], v[132:133] op_sel:[1,0,0] op_sel_hi:[0,1,0]
	s_delay_alu instid0(VALU_DEP_1) | instskip(SKIP_1) | instid1(VALU_DEP_2)
	v_mov_b32_e32 v131, v127
	v_pk_mul_f32 v[126:127], v[128:129], v[118:119] op_sel:[0,1]
	v_pk_add_f32 v[40:41], v[40:41], v[130:131] neg_lo:[0,1] neg_hi:[0,1]
	s_delay_alu instid0(VALU_DEP_2) | instskip(SKIP_1) | instid1(VALU_DEP_1)
	v_pk_fma_f32 v[130:131], v[128:129], v[116:117], v[126:127] op_sel:[0,0,1] op_sel_hi:[1,1,0] neg_lo:[0,0,1] neg_hi:[0,0,1]
	v_pk_fma_f32 v[126:127], v[128:129], v[116:117], v[126:127] op_sel:[0,0,1] op_sel_hi:[1,0,0]
	v_mov_b32_e32 v131, v127
	ds_load_2addr_b64 v[126:129], v120 offset0:24 offset1:25
	v_pk_add_f32 v[38:39], v[38:39], v[130:131] neg_lo:[0,1] neg_hi:[0,1]
	s_wait_dscnt 0x0
	v_pk_mul_f32 v[130:131], v[126:127], v[118:119] op_sel:[0,1]
	s_delay_alu instid0(VALU_DEP_1) | instskip(SKIP_1) | instid1(VALU_DEP_1)
	v_pk_fma_f32 v[132:133], v[126:127], v[116:117], v[130:131] op_sel:[0,0,1] op_sel_hi:[1,1,0] neg_lo:[0,0,1] neg_hi:[0,0,1]
	v_pk_fma_f32 v[126:127], v[126:127], v[116:117], v[130:131] op_sel:[0,0,1] op_sel_hi:[1,0,0]
	v_mov_b32_e32 v133, v127
	v_pk_mul_f32 v[126:127], v[128:129], v[118:119] op_sel:[0,1]
	s_delay_alu instid0(VALU_DEP_2) | instskip(NEXT) | instid1(VALU_DEP_2)
	v_pk_add_f32 v[84:85], v[84:85], v[132:133] neg_lo:[0,1] neg_hi:[0,1]
	v_pk_fma_f32 v[130:131], v[128:129], v[116:117], v[126:127] op_sel:[0,0,1] op_sel_hi:[1,1,0] neg_lo:[0,0,1] neg_hi:[0,0,1]
	v_pk_fma_f32 v[126:127], v[128:129], v[116:117], v[126:127] op_sel:[0,0,1] op_sel_hi:[1,0,0]
	s_delay_alu instid0(VALU_DEP_1) | instskip(SKIP_4) | instid1(VALU_DEP_1)
	v_mov_b32_e32 v131, v127
	ds_load_2addr_b64 v[126:129], v120 offset0:26 offset1:27
	v_pk_add_f32 v[82:83], v[82:83], v[130:131] neg_lo:[0,1] neg_hi:[0,1]
	s_wait_dscnt 0x0
	v_pk_mul_f32 v[130:131], v[126:127], v[118:119] op_sel:[0,1]
	v_pk_fma_f32 v[132:133], v[126:127], v[116:117], v[130:131] op_sel:[0,0,1] op_sel_hi:[1,1,0] neg_lo:[0,0,1] neg_hi:[0,0,1]
	v_pk_fma_f32 v[126:127], v[126:127], v[116:117], v[130:131] op_sel:[0,0,1] op_sel_hi:[1,0,0]
	v_dual_mul_f32 v130, v129, v119 :: v_dual_mov_b32 v126, v129
	s_delay_alu instid0(VALU_DEP_2) | instskip(NEXT) | instid1(VALU_DEP_2)
	v_dual_mov_b32 v133, v127 :: v_dual_mov_b32 v127, v128
	v_pk_fma_f32 v[130:131], v[128:129], v[106:107], v[130:131] op_sel_hi:[1,1,0] neg_lo:[0,0,1] neg_hi:[0,0,1]
	v_mul_f32_e32 v128, v129, v116
	s_delay_alu instid0(VALU_DEP_3) | instskip(NEXT) | instid1(VALU_DEP_2)
	v_pk_add_f32 v[36:37], v[36:37], v[132:133] neg_lo:[0,1] neg_hi:[0,1]
	v_pk_fma_f32 v[126:127], v[126:127], v[106:107], v[128:129] op_sel_hi:[1,1,0]
	s_delay_alu instid0(VALU_DEP_1) | instskip(SKIP_4) | instid1(VALU_DEP_1)
	v_mov_b32_e32 v131, v127
	ds_load_2addr_b64 v[126:129], v120 offset0:28 offset1:29
	v_pk_add_f32 v[32:33], v[32:33], v[130:131] neg_lo:[0,1] neg_hi:[0,1]
	s_wait_dscnt 0x0
	v_pk_mul_f32 v[130:131], v[126:127], v[118:119] op_sel:[0,1]
	v_pk_fma_f32 v[132:133], v[126:127], v[116:117], v[130:131] op_sel:[0,0,1] op_sel_hi:[1,1,0] neg_lo:[0,0,1] neg_hi:[0,0,1]
	v_pk_fma_f32 v[126:127], v[126:127], v[116:117], v[130:131] op_sel:[0,0,1] op_sel_hi:[1,0,0]
	s_delay_alu instid0(VALU_DEP_1) | instskip(SKIP_1) | instid1(VALU_DEP_1)
	v_mov_b32_e32 v133, v127
	v_pk_mul_f32 v[126:127], v[128:129], v[118:119] op_sel:[0,1]
	v_pk_fma_f32 v[130:131], v[128:129], v[116:117], v[126:127] op_sel:[0,0,1] op_sel_hi:[1,1,0] neg_lo:[0,0,1] neg_hi:[0,0,1]
	v_pk_fma_f32 v[126:127], v[128:129], v[116:117], v[126:127] op_sel:[0,0,1] op_sel_hi:[1,0,0]
	s_delay_alu instid0(VALU_DEP_1)
	v_mov_b32_e32 v131, v127
	ds_load_2addr_b64 v[126:129], v120 offset0:30 offset1:31
	v_pk_add_f32 v[80:81], v[80:81], v[132:133] neg_lo:[0,1] neg_hi:[0,1]
	v_pk_add_f32 v[78:79], v[78:79], v[130:131] neg_lo:[0,1] neg_hi:[0,1]
	s_wait_dscnt 0x0
	v_pk_mul_f32 v[130:131], v[126:127], v[118:119] op_sel:[0,1]
	s_delay_alu instid0(VALU_DEP_1) | instskip(SKIP_1) | instid1(VALU_DEP_1)
	v_pk_fma_f32 v[132:133], v[126:127], v[116:117], v[130:131] op_sel:[0,0,1] op_sel_hi:[1,1,0] neg_lo:[0,0,1] neg_hi:[0,0,1]
	v_pk_fma_f32 v[126:127], v[126:127], v[116:117], v[130:131] op_sel:[0,0,1] op_sel_hi:[1,0,0]
	v_mov_b32_e32 v133, v127
	v_pk_mul_f32 v[126:127], v[128:129], v[118:119] op_sel:[0,1]
	s_delay_alu instid0(VALU_DEP_1) | instskip(SKIP_1) | instid1(VALU_DEP_1)
	v_pk_fma_f32 v[130:131], v[128:129], v[116:117], v[126:127] op_sel:[0,0,1] op_sel_hi:[1,1,0] neg_lo:[0,0,1] neg_hi:[0,0,1]
	v_pk_fma_f32 v[126:127], v[128:129], v[116:117], v[126:127] op_sel:[0,0,1] op_sel_hi:[1,0,0]
	v_mov_b32_e32 v131, v127
	ds_load_2addr_b64 v[126:129], v120 offset0:32 offset1:33
	v_pk_add_f32 v[28:29], v[28:29], v[132:133] neg_lo:[0,1] neg_hi:[0,1]
	v_pk_add_f32 v[26:27], v[26:27], v[130:131] neg_lo:[0,1] neg_hi:[0,1]
	s_wait_dscnt 0x0
	v_dual_mul_f32 v130, v127, v119 :: v_dual_mul_f32 v132, v127, v116
	s_delay_alu instid0(VALU_DEP_1) | instskip(NEXT) | instid1(VALU_DEP_2)
	v_pk_fma_f32 v[130:131], v[126:127], v[106:107], v[130:131] op_sel_hi:[1,1,0] neg_lo:[0,0,1] neg_hi:[0,0,1]
	v_pk_fma_f32 v[126:127], v[126:127], v[106:107], v[132:133] op_sel:[1,0,0] op_sel_hi:[0,1,0]
	s_delay_alu instid0(VALU_DEP_1) | instskip(SKIP_1) | instid1(VALU_DEP_2)
	v_mov_b32_e32 v131, v127
	v_pk_mul_f32 v[126:127], v[128:129], v[118:119] op_sel:[0,1]
	v_pk_add_f32 v[76:77], v[76:77], v[130:131] neg_lo:[0,1] neg_hi:[0,1]
	s_delay_alu instid0(VALU_DEP_2) | instskip(SKIP_1) | instid1(VALU_DEP_1)
	v_pk_fma_f32 v[130:131], v[128:129], v[116:117], v[126:127] op_sel:[0,0,1] op_sel_hi:[1,1,0] neg_lo:[0,0,1] neg_hi:[0,0,1]
	v_pk_fma_f32 v[126:127], v[128:129], v[116:117], v[126:127] op_sel:[0,0,1] op_sel_hi:[1,0,0]
	v_mov_b32_e32 v131, v127
	ds_load_2addr_b64 v[126:129], v120 offset0:34 offset1:35
	v_pk_add_f32 v[74:75], v[74:75], v[130:131] neg_lo:[0,1] neg_hi:[0,1]
	s_wait_dscnt 0x0
	v_pk_mul_f32 v[130:131], v[126:127], v[118:119] op_sel:[0,1]
	s_delay_alu instid0(VALU_DEP_1) | instskip(SKIP_1) | instid1(VALU_DEP_1)
	v_pk_fma_f32 v[132:133], v[126:127], v[116:117], v[130:131] op_sel:[0,0,1] op_sel_hi:[1,1,0] neg_lo:[0,0,1] neg_hi:[0,0,1]
	v_pk_fma_f32 v[126:127], v[126:127], v[116:117], v[130:131] op_sel:[0,0,1] op_sel_hi:[1,0,0]
	v_mov_b32_e32 v133, v127
	v_pk_mul_f32 v[126:127], v[128:129], v[118:119] op_sel:[0,1]
	s_delay_alu instid0(VALU_DEP_2) | instskip(NEXT) | instid1(VALU_DEP_2)
	v_pk_add_f32 v[22:23], v[22:23], v[132:133] neg_lo:[0,1] neg_hi:[0,1]
	v_pk_fma_f32 v[130:131], v[128:129], v[116:117], v[126:127] op_sel:[0,0,1] op_sel_hi:[1,1,0] neg_lo:[0,0,1] neg_hi:[0,0,1]
	v_pk_fma_f32 v[126:127], v[128:129], v[116:117], v[126:127] op_sel:[0,0,1] op_sel_hi:[1,0,0]
	s_delay_alu instid0(VALU_DEP_1) | instskip(SKIP_4) | instid1(VALU_DEP_1)
	v_mov_b32_e32 v131, v127
	ds_load_2addr_b64 v[126:129], v120 offset0:36 offset1:37
	v_pk_add_f32 v[20:21], v[20:21], v[130:131] neg_lo:[0,1] neg_hi:[0,1]
	s_wait_dscnt 0x0
	v_pk_mul_f32 v[130:131], v[126:127], v[118:119] op_sel:[0,1]
	v_pk_fma_f32 v[132:133], v[126:127], v[116:117], v[130:131] op_sel:[0,0,1] op_sel_hi:[1,1,0] neg_lo:[0,0,1] neg_hi:[0,0,1]
	v_pk_fma_f32 v[126:127], v[126:127], v[116:117], v[130:131] op_sel:[0,0,1] op_sel_hi:[1,0,0]
	v_dual_mul_f32 v130, v129, v119 :: v_dual_mov_b32 v126, v129
	s_delay_alu instid0(VALU_DEP_2) | instskip(NEXT) | instid1(VALU_DEP_2)
	v_dual_mov_b32 v133, v127 :: v_dual_mov_b32 v127, v128
	v_pk_fma_f32 v[130:131], v[128:129], v[106:107], v[130:131] op_sel_hi:[1,1,0] neg_lo:[0,0,1] neg_hi:[0,0,1]
	v_mul_f32_e32 v128, v129, v116
	s_delay_alu instid0(VALU_DEP_3) | instskip(NEXT) | instid1(VALU_DEP_2)
	v_pk_add_f32 v[72:73], v[72:73], v[132:133] neg_lo:[0,1] neg_hi:[0,1]
	v_pk_fma_f32 v[126:127], v[126:127], v[106:107], v[128:129] op_sel_hi:[1,1,0]
	s_delay_alu instid0(VALU_DEP_1) | instskip(SKIP_4) | instid1(VALU_DEP_1)
	v_mov_b32_e32 v131, v127
	ds_load_2addr_b64 v[126:129], v120 offset0:38 offset1:39
	v_pk_add_f32 v[70:71], v[70:71], v[130:131] neg_lo:[0,1] neg_hi:[0,1]
	s_wait_dscnt 0x0
	v_pk_mul_f32 v[130:131], v[126:127], v[118:119] op_sel:[0,1]
	v_pk_fma_f32 v[132:133], v[126:127], v[116:117], v[130:131] op_sel:[0,0,1] op_sel_hi:[1,1,0] neg_lo:[0,0,1] neg_hi:[0,0,1]
	v_pk_fma_f32 v[126:127], v[126:127], v[116:117], v[130:131] op_sel:[0,0,1] op_sel_hi:[1,0,0]
	s_delay_alu instid0(VALU_DEP_1) | instskip(SKIP_1) | instid1(VALU_DEP_1)
	v_mov_b32_e32 v133, v127
	v_pk_mul_f32 v[126:127], v[128:129], v[118:119] op_sel:[0,1]
	v_pk_fma_f32 v[130:131], v[128:129], v[116:117], v[126:127] op_sel:[0,0,1] op_sel_hi:[1,1,0] neg_lo:[0,0,1] neg_hi:[0,0,1]
	v_pk_fma_f32 v[126:127], v[128:129], v[116:117], v[126:127] op_sel:[0,0,1] op_sel_hi:[1,0,0]
	s_delay_alu instid0(VALU_DEP_1)
	v_mov_b32_e32 v131, v127
	ds_load_2addr_b64 v[126:129], v120 offset0:40 offset1:41
	v_pk_add_f32 v[18:19], v[18:19], v[132:133] neg_lo:[0,1] neg_hi:[0,1]
	v_pk_add_f32 v[16:17], v[16:17], v[130:131] neg_lo:[0,1] neg_hi:[0,1]
	s_wait_dscnt 0x0
	v_pk_mul_f32 v[130:131], v[126:127], v[118:119] op_sel:[0,1]
	s_delay_alu instid0(VALU_DEP_1) | instskip(SKIP_1) | instid1(VALU_DEP_1)
	v_pk_fma_f32 v[132:133], v[126:127], v[116:117], v[130:131] op_sel:[0,0,1] op_sel_hi:[1,1,0] neg_lo:[0,0,1] neg_hi:[0,0,1]
	v_pk_fma_f32 v[126:127], v[126:127], v[116:117], v[130:131] op_sel:[0,0,1] op_sel_hi:[1,0,0]
	v_mov_b32_e32 v133, v127
	v_pk_mul_f32 v[126:127], v[128:129], v[118:119] op_sel:[0,1]
	s_delay_alu instid0(VALU_DEP_1) | instskip(SKIP_1) | instid1(VALU_DEP_1)
	v_pk_fma_f32 v[130:131], v[128:129], v[116:117], v[126:127] op_sel:[0,0,1] op_sel_hi:[1,1,0] neg_lo:[0,0,1] neg_hi:[0,0,1]
	v_pk_fma_f32 v[126:127], v[128:129], v[116:117], v[126:127] op_sel:[0,0,1] op_sel_hi:[1,0,0]
	v_mov_b32_e32 v131, v127
	ds_load_2addr_b64 v[126:129], v120 offset0:42 offset1:43
	v_pk_add_f32 v[68:69], v[68:69], v[132:133] neg_lo:[0,1] neg_hi:[0,1]
	v_pk_add_f32 v[66:67], v[66:67], v[130:131] neg_lo:[0,1] neg_hi:[0,1]
	s_wait_dscnt 0x0
	v_dual_mul_f32 v130, v127, v119 :: v_dual_mul_f32 v132, v127, v116
	s_delay_alu instid0(VALU_DEP_1) | instskip(NEXT) | instid1(VALU_DEP_2)
	v_pk_fma_f32 v[130:131], v[126:127], v[106:107], v[130:131] op_sel_hi:[1,1,0] neg_lo:[0,0,1] neg_hi:[0,0,1]
	v_pk_fma_f32 v[126:127], v[126:127], v[106:107], v[132:133] op_sel:[1,0,0] op_sel_hi:[0,1,0]
	s_delay_alu instid0(VALU_DEP_1) | instskip(SKIP_1) | instid1(VALU_DEP_2)
	v_mov_b32_e32 v131, v127
	v_pk_mul_f32 v[126:127], v[128:129], v[118:119] op_sel:[0,1]
	v_pk_add_f32 v[14:15], v[14:15], v[130:131] neg_lo:[0,1] neg_hi:[0,1]
	s_delay_alu instid0(VALU_DEP_2) | instskip(SKIP_1) | instid1(VALU_DEP_1)
	v_pk_fma_f32 v[130:131], v[128:129], v[116:117], v[126:127] op_sel:[0,0,1] op_sel_hi:[1,1,0] neg_lo:[0,0,1] neg_hi:[0,0,1]
	v_pk_fma_f32 v[126:127], v[128:129], v[116:117], v[126:127] op_sel:[0,0,1] op_sel_hi:[1,0,0]
	v_mov_b32_e32 v131, v127
	ds_load_2addr_b64 v[126:129], v120 offset0:44 offset1:45
	v_pk_add_f32 v[12:13], v[12:13], v[130:131] neg_lo:[0,1] neg_hi:[0,1]
	s_wait_dscnt 0x0
	v_pk_mul_f32 v[130:131], v[126:127], v[118:119] op_sel:[0,1]
	s_delay_alu instid0(VALU_DEP_1) | instskip(SKIP_1) | instid1(VALU_DEP_1)
	v_pk_fma_f32 v[132:133], v[126:127], v[116:117], v[130:131] op_sel:[0,0,1] op_sel_hi:[1,1,0] neg_lo:[0,0,1] neg_hi:[0,0,1]
	v_pk_fma_f32 v[126:127], v[126:127], v[116:117], v[130:131] op_sel:[0,0,1] op_sel_hi:[1,0,0]
	v_mov_b32_e32 v133, v127
	v_pk_mul_f32 v[126:127], v[128:129], v[118:119] op_sel:[0,1]
	s_delay_alu instid0(VALU_DEP_2) | instskip(NEXT) | instid1(VALU_DEP_2)
	v_pk_add_f32 v[64:65], v[64:65], v[132:133] neg_lo:[0,1] neg_hi:[0,1]
	v_pk_fma_f32 v[130:131], v[128:129], v[116:117], v[126:127] op_sel:[0,0,1] op_sel_hi:[1,1,0] neg_lo:[0,0,1] neg_hi:[0,0,1]
	v_pk_fma_f32 v[126:127], v[128:129], v[116:117], v[126:127] op_sel:[0,0,1] op_sel_hi:[1,0,0]
	s_delay_alu instid0(VALU_DEP_1) | instskip(SKIP_4) | instid1(VALU_DEP_1)
	v_mov_b32_e32 v131, v127
	ds_load_2addr_b64 v[126:129], v120 offset0:46 offset1:47
	v_pk_add_f32 v[62:63], v[62:63], v[130:131] neg_lo:[0,1] neg_hi:[0,1]
	s_wait_dscnt 0x0
	v_pk_mul_f32 v[130:131], v[126:127], v[118:119] op_sel:[0,1]
	v_pk_fma_f32 v[132:133], v[126:127], v[116:117], v[130:131] op_sel:[0,0,1] op_sel_hi:[1,1,0] neg_lo:[0,0,1] neg_hi:[0,0,1]
	v_pk_fma_f32 v[126:127], v[126:127], v[116:117], v[130:131] op_sel:[0,0,1] op_sel_hi:[1,0,0]
	v_dual_mul_f32 v130, v129, v119 :: v_dual_mov_b32 v126, v129
	s_delay_alu instid0(VALU_DEP_2) | instskip(NEXT) | instid1(VALU_DEP_2)
	v_dual_mov_b32 v133, v127 :: v_dual_mov_b32 v127, v128
	v_pk_fma_f32 v[130:131], v[128:129], v[106:107], v[130:131] op_sel_hi:[1,1,0] neg_lo:[0,0,1] neg_hi:[0,0,1]
	v_mul_f32_e32 v128, v129, v116
	s_delay_alu instid0(VALU_DEP_3) | instskip(NEXT) | instid1(VALU_DEP_2)
	v_pk_add_f32 v[10:11], v[10:11], v[132:133] neg_lo:[0,1] neg_hi:[0,1]
	v_pk_fma_f32 v[126:127], v[126:127], v[106:107], v[128:129] op_sel_hi:[1,1,0]
	s_delay_alu instid0(VALU_DEP_1) | instskip(SKIP_4) | instid1(VALU_DEP_1)
	v_mov_b32_e32 v131, v127
	ds_load_2addr_b64 v[126:129], v120 offset0:48 offset1:49
	v_pk_add_f32 v[6:7], v[6:7], v[130:131] neg_lo:[0,1] neg_hi:[0,1]
	s_wait_dscnt 0x0
	v_pk_mul_f32 v[130:131], v[126:127], v[118:119] op_sel:[0,1]
	v_pk_fma_f32 v[132:133], v[126:127], v[116:117], v[130:131] op_sel:[0,0,1] op_sel_hi:[1,1,0] neg_lo:[0,0,1] neg_hi:[0,0,1]
	v_pk_fma_f32 v[126:127], v[126:127], v[116:117], v[130:131] op_sel:[0,0,1] op_sel_hi:[1,0,0]
	s_delay_alu instid0(VALU_DEP_1) | instskip(SKIP_1) | instid1(VALU_DEP_1)
	v_mov_b32_e32 v133, v127
	v_pk_mul_f32 v[126:127], v[128:129], v[118:119] op_sel:[0,1]
	v_pk_fma_f32 v[130:131], v[128:129], v[116:117], v[126:127] op_sel:[0,0,1] op_sel_hi:[1,1,0] neg_lo:[0,0,1] neg_hi:[0,0,1]
	v_pk_fma_f32 v[126:127], v[128:129], v[116:117], v[126:127] op_sel:[0,0,1] op_sel_hi:[1,0,0]
	s_delay_alu instid0(VALU_DEP_1)
	v_mov_b32_e32 v131, v127
	ds_load_2addr_b64 v[126:129], v120 offset0:50 offset1:51
	v_pk_add_f32 v[52:53], v[52:53], v[132:133] neg_lo:[0,1] neg_hi:[0,1]
	v_pk_add_f32 v[50:51], v[50:51], v[130:131] neg_lo:[0,1] neg_hi:[0,1]
	s_wait_dscnt 0x0
	v_pk_mul_f32 v[130:131], v[126:127], v[118:119] op_sel:[0,1]
	s_delay_alu instid0(VALU_DEP_1) | instskip(SKIP_1) | instid1(VALU_DEP_1)
	v_pk_fma_f32 v[132:133], v[126:127], v[116:117], v[130:131] op_sel:[0,0,1] op_sel_hi:[1,1,0] neg_lo:[0,0,1] neg_hi:[0,0,1]
	v_pk_fma_f32 v[126:127], v[126:127], v[116:117], v[130:131] op_sel:[0,0,1] op_sel_hi:[1,0,0]
	v_mov_b32_e32 v133, v127
	v_pk_mul_f32 v[126:127], v[128:129], v[118:119] op_sel:[0,1]
	s_delay_alu instid0(VALU_DEP_1) | instskip(SKIP_1) | instid1(VALU_DEP_1)
	v_pk_fma_f32 v[130:131], v[128:129], v[116:117], v[126:127] op_sel:[0,0,1] op_sel_hi:[1,1,0] neg_lo:[0,0,1] neg_hi:[0,0,1]
	v_pk_fma_f32 v[126:127], v[128:129], v[116:117], v[126:127] op_sel:[0,0,1] op_sel_hi:[1,0,0]
	v_mov_b32_e32 v131, v127
	ds_load_2addr_b64 v[126:129], v120 offset0:52 offset1:53
	v_pk_add_f32 v[8:9], v[8:9], v[132:133] neg_lo:[0,1] neg_hi:[0,1]
	v_pk_add_f32 v[30:31], v[30:31], v[130:131] neg_lo:[0,1] neg_hi:[0,1]
	s_wait_dscnt 0x0
	v_dual_mul_f32 v130, v127, v119 :: v_dual_mul_f32 v132, v127, v116
	s_delay_alu instid0(VALU_DEP_1) | instskip(NEXT) | instid1(VALU_DEP_2)
	v_pk_fma_f32 v[130:131], v[126:127], v[106:107], v[130:131] op_sel_hi:[1,1,0] neg_lo:[0,0,1] neg_hi:[0,0,1]
	v_pk_fma_f32 v[126:127], v[126:127], v[106:107], v[132:133] op_sel:[1,0,0] op_sel_hi:[0,1,0]
	s_delay_alu instid0(VALU_DEP_1) | instskip(SKIP_1) | instid1(VALU_DEP_2)
	v_mov_b32_e32 v131, v127
	v_pk_mul_f32 v[126:127], v[128:129], v[118:119] op_sel:[0,1]
	v_pk_add_f32 v[34:35], v[34:35], v[130:131] neg_lo:[0,1] neg_hi:[0,1]
	s_delay_alu instid0(VALU_DEP_2) | instskip(SKIP_1) | instid1(VALU_DEP_1)
	v_pk_fma_f32 v[130:131], v[128:129], v[116:117], v[126:127] op_sel:[0,0,1] op_sel_hi:[1,1,0] neg_lo:[0,0,1] neg_hi:[0,0,1]
	v_pk_fma_f32 v[126:127], v[128:129], v[116:117], v[126:127] op_sel:[0,0,1] op_sel_hi:[1,0,0]
	v_mov_b32_e32 v131, v127
	ds_load_b64 v[126:127], v120 offset:432
	v_pk_add_f32 v[24:25], v[24:25], v[130:131] neg_lo:[0,1] neg_hi:[0,1]
	s_wait_dscnt 0x0
	v_pk_mul_f32 v[118:119], v[126:127], v[118:119] op_sel:[0,1]
	s_delay_alu instid0(VALU_DEP_1) | instskip(SKIP_1) | instid1(VALU_DEP_1)
	v_pk_fma_f32 v[128:129], v[126:127], v[116:117], v[118:119] op_sel:[0,0,1] op_sel_hi:[1,1,0] neg_lo:[0,0,1] neg_hi:[0,0,1]
	v_pk_fma_f32 v[116:117], v[126:127], v[116:117], v[118:119] op_sel:[0,0,1] op_sel_hi:[1,0,0]
	v_mov_b32_e32 v129, v117
	s_delay_alu instid0(VALU_DEP_1)
	v_pk_add_f32 v[114:115], v[114:115], v[128:129] neg_lo:[0,1] neg_hi:[0,1]
.LBB108_83:
	s_or_b32 exec_lo, exec_lo, s0
	v_lshl_add_u32 v116, v124, 3, v120
	s_barrier_signal -1
	s_barrier_wait -1
	ds_store_b64 v116, v[96:97]
	s_wait_dscnt 0x0
	s_barrier_signal -1
	s_barrier_wait -1
	ds_load_b64 v[118:119], v120 offset:32
	v_mov_b32_e32 v116, 4
	s_cmp_lt_i32 s18, 6
	s_cbranch_scc1 .LBB108_86
; %bb.84:
	v_add3_u32 v117, v121, 0, 40
	v_mov_b32_e32 v116, 4
	s_mov_b32 s0, 5
.LBB108_85:                             ; =>This Inner Loop Header: Depth=1
	ds_load_b64 v[126:127], v117
	s_wait_dscnt 0x1
	v_cmp_gt_f32_e32 vcc_lo, 0, v118
	v_cndmask_b32_e64 v128, v118, -v118, vcc_lo
	v_cmp_gt_f32_e32 vcc_lo, 0, v119
	v_cndmask_b32_e64 v130, v119, -v119, vcc_lo
	s_wait_dscnt 0x0
	v_cmp_gt_f32_e32 vcc_lo, 0, v126
	v_cndmask_b32_e64 v129, v126, -v126, vcc_lo
	v_cmp_gt_f32_e32 vcc_lo, 0, v127
	v_cndmask_b32_e64 v131, v127, -v127, vcc_lo
	s_delay_alu instid0(VALU_DEP_1) | instskip(NEXT) | instid1(VALU_DEP_1)
	v_pk_add_f32 v[128:129], v[128:129], v[130:131]
	v_cmp_lt_f32_e32 vcc_lo, v128, v129
	v_dual_add_nc_u32 v117, 8, v117 :: v_dual_cndmask_b32 v119, v119, v127, vcc_lo
	v_cndmask_b32_e32 v118, v118, v126, vcc_lo
	v_cndmask_b32_e64 v116, v116, s0, vcc_lo
	s_add_co_i32 s0, s0, 1
	s_delay_alu instid0(SALU_CYCLE_1)
	s_cmp_lg_u32 s18, s0
	s_cbranch_scc1 .LBB108_85
.LBB108_86:
	s_wait_dscnt 0x0
	v_cmp_eq_f32_e32 vcc_lo, 0, v118
	v_cmp_eq_f32_e64 s0, 0, v119
	s_and_b32 s0, vcc_lo, s0
	s_delay_alu instid0(SALU_CYCLE_1) | instskip(NEXT) | instid1(SALU_CYCLE_1)
	s_and_saveexec_b32 s1, s0
	s_xor_b32 s0, exec_lo, s1
; %bb.87:
	v_cmp_ne_u32_e32 vcc_lo, 0, v122
	v_cndmask_b32_e32 v122, 5, v122, vcc_lo
; %bb.88:
	s_and_not1_saveexec_b32 s0, s0
	s_cbranch_execz .LBB108_94
; %bb.89:
	v_cmp_ngt_f32_e64 s1, |v118|, |v119|
	s_and_saveexec_b32 s12, s1
	s_delay_alu instid0(SALU_CYCLE_1)
	s_xor_b32 s1, exec_lo, s12
	s_cbranch_execz .LBB108_91
; %bb.90:
	v_div_scale_f32 v117, null, v119, v119, v118
	v_div_scale_f32 v127, vcc_lo, v118, v119, v118
	s_delay_alu instid0(VALU_DEP_2) | instskip(SKIP_1) | instid1(TRANS32_DEP_1)
	v_rcp_f32_e32 v125, v117
	v_nop
	v_fma_f32 v126, -v117, v125, 1.0
	s_delay_alu instid0(VALU_DEP_1) | instskip(NEXT) | instid1(VALU_DEP_1)
	v_fmac_f32_e32 v125, v126, v125
	v_mul_f32_e32 v126, v127, v125
	s_delay_alu instid0(VALU_DEP_1) | instskip(NEXT) | instid1(VALU_DEP_1)
	v_fma_f32 v128, -v117, v126, v127
	v_fmac_f32_e32 v126, v128, v125
	s_delay_alu instid0(VALU_DEP_1) | instskip(NEXT) | instid1(VALU_DEP_1)
	v_fma_f32 v117, -v117, v126, v127
	v_div_fmas_f32 v117, v117, v125, v126
	s_delay_alu instid0(VALU_DEP_1) | instskip(NEXT) | instid1(VALU_DEP_1)
	v_div_fixup_f32 v117, v117, v119, v118
	v_fmac_f32_e32 v119, v118, v117
	s_delay_alu instid0(VALU_DEP_1) | instskip(SKIP_1) | instid1(VALU_DEP_2)
	v_div_scale_f32 v118, null, v119, v119, 1.0
	v_div_scale_f32 v127, vcc_lo, 1.0, v119, 1.0
	v_rcp_f32_e32 v125, v118
	v_nop
	s_delay_alu instid0(TRANS32_DEP_1) | instskip(NEXT) | instid1(VALU_DEP_1)
	v_fma_f32 v126, -v118, v125, 1.0
	v_fmac_f32_e32 v125, v126, v125
	s_delay_alu instid0(VALU_DEP_1) | instskip(NEXT) | instid1(VALU_DEP_1)
	v_mul_f32_e32 v126, v127, v125
	v_fma_f32 v128, -v118, v126, v127
	s_delay_alu instid0(VALU_DEP_1) | instskip(NEXT) | instid1(VALU_DEP_1)
	v_fmac_f32_e32 v126, v128, v125
	v_fma_f32 v118, -v118, v126, v127
	s_delay_alu instid0(VALU_DEP_1) | instskip(NEXT) | instid1(VALU_DEP_1)
	v_div_fmas_f32 v118, v118, v125, v126
	v_div_fixup_f32 v119, v118, v119, 1.0
	s_delay_alu instid0(VALU_DEP_1)
	v_mul_f32_e32 v118, v117, v119
	v_xor_b32_e32 v119, 0x80000000, v119
.LBB108_91:
	s_and_not1_saveexec_b32 s1, s1
	s_cbranch_execz .LBB108_93
; %bb.92:
	s_delay_alu instid0(VALU_DEP_1) | instskip(SKIP_1) | instid1(VALU_DEP_2)
	v_div_scale_f32 v117, null, v118, v118, v119
	v_div_scale_f32 v127, vcc_lo, v119, v118, v119
	v_rcp_f32_e32 v125, v117
	v_nop
	s_delay_alu instid0(TRANS32_DEP_1) | instskip(NEXT) | instid1(VALU_DEP_1)
	v_fma_f32 v126, -v117, v125, 1.0
	v_fmac_f32_e32 v125, v126, v125
	s_delay_alu instid0(VALU_DEP_1) | instskip(NEXT) | instid1(VALU_DEP_1)
	v_mul_f32_e32 v126, v127, v125
	v_fma_f32 v128, -v117, v126, v127
	s_delay_alu instid0(VALU_DEP_1) | instskip(NEXT) | instid1(VALU_DEP_1)
	v_fmac_f32_e32 v126, v128, v125
	v_fma_f32 v117, -v117, v126, v127
	s_delay_alu instid0(VALU_DEP_1) | instskip(NEXT) | instid1(VALU_DEP_1)
	v_div_fmas_f32 v117, v117, v125, v126
	v_div_fixup_f32 v117, v117, v118, v119
	s_delay_alu instid0(VALU_DEP_1) | instskip(NEXT) | instid1(VALU_DEP_1)
	v_fmac_f32_e32 v118, v119, v117
	v_div_scale_f32 v119, null, v118, v118, 1.0
	s_delay_alu instid0(VALU_DEP_1) | instskip(SKIP_1) | instid1(TRANS32_DEP_1)
	v_rcp_f32_e32 v125, v119
	v_nop
	v_fma_f32 v126, -v119, v125, 1.0
	s_delay_alu instid0(VALU_DEP_1) | instskip(SKIP_1) | instid1(VALU_DEP_1)
	v_fmac_f32_e32 v125, v126, v125
	v_div_scale_f32 v126, vcc_lo, 1.0, v118, 1.0
	v_mul_f32_e32 v127, v126, v125
	s_delay_alu instid0(VALU_DEP_1) | instskip(NEXT) | instid1(VALU_DEP_1)
	v_fma_f32 v128, -v119, v127, v126
	v_fmac_f32_e32 v127, v128, v125
	s_delay_alu instid0(VALU_DEP_1) | instskip(NEXT) | instid1(VALU_DEP_1)
	v_fma_f32 v119, -v119, v127, v126
	v_div_fmas_f32 v119, v119, v125, v127
	s_delay_alu instid0(VALU_DEP_1) | instskip(NEXT) | instid1(VALU_DEP_1)
	v_div_fixup_f32 v118, v119, v118, 1.0
	v_mul_f32_e64 v119, v117, -v118
.LBB108_93:
	s_or_b32 exec_lo, exec_lo, s1
.LBB108_94:
	s_delay_alu instid0(SALU_CYCLE_1) | instskip(NEXT) | instid1(SALU_CYCLE_1)
	s_or_b32 exec_lo, exec_lo, s0
	s_mov_b32 s0, exec_lo
	v_cmpx_ne_u32_e64 v124, v116
	s_xor_b32 s0, exec_lo, s0
	s_cbranch_execz .LBB108_100
; %bb.95:
	s_mov_b32 s1, exec_lo
	v_cmpx_eq_u32_e32 4, v124
	s_cbranch_execz .LBB108_99
; %bb.96:
	v_cmp_ne_u32_e32 vcc_lo, 4, v116
	s_xor_b32 s12, s16, -1
	s_delay_alu instid0(SALU_CYCLE_1) | instskip(NEXT) | instid1(SALU_CYCLE_1)
	s_and_b32 s13, s12, vcc_lo
	s_and_saveexec_b32 s12, s13
	s_cbranch_execz .LBB108_98
; %bb.97:
	v_ashrrev_i32_e32 v117, 31, v116
	s_delay_alu instid0(VALU_DEP_1)
	v_lshl_add_u64 v[124:125], v[116:117], 2, v[4:5]
	s_clause 0x1
	global_load_b32 v117, v[124:125], off
	global_load_b32 v123, v[4:5], off offset:16
	s_wait_loadcnt 0x1
	global_store_b32 v[4:5], v117, off offset:16
	s_wait_loadcnt 0x0
	global_store_b32 v[124:125], v123, off
.LBB108_98:
	s_wait_xcnt 0x0
	s_or_b32 exec_lo, exec_lo, s12
	v_dual_mov_b32 v124, v116 :: v_dual_mov_b32 v123, v116
.LBB108_99:
	s_or_b32 exec_lo, exec_lo, s1
.LBB108_100:
	s_and_not1_saveexec_b32 s0, s0
	s_cbranch_execz .LBB108_102
; %bb.101:
	v_mov_b32_e32 v124, 4
	ds_store_2addr_b64 v120, v[94:95], v[48:49] offset0:5 offset1:6
	ds_store_2addr_b64 v120, v[46:47], v[104:105] offset0:7 offset1:8
	;; [unrolled: 1-line block ×25, first 2 shown]
.LBB108_102:
	s_or_b32 exec_lo, exec_lo, s0
	s_delay_alu instid0(SALU_CYCLE_1)
	s_mov_b32 s0, exec_lo
	s_wait_storecnt_dscnt 0x0
	s_barrier_signal -1
	s_barrier_wait -1
	v_cmpx_lt_i32_e32 4, v124
	s_cbranch_execz .LBB108_104
; %bb.103:
	v_pk_mul_f32 v[126:127], v[118:119], v[96:97] op_sel:[1,1] op_sel_hi:[0,1]
	s_delay_alu instid0(VALU_DEP_1)
	v_pk_fma_f32 v[116:117], v[118:119], v[96:97], v[126:127] op_sel_hi:[1,0,1] neg_lo:[0,0,1] neg_hi:[0,0,1]
	v_pk_fma_f32 v[118:119], v[118:119], v[96:97], v[126:127] op_sel_hi:[1,0,1]
	ds_load_2addr_b64 v[126:129], v120 offset0:5 offset1:6
	v_dual_mov_b32 v96, v116 :: v_dual_mov_b32 v97, v119
	s_wait_dscnt 0x0
	v_pk_mul_f32 v[130:131], v[126:127], v[118:119] op_sel:[0,1]
	s_delay_alu instid0(VALU_DEP_1) | instskip(SKIP_1) | instid1(VALU_DEP_1)
	v_pk_fma_f32 v[132:133], v[126:127], v[116:117], v[130:131] op_sel:[0,0,1] op_sel_hi:[1,1,0] neg_lo:[0,0,1] neg_hi:[0,0,1]
	v_pk_fma_f32 v[126:127], v[126:127], v[116:117], v[130:131] op_sel:[0,0,1] op_sel_hi:[1,0,0]
	v_mov_b32_e32 v133, v127
	v_pk_mul_f32 v[126:127], v[128:129], v[118:119] op_sel:[0,1]
	s_delay_alu instid0(VALU_DEP_1) | instskip(SKIP_1) | instid1(VALU_DEP_1)
	v_pk_fma_f32 v[130:131], v[128:129], v[116:117], v[126:127] op_sel:[0,0,1] op_sel_hi:[1,1,0] neg_lo:[0,0,1] neg_hi:[0,0,1]
	v_pk_fma_f32 v[126:127], v[128:129], v[116:117], v[126:127] op_sel:[0,0,1] op_sel_hi:[1,0,0]
	v_mov_b32_e32 v131, v127
	ds_load_2addr_b64 v[126:129], v120 offset0:7 offset1:8
	v_pk_add_f32 v[94:95], v[94:95], v[132:133] neg_lo:[0,1] neg_hi:[0,1]
	v_pk_add_f32 v[48:49], v[48:49], v[130:131] neg_lo:[0,1] neg_hi:[0,1]
	s_wait_dscnt 0x0
	v_pk_mul_f32 v[130:131], v[126:127], v[118:119] op_sel:[0,1]
	s_delay_alu instid0(VALU_DEP_1) | instskip(SKIP_2) | instid1(VALU_DEP_2)
	v_pk_fma_f32 v[132:133], v[126:127], v[116:117], v[130:131] op_sel:[0,0,1] op_sel_hi:[1,1,0] neg_lo:[0,0,1] neg_hi:[0,0,1]
	v_pk_fma_f32 v[126:127], v[126:127], v[116:117], v[130:131] op_sel:[0,0,1] op_sel_hi:[1,0,0]
	v_dual_mul_f32 v130, v129, v119 :: v_dual_mov_b32 v126, v129
	v_dual_mov_b32 v133, v127 :: v_dual_mov_b32 v127, v128
	s_delay_alu instid0(VALU_DEP_2) | instskip(SKIP_1) | instid1(VALU_DEP_3)
	v_pk_fma_f32 v[130:131], v[128:129], v[96:97], v[130:131] op_sel_hi:[1,1,0] neg_lo:[0,0,1] neg_hi:[0,0,1]
	v_mul_f32_e32 v128, v129, v116
	v_pk_add_f32 v[46:47], v[46:47], v[132:133] neg_lo:[0,1] neg_hi:[0,1]
	s_delay_alu instid0(VALU_DEP_2) | instskip(NEXT) | instid1(VALU_DEP_1)
	v_pk_fma_f32 v[126:127], v[126:127], v[96:97], v[128:129] op_sel_hi:[1,1,0]
	v_mov_b32_e32 v131, v127
	ds_load_2addr_b64 v[126:129], v120 offset0:9 offset1:10
	v_pk_add_f32 v[104:105], v[104:105], v[130:131] neg_lo:[0,1] neg_hi:[0,1]
	s_wait_dscnt 0x0
	v_pk_mul_f32 v[130:131], v[126:127], v[118:119] op_sel:[0,1]
	s_delay_alu instid0(VALU_DEP_1) | instskip(SKIP_1) | instid1(VALU_DEP_1)
	v_pk_fma_f32 v[132:133], v[126:127], v[116:117], v[130:131] op_sel:[0,0,1] op_sel_hi:[1,1,0] neg_lo:[0,0,1] neg_hi:[0,0,1]
	v_pk_fma_f32 v[126:127], v[126:127], v[116:117], v[130:131] op_sel:[0,0,1] op_sel_hi:[1,0,0]
	v_mov_b32_e32 v133, v127
	v_pk_mul_f32 v[126:127], v[128:129], v[118:119] op_sel:[0,1]
	s_delay_alu instid0(VALU_DEP_1) | instskip(SKIP_1) | instid1(VALU_DEP_1)
	v_pk_fma_f32 v[130:131], v[128:129], v[116:117], v[126:127] op_sel:[0,0,1] op_sel_hi:[1,1,0] neg_lo:[0,0,1] neg_hi:[0,0,1]
	v_pk_fma_f32 v[126:127], v[128:129], v[116:117], v[126:127] op_sel:[0,0,1] op_sel_hi:[1,0,0]
	v_mov_b32_e32 v131, v127
	ds_load_2addr_b64 v[126:129], v120 offset0:11 offset1:12
	v_pk_add_f32 v[102:103], v[102:103], v[132:133] neg_lo:[0,1] neg_hi:[0,1]
	v_pk_add_f32 v[60:61], v[60:61], v[130:131] neg_lo:[0,1] neg_hi:[0,1]
	s_wait_dscnt 0x0
	v_pk_mul_f32 v[130:131], v[126:127], v[118:119] op_sel:[0,1]
	s_delay_alu instid0(VALU_DEP_1) | instskip(SKIP_1) | instid1(VALU_DEP_1)
	v_pk_fma_f32 v[132:133], v[126:127], v[116:117], v[130:131] op_sel:[0,0,1] op_sel_hi:[1,1,0] neg_lo:[0,0,1] neg_hi:[0,0,1]
	v_pk_fma_f32 v[126:127], v[126:127], v[116:117], v[130:131] op_sel:[0,0,1] op_sel_hi:[1,0,0]
	v_mov_b32_e32 v133, v127
	v_pk_mul_f32 v[126:127], v[128:129], v[118:119] op_sel:[0,1]
	s_delay_alu instid0(VALU_DEP_1) | instskip(SKIP_1) | instid1(VALU_DEP_1)
	v_pk_fma_f32 v[130:131], v[128:129], v[116:117], v[126:127] op_sel:[0,0,1] op_sel_hi:[1,1,0] neg_lo:[0,0,1] neg_hi:[0,0,1]
	v_pk_fma_f32 v[126:127], v[128:129], v[116:117], v[126:127] op_sel:[0,0,1] op_sel_hi:[1,0,0]
	v_mov_b32_e32 v131, v127
	ds_load_2addr_b64 v[126:129], v120 offset0:13 offset1:14
	v_pk_add_f32 v[58:59], v[58:59], v[132:133] neg_lo:[0,1] neg_hi:[0,1]
	v_pk_add_f32 v[100:101], v[100:101], v[130:131] neg_lo:[0,1] neg_hi:[0,1]
	s_wait_dscnt 0x0
	v_dual_mul_f32 v130, v127, v119 :: v_dual_mul_f32 v132, v127, v116
	s_delay_alu instid0(VALU_DEP_1) | instskip(NEXT) | instid1(VALU_DEP_2)
	v_pk_fma_f32 v[130:131], v[126:127], v[96:97], v[130:131] op_sel_hi:[1,1,0] neg_lo:[0,0,1] neg_hi:[0,0,1]
	v_pk_fma_f32 v[126:127], v[126:127], v[96:97], v[132:133] op_sel:[1,0,0] op_sel_hi:[0,1,0]
	s_delay_alu instid0(VALU_DEP_1) | instskip(SKIP_1) | instid1(VALU_DEP_2)
	v_mov_b32_e32 v131, v127
	v_pk_mul_f32 v[126:127], v[128:129], v[118:119] op_sel:[0,1]
	v_pk_add_f32 v[98:99], v[98:99], v[130:131] neg_lo:[0,1] neg_hi:[0,1]
	s_delay_alu instid0(VALU_DEP_2) | instskip(SKIP_1) | instid1(VALU_DEP_1)
	v_pk_fma_f32 v[130:131], v[128:129], v[116:117], v[126:127] op_sel:[0,0,1] op_sel_hi:[1,1,0] neg_lo:[0,0,1] neg_hi:[0,0,1]
	v_pk_fma_f32 v[126:127], v[128:129], v[116:117], v[126:127] op_sel:[0,0,1] op_sel_hi:[1,0,0]
	v_mov_b32_e32 v131, v127
	ds_load_2addr_b64 v[126:129], v120 offset0:15 offset1:16
	v_pk_add_f32 v[56:57], v[56:57], v[130:131] neg_lo:[0,1] neg_hi:[0,1]
	s_wait_dscnt 0x0
	v_pk_mul_f32 v[130:131], v[126:127], v[118:119] op_sel:[0,1]
	s_delay_alu instid0(VALU_DEP_1) | instskip(SKIP_1) | instid1(VALU_DEP_1)
	v_pk_fma_f32 v[132:133], v[126:127], v[116:117], v[130:131] op_sel:[0,0,1] op_sel_hi:[1,1,0] neg_lo:[0,0,1] neg_hi:[0,0,1]
	v_pk_fma_f32 v[126:127], v[126:127], v[116:117], v[130:131] op_sel:[0,0,1] op_sel_hi:[1,0,0]
	v_mov_b32_e32 v133, v127
	v_pk_mul_f32 v[126:127], v[128:129], v[118:119] op_sel:[0,1]
	s_delay_alu instid0(VALU_DEP_2) | instskip(NEXT) | instid1(VALU_DEP_2)
	v_pk_add_f32 v[54:55], v[54:55], v[132:133] neg_lo:[0,1] neg_hi:[0,1]
	v_pk_fma_f32 v[130:131], v[128:129], v[116:117], v[126:127] op_sel:[0,0,1] op_sel_hi:[1,1,0] neg_lo:[0,0,1] neg_hi:[0,0,1]
	v_pk_fma_f32 v[126:127], v[128:129], v[116:117], v[126:127] op_sel:[0,0,1] op_sel_hi:[1,0,0]
	s_delay_alu instid0(VALU_DEP_1) | instskip(SKIP_4) | instid1(VALU_DEP_1)
	v_mov_b32_e32 v131, v127
	ds_load_2addr_b64 v[126:129], v120 offset0:17 offset1:18
	v_pk_add_f32 v[92:93], v[92:93], v[130:131] neg_lo:[0,1] neg_hi:[0,1]
	s_wait_dscnt 0x0
	v_pk_mul_f32 v[130:131], v[126:127], v[118:119] op_sel:[0,1]
	v_pk_fma_f32 v[132:133], v[126:127], v[116:117], v[130:131] op_sel:[0,0,1] op_sel_hi:[1,1,0] neg_lo:[0,0,1] neg_hi:[0,0,1]
	v_pk_fma_f32 v[126:127], v[126:127], v[116:117], v[130:131] op_sel:[0,0,1] op_sel_hi:[1,0,0]
	v_dual_mul_f32 v130, v129, v119 :: v_dual_mov_b32 v126, v129
	s_delay_alu instid0(VALU_DEP_2) | instskip(NEXT) | instid1(VALU_DEP_2)
	v_dual_mov_b32 v133, v127 :: v_dual_mov_b32 v127, v128
	v_pk_fma_f32 v[130:131], v[128:129], v[96:97], v[130:131] op_sel_hi:[1,1,0] neg_lo:[0,0,1] neg_hi:[0,0,1]
	v_mul_f32_e32 v128, v129, v116
	s_delay_alu instid0(VALU_DEP_3) | instskip(NEXT) | instid1(VALU_DEP_2)
	v_pk_add_f32 v[90:91], v[90:91], v[132:133] neg_lo:[0,1] neg_hi:[0,1]
	v_pk_fma_f32 v[126:127], v[126:127], v[96:97], v[128:129] op_sel_hi:[1,1,0]
	s_delay_alu instid0(VALU_DEP_1) | instskip(SKIP_4) | instid1(VALU_DEP_1)
	v_mov_b32_e32 v131, v127
	ds_load_2addr_b64 v[126:129], v120 offset0:19 offset1:20
	v_pk_add_f32 v[44:45], v[44:45], v[130:131] neg_lo:[0,1] neg_hi:[0,1]
	s_wait_dscnt 0x0
	v_pk_mul_f32 v[130:131], v[126:127], v[118:119] op_sel:[0,1]
	v_pk_fma_f32 v[132:133], v[126:127], v[116:117], v[130:131] op_sel:[0,0,1] op_sel_hi:[1,1,0] neg_lo:[0,0,1] neg_hi:[0,0,1]
	v_pk_fma_f32 v[126:127], v[126:127], v[116:117], v[130:131] op_sel:[0,0,1] op_sel_hi:[1,0,0]
	s_delay_alu instid0(VALU_DEP_1) | instskip(SKIP_1) | instid1(VALU_DEP_1)
	v_mov_b32_e32 v133, v127
	v_pk_mul_f32 v[126:127], v[128:129], v[118:119] op_sel:[0,1]
	v_pk_fma_f32 v[130:131], v[128:129], v[116:117], v[126:127] op_sel:[0,0,1] op_sel_hi:[1,1,0] neg_lo:[0,0,1] neg_hi:[0,0,1]
	v_pk_fma_f32 v[126:127], v[128:129], v[116:117], v[126:127] op_sel:[0,0,1] op_sel_hi:[1,0,0]
	s_delay_alu instid0(VALU_DEP_1)
	v_mov_b32_e32 v131, v127
	ds_load_2addr_b64 v[126:129], v120 offset0:21 offset1:22
	v_pk_add_f32 v[42:43], v[42:43], v[132:133] neg_lo:[0,1] neg_hi:[0,1]
	v_pk_add_f32 v[88:89], v[88:89], v[130:131] neg_lo:[0,1] neg_hi:[0,1]
	s_wait_dscnt 0x0
	v_pk_mul_f32 v[130:131], v[126:127], v[118:119] op_sel:[0,1]
	s_delay_alu instid0(VALU_DEP_1) | instskip(SKIP_1) | instid1(VALU_DEP_1)
	v_pk_fma_f32 v[132:133], v[126:127], v[116:117], v[130:131] op_sel:[0,0,1] op_sel_hi:[1,1,0] neg_lo:[0,0,1] neg_hi:[0,0,1]
	v_pk_fma_f32 v[126:127], v[126:127], v[116:117], v[130:131] op_sel:[0,0,1] op_sel_hi:[1,0,0]
	v_mov_b32_e32 v133, v127
	v_pk_mul_f32 v[126:127], v[128:129], v[118:119] op_sel:[0,1]
	s_delay_alu instid0(VALU_DEP_1) | instskip(SKIP_1) | instid1(VALU_DEP_1)
	v_pk_fma_f32 v[130:131], v[128:129], v[116:117], v[126:127] op_sel:[0,0,1] op_sel_hi:[1,1,0] neg_lo:[0,0,1] neg_hi:[0,0,1]
	v_pk_fma_f32 v[126:127], v[128:129], v[116:117], v[126:127] op_sel:[0,0,1] op_sel_hi:[1,0,0]
	v_mov_b32_e32 v131, v127
	ds_load_2addr_b64 v[126:129], v120 offset0:23 offset1:24
	v_pk_add_f32 v[86:87], v[86:87], v[132:133] neg_lo:[0,1] neg_hi:[0,1]
	v_pk_add_f32 v[40:41], v[40:41], v[130:131] neg_lo:[0,1] neg_hi:[0,1]
	s_wait_dscnt 0x0
	v_dual_mul_f32 v130, v127, v119 :: v_dual_mul_f32 v132, v127, v116
	s_delay_alu instid0(VALU_DEP_1) | instskip(NEXT) | instid1(VALU_DEP_2)
	v_pk_fma_f32 v[130:131], v[126:127], v[96:97], v[130:131] op_sel_hi:[1,1,0] neg_lo:[0,0,1] neg_hi:[0,0,1]
	v_pk_fma_f32 v[126:127], v[126:127], v[96:97], v[132:133] op_sel:[1,0,0] op_sel_hi:[0,1,0]
	s_delay_alu instid0(VALU_DEP_1) | instskip(SKIP_1) | instid1(VALU_DEP_2)
	v_mov_b32_e32 v131, v127
	v_pk_mul_f32 v[126:127], v[128:129], v[118:119] op_sel:[0,1]
	v_pk_add_f32 v[38:39], v[38:39], v[130:131] neg_lo:[0,1] neg_hi:[0,1]
	s_delay_alu instid0(VALU_DEP_2) | instskip(SKIP_1) | instid1(VALU_DEP_1)
	v_pk_fma_f32 v[130:131], v[128:129], v[116:117], v[126:127] op_sel:[0,0,1] op_sel_hi:[1,1,0] neg_lo:[0,0,1] neg_hi:[0,0,1]
	v_pk_fma_f32 v[126:127], v[128:129], v[116:117], v[126:127] op_sel:[0,0,1] op_sel_hi:[1,0,0]
	v_mov_b32_e32 v131, v127
	ds_load_2addr_b64 v[126:129], v120 offset0:25 offset1:26
	v_pk_add_f32 v[84:85], v[84:85], v[130:131] neg_lo:[0,1] neg_hi:[0,1]
	s_wait_dscnt 0x0
	v_pk_mul_f32 v[130:131], v[126:127], v[118:119] op_sel:[0,1]
	s_delay_alu instid0(VALU_DEP_1) | instskip(SKIP_1) | instid1(VALU_DEP_1)
	v_pk_fma_f32 v[132:133], v[126:127], v[116:117], v[130:131] op_sel:[0,0,1] op_sel_hi:[1,1,0] neg_lo:[0,0,1] neg_hi:[0,0,1]
	v_pk_fma_f32 v[126:127], v[126:127], v[116:117], v[130:131] op_sel:[0,0,1] op_sel_hi:[1,0,0]
	v_mov_b32_e32 v133, v127
	v_pk_mul_f32 v[126:127], v[128:129], v[118:119] op_sel:[0,1]
	s_delay_alu instid0(VALU_DEP_2) | instskip(NEXT) | instid1(VALU_DEP_2)
	v_pk_add_f32 v[82:83], v[82:83], v[132:133] neg_lo:[0,1] neg_hi:[0,1]
	v_pk_fma_f32 v[130:131], v[128:129], v[116:117], v[126:127] op_sel:[0,0,1] op_sel_hi:[1,1,0] neg_lo:[0,0,1] neg_hi:[0,0,1]
	v_pk_fma_f32 v[126:127], v[128:129], v[116:117], v[126:127] op_sel:[0,0,1] op_sel_hi:[1,0,0]
	s_delay_alu instid0(VALU_DEP_1) | instskip(SKIP_4) | instid1(VALU_DEP_1)
	v_mov_b32_e32 v131, v127
	ds_load_2addr_b64 v[126:129], v120 offset0:27 offset1:28
	v_pk_add_f32 v[36:37], v[36:37], v[130:131] neg_lo:[0,1] neg_hi:[0,1]
	s_wait_dscnt 0x0
	v_pk_mul_f32 v[130:131], v[126:127], v[118:119] op_sel:[0,1]
	v_pk_fma_f32 v[132:133], v[126:127], v[116:117], v[130:131] op_sel:[0,0,1] op_sel_hi:[1,1,0] neg_lo:[0,0,1] neg_hi:[0,0,1]
	v_pk_fma_f32 v[126:127], v[126:127], v[116:117], v[130:131] op_sel:[0,0,1] op_sel_hi:[1,0,0]
	v_dual_mul_f32 v130, v129, v119 :: v_dual_mov_b32 v126, v129
	s_delay_alu instid0(VALU_DEP_2) | instskip(NEXT) | instid1(VALU_DEP_2)
	v_dual_mov_b32 v133, v127 :: v_dual_mov_b32 v127, v128
	v_pk_fma_f32 v[130:131], v[128:129], v[96:97], v[130:131] op_sel_hi:[1,1,0] neg_lo:[0,0,1] neg_hi:[0,0,1]
	v_mul_f32_e32 v128, v129, v116
	s_delay_alu instid0(VALU_DEP_3) | instskip(NEXT) | instid1(VALU_DEP_2)
	v_pk_add_f32 v[32:33], v[32:33], v[132:133] neg_lo:[0,1] neg_hi:[0,1]
	v_pk_fma_f32 v[126:127], v[126:127], v[96:97], v[128:129] op_sel_hi:[1,1,0]
	s_delay_alu instid0(VALU_DEP_1) | instskip(SKIP_4) | instid1(VALU_DEP_1)
	v_mov_b32_e32 v131, v127
	ds_load_2addr_b64 v[126:129], v120 offset0:29 offset1:30
	v_pk_add_f32 v[80:81], v[80:81], v[130:131] neg_lo:[0,1] neg_hi:[0,1]
	s_wait_dscnt 0x0
	v_pk_mul_f32 v[130:131], v[126:127], v[118:119] op_sel:[0,1]
	v_pk_fma_f32 v[132:133], v[126:127], v[116:117], v[130:131] op_sel:[0,0,1] op_sel_hi:[1,1,0] neg_lo:[0,0,1] neg_hi:[0,0,1]
	v_pk_fma_f32 v[126:127], v[126:127], v[116:117], v[130:131] op_sel:[0,0,1] op_sel_hi:[1,0,0]
	s_delay_alu instid0(VALU_DEP_1) | instskip(SKIP_1) | instid1(VALU_DEP_1)
	v_mov_b32_e32 v133, v127
	v_pk_mul_f32 v[126:127], v[128:129], v[118:119] op_sel:[0,1]
	v_pk_fma_f32 v[130:131], v[128:129], v[116:117], v[126:127] op_sel:[0,0,1] op_sel_hi:[1,1,0] neg_lo:[0,0,1] neg_hi:[0,0,1]
	v_pk_fma_f32 v[126:127], v[128:129], v[116:117], v[126:127] op_sel:[0,0,1] op_sel_hi:[1,0,0]
	s_delay_alu instid0(VALU_DEP_1)
	v_mov_b32_e32 v131, v127
	ds_load_2addr_b64 v[126:129], v120 offset0:31 offset1:32
	v_pk_add_f32 v[78:79], v[78:79], v[132:133] neg_lo:[0,1] neg_hi:[0,1]
	v_pk_add_f32 v[28:29], v[28:29], v[130:131] neg_lo:[0,1] neg_hi:[0,1]
	s_wait_dscnt 0x0
	v_pk_mul_f32 v[130:131], v[126:127], v[118:119] op_sel:[0,1]
	s_delay_alu instid0(VALU_DEP_1) | instskip(SKIP_1) | instid1(VALU_DEP_1)
	v_pk_fma_f32 v[132:133], v[126:127], v[116:117], v[130:131] op_sel:[0,0,1] op_sel_hi:[1,1,0] neg_lo:[0,0,1] neg_hi:[0,0,1]
	v_pk_fma_f32 v[126:127], v[126:127], v[116:117], v[130:131] op_sel:[0,0,1] op_sel_hi:[1,0,0]
	v_mov_b32_e32 v133, v127
	v_pk_mul_f32 v[126:127], v[128:129], v[118:119] op_sel:[0,1]
	s_delay_alu instid0(VALU_DEP_1) | instskip(SKIP_1) | instid1(VALU_DEP_1)
	v_pk_fma_f32 v[130:131], v[128:129], v[116:117], v[126:127] op_sel:[0,0,1] op_sel_hi:[1,1,0] neg_lo:[0,0,1] neg_hi:[0,0,1]
	v_pk_fma_f32 v[126:127], v[128:129], v[116:117], v[126:127] op_sel:[0,0,1] op_sel_hi:[1,0,0]
	v_mov_b32_e32 v131, v127
	ds_load_2addr_b64 v[126:129], v120 offset0:33 offset1:34
	v_pk_add_f32 v[26:27], v[26:27], v[132:133] neg_lo:[0,1] neg_hi:[0,1]
	v_pk_add_f32 v[76:77], v[76:77], v[130:131] neg_lo:[0,1] neg_hi:[0,1]
	s_wait_dscnt 0x0
	v_dual_mul_f32 v130, v127, v119 :: v_dual_mul_f32 v132, v127, v116
	s_delay_alu instid0(VALU_DEP_1) | instskip(NEXT) | instid1(VALU_DEP_2)
	v_pk_fma_f32 v[130:131], v[126:127], v[96:97], v[130:131] op_sel_hi:[1,1,0] neg_lo:[0,0,1] neg_hi:[0,0,1]
	v_pk_fma_f32 v[126:127], v[126:127], v[96:97], v[132:133] op_sel:[1,0,0] op_sel_hi:[0,1,0]
	s_delay_alu instid0(VALU_DEP_1) | instskip(SKIP_1) | instid1(VALU_DEP_2)
	v_mov_b32_e32 v131, v127
	v_pk_mul_f32 v[126:127], v[128:129], v[118:119] op_sel:[0,1]
	v_pk_add_f32 v[74:75], v[74:75], v[130:131] neg_lo:[0,1] neg_hi:[0,1]
	s_delay_alu instid0(VALU_DEP_2) | instskip(SKIP_1) | instid1(VALU_DEP_1)
	v_pk_fma_f32 v[130:131], v[128:129], v[116:117], v[126:127] op_sel:[0,0,1] op_sel_hi:[1,1,0] neg_lo:[0,0,1] neg_hi:[0,0,1]
	v_pk_fma_f32 v[126:127], v[128:129], v[116:117], v[126:127] op_sel:[0,0,1] op_sel_hi:[1,0,0]
	v_mov_b32_e32 v131, v127
	ds_load_2addr_b64 v[126:129], v120 offset0:35 offset1:36
	v_pk_add_f32 v[22:23], v[22:23], v[130:131] neg_lo:[0,1] neg_hi:[0,1]
	s_wait_dscnt 0x0
	v_pk_mul_f32 v[130:131], v[126:127], v[118:119] op_sel:[0,1]
	s_delay_alu instid0(VALU_DEP_1) | instskip(SKIP_1) | instid1(VALU_DEP_1)
	v_pk_fma_f32 v[132:133], v[126:127], v[116:117], v[130:131] op_sel:[0,0,1] op_sel_hi:[1,1,0] neg_lo:[0,0,1] neg_hi:[0,0,1]
	v_pk_fma_f32 v[126:127], v[126:127], v[116:117], v[130:131] op_sel:[0,0,1] op_sel_hi:[1,0,0]
	v_mov_b32_e32 v133, v127
	v_pk_mul_f32 v[126:127], v[128:129], v[118:119] op_sel:[0,1]
	s_delay_alu instid0(VALU_DEP_2) | instskip(NEXT) | instid1(VALU_DEP_2)
	v_pk_add_f32 v[20:21], v[20:21], v[132:133] neg_lo:[0,1] neg_hi:[0,1]
	v_pk_fma_f32 v[130:131], v[128:129], v[116:117], v[126:127] op_sel:[0,0,1] op_sel_hi:[1,1,0] neg_lo:[0,0,1] neg_hi:[0,0,1]
	v_pk_fma_f32 v[126:127], v[128:129], v[116:117], v[126:127] op_sel:[0,0,1] op_sel_hi:[1,0,0]
	s_delay_alu instid0(VALU_DEP_1) | instskip(SKIP_4) | instid1(VALU_DEP_1)
	v_mov_b32_e32 v131, v127
	ds_load_2addr_b64 v[126:129], v120 offset0:37 offset1:38
	v_pk_add_f32 v[72:73], v[72:73], v[130:131] neg_lo:[0,1] neg_hi:[0,1]
	s_wait_dscnt 0x0
	v_pk_mul_f32 v[130:131], v[126:127], v[118:119] op_sel:[0,1]
	v_pk_fma_f32 v[132:133], v[126:127], v[116:117], v[130:131] op_sel:[0,0,1] op_sel_hi:[1,1,0] neg_lo:[0,0,1] neg_hi:[0,0,1]
	v_pk_fma_f32 v[126:127], v[126:127], v[116:117], v[130:131] op_sel:[0,0,1] op_sel_hi:[1,0,0]
	v_dual_mul_f32 v130, v129, v119 :: v_dual_mov_b32 v126, v129
	s_delay_alu instid0(VALU_DEP_2) | instskip(NEXT) | instid1(VALU_DEP_2)
	v_dual_mov_b32 v133, v127 :: v_dual_mov_b32 v127, v128
	v_pk_fma_f32 v[130:131], v[128:129], v[96:97], v[130:131] op_sel_hi:[1,1,0] neg_lo:[0,0,1] neg_hi:[0,0,1]
	v_mul_f32_e32 v128, v129, v116
	s_delay_alu instid0(VALU_DEP_3) | instskip(NEXT) | instid1(VALU_DEP_2)
	v_pk_add_f32 v[70:71], v[70:71], v[132:133] neg_lo:[0,1] neg_hi:[0,1]
	v_pk_fma_f32 v[126:127], v[126:127], v[96:97], v[128:129] op_sel_hi:[1,1,0]
	s_delay_alu instid0(VALU_DEP_1) | instskip(SKIP_4) | instid1(VALU_DEP_1)
	v_mov_b32_e32 v131, v127
	ds_load_2addr_b64 v[126:129], v120 offset0:39 offset1:40
	v_pk_add_f32 v[18:19], v[18:19], v[130:131] neg_lo:[0,1] neg_hi:[0,1]
	s_wait_dscnt 0x0
	v_pk_mul_f32 v[130:131], v[126:127], v[118:119] op_sel:[0,1]
	v_pk_fma_f32 v[132:133], v[126:127], v[116:117], v[130:131] op_sel:[0,0,1] op_sel_hi:[1,1,0] neg_lo:[0,0,1] neg_hi:[0,0,1]
	v_pk_fma_f32 v[126:127], v[126:127], v[116:117], v[130:131] op_sel:[0,0,1] op_sel_hi:[1,0,0]
	s_delay_alu instid0(VALU_DEP_1) | instskip(SKIP_1) | instid1(VALU_DEP_1)
	v_mov_b32_e32 v133, v127
	v_pk_mul_f32 v[126:127], v[128:129], v[118:119] op_sel:[0,1]
	v_pk_fma_f32 v[130:131], v[128:129], v[116:117], v[126:127] op_sel:[0,0,1] op_sel_hi:[1,1,0] neg_lo:[0,0,1] neg_hi:[0,0,1]
	v_pk_fma_f32 v[126:127], v[128:129], v[116:117], v[126:127] op_sel:[0,0,1] op_sel_hi:[1,0,0]
	s_delay_alu instid0(VALU_DEP_1)
	v_mov_b32_e32 v131, v127
	ds_load_2addr_b64 v[126:129], v120 offset0:41 offset1:42
	v_pk_add_f32 v[16:17], v[16:17], v[132:133] neg_lo:[0,1] neg_hi:[0,1]
	v_pk_add_f32 v[68:69], v[68:69], v[130:131] neg_lo:[0,1] neg_hi:[0,1]
	s_wait_dscnt 0x0
	v_pk_mul_f32 v[130:131], v[126:127], v[118:119] op_sel:[0,1]
	s_delay_alu instid0(VALU_DEP_1) | instskip(SKIP_1) | instid1(VALU_DEP_1)
	v_pk_fma_f32 v[132:133], v[126:127], v[116:117], v[130:131] op_sel:[0,0,1] op_sel_hi:[1,1,0] neg_lo:[0,0,1] neg_hi:[0,0,1]
	v_pk_fma_f32 v[126:127], v[126:127], v[116:117], v[130:131] op_sel:[0,0,1] op_sel_hi:[1,0,0]
	v_mov_b32_e32 v133, v127
	v_pk_mul_f32 v[126:127], v[128:129], v[118:119] op_sel:[0,1]
	s_delay_alu instid0(VALU_DEP_1) | instskip(SKIP_1) | instid1(VALU_DEP_1)
	v_pk_fma_f32 v[130:131], v[128:129], v[116:117], v[126:127] op_sel:[0,0,1] op_sel_hi:[1,1,0] neg_lo:[0,0,1] neg_hi:[0,0,1]
	v_pk_fma_f32 v[126:127], v[128:129], v[116:117], v[126:127] op_sel:[0,0,1] op_sel_hi:[1,0,0]
	v_mov_b32_e32 v131, v127
	ds_load_2addr_b64 v[126:129], v120 offset0:43 offset1:44
	v_pk_add_f32 v[66:67], v[66:67], v[132:133] neg_lo:[0,1] neg_hi:[0,1]
	v_pk_add_f32 v[14:15], v[14:15], v[130:131] neg_lo:[0,1] neg_hi:[0,1]
	s_wait_dscnt 0x0
	v_dual_mul_f32 v130, v127, v119 :: v_dual_mul_f32 v132, v127, v116
	s_delay_alu instid0(VALU_DEP_1) | instskip(NEXT) | instid1(VALU_DEP_2)
	v_pk_fma_f32 v[130:131], v[126:127], v[96:97], v[130:131] op_sel_hi:[1,1,0] neg_lo:[0,0,1] neg_hi:[0,0,1]
	v_pk_fma_f32 v[126:127], v[126:127], v[96:97], v[132:133] op_sel:[1,0,0] op_sel_hi:[0,1,0]
	s_delay_alu instid0(VALU_DEP_1) | instskip(SKIP_1) | instid1(VALU_DEP_2)
	v_mov_b32_e32 v131, v127
	v_pk_mul_f32 v[126:127], v[128:129], v[118:119] op_sel:[0,1]
	v_pk_add_f32 v[12:13], v[12:13], v[130:131] neg_lo:[0,1] neg_hi:[0,1]
	s_delay_alu instid0(VALU_DEP_2) | instskip(SKIP_1) | instid1(VALU_DEP_1)
	v_pk_fma_f32 v[130:131], v[128:129], v[116:117], v[126:127] op_sel:[0,0,1] op_sel_hi:[1,1,0] neg_lo:[0,0,1] neg_hi:[0,0,1]
	v_pk_fma_f32 v[126:127], v[128:129], v[116:117], v[126:127] op_sel:[0,0,1] op_sel_hi:[1,0,0]
	v_mov_b32_e32 v131, v127
	ds_load_2addr_b64 v[126:129], v120 offset0:45 offset1:46
	v_pk_add_f32 v[64:65], v[64:65], v[130:131] neg_lo:[0,1] neg_hi:[0,1]
	s_wait_dscnt 0x0
	v_pk_mul_f32 v[130:131], v[126:127], v[118:119] op_sel:[0,1]
	s_delay_alu instid0(VALU_DEP_1) | instskip(SKIP_1) | instid1(VALU_DEP_1)
	v_pk_fma_f32 v[132:133], v[126:127], v[116:117], v[130:131] op_sel:[0,0,1] op_sel_hi:[1,1,0] neg_lo:[0,0,1] neg_hi:[0,0,1]
	v_pk_fma_f32 v[126:127], v[126:127], v[116:117], v[130:131] op_sel:[0,0,1] op_sel_hi:[1,0,0]
	v_mov_b32_e32 v133, v127
	v_pk_mul_f32 v[126:127], v[128:129], v[118:119] op_sel:[0,1]
	s_delay_alu instid0(VALU_DEP_2) | instskip(NEXT) | instid1(VALU_DEP_2)
	v_pk_add_f32 v[62:63], v[62:63], v[132:133] neg_lo:[0,1] neg_hi:[0,1]
	v_pk_fma_f32 v[130:131], v[128:129], v[116:117], v[126:127] op_sel:[0,0,1] op_sel_hi:[1,1,0] neg_lo:[0,0,1] neg_hi:[0,0,1]
	v_pk_fma_f32 v[126:127], v[128:129], v[116:117], v[126:127] op_sel:[0,0,1] op_sel_hi:[1,0,0]
	s_delay_alu instid0(VALU_DEP_1) | instskip(SKIP_4) | instid1(VALU_DEP_1)
	v_mov_b32_e32 v131, v127
	ds_load_2addr_b64 v[126:129], v120 offset0:47 offset1:48
	v_pk_add_f32 v[10:11], v[10:11], v[130:131] neg_lo:[0,1] neg_hi:[0,1]
	s_wait_dscnt 0x0
	v_pk_mul_f32 v[130:131], v[126:127], v[118:119] op_sel:[0,1]
	v_pk_fma_f32 v[132:133], v[126:127], v[116:117], v[130:131] op_sel:[0,0,1] op_sel_hi:[1,1,0] neg_lo:[0,0,1] neg_hi:[0,0,1]
	v_pk_fma_f32 v[126:127], v[126:127], v[116:117], v[130:131] op_sel:[0,0,1] op_sel_hi:[1,0,0]
	v_dual_mul_f32 v130, v129, v119 :: v_dual_mov_b32 v126, v129
	s_delay_alu instid0(VALU_DEP_2) | instskip(NEXT) | instid1(VALU_DEP_2)
	v_dual_mov_b32 v133, v127 :: v_dual_mov_b32 v127, v128
	v_pk_fma_f32 v[130:131], v[128:129], v[96:97], v[130:131] op_sel_hi:[1,1,0] neg_lo:[0,0,1] neg_hi:[0,0,1]
	v_mul_f32_e32 v128, v129, v116
	s_delay_alu instid0(VALU_DEP_3) | instskip(NEXT) | instid1(VALU_DEP_2)
	v_pk_add_f32 v[6:7], v[6:7], v[132:133] neg_lo:[0,1] neg_hi:[0,1]
	v_pk_fma_f32 v[126:127], v[126:127], v[96:97], v[128:129] op_sel_hi:[1,1,0]
	s_delay_alu instid0(VALU_DEP_1) | instskip(SKIP_4) | instid1(VALU_DEP_1)
	v_mov_b32_e32 v131, v127
	ds_load_2addr_b64 v[126:129], v120 offset0:49 offset1:50
	v_pk_add_f32 v[52:53], v[52:53], v[130:131] neg_lo:[0,1] neg_hi:[0,1]
	s_wait_dscnt 0x0
	v_pk_mul_f32 v[130:131], v[126:127], v[118:119] op_sel:[0,1]
	v_pk_fma_f32 v[132:133], v[126:127], v[116:117], v[130:131] op_sel:[0,0,1] op_sel_hi:[1,1,0] neg_lo:[0,0,1] neg_hi:[0,0,1]
	v_pk_fma_f32 v[126:127], v[126:127], v[116:117], v[130:131] op_sel:[0,0,1] op_sel_hi:[1,0,0]
	s_delay_alu instid0(VALU_DEP_1) | instskip(SKIP_1) | instid1(VALU_DEP_1)
	v_mov_b32_e32 v133, v127
	v_pk_mul_f32 v[126:127], v[128:129], v[118:119] op_sel:[0,1]
	v_pk_fma_f32 v[130:131], v[128:129], v[116:117], v[126:127] op_sel:[0,0,1] op_sel_hi:[1,1,0] neg_lo:[0,0,1] neg_hi:[0,0,1]
	v_pk_fma_f32 v[126:127], v[128:129], v[116:117], v[126:127] op_sel:[0,0,1] op_sel_hi:[1,0,0]
	s_delay_alu instid0(VALU_DEP_1)
	v_mov_b32_e32 v131, v127
	ds_load_2addr_b64 v[126:129], v120 offset0:51 offset1:52
	v_pk_add_f32 v[50:51], v[50:51], v[132:133] neg_lo:[0,1] neg_hi:[0,1]
	v_pk_add_f32 v[8:9], v[8:9], v[130:131] neg_lo:[0,1] neg_hi:[0,1]
	s_wait_dscnt 0x0
	v_pk_mul_f32 v[130:131], v[126:127], v[118:119] op_sel:[0,1]
	s_delay_alu instid0(VALU_DEP_1) | instskip(SKIP_1) | instid1(VALU_DEP_1)
	v_pk_fma_f32 v[132:133], v[126:127], v[116:117], v[130:131] op_sel:[0,0,1] op_sel_hi:[1,1,0] neg_lo:[0,0,1] neg_hi:[0,0,1]
	v_pk_fma_f32 v[126:127], v[126:127], v[116:117], v[130:131] op_sel:[0,0,1] op_sel_hi:[1,0,0]
	v_mov_b32_e32 v133, v127
	v_pk_mul_f32 v[126:127], v[128:129], v[118:119] op_sel:[0,1]
	s_delay_alu instid0(VALU_DEP_1) | instskip(SKIP_1) | instid1(VALU_DEP_1)
	v_pk_fma_f32 v[130:131], v[128:129], v[116:117], v[126:127] op_sel:[0,0,1] op_sel_hi:[1,1,0] neg_lo:[0,0,1] neg_hi:[0,0,1]
	v_pk_fma_f32 v[126:127], v[128:129], v[116:117], v[126:127] op_sel:[0,0,1] op_sel_hi:[1,0,0]
	v_mov_b32_e32 v131, v127
	ds_load_2addr_b64 v[126:129], v120 offset0:53 offset1:54
	v_pk_add_f32 v[30:31], v[30:31], v[132:133] neg_lo:[0,1] neg_hi:[0,1]
	v_pk_add_f32 v[34:35], v[34:35], v[130:131] neg_lo:[0,1] neg_hi:[0,1]
	s_wait_dscnt 0x0
	v_dual_mul_f32 v130, v127, v119 :: v_dual_mul_f32 v132, v127, v116
	v_pk_mul_f32 v[118:119], v[128:129], v[118:119] op_sel:[0,1]
	s_delay_alu instid0(VALU_DEP_2) | instskip(NEXT) | instid1(VALU_DEP_3)
	v_pk_fma_f32 v[130:131], v[126:127], v[96:97], v[130:131] op_sel_hi:[1,1,0] neg_lo:[0,0,1] neg_hi:[0,0,1]
	v_pk_fma_f32 v[126:127], v[126:127], v[96:97], v[132:133] op_sel:[1,0,0] op_sel_hi:[0,1,0]
	s_delay_alu instid0(VALU_DEP_1) | instskip(NEXT) | instid1(VALU_DEP_4)
	v_mov_b32_e32 v131, v127
	v_pk_fma_f32 v[126:127], v[128:129], v[116:117], v[118:119] op_sel:[0,0,1] op_sel_hi:[1,1,0] neg_lo:[0,0,1] neg_hi:[0,0,1]
	v_pk_fma_f32 v[116:117], v[128:129], v[116:117], v[118:119] op_sel:[0,0,1] op_sel_hi:[1,0,0]
	s_delay_alu instid0(VALU_DEP_1) | instskip(NEXT) | instid1(VALU_DEP_4)
	v_mov_b32_e32 v127, v117
	v_pk_add_f32 v[24:25], v[24:25], v[130:131] neg_lo:[0,1] neg_hi:[0,1]
	s_delay_alu instid0(VALU_DEP_2)
	v_pk_add_f32 v[114:115], v[114:115], v[126:127] neg_lo:[0,1] neg_hi:[0,1]
.LBB108_104:
	s_or_b32 exec_lo, exec_lo, s0
	v_lshl_add_u32 v116, v124, 3, v120
	s_barrier_signal -1
	s_barrier_wait -1
	ds_store_b64 v116, v[94:95]
	s_wait_dscnt 0x0
	s_barrier_signal -1
	s_barrier_wait -1
	ds_load_b64 v[118:119], v120 offset:40
	v_mov_b32_e32 v116, 5
	s_cmp_lt_i32 s18, 7
	s_cbranch_scc1 .LBB108_107
; %bb.105:
	v_add3_u32 v117, v121, 0, 48
	v_mov_b32_e32 v116, 5
	s_mov_b32 s0, 6
.LBB108_106:                            ; =>This Inner Loop Header: Depth=1
	ds_load_b64 v[126:127], v117
	s_wait_dscnt 0x1
	v_cmp_gt_f32_e32 vcc_lo, 0, v118
	v_cndmask_b32_e64 v128, v118, -v118, vcc_lo
	v_cmp_gt_f32_e32 vcc_lo, 0, v119
	v_cndmask_b32_e64 v130, v119, -v119, vcc_lo
	s_wait_dscnt 0x0
	v_cmp_gt_f32_e32 vcc_lo, 0, v126
	v_cndmask_b32_e64 v129, v126, -v126, vcc_lo
	v_cmp_gt_f32_e32 vcc_lo, 0, v127
	v_cndmask_b32_e64 v131, v127, -v127, vcc_lo
	s_delay_alu instid0(VALU_DEP_1) | instskip(NEXT) | instid1(VALU_DEP_1)
	v_pk_add_f32 v[128:129], v[128:129], v[130:131]
	v_cmp_lt_f32_e32 vcc_lo, v128, v129
	v_dual_add_nc_u32 v117, 8, v117 :: v_dual_cndmask_b32 v119, v119, v127, vcc_lo
	v_cndmask_b32_e32 v118, v118, v126, vcc_lo
	v_cndmask_b32_e64 v116, v116, s0, vcc_lo
	s_add_co_i32 s0, s0, 1
	s_delay_alu instid0(SALU_CYCLE_1)
	s_cmp_lg_u32 s18, s0
	s_cbranch_scc1 .LBB108_106
.LBB108_107:
	s_wait_dscnt 0x0
	v_cmp_eq_f32_e32 vcc_lo, 0, v118
	v_cmp_eq_f32_e64 s0, 0, v119
	s_and_b32 s0, vcc_lo, s0
	s_delay_alu instid0(SALU_CYCLE_1) | instskip(NEXT) | instid1(SALU_CYCLE_1)
	s_and_saveexec_b32 s1, s0
	s_xor_b32 s0, exec_lo, s1
; %bb.108:
	v_cmp_ne_u32_e32 vcc_lo, 0, v122
	v_cndmask_b32_e32 v122, 6, v122, vcc_lo
; %bb.109:
	s_and_not1_saveexec_b32 s0, s0
	s_cbranch_execz .LBB108_115
; %bb.110:
	v_cmp_ngt_f32_e64 s1, |v118|, |v119|
	s_and_saveexec_b32 s12, s1
	s_delay_alu instid0(SALU_CYCLE_1)
	s_xor_b32 s1, exec_lo, s12
	s_cbranch_execz .LBB108_112
; %bb.111:
	v_div_scale_f32 v117, null, v119, v119, v118
	v_div_scale_f32 v127, vcc_lo, v118, v119, v118
	s_delay_alu instid0(VALU_DEP_2) | instskip(SKIP_1) | instid1(TRANS32_DEP_1)
	v_rcp_f32_e32 v125, v117
	v_nop
	v_fma_f32 v126, -v117, v125, 1.0
	s_delay_alu instid0(VALU_DEP_1) | instskip(NEXT) | instid1(VALU_DEP_1)
	v_fmac_f32_e32 v125, v126, v125
	v_mul_f32_e32 v126, v127, v125
	s_delay_alu instid0(VALU_DEP_1) | instskip(NEXT) | instid1(VALU_DEP_1)
	v_fma_f32 v128, -v117, v126, v127
	v_fmac_f32_e32 v126, v128, v125
	s_delay_alu instid0(VALU_DEP_1) | instskip(NEXT) | instid1(VALU_DEP_1)
	v_fma_f32 v117, -v117, v126, v127
	v_div_fmas_f32 v117, v117, v125, v126
	s_delay_alu instid0(VALU_DEP_1) | instskip(NEXT) | instid1(VALU_DEP_1)
	v_div_fixup_f32 v117, v117, v119, v118
	v_fmac_f32_e32 v119, v118, v117
	s_delay_alu instid0(VALU_DEP_1) | instskip(SKIP_1) | instid1(VALU_DEP_2)
	v_div_scale_f32 v118, null, v119, v119, 1.0
	v_div_scale_f32 v127, vcc_lo, 1.0, v119, 1.0
	v_rcp_f32_e32 v125, v118
	v_nop
	s_delay_alu instid0(TRANS32_DEP_1) | instskip(NEXT) | instid1(VALU_DEP_1)
	v_fma_f32 v126, -v118, v125, 1.0
	v_fmac_f32_e32 v125, v126, v125
	s_delay_alu instid0(VALU_DEP_1) | instskip(NEXT) | instid1(VALU_DEP_1)
	v_mul_f32_e32 v126, v127, v125
	v_fma_f32 v128, -v118, v126, v127
	s_delay_alu instid0(VALU_DEP_1) | instskip(NEXT) | instid1(VALU_DEP_1)
	v_fmac_f32_e32 v126, v128, v125
	v_fma_f32 v118, -v118, v126, v127
	s_delay_alu instid0(VALU_DEP_1) | instskip(NEXT) | instid1(VALU_DEP_1)
	v_div_fmas_f32 v118, v118, v125, v126
	v_div_fixup_f32 v119, v118, v119, 1.0
	s_delay_alu instid0(VALU_DEP_1)
	v_mul_f32_e32 v118, v117, v119
	v_xor_b32_e32 v119, 0x80000000, v119
.LBB108_112:
	s_and_not1_saveexec_b32 s1, s1
	s_cbranch_execz .LBB108_114
; %bb.113:
	s_delay_alu instid0(VALU_DEP_1) | instskip(SKIP_1) | instid1(VALU_DEP_2)
	v_div_scale_f32 v117, null, v118, v118, v119
	v_div_scale_f32 v127, vcc_lo, v119, v118, v119
	v_rcp_f32_e32 v125, v117
	v_nop
	s_delay_alu instid0(TRANS32_DEP_1) | instskip(NEXT) | instid1(VALU_DEP_1)
	v_fma_f32 v126, -v117, v125, 1.0
	v_fmac_f32_e32 v125, v126, v125
	s_delay_alu instid0(VALU_DEP_1) | instskip(NEXT) | instid1(VALU_DEP_1)
	v_mul_f32_e32 v126, v127, v125
	v_fma_f32 v128, -v117, v126, v127
	s_delay_alu instid0(VALU_DEP_1) | instskip(NEXT) | instid1(VALU_DEP_1)
	v_fmac_f32_e32 v126, v128, v125
	v_fma_f32 v117, -v117, v126, v127
	s_delay_alu instid0(VALU_DEP_1) | instskip(NEXT) | instid1(VALU_DEP_1)
	v_div_fmas_f32 v117, v117, v125, v126
	v_div_fixup_f32 v117, v117, v118, v119
	s_delay_alu instid0(VALU_DEP_1) | instskip(NEXT) | instid1(VALU_DEP_1)
	v_fmac_f32_e32 v118, v119, v117
	v_div_scale_f32 v119, null, v118, v118, 1.0
	s_delay_alu instid0(VALU_DEP_1) | instskip(SKIP_1) | instid1(TRANS32_DEP_1)
	v_rcp_f32_e32 v125, v119
	v_nop
	v_fma_f32 v126, -v119, v125, 1.0
	s_delay_alu instid0(VALU_DEP_1) | instskip(SKIP_1) | instid1(VALU_DEP_1)
	v_fmac_f32_e32 v125, v126, v125
	v_div_scale_f32 v126, vcc_lo, 1.0, v118, 1.0
	v_mul_f32_e32 v127, v126, v125
	s_delay_alu instid0(VALU_DEP_1) | instskip(NEXT) | instid1(VALU_DEP_1)
	v_fma_f32 v128, -v119, v127, v126
	v_fmac_f32_e32 v127, v128, v125
	s_delay_alu instid0(VALU_DEP_1) | instskip(NEXT) | instid1(VALU_DEP_1)
	v_fma_f32 v119, -v119, v127, v126
	v_div_fmas_f32 v119, v119, v125, v127
	s_delay_alu instid0(VALU_DEP_1) | instskip(NEXT) | instid1(VALU_DEP_1)
	v_div_fixup_f32 v118, v119, v118, 1.0
	v_mul_f32_e64 v119, v117, -v118
.LBB108_114:
	s_or_b32 exec_lo, exec_lo, s1
.LBB108_115:
	s_delay_alu instid0(SALU_CYCLE_1) | instskip(NEXT) | instid1(SALU_CYCLE_1)
	s_or_b32 exec_lo, exec_lo, s0
	s_mov_b32 s0, exec_lo
	v_cmpx_ne_u32_e64 v124, v116
	s_xor_b32 s0, exec_lo, s0
	s_cbranch_execz .LBB108_121
; %bb.116:
	s_mov_b32 s1, exec_lo
	v_cmpx_eq_u32_e32 5, v124
	s_cbranch_execz .LBB108_120
; %bb.117:
	v_cmp_ne_u32_e32 vcc_lo, 5, v116
	s_xor_b32 s12, s16, -1
	s_delay_alu instid0(SALU_CYCLE_1) | instskip(NEXT) | instid1(SALU_CYCLE_1)
	s_and_b32 s13, s12, vcc_lo
	s_and_saveexec_b32 s12, s13
	s_cbranch_execz .LBB108_119
; %bb.118:
	v_ashrrev_i32_e32 v117, 31, v116
	s_delay_alu instid0(VALU_DEP_1)
	v_lshl_add_u64 v[124:125], v[116:117], 2, v[4:5]
	s_clause 0x1
	global_load_b32 v117, v[124:125], off
	global_load_b32 v123, v[4:5], off offset:20
	s_wait_loadcnt 0x1
	global_store_b32 v[4:5], v117, off offset:20
	s_wait_loadcnt 0x0
	global_store_b32 v[124:125], v123, off
.LBB108_119:
	s_wait_xcnt 0x0
	s_or_b32 exec_lo, exec_lo, s12
	v_dual_mov_b32 v124, v116 :: v_dual_mov_b32 v123, v116
.LBB108_120:
	s_or_b32 exec_lo, exec_lo, s1
.LBB108_121:
	s_and_not1_saveexec_b32 s0, s0
	s_cbranch_execz .LBB108_123
; %bb.122:
	v_dual_mov_b32 v116, v48 :: v_dual_mov_b32 v117, v49
	v_dual_mov_b32 v124, v46 :: v_dual_mov_b32 v125, v47
	ds_store_2addr_b64 v120, v[116:117], v[124:125] offset0:6 offset1:7
	v_dual_mov_b32 v116, v104 :: v_dual_mov_b32 v117, v105
	v_dual_mov_b32 v124, v102 :: v_dual_mov_b32 v125, v103
	ds_store_2addr_b64 v120, v[116:117], v[124:125] offset0:8 offset1:9
	v_dual_mov_b32 v116, v60 :: v_dual_mov_b32 v117, v61
	v_dual_mov_b32 v124, v58 :: v_dual_mov_b32 v125, v59
	ds_store_2addr_b64 v120, v[116:117], v[124:125] offset0:10 offset1:11
	v_dual_mov_b32 v116, v100 :: v_dual_mov_b32 v117, v101
	v_dual_mov_b32 v124, v98 :: v_dual_mov_b32 v125, v99
	ds_store_2addr_b64 v120, v[116:117], v[124:125] offset0:12 offset1:13
	v_dual_mov_b32 v116, v56 :: v_dual_mov_b32 v117, v57
	v_dual_mov_b32 v124, v54 :: v_dual_mov_b32 v125, v55
	ds_store_2addr_b64 v120, v[116:117], v[124:125] offset0:14 offset1:15
	v_dual_mov_b32 v116, v92 :: v_dual_mov_b32 v117, v93
	v_dual_mov_b32 v124, v90 :: v_dual_mov_b32 v125, v91
	ds_store_2addr_b64 v120, v[116:117], v[124:125] offset0:16 offset1:17
	v_dual_mov_b32 v116, v44 :: v_dual_mov_b32 v117, v45
	v_dual_mov_b32 v124, v42 :: v_dual_mov_b32 v125, v43
	ds_store_2addr_b64 v120, v[116:117], v[124:125] offset0:18 offset1:19
	v_dual_mov_b32 v116, v88 :: v_dual_mov_b32 v117, v89
	v_dual_mov_b32 v124, v86 :: v_dual_mov_b32 v125, v87
	ds_store_2addr_b64 v120, v[116:117], v[124:125] offset0:20 offset1:21
	v_dual_mov_b32 v116, v40 :: v_dual_mov_b32 v117, v41
	v_dual_mov_b32 v124, v38 :: v_dual_mov_b32 v125, v39
	ds_store_2addr_b64 v120, v[116:117], v[124:125] offset0:22 offset1:23
	v_dual_mov_b32 v116, v84 :: v_dual_mov_b32 v117, v85
	v_dual_mov_b32 v124, v82 :: v_dual_mov_b32 v125, v83
	ds_store_2addr_b64 v120, v[116:117], v[124:125] offset0:24 offset1:25
	v_dual_mov_b32 v116, v36 :: v_dual_mov_b32 v117, v37
	v_dual_mov_b32 v124, v32 :: v_dual_mov_b32 v125, v33
	ds_store_2addr_b64 v120, v[116:117], v[124:125] offset0:26 offset1:27
	v_dual_mov_b32 v116, v80 :: v_dual_mov_b32 v117, v81
	v_dual_mov_b32 v124, v78 :: v_dual_mov_b32 v125, v79
	ds_store_2addr_b64 v120, v[116:117], v[124:125] offset0:28 offset1:29
	v_dual_mov_b32 v116, v28 :: v_dual_mov_b32 v117, v29
	v_dual_mov_b32 v124, v26 :: v_dual_mov_b32 v125, v27
	ds_store_2addr_b64 v120, v[116:117], v[124:125] offset0:30 offset1:31
	v_dual_mov_b32 v116, v76 :: v_dual_mov_b32 v117, v77
	v_dual_mov_b32 v124, v74 :: v_dual_mov_b32 v125, v75
	ds_store_2addr_b64 v120, v[116:117], v[124:125] offset0:32 offset1:33
	v_dual_mov_b32 v116, v22 :: v_dual_mov_b32 v117, v23
	v_dual_mov_b32 v124, v20 :: v_dual_mov_b32 v125, v21
	ds_store_2addr_b64 v120, v[116:117], v[124:125] offset0:34 offset1:35
	v_dual_mov_b32 v116, v72 :: v_dual_mov_b32 v117, v73
	v_dual_mov_b32 v124, v70 :: v_dual_mov_b32 v125, v71
	ds_store_2addr_b64 v120, v[116:117], v[124:125] offset0:36 offset1:37
	v_dual_mov_b32 v116, v18 :: v_dual_mov_b32 v117, v19
	v_dual_mov_b32 v124, v16 :: v_dual_mov_b32 v125, v17
	ds_store_2addr_b64 v120, v[116:117], v[124:125] offset0:38 offset1:39
	v_dual_mov_b32 v116, v68 :: v_dual_mov_b32 v117, v69
	v_dual_mov_b32 v124, v66 :: v_dual_mov_b32 v125, v67
	ds_store_2addr_b64 v120, v[116:117], v[124:125] offset0:40 offset1:41
	v_dual_mov_b32 v116, v14 :: v_dual_mov_b32 v117, v15
	v_dual_mov_b32 v124, v12 :: v_dual_mov_b32 v125, v13
	ds_store_2addr_b64 v120, v[116:117], v[124:125] offset0:42 offset1:43
	v_dual_mov_b32 v116, v64 :: v_dual_mov_b32 v117, v65
	v_dual_mov_b32 v124, v62 :: v_dual_mov_b32 v125, v63
	ds_store_2addr_b64 v120, v[116:117], v[124:125] offset0:44 offset1:45
	v_dual_mov_b32 v116, v10 :: v_dual_mov_b32 v117, v11
	v_dual_mov_b32 v124, v6 :: v_dual_mov_b32 v125, v7
	ds_store_2addr_b64 v120, v[116:117], v[124:125] offset0:46 offset1:47
	v_dual_mov_b32 v116, v52 :: v_dual_mov_b32 v117, v53
	v_dual_mov_b32 v124, v50 :: v_dual_mov_b32 v125, v51
	ds_store_2addr_b64 v120, v[116:117], v[124:125] offset0:48 offset1:49
	v_dual_mov_b32 v116, v8 :: v_dual_mov_b32 v117, v9
	v_dual_mov_b32 v124, v30 :: v_dual_mov_b32 v125, v31
	ds_store_2addr_b64 v120, v[116:117], v[124:125] offset0:50 offset1:51
	v_dual_mov_b32 v116, v34 :: v_dual_mov_b32 v117, v35
	v_dual_mov_b32 v124, v24 :: v_dual_mov_b32 v125, v25
	ds_store_2addr_b64 v120, v[116:117], v[124:125] offset0:52 offset1:53
	ds_store_b64 v120, v[114:115] offset:432
	v_mov_b32_e32 v124, 5
.LBB108_123:
	s_or_b32 exec_lo, exec_lo, s0
	s_delay_alu instid0(SALU_CYCLE_1)
	s_mov_b32 s0, exec_lo
	s_wait_storecnt_dscnt 0x0
	s_barrier_signal -1
	s_barrier_wait -1
	v_cmpx_lt_i32_e32 5, v124
	s_cbranch_execz .LBB108_125
; %bb.124:
	v_pk_mul_f32 v[126:127], v[118:119], v[94:95] op_sel:[1,1] op_sel_hi:[0,1]
	s_delay_alu instid0(VALU_DEP_1)
	v_pk_fma_f32 v[116:117], v[118:119], v[94:95], v[126:127] op_sel_hi:[1,0,1] neg_lo:[0,0,1] neg_hi:[0,0,1]
	v_pk_fma_f32 v[118:119], v[118:119], v[94:95], v[126:127] op_sel_hi:[1,0,1]
	ds_load_2addr_b64 v[126:129], v120 offset0:6 offset1:7
	v_dual_mov_b32 v94, v116 :: v_dual_mov_b32 v95, v119
	s_wait_dscnt 0x0
	v_pk_mul_f32 v[130:131], v[126:127], v[118:119] op_sel:[0,1]
	s_delay_alu instid0(VALU_DEP_1) | instskip(SKIP_1) | instid1(VALU_DEP_1)
	v_pk_fma_f32 v[132:133], v[126:127], v[116:117], v[130:131] op_sel:[0,0,1] op_sel_hi:[1,1,0] neg_lo:[0,0,1] neg_hi:[0,0,1]
	v_pk_fma_f32 v[126:127], v[126:127], v[116:117], v[130:131] op_sel:[0,0,1] op_sel_hi:[1,0,0]
	v_mov_b32_e32 v133, v127
	v_pk_mul_f32 v[126:127], v[128:129], v[118:119] op_sel:[0,1]
	s_delay_alu instid0(VALU_DEP_1) | instskip(SKIP_1) | instid1(VALU_DEP_1)
	v_pk_fma_f32 v[130:131], v[128:129], v[116:117], v[126:127] op_sel:[0,0,1] op_sel_hi:[1,1,0] neg_lo:[0,0,1] neg_hi:[0,0,1]
	v_pk_fma_f32 v[126:127], v[128:129], v[116:117], v[126:127] op_sel:[0,0,1] op_sel_hi:[1,0,0]
	v_mov_b32_e32 v131, v127
	ds_load_2addr_b64 v[126:129], v120 offset0:8 offset1:9
	v_pk_add_f32 v[48:49], v[48:49], v[132:133] neg_lo:[0,1] neg_hi:[0,1]
	v_pk_add_f32 v[46:47], v[46:47], v[130:131] neg_lo:[0,1] neg_hi:[0,1]
	s_wait_dscnt 0x0
	v_pk_mul_f32 v[130:131], v[126:127], v[118:119] op_sel:[0,1]
	s_delay_alu instid0(VALU_DEP_1) | instskip(SKIP_2) | instid1(VALU_DEP_2)
	v_pk_fma_f32 v[132:133], v[126:127], v[116:117], v[130:131] op_sel:[0,0,1] op_sel_hi:[1,1,0] neg_lo:[0,0,1] neg_hi:[0,0,1]
	v_pk_fma_f32 v[126:127], v[126:127], v[116:117], v[130:131] op_sel:[0,0,1] op_sel_hi:[1,0,0]
	v_dual_mul_f32 v130, v129, v119 :: v_dual_mov_b32 v126, v129
	v_dual_mov_b32 v133, v127 :: v_dual_mov_b32 v127, v128
	s_delay_alu instid0(VALU_DEP_2) | instskip(SKIP_1) | instid1(VALU_DEP_3)
	v_pk_fma_f32 v[130:131], v[128:129], v[94:95], v[130:131] op_sel_hi:[1,1,0] neg_lo:[0,0,1] neg_hi:[0,0,1]
	v_mul_f32_e32 v128, v129, v116
	v_pk_add_f32 v[104:105], v[104:105], v[132:133] neg_lo:[0,1] neg_hi:[0,1]
	s_delay_alu instid0(VALU_DEP_2) | instskip(NEXT) | instid1(VALU_DEP_1)
	v_pk_fma_f32 v[126:127], v[126:127], v[94:95], v[128:129] op_sel_hi:[1,1,0]
	v_mov_b32_e32 v131, v127
	ds_load_2addr_b64 v[126:129], v120 offset0:10 offset1:11
	v_pk_add_f32 v[102:103], v[102:103], v[130:131] neg_lo:[0,1] neg_hi:[0,1]
	s_wait_dscnt 0x0
	v_pk_mul_f32 v[130:131], v[126:127], v[118:119] op_sel:[0,1]
	s_delay_alu instid0(VALU_DEP_1) | instskip(SKIP_1) | instid1(VALU_DEP_1)
	v_pk_fma_f32 v[132:133], v[126:127], v[116:117], v[130:131] op_sel:[0,0,1] op_sel_hi:[1,1,0] neg_lo:[0,0,1] neg_hi:[0,0,1]
	v_pk_fma_f32 v[126:127], v[126:127], v[116:117], v[130:131] op_sel:[0,0,1] op_sel_hi:[1,0,0]
	v_mov_b32_e32 v133, v127
	v_pk_mul_f32 v[126:127], v[128:129], v[118:119] op_sel:[0,1]
	s_delay_alu instid0(VALU_DEP_1) | instskip(SKIP_1) | instid1(VALU_DEP_1)
	v_pk_fma_f32 v[130:131], v[128:129], v[116:117], v[126:127] op_sel:[0,0,1] op_sel_hi:[1,1,0] neg_lo:[0,0,1] neg_hi:[0,0,1]
	v_pk_fma_f32 v[126:127], v[128:129], v[116:117], v[126:127] op_sel:[0,0,1] op_sel_hi:[1,0,0]
	v_mov_b32_e32 v131, v127
	ds_load_2addr_b64 v[126:129], v120 offset0:12 offset1:13
	v_pk_add_f32 v[60:61], v[60:61], v[132:133] neg_lo:[0,1] neg_hi:[0,1]
	v_pk_add_f32 v[58:59], v[58:59], v[130:131] neg_lo:[0,1] neg_hi:[0,1]
	s_wait_dscnt 0x0
	v_pk_mul_f32 v[130:131], v[126:127], v[118:119] op_sel:[0,1]
	s_delay_alu instid0(VALU_DEP_1) | instskip(SKIP_1) | instid1(VALU_DEP_1)
	v_pk_fma_f32 v[132:133], v[126:127], v[116:117], v[130:131] op_sel:[0,0,1] op_sel_hi:[1,1,0] neg_lo:[0,0,1] neg_hi:[0,0,1]
	v_pk_fma_f32 v[126:127], v[126:127], v[116:117], v[130:131] op_sel:[0,0,1] op_sel_hi:[1,0,0]
	v_mov_b32_e32 v133, v127
	v_pk_mul_f32 v[126:127], v[128:129], v[118:119] op_sel:[0,1]
	s_delay_alu instid0(VALU_DEP_1) | instskip(SKIP_1) | instid1(VALU_DEP_1)
	v_pk_fma_f32 v[130:131], v[128:129], v[116:117], v[126:127] op_sel:[0,0,1] op_sel_hi:[1,1,0] neg_lo:[0,0,1] neg_hi:[0,0,1]
	v_pk_fma_f32 v[126:127], v[128:129], v[116:117], v[126:127] op_sel:[0,0,1] op_sel_hi:[1,0,0]
	v_mov_b32_e32 v131, v127
	ds_load_2addr_b64 v[126:129], v120 offset0:14 offset1:15
	v_pk_add_f32 v[100:101], v[100:101], v[132:133] neg_lo:[0,1] neg_hi:[0,1]
	v_pk_add_f32 v[98:99], v[98:99], v[130:131] neg_lo:[0,1] neg_hi:[0,1]
	s_wait_dscnt 0x0
	v_dual_mul_f32 v130, v127, v119 :: v_dual_mul_f32 v132, v127, v116
	s_delay_alu instid0(VALU_DEP_1) | instskip(NEXT) | instid1(VALU_DEP_2)
	v_pk_fma_f32 v[130:131], v[126:127], v[94:95], v[130:131] op_sel_hi:[1,1,0] neg_lo:[0,0,1] neg_hi:[0,0,1]
	v_pk_fma_f32 v[126:127], v[126:127], v[94:95], v[132:133] op_sel:[1,0,0] op_sel_hi:[0,1,0]
	s_delay_alu instid0(VALU_DEP_1) | instskip(SKIP_1) | instid1(VALU_DEP_2)
	v_mov_b32_e32 v131, v127
	v_pk_mul_f32 v[126:127], v[128:129], v[118:119] op_sel:[0,1]
	v_pk_add_f32 v[56:57], v[56:57], v[130:131] neg_lo:[0,1] neg_hi:[0,1]
	s_delay_alu instid0(VALU_DEP_2) | instskip(SKIP_1) | instid1(VALU_DEP_1)
	v_pk_fma_f32 v[130:131], v[128:129], v[116:117], v[126:127] op_sel:[0,0,1] op_sel_hi:[1,1,0] neg_lo:[0,0,1] neg_hi:[0,0,1]
	v_pk_fma_f32 v[126:127], v[128:129], v[116:117], v[126:127] op_sel:[0,0,1] op_sel_hi:[1,0,0]
	v_mov_b32_e32 v131, v127
	ds_load_2addr_b64 v[126:129], v120 offset0:16 offset1:17
	v_pk_add_f32 v[54:55], v[54:55], v[130:131] neg_lo:[0,1] neg_hi:[0,1]
	s_wait_dscnt 0x0
	v_pk_mul_f32 v[130:131], v[126:127], v[118:119] op_sel:[0,1]
	s_delay_alu instid0(VALU_DEP_1) | instskip(SKIP_1) | instid1(VALU_DEP_1)
	v_pk_fma_f32 v[132:133], v[126:127], v[116:117], v[130:131] op_sel:[0,0,1] op_sel_hi:[1,1,0] neg_lo:[0,0,1] neg_hi:[0,0,1]
	v_pk_fma_f32 v[126:127], v[126:127], v[116:117], v[130:131] op_sel:[0,0,1] op_sel_hi:[1,0,0]
	v_mov_b32_e32 v133, v127
	v_pk_mul_f32 v[126:127], v[128:129], v[118:119] op_sel:[0,1]
	s_delay_alu instid0(VALU_DEP_2) | instskip(NEXT) | instid1(VALU_DEP_2)
	v_pk_add_f32 v[92:93], v[92:93], v[132:133] neg_lo:[0,1] neg_hi:[0,1]
	v_pk_fma_f32 v[130:131], v[128:129], v[116:117], v[126:127] op_sel:[0,0,1] op_sel_hi:[1,1,0] neg_lo:[0,0,1] neg_hi:[0,0,1]
	v_pk_fma_f32 v[126:127], v[128:129], v[116:117], v[126:127] op_sel:[0,0,1] op_sel_hi:[1,0,0]
	s_delay_alu instid0(VALU_DEP_1) | instskip(SKIP_4) | instid1(VALU_DEP_1)
	v_mov_b32_e32 v131, v127
	ds_load_2addr_b64 v[126:129], v120 offset0:18 offset1:19
	v_pk_add_f32 v[90:91], v[90:91], v[130:131] neg_lo:[0,1] neg_hi:[0,1]
	s_wait_dscnt 0x0
	v_pk_mul_f32 v[130:131], v[126:127], v[118:119] op_sel:[0,1]
	v_pk_fma_f32 v[132:133], v[126:127], v[116:117], v[130:131] op_sel:[0,0,1] op_sel_hi:[1,1,0] neg_lo:[0,0,1] neg_hi:[0,0,1]
	v_pk_fma_f32 v[126:127], v[126:127], v[116:117], v[130:131] op_sel:[0,0,1] op_sel_hi:[1,0,0]
	v_dual_mul_f32 v130, v129, v119 :: v_dual_mov_b32 v126, v129
	s_delay_alu instid0(VALU_DEP_2) | instskip(NEXT) | instid1(VALU_DEP_2)
	v_dual_mov_b32 v133, v127 :: v_dual_mov_b32 v127, v128
	v_pk_fma_f32 v[130:131], v[128:129], v[94:95], v[130:131] op_sel_hi:[1,1,0] neg_lo:[0,0,1] neg_hi:[0,0,1]
	v_mul_f32_e32 v128, v129, v116
	s_delay_alu instid0(VALU_DEP_3) | instskip(NEXT) | instid1(VALU_DEP_2)
	v_pk_add_f32 v[44:45], v[44:45], v[132:133] neg_lo:[0,1] neg_hi:[0,1]
	v_pk_fma_f32 v[126:127], v[126:127], v[94:95], v[128:129] op_sel_hi:[1,1,0]
	s_delay_alu instid0(VALU_DEP_1) | instskip(SKIP_4) | instid1(VALU_DEP_1)
	v_mov_b32_e32 v131, v127
	ds_load_2addr_b64 v[126:129], v120 offset0:20 offset1:21
	v_pk_add_f32 v[42:43], v[42:43], v[130:131] neg_lo:[0,1] neg_hi:[0,1]
	s_wait_dscnt 0x0
	v_pk_mul_f32 v[130:131], v[126:127], v[118:119] op_sel:[0,1]
	v_pk_fma_f32 v[132:133], v[126:127], v[116:117], v[130:131] op_sel:[0,0,1] op_sel_hi:[1,1,0] neg_lo:[0,0,1] neg_hi:[0,0,1]
	v_pk_fma_f32 v[126:127], v[126:127], v[116:117], v[130:131] op_sel:[0,0,1] op_sel_hi:[1,0,0]
	s_delay_alu instid0(VALU_DEP_1) | instskip(SKIP_1) | instid1(VALU_DEP_1)
	v_mov_b32_e32 v133, v127
	v_pk_mul_f32 v[126:127], v[128:129], v[118:119] op_sel:[0,1]
	v_pk_fma_f32 v[130:131], v[128:129], v[116:117], v[126:127] op_sel:[0,0,1] op_sel_hi:[1,1,0] neg_lo:[0,0,1] neg_hi:[0,0,1]
	v_pk_fma_f32 v[126:127], v[128:129], v[116:117], v[126:127] op_sel:[0,0,1] op_sel_hi:[1,0,0]
	s_delay_alu instid0(VALU_DEP_1)
	v_mov_b32_e32 v131, v127
	ds_load_2addr_b64 v[126:129], v120 offset0:22 offset1:23
	v_pk_add_f32 v[88:89], v[88:89], v[132:133] neg_lo:[0,1] neg_hi:[0,1]
	v_pk_add_f32 v[86:87], v[86:87], v[130:131] neg_lo:[0,1] neg_hi:[0,1]
	s_wait_dscnt 0x0
	v_pk_mul_f32 v[130:131], v[126:127], v[118:119] op_sel:[0,1]
	s_delay_alu instid0(VALU_DEP_1) | instskip(SKIP_1) | instid1(VALU_DEP_1)
	v_pk_fma_f32 v[132:133], v[126:127], v[116:117], v[130:131] op_sel:[0,0,1] op_sel_hi:[1,1,0] neg_lo:[0,0,1] neg_hi:[0,0,1]
	v_pk_fma_f32 v[126:127], v[126:127], v[116:117], v[130:131] op_sel:[0,0,1] op_sel_hi:[1,0,0]
	v_mov_b32_e32 v133, v127
	v_pk_mul_f32 v[126:127], v[128:129], v[118:119] op_sel:[0,1]
	s_delay_alu instid0(VALU_DEP_1) | instskip(SKIP_1) | instid1(VALU_DEP_1)
	v_pk_fma_f32 v[130:131], v[128:129], v[116:117], v[126:127] op_sel:[0,0,1] op_sel_hi:[1,1,0] neg_lo:[0,0,1] neg_hi:[0,0,1]
	v_pk_fma_f32 v[126:127], v[128:129], v[116:117], v[126:127] op_sel:[0,0,1] op_sel_hi:[1,0,0]
	v_mov_b32_e32 v131, v127
	ds_load_2addr_b64 v[126:129], v120 offset0:24 offset1:25
	v_pk_add_f32 v[40:41], v[40:41], v[132:133] neg_lo:[0,1] neg_hi:[0,1]
	v_pk_add_f32 v[38:39], v[38:39], v[130:131] neg_lo:[0,1] neg_hi:[0,1]
	s_wait_dscnt 0x0
	v_dual_mul_f32 v130, v127, v119 :: v_dual_mul_f32 v132, v127, v116
	s_delay_alu instid0(VALU_DEP_1) | instskip(NEXT) | instid1(VALU_DEP_2)
	v_pk_fma_f32 v[130:131], v[126:127], v[94:95], v[130:131] op_sel_hi:[1,1,0] neg_lo:[0,0,1] neg_hi:[0,0,1]
	v_pk_fma_f32 v[126:127], v[126:127], v[94:95], v[132:133] op_sel:[1,0,0] op_sel_hi:[0,1,0]
	s_delay_alu instid0(VALU_DEP_1) | instskip(SKIP_1) | instid1(VALU_DEP_2)
	v_mov_b32_e32 v131, v127
	v_pk_mul_f32 v[126:127], v[128:129], v[118:119] op_sel:[0,1]
	v_pk_add_f32 v[84:85], v[84:85], v[130:131] neg_lo:[0,1] neg_hi:[0,1]
	s_delay_alu instid0(VALU_DEP_2) | instskip(SKIP_1) | instid1(VALU_DEP_1)
	v_pk_fma_f32 v[130:131], v[128:129], v[116:117], v[126:127] op_sel:[0,0,1] op_sel_hi:[1,1,0] neg_lo:[0,0,1] neg_hi:[0,0,1]
	v_pk_fma_f32 v[126:127], v[128:129], v[116:117], v[126:127] op_sel:[0,0,1] op_sel_hi:[1,0,0]
	v_mov_b32_e32 v131, v127
	ds_load_2addr_b64 v[126:129], v120 offset0:26 offset1:27
	v_pk_add_f32 v[82:83], v[82:83], v[130:131] neg_lo:[0,1] neg_hi:[0,1]
	s_wait_dscnt 0x0
	v_pk_mul_f32 v[130:131], v[126:127], v[118:119] op_sel:[0,1]
	s_delay_alu instid0(VALU_DEP_1) | instskip(SKIP_1) | instid1(VALU_DEP_1)
	v_pk_fma_f32 v[132:133], v[126:127], v[116:117], v[130:131] op_sel:[0,0,1] op_sel_hi:[1,1,0] neg_lo:[0,0,1] neg_hi:[0,0,1]
	v_pk_fma_f32 v[126:127], v[126:127], v[116:117], v[130:131] op_sel:[0,0,1] op_sel_hi:[1,0,0]
	v_mov_b32_e32 v133, v127
	v_pk_mul_f32 v[126:127], v[128:129], v[118:119] op_sel:[0,1]
	s_delay_alu instid0(VALU_DEP_2) | instskip(NEXT) | instid1(VALU_DEP_2)
	v_pk_add_f32 v[36:37], v[36:37], v[132:133] neg_lo:[0,1] neg_hi:[0,1]
	v_pk_fma_f32 v[130:131], v[128:129], v[116:117], v[126:127] op_sel:[0,0,1] op_sel_hi:[1,1,0] neg_lo:[0,0,1] neg_hi:[0,0,1]
	v_pk_fma_f32 v[126:127], v[128:129], v[116:117], v[126:127] op_sel:[0,0,1] op_sel_hi:[1,0,0]
	s_delay_alu instid0(VALU_DEP_1) | instskip(SKIP_4) | instid1(VALU_DEP_1)
	v_mov_b32_e32 v131, v127
	ds_load_2addr_b64 v[126:129], v120 offset0:28 offset1:29
	v_pk_add_f32 v[32:33], v[32:33], v[130:131] neg_lo:[0,1] neg_hi:[0,1]
	s_wait_dscnt 0x0
	v_pk_mul_f32 v[130:131], v[126:127], v[118:119] op_sel:[0,1]
	v_pk_fma_f32 v[132:133], v[126:127], v[116:117], v[130:131] op_sel:[0,0,1] op_sel_hi:[1,1,0] neg_lo:[0,0,1] neg_hi:[0,0,1]
	v_pk_fma_f32 v[126:127], v[126:127], v[116:117], v[130:131] op_sel:[0,0,1] op_sel_hi:[1,0,0]
	v_dual_mul_f32 v130, v129, v119 :: v_dual_mov_b32 v126, v129
	s_delay_alu instid0(VALU_DEP_2) | instskip(NEXT) | instid1(VALU_DEP_2)
	v_dual_mov_b32 v133, v127 :: v_dual_mov_b32 v127, v128
	v_pk_fma_f32 v[130:131], v[128:129], v[94:95], v[130:131] op_sel_hi:[1,1,0] neg_lo:[0,0,1] neg_hi:[0,0,1]
	v_mul_f32_e32 v128, v129, v116
	s_delay_alu instid0(VALU_DEP_3) | instskip(NEXT) | instid1(VALU_DEP_2)
	v_pk_add_f32 v[80:81], v[80:81], v[132:133] neg_lo:[0,1] neg_hi:[0,1]
	v_pk_fma_f32 v[126:127], v[126:127], v[94:95], v[128:129] op_sel_hi:[1,1,0]
	s_delay_alu instid0(VALU_DEP_1) | instskip(SKIP_4) | instid1(VALU_DEP_1)
	v_mov_b32_e32 v131, v127
	ds_load_2addr_b64 v[126:129], v120 offset0:30 offset1:31
	v_pk_add_f32 v[78:79], v[78:79], v[130:131] neg_lo:[0,1] neg_hi:[0,1]
	s_wait_dscnt 0x0
	v_pk_mul_f32 v[130:131], v[126:127], v[118:119] op_sel:[0,1]
	v_pk_fma_f32 v[132:133], v[126:127], v[116:117], v[130:131] op_sel:[0,0,1] op_sel_hi:[1,1,0] neg_lo:[0,0,1] neg_hi:[0,0,1]
	v_pk_fma_f32 v[126:127], v[126:127], v[116:117], v[130:131] op_sel:[0,0,1] op_sel_hi:[1,0,0]
	s_delay_alu instid0(VALU_DEP_1) | instskip(SKIP_1) | instid1(VALU_DEP_1)
	v_mov_b32_e32 v133, v127
	v_pk_mul_f32 v[126:127], v[128:129], v[118:119] op_sel:[0,1]
	v_pk_fma_f32 v[130:131], v[128:129], v[116:117], v[126:127] op_sel:[0,0,1] op_sel_hi:[1,1,0] neg_lo:[0,0,1] neg_hi:[0,0,1]
	v_pk_fma_f32 v[126:127], v[128:129], v[116:117], v[126:127] op_sel:[0,0,1] op_sel_hi:[1,0,0]
	s_delay_alu instid0(VALU_DEP_1)
	v_mov_b32_e32 v131, v127
	ds_load_2addr_b64 v[126:129], v120 offset0:32 offset1:33
	v_pk_add_f32 v[28:29], v[28:29], v[132:133] neg_lo:[0,1] neg_hi:[0,1]
	v_pk_add_f32 v[26:27], v[26:27], v[130:131] neg_lo:[0,1] neg_hi:[0,1]
	s_wait_dscnt 0x0
	v_pk_mul_f32 v[130:131], v[126:127], v[118:119] op_sel:[0,1]
	s_delay_alu instid0(VALU_DEP_1) | instskip(SKIP_1) | instid1(VALU_DEP_1)
	v_pk_fma_f32 v[132:133], v[126:127], v[116:117], v[130:131] op_sel:[0,0,1] op_sel_hi:[1,1,0] neg_lo:[0,0,1] neg_hi:[0,0,1]
	v_pk_fma_f32 v[126:127], v[126:127], v[116:117], v[130:131] op_sel:[0,0,1] op_sel_hi:[1,0,0]
	v_mov_b32_e32 v133, v127
	v_pk_mul_f32 v[126:127], v[128:129], v[118:119] op_sel:[0,1]
	s_delay_alu instid0(VALU_DEP_1) | instskip(SKIP_1) | instid1(VALU_DEP_1)
	v_pk_fma_f32 v[130:131], v[128:129], v[116:117], v[126:127] op_sel:[0,0,1] op_sel_hi:[1,1,0] neg_lo:[0,0,1] neg_hi:[0,0,1]
	v_pk_fma_f32 v[126:127], v[128:129], v[116:117], v[126:127] op_sel:[0,0,1] op_sel_hi:[1,0,0]
	v_mov_b32_e32 v131, v127
	ds_load_2addr_b64 v[126:129], v120 offset0:34 offset1:35
	v_pk_add_f32 v[76:77], v[76:77], v[132:133] neg_lo:[0,1] neg_hi:[0,1]
	v_pk_add_f32 v[74:75], v[74:75], v[130:131] neg_lo:[0,1] neg_hi:[0,1]
	s_wait_dscnt 0x0
	v_dual_mul_f32 v130, v127, v119 :: v_dual_mul_f32 v132, v127, v116
	s_delay_alu instid0(VALU_DEP_1) | instskip(NEXT) | instid1(VALU_DEP_2)
	v_pk_fma_f32 v[130:131], v[126:127], v[94:95], v[130:131] op_sel_hi:[1,1,0] neg_lo:[0,0,1] neg_hi:[0,0,1]
	v_pk_fma_f32 v[126:127], v[126:127], v[94:95], v[132:133] op_sel:[1,0,0] op_sel_hi:[0,1,0]
	s_delay_alu instid0(VALU_DEP_1) | instskip(SKIP_1) | instid1(VALU_DEP_2)
	v_mov_b32_e32 v131, v127
	v_pk_mul_f32 v[126:127], v[128:129], v[118:119] op_sel:[0,1]
	v_pk_add_f32 v[22:23], v[22:23], v[130:131] neg_lo:[0,1] neg_hi:[0,1]
	s_delay_alu instid0(VALU_DEP_2) | instskip(SKIP_1) | instid1(VALU_DEP_1)
	v_pk_fma_f32 v[130:131], v[128:129], v[116:117], v[126:127] op_sel:[0,0,1] op_sel_hi:[1,1,0] neg_lo:[0,0,1] neg_hi:[0,0,1]
	v_pk_fma_f32 v[126:127], v[128:129], v[116:117], v[126:127] op_sel:[0,0,1] op_sel_hi:[1,0,0]
	v_mov_b32_e32 v131, v127
	ds_load_2addr_b64 v[126:129], v120 offset0:36 offset1:37
	v_pk_add_f32 v[20:21], v[20:21], v[130:131] neg_lo:[0,1] neg_hi:[0,1]
	s_wait_dscnt 0x0
	v_pk_mul_f32 v[130:131], v[126:127], v[118:119] op_sel:[0,1]
	s_delay_alu instid0(VALU_DEP_1) | instskip(SKIP_1) | instid1(VALU_DEP_1)
	v_pk_fma_f32 v[132:133], v[126:127], v[116:117], v[130:131] op_sel:[0,0,1] op_sel_hi:[1,1,0] neg_lo:[0,0,1] neg_hi:[0,0,1]
	v_pk_fma_f32 v[126:127], v[126:127], v[116:117], v[130:131] op_sel:[0,0,1] op_sel_hi:[1,0,0]
	v_mov_b32_e32 v133, v127
	v_pk_mul_f32 v[126:127], v[128:129], v[118:119] op_sel:[0,1]
	s_delay_alu instid0(VALU_DEP_2) | instskip(NEXT) | instid1(VALU_DEP_2)
	v_pk_add_f32 v[72:73], v[72:73], v[132:133] neg_lo:[0,1] neg_hi:[0,1]
	v_pk_fma_f32 v[130:131], v[128:129], v[116:117], v[126:127] op_sel:[0,0,1] op_sel_hi:[1,1,0] neg_lo:[0,0,1] neg_hi:[0,0,1]
	v_pk_fma_f32 v[126:127], v[128:129], v[116:117], v[126:127] op_sel:[0,0,1] op_sel_hi:[1,0,0]
	s_delay_alu instid0(VALU_DEP_1) | instskip(SKIP_4) | instid1(VALU_DEP_1)
	v_mov_b32_e32 v131, v127
	ds_load_2addr_b64 v[126:129], v120 offset0:38 offset1:39
	v_pk_add_f32 v[70:71], v[70:71], v[130:131] neg_lo:[0,1] neg_hi:[0,1]
	s_wait_dscnt 0x0
	v_pk_mul_f32 v[130:131], v[126:127], v[118:119] op_sel:[0,1]
	v_pk_fma_f32 v[132:133], v[126:127], v[116:117], v[130:131] op_sel:[0,0,1] op_sel_hi:[1,1,0] neg_lo:[0,0,1] neg_hi:[0,0,1]
	v_pk_fma_f32 v[126:127], v[126:127], v[116:117], v[130:131] op_sel:[0,0,1] op_sel_hi:[1,0,0]
	v_dual_mul_f32 v130, v129, v119 :: v_dual_mov_b32 v126, v129
	s_delay_alu instid0(VALU_DEP_2) | instskip(NEXT) | instid1(VALU_DEP_2)
	v_dual_mov_b32 v133, v127 :: v_dual_mov_b32 v127, v128
	v_pk_fma_f32 v[130:131], v[128:129], v[94:95], v[130:131] op_sel_hi:[1,1,0] neg_lo:[0,0,1] neg_hi:[0,0,1]
	v_mul_f32_e32 v128, v129, v116
	s_delay_alu instid0(VALU_DEP_3) | instskip(NEXT) | instid1(VALU_DEP_2)
	v_pk_add_f32 v[18:19], v[18:19], v[132:133] neg_lo:[0,1] neg_hi:[0,1]
	v_pk_fma_f32 v[126:127], v[126:127], v[94:95], v[128:129] op_sel_hi:[1,1,0]
	s_delay_alu instid0(VALU_DEP_1) | instskip(SKIP_4) | instid1(VALU_DEP_1)
	v_mov_b32_e32 v131, v127
	ds_load_2addr_b64 v[126:129], v120 offset0:40 offset1:41
	v_pk_add_f32 v[16:17], v[16:17], v[130:131] neg_lo:[0,1] neg_hi:[0,1]
	s_wait_dscnt 0x0
	v_pk_mul_f32 v[130:131], v[126:127], v[118:119] op_sel:[0,1]
	v_pk_fma_f32 v[132:133], v[126:127], v[116:117], v[130:131] op_sel:[0,0,1] op_sel_hi:[1,1,0] neg_lo:[0,0,1] neg_hi:[0,0,1]
	v_pk_fma_f32 v[126:127], v[126:127], v[116:117], v[130:131] op_sel:[0,0,1] op_sel_hi:[1,0,0]
	s_delay_alu instid0(VALU_DEP_1) | instskip(SKIP_1) | instid1(VALU_DEP_1)
	v_mov_b32_e32 v133, v127
	v_pk_mul_f32 v[126:127], v[128:129], v[118:119] op_sel:[0,1]
	v_pk_fma_f32 v[130:131], v[128:129], v[116:117], v[126:127] op_sel:[0,0,1] op_sel_hi:[1,1,0] neg_lo:[0,0,1] neg_hi:[0,0,1]
	v_pk_fma_f32 v[126:127], v[128:129], v[116:117], v[126:127] op_sel:[0,0,1] op_sel_hi:[1,0,0]
	s_delay_alu instid0(VALU_DEP_1)
	v_mov_b32_e32 v131, v127
	ds_load_2addr_b64 v[126:129], v120 offset0:42 offset1:43
	v_pk_add_f32 v[68:69], v[68:69], v[132:133] neg_lo:[0,1] neg_hi:[0,1]
	v_pk_add_f32 v[66:67], v[66:67], v[130:131] neg_lo:[0,1] neg_hi:[0,1]
	s_wait_dscnt 0x0
	v_pk_mul_f32 v[130:131], v[126:127], v[118:119] op_sel:[0,1]
	s_delay_alu instid0(VALU_DEP_1) | instskip(SKIP_1) | instid1(VALU_DEP_1)
	v_pk_fma_f32 v[132:133], v[126:127], v[116:117], v[130:131] op_sel:[0,0,1] op_sel_hi:[1,1,0] neg_lo:[0,0,1] neg_hi:[0,0,1]
	v_pk_fma_f32 v[126:127], v[126:127], v[116:117], v[130:131] op_sel:[0,0,1] op_sel_hi:[1,0,0]
	v_mov_b32_e32 v133, v127
	v_pk_mul_f32 v[126:127], v[128:129], v[118:119] op_sel:[0,1]
	s_delay_alu instid0(VALU_DEP_1) | instskip(SKIP_1) | instid1(VALU_DEP_1)
	v_pk_fma_f32 v[130:131], v[128:129], v[116:117], v[126:127] op_sel:[0,0,1] op_sel_hi:[1,1,0] neg_lo:[0,0,1] neg_hi:[0,0,1]
	v_pk_fma_f32 v[126:127], v[128:129], v[116:117], v[126:127] op_sel:[0,0,1] op_sel_hi:[1,0,0]
	v_mov_b32_e32 v131, v127
	ds_load_2addr_b64 v[126:129], v120 offset0:44 offset1:45
	v_pk_add_f32 v[14:15], v[14:15], v[132:133] neg_lo:[0,1] neg_hi:[0,1]
	v_pk_add_f32 v[12:13], v[12:13], v[130:131] neg_lo:[0,1] neg_hi:[0,1]
	s_wait_dscnt 0x0
	v_dual_mul_f32 v130, v127, v119 :: v_dual_mul_f32 v132, v127, v116
	s_delay_alu instid0(VALU_DEP_1) | instskip(NEXT) | instid1(VALU_DEP_2)
	v_pk_fma_f32 v[130:131], v[126:127], v[94:95], v[130:131] op_sel_hi:[1,1,0] neg_lo:[0,0,1] neg_hi:[0,0,1]
	v_pk_fma_f32 v[126:127], v[126:127], v[94:95], v[132:133] op_sel:[1,0,0] op_sel_hi:[0,1,0]
	s_delay_alu instid0(VALU_DEP_1) | instskip(SKIP_1) | instid1(VALU_DEP_2)
	v_mov_b32_e32 v131, v127
	v_pk_mul_f32 v[126:127], v[128:129], v[118:119] op_sel:[0,1]
	v_pk_add_f32 v[64:65], v[64:65], v[130:131] neg_lo:[0,1] neg_hi:[0,1]
	s_delay_alu instid0(VALU_DEP_2) | instskip(SKIP_1) | instid1(VALU_DEP_1)
	v_pk_fma_f32 v[130:131], v[128:129], v[116:117], v[126:127] op_sel:[0,0,1] op_sel_hi:[1,1,0] neg_lo:[0,0,1] neg_hi:[0,0,1]
	v_pk_fma_f32 v[126:127], v[128:129], v[116:117], v[126:127] op_sel:[0,0,1] op_sel_hi:[1,0,0]
	v_mov_b32_e32 v131, v127
	ds_load_2addr_b64 v[126:129], v120 offset0:46 offset1:47
	v_pk_add_f32 v[62:63], v[62:63], v[130:131] neg_lo:[0,1] neg_hi:[0,1]
	s_wait_dscnt 0x0
	v_pk_mul_f32 v[130:131], v[126:127], v[118:119] op_sel:[0,1]
	s_delay_alu instid0(VALU_DEP_1) | instskip(SKIP_1) | instid1(VALU_DEP_1)
	v_pk_fma_f32 v[132:133], v[126:127], v[116:117], v[130:131] op_sel:[0,0,1] op_sel_hi:[1,1,0] neg_lo:[0,0,1] neg_hi:[0,0,1]
	v_pk_fma_f32 v[126:127], v[126:127], v[116:117], v[130:131] op_sel:[0,0,1] op_sel_hi:[1,0,0]
	v_mov_b32_e32 v133, v127
	v_pk_mul_f32 v[126:127], v[128:129], v[118:119] op_sel:[0,1]
	s_delay_alu instid0(VALU_DEP_2) | instskip(NEXT) | instid1(VALU_DEP_2)
	v_pk_add_f32 v[10:11], v[10:11], v[132:133] neg_lo:[0,1] neg_hi:[0,1]
	v_pk_fma_f32 v[130:131], v[128:129], v[116:117], v[126:127] op_sel:[0,0,1] op_sel_hi:[1,1,0] neg_lo:[0,0,1] neg_hi:[0,0,1]
	v_pk_fma_f32 v[126:127], v[128:129], v[116:117], v[126:127] op_sel:[0,0,1] op_sel_hi:[1,0,0]
	s_delay_alu instid0(VALU_DEP_1) | instskip(SKIP_4) | instid1(VALU_DEP_1)
	v_mov_b32_e32 v131, v127
	ds_load_2addr_b64 v[126:129], v120 offset0:48 offset1:49
	v_pk_add_f32 v[6:7], v[6:7], v[130:131] neg_lo:[0,1] neg_hi:[0,1]
	s_wait_dscnt 0x0
	v_pk_mul_f32 v[130:131], v[126:127], v[118:119] op_sel:[0,1]
	v_pk_fma_f32 v[132:133], v[126:127], v[116:117], v[130:131] op_sel:[0,0,1] op_sel_hi:[1,1,0] neg_lo:[0,0,1] neg_hi:[0,0,1]
	v_pk_fma_f32 v[126:127], v[126:127], v[116:117], v[130:131] op_sel:[0,0,1] op_sel_hi:[1,0,0]
	v_dual_mul_f32 v130, v129, v119 :: v_dual_mov_b32 v126, v129
	s_delay_alu instid0(VALU_DEP_2) | instskip(NEXT) | instid1(VALU_DEP_2)
	v_dual_mov_b32 v133, v127 :: v_dual_mov_b32 v127, v128
	v_pk_fma_f32 v[130:131], v[128:129], v[94:95], v[130:131] op_sel_hi:[1,1,0] neg_lo:[0,0,1] neg_hi:[0,0,1]
	v_mul_f32_e32 v128, v129, v116
	s_delay_alu instid0(VALU_DEP_3) | instskip(NEXT) | instid1(VALU_DEP_2)
	v_pk_add_f32 v[52:53], v[52:53], v[132:133] neg_lo:[0,1] neg_hi:[0,1]
	v_pk_fma_f32 v[126:127], v[126:127], v[94:95], v[128:129] op_sel_hi:[1,1,0]
	s_delay_alu instid0(VALU_DEP_1) | instskip(SKIP_4) | instid1(VALU_DEP_1)
	v_mov_b32_e32 v131, v127
	ds_load_2addr_b64 v[126:129], v120 offset0:50 offset1:51
	v_pk_add_f32 v[50:51], v[50:51], v[130:131] neg_lo:[0,1] neg_hi:[0,1]
	s_wait_dscnt 0x0
	v_pk_mul_f32 v[130:131], v[126:127], v[118:119] op_sel:[0,1]
	v_pk_fma_f32 v[132:133], v[126:127], v[116:117], v[130:131] op_sel:[0,0,1] op_sel_hi:[1,1,0] neg_lo:[0,0,1] neg_hi:[0,0,1]
	v_pk_fma_f32 v[126:127], v[126:127], v[116:117], v[130:131] op_sel:[0,0,1] op_sel_hi:[1,0,0]
	s_delay_alu instid0(VALU_DEP_1) | instskip(SKIP_1) | instid1(VALU_DEP_1)
	v_mov_b32_e32 v133, v127
	v_pk_mul_f32 v[126:127], v[128:129], v[118:119] op_sel:[0,1]
	v_pk_fma_f32 v[130:131], v[128:129], v[116:117], v[126:127] op_sel:[0,0,1] op_sel_hi:[1,1,0] neg_lo:[0,0,1] neg_hi:[0,0,1]
	v_pk_fma_f32 v[126:127], v[128:129], v[116:117], v[126:127] op_sel:[0,0,1] op_sel_hi:[1,0,0]
	s_delay_alu instid0(VALU_DEP_1)
	v_mov_b32_e32 v131, v127
	ds_load_2addr_b64 v[126:129], v120 offset0:52 offset1:53
	v_pk_add_f32 v[8:9], v[8:9], v[132:133] neg_lo:[0,1] neg_hi:[0,1]
	v_pk_add_f32 v[30:31], v[30:31], v[130:131] neg_lo:[0,1] neg_hi:[0,1]
	s_wait_dscnt 0x0
	v_pk_mul_f32 v[130:131], v[126:127], v[118:119] op_sel:[0,1]
	s_delay_alu instid0(VALU_DEP_1) | instskip(SKIP_1) | instid1(VALU_DEP_1)
	v_pk_fma_f32 v[132:133], v[126:127], v[116:117], v[130:131] op_sel:[0,0,1] op_sel_hi:[1,1,0] neg_lo:[0,0,1] neg_hi:[0,0,1]
	v_pk_fma_f32 v[126:127], v[126:127], v[116:117], v[130:131] op_sel:[0,0,1] op_sel_hi:[1,0,0]
	v_mov_b32_e32 v133, v127
	v_pk_mul_f32 v[126:127], v[128:129], v[118:119] op_sel:[0,1]
	s_delay_alu instid0(VALU_DEP_1) | instskip(SKIP_1) | instid1(VALU_DEP_1)
	v_pk_fma_f32 v[130:131], v[128:129], v[116:117], v[126:127] op_sel:[0,0,1] op_sel_hi:[1,1,0] neg_lo:[0,0,1] neg_hi:[0,0,1]
	v_pk_fma_f32 v[126:127], v[128:129], v[116:117], v[126:127] op_sel:[0,0,1] op_sel_hi:[1,0,0]
	v_mov_b32_e32 v131, v127
	ds_load_b64 v[126:127], v120 offset:432
	v_pk_add_f32 v[34:35], v[34:35], v[132:133] neg_lo:[0,1] neg_hi:[0,1]
	v_pk_add_f32 v[24:25], v[24:25], v[130:131] neg_lo:[0,1] neg_hi:[0,1]
	s_wait_dscnt 0x0
	v_pk_mul_f32 v[118:119], v[126:127], v[118:119] op_sel:[0,1]
	s_delay_alu instid0(VALU_DEP_1) | instskip(SKIP_1) | instid1(VALU_DEP_1)
	v_pk_fma_f32 v[128:129], v[126:127], v[116:117], v[118:119] op_sel:[0,0,1] op_sel_hi:[1,1,0] neg_lo:[0,0,1] neg_hi:[0,0,1]
	v_pk_fma_f32 v[116:117], v[126:127], v[116:117], v[118:119] op_sel:[0,0,1] op_sel_hi:[1,0,0]
	v_mov_b32_e32 v129, v117
	s_delay_alu instid0(VALU_DEP_1)
	v_pk_add_f32 v[114:115], v[114:115], v[128:129] neg_lo:[0,1] neg_hi:[0,1]
.LBB108_125:
	s_or_b32 exec_lo, exec_lo, s0
	v_lshl_add_u32 v116, v124, 3, v120
	s_barrier_signal -1
	s_barrier_wait -1
	ds_store_b64 v116, v[48:49]
	s_wait_dscnt 0x0
	s_barrier_signal -1
	s_barrier_wait -1
	ds_load_b64 v[118:119], v120 offset:48
	v_mov_b32_e32 v116, 6
	s_cmp_lt_i32 s18, 8
	s_cbranch_scc1 .LBB108_128
; %bb.126:
	v_add3_u32 v117, v121, 0, 56
	v_mov_b32_e32 v116, 6
	s_mov_b32 s0, 7
.LBB108_127:                            ; =>This Inner Loop Header: Depth=1
	ds_load_b64 v[126:127], v117
	s_wait_dscnt 0x1
	v_cmp_gt_f32_e32 vcc_lo, 0, v118
	v_cndmask_b32_e64 v128, v118, -v118, vcc_lo
	v_cmp_gt_f32_e32 vcc_lo, 0, v119
	v_cndmask_b32_e64 v130, v119, -v119, vcc_lo
	s_wait_dscnt 0x0
	v_cmp_gt_f32_e32 vcc_lo, 0, v126
	v_cndmask_b32_e64 v129, v126, -v126, vcc_lo
	v_cmp_gt_f32_e32 vcc_lo, 0, v127
	v_cndmask_b32_e64 v131, v127, -v127, vcc_lo
	s_delay_alu instid0(VALU_DEP_1) | instskip(NEXT) | instid1(VALU_DEP_1)
	v_pk_add_f32 v[128:129], v[128:129], v[130:131]
	v_cmp_lt_f32_e32 vcc_lo, v128, v129
	v_dual_add_nc_u32 v117, 8, v117 :: v_dual_cndmask_b32 v119, v119, v127, vcc_lo
	v_cndmask_b32_e32 v118, v118, v126, vcc_lo
	v_cndmask_b32_e64 v116, v116, s0, vcc_lo
	s_add_co_i32 s0, s0, 1
	s_delay_alu instid0(SALU_CYCLE_1)
	s_cmp_lg_u32 s18, s0
	s_cbranch_scc1 .LBB108_127
.LBB108_128:
	s_wait_dscnt 0x0
	v_cmp_eq_f32_e32 vcc_lo, 0, v118
	v_cmp_eq_f32_e64 s0, 0, v119
	s_and_b32 s0, vcc_lo, s0
	s_delay_alu instid0(SALU_CYCLE_1) | instskip(NEXT) | instid1(SALU_CYCLE_1)
	s_and_saveexec_b32 s1, s0
	s_xor_b32 s0, exec_lo, s1
; %bb.129:
	v_cmp_ne_u32_e32 vcc_lo, 0, v122
	v_cndmask_b32_e32 v122, 7, v122, vcc_lo
; %bb.130:
	s_and_not1_saveexec_b32 s0, s0
	s_cbranch_execz .LBB108_136
; %bb.131:
	v_cmp_ngt_f32_e64 s1, |v118|, |v119|
	s_and_saveexec_b32 s12, s1
	s_delay_alu instid0(SALU_CYCLE_1)
	s_xor_b32 s1, exec_lo, s12
	s_cbranch_execz .LBB108_133
; %bb.132:
	v_div_scale_f32 v117, null, v119, v119, v118
	v_div_scale_f32 v127, vcc_lo, v118, v119, v118
	s_delay_alu instid0(VALU_DEP_2) | instskip(SKIP_1) | instid1(TRANS32_DEP_1)
	v_rcp_f32_e32 v125, v117
	v_nop
	v_fma_f32 v126, -v117, v125, 1.0
	s_delay_alu instid0(VALU_DEP_1) | instskip(NEXT) | instid1(VALU_DEP_1)
	v_fmac_f32_e32 v125, v126, v125
	v_mul_f32_e32 v126, v127, v125
	s_delay_alu instid0(VALU_DEP_1) | instskip(NEXT) | instid1(VALU_DEP_1)
	v_fma_f32 v128, -v117, v126, v127
	v_fmac_f32_e32 v126, v128, v125
	s_delay_alu instid0(VALU_DEP_1) | instskip(NEXT) | instid1(VALU_DEP_1)
	v_fma_f32 v117, -v117, v126, v127
	v_div_fmas_f32 v117, v117, v125, v126
	s_delay_alu instid0(VALU_DEP_1) | instskip(NEXT) | instid1(VALU_DEP_1)
	v_div_fixup_f32 v117, v117, v119, v118
	v_fmac_f32_e32 v119, v118, v117
	s_delay_alu instid0(VALU_DEP_1) | instskip(SKIP_1) | instid1(VALU_DEP_2)
	v_div_scale_f32 v118, null, v119, v119, 1.0
	v_div_scale_f32 v127, vcc_lo, 1.0, v119, 1.0
	v_rcp_f32_e32 v125, v118
	v_nop
	s_delay_alu instid0(TRANS32_DEP_1) | instskip(NEXT) | instid1(VALU_DEP_1)
	v_fma_f32 v126, -v118, v125, 1.0
	v_fmac_f32_e32 v125, v126, v125
	s_delay_alu instid0(VALU_DEP_1) | instskip(NEXT) | instid1(VALU_DEP_1)
	v_mul_f32_e32 v126, v127, v125
	v_fma_f32 v128, -v118, v126, v127
	s_delay_alu instid0(VALU_DEP_1) | instskip(NEXT) | instid1(VALU_DEP_1)
	v_fmac_f32_e32 v126, v128, v125
	v_fma_f32 v118, -v118, v126, v127
	s_delay_alu instid0(VALU_DEP_1) | instskip(NEXT) | instid1(VALU_DEP_1)
	v_div_fmas_f32 v118, v118, v125, v126
	v_div_fixup_f32 v119, v118, v119, 1.0
	s_delay_alu instid0(VALU_DEP_1)
	v_mul_f32_e32 v118, v117, v119
	v_xor_b32_e32 v119, 0x80000000, v119
.LBB108_133:
	s_and_not1_saveexec_b32 s1, s1
	s_cbranch_execz .LBB108_135
; %bb.134:
	s_delay_alu instid0(VALU_DEP_1) | instskip(SKIP_1) | instid1(VALU_DEP_2)
	v_div_scale_f32 v117, null, v118, v118, v119
	v_div_scale_f32 v127, vcc_lo, v119, v118, v119
	v_rcp_f32_e32 v125, v117
	v_nop
	s_delay_alu instid0(TRANS32_DEP_1) | instskip(NEXT) | instid1(VALU_DEP_1)
	v_fma_f32 v126, -v117, v125, 1.0
	v_fmac_f32_e32 v125, v126, v125
	s_delay_alu instid0(VALU_DEP_1) | instskip(NEXT) | instid1(VALU_DEP_1)
	v_mul_f32_e32 v126, v127, v125
	v_fma_f32 v128, -v117, v126, v127
	s_delay_alu instid0(VALU_DEP_1) | instskip(NEXT) | instid1(VALU_DEP_1)
	v_fmac_f32_e32 v126, v128, v125
	v_fma_f32 v117, -v117, v126, v127
	s_delay_alu instid0(VALU_DEP_1) | instskip(NEXT) | instid1(VALU_DEP_1)
	v_div_fmas_f32 v117, v117, v125, v126
	v_div_fixup_f32 v117, v117, v118, v119
	s_delay_alu instid0(VALU_DEP_1) | instskip(NEXT) | instid1(VALU_DEP_1)
	v_fmac_f32_e32 v118, v119, v117
	v_div_scale_f32 v119, null, v118, v118, 1.0
	s_delay_alu instid0(VALU_DEP_1) | instskip(SKIP_1) | instid1(TRANS32_DEP_1)
	v_rcp_f32_e32 v125, v119
	v_nop
	v_fma_f32 v126, -v119, v125, 1.0
	s_delay_alu instid0(VALU_DEP_1) | instskip(SKIP_1) | instid1(VALU_DEP_1)
	v_fmac_f32_e32 v125, v126, v125
	v_div_scale_f32 v126, vcc_lo, 1.0, v118, 1.0
	v_mul_f32_e32 v127, v126, v125
	s_delay_alu instid0(VALU_DEP_1) | instskip(NEXT) | instid1(VALU_DEP_1)
	v_fma_f32 v128, -v119, v127, v126
	v_fmac_f32_e32 v127, v128, v125
	s_delay_alu instid0(VALU_DEP_1) | instskip(NEXT) | instid1(VALU_DEP_1)
	v_fma_f32 v119, -v119, v127, v126
	v_div_fmas_f32 v119, v119, v125, v127
	s_delay_alu instid0(VALU_DEP_1) | instskip(NEXT) | instid1(VALU_DEP_1)
	v_div_fixup_f32 v118, v119, v118, 1.0
	v_mul_f32_e64 v119, v117, -v118
.LBB108_135:
	s_or_b32 exec_lo, exec_lo, s1
.LBB108_136:
	s_delay_alu instid0(SALU_CYCLE_1) | instskip(NEXT) | instid1(SALU_CYCLE_1)
	s_or_b32 exec_lo, exec_lo, s0
	s_mov_b32 s0, exec_lo
	v_cmpx_ne_u32_e64 v124, v116
	s_xor_b32 s0, exec_lo, s0
	s_cbranch_execz .LBB108_142
; %bb.137:
	s_mov_b32 s1, exec_lo
	v_cmpx_eq_u32_e32 6, v124
	s_cbranch_execz .LBB108_141
; %bb.138:
	v_cmp_ne_u32_e32 vcc_lo, 6, v116
	s_xor_b32 s12, s16, -1
	s_delay_alu instid0(SALU_CYCLE_1) | instskip(NEXT) | instid1(SALU_CYCLE_1)
	s_and_b32 s13, s12, vcc_lo
	s_and_saveexec_b32 s12, s13
	s_cbranch_execz .LBB108_140
; %bb.139:
	v_ashrrev_i32_e32 v117, 31, v116
	s_delay_alu instid0(VALU_DEP_1)
	v_lshl_add_u64 v[124:125], v[116:117], 2, v[4:5]
	s_clause 0x1
	global_load_b32 v117, v[124:125], off
	global_load_b32 v123, v[4:5], off offset:24
	s_wait_loadcnt 0x1
	global_store_b32 v[4:5], v117, off offset:24
	s_wait_loadcnt 0x0
	global_store_b32 v[124:125], v123, off
.LBB108_140:
	s_wait_xcnt 0x0
	s_or_b32 exec_lo, exec_lo, s12
	v_dual_mov_b32 v124, v116 :: v_dual_mov_b32 v123, v116
.LBB108_141:
	s_or_b32 exec_lo, exec_lo, s1
.LBB108_142:
	s_and_not1_saveexec_b32 s0, s0
	s_cbranch_execz .LBB108_144
; %bb.143:
	v_mov_b32_e32 v124, 6
	ds_store_2addr_b64 v120, v[46:47], v[104:105] offset0:7 offset1:8
	ds_store_2addr_b64 v120, v[102:103], v[60:61] offset0:9 offset1:10
	;; [unrolled: 1-line block ×24, first 2 shown]
.LBB108_144:
	s_or_b32 exec_lo, exec_lo, s0
	s_delay_alu instid0(SALU_CYCLE_1)
	s_mov_b32 s0, exec_lo
	s_wait_storecnt_dscnt 0x0
	s_barrier_signal -1
	s_barrier_wait -1
	v_cmpx_lt_i32_e32 6, v124
	s_cbranch_execz .LBB108_146
; %bb.145:
	v_pk_mul_f32 v[126:127], v[118:119], v[48:49] op_sel:[1,1] op_sel_hi:[0,1]
	s_delay_alu instid0(VALU_DEP_1)
	v_pk_fma_f32 v[116:117], v[118:119], v[48:49], v[126:127] op_sel_hi:[1,0,1] neg_lo:[0,0,1] neg_hi:[0,0,1]
	v_pk_fma_f32 v[118:119], v[118:119], v[48:49], v[126:127] op_sel_hi:[1,0,1]
	ds_load_2addr_b64 v[126:129], v120 offset0:7 offset1:8
	v_dual_mov_b32 v48, v116 :: v_dual_mov_b32 v49, v119
	s_wait_dscnt 0x0
	v_pk_mul_f32 v[130:131], v[126:127], v[118:119] op_sel:[0,1]
	s_delay_alu instid0(VALU_DEP_1) | instskip(SKIP_1) | instid1(VALU_DEP_1)
	v_pk_fma_f32 v[132:133], v[126:127], v[116:117], v[130:131] op_sel:[0,0,1] op_sel_hi:[1,1,0] neg_lo:[0,0,1] neg_hi:[0,0,1]
	v_pk_fma_f32 v[126:127], v[126:127], v[116:117], v[130:131] op_sel:[0,0,1] op_sel_hi:[1,0,0]
	v_mov_b32_e32 v133, v127
	v_pk_mul_f32 v[126:127], v[128:129], v[118:119] op_sel:[0,1]
	s_delay_alu instid0(VALU_DEP_1) | instskip(SKIP_1) | instid1(VALU_DEP_1)
	v_pk_fma_f32 v[130:131], v[128:129], v[116:117], v[126:127] op_sel:[0,0,1] op_sel_hi:[1,1,0] neg_lo:[0,0,1] neg_hi:[0,0,1]
	v_pk_fma_f32 v[126:127], v[128:129], v[116:117], v[126:127] op_sel:[0,0,1] op_sel_hi:[1,0,0]
	v_mov_b32_e32 v131, v127
	ds_load_2addr_b64 v[126:129], v120 offset0:9 offset1:10
	v_pk_add_f32 v[46:47], v[46:47], v[132:133] neg_lo:[0,1] neg_hi:[0,1]
	v_pk_add_f32 v[104:105], v[104:105], v[130:131] neg_lo:[0,1] neg_hi:[0,1]
	s_wait_dscnt 0x0
	v_pk_mul_f32 v[130:131], v[126:127], v[118:119] op_sel:[0,1]
	s_delay_alu instid0(VALU_DEP_1) | instskip(SKIP_2) | instid1(VALU_DEP_2)
	v_pk_fma_f32 v[132:133], v[126:127], v[116:117], v[130:131] op_sel:[0,0,1] op_sel_hi:[1,1,0] neg_lo:[0,0,1] neg_hi:[0,0,1]
	v_pk_fma_f32 v[126:127], v[126:127], v[116:117], v[130:131] op_sel:[0,0,1] op_sel_hi:[1,0,0]
	v_dual_mul_f32 v130, v129, v119 :: v_dual_mov_b32 v126, v129
	v_dual_mov_b32 v133, v127 :: v_dual_mov_b32 v127, v128
	s_delay_alu instid0(VALU_DEP_2) | instskip(SKIP_1) | instid1(VALU_DEP_3)
	v_pk_fma_f32 v[130:131], v[128:129], v[48:49], v[130:131] op_sel_hi:[1,1,0] neg_lo:[0,0,1] neg_hi:[0,0,1]
	v_mul_f32_e32 v128, v129, v116
	v_pk_add_f32 v[102:103], v[102:103], v[132:133] neg_lo:[0,1] neg_hi:[0,1]
	s_delay_alu instid0(VALU_DEP_2) | instskip(NEXT) | instid1(VALU_DEP_1)
	v_pk_fma_f32 v[126:127], v[126:127], v[48:49], v[128:129] op_sel_hi:[1,1,0]
	v_mov_b32_e32 v131, v127
	ds_load_2addr_b64 v[126:129], v120 offset0:11 offset1:12
	v_pk_add_f32 v[60:61], v[60:61], v[130:131] neg_lo:[0,1] neg_hi:[0,1]
	s_wait_dscnt 0x0
	v_pk_mul_f32 v[130:131], v[126:127], v[118:119] op_sel:[0,1]
	s_delay_alu instid0(VALU_DEP_1) | instskip(SKIP_1) | instid1(VALU_DEP_1)
	v_pk_fma_f32 v[132:133], v[126:127], v[116:117], v[130:131] op_sel:[0,0,1] op_sel_hi:[1,1,0] neg_lo:[0,0,1] neg_hi:[0,0,1]
	v_pk_fma_f32 v[126:127], v[126:127], v[116:117], v[130:131] op_sel:[0,0,1] op_sel_hi:[1,0,0]
	v_mov_b32_e32 v133, v127
	v_pk_mul_f32 v[126:127], v[128:129], v[118:119] op_sel:[0,1]
	s_delay_alu instid0(VALU_DEP_1) | instskip(SKIP_1) | instid1(VALU_DEP_1)
	v_pk_fma_f32 v[130:131], v[128:129], v[116:117], v[126:127] op_sel:[0,0,1] op_sel_hi:[1,1,0] neg_lo:[0,0,1] neg_hi:[0,0,1]
	v_pk_fma_f32 v[126:127], v[128:129], v[116:117], v[126:127] op_sel:[0,0,1] op_sel_hi:[1,0,0]
	v_mov_b32_e32 v131, v127
	ds_load_2addr_b64 v[126:129], v120 offset0:13 offset1:14
	v_pk_add_f32 v[58:59], v[58:59], v[132:133] neg_lo:[0,1] neg_hi:[0,1]
	v_pk_add_f32 v[100:101], v[100:101], v[130:131] neg_lo:[0,1] neg_hi:[0,1]
	s_wait_dscnt 0x0
	v_pk_mul_f32 v[130:131], v[126:127], v[118:119] op_sel:[0,1]
	s_delay_alu instid0(VALU_DEP_1) | instskip(SKIP_1) | instid1(VALU_DEP_1)
	v_pk_fma_f32 v[132:133], v[126:127], v[116:117], v[130:131] op_sel:[0,0,1] op_sel_hi:[1,1,0] neg_lo:[0,0,1] neg_hi:[0,0,1]
	v_pk_fma_f32 v[126:127], v[126:127], v[116:117], v[130:131] op_sel:[0,0,1] op_sel_hi:[1,0,0]
	v_mov_b32_e32 v133, v127
	v_pk_mul_f32 v[126:127], v[128:129], v[118:119] op_sel:[0,1]
	s_delay_alu instid0(VALU_DEP_1) | instskip(SKIP_1) | instid1(VALU_DEP_1)
	v_pk_fma_f32 v[130:131], v[128:129], v[116:117], v[126:127] op_sel:[0,0,1] op_sel_hi:[1,1,0] neg_lo:[0,0,1] neg_hi:[0,0,1]
	v_pk_fma_f32 v[126:127], v[128:129], v[116:117], v[126:127] op_sel:[0,0,1] op_sel_hi:[1,0,0]
	v_mov_b32_e32 v131, v127
	ds_load_2addr_b64 v[126:129], v120 offset0:15 offset1:16
	v_pk_add_f32 v[98:99], v[98:99], v[132:133] neg_lo:[0,1] neg_hi:[0,1]
	v_pk_add_f32 v[56:57], v[56:57], v[130:131] neg_lo:[0,1] neg_hi:[0,1]
	s_wait_dscnt 0x0
	v_dual_mul_f32 v130, v127, v119 :: v_dual_mul_f32 v132, v127, v116
	s_delay_alu instid0(VALU_DEP_1) | instskip(NEXT) | instid1(VALU_DEP_2)
	v_pk_fma_f32 v[130:131], v[126:127], v[48:49], v[130:131] op_sel_hi:[1,1,0] neg_lo:[0,0,1] neg_hi:[0,0,1]
	v_pk_fma_f32 v[126:127], v[126:127], v[48:49], v[132:133] op_sel:[1,0,0] op_sel_hi:[0,1,0]
	s_delay_alu instid0(VALU_DEP_1) | instskip(SKIP_1) | instid1(VALU_DEP_2)
	v_mov_b32_e32 v131, v127
	v_pk_mul_f32 v[126:127], v[128:129], v[118:119] op_sel:[0,1]
	v_pk_add_f32 v[54:55], v[54:55], v[130:131] neg_lo:[0,1] neg_hi:[0,1]
	s_delay_alu instid0(VALU_DEP_2) | instskip(SKIP_1) | instid1(VALU_DEP_1)
	v_pk_fma_f32 v[130:131], v[128:129], v[116:117], v[126:127] op_sel:[0,0,1] op_sel_hi:[1,1,0] neg_lo:[0,0,1] neg_hi:[0,0,1]
	v_pk_fma_f32 v[126:127], v[128:129], v[116:117], v[126:127] op_sel:[0,0,1] op_sel_hi:[1,0,0]
	v_mov_b32_e32 v131, v127
	ds_load_2addr_b64 v[126:129], v120 offset0:17 offset1:18
	v_pk_add_f32 v[92:93], v[92:93], v[130:131] neg_lo:[0,1] neg_hi:[0,1]
	s_wait_dscnt 0x0
	v_pk_mul_f32 v[130:131], v[126:127], v[118:119] op_sel:[0,1]
	s_delay_alu instid0(VALU_DEP_1) | instskip(SKIP_1) | instid1(VALU_DEP_1)
	v_pk_fma_f32 v[132:133], v[126:127], v[116:117], v[130:131] op_sel:[0,0,1] op_sel_hi:[1,1,0] neg_lo:[0,0,1] neg_hi:[0,0,1]
	v_pk_fma_f32 v[126:127], v[126:127], v[116:117], v[130:131] op_sel:[0,0,1] op_sel_hi:[1,0,0]
	v_mov_b32_e32 v133, v127
	v_pk_mul_f32 v[126:127], v[128:129], v[118:119] op_sel:[0,1]
	s_delay_alu instid0(VALU_DEP_2) | instskip(NEXT) | instid1(VALU_DEP_2)
	v_pk_add_f32 v[90:91], v[90:91], v[132:133] neg_lo:[0,1] neg_hi:[0,1]
	v_pk_fma_f32 v[130:131], v[128:129], v[116:117], v[126:127] op_sel:[0,0,1] op_sel_hi:[1,1,0] neg_lo:[0,0,1] neg_hi:[0,0,1]
	v_pk_fma_f32 v[126:127], v[128:129], v[116:117], v[126:127] op_sel:[0,0,1] op_sel_hi:[1,0,0]
	s_delay_alu instid0(VALU_DEP_1) | instskip(SKIP_4) | instid1(VALU_DEP_1)
	v_mov_b32_e32 v131, v127
	ds_load_2addr_b64 v[126:129], v120 offset0:19 offset1:20
	v_pk_add_f32 v[44:45], v[44:45], v[130:131] neg_lo:[0,1] neg_hi:[0,1]
	s_wait_dscnt 0x0
	v_pk_mul_f32 v[130:131], v[126:127], v[118:119] op_sel:[0,1]
	v_pk_fma_f32 v[132:133], v[126:127], v[116:117], v[130:131] op_sel:[0,0,1] op_sel_hi:[1,1,0] neg_lo:[0,0,1] neg_hi:[0,0,1]
	v_pk_fma_f32 v[126:127], v[126:127], v[116:117], v[130:131] op_sel:[0,0,1] op_sel_hi:[1,0,0]
	v_dual_mul_f32 v130, v129, v119 :: v_dual_mov_b32 v126, v129
	s_delay_alu instid0(VALU_DEP_2) | instskip(NEXT) | instid1(VALU_DEP_2)
	v_dual_mov_b32 v133, v127 :: v_dual_mov_b32 v127, v128
	v_pk_fma_f32 v[130:131], v[128:129], v[48:49], v[130:131] op_sel_hi:[1,1,0] neg_lo:[0,0,1] neg_hi:[0,0,1]
	v_mul_f32_e32 v128, v129, v116
	s_delay_alu instid0(VALU_DEP_3) | instskip(NEXT) | instid1(VALU_DEP_2)
	v_pk_add_f32 v[42:43], v[42:43], v[132:133] neg_lo:[0,1] neg_hi:[0,1]
	v_pk_fma_f32 v[126:127], v[126:127], v[48:49], v[128:129] op_sel_hi:[1,1,0]
	s_delay_alu instid0(VALU_DEP_1) | instskip(SKIP_4) | instid1(VALU_DEP_1)
	v_mov_b32_e32 v131, v127
	ds_load_2addr_b64 v[126:129], v120 offset0:21 offset1:22
	v_pk_add_f32 v[88:89], v[88:89], v[130:131] neg_lo:[0,1] neg_hi:[0,1]
	s_wait_dscnt 0x0
	v_pk_mul_f32 v[130:131], v[126:127], v[118:119] op_sel:[0,1]
	v_pk_fma_f32 v[132:133], v[126:127], v[116:117], v[130:131] op_sel:[0,0,1] op_sel_hi:[1,1,0] neg_lo:[0,0,1] neg_hi:[0,0,1]
	v_pk_fma_f32 v[126:127], v[126:127], v[116:117], v[130:131] op_sel:[0,0,1] op_sel_hi:[1,0,0]
	s_delay_alu instid0(VALU_DEP_1) | instskip(SKIP_1) | instid1(VALU_DEP_1)
	v_mov_b32_e32 v133, v127
	v_pk_mul_f32 v[126:127], v[128:129], v[118:119] op_sel:[0,1]
	v_pk_fma_f32 v[130:131], v[128:129], v[116:117], v[126:127] op_sel:[0,0,1] op_sel_hi:[1,1,0] neg_lo:[0,0,1] neg_hi:[0,0,1]
	v_pk_fma_f32 v[126:127], v[128:129], v[116:117], v[126:127] op_sel:[0,0,1] op_sel_hi:[1,0,0]
	s_delay_alu instid0(VALU_DEP_1)
	v_mov_b32_e32 v131, v127
	ds_load_2addr_b64 v[126:129], v120 offset0:23 offset1:24
	v_pk_add_f32 v[86:87], v[86:87], v[132:133] neg_lo:[0,1] neg_hi:[0,1]
	v_pk_add_f32 v[40:41], v[40:41], v[130:131] neg_lo:[0,1] neg_hi:[0,1]
	s_wait_dscnt 0x0
	v_pk_mul_f32 v[130:131], v[126:127], v[118:119] op_sel:[0,1]
	s_delay_alu instid0(VALU_DEP_1) | instskip(SKIP_1) | instid1(VALU_DEP_1)
	v_pk_fma_f32 v[132:133], v[126:127], v[116:117], v[130:131] op_sel:[0,0,1] op_sel_hi:[1,1,0] neg_lo:[0,0,1] neg_hi:[0,0,1]
	v_pk_fma_f32 v[126:127], v[126:127], v[116:117], v[130:131] op_sel:[0,0,1] op_sel_hi:[1,0,0]
	v_mov_b32_e32 v133, v127
	v_pk_mul_f32 v[126:127], v[128:129], v[118:119] op_sel:[0,1]
	s_delay_alu instid0(VALU_DEP_1) | instskip(SKIP_1) | instid1(VALU_DEP_1)
	v_pk_fma_f32 v[130:131], v[128:129], v[116:117], v[126:127] op_sel:[0,0,1] op_sel_hi:[1,1,0] neg_lo:[0,0,1] neg_hi:[0,0,1]
	v_pk_fma_f32 v[126:127], v[128:129], v[116:117], v[126:127] op_sel:[0,0,1] op_sel_hi:[1,0,0]
	v_mov_b32_e32 v131, v127
	ds_load_2addr_b64 v[126:129], v120 offset0:25 offset1:26
	v_pk_add_f32 v[38:39], v[38:39], v[132:133] neg_lo:[0,1] neg_hi:[0,1]
	v_pk_add_f32 v[84:85], v[84:85], v[130:131] neg_lo:[0,1] neg_hi:[0,1]
	s_wait_dscnt 0x0
	v_dual_mul_f32 v130, v127, v119 :: v_dual_mul_f32 v132, v127, v116
	s_delay_alu instid0(VALU_DEP_1) | instskip(NEXT) | instid1(VALU_DEP_2)
	v_pk_fma_f32 v[130:131], v[126:127], v[48:49], v[130:131] op_sel_hi:[1,1,0] neg_lo:[0,0,1] neg_hi:[0,0,1]
	v_pk_fma_f32 v[126:127], v[126:127], v[48:49], v[132:133] op_sel:[1,0,0] op_sel_hi:[0,1,0]
	s_delay_alu instid0(VALU_DEP_1) | instskip(SKIP_1) | instid1(VALU_DEP_2)
	v_mov_b32_e32 v131, v127
	v_pk_mul_f32 v[126:127], v[128:129], v[118:119] op_sel:[0,1]
	v_pk_add_f32 v[82:83], v[82:83], v[130:131] neg_lo:[0,1] neg_hi:[0,1]
	s_delay_alu instid0(VALU_DEP_2) | instskip(SKIP_1) | instid1(VALU_DEP_1)
	v_pk_fma_f32 v[130:131], v[128:129], v[116:117], v[126:127] op_sel:[0,0,1] op_sel_hi:[1,1,0] neg_lo:[0,0,1] neg_hi:[0,0,1]
	v_pk_fma_f32 v[126:127], v[128:129], v[116:117], v[126:127] op_sel:[0,0,1] op_sel_hi:[1,0,0]
	v_mov_b32_e32 v131, v127
	ds_load_2addr_b64 v[126:129], v120 offset0:27 offset1:28
	v_pk_add_f32 v[36:37], v[36:37], v[130:131] neg_lo:[0,1] neg_hi:[0,1]
	s_wait_dscnt 0x0
	v_pk_mul_f32 v[130:131], v[126:127], v[118:119] op_sel:[0,1]
	s_delay_alu instid0(VALU_DEP_1) | instskip(SKIP_1) | instid1(VALU_DEP_1)
	v_pk_fma_f32 v[132:133], v[126:127], v[116:117], v[130:131] op_sel:[0,0,1] op_sel_hi:[1,1,0] neg_lo:[0,0,1] neg_hi:[0,0,1]
	v_pk_fma_f32 v[126:127], v[126:127], v[116:117], v[130:131] op_sel:[0,0,1] op_sel_hi:[1,0,0]
	v_mov_b32_e32 v133, v127
	v_pk_mul_f32 v[126:127], v[128:129], v[118:119] op_sel:[0,1]
	s_delay_alu instid0(VALU_DEP_2) | instskip(NEXT) | instid1(VALU_DEP_2)
	v_pk_add_f32 v[32:33], v[32:33], v[132:133] neg_lo:[0,1] neg_hi:[0,1]
	v_pk_fma_f32 v[130:131], v[128:129], v[116:117], v[126:127] op_sel:[0,0,1] op_sel_hi:[1,1,0] neg_lo:[0,0,1] neg_hi:[0,0,1]
	v_pk_fma_f32 v[126:127], v[128:129], v[116:117], v[126:127] op_sel:[0,0,1] op_sel_hi:[1,0,0]
	s_delay_alu instid0(VALU_DEP_1) | instskip(SKIP_4) | instid1(VALU_DEP_1)
	v_mov_b32_e32 v131, v127
	ds_load_2addr_b64 v[126:129], v120 offset0:29 offset1:30
	v_pk_add_f32 v[80:81], v[80:81], v[130:131] neg_lo:[0,1] neg_hi:[0,1]
	s_wait_dscnt 0x0
	v_pk_mul_f32 v[130:131], v[126:127], v[118:119] op_sel:[0,1]
	v_pk_fma_f32 v[132:133], v[126:127], v[116:117], v[130:131] op_sel:[0,0,1] op_sel_hi:[1,1,0] neg_lo:[0,0,1] neg_hi:[0,0,1]
	v_pk_fma_f32 v[126:127], v[126:127], v[116:117], v[130:131] op_sel:[0,0,1] op_sel_hi:[1,0,0]
	v_dual_mul_f32 v130, v129, v119 :: v_dual_mov_b32 v126, v129
	s_delay_alu instid0(VALU_DEP_2) | instskip(NEXT) | instid1(VALU_DEP_2)
	v_dual_mov_b32 v133, v127 :: v_dual_mov_b32 v127, v128
	v_pk_fma_f32 v[130:131], v[128:129], v[48:49], v[130:131] op_sel_hi:[1,1,0] neg_lo:[0,0,1] neg_hi:[0,0,1]
	v_mul_f32_e32 v128, v129, v116
	s_delay_alu instid0(VALU_DEP_3) | instskip(NEXT) | instid1(VALU_DEP_2)
	v_pk_add_f32 v[78:79], v[78:79], v[132:133] neg_lo:[0,1] neg_hi:[0,1]
	v_pk_fma_f32 v[126:127], v[126:127], v[48:49], v[128:129] op_sel_hi:[1,1,0]
	s_delay_alu instid0(VALU_DEP_1) | instskip(SKIP_4) | instid1(VALU_DEP_1)
	v_mov_b32_e32 v131, v127
	ds_load_2addr_b64 v[126:129], v120 offset0:31 offset1:32
	v_pk_add_f32 v[28:29], v[28:29], v[130:131] neg_lo:[0,1] neg_hi:[0,1]
	s_wait_dscnt 0x0
	v_pk_mul_f32 v[130:131], v[126:127], v[118:119] op_sel:[0,1]
	v_pk_fma_f32 v[132:133], v[126:127], v[116:117], v[130:131] op_sel:[0,0,1] op_sel_hi:[1,1,0] neg_lo:[0,0,1] neg_hi:[0,0,1]
	v_pk_fma_f32 v[126:127], v[126:127], v[116:117], v[130:131] op_sel:[0,0,1] op_sel_hi:[1,0,0]
	s_delay_alu instid0(VALU_DEP_1) | instskip(SKIP_1) | instid1(VALU_DEP_1)
	v_mov_b32_e32 v133, v127
	v_pk_mul_f32 v[126:127], v[128:129], v[118:119] op_sel:[0,1]
	v_pk_fma_f32 v[130:131], v[128:129], v[116:117], v[126:127] op_sel:[0,0,1] op_sel_hi:[1,1,0] neg_lo:[0,0,1] neg_hi:[0,0,1]
	v_pk_fma_f32 v[126:127], v[128:129], v[116:117], v[126:127] op_sel:[0,0,1] op_sel_hi:[1,0,0]
	s_delay_alu instid0(VALU_DEP_1)
	v_mov_b32_e32 v131, v127
	ds_load_2addr_b64 v[126:129], v120 offset0:33 offset1:34
	v_pk_add_f32 v[26:27], v[26:27], v[132:133] neg_lo:[0,1] neg_hi:[0,1]
	v_pk_add_f32 v[76:77], v[76:77], v[130:131] neg_lo:[0,1] neg_hi:[0,1]
	s_wait_dscnt 0x0
	v_pk_mul_f32 v[130:131], v[126:127], v[118:119] op_sel:[0,1]
	s_delay_alu instid0(VALU_DEP_1) | instskip(SKIP_1) | instid1(VALU_DEP_1)
	v_pk_fma_f32 v[132:133], v[126:127], v[116:117], v[130:131] op_sel:[0,0,1] op_sel_hi:[1,1,0] neg_lo:[0,0,1] neg_hi:[0,0,1]
	v_pk_fma_f32 v[126:127], v[126:127], v[116:117], v[130:131] op_sel:[0,0,1] op_sel_hi:[1,0,0]
	v_mov_b32_e32 v133, v127
	v_pk_mul_f32 v[126:127], v[128:129], v[118:119] op_sel:[0,1]
	s_delay_alu instid0(VALU_DEP_1) | instskip(SKIP_1) | instid1(VALU_DEP_1)
	v_pk_fma_f32 v[130:131], v[128:129], v[116:117], v[126:127] op_sel:[0,0,1] op_sel_hi:[1,1,0] neg_lo:[0,0,1] neg_hi:[0,0,1]
	v_pk_fma_f32 v[126:127], v[128:129], v[116:117], v[126:127] op_sel:[0,0,1] op_sel_hi:[1,0,0]
	v_mov_b32_e32 v131, v127
	ds_load_2addr_b64 v[126:129], v120 offset0:35 offset1:36
	v_pk_add_f32 v[74:75], v[74:75], v[132:133] neg_lo:[0,1] neg_hi:[0,1]
	v_pk_add_f32 v[22:23], v[22:23], v[130:131] neg_lo:[0,1] neg_hi:[0,1]
	s_wait_dscnt 0x0
	v_dual_mul_f32 v130, v127, v119 :: v_dual_mul_f32 v132, v127, v116
	s_delay_alu instid0(VALU_DEP_1) | instskip(NEXT) | instid1(VALU_DEP_2)
	v_pk_fma_f32 v[130:131], v[126:127], v[48:49], v[130:131] op_sel_hi:[1,1,0] neg_lo:[0,0,1] neg_hi:[0,0,1]
	v_pk_fma_f32 v[126:127], v[126:127], v[48:49], v[132:133] op_sel:[1,0,0] op_sel_hi:[0,1,0]
	s_delay_alu instid0(VALU_DEP_1) | instskip(SKIP_1) | instid1(VALU_DEP_2)
	v_mov_b32_e32 v131, v127
	v_pk_mul_f32 v[126:127], v[128:129], v[118:119] op_sel:[0,1]
	v_pk_add_f32 v[20:21], v[20:21], v[130:131] neg_lo:[0,1] neg_hi:[0,1]
	s_delay_alu instid0(VALU_DEP_2) | instskip(SKIP_1) | instid1(VALU_DEP_1)
	v_pk_fma_f32 v[130:131], v[128:129], v[116:117], v[126:127] op_sel:[0,0,1] op_sel_hi:[1,1,0] neg_lo:[0,0,1] neg_hi:[0,0,1]
	v_pk_fma_f32 v[126:127], v[128:129], v[116:117], v[126:127] op_sel:[0,0,1] op_sel_hi:[1,0,0]
	v_mov_b32_e32 v131, v127
	ds_load_2addr_b64 v[126:129], v120 offset0:37 offset1:38
	v_pk_add_f32 v[72:73], v[72:73], v[130:131] neg_lo:[0,1] neg_hi:[0,1]
	s_wait_dscnt 0x0
	v_pk_mul_f32 v[130:131], v[126:127], v[118:119] op_sel:[0,1]
	s_delay_alu instid0(VALU_DEP_1) | instskip(SKIP_1) | instid1(VALU_DEP_1)
	v_pk_fma_f32 v[132:133], v[126:127], v[116:117], v[130:131] op_sel:[0,0,1] op_sel_hi:[1,1,0] neg_lo:[0,0,1] neg_hi:[0,0,1]
	v_pk_fma_f32 v[126:127], v[126:127], v[116:117], v[130:131] op_sel:[0,0,1] op_sel_hi:[1,0,0]
	v_mov_b32_e32 v133, v127
	v_pk_mul_f32 v[126:127], v[128:129], v[118:119] op_sel:[0,1]
	s_delay_alu instid0(VALU_DEP_2) | instskip(NEXT) | instid1(VALU_DEP_2)
	v_pk_add_f32 v[70:71], v[70:71], v[132:133] neg_lo:[0,1] neg_hi:[0,1]
	v_pk_fma_f32 v[130:131], v[128:129], v[116:117], v[126:127] op_sel:[0,0,1] op_sel_hi:[1,1,0] neg_lo:[0,0,1] neg_hi:[0,0,1]
	v_pk_fma_f32 v[126:127], v[128:129], v[116:117], v[126:127] op_sel:[0,0,1] op_sel_hi:[1,0,0]
	s_delay_alu instid0(VALU_DEP_1) | instskip(SKIP_4) | instid1(VALU_DEP_1)
	v_mov_b32_e32 v131, v127
	ds_load_2addr_b64 v[126:129], v120 offset0:39 offset1:40
	v_pk_add_f32 v[18:19], v[18:19], v[130:131] neg_lo:[0,1] neg_hi:[0,1]
	s_wait_dscnt 0x0
	v_pk_mul_f32 v[130:131], v[126:127], v[118:119] op_sel:[0,1]
	v_pk_fma_f32 v[132:133], v[126:127], v[116:117], v[130:131] op_sel:[0,0,1] op_sel_hi:[1,1,0] neg_lo:[0,0,1] neg_hi:[0,0,1]
	v_pk_fma_f32 v[126:127], v[126:127], v[116:117], v[130:131] op_sel:[0,0,1] op_sel_hi:[1,0,0]
	v_dual_mul_f32 v130, v129, v119 :: v_dual_mov_b32 v126, v129
	s_delay_alu instid0(VALU_DEP_2) | instskip(NEXT) | instid1(VALU_DEP_2)
	v_dual_mov_b32 v133, v127 :: v_dual_mov_b32 v127, v128
	v_pk_fma_f32 v[130:131], v[128:129], v[48:49], v[130:131] op_sel_hi:[1,1,0] neg_lo:[0,0,1] neg_hi:[0,0,1]
	v_mul_f32_e32 v128, v129, v116
	s_delay_alu instid0(VALU_DEP_3) | instskip(NEXT) | instid1(VALU_DEP_2)
	v_pk_add_f32 v[16:17], v[16:17], v[132:133] neg_lo:[0,1] neg_hi:[0,1]
	v_pk_fma_f32 v[126:127], v[126:127], v[48:49], v[128:129] op_sel_hi:[1,1,0]
	s_delay_alu instid0(VALU_DEP_1) | instskip(SKIP_4) | instid1(VALU_DEP_1)
	v_mov_b32_e32 v131, v127
	ds_load_2addr_b64 v[126:129], v120 offset0:41 offset1:42
	v_pk_add_f32 v[68:69], v[68:69], v[130:131] neg_lo:[0,1] neg_hi:[0,1]
	s_wait_dscnt 0x0
	v_pk_mul_f32 v[130:131], v[126:127], v[118:119] op_sel:[0,1]
	v_pk_fma_f32 v[132:133], v[126:127], v[116:117], v[130:131] op_sel:[0,0,1] op_sel_hi:[1,1,0] neg_lo:[0,0,1] neg_hi:[0,0,1]
	v_pk_fma_f32 v[126:127], v[126:127], v[116:117], v[130:131] op_sel:[0,0,1] op_sel_hi:[1,0,0]
	s_delay_alu instid0(VALU_DEP_1) | instskip(SKIP_1) | instid1(VALU_DEP_1)
	v_mov_b32_e32 v133, v127
	v_pk_mul_f32 v[126:127], v[128:129], v[118:119] op_sel:[0,1]
	v_pk_fma_f32 v[130:131], v[128:129], v[116:117], v[126:127] op_sel:[0,0,1] op_sel_hi:[1,1,0] neg_lo:[0,0,1] neg_hi:[0,0,1]
	v_pk_fma_f32 v[126:127], v[128:129], v[116:117], v[126:127] op_sel:[0,0,1] op_sel_hi:[1,0,0]
	s_delay_alu instid0(VALU_DEP_1)
	v_mov_b32_e32 v131, v127
	ds_load_2addr_b64 v[126:129], v120 offset0:43 offset1:44
	v_pk_add_f32 v[66:67], v[66:67], v[132:133] neg_lo:[0,1] neg_hi:[0,1]
	v_pk_add_f32 v[14:15], v[14:15], v[130:131] neg_lo:[0,1] neg_hi:[0,1]
	s_wait_dscnt 0x0
	v_pk_mul_f32 v[130:131], v[126:127], v[118:119] op_sel:[0,1]
	s_delay_alu instid0(VALU_DEP_1) | instskip(SKIP_1) | instid1(VALU_DEP_1)
	v_pk_fma_f32 v[132:133], v[126:127], v[116:117], v[130:131] op_sel:[0,0,1] op_sel_hi:[1,1,0] neg_lo:[0,0,1] neg_hi:[0,0,1]
	v_pk_fma_f32 v[126:127], v[126:127], v[116:117], v[130:131] op_sel:[0,0,1] op_sel_hi:[1,0,0]
	v_mov_b32_e32 v133, v127
	v_pk_mul_f32 v[126:127], v[128:129], v[118:119] op_sel:[0,1]
	s_delay_alu instid0(VALU_DEP_1) | instskip(SKIP_1) | instid1(VALU_DEP_1)
	v_pk_fma_f32 v[130:131], v[128:129], v[116:117], v[126:127] op_sel:[0,0,1] op_sel_hi:[1,1,0] neg_lo:[0,0,1] neg_hi:[0,0,1]
	v_pk_fma_f32 v[126:127], v[128:129], v[116:117], v[126:127] op_sel:[0,0,1] op_sel_hi:[1,0,0]
	v_mov_b32_e32 v131, v127
	ds_load_2addr_b64 v[126:129], v120 offset0:45 offset1:46
	v_pk_add_f32 v[12:13], v[12:13], v[132:133] neg_lo:[0,1] neg_hi:[0,1]
	v_pk_add_f32 v[64:65], v[64:65], v[130:131] neg_lo:[0,1] neg_hi:[0,1]
	s_wait_dscnt 0x0
	v_dual_mul_f32 v130, v127, v119 :: v_dual_mul_f32 v132, v127, v116
	s_delay_alu instid0(VALU_DEP_1) | instskip(NEXT) | instid1(VALU_DEP_2)
	v_pk_fma_f32 v[130:131], v[126:127], v[48:49], v[130:131] op_sel_hi:[1,1,0] neg_lo:[0,0,1] neg_hi:[0,0,1]
	v_pk_fma_f32 v[126:127], v[126:127], v[48:49], v[132:133] op_sel:[1,0,0] op_sel_hi:[0,1,0]
	s_delay_alu instid0(VALU_DEP_1) | instskip(SKIP_1) | instid1(VALU_DEP_2)
	v_mov_b32_e32 v131, v127
	v_pk_mul_f32 v[126:127], v[128:129], v[118:119] op_sel:[0,1]
	v_pk_add_f32 v[62:63], v[62:63], v[130:131] neg_lo:[0,1] neg_hi:[0,1]
	s_delay_alu instid0(VALU_DEP_2) | instskip(SKIP_1) | instid1(VALU_DEP_1)
	v_pk_fma_f32 v[130:131], v[128:129], v[116:117], v[126:127] op_sel:[0,0,1] op_sel_hi:[1,1,0] neg_lo:[0,0,1] neg_hi:[0,0,1]
	v_pk_fma_f32 v[126:127], v[128:129], v[116:117], v[126:127] op_sel:[0,0,1] op_sel_hi:[1,0,0]
	v_mov_b32_e32 v131, v127
	ds_load_2addr_b64 v[126:129], v120 offset0:47 offset1:48
	v_pk_add_f32 v[10:11], v[10:11], v[130:131] neg_lo:[0,1] neg_hi:[0,1]
	s_wait_dscnt 0x0
	v_pk_mul_f32 v[130:131], v[126:127], v[118:119] op_sel:[0,1]
	s_delay_alu instid0(VALU_DEP_1) | instskip(SKIP_1) | instid1(VALU_DEP_1)
	v_pk_fma_f32 v[132:133], v[126:127], v[116:117], v[130:131] op_sel:[0,0,1] op_sel_hi:[1,1,0] neg_lo:[0,0,1] neg_hi:[0,0,1]
	v_pk_fma_f32 v[126:127], v[126:127], v[116:117], v[130:131] op_sel:[0,0,1] op_sel_hi:[1,0,0]
	v_mov_b32_e32 v133, v127
	v_pk_mul_f32 v[126:127], v[128:129], v[118:119] op_sel:[0,1]
	s_delay_alu instid0(VALU_DEP_2) | instskip(NEXT) | instid1(VALU_DEP_2)
	v_pk_add_f32 v[6:7], v[6:7], v[132:133] neg_lo:[0,1] neg_hi:[0,1]
	v_pk_fma_f32 v[130:131], v[128:129], v[116:117], v[126:127] op_sel:[0,0,1] op_sel_hi:[1,1,0] neg_lo:[0,0,1] neg_hi:[0,0,1]
	v_pk_fma_f32 v[126:127], v[128:129], v[116:117], v[126:127] op_sel:[0,0,1] op_sel_hi:[1,0,0]
	s_delay_alu instid0(VALU_DEP_1) | instskip(SKIP_4) | instid1(VALU_DEP_1)
	v_mov_b32_e32 v131, v127
	ds_load_2addr_b64 v[126:129], v120 offset0:49 offset1:50
	v_pk_add_f32 v[52:53], v[52:53], v[130:131] neg_lo:[0,1] neg_hi:[0,1]
	s_wait_dscnt 0x0
	v_pk_mul_f32 v[130:131], v[126:127], v[118:119] op_sel:[0,1]
	v_pk_fma_f32 v[132:133], v[126:127], v[116:117], v[130:131] op_sel:[0,0,1] op_sel_hi:[1,1,0] neg_lo:[0,0,1] neg_hi:[0,0,1]
	v_pk_fma_f32 v[126:127], v[126:127], v[116:117], v[130:131] op_sel:[0,0,1] op_sel_hi:[1,0,0]
	v_dual_mul_f32 v130, v129, v119 :: v_dual_mov_b32 v126, v129
	s_delay_alu instid0(VALU_DEP_2) | instskip(NEXT) | instid1(VALU_DEP_2)
	v_dual_mov_b32 v133, v127 :: v_dual_mov_b32 v127, v128
	v_pk_fma_f32 v[130:131], v[128:129], v[48:49], v[130:131] op_sel_hi:[1,1,0] neg_lo:[0,0,1] neg_hi:[0,0,1]
	v_mul_f32_e32 v128, v129, v116
	s_delay_alu instid0(VALU_DEP_3) | instskip(NEXT) | instid1(VALU_DEP_2)
	v_pk_add_f32 v[50:51], v[50:51], v[132:133] neg_lo:[0,1] neg_hi:[0,1]
	v_pk_fma_f32 v[126:127], v[126:127], v[48:49], v[128:129] op_sel_hi:[1,1,0]
	s_delay_alu instid0(VALU_DEP_1) | instskip(SKIP_4) | instid1(VALU_DEP_1)
	v_mov_b32_e32 v131, v127
	ds_load_2addr_b64 v[126:129], v120 offset0:51 offset1:52
	v_pk_add_f32 v[8:9], v[8:9], v[130:131] neg_lo:[0,1] neg_hi:[0,1]
	s_wait_dscnt 0x0
	v_pk_mul_f32 v[130:131], v[126:127], v[118:119] op_sel:[0,1]
	v_pk_fma_f32 v[132:133], v[126:127], v[116:117], v[130:131] op_sel:[0,0,1] op_sel_hi:[1,1,0] neg_lo:[0,0,1] neg_hi:[0,0,1]
	v_pk_fma_f32 v[126:127], v[126:127], v[116:117], v[130:131] op_sel:[0,0,1] op_sel_hi:[1,0,0]
	s_delay_alu instid0(VALU_DEP_1) | instskip(SKIP_1) | instid1(VALU_DEP_1)
	v_mov_b32_e32 v133, v127
	v_pk_mul_f32 v[126:127], v[128:129], v[118:119] op_sel:[0,1]
	v_pk_fma_f32 v[130:131], v[128:129], v[116:117], v[126:127] op_sel:[0,0,1] op_sel_hi:[1,1,0] neg_lo:[0,0,1] neg_hi:[0,0,1]
	v_pk_fma_f32 v[126:127], v[128:129], v[116:117], v[126:127] op_sel:[0,0,1] op_sel_hi:[1,0,0]
	s_delay_alu instid0(VALU_DEP_1)
	v_mov_b32_e32 v131, v127
	ds_load_2addr_b64 v[126:129], v120 offset0:53 offset1:54
	v_pk_add_f32 v[30:31], v[30:31], v[132:133] neg_lo:[0,1] neg_hi:[0,1]
	v_pk_add_f32 v[34:35], v[34:35], v[130:131] neg_lo:[0,1] neg_hi:[0,1]
	s_wait_dscnt 0x0
	v_pk_mul_f32 v[130:131], v[126:127], v[118:119] op_sel:[0,1]
	v_mul_f32_e32 v118, v129, v119
	s_delay_alu instid0(VALU_DEP_2) | instskip(SKIP_2) | instid1(VALU_DEP_4)
	v_pk_fma_f32 v[132:133], v[126:127], v[116:117], v[130:131] op_sel:[0,0,1] op_sel_hi:[1,1,0] neg_lo:[0,0,1] neg_hi:[0,0,1]
	v_pk_fma_f32 v[126:127], v[126:127], v[116:117], v[130:131] op_sel:[0,0,1] op_sel_hi:[1,0,0]
	v_dual_mov_b32 v126, v129 :: v_dual_mul_f32 v116, v129, v116
	v_pk_fma_f32 v[118:119], v[128:129], v[48:49], v[118:119] op_sel_hi:[1,1,0] neg_lo:[0,0,1] neg_hi:[0,0,1]
	s_delay_alu instid0(VALU_DEP_3) | instskip(NEXT) | instid1(VALU_DEP_1)
	v_dual_mov_b32 v133, v127 :: v_dual_mov_b32 v127, v128
	v_pk_add_f32 v[24:25], v[24:25], v[132:133] neg_lo:[0,1] neg_hi:[0,1]
	s_delay_alu instid0(VALU_DEP_2) | instskip(NEXT) | instid1(VALU_DEP_1)
	v_pk_fma_f32 v[116:117], v[126:127], v[48:49], v[116:117] op_sel_hi:[1,1,0]
	v_mov_b32_e32 v119, v117
	s_delay_alu instid0(VALU_DEP_1)
	v_pk_add_f32 v[114:115], v[114:115], v[118:119] neg_lo:[0,1] neg_hi:[0,1]
.LBB108_146:
	s_or_b32 exec_lo, exec_lo, s0
	v_lshl_add_u32 v116, v124, 3, v120
	s_barrier_signal -1
	s_barrier_wait -1
	ds_store_b64 v116, v[46:47]
	s_wait_dscnt 0x0
	s_barrier_signal -1
	s_barrier_wait -1
	ds_load_b64 v[118:119], v120 offset:56
	v_mov_b32_e32 v116, 7
	s_cmp_lt_i32 s18, 9
	s_cbranch_scc1 .LBB108_149
; %bb.147:
	v_add3_u32 v117, v121, 0, 64
	v_mov_b32_e32 v116, 7
	s_mov_b32 s0, 8
.LBB108_148:                            ; =>This Inner Loop Header: Depth=1
	ds_load_b64 v[126:127], v117
	s_wait_dscnt 0x1
	v_cmp_gt_f32_e32 vcc_lo, 0, v118
	v_cndmask_b32_e64 v128, v118, -v118, vcc_lo
	v_cmp_gt_f32_e32 vcc_lo, 0, v119
	v_cndmask_b32_e64 v130, v119, -v119, vcc_lo
	s_wait_dscnt 0x0
	v_cmp_gt_f32_e32 vcc_lo, 0, v126
	v_cndmask_b32_e64 v129, v126, -v126, vcc_lo
	v_cmp_gt_f32_e32 vcc_lo, 0, v127
	v_cndmask_b32_e64 v131, v127, -v127, vcc_lo
	s_delay_alu instid0(VALU_DEP_1) | instskip(NEXT) | instid1(VALU_DEP_1)
	v_pk_add_f32 v[128:129], v[128:129], v[130:131]
	v_cmp_lt_f32_e32 vcc_lo, v128, v129
	v_dual_add_nc_u32 v117, 8, v117 :: v_dual_cndmask_b32 v119, v119, v127, vcc_lo
	v_cndmask_b32_e32 v118, v118, v126, vcc_lo
	v_cndmask_b32_e64 v116, v116, s0, vcc_lo
	s_add_co_i32 s0, s0, 1
	s_delay_alu instid0(SALU_CYCLE_1)
	s_cmp_lg_u32 s18, s0
	s_cbranch_scc1 .LBB108_148
.LBB108_149:
	s_wait_dscnt 0x0
	v_cmp_eq_f32_e32 vcc_lo, 0, v118
	v_cmp_eq_f32_e64 s0, 0, v119
	s_and_b32 s0, vcc_lo, s0
	s_delay_alu instid0(SALU_CYCLE_1) | instskip(NEXT) | instid1(SALU_CYCLE_1)
	s_and_saveexec_b32 s1, s0
	s_xor_b32 s0, exec_lo, s1
; %bb.150:
	v_cmp_ne_u32_e32 vcc_lo, 0, v122
	v_cndmask_b32_e32 v122, 8, v122, vcc_lo
; %bb.151:
	s_and_not1_saveexec_b32 s0, s0
	s_cbranch_execz .LBB108_157
; %bb.152:
	v_cmp_ngt_f32_e64 s1, |v118|, |v119|
	s_and_saveexec_b32 s12, s1
	s_delay_alu instid0(SALU_CYCLE_1)
	s_xor_b32 s1, exec_lo, s12
	s_cbranch_execz .LBB108_154
; %bb.153:
	v_div_scale_f32 v117, null, v119, v119, v118
	v_div_scale_f32 v127, vcc_lo, v118, v119, v118
	s_delay_alu instid0(VALU_DEP_2) | instskip(SKIP_1) | instid1(TRANS32_DEP_1)
	v_rcp_f32_e32 v125, v117
	v_nop
	v_fma_f32 v126, -v117, v125, 1.0
	s_delay_alu instid0(VALU_DEP_1) | instskip(NEXT) | instid1(VALU_DEP_1)
	v_fmac_f32_e32 v125, v126, v125
	v_mul_f32_e32 v126, v127, v125
	s_delay_alu instid0(VALU_DEP_1) | instskip(NEXT) | instid1(VALU_DEP_1)
	v_fma_f32 v128, -v117, v126, v127
	v_fmac_f32_e32 v126, v128, v125
	s_delay_alu instid0(VALU_DEP_1) | instskip(NEXT) | instid1(VALU_DEP_1)
	v_fma_f32 v117, -v117, v126, v127
	v_div_fmas_f32 v117, v117, v125, v126
	s_delay_alu instid0(VALU_DEP_1) | instskip(NEXT) | instid1(VALU_DEP_1)
	v_div_fixup_f32 v117, v117, v119, v118
	v_fmac_f32_e32 v119, v118, v117
	s_delay_alu instid0(VALU_DEP_1) | instskip(SKIP_1) | instid1(VALU_DEP_2)
	v_div_scale_f32 v118, null, v119, v119, 1.0
	v_div_scale_f32 v127, vcc_lo, 1.0, v119, 1.0
	v_rcp_f32_e32 v125, v118
	v_nop
	s_delay_alu instid0(TRANS32_DEP_1) | instskip(NEXT) | instid1(VALU_DEP_1)
	v_fma_f32 v126, -v118, v125, 1.0
	v_fmac_f32_e32 v125, v126, v125
	s_delay_alu instid0(VALU_DEP_1) | instskip(NEXT) | instid1(VALU_DEP_1)
	v_mul_f32_e32 v126, v127, v125
	v_fma_f32 v128, -v118, v126, v127
	s_delay_alu instid0(VALU_DEP_1) | instskip(NEXT) | instid1(VALU_DEP_1)
	v_fmac_f32_e32 v126, v128, v125
	v_fma_f32 v118, -v118, v126, v127
	s_delay_alu instid0(VALU_DEP_1) | instskip(NEXT) | instid1(VALU_DEP_1)
	v_div_fmas_f32 v118, v118, v125, v126
	v_div_fixup_f32 v119, v118, v119, 1.0
	s_delay_alu instid0(VALU_DEP_1)
	v_mul_f32_e32 v118, v117, v119
	v_xor_b32_e32 v119, 0x80000000, v119
.LBB108_154:
	s_and_not1_saveexec_b32 s1, s1
	s_cbranch_execz .LBB108_156
; %bb.155:
	s_delay_alu instid0(VALU_DEP_1) | instskip(SKIP_1) | instid1(VALU_DEP_2)
	v_div_scale_f32 v117, null, v118, v118, v119
	v_div_scale_f32 v127, vcc_lo, v119, v118, v119
	v_rcp_f32_e32 v125, v117
	v_nop
	s_delay_alu instid0(TRANS32_DEP_1) | instskip(NEXT) | instid1(VALU_DEP_1)
	v_fma_f32 v126, -v117, v125, 1.0
	v_fmac_f32_e32 v125, v126, v125
	s_delay_alu instid0(VALU_DEP_1) | instskip(NEXT) | instid1(VALU_DEP_1)
	v_mul_f32_e32 v126, v127, v125
	v_fma_f32 v128, -v117, v126, v127
	s_delay_alu instid0(VALU_DEP_1) | instskip(NEXT) | instid1(VALU_DEP_1)
	v_fmac_f32_e32 v126, v128, v125
	v_fma_f32 v117, -v117, v126, v127
	s_delay_alu instid0(VALU_DEP_1) | instskip(NEXT) | instid1(VALU_DEP_1)
	v_div_fmas_f32 v117, v117, v125, v126
	v_div_fixup_f32 v117, v117, v118, v119
	s_delay_alu instid0(VALU_DEP_1) | instskip(NEXT) | instid1(VALU_DEP_1)
	v_fmac_f32_e32 v118, v119, v117
	v_div_scale_f32 v119, null, v118, v118, 1.0
	s_delay_alu instid0(VALU_DEP_1) | instskip(SKIP_1) | instid1(TRANS32_DEP_1)
	v_rcp_f32_e32 v125, v119
	v_nop
	v_fma_f32 v126, -v119, v125, 1.0
	s_delay_alu instid0(VALU_DEP_1) | instskip(SKIP_1) | instid1(VALU_DEP_1)
	v_fmac_f32_e32 v125, v126, v125
	v_div_scale_f32 v126, vcc_lo, 1.0, v118, 1.0
	v_mul_f32_e32 v127, v126, v125
	s_delay_alu instid0(VALU_DEP_1) | instskip(NEXT) | instid1(VALU_DEP_1)
	v_fma_f32 v128, -v119, v127, v126
	v_fmac_f32_e32 v127, v128, v125
	s_delay_alu instid0(VALU_DEP_1) | instskip(NEXT) | instid1(VALU_DEP_1)
	v_fma_f32 v119, -v119, v127, v126
	v_div_fmas_f32 v119, v119, v125, v127
	s_delay_alu instid0(VALU_DEP_1) | instskip(NEXT) | instid1(VALU_DEP_1)
	v_div_fixup_f32 v118, v119, v118, 1.0
	v_mul_f32_e64 v119, v117, -v118
.LBB108_156:
	s_or_b32 exec_lo, exec_lo, s1
.LBB108_157:
	s_delay_alu instid0(SALU_CYCLE_1) | instskip(NEXT) | instid1(SALU_CYCLE_1)
	s_or_b32 exec_lo, exec_lo, s0
	s_mov_b32 s0, exec_lo
	v_cmpx_ne_u32_e64 v124, v116
	s_xor_b32 s0, exec_lo, s0
	s_cbranch_execz .LBB108_163
; %bb.158:
	s_mov_b32 s1, exec_lo
	v_cmpx_eq_u32_e32 7, v124
	s_cbranch_execz .LBB108_162
; %bb.159:
	v_cmp_ne_u32_e32 vcc_lo, 7, v116
	s_xor_b32 s12, s16, -1
	s_delay_alu instid0(SALU_CYCLE_1) | instskip(NEXT) | instid1(SALU_CYCLE_1)
	s_and_b32 s13, s12, vcc_lo
	s_and_saveexec_b32 s12, s13
	s_cbranch_execz .LBB108_161
; %bb.160:
	v_ashrrev_i32_e32 v117, 31, v116
	s_delay_alu instid0(VALU_DEP_1)
	v_lshl_add_u64 v[124:125], v[116:117], 2, v[4:5]
	s_clause 0x1
	global_load_b32 v117, v[124:125], off
	global_load_b32 v123, v[4:5], off offset:28
	s_wait_loadcnt 0x1
	global_store_b32 v[4:5], v117, off offset:28
	s_wait_loadcnt 0x0
	global_store_b32 v[124:125], v123, off
.LBB108_161:
	s_wait_xcnt 0x0
	s_or_b32 exec_lo, exec_lo, s12
	v_dual_mov_b32 v124, v116 :: v_dual_mov_b32 v123, v116
.LBB108_162:
	s_or_b32 exec_lo, exec_lo, s1
.LBB108_163:
	s_and_not1_saveexec_b32 s0, s0
	s_cbranch_execz .LBB108_165
; %bb.164:
	v_dual_mov_b32 v116, v104 :: v_dual_mov_b32 v117, v105
	v_dual_mov_b32 v124, v102 :: v_dual_mov_b32 v125, v103
	ds_store_2addr_b64 v120, v[116:117], v[124:125] offset0:8 offset1:9
	v_dual_mov_b32 v116, v60 :: v_dual_mov_b32 v117, v61
	v_dual_mov_b32 v124, v58 :: v_dual_mov_b32 v125, v59
	ds_store_2addr_b64 v120, v[116:117], v[124:125] offset0:10 offset1:11
	;; [unrolled: 3-line block ×23, first 2 shown]
	ds_store_b64 v120, v[114:115] offset:432
	v_mov_b32_e32 v124, 7
.LBB108_165:
	s_or_b32 exec_lo, exec_lo, s0
	s_delay_alu instid0(SALU_CYCLE_1)
	s_mov_b32 s0, exec_lo
	s_wait_storecnt_dscnt 0x0
	s_barrier_signal -1
	s_barrier_wait -1
	v_cmpx_lt_i32_e32 7, v124
	s_cbranch_execz .LBB108_167
; %bb.166:
	v_pk_mul_f32 v[126:127], v[118:119], v[46:47] op_sel:[1,1] op_sel_hi:[0,1]
	s_delay_alu instid0(VALU_DEP_1)
	v_pk_fma_f32 v[116:117], v[118:119], v[46:47], v[126:127] op_sel_hi:[1,0,1] neg_lo:[0,0,1] neg_hi:[0,0,1]
	v_pk_fma_f32 v[118:119], v[118:119], v[46:47], v[126:127] op_sel_hi:[1,0,1]
	ds_load_2addr_b64 v[126:129], v120 offset0:8 offset1:9
	v_dual_mov_b32 v46, v116 :: v_dual_mov_b32 v47, v119
	s_wait_dscnt 0x0
	v_pk_mul_f32 v[130:131], v[126:127], v[118:119] op_sel:[0,1]
	s_delay_alu instid0(VALU_DEP_1) | instskip(SKIP_1) | instid1(VALU_DEP_1)
	v_pk_fma_f32 v[132:133], v[126:127], v[116:117], v[130:131] op_sel:[0,0,1] op_sel_hi:[1,1,0] neg_lo:[0,0,1] neg_hi:[0,0,1]
	v_pk_fma_f32 v[126:127], v[126:127], v[116:117], v[130:131] op_sel:[0,0,1] op_sel_hi:[1,0,0]
	v_mov_b32_e32 v133, v127
	v_pk_mul_f32 v[126:127], v[128:129], v[118:119] op_sel:[0,1]
	s_delay_alu instid0(VALU_DEP_1) | instskip(SKIP_1) | instid1(VALU_DEP_1)
	v_pk_fma_f32 v[130:131], v[128:129], v[116:117], v[126:127] op_sel:[0,0,1] op_sel_hi:[1,1,0] neg_lo:[0,0,1] neg_hi:[0,0,1]
	v_pk_fma_f32 v[126:127], v[128:129], v[116:117], v[126:127] op_sel:[0,0,1] op_sel_hi:[1,0,0]
	v_mov_b32_e32 v131, v127
	ds_load_2addr_b64 v[126:129], v120 offset0:10 offset1:11
	v_pk_add_f32 v[104:105], v[104:105], v[132:133] neg_lo:[0,1] neg_hi:[0,1]
	v_pk_add_f32 v[102:103], v[102:103], v[130:131] neg_lo:[0,1] neg_hi:[0,1]
	s_wait_dscnt 0x0
	v_pk_mul_f32 v[130:131], v[126:127], v[118:119] op_sel:[0,1]
	s_delay_alu instid0(VALU_DEP_1) | instskip(SKIP_2) | instid1(VALU_DEP_2)
	v_pk_fma_f32 v[132:133], v[126:127], v[116:117], v[130:131] op_sel:[0,0,1] op_sel_hi:[1,1,0] neg_lo:[0,0,1] neg_hi:[0,0,1]
	v_pk_fma_f32 v[126:127], v[126:127], v[116:117], v[130:131] op_sel:[0,0,1] op_sel_hi:[1,0,0]
	v_dual_mul_f32 v130, v129, v119 :: v_dual_mov_b32 v126, v129
	v_dual_mov_b32 v133, v127 :: v_dual_mov_b32 v127, v128
	s_delay_alu instid0(VALU_DEP_2) | instskip(SKIP_1) | instid1(VALU_DEP_3)
	v_pk_fma_f32 v[130:131], v[128:129], v[46:47], v[130:131] op_sel_hi:[1,1,0] neg_lo:[0,0,1] neg_hi:[0,0,1]
	v_mul_f32_e32 v128, v129, v116
	v_pk_add_f32 v[60:61], v[60:61], v[132:133] neg_lo:[0,1] neg_hi:[0,1]
	s_delay_alu instid0(VALU_DEP_2) | instskip(NEXT) | instid1(VALU_DEP_1)
	v_pk_fma_f32 v[126:127], v[126:127], v[46:47], v[128:129] op_sel_hi:[1,1,0]
	v_mov_b32_e32 v131, v127
	ds_load_2addr_b64 v[126:129], v120 offset0:12 offset1:13
	v_pk_add_f32 v[58:59], v[58:59], v[130:131] neg_lo:[0,1] neg_hi:[0,1]
	s_wait_dscnt 0x0
	v_pk_mul_f32 v[130:131], v[126:127], v[118:119] op_sel:[0,1]
	s_delay_alu instid0(VALU_DEP_1) | instskip(SKIP_1) | instid1(VALU_DEP_1)
	v_pk_fma_f32 v[132:133], v[126:127], v[116:117], v[130:131] op_sel:[0,0,1] op_sel_hi:[1,1,0] neg_lo:[0,0,1] neg_hi:[0,0,1]
	v_pk_fma_f32 v[126:127], v[126:127], v[116:117], v[130:131] op_sel:[0,0,1] op_sel_hi:[1,0,0]
	v_mov_b32_e32 v133, v127
	v_pk_mul_f32 v[126:127], v[128:129], v[118:119] op_sel:[0,1]
	s_delay_alu instid0(VALU_DEP_1) | instskip(SKIP_1) | instid1(VALU_DEP_1)
	v_pk_fma_f32 v[130:131], v[128:129], v[116:117], v[126:127] op_sel:[0,0,1] op_sel_hi:[1,1,0] neg_lo:[0,0,1] neg_hi:[0,0,1]
	v_pk_fma_f32 v[126:127], v[128:129], v[116:117], v[126:127] op_sel:[0,0,1] op_sel_hi:[1,0,0]
	v_mov_b32_e32 v131, v127
	ds_load_2addr_b64 v[126:129], v120 offset0:14 offset1:15
	v_pk_add_f32 v[100:101], v[100:101], v[132:133] neg_lo:[0,1] neg_hi:[0,1]
	v_pk_add_f32 v[98:99], v[98:99], v[130:131] neg_lo:[0,1] neg_hi:[0,1]
	s_wait_dscnt 0x0
	v_pk_mul_f32 v[130:131], v[126:127], v[118:119] op_sel:[0,1]
	s_delay_alu instid0(VALU_DEP_1) | instskip(SKIP_1) | instid1(VALU_DEP_1)
	v_pk_fma_f32 v[132:133], v[126:127], v[116:117], v[130:131] op_sel:[0,0,1] op_sel_hi:[1,1,0] neg_lo:[0,0,1] neg_hi:[0,0,1]
	v_pk_fma_f32 v[126:127], v[126:127], v[116:117], v[130:131] op_sel:[0,0,1] op_sel_hi:[1,0,0]
	v_mov_b32_e32 v133, v127
	v_pk_mul_f32 v[126:127], v[128:129], v[118:119] op_sel:[0,1]
	s_delay_alu instid0(VALU_DEP_1) | instskip(SKIP_1) | instid1(VALU_DEP_1)
	v_pk_fma_f32 v[130:131], v[128:129], v[116:117], v[126:127] op_sel:[0,0,1] op_sel_hi:[1,1,0] neg_lo:[0,0,1] neg_hi:[0,0,1]
	v_pk_fma_f32 v[126:127], v[128:129], v[116:117], v[126:127] op_sel:[0,0,1] op_sel_hi:[1,0,0]
	v_mov_b32_e32 v131, v127
	ds_load_2addr_b64 v[126:129], v120 offset0:16 offset1:17
	v_pk_add_f32 v[56:57], v[56:57], v[132:133] neg_lo:[0,1] neg_hi:[0,1]
	v_pk_add_f32 v[54:55], v[54:55], v[130:131] neg_lo:[0,1] neg_hi:[0,1]
	s_wait_dscnt 0x0
	v_dual_mul_f32 v130, v127, v119 :: v_dual_mul_f32 v132, v127, v116
	s_delay_alu instid0(VALU_DEP_1) | instskip(NEXT) | instid1(VALU_DEP_2)
	v_pk_fma_f32 v[130:131], v[126:127], v[46:47], v[130:131] op_sel_hi:[1,1,0] neg_lo:[0,0,1] neg_hi:[0,0,1]
	v_pk_fma_f32 v[126:127], v[126:127], v[46:47], v[132:133] op_sel:[1,0,0] op_sel_hi:[0,1,0]
	s_delay_alu instid0(VALU_DEP_1) | instskip(SKIP_1) | instid1(VALU_DEP_2)
	v_mov_b32_e32 v131, v127
	v_pk_mul_f32 v[126:127], v[128:129], v[118:119] op_sel:[0,1]
	v_pk_add_f32 v[92:93], v[92:93], v[130:131] neg_lo:[0,1] neg_hi:[0,1]
	s_delay_alu instid0(VALU_DEP_2) | instskip(SKIP_1) | instid1(VALU_DEP_1)
	v_pk_fma_f32 v[130:131], v[128:129], v[116:117], v[126:127] op_sel:[0,0,1] op_sel_hi:[1,1,0] neg_lo:[0,0,1] neg_hi:[0,0,1]
	v_pk_fma_f32 v[126:127], v[128:129], v[116:117], v[126:127] op_sel:[0,0,1] op_sel_hi:[1,0,0]
	v_mov_b32_e32 v131, v127
	ds_load_2addr_b64 v[126:129], v120 offset0:18 offset1:19
	v_pk_add_f32 v[90:91], v[90:91], v[130:131] neg_lo:[0,1] neg_hi:[0,1]
	s_wait_dscnt 0x0
	v_pk_mul_f32 v[130:131], v[126:127], v[118:119] op_sel:[0,1]
	s_delay_alu instid0(VALU_DEP_1) | instskip(SKIP_1) | instid1(VALU_DEP_1)
	v_pk_fma_f32 v[132:133], v[126:127], v[116:117], v[130:131] op_sel:[0,0,1] op_sel_hi:[1,1,0] neg_lo:[0,0,1] neg_hi:[0,0,1]
	v_pk_fma_f32 v[126:127], v[126:127], v[116:117], v[130:131] op_sel:[0,0,1] op_sel_hi:[1,0,0]
	v_mov_b32_e32 v133, v127
	v_pk_mul_f32 v[126:127], v[128:129], v[118:119] op_sel:[0,1]
	s_delay_alu instid0(VALU_DEP_2) | instskip(NEXT) | instid1(VALU_DEP_2)
	v_pk_add_f32 v[44:45], v[44:45], v[132:133] neg_lo:[0,1] neg_hi:[0,1]
	v_pk_fma_f32 v[130:131], v[128:129], v[116:117], v[126:127] op_sel:[0,0,1] op_sel_hi:[1,1,0] neg_lo:[0,0,1] neg_hi:[0,0,1]
	v_pk_fma_f32 v[126:127], v[128:129], v[116:117], v[126:127] op_sel:[0,0,1] op_sel_hi:[1,0,0]
	s_delay_alu instid0(VALU_DEP_1) | instskip(SKIP_4) | instid1(VALU_DEP_1)
	v_mov_b32_e32 v131, v127
	ds_load_2addr_b64 v[126:129], v120 offset0:20 offset1:21
	v_pk_add_f32 v[42:43], v[42:43], v[130:131] neg_lo:[0,1] neg_hi:[0,1]
	s_wait_dscnt 0x0
	v_pk_mul_f32 v[130:131], v[126:127], v[118:119] op_sel:[0,1]
	v_pk_fma_f32 v[132:133], v[126:127], v[116:117], v[130:131] op_sel:[0,0,1] op_sel_hi:[1,1,0] neg_lo:[0,0,1] neg_hi:[0,0,1]
	v_pk_fma_f32 v[126:127], v[126:127], v[116:117], v[130:131] op_sel:[0,0,1] op_sel_hi:[1,0,0]
	v_dual_mul_f32 v130, v129, v119 :: v_dual_mov_b32 v126, v129
	s_delay_alu instid0(VALU_DEP_2) | instskip(NEXT) | instid1(VALU_DEP_2)
	v_dual_mov_b32 v133, v127 :: v_dual_mov_b32 v127, v128
	v_pk_fma_f32 v[130:131], v[128:129], v[46:47], v[130:131] op_sel_hi:[1,1,0] neg_lo:[0,0,1] neg_hi:[0,0,1]
	v_mul_f32_e32 v128, v129, v116
	s_delay_alu instid0(VALU_DEP_3) | instskip(NEXT) | instid1(VALU_DEP_2)
	v_pk_add_f32 v[88:89], v[88:89], v[132:133] neg_lo:[0,1] neg_hi:[0,1]
	v_pk_fma_f32 v[126:127], v[126:127], v[46:47], v[128:129] op_sel_hi:[1,1,0]
	s_delay_alu instid0(VALU_DEP_1) | instskip(SKIP_4) | instid1(VALU_DEP_1)
	v_mov_b32_e32 v131, v127
	ds_load_2addr_b64 v[126:129], v120 offset0:22 offset1:23
	v_pk_add_f32 v[86:87], v[86:87], v[130:131] neg_lo:[0,1] neg_hi:[0,1]
	s_wait_dscnt 0x0
	v_pk_mul_f32 v[130:131], v[126:127], v[118:119] op_sel:[0,1]
	v_pk_fma_f32 v[132:133], v[126:127], v[116:117], v[130:131] op_sel:[0,0,1] op_sel_hi:[1,1,0] neg_lo:[0,0,1] neg_hi:[0,0,1]
	v_pk_fma_f32 v[126:127], v[126:127], v[116:117], v[130:131] op_sel:[0,0,1] op_sel_hi:[1,0,0]
	s_delay_alu instid0(VALU_DEP_1) | instskip(SKIP_1) | instid1(VALU_DEP_1)
	v_mov_b32_e32 v133, v127
	v_pk_mul_f32 v[126:127], v[128:129], v[118:119] op_sel:[0,1]
	v_pk_fma_f32 v[130:131], v[128:129], v[116:117], v[126:127] op_sel:[0,0,1] op_sel_hi:[1,1,0] neg_lo:[0,0,1] neg_hi:[0,0,1]
	v_pk_fma_f32 v[126:127], v[128:129], v[116:117], v[126:127] op_sel:[0,0,1] op_sel_hi:[1,0,0]
	s_delay_alu instid0(VALU_DEP_1)
	v_mov_b32_e32 v131, v127
	ds_load_2addr_b64 v[126:129], v120 offset0:24 offset1:25
	v_pk_add_f32 v[40:41], v[40:41], v[132:133] neg_lo:[0,1] neg_hi:[0,1]
	v_pk_add_f32 v[38:39], v[38:39], v[130:131] neg_lo:[0,1] neg_hi:[0,1]
	s_wait_dscnt 0x0
	v_pk_mul_f32 v[130:131], v[126:127], v[118:119] op_sel:[0,1]
	s_delay_alu instid0(VALU_DEP_1) | instskip(SKIP_1) | instid1(VALU_DEP_1)
	v_pk_fma_f32 v[132:133], v[126:127], v[116:117], v[130:131] op_sel:[0,0,1] op_sel_hi:[1,1,0] neg_lo:[0,0,1] neg_hi:[0,0,1]
	v_pk_fma_f32 v[126:127], v[126:127], v[116:117], v[130:131] op_sel:[0,0,1] op_sel_hi:[1,0,0]
	v_mov_b32_e32 v133, v127
	v_pk_mul_f32 v[126:127], v[128:129], v[118:119] op_sel:[0,1]
	s_delay_alu instid0(VALU_DEP_1) | instskip(SKIP_1) | instid1(VALU_DEP_1)
	v_pk_fma_f32 v[130:131], v[128:129], v[116:117], v[126:127] op_sel:[0,0,1] op_sel_hi:[1,1,0] neg_lo:[0,0,1] neg_hi:[0,0,1]
	v_pk_fma_f32 v[126:127], v[128:129], v[116:117], v[126:127] op_sel:[0,0,1] op_sel_hi:[1,0,0]
	v_mov_b32_e32 v131, v127
	ds_load_2addr_b64 v[126:129], v120 offset0:26 offset1:27
	v_pk_add_f32 v[84:85], v[84:85], v[132:133] neg_lo:[0,1] neg_hi:[0,1]
	v_pk_add_f32 v[82:83], v[82:83], v[130:131] neg_lo:[0,1] neg_hi:[0,1]
	s_wait_dscnt 0x0
	v_dual_mul_f32 v130, v127, v119 :: v_dual_mul_f32 v132, v127, v116
	s_delay_alu instid0(VALU_DEP_1) | instskip(NEXT) | instid1(VALU_DEP_2)
	v_pk_fma_f32 v[130:131], v[126:127], v[46:47], v[130:131] op_sel_hi:[1,1,0] neg_lo:[0,0,1] neg_hi:[0,0,1]
	v_pk_fma_f32 v[126:127], v[126:127], v[46:47], v[132:133] op_sel:[1,0,0] op_sel_hi:[0,1,0]
	s_delay_alu instid0(VALU_DEP_1) | instskip(SKIP_1) | instid1(VALU_DEP_2)
	v_mov_b32_e32 v131, v127
	v_pk_mul_f32 v[126:127], v[128:129], v[118:119] op_sel:[0,1]
	v_pk_add_f32 v[36:37], v[36:37], v[130:131] neg_lo:[0,1] neg_hi:[0,1]
	s_delay_alu instid0(VALU_DEP_2) | instskip(SKIP_1) | instid1(VALU_DEP_1)
	v_pk_fma_f32 v[130:131], v[128:129], v[116:117], v[126:127] op_sel:[0,0,1] op_sel_hi:[1,1,0] neg_lo:[0,0,1] neg_hi:[0,0,1]
	v_pk_fma_f32 v[126:127], v[128:129], v[116:117], v[126:127] op_sel:[0,0,1] op_sel_hi:[1,0,0]
	v_mov_b32_e32 v131, v127
	ds_load_2addr_b64 v[126:129], v120 offset0:28 offset1:29
	v_pk_add_f32 v[32:33], v[32:33], v[130:131] neg_lo:[0,1] neg_hi:[0,1]
	s_wait_dscnt 0x0
	v_pk_mul_f32 v[130:131], v[126:127], v[118:119] op_sel:[0,1]
	s_delay_alu instid0(VALU_DEP_1) | instskip(SKIP_1) | instid1(VALU_DEP_1)
	v_pk_fma_f32 v[132:133], v[126:127], v[116:117], v[130:131] op_sel:[0,0,1] op_sel_hi:[1,1,0] neg_lo:[0,0,1] neg_hi:[0,0,1]
	v_pk_fma_f32 v[126:127], v[126:127], v[116:117], v[130:131] op_sel:[0,0,1] op_sel_hi:[1,0,0]
	v_mov_b32_e32 v133, v127
	v_pk_mul_f32 v[126:127], v[128:129], v[118:119] op_sel:[0,1]
	s_delay_alu instid0(VALU_DEP_2) | instskip(NEXT) | instid1(VALU_DEP_2)
	v_pk_add_f32 v[80:81], v[80:81], v[132:133] neg_lo:[0,1] neg_hi:[0,1]
	v_pk_fma_f32 v[130:131], v[128:129], v[116:117], v[126:127] op_sel:[0,0,1] op_sel_hi:[1,1,0] neg_lo:[0,0,1] neg_hi:[0,0,1]
	v_pk_fma_f32 v[126:127], v[128:129], v[116:117], v[126:127] op_sel:[0,0,1] op_sel_hi:[1,0,0]
	s_delay_alu instid0(VALU_DEP_1) | instskip(SKIP_4) | instid1(VALU_DEP_1)
	v_mov_b32_e32 v131, v127
	ds_load_2addr_b64 v[126:129], v120 offset0:30 offset1:31
	v_pk_add_f32 v[78:79], v[78:79], v[130:131] neg_lo:[0,1] neg_hi:[0,1]
	s_wait_dscnt 0x0
	v_pk_mul_f32 v[130:131], v[126:127], v[118:119] op_sel:[0,1]
	v_pk_fma_f32 v[132:133], v[126:127], v[116:117], v[130:131] op_sel:[0,0,1] op_sel_hi:[1,1,0] neg_lo:[0,0,1] neg_hi:[0,0,1]
	v_pk_fma_f32 v[126:127], v[126:127], v[116:117], v[130:131] op_sel:[0,0,1] op_sel_hi:[1,0,0]
	v_dual_mul_f32 v130, v129, v119 :: v_dual_mov_b32 v126, v129
	s_delay_alu instid0(VALU_DEP_2) | instskip(NEXT) | instid1(VALU_DEP_2)
	v_dual_mov_b32 v133, v127 :: v_dual_mov_b32 v127, v128
	v_pk_fma_f32 v[130:131], v[128:129], v[46:47], v[130:131] op_sel_hi:[1,1,0] neg_lo:[0,0,1] neg_hi:[0,0,1]
	v_mul_f32_e32 v128, v129, v116
	s_delay_alu instid0(VALU_DEP_3) | instskip(NEXT) | instid1(VALU_DEP_2)
	v_pk_add_f32 v[28:29], v[28:29], v[132:133] neg_lo:[0,1] neg_hi:[0,1]
	v_pk_fma_f32 v[126:127], v[126:127], v[46:47], v[128:129] op_sel_hi:[1,1,0]
	s_delay_alu instid0(VALU_DEP_1) | instskip(SKIP_4) | instid1(VALU_DEP_1)
	v_mov_b32_e32 v131, v127
	ds_load_2addr_b64 v[126:129], v120 offset0:32 offset1:33
	v_pk_add_f32 v[26:27], v[26:27], v[130:131] neg_lo:[0,1] neg_hi:[0,1]
	s_wait_dscnt 0x0
	v_pk_mul_f32 v[130:131], v[126:127], v[118:119] op_sel:[0,1]
	v_pk_fma_f32 v[132:133], v[126:127], v[116:117], v[130:131] op_sel:[0,0,1] op_sel_hi:[1,1,0] neg_lo:[0,0,1] neg_hi:[0,0,1]
	v_pk_fma_f32 v[126:127], v[126:127], v[116:117], v[130:131] op_sel:[0,0,1] op_sel_hi:[1,0,0]
	s_delay_alu instid0(VALU_DEP_1) | instskip(SKIP_1) | instid1(VALU_DEP_1)
	v_mov_b32_e32 v133, v127
	v_pk_mul_f32 v[126:127], v[128:129], v[118:119] op_sel:[0,1]
	v_pk_fma_f32 v[130:131], v[128:129], v[116:117], v[126:127] op_sel:[0,0,1] op_sel_hi:[1,1,0] neg_lo:[0,0,1] neg_hi:[0,0,1]
	v_pk_fma_f32 v[126:127], v[128:129], v[116:117], v[126:127] op_sel:[0,0,1] op_sel_hi:[1,0,0]
	s_delay_alu instid0(VALU_DEP_1)
	v_mov_b32_e32 v131, v127
	ds_load_2addr_b64 v[126:129], v120 offset0:34 offset1:35
	v_pk_add_f32 v[76:77], v[76:77], v[132:133] neg_lo:[0,1] neg_hi:[0,1]
	v_pk_add_f32 v[74:75], v[74:75], v[130:131] neg_lo:[0,1] neg_hi:[0,1]
	s_wait_dscnt 0x0
	v_pk_mul_f32 v[130:131], v[126:127], v[118:119] op_sel:[0,1]
	s_delay_alu instid0(VALU_DEP_1) | instskip(SKIP_1) | instid1(VALU_DEP_1)
	v_pk_fma_f32 v[132:133], v[126:127], v[116:117], v[130:131] op_sel:[0,0,1] op_sel_hi:[1,1,0] neg_lo:[0,0,1] neg_hi:[0,0,1]
	v_pk_fma_f32 v[126:127], v[126:127], v[116:117], v[130:131] op_sel:[0,0,1] op_sel_hi:[1,0,0]
	v_mov_b32_e32 v133, v127
	v_pk_mul_f32 v[126:127], v[128:129], v[118:119] op_sel:[0,1]
	s_delay_alu instid0(VALU_DEP_1) | instskip(SKIP_1) | instid1(VALU_DEP_1)
	v_pk_fma_f32 v[130:131], v[128:129], v[116:117], v[126:127] op_sel:[0,0,1] op_sel_hi:[1,1,0] neg_lo:[0,0,1] neg_hi:[0,0,1]
	v_pk_fma_f32 v[126:127], v[128:129], v[116:117], v[126:127] op_sel:[0,0,1] op_sel_hi:[1,0,0]
	v_mov_b32_e32 v131, v127
	ds_load_2addr_b64 v[126:129], v120 offset0:36 offset1:37
	v_pk_add_f32 v[22:23], v[22:23], v[132:133] neg_lo:[0,1] neg_hi:[0,1]
	v_pk_add_f32 v[20:21], v[20:21], v[130:131] neg_lo:[0,1] neg_hi:[0,1]
	s_wait_dscnt 0x0
	v_dual_mul_f32 v130, v127, v119 :: v_dual_mul_f32 v132, v127, v116
	s_delay_alu instid0(VALU_DEP_1) | instskip(NEXT) | instid1(VALU_DEP_2)
	v_pk_fma_f32 v[130:131], v[126:127], v[46:47], v[130:131] op_sel_hi:[1,1,0] neg_lo:[0,0,1] neg_hi:[0,0,1]
	v_pk_fma_f32 v[126:127], v[126:127], v[46:47], v[132:133] op_sel:[1,0,0] op_sel_hi:[0,1,0]
	s_delay_alu instid0(VALU_DEP_1) | instskip(SKIP_1) | instid1(VALU_DEP_2)
	v_mov_b32_e32 v131, v127
	v_pk_mul_f32 v[126:127], v[128:129], v[118:119] op_sel:[0,1]
	v_pk_add_f32 v[72:73], v[72:73], v[130:131] neg_lo:[0,1] neg_hi:[0,1]
	s_delay_alu instid0(VALU_DEP_2) | instskip(SKIP_1) | instid1(VALU_DEP_1)
	v_pk_fma_f32 v[130:131], v[128:129], v[116:117], v[126:127] op_sel:[0,0,1] op_sel_hi:[1,1,0] neg_lo:[0,0,1] neg_hi:[0,0,1]
	v_pk_fma_f32 v[126:127], v[128:129], v[116:117], v[126:127] op_sel:[0,0,1] op_sel_hi:[1,0,0]
	v_mov_b32_e32 v131, v127
	ds_load_2addr_b64 v[126:129], v120 offset0:38 offset1:39
	v_pk_add_f32 v[70:71], v[70:71], v[130:131] neg_lo:[0,1] neg_hi:[0,1]
	s_wait_dscnt 0x0
	v_pk_mul_f32 v[130:131], v[126:127], v[118:119] op_sel:[0,1]
	s_delay_alu instid0(VALU_DEP_1) | instskip(SKIP_1) | instid1(VALU_DEP_1)
	v_pk_fma_f32 v[132:133], v[126:127], v[116:117], v[130:131] op_sel:[0,0,1] op_sel_hi:[1,1,0] neg_lo:[0,0,1] neg_hi:[0,0,1]
	v_pk_fma_f32 v[126:127], v[126:127], v[116:117], v[130:131] op_sel:[0,0,1] op_sel_hi:[1,0,0]
	v_mov_b32_e32 v133, v127
	v_pk_mul_f32 v[126:127], v[128:129], v[118:119] op_sel:[0,1]
	s_delay_alu instid0(VALU_DEP_2) | instskip(NEXT) | instid1(VALU_DEP_2)
	v_pk_add_f32 v[18:19], v[18:19], v[132:133] neg_lo:[0,1] neg_hi:[0,1]
	v_pk_fma_f32 v[130:131], v[128:129], v[116:117], v[126:127] op_sel:[0,0,1] op_sel_hi:[1,1,0] neg_lo:[0,0,1] neg_hi:[0,0,1]
	v_pk_fma_f32 v[126:127], v[128:129], v[116:117], v[126:127] op_sel:[0,0,1] op_sel_hi:[1,0,0]
	s_delay_alu instid0(VALU_DEP_1) | instskip(SKIP_4) | instid1(VALU_DEP_1)
	v_mov_b32_e32 v131, v127
	ds_load_2addr_b64 v[126:129], v120 offset0:40 offset1:41
	v_pk_add_f32 v[16:17], v[16:17], v[130:131] neg_lo:[0,1] neg_hi:[0,1]
	s_wait_dscnt 0x0
	v_pk_mul_f32 v[130:131], v[126:127], v[118:119] op_sel:[0,1]
	v_pk_fma_f32 v[132:133], v[126:127], v[116:117], v[130:131] op_sel:[0,0,1] op_sel_hi:[1,1,0] neg_lo:[0,0,1] neg_hi:[0,0,1]
	v_pk_fma_f32 v[126:127], v[126:127], v[116:117], v[130:131] op_sel:[0,0,1] op_sel_hi:[1,0,0]
	v_dual_mul_f32 v130, v129, v119 :: v_dual_mov_b32 v126, v129
	s_delay_alu instid0(VALU_DEP_2) | instskip(NEXT) | instid1(VALU_DEP_2)
	v_dual_mov_b32 v133, v127 :: v_dual_mov_b32 v127, v128
	v_pk_fma_f32 v[130:131], v[128:129], v[46:47], v[130:131] op_sel_hi:[1,1,0] neg_lo:[0,0,1] neg_hi:[0,0,1]
	v_mul_f32_e32 v128, v129, v116
	s_delay_alu instid0(VALU_DEP_3) | instskip(NEXT) | instid1(VALU_DEP_2)
	v_pk_add_f32 v[68:69], v[68:69], v[132:133] neg_lo:[0,1] neg_hi:[0,1]
	v_pk_fma_f32 v[126:127], v[126:127], v[46:47], v[128:129] op_sel_hi:[1,1,0]
	s_delay_alu instid0(VALU_DEP_1) | instskip(SKIP_4) | instid1(VALU_DEP_1)
	v_mov_b32_e32 v131, v127
	ds_load_2addr_b64 v[126:129], v120 offset0:42 offset1:43
	v_pk_add_f32 v[66:67], v[66:67], v[130:131] neg_lo:[0,1] neg_hi:[0,1]
	s_wait_dscnt 0x0
	v_pk_mul_f32 v[130:131], v[126:127], v[118:119] op_sel:[0,1]
	v_pk_fma_f32 v[132:133], v[126:127], v[116:117], v[130:131] op_sel:[0,0,1] op_sel_hi:[1,1,0] neg_lo:[0,0,1] neg_hi:[0,0,1]
	v_pk_fma_f32 v[126:127], v[126:127], v[116:117], v[130:131] op_sel:[0,0,1] op_sel_hi:[1,0,0]
	s_delay_alu instid0(VALU_DEP_1) | instskip(SKIP_1) | instid1(VALU_DEP_1)
	v_mov_b32_e32 v133, v127
	v_pk_mul_f32 v[126:127], v[128:129], v[118:119] op_sel:[0,1]
	v_pk_fma_f32 v[130:131], v[128:129], v[116:117], v[126:127] op_sel:[0,0,1] op_sel_hi:[1,1,0] neg_lo:[0,0,1] neg_hi:[0,0,1]
	v_pk_fma_f32 v[126:127], v[128:129], v[116:117], v[126:127] op_sel:[0,0,1] op_sel_hi:[1,0,0]
	s_delay_alu instid0(VALU_DEP_1)
	v_mov_b32_e32 v131, v127
	ds_load_2addr_b64 v[126:129], v120 offset0:44 offset1:45
	v_pk_add_f32 v[14:15], v[14:15], v[132:133] neg_lo:[0,1] neg_hi:[0,1]
	v_pk_add_f32 v[12:13], v[12:13], v[130:131] neg_lo:[0,1] neg_hi:[0,1]
	s_wait_dscnt 0x0
	v_pk_mul_f32 v[130:131], v[126:127], v[118:119] op_sel:[0,1]
	s_delay_alu instid0(VALU_DEP_1) | instskip(SKIP_1) | instid1(VALU_DEP_1)
	v_pk_fma_f32 v[132:133], v[126:127], v[116:117], v[130:131] op_sel:[0,0,1] op_sel_hi:[1,1,0] neg_lo:[0,0,1] neg_hi:[0,0,1]
	v_pk_fma_f32 v[126:127], v[126:127], v[116:117], v[130:131] op_sel:[0,0,1] op_sel_hi:[1,0,0]
	v_mov_b32_e32 v133, v127
	v_pk_mul_f32 v[126:127], v[128:129], v[118:119] op_sel:[0,1]
	s_delay_alu instid0(VALU_DEP_1) | instskip(SKIP_1) | instid1(VALU_DEP_1)
	v_pk_fma_f32 v[130:131], v[128:129], v[116:117], v[126:127] op_sel:[0,0,1] op_sel_hi:[1,1,0] neg_lo:[0,0,1] neg_hi:[0,0,1]
	v_pk_fma_f32 v[126:127], v[128:129], v[116:117], v[126:127] op_sel:[0,0,1] op_sel_hi:[1,0,0]
	v_mov_b32_e32 v131, v127
	ds_load_2addr_b64 v[126:129], v120 offset0:46 offset1:47
	v_pk_add_f32 v[64:65], v[64:65], v[132:133] neg_lo:[0,1] neg_hi:[0,1]
	v_pk_add_f32 v[62:63], v[62:63], v[130:131] neg_lo:[0,1] neg_hi:[0,1]
	s_wait_dscnt 0x0
	v_dual_mul_f32 v130, v127, v119 :: v_dual_mul_f32 v132, v127, v116
	s_delay_alu instid0(VALU_DEP_1) | instskip(NEXT) | instid1(VALU_DEP_2)
	v_pk_fma_f32 v[130:131], v[126:127], v[46:47], v[130:131] op_sel_hi:[1,1,0] neg_lo:[0,0,1] neg_hi:[0,0,1]
	v_pk_fma_f32 v[126:127], v[126:127], v[46:47], v[132:133] op_sel:[1,0,0] op_sel_hi:[0,1,0]
	s_delay_alu instid0(VALU_DEP_1) | instskip(SKIP_1) | instid1(VALU_DEP_2)
	v_mov_b32_e32 v131, v127
	v_pk_mul_f32 v[126:127], v[128:129], v[118:119] op_sel:[0,1]
	v_pk_add_f32 v[10:11], v[10:11], v[130:131] neg_lo:[0,1] neg_hi:[0,1]
	s_delay_alu instid0(VALU_DEP_2) | instskip(SKIP_1) | instid1(VALU_DEP_1)
	v_pk_fma_f32 v[130:131], v[128:129], v[116:117], v[126:127] op_sel:[0,0,1] op_sel_hi:[1,1,0] neg_lo:[0,0,1] neg_hi:[0,0,1]
	v_pk_fma_f32 v[126:127], v[128:129], v[116:117], v[126:127] op_sel:[0,0,1] op_sel_hi:[1,0,0]
	v_mov_b32_e32 v131, v127
	ds_load_2addr_b64 v[126:129], v120 offset0:48 offset1:49
	v_pk_add_f32 v[6:7], v[6:7], v[130:131] neg_lo:[0,1] neg_hi:[0,1]
	s_wait_dscnt 0x0
	v_pk_mul_f32 v[130:131], v[126:127], v[118:119] op_sel:[0,1]
	s_delay_alu instid0(VALU_DEP_1) | instskip(SKIP_1) | instid1(VALU_DEP_1)
	v_pk_fma_f32 v[132:133], v[126:127], v[116:117], v[130:131] op_sel:[0,0,1] op_sel_hi:[1,1,0] neg_lo:[0,0,1] neg_hi:[0,0,1]
	v_pk_fma_f32 v[126:127], v[126:127], v[116:117], v[130:131] op_sel:[0,0,1] op_sel_hi:[1,0,0]
	v_mov_b32_e32 v133, v127
	v_pk_mul_f32 v[126:127], v[128:129], v[118:119] op_sel:[0,1]
	s_delay_alu instid0(VALU_DEP_2) | instskip(NEXT) | instid1(VALU_DEP_2)
	v_pk_add_f32 v[52:53], v[52:53], v[132:133] neg_lo:[0,1] neg_hi:[0,1]
	v_pk_fma_f32 v[130:131], v[128:129], v[116:117], v[126:127] op_sel:[0,0,1] op_sel_hi:[1,1,0] neg_lo:[0,0,1] neg_hi:[0,0,1]
	v_pk_fma_f32 v[126:127], v[128:129], v[116:117], v[126:127] op_sel:[0,0,1] op_sel_hi:[1,0,0]
	s_delay_alu instid0(VALU_DEP_1) | instskip(SKIP_4) | instid1(VALU_DEP_1)
	v_mov_b32_e32 v131, v127
	ds_load_2addr_b64 v[126:129], v120 offset0:50 offset1:51
	v_pk_add_f32 v[50:51], v[50:51], v[130:131] neg_lo:[0,1] neg_hi:[0,1]
	s_wait_dscnt 0x0
	v_pk_mul_f32 v[130:131], v[126:127], v[118:119] op_sel:[0,1]
	v_pk_fma_f32 v[132:133], v[126:127], v[116:117], v[130:131] op_sel:[0,0,1] op_sel_hi:[1,1,0] neg_lo:[0,0,1] neg_hi:[0,0,1]
	v_pk_fma_f32 v[126:127], v[126:127], v[116:117], v[130:131] op_sel:[0,0,1] op_sel_hi:[1,0,0]
	v_dual_mul_f32 v130, v129, v119 :: v_dual_mov_b32 v126, v129
	s_delay_alu instid0(VALU_DEP_2) | instskip(NEXT) | instid1(VALU_DEP_2)
	v_dual_mov_b32 v133, v127 :: v_dual_mov_b32 v127, v128
	v_pk_fma_f32 v[130:131], v[128:129], v[46:47], v[130:131] op_sel_hi:[1,1,0] neg_lo:[0,0,1] neg_hi:[0,0,1]
	v_mul_f32_e32 v128, v129, v116
	s_delay_alu instid0(VALU_DEP_3) | instskip(NEXT) | instid1(VALU_DEP_2)
	v_pk_add_f32 v[8:9], v[8:9], v[132:133] neg_lo:[0,1] neg_hi:[0,1]
	v_pk_fma_f32 v[126:127], v[126:127], v[46:47], v[128:129] op_sel_hi:[1,1,0]
	s_delay_alu instid0(VALU_DEP_1) | instskip(SKIP_4) | instid1(VALU_DEP_1)
	v_mov_b32_e32 v131, v127
	ds_load_2addr_b64 v[126:129], v120 offset0:52 offset1:53
	v_pk_add_f32 v[30:31], v[30:31], v[130:131] neg_lo:[0,1] neg_hi:[0,1]
	s_wait_dscnt 0x0
	v_pk_mul_f32 v[130:131], v[126:127], v[118:119] op_sel:[0,1]
	v_pk_fma_f32 v[132:133], v[126:127], v[116:117], v[130:131] op_sel:[0,0,1] op_sel_hi:[1,1,0] neg_lo:[0,0,1] neg_hi:[0,0,1]
	v_pk_fma_f32 v[126:127], v[126:127], v[116:117], v[130:131] op_sel:[0,0,1] op_sel_hi:[1,0,0]
	s_delay_alu instid0(VALU_DEP_1) | instskip(SKIP_1) | instid1(VALU_DEP_1)
	v_mov_b32_e32 v133, v127
	v_pk_mul_f32 v[126:127], v[128:129], v[118:119] op_sel:[0,1]
	v_pk_fma_f32 v[130:131], v[128:129], v[116:117], v[126:127] op_sel:[0,0,1] op_sel_hi:[1,1,0] neg_lo:[0,0,1] neg_hi:[0,0,1]
	v_pk_fma_f32 v[126:127], v[128:129], v[116:117], v[126:127] op_sel:[0,0,1] op_sel_hi:[1,0,0]
	s_delay_alu instid0(VALU_DEP_1)
	v_mov_b32_e32 v131, v127
	ds_load_b64 v[126:127], v120 offset:432
	v_pk_add_f32 v[34:35], v[34:35], v[132:133] neg_lo:[0,1] neg_hi:[0,1]
	v_pk_add_f32 v[24:25], v[24:25], v[130:131] neg_lo:[0,1] neg_hi:[0,1]
	s_wait_dscnt 0x0
	v_pk_mul_f32 v[118:119], v[126:127], v[118:119] op_sel:[0,1]
	s_delay_alu instid0(VALU_DEP_1) | instskip(SKIP_1) | instid1(VALU_DEP_1)
	v_pk_fma_f32 v[128:129], v[126:127], v[116:117], v[118:119] op_sel:[0,0,1] op_sel_hi:[1,1,0] neg_lo:[0,0,1] neg_hi:[0,0,1]
	v_pk_fma_f32 v[116:117], v[126:127], v[116:117], v[118:119] op_sel:[0,0,1] op_sel_hi:[1,0,0]
	v_mov_b32_e32 v129, v117
	s_delay_alu instid0(VALU_DEP_1)
	v_pk_add_f32 v[114:115], v[114:115], v[128:129] neg_lo:[0,1] neg_hi:[0,1]
.LBB108_167:
	s_or_b32 exec_lo, exec_lo, s0
	v_lshl_add_u32 v116, v124, 3, v120
	s_barrier_signal -1
	s_barrier_wait -1
	ds_store_b64 v116, v[104:105]
	s_wait_dscnt 0x0
	s_barrier_signal -1
	s_barrier_wait -1
	ds_load_b64 v[118:119], v120 offset:64
	v_mov_b32_e32 v116, 8
	s_cmp_lt_i32 s18, 10
	s_cbranch_scc1 .LBB108_170
; %bb.168:
	v_add3_u32 v117, v121, 0, 0x48
	v_mov_b32_e32 v116, 8
	s_mov_b32 s0, 9
.LBB108_169:                            ; =>This Inner Loop Header: Depth=1
	ds_load_b64 v[126:127], v117
	s_wait_dscnt 0x1
	v_cmp_gt_f32_e32 vcc_lo, 0, v118
	v_cndmask_b32_e64 v128, v118, -v118, vcc_lo
	v_cmp_gt_f32_e32 vcc_lo, 0, v119
	v_cndmask_b32_e64 v130, v119, -v119, vcc_lo
	s_wait_dscnt 0x0
	v_cmp_gt_f32_e32 vcc_lo, 0, v126
	v_cndmask_b32_e64 v129, v126, -v126, vcc_lo
	v_cmp_gt_f32_e32 vcc_lo, 0, v127
	v_cndmask_b32_e64 v131, v127, -v127, vcc_lo
	s_delay_alu instid0(VALU_DEP_1) | instskip(NEXT) | instid1(VALU_DEP_1)
	v_pk_add_f32 v[128:129], v[128:129], v[130:131]
	v_cmp_lt_f32_e32 vcc_lo, v128, v129
	v_dual_add_nc_u32 v117, 8, v117 :: v_dual_cndmask_b32 v119, v119, v127, vcc_lo
	v_cndmask_b32_e32 v118, v118, v126, vcc_lo
	v_cndmask_b32_e64 v116, v116, s0, vcc_lo
	s_add_co_i32 s0, s0, 1
	s_delay_alu instid0(SALU_CYCLE_1)
	s_cmp_lg_u32 s18, s0
	s_cbranch_scc1 .LBB108_169
.LBB108_170:
	s_wait_dscnt 0x0
	v_cmp_eq_f32_e32 vcc_lo, 0, v118
	v_cmp_eq_f32_e64 s0, 0, v119
	s_and_b32 s0, vcc_lo, s0
	s_delay_alu instid0(SALU_CYCLE_1) | instskip(NEXT) | instid1(SALU_CYCLE_1)
	s_and_saveexec_b32 s1, s0
	s_xor_b32 s0, exec_lo, s1
; %bb.171:
	v_cmp_ne_u32_e32 vcc_lo, 0, v122
	v_cndmask_b32_e32 v122, 9, v122, vcc_lo
; %bb.172:
	s_and_not1_saveexec_b32 s0, s0
	s_cbranch_execz .LBB108_178
; %bb.173:
	v_cmp_ngt_f32_e64 s1, |v118|, |v119|
	s_and_saveexec_b32 s12, s1
	s_delay_alu instid0(SALU_CYCLE_1)
	s_xor_b32 s1, exec_lo, s12
	s_cbranch_execz .LBB108_175
; %bb.174:
	v_div_scale_f32 v117, null, v119, v119, v118
	v_div_scale_f32 v127, vcc_lo, v118, v119, v118
	s_delay_alu instid0(VALU_DEP_2) | instskip(SKIP_1) | instid1(TRANS32_DEP_1)
	v_rcp_f32_e32 v125, v117
	v_nop
	v_fma_f32 v126, -v117, v125, 1.0
	s_delay_alu instid0(VALU_DEP_1) | instskip(NEXT) | instid1(VALU_DEP_1)
	v_fmac_f32_e32 v125, v126, v125
	v_mul_f32_e32 v126, v127, v125
	s_delay_alu instid0(VALU_DEP_1) | instskip(NEXT) | instid1(VALU_DEP_1)
	v_fma_f32 v128, -v117, v126, v127
	v_fmac_f32_e32 v126, v128, v125
	s_delay_alu instid0(VALU_DEP_1) | instskip(NEXT) | instid1(VALU_DEP_1)
	v_fma_f32 v117, -v117, v126, v127
	v_div_fmas_f32 v117, v117, v125, v126
	s_delay_alu instid0(VALU_DEP_1) | instskip(NEXT) | instid1(VALU_DEP_1)
	v_div_fixup_f32 v117, v117, v119, v118
	v_fmac_f32_e32 v119, v118, v117
	s_delay_alu instid0(VALU_DEP_1) | instskip(SKIP_1) | instid1(VALU_DEP_2)
	v_div_scale_f32 v118, null, v119, v119, 1.0
	v_div_scale_f32 v127, vcc_lo, 1.0, v119, 1.0
	v_rcp_f32_e32 v125, v118
	v_nop
	s_delay_alu instid0(TRANS32_DEP_1) | instskip(NEXT) | instid1(VALU_DEP_1)
	v_fma_f32 v126, -v118, v125, 1.0
	v_fmac_f32_e32 v125, v126, v125
	s_delay_alu instid0(VALU_DEP_1) | instskip(NEXT) | instid1(VALU_DEP_1)
	v_mul_f32_e32 v126, v127, v125
	v_fma_f32 v128, -v118, v126, v127
	s_delay_alu instid0(VALU_DEP_1) | instskip(NEXT) | instid1(VALU_DEP_1)
	v_fmac_f32_e32 v126, v128, v125
	v_fma_f32 v118, -v118, v126, v127
	s_delay_alu instid0(VALU_DEP_1) | instskip(NEXT) | instid1(VALU_DEP_1)
	v_div_fmas_f32 v118, v118, v125, v126
	v_div_fixup_f32 v119, v118, v119, 1.0
	s_delay_alu instid0(VALU_DEP_1)
	v_mul_f32_e32 v118, v117, v119
	v_xor_b32_e32 v119, 0x80000000, v119
.LBB108_175:
	s_and_not1_saveexec_b32 s1, s1
	s_cbranch_execz .LBB108_177
; %bb.176:
	s_delay_alu instid0(VALU_DEP_1) | instskip(SKIP_1) | instid1(VALU_DEP_2)
	v_div_scale_f32 v117, null, v118, v118, v119
	v_div_scale_f32 v127, vcc_lo, v119, v118, v119
	v_rcp_f32_e32 v125, v117
	v_nop
	s_delay_alu instid0(TRANS32_DEP_1) | instskip(NEXT) | instid1(VALU_DEP_1)
	v_fma_f32 v126, -v117, v125, 1.0
	v_fmac_f32_e32 v125, v126, v125
	s_delay_alu instid0(VALU_DEP_1) | instskip(NEXT) | instid1(VALU_DEP_1)
	v_mul_f32_e32 v126, v127, v125
	v_fma_f32 v128, -v117, v126, v127
	s_delay_alu instid0(VALU_DEP_1) | instskip(NEXT) | instid1(VALU_DEP_1)
	v_fmac_f32_e32 v126, v128, v125
	v_fma_f32 v117, -v117, v126, v127
	s_delay_alu instid0(VALU_DEP_1) | instskip(NEXT) | instid1(VALU_DEP_1)
	v_div_fmas_f32 v117, v117, v125, v126
	v_div_fixup_f32 v117, v117, v118, v119
	s_delay_alu instid0(VALU_DEP_1) | instskip(NEXT) | instid1(VALU_DEP_1)
	v_fmac_f32_e32 v118, v119, v117
	v_div_scale_f32 v119, null, v118, v118, 1.0
	s_delay_alu instid0(VALU_DEP_1) | instskip(SKIP_1) | instid1(TRANS32_DEP_1)
	v_rcp_f32_e32 v125, v119
	v_nop
	v_fma_f32 v126, -v119, v125, 1.0
	s_delay_alu instid0(VALU_DEP_1) | instskip(SKIP_1) | instid1(VALU_DEP_1)
	v_fmac_f32_e32 v125, v126, v125
	v_div_scale_f32 v126, vcc_lo, 1.0, v118, 1.0
	v_mul_f32_e32 v127, v126, v125
	s_delay_alu instid0(VALU_DEP_1) | instskip(NEXT) | instid1(VALU_DEP_1)
	v_fma_f32 v128, -v119, v127, v126
	v_fmac_f32_e32 v127, v128, v125
	s_delay_alu instid0(VALU_DEP_1) | instskip(NEXT) | instid1(VALU_DEP_1)
	v_fma_f32 v119, -v119, v127, v126
	v_div_fmas_f32 v119, v119, v125, v127
	s_delay_alu instid0(VALU_DEP_1) | instskip(NEXT) | instid1(VALU_DEP_1)
	v_div_fixup_f32 v118, v119, v118, 1.0
	v_mul_f32_e64 v119, v117, -v118
.LBB108_177:
	s_or_b32 exec_lo, exec_lo, s1
.LBB108_178:
	s_delay_alu instid0(SALU_CYCLE_1) | instskip(NEXT) | instid1(SALU_CYCLE_1)
	s_or_b32 exec_lo, exec_lo, s0
	s_mov_b32 s0, exec_lo
	v_cmpx_ne_u32_e64 v124, v116
	s_xor_b32 s0, exec_lo, s0
	s_cbranch_execz .LBB108_184
; %bb.179:
	s_mov_b32 s1, exec_lo
	v_cmpx_eq_u32_e32 8, v124
	s_cbranch_execz .LBB108_183
; %bb.180:
	v_cmp_ne_u32_e32 vcc_lo, 8, v116
	s_xor_b32 s12, s16, -1
	s_delay_alu instid0(SALU_CYCLE_1) | instskip(NEXT) | instid1(SALU_CYCLE_1)
	s_and_b32 s13, s12, vcc_lo
	s_and_saveexec_b32 s12, s13
	s_cbranch_execz .LBB108_182
; %bb.181:
	v_ashrrev_i32_e32 v117, 31, v116
	s_delay_alu instid0(VALU_DEP_1)
	v_lshl_add_u64 v[124:125], v[116:117], 2, v[4:5]
	s_clause 0x1
	global_load_b32 v117, v[124:125], off
	global_load_b32 v123, v[4:5], off offset:32
	s_wait_loadcnt 0x1
	global_store_b32 v[4:5], v117, off offset:32
	s_wait_loadcnt 0x0
	global_store_b32 v[124:125], v123, off
.LBB108_182:
	s_wait_xcnt 0x0
	s_or_b32 exec_lo, exec_lo, s12
	v_dual_mov_b32 v124, v116 :: v_dual_mov_b32 v123, v116
.LBB108_183:
	s_or_b32 exec_lo, exec_lo, s1
.LBB108_184:
	s_and_not1_saveexec_b32 s0, s0
	s_cbranch_execz .LBB108_186
; %bb.185:
	v_mov_b32_e32 v124, 8
	ds_store_2addr_b64 v120, v[102:103], v[60:61] offset0:9 offset1:10
	ds_store_2addr_b64 v120, v[58:59], v[100:101] offset0:11 offset1:12
	;; [unrolled: 1-line block ×23, first 2 shown]
.LBB108_186:
	s_or_b32 exec_lo, exec_lo, s0
	s_delay_alu instid0(SALU_CYCLE_1)
	s_mov_b32 s0, exec_lo
	s_wait_storecnt_dscnt 0x0
	s_barrier_signal -1
	s_barrier_wait -1
	v_cmpx_lt_i32_e32 8, v124
	s_cbranch_execz .LBB108_188
; %bb.187:
	v_pk_mul_f32 v[126:127], v[118:119], v[104:105] op_sel:[1,1] op_sel_hi:[0,1]
	s_delay_alu instid0(VALU_DEP_1)
	v_pk_fma_f32 v[116:117], v[118:119], v[104:105], v[126:127] op_sel_hi:[1,0,1] neg_lo:[0,0,1] neg_hi:[0,0,1]
	v_pk_fma_f32 v[118:119], v[118:119], v[104:105], v[126:127] op_sel_hi:[1,0,1]
	ds_load_2addr_b64 v[126:129], v120 offset0:9 offset1:10
	v_dual_mov_b32 v104, v116 :: v_dual_mov_b32 v105, v119
	s_wait_dscnt 0x0
	v_pk_mul_f32 v[130:131], v[126:127], v[118:119] op_sel:[0,1]
	s_delay_alu instid0(VALU_DEP_1) | instskip(SKIP_1) | instid1(VALU_DEP_1)
	v_pk_fma_f32 v[132:133], v[126:127], v[116:117], v[130:131] op_sel:[0,0,1] op_sel_hi:[1,1,0] neg_lo:[0,0,1] neg_hi:[0,0,1]
	v_pk_fma_f32 v[126:127], v[126:127], v[116:117], v[130:131] op_sel:[0,0,1] op_sel_hi:[1,0,0]
	v_mov_b32_e32 v133, v127
	v_pk_mul_f32 v[126:127], v[128:129], v[118:119] op_sel:[0,1]
	s_delay_alu instid0(VALU_DEP_1) | instskip(SKIP_1) | instid1(VALU_DEP_1)
	v_pk_fma_f32 v[130:131], v[128:129], v[116:117], v[126:127] op_sel:[0,0,1] op_sel_hi:[1,1,0] neg_lo:[0,0,1] neg_hi:[0,0,1]
	v_pk_fma_f32 v[126:127], v[128:129], v[116:117], v[126:127] op_sel:[0,0,1] op_sel_hi:[1,0,0]
	v_mov_b32_e32 v131, v127
	ds_load_2addr_b64 v[126:129], v120 offset0:11 offset1:12
	v_pk_add_f32 v[102:103], v[102:103], v[132:133] neg_lo:[0,1] neg_hi:[0,1]
	v_pk_add_f32 v[60:61], v[60:61], v[130:131] neg_lo:[0,1] neg_hi:[0,1]
	s_wait_dscnt 0x0
	v_pk_mul_f32 v[130:131], v[126:127], v[118:119] op_sel:[0,1]
	s_delay_alu instid0(VALU_DEP_1) | instskip(SKIP_2) | instid1(VALU_DEP_2)
	v_pk_fma_f32 v[132:133], v[126:127], v[116:117], v[130:131] op_sel:[0,0,1] op_sel_hi:[1,1,0] neg_lo:[0,0,1] neg_hi:[0,0,1]
	v_pk_fma_f32 v[126:127], v[126:127], v[116:117], v[130:131] op_sel:[0,0,1] op_sel_hi:[1,0,0]
	v_dual_mul_f32 v130, v129, v119 :: v_dual_mov_b32 v126, v129
	v_dual_mov_b32 v133, v127 :: v_dual_mov_b32 v127, v128
	s_delay_alu instid0(VALU_DEP_2) | instskip(SKIP_1) | instid1(VALU_DEP_3)
	v_pk_fma_f32 v[130:131], v[128:129], v[104:105], v[130:131] op_sel_hi:[1,1,0] neg_lo:[0,0,1] neg_hi:[0,0,1]
	v_mul_f32_e32 v128, v129, v116
	v_pk_add_f32 v[58:59], v[58:59], v[132:133] neg_lo:[0,1] neg_hi:[0,1]
	s_delay_alu instid0(VALU_DEP_2) | instskip(NEXT) | instid1(VALU_DEP_1)
	v_pk_fma_f32 v[126:127], v[126:127], v[104:105], v[128:129] op_sel_hi:[1,1,0]
	v_mov_b32_e32 v131, v127
	ds_load_2addr_b64 v[126:129], v120 offset0:13 offset1:14
	v_pk_add_f32 v[100:101], v[100:101], v[130:131] neg_lo:[0,1] neg_hi:[0,1]
	s_wait_dscnt 0x0
	v_pk_mul_f32 v[130:131], v[126:127], v[118:119] op_sel:[0,1]
	s_delay_alu instid0(VALU_DEP_1) | instskip(SKIP_1) | instid1(VALU_DEP_1)
	v_pk_fma_f32 v[132:133], v[126:127], v[116:117], v[130:131] op_sel:[0,0,1] op_sel_hi:[1,1,0] neg_lo:[0,0,1] neg_hi:[0,0,1]
	v_pk_fma_f32 v[126:127], v[126:127], v[116:117], v[130:131] op_sel:[0,0,1] op_sel_hi:[1,0,0]
	v_mov_b32_e32 v133, v127
	v_pk_mul_f32 v[126:127], v[128:129], v[118:119] op_sel:[0,1]
	s_delay_alu instid0(VALU_DEP_1) | instskip(SKIP_1) | instid1(VALU_DEP_1)
	v_pk_fma_f32 v[130:131], v[128:129], v[116:117], v[126:127] op_sel:[0,0,1] op_sel_hi:[1,1,0] neg_lo:[0,0,1] neg_hi:[0,0,1]
	v_pk_fma_f32 v[126:127], v[128:129], v[116:117], v[126:127] op_sel:[0,0,1] op_sel_hi:[1,0,0]
	v_mov_b32_e32 v131, v127
	ds_load_2addr_b64 v[126:129], v120 offset0:15 offset1:16
	v_pk_add_f32 v[98:99], v[98:99], v[132:133] neg_lo:[0,1] neg_hi:[0,1]
	v_pk_add_f32 v[56:57], v[56:57], v[130:131] neg_lo:[0,1] neg_hi:[0,1]
	s_wait_dscnt 0x0
	v_pk_mul_f32 v[130:131], v[126:127], v[118:119] op_sel:[0,1]
	s_delay_alu instid0(VALU_DEP_1) | instskip(SKIP_1) | instid1(VALU_DEP_1)
	v_pk_fma_f32 v[132:133], v[126:127], v[116:117], v[130:131] op_sel:[0,0,1] op_sel_hi:[1,1,0] neg_lo:[0,0,1] neg_hi:[0,0,1]
	v_pk_fma_f32 v[126:127], v[126:127], v[116:117], v[130:131] op_sel:[0,0,1] op_sel_hi:[1,0,0]
	v_mov_b32_e32 v133, v127
	v_pk_mul_f32 v[126:127], v[128:129], v[118:119] op_sel:[0,1]
	s_delay_alu instid0(VALU_DEP_1) | instskip(SKIP_1) | instid1(VALU_DEP_1)
	v_pk_fma_f32 v[130:131], v[128:129], v[116:117], v[126:127] op_sel:[0,0,1] op_sel_hi:[1,1,0] neg_lo:[0,0,1] neg_hi:[0,0,1]
	v_pk_fma_f32 v[126:127], v[128:129], v[116:117], v[126:127] op_sel:[0,0,1] op_sel_hi:[1,0,0]
	v_mov_b32_e32 v131, v127
	ds_load_2addr_b64 v[126:129], v120 offset0:17 offset1:18
	v_pk_add_f32 v[54:55], v[54:55], v[132:133] neg_lo:[0,1] neg_hi:[0,1]
	v_pk_add_f32 v[92:93], v[92:93], v[130:131] neg_lo:[0,1] neg_hi:[0,1]
	s_wait_dscnt 0x0
	v_dual_mul_f32 v130, v127, v119 :: v_dual_mul_f32 v132, v127, v116
	s_delay_alu instid0(VALU_DEP_1) | instskip(NEXT) | instid1(VALU_DEP_2)
	v_pk_fma_f32 v[130:131], v[126:127], v[104:105], v[130:131] op_sel_hi:[1,1,0] neg_lo:[0,0,1] neg_hi:[0,0,1]
	v_pk_fma_f32 v[126:127], v[126:127], v[104:105], v[132:133] op_sel:[1,0,0] op_sel_hi:[0,1,0]
	s_delay_alu instid0(VALU_DEP_1) | instskip(SKIP_1) | instid1(VALU_DEP_2)
	v_mov_b32_e32 v131, v127
	v_pk_mul_f32 v[126:127], v[128:129], v[118:119] op_sel:[0,1]
	v_pk_add_f32 v[90:91], v[90:91], v[130:131] neg_lo:[0,1] neg_hi:[0,1]
	s_delay_alu instid0(VALU_DEP_2) | instskip(SKIP_1) | instid1(VALU_DEP_1)
	v_pk_fma_f32 v[130:131], v[128:129], v[116:117], v[126:127] op_sel:[0,0,1] op_sel_hi:[1,1,0] neg_lo:[0,0,1] neg_hi:[0,0,1]
	v_pk_fma_f32 v[126:127], v[128:129], v[116:117], v[126:127] op_sel:[0,0,1] op_sel_hi:[1,0,0]
	v_mov_b32_e32 v131, v127
	ds_load_2addr_b64 v[126:129], v120 offset0:19 offset1:20
	v_pk_add_f32 v[44:45], v[44:45], v[130:131] neg_lo:[0,1] neg_hi:[0,1]
	s_wait_dscnt 0x0
	v_pk_mul_f32 v[130:131], v[126:127], v[118:119] op_sel:[0,1]
	s_delay_alu instid0(VALU_DEP_1) | instskip(SKIP_1) | instid1(VALU_DEP_1)
	v_pk_fma_f32 v[132:133], v[126:127], v[116:117], v[130:131] op_sel:[0,0,1] op_sel_hi:[1,1,0] neg_lo:[0,0,1] neg_hi:[0,0,1]
	v_pk_fma_f32 v[126:127], v[126:127], v[116:117], v[130:131] op_sel:[0,0,1] op_sel_hi:[1,0,0]
	v_mov_b32_e32 v133, v127
	v_pk_mul_f32 v[126:127], v[128:129], v[118:119] op_sel:[0,1]
	s_delay_alu instid0(VALU_DEP_2) | instskip(NEXT) | instid1(VALU_DEP_2)
	v_pk_add_f32 v[42:43], v[42:43], v[132:133] neg_lo:[0,1] neg_hi:[0,1]
	v_pk_fma_f32 v[130:131], v[128:129], v[116:117], v[126:127] op_sel:[0,0,1] op_sel_hi:[1,1,0] neg_lo:[0,0,1] neg_hi:[0,0,1]
	v_pk_fma_f32 v[126:127], v[128:129], v[116:117], v[126:127] op_sel:[0,0,1] op_sel_hi:[1,0,0]
	s_delay_alu instid0(VALU_DEP_1) | instskip(SKIP_4) | instid1(VALU_DEP_1)
	v_mov_b32_e32 v131, v127
	ds_load_2addr_b64 v[126:129], v120 offset0:21 offset1:22
	v_pk_add_f32 v[88:89], v[88:89], v[130:131] neg_lo:[0,1] neg_hi:[0,1]
	s_wait_dscnt 0x0
	v_pk_mul_f32 v[130:131], v[126:127], v[118:119] op_sel:[0,1]
	v_pk_fma_f32 v[132:133], v[126:127], v[116:117], v[130:131] op_sel:[0,0,1] op_sel_hi:[1,1,0] neg_lo:[0,0,1] neg_hi:[0,0,1]
	v_pk_fma_f32 v[126:127], v[126:127], v[116:117], v[130:131] op_sel:[0,0,1] op_sel_hi:[1,0,0]
	v_dual_mul_f32 v130, v129, v119 :: v_dual_mov_b32 v126, v129
	s_delay_alu instid0(VALU_DEP_2) | instskip(NEXT) | instid1(VALU_DEP_2)
	v_dual_mov_b32 v133, v127 :: v_dual_mov_b32 v127, v128
	v_pk_fma_f32 v[130:131], v[128:129], v[104:105], v[130:131] op_sel_hi:[1,1,0] neg_lo:[0,0,1] neg_hi:[0,0,1]
	v_mul_f32_e32 v128, v129, v116
	s_delay_alu instid0(VALU_DEP_3) | instskip(NEXT) | instid1(VALU_DEP_2)
	v_pk_add_f32 v[86:87], v[86:87], v[132:133] neg_lo:[0,1] neg_hi:[0,1]
	v_pk_fma_f32 v[126:127], v[126:127], v[104:105], v[128:129] op_sel_hi:[1,1,0]
	s_delay_alu instid0(VALU_DEP_1) | instskip(SKIP_4) | instid1(VALU_DEP_1)
	v_mov_b32_e32 v131, v127
	ds_load_2addr_b64 v[126:129], v120 offset0:23 offset1:24
	v_pk_add_f32 v[40:41], v[40:41], v[130:131] neg_lo:[0,1] neg_hi:[0,1]
	s_wait_dscnt 0x0
	v_pk_mul_f32 v[130:131], v[126:127], v[118:119] op_sel:[0,1]
	v_pk_fma_f32 v[132:133], v[126:127], v[116:117], v[130:131] op_sel:[0,0,1] op_sel_hi:[1,1,0] neg_lo:[0,0,1] neg_hi:[0,0,1]
	v_pk_fma_f32 v[126:127], v[126:127], v[116:117], v[130:131] op_sel:[0,0,1] op_sel_hi:[1,0,0]
	s_delay_alu instid0(VALU_DEP_1) | instskip(SKIP_1) | instid1(VALU_DEP_1)
	v_mov_b32_e32 v133, v127
	v_pk_mul_f32 v[126:127], v[128:129], v[118:119] op_sel:[0,1]
	v_pk_fma_f32 v[130:131], v[128:129], v[116:117], v[126:127] op_sel:[0,0,1] op_sel_hi:[1,1,0] neg_lo:[0,0,1] neg_hi:[0,0,1]
	v_pk_fma_f32 v[126:127], v[128:129], v[116:117], v[126:127] op_sel:[0,0,1] op_sel_hi:[1,0,0]
	s_delay_alu instid0(VALU_DEP_1)
	v_mov_b32_e32 v131, v127
	ds_load_2addr_b64 v[126:129], v120 offset0:25 offset1:26
	v_pk_add_f32 v[38:39], v[38:39], v[132:133] neg_lo:[0,1] neg_hi:[0,1]
	v_pk_add_f32 v[84:85], v[84:85], v[130:131] neg_lo:[0,1] neg_hi:[0,1]
	s_wait_dscnt 0x0
	v_pk_mul_f32 v[130:131], v[126:127], v[118:119] op_sel:[0,1]
	s_delay_alu instid0(VALU_DEP_1) | instskip(SKIP_1) | instid1(VALU_DEP_1)
	v_pk_fma_f32 v[132:133], v[126:127], v[116:117], v[130:131] op_sel:[0,0,1] op_sel_hi:[1,1,0] neg_lo:[0,0,1] neg_hi:[0,0,1]
	v_pk_fma_f32 v[126:127], v[126:127], v[116:117], v[130:131] op_sel:[0,0,1] op_sel_hi:[1,0,0]
	v_mov_b32_e32 v133, v127
	v_pk_mul_f32 v[126:127], v[128:129], v[118:119] op_sel:[0,1]
	s_delay_alu instid0(VALU_DEP_1) | instskip(SKIP_1) | instid1(VALU_DEP_1)
	v_pk_fma_f32 v[130:131], v[128:129], v[116:117], v[126:127] op_sel:[0,0,1] op_sel_hi:[1,1,0] neg_lo:[0,0,1] neg_hi:[0,0,1]
	v_pk_fma_f32 v[126:127], v[128:129], v[116:117], v[126:127] op_sel:[0,0,1] op_sel_hi:[1,0,0]
	v_mov_b32_e32 v131, v127
	ds_load_2addr_b64 v[126:129], v120 offset0:27 offset1:28
	v_pk_add_f32 v[82:83], v[82:83], v[132:133] neg_lo:[0,1] neg_hi:[0,1]
	v_pk_add_f32 v[36:37], v[36:37], v[130:131] neg_lo:[0,1] neg_hi:[0,1]
	s_wait_dscnt 0x0
	v_dual_mul_f32 v130, v127, v119 :: v_dual_mul_f32 v132, v127, v116
	s_delay_alu instid0(VALU_DEP_1) | instskip(NEXT) | instid1(VALU_DEP_2)
	v_pk_fma_f32 v[130:131], v[126:127], v[104:105], v[130:131] op_sel_hi:[1,1,0] neg_lo:[0,0,1] neg_hi:[0,0,1]
	v_pk_fma_f32 v[126:127], v[126:127], v[104:105], v[132:133] op_sel:[1,0,0] op_sel_hi:[0,1,0]
	s_delay_alu instid0(VALU_DEP_1) | instskip(SKIP_1) | instid1(VALU_DEP_2)
	v_mov_b32_e32 v131, v127
	v_pk_mul_f32 v[126:127], v[128:129], v[118:119] op_sel:[0,1]
	v_pk_add_f32 v[32:33], v[32:33], v[130:131] neg_lo:[0,1] neg_hi:[0,1]
	s_delay_alu instid0(VALU_DEP_2) | instskip(SKIP_1) | instid1(VALU_DEP_1)
	v_pk_fma_f32 v[130:131], v[128:129], v[116:117], v[126:127] op_sel:[0,0,1] op_sel_hi:[1,1,0] neg_lo:[0,0,1] neg_hi:[0,0,1]
	v_pk_fma_f32 v[126:127], v[128:129], v[116:117], v[126:127] op_sel:[0,0,1] op_sel_hi:[1,0,0]
	v_mov_b32_e32 v131, v127
	ds_load_2addr_b64 v[126:129], v120 offset0:29 offset1:30
	v_pk_add_f32 v[80:81], v[80:81], v[130:131] neg_lo:[0,1] neg_hi:[0,1]
	s_wait_dscnt 0x0
	v_pk_mul_f32 v[130:131], v[126:127], v[118:119] op_sel:[0,1]
	s_delay_alu instid0(VALU_DEP_1) | instskip(SKIP_1) | instid1(VALU_DEP_1)
	v_pk_fma_f32 v[132:133], v[126:127], v[116:117], v[130:131] op_sel:[0,0,1] op_sel_hi:[1,1,0] neg_lo:[0,0,1] neg_hi:[0,0,1]
	v_pk_fma_f32 v[126:127], v[126:127], v[116:117], v[130:131] op_sel:[0,0,1] op_sel_hi:[1,0,0]
	v_mov_b32_e32 v133, v127
	v_pk_mul_f32 v[126:127], v[128:129], v[118:119] op_sel:[0,1]
	s_delay_alu instid0(VALU_DEP_2) | instskip(NEXT) | instid1(VALU_DEP_2)
	v_pk_add_f32 v[78:79], v[78:79], v[132:133] neg_lo:[0,1] neg_hi:[0,1]
	v_pk_fma_f32 v[130:131], v[128:129], v[116:117], v[126:127] op_sel:[0,0,1] op_sel_hi:[1,1,0] neg_lo:[0,0,1] neg_hi:[0,0,1]
	v_pk_fma_f32 v[126:127], v[128:129], v[116:117], v[126:127] op_sel:[0,0,1] op_sel_hi:[1,0,0]
	s_delay_alu instid0(VALU_DEP_1) | instskip(SKIP_4) | instid1(VALU_DEP_1)
	v_mov_b32_e32 v131, v127
	ds_load_2addr_b64 v[126:129], v120 offset0:31 offset1:32
	v_pk_add_f32 v[28:29], v[28:29], v[130:131] neg_lo:[0,1] neg_hi:[0,1]
	s_wait_dscnt 0x0
	v_pk_mul_f32 v[130:131], v[126:127], v[118:119] op_sel:[0,1]
	v_pk_fma_f32 v[132:133], v[126:127], v[116:117], v[130:131] op_sel:[0,0,1] op_sel_hi:[1,1,0] neg_lo:[0,0,1] neg_hi:[0,0,1]
	v_pk_fma_f32 v[126:127], v[126:127], v[116:117], v[130:131] op_sel:[0,0,1] op_sel_hi:[1,0,0]
	v_dual_mul_f32 v130, v129, v119 :: v_dual_mov_b32 v126, v129
	s_delay_alu instid0(VALU_DEP_2) | instskip(NEXT) | instid1(VALU_DEP_2)
	v_dual_mov_b32 v133, v127 :: v_dual_mov_b32 v127, v128
	v_pk_fma_f32 v[130:131], v[128:129], v[104:105], v[130:131] op_sel_hi:[1,1,0] neg_lo:[0,0,1] neg_hi:[0,0,1]
	v_mul_f32_e32 v128, v129, v116
	s_delay_alu instid0(VALU_DEP_3) | instskip(NEXT) | instid1(VALU_DEP_2)
	v_pk_add_f32 v[26:27], v[26:27], v[132:133] neg_lo:[0,1] neg_hi:[0,1]
	v_pk_fma_f32 v[126:127], v[126:127], v[104:105], v[128:129] op_sel_hi:[1,1,0]
	s_delay_alu instid0(VALU_DEP_1) | instskip(SKIP_4) | instid1(VALU_DEP_1)
	v_mov_b32_e32 v131, v127
	ds_load_2addr_b64 v[126:129], v120 offset0:33 offset1:34
	v_pk_add_f32 v[76:77], v[76:77], v[130:131] neg_lo:[0,1] neg_hi:[0,1]
	s_wait_dscnt 0x0
	v_pk_mul_f32 v[130:131], v[126:127], v[118:119] op_sel:[0,1]
	v_pk_fma_f32 v[132:133], v[126:127], v[116:117], v[130:131] op_sel:[0,0,1] op_sel_hi:[1,1,0] neg_lo:[0,0,1] neg_hi:[0,0,1]
	v_pk_fma_f32 v[126:127], v[126:127], v[116:117], v[130:131] op_sel:[0,0,1] op_sel_hi:[1,0,0]
	s_delay_alu instid0(VALU_DEP_1) | instskip(SKIP_1) | instid1(VALU_DEP_1)
	v_mov_b32_e32 v133, v127
	v_pk_mul_f32 v[126:127], v[128:129], v[118:119] op_sel:[0,1]
	v_pk_fma_f32 v[130:131], v[128:129], v[116:117], v[126:127] op_sel:[0,0,1] op_sel_hi:[1,1,0] neg_lo:[0,0,1] neg_hi:[0,0,1]
	v_pk_fma_f32 v[126:127], v[128:129], v[116:117], v[126:127] op_sel:[0,0,1] op_sel_hi:[1,0,0]
	s_delay_alu instid0(VALU_DEP_1)
	v_mov_b32_e32 v131, v127
	ds_load_2addr_b64 v[126:129], v120 offset0:35 offset1:36
	v_pk_add_f32 v[74:75], v[74:75], v[132:133] neg_lo:[0,1] neg_hi:[0,1]
	v_pk_add_f32 v[22:23], v[22:23], v[130:131] neg_lo:[0,1] neg_hi:[0,1]
	s_wait_dscnt 0x0
	v_pk_mul_f32 v[130:131], v[126:127], v[118:119] op_sel:[0,1]
	s_delay_alu instid0(VALU_DEP_1) | instskip(SKIP_1) | instid1(VALU_DEP_1)
	v_pk_fma_f32 v[132:133], v[126:127], v[116:117], v[130:131] op_sel:[0,0,1] op_sel_hi:[1,1,0] neg_lo:[0,0,1] neg_hi:[0,0,1]
	v_pk_fma_f32 v[126:127], v[126:127], v[116:117], v[130:131] op_sel:[0,0,1] op_sel_hi:[1,0,0]
	v_mov_b32_e32 v133, v127
	v_pk_mul_f32 v[126:127], v[128:129], v[118:119] op_sel:[0,1]
	s_delay_alu instid0(VALU_DEP_1) | instskip(SKIP_1) | instid1(VALU_DEP_1)
	v_pk_fma_f32 v[130:131], v[128:129], v[116:117], v[126:127] op_sel:[0,0,1] op_sel_hi:[1,1,0] neg_lo:[0,0,1] neg_hi:[0,0,1]
	v_pk_fma_f32 v[126:127], v[128:129], v[116:117], v[126:127] op_sel:[0,0,1] op_sel_hi:[1,0,0]
	v_mov_b32_e32 v131, v127
	ds_load_2addr_b64 v[126:129], v120 offset0:37 offset1:38
	v_pk_add_f32 v[20:21], v[20:21], v[132:133] neg_lo:[0,1] neg_hi:[0,1]
	v_pk_add_f32 v[72:73], v[72:73], v[130:131] neg_lo:[0,1] neg_hi:[0,1]
	s_wait_dscnt 0x0
	v_dual_mul_f32 v130, v127, v119 :: v_dual_mul_f32 v132, v127, v116
	s_delay_alu instid0(VALU_DEP_1) | instskip(NEXT) | instid1(VALU_DEP_2)
	v_pk_fma_f32 v[130:131], v[126:127], v[104:105], v[130:131] op_sel_hi:[1,1,0] neg_lo:[0,0,1] neg_hi:[0,0,1]
	v_pk_fma_f32 v[126:127], v[126:127], v[104:105], v[132:133] op_sel:[1,0,0] op_sel_hi:[0,1,0]
	s_delay_alu instid0(VALU_DEP_1) | instskip(SKIP_1) | instid1(VALU_DEP_2)
	v_mov_b32_e32 v131, v127
	v_pk_mul_f32 v[126:127], v[128:129], v[118:119] op_sel:[0,1]
	v_pk_add_f32 v[70:71], v[70:71], v[130:131] neg_lo:[0,1] neg_hi:[0,1]
	s_delay_alu instid0(VALU_DEP_2) | instskip(SKIP_1) | instid1(VALU_DEP_1)
	v_pk_fma_f32 v[130:131], v[128:129], v[116:117], v[126:127] op_sel:[0,0,1] op_sel_hi:[1,1,0] neg_lo:[0,0,1] neg_hi:[0,0,1]
	v_pk_fma_f32 v[126:127], v[128:129], v[116:117], v[126:127] op_sel:[0,0,1] op_sel_hi:[1,0,0]
	v_mov_b32_e32 v131, v127
	ds_load_2addr_b64 v[126:129], v120 offset0:39 offset1:40
	v_pk_add_f32 v[18:19], v[18:19], v[130:131] neg_lo:[0,1] neg_hi:[0,1]
	s_wait_dscnt 0x0
	v_pk_mul_f32 v[130:131], v[126:127], v[118:119] op_sel:[0,1]
	s_delay_alu instid0(VALU_DEP_1) | instskip(SKIP_1) | instid1(VALU_DEP_1)
	v_pk_fma_f32 v[132:133], v[126:127], v[116:117], v[130:131] op_sel:[0,0,1] op_sel_hi:[1,1,0] neg_lo:[0,0,1] neg_hi:[0,0,1]
	v_pk_fma_f32 v[126:127], v[126:127], v[116:117], v[130:131] op_sel:[0,0,1] op_sel_hi:[1,0,0]
	v_mov_b32_e32 v133, v127
	v_pk_mul_f32 v[126:127], v[128:129], v[118:119] op_sel:[0,1]
	s_delay_alu instid0(VALU_DEP_2) | instskip(NEXT) | instid1(VALU_DEP_2)
	v_pk_add_f32 v[16:17], v[16:17], v[132:133] neg_lo:[0,1] neg_hi:[0,1]
	v_pk_fma_f32 v[130:131], v[128:129], v[116:117], v[126:127] op_sel:[0,0,1] op_sel_hi:[1,1,0] neg_lo:[0,0,1] neg_hi:[0,0,1]
	v_pk_fma_f32 v[126:127], v[128:129], v[116:117], v[126:127] op_sel:[0,0,1] op_sel_hi:[1,0,0]
	s_delay_alu instid0(VALU_DEP_1) | instskip(SKIP_4) | instid1(VALU_DEP_1)
	v_mov_b32_e32 v131, v127
	ds_load_2addr_b64 v[126:129], v120 offset0:41 offset1:42
	v_pk_add_f32 v[68:69], v[68:69], v[130:131] neg_lo:[0,1] neg_hi:[0,1]
	s_wait_dscnt 0x0
	v_pk_mul_f32 v[130:131], v[126:127], v[118:119] op_sel:[0,1]
	v_pk_fma_f32 v[132:133], v[126:127], v[116:117], v[130:131] op_sel:[0,0,1] op_sel_hi:[1,1,0] neg_lo:[0,0,1] neg_hi:[0,0,1]
	v_pk_fma_f32 v[126:127], v[126:127], v[116:117], v[130:131] op_sel:[0,0,1] op_sel_hi:[1,0,0]
	v_dual_mul_f32 v130, v129, v119 :: v_dual_mov_b32 v126, v129
	s_delay_alu instid0(VALU_DEP_2) | instskip(NEXT) | instid1(VALU_DEP_2)
	v_dual_mov_b32 v133, v127 :: v_dual_mov_b32 v127, v128
	v_pk_fma_f32 v[130:131], v[128:129], v[104:105], v[130:131] op_sel_hi:[1,1,0] neg_lo:[0,0,1] neg_hi:[0,0,1]
	v_mul_f32_e32 v128, v129, v116
	s_delay_alu instid0(VALU_DEP_3) | instskip(NEXT) | instid1(VALU_DEP_2)
	v_pk_add_f32 v[66:67], v[66:67], v[132:133] neg_lo:[0,1] neg_hi:[0,1]
	v_pk_fma_f32 v[126:127], v[126:127], v[104:105], v[128:129] op_sel_hi:[1,1,0]
	s_delay_alu instid0(VALU_DEP_1) | instskip(SKIP_4) | instid1(VALU_DEP_1)
	v_mov_b32_e32 v131, v127
	ds_load_2addr_b64 v[126:129], v120 offset0:43 offset1:44
	v_pk_add_f32 v[14:15], v[14:15], v[130:131] neg_lo:[0,1] neg_hi:[0,1]
	s_wait_dscnt 0x0
	v_pk_mul_f32 v[130:131], v[126:127], v[118:119] op_sel:[0,1]
	v_pk_fma_f32 v[132:133], v[126:127], v[116:117], v[130:131] op_sel:[0,0,1] op_sel_hi:[1,1,0] neg_lo:[0,0,1] neg_hi:[0,0,1]
	v_pk_fma_f32 v[126:127], v[126:127], v[116:117], v[130:131] op_sel:[0,0,1] op_sel_hi:[1,0,0]
	s_delay_alu instid0(VALU_DEP_1) | instskip(SKIP_1) | instid1(VALU_DEP_1)
	v_mov_b32_e32 v133, v127
	v_pk_mul_f32 v[126:127], v[128:129], v[118:119] op_sel:[0,1]
	v_pk_fma_f32 v[130:131], v[128:129], v[116:117], v[126:127] op_sel:[0,0,1] op_sel_hi:[1,1,0] neg_lo:[0,0,1] neg_hi:[0,0,1]
	v_pk_fma_f32 v[126:127], v[128:129], v[116:117], v[126:127] op_sel:[0,0,1] op_sel_hi:[1,0,0]
	s_delay_alu instid0(VALU_DEP_1)
	v_mov_b32_e32 v131, v127
	ds_load_2addr_b64 v[126:129], v120 offset0:45 offset1:46
	v_pk_add_f32 v[12:13], v[12:13], v[132:133] neg_lo:[0,1] neg_hi:[0,1]
	v_pk_add_f32 v[64:65], v[64:65], v[130:131] neg_lo:[0,1] neg_hi:[0,1]
	s_wait_dscnt 0x0
	v_pk_mul_f32 v[130:131], v[126:127], v[118:119] op_sel:[0,1]
	s_delay_alu instid0(VALU_DEP_1) | instskip(SKIP_1) | instid1(VALU_DEP_1)
	v_pk_fma_f32 v[132:133], v[126:127], v[116:117], v[130:131] op_sel:[0,0,1] op_sel_hi:[1,1,0] neg_lo:[0,0,1] neg_hi:[0,0,1]
	v_pk_fma_f32 v[126:127], v[126:127], v[116:117], v[130:131] op_sel:[0,0,1] op_sel_hi:[1,0,0]
	v_mov_b32_e32 v133, v127
	v_pk_mul_f32 v[126:127], v[128:129], v[118:119] op_sel:[0,1]
	s_delay_alu instid0(VALU_DEP_1) | instskip(SKIP_1) | instid1(VALU_DEP_1)
	v_pk_fma_f32 v[130:131], v[128:129], v[116:117], v[126:127] op_sel:[0,0,1] op_sel_hi:[1,1,0] neg_lo:[0,0,1] neg_hi:[0,0,1]
	v_pk_fma_f32 v[126:127], v[128:129], v[116:117], v[126:127] op_sel:[0,0,1] op_sel_hi:[1,0,0]
	v_mov_b32_e32 v131, v127
	ds_load_2addr_b64 v[126:129], v120 offset0:47 offset1:48
	v_pk_add_f32 v[62:63], v[62:63], v[132:133] neg_lo:[0,1] neg_hi:[0,1]
	v_pk_add_f32 v[10:11], v[10:11], v[130:131] neg_lo:[0,1] neg_hi:[0,1]
	s_wait_dscnt 0x0
	v_dual_mul_f32 v130, v127, v119 :: v_dual_mul_f32 v132, v127, v116
	s_delay_alu instid0(VALU_DEP_1) | instskip(NEXT) | instid1(VALU_DEP_2)
	v_pk_fma_f32 v[130:131], v[126:127], v[104:105], v[130:131] op_sel_hi:[1,1,0] neg_lo:[0,0,1] neg_hi:[0,0,1]
	v_pk_fma_f32 v[126:127], v[126:127], v[104:105], v[132:133] op_sel:[1,0,0] op_sel_hi:[0,1,0]
	s_delay_alu instid0(VALU_DEP_1) | instskip(SKIP_1) | instid1(VALU_DEP_2)
	v_mov_b32_e32 v131, v127
	v_pk_mul_f32 v[126:127], v[128:129], v[118:119] op_sel:[0,1]
	v_pk_add_f32 v[6:7], v[6:7], v[130:131] neg_lo:[0,1] neg_hi:[0,1]
	s_delay_alu instid0(VALU_DEP_2) | instskip(SKIP_1) | instid1(VALU_DEP_1)
	v_pk_fma_f32 v[130:131], v[128:129], v[116:117], v[126:127] op_sel:[0,0,1] op_sel_hi:[1,1,0] neg_lo:[0,0,1] neg_hi:[0,0,1]
	v_pk_fma_f32 v[126:127], v[128:129], v[116:117], v[126:127] op_sel:[0,0,1] op_sel_hi:[1,0,0]
	v_mov_b32_e32 v131, v127
	ds_load_2addr_b64 v[126:129], v120 offset0:49 offset1:50
	v_pk_add_f32 v[52:53], v[52:53], v[130:131] neg_lo:[0,1] neg_hi:[0,1]
	s_wait_dscnt 0x0
	v_pk_mul_f32 v[130:131], v[126:127], v[118:119] op_sel:[0,1]
	s_delay_alu instid0(VALU_DEP_1) | instskip(SKIP_1) | instid1(VALU_DEP_1)
	v_pk_fma_f32 v[132:133], v[126:127], v[116:117], v[130:131] op_sel:[0,0,1] op_sel_hi:[1,1,0] neg_lo:[0,0,1] neg_hi:[0,0,1]
	v_pk_fma_f32 v[126:127], v[126:127], v[116:117], v[130:131] op_sel:[0,0,1] op_sel_hi:[1,0,0]
	v_mov_b32_e32 v133, v127
	v_pk_mul_f32 v[126:127], v[128:129], v[118:119] op_sel:[0,1]
	s_delay_alu instid0(VALU_DEP_2) | instskip(NEXT) | instid1(VALU_DEP_2)
	v_pk_add_f32 v[50:51], v[50:51], v[132:133] neg_lo:[0,1] neg_hi:[0,1]
	v_pk_fma_f32 v[130:131], v[128:129], v[116:117], v[126:127] op_sel:[0,0,1] op_sel_hi:[1,1,0] neg_lo:[0,0,1] neg_hi:[0,0,1]
	v_pk_fma_f32 v[126:127], v[128:129], v[116:117], v[126:127] op_sel:[0,0,1] op_sel_hi:[1,0,0]
	s_delay_alu instid0(VALU_DEP_1) | instskip(SKIP_4) | instid1(VALU_DEP_1)
	v_mov_b32_e32 v131, v127
	ds_load_2addr_b64 v[126:129], v120 offset0:51 offset1:52
	v_pk_add_f32 v[8:9], v[8:9], v[130:131] neg_lo:[0,1] neg_hi:[0,1]
	s_wait_dscnt 0x0
	v_pk_mul_f32 v[130:131], v[126:127], v[118:119] op_sel:[0,1]
	v_pk_fma_f32 v[132:133], v[126:127], v[116:117], v[130:131] op_sel:[0,0,1] op_sel_hi:[1,1,0] neg_lo:[0,0,1] neg_hi:[0,0,1]
	v_pk_fma_f32 v[126:127], v[126:127], v[116:117], v[130:131] op_sel:[0,0,1] op_sel_hi:[1,0,0]
	v_dual_mul_f32 v130, v129, v119 :: v_dual_mov_b32 v126, v129
	s_delay_alu instid0(VALU_DEP_2) | instskip(NEXT) | instid1(VALU_DEP_2)
	v_dual_mov_b32 v133, v127 :: v_dual_mov_b32 v127, v128
	v_pk_fma_f32 v[130:131], v[128:129], v[104:105], v[130:131] op_sel_hi:[1,1,0] neg_lo:[0,0,1] neg_hi:[0,0,1]
	v_mul_f32_e32 v128, v129, v116
	s_delay_alu instid0(VALU_DEP_3) | instskip(NEXT) | instid1(VALU_DEP_2)
	v_pk_add_f32 v[30:31], v[30:31], v[132:133] neg_lo:[0,1] neg_hi:[0,1]
	v_pk_fma_f32 v[126:127], v[126:127], v[104:105], v[128:129] op_sel_hi:[1,1,0]
	s_delay_alu instid0(VALU_DEP_1)
	v_mov_b32_e32 v131, v127
	ds_load_2addr_b64 v[126:129], v120 offset0:53 offset1:54
	v_pk_add_f32 v[34:35], v[34:35], v[130:131] neg_lo:[0,1] neg_hi:[0,1]
	s_wait_dscnt 0x0
	v_pk_mul_f32 v[130:131], v[126:127], v[118:119] op_sel:[0,1]
	v_pk_mul_f32 v[118:119], v[128:129], v[118:119] op_sel:[0,1]
	s_delay_alu instid0(VALU_DEP_2) | instskip(SKIP_1) | instid1(VALU_DEP_1)
	v_pk_fma_f32 v[132:133], v[126:127], v[116:117], v[130:131] op_sel:[0,0,1] op_sel_hi:[1,1,0] neg_lo:[0,0,1] neg_hi:[0,0,1]
	v_pk_fma_f32 v[126:127], v[126:127], v[116:117], v[130:131] op_sel:[0,0,1] op_sel_hi:[1,0,0]
	v_mov_b32_e32 v133, v127
	s_delay_alu instid0(VALU_DEP_4) | instskip(SKIP_1) | instid1(VALU_DEP_1)
	v_pk_fma_f32 v[126:127], v[128:129], v[116:117], v[118:119] op_sel:[0,0,1] op_sel_hi:[1,1,0] neg_lo:[0,0,1] neg_hi:[0,0,1]
	v_pk_fma_f32 v[116:117], v[128:129], v[116:117], v[118:119] op_sel:[0,0,1] op_sel_hi:[1,0,0]
	v_mov_b32_e32 v127, v117
	s_delay_alu instid0(VALU_DEP_4) | instskip(NEXT) | instid1(VALU_DEP_2)
	v_pk_add_f32 v[24:25], v[24:25], v[132:133] neg_lo:[0,1] neg_hi:[0,1]
	v_pk_add_f32 v[114:115], v[114:115], v[126:127] neg_lo:[0,1] neg_hi:[0,1]
.LBB108_188:
	s_or_b32 exec_lo, exec_lo, s0
	v_lshl_add_u32 v116, v124, 3, v120
	s_barrier_signal -1
	s_barrier_wait -1
	ds_store_b64 v116, v[102:103]
	s_wait_dscnt 0x0
	s_barrier_signal -1
	s_barrier_wait -1
	ds_load_b64 v[118:119], v120 offset:72
	v_mov_b32_e32 v116, 9
	s_cmp_lt_i32 s18, 11
	s_cbranch_scc1 .LBB108_191
; %bb.189:
	v_add3_u32 v117, v121, 0, 0x50
	v_mov_b32_e32 v116, 9
	s_mov_b32 s0, 10
.LBB108_190:                            ; =>This Inner Loop Header: Depth=1
	ds_load_b64 v[126:127], v117
	s_wait_dscnt 0x1
	v_cmp_gt_f32_e32 vcc_lo, 0, v118
	v_cndmask_b32_e64 v128, v118, -v118, vcc_lo
	v_cmp_gt_f32_e32 vcc_lo, 0, v119
	v_cndmask_b32_e64 v130, v119, -v119, vcc_lo
	s_wait_dscnt 0x0
	v_cmp_gt_f32_e32 vcc_lo, 0, v126
	v_cndmask_b32_e64 v129, v126, -v126, vcc_lo
	v_cmp_gt_f32_e32 vcc_lo, 0, v127
	v_cndmask_b32_e64 v131, v127, -v127, vcc_lo
	s_delay_alu instid0(VALU_DEP_1) | instskip(NEXT) | instid1(VALU_DEP_1)
	v_pk_add_f32 v[128:129], v[128:129], v[130:131]
	v_cmp_lt_f32_e32 vcc_lo, v128, v129
	v_dual_add_nc_u32 v117, 8, v117 :: v_dual_cndmask_b32 v119, v119, v127, vcc_lo
	v_cndmask_b32_e32 v118, v118, v126, vcc_lo
	v_cndmask_b32_e64 v116, v116, s0, vcc_lo
	s_add_co_i32 s0, s0, 1
	s_delay_alu instid0(SALU_CYCLE_1)
	s_cmp_lg_u32 s18, s0
	s_cbranch_scc1 .LBB108_190
.LBB108_191:
	s_wait_dscnt 0x0
	v_cmp_eq_f32_e32 vcc_lo, 0, v118
	v_cmp_eq_f32_e64 s0, 0, v119
	s_and_b32 s0, vcc_lo, s0
	s_delay_alu instid0(SALU_CYCLE_1) | instskip(NEXT) | instid1(SALU_CYCLE_1)
	s_and_saveexec_b32 s1, s0
	s_xor_b32 s0, exec_lo, s1
; %bb.192:
	v_cmp_ne_u32_e32 vcc_lo, 0, v122
	v_cndmask_b32_e32 v122, 10, v122, vcc_lo
; %bb.193:
	s_and_not1_saveexec_b32 s0, s0
	s_cbranch_execz .LBB108_199
; %bb.194:
	v_cmp_ngt_f32_e64 s1, |v118|, |v119|
	s_and_saveexec_b32 s12, s1
	s_delay_alu instid0(SALU_CYCLE_1)
	s_xor_b32 s1, exec_lo, s12
	s_cbranch_execz .LBB108_196
; %bb.195:
	v_div_scale_f32 v117, null, v119, v119, v118
	v_div_scale_f32 v127, vcc_lo, v118, v119, v118
	s_delay_alu instid0(VALU_DEP_2) | instskip(SKIP_1) | instid1(TRANS32_DEP_1)
	v_rcp_f32_e32 v125, v117
	v_nop
	v_fma_f32 v126, -v117, v125, 1.0
	s_delay_alu instid0(VALU_DEP_1) | instskip(NEXT) | instid1(VALU_DEP_1)
	v_fmac_f32_e32 v125, v126, v125
	v_mul_f32_e32 v126, v127, v125
	s_delay_alu instid0(VALU_DEP_1) | instskip(NEXT) | instid1(VALU_DEP_1)
	v_fma_f32 v128, -v117, v126, v127
	v_fmac_f32_e32 v126, v128, v125
	s_delay_alu instid0(VALU_DEP_1) | instskip(NEXT) | instid1(VALU_DEP_1)
	v_fma_f32 v117, -v117, v126, v127
	v_div_fmas_f32 v117, v117, v125, v126
	s_delay_alu instid0(VALU_DEP_1) | instskip(NEXT) | instid1(VALU_DEP_1)
	v_div_fixup_f32 v117, v117, v119, v118
	v_fmac_f32_e32 v119, v118, v117
	s_delay_alu instid0(VALU_DEP_1) | instskip(SKIP_1) | instid1(VALU_DEP_2)
	v_div_scale_f32 v118, null, v119, v119, 1.0
	v_div_scale_f32 v127, vcc_lo, 1.0, v119, 1.0
	v_rcp_f32_e32 v125, v118
	v_nop
	s_delay_alu instid0(TRANS32_DEP_1) | instskip(NEXT) | instid1(VALU_DEP_1)
	v_fma_f32 v126, -v118, v125, 1.0
	v_fmac_f32_e32 v125, v126, v125
	s_delay_alu instid0(VALU_DEP_1) | instskip(NEXT) | instid1(VALU_DEP_1)
	v_mul_f32_e32 v126, v127, v125
	v_fma_f32 v128, -v118, v126, v127
	s_delay_alu instid0(VALU_DEP_1) | instskip(NEXT) | instid1(VALU_DEP_1)
	v_fmac_f32_e32 v126, v128, v125
	v_fma_f32 v118, -v118, v126, v127
	s_delay_alu instid0(VALU_DEP_1) | instskip(NEXT) | instid1(VALU_DEP_1)
	v_div_fmas_f32 v118, v118, v125, v126
	v_div_fixup_f32 v119, v118, v119, 1.0
	s_delay_alu instid0(VALU_DEP_1)
	v_mul_f32_e32 v118, v117, v119
	v_xor_b32_e32 v119, 0x80000000, v119
.LBB108_196:
	s_and_not1_saveexec_b32 s1, s1
	s_cbranch_execz .LBB108_198
; %bb.197:
	s_delay_alu instid0(VALU_DEP_1) | instskip(SKIP_1) | instid1(VALU_DEP_2)
	v_div_scale_f32 v117, null, v118, v118, v119
	v_div_scale_f32 v127, vcc_lo, v119, v118, v119
	v_rcp_f32_e32 v125, v117
	v_nop
	s_delay_alu instid0(TRANS32_DEP_1) | instskip(NEXT) | instid1(VALU_DEP_1)
	v_fma_f32 v126, -v117, v125, 1.0
	v_fmac_f32_e32 v125, v126, v125
	s_delay_alu instid0(VALU_DEP_1) | instskip(NEXT) | instid1(VALU_DEP_1)
	v_mul_f32_e32 v126, v127, v125
	v_fma_f32 v128, -v117, v126, v127
	s_delay_alu instid0(VALU_DEP_1) | instskip(NEXT) | instid1(VALU_DEP_1)
	v_fmac_f32_e32 v126, v128, v125
	v_fma_f32 v117, -v117, v126, v127
	s_delay_alu instid0(VALU_DEP_1) | instskip(NEXT) | instid1(VALU_DEP_1)
	v_div_fmas_f32 v117, v117, v125, v126
	v_div_fixup_f32 v117, v117, v118, v119
	s_delay_alu instid0(VALU_DEP_1) | instskip(NEXT) | instid1(VALU_DEP_1)
	v_fmac_f32_e32 v118, v119, v117
	v_div_scale_f32 v119, null, v118, v118, 1.0
	s_delay_alu instid0(VALU_DEP_1) | instskip(SKIP_1) | instid1(TRANS32_DEP_1)
	v_rcp_f32_e32 v125, v119
	v_nop
	v_fma_f32 v126, -v119, v125, 1.0
	s_delay_alu instid0(VALU_DEP_1) | instskip(SKIP_1) | instid1(VALU_DEP_1)
	v_fmac_f32_e32 v125, v126, v125
	v_div_scale_f32 v126, vcc_lo, 1.0, v118, 1.0
	v_mul_f32_e32 v127, v126, v125
	s_delay_alu instid0(VALU_DEP_1) | instskip(NEXT) | instid1(VALU_DEP_1)
	v_fma_f32 v128, -v119, v127, v126
	v_fmac_f32_e32 v127, v128, v125
	s_delay_alu instid0(VALU_DEP_1) | instskip(NEXT) | instid1(VALU_DEP_1)
	v_fma_f32 v119, -v119, v127, v126
	v_div_fmas_f32 v119, v119, v125, v127
	s_delay_alu instid0(VALU_DEP_1) | instskip(NEXT) | instid1(VALU_DEP_1)
	v_div_fixup_f32 v118, v119, v118, 1.0
	v_mul_f32_e64 v119, v117, -v118
.LBB108_198:
	s_or_b32 exec_lo, exec_lo, s1
.LBB108_199:
	s_delay_alu instid0(SALU_CYCLE_1) | instskip(NEXT) | instid1(SALU_CYCLE_1)
	s_or_b32 exec_lo, exec_lo, s0
	s_mov_b32 s0, exec_lo
	v_cmpx_ne_u32_e64 v124, v116
	s_xor_b32 s0, exec_lo, s0
	s_cbranch_execz .LBB108_205
; %bb.200:
	s_mov_b32 s1, exec_lo
	v_cmpx_eq_u32_e32 9, v124
	s_cbranch_execz .LBB108_204
; %bb.201:
	v_cmp_ne_u32_e32 vcc_lo, 9, v116
	s_xor_b32 s12, s16, -1
	s_delay_alu instid0(SALU_CYCLE_1) | instskip(NEXT) | instid1(SALU_CYCLE_1)
	s_and_b32 s13, s12, vcc_lo
	s_and_saveexec_b32 s12, s13
	s_cbranch_execz .LBB108_203
; %bb.202:
	v_ashrrev_i32_e32 v117, 31, v116
	s_delay_alu instid0(VALU_DEP_1)
	v_lshl_add_u64 v[124:125], v[116:117], 2, v[4:5]
	s_clause 0x1
	global_load_b32 v117, v[124:125], off
	global_load_b32 v123, v[4:5], off offset:36
	s_wait_loadcnt 0x1
	global_store_b32 v[4:5], v117, off offset:36
	s_wait_loadcnt 0x0
	global_store_b32 v[124:125], v123, off
.LBB108_203:
	s_wait_xcnt 0x0
	s_or_b32 exec_lo, exec_lo, s12
	v_dual_mov_b32 v124, v116 :: v_dual_mov_b32 v123, v116
.LBB108_204:
	s_or_b32 exec_lo, exec_lo, s1
.LBB108_205:
	s_and_not1_saveexec_b32 s0, s0
	s_cbranch_execz .LBB108_207
; %bb.206:
	v_dual_mov_b32 v116, v60 :: v_dual_mov_b32 v117, v61
	v_dual_mov_b32 v124, v58 :: v_dual_mov_b32 v125, v59
	ds_store_2addr_b64 v120, v[116:117], v[124:125] offset0:10 offset1:11
	v_dual_mov_b32 v116, v100 :: v_dual_mov_b32 v117, v101
	v_dual_mov_b32 v124, v98 :: v_dual_mov_b32 v125, v99
	ds_store_2addr_b64 v120, v[116:117], v[124:125] offset0:12 offset1:13
	;; [unrolled: 3-line block ×22, first 2 shown]
	ds_store_b64 v120, v[114:115] offset:432
	v_mov_b32_e32 v124, 9
.LBB108_207:
	s_or_b32 exec_lo, exec_lo, s0
	s_delay_alu instid0(SALU_CYCLE_1)
	s_mov_b32 s0, exec_lo
	s_wait_storecnt_dscnt 0x0
	s_barrier_signal -1
	s_barrier_wait -1
	v_cmpx_lt_i32_e32 9, v124
	s_cbranch_execz .LBB108_209
; %bb.208:
	v_pk_mul_f32 v[126:127], v[118:119], v[102:103] op_sel:[1,1] op_sel_hi:[0,1]
	s_delay_alu instid0(VALU_DEP_1)
	v_pk_fma_f32 v[116:117], v[118:119], v[102:103], v[126:127] op_sel_hi:[1,0,1] neg_lo:[0,0,1] neg_hi:[0,0,1]
	v_pk_fma_f32 v[118:119], v[118:119], v[102:103], v[126:127] op_sel_hi:[1,0,1]
	ds_load_2addr_b64 v[126:129], v120 offset0:10 offset1:11
	v_dual_mov_b32 v102, v116 :: v_dual_mov_b32 v103, v119
	s_wait_dscnt 0x0
	v_pk_mul_f32 v[130:131], v[126:127], v[118:119] op_sel:[0,1]
	s_delay_alu instid0(VALU_DEP_1) | instskip(SKIP_1) | instid1(VALU_DEP_1)
	v_pk_fma_f32 v[132:133], v[126:127], v[116:117], v[130:131] op_sel:[0,0,1] op_sel_hi:[1,1,0] neg_lo:[0,0,1] neg_hi:[0,0,1]
	v_pk_fma_f32 v[126:127], v[126:127], v[116:117], v[130:131] op_sel:[0,0,1] op_sel_hi:[1,0,0]
	v_mov_b32_e32 v133, v127
	v_pk_mul_f32 v[126:127], v[128:129], v[118:119] op_sel:[0,1]
	s_delay_alu instid0(VALU_DEP_1) | instskip(SKIP_1) | instid1(VALU_DEP_1)
	v_pk_fma_f32 v[130:131], v[128:129], v[116:117], v[126:127] op_sel:[0,0,1] op_sel_hi:[1,1,0] neg_lo:[0,0,1] neg_hi:[0,0,1]
	v_pk_fma_f32 v[126:127], v[128:129], v[116:117], v[126:127] op_sel:[0,0,1] op_sel_hi:[1,0,0]
	v_mov_b32_e32 v131, v127
	ds_load_2addr_b64 v[126:129], v120 offset0:12 offset1:13
	v_pk_add_f32 v[60:61], v[60:61], v[132:133] neg_lo:[0,1] neg_hi:[0,1]
	v_pk_add_f32 v[58:59], v[58:59], v[130:131] neg_lo:[0,1] neg_hi:[0,1]
	s_wait_dscnt 0x0
	v_pk_mul_f32 v[130:131], v[126:127], v[118:119] op_sel:[0,1]
	s_delay_alu instid0(VALU_DEP_1) | instskip(SKIP_2) | instid1(VALU_DEP_2)
	v_pk_fma_f32 v[132:133], v[126:127], v[116:117], v[130:131] op_sel:[0,0,1] op_sel_hi:[1,1,0] neg_lo:[0,0,1] neg_hi:[0,0,1]
	v_pk_fma_f32 v[126:127], v[126:127], v[116:117], v[130:131] op_sel:[0,0,1] op_sel_hi:[1,0,0]
	v_dual_mul_f32 v130, v129, v119 :: v_dual_mov_b32 v126, v129
	v_dual_mov_b32 v133, v127 :: v_dual_mov_b32 v127, v128
	s_delay_alu instid0(VALU_DEP_2) | instskip(SKIP_1) | instid1(VALU_DEP_3)
	v_pk_fma_f32 v[130:131], v[128:129], v[102:103], v[130:131] op_sel_hi:[1,1,0] neg_lo:[0,0,1] neg_hi:[0,0,1]
	v_mul_f32_e32 v128, v129, v116
	v_pk_add_f32 v[100:101], v[100:101], v[132:133] neg_lo:[0,1] neg_hi:[0,1]
	s_delay_alu instid0(VALU_DEP_2) | instskip(NEXT) | instid1(VALU_DEP_1)
	v_pk_fma_f32 v[126:127], v[126:127], v[102:103], v[128:129] op_sel_hi:[1,1,0]
	v_mov_b32_e32 v131, v127
	ds_load_2addr_b64 v[126:129], v120 offset0:14 offset1:15
	v_pk_add_f32 v[98:99], v[98:99], v[130:131] neg_lo:[0,1] neg_hi:[0,1]
	s_wait_dscnt 0x0
	v_pk_mul_f32 v[130:131], v[126:127], v[118:119] op_sel:[0,1]
	s_delay_alu instid0(VALU_DEP_1) | instskip(SKIP_1) | instid1(VALU_DEP_1)
	v_pk_fma_f32 v[132:133], v[126:127], v[116:117], v[130:131] op_sel:[0,0,1] op_sel_hi:[1,1,0] neg_lo:[0,0,1] neg_hi:[0,0,1]
	v_pk_fma_f32 v[126:127], v[126:127], v[116:117], v[130:131] op_sel:[0,0,1] op_sel_hi:[1,0,0]
	v_mov_b32_e32 v133, v127
	v_pk_mul_f32 v[126:127], v[128:129], v[118:119] op_sel:[0,1]
	s_delay_alu instid0(VALU_DEP_1) | instskip(SKIP_1) | instid1(VALU_DEP_1)
	v_pk_fma_f32 v[130:131], v[128:129], v[116:117], v[126:127] op_sel:[0,0,1] op_sel_hi:[1,1,0] neg_lo:[0,0,1] neg_hi:[0,0,1]
	v_pk_fma_f32 v[126:127], v[128:129], v[116:117], v[126:127] op_sel:[0,0,1] op_sel_hi:[1,0,0]
	v_mov_b32_e32 v131, v127
	ds_load_2addr_b64 v[126:129], v120 offset0:16 offset1:17
	v_pk_add_f32 v[56:57], v[56:57], v[132:133] neg_lo:[0,1] neg_hi:[0,1]
	v_pk_add_f32 v[54:55], v[54:55], v[130:131] neg_lo:[0,1] neg_hi:[0,1]
	s_wait_dscnt 0x0
	v_pk_mul_f32 v[130:131], v[126:127], v[118:119] op_sel:[0,1]
	s_delay_alu instid0(VALU_DEP_1) | instskip(SKIP_1) | instid1(VALU_DEP_1)
	v_pk_fma_f32 v[132:133], v[126:127], v[116:117], v[130:131] op_sel:[0,0,1] op_sel_hi:[1,1,0] neg_lo:[0,0,1] neg_hi:[0,0,1]
	v_pk_fma_f32 v[126:127], v[126:127], v[116:117], v[130:131] op_sel:[0,0,1] op_sel_hi:[1,0,0]
	v_mov_b32_e32 v133, v127
	v_pk_mul_f32 v[126:127], v[128:129], v[118:119] op_sel:[0,1]
	s_delay_alu instid0(VALU_DEP_1) | instskip(SKIP_1) | instid1(VALU_DEP_1)
	v_pk_fma_f32 v[130:131], v[128:129], v[116:117], v[126:127] op_sel:[0,0,1] op_sel_hi:[1,1,0] neg_lo:[0,0,1] neg_hi:[0,0,1]
	v_pk_fma_f32 v[126:127], v[128:129], v[116:117], v[126:127] op_sel:[0,0,1] op_sel_hi:[1,0,0]
	v_mov_b32_e32 v131, v127
	ds_load_2addr_b64 v[126:129], v120 offset0:18 offset1:19
	v_pk_add_f32 v[92:93], v[92:93], v[132:133] neg_lo:[0,1] neg_hi:[0,1]
	v_pk_add_f32 v[90:91], v[90:91], v[130:131] neg_lo:[0,1] neg_hi:[0,1]
	s_wait_dscnt 0x0
	v_dual_mul_f32 v130, v127, v119 :: v_dual_mul_f32 v132, v127, v116
	s_delay_alu instid0(VALU_DEP_1) | instskip(NEXT) | instid1(VALU_DEP_2)
	v_pk_fma_f32 v[130:131], v[126:127], v[102:103], v[130:131] op_sel_hi:[1,1,0] neg_lo:[0,0,1] neg_hi:[0,0,1]
	v_pk_fma_f32 v[126:127], v[126:127], v[102:103], v[132:133] op_sel:[1,0,0] op_sel_hi:[0,1,0]
	s_delay_alu instid0(VALU_DEP_1) | instskip(SKIP_1) | instid1(VALU_DEP_2)
	v_mov_b32_e32 v131, v127
	v_pk_mul_f32 v[126:127], v[128:129], v[118:119] op_sel:[0,1]
	v_pk_add_f32 v[44:45], v[44:45], v[130:131] neg_lo:[0,1] neg_hi:[0,1]
	s_delay_alu instid0(VALU_DEP_2) | instskip(SKIP_1) | instid1(VALU_DEP_1)
	v_pk_fma_f32 v[130:131], v[128:129], v[116:117], v[126:127] op_sel:[0,0,1] op_sel_hi:[1,1,0] neg_lo:[0,0,1] neg_hi:[0,0,1]
	v_pk_fma_f32 v[126:127], v[128:129], v[116:117], v[126:127] op_sel:[0,0,1] op_sel_hi:[1,0,0]
	v_mov_b32_e32 v131, v127
	ds_load_2addr_b64 v[126:129], v120 offset0:20 offset1:21
	v_pk_add_f32 v[42:43], v[42:43], v[130:131] neg_lo:[0,1] neg_hi:[0,1]
	s_wait_dscnt 0x0
	v_pk_mul_f32 v[130:131], v[126:127], v[118:119] op_sel:[0,1]
	s_delay_alu instid0(VALU_DEP_1) | instskip(SKIP_1) | instid1(VALU_DEP_1)
	v_pk_fma_f32 v[132:133], v[126:127], v[116:117], v[130:131] op_sel:[0,0,1] op_sel_hi:[1,1,0] neg_lo:[0,0,1] neg_hi:[0,0,1]
	v_pk_fma_f32 v[126:127], v[126:127], v[116:117], v[130:131] op_sel:[0,0,1] op_sel_hi:[1,0,0]
	v_mov_b32_e32 v133, v127
	v_pk_mul_f32 v[126:127], v[128:129], v[118:119] op_sel:[0,1]
	s_delay_alu instid0(VALU_DEP_2) | instskip(NEXT) | instid1(VALU_DEP_2)
	v_pk_add_f32 v[88:89], v[88:89], v[132:133] neg_lo:[0,1] neg_hi:[0,1]
	v_pk_fma_f32 v[130:131], v[128:129], v[116:117], v[126:127] op_sel:[0,0,1] op_sel_hi:[1,1,0] neg_lo:[0,0,1] neg_hi:[0,0,1]
	v_pk_fma_f32 v[126:127], v[128:129], v[116:117], v[126:127] op_sel:[0,0,1] op_sel_hi:[1,0,0]
	s_delay_alu instid0(VALU_DEP_1) | instskip(SKIP_4) | instid1(VALU_DEP_1)
	v_mov_b32_e32 v131, v127
	ds_load_2addr_b64 v[126:129], v120 offset0:22 offset1:23
	v_pk_add_f32 v[86:87], v[86:87], v[130:131] neg_lo:[0,1] neg_hi:[0,1]
	s_wait_dscnt 0x0
	v_pk_mul_f32 v[130:131], v[126:127], v[118:119] op_sel:[0,1]
	v_pk_fma_f32 v[132:133], v[126:127], v[116:117], v[130:131] op_sel:[0,0,1] op_sel_hi:[1,1,0] neg_lo:[0,0,1] neg_hi:[0,0,1]
	v_pk_fma_f32 v[126:127], v[126:127], v[116:117], v[130:131] op_sel:[0,0,1] op_sel_hi:[1,0,0]
	v_dual_mul_f32 v130, v129, v119 :: v_dual_mov_b32 v126, v129
	s_delay_alu instid0(VALU_DEP_2) | instskip(NEXT) | instid1(VALU_DEP_2)
	v_dual_mov_b32 v133, v127 :: v_dual_mov_b32 v127, v128
	v_pk_fma_f32 v[130:131], v[128:129], v[102:103], v[130:131] op_sel_hi:[1,1,0] neg_lo:[0,0,1] neg_hi:[0,0,1]
	v_mul_f32_e32 v128, v129, v116
	s_delay_alu instid0(VALU_DEP_3) | instskip(NEXT) | instid1(VALU_DEP_2)
	v_pk_add_f32 v[40:41], v[40:41], v[132:133] neg_lo:[0,1] neg_hi:[0,1]
	v_pk_fma_f32 v[126:127], v[126:127], v[102:103], v[128:129] op_sel_hi:[1,1,0]
	s_delay_alu instid0(VALU_DEP_1) | instskip(SKIP_4) | instid1(VALU_DEP_1)
	v_mov_b32_e32 v131, v127
	ds_load_2addr_b64 v[126:129], v120 offset0:24 offset1:25
	v_pk_add_f32 v[38:39], v[38:39], v[130:131] neg_lo:[0,1] neg_hi:[0,1]
	s_wait_dscnt 0x0
	v_pk_mul_f32 v[130:131], v[126:127], v[118:119] op_sel:[0,1]
	v_pk_fma_f32 v[132:133], v[126:127], v[116:117], v[130:131] op_sel:[0,0,1] op_sel_hi:[1,1,0] neg_lo:[0,0,1] neg_hi:[0,0,1]
	v_pk_fma_f32 v[126:127], v[126:127], v[116:117], v[130:131] op_sel:[0,0,1] op_sel_hi:[1,0,0]
	s_delay_alu instid0(VALU_DEP_1) | instskip(SKIP_1) | instid1(VALU_DEP_1)
	v_mov_b32_e32 v133, v127
	v_pk_mul_f32 v[126:127], v[128:129], v[118:119] op_sel:[0,1]
	v_pk_fma_f32 v[130:131], v[128:129], v[116:117], v[126:127] op_sel:[0,0,1] op_sel_hi:[1,1,0] neg_lo:[0,0,1] neg_hi:[0,0,1]
	v_pk_fma_f32 v[126:127], v[128:129], v[116:117], v[126:127] op_sel:[0,0,1] op_sel_hi:[1,0,0]
	s_delay_alu instid0(VALU_DEP_1)
	v_mov_b32_e32 v131, v127
	ds_load_2addr_b64 v[126:129], v120 offset0:26 offset1:27
	v_pk_add_f32 v[84:85], v[84:85], v[132:133] neg_lo:[0,1] neg_hi:[0,1]
	v_pk_add_f32 v[82:83], v[82:83], v[130:131] neg_lo:[0,1] neg_hi:[0,1]
	s_wait_dscnt 0x0
	v_pk_mul_f32 v[130:131], v[126:127], v[118:119] op_sel:[0,1]
	s_delay_alu instid0(VALU_DEP_1) | instskip(SKIP_1) | instid1(VALU_DEP_1)
	v_pk_fma_f32 v[132:133], v[126:127], v[116:117], v[130:131] op_sel:[0,0,1] op_sel_hi:[1,1,0] neg_lo:[0,0,1] neg_hi:[0,0,1]
	v_pk_fma_f32 v[126:127], v[126:127], v[116:117], v[130:131] op_sel:[0,0,1] op_sel_hi:[1,0,0]
	v_mov_b32_e32 v133, v127
	v_pk_mul_f32 v[126:127], v[128:129], v[118:119] op_sel:[0,1]
	s_delay_alu instid0(VALU_DEP_1) | instskip(SKIP_1) | instid1(VALU_DEP_1)
	v_pk_fma_f32 v[130:131], v[128:129], v[116:117], v[126:127] op_sel:[0,0,1] op_sel_hi:[1,1,0] neg_lo:[0,0,1] neg_hi:[0,0,1]
	v_pk_fma_f32 v[126:127], v[128:129], v[116:117], v[126:127] op_sel:[0,0,1] op_sel_hi:[1,0,0]
	v_mov_b32_e32 v131, v127
	ds_load_2addr_b64 v[126:129], v120 offset0:28 offset1:29
	v_pk_add_f32 v[36:37], v[36:37], v[132:133] neg_lo:[0,1] neg_hi:[0,1]
	v_pk_add_f32 v[32:33], v[32:33], v[130:131] neg_lo:[0,1] neg_hi:[0,1]
	s_wait_dscnt 0x0
	v_dual_mul_f32 v130, v127, v119 :: v_dual_mul_f32 v132, v127, v116
	s_delay_alu instid0(VALU_DEP_1) | instskip(NEXT) | instid1(VALU_DEP_2)
	v_pk_fma_f32 v[130:131], v[126:127], v[102:103], v[130:131] op_sel_hi:[1,1,0] neg_lo:[0,0,1] neg_hi:[0,0,1]
	v_pk_fma_f32 v[126:127], v[126:127], v[102:103], v[132:133] op_sel:[1,0,0] op_sel_hi:[0,1,0]
	s_delay_alu instid0(VALU_DEP_1) | instskip(SKIP_1) | instid1(VALU_DEP_2)
	v_mov_b32_e32 v131, v127
	v_pk_mul_f32 v[126:127], v[128:129], v[118:119] op_sel:[0,1]
	v_pk_add_f32 v[80:81], v[80:81], v[130:131] neg_lo:[0,1] neg_hi:[0,1]
	s_delay_alu instid0(VALU_DEP_2) | instskip(SKIP_1) | instid1(VALU_DEP_1)
	v_pk_fma_f32 v[130:131], v[128:129], v[116:117], v[126:127] op_sel:[0,0,1] op_sel_hi:[1,1,0] neg_lo:[0,0,1] neg_hi:[0,0,1]
	v_pk_fma_f32 v[126:127], v[128:129], v[116:117], v[126:127] op_sel:[0,0,1] op_sel_hi:[1,0,0]
	v_mov_b32_e32 v131, v127
	ds_load_2addr_b64 v[126:129], v120 offset0:30 offset1:31
	v_pk_add_f32 v[78:79], v[78:79], v[130:131] neg_lo:[0,1] neg_hi:[0,1]
	s_wait_dscnt 0x0
	v_pk_mul_f32 v[130:131], v[126:127], v[118:119] op_sel:[0,1]
	s_delay_alu instid0(VALU_DEP_1) | instskip(SKIP_1) | instid1(VALU_DEP_1)
	v_pk_fma_f32 v[132:133], v[126:127], v[116:117], v[130:131] op_sel:[0,0,1] op_sel_hi:[1,1,0] neg_lo:[0,0,1] neg_hi:[0,0,1]
	v_pk_fma_f32 v[126:127], v[126:127], v[116:117], v[130:131] op_sel:[0,0,1] op_sel_hi:[1,0,0]
	v_mov_b32_e32 v133, v127
	v_pk_mul_f32 v[126:127], v[128:129], v[118:119] op_sel:[0,1]
	s_delay_alu instid0(VALU_DEP_2) | instskip(NEXT) | instid1(VALU_DEP_2)
	v_pk_add_f32 v[28:29], v[28:29], v[132:133] neg_lo:[0,1] neg_hi:[0,1]
	v_pk_fma_f32 v[130:131], v[128:129], v[116:117], v[126:127] op_sel:[0,0,1] op_sel_hi:[1,1,0] neg_lo:[0,0,1] neg_hi:[0,0,1]
	v_pk_fma_f32 v[126:127], v[128:129], v[116:117], v[126:127] op_sel:[0,0,1] op_sel_hi:[1,0,0]
	s_delay_alu instid0(VALU_DEP_1) | instskip(SKIP_4) | instid1(VALU_DEP_1)
	v_mov_b32_e32 v131, v127
	ds_load_2addr_b64 v[126:129], v120 offset0:32 offset1:33
	v_pk_add_f32 v[26:27], v[26:27], v[130:131] neg_lo:[0,1] neg_hi:[0,1]
	s_wait_dscnt 0x0
	v_pk_mul_f32 v[130:131], v[126:127], v[118:119] op_sel:[0,1]
	v_pk_fma_f32 v[132:133], v[126:127], v[116:117], v[130:131] op_sel:[0,0,1] op_sel_hi:[1,1,0] neg_lo:[0,0,1] neg_hi:[0,0,1]
	v_pk_fma_f32 v[126:127], v[126:127], v[116:117], v[130:131] op_sel:[0,0,1] op_sel_hi:[1,0,0]
	v_dual_mul_f32 v130, v129, v119 :: v_dual_mov_b32 v126, v129
	s_delay_alu instid0(VALU_DEP_2) | instskip(NEXT) | instid1(VALU_DEP_2)
	v_dual_mov_b32 v133, v127 :: v_dual_mov_b32 v127, v128
	v_pk_fma_f32 v[130:131], v[128:129], v[102:103], v[130:131] op_sel_hi:[1,1,0] neg_lo:[0,0,1] neg_hi:[0,0,1]
	v_mul_f32_e32 v128, v129, v116
	s_delay_alu instid0(VALU_DEP_3) | instskip(NEXT) | instid1(VALU_DEP_2)
	v_pk_add_f32 v[76:77], v[76:77], v[132:133] neg_lo:[0,1] neg_hi:[0,1]
	v_pk_fma_f32 v[126:127], v[126:127], v[102:103], v[128:129] op_sel_hi:[1,1,0]
	s_delay_alu instid0(VALU_DEP_1) | instskip(SKIP_4) | instid1(VALU_DEP_1)
	v_mov_b32_e32 v131, v127
	ds_load_2addr_b64 v[126:129], v120 offset0:34 offset1:35
	v_pk_add_f32 v[74:75], v[74:75], v[130:131] neg_lo:[0,1] neg_hi:[0,1]
	s_wait_dscnt 0x0
	v_pk_mul_f32 v[130:131], v[126:127], v[118:119] op_sel:[0,1]
	v_pk_fma_f32 v[132:133], v[126:127], v[116:117], v[130:131] op_sel:[0,0,1] op_sel_hi:[1,1,0] neg_lo:[0,0,1] neg_hi:[0,0,1]
	v_pk_fma_f32 v[126:127], v[126:127], v[116:117], v[130:131] op_sel:[0,0,1] op_sel_hi:[1,0,0]
	s_delay_alu instid0(VALU_DEP_1) | instskip(SKIP_1) | instid1(VALU_DEP_1)
	v_mov_b32_e32 v133, v127
	v_pk_mul_f32 v[126:127], v[128:129], v[118:119] op_sel:[0,1]
	v_pk_fma_f32 v[130:131], v[128:129], v[116:117], v[126:127] op_sel:[0,0,1] op_sel_hi:[1,1,0] neg_lo:[0,0,1] neg_hi:[0,0,1]
	v_pk_fma_f32 v[126:127], v[128:129], v[116:117], v[126:127] op_sel:[0,0,1] op_sel_hi:[1,0,0]
	s_delay_alu instid0(VALU_DEP_1)
	v_mov_b32_e32 v131, v127
	ds_load_2addr_b64 v[126:129], v120 offset0:36 offset1:37
	v_pk_add_f32 v[22:23], v[22:23], v[132:133] neg_lo:[0,1] neg_hi:[0,1]
	v_pk_add_f32 v[20:21], v[20:21], v[130:131] neg_lo:[0,1] neg_hi:[0,1]
	s_wait_dscnt 0x0
	v_pk_mul_f32 v[130:131], v[126:127], v[118:119] op_sel:[0,1]
	s_delay_alu instid0(VALU_DEP_1) | instskip(SKIP_1) | instid1(VALU_DEP_1)
	v_pk_fma_f32 v[132:133], v[126:127], v[116:117], v[130:131] op_sel:[0,0,1] op_sel_hi:[1,1,0] neg_lo:[0,0,1] neg_hi:[0,0,1]
	v_pk_fma_f32 v[126:127], v[126:127], v[116:117], v[130:131] op_sel:[0,0,1] op_sel_hi:[1,0,0]
	v_mov_b32_e32 v133, v127
	v_pk_mul_f32 v[126:127], v[128:129], v[118:119] op_sel:[0,1]
	s_delay_alu instid0(VALU_DEP_1) | instskip(SKIP_1) | instid1(VALU_DEP_1)
	v_pk_fma_f32 v[130:131], v[128:129], v[116:117], v[126:127] op_sel:[0,0,1] op_sel_hi:[1,1,0] neg_lo:[0,0,1] neg_hi:[0,0,1]
	v_pk_fma_f32 v[126:127], v[128:129], v[116:117], v[126:127] op_sel:[0,0,1] op_sel_hi:[1,0,0]
	v_mov_b32_e32 v131, v127
	ds_load_2addr_b64 v[126:129], v120 offset0:38 offset1:39
	v_pk_add_f32 v[72:73], v[72:73], v[132:133] neg_lo:[0,1] neg_hi:[0,1]
	v_pk_add_f32 v[70:71], v[70:71], v[130:131] neg_lo:[0,1] neg_hi:[0,1]
	s_wait_dscnt 0x0
	v_dual_mul_f32 v130, v127, v119 :: v_dual_mul_f32 v132, v127, v116
	s_delay_alu instid0(VALU_DEP_1) | instskip(NEXT) | instid1(VALU_DEP_2)
	v_pk_fma_f32 v[130:131], v[126:127], v[102:103], v[130:131] op_sel_hi:[1,1,0] neg_lo:[0,0,1] neg_hi:[0,0,1]
	v_pk_fma_f32 v[126:127], v[126:127], v[102:103], v[132:133] op_sel:[1,0,0] op_sel_hi:[0,1,0]
	s_delay_alu instid0(VALU_DEP_1) | instskip(SKIP_1) | instid1(VALU_DEP_2)
	v_mov_b32_e32 v131, v127
	v_pk_mul_f32 v[126:127], v[128:129], v[118:119] op_sel:[0,1]
	v_pk_add_f32 v[18:19], v[18:19], v[130:131] neg_lo:[0,1] neg_hi:[0,1]
	s_delay_alu instid0(VALU_DEP_2) | instskip(SKIP_1) | instid1(VALU_DEP_1)
	v_pk_fma_f32 v[130:131], v[128:129], v[116:117], v[126:127] op_sel:[0,0,1] op_sel_hi:[1,1,0] neg_lo:[0,0,1] neg_hi:[0,0,1]
	v_pk_fma_f32 v[126:127], v[128:129], v[116:117], v[126:127] op_sel:[0,0,1] op_sel_hi:[1,0,0]
	v_mov_b32_e32 v131, v127
	ds_load_2addr_b64 v[126:129], v120 offset0:40 offset1:41
	v_pk_add_f32 v[16:17], v[16:17], v[130:131] neg_lo:[0,1] neg_hi:[0,1]
	s_wait_dscnt 0x0
	v_pk_mul_f32 v[130:131], v[126:127], v[118:119] op_sel:[0,1]
	s_delay_alu instid0(VALU_DEP_1) | instskip(SKIP_1) | instid1(VALU_DEP_1)
	v_pk_fma_f32 v[132:133], v[126:127], v[116:117], v[130:131] op_sel:[0,0,1] op_sel_hi:[1,1,0] neg_lo:[0,0,1] neg_hi:[0,0,1]
	v_pk_fma_f32 v[126:127], v[126:127], v[116:117], v[130:131] op_sel:[0,0,1] op_sel_hi:[1,0,0]
	v_mov_b32_e32 v133, v127
	v_pk_mul_f32 v[126:127], v[128:129], v[118:119] op_sel:[0,1]
	s_delay_alu instid0(VALU_DEP_2) | instskip(NEXT) | instid1(VALU_DEP_2)
	v_pk_add_f32 v[68:69], v[68:69], v[132:133] neg_lo:[0,1] neg_hi:[0,1]
	v_pk_fma_f32 v[130:131], v[128:129], v[116:117], v[126:127] op_sel:[0,0,1] op_sel_hi:[1,1,0] neg_lo:[0,0,1] neg_hi:[0,0,1]
	v_pk_fma_f32 v[126:127], v[128:129], v[116:117], v[126:127] op_sel:[0,0,1] op_sel_hi:[1,0,0]
	s_delay_alu instid0(VALU_DEP_1) | instskip(SKIP_4) | instid1(VALU_DEP_1)
	v_mov_b32_e32 v131, v127
	ds_load_2addr_b64 v[126:129], v120 offset0:42 offset1:43
	v_pk_add_f32 v[66:67], v[66:67], v[130:131] neg_lo:[0,1] neg_hi:[0,1]
	s_wait_dscnt 0x0
	v_pk_mul_f32 v[130:131], v[126:127], v[118:119] op_sel:[0,1]
	v_pk_fma_f32 v[132:133], v[126:127], v[116:117], v[130:131] op_sel:[0,0,1] op_sel_hi:[1,1,0] neg_lo:[0,0,1] neg_hi:[0,0,1]
	v_pk_fma_f32 v[126:127], v[126:127], v[116:117], v[130:131] op_sel:[0,0,1] op_sel_hi:[1,0,0]
	v_dual_mul_f32 v130, v129, v119 :: v_dual_mov_b32 v126, v129
	s_delay_alu instid0(VALU_DEP_2) | instskip(NEXT) | instid1(VALU_DEP_2)
	v_dual_mov_b32 v133, v127 :: v_dual_mov_b32 v127, v128
	v_pk_fma_f32 v[130:131], v[128:129], v[102:103], v[130:131] op_sel_hi:[1,1,0] neg_lo:[0,0,1] neg_hi:[0,0,1]
	v_mul_f32_e32 v128, v129, v116
	s_delay_alu instid0(VALU_DEP_3) | instskip(NEXT) | instid1(VALU_DEP_2)
	v_pk_add_f32 v[14:15], v[14:15], v[132:133] neg_lo:[0,1] neg_hi:[0,1]
	v_pk_fma_f32 v[126:127], v[126:127], v[102:103], v[128:129] op_sel_hi:[1,1,0]
	s_delay_alu instid0(VALU_DEP_1) | instskip(SKIP_4) | instid1(VALU_DEP_1)
	v_mov_b32_e32 v131, v127
	ds_load_2addr_b64 v[126:129], v120 offset0:44 offset1:45
	v_pk_add_f32 v[12:13], v[12:13], v[130:131] neg_lo:[0,1] neg_hi:[0,1]
	s_wait_dscnt 0x0
	v_pk_mul_f32 v[130:131], v[126:127], v[118:119] op_sel:[0,1]
	v_pk_fma_f32 v[132:133], v[126:127], v[116:117], v[130:131] op_sel:[0,0,1] op_sel_hi:[1,1,0] neg_lo:[0,0,1] neg_hi:[0,0,1]
	v_pk_fma_f32 v[126:127], v[126:127], v[116:117], v[130:131] op_sel:[0,0,1] op_sel_hi:[1,0,0]
	s_delay_alu instid0(VALU_DEP_1) | instskip(SKIP_1) | instid1(VALU_DEP_1)
	v_mov_b32_e32 v133, v127
	v_pk_mul_f32 v[126:127], v[128:129], v[118:119] op_sel:[0,1]
	v_pk_fma_f32 v[130:131], v[128:129], v[116:117], v[126:127] op_sel:[0,0,1] op_sel_hi:[1,1,0] neg_lo:[0,0,1] neg_hi:[0,0,1]
	v_pk_fma_f32 v[126:127], v[128:129], v[116:117], v[126:127] op_sel:[0,0,1] op_sel_hi:[1,0,0]
	s_delay_alu instid0(VALU_DEP_1)
	v_mov_b32_e32 v131, v127
	ds_load_2addr_b64 v[126:129], v120 offset0:46 offset1:47
	v_pk_add_f32 v[64:65], v[64:65], v[132:133] neg_lo:[0,1] neg_hi:[0,1]
	v_pk_add_f32 v[62:63], v[62:63], v[130:131] neg_lo:[0,1] neg_hi:[0,1]
	s_wait_dscnt 0x0
	v_pk_mul_f32 v[130:131], v[126:127], v[118:119] op_sel:[0,1]
	s_delay_alu instid0(VALU_DEP_1) | instskip(SKIP_1) | instid1(VALU_DEP_1)
	v_pk_fma_f32 v[132:133], v[126:127], v[116:117], v[130:131] op_sel:[0,0,1] op_sel_hi:[1,1,0] neg_lo:[0,0,1] neg_hi:[0,0,1]
	v_pk_fma_f32 v[126:127], v[126:127], v[116:117], v[130:131] op_sel:[0,0,1] op_sel_hi:[1,0,0]
	v_mov_b32_e32 v133, v127
	v_pk_mul_f32 v[126:127], v[128:129], v[118:119] op_sel:[0,1]
	s_delay_alu instid0(VALU_DEP_1) | instskip(SKIP_1) | instid1(VALU_DEP_1)
	v_pk_fma_f32 v[130:131], v[128:129], v[116:117], v[126:127] op_sel:[0,0,1] op_sel_hi:[1,1,0] neg_lo:[0,0,1] neg_hi:[0,0,1]
	v_pk_fma_f32 v[126:127], v[128:129], v[116:117], v[126:127] op_sel:[0,0,1] op_sel_hi:[1,0,0]
	v_mov_b32_e32 v131, v127
	ds_load_2addr_b64 v[126:129], v120 offset0:48 offset1:49
	v_pk_add_f32 v[10:11], v[10:11], v[132:133] neg_lo:[0,1] neg_hi:[0,1]
	v_pk_add_f32 v[6:7], v[6:7], v[130:131] neg_lo:[0,1] neg_hi:[0,1]
	s_wait_dscnt 0x0
	v_dual_mul_f32 v130, v127, v119 :: v_dual_mul_f32 v132, v127, v116
	s_delay_alu instid0(VALU_DEP_1) | instskip(NEXT) | instid1(VALU_DEP_2)
	v_pk_fma_f32 v[130:131], v[126:127], v[102:103], v[130:131] op_sel_hi:[1,1,0] neg_lo:[0,0,1] neg_hi:[0,0,1]
	v_pk_fma_f32 v[126:127], v[126:127], v[102:103], v[132:133] op_sel:[1,0,0] op_sel_hi:[0,1,0]
	s_delay_alu instid0(VALU_DEP_1) | instskip(SKIP_1) | instid1(VALU_DEP_2)
	v_mov_b32_e32 v131, v127
	v_pk_mul_f32 v[126:127], v[128:129], v[118:119] op_sel:[0,1]
	v_pk_add_f32 v[52:53], v[52:53], v[130:131] neg_lo:[0,1] neg_hi:[0,1]
	s_delay_alu instid0(VALU_DEP_2) | instskip(SKIP_1) | instid1(VALU_DEP_1)
	v_pk_fma_f32 v[130:131], v[128:129], v[116:117], v[126:127] op_sel:[0,0,1] op_sel_hi:[1,1,0] neg_lo:[0,0,1] neg_hi:[0,0,1]
	v_pk_fma_f32 v[126:127], v[128:129], v[116:117], v[126:127] op_sel:[0,0,1] op_sel_hi:[1,0,0]
	v_mov_b32_e32 v131, v127
	ds_load_2addr_b64 v[126:129], v120 offset0:50 offset1:51
	v_pk_add_f32 v[50:51], v[50:51], v[130:131] neg_lo:[0,1] neg_hi:[0,1]
	s_wait_dscnt 0x0
	v_pk_mul_f32 v[130:131], v[126:127], v[118:119] op_sel:[0,1]
	s_delay_alu instid0(VALU_DEP_1) | instskip(SKIP_1) | instid1(VALU_DEP_1)
	v_pk_fma_f32 v[132:133], v[126:127], v[116:117], v[130:131] op_sel:[0,0,1] op_sel_hi:[1,1,0] neg_lo:[0,0,1] neg_hi:[0,0,1]
	v_pk_fma_f32 v[126:127], v[126:127], v[116:117], v[130:131] op_sel:[0,0,1] op_sel_hi:[1,0,0]
	v_mov_b32_e32 v133, v127
	v_pk_mul_f32 v[126:127], v[128:129], v[118:119] op_sel:[0,1]
	s_delay_alu instid0(VALU_DEP_2) | instskip(NEXT) | instid1(VALU_DEP_2)
	v_pk_add_f32 v[8:9], v[8:9], v[132:133] neg_lo:[0,1] neg_hi:[0,1]
	v_pk_fma_f32 v[130:131], v[128:129], v[116:117], v[126:127] op_sel:[0,0,1] op_sel_hi:[1,1,0] neg_lo:[0,0,1] neg_hi:[0,0,1]
	v_pk_fma_f32 v[126:127], v[128:129], v[116:117], v[126:127] op_sel:[0,0,1] op_sel_hi:[1,0,0]
	s_delay_alu instid0(VALU_DEP_1) | instskip(SKIP_4) | instid1(VALU_DEP_1)
	v_mov_b32_e32 v131, v127
	ds_load_2addr_b64 v[126:129], v120 offset0:52 offset1:53
	v_pk_add_f32 v[30:31], v[30:31], v[130:131] neg_lo:[0,1] neg_hi:[0,1]
	s_wait_dscnt 0x0
	v_pk_mul_f32 v[130:131], v[126:127], v[118:119] op_sel:[0,1]
	v_pk_fma_f32 v[132:133], v[126:127], v[116:117], v[130:131] op_sel:[0,0,1] op_sel_hi:[1,1,0] neg_lo:[0,0,1] neg_hi:[0,0,1]
	v_pk_fma_f32 v[126:127], v[126:127], v[116:117], v[130:131] op_sel:[0,0,1] op_sel_hi:[1,0,0]
	v_dual_mul_f32 v130, v129, v119 :: v_dual_mov_b32 v126, v129
	s_delay_alu instid0(VALU_DEP_2) | instskip(NEXT) | instid1(VALU_DEP_2)
	v_dual_mov_b32 v133, v127 :: v_dual_mov_b32 v127, v128
	v_pk_fma_f32 v[130:131], v[128:129], v[102:103], v[130:131] op_sel_hi:[1,1,0] neg_lo:[0,0,1] neg_hi:[0,0,1]
	v_mul_f32_e32 v128, v129, v116
	s_delay_alu instid0(VALU_DEP_3) | instskip(NEXT) | instid1(VALU_DEP_2)
	v_pk_add_f32 v[34:35], v[34:35], v[132:133] neg_lo:[0,1] neg_hi:[0,1]
	v_pk_fma_f32 v[126:127], v[126:127], v[102:103], v[128:129] op_sel_hi:[1,1,0]
	s_delay_alu instid0(VALU_DEP_1) | instskip(SKIP_4) | instid1(VALU_DEP_1)
	v_mov_b32_e32 v131, v127
	ds_load_b64 v[126:127], v120 offset:432
	v_pk_add_f32 v[24:25], v[24:25], v[130:131] neg_lo:[0,1] neg_hi:[0,1]
	s_wait_dscnt 0x0
	v_pk_mul_f32 v[118:119], v[126:127], v[118:119] op_sel:[0,1]
	v_pk_fma_f32 v[128:129], v[126:127], v[116:117], v[118:119] op_sel:[0,0,1] op_sel_hi:[1,1,0] neg_lo:[0,0,1] neg_hi:[0,0,1]
	v_pk_fma_f32 v[116:117], v[126:127], v[116:117], v[118:119] op_sel:[0,0,1] op_sel_hi:[1,0,0]
	s_delay_alu instid0(VALU_DEP_1) | instskip(NEXT) | instid1(VALU_DEP_1)
	v_mov_b32_e32 v129, v117
	v_pk_add_f32 v[114:115], v[114:115], v[128:129] neg_lo:[0,1] neg_hi:[0,1]
.LBB108_209:
	s_or_b32 exec_lo, exec_lo, s0
	v_lshl_add_u32 v116, v124, 3, v120
	s_barrier_signal -1
	s_barrier_wait -1
	ds_store_b64 v116, v[60:61]
	s_wait_dscnt 0x0
	s_barrier_signal -1
	s_barrier_wait -1
	ds_load_b64 v[118:119], v120 offset:80
	v_mov_b32_e32 v116, 10
	s_cmp_lt_i32 s18, 12
	s_cbranch_scc1 .LBB108_212
; %bb.210:
	v_add3_u32 v117, v121, 0, 0x58
	v_mov_b32_e32 v116, 10
	s_mov_b32 s0, 11
.LBB108_211:                            ; =>This Inner Loop Header: Depth=1
	ds_load_b64 v[126:127], v117
	s_wait_dscnt 0x1
	v_cmp_gt_f32_e32 vcc_lo, 0, v118
	v_cndmask_b32_e64 v128, v118, -v118, vcc_lo
	v_cmp_gt_f32_e32 vcc_lo, 0, v119
	v_cndmask_b32_e64 v130, v119, -v119, vcc_lo
	s_wait_dscnt 0x0
	v_cmp_gt_f32_e32 vcc_lo, 0, v126
	v_cndmask_b32_e64 v129, v126, -v126, vcc_lo
	v_cmp_gt_f32_e32 vcc_lo, 0, v127
	v_cndmask_b32_e64 v131, v127, -v127, vcc_lo
	s_delay_alu instid0(VALU_DEP_1) | instskip(NEXT) | instid1(VALU_DEP_1)
	v_pk_add_f32 v[128:129], v[128:129], v[130:131]
	v_cmp_lt_f32_e32 vcc_lo, v128, v129
	v_dual_add_nc_u32 v117, 8, v117 :: v_dual_cndmask_b32 v119, v119, v127, vcc_lo
	v_cndmask_b32_e32 v118, v118, v126, vcc_lo
	v_cndmask_b32_e64 v116, v116, s0, vcc_lo
	s_add_co_i32 s0, s0, 1
	s_delay_alu instid0(SALU_CYCLE_1)
	s_cmp_lg_u32 s18, s0
	s_cbranch_scc1 .LBB108_211
.LBB108_212:
	s_wait_dscnt 0x0
	v_cmp_eq_f32_e32 vcc_lo, 0, v118
	v_cmp_eq_f32_e64 s0, 0, v119
	s_and_b32 s0, vcc_lo, s0
	s_delay_alu instid0(SALU_CYCLE_1) | instskip(NEXT) | instid1(SALU_CYCLE_1)
	s_and_saveexec_b32 s1, s0
	s_xor_b32 s0, exec_lo, s1
; %bb.213:
	v_cmp_ne_u32_e32 vcc_lo, 0, v122
	v_cndmask_b32_e32 v122, 11, v122, vcc_lo
; %bb.214:
	s_and_not1_saveexec_b32 s0, s0
	s_cbranch_execz .LBB108_220
; %bb.215:
	v_cmp_ngt_f32_e64 s1, |v118|, |v119|
	s_and_saveexec_b32 s12, s1
	s_delay_alu instid0(SALU_CYCLE_1)
	s_xor_b32 s1, exec_lo, s12
	s_cbranch_execz .LBB108_217
; %bb.216:
	v_div_scale_f32 v117, null, v119, v119, v118
	v_div_scale_f32 v127, vcc_lo, v118, v119, v118
	s_delay_alu instid0(VALU_DEP_2) | instskip(SKIP_1) | instid1(TRANS32_DEP_1)
	v_rcp_f32_e32 v125, v117
	v_nop
	v_fma_f32 v126, -v117, v125, 1.0
	s_delay_alu instid0(VALU_DEP_1) | instskip(NEXT) | instid1(VALU_DEP_1)
	v_fmac_f32_e32 v125, v126, v125
	v_mul_f32_e32 v126, v127, v125
	s_delay_alu instid0(VALU_DEP_1) | instskip(NEXT) | instid1(VALU_DEP_1)
	v_fma_f32 v128, -v117, v126, v127
	v_fmac_f32_e32 v126, v128, v125
	s_delay_alu instid0(VALU_DEP_1) | instskip(NEXT) | instid1(VALU_DEP_1)
	v_fma_f32 v117, -v117, v126, v127
	v_div_fmas_f32 v117, v117, v125, v126
	s_delay_alu instid0(VALU_DEP_1) | instskip(NEXT) | instid1(VALU_DEP_1)
	v_div_fixup_f32 v117, v117, v119, v118
	v_fmac_f32_e32 v119, v118, v117
	s_delay_alu instid0(VALU_DEP_1) | instskip(SKIP_1) | instid1(VALU_DEP_2)
	v_div_scale_f32 v118, null, v119, v119, 1.0
	v_div_scale_f32 v127, vcc_lo, 1.0, v119, 1.0
	v_rcp_f32_e32 v125, v118
	v_nop
	s_delay_alu instid0(TRANS32_DEP_1) | instskip(NEXT) | instid1(VALU_DEP_1)
	v_fma_f32 v126, -v118, v125, 1.0
	v_fmac_f32_e32 v125, v126, v125
	s_delay_alu instid0(VALU_DEP_1) | instskip(NEXT) | instid1(VALU_DEP_1)
	v_mul_f32_e32 v126, v127, v125
	v_fma_f32 v128, -v118, v126, v127
	s_delay_alu instid0(VALU_DEP_1) | instskip(NEXT) | instid1(VALU_DEP_1)
	v_fmac_f32_e32 v126, v128, v125
	v_fma_f32 v118, -v118, v126, v127
	s_delay_alu instid0(VALU_DEP_1) | instskip(NEXT) | instid1(VALU_DEP_1)
	v_div_fmas_f32 v118, v118, v125, v126
	v_div_fixup_f32 v119, v118, v119, 1.0
	s_delay_alu instid0(VALU_DEP_1)
	v_mul_f32_e32 v118, v117, v119
	v_xor_b32_e32 v119, 0x80000000, v119
.LBB108_217:
	s_and_not1_saveexec_b32 s1, s1
	s_cbranch_execz .LBB108_219
; %bb.218:
	s_delay_alu instid0(VALU_DEP_1) | instskip(SKIP_1) | instid1(VALU_DEP_2)
	v_div_scale_f32 v117, null, v118, v118, v119
	v_div_scale_f32 v127, vcc_lo, v119, v118, v119
	v_rcp_f32_e32 v125, v117
	v_nop
	s_delay_alu instid0(TRANS32_DEP_1) | instskip(NEXT) | instid1(VALU_DEP_1)
	v_fma_f32 v126, -v117, v125, 1.0
	v_fmac_f32_e32 v125, v126, v125
	s_delay_alu instid0(VALU_DEP_1) | instskip(NEXT) | instid1(VALU_DEP_1)
	v_mul_f32_e32 v126, v127, v125
	v_fma_f32 v128, -v117, v126, v127
	s_delay_alu instid0(VALU_DEP_1) | instskip(NEXT) | instid1(VALU_DEP_1)
	v_fmac_f32_e32 v126, v128, v125
	v_fma_f32 v117, -v117, v126, v127
	s_delay_alu instid0(VALU_DEP_1) | instskip(NEXT) | instid1(VALU_DEP_1)
	v_div_fmas_f32 v117, v117, v125, v126
	v_div_fixup_f32 v117, v117, v118, v119
	s_delay_alu instid0(VALU_DEP_1) | instskip(NEXT) | instid1(VALU_DEP_1)
	v_fmac_f32_e32 v118, v119, v117
	v_div_scale_f32 v119, null, v118, v118, 1.0
	s_delay_alu instid0(VALU_DEP_1) | instskip(SKIP_1) | instid1(TRANS32_DEP_1)
	v_rcp_f32_e32 v125, v119
	v_nop
	v_fma_f32 v126, -v119, v125, 1.0
	s_delay_alu instid0(VALU_DEP_1) | instskip(SKIP_1) | instid1(VALU_DEP_1)
	v_fmac_f32_e32 v125, v126, v125
	v_div_scale_f32 v126, vcc_lo, 1.0, v118, 1.0
	v_mul_f32_e32 v127, v126, v125
	s_delay_alu instid0(VALU_DEP_1) | instskip(NEXT) | instid1(VALU_DEP_1)
	v_fma_f32 v128, -v119, v127, v126
	v_fmac_f32_e32 v127, v128, v125
	s_delay_alu instid0(VALU_DEP_1) | instskip(NEXT) | instid1(VALU_DEP_1)
	v_fma_f32 v119, -v119, v127, v126
	v_div_fmas_f32 v119, v119, v125, v127
	s_delay_alu instid0(VALU_DEP_1) | instskip(NEXT) | instid1(VALU_DEP_1)
	v_div_fixup_f32 v118, v119, v118, 1.0
	v_mul_f32_e64 v119, v117, -v118
.LBB108_219:
	s_or_b32 exec_lo, exec_lo, s1
.LBB108_220:
	s_delay_alu instid0(SALU_CYCLE_1) | instskip(NEXT) | instid1(SALU_CYCLE_1)
	s_or_b32 exec_lo, exec_lo, s0
	s_mov_b32 s0, exec_lo
	v_cmpx_ne_u32_e64 v124, v116
	s_xor_b32 s0, exec_lo, s0
	s_cbranch_execz .LBB108_226
; %bb.221:
	s_mov_b32 s1, exec_lo
	v_cmpx_eq_u32_e32 10, v124
	s_cbranch_execz .LBB108_225
; %bb.222:
	v_cmp_ne_u32_e32 vcc_lo, 10, v116
	s_xor_b32 s12, s16, -1
	s_delay_alu instid0(SALU_CYCLE_1) | instskip(NEXT) | instid1(SALU_CYCLE_1)
	s_and_b32 s13, s12, vcc_lo
	s_and_saveexec_b32 s12, s13
	s_cbranch_execz .LBB108_224
; %bb.223:
	v_ashrrev_i32_e32 v117, 31, v116
	s_delay_alu instid0(VALU_DEP_1)
	v_lshl_add_u64 v[124:125], v[116:117], 2, v[4:5]
	s_clause 0x1
	global_load_b32 v117, v[124:125], off
	global_load_b32 v123, v[4:5], off offset:40
	s_wait_loadcnt 0x1
	global_store_b32 v[4:5], v117, off offset:40
	s_wait_loadcnt 0x0
	global_store_b32 v[124:125], v123, off
.LBB108_224:
	s_wait_xcnt 0x0
	s_or_b32 exec_lo, exec_lo, s12
	v_dual_mov_b32 v124, v116 :: v_dual_mov_b32 v123, v116
.LBB108_225:
	s_or_b32 exec_lo, exec_lo, s1
.LBB108_226:
	s_and_not1_saveexec_b32 s0, s0
	s_cbranch_execz .LBB108_228
; %bb.227:
	v_mov_b32_e32 v124, 10
	ds_store_2addr_b64 v120, v[58:59], v[100:101] offset0:11 offset1:12
	ds_store_2addr_b64 v120, v[98:99], v[56:57] offset0:13 offset1:14
	;; [unrolled: 1-line block ×22, first 2 shown]
.LBB108_228:
	s_or_b32 exec_lo, exec_lo, s0
	s_delay_alu instid0(SALU_CYCLE_1)
	s_mov_b32 s0, exec_lo
	s_wait_storecnt_dscnt 0x0
	s_barrier_signal -1
	s_barrier_wait -1
	v_cmpx_lt_i32_e32 10, v124
	s_cbranch_execz .LBB108_230
; %bb.229:
	v_pk_mul_f32 v[126:127], v[118:119], v[60:61] op_sel:[1,1] op_sel_hi:[0,1]
	s_delay_alu instid0(VALU_DEP_1)
	v_pk_fma_f32 v[116:117], v[118:119], v[60:61], v[126:127] op_sel_hi:[1,0,1] neg_lo:[0,0,1] neg_hi:[0,0,1]
	v_pk_fma_f32 v[118:119], v[118:119], v[60:61], v[126:127] op_sel_hi:[1,0,1]
	ds_load_2addr_b64 v[126:129], v120 offset0:11 offset1:12
	v_dual_mov_b32 v60, v116 :: v_dual_mov_b32 v61, v119
	s_wait_dscnt 0x0
	v_pk_mul_f32 v[130:131], v[126:127], v[118:119] op_sel:[0,1]
	s_delay_alu instid0(VALU_DEP_1) | instskip(SKIP_1) | instid1(VALU_DEP_1)
	v_pk_fma_f32 v[132:133], v[126:127], v[116:117], v[130:131] op_sel:[0,0,1] op_sel_hi:[1,1,0] neg_lo:[0,0,1] neg_hi:[0,0,1]
	v_pk_fma_f32 v[126:127], v[126:127], v[116:117], v[130:131] op_sel:[0,0,1] op_sel_hi:[1,0,0]
	v_mov_b32_e32 v133, v127
	v_pk_mul_f32 v[126:127], v[128:129], v[118:119] op_sel:[0,1]
	s_delay_alu instid0(VALU_DEP_1) | instskip(SKIP_1) | instid1(VALU_DEP_1)
	v_pk_fma_f32 v[130:131], v[128:129], v[116:117], v[126:127] op_sel:[0,0,1] op_sel_hi:[1,1,0] neg_lo:[0,0,1] neg_hi:[0,0,1]
	v_pk_fma_f32 v[126:127], v[128:129], v[116:117], v[126:127] op_sel:[0,0,1] op_sel_hi:[1,0,0]
	v_mov_b32_e32 v131, v127
	ds_load_2addr_b64 v[126:129], v120 offset0:13 offset1:14
	v_pk_add_f32 v[58:59], v[58:59], v[132:133] neg_lo:[0,1] neg_hi:[0,1]
	v_pk_add_f32 v[100:101], v[100:101], v[130:131] neg_lo:[0,1] neg_hi:[0,1]
	s_wait_dscnt 0x0
	v_pk_mul_f32 v[130:131], v[126:127], v[118:119] op_sel:[0,1]
	s_delay_alu instid0(VALU_DEP_1) | instskip(SKIP_2) | instid1(VALU_DEP_2)
	v_pk_fma_f32 v[132:133], v[126:127], v[116:117], v[130:131] op_sel:[0,0,1] op_sel_hi:[1,1,0] neg_lo:[0,0,1] neg_hi:[0,0,1]
	v_pk_fma_f32 v[126:127], v[126:127], v[116:117], v[130:131] op_sel:[0,0,1] op_sel_hi:[1,0,0]
	v_dual_mul_f32 v130, v129, v119 :: v_dual_mov_b32 v126, v129
	v_dual_mov_b32 v133, v127 :: v_dual_mov_b32 v127, v128
	s_delay_alu instid0(VALU_DEP_2) | instskip(SKIP_1) | instid1(VALU_DEP_3)
	v_pk_fma_f32 v[130:131], v[128:129], v[60:61], v[130:131] op_sel_hi:[1,1,0] neg_lo:[0,0,1] neg_hi:[0,0,1]
	v_mul_f32_e32 v128, v129, v116
	v_pk_add_f32 v[98:99], v[98:99], v[132:133] neg_lo:[0,1] neg_hi:[0,1]
	s_delay_alu instid0(VALU_DEP_2) | instskip(NEXT) | instid1(VALU_DEP_1)
	v_pk_fma_f32 v[126:127], v[126:127], v[60:61], v[128:129] op_sel_hi:[1,1,0]
	v_mov_b32_e32 v131, v127
	ds_load_2addr_b64 v[126:129], v120 offset0:15 offset1:16
	v_pk_add_f32 v[56:57], v[56:57], v[130:131] neg_lo:[0,1] neg_hi:[0,1]
	s_wait_dscnt 0x0
	v_pk_mul_f32 v[130:131], v[126:127], v[118:119] op_sel:[0,1]
	s_delay_alu instid0(VALU_DEP_1) | instskip(SKIP_1) | instid1(VALU_DEP_1)
	v_pk_fma_f32 v[132:133], v[126:127], v[116:117], v[130:131] op_sel:[0,0,1] op_sel_hi:[1,1,0] neg_lo:[0,0,1] neg_hi:[0,0,1]
	v_pk_fma_f32 v[126:127], v[126:127], v[116:117], v[130:131] op_sel:[0,0,1] op_sel_hi:[1,0,0]
	v_mov_b32_e32 v133, v127
	v_pk_mul_f32 v[126:127], v[128:129], v[118:119] op_sel:[0,1]
	s_delay_alu instid0(VALU_DEP_1) | instskip(SKIP_1) | instid1(VALU_DEP_1)
	v_pk_fma_f32 v[130:131], v[128:129], v[116:117], v[126:127] op_sel:[0,0,1] op_sel_hi:[1,1,0] neg_lo:[0,0,1] neg_hi:[0,0,1]
	v_pk_fma_f32 v[126:127], v[128:129], v[116:117], v[126:127] op_sel:[0,0,1] op_sel_hi:[1,0,0]
	v_mov_b32_e32 v131, v127
	ds_load_2addr_b64 v[126:129], v120 offset0:17 offset1:18
	v_pk_add_f32 v[54:55], v[54:55], v[132:133] neg_lo:[0,1] neg_hi:[0,1]
	v_pk_add_f32 v[92:93], v[92:93], v[130:131] neg_lo:[0,1] neg_hi:[0,1]
	s_wait_dscnt 0x0
	v_pk_mul_f32 v[130:131], v[126:127], v[118:119] op_sel:[0,1]
	s_delay_alu instid0(VALU_DEP_1) | instskip(SKIP_1) | instid1(VALU_DEP_1)
	v_pk_fma_f32 v[132:133], v[126:127], v[116:117], v[130:131] op_sel:[0,0,1] op_sel_hi:[1,1,0] neg_lo:[0,0,1] neg_hi:[0,0,1]
	v_pk_fma_f32 v[126:127], v[126:127], v[116:117], v[130:131] op_sel:[0,0,1] op_sel_hi:[1,0,0]
	v_mov_b32_e32 v133, v127
	v_pk_mul_f32 v[126:127], v[128:129], v[118:119] op_sel:[0,1]
	s_delay_alu instid0(VALU_DEP_1) | instskip(SKIP_1) | instid1(VALU_DEP_1)
	v_pk_fma_f32 v[130:131], v[128:129], v[116:117], v[126:127] op_sel:[0,0,1] op_sel_hi:[1,1,0] neg_lo:[0,0,1] neg_hi:[0,0,1]
	v_pk_fma_f32 v[126:127], v[128:129], v[116:117], v[126:127] op_sel:[0,0,1] op_sel_hi:[1,0,0]
	v_mov_b32_e32 v131, v127
	ds_load_2addr_b64 v[126:129], v120 offset0:19 offset1:20
	v_pk_add_f32 v[90:91], v[90:91], v[132:133] neg_lo:[0,1] neg_hi:[0,1]
	v_pk_add_f32 v[44:45], v[44:45], v[130:131] neg_lo:[0,1] neg_hi:[0,1]
	s_wait_dscnt 0x0
	v_dual_mul_f32 v130, v127, v119 :: v_dual_mul_f32 v132, v127, v116
	s_delay_alu instid0(VALU_DEP_1) | instskip(NEXT) | instid1(VALU_DEP_2)
	v_pk_fma_f32 v[130:131], v[126:127], v[60:61], v[130:131] op_sel_hi:[1,1,0] neg_lo:[0,0,1] neg_hi:[0,0,1]
	v_pk_fma_f32 v[126:127], v[126:127], v[60:61], v[132:133] op_sel:[1,0,0] op_sel_hi:[0,1,0]
	s_delay_alu instid0(VALU_DEP_1) | instskip(SKIP_1) | instid1(VALU_DEP_2)
	v_mov_b32_e32 v131, v127
	v_pk_mul_f32 v[126:127], v[128:129], v[118:119] op_sel:[0,1]
	v_pk_add_f32 v[42:43], v[42:43], v[130:131] neg_lo:[0,1] neg_hi:[0,1]
	s_delay_alu instid0(VALU_DEP_2) | instskip(SKIP_1) | instid1(VALU_DEP_1)
	v_pk_fma_f32 v[130:131], v[128:129], v[116:117], v[126:127] op_sel:[0,0,1] op_sel_hi:[1,1,0] neg_lo:[0,0,1] neg_hi:[0,0,1]
	v_pk_fma_f32 v[126:127], v[128:129], v[116:117], v[126:127] op_sel:[0,0,1] op_sel_hi:[1,0,0]
	v_mov_b32_e32 v131, v127
	ds_load_2addr_b64 v[126:129], v120 offset0:21 offset1:22
	v_pk_add_f32 v[88:89], v[88:89], v[130:131] neg_lo:[0,1] neg_hi:[0,1]
	s_wait_dscnt 0x0
	v_pk_mul_f32 v[130:131], v[126:127], v[118:119] op_sel:[0,1]
	s_delay_alu instid0(VALU_DEP_1) | instskip(SKIP_1) | instid1(VALU_DEP_1)
	v_pk_fma_f32 v[132:133], v[126:127], v[116:117], v[130:131] op_sel:[0,0,1] op_sel_hi:[1,1,0] neg_lo:[0,0,1] neg_hi:[0,0,1]
	v_pk_fma_f32 v[126:127], v[126:127], v[116:117], v[130:131] op_sel:[0,0,1] op_sel_hi:[1,0,0]
	v_mov_b32_e32 v133, v127
	v_pk_mul_f32 v[126:127], v[128:129], v[118:119] op_sel:[0,1]
	s_delay_alu instid0(VALU_DEP_2) | instskip(NEXT) | instid1(VALU_DEP_2)
	v_pk_add_f32 v[86:87], v[86:87], v[132:133] neg_lo:[0,1] neg_hi:[0,1]
	v_pk_fma_f32 v[130:131], v[128:129], v[116:117], v[126:127] op_sel:[0,0,1] op_sel_hi:[1,1,0] neg_lo:[0,0,1] neg_hi:[0,0,1]
	v_pk_fma_f32 v[126:127], v[128:129], v[116:117], v[126:127] op_sel:[0,0,1] op_sel_hi:[1,0,0]
	s_delay_alu instid0(VALU_DEP_1) | instskip(SKIP_4) | instid1(VALU_DEP_1)
	v_mov_b32_e32 v131, v127
	ds_load_2addr_b64 v[126:129], v120 offset0:23 offset1:24
	v_pk_add_f32 v[40:41], v[40:41], v[130:131] neg_lo:[0,1] neg_hi:[0,1]
	s_wait_dscnt 0x0
	v_pk_mul_f32 v[130:131], v[126:127], v[118:119] op_sel:[0,1]
	v_pk_fma_f32 v[132:133], v[126:127], v[116:117], v[130:131] op_sel:[0,0,1] op_sel_hi:[1,1,0] neg_lo:[0,0,1] neg_hi:[0,0,1]
	v_pk_fma_f32 v[126:127], v[126:127], v[116:117], v[130:131] op_sel:[0,0,1] op_sel_hi:[1,0,0]
	v_dual_mul_f32 v130, v129, v119 :: v_dual_mov_b32 v126, v129
	s_delay_alu instid0(VALU_DEP_2) | instskip(NEXT) | instid1(VALU_DEP_2)
	v_dual_mov_b32 v133, v127 :: v_dual_mov_b32 v127, v128
	v_pk_fma_f32 v[130:131], v[128:129], v[60:61], v[130:131] op_sel_hi:[1,1,0] neg_lo:[0,0,1] neg_hi:[0,0,1]
	v_mul_f32_e32 v128, v129, v116
	s_delay_alu instid0(VALU_DEP_3) | instskip(NEXT) | instid1(VALU_DEP_2)
	v_pk_add_f32 v[38:39], v[38:39], v[132:133] neg_lo:[0,1] neg_hi:[0,1]
	v_pk_fma_f32 v[126:127], v[126:127], v[60:61], v[128:129] op_sel_hi:[1,1,0]
	s_delay_alu instid0(VALU_DEP_1) | instskip(SKIP_4) | instid1(VALU_DEP_1)
	v_mov_b32_e32 v131, v127
	ds_load_2addr_b64 v[126:129], v120 offset0:25 offset1:26
	v_pk_add_f32 v[84:85], v[84:85], v[130:131] neg_lo:[0,1] neg_hi:[0,1]
	s_wait_dscnt 0x0
	v_pk_mul_f32 v[130:131], v[126:127], v[118:119] op_sel:[0,1]
	v_pk_fma_f32 v[132:133], v[126:127], v[116:117], v[130:131] op_sel:[0,0,1] op_sel_hi:[1,1,0] neg_lo:[0,0,1] neg_hi:[0,0,1]
	v_pk_fma_f32 v[126:127], v[126:127], v[116:117], v[130:131] op_sel:[0,0,1] op_sel_hi:[1,0,0]
	s_delay_alu instid0(VALU_DEP_1) | instskip(SKIP_1) | instid1(VALU_DEP_1)
	v_mov_b32_e32 v133, v127
	v_pk_mul_f32 v[126:127], v[128:129], v[118:119] op_sel:[0,1]
	v_pk_fma_f32 v[130:131], v[128:129], v[116:117], v[126:127] op_sel:[0,0,1] op_sel_hi:[1,1,0] neg_lo:[0,0,1] neg_hi:[0,0,1]
	v_pk_fma_f32 v[126:127], v[128:129], v[116:117], v[126:127] op_sel:[0,0,1] op_sel_hi:[1,0,0]
	s_delay_alu instid0(VALU_DEP_1)
	v_mov_b32_e32 v131, v127
	ds_load_2addr_b64 v[126:129], v120 offset0:27 offset1:28
	v_pk_add_f32 v[82:83], v[82:83], v[132:133] neg_lo:[0,1] neg_hi:[0,1]
	v_pk_add_f32 v[36:37], v[36:37], v[130:131] neg_lo:[0,1] neg_hi:[0,1]
	s_wait_dscnt 0x0
	v_pk_mul_f32 v[130:131], v[126:127], v[118:119] op_sel:[0,1]
	s_delay_alu instid0(VALU_DEP_1) | instskip(SKIP_1) | instid1(VALU_DEP_1)
	v_pk_fma_f32 v[132:133], v[126:127], v[116:117], v[130:131] op_sel:[0,0,1] op_sel_hi:[1,1,0] neg_lo:[0,0,1] neg_hi:[0,0,1]
	v_pk_fma_f32 v[126:127], v[126:127], v[116:117], v[130:131] op_sel:[0,0,1] op_sel_hi:[1,0,0]
	v_mov_b32_e32 v133, v127
	v_pk_mul_f32 v[126:127], v[128:129], v[118:119] op_sel:[0,1]
	s_delay_alu instid0(VALU_DEP_1) | instskip(SKIP_1) | instid1(VALU_DEP_1)
	v_pk_fma_f32 v[130:131], v[128:129], v[116:117], v[126:127] op_sel:[0,0,1] op_sel_hi:[1,1,0] neg_lo:[0,0,1] neg_hi:[0,0,1]
	v_pk_fma_f32 v[126:127], v[128:129], v[116:117], v[126:127] op_sel:[0,0,1] op_sel_hi:[1,0,0]
	v_mov_b32_e32 v131, v127
	ds_load_2addr_b64 v[126:129], v120 offset0:29 offset1:30
	v_pk_add_f32 v[32:33], v[32:33], v[132:133] neg_lo:[0,1] neg_hi:[0,1]
	v_pk_add_f32 v[80:81], v[80:81], v[130:131] neg_lo:[0,1] neg_hi:[0,1]
	s_wait_dscnt 0x0
	v_dual_mul_f32 v130, v127, v119 :: v_dual_mul_f32 v132, v127, v116
	s_delay_alu instid0(VALU_DEP_1) | instskip(NEXT) | instid1(VALU_DEP_2)
	v_pk_fma_f32 v[130:131], v[126:127], v[60:61], v[130:131] op_sel_hi:[1,1,0] neg_lo:[0,0,1] neg_hi:[0,0,1]
	v_pk_fma_f32 v[126:127], v[126:127], v[60:61], v[132:133] op_sel:[1,0,0] op_sel_hi:[0,1,0]
	s_delay_alu instid0(VALU_DEP_1) | instskip(SKIP_1) | instid1(VALU_DEP_2)
	v_mov_b32_e32 v131, v127
	v_pk_mul_f32 v[126:127], v[128:129], v[118:119] op_sel:[0,1]
	v_pk_add_f32 v[78:79], v[78:79], v[130:131] neg_lo:[0,1] neg_hi:[0,1]
	s_delay_alu instid0(VALU_DEP_2) | instskip(SKIP_1) | instid1(VALU_DEP_1)
	v_pk_fma_f32 v[130:131], v[128:129], v[116:117], v[126:127] op_sel:[0,0,1] op_sel_hi:[1,1,0] neg_lo:[0,0,1] neg_hi:[0,0,1]
	v_pk_fma_f32 v[126:127], v[128:129], v[116:117], v[126:127] op_sel:[0,0,1] op_sel_hi:[1,0,0]
	v_mov_b32_e32 v131, v127
	ds_load_2addr_b64 v[126:129], v120 offset0:31 offset1:32
	v_pk_add_f32 v[28:29], v[28:29], v[130:131] neg_lo:[0,1] neg_hi:[0,1]
	s_wait_dscnt 0x0
	v_pk_mul_f32 v[130:131], v[126:127], v[118:119] op_sel:[0,1]
	s_delay_alu instid0(VALU_DEP_1) | instskip(SKIP_1) | instid1(VALU_DEP_1)
	v_pk_fma_f32 v[132:133], v[126:127], v[116:117], v[130:131] op_sel:[0,0,1] op_sel_hi:[1,1,0] neg_lo:[0,0,1] neg_hi:[0,0,1]
	v_pk_fma_f32 v[126:127], v[126:127], v[116:117], v[130:131] op_sel:[0,0,1] op_sel_hi:[1,0,0]
	v_mov_b32_e32 v133, v127
	v_pk_mul_f32 v[126:127], v[128:129], v[118:119] op_sel:[0,1]
	s_delay_alu instid0(VALU_DEP_2) | instskip(NEXT) | instid1(VALU_DEP_2)
	v_pk_add_f32 v[26:27], v[26:27], v[132:133] neg_lo:[0,1] neg_hi:[0,1]
	v_pk_fma_f32 v[130:131], v[128:129], v[116:117], v[126:127] op_sel:[0,0,1] op_sel_hi:[1,1,0] neg_lo:[0,0,1] neg_hi:[0,0,1]
	v_pk_fma_f32 v[126:127], v[128:129], v[116:117], v[126:127] op_sel:[0,0,1] op_sel_hi:[1,0,0]
	s_delay_alu instid0(VALU_DEP_1) | instskip(SKIP_4) | instid1(VALU_DEP_1)
	v_mov_b32_e32 v131, v127
	ds_load_2addr_b64 v[126:129], v120 offset0:33 offset1:34
	v_pk_add_f32 v[76:77], v[76:77], v[130:131] neg_lo:[0,1] neg_hi:[0,1]
	s_wait_dscnt 0x0
	v_pk_mul_f32 v[130:131], v[126:127], v[118:119] op_sel:[0,1]
	v_pk_fma_f32 v[132:133], v[126:127], v[116:117], v[130:131] op_sel:[0,0,1] op_sel_hi:[1,1,0] neg_lo:[0,0,1] neg_hi:[0,0,1]
	v_pk_fma_f32 v[126:127], v[126:127], v[116:117], v[130:131] op_sel:[0,0,1] op_sel_hi:[1,0,0]
	v_dual_mul_f32 v130, v129, v119 :: v_dual_mov_b32 v126, v129
	s_delay_alu instid0(VALU_DEP_2) | instskip(NEXT) | instid1(VALU_DEP_2)
	v_dual_mov_b32 v133, v127 :: v_dual_mov_b32 v127, v128
	v_pk_fma_f32 v[130:131], v[128:129], v[60:61], v[130:131] op_sel_hi:[1,1,0] neg_lo:[0,0,1] neg_hi:[0,0,1]
	v_mul_f32_e32 v128, v129, v116
	s_delay_alu instid0(VALU_DEP_3) | instskip(NEXT) | instid1(VALU_DEP_2)
	v_pk_add_f32 v[74:75], v[74:75], v[132:133] neg_lo:[0,1] neg_hi:[0,1]
	v_pk_fma_f32 v[126:127], v[126:127], v[60:61], v[128:129] op_sel_hi:[1,1,0]
	s_delay_alu instid0(VALU_DEP_1) | instskip(SKIP_4) | instid1(VALU_DEP_1)
	v_mov_b32_e32 v131, v127
	ds_load_2addr_b64 v[126:129], v120 offset0:35 offset1:36
	v_pk_add_f32 v[22:23], v[22:23], v[130:131] neg_lo:[0,1] neg_hi:[0,1]
	s_wait_dscnt 0x0
	v_pk_mul_f32 v[130:131], v[126:127], v[118:119] op_sel:[0,1]
	v_pk_fma_f32 v[132:133], v[126:127], v[116:117], v[130:131] op_sel:[0,0,1] op_sel_hi:[1,1,0] neg_lo:[0,0,1] neg_hi:[0,0,1]
	v_pk_fma_f32 v[126:127], v[126:127], v[116:117], v[130:131] op_sel:[0,0,1] op_sel_hi:[1,0,0]
	s_delay_alu instid0(VALU_DEP_1) | instskip(SKIP_1) | instid1(VALU_DEP_1)
	v_mov_b32_e32 v133, v127
	v_pk_mul_f32 v[126:127], v[128:129], v[118:119] op_sel:[0,1]
	v_pk_fma_f32 v[130:131], v[128:129], v[116:117], v[126:127] op_sel:[0,0,1] op_sel_hi:[1,1,0] neg_lo:[0,0,1] neg_hi:[0,0,1]
	v_pk_fma_f32 v[126:127], v[128:129], v[116:117], v[126:127] op_sel:[0,0,1] op_sel_hi:[1,0,0]
	s_delay_alu instid0(VALU_DEP_1)
	v_mov_b32_e32 v131, v127
	ds_load_2addr_b64 v[126:129], v120 offset0:37 offset1:38
	v_pk_add_f32 v[20:21], v[20:21], v[132:133] neg_lo:[0,1] neg_hi:[0,1]
	v_pk_add_f32 v[72:73], v[72:73], v[130:131] neg_lo:[0,1] neg_hi:[0,1]
	s_wait_dscnt 0x0
	v_pk_mul_f32 v[130:131], v[126:127], v[118:119] op_sel:[0,1]
	s_delay_alu instid0(VALU_DEP_1) | instskip(SKIP_1) | instid1(VALU_DEP_1)
	v_pk_fma_f32 v[132:133], v[126:127], v[116:117], v[130:131] op_sel:[0,0,1] op_sel_hi:[1,1,0] neg_lo:[0,0,1] neg_hi:[0,0,1]
	v_pk_fma_f32 v[126:127], v[126:127], v[116:117], v[130:131] op_sel:[0,0,1] op_sel_hi:[1,0,0]
	v_mov_b32_e32 v133, v127
	v_pk_mul_f32 v[126:127], v[128:129], v[118:119] op_sel:[0,1]
	s_delay_alu instid0(VALU_DEP_1) | instskip(SKIP_1) | instid1(VALU_DEP_1)
	v_pk_fma_f32 v[130:131], v[128:129], v[116:117], v[126:127] op_sel:[0,0,1] op_sel_hi:[1,1,0] neg_lo:[0,0,1] neg_hi:[0,0,1]
	v_pk_fma_f32 v[126:127], v[128:129], v[116:117], v[126:127] op_sel:[0,0,1] op_sel_hi:[1,0,0]
	v_mov_b32_e32 v131, v127
	ds_load_2addr_b64 v[126:129], v120 offset0:39 offset1:40
	v_pk_add_f32 v[70:71], v[70:71], v[132:133] neg_lo:[0,1] neg_hi:[0,1]
	v_pk_add_f32 v[18:19], v[18:19], v[130:131] neg_lo:[0,1] neg_hi:[0,1]
	s_wait_dscnt 0x0
	v_dual_mul_f32 v130, v127, v119 :: v_dual_mul_f32 v132, v127, v116
	s_delay_alu instid0(VALU_DEP_1) | instskip(NEXT) | instid1(VALU_DEP_2)
	v_pk_fma_f32 v[130:131], v[126:127], v[60:61], v[130:131] op_sel_hi:[1,1,0] neg_lo:[0,0,1] neg_hi:[0,0,1]
	v_pk_fma_f32 v[126:127], v[126:127], v[60:61], v[132:133] op_sel:[1,0,0] op_sel_hi:[0,1,0]
	s_delay_alu instid0(VALU_DEP_1) | instskip(SKIP_1) | instid1(VALU_DEP_2)
	v_mov_b32_e32 v131, v127
	v_pk_mul_f32 v[126:127], v[128:129], v[118:119] op_sel:[0,1]
	v_pk_add_f32 v[16:17], v[16:17], v[130:131] neg_lo:[0,1] neg_hi:[0,1]
	s_delay_alu instid0(VALU_DEP_2) | instskip(SKIP_1) | instid1(VALU_DEP_1)
	v_pk_fma_f32 v[130:131], v[128:129], v[116:117], v[126:127] op_sel:[0,0,1] op_sel_hi:[1,1,0] neg_lo:[0,0,1] neg_hi:[0,0,1]
	v_pk_fma_f32 v[126:127], v[128:129], v[116:117], v[126:127] op_sel:[0,0,1] op_sel_hi:[1,0,0]
	v_mov_b32_e32 v131, v127
	ds_load_2addr_b64 v[126:129], v120 offset0:41 offset1:42
	v_pk_add_f32 v[68:69], v[68:69], v[130:131] neg_lo:[0,1] neg_hi:[0,1]
	s_wait_dscnt 0x0
	v_pk_mul_f32 v[130:131], v[126:127], v[118:119] op_sel:[0,1]
	s_delay_alu instid0(VALU_DEP_1) | instskip(SKIP_1) | instid1(VALU_DEP_1)
	v_pk_fma_f32 v[132:133], v[126:127], v[116:117], v[130:131] op_sel:[0,0,1] op_sel_hi:[1,1,0] neg_lo:[0,0,1] neg_hi:[0,0,1]
	v_pk_fma_f32 v[126:127], v[126:127], v[116:117], v[130:131] op_sel:[0,0,1] op_sel_hi:[1,0,0]
	v_mov_b32_e32 v133, v127
	v_pk_mul_f32 v[126:127], v[128:129], v[118:119] op_sel:[0,1]
	s_delay_alu instid0(VALU_DEP_2) | instskip(NEXT) | instid1(VALU_DEP_2)
	v_pk_add_f32 v[66:67], v[66:67], v[132:133] neg_lo:[0,1] neg_hi:[0,1]
	v_pk_fma_f32 v[130:131], v[128:129], v[116:117], v[126:127] op_sel:[0,0,1] op_sel_hi:[1,1,0] neg_lo:[0,0,1] neg_hi:[0,0,1]
	v_pk_fma_f32 v[126:127], v[128:129], v[116:117], v[126:127] op_sel:[0,0,1] op_sel_hi:[1,0,0]
	s_delay_alu instid0(VALU_DEP_1) | instskip(SKIP_4) | instid1(VALU_DEP_1)
	v_mov_b32_e32 v131, v127
	ds_load_2addr_b64 v[126:129], v120 offset0:43 offset1:44
	v_pk_add_f32 v[14:15], v[14:15], v[130:131] neg_lo:[0,1] neg_hi:[0,1]
	s_wait_dscnt 0x0
	v_pk_mul_f32 v[130:131], v[126:127], v[118:119] op_sel:[0,1]
	v_pk_fma_f32 v[132:133], v[126:127], v[116:117], v[130:131] op_sel:[0,0,1] op_sel_hi:[1,1,0] neg_lo:[0,0,1] neg_hi:[0,0,1]
	v_pk_fma_f32 v[126:127], v[126:127], v[116:117], v[130:131] op_sel:[0,0,1] op_sel_hi:[1,0,0]
	v_dual_mul_f32 v130, v129, v119 :: v_dual_mov_b32 v126, v129
	s_delay_alu instid0(VALU_DEP_2) | instskip(NEXT) | instid1(VALU_DEP_2)
	v_dual_mov_b32 v133, v127 :: v_dual_mov_b32 v127, v128
	v_pk_fma_f32 v[130:131], v[128:129], v[60:61], v[130:131] op_sel_hi:[1,1,0] neg_lo:[0,0,1] neg_hi:[0,0,1]
	v_mul_f32_e32 v128, v129, v116
	s_delay_alu instid0(VALU_DEP_3) | instskip(NEXT) | instid1(VALU_DEP_2)
	v_pk_add_f32 v[12:13], v[12:13], v[132:133] neg_lo:[0,1] neg_hi:[0,1]
	v_pk_fma_f32 v[126:127], v[126:127], v[60:61], v[128:129] op_sel_hi:[1,1,0]
	s_delay_alu instid0(VALU_DEP_1) | instskip(SKIP_4) | instid1(VALU_DEP_1)
	v_mov_b32_e32 v131, v127
	ds_load_2addr_b64 v[126:129], v120 offset0:45 offset1:46
	v_pk_add_f32 v[64:65], v[64:65], v[130:131] neg_lo:[0,1] neg_hi:[0,1]
	s_wait_dscnt 0x0
	v_pk_mul_f32 v[130:131], v[126:127], v[118:119] op_sel:[0,1]
	v_pk_fma_f32 v[132:133], v[126:127], v[116:117], v[130:131] op_sel:[0,0,1] op_sel_hi:[1,1,0] neg_lo:[0,0,1] neg_hi:[0,0,1]
	v_pk_fma_f32 v[126:127], v[126:127], v[116:117], v[130:131] op_sel:[0,0,1] op_sel_hi:[1,0,0]
	s_delay_alu instid0(VALU_DEP_1) | instskip(SKIP_1) | instid1(VALU_DEP_1)
	v_mov_b32_e32 v133, v127
	v_pk_mul_f32 v[126:127], v[128:129], v[118:119] op_sel:[0,1]
	v_pk_fma_f32 v[130:131], v[128:129], v[116:117], v[126:127] op_sel:[0,0,1] op_sel_hi:[1,1,0] neg_lo:[0,0,1] neg_hi:[0,0,1]
	v_pk_fma_f32 v[126:127], v[128:129], v[116:117], v[126:127] op_sel:[0,0,1] op_sel_hi:[1,0,0]
	s_delay_alu instid0(VALU_DEP_1)
	v_mov_b32_e32 v131, v127
	ds_load_2addr_b64 v[126:129], v120 offset0:47 offset1:48
	v_pk_add_f32 v[62:63], v[62:63], v[132:133] neg_lo:[0,1] neg_hi:[0,1]
	v_pk_add_f32 v[10:11], v[10:11], v[130:131] neg_lo:[0,1] neg_hi:[0,1]
	s_wait_dscnt 0x0
	v_pk_mul_f32 v[130:131], v[126:127], v[118:119] op_sel:[0,1]
	s_delay_alu instid0(VALU_DEP_1) | instskip(SKIP_1) | instid1(VALU_DEP_1)
	v_pk_fma_f32 v[132:133], v[126:127], v[116:117], v[130:131] op_sel:[0,0,1] op_sel_hi:[1,1,0] neg_lo:[0,0,1] neg_hi:[0,0,1]
	v_pk_fma_f32 v[126:127], v[126:127], v[116:117], v[130:131] op_sel:[0,0,1] op_sel_hi:[1,0,0]
	v_mov_b32_e32 v133, v127
	v_pk_mul_f32 v[126:127], v[128:129], v[118:119] op_sel:[0,1]
	s_delay_alu instid0(VALU_DEP_1) | instskip(SKIP_1) | instid1(VALU_DEP_1)
	v_pk_fma_f32 v[130:131], v[128:129], v[116:117], v[126:127] op_sel:[0,0,1] op_sel_hi:[1,1,0] neg_lo:[0,0,1] neg_hi:[0,0,1]
	v_pk_fma_f32 v[126:127], v[128:129], v[116:117], v[126:127] op_sel:[0,0,1] op_sel_hi:[1,0,0]
	v_mov_b32_e32 v131, v127
	ds_load_2addr_b64 v[126:129], v120 offset0:49 offset1:50
	v_pk_add_f32 v[6:7], v[6:7], v[132:133] neg_lo:[0,1] neg_hi:[0,1]
	v_pk_add_f32 v[52:53], v[52:53], v[130:131] neg_lo:[0,1] neg_hi:[0,1]
	s_wait_dscnt 0x0
	v_dual_mul_f32 v130, v127, v119 :: v_dual_mul_f32 v132, v127, v116
	s_delay_alu instid0(VALU_DEP_1) | instskip(NEXT) | instid1(VALU_DEP_2)
	v_pk_fma_f32 v[130:131], v[126:127], v[60:61], v[130:131] op_sel_hi:[1,1,0] neg_lo:[0,0,1] neg_hi:[0,0,1]
	v_pk_fma_f32 v[126:127], v[126:127], v[60:61], v[132:133] op_sel:[1,0,0] op_sel_hi:[0,1,0]
	s_delay_alu instid0(VALU_DEP_1) | instskip(SKIP_1) | instid1(VALU_DEP_2)
	v_mov_b32_e32 v131, v127
	v_pk_mul_f32 v[126:127], v[128:129], v[118:119] op_sel:[0,1]
	v_pk_add_f32 v[50:51], v[50:51], v[130:131] neg_lo:[0,1] neg_hi:[0,1]
	s_delay_alu instid0(VALU_DEP_2) | instskip(SKIP_1) | instid1(VALU_DEP_1)
	v_pk_fma_f32 v[130:131], v[128:129], v[116:117], v[126:127] op_sel:[0,0,1] op_sel_hi:[1,1,0] neg_lo:[0,0,1] neg_hi:[0,0,1]
	v_pk_fma_f32 v[126:127], v[128:129], v[116:117], v[126:127] op_sel:[0,0,1] op_sel_hi:[1,0,0]
	v_mov_b32_e32 v131, v127
	ds_load_2addr_b64 v[126:129], v120 offset0:51 offset1:52
	v_pk_add_f32 v[8:9], v[8:9], v[130:131] neg_lo:[0,1] neg_hi:[0,1]
	s_wait_dscnt 0x0
	v_pk_mul_f32 v[130:131], v[126:127], v[118:119] op_sel:[0,1]
	s_delay_alu instid0(VALU_DEP_1) | instskip(SKIP_1) | instid1(VALU_DEP_1)
	v_pk_fma_f32 v[132:133], v[126:127], v[116:117], v[130:131] op_sel:[0,0,1] op_sel_hi:[1,1,0] neg_lo:[0,0,1] neg_hi:[0,0,1]
	v_pk_fma_f32 v[126:127], v[126:127], v[116:117], v[130:131] op_sel:[0,0,1] op_sel_hi:[1,0,0]
	v_mov_b32_e32 v133, v127
	v_pk_mul_f32 v[126:127], v[128:129], v[118:119] op_sel:[0,1]
	s_delay_alu instid0(VALU_DEP_2) | instskip(NEXT) | instid1(VALU_DEP_2)
	v_pk_add_f32 v[30:31], v[30:31], v[132:133] neg_lo:[0,1] neg_hi:[0,1]
	v_pk_fma_f32 v[130:131], v[128:129], v[116:117], v[126:127] op_sel:[0,0,1] op_sel_hi:[1,1,0] neg_lo:[0,0,1] neg_hi:[0,0,1]
	v_pk_fma_f32 v[126:127], v[128:129], v[116:117], v[126:127] op_sel:[0,0,1] op_sel_hi:[1,0,0]
	s_delay_alu instid0(VALU_DEP_1)
	v_mov_b32_e32 v131, v127
	ds_load_2addr_b64 v[126:129], v120 offset0:53 offset1:54
	v_pk_add_f32 v[34:35], v[34:35], v[130:131] neg_lo:[0,1] neg_hi:[0,1]
	s_wait_dscnt 0x0
	v_pk_mul_f32 v[130:131], v[126:127], v[118:119] op_sel:[0,1]
	v_pk_mul_f32 v[118:119], v[128:129], v[118:119] op_sel:[0,1]
	s_delay_alu instid0(VALU_DEP_2) | instskip(SKIP_1) | instid1(VALU_DEP_1)
	v_pk_fma_f32 v[132:133], v[126:127], v[116:117], v[130:131] op_sel:[0,0,1] op_sel_hi:[1,1,0] neg_lo:[0,0,1] neg_hi:[0,0,1]
	v_pk_fma_f32 v[126:127], v[126:127], v[116:117], v[130:131] op_sel:[0,0,1] op_sel_hi:[1,0,0]
	v_mov_b32_e32 v133, v127
	s_delay_alu instid0(VALU_DEP_4) | instskip(SKIP_1) | instid1(VALU_DEP_3)
	v_pk_fma_f32 v[126:127], v[128:129], v[116:117], v[118:119] op_sel:[0,0,1] op_sel_hi:[1,1,0] neg_lo:[0,0,1] neg_hi:[0,0,1]
	v_pk_fma_f32 v[116:117], v[128:129], v[116:117], v[118:119] op_sel:[0,0,1] op_sel_hi:[1,0,0]
	v_pk_add_f32 v[24:25], v[24:25], v[132:133] neg_lo:[0,1] neg_hi:[0,1]
	s_delay_alu instid0(VALU_DEP_2) | instskip(NEXT) | instid1(VALU_DEP_1)
	v_mov_b32_e32 v127, v117
	v_pk_add_f32 v[114:115], v[114:115], v[126:127] neg_lo:[0,1] neg_hi:[0,1]
.LBB108_230:
	s_or_b32 exec_lo, exec_lo, s0
	v_lshl_add_u32 v116, v124, 3, v120
	s_barrier_signal -1
	s_barrier_wait -1
	ds_store_b64 v116, v[58:59]
	s_wait_dscnt 0x0
	s_barrier_signal -1
	s_barrier_wait -1
	ds_load_b64 v[118:119], v120 offset:88
	v_mov_b32_e32 v116, 11
	s_cmp_lt_i32 s18, 13
	s_cbranch_scc1 .LBB108_233
; %bb.231:
	v_add3_u32 v117, v121, 0, 0x60
	v_mov_b32_e32 v116, 11
	s_mov_b32 s0, 12
.LBB108_232:                            ; =>This Inner Loop Header: Depth=1
	ds_load_b64 v[126:127], v117
	s_wait_dscnt 0x1
	v_cmp_gt_f32_e32 vcc_lo, 0, v118
	v_cndmask_b32_e64 v128, v118, -v118, vcc_lo
	v_cmp_gt_f32_e32 vcc_lo, 0, v119
	v_cndmask_b32_e64 v130, v119, -v119, vcc_lo
	s_wait_dscnt 0x0
	v_cmp_gt_f32_e32 vcc_lo, 0, v126
	v_cndmask_b32_e64 v129, v126, -v126, vcc_lo
	v_cmp_gt_f32_e32 vcc_lo, 0, v127
	v_cndmask_b32_e64 v131, v127, -v127, vcc_lo
	s_delay_alu instid0(VALU_DEP_1) | instskip(NEXT) | instid1(VALU_DEP_1)
	v_pk_add_f32 v[128:129], v[128:129], v[130:131]
	v_cmp_lt_f32_e32 vcc_lo, v128, v129
	v_dual_add_nc_u32 v117, 8, v117 :: v_dual_cndmask_b32 v119, v119, v127, vcc_lo
	v_cndmask_b32_e32 v118, v118, v126, vcc_lo
	v_cndmask_b32_e64 v116, v116, s0, vcc_lo
	s_add_co_i32 s0, s0, 1
	s_delay_alu instid0(SALU_CYCLE_1)
	s_cmp_lg_u32 s18, s0
	s_cbranch_scc1 .LBB108_232
.LBB108_233:
	s_wait_dscnt 0x0
	v_cmp_eq_f32_e32 vcc_lo, 0, v118
	v_cmp_eq_f32_e64 s0, 0, v119
	s_and_b32 s0, vcc_lo, s0
	s_delay_alu instid0(SALU_CYCLE_1) | instskip(NEXT) | instid1(SALU_CYCLE_1)
	s_and_saveexec_b32 s1, s0
	s_xor_b32 s0, exec_lo, s1
; %bb.234:
	v_cmp_ne_u32_e32 vcc_lo, 0, v122
	v_cndmask_b32_e32 v122, 12, v122, vcc_lo
; %bb.235:
	s_and_not1_saveexec_b32 s0, s0
	s_cbranch_execz .LBB108_241
; %bb.236:
	v_cmp_ngt_f32_e64 s1, |v118|, |v119|
	s_and_saveexec_b32 s12, s1
	s_delay_alu instid0(SALU_CYCLE_1)
	s_xor_b32 s1, exec_lo, s12
	s_cbranch_execz .LBB108_238
; %bb.237:
	v_div_scale_f32 v117, null, v119, v119, v118
	v_div_scale_f32 v127, vcc_lo, v118, v119, v118
	s_delay_alu instid0(VALU_DEP_2) | instskip(SKIP_1) | instid1(TRANS32_DEP_1)
	v_rcp_f32_e32 v125, v117
	v_nop
	v_fma_f32 v126, -v117, v125, 1.0
	s_delay_alu instid0(VALU_DEP_1) | instskip(NEXT) | instid1(VALU_DEP_1)
	v_fmac_f32_e32 v125, v126, v125
	v_mul_f32_e32 v126, v127, v125
	s_delay_alu instid0(VALU_DEP_1) | instskip(NEXT) | instid1(VALU_DEP_1)
	v_fma_f32 v128, -v117, v126, v127
	v_fmac_f32_e32 v126, v128, v125
	s_delay_alu instid0(VALU_DEP_1) | instskip(NEXT) | instid1(VALU_DEP_1)
	v_fma_f32 v117, -v117, v126, v127
	v_div_fmas_f32 v117, v117, v125, v126
	s_delay_alu instid0(VALU_DEP_1) | instskip(NEXT) | instid1(VALU_DEP_1)
	v_div_fixup_f32 v117, v117, v119, v118
	v_fmac_f32_e32 v119, v118, v117
	s_delay_alu instid0(VALU_DEP_1) | instskip(SKIP_1) | instid1(VALU_DEP_2)
	v_div_scale_f32 v118, null, v119, v119, 1.0
	v_div_scale_f32 v127, vcc_lo, 1.0, v119, 1.0
	v_rcp_f32_e32 v125, v118
	v_nop
	s_delay_alu instid0(TRANS32_DEP_1) | instskip(NEXT) | instid1(VALU_DEP_1)
	v_fma_f32 v126, -v118, v125, 1.0
	v_fmac_f32_e32 v125, v126, v125
	s_delay_alu instid0(VALU_DEP_1) | instskip(NEXT) | instid1(VALU_DEP_1)
	v_mul_f32_e32 v126, v127, v125
	v_fma_f32 v128, -v118, v126, v127
	s_delay_alu instid0(VALU_DEP_1) | instskip(NEXT) | instid1(VALU_DEP_1)
	v_fmac_f32_e32 v126, v128, v125
	v_fma_f32 v118, -v118, v126, v127
	s_delay_alu instid0(VALU_DEP_1) | instskip(NEXT) | instid1(VALU_DEP_1)
	v_div_fmas_f32 v118, v118, v125, v126
	v_div_fixup_f32 v119, v118, v119, 1.0
	s_delay_alu instid0(VALU_DEP_1)
	v_mul_f32_e32 v118, v117, v119
	v_xor_b32_e32 v119, 0x80000000, v119
.LBB108_238:
	s_and_not1_saveexec_b32 s1, s1
	s_cbranch_execz .LBB108_240
; %bb.239:
	s_delay_alu instid0(VALU_DEP_1) | instskip(SKIP_1) | instid1(VALU_DEP_2)
	v_div_scale_f32 v117, null, v118, v118, v119
	v_div_scale_f32 v127, vcc_lo, v119, v118, v119
	v_rcp_f32_e32 v125, v117
	v_nop
	s_delay_alu instid0(TRANS32_DEP_1) | instskip(NEXT) | instid1(VALU_DEP_1)
	v_fma_f32 v126, -v117, v125, 1.0
	v_fmac_f32_e32 v125, v126, v125
	s_delay_alu instid0(VALU_DEP_1) | instskip(NEXT) | instid1(VALU_DEP_1)
	v_mul_f32_e32 v126, v127, v125
	v_fma_f32 v128, -v117, v126, v127
	s_delay_alu instid0(VALU_DEP_1) | instskip(NEXT) | instid1(VALU_DEP_1)
	v_fmac_f32_e32 v126, v128, v125
	v_fma_f32 v117, -v117, v126, v127
	s_delay_alu instid0(VALU_DEP_1) | instskip(NEXT) | instid1(VALU_DEP_1)
	v_div_fmas_f32 v117, v117, v125, v126
	v_div_fixup_f32 v117, v117, v118, v119
	s_delay_alu instid0(VALU_DEP_1) | instskip(NEXT) | instid1(VALU_DEP_1)
	v_fmac_f32_e32 v118, v119, v117
	v_div_scale_f32 v119, null, v118, v118, 1.0
	s_delay_alu instid0(VALU_DEP_1) | instskip(SKIP_1) | instid1(TRANS32_DEP_1)
	v_rcp_f32_e32 v125, v119
	v_nop
	v_fma_f32 v126, -v119, v125, 1.0
	s_delay_alu instid0(VALU_DEP_1) | instskip(SKIP_1) | instid1(VALU_DEP_1)
	v_fmac_f32_e32 v125, v126, v125
	v_div_scale_f32 v126, vcc_lo, 1.0, v118, 1.0
	v_mul_f32_e32 v127, v126, v125
	s_delay_alu instid0(VALU_DEP_1) | instskip(NEXT) | instid1(VALU_DEP_1)
	v_fma_f32 v128, -v119, v127, v126
	v_fmac_f32_e32 v127, v128, v125
	s_delay_alu instid0(VALU_DEP_1) | instskip(NEXT) | instid1(VALU_DEP_1)
	v_fma_f32 v119, -v119, v127, v126
	v_div_fmas_f32 v119, v119, v125, v127
	s_delay_alu instid0(VALU_DEP_1) | instskip(NEXT) | instid1(VALU_DEP_1)
	v_div_fixup_f32 v118, v119, v118, 1.0
	v_mul_f32_e64 v119, v117, -v118
.LBB108_240:
	s_or_b32 exec_lo, exec_lo, s1
.LBB108_241:
	s_delay_alu instid0(SALU_CYCLE_1) | instskip(NEXT) | instid1(SALU_CYCLE_1)
	s_or_b32 exec_lo, exec_lo, s0
	s_mov_b32 s0, exec_lo
	v_cmpx_ne_u32_e64 v124, v116
	s_xor_b32 s0, exec_lo, s0
	s_cbranch_execz .LBB108_247
; %bb.242:
	s_mov_b32 s1, exec_lo
	v_cmpx_eq_u32_e32 11, v124
	s_cbranch_execz .LBB108_246
; %bb.243:
	v_cmp_ne_u32_e32 vcc_lo, 11, v116
	s_xor_b32 s12, s16, -1
	s_delay_alu instid0(SALU_CYCLE_1) | instskip(NEXT) | instid1(SALU_CYCLE_1)
	s_and_b32 s13, s12, vcc_lo
	s_and_saveexec_b32 s12, s13
	s_cbranch_execz .LBB108_245
; %bb.244:
	v_ashrrev_i32_e32 v117, 31, v116
	s_delay_alu instid0(VALU_DEP_1)
	v_lshl_add_u64 v[124:125], v[116:117], 2, v[4:5]
	s_clause 0x1
	global_load_b32 v117, v[124:125], off
	global_load_b32 v123, v[4:5], off offset:44
	s_wait_loadcnt 0x1
	global_store_b32 v[4:5], v117, off offset:44
	s_wait_loadcnt 0x0
	global_store_b32 v[124:125], v123, off
.LBB108_245:
	s_wait_xcnt 0x0
	s_or_b32 exec_lo, exec_lo, s12
	v_dual_mov_b32 v124, v116 :: v_dual_mov_b32 v123, v116
.LBB108_246:
	s_or_b32 exec_lo, exec_lo, s1
.LBB108_247:
	s_and_not1_saveexec_b32 s0, s0
	s_cbranch_execz .LBB108_249
; %bb.248:
	v_dual_mov_b32 v116, v100 :: v_dual_mov_b32 v117, v101
	v_dual_mov_b32 v124, v98 :: v_dual_mov_b32 v125, v99
	ds_store_2addr_b64 v120, v[116:117], v[124:125] offset0:12 offset1:13
	v_dual_mov_b32 v116, v56 :: v_dual_mov_b32 v117, v57
	v_dual_mov_b32 v124, v54 :: v_dual_mov_b32 v125, v55
	ds_store_2addr_b64 v120, v[116:117], v[124:125] offset0:14 offset1:15
	;; [unrolled: 3-line block ×21, first 2 shown]
	ds_store_b64 v120, v[114:115] offset:432
	v_mov_b32_e32 v124, 11
.LBB108_249:
	s_or_b32 exec_lo, exec_lo, s0
	s_delay_alu instid0(SALU_CYCLE_1)
	s_mov_b32 s0, exec_lo
	s_wait_storecnt_dscnt 0x0
	s_barrier_signal -1
	s_barrier_wait -1
	v_cmpx_lt_i32_e32 11, v124
	s_cbranch_execz .LBB108_251
; %bb.250:
	v_pk_mul_f32 v[126:127], v[118:119], v[58:59] op_sel:[1,1] op_sel_hi:[0,1]
	s_delay_alu instid0(VALU_DEP_1)
	v_pk_fma_f32 v[116:117], v[118:119], v[58:59], v[126:127] op_sel_hi:[1,0,1] neg_lo:[0,0,1] neg_hi:[0,0,1]
	v_pk_fma_f32 v[118:119], v[118:119], v[58:59], v[126:127] op_sel_hi:[1,0,1]
	ds_load_2addr_b64 v[126:129], v120 offset0:12 offset1:13
	v_dual_mov_b32 v58, v116 :: v_dual_mov_b32 v59, v119
	s_wait_dscnt 0x0
	v_pk_mul_f32 v[130:131], v[126:127], v[118:119] op_sel:[0,1]
	s_delay_alu instid0(VALU_DEP_1) | instskip(SKIP_1) | instid1(VALU_DEP_1)
	v_pk_fma_f32 v[132:133], v[126:127], v[116:117], v[130:131] op_sel:[0,0,1] op_sel_hi:[1,1,0] neg_lo:[0,0,1] neg_hi:[0,0,1]
	v_pk_fma_f32 v[126:127], v[126:127], v[116:117], v[130:131] op_sel:[0,0,1] op_sel_hi:[1,0,0]
	v_mov_b32_e32 v133, v127
	v_pk_mul_f32 v[126:127], v[128:129], v[118:119] op_sel:[0,1]
	s_delay_alu instid0(VALU_DEP_1) | instskip(SKIP_1) | instid1(VALU_DEP_1)
	v_pk_fma_f32 v[130:131], v[128:129], v[116:117], v[126:127] op_sel:[0,0,1] op_sel_hi:[1,1,0] neg_lo:[0,0,1] neg_hi:[0,0,1]
	v_pk_fma_f32 v[126:127], v[128:129], v[116:117], v[126:127] op_sel:[0,0,1] op_sel_hi:[1,0,0]
	v_mov_b32_e32 v131, v127
	ds_load_2addr_b64 v[126:129], v120 offset0:14 offset1:15
	v_pk_add_f32 v[100:101], v[100:101], v[132:133] neg_lo:[0,1] neg_hi:[0,1]
	v_pk_add_f32 v[98:99], v[98:99], v[130:131] neg_lo:[0,1] neg_hi:[0,1]
	s_wait_dscnt 0x0
	v_pk_mul_f32 v[130:131], v[126:127], v[118:119] op_sel:[0,1]
	s_delay_alu instid0(VALU_DEP_1) | instskip(SKIP_2) | instid1(VALU_DEP_2)
	v_pk_fma_f32 v[132:133], v[126:127], v[116:117], v[130:131] op_sel:[0,0,1] op_sel_hi:[1,1,0] neg_lo:[0,0,1] neg_hi:[0,0,1]
	v_pk_fma_f32 v[126:127], v[126:127], v[116:117], v[130:131] op_sel:[0,0,1] op_sel_hi:[1,0,0]
	v_dual_mul_f32 v130, v129, v119 :: v_dual_mov_b32 v126, v129
	v_dual_mov_b32 v133, v127 :: v_dual_mov_b32 v127, v128
	s_delay_alu instid0(VALU_DEP_2) | instskip(SKIP_1) | instid1(VALU_DEP_3)
	v_pk_fma_f32 v[130:131], v[128:129], v[58:59], v[130:131] op_sel_hi:[1,1,0] neg_lo:[0,0,1] neg_hi:[0,0,1]
	v_mul_f32_e32 v128, v129, v116
	v_pk_add_f32 v[56:57], v[56:57], v[132:133] neg_lo:[0,1] neg_hi:[0,1]
	s_delay_alu instid0(VALU_DEP_2) | instskip(NEXT) | instid1(VALU_DEP_1)
	v_pk_fma_f32 v[126:127], v[126:127], v[58:59], v[128:129] op_sel_hi:[1,1,0]
	v_mov_b32_e32 v131, v127
	ds_load_2addr_b64 v[126:129], v120 offset0:16 offset1:17
	v_pk_add_f32 v[54:55], v[54:55], v[130:131] neg_lo:[0,1] neg_hi:[0,1]
	s_wait_dscnt 0x0
	v_pk_mul_f32 v[130:131], v[126:127], v[118:119] op_sel:[0,1]
	s_delay_alu instid0(VALU_DEP_1) | instskip(SKIP_1) | instid1(VALU_DEP_1)
	v_pk_fma_f32 v[132:133], v[126:127], v[116:117], v[130:131] op_sel:[0,0,1] op_sel_hi:[1,1,0] neg_lo:[0,0,1] neg_hi:[0,0,1]
	v_pk_fma_f32 v[126:127], v[126:127], v[116:117], v[130:131] op_sel:[0,0,1] op_sel_hi:[1,0,0]
	v_mov_b32_e32 v133, v127
	v_pk_mul_f32 v[126:127], v[128:129], v[118:119] op_sel:[0,1]
	s_delay_alu instid0(VALU_DEP_1) | instskip(SKIP_1) | instid1(VALU_DEP_1)
	v_pk_fma_f32 v[130:131], v[128:129], v[116:117], v[126:127] op_sel:[0,0,1] op_sel_hi:[1,1,0] neg_lo:[0,0,1] neg_hi:[0,0,1]
	v_pk_fma_f32 v[126:127], v[128:129], v[116:117], v[126:127] op_sel:[0,0,1] op_sel_hi:[1,0,0]
	v_mov_b32_e32 v131, v127
	ds_load_2addr_b64 v[126:129], v120 offset0:18 offset1:19
	v_pk_add_f32 v[92:93], v[92:93], v[132:133] neg_lo:[0,1] neg_hi:[0,1]
	v_pk_add_f32 v[90:91], v[90:91], v[130:131] neg_lo:[0,1] neg_hi:[0,1]
	s_wait_dscnt 0x0
	v_pk_mul_f32 v[130:131], v[126:127], v[118:119] op_sel:[0,1]
	s_delay_alu instid0(VALU_DEP_1) | instskip(SKIP_1) | instid1(VALU_DEP_1)
	v_pk_fma_f32 v[132:133], v[126:127], v[116:117], v[130:131] op_sel:[0,0,1] op_sel_hi:[1,1,0] neg_lo:[0,0,1] neg_hi:[0,0,1]
	v_pk_fma_f32 v[126:127], v[126:127], v[116:117], v[130:131] op_sel:[0,0,1] op_sel_hi:[1,0,0]
	v_mov_b32_e32 v133, v127
	v_pk_mul_f32 v[126:127], v[128:129], v[118:119] op_sel:[0,1]
	s_delay_alu instid0(VALU_DEP_1) | instskip(SKIP_1) | instid1(VALU_DEP_1)
	v_pk_fma_f32 v[130:131], v[128:129], v[116:117], v[126:127] op_sel:[0,0,1] op_sel_hi:[1,1,0] neg_lo:[0,0,1] neg_hi:[0,0,1]
	v_pk_fma_f32 v[126:127], v[128:129], v[116:117], v[126:127] op_sel:[0,0,1] op_sel_hi:[1,0,0]
	v_mov_b32_e32 v131, v127
	ds_load_2addr_b64 v[126:129], v120 offset0:20 offset1:21
	v_pk_add_f32 v[44:45], v[44:45], v[132:133] neg_lo:[0,1] neg_hi:[0,1]
	v_pk_add_f32 v[42:43], v[42:43], v[130:131] neg_lo:[0,1] neg_hi:[0,1]
	s_wait_dscnt 0x0
	v_dual_mul_f32 v130, v127, v119 :: v_dual_mul_f32 v132, v127, v116
	s_delay_alu instid0(VALU_DEP_1) | instskip(NEXT) | instid1(VALU_DEP_2)
	v_pk_fma_f32 v[130:131], v[126:127], v[58:59], v[130:131] op_sel_hi:[1,1,0] neg_lo:[0,0,1] neg_hi:[0,0,1]
	v_pk_fma_f32 v[126:127], v[126:127], v[58:59], v[132:133] op_sel:[1,0,0] op_sel_hi:[0,1,0]
	s_delay_alu instid0(VALU_DEP_1) | instskip(SKIP_1) | instid1(VALU_DEP_2)
	v_mov_b32_e32 v131, v127
	v_pk_mul_f32 v[126:127], v[128:129], v[118:119] op_sel:[0,1]
	v_pk_add_f32 v[88:89], v[88:89], v[130:131] neg_lo:[0,1] neg_hi:[0,1]
	s_delay_alu instid0(VALU_DEP_2) | instskip(SKIP_1) | instid1(VALU_DEP_1)
	v_pk_fma_f32 v[130:131], v[128:129], v[116:117], v[126:127] op_sel:[0,0,1] op_sel_hi:[1,1,0] neg_lo:[0,0,1] neg_hi:[0,0,1]
	v_pk_fma_f32 v[126:127], v[128:129], v[116:117], v[126:127] op_sel:[0,0,1] op_sel_hi:[1,0,0]
	v_mov_b32_e32 v131, v127
	ds_load_2addr_b64 v[126:129], v120 offset0:22 offset1:23
	v_pk_add_f32 v[86:87], v[86:87], v[130:131] neg_lo:[0,1] neg_hi:[0,1]
	s_wait_dscnt 0x0
	v_pk_mul_f32 v[130:131], v[126:127], v[118:119] op_sel:[0,1]
	s_delay_alu instid0(VALU_DEP_1) | instskip(SKIP_1) | instid1(VALU_DEP_1)
	v_pk_fma_f32 v[132:133], v[126:127], v[116:117], v[130:131] op_sel:[0,0,1] op_sel_hi:[1,1,0] neg_lo:[0,0,1] neg_hi:[0,0,1]
	v_pk_fma_f32 v[126:127], v[126:127], v[116:117], v[130:131] op_sel:[0,0,1] op_sel_hi:[1,0,0]
	v_mov_b32_e32 v133, v127
	v_pk_mul_f32 v[126:127], v[128:129], v[118:119] op_sel:[0,1]
	s_delay_alu instid0(VALU_DEP_2) | instskip(NEXT) | instid1(VALU_DEP_2)
	v_pk_add_f32 v[40:41], v[40:41], v[132:133] neg_lo:[0,1] neg_hi:[0,1]
	v_pk_fma_f32 v[130:131], v[128:129], v[116:117], v[126:127] op_sel:[0,0,1] op_sel_hi:[1,1,0] neg_lo:[0,0,1] neg_hi:[0,0,1]
	v_pk_fma_f32 v[126:127], v[128:129], v[116:117], v[126:127] op_sel:[0,0,1] op_sel_hi:[1,0,0]
	s_delay_alu instid0(VALU_DEP_1) | instskip(SKIP_4) | instid1(VALU_DEP_1)
	v_mov_b32_e32 v131, v127
	ds_load_2addr_b64 v[126:129], v120 offset0:24 offset1:25
	v_pk_add_f32 v[38:39], v[38:39], v[130:131] neg_lo:[0,1] neg_hi:[0,1]
	s_wait_dscnt 0x0
	v_pk_mul_f32 v[130:131], v[126:127], v[118:119] op_sel:[0,1]
	v_pk_fma_f32 v[132:133], v[126:127], v[116:117], v[130:131] op_sel:[0,0,1] op_sel_hi:[1,1,0] neg_lo:[0,0,1] neg_hi:[0,0,1]
	v_pk_fma_f32 v[126:127], v[126:127], v[116:117], v[130:131] op_sel:[0,0,1] op_sel_hi:[1,0,0]
	v_dual_mul_f32 v130, v129, v119 :: v_dual_mov_b32 v126, v129
	s_delay_alu instid0(VALU_DEP_2) | instskip(NEXT) | instid1(VALU_DEP_2)
	v_dual_mov_b32 v133, v127 :: v_dual_mov_b32 v127, v128
	v_pk_fma_f32 v[130:131], v[128:129], v[58:59], v[130:131] op_sel_hi:[1,1,0] neg_lo:[0,0,1] neg_hi:[0,0,1]
	v_mul_f32_e32 v128, v129, v116
	s_delay_alu instid0(VALU_DEP_3) | instskip(NEXT) | instid1(VALU_DEP_2)
	v_pk_add_f32 v[84:85], v[84:85], v[132:133] neg_lo:[0,1] neg_hi:[0,1]
	v_pk_fma_f32 v[126:127], v[126:127], v[58:59], v[128:129] op_sel_hi:[1,1,0]
	s_delay_alu instid0(VALU_DEP_1) | instskip(SKIP_4) | instid1(VALU_DEP_1)
	v_mov_b32_e32 v131, v127
	ds_load_2addr_b64 v[126:129], v120 offset0:26 offset1:27
	v_pk_add_f32 v[82:83], v[82:83], v[130:131] neg_lo:[0,1] neg_hi:[0,1]
	s_wait_dscnt 0x0
	v_pk_mul_f32 v[130:131], v[126:127], v[118:119] op_sel:[0,1]
	v_pk_fma_f32 v[132:133], v[126:127], v[116:117], v[130:131] op_sel:[0,0,1] op_sel_hi:[1,1,0] neg_lo:[0,0,1] neg_hi:[0,0,1]
	v_pk_fma_f32 v[126:127], v[126:127], v[116:117], v[130:131] op_sel:[0,0,1] op_sel_hi:[1,0,0]
	s_delay_alu instid0(VALU_DEP_1) | instskip(SKIP_1) | instid1(VALU_DEP_1)
	v_mov_b32_e32 v133, v127
	v_pk_mul_f32 v[126:127], v[128:129], v[118:119] op_sel:[0,1]
	v_pk_fma_f32 v[130:131], v[128:129], v[116:117], v[126:127] op_sel:[0,0,1] op_sel_hi:[1,1,0] neg_lo:[0,0,1] neg_hi:[0,0,1]
	v_pk_fma_f32 v[126:127], v[128:129], v[116:117], v[126:127] op_sel:[0,0,1] op_sel_hi:[1,0,0]
	s_delay_alu instid0(VALU_DEP_1)
	v_mov_b32_e32 v131, v127
	ds_load_2addr_b64 v[126:129], v120 offset0:28 offset1:29
	v_pk_add_f32 v[36:37], v[36:37], v[132:133] neg_lo:[0,1] neg_hi:[0,1]
	v_pk_add_f32 v[32:33], v[32:33], v[130:131] neg_lo:[0,1] neg_hi:[0,1]
	s_wait_dscnt 0x0
	v_pk_mul_f32 v[130:131], v[126:127], v[118:119] op_sel:[0,1]
	s_delay_alu instid0(VALU_DEP_1) | instskip(SKIP_1) | instid1(VALU_DEP_1)
	v_pk_fma_f32 v[132:133], v[126:127], v[116:117], v[130:131] op_sel:[0,0,1] op_sel_hi:[1,1,0] neg_lo:[0,0,1] neg_hi:[0,0,1]
	v_pk_fma_f32 v[126:127], v[126:127], v[116:117], v[130:131] op_sel:[0,0,1] op_sel_hi:[1,0,0]
	v_mov_b32_e32 v133, v127
	v_pk_mul_f32 v[126:127], v[128:129], v[118:119] op_sel:[0,1]
	s_delay_alu instid0(VALU_DEP_1) | instskip(SKIP_1) | instid1(VALU_DEP_1)
	v_pk_fma_f32 v[130:131], v[128:129], v[116:117], v[126:127] op_sel:[0,0,1] op_sel_hi:[1,1,0] neg_lo:[0,0,1] neg_hi:[0,0,1]
	v_pk_fma_f32 v[126:127], v[128:129], v[116:117], v[126:127] op_sel:[0,0,1] op_sel_hi:[1,0,0]
	v_mov_b32_e32 v131, v127
	ds_load_2addr_b64 v[126:129], v120 offset0:30 offset1:31
	v_pk_add_f32 v[80:81], v[80:81], v[132:133] neg_lo:[0,1] neg_hi:[0,1]
	v_pk_add_f32 v[78:79], v[78:79], v[130:131] neg_lo:[0,1] neg_hi:[0,1]
	s_wait_dscnt 0x0
	v_dual_mul_f32 v130, v127, v119 :: v_dual_mul_f32 v132, v127, v116
	s_delay_alu instid0(VALU_DEP_1) | instskip(NEXT) | instid1(VALU_DEP_2)
	v_pk_fma_f32 v[130:131], v[126:127], v[58:59], v[130:131] op_sel_hi:[1,1,0] neg_lo:[0,0,1] neg_hi:[0,0,1]
	v_pk_fma_f32 v[126:127], v[126:127], v[58:59], v[132:133] op_sel:[1,0,0] op_sel_hi:[0,1,0]
	s_delay_alu instid0(VALU_DEP_1) | instskip(SKIP_1) | instid1(VALU_DEP_2)
	v_mov_b32_e32 v131, v127
	v_pk_mul_f32 v[126:127], v[128:129], v[118:119] op_sel:[0,1]
	v_pk_add_f32 v[28:29], v[28:29], v[130:131] neg_lo:[0,1] neg_hi:[0,1]
	s_delay_alu instid0(VALU_DEP_2) | instskip(SKIP_1) | instid1(VALU_DEP_1)
	v_pk_fma_f32 v[130:131], v[128:129], v[116:117], v[126:127] op_sel:[0,0,1] op_sel_hi:[1,1,0] neg_lo:[0,0,1] neg_hi:[0,0,1]
	v_pk_fma_f32 v[126:127], v[128:129], v[116:117], v[126:127] op_sel:[0,0,1] op_sel_hi:[1,0,0]
	v_mov_b32_e32 v131, v127
	ds_load_2addr_b64 v[126:129], v120 offset0:32 offset1:33
	v_pk_add_f32 v[26:27], v[26:27], v[130:131] neg_lo:[0,1] neg_hi:[0,1]
	s_wait_dscnt 0x0
	v_pk_mul_f32 v[130:131], v[126:127], v[118:119] op_sel:[0,1]
	s_delay_alu instid0(VALU_DEP_1) | instskip(SKIP_1) | instid1(VALU_DEP_1)
	v_pk_fma_f32 v[132:133], v[126:127], v[116:117], v[130:131] op_sel:[0,0,1] op_sel_hi:[1,1,0] neg_lo:[0,0,1] neg_hi:[0,0,1]
	v_pk_fma_f32 v[126:127], v[126:127], v[116:117], v[130:131] op_sel:[0,0,1] op_sel_hi:[1,0,0]
	v_mov_b32_e32 v133, v127
	v_pk_mul_f32 v[126:127], v[128:129], v[118:119] op_sel:[0,1]
	s_delay_alu instid0(VALU_DEP_2) | instskip(NEXT) | instid1(VALU_DEP_2)
	v_pk_add_f32 v[76:77], v[76:77], v[132:133] neg_lo:[0,1] neg_hi:[0,1]
	v_pk_fma_f32 v[130:131], v[128:129], v[116:117], v[126:127] op_sel:[0,0,1] op_sel_hi:[1,1,0] neg_lo:[0,0,1] neg_hi:[0,0,1]
	v_pk_fma_f32 v[126:127], v[128:129], v[116:117], v[126:127] op_sel:[0,0,1] op_sel_hi:[1,0,0]
	s_delay_alu instid0(VALU_DEP_1) | instskip(SKIP_4) | instid1(VALU_DEP_1)
	v_mov_b32_e32 v131, v127
	ds_load_2addr_b64 v[126:129], v120 offset0:34 offset1:35
	v_pk_add_f32 v[74:75], v[74:75], v[130:131] neg_lo:[0,1] neg_hi:[0,1]
	s_wait_dscnt 0x0
	v_pk_mul_f32 v[130:131], v[126:127], v[118:119] op_sel:[0,1]
	v_pk_fma_f32 v[132:133], v[126:127], v[116:117], v[130:131] op_sel:[0,0,1] op_sel_hi:[1,1,0] neg_lo:[0,0,1] neg_hi:[0,0,1]
	v_pk_fma_f32 v[126:127], v[126:127], v[116:117], v[130:131] op_sel:[0,0,1] op_sel_hi:[1,0,0]
	v_dual_mul_f32 v130, v129, v119 :: v_dual_mov_b32 v126, v129
	s_delay_alu instid0(VALU_DEP_2) | instskip(NEXT) | instid1(VALU_DEP_2)
	v_dual_mov_b32 v133, v127 :: v_dual_mov_b32 v127, v128
	v_pk_fma_f32 v[130:131], v[128:129], v[58:59], v[130:131] op_sel_hi:[1,1,0] neg_lo:[0,0,1] neg_hi:[0,0,1]
	v_mul_f32_e32 v128, v129, v116
	s_delay_alu instid0(VALU_DEP_3) | instskip(NEXT) | instid1(VALU_DEP_2)
	v_pk_add_f32 v[22:23], v[22:23], v[132:133] neg_lo:[0,1] neg_hi:[0,1]
	v_pk_fma_f32 v[126:127], v[126:127], v[58:59], v[128:129] op_sel_hi:[1,1,0]
	s_delay_alu instid0(VALU_DEP_1) | instskip(SKIP_4) | instid1(VALU_DEP_1)
	v_mov_b32_e32 v131, v127
	ds_load_2addr_b64 v[126:129], v120 offset0:36 offset1:37
	v_pk_add_f32 v[20:21], v[20:21], v[130:131] neg_lo:[0,1] neg_hi:[0,1]
	s_wait_dscnt 0x0
	v_pk_mul_f32 v[130:131], v[126:127], v[118:119] op_sel:[0,1]
	v_pk_fma_f32 v[132:133], v[126:127], v[116:117], v[130:131] op_sel:[0,0,1] op_sel_hi:[1,1,0] neg_lo:[0,0,1] neg_hi:[0,0,1]
	v_pk_fma_f32 v[126:127], v[126:127], v[116:117], v[130:131] op_sel:[0,0,1] op_sel_hi:[1,0,0]
	s_delay_alu instid0(VALU_DEP_1) | instskip(SKIP_1) | instid1(VALU_DEP_1)
	v_mov_b32_e32 v133, v127
	v_pk_mul_f32 v[126:127], v[128:129], v[118:119] op_sel:[0,1]
	v_pk_fma_f32 v[130:131], v[128:129], v[116:117], v[126:127] op_sel:[0,0,1] op_sel_hi:[1,1,0] neg_lo:[0,0,1] neg_hi:[0,0,1]
	v_pk_fma_f32 v[126:127], v[128:129], v[116:117], v[126:127] op_sel:[0,0,1] op_sel_hi:[1,0,0]
	s_delay_alu instid0(VALU_DEP_1)
	v_mov_b32_e32 v131, v127
	ds_load_2addr_b64 v[126:129], v120 offset0:38 offset1:39
	v_pk_add_f32 v[72:73], v[72:73], v[132:133] neg_lo:[0,1] neg_hi:[0,1]
	v_pk_add_f32 v[70:71], v[70:71], v[130:131] neg_lo:[0,1] neg_hi:[0,1]
	s_wait_dscnt 0x0
	v_pk_mul_f32 v[130:131], v[126:127], v[118:119] op_sel:[0,1]
	s_delay_alu instid0(VALU_DEP_1) | instskip(SKIP_1) | instid1(VALU_DEP_1)
	v_pk_fma_f32 v[132:133], v[126:127], v[116:117], v[130:131] op_sel:[0,0,1] op_sel_hi:[1,1,0] neg_lo:[0,0,1] neg_hi:[0,0,1]
	v_pk_fma_f32 v[126:127], v[126:127], v[116:117], v[130:131] op_sel:[0,0,1] op_sel_hi:[1,0,0]
	v_mov_b32_e32 v133, v127
	v_pk_mul_f32 v[126:127], v[128:129], v[118:119] op_sel:[0,1]
	s_delay_alu instid0(VALU_DEP_1) | instskip(SKIP_1) | instid1(VALU_DEP_1)
	v_pk_fma_f32 v[130:131], v[128:129], v[116:117], v[126:127] op_sel:[0,0,1] op_sel_hi:[1,1,0] neg_lo:[0,0,1] neg_hi:[0,0,1]
	v_pk_fma_f32 v[126:127], v[128:129], v[116:117], v[126:127] op_sel:[0,0,1] op_sel_hi:[1,0,0]
	v_mov_b32_e32 v131, v127
	ds_load_2addr_b64 v[126:129], v120 offset0:40 offset1:41
	v_pk_add_f32 v[18:19], v[18:19], v[132:133] neg_lo:[0,1] neg_hi:[0,1]
	v_pk_add_f32 v[16:17], v[16:17], v[130:131] neg_lo:[0,1] neg_hi:[0,1]
	s_wait_dscnt 0x0
	v_dual_mul_f32 v130, v127, v119 :: v_dual_mul_f32 v132, v127, v116
	s_delay_alu instid0(VALU_DEP_1) | instskip(NEXT) | instid1(VALU_DEP_2)
	v_pk_fma_f32 v[130:131], v[126:127], v[58:59], v[130:131] op_sel_hi:[1,1,0] neg_lo:[0,0,1] neg_hi:[0,0,1]
	v_pk_fma_f32 v[126:127], v[126:127], v[58:59], v[132:133] op_sel:[1,0,0] op_sel_hi:[0,1,0]
	s_delay_alu instid0(VALU_DEP_1) | instskip(SKIP_1) | instid1(VALU_DEP_2)
	v_mov_b32_e32 v131, v127
	v_pk_mul_f32 v[126:127], v[128:129], v[118:119] op_sel:[0,1]
	v_pk_add_f32 v[68:69], v[68:69], v[130:131] neg_lo:[0,1] neg_hi:[0,1]
	s_delay_alu instid0(VALU_DEP_2) | instskip(SKIP_1) | instid1(VALU_DEP_1)
	v_pk_fma_f32 v[130:131], v[128:129], v[116:117], v[126:127] op_sel:[0,0,1] op_sel_hi:[1,1,0] neg_lo:[0,0,1] neg_hi:[0,0,1]
	v_pk_fma_f32 v[126:127], v[128:129], v[116:117], v[126:127] op_sel:[0,0,1] op_sel_hi:[1,0,0]
	v_mov_b32_e32 v131, v127
	ds_load_2addr_b64 v[126:129], v120 offset0:42 offset1:43
	v_pk_add_f32 v[66:67], v[66:67], v[130:131] neg_lo:[0,1] neg_hi:[0,1]
	s_wait_dscnt 0x0
	v_pk_mul_f32 v[130:131], v[126:127], v[118:119] op_sel:[0,1]
	s_delay_alu instid0(VALU_DEP_1) | instskip(SKIP_1) | instid1(VALU_DEP_1)
	v_pk_fma_f32 v[132:133], v[126:127], v[116:117], v[130:131] op_sel:[0,0,1] op_sel_hi:[1,1,0] neg_lo:[0,0,1] neg_hi:[0,0,1]
	v_pk_fma_f32 v[126:127], v[126:127], v[116:117], v[130:131] op_sel:[0,0,1] op_sel_hi:[1,0,0]
	v_mov_b32_e32 v133, v127
	v_pk_mul_f32 v[126:127], v[128:129], v[118:119] op_sel:[0,1]
	s_delay_alu instid0(VALU_DEP_2) | instskip(NEXT) | instid1(VALU_DEP_2)
	v_pk_add_f32 v[14:15], v[14:15], v[132:133] neg_lo:[0,1] neg_hi:[0,1]
	v_pk_fma_f32 v[130:131], v[128:129], v[116:117], v[126:127] op_sel:[0,0,1] op_sel_hi:[1,1,0] neg_lo:[0,0,1] neg_hi:[0,0,1]
	v_pk_fma_f32 v[126:127], v[128:129], v[116:117], v[126:127] op_sel:[0,0,1] op_sel_hi:[1,0,0]
	s_delay_alu instid0(VALU_DEP_1) | instskip(SKIP_4) | instid1(VALU_DEP_1)
	v_mov_b32_e32 v131, v127
	ds_load_2addr_b64 v[126:129], v120 offset0:44 offset1:45
	v_pk_add_f32 v[12:13], v[12:13], v[130:131] neg_lo:[0,1] neg_hi:[0,1]
	s_wait_dscnt 0x0
	v_pk_mul_f32 v[130:131], v[126:127], v[118:119] op_sel:[0,1]
	v_pk_fma_f32 v[132:133], v[126:127], v[116:117], v[130:131] op_sel:[0,0,1] op_sel_hi:[1,1,0] neg_lo:[0,0,1] neg_hi:[0,0,1]
	v_pk_fma_f32 v[126:127], v[126:127], v[116:117], v[130:131] op_sel:[0,0,1] op_sel_hi:[1,0,0]
	v_dual_mul_f32 v130, v129, v119 :: v_dual_mov_b32 v126, v129
	s_delay_alu instid0(VALU_DEP_2) | instskip(NEXT) | instid1(VALU_DEP_2)
	v_dual_mov_b32 v133, v127 :: v_dual_mov_b32 v127, v128
	v_pk_fma_f32 v[130:131], v[128:129], v[58:59], v[130:131] op_sel_hi:[1,1,0] neg_lo:[0,0,1] neg_hi:[0,0,1]
	v_mul_f32_e32 v128, v129, v116
	s_delay_alu instid0(VALU_DEP_3) | instskip(NEXT) | instid1(VALU_DEP_2)
	v_pk_add_f32 v[64:65], v[64:65], v[132:133] neg_lo:[0,1] neg_hi:[0,1]
	v_pk_fma_f32 v[126:127], v[126:127], v[58:59], v[128:129] op_sel_hi:[1,1,0]
	s_delay_alu instid0(VALU_DEP_1) | instskip(SKIP_4) | instid1(VALU_DEP_1)
	v_mov_b32_e32 v131, v127
	ds_load_2addr_b64 v[126:129], v120 offset0:46 offset1:47
	v_pk_add_f32 v[62:63], v[62:63], v[130:131] neg_lo:[0,1] neg_hi:[0,1]
	s_wait_dscnt 0x0
	v_pk_mul_f32 v[130:131], v[126:127], v[118:119] op_sel:[0,1]
	v_pk_fma_f32 v[132:133], v[126:127], v[116:117], v[130:131] op_sel:[0,0,1] op_sel_hi:[1,1,0] neg_lo:[0,0,1] neg_hi:[0,0,1]
	v_pk_fma_f32 v[126:127], v[126:127], v[116:117], v[130:131] op_sel:[0,0,1] op_sel_hi:[1,0,0]
	s_delay_alu instid0(VALU_DEP_1) | instskip(SKIP_1) | instid1(VALU_DEP_1)
	v_mov_b32_e32 v133, v127
	v_pk_mul_f32 v[126:127], v[128:129], v[118:119] op_sel:[0,1]
	v_pk_fma_f32 v[130:131], v[128:129], v[116:117], v[126:127] op_sel:[0,0,1] op_sel_hi:[1,1,0] neg_lo:[0,0,1] neg_hi:[0,0,1]
	v_pk_fma_f32 v[126:127], v[128:129], v[116:117], v[126:127] op_sel:[0,0,1] op_sel_hi:[1,0,0]
	s_delay_alu instid0(VALU_DEP_1)
	v_mov_b32_e32 v131, v127
	ds_load_2addr_b64 v[126:129], v120 offset0:48 offset1:49
	v_pk_add_f32 v[10:11], v[10:11], v[132:133] neg_lo:[0,1] neg_hi:[0,1]
	v_pk_add_f32 v[6:7], v[6:7], v[130:131] neg_lo:[0,1] neg_hi:[0,1]
	s_wait_dscnt 0x0
	v_pk_mul_f32 v[130:131], v[126:127], v[118:119] op_sel:[0,1]
	s_delay_alu instid0(VALU_DEP_1) | instskip(SKIP_1) | instid1(VALU_DEP_1)
	v_pk_fma_f32 v[132:133], v[126:127], v[116:117], v[130:131] op_sel:[0,0,1] op_sel_hi:[1,1,0] neg_lo:[0,0,1] neg_hi:[0,0,1]
	v_pk_fma_f32 v[126:127], v[126:127], v[116:117], v[130:131] op_sel:[0,0,1] op_sel_hi:[1,0,0]
	v_mov_b32_e32 v133, v127
	v_pk_mul_f32 v[126:127], v[128:129], v[118:119] op_sel:[0,1]
	s_delay_alu instid0(VALU_DEP_1) | instskip(SKIP_1) | instid1(VALU_DEP_1)
	v_pk_fma_f32 v[130:131], v[128:129], v[116:117], v[126:127] op_sel:[0,0,1] op_sel_hi:[1,1,0] neg_lo:[0,0,1] neg_hi:[0,0,1]
	v_pk_fma_f32 v[126:127], v[128:129], v[116:117], v[126:127] op_sel:[0,0,1] op_sel_hi:[1,0,0]
	v_mov_b32_e32 v131, v127
	ds_load_2addr_b64 v[126:129], v120 offset0:50 offset1:51
	v_pk_add_f32 v[52:53], v[52:53], v[132:133] neg_lo:[0,1] neg_hi:[0,1]
	v_pk_add_f32 v[50:51], v[50:51], v[130:131] neg_lo:[0,1] neg_hi:[0,1]
	s_wait_dscnt 0x0
	v_dual_mul_f32 v130, v127, v119 :: v_dual_mul_f32 v132, v127, v116
	s_delay_alu instid0(VALU_DEP_1) | instskip(NEXT) | instid1(VALU_DEP_2)
	v_pk_fma_f32 v[130:131], v[126:127], v[58:59], v[130:131] op_sel_hi:[1,1,0] neg_lo:[0,0,1] neg_hi:[0,0,1]
	v_pk_fma_f32 v[126:127], v[126:127], v[58:59], v[132:133] op_sel:[1,0,0] op_sel_hi:[0,1,0]
	s_delay_alu instid0(VALU_DEP_1) | instskip(SKIP_1) | instid1(VALU_DEP_2)
	v_mov_b32_e32 v131, v127
	v_pk_mul_f32 v[126:127], v[128:129], v[118:119] op_sel:[0,1]
	v_pk_add_f32 v[8:9], v[8:9], v[130:131] neg_lo:[0,1] neg_hi:[0,1]
	s_delay_alu instid0(VALU_DEP_2) | instskip(SKIP_1) | instid1(VALU_DEP_1)
	v_pk_fma_f32 v[130:131], v[128:129], v[116:117], v[126:127] op_sel:[0,0,1] op_sel_hi:[1,1,0] neg_lo:[0,0,1] neg_hi:[0,0,1]
	v_pk_fma_f32 v[126:127], v[128:129], v[116:117], v[126:127] op_sel:[0,0,1] op_sel_hi:[1,0,0]
	v_mov_b32_e32 v131, v127
	ds_load_2addr_b64 v[126:129], v120 offset0:52 offset1:53
	v_pk_add_f32 v[30:31], v[30:31], v[130:131] neg_lo:[0,1] neg_hi:[0,1]
	s_wait_dscnt 0x0
	v_pk_mul_f32 v[130:131], v[126:127], v[118:119] op_sel:[0,1]
	s_delay_alu instid0(VALU_DEP_1) | instskip(SKIP_1) | instid1(VALU_DEP_1)
	v_pk_fma_f32 v[132:133], v[126:127], v[116:117], v[130:131] op_sel:[0,0,1] op_sel_hi:[1,1,0] neg_lo:[0,0,1] neg_hi:[0,0,1]
	v_pk_fma_f32 v[126:127], v[126:127], v[116:117], v[130:131] op_sel:[0,0,1] op_sel_hi:[1,0,0]
	v_mov_b32_e32 v133, v127
	v_pk_mul_f32 v[126:127], v[128:129], v[118:119] op_sel:[0,1]
	s_delay_alu instid0(VALU_DEP_2) | instskip(NEXT) | instid1(VALU_DEP_2)
	v_pk_add_f32 v[34:35], v[34:35], v[132:133] neg_lo:[0,1] neg_hi:[0,1]
	v_pk_fma_f32 v[130:131], v[128:129], v[116:117], v[126:127] op_sel:[0,0,1] op_sel_hi:[1,1,0] neg_lo:[0,0,1] neg_hi:[0,0,1]
	v_pk_fma_f32 v[126:127], v[128:129], v[116:117], v[126:127] op_sel:[0,0,1] op_sel_hi:[1,0,0]
	s_delay_alu instid0(VALU_DEP_1) | instskip(SKIP_4) | instid1(VALU_DEP_1)
	v_mov_b32_e32 v131, v127
	ds_load_b64 v[126:127], v120 offset:432
	v_pk_add_f32 v[24:25], v[24:25], v[130:131] neg_lo:[0,1] neg_hi:[0,1]
	s_wait_dscnt 0x0
	v_pk_mul_f32 v[118:119], v[126:127], v[118:119] op_sel:[0,1]
	v_pk_fma_f32 v[128:129], v[126:127], v[116:117], v[118:119] op_sel:[0,0,1] op_sel_hi:[1,1,0] neg_lo:[0,0,1] neg_hi:[0,0,1]
	v_pk_fma_f32 v[116:117], v[126:127], v[116:117], v[118:119] op_sel:[0,0,1] op_sel_hi:[1,0,0]
	s_delay_alu instid0(VALU_DEP_1) | instskip(NEXT) | instid1(VALU_DEP_1)
	v_mov_b32_e32 v129, v117
	v_pk_add_f32 v[114:115], v[114:115], v[128:129] neg_lo:[0,1] neg_hi:[0,1]
.LBB108_251:
	s_or_b32 exec_lo, exec_lo, s0
	v_lshl_add_u32 v116, v124, 3, v120
	s_barrier_signal -1
	s_barrier_wait -1
	ds_store_b64 v116, v[100:101]
	s_wait_dscnt 0x0
	s_barrier_signal -1
	s_barrier_wait -1
	ds_load_b64 v[118:119], v120 offset:96
	v_mov_b32_e32 v116, 12
	s_cmp_lt_i32 s18, 14
	s_cbranch_scc1 .LBB108_254
; %bb.252:
	v_add3_u32 v117, v121, 0, 0x68
	v_mov_b32_e32 v116, 12
	s_mov_b32 s0, 13
.LBB108_253:                            ; =>This Inner Loop Header: Depth=1
	ds_load_b64 v[126:127], v117
	s_wait_dscnt 0x1
	v_cmp_gt_f32_e32 vcc_lo, 0, v118
	v_cndmask_b32_e64 v128, v118, -v118, vcc_lo
	v_cmp_gt_f32_e32 vcc_lo, 0, v119
	v_cndmask_b32_e64 v130, v119, -v119, vcc_lo
	s_wait_dscnt 0x0
	v_cmp_gt_f32_e32 vcc_lo, 0, v126
	v_cndmask_b32_e64 v129, v126, -v126, vcc_lo
	v_cmp_gt_f32_e32 vcc_lo, 0, v127
	v_cndmask_b32_e64 v131, v127, -v127, vcc_lo
	s_delay_alu instid0(VALU_DEP_1) | instskip(NEXT) | instid1(VALU_DEP_1)
	v_pk_add_f32 v[128:129], v[128:129], v[130:131]
	v_cmp_lt_f32_e32 vcc_lo, v128, v129
	v_dual_add_nc_u32 v117, 8, v117 :: v_dual_cndmask_b32 v119, v119, v127, vcc_lo
	v_cndmask_b32_e32 v118, v118, v126, vcc_lo
	v_cndmask_b32_e64 v116, v116, s0, vcc_lo
	s_add_co_i32 s0, s0, 1
	s_delay_alu instid0(SALU_CYCLE_1)
	s_cmp_lg_u32 s18, s0
	s_cbranch_scc1 .LBB108_253
.LBB108_254:
	s_wait_dscnt 0x0
	v_cmp_eq_f32_e32 vcc_lo, 0, v118
	v_cmp_eq_f32_e64 s0, 0, v119
	s_and_b32 s0, vcc_lo, s0
	s_delay_alu instid0(SALU_CYCLE_1) | instskip(NEXT) | instid1(SALU_CYCLE_1)
	s_and_saveexec_b32 s1, s0
	s_xor_b32 s0, exec_lo, s1
; %bb.255:
	v_cmp_ne_u32_e32 vcc_lo, 0, v122
	v_cndmask_b32_e32 v122, 13, v122, vcc_lo
; %bb.256:
	s_and_not1_saveexec_b32 s0, s0
	s_cbranch_execz .LBB108_262
; %bb.257:
	v_cmp_ngt_f32_e64 s1, |v118|, |v119|
	s_and_saveexec_b32 s12, s1
	s_delay_alu instid0(SALU_CYCLE_1)
	s_xor_b32 s1, exec_lo, s12
	s_cbranch_execz .LBB108_259
; %bb.258:
	v_div_scale_f32 v117, null, v119, v119, v118
	v_div_scale_f32 v127, vcc_lo, v118, v119, v118
	s_delay_alu instid0(VALU_DEP_2) | instskip(SKIP_1) | instid1(TRANS32_DEP_1)
	v_rcp_f32_e32 v125, v117
	v_nop
	v_fma_f32 v126, -v117, v125, 1.0
	s_delay_alu instid0(VALU_DEP_1) | instskip(NEXT) | instid1(VALU_DEP_1)
	v_fmac_f32_e32 v125, v126, v125
	v_mul_f32_e32 v126, v127, v125
	s_delay_alu instid0(VALU_DEP_1) | instskip(NEXT) | instid1(VALU_DEP_1)
	v_fma_f32 v128, -v117, v126, v127
	v_fmac_f32_e32 v126, v128, v125
	s_delay_alu instid0(VALU_DEP_1) | instskip(NEXT) | instid1(VALU_DEP_1)
	v_fma_f32 v117, -v117, v126, v127
	v_div_fmas_f32 v117, v117, v125, v126
	s_delay_alu instid0(VALU_DEP_1) | instskip(NEXT) | instid1(VALU_DEP_1)
	v_div_fixup_f32 v117, v117, v119, v118
	v_fmac_f32_e32 v119, v118, v117
	s_delay_alu instid0(VALU_DEP_1) | instskip(SKIP_1) | instid1(VALU_DEP_2)
	v_div_scale_f32 v118, null, v119, v119, 1.0
	v_div_scale_f32 v127, vcc_lo, 1.0, v119, 1.0
	v_rcp_f32_e32 v125, v118
	v_nop
	s_delay_alu instid0(TRANS32_DEP_1) | instskip(NEXT) | instid1(VALU_DEP_1)
	v_fma_f32 v126, -v118, v125, 1.0
	v_fmac_f32_e32 v125, v126, v125
	s_delay_alu instid0(VALU_DEP_1) | instskip(NEXT) | instid1(VALU_DEP_1)
	v_mul_f32_e32 v126, v127, v125
	v_fma_f32 v128, -v118, v126, v127
	s_delay_alu instid0(VALU_DEP_1) | instskip(NEXT) | instid1(VALU_DEP_1)
	v_fmac_f32_e32 v126, v128, v125
	v_fma_f32 v118, -v118, v126, v127
	s_delay_alu instid0(VALU_DEP_1) | instskip(NEXT) | instid1(VALU_DEP_1)
	v_div_fmas_f32 v118, v118, v125, v126
	v_div_fixup_f32 v119, v118, v119, 1.0
	s_delay_alu instid0(VALU_DEP_1)
	v_mul_f32_e32 v118, v117, v119
	v_xor_b32_e32 v119, 0x80000000, v119
.LBB108_259:
	s_and_not1_saveexec_b32 s1, s1
	s_cbranch_execz .LBB108_261
; %bb.260:
	s_delay_alu instid0(VALU_DEP_1) | instskip(SKIP_1) | instid1(VALU_DEP_2)
	v_div_scale_f32 v117, null, v118, v118, v119
	v_div_scale_f32 v127, vcc_lo, v119, v118, v119
	v_rcp_f32_e32 v125, v117
	v_nop
	s_delay_alu instid0(TRANS32_DEP_1) | instskip(NEXT) | instid1(VALU_DEP_1)
	v_fma_f32 v126, -v117, v125, 1.0
	v_fmac_f32_e32 v125, v126, v125
	s_delay_alu instid0(VALU_DEP_1) | instskip(NEXT) | instid1(VALU_DEP_1)
	v_mul_f32_e32 v126, v127, v125
	v_fma_f32 v128, -v117, v126, v127
	s_delay_alu instid0(VALU_DEP_1) | instskip(NEXT) | instid1(VALU_DEP_1)
	v_fmac_f32_e32 v126, v128, v125
	v_fma_f32 v117, -v117, v126, v127
	s_delay_alu instid0(VALU_DEP_1) | instskip(NEXT) | instid1(VALU_DEP_1)
	v_div_fmas_f32 v117, v117, v125, v126
	v_div_fixup_f32 v117, v117, v118, v119
	s_delay_alu instid0(VALU_DEP_1) | instskip(NEXT) | instid1(VALU_DEP_1)
	v_fmac_f32_e32 v118, v119, v117
	v_div_scale_f32 v119, null, v118, v118, 1.0
	s_delay_alu instid0(VALU_DEP_1) | instskip(SKIP_1) | instid1(TRANS32_DEP_1)
	v_rcp_f32_e32 v125, v119
	v_nop
	v_fma_f32 v126, -v119, v125, 1.0
	s_delay_alu instid0(VALU_DEP_1) | instskip(SKIP_1) | instid1(VALU_DEP_1)
	v_fmac_f32_e32 v125, v126, v125
	v_div_scale_f32 v126, vcc_lo, 1.0, v118, 1.0
	v_mul_f32_e32 v127, v126, v125
	s_delay_alu instid0(VALU_DEP_1) | instskip(NEXT) | instid1(VALU_DEP_1)
	v_fma_f32 v128, -v119, v127, v126
	v_fmac_f32_e32 v127, v128, v125
	s_delay_alu instid0(VALU_DEP_1) | instskip(NEXT) | instid1(VALU_DEP_1)
	v_fma_f32 v119, -v119, v127, v126
	v_div_fmas_f32 v119, v119, v125, v127
	s_delay_alu instid0(VALU_DEP_1) | instskip(NEXT) | instid1(VALU_DEP_1)
	v_div_fixup_f32 v118, v119, v118, 1.0
	v_mul_f32_e64 v119, v117, -v118
.LBB108_261:
	s_or_b32 exec_lo, exec_lo, s1
.LBB108_262:
	s_delay_alu instid0(SALU_CYCLE_1) | instskip(NEXT) | instid1(SALU_CYCLE_1)
	s_or_b32 exec_lo, exec_lo, s0
	s_mov_b32 s0, exec_lo
	v_cmpx_ne_u32_e64 v124, v116
	s_xor_b32 s0, exec_lo, s0
	s_cbranch_execz .LBB108_268
; %bb.263:
	s_mov_b32 s1, exec_lo
	v_cmpx_eq_u32_e32 12, v124
	s_cbranch_execz .LBB108_267
; %bb.264:
	v_cmp_ne_u32_e32 vcc_lo, 12, v116
	s_xor_b32 s12, s16, -1
	s_delay_alu instid0(SALU_CYCLE_1) | instskip(NEXT) | instid1(SALU_CYCLE_1)
	s_and_b32 s13, s12, vcc_lo
	s_and_saveexec_b32 s12, s13
	s_cbranch_execz .LBB108_266
; %bb.265:
	v_ashrrev_i32_e32 v117, 31, v116
	s_delay_alu instid0(VALU_DEP_1)
	v_lshl_add_u64 v[124:125], v[116:117], 2, v[4:5]
	s_clause 0x1
	global_load_b32 v117, v[124:125], off
	global_load_b32 v123, v[4:5], off offset:48
	s_wait_loadcnt 0x1
	global_store_b32 v[4:5], v117, off offset:48
	s_wait_loadcnt 0x0
	global_store_b32 v[124:125], v123, off
.LBB108_266:
	s_wait_xcnt 0x0
	s_or_b32 exec_lo, exec_lo, s12
	v_dual_mov_b32 v124, v116 :: v_dual_mov_b32 v123, v116
.LBB108_267:
	s_or_b32 exec_lo, exec_lo, s1
.LBB108_268:
	s_and_not1_saveexec_b32 s0, s0
	s_cbranch_execz .LBB108_270
; %bb.269:
	v_mov_b32_e32 v124, 12
	ds_store_2addr_b64 v120, v[98:99], v[56:57] offset0:13 offset1:14
	ds_store_2addr_b64 v120, v[54:55], v[92:93] offset0:15 offset1:16
	;; [unrolled: 1-line block ×21, first 2 shown]
.LBB108_270:
	s_or_b32 exec_lo, exec_lo, s0
	s_delay_alu instid0(SALU_CYCLE_1)
	s_mov_b32 s0, exec_lo
	s_wait_storecnt_dscnt 0x0
	s_barrier_signal -1
	s_barrier_wait -1
	v_cmpx_lt_i32_e32 12, v124
	s_cbranch_execz .LBB108_272
; %bb.271:
	v_pk_mul_f32 v[126:127], v[118:119], v[100:101] op_sel:[1,1] op_sel_hi:[0,1]
	s_delay_alu instid0(VALU_DEP_1)
	v_pk_fma_f32 v[116:117], v[118:119], v[100:101], v[126:127] op_sel_hi:[1,0,1] neg_lo:[0,0,1] neg_hi:[0,0,1]
	v_pk_fma_f32 v[118:119], v[118:119], v[100:101], v[126:127] op_sel_hi:[1,0,1]
	ds_load_2addr_b64 v[126:129], v120 offset0:13 offset1:14
	v_dual_mov_b32 v100, v116 :: v_dual_mov_b32 v101, v119
	s_wait_dscnt 0x0
	v_pk_mul_f32 v[130:131], v[126:127], v[118:119] op_sel:[0,1]
	s_delay_alu instid0(VALU_DEP_1) | instskip(SKIP_1) | instid1(VALU_DEP_1)
	v_pk_fma_f32 v[132:133], v[126:127], v[116:117], v[130:131] op_sel:[0,0,1] op_sel_hi:[1,1,0] neg_lo:[0,0,1] neg_hi:[0,0,1]
	v_pk_fma_f32 v[126:127], v[126:127], v[116:117], v[130:131] op_sel:[0,0,1] op_sel_hi:[1,0,0]
	v_mov_b32_e32 v133, v127
	v_pk_mul_f32 v[126:127], v[128:129], v[118:119] op_sel:[0,1]
	s_delay_alu instid0(VALU_DEP_1) | instskip(SKIP_1) | instid1(VALU_DEP_1)
	v_pk_fma_f32 v[130:131], v[128:129], v[116:117], v[126:127] op_sel:[0,0,1] op_sel_hi:[1,1,0] neg_lo:[0,0,1] neg_hi:[0,0,1]
	v_pk_fma_f32 v[126:127], v[128:129], v[116:117], v[126:127] op_sel:[0,0,1] op_sel_hi:[1,0,0]
	v_mov_b32_e32 v131, v127
	ds_load_2addr_b64 v[126:129], v120 offset0:15 offset1:16
	v_pk_add_f32 v[98:99], v[98:99], v[132:133] neg_lo:[0,1] neg_hi:[0,1]
	v_pk_add_f32 v[56:57], v[56:57], v[130:131] neg_lo:[0,1] neg_hi:[0,1]
	s_wait_dscnt 0x0
	v_pk_mul_f32 v[130:131], v[126:127], v[118:119] op_sel:[0,1]
	s_delay_alu instid0(VALU_DEP_1) | instskip(SKIP_2) | instid1(VALU_DEP_2)
	v_pk_fma_f32 v[132:133], v[126:127], v[116:117], v[130:131] op_sel:[0,0,1] op_sel_hi:[1,1,0] neg_lo:[0,0,1] neg_hi:[0,0,1]
	v_pk_fma_f32 v[126:127], v[126:127], v[116:117], v[130:131] op_sel:[0,0,1] op_sel_hi:[1,0,0]
	v_dual_mul_f32 v130, v129, v119 :: v_dual_mov_b32 v126, v129
	v_dual_mov_b32 v133, v127 :: v_dual_mov_b32 v127, v128
	s_delay_alu instid0(VALU_DEP_2) | instskip(SKIP_1) | instid1(VALU_DEP_3)
	v_pk_fma_f32 v[130:131], v[128:129], v[100:101], v[130:131] op_sel_hi:[1,1,0] neg_lo:[0,0,1] neg_hi:[0,0,1]
	v_mul_f32_e32 v128, v129, v116
	v_pk_add_f32 v[54:55], v[54:55], v[132:133] neg_lo:[0,1] neg_hi:[0,1]
	s_delay_alu instid0(VALU_DEP_2) | instskip(NEXT) | instid1(VALU_DEP_1)
	v_pk_fma_f32 v[126:127], v[126:127], v[100:101], v[128:129] op_sel_hi:[1,1,0]
	v_mov_b32_e32 v131, v127
	ds_load_2addr_b64 v[126:129], v120 offset0:17 offset1:18
	v_pk_add_f32 v[92:93], v[92:93], v[130:131] neg_lo:[0,1] neg_hi:[0,1]
	s_wait_dscnt 0x0
	v_pk_mul_f32 v[130:131], v[126:127], v[118:119] op_sel:[0,1]
	s_delay_alu instid0(VALU_DEP_1) | instskip(SKIP_1) | instid1(VALU_DEP_1)
	v_pk_fma_f32 v[132:133], v[126:127], v[116:117], v[130:131] op_sel:[0,0,1] op_sel_hi:[1,1,0] neg_lo:[0,0,1] neg_hi:[0,0,1]
	v_pk_fma_f32 v[126:127], v[126:127], v[116:117], v[130:131] op_sel:[0,0,1] op_sel_hi:[1,0,0]
	v_mov_b32_e32 v133, v127
	v_pk_mul_f32 v[126:127], v[128:129], v[118:119] op_sel:[0,1]
	s_delay_alu instid0(VALU_DEP_1) | instskip(SKIP_1) | instid1(VALU_DEP_1)
	v_pk_fma_f32 v[130:131], v[128:129], v[116:117], v[126:127] op_sel:[0,0,1] op_sel_hi:[1,1,0] neg_lo:[0,0,1] neg_hi:[0,0,1]
	v_pk_fma_f32 v[126:127], v[128:129], v[116:117], v[126:127] op_sel:[0,0,1] op_sel_hi:[1,0,0]
	v_mov_b32_e32 v131, v127
	ds_load_2addr_b64 v[126:129], v120 offset0:19 offset1:20
	v_pk_add_f32 v[90:91], v[90:91], v[132:133] neg_lo:[0,1] neg_hi:[0,1]
	v_pk_add_f32 v[44:45], v[44:45], v[130:131] neg_lo:[0,1] neg_hi:[0,1]
	s_wait_dscnt 0x0
	v_pk_mul_f32 v[130:131], v[126:127], v[118:119] op_sel:[0,1]
	s_delay_alu instid0(VALU_DEP_1) | instskip(SKIP_1) | instid1(VALU_DEP_1)
	v_pk_fma_f32 v[132:133], v[126:127], v[116:117], v[130:131] op_sel:[0,0,1] op_sel_hi:[1,1,0] neg_lo:[0,0,1] neg_hi:[0,0,1]
	v_pk_fma_f32 v[126:127], v[126:127], v[116:117], v[130:131] op_sel:[0,0,1] op_sel_hi:[1,0,0]
	v_mov_b32_e32 v133, v127
	v_pk_mul_f32 v[126:127], v[128:129], v[118:119] op_sel:[0,1]
	s_delay_alu instid0(VALU_DEP_1) | instskip(SKIP_1) | instid1(VALU_DEP_1)
	v_pk_fma_f32 v[130:131], v[128:129], v[116:117], v[126:127] op_sel:[0,0,1] op_sel_hi:[1,1,0] neg_lo:[0,0,1] neg_hi:[0,0,1]
	v_pk_fma_f32 v[126:127], v[128:129], v[116:117], v[126:127] op_sel:[0,0,1] op_sel_hi:[1,0,0]
	v_mov_b32_e32 v131, v127
	ds_load_2addr_b64 v[126:129], v120 offset0:21 offset1:22
	v_pk_add_f32 v[42:43], v[42:43], v[132:133] neg_lo:[0,1] neg_hi:[0,1]
	v_pk_add_f32 v[88:89], v[88:89], v[130:131] neg_lo:[0,1] neg_hi:[0,1]
	s_wait_dscnt 0x0
	v_dual_mul_f32 v130, v127, v119 :: v_dual_mul_f32 v132, v127, v116
	s_delay_alu instid0(VALU_DEP_1) | instskip(NEXT) | instid1(VALU_DEP_2)
	v_pk_fma_f32 v[130:131], v[126:127], v[100:101], v[130:131] op_sel_hi:[1,1,0] neg_lo:[0,0,1] neg_hi:[0,0,1]
	v_pk_fma_f32 v[126:127], v[126:127], v[100:101], v[132:133] op_sel:[1,0,0] op_sel_hi:[0,1,0]
	s_delay_alu instid0(VALU_DEP_1) | instskip(SKIP_1) | instid1(VALU_DEP_2)
	v_mov_b32_e32 v131, v127
	v_pk_mul_f32 v[126:127], v[128:129], v[118:119] op_sel:[0,1]
	v_pk_add_f32 v[86:87], v[86:87], v[130:131] neg_lo:[0,1] neg_hi:[0,1]
	s_delay_alu instid0(VALU_DEP_2) | instskip(SKIP_1) | instid1(VALU_DEP_1)
	v_pk_fma_f32 v[130:131], v[128:129], v[116:117], v[126:127] op_sel:[0,0,1] op_sel_hi:[1,1,0] neg_lo:[0,0,1] neg_hi:[0,0,1]
	v_pk_fma_f32 v[126:127], v[128:129], v[116:117], v[126:127] op_sel:[0,0,1] op_sel_hi:[1,0,0]
	v_mov_b32_e32 v131, v127
	ds_load_2addr_b64 v[126:129], v120 offset0:23 offset1:24
	v_pk_add_f32 v[40:41], v[40:41], v[130:131] neg_lo:[0,1] neg_hi:[0,1]
	s_wait_dscnt 0x0
	v_pk_mul_f32 v[130:131], v[126:127], v[118:119] op_sel:[0,1]
	s_delay_alu instid0(VALU_DEP_1) | instskip(SKIP_1) | instid1(VALU_DEP_1)
	v_pk_fma_f32 v[132:133], v[126:127], v[116:117], v[130:131] op_sel:[0,0,1] op_sel_hi:[1,1,0] neg_lo:[0,0,1] neg_hi:[0,0,1]
	v_pk_fma_f32 v[126:127], v[126:127], v[116:117], v[130:131] op_sel:[0,0,1] op_sel_hi:[1,0,0]
	v_mov_b32_e32 v133, v127
	v_pk_mul_f32 v[126:127], v[128:129], v[118:119] op_sel:[0,1]
	s_delay_alu instid0(VALU_DEP_2) | instskip(NEXT) | instid1(VALU_DEP_2)
	v_pk_add_f32 v[38:39], v[38:39], v[132:133] neg_lo:[0,1] neg_hi:[0,1]
	v_pk_fma_f32 v[130:131], v[128:129], v[116:117], v[126:127] op_sel:[0,0,1] op_sel_hi:[1,1,0] neg_lo:[0,0,1] neg_hi:[0,0,1]
	v_pk_fma_f32 v[126:127], v[128:129], v[116:117], v[126:127] op_sel:[0,0,1] op_sel_hi:[1,0,0]
	s_delay_alu instid0(VALU_DEP_1) | instskip(SKIP_4) | instid1(VALU_DEP_1)
	v_mov_b32_e32 v131, v127
	ds_load_2addr_b64 v[126:129], v120 offset0:25 offset1:26
	v_pk_add_f32 v[84:85], v[84:85], v[130:131] neg_lo:[0,1] neg_hi:[0,1]
	s_wait_dscnt 0x0
	v_pk_mul_f32 v[130:131], v[126:127], v[118:119] op_sel:[0,1]
	v_pk_fma_f32 v[132:133], v[126:127], v[116:117], v[130:131] op_sel:[0,0,1] op_sel_hi:[1,1,0] neg_lo:[0,0,1] neg_hi:[0,0,1]
	v_pk_fma_f32 v[126:127], v[126:127], v[116:117], v[130:131] op_sel:[0,0,1] op_sel_hi:[1,0,0]
	v_dual_mul_f32 v130, v129, v119 :: v_dual_mov_b32 v126, v129
	s_delay_alu instid0(VALU_DEP_2) | instskip(NEXT) | instid1(VALU_DEP_2)
	v_dual_mov_b32 v133, v127 :: v_dual_mov_b32 v127, v128
	v_pk_fma_f32 v[130:131], v[128:129], v[100:101], v[130:131] op_sel_hi:[1,1,0] neg_lo:[0,0,1] neg_hi:[0,0,1]
	v_mul_f32_e32 v128, v129, v116
	s_delay_alu instid0(VALU_DEP_3) | instskip(NEXT) | instid1(VALU_DEP_2)
	v_pk_add_f32 v[82:83], v[82:83], v[132:133] neg_lo:[0,1] neg_hi:[0,1]
	v_pk_fma_f32 v[126:127], v[126:127], v[100:101], v[128:129] op_sel_hi:[1,1,0]
	s_delay_alu instid0(VALU_DEP_1) | instskip(SKIP_4) | instid1(VALU_DEP_1)
	v_mov_b32_e32 v131, v127
	ds_load_2addr_b64 v[126:129], v120 offset0:27 offset1:28
	v_pk_add_f32 v[36:37], v[36:37], v[130:131] neg_lo:[0,1] neg_hi:[0,1]
	s_wait_dscnt 0x0
	v_pk_mul_f32 v[130:131], v[126:127], v[118:119] op_sel:[0,1]
	v_pk_fma_f32 v[132:133], v[126:127], v[116:117], v[130:131] op_sel:[0,0,1] op_sel_hi:[1,1,0] neg_lo:[0,0,1] neg_hi:[0,0,1]
	v_pk_fma_f32 v[126:127], v[126:127], v[116:117], v[130:131] op_sel:[0,0,1] op_sel_hi:[1,0,0]
	s_delay_alu instid0(VALU_DEP_1) | instskip(SKIP_1) | instid1(VALU_DEP_1)
	v_mov_b32_e32 v133, v127
	v_pk_mul_f32 v[126:127], v[128:129], v[118:119] op_sel:[0,1]
	v_pk_fma_f32 v[130:131], v[128:129], v[116:117], v[126:127] op_sel:[0,0,1] op_sel_hi:[1,1,0] neg_lo:[0,0,1] neg_hi:[0,0,1]
	v_pk_fma_f32 v[126:127], v[128:129], v[116:117], v[126:127] op_sel:[0,0,1] op_sel_hi:[1,0,0]
	s_delay_alu instid0(VALU_DEP_1)
	v_mov_b32_e32 v131, v127
	ds_load_2addr_b64 v[126:129], v120 offset0:29 offset1:30
	v_pk_add_f32 v[32:33], v[32:33], v[132:133] neg_lo:[0,1] neg_hi:[0,1]
	v_pk_add_f32 v[80:81], v[80:81], v[130:131] neg_lo:[0,1] neg_hi:[0,1]
	s_wait_dscnt 0x0
	v_pk_mul_f32 v[130:131], v[126:127], v[118:119] op_sel:[0,1]
	s_delay_alu instid0(VALU_DEP_1) | instskip(SKIP_1) | instid1(VALU_DEP_1)
	v_pk_fma_f32 v[132:133], v[126:127], v[116:117], v[130:131] op_sel:[0,0,1] op_sel_hi:[1,1,0] neg_lo:[0,0,1] neg_hi:[0,0,1]
	v_pk_fma_f32 v[126:127], v[126:127], v[116:117], v[130:131] op_sel:[0,0,1] op_sel_hi:[1,0,0]
	v_mov_b32_e32 v133, v127
	v_pk_mul_f32 v[126:127], v[128:129], v[118:119] op_sel:[0,1]
	s_delay_alu instid0(VALU_DEP_1) | instskip(SKIP_1) | instid1(VALU_DEP_1)
	v_pk_fma_f32 v[130:131], v[128:129], v[116:117], v[126:127] op_sel:[0,0,1] op_sel_hi:[1,1,0] neg_lo:[0,0,1] neg_hi:[0,0,1]
	v_pk_fma_f32 v[126:127], v[128:129], v[116:117], v[126:127] op_sel:[0,0,1] op_sel_hi:[1,0,0]
	v_mov_b32_e32 v131, v127
	ds_load_2addr_b64 v[126:129], v120 offset0:31 offset1:32
	v_pk_add_f32 v[78:79], v[78:79], v[132:133] neg_lo:[0,1] neg_hi:[0,1]
	v_pk_add_f32 v[28:29], v[28:29], v[130:131] neg_lo:[0,1] neg_hi:[0,1]
	s_wait_dscnt 0x0
	v_dual_mul_f32 v130, v127, v119 :: v_dual_mul_f32 v132, v127, v116
	s_delay_alu instid0(VALU_DEP_1) | instskip(NEXT) | instid1(VALU_DEP_2)
	v_pk_fma_f32 v[130:131], v[126:127], v[100:101], v[130:131] op_sel_hi:[1,1,0] neg_lo:[0,0,1] neg_hi:[0,0,1]
	v_pk_fma_f32 v[126:127], v[126:127], v[100:101], v[132:133] op_sel:[1,0,0] op_sel_hi:[0,1,0]
	s_delay_alu instid0(VALU_DEP_1) | instskip(SKIP_1) | instid1(VALU_DEP_2)
	v_mov_b32_e32 v131, v127
	v_pk_mul_f32 v[126:127], v[128:129], v[118:119] op_sel:[0,1]
	v_pk_add_f32 v[26:27], v[26:27], v[130:131] neg_lo:[0,1] neg_hi:[0,1]
	s_delay_alu instid0(VALU_DEP_2) | instskip(SKIP_1) | instid1(VALU_DEP_1)
	v_pk_fma_f32 v[130:131], v[128:129], v[116:117], v[126:127] op_sel:[0,0,1] op_sel_hi:[1,1,0] neg_lo:[0,0,1] neg_hi:[0,0,1]
	v_pk_fma_f32 v[126:127], v[128:129], v[116:117], v[126:127] op_sel:[0,0,1] op_sel_hi:[1,0,0]
	v_mov_b32_e32 v131, v127
	ds_load_2addr_b64 v[126:129], v120 offset0:33 offset1:34
	v_pk_add_f32 v[76:77], v[76:77], v[130:131] neg_lo:[0,1] neg_hi:[0,1]
	s_wait_dscnt 0x0
	v_pk_mul_f32 v[130:131], v[126:127], v[118:119] op_sel:[0,1]
	s_delay_alu instid0(VALU_DEP_1) | instskip(SKIP_1) | instid1(VALU_DEP_1)
	v_pk_fma_f32 v[132:133], v[126:127], v[116:117], v[130:131] op_sel:[0,0,1] op_sel_hi:[1,1,0] neg_lo:[0,0,1] neg_hi:[0,0,1]
	v_pk_fma_f32 v[126:127], v[126:127], v[116:117], v[130:131] op_sel:[0,0,1] op_sel_hi:[1,0,0]
	v_mov_b32_e32 v133, v127
	v_pk_mul_f32 v[126:127], v[128:129], v[118:119] op_sel:[0,1]
	s_delay_alu instid0(VALU_DEP_2) | instskip(NEXT) | instid1(VALU_DEP_2)
	v_pk_add_f32 v[74:75], v[74:75], v[132:133] neg_lo:[0,1] neg_hi:[0,1]
	v_pk_fma_f32 v[130:131], v[128:129], v[116:117], v[126:127] op_sel:[0,0,1] op_sel_hi:[1,1,0] neg_lo:[0,0,1] neg_hi:[0,0,1]
	v_pk_fma_f32 v[126:127], v[128:129], v[116:117], v[126:127] op_sel:[0,0,1] op_sel_hi:[1,0,0]
	s_delay_alu instid0(VALU_DEP_1) | instskip(SKIP_4) | instid1(VALU_DEP_1)
	v_mov_b32_e32 v131, v127
	ds_load_2addr_b64 v[126:129], v120 offset0:35 offset1:36
	v_pk_add_f32 v[22:23], v[22:23], v[130:131] neg_lo:[0,1] neg_hi:[0,1]
	s_wait_dscnt 0x0
	v_pk_mul_f32 v[130:131], v[126:127], v[118:119] op_sel:[0,1]
	v_pk_fma_f32 v[132:133], v[126:127], v[116:117], v[130:131] op_sel:[0,0,1] op_sel_hi:[1,1,0] neg_lo:[0,0,1] neg_hi:[0,0,1]
	v_pk_fma_f32 v[126:127], v[126:127], v[116:117], v[130:131] op_sel:[0,0,1] op_sel_hi:[1,0,0]
	v_dual_mul_f32 v130, v129, v119 :: v_dual_mov_b32 v126, v129
	s_delay_alu instid0(VALU_DEP_2) | instskip(NEXT) | instid1(VALU_DEP_2)
	v_dual_mov_b32 v133, v127 :: v_dual_mov_b32 v127, v128
	v_pk_fma_f32 v[130:131], v[128:129], v[100:101], v[130:131] op_sel_hi:[1,1,0] neg_lo:[0,0,1] neg_hi:[0,0,1]
	v_mul_f32_e32 v128, v129, v116
	s_delay_alu instid0(VALU_DEP_3) | instskip(NEXT) | instid1(VALU_DEP_2)
	v_pk_add_f32 v[20:21], v[20:21], v[132:133] neg_lo:[0,1] neg_hi:[0,1]
	v_pk_fma_f32 v[126:127], v[126:127], v[100:101], v[128:129] op_sel_hi:[1,1,0]
	s_delay_alu instid0(VALU_DEP_1) | instskip(SKIP_4) | instid1(VALU_DEP_1)
	v_mov_b32_e32 v131, v127
	ds_load_2addr_b64 v[126:129], v120 offset0:37 offset1:38
	v_pk_add_f32 v[72:73], v[72:73], v[130:131] neg_lo:[0,1] neg_hi:[0,1]
	s_wait_dscnt 0x0
	v_pk_mul_f32 v[130:131], v[126:127], v[118:119] op_sel:[0,1]
	v_pk_fma_f32 v[132:133], v[126:127], v[116:117], v[130:131] op_sel:[0,0,1] op_sel_hi:[1,1,0] neg_lo:[0,0,1] neg_hi:[0,0,1]
	v_pk_fma_f32 v[126:127], v[126:127], v[116:117], v[130:131] op_sel:[0,0,1] op_sel_hi:[1,0,0]
	s_delay_alu instid0(VALU_DEP_1) | instskip(SKIP_1) | instid1(VALU_DEP_1)
	v_mov_b32_e32 v133, v127
	v_pk_mul_f32 v[126:127], v[128:129], v[118:119] op_sel:[0,1]
	v_pk_fma_f32 v[130:131], v[128:129], v[116:117], v[126:127] op_sel:[0,0,1] op_sel_hi:[1,1,0] neg_lo:[0,0,1] neg_hi:[0,0,1]
	v_pk_fma_f32 v[126:127], v[128:129], v[116:117], v[126:127] op_sel:[0,0,1] op_sel_hi:[1,0,0]
	s_delay_alu instid0(VALU_DEP_1)
	v_mov_b32_e32 v131, v127
	ds_load_2addr_b64 v[126:129], v120 offset0:39 offset1:40
	v_pk_add_f32 v[70:71], v[70:71], v[132:133] neg_lo:[0,1] neg_hi:[0,1]
	v_pk_add_f32 v[18:19], v[18:19], v[130:131] neg_lo:[0,1] neg_hi:[0,1]
	s_wait_dscnt 0x0
	v_pk_mul_f32 v[130:131], v[126:127], v[118:119] op_sel:[0,1]
	s_delay_alu instid0(VALU_DEP_1) | instskip(SKIP_1) | instid1(VALU_DEP_1)
	v_pk_fma_f32 v[132:133], v[126:127], v[116:117], v[130:131] op_sel:[0,0,1] op_sel_hi:[1,1,0] neg_lo:[0,0,1] neg_hi:[0,0,1]
	v_pk_fma_f32 v[126:127], v[126:127], v[116:117], v[130:131] op_sel:[0,0,1] op_sel_hi:[1,0,0]
	v_mov_b32_e32 v133, v127
	v_pk_mul_f32 v[126:127], v[128:129], v[118:119] op_sel:[0,1]
	s_delay_alu instid0(VALU_DEP_1) | instskip(SKIP_1) | instid1(VALU_DEP_1)
	v_pk_fma_f32 v[130:131], v[128:129], v[116:117], v[126:127] op_sel:[0,0,1] op_sel_hi:[1,1,0] neg_lo:[0,0,1] neg_hi:[0,0,1]
	v_pk_fma_f32 v[126:127], v[128:129], v[116:117], v[126:127] op_sel:[0,0,1] op_sel_hi:[1,0,0]
	v_mov_b32_e32 v131, v127
	ds_load_2addr_b64 v[126:129], v120 offset0:41 offset1:42
	v_pk_add_f32 v[16:17], v[16:17], v[132:133] neg_lo:[0,1] neg_hi:[0,1]
	v_pk_add_f32 v[68:69], v[68:69], v[130:131] neg_lo:[0,1] neg_hi:[0,1]
	s_wait_dscnt 0x0
	v_dual_mul_f32 v130, v127, v119 :: v_dual_mul_f32 v132, v127, v116
	s_delay_alu instid0(VALU_DEP_1) | instskip(NEXT) | instid1(VALU_DEP_2)
	v_pk_fma_f32 v[130:131], v[126:127], v[100:101], v[130:131] op_sel_hi:[1,1,0] neg_lo:[0,0,1] neg_hi:[0,0,1]
	v_pk_fma_f32 v[126:127], v[126:127], v[100:101], v[132:133] op_sel:[1,0,0] op_sel_hi:[0,1,0]
	s_delay_alu instid0(VALU_DEP_1) | instskip(SKIP_1) | instid1(VALU_DEP_2)
	v_mov_b32_e32 v131, v127
	v_pk_mul_f32 v[126:127], v[128:129], v[118:119] op_sel:[0,1]
	v_pk_add_f32 v[66:67], v[66:67], v[130:131] neg_lo:[0,1] neg_hi:[0,1]
	s_delay_alu instid0(VALU_DEP_2) | instskip(SKIP_1) | instid1(VALU_DEP_1)
	v_pk_fma_f32 v[130:131], v[128:129], v[116:117], v[126:127] op_sel:[0,0,1] op_sel_hi:[1,1,0] neg_lo:[0,0,1] neg_hi:[0,0,1]
	v_pk_fma_f32 v[126:127], v[128:129], v[116:117], v[126:127] op_sel:[0,0,1] op_sel_hi:[1,0,0]
	v_mov_b32_e32 v131, v127
	ds_load_2addr_b64 v[126:129], v120 offset0:43 offset1:44
	v_pk_add_f32 v[14:15], v[14:15], v[130:131] neg_lo:[0,1] neg_hi:[0,1]
	s_wait_dscnt 0x0
	v_pk_mul_f32 v[130:131], v[126:127], v[118:119] op_sel:[0,1]
	s_delay_alu instid0(VALU_DEP_1) | instskip(SKIP_1) | instid1(VALU_DEP_1)
	v_pk_fma_f32 v[132:133], v[126:127], v[116:117], v[130:131] op_sel:[0,0,1] op_sel_hi:[1,1,0] neg_lo:[0,0,1] neg_hi:[0,0,1]
	v_pk_fma_f32 v[126:127], v[126:127], v[116:117], v[130:131] op_sel:[0,0,1] op_sel_hi:[1,0,0]
	v_mov_b32_e32 v133, v127
	v_pk_mul_f32 v[126:127], v[128:129], v[118:119] op_sel:[0,1]
	s_delay_alu instid0(VALU_DEP_2) | instskip(NEXT) | instid1(VALU_DEP_2)
	v_pk_add_f32 v[12:13], v[12:13], v[132:133] neg_lo:[0,1] neg_hi:[0,1]
	v_pk_fma_f32 v[130:131], v[128:129], v[116:117], v[126:127] op_sel:[0,0,1] op_sel_hi:[1,1,0] neg_lo:[0,0,1] neg_hi:[0,0,1]
	v_pk_fma_f32 v[126:127], v[128:129], v[116:117], v[126:127] op_sel:[0,0,1] op_sel_hi:[1,0,0]
	s_delay_alu instid0(VALU_DEP_1) | instskip(SKIP_4) | instid1(VALU_DEP_1)
	v_mov_b32_e32 v131, v127
	ds_load_2addr_b64 v[126:129], v120 offset0:45 offset1:46
	v_pk_add_f32 v[64:65], v[64:65], v[130:131] neg_lo:[0,1] neg_hi:[0,1]
	s_wait_dscnt 0x0
	v_pk_mul_f32 v[130:131], v[126:127], v[118:119] op_sel:[0,1]
	v_pk_fma_f32 v[132:133], v[126:127], v[116:117], v[130:131] op_sel:[0,0,1] op_sel_hi:[1,1,0] neg_lo:[0,0,1] neg_hi:[0,0,1]
	v_pk_fma_f32 v[126:127], v[126:127], v[116:117], v[130:131] op_sel:[0,0,1] op_sel_hi:[1,0,0]
	v_dual_mul_f32 v130, v129, v119 :: v_dual_mov_b32 v126, v129
	s_delay_alu instid0(VALU_DEP_2) | instskip(NEXT) | instid1(VALU_DEP_2)
	v_dual_mov_b32 v133, v127 :: v_dual_mov_b32 v127, v128
	v_pk_fma_f32 v[130:131], v[128:129], v[100:101], v[130:131] op_sel_hi:[1,1,0] neg_lo:[0,0,1] neg_hi:[0,0,1]
	v_mul_f32_e32 v128, v129, v116
	s_delay_alu instid0(VALU_DEP_3) | instskip(NEXT) | instid1(VALU_DEP_2)
	v_pk_add_f32 v[62:63], v[62:63], v[132:133] neg_lo:[0,1] neg_hi:[0,1]
	v_pk_fma_f32 v[126:127], v[126:127], v[100:101], v[128:129] op_sel_hi:[1,1,0]
	s_delay_alu instid0(VALU_DEP_1) | instskip(SKIP_4) | instid1(VALU_DEP_1)
	v_mov_b32_e32 v131, v127
	ds_load_2addr_b64 v[126:129], v120 offset0:47 offset1:48
	v_pk_add_f32 v[10:11], v[10:11], v[130:131] neg_lo:[0,1] neg_hi:[0,1]
	s_wait_dscnt 0x0
	v_pk_mul_f32 v[130:131], v[126:127], v[118:119] op_sel:[0,1]
	v_pk_fma_f32 v[132:133], v[126:127], v[116:117], v[130:131] op_sel:[0,0,1] op_sel_hi:[1,1,0] neg_lo:[0,0,1] neg_hi:[0,0,1]
	v_pk_fma_f32 v[126:127], v[126:127], v[116:117], v[130:131] op_sel:[0,0,1] op_sel_hi:[1,0,0]
	s_delay_alu instid0(VALU_DEP_1) | instskip(SKIP_1) | instid1(VALU_DEP_1)
	v_mov_b32_e32 v133, v127
	v_pk_mul_f32 v[126:127], v[128:129], v[118:119] op_sel:[0,1]
	v_pk_fma_f32 v[130:131], v[128:129], v[116:117], v[126:127] op_sel:[0,0,1] op_sel_hi:[1,1,0] neg_lo:[0,0,1] neg_hi:[0,0,1]
	v_pk_fma_f32 v[126:127], v[128:129], v[116:117], v[126:127] op_sel:[0,0,1] op_sel_hi:[1,0,0]
	s_delay_alu instid0(VALU_DEP_1)
	v_mov_b32_e32 v131, v127
	ds_load_2addr_b64 v[126:129], v120 offset0:49 offset1:50
	v_pk_add_f32 v[6:7], v[6:7], v[132:133] neg_lo:[0,1] neg_hi:[0,1]
	v_pk_add_f32 v[52:53], v[52:53], v[130:131] neg_lo:[0,1] neg_hi:[0,1]
	s_wait_dscnt 0x0
	v_pk_mul_f32 v[130:131], v[126:127], v[118:119] op_sel:[0,1]
	s_delay_alu instid0(VALU_DEP_1) | instskip(SKIP_1) | instid1(VALU_DEP_1)
	v_pk_fma_f32 v[132:133], v[126:127], v[116:117], v[130:131] op_sel:[0,0,1] op_sel_hi:[1,1,0] neg_lo:[0,0,1] neg_hi:[0,0,1]
	v_pk_fma_f32 v[126:127], v[126:127], v[116:117], v[130:131] op_sel:[0,0,1] op_sel_hi:[1,0,0]
	v_mov_b32_e32 v133, v127
	v_pk_mul_f32 v[126:127], v[128:129], v[118:119] op_sel:[0,1]
	s_delay_alu instid0(VALU_DEP_1) | instskip(SKIP_1) | instid1(VALU_DEP_1)
	v_pk_fma_f32 v[130:131], v[128:129], v[116:117], v[126:127] op_sel:[0,0,1] op_sel_hi:[1,1,0] neg_lo:[0,0,1] neg_hi:[0,0,1]
	v_pk_fma_f32 v[126:127], v[128:129], v[116:117], v[126:127] op_sel:[0,0,1] op_sel_hi:[1,0,0]
	v_mov_b32_e32 v131, v127
	ds_load_2addr_b64 v[126:129], v120 offset0:51 offset1:52
	v_pk_add_f32 v[50:51], v[50:51], v[132:133] neg_lo:[0,1] neg_hi:[0,1]
	v_pk_add_f32 v[8:9], v[8:9], v[130:131] neg_lo:[0,1] neg_hi:[0,1]
	s_wait_dscnt 0x0
	v_dual_mul_f32 v130, v127, v119 :: v_dual_mul_f32 v132, v127, v116
	s_delay_alu instid0(VALU_DEP_1) | instskip(NEXT) | instid1(VALU_DEP_2)
	v_pk_fma_f32 v[130:131], v[126:127], v[100:101], v[130:131] op_sel_hi:[1,1,0] neg_lo:[0,0,1] neg_hi:[0,0,1]
	v_pk_fma_f32 v[126:127], v[126:127], v[100:101], v[132:133] op_sel:[1,0,0] op_sel_hi:[0,1,0]
	s_delay_alu instid0(VALU_DEP_1) | instskip(SKIP_1) | instid1(VALU_DEP_2)
	v_mov_b32_e32 v131, v127
	v_pk_mul_f32 v[126:127], v[128:129], v[118:119] op_sel:[0,1]
	v_pk_add_f32 v[30:31], v[30:31], v[130:131] neg_lo:[0,1] neg_hi:[0,1]
	s_delay_alu instid0(VALU_DEP_2) | instskip(SKIP_1) | instid1(VALU_DEP_1)
	v_pk_fma_f32 v[130:131], v[128:129], v[116:117], v[126:127] op_sel:[0,0,1] op_sel_hi:[1,1,0] neg_lo:[0,0,1] neg_hi:[0,0,1]
	v_pk_fma_f32 v[126:127], v[128:129], v[116:117], v[126:127] op_sel:[0,0,1] op_sel_hi:[1,0,0]
	v_mov_b32_e32 v131, v127
	ds_load_2addr_b64 v[126:129], v120 offset0:53 offset1:54
	v_pk_add_f32 v[34:35], v[34:35], v[130:131] neg_lo:[0,1] neg_hi:[0,1]
	s_wait_dscnt 0x0
	v_pk_mul_f32 v[130:131], v[126:127], v[118:119] op_sel:[0,1]
	v_mul_f32_e32 v118, v129, v119
	s_delay_alu instid0(VALU_DEP_2) | instskip(SKIP_2) | instid1(VALU_DEP_4)
	v_pk_fma_f32 v[132:133], v[126:127], v[116:117], v[130:131] op_sel:[0,0,1] op_sel_hi:[1,1,0] neg_lo:[0,0,1] neg_hi:[0,0,1]
	v_pk_fma_f32 v[126:127], v[126:127], v[116:117], v[130:131] op_sel:[0,0,1] op_sel_hi:[1,0,0]
	v_dual_mov_b32 v126, v129 :: v_dual_mul_f32 v116, v129, v116
	v_pk_fma_f32 v[118:119], v[128:129], v[100:101], v[118:119] op_sel_hi:[1,1,0] neg_lo:[0,0,1] neg_hi:[0,0,1]
	s_delay_alu instid0(VALU_DEP_3) | instskip(NEXT) | instid1(VALU_DEP_1)
	v_dual_mov_b32 v133, v127 :: v_dual_mov_b32 v127, v128
	v_pk_add_f32 v[24:25], v[24:25], v[132:133] neg_lo:[0,1] neg_hi:[0,1]
	s_delay_alu instid0(VALU_DEP_2) | instskip(NEXT) | instid1(VALU_DEP_1)
	v_pk_fma_f32 v[116:117], v[126:127], v[100:101], v[116:117] op_sel_hi:[1,1,0]
	v_mov_b32_e32 v119, v117
	s_delay_alu instid0(VALU_DEP_1)
	v_pk_add_f32 v[114:115], v[114:115], v[118:119] neg_lo:[0,1] neg_hi:[0,1]
.LBB108_272:
	s_or_b32 exec_lo, exec_lo, s0
	v_lshl_add_u32 v116, v124, 3, v120
	s_barrier_signal -1
	s_barrier_wait -1
	ds_store_b64 v116, v[98:99]
	s_wait_dscnt 0x0
	s_barrier_signal -1
	s_barrier_wait -1
	ds_load_b64 v[118:119], v120 offset:104
	v_mov_b32_e32 v116, 13
	s_cmp_lt_i32 s18, 15
	s_cbranch_scc1 .LBB108_275
; %bb.273:
	v_add3_u32 v117, v121, 0, 0x70
	v_mov_b32_e32 v116, 13
	s_mov_b32 s0, 14
.LBB108_274:                            ; =>This Inner Loop Header: Depth=1
	ds_load_b64 v[126:127], v117
	s_wait_dscnt 0x1
	v_cmp_gt_f32_e32 vcc_lo, 0, v118
	v_cndmask_b32_e64 v128, v118, -v118, vcc_lo
	v_cmp_gt_f32_e32 vcc_lo, 0, v119
	v_cndmask_b32_e64 v130, v119, -v119, vcc_lo
	s_wait_dscnt 0x0
	v_cmp_gt_f32_e32 vcc_lo, 0, v126
	v_cndmask_b32_e64 v129, v126, -v126, vcc_lo
	v_cmp_gt_f32_e32 vcc_lo, 0, v127
	v_cndmask_b32_e64 v131, v127, -v127, vcc_lo
	s_delay_alu instid0(VALU_DEP_1) | instskip(NEXT) | instid1(VALU_DEP_1)
	v_pk_add_f32 v[128:129], v[128:129], v[130:131]
	v_cmp_lt_f32_e32 vcc_lo, v128, v129
	v_dual_add_nc_u32 v117, 8, v117 :: v_dual_cndmask_b32 v119, v119, v127, vcc_lo
	v_cndmask_b32_e32 v118, v118, v126, vcc_lo
	v_cndmask_b32_e64 v116, v116, s0, vcc_lo
	s_add_co_i32 s0, s0, 1
	s_delay_alu instid0(SALU_CYCLE_1)
	s_cmp_lg_u32 s18, s0
	s_cbranch_scc1 .LBB108_274
.LBB108_275:
	s_wait_dscnt 0x0
	v_cmp_eq_f32_e32 vcc_lo, 0, v118
	v_cmp_eq_f32_e64 s0, 0, v119
	s_and_b32 s0, vcc_lo, s0
	s_delay_alu instid0(SALU_CYCLE_1) | instskip(NEXT) | instid1(SALU_CYCLE_1)
	s_and_saveexec_b32 s1, s0
	s_xor_b32 s0, exec_lo, s1
; %bb.276:
	v_cmp_ne_u32_e32 vcc_lo, 0, v122
	v_cndmask_b32_e32 v122, 14, v122, vcc_lo
; %bb.277:
	s_and_not1_saveexec_b32 s0, s0
	s_cbranch_execz .LBB108_283
; %bb.278:
	v_cmp_ngt_f32_e64 s1, |v118|, |v119|
	s_and_saveexec_b32 s12, s1
	s_delay_alu instid0(SALU_CYCLE_1)
	s_xor_b32 s1, exec_lo, s12
	s_cbranch_execz .LBB108_280
; %bb.279:
	v_div_scale_f32 v117, null, v119, v119, v118
	v_div_scale_f32 v127, vcc_lo, v118, v119, v118
	s_delay_alu instid0(VALU_DEP_2) | instskip(SKIP_1) | instid1(TRANS32_DEP_1)
	v_rcp_f32_e32 v125, v117
	v_nop
	v_fma_f32 v126, -v117, v125, 1.0
	s_delay_alu instid0(VALU_DEP_1) | instskip(NEXT) | instid1(VALU_DEP_1)
	v_fmac_f32_e32 v125, v126, v125
	v_mul_f32_e32 v126, v127, v125
	s_delay_alu instid0(VALU_DEP_1) | instskip(NEXT) | instid1(VALU_DEP_1)
	v_fma_f32 v128, -v117, v126, v127
	v_fmac_f32_e32 v126, v128, v125
	s_delay_alu instid0(VALU_DEP_1) | instskip(NEXT) | instid1(VALU_DEP_1)
	v_fma_f32 v117, -v117, v126, v127
	v_div_fmas_f32 v117, v117, v125, v126
	s_delay_alu instid0(VALU_DEP_1) | instskip(NEXT) | instid1(VALU_DEP_1)
	v_div_fixup_f32 v117, v117, v119, v118
	v_fmac_f32_e32 v119, v118, v117
	s_delay_alu instid0(VALU_DEP_1) | instskip(SKIP_1) | instid1(VALU_DEP_2)
	v_div_scale_f32 v118, null, v119, v119, 1.0
	v_div_scale_f32 v127, vcc_lo, 1.0, v119, 1.0
	v_rcp_f32_e32 v125, v118
	v_nop
	s_delay_alu instid0(TRANS32_DEP_1) | instskip(NEXT) | instid1(VALU_DEP_1)
	v_fma_f32 v126, -v118, v125, 1.0
	v_fmac_f32_e32 v125, v126, v125
	s_delay_alu instid0(VALU_DEP_1) | instskip(NEXT) | instid1(VALU_DEP_1)
	v_mul_f32_e32 v126, v127, v125
	v_fma_f32 v128, -v118, v126, v127
	s_delay_alu instid0(VALU_DEP_1) | instskip(NEXT) | instid1(VALU_DEP_1)
	v_fmac_f32_e32 v126, v128, v125
	v_fma_f32 v118, -v118, v126, v127
	s_delay_alu instid0(VALU_DEP_1) | instskip(NEXT) | instid1(VALU_DEP_1)
	v_div_fmas_f32 v118, v118, v125, v126
	v_div_fixup_f32 v119, v118, v119, 1.0
	s_delay_alu instid0(VALU_DEP_1)
	v_mul_f32_e32 v118, v117, v119
	v_xor_b32_e32 v119, 0x80000000, v119
.LBB108_280:
	s_and_not1_saveexec_b32 s1, s1
	s_cbranch_execz .LBB108_282
; %bb.281:
	s_delay_alu instid0(VALU_DEP_1) | instskip(SKIP_1) | instid1(VALU_DEP_2)
	v_div_scale_f32 v117, null, v118, v118, v119
	v_div_scale_f32 v127, vcc_lo, v119, v118, v119
	v_rcp_f32_e32 v125, v117
	v_nop
	s_delay_alu instid0(TRANS32_DEP_1) | instskip(NEXT) | instid1(VALU_DEP_1)
	v_fma_f32 v126, -v117, v125, 1.0
	v_fmac_f32_e32 v125, v126, v125
	s_delay_alu instid0(VALU_DEP_1) | instskip(NEXT) | instid1(VALU_DEP_1)
	v_mul_f32_e32 v126, v127, v125
	v_fma_f32 v128, -v117, v126, v127
	s_delay_alu instid0(VALU_DEP_1) | instskip(NEXT) | instid1(VALU_DEP_1)
	v_fmac_f32_e32 v126, v128, v125
	v_fma_f32 v117, -v117, v126, v127
	s_delay_alu instid0(VALU_DEP_1) | instskip(NEXT) | instid1(VALU_DEP_1)
	v_div_fmas_f32 v117, v117, v125, v126
	v_div_fixup_f32 v117, v117, v118, v119
	s_delay_alu instid0(VALU_DEP_1) | instskip(NEXT) | instid1(VALU_DEP_1)
	v_fmac_f32_e32 v118, v119, v117
	v_div_scale_f32 v119, null, v118, v118, 1.0
	s_delay_alu instid0(VALU_DEP_1) | instskip(SKIP_1) | instid1(TRANS32_DEP_1)
	v_rcp_f32_e32 v125, v119
	v_nop
	v_fma_f32 v126, -v119, v125, 1.0
	s_delay_alu instid0(VALU_DEP_1) | instskip(SKIP_1) | instid1(VALU_DEP_1)
	v_fmac_f32_e32 v125, v126, v125
	v_div_scale_f32 v126, vcc_lo, 1.0, v118, 1.0
	v_mul_f32_e32 v127, v126, v125
	s_delay_alu instid0(VALU_DEP_1) | instskip(NEXT) | instid1(VALU_DEP_1)
	v_fma_f32 v128, -v119, v127, v126
	v_fmac_f32_e32 v127, v128, v125
	s_delay_alu instid0(VALU_DEP_1) | instskip(NEXT) | instid1(VALU_DEP_1)
	v_fma_f32 v119, -v119, v127, v126
	v_div_fmas_f32 v119, v119, v125, v127
	s_delay_alu instid0(VALU_DEP_1) | instskip(NEXT) | instid1(VALU_DEP_1)
	v_div_fixup_f32 v118, v119, v118, 1.0
	v_mul_f32_e64 v119, v117, -v118
.LBB108_282:
	s_or_b32 exec_lo, exec_lo, s1
.LBB108_283:
	s_delay_alu instid0(SALU_CYCLE_1) | instskip(NEXT) | instid1(SALU_CYCLE_1)
	s_or_b32 exec_lo, exec_lo, s0
	s_mov_b32 s0, exec_lo
	v_cmpx_ne_u32_e64 v124, v116
	s_xor_b32 s0, exec_lo, s0
	s_cbranch_execz .LBB108_289
; %bb.284:
	s_mov_b32 s1, exec_lo
	v_cmpx_eq_u32_e32 13, v124
	s_cbranch_execz .LBB108_288
; %bb.285:
	v_cmp_ne_u32_e32 vcc_lo, 13, v116
	s_xor_b32 s12, s16, -1
	s_delay_alu instid0(SALU_CYCLE_1) | instskip(NEXT) | instid1(SALU_CYCLE_1)
	s_and_b32 s13, s12, vcc_lo
	s_and_saveexec_b32 s12, s13
	s_cbranch_execz .LBB108_287
; %bb.286:
	v_ashrrev_i32_e32 v117, 31, v116
	s_delay_alu instid0(VALU_DEP_1)
	v_lshl_add_u64 v[124:125], v[116:117], 2, v[4:5]
	s_clause 0x1
	global_load_b32 v117, v[124:125], off
	global_load_b32 v123, v[4:5], off offset:52
	s_wait_loadcnt 0x1
	global_store_b32 v[4:5], v117, off offset:52
	s_wait_loadcnt 0x0
	global_store_b32 v[124:125], v123, off
.LBB108_287:
	s_wait_xcnt 0x0
	s_or_b32 exec_lo, exec_lo, s12
	v_dual_mov_b32 v124, v116 :: v_dual_mov_b32 v123, v116
.LBB108_288:
	s_or_b32 exec_lo, exec_lo, s1
.LBB108_289:
	s_and_not1_saveexec_b32 s0, s0
	s_cbranch_execz .LBB108_291
; %bb.290:
	v_dual_mov_b32 v116, v56 :: v_dual_mov_b32 v117, v57
	v_dual_mov_b32 v124, v54 :: v_dual_mov_b32 v125, v55
	ds_store_2addr_b64 v120, v[116:117], v[124:125] offset0:14 offset1:15
	v_dual_mov_b32 v116, v92 :: v_dual_mov_b32 v117, v93
	v_dual_mov_b32 v124, v90 :: v_dual_mov_b32 v125, v91
	ds_store_2addr_b64 v120, v[116:117], v[124:125] offset0:16 offset1:17
	;; [unrolled: 3-line block ×20, first 2 shown]
	ds_store_b64 v120, v[114:115] offset:432
	v_mov_b32_e32 v124, 13
.LBB108_291:
	s_or_b32 exec_lo, exec_lo, s0
	s_delay_alu instid0(SALU_CYCLE_1)
	s_mov_b32 s0, exec_lo
	s_wait_storecnt_dscnt 0x0
	s_barrier_signal -1
	s_barrier_wait -1
	v_cmpx_lt_i32_e32 13, v124
	s_cbranch_execz .LBB108_293
; %bb.292:
	v_pk_mul_f32 v[126:127], v[118:119], v[98:99] op_sel:[1,1] op_sel_hi:[0,1]
	s_delay_alu instid0(VALU_DEP_1)
	v_pk_fma_f32 v[116:117], v[118:119], v[98:99], v[126:127] op_sel_hi:[1,0,1] neg_lo:[0,0,1] neg_hi:[0,0,1]
	v_pk_fma_f32 v[118:119], v[118:119], v[98:99], v[126:127] op_sel_hi:[1,0,1]
	ds_load_2addr_b64 v[126:129], v120 offset0:14 offset1:15
	v_dual_mov_b32 v98, v116 :: v_dual_mov_b32 v99, v119
	s_wait_dscnt 0x0
	v_pk_mul_f32 v[130:131], v[126:127], v[118:119] op_sel:[0,1]
	s_delay_alu instid0(VALU_DEP_1) | instskip(SKIP_1) | instid1(VALU_DEP_1)
	v_pk_fma_f32 v[132:133], v[126:127], v[116:117], v[130:131] op_sel:[0,0,1] op_sel_hi:[1,1,0] neg_lo:[0,0,1] neg_hi:[0,0,1]
	v_pk_fma_f32 v[126:127], v[126:127], v[116:117], v[130:131] op_sel:[0,0,1] op_sel_hi:[1,0,0]
	v_mov_b32_e32 v133, v127
	v_pk_mul_f32 v[126:127], v[128:129], v[118:119] op_sel:[0,1]
	s_delay_alu instid0(VALU_DEP_1) | instskip(SKIP_1) | instid1(VALU_DEP_1)
	v_pk_fma_f32 v[130:131], v[128:129], v[116:117], v[126:127] op_sel:[0,0,1] op_sel_hi:[1,1,0] neg_lo:[0,0,1] neg_hi:[0,0,1]
	v_pk_fma_f32 v[126:127], v[128:129], v[116:117], v[126:127] op_sel:[0,0,1] op_sel_hi:[1,0,0]
	v_mov_b32_e32 v131, v127
	ds_load_2addr_b64 v[126:129], v120 offset0:16 offset1:17
	v_pk_add_f32 v[56:57], v[56:57], v[132:133] neg_lo:[0,1] neg_hi:[0,1]
	v_pk_add_f32 v[54:55], v[54:55], v[130:131] neg_lo:[0,1] neg_hi:[0,1]
	s_wait_dscnt 0x0
	v_pk_mul_f32 v[130:131], v[126:127], v[118:119] op_sel:[0,1]
	s_delay_alu instid0(VALU_DEP_1) | instskip(SKIP_2) | instid1(VALU_DEP_2)
	v_pk_fma_f32 v[132:133], v[126:127], v[116:117], v[130:131] op_sel:[0,0,1] op_sel_hi:[1,1,0] neg_lo:[0,0,1] neg_hi:[0,0,1]
	v_pk_fma_f32 v[126:127], v[126:127], v[116:117], v[130:131] op_sel:[0,0,1] op_sel_hi:[1,0,0]
	v_dual_mul_f32 v130, v129, v119 :: v_dual_mov_b32 v126, v129
	v_dual_mov_b32 v133, v127 :: v_dual_mov_b32 v127, v128
	s_delay_alu instid0(VALU_DEP_2) | instskip(SKIP_1) | instid1(VALU_DEP_3)
	v_pk_fma_f32 v[130:131], v[128:129], v[98:99], v[130:131] op_sel_hi:[1,1,0] neg_lo:[0,0,1] neg_hi:[0,0,1]
	v_mul_f32_e32 v128, v129, v116
	v_pk_add_f32 v[92:93], v[92:93], v[132:133] neg_lo:[0,1] neg_hi:[0,1]
	s_delay_alu instid0(VALU_DEP_2) | instskip(NEXT) | instid1(VALU_DEP_1)
	v_pk_fma_f32 v[126:127], v[126:127], v[98:99], v[128:129] op_sel_hi:[1,1,0]
	v_mov_b32_e32 v131, v127
	ds_load_2addr_b64 v[126:129], v120 offset0:18 offset1:19
	v_pk_add_f32 v[90:91], v[90:91], v[130:131] neg_lo:[0,1] neg_hi:[0,1]
	s_wait_dscnt 0x0
	v_pk_mul_f32 v[130:131], v[126:127], v[118:119] op_sel:[0,1]
	s_delay_alu instid0(VALU_DEP_1) | instskip(SKIP_1) | instid1(VALU_DEP_1)
	v_pk_fma_f32 v[132:133], v[126:127], v[116:117], v[130:131] op_sel:[0,0,1] op_sel_hi:[1,1,0] neg_lo:[0,0,1] neg_hi:[0,0,1]
	v_pk_fma_f32 v[126:127], v[126:127], v[116:117], v[130:131] op_sel:[0,0,1] op_sel_hi:[1,0,0]
	v_mov_b32_e32 v133, v127
	v_pk_mul_f32 v[126:127], v[128:129], v[118:119] op_sel:[0,1]
	s_delay_alu instid0(VALU_DEP_1) | instskip(SKIP_1) | instid1(VALU_DEP_1)
	v_pk_fma_f32 v[130:131], v[128:129], v[116:117], v[126:127] op_sel:[0,0,1] op_sel_hi:[1,1,0] neg_lo:[0,0,1] neg_hi:[0,0,1]
	v_pk_fma_f32 v[126:127], v[128:129], v[116:117], v[126:127] op_sel:[0,0,1] op_sel_hi:[1,0,0]
	v_mov_b32_e32 v131, v127
	ds_load_2addr_b64 v[126:129], v120 offset0:20 offset1:21
	v_pk_add_f32 v[44:45], v[44:45], v[132:133] neg_lo:[0,1] neg_hi:[0,1]
	v_pk_add_f32 v[42:43], v[42:43], v[130:131] neg_lo:[0,1] neg_hi:[0,1]
	s_wait_dscnt 0x0
	v_pk_mul_f32 v[130:131], v[126:127], v[118:119] op_sel:[0,1]
	s_delay_alu instid0(VALU_DEP_1) | instskip(SKIP_1) | instid1(VALU_DEP_1)
	v_pk_fma_f32 v[132:133], v[126:127], v[116:117], v[130:131] op_sel:[0,0,1] op_sel_hi:[1,1,0] neg_lo:[0,0,1] neg_hi:[0,0,1]
	v_pk_fma_f32 v[126:127], v[126:127], v[116:117], v[130:131] op_sel:[0,0,1] op_sel_hi:[1,0,0]
	v_mov_b32_e32 v133, v127
	v_pk_mul_f32 v[126:127], v[128:129], v[118:119] op_sel:[0,1]
	s_delay_alu instid0(VALU_DEP_1) | instskip(SKIP_1) | instid1(VALU_DEP_1)
	v_pk_fma_f32 v[130:131], v[128:129], v[116:117], v[126:127] op_sel:[0,0,1] op_sel_hi:[1,1,0] neg_lo:[0,0,1] neg_hi:[0,0,1]
	v_pk_fma_f32 v[126:127], v[128:129], v[116:117], v[126:127] op_sel:[0,0,1] op_sel_hi:[1,0,0]
	v_mov_b32_e32 v131, v127
	ds_load_2addr_b64 v[126:129], v120 offset0:22 offset1:23
	v_pk_add_f32 v[88:89], v[88:89], v[132:133] neg_lo:[0,1] neg_hi:[0,1]
	v_pk_add_f32 v[86:87], v[86:87], v[130:131] neg_lo:[0,1] neg_hi:[0,1]
	s_wait_dscnt 0x0
	v_dual_mul_f32 v130, v127, v119 :: v_dual_mul_f32 v132, v127, v116
	s_delay_alu instid0(VALU_DEP_1) | instskip(NEXT) | instid1(VALU_DEP_2)
	v_pk_fma_f32 v[130:131], v[126:127], v[98:99], v[130:131] op_sel_hi:[1,1,0] neg_lo:[0,0,1] neg_hi:[0,0,1]
	v_pk_fma_f32 v[126:127], v[126:127], v[98:99], v[132:133] op_sel:[1,0,0] op_sel_hi:[0,1,0]
	s_delay_alu instid0(VALU_DEP_1) | instskip(SKIP_1) | instid1(VALU_DEP_2)
	v_mov_b32_e32 v131, v127
	v_pk_mul_f32 v[126:127], v[128:129], v[118:119] op_sel:[0,1]
	v_pk_add_f32 v[40:41], v[40:41], v[130:131] neg_lo:[0,1] neg_hi:[0,1]
	s_delay_alu instid0(VALU_DEP_2) | instskip(SKIP_1) | instid1(VALU_DEP_1)
	v_pk_fma_f32 v[130:131], v[128:129], v[116:117], v[126:127] op_sel:[0,0,1] op_sel_hi:[1,1,0] neg_lo:[0,0,1] neg_hi:[0,0,1]
	v_pk_fma_f32 v[126:127], v[128:129], v[116:117], v[126:127] op_sel:[0,0,1] op_sel_hi:[1,0,0]
	v_mov_b32_e32 v131, v127
	ds_load_2addr_b64 v[126:129], v120 offset0:24 offset1:25
	v_pk_add_f32 v[38:39], v[38:39], v[130:131] neg_lo:[0,1] neg_hi:[0,1]
	s_wait_dscnt 0x0
	v_pk_mul_f32 v[130:131], v[126:127], v[118:119] op_sel:[0,1]
	s_delay_alu instid0(VALU_DEP_1) | instskip(SKIP_1) | instid1(VALU_DEP_1)
	v_pk_fma_f32 v[132:133], v[126:127], v[116:117], v[130:131] op_sel:[0,0,1] op_sel_hi:[1,1,0] neg_lo:[0,0,1] neg_hi:[0,0,1]
	v_pk_fma_f32 v[126:127], v[126:127], v[116:117], v[130:131] op_sel:[0,0,1] op_sel_hi:[1,0,0]
	v_mov_b32_e32 v133, v127
	v_pk_mul_f32 v[126:127], v[128:129], v[118:119] op_sel:[0,1]
	s_delay_alu instid0(VALU_DEP_2) | instskip(NEXT) | instid1(VALU_DEP_2)
	v_pk_add_f32 v[84:85], v[84:85], v[132:133] neg_lo:[0,1] neg_hi:[0,1]
	v_pk_fma_f32 v[130:131], v[128:129], v[116:117], v[126:127] op_sel:[0,0,1] op_sel_hi:[1,1,0] neg_lo:[0,0,1] neg_hi:[0,0,1]
	v_pk_fma_f32 v[126:127], v[128:129], v[116:117], v[126:127] op_sel:[0,0,1] op_sel_hi:[1,0,0]
	s_delay_alu instid0(VALU_DEP_1) | instskip(SKIP_4) | instid1(VALU_DEP_1)
	v_mov_b32_e32 v131, v127
	ds_load_2addr_b64 v[126:129], v120 offset0:26 offset1:27
	v_pk_add_f32 v[82:83], v[82:83], v[130:131] neg_lo:[0,1] neg_hi:[0,1]
	s_wait_dscnt 0x0
	v_pk_mul_f32 v[130:131], v[126:127], v[118:119] op_sel:[0,1]
	v_pk_fma_f32 v[132:133], v[126:127], v[116:117], v[130:131] op_sel:[0,0,1] op_sel_hi:[1,1,0] neg_lo:[0,0,1] neg_hi:[0,0,1]
	v_pk_fma_f32 v[126:127], v[126:127], v[116:117], v[130:131] op_sel:[0,0,1] op_sel_hi:[1,0,0]
	v_dual_mul_f32 v130, v129, v119 :: v_dual_mov_b32 v126, v129
	s_delay_alu instid0(VALU_DEP_2) | instskip(NEXT) | instid1(VALU_DEP_2)
	v_dual_mov_b32 v133, v127 :: v_dual_mov_b32 v127, v128
	v_pk_fma_f32 v[130:131], v[128:129], v[98:99], v[130:131] op_sel_hi:[1,1,0] neg_lo:[0,0,1] neg_hi:[0,0,1]
	v_mul_f32_e32 v128, v129, v116
	s_delay_alu instid0(VALU_DEP_3) | instskip(NEXT) | instid1(VALU_DEP_2)
	v_pk_add_f32 v[36:37], v[36:37], v[132:133] neg_lo:[0,1] neg_hi:[0,1]
	v_pk_fma_f32 v[126:127], v[126:127], v[98:99], v[128:129] op_sel_hi:[1,1,0]
	s_delay_alu instid0(VALU_DEP_1) | instskip(SKIP_4) | instid1(VALU_DEP_1)
	v_mov_b32_e32 v131, v127
	ds_load_2addr_b64 v[126:129], v120 offset0:28 offset1:29
	v_pk_add_f32 v[32:33], v[32:33], v[130:131] neg_lo:[0,1] neg_hi:[0,1]
	s_wait_dscnt 0x0
	v_pk_mul_f32 v[130:131], v[126:127], v[118:119] op_sel:[0,1]
	v_pk_fma_f32 v[132:133], v[126:127], v[116:117], v[130:131] op_sel:[0,0,1] op_sel_hi:[1,1,0] neg_lo:[0,0,1] neg_hi:[0,0,1]
	v_pk_fma_f32 v[126:127], v[126:127], v[116:117], v[130:131] op_sel:[0,0,1] op_sel_hi:[1,0,0]
	s_delay_alu instid0(VALU_DEP_1) | instskip(SKIP_1) | instid1(VALU_DEP_1)
	v_mov_b32_e32 v133, v127
	v_pk_mul_f32 v[126:127], v[128:129], v[118:119] op_sel:[0,1]
	v_pk_fma_f32 v[130:131], v[128:129], v[116:117], v[126:127] op_sel:[0,0,1] op_sel_hi:[1,1,0] neg_lo:[0,0,1] neg_hi:[0,0,1]
	v_pk_fma_f32 v[126:127], v[128:129], v[116:117], v[126:127] op_sel:[0,0,1] op_sel_hi:[1,0,0]
	s_delay_alu instid0(VALU_DEP_1)
	v_mov_b32_e32 v131, v127
	ds_load_2addr_b64 v[126:129], v120 offset0:30 offset1:31
	v_pk_add_f32 v[80:81], v[80:81], v[132:133] neg_lo:[0,1] neg_hi:[0,1]
	v_pk_add_f32 v[78:79], v[78:79], v[130:131] neg_lo:[0,1] neg_hi:[0,1]
	s_wait_dscnt 0x0
	v_pk_mul_f32 v[130:131], v[126:127], v[118:119] op_sel:[0,1]
	s_delay_alu instid0(VALU_DEP_1) | instskip(SKIP_1) | instid1(VALU_DEP_1)
	v_pk_fma_f32 v[132:133], v[126:127], v[116:117], v[130:131] op_sel:[0,0,1] op_sel_hi:[1,1,0] neg_lo:[0,0,1] neg_hi:[0,0,1]
	v_pk_fma_f32 v[126:127], v[126:127], v[116:117], v[130:131] op_sel:[0,0,1] op_sel_hi:[1,0,0]
	v_mov_b32_e32 v133, v127
	v_pk_mul_f32 v[126:127], v[128:129], v[118:119] op_sel:[0,1]
	s_delay_alu instid0(VALU_DEP_1) | instskip(SKIP_1) | instid1(VALU_DEP_1)
	v_pk_fma_f32 v[130:131], v[128:129], v[116:117], v[126:127] op_sel:[0,0,1] op_sel_hi:[1,1,0] neg_lo:[0,0,1] neg_hi:[0,0,1]
	v_pk_fma_f32 v[126:127], v[128:129], v[116:117], v[126:127] op_sel:[0,0,1] op_sel_hi:[1,0,0]
	v_mov_b32_e32 v131, v127
	ds_load_2addr_b64 v[126:129], v120 offset0:32 offset1:33
	v_pk_add_f32 v[28:29], v[28:29], v[132:133] neg_lo:[0,1] neg_hi:[0,1]
	v_pk_add_f32 v[26:27], v[26:27], v[130:131] neg_lo:[0,1] neg_hi:[0,1]
	s_wait_dscnt 0x0
	v_dual_mul_f32 v130, v127, v119 :: v_dual_mul_f32 v132, v127, v116
	s_delay_alu instid0(VALU_DEP_1) | instskip(NEXT) | instid1(VALU_DEP_2)
	v_pk_fma_f32 v[130:131], v[126:127], v[98:99], v[130:131] op_sel_hi:[1,1,0] neg_lo:[0,0,1] neg_hi:[0,0,1]
	v_pk_fma_f32 v[126:127], v[126:127], v[98:99], v[132:133] op_sel:[1,0,0] op_sel_hi:[0,1,0]
	s_delay_alu instid0(VALU_DEP_1) | instskip(SKIP_1) | instid1(VALU_DEP_2)
	v_mov_b32_e32 v131, v127
	v_pk_mul_f32 v[126:127], v[128:129], v[118:119] op_sel:[0,1]
	v_pk_add_f32 v[76:77], v[76:77], v[130:131] neg_lo:[0,1] neg_hi:[0,1]
	s_delay_alu instid0(VALU_DEP_2) | instskip(SKIP_1) | instid1(VALU_DEP_1)
	v_pk_fma_f32 v[130:131], v[128:129], v[116:117], v[126:127] op_sel:[0,0,1] op_sel_hi:[1,1,0] neg_lo:[0,0,1] neg_hi:[0,0,1]
	v_pk_fma_f32 v[126:127], v[128:129], v[116:117], v[126:127] op_sel:[0,0,1] op_sel_hi:[1,0,0]
	v_mov_b32_e32 v131, v127
	ds_load_2addr_b64 v[126:129], v120 offset0:34 offset1:35
	v_pk_add_f32 v[74:75], v[74:75], v[130:131] neg_lo:[0,1] neg_hi:[0,1]
	s_wait_dscnt 0x0
	v_pk_mul_f32 v[130:131], v[126:127], v[118:119] op_sel:[0,1]
	s_delay_alu instid0(VALU_DEP_1) | instskip(SKIP_1) | instid1(VALU_DEP_1)
	v_pk_fma_f32 v[132:133], v[126:127], v[116:117], v[130:131] op_sel:[0,0,1] op_sel_hi:[1,1,0] neg_lo:[0,0,1] neg_hi:[0,0,1]
	v_pk_fma_f32 v[126:127], v[126:127], v[116:117], v[130:131] op_sel:[0,0,1] op_sel_hi:[1,0,0]
	v_mov_b32_e32 v133, v127
	v_pk_mul_f32 v[126:127], v[128:129], v[118:119] op_sel:[0,1]
	s_delay_alu instid0(VALU_DEP_2) | instskip(NEXT) | instid1(VALU_DEP_2)
	v_pk_add_f32 v[22:23], v[22:23], v[132:133] neg_lo:[0,1] neg_hi:[0,1]
	v_pk_fma_f32 v[130:131], v[128:129], v[116:117], v[126:127] op_sel:[0,0,1] op_sel_hi:[1,1,0] neg_lo:[0,0,1] neg_hi:[0,0,1]
	v_pk_fma_f32 v[126:127], v[128:129], v[116:117], v[126:127] op_sel:[0,0,1] op_sel_hi:[1,0,0]
	s_delay_alu instid0(VALU_DEP_1) | instskip(SKIP_4) | instid1(VALU_DEP_1)
	v_mov_b32_e32 v131, v127
	ds_load_2addr_b64 v[126:129], v120 offset0:36 offset1:37
	v_pk_add_f32 v[20:21], v[20:21], v[130:131] neg_lo:[0,1] neg_hi:[0,1]
	s_wait_dscnt 0x0
	v_pk_mul_f32 v[130:131], v[126:127], v[118:119] op_sel:[0,1]
	v_pk_fma_f32 v[132:133], v[126:127], v[116:117], v[130:131] op_sel:[0,0,1] op_sel_hi:[1,1,0] neg_lo:[0,0,1] neg_hi:[0,0,1]
	v_pk_fma_f32 v[126:127], v[126:127], v[116:117], v[130:131] op_sel:[0,0,1] op_sel_hi:[1,0,0]
	v_dual_mul_f32 v130, v129, v119 :: v_dual_mov_b32 v126, v129
	s_delay_alu instid0(VALU_DEP_2) | instskip(NEXT) | instid1(VALU_DEP_2)
	v_dual_mov_b32 v133, v127 :: v_dual_mov_b32 v127, v128
	v_pk_fma_f32 v[130:131], v[128:129], v[98:99], v[130:131] op_sel_hi:[1,1,0] neg_lo:[0,0,1] neg_hi:[0,0,1]
	v_mul_f32_e32 v128, v129, v116
	s_delay_alu instid0(VALU_DEP_3) | instskip(NEXT) | instid1(VALU_DEP_2)
	v_pk_add_f32 v[72:73], v[72:73], v[132:133] neg_lo:[0,1] neg_hi:[0,1]
	v_pk_fma_f32 v[126:127], v[126:127], v[98:99], v[128:129] op_sel_hi:[1,1,0]
	s_delay_alu instid0(VALU_DEP_1) | instskip(SKIP_4) | instid1(VALU_DEP_1)
	v_mov_b32_e32 v131, v127
	ds_load_2addr_b64 v[126:129], v120 offset0:38 offset1:39
	v_pk_add_f32 v[70:71], v[70:71], v[130:131] neg_lo:[0,1] neg_hi:[0,1]
	s_wait_dscnt 0x0
	v_pk_mul_f32 v[130:131], v[126:127], v[118:119] op_sel:[0,1]
	v_pk_fma_f32 v[132:133], v[126:127], v[116:117], v[130:131] op_sel:[0,0,1] op_sel_hi:[1,1,0] neg_lo:[0,0,1] neg_hi:[0,0,1]
	v_pk_fma_f32 v[126:127], v[126:127], v[116:117], v[130:131] op_sel:[0,0,1] op_sel_hi:[1,0,0]
	s_delay_alu instid0(VALU_DEP_1) | instskip(SKIP_1) | instid1(VALU_DEP_1)
	v_mov_b32_e32 v133, v127
	v_pk_mul_f32 v[126:127], v[128:129], v[118:119] op_sel:[0,1]
	v_pk_fma_f32 v[130:131], v[128:129], v[116:117], v[126:127] op_sel:[0,0,1] op_sel_hi:[1,1,0] neg_lo:[0,0,1] neg_hi:[0,0,1]
	v_pk_fma_f32 v[126:127], v[128:129], v[116:117], v[126:127] op_sel:[0,0,1] op_sel_hi:[1,0,0]
	s_delay_alu instid0(VALU_DEP_1)
	v_mov_b32_e32 v131, v127
	ds_load_2addr_b64 v[126:129], v120 offset0:40 offset1:41
	v_pk_add_f32 v[18:19], v[18:19], v[132:133] neg_lo:[0,1] neg_hi:[0,1]
	v_pk_add_f32 v[16:17], v[16:17], v[130:131] neg_lo:[0,1] neg_hi:[0,1]
	s_wait_dscnt 0x0
	v_pk_mul_f32 v[130:131], v[126:127], v[118:119] op_sel:[0,1]
	s_delay_alu instid0(VALU_DEP_1) | instskip(SKIP_1) | instid1(VALU_DEP_1)
	v_pk_fma_f32 v[132:133], v[126:127], v[116:117], v[130:131] op_sel:[0,0,1] op_sel_hi:[1,1,0] neg_lo:[0,0,1] neg_hi:[0,0,1]
	v_pk_fma_f32 v[126:127], v[126:127], v[116:117], v[130:131] op_sel:[0,0,1] op_sel_hi:[1,0,0]
	v_mov_b32_e32 v133, v127
	v_pk_mul_f32 v[126:127], v[128:129], v[118:119] op_sel:[0,1]
	s_delay_alu instid0(VALU_DEP_1) | instskip(SKIP_1) | instid1(VALU_DEP_1)
	v_pk_fma_f32 v[130:131], v[128:129], v[116:117], v[126:127] op_sel:[0,0,1] op_sel_hi:[1,1,0] neg_lo:[0,0,1] neg_hi:[0,0,1]
	v_pk_fma_f32 v[126:127], v[128:129], v[116:117], v[126:127] op_sel:[0,0,1] op_sel_hi:[1,0,0]
	v_mov_b32_e32 v131, v127
	ds_load_2addr_b64 v[126:129], v120 offset0:42 offset1:43
	v_pk_add_f32 v[68:69], v[68:69], v[132:133] neg_lo:[0,1] neg_hi:[0,1]
	v_pk_add_f32 v[66:67], v[66:67], v[130:131] neg_lo:[0,1] neg_hi:[0,1]
	s_wait_dscnt 0x0
	v_dual_mul_f32 v130, v127, v119 :: v_dual_mul_f32 v132, v127, v116
	s_delay_alu instid0(VALU_DEP_1) | instskip(NEXT) | instid1(VALU_DEP_2)
	v_pk_fma_f32 v[130:131], v[126:127], v[98:99], v[130:131] op_sel_hi:[1,1,0] neg_lo:[0,0,1] neg_hi:[0,0,1]
	v_pk_fma_f32 v[126:127], v[126:127], v[98:99], v[132:133] op_sel:[1,0,0] op_sel_hi:[0,1,0]
	s_delay_alu instid0(VALU_DEP_1) | instskip(SKIP_1) | instid1(VALU_DEP_2)
	v_mov_b32_e32 v131, v127
	v_pk_mul_f32 v[126:127], v[128:129], v[118:119] op_sel:[0,1]
	v_pk_add_f32 v[14:15], v[14:15], v[130:131] neg_lo:[0,1] neg_hi:[0,1]
	s_delay_alu instid0(VALU_DEP_2) | instskip(SKIP_1) | instid1(VALU_DEP_1)
	v_pk_fma_f32 v[130:131], v[128:129], v[116:117], v[126:127] op_sel:[0,0,1] op_sel_hi:[1,1,0] neg_lo:[0,0,1] neg_hi:[0,0,1]
	v_pk_fma_f32 v[126:127], v[128:129], v[116:117], v[126:127] op_sel:[0,0,1] op_sel_hi:[1,0,0]
	v_mov_b32_e32 v131, v127
	ds_load_2addr_b64 v[126:129], v120 offset0:44 offset1:45
	v_pk_add_f32 v[12:13], v[12:13], v[130:131] neg_lo:[0,1] neg_hi:[0,1]
	s_wait_dscnt 0x0
	v_pk_mul_f32 v[130:131], v[126:127], v[118:119] op_sel:[0,1]
	s_delay_alu instid0(VALU_DEP_1) | instskip(SKIP_1) | instid1(VALU_DEP_1)
	v_pk_fma_f32 v[132:133], v[126:127], v[116:117], v[130:131] op_sel:[0,0,1] op_sel_hi:[1,1,0] neg_lo:[0,0,1] neg_hi:[0,0,1]
	v_pk_fma_f32 v[126:127], v[126:127], v[116:117], v[130:131] op_sel:[0,0,1] op_sel_hi:[1,0,0]
	v_mov_b32_e32 v133, v127
	v_pk_mul_f32 v[126:127], v[128:129], v[118:119] op_sel:[0,1]
	s_delay_alu instid0(VALU_DEP_2) | instskip(NEXT) | instid1(VALU_DEP_2)
	v_pk_add_f32 v[64:65], v[64:65], v[132:133] neg_lo:[0,1] neg_hi:[0,1]
	v_pk_fma_f32 v[130:131], v[128:129], v[116:117], v[126:127] op_sel:[0,0,1] op_sel_hi:[1,1,0] neg_lo:[0,0,1] neg_hi:[0,0,1]
	v_pk_fma_f32 v[126:127], v[128:129], v[116:117], v[126:127] op_sel:[0,0,1] op_sel_hi:[1,0,0]
	s_delay_alu instid0(VALU_DEP_1) | instskip(SKIP_4) | instid1(VALU_DEP_1)
	v_mov_b32_e32 v131, v127
	ds_load_2addr_b64 v[126:129], v120 offset0:46 offset1:47
	v_pk_add_f32 v[62:63], v[62:63], v[130:131] neg_lo:[0,1] neg_hi:[0,1]
	s_wait_dscnt 0x0
	v_pk_mul_f32 v[130:131], v[126:127], v[118:119] op_sel:[0,1]
	v_pk_fma_f32 v[132:133], v[126:127], v[116:117], v[130:131] op_sel:[0,0,1] op_sel_hi:[1,1,0] neg_lo:[0,0,1] neg_hi:[0,0,1]
	v_pk_fma_f32 v[126:127], v[126:127], v[116:117], v[130:131] op_sel:[0,0,1] op_sel_hi:[1,0,0]
	v_dual_mul_f32 v130, v129, v119 :: v_dual_mov_b32 v126, v129
	s_delay_alu instid0(VALU_DEP_2) | instskip(NEXT) | instid1(VALU_DEP_2)
	v_dual_mov_b32 v133, v127 :: v_dual_mov_b32 v127, v128
	v_pk_fma_f32 v[130:131], v[128:129], v[98:99], v[130:131] op_sel_hi:[1,1,0] neg_lo:[0,0,1] neg_hi:[0,0,1]
	v_mul_f32_e32 v128, v129, v116
	s_delay_alu instid0(VALU_DEP_3) | instskip(NEXT) | instid1(VALU_DEP_2)
	v_pk_add_f32 v[10:11], v[10:11], v[132:133] neg_lo:[0,1] neg_hi:[0,1]
	v_pk_fma_f32 v[126:127], v[126:127], v[98:99], v[128:129] op_sel_hi:[1,1,0]
	s_delay_alu instid0(VALU_DEP_1) | instskip(SKIP_4) | instid1(VALU_DEP_1)
	v_mov_b32_e32 v131, v127
	ds_load_2addr_b64 v[126:129], v120 offset0:48 offset1:49
	v_pk_add_f32 v[6:7], v[6:7], v[130:131] neg_lo:[0,1] neg_hi:[0,1]
	s_wait_dscnt 0x0
	v_pk_mul_f32 v[130:131], v[126:127], v[118:119] op_sel:[0,1]
	v_pk_fma_f32 v[132:133], v[126:127], v[116:117], v[130:131] op_sel:[0,0,1] op_sel_hi:[1,1,0] neg_lo:[0,0,1] neg_hi:[0,0,1]
	v_pk_fma_f32 v[126:127], v[126:127], v[116:117], v[130:131] op_sel:[0,0,1] op_sel_hi:[1,0,0]
	s_delay_alu instid0(VALU_DEP_1) | instskip(SKIP_1) | instid1(VALU_DEP_1)
	v_mov_b32_e32 v133, v127
	v_pk_mul_f32 v[126:127], v[128:129], v[118:119] op_sel:[0,1]
	v_pk_fma_f32 v[130:131], v[128:129], v[116:117], v[126:127] op_sel:[0,0,1] op_sel_hi:[1,1,0] neg_lo:[0,0,1] neg_hi:[0,0,1]
	v_pk_fma_f32 v[126:127], v[128:129], v[116:117], v[126:127] op_sel:[0,0,1] op_sel_hi:[1,0,0]
	s_delay_alu instid0(VALU_DEP_1)
	v_mov_b32_e32 v131, v127
	ds_load_2addr_b64 v[126:129], v120 offset0:50 offset1:51
	v_pk_add_f32 v[52:53], v[52:53], v[132:133] neg_lo:[0,1] neg_hi:[0,1]
	v_pk_add_f32 v[50:51], v[50:51], v[130:131] neg_lo:[0,1] neg_hi:[0,1]
	s_wait_dscnt 0x0
	v_pk_mul_f32 v[130:131], v[126:127], v[118:119] op_sel:[0,1]
	s_delay_alu instid0(VALU_DEP_1) | instskip(SKIP_1) | instid1(VALU_DEP_1)
	v_pk_fma_f32 v[132:133], v[126:127], v[116:117], v[130:131] op_sel:[0,0,1] op_sel_hi:[1,1,0] neg_lo:[0,0,1] neg_hi:[0,0,1]
	v_pk_fma_f32 v[126:127], v[126:127], v[116:117], v[130:131] op_sel:[0,0,1] op_sel_hi:[1,0,0]
	v_mov_b32_e32 v133, v127
	v_pk_mul_f32 v[126:127], v[128:129], v[118:119] op_sel:[0,1]
	s_delay_alu instid0(VALU_DEP_1) | instskip(SKIP_1) | instid1(VALU_DEP_1)
	v_pk_fma_f32 v[130:131], v[128:129], v[116:117], v[126:127] op_sel:[0,0,1] op_sel_hi:[1,1,0] neg_lo:[0,0,1] neg_hi:[0,0,1]
	v_pk_fma_f32 v[126:127], v[128:129], v[116:117], v[126:127] op_sel:[0,0,1] op_sel_hi:[1,0,0]
	v_mov_b32_e32 v131, v127
	ds_load_2addr_b64 v[126:129], v120 offset0:52 offset1:53
	v_pk_add_f32 v[8:9], v[8:9], v[132:133] neg_lo:[0,1] neg_hi:[0,1]
	v_pk_add_f32 v[30:31], v[30:31], v[130:131] neg_lo:[0,1] neg_hi:[0,1]
	s_wait_dscnt 0x0
	v_dual_mul_f32 v130, v127, v119 :: v_dual_mul_f32 v132, v127, v116
	s_delay_alu instid0(VALU_DEP_1) | instskip(NEXT) | instid1(VALU_DEP_2)
	v_pk_fma_f32 v[130:131], v[126:127], v[98:99], v[130:131] op_sel_hi:[1,1,0] neg_lo:[0,0,1] neg_hi:[0,0,1]
	v_pk_fma_f32 v[126:127], v[126:127], v[98:99], v[132:133] op_sel:[1,0,0] op_sel_hi:[0,1,0]
	s_delay_alu instid0(VALU_DEP_1) | instskip(SKIP_1) | instid1(VALU_DEP_2)
	v_mov_b32_e32 v131, v127
	v_pk_mul_f32 v[126:127], v[128:129], v[118:119] op_sel:[0,1]
	v_pk_add_f32 v[34:35], v[34:35], v[130:131] neg_lo:[0,1] neg_hi:[0,1]
	s_delay_alu instid0(VALU_DEP_2) | instskip(SKIP_1) | instid1(VALU_DEP_1)
	v_pk_fma_f32 v[130:131], v[128:129], v[116:117], v[126:127] op_sel:[0,0,1] op_sel_hi:[1,1,0] neg_lo:[0,0,1] neg_hi:[0,0,1]
	v_pk_fma_f32 v[126:127], v[128:129], v[116:117], v[126:127] op_sel:[0,0,1] op_sel_hi:[1,0,0]
	v_mov_b32_e32 v131, v127
	ds_load_b64 v[126:127], v120 offset:432
	v_pk_add_f32 v[24:25], v[24:25], v[130:131] neg_lo:[0,1] neg_hi:[0,1]
	s_wait_dscnt 0x0
	v_pk_mul_f32 v[118:119], v[126:127], v[118:119] op_sel:[0,1]
	s_delay_alu instid0(VALU_DEP_1) | instskip(SKIP_1) | instid1(VALU_DEP_1)
	v_pk_fma_f32 v[128:129], v[126:127], v[116:117], v[118:119] op_sel:[0,0,1] op_sel_hi:[1,1,0] neg_lo:[0,0,1] neg_hi:[0,0,1]
	v_pk_fma_f32 v[116:117], v[126:127], v[116:117], v[118:119] op_sel:[0,0,1] op_sel_hi:[1,0,0]
	v_mov_b32_e32 v129, v117
	s_delay_alu instid0(VALU_DEP_1)
	v_pk_add_f32 v[114:115], v[114:115], v[128:129] neg_lo:[0,1] neg_hi:[0,1]
.LBB108_293:
	s_or_b32 exec_lo, exec_lo, s0
	v_lshl_add_u32 v116, v124, 3, v120
	s_barrier_signal -1
	s_barrier_wait -1
	ds_store_b64 v116, v[56:57]
	s_wait_dscnt 0x0
	s_barrier_signal -1
	s_barrier_wait -1
	ds_load_b64 v[118:119], v120 offset:112
	v_mov_b32_e32 v116, 14
	s_cmp_lt_i32 s18, 16
	s_cbranch_scc1 .LBB108_296
; %bb.294:
	v_add3_u32 v117, v121, 0, 0x78
	v_mov_b32_e32 v116, 14
	s_mov_b32 s0, 15
.LBB108_295:                            ; =>This Inner Loop Header: Depth=1
	ds_load_b64 v[126:127], v117
	s_wait_dscnt 0x1
	v_cmp_gt_f32_e32 vcc_lo, 0, v118
	v_cndmask_b32_e64 v128, v118, -v118, vcc_lo
	v_cmp_gt_f32_e32 vcc_lo, 0, v119
	v_cndmask_b32_e64 v130, v119, -v119, vcc_lo
	s_wait_dscnt 0x0
	v_cmp_gt_f32_e32 vcc_lo, 0, v126
	v_cndmask_b32_e64 v129, v126, -v126, vcc_lo
	v_cmp_gt_f32_e32 vcc_lo, 0, v127
	v_cndmask_b32_e64 v131, v127, -v127, vcc_lo
	s_delay_alu instid0(VALU_DEP_1) | instskip(NEXT) | instid1(VALU_DEP_1)
	v_pk_add_f32 v[128:129], v[128:129], v[130:131]
	v_cmp_lt_f32_e32 vcc_lo, v128, v129
	v_dual_add_nc_u32 v117, 8, v117 :: v_dual_cndmask_b32 v119, v119, v127, vcc_lo
	v_cndmask_b32_e32 v118, v118, v126, vcc_lo
	v_cndmask_b32_e64 v116, v116, s0, vcc_lo
	s_add_co_i32 s0, s0, 1
	s_delay_alu instid0(SALU_CYCLE_1)
	s_cmp_lg_u32 s18, s0
	s_cbranch_scc1 .LBB108_295
.LBB108_296:
	s_wait_dscnt 0x0
	v_cmp_eq_f32_e32 vcc_lo, 0, v118
	v_cmp_eq_f32_e64 s0, 0, v119
	s_and_b32 s0, vcc_lo, s0
	s_delay_alu instid0(SALU_CYCLE_1) | instskip(NEXT) | instid1(SALU_CYCLE_1)
	s_and_saveexec_b32 s1, s0
	s_xor_b32 s0, exec_lo, s1
; %bb.297:
	v_cmp_ne_u32_e32 vcc_lo, 0, v122
	v_cndmask_b32_e32 v122, 15, v122, vcc_lo
; %bb.298:
	s_and_not1_saveexec_b32 s0, s0
	s_cbranch_execz .LBB108_304
; %bb.299:
	v_cmp_ngt_f32_e64 s1, |v118|, |v119|
	s_and_saveexec_b32 s12, s1
	s_delay_alu instid0(SALU_CYCLE_1)
	s_xor_b32 s1, exec_lo, s12
	s_cbranch_execz .LBB108_301
; %bb.300:
	v_div_scale_f32 v117, null, v119, v119, v118
	v_div_scale_f32 v127, vcc_lo, v118, v119, v118
	s_delay_alu instid0(VALU_DEP_2) | instskip(SKIP_1) | instid1(TRANS32_DEP_1)
	v_rcp_f32_e32 v125, v117
	v_nop
	v_fma_f32 v126, -v117, v125, 1.0
	s_delay_alu instid0(VALU_DEP_1) | instskip(NEXT) | instid1(VALU_DEP_1)
	v_fmac_f32_e32 v125, v126, v125
	v_mul_f32_e32 v126, v127, v125
	s_delay_alu instid0(VALU_DEP_1) | instskip(NEXT) | instid1(VALU_DEP_1)
	v_fma_f32 v128, -v117, v126, v127
	v_fmac_f32_e32 v126, v128, v125
	s_delay_alu instid0(VALU_DEP_1) | instskip(NEXT) | instid1(VALU_DEP_1)
	v_fma_f32 v117, -v117, v126, v127
	v_div_fmas_f32 v117, v117, v125, v126
	s_delay_alu instid0(VALU_DEP_1) | instskip(NEXT) | instid1(VALU_DEP_1)
	v_div_fixup_f32 v117, v117, v119, v118
	v_fmac_f32_e32 v119, v118, v117
	s_delay_alu instid0(VALU_DEP_1) | instskip(SKIP_1) | instid1(VALU_DEP_2)
	v_div_scale_f32 v118, null, v119, v119, 1.0
	v_div_scale_f32 v127, vcc_lo, 1.0, v119, 1.0
	v_rcp_f32_e32 v125, v118
	v_nop
	s_delay_alu instid0(TRANS32_DEP_1) | instskip(NEXT) | instid1(VALU_DEP_1)
	v_fma_f32 v126, -v118, v125, 1.0
	v_fmac_f32_e32 v125, v126, v125
	s_delay_alu instid0(VALU_DEP_1) | instskip(NEXT) | instid1(VALU_DEP_1)
	v_mul_f32_e32 v126, v127, v125
	v_fma_f32 v128, -v118, v126, v127
	s_delay_alu instid0(VALU_DEP_1) | instskip(NEXT) | instid1(VALU_DEP_1)
	v_fmac_f32_e32 v126, v128, v125
	v_fma_f32 v118, -v118, v126, v127
	s_delay_alu instid0(VALU_DEP_1) | instskip(NEXT) | instid1(VALU_DEP_1)
	v_div_fmas_f32 v118, v118, v125, v126
	v_div_fixup_f32 v119, v118, v119, 1.0
	s_delay_alu instid0(VALU_DEP_1)
	v_mul_f32_e32 v118, v117, v119
	v_xor_b32_e32 v119, 0x80000000, v119
.LBB108_301:
	s_and_not1_saveexec_b32 s1, s1
	s_cbranch_execz .LBB108_303
; %bb.302:
	s_delay_alu instid0(VALU_DEP_1) | instskip(SKIP_1) | instid1(VALU_DEP_2)
	v_div_scale_f32 v117, null, v118, v118, v119
	v_div_scale_f32 v127, vcc_lo, v119, v118, v119
	v_rcp_f32_e32 v125, v117
	v_nop
	s_delay_alu instid0(TRANS32_DEP_1) | instskip(NEXT) | instid1(VALU_DEP_1)
	v_fma_f32 v126, -v117, v125, 1.0
	v_fmac_f32_e32 v125, v126, v125
	s_delay_alu instid0(VALU_DEP_1) | instskip(NEXT) | instid1(VALU_DEP_1)
	v_mul_f32_e32 v126, v127, v125
	v_fma_f32 v128, -v117, v126, v127
	s_delay_alu instid0(VALU_DEP_1) | instskip(NEXT) | instid1(VALU_DEP_1)
	v_fmac_f32_e32 v126, v128, v125
	v_fma_f32 v117, -v117, v126, v127
	s_delay_alu instid0(VALU_DEP_1) | instskip(NEXT) | instid1(VALU_DEP_1)
	v_div_fmas_f32 v117, v117, v125, v126
	v_div_fixup_f32 v117, v117, v118, v119
	s_delay_alu instid0(VALU_DEP_1) | instskip(NEXT) | instid1(VALU_DEP_1)
	v_fmac_f32_e32 v118, v119, v117
	v_div_scale_f32 v119, null, v118, v118, 1.0
	s_delay_alu instid0(VALU_DEP_1) | instskip(SKIP_1) | instid1(TRANS32_DEP_1)
	v_rcp_f32_e32 v125, v119
	v_nop
	v_fma_f32 v126, -v119, v125, 1.0
	s_delay_alu instid0(VALU_DEP_1) | instskip(SKIP_1) | instid1(VALU_DEP_1)
	v_fmac_f32_e32 v125, v126, v125
	v_div_scale_f32 v126, vcc_lo, 1.0, v118, 1.0
	v_mul_f32_e32 v127, v126, v125
	s_delay_alu instid0(VALU_DEP_1) | instskip(NEXT) | instid1(VALU_DEP_1)
	v_fma_f32 v128, -v119, v127, v126
	v_fmac_f32_e32 v127, v128, v125
	s_delay_alu instid0(VALU_DEP_1) | instskip(NEXT) | instid1(VALU_DEP_1)
	v_fma_f32 v119, -v119, v127, v126
	v_div_fmas_f32 v119, v119, v125, v127
	s_delay_alu instid0(VALU_DEP_1) | instskip(NEXT) | instid1(VALU_DEP_1)
	v_div_fixup_f32 v118, v119, v118, 1.0
	v_mul_f32_e64 v119, v117, -v118
.LBB108_303:
	s_or_b32 exec_lo, exec_lo, s1
.LBB108_304:
	s_delay_alu instid0(SALU_CYCLE_1) | instskip(NEXT) | instid1(SALU_CYCLE_1)
	s_or_b32 exec_lo, exec_lo, s0
	s_mov_b32 s0, exec_lo
	v_cmpx_ne_u32_e64 v124, v116
	s_xor_b32 s0, exec_lo, s0
	s_cbranch_execz .LBB108_310
; %bb.305:
	s_mov_b32 s1, exec_lo
	v_cmpx_eq_u32_e32 14, v124
	s_cbranch_execz .LBB108_309
; %bb.306:
	v_cmp_ne_u32_e32 vcc_lo, 14, v116
	s_xor_b32 s12, s16, -1
	s_delay_alu instid0(SALU_CYCLE_1) | instskip(NEXT) | instid1(SALU_CYCLE_1)
	s_and_b32 s13, s12, vcc_lo
	s_and_saveexec_b32 s12, s13
	s_cbranch_execz .LBB108_308
; %bb.307:
	v_ashrrev_i32_e32 v117, 31, v116
	s_delay_alu instid0(VALU_DEP_1)
	v_lshl_add_u64 v[124:125], v[116:117], 2, v[4:5]
	s_clause 0x1
	global_load_b32 v117, v[124:125], off
	global_load_b32 v123, v[4:5], off offset:56
	s_wait_loadcnt 0x1
	global_store_b32 v[4:5], v117, off offset:56
	s_wait_loadcnt 0x0
	global_store_b32 v[124:125], v123, off
.LBB108_308:
	s_wait_xcnt 0x0
	s_or_b32 exec_lo, exec_lo, s12
	v_dual_mov_b32 v124, v116 :: v_dual_mov_b32 v123, v116
.LBB108_309:
	s_or_b32 exec_lo, exec_lo, s1
.LBB108_310:
	s_and_not1_saveexec_b32 s0, s0
	s_cbranch_execz .LBB108_312
; %bb.311:
	v_mov_b32_e32 v124, 14
	ds_store_2addr_b64 v120, v[54:55], v[92:93] offset0:15 offset1:16
	ds_store_2addr_b64 v120, v[90:91], v[44:45] offset0:17 offset1:18
	;; [unrolled: 1-line block ×20, first 2 shown]
.LBB108_312:
	s_or_b32 exec_lo, exec_lo, s0
	s_delay_alu instid0(SALU_CYCLE_1)
	s_mov_b32 s0, exec_lo
	s_wait_storecnt_dscnt 0x0
	s_barrier_signal -1
	s_barrier_wait -1
	v_cmpx_lt_i32_e32 14, v124
	s_cbranch_execz .LBB108_314
; %bb.313:
	v_pk_mul_f32 v[126:127], v[118:119], v[56:57] op_sel:[1,1] op_sel_hi:[0,1]
	s_delay_alu instid0(VALU_DEP_1)
	v_pk_fma_f32 v[116:117], v[118:119], v[56:57], v[126:127] op_sel_hi:[1,0,1] neg_lo:[0,0,1] neg_hi:[0,0,1]
	v_pk_fma_f32 v[118:119], v[118:119], v[56:57], v[126:127] op_sel_hi:[1,0,1]
	ds_load_2addr_b64 v[126:129], v120 offset0:15 offset1:16
	v_dual_mov_b32 v56, v116 :: v_dual_mov_b32 v57, v119
	s_wait_dscnt 0x0
	v_pk_mul_f32 v[130:131], v[126:127], v[118:119] op_sel:[0,1]
	s_delay_alu instid0(VALU_DEP_1) | instskip(SKIP_1) | instid1(VALU_DEP_1)
	v_pk_fma_f32 v[132:133], v[126:127], v[116:117], v[130:131] op_sel:[0,0,1] op_sel_hi:[1,1,0] neg_lo:[0,0,1] neg_hi:[0,0,1]
	v_pk_fma_f32 v[126:127], v[126:127], v[116:117], v[130:131] op_sel:[0,0,1] op_sel_hi:[1,0,0]
	v_mov_b32_e32 v133, v127
	v_pk_mul_f32 v[126:127], v[128:129], v[118:119] op_sel:[0,1]
	s_delay_alu instid0(VALU_DEP_1) | instskip(SKIP_1) | instid1(VALU_DEP_1)
	v_pk_fma_f32 v[130:131], v[128:129], v[116:117], v[126:127] op_sel:[0,0,1] op_sel_hi:[1,1,0] neg_lo:[0,0,1] neg_hi:[0,0,1]
	v_pk_fma_f32 v[126:127], v[128:129], v[116:117], v[126:127] op_sel:[0,0,1] op_sel_hi:[1,0,0]
	v_mov_b32_e32 v131, v127
	ds_load_2addr_b64 v[126:129], v120 offset0:17 offset1:18
	v_pk_add_f32 v[54:55], v[54:55], v[132:133] neg_lo:[0,1] neg_hi:[0,1]
	v_pk_add_f32 v[92:93], v[92:93], v[130:131] neg_lo:[0,1] neg_hi:[0,1]
	s_wait_dscnt 0x0
	v_pk_mul_f32 v[130:131], v[126:127], v[118:119] op_sel:[0,1]
	s_delay_alu instid0(VALU_DEP_1) | instskip(SKIP_2) | instid1(VALU_DEP_2)
	v_pk_fma_f32 v[132:133], v[126:127], v[116:117], v[130:131] op_sel:[0,0,1] op_sel_hi:[1,1,0] neg_lo:[0,0,1] neg_hi:[0,0,1]
	v_pk_fma_f32 v[126:127], v[126:127], v[116:117], v[130:131] op_sel:[0,0,1] op_sel_hi:[1,0,0]
	v_dual_mul_f32 v130, v129, v119 :: v_dual_mov_b32 v126, v129
	v_dual_mov_b32 v133, v127 :: v_dual_mov_b32 v127, v128
	s_delay_alu instid0(VALU_DEP_2) | instskip(SKIP_1) | instid1(VALU_DEP_3)
	v_pk_fma_f32 v[130:131], v[128:129], v[56:57], v[130:131] op_sel_hi:[1,1,0] neg_lo:[0,0,1] neg_hi:[0,0,1]
	v_mul_f32_e32 v128, v129, v116
	v_pk_add_f32 v[90:91], v[90:91], v[132:133] neg_lo:[0,1] neg_hi:[0,1]
	s_delay_alu instid0(VALU_DEP_2) | instskip(NEXT) | instid1(VALU_DEP_1)
	v_pk_fma_f32 v[126:127], v[126:127], v[56:57], v[128:129] op_sel_hi:[1,1,0]
	v_mov_b32_e32 v131, v127
	ds_load_2addr_b64 v[126:129], v120 offset0:19 offset1:20
	v_pk_add_f32 v[44:45], v[44:45], v[130:131] neg_lo:[0,1] neg_hi:[0,1]
	s_wait_dscnt 0x0
	v_pk_mul_f32 v[130:131], v[126:127], v[118:119] op_sel:[0,1]
	s_delay_alu instid0(VALU_DEP_1) | instskip(SKIP_1) | instid1(VALU_DEP_1)
	v_pk_fma_f32 v[132:133], v[126:127], v[116:117], v[130:131] op_sel:[0,0,1] op_sel_hi:[1,1,0] neg_lo:[0,0,1] neg_hi:[0,0,1]
	v_pk_fma_f32 v[126:127], v[126:127], v[116:117], v[130:131] op_sel:[0,0,1] op_sel_hi:[1,0,0]
	v_mov_b32_e32 v133, v127
	v_pk_mul_f32 v[126:127], v[128:129], v[118:119] op_sel:[0,1]
	s_delay_alu instid0(VALU_DEP_1) | instskip(SKIP_1) | instid1(VALU_DEP_1)
	v_pk_fma_f32 v[130:131], v[128:129], v[116:117], v[126:127] op_sel:[0,0,1] op_sel_hi:[1,1,0] neg_lo:[0,0,1] neg_hi:[0,0,1]
	v_pk_fma_f32 v[126:127], v[128:129], v[116:117], v[126:127] op_sel:[0,0,1] op_sel_hi:[1,0,0]
	v_mov_b32_e32 v131, v127
	ds_load_2addr_b64 v[126:129], v120 offset0:21 offset1:22
	v_pk_add_f32 v[42:43], v[42:43], v[132:133] neg_lo:[0,1] neg_hi:[0,1]
	v_pk_add_f32 v[88:89], v[88:89], v[130:131] neg_lo:[0,1] neg_hi:[0,1]
	s_wait_dscnt 0x0
	v_pk_mul_f32 v[130:131], v[126:127], v[118:119] op_sel:[0,1]
	s_delay_alu instid0(VALU_DEP_1) | instskip(SKIP_1) | instid1(VALU_DEP_1)
	v_pk_fma_f32 v[132:133], v[126:127], v[116:117], v[130:131] op_sel:[0,0,1] op_sel_hi:[1,1,0] neg_lo:[0,0,1] neg_hi:[0,0,1]
	v_pk_fma_f32 v[126:127], v[126:127], v[116:117], v[130:131] op_sel:[0,0,1] op_sel_hi:[1,0,0]
	v_mov_b32_e32 v133, v127
	v_pk_mul_f32 v[126:127], v[128:129], v[118:119] op_sel:[0,1]
	s_delay_alu instid0(VALU_DEP_1) | instskip(SKIP_1) | instid1(VALU_DEP_1)
	v_pk_fma_f32 v[130:131], v[128:129], v[116:117], v[126:127] op_sel:[0,0,1] op_sel_hi:[1,1,0] neg_lo:[0,0,1] neg_hi:[0,0,1]
	v_pk_fma_f32 v[126:127], v[128:129], v[116:117], v[126:127] op_sel:[0,0,1] op_sel_hi:[1,0,0]
	v_mov_b32_e32 v131, v127
	ds_load_2addr_b64 v[126:129], v120 offset0:23 offset1:24
	v_pk_add_f32 v[86:87], v[86:87], v[132:133] neg_lo:[0,1] neg_hi:[0,1]
	v_pk_add_f32 v[40:41], v[40:41], v[130:131] neg_lo:[0,1] neg_hi:[0,1]
	s_wait_dscnt 0x0
	v_dual_mul_f32 v130, v127, v119 :: v_dual_mul_f32 v132, v127, v116
	s_delay_alu instid0(VALU_DEP_1) | instskip(NEXT) | instid1(VALU_DEP_2)
	v_pk_fma_f32 v[130:131], v[126:127], v[56:57], v[130:131] op_sel_hi:[1,1,0] neg_lo:[0,0,1] neg_hi:[0,0,1]
	v_pk_fma_f32 v[126:127], v[126:127], v[56:57], v[132:133] op_sel:[1,0,0] op_sel_hi:[0,1,0]
	s_delay_alu instid0(VALU_DEP_1) | instskip(SKIP_1) | instid1(VALU_DEP_2)
	v_mov_b32_e32 v131, v127
	v_pk_mul_f32 v[126:127], v[128:129], v[118:119] op_sel:[0,1]
	v_pk_add_f32 v[38:39], v[38:39], v[130:131] neg_lo:[0,1] neg_hi:[0,1]
	s_delay_alu instid0(VALU_DEP_2) | instskip(SKIP_1) | instid1(VALU_DEP_1)
	v_pk_fma_f32 v[130:131], v[128:129], v[116:117], v[126:127] op_sel:[0,0,1] op_sel_hi:[1,1,0] neg_lo:[0,0,1] neg_hi:[0,0,1]
	v_pk_fma_f32 v[126:127], v[128:129], v[116:117], v[126:127] op_sel:[0,0,1] op_sel_hi:[1,0,0]
	v_mov_b32_e32 v131, v127
	ds_load_2addr_b64 v[126:129], v120 offset0:25 offset1:26
	v_pk_add_f32 v[84:85], v[84:85], v[130:131] neg_lo:[0,1] neg_hi:[0,1]
	s_wait_dscnt 0x0
	v_pk_mul_f32 v[130:131], v[126:127], v[118:119] op_sel:[0,1]
	s_delay_alu instid0(VALU_DEP_1) | instskip(SKIP_1) | instid1(VALU_DEP_1)
	v_pk_fma_f32 v[132:133], v[126:127], v[116:117], v[130:131] op_sel:[0,0,1] op_sel_hi:[1,1,0] neg_lo:[0,0,1] neg_hi:[0,0,1]
	v_pk_fma_f32 v[126:127], v[126:127], v[116:117], v[130:131] op_sel:[0,0,1] op_sel_hi:[1,0,0]
	v_mov_b32_e32 v133, v127
	v_pk_mul_f32 v[126:127], v[128:129], v[118:119] op_sel:[0,1]
	s_delay_alu instid0(VALU_DEP_2) | instskip(NEXT) | instid1(VALU_DEP_2)
	v_pk_add_f32 v[82:83], v[82:83], v[132:133] neg_lo:[0,1] neg_hi:[0,1]
	v_pk_fma_f32 v[130:131], v[128:129], v[116:117], v[126:127] op_sel:[0,0,1] op_sel_hi:[1,1,0] neg_lo:[0,0,1] neg_hi:[0,0,1]
	v_pk_fma_f32 v[126:127], v[128:129], v[116:117], v[126:127] op_sel:[0,0,1] op_sel_hi:[1,0,0]
	s_delay_alu instid0(VALU_DEP_1) | instskip(SKIP_4) | instid1(VALU_DEP_1)
	v_mov_b32_e32 v131, v127
	ds_load_2addr_b64 v[126:129], v120 offset0:27 offset1:28
	v_pk_add_f32 v[36:37], v[36:37], v[130:131] neg_lo:[0,1] neg_hi:[0,1]
	s_wait_dscnt 0x0
	v_pk_mul_f32 v[130:131], v[126:127], v[118:119] op_sel:[0,1]
	v_pk_fma_f32 v[132:133], v[126:127], v[116:117], v[130:131] op_sel:[0,0,1] op_sel_hi:[1,1,0] neg_lo:[0,0,1] neg_hi:[0,0,1]
	v_pk_fma_f32 v[126:127], v[126:127], v[116:117], v[130:131] op_sel:[0,0,1] op_sel_hi:[1,0,0]
	v_dual_mul_f32 v130, v129, v119 :: v_dual_mov_b32 v126, v129
	s_delay_alu instid0(VALU_DEP_2) | instskip(NEXT) | instid1(VALU_DEP_2)
	v_dual_mov_b32 v133, v127 :: v_dual_mov_b32 v127, v128
	v_pk_fma_f32 v[130:131], v[128:129], v[56:57], v[130:131] op_sel_hi:[1,1,0] neg_lo:[0,0,1] neg_hi:[0,0,1]
	v_mul_f32_e32 v128, v129, v116
	s_delay_alu instid0(VALU_DEP_3) | instskip(NEXT) | instid1(VALU_DEP_2)
	v_pk_add_f32 v[32:33], v[32:33], v[132:133] neg_lo:[0,1] neg_hi:[0,1]
	v_pk_fma_f32 v[126:127], v[126:127], v[56:57], v[128:129] op_sel_hi:[1,1,0]
	s_delay_alu instid0(VALU_DEP_1) | instskip(SKIP_4) | instid1(VALU_DEP_1)
	v_mov_b32_e32 v131, v127
	ds_load_2addr_b64 v[126:129], v120 offset0:29 offset1:30
	v_pk_add_f32 v[80:81], v[80:81], v[130:131] neg_lo:[0,1] neg_hi:[0,1]
	s_wait_dscnt 0x0
	v_pk_mul_f32 v[130:131], v[126:127], v[118:119] op_sel:[0,1]
	v_pk_fma_f32 v[132:133], v[126:127], v[116:117], v[130:131] op_sel:[0,0,1] op_sel_hi:[1,1,0] neg_lo:[0,0,1] neg_hi:[0,0,1]
	v_pk_fma_f32 v[126:127], v[126:127], v[116:117], v[130:131] op_sel:[0,0,1] op_sel_hi:[1,0,0]
	s_delay_alu instid0(VALU_DEP_1) | instskip(SKIP_1) | instid1(VALU_DEP_1)
	v_mov_b32_e32 v133, v127
	v_pk_mul_f32 v[126:127], v[128:129], v[118:119] op_sel:[0,1]
	v_pk_fma_f32 v[130:131], v[128:129], v[116:117], v[126:127] op_sel:[0,0,1] op_sel_hi:[1,1,0] neg_lo:[0,0,1] neg_hi:[0,0,1]
	v_pk_fma_f32 v[126:127], v[128:129], v[116:117], v[126:127] op_sel:[0,0,1] op_sel_hi:[1,0,0]
	s_delay_alu instid0(VALU_DEP_1)
	v_mov_b32_e32 v131, v127
	ds_load_2addr_b64 v[126:129], v120 offset0:31 offset1:32
	v_pk_add_f32 v[78:79], v[78:79], v[132:133] neg_lo:[0,1] neg_hi:[0,1]
	v_pk_add_f32 v[28:29], v[28:29], v[130:131] neg_lo:[0,1] neg_hi:[0,1]
	s_wait_dscnt 0x0
	v_pk_mul_f32 v[130:131], v[126:127], v[118:119] op_sel:[0,1]
	s_delay_alu instid0(VALU_DEP_1) | instskip(SKIP_1) | instid1(VALU_DEP_1)
	v_pk_fma_f32 v[132:133], v[126:127], v[116:117], v[130:131] op_sel:[0,0,1] op_sel_hi:[1,1,0] neg_lo:[0,0,1] neg_hi:[0,0,1]
	v_pk_fma_f32 v[126:127], v[126:127], v[116:117], v[130:131] op_sel:[0,0,1] op_sel_hi:[1,0,0]
	v_mov_b32_e32 v133, v127
	v_pk_mul_f32 v[126:127], v[128:129], v[118:119] op_sel:[0,1]
	s_delay_alu instid0(VALU_DEP_1) | instskip(SKIP_1) | instid1(VALU_DEP_1)
	v_pk_fma_f32 v[130:131], v[128:129], v[116:117], v[126:127] op_sel:[0,0,1] op_sel_hi:[1,1,0] neg_lo:[0,0,1] neg_hi:[0,0,1]
	v_pk_fma_f32 v[126:127], v[128:129], v[116:117], v[126:127] op_sel:[0,0,1] op_sel_hi:[1,0,0]
	v_mov_b32_e32 v131, v127
	ds_load_2addr_b64 v[126:129], v120 offset0:33 offset1:34
	v_pk_add_f32 v[26:27], v[26:27], v[132:133] neg_lo:[0,1] neg_hi:[0,1]
	v_pk_add_f32 v[76:77], v[76:77], v[130:131] neg_lo:[0,1] neg_hi:[0,1]
	s_wait_dscnt 0x0
	v_dual_mul_f32 v130, v127, v119 :: v_dual_mul_f32 v132, v127, v116
	s_delay_alu instid0(VALU_DEP_1) | instskip(NEXT) | instid1(VALU_DEP_2)
	v_pk_fma_f32 v[130:131], v[126:127], v[56:57], v[130:131] op_sel_hi:[1,1,0] neg_lo:[0,0,1] neg_hi:[0,0,1]
	v_pk_fma_f32 v[126:127], v[126:127], v[56:57], v[132:133] op_sel:[1,0,0] op_sel_hi:[0,1,0]
	s_delay_alu instid0(VALU_DEP_1) | instskip(SKIP_1) | instid1(VALU_DEP_2)
	v_mov_b32_e32 v131, v127
	v_pk_mul_f32 v[126:127], v[128:129], v[118:119] op_sel:[0,1]
	v_pk_add_f32 v[74:75], v[74:75], v[130:131] neg_lo:[0,1] neg_hi:[0,1]
	s_delay_alu instid0(VALU_DEP_2) | instskip(SKIP_1) | instid1(VALU_DEP_1)
	v_pk_fma_f32 v[130:131], v[128:129], v[116:117], v[126:127] op_sel:[0,0,1] op_sel_hi:[1,1,0] neg_lo:[0,0,1] neg_hi:[0,0,1]
	v_pk_fma_f32 v[126:127], v[128:129], v[116:117], v[126:127] op_sel:[0,0,1] op_sel_hi:[1,0,0]
	v_mov_b32_e32 v131, v127
	ds_load_2addr_b64 v[126:129], v120 offset0:35 offset1:36
	v_pk_add_f32 v[22:23], v[22:23], v[130:131] neg_lo:[0,1] neg_hi:[0,1]
	s_wait_dscnt 0x0
	v_pk_mul_f32 v[130:131], v[126:127], v[118:119] op_sel:[0,1]
	s_delay_alu instid0(VALU_DEP_1) | instskip(SKIP_1) | instid1(VALU_DEP_1)
	v_pk_fma_f32 v[132:133], v[126:127], v[116:117], v[130:131] op_sel:[0,0,1] op_sel_hi:[1,1,0] neg_lo:[0,0,1] neg_hi:[0,0,1]
	v_pk_fma_f32 v[126:127], v[126:127], v[116:117], v[130:131] op_sel:[0,0,1] op_sel_hi:[1,0,0]
	v_mov_b32_e32 v133, v127
	v_pk_mul_f32 v[126:127], v[128:129], v[118:119] op_sel:[0,1]
	s_delay_alu instid0(VALU_DEP_2) | instskip(NEXT) | instid1(VALU_DEP_2)
	v_pk_add_f32 v[20:21], v[20:21], v[132:133] neg_lo:[0,1] neg_hi:[0,1]
	v_pk_fma_f32 v[130:131], v[128:129], v[116:117], v[126:127] op_sel:[0,0,1] op_sel_hi:[1,1,0] neg_lo:[0,0,1] neg_hi:[0,0,1]
	v_pk_fma_f32 v[126:127], v[128:129], v[116:117], v[126:127] op_sel:[0,0,1] op_sel_hi:[1,0,0]
	s_delay_alu instid0(VALU_DEP_1) | instskip(SKIP_4) | instid1(VALU_DEP_1)
	v_mov_b32_e32 v131, v127
	ds_load_2addr_b64 v[126:129], v120 offset0:37 offset1:38
	v_pk_add_f32 v[72:73], v[72:73], v[130:131] neg_lo:[0,1] neg_hi:[0,1]
	s_wait_dscnt 0x0
	v_pk_mul_f32 v[130:131], v[126:127], v[118:119] op_sel:[0,1]
	v_pk_fma_f32 v[132:133], v[126:127], v[116:117], v[130:131] op_sel:[0,0,1] op_sel_hi:[1,1,0] neg_lo:[0,0,1] neg_hi:[0,0,1]
	v_pk_fma_f32 v[126:127], v[126:127], v[116:117], v[130:131] op_sel:[0,0,1] op_sel_hi:[1,0,0]
	v_dual_mul_f32 v130, v129, v119 :: v_dual_mov_b32 v126, v129
	s_delay_alu instid0(VALU_DEP_2) | instskip(NEXT) | instid1(VALU_DEP_2)
	v_dual_mov_b32 v133, v127 :: v_dual_mov_b32 v127, v128
	v_pk_fma_f32 v[130:131], v[128:129], v[56:57], v[130:131] op_sel_hi:[1,1,0] neg_lo:[0,0,1] neg_hi:[0,0,1]
	v_mul_f32_e32 v128, v129, v116
	s_delay_alu instid0(VALU_DEP_3) | instskip(NEXT) | instid1(VALU_DEP_2)
	v_pk_add_f32 v[70:71], v[70:71], v[132:133] neg_lo:[0,1] neg_hi:[0,1]
	v_pk_fma_f32 v[126:127], v[126:127], v[56:57], v[128:129] op_sel_hi:[1,1,0]
	s_delay_alu instid0(VALU_DEP_1) | instskip(SKIP_4) | instid1(VALU_DEP_1)
	v_mov_b32_e32 v131, v127
	ds_load_2addr_b64 v[126:129], v120 offset0:39 offset1:40
	v_pk_add_f32 v[18:19], v[18:19], v[130:131] neg_lo:[0,1] neg_hi:[0,1]
	s_wait_dscnt 0x0
	v_pk_mul_f32 v[130:131], v[126:127], v[118:119] op_sel:[0,1]
	v_pk_fma_f32 v[132:133], v[126:127], v[116:117], v[130:131] op_sel:[0,0,1] op_sel_hi:[1,1,0] neg_lo:[0,0,1] neg_hi:[0,0,1]
	v_pk_fma_f32 v[126:127], v[126:127], v[116:117], v[130:131] op_sel:[0,0,1] op_sel_hi:[1,0,0]
	s_delay_alu instid0(VALU_DEP_1) | instskip(SKIP_1) | instid1(VALU_DEP_1)
	v_mov_b32_e32 v133, v127
	v_pk_mul_f32 v[126:127], v[128:129], v[118:119] op_sel:[0,1]
	v_pk_fma_f32 v[130:131], v[128:129], v[116:117], v[126:127] op_sel:[0,0,1] op_sel_hi:[1,1,0] neg_lo:[0,0,1] neg_hi:[0,0,1]
	v_pk_fma_f32 v[126:127], v[128:129], v[116:117], v[126:127] op_sel:[0,0,1] op_sel_hi:[1,0,0]
	s_delay_alu instid0(VALU_DEP_1)
	v_mov_b32_e32 v131, v127
	ds_load_2addr_b64 v[126:129], v120 offset0:41 offset1:42
	v_pk_add_f32 v[16:17], v[16:17], v[132:133] neg_lo:[0,1] neg_hi:[0,1]
	v_pk_add_f32 v[68:69], v[68:69], v[130:131] neg_lo:[0,1] neg_hi:[0,1]
	s_wait_dscnt 0x0
	v_pk_mul_f32 v[130:131], v[126:127], v[118:119] op_sel:[0,1]
	s_delay_alu instid0(VALU_DEP_1) | instskip(SKIP_1) | instid1(VALU_DEP_1)
	v_pk_fma_f32 v[132:133], v[126:127], v[116:117], v[130:131] op_sel:[0,0,1] op_sel_hi:[1,1,0] neg_lo:[0,0,1] neg_hi:[0,0,1]
	v_pk_fma_f32 v[126:127], v[126:127], v[116:117], v[130:131] op_sel:[0,0,1] op_sel_hi:[1,0,0]
	v_mov_b32_e32 v133, v127
	v_pk_mul_f32 v[126:127], v[128:129], v[118:119] op_sel:[0,1]
	s_delay_alu instid0(VALU_DEP_1) | instskip(SKIP_1) | instid1(VALU_DEP_1)
	v_pk_fma_f32 v[130:131], v[128:129], v[116:117], v[126:127] op_sel:[0,0,1] op_sel_hi:[1,1,0] neg_lo:[0,0,1] neg_hi:[0,0,1]
	v_pk_fma_f32 v[126:127], v[128:129], v[116:117], v[126:127] op_sel:[0,0,1] op_sel_hi:[1,0,0]
	v_mov_b32_e32 v131, v127
	ds_load_2addr_b64 v[126:129], v120 offset0:43 offset1:44
	v_pk_add_f32 v[66:67], v[66:67], v[132:133] neg_lo:[0,1] neg_hi:[0,1]
	v_pk_add_f32 v[14:15], v[14:15], v[130:131] neg_lo:[0,1] neg_hi:[0,1]
	s_wait_dscnt 0x0
	v_dual_mul_f32 v130, v127, v119 :: v_dual_mul_f32 v132, v127, v116
	s_delay_alu instid0(VALU_DEP_1) | instskip(NEXT) | instid1(VALU_DEP_2)
	v_pk_fma_f32 v[130:131], v[126:127], v[56:57], v[130:131] op_sel_hi:[1,1,0] neg_lo:[0,0,1] neg_hi:[0,0,1]
	v_pk_fma_f32 v[126:127], v[126:127], v[56:57], v[132:133] op_sel:[1,0,0] op_sel_hi:[0,1,0]
	s_delay_alu instid0(VALU_DEP_1) | instskip(SKIP_1) | instid1(VALU_DEP_2)
	v_mov_b32_e32 v131, v127
	v_pk_mul_f32 v[126:127], v[128:129], v[118:119] op_sel:[0,1]
	v_pk_add_f32 v[12:13], v[12:13], v[130:131] neg_lo:[0,1] neg_hi:[0,1]
	s_delay_alu instid0(VALU_DEP_2) | instskip(SKIP_1) | instid1(VALU_DEP_1)
	v_pk_fma_f32 v[130:131], v[128:129], v[116:117], v[126:127] op_sel:[0,0,1] op_sel_hi:[1,1,0] neg_lo:[0,0,1] neg_hi:[0,0,1]
	v_pk_fma_f32 v[126:127], v[128:129], v[116:117], v[126:127] op_sel:[0,0,1] op_sel_hi:[1,0,0]
	v_mov_b32_e32 v131, v127
	ds_load_2addr_b64 v[126:129], v120 offset0:45 offset1:46
	v_pk_add_f32 v[64:65], v[64:65], v[130:131] neg_lo:[0,1] neg_hi:[0,1]
	s_wait_dscnt 0x0
	v_pk_mul_f32 v[130:131], v[126:127], v[118:119] op_sel:[0,1]
	s_delay_alu instid0(VALU_DEP_1) | instskip(SKIP_1) | instid1(VALU_DEP_1)
	v_pk_fma_f32 v[132:133], v[126:127], v[116:117], v[130:131] op_sel:[0,0,1] op_sel_hi:[1,1,0] neg_lo:[0,0,1] neg_hi:[0,0,1]
	v_pk_fma_f32 v[126:127], v[126:127], v[116:117], v[130:131] op_sel:[0,0,1] op_sel_hi:[1,0,0]
	v_mov_b32_e32 v133, v127
	v_pk_mul_f32 v[126:127], v[128:129], v[118:119] op_sel:[0,1]
	s_delay_alu instid0(VALU_DEP_2) | instskip(NEXT) | instid1(VALU_DEP_2)
	v_pk_add_f32 v[62:63], v[62:63], v[132:133] neg_lo:[0,1] neg_hi:[0,1]
	v_pk_fma_f32 v[130:131], v[128:129], v[116:117], v[126:127] op_sel:[0,0,1] op_sel_hi:[1,1,0] neg_lo:[0,0,1] neg_hi:[0,0,1]
	v_pk_fma_f32 v[126:127], v[128:129], v[116:117], v[126:127] op_sel:[0,0,1] op_sel_hi:[1,0,0]
	s_delay_alu instid0(VALU_DEP_1) | instskip(SKIP_4) | instid1(VALU_DEP_1)
	v_mov_b32_e32 v131, v127
	ds_load_2addr_b64 v[126:129], v120 offset0:47 offset1:48
	v_pk_add_f32 v[10:11], v[10:11], v[130:131] neg_lo:[0,1] neg_hi:[0,1]
	s_wait_dscnt 0x0
	v_pk_mul_f32 v[130:131], v[126:127], v[118:119] op_sel:[0,1]
	v_pk_fma_f32 v[132:133], v[126:127], v[116:117], v[130:131] op_sel:[0,0,1] op_sel_hi:[1,1,0] neg_lo:[0,0,1] neg_hi:[0,0,1]
	v_pk_fma_f32 v[126:127], v[126:127], v[116:117], v[130:131] op_sel:[0,0,1] op_sel_hi:[1,0,0]
	v_dual_mul_f32 v130, v129, v119 :: v_dual_mov_b32 v126, v129
	s_delay_alu instid0(VALU_DEP_2) | instskip(NEXT) | instid1(VALU_DEP_2)
	v_dual_mov_b32 v133, v127 :: v_dual_mov_b32 v127, v128
	v_pk_fma_f32 v[130:131], v[128:129], v[56:57], v[130:131] op_sel_hi:[1,1,0] neg_lo:[0,0,1] neg_hi:[0,0,1]
	v_mul_f32_e32 v128, v129, v116
	s_delay_alu instid0(VALU_DEP_3) | instskip(NEXT) | instid1(VALU_DEP_2)
	v_pk_add_f32 v[6:7], v[6:7], v[132:133] neg_lo:[0,1] neg_hi:[0,1]
	v_pk_fma_f32 v[126:127], v[126:127], v[56:57], v[128:129] op_sel_hi:[1,1,0]
	s_delay_alu instid0(VALU_DEP_1) | instskip(SKIP_4) | instid1(VALU_DEP_1)
	v_mov_b32_e32 v131, v127
	ds_load_2addr_b64 v[126:129], v120 offset0:49 offset1:50
	v_pk_add_f32 v[52:53], v[52:53], v[130:131] neg_lo:[0,1] neg_hi:[0,1]
	s_wait_dscnt 0x0
	v_pk_mul_f32 v[130:131], v[126:127], v[118:119] op_sel:[0,1]
	v_pk_fma_f32 v[132:133], v[126:127], v[116:117], v[130:131] op_sel:[0,0,1] op_sel_hi:[1,1,0] neg_lo:[0,0,1] neg_hi:[0,0,1]
	v_pk_fma_f32 v[126:127], v[126:127], v[116:117], v[130:131] op_sel:[0,0,1] op_sel_hi:[1,0,0]
	s_delay_alu instid0(VALU_DEP_1) | instskip(SKIP_1) | instid1(VALU_DEP_1)
	v_mov_b32_e32 v133, v127
	v_pk_mul_f32 v[126:127], v[128:129], v[118:119] op_sel:[0,1]
	v_pk_fma_f32 v[130:131], v[128:129], v[116:117], v[126:127] op_sel:[0,0,1] op_sel_hi:[1,1,0] neg_lo:[0,0,1] neg_hi:[0,0,1]
	v_pk_fma_f32 v[126:127], v[128:129], v[116:117], v[126:127] op_sel:[0,0,1] op_sel_hi:[1,0,0]
	s_delay_alu instid0(VALU_DEP_1)
	v_mov_b32_e32 v131, v127
	ds_load_2addr_b64 v[126:129], v120 offset0:51 offset1:52
	v_pk_add_f32 v[50:51], v[50:51], v[132:133] neg_lo:[0,1] neg_hi:[0,1]
	v_pk_add_f32 v[8:9], v[8:9], v[130:131] neg_lo:[0,1] neg_hi:[0,1]
	s_wait_dscnt 0x0
	v_pk_mul_f32 v[130:131], v[126:127], v[118:119] op_sel:[0,1]
	s_delay_alu instid0(VALU_DEP_1) | instskip(SKIP_1) | instid1(VALU_DEP_1)
	v_pk_fma_f32 v[132:133], v[126:127], v[116:117], v[130:131] op_sel:[0,0,1] op_sel_hi:[1,1,0] neg_lo:[0,0,1] neg_hi:[0,0,1]
	v_pk_fma_f32 v[126:127], v[126:127], v[116:117], v[130:131] op_sel:[0,0,1] op_sel_hi:[1,0,0]
	v_mov_b32_e32 v133, v127
	v_pk_mul_f32 v[126:127], v[128:129], v[118:119] op_sel:[0,1]
	s_delay_alu instid0(VALU_DEP_1) | instskip(SKIP_1) | instid1(VALU_DEP_1)
	v_pk_fma_f32 v[130:131], v[128:129], v[116:117], v[126:127] op_sel:[0,0,1] op_sel_hi:[1,1,0] neg_lo:[0,0,1] neg_hi:[0,0,1]
	v_pk_fma_f32 v[126:127], v[128:129], v[116:117], v[126:127] op_sel:[0,0,1] op_sel_hi:[1,0,0]
	v_mov_b32_e32 v131, v127
	ds_load_2addr_b64 v[126:129], v120 offset0:53 offset1:54
	v_pk_add_f32 v[30:31], v[30:31], v[132:133] neg_lo:[0,1] neg_hi:[0,1]
	v_pk_add_f32 v[34:35], v[34:35], v[130:131] neg_lo:[0,1] neg_hi:[0,1]
	s_wait_dscnt 0x0
	v_dual_mul_f32 v130, v127, v119 :: v_dual_mul_f32 v132, v127, v116
	v_pk_mul_f32 v[118:119], v[128:129], v[118:119] op_sel:[0,1]
	s_delay_alu instid0(VALU_DEP_2) | instskip(NEXT) | instid1(VALU_DEP_3)
	v_pk_fma_f32 v[130:131], v[126:127], v[56:57], v[130:131] op_sel_hi:[1,1,0] neg_lo:[0,0,1] neg_hi:[0,0,1]
	v_pk_fma_f32 v[126:127], v[126:127], v[56:57], v[132:133] op_sel:[1,0,0] op_sel_hi:[0,1,0]
	s_delay_alu instid0(VALU_DEP_1) | instskip(NEXT) | instid1(VALU_DEP_4)
	v_mov_b32_e32 v131, v127
	v_pk_fma_f32 v[126:127], v[128:129], v[116:117], v[118:119] op_sel:[0,0,1] op_sel_hi:[1,1,0] neg_lo:[0,0,1] neg_hi:[0,0,1]
	v_pk_fma_f32 v[116:117], v[128:129], v[116:117], v[118:119] op_sel:[0,0,1] op_sel_hi:[1,0,0]
	s_delay_alu instid0(VALU_DEP_1) | instskip(NEXT) | instid1(VALU_DEP_4)
	v_mov_b32_e32 v127, v117
	v_pk_add_f32 v[24:25], v[24:25], v[130:131] neg_lo:[0,1] neg_hi:[0,1]
	s_delay_alu instid0(VALU_DEP_2)
	v_pk_add_f32 v[114:115], v[114:115], v[126:127] neg_lo:[0,1] neg_hi:[0,1]
.LBB108_314:
	s_or_b32 exec_lo, exec_lo, s0
	v_lshl_add_u32 v116, v124, 3, v120
	s_barrier_signal -1
	s_barrier_wait -1
	ds_store_b64 v116, v[54:55]
	s_wait_dscnt 0x0
	s_barrier_signal -1
	s_barrier_wait -1
	ds_load_b64 v[118:119], v120 offset:120
	v_mov_b32_e32 v116, 15
	s_cmp_lt_i32 s18, 17
	s_cbranch_scc1 .LBB108_317
; %bb.315:
	v_add3_u32 v117, v121, 0, 0x80
	v_mov_b32_e32 v116, 15
	s_mov_b32 s0, 16
.LBB108_316:                            ; =>This Inner Loop Header: Depth=1
	ds_load_b64 v[126:127], v117
	s_wait_dscnt 0x1
	v_cmp_gt_f32_e32 vcc_lo, 0, v118
	v_cndmask_b32_e64 v128, v118, -v118, vcc_lo
	v_cmp_gt_f32_e32 vcc_lo, 0, v119
	v_cndmask_b32_e64 v130, v119, -v119, vcc_lo
	s_wait_dscnt 0x0
	v_cmp_gt_f32_e32 vcc_lo, 0, v126
	v_cndmask_b32_e64 v129, v126, -v126, vcc_lo
	v_cmp_gt_f32_e32 vcc_lo, 0, v127
	v_cndmask_b32_e64 v131, v127, -v127, vcc_lo
	s_delay_alu instid0(VALU_DEP_1) | instskip(NEXT) | instid1(VALU_DEP_1)
	v_pk_add_f32 v[128:129], v[128:129], v[130:131]
	v_cmp_lt_f32_e32 vcc_lo, v128, v129
	v_dual_add_nc_u32 v117, 8, v117 :: v_dual_cndmask_b32 v119, v119, v127, vcc_lo
	v_cndmask_b32_e32 v118, v118, v126, vcc_lo
	v_cndmask_b32_e64 v116, v116, s0, vcc_lo
	s_add_co_i32 s0, s0, 1
	s_delay_alu instid0(SALU_CYCLE_1)
	s_cmp_lg_u32 s18, s0
	s_cbranch_scc1 .LBB108_316
.LBB108_317:
	s_wait_dscnt 0x0
	v_cmp_eq_f32_e32 vcc_lo, 0, v118
	v_cmp_eq_f32_e64 s0, 0, v119
	s_and_b32 s0, vcc_lo, s0
	s_delay_alu instid0(SALU_CYCLE_1) | instskip(NEXT) | instid1(SALU_CYCLE_1)
	s_and_saveexec_b32 s1, s0
	s_xor_b32 s0, exec_lo, s1
; %bb.318:
	v_cmp_ne_u32_e32 vcc_lo, 0, v122
	v_cndmask_b32_e32 v122, 16, v122, vcc_lo
; %bb.319:
	s_and_not1_saveexec_b32 s0, s0
	s_cbranch_execz .LBB108_325
; %bb.320:
	v_cmp_ngt_f32_e64 s1, |v118|, |v119|
	s_and_saveexec_b32 s12, s1
	s_delay_alu instid0(SALU_CYCLE_1)
	s_xor_b32 s1, exec_lo, s12
	s_cbranch_execz .LBB108_322
; %bb.321:
	v_div_scale_f32 v117, null, v119, v119, v118
	v_div_scale_f32 v127, vcc_lo, v118, v119, v118
	s_delay_alu instid0(VALU_DEP_2) | instskip(SKIP_1) | instid1(TRANS32_DEP_1)
	v_rcp_f32_e32 v125, v117
	v_nop
	v_fma_f32 v126, -v117, v125, 1.0
	s_delay_alu instid0(VALU_DEP_1) | instskip(NEXT) | instid1(VALU_DEP_1)
	v_fmac_f32_e32 v125, v126, v125
	v_mul_f32_e32 v126, v127, v125
	s_delay_alu instid0(VALU_DEP_1) | instskip(NEXT) | instid1(VALU_DEP_1)
	v_fma_f32 v128, -v117, v126, v127
	v_fmac_f32_e32 v126, v128, v125
	s_delay_alu instid0(VALU_DEP_1) | instskip(NEXT) | instid1(VALU_DEP_1)
	v_fma_f32 v117, -v117, v126, v127
	v_div_fmas_f32 v117, v117, v125, v126
	s_delay_alu instid0(VALU_DEP_1) | instskip(NEXT) | instid1(VALU_DEP_1)
	v_div_fixup_f32 v117, v117, v119, v118
	v_fmac_f32_e32 v119, v118, v117
	s_delay_alu instid0(VALU_DEP_1) | instskip(SKIP_1) | instid1(VALU_DEP_2)
	v_div_scale_f32 v118, null, v119, v119, 1.0
	v_div_scale_f32 v127, vcc_lo, 1.0, v119, 1.0
	v_rcp_f32_e32 v125, v118
	v_nop
	s_delay_alu instid0(TRANS32_DEP_1) | instskip(NEXT) | instid1(VALU_DEP_1)
	v_fma_f32 v126, -v118, v125, 1.0
	v_fmac_f32_e32 v125, v126, v125
	s_delay_alu instid0(VALU_DEP_1) | instskip(NEXT) | instid1(VALU_DEP_1)
	v_mul_f32_e32 v126, v127, v125
	v_fma_f32 v128, -v118, v126, v127
	s_delay_alu instid0(VALU_DEP_1) | instskip(NEXT) | instid1(VALU_DEP_1)
	v_fmac_f32_e32 v126, v128, v125
	v_fma_f32 v118, -v118, v126, v127
	s_delay_alu instid0(VALU_DEP_1) | instskip(NEXT) | instid1(VALU_DEP_1)
	v_div_fmas_f32 v118, v118, v125, v126
	v_div_fixup_f32 v119, v118, v119, 1.0
	s_delay_alu instid0(VALU_DEP_1)
	v_mul_f32_e32 v118, v117, v119
	v_xor_b32_e32 v119, 0x80000000, v119
.LBB108_322:
	s_and_not1_saveexec_b32 s1, s1
	s_cbranch_execz .LBB108_324
; %bb.323:
	s_delay_alu instid0(VALU_DEP_1) | instskip(SKIP_1) | instid1(VALU_DEP_2)
	v_div_scale_f32 v117, null, v118, v118, v119
	v_div_scale_f32 v127, vcc_lo, v119, v118, v119
	v_rcp_f32_e32 v125, v117
	v_nop
	s_delay_alu instid0(TRANS32_DEP_1) | instskip(NEXT) | instid1(VALU_DEP_1)
	v_fma_f32 v126, -v117, v125, 1.0
	v_fmac_f32_e32 v125, v126, v125
	s_delay_alu instid0(VALU_DEP_1) | instskip(NEXT) | instid1(VALU_DEP_1)
	v_mul_f32_e32 v126, v127, v125
	v_fma_f32 v128, -v117, v126, v127
	s_delay_alu instid0(VALU_DEP_1) | instskip(NEXT) | instid1(VALU_DEP_1)
	v_fmac_f32_e32 v126, v128, v125
	v_fma_f32 v117, -v117, v126, v127
	s_delay_alu instid0(VALU_DEP_1) | instskip(NEXT) | instid1(VALU_DEP_1)
	v_div_fmas_f32 v117, v117, v125, v126
	v_div_fixup_f32 v117, v117, v118, v119
	s_delay_alu instid0(VALU_DEP_1) | instskip(NEXT) | instid1(VALU_DEP_1)
	v_fmac_f32_e32 v118, v119, v117
	v_div_scale_f32 v119, null, v118, v118, 1.0
	s_delay_alu instid0(VALU_DEP_1) | instskip(SKIP_1) | instid1(TRANS32_DEP_1)
	v_rcp_f32_e32 v125, v119
	v_nop
	v_fma_f32 v126, -v119, v125, 1.0
	s_delay_alu instid0(VALU_DEP_1) | instskip(SKIP_1) | instid1(VALU_DEP_1)
	v_fmac_f32_e32 v125, v126, v125
	v_div_scale_f32 v126, vcc_lo, 1.0, v118, 1.0
	v_mul_f32_e32 v127, v126, v125
	s_delay_alu instid0(VALU_DEP_1) | instskip(NEXT) | instid1(VALU_DEP_1)
	v_fma_f32 v128, -v119, v127, v126
	v_fmac_f32_e32 v127, v128, v125
	s_delay_alu instid0(VALU_DEP_1) | instskip(NEXT) | instid1(VALU_DEP_1)
	v_fma_f32 v119, -v119, v127, v126
	v_div_fmas_f32 v119, v119, v125, v127
	s_delay_alu instid0(VALU_DEP_1) | instskip(NEXT) | instid1(VALU_DEP_1)
	v_div_fixup_f32 v118, v119, v118, 1.0
	v_mul_f32_e64 v119, v117, -v118
.LBB108_324:
	s_or_b32 exec_lo, exec_lo, s1
.LBB108_325:
	s_delay_alu instid0(SALU_CYCLE_1) | instskip(NEXT) | instid1(SALU_CYCLE_1)
	s_or_b32 exec_lo, exec_lo, s0
	s_mov_b32 s0, exec_lo
	v_cmpx_ne_u32_e64 v124, v116
	s_xor_b32 s0, exec_lo, s0
	s_cbranch_execz .LBB108_331
; %bb.326:
	s_mov_b32 s1, exec_lo
	v_cmpx_eq_u32_e32 15, v124
	s_cbranch_execz .LBB108_330
; %bb.327:
	v_cmp_ne_u32_e32 vcc_lo, 15, v116
	s_xor_b32 s12, s16, -1
	s_delay_alu instid0(SALU_CYCLE_1) | instskip(NEXT) | instid1(SALU_CYCLE_1)
	s_and_b32 s13, s12, vcc_lo
	s_and_saveexec_b32 s12, s13
	s_cbranch_execz .LBB108_329
; %bb.328:
	v_ashrrev_i32_e32 v117, 31, v116
	s_delay_alu instid0(VALU_DEP_1)
	v_lshl_add_u64 v[124:125], v[116:117], 2, v[4:5]
	s_clause 0x1
	global_load_b32 v117, v[124:125], off
	global_load_b32 v123, v[4:5], off offset:60
	s_wait_loadcnt 0x1
	global_store_b32 v[4:5], v117, off offset:60
	s_wait_loadcnt 0x0
	global_store_b32 v[124:125], v123, off
.LBB108_329:
	s_wait_xcnt 0x0
	s_or_b32 exec_lo, exec_lo, s12
	v_dual_mov_b32 v124, v116 :: v_dual_mov_b32 v123, v116
.LBB108_330:
	s_or_b32 exec_lo, exec_lo, s1
.LBB108_331:
	s_and_not1_saveexec_b32 s0, s0
	s_cbranch_execz .LBB108_333
; %bb.332:
	v_dual_mov_b32 v116, v92 :: v_dual_mov_b32 v117, v93
	v_dual_mov_b32 v124, v90 :: v_dual_mov_b32 v125, v91
	ds_store_2addr_b64 v120, v[116:117], v[124:125] offset0:16 offset1:17
	v_dual_mov_b32 v116, v44 :: v_dual_mov_b32 v117, v45
	v_dual_mov_b32 v124, v42 :: v_dual_mov_b32 v125, v43
	ds_store_2addr_b64 v120, v[116:117], v[124:125] offset0:18 offset1:19
	;; [unrolled: 3-line block ×19, first 2 shown]
	ds_store_b64 v120, v[114:115] offset:432
	v_mov_b32_e32 v124, 15
.LBB108_333:
	s_or_b32 exec_lo, exec_lo, s0
	s_delay_alu instid0(SALU_CYCLE_1)
	s_mov_b32 s0, exec_lo
	s_wait_storecnt_dscnt 0x0
	s_barrier_signal -1
	s_barrier_wait -1
	v_cmpx_lt_i32_e32 15, v124
	s_cbranch_execz .LBB108_335
; %bb.334:
	v_pk_mul_f32 v[126:127], v[118:119], v[54:55] op_sel:[1,1] op_sel_hi:[0,1]
	s_delay_alu instid0(VALU_DEP_1)
	v_pk_fma_f32 v[116:117], v[118:119], v[54:55], v[126:127] op_sel_hi:[1,0,1] neg_lo:[0,0,1] neg_hi:[0,0,1]
	v_pk_fma_f32 v[118:119], v[118:119], v[54:55], v[126:127] op_sel_hi:[1,0,1]
	ds_load_2addr_b64 v[126:129], v120 offset0:16 offset1:17
	v_dual_mov_b32 v54, v116 :: v_dual_mov_b32 v55, v119
	s_wait_dscnt 0x0
	v_pk_mul_f32 v[130:131], v[126:127], v[118:119] op_sel:[0,1]
	s_delay_alu instid0(VALU_DEP_1) | instskip(SKIP_1) | instid1(VALU_DEP_1)
	v_pk_fma_f32 v[132:133], v[126:127], v[116:117], v[130:131] op_sel:[0,0,1] op_sel_hi:[1,1,0] neg_lo:[0,0,1] neg_hi:[0,0,1]
	v_pk_fma_f32 v[126:127], v[126:127], v[116:117], v[130:131] op_sel:[0,0,1] op_sel_hi:[1,0,0]
	v_mov_b32_e32 v133, v127
	v_pk_mul_f32 v[126:127], v[128:129], v[118:119] op_sel:[0,1]
	s_delay_alu instid0(VALU_DEP_1) | instskip(SKIP_1) | instid1(VALU_DEP_1)
	v_pk_fma_f32 v[130:131], v[128:129], v[116:117], v[126:127] op_sel:[0,0,1] op_sel_hi:[1,1,0] neg_lo:[0,0,1] neg_hi:[0,0,1]
	v_pk_fma_f32 v[126:127], v[128:129], v[116:117], v[126:127] op_sel:[0,0,1] op_sel_hi:[1,0,0]
	v_mov_b32_e32 v131, v127
	ds_load_2addr_b64 v[126:129], v120 offset0:18 offset1:19
	v_pk_add_f32 v[92:93], v[92:93], v[132:133] neg_lo:[0,1] neg_hi:[0,1]
	v_pk_add_f32 v[90:91], v[90:91], v[130:131] neg_lo:[0,1] neg_hi:[0,1]
	s_wait_dscnt 0x0
	v_pk_mul_f32 v[130:131], v[126:127], v[118:119] op_sel:[0,1]
	s_delay_alu instid0(VALU_DEP_1) | instskip(SKIP_2) | instid1(VALU_DEP_2)
	v_pk_fma_f32 v[132:133], v[126:127], v[116:117], v[130:131] op_sel:[0,0,1] op_sel_hi:[1,1,0] neg_lo:[0,0,1] neg_hi:[0,0,1]
	v_pk_fma_f32 v[126:127], v[126:127], v[116:117], v[130:131] op_sel:[0,0,1] op_sel_hi:[1,0,0]
	v_dual_mul_f32 v130, v129, v119 :: v_dual_mov_b32 v126, v129
	v_dual_mov_b32 v133, v127 :: v_dual_mov_b32 v127, v128
	s_delay_alu instid0(VALU_DEP_2) | instskip(SKIP_1) | instid1(VALU_DEP_3)
	v_pk_fma_f32 v[130:131], v[128:129], v[54:55], v[130:131] op_sel_hi:[1,1,0] neg_lo:[0,0,1] neg_hi:[0,0,1]
	v_mul_f32_e32 v128, v129, v116
	v_pk_add_f32 v[44:45], v[44:45], v[132:133] neg_lo:[0,1] neg_hi:[0,1]
	s_delay_alu instid0(VALU_DEP_2) | instskip(NEXT) | instid1(VALU_DEP_1)
	v_pk_fma_f32 v[126:127], v[126:127], v[54:55], v[128:129] op_sel_hi:[1,1,0]
	v_mov_b32_e32 v131, v127
	ds_load_2addr_b64 v[126:129], v120 offset0:20 offset1:21
	v_pk_add_f32 v[42:43], v[42:43], v[130:131] neg_lo:[0,1] neg_hi:[0,1]
	s_wait_dscnt 0x0
	v_pk_mul_f32 v[130:131], v[126:127], v[118:119] op_sel:[0,1]
	s_delay_alu instid0(VALU_DEP_1) | instskip(SKIP_1) | instid1(VALU_DEP_1)
	v_pk_fma_f32 v[132:133], v[126:127], v[116:117], v[130:131] op_sel:[0,0,1] op_sel_hi:[1,1,0] neg_lo:[0,0,1] neg_hi:[0,0,1]
	v_pk_fma_f32 v[126:127], v[126:127], v[116:117], v[130:131] op_sel:[0,0,1] op_sel_hi:[1,0,0]
	v_mov_b32_e32 v133, v127
	v_pk_mul_f32 v[126:127], v[128:129], v[118:119] op_sel:[0,1]
	s_delay_alu instid0(VALU_DEP_1) | instskip(SKIP_1) | instid1(VALU_DEP_1)
	v_pk_fma_f32 v[130:131], v[128:129], v[116:117], v[126:127] op_sel:[0,0,1] op_sel_hi:[1,1,0] neg_lo:[0,0,1] neg_hi:[0,0,1]
	v_pk_fma_f32 v[126:127], v[128:129], v[116:117], v[126:127] op_sel:[0,0,1] op_sel_hi:[1,0,0]
	v_mov_b32_e32 v131, v127
	ds_load_2addr_b64 v[126:129], v120 offset0:22 offset1:23
	v_pk_add_f32 v[88:89], v[88:89], v[132:133] neg_lo:[0,1] neg_hi:[0,1]
	v_pk_add_f32 v[86:87], v[86:87], v[130:131] neg_lo:[0,1] neg_hi:[0,1]
	s_wait_dscnt 0x0
	v_pk_mul_f32 v[130:131], v[126:127], v[118:119] op_sel:[0,1]
	s_delay_alu instid0(VALU_DEP_1) | instskip(SKIP_1) | instid1(VALU_DEP_1)
	v_pk_fma_f32 v[132:133], v[126:127], v[116:117], v[130:131] op_sel:[0,0,1] op_sel_hi:[1,1,0] neg_lo:[0,0,1] neg_hi:[0,0,1]
	v_pk_fma_f32 v[126:127], v[126:127], v[116:117], v[130:131] op_sel:[0,0,1] op_sel_hi:[1,0,0]
	v_mov_b32_e32 v133, v127
	v_pk_mul_f32 v[126:127], v[128:129], v[118:119] op_sel:[0,1]
	s_delay_alu instid0(VALU_DEP_1) | instskip(SKIP_1) | instid1(VALU_DEP_1)
	v_pk_fma_f32 v[130:131], v[128:129], v[116:117], v[126:127] op_sel:[0,0,1] op_sel_hi:[1,1,0] neg_lo:[0,0,1] neg_hi:[0,0,1]
	v_pk_fma_f32 v[126:127], v[128:129], v[116:117], v[126:127] op_sel:[0,0,1] op_sel_hi:[1,0,0]
	v_mov_b32_e32 v131, v127
	ds_load_2addr_b64 v[126:129], v120 offset0:24 offset1:25
	v_pk_add_f32 v[40:41], v[40:41], v[132:133] neg_lo:[0,1] neg_hi:[0,1]
	v_pk_add_f32 v[38:39], v[38:39], v[130:131] neg_lo:[0,1] neg_hi:[0,1]
	s_wait_dscnt 0x0
	v_dual_mul_f32 v130, v127, v119 :: v_dual_mul_f32 v132, v127, v116
	s_delay_alu instid0(VALU_DEP_1) | instskip(NEXT) | instid1(VALU_DEP_2)
	v_pk_fma_f32 v[130:131], v[126:127], v[54:55], v[130:131] op_sel_hi:[1,1,0] neg_lo:[0,0,1] neg_hi:[0,0,1]
	v_pk_fma_f32 v[126:127], v[126:127], v[54:55], v[132:133] op_sel:[1,0,0] op_sel_hi:[0,1,0]
	s_delay_alu instid0(VALU_DEP_1) | instskip(SKIP_1) | instid1(VALU_DEP_2)
	v_mov_b32_e32 v131, v127
	v_pk_mul_f32 v[126:127], v[128:129], v[118:119] op_sel:[0,1]
	v_pk_add_f32 v[84:85], v[84:85], v[130:131] neg_lo:[0,1] neg_hi:[0,1]
	s_delay_alu instid0(VALU_DEP_2) | instskip(SKIP_1) | instid1(VALU_DEP_1)
	v_pk_fma_f32 v[130:131], v[128:129], v[116:117], v[126:127] op_sel:[0,0,1] op_sel_hi:[1,1,0] neg_lo:[0,0,1] neg_hi:[0,0,1]
	v_pk_fma_f32 v[126:127], v[128:129], v[116:117], v[126:127] op_sel:[0,0,1] op_sel_hi:[1,0,0]
	v_mov_b32_e32 v131, v127
	ds_load_2addr_b64 v[126:129], v120 offset0:26 offset1:27
	v_pk_add_f32 v[82:83], v[82:83], v[130:131] neg_lo:[0,1] neg_hi:[0,1]
	s_wait_dscnt 0x0
	v_pk_mul_f32 v[130:131], v[126:127], v[118:119] op_sel:[0,1]
	s_delay_alu instid0(VALU_DEP_1) | instskip(SKIP_1) | instid1(VALU_DEP_1)
	v_pk_fma_f32 v[132:133], v[126:127], v[116:117], v[130:131] op_sel:[0,0,1] op_sel_hi:[1,1,0] neg_lo:[0,0,1] neg_hi:[0,0,1]
	v_pk_fma_f32 v[126:127], v[126:127], v[116:117], v[130:131] op_sel:[0,0,1] op_sel_hi:[1,0,0]
	v_mov_b32_e32 v133, v127
	v_pk_mul_f32 v[126:127], v[128:129], v[118:119] op_sel:[0,1]
	s_delay_alu instid0(VALU_DEP_2) | instskip(NEXT) | instid1(VALU_DEP_2)
	v_pk_add_f32 v[36:37], v[36:37], v[132:133] neg_lo:[0,1] neg_hi:[0,1]
	v_pk_fma_f32 v[130:131], v[128:129], v[116:117], v[126:127] op_sel:[0,0,1] op_sel_hi:[1,1,0] neg_lo:[0,0,1] neg_hi:[0,0,1]
	v_pk_fma_f32 v[126:127], v[128:129], v[116:117], v[126:127] op_sel:[0,0,1] op_sel_hi:[1,0,0]
	s_delay_alu instid0(VALU_DEP_1) | instskip(SKIP_4) | instid1(VALU_DEP_1)
	v_mov_b32_e32 v131, v127
	ds_load_2addr_b64 v[126:129], v120 offset0:28 offset1:29
	v_pk_add_f32 v[32:33], v[32:33], v[130:131] neg_lo:[0,1] neg_hi:[0,1]
	s_wait_dscnt 0x0
	v_pk_mul_f32 v[130:131], v[126:127], v[118:119] op_sel:[0,1]
	v_pk_fma_f32 v[132:133], v[126:127], v[116:117], v[130:131] op_sel:[0,0,1] op_sel_hi:[1,1,0] neg_lo:[0,0,1] neg_hi:[0,0,1]
	v_pk_fma_f32 v[126:127], v[126:127], v[116:117], v[130:131] op_sel:[0,0,1] op_sel_hi:[1,0,0]
	v_dual_mul_f32 v130, v129, v119 :: v_dual_mov_b32 v126, v129
	s_delay_alu instid0(VALU_DEP_2) | instskip(NEXT) | instid1(VALU_DEP_2)
	v_dual_mov_b32 v133, v127 :: v_dual_mov_b32 v127, v128
	v_pk_fma_f32 v[130:131], v[128:129], v[54:55], v[130:131] op_sel_hi:[1,1,0] neg_lo:[0,0,1] neg_hi:[0,0,1]
	v_mul_f32_e32 v128, v129, v116
	s_delay_alu instid0(VALU_DEP_3) | instskip(NEXT) | instid1(VALU_DEP_2)
	v_pk_add_f32 v[80:81], v[80:81], v[132:133] neg_lo:[0,1] neg_hi:[0,1]
	v_pk_fma_f32 v[126:127], v[126:127], v[54:55], v[128:129] op_sel_hi:[1,1,0]
	s_delay_alu instid0(VALU_DEP_1) | instskip(SKIP_4) | instid1(VALU_DEP_1)
	v_mov_b32_e32 v131, v127
	ds_load_2addr_b64 v[126:129], v120 offset0:30 offset1:31
	v_pk_add_f32 v[78:79], v[78:79], v[130:131] neg_lo:[0,1] neg_hi:[0,1]
	s_wait_dscnt 0x0
	v_pk_mul_f32 v[130:131], v[126:127], v[118:119] op_sel:[0,1]
	v_pk_fma_f32 v[132:133], v[126:127], v[116:117], v[130:131] op_sel:[0,0,1] op_sel_hi:[1,1,0] neg_lo:[0,0,1] neg_hi:[0,0,1]
	v_pk_fma_f32 v[126:127], v[126:127], v[116:117], v[130:131] op_sel:[0,0,1] op_sel_hi:[1,0,0]
	s_delay_alu instid0(VALU_DEP_1) | instskip(SKIP_1) | instid1(VALU_DEP_1)
	v_mov_b32_e32 v133, v127
	v_pk_mul_f32 v[126:127], v[128:129], v[118:119] op_sel:[0,1]
	v_pk_fma_f32 v[130:131], v[128:129], v[116:117], v[126:127] op_sel:[0,0,1] op_sel_hi:[1,1,0] neg_lo:[0,0,1] neg_hi:[0,0,1]
	v_pk_fma_f32 v[126:127], v[128:129], v[116:117], v[126:127] op_sel:[0,0,1] op_sel_hi:[1,0,0]
	s_delay_alu instid0(VALU_DEP_1)
	v_mov_b32_e32 v131, v127
	ds_load_2addr_b64 v[126:129], v120 offset0:32 offset1:33
	v_pk_add_f32 v[28:29], v[28:29], v[132:133] neg_lo:[0,1] neg_hi:[0,1]
	v_pk_add_f32 v[26:27], v[26:27], v[130:131] neg_lo:[0,1] neg_hi:[0,1]
	s_wait_dscnt 0x0
	v_pk_mul_f32 v[130:131], v[126:127], v[118:119] op_sel:[0,1]
	s_delay_alu instid0(VALU_DEP_1) | instskip(SKIP_1) | instid1(VALU_DEP_1)
	v_pk_fma_f32 v[132:133], v[126:127], v[116:117], v[130:131] op_sel:[0,0,1] op_sel_hi:[1,1,0] neg_lo:[0,0,1] neg_hi:[0,0,1]
	v_pk_fma_f32 v[126:127], v[126:127], v[116:117], v[130:131] op_sel:[0,0,1] op_sel_hi:[1,0,0]
	v_mov_b32_e32 v133, v127
	v_pk_mul_f32 v[126:127], v[128:129], v[118:119] op_sel:[0,1]
	s_delay_alu instid0(VALU_DEP_1) | instskip(SKIP_1) | instid1(VALU_DEP_1)
	v_pk_fma_f32 v[130:131], v[128:129], v[116:117], v[126:127] op_sel:[0,0,1] op_sel_hi:[1,1,0] neg_lo:[0,0,1] neg_hi:[0,0,1]
	v_pk_fma_f32 v[126:127], v[128:129], v[116:117], v[126:127] op_sel:[0,0,1] op_sel_hi:[1,0,0]
	v_mov_b32_e32 v131, v127
	ds_load_2addr_b64 v[126:129], v120 offset0:34 offset1:35
	v_pk_add_f32 v[76:77], v[76:77], v[132:133] neg_lo:[0,1] neg_hi:[0,1]
	v_pk_add_f32 v[74:75], v[74:75], v[130:131] neg_lo:[0,1] neg_hi:[0,1]
	s_wait_dscnt 0x0
	v_dual_mul_f32 v130, v127, v119 :: v_dual_mul_f32 v132, v127, v116
	s_delay_alu instid0(VALU_DEP_1) | instskip(NEXT) | instid1(VALU_DEP_2)
	v_pk_fma_f32 v[130:131], v[126:127], v[54:55], v[130:131] op_sel_hi:[1,1,0] neg_lo:[0,0,1] neg_hi:[0,0,1]
	v_pk_fma_f32 v[126:127], v[126:127], v[54:55], v[132:133] op_sel:[1,0,0] op_sel_hi:[0,1,0]
	s_delay_alu instid0(VALU_DEP_1) | instskip(SKIP_1) | instid1(VALU_DEP_2)
	v_mov_b32_e32 v131, v127
	v_pk_mul_f32 v[126:127], v[128:129], v[118:119] op_sel:[0,1]
	v_pk_add_f32 v[22:23], v[22:23], v[130:131] neg_lo:[0,1] neg_hi:[0,1]
	s_delay_alu instid0(VALU_DEP_2) | instskip(SKIP_1) | instid1(VALU_DEP_1)
	v_pk_fma_f32 v[130:131], v[128:129], v[116:117], v[126:127] op_sel:[0,0,1] op_sel_hi:[1,1,0] neg_lo:[0,0,1] neg_hi:[0,0,1]
	v_pk_fma_f32 v[126:127], v[128:129], v[116:117], v[126:127] op_sel:[0,0,1] op_sel_hi:[1,0,0]
	v_mov_b32_e32 v131, v127
	ds_load_2addr_b64 v[126:129], v120 offset0:36 offset1:37
	v_pk_add_f32 v[20:21], v[20:21], v[130:131] neg_lo:[0,1] neg_hi:[0,1]
	s_wait_dscnt 0x0
	v_pk_mul_f32 v[130:131], v[126:127], v[118:119] op_sel:[0,1]
	s_delay_alu instid0(VALU_DEP_1) | instskip(SKIP_1) | instid1(VALU_DEP_1)
	v_pk_fma_f32 v[132:133], v[126:127], v[116:117], v[130:131] op_sel:[0,0,1] op_sel_hi:[1,1,0] neg_lo:[0,0,1] neg_hi:[0,0,1]
	v_pk_fma_f32 v[126:127], v[126:127], v[116:117], v[130:131] op_sel:[0,0,1] op_sel_hi:[1,0,0]
	v_mov_b32_e32 v133, v127
	v_pk_mul_f32 v[126:127], v[128:129], v[118:119] op_sel:[0,1]
	s_delay_alu instid0(VALU_DEP_2) | instskip(NEXT) | instid1(VALU_DEP_2)
	v_pk_add_f32 v[72:73], v[72:73], v[132:133] neg_lo:[0,1] neg_hi:[0,1]
	v_pk_fma_f32 v[130:131], v[128:129], v[116:117], v[126:127] op_sel:[0,0,1] op_sel_hi:[1,1,0] neg_lo:[0,0,1] neg_hi:[0,0,1]
	v_pk_fma_f32 v[126:127], v[128:129], v[116:117], v[126:127] op_sel:[0,0,1] op_sel_hi:[1,0,0]
	s_delay_alu instid0(VALU_DEP_1) | instskip(SKIP_4) | instid1(VALU_DEP_1)
	v_mov_b32_e32 v131, v127
	ds_load_2addr_b64 v[126:129], v120 offset0:38 offset1:39
	v_pk_add_f32 v[70:71], v[70:71], v[130:131] neg_lo:[0,1] neg_hi:[0,1]
	s_wait_dscnt 0x0
	v_pk_mul_f32 v[130:131], v[126:127], v[118:119] op_sel:[0,1]
	v_pk_fma_f32 v[132:133], v[126:127], v[116:117], v[130:131] op_sel:[0,0,1] op_sel_hi:[1,1,0] neg_lo:[0,0,1] neg_hi:[0,0,1]
	v_pk_fma_f32 v[126:127], v[126:127], v[116:117], v[130:131] op_sel:[0,0,1] op_sel_hi:[1,0,0]
	v_dual_mul_f32 v130, v129, v119 :: v_dual_mov_b32 v126, v129
	s_delay_alu instid0(VALU_DEP_2) | instskip(NEXT) | instid1(VALU_DEP_2)
	v_dual_mov_b32 v133, v127 :: v_dual_mov_b32 v127, v128
	v_pk_fma_f32 v[130:131], v[128:129], v[54:55], v[130:131] op_sel_hi:[1,1,0] neg_lo:[0,0,1] neg_hi:[0,0,1]
	v_mul_f32_e32 v128, v129, v116
	s_delay_alu instid0(VALU_DEP_3) | instskip(NEXT) | instid1(VALU_DEP_2)
	v_pk_add_f32 v[18:19], v[18:19], v[132:133] neg_lo:[0,1] neg_hi:[0,1]
	v_pk_fma_f32 v[126:127], v[126:127], v[54:55], v[128:129] op_sel_hi:[1,1,0]
	s_delay_alu instid0(VALU_DEP_1) | instskip(SKIP_4) | instid1(VALU_DEP_1)
	v_mov_b32_e32 v131, v127
	ds_load_2addr_b64 v[126:129], v120 offset0:40 offset1:41
	v_pk_add_f32 v[16:17], v[16:17], v[130:131] neg_lo:[0,1] neg_hi:[0,1]
	s_wait_dscnt 0x0
	v_pk_mul_f32 v[130:131], v[126:127], v[118:119] op_sel:[0,1]
	v_pk_fma_f32 v[132:133], v[126:127], v[116:117], v[130:131] op_sel:[0,0,1] op_sel_hi:[1,1,0] neg_lo:[0,0,1] neg_hi:[0,0,1]
	v_pk_fma_f32 v[126:127], v[126:127], v[116:117], v[130:131] op_sel:[0,0,1] op_sel_hi:[1,0,0]
	s_delay_alu instid0(VALU_DEP_1) | instskip(SKIP_1) | instid1(VALU_DEP_1)
	v_mov_b32_e32 v133, v127
	v_pk_mul_f32 v[126:127], v[128:129], v[118:119] op_sel:[0,1]
	v_pk_fma_f32 v[130:131], v[128:129], v[116:117], v[126:127] op_sel:[0,0,1] op_sel_hi:[1,1,0] neg_lo:[0,0,1] neg_hi:[0,0,1]
	v_pk_fma_f32 v[126:127], v[128:129], v[116:117], v[126:127] op_sel:[0,0,1] op_sel_hi:[1,0,0]
	s_delay_alu instid0(VALU_DEP_1)
	v_mov_b32_e32 v131, v127
	ds_load_2addr_b64 v[126:129], v120 offset0:42 offset1:43
	v_pk_add_f32 v[68:69], v[68:69], v[132:133] neg_lo:[0,1] neg_hi:[0,1]
	v_pk_add_f32 v[66:67], v[66:67], v[130:131] neg_lo:[0,1] neg_hi:[0,1]
	s_wait_dscnt 0x0
	v_pk_mul_f32 v[130:131], v[126:127], v[118:119] op_sel:[0,1]
	s_delay_alu instid0(VALU_DEP_1) | instskip(SKIP_1) | instid1(VALU_DEP_1)
	v_pk_fma_f32 v[132:133], v[126:127], v[116:117], v[130:131] op_sel:[0,0,1] op_sel_hi:[1,1,0] neg_lo:[0,0,1] neg_hi:[0,0,1]
	v_pk_fma_f32 v[126:127], v[126:127], v[116:117], v[130:131] op_sel:[0,0,1] op_sel_hi:[1,0,0]
	v_mov_b32_e32 v133, v127
	v_pk_mul_f32 v[126:127], v[128:129], v[118:119] op_sel:[0,1]
	s_delay_alu instid0(VALU_DEP_1) | instskip(SKIP_1) | instid1(VALU_DEP_1)
	v_pk_fma_f32 v[130:131], v[128:129], v[116:117], v[126:127] op_sel:[0,0,1] op_sel_hi:[1,1,0] neg_lo:[0,0,1] neg_hi:[0,0,1]
	v_pk_fma_f32 v[126:127], v[128:129], v[116:117], v[126:127] op_sel:[0,0,1] op_sel_hi:[1,0,0]
	v_mov_b32_e32 v131, v127
	ds_load_2addr_b64 v[126:129], v120 offset0:44 offset1:45
	v_pk_add_f32 v[14:15], v[14:15], v[132:133] neg_lo:[0,1] neg_hi:[0,1]
	v_pk_add_f32 v[12:13], v[12:13], v[130:131] neg_lo:[0,1] neg_hi:[0,1]
	s_wait_dscnt 0x0
	v_dual_mul_f32 v130, v127, v119 :: v_dual_mul_f32 v132, v127, v116
	s_delay_alu instid0(VALU_DEP_1) | instskip(NEXT) | instid1(VALU_DEP_2)
	v_pk_fma_f32 v[130:131], v[126:127], v[54:55], v[130:131] op_sel_hi:[1,1,0] neg_lo:[0,0,1] neg_hi:[0,0,1]
	v_pk_fma_f32 v[126:127], v[126:127], v[54:55], v[132:133] op_sel:[1,0,0] op_sel_hi:[0,1,0]
	s_delay_alu instid0(VALU_DEP_1) | instskip(SKIP_1) | instid1(VALU_DEP_2)
	v_mov_b32_e32 v131, v127
	v_pk_mul_f32 v[126:127], v[128:129], v[118:119] op_sel:[0,1]
	v_pk_add_f32 v[64:65], v[64:65], v[130:131] neg_lo:[0,1] neg_hi:[0,1]
	s_delay_alu instid0(VALU_DEP_2) | instskip(SKIP_1) | instid1(VALU_DEP_1)
	v_pk_fma_f32 v[130:131], v[128:129], v[116:117], v[126:127] op_sel:[0,0,1] op_sel_hi:[1,1,0] neg_lo:[0,0,1] neg_hi:[0,0,1]
	v_pk_fma_f32 v[126:127], v[128:129], v[116:117], v[126:127] op_sel:[0,0,1] op_sel_hi:[1,0,0]
	v_mov_b32_e32 v131, v127
	ds_load_2addr_b64 v[126:129], v120 offset0:46 offset1:47
	v_pk_add_f32 v[62:63], v[62:63], v[130:131] neg_lo:[0,1] neg_hi:[0,1]
	s_wait_dscnt 0x0
	v_pk_mul_f32 v[130:131], v[126:127], v[118:119] op_sel:[0,1]
	s_delay_alu instid0(VALU_DEP_1) | instskip(SKIP_1) | instid1(VALU_DEP_1)
	v_pk_fma_f32 v[132:133], v[126:127], v[116:117], v[130:131] op_sel:[0,0,1] op_sel_hi:[1,1,0] neg_lo:[0,0,1] neg_hi:[0,0,1]
	v_pk_fma_f32 v[126:127], v[126:127], v[116:117], v[130:131] op_sel:[0,0,1] op_sel_hi:[1,0,0]
	v_mov_b32_e32 v133, v127
	v_pk_mul_f32 v[126:127], v[128:129], v[118:119] op_sel:[0,1]
	s_delay_alu instid0(VALU_DEP_2) | instskip(NEXT) | instid1(VALU_DEP_2)
	v_pk_add_f32 v[10:11], v[10:11], v[132:133] neg_lo:[0,1] neg_hi:[0,1]
	v_pk_fma_f32 v[130:131], v[128:129], v[116:117], v[126:127] op_sel:[0,0,1] op_sel_hi:[1,1,0] neg_lo:[0,0,1] neg_hi:[0,0,1]
	v_pk_fma_f32 v[126:127], v[128:129], v[116:117], v[126:127] op_sel:[0,0,1] op_sel_hi:[1,0,0]
	s_delay_alu instid0(VALU_DEP_1) | instskip(SKIP_4) | instid1(VALU_DEP_1)
	v_mov_b32_e32 v131, v127
	ds_load_2addr_b64 v[126:129], v120 offset0:48 offset1:49
	v_pk_add_f32 v[6:7], v[6:7], v[130:131] neg_lo:[0,1] neg_hi:[0,1]
	s_wait_dscnt 0x0
	v_pk_mul_f32 v[130:131], v[126:127], v[118:119] op_sel:[0,1]
	v_pk_fma_f32 v[132:133], v[126:127], v[116:117], v[130:131] op_sel:[0,0,1] op_sel_hi:[1,1,0] neg_lo:[0,0,1] neg_hi:[0,0,1]
	v_pk_fma_f32 v[126:127], v[126:127], v[116:117], v[130:131] op_sel:[0,0,1] op_sel_hi:[1,0,0]
	v_dual_mul_f32 v130, v129, v119 :: v_dual_mov_b32 v126, v129
	s_delay_alu instid0(VALU_DEP_2) | instskip(NEXT) | instid1(VALU_DEP_2)
	v_dual_mov_b32 v133, v127 :: v_dual_mov_b32 v127, v128
	v_pk_fma_f32 v[130:131], v[128:129], v[54:55], v[130:131] op_sel_hi:[1,1,0] neg_lo:[0,0,1] neg_hi:[0,0,1]
	v_mul_f32_e32 v128, v129, v116
	s_delay_alu instid0(VALU_DEP_3) | instskip(NEXT) | instid1(VALU_DEP_2)
	v_pk_add_f32 v[52:53], v[52:53], v[132:133] neg_lo:[0,1] neg_hi:[0,1]
	v_pk_fma_f32 v[126:127], v[126:127], v[54:55], v[128:129] op_sel_hi:[1,1,0]
	s_delay_alu instid0(VALU_DEP_1) | instskip(SKIP_4) | instid1(VALU_DEP_1)
	v_mov_b32_e32 v131, v127
	ds_load_2addr_b64 v[126:129], v120 offset0:50 offset1:51
	v_pk_add_f32 v[50:51], v[50:51], v[130:131] neg_lo:[0,1] neg_hi:[0,1]
	s_wait_dscnt 0x0
	v_pk_mul_f32 v[130:131], v[126:127], v[118:119] op_sel:[0,1]
	v_pk_fma_f32 v[132:133], v[126:127], v[116:117], v[130:131] op_sel:[0,0,1] op_sel_hi:[1,1,0] neg_lo:[0,0,1] neg_hi:[0,0,1]
	v_pk_fma_f32 v[126:127], v[126:127], v[116:117], v[130:131] op_sel:[0,0,1] op_sel_hi:[1,0,0]
	s_delay_alu instid0(VALU_DEP_1) | instskip(SKIP_1) | instid1(VALU_DEP_1)
	v_mov_b32_e32 v133, v127
	v_pk_mul_f32 v[126:127], v[128:129], v[118:119] op_sel:[0,1]
	v_pk_fma_f32 v[130:131], v[128:129], v[116:117], v[126:127] op_sel:[0,0,1] op_sel_hi:[1,1,0] neg_lo:[0,0,1] neg_hi:[0,0,1]
	v_pk_fma_f32 v[126:127], v[128:129], v[116:117], v[126:127] op_sel:[0,0,1] op_sel_hi:[1,0,0]
	s_delay_alu instid0(VALU_DEP_1)
	v_mov_b32_e32 v131, v127
	ds_load_2addr_b64 v[126:129], v120 offset0:52 offset1:53
	v_pk_add_f32 v[8:9], v[8:9], v[132:133] neg_lo:[0,1] neg_hi:[0,1]
	v_pk_add_f32 v[30:31], v[30:31], v[130:131] neg_lo:[0,1] neg_hi:[0,1]
	s_wait_dscnt 0x0
	v_pk_mul_f32 v[130:131], v[126:127], v[118:119] op_sel:[0,1]
	s_delay_alu instid0(VALU_DEP_1) | instskip(SKIP_1) | instid1(VALU_DEP_1)
	v_pk_fma_f32 v[132:133], v[126:127], v[116:117], v[130:131] op_sel:[0,0,1] op_sel_hi:[1,1,0] neg_lo:[0,0,1] neg_hi:[0,0,1]
	v_pk_fma_f32 v[126:127], v[126:127], v[116:117], v[130:131] op_sel:[0,0,1] op_sel_hi:[1,0,0]
	v_mov_b32_e32 v133, v127
	v_pk_mul_f32 v[126:127], v[128:129], v[118:119] op_sel:[0,1]
	s_delay_alu instid0(VALU_DEP_1) | instskip(SKIP_1) | instid1(VALU_DEP_1)
	v_pk_fma_f32 v[130:131], v[128:129], v[116:117], v[126:127] op_sel:[0,0,1] op_sel_hi:[1,1,0] neg_lo:[0,0,1] neg_hi:[0,0,1]
	v_pk_fma_f32 v[126:127], v[128:129], v[116:117], v[126:127] op_sel:[0,0,1] op_sel_hi:[1,0,0]
	v_mov_b32_e32 v131, v127
	ds_load_b64 v[126:127], v120 offset:432
	v_pk_add_f32 v[34:35], v[34:35], v[132:133] neg_lo:[0,1] neg_hi:[0,1]
	v_pk_add_f32 v[24:25], v[24:25], v[130:131] neg_lo:[0,1] neg_hi:[0,1]
	s_wait_dscnt 0x0
	v_pk_mul_f32 v[118:119], v[126:127], v[118:119] op_sel:[0,1]
	s_delay_alu instid0(VALU_DEP_1) | instskip(SKIP_1) | instid1(VALU_DEP_1)
	v_pk_fma_f32 v[128:129], v[126:127], v[116:117], v[118:119] op_sel:[0,0,1] op_sel_hi:[1,1,0] neg_lo:[0,0,1] neg_hi:[0,0,1]
	v_pk_fma_f32 v[116:117], v[126:127], v[116:117], v[118:119] op_sel:[0,0,1] op_sel_hi:[1,0,0]
	v_mov_b32_e32 v129, v117
	s_delay_alu instid0(VALU_DEP_1)
	v_pk_add_f32 v[114:115], v[114:115], v[128:129] neg_lo:[0,1] neg_hi:[0,1]
.LBB108_335:
	s_or_b32 exec_lo, exec_lo, s0
	v_lshl_add_u32 v116, v124, 3, v120
	s_barrier_signal -1
	s_barrier_wait -1
	ds_store_b64 v116, v[92:93]
	s_wait_dscnt 0x0
	s_barrier_signal -1
	s_barrier_wait -1
	ds_load_b64 v[118:119], v120 offset:128
	v_mov_b32_e32 v116, 16
	s_cmp_lt_i32 s18, 18
	s_cbranch_scc1 .LBB108_338
; %bb.336:
	v_add3_u32 v117, v121, 0, 0x88
	v_mov_b32_e32 v116, 16
	s_mov_b32 s0, 17
.LBB108_337:                            ; =>This Inner Loop Header: Depth=1
	ds_load_b64 v[126:127], v117
	s_wait_dscnt 0x1
	v_cmp_gt_f32_e32 vcc_lo, 0, v118
	v_cndmask_b32_e64 v128, v118, -v118, vcc_lo
	v_cmp_gt_f32_e32 vcc_lo, 0, v119
	v_cndmask_b32_e64 v130, v119, -v119, vcc_lo
	s_wait_dscnt 0x0
	v_cmp_gt_f32_e32 vcc_lo, 0, v126
	v_cndmask_b32_e64 v129, v126, -v126, vcc_lo
	v_cmp_gt_f32_e32 vcc_lo, 0, v127
	v_cndmask_b32_e64 v131, v127, -v127, vcc_lo
	s_delay_alu instid0(VALU_DEP_1) | instskip(NEXT) | instid1(VALU_DEP_1)
	v_pk_add_f32 v[128:129], v[128:129], v[130:131]
	v_cmp_lt_f32_e32 vcc_lo, v128, v129
	v_dual_add_nc_u32 v117, 8, v117 :: v_dual_cndmask_b32 v119, v119, v127, vcc_lo
	v_cndmask_b32_e32 v118, v118, v126, vcc_lo
	v_cndmask_b32_e64 v116, v116, s0, vcc_lo
	s_add_co_i32 s0, s0, 1
	s_delay_alu instid0(SALU_CYCLE_1)
	s_cmp_lg_u32 s18, s0
	s_cbranch_scc1 .LBB108_337
.LBB108_338:
	s_wait_dscnt 0x0
	v_cmp_eq_f32_e32 vcc_lo, 0, v118
	v_cmp_eq_f32_e64 s0, 0, v119
	s_and_b32 s0, vcc_lo, s0
	s_delay_alu instid0(SALU_CYCLE_1) | instskip(NEXT) | instid1(SALU_CYCLE_1)
	s_and_saveexec_b32 s1, s0
	s_xor_b32 s0, exec_lo, s1
; %bb.339:
	v_cmp_ne_u32_e32 vcc_lo, 0, v122
	v_cndmask_b32_e32 v122, 17, v122, vcc_lo
; %bb.340:
	s_and_not1_saveexec_b32 s0, s0
	s_cbranch_execz .LBB108_346
; %bb.341:
	v_cmp_ngt_f32_e64 s1, |v118|, |v119|
	s_and_saveexec_b32 s12, s1
	s_delay_alu instid0(SALU_CYCLE_1)
	s_xor_b32 s1, exec_lo, s12
	s_cbranch_execz .LBB108_343
; %bb.342:
	v_div_scale_f32 v117, null, v119, v119, v118
	v_div_scale_f32 v127, vcc_lo, v118, v119, v118
	s_delay_alu instid0(VALU_DEP_2) | instskip(SKIP_1) | instid1(TRANS32_DEP_1)
	v_rcp_f32_e32 v125, v117
	v_nop
	v_fma_f32 v126, -v117, v125, 1.0
	s_delay_alu instid0(VALU_DEP_1) | instskip(NEXT) | instid1(VALU_DEP_1)
	v_fmac_f32_e32 v125, v126, v125
	v_mul_f32_e32 v126, v127, v125
	s_delay_alu instid0(VALU_DEP_1) | instskip(NEXT) | instid1(VALU_DEP_1)
	v_fma_f32 v128, -v117, v126, v127
	v_fmac_f32_e32 v126, v128, v125
	s_delay_alu instid0(VALU_DEP_1) | instskip(NEXT) | instid1(VALU_DEP_1)
	v_fma_f32 v117, -v117, v126, v127
	v_div_fmas_f32 v117, v117, v125, v126
	s_delay_alu instid0(VALU_DEP_1) | instskip(NEXT) | instid1(VALU_DEP_1)
	v_div_fixup_f32 v117, v117, v119, v118
	v_fmac_f32_e32 v119, v118, v117
	s_delay_alu instid0(VALU_DEP_1) | instskip(SKIP_1) | instid1(VALU_DEP_2)
	v_div_scale_f32 v118, null, v119, v119, 1.0
	v_div_scale_f32 v127, vcc_lo, 1.0, v119, 1.0
	v_rcp_f32_e32 v125, v118
	v_nop
	s_delay_alu instid0(TRANS32_DEP_1) | instskip(NEXT) | instid1(VALU_DEP_1)
	v_fma_f32 v126, -v118, v125, 1.0
	v_fmac_f32_e32 v125, v126, v125
	s_delay_alu instid0(VALU_DEP_1) | instskip(NEXT) | instid1(VALU_DEP_1)
	v_mul_f32_e32 v126, v127, v125
	v_fma_f32 v128, -v118, v126, v127
	s_delay_alu instid0(VALU_DEP_1) | instskip(NEXT) | instid1(VALU_DEP_1)
	v_fmac_f32_e32 v126, v128, v125
	v_fma_f32 v118, -v118, v126, v127
	s_delay_alu instid0(VALU_DEP_1) | instskip(NEXT) | instid1(VALU_DEP_1)
	v_div_fmas_f32 v118, v118, v125, v126
	v_div_fixup_f32 v119, v118, v119, 1.0
	s_delay_alu instid0(VALU_DEP_1)
	v_mul_f32_e32 v118, v117, v119
	v_xor_b32_e32 v119, 0x80000000, v119
.LBB108_343:
	s_and_not1_saveexec_b32 s1, s1
	s_cbranch_execz .LBB108_345
; %bb.344:
	s_delay_alu instid0(VALU_DEP_1) | instskip(SKIP_1) | instid1(VALU_DEP_2)
	v_div_scale_f32 v117, null, v118, v118, v119
	v_div_scale_f32 v127, vcc_lo, v119, v118, v119
	v_rcp_f32_e32 v125, v117
	v_nop
	s_delay_alu instid0(TRANS32_DEP_1) | instskip(NEXT) | instid1(VALU_DEP_1)
	v_fma_f32 v126, -v117, v125, 1.0
	v_fmac_f32_e32 v125, v126, v125
	s_delay_alu instid0(VALU_DEP_1) | instskip(NEXT) | instid1(VALU_DEP_1)
	v_mul_f32_e32 v126, v127, v125
	v_fma_f32 v128, -v117, v126, v127
	s_delay_alu instid0(VALU_DEP_1) | instskip(NEXT) | instid1(VALU_DEP_1)
	v_fmac_f32_e32 v126, v128, v125
	v_fma_f32 v117, -v117, v126, v127
	s_delay_alu instid0(VALU_DEP_1) | instskip(NEXT) | instid1(VALU_DEP_1)
	v_div_fmas_f32 v117, v117, v125, v126
	v_div_fixup_f32 v117, v117, v118, v119
	s_delay_alu instid0(VALU_DEP_1) | instskip(NEXT) | instid1(VALU_DEP_1)
	v_fmac_f32_e32 v118, v119, v117
	v_div_scale_f32 v119, null, v118, v118, 1.0
	s_delay_alu instid0(VALU_DEP_1) | instskip(SKIP_1) | instid1(TRANS32_DEP_1)
	v_rcp_f32_e32 v125, v119
	v_nop
	v_fma_f32 v126, -v119, v125, 1.0
	s_delay_alu instid0(VALU_DEP_1) | instskip(SKIP_1) | instid1(VALU_DEP_1)
	v_fmac_f32_e32 v125, v126, v125
	v_div_scale_f32 v126, vcc_lo, 1.0, v118, 1.0
	v_mul_f32_e32 v127, v126, v125
	s_delay_alu instid0(VALU_DEP_1) | instskip(NEXT) | instid1(VALU_DEP_1)
	v_fma_f32 v128, -v119, v127, v126
	v_fmac_f32_e32 v127, v128, v125
	s_delay_alu instid0(VALU_DEP_1) | instskip(NEXT) | instid1(VALU_DEP_1)
	v_fma_f32 v119, -v119, v127, v126
	v_div_fmas_f32 v119, v119, v125, v127
	s_delay_alu instid0(VALU_DEP_1) | instskip(NEXT) | instid1(VALU_DEP_1)
	v_div_fixup_f32 v118, v119, v118, 1.0
	v_mul_f32_e64 v119, v117, -v118
.LBB108_345:
	s_or_b32 exec_lo, exec_lo, s1
.LBB108_346:
	s_delay_alu instid0(SALU_CYCLE_1) | instskip(NEXT) | instid1(SALU_CYCLE_1)
	s_or_b32 exec_lo, exec_lo, s0
	s_mov_b32 s0, exec_lo
	v_cmpx_ne_u32_e64 v124, v116
	s_xor_b32 s0, exec_lo, s0
	s_cbranch_execz .LBB108_352
; %bb.347:
	s_mov_b32 s1, exec_lo
	v_cmpx_eq_u32_e32 16, v124
	s_cbranch_execz .LBB108_351
; %bb.348:
	v_cmp_ne_u32_e32 vcc_lo, 16, v116
	s_xor_b32 s12, s16, -1
	s_delay_alu instid0(SALU_CYCLE_1) | instskip(NEXT) | instid1(SALU_CYCLE_1)
	s_and_b32 s13, s12, vcc_lo
	s_and_saveexec_b32 s12, s13
	s_cbranch_execz .LBB108_350
; %bb.349:
	v_ashrrev_i32_e32 v117, 31, v116
	s_delay_alu instid0(VALU_DEP_1)
	v_lshl_add_u64 v[124:125], v[116:117], 2, v[4:5]
	s_clause 0x1
	global_load_b32 v117, v[124:125], off
	global_load_b32 v123, v[4:5], off offset:64
	s_wait_loadcnt 0x1
	global_store_b32 v[4:5], v117, off offset:64
	s_wait_loadcnt 0x0
	global_store_b32 v[124:125], v123, off
.LBB108_350:
	s_wait_xcnt 0x0
	s_or_b32 exec_lo, exec_lo, s12
	v_dual_mov_b32 v124, v116 :: v_dual_mov_b32 v123, v116
.LBB108_351:
	s_or_b32 exec_lo, exec_lo, s1
.LBB108_352:
	s_and_not1_saveexec_b32 s0, s0
	s_cbranch_execz .LBB108_354
; %bb.353:
	v_mov_b32_e32 v124, 16
	ds_store_2addr_b64 v120, v[90:91], v[44:45] offset0:17 offset1:18
	ds_store_2addr_b64 v120, v[42:43], v[88:89] offset0:19 offset1:20
	;; [unrolled: 1-line block ×19, first 2 shown]
.LBB108_354:
	s_or_b32 exec_lo, exec_lo, s0
	s_delay_alu instid0(SALU_CYCLE_1)
	s_mov_b32 s0, exec_lo
	s_wait_storecnt_dscnt 0x0
	s_barrier_signal -1
	s_barrier_wait -1
	v_cmpx_lt_i32_e32 16, v124
	s_cbranch_execz .LBB108_356
; %bb.355:
	v_pk_mul_f32 v[126:127], v[118:119], v[92:93] op_sel:[1,1] op_sel_hi:[0,1]
	s_delay_alu instid0(VALU_DEP_1)
	v_pk_fma_f32 v[116:117], v[118:119], v[92:93], v[126:127] op_sel_hi:[1,0,1] neg_lo:[0,0,1] neg_hi:[0,0,1]
	v_pk_fma_f32 v[118:119], v[118:119], v[92:93], v[126:127] op_sel_hi:[1,0,1]
	ds_load_2addr_b64 v[126:129], v120 offset0:17 offset1:18
	v_dual_mov_b32 v92, v116 :: v_dual_mov_b32 v93, v119
	s_wait_dscnt 0x0
	v_pk_mul_f32 v[130:131], v[126:127], v[118:119] op_sel:[0,1]
	s_delay_alu instid0(VALU_DEP_1) | instskip(SKIP_1) | instid1(VALU_DEP_1)
	v_pk_fma_f32 v[132:133], v[126:127], v[116:117], v[130:131] op_sel:[0,0,1] op_sel_hi:[1,1,0] neg_lo:[0,0,1] neg_hi:[0,0,1]
	v_pk_fma_f32 v[126:127], v[126:127], v[116:117], v[130:131] op_sel:[0,0,1] op_sel_hi:[1,0,0]
	v_mov_b32_e32 v133, v127
	v_pk_mul_f32 v[126:127], v[128:129], v[118:119] op_sel:[0,1]
	s_delay_alu instid0(VALU_DEP_1) | instskip(SKIP_1) | instid1(VALU_DEP_1)
	v_pk_fma_f32 v[130:131], v[128:129], v[116:117], v[126:127] op_sel:[0,0,1] op_sel_hi:[1,1,0] neg_lo:[0,0,1] neg_hi:[0,0,1]
	v_pk_fma_f32 v[126:127], v[128:129], v[116:117], v[126:127] op_sel:[0,0,1] op_sel_hi:[1,0,0]
	v_mov_b32_e32 v131, v127
	ds_load_2addr_b64 v[126:129], v120 offset0:19 offset1:20
	v_pk_add_f32 v[90:91], v[90:91], v[132:133] neg_lo:[0,1] neg_hi:[0,1]
	v_pk_add_f32 v[44:45], v[44:45], v[130:131] neg_lo:[0,1] neg_hi:[0,1]
	s_wait_dscnt 0x0
	v_pk_mul_f32 v[130:131], v[126:127], v[118:119] op_sel:[0,1]
	s_delay_alu instid0(VALU_DEP_1) | instskip(SKIP_2) | instid1(VALU_DEP_2)
	v_pk_fma_f32 v[132:133], v[126:127], v[116:117], v[130:131] op_sel:[0,0,1] op_sel_hi:[1,1,0] neg_lo:[0,0,1] neg_hi:[0,0,1]
	v_pk_fma_f32 v[126:127], v[126:127], v[116:117], v[130:131] op_sel:[0,0,1] op_sel_hi:[1,0,0]
	v_dual_mul_f32 v130, v129, v119 :: v_dual_mov_b32 v126, v129
	v_dual_mov_b32 v133, v127 :: v_dual_mov_b32 v127, v128
	s_delay_alu instid0(VALU_DEP_2) | instskip(SKIP_1) | instid1(VALU_DEP_3)
	v_pk_fma_f32 v[130:131], v[128:129], v[92:93], v[130:131] op_sel_hi:[1,1,0] neg_lo:[0,0,1] neg_hi:[0,0,1]
	v_mul_f32_e32 v128, v129, v116
	v_pk_add_f32 v[42:43], v[42:43], v[132:133] neg_lo:[0,1] neg_hi:[0,1]
	s_delay_alu instid0(VALU_DEP_2) | instskip(NEXT) | instid1(VALU_DEP_1)
	v_pk_fma_f32 v[126:127], v[126:127], v[92:93], v[128:129] op_sel_hi:[1,1,0]
	v_mov_b32_e32 v131, v127
	ds_load_2addr_b64 v[126:129], v120 offset0:21 offset1:22
	v_pk_add_f32 v[88:89], v[88:89], v[130:131] neg_lo:[0,1] neg_hi:[0,1]
	s_wait_dscnt 0x0
	v_pk_mul_f32 v[130:131], v[126:127], v[118:119] op_sel:[0,1]
	s_delay_alu instid0(VALU_DEP_1) | instskip(SKIP_1) | instid1(VALU_DEP_1)
	v_pk_fma_f32 v[132:133], v[126:127], v[116:117], v[130:131] op_sel:[0,0,1] op_sel_hi:[1,1,0] neg_lo:[0,0,1] neg_hi:[0,0,1]
	v_pk_fma_f32 v[126:127], v[126:127], v[116:117], v[130:131] op_sel:[0,0,1] op_sel_hi:[1,0,0]
	v_mov_b32_e32 v133, v127
	v_pk_mul_f32 v[126:127], v[128:129], v[118:119] op_sel:[0,1]
	s_delay_alu instid0(VALU_DEP_1) | instskip(SKIP_1) | instid1(VALU_DEP_1)
	v_pk_fma_f32 v[130:131], v[128:129], v[116:117], v[126:127] op_sel:[0,0,1] op_sel_hi:[1,1,0] neg_lo:[0,0,1] neg_hi:[0,0,1]
	v_pk_fma_f32 v[126:127], v[128:129], v[116:117], v[126:127] op_sel:[0,0,1] op_sel_hi:[1,0,0]
	v_mov_b32_e32 v131, v127
	ds_load_2addr_b64 v[126:129], v120 offset0:23 offset1:24
	v_pk_add_f32 v[86:87], v[86:87], v[132:133] neg_lo:[0,1] neg_hi:[0,1]
	v_pk_add_f32 v[40:41], v[40:41], v[130:131] neg_lo:[0,1] neg_hi:[0,1]
	s_wait_dscnt 0x0
	v_pk_mul_f32 v[130:131], v[126:127], v[118:119] op_sel:[0,1]
	s_delay_alu instid0(VALU_DEP_1) | instskip(SKIP_1) | instid1(VALU_DEP_1)
	v_pk_fma_f32 v[132:133], v[126:127], v[116:117], v[130:131] op_sel:[0,0,1] op_sel_hi:[1,1,0] neg_lo:[0,0,1] neg_hi:[0,0,1]
	v_pk_fma_f32 v[126:127], v[126:127], v[116:117], v[130:131] op_sel:[0,0,1] op_sel_hi:[1,0,0]
	v_mov_b32_e32 v133, v127
	v_pk_mul_f32 v[126:127], v[128:129], v[118:119] op_sel:[0,1]
	s_delay_alu instid0(VALU_DEP_1) | instskip(SKIP_1) | instid1(VALU_DEP_1)
	v_pk_fma_f32 v[130:131], v[128:129], v[116:117], v[126:127] op_sel:[0,0,1] op_sel_hi:[1,1,0] neg_lo:[0,0,1] neg_hi:[0,0,1]
	v_pk_fma_f32 v[126:127], v[128:129], v[116:117], v[126:127] op_sel:[0,0,1] op_sel_hi:[1,0,0]
	v_mov_b32_e32 v131, v127
	ds_load_2addr_b64 v[126:129], v120 offset0:25 offset1:26
	v_pk_add_f32 v[38:39], v[38:39], v[132:133] neg_lo:[0,1] neg_hi:[0,1]
	v_pk_add_f32 v[84:85], v[84:85], v[130:131] neg_lo:[0,1] neg_hi:[0,1]
	s_wait_dscnt 0x0
	v_dual_mul_f32 v130, v127, v119 :: v_dual_mul_f32 v132, v127, v116
	s_delay_alu instid0(VALU_DEP_1) | instskip(NEXT) | instid1(VALU_DEP_2)
	v_pk_fma_f32 v[130:131], v[126:127], v[92:93], v[130:131] op_sel_hi:[1,1,0] neg_lo:[0,0,1] neg_hi:[0,0,1]
	v_pk_fma_f32 v[126:127], v[126:127], v[92:93], v[132:133] op_sel:[1,0,0] op_sel_hi:[0,1,0]
	s_delay_alu instid0(VALU_DEP_1) | instskip(SKIP_1) | instid1(VALU_DEP_2)
	v_mov_b32_e32 v131, v127
	v_pk_mul_f32 v[126:127], v[128:129], v[118:119] op_sel:[0,1]
	v_pk_add_f32 v[82:83], v[82:83], v[130:131] neg_lo:[0,1] neg_hi:[0,1]
	s_delay_alu instid0(VALU_DEP_2) | instskip(SKIP_1) | instid1(VALU_DEP_1)
	v_pk_fma_f32 v[130:131], v[128:129], v[116:117], v[126:127] op_sel:[0,0,1] op_sel_hi:[1,1,0] neg_lo:[0,0,1] neg_hi:[0,0,1]
	v_pk_fma_f32 v[126:127], v[128:129], v[116:117], v[126:127] op_sel:[0,0,1] op_sel_hi:[1,0,0]
	v_mov_b32_e32 v131, v127
	ds_load_2addr_b64 v[126:129], v120 offset0:27 offset1:28
	v_pk_add_f32 v[36:37], v[36:37], v[130:131] neg_lo:[0,1] neg_hi:[0,1]
	s_wait_dscnt 0x0
	v_pk_mul_f32 v[130:131], v[126:127], v[118:119] op_sel:[0,1]
	s_delay_alu instid0(VALU_DEP_1) | instskip(SKIP_1) | instid1(VALU_DEP_1)
	v_pk_fma_f32 v[132:133], v[126:127], v[116:117], v[130:131] op_sel:[0,0,1] op_sel_hi:[1,1,0] neg_lo:[0,0,1] neg_hi:[0,0,1]
	v_pk_fma_f32 v[126:127], v[126:127], v[116:117], v[130:131] op_sel:[0,0,1] op_sel_hi:[1,0,0]
	v_mov_b32_e32 v133, v127
	v_pk_mul_f32 v[126:127], v[128:129], v[118:119] op_sel:[0,1]
	s_delay_alu instid0(VALU_DEP_2) | instskip(NEXT) | instid1(VALU_DEP_2)
	v_pk_add_f32 v[32:33], v[32:33], v[132:133] neg_lo:[0,1] neg_hi:[0,1]
	v_pk_fma_f32 v[130:131], v[128:129], v[116:117], v[126:127] op_sel:[0,0,1] op_sel_hi:[1,1,0] neg_lo:[0,0,1] neg_hi:[0,0,1]
	v_pk_fma_f32 v[126:127], v[128:129], v[116:117], v[126:127] op_sel:[0,0,1] op_sel_hi:[1,0,0]
	s_delay_alu instid0(VALU_DEP_1) | instskip(SKIP_4) | instid1(VALU_DEP_1)
	v_mov_b32_e32 v131, v127
	ds_load_2addr_b64 v[126:129], v120 offset0:29 offset1:30
	v_pk_add_f32 v[80:81], v[80:81], v[130:131] neg_lo:[0,1] neg_hi:[0,1]
	s_wait_dscnt 0x0
	v_pk_mul_f32 v[130:131], v[126:127], v[118:119] op_sel:[0,1]
	v_pk_fma_f32 v[132:133], v[126:127], v[116:117], v[130:131] op_sel:[0,0,1] op_sel_hi:[1,1,0] neg_lo:[0,0,1] neg_hi:[0,0,1]
	v_pk_fma_f32 v[126:127], v[126:127], v[116:117], v[130:131] op_sel:[0,0,1] op_sel_hi:[1,0,0]
	v_dual_mul_f32 v130, v129, v119 :: v_dual_mov_b32 v126, v129
	s_delay_alu instid0(VALU_DEP_2) | instskip(NEXT) | instid1(VALU_DEP_2)
	v_dual_mov_b32 v133, v127 :: v_dual_mov_b32 v127, v128
	v_pk_fma_f32 v[130:131], v[128:129], v[92:93], v[130:131] op_sel_hi:[1,1,0] neg_lo:[0,0,1] neg_hi:[0,0,1]
	v_mul_f32_e32 v128, v129, v116
	s_delay_alu instid0(VALU_DEP_3) | instskip(NEXT) | instid1(VALU_DEP_2)
	v_pk_add_f32 v[78:79], v[78:79], v[132:133] neg_lo:[0,1] neg_hi:[0,1]
	v_pk_fma_f32 v[126:127], v[126:127], v[92:93], v[128:129] op_sel_hi:[1,1,0]
	s_delay_alu instid0(VALU_DEP_1) | instskip(SKIP_4) | instid1(VALU_DEP_1)
	v_mov_b32_e32 v131, v127
	ds_load_2addr_b64 v[126:129], v120 offset0:31 offset1:32
	v_pk_add_f32 v[28:29], v[28:29], v[130:131] neg_lo:[0,1] neg_hi:[0,1]
	s_wait_dscnt 0x0
	v_pk_mul_f32 v[130:131], v[126:127], v[118:119] op_sel:[0,1]
	v_pk_fma_f32 v[132:133], v[126:127], v[116:117], v[130:131] op_sel:[0,0,1] op_sel_hi:[1,1,0] neg_lo:[0,0,1] neg_hi:[0,0,1]
	v_pk_fma_f32 v[126:127], v[126:127], v[116:117], v[130:131] op_sel:[0,0,1] op_sel_hi:[1,0,0]
	s_delay_alu instid0(VALU_DEP_1) | instskip(SKIP_1) | instid1(VALU_DEP_1)
	v_mov_b32_e32 v133, v127
	v_pk_mul_f32 v[126:127], v[128:129], v[118:119] op_sel:[0,1]
	v_pk_fma_f32 v[130:131], v[128:129], v[116:117], v[126:127] op_sel:[0,0,1] op_sel_hi:[1,1,0] neg_lo:[0,0,1] neg_hi:[0,0,1]
	v_pk_fma_f32 v[126:127], v[128:129], v[116:117], v[126:127] op_sel:[0,0,1] op_sel_hi:[1,0,0]
	s_delay_alu instid0(VALU_DEP_1)
	v_mov_b32_e32 v131, v127
	ds_load_2addr_b64 v[126:129], v120 offset0:33 offset1:34
	v_pk_add_f32 v[26:27], v[26:27], v[132:133] neg_lo:[0,1] neg_hi:[0,1]
	v_pk_add_f32 v[76:77], v[76:77], v[130:131] neg_lo:[0,1] neg_hi:[0,1]
	s_wait_dscnt 0x0
	v_pk_mul_f32 v[130:131], v[126:127], v[118:119] op_sel:[0,1]
	s_delay_alu instid0(VALU_DEP_1) | instskip(SKIP_1) | instid1(VALU_DEP_1)
	v_pk_fma_f32 v[132:133], v[126:127], v[116:117], v[130:131] op_sel:[0,0,1] op_sel_hi:[1,1,0] neg_lo:[0,0,1] neg_hi:[0,0,1]
	v_pk_fma_f32 v[126:127], v[126:127], v[116:117], v[130:131] op_sel:[0,0,1] op_sel_hi:[1,0,0]
	v_mov_b32_e32 v133, v127
	v_pk_mul_f32 v[126:127], v[128:129], v[118:119] op_sel:[0,1]
	s_delay_alu instid0(VALU_DEP_1) | instskip(SKIP_1) | instid1(VALU_DEP_1)
	v_pk_fma_f32 v[130:131], v[128:129], v[116:117], v[126:127] op_sel:[0,0,1] op_sel_hi:[1,1,0] neg_lo:[0,0,1] neg_hi:[0,0,1]
	v_pk_fma_f32 v[126:127], v[128:129], v[116:117], v[126:127] op_sel:[0,0,1] op_sel_hi:[1,0,0]
	v_mov_b32_e32 v131, v127
	ds_load_2addr_b64 v[126:129], v120 offset0:35 offset1:36
	v_pk_add_f32 v[74:75], v[74:75], v[132:133] neg_lo:[0,1] neg_hi:[0,1]
	v_pk_add_f32 v[22:23], v[22:23], v[130:131] neg_lo:[0,1] neg_hi:[0,1]
	s_wait_dscnt 0x0
	v_dual_mul_f32 v130, v127, v119 :: v_dual_mul_f32 v132, v127, v116
	s_delay_alu instid0(VALU_DEP_1) | instskip(NEXT) | instid1(VALU_DEP_2)
	v_pk_fma_f32 v[130:131], v[126:127], v[92:93], v[130:131] op_sel_hi:[1,1,0] neg_lo:[0,0,1] neg_hi:[0,0,1]
	v_pk_fma_f32 v[126:127], v[126:127], v[92:93], v[132:133] op_sel:[1,0,0] op_sel_hi:[0,1,0]
	s_delay_alu instid0(VALU_DEP_1) | instskip(SKIP_1) | instid1(VALU_DEP_2)
	v_mov_b32_e32 v131, v127
	v_pk_mul_f32 v[126:127], v[128:129], v[118:119] op_sel:[0,1]
	v_pk_add_f32 v[20:21], v[20:21], v[130:131] neg_lo:[0,1] neg_hi:[0,1]
	s_delay_alu instid0(VALU_DEP_2) | instskip(SKIP_1) | instid1(VALU_DEP_1)
	v_pk_fma_f32 v[130:131], v[128:129], v[116:117], v[126:127] op_sel:[0,0,1] op_sel_hi:[1,1,0] neg_lo:[0,0,1] neg_hi:[0,0,1]
	v_pk_fma_f32 v[126:127], v[128:129], v[116:117], v[126:127] op_sel:[0,0,1] op_sel_hi:[1,0,0]
	v_mov_b32_e32 v131, v127
	ds_load_2addr_b64 v[126:129], v120 offset0:37 offset1:38
	v_pk_add_f32 v[72:73], v[72:73], v[130:131] neg_lo:[0,1] neg_hi:[0,1]
	s_wait_dscnt 0x0
	v_pk_mul_f32 v[130:131], v[126:127], v[118:119] op_sel:[0,1]
	s_delay_alu instid0(VALU_DEP_1) | instskip(SKIP_1) | instid1(VALU_DEP_1)
	v_pk_fma_f32 v[132:133], v[126:127], v[116:117], v[130:131] op_sel:[0,0,1] op_sel_hi:[1,1,0] neg_lo:[0,0,1] neg_hi:[0,0,1]
	v_pk_fma_f32 v[126:127], v[126:127], v[116:117], v[130:131] op_sel:[0,0,1] op_sel_hi:[1,0,0]
	v_mov_b32_e32 v133, v127
	v_pk_mul_f32 v[126:127], v[128:129], v[118:119] op_sel:[0,1]
	s_delay_alu instid0(VALU_DEP_2) | instskip(NEXT) | instid1(VALU_DEP_2)
	v_pk_add_f32 v[70:71], v[70:71], v[132:133] neg_lo:[0,1] neg_hi:[0,1]
	v_pk_fma_f32 v[130:131], v[128:129], v[116:117], v[126:127] op_sel:[0,0,1] op_sel_hi:[1,1,0] neg_lo:[0,0,1] neg_hi:[0,0,1]
	v_pk_fma_f32 v[126:127], v[128:129], v[116:117], v[126:127] op_sel:[0,0,1] op_sel_hi:[1,0,0]
	s_delay_alu instid0(VALU_DEP_1) | instskip(SKIP_4) | instid1(VALU_DEP_1)
	v_mov_b32_e32 v131, v127
	ds_load_2addr_b64 v[126:129], v120 offset0:39 offset1:40
	v_pk_add_f32 v[18:19], v[18:19], v[130:131] neg_lo:[0,1] neg_hi:[0,1]
	s_wait_dscnt 0x0
	v_pk_mul_f32 v[130:131], v[126:127], v[118:119] op_sel:[0,1]
	v_pk_fma_f32 v[132:133], v[126:127], v[116:117], v[130:131] op_sel:[0,0,1] op_sel_hi:[1,1,0] neg_lo:[0,0,1] neg_hi:[0,0,1]
	v_pk_fma_f32 v[126:127], v[126:127], v[116:117], v[130:131] op_sel:[0,0,1] op_sel_hi:[1,0,0]
	v_dual_mul_f32 v130, v129, v119 :: v_dual_mov_b32 v126, v129
	s_delay_alu instid0(VALU_DEP_2) | instskip(NEXT) | instid1(VALU_DEP_2)
	v_dual_mov_b32 v133, v127 :: v_dual_mov_b32 v127, v128
	v_pk_fma_f32 v[130:131], v[128:129], v[92:93], v[130:131] op_sel_hi:[1,1,0] neg_lo:[0,0,1] neg_hi:[0,0,1]
	v_mul_f32_e32 v128, v129, v116
	s_delay_alu instid0(VALU_DEP_3) | instskip(NEXT) | instid1(VALU_DEP_2)
	v_pk_add_f32 v[16:17], v[16:17], v[132:133] neg_lo:[0,1] neg_hi:[0,1]
	v_pk_fma_f32 v[126:127], v[126:127], v[92:93], v[128:129] op_sel_hi:[1,1,0]
	s_delay_alu instid0(VALU_DEP_1) | instskip(SKIP_4) | instid1(VALU_DEP_1)
	v_mov_b32_e32 v131, v127
	ds_load_2addr_b64 v[126:129], v120 offset0:41 offset1:42
	v_pk_add_f32 v[68:69], v[68:69], v[130:131] neg_lo:[0,1] neg_hi:[0,1]
	s_wait_dscnt 0x0
	v_pk_mul_f32 v[130:131], v[126:127], v[118:119] op_sel:[0,1]
	v_pk_fma_f32 v[132:133], v[126:127], v[116:117], v[130:131] op_sel:[0,0,1] op_sel_hi:[1,1,0] neg_lo:[0,0,1] neg_hi:[0,0,1]
	v_pk_fma_f32 v[126:127], v[126:127], v[116:117], v[130:131] op_sel:[0,0,1] op_sel_hi:[1,0,0]
	s_delay_alu instid0(VALU_DEP_1) | instskip(SKIP_1) | instid1(VALU_DEP_1)
	v_mov_b32_e32 v133, v127
	v_pk_mul_f32 v[126:127], v[128:129], v[118:119] op_sel:[0,1]
	v_pk_fma_f32 v[130:131], v[128:129], v[116:117], v[126:127] op_sel:[0,0,1] op_sel_hi:[1,1,0] neg_lo:[0,0,1] neg_hi:[0,0,1]
	v_pk_fma_f32 v[126:127], v[128:129], v[116:117], v[126:127] op_sel:[0,0,1] op_sel_hi:[1,0,0]
	s_delay_alu instid0(VALU_DEP_1)
	v_mov_b32_e32 v131, v127
	ds_load_2addr_b64 v[126:129], v120 offset0:43 offset1:44
	v_pk_add_f32 v[66:67], v[66:67], v[132:133] neg_lo:[0,1] neg_hi:[0,1]
	v_pk_add_f32 v[14:15], v[14:15], v[130:131] neg_lo:[0,1] neg_hi:[0,1]
	s_wait_dscnt 0x0
	v_pk_mul_f32 v[130:131], v[126:127], v[118:119] op_sel:[0,1]
	s_delay_alu instid0(VALU_DEP_1) | instskip(SKIP_1) | instid1(VALU_DEP_1)
	v_pk_fma_f32 v[132:133], v[126:127], v[116:117], v[130:131] op_sel:[0,0,1] op_sel_hi:[1,1,0] neg_lo:[0,0,1] neg_hi:[0,0,1]
	v_pk_fma_f32 v[126:127], v[126:127], v[116:117], v[130:131] op_sel:[0,0,1] op_sel_hi:[1,0,0]
	v_mov_b32_e32 v133, v127
	v_pk_mul_f32 v[126:127], v[128:129], v[118:119] op_sel:[0,1]
	s_delay_alu instid0(VALU_DEP_1) | instskip(SKIP_1) | instid1(VALU_DEP_1)
	v_pk_fma_f32 v[130:131], v[128:129], v[116:117], v[126:127] op_sel:[0,0,1] op_sel_hi:[1,1,0] neg_lo:[0,0,1] neg_hi:[0,0,1]
	v_pk_fma_f32 v[126:127], v[128:129], v[116:117], v[126:127] op_sel:[0,0,1] op_sel_hi:[1,0,0]
	v_mov_b32_e32 v131, v127
	ds_load_2addr_b64 v[126:129], v120 offset0:45 offset1:46
	v_pk_add_f32 v[12:13], v[12:13], v[132:133] neg_lo:[0,1] neg_hi:[0,1]
	v_pk_add_f32 v[64:65], v[64:65], v[130:131] neg_lo:[0,1] neg_hi:[0,1]
	s_wait_dscnt 0x0
	v_dual_mul_f32 v130, v127, v119 :: v_dual_mul_f32 v132, v127, v116
	s_delay_alu instid0(VALU_DEP_1) | instskip(NEXT) | instid1(VALU_DEP_2)
	v_pk_fma_f32 v[130:131], v[126:127], v[92:93], v[130:131] op_sel_hi:[1,1,0] neg_lo:[0,0,1] neg_hi:[0,0,1]
	v_pk_fma_f32 v[126:127], v[126:127], v[92:93], v[132:133] op_sel:[1,0,0] op_sel_hi:[0,1,0]
	s_delay_alu instid0(VALU_DEP_1) | instskip(SKIP_1) | instid1(VALU_DEP_2)
	v_mov_b32_e32 v131, v127
	v_pk_mul_f32 v[126:127], v[128:129], v[118:119] op_sel:[0,1]
	v_pk_add_f32 v[62:63], v[62:63], v[130:131] neg_lo:[0,1] neg_hi:[0,1]
	s_delay_alu instid0(VALU_DEP_2) | instskip(SKIP_1) | instid1(VALU_DEP_1)
	v_pk_fma_f32 v[130:131], v[128:129], v[116:117], v[126:127] op_sel:[0,0,1] op_sel_hi:[1,1,0] neg_lo:[0,0,1] neg_hi:[0,0,1]
	v_pk_fma_f32 v[126:127], v[128:129], v[116:117], v[126:127] op_sel:[0,0,1] op_sel_hi:[1,0,0]
	v_mov_b32_e32 v131, v127
	ds_load_2addr_b64 v[126:129], v120 offset0:47 offset1:48
	v_pk_add_f32 v[10:11], v[10:11], v[130:131] neg_lo:[0,1] neg_hi:[0,1]
	s_wait_dscnt 0x0
	v_pk_mul_f32 v[130:131], v[126:127], v[118:119] op_sel:[0,1]
	s_delay_alu instid0(VALU_DEP_1) | instskip(SKIP_1) | instid1(VALU_DEP_1)
	v_pk_fma_f32 v[132:133], v[126:127], v[116:117], v[130:131] op_sel:[0,0,1] op_sel_hi:[1,1,0] neg_lo:[0,0,1] neg_hi:[0,0,1]
	v_pk_fma_f32 v[126:127], v[126:127], v[116:117], v[130:131] op_sel:[0,0,1] op_sel_hi:[1,0,0]
	v_mov_b32_e32 v133, v127
	v_pk_mul_f32 v[126:127], v[128:129], v[118:119] op_sel:[0,1]
	s_delay_alu instid0(VALU_DEP_2) | instskip(NEXT) | instid1(VALU_DEP_2)
	v_pk_add_f32 v[6:7], v[6:7], v[132:133] neg_lo:[0,1] neg_hi:[0,1]
	v_pk_fma_f32 v[130:131], v[128:129], v[116:117], v[126:127] op_sel:[0,0,1] op_sel_hi:[1,1,0] neg_lo:[0,0,1] neg_hi:[0,0,1]
	v_pk_fma_f32 v[126:127], v[128:129], v[116:117], v[126:127] op_sel:[0,0,1] op_sel_hi:[1,0,0]
	s_delay_alu instid0(VALU_DEP_1) | instskip(SKIP_4) | instid1(VALU_DEP_1)
	v_mov_b32_e32 v131, v127
	ds_load_2addr_b64 v[126:129], v120 offset0:49 offset1:50
	v_pk_add_f32 v[52:53], v[52:53], v[130:131] neg_lo:[0,1] neg_hi:[0,1]
	s_wait_dscnt 0x0
	v_pk_mul_f32 v[130:131], v[126:127], v[118:119] op_sel:[0,1]
	v_pk_fma_f32 v[132:133], v[126:127], v[116:117], v[130:131] op_sel:[0,0,1] op_sel_hi:[1,1,0] neg_lo:[0,0,1] neg_hi:[0,0,1]
	v_pk_fma_f32 v[126:127], v[126:127], v[116:117], v[130:131] op_sel:[0,0,1] op_sel_hi:[1,0,0]
	v_dual_mul_f32 v130, v129, v119 :: v_dual_mov_b32 v126, v129
	s_delay_alu instid0(VALU_DEP_2) | instskip(NEXT) | instid1(VALU_DEP_2)
	v_dual_mov_b32 v133, v127 :: v_dual_mov_b32 v127, v128
	v_pk_fma_f32 v[130:131], v[128:129], v[92:93], v[130:131] op_sel_hi:[1,1,0] neg_lo:[0,0,1] neg_hi:[0,0,1]
	v_mul_f32_e32 v128, v129, v116
	s_delay_alu instid0(VALU_DEP_3) | instskip(NEXT) | instid1(VALU_DEP_2)
	v_pk_add_f32 v[50:51], v[50:51], v[132:133] neg_lo:[0,1] neg_hi:[0,1]
	v_pk_fma_f32 v[126:127], v[126:127], v[92:93], v[128:129] op_sel_hi:[1,1,0]
	s_delay_alu instid0(VALU_DEP_1) | instskip(SKIP_4) | instid1(VALU_DEP_1)
	v_mov_b32_e32 v131, v127
	ds_load_2addr_b64 v[126:129], v120 offset0:51 offset1:52
	v_pk_add_f32 v[8:9], v[8:9], v[130:131] neg_lo:[0,1] neg_hi:[0,1]
	s_wait_dscnt 0x0
	v_pk_mul_f32 v[130:131], v[126:127], v[118:119] op_sel:[0,1]
	v_pk_fma_f32 v[132:133], v[126:127], v[116:117], v[130:131] op_sel:[0,0,1] op_sel_hi:[1,1,0] neg_lo:[0,0,1] neg_hi:[0,0,1]
	v_pk_fma_f32 v[126:127], v[126:127], v[116:117], v[130:131] op_sel:[0,0,1] op_sel_hi:[1,0,0]
	s_delay_alu instid0(VALU_DEP_1) | instskip(SKIP_1) | instid1(VALU_DEP_1)
	v_mov_b32_e32 v133, v127
	v_pk_mul_f32 v[126:127], v[128:129], v[118:119] op_sel:[0,1]
	v_pk_fma_f32 v[130:131], v[128:129], v[116:117], v[126:127] op_sel:[0,0,1] op_sel_hi:[1,1,0] neg_lo:[0,0,1] neg_hi:[0,0,1]
	v_pk_fma_f32 v[126:127], v[128:129], v[116:117], v[126:127] op_sel:[0,0,1] op_sel_hi:[1,0,0]
	s_delay_alu instid0(VALU_DEP_1)
	v_mov_b32_e32 v131, v127
	ds_load_2addr_b64 v[126:129], v120 offset0:53 offset1:54
	v_pk_add_f32 v[30:31], v[30:31], v[132:133] neg_lo:[0,1] neg_hi:[0,1]
	v_pk_add_f32 v[34:35], v[34:35], v[130:131] neg_lo:[0,1] neg_hi:[0,1]
	s_wait_dscnt 0x0
	v_pk_mul_f32 v[130:131], v[126:127], v[118:119] op_sel:[0,1]
	v_pk_mul_f32 v[118:119], v[128:129], v[118:119] op_sel:[0,1]
	s_delay_alu instid0(VALU_DEP_2) | instskip(SKIP_1) | instid1(VALU_DEP_1)
	v_pk_fma_f32 v[132:133], v[126:127], v[116:117], v[130:131] op_sel:[0,0,1] op_sel_hi:[1,1,0] neg_lo:[0,0,1] neg_hi:[0,0,1]
	v_pk_fma_f32 v[126:127], v[126:127], v[116:117], v[130:131] op_sel:[0,0,1] op_sel_hi:[1,0,0]
	v_mov_b32_e32 v133, v127
	s_delay_alu instid0(VALU_DEP_4) | instskip(SKIP_1) | instid1(VALU_DEP_1)
	v_pk_fma_f32 v[126:127], v[128:129], v[116:117], v[118:119] op_sel:[0,0,1] op_sel_hi:[1,1,0] neg_lo:[0,0,1] neg_hi:[0,0,1]
	v_pk_fma_f32 v[116:117], v[128:129], v[116:117], v[118:119] op_sel:[0,0,1] op_sel_hi:[1,0,0]
	v_mov_b32_e32 v127, v117
	s_delay_alu instid0(VALU_DEP_4) | instskip(NEXT) | instid1(VALU_DEP_2)
	v_pk_add_f32 v[24:25], v[24:25], v[132:133] neg_lo:[0,1] neg_hi:[0,1]
	v_pk_add_f32 v[114:115], v[114:115], v[126:127] neg_lo:[0,1] neg_hi:[0,1]
.LBB108_356:
	s_or_b32 exec_lo, exec_lo, s0
	v_lshl_add_u32 v116, v124, 3, v120
	s_barrier_signal -1
	s_barrier_wait -1
	ds_store_b64 v116, v[90:91]
	s_wait_dscnt 0x0
	s_barrier_signal -1
	s_barrier_wait -1
	ds_load_b64 v[118:119], v120 offset:136
	v_mov_b32_e32 v116, 17
	s_cmp_lt_i32 s18, 19
	s_cbranch_scc1 .LBB108_359
; %bb.357:
	v_add3_u32 v117, v121, 0, 0x90
	v_mov_b32_e32 v116, 17
	s_mov_b32 s0, 18
.LBB108_358:                            ; =>This Inner Loop Header: Depth=1
	ds_load_b64 v[126:127], v117
	s_wait_dscnt 0x1
	v_cmp_gt_f32_e32 vcc_lo, 0, v118
	v_cndmask_b32_e64 v128, v118, -v118, vcc_lo
	v_cmp_gt_f32_e32 vcc_lo, 0, v119
	v_cndmask_b32_e64 v130, v119, -v119, vcc_lo
	s_wait_dscnt 0x0
	v_cmp_gt_f32_e32 vcc_lo, 0, v126
	v_cndmask_b32_e64 v129, v126, -v126, vcc_lo
	v_cmp_gt_f32_e32 vcc_lo, 0, v127
	v_cndmask_b32_e64 v131, v127, -v127, vcc_lo
	s_delay_alu instid0(VALU_DEP_1) | instskip(NEXT) | instid1(VALU_DEP_1)
	v_pk_add_f32 v[128:129], v[128:129], v[130:131]
	v_cmp_lt_f32_e32 vcc_lo, v128, v129
	v_dual_add_nc_u32 v117, 8, v117 :: v_dual_cndmask_b32 v119, v119, v127, vcc_lo
	v_cndmask_b32_e32 v118, v118, v126, vcc_lo
	v_cndmask_b32_e64 v116, v116, s0, vcc_lo
	s_add_co_i32 s0, s0, 1
	s_delay_alu instid0(SALU_CYCLE_1)
	s_cmp_lg_u32 s18, s0
	s_cbranch_scc1 .LBB108_358
.LBB108_359:
	s_wait_dscnt 0x0
	v_cmp_eq_f32_e32 vcc_lo, 0, v118
	v_cmp_eq_f32_e64 s0, 0, v119
	s_and_b32 s0, vcc_lo, s0
	s_delay_alu instid0(SALU_CYCLE_1) | instskip(NEXT) | instid1(SALU_CYCLE_1)
	s_and_saveexec_b32 s1, s0
	s_xor_b32 s0, exec_lo, s1
; %bb.360:
	v_cmp_ne_u32_e32 vcc_lo, 0, v122
	v_cndmask_b32_e32 v122, 18, v122, vcc_lo
; %bb.361:
	s_and_not1_saveexec_b32 s0, s0
	s_cbranch_execz .LBB108_367
; %bb.362:
	v_cmp_ngt_f32_e64 s1, |v118|, |v119|
	s_and_saveexec_b32 s12, s1
	s_delay_alu instid0(SALU_CYCLE_1)
	s_xor_b32 s1, exec_lo, s12
	s_cbranch_execz .LBB108_364
; %bb.363:
	v_div_scale_f32 v117, null, v119, v119, v118
	v_div_scale_f32 v127, vcc_lo, v118, v119, v118
	s_delay_alu instid0(VALU_DEP_2) | instskip(SKIP_1) | instid1(TRANS32_DEP_1)
	v_rcp_f32_e32 v125, v117
	v_nop
	v_fma_f32 v126, -v117, v125, 1.0
	s_delay_alu instid0(VALU_DEP_1) | instskip(NEXT) | instid1(VALU_DEP_1)
	v_fmac_f32_e32 v125, v126, v125
	v_mul_f32_e32 v126, v127, v125
	s_delay_alu instid0(VALU_DEP_1) | instskip(NEXT) | instid1(VALU_DEP_1)
	v_fma_f32 v128, -v117, v126, v127
	v_fmac_f32_e32 v126, v128, v125
	s_delay_alu instid0(VALU_DEP_1) | instskip(NEXT) | instid1(VALU_DEP_1)
	v_fma_f32 v117, -v117, v126, v127
	v_div_fmas_f32 v117, v117, v125, v126
	s_delay_alu instid0(VALU_DEP_1) | instskip(NEXT) | instid1(VALU_DEP_1)
	v_div_fixup_f32 v117, v117, v119, v118
	v_fmac_f32_e32 v119, v118, v117
	s_delay_alu instid0(VALU_DEP_1) | instskip(SKIP_1) | instid1(VALU_DEP_2)
	v_div_scale_f32 v118, null, v119, v119, 1.0
	v_div_scale_f32 v127, vcc_lo, 1.0, v119, 1.0
	v_rcp_f32_e32 v125, v118
	v_nop
	s_delay_alu instid0(TRANS32_DEP_1) | instskip(NEXT) | instid1(VALU_DEP_1)
	v_fma_f32 v126, -v118, v125, 1.0
	v_fmac_f32_e32 v125, v126, v125
	s_delay_alu instid0(VALU_DEP_1) | instskip(NEXT) | instid1(VALU_DEP_1)
	v_mul_f32_e32 v126, v127, v125
	v_fma_f32 v128, -v118, v126, v127
	s_delay_alu instid0(VALU_DEP_1) | instskip(NEXT) | instid1(VALU_DEP_1)
	v_fmac_f32_e32 v126, v128, v125
	v_fma_f32 v118, -v118, v126, v127
	s_delay_alu instid0(VALU_DEP_1) | instskip(NEXT) | instid1(VALU_DEP_1)
	v_div_fmas_f32 v118, v118, v125, v126
	v_div_fixup_f32 v119, v118, v119, 1.0
	s_delay_alu instid0(VALU_DEP_1)
	v_mul_f32_e32 v118, v117, v119
	v_xor_b32_e32 v119, 0x80000000, v119
.LBB108_364:
	s_and_not1_saveexec_b32 s1, s1
	s_cbranch_execz .LBB108_366
; %bb.365:
	s_delay_alu instid0(VALU_DEP_1) | instskip(SKIP_1) | instid1(VALU_DEP_2)
	v_div_scale_f32 v117, null, v118, v118, v119
	v_div_scale_f32 v127, vcc_lo, v119, v118, v119
	v_rcp_f32_e32 v125, v117
	v_nop
	s_delay_alu instid0(TRANS32_DEP_1) | instskip(NEXT) | instid1(VALU_DEP_1)
	v_fma_f32 v126, -v117, v125, 1.0
	v_fmac_f32_e32 v125, v126, v125
	s_delay_alu instid0(VALU_DEP_1) | instskip(NEXT) | instid1(VALU_DEP_1)
	v_mul_f32_e32 v126, v127, v125
	v_fma_f32 v128, -v117, v126, v127
	s_delay_alu instid0(VALU_DEP_1) | instskip(NEXT) | instid1(VALU_DEP_1)
	v_fmac_f32_e32 v126, v128, v125
	v_fma_f32 v117, -v117, v126, v127
	s_delay_alu instid0(VALU_DEP_1) | instskip(NEXT) | instid1(VALU_DEP_1)
	v_div_fmas_f32 v117, v117, v125, v126
	v_div_fixup_f32 v117, v117, v118, v119
	s_delay_alu instid0(VALU_DEP_1) | instskip(NEXT) | instid1(VALU_DEP_1)
	v_fmac_f32_e32 v118, v119, v117
	v_div_scale_f32 v119, null, v118, v118, 1.0
	s_delay_alu instid0(VALU_DEP_1) | instskip(SKIP_1) | instid1(TRANS32_DEP_1)
	v_rcp_f32_e32 v125, v119
	v_nop
	v_fma_f32 v126, -v119, v125, 1.0
	s_delay_alu instid0(VALU_DEP_1) | instskip(SKIP_1) | instid1(VALU_DEP_1)
	v_fmac_f32_e32 v125, v126, v125
	v_div_scale_f32 v126, vcc_lo, 1.0, v118, 1.0
	v_mul_f32_e32 v127, v126, v125
	s_delay_alu instid0(VALU_DEP_1) | instskip(NEXT) | instid1(VALU_DEP_1)
	v_fma_f32 v128, -v119, v127, v126
	v_fmac_f32_e32 v127, v128, v125
	s_delay_alu instid0(VALU_DEP_1) | instskip(NEXT) | instid1(VALU_DEP_1)
	v_fma_f32 v119, -v119, v127, v126
	v_div_fmas_f32 v119, v119, v125, v127
	s_delay_alu instid0(VALU_DEP_1) | instskip(NEXT) | instid1(VALU_DEP_1)
	v_div_fixup_f32 v118, v119, v118, 1.0
	v_mul_f32_e64 v119, v117, -v118
.LBB108_366:
	s_or_b32 exec_lo, exec_lo, s1
.LBB108_367:
	s_delay_alu instid0(SALU_CYCLE_1) | instskip(NEXT) | instid1(SALU_CYCLE_1)
	s_or_b32 exec_lo, exec_lo, s0
	s_mov_b32 s0, exec_lo
	v_cmpx_ne_u32_e64 v124, v116
	s_xor_b32 s0, exec_lo, s0
	s_cbranch_execz .LBB108_373
; %bb.368:
	s_mov_b32 s1, exec_lo
	v_cmpx_eq_u32_e32 17, v124
	s_cbranch_execz .LBB108_372
; %bb.369:
	v_cmp_ne_u32_e32 vcc_lo, 17, v116
	s_xor_b32 s12, s16, -1
	s_delay_alu instid0(SALU_CYCLE_1) | instskip(NEXT) | instid1(SALU_CYCLE_1)
	s_and_b32 s13, s12, vcc_lo
	s_and_saveexec_b32 s12, s13
	s_cbranch_execz .LBB108_371
; %bb.370:
	v_ashrrev_i32_e32 v117, 31, v116
	s_delay_alu instid0(VALU_DEP_1)
	v_lshl_add_u64 v[124:125], v[116:117], 2, v[4:5]
	s_clause 0x1
	global_load_b32 v117, v[124:125], off
	global_load_b32 v123, v[4:5], off offset:68
	s_wait_loadcnt 0x1
	global_store_b32 v[4:5], v117, off offset:68
	s_wait_loadcnt 0x0
	global_store_b32 v[124:125], v123, off
.LBB108_371:
	s_wait_xcnt 0x0
	s_or_b32 exec_lo, exec_lo, s12
	v_dual_mov_b32 v124, v116 :: v_dual_mov_b32 v123, v116
.LBB108_372:
	s_or_b32 exec_lo, exec_lo, s1
.LBB108_373:
	s_and_not1_saveexec_b32 s0, s0
	s_cbranch_execz .LBB108_375
; %bb.374:
	v_dual_mov_b32 v116, v44 :: v_dual_mov_b32 v117, v45
	v_dual_mov_b32 v124, v42 :: v_dual_mov_b32 v125, v43
	ds_store_2addr_b64 v120, v[116:117], v[124:125] offset0:18 offset1:19
	v_dual_mov_b32 v116, v88 :: v_dual_mov_b32 v117, v89
	v_dual_mov_b32 v124, v86 :: v_dual_mov_b32 v125, v87
	ds_store_2addr_b64 v120, v[116:117], v[124:125] offset0:20 offset1:21
	;; [unrolled: 3-line block ×18, first 2 shown]
	ds_store_b64 v120, v[114:115] offset:432
	v_mov_b32_e32 v124, 17
.LBB108_375:
	s_or_b32 exec_lo, exec_lo, s0
	s_delay_alu instid0(SALU_CYCLE_1)
	s_mov_b32 s0, exec_lo
	s_wait_storecnt_dscnt 0x0
	s_barrier_signal -1
	s_barrier_wait -1
	v_cmpx_lt_i32_e32 17, v124
	s_cbranch_execz .LBB108_377
; %bb.376:
	v_pk_mul_f32 v[126:127], v[118:119], v[90:91] op_sel:[1,1] op_sel_hi:[0,1]
	s_delay_alu instid0(VALU_DEP_1)
	v_pk_fma_f32 v[116:117], v[118:119], v[90:91], v[126:127] op_sel_hi:[1,0,1] neg_lo:[0,0,1] neg_hi:[0,0,1]
	v_pk_fma_f32 v[118:119], v[118:119], v[90:91], v[126:127] op_sel_hi:[1,0,1]
	ds_load_2addr_b64 v[126:129], v120 offset0:18 offset1:19
	v_dual_mov_b32 v90, v116 :: v_dual_mov_b32 v91, v119
	s_wait_dscnt 0x0
	v_pk_mul_f32 v[130:131], v[126:127], v[118:119] op_sel:[0,1]
	s_delay_alu instid0(VALU_DEP_1) | instskip(SKIP_1) | instid1(VALU_DEP_1)
	v_pk_fma_f32 v[132:133], v[126:127], v[116:117], v[130:131] op_sel:[0,0,1] op_sel_hi:[1,1,0] neg_lo:[0,0,1] neg_hi:[0,0,1]
	v_pk_fma_f32 v[126:127], v[126:127], v[116:117], v[130:131] op_sel:[0,0,1] op_sel_hi:[1,0,0]
	v_mov_b32_e32 v133, v127
	v_pk_mul_f32 v[126:127], v[128:129], v[118:119] op_sel:[0,1]
	s_delay_alu instid0(VALU_DEP_1) | instskip(SKIP_1) | instid1(VALU_DEP_1)
	v_pk_fma_f32 v[130:131], v[128:129], v[116:117], v[126:127] op_sel:[0,0,1] op_sel_hi:[1,1,0] neg_lo:[0,0,1] neg_hi:[0,0,1]
	v_pk_fma_f32 v[126:127], v[128:129], v[116:117], v[126:127] op_sel:[0,0,1] op_sel_hi:[1,0,0]
	v_mov_b32_e32 v131, v127
	ds_load_2addr_b64 v[126:129], v120 offset0:20 offset1:21
	v_pk_add_f32 v[44:45], v[44:45], v[132:133] neg_lo:[0,1] neg_hi:[0,1]
	v_pk_add_f32 v[42:43], v[42:43], v[130:131] neg_lo:[0,1] neg_hi:[0,1]
	s_wait_dscnt 0x0
	v_pk_mul_f32 v[130:131], v[126:127], v[118:119] op_sel:[0,1]
	s_delay_alu instid0(VALU_DEP_1) | instskip(SKIP_2) | instid1(VALU_DEP_2)
	v_pk_fma_f32 v[132:133], v[126:127], v[116:117], v[130:131] op_sel:[0,0,1] op_sel_hi:[1,1,0] neg_lo:[0,0,1] neg_hi:[0,0,1]
	v_pk_fma_f32 v[126:127], v[126:127], v[116:117], v[130:131] op_sel:[0,0,1] op_sel_hi:[1,0,0]
	v_dual_mul_f32 v130, v129, v119 :: v_dual_mov_b32 v126, v129
	v_dual_mov_b32 v133, v127 :: v_dual_mov_b32 v127, v128
	s_delay_alu instid0(VALU_DEP_2) | instskip(SKIP_1) | instid1(VALU_DEP_3)
	v_pk_fma_f32 v[130:131], v[128:129], v[90:91], v[130:131] op_sel_hi:[1,1,0] neg_lo:[0,0,1] neg_hi:[0,0,1]
	v_mul_f32_e32 v128, v129, v116
	v_pk_add_f32 v[88:89], v[88:89], v[132:133] neg_lo:[0,1] neg_hi:[0,1]
	s_delay_alu instid0(VALU_DEP_2) | instskip(NEXT) | instid1(VALU_DEP_1)
	v_pk_fma_f32 v[126:127], v[126:127], v[90:91], v[128:129] op_sel_hi:[1,1,0]
	v_mov_b32_e32 v131, v127
	ds_load_2addr_b64 v[126:129], v120 offset0:22 offset1:23
	v_pk_add_f32 v[86:87], v[86:87], v[130:131] neg_lo:[0,1] neg_hi:[0,1]
	s_wait_dscnt 0x0
	v_pk_mul_f32 v[130:131], v[126:127], v[118:119] op_sel:[0,1]
	s_delay_alu instid0(VALU_DEP_1) | instskip(SKIP_1) | instid1(VALU_DEP_1)
	v_pk_fma_f32 v[132:133], v[126:127], v[116:117], v[130:131] op_sel:[0,0,1] op_sel_hi:[1,1,0] neg_lo:[0,0,1] neg_hi:[0,0,1]
	v_pk_fma_f32 v[126:127], v[126:127], v[116:117], v[130:131] op_sel:[0,0,1] op_sel_hi:[1,0,0]
	v_mov_b32_e32 v133, v127
	v_pk_mul_f32 v[126:127], v[128:129], v[118:119] op_sel:[0,1]
	s_delay_alu instid0(VALU_DEP_1) | instskip(SKIP_1) | instid1(VALU_DEP_1)
	v_pk_fma_f32 v[130:131], v[128:129], v[116:117], v[126:127] op_sel:[0,0,1] op_sel_hi:[1,1,0] neg_lo:[0,0,1] neg_hi:[0,0,1]
	v_pk_fma_f32 v[126:127], v[128:129], v[116:117], v[126:127] op_sel:[0,0,1] op_sel_hi:[1,0,0]
	v_mov_b32_e32 v131, v127
	ds_load_2addr_b64 v[126:129], v120 offset0:24 offset1:25
	v_pk_add_f32 v[40:41], v[40:41], v[132:133] neg_lo:[0,1] neg_hi:[0,1]
	v_pk_add_f32 v[38:39], v[38:39], v[130:131] neg_lo:[0,1] neg_hi:[0,1]
	s_wait_dscnt 0x0
	v_pk_mul_f32 v[130:131], v[126:127], v[118:119] op_sel:[0,1]
	s_delay_alu instid0(VALU_DEP_1) | instskip(SKIP_1) | instid1(VALU_DEP_1)
	v_pk_fma_f32 v[132:133], v[126:127], v[116:117], v[130:131] op_sel:[0,0,1] op_sel_hi:[1,1,0] neg_lo:[0,0,1] neg_hi:[0,0,1]
	v_pk_fma_f32 v[126:127], v[126:127], v[116:117], v[130:131] op_sel:[0,0,1] op_sel_hi:[1,0,0]
	v_mov_b32_e32 v133, v127
	v_pk_mul_f32 v[126:127], v[128:129], v[118:119] op_sel:[0,1]
	s_delay_alu instid0(VALU_DEP_1) | instskip(SKIP_1) | instid1(VALU_DEP_1)
	v_pk_fma_f32 v[130:131], v[128:129], v[116:117], v[126:127] op_sel:[0,0,1] op_sel_hi:[1,1,0] neg_lo:[0,0,1] neg_hi:[0,0,1]
	v_pk_fma_f32 v[126:127], v[128:129], v[116:117], v[126:127] op_sel:[0,0,1] op_sel_hi:[1,0,0]
	v_mov_b32_e32 v131, v127
	ds_load_2addr_b64 v[126:129], v120 offset0:26 offset1:27
	v_pk_add_f32 v[84:85], v[84:85], v[132:133] neg_lo:[0,1] neg_hi:[0,1]
	v_pk_add_f32 v[82:83], v[82:83], v[130:131] neg_lo:[0,1] neg_hi:[0,1]
	s_wait_dscnt 0x0
	v_dual_mul_f32 v130, v127, v119 :: v_dual_mul_f32 v132, v127, v116
	s_delay_alu instid0(VALU_DEP_1) | instskip(NEXT) | instid1(VALU_DEP_2)
	v_pk_fma_f32 v[130:131], v[126:127], v[90:91], v[130:131] op_sel_hi:[1,1,0] neg_lo:[0,0,1] neg_hi:[0,0,1]
	v_pk_fma_f32 v[126:127], v[126:127], v[90:91], v[132:133] op_sel:[1,0,0] op_sel_hi:[0,1,0]
	s_delay_alu instid0(VALU_DEP_1) | instskip(SKIP_1) | instid1(VALU_DEP_2)
	v_mov_b32_e32 v131, v127
	v_pk_mul_f32 v[126:127], v[128:129], v[118:119] op_sel:[0,1]
	v_pk_add_f32 v[36:37], v[36:37], v[130:131] neg_lo:[0,1] neg_hi:[0,1]
	s_delay_alu instid0(VALU_DEP_2) | instskip(SKIP_1) | instid1(VALU_DEP_1)
	v_pk_fma_f32 v[130:131], v[128:129], v[116:117], v[126:127] op_sel:[0,0,1] op_sel_hi:[1,1,0] neg_lo:[0,0,1] neg_hi:[0,0,1]
	v_pk_fma_f32 v[126:127], v[128:129], v[116:117], v[126:127] op_sel:[0,0,1] op_sel_hi:[1,0,0]
	v_mov_b32_e32 v131, v127
	ds_load_2addr_b64 v[126:129], v120 offset0:28 offset1:29
	v_pk_add_f32 v[32:33], v[32:33], v[130:131] neg_lo:[0,1] neg_hi:[0,1]
	s_wait_dscnt 0x0
	v_pk_mul_f32 v[130:131], v[126:127], v[118:119] op_sel:[0,1]
	s_delay_alu instid0(VALU_DEP_1) | instskip(SKIP_1) | instid1(VALU_DEP_1)
	v_pk_fma_f32 v[132:133], v[126:127], v[116:117], v[130:131] op_sel:[0,0,1] op_sel_hi:[1,1,0] neg_lo:[0,0,1] neg_hi:[0,0,1]
	v_pk_fma_f32 v[126:127], v[126:127], v[116:117], v[130:131] op_sel:[0,0,1] op_sel_hi:[1,0,0]
	v_mov_b32_e32 v133, v127
	v_pk_mul_f32 v[126:127], v[128:129], v[118:119] op_sel:[0,1]
	s_delay_alu instid0(VALU_DEP_2) | instskip(NEXT) | instid1(VALU_DEP_2)
	v_pk_add_f32 v[80:81], v[80:81], v[132:133] neg_lo:[0,1] neg_hi:[0,1]
	v_pk_fma_f32 v[130:131], v[128:129], v[116:117], v[126:127] op_sel:[0,0,1] op_sel_hi:[1,1,0] neg_lo:[0,0,1] neg_hi:[0,0,1]
	v_pk_fma_f32 v[126:127], v[128:129], v[116:117], v[126:127] op_sel:[0,0,1] op_sel_hi:[1,0,0]
	s_delay_alu instid0(VALU_DEP_1) | instskip(SKIP_4) | instid1(VALU_DEP_1)
	v_mov_b32_e32 v131, v127
	ds_load_2addr_b64 v[126:129], v120 offset0:30 offset1:31
	v_pk_add_f32 v[78:79], v[78:79], v[130:131] neg_lo:[0,1] neg_hi:[0,1]
	s_wait_dscnt 0x0
	v_pk_mul_f32 v[130:131], v[126:127], v[118:119] op_sel:[0,1]
	v_pk_fma_f32 v[132:133], v[126:127], v[116:117], v[130:131] op_sel:[0,0,1] op_sel_hi:[1,1,0] neg_lo:[0,0,1] neg_hi:[0,0,1]
	v_pk_fma_f32 v[126:127], v[126:127], v[116:117], v[130:131] op_sel:[0,0,1] op_sel_hi:[1,0,0]
	v_dual_mul_f32 v130, v129, v119 :: v_dual_mov_b32 v126, v129
	s_delay_alu instid0(VALU_DEP_2) | instskip(NEXT) | instid1(VALU_DEP_2)
	v_dual_mov_b32 v133, v127 :: v_dual_mov_b32 v127, v128
	v_pk_fma_f32 v[130:131], v[128:129], v[90:91], v[130:131] op_sel_hi:[1,1,0] neg_lo:[0,0,1] neg_hi:[0,0,1]
	v_mul_f32_e32 v128, v129, v116
	s_delay_alu instid0(VALU_DEP_3) | instskip(NEXT) | instid1(VALU_DEP_2)
	v_pk_add_f32 v[28:29], v[28:29], v[132:133] neg_lo:[0,1] neg_hi:[0,1]
	v_pk_fma_f32 v[126:127], v[126:127], v[90:91], v[128:129] op_sel_hi:[1,1,0]
	s_delay_alu instid0(VALU_DEP_1) | instskip(SKIP_4) | instid1(VALU_DEP_1)
	v_mov_b32_e32 v131, v127
	ds_load_2addr_b64 v[126:129], v120 offset0:32 offset1:33
	v_pk_add_f32 v[26:27], v[26:27], v[130:131] neg_lo:[0,1] neg_hi:[0,1]
	s_wait_dscnt 0x0
	v_pk_mul_f32 v[130:131], v[126:127], v[118:119] op_sel:[0,1]
	v_pk_fma_f32 v[132:133], v[126:127], v[116:117], v[130:131] op_sel:[0,0,1] op_sel_hi:[1,1,0] neg_lo:[0,0,1] neg_hi:[0,0,1]
	v_pk_fma_f32 v[126:127], v[126:127], v[116:117], v[130:131] op_sel:[0,0,1] op_sel_hi:[1,0,0]
	s_delay_alu instid0(VALU_DEP_1) | instskip(SKIP_1) | instid1(VALU_DEP_1)
	v_mov_b32_e32 v133, v127
	v_pk_mul_f32 v[126:127], v[128:129], v[118:119] op_sel:[0,1]
	v_pk_fma_f32 v[130:131], v[128:129], v[116:117], v[126:127] op_sel:[0,0,1] op_sel_hi:[1,1,0] neg_lo:[0,0,1] neg_hi:[0,0,1]
	v_pk_fma_f32 v[126:127], v[128:129], v[116:117], v[126:127] op_sel:[0,0,1] op_sel_hi:[1,0,0]
	s_delay_alu instid0(VALU_DEP_1)
	v_mov_b32_e32 v131, v127
	ds_load_2addr_b64 v[126:129], v120 offset0:34 offset1:35
	v_pk_add_f32 v[76:77], v[76:77], v[132:133] neg_lo:[0,1] neg_hi:[0,1]
	v_pk_add_f32 v[74:75], v[74:75], v[130:131] neg_lo:[0,1] neg_hi:[0,1]
	s_wait_dscnt 0x0
	v_pk_mul_f32 v[130:131], v[126:127], v[118:119] op_sel:[0,1]
	s_delay_alu instid0(VALU_DEP_1) | instskip(SKIP_1) | instid1(VALU_DEP_1)
	v_pk_fma_f32 v[132:133], v[126:127], v[116:117], v[130:131] op_sel:[0,0,1] op_sel_hi:[1,1,0] neg_lo:[0,0,1] neg_hi:[0,0,1]
	v_pk_fma_f32 v[126:127], v[126:127], v[116:117], v[130:131] op_sel:[0,0,1] op_sel_hi:[1,0,0]
	v_mov_b32_e32 v133, v127
	v_pk_mul_f32 v[126:127], v[128:129], v[118:119] op_sel:[0,1]
	s_delay_alu instid0(VALU_DEP_1) | instskip(SKIP_1) | instid1(VALU_DEP_1)
	v_pk_fma_f32 v[130:131], v[128:129], v[116:117], v[126:127] op_sel:[0,0,1] op_sel_hi:[1,1,0] neg_lo:[0,0,1] neg_hi:[0,0,1]
	v_pk_fma_f32 v[126:127], v[128:129], v[116:117], v[126:127] op_sel:[0,0,1] op_sel_hi:[1,0,0]
	v_mov_b32_e32 v131, v127
	ds_load_2addr_b64 v[126:129], v120 offset0:36 offset1:37
	v_pk_add_f32 v[22:23], v[22:23], v[132:133] neg_lo:[0,1] neg_hi:[0,1]
	v_pk_add_f32 v[20:21], v[20:21], v[130:131] neg_lo:[0,1] neg_hi:[0,1]
	s_wait_dscnt 0x0
	v_dual_mul_f32 v130, v127, v119 :: v_dual_mul_f32 v132, v127, v116
	s_delay_alu instid0(VALU_DEP_1) | instskip(NEXT) | instid1(VALU_DEP_2)
	v_pk_fma_f32 v[130:131], v[126:127], v[90:91], v[130:131] op_sel_hi:[1,1,0] neg_lo:[0,0,1] neg_hi:[0,0,1]
	v_pk_fma_f32 v[126:127], v[126:127], v[90:91], v[132:133] op_sel:[1,0,0] op_sel_hi:[0,1,0]
	s_delay_alu instid0(VALU_DEP_1) | instskip(SKIP_1) | instid1(VALU_DEP_2)
	v_mov_b32_e32 v131, v127
	v_pk_mul_f32 v[126:127], v[128:129], v[118:119] op_sel:[0,1]
	v_pk_add_f32 v[72:73], v[72:73], v[130:131] neg_lo:[0,1] neg_hi:[0,1]
	s_delay_alu instid0(VALU_DEP_2) | instskip(SKIP_1) | instid1(VALU_DEP_1)
	v_pk_fma_f32 v[130:131], v[128:129], v[116:117], v[126:127] op_sel:[0,0,1] op_sel_hi:[1,1,0] neg_lo:[0,0,1] neg_hi:[0,0,1]
	v_pk_fma_f32 v[126:127], v[128:129], v[116:117], v[126:127] op_sel:[0,0,1] op_sel_hi:[1,0,0]
	v_mov_b32_e32 v131, v127
	ds_load_2addr_b64 v[126:129], v120 offset0:38 offset1:39
	v_pk_add_f32 v[70:71], v[70:71], v[130:131] neg_lo:[0,1] neg_hi:[0,1]
	s_wait_dscnt 0x0
	v_pk_mul_f32 v[130:131], v[126:127], v[118:119] op_sel:[0,1]
	s_delay_alu instid0(VALU_DEP_1) | instskip(SKIP_1) | instid1(VALU_DEP_1)
	v_pk_fma_f32 v[132:133], v[126:127], v[116:117], v[130:131] op_sel:[0,0,1] op_sel_hi:[1,1,0] neg_lo:[0,0,1] neg_hi:[0,0,1]
	v_pk_fma_f32 v[126:127], v[126:127], v[116:117], v[130:131] op_sel:[0,0,1] op_sel_hi:[1,0,0]
	v_mov_b32_e32 v133, v127
	v_pk_mul_f32 v[126:127], v[128:129], v[118:119] op_sel:[0,1]
	s_delay_alu instid0(VALU_DEP_2) | instskip(NEXT) | instid1(VALU_DEP_2)
	v_pk_add_f32 v[18:19], v[18:19], v[132:133] neg_lo:[0,1] neg_hi:[0,1]
	v_pk_fma_f32 v[130:131], v[128:129], v[116:117], v[126:127] op_sel:[0,0,1] op_sel_hi:[1,1,0] neg_lo:[0,0,1] neg_hi:[0,0,1]
	v_pk_fma_f32 v[126:127], v[128:129], v[116:117], v[126:127] op_sel:[0,0,1] op_sel_hi:[1,0,0]
	s_delay_alu instid0(VALU_DEP_1) | instskip(SKIP_4) | instid1(VALU_DEP_1)
	v_mov_b32_e32 v131, v127
	ds_load_2addr_b64 v[126:129], v120 offset0:40 offset1:41
	v_pk_add_f32 v[16:17], v[16:17], v[130:131] neg_lo:[0,1] neg_hi:[0,1]
	s_wait_dscnt 0x0
	v_pk_mul_f32 v[130:131], v[126:127], v[118:119] op_sel:[0,1]
	v_pk_fma_f32 v[132:133], v[126:127], v[116:117], v[130:131] op_sel:[0,0,1] op_sel_hi:[1,1,0] neg_lo:[0,0,1] neg_hi:[0,0,1]
	v_pk_fma_f32 v[126:127], v[126:127], v[116:117], v[130:131] op_sel:[0,0,1] op_sel_hi:[1,0,0]
	v_dual_mul_f32 v130, v129, v119 :: v_dual_mov_b32 v126, v129
	s_delay_alu instid0(VALU_DEP_2) | instskip(NEXT) | instid1(VALU_DEP_2)
	v_dual_mov_b32 v133, v127 :: v_dual_mov_b32 v127, v128
	v_pk_fma_f32 v[130:131], v[128:129], v[90:91], v[130:131] op_sel_hi:[1,1,0] neg_lo:[0,0,1] neg_hi:[0,0,1]
	v_mul_f32_e32 v128, v129, v116
	s_delay_alu instid0(VALU_DEP_3) | instskip(NEXT) | instid1(VALU_DEP_2)
	v_pk_add_f32 v[68:69], v[68:69], v[132:133] neg_lo:[0,1] neg_hi:[0,1]
	v_pk_fma_f32 v[126:127], v[126:127], v[90:91], v[128:129] op_sel_hi:[1,1,0]
	s_delay_alu instid0(VALU_DEP_1) | instskip(SKIP_4) | instid1(VALU_DEP_1)
	v_mov_b32_e32 v131, v127
	ds_load_2addr_b64 v[126:129], v120 offset0:42 offset1:43
	v_pk_add_f32 v[66:67], v[66:67], v[130:131] neg_lo:[0,1] neg_hi:[0,1]
	s_wait_dscnt 0x0
	v_pk_mul_f32 v[130:131], v[126:127], v[118:119] op_sel:[0,1]
	v_pk_fma_f32 v[132:133], v[126:127], v[116:117], v[130:131] op_sel:[0,0,1] op_sel_hi:[1,1,0] neg_lo:[0,0,1] neg_hi:[0,0,1]
	v_pk_fma_f32 v[126:127], v[126:127], v[116:117], v[130:131] op_sel:[0,0,1] op_sel_hi:[1,0,0]
	s_delay_alu instid0(VALU_DEP_1) | instskip(SKIP_1) | instid1(VALU_DEP_1)
	v_mov_b32_e32 v133, v127
	v_pk_mul_f32 v[126:127], v[128:129], v[118:119] op_sel:[0,1]
	v_pk_fma_f32 v[130:131], v[128:129], v[116:117], v[126:127] op_sel:[0,0,1] op_sel_hi:[1,1,0] neg_lo:[0,0,1] neg_hi:[0,0,1]
	v_pk_fma_f32 v[126:127], v[128:129], v[116:117], v[126:127] op_sel:[0,0,1] op_sel_hi:[1,0,0]
	s_delay_alu instid0(VALU_DEP_1)
	v_mov_b32_e32 v131, v127
	ds_load_2addr_b64 v[126:129], v120 offset0:44 offset1:45
	v_pk_add_f32 v[14:15], v[14:15], v[132:133] neg_lo:[0,1] neg_hi:[0,1]
	v_pk_add_f32 v[12:13], v[12:13], v[130:131] neg_lo:[0,1] neg_hi:[0,1]
	s_wait_dscnt 0x0
	v_pk_mul_f32 v[130:131], v[126:127], v[118:119] op_sel:[0,1]
	s_delay_alu instid0(VALU_DEP_1) | instskip(SKIP_1) | instid1(VALU_DEP_1)
	v_pk_fma_f32 v[132:133], v[126:127], v[116:117], v[130:131] op_sel:[0,0,1] op_sel_hi:[1,1,0] neg_lo:[0,0,1] neg_hi:[0,0,1]
	v_pk_fma_f32 v[126:127], v[126:127], v[116:117], v[130:131] op_sel:[0,0,1] op_sel_hi:[1,0,0]
	v_mov_b32_e32 v133, v127
	v_pk_mul_f32 v[126:127], v[128:129], v[118:119] op_sel:[0,1]
	s_delay_alu instid0(VALU_DEP_1) | instskip(SKIP_1) | instid1(VALU_DEP_1)
	v_pk_fma_f32 v[130:131], v[128:129], v[116:117], v[126:127] op_sel:[0,0,1] op_sel_hi:[1,1,0] neg_lo:[0,0,1] neg_hi:[0,0,1]
	v_pk_fma_f32 v[126:127], v[128:129], v[116:117], v[126:127] op_sel:[0,0,1] op_sel_hi:[1,0,0]
	v_mov_b32_e32 v131, v127
	ds_load_2addr_b64 v[126:129], v120 offset0:46 offset1:47
	v_pk_add_f32 v[64:65], v[64:65], v[132:133] neg_lo:[0,1] neg_hi:[0,1]
	v_pk_add_f32 v[62:63], v[62:63], v[130:131] neg_lo:[0,1] neg_hi:[0,1]
	s_wait_dscnt 0x0
	v_dual_mul_f32 v130, v127, v119 :: v_dual_mul_f32 v132, v127, v116
	s_delay_alu instid0(VALU_DEP_1) | instskip(NEXT) | instid1(VALU_DEP_2)
	v_pk_fma_f32 v[130:131], v[126:127], v[90:91], v[130:131] op_sel_hi:[1,1,0] neg_lo:[0,0,1] neg_hi:[0,0,1]
	v_pk_fma_f32 v[126:127], v[126:127], v[90:91], v[132:133] op_sel:[1,0,0] op_sel_hi:[0,1,0]
	s_delay_alu instid0(VALU_DEP_1) | instskip(SKIP_1) | instid1(VALU_DEP_2)
	v_mov_b32_e32 v131, v127
	v_pk_mul_f32 v[126:127], v[128:129], v[118:119] op_sel:[0,1]
	v_pk_add_f32 v[10:11], v[10:11], v[130:131] neg_lo:[0,1] neg_hi:[0,1]
	s_delay_alu instid0(VALU_DEP_2) | instskip(SKIP_1) | instid1(VALU_DEP_1)
	v_pk_fma_f32 v[130:131], v[128:129], v[116:117], v[126:127] op_sel:[0,0,1] op_sel_hi:[1,1,0] neg_lo:[0,0,1] neg_hi:[0,0,1]
	v_pk_fma_f32 v[126:127], v[128:129], v[116:117], v[126:127] op_sel:[0,0,1] op_sel_hi:[1,0,0]
	v_mov_b32_e32 v131, v127
	ds_load_2addr_b64 v[126:129], v120 offset0:48 offset1:49
	v_pk_add_f32 v[6:7], v[6:7], v[130:131] neg_lo:[0,1] neg_hi:[0,1]
	s_wait_dscnt 0x0
	v_pk_mul_f32 v[130:131], v[126:127], v[118:119] op_sel:[0,1]
	s_delay_alu instid0(VALU_DEP_1) | instskip(SKIP_1) | instid1(VALU_DEP_1)
	v_pk_fma_f32 v[132:133], v[126:127], v[116:117], v[130:131] op_sel:[0,0,1] op_sel_hi:[1,1,0] neg_lo:[0,0,1] neg_hi:[0,0,1]
	v_pk_fma_f32 v[126:127], v[126:127], v[116:117], v[130:131] op_sel:[0,0,1] op_sel_hi:[1,0,0]
	v_mov_b32_e32 v133, v127
	v_pk_mul_f32 v[126:127], v[128:129], v[118:119] op_sel:[0,1]
	s_delay_alu instid0(VALU_DEP_2) | instskip(NEXT) | instid1(VALU_DEP_2)
	v_pk_add_f32 v[52:53], v[52:53], v[132:133] neg_lo:[0,1] neg_hi:[0,1]
	v_pk_fma_f32 v[130:131], v[128:129], v[116:117], v[126:127] op_sel:[0,0,1] op_sel_hi:[1,1,0] neg_lo:[0,0,1] neg_hi:[0,0,1]
	v_pk_fma_f32 v[126:127], v[128:129], v[116:117], v[126:127] op_sel:[0,0,1] op_sel_hi:[1,0,0]
	s_delay_alu instid0(VALU_DEP_1) | instskip(SKIP_4) | instid1(VALU_DEP_1)
	v_mov_b32_e32 v131, v127
	ds_load_2addr_b64 v[126:129], v120 offset0:50 offset1:51
	v_pk_add_f32 v[50:51], v[50:51], v[130:131] neg_lo:[0,1] neg_hi:[0,1]
	s_wait_dscnt 0x0
	v_pk_mul_f32 v[130:131], v[126:127], v[118:119] op_sel:[0,1]
	v_pk_fma_f32 v[132:133], v[126:127], v[116:117], v[130:131] op_sel:[0,0,1] op_sel_hi:[1,1,0] neg_lo:[0,0,1] neg_hi:[0,0,1]
	v_pk_fma_f32 v[126:127], v[126:127], v[116:117], v[130:131] op_sel:[0,0,1] op_sel_hi:[1,0,0]
	v_dual_mul_f32 v130, v129, v119 :: v_dual_mov_b32 v126, v129
	s_delay_alu instid0(VALU_DEP_2) | instskip(NEXT) | instid1(VALU_DEP_2)
	v_dual_mov_b32 v133, v127 :: v_dual_mov_b32 v127, v128
	v_pk_fma_f32 v[130:131], v[128:129], v[90:91], v[130:131] op_sel_hi:[1,1,0] neg_lo:[0,0,1] neg_hi:[0,0,1]
	v_mul_f32_e32 v128, v129, v116
	s_delay_alu instid0(VALU_DEP_3) | instskip(NEXT) | instid1(VALU_DEP_2)
	v_pk_add_f32 v[8:9], v[8:9], v[132:133] neg_lo:[0,1] neg_hi:[0,1]
	v_pk_fma_f32 v[126:127], v[126:127], v[90:91], v[128:129] op_sel_hi:[1,1,0]
	s_delay_alu instid0(VALU_DEP_1) | instskip(SKIP_4) | instid1(VALU_DEP_1)
	v_mov_b32_e32 v131, v127
	ds_load_2addr_b64 v[126:129], v120 offset0:52 offset1:53
	v_pk_add_f32 v[30:31], v[30:31], v[130:131] neg_lo:[0,1] neg_hi:[0,1]
	s_wait_dscnt 0x0
	v_pk_mul_f32 v[130:131], v[126:127], v[118:119] op_sel:[0,1]
	v_pk_fma_f32 v[132:133], v[126:127], v[116:117], v[130:131] op_sel:[0,0,1] op_sel_hi:[1,1,0] neg_lo:[0,0,1] neg_hi:[0,0,1]
	v_pk_fma_f32 v[126:127], v[126:127], v[116:117], v[130:131] op_sel:[0,0,1] op_sel_hi:[1,0,0]
	s_delay_alu instid0(VALU_DEP_1) | instskip(SKIP_1) | instid1(VALU_DEP_1)
	v_mov_b32_e32 v133, v127
	v_pk_mul_f32 v[126:127], v[128:129], v[118:119] op_sel:[0,1]
	v_pk_fma_f32 v[130:131], v[128:129], v[116:117], v[126:127] op_sel:[0,0,1] op_sel_hi:[1,1,0] neg_lo:[0,0,1] neg_hi:[0,0,1]
	v_pk_fma_f32 v[126:127], v[128:129], v[116:117], v[126:127] op_sel:[0,0,1] op_sel_hi:[1,0,0]
	s_delay_alu instid0(VALU_DEP_1)
	v_mov_b32_e32 v131, v127
	ds_load_b64 v[126:127], v120 offset:432
	v_pk_add_f32 v[34:35], v[34:35], v[132:133] neg_lo:[0,1] neg_hi:[0,1]
	v_pk_add_f32 v[24:25], v[24:25], v[130:131] neg_lo:[0,1] neg_hi:[0,1]
	s_wait_dscnt 0x0
	v_pk_mul_f32 v[118:119], v[126:127], v[118:119] op_sel:[0,1]
	s_delay_alu instid0(VALU_DEP_1) | instskip(SKIP_1) | instid1(VALU_DEP_1)
	v_pk_fma_f32 v[128:129], v[126:127], v[116:117], v[118:119] op_sel:[0,0,1] op_sel_hi:[1,1,0] neg_lo:[0,0,1] neg_hi:[0,0,1]
	v_pk_fma_f32 v[116:117], v[126:127], v[116:117], v[118:119] op_sel:[0,0,1] op_sel_hi:[1,0,0]
	v_mov_b32_e32 v129, v117
	s_delay_alu instid0(VALU_DEP_1)
	v_pk_add_f32 v[114:115], v[114:115], v[128:129] neg_lo:[0,1] neg_hi:[0,1]
.LBB108_377:
	s_or_b32 exec_lo, exec_lo, s0
	v_lshl_add_u32 v116, v124, 3, v120
	s_barrier_signal -1
	s_barrier_wait -1
	ds_store_b64 v116, v[44:45]
	s_wait_dscnt 0x0
	s_barrier_signal -1
	s_barrier_wait -1
	ds_load_b64 v[118:119], v120 offset:144
	v_mov_b32_e32 v116, 18
	s_cmp_lt_i32 s18, 20
	s_cbranch_scc1 .LBB108_380
; %bb.378:
	v_add3_u32 v117, v121, 0, 0x98
	v_mov_b32_e32 v116, 18
	s_mov_b32 s0, 19
.LBB108_379:                            ; =>This Inner Loop Header: Depth=1
	ds_load_b64 v[126:127], v117
	s_wait_dscnt 0x1
	v_cmp_gt_f32_e32 vcc_lo, 0, v118
	v_cndmask_b32_e64 v128, v118, -v118, vcc_lo
	v_cmp_gt_f32_e32 vcc_lo, 0, v119
	v_cndmask_b32_e64 v130, v119, -v119, vcc_lo
	s_wait_dscnt 0x0
	v_cmp_gt_f32_e32 vcc_lo, 0, v126
	v_cndmask_b32_e64 v129, v126, -v126, vcc_lo
	v_cmp_gt_f32_e32 vcc_lo, 0, v127
	v_cndmask_b32_e64 v131, v127, -v127, vcc_lo
	s_delay_alu instid0(VALU_DEP_1) | instskip(NEXT) | instid1(VALU_DEP_1)
	v_pk_add_f32 v[128:129], v[128:129], v[130:131]
	v_cmp_lt_f32_e32 vcc_lo, v128, v129
	v_dual_add_nc_u32 v117, 8, v117 :: v_dual_cndmask_b32 v119, v119, v127, vcc_lo
	v_cndmask_b32_e32 v118, v118, v126, vcc_lo
	v_cndmask_b32_e64 v116, v116, s0, vcc_lo
	s_add_co_i32 s0, s0, 1
	s_delay_alu instid0(SALU_CYCLE_1)
	s_cmp_lg_u32 s18, s0
	s_cbranch_scc1 .LBB108_379
.LBB108_380:
	s_wait_dscnt 0x0
	v_cmp_eq_f32_e32 vcc_lo, 0, v118
	v_cmp_eq_f32_e64 s0, 0, v119
	s_and_b32 s0, vcc_lo, s0
	s_delay_alu instid0(SALU_CYCLE_1) | instskip(NEXT) | instid1(SALU_CYCLE_1)
	s_and_saveexec_b32 s1, s0
	s_xor_b32 s0, exec_lo, s1
; %bb.381:
	v_cmp_ne_u32_e32 vcc_lo, 0, v122
	v_cndmask_b32_e32 v122, 19, v122, vcc_lo
; %bb.382:
	s_and_not1_saveexec_b32 s0, s0
	s_cbranch_execz .LBB108_388
; %bb.383:
	v_cmp_ngt_f32_e64 s1, |v118|, |v119|
	s_and_saveexec_b32 s12, s1
	s_delay_alu instid0(SALU_CYCLE_1)
	s_xor_b32 s1, exec_lo, s12
	s_cbranch_execz .LBB108_385
; %bb.384:
	v_div_scale_f32 v117, null, v119, v119, v118
	v_div_scale_f32 v127, vcc_lo, v118, v119, v118
	s_delay_alu instid0(VALU_DEP_2) | instskip(SKIP_1) | instid1(TRANS32_DEP_1)
	v_rcp_f32_e32 v125, v117
	v_nop
	v_fma_f32 v126, -v117, v125, 1.0
	s_delay_alu instid0(VALU_DEP_1) | instskip(NEXT) | instid1(VALU_DEP_1)
	v_fmac_f32_e32 v125, v126, v125
	v_mul_f32_e32 v126, v127, v125
	s_delay_alu instid0(VALU_DEP_1) | instskip(NEXT) | instid1(VALU_DEP_1)
	v_fma_f32 v128, -v117, v126, v127
	v_fmac_f32_e32 v126, v128, v125
	s_delay_alu instid0(VALU_DEP_1) | instskip(NEXT) | instid1(VALU_DEP_1)
	v_fma_f32 v117, -v117, v126, v127
	v_div_fmas_f32 v117, v117, v125, v126
	s_delay_alu instid0(VALU_DEP_1) | instskip(NEXT) | instid1(VALU_DEP_1)
	v_div_fixup_f32 v117, v117, v119, v118
	v_fmac_f32_e32 v119, v118, v117
	s_delay_alu instid0(VALU_DEP_1) | instskip(SKIP_1) | instid1(VALU_DEP_2)
	v_div_scale_f32 v118, null, v119, v119, 1.0
	v_div_scale_f32 v127, vcc_lo, 1.0, v119, 1.0
	v_rcp_f32_e32 v125, v118
	v_nop
	s_delay_alu instid0(TRANS32_DEP_1) | instskip(NEXT) | instid1(VALU_DEP_1)
	v_fma_f32 v126, -v118, v125, 1.0
	v_fmac_f32_e32 v125, v126, v125
	s_delay_alu instid0(VALU_DEP_1) | instskip(NEXT) | instid1(VALU_DEP_1)
	v_mul_f32_e32 v126, v127, v125
	v_fma_f32 v128, -v118, v126, v127
	s_delay_alu instid0(VALU_DEP_1) | instskip(NEXT) | instid1(VALU_DEP_1)
	v_fmac_f32_e32 v126, v128, v125
	v_fma_f32 v118, -v118, v126, v127
	s_delay_alu instid0(VALU_DEP_1) | instskip(NEXT) | instid1(VALU_DEP_1)
	v_div_fmas_f32 v118, v118, v125, v126
	v_div_fixup_f32 v119, v118, v119, 1.0
	s_delay_alu instid0(VALU_DEP_1)
	v_mul_f32_e32 v118, v117, v119
	v_xor_b32_e32 v119, 0x80000000, v119
.LBB108_385:
	s_and_not1_saveexec_b32 s1, s1
	s_cbranch_execz .LBB108_387
; %bb.386:
	s_delay_alu instid0(VALU_DEP_1) | instskip(SKIP_1) | instid1(VALU_DEP_2)
	v_div_scale_f32 v117, null, v118, v118, v119
	v_div_scale_f32 v127, vcc_lo, v119, v118, v119
	v_rcp_f32_e32 v125, v117
	v_nop
	s_delay_alu instid0(TRANS32_DEP_1) | instskip(NEXT) | instid1(VALU_DEP_1)
	v_fma_f32 v126, -v117, v125, 1.0
	v_fmac_f32_e32 v125, v126, v125
	s_delay_alu instid0(VALU_DEP_1) | instskip(NEXT) | instid1(VALU_DEP_1)
	v_mul_f32_e32 v126, v127, v125
	v_fma_f32 v128, -v117, v126, v127
	s_delay_alu instid0(VALU_DEP_1) | instskip(NEXT) | instid1(VALU_DEP_1)
	v_fmac_f32_e32 v126, v128, v125
	v_fma_f32 v117, -v117, v126, v127
	s_delay_alu instid0(VALU_DEP_1) | instskip(NEXT) | instid1(VALU_DEP_1)
	v_div_fmas_f32 v117, v117, v125, v126
	v_div_fixup_f32 v117, v117, v118, v119
	s_delay_alu instid0(VALU_DEP_1) | instskip(NEXT) | instid1(VALU_DEP_1)
	v_fmac_f32_e32 v118, v119, v117
	v_div_scale_f32 v119, null, v118, v118, 1.0
	s_delay_alu instid0(VALU_DEP_1) | instskip(SKIP_1) | instid1(TRANS32_DEP_1)
	v_rcp_f32_e32 v125, v119
	v_nop
	v_fma_f32 v126, -v119, v125, 1.0
	s_delay_alu instid0(VALU_DEP_1) | instskip(SKIP_1) | instid1(VALU_DEP_1)
	v_fmac_f32_e32 v125, v126, v125
	v_div_scale_f32 v126, vcc_lo, 1.0, v118, 1.0
	v_mul_f32_e32 v127, v126, v125
	s_delay_alu instid0(VALU_DEP_1) | instskip(NEXT) | instid1(VALU_DEP_1)
	v_fma_f32 v128, -v119, v127, v126
	v_fmac_f32_e32 v127, v128, v125
	s_delay_alu instid0(VALU_DEP_1) | instskip(NEXT) | instid1(VALU_DEP_1)
	v_fma_f32 v119, -v119, v127, v126
	v_div_fmas_f32 v119, v119, v125, v127
	s_delay_alu instid0(VALU_DEP_1) | instskip(NEXT) | instid1(VALU_DEP_1)
	v_div_fixup_f32 v118, v119, v118, 1.0
	v_mul_f32_e64 v119, v117, -v118
.LBB108_387:
	s_or_b32 exec_lo, exec_lo, s1
.LBB108_388:
	s_delay_alu instid0(SALU_CYCLE_1) | instskip(NEXT) | instid1(SALU_CYCLE_1)
	s_or_b32 exec_lo, exec_lo, s0
	s_mov_b32 s0, exec_lo
	v_cmpx_ne_u32_e64 v124, v116
	s_xor_b32 s0, exec_lo, s0
	s_cbranch_execz .LBB108_394
; %bb.389:
	s_mov_b32 s1, exec_lo
	v_cmpx_eq_u32_e32 18, v124
	s_cbranch_execz .LBB108_393
; %bb.390:
	v_cmp_ne_u32_e32 vcc_lo, 18, v116
	s_xor_b32 s12, s16, -1
	s_delay_alu instid0(SALU_CYCLE_1) | instskip(NEXT) | instid1(SALU_CYCLE_1)
	s_and_b32 s13, s12, vcc_lo
	s_and_saveexec_b32 s12, s13
	s_cbranch_execz .LBB108_392
; %bb.391:
	v_ashrrev_i32_e32 v117, 31, v116
	s_delay_alu instid0(VALU_DEP_1)
	v_lshl_add_u64 v[124:125], v[116:117], 2, v[4:5]
	s_clause 0x1
	global_load_b32 v117, v[124:125], off
	global_load_b32 v123, v[4:5], off offset:72
	s_wait_loadcnt 0x1
	global_store_b32 v[4:5], v117, off offset:72
	s_wait_loadcnt 0x0
	global_store_b32 v[124:125], v123, off
.LBB108_392:
	s_wait_xcnt 0x0
	s_or_b32 exec_lo, exec_lo, s12
	v_dual_mov_b32 v124, v116 :: v_dual_mov_b32 v123, v116
.LBB108_393:
	s_or_b32 exec_lo, exec_lo, s1
.LBB108_394:
	s_and_not1_saveexec_b32 s0, s0
	s_cbranch_execz .LBB108_396
; %bb.395:
	v_mov_b32_e32 v124, 18
	ds_store_2addr_b64 v120, v[42:43], v[88:89] offset0:19 offset1:20
	ds_store_2addr_b64 v120, v[86:87], v[40:41] offset0:21 offset1:22
	;; [unrolled: 1-line block ×18, first 2 shown]
.LBB108_396:
	s_or_b32 exec_lo, exec_lo, s0
	s_delay_alu instid0(SALU_CYCLE_1)
	s_mov_b32 s0, exec_lo
	s_wait_storecnt_dscnt 0x0
	s_barrier_signal -1
	s_barrier_wait -1
	v_cmpx_lt_i32_e32 18, v124
	s_cbranch_execz .LBB108_398
; %bb.397:
	v_pk_mul_f32 v[126:127], v[118:119], v[44:45] op_sel:[1,1] op_sel_hi:[0,1]
	s_delay_alu instid0(VALU_DEP_1)
	v_pk_fma_f32 v[116:117], v[118:119], v[44:45], v[126:127] op_sel_hi:[1,0,1] neg_lo:[0,0,1] neg_hi:[0,0,1]
	v_pk_fma_f32 v[118:119], v[118:119], v[44:45], v[126:127] op_sel_hi:[1,0,1]
	ds_load_2addr_b64 v[126:129], v120 offset0:19 offset1:20
	v_dual_mov_b32 v44, v116 :: v_dual_mov_b32 v45, v119
	s_wait_dscnt 0x0
	v_pk_mul_f32 v[130:131], v[126:127], v[118:119] op_sel:[0,1]
	s_delay_alu instid0(VALU_DEP_1) | instskip(SKIP_1) | instid1(VALU_DEP_1)
	v_pk_fma_f32 v[132:133], v[126:127], v[116:117], v[130:131] op_sel:[0,0,1] op_sel_hi:[1,1,0] neg_lo:[0,0,1] neg_hi:[0,0,1]
	v_pk_fma_f32 v[126:127], v[126:127], v[116:117], v[130:131] op_sel:[0,0,1] op_sel_hi:[1,0,0]
	v_mov_b32_e32 v133, v127
	v_pk_mul_f32 v[126:127], v[128:129], v[118:119] op_sel:[0,1]
	s_delay_alu instid0(VALU_DEP_1) | instskip(SKIP_1) | instid1(VALU_DEP_1)
	v_pk_fma_f32 v[130:131], v[128:129], v[116:117], v[126:127] op_sel:[0,0,1] op_sel_hi:[1,1,0] neg_lo:[0,0,1] neg_hi:[0,0,1]
	v_pk_fma_f32 v[126:127], v[128:129], v[116:117], v[126:127] op_sel:[0,0,1] op_sel_hi:[1,0,0]
	v_mov_b32_e32 v131, v127
	ds_load_2addr_b64 v[126:129], v120 offset0:21 offset1:22
	v_pk_add_f32 v[42:43], v[42:43], v[132:133] neg_lo:[0,1] neg_hi:[0,1]
	v_pk_add_f32 v[88:89], v[88:89], v[130:131] neg_lo:[0,1] neg_hi:[0,1]
	s_wait_dscnt 0x0
	v_pk_mul_f32 v[130:131], v[126:127], v[118:119] op_sel:[0,1]
	s_delay_alu instid0(VALU_DEP_1) | instskip(SKIP_2) | instid1(VALU_DEP_2)
	v_pk_fma_f32 v[132:133], v[126:127], v[116:117], v[130:131] op_sel:[0,0,1] op_sel_hi:[1,1,0] neg_lo:[0,0,1] neg_hi:[0,0,1]
	v_pk_fma_f32 v[126:127], v[126:127], v[116:117], v[130:131] op_sel:[0,0,1] op_sel_hi:[1,0,0]
	v_dual_mul_f32 v130, v129, v119 :: v_dual_mov_b32 v126, v129
	v_dual_mov_b32 v133, v127 :: v_dual_mov_b32 v127, v128
	s_delay_alu instid0(VALU_DEP_2) | instskip(SKIP_1) | instid1(VALU_DEP_3)
	v_pk_fma_f32 v[130:131], v[128:129], v[44:45], v[130:131] op_sel_hi:[1,1,0] neg_lo:[0,0,1] neg_hi:[0,0,1]
	v_mul_f32_e32 v128, v129, v116
	v_pk_add_f32 v[86:87], v[86:87], v[132:133] neg_lo:[0,1] neg_hi:[0,1]
	s_delay_alu instid0(VALU_DEP_2) | instskip(NEXT) | instid1(VALU_DEP_1)
	v_pk_fma_f32 v[126:127], v[126:127], v[44:45], v[128:129] op_sel_hi:[1,1,0]
	v_mov_b32_e32 v131, v127
	ds_load_2addr_b64 v[126:129], v120 offset0:23 offset1:24
	v_pk_add_f32 v[40:41], v[40:41], v[130:131] neg_lo:[0,1] neg_hi:[0,1]
	s_wait_dscnt 0x0
	v_pk_mul_f32 v[130:131], v[126:127], v[118:119] op_sel:[0,1]
	s_delay_alu instid0(VALU_DEP_1) | instskip(SKIP_1) | instid1(VALU_DEP_1)
	v_pk_fma_f32 v[132:133], v[126:127], v[116:117], v[130:131] op_sel:[0,0,1] op_sel_hi:[1,1,0] neg_lo:[0,0,1] neg_hi:[0,0,1]
	v_pk_fma_f32 v[126:127], v[126:127], v[116:117], v[130:131] op_sel:[0,0,1] op_sel_hi:[1,0,0]
	v_mov_b32_e32 v133, v127
	v_pk_mul_f32 v[126:127], v[128:129], v[118:119] op_sel:[0,1]
	s_delay_alu instid0(VALU_DEP_1) | instskip(SKIP_1) | instid1(VALU_DEP_1)
	v_pk_fma_f32 v[130:131], v[128:129], v[116:117], v[126:127] op_sel:[0,0,1] op_sel_hi:[1,1,0] neg_lo:[0,0,1] neg_hi:[0,0,1]
	v_pk_fma_f32 v[126:127], v[128:129], v[116:117], v[126:127] op_sel:[0,0,1] op_sel_hi:[1,0,0]
	v_mov_b32_e32 v131, v127
	ds_load_2addr_b64 v[126:129], v120 offset0:25 offset1:26
	v_pk_add_f32 v[38:39], v[38:39], v[132:133] neg_lo:[0,1] neg_hi:[0,1]
	v_pk_add_f32 v[84:85], v[84:85], v[130:131] neg_lo:[0,1] neg_hi:[0,1]
	s_wait_dscnt 0x0
	v_pk_mul_f32 v[130:131], v[126:127], v[118:119] op_sel:[0,1]
	s_delay_alu instid0(VALU_DEP_1) | instskip(SKIP_1) | instid1(VALU_DEP_1)
	v_pk_fma_f32 v[132:133], v[126:127], v[116:117], v[130:131] op_sel:[0,0,1] op_sel_hi:[1,1,0] neg_lo:[0,0,1] neg_hi:[0,0,1]
	v_pk_fma_f32 v[126:127], v[126:127], v[116:117], v[130:131] op_sel:[0,0,1] op_sel_hi:[1,0,0]
	v_mov_b32_e32 v133, v127
	v_pk_mul_f32 v[126:127], v[128:129], v[118:119] op_sel:[0,1]
	s_delay_alu instid0(VALU_DEP_1) | instskip(SKIP_1) | instid1(VALU_DEP_1)
	v_pk_fma_f32 v[130:131], v[128:129], v[116:117], v[126:127] op_sel:[0,0,1] op_sel_hi:[1,1,0] neg_lo:[0,0,1] neg_hi:[0,0,1]
	v_pk_fma_f32 v[126:127], v[128:129], v[116:117], v[126:127] op_sel:[0,0,1] op_sel_hi:[1,0,0]
	v_mov_b32_e32 v131, v127
	ds_load_2addr_b64 v[126:129], v120 offset0:27 offset1:28
	v_pk_add_f32 v[82:83], v[82:83], v[132:133] neg_lo:[0,1] neg_hi:[0,1]
	v_pk_add_f32 v[36:37], v[36:37], v[130:131] neg_lo:[0,1] neg_hi:[0,1]
	s_wait_dscnt 0x0
	v_dual_mul_f32 v130, v127, v119 :: v_dual_mul_f32 v132, v127, v116
	s_delay_alu instid0(VALU_DEP_1) | instskip(NEXT) | instid1(VALU_DEP_2)
	v_pk_fma_f32 v[130:131], v[126:127], v[44:45], v[130:131] op_sel_hi:[1,1,0] neg_lo:[0,0,1] neg_hi:[0,0,1]
	v_pk_fma_f32 v[126:127], v[126:127], v[44:45], v[132:133] op_sel:[1,0,0] op_sel_hi:[0,1,0]
	s_delay_alu instid0(VALU_DEP_1) | instskip(SKIP_1) | instid1(VALU_DEP_2)
	v_mov_b32_e32 v131, v127
	v_pk_mul_f32 v[126:127], v[128:129], v[118:119] op_sel:[0,1]
	v_pk_add_f32 v[32:33], v[32:33], v[130:131] neg_lo:[0,1] neg_hi:[0,1]
	s_delay_alu instid0(VALU_DEP_2) | instskip(SKIP_1) | instid1(VALU_DEP_1)
	v_pk_fma_f32 v[130:131], v[128:129], v[116:117], v[126:127] op_sel:[0,0,1] op_sel_hi:[1,1,0] neg_lo:[0,0,1] neg_hi:[0,0,1]
	v_pk_fma_f32 v[126:127], v[128:129], v[116:117], v[126:127] op_sel:[0,0,1] op_sel_hi:[1,0,0]
	v_mov_b32_e32 v131, v127
	ds_load_2addr_b64 v[126:129], v120 offset0:29 offset1:30
	v_pk_add_f32 v[80:81], v[80:81], v[130:131] neg_lo:[0,1] neg_hi:[0,1]
	s_wait_dscnt 0x0
	v_pk_mul_f32 v[130:131], v[126:127], v[118:119] op_sel:[0,1]
	s_delay_alu instid0(VALU_DEP_1) | instskip(SKIP_1) | instid1(VALU_DEP_1)
	v_pk_fma_f32 v[132:133], v[126:127], v[116:117], v[130:131] op_sel:[0,0,1] op_sel_hi:[1,1,0] neg_lo:[0,0,1] neg_hi:[0,0,1]
	v_pk_fma_f32 v[126:127], v[126:127], v[116:117], v[130:131] op_sel:[0,0,1] op_sel_hi:[1,0,0]
	v_mov_b32_e32 v133, v127
	v_pk_mul_f32 v[126:127], v[128:129], v[118:119] op_sel:[0,1]
	s_delay_alu instid0(VALU_DEP_2) | instskip(NEXT) | instid1(VALU_DEP_2)
	v_pk_add_f32 v[78:79], v[78:79], v[132:133] neg_lo:[0,1] neg_hi:[0,1]
	v_pk_fma_f32 v[130:131], v[128:129], v[116:117], v[126:127] op_sel:[0,0,1] op_sel_hi:[1,1,0] neg_lo:[0,0,1] neg_hi:[0,0,1]
	v_pk_fma_f32 v[126:127], v[128:129], v[116:117], v[126:127] op_sel:[0,0,1] op_sel_hi:[1,0,0]
	s_delay_alu instid0(VALU_DEP_1) | instskip(SKIP_4) | instid1(VALU_DEP_1)
	v_mov_b32_e32 v131, v127
	ds_load_2addr_b64 v[126:129], v120 offset0:31 offset1:32
	v_pk_add_f32 v[28:29], v[28:29], v[130:131] neg_lo:[0,1] neg_hi:[0,1]
	s_wait_dscnt 0x0
	v_pk_mul_f32 v[130:131], v[126:127], v[118:119] op_sel:[0,1]
	v_pk_fma_f32 v[132:133], v[126:127], v[116:117], v[130:131] op_sel:[0,0,1] op_sel_hi:[1,1,0] neg_lo:[0,0,1] neg_hi:[0,0,1]
	v_pk_fma_f32 v[126:127], v[126:127], v[116:117], v[130:131] op_sel:[0,0,1] op_sel_hi:[1,0,0]
	v_dual_mul_f32 v130, v129, v119 :: v_dual_mov_b32 v126, v129
	s_delay_alu instid0(VALU_DEP_2) | instskip(NEXT) | instid1(VALU_DEP_2)
	v_dual_mov_b32 v133, v127 :: v_dual_mov_b32 v127, v128
	v_pk_fma_f32 v[130:131], v[128:129], v[44:45], v[130:131] op_sel_hi:[1,1,0] neg_lo:[0,0,1] neg_hi:[0,0,1]
	v_mul_f32_e32 v128, v129, v116
	s_delay_alu instid0(VALU_DEP_3) | instskip(NEXT) | instid1(VALU_DEP_2)
	v_pk_add_f32 v[26:27], v[26:27], v[132:133] neg_lo:[0,1] neg_hi:[0,1]
	v_pk_fma_f32 v[126:127], v[126:127], v[44:45], v[128:129] op_sel_hi:[1,1,0]
	s_delay_alu instid0(VALU_DEP_1) | instskip(SKIP_4) | instid1(VALU_DEP_1)
	v_mov_b32_e32 v131, v127
	ds_load_2addr_b64 v[126:129], v120 offset0:33 offset1:34
	v_pk_add_f32 v[76:77], v[76:77], v[130:131] neg_lo:[0,1] neg_hi:[0,1]
	s_wait_dscnt 0x0
	v_pk_mul_f32 v[130:131], v[126:127], v[118:119] op_sel:[0,1]
	v_pk_fma_f32 v[132:133], v[126:127], v[116:117], v[130:131] op_sel:[0,0,1] op_sel_hi:[1,1,0] neg_lo:[0,0,1] neg_hi:[0,0,1]
	v_pk_fma_f32 v[126:127], v[126:127], v[116:117], v[130:131] op_sel:[0,0,1] op_sel_hi:[1,0,0]
	s_delay_alu instid0(VALU_DEP_1) | instskip(SKIP_1) | instid1(VALU_DEP_1)
	v_mov_b32_e32 v133, v127
	v_pk_mul_f32 v[126:127], v[128:129], v[118:119] op_sel:[0,1]
	v_pk_fma_f32 v[130:131], v[128:129], v[116:117], v[126:127] op_sel:[0,0,1] op_sel_hi:[1,1,0] neg_lo:[0,0,1] neg_hi:[0,0,1]
	v_pk_fma_f32 v[126:127], v[128:129], v[116:117], v[126:127] op_sel:[0,0,1] op_sel_hi:[1,0,0]
	s_delay_alu instid0(VALU_DEP_1)
	v_mov_b32_e32 v131, v127
	ds_load_2addr_b64 v[126:129], v120 offset0:35 offset1:36
	v_pk_add_f32 v[74:75], v[74:75], v[132:133] neg_lo:[0,1] neg_hi:[0,1]
	v_pk_add_f32 v[22:23], v[22:23], v[130:131] neg_lo:[0,1] neg_hi:[0,1]
	s_wait_dscnt 0x0
	v_pk_mul_f32 v[130:131], v[126:127], v[118:119] op_sel:[0,1]
	s_delay_alu instid0(VALU_DEP_1) | instskip(SKIP_1) | instid1(VALU_DEP_1)
	v_pk_fma_f32 v[132:133], v[126:127], v[116:117], v[130:131] op_sel:[0,0,1] op_sel_hi:[1,1,0] neg_lo:[0,0,1] neg_hi:[0,0,1]
	v_pk_fma_f32 v[126:127], v[126:127], v[116:117], v[130:131] op_sel:[0,0,1] op_sel_hi:[1,0,0]
	v_mov_b32_e32 v133, v127
	v_pk_mul_f32 v[126:127], v[128:129], v[118:119] op_sel:[0,1]
	s_delay_alu instid0(VALU_DEP_1) | instskip(SKIP_1) | instid1(VALU_DEP_1)
	v_pk_fma_f32 v[130:131], v[128:129], v[116:117], v[126:127] op_sel:[0,0,1] op_sel_hi:[1,1,0] neg_lo:[0,0,1] neg_hi:[0,0,1]
	v_pk_fma_f32 v[126:127], v[128:129], v[116:117], v[126:127] op_sel:[0,0,1] op_sel_hi:[1,0,0]
	v_mov_b32_e32 v131, v127
	ds_load_2addr_b64 v[126:129], v120 offset0:37 offset1:38
	v_pk_add_f32 v[20:21], v[20:21], v[132:133] neg_lo:[0,1] neg_hi:[0,1]
	v_pk_add_f32 v[72:73], v[72:73], v[130:131] neg_lo:[0,1] neg_hi:[0,1]
	s_wait_dscnt 0x0
	v_dual_mul_f32 v130, v127, v119 :: v_dual_mul_f32 v132, v127, v116
	s_delay_alu instid0(VALU_DEP_1) | instskip(NEXT) | instid1(VALU_DEP_2)
	v_pk_fma_f32 v[130:131], v[126:127], v[44:45], v[130:131] op_sel_hi:[1,1,0] neg_lo:[0,0,1] neg_hi:[0,0,1]
	v_pk_fma_f32 v[126:127], v[126:127], v[44:45], v[132:133] op_sel:[1,0,0] op_sel_hi:[0,1,0]
	s_delay_alu instid0(VALU_DEP_1) | instskip(SKIP_1) | instid1(VALU_DEP_2)
	v_mov_b32_e32 v131, v127
	v_pk_mul_f32 v[126:127], v[128:129], v[118:119] op_sel:[0,1]
	v_pk_add_f32 v[70:71], v[70:71], v[130:131] neg_lo:[0,1] neg_hi:[0,1]
	s_delay_alu instid0(VALU_DEP_2) | instskip(SKIP_1) | instid1(VALU_DEP_1)
	v_pk_fma_f32 v[130:131], v[128:129], v[116:117], v[126:127] op_sel:[0,0,1] op_sel_hi:[1,1,0] neg_lo:[0,0,1] neg_hi:[0,0,1]
	v_pk_fma_f32 v[126:127], v[128:129], v[116:117], v[126:127] op_sel:[0,0,1] op_sel_hi:[1,0,0]
	v_mov_b32_e32 v131, v127
	ds_load_2addr_b64 v[126:129], v120 offset0:39 offset1:40
	v_pk_add_f32 v[18:19], v[18:19], v[130:131] neg_lo:[0,1] neg_hi:[0,1]
	s_wait_dscnt 0x0
	v_pk_mul_f32 v[130:131], v[126:127], v[118:119] op_sel:[0,1]
	s_delay_alu instid0(VALU_DEP_1) | instskip(SKIP_1) | instid1(VALU_DEP_1)
	v_pk_fma_f32 v[132:133], v[126:127], v[116:117], v[130:131] op_sel:[0,0,1] op_sel_hi:[1,1,0] neg_lo:[0,0,1] neg_hi:[0,0,1]
	v_pk_fma_f32 v[126:127], v[126:127], v[116:117], v[130:131] op_sel:[0,0,1] op_sel_hi:[1,0,0]
	v_mov_b32_e32 v133, v127
	v_pk_mul_f32 v[126:127], v[128:129], v[118:119] op_sel:[0,1]
	s_delay_alu instid0(VALU_DEP_2) | instskip(NEXT) | instid1(VALU_DEP_2)
	v_pk_add_f32 v[16:17], v[16:17], v[132:133] neg_lo:[0,1] neg_hi:[0,1]
	v_pk_fma_f32 v[130:131], v[128:129], v[116:117], v[126:127] op_sel:[0,0,1] op_sel_hi:[1,1,0] neg_lo:[0,0,1] neg_hi:[0,0,1]
	v_pk_fma_f32 v[126:127], v[128:129], v[116:117], v[126:127] op_sel:[0,0,1] op_sel_hi:[1,0,0]
	s_delay_alu instid0(VALU_DEP_1) | instskip(SKIP_4) | instid1(VALU_DEP_1)
	v_mov_b32_e32 v131, v127
	ds_load_2addr_b64 v[126:129], v120 offset0:41 offset1:42
	v_pk_add_f32 v[68:69], v[68:69], v[130:131] neg_lo:[0,1] neg_hi:[0,1]
	s_wait_dscnt 0x0
	v_pk_mul_f32 v[130:131], v[126:127], v[118:119] op_sel:[0,1]
	v_pk_fma_f32 v[132:133], v[126:127], v[116:117], v[130:131] op_sel:[0,0,1] op_sel_hi:[1,1,0] neg_lo:[0,0,1] neg_hi:[0,0,1]
	v_pk_fma_f32 v[126:127], v[126:127], v[116:117], v[130:131] op_sel:[0,0,1] op_sel_hi:[1,0,0]
	v_dual_mul_f32 v130, v129, v119 :: v_dual_mov_b32 v126, v129
	s_delay_alu instid0(VALU_DEP_2) | instskip(NEXT) | instid1(VALU_DEP_2)
	v_dual_mov_b32 v133, v127 :: v_dual_mov_b32 v127, v128
	v_pk_fma_f32 v[130:131], v[128:129], v[44:45], v[130:131] op_sel_hi:[1,1,0] neg_lo:[0,0,1] neg_hi:[0,0,1]
	v_mul_f32_e32 v128, v129, v116
	s_delay_alu instid0(VALU_DEP_3) | instskip(NEXT) | instid1(VALU_DEP_2)
	v_pk_add_f32 v[66:67], v[66:67], v[132:133] neg_lo:[0,1] neg_hi:[0,1]
	v_pk_fma_f32 v[126:127], v[126:127], v[44:45], v[128:129] op_sel_hi:[1,1,0]
	s_delay_alu instid0(VALU_DEP_1) | instskip(SKIP_4) | instid1(VALU_DEP_1)
	v_mov_b32_e32 v131, v127
	ds_load_2addr_b64 v[126:129], v120 offset0:43 offset1:44
	v_pk_add_f32 v[14:15], v[14:15], v[130:131] neg_lo:[0,1] neg_hi:[0,1]
	s_wait_dscnt 0x0
	v_pk_mul_f32 v[130:131], v[126:127], v[118:119] op_sel:[0,1]
	v_pk_fma_f32 v[132:133], v[126:127], v[116:117], v[130:131] op_sel:[0,0,1] op_sel_hi:[1,1,0] neg_lo:[0,0,1] neg_hi:[0,0,1]
	v_pk_fma_f32 v[126:127], v[126:127], v[116:117], v[130:131] op_sel:[0,0,1] op_sel_hi:[1,0,0]
	s_delay_alu instid0(VALU_DEP_1) | instskip(SKIP_1) | instid1(VALU_DEP_1)
	v_mov_b32_e32 v133, v127
	v_pk_mul_f32 v[126:127], v[128:129], v[118:119] op_sel:[0,1]
	v_pk_fma_f32 v[130:131], v[128:129], v[116:117], v[126:127] op_sel:[0,0,1] op_sel_hi:[1,1,0] neg_lo:[0,0,1] neg_hi:[0,0,1]
	v_pk_fma_f32 v[126:127], v[128:129], v[116:117], v[126:127] op_sel:[0,0,1] op_sel_hi:[1,0,0]
	s_delay_alu instid0(VALU_DEP_1)
	v_mov_b32_e32 v131, v127
	ds_load_2addr_b64 v[126:129], v120 offset0:45 offset1:46
	v_pk_add_f32 v[12:13], v[12:13], v[132:133] neg_lo:[0,1] neg_hi:[0,1]
	v_pk_add_f32 v[64:65], v[64:65], v[130:131] neg_lo:[0,1] neg_hi:[0,1]
	s_wait_dscnt 0x0
	v_pk_mul_f32 v[130:131], v[126:127], v[118:119] op_sel:[0,1]
	s_delay_alu instid0(VALU_DEP_1) | instskip(SKIP_1) | instid1(VALU_DEP_1)
	v_pk_fma_f32 v[132:133], v[126:127], v[116:117], v[130:131] op_sel:[0,0,1] op_sel_hi:[1,1,0] neg_lo:[0,0,1] neg_hi:[0,0,1]
	v_pk_fma_f32 v[126:127], v[126:127], v[116:117], v[130:131] op_sel:[0,0,1] op_sel_hi:[1,0,0]
	v_mov_b32_e32 v133, v127
	v_pk_mul_f32 v[126:127], v[128:129], v[118:119] op_sel:[0,1]
	s_delay_alu instid0(VALU_DEP_1) | instskip(SKIP_1) | instid1(VALU_DEP_1)
	v_pk_fma_f32 v[130:131], v[128:129], v[116:117], v[126:127] op_sel:[0,0,1] op_sel_hi:[1,1,0] neg_lo:[0,0,1] neg_hi:[0,0,1]
	v_pk_fma_f32 v[126:127], v[128:129], v[116:117], v[126:127] op_sel:[0,0,1] op_sel_hi:[1,0,0]
	v_mov_b32_e32 v131, v127
	ds_load_2addr_b64 v[126:129], v120 offset0:47 offset1:48
	v_pk_add_f32 v[62:63], v[62:63], v[132:133] neg_lo:[0,1] neg_hi:[0,1]
	v_pk_add_f32 v[10:11], v[10:11], v[130:131] neg_lo:[0,1] neg_hi:[0,1]
	s_wait_dscnt 0x0
	v_dual_mul_f32 v130, v127, v119 :: v_dual_mul_f32 v132, v127, v116
	s_delay_alu instid0(VALU_DEP_1) | instskip(NEXT) | instid1(VALU_DEP_2)
	v_pk_fma_f32 v[130:131], v[126:127], v[44:45], v[130:131] op_sel_hi:[1,1,0] neg_lo:[0,0,1] neg_hi:[0,0,1]
	v_pk_fma_f32 v[126:127], v[126:127], v[44:45], v[132:133] op_sel:[1,0,0] op_sel_hi:[0,1,0]
	s_delay_alu instid0(VALU_DEP_1) | instskip(SKIP_1) | instid1(VALU_DEP_2)
	v_mov_b32_e32 v131, v127
	v_pk_mul_f32 v[126:127], v[128:129], v[118:119] op_sel:[0,1]
	v_pk_add_f32 v[6:7], v[6:7], v[130:131] neg_lo:[0,1] neg_hi:[0,1]
	s_delay_alu instid0(VALU_DEP_2) | instskip(SKIP_1) | instid1(VALU_DEP_1)
	v_pk_fma_f32 v[130:131], v[128:129], v[116:117], v[126:127] op_sel:[0,0,1] op_sel_hi:[1,1,0] neg_lo:[0,0,1] neg_hi:[0,0,1]
	v_pk_fma_f32 v[126:127], v[128:129], v[116:117], v[126:127] op_sel:[0,0,1] op_sel_hi:[1,0,0]
	v_mov_b32_e32 v131, v127
	ds_load_2addr_b64 v[126:129], v120 offset0:49 offset1:50
	v_pk_add_f32 v[52:53], v[52:53], v[130:131] neg_lo:[0,1] neg_hi:[0,1]
	s_wait_dscnt 0x0
	v_pk_mul_f32 v[130:131], v[126:127], v[118:119] op_sel:[0,1]
	s_delay_alu instid0(VALU_DEP_1) | instskip(SKIP_1) | instid1(VALU_DEP_1)
	v_pk_fma_f32 v[132:133], v[126:127], v[116:117], v[130:131] op_sel:[0,0,1] op_sel_hi:[1,1,0] neg_lo:[0,0,1] neg_hi:[0,0,1]
	v_pk_fma_f32 v[126:127], v[126:127], v[116:117], v[130:131] op_sel:[0,0,1] op_sel_hi:[1,0,0]
	v_mov_b32_e32 v133, v127
	v_pk_mul_f32 v[126:127], v[128:129], v[118:119] op_sel:[0,1]
	s_delay_alu instid0(VALU_DEP_2) | instskip(NEXT) | instid1(VALU_DEP_2)
	v_pk_add_f32 v[50:51], v[50:51], v[132:133] neg_lo:[0,1] neg_hi:[0,1]
	v_pk_fma_f32 v[130:131], v[128:129], v[116:117], v[126:127] op_sel:[0,0,1] op_sel_hi:[1,1,0] neg_lo:[0,0,1] neg_hi:[0,0,1]
	v_pk_fma_f32 v[126:127], v[128:129], v[116:117], v[126:127] op_sel:[0,0,1] op_sel_hi:[1,0,0]
	s_delay_alu instid0(VALU_DEP_1) | instskip(SKIP_4) | instid1(VALU_DEP_1)
	v_mov_b32_e32 v131, v127
	ds_load_2addr_b64 v[126:129], v120 offset0:51 offset1:52
	v_pk_add_f32 v[8:9], v[8:9], v[130:131] neg_lo:[0,1] neg_hi:[0,1]
	s_wait_dscnt 0x0
	v_pk_mul_f32 v[130:131], v[126:127], v[118:119] op_sel:[0,1]
	v_pk_fma_f32 v[132:133], v[126:127], v[116:117], v[130:131] op_sel:[0,0,1] op_sel_hi:[1,1,0] neg_lo:[0,0,1] neg_hi:[0,0,1]
	v_pk_fma_f32 v[126:127], v[126:127], v[116:117], v[130:131] op_sel:[0,0,1] op_sel_hi:[1,0,0]
	v_dual_mul_f32 v130, v129, v119 :: v_dual_mov_b32 v126, v129
	s_delay_alu instid0(VALU_DEP_2) | instskip(NEXT) | instid1(VALU_DEP_2)
	v_dual_mov_b32 v133, v127 :: v_dual_mov_b32 v127, v128
	v_pk_fma_f32 v[130:131], v[128:129], v[44:45], v[130:131] op_sel_hi:[1,1,0] neg_lo:[0,0,1] neg_hi:[0,0,1]
	v_mul_f32_e32 v128, v129, v116
	s_delay_alu instid0(VALU_DEP_3) | instskip(NEXT) | instid1(VALU_DEP_2)
	v_pk_add_f32 v[30:31], v[30:31], v[132:133] neg_lo:[0,1] neg_hi:[0,1]
	v_pk_fma_f32 v[126:127], v[126:127], v[44:45], v[128:129] op_sel_hi:[1,1,0]
	s_delay_alu instid0(VALU_DEP_1)
	v_mov_b32_e32 v131, v127
	ds_load_2addr_b64 v[126:129], v120 offset0:53 offset1:54
	v_pk_add_f32 v[34:35], v[34:35], v[130:131] neg_lo:[0,1] neg_hi:[0,1]
	s_wait_dscnt 0x0
	v_pk_mul_f32 v[130:131], v[126:127], v[118:119] op_sel:[0,1]
	v_mul_f32_e32 v118, v129, v119
	s_delay_alu instid0(VALU_DEP_2) | instskip(SKIP_2) | instid1(VALU_DEP_4)
	v_pk_fma_f32 v[132:133], v[126:127], v[116:117], v[130:131] op_sel:[0,0,1] op_sel_hi:[1,1,0] neg_lo:[0,0,1] neg_hi:[0,0,1]
	v_pk_fma_f32 v[126:127], v[126:127], v[116:117], v[130:131] op_sel:[0,0,1] op_sel_hi:[1,0,0]
	v_dual_mov_b32 v126, v129 :: v_dual_mul_f32 v116, v129, v116
	v_pk_fma_f32 v[118:119], v[128:129], v[44:45], v[118:119] op_sel_hi:[1,1,0] neg_lo:[0,0,1] neg_hi:[0,0,1]
	s_delay_alu instid0(VALU_DEP_3) | instskip(NEXT) | instid1(VALU_DEP_1)
	v_dual_mov_b32 v133, v127 :: v_dual_mov_b32 v127, v128
	v_pk_add_f32 v[24:25], v[24:25], v[132:133] neg_lo:[0,1] neg_hi:[0,1]
	s_delay_alu instid0(VALU_DEP_2) | instskip(NEXT) | instid1(VALU_DEP_1)
	v_pk_fma_f32 v[116:117], v[126:127], v[44:45], v[116:117] op_sel_hi:[1,1,0]
	v_mov_b32_e32 v119, v117
	s_delay_alu instid0(VALU_DEP_1)
	v_pk_add_f32 v[114:115], v[114:115], v[118:119] neg_lo:[0,1] neg_hi:[0,1]
.LBB108_398:
	s_or_b32 exec_lo, exec_lo, s0
	v_lshl_add_u32 v116, v124, 3, v120
	s_barrier_signal -1
	s_barrier_wait -1
	ds_store_b64 v116, v[42:43]
	s_wait_dscnt 0x0
	s_barrier_signal -1
	s_barrier_wait -1
	ds_load_b64 v[118:119], v120 offset:152
	v_mov_b32_e32 v116, 19
	s_cmp_lt_i32 s18, 21
	s_cbranch_scc1 .LBB108_401
; %bb.399:
	v_add3_u32 v117, v121, 0, 0xa0
	v_mov_b32_e32 v116, 19
	s_mov_b32 s0, 20
.LBB108_400:                            ; =>This Inner Loop Header: Depth=1
	ds_load_b64 v[126:127], v117
	s_wait_dscnt 0x1
	v_cmp_gt_f32_e32 vcc_lo, 0, v118
	v_cndmask_b32_e64 v128, v118, -v118, vcc_lo
	v_cmp_gt_f32_e32 vcc_lo, 0, v119
	v_cndmask_b32_e64 v130, v119, -v119, vcc_lo
	s_wait_dscnt 0x0
	v_cmp_gt_f32_e32 vcc_lo, 0, v126
	v_cndmask_b32_e64 v129, v126, -v126, vcc_lo
	v_cmp_gt_f32_e32 vcc_lo, 0, v127
	v_cndmask_b32_e64 v131, v127, -v127, vcc_lo
	s_delay_alu instid0(VALU_DEP_1) | instskip(NEXT) | instid1(VALU_DEP_1)
	v_pk_add_f32 v[128:129], v[128:129], v[130:131]
	v_cmp_lt_f32_e32 vcc_lo, v128, v129
	v_dual_add_nc_u32 v117, 8, v117 :: v_dual_cndmask_b32 v119, v119, v127, vcc_lo
	v_cndmask_b32_e32 v118, v118, v126, vcc_lo
	v_cndmask_b32_e64 v116, v116, s0, vcc_lo
	s_add_co_i32 s0, s0, 1
	s_delay_alu instid0(SALU_CYCLE_1)
	s_cmp_lg_u32 s18, s0
	s_cbranch_scc1 .LBB108_400
.LBB108_401:
	s_wait_dscnt 0x0
	v_cmp_eq_f32_e32 vcc_lo, 0, v118
	v_cmp_eq_f32_e64 s0, 0, v119
	s_and_b32 s0, vcc_lo, s0
	s_delay_alu instid0(SALU_CYCLE_1) | instskip(NEXT) | instid1(SALU_CYCLE_1)
	s_and_saveexec_b32 s1, s0
	s_xor_b32 s0, exec_lo, s1
; %bb.402:
	v_cmp_ne_u32_e32 vcc_lo, 0, v122
	v_cndmask_b32_e32 v122, 20, v122, vcc_lo
; %bb.403:
	s_and_not1_saveexec_b32 s0, s0
	s_cbranch_execz .LBB108_409
; %bb.404:
	v_cmp_ngt_f32_e64 s1, |v118|, |v119|
	s_and_saveexec_b32 s12, s1
	s_delay_alu instid0(SALU_CYCLE_1)
	s_xor_b32 s1, exec_lo, s12
	s_cbranch_execz .LBB108_406
; %bb.405:
	v_div_scale_f32 v117, null, v119, v119, v118
	v_div_scale_f32 v127, vcc_lo, v118, v119, v118
	s_delay_alu instid0(VALU_DEP_2) | instskip(SKIP_1) | instid1(TRANS32_DEP_1)
	v_rcp_f32_e32 v125, v117
	v_nop
	v_fma_f32 v126, -v117, v125, 1.0
	s_delay_alu instid0(VALU_DEP_1) | instskip(NEXT) | instid1(VALU_DEP_1)
	v_fmac_f32_e32 v125, v126, v125
	v_mul_f32_e32 v126, v127, v125
	s_delay_alu instid0(VALU_DEP_1) | instskip(NEXT) | instid1(VALU_DEP_1)
	v_fma_f32 v128, -v117, v126, v127
	v_fmac_f32_e32 v126, v128, v125
	s_delay_alu instid0(VALU_DEP_1) | instskip(NEXT) | instid1(VALU_DEP_1)
	v_fma_f32 v117, -v117, v126, v127
	v_div_fmas_f32 v117, v117, v125, v126
	s_delay_alu instid0(VALU_DEP_1) | instskip(NEXT) | instid1(VALU_DEP_1)
	v_div_fixup_f32 v117, v117, v119, v118
	v_fmac_f32_e32 v119, v118, v117
	s_delay_alu instid0(VALU_DEP_1) | instskip(SKIP_1) | instid1(VALU_DEP_2)
	v_div_scale_f32 v118, null, v119, v119, 1.0
	v_div_scale_f32 v127, vcc_lo, 1.0, v119, 1.0
	v_rcp_f32_e32 v125, v118
	v_nop
	s_delay_alu instid0(TRANS32_DEP_1) | instskip(NEXT) | instid1(VALU_DEP_1)
	v_fma_f32 v126, -v118, v125, 1.0
	v_fmac_f32_e32 v125, v126, v125
	s_delay_alu instid0(VALU_DEP_1) | instskip(NEXT) | instid1(VALU_DEP_1)
	v_mul_f32_e32 v126, v127, v125
	v_fma_f32 v128, -v118, v126, v127
	s_delay_alu instid0(VALU_DEP_1) | instskip(NEXT) | instid1(VALU_DEP_1)
	v_fmac_f32_e32 v126, v128, v125
	v_fma_f32 v118, -v118, v126, v127
	s_delay_alu instid0(VALU_DEP_1) | instskip(NEXT) | instid1(VALU_DEP_1)
	v_div_fmas_f32 v118, v118, v125, v126
	v_div_fixup_f32 v119, v118, v119, 1.0
	s_delay_alu instid0(VALU_DEP_1)
	v_mul_f32_e32 v118, v117, v119
	v_xor_b32_e32 v119, 0x80000000, v119
.LBB108_406:
	s_and_not1_saveexec_b32 s1, s1
	s_cbranch_execz .LBB108_408
; %bb.407:
	s_delay_alu instid0(VALU_DEP_1) | instskip(SKIP_1) | instid1(VALU_DEP_2)
	v_div_scale_f32 v117, null, v118, v118, v119
	v_div_scale_f32 v127, vcc_lo, v119, v118, v119
	v_rcp_f32_e32 v125, v117
	v_nop
	s_delay_alu instid0(TRANS32_DEP_1) | instskip(NEXT) | instid1(VALU_DEP_1)
	v_fma_f32 v126, -v117, v125, 1.0
	v_fmac_f32_e32 v125, v126, v125
	s_delay_alu instid0(VALU_DEP_1) | instskip(NEXT) | instid1(VALU_DEP_1)
	v_mul_f32_e32 v126, v127, v125
	v_fma_f32 v128, -v117, v126, v127
	s_delay_alu instid0(VALU_DEP_1) | instskip(NEXT) | instid1(VALU_DEP_1)
	v_fmac_f32_e32 v126, v128, v125
	v_fma_f32 v117, -v117, v126, v127
	s_delay_alu instid0(VALU_DEP_1) | instskip(NEXT) | instid1(VALU_DEP_1)
	v_div_fmas_f32 v117, v117, v125, v126
	v_div_fixup_f32 v117, v117, v118, v119
	s_delay_alu instid0(VALU_DEP_1) | instskip(NEXT) | instid1(VALU_DEP_1)
	v_fmac_f32_e32 v118, v119, v117
	v_div_scale_f32 v119, null, v118, v118, 1.0
	s_delay_alu instid0(VALU_DEP_1) | instskip(SKIP_1) | instid1(TRANS32_DEP_1)
	v_rcp_f32_e32 v125, v119
	v_nop
	v_fma_f32 v126, -v119, v125, 1.0
	s_delay_alu instid0(VALU_DEP_1) | instskip(SKIP_1) | instid1(VALU_DEP_1)
	v_fmac_f32_e32 v125, v126, v125
	v_div_scale_f32 v126, vcc_lo, 1.0, v118, 1.0
	v_mul_f32_e32 v127, v126, v125
	s_delay_alu instid0(VALU_DEP_1) | instskip(NEXT) | instid1(VALU_DEP_1)
	v_fma_f32 v128, -v119, v127, v126
	v_fmac_f32_e32 v127, v128, v125
	s_delay_alu instid0(VALU_DEP_1) | instskip(NEXT) | instid1(VALU_DEP_1)
	v_fma_f32 v119, -v119, v127, v126
	v_div_fmas_f32 v119, v119, v125, v127
	s_delay_alu instid0(VALU_DEP_1) | instskip(NEXT) | instid1(VALU_DEP_1)
	v_div_fixup_f32 v118, v119, v118, 1.0
	v_mul_f32_e64 v119, v117, -v118
.LBB108_408:
	s_or_b32 exec_lo, exec_lo, s1
.LBB108_409:
	s_delay_alu instid0(SALU_CYCLE_1) | instskip(NEXT) | instid1(SALU_CYCLE_1)
	s_or_b32 exec_lo, exec_lo, s0
	s_mov_b32 s0, exec_lo
	v_cmpx_ne_u32_e64 v124, v116
	s_xor_b32 s0, exec_lo, s0
	s_cbranch_execz .LBB108_415
; %bb.410:
	s_mov_b32 s1, exec_lo
	v_cmpx_eq_u32_e32 19, v124
	s_cbranch_execz .LBB108_414
; %bb.411:
	v_cmp_ne_u32_e32 vcc_lo, 19, v116
	s_xor_b32 s12, s16, -1
	s_delay_alu instid0(SALU_CYCLE_1) | instskip(NEXT) | instid1(SALU_CYCLE_1)
	s_and_b32 s13, s12, vcc_lo
	s_and_saveexec_b32 s12, s13
	s_cbranch_execz .LBB108_413
; %bb.412:
	v_ashrrev_i32_e32 v117, 31, v116
	s_delay_alu instid0(VALU_DEP_1)
	v_lshl_add_u64 v[124:125], v[116:117], 2, v[4:5]
	s_clause 0x1
	global_load_b32 v117, v[124:125], off
	global_load_b32 v123, v[4:5], off offset:76
	s_wait_loadcnt 0x1
	global_store_b32 v[4:5], v117, off offset:76
	s_wait_loadcnt 0x0
	global_store_b32 v[124:125], v123, off
.LBB108_413:
	s_wait_xcnt 0x0
	s_or_b32 exec_lo, exec_lo, s12
	v_dual_mov_b32 v124, v116 :: v_dual_mov_b32 v123, v116
.LBB108_414:
	s_or_b32 exec_lo, exec_lo, s1
.LBB108_415:
	s_and_not1_saveexec_b32 s0, s0
	s_cbranch_execz .LBB108_417
; %bb.416:
	v_dual_mov_b32 v116, v88 :: v_dual_mov_b32 v117, v89
	v_dual_mov_b32 v124, v86 :: v_dual_mov_b32 v125, v87
	ds_store_2addr_b64 v120, v[116:117], v[124:125] offset0:20 offset1:21
	v_dual_mov_b32 v116, v40 :: v_dual_mov_b32 v117, v41
	v_dual_mov_b32 v124, v38 :: v_dual_mov_b32 v125, v39
	ds_store_2addr_b64 v120, v[116:117], v[124:125] offset0:22 offset1:23
	;; [unrolled: 3-line block ×17, first 2 shown]
	ds_store_b64 v120, v[114:115] offset:432
	v_mov_b32_e32 v124, 19
.LBB108_417:
	s_or_b32 exec_lo, exec_lo, s0
	s_delay_alu instid0(SALU_CYCLE_1)
	s_mov_b32 s0, exec_lo
	s_wait_storecnt_dscnt 0x0
	s_barrier_signal -1
	s_barrier_wait -1
	v_cmpx_lt_i32_e32 19, v124
	s_cbranch_execz .LBB108_419
; %bb.418:
	v_pk_mul_f32 v[126:127], v[118:119], v[42:43] op_sel:[1,1] op_sel_hi:[0,1]
	s_delay_alu instid0(VALU_DEP_1)
	v_pk_fma_f32 v[116:117], v[118:119], v[42:43], v[126:127] op_sel_hi:[1,0,1] neg_lo:[0,0,1] neg_hi:[0,0,1]
	v_pk_fma_f32 v[118:119], v[118:119], v[42:43], v[126:127] op_sel_hi:[1,0,1]
	ds_load_2addr_b64 v[126:129], v120 offset0:20 offset1:21
	v_dual_mov_b32 v42, v116 :: v_dual_mov_b32 v43, v119
	s_wait_dscnt 0x0
	v_pk_mul_f32 v[130:131], v[126:127], v[118:119] op_sel:[0,1]
	s_delay_alu instid0(VALU_DEP_1) | instskip(SKIP_1) | instid1(VALU_DEP_1)
	v_pk_fma_f32 v[132:133], v[126:127], v[116:117], v[130:131] op_sel:[0,0,1] op_sel_hi:[1,1,0] neg_lo:[0,0,1] neg_hi:[0,0,1]
	v_pk_fma_f32 v[126:127], v[126:127], v[116:117], v[130:131] op_sel:[0,0,1] op_sel_hi:[1,0,0]
	v_mov_b32_e32 v133, v127
	v_pk_mul_f32 v[126:127], v[128:129], v[118:119] op_sel:[0,1]
	s_delay_alu instid0(VALU_DEP_1) | instskip(SKIP_1) | instid1(VALU_DEP_1)
	v_pk_fma_f32 v[130:131], v[128:129], v[116:117], v[126:127] op_sel:[0,0,1] op_sel_hi:[1,1,0] neg_lo:[0,0,1] neg_hi:[0,0,1]
	v_pk_fma_f32 v[126:127], v[128:129], v[116:117], v[126:127] op_sel:[0,0,1] op_sel_hi:[1,0,0]
	v_mov_b32_e32 v131, v127
	ds_load_2addr_b64 v[126:129], v120 offset0:22 offset1:23
	v_pk_add_f32 v[88:89], v[88:89], v[132:133] neg_lo:[0,1] neg_hi:[0,1]
	v_pk_add_f32 v[86:87], v[86:87], v[130:131] neg_lo:[0,1] neg_hi:[0,1]
	s_wait_dscnt 0x0
	v_pk_mul_f32 v[130:131], v[126:127], v[118:119] op_sel:[0,1]
	s_delay_alu instid0(VALU_DEP_1) | instskip(SKIP_2) | instid1(VALU_DEP_2)
	v_pk_fma_f32 v[132:133], v[126:127], v[116:117], v[130:131] op_sel:[0,0,1] op_sel_hi:[1,1,0] neg_lo:[0,0,1] neg_hi:[0,0,1]
	v_pk_fma_f32 v[126:127], v[126:127], v[116:117], v[130:131] op_sel:[0,0,1] op_sel_hi:[1,0,0]
	v_dual_mul_f32 v130, v129, v119 :: v_dual_mov_b32 v126, v129
	v_dual_mov_b32 v133, v127 :: v_dual_mov_b32 v127, v128
	s_delay_alu instid0(VALU_DEP_2) | instskip(SKIP_1) | instid1(VALU_DEP_3)
	v_pk_fma_f32 v[130:131], v[128:129], v[42:43], v[130:131] op_sel_hi:[1,1,0] neg_lo:[0,0,1] neg_hi:[0,0,1]
	v_mul_f32_e32 v128, v129, v116
	v_pk_add_f32 v[40:41], v[40:41], v[132:133] neg_lo:[0,1] neg_hi:[0,1]
	s_delay_alu instid0(VALU_DEP_2) | instskip(NEXT) | instid1(VALU_DEP_1)
	v_pk_fma_f32 v[126:127], v[126:127], v[42:43], v[128:129] op_sel_hi:[1,1,0]
	v_mov_b32_e32 v131, v127
	ds_load_2addr_b64 v[126:129], v120 offset0:24 offset1:25
	v_pk_add_f32 v[38:39], v[38:39], v[130:131] neg_lo:[0,1] neg_hi:[0,1]
	s_wait_dscnt 0x0
	v_pk_mul_f32 v[130:131], v[126:127], v[118:119] op_sel:[0,1]
	s_delay_alu instid0(VALU_DEP_1) | instskip(SKIP_1) | instid1(VALU_DEP_1)
	v_pk_fma_f32 v[132:133], v[126:127], v[116:117], v[130:131] op_sel:[0,0,1] op_sel_hi:[1,1,0] neg_lo:[0,0,1] neg_hi:[0,0,1]
	v_pk_fma_f32 v[126:127], v[126:127], v[116:117], v[130:131] op_sel:[0,0,1] op_sel_hi:[1,0,0]
	v_mov_b32_e32 v133, v127
	v_pk_mul_f32 v[126:127], v[128:129], v[118:119] op_sel:[0,1]
	s_delay_alu instid0(VALU_DEP_1) | instskip(SKIP_1) | instid1(VALU_DEP_1)
	v_pk_fma_f32 v[130:131], v[128:129], v[116:117], v[126:127] op_sel:[0,0,1] op_sel_hi:[1,1,0] neg_lo:[0,0,1] neg_hi:[0,0,1]
	v_pk_fma_f32 v[126:127], v[128:129], v[116:117], v[126:127] op_sel:[0,0,1] op_sel_hi:[1,0,0]
	v_mov_b32_e32 v131, v127
	ds_load_2addr_b64 v[126:129], v120 offset0:26 offset1:27
	v_pk_add_f32 v[84:85], v[84:85], v[132:133] neg_lo:[0,1] neg_hi:[0,1]
	v_pk_add_f32 v[82:83], v[82:83], v[130:131] neg_lo:[0,1] neg_hi:[0,1]
	s_wait_dscnt 0x0
	v_pk_mul_f32 v[130:131], v[126:127], v[118:119] op_sel:[0,1]
	s_delay_alu instid0(VALU_DEP_1) | instskip(SKIP_1) | instid1(VALU_DEP_1)
	v_pk_fma_f32 v[132:133], v[126:127], v[116:117], v[130:131] op_sel:[0,0,1] op_sel_hi:[1,1,0] neg_lo:[0,0,1] neg_hi:[0,0,1]
	v_pk_fma_f32 v[126:127], v[126:127], v[116:117], v[130:131] op_sel:[0,0,1] op_sel_hi:[1,0,0]
	v_mov_b32_e32 v133, v127
	v_pk_mul_f32 v[126:127], v[128:129], v[118:119] op_sel:[0,1]
	s_delay_alu instid0(VALU_DEP_1) | instskip(SKIP_1) | instid1(VALU_DEP_1)
	v_pk_fma_f32 v[130:131], v[128:129], v[116:117], v[126:127] op_sel:[0,0,1] op_sel_hi:[1,1,0] neg_lo:[0,0,1] neg_hi:[0,0,1]
	v_pk_fma_f32 v[126:127], v[128:129], v[116:117], v[126:127] op_sel:[0,0,1] op_sel_hi:[1,0,0]
	v_mov_b32_e32 v131, v127
	ds_load_2addr_b64 v[126:129], v120 offset0:28 offset1:29
	v_pk_add_f32 v[36:37], v[36:37], v[132:133] neg_lo:[0,1] neg_hi:[0,1]
	v_pk_add_f32 v[32:33], v[32:33], v[130:131] neg_lo:[0,1] neg_hi:[0,1]
	s_wait_dscnt 0x0
	v_dual_mul_f32 v130, v127, v119 :: v_dual_mul_f32 v132, v127, v116
	s_delay_alu instid0(VALU_DEP_1) | instskip(NEXT) | instid1(VALU_DEP_2)
	v_pk_fma_f32 v[130:131], v[126:127], v[42:43], v[130:131] op_sel_hi:[1,1,0] neg_lo:[0,0,1] neg_hi:[0,0,1]
	v_pk_fma_f32 v[126:127], v[126:127], v[42:43], v[132:133] op_sel:[1,0,0] op_sel_hi:[0,1,0]
	s_delay_alu instid0(VALU_DEP_1) | instskip(SKIP_1) | instid1(VALU_DEP_2)
	v_mov_b32_e32 v131, v127
	v_pk_mul_f32 v[126:127], v[128:129], v[118:119] op_sel:[0,1]
	v_pk_add_f32 v[80:81], v[80:81], v[130:131] neg_lo:[0,1] neg_hi:[0,1]
	s_delay_alu instid0(VALU_DEP_2) | instskip(SKIP_1) | instid1(VALU_DEP_1)
	v_pk_fma_f32 v[130:131], v[128:129], v[116:117], v[126:127] op_sel:[0,0,1] op_sel_hi:[1,1,0] neg_lo:[0,0,1] neg_hi:[0,0,1]
	v_pk_fma_f32 v[126:127], v[128:129], v[116:117], v[126:127] op_sel:[0,0,1] op_sel_hi:[1,0,0]
	v_mov_b32_e32 v131, v127
	ds_load_2addr_b64 v[126:129], v120 offset0:30 offset1:31
	v_pk_add_f32 v[78:79], v[78:79], v[130:131] neg_lo:[0,1] neg_hi:[0,1]
	s_wait_dscnt 0x0
	v_pk_mul_f32 v[130:131], v[126:127], v[118:119] op_sel:[0,1]
	s_delay_alu instid0(VALU_DEP_1) | instskip(SKIP_1) | instid1(VALU_DEP_1)
	v_pk_fma_f32 v[132:133], v[126:127], v[116:117], v[130:131] op_sel:[0,0,1] op_sel_hi:[1,1,0] neg_lo:[0,0,1] neg_hi:[0,0,1]
	v_pk_fma_f32 v[126:127], v[126:127], v[116:117], v[130:131] op_sel:[0,0,1] op_sel_hi:[1,0,0]
	v_mov_b32_e32 v133, v127
	v_pk_mul_f32 v[126:127], v[128:129], v[118:119] op_sel:[0,1]
	s_delay_alu instid0(VALU_DEP_2) | instskip(NEXT) | instid1(VALU_DEP_2)
	v_pk_add_f32 v[28:29], v[28:29], v[132:133] neg_lo:[0,1] neg_hi:[0,1]
	v_pk_fma_f32 v[130:131], v[128:129], v[116:117], v[126:127] op_sel:[0,0,1] op_sel_hi:[1,1,0] neg_lo:[0,0,1] neg_hi:[0,0,1]
	v_pk_fma_f32 v[126:127], v[128:129], v[116:117], v[126:127] op_sel:[0,0,1] op_sel_hi:[1,0,0]
	s_delay_alu instid0(VALU_DEP_1) | instskip(SKIP_4) | instid1(VALU_DEP_1)
	v_mov_b32_e32 v131, v127
	ds_load_2addr_b64 v[126:129], v120 offset0:32 offset1:33
	v_pk_add_f32 v[26:27], v[26:27], v[130:131] neg_lo:[0,1] neg_hi:[0,1]
	s_wait_dscnt 0x0
	v_pk_mul_f32 v[130:131], v[126:127], v[118:119] op_sel:[0,1]
	v_pk_fma_f32 v[132:133], v[126:127], v[116:117], v[130:131] op_sel:[0,0,1] op_sel_hi:[1,1,0] neg_lo:[0,0,1] neg_hi:[0,0,1]
	v_pk_fma_f32 v[126:127], v[126:127], v[116:117], v[130:131] op_sel:[0,0,1] op_sel_hi:[1,0,0]
	v_dual_mul_f32 v130, v129, v119 :: v_dual_mov_b32 v126, v129
	s_delay_alu instid0(VALU_DEP_2) | instskip(NEXT) | instid1(VALU_DEP_2)
	v_dual_mov_b32 v133, v127 :: v_dual_mov_b32 v127, v128
	v_pk_fma_f32 v[130:131], v[128:129], v[42:43], v[130:131] op_sel_hi:[1,1,0] neg_lo:[0,0,1] neg_hi:[0,0,1]
	v_mul_f32_e32 v128, v129, v116
	s_delay_alu instid0(VALU_DEP_3) | instskip(NEXT) | instid1(VALU_DEP_2)
	v_pk_add_f32 v[76:77], v[76:77], v[132:133] neg_lo:[0,1] neg_hi:[0,1]
	v_pk_fma_f32 v[126:127], v[126:127], v[42:43], v[128:129] op_sel_hi:[1,1,0]
	s_delay_alu instid0(VALU_DEP_1) | instskip(SKIP_4) | instid1(VALU_DEP_1)
	v_mov_b32_e32 v131, v127
	ds_load_2addr_b64 v[126:129], v120 offset0:34 offset1:35
	v_pk_add_f32 v[74:75], v[74:75], v[130:131] neg_lo:[0,1] neg_hi:[0,1]
	s_wait_dscnt 0x0
	v_pk_mul_f32 v[130:131], v[126:127], v[118:119] op_sel:[0,1]
	v_pk_fma_f32 v[132:133], v[126:127], v[116:117], v[130:131] op_sel:[0,0,1] op_sel_hi:[1,1,0] neg_lo:[0,0,1] neg_hi:[0,0,1]
	v_pk_fma_f32 v[126:127], v[126:127], v[116:117], v[130:131] op_sel:[0,0,1] op_sel_hi:[1,0,0]
	s_delay_alu instid0(VALU_DEP_1) | instskip(SKIP_1) | instid1(VALU_DEP_1)
	v_mov_b32_e32 v133, v127
	v_pk_mul_f32 v[126:127], v[128:129], v[118:119] op_sel:[0,1]
	v_pk_fma_f32 v[130:131], v[128:129], v[116:117], v[126:127] op_sel:[0,0,1] op_sel_hi:[1,1,0] neg_lo:[0,0,1] neg_hi:[0,0,1]
	v_pk_fma_f32 v[126:127], v[128:129], v[116:117], v[126:127] op_sel:[0,0,1] op_sel_hi:[1,0,0]
	s_delay_alu instid0(VALU_DEP_1)
	v_mov_b32_e32 v131, v127
	ds_load_2addr_b64 v[126:129], v120 offset0:36 offset1:37
	v_pk_add_f32 v[22:23], v[22:23], v[132:133] neg_lo:[0,1] neg_hi:[0,1]
	v_pk_add_f32 v[20:21], v[20:21], v[130:131] neg_lo:[0,1] neg_hi:[0,1]
	s_wait_dscnt 0x0
	v_pk_mul_f32 v[130:131], v[126:127], v[118:119] op_sel:[0,1]
	s_delay_alu instid0(VALU_DEP_1) | instskip(SKIP_1) | instid1(VALU_DEP_1)
	v_pk_fma_f32 v[132:133], v[126:127], v[116:117], v[130:131] op_sel:[0,0,1] op_sel_hi:[1,1,0] neg_lo:[0,0,1] neg_hi:[0,0,1]
	v_pk_fma_f32 v[126:127], v[126:127], v[116:117], v[130:131] op_sel:[0,0,1] op_sel_hi:[1,0,0]
	v_mov_b32_e32 v133, v127
	v_pk_mul_f32 v[126:127], v[128:129], v[118:119] op_sel:[0,1]
	s_delay_alu instid0(VALU_DEP_1) | instskip(SKIP_1) | instid1(VALU_DEP_1)
	v_pk_fma_f32 v[130:131], v[128:129], v[116:117], v[126:127] op_sel:[0,0,1] op_sel_hi:[1,1,0] neg_lo:[0,0,1] neg_hi:[0,0,1]
	v_pk_fma_f32 v[126:127], v[128:129], v[116:117], v[126:127] op_sel:[0,0,1] op_sel_hi:[1,0,0]
	v_mov_b32_e32 v131, v127
	ds_load_2addr_b64 v[126:129], v120 offset0:38 offset1:39
	v_pk_add_f32 v[72:73], v[72:73], v[132:133] neg_lo:[0,1] neg_hi:[0,1]
	v_pk_add_f32 v[70:71], v[70:71], v[130:131] neg_lo:[0,1] neg_hi:[0,1]
	s_wait_dscnt 0x0
	v_dual_mul_f32 v130, v127, v119 :: v_dual_mul_f32 v132, v127, v116
	s_delay_alu instid0(VALU_DEP_1) | instskip(NEXT) | instid1(VALU_DEP_2)
	v_pk_fma_f32 v[130:131], v[126:127], v[42:43], v[130:131] op_sel_hi:[1,1,0] neg_lo:[0,0,1] neg_hi:[0,0,1]
	v_pk_fma_f32 v[126:127], v[126:127], v[42:43], v[132:133] op_sel:[1,0,0] op_sel_hi:[0,1,0]
	s_delay_alu instid0(VALU_DEP_1) | instskip(SKIP_1) | instid1(VALU_DEP_2)
	v_mov_b32_e32 v131, v127
	v_pk_mul_f32 v[126:127], v[128:129], v[118:119] op_sel:[0,1]
	v_pk_add_f32 v[18:19], v[18:19], v[130:131] neg_lo:[0,1] neg_hi:[0,1]
	s_delay_alu instid0(VALU_DEP_2) | instskip(SKIP_1) | instid1(VALU_DEP_1)
	v_pk_fma_f32 v[130:131], v[128:129], v[116:117], v[126:127] op_sel:[0,0,1] op_sel_hi:[1,1,0] neg_lo:[0,0,1] neg_hi:[0,0,1]
	v_pk_fma_f32 v[126:127], v[128:129], v[116:117], v[126:127] op_sel:[0,0,1] op_sel_hi:[1,0,0]
	v_mov_b32_e32 v131, v127
	ds_load_2addr_b64 v[126:129], v120 offset0:40 offset1:41
	v_pk_add_f32 v[16:17], v[16:17], v[130:131] neg_lo:[0,1] neg_hi:[0,1]
	s_wait_dscnt 0x0
	v_pk_mul_f32 v[130:131], v[126:127], v[118:119] op_sel:[0,1]
	s_delay_alu instid0(VALU_DEP_1) | instskip(SKIP_1) | instid1(VALU_DEP_1)
	v_pk_fma_f32 v[132:133], v[126:127], v[116:117], v[130:131] op_sel:[0,0,1] op_sel_hi:[1,1,0] neg_lo:[0,0,1] neg_hi:[0,0,1]
	v_pk_fma_f32 v[126:127], v[126:127], v[116:117], v[130:131] op_sel:[0,0,1] op_sel_hi:[1,0,0]
	v_mov_b32_e32 v133, v127
	v_pk_mul_f32 v[126:127], v[128:129], v[118:119] op_sel:[0,1]
	s_delay_alu instid0(VALU_DEP_2) | instskip(NEXT) | instid1(VALU_DEP_2)
	v_pk_add_f32 v[68:69], v[68:69], v[132:133] neg_lo:[0,1] neg_hi:[0,1]
	v_pk_fma_f32 v[130:131], v[128:129], v[116:117], v[126:127] op_sel:[0,0,1] op_sel_hi:[1,1,0] neg_lo:[0,0,1] neg_hi:[0,0,1]
	v_pk_fma_f32 v[126:127], v[128:129], v[116:117], v[126:127] op_sel:[0,0,1] op_sel_hi:[1,0,0]
	s_delay_alu instid0(VALU_DEP_1) | instskip(SKIP_4) | instid1(VALU_DEP_1)
	v_mov_b32_e32 v131, v127
	ds_load_2addr_b64 v[126:129], v120 offset0:42 offset1:43
	v_pk_add_f32 v[66:67], v[66:67], v[130:131] neg_lo:[0,1] neg_hi:[0,1]
	s_wait_dscnt 0x0
	v_pk_mul_f32 v[130:131], v[126:127], v[118:119] op_sel:[0,1]
	v_pk_fma_f32 v[132:133], v[126:127], v[116:117], v[130:131] op_sel:[0,0,1] op_sel_hi:[1,1,0] neg_lo:[0,0,1] neg_hi:[0,0,1]
	v_pk_fma_f32 v[126:127], v[126:127], v[116:117], v[130:131] op_sel:[0,0,1] op_sel_hi:[1,0,0]
	v_dual_mul_f32 v130, v129, v119 :: v_dual_mov_b32 v126, v129
	s_delay_alu instid0(VALU_DEP_2) | instskip(NEXT) | instid1(VALU_DEP_2)
	v_dual_mov_b32 v133, v127 :: v_dual_mov_b32 v127, v128
	v_pk_fma_f32 v[130:131], v[128:129], v[42:43], v[130:131] op_sel_hi:[1,1,0] neg_lo:[0,0,1] neg_hi:[0,0,1]
	v_mul_f32_e32 v128, v129, v116
	s_delay_alu instid0(VALU_DEP_3) | instskip(NEXT) | instid1(VALU_DEP_2)
	v_pk_add_f32 v[14:15], v[14:15], v[132:133] neg_lo:[0,1] neg_hi:[0,1]
	v_pk_fma_f32 v[126:127], v[126:127], v[42:43], v[128:129] op_sel_hi:[1,1,0]
	s_delay_alu instid0(VALU_DEP_1) | instskip(SKIP_4) | instid1(VALU_DEP_1)
	v_mov_b32_e32 v131, v127
	ds_load_2addr_b64 v[126:129], v120 offset0:44 offset1:45
	v_pk_add_f32 v[12:13], v[12:13], v[130:131] neg_lo:[0,1] neg_hi:[0,1]
	s_wait_dscnt 0x0
	v_pk_mul_f32 v[130:131], v[126:127], v[118:119] op_sel:[0,1]
	v_pk_fma_f32 v[132:133], v[126:127], v[116:117], v[130:131] op_sel:[0,0,1] op_sel_hi:[1,1,0] neg_lo:[0,0,1] neg_hi:[0,0,1]
	v_pk_fma_f32 v[126:127], v[126:127], v[116:117], v[130:131] op_sel:[0,0,1] op_sel_hi:[1,0,0]
	s_delay_alu instid0(VALU_DEP_1) | instskip(SKIP_1) | instid1(VALU_DEP_1)
	v_mov_b32_e32 v133, v127
	v_pk_mul_f32 v[126:127], v[128:129], v[118:119] op_sel:[0,1]
	v_pk_fma_f32 v[130:131], v[128:129], v[116:117], v[126:127] op_sel:[0,0,1] op_sel_hi:[1,1,0] neg_lo:[0,0,1] neg_hi:[0,0,1]
	v_pk_fma_f32 v[126:127], v[128:129], v[116:117], v[126:127] op_sel:[0,0,1] op_sel_hi:[1,0,0]
	s_delay_alu instid0(VALU_DEP_1)
	v_mov_b32_e32 v131, v127
	ds_load_2addr_b64 v[126:129], v120 offset0:46 offset1:47
	v_pk_add_f32 v[64:65], v[64:65], v[132:133] neg_lo:[0,1] neg_hi:[0,1]
	v_pk_add_f32 v[62:63], v[62:63], v[130:131] neg_lo:[0,1] neg_hi:[0,1]
	s_wait_dscnt 0x0
	v_pk_mul_f32 v[130:131], v[126:127], v[118:119] op_sel:[0,1]
	s_delay_alu instid0(VALU_DEP_1) | instskip(SKIP_1) | instid1(VALU_DEP_1)
	v_pk_fma_f32 v[132:133], v[126:127], v[116:117], v[130:131] op_sel:[0,0,1] op_sel_hi:[1,1,0] neg_lo:[0,0,1] neg_hi:[0,0,1]
	v_pk_fma_f32 v[126:127], v[126:127], v[116:117], v[130:131] op_sel:[0,0,1] op_sel_hi:[1,0,0]
	v_mov_b32_e32 v133, v127
	v_pk_mul_f32 v[126:127], v[128:129], v[118:119] op_sel:[0,1]
	s_delay_alu instid0(VALU_DEP_1) | instskip(SKIP_1) | instid1(VALU_DEP_1)
	v_pk_fma_f32 v[130:131], v[128:129], v[116:117], v[126:127] op_sel:[0,0,1] op_sel_hi:[1,1,0] neg_lo:[0,0,1] neg_hi:[0,0,1]
	v_pk_fma_f32 v[126:127], v[128:129], v[116:117], v[126:127] op_sel:[0,0,1] op_sel_hi:[1,0,0]
	v_mov_b32_e32 v131, v127
	ds_load_2addr_b64 v[126:129], v120 offset0:48 offset1:49
	v_pk_add_f32 v[10:11], v[10:11], v[132:133] neg_lo:[0,1] neg_hi:[0,1]
	v_pk_add_f32 v[6:7], v[6:7], v[130:131] neg_lo:[0,1] neg_hi:[0,1]
	s_wait_dscnt 0x0
	v_dual_mul_f32 v130, v127, v119 :: v_dual_mul_f32 v132, v127, v116
	s_delay_alu instid0(VALU_DEP_1) | instskip(NEXT) | instid1(VALU_DEP_2)
	v_pk_fma_f32 v[130:131], v[126:127], v[42:43], v[130:131] op_sel_hi:[1,1,0] neg_lo:[0,0,1] neg_hi:[0,0,1]
	v_pk_fma_f32 v[126:127], v[126:127], v[42:43], v[132:133] op_sel:[1,0,0] op_sel_hi:[0,1,0]
	s_delay_alu instid0(VALU_DEP_1) | instskip(SKIP_1) | instid1(VALU_DEP_2)
	v_mov_b32_e32 v131, v127
	v_pk_mul_f32 v[126:127], v[128:129], v[118:119] op_sel:[0,1]
	v_pk_add_f32 v[52:53], v[52:53], v[130:131] neg_lo:[0,1] neg_hi:[0,1]
	s_delay_alu instid0(VALU_DEP_2) | instskip(SKIP_1) | instid1(VALU_DEP_1)
	v_pk_fma_f32 v[130:131], v[128:129], v[116:117], v[126:127] op_sel:[0,0,1] op_sel_hi:[1,1,0] neg_lo:[0,0,1] neg_hi:[0,0,1]
	v_pk_fma_f32 v[126:127], v[128:129], v[116:117], v[126:127] op_sel:[0,0,1] op_sel_hi:[1,0,0]
	v_mov_b32_e32 v131, v127
	ds_load_2addr_b64 v[126:129], v120 offset0:50 offset1:51
	v_pk_add_f32 v[50:51], v[50:51], v[130:131] neg_lo:[0,1] neg_hi:[0,1]
	s_wait_dscnt 0x0
	v_pk_mul_f32 v[130:131], v[126:127], v[118:119] op_sel:[0,1]
	s_delay_alu instid0(VALU_DEP_1) | instskip(SKIP_1) | instid1(VALU_DEP_1)
	v_pk_fma_f32 v[132:133], v[126:127], v[116:117], v[130:131] op_sel:[0,0,1] op_sel_hi:[1,1,0] neg_lo:[0,0,1] neg_hi:[0,0,1]
	v_pk_fma_f32 v[126:127], v[126:127], v[116:117], v[130:131] op_sel:[0,0,1] op_sel_hi:[1,0,0]
	v_mov_b32_e32 v133, v127
	v_pk_mul_f32 v[126:127], v[128:129], v[118:119] op_sel:[0,1]
	s_delay_alu instid0(VALU_DEP_2) | instskip(NEXT) | instid1(VALU_DEP_2)
	v_pk_add_f32 v[8:9], v[8:9], v[132:133] neg_lo:[0,1] neg_hi:[0,1]
	v_pk_fma_f32 v[130:131], v[128:129], v[116:117], v[126:127] op_sel:[0,0,1] op_sel_hi:[1,1,0] neg_lo:[0,0,1] neg_hi:[0,0,1]
	v_pk_fma_f32 v[126:127], v[128:129], v[116:117], v[126:127] op_sel:[0,0,1] op_sel_hi:[1,0,0]
	s_delay_alu instid0(VALU_DEP_1) | instskip(SKIP_4) | instid1(VALU_DEP_1)
	v_mov_b32_e32 v131, v127
	ds_load_2addr_b64 v[126:129], v120 offset0:52 offset1:53
	v_pk_add_f32 v[30:31], v[30:31], v[130:131] neg_lo:[0,1] neg_hi:[0,1]
	s_wait_dscnt 0x0
	v_pk_mul_f32 v[130:131], v[126:127], v[118:119] op_sel:[0,1]
	v_pk_fma_f32 v[132:133], v[126:127], v[116:117], v[130:131] op_sel:[0,0,1] op_sel_hi:[1,1,0] neg_lo:[0,0,1] neg_hi:[0,0,1]
	v_pk_fma_f32 v[126:127], v[126:127], v[116:117], v[130:131] op_sel:[0,0,1] op_sel_hi:[1,0,0]
	v_dual_mul_f32 v130, v129, v119 :: v_dual_mov_b32 v126, v129
	s_delay_alu instid0(VALU_DEP_2) | instskip(NEXT) | instid1(VALU_DEP_2)
	v_dual_mov_b32 v133, v127 :: v_dual_mov_b32 v127, v128
	v_pk_fma_f32 v[130:131], v[128:129], v[42:43], v[130:131] op_sel_hi:[1,1,0] neg_lo:[0,0,1] neg_hi:[0,0,1]
	v_mul_f32_e32 v128, v129, v116
	s_delay_alu instid0(VALU_DEP_3) | instskip(NEXT) | instid1(VALU_DEP_2)
	v_pk_add_f32 v[34:35], v[34:35], v[132:133] neg_lo:[0,1] neg_hi:[0,1]
	v_pk_fma_f32 v[126:127], v[126:127], v[42:43], v[128:129] op_sel_hi:[1,1,0]
	s_delay_alu instid0(VALU_DEP_1) | instskip(SKIP_4) | instid1(VALU_DEP_1)
	v_mov_b32_e32 v131, v127
	ds_load_b64 v[126:127], v120 offset:432
	v_pk_add_f32 v[24:25], v[24:25], v[130:131] neg_lo:[0,1] neg_hi:[0,1]
	s_wait_dscnt 0x0
	v_pk_mul_f32 v[118:119], v[126:127], v[118:119] op_sel:[0,1]
	v_pk_fma_f32 v[128:129], v[126:127], v[116:117], v[118:119] op_sel:[0,0,1] op_sel_hi:[1,1,0] neg_lo:[0,0,1] neg_hi:[0,0,1]
	v_pk_fma_f32 v[116:117], v[126:127], v[116:117], v[118:119] op_sel:[0,0,1] op_sel_hi:[1,0,0]
	s_delay_alu instid0(VALU_DEP_1) | instskip(NEXT) | instid1(VALU_DEP_1)
	v_mov_b32_e32 v129, v117
	v_pk_add_f32 v[114:115], v[114:115], v[128:129] neg_lo:[0,1] neg_hi:[0,1]
.LBB108_419:
	s_or_b32 exec_lo, exec_lo, s0
	v_lshl_add_u32 v116, v124, 3, v120
	s_barrier_signal -1
	s_barrier_wait -1
	ds_store_b64 v116, v[88:89]
	s_wait_dscnt 0x0
	s_barrier_signal -1
	s_barrier_wait -1
	ds_load_b64 v[118:119], v120 offset:160
	v_mov_b32_e32 v116, 20
	s_cmp_lt_i32 s18, 22
	s_cbranch_scc1 .LBB108_422
; %bb.420:
	v_add3_u32 v117, v121, 0, 0xa8
	v_mov_b32_e32 v116, 20
	s_mov_b32 s0, 21
.LBB108_421:                            ; =>This Inner Loop Header: Depth=1
	ds_load_b64 v[126:127], v117
	s_wait_dscnt 0x1
	v_cmp_gt_f32_e32 vcc_lo, 0, v118
	v_cndmask_b32_e64 v128, v118, -v118, vcc_lo
	v_cmp_gt_f32_e32 vcc_lo, 0, v119
	v_cndmask_b32_e64 v130, v119, -v119, vcc_lo
	s_wait_dscnt 0x0
	v_cmp_gt_f32_e32 vcc_lo, 0, v126
	v_cndmask_b32_e64 v129, v126, -v126, vcc_lo
	v_cmp_gt_f32_e32 vcc_lo, 0, v127
	v_cndmask_b32_e64 v131, v127, -v127, vcc_lo
	s_delay_alu instid0(VALU_DEP_1) | instskip(NEXT) | instid1(VALU_DEP_1)
	v_pk_add_f32 v[128:129], v[128:129], v[130:131]
	v_cmp_lt_f32_e32 vcc_lo, v128, v129
	v_dual_add_nc_u32 v117, 8, v117 :: v_dual_cndmask_b32 v119, v119, v127, vcc_lo
	v_cndmask_b32_e32 v118, v118, v126, vcc_lo
	v_cndmask_b32_e64 v116, v116, s0, vcc_lo
	s_add_co_i32 s0, s0, 1
	s_delay_alu instid0(SALU_CYCLE_1)
	s_cmp_lg_u32 s18, s0
	s_cbranch_scc1 .LBB108_421
.LBB108_422:
	s_wait_dscnt 0x0
	v_cmp_eq_f32_e32 vcc_lo, 0, v118
	v_cmp_eq_f32_e64 s0, 0, v119
	s_and_b32 s0, vcc_lo, s0
	s_delay_alu instid0(SALU_CYCLE_1) | instskip(NEXT) | instid1(SALU_CYCLE_1)
	s_and_saveexec_b32 s1, s0
	s_xor_b32 s0, exec_lo, s1
; %bb.423:
	v_cmp_ne_u32_e32 vcc_lo, 0, v122
	v_cndmask_b32_e32 v122, 21, v122, vcc_lo
; %bb.424:
	s_and_not1_saveexec_b32 s0, s0
	s_cbranch_execz .LBB108_430
; %bb.425:
	v_cmp_ngt_f32_e64 s1, |v118|, |v119|
	s_and_saveexec_b32 s12, s1
	s_delay_alu instid0(SALU_CYCLE_1)
	s_xor_b32 s1, exec_lo, s12
	s_cbranch_execz .LBB108_427
; %bb.426:
	v_div_scale_f32 v117, null, v119, v119, v118
	v_div_scale_f32 v127, vcc_lo, v118, v119, v118
	s_delay_alu instid0(VALU_DEP_2) | instskip(SKIP_1) | instid1(TRANS32_DEP_1)
	v_rcp_f32_e32 v125, v117
	v_nop
	v_fma_f32 v126, -v117, v125, 1.0
	s_delay_alu instid0(VALU_DEP_1) | instskip(NEXT) | instid1(VALU_DEP_1)
	v_fmac_f32_e32 v125, v126, v125
	v_mul_f32_e32 v126, v127, v125
	s_delay_alu instid0(VALU_DEP_1) | instskip(NEXT) | instid1(VALU_DEP_1)
	v_fma_f32 v128, -v117, v126, v127
	v_fmac_f32_e32 v126, v128, v125
	s_delay_alu instid0(VALU_DEP_1) | instskip(NEXT) | instid1(VALU_DEP_1)
	v_fma_f32 v117, -v117, v126, v127
	v_div_fmas_f32 v117, v117, v125, v126
	s_delay_alu instid0(VALU_DEP_1) | instskip(NEXT) | instid1(VALU_DEP_1)
	v_div_fixup_f32 v117, v117, v119, v118
	v_fmac_f32_e32 v119, v118, v117
	s_delay_alu instid0(VALU_DEP_1) | instskip(SKIP_1) | instid1(VALU_DEP_2)
	v_div_scale_f32 v118, null, v119, v119, 1.0
	v_div_scale_f32 v127, vcc_lo, 1.0, v119, 1.0
	v_rcp_f32_e32 v125, v118
	v_nop
	s_delay_alu instid0(TRANS32_DEP_1) | instskip(NEXT) | instid1(VALU_DEP_1)
	v_fma_f32 v126, -v118, v125, 1.0
	v_fmac_f32_e32 v125, v126, v125
	s_delay_alu instid0(VALU_DEP_1) | instskip(NEXT) | instid1(VALU_DEP_1)
	v_mul_f32_e32 v126, v127, v125
	v_fma_f32 v128, -v118, v126, v127
	s_delay_alu instid0(VALU_DEP_1) | instskip(NEXT) | instid1(VALU_DEP_1)
	v_fmac_f32_e32 v126, v128, v125
	v_fma_f32 v118, -v118, v126, v127
	s_delay_alu instid0(VALU_DEP_1) | instskip(NEXT) | instid1(VALU_DEP_1)
	v_div_fmas_f32 v118, v118, v125, v126
	v_div_fixup_f32 v119, v118, v119, 1.0
	s_delay_alu instid0(VALU_DEP_1)
	v_mul_f32_e32 v118, v117, v119
	v_xor_b32_e32 v119, 0x80000000, v119
.LBB108_427:
	s_and_not1_saveexec_b32 s1, s1
	s_cbranch_execz .LBB108_429
; %bb.428:
	s_delay_alu instid0(VALU_DEP_1) | instskip(SKIP_1) | instid1(VALU_DEP_2)
	v_div_scale_f32 v117, null, v118, v118, v119
	v_div_scale_f32 v127, vcc_lo, v119, v118, v119
	v_rcp_f32_e32 v125, v117
	v_nop
	s_delay_alu instid0(TRANS32_DEP_1) | instskip(NEXT) | instid1(VALU_DEP_1)
	v_fma_f32 v126, -v117, v125, 1.0
	v_fmac_f32_e32 v125, v126, v125
	s_delay_alu instid0(VALU_DEP_1) | instskip(NEXT) | instid1(VALU_DEP_1)
	v_mul_f32_e32 v126, v127, v125
	v_fma_f32 v128, -v117, v126, v127
	s_delay_alu instid0(VALU_DEP_1) | instskip(NEXT) | instid1(VALU_DEP_1)
	v_fmac_f32_e32 v126, v128, v125
	v_fma_f32 v117, -v117, v126, v127
	s_delay_alu instid0(VALU_DEP_1) | instskip(NEXT) | instid1(VALU_DEP_1)
	v_div_fmas_f32 v117, v117, v125, v126
	v_div_fixup_f32 v117, v117, v118, v119
	s_delay_alu instid0(VALU_DEP_1) | instskip(NEXT) | instid1(VALU_DEP_1)
	v_fmac_f32_e32 v118, v119, v117
	v_div_scale_f32 v119, null, v118, v118, 1.0
	s_delay_alu instid0(VALU_DEP_1) | instskip(SKIP_1) | instid1(TRANS32_DEP_1)
	v_rcp_f32_e32 v125, v119
	v_nop
	v_fma_f32 v126, -v119, v125, 1.0
	s_delay_alu instid0(VALU_DEP_1) | instskip(SKIP_1) | instid1(VALU_DEP_1)
	v_fmac_f32_e32 v125, v126, v125
	v_div_scale_f32 v126, vcc_lo, 1.0, v118, 1.0
	v_mul_f32_e32 v127, v126, v125
	s_delay_alu instid0(VALU_DEP_1) | instskip(NEXT) | instid1(VALU_DEP_1)
	v_fma_f32 v128, -v119, v127, v126
	v_fmac_f32_e32 v127, v128, v125
	s_delay_alu instid0(VALU_DEP_1) | instskip(NEXT) | instid1(VALU_DEP_1)
	v_fma_f32 v119, -v119, v127, v126
	v_div_fmas_f32 v119, v119, v125, v127
	s_delay_alu instid0(VALU_DEP_1) | instskip(NEXT) | instid1(VALU_DEP_1)
	v_div_fixup_f32 v118, v119, v118, 1.0
	v_mul_f32_e64 v119, v117, -v118
.LBB108_429:
	s_or_b32 exec_lo, exec_lo, s1
.LBB108_430:
	s_delay_alu instid0(SALU_CYCLE_1) | instskip(NEXT) | instid1(SALU_CYCLE_1)
	s_or_b32 exec_lo, exec_lo, s0
	s_mov_b32 s0, exec_lo
	v_cmpx_ne_u32_e64 v124, v116
	s_xor_b32 s0, exec_lo, s0
	s_cbranch_execz .LBB108_436
; %bb.431:
	s_mov_b32 s1, exec_lo
	v_cmpx_eq_u32_e32 20, v124
	s_cbranch_execz .LBB108_435
; %bb.432:
	v_cmp_ne_u32_e32 vcc_lo, 20, v116
	s_xor_b32 s12, s16, -1
	s_delay_alu instid0(SALU_CYCLE_1) | instskip(NEXT) | instid1(SALU_CYCLE_1)
	s_and_b32 s13, s12, vcc_lo
	s_and_saveexec_b32 s12, s13
	s_cbranch_execz .LBB108_434
; %bb.433:
	v_ashrrev_i32_e32 v117, 31, v116
	s_delay_alu instid0(VALU_DEP_1)
	v_lshl_add_u64 v[124:125], v[116:117], 2, v[4:5]
	s_clause 0x1
	global_load_b32 v117, v[124:125], off
	global_load_b32 v123, v[4:5], off offset:80
	s_wait_loadcnt 0x1
	global_store_b32 v[4:5], v117, off offset:80
	s_wait_loadcnt 0x0
	global_store_b32 v[124:125], v123, off
.LBB108_434:
	s_wait_xcnt 0x0
	s_or_b32 exec_lo, exec_lo, s12
	v_dual_mov_b32 v124, v116 :: v_dual_mov_b32 v123, v116
.LBB108_435:
	s_or_b32 exec_lo, exec_lo, s1
.LBB108_436:
	s_and_not1_saveexec_b32 s0, s0
	s_cbranch_execz .LBB108_438
; %bb.437:
	v_mov_b32_e32 v124, 20
	ds_store_2addr_b64 v120, v[86:87], v[40:41] offset0:21 offset1:22
	ds_store_2addr_b64 v120, v[38:39], v[84:85] offset0:23 offset1:24
	;; [unrolled: 1-line block ×17, first 2 shown]
.LBB108_438:
	s_or_b32 exec_lo, exec_lo, s0
	s_delay_alu instid0(SALU_CYCLE_1)
	s_mov_b32 s0, exec_lo
	s_wait_storecnt_dscnt 0x0
	s_barrier_signal -1
	s_barrier_wait -1
	v_cmpx_lt_i32_e32 20, v124
	s_cbranch_execz .LBB108_440
; %bb.439:
	v_pk_mul_f32 v[126:127], v[118:119], v[88:89] op_sel:[1,1] op_sel_hi:[0,1]
	s_delay_alu instid0(VALU_DEP_1)
	v_pk_fma_f32 v[116:117], v[118:119], v[88:89], v[126:127] op_sel_hi:[1,0,1] neg_lo:[0,0,1] neg_hi:[0,0,1]
	v_pk_fma_f32 v[118:119], v[118:119], v[88:89], v[126:127] op_sel_hi:[1,0,1]
	ds_load_2addr_b64 v[126:129], v120 offset0:21 offset1:22
	v_dual_mov_b32 v88, v116 :: v_dual_mov_b32 v89, v119
	s_wait_dscnt 0x0
	v_pk_mul_f32 v[130:131], v[126:127], v[118:119] op_sel:[0,1]
	s_delay_alu instid0(VALU_DEP_1) | instskip(SKIP_1) | instid1(VALU_DEP_1)
	v_pk_fma_f32 v[132:133], v[126:127], v[116:117], v[130:131] op_sel:[0,0,1] op_sel_hi:[1,1,0] neg_lo:[0,0,1] neg_hi:[0,0,1]
	v_pk_fma_f32 v[126:127], v[126:127], v[116:117], v[130:131] op_sel:[0,0,1] op_sel_hi:[1,0,0]
	v_mov_b32_e32 v133, v127
	v_pk_mul_f32 v[126:127], v[128:129], v[118:119] op_sel:[0,1]
	s_delay_alu instid0(VALU_DEP_1) | instskip(SKIP_1) | instid1(VALU_DEP_1)
	v_pk_fma_f32 v[130:131], v[128:129], v[116:117], v[126:127] op_sel:[0,0,1] op_sel_hi:[1,1,0] neg_lo:[0,0,1] neg_hi:[0,0,1]
	v_pk_fma_f32 v[126:127], v[128:129], v[116:117], v[126:127] op_sel:[0,0,1] op_sel_hi:[1,0,0]
	v_mov_b32_e32 v131, v127
	ds_load_2addr_b64 v[126:129], v120 offset0:23 offset1:24
	v_pk_add_f32 v[86:87], v[86:87], v[132:133] neg_lo:[0,1] neg_hi:[0,1]
	v_pk_add_f32 v[40:41], v[40:41], v[130:131] neg_lo:[0,1] neg_hi:[0,1]
	s_wait_dscnt 0x0
	v_pk_mul_f32 v[130:131], v[126:127], v[118:119] op_sel:[0,1]
	s_delay_alu instid0(VALU_DEP_1) | instskip(SKIP_2) | instid1(VALU_DEP_2)
	v_pk_fma_f32 v[132:133], v[126:127], v[116:117], v[130:131] op_sel:[0,0,1] op_sel_hi:[1,1,0] neg_lo:[0,0,1] neg_hi:[0,0,1]
	v_pk_fma_f32 v[126:127], v[126:127], v[116:117], v[130:131] op_sel:[0,0,1] op_sel_hi:[1,0,0]
	v_dual_mul_f32 v130, v129, v119 :: v_dual_mov_b32 v126, v129
	v_dual_mov_b32 v133, v127 :: v_dual_mov_b32 v127, v128
	s_delay_alu instid0(VALU_DEP_2) | instskip(SKIP_1) | instid1(VALU_DEP_3)
	v_pk_fma_f32 v[130:131], v[128:129], v[88:89], v[130:131] op_sel_hi:[1,1,0] neg_lo:[0,0,1] neg_hi:[0,0,1]
	v_mul_f32_e32 v128, v129, v116
	v_pk_add_f32 v[38:39], v[38:39], v[132:133] neg_lo:[0,1] neg_hi:[0,1]
	s_delay_alu instid0(VALU_DEP_2) | instskip(NEXT) | instid1(VALU_DEP_1)
	v_pk_fma_f32 v[126:127], v[126:127], v[88:89], v[128:129] op_sel_hi:[1,1,0]
	v_mov_b32_e32 v131, v127
	ds_load_2addr_b64 v[126:129], v120 offset0:25 offset1:26
	v_pk_add_f32 v[84:85], v[84:85], v[130:131] neg_lo:[0,1] neg_hi:[0,1]
	s_wait_dscnt 0x0
	v_pk_mul_f32 v[130:131], v[126:127], v[118:119] op_sel:[0,1]
	s_delay_alu instid0(VALU_DEP_1) | instskip(SKIP_1) | instid1(VALU_DEP_1)
	v_pk_fma_f32 v[132:133], v[126:127], v[116:117], v[130:131] op_sel:[0,0,1] op_sel_hi:[1,1,0] neg_lo:[0,0,1] neg_hi:[0,0,1]
	v_pk_fma_f32 v[126:127], v[126:127], v[116:117], v[130:131] op_sel:[0,0,1] op_sel_hi:[1,0,0]
	v_mov_b32_e32 v133, v127
	v_pk_mul_f32 v[126:127], v[128:129], v[118:119] op_sel:[0,1]
	s_delay_alu instid0(VALU_DEP_1) | instskip(SKIP_1) | instid1(VALU_DEP_1)
	v_pk_fma_f32 v[130:131], v[128:129], v[116:117], v[126:127] op_sel:[0,0,1] op_sel_hi:[1,1,0] neg_lo:[0,0,1] neg_hi:[0,0,1]
	v_pk_fma_f32 v[126:127], v[128:129], v[116:117], v[126:127] op_sel:[0,0,1] op_sel_hi:[1,0,0]
	v_mov_b32_e32 v131, v127
	ds_load_2addr_b64 v[126:129], v120 offset0:27 offset1:28
	v_pk_add_f32 v[82:83], v[82:83], v[132:133] neg_lo:[0,1] neg_hi:[0,1]
	v_pk_add_f32 v[36:37], v[36:37], v[130:131] neg_lo:[0,1] neg_hi:[0,1]
	s_wait_dscnt 0x0
	v_pk_mul_f32 v[130:131], v[126:127], v[118:119] op_sel:[0,1]
	s_delay_alu instid0(VALU_DEP_1) | instskip(SKIP_1) | instid1(VALU_DEP_1)
	v_pk_fma_f32 v[132:133], v[126:127], v[116:117], v[130:131] op_sel:[0,0,1] op_sel_hi:[1,1,0] neg_lo:[0,0,1] neg_hi:[0,0,1]
	v_pk_fma_f32 v[126:127], v[126:127], v[116:117], v[130:131] op_sel:[0,0,1] op_sel_hi:[1,0,0]
	v_mov_b32_e32 v133, v127
	v_pk_mul_f32 v[126:127], v[128:129], v[118:119] op_sel:[0,1]
	s_delay_alu instid0(VALU_DEP_1) | instskip(SKIP_1) | instid1(VALU_DEP_1)
	v_pk_fma_f32 v[130:131], v[128:129], v[116:117], v[126:127] op_sel:[0,0,1] op_sel_hi:[1,1,0] neg_lo:[0,0,1] neg_hi:[0,0,1]
	v_pk_fma_f32 v[126:127], v[128:129], v[116:117], v[126:127] op_sel:[0,0,1] op_sel_hi:[1,0,0]
	v_mov_b32_e32 v131, v127
	ds_load_2addr_b64 v[126:129], v120 offset0:29 offset1:30
	v_pk_add_f32 v[32:33], v[32:33], v[132:133] neg_lo:[0,1] neg_hi:[0,1]
	v_pk_add_f32 v[80:81], v[80:81], v[130:131] neg_lo:[0,1] neg_hi:[0,1]
	s_wait_dscnt 0x0
	v_dual_mul_f32 v130, v127, v119 :: v_dual_mul_f32 v132, v127, v116
	s_delay_alu instid0(VALU_DEP_1) | instskip(NEXT) | instid1(VALU_DEP_2)
	v_pk_fma_f32 v[130:131], v[126:127], v[88:89], v[130:131] op_sel_hi:[1,1,0] neg_lo:[0,0,1] neg_hi:[0,0,1]
	v_pk_fma_f32 v[126:127], v[126:127], v[88:89], v[132:133] op_sel:[1,0,0] op_sel_hi:[0,1,0]
	s_delay_alu instid0(VALU_DEP_1) | instskip(SKIP_1) | instid1(VALU_DEP_2)
	v_mov_b32_e32 v131, v127
	v_pk_mul_f32 v[126:127], v[128:129], v[118:119] op_sel:[0,1]
	v_pk_add_f32 v[78:79], v[78:79], v[130:131] neg_lo:[0,1] neg_hi:[0,1]
	s_delay_alu instid0(VALU_DEP_2) | instskip(SKIP_1) | instid1(VALU_DEP_1)
	v_pk_fma_f32 v[130:131], v[128:129], v[116:117], v[126:127] op_sel:[0,0,1] op_sel_hi:[1,1,0] neg_lo:[0,0,1] neg_hi:[0,0,1]
	v_pk_fma_f32 v[126:127], v[128:129], v[116:117], v[126:127] op_sel:[0,0,1] op_sel_hi:[1,0,0]
	v_mov_b32_e32 v131, v127
	ds_load_2addr_b64 v[126:129], v120 offset0:31 offset1:32
	v_pk_add_f32 v[28:29], v[28:29], v[130:131] neg_lo:[0,1] neg_hi:[0,1]
	s_wait_dscnt 0x0
	v_pk_mul_f32 v[130:131], v[126:127], v[118:119] op_sel:[0,1]
	s_delay_alu instid0(VALU_DEP_1) | instskip(SKIP_1) | instid1(VALU_DEP_1)
	v_pk_fma_f32 v[132:133], v[126:127], v[116:117], v[130:131] op_sel:[0,0,1] op_sel_hi:[1,1,0] neg_lo:[0,0,1] neg_hi:[0,0,1]
	v_pk_fma_f32 v[126:127], v[126:127], v[116:117], v[130:131] op_sel:[0,0,1] op_sel_hi:[1,0,0]
	v_mov_b32_e32 v133, v127
	v_pk_mul_f32 v[126:127], v[128:129], v[118:119] op_sel:[0,1]
	s_delay_alu instid0(VALU_DEP_2) | instskip(NEXT) | instid1(VALU_DEP_2)
	v_pk_add_f32 v[26:27], v[26:27], v[132:133] neg_lo:[0,1] neg_hi:[0,1]
	v_pk_fma_f32 v[130:131], v[128:129], v[116:117], v[126:127] op_sel:[0,0,1] op_sel_hi:[1,1,0] neg_lo:[0,0,1] neg_hi:[0,0,1]
	v_pk_fma_f32 v[126:127], v[128:129], v[116:117], v[126:127] op_sel:[0,0,1] op_sel_hi:[1,0,0]
	s_delay_alu instid0(VALU_DEP_1) | instskip(SKIP_4) | instid1(VALU_DEP_1)
	v_mov_b32_e32 v131, v127
	ds_load_2addr_b64 v[126:129], v120 offset0:33 offset1:34
	v_pk_add_f32 v[76:77], v[76:77], v[130:131] neg_lo:[0,1] neg_hi:[0,1]
	s_wait_dscnt 0x0
	v_pk_mul_f32 v[130:131], v[126:127], v[118:119] op_sel:[0,1]
	v_pk_fma_f32 v[132:133], v[126:127], v[116:117], v[130:131] op_sel:[0,0,1] op_sel_hi:[1,1,0] neg_lo:[0,0,1] neg_hi:[0,0,1]
	v_pk_fma_f32 v[126:127], v[126:127], v[116:117], v[130:131] op_sel:[0,0,1] op_sel_hi:[1,0,0]
	v_dual_mul_f32 v130, v129, v119 :: v_dual_mov_b32 v126, v129
	s_delay_alu instid0(VALU_DEP_2) | instskip(NEXT) | instid1(VALU_DEP_2)
	v_dual_mov_b32 v133, v127 :: v_dual_mov_b32 v127, v128
	v_pk_fma_f32 v[130:131], v[128:129], v[88:89], v[130:131] op_sel_hi:[1,1,0] neg_lo:[0,0,1] neg_hi:[0,0,1]
	v_mul_f32_e32 v128, v129, v116
	s_delay_alu instid0(VALU_DEP_3) | instskip(NEXT) | instid1(VALU_DEP_2)
	v_pk_add_f32 v[74:75], v[74:75], v[132:133] neg_lo:[0,1] neg_hi:[0,1]
	v_pk_fma_f32 v[126:127], v[126:127], v[88:89], v[128:129] op_sel_hi:[1,1,0]
	s_delay_alu instid0(VALU_DEP_1) | instskip(SKIP_4) | instid1(VALU_DEP_1)
	v_mov_b32_e32 v131, v127
	ds_load_2addr_b64 v[126:129], v120 offset0:35 offset1:36
	v_pk_add_f32 v[22:23], v[22:23], v[130:131] neg_lo:[0,1] neg_hi:[0,1]
	s_wait_dscnt 0x0
	v_pk_mul_f32 v[130:131], v[126:127], v[118:119] op_sel:[0,1]
	v_pk_fma_f32 v[132:133], v[126:127], v[116:117], v[130:131] op_sel:[0,0,1] op_sel_hi:[1,1,0] neg_lo:[0,0,1] neg_hi:[0,0,1]
	v_pk_fma_f32 v[126:127], v[126:127], v[116:117], v[130:131] op_sel:[0,0,1] op_sel_hi:[1,0,0]
	s_delay_alu instid0(VALU_DEP_1) | instskip(SKIP_1) | instid1(VALU_DEP_1)
	v_mov_b32_e32 v133, v127
	v_pk_mul_f32 v[126:127], v[128:129], v[118:119] op_sel:[0,1]
	v_pk_fma_f32 v[130:131], v[128:129], v[116:117], v[126:127] op_sel:[0,0,1] op_sel_hi:[1,1,0] neg_lo:[0,0,1] neg_hi:[0,0,1]
	v_pk_fma_f32 v[126:127], v[128:129], v[116:117], v[126:127] op_sel:[0,0,1] op_sel_hi:[1,0,0]
	s_delay_alu instid0(VALU_DEP_1)
	v_mov_b32_e32 v131, v127
	ds_load_2addr_b64 v[126:129], v120 offset0:37 offset1:38
	v_pk_add_f32 v[20:21], v[20:21], v[132:133] neg_lo:[0,1] neg_hi:[0,1]
	v_pk_add_f32 v[72:73], v[72:73], v[130:131] neg_lo:[0,1] neg_hi:[0,1]
	s_wait_dscnt 0x0
	v_pk_mul_f32 v[130:131], v[126:127], v[118:119] op_sel:[0,1]
	s_delay_alu instid0(VALU_DEP_1) | instskip(SKIP_1) | instid1(VALU_DEP_1)
	v_pk_fma_f32 v[132:133], v[126:127], v[116:117], v[130:131] op_sel:[0,0,1] op_sel_hi:[1,1,0] neg_lo:[0,0,1] neg_hi:[0,0,1]
	v_pk_fma_f32 v[126:127], v[126:127], v[116:117], v[130:131] op_sel:[0,0,1] op_sel_hi:[1,0,0]
	v_mov_b32_e32 v133, v127
	v_pk_mul_f32 v[126:127], v[128:129], v[118:119] op_sel:[0,1]
	s_delay_alu instid0(VALU_DEP_1) | instskip(SKIP_1) | instid1(VALU_DEP_1)
	v_pk_fma_f32 v[130:131], v[128:129], v[116:117], v[126:127] op_sel:[0,0,1] op_sel_hi:[1,1,0] neg_lo:[0,0,1] neg_hi:[0,0,1]
	v_pk_fma_f32 v[126:127], v[128:129], v[116:117], v[126:127] op_sel:[0,0,1] op_sel_hi:[1,0,0]
	v_mov_b32_e32 v131, v127
	ds_load_2addr_b64 v[126:129], v120 offset0:39 offset1:40
	v_pk_add_f32 v[70:71], v[70:71], v[132:133] neg_lo:[0,1] neg_hi:[0,1]
	v_pk_add_f32 v[18:19], v[18:19], v[130:131] neg_lo:[0,1] neg_hi:[0,1]
	s_wait_dscnt 0x0
	v_dual_mul_f32 v130, v127, v119 :: v_dual_mul_f32 v132, v127, v116
	s_delay_alu instid0(VALU_DEP_1) | instskip(NEXT) | instid1(VALU_DEP_2)
	v_pk_fma_f32 v[130:131], v[126:127], v[88:89], v[130:131] op_sel_hi:[1,1,0] neg_lo:[0,0,1] neg_hi:[0,0,1]
	v_pk_fma_f32 v[126:127], v[126:127], v[88:89], v[132:133] op_sel:[1,0,0] op_sel_hi:[0,1,0]
	s_delay_alu instid0(VALU_DEP_1) | instskip(SKIP_1) | instid1(VALU_DEP_2)
	v_mov_b32_e32 v131, v127
	v_pk_mul_f32 v[126:127], v[128:129], v[118:119] op_sel:[0,1]
	v_pk_add_f32 v[16:17], v[16:17], v[130:131] neg_lo:[0,1] neg_hi:[0,1]
	s_delay_alu instid0(VALU_DEP_2) | instskip(SKIP_1) | instid1(VALU_DEP_1)
	v_pk_fma_f32 v[130:131], v[128:129], v[116:117], v[126:127] op_sel:[0,0,1] op_sel_hi:[1,1,0] neg_lo:[0,0,1] neg_hi:[0,0,1]
	v_pk_fma_f32 v[126:127], v[128:129], v[116:117], v[126:127] op_sel:[0,0,1] op_sel_hi:[1,0,0]
	v_mov_b32_e32 v131, v127
	ds_load_2addr_b64 v[126:129], v120 offset0:41 offset1:42
	v_pk_add_f32 v[68:69], v[68:69], v[130:131] neg_lo:[0,1] neg_hi:[0,1]
	s_wait_dscnt 0x0
	v_pk_mul_f32 v[130:131], v[126:127], v[118:119] op_sel:[0,1]
	s_delay_alu instid0(VALU_DEP_1) | instskip(SKIP_1) | instid1(VALU_DEP_1)
	v_pk_fma_f32 v[132:133], v[126:127], v[116:117], v[130:131] op_sel:[0,0,1] op_sel_hi:[1,1,0] neg_lo:[0,0,1] neg_hi:[0,0,1]
	v_pk_fma_f32 v[126:127], v[126:127], v[116:117], v[130:131] op_sel:[0,0,1] op_sel_hi:[1,0,0]
	v_mov_b32_e32 v133, v127
	v_pk_mul_f32 v[126:127], v[128:129], v[118:119] op_sel:[0,1]
	s_delay_alu instid0(VALU_DEP_2) | instskip(NEXT) | instid1(VALU_DEP_2)
	v_pk_add_f32 v[66:67], v[66:67], v[132:133] neg_lo:[0,1] neg_hi:[0,1]
	v_pk_fma_f32 v[130:131], v[128:129], v[116:117], v[126:127] op_sel:[0,0,1] op_sel_hi:[1,1,0] neg_lo:[0,0,1] neg_hi:[0,0,1]
	v_pk_fma_f32 v[126:127], v[128:129], v[116:117], v[126:127] op_sel:[0,0,1] op_sel_hi:[1,0,0]
	s_delay_alu instid0(VALU_DEP_1) | instskip(SKIP_4) | instid1(VALU_DEP_1)
	v_mov_b32_e32 v131, v127
	ds_load_2addr_b64 v[126:129], v120 offset0:43 offset1:44
	v_pk_add_f32 v[14:15], v[14:15], v[130:131] neg_lo:[0,1] neg_hi:[0,1]
	s_wait_dscnt 0x0
	v_pk_mul_f32 v[130:131], v[126:127], v[118:119] op_sel:[0,1]
	v_pk_fma_f32 v[132:133], v[126:127], v[116:117], v[130:131] op_sel:[0,0,1] op_sel_hi:[1,1,0] neg_lo:[0,0,1] neg_hi:[0,0,1]
	v_pk_fma_f32 v[126:127], v[126:127], v[116:117], v[130:131] op_sel:[0,0,1] op_sel_hi:[1,0,0]
	v_dual_mul_f32 v130, v129, v119 :: v_dual_mov_b32 v126, v129
	s_delay_alu instid0(VALU_DEP_2) | instskip(NEXT) | instid1(VALU_DEP_2)
	v_dual_mov_b32 v133, v127 :: v_dual_mov_b32 v127, v128
	v_pk_fma_f32 v[130:131], v[128:129], v[88:89], v[130:131] op_sel_hi:[1,1,0] neg_lo:[0,0,1] neg_hi:[0,0,1]
	v_mul_f32_e32 v128, v129, v116
	s_delay_alu instid0(VALU_DEP_3) | instskip(NEXT) | instid1(VALU_DEP_2)
	v_pk_add_f32 v[12:13], v[12:13], v[132:133] neg_lo:[0,1] neg_hi:[0,1]
	v_pk_fma_f32 v[126:127], v[126:127], v[88:89], v[128:129] op_sel_hi:[1,1,0]
	s_delay_alu instid0(VALU_DEP_1) | instskip(SKIP_4) | instid1(VALU_DEP_1)
	v_mov_b32_e32 v131, v127
	ds_load_2addr_b64 v[126:129], v120 offset0:45 offset1:46
	v_pk_add_f32 v[64:65], v[64:65], v[130:131] neg_lo:[0,1] neg_hi:[0,1]
	s_wait_dscnt 0x0
	v_pk_mul_f32 v[130:131], v[126:127], v[118:119] op_sel:[0,1]
	v_pk_fma_f32 v[132:133], v[126:127], v[116:117], v[130:131] op_sel:[0,0,1] op_sel_hi:[1,1,0] neg_lo:[0,0,1] neg_hi:[0,0,1]
	v_pk_fma_f32 v[126:127], v[126:127], v[116:117], v[130:131] op_sel:[0,0,1] op_sel_hi:[1,0,0]
	s_delay_alu instid0(VALU_DEP_1) | instskip(SKIP_1) | instid1(VALU_DEP_1)
	v_mov_b32_e32 v133, v127
	v_pk_mul_f32 v[126:127], v[128:129], v[118:119] op_sel:[0,1]
	v_pk_fma_f32 v[130:131], v[128:129], v[116:117], v[126:127] op_sel:[0,0,1] op_sel_hi:[1,1,0] neg_lo:[0,0,1] neg_hi:[0,0,1]
	v_pk_fma_f32 v[126:127], v[128:129], v[116:117], v[126:127] op_sel:[0,0,1] op_sel_hi:[1,0,0]
	s_delay_alu instid0(VALU_DEP_1)
	v_mov_b32_e32 v131, v127
	ds_load_2addr_b64 v[126:129], v120 offset0:47 offset1:48
	v_pk_add_f32 v[62:63], v[62:63], v[132:133] neg_lo:[0,1] neg_hi:[0,1]
	v_pk_add_f32 v[10:11], v[10:11], v[130:131] neg_lo:[0,1] neg_hi:[0,1]
	s_wait_dscnt 0x0
	v_pk_mul_f32 v[130:131], v[126:127], v[118:119] op_sel:[0,1]
	s_delay_alu instid0(VALU_DEP_1) | instskip(SKIP_1) | instid1(VALU_DEP_1)
	v_pk_fma_f32 v[132:133], v[126:127], v[116:117], v[130:131] op_sel:[0,0,1] op_sel_hi:[1,1,0] neg_lo:[0,0,1] neg_hi:[0,0,1]
	v_pk_fma_f32 v[126:127], v[126:127], v[116:117], v[130:131] op_sel:[0,0,1] op_sel_hi:[1,0,0]
	v_mov_b32_e32 v133, v127
	v_pk_mul_f32 v[126:127], v[128:129], v[118:119] op_sel:[0,1]
	s_delay_alu instid0(VALU_DEP_1) | instskip(SKIP_1) | instid1(VALU_DEP_1)
	v_pk_fma_f32 v[130:131], v[128:129], v[116:117], v[126:127] op_sel:[0,0,1] op_sel_hi:[1,1,0] neg_lo:[0,0,1] neg_hi:[0,0,1]
	v_pk_fma_f32 v[126:127], v[128:129], v[116:117], v[126:127] op_sel:[0,0,1] op_sel_hi:[1,0,0]
	v_mov_b32_e32 v131, v127
	ds_load_2addr_b64 v[126:129], v120 offset0:49 offset1:50
	v_pk_add_f32 v[6:7], v[6:7], v[132:133] neg_lo:[0,1] neg_hi:[0,1]
	v_pk_add_f32 v[52:53], v[52:53], v[130:131] neg_lo:[0,1] neg_hi:[0,1]
	s_wait_dscnt 0x0
	v_dual_mul_f32 v130, v127, v119 :: v_dual_mul_f32 v132, v127, v116
	s_delay_alu instid0(VALU_DEP_1) | instskip(NEXT) | instid1(VALU_DEP_2)
	v_pk_fma_f32 v[130:131], v[126:127], v[88:89], v[130:131] op_sel_hi:[1,1,0] neg_lo:[0,0,1] neg_hi:[0,0,1]
	v_pk_fma_f32 v[126:127], v[126:127], v[88:89], v[132:133] op_sel:[1,0,0] op_sel_hi:[0,1,0]
	s_delay_alu instid0(VALU_DEP_1) | instskip(SKIP_1) | instid1(VALU_DEP_2)
	v_mov_b32_e32 v131, v127
	v_pk_mul_f32 v[126:127], v[128:129], v[118:119] op_sel:[0,1]
	v_pk_add_f32 v[50:51], v[50:51], v[130:131] neg_lo:[0,1] neg_hi:[0,1]
	s_delay_alu instid0(VALU_DEP_2) | instskip(SKIP_1) | instid1(VALU_DEP_1)
	v_pk_fma_f32 v[130:131], v[128:129], v[116:117], v[126:127] op_sel:[0,0,1] op_sel_hi:[1,1,0] neg_lo:[0,0,1] neg_hi:[0,0,1]
	v_pk_fma_f32 v[126:127], v[128:129], v[116:117], v[126:127] op_sel:[0,0,1] op_sel_hi:[1,0,0]
	v_mov_b32_e32 v131, v127
	ds_load_2addr_b64 v[126:129], v120 offset0:51 offset1:52
	v_pk_add_f32 v[8:9], v[8:9], v[130:131] neg_lo:[0,1] neg_hi:[0,1]
	s_wait_dscnt 0x0
	v_pk_mul_f32 v[130:131], v[126:127], v[118:119] op_sel:[0,1]
	s_delay_alu instid0(VALU_DEP_1) | instskip(SKIP_1) | instid1(VALU_DEP_1)
	v_pk_fma_f32 v[132:133], v[126:127], v[116:117], v[130:131] op_sel:[0,0,1] op_sel_hi:[1,1,0] neg_lo:[0,0,1] neg_hi:[0,0,1]
	v_pk_fma_f32 v[126:127], v[126:127], v[116:117], v[130:131] op_sel:[0,0,1] op_sel_hi:[1,0,0]
	v_mov_b32_e32 v133, v127
	v_pk_mul_f32 v[126:127], v[128:129], v[118:119] op_sel:[0,1]
	s_delay_alu instid0(VALU_DEP_2) | instskip(NEXT) | instid1(VALU_DEP_2)
	v_pk_add_f32 v[30:31], v[30:31], v[132:133] neg_lo:[0,1] neg_hi:[0,1]
	v_pk_fma_f32 v[130:131], v[128:129], v[116:117], v[126:127] op_sel:[0,0,1] op_sel_hi:[1,1,0] neg_lo:[0,0,1] neg_hi:[0,0,1]
	v_pk_fma_f32 v[126:127], v[128:129], v[116:117], v[126:127] op_sel:[0,0,1] op_sel_hi:[1,0,0]
	s_delay_alu instid0(VALU_DEP_1)
	v_mov_b32_e32 v131, v127
	ds_load_2addr_b64 v[126:129], v120 offset0:53 offset1:54
	v_pk_add_f32 v[34:35], v[34:35], v[130:131] neg_lo:[0,1] neg_hi:[0,1]
	s_wait_dscnt 0x0
	v_pk_mul_f32 v[130:131], v[126:127], v[118:119] op_sel:[0,1]
	v_pk_mul_f32 v[118:119], v[128:129], v[118:119] op_sel:[0,1]
	s_delay_alu instid0(VALU_DEP_2) | instskip(SKIP_1) | instid1(VALU_DEP_1)
	v_pk_fma_f32 v[132:133], v[126:127], v[116:117], v[130:131] op_sel:[0,0,1] op_sel_hi:[1,1,0] neg_lo:[0,0,1] neg_hi:[0,0,1]
	v_pk_fma_f32 v[126:127], v[126:127], v[116:117], v[130:131] op_sel:[0,0,1] op_sel_hi:[1,0,0]
	v_mov_b32_e32 v133, v127
	s_delay_alu instid0(VALU_DEP_4) | instskip(SKIP_1) | instid1(VALU_DEP_3)
	v_pk_fma_f32 v[126:127], v[128:129], v[116:117], v[118:119] op_sel:[0,0,1] op_sel_hi:[1,1,0] neg_lo:[0,0,1] neg_hi:[0,0,1]
	v_pk_fma_f32 v[116:117], v[128:129], v[116:117], v[118:119] op_sel:[0,0,1] op_sel_hi:[1,0,0]
	v_pk_add_f32 v[24:25], v[24:25], v[132:133] neg_lo:[0,1] neg_hi:[0,1]
	s_delay_alu instid0(VALU_DEP_2) | instskip(NEXT) | instid1(VALU_DEP_1)
	v_mov_b32_e32 v127, v117
	v_pk_add_f32 v[114:115], v[114:115], v[126:127] neg_lo:[0,1] neg_hi:[0,1]
.LBB108_440:
	s_or_b32 exec_lo, exec_lo, s0
	v_lshl_add_u32 v116, v124, 3, v120
	s_barrier_signal -1
	s_barrier_wait -1
	ds_store_b64 v116, v[86:87]
	s_wait_dscnt 0x0
	s_barrier_signal -1
	s_barrier_wait -1
	ds_load_b64 v[118:119], v120 offset:168
	v_mov_b32_e32 v116, 21
	s_cmp_lt_i32 s18, 23
	s_cbranch_scc1 .LBB108_443
; %bb.441:
	v_add3_u32 v117, v121, 0, 0xb0
	v_mov_b32_e32 v116, 21
	s_mov_b32 s0, 22
.LBB108_442:                            ; =>This Inner Loop Header: Depth=1
	ds_load_b64 v[126:127], v117
	s_wait_dscnt 0x1
	v_cmp_gt_f32_e32 vcc_lo, 0, v118
	v_cndmask_b32_e64 v128, v118, -v118, vcc_lo
	v_cmp_gt_f32_e32 vcc_lo, 0, v119
	v_cndmask_b32_e64 v130, v119, -v119, vcc_lo
	s_wait_dscnt 0x0
	v_cmp_gt_f32_e32 vcc_lo, 0, v126
	v_cndmask_b32_e64 v129, v126, -v126, vcc_lo
	v_cmp_gt_f32_e32 vcc_lo, 0, v127
	v_cndmask_b32_e64 v131, v127, -v127, vcc_lo
	s_delay_alu instid0(VALU_DEP_1) | instskip(NEXT) | instid1(VALU_DEP_1)
	v_pk_add_f32 v[128:129], v[128:129], v[130:131]
	v_cmp_lt_f32_e32 vcc_lo, v128, v129
	v_dual_add_nc_u32 v117, 8, v117 :: v_dual_cndmask_b32 v119, v119, v127, vcc_lo
	v_cndmask_b32_e32 v118, v118, v126, vcc_lo
	v_cndmask_b32_e64 v116, v116, s0, vcc_lo
	s_add_co_i32 s0, s0, 1
	s_delay_alu instid0(SALU_CYCLE_1)
	s_cmp_lg_u32 s18, s0
	s_cbranch_scc1 .LBB108_442
.LBB108_443:
	s_wait_dscnt 0x0
	v_cmp_eq_f32_e32 vcc_lo, 0, v118
	v_cmp_eq_f32_e64 s0, 0, v119
	s_and_b32 s0, vcc_lo, s0
	s_delay_alu instid0(SALU_CYCLE_1) | instskip(NEXT) | instid1(SALU_CYCLE_1)
	s_and_saveexec_b32 s1, s0
	s_xor_b32 s0, exec_lo, s1
; %bb.444:
	v_cmp_ne_u32_e32 vcc_lo, 0, v122
	v_cndmask_b32_e32 v122, 22, v122, vcc_lo
; %bb.445:
	s_and_not1_saveexec_b32 s0, s0
	s_cbranch_execz .LBB108_451
; %bb.446:
	v_cmp_ngt_f32_e64 s1, |v118|, |v119|
	s_and_saveexec_b32 s12, s1
	s_delay_alu instid0(SALU_CYCLE_1)
	s_xor_b32 s1, exec_lo, s12
	s_cbranch_execz .LBB108_448
; %bb.447:
	v_div_scale_f32 v117, null, v119, v119, v118
	v_div_scale_f32 v127, vcc_lo, v118, v119, v118
	s_delay_alu instid0(VALU_DEP_2) | instskip(SKIP_1) | instid1(TRANS32_DEP_1)
	v_rcp_f32_e32 v125, v117
	v_nop
	v_fma_f32 v126, -v117, v125, 1.0
	s_delay_alu instid0(VALU_DEP_1) | instskip(NEXT) | instid1(VALU_DEP_1)
	v_fmac_f32_e32 v125, v126, v125
	v_mul_f32_e32 v126, v127, v125
	s_delay_alu instid0(VALU_DEP_1) | instskip(NEXT) | instid1(VALU_DEP_1)
	v_fma_f32 v128, -v117, v126, v127
	v_fmac_f32_e32 v126, v128, v125
	s_delay_alu instid0(VALU_DEP_1) | instskip(NEXT) | instid1(VALU_DEP_1)
	v_fma_f32 v117, -v117, v126, v127
	v_div_fmas_f32 v117, v117, v125, v126
	s_delay_alu instid0(VALU_DEP_1) | instskip(NEXT) | instid1(VALU_DEP_1)
	v_div_fixup_f32 v117, v117, v119, v118
	v_fmac_f32_e32 v119, v118, v117
	s_delay_alu instid0(VALU_DEP_1) | instskip(SKIP_1) | instid1(VALU_DEP_2)
	v_div_scale_f32 v118, null, v119, v119, 1.0
	v_div_scale_f32 v127, vcc_lo, 1.0, v119, 1.0
	v_rcp_f32_e32 v125, v118
	v_nop
	s_delay_alu instid0(TRANS32_DEP_1) | instskip(NEXT) | instid1(VALU_DEP_1)
	v_fma_f32 v126, -v118, v125, 1.0
	v_fmac_f32_e32 v125, v126, v125
	s_delay_alu instid0(VALU_DEP_1) | instskip(NEXT) | instid1(VALU_DEP_1)
	v_mul_f32_e32 v126, v127, v125
	v_fma_f32 v128, -v118, v126, v127
	s_delay_alu instid0(VALU_DEP_1) | instskip(NEXT) | instid1(VALU_DEP_1)
	v_fmac_f32_e32 v126, v128, v125
	v_fma_f32 v118, -v118, v126, v127
	s_delay_alu instid0(VALU_DEP_1) | instskip(NEXT) | instid1(VALU_DEP_1)
	v_div_fmas_f32 v118, v118, v125, v126
	v_div_fixup_f32 v119, v118, v119, 1.0
	s_delay_alu instid0(VALU_DEP_1)
	v_mul_f32_e32 v118, v117, v119
	v_xor_b32_e32 v119, 0x80000000, v119
.LBB108_448:
	s_and_not1_saveexec_b32 s1, s1
	s_cbranch_execz .LBB108_450
; %bb.449:
	s_delay_alu instid0(VALU_DEP_1) | instskip(SKIP_1) | instid1(VALU_DEP_2)
	v_div_scale_f32 v117, null, v118, v118, v119
	v_div_scale_f32 v127, vcc_lo, v119, v118, v119
	v_rcp_f32_e32 v125, v117
	v_nop
	s_delay_alu instid0(TRANS32_DEP_1) | instskip(NEXT) | instid1(VALU_DEP_1)
	v_fma_f32 v126, -v117, v125, 1.0
	v_fmac_f32_e32 v125, v126, v125
	s_delay_alu instid0(VALU_DEP_1) | instskip(NEXT) | instid1(VALU_DEP_1)
	v_mul_f32_e32 v126, v127, v125
	v_fma_f32 v128, -v117, v126, v127
	s_delay_alu instid0(VALU_DEP_1) | instskip(NEXT) | instid1(VALU_DEP_1)
	v_fmac_f32_e32 v126, v128, v125
	v_fma_f32 v117, -v117, v126, v127
	s_delay_alu instid0(VALU_DEP_1) | instskip(NEXT) | instid1(VALU_DEP_1)
	v_div_fmas_f32 v117, v117, v125, v126
	v_div_fixup_f32 v117, v117, v118, v119
	s_delay_alu instid0(VALU_DEP_1) | instskip(NEXT) | instid1(VALU_DEP_1)
	v_fmac_f32_e32 v118, v119, v117
	v_div_scale_f32 v119, null, v118, v118, 1.0
	s_delay_alu instid0(VALU_DEP_1) | instskip(SKIP_1) | instid1(TRANS32_DEP_1)
	v_rcp_f32_e32 v125, v119
	v_nop
	v_fma_f32 v126, -v119, v125, 1.0
	s_delay_alu instid0(VALU_DEP_1) | instskip(SKIP_1) | instid1(VALU_DEP_1)
	v_fmac_f32_e32 v125, v126, v125
	v_div_scale_f32 v126, vcc_lo, 1.0, v118, 1.0
	v_mul_f32_e32 v127, v126, v125
	s_delay_alu instid0(VALU_DEP_1) | instskip(NEXT) | instid1(VALU_DEP_1)
	v_fma_f32 v128, -v119, v127, v126
	v_fmac_f32_e32 v127, v128, v125
	s_delay_alu instid0(VALU_DEP_1) | instskip(NEXT) | instid1(VALU_DEP_1)
	v_fma_f32 v119, -v119, v127, v126
	v_div_fmas_f32 v119, v119, v125, v127
	s_delay_alu instid0(VALU_DEP_1) | instskip(NEXT) | instid1(VALU_DEP_1)
	v_div_fixup_f32 v118, v119, v118, 1.0
	v_mul_f32_e64 v119, v117, -v118
.LBB108_450:
	s_or_b32 exec_lo, exec_lo, s1
.LBB108_451:
	s_delay_alu instid0(SALU_CYCLE_1) | instskip(NEXT) | instid1(SALU_CYCLE_1)
	s_or_b32 exec_lo, exec_lo, s0
	s_mov_b32 s0, exec_lo
	v_cmpx_ne_u32_e64 v124, v116
	s_xor_b32 s0, exec_lo, s0
	s_cbranch_execz .LBB108_457
; %bb.452:
	s_mov_b32 s1, exec_lo
	v_cmpx_eq_u32_e32 21, v124
	s_cbranch_execz .LBB108_456
; %bb.453:
	v_cmp_ne_u32_e32 vcc_lo, 21, v116
	s_xor_b32 s12, s16, -1
	s_delay_alu instid0(SALU_CYCLE_1) | instskip(NEXT) | instid1(SALU_CYCLE_1)
	s_and_b32 s13, s12, vcc_lo
	s_and_saveexec_b32 s12, s13
	s_cbranch_execz .LBB108_455
; %bb.454:
	v_ashrrev_i32_e32 v117, 31, v116
	s_delay_alu instid0(VALU_DEP_1)
	v_lshl_add_u64 v[124:125], v[116:117], 2, v[4:5]
	s_clause 0x1
	global_load_b32 v117, v[124:125], off
	global_load_b32 v123, v[4:5], off offset:84
	s_wait_loadcnt 0x1
	global_store_b32 v[4:5], v117, off offset:84
	s_wait_loadcnt 0x0
	global_store_b32 v[124:125], v123, off
.LBB108_455:
	s_wait_xcnt 0x0
	s_or_b32 exec_lo, exec_lo, s12
	v_dual_mov_b32 v124, v116 :: v_dual_mov_b32 v123, v116
.LBB108_456:
	s_or_b32 exec_lo, exec_lo, s1
.LBB108_457:
	s_and_not1_saveexec_b32 s0, s0
	s_cbranch_execz .LBB108_459
; %bb.458:
	v_dual_mov_b32 v116, v40 :: v_dual_mov_b32 v117, v41
	v_dual_mov_b32 v124, v38 :: v_dual_mov_b32 v125, v39
	ds_store_2addr_b64 v120, v[116:117], v[124:125] offset0:22 offset1:23
	v_dual_mov_b32 v116, v84 :: v_dual_mov_b32 v117, v85
	v_dual_mov_b32 v124, v82 :: v_dual_mov_b32 v125, v83
	ds_store_2addr_b64 v120, v[116:117], v[124:125] offset0:24 offset1:25
	;; [unrolled: 3-line block ×16, first 2 shown]
	ds_store_b64 v120, v[114:115] offset:432
	v_mov_b32_e32 v124, 21
.LBB108_459:
	s_or_b32 exec_lo, exec_lo, s0
	s_delay_alu instid0(SALU_CYCLE_1)
	s_mov_b32 s0, exec_lo
	s_wait_storecnt_dscnt 0x0
	s_barrier_signal -1
	s_barrier_wait -1
	v_cmpx_lt_i32_e32 21, v124
	s_cbranch_execz .LBB108_461
; %bb.460:
	v_pk_mul_f32 v[126:127], v[118:119], v[86:87] op_sel:[1,1] op_sel_hi:[0,1]
	s_delay_alu instid0(VALU_DEP_1)
	v_pk_fma_f32 v[116:117], v[118:119], v[86:87], v[126:127] op_sel_hi:[1,0,1] neg_lo:[0,0,1] neg_hi:[0,0,1]
	v_pk_fma_f32 v[118:119], v[118:119], v[86:87], v[126:127] op_sel_hi:[1,0,1]
	ds_load_2addr_b64 v[126:129], v120 offset0:22 offset1:23
	v_dual_mov_b32 v86, v116 :: v_dual_mov_b32 v87, v119
	s_wait_dscnt 0x0
	v_pk_mul_f32 v[130:131], v[126:127], v[118:119] op_sel:[0,1]
	s_delay_alu instid0(VALU_DEP_1) | instskip(SKIP_1) | instid1(VALU_DEP_1)
	v_pk_fma_f32 v[132:133], v[126:127], v[116:117], v[130:131] op_sel:[0,0,1] op_sel_hi:[1,1,0] neg_lo:[0,0,1] neg_hi:[0,0,1]
	v_pk_fma_f32 v[126:127], v[126:127], v[116:117], v[130:131] op_sel:[0,0,1] op_sel_hi:[1,0,0]
	v_mov_b32_e32 v133, v127
	v_pk_mul_f32 v[126:127], v[128:129], v[118:119] op_sel:[0,1]
	s_delay_alu instid0(VALU_DEP_1) | instskip(SKIP_1) | instid1(VALU_DEP_1)
	v_pk_fma_f32 v[130:131], v[128:129], v[116:117], v[126:127] op_sel:[0,0,1] op_sel_hi:[1,1,0] neg_lo:[0,0,1] neg_hi:[0,0,1]
	v_pk_fma_f32 v[126:127], v[128:129], v[116:117], v[126:127] op_sel:[0,0,1] op_sel_hi:[1,0,0]
	v_mov_b32_e32 v131, v127
	ds_load_2addr_b64 v[126:129], v120 offset0:24 offset1:25
	v_pk_add_f32 v[40:41], v[40:41], v[132:133] neg_lo:[0,1] neg_hi:[0,1]
	v_pk_add_f32 v[38:39], v[38:39], v[130:131] neg_lo:[0,1] neg_hi:[0,1]
	s_wait_dscnt 0x0
	v_pk_mul_f32 v[130:131], v[126:127], v[118:119] op_sel:[0,1]
	s_delay_alu instid0(VALU_DEP_1) | instskip(SKIP_2) | instid1(VALU_DEP_2)
	v_pk_fma_f32 v[132:133], v[126:127], v[116:117], v[130:131] op_sel:[0,0,1] op_sel_hi:[1,1,0] neg_lo:[0,0,1] neg_hi:[0,0,1]
	v_pk_fma_f32 v[126:127], v[126:127], v[116:117], v[130:131] op_sel:[0,0,1] op_sel_hi:[1,0,0]
	v_dual_mul_f32 v130, v129, v119 :: v_dual_mov_b32 v126, v129
	v_dual_mov_b32 v133, v127 :: v_dual_mov_b32 v127, v128
	s_delay_alu instid0(VALU_DEP_2) | instskip(SKIP_1) | instid1(VALU_DEP_3)
	v_pk_fma_f32 v[130:131], v[128:129], v[86:87], v[130:131] op_sel_hi:[1,1,0] neg_lo:[0,0,1] neg_hi:[0,0,1]
	v_mul_f32_e32 v128, v129, v116
	v_pk_add_f32 v[84:85], v[84:85], v[132:133] neg_lo:[0,1] neg_hi:[0,1]
	s_delay_alu instid0(VALU_DEP_2) | instskip(NEXT) | instid1(VALU_DEP_1)
	v_pk_fma_f32 v[126:127], v[126:127], v[86:87], v[128:129] op_sel_hi:[1,1,0]
	v_mov_b32_e32 v131, v127
	ds_load_2addr_b64 v[126:129], v120 offset0:26 offset1:27
	v_pk_add_f32 v[82:83], v[82:83], v[130:131] neg_lo:[0,1] neg_hi:[0,1]
	s_wait_dscnt 0x0
	v_pk_mul_f32 v[130:131], v[126:127], v[118:119] op_sel:[0,1]
	s_delay_alu instid0(VALU_DEP_1) | instskip(SKIP_1) | instid1(VALU_DEP_1)
	v_pk_fma_f32 v[132:133], v[126:127], v[116:117], v[130:131] op_sel:[0,0,1] op_sel_hi:[1,1,0] neg_lo:[0,0,1] neg_hi:[0,0,1]
	v_pk_fma_f32 v[126:127], v[126:127], v[116:117], v[130:131] op_sel:[0,0,1] op_sel_hi:[1,0,0]
	v_mov_b32_e32 v133, v127
	v_pk_mul_f32 v[126:127], v[128:129], v[118:119] op_sel:[0,1]
	s_delay_alu instid0(VALU_DEP_1) | instskip(SKIP_1) | instid1(VALU_DEP_1)
	v_pk_fma_f32 v[130:131], v[128:129], v[116:117], v[126:127] op_sel:[0,0,1] op_sel_hi:[1,1,0] neg_lo:[0,0,1] neg_hi:[0,0,1]
	v_pk_fma_f32 v[126:127], v[128:129], v[116:117], v[126:127] op_sel:[0,0,1] op_sel_hi:[1,0,0]
	v_mov_b32_e32 v131, v127
	ds_load_2addr_b64 v[126:129], v120 offset0:28 offset1:29
	v_pk_add_f32 v[36:37], v[36:37], v[132:133] neg_lo:[0,1] neg_hi:[0,1]
	v_pk_add_f32 v[32:33], v[32:33], v[130:131] neg_lo:[0,1] neg_hi:[0,1]
	s_wait_dscnt 0x0
	v_pk_mul_f32 v[130:131], v[126:127], v[118:119] op_sel:[0,1]
	s_delay_alu instid0(VALU_DEP_1) | instskip(SKIP_1) | instid1(VALU_DEP_1)
	v_pk_fma_f32 v[132:133], v[126:127], v[116:117], v[130:131] op_sel:[0,0,1] op_sel_hi:[1,1,0] neg_lo:[0,0,1] neg_hi:[0,0,1]
	v_pk_fma_f32 v[126:127], v[126:127], v[116:117], v[130:131] op_sel:[0,0,1] op_sel_hi:[1,0,0]
	v_mov_b32_e32 v133, v127
	v_pk_mul_f32 v[126:127], v[128:129], v[118:119] op_sel:[0,1]
	s_delay_alu instid0(VALU_DEP_1) | instskip(SKIP_1) | instid1(VALU_DEP_1)
	v_pk_fma_f32 v[130:131], v[128:129], v[116:117], v[126:127] op_sel:[0,0,1] op_sel_hi:[1,1,0] neg_lo:[0,0,1] neg_hi:[0,0,1]
	v_pk_fma_f32 v[126:127], v[128:129], v[116:117], v[126:127] op_sel:[0,0,1] op_sel_hi:[1,0,0]
	v_mov_b32_e32 v131, v127
	ds_load_2addr_b64 v[126:129], v120 offset0:30 offset1:31
	v_pk_add_f32 v[80:81], v[80:81], v[132:133] neg_lo:[0,1] neg_hi:[0,1]
	v_pk_add_f32 v[78:79], v[78:79], v[130:131] neg_lo:[0,1] neg_hi:[0,1]
	s_wait_dscnt 0x0
	v_dual_mul_f32 v130, v127, v119 :: v_dual_mul_f32 v132, v127, v116
	s_delay_alu instid0(VALU_DEP_1) | instskip(NEXT) | instid1(VALU_DEP_2)
	v_pk_fma_f32 v[130:131], v[126:127], v[86:87], v[130:131] op_sel_hi:[1,1,0] neg_lo:[0,0,1] neg_hi:[0,0,1]
	v_pk_fma_f32 v[126:127], v[126:127], v[86:87], v[132:133] op_sel:[1,0,0] op_sel_hi:[0,1,0]
	s_delay_alu instid0(VALU_DEP_1) | instskip(SKIP_1) | instid1(VALU_DEP_2)
	v_mov_b32_e32 v131, v127
	v_pk_mul_f32 v[126:127], v[128:129], v[118:119] op_sel:[0,1]
	v_pk_add_f32 v[28:29], v[28:29], v[130:131] neg_lo:[0,1] neg_hi:[0,1]
	s_delay_alu instid0(VALU_DEP_2) | instskip(SKIP_1) | instid1(VALU_DEP_1)
	v_pk_fma_f32 v[130:131], v[128:129], v[116:117], v[126:127] op_sel:[0,0,1] op_sel_hi:[1,1,0] neg_lo:[0,0,1] neg_hi:[0,0,1]
	v_pk_fma_f32 v[126:127], v[128:129], v[116:117], v[126:127] op_sel:[0,0,1] op_sel_hi:[1,0,0]
	v_mov_b32_e32 v131, v127
	ds_load_2addr_b64 v[126:129], v120 offset0:32 offset1:33
	v_pk_add_f32 v[26:27], v[26:27], v[130:131] neg_lo:[0,1] neg_hi:[0,1]
	s_wait_dscnt 0x0
	v_pk_mul_f32 v[130:131], v[126:127], v[118:119] op_sel:[0,1]
	s_delay_alu instid0(VALU_DEP_1) | instskip(SKIP_1) | instid1(VALU_DEP_1)
	v_pk_fma_f32 v[132:133], v[126:127], v[116:117], v[130:131] op_sel:[0,0,1] op_sel_hi:[1,1,0] neg_lo:[0,0,1] neg_hi:[0,0,1]
	v_pk_fma_f32 v[126:127], v[126:127], v[116:117], v[130:131] op_sel:[0,0,1] op_sel_hi:[1,0,0]
	v_mov_b32_e32 v133, v127
	v_pk_mul_f32 v[126:127], v[128:129], v[118:119] op_sel:[0,1]
	s_delay_alu instid0(VALU_DEP_2) | instskip(NEXT) | instid1(VALU_DEP_2)
	v_pk_add_f32 v[76:77], v[76:77], v[132:133] neg_lo:[0,1] neg_hi:[0,1]
	v_pk_fma_f32 v[130:131], v[128:129], v[116:117], v[126:127] op_sel:[0,0,1] op_sel_hi:[1,1,0] neg_lo:[0,0,1] neg_hi:[0,0,1]
	v_pk_fma_f32 v[126:127], v[128:129], v[116:117], v[126:127] op_sel:[0,0,1] op_sel_hi:[1,0,0]
	s_delay_alu instid0(VALU_DEP_1) | instskip(SKIP_4) | instid1(VALU_DEP_1)
	v_mov_b32_e32 v131, v127
	ds_load_2addr_b64 v[126:129], v120 offset0:34 offset1:35
	v_pk_add_f32 v[74:75], v[74:75], v[130:131] neg_lo:[0,1] neg_hi:[0,1]
	s_wait_dscnt 0x0
	v_pk_mul_f32 v[130:131], v[126:127], v[118:119] op_sel:[0,1]
	v_pk_fma_f32 v[132:133], v[126:127], v[116:117], v[130:131] op_sel:[0,0,1] op_sel_hi:[1,1,0] neg_lo:[0,0,1] neg_hi:[0,0,1]
	v_pk_fma_f32 v[126:127], v[126:127], v[116:117], v[130:131] op_sel:[0,0,1] op_sel_hi:[1,0,0]
	v_dual_mul_f32 v130, v129, v119 :: v_dual_mov_b32 v126, v129
	s_delay_alu instid0(VALU_DEP_2) | instskip(NEXT) | instid1(VALU_DEP_2)
	v_dual_mov_b32 v133, v127 :: v_dual_mov_b32 v127, v128
	v_pk_fma_f32 v[130:131], v[128:129], v[86:87], v[130:131] op_sel_hi:[1,1,0] neg_lo:[0,0,1] neg_hi:[0,0,1]
	v_mul_f32_e32 v128, v129, v116
	s_delay_alu instid0(VALU_DEP_3) | instskip(NEXT) | instid1(VALU_DEP_2)
	v_pk_add_f32 v[22:23], v[22:23], v[132:133] neg_lo:[0,1] neg_hi:[0,1]
	v_pk_fma_f32 v[126:127], v[126:127], v[86:87], v[128:129] op_sel_hi:[1,1,0]
	s_delay_alu instid0(VALU_DEP_1) | instskip(SKIP_4) | instid1(VALU_DEP_1)
	v_mov_b32_e32 v131, v127
	ds_load_2addr_b64 v[126:129], v120 offset0:36 offset1:37
	v_pk_add_f32 v[20:21], v[20:21], v[130:131] neg_lo:[0,1] neg_hi:[0,1]
	s_wait_dscnt 0x0
	v_pk_mul_f32 v[130:131], v[126:127], v[118:119] op_sel:[0,1]
	v_pk_fma_f32 v[132:133], v[126:127], v[116:117], v[130:131] op_sel:[0,0,1] op_sel_hi:[1,1,0] neg_lo:[0,0,1] neg_hi:[0,0,1]
	v_pk_fma_f32 v[126:127], v[126:127], v[116:117], v[130:131] op_sel:[0,0,1] op_sel_hi:[1,0,0]
	s_delay_alu instid0(VALU_DEP_1) | instskip(SKIP_1) | instid1(VALU_DEP_1)
	v_mov_b32_e32 v133, v127
	v_pk_mul_f32 v[126:127], v[128:129], v[118:119] op_sel:[0,1]
	v_pk_fma_f32 v[130:131], v[128:129], v[116:117], v[126:127] op_sel:[0,0,1] op_sel_hi:[1,1,0] neg_lo:[0,0,1] neg_hi:[0,0,1]
	v_pk_fma_f32 v[126:127], v[128:129], v[116:117], v[126:127] op_sel:[0,0,1] op_sel_hi:[1,0,0]
	s_delay_alu instid0(VALU_DEP_1)
	v_mov_b32_e32 v131, v127
	ds_load_2addr_b64 v[126:129], v120 offset0:38 offset1:39
	v_pk_add_f32 v[72:73], v[72:73], v[132:133] neg_lo:[0,1] neg_hi:[0,1]
	v_pk_add_f32 v[70:71], v[70:71], v[130:131] neg_lo:[0,1] neg_hi:[0,1]
	s_wait_dscnt 0x0
	v_pk_mul_f32 v[130:131], v[126:127], v[118:119] op_sel:[0,1]
	s_delay_alu instid0(VALU_DEP_1) | instskip(SKIP_1) | instid1(VALU_DEP_1)
	v_pk_fma_f32 v[132:133], v[126:127], v[116:117], v[130:131] op_sel:[0,0,1] op_sel_hi:[1,1,0] neg_lo:[0,0,1] neg_hi:[0,0,1]
	v_pk_fma_f32 v[126:127], v[126:127], v[116:117], v[130:131] op_sel:[0,0,1] op_sel_hi:[1,0,0]
	v_mov_b32_e32 v133, v127
	v_pk_mul_f32 v[126:127], v[128:129], v[118:119] op_sel:[0,1]
	s_delay_alu instid0(VALU_DEP_1) | instskip(SKIP_1) | instid1(VALU_DEP_1)
	v_pk_fma_f32 v[130:131], v[128:129], v[116:117], v[126:127] op_sel:[0,0,1] op_sel_hi:[1,1,0] neg_lo:[0,0,1] neg_hi:[0,0,1]
	v_pk_fma_f32 v[126:127], v[128:129], v[116:117], v[126:127] op_sel:[0,0,1] op_sel_hi:[1,0,0]
	v_mov_b32_e32 v131, v127
	ds_load_2addr_b64 v[126:129], v120 offset0:40 offset1:41
	v_pk_add_f32 v[18:19], v[18:19], v[132:133] neg_lo:[0,1] neg_hi:[0,1]
	v_pk_add_f32 v[16:17], v[16:17], v[130:131] neg_lo:[0,1] neg_hi:[0,1]
	s_wait_dscnt 0x0
	v_dual_mul_f32 v130, v127, v119 :: v_dual_mul_f32 v132, v127, v116
	s_delay_alu instid0(VALU_DEP_1) | instskip(NEXT) | instid1(VALU_DEP_2)
	v_pk_fma_f32 v[130:131], v[126:127], v[86:87], v[130:131] op_sel_hi:[1,1,0] neg_lo:[0,0,1] neg_hi:[0,0,1]
	v_pk_fma_f32 v[126:127], v[126:127], v[86:87], v[132:133] op_sel:[1,0,0] op_sel_hi:[0,1,0]
	s_delay_alu instid0(VALU_DEP_1) | instskip(SKIP_1) | instid1(VALU_DEP_2)
	v_mov_b32_e32 v131, v127
	v_pk_mul_f32 v[126:127], v[128:129], v[118:119] op_sel:[0,1]
	v_pk_add_f32 v[68:69], v[68:69], v[130:131] neg_lo:[0,1] neg_hi:[0,1]
	s_delay_alu instid0(VALU_DEP_2) | instskip(SKIP_1) | instid1(VALU_DEP_1)
	v_pk_fma_f32 v[130:131], v[128:129], v[116:117], v[126:127] op_sel:[0,0,1] op_sel_hi:[1,1,0] neg_lo:[0,0,1] neg_hi:[0,0,1]
	v_pk_fma_f32 v[126:127], v[128:129], v[116:117], v[126:127] op_sel:[0,0,1] op_sel_hi:[1,0,0]
	v_mov_b32_e32 v131, v127
	ds_load_2addr_b64 v[126:129], v120 offset0:42 offset1:43
	v_pk_add_f32 v[66:67], v[66:67], v[130:131] neg_lo:[0,1] neg_hi:[0,1]
	s_wait_dscnt 0x0
	v_pk_mul_f32 v[130:131], v[126:127], v[118:119] op_sel:[0,1]
	s_delay_alu instid0(VALU_DEP_1) | instskip(SKIP_1) | instid1(VALU_DEP_1)
	v_pk_fma_f32 v[132:133], v[126:127], v[116:117], v[130:131] op_sel:[0,0,1] op_sel_hi:[1,1,0] neg_lo:[0,0,1] neg_hi:[0,0,1]
	v_pk_fma_f32 v[126:127], v[126:127], v[116:117], v[130:131] op_sel:[0,0,1] op_sel_hi:[1,0,0]
	v_mov_b32_e32 v133, v127
	v_pk_mul_f32 v[126:127], v[128:129], v[118:119] op_sel:[0,1]
	s_delay_alu instid0(VALU_DEP_2) | instskip(NEXT) | instid1(VALU_DEP_2)
	v_pk_add_f32 v[14:15], v[14:15], v[132:133] neg_lo:[0,1] neg_hi:[0,1]
	v_pk_fma_f32 v[130:131], v[128:129], v[116:117], v[126:127] op_sel:[0,0,1] op_sel_hi:[1,1,0] neg_lo:[0,0,1] neg_hi:[0,0,1]
	v_pk_fma_f32 v[126:127], v[128:129], v[116:117], v[126:127] op_sel:[0,0,1] op_sel_hi:[1,0,0]
	s_delay_alu instid0(VALU_DEP_1) | instskip(SKIP_4) | instid1(VALU_DEP_1)
	v_mov_b32_e32 v131, v127
	ds_load_2addr_b64 v[126:129], v120 offset0:44 offset1:45
	v_pk_add_f32 v[12:13], v[12:13], v[130:131] neg_lo:[0,1] neg_hi:[0,1]
	s_wait_dscnt 0x0
	v_pk_mul_f32 v[130:131], v[126:127], v[118:119] op_sel:[0,1]
	v_pk_fma_f32 v[132:133], v[126:127], v[116:117], v[130:131] op_sel:[0,0,1] op_sel_hi:[1,1,0] neg_lo:[0,0,1] neg_hi:[0,0,1]
	v_pk_fma_f32 v[126:127], v[126:127], v[116:117], v[130:131] op_sel:[0,0,1] op_sel_hi:[1,0,0]
	v_dual_mul_f32 v130, v129, v119 :: v_dual_mov_b32 v126, v129
	s_delay_alu instid0(VALU_DEP_2) | instskip(NEXT) | instid1(VALU_DEP_2)
	v_dual_mov_b32 v133, v127 :: v_dual_mov_b32 v127, v128
	v_pk_fma_f32 v[130:131], v[128:129], v[86:87], v[130:131] op_sel_hi:[1,1,0] neg_lo:[0,0,1] neg_hi:[0,0,1]
	v_mul_f32_e32 v128, v129, v116
	s_delay_alu instid0(VALU_DEP_3) | instskip(NEXT) | instid1(VALU_DEP_2)
	v_pk_add_f32 v[64:65], v[64:65], v[132:133] neg_lo:[0,1] neg_hi:[0,1]
	v_pk_fma_f32 v[126:127], v[126:127], v[86:87], v[128:129] op_sel_hi:[1,1,0]
	s_delay_alu instid0(VALU_DEP_1) | instskip(SKIP_4) | instid1(VALU_DEP_1)
	v_mov_b32_e32 v131, v127
	ds_load_2addr_b64 v[126:129], v120 offset0:46 offset1:47
	v_pk_add_f32 v[62:63], v[62:63], v[130:131] neg_lo:[0,1] neg_hi:[0,1]
	s_wait_dscnt 0x0
	v_pk_mul_f32 v[130:131], v[126:127], v[118:119] op_sel:[0,1]
	v_pk_fma_f32 v[132:133], v[126:127], v[116:117], v[130:131] op_sel:[0,0,1] op_sel_hi:[1,1,0] neg_lo:[0,0,1] neg_hi:[0,0,1]
	v_pk_fma_f32 v[126:127], v[126:127], v[116:117], v[130:131] op_sel:[0,0,1] op_sel_hi:[1,0,0]
	s_delay_alu instid0(VALU_DEP_1) | instskip(SKIP_1) | instid1(VALU_DEP_1)
	v_mov_b32_e32 v133, v127
	v_pk_mul_f32 v[126:127], v[128:129], v[118:119] op_sel:[0,1]
	v_pk_fma_f32 v[130:131], v[128:129], v[116:117], v[126:127] op_sel:[0,0,1] op_sel_hi:[1,1,0] neg_lo:[0,0,1] neg_hi:[0,0,1]
	v_pk_fma_f32 v[126:127], v[128:129], v[116:117], v[126:127] op_sel:[0,0,1] op_sel_hi:[1,0,0]
	s_delay_alu instid0(VALU_DEP_1)
	v_mov_b32_e32 v131, v127
	ds_load_2addr_b64 v[126:129], v120 offset0:48 offset1:49
	v_pk_add_f32 v[10:11], v[10:11], v[132:133] neg_lo:[0,1] neg_hi:[0,1]
	v_pk_add_f32 v[6:7], v[6:7], v[130:131] neg_lo:[0,1] neg_hi:[0,1]
	s_wait_dscnt 0x0
	v_pk_mul_f32 v[130:131], v[126:127], v[118:119] op_sel:[0,1]
	s_delay_alu instid0(VALU_DEP_1) | instskip(SKIP_1) | instid1(VALU_DEP_1)
	v_pk_fma_f32 v[132:133], v[126:127], v[116:117], v[130:131] op_sel:[0,0,1] op_sel_hi:[1,1,0] neg_lo:[0,0,1] neg_hi:[0,0,1]
	v_pk_fma_f32 v[126:127], v[126:127], v[116:117], v[130:131] op_sel:[0,0,1] op_sel_hi:[1,0,0]
	v_mov_b32_e32 v133, v127
	v_pk_mul_f32 v[126:127], v[128:129], v[118:119] op_sel:[0,1]
	s_delay_alu instid0(VALU_DEP_1) | instskip(SKIP_1) | instid1(VALU_DEP_1)
	v_pk_fma_f32 v[130:131], v[128:129], v[116:117], v[126:127] op_sel:[0,0,1] op_sel_hi:[1,1,0] neg_lo:[0,0,1] neg_hi:[0,0,1]
	v_pk_fma_f32 v[126:127], v[128:129], v[116:117], v[126:127] op_sel:[0,0,1] op_sel_hi:[1,0,0]
	v_mov_b32_e32 v131, v127
	ds_load_2addr_b64 v[126:129], v120 offset0:50 offset1:51
	v_pk_add_f32 v[52:53], v[52:53], v[132:133] neg_lo:[0,1] neg_hi:[0,1]
	v_pk_add_f32 v[50:51], v[50:51], v[130:131] neg_lo:[0,1] neg_hi:[0,1]
	s_wait_dscnt 0x0
	v_dual_mul_f32 v130, v127, v119 :: v_dual_mul_f32 v132, v127, v116
	s_delay_alu instid0(VALU_DEP_1) | instskip(NEXT) | instid1(VALU_DEP_2)
	v_pk_fma_f32 v[130:131], v[126:127], v[86:87], v[130:131] op_sel_hi:[1,1,0] neg_lo:[0,0,1] neg_hi:[0,0,1]
	v_pk_fma_f32 v[126:127], v[126:127], v[86:87], v[132:133] op_sel:[1,0,0] op_sel_hi:[0,1,0]
	s_delay_alu instid0(VALU_DEP_1) | instskip(SKIP_1) | instid1(VALU_DEP_2)
	v_mov_b32_e32 v131, v127
	v_pk_mul_f32 v[126:127], v[128:129], v[118:119] op_sel:[0,1]
	v_pk_add_f32 v[8:9], v[8:9], v[130:131] neg_lo:[0,1] neg_hi:[0,1]
	s_delay_alu instid0(VALU_DEP_2) | instskip(SKIP_1) | instid1(VALU_DEP_1)
	v_pk_fma_f32 v[130:131], v[128:129], v[116:117], v[126:127] op_sel:[0,0,1] op_sel_hi:[1,1,0] neg_lo:[0,0,1] neg_hi:[0,0,1]
	v_pk_fma_f32 v[126:127], v[128:129], v[116:117], v[126:127] op_sel:[0,0,1] op_sel_hi:[1,0,0]
	v_mov_b32_e32 v131, v127
	ds_load_2addr_b64 v[126:129], v120 offset0:52 offset1:53
	v_pk_add_f32 v[30:31], v[30:31], v[130:131] neg_lo:[0,1] neg_hi:[0,1]
	s_wait_dscnt 0x0
	v_pk_mul_f32 v[130:131], v[126:127], v[118:119] op_sel:[0,1]
	s_delay_alu instid0(VALU_DEP_1) | instskip(SKIP_1) | instid1(VALU_DEP_1)
	v_pk_fma_f32 v[132:133], v[126:127], v[116:117], v[130:131] op_sel:[0,0,1] op_sel_hi:[1,1,0] neg_lo:[0,0,1] neg_hi:[0,0,1]
	v_pk_fma_f32 v[126:127], v[126:127], v[116:117], v[130:131] op_sel:[0,0,1] op_sel_hi:[1,0,0]
	v_mov_b32_e32 v133, v127
	v_pk_mul_f32 v[126:127], v[128:129], v[118:119] op_sel:[0,1]
	s_delay_alu instid0(VALU_DEP_2) | instskip(NEXT) | instid1(VALU_DEP_2)
	v_pk_add_f32 v[34:35], v[34:35], v[132:133] neg_lo:[0,1] neg_hi:[0,1]
	v_pk_fma_f32 v[130:131], v[128:129], v[116:117], v[126:127] op_sel:[0,0,1] op_sel_hi:[1,1,0] neg_lo:[0,0,1] neg_hi:[0,0,1]
	v_pk_fma_f32 v[126:127], v[128:129], v[116:117], v[126:127] op_sel:[0,0,1] op_sel_hi:[1,0,0]
	s_delay_alu instid0(VALU_DEP_1) | instskip(SKIP_4) | instid1(VALU_DEP_1)
	v_mov_b32_e32 v131, v127
	ds_load_b64 v[126:127], v120 offset:432
	v_pk_add_f32 v[24:25], v[24:25], v[130:131] neg_lo:[0,1] neg_hi:[0,1]
	s_wait_dscnt 0x0
	v_pk_mul_f32 v[118:119], v[126:127], v[118:119] op_sel:[0,1]
	v_pk_fma_f32 v[128:129], v[126:127], v[116:117], v[118:119] op_sel:[0,0,1] op_sel_hi:[1,1,0] neg_lo:[0,0,1] neg_hi:[0,0,1]
	v_pk_fma_f32 v[116:117], v[126:127], v[116:117], v[118:119] op_sel:[0,0,1] op_sel_hi:[1,0,0]
	s_delay_alu instid0(VALU_DEP_1) | instskip(NEXT) | instid1(VALU_DEP_1)
	v_mov_b32_e32 v129, v117
	v_pk_add_f32 v[114:115], v[114:115], v[128:129] neg_lo:[0,1] neg_hi:[0,1]
.LBB108_461:
	s_or_b32 exec_lo, exec_lo, s0
	v_lshl_add_u32 v116, v124, 3, v120
	s_barrier_signal -1
	s_barrier_wait -1
	ds_store_b64 v116, v[40:41]
	s_wait_dscnt 0x0
	s_barrier_signal -1
	s_barrier_wait -1
	ds_load_b64 v[118:119], v120 offset:176
	v_mov_b32_e32 v116, 22
	s_cmp_lt_i32 s18, 24
	s_cbranch_scc1 .LBB108_464
; %bb.462:
	v_add3_u32 v117, v121, 0, 0xb8
	v_mov_b32_e32 v116, 22
	s_mov_b32 s0, 23
.LBB108_463:                            ; =>This Inner Loop Header: Depth=1
	ds_load_b64 v[126:127], v117
	s_wait_dscnt 0x1
	v_cmp_gt_f32_e32 vcc_lo, 0, v118
	v_cndmask_b32_e64 v128, v118, -v118, vcc_lo
	v_cmp_gt_f32_e32 vcc_lo, 0, v119
	v_cndmask_b32_e64 v130, v119, -v119, vcc_lo
	s_wait_dscnt 0x0
	v_cmp_gt_f32_e32 vcc_lo, 0, v126
	v_cndmask_b32_e64 v129, v126, -v126, vcc_lo
	v_cmp_gt_f32_e32 vcc_lo, 0, v127
	v_cndmask_b32_e64 v131, v127, -v127, vcc_lo
	s_delay_alu instid0(VALU_DEP_1) | instskip(NEXT) | instid1(VALU_DEP_1)
	v_pk_add_f32 v[128:129], v[128:129], v[130:131]
	v_cmp_lt_f32_e32 vcc_lo, v128, v129
	v_dual_add_nc_u32 v117, 8, v117 :: v_dual_cndmask_b32 v119, v119, v127, vcc_lo
	v_cndmask_b32_e32 v118, v118, v126, vcc_lo
	v_cndmask_b32_e64 v116, v116, s0, vcc_lo
	s_add_co_i32 s0, s0, 1
	s_delay_alu instid0(SALU_CYCLE_1)
	s_cmp_lg_u32 s18, s0
	s_cbranch_scc1 .LBB108_463
.LBB108_464:
	s_wait_dscnt 0x0
	v_cmp_eq_f32_e32 vcc_lo, 0, v118
	v_cmp_eq_f32_e64 s0, 0, v119
	s_and_b32 s0, vcc_lo, s0
	s_delay_alu instid0(SALU_CYCLE_1) | instskip(NEXT) | instid1(SALU_CYCLE_1)
	s_and_saveexec_b32 s1, s0
	s_xor_b32 s0, exec_lo, s1
; %bb.465:
	v_cmp_ne_u32_e32 vcc_lo, 0, v122
	v_cndmask_b32_e32 v122, 23, v122, vcc_lo
; %bb.466:
	s_and_not1_saveexec_b32 s0, s0
	s_cbranch_execz .LBB108_472
; %bb.467:
	v_cmp_ngt_f32_e64 s1, |v118|, |v119|
	s_and_saveexec_b32 s12, s1
	s_delay_alu instid0(SALU_CYCLE_1)
	s_xor_b32 s1, exec_lo, s12
	s_cbranch_execz .LBB108_469
; %bb.468:
	v_div_scale_f32 v117, null, v119, v119, v118
	v_div_scale_f32 v127, vcc_lo, v118, v119, v118
	s_delay_alu instid0(VALU_DEP_2) | instskip(SKIP_1) | instid1(TRANS32_DEP_1)
	v_rcp_f32_e32 v125, v117
	v_nop
	v_fma_f32 v126, -v117, v125, 1.0
	s_delay_alu instid0(VALU_DEP_1) | instskip(NEXT) | instid1(VALU_DEP_1)
	v_fmac_f32_e32 v125, v126, v125
	v_mul_f32_e32 v126, v127, v125
	s_delay_alu instid0(VALU_DEP_1) | instskip(NEXT) | instid1(VALU_DEP_1)
	v_fma_f32 v128, -v117, v126, v127
	v_fmac_f32_e32 v126, v128, v125
	s_delay_alu instid0(VALU_DEP_1) | instskip(NEXT) | instid1(VALU_DEP_1)
	v_fma_f32 v117, -v117, v126, v127
	v_div_fmas_f32 v117, v117, v125, v126
	s_delay_alu instid0(VALU_DEP_1) | instskip(NEXT) | instid1(VALU_DEP_1)
	v_div_fixup_f32 v117, v117, v119, v118
	v_fmac_f32_e32 v119, v118, v117
	s_delay_alu instid0(VALU_DEP_1) | instskip(SKIP_1) | instid1(VALU_DEP_2)
	v_div_scale_f32 v118, null, v119, v119, 1.0
	v_div_scale_f32 v127, vcc_lo, 1.0, v119, 1.0
	v_rcp_f32_e32 v125, v118
	v_nop
	s_delay_alu instid0(TRANS32_DEP_1) | instskip(NEXT) | instid1(VALU_DEP_1)
	v_fma_f32 v126, -v118, v125, 1.0
	v_fmac_f32_e32 v125, v126, v125
	s_delay_alu instid0(VALU_DEP_1) | instskip(NEXT) | instid1(VALU_DEP_1)
	v_mul_f32_e32 v126, v127, v125
	v_fma_f32 v128, -v118, v126, v127
	s_delay_alu instid0(VALU_DEP_1) | instskip(NEXT) | instid1(VALU_DEP_1)
	v_fmac_f32_e32 v126, v128, v125
	v_fma_f32 v118, -v118, v126, v127
	s_delay_alu instid0(VALU_DEP_1) | instskip(NEXT) | instid1(VALU_DEP_1)
	v_div_fmas_f32 v118, v118, v125, v126
	v_div_fixup_f32 v119, v118, v119, 1.0
	s_delay_alu instid0(VALU_DEP_1)
	v_mul_f32_e32 v118, v117, v119
	v_xor_b32_e32 v119, 0x80000000, v119
.LBB108_469:
	s_and_not1_saveexec_b32 s1, s1
	s_cbranch_execz .LBB108_471
; %bb.470:
	s_delay_alu instid0(VALU_DEP_1) | instskip(SKIP_1) | instid1(VALU_DEP_2)
	v_div_scale_f32 v117, null, v118, v118, v119
	v_div_scale_f32 v127, vcc_lo, v119, v118, v119
	v_rcp_f32_e32 v125, v117
	v_nop
	s_delay_alu instid0(TRANS32_DEP_1) | instskip(NEXT) | instid1(VALU_DEP_1)
	v_fma_f32 v126, -v117, v125, 1.0
	v_fmac_f32_e32 v125, v126, v125
	s_delay_alu instid0(VALU_DEP_1) | instskip(NEXT) | instid1(VALU_DEP_1)
	v_mul_f32_e32 v126, v127, v125
	v_fma_f32 v128, -v117, v126, v127
	s_delay_alu instid0(VALU_DEP_1) | instskip(NEXT) | instid1(VALU_DEP_1)
	v_fmac_f32_e32 v126, v128, v125
	v_fma_f32 v117, -v117, v126, v127
	s_delay_alu instid0(VALU_DEP_1) | instskip(NEXT) | instid1(VALU_DEP_1)
	v_div_fmas_f32 v117, v117, v125, v126
	v_div_fixup_f32 v117, v117, v118, v119
	s_delay_alu instid0(VALU_DEP_1) | instskip(NEXT) | instid1(VALU_DEP_1)
	v_fmac_f32_e32 v118, v119, v117
	v_div_scale_f32 v119, null, v118, v118, 1.0
	s_delay_alu instid0(VALU_DEP_1) | instskip(SKIP_1) | instid1(TRANS32_DEP_1)
	v_rcp_f32_e32 v125, v119
	v_nop
	v_fma_f32 v126, -v119, v125, 1.0
	s_delay_alu instid0(VALU_DEP_1) | instskip(SKIP_1) | instid1(VALU_DEP_1)
	v_fmac_f32_e32 v125, v126, v125
	v_div_scale_f32 v126, vcc_lo, 1.0, v118, 1.0
	v_mul_f32_e32 v127, v126, v125
	s_delay_alu instid0(VALU_DEP_1) | instskip(NEXT) | instid1(VALU_DEP_1)
	v_fma_f32 v128, -v119, v127, v126
	v_fmac_f32_e32 v127, v128, v125
	s_delay_alu instid0(VALU_DEP_1) | instskip(NEXT) | instid1(VALU_DEP_1)
	v_fma_f32 v119, -v119, v127, v126
	v_div_fmas_f32 v119, v119, v125, v127
	s_delay_alu instid0(VALU_DEP_1) | instskip(NEXT) | instid1(VALU_DEP_1)
	v_div_fixup_f32 v118, v119, v118, 1.0
	v_mul_f32_e64 v119, v117, -v118
.LBB108_471:
	s_or_b32 exec_lo, exec_lo, s1
.LBB108_472:
	s_delay_alu instid0(SALU_CYCLE_1) | instskip(NEXT) | instid1(SALU_CYCLE_1)
	s_or_b32 exec_lo, exec_lo, s0
	s_mov_b32 s0, exec_lo
	v_cmpx_ne_u32_e64 v124, v116
	s_xor_b32 s0, exec_lo, s0
	s_cbranch_execz .LBB108_478
; %bb.473:
	s_mov_b32 s1, exec_lo
	v_cmpx_eq_u32_e32 22, v124
	s_cbranch_execz .LBB108_477
; %bb.474:
	v_cmp_ne_u32_e32 vcc_lo, 22, v116
	s_xor_b32 s12, s16, -1
	s_delay_alu instid0(SALU_CYCLE_1) | instskip(NEXT) | instid1(SALU_CYCLE_1)
	s_and_b32 s13, s12, vcc_lo
	s_and_saveexec_b32 s12, s13
	s_cbranch_execz .LBB108_476
; %bb.475:
	v_ashrrev_i32_e32 v117, 31, v116
	s_delay_alu instid0(VALU_DEP_1)
	v_lshl_add_u64 v[124:125], v[116:117], 2, v[4:5]
	s_clause 0x1
	global_load_b32 v117, v[124:125], off
	global_load_b32 v123, v[4:5], off offset:88
	s_wait_loadcnt 0x1
	global_store_b32 v[4:5], v117, off offset:88
	s_wait_loadcnt 0x0
	global_store_b32 v[124:125], v123, off
.LBB108_476:
	s_wait_xcnt 0x0
	s_or_b32 exec_lo, exec_lo, s12
	v_dual_mov_b32 v124, v116 :: v_dual_mov_b32 v123, v116
.LBB108_477:
	s_or_b32 exec_lo, exec_lo, s1
.LBB108_478:
	s_and_not1_saveexec_b32 s0, s0
	s_cbranch_execz .LBB108_480
; %bb.479:
	v_mov_b32_e32 v124, 22
	ds_store_2addr_b64 v120, v[38:39], v[84:85] offset0:23 offset1:24
	ds_store_2addr_b64 v120, v[82:83], v[36:37] offset0:25 offset1:26
	;; [unrolled: 1-line block ×16, first 2 shown]
.LBB108_480:
	s_or_b32 exec_lo, exec_lo, s0
	s_delay_alu instid0(SALU_CYCLE_1)
	s_mov_b32 s0, exec_lo
	s_wait_storecnt_dscnt 0x0
	s_barrier_signal -1
	s_barrier_wait -1
	v_cmpx_lt_i32_e32 22, v124
	s_cbranch_execz .LBB108_482
; %bb.481:
	v_pk_mul_f32 v[126:127], v[118:119], v[40:41] op_sel:[1,1] op_sel_hi:[0,1]
	s_delay_alu instid0(VALU_DEP_1)
	v_pk_fma_f32 v[116:117], v[118:119], v[40:41], v[126:127] op_sel_hi:[1,0,1] neg_lo:[0,0,1] neg_hi:[0,0,1]
	v_pk_fma_f32 v[118:119], v[118:119], v[40:41], v[126:127] op_sel_hi:[1,0,1]
	ds_load_2addr_b64 v[126:129], v120 offset0:23 offset1:24
	v_dual_mov_b32 v40, v116 :: v_dual_mov_b32 v41, v119
	s_wait_dscnt 0x0
	v_pk_mul_f32 v[130:131], v[126:127], v[118:119] op_sel:[0,1]
	s_delay_alu instid0(VALU_DEP_1) | instskip(SKIP_1) | instid1(VALU_DEP_1)
	v_pk_fma_f32 v[132:133], v[126:127], v[116:117], v[130:131] op_sel:[0,0,1] op_sel_hi:[1,1,0] neg_lo:[0,0,1] neg_hi:[0,0,1]
	v_pk_fma_f32 v[126:127], v[126:127], v[116:117], v[130:131] op_sel:[0,0,1] op_sel_hi:[1,0,0]
	v_mov_b32_e32 v133, v127
	v_pk_mul_f32 v[126:127], v[128:129], v[118:119] op_sel:[0,1]
	s_delay_alu instid0(VALU_DEP_1) | instskip(SKIP_1) | instid1(VALU_DEP_1)
	v_pk_fma_f32 v[130:131], v[128:129], v[116:117], v[126:127] op_sel:[0,0,1] op_sel_hi:[1,1,0] neg_lo:[0,0,1] neg_hi:[0,0,1]
	v_pk_fma_f32 v[126:127], v[128:129], v[116:117], v[126:127] op_sel:[0,0,1] op_sel_hi:[1,0,0]
	v_mov_b32_e32 v131, v127
	ds_load_2addr_b64 v[126:129], v120 offset0:25 offset1:26
	v_pk_add_f32 v[38:39], v[38:39], v[132:133] neg_lo:[0,1] neg_hi:[0,1]
	v_pk_add_f32 v[84:85], v[84:85], v[130:131] neg_lo:[0,1] neg_hi:[0,1]
	s_wait_dscnt 0x0
	v_pk_mul_f32 v[130:131], v[126:127], v[118:119] op_sel:[0,1]
	s_delay_alu instid0(VALU_DEP_1) | instskip(SKIP_2) | instid1(VALU_DEP_2)
	v_pk_fma_f32 v[132:133], v[126:127], v[116:117], v[130:131] op_sel:[0,0,1] op_sel_hi:[1,1,0] neg_lo:[0,0,1] neg_hi:[0,0,1]
	v_pk_fma_f32 v[126:127], v[126:127], v[116:117], v[130:131] op_sel:[0,0,1] op_sel_hi:[1,0,0]
	v_dual_mul_f32 v130, v129, v119 :: v_dual_mov_b32 v126, v129
	v_dual_mov_b32 v133, v127 :: v_dual_mov_b32 v127, v128
	s_delay_alu instid0(VALU_DEP_2) | instskip(SKIP_1) | instid1(VALU_DEP_3)
	v_pk_fma_f32 v[130:131], v[128:129], v[40:41], v[130:131] op_sel_hi:[1,1,0] neg_lo:[0,0,1] neg_hi:[0,0,1]
	v_mul_f32_e32 v128, v129, v116
	v_pk_add_f32 v[82:83], v[82:83], v[132:133] neg_lo:[0,1] neg_hi:[0,1]
	s_delay_alu instid0(VALU_DEP_2) | instskip(NEXT) | instid1(VALU_DEP_1)
	v_pk_fma_f32 v[126:127], v[126:127], v[40:41], v[128:129] op_sel_hi:[1,1,0]
	v_mov_b32_e32 v131, v127
	ds_load_2addr_b64 v[126:129], v120 offset0:27 offset1:28
	v_pk_add_f32 v[36:37], v[36:37], v[130:131] neg_lo:[0,1] neg_hi:[0,1]
	s_wait_dscnt 0x0
	v_pk_mul_f32 v[130:131], v[126:127], v[118:119] op_sel:[0,1]
	s_delay_alu instid0(VALU_DEP_1) | instskip(SKIP_1) | instid1(VALU_DEP_1)
	v_pk_fma_f32 v[132:133], v[126:127], v[116:117], v[130:131] op_sel:[0,0,1] op_sel_hi:[1,1,0] neg_lo:[0,0,1] neg_hi:[0,0,1]
	v_pk_fma_f32 v[126:127], v[126:127], v[116:117], v[130:131] op_sel:[0,0,1] op_sel_hi:[1,0,0]
	v_mov_b32_e32 v133, v127
	v_pk_mul_f32 v[126:127], v[128:129], v[118:119] op_sel:[0,1]
	s_delay_alu instid0(VALU_DEP_1) | instskip(SKIP_1) | instid1(VALU_DEP_1)
	v_pk_fma_f32 v[130:131], v[128:129], v[116:117], v[126:127] op_sel:[0,0,1] op_sel_hi:[1,1,0] neg_lo:[0,0,1] neg_hi:[0,0,1]
	v_pk_fma_f32 v[126:127], v[128:129], v[116:117], v[126:127] op_sel:[0,0,1] op_sel_hi:[1,0,0]
	v_mov_b32_e32 v131, v127
	ds_load_2addr_b64 v[126:129], v120 offset0:29 offset1:30
	v_pk_add_f32 v[32:33], v[32:33], v[132:133] neg_lo:[0,1] neg_hi:[0,1]
	v_pk_add_f32 v[80:81], v[80:81], v[130:131] neg_lo:[0,1] neg_hi:[0,1]
	s_wait_dscnt 0x0
	v_pk_mul_f32 v[130:131], v[126:127], v[118:119] op_sel:[0,1]
	s_delay_alu instid0(VALU_DEP_1) | instskip(SKIP_1) | instid1(VALU_DEP_1)
	v_pk_fma_f32 v[132:133], v[126:127], v[116:117], v[130:131] op_sel:[0,0,1] op_sel_hi:[1,1,0] neg_lo:[0,0,1] neg_hi:[0,0,1]
	v_pk_fma_f32 v[126:127], v[126:127], v[116:117], v[130:131] op_sel:[0,0,1] op_sel_hi:[1,0,0]
	v_mov_b32_e32 v133, v127
	v_pk_mul_f32 v[126:127], v[128:129], v[118:119] op_sel:[0,1]
	s_delay_alu instid0(VALU_DEP_1) | instskip(SKIP_1) | instid1(VALU_DEP_1)
	v_pk_fma_f32 v[130:131], v[128:129], v[116:117], v[126:127] op_sel:[0,0,1] op_sel_hi:[1,1,0] neg_lo:[0,0,1] neg_hi:[0,0,1]
	v_pk_fma_f32 v[126:127], v[128:129], v[116:117], v[126:127] op_sel:[0,0,1] op_sel_hi:[1,0,0]
	v_mov_b32_e32 v131, v127
	ds_load_2addr_b64 v[126:129], v120 offset0:31 offset1:32
	v_pk_add_f32 v[78:79], v[78:79], v[132:133] neg_lo:[0,1] neg_hi:[0,1]
	v_pk_add_f32 v[28:29], v[28:29], v[130:131] neg_lo:[0,1] neg_hi:[0,1]
	s_wait_dscnt 0x0
	v_dual_mul_f32 v130, v127, v119 :: v_dual_mul_f32 v132, v127, v116
	s_delay_alu instid0(VALU_DEP_1) | instskip(NEXT) | instid1(VALU_DEP_2)
	v_pk_fma_f32 v[130:131], v[126:127], v[40:41], v[130:131] op_sel_hi:[1,1,0] neg_lo:[0,0,1] neg_hi:[0,0,1]
	v_pk_fma_f32 v[126:127], v[126:127], v[40:41], v[132:133] op_sel:[1,0,0] op_sel_hi:[0,1,0]
	s_delay_alu instid0(VALU_DEP_1) | instskip(SKIP_1) | instid1(VALU_DEP_2)
	v_mov_b32_e32 v131, v127
	v_pk_mul_f32 v[126:127], v[128:129], v[118:119] op_sel:[0,1]
	v_pk_add_f32 v[26:27], v[26:27], v[130:131] neg_lo:[0,1] neg_hi:[0,1]
	s_delay_alu instid0(VALU_DEP_2) | instskip(SKIP_1) | instid1(VALU_DEP_1)
	v_pk_fma_f32 v[130:131], v[128:129], v[116:117], v[126:127] op_sel:[0,0,1] op_sel_hi:[1,1,0] neg_lo:[0,0,1] neg_hi:[0,0,1]
	v_pk_fma_f32 v[126:127], v[128:129], v[116:117], v[126:127] op_sel:[0,0,1] op_sel_hi:[1,0,0]
	v_mov_b32_e32 v131, v127
	ds_load_2addr_b64 v[126:129], v120 offset0:33 offset1:34
	v_pk_add_f32 v[76:77], v[76:77], v[130:131] neg_lo:[0,1] neg_hi:[0,1]
	s_wait_dscnt 0x0
	v_pk_mul_f32 v[130:131], v[126:127], v[118:119] op_sel:[0,1]
	s_delay_alu instid0(VALU_DEP_1) | instskip(SKIP_1) | instid1(VALU_DEP_1)
	v_pk_fma_f32 v[132:133], v[126:127], v[116:117], v[130:131] op_sel:[0,0,1] op_sel_hi:[1,1,0] neg_lo:[0,0,1] neg_hi:[0,0,1]
	v_pk_fma_f32 v[126:127], v[126:127], v[116:117], v[130:131] op_sel:[0,0,1] op_sel_hi:[1,0,0]
	v_mov_b32_e32 v133, v127
	v_pk_mul_f32 v[126:127], v[128:129], v[118:119] op_sel:[0,1]
	s_delay_alu instid0(VALU_DEP_2) | instskip(NEXT) | instid1(VALU_DEP_2)
	v_pk_add_f32 v[74:75], v[74:75], v[132:133] neg_lo:[0,1] neg_hi:[0,1]
	v_pk_fma_f32 v[130:131], v[128:129], v[116:117], v[126:127] op_sel:[0,0,1] op_sel_hi:[1,1,0] neg_lo:[0,0,1] neg_hi:[0,0,1]
	v_pk_fma_f32 v[126:127], v[128:129], v[116:117], v[126:127] op_sel:[0,0,1] op_sel_hi:[1,0,0]
	s_delay_alu instid0(VALU_DEP_1) | instskip(SKIP_4) | instid1(VALU_DEP_1)
	v_mov_b32_e32 v131, v127
	ds_load_2addr_b64 v[126:129], v120 offset0:35 offset1:36
	v_pk_add_f32 v[22:23], v[22:23], v[130:131] neg_lo:[0,1] neg_hi:[0,1]
	s_wait_dscnt 0x0
	v_pk_mul_f32 v[130:131], v[126:127], v[118:119] op_sel:[0,1]
	v_pk_fma_f32 v[132:133], v[126:127], v[116:117], v[130:131] op_sel:[0,0,1] op_sel_hi:[1,1,0] neg_lo:[0,0,1] neg_hi:[0,0,1]
	v_pk_fma_f32 v[126:127], v[126:127], v[116:117], v[130:131] op_sel:[0,0,1] op_sel_hi:[1,0,0]
	v_dual_mul_f32 v130, v129, v119 :: v_dual_mov_b32 v126, v129
	s_delay_alu instid0(VALU_DEP_2) | instskip(NEXT) | instid1(VALU_DEP_2)
	v_dual_mov_b32 v133, v127 :: v_dual_mov_b32 v127, v128
	v_pk_fma_f32 v[130:131], v[128:129], v[40:41], v[130:131] op_sel_hi:[1,1,0] neg_lo:[0,0,1] neg_hi:[0,0,1]
	v_mul_f32_e32 v128, v129, v116
	s_delay_alu instid0(VALU_DEP_3) | instskip(NEXT) | instid1(VALU_DEP_2)
	v_pk_add_f32 v[20:21], v[20:21], v[132:133] neg_lo:[0,1] neg_hi:[0,1]
	v_pk_fma_f32 v[126:127], v[126:127], v[40:41], v[128:129] op_sel_hi:[1,1,0]
	s_delay_alu instid0(VALU_DEP_1) | instskip(SKIP_4) | instid1(VALU_DEP_1)
	v_mov_b32_e32 v131, v127
	ds_load_2addr_b64 v[126:129], v120 offset0:37 offset1:38
	v_pk_add_f32 v[72:73], v[72:73], v[130:131] neg_lo:[0,1] neg_hi:[0,1]
	s_wait_dscnt 0x0
	v_pk_mul_f32 v[130:131], v[126:127], v[118:119] op_sel:[0,1]
	v_pk_fma_f32 v[132:133], v[126:127], v[116:117], v[130:131] op_sel:[0,0,1] op_sel_hi:[1,1,0] neg_lo:[0,0,1] neg_hi:[0,0,1]
	v_pk_fma_f32 v[126:127], v[126:127], v[116:117], v[130:131] op_sel:[0,0,1] op_sel_hi:[1,0,0]
	s_delay_alu instid0(VALU_DEP_1) | instskip(SKIP_1) | instid1(VALU_DEP_1)
	v_mov_b32_e32 v133, v127
	v_pk_mul_f32 v[126:127], v[128:129], v[118:119] op_sel:[0,1]
	v_pk_fma_f32 v[130:131], v[128:129], v[116:117], v[126:127] op_sel:[0,0,1] op_sel_hi:[1,1,0] neg_lo:[0,0,1] neg_hi:[0,0,1]
	v_pk_fma_f32 v[126:127], v[128:129], v[116:117], v[126:127] op_sel:[0,0,1] op_sel_hi:[1,0,0]
	s_delay_alu instid0(VALU_DEP_1)
	v_mov_b32_e32 v131, v127
	ds_load_2addr_b64 v[126:129], v120 offset0:39 offset1:40
	v_pk_add_f32 v[70:71], v[70:71], v[132:133] neg_lo:[0,1] neg_hi:[0,1]
	v_pk_add_f32 v[18:19], v[18:19], v[130:131] neg_lo:[0,1] neg_hi:[0,1]
	s_wait_dscnt 0x0
	v_pk_mul_f32 v[130:131], v[126:127], v[118:119] op_sel:[0,1]
	s_delay_alu instid0(VALU_DEP_1) | instskip(SKIP_1) | instid1(VALU_DEP_1)
	v_pk_fma_f32 v[132:133], v[126:127], v[116:117], v[130:131] op_sel:[0,0,1] op_sel_hi:[1,1,0] neg_lo:[0,0,1] neg_hi:[0,0,1]
	v_pk_fma_f32 v[126:127], v[126:127], v[116:117], v[130:131] op_sel:[0,0,1] op_sel_hi:[1,0,0]
	v_mov_b32_e32 v133, v127
	v_pk_mul_f32 v[126:127], v[128:129], v[118:119] op_sel:[0,1]
	s_delay_alu instid0(VALU_DEP_1) | instskip(SKIP_1) | instid1(VALU_DEP_1)
	v_pk_fma_f32 v[130:131], v[128:129], v[116:117], v[126:127] op_sel:[0,0,1] op_sel_hi:[1,1,0] neg_lo:[0,0,1] neg_hi:[0,0,1]
	v_pk_fma_f32 v[126:127], v[128:129], v[116:117], v[126:127] op_sel:[0,0,1] op_sel_hi:[1,0,0]
	v_mov_b32_e32 v131, v127
	ds_load_2addr_b64 v[126:129], v120 offset0:41 offset1:42
	v_pk_add_f32 v[16:17], v[16:17], v[132:133] neg_lo:[0,1] neg_hi:[0,1]
	v_pk_add_f32 v[68:69], v[68:69], v[130:131] neg_lo:[0,1] neg_hi:[0,1]
	s_wait_dscnt 0x0
	v_dual_mul_f32 v130, v127, v119 :: v_dual_mul_f32 v132, v127, v116
	s_delay_alu instid0(VALU_DEP_1) | instskip(NEXT) | instid1(VALU_DEP_2)
	v_pk_fma_f32 v[130:131], v[126:127], v[40:41], v[130:131] op_sel_hi:[1,1,0] neg_lo:[0,0,1] neg_hi:[0,0,1]
	v_pk_fma_f32 v[126:127], v[126:127], v[40:41], v[132:133] op_sel:[1,0,0] op_sel_hi:[0,1,0]
	s_delay_alu instid0(VALU_DEP_1) | instskip(SKIP_1) | instid1(VALU_DEP_2)
	v_mov_b32_e32 v131, v127
	v_pk_mul_f32 v[126:127], v[128:129], v[118:119] op_sel:[0,1]
	v_pk_add_f32 v[66:67], v[66:67], v[130:131] neg_lo:[0,1] neg_hi:[0,1]
	s_delay_alu instid0(VALU_DEP_2) | instskip(SKIP_1) | instid1(VALU_DEP_1)
	v_pk_fma_f32 v[130:131], v[128:129], v[116:117], v[126:127] op_sel:[0,0,1] op_sel_hi:[1,1,0] neg_lo:[0,0,1] neg_hi:[0,0,1]
	v_pk_fma_f32 v[126:127], v[128:129], v[116:117], v[126:127] op_sel:[0,0,1] op_sel_hi:[1,0,0]
	v_mov_b32_e32 v131, v127
	ds_load_2addr_b64 v[126:129], v120 offset0:43 offset1:44
	v_pk_add_f32 v[14:15], v[14:15], v[130:131] neg_lo:[0,1] neg_hi:[0,1]
	s_wait_dscnt 0x0
	v_pk_mul_f32 v[130:131], v[126:127], v[118:119] op_sel:[0,1]
	s_delay_alu instid0(VALU_DEP_1) | instskip(SKIP_1) | instid1(VALU_DEP_1)
	v_pk_fma_f32 v[132:133], v[126:127], v[116:117], v[130:131] op_sel:[0,0,1] op_sel_hi:[1,1,0] neg_lo:[0,0,1] neg_hi:[0,0,1]
	v_pk_fma_f32 v[126:127], v[126:127], v[116:117], v[130:131] op_sel:[0,0,1] op_sel_hi:[1,0,0]
	v_mov_b32_e32 v133, v127
	v_pk_mul_f32 v[126:127], v[128:129], v[118:119] op_sel:[0,1]
	s_delay_alu instid0(VALU_DEP_2) | instskip(NEXT) | instid1(VALU_DEP_2)
	v_pk_add_f32 v[12:13], v[12:13], v[132:133] neg_lo:[0,1] neg_hi:[0,1]
	v_pk_fma_f32 v[130:131], v[128:129], v[116:117], v[126:127] op_sel:[0,0,1] op_sel_hi:[1,1,0] neg_lo:[0,0,1] neg_hi:[0,0,1]
	v_pk_fma_f32 v[126:127], v[128:129], v[116:117], v[126:127] op_sel:[0,0,1] op_sel_hi:[1,0,0]
	s_delay_alu instid0(VALU_DEP_1) | instskip(SKIP_4) | instid1(VALU_DEP_1)
	v_mov_b32_e32 v131, v127
	ds_load_2addr_b64 v[126:129], v120 offset0:45 offset1:46
	v_pk_add_f32 v[64:65], v[64:65], v[130:131] neg_lo:[0,1] neg_hi:[0,1]
	s_wait_dscnt 0x0
	v_pk_mul_f32 v[130:131], v[126:127], v[118:119] op_sel:[0,1]
	v_pk_fma_f32 v[132:133], v[126:127], v[116:117], v[130:131] op_sel:[0,0,1] op_sel_hi:[1,1,0] neg_lo:[0,0,1] neg_hi:[0,0,1]
	v_pk_fma_f32 v[126:127], v[126:127], v[116:117], v[130:131] op_sel:[0,0,1] op_sel_hi:[1,0,0]
	v_dual_mul_f32 v130, v129, v119 :: v_dual_mov_b32 v126, v129
	s_delay_alu instid0(VALU_DEP_2) | instskip(NEXT) | instid1(VALU_DEP_2)
	v_dual_mov_b32 v133, v127 :: v_dual_mov_b32 v127, v128
	v_pk_fma_f32 v[130:131], v[128:129], v[40:41], v[130:131] op_sel_hi:[1,1,0] neg_lo:[0,0,1] neg_hi:[0,0,1]
	v_mul_f32_e32 v128, v129, v116
	s_delay_alu instid0(VALU_DEP_3) | instskip(NEXT) | instid1(VALU_DEP_2)
	v_pk_add_f32 v[62:63], v[62:63], v[132:133] neg_lo:[0,1] neg_hi:[0,1]
	v_pk_fma_f32 v[126:127], v[126:127], v[40:41], v[128:129] op_sel_hi:[1,1,0]
	s_delay_alu instid0(VALU_DEP_1) | instskip(SKIP_4) | instid1(VALU_DEP_1)
	v_mov_b32_e32 v131, v127
	ds_load_2addr_b64 v[126:129], v120 offset0:47 offset1:48
	v_pk_add_f32 v[10:11], v[10:11], v[130:131] neg_lo:[0,1] neg_hi:[0,1]
	s_wait_dscnt 0x0
	v_pk_mul_f32 v[130:131], v[126:127], v[118:119] op_sel:[0,1]
	v_pk_fma_f32 v[132:133], v[126:127], v[116:117], v[130:131] op_sel:[0,0,1] op_sel_hi:[1,1,0] neg_lo:[0,0,1] neg_hi:[0,0,1]
	v_pk_fma_f32 v[126:127], v[126:127], v[116:117], v[130:131] op_sel:[0,0,1] op_sel_hi:[1,0,0]
	s_delay_alu instid0(VALU_DEP_1) | instskip(SKIP_1) | instid1(VALU_DEP_1)
	v_mov_b32_e32 v133, v127
	v_pk_mul_f32 v[126:127], v[128:129], v[118:119] op_sel:[0,1]
	v_pk_fma_f32 v[130:131], v[128:129], v[116:117], v[126:127] op_sel:[0,0,1] op_sel_hi:[1,1,0] neg_lo:[0,0,1] neg_hi:[0,0,1]
	v_pk_fma_f32 v[126:127], v[128:129], v[116:117], v[126:127] op_sel:[0,0,1] op_sel_hi:[1,0,0]
	s_delay_alu instid0(VALU_DEP_1)
	v_mov_b32_e32 v131, v127
	ds_load_2addr_b64 v[126:129], v120 offset0:49 offset1:50
	v_pk_add_f32 v[6:7], v[6:7], v[132:133] neg_lo:[0,1] neg_hi:[0,1]
	v_pk_add_f32 v[52:53], v[52:53], v[130:131] neg_lo:[0,1] neg_hi:[0,1]
	s_wait_dscnt 0x0
	v_pk_mul_f32 v[130:131], v[126:127], v[118:119] op_sel:[0,1]
	s_delay_alu instid0(VALU_DEP_1) | instskip(SKIP_1) | instid1(VALU_DEP_1)
	v_pk_fma_f32 v[132:133], v[126:127], v[116:117], v[130:131] op_sel:[0,0,1] op_sel_hi:[1,1,0] neg_lo:[0,0,1] neg_hi:[0,0,1]
	v_pk_fma_f32 v[126:127], v[126:127], v[116:117], v[130:131] op_sel:[0,0,1] op_sel_hi:[1,0,0]
	v_mov_b32_e32 v133, v127
	v_pk_mul_f32 v[126:127], v[128:129], v[118:119] op_sel:[0,1]
	s_delay_alu instid0(VALU_DEP_1) | instskip(SKIP_1) | instid1(VALU_DEP_1)
	v_pk_fma_f32 v[130:131], v[128:129], v[116:117], v[126:127] op_sel:[0,0,1] op_sel_hi:[1,1,0] neg_lo:[0,0,1] neg_hi:[0,0,1]
	v_pk_fma_f32 v[126:127], v[128:129], v[116:117], v[126:127] op_sel:[0,0,1] op_sel_hi:[1,0,0]
	v_mov_b32_e32 v131, v127
	ds_load_2addr_b64 v[126:129], v120 offset0:51 offset1:52
	v_pk_add_f32 v[50:51], v[50:51], v[132:133] neg_lo:[0,1] neg_hi:[0,1]
	v_pk_add_f32 v[8:9], v[8:9], v[130:131] neg_lo:[0,1] neg_hi:[0,1]
	s_wait_dscnt 0x0
	v_dual_mul_f32 v130, v127, v119 :: v_dual_mul_f32 v132, v127, v116
	s_delay_alu instid0(VALU_DEP_1) | instskip(NEXT) | instid1(VALU_DEP_2)
	v_pk_fma_f32 v[130:131], v[126:127], v[40:41], v[130:131] op_sel_hi:[1,1,0] neg_lo:[0,0,1] neg_hi:[0,0,1]
	v_pk_fma_f32 v[126:127], v[126:127], v[40:41], v[132:133] op_sel:[1,0,0] op_sel_hi:[0,1,0]
	s_delay_alu instid0(VALU_DEP_1) | instskip(SKIP_1) | instid1(VALU_DEP_2)
	v_mov_b32_e32 v131, v127
	v_pk_mul_f32 v[126:127], v[128:129], v[118:119] op_sel:[0,1]
	v_pk_add_f32 v[30:31], v[30:31], v[130:131] neg_lo:[0,1] neg_hi:[0,1]
	s_delay_alu instid0(VALU_DEP_2) | instskip(SKIP_1) | instid1(VALU_DEP_1)
	v_pk_fma_f32 v[130:131], v[128:129], v[116:117], v[126:127] op_sel:[0,0,1] op_sel_hi:[1,1,0] neg_lo:[0,0,1] neg_hi:[0,0,1]
	v_pk_fma_f32 v[126:127], v[128:129], v[116:117], v[126:127] op_sel:[0,0,1] op_sel_hi:[1,0,0]
	v_mov_b32_e32 v131, v127
	ds_load_2addr_b64 v[126:129], v120 offset0:53 offset1:54
	v_pk_add_f32 v[34:35], v[34:35], v[130:131] neg_lo:[0,1] neg_hi:[0,1]
	s_wait_dscnt 0x0
	v_pk_mul_f32 v[130:131], v[126:127], v[118:119] op_sel:[0,1]
	v_pk_mul_f32 v[118:119], v[128:129], v[118:119] op_sel:[0,1]
	s_delay_alu instid0(VALU_DEP_2) | instskip(SKIP_1) | instid1(VALU_DEP_1)
	v_pk_fma_f32 v[132:133], v[126:127], v[116:117], v[130:131] op_sel:[0,0,1] op_sel_hi:[1,1,0] neg_lo:[0,0,1] neg_hi:[0,0,1]
	v_pk_fma_f32 v[126:127], v[126:127], v[116:117], v[130:131] op_sel:[0,0,1] op_sel_hi:[1,0,0]
	v_mov_b32_e32 v133, v127
	s_delay_alu instid0(VALU_DEP_4) | instskip(SKIP_1) | instid1(VALU_DEP_3)
	v_pk_fma_f32 v[126:127], v[128:129], v[116:117], v[118:119] op_sel:[0,0,1] op_sel_hi:[1,1,0] neg_lo:[0,0,1] neg_hi:[0,0,1]
	v_pk_fma_f32 v[116:117], v[128:129], v[116:117], v[118:119] op_sel:[0,0,1] op_sel_hi:[1,0,0]
	v_pk_add_f32 v[24:25], v[24:25], v[132:133] neg_lo:[0,1] neg_hi:[0,1]
	s_delay_alu instid0(VALU_DEP_2) | instskip(NEXT) | instid1(VALU_DEP_1)
	v_mov_b32_e32 v127, v117
	v_pk_add_f32 v[114:115], v[114:115], v[126:127] neg_lo:[0,1] neg_hi:[0,1]
.LBB108_482:
	s_or_b32 exec_lo, exec_lo, s0
	v_lshl_add_u32 v116, v124, 3, v120
	s_barrier_signal -1
	s_barrier_wait -1
	ds_store_b64 v116, v[38:39]
	s_wait_dscnt 0x0
	s_barrier_signal -1
	s_barrier_wait -1
	ds_load_b64 v[118:119], v120 offset:184
	v_mov_b32_e32 v116, 23
	s_cmp_lt_i32 s18, 25
	s_cbranch_scc1 .LBB108_485
; %bb.483:
	v_add3_u32 v117, v121, 0, 0xc0
	v_mov_b32_e32 v116, 23
	s_mov_b32 s0, 24
.LBB108_484:                            ; =>This Inner Loop Header: Depth=1
	ds_load_b64 v[126:127], v117
	s_wait_dscnt 0x1
	v_cmp_gt_f32_e32 vcc_lo, 0, v118
	v_cndmask_b32_e64 v128, v118, -v118, vcc_lo
	v_cmp_gt_f32_e32 vcc_lo, 0, v119
	v_cndmask_b32_e64 v130, v119, -v119, vcc_lo
	s_wait_dscnt 0x0
	v_cmp_gt_f32_e32 vcc_lo, 0, v126
	v_cndmask_b32_e64 v129, v126, -v126, vcc_lo
	v_cmp_gt_f32_e32 vcc_lo, 0, v127
	v_cndmask_b32_e64 v131, v127, -v127, vcc_lo
	s_delay_alu instid0(VALU_DEP_1) | instskip(NEXT) | instid1(VALU_DEP_1)
	v_pk_add_f32 v[128:129], v[128:129], v[130:131]
	v_cmp_lt_f32_e32 vcc_lo, v128, v129
	v_dual_add_nc_u32 v117, 8, v117 :: v_dual_cndmask_b32 v119, v119, v127, vcc_lo
	v_cndmask_b32_e32 v118, v118, v126, vcc_lo
	v_cndmask_b32_e64 v116, v116, s0, vcc_lo
	s_add_co_i32 s0, s0, 1
	s_delay_alu instid0(SALU_CYCLE_1)
	s_cmp_lg_u32 s18, s0
	s_cbranch_scc1 .LBB108_484
.LBB108_485:
	s_wait_dscnt 0x0
	v_cmp_eq_f32_e32 vcc_lo, 0, v118
	v_cmp_eq_f32_e64 s0, 0, v119
	s_and_b32 s0, vcc_lo, s0
	s_delay_alu instid0(SALU_CYCLE_1) | instskip(NEXT) | instid1(SALU_CYCLE_1)
	s_and_saveexec_b32 s1, s0
	s_xor_b32 s0, exec_lo, s1
; %bb.486:
	v_cmp_ne_u32_e32 vcc_lo, 0, v122
	v_cndmask_b32_e32 v122, 24, v122, vcc_lo
; %bb.487:
	s_and_not1_saveexec_b32 s0, s0
	s_cbranch_execz .LBB108_493
; %bb.488:
	v_cmp_ngt_f32_e64 s1, |v118|, |v119|
	s_and_saveexec_b32 s12, s1
	s_delay_alu instid0(SALU_CYCLE_1)
	s_xor_b32 s1, exec_lo, s12
	s_cbranch_execz .LBB108_490
; %bb.489:
	v_div_scale_f32 v117, null, v119, v119, v118
	v_div_scale_f32 v127, vcc_lo, v118, v119, v118
	s_delay_alu instid0(VALU_DEP_2) | instskip(SKIP_1) | instid1(TRANS32_DEP_1)
	v_rcp_f32_e32 v125, v117
	v_nop
	v_fma_f32 v126, -v117, v125, 1.0
	s_delay_alu instid0(VALU_DEP_1) | instskip(NEXT) | instid1(VALU_DEP_1)
	v_fmac_f32_e32 v125, v126, v125
	v_mul_f32_e32 v126, v127, v125
	s_delay_alu instid0(VALU_DEP_1) | instskip(NEXT) | instid1(VALU_DEP_1)
	v_fma_f32 v128, -v117, v126, v127
	v_fmac_f32_e32 v126, v128, v125
	s_delay_alu instid0(VALU_DEP_1) | instskip(NEXT) | instid1(VALU_DEP_1)
	v_fma_f32 v117, -v117, v126, v127
	v_div_fmas_f32 v117, v117, v125, v126
	s_delay_alu instid0(VALU_DEP_1) | instskip(NEXT) | instid1(VALU_DEP_1)
	v_div_fixup_f32 v117, v117, v119, v118
	v_fmac_f32_e32 v119, v118, v117
	s_delay_alu instid0(VALU_DEP_1) | instskip(SKIP_1) | instid1(VALU_DEP_2)
	v_div_scale_f32 v118, null, v119, v119, 1.0
	v_div_scale_f32 v127, vcc_lo, 1.0, v119, 1.0
	v_rcp_f32_e32 v125, v118
	v_nop
	s_delay_alu instid0(TRANS32_DEP_1) | instskip(NEXT) | instid1(VALU_DEP_1)
	v_fma_f32 v126, -v118, v125, 1.0
	v_fmac_f32_e32 v125, v126, v125
	s_delay_alu instid0(VALU_DEP_1) | instskip(NEXT) | instid1(VALU_DEP_1)
	v_mul_f32_e32 v126, v127, v125
	v_fma_f32 v128, -v118, v126, v127
	s_delay_alu instid0(VALU_DEP_1) | instskip(NEXT) | instid1(VALU_DEP_1)
	v_fmac_f32_e32 v126, v128, v125
	v_fma_f32 v118, -v118, v126, v127
	s_delay_alu instid0(VALU_DEP_1) | instskip(NEXT) | instid1(VALU_DEP_1)
	v_div_fmas_f32 v118, v118, v125, v126
	v_div_fixup_f32 v119, v118, v119, 1.0
	s_delay_alu instid0(VALU_DEP_1)
	v_mul_f32_e32 v118, v117, v119
	v_xor_b32_e32 v119, 0x80000000, v119
.LBB108_490:
	s_and_not1_saveexec_b32 s1, s1
	s_cbranch_execz .LBB108_492
; %bb.491:
	s_delay_alu instid0(VALU_DEP_1) | instskip(SKIP_1) | instid1(VALU_DEP_2)
	v_div_scale_f32 v117, null, v118, v118, v119
	v_div_scale_f32 v127, vcc_lo, v119, v118, v119
	v_rcp_f32_e32 v125, v117
	v_nop
	s_delay_alu instid0(TRANS32_DEP_1) | instskip(NEXT) | instid1(VALU_DEP_1)
	v_fma_f32 v126, -v117, v125, 1.0
	v_fmac_f32_e32 v125, v126, v125
	s_delay_alu instid0(VALU_DEP_1) | instskip(NEXT) | instid1(VALU_DEP_1)
	v_mul_f32_e32 v126, v127, v125
	v_fma_f32 v128, -v117, v126, v127
	s_delay_alu instid0(VALU_DEP_1) | instskip(NEXT) | instid1(VALU_DEP_1)
	v_fmac_f32_e32 v126, v128, v125
	v_fma_f32 v117, -v117, v126, v127
	s_delay_alu instid0(VALU_DEP_1) | instskip(NEXT) | instid1(VALU_DEP_1)
	v_div_fmas_f32 v117, v117, v125, v126
	v_div_fixup_f32 v117, v117, v118, v119
	s_delay_alu instid0(VALU_DEP_1) | instskip(NEXT) | instid1(VALU_DEP_1)
	v_fmac_f32_e32 v118, v119, v117
	v_div_scale_f32 v119, null, v118, v118, 1.0
	s_delay_alu instid0(VALU_DEP_1) | instskip(SKIP_1) | instid1(TRANS32_DEP_1)
	v_rcp_f32_e32 v125, v119
	v_nop
	v_fma_f32 v126, -v119, v125, 1.0
	s_delay_alu instid0(VALU_DEP_1) | instskip(SKIP_1) | instid1(VALU_DEP_1)
	v_fmac_f32_e32 v125, v126, v125
	v_div_scale_f32 v126, vcc_lo, 1.0, v118, 1.0
	v_mul_f32_e32 v127, v126, v125
	s_delay_alu instid0(VALU_DEP_1) | instskip(NEXT) | instid1(VALU_DEP_1)
	v_fma_f32 v128, -v119, v127, v126
	v_fmac_f32_e32 v127, v128, v125
	s_delay_alu instid0(VALU_DEP_1) | instskip(NEXT) | instid1(VALU_DEP_1)
	v_fma_f32 v119, -v119, v127, v126
	v_div_fmas_f32 v119, v119, v125, v127
	s_delay_alu instid0(VALU_DEP_1) | instskip(NEXT) | instid1(VALU_DEP_1)
	v_div_fixup_f32 v118, v119, v118, 1.0
	v_mul_f32_e64 v119, v117, -v118
.LBB108_492:
	s_or_b32 exec_lo, exec_lo, s1
.LBB108_493:
	s_delay_alu instid0(SALU_CYCLE_1) | instskip(NEXT) | instid1(SALU_CYCLE_1)
	s_or_b32 exec_lo, exec_lo, s0
	s_mov_b32 s0, exec_lo
	v_cmpx_ne_u32_e64 v124, v116
	s_xor_b32 s0, exec_lo, s0
	s_cbranch_execz .LBB108_499
; %bb.494:
	s_mov_b32 s1, exec_lo
	v_cmpx_eq_u32_e32 23, v124
	s_cbranch_execz .LBB108_498
; %bb.495:
	v_cmp_ne_u32_e32 vcc_lo, 23, v116
	s_xor_b32 s12, s16, -1
	s_delay_alu instid0(SALU_CYCLE_1) | instskip(NEXT) | instid1(SALU_CYCLE_1)
	s_and_b32 s13, s12, vcc_lo
	s_and_saveexec_b32 s12, s13
	s_cbranch_execz .LBB108_497
; %bb.496:
	v_ashrrev_i32_e32 v117, 31, v116
	s_delay_alu instid0(VALU_DEP_1)
	v_lshl_add_u64 v[124:125], v[116:117], 2, v[4:5]
	s_clause 0x1
	global_load_b32 v117, v[124:125], off
	global_load_b32 v123, v[4:5], off offset:92
	s_wait_loadcnt 0x1
	global_store_b32 v[4:5], v117, off offset:92
	s_wait_loadcnt 0x0
	global_store_b32 v[124:125], v123, off
.LBB108_497:
	s_wait_xcnt 0x0
	s_or_b32 exec_lo, exec_lo, s12
	v_dual_mov_b32 v124, v116 :: v_dual_mov_b32 v123, v116
.LBB108_498:
	s_or_b32 exec_lo, exec_lo, s1
.LBB108_499:
	s_and_not1_saveexec_b32 s0, s0
	s_cbranch_execz .LBB108_501
; %bb.500:
	v_dual_mov_b32 v116, v84 :: v_dual_mov_b32 v117, v85
	v_dual_mov_b32 v124, v82 :: v_dual_mov_b32 v125, v83
	ds_store_2addr_b64 v120, v[116:117], v[124:125] offset0:24 offset1:25
	v_dual_mov_b32 v116, v36 :: v_dual_mov_b32 v117, v37
	v_dual_mov_b32 v124, v32 :: v_dual_mov_b32 v125, v33
	ds_store_2addr_b64 v120, v[116:117], v[124:125] offset0:26 offset1:27
	;; [unrolled: 3-line block ×15, first 2 shown]
	ds_store_b64 v120, v[114:115] offset:432
	v_mov_b32_e32 v124, 23
.LBB108_501:
	s_or_b32 exec_lo, exec_lo, s0
	s_delay_alu instid0(SALU_CYCLE_1)
	s_mov_b32 s0, exec_lo
	s_wait_storecnt_dscnt 0x0
	s_barrier_signal -1
	s_barrier_wait -1
	v_cmpx_lt_i32_e32 23, v124
	s_cbranch_execz .LBB108_503
; %bb.502:
	v_pk_mul_f32 v[126:127], v[118:119], v[38:39] op_sel:[1,1] op_sel_hi:[0,1]
	s_delay_alu instid0(VALU_DEP_1)
	v_pk_fma_f32 v[116:117], v[118:119], v[38:39], v[126:127] op_sel_hi:[1,0,1] neg_lo:[0,0,1] neg_hi:[0,0,1]
	v_pk_fma_f32 v[118:119], v[118:119], v[38:39], v[126:127] op_sel_hi:[1,0,1]
	ds_load_2addr_b64 v[126:129], v120 offset0:24 offset1:25
	v_dual_mov_b32 v38, v116 :: v_dual_mov_b32 v39, v119
	s_wait_dscnt 0x0
	v_pk_mul_f32 v[130:131], v[126:127], v[118:119] op_sel:[0,1]
	s_delay_alu instid0(VALU_DEP_1) | instskip(SKIP_1) | instid1(VALU_DEP_1)
	v_pk_fma_f32 v[132:133], v[126:127], v[116:117], v[130:131] op_sel:[0,0,1] op_sel_hi:[1,1,0] neg_lo:[0,0,1] neg_hi:[0,0,1]
	v_pk_fma_f32 v[126:127], v[126:127], v[116:117], v[130:131] op_sel:[0,0,1] op_sel_hi:[1,0,0]
	v_mov_b32_e32 v133, v127
	v_pk_mul_f32 v[126:127], v[128:129], v[118:119] op_sel:[0,1]
	s_delay_alu instid0(VALU_DEP_1) | instskip(SKIP_1) | instid1(VALU_DEP_1)
	v_pk_fma_f32 v[130:131], v[128:129], v[116:117], v[126:127] op_sel:[0,0,1] op_sel_hi:[1,1,0] neg_lo:[0,0,1] neg_hi:[0,0,1]
	v_pk_fma_f32 v[126:127], v[128:129], v[116:117], v[126:127] op_sel:[0,0,1] op_sel_hi:[1,0,0]
	v_mov_b32_e32 v131, v127
	ds_load_2addr_b64 v[126:129], v120 offset0:26 offset1:27
	v_pk_add_f32 v[84:85], v[84:85], v[132:133] neg_lo:[0,1] neg_hi:[0,1]
	v_pk_add_f32 v[82:83], v[82:83], v[130:131] neg_lo:[0,1] neg_hi:[0,1]
	s_wait_dscnt 0x0
	v_pk_mul_f32 v[130:131], v[126:127], v[118:119] op_sel:[0,1]
	s_delay_alu instid0(VALU_DEP_1) | instskip(SKIP_2) | instid1(VALU_DEP_2)
	v_pk_fma_f32 v[132:133], v[126:127], v[116:117], v[130:131] op_sel:[0,0,1] op_sel_hi:[1,1,0] neg_lo:[0,0,1] neg_hi:[0,0,1]
	v_pk_fma_f32 v[126:127], v[126:127], v[116:117], v[130:131] op_sel:[0,0,1] op_sel_hi:[1,0,0]
	v_dual_mul_f32 v130, v129, v119 :: v_dual_mov_b32 v126, v129
	v_dual_mov_b32 v133, v127 :: v_dual_mov_b32 v127, v128
	s_delay_alu instid0(VALU_DEP_2) | instskip(SKIP_1) | instid1(VALU_DEP_3)
	v_pk_fma_f32 v[130:131], v[128:129], v[38:39], v[130:131] op_sel_hi:[1,1,0] neg_lo:[0,0,1] neg_hi:[0,0,1]
	v_mul_f32_e32 v128, v129, v116
	v_pk_add_f32 v[36:37], v[36:37], v[132:133] neg_lo:[0,1] neg_hi:[0,1]
	s_delay_alu instid0(VALU_DEP_2) | instskip(NEXT) | instid1(VALU_DEP_1)
	v_pk_fma_f32 v[126:127], v[126:127], v[38:39], v[128:129] op_sel_hi:[1,1,0]
	v_mov_b32_e32 v131, v127
	ds_load_2addr_b64 v[126:129], v120 offset0:28 offset1:29
	v_pk_add_f32 v[32:33], v[32:33], v[130:131] neg_lo:[0,1] neg_hi:[0,1]
	s_wait_dscnt 0x0
	v_pk_mul_f32 v[130:131], v[126:127], v[118:119] op_sel:[0,1]
	s_delay_alu instid0(VALU_DEP_1) | instskip(SKIP_1) | instid1(VALU_DEP_1)
	v_pk_fma_f32 v[132:133], v[126:127], v[116:117], v[130:131] op_sel:[0,0,1] op_sel_hi:[1,1,0] neg_lo:[0,0,1] neg_hi:[0,0,1]
	v_pk_fma_f32 v[126:127], v[126:127], v[116:117], v[130:131] op_sel:[0,0,1] op_sel_hi:[1,0,0]
	v_mov_b32_e32 v133, v127
	v_pk_mul_f32 v[126:127], v[128:129], v[118:119] op_sel:[0,1]
	s_delay_alu instid0(VALU_DEP_1) | instskip(SKIP_1) | instid1(VALU_DEP_1)
	v_pk_fma_f32 v[130:131], v[128:129], v[116:117], v[126:127] op_sel:[0,0,1] op_sel_hi:[1,1,0] neg_lo:[0,0,1] neg_hi:[0,0,1]
	v_pk_fma_f32 v[126:127], v[128:129], v[116:117], v[126:127] op_sel:[0,0,1] op_sel_hi:[1,0,0]
	v_mov_b32_e32 v131, v127
	ds_load_2addr_b64 v[126:129], v120 offset0:30 offset1:31
	v_pk_add_f32 v[80:81], v[80:81], v[132:133] neg_lo:[0,1] neg_hi:[0,1]
	v_pk_add_f32 v[78:79], v[78:79], v[130:131] neg_lo:[0,1] neg_hi:[0,1]
	s_wait_dscnt 0x0
	v_pk_mul_f32 v[130:131], v[126:127], v[118:119] op_sel:[0,1]
	s_delay_alu instid0(VALU_DEP_1) | instskip(SKIP_1) | instid1(VALU_DEP_1)
	v_pk_fma_f32 v[132:133], v[126:127], v[116:117], v[130:131] op_sel:[0,0,1] op_sel_hi:[1,1,0] neg_lo:[0,0,1] neg_hi:[0,0,1]
	v_pk_fma_f32 v[126:127], v[126:127], v[116:117], v[130:131] op_sel:[0,0,1] op_sel_hi:[1,0,0]
	v_mov_b32_e32 v133, v127
	v_pk_mul_f32 v[126:127], v[128:129], v[118:119] op_sel:[0,1]
	s_delay_alu instid0(VALU_DEP_1) | instskip(SKIP_1) | instid1(VALU_DEP_1)
	v_pk_fma_f32 v[130:131], v[128:129], v[116:117], v[126:127] op_sel:[0,0,1] op_sel_hi:[1,1,0] neg_lo:[0,0,1] neg_hi:[0,0,1]
	v_pk_fma_f32 v[126:127], v[128:129], v[116:117], v[126:127] op_sel:[0,0,1] op_sel_hi:[1,0,0]
	v_mov_b32_e32 v131, v127
	ds_load_2addr_b64 v[126:129], v120 offset0:32 offset1:33
	v_pk_add_f32 v[28:29], v[28:29], v[132:133] neg_lo:[0,1] neg_hi:[0,1]
	v_pk_add_f32 v[26:27], v[26:27], v[130:131] neg_lo:[0,1] neg_hi:[0,1]
	s_wait_dscnt 0x0
	v_dual_mul_f32 v130, v127, v119 :: v_dual_mul_f32 v132, v127, v116
	s_delay_alu instid0(VALU_DEP_1) | instskip(NEXT) | instid1(VALU_DEP_2)
	v_pk_fma_f32 v[130:131], v[126:127], v[38:39], v[130:131] op_sel_hi:[1,1,0] neg_lo:[0,0,1] neg_hi:[0,0,1]
	v_pk_fma_f32 v[126:127], v[126:127], v[38:39], v[132:133] op_sel:[1,0,0] op_sel_hi:[0,1,0]
	s_delay_alu instid0(VALU_DEP_1) | instskip(SKIP_1) | instid1(VALU_DEP_2)
	v_mov_b32_e32 v131, v127
	v_pk_mul_f32 v[126:127], v[128:129], v[118:119] op_sel:[0,1]
	v_pk_add_f32 v[76:77], v[76:77], v[130:131] neg_lo:[0,1] neg_hi:[0,1]
	s_delay_alu instid0(VALU_DEP_2) | instskip(SKIP_1) | instid1(VALU_DEP_1)
	v_pk_fma_f32 v[130:131], v[128:129], v[116:117], v[126:127] op_sel:[0,0,1] op_sel_hi:[1,1,0] neg_lo:[0,0,1] neg_hi:[0,0,1]
	v_pk_fma_f32 v[126:127], v[128:129], v[116:117], v[126:127] op_sel:[0,0,1] op_sel_hi:[1,0,0]
	v_mov_b32_e32 v131, v127
	ds_load_2addr_b64 v[126:129], v120 offset0:34 offset1:35
	v_pk_add_f32 v[74:75], v[74:75], v[130:131] neg_lo:[0,1] neg_hi:[0,1]
	s_wait_dscnt 0x0
	v_pk_mul_f32 v[130:131], v[126:127], v[118:119] op_sel:[0,1]
	s_delay_alu instid0(VALU_DEP_1) | instskip(SKIP_1) | instid1(VALU_DEP_1)
	v_pk_fma_f32 v[132:133], v[126:127], v[116:117], v[130:131] op_sel:[0,0,1] op_sel_hi:[1,1,0] neg_lo:[0,0,1] neg_hi:[0,0,1]
	v_pk_fma_f32 v[126:127], v[126:127], v[116:117], v[130:131] op_sel:[0,0,1] op_sel_hi:[1,0,0]
	v_mov_b32_e32 v133, v127
	v_pk_mul_f32 v[126:127], v[128:129], v[118:119] op_sel:[0,1]
	s_delay_alu instid0(VALU_DEP_2) | instskip(NEXT) | instid1(VALU_DEP_2)
	v_pk_add_f32 v[22:23], v[22:23], v[132:133] neg_lo:[0,1] neg_hi:[0,1]
	v_pk_fma_f32 v[130:131], v[128:129], v[116:117], v[126:127] op_sel:[0,0,1] op_sel_hi:[1,1,0] neg_lo:[0,0,1] neg_hi:[0,0,1]
	v_pk_fma_f32 v[126:127], v[128:129], v[116:117], v[126:127] op_sel:[0,0,1] op_sel_hi:[1,0,0]
	s_delay_alu instid0(VALU_DEP_1) | instskip(SKIP_4) | instid1(VALU_DEP_1)
	v_mov_b32_e32 v131, v127
	ds_load_2addr_b64 v[126:129], v120 offset0:36 offset1:37
	v_pk_add_f32 v[20:21], v[20:21], v[130:131] neg_lo:[0,1] neg_hi:[0,1]
	s_wait_dscnt 0x0
	v_pk_mul_f32 v[130:131], v[126:127], v[118:119] op_sel:[0,1]
	v_pk_fma_f32 v[132:133], v[126:127], v[116:117], v[130:131] op_sel:[0,0,1] op_sel_hi:[1,1,0] neg_lo:[0,0,1] neg_hi:[0,0,1]
	v_pk_fma_f32 v[126:127], v[126:127], v[116:117], v[130:131] op_sel:[0,0,1] op_sel_hi:[1,0,0]
	v_dual_mul_f32 v130, v129, v119 :: v_dual_mov_b32 v126, v129
	s_delay_alu instid0(VALU_DEP_2) | instskip(NEXT) | instid1(VALU_DEP_2)
	v_dual_mov_b32 v133, v127 :: v_dual_mov_b32 v127, v128
	v_pk_fma_f32 v[130:131], v[128:129], v[38:39], v[130:131] op_sel_hi:[1,1,0] neg_lo:[0,0,1] neg_hi:[0,0,1]
	v_mul_f32_e32 v128, v129, v116
	s_delay_alu instid0(VALU_DEP_3) | instskip(NEXT) | instid1(VALU_DEP_2)
	v_pk_add_f32 v[72:73], v[72:73], v[132:133] neg_lo:[0,1] neg_hi:[0,1]
	v_pk_fma_f32 v[126:127], v[126:127], v[38:39], v[128:129] op_sel_hi:[1,1,0]
	s_delay_alu instid0(VALU_DEP_1) | instskip(SKIP_4) | instid1(VALU_DEP_1)
	v_mov_b32_e32 v131, v127
	ds_load_2addr_b64 v[126:129], v120 offset0:38 offset1:39
	v_pk_add_f32 v[70:71], v[70:71], v[130:131] neg_lo:[0,1] neg_hi:[0,1]
	s_wait_dscnt 0x0
	v_pk_mul_f32 v[130:131], v[126:127], v[118:119] op_sel:[0,1]
	v_pk_fma_f32 v[132:133], v[126:127], v[116:117], v[130:131] op_sel:[0,0,1] op_sel_hi:[1,1,0] neg_lo:[0,0,1] neg_hi:[0,0,1]
	v_pk_fma_f32 v[126:127], v[126:127], v[116:117], v[130:131] op_sel:[0,0,1] op_sel_hi:[1,0,0]
	s_delay_alu instid0(VALU_DEP_1) | instskip(SKIP_1) | instid1(VALU_DEP_1)
	v_mov_b32_e32 v133, v127
	v_pk_mul_f32 v[126:127], v[128:129], v[118:119] op_sel:[0,1]
	v_pk_fma_f32 v[130:131], v[128:129], v[116:117], v[126:127] op_sel:[0,0,1] op_sel_hi:[1,1,0] neg_lo:[0,0,1] neg_hi:[0,0,1]
	v_pk_fma_f32 v[126:127], v[128:129], v[116:117], v[126:127] op_sel:[0,0,1] op_sel_hi:[1,0,0]
	s_delay_alu instid0(VALU_DEP_1)
	v_mov_b32_e32 v131, v127
	ds_load_2addr_b64 v[126:129], v120 offset0:40 offset1:41
	v_pk_add_f32 v[18:19], v[18:19], v[132:133] neg_lo:[0,1] neg_hi:[0,1]
	v_pk_add_f32 v[16:17], v[16:17], v[130:131] neg_lo:[0,1] neg_hi:[0,1]
	s_wait_dscnt 0x0
	v_pk_mul_f32 v[130:131], v[126:127], v[118:119] op_sel:[0,1]
	s_delay_alu instid0(VALU_DEP_1) | instskip(SKIP_1) | instid1(VALU_DEP_1)
	v_pk_fma_f32 v[132:133], v[126:127], v[116:117], v[130:131] op_sel:[0,0,1] op_sel_hi:[1,1,0] neg_lo:[0,0,1] neg_hi:[0,0,1]
	v_pk_fma_f32 v[126:127], v[126:127], v[116:117], v[130:131] op_sel:[0,0,1] op_sel_hi:[1,0,0]
	v_mov_b32_e32 v133, v127
	v_pk_mul_f32 v[126:127], v[128:129], v[118:119] op_sel:[0,1]
	s_delay_alu instid0(VALU_DEP_1) | instskip(SKIP_1) | instid1(VALU_DEP_1)
	v_pk_fma_f32 v[130:131], v[128:129], v[116:117], v[126:127] op_sel:[0,0,1] op_sel_hi:[1,1,0] neg_lo:[0,0,1] neg_hi:[0,0,1]
	v_pk_fma_f32 v[126:127], v[128:129], v[116:117], v[126:127] op_sel:[0,0,1] op_sel_hi:[1,0,0]
	v_mov_b32_e32 v131, v127
	ds_load_2addr_b64 v[126:129], v120 offset0:42 offset1:43
	v_pk_add_f32 v[68:69], v[68:69], v[132:133] neg_lo:[0,1] neg_hi:[0,1]
	v_pk_add_f32 v[66:67], v[66:67], v[130:131] neg_lo:[0,1] neg_hi:[0,1]
	s_wait_dscnt 0x0
	v_dual_mul_f32 v130, v127, v119 :: v_dual_mul_f32 v132, v127, v116
	s_delay_alu instid0(VALU_DEP_1) | instskip(NEXT) | instid1(VALU_DEP_2)
	v_pk_fma_f32 v[130:131], v[126:127], v[38:39], v[130:131] op_sel_hi:[1,1,0] neg_lo:[0,0,1] neg_hi:[0,0,1]
	v_pk_fma_f32 v[126:127], v[126:127], v[38:39], v[132:133] op_sel:[1,0,0] op_sel_hi:[0,1,0]
	s_delay_alu instid0(VALU_DEP_1) | instskip(SKIP_1) | instid1(VALU_DEP_2)
	v_mov_b32_e32 v131, v127
	v_pk_mul_f32 v[126:127], v[128:129], v[118:119] op_sel:[0,1]
	v_pk_add_f32 v[14:15], v[14:15], v[130:131] neg_lo:[0,1] neg_hi:[0,1]
	s_delay_alu instid0(VALU_DEP_2) | instskip(SKIP_1) | instid1(VALU_DEP_1)
	v_pk_fma_f32 v[130:131], v[128:129], v[116:117], v[126:127] op_sel:[0,0,1] op_sel_hi:[1,1,0] neg_lo:[0,0,1] neg_hi:[0,0,1]
	v_pk_fma_f32 v[126:127], v[128:129], v[116:117], v[126:127] op_sel:[0,0,1] op_sel_hi:[1,0,0]
	v_mov_b32_e32 v131, v127
	ds_load_2addr_b64 v[126:129], v120 offset0:44 offset1:45
	v_pk_add_f32 v[12:13], v[12:13], v[130:131] neg_lo:[0,1] neg_hi:[0,1]
	s_wait_dscnt 0x0
	v_pk_mul_f32 v[130:131], v[126:127], v[118:119] op_sel:[0,1]
	s_delay_alu instid0(VALU_DEP_1) | instskip(SKIP_1) | instid1(VALU_DEP_1)
	v_pk_fma_f32 v[132:133], v[126:127], v[116:117], v[130:131] op_sel:[0,0,1] op_sel_hi:[1,1,0] neg_lo:[0,0,1] neg_hi:[0,0,1]
	v_pk_fma_f32 v[126:127], v[126:127], v[116:117], v[130:131] op_sel:[0,0,1] op_sel_hi:[1,0,0]
	v_mov_b32_e32 v133, v127
	v_pk_mul_f32 v[126:127], v[128:129], v[118:119] op_sel:[0,1]
	s_delay_alu instid0(VALU_DEP_2) | instskip(NEXT) | instid1(VALU_DEP_2)
	v_pk_add_f32 v[64:65], v[64:65], v[132:133] neg_lo:[0,1] neg_hi:[0,1]
	v_pk_fma_f32 v[130:131], v[128:129], v[116:117], v[126:127] op_sel:[0,0,1] op_sel_hi:[1,1,0] neg_lo:[0,0,1] neg_hi:[0,0,1]
	v_pk_fma_f32 v[126:127], v[128:129], v[116:117], v[126:127] op_sel:[0,0,1] op_sel_hi:[1,0,0]
	s_delay_alu instid0(VALU_DEP_1) | instskip(SKIP_4) | instid1(VALU_DEP_1)
	v_mov_b32_e32 v131, v127
	ds_load_2addr_b64 v[126:129], v120 offset0:46 offset1:47
	v_pk_add_f32 v[62:63], v[62:63], v[130:131] neg_lo:[0,1] neg_hi:[0,1]
	s_wait_dscnt 0x0
	v_pk_mul_f32 v[130:131], v[126:127], v[118:119] op_sel:[0,1]
	v_pk_fma_f32 v[132:133], v[126:127], v[116:117], v[130:131] op_sel:[0,0,1] op_sel_hi:[1,1,0] neg_lo:[0,0,1] neg_hi:[0,0,1]
	v_pk_fma_f32 v[126:127], v[126:127], v[116:117], v[130:131] op_sel:[0,0,1] op_sel_hi:[1,0,0]
	v_dual_mul_f32 v130, v129, v119 :: v_dual_mov_b32 v126, v129
	s_delay_alu instid0(VALU_DEP_2) | instskip(NEXT) | instid1(VALU_DEP_2)
	v_dual_mov_b32 v133, v127 :: v_dual_mov_b32 v127, v128
	v_pk_fma_f32 v[130:131], v[128:129], v[38:39], v[130:131] op_sel_hi:[1,1,0] neg_lo:[0,0,1] neg_hi:[0,0,1]
	v_mul_f32_e32 v128, v129, v116
	s_delay_alu instid0(VALU_DEP_3) | instskip(NEXT) | instid1(VALU_DEP_2)
	v_pk_add_f32 v[10:11], v[10:11], v[132:133] neg_lo:[0,1] neg_hi:[0,1]
	v_pk_fma_f32 v[126:127], v[126:127], v[38:39], v[128:129] op_sel_hi:[1,1,0]
	s_delay_alu instid0(VALU_DEP_1) | instskip(SKIP_4) | instid1(VALU_DEP_1)
	v_mov_b32_e32 v131, v127
	ds_load_2addr_b64 v[126:129], v120 offset0:48 offset1:49
	v_pk_add_f32 v[6:7], v[6:7], v[130:131] neg_lo:[0,1] neg_hi:[0,1]
	s_wait_dscnt 0x0
	v_pk_mul_f32 v[130:131], v[126:127], v[118:119] op_sel:[0,1]
	v_pk_fma_f32 v[132:133], v[126:127], v[116:117], v[130:131] op_sel:[0,0,1] op_sel_hi:[1,1,0] neg_lo:[0,0,1] neg_hi:[0,0,1]
	v_pk_fma_f32 v[126:127], v[126:127], v[116:117], v[130:131] op_sel:[0,0,1] op_sel_hi:[1,0,0]
	s_delay_alu instid0(VALU_DEP_1) | instskip(SKIP_1) | instid1(VALU_DEP_1)
	v_mov_b32_e32 v133, v127
	v_pk_mul_f32 v[126:127], v[128:129], v[118:119] op_sel:[0,1]
	v_pk_fma_f32 v[130:131], v[128:129], v[116:117], v[126:127] op_sel:[0,0,1] op_sel_hi:[1,1,0] neg_lo:[0,0,1] neg_hi:[0,0,1]
	v_pk_fma_f32 v[126:127], v[128:129], v[116:117], v[126:127] op_sel:[0,0,1] op_sel_hi:[1,0,0]
	s_delay_alu instid0(VALU_DEP_1)
	v_mov_b32_e32 v131, v127
	ds_load_2addr_b64 v[126:129], v120 offset0:50 offset1:51
	v_pk_add_f32 v[52:53], v[52:53], v[132:133] neg_lo:[0,1] neg_hi:[0,1]
	v_pk_add_f32 v[50:51], v[50:51], v[130:131] neg_lo:[0,1] neg_hi:[0,1]
	s_wait_dscnt 0x0
	v_pk_mul_f32 v[130:131], v[126:127], v[118:119] op_sel:[0,1]
	s_delay_alu instid0(VALU_DEP_1) | instskip(SKIP_1) | instid1(VALU_DEP_1)
	v_pk_fma_f32 v[132:133], v[126:127], v[116:117], v[130:131] op_sel:[0,0,1] op_sel_hi:[1,1,0] neg_lo:[0,0,1] neg_hi:[0,0,1]
	v_pk_fma_f32 v[126:127], v[126:127], v[116:117], v[130:131] op_sel:[0,0,1] op_sel_hi:[1,0,0]
	v_mov_b32_e32 v133, v127
	v_pk_mul_f32 v[126:127], v[128:129], v[118:119] op_sel:[0,1]
	s_delay_alu instid0(VALU_DEP_1) | instskip(SKIP_1) | instid1(VALU_DEP_1)
	v_pk_fma_f32 v[130:131], v[128:129], v[116:117], v[126:127] op_sel:[0,0,1] op_sel_hi:[1,1,0] neg_lo:[0,0,1] neg_hi:[0,0,1]
	v_pk_fma_f32 v[126:127], v[128:129], v[116:117], v[126:127] op_sel:[0,0,1] op_sel_hi:[1,0,0]
	v_mov_b32_e32 v131, v127
	ds_load_2addr_b64 v[126:129], v120 offset0:52 offset1:53
	v_pk_add_f32 v[8:9], v[8:9], v[132:133] neg_lo:[0,1] neg_hi:[0,1]
	v_pk_add_f32 v[30:31], v[30:31], v[130:131] neg_lo:[0,1] neg_hi:[0,1]
	s_wait_dscnt 0x0
	v_dual_mul_f32 v130, v127, v119 :: v_dual_mul_f32 v132, v127, v116
	s_delay_alu instid0(VALU_DEP_1) | instskip(NEXT) | instid1(VALU_DEP_2)
	v_pk_fma_f32 v[130:131], v[126:127], v[38:39], v[130:131] op_sel_hi:[1,1,0] neg_lo:[0,0,1] neg_hi:[0,0,1]
	v_pk_fma_f32 v[126:127], v[126:127], v[38:39], v[132:133] op_sel:[1,0,0] op_sel_hi:[0,1,0]
	s_delay_alu instid0(VALU_DEP_1) | instskip(SKIP_1) | instid1(VALU_DEP_2)
	v_mov_b32_e32 v131, v127
	v_pk_mul_f32 v[126:127], v[128:129], v[118:119] op_sel:[0,1]
	v_pk_add_f32 v[34:35], v[34:35], v[130:131] neg_lo:[0,1] neg_hi:[0,1]
	s_delay_alu instid0(VALU_DEP_2) | instskip(SKIP_1) | instid1(VALU_DEP_1)
	v_pk_fma_f32 v[130:131], v[128:129], v[116:117], v[126:127] op_sel:[0,0,1] op_sel_hi:[1,1,0] neg_lo:[0,0,1] neg_hi:[0,0,1]
	v_pk_fma_f32 v[126:127], v[128:129], v[116:117], v[126:127] op_sel:[0,0,1] op_sel_hi:[1,0,0]
	v_mov_b32_e32 v131, v127
	ds_load_b64 v[126:127], v120 offset:432
	v_pk_add_f32 v[24:25], v[24:25], v[130:131] neg_lo:[0,1] neg_hi:[0,1]
	s_wait_dscnt 0x0
	v_pk_mul_f32 v[118:119], v[126:127], v[118:119] op_sel:[0,1]
	s_delay_alu instid0(VALU_DEP_1) | instskip(SKIP_1) | instid1(VALU_DEP_1)
	v_pk_fma_f32 v[128:129], v[126:127], v[116:117], v[118:119] op_sel:[0,0,1] op_sel_hi:[1,1,0] neg_lo:[0,0,1] neg_hi:[0,0,1]
	v_pk_fma_f32 v[116:117], v[126:127], v[116:117], v[118:119] op_sel:[0,0,1] op_sel_hi:[1,0,0]
	v_mov_b32_e32 v129, v117
	s_delay_alu instid0(VALU_DEP_1)
	v_pk_add_f32 v[114:115], v[114:115], v[128:129] neg_lo:[0,1] neg_hi:[0,1]
.LBB108_503:
	s_or_b32 exec_lo, exec_lo, s0
	v_lshl_add_u32 v116, v124, 3, v120
	s_barrier_signal -1
	s_barrier_wait -1
	ds_store_b64 v116, v[84:85]
	s_wait_dscnt 0x0
	s_barrier_signal -1
	s_barrier_wait -1
	ds_load_b64 v[118:119], v120 offset:192
	v_mov_b32_e32 v116, 24
	s_cmp_lt_i32 s18, 26
	s_cbranch_scc1 .LBB108_506
; %bb.504:
	v_add3_u32 v117, v121, 0, 0xc8
	v_mov_b32_e32 v116, 24
	s_mov_b32 s0, 25
.LBB108_505:                            ; =>This Inner Loop Header: Depth=1
	ds_load_b64 v[126:127], v117
	s_wait_dscnt 0x1
	v_cmp_gt_f32_e32 vcc_lo, 0, v118
	v_cndmask_b32_e64 v128, v118, -v118, vcc_lo
	v_cmp_gt_f32_e32 vcc_lo, 0, v119
	v_cndmask_b32_e64 v130, v119, -v119, vcc_lo
	s_wait_dscnt 0x0
	v_cmp_gt_f32_e32 vcc_lo, 0, v126
	v_cndmask_b32_e64 v129, v126, -v126, vcc_lo
	v_cmp_gt_f32_e32 vcc_lo, 0, v127
	v_cndmask_b32_e64 v131, v127, -v127, vcc_lo
	s_delay_alu instid0(VALU_DEP_1) | instskip(NEXT) | instid1(VALU_DEP_1)
	v_pk_add_f32 v[128:129], v[128:129], v[130:131]
	v_cmp_lt_f32_e32 vcc_lo, v128, v129
	v_dual_add_nc_u32 v117, 8, v117 :: v_dual_cndmask_b32 v119, v119, v127, vcc_lo
	v_cndmask_b32_e32 v118, v118, v126, vcc_lo
	v_cndmask_b32_e64 v116, v116, s0, vcc_lo
	s_add_co_i32 s0, s0, 1
	s_delay_alu instid0(SALU_CYCLE_1)
	s_cmp_lg_u32 s18, s0
	s_cbranch_scc1 .LBB108_505
.LBB108_506:
	s_wait_dscnt 0x0
	v_cmp_eq_f32_e32 vcc_lo, 0, v118
	v_cmp_eq_f32_e64 s0, 0, v119
	s_and_b32 s0, vcc_lo, s0
	s_delay_alu instid0(SALU_CYCLE_1) | instskip(NEXT) | instid1(SALU_CYCLE_1)
	s_and_saveexec_b32 s1, s0
	s_xor_b32 s0, exec_lo, s1
; %bb.507:
	v_cmp_ne_u32_e32 vcc_lo, 0, v122
	v_cndmask_b32_e32 v122, 25, v122, vcc_lo
; %bb.508:
	s_and_not1_saveexec_b32 s0, s0
	s_cbranch_execz .LBB108_514
; %bb.509:
	v_cmp_ngt_f32_e64 s1, |v118|, |v119|
	s_and_saveexec_b32 s12, s1
	s_delay_alu instid0(SALU_CYCLE_1)
	s_xor_b32 s1, exec_lo, s12
	s_cbranch_execz .LBB108_511
; %bb.510:
	v_div_scale_f32 v117, null, v119, v119, v118
	v_div_scale_f32 v127, vcc_lo, v118, v119, v118
	s_delay_alu instid0(VALU_DEP_2) | instskip(SKIP_1) | instid1(TRANS32_DEP_1)
	v_rcp_f32_e32 v125, v117
	v_nop
	v_fma_f32 v126, -v117, v125, 1.0
	s_delay_alu instid0(VALU_DEP_1) | instskip(NEXT) | instid1(VALU_DEP_1)
	v_fmac_f32_e32 v125, v126, v125
	v_mul_f32_e32 v126, v127, v125
	s_delay_alu instid0(VALU_DEP_1) | instskip(NEXT) | instid1(VALU_DEP_1)
	v_fma_f32 v128, -v117, v126, v127
	v_fmac_f32_e32 v126, v128, v125
	s_delay_alu instid0(VALU_DEP_1) | instskip(NEXT) | instid1(VALU_DEP_1)
	v_fma_f32 v117, -v117, v126, v127
	v_div_fmas_f32 v117, v117, v125, v126
	s_delay_alu instid0(VALU_DEP_1) | instskip(NEXT) | instid1(VALU_DEP_1)
	v_div_fixup_f32 v117, v117, v119, v118
	v_fmac_f32_e32 v119, v118, v117
	s_delay_alu instid0(VALU_DEP_1) | instskip(SKIP_1) | instid1(VALU_DEP_2)
	v_div_scale_f32 v118, null, v119, v119, 1.0
	v_div_scale_f32 v127, vcc_lo, 1.0, v119, 1.0
	v_rcp_f32_e32 v125, v118
	v_nop
	s_delay_alu instid0(TRANS32_DEP_1) | instskip(NEXT) | instid1(VALU_DEP_1)
	v_fma_f32 v126, -v118, v125, 1.0
	v_fmac_f32_e32 v125, v126, v125
	s_delay_alu instid0(VALU_DEP_1) | instskip(NEXT) | instid1(VALU_DEP_1)
	v_mul_f32_e32 v126, v127, v125
	v_fma_f32 v128, -v118, v126, v127
	s_delay_alu instid0(VALU_DEP_1) | instskip(NEXT) | instid1(VALU_DEP_1)
	v_fmac_f32_e32 v126, v128, v125
	v_fma_f32 v118, -v118, v126, v127
	s_delay_alu instid0(VALU_DEP_1) | instskip(NEXT) | instid1(VALU_DEP_1)
	v_div_fmas_f32 v118, v118, v125, v126
	v_div_fixup_f32 v119, v118, v119, 1.0
	s_delay_alu instid0(VALU_DEP_1)
	v_mul_f32_e32 v118, v117, v119
	v_xor_b32_e32 v119, 0x80000000, v119
.LBB108_511:
	s_and_not1_saveexec_b32 s1, s1
	s_cbranch_execz .LBB108_513
; %bb.512:
	s_delay_alu instid0(VALU_DEP_1) | instskip(SKIP_1) | instid1(VALU_DEP_2)
	v_div_scale_f32 v117, null, v118, v118, v119
	v_div_scale_f32 v127, vcc_lo, v119, v118, v119
	v_rcp_f32_e32 v125, v117
	v_nop
	s_delay_alu instid0(TRANS32_DEP_1) | instskip(NEXT) | instid1(VALU_DEP_1)
	v_fma_f32 v126, -v117, v125, 1.0
	v_fmac_f32_e32 v125, v126, v125
	s_delay_alu instid0(VALU_DEP_1) | instskip(NEXT) | instid1(VALU_DEP_1)
	v_mul_f32_e32 v126, v127, v125
	v_fma_f32 v128, -v117, v126, v127
	s_delay_alu instid0(VALU_DEP_1) | instskip(NEXT) | instid1(VALU_DEP_1)
	v_fmac_f32_e32 v126, v128, v125
	v_fma_f32 v117, -v117, v126, v127
	s_delay_alu instid0(VALU_DEP_1) | instskip(NEXT) | instid1(VALU_DEP_1)
	v_div_fmas_f32 v117, v117, v125, v126
	v_div_fixup_f32 v117, v117, v118, v119
	s_delay_alu instid0(VALU_DEP_1) | instskip(NEXT) | instid1(VALU_DEP_1)
	v_fmac_f32_e32 v118, v119, v117
	v_div_scale_f32 v119, null, v118, v118, 1.0
	s_delay_alu instid0(VALU_DEP_1) | instskip(SKIP_1) | instid1(TRANS32_DEP_1)
	v_rcp_f32_e32 v125, v119
	v_nop
	v_fma_f32 v126, -v119, v125, 1.0
	s_delay_alu instid0(VALU_DEP_1) | instskip(SKIP_1) | instid1(VALU_DEP_1)
	v_fmac_f32_e32 v125, v126, v125
	v_div_scale_f32 v126, vcc_lo, 1.0, v118, 1.0
	v_mul_f32_e32 v127, v126, v125
	s_delay_alu instid0(VALU_DEP_1) | instskip(NEXT) | instid1(VALU_DEP_1)
	v_fma_f32 v128, -v119, v127, v126
	v_fmac_f32_e32 v127, v128, v125
	s_delay_alu instid0(VALU_DEP_1) | instskip(NEXT) | instid1(VALU_DEP_1)
	v_fma_f32 v119, -v119, v127, v126
	v_div_fmas_f32 v119, v119, v125, v127
	s_delay_alu instid0(VALU_DEP_1) | instskip(NEXT) | instid1(VALU_DEP_1)
	v_div_fixup_f32 v118, v119, v118, 1.0
	v_mul_f32_e64 v119, v117, -v118
.LBB108_513:
	s_or_b32 exec_lo, exec_lo, s1
.LBB108_514:
	s_delay_alu instid0(SALU_CYCLE_1) | instskip(NEXT) | instid1(SALU_CYCLE_1)
	s_or_b32 exec_lo, exec_lo, s0
	s_mov_b32 s0, exec_lo
	v_cmpx_ne_u32_e64 v124, v116
	s_xor_b32 s0, exec_lo, s0
	s_cbranch_execz .LBB108_520
; %bb.515:
	s_mov_b32 s1, exec_lo
	v_cmpx_eq_u32_e32 24, v124
	s_cbranch_execz .LBB108_519
; %bb.516:
	v_cmp_ne_u32_e32 vcc_lo, 24, v116
	s_xor_b32 s12, s16, -1
	s_delay_alu instid0(SALU_CYCLE_1) | instskip(NEXT) | instid1(SALU_CYCLE_1)
	s_and_b32 s13, s12, vcc_lo
	s_and_saveexec_b32 s12, s13
	s_cbranch_execz .LBB108_518
; %bb.517:
	v_ashrrev_i32_e32 v117, 31, v116
	s_delay_alu instid0(VALU_DEP_1)
	v_lshl_add_u64 v[124:125], v[116:117], 2, v[4:5]
	s_clause 0x1
	global_load_b32 v117, v[124:125], off
	global_load_b32 v123, v[4:5], off offset:96
	s_wait_loadcnt 0x1
	global_store_b32 v[4:5], v117, off offset:96
	s_wait_loadcnt 0x0
	global_store_b32 v[124:125], v123, off
.LBB108_518:
	s_wait_xcnt 0x0
	s_or_b32 exec_lo, exec_lo, s12
	v_dual_mov_b32 v124, v116 :: v_dual_mov_b32 v123, v116
.LBB108_519:
	s_or_b32 exec_lo, exec_lo, s1
.LBB108_520:
	s_and_not1_saveexec_b32 s0, s0
	s_cbranch_execz .LBB108_522
; %bb.521:
	v_mov_b32_e32 v124, 24
	ds_store_2addr_b64 v120, v[82:83], v[36:37] offset0:25 offset1:26
	ds_store_2addr_b64 v120, v[32:33], v[80:81] offset0:27 offset1:28
	;; [unrolled: 1-line block ×15, first 2 shown]
.LBB108_522:
	s_or_b32 exec_lo, exec_lo, s0
	s_delay_alu instid0(SALU_CYCLE_1)
	s_mov_b32 s0, exec_lo
	s_wait_storecnt_dscnt 0x0
	s_barrier_signal -1
	s_barrier_wait -1
	v_cmpx_lt_i32_e32 24, v124
	s_cbranch_execz .LBB108_524
; %bb.523:
	v_pk_mul_f32 v[126:127], v[118:119], v[84:85] op_sel:[1,1] op_sel_hi:[0,1]
	s_delay_alu instid0(VALU_DEP_1)
	v_pk_fma_f32 v[116:117], v[118:119], v[84:85], v[126:127] op_sel_hi:[1,0,1] neg_lo:[0,0,1] neg_hi:[0,0,1]
	v_pk_fma_f32 v[118:119], v[118:119], v[84:85], v[126:127] op_sel_hi:[1,0,1]
	ds_load_2addr_b64 v[126:129], v120 offset0:25 offset1:26
	v_dual_mov_b32 v84, v116 :: v_dual_mov_b32 v85, v119
	s_wait_dscnt 0x0
	v_pk_mul_f32 v[130:131], v[126:127], v[118:119] op_sel:[0,1]
	s_delay_alu instid0(VALU_DEP_1) | instskip(SKIP_1) | instid1(VALU_DEP_1)
	v_pk_fma_f32 v[132:133], v[126:127], v[116:117], v[130:131] op_sel:[0,0,1] op_sel_hi:[1,1,0] neg_lo:[0,0,1] neg_hi:[0,0,1]
	v_pk_fma_f32 v[126:127], v[126:127], v[116:117], v[130:131] op_sel:[0,0,1] op_sel_hi:[1,0,0]
	v_mov_b32_e32 v133, v127
	v_pk_mul_f32 v[126:127], v[128:129], v[118:119] op_sel:[0,1]
	s_delay_alu instid0(VALU_DEP_1) | instskip(SKIP_1) | instid1(VALU_DEP_1)
	v_pk_fma_f32 v[130:131], v[128:129], v[116:117], v[126:127] op_sel:[0,0,1] op_sel_hi:[1,1,0] neg_lo:[0,0,1] neg_hi:[0,0,1]
	v_pk_fma_f32 v[126:127], v[128:129], v[116:117], v[126:127] op_sel:[0,0,1] op_sel_hi:[1,0,0]
	v_mov_b32_e32 v131, v127
	ds_load_2addr_b64 v[126:129], v120 offset0:27 offset1:28
	v_pk_add_f32 v[82:83], v[82:83], v[132:133] neg_lo:[0,1] neg_hi:[0,1]
	v_pk_add_f32 v[36:37], v[36:37], v[130:131] neg_lo:[0,1] neg_hi:[0,1]
	s_wait_dscnt 0x0
	v_pk_mul_f32 v[130:131], v[126:127], v[118:119] op_sel:[0,1]
	s_delay_alu instid0(VALU_DEP_1) | instskip(SKIP_2) | instid1(VALU_DEP_2)
	v_pk_fma_f32 v[132:133], v[126:127], v[116:117], v[130:131] op_sel:[0,0,1] op_sel_hi:[1,1,0] neg_lo:[0,0,1] neg_hi:[0,0,1]
	v_pk_fma_f32 v[126:127], v[126:127], v[116:117], v[130:131] op_sel:[0,0,1] op_sel_hi:[1,0,0]
	v_dual_mul_f32 v130, v129, v119 :: v_dual_mov_b32 v126, v129
	v_dual_mov_b32 v133, v127 :: v_dual_mov_b32 v127, v128
	s_delay_alu instid0(VALU_DEP_2) | instskip(SKIP_1) | instid1(VALU_DEP_3)
	v_pk_fma_f32 v[130:131], v[128:129], v[84:85], v[130:131] op_sel_hi:[1,1,0] neg_lo:[0,0,1] neg_hi:[0,0,1]
	v_mul_f32_e32 v128, v129, v116
	v_pk_add_f32 v[32:33], v[32:33], v[132:133] neg_lo:[0,1] neg_hi:[0,1]
	s_delay_alu instid0(VALU_DEP_2) | instskip(NEXT) | instid1(VALU_DEP_1)
	v_pk_fma_f32 v[126:127], v[126:127], v[84:85], v[128:129] op_sel_hi:[1,1,0]
	v_mov_b32_e32 v131, v127
	ds_load_2addr_b64 v[126:129], v120 offset0:29 offset1:30
	v_pk_add_f32 v[80:81], v[80:81], v[130:131] neg_lo:[0,1] neg_hi:[0,1]
	s_wait_dscnt 0x0
	v_pk_mul_f32 v[130:131], v[126:127], v[118:119] op_sel:[0,1]
	s_delay_alu instid0(VALU_DEP_1) | instskip(SKIP_1) | instid1(VALU_DEP_1)
	v_pk_fma_f32 v[132:133], v[126:127], v[116:117], v[130:131] op_sel:[0,0,1] op_sel_hi:[1,1,0] neg_lo:[0,0,1] neg_hi:[0,0,1]
	v_pk_fma_f32 v[126:127], v[126:127], v[116:117], v[130:131] op_sel:[0,0,1] op_sel_hi:[1,0,0]
	v_mov_b32_e32 v133, v127
	v_pk_mul_f32 v[126:127], v[128:129], v[118:119] op_sel:[0,1]
	s_delay_alu instid0(VALU_DEP_1) | instskip(SKIP_1) | instid1(VALU_DEP_1)
	v_pk_fma_f32 v[130:131], v[128:129], v[116:117], v[126:127] op_sel:[0,0,1] op_sel_hi:[1,1,0] neg_lo:[0,0,1] neg_hi:[0,0,1]
	v_pk_fma_f32 v[126:127], v[128:129], v[116:117], v[126:127] op_sel:[0,0,1] op_sel_hi:[1,0,0]
	v_mov_b32_e32 v131, v127
	ds_load_2addr_b64 v[126:129], v120 offset0:31 offset1:32
	v_pk_add_f32 v[78:79], v[78:79], v[132:133] neg_lo:[0,1] neg_hi:[0,1]
	v_pk_add_f32 v[28:29], v[28:29], v[130:131] neg_lo:[0,1] neg_hi:[0,1]
	s_wait_dscnt 0x0
	v_pk_mul_f32 v[130:131], v[126:127], v[118:119] op_sel:[0,1]
	s_delay_alu instid0(VALU_DEP_1) | instskip(SKIP_1) | instid1(VALU_DEP_1)
	v_pk_fma_f32 v[132:133], v[126:127], v[116:117], v[130:131] op_sel:[0,0,1] op_sel_hi:[1,1,0] neg_lo:[0,0,1] neg_hi:[0,0,1]
	v_pk_fma_f32 v[126:127], v[126:127], v[116:117], v[130:131] op_sel:[0,0,1] op_sel_hi:[1,0,0]
	v_mov_b32_e32 v133, v127
	v_pk_mul_f32 v[126:127], v[128:129], v[118:119] op_sel:[0,1]
	s_delay_alu instid0(VALU_DEP_1) | instskip(SKIP_1) | instid1(VALU_DEP_1)
	v_pk_fma_f32 v[130:131], v[128:129], v[116:117], v[126:127] op_sel:[0,0,1] op_sel_hi:[1,1,0] neg_lo:[0,0,1] neg_hi:[0,0,1]
	v_pk_fma_f32 v[126:127], v[128:129], v[116:117], v[126:127] op_sel:[0,0,1] op_sel_hi:[1,0,0]
	v_mov_b32_e32 v131, v127
	ds_load_2addr_b64 v[126:129], v120 offset0:33 offset1:34
	v_pk_add_f32 v[26:27], v[26:27], v[132:133] neg_lo:[0,1] neg_hi:[0,1]
	v_pk_add_f32 v[76:77], v[76:77], v[130:131] neg_lo:[0,1] neg_hi:[0,1]
	s_wait_dscnt 0x0
	v_dual_mul_f32 v130, v127, v119 :: v_dual_mul_f32 v132, v127, v116
	s_delay_alu instid0(VALU_DEP_1) | instskip(NEXT) | instid1(VALU_DEP_2)
	v_pk_fma_f32 v[130:131], v[126:127], v[84:85], v[130:131] op_sel_hi:[1,1,0] neg_lo:[0,0,1] neg_hi:[0,0,1]
	v_pk_fma_f32 v[126:127], v[126:127], v[84:85], v[132:133] op_sel:[1,0,0] op_sel_hi:[0,1,0]
	s_delay_alu instid0(VALU_DEP_1) | instskip(SKIP_1) | instid1(VALU_DEP_2)
	v_mov_b32_e32 v131, v127
	v_pk_mul_f32 v[126:127], v[128:129], v[118:119] op_sel:[0,1]
	v_pk_add_f32 v[74:75], v[74:75], v[130:131] neg_lo:[0,1] neg_hi:[0,1]
	s_delay_alu instid0(VALU_DEP_2) | instskip(SKIP_1) | instid1(VALU_DEP_1)
	v_pk_fma_f32 v[130:131], v[128:129], v[116:117], v[126:127] op_sel:[0,0,1] op_sel_hi:[1,1,0] neg_lo:[0,0,1] neg_hi:[0,0,1]
	v_pk_fma_f32 v[126:127], v[128:129], v[116:117], v[126:127] op_sel:[0,0,1] op_sel_hi:[1,0,0]
	v_mov_b32_e32 v131, v127
	ds_load_2addr_b64 v[126:129], v120 offset0:35 offset1:36
	v_pk_add_f32 v[22:23], v[22:23], v[130:131] neg_lo:[0,1] neg_hi:[0,1]
	s_wait_dscnt 0x0
	v_pk_mul_f32 v[130:131], v[126:127], v[118:119] op_sel:[0,1]
	s_delay_alu instid0(VALU_DEP_1) | instskip(SKIP_1) | instid1(VALU_DEP_1)
	v_pk_fma_f32 v[132:133], v[126:127], v[116:117], v[130:131] op_sel:[0,0,1] op_sel_hi:[1,1,0] neg_lo:[0,0,1] neg_hi:[0,0,1]
	v_pk_fma_f32 v[126:127], v[126:127], v[116:117], v[130:131] op_sel:[0,0,1] op_sel_hi:[1,0,0]
	v_mov_b32_e32 v133, v127
	v_pk_mul_f32 v[126:127], v[128:129], v[118:119] op_sel:[0,1]
	s_delay_alu instid0(VALU_DEP_2) | instskip(NEXT) | instid1(VALU_DEP_2)
	v_pk_add_f32 v[20:21], v[20:21], v[132:133] neg_lo:[0,1] neg_hi:[0,1]
	v_pk_fma_f32 v[130:131], v[128:129], v[116:117], v[126:127] op_sel:[0,0,1] op_sel_hi:[1,1,0] neg_lo:[0,0,1] neg_hi:[0,0,1]
	v_pk_fma_f32 v[126:127], v[128:129], v[116:117], v[126:127] op_sel:[0,0,1] op_sel_hi:[1,0,0]
	s_delay_alu instid0(VALU_DEP_1) | instskip(SKIP_4) | instid1(VALU_DEP_1)
	v_mov_b32_e32 v131, v127
	ds_load_2addr_b64 v[126:129], v120 offset0:37 offset1:38
	v_pk_add_f32 v[72:73], v[72:73], v[130:131] neg_lo:[0,1] neg_hi:[0,1]
	s_wait_dscnt 0x0
	v_pk_mul_f32 v[130:131], v[126:127], v[118:119] op_sel:[0,1]
	v_pk_fma_f32 v[132:133], v[126:127], v[116:117], v[130:131] op_sel:[0,0,1] op_sel_hi:[1,1,0] neg_lo:[0,0,1] neg_hi:[0,0,1]
	v_pk_fma_f32 v[126:127], v[126:127], v[116:117], v[130:131] op_sel:[0,0,1] op_sel_hi:[1,0,0]
	v_dual_mul_f32 v130, v129, v119 :: v_dual_mov_b32 v126, v129
	s_delay_alu instid0(VALU_DEP_2) | instskip(NEXT) | instid1(VALU_DEP_2)
	v_dual_mov_b32 v133, v127 :: v_dual_mov_b32 v127, v128
	v_pk_fma_f32 v[130:131], v[128:129], v[84:85], v[130:131] op_sel_hi:[1,1,0] neg_lo:[0,0,1] neg_hi:[0,0,1]
	v_mul_f32_e32 v128, v129, v116
	s_delay_alu instid0(VALU_DEP_3) | instskip(NEXT) | instid1(VALU_DEP_2)
	v_pk_add_f32 v[70:71], v[70:71], v[132:133] neg_lo:[0,1] neg_hi:[0,1]
	v_pk_fma_f32 v[126:127], v[126:127], v[84:85], v[128:129] op_sel_hi:[1,1,0]
	s_delay_alu instid0(VALU_DEP_1) | instskip(SKIP_4) | instid1(VALU_DEP_1)
	v_mov_b32_e32 v131, v127
	ds_load_2addr_b64 v[126:129], v120 offset0:39 offset1:40
	v_pk_add_f32 v[18:19], v[18:19], v[130:131] neg_lo:[0,1] neg_hi:[0,1]
	s_wait_dscnt 0x0
	v_pk_mul_f32 v[130:131], v[126:127], v[118:119] op_sel:[0,1]
	v_pk_fma_f32 v[132:133], v[126:127], v[116:117], v[130:131] op_sel:[0,0,1] op_sel_hi:[1,1,0] neg_lo:[0,0,1] neg_hi:[0,0,1]
	v_pk_fma_f32 v[126:127], v[126:127], v[116:117], v[130:131] op_sel:[0,0,1] op_sel_hi:[1,0,0]
	s_delay_alu instid0(VALU_DEP_1) | instskip(SKIP_1) | instid1(VALU_DEP_1)
	v_mov_b32_e32 v133, v127
	v_pk_mul_f32 v[126:127], v[128:129], v[118:119] op_sel:[0,1]
	v_pk_fma_f32 v[130:131], v[128:129], v[116:117], v[126:127] op_sel:[0,0,1] op_sel_hi:[1,1,0] neg_lo:[0,0,1] neg_hi:[0,0,1]
	v_pk_fma_f32 v[126:127], v[128:129], v[116:117], v[126:127] op_sel:[0,0,1] op_sel_hi:[1,0,0]
	s_delay_alu instid0(VALU_DEP_1)
	v_mov_b32_e32 v131, v127
	ds_load_2addr_b64 v[126:129], v120 offset0:41 offset1:42
	v_pk_add_f32 v[16:17], v[16:17], v[132:133] neg_lo:[0,1] neg_hi:[0,1]
	v_pk_add_f32 v[68:69], v[68:69], v[130:131] neg_lo:[0,1] neg_hi:[0,1]
	s_wait_dscnt 0x0
	v_pk_mul_f32 v[130:131], v[126:127], v[118:119] op_sel:[0,1]
	s_delay_alu instid0(VALU_DEP_1) | instskip(SKIP_1) | instid1(VALU_DEP_1)
	v_pk_fma_f32 v[132:133], v[126:127], v[116:117], v[130:131] op_sel:[0,0,1] op_sel_hi:[1,1,0] neg_lo:[0,0,1] neg_hi:[0,0,1]
	v_pk_fma_f32 v[126:127], v[126:127], v[116:117], v[130:131] op_sel:[0,0,1] op_sel_hi:[1,0,0]
	v_mov_b32_e32 v133, v127
	v_pk_mul_f32 v[126:127], v[128:129], v[118:119] op_sel:[0,1]
	s_delay_alu instid0(VALU_DEP_1) | instskip(SKIP_1) | instid1(VALU_DEP_1)
	v_pk_fma_f32 v[130:131], v[128:129], v[116:117], v[126:127] op_sel:[0,0,1] op_sel_hi:[1,1,0] neg_lo:[0,0,1] neg_hi:[0,0,1]
	v_pk_fma_f32 v[126:127], v[128:129], v[116:117], v[126:127] op_sel:[0,0,1] op_sel_hi:[1,0,0]
	v_mov_b32_e32 v131, v127
	ds_load_2addr_b64 v[126:129], v120 offset0:43 offset1:44
	v_pk_add_f32 v[66:67], v[66:67], v[132:133] neg_lo:[0,1] neg_hi:[0,1]
	v_pk_add_f32 v[14:15], v[14:15], v[130:131] neg_lo:[0,1] neg_hi:[0,1]
	s_wait_dscnt 0x0
	v_dual_mul_f32 v130, v127, v119 :: v_dual_mul_f32 v132, v127, v116
	s_delay_alu instid0(VALU_DEP_1) | instskip(NEXT) | instid1(VALU_DEP_2)
	v_pk_fma_f32 v[130:131], v[126:127], v[84:85], v[130:131] op_sel_hi:[1,1,0] neg_lo:[0,0,1] neg_hi:[0,0,1]
	v_pk_fma_f32 v[126:127], v[126:127], v[84:85], v[132:133] op_sel:[1,0,0] op_sel_hi:[0,1,0]
	s_delay_alu instid0(VALU_DEP_1) | instskip(SKIP_1) | instid1(VALU_DEP_2)
	v_mov_b32_e32 v131, v127
	v_pk_mul_f32 v[126:127], v[128:129], v[118:119] op_sel:[0,1]
	v_pk_add_f32 v[12:13], v[12:13], v[130:131] neg_lo:[0,1] neg_hi:[0,1]
	s_delay_alu instid0(VALU_DEP_2) | instskip(SKIP_1) | instid1(VALU_DEP_1)
	v_pk_fma_f32 v[130:131], v[128:129], v[116:117], v[126:127] op_sel:[0,0,1] op_sel_hi:[1,1,0] neg_lo:[0,0,1] neg_hi:[0,0,1]
	v_pk_fma_f32 v[126:127], v[128:129], v[116:117], v[126:127] op_sel:[0,0,1] op_sel_hi:[1,0,0]
	v_mov_b32_e32 v131, v127
	ds_load_2addr_b64 v[126:129], v120 offset0:45 offset1:46
	v_pk_add_f32 v[64:65], v[64:65], v[130:131] neg_lo:[0,1] neg_hi:[0,1]
	s_wait_dscnt 0x0
	v_pk_mul_f32 v[130:131], v[126:127], v[118:119] op_sel:[0,1]
	s_delay_alu instid0(VALU_DEP_1) | instskip(SKIP_1) | instid1(VALU_DEP_1)
	v_pk_fma_f32 v[132:133], v[126:127], v[116:117], v[130:131] op_sel:[0,0,1] op_sel_hi:[1,1,0] neg_lo:[0,0,1] neg_hi:[0,0,1]
	v_pk_fma_f32 v[126:127], v[126:127], v[116:117], v[130:131] op_sel:[0,0,1] op_sel_hi:[1,0,0]
	v_mov_b32_e32 v133, v127
	v_pk_mul_f32 v[126:127], v[128:129], v[118:119] op_sel:[0,1]
	s_delay_alu instid0(VALU_DEP_2) | instskip(NEXT) | instid1(VALU_DEP_2)
	v_pk_add_f32 v[62:63], v[62:63], v[132:133] neg_lo:[0,1] neg_hi:[0,1]
	v_pk_fma_f32 v[130:131], v[128:129], v[116:117], v[126:127] op_sel:[0,0,1] op_sel_hi:[1,1,0] neg_lo:[0,0,1] neg_hi:[0,0,1]
	v_pk_fma_f32 v[126:127], v[128:129], v[116:117], v[126:127] op_sel:[0,0,1] op_sel_hi:[1,0,0]
	s_delay_alu instid0(VALU_DEP_1) | instskip(SKIP_4) | instid1(VALU_DEP_1)
	v_mov_b32_e32 v131, v127
	ds_load_2addr_b64 v[126:129], v120 offset0:47 offset1:48
	v_pk_add_f32 v[10:11], v[10:11], v[130:131] neg_lo:[0,1] neg_hi:[0,1]
	s_wait_dscnt 0x0
	v_pk_mul_f32 v[130:131], v[126:127], v[118:119] op_sel:[0,1]
	v_pk_fma_f32 v[132:133], v[126:127], v[116:117], v[130:131] op_sel:[0,0,1] op_sel_hi:[1,1,0] neg_lo:[0,0,1] neg_hi:[0,0,1]
	v_pk_fma_f32 v[126:127], v[126:127], v[116:117], v[130:131] op_sel:[0,0,1] op_sel_hi:[1,0,0]
	v_dual_mul_f32 v130, v129, v119 :: v_dual_mov_b32 v126, v129
	s_delay_alu instid0(VALU_DEP_2) | instskip(NEXT) | instid1(VALU_DEP_2)
	v_dual_mov_b32 v133, v127 :: v_dual_mov_b32 v127, v128
	v_pk_fma_f32 v[130:131], v[128:129], v[84:85], v[130:131] op_sel_hi:[1,1,0] neg_lo:[0,0,1] neg_hi:[0,0,1]
	v_mul_f32_e32 v128, v129, v116
	s_delay_alu instid0(VALU_DEP_3) | instskip(NEXT) | instid1(VALU_DEP_2)
	v_pk_add_f32 v[6:7], v[6:7], v[132:133] neg_lo:[0,1] neg_hi:[0,1]
	v_pk_fma_f32 v[126:127], v[126:127], v[84:85], v[128:129] op_sel_hi:[1,1,0]
	s_delay_alu instid0(VALU_DEP_1) | instskip(SKIP_4) | instid1(VALU_DEP_1)
	v_mov_b32_e32 v131, v127
	ds_load_2addr_b64 v[126:129], v120 offset0:49 offset1:50
	v_pk_add_f32 v[52:53], v[52:53], v[130:131] neg_lo:[0,1] neg_hi:[0,1]
	s_wait_dscnt 0x0
	v_pk_mul_f32 v[130:131], v[126:127], v[118:119] op_sel:[0,1]
	v_pk_fma_f32 v[132:133], v[126:127], v[116:117], v[130:131] op_sel:[0,0,1] op_sel_hi:[1,1,0] neg_lo:[0,0,1] neg_hi:[0,0,1]
	v_pk_fma_f32 v[126:127], v[126:127], v[116:117], v[130:131] op_sel:[0,0,1] op_sel_hi:[1,0,0]
	s_delay_alu instid0(VALU_DEP_1) | instskip(SKIP_1) | instid1(VALU_DEP_1)
	v_mov_b32_e32 v133, v127
	v_pk_mul_f32 v[126:127], v[128:129], v[118:119] op_sel:[0,1]
	v_pk_fma_f32 v[130:131], v[128:129], v[116:117], v[126:127] op_sel:[0,0,1] op_sel_hi:[1,1,0] neg_lo:[0,0,1] neg_hi:[0,0,1]
	v_pk_fma_f32 v[126:127], v[128:129], v[116:117], v[126:127] op_sel:[0,0,1] op_sel_hi:[1,0,0]
	s_delay_alu instid0(VALU_DEP_1)
	v_mov_b32_e32 v131, v127
	ds_load_2addr_b64 v[126:129], v120 offset0:51 offset1:52
	v_pk_add_f32 v[50:51], v[50:51], v[132:133] neg_lo:[0,1] neg_hi:[0,1]
	v_pk_add_f32 v[8:9], v[8:9], v[130:131] neg_lo:[0,1] neg_hi:[0,1]
	s_wait_dscnt 0x0
	v_pk_mul_f32 v[130:131], v[126:127], v[118:119] op_sel:[0,1]
	s_delay_alu instid0(VALU_DEP_1) | instskip(SKIP_1) | instid1(VALU_DEP_1)
	v_pk_fma_f32 v[132:133], v[126:127], v[116:117], v[130:131] op_sel:[0,0,1] op_sel_hi:[1,1,0] neg_lo:[0,0,1] neg_hi:[0,0,1]
	v_pk_fma_f32 v[126:127], v[126:127], v[116:117], v[130:131] op_sel:[0,0,1] op_sel_hi:[1,0,0]
	v_mov_b32_e32 v133, v127
	v_pk_mul_f32 v[126:127], v[128:129], v[118:119] op_sel:[0,1]
	s_delay_alu instid0(VALU_DEP_1) | instskip(SKIP_1) | instid1(VALU_DEP_1)
	v_pk_fma_f32 v[130:131], v[128:129], v[116:117], v[126:127] op_sel:[0,0,1] op_sel_hi:[1,1,0] neg_lo:[0,0,1] neg_hi:[0,0,1]
	v_pk_fma_f32 v[126:127], v[128:129], v[116:117], v[126:127] op_sel:[0,0,1] op_sel_hi:[1,0,0]
	v_mov_b32_e32 v131, v127
	ds_load_2addr_b64 v[126:129], v120 offset0:53 offset1:54
	v_pk_add_f32 v[30:31], v[30:31], v[132:133] neg_lo:[0,1] neg_hi:[0,1]
	v_pk_add_f32 v[34:35], v[34:35], v[130:131] neg_lo:[0,1] neg_hi:[0,1]
	s_wait_dscnt 0x0
	v_mul_f32_e32 v118, v127, v119
	s_delay_alu instid0(VALU_DEP_1) | instskip(SKIP_1) | instid1(VALU_DEP_1)
	v_pk_fma_f32 v[130:131], v[126:127], v[84:85], v[118:119] op_sel_hi:[1,1,0] neg_lo:[0,0,1] neg_hi:[0,0,1]
	v_dual_mul_f32 v118, v127, v116 :: v_dual_mul_f32 v116, v129, v116
	v_pk_fma_f32 v[126:127], v[126:127], v[84:85], v[118:119] op_sel:[1,0,0] op_sel_hi:[0,1,0]
	v_dual_mov_b32 v126, v129 :: v_dual_mul_f32 v118, v129, v119
	s_delay_alu instid0(VALU_DEP_2) | instskip(NEXT) | instid1(VALU_DEP_2)
	v_dual_mov_b32 v131, v127 :: v_dual_mov_b32 v127, v128
	v_pk_fma_f32 v[118:119], v[128:129], v[84:85], v[118:119] op_sel_hi:[1,1,0] neg_lo:[0,0,1] neg_hi:[0,0,1]
	s_delay_alu instid0(VALU_DEP_2) | instskip(NEXT) | instid1(VALU_DEP_3)
	v_pk_add_f32 v[24:25], v[24:25], v[130:131] neg_lo:[0,1] neg_hi:[0,1]
	v_pk_fma_f32 v[116:117], v[126:127], v[84:85], v[116:117] op_sel_hi:[1,1,0]
	s_delay_alu instid0(VALU_DEP_1) | instskip(NEXT) | instid1(VALU_DEP_1)
	v_mov_b32_e32 v119, v117
	v_pk_add_f32 v[114:115], v[114:115], v[118:119] neg_lo:[0,1] neg_hi:[0,1]
.LBB108_524:
	s_or_b32 exec_lo, exec_lo, s0
	v_lshl_add_u32 v116, v124, 3, v120
	s_barrier_signal -1
	s_barrier_wait -1
	ds_store_b64 v116, v[82:83]
	s_wait_dscnt 0x0
	s_barrier_signal -1
	s_barrier_wait -1
	ds_load_b64 v[118:119], v120 offset:200
	v_mov_b32_e32 v116, 25
	s_cmp_lt_i32 s18, 27
	s_cbranch_scc1 .LBB108_527
; %bb.525:
	v_add3_u32 v117, v121, 0, 0xd0
	v_mov_b32_e32 v116, 25
	s_mov_b32 s0, 26
.LBB108_526:                            ; =>This Inner Loop Header: Depth=1
	ds_load_b64 v[126:127], v117
	s_wait_dscnt 0x1
	v_cmp_gt_f32_e32 vcc_lo, 0, v118
	v_cndmask_b32_e64 v128, v118, -v118, vcc_lo
	v_cmp_gt_f32_e32 vcc_lo, 0, v119
	v_cndmask_b32_e64 v130, v119, -v119, vcc_lo
	s_wait_dscnt 0x0
	v_cmp_gt_f32_e32 vcc_lo, 0, v126
	v_cndmask_b32_e64 v129, v126, -v126, vcc_lo
	v_cmp_gt_f32_e32 vcc_lo, 0, v127
	v_cndmask_b32_e64 v131, v127, -v127, vcc_lo
	s_delay_alu instid0(VALU_DEP_1) | instskip(NEXT) | instid1(VALU_DEP_1)
	v_pk_add_f32 v[128:129], v[128:129], v[130:131]
	v_cmp_lt_f32_e32 vcc_lo, v128, v129
	v_dual_add_nc_u32 v117, 8, v117 :: v_dual_cndmask_b32 v119, v119, v127, vcc_lo
	v_cndmask_b32_e32 v118, v118, v126, vcc_lo
	v_cndmask_b32_e64 v116, v116, s0, vcc_lo
	s_add_co_i32 s0, s0, 1
	s_delay_alu instid0(SALU_CYCLE_1)
	s_cmp_lg_u32 s18, s0
	s_cbranch_scc1 .LBB108_526
.LBB108_527:
	s_wait_dscnt 0x0
	v_cmp_eq_f32_e32 vcc_lo, 0, v118
	v_cmp_eq_f32_e64 s0, 0, v119
	s_and_b32 s0, vcc_lo, s0
	s_delay_alu instid0(SALU_CYCLE_1) | instskip(NEXT) | instid1(SALU_CYCLE_1)
	s_and_saveexec_b32 s1, s0
	s_xor_b32 s0, exec_lo, s1
; %bb.528:
	v_cmp_ne_u32_e32 vcc_lo, 0, v122
	v_cndmask_b32_e32 v122, 26, v122, vcc_lo
; %bb.529:
	s_and_not1_saveexec_b32 s0, s0
	s_cbranch_execz .LBB108_535
; %bb.530:
	v_cmp_ngt_f32_e64 s1, |v118|, |v119|
	s_and_saveexec_b32 s12, s1
	s_delay_alu instid0(SALU_CYCLE_1)
	s_xor_b32 s1, exec_lo, s12
	s_cbranch_execz .LBB108_532
; %bb.531:
	v_div_scale_f32 v117, null, v119, v119, v118
	v_div_scale_f32 v127, vcc_lo, v118, v119, v118
	s_delay_alu instid0(VALU_DEP_2) | instskip(SKIP_1) | instid1(TRANS32_DEP_1)
	v_rcp_f32_e32 v125, v117
	v_nop
	v_fma_f32 v126, -v117, v125, 1.0
	s_delay_alu instid0(VALU_DEP_1) | instskip(NEXT) | instid1(VALU_DEP_1)
	v_fmac_f32_e32 v125, v126, v125
	v_mul_f32_e32 v126, v127, v125
	s_delay_alu instid0(VALU_DEP_1) | instskip(NEXT) | instid1(VALU_DEP_1)
	v_fma_f32 v128, -v117, v126, v127
	v_fmac_f32_e32 v126, v128, v125
	s_delay_alu instid0(VALU_DEP_1) | instskip(NEXT) | instid1(VALU_DEP_1)
	v_fma_f32 v117, -v117, v126, v127
	v_div_fmas_f32 v117, v117, v125, v126
	s_delay_alu instid0(VALU_DEP_1) | instskip(NEXT) | instid1(VALU_DEP_1)
	v_div_fixup_f32 v117, v117, v119, v118
	v_fmac_f32_e32 v119, v118, v117
	s_delay_alu instid0(VALU_DEP_1) | instskip(SKIP_1) | instid1(VALU_DEP_2)
	v_div_scale_f32 v118, null, v119, v119, 1.0
	v_div_scale_f32 v127, vcc_lo, 1.0, v119, 1.0
	v_rcp_f32_e32 v125, v118
	v_nop
	s_delay_alu instid0(TRANS32_DEP_1) | instskip(NEXT) | instid1(VALU_DEP_1)
	v_fma_f32 v126, -v118, v125, 1.0
	v_fmac_f32_e32 v125, v126, v125
	s_delay_alu instid0(VALU_DEP_1) | instskip(NEXT) | instid1(VALU_DEP_1)
	v_mul_f32_e32 v126, v127, v125
	v_fma_f32 v128, -v118, v126, v127
	s_delay_alu instid0(VALU_DEP_1) | instskip(NEXT) | instid1(VALU_DEP_1)
	v_fmac_f32_e32 v126, v128, v125
	v_fma_f32 v118, -v118, v126, v127
	s_delay_alu instid0(VALU_DEP_1) | instskip(NEXT) | instid1(VALU_DEP_1)
	v_div_fmas_f32 v118, v118, v125, v126
	v_div_fixup_f32 v119, v118, v119, 1.0
	s_delay_alu instid0(VALU_DEP_1)
	v_mul_f32_e32 v118, v117, v119
	v_xor_b32_e32 v119, 0x80000000, v119
.LBB108_532:
	s_and_not1_saveexec_b32 s1, s1
	s_cbranch_execz .LBB108_534
; %bb.533:
	s_delay_alu instid0(VALU_DEP_1) | instskip(SKIP_1) | instid1(VALU_DEP_2)
	v_div_scale_f32 v117, null, v118, v118, v119
	v_div_scale_f32 v127, vcc_lo, v119, v118, v119
	v_rcp_f32_e32 v125, v117
	v_nop
	s_delay_alu instid0(TRANS32_DEP_1) | instskip(NEXT) | instid1(VALU_DEP_1)
	v_fma_f32 v126, -v117, v125, 1.0
	v_fmac_f32_e32 v125, v126, v125
	s_delay_alu instid0(VALU_DEP_1) | instskip(NEXT) | instid1(VALU_DEP_1)
	v_mul_f32_e32 v126, v127, v125
	v_fma_f32 v128, -v117, v126, v127
	s_delay_alu instid0(VALU_DEP_1) | instskip(NEXT) | instid1(VALU_DEP_1)
	v_fmac_f32_e32 v126, v128, v125
	v_fma_f32 v117, -v117, v126, v127
	s_delay_alu instid0(VALU_DEP_1) | instskip(NEXT) | instid1(VALU_DEP_1)
	v_div_fmas_f32 v117, v117, v125, v126
	v_div_fixup_f32 v117, v117, v118, v119
	s_delay_alu instid0(VALU_DEP_1) | instskip(NEXT) | instid1(VALU_DEP_1)
	v_fmac_f32_e32 v118, v119, v117
	v_div_scale_f32 v119, null, v118, v118, 1.0
	s_delay_alu instid0(VALU_DEP_1) | instskip(SKIP_1) | instid1(TRANS32_DEP_1)
	v_rcp_f32_e32 v125, v119
	v_nop
	v_fma_f32 v126, -v119, v125, 1.0
	s_delay_alu instid0(VALU_DEP_1) | instskip(SKIP_1) | instid1(VALU_DEP_1)
	v_fmac_f32_e32 v125, v126, v125
	v_div_scale_f32 v126, vcc_lo, 1.0, v118, 1.0
	v_mul_f32_e32 v127, v126, v125
	s_delay_alu instid0(VALU_DEP_1) | instskip(NEXT) | instid1(VALU_DEP_1)
	v_fma_f32 v128, -v119, v127, v126
	v_fmac_f32_e32 v127, v128, v125
	s_delay_alu instid0(VALU_DEP_1) | instskip(NEXT) | instid1(VALU_DEP_1)
	v_fma_f32 v119, -v119, v127, v126
	v_div_fmas_f32 v119, v119, v125, v127
	s_delay_alu instid0(VALU_DEP_1) | instskip(NEXT) | instid1(VALU_DEP_1)
	v_div_fixup_f32 v118, v119, v118, 1.0
	v_mul_f32_e64 v119, v117, -v118
.LBB108_534:
	s_or_b32 exec_lo, exec_lo, s1
.LBB108_535:
	s_delay_alu instid0(SALU_CYCLE_1) | instskip(NEXT) | instid1(SALU_CYCLE_1)
	s_or_b32 exec_lo, exec_lo, s0
	s_mov_b32 s0, exec_lo
	v_cmpx_ne_u32_e64 v124, v116
	s_xor_b32 s0, exec_lo, s0
	s_cbranch_execz .LBB108_541
; %bb.536:
	s_mov_b32 s1, exec_lo
	v_cmpx_eq_u32_e32 25, v124
	s_cbranch_execz .LBB108_540
; %bb.537:
	v_cmp_ne_u32_e32 vcc_lo, 25, v116
	s_xor_b32 s12, s16, -1
	s_delay_alu instid0(SALU_CYCLE_1) | instskip(NEXT) | instid1(SALU_CYCLE_1)
	s_and_b32 s13, s12, vcc_lo
	s_and_saveexec_b32 s12, s13
	s_cbranch_execz .LBB108_539
; %bb.538:
	v_ashrrev_i32_e32 v117, 31, v116
	s_delay_alu instid0(VALU_DEP_1)
	v_lshl_add_u64 v[124:125], v[116:117], 2, v[4:5]
	s_clause 0x1
	global_load_b32 v117, v[124:125], off
	global_load_b32 v123, v[4:5], off offset:100
	s_wait_loadcnt 0x1
	global_store_b32 v[4:5], v117, off offset:100
	s_wait_loadcnt 0x0
	global_store_b32 v[124:125], v123, off
.LBB108_539:
	s_wait_xcnt 0x0
	s_or_b32 exec_lo, exec_lo, s12
	v_dual_mov_b32 v124, v116 :: v_dual_mov_b32 v123, v116
.LBB108_540:
	s_or_b32 exec_lo, exec_lo, s1
.LBB108_541:
	s_and_not1_saveexec_b32 s0, s0
	s_cbranch_execz .LBB108_543
; %bb.542:
	v_dual_mov_b32 v116, v36 :: v_dual_mov_b32 v117, v37
	v_dual_mov_b32 v124, v32 :: v_dual_mov_b32 v125, v33
	ds_store_2addr_b64 v120, v[116:117], v[124:125] offset0:26 offset1:27
	v_dual_mov_b32 v116, v80 :: v_dual_mov_b32 v117, v81
	v_dual_mov_b32 v124, v78 :: v_dual_mov_b32 v125, v79
	ds_store_2addr_b64 v120, v[116:117], v[124:125] offset0:28 offset1:29
	;; [unrolled: 3-line block ×14, first 2 shown]
	ds_store_b64 v120, v[114:115] offset:432
	v_mov_b32_e32 v124, 25
.LBB108_543:
	s_or_b32 exec_lo, exec_lo, s0
	s_delay_alu instid0(SALU_CYCLE_1)
	s_mov_b32 s0, exec_lo
	s_wait_storecnt_dscnt 0x0
	s_barrier_signal -1
	s_barrier_wait -1
	v_cmpx_lt_i32_e32 25, v124
	s_cbranch_execz .LBB108_545
; %bb.544:
	v_pk_mul_f32 v[126:127], v[118:119], v[82:83] op_sel:[1,1] op_sel_hi:[0,1]
	s_delay_alu instid0(VALU_DEP_1)
	v_pk_fma_f32 v[116:117], v[118:119], v[82:83], v[126:127] op_sel_hi:[1,0,1] neg_lo:[0,0,1] neg_hi:[0,0,1]
	v_pk_fma_f32 v[118:119], v[118:119], v[82:83], v[126:127] op_sel_hi:[1,0,1]
	ds_load_2addr_b64 v[126:129], v120 offset0:26 offset1:27
	v_dual_mov_b32 v82, v116 :: v_dual_mov_b32 v83, v119
	s_wait_dscnt 0x0
	v_pk_mul_f32 v[130:131], v[126:127], v[118:119] op_sel:[0,1]
	s_delay_alu instid0(VALU_DEP_1) | instskip(SKIP_1) | instid1(VALU_DEP_1)
	v_pk_fma_f32 v[132:133], v[126:127], v[116:117], v[130:131] op_sel:[0,0,1] op_sel_hi:[1,1,0] neg_lo:[0,0,1] neg_hi:[0,0,1]
	v_pk_fma_f32 v[126:127], v[126:127], v[116:117], v[130:131] op_sel:[0,0,1] op_sel_hi:[1,0,0]
	v_mov_b32_e32 v133, v127
	v_pk_mul_f32 v[126:127], v[128:129], v[118:119] op_sel:[0,1]
	s_delay_alu instid0(VALU_DEP_1) | instskip(SKIP_1) | instid1(VALU_DEP_1)
	v_pk_fma_f32 v[130:131], v[128:129], v[116:117], v[126:127] op_sel:[0,0,1] op_sel_hi:[1,1,0] neg_lo:[0,0,1] neg_hi:[0,0,1]
	v_pk_fma_f32 v[126:127], v[128:129], v[116:117], v[126:127] op_sel:[0,0,1] op_sel_hi:[1,0,0]
	v_mov_b32_e32 v131, v127
	ds_load_2addr_b64 v[126:129], v120 offset0:28 offset1:29
	v_pk_add_f32 v[36:37], v[36:37], v[132:133] neg_lo:[0,1] neg_hi:[0,1]
	v_pk_add_f32 v[32:33], v[32:33], v[130:131] neg_lo:[0,1] neg_hi:[0,1]
	s_wait_dscnt 0x0
	v_pk_mul_f32 v[130:131], v[126:127], v[118:119] op_sel:[0,1]
	s_delay_alu instid0(VALU_DEP_1) | instskip(SKIP_2) | instid1(VALU_DEP_2)
	v_pk_fma_f32 v[132:133], v[126:127], v[116:117], v[130:131] op_sel:[0,0,1] op_sel_hi:[1,1,0] neg_lo:[0,0,1] neg_hi:[0,0,1]
	v_pk_fma_f32 v[126:127], v[126:127], v[116:117], v[130:131] op_sel:[0,0,1] op_sel_hi:[1,0,0]
	v_dual_mul_f32 v130, v129, v119 :: v_dual_mov_b32 v126, v129
	v_dual_mov_b32 v133, v127 :: v_dual_mov_b32 v127, v128
	s_delay_alu instid0(VALU_DEP_2) | instskip(SKIP_1) | instid1(VALU_DEP_3)
	v_pk_fma_f32 v[130:131], v[128:129], v[82:83], v[130:131] op_sel_hi:[1,1,0] neg_lo:[0,0,1] neg_hi:[0,0,1]
	v_mul_f32_e32 v128, v129, v116
	v_pk_add_f32 v[80:81], v[80:81], v[132:133] neg_lo:[0,1] neg_hi:[0,1]
	s_delay_alu instid0(VALU_DEP_2) | instskip(NEXT) | instid1(VALU_DEP_1)
	v_pk_fma_f32 v[126:127], v[126:127], v[82:83], v[128:129] op_sel_hi:[1,1,0]
	v_mov_b32_e32 v131, v127
	ds_load_2addr_b64 v[126:129], v120 offset0:30 offset1:31
	v_pk_add_f32 v[78:79], v[78:79], v[130:131] neg_lo:[0,1] neg_hi:[0,1]
	s_wait_dscnt 0x0
	v_pk_mul_f32 v[130:131], v[126:127], v[118:119] op_sel:[0,1]
	s_delay_alu instid0(VALU_DEP_1) | instskip(SKIP_1) | instid1(VALU_DEP_1)
	v_pk_fma_f32 v[132:133], v[126:127], v[116:117], v[130:131] op_sel:[0,0,1] op_sel_hi:[1,1,0] neg_lo:[0,0,1] neg_hi:[0,0,1]
	v_pk_fma_f32 v[126:127], v[126:127], v[116:117], v[130:131] op_sel:[0,0,1] op_sel_hi:[1,0,0]
	v_mov_b32_e32 v133, v127
	v_pk_mul_f32 v[126:127], v[128:129], v[118:119] op_sel:[0,1]
	s_delay_alu instid0(VALU_DEP_1) | instskip(SKIP_1) | instid1(VALU_DEP_1)
	v_pk_fma_f32 v[130:131], v[128:129], v[116:117], v[126:127] op_sel:[0,0,1] op_sel_hi:[1,1,0] neg_lo:[0,0,1] neg_hi:[0,0,1]
	v_pk_fma_f32 v[126:127], v[128:129], v[116:117], v[126:127] op_sel:[0,0,1] op_sel_hi:[1,0,0]
	v_mov_b32_e32 v131, v127
	ds_load_2addr_b64 v[126:129], v120 offset0:32 offset1:33
	v_pk_add_f32 v[28:29], v[28:29], v[132:133] neg_lo:[0,1] neg_hi:[0,1]
	v_pk_add_f32 v[26:27], v[26:27], v[130:131] neg_lo:[0,1] neg_hi:[0,1]
	s_wait_dscnt 0x0
	v_pk_mul_f32 v[130:131], v[126:127], v[118:119] op_sel:[0,1]
	s_delay_alu instid0(VALU_DEP_1) | instskip(SKIP_1) | instid1(VALU_DEP_1)
	v_pk_fma_f32 v[132:133], v[126:127], v[116:117], v[130:131] op_sel:[0,0,1] op_sel_hi:[1,1,0] neg_lo:[0,0,1] neg_hi:[0,0,1]
	v_pk_fma_f32 v[126:127], v[126:127], v[116:117], v[130:131] op_sel:[0,0,1] op_sel_hi:[1,0,0]
	v_mov_b32_e32 v133, v127
	v_pk_mul_f32 v[126:127], v[128:129], v[118:119] op_sel:[0,1]
	s_delay_alu instid0(VALU_DEP_1) | instskip(SKIP_1) | instid1(VALU_DEP_1)
	v_pk_fma_f32 v[130:131], v[128:129], v[116:117], v[126:127] op_sel:[0,0,1] op_sel_hi:[1,1,0] neg_lo:[0,0,1] neg_hi:[0,0,1]
	v_pk_fma_f32 v[126:127], v[128:129], v[116:117], v[126:127] op_sel:[0,0,1] op_sel_hi:[1,0,0]
	v_mov_b32_e32 v131, v127
	ds_load_2addr_b64 v[126:129], v120 offset0:34 offset1:35
	v_pk_add_f32 v[76:77], v[76:77], v[132:133] neg_lo:[0,1] neg_hi:[0,1]
	v_pk_add_f32 v[74:75], v[74:75], v[130:131] neg_lo:[0,1] neg_hi:[0,1]
	s_wait_dscnt 0x0
	v_dual_mul_f32 v130, v127, v119 :: v_dual_mul_f32 v132, v127, v116
	s_delay_alu instid0(VALU_DEP_1) | instskip(NEXT) | instid1(VALU_DEP_2)
	v_pk_fma_f32 v[130:131], v[126:127], v[82:83], v[130:131] op_sel_hi:[1,1,0] neg_lo:[0,0,1] neg_hi:[0,0,1]
	v_pk_fma_f32 v[126:127], v[126:127], v[82:83], v[132:133] op_sel:[1,0,0] op_sel_hi:[0,1,0]
	s_delay_alu instid0(VALU_DEP_1) | instskip(SKIP_1) | instid1(VALU_DEP_2)
	v_mov_b32_e32 v131, v127
	v_pk_mul_f32 v[126:127], v[128:129], v[118:119] op_sel:[0,1]
	v_pk_add_f32 v[22:23], v[22:23], v[130:131] neg_lo:[0,1] neg_hi:[0,1]
	s_delay_alu instid0(VALU_DEP_2) | instskip(SKIP_1) | instid1(VALU_DEP_1)
	v_pk_fma_f32 v[130:131], v[128:129], v[116:117], v[126:127] op_sel:[0,0,1] op_sel_hi:[1,1,0] neg_lo:[0,0,1] neg_hi:[0,0,1]
	v_pk_fma_f32 v[126:127], v[128:129], v[116:117], v[126:127] op_sel:[0,0,1] op_sel_hi:[1,0,0]
	v_mov_b32_e32 v131, v127
	ds_load_2addr_b64 v[126:129], v120 offset0:36 offset1:37
	v_pk_add_f32 v[20:21], v[20:21], v[130:131] neg_lo:[0,1] neg_hi:[0,1]
	s_wait_dscnt 0x0
	v_pk_mul_f32 v[130:131], v[126:127], v[118:119] op_sel:[0,1]
	s_delay_alu instid0(VALU_DEP_1) | instskip(SKIP_1) | instid1(VALU_DEP_1)
	v_pk_fma_f32 v[132:133], v[126:127], v[116:117], v[130:131] op_sel:[0,0,1] op_sel_hi:[1,1,0] neg_lo:[0,0,1] neg_hi:[0,0,1]
	v_pk_fma_f32 v[126:127], v[126:127], v[116:117], v[130:131] op_sel:[0,0,1] op_sel_hi:[1,0,0]
	v_mov_b32_e32 v133, v127
	v_pk_mul_f32 v[126:127], v[128:129], v[118:119] op_sel:[0,1]
	s_delay_alu instid0(VALU_DEP_2) | instskip(NEXT) | instid1(VALU_DEP_2)
	v_pk_add_f32 v[72:73], v[72:73], v[132:133] neg_lo:[0,1] neg_hi:[0,1]
	v_pk_fma_f32 v[130:131], v[128:129], v[116:117], v[126:127] op_sel:[0,0,1] op_sel_hi:[1,1,0] neg_lo:[0,0,1] neg_hi:[0,0,1]
	v_pk_fma_f32 v[126:127], v[128:129], v[116:117], v[126:127] op_sel:[0,0,1] op_sel_hi:[1,0,0]
	s_delay_alu instid0(VALU_DEP_1) | instskip(SKIP_4) | instid1(VALU_DEP_1)
	v_mov_b32_e32 v131, v127
	ds_load_2addr_b64 v[126:129], v120 offset0:38 offset1:39
	v_pk_add_f32 v[70:71], v[70:71], v[130:131] neg_lo:[0,1] neg_hi:[0,1]
	s_wait_dscnt 0x0
	v_pk_mul_f32 v[130:131], v[126:127], v[118:119] op_sel:[0,1]
	v_pk_fma_f32 v[132:133], v[126:127], v[116:117], v[130:131] op_sel:[0,0,1] op_sel_hi:[1,1,0] neg_lo:[0,0,1] neg_hi:[0,0,1]
	v_pk_fma_f32 v[126:127], v[126:127], v[116:117], v[130:131] op_sel:[0,0,1] op_sel_hi:[1,0,0]
	v_dual_mul_f32 v130, v129, v119 :: v_dual_mov_b32 v126, v129
	s_delay_alu instid0(VALU_DEP_2) | instskip(NEXT) | instid1(VALU_DEP_2)
	v_dual_mov_b32 v133, v127 :: v_dual_mov_b32 v127, v128
	v_pk_fma_f32 v[130:131], v[128:129], v[82:83], v[130:131] op_sel_hi:[1,1,0] neg_lo:[0,0,1] neg_hi:[0,0,1]
	v_mul_f32_e32 v128, v129, v116
	s_delay_alu instid0(VALU_DEP_3) | instskip(NEXT) | instid1(VALU_DEP_2)
	v_pk_add_f32 v[18:19], v[18:19], v[132:133] neg_lo:[0,1] neg_hi:[0,1]
	v_pk_fma_f32 v[126:127], v[126:127], v[82:83], v[128:129] op_sel_hi:[1,1,0]
	s_delay_alu instid0(VALU_DEP_1) | instskip(SKIP_4) | instid1(VALU_DEP_1)
	v_mov_b32_e32 v131, v127
	ds_load_2addr_b64 v[126:129], v120 offset0:40 offset1:41
	v_pk_add_f32 v[16:17], v[16:17], v[130:131] neg_lo:[0,1] neg_hi:[0,1]
	s_wait_dscnt 0x0
	v_pk_mul_f32 v[130:131], v[126:127], v[118:119] op_sel:[0,1]
	v_pk_fma_f32 v[132:133], v[126:127], v[116:117], v[130:131] op_sel:[0,0,1] op_sel_hi:[1,1,0] neg_lo:[0,0,1] neg_hi:[0,0,1]
	v_pk_fma_f32 v[126:127], v[126:127], v[116:117], v[130:131] op_sel:[0,0,1] op_sel_hi:[1,0,0]
	s_delay_alu instid0(VALU_DEP_1) | instskip(SKIP_1) | instid1(VALU_DEP_1)
	v_mov_b32_e32 v133, v127
	v_pk_mul_f32 v[126:127], v[128:129], v[118:119] op_sel:[0,1]
	v_pk_fma_f32 v[130:131], v[128:129], v[116:117], v[126:127] op_sel:[0,0,1] op_sel_hi:[1,1,0] neg_lo:[0,0,1] neg_hi:[0,0,1]
	v_pk_fma_f32 v[126:127], v[128:129], v[116:117], v[126:127] op_sel:[0,0,1] op_sel_hi:[1,0,0]
	s_delay_alu instid0(VALU_DEP_1)
	v_mov_b32_e32 v131, v127
	ds_load_2addr_b64 v[126:129], v120 offset0:42 offset1:43
	v_pk_add_f32 v[68:69], v[68:69], v[132:133] neg_lo:[0,1] neg_hi:[0,1]
	v_pk_add_f32 v[66:67], v[66:67], v[130:131] neg_lo:[0,1] neg_hi:[0,1]
	s_wait_dscnt 0x0
	v_pk_mul_f32 v[130:131], v[126:127], v[118:119] op_sel:[0,1]
	s_delay_alu instid0(VALU_DEP_1) | instskip(SKIP_1) | instid1(VALU_DEP_1)
	v_pk_fma_f32 v[132:133], v[126:127], v[116:117], v[130:131] op_sel:[0,0,1] op_sel_hi:[1,1,0] neg_lo:[0,0,1] neg_hi:[0,0,1]
	v_pk_fma_f32 v[126:127], v[126:127], v[116:117], v[130:131] op_sel:[0,0,1] op_sel_hi:[1,0,0]
	v_mov_b32_e32 v133, v127
	v_pk_mul_f32 v[126:127], v[128:129], v[118:119] op_sel:[0,1]
	s_delay_alu instid0(VALU_DEP_1) | instskip(SKIP_1) | instid1(VALU_DEP_1)
	v_pk_fma_f32 v[130:131], v[128:129], v[116:117], v[126:127] op_sel:[0,0,1] op_sel_hi:[1,1,0] neg_lo:[0,0,1] neg_hi:[0,0,1]
	v_pk_fma_f32 v[126:127], v[128:129], v[116:117], v[126:127] op_sel:[0,0,1] op_sel_hi:[1,0,0]
	v_mov_b32_e32 v131, v127
	ds_load_2addr_b64 v[126:129], v120 offset0:44 offset1:45
	v_pk_add_f32 v[14:15], v[14:15], v[132:133] neg_lo:[0,1] neg_hi:[0,1]
	v_pk_add_f32 v[12:13], v[12:13], v[130:131] neg_lo:[0,1] neg_hi:[0,1]
	s_wait_dscnt 0x0
	v_dual_mul_f32 v130, v127, v119 :: v_dual_mul_f32 v132, v127, v116
	s_delay_alu instid0(VALU_DEP_1) | instskip(NEXT) | instid1(VALU_DEP_2)
	v_pk_fma_f32 v[130:131], v[126:127], v[82:83], v[130:131] op_sel_hi:[1,1,0] neg_lo:[0,0,1] neg_hi:[0,0,1]
	v_pk_fma_f32 v[126:127], v[126:127], v[82:83], v[132:133] op_sel:[1,0,0] op_sel_hi:[0,1,0]
	s_delay_alu instid0(VALU_DEP_1) | instskip(SKIP_1) | instid1(VALU_DEP_2)
	v_mov_b32_e32 v131, v127
	v_pk_mul_f32 v[126:127], v[128:129], v[118:119] op_sel:[0,1]
	v_pk_add_f32 v[64:65], v[64:65], v[130:131] neg_lo:[0,1] neg_hi:[0,1]
	s_delay_alu instid0(VALU_DEP_2) | instskip(SKIP_1) | instid1(VALU_DEP_1)
	v_pk_fma_f32 v[130:131], v[128:129], v[116:117], v[126:127] op_sel:[0,0,1] op_sel_hi:[1,1,0] neg_lo:[0,0,1] neg_hi:[0,0,1]
	v_pk_fma_f32 v[126:127], v[128:129], v[116:117], v[126:127] op_sel:[0,0,1] op_sel_hi:[1,0,0]
	v_mov_b32_e32 v131, v127
	ds_load_2addr_b64 v[126:129], v120 offset0:46 offset1:47
	v_pk_add_f32 v[62:63], v[62:63], v[130:131] neg_lo:[0,1] neg_hi:[0,1]
	s_wait_dscnt 0x0
	v_pk_mul_f32 v[130:131], v[126:127], v[118:119] op_sel:[0,1]
	s_delay_alu instid0(VALU_DEP_1) | instskip(SKIP_1) | instid1(VALU_DEP_1)
	v_pk_fma_f32 v[132:133], v[126:127], v[116:117], v[130:131] op_sel:[0,0,1] op_sel_hi:[1,1,0] neg_lo:[0,0,1] neg_hi:[0,0,1]
	v_pk_fma_f32 v[126:127], v[126:127], v[116:117], v[130:131] op_sel:[0,0,1] op_sel_hi:[1,0,0]
	v_mov_b32_e32 v133, v127
	v_pk_mul_f32 v[126:127], v[128:129], v[118:119] op_sel:[0,1]
	s_delay_alu instid0(VALU_DEP_2) | instskip(NEXT) | instid1(VALU_DEP_2)
	v_pk_add_f32 v[10:11], v[10:11], v[132:133] neg_lo:[0,1] neg_hi:[0,1]
	v_pk_fma_f32 v[130:131], v[128:129], v[116:117], v[126:127] op_sel:[0,0,1] op_sel_hi:[1,1,0] neg_lo:[0,0,1] neg_hi:[0,0,1]
	v_pk_fma_f32 v[126:127], v[128:129], v[116:117], v[126:127] op_sel:[0,0,1] op_sel_hi:[1,0,0]
	s_delay_alu instid0(VALU_DEP_1) | instskip(SKIP_4) | instid1(VALU_DEP_1)
	v_mov_b32_e32 v131, v127
	ds_load_2addr_b64 v[126:129], v120 offset0:48 offset1:49
	v_pk_add_f32 v[6:7], v[6:7], v[130:131] neg_lo:[0,1] neg_hi:[0,1]
	s_wait_dscnt 0x0
	v_pk_mul_f32 v[130:131], v[126:127], v[118:119] op_sel:[0,1]
	v_pk_fma_f32 v[132:133], v[126:127], v[116:117], v[130:131] op_sel:[0,0,1] op_sel_hi:[1,1,0] neg_lo:[0,0,1] neg_hi:[0,0,1]
	v_pk_fma_f32 v[126:127], v[126:127], v[116:117], v[130:131] op_sel:[0,0,1] op_sel_hi:[1,0,0]
	v_dual_mul_f32 v130, v129, v119 :: v_dual_mov_b32 v126, v129
	s_delay_alu instid0(VALU_DEP_2) | instskip(NEXT) | instid1(VALU_DEP_2)
	v_dual_mov_b32 v133, v127 :: v_dual_mov_b32 v127, v128
	v_pk_fma_f32 v[130:131], v[128:129], v[82:83], v[130:131] op_sel_hi:[1,1,0] neg_lo:[0,0,1] neg_hi:[0,0,1]
	v_mul_f32_e32 v128, v129, v116
	s_delay_alu instid0(VALU_DEP_3) | instskip(NEXT) | instid1(VALU_DEP_2)
	v_pk_add_f32 v[52:53], v[52:53], v[132:133] neg_lo:[0,1] neg_hi:[0,1]
	v_pk_fma_f32 v[126:127], v[126:127], v[82:83], v[128:129] op_sel_hi:[1,1,0]
	s_delay_alu instid0(VALU_DEP_1) | instskip(SKIP_4) | instid1(VALU_DEP_1)
	v_mov_b32_e32 v131, v127
	ds_load_2addr_b64 v[126:129], v120 offset0:50 offset1:51
	v_pk_add_f32 v[50:51], v[50:51], v[130:131] neg_lo:[0,1] neg_hi:[0,1]
	s_wait_dscnt 0x0
	v_pk_mul_f32 v[130:131], v[126:127], v[118:119] op_sel:[0,1]
	v_pk_fma_f32 v[132:133], v[126:127], v[116:117], v[130:131] op_sel:[0,0,1] op_sel_hi:[1,1,0] neg_lo:[0,0,1] neg_hi:[0,0,1]
	v_pk_fma_f32 v[126:127], v[126:127], v[116:117], v[130:131] op_sel:[0,0,1] op_sel_hi:[1,0,0]
	s_delay_alu instid0(VALU_DEP_1) | instskip(SKIP_1) | instid1(VALU_DEP_1)
	v_mov_b32_e32 v133, v127
	v_pk_mul_f32 v[126:127], v[128:129], v[118:119] op_sel:[0,1]
	v_pk_fma_f32 v[130:131], v[128:129], v[116:117], v[126:127] op_sel:[0,0,1] op_sel_hi:[1,1,0] neg_lo:[0,0,1] neg_hi:[0,0,1]
	v_pk_fma_f32 v[126:127], v[128:129], v[116:117], v[126:127] op_sel:[0,0,1] op_sel_hi:[1,0,0]
	s_delay_alu instid0(VALU_DEP_1)
	v_mov_b32_e32 v131, v127
	ds_load_2addr_b64 v[126:129], v120 offset0:52 offset1:53
	v_pk_add_f32 v[8:9], v[8:9], v[132:133] neg_lo:[0,1] neg_hi:[0,1]
	v_pk_add_f32 v[30:31], v[30:31], v[130:131] neg_lo:[0,1] neg_hi:[0,1]
	s_wait_dscnt 0x0
	v_pk_mul_f32 v[130:131], v[126:127], v[118:119] op_sel:[0,1]
	s_delay_alu instid0(VALU_DEP_1) | instskip(SKIP_1) | instid1(VALU_DEP_1)
	v_pk_fma_f32 v[132:133], v[126:127], v[116:117], v[130:131] op_sel:[0,0,1] op_sel_hi:[1,1,0] neg_lo:[0,0,1] neg_hi:[0,0,1]
	v_pk_fma_f32 v[126:127], v[126:127], v[116:117], v[130:131] op_sel:[0,0,1] op_sel_hi:[1,0,0]
	v_mov_b32_e32 v133, v127
	v_pk_mul_f32 v[126:127], v[128:129], v[118:119] op_sel:[0,1]
	s_delay_alu instid0(VALU_DEP_1) | instskip(SKIP_1) | instid1(VALU_DEP_1)
	v_pk_fma_f32 v[130:131], v[128:129], v[116:117], v[126:127] op_sel:[0,0,1] op_sel_hi:[1,1,0] neg_lo:[0,0,1] neg_hi:[0,0,1]
	v_pk_fma_f32 v[126:127], v[128:129], v[116:117], v[126:127] op_sel:[0,0,1] op_sel_hi:[1,0,0]
	v_mov_b32_e32 v131, v127
	ds_load_b64 v[126:127], v120 offset:432
	v_pk_add_f32 v[34:35], v[34:35], v[132:133] neg_lo:[0,1] neg_hi:[0,1]
	v_pk_add_f32 v[24:25], v[24:25], v[130:131] neg_lo:[0,1] neg_hi:[0,1]
	s_wait_dscnt 0x0
	v_pk_mul_f32 v[118:119], v[126:127], v[118:119] op_sel:[0,1]
	s_delay_alu instid0(VALU_DEP_1) | instskip(SKIP_1) | instid1(VALU_DEP_1)
	v_pk_fma_f32 v[128:129], v[126:127], v[116:117], v[118:119] op_sel:[0,0,1] op_sel_hi:[1,1,0] neg_lo:[0,0,1] neg_hi:[0,0,1]
	v_pk_fma_f32 v[116:117], v[126:127], v[116:117], v[118:119] op_sel:[0,0,1] op_sel_hi:[1,0,0]
	v_mov_b32_e32 v129, v117
	s_delay_alu instid0(VALU_DEP_1)
	v_pk_add_f32 v[114:115], v[114:115], v[128:129] neg_lo:[0,1] neg_hi:[0,1]
.LBB108_545:
	s_or_b32 exec_lo, exec_lo, s0
	v_lshl_add_u32 v116, v124, 3, v120
	s_barrier_signal -1
	s_barrier_wait -1
	ds_store_b64 v116, v[36:37]
	s_wait_dscnt 0x0
	s_barrier_signal -1
	s_barrier_wait -1
	ds_load_b64 v[118:119], v120 offset:208
	v_mov_b32_e32 v116, 26
	s_cmp_lt_i32 s18, 28
	s_cbranch_scc1 .LBB108_548
; %bb.546:
	v_add3_u32 v117, v121, 0, 0xd8
	v_mov_b32_e32 v116, 26
	s_mov_b32 s0, 27
.LBB108_547:                            ; =>This Inner Loop Header: Depth=1
	ds_load_b64 v[126:127], v117
	s_wait_dscnt 0x1
	v_cmp_gt_f32_e32 vcc_lo, 0, v118
	v_cndmask_b32_e64 v128, v118, -v118, vcc_lo
	v_cmp_gt_f32_e32 vcc_lo, 0, v119
	v_cndmask_b32_e64 v130, v119, -v119, vcc_lo
	s_wait_dscnt 0x0
	v_cmp_gt_f32_e32 vcc_lo, 0, v126
	v_cndmask_b32_e64 v129, v126, -v126, vcc_lo
	v_cmp_gt_f32_e32 vcc_lo, 0, v127
	v_cndmask_b32_e64 v131, v127, -v127, vcc_lo
	s_delay_alu instid0(VALU_DEP_1) | instskip(NEXT) | instid1(VALU_DEP_1)
	v_pk_add_f32 v[128:129], v[128:129], v[130:131]
	v_cmp_lt_f32_e32 vcc_lo, v128, v129
	v_dual_add_nc_u32 v117, 8, v117 :: v_dual_cndmask_b32 v119, v119, v127, vcc_lo
	v_cndmask_b32_e32 v118, v118, v126, vcc_lo
	v_cndmask_b32_e64 v116, v116, s0, vcc_lo
	s_add_co_i32 s0, s0, 1
	s_delay_alu instid0(SALU_CYCLE_1)
	s_cmp_lg_u32 s18, s0
	s_cbranch_scc1 .LBB108_547
.LBB108_548:
	s_wait_dscnt 0x0
	v_cmp_eq_f32_e32 vcc_lo, 0, v118
	v_cmp_eq_f32_e64 s0, 0, v119
	s_and_b32 s0, vcc_lo, s0
	s_delay_alu instid0(SALU_CYCLE_1) | instskip(NEXT) | instid1(SALU_CYCLE_1)
	s_and_saveexec_b32 s1, s0
	s_xor_b32 s0, exec_lo, s1
; %bb.549:
	v_cmp_ne_u32_e32 vcc_lo, 0, v122
	v_cndmask_b32_e32 v122, 27, v122, vcc_lo
; %bb.550:
	s_and_not1_saveexec_b32 s0, s0
	s_cbranch_execz .LBB108_556
; %bb.551:
	v_cmp_ngt_f32_e64 s1, |v118|, |v119|
	s_and_saveexec_b32 s12, s1
	s_delay_alu instid0(SALU_CYCLE_1)
	s_xor_b32 s1, exec_lo, s12
	s_cbranch_execz .LBB108_553
; %bb.552:
	v_div_scale_f32 v117, null, v119, v119, v118
	v_div_scale_f32 v127, vcc_lo, v118, v119, v118
	s_delay_alu instid0(VALU_DEP_2) | instskip(SKIP_1) | instid1(TRANS32_DEP_1)
	v_rcp_f32_e32 v125, v117
	v_nop
	v_fma_f32 v126, -v117, v125, 1.0
	s_delay_alu instid0(VALU_DEP_1) | instskip(NEXT) | instid1(VALU_DEP_1)
	v_fmac_f32_e32 v125, v126, v125
	v_mul_f32_e32 v126, v127, v125
	s_delay_alu instid0(VALU_DEP_1) | instskip(NEXT) | instid1(VALU_DEP_1)
	v_fma_f32 v128, -v117, v126, v127
	v_fmac_f32_e32 v126, v128, v125
	s_delay_alu instid0(VALU_DEP_1) | instskip(NEXT) | instid1(VALU_DEP_1)
	v_fma_f32 v117, -v117, v126, v127
	v_div_fmas_f32 v117, v117, v125, v126
	s_delay_alu instid0(VALU_DEP_1) | instskip(NEXT) | instid1(VALU_DEP_1)
	v_div_fixup_f32 v117, v117, v119, v118
	v_fmac_f32_e32 v119, v118, v117
	s_delay_alu instid0(VALU_DEP_1) | instskip(SKIP_1) | instid1(VALU_DEP_2)
	v_div_scale_f32 v118, null, v119, v119, 1.0
	v_div_scale_f32 v127, vcc_lo, 1.0, v119, 1.0
	v_rcp_f32_e32 v125, v118
	v_nop
	s_delay_alu instid0(TRANS32_DEP_1) | instskip(NEXT) | instid1(VALU_DEP_1)
	v_fma_f32 v126, -v118, v125, 1.0
	v_fmac_f32_e32 v125, v126, v125
	s_delay_alu instid0(VALU_DEP_1) | instskip(NEXT) | instid1(VALU_DEP_1)
	v_mul_f32_e32 v126, v127, v125
	v_fma_f32 v128, -v118, v126, v127
	s_delay_alu instid0(VALU_DEP_1) | instskip(NEXT) | instid1(VALU_DEP_1)
	v_fmac_f32_e32 v126, v128, v125
	v_fma_f32 v118, -v118, v126, v127
	s_delay_alu instid0(VALU_DEP_1) | instskip(NEXT) | instid1(VALU_DEP_1)
	v_div_fmas_f32 v118, v118, v125, v126
	v_div_fixup_f32 v119, v118, v119, 1.0
	s_delay_alu instid0(VALU_DEP_1)
	v_mul_f32_e32 v118, v117, v119
	v_xor_b32_e32 v119, 0x80000000, v119
.LBB108_553:
	s_and_not1_saveexec_b32 s1, s1
	s_cbranch_execz .LBB108_555
; %bb.554:
	s_delay_alu instid0(VALU_DEP_1) | instskip(SKIP_1) | instid1(VALU_DEP_2)
	v_div_scale_f32 v117, null, v118, v118, v119
	v_div_scale_f32 v127, vcc_lo, v119, v118, v119
	v_rcp_f32_e32 v125, v117
	v_nop
	s_delay_alu instid0(TRANS32_DEP_1) | instskip(NEXT) | instid1(VALU_DEP_1)
	v_fma_f32 v126, -v117, v125, 1.0
	v_fmac_f32_e32 v125, v126, v125
	s_delay_alu instid0(VALU_DEP_1) | instskip(NEXT) | instid1(VALU_DEP_1)
	v_mul_f32_e32 v126, v127, v125
	v_fma_f32 v128, -v117, v126, v127
	s_delay_alu instid0(VALU_DEP_1) | instskip(NEXT) | instid1(VALU_DEP_1)
	v_fmac_f32_e32 v126, v128, v125
	v_fma_f32 v117, -v117, v126, v127
	s_delay_alu instid0(VALU_DEP_1) | instskip(NEXT) | instid1(VALU_DEP_1)
	v_div_fmas_f32 v117, v117, v125, v126
	v_div_fixup_f32 v117, v117, v118, v119
	s_delay_alu instid0(VALU_DEP_1) | instskip(NEXT) | instid1(VALU_DEP_1)
	v_fmac_f32_e32 v118, v119, v117
	v_div_scale_f32 v119, null, v118, v118, 1.0
	s_delay_alu instid0(VALU_DEP_1) | instskip(SKIP_1) | instid1(TRANS32_DEP_1)
	v_rcp_f32_e32 v125, v119
	v_nop
	v_fma_f32 v126, -v119, v125, 1.0
	s_delay_alu instid0(VALU_DEP_1) | instskip(SKIP_1) | instid1(VALU_DEP_1)
	v_fmac_f32_e32 v125, v126, v125
	v_div_scale_f32 v126, vcc_lo, 1.0, v118, 1.0
	v_mul_f32_e32 v127, v126, v125
	s_delay_alu instid0(VALU_DEP_1) | instskip(NEXT) | instid1(VALU_DEP_1)
	v_fma_f32 v128, -v119, v127, v126
	v_fmac_f32_e32 v127, v128, v125
	s_delay_alu instid0(VALU_DEP_1) | instskip(NEXT) | instid1(VALU_DEP_1)
	v_fma_f32 v119, -v119, v127, v126
	v_div_fmas_f32 v119, v119, v125, v127
	s_delay_alu instid0(VALU_DEP_1) | instskip(NEXT) | instid1(VALU_DEP_1)
	v_div_fixup_f32 v118, v119, v118, 1.0
	v_mul_f32_e64 v119, v117, -v118
.LBB108_555:
	s_or_b32 exec_lo, exec_lo, s1
.LBB108_556:
	s_delay_alu instid0(SALU_CYCLE_1) | instskip(NEXT) | instid1(SALU_CYCLE_1)
	s_or_b32 exec_lo, exec_lo, s0
	s_mov_b32 s0, exec_lo
	v_cmpx_ne_u32_e64 v124, v116
	s_xor_b32 s0, exec_lo, s0
	s_cbranch_execz .LBB108_562
; %bb.557:
	s_mov_b32 s1, exec_lo
	v_cmpx_eq_u32_e32 26, v124
	s_cbranch_execz .LBB108_561
; %bb.558:
	v_cmp_ne_u32_e32 vcc_lo, 26, v116
	s_xor_b32 s12, s16, -1
	s_delay_alu instid0(SALU_CYCLE_1) | instskip(NEXT) | instid1(SALU_CYCLE_1)
	s_and_b32 s13, s12, vcc_lo
	s_and_saveexec_b32 s12, s13
	s_cbranch_execz .LBB108_560
; %bb.559:
	v_ashrrev_i32_e32 v117, 31, v116
	s_delay_alu instid0(VALU_DEP_1)
	v_lshl_add_u64 v[124:125], v[116:117], 2, v[4:5]
	s_clause 0x1
	global_load_b32 v117, v[124:125], off
	global_load_b32 v123, v[4:5], off offset:104
	s_wait_loadcnt 0x1
	global_store_b32 v[4:5], v117, off offset:104
	s_wait_loadcnt 0x0
	global_store_b32 v[124:125], v123, off
.LBB108_560:
	s_wait_xcnt 0x0
	s_or_b32 exec_lo, exec_lo, s12
	v_dual_mov_b32 v124, v116 :: v_dual_mov_b32 v123, v116
.LBB108_561:
	s_or_b32 exec_lo, exec_lo, s1
.LBB108_562:
	s_and_not1_saveexec_b32 s0, s0
	s_cbranch_execz .LBB108_564
; %bb.563:
	v_mov_b32_e32 v124, 26
	ds_store_2addr_b64 v120, v[32:33], v[80:81] offset0:27 offset1:28
	ds_store_2addr_b64 v120, v[78:79], v[28:29] offset0:29 offset1:30
	;; [unrolled: 1-line block ×14, first 2 shown]
.LBB108_564:
	s_or_b32 exec_lo, exec_lo, s0
	s_delay_alu instid0(SALU_CYCLE_1)
	s_mov_b32 s0, exec_lo
	s_wait_storecnt_dscnt 0x0
	s_barrier_signal -1
	s_barrier_wait -1
	v_cmpx_lt_i32_e32 26, v124
	s_cbranch_execz .LBB108_566
; %bb.565:
	v_pk_mul_f32 v[126:127], v[118:119], v[36:37] op_sel:[1,1] op_sel_hi:[0,1]
	s_delay_alu instid0(VALU_DEP_1)
	v_pk_fma_f32 v[116:117], v[118:119], v[36:37], v[126:127] op_sel_hi:[1,0,1] neg_lo:[0,0,1] neg_hi:[0,0,1]
	v_pk_fma_f32 v[118:119], v[118:119], v[36:37], v[126:127] op_sel_hi:[1,0,1]
	ds_load_2addr_b64 v[126:129], v120 offset0:27 offset1:28
	v_dual_mov_b32 v36, v116 :: v_dual_mov_b32 v37, v119
	s_wait_dscnt 0x0
	v_pk_mul_f32 v[130:131], v[126:127], v[118:119] op_sel:[0,1]
	s_delay_alu instid0(VALU_DEP_1) | instskip(SKIP_1) | instid1(VALU_DEP_1)
	v_pk_fma_f32 v[132:133], v[126:127], v[116:117], v[130:131] op_sel:[0,0,1] op_sel_hi:[1,1,0] neg_lo:[0,0,1] neg_hi:[0,0,1]
	v_pk_fma_f32 v[126:127], v[126:127], v[116:117], v[130:131] op_sel:[0,0,1] op_sel_hi:[1,0,0]
	v_mov_b32_e32 v133, v127
	v_pk_mul_f32 v[126:127], v[128:129], v[118:119] op_sel:[0,1]
	s_delay_alu instid0(VALU_DEP_1) | instskip(SKIP_1) | instid1(VALU_DEP_1)
	v_pk_fma_f32 v[130:131], v[128:129], v[116:117], v[126:127] op_sel:[0,0,1] op_sel_hi:[1,1,0] neg_lo:[0,0,1] neg_hi:[0,0,1]
	v_pk_fma_f32 v[126:127], v[128:129], v[116:117], v[126:127] op_sel:[0,0,1] op_sel_hi:[1,0,0]
	v_mov_b32_e32 v131, v127
	ds_load_2addr_b64 v[126:129], v120 offset0:29 offset1:30
	v_pk_add_f32 v[32:33], v[32:33], v[132:133] neg_lo:[0,1] neg_hi:[0,1]
	v_pk_add_f32 v[80:81], v[80:81], v[130:131] neg_lo:[0,1] neg_hi:[0,1]
	s_wait_dscnt 0x0
	v_pk_mul_f32 v[130:131], v[126:127], v[118:119] op_sel:[0,1]
	s_delay_alu instid0(VALU_DEP_1) | instskip(SKIP_2) | instid1(VALU_DEP_2)
	v_pk_fma_f32 v[132:133], v[126:127], v[116:117], v[130:131] op_sel:[0,0,1] op_sel_hi:[1,1,0] neg_lo:[0,0,1] neg_hi:[0,0,1]
	v_pk_fma_f32 v[126:127], v[126:127], v[116:117], v[130:131] op_sel:[0,0,1] op_sel_hi:[1,0,0]
	v_dual_mul_f32 v130, v129, v119 :: v_dual_mov_b32 v126, v129
	v_dual_mov_b32 v133, v127 :: v_dual_mov_b32 v127, v128
	s_delay_alu instid0(VALU_DEP_2) | instskip(SKIP_1) | instid1(VALU_DEP_3)
	v_pk_fma_f32 v[130:131], v[128:129], v[36:37], v[130:131] op_sel_hi:[1,1,0] neg_lo:[0,0,1] neg_hi:[0,0,1]
	v_mul_f32_e32 v128, v129, v116
	v_pk_add_f32 v[78:79], v[78:79], v[132:133] neg_lo:[0,1] neg_hi:[0,1]
	s_delay_alu instid0(VALU_DEP_2) | instskip(NEXT) | instid1(VALU_DEP_1)
	v_pk_fma_f32 v[126:127], v[126:127], v[36:37], v[128:129] op_sel_hi:[1,1,0]
	v_mov_b32_e32 v131, v127
	ds_load_2addr_b64 v[126:129], v120 offset0:31 offset1:32
	v_pk_add_f32 v[28:29], v[28:29], v[130:131] neg_lo:[0,1] neg_hi:[0,1]
	s_wait_dscnt 0x0
	v_pk_mul_f32 v[130:131], v[126:127], v[118:119] op_sel:[0,1]
	s_delay_alu instid0(VALU_DEP_1) | instskip(SKIP_1) | instid1(VALU_DEP_1)
	v_pk_fma_f32 v[132:133], v[126:127], v[116:117], v[130:131] op_sel:[0,0,1] op_sel_hi:[1,1,0] neg_lo:[0,0,1] neg_hi:[0,0,1]
	v_pk_fma_f32 v[126:127], v[126:127], v[116:117], v[130:131] op_sel:[0,0,1] op_sel_hi:[1,0,0]
	v_mov_b32_e32 v133, v127
	v_pk_mul_f32 v[126:127], v[128:129], v[118:119] op_sel:[0,1]
	s_delay_alu instid0(VALU_DEP_1) | instskip(SKIP_1) | instid1(VALU_DEP_1)
	v_pk_fma_f32 v[130:131], v[128:129], v[116:117], v[126:127] op_sel:[0,0,1] op_sel_hi:[1,1,0] neg_lo:[0,0,1] neg_hi:[0,0,1]
	v_pk_fma_f32 v[126:127], v[128:129], v[116:117], v[126:127] op_sel:[0,0,1] op_sel_hi:[1,0,0]
	v_mov_b32_e32 v131, v127
	ds_load_2addr_b64 v[126:129], v120 offset0:33 offset1:34
	v_pk_add_f32 v[26:27], v[26:27], v[132:133] neg_lo:[0,1] neg_hi:[0,1]
	v_pk_add_f32 v[76:77], v[76:77], v[130:131] neg_lo:[0,1] neg_hi:[0,1]
	s_wait_dscnt 0x0
	v_pk_mul_f32 v[130:131], v[126:127], v[118:119] op_sel:[0,1]
	s_delay_alu instid0(VALU_DEP_1) | instskip(SKIP_1) | instid1(VALU_DEP_1)
	v_pk_fma_f32 v[132:133], v[126:127], v[116:117], v[130:131] op_sel:[0,0,1] op_sel_hi:[1,1,0] neg_lo:[0,0,1] neg_hi:[0,0,1]
	v_pk_fma_f32 v[126:127], v[126:127], v[116:117], v[130:131] op_sel:[0,0,1] op_sel_hi:[1,0,0]
	v_mov_b32_e32 v133, v127
	v_pk_mul_f32 v[126:127], v[128:129], v[118:119] op_sel:[0,1]
	s_delay_alu instid0(VALU_DEP_1) | instskip(SKIP_1) | instid1(VALU_DEP_1)
	v_pk_fma_f32 v[130:131], v[128:129], v[116:117], v[126:127] op_sel:[0,0,1] op_sel_hi:[1,1,0] neg_lo:[0,0,1] neg_hi:[0,0,1]
	v_pk_fma_f32 v[126:127], v[128:129], v[116:117], v[126:127] op_sel:[0,0,1] op_sel_hi:[1,0,0]
	v_mov_b32_e32 v131, v127
	ds_load_2addr_b64 v[126:129], v120 offset0:35 offset1:36
	v_pk_add_f32 v[74:75], v[74:75], v[132:133] neg_lo:[0,1] neg_hi:[0,1]
	v_pk_add_f32 v[22:23], v[22:23], v[130:131] neg_lo:[0,1] neg_hi:[0,1]
	s_wait_dscnt 0x0
	v_dual_mul_f32 v130, v127, v119 :: v_dual_mul_f32 v132, v127, v116
	s_delay_alu instid0(VALU_DEP_1) | instskip(NEXT) | instid1(VALU_DEP_2)
	v_pk_fma_f32 v[130:131], v[126:127], v[36:37], v[130:131] op_sel_hi:[1,1,0] neg_lo:[0,0,1] neg_hi:[0,0,1]
	v_pk_fma_f32 v[126:127], v[126:127], v[36:37], v[132:133] op_sel:[1,0,0] op_sel_hi:[0,1,0]
	s_delay_alu instid0(VALU_DEP_1) | instskip(SKIP_1) | instid1(VALU_DEP_2)
	v_mov_b32_e32 v131, v127
	v_pk_mul_f32 v[126:127], v[128:129], v[118:119] op_sel:[0,1]
	v_pk_add_f32 v[20:21], v[20:21], v[130:131] neg_lo:[0,1] neg_hi:[0,1]
	s_delay_alu instid0(VALU_DEP_2) | instskip(SKIP_1) | instid1(VALU_DEP_1)
	v_pk_fma_f32 v[130:131], v[128:129], v[116:117], v[126:127] op_sel:[0,0,1] op_sel_hi:[1,1,0] neg_lo:[0,0,1] neg_hi:[0,0,1]
	v_pk_fma_f32 v[126:127], v[128:129], v[116:117], v[126:127] op_sel:[0,0,1] op_sel_hi:[1,0,0]
	v_mov_b32_e32 v131, v127
	ds_load_2addr_b64 v[126:129], v120 offset0:37 offset1:38
	v_pk_add_f32 v[72:73], v[72:73], v[130:131] neg_lo:[0,1] neg_hi:[0,1]
	s_wait_dscnt 0x0
	v_pk_mul_f32 v[130:131], v[126:127], v[118:119] op_sel:[0,1]
	s_delay_alu instid0(VALU_DEP_1) | instskip(SKIP_1) | instid1(VALU_DEP_1)
	v_pk_fma_f32 v[132:133], v[126:127], v[116:117], v[130:131] op_sel:[0,0,1] op_sel_hi:[1,1,0] neg_lo:[0,0,1] neg_hi:[0,0,1]
	v_pk_fma_f32 v[126:127], v[126:127], v[116:117], v[130:131] op_sel:[0,0,1] op_sel_hi:[1,0,0]
	v_mov_b32_e32 v133, v127
	v_pk_mul_f32 v[126:127], v[128:129], v[118:119] op_sel:[0,1]
	s_delay_alu instid0(VALU_DEP_2) | instskip(NEXT) | instid1(VALU_DEP_2)
	v_pk_add_f32 v[70:71], v[70:71], v[132:133] neg_lo:[0,1] neg_hi:[0,1]
	v_pk_fma_f32 v[130:131], v[128:129], v[116:117], v[126:127] op_sel:[0,0,1] op_sel_hi:[1,1,0] neg_lo:[0,0,1] neg_hi:[0,0,1]
	v_pk_fma_f32 v[126:127], v[128:129], v[116:117], v[126:127] op_sel:[0,0,1] op_sel_hi:[1,0,0]
	s_delay_alu instid0(VALU_DEP_1) | instskip(SKIP_4) | instid1(VALU_DEP_1)
	v_mov_b32_e32 v131, v127
	ds_load_2addr_b64 v[126:129], v120 offset0:39 offset1:40
	v_pk_add_f32 v[18:19], v[18:19], v[130:131] neg_lo:[0,1] neg_hi:[0,1]
	s_wait_dscnt 0x0
	v_pk_mul_f32 v[130:131], v[126:127], v[118:119] op_sel:[0,1]
	v_pk_fma_f32 v[132:133], v[126:127], v[116:117], v[130:131] op_sel:[0,0,1] op_sel_hi:[1,1,0] neg_lo:[0,0,1] neg_hi:[0,0,1]
	v_pk_fma_f32 v[126:127], v[126:127], v[116:117], v[130:131] op_sel:[0,0,1] op_sel_hi:[1,0,0]
	v_dual_mul_f32 v130, v129, v119 :: v_dual_mov_b32 v126, v129
	s_delay_alu instid0(VALU_DEP_2) | instskip(NEXT) | instid1(VALU_DEP_2)
	v_dual_mov_b32 v133, v127 :: v_dual_mov_b32 v127, v128
	v_pk_fma_f32 v[130:131], v[128:129], v[36:37], v[130:131] op_sel_hi:[1,1,0] neg_lo:[0,0,1] neg_hi:[0,0,1]
	v_mul_f32_e32 v128, v129, v116
	s_delay_alu instid0(VALU_DEP_3) | instskip(NEXT) | instid1(VALU_DEP_2)
	v_pk_add_f32 v[16:17], v[16:17], v[132:133] neg_lo:[0,1] neg_hi:[0,1]
	v_pk_fma_f32 v[126:127], v[126:127], v[36:37], v[128:129] op_sel_hi:[1,1,0]
	s_delay_alu instid0(VALU_DEP_1) | instskip(SKIP_4) | instid1(VALU_DEP_1)
	v_mov_b32_e32 v131, v127
	ds_load_2addr_b64 v[126:129], v120 offset0:41 offset1:42
	v_pk_add_f32 v[68:69], v[68:69], v[130:131] neg_lo:[0,1] neg_hi:[0,1]
	s_wait_dscnt 0x0
	v_pk_mul_f32 v[130:131], v[126:127], v[118:119] op_sel:[0,1]
	v_pk_fma_f32 v[132:133], v[126:127], v[116:117], v[130:131] op_sel:[0,0,1] op_sel_hi:[1,1,0] neg_lo:[0,0,1] neg_hi:[0,0,1]
	v_pk_fma_f32 v[126:127], v[126:127], v[116:117], v[130:131] op_sel:[0,0,1] op_sel_hi:[1,0,0]
	s_delay_alu instid0(VALU_DEP_1) | instskip(SKIP_1) | instid1(VALU_DEP_1)
	v_mov_b32_e32 v133, v127
	v_pk_mul_f32 v[126:127], v[128:129], v[118:119] op_sel:[0,1]
	v_pk_fma_f32 v[130:131], v[128:129], v[116:117], v[126:127] op_sel:[0,0,1] op_sel_hi:[1,1,0] neg_lo:[0,0,1] neg_hi:[0,0,1]
	v_pk_fma_f32 v[126:127], v[128:129], v[116:117], v[126:127] op_sel:[0,0,1] op_sel_hi:[1,0,0]
	s_delay_alu instid0(VALU_DEP_1)
	v_mov_b32_e32 v131, v127
	ds_load_2addr_b64 v[126:129], v120 offset0:43 offset1:44
	v_pk_add_f32 v[66:67], v[66:67], v[132:133] neg_lo:[0,1] neg_hi:[0,1]
	v_pk_add_f32 v[14:15], v[14:15], v[130:131] neg_lo:[0,1] neg_hi:[0,1]
	s_wait_dscnt 0x0
	v_pk_mul_f32 v[130:131], v[126:127], v[118:119] op_sel:[0,1]
	s_delay_alu instid0(VALU_DEP_1) | instskip(SKIP_1) | instid1(VALU_DEP_1)
	v_pk_fma_f32 v[132:133], v[126:127], v[116:117], v[130:131] op_sel:[0,0,1] op_sel_hi:[1,1,0] neg_lo:[0,0,1] neg_hi:[0,0,1]
	v_pk_fma_f32 v[126:127], v[126:127], v[116:117], v[130:131] op_sel:[0,0,1] op_sel_hi:[1,0,0]
	v_mov_b32_e32 v133, v127
	v_pk_mul_f32 v[126:127], v[128:129], v[118:119] op_sel:[0,1]
	s_delay_alu instid0(VALU_DEP_1) | instskip(SKIP_1) | instid1(VALU_DEP_1)
	v_pk_fma_f32 v[130:131], v[128:129], v[116:117], v[126:127] op_sel:[0,0,1] op_sel_hi:[1,1,0] neg_lo:[0,0,1] neg_hi:[0,0,1]
	v_pk_fma_f32 v[126:127], v[128:129], v[116:117], v[126:127] op_sel:[0,0,1] op_sel_hi:[1,0,0]
	v_mov_b32_e32 v131, v127
	ds_load_2addr_b64 v[126:129], v120 offset0:45 offset1:46
	v_pk_add_f32 v[12:13], v[12:13], v[132:133] neg_lo:[0,1] neg_hi:[0,1]
	v_pk_add_f32 v[64:65], v[64:65], v[130:131] neg_lo:[0,1] neg_hi:[0,1]
	s_wait_dscnt 0x0
	v_dual_mul_f32 v130, v127, v119 :: v_dual_mul_f32 v132, v127, v116
	s_delay_alu instid0(VALU_DEP_1) | instskip(NEXT) | instid1(VALU_DEP_2)
	v_pk_fma_f32 v[130:131], v[126:127], v[36:37], v[130:131] op_sel_hi:[1,1,0] neg_lo:[0,0,1] neg_hi:[0,0,1]
	v_pk_fma_f32 v[126:127], v[126:127], v[36:37], v[132:133] op_sel:[1,0,0] op_sel_hi:[0,1,0]
	s_delay_alu instid0(VALU_DEP_1) | instskip(SKIP_1) | instid1(VALU_DEP_2)
	v_mov_b32_e32 v131, v127
	v_pk_mul_f32 v[126:127], v[128:129], v[118:119] op_sel:[0,1]
	v_pk_add_f32 v[62:63], v[62:63], v[130:131] neg_lo:[0,1] neg_hi:[0,1]
	s_delay_alu instid0(VALU_DEP_2) | instskip(SKIP_1) | instid1(VALU_DEP_1)
	v_pk_fma_f32 v[130:131], v[128:129], v[116:117], v[126:127] op_sel:[0,0,1] op_sel_hi:[1,1,0] neg_lo:[0,0,1] neg_hi:[0,0,1]
	v_pk_fma_f32 v[126:127], v[128:129], v[116:117], v[126:127] op_sel:[0,0,1] op_sel_hi:[1,0,0]
	v_mov_b32_e32 v131, v127
	ds_load_2addr_b64 v[126:129], v120 offset0:47 offset1:48
	v_pk_add_f32 v[10:11], v[10:11], v[130:131] neg_lo:[0,1] neg_hi:[0,1]
	s_wait_dscnt 0x0
	v_pk_mul_f32 v[130:131], v[126:127], v[118:119] op_sel:[0,1]
	s_delay_alu instid0(VALU_DEP_1) | instskip(SKIP_1) | instid1(VALU_DEP_1)
	v_pk_fma_f32 v[132:133], v[126:127], v[116:117], v[130:131] op_sel:[0,0,1] op_sel_hi:[1,1,0] neg_lo:[0,0,1] neg_hi:[0,0,1]
	v_pk_fma_f32 v[126:127], v[126:127], v[116:117], v[130:131] op_sel:[0,0,1] op_sel_hi:[1,0,0]
	v_mov_b32_e32 v133, v127
	v_pk_mul_f32 v[126:127], v[128:129], v[118:119] op_sel:[0,1]
	s_delay_alu instid0(VALU_DEP_2) | instskip(NEXT) | instid1(VALU_DEP_2)
	v_pk_add_f32 v[6:7], v[6:7], v[132:133] neg_lo:[0,1] neg_hi:[0,1]
	v_pk_fma_f32 v[130:131], v[128:129], v[116:117], v[126:127] op_sel:[0,0,1] op_sel_hi:[1,1,0] neg_lo:[0,0,1] neg_hi:[0,0,1]
	v_pk_fma_f32 v[126:127], v[128:129], v[116:117], v[126:127] op_sel:[0,0,1] op_sel_hi:[1,0,0]
	s_delay_alu instid0(VALU_DEP_1) | instskip(SKIP_4) | instid1(VALU_DEP_1)
	v_mov_b32_e32 v131, v127
	ds_load_2addr_b64 v[126:129], v120 offset0:49 offset1:50
	v_pk_add_f32 v[52:53], v[52:53], v[130:131] neg_lo:[0,1] neg_hi:[0,1]
	s_wait_dscnt 0x0
	v_pk_mul_f32 v[130:131], v[126:127], v[118:119] op_sel:[0,1]
	v_pk_fma_f32 v[132:133], v[126:127], v[116:117], v[130:131] op_sel:[0,0,1] op_sel_hi:[1,1,0] neg_lo:[0,0,1] neg_hi:[0,0,1]
	v_pk_fma_f32 v[126:127], v[126:127], v[116:117], v[130:131] op_sel:[0,0,1] op_sel_hi:[1,0,0]
	v_dual_mul_f32 v130, v129, v119 :: v_dual_mov_b32 v126, v129
	s_delay_alu instid0(VALU_DEP_2) | instskip(NEXT) | instid1(VALU_DEP_2)
	v_dual_mov_b32 v133, v127 :: v_dual_mov_b32 v127, v128
	v_pk_fma_f32 v[130:131], v[128:129], v[36:37], v[130:131] op_sel_hi:[1,1,0] neg_lo:[0,0,1] neg_hi:[0,0,1]
	v_mul_f32_e32 v128, v129, v116
	s_delay_alu instid0(VALU_DEP_3) | instskip(NEXT) | instid1(VALU_DEP_2)
	v_pk_add_f32 v[50:51], v[50:51], v[132:133] neg_lo:[0,1] neg_hi:[0,1]
	v_pk_fma_f32 v[126:127], v[126:127], v[36:37], v[128:129] op_sel_hi:[1,1,0]
	s_delay_alu instid0(VALU_DEP_1) | instskip(SKIP_4) | instid1(VALU_DEP_1)
	v_mov_b32_e32 v131, v127
	ds_load_2addr_b64 v[126:129], v120 offset0:51 offset1:52
	v_pk_add_f32 v[8:9], v[8:9], v[130:131] neg_lo:[0,1] neg_hi:[0,1]
	s_wait_dscnt 0x0
	v_pk_mul_f32 v[130:131], v[126:127], v[118:119] op_sel:[0,1]
	v_pk_fma_f32 v[132:133], v[126:127], v[116:117], v[130:131] op_sel:[0,0,1] op_sel_hi:[1,1,0] neg_lo:[0,0,1] neg_hi:[0,0,1]
	v_pk_fma_f32 v[126:127], v[126:127], v[116:117], v[130:131] op_sel:[0,0,1] op_sel_hi:[1,0,0]
	s_delay_alu instid0(VALU_DEP_1) | instskip(SKIP_1) | instid1(VALU_DEP_1)
	v_mov_b32_e32 v133, v127
	v_pk_mul_f32 v[126:127], v[128:129], v[118:119] op_sel:[0,1]
	v_pk_fma_f32 v[130:131], v[128:129], v[116:117], v[126:127] op_sel:[0,0,1] op_sel_hi:[1,1,0] neg_lo:[0,0,1] neg_hi:[0,0,1]
	v_pk_fma_f32 v[126:127], v[128:129], v[116:117], v[126:127] op_sel:[0,0,1] op_sel_hi:[1,0,0]
	s_delay_alu instid0(VALU_DEP_1)
	v_mov_b32_e32 v131, v127
	ds_load_2addr_b64 v[126:129], v120 offset0:53 offset1:54
	v_pk_add_f32 v[30:31], v[30:31], v[132:133] neg_lo:[0,1] neg_hi:[0,1]
	v_pk_add_f32 v[34:35], v[34:35], v[130:131] neg_lo:[0,1] neg_hi:[0,1]
	s_wait_dscnt 0x0
	v_pk_mul_f32 v[130:131], v[126:127], v[118:119] op_sel:[0,1]
	v_pk_mul_f32 v[118:119], v[128:129], v[118:119] op_sel:[0,1]
	s_delay_alu instid0(VALU_DEP_2) | instskip(SKIP_1) | instid1(VALU_DEP_1)
	v_pk_fma_f32 v[132:133], v[126:127], v[116:117], v[130:131] op_sel:[0,0,1] op_sel_hi:[1,1,0] neg_lo:[0,0,1] neg_hi:[0,0,1]
	v_pk_fma_f32 v[126:127], v[126:127], v[116:117], v[130:131] op_sel:[0,0,1] op_sel_hi:[1,0,0]
	v_mov_b32_e32 v133, v127
	s_delay_alu instid0(VALU_DEP_4) | instskip(SKIP_1) | instid1(VALU_DEP_1)
	v_pk_fma_f32 v[126:127], v[128:129], v[116:117], v[118:119] op_sel:[0,0,1] op_sel_hi:[1,1,0] neg_lo:[0,0,1] neg_hi:[0,0,1]
	v_pk_fma_f32 v[116:117], v[128:129], v[116:117], v[118:119] op_sel:[0,0,1] op_sel_hi:[1,0,0]
	v_mov_b32_e32 v127, v117
	s_delay_alu instid0(VALU_DEP_4) | instskip(NEXT) | instid1(VALU_DEP_2)
	v_pk_add_f32 v[24:25], v[24:25], v[132:133] neg_lo:[0,1] neg_hi:[0,1]
	v_pk_add_f32 v[114:115], v[114:115], v[126:127] neg_lo:[0,1] neg_hi:[0,1]
.LBB108_566:
	s_or_b32 exec_lo, exec_lo, s0
	v_lshl_add_u32 v116, v124, 3, v120
	s_barrier_signal -1
	s_barrier_wait -1
	ds_store_b64 v116, v[32:33]
	s_wait_dscnt 0x0
	s_barrier_signal -1
	s_barrier_wait -1
	ds_load_b64 v[118:119], v120 offset:216
	v_mov_b32_e32 v116, 27
	s_cmp_lt_i32 s18, 29
	s_cbranch_scc1 .LBB108_569
; %bb.567:
	v_add3_u32 v117, v121, 0, 0xe0
	v_mov_b32_e32 v116, 27
	s_mov_b32 s0, 28
.LBB108_568:                            ; =>This Inner Loop Header: Depth=1
	ds_load_b64 v[126:127], v117
	s_wait_dscnt 0x1
	v_cmp_gt_f32_e32 vcc_lo, 0, v118
	v_cndmask_b32_e64 v128, v118, -v118, vcc_lo
	v_cmp_gt_f32_e32 vcc_lo, 0, v119
	v_cndmask_b32_e64 v130, v119, -v119, vcc_lo
	s_wait_dscnt 0x0
	v_cmp_gt_f32_e32 vcc_lo, 0, v126
	v_cndmask_b32_e64 v129, v126, -v126, vcc_lo
	v_cmp_gt_f32_e32 vcc_lo, 0, v127
	v_cndmask_b32_e64 v131, v127, -v127, vcc_lo
	s_delay_alu instid0(VALU_DEP_1) | instskip(NEXT) | instid1(VALU_DEP_1)
	v_pk_add_f32 v[128:129], v[128:129], v[130:131]
	v_cmp_lt_f32_e32 vcc_lo, v128, v129
	v_dual_add_nc_u32 v117, 8, v117 :: v_dual_cndmask_b32 v119, v119, v127, vcc_lo
	v_cndmask_b32_e32 v118, v118, v126, vcc_lo
	v_cndmask_b32_e64 v116, v116, s0, vcc_lo
	s_add_co_i32 s0, s0, 1
	s_delay_alu instid0(SALU_CYCLE_1)
	s_cmp_lg_u32 s18, s0
	s_cbranch_scc1 .LBB108_568
.LBB108_569:
	s_wait_dscnt 0x0
	v_cmp_eq_f32_e32 vcc_lo, 0, v118
	v_cmp_eq_f32_e64 s0, 0, v119
	s_and_b32 s0, vcc_lo, s0
	s_delay_alu instid0(SALU_CYCLE_1) | instskip(NEXT) | instid1(SALU_CYCLE_1)
	s_and_saveexec_b32 s1, s0
	s_xor_b32 s0, exec_lo, s1
; %bb.570:
	v_cmp_ne_u32_e32 vcc_lo, 0, v122
	v_cndmask_b32_e32 v122, 28, v122, vcc_lo
; %bb.571:
	s_and_not1_saveexec_b32 s0, s0
	s_cbranch_execz .LBB108_577
; %bb.572:
	v_cmp_ngt_f32_e64 s1, |v118|, |v119|
	s_and_saveexec_b32 s12, s1
	s_delay_alu instid0(SALU_CYCLE_1)
	s_xor_b32 s1, exec_lo, s12
	s_cbranch_execz .LBB108_574
; %bb.573:
	v_div_scale_f32 v117, null, v119, v119, v118
	v_div_scale_f32 v127, vcc_lo, v118, v119, v118
	s_delay_alu instid0(VALU_DEP_2) | instskip(SKIP_1) | instid1(TRANS32_DEP_1)
	v_rcp_f32_e32 v125, v117
	v_nop
	v_fma_f32 v126, -v117, v125, 1.0
	s_delay_alu instid0(VALU_DEP_1) | instskip(NEXT) | instid1(VALU_DEP_1)
	v_fmac_f32_e32 v125, v126, v125
	v_mul_f32_e32 v126, v127, v125
	s_delay_alu instid0(VALU_DEP_1) | instskip(NEXT) | instid1(VALU_DEP_1)
	v_fma_f32 v128, -v117, v126, v127
	v_fmac_f32_e32 v126, v128, v125
	s_delay_alu instid0(VALU_DEP_1) | instskip(NEXT) | instid1(VALU_DEP_1)
	v_fma_f32 v117, -v117, v126, v127
	v_div_fmas_f32 v117, v117, v125, v126
	s_delay_alu instid0(VALU_DEP_1) | instskip(NEXT) | instid1(VALU_DEP_1)
	v_div_fixup_f32 v117, v117, v119, v118
	v_fmac_f32_e32 v119, v118, v117
	s_delay_alu instid0(VALU_DEP_1) | instskip(SKIP_1) | instid1(VALU_DEP_2)
	v_div_scale_f32 v118, null, v119, v119, 1.0
	v_div_scale_f32 v127, vcc_lo, 1.0, v119, 1.0
	v_rcp_f32_e32 v125, v118
	v_nop
	s_delay_alu instid0(TRANS32_DEP_1) | instskip(NEXT) | instid1(VALU_DEP_1)
	v_fma_f32 v126, -v118, v125, 1.0
	v_fmac_f32_e32 v125, v126, v125
	s_delay_alu instid0(VALU_DEP_1) | instskip(NEXT) | instid1(VALU_DEP_1)
	v_mul_f32_e32 v126, v127, v125
	v_fma_f32 v128, -v118, v126, v127
	s_delay_alu instid0(VALU_DEP_1) | instskip(NEXT) | instid1(VALU_DEP_1)
	v_fmac_f32_e32 v126, v128, v125
	v_fma_f32 v118, -v118, v126, v127
	s_delay_alu instid0(VALU_DEP_1) | instskip(NEXT) | instid1(VALU_DEP_1)
	v_div_fmas_f32 v118, v118, v125, v126
	v_div_fixup_f32 v119, v118, v119, 1.0
	s_delay_alu instid0(VALU_DEP_1)
	v_mul_f32_e32 v118, v117, v119
	v_xor_b32_e32 v119, 0x80000000, v119
.LBB108_574:
	s_and_not1_saveexec_b32 s1, s1
	s_cbranch_execz .LBB108_576
; %bb.575:
	s_delay_alu instid0(VALU_DEP_1) | instskip(SKIP_1) | instid1(VALU_DEP_2)
	v_div_scale_f32 v117, null, v118, v118, v119
	v_div_scale_f32 v127, vcc_lo, v119, v118, v119
	v_rcp_f32_e32 v125, v117
	v_nop
	s_delay_alu instid0(TRANS32_DEP_1) | instskip(NEXT) | instid1(VALU_DEP_1)
	v_fma_f32 v126, -v117, v125, 1.0
	v_fmac_f32_e32 v125, v126, v125
	s_delay_alu instid0(VALU_DEP_1) | instskip(NEXT) | instid1(VALU_DEP_1)
	v_mul_f32_e32 v126, v127, v125
	v_fma_f32 v128, -v117, v126, v127
	s_delay_alu instid0(VALU_DEP_1) | instskip(NEXT) | instid1(VALU_DEP_1)
	v_fmac_f32_e32 v126, v128, v125
	v_fma_f32 v117, -v117, v126, v127
	s_delay_alu instid0(VALU_DEP_1) | instskip(NEXT) | instid1(VALU_DEP_1)
	v_div_fmas_f32 v117, v117, v125, v126
	v_div_fixup_f32 v117, v117, v118, v119
	s_delay_alu instid0(VALU_DEP_1) | instskip(NEXT) | instid1(VALU_DEP_1)
	v_fmac_f32_e32 v118, v119, v117
	v_div_scale_f32 v119, null, v118, v118, 1.0
	s_delay_alu instid0(VALU_DEP_1) | instskip(SKIP_1) | instid1(TRANS32_DEP_1)
	v_rcp_f32_e32 v125, v119
	v_nop
	v_fma_f32 v126, -v119, v125, 1.0
	s_delay_alu instid0(VALU_DEP_1) | instskip(SKIP_1) | instid1(VALU_DEP_1)
	v_fmac_f32_e32 v125, v126, v125
	v_div_scale_f32 v126, vcc_lo, 1.0, v118, 1.0
	v_mul_f32_e32 v127, v126, v125
	s_delay_alu instid0(VALU_DEP_1) | instskip(NEXT) | instid1(VALU_DEP_1)
	v_fma_f32 v128, -v119, v127, v126
	v_fmac_f32_e32 v127, v128, v125
	s_delay_alu instid0(VALU_DEP_1) | instskip(NEXT) | instid1(VALU_DEP_1)
	v_fma_f32 v119, -v119, v127, v126
	v_div_fmas_f32 v119, v119, v125, v127
	s_delay_alu instid0(VALU_DEP_1) | instskip(NEXT) | instid1(VALU_DEP_1)
	v_div_fixup_f32 v118, v119, v118, 1.0
	v_mul_f32_e64 v119, v117, -v118
.LBB108_576:
	s_or_b32 exec_lo, exec_lo, s1
.LBB108_577:
	s_delay_alu instid0(SALU_CYCLE_1) | instskip(NEXT) | instid1(SALU_CYCLE_1)
	s_or_b32 exec_lo, exec_lo, s0
	s_mov_b32 s0, exec_lo
	v_cmpx_ne_u32_e64 v124, v116
	s_xor_b32 s0, exec_lo, s0
	s_cbranch_execz .LBB108_583
; %bb.578:
	s_mov_b32 s1, exec_lo
	v_cmpx_eq_u32_e32 27, v124
	s_cbranch_execz .LBB108_582
; %bb.579:
	v_cmp_ne_u32_e32 vcc_lo, 27, v116
	s_xor_b32 s12, s16, -1
	s_delay_alu instid0(SALU_CYCLE_1) | instskip(NEXT) | instid1(SALU_CYCLE_1)
	s_and_b32 s13, s12, vcc_lo
	s_and_saveexec_b32 s12, s13
	s_cbranch_execz .LBB108_581
; %bb.580:
	v_ashrrev_i32_e32 v117, 31, v116
	s_delay_alu instid0(VALU_DEP_1)
	v_lshl_add_u64 v[124:125], v[116:117], 2, v[4:5]
	s_clause 0x1
	global_load_b32 v117, v[124:125], off
	global_load_b32 v123, v[4:5], off offset:108
	s_wait_loadcnt 0x1
	global_store_b32 v[4:5], v117, off offset:108
	s_wait_loadcnt 0x0
	global_store_b32 v[124:125], v123, off
.LBB108_581:
	s_wait_xcnt 0x0
	s_or_b32 exec_lo, exec_lo, s12
	v_dual_mov_b32 v124, v116 :: v_dual_mov_b32 v123, v116
.LBB108_582:
	s_or_b32 exec_lo, exec_lo, s1
.LBB108_583:
	s_and_not1_saveexec_b32 s0, s0
	s_cbranch_execz .LBB108_585
; %bb.584:
	v_dual_mov_b32 v116, v80 :: v_dual_mov_b32 v117, v81
	v_dual_mov_b32 v124, v78 :: v_dual_mov_b32 v125, v79
	ds_store_2addr_b64 v120, v[116:117], v[124:125] offset0:28 offset1:29
	v_dual_mov_b32 v116, v28 :: v_dual_mov_b32 v117, v29
	v_dual_mov_b32 v124, v26 :: v_dual_mov_b32 v125, v27
	ds_store_2addr_b64 v120, v[116:117], v[124:125] offset0:30 offset1:31
	;; [unrolled: 3-line block ×13, first 2 shown]
	ds_store_b64 v120, v[114:115] offset:432
	v_mov_b32_e32 v124, 27
.LBB108_585:
	s_or_b32 exec_lo, exec_lo, s0
	s_delay_alu instid0(SALU_CYCLE_1)
	s_mov_b32 s0, exec_lo
	s_wait_storecnt_dscnt 0x0
	s_barrier_signal -1
	s_barrier_wait -1
	v_cmpx_lt_i32_e32 27, v124
	s_cbranch_execz .LBB108_587
; %bb.586:
	v_pk_mul_f32 v[126:127], v[118:119], v[32:33] op_sel:[1,1] op_sel_hi:[0,1]
	s_delay_alu instid0(VALU_DEP_1)
	v_pk_fma_f32 v[116:117], v[118:119], v[32:33], v[126:127] op_sel_hi:[1,0,1] neg_lo:[0,0,1] neg_hi:[0,0,1]
	v_pk_fma_f32 v[118:119], v[118:119], v[32:33], v[126:127] op_sel_hi:[1,0,1]
	ds_load_2addr_b64 v[126:129], v120 offset0:28 offset1:29
	v_dual_mov_b32 v32, v116 :: v_dual_mov_b32 v33, v119
	s_wait_dscnt 0x0
	v_pk_mul_f32 v[130:131], v[126:127], v[118:119] op_sel:[0,1]
	s_delay_alu instid0(VALU_DEP_1) | instskip(SKIP_1) | instid1(VALU_DEP_1)
	v_pk_fma_f32 v[132:133], v[126:127], v[116:117], v[130:131] op_sel:[0,0,1] op_sel_hi:[1,1,0] neg_lo:[0,0,1] neg_hi:[0,0,1]
	v_pk_fma_f32 v[126:127], v[126:127], v[116:117], v[130:131] op_sel:[0,0,1] op_sel_hi:[1,0,0]
	v_mov_b32_e32 v133, v127
	v_pk_mul_f32 v[126:127], v[128:129], v[118:119] op_sel:[0,1]
	s_delay_alu instid0(VALU_DEP_1) | instskip(SKIP_1) | instid1(VALU_DEP_1)
	v_pk_fma_f32 v[130:131], v[128:129], v[116:117], v[126:127] op_sel:[0,0,1] op_sel_hi:[1,1,0] neg_lo:[0,0,1] neg_hi:[0,0,1]
	v_pk_fma_f32 v[126:127], v[128:129], v[116:117], v[126:127] op_sel:[0,0,1] op_sel_hi:[1,0,0]
	v_mov_b32_e32 v131, v127
	ds_load_2addr_b64 v[126:129], v120 offset0:30 offset1:31
	v_pk_add_f32 v[80:81], v[80:81], v[132:133] neg_lo:[0,1] neg_hi:[0,1]
	v_pk_add_f32 v[78:79], v[78:79], v[130:131] neg_lo:[0,1] neg_hi:[0,1]
	s_wait_dscnt 0x0
	v_pk_mul_f32 v[130:131], v[126:127], v[118:119] op_sel:[0,1]
	s_delay_alu instid0(VALU_DEP_1) | instskip(SKIP_2) | instid1(VALU_DEP_2)
	v_pk_fma_f32 v[132:133], v[126:127], v[116:117], v[130:131] op_sel:[0,0,1] op_sel_hi:[1,1,0] neg_lo:[0,0,1] neg_hi:[0,0,1]
	v_pk_fma_f32 v[126:127], v[126:127], v[116:117], v[130:131] op_sel:[0,0,1] op_sel_hi:[1,0,0]
	v_dual_mul_f32 v130, v129, v119 :: v_dual_mov_b32 v126, v129
	v_dual_mov_b32 v133, v127 :: v_dual_mov_b32 v127, v128
	s_delay_alu instid0(VALU_DEP_2) | instskip(SKIP_1) | instid1(VALU_DEP_3)
	v_pk_fma_f32 v[130:131], v[128:129], v[32:33], v[130:131] op_sel_hi:[1,1,0] neg_lo:[0,0,1] neg_hi:[0,0,1]
	v_mul_f32_e32 v128, v129, v116
	v_pk_add_f32 v[28:29], v[28:29], v[132:133] neg_lo:[0,1] neg_hi:[0,1]
	s_delay_alu instid0(VALU_DEP_2) | instskip(NEXT) | instid1(VALU_DEP_1)
	v_pk_fma_f32 v[126:127], v[126:127], v[32:33], v[128:129] op_sel_hi:[1,1,0]
	v_mov_b32_e32 v131, v127
	ds_load_2addr_b64 v[126:129], v120 offset0:32 offset1:33
	v_pk_add_f32 v[26:27], v[26:27], v[130:131] neg_lo:[0,1] neg_hi:[0,1]
	s_wait_dscnt 0x0
	v_pk_mul_f32 v[130:131], v[126:127], v[118:119] op_sel:[0,1]
	s_delay_alu instid0(VALU_DEP_1) | instskip(SKIP_1) | instid1(VALU_DEP_1)
	v_pk_fma_f32 v[132:133], v[126:127], v[116:117], v[130:131] op_sel:[0,0,1] op_sel_hi:[1,1,0] neg_lo:[0,0,1] neg_hi:[0,0,1]
	v_pk_fma_f32 v[126:127], v[126:127], v[116:117], v[130:131] op_sel:[0,0,1] op_sel_hi:[1,0,0]
	v_mov_b32_e32 v133, v127
	v_pk_mul_f32 v[126:127], v[128:129], v[118:119] op_sel:[0,1]
	s_delay_alu instid0(VALU_DEP_1) | instskip(SKIP_1) | instid1(VALU_DEP_1)
	v_pk_fma_f32 v[130:131], v[128:129], v[116:117], v[126:127] op_sel:[0,0,1] op_sel_hi:[1,1,0] neg_lo:[0,0,1] neg_hi:[0,0,1]
	v_pk_fma_f32 v[126:127], v[128:129], v[116:117], v[126:127] op_sel:[0,0,1] op_sel_hi:[1,0,0]
	v_mov_b32_e32 v131, v127
	ds_load_2addr_b64 v[126:129], v120 offset0:34 offset1:35
	v_pk_add_f32 v[76:77], v[76:77], v[132:133] neg_lo:[0,1] neg_hi:[0,1]
	v_pk_add_f32 v[74:75], v[74:75], v[130:131] neg_lo:[0,1] neg_hi:[0,1]
	s_wait_dscnt 0x0
	v_pk_mul_f32 v[130:131], v[126:127], v[118:119] op_sel:[0,1]
	s_delay_alu instid0(VALU_DEP_1) | instskip(SKIP_1) | instid1(VALU_DEP_1)
	v_pk_fma_f32 v[132:133], v[126:127], v[116:117], v[130:131] op_sel:[0,0,1] op_sel_hi:[1,1,0] neg_lo:[0,0,1] neg_hi:[0,0,1]
	v_pk_fma_f32 v[126:127], v[126:127], v[116:117], v[130:131] op_sel:[0,0,1] op_sel_hi:[1,0,0]
	v_mov_b32_e32 v133, v127
	v_pk_mul_f32 v[126:127], v[128:129], v[118:119] op_sel:[0,1]
	s_delay_alu instid0(VALU_DEP_1) | instskip(SKIP_1) | instid1(VALU_DEP_1)
	v_pk_fma_f32 v[130:131], v[128:129], v[116:117], v[126:127] op_sel:[0,0,1] op_sel_hi:[1,1,0] neg_lo:[0,0,1] neg_hi:[0,0,1]
	v_pk_fma_f32 v[126:127], v[128:129], v[116:117], v[126:127] op_sel:[0,0,1] op_sel_hi:[1,0,0]
	v_mov_b32_e32 v131, v127
	ds_load_2addr_b64 v[126:129], v120 offset0:36 offset1:37
	v_pk_add_f32 v[22:23], v[22:23], v[132:133] neg_lo:[0,1] neg_hi:[0,1]
	v_pk_add_f32 v[20:21], v[20:21], v[130:131] neg_lo:[0,1] neg_hi:[0,1]
	s_wait_dscnt 0x0
	v_dual_mul_f32 v130, v127, v119 :: v_dual_mul_f32 v132, v127, v116
	s_delay_alu instid0(VALU_DEP_1) | instskip(NEXT) | instid1(VALU_DEP_2)
	v_pk_fma_f32 v[130:131], v[126:127], v[32:33], v[130:131] op_sel_hi:[1,1,0] neg_lo:[0,0,1] neg_hi:[0,0,1]
	v_pk_fma_f32 v[126:127], v[126:127], v[32:33], v[132:133] op_sel:[1,0,0] op_sel_hi:[0,1,0]
	s_delay_alu instid0(VALU_DEP_1) | instskip(SKIP_1) | instid1(VALU_DEP_2)
	v_mov_b32_e32 v131, v127
	v_pk_mul_f32 v[126:127], v[128:129], v[118:119] op_sel:[0,1]
	v_pk_add_f32 v[72:73], v[72:73], v[130:131] neg_lo:[0,1] neg_hi:[0,1]
	s_delay_alu instid0(VALU_DEP_2) | instskip(SKIP_1) | instid1(VALU_DEP_1)
	v_pk_fma_f32 v[130:131], v[128:129], v[116:117], v[126:127] op_sel:[0,0,1] op_sel_hi:[1,1,0] neg_lo:[0,0,1] neg_hi:[0,0,1]
	v_pk_fma_f32 v[126:127], v[128:129], v[116:117], v[126:127] op_sel:[0,0,1] op_sel_hi:[1,0,0]
	v_mov_b32_e32 v131, v127
	ds_load_2addr_b64 v[126:129], v120 offset0:38 offset1:39
	v_pk_add_f32 v[70:71], v[70:71], v[130:131] neg_lo:[0,1] neg_hi:[0,1]
	s_wait_dscnt 0x0
	v_pk_mul_f32 v[130:131], v[126:127], v[118:119] op_sel:[0,1]
	s_delay_alu instid0(VALU_DEP_1) | instskip(SKIP_1) | instid1(VALU_DEP_1)
	v_pk_fma_f32 v[132:133], v[126:127], v[116:117], v[130:131] op_sel:[0,0,1] op_sel_hi:[1,1,0] neg_lo:[0,0,1] neg_hi:[0,0,1]
	v_pk_fma_f32 v[126:127], v[126:127], v[116:117], v[130:131] op_sel:[0,0,1] op_sel_hi:[1,0,0]
	v_mov_b32_e32 v133, v127
	v_pk_mul_f32 v[126:127], v[128:129], v[118:119] op_sel:[0,1]
	s_delay_alu instid0(VALU_DEP_2) | instskip(NEXT) | instid1(VALU_DEP_2)
	v_pk_add_f32 v[18:19], v[18:19], v[132:133] neg_lo:[0,1] neg_hi:[0,1]
	v_pk_fma_f32 v[130:131], v[128:129], v[116:117], v[126:127] op_sel:[0,0,1] op_sel_hi:[1,1,0] neg_lo:[0,0,1] neg_hi:[0,0,1]
	v_pk_fma_f32 v[126:127], v[128:129], v[116:117], v[126:127] op_sel:[0,0,1] op_sel_hi:[1,0,0]
	s_delay_alu instid0(VALU_DEP_1) | instskip(SKIP_4) | instid1(VALU_DEP_1)
	v_mov_b32_e32 v131, v127
	ds_load_2addr_b64 v[126:129], v120 offset0:40 offset1:41
	v_pk_add_f32 v[16:17], v[16:17], v[130:131] neg_lo:[0,1] neg_hi:[0,1]
	s_wait_dscnt 0x0
	v_pk_mul_f32 v[130:131], v[126:127], v[118:119] op_sel:[0,1]
	v_pk_fma_f32 v[132:133], v[126:127], v[116:117], v[130:131] op_sel:[0,0,1] op_sel_hi:[1,1,0] neg_lo:[0,0,1] neg_hi:[0,0,1]
	v_pk_fma_f32 v[126:127], v[126:127], v[116:117], v[130:131] op_sel:[0,0,1] op_sel_hi:[1,0,0]
	v_dual_mul_f32 v130, v129, v119 :: v_dual_mov_b32 v126, v129
	s_delay_alu instid0(VALU_DEP_2) | instskip(NEXT) | instid1(VALU_DEP_2)
	v_dual_mov_b32 v133, v127 :: v_dual_mov_b32 v127, v128
	v_pk_fma_f32 v[130:131], v[128:129], v[32:33], v[130:131] op_sel_hi:[1,1,0] neg_lo:[0,0,1] neg_hi:[0,0,1]
	v_mul_f32_e32 v128, v129, v116
	s_delay_alu instid0(VALU_DEP_3) | instskip(NEXT) | instid1(VALU_DEP_2)
	v_pk_add_f32 v[68:69], v[68:69], v[132:133] neg_lo:[0,1] neg_hi:[0,1]
	v_pk_fma_f32 v[126:127], v[126:127], v[32:33], v[128:129] op_sel_hi:[1,1,0]
	s_delay_alu instid0(VALU_DEP_1) | instskip(SKIP_4) | instid1(VALU_DEP_1)
	v_mov_b32_e32 v131, v127
	ds_load_2addr_b64 v[126:129], v120 offset0:42 offset1:43
	v_pk_add_f32 v[66:67], v[66:67], v[130:131] neg_lo:[0,1] neg_hi:[0,1]
	s_wait_dscnt 0x0
	v_pk_mul_f32 v[130:131], v[126:127], v[118:119] op_sel:[0,1]
	v_pk_fma_f32 v[132:133], v[126:127], v[116:117], v[130:131] op_sel:[0,0,1] op_sel_hi:[1,1,0] neg_lo:[0,0,1] neg_hi:[0,0,1]
	v_pk_fma_f32 v[126:127], v[126:127], v[116:117], v[130:131] op_sel:[0,0,1] op_sel_hi:[1,0,0]
	s_delay_alu instid0(VALU_DEP_1) | instskip(SKIP_1) | instid1(VALU_DEP_1)
	v_mov_b32_e32 v133, v127
	v_pk_mul_f32 v[126:127], v[128:129], v[118:119] op_sel:[0,1]
	v_pk_fma_f32 v[130:131], v[128:129], v[116:117], v[126:127] op_sel:[0,0,1] op_sel_hi:[1,1,0] neg_lo:[0,0,1] neg_hi:[0,0,1]
	v_pk_fma_f32 v[126:127], v[128:129], v[116:117], v[126:127] op_sel:[0,0,1] op_sel_hi:[1,0,0]
	s_delay_alu instid0(VALU_DEP_1)
	v_mov_b32_e32 v131, v127
	ds_load_2addr_b64 v[126:129], v120 offset0:44 offset1:45
	v_pk_add_f32 v[14:15], v[14:15], v[132:133] neg_lo:[0,1] neg_hi:[0,1]
	v_pk_add_f32 v[12:13], v[12:13], v[130:131] neg_lo:[0,1] neg_hi:[0,1]
	s_wait_dscnt 0x0
	v_pk_mul_f32 v[130:131], v[126:127], v[118:119] op_sel:[0,1]
	s_delay_alu instid0(VALU_DEP_1) | instskip(SKIP_1) | instid1(VALU_DEP_1)
	v_pk_fma_f32 v[132:133], v[126:127], v[116:117], v[130:131] op_sel:[0,0,1] op_sel_hi:[1,1,0] neg_lo:[0,0,1] neg_hi:[0,0,1]
	v_pk_fma_f32 v[126:127], v[126:127], v[116:117], v[130:131] op_sel:[0,0,1] op_sel_hi:[1,0,0]
	v_mov_b32_e32 v133, v127
	v_pk_mul_f32 v[126:127], v[128:129], v[118:119] op_sel:[0,1]
	s_delay_alu instid0(VALU_DEP_1) | instskip(SKIP_1) | instid1(VALU_DEP_1)
	v_pk_fma_f32 v[130:131], v[128:129], v[116:117], v[126:127] op_sel:[0,0,1] op_sel_hi:[1,1,0] neg_lo:[0,0,1] neg_hi:[0,0,1]
	v_pk_fma_f32 v[126:127], v[128:129], v[116:117], v[126:127] op_sel:[0,0,1] op_sel_hi:[1,0,0]
	v_mov_b32_e32 v131, v127
	ds_load_2addr_b64 v[126:129], v120 offset0:46 offset1:47
	v_pk_add_f32 v[64:65], v[64:65], v[132:133] neg_lo:[0,1] neg_hi:[0,1]
	v_pk_add_f32 v[62:63], v[62:63], v[130:131] neg_lo:[0,1] neg_hi:[0,1]
	s_wait_dscnt 0x0
	v_dual_mul_f32 v130, v127, v119 :: v_dual_mul_f32 v132, v127, v116
	s_delay_alu instid0(VALU_DEP_1) | instskip(NEXT) | instid1(VALU_DEP_2)
	v_pk_fma_f32 v[130:131], v[126:127], v[32:33], v[130:131] op_sel_hi:[1,1,0] neg_lo:[0,0,1] neg_hi:[0,0,1]
	v_pk_fma_f32 v[126:127], v[126:127], v[32:33], v[132:133] op_sel:[1,0,0] op_sel_hi:[0,1,0]
	s_delay_alu instid0(VALU_DEP_1) | instskip(SKIP_1) | instid1(VALU_DEP_2)
	v_mov_b32_e32 v131, v127
	v_pk_mul_f32 v[126:127], v[128:129], v[118:119] op_sel:[0,1]
	v_pk_add_f32 v[10:11], v[10:11], v[130:131] neg_lo:[0,1] neg_hi:[0,1]
	s_delay_alu instid0(VALU_DEP_2) | instskip(SKIP_1) | instid1(VALU_DEP_1)
	v_pk_fma_f32 v[130:131], v[128:129], v[116:117], v[126:127] op_sel:[0,0,1] op_sel_hi:[1,1,0] neg_lo:[0,0,1] neg_hi:[0,0,1]
	v_pk_fma_f32 v[126:127], v[128:129], v[116:117], v[126:127] op_sel:[0,0,1] op_sel_hi:[1,0,0]
	v_mov_b32_e32 v131, v127
	ds_load_2addr_b64 v[126:129], v120 offset0:48 offset1:49
	v_pk_add_f32 v[6:7], v[6:7], v[130:131] neg_lo:[0,1] neg_hi:[0,1]
	s_wait_dscnt 0x0
	v_pk_mul_f32 v[130:131], v[126:127], v[118:119] op_sel:[0,1]
	s_delay_alu instid0(VALU_DEP_1) | instskip(SKIP_1) | instid1(VALU_DEP_1)
	v_pk_fma_f32 v[132:133], v[126:127], v[116:117], v[130:131] op_sel:[0,0,1] op_sel_hi:[1,1,0] neg_lo:[0,0,1] neg_hi:[0,0,1]
	v_pk_fma_f32 v[126:127], v[126:127], v[116:117], v[130:131] op_sel:[0,0,1] op_sel_hi:[1,0,0]
	v_mov_b32_e32 v133, v127
	v_pk_mul_f32 v[126:127], v[128:129], v[118:119] op_sel:[0,1]
	s_delay_alu instid0(VALU_DEP_2) | instskip(NEXT) | instid1(VALU_DEP_2)
	v_pk_add_f32 v[52:53], v[52:53], v[132:133] neg_lo:[0,1] neg_hi:[0,1]
	v_pk_fma_f32 v[130:131], v[128:129], v[116:117], v[126:127] op_sel:[0,0,1] op_sel_hi:[1,1,0] neg_lo:[0,0,1] neg_hi:[0,0,1]
	v_pk_fma_f32 v[126:127], v[128:129], v[116:117], v[126:127] op_sel:[0,0,1] op_sel_hi:[1,0,0]
	s_delay_alu instid0(VALU_DEP_1) | instskip(SKIP_4) | instid1(VALU_DEP_1)
	v_mov_b32_e32 v131, v127
	ds_load_2addr_b64 v[126:129], v120 offset0:50 offset1:51
	v_pk_add_f32 v[50:51], v[50:51], v[130:131] neg_lo:[0,1] neg_hi:[0,1]
	s_wait_dscnt 0x0
	v_pk_mul_f32 v[130:131], v[126:127], v[118:119] op_sel:[0,1]
	v_pk_fma_f32 v[132:133], v[126:127], v[116:117], v[130:131] op_sel:[0,0,1] op_sel_hi:[1,1,0] neg_lo:[0,0,1] neg_hi:[0,0,1]
	v_pk_fma_f32 v[126:127], v[126:127], v[116:117], v[130:131] op_sel:[0,0,1] op_sel_hi:[1,0,0]
	v_dual_mul_f32 v130, v129, v119 :: v_dual_mov_b32 v126, v129
	s_delay_alu instid0(VALU_DEP_2) | instskip(NEXT) | instid1(VALU_DEP_2)
	v_dual_mov_b32 v133, v127 :: v_dual_mov_b32 v127, v128
	v_pk_fma_f32 v[130:131], v[128:129], v[32:33], v[130:131] op_sel_hi:[1,1,0] neg_lo:[0,0,1] neg_hi:[0,0,1]
	v_mul_f32_e32 v128, v129, v116
	s_delay_alu instid0(VALU_DEP_3) | instskip(NEXT) | instid1(VALU_DEP_2)
	v_pk_add_f32 v[8:9], v[8:9], v[132:133] neg_lo:[0,1] neg_hi:[0,1]
	v_pk_fma_f32 v[126:127], v[126:127], v[32:33], v[128:129] op_sel_hi:[1,1,0]
	s_delay_alu instid0(VALU_DEP_1) | instskip(SKIP_4) | instid1(VALU_DEP_1)
	v_mov_b32_e32 v131, v127
	ds_load_2addr_b64 v[126:129], v120 offset0:52 offset1:53
	v_pk_add_f32 v[30:31], v[30:31], v[130:131] neg_lo:[0,1] neg_hi:[0,1]
	s_wait_dscnt 0x0
	v_pk_mul_f32 v[130:131], v[126:127], v[118:119] op_sel:[0,1]
	v_pk_fma_f32 v[132:133], v[126:127], v[116:117], v[130:131] op_sel:[0,0,1] op_sel_hi:[1,1,0] neg_lo:[0,0,1] neg_hi:[0,0,1]
	v_pk_fma_f32 v[126:127], v[126:127], v[116:117], v[130:131] op_sel:[0,0,1] op_sel_hi:[1,0,0]
	s_delay_alu instid0(VALU_DEP_1) | instskip(SKIP_1) | instid1(VALU_DEP_1)
	v_mov_b32_e32 v133, v127
	v_pk_mul_f32 v[126:127], v[128:129], v[118:119] op_sel:[0,1]
	v_pk_fma_f32 v[130:131], v[128:129], v[116:117], v[126:127] op_sel:[0,0,1] op_sel_hi:[1,1,0] neg_lo:[0,0,1] neg_hi:[0,0,1]
	v_pk_fma_f32 v[126:127], v[128:129], v[116:117], v[126:127] op_sel:[0,0,1] op_sel_hi:[1,0,0]
	s_delay_alu instid0(VALU_DEP_1)
	v_mov_b32_e32 v131, v127
	ds_load_b64 v[126:127], v120 offset:432
	v_pk_add_f32 v[34:35], v[34:35], v[132:133] neg_lo:[0,1] neg_hi:[0,1]
	v_pk_add_f32 v[24:25], v[24:25], v[130:131] neg_lo:[0,1] neg_hi:[0,1]
	s_wait_dscnt 0x0
	v_pk_mul_f32 v[118:119], v[126:127], v[118:119] op_sel:[0,1]
	s_delay_alu instid0(VALU_DEP_1) | instskip(SKIP_1) | instid1(VALU_DEP_1)
	v_pk_fma_f32 v[128:129], v[126:127], v[116:117], v[118:119] op_sel:[0,0,1] op_sel_hi:[1,1,0] neg_lo:[0,0,1] neg_hi:[0,0,1]
	v_pk_fma_f32 v[116:117], v[126:127], v[116:117], v[118:119] op_sel:[0,0,1] op_sel_hi:[1,0,0]
	v_mov_b32_e32 v129, v117
	s_delay_alu instid0(VALU_DEP_1)
	v_pk_add_f32 v[114:115], v[114:115], v[128:129] neg_lo:[0,1] neg_hi:[0,1]
.LBB108_587:
	s_or_b32 exec_lo, exec_lo, s0
	v_lshl_add_u32 v116, v124, 3, v120
	s_barrier_signal -1
	s_barrier_wait -1
	ds_store_b64 v116, v[80:81]
	s_wait_dscnt 0x0
	s_barrier_signal -1
	s_barrier_wait -1
	ds_load_b64 v[118:119], v120 offset:224
	v_mov_b32_e32 v116, 28
	s_cmp_lt_i32 s18, 30
	s_cbranch_scc1 .LBB108_590
; %bb.588:
	v_add3_u32 v117, v121, 0, 0xe8
	v_mov_b32_e32 v116, 28
	s_mov_b32 s0, 29
.LBB108_589:                            ; =>This Inner Loop Header: Depth=1
	ds_load_b64 v[126:127], v117
	s_wait_dscnt 0x1
	v_cmp_gt_f32_e32 vcc_lo, 0, v118
	v_cndmask_b32_e64 v128, v118, -v118, vcc_lo
	v_cmp_gt_f32_e32 vcc_lo, 0, v119
	v_cndmask_b32_e64 v130, v119, -v119, vcc_lo
	s_wait_dscnt 0x0
	v_cmp_gt_f32_e32 vcc_lo, 0, v126
	v_cndmask_b32_e64 v129, v126, -v126, vcc_lo
	v_cmp_gt_f32_e32 vcc_lo, 0, v127
	v_cndmask_b32_e64 v131, v127, -v127, vcc_lo
	s_delay_alu instid0(VALU_DEP_1) | instskip(NEXT) | instid1(VALU_DEP_1)
	v_pk_add_f32 v[128:129], v[128:129], v[130:131]
	v_cmp_lt_f32_e32 vcc_lo, v128, v129
	v_dual_add_nc_u32 v117, 8, v117 :: v_dual_cndmask_b32 v119, v119, v127, vcc_lo
	v_cndmask_b32_e32 v118, v118, v126, vcc_lo
	v_cndmask_b32_e64 v116, v116, s0, vcc_lo
	s_add_co_i32 s0, s0, 1
	s_delay_alu instid0(SALU_CYCLE_1)
	s_cmp_lg_u32 s18, s0
	s_cbranch_scc1 .LBB108_589
.LBB108_590:
	s_wait_dscnt 0x0
	v_cmp_eq_f32_e32 vcc_lo, 0, v118
	v_cmp_eq_f32_e64 s0, 0, v119
	s_and_b32 s0, vcc_lo, s0
	s_delay_alu instid0(SALU_CYCLE_1) | instskip(NEXT) | instid1(SALU_CYCLE_1)
	s_and_saveexec_b32 s1, s0
	s_xor_b32 s0, exec_lo, s1
; %bb.591:
	v_cmp_ne_u32_e32 vcc_lo, 0, v122
	v_cndmask_b32_e32 v122, 29, v122, vcc_lo
; %bb.592:
	s_and_not1_saveexec_b32 s0, s0
	s_cbranch_execz .LBB108_598
; %bb.593:
	v_cmp_ngt_f32_e64 s1, |v118|, |v119|
	s_and_saveexec_b32 s12, s1
	s_delay_alu instid0(SALU_CYCLE_1)
	s_xor_b32 s1, exec_lo, s12
	s_cbranch_execz .LBB108_595
; %bb.594:
	v_div_scale_f32 v117, null, v119, v119, v118
	v_div_scale_f32 v127, vcc_lo, v118, v119, v118
	s_delay_alu instid0(VALU_DEP_2) | instskip(SKIP_1) | instid1(TRANS32_DEP_1)
	v_rcp_f32_e32 v125, v117
	v_nop
	v_fma_f32 v126, -v117, v125, 1.0
	s_delay_alu instid0(VALU_DEP_1) | instskip(NEXT) | instid1(VALU_DEP_1)
	v_fmac_f32_e32 v125, v126, v125
	v_mul_f32_e32 v126, v127, v125
	s_delay_alu instid0(VALU_DEP_1) | instskip(NEXT) | instid1(VALU_DEP_1)
	v_fma_f32 v128, -v117, v126, v127
	v_fmac_f32_e32 v126, v128, v125
	s_delay_alu instid0(VALU_DEP_1) | instskip(NEXT) | instid1(VALU_DEP_1)
	v_fma_f32 v117, -v117, v126, v127
	v_div_fmas_f32 v117, v117, v125, v126
	s_delay_alu instid0(VALU_DEP_1) | instskip(NEXT) | instid1(VALU_DEP_1)
	v_div_fixup_f32 v117, v117, v119, v118
	v_fmac_f32_e32 v119, v118, v117
	s_delay_alu instid0(VALU_DEP_1) | instskip(SKIP_1) | instid1(VALU_DEP_2)
	v_div_scale_f32 v118, null, v119, v119, 1.0
	v_div_scale_f32 v127, vcc_lo, 1.0, v119, 1.0
	v_rcp_f32_e32 v125, v118
	v_nop
	s_delay_alu instid0(TRANS32_DEP_1) | instskip(NEXT) | instid1(VALU_DEP_1)
	v_fma_f32 v126, -v118, v125, 1.0
	v_fmac_f32_e32 v125, v126, v125
	s_delay_alu instid0(VALU_DEP_1) | instskip(NEXT) | instid1(VALU_DEP_1)
	v_mul_f32_e32 v126, v127, v125
	v_fma_f32 v128, -v118, v126, v127
	s_delay_alu instid0(VALU_DEP_1) | instskip(NEXT) | instid1(VALU_DEP_1)
	v_fmac_f32_e32 v126, v128, v125
	v_fma_f32 v118, -v118, v126, v127
	s_delay_alu instid0(VALU_DEP_1) | instskip(NEXT) | instid1(VALU_DEP_1)
	v_div_fmas_f32 v118, v118, v125, v126
	v_div_fixup_f32 v119, v118, v119, 1.0
	s_delay_alu instid0(VALU_DEP_1)
	v_mul_f32_e32 v118, v117, v119
	v_xor_b32_e32 v119, 0x80000000, v119
.LBB108_595:
	s_and_not1_saveexec_b32 s1, s1
	s_cbranch_execz .LBB108_597
; %bb.596:
	s_delay_alu instid0(VALU_DEP_1) | instskip(SKIP_1) | instid1(VALU_DEP_2)
	v_div_scale_f32 v117, null, v118, v118, v119
	v_div_scale_f32 v127, vcc_lo, v119, v118, v119
	v_rcp_f32_e32 v125, v117
	v_nop
	s_delay_alu instid0(TRANS32_DEP_1) | instskip(NEXT) | instid1(VALU_DEP_1)
	v_fma_f32 v126, -v117, v125, 1.0
	v_fmac_f32_e32 v125, v126, v125
	s_delay_alu instid0(VALU_DEP_1) | instskip(NEXT) | instid1(VALU_DEP_1)
	v_mul_f32_e32 v126, v127, v125
	v_fma_f32 v128, -v117, v126, v127
	s_delay_alu instid0(VALU_DEP_1) | instskip(NEXT) | instid1(VALU_DEP_1)
	v_fmac_f32_e32 v126, v128, v125
	v_fma_f32 v117, -v117, v126, v127
	s_delay_alu instid0(VALU_DEP_1) | instskip(NEXT) | instid1(VALU_DEP_1)
	v_div_fmas_f32 v117, v117, v125, v126
	v_div_fixup_f32 v117, v117, v118, v119
	s_delay_alu instid0(VALU_DEP_1) | instskip(NEXT) | instid1(VALU_DEP_1)
	v_fmac_f32_e32 v118, v119, v117
	v_div_scale_f32 v119, null, v118, v118, 1.0
	s_delay_alu instid0(VALU_DEP_1) | instskip(SKIP_1) | instid1(TRANS32_DEP_1)
	v_rcp_f32_e32 v125, v119
	v_nop
	v_fma_f32 v126, -v119, v125, 1.0
	s_delay_alu instid0(VALU_DEP_1) | instskip(SKIP_1) | instid1(VALU_DEP_1)
	v_fmac_f32_e32 v125, v126, v125
	v_div_scale_f32 v126, vcc_lo, 1.0, v118, 1.0
	v_mul_f32_e32 v127, v126, v125
	s_delay_alu instid0(VALU_DEP_1) | instskip(NEXT) | instid1(VALU_DEP_1)
	v_fma_f32 v128, -v119, v127, v126
	v_fmac_f32_e32 v127, v128, v125
	s_delay_alu instid0(VALU_DEP_1) | instskip(NEXT) | instid1(VALU_DEP_1)
	v_fma_f32 v119, -v119, v127, v126
	v_div_fmas_f32 v119, v119, v125, v127
	s_delay_alu instid0(VALU_DEP_1) | instskip(NEXT) | instid1(VALU_DEP_1)
	v_div_fixup_f32 v118, v119, v118, 1.0
	v_mul_f32_e64 v119, v117, -v118
.LBB108_597:
	s_or_b32 exec_lo, exec_lo, s1
.LBB108_598:
	s_delay_alu instid0(SALU_CYCLE_1) | instskip(NEXT) | instid1(SALU_CYCLE_1)
	s_or_b32 exec_lo, exec_lo, s0
	s_mov_b32 s0, exec_lo
	v_cmpx_ne_u32_e64 v124, v116
	s_xor_b32 s0, exec_lo, s0
	s_cbranch_execz .LBB108_604
; %bb.599:
	s_mov_b32 s1, exec_lo
	v_cmpx_eq_u32_e32 28, v124
	s_cbranch_execz .LBB108_603
; %bb.600:
	v_cmp_ne_u32_e32 vcc_lo, 28, v116
	s_xor_b32 s12, s16, -1
	s_delay_alu instid0(SALU_CYCLE_1) | instskip(NEXT) | instid1(SALU_CYCLE_1)
	s_and_b32 s13, s12, vcc_lo
	s_and_saveexec_b32 s12, s13
	s_cbranch_execz .LBB108_602
; %bb.601:
	v_ashrrev_i32_e32 v117, 31, v116
	s_delay_alu instid0(VALU_DEP_1)
	v_lshl_add_u64 v[124:125], v[116:117], 2, v[4:5]
	s_clause 0x1
	global_load_b32 v117, v[124:125], off
	global_load_b32 v123, v[4:5], off offset:112
	s_wait_loadcnt 0x1
	global_store_b32 v[4:5], v117, off offset:112
	s_wait_loadcnt 0x0
	global_store_b32 v[124:125], v123, off
.LBB108_602:
	s_wait_xcnt 0x0
	s_or_b32 exec_lo, exec_lo, s12
	v_dual_mov_b32 v124, v116 :: v_dual_mov_b32 v123, v116
.LBB108_603:
	s_or_b32 exec_lo, exec_lo, s1
.LBB108_604:
	s_and_not1_saveexec_b32 s0, s0
	s_cbranch_execz .LBB108_606
; %bb.605:
	v_mov_b32_e32 v124, 28
	ds_store_2addr_b64 v120, v[78:79], v[28:29] offset0:29 offset1:30
	ds_store_2addr_b64 v120, v[26:27], v[76:77] offset0:31 offset1:32
	;; [unrolled: 1-line block ×13, first 2 shown]
.LBB108_606:
	s_or_b32 exec_lo, exec_lo, s0
	s_delay_alu instid0(SALU_CYCLE_1)
	s_mov_b32 s0, exec_lo
	s_wait_storecnt_dscnt 0x0
	s_barrier_signal -1
	s_barrier_wait -1
	v_cmpx_lt_i32_e32 28, v124
	s_cbranch_execz .LBB108_608
; %bb.607:
	v_pk_mul_f32 v[126:127], v[118:119], v[80:81] op_sel:[1,1] op_sel_hi:[0,1]
	s_delay_alu instid0(VALU_DEP_1)
	v_pk_fma_f32 v[116:117], v[118:119], v[80:81], v[126:127] op_sel_hi:[1,0,1] neg_lo:[0,0,1] neg_hi:[0,0,1]
	v_pk_fma_f32 v[118:119], v[118:119], v[80:81], v[126:127] op_sel_hi:[1,0,1]
	ds_load_2addr_b64 v[126:129], v120 offset0:29 offset1:30
	v_dual_mov_b32 v80, v116 :: v_dual_mov_b32 v81, v119
	s_wait_dscnt 0x0
	v_pk_mul_f32 v[130:131], v[126:127], v[118:119] op_sel:[0,1]
	s_delay_alu instid0(VALU_DEP_1) | instskip(SKIP_1) | instid1(VALU_DEP_1)
	v_pk_fma_f32 v[132:133], v[126:127], v[116:117], v[130:131] op_sel:[0,0,1] op_sel_hi:[1,1,0] neg_lo:[0,0,1] neg_hi:[0,0,1]
	v_pk_fma_f32 v[126:127], v[126:127], v[116:117], v[130:131] op_sel:[0,0,1] op_sel_hi:[1,0,0]
	v_mov_b32_e32 v133, v127
	v_pk_mul_f32 v[126:127], v[128:129], v[118:119] op_sel:[0,1]
	s_delay_alu instid0(VALU_DEP_1) | instskip(SKIP_1) | instid1(VALU_DEP_1)
	v_pk_fma_f32 v[130:131], v[128:129], v[116:117], v[126:127] op_sel:[0,0,1] op_sel_hi:[1,1,0] neg_lo:[0,0,1] neg_hi:[0,0,1]
	v_pk_fma_f32 v[126:127], v[128:129], v[116:117], v[126:127] op_sel:[0,0,1] op_sel_hi:[1,0,0]
	v_mov_b32_e32 v131, v127
	ds_load_2addr_b64 v[126:129], v120 offset0:31 offset1:32
	v_pk_add_f32 v[78:79], v[78:79], v[132:133] neg_lo:[0,1] neg_hi:[0,1]
	v_pk_add_f32 v[28:29], v[28:29], v[130:131] neg_lo:[0,1] neg_hi:[0,1]
	s_wait_dscnt 0x0
	v_pk_mul_f32 v[130:131], v[126:127], v[118:119] op_sel:[0,1]
	s_delay_alu instid0(VALU_DEP_1) | instskip(SKIP_2) | instid1(VALU_DEP_2)
	v_pk_fma_f32 v[132:133], v[126:127], v[116:117], v[130:131] op_sel:[0,0,1] op_sel_hi:[1,1,0] neg_lo:[0,0,1] neg_hi:[0,0,1]
	v_pk_fma_f32 v[126:127], v[126:127], v[116:117], v[130:131] op_sel:[0,0,1] op_sel_hi:[1,0,0]
	v_dual_mul_f32 v130, v129, v119 :: v_dual_mov_b32 v126, v129
	v_dual_mov_b32 v133, v127 :: v_dual_mov_b32 v127, v128
	s_delay_alu instid0(VALU_DEP_2) | instskip(SKIP_1) | instid1(VALU_DEP_3)
	v_pk_fma_f32 v[130:131], v[128:129], v[80:81], v[130:131] op_sel_hi:[1,1,0] neg_lo:[0,0,1] neg_hi:[0,0,1]
	v_mul_f32_e32 v128, v129, v116
	v_pk_add_f32 v[26:27], v[26:27], v[132:133] neg_lo:[0,1] neg_hi:[0,1]
	s_delay_alu instid0(VALU_DEP_2) | instskip(NEXT) | instid1(VALU_DEP_1)
	v_pk_fma_f32 v[126:127], v[126:127], v[80:81], v[128:129] op_sel_hi:[1,1,0]
	v_mov_b32_e32 v131, v127
	ds_load_2addr_b64 v[126:129], v120 offset0:33 offset1:34
	v_pk_add_f32 v[76:77], v[76:77], v[130:131] neg_lo:[0,1] neg_hi:[0,1]
	s_wait_dscnt 0x0
	v_pk_mul_f32 v[130:131], v[126:127], v[118:119] op_sel:[0,1]
	s_delay_alu instid0(VALU_DEP_1) | instskip(SKIP_1) | instid1(VALU_DEP_1)
	v_pk_fma_f32 v[132:133], v[126:127], v[116:117], v[130:131] op_sel:[0,0,1] op_sel_hi:[1,1,0] neg_lo:[0,0,1] neg_hi:[0,0,1]
	v_pk_fma_f32 v[126:127], v[126:127], v[116:117], v[130:131] op_sel:[0,0,1] op_sel_hi:[1,0,0]
	v_mov_b32_e32 v133, v127
	v_pk_mul_f32 v[126:127], v[128:129], v[118:119] op_sel:[0,1]
	s_delay_alu instid0(VALU_DEP_1) | instskip(SKIP_1) | instid1(VALU_DEP_1)
	v_pk_fma_f32 v[130:131], v[128:129], v[116:117], v[126:127] op_sel:[0,0,1] op_sel_hi:[1,1,0] neg_lo:[0,0,1] neg_hi:[0,0,1]
	v_pk_fma_f32 v[126:127], v[128:129], v[116:117], v[126:127] op_sel:[0,0,1] op_sel_hi:[1,0,0]
	v_mov_b32_e32 v131, v127
	ds_load_2addr_b64 v[126:129], v120 offset0:35 offset1:36
	v_pk_add_f32 v[74:75], v[74:75], v[132:133] neg_lo:[0,1] neg_hi:[0,1]
	v_pk_add_f32 v[22:23], v[22:23], v[130:131] neg_lo:[0,1] neg_hi:[0,1]
	s_wait_dscnt 0x0
	v_pk_mul_f32 v[130:131], v[126:127], v[118:119] op_sel:[0,1]
	s_delay_alu instid0(VALU_DEP_1) | instskip(SKIP_1) | instid1(VALU_DEP_1)
	v_pk_fma_f32 v[132:133], v[126:127], v[116:117], v[130:131] op_sel:[0,0,1] op_sel_hi:[1,1,0] neg_lo:[0,0,1] neg_hi:[0,0,1]
	v_pk_fma_f32 v[126:127], v[126:127], v[116:117], v[130:131] op_sel:[0,0,1] op_sel_hi:[1,0,0]
	v_mov_b32_e32 v133, v127
	v_pk_mul_f32 v[126:127], v[128:129], v[118:119] op_sel:[0,1]
	s_delay_alu instid0(VALU_DEP_1) | instskip(SKIP_1) | instid1(VALU_DEP_1)
	v_pk_fma_f32 v[130:131], v[128:129], v[116:117], v[126:127] op_sel:[0,0,1] op_sel_hi:[1,1,0] neg_lo:[0,0,1] neg_hi:[0,0,1]
	v_pk_fma_f32 v[126:127], v[128:129], v[116:117], v[126:127] op_sel:[0,0,1] op_sel_hi:[1,0,0]
	v_mov_b32_e32 v131, v127
	ds_load_2addr_b64 v[126:129], v120 offset0:37 offset1:38
	v_pk_add_f32 v[20:21], v[20:21], v[132:133] neg_lo:[0,1] neg_hi:[0,1]
	v_pk_add_f32 v[72:73], v[72:73], v[130:131] neg_lo:[0,1] neg_hi:[0,1]
	s_wait_dscnt 0x0
	v_dual_mul_f32 v130, v127, v119 :: v_dual_mul_f32 v132, v127, v116
	s_delay_alu instid0(VALU_DEP_1) | instskip(NEXT) | instid1(VALU_DEP_2)
	v_pk_fma_f32 v[130:131], v[126:127], v[80:81], v[130:131] op_sel_hi:[1,1,0] neg_lo:[0,0,1] neg_hi:[0,0,1]
	v_pk_fma_f32 v[126:127], v[126:127], v[80:81], v[132:133] op_sel:[1,0,0] op_sel_hi:[0,1,0]
	s_delay_alu instid0(VALU_DEP_1) | instskip(SKIP_1) | instid1(VALU_DEP_2)
	v_mov_b32_e32 v131, v127
	v_pk_mul_f32 v[126:127], v[128:129], v[118:119] op_sel:[0,1]
	v_pk_add_f32 v[70:71], v[70:71], v[130:131] neg_lo:[0,1] neg_hi:[0,1]
	s_delay_alu instid0(VALU_DEP_2) | instskip(SKIP_1) | instid1(VALU_DEP_1)
	v_pk_fma_f32 v[130:131], v[128:129], v[116:117], v[126:127] op_sel:[0,0,1] op_sel_hi:[1,1,0] neg_lo:[0,0,1] neg_hi:[0,0,1]
	v_pk_fma_f32 v[126:127], v[128:129], v[116:117], v[126:127] op_sel:[0,0,1] op_sel_hi:[1,0,0]
	v_mov_b32_e32 v131, v127
	ds_load_2addr_b64 v[126:129], v120 offset0:39 offset1:40
	v_pk_add_f32 v[18:19], v[18:19], v[130:131] neg_lo:[0,1] neg_hi:[0,1]
	s_wait_dscnt 0x0
	v_pk_mul_f32 v[130:131], v[126:127], v[118:119] op_sel:[0,1]
	s_delay_alu instid0(VALU_DEP_1) | instskip(SKIP_1) | instid1(VALU_DEP_1)
	v_pk_fma_f32 v[132:133], v[126:127], v[116:117], v[130:131] op_sel:[0,0,1] op_sel_hi:[1,1,0] neg_lo:[0,0,1] neg_hi:[0,0,1]
	v_pk_fma_f32 v[126:127], v[126:127], v[116:117], v[130:131] op_sel:[0,0,1] op_sel_hi:[1,0,0]
	v_mov_b32_e32 v133, v127
	v_pk_mul_f32 v[126:127], v[128:129], v[118:119] op_sel:[0,1]
	s_delay_alu instid0(VALU_DEP_2) | instskip(NEXT) | instid1(VALU_DEP_2)
	v_pk_add_f32 v[16:17], v[16:17], v[132:133] neg_lo:[0,1] neg_hi:[0,1]
	v_pk_fma_f32 v[130:131], v[128:129], v[116:117], v[126:127] op_sel:[0,0,1] op_sel_hi:[1,1,0] neg_lo:[0,0,1] neg_hi:[0,0,1]
	v_pk_fma_f32 v[126:127], v[128:129], v[116:117], v[126:127] op_sel:[0,0,1] op_sel_hi:[1,0,0]
	s_delay_alu instid0(VALU_DEP_1) | instskip(SKIP_4) | instid1(VALU_DEP_1)
	v_mov_b32_e32 v131, v127
	ds_load_2addr_b64 v[126:129], v120 offset0:41 offset1:42
	v_pk_add_f32 v[68:69], v[68:69], v[130:131] neg_lo:[0,1] neg_hi:[0,1]
	s_wait_dscnt 0x0
	v_pk_mul_f32 v[130:131], v[126:127], v[118:119] op_sel:[0,1]
	v_pk_fma_f32 v[132:133], v[126:127], v[116:117], v[130:131] op_sel:[0,0,1] op_sel_hi:[1,1,0] neg_lo:[0,0,1] neg_hi:[0,0,1]
	v_pk_fma_f32 v[126:127], v[126:127], v[116:117], v[130:131] op_sel:[0,0,1] op_sel_hi:[1,0,0]
	v_dual_mul_f32 v130, v129, v119 :: v_dual_mov_b32 v126, v129
	s_delay_alu instid0(VALU_DEP_2) | instskip(NEXT) | instid1(VALU_DEP_2)
	v_dual_mov_b32 v133, v127 :: v_dual_mov_b32 v127, v128
	v_pk_fma_f32 v[130:131], v[128:129], v[80:81], v[130:131] op_sel_hi:[1,1,0] neg_lo:[0,0,1] neg_hi:[0,0,1]
	v_mul_f32_e32 v128, v129, v116
	s_delay_alu instid0(VALU_DEP_3) | instskip(NEXT) | instid1(VALU_DEP_2)
	v_pk_add_f32 v[66:67], v[66:67], v[132:133] neg_lo:[0,1] neg_hi:[0,1]
	v_pk_fma_f32 v[126:127], v[126:127], v[80:81], v[128:129] op_sel_hi:[1,1,0]
	s_delay_alu instid0(VALU_DEP_1) | instskip(SKIP_4) | instid1(VALU_DEP_1)
	v_mov_b32_e32 v131, v127
	ds_load_2addr_b64 v[126:129], v120 offset0:43 offset1:44
	v_pk_add_f32 v[14:15], v[14:15], v[130:131] neg_lo:[0,1] neg_hi:[0,1]
	s_wait_dscnt 0x0
	v_pk_mul_f32 v[130:131], v[126:127], v[118:119] op_sel:[0,1]
	v_pk_fma_f32 v[132:133], v[126:127], v[116:117], v[130:131] op_sel:[0,0,1] op_sel_hi:[1,1,0] neg_lo:[0,0,1] neg_hi:[0,0,1]
	v_pk_fma_f32 v[126:127], v[126:127], v[116:117], v[130:131] op_sel:[0,0,1] op_sel_hi:[1,0,0]
	s_delay_alu instid0(VALU_DEP_1) | instskip(SKIP_1) | instid1(VALU_DEP_1)
	v_mov_b32_e32 v133, v127
	v_pk_mul_f32 v[126:127], v[128:129], v[118:119] op_sel:[0,1]
	v_pk_fma_f32 v[130:131], v[128:129], v[116:117], v[126:127] op_sel:[0,0,1] op_sel_hi:[1,1,0] neg_lo:[0,0,1] neg_hi:[0,0,1]
	v_pk_fma_f32 v[126:127], v[128:129], v[116:117], v[126:127] op_sel:[0,0,1] op_sel_hi:[1,0,0]
	s_delay_alu instid0(VALU_DEP_1)
	v_mov_b32_e32 v131, v127
	ds_load_2addr_b64 v[126:129], v120 offset0:45 offset1:46
	v_pk_add_f32 v[12:13], v[12:13], v[132:133] neg_lo:[0,1] neg_hi:[0,1]
	v_pk_add_f32 v[64:65], v[64:65], v[130:131] neg_lo:[0,1] neg_hi:[0,1]
	s_wait_dscnt 0x0
	v_pk_mul_f32 v[130:131], v[126:127], v[118:119] op_sel:[0,1]
	s_delay_alu instid0(VALU_DEP_1) | instskip(SKIP_1) | instid1(VALU_DEP_1)
	v_pk_fma_f32 v[132:133], v[126:127], v[116:117], v[130:131] op_sel:[0,0,1] op_sel_hi:[1,1,0] neg_lo:[0,0,1] neg_hi:[0,0,1]
	v_pk_fma_f32 v[126:127], v[126:127], v[116:117], v[130:131] op_sel:[0,0,1] op_sel_hi:[1,0,0]
	v_mov_b32_e32 v133, v127
	v_pk_mul_f32 v[126:127], v[128:129], v[118:119] op_sel:[0,1]
	s_delay_alu instid0(VALU_DEP_1) | instskip(SKIP_1) | instid1(VALU_DEP_1)
	v_pk_fma_f32 v[130:131], v[128:129], v[116:117], v[126:127] op_sel:[0,0,1] op_sel_hi:[1,1,0] neg_lo:[0,0,1] neg_hi:[0,0,1]
	v_pk_fma_f32 v[126:127], v[128:129], v[116:117], v[126:127] op_sel:[0,0,1] op_sel_hi:[1,0,0]
	v_mov_b32_e32 v131, v127
	ds_load_2addr_b64 v[126:129], v120 offset0:47 offset1:48
	v_pk_add_f32 v[62:63], v[62:63], v[132:133] neg_lo:[0,1] neg_hi:[0,1]
	v_pk_add_f32 v[10:11], v[10:11], v[130:131] neg_lo:[0,1] neg_hi:[0,1]
	s_wait_dscnt 0x0
	v_dual_mul_f32 v130, v127, v119 :: v_dual_mul_f32 v132, v127, v116
	s_delay_alu instid0(VALU_DEP_1) | instskip(NEXT) | instid1(VALU_DEP_2)
	v_pk_fma_f32 v[130:131], v[126:127], v[80:81], v[130:131] op_sel_hi:[1,1,0] neg_lo:[0,0,1] neg_hi:[0,0,1]
	v_pk_fma_f32 v[126:127], v[126:127], v[80:81], v[132:133] op_sel:[1,0,0] op_sel_hi:[0,1,0]
	s_delay_alu instid0(VALU_DEP_1) | instskip(SKIP_1) | instid1(VALU_DEP_2)
	v_mov_b32_e32 v131, v127
	v_pk_mul_f32 v[126:127], v[128:129], v[118:119] op_sel:[0,1]
	v_pk_add_f32 v[6:7], v[6:7], v[130:131] neg_lo:[0,1] neg_hi:[0,1]
	s_delay_alu instid0(VALU_DEP_2) | instskip(SKIP_1) | instid1(VALU_DEP_1)
	v_pk_fma_f32 v[130:131], v[128:129], v[116:117], v[126:127] op_sel:[0,0,1] op_sel_hi:[1,1,0] neg_lo:[0,0,1] neg_hi:[0,0,1]
	v_pk_fma_f32 v[126:127], v[128:129], v[116:117], v[126:127] op_sel:[0,0,1] op_sel_hi:[1,0,0]
	v_mov_b32_e32 v131, v127
	ds_load_2addr_b64 v[126:129], v120 offset0:49 offset1:50
	v_pk_add_f32 v[52:53], v[52:53], v[130:131] neg_lo:[0,1] neg_hi:[0,1]
	s_wait_dscnt 0x0
	v_pk_mul_f32 v[130:131], v[126:127], v[118:119] op_sel:[0,1]
	s_delay_alu instid0(VALU_DEP_1) | instskip(SKIP_1) | instid1(VALU_DEP_1)
	v_pk_fma_f32 v[132:133], v[126:127], v[116:117], v[130:131] op_sel:[0,0,1] op_sel_hi:[1,1,0] neg_lo:[0,0,1] neg_hi:[0,0,1]
	v_pk_fma_f32 v[126:127], v[126:127], v[116:117], v[130:131] op_sel:[0,0,1] op_sel_hi:[1,0,0]
	v_mov_b32_e32 v133, v127
	v_pk_mul_f32 v[126:127], v[128:129], v[118:119] op_sel:[0,1]
	s_delay_alu instid0(VALU_DEP_2) | instskip(NEXT) | instid1(VALU_DEP_2)
	v_pk_add_f32 v[50:51], v[50:51], v[132:133] neg_lo:[0,1] neg_hi:[0,1]
	v_pk_fma_f32 v[130:131], v[128:129], v[116:117], v[126:127] op_sel:[0,0,1] op_sel_hi:[1,1,0] neg_lo:[0,0,1] neg_hi:[0,0,1]
	v_pk_fma_f32 v[126:127], v[128:129], v[116:117], v[126:127] op_sel:[0,0,1] op_sel_hi:[1,0,0]
	s_delay_alu instid0(VALU_DEP_1) | instskip(SKIP_4) | instid1(VALU_DEP_1)
	v_mov_b32_e32 v131, v127
	ds_load_2addr_b64 v[126:129], v120 offset0:51 offset1:52
	v_pk_add_f32 v[8:9], v[8:9], v[130:131] neg_lo:[0,1] neg_hi:[0,1]
	s_wait_dscnt 0x0
	v_pk_mul_f32 v[130:131], v[126:127], v[118:119] op_sel:[0,1]
	v_pk_fma_f32 v[132:133], v[126:127], v[116:117], v[130:131] op_sel:[0,0,1] op_sel_hi:[1,1,0] neg_lo:[0,0,1] neg_hi:[0,0,1]
	v_pk_fma_f32 v[126:127], v[126:127], v[116:117], v[130:131] op_sel:[0,0,1] op_sel_hi:[1,0,0]
	v_dual_mul_f32 v130, v129, v119 :: v_dual_mov_b32 v126, v129
	s_delay_alu instid0(VALU_DEP_2) | instskip(NEXT) | instid1(VALU_DEP_2)
	v_dual_mov_b32 v133, v127 :: v_dual_mov_b32 v127, v128
	v_pk_fma_f32 v[130:131], v[128:129], v[80:81], v[130:131] op_sel_hi:[1,1,0] neg_lo:[0,0,1] neg_hi:[0,0,1]
	v_mul_f32_e32 v128, v129, v116
	s_delay_alu instid0(VALU_DEP_3) | instskip(NEXT) | instid1(VALU_DEP_2)
	v_pk_add_f32 v[30:31], v[30:31], v[132:133] neg_lo:[0,1] neg_hi:[0,1]
	v_pk_fma_f32 v[126:127], v[126:127], v[80:81], v[128:129] op_sel_hi:[1,1,0]
	s_delay_alu instid0(VALU_DEP_1)
	v_mov_b32_e32 v131, v127
	ds_load_2addr_b64 v[126:129], v120 offset0:53 offset1:54
	v_pk_add_f32 v[34:35], v[34:35], v[130:131] neg_lo:[0,1] neg_hi:[0,1]
	s_wait_dscnt 0x0
	v_pk_mul_f32 v[130:131], v[126:127], v[118:119] op_sel:[0,1]
	v_pk_mul_f32 v[118:119], v[128:129], v[118:119] op_sel:[0,1]
	s_delay_alu instid0(VALU_DEP_2) | instskip(SKIP_1) | instid1(VALU_DEP_1)
	v_pk_fma_f32 v[132:133], v[126:127], v[116:117], v[130:131] op_sel:[0,0,1] op_sel_hi:[1,1,0] neg_lo:[0,0,1] neg_hi:[0,0,1]
	v_pk_fma_f32 v[126:127], v[126:127], v[116:117], v[130:131] op_sel:[0,0,1] op_sel_hi:[1,0,0]
	v_mov_b32_e32 v133, v127
	s_delay_alu instid0(VALU_DEP_4) | instskip(SKIP_1) | instid1(VALU_DEP_1)
	v_pk_fma_f32 v[126:127], v[128:129], v[116:117], v[118:119] op_sel:[0,0,1] op_sel_hi:[1,1,0] neg_lo:[0,0,1] neg_hi:[0,0,1]
	v_pk_fma_f32 v[116:117], v[128:129], v[116:117], v[118:119] op_sel:[0,0,1] op_sel_hi:[1,0,0]
	v_mov_b32_e32 v127, v117
	s_delay_alu instid0(VALU_DEP_4) | instskip(NEXT) | instid1(VALU_DEP_2)
	v_pk_add_f32 v[24:25], v[24:25], v[132:133] neg_lo:[0,1] neg_hi:[0,1]
	v_pk_add_f32 v[114:115], v[114:115], v[126:127] neg_lo:[0,1] neg_hi:[0,1]
.LBB108_608:
	s_or_b32 exec_lo, exec_lo, s0
	v_lshl_add_u32 v116, v124, 3, v120
	s_barrier_signal -1
	s_barrier_wait -1
	ds_store_b64 v116, v[78:79]
	s_wait_dscnt 0x0
	s_barrier_signal -1
	s_barrier_wait -1
	ds_load_b64 v[118:119], v120 offset:232
	v_mov_b32_e32 v116, 29
	s_cmp_lt_i32 s18, 31
	s_cbranch_scc1 .LBB108_611
; %bb.609:
	v_add3_u32 v117, v121, 0, 0xf0
	v_mov_b32_e32 v116, 29
	s_mov_b32 s0, 30
.LBB108_610:                            ; =>This Inner Loop Header: Depth=1
	ds_load_b64 v[126:127], v117
	s_wait_dscnt 0x1
	v_cmp_gt_f32_e32 vcc_lo, 0, v118
	v_cndmask_b32_e64 v128, v118, -v118, vcc_lo
	v_cmp_gt_f32_e32 vcc_lo, 0, v119
	v_cndmask_b32_e64 v130, v119, -v119, vcc_lo
	s_wait_dscnt 0x0
	v_cmp_gt_f32_e32 vcc_lo, 0, v126
	v_cndmask_b32_e64 v129, v126, -v126, vcc_lo
	v_cmp_gt_f32_e32 vcc_lo, 0, v127
	v_cndmask_b32_e64 v131, v127, -v127, vcc_lo
	s_delay_alu instid0(VALU_DEP_1) | instskip(NEXT) | instid1(VALU_DEP_1)
	v_pk_add_f32 v[128:129], v[128:129], v[130:131]
	v_cmp_lt_f32_e32 vcc_lo, v128, v129
	v_dual_add_nc_u32 v117, 8, v117 :: v_dual_cndmask_b32 v119, v119, v127, vcc_lo
	v_cndmask_b32_e32 v118, v118, v126, vcc_lo
	v_cndmask_b32_e64 v116, v116, s0, vcc_lo
	s_add_co_i32 s0, s0, 1
	s_delay_alu instid0(SALU_CYCLE_1)
	s_cmp_lg_u32 s18, s0
	s_cbranch_scc1 .LBB108_610
.LBB108_611:
	s_wait_dscnt 0x0
	v_cmp_eq_f32_e32 vcc_lo, 0, v118
	v_cmp_eq_f32_e64 s0, 0, v119
	s_and_b32 s0, vcc_lo, s0
	s_delay_alu instid0(SALU_CYCLE_1) | instskip(NEXT) | instid1(SALU_CYCLE_1)
	s_and_saveexec_b32 s1, s0
	s_xor_b32 s0, exec_lo, s1
; %bb.612:
	v_cmp_ne_u32_e32 vcc_lo, 0, v122
	v_cndmask_b32_e32 v122, 30, v122, vcc_lo
; %bb.613:
	s_and_not1_saveexec_b32 s0, s0
	s_cbranch_execz .LBB108_619
; %bb.614:
	v_cmp_ngt_f32_e64 s1, |v118|, |v119|
	s_and_saveexec_b32 s12, s1
	s_delay_alu instid0(SALU_CYCLE_1)
	s_xor_b32 s1, exec_lo, s12
	s_cbranch_execz .LBB108_616
; %bb.615:
	v_div_scale_f32 v117, null, v119, v119, v118
	v_div_scale_f32 v127, vcc_lo, v118, v119, v118
	s_delay_alu instid0(VALU_DEP_2) | instskip(SKIP_1) | instid1(TRANS32_DEP_1)
	v_rcp_f32_e32 v125, v117
	v_nop
	v_fma_f32 v126, -v117, v125, 1.0
	s_delay_alu instid0(VALU_DEP_1) | instskip(NEXT) | instid1(VALU_DEP_1)
	v_fmac_f32_e32 v125, v126, v125
	v_mul_f32_e32 v126, v127, v125
	s_delay_alu instid0(VALU_DEP_1) | instskip(NEXT) | instid1(VALU_DEP_1)
	v_fma_f32 v128, -v117, v126, v127
	v_fmac_f32_e32 v126, v128, v125
	s_delay_alu instid0(VALU_DEP_1) | instskip(NEXT) | instid1(VALU_DEP_1)
	v_fma_f32 v117, -v117, v126, v127
	v_div_fmas_f32 v117, v117, v125, v126
	s_delay_alu instid0(VALU_DEP_1) | instskip(NEXT) | instid1(VALU_DEP_1)
	v_div_fixup_f32 v117, v117, v119, v118
	v_fmac_f32_e32 v119, v118, v117
	s_delay_alu instid0(VALU_DEP_1) | instskip(SKIP_1) | instid1(VALU_DEP_2)
	v_div_scale_f32 v118, null, v119, v119, 1.0
	v_div_scale_f32 v127, vcc_lo, 1.0, v119, 1.0
	v_rcp_f32_e32 v125, v118
	v_nop
	s_delay_alu instid0(TRANS32_DEP_1) | instskip(NEXT) | instid1(VALU_DEP_1)
	v_fma_f32 v126, -v118, v125, 1.0
	v_fmac_f32_e32 v125, v126, v125
	s_delay_alu instid0(VALU_DEP_1) | instskip(NEXT) | instid1(VALU_DEP_1)
	v_mul_f32_e32 v126, v127, v125
	v_fma_f32 v128, -v118, v126, v127
	s_delay_alu instid0(VALU_DEP_1) | instskip(NEXT) | instid1(VALU_DEP_1)
	v_fmac_f32_e32 v126, v128, v125
	v_fma_f32 v118, -v118, v126, v127
	s_delay_alu instid0(VALU_DEP_1) | instskip(NEXT) | instid1(VALU_DEP_1)
	v_div_fmas_f32 v118, v118, v125, v126
	v_div_fixup_f32 v119, v118, v119, 1.0
	s_delay_alu instid0(VALU_DEP_1)
	v_mul_f32_e32 v118, v117, v119
	v_xor_b32_e32 v119, 0x80000000, v119
.LBB108_616:
	s_and_not1_saveexec_b32 s1, s1
	s_cbranch_execz .LBB108_618
; %bb.617:
	s_delay_alu instid0(VALU_DEP_1) | instskip(SKIP_1) | instid1(VALU_DEP_2)
	v_div_scale_f32 v117, null, v118, v118, v119
	v_div_scale_f32 v127, vcc_lo, v119, v118, v119
	v_rcp_f32_e32 v125, v117
	v_nop
	s_delay_alu instid0(TRANS32_DEP_1) | instskip(NEXT) | instid1(VALU_DEP_1)
	v_fma_f32 v126, -v117, v125, 1.0
	v_fmac_f32_e32 v125, v126, v125
	s_delay_alu instid0(VALU_DEP_1) | instskip(NEXT) | instid1(VALU_DEP_1)
	v_mul_f32_e32 v126, v127, v125
	v_fma_f32 v128, -v117, v126, v127
	s_delay_alu instid0(VALU_DEP_1) | instskip(NEXT) | instid1(VALU_DEP_1)
	v_fmac_f32_e32 v126, v128, v125
	v_fma_f32 v117, -v117, v126, v127
	s_delay_alu instid0(VALU_DEP_1) | instskip(NEXT) | instid1(VALU_DEP_1)
	v_div_fmas_f32 v117, v117, v125, v126
	v_div_fixup_f32 v117, v117, v118, v119
	s_delay_alu instid0(VALU_DEP_1) | instskip(NEXT) | instid1(VALU_DEP_1)
	v_fmac_f32_e32 v118, v119, v117
	v_div_scale_f32 v119, null, v118, v118, 1.0
	s_delay_alu instid0(VALU_DEP_1) | instskip(SKIP_1) | instid1(TRANS32_DEP_1)
	v_rcp_f32_e32 v125, v119
	v_nop
	v_fma_f32 v126, -v119, v125, 1.0
	s_delay_alu instid0(VALU_DEP_1) | instskip(SKIP_1) | instid1(VALU_DEP_1)
	v_fmac_f32_e32 v125, v126, v125
	v_div_scale_f32 v126, vcc_lo, 1.0, v118, 1.0
	v_mul_f32_e32 v127, v126, v125
	s_delay_alu instid0(VALU_DEP_1) | instskip(NEXT) | instid1(VALU_DEP_1)
	v_fma_f32 v128, -v119, v127, v126
	v_fmac_f32_e32 v127, v128, v125
	s_delay_alu instid0(VALU_DEP_1) | instskip(NEXT) | instid1(VALU_DEP_1)
	v_fma_f32 v119, -v119, v127, v126
	v_div_fmas_f32 v119, v119, v125, v127
	s_delay_alu instid0(VALU_DEP_1) | instskip(NEXT) | instid1(VALU_DEP_1)
	v_div_fixup_f32 v118, v119, v118, 1.0
	v_mul_f32_e64 v119, v117, -v118
.LBB108_618:
	s_or_b32 exec_lo, exec_lo, s1
.LBB108_619:
	s_delay_alu instid0(SALU_CYCLE_1) | instskip(NEXT) | instid1(SALU_CYCLE_1)
	s_or_b32 exec_lo, exec_lo, s0
	s_mov_b32 s0, exec_lo
	v_cmpx_ne_u32_e64 v124, v116
	s_xor_b32 s0, exec_lo, s0
	s_cbranch_execz .LBB108_625
; %bb.620:
	s_mov_b32 s1, exec_lo
	v_cmpx_eq_u32_e32 29, v124
	s_cbranch_execz .LBB108_624
; %bb.621:
	v_cmp_ne_u32_e32 vcc_lo, 29, v116
	s_xor_b32 s12, s16, -1
	s_delay_alu instid0(SALU_CYCLE_1) | instskip(NEXT) | instid1(SALU_CYCLE_1)
	s_and_b32 s13, s12, vcc_lo
	s_and_saveexec_b32 s12, s13
	s_cbranch_execz .LBB108_623
; %bb.622:
	v_ashrrev_i32_e32 v117, 31, v116
	s_delay_alu instid0(VALU_DEP_1)
	v_lshl_add_u64 v[124:125], v[116:117], 2, v[4:5]
	s_clause 0x1
	global_load_b32 v117, v[124:125], off
	global_load_b32 v123, v[4:5], off offset:116
	s_wait_loadcnt 0x1
	global_store_b32 v[4:5], v117, off offset:116
	s_wait_loadcnt 0x0
	global_store_b32 v[124:125], v123, off
.LBB108_623:
	s_wait_xcnt 0x0
	s_or_b32 exec_lo, exec_lo, s12
	v_dual_mov_b32 v124, v116 :: v_dual_mov_b32 v123, v116
.LBB108_624:
	s_or_b32 exec_lo, exec_lo, s1
.LBB108_625:
	s_and_not1_saveexec_b32 s0, s0
	s_cbranch_execz .LBB108_627
; %bb.626:
	v_dual_mov_b32 v116, v28 :: v_dual_mov_b32 v117, v29
	v_dual_mov_b32 v124, v26 :: v_dual_mov_b32 v125, v27
	ds_store_2addr_b64 v120, v[116:117], v[124:125] offset0:30 offset1:31
	v_dual_mov_b32 v116, v76 :: v_dual_mov_b32 v117, v77
	v_dual_mov_b32 v124, v74 :: v_dual_mov_b32 v125, v75
	ds_store_2addr_b64 v120, v[116:117], v[124:125] offset0:32 offset1:33
	;; [unrolled: 3-line block ×12, first 2 shown]
	ds_store_b64 v120, v[114:115] offset:432
	v_mov_b32_e32 v124, 29
.LBB108_627:
	s_or_b32 exec_lo, exec_lo, s0
	s_delay_alu instid0(SALU_CYCLE_1)
	s_mov_b32 s0, exec_lo
	s_wait_storecnt_dscnt 0x0
	s_barrier_signal -1
	s_barrier_wait -1
	v_cmpx_lt_i32_e32 29, v124
	s_cbranch_execz .LBB108_629
; %bb.628:
	v_pk_mul_f32 v[126:127], v[118:119], v[78:79] op_sel:[1,1] op_sel_hi:[0,1]
	s_delay_alu instid0(VALU_DEP_1)
	v_pk_fma_f32 v[116:117], v[118:119], v[78:79], v[126:127] op_sel_hi:[1,0,1] neg_lo:[0,0,1] neg_hi:[0,0,1]
	v_pk_fma_f32 v[118:119], v[118:119], v[78:79], v[126:127] op_sel_hi:[1,0,1]
	ds_load_2addr_b64 v[126:129], v120 offset0:30 offset1:31
	v_dual_mov_b32 v78, v116 :: v_dual_mov_b32 v79, v119
	s_wait_dscnt 0x0
	v_pk_mul_f32 v[130:131], v[126:127], v[118:119] op_sel:[0,1]
	s_delay_alu instid0(VALU_DEP_1) | instskip(SKIP_1) | instid1(VALU_DEP_1)
	v_pk_fma_f32 v[132:133], v[126:127], v[116:117], v[130:131] op_sel:[0,0,1] op_sel_hi:[1,1,0] neg_lo:[0,0,1] neg_hi:[0,0,1]
	v_pk_fma_f32 v[126:127], v[126:127], v[116:117], v[130:131] op_sel:[0,0,1] op_sel_hi:[1,0,0]
	v_mov_b32_e32 v133, v127
	v_pk_mul_f32 v[126:127], v[128:129], v[118:119] op_sel:[0,1]
	s_delay_alu instid0(VALU_DEP_1) | instskip(SKIP_1) | instid1(VALU_DEP_1)
	v_pk_fma_f32 v[130:131], v[128:129], v[116:117], v[126:127] op_sel:[0,0,1] op_sel_hi:[1,1,0] neg_lo:[0,0,1] neg_hi:[0,0,1]
	v_pk_fma_f32 v[126:127], v[128:129], v[116:117], v[126:127] op_sel:[0,0,1] op_sel_hi:[1,0,0]
	v_mov_b32_e32 v131, v127
	ds_load_2addr_b64 v[126:129], v120 offset0:32 offset1:33
	v_pk_add_f32 v[28:29], v[28:29], v[132:133] neg_lo:[0,1] neg_hi:[0,1]
	v_pk_add_f32 v[26:27], v[26:27], v[130:131] neg_lo:[0,1] neg_hi:[0,1]
	s_wait_dscnt 0x0
	v_pk_mul_f32 v[130:131], v[126:127], v[118:119] op_sel:[0,1]
	s_delay_alu instid0(VALU_DEP_1) | instskip(SKIP_2) | instid1(VALU_DEP_2)
	v_pk_fma_f32 v[132:133], v[126:127], v[116:117], v[130:131] op_sel:[0,0,1] op_sel_hi:[1,1,0] neg_lo:[0,0,1] neg_hi:[0,0,1]
	v_pk_fma_f32 v[126:127], v[126:127], v[116:117], v[130:131] op_sel:[0,0,1] op_sel_hi:[1,0,0]
	v_dual_mul_f32 v130, v129, v119 :: v_dual_mov_b32 v126, v129
	v_dual_mov_b32 v133, v127 :: v_dual_mov_b32 v127, v128
	s_delay_alu instid0(VALU_DEP_2) | instskip(SKIP_1) | instid1(VALU_DEP_3)
	v_pk_fma_f32 v[130:131], v[128:129], v[78:79], v[130:131] op_sel_hi:[1,1,0] neg_lo:[0,0,1] neg_hi:[0,0,1]
	v_mul_f32_e32 v128, v129, v116
	v_pk_add_f32 v[76:77], v[76:77], v[132:133] neg_lo:[0,1] neg_hi:[0,1]
	s_delay_alu instid0(VALU_DEP_2) | instskip(NEXT) | instid1(VALU_DEP_1)
	v_pk_fma_f32 v[126:127], v[126:127], v[78:79], v[128:129] op_sel_hi:[1,1,0]
	v_mov_b32_e32 v131, v127
	ds_load_2addr_b64 v[126:129], v120 offset0:34 offset1:35
	v_pk_add_f32 v[74:75], v[74:75], v[130:131] neg_lo:[0,1] neg_hi:[0,1]
	s_wait_dscnt 0x0
	v_pk_mul_f32 v[130:131], v[126:127], v[118:119] op_sel:[0,1]
	s_delay_alu instid0(VALU_DEP_1) | instskip(SKIP_1) | instid1(VALU_DEP_1)
	v_pk_fma_f32 v[132:133], v[126:127], v[116:117], v[130:131] op_sel:[0,0,1] op_sel_hi:[1,1,0] neg_lo:[0,0,1] neg_hi:[0,0,1]
	v_pk_fma_f32 v[126:127], v[126:127], v[116:117], v[130:131] op_sel:[0,0,1] op_sel_hi:[1,0,0]
	v_mov_b32_e32 v133, v127
	v_pk_mul_f32 v[126:127], v[128:129], v[118:119] op_sel:[0,1]
	s_delay_alu instid0(VALU_DEP_1) | instskip(SKIP_1) | instid1(VALU_DEP_1)
	v_pk_fma_f32 v[130:131], v[128:129], v[116:117], v[126:127] op_sel:[0,0,1] op_sel_hi:[1,1,0] neg_lo:[0,0,1] neg_hi:[0,0,1]
	v_pk_fma_f32 v[126:127], v[128:129], v[116:117], v[126:127] op_sel:[0,0,1] op_sel_hi:[1,0,0]
	v_mov_b32_e32 v131, v127
	ds_load_2addr_b64 v[126:129], v120 offset0:36 offset1:37
	v_pk_add_f32 v[22:23], v[22:23], v[132:133] neg_lo:[0,1] neg_hi:[0,1]
	v_pk_add_f32 v[20:21], v[20:21], v[130:131] neg_lo:[0,1] neg_hi:[0,1]
	s_wait_dscnt 0x0
	v_pk_mul_f32 v[130:131], v[126:127], v[118:119] op_sel:[0,1]
	s_delay_alu instid0(VALU_DEP_1) | instskip(SKIP_1) | instid1(VALU_DEP_1)
	v_pk_fma_f32 v[132:133], v[126:127], v[116:117], v[130:131] op_sel:[0,0,1] op_sel_hi:[1,1,0] neg_lo:[0,0,1] neg_hi:[0,0,1]
	v_pk_fma_f32 v[126:127], v[126:127], v[116:117], v[130:131] op_sel:[0,0,1] op_sel_hi:[1,0,0]
	v_mov_b32_e32 v133, v127
	v_pk_mul_f32 v[126:127], v[128:129], v[118:119] op_sel:[0,1]
	s_delay_alu instid0(VALU_DEP_1) | instskip(SKIP_1) | instid1(VALU_DEP_1)
	v_pk_fma_f32 v[130:131], v[128:129], v[116:117], v[126:127] op_sel:[0,0,1] op_sel_hi:[1,1,0] neg_lo:[0,0,1] neg_hi:[0,0,1]
	v_pk_fma_f32 v[126:127], v[128:129], v[116:117], v[126:127] op_sel:[0,0,1] op_sel_hi:[1,0,0]
	v_mov_b32_e32 v131, v127
	ds_load_2addr_b64 v[126:129], v120 offset0:38 offset1:39
	v_pk_add_f32 v[72:73], v[72:73], v[132:133] neg_lo:[0,1] neg_hi:[0,1]
	v_pk_add_f32 v[70:71], v[70:71], v[130:131] neg_lo:[0,1] neg_hi:[0,1]
	s_wait_dscnt 0x0
	v_dual_mul_f32 v130, v127, v119 :: v_dual_mul_f32 v132, v127, v116
	s_delay_alu instid0(VALU_DEP_1) | instskip(NEXT) | instid1(VALU_DEP_2)
	v_pk_fma_f32 v[130:131], v[126:127], v[78:79], v[130:131] op_sel_hi:[1,1,0] neg_lo:[0,0,1] neg_hi:[0,0,1]
	v_pk_fma_f32 v[126:127], v[126:127], v[78:79], v[132:133] op_sel:[1,0,0] op_sel_hi:[0,1,0]
	s_delay_alu instid0(VALU_DEP_1) | instskip(SKIP_1) | instid1(VALU_DEP_2)
	v_mov_b32_e32 v131, v127
	v_pk_mul_f32 v[126:127], v[128:129], v[118:119] op_sel:[0,1]
	v_pk_add_f32 v[18:19], v[18:19], v[130:131] neg_lo:[0,1] neg_hi:[0,1]
	s_delay_alu instid0(VALU_DEP_2) | instskip(SKIP_1) | instid1(VALU_DEP_1)
	v_pk_fma_f32 v[130:131], v[128:129], v[116:117], v[126:127] op_sel:[0,0,1] op_sel_hi:[1,1,0] neg_lo:[0,0,1] neg_hi:[0,0,1]
	v_pk_fma_f32 v[126:127], v[128:129], v[116:117], v[126:127] op_sel:[0,0,1] op_sel_hi:[1,0,0]
	v_mov_b32_e32 v131, v127
	ds_load_2addr_b64 v[126:129], v120 offset0:40 offset1:41
	v_pk_add_f32 v[16:17], v[16:17], v[130:131] neg_lo:[0,1] neg_hi:[0,1]
	s_wait_dscnt 0x0
	v_pk_mul_f32 v[130:131], v[126:127], v[118:119] op_sel:[0,1]
	s_delay_alu instid0(VALU_DEP_1) | instskip(SKIP_1) | instid1(VALU_DEP_1)
	v_pk_fma_f32 v[132:133], v[126:127], v[116:117], v[130:131] op_sel:[0,0,1] op_sel_hi:[1,1,0] neg_lo:[0,0,1] neg_hi:[0,0,1]
	v_pk_fma_f32 v[126:127], v[126:127], v[116:117], v[130:131] op_sel:[0,0,1] op_sel_hi:[1,0,0]
	v_mov_b32_e32 v133, v127
	v_pk_mul_f32 v[126:127], v[128:129], v[118:119] op_sel:[0,1]
	s_delay_alu instid0(VALU_DEP_2) | instskip(NEXT) | instid1(VALU_DEP_2)
	v_pk_add_f32 v[68:69], v[68:69], v[132:133] neg_lo:[0,1] neg_hi:[0,1]
	v_pk_fma_f32 v[130:131], v[128:129], v[116:117], v[126:127] op_sel:[0,0,1] op_sel_hi:[1,1,0] neg_lo:[0,0,1] neg_hi:[0,0,1]
	v_pk_fma_f32 v[126:127], v[128:129], v[116:117], v[126:127] op_sel:[0,0,1] op_sel_hi:[1,0,0]
	s_delay_alu instid0(VALU_DEP_1) | instskip(SKIP_4) | instid1(VALU_DEP_1)
	v_mov_b32_e32 v131, v127
	ds_load_2addr_b64 v[126:129], v120 offset0:42 offset1:43
	v_pk_add_f32 v[66:67], v[66:67], v[130:131] neg_lo:[0,1] neg_hi:[0,1]
	s_wait_dscnt 0x0
	v_pk_mul_f32 v[130:131], v[126:127], v[118:119] op_sel:[0,1]
	v_pk_fma_f32 v[132:133], v[126:127], v[116:117], v[130:131] op_sel:[0,0,1] op_sel_hi:[1,1,0] neg_lo:[0,0,1] neg_hi:[0,0,1]
	v_pk_fma_f32 v[126:127], v[126:127], v[116:117], v[130:131] op_sel:[0,0,1] op_sel_hi:[1,0,0]
	v_dual_mul_f32 v130, v129, v119 :: v_dual_mov_b32 v126, v129
	s_delay_alu instid0(VALU_DEP_2) | instskip(NEXT) | instid1(VALU_DEP_2)
	v_dual_mov_b32 v133, v127 :: v_dual_mov_b32 v127, v128
	v_pk_fma_f32 v[130:131], v[128:129], v[78:79], v[130:131] op_sel_hi:[1,1,0] neg_lo:[0,0,1] neg_hi:[0,0,1]
	v_mul_f32_e32 v128, v129, v116
	s_delay_alu instid0(VALU_DEP_3) | instskip(NEXT) | instid1(VALU_DEP_2)
	v_pk_add_f32 v[14:15], v[14:15], v[132:133] neg_lo:[0,1] neg_hi:[0,1]
	v_pk_fma_f32 v[126:127], v[126:127], v[78:79], v[128:129] op_sel_hi:[1,1,0]
	s_delay_alu instid0(VALU_DEP_1) | instskip(SKIP_4) | instid1(VALU_DEP_1)
	v_mov_b32_e32 v131, v127
	ds_load_2addr_b64 v[126:129], v120 offset0:44 offset1:45
	v_pk_add_f32 v[12:13], v[12:13], v[130:131] neg_lo:[0,1] neg_hi:[0,1]
	s_wait_dscnt 0x0
	v_pk_mul_f32 v[130:131], v[126:127], v[118:119] op_sel:[0,1]
	v_pk_fma_f32 v[132:133], v[126:127], v[116:117], v[130:131] op_sel:[0,0,1] op_sel_hi:[1,1,0] neg_lo:[0,0,1] neg_hi:[0,0,1]
	v_pk_fma_f32 v[126:127], v[126:127], v[116:117], v[130:131] op_sel:[0,0,1] op_sel_hi:[1,0,0]
	s_delay_alu instid0(VALU_DEP_1) | instskip(SKIP_1) | instid1(VALU_DEP_1)
	v_mov_b32_e32 v133, v127
	v_pk_mul_f32 v[126:127], v[128:129], v[118:119] op_sel:[0,1]
	v_pk_fma_f32 v[130:131], v[128:129], v[116:117], v[126:127] op_sel:[0,0,1] op_sel_hi:[1,1,0] neg_lo:[0,0,1] neg_hi:[0,0,1]
	v_pk_fma_f32 v[126:127], v[128:129], v[116:117], v[126:127] op_sel:[0,0,1] op_sel_hi:[1,0,0]
	s_delay_alu instid0(VALU_DEP_1)
	v_mov_b32_e32 v131, v127
	ds_load_2addr_b64 v[126:129], v120 offset0:46 offset1:47
	v_pk_add_f32 v[64:65], v[64:65], v[132:133] neg_lo:[0,1] neg_hi:[0,1]
	v_pk_add_f32 v[62:63], v[62:63], v[130:131] neg_lo:[0,1] neg_hi:[0,1]
	s_wait_dscnt 0x0
	v_pk_mul_f32 v[130:131], v[126:127], v[118:119] op_sel:[0,1]
	s_delay_alu instid0(VALU_DEP_1) | instskip(SKIP_1) | instid1(VALU_DEP_1)
	v_pk_fma_f32 v[132:133], v[126:127], v[116:117], v[130:131] op_sel:[0,0,1] op_sel_hi:[1,1,0] neg_lo:[0,0,1] neg_hi:[0,0,1]
	v_pk_fma_f32 v[126:127], v[126:127], v[116:117], v[130:131] op_sel:[0,0,1] op_sel_hi:[1,0,0]
	v_mov_b32_e32 v133, v127
	v_pk_mul_f32 v[126:127], v[128:129], v[118:119] op_sel:[0,1]
	s_delay_alu instid0(VALU_DEP_1) | instskip(SKIP_1) | instid1(VALU_DEP_1)
	v_pk_fma_f32 v[130:131], v[128:129], v[116:117], v[126:127] op_sel:[0,0,1] op_sel_hi:[1,1,0] neg_lo:[0,0,1] neg_hi:[0,0,1]
	v_pk_fma_f32 v[126:127], v[128:129], v[116:117], v[126:127] op_sel:[0,0,1] op_sel_hi:[1,0,0]
	v_mov_b32_e32 v131, v127
	ds_load_2addr_b64 v[126:129], v120 offset0:48 offset1:49
	v_pk_add_f32 v[10:11], v[10:11], v[132:133] neg_lo:[0,1] neg_hi:[0,1]
	v_pk_add_f32 v[6:7], v[6:7], v[130:131] neg_lo:[0,1] neg_hi:[0,1]
	s_wait_dscnt 0x0
	v_dual_mul_f32 v130, v127, v119 :: v_dual_mul_f32 v132, v127, v116
	s_delay_alu instid0(VALU_DEP_1) | instskip(NEXT) | instid1(VALU_DEP_2)
	v_pk_fma_f32 v[130:131], v[126:127], v[78:79], v[130:131] op_sel_hi:[1,1,0] neg_lo:[0,0,1] neg_hi:[0,0,1]
	v_pk_fma_f32 v[126:127], v[126:127], v[78:79], v[132:133] op_sel:[1,0,0] op_sel_hi:[0,1,0]
	s_delay_alu instid0(VALU_DEP_1) | instskip(SKIP_1) | instid1(VALU_DEP_2)
	v_mov_b32_e32 v131, v127
	v_pk_mul_f32 v[126:127], v[128:129], v[118:119] op_sel:[0,1]
	v_pk_add_f32 v[52:53], v[52:53], v[130:131] neg_lo:[0,1] neg_hi:[0,1]
	s_delay_alu instid0(VALU_DEP_2) | instskip(SKIP_1) | instid1(VALU_DEP_1)
	v_pk_fma_f32 v[130:131], v[128:129], v[116:117], v[126:127] op_sel:[0,0,1] op_sel_hi:[1,1,0] neg_lo:[0,0,1] neg_hi:[0,0,1]
	v_pk_fma_f32 v[126:127], v[128:129], v[116:117], v[126:127] op_sel:[0,0,1] op_sel_hi:[1,0,0]
	v_mov_b32_e32 v131, v127
	ds_load_2addr_b64 v[126:129], v120 offset0:50 offset1:51
	v_pk_add_f32 v[50:51], v[50:51], v[130:131] neg_lo:[0,1] neg_hi:[0,1]
	s_wait_dscnt 0x0
	v_pk_mul_f32 v[130:131], v[126:127], v[118:119] op_sel:[0,1]
	s_delay_alu instid0(VALU_DEP_1) | instskip(SKIP_1) | instid1(VALU_DEP_1)
	v_pk_fma_f32 v[132:133], v[126:127], v[116:117], v[130:131] op_sel:[0,0,1] op_sel_hi:[1,1,0] neg_lo:[0,0,1] neg_hi:[0,0,1]
	v_pk_fma_f32 v[126:127], v[126:127], v[116:117], v[130:131] op_sel:[0,0,1] op_sel_hi:[1,0,0]
	v_mov_b32_e32 v133, v127
	v_pk_mul_f32 v[126:127], v[128:129], v[118:119] op_sel:[0,1]
	s_delay_alu instid0(VALU_DEP_2) | instskip(NEXT) | instid1(VALU_DEP_2)
	v_pk_add_f32 v[8:9], v[8:9], v[132:133] neg_lo:[0,1] neg_hi:[0,1]
	v_pk_fma_f32 v[130:131], v[128:129], v[116:117], v[126:127] op_sel:[0,0,1] op_sel_hi:[1,1,0] neg_lo:[0,0,1] neg_hi:[0,0,1]
	v_pk_fma_f32 v[126:127], v[128:129], v[116:117], v[126:127] op_sel:[0,0,1] op_sel_hi:[1,0,0]
	s_delay_alu instid0(VALU_DEP_1) | instskip(SKIP_4) | instid1(VALU_DEP_1)
	v_mov_b32_e32 v131, v127
	ds_load_2addr_b64 v[126:129], v120 offset0:52 offset1:53
	v_pk_add_f32 v[30:31], v[30:31], v[130:131] neg_lo:[0,1] neg_hi:[0,1]
	s_wait_dscnt 0x0
	v_pk_mul_f32 v[130:131], v[126:127], v[118:119] op_sel:[0,1]
	v_pk_fma_f32 v[132:133], v[126:127], v[116:117], v[130:131] op_sel:[0,0,1] op_sel_hi:[1,1,0] neg_lo:[0,0,1] neg_hi:[0,0,1]
	v_pk_fma_f32 v[126:127], v[126:127], v[116:117], v[130:131] op_sel:[0,0,1] op_sel_hi:[1,0,0]
	v_dual_mul_f32 v130, v129, v119 :: v_dual_mov_b32 v126, v129
	s_delay_alu instid0(VALU_DEP_2) | instskip(NEXT) | instid1(VALU_DEP_2)
	v_dual_mov_b32 v133, v127 :: v_dual_mov_b32 v127, v128
	v_pk_fma_f32 v[130:131], v[128:129], v[78:79], v[130:131] op_sel_hi:[1,1,0] neg_lo:[0,0,1] neg_hi:[0,0,1]
	v_mul_f32_e32 v128, v129, v116
	s_delay_alu instid0(VALU_DEP_3) | instskip(NEXT) | instid1(VALU_DEP_2)
	v_pk_add_f32 v[34:35], v[34:35], v[132:133] neg_lo:[0,1] neg_hi:[0,1]
	v_pk_fma_f32 v[126:127], v[126:127], v[78:79], v[128:129] op_sel_hi:[1,1,0]
	s_delay_alu instid0(VALU_DEP_1) | instskip(SKIP_4) | instid1(VALU_DEP_1)
	v_mov_b32_e32 v131, v127
	ds_load_b64 v[126:127], v120 offset:432
	v_pk_add_f32 v[24:25], v[24:25], v[130:131] neg_lo:[0,1] neg_hi:[0,1]
	s_wait_dscnt 0x0
	v_pk_mul_f32 v[118:119], v[126:127], v[118:119] op_sel:[0,1]
	v_pk_fma_f32 v[128:129], v[126:127], v[116:117], v[118:119] op_sel:[0,0,1] op_sel_hi:[1,1,0] neg_lo:[0,0,1] neg_hi:[0,0,1]
	v_pk_fma_f32 v[116:117], v[126:127], v[116:117], v[118:119] op_sel:[0,0,1] op_sel_hi:[1,0,0]
	s_delay_alu instid0(VALU_DEP_1) | instskip(NEXT) | instid1(VALU_DEP_1)
	v_mov_b32_e32 v129, v117
	v_pk_add_f32 v[114:115], v[114:115], v[128:129] neg_lo:[0,1] neg_hi:[0,1]
.LBB108_629:
	s_or_b32 exec_lo, exec_lo, s0
	v_lshl_add_u32 v116, v124, 3, v120
	s_barrier_signal -1
	s_barrier_wait -1
	ds_store_b64 v116, v[28:29]
	s_wait_dscnt 0x0
	s_barrier_signal -1
	s_barrier_wait -1
	ds_load_b64 v[118:119], v120 offset:240
	v_mov_b32_e32 v116, 30
	s_cmp_lt_i32 s18, 32
	s_cbranch_scc1 .LBB108_632
; %bb.630:
	v_add3_u32 v117, v121, 0, 0xf8
	v_mov_b32_e32 v116, 30
	s_mov_b32 s0, 31
.LBB108_631:                            ; =>This Inner Loop Header: Depth=1
	ds_load_b64 v[126:127], v117
	s_wait_dscnt 0x1
	v_cmp_gt_f32_e32 vcc_lo, 0, v118
	v_cndmask_b32_e64 v128, v118, -v118, vcc_lo
	v_cmp_gt_f32_e32 vcc_lo, 0, v119
	v_cndmask_b32_e64 v130, v119, -v119, vcc_lo
	s_wait_dscnt 0x0
	v_cmp_gt_f32_e32 vcc_lo, 0, v126
	v_cndmask_b32_e64 v129, v126, -v126, vcc_lo
	v_cmp_gt_f32_e32 vcc_lo, 0, v127
	v_cndmask_b32_e64 v131, v127, -v127, vcc_lo
	s_delay_alu instid0(VALU_DEP_1) | instskip(NEXT) | instid1(VALU_DEP_1)
	v_pk_add_f32 v[128:129], v[128:129], v[130:131]
	v_cmp_lt_f32_e32 vcc_lo, v128, v129
	v_dual_add_nc_u32 v117, 8, v117 :: v_dual_cndmask_b32 v119, v119, v127, vcc_lo
	v_cndmask_b32_e32 v118, v118, v126, vcc_lo
	v_cndmask_b32_e64 v116, v116, s0, vcc_lo
	s_add_co_i32 s0, s0, 1
	s_delay_alu instid0(SALU_CYCLE_1)
	s_cmp_lg_u32 s18, s0
	s_cbranch_scc1 .LBB108_631
.LBB108_632:
	s_wait_dscnt 0x0
	v_cmp_eq_f32_e32 vcc_lo, 0, v118
	v_cmp_eq_f32_e64 s0, 0, v119
	s_and_b32 s0, vcc_lo, s0
	s_delay_alu instid0(SALU_CYCLE_1) | instskip(NEXT) | instid1(SALU_CYCLE_1)
	s_and_saveexec_b32 s1, s0
	s_xor_b32 s0, exec_lo, s1
; %bb.633:
	v_cmp_ne_u32_e32 vcc_lo, 0, v122
	v_cndmask_b32_e32 v122, 31, v122, vcc_lo
; %bb.634:
	s_and_not1_saveexec_b32 s0, s0
	s_cbranch_execz .LBB108_640
; %bb.635:
	v_cmp_ngt_f32_e64 s1, |v118|, |v119|
	s_and_saveexec_b32 s12, s1
	s_delay_alu instid0(SALU_CYCLE_1)
	s_xor_b32 s1, exec_lo, s12
	s_cbranch_execz .LBB108_637
; %bb.636:
	v_div_scale_f32 v117, null, v119, v119, v118
	v_div_scale_f32 v127, vcc_lo, v118, v119, v118
	s_delay_alu instid0(VALU_DEP_2) | instskip(SKIP_1) | instid1(TRANS32_DEP_1)
	v_rcp_f32_e32 v125, v117
	v_nop
	v_fma_f32 v126, -v117, v125, 1.0
	s_delay_alu instid0(VALU_DEP_1) | instskip(NEXT) | instid1(VALU_DEP_1)
	v_fmac_f32_e32 v125, v126, v125
	v_mul_f32_e32 v126, v127, v125
	s_delay_alu instid0(VALU_DEP_1) | instskip(NEXT) | instid1(VALU_DEP_1)
	v_fma_f32 v128, -v117, v126, v127
	v_fmac_f32_e32 v126, v128, v125
	s_delay_alu instid0(VALU_DEP_1) | instskip(NEXT) | instid1(VALU_DEP_1)
	v_fma_f32 v117, -v117, v126, v127
	v_div_fmas_f32 v117, v117, v125, v126
	s_delay_alu instid0(VALU_DEP_1) | instskip(NEXT) | instid1(VALU_DEP_1)
	v_div_fixup_f32 v117, v117, v119, v118
	v_fmac_f32_e32 v119, v118, v117
	s_delay_alu instid0(VALU_DEP_1) | instskip(SKIP_1) | instid1(VALU_DEP_2)
	v_div_scale_f32 v118, null, v119, v119, 1.0
	v_div_scale_f32 v127, vcc_lo, 1.0, v119, 1.0
	v_rcp_f32_e32 v125, v118
	v_nop
	s_delay_alu instid0(TRANS32_DEP_1) | instskip(NEXT) | instid1(VALU_DEP_1)
	v_fma_f32 v126, -v118, v125, 1.0
	v_fmac_f32_e32 v125, v126, v125
	s_delay_alu instid0(VALU_DEP_1) | instskip(NEXT) | instid1(VALU_DEP_1)
	v_mul_f32_e32 v126, v127, v125
	v_fma_f32 v128, -v118, v126, v127
	s_delay_alu instid0(VALU_DEP_1) | instskip(NEXT) | instid1(VALU_DEP_1)
	v_fmac_f32_e32 v126, v128, v125
	v_fma_f32 v118, -v118, v126, v127
	s_delay_alu instid0(VALU_DEP_1) | instskip(NEXT) | instid1(VALU_DEP_1)
	v_div_fmas_f32 v118, v118, v125, v126
	v_div_fixup_f32 v119, v118, v119, 1.0
	s_delay_alu instid0(VALU_DEP_1)
	v_mul_f32_e32 v118, v117, v119
	v_xor_b32_e32 v119, 0x80000000, v119
.LBB108_637:
	s_and_not1_saveexec_b32 s1, s1
	s_cbranch_execz .LBB108_639
; %bb.638:
	s_delay_alu instid0(VALU_DEP_1) | instskip(SKIP_1) | instid1(VALU_DEP_2)
	v_div_scale_f32 v117, null, v118, v118, v119
	v_div_scale_f32 v127, vcc_lo, v119, v118, v119
	v_rcp_f32_e32 v125, v117
	v_nop
	s_delay_alu instid0(TRANS32_DEP_1) | instskip(NEXT) | instid1(VALU_DEP_1)
	v_fma_f32 v126, -v117, v125, 1.0
	v_fmac_f32_e32 v125, v126, v125
	s_delay_alu instid0(VALU_DEP_1) | instskip(NEXT) | instid1(VALU_DEP_1)
	v_mul_f32_e32 v126, v127, v125
	v_fma_f32 v128, -v117, v126, v127
	s_delay_alu instid0(VALU_DEP_1) | instskip(NEXT) | instid1(VALU_DEP_1)
	v_fmac_f32_e32 v126, v128, v125
	v_fma_f32 v117, -v117, v126, v127
	s_delay_alu instid0(VALU_DEP_1) | instskip(NEXT) | instid1(VALU_DEP_1)
	v_div_fmas_f32 v117, v117, v125, v126
	v_div_fixup_f32 v117, v117, v118, v119
	s_delay_alu instid0(VALU_DEP_1) | instskip(NEXT) | instid1(VALU_DEP_1)
	v_fmac_f32_e32 v118, v119, v117
	v_div_scale_f32 v119, null, v118, v118, 1.0
	s_delay_alu instid0(VALU_DEP_1) | instskip(SKIP_1) | instid1(TRANS32_DEP_1)
	v_rcp_f32_e32 v125, v119
	v_nop
	v_fma_f32 v126, -v119, v125, 1.0
	s_delay_alu instid0(VALU_DEP_1) | instskip(SKIP_1) | instid1(VALU_DEP_1)
	v_fmac_f32_e32 v125, v126, v125
	v_div_scale_f32 v126, vcc_lo, 1.0, v118, 1.0
	v_mul_f32_e32 v127, v126, v125
	s_delay_alu instid0(VALU_DEP_1) | instskip(NEXT) | instid1(VALU_DEP_1)
	v_fma_f32 v128, -v119, v127, v126
	v_fmac_f32_e32 v127, v128, v125
	s_delay_alu instid0(VALU_DEP_1) | instskip(NEXT) | instid1(VALU_DEP_1)
	v_fma_f32 v119, -v119, v127, v126
	v_div_fmas_f32 v119, v119, v125, v127
	s_delay_alu instid0(VALU_DEP_1) | instskip(NEXT) | instid1(VALU_DEP_1)
	v_div_fixup_f32 v118, v119, v118, 1.0
	v_mul_f32_e64 v119, v117, -v118
.LBB108_639:
	s_or_b32 exec_lo, exec_lo, s1
.LBB108_640:
	s_delay_alu instid0(SALU_CYCLE_1) | instskip(NEXT) | instid1(SALU_CYCLE_1)
	s_or_b32 exec_lo, exec_lo, s0
	s_mov_b32 s0, exec_lo
	v_cmpx_ne_u32_e64 v124, v116
	s_xor_b32 s0, exec_lo, s0
	s_cbranch_execz .LBB108_646
; %bb.641:
	s_mov_b32 s1, exec_lo
	v_cmpx_eq_u32_e32 30, v124
	s_cbranch_execz .LBB108_645
; %bb.642:
	v_cmp_ne_u32_e32 vcc_lo, 30, v116
	s_xor_b32 s12, s16, -1
	s_delay_alu instid0(SALU_CYCLE_1) | instskip(NEXT) | instid1(SALU_CYCLE_1)
	s_and_b32 s13, s12, vcc_lo
	s_and_saveexec_b32 s12, s13
	s_cbranch_execz .LBB108_644
; %bb.643:
	v_ashrrev_i32_e32 v117, 31, v116
	s_delay_alu instid0(VALU_DEP_1)
	v_lshl_add_u64 v[124:125], v[116:117], 2, v[4:5]
	s_clause 0x1
	global_load_b32 v117, v[124:125], off
	global_load_b32 v123, v[4:5], off offset:120
	s_wait_loadcnt 0x1
	global_store_b32 v[4:5], v117, off offset:120
	s_wait_loadcnt 0x0
	global_store_b32 v[124:125], v123, off
.LBB108_644:
	s_wait_xcnt 0x0
	s_or_b32 exec_lo, exec_lo, s12
	v_dual_mov_b32 v124, v116 :: v_dual_mov_b32 v123, v116
.LBB108_645:
	s_or_b32 exec_lo, exec_lo, s1
.LBB108_646:
	s_and_not1_saveexec_b32 s0, s0
	s_cbranch_execz .LBB108_648
; %bb.647:
	v_mov_b32_e32 v124, 30
	ds_store_2addr_b64 v120, v[26:27], v[76:77] offset0:31 offset1:32
	ds_store_2addr_b64 v120, v[74:75], v[22:23] offset0:33 offset1:34
	;; [unrolled: 1-line block ×12, first 2 shown]
.LBB108_648:
	s_or_b32 exec_lo, exec_lo, s0
	s_delay_alu instid0(SALU_CYCLE_1)
	s_mov_b32 s0, exec_lo
	s_wait_storecnt_dscnt 0x0
	s_barrier_signal -1
	s_barrier_wait -1
	v_cmpx_lt_i32_e32 30, v124
	s_cbranch_execz .LBB108_650
; %bb.649:
	v_pk_mul_f32 v[126:127], v[118:119], v[28:29] op_sel:[1,1] op_sel_hi:[0,1]
	s_delay_alu instid0(VALU_DEP_1)
	v_pk_fma_f32 v[116:117], v[118:119], v[28:29], v[126:127] op_sel_hi:[1,0,1] neg_lo:[0,0,1] neg_hi:[0,0,1]
	v_pk_fma_f32 v[118:119], v[118:119], v[28:29], v[126:127] op_sel_hi:[1,0,1]
	ds_load_2addr_b64 v[126:129], v120 offset0:31 offset1:32
	v_dual_mov_b32 v28, v116 :: v_dual_mov_b32 v29, v119
	s_wait_dscnt 0x0
	v_pk_mul_f32 v[130:131], v[126:127], v[118:119] op_sel:[0,1]
	s_delay_alu instid0(VALU_DEP_1) | instskip(SKIP_1) | instid1(VALU_DEP_1)
	v_pk_fma_f32 v[132:133], v[126:127], v[116:117], v[130:131] op_sel:[0,0,1] op_sel_hi:[1,1,0] neg_lo:[0,0,1] neg_hi:[0,0,1]
	v_pk_fma_f32 v[126:127], v[126:127], v[116:117], v[130:131] op_sel:[0,0,1] op_sel_hi:[1,0,0]
	v_mov_b32_e32 v133, v127
	v_pk_mul_f32 v[126:127], v[128:129], v[118:119] op_sel:[0,1]
	s_delay_alu instid0(VALU_DEP_1) | instskip(SKIP_1) | instid1(VALU_DEP_1)
	v_pk_fma_f32 v[130:131], v[128:129], v[116:117], v[126:127] op_sel:[0,0,1] op_sel_hi:[1,1,0] neg_lo:[0,0,1] neg_hi:[0,0,1]
	v_pk_fma_f32 v[126:127], v[128:129], v[116:117], v[126:127] op_sel:[0,0,1] op_sel_hi:[1,0,0]
	v_mov_b32_e32 v131, v127
	ds_load_2addr_b64 v[126:129], v120 offset0:33 offset1:34
	v_pk_add_f32 v[26:27], v[26:27], v[132:133] neg_lo:[0,1] neg_hi:[0,1]
	v_pk_add_f32 v[76:77], v[76:77], v[130:131] neg_lo:[0,1] neg_hi:[0,1]
	s_wait_dscnt 0x0
	v_pk_mul_f32 v[130:131], v[126:127], v[118:119] op_sel:[0,1]
	s_delay_alu instid0(VALU_DEP_1) | instskip(SKIP_2) | instid1(VALU_DEP_2)
	v_pk_fma_f32 v[132:133], v[126:127], v[116:117], v[130:131] op_sel:[0,0,1] op_sel_hi:[1,1,0] neg_lo:[0,0,1] neg_hi:[0,0,1]
	v_pk_fma_f32 v[126:127], v[126:127], v[116:117], v[130:131] op_sel:[0,0,1] op_sel_hi:[1,0,0]
	v_dual_mul_f32 v130, v129, v119 :: v_dual_mov_b32 v126, v129
	v_dual_mov_b32 v133, v127 :: v_dual_mov_b32 v127, v128
	s_delay_alu instid0(VALU_DEP_2) | instskip(SKIP_1) | instid1(VALU_DEP_3)
	v_pk_fma_f32 v[130:131], v[128:129], v[28:29], v[130:131] op_sel_hi:[1,1,0] neg_lo:[0,0,1] neg_hi:[0,0,1]
	v_mul_f32_e32 v128, v129, v116
	v_pk_add_f32 v[74:75], v[74:75], v[132:133] neg_lo:[0,1] neg_hi:[0,1]
	s_delay_alu instid0(VALU_DEP_2) | instskip(NEXT) | instid1(VALU_DEP_1)
	v_pk_fma_f32 v[126:127], v[126:127], v[28:29], v[128:129] op_sel_hi:[1,1,0]
	v_mov_b32_e32 v131, v127
	ds_load_2addr_b64 v[126:129], v120 offset0:35 offset1:36
	v_pk_add_f32 v[22:23], v[22:23], v[130:131] neg_lo:[0,1] neg_hi:[0,1]
	s_wait_dscnt 0x0
	v_pk_mul_f32 v[130:131], v[126:127], v[118:119] op_sel:[0,1]
	s_delay_alu instid0(VALU_DEP_1) | instskip(SKIP_1) | instid1(VALU_DEP_1)
	v_pk_fma_f32 v[132:133], v[126:127], v[116:117], v[130:131] op_sel:[0,0,1] op_sel_hi:[1,1,0] neg_lo:[0,0,1] neg_hi:[0,0,1]
	v_pk_fma_f32 v[126:127], v[126:127], v[116:117], v[130:131] op_sel:[0,0,1] op_sel_hi:[1,0,0]
	v_mov_b32_e32 v133, v127
	v_pk_mul_f32 v[126:127], v[128:129], v[118:119] op_sel:[0,1]
	s_delay_alu instid0(VALU_DEP_1) | instskip(SKIP_1) | instid1(VALU_DEP_1)
	v_pk_fma_f32 v[130:131], v[128:129], v[116:117], v[126:127] op_sel:[0,0,1] op_sel_hi:[1,1,0] neg_lo:[0,0,1] neg_hi:[0,0,1]
	v_pk_fma_f32 v[126:127], v[128:129], v[116:117], v[126:127] op_sel:[0,0,1] op_sel_hi:[1,0,0]
	v_mov_b32_e32 v131, v127
	ds_load_2addr_b64 v[126:129], v120 offset0:37 offset1:38
	v_pk_add_f32 v[20:21], v[20:21], v[132:133] neg_lo:[0,1] neg_hi:[0,1]
	v_pk_add_f32 v[72:73], v[72:73], v[130:131] neg_lo:[0,1] neg_hi:[0,1]
	s_wait_dscnt 0x0
	v_pk_mul_f32 v[130:131], v[126:127], v[118:119] op_sel:[0,1]
	s_delay_alu instid0(VALU_DEP_1) | instskip(SKIP_1) | instid1(VALU_DEP_1)
	v_pk_fma_f32 v[132:133], v[126:127], v[116:117], v[130:131] op_sel:[0,0,1] op_sel_hi:[1,1,0] neg_lo:[0,0,1] neg_hi:[0,0,1]
	v_pk_fma_f32 v[126:127], v[126:127], v[116:117], v[130:131] op_sel:[0,0,1] op_sel_hi:[1,0,0]
	v_mov_b32_e32 v133, v127
	v_pk_mul_f32 v[126:127], v[128:129], v[118:119] op_sel:[0,1]
	s_delay_alu instid0(VALU_DEP_1) | instskip(SKIP_1) | instid1(VALU_DEP_1)
	v_pk_fma_f32 v[130:131], v[128:129], v[116:117], v[126:127] op_sel:[0,0,1] op_sel_hi:[1,1,0] neg_lo:[0,0,1] neg_hi:[0,0,1]
	v_pk_fma_f32 v[126:127], v[128:129], v[116:117], v[126:127] op_sel:[0,0,1] op_sel_hi:[1,0,0]
	v_mov_b32_e32 v131, v127
	ds_load_2addr_b64 v[126:129], v120 offset0:39 offset1:40
	v_pk_add_f32 v[70:71], v[70:71], v[132:133] neg_lo:[0,1] neg_hi:[0,1]
	v_pk_add_f32 v[18:19], v[18:19], v[130:131] neg_lo:[0,1] neg_hi:[0,1]
	s_wait_dscnt 0x0
	v_dual_mul_f32 v130, v127, v119 :: v_dual_mul_f32 v132, v127, v116
	s_delay_alu instid0(VALU_DEP_1) | instskip(NEXT) | instid1(VALU_DEP_2)
	v_pk_fma_f32 v[130:131], v[126:127], v[28:29], v[130:131] op_sel_hi:[1,1,0] neg_lo:[0,0,1] neg_hi:[0,0,1]
	v_pk_fma_f32 v[126:127], v[126:127], v[28:29], v[132:133] op_sel:[1,0,0] op_sel_hi:[0,1,0]
	s_delay_alu instid0(VALU_DEP_1) | instskip(SKIP_1) | instid1(VALU_DEP_2)
	v_mov_b32_e32 v131, v127
	v_pk_mul_f32 v[126:127], v[128:129], v[118:119] op_sel:[0,1]
	v_pk_add_f32 v[16:17], v[16:17], v[130:131] neg_lo:[0,1] neg_hi:[0,1]
	s_delay_alu instid0(VALU_DEP_2) | instskip(SKIP_1) | instid1(VALU_DEP_1)
	v_pk_fma_f32 v[130:131], v[128:129], v[116:117], v[126:127] op_sel:[0,0,1] op_sel_hi:[1,1,0] neg_lo:[0,0,1] neg_hi:[0,0,1]
	v_pk_fma_f32 v[126:127], v[128:129], v[116:117], v[126:127] op_sel:[0,0,1] op_sel_hi:[1,0,0]
	v_mov_b32_e32 v131, v127
	ds_load_2addr_b64 v[126:129], v120 offset0:41 offset1:42
	v_pk_add_f32 v[68:69], v[68:69], v[130:131] neg_lo:[0,1] neg_hi:[0,1]
	s_wait_dscnt 0x0
	v_pk_mul_f32 v[130:131], v[126:127], v[118:119] op_sel:[0,1]
	s_delay_alu instid0(VALU_DEP_1) | instskip(SKIP_1) | instid1(VALU_DEP_1)
	v_pk_fma_f32 v[132:133], v[126:127], v[116:117], v[130:131] op_sel:[0,0,1] op_sel_hi:[1,1,0] neg_lo:[0,0,1] neg_hi:[0,0,1]
	v_pk_fma_f32 v[126:127], v[126:127], v[116:117], v[130:131] op_sel:[0,0,1] op_sel_hi:[1,0,0]
	v_mov_b32_e32 v133, v127
	v_pk_mul_f32 v[126:127], v[128:129], v[118:119] op_sel:[0,1]
	s_delay_alu instid0(VALU_DEP_2) | instskip(NEXT) | instid1(VALU_DEP_2)
	v_pk_add_f32 v[66:67], v[66:67], v[132:133] neg_lo:[0,1] neg_hi:[0,1]
	v_pk_fma_f32 v[130:131], v[128:129], v[116:117], v[126:127] op_sel:[0,0,1] op_sel_hi:[1,1,0] neg_lo:[0,0,1] neg_hi:[0,0,1]
	v_pk_fma_f32 v[126:127], v[128:129], v[116:117], v[126:127] op_sel:[0,0,1] op_sel_hi:[1,0,0]
	s_delay_alu instid0(VALU_DEP_1) | instskip(SKIP_4) | instid1(VALU_DEP_1)
	v_mov_b32_e32 v131, v127
	ds_load_2addr_b64 v[126:129], v120 offset0:43 offset1:44
	v_pk_add_f32 v[14:15], v[14:15], v[130:131] neg_lo:[0,1] neg_hi:[0,1]
	s_wait_dscnt 0x0
	v_pk_mul_f32 v[130:131], v[126:127], v[118:119] op_sel:[0,1]
	v_pk_fma_f32 v[132:133], v[126:127], v[116:117], v[130:131] op_sel:[0,0,1] op_sel_hi:[1,1,0] neg_lo:[0,0,1] neg_hi:[0,0,1]
	v_pk_fma_f32 v[126:127], v[126:127], v[116:117], v[130:131] op_sel:[0,0,1] op_sel_hi:[1,0,0]
	v_dual_mul_f32 v130, v129, v119 :: v_dual_mov_b32 v126, v129
	s_delay_alu instid0(VALU_DEP_2) | instskip(NEXT) | instid1(VALU_DEP_2)
	v_dual_mov_b32 v133, v127 :: v_dual_mov_b32 v127, v128
	v_pk_fma_f32 v[130:131], v[128:129], v[28:29], v[130:131] op_sel_hi:[1,1,0] neg_lo:[0,0,1] neg_hi:[0,0,1]
	v_mul_f32_e32 v128, v129, v116
	s_delay_alu instid0(VALU_DEP_3) | instskip(NEXT) | instid1(VALU_DEP_2)
	v_pk_add_f32 v[12:13], v[12:13], v[132:133] neg_lo:[0,1] neg_hi:[0,1]
	v_pk_fma_f32 v[126:127], v[126:127], v[28:29], v[128:129] op_sel_hi:[1,1,0]
	s_delay_alu instid0(VALU_DEP_1) | instskip(SKIP_4) | instid1(VALU_DEP_1)
	v_mov_b32_e32 v131, v127
	ds_load_2addr_b64 v[126:129], v120 offset0:45 offset1:46
	v_pk_add_f32 v[64:65], v[64:65], v[130:131] neg_lo:[0,1] neg_hi:[0,1]
	s_wait_dscnt 0x0
	v_pk_mul_f32 v[130:131], v[126:127], v[118:119] op_sel:[0,1]
	v_pk_fma_f32 v[132:133], v[126:127], v[116:117], v[130:131] op_sel:[0,0,1] op_sel_hi:[1,1,0] neg_lo:[0,0,1] neg_hi:[0,0,1]
	v_pk_fma_f32 v[126:127], v[126:127], v[116:117], v[130:131] op_sel:[0,0,1] op_sel_hi:[1,0,0]
	s_delay_alu instid0(VALU_DEP_1) | instskip(SKIP_1) | instid1(VALU_DEP_1)
	v_mov_b32_e32 v133, v127
	v_pk_mul_f32 v[126:127], v[128:129], v[118:119] op_sel:[0,1]
	v_pk_fma_f32 v[130:131], v[128:129], v[116:117], v[126:127] op_sel:[0,0,1] op_sel_hi:[1,1,0] neg_lo:[0,0,1] neg_hi:[0,0,1]
	v_pk_fma_f32 v[126:127], v[128:129], v[116:117], v[126:127] op_sel:[0,0,1] op_sel_hi:[1,0,0]
	s_delay_alu instid0(VALU_DEP_1)
	v_mov_b32_e32 v131, v127
	ds_load_2addr_b64 v[126:129], v120 offset0:47 offset1:48
	v_pk_add_f32 v[62:63], v[62:63], v[132:133] neg_lo:[0,1] neg_hi:[0,1]
	v_pk_add_f32 v[10:11], v[10:11], v[130:131] neg_lo:[0,1] neg_hi:[0,1]
	s_wait_dscnt 0x0
	v_pk_mul_f32 v[130:131], v[126:127], v[118:119] op_sel:[0,1]
	s_delay_alu instid0(VALU_DEP_1) | instskip(SKIP_1) | instid1(VALU_DEP_1)
	v_pk_fma_f32 v[132:133], v[126:127], v[116:117], v[130:131] op_sel:[0,0,1] op_sel_hi:[1,1,0] neg_lo:[0,0,1] neg_hi:[0,0,1]
	v_pk_fma_f32 v[126:127], v[126:127], v[116:117], v[130:131] op_sel:[0,0,1] op_sel_hi:[1,0,0]
	v_mov_b32_e32 v133, v127
	v_pk_mul_f32 v[126:127], v[128:129], v[118:119] op_sel:[0,1]
	s_delay_alu instid0(VALU_DEP_1) | instskip(SKIP_1) | instid1(VALU_DEP_1)
	v_pk_fma_f32 v[130:131], v[128:129], v[116:117], v[126:127] op_sel:[0,0,1] op_sel_hi:[1,1,0] neg_lo:[0,0,1] neg_hi:[0,0,1]
	v_pk_fma_f32 v[126:127], v[128:129], v[116:117], v[126:127] op_sel:[0,0,1] op_sel_hi:[1,0,0]
	v_mov_b32_e32 v131, v127
	ds_load_2addr_b64 v[126:129], v120 offset0:49 offset1:50
	v_pk_add_f32 v[6:7], v[6:7], v[132:133] neg_lo:[0,1] neg_hi:[0,1]
	v_pk_add_f32 v[52:53], v[52:53], v[130:131] neg_lo:[0,1] neg_hi:[0,1]
	s_wait_dscnt 0x0
	v_dual_mul_f32 v130, v127, v119 :: v_dual_mul_f32 v132, v127, v116
	s_delay_alu instid0(VALU_DEP_1) | instskip(NEXT) | instid1(VALU_DEP_2)
	v_pk_fma_f32 v[130:131], v[126:127], v[28:29], v[130:131] op_sel_hi:[1,1,0] neg_lo:[0,0,1] neg_hi:[0,0,1]
	v_pk_fma_f32 v[126:127], v[126:127], v[28:29], v[132:133] op_sel:[1,0,0] op_sel_hi:[0,1,0]
	s_delay_alu instid0(VALU_DEP_1) | instskip(SKIP_1) | instid1(VALU_DEP_2)
	v_mov_b32_e32 v131, v127
	v_pk_mul_f32 v[126:127], v[128:129], v[118:119] op_sel:[0,1]
	v_pk_add_f32 v[50:51], v[50:51], v[130:131] neg_lo:[0,1] neg_hi:[0,1]
	s_delay_alu instid0(VALU_DEP_2) | instskip(SKIP_1) | instid1(VALU_DEP_1)
	v_pk_fma_f32 v[130:131], v[128:129], v[116:117], v[126:127] op_sel:[0,0,1] op_sel_hi:[1,1,0] neg_lo:[0,0,1] neg_hi:[0,0,1]
	v_pk_fma_f32 v[126:127], v[128:129], v[116:117], v[126:127] op_sel:[0,0,1] op_sel_hi:[1,0,0]
	v_mov_b32_e32 v131, v127
	ds_load_2addr_b64 v[126:129], v120 offset0:51 offset1:52
	v_pk_add_f32 v[8:9], v[8:9], v[130:131] neg_lo:[0,1] neg_hi:[0,1]
	s_wait_dscnt 0x0
	v_pk_mul_f32 v[130:131], v[126:127], v[118:119] op_sel:[0,1]
	s_delay_alu instid0(VALU_DEP_1) | instskip(SKIP_1) | instid1(VALU_DEP_1)
	v_pk_fma_f32 v[132:133], v[126:127], v[116:117], v[130:131] op_sel:[0,0,1] op_sel_hi:[1,1,0] neg_lo:[0,0,1] neg_hi:[0,0,1]
	v_pk_fma_f32 v[126:127], v[126:127], v[116:117], v[130:131] op_sel:[0,0,1] op_sel_hi:[1,0,0]
	v_mov_b32_e32 v133, v127
	v_pk_mul_f32 v[126:127], v[128:129], v[118:119] op_sel:[0,1]
	s_delay_alu instid0(VALU_DEP_2) | instskip(NEXT) | instid1(VALU_DEP_2)
	v_pk_add_f32 v[30:31], v[30:31], v[132:133] neg_lo:[0,1] neg_hi:[0,1]
	v_pk_fma_f32 v[130:131], v[128:129], v[116:117], v[126:127] op_sel:[0,0,1] op_sel_hi:[1,1,0] neg_lo:[0,0,1] neg_hi:[0,0,1]
	v_pk_fma_f32 v[126:127], v[128:129], v[116:117], v[126:127] op_sel:[0,0,1] op_sel_hi:[1,0,0]
	s_delay_alu instid0(VALU_DEP_1)
	v_mov_b32_e32 v131, v127
	ds_load_2addr_b64 v[126:129], v120 offset0:53 offset1:54
	v_pk_add_f32 v[34:35], v[34:35], v[130:131] neg_lo:[0,1] neg_hi:[0,1]
	s_wait_dscnt 0x0
	v_pk_mul_f32 v[130:131], v[126:127], v[118:119] op_sel:[0,1]
	v_mul_f32_e32 v118, v129, v119
	s_delay_alu instid0(VALU_DEP_2) | instskip(SKIP_2) | instid1(VALU_DEP_4)
	v_pk_fma_f32 v[132:133], v[126:127], v[116:117], v[130:131] op_sel:[0,0,1] op_sel_hi:[1,1,0] neg_lo:[0,0,1] neg_hi:[0,0,1]
	v_pk_fma_f32 v[126:127], v[126:127], v[116:117], v[130:131] op_sel:[0,0,1] op_sel_hi:[1,0,0]
	v_dual_mov_b32 v126, v129 :: v_dual_mul_f32 v116, v129, v116
	v_pk_fma_f32 v[118:119], v[128:129], v[28:29], v[118:119] op_sel_hi:[1,1,0] neg_lo:[0,0,1] neg_hi:[0,0,1]
	s_delay_alu instid0(VALU_DEP_3) | instskip(NEXT) | instid1(VALU_DEP_1)
	v_dual_mov_b32 v133, v127 :: v_dual_mov_b32 v127, v128
	v_pk_add_f32 v[24:25], v[24:25], v[132:133] neg_lo:[0,1] neg_hi:[0,1]
	s_delay_alu instid0(VALU_DEP_2) | instskip(NEXT) | instid1(VALU_DEP_1)
	v_pk_fma_f32 v[116:117], v[126:127], v[28:29], v[116:117] op_sel_hi:[1,1,0]
	v_mov_b32_e32 v119, v117
	s_delay_alu instid0(VALU_DEP_1)
	v_pk_add_f32 v[114:115], v[114:115], v[118:119] neg_lo:[0,1] neg_hi:[0,1]
.LBB108_650:
	s_or_b32 exec_lo, exec_lo, s0
	v_lshl_add_u32 v116, v124, 3, v120
	s_barrier_signal -1
	s_barrier_wait -1
	ds_store_b64 v116, v[26:27]
	s_wait_dscnt 0x0
	s_barrier_signal -1
	s_barrier_wait -1
	ds_load_b64 v[118:119], v120 offset:248
	v_mov_b32_e32 v116, 31
	s_cmp_lt_i32 s18, 33
	s_cbranch_scc1 .LBB108_653
; %bb.651:
	v_add3_u32 v117, v121, 0, 0x100
	v_mov_b32_e32 v116, 31
	s_mov_b32 s0, 32
.LBB108_652:                            ; =>This Inner Loop Header: Depth=1
	ds_load_b64 v[126:127], v117
	s_wait_dscnt 0x1
	v_cmp_gt_f32_e32 vcc_lo, 0, v118
	v_cndmask_b32_e64 v128, v118, -v118, vcc_lo
	v_cmp_gt_f32_e32 vcc_lo, 0, v119
	v_cndmask_b32_e64 v130, v119, -v119, vcc_lo
	s_wait_dscnt 0x0
	v_cmp_gt_f32_e32 vcc_lo, 0, v126
	v_cndmask_b32_e64 v129, v126, -v126, vcc_lo
	v_cmp_gt_f32_e32 vcc_lo, 0, v127
	v_cndmask_b32_e64 v131, v127, -v127, vcc_lo
	s_delay_alu instid0(VALU_DEP_1) | instskip(NEXT) | instid1(VALU_DEP_1)
	v_pk_add_f32 v[128:129], v[128:129], v[130:131]
	v_cmp_lt_f32_e32 vcc_lo, v128, v129
	v_dual_add_nc_u32 v117, 8, v117 :: v_dual_cndmask_b32 v119, v119, v127, vcc_lo
	v_cndmask_b32_e32 v118, v118, v126, vcc_lo
	v_cndmask_b32_e64 v116, v116, s0, vcc_lo
	s_add_co_i32 s0, s0, 1
	s_delay_alu instid0(SALU_CYCLE_1)
	s_cmp_lg_u32 s18, s0
	s_cbranch_scc1 .LBB108_652
.LBB108_653:
	s_wait_dscnt 0x0
	v_cmp_eq_f32_e32 vcc_lo, 0, v118
	v_cmp_eq_f32_e64 s0, 0, v119
	s_and_b32 s0, vcc_lo, s0
	s_delay_alu instid0(SALU_CYCLE_1) | instskip(NEXT) | instid1(SALU_CYCLE_1)
	s_and_saveexec_b32 s1, s0
	s_xor_b32 s0, exec_lo, s1
; %bb.654:
	v_cmp_ne_u32_e32 vcc_lo, 0, v122
	v_cndmask_b32_e32 v122, 32, v122, vcc_lo
; %bb.655:
	s_and_not1_saveexec_b32 s0, s0
	s_cbranch_execz .LBB108_661
; %bb.656:
	v_cmp_ngt_f32_e64 s1, |v118|, |v119|
	s_and_saveexec_b32 s12, s1
	s_delay_alu instid0(SALU_CYCLE_1)
	s_xor_b32 s1, exec_lo, s12
	s_cbranch_execz .LBB108_658
; %bb.657:
	v_div_scale_f32 v117, null, v119, v119, v118
	v_div_scale_f32 v127, vcc_lo, v118, v119, v118
	s_delay_alu instid0(VALU_DEP_2) | instskip(SKIP_1) | instid1(TRANS32_DEP_1)
	v_rcp_f32_e32 v125, v117
	v_nop
	v_fma_f32 v126, -v117, v125, 1.0
	s_delay_alu instid0(VALU_DEP_1) | instskip(NEXT) | instid1(VALU_DEP_1)
	v_fmac_f32_e32 v125, v126, v125
	v_mul_f32_e32 v126, v127, v125
	s_delay_alu instid0(VALU_DEP_1) | instskip(NEXT) | instid1(VALU_DEP_1)
	v_fma_f32 v128, -v117, v126, v127
	v_fmac_f32_e32 v126, v128, v125
	s_delay_alu instid0(VALU_DEP_1) | instskip(NEXT) | instid1(VALU_DEP_1)
	v_fma_f32 v117, -v117, v126, v127
	v_div_fmas_f32 v117, v117, v125, v126
	s_delay_alu instid0(VALU_DEP_1) | instskip(NEXT) | instid1(VALU_DEP_1)
	v_div_fixup_f32 v117, v117, v119, v118
	v_fmac_f32_e32 v119, v118, v117
	s_delay_alu instid0(VALU_DEP_1) | instskip(SKIP_1) | instid1(VALU_DEP_2)
	v_div_scale_f32 v118, null, v119, v119, 1.0
	v_div_scale_f32 v127, vcc_lo, 1.0, v119, 1.0
	v_rcp_f32_e32 v125, v118
	v_nop
	s_delay_alu instid0(TRANS32_DEP_1) | instskip(NEXT) | instid1(VALU_DEP_1)
	v_fma_f32 v126, -v118, v125, 1.0
	v_fmac_f32_e32 v125, v126, v125
	s_delay_alu instid0(VALU_DEP_1) | instskip(NEXT) | instid1(VALU_DEP_1)
	v_mul_f32_e32 v126, v127, v125
	v_fma_f32 v128, -v118, v126, v127
	s_delay_alu instid0(VALU_DEP_1) | instskip(NEXT) | instid1(VALU_DEP_1)
	v_fmac_f32_e32 v126, v128, v125
	v_fma_f32 v118, -v118, v126, v127
	s_delay_alu instid0(VALU_DEP_1) | instskip(NEXT) | instid1(VALU_DEP_1)
	v_div_fmas_f32 v118, v118, v125, v126
	v_div_fixup_f32 v119, v118, v119, 1.0
	s_delay_alu instid0(VALU_DEP_1)
	v_mul_f32_e32 v118, v117, v119
	v_xor_b32_e32 v119, 0x80000000, v119
.LBB108_658:
	s_and_not1_saveexec_b32 s1, s1
	s_cbranch_execz .LBB108_660
; %bb.659:
	s_delay_alu instid0(VALU_DEP_1) | instskip(SKIP_1) | instid1(VALU_DEP_2)
	v_div_scale_f32 v117, null, v118, v118, v119
	v_div_scale_f32 v127, vcc_lo, v119, v118, v119
	v_rcp_f32_e32 v125, v117
	v_nop
	s_delay_alu instid0(TRANS32_DEP_1) | instskip(NEXT) | instid1(VALU_DEP_1)
	v_fma_f32 v126, -v117, v125, 1.0
	v_fmac_f32_e32 v125, v126, v125
	s_delay_alu instid0(VALU_DEP_1) | instskip(NEXT) | instid1(VALU_DEP_1)
	v_mul_f32_e32 v126, v127, v125
	v_fma_f32 v128, -v117, v126, v127
	s_delay_alu instid0(VALU_DEP_1) | instskip(NEXT) | instid1(VALU_DEP_1)
	v_fmac_f32_e32 v126, v128, v125
	v_fma_f32 v117, -v117, v126, v127
	s_delay_alu instid0(VALU_DEP_1) | instskip(NEXT) | instid1(VALU_DEP_1)
	v_div_fmas_f32 v117, v117, v125, v126
	v_div_fixup_f32 v117, v117, v118, v119
	s_delay_alu instid0(VALU_DEP_1) | instskip(NEXT) | instid1(VALU_DEP_1)
	v_fmac_f32_e32 v118, v119, v117
	v_div_scale_f32 v119, null, v118, v118, 1.0
	s_delay_alu instid0(VALU_DEP_1) | instskip(SKIP_1) | instid1(TRANS32_DEP_1)
	v_rcp_f32_e32 v125, v119
	v_nop
	v_fma_f32 v126, -v119, v125, 1.0
	s_delay_alu instid0(VALU_DEP_1) | instskip(SKIP_1) | instid1(VALU_DEP_1)
	v_fmac_f32_e32 v125, v126, v125
	v_div_scale_f32 v126, vcc_lo, 1.0, v118, 1.0
	v_mul_f32_e32 v127, v126, v125
	s_delay_alu instid0(VALU_DEP_1) | instskip(NEXT) | instid1(VALU_DEP_1)
	v_fma_f32 v128, -v119, v127, v126
	v_fmac_f32_e32 v127, v128, v125
	s_delay_alu instid0(VALU_DEP_1) | instskip(NEXT) | instid1(VALU_DEP_1)
	v_fma_f32 v119, -v119, v127, v126
	v_div_fmas_f32 v119, v119, v125, v127
	s_delay_alu instid0(VALU_DEP_1) | instskip(NEXT) | instid1(VALU_DEP_1)
	v_div_fixup_f32 v118, v119, v118, 1.0
	v_mul_f32_e64 v119, v117, -v118
.LBB108_660:
	s_or_b32 exec_lo, exec_lo, s1
.LBB108_661:
	s_delay_alu instid0(SALU_CYCLE_1) | instskip(NEXT) | instid1(SALU_CYCLE_1)
	s_or_b32 exec_lo, exec_lo, s0
	s_mov_b32 s0, exec_lo
	v_cmpx_ne_u32_e64 v124, v116
	s_xor_b32 s0, exec_lo, s0
	s_cbranch_execz .LBB108_667
; %bb.662:
	s_mov_b32 s1, exec_lo
	v_cmpx_eq_u32_e32 31, v124
	s_cbranch_execz .LBB108_666
; %bb.663:
	v_cmp_ne_u32_e32 vcc_lo, 31, v116
	s_xor_b32 s12, s16, -1
	s_delay_alu instid0(SALU_CYCLE_1) | instskip(NEXT) | instid1(SALU_CYCLE_1)
	s_and_b32 s13, s12, vcc_lo
	s_and_saveexec_b32 s12, s13
	s_cbranch_execz .LBB108_665
; %bb.664:
	v_ashrrev_i32_e32 v117, 31, v116
	s_delay_alu instid0(VALU_DEP_1)
	v_lshl_add_u64 v[124:125], v[116:117], 2, v[4:5]
	s_clause 0x1
	global_load_b32 v117, v[124:125], off
	global_load_b32 v123, v[4:5], off offset:124
	s_wait_loadcnt 0x1
	global_store_b32 v[4:5], v117, off offset:124
	s_wait_loadcnt 0x0
	global_store_b32 v[124:125], v123, off
.LBB108_665:
	s_wait_xcnt 0x0
	s_or_b32 exec_lo, exec_lo, s12
	v_dual_mov_b32 v124, v116 :: v_dual_mov_b32 v123, v116
.LBB108_666:
	s_or_b32 exec_lo, exec_lo, s1
.LBB108_667:
	s_and_not1_saveexec_b32 s0, s0
	s_cbranch_execz .LBB108_669
; %bb.668:
	v_dual_mov_b32 v116, v76 :: v_dual_mov_b32 v117, v77
	v_dual_mov_b32 v124, v74 :: v_dual_mov_b32 v125, v75
	ds_store_2addr_b64 v120, v[116:117], v[124:125] offset0:32 offset1:33
	v_dual_mov_b32 v116, v22 :: v_dual_mov_b32 v117, v23
	v_dual_mov_b32 v124, v20 :: v_dual_mov_b32 v125, v21
	ds_store_2addr_b64 v120, v[116:117], v[124:125] offset0:34 offset1:35
	;; [unrolled: 3-line block ×11, first 2 shown]
	ds_store_b64 v120, v[114:115] offset:432
	v_mov_b32_e32 v124, 31
.LBB108_669:
	s_or_b32 exec_lo, exec_lo, s0
	s_delay_alu instid0(SALU_CYCLE_1)
	s_mov_b32 s0, exec_lo
	s_wait_storecnt_dscnt 0x0
	s_barrier_signal -1
	s_barrier_wait -1
	v_cmpx_lt_i32_e32 31, v124
	s_cbranch_execz .LBB108_671
; %bb.670:
	v_pk_mul_f32 v[126:127], v[118:119], v[26:27] op_sel:[1,1] op_sel_hi:[0,1]
	s_delay_alu instid0(VALU_DEP_1)
	v_pk_fma_f32 v[116:117], v[118:119], v[26:27], v[126:127] op_sel_hi:[1,0,1] neg_lo:[0,0,1] neg_hi:[0,0,1]
	v_pk_fma_f32 v[118:119], v[118:119], v[26:27], v[126:127] op_sel_hi:[1,0,1]
	ds_load_2addr_b64 v[126:129], v120 offset0:32 offset1:33
	v_dual_mov_b32 v26, v116 :: v_dual_mov_b32 v27, v119
	s_wait_dscnt 0x0
	v_pk_mul_f32 v[130:131], v[126:127], v[118:119] op_sel:[0,1]
	s_delay_alu instid0(VALU_DEP_1) | instskip(SKIP_1) | instid1(VALU_DEP_1)
	v_pk_fma_f32 v[132:133], v[126:127], v[116:117], v[130:131] op_sel:[0,0,1] op_sel_hi:[1,1,0] neg_lo:[0,0,1] neg_hi:[0,0,1]
	v_pk_fma_f32 v[126:127], v[126:127], v[116:117], v[130:131] op_sel:[0,0,1] op_sel_hi:[1,0,0]
	v_mov_b32_e32 v133, v127
	v_pk_mul_f32 v[126:127], v[128:129], v[118:119] op_sel:[0,1]
	s_delay_alu instid0(VALU_DEP_1) | instskip(SKIP_1) | instid1(VALU_DEP_1)
	v_pk_fma_f32 v[130:131], v[128:129], v[116:117], v[126:127] op_sel:[0,0,1] op_sel_hi:[1,1,0] neg_lo:[0,0,1] neg_hi:[0,0,1]
	v_pk_fma_f32 v[126:127], v[128:129], v[116:117], v[126:127] op_sel:[0,0,1] op_sel_hi:[1,0,0]
	v_mov_b32_e32 v131, v127
	ds_load_2addr_b64 v[126:129], v120 offset0:34 offset1:35
	v_pk_add_f32 v[76:77], v[76:77], v[132:133] neg_lo:[0,1] neg_hi:[0,1]
	v_pk_add_f32 v[74:75], v[74:75], v[130:131] neg_lo:[0,1] neg_hi:[0,1]
	s_wait_dscnt 0x0
	v_pk_mul_f32 v[130:131], v[126:127], v[118:119] op_sel:[0,1]
	s_delay_alu instid0(VALU_DEP_1) | instskip(SKIP_2) | instid1(VALU_DEP_2)
	v_pk_fma_f32 v[132:133], v[126:127], v[116:117], v[130:131] op_sel:[0,0,1] op_sel_hi:[1,1,0] neg_lo:[0,0,1] neg_hi:[0,0,1]
	v_pk_fma_f32 v[126:127], v[126:127], v[116:117], v[130:131] op_sel:[0,0,1] op_sel_hi:[1,0,0]
	v_dual_mul_f32 v130, v129, v119 :: v_dual_mov_b32 v126, v129
	v_dual_mov_b32 v133, v127 :: v_dual_mov_b32 v127, v128
	s_delay_alu instid0(VALU_DEP_2) | instskip(SKIP_1) | instid1(VALU_DEP_3)
	v_pk_fma_f32 v[130:131], v[128:129], v[26:27], v[130:131] op_sel_hi:[1,1,0] neg_lo:[0,0,1] neg_hi:[0,0,1]
	v_mul_f32_e32 v128, v129, v116
	v_pk_add_f32 v[22:23], v[22:23], v[132:133] neg_lo:[0,1] neg_hi:[0,1]
	s_delay_alu instid0(VALU_DEP_2) | instskip(NEXT) | instid1(VALU_DEP_1)
	v_pk_fma_f32 v[126:127], v[126:127], v[26:27], v[128:129] op_sel_hi:[1,1,0]
	v_mov_b32_e32 v131, v127
	ds_load_2addr_b64 v[126:129], v120 offset0:36 offset1:37
	v_pk_add_f32 v[20:21], v[20:21], v[130:131] neg_lo:[0,1] neg_hi:[0,1]
	s_wait_dscnt 0x0
	v_pk_mul_f32 v[130:131], v[126:127], v[118:119] op_sel:[0,1]
	s_delay_alu instid0(VALU_DEP_1) | instskip(SKIP_1) | instid1(VALU_DEP_1)
	v_pk_fma_f32 v[132:133], v[126:127], v[116:117], v[130:131] op_sel:[0,0,1] op_sel_hi:[1,1,0] neg_lo:[0,0,1] neg_hi:[0,0,1]
	v_pk_fma_f32 v[126:127], v[126:127], v[116:117], v[130:131] op_sel:[0,0,1] op_sel_hi:[1,0,0]
	v_mov_b32_e32 v133, v127
	v_pk_mul_f32 v[126:127], v[128:129], v[118:119] op_sel:[0,1]
	s_delay_alu instid0(VALU_DEP_1) | instskip(SKIP_1) | instid1(VALU_DEP_1)
	v_pk_fma_f32 v[130:131], v[128:129], v[116:117], v[126:127] op_sel:[0,0,1] op_sel_hi:[1,1,0] neg_lo:[0,0,1] neg_hi:[0,0,1]
	v_pk_fma_f32 v[126:127], v[128:129], v[116:117], v[126:127] op_sel:[0,0,1] op_sel_hi:[1,0,0]
	v_mov_b32_e32 v131, v127
	ds_load_2addr_b64 v[126:129], v120 offset0:38 offset1:39
	v_pk_add_f32 v[72:73], v[72:73], v[132:133] neg_lo:[0,1] neg_hi:[0,1]
	v_pk_add_f32 v[70:71], v[70:71], v[130:131] neg_lo:[0,1] neg_hi:[0,1]
	s_wait_dscnt 0x0
	v_pk_mul_f32 v[130:131], v[126:127], v[118:119] op_sel:[0,1]
	s_delay_alu instid0(VALU_DEP_1) | instskip(SKIP_1) | instid1(VALU_DEP_1)
	v_pk_fma_f32 v[132:133], v[126:127], v[116:117], v[130:131] op_sel:[0,0,1] op_sel_hi:[1,1,0] neg_lo:[0,0,1] neg_hi:[0,0,1]
	v_pk_fma_f32 v[126:127], v[126:127], v[116:117], v[130:131] op_sel:[0,0,1] op_sel_hi:[1,0,0]
	v_mov_b32_e32 v133, v127
	v_pk_mul_f32 v[126:127], v[128:129], v[118:119] op_sel:[0,1]
	s_delay_alu instid0(VALU_DEP_1) | instskip(SKIP_1) | instid1(VALU_DEP_1)
	v_pk_fma_f32 v[130:131], v[128:129], v[116:117], v[126:127] op_sel:[0,0,1] op_sel_hi:[1,1,0] neg_lo:[0,0,1] neg_hi:[0,0,1]
	v_pk_fma_f32 v[126:127], v[128:129], v[116:117], v[126:127] op_sel:[0,0,1] op_sel_hi:[1,0,0]
	v_mov_b32_e32 v131, v127
	ds_load_2addr_b64 v[126:129], v120 offset0:40 offset1:41
	v_pk_add_f32 v[18:19], v[18:19], v[132:133] neg_lo:[0,1] neg_hi:[0,1]
	v_pk_add_f32 v[16:17], v[16:17], v[130:131] neg_lo:[0,1] neg_hi:[0,1]
	s_wait_dscnt 0x0
	v_dual_mul_f32 v130, v127, v119 :: v_dual_mul_f32 v132, v127, v116
	s_delay_alu instid0(VALU_DEP_1) | instskip(NEXT) | instid1(VALU_DEP_2)
	v_pk_fma_f32 v[130:131], v[126:127], v[26:27], v[130:131] op_sel_hi:[1,1,0] neg_lo:[0,0,1] neg_hi:[0,0,1]
	v_pk_fma_f32 v[126:127], v[126:127], v[26:27], v[132:133] op_sel:[1,0,0] op_sel_hi:[0,1,0]
	s_delay_alu instid0(VALU_DEP_1) | instskip(SKIP_1) | instid1(VALU_DEP_2)
	v_mov_b32_e32 v131, v127
	v_pk_mul_f32 v[126:127], v[128:129], v[118:119] op_sel:[0,1]
	v_pk_add_f32 v[68:69], v[68:69], v[130:131] neg_lo:[0,1] neg_hi:[0,1]
	s_delay_alu instid0(VALU_DEP_2) | instskip(SKIP_1) | instid1(VALU_DEP_1)
	v_pk_fma_f32 v[130:131], v[128:129], v[116:117], v[126:127] op_sel:[0,0,1] op_sel_hi:[1,1,0] neg_lo:[0,0,1] neg_hi:[0,0,1]
	v_pk_fma_f32 v[126:127], v[128:129], v[116:117], v[126:127] op_sel:[0,0,1] op_sel_hi:[1,0,0]
	v_mov_b32_e32 v131, v127
	ds_load_2addr_b64 v[126:129], v120 offset0:42 offset1:43
	v_pk_add_f32 v[66:67], v[66:67], v[130:131] neg_lo:[0,1] neg_hi:[0,1]
	s_wait_dscnt 0x0
	v_pk_mul_f32 v[130:131], v[126:127], v[118:119] op_sel:[0,1]
	s_delay_alu instid0(VALU_DEP_1) | instskip(SKIP_1) | instid1(VALU_DEP_1)
	v_pk_fma_f32 v[132:133], v[126:127], v[116:117], v[130:131] op_sel:[0,0,1] op_sel_hi:[1,1,0] neg_lo:[0,0,1] neg_hi:[0,0,1]
	v_pk_fma_f32 v[126:127], v[126:127], v[116:117], v[130:131] op_sel:[0,0,1] op_sel_hi:[1,0,0]
	v_mov_b32_e32 v133, v127
	v_pk_mul_f32 v[126:127], v[128:129], v[118:119] op_sel:[0,1]
	s_delay_alu instid0(VALU_DEP_2) | instskip(NEXT) | instid1(VALU_DEP_2)
	v_pk_add_f32 v[14:15], v[14:15], v[132:133] neg_lo:[0,1] neg_hi:[0,1]
	v_pk_fma_f32 v[130:131], v[128:129], v[116:117], v[126:127] op_sel:[0,0,1] op_sel_hi:[1,1,0] neg_lo:[0,0,1] neg_hi:[0,0,1]
	v_pk_fma_f32 v[126:127], v[128:129], v[116:117], v[126:127] op_sel:[0,0,1] op_sel_hi:[1,0,0]
	s_delay_alu instid0(VALU_DEP_1) | instskip(SKIP_4) | instid1(VALU_DEP_1)
	v_mov_b32_e32 v131, v127
	ds_load_2addr_b64 v[126:129], v120 offset0:44 offset1:45
	v_pk_add_f32 v[12:13], v[12:13], v[130:131] neg_lo:[0,1] neg_hi:[0,1]
	s_wait_dscnt 0x0
	v_pk_mul_f32 v[130:131], v[126:127], v[118:119] op_sel:[0,1]
	v_pk_fma_f32 v[132:133], v[126:127], v[116:117], v[130:131] op_sel:[0,0,1] op_sel_hi:[1,1,0] neg_lo:[0,0,1] neg_hi:[0,0,1]
	v_pk_fma_f32 v[126:127], v[126:127], v[116:117], v[130:131] op_sel:[0,0,1] op_sel_hi:[1,0,0]
	v_dual_mul_f32 v130, v129, v119 :: v_dual_mov_b32 v126, v129
	s_delay_alu instid0(VALU_DEP_2) | instskip(NEXT) | instid1(VALU_DEP_2)
	v_dual_mov_b32 v133, v127 :: v_dual_mov_b32 v127, v128
	v_pk_fma_f32 v[130:131], v[128:129], v[26:27], v[130:131] op_sel_hi:[1,1,0] neg_lo:[0,0,1] neg_hi:[0,0,1]
	v_mul_f32_e32 v128, v129, v116
	s_delay_alu instid0(VALU_DEP_3) | instskip(NEXT) | instid1(VALU_DEP_2)
	v_pk_add_f32 v[64:65], v[64:65], v[132:133] neg_lo:[0,1] neg_hi:[0,1]
	v_pk_fma_f32 v[126:127], v[126:127], v[26:27], v[128:129] op_sel_hi:[1,1,0]
	s_delay_alu instid0(VALU_DEP_1) | instskip(SKIP_4) | instid1(VALU_DEP_1)
	v_mov_b32_e32 v131, v127
	ds_load_2addr_b64 v[126:129], v120 offset0:46 offset1:47
	v_pk_add_f32 v[62:63], v[62:63], v[130:131] neg_lo:[0,1] neg_hi:[0,1]
	s_wait_dscnt 0x0
	v_pk_mul_f32 v[130:131], v[126:127], v[118:119] op_sel:[0,1]
	v_pk_fma_f32 v[132:133], v[126:127], v[116:117], v[130:131] op_sel:[0,0,1] op_sel_hi:[1,1,0] neg_lo:[0,0,1] neg_hi:[0,0,1]
	v_pk_fma_f32 v[126:127], v[126:127], v[116:117], v[130:131] op_sel:[0,0,1] op_sel_hi:[1,0,0]
	s_delay_alu instid0(VALU_DEP_1) | instskip(SKIP_1) | instid1(VALU_DEP_1)
	v_mov_b32_e32 v133, v127
	v_pk_mul_f32 v[126:127], v[128:129], v[118:119] op_sel:[0,1]
	v_pk_fma_f32 v[130:131], v[128:129], v[116:117], v[126:127] op_sel:[0,0,1] op_sel_hi:[1,1,0] neg_lo:[0,0,1] neg_hi:[0,0,1]
	v_pk_fma_f32 v[126:127], v[128:129], v[116:117], v[126:127] op_sel:[0,0,1] op_sel_hi:[1,0,0]
	s_delay_alu instid0(VALU_DEP_1)
	v_mov_b32_e32 v131, v127
	ds_load_2addr_b64 v[126:129], v120 offset0:48 offset1:49
	v_pk_add_f32 v[10:11], v[10:11], v[132:133] neg_lo:[0,1] neg_hi:[0,1]
	v_pk_add_f32 v[6:7], v[6:7], v[130:131] neg_lo:[0,1] neg_hi:[0,1]
	s_wait_dscnt 0x0
	v_pk_mul_f32 v[130:131], v[126:127], v[118:119] op_sel:[0,1]
	s_delay_alu instid0(VALU_DEP_1) | instskip(SKIP_1) | instid1(VALU_DEP_1)
	v_pk_fma_f32 v[132:133], v[126:127], v[116:117], v[130:131] op_sel:[0,0,1] op_sel_hi:[1,1,0] neg_lo:[0,0,1] neg_hi:[0,0,1]
	v_pk_fma_f32 v[126:127], v[126:127], v[116:117], v[130:131] op_sel:[0,0,1] op_sel_hi:[1,0,0]
	v_mov_b32_e32 v133, v127
	v_pk_mul_f32 v[126:127], v[128:129], v[118:119] op_sel:[0,1]
	s_delay_alu instid0(VALU_DEP_1) | instskip(SKIP_1) | instid1(VALU_DEP_1)
	v_pk_fma_f32 v[130:131], v[128:129], v[116:117], v[126:127] op_sel:[0,0,1] op_sel_hi:[1,1,0] neg_lo:[0,0,1] neg_hi:[0,0,1]
	v_pk_fma_f32 v[126:127], v[128:129], v[116:117], v[126:127] op_sel:[0,0,1] op_sel_hi:[1,0,0]
	v_mov_b32_e32 v131, v127
	ds_load_2addr_b64 v[126:129], v120 offset0:50 offset1:51
	v_pk_add_f32 v[52:53], v[52:53], v[132:133] neg_lo:[0,1] neg_hi:[0,1]
	v_pk_add_f32 v[50:51], v[50:51], v[130:131] neg_lo:[0,1] neg_hi:[0,1]
	s_wait_dscnt 0x0
	v_dual_mul_f32 v130, v127, v119 :: v_dual_mul_f32 v132, v127, v116
	s_delay_alu instid0(VALU_DEP_1) | instskip(NEXT) | instid1(VALU_DEP_2)
	v_pk_fma_f32 v[130:131], v[126:127], v[26:27], v[130:131] op_sel_hi:[1,1,0] neg_lo:[0,0,1] neg_hi:[0,0,1]
	v_pk_fma_f32 v[126:127], v[126:127], v[26:27], v[132:133] op_sel:[1,0,0] op_sel_hi:[0,1,0]
	s_delay_alu instid0(VALU_DEP_1) | instskip(SKIP_1) | instid1(VALU_DEP_2)
	v_mov_b32_e32 v131, v127
	v_pk_mul_f32 v[126:127], v[128:129], v[118:119] op_sel:[0,1]
	v_pk_add_f32 v[8:9], v[8:9], v[130:131] neg_lo:[0,1] neg_hi:[0,1]
	s_delay_alu instid0(VALU_DEP_2) | instskip(SKIP_1) | instid1(VALU_DEP_1)
	v_pk_fma_f32 v[130:131], v[128:129], v[116:117], v[126:127] op_sel:[0,0,1] op_sel_hi:[1,1,0] neg_lo:[0,0,1] neg_hi:[0,0,1]
	v_pk_fma_f32 v[126:127], v[128:129], v[116:117], v[126:127] op_sel:[0,0,1] op_sel_hi:[1,0,0]
	v_mov_b32_e32 v131, v127
	ds_load_2addr_b64 v[126:129], v120 offset0:52 offset1:53
	v_pk_add_f32 v[30:31], v[30:31], v[130:131] neg_lo:[0,1] neg_hi:[0,1]
	s_wait_dscnt 0x0
	v_pk_mul_f32 v[130:131], v[126:127], v[118:119] op_sel:[0,1]
	s_delay_alu instid0(VALU_DEP_1) | instskip(SKIP_1) | instid1(VALU_DEP_1)
	v_pk_fma_f32 v[132:133], v[126:127], v[116:117], v[130:131] op_sel:[0,0,1] op_sel_hi:[1,1,0] neg_lo:[0,0,1] neg_hi:[0,0,1]
	v_pk_fma_f32 v[126:127], v[126:127], v[116:117], v[130:131] op_sel:[0,0,1] op_sel_hi:[1,0,0]
	v_mov_b32_e32 v133, v127
	v_pk_mul_f32 v[126:127], v[128:129], v[118:119] op_sel:[0,1]
	s_delay_alu instid0(VALU_DEP_2) | instskip(NEXT) | instid1(VALU_DEP_2)
	v_pk_add_f32 v[34:35], v[34:35], v[132:133] neg_lo:[0,1] neg_hi:[0,1]
	v_pk_fma_f32 v[130:131], v[128:129], v[116:117], v[126:127] op_sel:[0,0,1] op_sel_hi:[1,1,0] neg_lo:[0,0,1] neg_hi:[0,0,1]
	v_pk_fma_f32 v[126:127], v[128:129], v[116:117], v[126:127] op_sel:[0,0,1] op_sel_hi:[1,0,0]
	s_delay_alu instid0(VALU_DEP_1) | instskip(SKIP_4) | instid1(VALU_DEP_1)
	v_mov_b32_e32 v131, v127
	ds_load_b64 v[126:127], v120 offset:432
	v_pk_add_f32 v[24:25], v[24:25], v[130:131] neg_lo:[0,1] neg_hi:[0,1]
	s_wait_dscnt 0x0
	v_pk_mul_f32 v[118:119], v[126:127], v[118:119] op_sel:[0,1]
	v_pk_fma_f32 v[128:129], v[126:127], v[116:117], v[118:119] op_sel:[0,0,1] op_sel_hi:[1,1,0] neg_lo:[0,0,1] neg_hi:[0,0,1]
	v_pk_fma_f32 v[116:117], v[126:127], v[116:117], v[118:119] op_sel:[0,0,1] op_sel_hi:[1,0,0]
	s_delay_alu instid0(VALU_DEP_1) | instskip(NEXT) | instid1(VALU_DEP_1)
	v_mov_b32_e32 v129, v117
	v_pk_add_f32 v[114:115], v[114:115], v[128:129] neg_lo:[0,1] neg_hi:[0,1]
.LBB108_671:
	s_or_b32 exec_lo, exec_lo, s0
	v_lshl_add_u32 v116, v124, 3, v120
	s_barrier_signal -1
	s_barrier_wait -1
	ds_store_b64 v116, v[76:77]
	s_wait_dscnt 0x0
	s_barrier_signal -1
	s_barrier_wait -1
	ds_load_b64 v[118:119], v120 offset:256
	v_mov_b32_e32 v116, 32
	s_cmp_lt_i32 s18, 34
	s_cbranch_scc1 .LBB108_674
; %bb.672:
	v_add3_u32 v117, v121, 0, 0x108
	v_mov_b32_e32 v116, 32
	s_mov_b32 s0, 33
.LBB108_673:                            ; =>This Inner Loop Header: Depth=1
	ds_load_b64 v[126:127], v117
	s_wait_dscnt 0x1
	v_cmp_gt_f32_e32 vcc_lo, 0, v118
	v_cndmask_b32_e64 v128, v118, -v118, vcc_lo
	v_cmp_gt_f32_e32 vcc_lo, 0, v119
	v_cndmask_b32_e64 v130, v119, -v119, vcc_lo
	s_wait_dscnt 0x0
	v_cmp_gt_f32_e32 vcc_lo, 0, v126
	v_cndmask_b32_e64 v129, v126, -v126, vcc_lo
	v_cmp_gt_f32_e32 vcc_lo, 0, v127
	v_cndmask_b32_e64 v131, v127, -v127, vcc_lo
	s_delay_alu instid0(VALU_DEP_1) | instskip(NEXT) | instid1(VALU_DEP_1)
	v_pk_add_f32 v[128:129], v[128:129], v[130:131]
	v_cmp_lt_f32_e32 vcc_lo, v128, v129
	v_dual_add_nc_u32 v117, 8, v117 :: v_dual_cndmask_b32 v119, v119, v127, vcc_lo
	v_cndmask_b32_e32 v118, v118, v126, vcc_lo
	v_cndmask_b32_e64 v116, v116, s0, vcc_lo
	s_add_co_i32 s0, s0, 1
	s_delay_alu instid0(SALU_CYCLE_1)
	s_cmp_lg_u32 s18, s0
	s_cbranch_scc1 .LBB108_673
.LBB108_674:
	s_wait_dscnt 0x0
	v_cmp_eq_f32_e32 vcc_lo, 0, v118
	v_cmp_eq_f32_e64 s0, 0, v119
	s_and_b32 s0, vcc_lo, s0
	s_delay_alu instid0(SALU_CYCLE_1) | instskip(NEXT) | instid1(SALU_CYCLE_1)
	s_and_saveexec_b32 s1, s0
	s_xor_b32 s0, exec_lo, s1
; %bb.675:
	v_cmp_ne_u32_e32 vcc_lo, 0, v122
	v_cndmask_b32_e32 v122, 33, v122, vcc_lo
; %bb.676:
	s_and_not1_saveexec_b32 s0, s0
	s_cbranch_execz .LBB108_682
; %bb.677:
	v_cmp_ngt_f32_e64 s1, |v118|, |v119|
	s_and_saveexec_b32 s12, s1
	s_delay_alu instid0(SALU_CYCLE_1)
	s_xor_b32 s1, exec_lo, s12
	s_cbranch_execz .LBB108_679
; %bb.678:
	v_div_scale_f32 v117, null, v119, v119, v118
	v_div_scale_f32 v127, vcc_lo, v118, v119, v118
	s_delay_alu instid0(VALU_DEP_2) | instskip(SKIP_1) | instid1(TRANS32_DEP_1)
	v_rcp_f32_e32 v125, v117
	v_nop
	v_fma_f32 v126, -v117, v125, 1.0
	s_delay_alu instid0(VALU_DEP_1) | instskip(NEXT) | instid1(VALU_DEP_1)
	v_fmac_f32_e32 v125, v126, v125
	v_mul_f32_e32 v126, v127, v125
	s_delay_alu instid0(VALU_DEP_1) | instskip(NEXT) | instid1(VALU_DEP_1)
	v_fma_f32 v128, -v117, v126, v127
	v_fmac_f32_e32 v126, v128, v125
	s_delay_alu instid0(VALU_DEP_1) | instskip(NEXT) | instid1(VALU_DEP_1)
	v_fma_f32 v117, -v117, v126, v127
	v_div_fmas_f32 v117, v117, v125, v126
	s_delay_alu instid0(VALU_DEP_1) | instskip(NEXT) | instid1(VALU_DEP_1)
	v_div_fixup_f32 v117, v117, v119, v118
	v_fmac_f32_e32 v119, v118, v117
	s_delay_alu instid0(VALU_DEP_1) | instskip(SKIP_1) | instid1(VALU_DEP_2)
	v_div_scale_f32 v118, null, v119, v119, 1.0
	v_div_scale_f32 v127, vcc_lo, 1.0, v119, 1.0
	v_rcp_f32_e32 v125, v118
	v_nop
	s_delay_alu instid0(TRANS32_DEP_1) | instskip(NEXT) | instid1(VALU_DEP_1)
	v_fma_f32 v126, -v118, v125, 1.0
	v_fmac_f32_e32 v125, v126, v125
	s_delay_alu instid0(VALU_DEP_1) | instskip(NEXT) | instid1(VALU_DEP_1)
	v_mul_f32_e32 v126, v127, v125
	v_fma_f32 v128, -v118, v126, v127
	s_delay_alu instid0(VALU_DEP_1) | instskip(NEXT) | instid1(VALU_DEP_1)
	v_fmac_f32_e32 v126, v128, v125
	v_fma_f32 v118, -v118, v126, v127
	s_delay_alu instid0(VALU_DEP_1) | instskip(NEXT) | instid1(VALU_DEP_1)
	v_div_fmas_f32 v118, v118, v125, v126
	v_div_fixup_f32 v119, v118, v119, 1.0
	s_delay_alu instid0(VALU_DEP_1)
	v_mul_f32_e32 v118, v117, v119
	v_xor_b32_e32 v119, 0x80000000, v119
.LBB108_679:
	s_and_not1_saveexec_b32 s1, s1
	s_cbranch_execz .LBB108_681
; %bb.680:
	s_delay_alu instid0(VALU_DEP_1) | instskip(SKIP_1) | instid1(VALU_DEP_2)
	v_div_scale_f32 v117, null, v118, v118, v119
	v_div_scale_f32 v127, vcc_lo, v119, v118, v119
	v_rcp_f32_e32 v125, v117
	v_nop
	s_delay_alu instid0(TRANS32_DEP_1) | instskip(NEXT) | instid1(VALU_DEP_1)
	v_fma_f32 v126, -v117, v125, 1.0
	v_fmac_f32_e32 v125, v126, v125
	s_delay_alu instid0(VALU_DEP_1) | instskip(NEXT) | instid1(VALU_DEP_1)
	v_mul_f32_e32 v126, v127, v125
	v_fma_f32 v128, -v117, v126, v127
	s_delay_alu instid0(VALU_DEP_1) | instskip(NEXT) | instid1(VALU_DEP_1)
	v_fmac_f32_e32 v126, v128, v125
	v_fma_f32 v117, -v117, v126, v127
	s_delay_alu instid0(VALU_DEP_1) | instskip(NEXT) | instid1(VALU_DEP_1)
	v_div_fmas_f32 v117, v117, v125, v126
	v_div_fixup_f32 v117, v117, v118, v119
	s_delay_alu instid0(VALU_DEP_1) | instskip(NEXT) | instid1(VALU_DEP_1)
	v_fmac_f32_e32 v118, v119, v117
	v_div_scale_f32 v119, null, v118, v118, 1.0
	s_delay_alu instid0(VALU_DEP_1) | instskip(SKIP_1) | instid1(TRANS32_DEP_1)
	v_rcp_f32_e32 v125, v119
	v_nop
	v_fma_f32 v126, -v119, v125, 1.0
	s_delay_alu instid0(VALU_DEP_1) | instskip(SKIP_1) | instid1(VALU_DEP_1)
	v_fmac_f32_e32 v125, v126, v125
	v_div_scale_f32 v126, vcc_lo, 1.0, v118, 1.0
	v_mul_f32_e32 v127, v126, v125
	s_delay_alu instid0(VALU_DEP_1) | instskip(NEXT) | instid1(VALU_DEP_1)
	v_fma_f32 v128, -v119, v127, v126
	v_fmac_f32_e32 v127, v128, v125
	s_delay_alu instid0(VALU_DEP_1) | instskip(NEXT) | instid1(VALU_DEP_1)
	v_fma_f32 v119, -v119, v127, v126
	v_div_fmas_f32 v119, v119, v125, v127
	s_delay_alu instid0(VALU_DEP_1) | instskip(NEXT) | instid1(VALU_DEP_1)
	v_div_fixup_f32 v118, v119, v118, 1.0
	v_mul_f32_e64 v119, v117, -v118
.LBB108_681:
	s_or_b32 exec_lo, exec_lo, s1
.LBB108_682:
	s_delay_alu instid0(SALU_CYCLE_1) | instskip(NEXT) | instid1(SALU_CYCLE_1)
	s_or_b32 exec_lo, exec_lo, s0
	s_mov_b32 s0, exec_lo
	v_cmpx_ne_u32_e64 v124, v116
	s_xor_b32 s0, exec_lo, s0
	s_cbranch_execz .LBB108_688
; %bb.683:
	s_mov_b32 s1, exec_lo
	v_cmpx_eq_u32_e32 32, v124
	s_cbranch_execz .LBB108_687
; %bb.684:
	v_cmp_ne_u32_e32 vcc_lo, 32, v116
	s_xor_b32 s12, s16, -1
	s_delay_alu instid0(SALU_CYCLE_1) | instskip(NEXT) | instid1(SALU_CYCLE_1)
	s_and_b32 s13, s12, vcc_lo
	s_and_saveexec_b32 s12, s13
	s_cbranch_execz .LBB108_686
; %bb.685:
	v_ashrrev_i32_e32 v117, 31, v116
	s_delay_alu instid0(VALU_DEP_1)
	v_lshl_add_u64 v[124:125], v[116:117], 2, v[4:5]
	s_clause 0x1
	global_load_b32 v117, v[124:125], off
	global_load_b32 v123, v[4:5], off offset:128
	s_wait_loadcnt 0x1
	global_store_b32 v[4:5], v117, off offset:128
	s_wait_loadcnt 0x0
	global_store_b32 v[124:125], v123, off
.LBB108_686:
	s_wait_xcnt 0x0
	s_or_b32 exec_lo, exec_lo, s12
	v_dual_mov_b32 v124, v116 :: v_dual_mov_b32 v123, v116
.LBB108_687:
	s_or_b32 exec_lo, exec_lo, s1
.LBB108_688:
	s_and_not1_saveexec_b32 s0, s0
	s_cbranch_execz .LBB108_690
; %bb.689:
	v_mov_b32_e32 v124, 32
	ds_store_2addr_b64 v120, v[74:75], v[22:23] offset0:33 offset1:34
	ds_store_2addr_b64 v120, v[20:21], v[72:73] offset0:35 offset1:36
	ds_store_2addr_b64 v120, v[70:71], v[18:19] offset0:37 offset1:38
	ds_store_2addr_b64 v120, v[16:17], v[68:69] offset0:39 offset1:40
	ds_store_2addr_b64 v120, v[66:67], v[14:15] offset0:41 offset1:42
	ds_store_2addr_b64 v120, v[12:13], v[64:65] offset0:43 offset1:44
	ds_store_2addr_b64 v120, v[62:63], v[10:11] offset0:45 offset1:46
	ds_store_2addr_b64 v120, v[6:7], v[52:53] offset0:47 offset1:48
	ds_store_2addr_b64 v120, v[50:51], v[8:9] offset0:49 offset1:50
	ds_store_2addr_b64 v120, v[30:31], v[34:35] offset0:51 offset1:52
	ds_store_2addr_b64 v120, v[24:25], v[114:115] offset0:53 offset1:54
.LBB108_690:
	s_or_b32 exec_lo, exec_lo, s0
	s_delay_alu instid0(SALU_CYCLE_1)
	s_mov_b32 s0, exec_lo
	s_wait_storecnt_dscnt 0x0
	s_barrier_signal -1
	s_barrier_wait -1
	v_cmpx_lt_i32_e32 32, v124
	s_cbranch_execz .LBB108_692
; %bb.691:
	v_pk_mul_f32 v[126:127], v[118:119], v[76:77] op_sel:[1,1] op_sel_hi:[0,1]
	s_delay_alu instid0(VALU_DEP_1)
	v_pk_fma_f32 v[116:117], v[118:119], v[76:77], v[126:127] op_sel_hi:[1,0,1] neg_lo:[0,0,1] neg_hi:[0,0,1]
	v_pk_fma_f32 v[118:119], v[118:119], v[76:77], v[126:127] op_sel_hi:[1,0,1]
	ds_load_2addr_b64 v[126:129], v120 offset0:33 offset1:34
	v_dual_mov_b32 v76, v116 :: v_dual_mov_b32 v77, v119
	s_wait_dscnt 0x0
	v_pk_mul_f32 v[130:131], v[126:127], v[118:119] op_sel:[0,1]
	s_delay_alu instid0(VALU_DEP_1) | instskip(SKIP_1) | instid1(VALU_DEP_1)
	v_pk_fma_f32 v[132:133], v[126:127], v[116:117], v[130:131] op_sel:[0,0,1] op_sel_hi:[1,1,0] neg_lo:[0,0,1] neg_hi:[0,0,1]
	v_pk_fma_f32 v[126:127], v[126:127], v[116:117], v[130:131] op_sel:[0,0,1] op_sel_hi:[1,0,0]
	v_mov_b32_e32 v133, v127
	v_pk_mul_f32 v[126:127], v[128:129], v[118:119] op_sel:[0,1]
	s_delay_alu instid0(VALU_DEP_1) | instskip(SKIP_1) | instid1(VALU_DEP_1)
	v_pk_fma_f32 v[130:131], v[128:129], v[116:117], v[126:127] op_sel:[0,0,1] op_sel_hi:[1,1,0] neg_lo:[0,0,1] neg_hi:[0,0,1]
	v_pk_fma_f32 v[126:127], v[128:129], v[116:117], v[126:127] op_sel:[0,0,1] op_sel_hi:[1,0,0]
	v_mov_b32_e32 v131, v127
	ds_load_2addr_b64 v[126:129], v120 offset0:35 offset1:36
	v_pk_add_f32 v[74:75], v[74:75], v[132:133] neg_lo:[0,1] neg_hi:[0,1]
	v_pk_add_f32 v[22:23], v[22:23], v[130:131] neg_lo:[0,1] neg_hi:[0,1]
	s_wait_dscnt 0x0
	v_pk_mul_f32 v[130:131], v[126:127], v[118:119] op_sel:[0,1]
	s_delay_alu instid0(VALU_DEP_1) | instskip(SKIP_2) | instid1(VALU_DEP_2)
	v_pk_fma_f32 v[132:133], v[126:127], v[116:117], v[130:131] op_sel:[0,0,1] op_sel_hi:[1,1,0] neg_lo:[0,0,1] neg_hi:[0,0,1]
	v_pk_fma_f32 v[126:127], v[126:127], v[116:117], v[130:131] op_sel:[0,0,1] op_sel_hi:[1,0,0]
	v_dual_mul_f32 v130, v129, v119 :: v_dual_mov_b32 v126, v129
	v_dual_mov_b32 v133, v127 :: v_dual_mov_b32 v127, v128
	s_delay_alu instid0(VALU_DEP_2) | instskip(SKIP_1) | instid1(VALU_DEP_3)
	v_pk_fma_f32 v[130:131], v[128:129], v[76:77], v[130:131] op_sel_hi:[1,1,0] neg_lo:[0,0,1] neg_hi:[0,0,1]
	v_mul_f32_e32 v128, v129, v116
	v_pk_add_f32 v[20:21], v[20:21], v[132:133] neg_lo:[0,1] neg_hi:[0,1]
	s_delay_alu instid0(VALU_DEP_2) | instskip(NEXT) | instid1(VALU_DEP_1)
	v_pk_fma_f32 v[126:127], v[126:127], v[76:77], v[128:129] op_sel_hi:[1,1,0]
	v_mov_b32_e32 v131, v127
	ds_load_2addr_b64 v[126:129], v120 offset0:37 offset1:38
	v_pk_add_f32 v[72:73], v[72:73], v[130:131] neg_lo:[0,1] neg_hi:[0,1]
	s_wait_dscnt 0x0
	v_pk_mul_f32 v[130:131], v[126:127], v[118:119] op_sel:[0,1]
	s_delay_alu instid0(VALU_DEP_1) | instskip(SKIP_1) | instid1(VALU_DEP_1)
	v_pk_fma_f32 v[132:133], v[126:127], v[116:117], v[130:131] op_sel:[0,0,1] op_sel_hi:[1,1,0] neg_lo:[0,0,1] neg_hi:[0,0,1]
	v_pk_fma_f32 v[126:127], v[126:127], v[116:117], v[130:131] op_sel:[0,0,1] op_sel_hi:[1,0,0]
	v_mov_b32_e32 v133, v127
	v_pk_mul_f32 v[126:127], v[128:129], v[118:119] op_sel:[0,1]
	s_delay_alu instid0(VALU_DEP_1) | instskip(SKIP_1) | instid1(VALU_DEP_1)
	v_pk_fma_f32 v[130:131], v[128:129], v[116:117], v[126:127] op_sel:[0,0,1] op_sel_hi:[1,1,0] neg_lo:[0,0,1] neg_hi:[0,0,1]
	v_pk_fma_f32 v[126:127], v[128:129], v[116:117], v[126:127] op_sel:[0,0,1] op_sel_hi:[1,0,0]
	v_mov_b32_e32 v131, v127
	ds_load_2addr_b64 v[126:129], v120 offset0:39 offset1:40
	v_pk_add_f32 v[70:71], v[70:71], v[132:133] neg_lo:[0,1] neg_hi:[0,1]
	v_pk_add_f32 v[18:19], v[18:19], v[130:131] neg_lo:[0,1] neg_hi:[0,1]
	s_wait_dscnt 0x0
	v_pk_mul_f32 v[130:131], v[126:127], v[118:119] op_sel:[0,1]
	s_delay_alu instid0(VALU_DEP_1) | instskip(SKIP_1) | instid1(VALU_DEP_1)
	v_pk_fma_f32 v[132:133], v[126:127], v[116:117], v[130:131] op_sel:[0,0,1] op_sel_hi:[1,1,0] neg_lo:[0,0,1] neg_hi:[0,0,1]
	v_pk_fma_f32 v[126:127], v[126:127], v[116:117], v[130:131] op_sel:[0,0,1] op_sel_hi:[1,0,0]
	v_mov_b32_e32 v133, v127
	v_pk_mul_f32 v[126:127], v[128:129], v[118:119] op_sel:[0,1]
	s_delay_alu instid0(VALU_DEP_1) | instskip(SKIP_1) | instid1(VALU_DEP_1)
	v_pk_fma_f32 v[130:131], v[128:129], v[116:117], v[126:127] op_sel:[0,0,1] op_sel_hi:[1,1,0] neg_lo:[0,0,1] neg_hi:[0,0,1]
	v_pk_fma_f32 v[126:127], v[128:129], v[116:117], v[126:127] op_sel:[0,0,1] op_sel_hi:[1,0,0]
	v_mov_b32_e32 v131, v127
	ds_load_2addr_b64 v[126:129], v120 offset0:41 offset1:42
	v_pk_add_f32 v[16:17], v[16:17], v[132:133] neg_lo:[0,1] neg_hi:[0,1]
	v_pk_add_f32 v[68:69], v[68:69], v[130:131] neg_lo:[0,1] neg_hi:[0,1]
	s_wait_dscnt 0x0
	v_dual_mul_f32 v130, v127, v119 :: v_dual_mul_f32 v132, v127, v116
	s_delay_alu instid0(VALU_DEP_1) | instskip(NEXT) | instid1(VALU_DEP_2)
	v_pk_fma_f32 v[130:131], v[126:127], v[76:77], v[130:131] op_sel_hi:[1,1,0] neg_lo:[0,0,1] neg_hi:[0,0,1]
	v_pk_fma_f32 v[126:127], v[126:127], v[76:77], v[132:133] op_sel:[1,0,0] op_sel_hi:[0,1,0]
	s_delay_alu instid0(VALU_DEP_1) | instskip(SKIP_1) | instid1(VALU_DEP_2)
	v_mov_b32_e32 v131, v127
	v_pk_mul_f32 v[126:127], v[128:129], v[118:119] op_sel:[0,1]
	v_pk_add_f32 v[66:67], v[66:67], v[130:131] neg_lo:[0,1] neg_hi:[0,1]
	s_delay_alu instid0(VALU_DEP_2) | instskip(SKIP_1) | instid1(VALU_DEP_1)
	v_pk_fma_f32 v[130:131], v[128:129], v[116:117], v[126:127] op_sel:[0,0,1] op_sel_hi:[1,1,0] neg_lo:[0,0,1] neg_hi:[0,0,1]
	v_pk_fma_f32 v[126:127], v[128:129], v[116:117], v[126:127] op_sel:[0,0,1] op_sel_hi:[1,0,0]
	v_mov_b32_e32 v131, v127
	ds_load_2addr_b64 v[126:129], v120 offset0:43 offset1:44
	v_pk_add_f32 v[14:15], v[14:15], v[130:131] neg_lo:[0,1] neg_hi:[0,1]
	s_wait_dscnt 0x0
	v_pk_mul_f32 v[130:131], v[126:127], v[118:119] op_sel:[0,1]
	s_delay_alu instid0(VALU_DEP_1) | instskip(SKIP_1) | instid1(VALU_DEP_1)
	v_pk_fma_f32 v[132:133], v[126:127], v[116:117], v[130:131] op_sel:[0,0,1] op_sel_hi:[1,1,0] neg_lo:[0,0,1] neg_hi:[0,0,1]
	v_pk_fma_f32 v[126:127], v[126:127], v[116:117], v[130:131] op_sel:[0,0,1] op_sel_hi:[1,0,0]
	v_mov_b32_e32 v133, v127
	v_pk_mul_f32 v[126:127], v[128:129], v[118:119] op_sel:[0,1]
	s_delay_alu instid0(VALU_DEP_2) | instskip(NEXT) | instid1(VALU_DEP_2)
	v_pk_add_f32 v[12:13], v[12:13], v[132:133] neg_lo:[0,1] neg_hi:[0,1]
	v_pk_fma_f32 v[130:131], v[128:129], v[116:117], v[126:127] op_sel:[0,0,1] op_sel_hi:[1,1,0] neg_lo:[0,0,1] neg_hi:[0,0,1]
	v_pk_fma_f32 v[126:127], v[128:129], v[116:117], v[126:127] op_sel:[0,0,1] op_sel_hi:[1,0,0]
	s_delay_alu instid0(VALU_DEP_1) | instskip(SKIP_4) | instid1(VALU_DEP_1)
	v_mov_b32_e32 v131, v127
	ds_load_2addr_b64 v[126:129], v120 offset0:45 offset1:46
	v_pk_add_f32 v[64:65], v[64:65], v[130:131] neg_lo:[0,1] neg_hi:[0,1]
	s_wait_dscnt 0x0
	v_pk_mul_f32 v[130:131], v[126:127], v[118:119] op_sel:[0,1]
	v_pk_fma_f32 v[132:133], v[126:127], v[116:117], v[130:131] op_sel:[0,0,1] op_sel_hi:[1,1,0] neg_lo:[0,0,1] neg_hi:[0,0,1]
	v_pk_fma_f32 v[126:127], v[126:127], v[116:117], v[130:131] op_sel:[0,0,1] op_sel_hi:[1,0,0]
	v_dual_mul_f32 v130, v129, v119 :: v_dual_mov_b32 v126, v129
	s_delay_alu instid0(VALU_DEP_2) | instskip(NEXT) | instid1(VALU_DEP_2)
	v_dual_mov_b32 v133, v127 :: v_dual_mov_b32 v127, v128
	v_pk_fma_f32 v[130:131], v[128:129], v[76:77], v[130:131] op_sel_hi:[1,1,0] neg_lo:[0,0,1] neg_hi:[0,0,1]
	v_mul_f32_e32 v128, v129, v116
	s_delay_alu instid0(VALU_DEP_3) | instskip(NEXT) | instid1(VALU_DEP_2)
	v_pk_add_f32 v[62:63], v[62:63], v[132:133] neg_lo:[0,1] neg_hi:[0,1]
	v_pk_fma_f32 v[126:127], v[126:127], v[76:77], v[128:129] op_sel_hi:[1,1,0]
	s_delay_alu instid0(VALU_DEP_1) | instskip(SKIP_4) | instid1(VALU_DEP_1)
	v_mov_b32_e32 v131, v127
	ds_load_2addr_b64 v[126:129], v120 offset0:47 offset1:48
	v_pk_add_f32 v[10:11], v[10:11], v[130:131] neg_lo:[0,1] neg_hi:[0,1]
	s_wait_dscnt 0x0
	v_pk_mul_f32 v[130:131], v[126:127], v[118:119] op_sel:[0,1]
	v_pk_fma_f32 v[132:133], v[126:127], v[116:117], v[130:131] op_sel:[0,0,1] op_sel_hi:[1,1,0] neg_lo:[0,0,1] neg_hi:[0,0,1]
	v_pk_fma_f32 v[126:127], v[126:127], v[116:117], v[130:131] op_sel:[0,0,1] op_sel_hi:[1,0,0]
	s_delay_alu instid0(VALU_DEP_1) | instskip(SKIP_1) | instid1(VALU_DEP_1)
	v_mov_b32_e32 v133, v127
	v_pk_mul_f32 v[126:127], v[128:129], v[118:119] op_sel:[0,1]
	v_pk_fma_f32 v[130:131], v[128:129], v[116:117], v[126:127] op_sel:[0,0,1] op_sel_hi:[1,1,0] neg_lo:[0,0,1] neg_hi:[0,0,1]
	v_pk_fma_f32 v[126:127], v[128:129], v[116:117], v[126:127] op_sel:[0,0,1] op_sel_hi:[1,0,0]
	s_delay_alu instid0(VALU_DEP_1)
	v_mov_b32_e32 v131, v127
	ds_load_2addr_b64 v[126:129], v120 offset0:49 offset1:50
	v_pk_add_f32 v[6:7], v[6:7], v[132:133] neg_lo:[0,1] neg_hi:[0,1]
	v_pk_add_f32 v[52:53], v[52:53], v[130:131] neg_lo:[0,1] neg_hi:[0,1]
	s_wait_dscnt 0x0
	v_pk_mul_f32 v[130:131], v[126:127], v[118:119] op_sel:[0,1]
	s_delay_alu instid0(VALU_DEP_1) | instskip(SKIP_1) | instid1(VALU_DEP_1)
	v_pk_fma_f32 v[132:133], v[126:127], v[116:117], v[130:131] op_sel:[0,0,1] op_sel_hi:[1,1,0] neg_lo:[0,0,1] neg_hi:[0,0,1]
	v_pk_fma_f32 v[126:127], v[126:127], v[116:117], v[130:131] op_sel:[0,0,1] op_sel_hi:[1,0,0]
	v_mov_b32_e32 v133, v127
	v_pk_mul_f32 v[126:127], v[128:129], v[118:119] op_sel:[0,1]
	s_delay_alu instid0(VALU_DEP_1) | instskip(SKIP_1) | instid1(VALU_DEP_1)
	v_pk_fma_f32 v[130:131], v[128:129], v[116:117], v[126:127] op_sel:[0,0,1] op_sel_hi:[1,1,0] neg_lo:[0,0,1] neg_hi:[0,0,1]
	v_pk_fma_f32 v[126:127], v[128:129], v[116:117], v[126:127] op_sel:[0,0,1] op_sel_hi:[1,0,0]
	v_mov_b32_e32 v131, v127
	ds_load_2addr_b64 v[126:129], v120 offset0:51 offset1:52
	v_pk_add_f32 v[50:51], v[50:51], v[132:133] neg_lo:[0,1] neg_hi:[0,1]
	v_pk_add_f32 v[8:9], v[8:9], v[130:131] neg_lo:[0,1] neg_hi:[0,1]
	s_wait_dscnt 0x0
	v_dual_mul_f32 v130, v127, v119 :: v_dual_mul_f32 v132, v127, v116
	s_delay_alu instid0(VALU_DEP_1) | instskip(NEXT) | instid1(VALU_DEP_2)
	v_pk_fma_f32 v[130:131], v[126:127], v[76:77], v[130:131] op_sel_hi:[1,1,0] neg_lo:[0,0,1] neg_hi:[0,0,1]
	v_pk_fma_f32 v[126:127], v[126:127], v[76:77], v[132:133] op_sel:[1,0,0] op_sel_hi:[0,1,0]
	s_delay_alu instid0(VALU_DEP_1) | instskip(SKIP_1) | instid1(VALU_DEP_2)
	v_mov_b32_e32 v131, v127
	v_pk_mul_f32 v[126:127], v[128:129], v[118:119] op_sel:[0,1]
	v_pk_add_f32 v[30:31], v[30:31], v[130:131] neg_lo:[0,1] neg_hi:[0,1]
	s_delay_alu instid0(VALU_DEP_2) | instskip(SKIP_1) | instid1(VALU_DEP_1)
	v_pk_fma_f32 v[130:131], v[128:129], v[116:117], v[126:127] op_sel:[0,0,1] op_sel_hi:[1,1,0] neg_lo:[0,0,1] neg_hi:[0,0,1]
	v_pk_fma_f32 v[126:127], v[128:129], v[116:117], v[126:127] op_sel:[0,0,1] op_sel_hi:[1,0,0]
	v_mov_b32_e32 v131, v127
	ds_load_2addr_b64 v[126:129], v120 offset0:53 offset1:54
	v_pk_add_f32 v[34:35], v[34:35], v[130:131] neg_lo:[0,1] neg_hi:[0,1]
	s_wait_dscnt 0x0
	v_pk_mul_f32 v[130:131], v[126:127], v[118:119] op_sel:[0,1]
	v_pk_mul_f32 v[118:119], v[128:129], v[118:119] op_sel:[0,1]
	s_delay_alu instid0(VALU_DEP_2) | instskip(SKIP_1) | instid1(VALU_DEP_1)
	v_pk_fma_f32 v[132:133], v[126:127], v[116:117], v[130:131] op_sel:[0,0,1] op_sel_hi:[1,1,0] neg_lo:[0,0,1] neg_hi:[0,0,1]
	v_pk_fma_f32 v[126:127], v[126:127], v[116:117], v[130:131] op_sel:[0,0,1] op_sel_hi:[1,0,0]
	v_mov_b32_e32 v133, v127
	s_delay_alu instid0(VALU_DEP_4) | instskip(SKIP_1) | instid1(VALU_DEP_3)
	v_pk_fma_f32 v[126:127], v[128:129], v[116:117], v[118:119] op_sel:[0,0,1] op_sel_hi:[1,1,0] neg_lo:[0,0,1] neg_hi:[0,0,1]
	v_pk_fma_f32 v[116:117], v[128:129], v[116:117], v[118:119] op_sel:[0,0,1] op_sel_hi:[1,0,0]
	v_pk_add_f32 v[24:25], v[24:25], v[132:133] neg_lo:[0,1] neg_hi:[0,1]
	s_delay_alu instid0(VALU_DEP_2) | instskip(NEXT) | instid1(VALU_DEP_1)
	v_mov_b32_e32 v127, v117
	v_pk_add_f32 v[114:115], v[114:115], v[126:127] neg_lo:[0,1] neg_hi:[0,1]
.LBB108_692:
	s_or_b32 exec_lo, exec_lo, s0
	v_lshl_add_u32 v116, v124, 3, v120
	s_barrier_signal -1
	s_barrier_wait -1
	ds_store_b64 v116, v[74:75]
	s_wait_dscnt 0x0
	s_barrier_signal -1
	s_barrier_wait -1
	ds_load_b64 v[118:119], v120 offset:264
	v_mov_b32_e32 v116, 33
	s_cmp_lt_i32 s18, 35
	s_cbranch_scc1 .LBB108_695
; %bb.693:
	v_add3_u32 v117, v121, 0, 0x110
	v_mov_b32_e32 v116, 33
	s_mov_b32 s0, 34
.LBB108_694:                            ; =>This Inner Loop Header: Depth=1
	ds_load_b64 v[126:127], v117
	s_wait_dscnt 0x1
	v_cmp_gt_f32_e32 vcc_lo, 0, v118
	v_cndmask_b32_e64 v128, v118, -v118, vcc_lo
	v_cmp_gt_f32_e32 vcc_lo, 0, v119
	v_cndmask_b32_e64 v130, v119, -v119, vcc_lo
	s_wait_dscnt 0x0
	v_cmp_gt_f32_e32 vcc_lo, 0, v126
	v_cndmask_b32_e64 v129, v126, -v126, vcc_lo
	v_cmp_gt_f32_e32 vcc_lo, 0, v127
	v_cndmask_b32_e64 v131, v127, -v127, vcc_lo
	s_delay_alu instid0(VALU_DEP_1) | instskip(NEXT) | instid1(VALU_DEP_1)
	v_pk_add_f32 v[128:129], v[128:129], v[130:131]
	v_cmp_lt_f32_e32 vcc_lo, v128, v129
	v_dual_add_nc_u32 v117, 8, v117 :: v_dual_cndmask_b32 v119, v119, v127, vcc_lo
	v_cndmask_b32_e32 v118, v118, v126, vcc_lo
	v_cndmask_b32_e64 v116, v116, s0, vcc_lo
	s_add_co_i32 s0, s0, 1
	s_delay_alu instid0(SALU_CYCLE_1)
	s_cmp_lg_u32 s18, s0
	s_cbranch_scc1 .LBB108_694
.LBB108_695:
	s_wait_dscnt 0x0
	v_cmp_eq_f32_e32 vcc_lo, 0, v118
	v_cmp_eq_f32_e64 s0, 0, v119
	s_and_b32 s0, vcc_lo, s0
	s_delay_alu instid0(SALU_CYCLE_1) | instskip(NEXT) | instid1(SALU_CYCLE_1)
	s_and_saveexec_b32 s1, s0
	s_xor_b32 s0, exec_lo, s1
; %bb.696:
	v_cmp_ne_u32_e32 vcc_lo, 0, v122
	v_cndmask_b32_e32 v122, 34, v122, vcc_lo
; %bb.697:
	s_and_not1_saveexec_b32 s0, s0
	s_cbranch_execz .LBB108_703
; %bb.698:
	v_cmp_ngt_f32_e64 s1, |v118|, |v119|
	s_and_saveexec_b32 s12, s1
	s_delay_alu instid0(SALU_CYCLE_1)
	s_xor_b32 s1, exec_lo, s12
	s_cbranch_execz .LBB108_700
; %bb.699:
	v_div_scale_f32 v117, null, v119, v119, v118
	v_div_scale_f32 v127, vcc_lo, v118, v119, v118
	s_delay_alu instid0(VALU_DEP_2) | instskip(SKIP_1) | instid1(TRANS32_DEP_1)
	v_rcp_f32_e32 v125, v117
	v_nop
	v_fma_f32 v126, -v117, v125, 1.0
	s_delay_alu instid0(VALU_DEP_1) | instskip(NEXT) | instid1(VALU_DEP_1)
	v_fmac_f32_e32 v125, v126, v125
	v_mul_f32_e32 v126, v127, v125
	s_delay_alu instid0(VALU_DEP_1) | instskip(NEXT) | instid1(VALU_DEP_1)
	v_fma_f32 v128, -v117, v126, v127
	v_fmac_f32_e32 v126, v128, v125
	s_delay_alu instid0(VALU_DEP_1) | instskip(NEXT) | instid1(VALU_DEP_1)
	v_fma_f32 v117, -v117, v126, v127
	v_div_fmas_f32 v117, v117, v125, v126
	s_delay_alu instid0(VALU_DEP_1) | instskip(NEXT) | instid1(VALU_DEP_1)
	v_div_fixup_f32 v117, v117, v119, v118
	v_fmac_f32_e32 v119, v118, v117
	s_delay_alu instid0(VALU_DEP_1) | instskip(SKIP_1) | instid1(VALU_DEP_2)
	v_div_scale_f32 v118, null, v119, v119, 1.0
	v_div_scale_f32 v127, vcc_lo, 1.0, v119, 1.0
	v_rcp_f32_e32 v125, v118
	v_nop
	s_delay_alu instid0(TRANS32_DEP_1) | instskip(NEXT) | instid1(VALU_DEP_1)
	v_fma_f32 v126, -v118, v125, 1.0
	v_fmac_f32_e32 v125, v126, v125
	s_delay_alu instid0(VALU_DEP_1) | instskip(NEXT) | instid1(VALU_DEP_1)
	v_mul_f32_e32 v126, v127, v125
	v_fma_f32 v128, -v118, v126, v127
	s_delay_alu instid0(VALU_DEP_1) | instskip(NEXT) | instid1(VALU_DEP_1)
	v_fmac_f32_e32 v126, v128, v125
	v_fma_f32 v118, -v118, v126, v127
	s_delay_alu instid0(VALU_DEP_1) | instskip(NEXT) | instid1(VALU_DEP_1)
	v_div_fmas_f32 v118, v118, v125, v126
	v_div_fixup_f32 v119, v118, v119, 1.0
	s_delay_alu instid0(VALU_DEP_1)
	v_mul_f32_e32 v118, v117, v119
	v_xor_b32_e32 v119, 0x80000000, v119
.LBB108_700:
	s_and_not1_saveexec_b32 s1, s1
	s_cbranch_execz .LBB108_702
; %bb.701:
	s_delay_alu instid0(VALU_DEP_1) | instskip(SKIP_1) | instid1(VALU_DEP_2)
	v_div_scale_f32 v117, null, v118, v118, v119
	v_div_scale_f32 v127, vcc_lo, v119, v118, v119
	v_rcp_f32_e32 v125, v117
	v_nop
	s_delay_alu instid0(TRANS32_DEP_1) | instskip(NEXT) | instid1(VALU_DEP_1)
	v_fma_f32 v126, -v117, v125, 1.0
	v_fmac_f32_e32 v125, v126, v125
	s_delay_alu instid0(VALU_DEP_1) | instskip(NEXT) | instid1(VALU_DEP_1)
	v_mul_f32_e32 v126, v127, v125
	v_fma_f32 v128, -v117, v126, v127
	s_delay_alu instid0(VALU_DEP_1) | instskip(NEXT) | instid1(VALU_DEP_1)
	v_fmac_f32_e32 v126, v128, v125
	v_fma_f32 v117, -v117, v126, v127
	s_delay_alu instid0(VALU_DEP_1) | instskip(NEXT) | instid1(VALU_DEP_1)
	v_div_fmas_f32 v117, v117, v125, v126
	v_div_fixup_f32 v117, v117, v118, v119
	s_delay_alu instid0(VALU_DEP_1) | instskip(NEXT) | instid1(VALU_DEP_1)
	v_fmac_f32_e32 v118, v119, v117
	v_div_scale_f32 v119, null, v118, v118, 1.0
	s_delay_alu instid0(VALU_DEP_1) | instskip(SKIP_1) | instid1(TRANS32_DEP_1)
	v_rcp_f32_e32 v125, v119
	v_nop
	v_fma_f32 v126, -v119, v125, 1.0
	s_delay_alu instid0(VALU_DEP_1) | instskip(SKIP_1) | instid1(VALU_DEP_1)
	v_fmac_f32_e32 v125, v126, v125
	v_div_scale_f32 v126, vcc_lo, 1.0, v118, 1.0
	v_mul_f32_e32 v127, v126, v125
	s_delay_alu instid0(VALU_DEP_1) | instskip(NEXT) | instid1(VALU_DEP_1)
	v_fma_f32 v128, -v119, v127, v126
	v_fmac_f32_e32 v127, v128, v125
	s_delay_alu instid0(VALU_DEP_1) | instskip(NEXT) | instid1(VALU_DEP_1)
	v_fma_f32 v119, -v119, v127, v126
	v_div_fmas_f32 v119, v119, v125, v127
	s_delay_alu instid0(VALU_DEP_1) | instskip(NEXT) | instid1(VALU_DEP_1)
	v_div_fixup_f32 v118, v119, v118, 1.0
	v_mul_f32_e64 v119, v117, -v118
.LBB108_702:
	s_or_b32 exec_lo, exec_lo, s1
.LBB108_703:
	s_delay_alu instid0(SALU_CYCLE_1) | instskip(NEXT) | instid1(SALU_CYCLE_1)
	s_or_b32 exec_lo, exec_lo, s0
	s_mov_b32 s0, exec_lo
	v_cmpx_ne_u32_e64 v124, v116
	s_xor_b32 s0, exec_lo, s0
	s_cbranch_execz .LBB108_709
; %bb.704:
	s_mov_b32 s1, exec_lo
	v_cmpx_eq_u32_e32 33, v124
	s_cbranch_execz .LBB108_708
; %bb.705:
	v_cmp_ne_u32_e32 vcc_lo, 33, v116
	s_xor_b32 s12, s16, -1
	s_delay_alu instid0(SALU_CYCLE_1) | instskip(NEXT) | instid1(SALU_CYCLE_1)
	s_and_b32 s13, s12, vcc_lo
	s_and_saveexec_b32 s12, s13
	s_cbranch_execz .LBB108_707
; %bb.706:
	v_ashrrev_i32_e32 v117, 31, v116
	s_delay_alu instid0(VALU_DEP_1)
	v_lshl_add_u64 v[124:125], v[116:117], 2, v[4:5]
	s_clause 0x1
	global_load_b32 v117, v[124:125], off
	global_load_b32 v123, v[4:5], off offset:132
	s_wait_loadcnt 0x1
	global_store_b32 v[4:5], v117, off offset:132
	s_wait_loadcnt 0x0
	global_store_b32 v[124:125], v123, off
.LBB108_707:
	s_wait_xcnt 0x0
	s_or_b32 exec_lo, exec_lo, s12
	v_dual_mov_b32 v124, v116 :: v_dual_mov_b32 v123, v116
.LBB108_708:
	s_or_b32 exec_lo, exec_lo, s1
.LBB108_709:
	s_and_not1_saveexec_b32 s0, s0
	s_cbranch_execz .LBB108_711
; %bb.710:
	v_dual_mov_b32 v116, v22 :: v_dual_mov_b32 v117, v23
	v_dual_mov_b32 v124, v20 :: v_dual_mov_b32 v125, v21
	ds_store_2addr_b64 v120, v[116:117], v[124:125] offset0:34 offset1:35
	v_dual_mov_b32 v116, v72 :: v_dual_mov_b32 v117, v73
	v_dual_mov_b32 v124, v70 :: v_dual_mov_b32 v125, v71
	ds_store_2addr_b64 v120, v[116:117], v[124:125] offset0:36 offset1:37
	v_dual_mov_b32 v116, v18 :: v_dual_mov_b32 v117, v19
	v_dual_mov_b32 v124, v16 :: v_dual_mov_b32 v125, v17
	ds_store_2addr_b64 v120, v[116:117], v[124:125] offset0:38 offset1:39
	v_dual_mov_b32 v116, v68 :: v_dual_mov_b32 v117, v69
	v_dual_mov_b32 v124, v66 :: v_dual_mov_b32 v125, v67
	ds_store_2addr_b64 v120, v[116:117], v[124:125] offset0:40 offset1:41
	v_dual_mov_b32 v116, v14 :: v_dual_mov_b32 v117, v15
	v_dual_mov_b32 v124, v12 :: v_dual_mov_b32 v125, v13
	ds_store_2addr_b64 v120, v[116:117], v[124:125] offset0:42 offset1:43
	v_dual_mov_b32 v116, v64 :: v_dual_mov_b32 v117, v65
	v_dual_mov_b32 v124, v62 :: v_dual_mov_b32 v125, v63
	ds_store_2addr_b64 v120, v[116:117], v[124:125] offset0:44 offset1:45
	v_dual_mov_b32 v116, v10 :: v_dual_mov_b32 v117, v11
	v_dual_mov_b32 v124, v6 :: v_dual_mov_b32 v125, v7
	ds_store_2addr_b64 v120, v[116:117], v[124:125] offset0:46 offset1:47
	v_dual_mov_b32 v116, v52 :: v_dual_mov_b32 v117, v53
	v_dual_mov_b32 v124, v50 :: v_dual_mov_b32 v125, v51
	ds_store_2addr_b64 v120, v[116:117], v[124:125] offset0:48 offset1:49
	v_dual_mov_b32 v116, v8 :: v_dual_mov_b32 v117, v9
	v_dual_mov_b32 v124, v30 :: v_dual_mov_b32 v125, v31
	ds_store_2addr_b64 v120, v[116:117], v[124:125] offset0:50 offset1:51
	v_dual_mov_b32 v116, v34 :: v_dual_mov_b32 v117, v35
	v_dual_mov_b32 v124, v24 :: v_dual_mov_b32 v125, v25
	ds_store_2addr_b64 v120, v[116:117], v[124:125] offset0:52 offset1:53
	ds_store_b64 v120, v[114:115] offset:432
	v_mov_b32_e32 v124, 33
.LBB108_711:
	s_or_b32 exec_lo, exec_lo, s0
	s_delay_alu instid0(SALU_CYCLE_1)
	s_mov_b32 s0, exec_lo
	s_wait_storecnt_dscnt 0x0
	s_barrier_signal -1
	s_barrier_wait -1
	v_cmpx_lt_i32_e32 33, v124
	s_cbranch_execz .LBB108_713
; %bb.712:
	v_pk_mul_f32 v[126:127], v[118:119], v[74:75] op_sel:[1,1] op_sel_hi:[0,1]
	s_delay_alu instid0(VALU_DEP_1)
	v_pk_fma_f32 v[116:117], v[118:119], v[74:75], v[126:127] op_sel_hi:[1,0,1] neg_lo:[0,0,1] neg_hi:[0,0,1]
	v_pk_fma_f32 v[118:119], v[118:119], v[74:75], v[126:127] op_sel_hi:[1,0,1]
	ds_load_2addr_b64 v[126:129], v120 offset0:34 offset1:35
	v_dual_mov_b32 v74, v116 :: v_dual_mov_b32 v75, v119
	s_wait_dscnt 0x0
	v_pk_mul_f32 v[130:131], v[126:127], v[118:119] op_sel:[0,1]
	s_delay_alu instid0(VALU_DEP_1) | instskip(SKIP_1) | instid1(VALU_DEP_1)
	v_pk_fma_f32 v[132:133], v[126:127], v[116:117], v[130:131] op_sel:[0,0,1] op_sel_hi:[1,1,0] neg_lo:[0,0,1] neg_hi:[0,0,1]
	v_pk_fma_f32 v[126:127], v[126:127], v[116:117], v[130:131] op_sel:[0,0,1] op_sel_hi:[1,0,0]
	v_mov_b32_e32 v133, v127
	v_pk_mul_f32 v[126:127], v[128:129], v[118:119] op_sel:[0,1]
	s_delay_alu instid0(VALU_DEP_1) | instskip(SKIP_1) | instid1(VALU_DEP_1)
	v_pk_fma_f32 v[130:131], v[128:129], v[116:117], v[126:127] op_sel:[0,0,1] op_sel_hi:[1,1,0] neg_lo:[0,0,1] neg_hi:[0,0,1]
	v_pk_fma_f32 v[126:127], v[128:129], v[116:117], v[126:127] op_sel:[0,0,1] op_sel_hi:[1,0,0]
	v_mov_b32_e32 v131, v127
	ds_load_2addr_b64 v[126:129], v120 offset0:36 offset1:37
	v_pk_add_f32 v[22:23], v[22:23], v[132:133] neg_lo:[0,1] neg_hi:[0,1]
	v_pk_add_f32 v[20:21], v[20:21], v[130:131] neg_lo:[0,1] neg_hi:[0,1]
	s_wait_dscnt 0x0
	v_pk_mul_f32 v[130:131], v[126:127], v[118:119] op_sel:[0,1]
	s_delay_alu instid0(VALU_DEP_1) | instskip(SKIP_2) | instid1(VALU_DEP_2)
	v_pk_fma_f32 v[132:133], v[126:127], v[116:117], v[130:131] op_sel:[0,0,1] op_sel_hi:[1,1,0] neg_lo:[0,0,1] neg_hi:[0,0,1]
	v_pk_fma_f32 v[126:127], v[126:127], v[116:117], v[130:131] op_sel:[0,0,1] op_sel_hi:[1,0,0]
	v_dual_mul_f32 v130, v129, v119 :: v_dual_mov_b32 v126, v129
	v_dual_mov_b32 v133, v127 :: v_dual_mov_b32 v127, v128
	s_delay_alu instid0(VALU_DEP_2) | instskip(SKIP_1) | instid1(VALU_DEP_3)
	v_pk_fma_f32 v[130:131], v[128:129], v[74:75], v[130:131] op_sel_hi:[1,1,0] neg_lo:[0,0,1] neg_hi:[0,0,1]
	v_mul_f32_e32 v128, v129, v116
	v_pk_add_f32 v[72:73], v[72:73], v[132:133] neg_lo:[0,1] neg_hi:[0,1]
	s_delay_alu instid0(VALU_DEP_2) | instskip(NEXT) | instid1(VALU_DEP_1)
	v_pk_fma_f32 v[126:127], v[126:127], v[74:75], v[128:129] op_sel_hi:[1,1,0]
	v_mov_b32_e32 v131, v127
	ds_load_2addr_b64 v[126:129], v120 offset0:38 offset1:39
	v_pk_add_f32 v[70:71], v[70:71], v[130:131] neg_lo:[0,1] neg_hi:[0,1]
	s_wait_dscnt 0x0
	v_pk_mul_f32 v[130:131], v[126:127], v[118:119] op_sel:[0,1]
	s_delay_alu instid0(VALU_DEP_1) | instskip(SKIP_1) | instid1(VALU_DEP_1)
	v_pk_fma_f32 v[132:133], v[126:127], v[116:117], v[130:131] op_sel:[0,0,1] op_sel_hi:[1,1,0] neg_lo:[0,0,1] neg_hi:[0,0,1]
	v_pk_fma_f32 v[126:127], v[126:127], v[116:117], v[130:131] op_sel:[0,0,1] op_sel_hi:[1,0,0]
	v_mov_b32_e32 v133, v127
	v_pk_mul_f32 v[126:127], v[128:129], v[118:119] op_sel:[0,1]
	s_delay_alu instid0(VALU_DEP_1) | instskip(SKIP_1) | instid1(VALU_DEP_1)
	v_pk_fma_f32 v[130:131], v[128:129], v[116:117], v[126:127] op_sel:[0,0,1] op_sel_hi:[1,1,0] neg_lo:[0,0,1] neg_hi:[0,0,1]
	v_pk_fma_f32 v[126:127], v[128:129], v[116:117], v[126:127] op_sel:[0,0,1] op_sel_hi:[1,0,0]
	v_mov_b32_e32 v131, v127
	ds_load_2addr_b64 v[126:129], v120 offset0:40 offset1:41
	v_pk_add_f32 v[18:19], v[18:19], v[132:133] neg_lo:[0,1] neg_hi:[0,1]
	v_pk_add_f32 v[16:17], v[16:17], v[130:131] neg_lo:[0,1] neg_hi:[0,1]
	s_wait_dscnt 0x0
	v_pk_mul_f32 v[130:131], v[126:127], v[118:119] op_sel:[0,1]
	s_delay_alu instid0(VALU_DEP_1) | instskip(SKIP_1) | instid1(VALU_DEP_1)
	v_pk_fma_f32 v[132:133], v[126:127], v[116:117], v[130:131] op_sel:[0,0,1] op_sel_hi:[1,1,0] neg_lo:[0,0,1] neg_hi:[0,0,1]
	v_pk_fma_f32 v[126:127], v[126:127], v[116:117], v[130:131] op_sel:[0,0,1] op_sel_hi:[1,0,0]
	v_mov_b32_e32 v133, v127
	v_pk_mul_f32 v[126:127], v[128:129], v[118:119] op_sel:[0,1]
	s_delay_alu instid0(VALU_DEP_1) | instskip(SKIP_1) | instid1(VALU_DEP_1)
	v_pk_fma_f32 v[130:131], v[128:129], v[116:117], v[126:127] op_sel:[0,0,1] op_sel_hi:[1,1,0] neg_lo:[0,0,1] neg_hi:[0,0,1]
	v_pk_fma_f32 v[126:127], v[128:129], v[116:117], v[126:127] op_sel:[0,0,1] op_sel_hi:[1,0,0]
	v_mov_b32_e32 v131, v127
	ds_load_2addr_b64 v[126:129], v120 offset0:42 offset1:43
	v_pk_add_f32 v[68:69], v[68:69], v[132:133] neg_lo:[0,1] neg_hi:[0,1]
	v_pk_add_f32 v[66:67], v[66:67], v[130:131] neg_lo:[0,1] neg_hi:[0,1]
	s_wait_dscnt 0x0
	v_dual_mul_f32 v130, v127, v119 :: v_dual_mul_f32 v132, v127, v116
	s_delay_alu instid0(VALU_DEP_1) | instskip(NEXT) | instid1(VALU_DEP_2)
	v_pk_fma_f32 v[130:131], v[126:127], v[74:75], v[130:131] op_sel_hi:[1,1,0] neg_lo:[0,0,1] neg_hi:[0,0,1]
	v_pk_fma_f32 v[126:127], v[126:127], v[74:75], v[132:133] op_sel:[1,0,0] op_sel_hi:[0,1,0]
	s_delay_alu instid0(VALU_DEP_1) | instskip(SKIP_1) | instid1(VALU_DEP_2)
	v_mov_b32_e32 v131, v127
	v_pk_mul_f32 v[126:127], v[128:129], v[118:119] op_sel:[0,1]
	v_pk_add_f32 v[14:15], v[14:15], v[130:131] neg_lo:[0,1] neg_hi:[0,1]
	s_delay_alu instid0(VALU_DEP_2) | instskip(SKIP_1) | instid1(VALU_DEP_1)
	v_pk_fma_f32 v[130:131], v[128:129], v[116:117], v[126:127] op_sel:[0,0,1] op_sel_hi:[1,1,0] neg_lo:[0,0,1] neg_hi:[0,0,1]
	v_pk_fma_f32 v[126:127], v[128:129], v[116:117], v[126:127] op_sel:[0,0,1] op_sel_hi:[1,0,0]
	v_mov_b32_e32 v131, v127
	ds_load_2addr_b64 v[126:129], v120 offset0:44 offset1:45
	v_pk_add_f32 v[12:13], v[12:13], v[130:131] neg_lo:[0,1] neg_hi:[0,1]
	s_wait_dscnt 0x0
	v_pk_mul_f32 v[130:131], v[126:127], v[118:119] op_sel:[0,1]
	s_delay_alu instid0(VALU_DEP_1) | instskip(SKIP_1) | instid1(VALU_DEP_1)
	v_pk_fma_f32 v[132:133], v[126:127], v[116:117], v[130:131] op_sel:[0,0,1] op_sel_hi:[1,1,0] neg_lo:[0,0,1] neg_hi:[0,0,1]
	v_pk_fma_f32 v[126:127], v[126:127], v[116:117], v[130:131] op_sel:[0,0,1] op_sel_hi:[1,0,0]
	v_mov_b32_e32 v133, v127
	v_pk_mul_f32 v[126:127], v[128:129], v[118:119] op_sel:[0,1]
	s_delay_alu instid0(VALU_DEP_2) | instskip(NEXT) | instid1(VALU_DEP_2)
	v_pk_add_f32 v[64:65], v[64:65], v[132:133] neg_lo:[0,1] neg_hi:[0,1]
	v_pk_fma_f32 v[130:131], v[128:129], v[116:117], v[126:127] op_sel:[0,0,1] op_sel_hi:[1,1,0] neg_lo:[0,0,1] neg_hi:[0,0,1]
	v_pk_fma_f32 v[126:127], v[128:129], v[116:117], v[126:127] op_sel:[0,0,1] op_sel_hi:[1,0,0]
	s_delay_alu instid0(VALU_DEP_1) | instskip(SKIP_4) | instid1(VALU_DEP_1)
	v_mov_b32_e32 v131, v127
	ds_load_2addr_b64 v[126:129], v120 offset0:46 offset1:47
	v_pk_add_f32 v[62:63], v[62:63], v[130:131] neg_lo:[0,1] neg_hi:[0,1]
	s_wait_dscnt 0x0
	v_pk_mul_f32 v[130:131], v[126:127], v[118:119] op_sel:[0,1]
	v_pk_fma_f32 v[132:133], v[126:127], v[116:117], v[130:131] op_sel:[0,0,1] op_sel_hi:[1,1,0] neg_lo:[0,0,1] neg_hi:[0,0,1]
	v_pk_fma_f32 v[126:127], v[126:127], v[116:117], v[130:131] op_sel:[0,0,1] op_sel_hi:[1,0,0]
	v_dual_mul_f32 v130, v129, v119 :: v_dual_mov_b32 v126, v129
	s_delay_alu instid0(VALU_DEP_2) | instskip(NEXT) | instid1(VALU_DEP_2)
	v_dual_mov_b32 v133, v127 :: v_dual_mov_b32 v127, v128
	v_pk_fma_f32 v[130:131], v[128:129], v[74:75], v[130:131] op_sel_hi:[1,1,0] neg_lo:[0,0,1] neg_hi:[0,0,1]
	v_mul_f32_e32 v128, v129, v116
	s_delay_alu instid0(VALU_DEP_3) | instskip(NEXT) | instid1(VALU_DEP_2)
	v_pk_add_f32 v[10:11], v[10:11], v[132:133] neg_lo:[0,1] neg_hi:[0,1]
	v_pk_fma_f32 v[126:127], v[126:127], v[74:75], v[128:129] op_sel_hi:[1,1,0]
	s_delay_alu instid0(VALU_DEP_1) | instskip(SKIP_4) | instid1(VALU_DEP_1)
	v_mov_b32_e32 v131, v127
	ds_load_2addr_b64 v[126:129], v120 offset0:48 offset1:49
	v_pk_add_f32 v[6:7], v[6:7], v[130:131] neg_lo:[0,1] neg_hi:[0,1]
	s_wait_dscnt 0x0
	v_pk_mul_f32 v[130:131], v[126:127], v[118:119] op_sel:[0,1]
	v_pk_fma_f32 v[132:133], v[126:127], v[116:117], v[130:131] op_sel:[0,0,1] op_sel_hi:[1,1,0] neg_lo:[0,0,1] neg_hi:[0,0,1]
	v_pk_fma_f32 v[126:127], v[126:127], v[116:117], v[130:131] op_sel:[0,0,1] op_sel_hi:[1,0,0]
	s_delay_alu instid0(VALU_DEP_1) | instskip(SKIP_1) | instid1(VALU_DEP_1)
	v_mov_b32_e32 v133, v127
	v_pk_mul_f32 v[126:127], v[128:129], v[118:119] op_sel:[0,1]
	v_pk_fma_f32 v[130:131], v[128:129], v[116:117], v[126:127] op_sel:[0,0,1] op_sel_hi:[1,1,0] neg_lo:[0,0,1] neg_hi:[0,0,1]
	v_pk_fma_f32 v[126:127], v[128:129], v[116:117], v[126:127] op_sel:[0,0,1] op_sel_hi:[1,0,0]
	s_delay_alu instid0(VALU_DEP_1)
	v_mov_b32_e32 v131, v127
	ds_load_2addr_b64 v[126:129], v120 offset0:50 offset1:51
	v_pk_add_f32 v[52:53], v[52:53], v[132:133] neg_lo:[0,1] neg_hi:[0,1]
	v_pk_add_f32 v[50:51], v[50:51], v[130:131] neg_lo:[0,1] neg_hi:[0,1]
	s_wait_dscnt 0x0
	v_pk_mul_f32 v[130:131], v[126:127], v[118:119] op_sel:[0,1]
	s_delay_alu instid0(VALU_DEP_1) | instskip(SKIP_1) | instid1(VALU_DEP_1)
	v_pk_fma_f32 v[132:133], v[126:127], v[116:117], v[130:131] op_sel:[0,0,1] op_sel_hi:[1,1,0] neg_lo:[0,0,1] neg_hi:[0,0,1]
	v_pk_fma_f32 v[126:127], v[126:127], v[116:117], v[130:131] op_sel:[0,0,1] op_sel_hi:[1,0,0]
	v_mov_b32_e32 v133, v127
	v_pk_mul_f32 v[126:127], v[128:129], v[118:119] op_sel:[0,1]
	s_delay_alu instid0(VALU_DEP_1) | instskip(SKIP_1) | instid1(VALU_DEP_1)
	v_pk_fma_f32 v[130:131], v[128:129], v[116:117], v[126:127] op_sel:[0,0,1] op_sel_hi:[1,1,0] neg_lo:[0,0,1] neg_hi:[0,0,1]
	v_pk_fma_f32 v[126:127], v[128:129], v[116:117], v[126:127] op_sel:[0,0,1] op_sel_hi:[1,0,0]
	v_mov_b32_e32 v131, v127
	ds_load_2addr_b64 v[126:129], v120 offset0:52 offset1:53
	v_pk_add_f32 v[8:9], v[8:9], v[132:133] neg_lo:[0,1] neg_hi:[0,1]
	v_pk_add_f32 v[30:31], v[30:31], v[130:131] neg_lo:[0,1] neg_hi:[0,1]
	s_wait_dscnt 0x0
	v_dual_mul_f32 v130, v127, v119 :: v_dual_mul_f32 v132, v127, v116
	s_delay_alu instid0(VALU_DEP_1) | instskip(NEXT) | instid1(VALU_DEP_2)
	v_pk_fma_f32 v[130:131], v[126:127], v[74:75], v[130:131] op_sel_hi:[1,1,0] neg_lo:[0,0,1] neg_hi:[0,0,1]
	v_pk_fma_f32 v[126:127], v[126:127], v[74:75], v[132:133] op_sel:[1,0,0] op_sel_hi:[0,1,0]
	s_delay_alu instid0(VALU_DEP_1) | instskip(SKIP_1) | instid1(VALU_DEP_2)
	v_mov_b32_e32 v131, v127
	v_pk_mul_f32 v[126:127], v[128:129], v[118:119] op_sel:[0,1]
	v_pk_add_f32 v[34:35], v[34:35], v[130:131] neg_lo:[0,1] neg_hi:[0,1]
	s_delay_alu instid0(VALU_DEP_2) | instskip(SKIP_1) | instid1(VALU_DEP_1)
	v_pk_fma_f32 v[130:131], v[128:129], v[116:117], v[126:127] op_sel:[0,0,1] op_sel_hi:[1,1,0] neg_lo:[0,0,1] neg_hi:[0,0,1]
	v_pk_fma_f32 v[126:127], v[128:129], v[116:117], v[126:127] op_sel:[0,0,1] op_sel_hi:[1,0,0]
	v_mov_b32_e32 v131, v127
	ds_load_b64 v[126:127], v120 offset:432
	v_pk_add_f32 v[24:25], v[24:25], v[130:131] neg_lo:[0,1] neg_hi:[0,1]
	s_wait_dscnt 0x0
	v_pk_mul_f32 v[118:119], v[126:127], v[118:119] op_sel:[0,1]
	s_delay_alu instid0(VALU_DEP_1) | instskip(SKIP_1) | instid1(VALU_DEP_1)
	v_pk_fma_f32 v[128:129], v[126:127], v[116:117], v[118:119] op_sel:[0,0,1] op_sel_hi:[1,1,0] neg_lo:[0,0,1] neg_hi:[0,0,1]
	v_pk_fma_f32 v[116:117], v[126:127], v[116:117], v[118:119] op_sel:[0,0,1] op_sel_hi:[1,0,0]
	v_mov_b32_e32 v129, v117
	s_delay_alu instid0(VALU_DEP_1)
	v_pk_add_f32 v[114:115], v[114:115], v[128:129] neg_lo:[0,1] neg_hi:[0,1]
.LBB108_713:
	s_or_b32 exec_lo, exec_lo, s0
	v_lshl_add_u32 v116, v124, 3, v120
	s_barrier_signal -1
	s_barrier_wait -1
	ds_store_b64 v116, v[22:23]
	s_wait_dscnt 0x0
	s_barrier_signal -1
	s_barrier_wait -1
	ds_load_b64 v[118:119], v120 offset:272
	v_mov_b32_e32 v116, 34
	s_cmp_lt_i32 s18, 36
	s_cbranch_scc1 .LBB108_716
; %bb.714:
	v_add3_u32 v117, v121, 0, 0x118
	v_mov_b32_e32 v116, 34
	s_mov_b32 s0, 35
.LBB108_715:                            ; =>This Inner Loop Header: Depth=1
	ds_load_b64 v[126:127], v117
	s_wait_dscnt 0x1
	v_cmp_gt_f32_e32 vcc_lo, 0, v118
	v_cndmask_b32_e64 v128, v118, -v118, vcc_lo
	v_cmp_gt_f32_e32 vcc_lo, 0, v119
	v_cndmask_b32_e64 v130, v119, -v119, vcc_lo
	s_wait_dscnt 0x0
	v_cmp_gt_f32_e32 vcc_lo, 0, v126
	v_cndmask_b32_e64 v129, v126, -v126, vcc_lo
	v_cmp_gt_f32_e32 vcc_lo, 0, v127
	v_cndmask_b32_e64 v131, v127, -v127, vcc_lo
	s_delay_alu instid0(VALU_DEP_1) | instskip(NEXT) | instid1(VALU_DEP_1)
	v_pk_add_f32 v[128:129], v[128:129], v[130:131]
	v_cmp_lt_f32_e32 vcc_lo, v128, v129
	v_dual_add_nc_u32 v117, 8, v117 :: v_dual_cndmask_b32 v119, v119, v127, vcc_lo
	v_cndmask_b32_e32 v118, v118, v126, vcc_lo
	v_cndmask_b32_e64 v116, v116, s0, vcc_lo
	s_add_co_i32 s0, s0, 1
	s_delay_alu instid0(SALU_CYCLE_1)
	s_cmp_lg_u32 s18, s0
	s_cbranch_scc1 .LBB108_715
.LBB108_716:
	s_wait_dscnt 0x0
	v_cmp_eq_f32_e32 vcc_lo, 0, v118
	v_cmp_eq_f32_e64 s0, 0, v119
	s_and_b32 s0, vcc_lo, s0
	s_delay_alu instid0(SALU_CYCLE_1) | instskip(NEXT) | instid1(SALU_CYCLE_1)
	s_and_saveexec_b32 s1, s0
	s_xor_b32 s0, exec_lo, s1
; %bb.717:
	v_cmp_ne_u32_e32 vcc_lo, 0, v122
	v_cndmask_b32_e32 v122, 35, v122, vcc_lo
; %bb.718:
	s_and_not1_saveexec_b32 s0, s0
	s_cbranch_execz .LBB108_724
; %bb.719:
	v_cmp_ngt_f32_e64 s1, |v118|, |v119|
	s_and_saveexec_b32 s12, s1
	s_delay_alu instid0(SALU_CYCLE_1)
	s_xor_b32 s1, exec_lo, s12
	s_cbranch_execz .LBB108_721
; %bb.720:
	v_div_scale_f32 v117, null, v119, v119, v118
	v_div_scale_f32 v127, vcc_lo, v118, v119, v118
	s_delay_alu instid0(VALU_DEP_2) | instskip(SKIP_1) | instid1(TRANS32_DEP_1)
	v_rcp_f32_e32 v125, v117
	v_nop
	v_fma_f32 v126, -v117, v125, 1.0
	s_delay_alu instid0(VALU_DEP_1) | instskip(NEXT) | instid1(VALU_DEP_1)
	v_fmac_f32_e32 v125, v126, v125
	v_mul_f32_e32 v126, v127, v125
	s_delay_alu instid0(VALU_DEP_1) | instskip(NEXT) | instid1(VALU_DEP_1)
	v_fma_f32 v128, -v117, v126, v127
	v_fmac_f32_e32 v126, v128, v125
	s_delay_alu instid0(VALU_DEP_1) | instskip(NEXT) | instid1(VALU_DEP_1)
	v_fma_f32 v117, -v117, v126, v127
	v_div_fmas_f32 v117, v117, v125, v126
	s_delay_alu instid0(VALU_DEP_1) | instskip(NEXT) | instid1(VALU_DEP_1)
	v_div_fixup_f32 v117, v117, v119, v118
	v_fmac_f32_e32 v119, v118, v117
	s_delay_alu instid0(VALU_DEP_1) | instskip(SKIP_1) | instid1(VALU_DEP_2)
	v_div_scale_f32 v118, null, v119, v119, 1.0
	v_div_scale_f32 v127, vcc_lo, 1.0, v119, 1.0
	v_rcp_f32_e32 v125, v118
	v_nop
	s_delay_alu instid0(TRANS32_DEP_1) | instskip(NEXT) | instid1(VALU_DEP_1)
	v_fma_f32 v126, -v118, v125, 1.0
	v_fmac_f32_e32 v125, v126, v125
	s_delay_alu instid0(VALU_DEP_1) | instskip(NEXT) | instid1(VALU_DEP_1)
	v_mul_f32_e32 v126, v127, v125
	v_fma_f32 v128, -v118, v126, v127
	s_delay_alu instid0(VALU_DEP_1) | instskip(NEXT) | instid1(VALU_DEP_1)
	v_fmac_f32_e32 v126, v128, v125
	v_fma_f32 v118, -v118, v126, v127
	s_delay_alu instid0(VALU_DEP_1) | instskip(NEXT) | instid1(VALU_DEP_1)
	v_div_fmas_f32 v118, v118, v125, v126
	v_div_fixup_f32 v119, v118, v119, 1.0
	s_delay_alu instid0(VALU_DEP_1)
	v_mul_f32_e32 v118, v117, v119
	v_xor_b32_e32 v119, 0x80000000, v119
.LBB108_721:
	s_and_not1_saveexec_b32 s1, s1
	s_cbranch_execz .LBB108_723
; %bb.722:
	s_delay_alu instid0(VALU_DEP_1) | instskip(SKIP_1) | instid1(VALU_DEP_2)
	v_div_scale_f32 v117, null, v118, v118, v119
	v_div_scale_f32 v127, vcc_lo, v119, v118, v119
	v_rcp_f32_e32 v125, v117
	v_nop
	s_delay_alu instid0(TRANS32_DEP_1) | instskip(NEXT) | instid1(VALU_DEP_1)
	v_fma_f32 v126, -v117, v125, 1.0
	v_fmac_f32_e32 v125, v126, v125
	s_delay_alu instid0(VALU_DEP_1) | instskip(NEXT) | instid1(VALU_DEP_1)
	v_mul_f32_e32 v126, v127, v125
	v_fma_f32 v128, -v117, v126, v127
	s_delay_alu instid0(VALU_DEP_1) | instskip(NEXT) | instid1(VALU_DEP_1)
	v_fmac_f32_e32 v126, v128, v125
	v_fma_f32 v117, -v117, v126, v127
	s_delay_alu instid0(VALU_DEP_1) | instskip(NEXT) | instid1(VALU_DEP_1)
	v_div_fmas_f32 v117, v117, v125, v126
	v_div_fixup_f32 v117, v117, v118, v119
	s_delay_alu instid0(VALU_DEP_1) | instskip(NEXT) | instid1(VALU_DEP_1)
	v_fmac_f32_e32 v118, v119, v117
	v_div_scale_f32 v119, null, v118, v118, 1.0
	s_delay_alu instid0(VALU_DEP_1) | instskip(SKIP_1) | instid1(TRANS32_DEP_1)
	v_rcp_f32_e32 v125, v119
	v_nop
	v_fma_f32 v126, -v119, v125, 1.0
	s_delay_alu instid0(VALU_DEP_1) | instskip(SKIP_1) | instid1(VALU_DEP_1)
	v_fmac_f32_e32 v125, v126, v125
	v_div_scale_f32 v126, vcc_lo, 1.0, v118, 1.0
	v_mul_f32_e32 v127, v126, v125
	s_delay_alu instid0(VALU_DEP_1) | instskip(NEXT) | instid1(VALU_DEP_1)
	v_fma_f32 v128, -v119, v127, v126
	v_fmac_f32_e32 v127, v128, v125
	s_delay_alu instid0(VALU_DEP_1) | instskip(NEXT) | instid1(VALU_DEP_1)
	v_fma_f32 v119, -v119, v127, v126
	v_div_fmas_f32 v119, v119, v125, v127
	s_delay_alu instid0(VALU_DEP_1) | instskip(NEXT) | instid1(VALU_DEP_1)
	v_div_fixup_f32 v118, v119, v118, 1.0
	v_mul_f32_e64 v119, v117, -v118
.LBB108_723:
	s_or_b32 exec_lo, exec_lo, s1
.LBB108_724:
	s_delay_alu instid0(SALU_CYCLE_1) | instskip(NEXT) | instid1(SALU_CYCLE_1)
	s_or_b32 exec_lo, exec_lo, s0
	s_mov_b32 s0, exec_lo
	v_cmpx_ne_u32_e64 v124, v116
	s_xor_b32 s0, exec_lo, s0
	s_cbranch_execz .LBB108_730
; %bb.725:
	s_mov_b32 s1, exec_lo
	v_cmpx_eq_u32_e32 34, v124
	s_cbranch_execz .LBB108_729
; %bb.726:
	v_cmp_ne_u32_e32 vcc_lo, 34, v116
	s_xor_b32 s12, s16, -1
	s_delay_alu instid0(SALU_CYCLE_1) | instskip(NEXT) | instid1(SALU_CYCLE_1)
	s_and_b32 s13, s12, vcc_lo
	s_and_saveexec_b32 s12, s13
	s_cbranch_execz .LBB108_728
; %bb.727:
	v_ashrrev_i32_e32 v117, 31, v116
	s_delay_alu instid0(VALU_DEP_1)
	v_lshl_add_u64 v[124:125], v[116:117], 2, v[4:5]
	s_clause 0x1
	global_load_b32 v117, v[124:125], off
	global_load_b32 v123, v[4:5], off offset:136
	s_wait_loadcnt 0x1
	global_store_b32 v[4:5], v117, off offset:136
	s_wait_loadcnt 0x0
	global_store_b32 v[124:125], v123, off
.LBB108_728:
	s_wait_xcnt 0x0
	s_or_b32 exec_lo, exec_lo, s12
	v_dual_mov_b32 v124, v116 :: v_dual_mov_b32 v123, v116
.LBB108_729:
	s_or_b32 exec_lo, exec_lo, s1
.LBB108_730:
	s_and_not1_saveexec_b32 s0, s0
	s_cbranch_execz .LBB108_732
; %bb.731:
	v_mov_b32_e32 v124, 34
	ds_store_2addr_b64 v120, v[20:21], v[72:73] offset0:35 offset1:36
	ds_store_2addr_b64 v120, v[70:71], v[18:19] offset0:37 offset1:38
	;; [unrolled: 1-line block ×10, first 2 shown]
.LBB108_732:
	s_or_b32 exec_lo, exec_lo, s0
	s_delay_alu instid0(SALU_CYCLE_1)
	s_mov_b32 s0, exec_lo
	s_wait_storecnt_dscnt 0x0
	s_barrier_signal -1
	s_barrier_wait -1
	v_cmpx_lt_i32_e32 34, v124
	s_cbranch_execz .LBB108_734
; %bb.733:
	v_pk_mul_f32 v[126:127], v[118:119], v[22:23] op_sel:[1,1] op_sel_hi:[0,1]
	s_delay_alu instid0(VALU_DEP_1)
	v_pk_fma_f32 v[116:117], v[118:119], v[22:23], v[126:127] op_sel_hi:[1,0,1] neg_lo:[0,0,1] neg_hi:[0,0,1]
	v_pk_fma_f32 v[118:119], v[118:119], v[22:23], v[126:127] op_sel_hi:[1,0,1]
	ds_load_2addr_b64 v[126:129], v120 offset0:35 offset1:36
	v_dual_mov_b32 v22, v116 :: v_dual_mov_b32 v23, v119
	s_wait_dscnt 0x0
	v_pk_mul_f32 v[130:131], v[126:127], v[118:119] op_sel:[0,1]
	s_delay_alu instid0(VALU_DEP_1) | instskip(SKIP_1) | instid1(VALU_DEP_1)
	v_pk_fma_f32 v[132:133], v[126:127], v[116:117], v[130:131] op_sel:[0,0,1] op_sel_hi:[1,1,0] neg_lo:[0,0,1] neg_hi:[0,0,1]
	v_pk_fma_f32 v[126:127], v[126:127], v[116:117], v[130:131] op_sel:[0,0,1] op_sel_hi:[1,0,0]
	v_mov_b32_e32 v133, v127
	v_pk_mul_f32 v[126:127], v[128:129], v[118:119] op_sel:[0,1]
	s_delay_alu instid0(VALU_DEP_1) | instskip(SKIP_1) | instid1(VALU_DEP_1)
	v_pk_fma_f32 v[130:131], v[128:129], v[116:117], v[126:127] op_sel:[0,0,1] op_sel_hi:[1,1,0] neg_lo:[0,0,1] neg_hi:[0,0,1]
	v_pk_fma_f32 v[126:127], v[128:129], v[116:117], v[126:127] op_sel:[0,0,1] op_sel_hi:[1,0,0]
	v_mov_b32_e32 v131, v127
	ds_load_2addr_b64 v[126:129], v120 offset0:37 offset1:38
	v_pk_add_f32 v[20:21], v[20:21], v[132:133] neg_lo:[0,1] neg_hi:[0,1]
	v_pk_add_f32 v[72:73], v[72:73], v[130:131] neg_lo:[0,1] neg_hi:[0,1]
	s_wait_dscnt 0x0
	v_pk_mul_f32 v[130:131], v[126:127], v[118:119] op_sel:[0,1]
	s_delay_alu instid0(VALU_DEP_1) | instskip(SKIP_2) | instid1(VALU_DEP_2)
	v_pk_fma_f32 v[132:133], v[126:127], v[116:117], v[130:131] op_sel:[0,0,1] op_sel_hi:[1,1,0] neg_lo:[0,0,1] neg_hi:[0,0,1]
	v_pk_fma_f32 v[126:127], v[126:127], v[116:117], v[130:131] op_sel:[0,0,1] op_sel_hi:[1,0,0]
	v_dual_mul_f32 v130, v129, v119 :: v_dual_mov_b32 v126, v129
	v_dual_mov_b32 v133, v127 :: v_dual_mov_b32 v127, v128
	s_delay_alu instid0(VALU_DEP_2) | instskip(SKIP_1) | instid1(VALU_DEP_3)
	v_pk_fma_f32 v[130:131], v[128:129], v[22:23], v[130:131] op_sel_hi:[1,1,0] neg_lo:[0,0,1] neg_hi:[0,0,1]
	v_mul_f32_e32 v128, v129, v116
	v_pk_add_f32 v[70:71], v[70:71], v[132:133] neg_lo:[0,1] neg_hi:[0,1]
	s_delay_alu instid0(VALU_DEP_2) | instskip(NEXT) | instid1(VALU_DEP_1)
	v_pk_fma_f32 v[126:127], v[126:127], v[22:23], v[128:129] op_sel_hi:[1,1,0]
	v_mov_b32_e32 v131, v127
	ds_load_2addr_b64 v[126:129], v120 offset0:39 offset1:40
	v_pk_add_f32 v[18:19], v[18:19], v[130:131] neg_lo:[0,1] neg_hi:[0,1]
	s_wait_dscnt 0x0
	v_pk_mul_f32 v[130:131], v[126:127], v[118:119] op_sel:[0,1]
	s_delay_alu instid0(VALU_DEP_1) | instskip(SKIP_1) | instid1(VALU_DEP_1)
	v_pk_fma_f32 v[132:133], v[126:127], v[116:117], v[130:131] op_sel:[0,0,1] op_sel_hi:[1,1,0] neg_lo:[0,0,1] neg_hi:[0,0,1]
	v_pk_fma_f32 v[126:127], v[126:127], v[116:117], v[130:131] op_sel:[0,0,1] op_sel_hi:[1,0,0]
	v_mov_b32_e32 v133, v127
	v_pk_mul_f32 v[126:127], v[128:129], v[118:119] op_sel:[0,1]
	s_delay_alu instid0(VALU_DEP_1) | instskip(SKIP_1) | instid1(VALU_DEP_1)
	v_pk_fma_f32 v[130:131], v[128:129], v[116:117], v[126:127] op_sel:[0,0,1] op_sel_hi:[1,1,0] neg_lo:[0,0,1] neg_hi:[0,0,1]
	v_pk_fma_f32 v[126:127], v[128:129], v[116:117], v[126:127] op_sel:[0,0,1] op_sel_hi:[1,0,0]
	v_mov_b32_e32 v131, v127
	ds_load_2addr_b64 v[126:129], v120 offset0:41 offset1:42
	v_pk_add_f32 v[16:17], v[16:17], v[132:133] neg_lo:[0,1] neg_hi:[0,1]
	v_pk_add_f32 v[68:69], v[68:69], v[130:131] neg_lo:[0,1] neg_hi:[0,1]
	s_wait_dscnt 0x0
	v_pk_mul_f32 v[130:131], v[126:127], v[118:119] op_sel:[0,1]
	s_delay_alu instid0(VALU_DEP_1) | instskip(SKIP_1) | instid1(VALU_DEP_1)
	v_pk_fma_f32 v[132:133], v[126:127], v[116:117], v[130:131] op_sel:[0,0,1] op_sel_hi:[1,1,0] neg_lo:[0,0,1] neg_hi:[0,0,1]
	v_pk_fma_f32 v[126:127], v[126:127], v[116:117], v[130:131] op_sel:[0,0,1] op_sel_hi:[1,0,0]
	v_mov_b32_e32 v133, v127
	v_pk_mul_f32 v[126:127], v[128:129], v[118:119] op_sel:[0,1]
	s_delay_alu instid0(VALU_DEP_1) | instskip(SKIP_1) | instid1(VALU_DEP_1)
	v_pk_fma_f32 v[130:131], v[128:129], v[116:117], v[126:127] op_sel:[0,0,1] op_sel_hi:[1,1,0] neg_lo:[0,0,1] neg_hi:[0,0,1]
	v_pk_fma_f32 v[126:127], v[128:129], v[116:117], v[126:127] op_sel:[0,0,1] op_sel_hi:[1,0,0]
	v_mov_b32_e32 v131, v127
	ds_load_2addr_b64 v[126:129], v120 offset0:43 offset1:44
	v_pk_add_f32 v[66:67], v[66:67], v[132:133] neg_lo:[0,1] neg_hi:[0,1]
	v_pk_add_f32 v[14:15], v[14:15], v[130:131] neg_lo:[0,1] neg_hi:[0,1]
	s_wait_dscnt 0x0
	v_dual_mul_f32 v130, v127, v119 :: v_dual_mul_f32 v132, v127, v116
	s_delay_alu instid0(VALU_DEP_1) | instskip(NEXT) | instid1(VALU_DEP_2)
	v_pk_fma_f32 v[130:131], v[126:127], v[22:23], v[130:131] op_sel_hi:[1,1,0] neg_lo:[0,0,1] neg_hi:[0,0,1]
	v_pk_fma_f32 v[126:127], v[126:127], v[22:23], v[132:133] op_sel:[1,0,0] op_sel_hi:[0,1,0]
	s_delay_alu instid0(VALU_DEP_1) | instskip(SKIP_1) | instid1(VALU_DEP_2)
	v_mov_b32_e32 v131, v127
	v_pk_mul_f32 v[126:127], v[128:129], v[118:119] op_sel:[0,1]
	v_pk_add_f32 v[12:13], v[12:13], v[130:131] neg_lo:[0,1] neg_hi:[0,1]
	s_delay_alu instid0(VALU_DEP_2) | instskip(SKIP_1) | instid1(VALU_DEP_1)
	v_pk_fma_f32 v[130:131], v[128:129], v[116:117], v[126:127] op_sel:[0,0,1] op_sel_hi:[1,1,0] neg_lo:[0,0,1] neg_hi:[0,0,1]
	v_pk_fma_f32 v[126:127], v[128:129], v[116:117], v[126:127] op_sel:[0,0,1] op_sel_hi:[1,0,0]
	v_mov_b32_e32 v131, v127
	ds_load_2addr_b64 v[126:129], v120 offset0:45 offset1:46
	v_pk_add_f32 v[64:65], v[64:65], v[130:131] neg_lo:[0,1] neg_hi:[0,1]
	s_wait_dscnt 0x0
	v_pk_mul_f32 v[130:131], v[126:127], v[118:119] op_sel:[0,1]
	s_delay_alu instid0(VALU_DEP_1) | instskip(SKIP_1) | instid1(VALU_DEP_1)
	v_pk_fma_f32 v[132:133], v[126:127], v[116:117], v[130:131] op_sel:[0,0,1] op_sel_hi:[1,1,0] neg_lo:[0,0,1] neg_hi:[0,0,1]
	v_pk_fma_f32 v[126:127], v[126:127], v[116:117], v[130:131] op_sel:[0,0,1] op_sel_hi:[1,0,0]
	v_mov_b32_e32 v133, v127
	v_pk_mul_f32 v[126:127], v[128:129], v[118:119] op_sel:[0,1]
	s_delay_alu instid0(VALU_DEP_2) | instskip(NEXT) | instid1(VALU_DEP_2)
	v_pk_add_f32 v[62:63], v[62:63], v[132:133] neg_lo:[0,1] neg_hi:[0,1]
	v_pk_fma_f32 v[130:131], v[128:129], v[116:117], v[126:127] op_sel:[0,0,1] op_sel_hi:[1,1,0] neg_lo:[0,0,1] neg_hi:[0,0,1]
	v_pk_fma_f32 v[126:127], v[128:129], v[116:117], v[126:127] op_sel:[0,0,1] op_sel_hi:[1,0,0]
	s_delay_alu instid0(VALU_DEP_1) | instskip(SKIP_4) | instid1(VALU_DEP_1)
	v_mov_b32_e32 v131, v127
	ds_load_2addr_b64 v[126:129], v120 offset0:47 offset1:48
	v_pk_add_f32 v[10:11], v[10:11], v[130:131] neg_lo:[0,1] neg_hi:[0,1]
	s_wait_dscnt 0x0
	v_pk_mul_f32 v[130:131], v[126:127], v[118:119] op_sel:[0,1]
	v_pk_fma_f32 v[132:133], v[126:127], v[116:117], v[130:131] op_sel:[0,0,1] op_sel_hi:[1,1,0] neg_lo:[0,0,1] neg_hi:[0,0,1]
	v_pk_fma_f32 v[126:127], v[126:127], v[116:117], v[130:131] op_sel:[0,0,1] op_sel_hi:[1,0,0]
	v_dual_mul_f32 v130, v129, v119 :: v_dual_mov_b32 v126, v129
	s_delay_alu instid0(VALU_DEP_2) | instskip(NEXT) | instid1(VALU_DEP_2)
	v_dual_mov_b32 v133, v127 :: v_dual_mov_b32 v127, v128
	v_pk_fma_f32 v[130:131], v[128:129], v[22:23], v[130:131] op_sel_hi:[1,1,0] neg_lo:[0,0,1] neg_hi:[0,0,1]
	v_mul_f32_e32 v128, v129, v116
	s_delay_alu instid0(VALU_DEP_3) | instskip(NEXT) | instid1(VALU_DEP_2)
	v_pk_add_f32 v[6:7], v[6:7], v[132:133] neg_lo:[0,1] neg_hi:[0,1]
	v_pk_fma_f32 v[126:127], v[126:127], v[22:23], v[128:129] op_sel_hi:[1,1,0]
	s_delay_alu instid0(VALU_DEP_1) | instskip(SKIP_4) | instid1(VALU_DEP_1)
	v_mov_b32_e32 v131, v127
	ds_load_2addr_b64 v[126:129], v120 offset0:49 offset1:50
	v_pk_add_f32 v[52:53], v[52:53], v[130:131] neg_lo:[0,1] neg_hi:[0,1]
	s_wait_dscnt 0x0
	v_pk_mul_f32 v[130:131], v[126:127], v[118:119] op_sel:[0,1]
	v_pk_fma_f32 v[132:133], v[126:127], v[116:117], v[130:131] op_sel:[0,0,1] op_sel_hi:[1,1,0] neg_lo:[0,0,1] neg_hi:[0,0,1]
	v_pk_fma_f32 v[126:127], v[126:127], v[116:117], v[130:131] op_sel:[0,0,1] op_sel_hi:[1,0,0]
	s_delay_alu instid0(VALU_DEP_1) | instskip(SKIP_1) | instid1(VALU_DEP_1)
	v_mov_b32_e32 v133, v127
	v_pk_mul_f32 v[126:127], v[128:129], v[118:119] op_sel:[0,1]
	v_pk_fma_f32 v[130:131], v[128:129], v[116:117], v[126:127] op_sel:[0,0,1] op_sel_hi:[1,1,0] neg_lo:[0,0,1] neg_hi:[0,0,1]
	v_pk_fma_f32 v[126:127], v[128:129], v[116:117], v[126:127] op_sel:[0,0,1] op_sel_hi:[1,0,0]
	s_delay_alu instid0(VALU_DEP_1)
	v_mov_b32_e32 v131, v127
	ds_load_2addr_b64 v[126:129], v120 offset0:51 offset1:52
	v_pk_add_f32 v[50:51], v[50:51], v[132:133] neg_lo:[0,1] neg_hi:[0,1]
	v_pk_add_f32 v[8:9], v[8:9], v[130:131] neg_lo:[0,1] neg_hi:[0,1]
	s_wait_dscnt 0x0
	v_pk_mul_f32 v[130:131], v[126:127], v[118:119] op_sel:[0,1]
	s_delay_alu instid0(VALU_DEP_1) | instskip(SKIP_1) | instid1(VALU_DEP_1)
	v_pk_fma_f32 v[132:133], v[126:127], v[116:117], v[130:131] op_sel:[0,0,1] op_sel_hi:[1,1,0] neg_lo:[0,0,1] neg_hi:[0,0,1]
	v_pk_fma_f32 v[126:127], v[126:127], v[116:117], v[130:131] op_sel:[0,0,1] op_sel_hi:[1,0,0]
	v_mov_b32_e32 v133, v127
	v_pk_mul_f32 v[126:127], v[128:129], v[118:119] op_sel:[0,1]
	s_delay_alu instid0(VALU_DEP_1) | instskip(SKIP_1) | instid1(VALU_DEP_1)
	v_pk_fma_f32 v[130:131], v[128:129], v[116:117], v[126:127] op_sel:[0,0,1] op_sel_hi:[1,1,0] neg_lo:[0,0,1] neg_hi:[0,0,1]
	v_pk_fma_f32 v[126:127], v[128:129], v[116:117], v[126:127] op_sel:[0,0,1] op_sel_hi:[1,0,0]
	v_mov_b32_e32 v131, v127
	ds_load_2addr_b64 v[126:129], v120 offset0:53 offset1:54
	v_pk_add_f32 v[30:31], v[30:31], v[132:133] neg_lo:[0,1] neg_hi:[0,1]
	v_pk_add_f32 v[34:35], v[34:35], v[130:131] neg_lo:[0,1] neg_hi:[0,1]
	s_wait_dscnt 0x0
	v_dual_mul_f32 v130, v127, v119 :: v_dual_mul_f32 v132, v127, v116
	v_pk_mul_f32 v[118:119], v[128:129], v[118:119] op_sel:[0,1]
	s_delay_alu instid0(VALU_DEP_2) | instskip(NEXT) | instid1(VALU_DEP_3)
	v_pk_fma_f32 v[130:131], v[126:127], v[22:23], v[130:131] op_sel_hi:[1,1,0] neg_lo:[0,0,1] neg_hi:[0,0,1]
	v_pk_fma_f32 v[126:127], v[126:127], v[22:23], v[132:133] op_sel:[1,0,0] op_sel_hi:[0,1,0]
	s_delay_alu instid0(VALU_DEP_1) | instskip(NEXT) | instid1(VALU_DEP_4)
	v_mov_b32_e32 v131, v127
	v_pk_fma_f32 v[126:127], v[128:129], v[116:117], v[118:119] op_sel:[0,0,1] op_sel_hi:[1,1,0] neg_lo:[0,0,1] neg_hi:[0,0,1]
	v_pk_fma_f32 v[116:117], v[128:129], v[116:117], v[118:119] op_sel:[0,0,1] op_sel_hi:[1,0,0]
	s_delay_alu instid0(VALU_DEP_1) | instskip(NEXT) | instid1(VALU_DEP_4)
	v_mov_b32_e32 v127, v117
	v_pk_add_f32 v[24:25], v[24:25], v[130:131] neg_lo:[0,1] neg_hi:[0,1]
	s_delay_alu instid0(VALU_DEP_2)
	v_pk_add_f32 v[114:115], v[114:115], v[126:127] neg_lo:[0,1] neg_hi:[0,1]
.LBB108_734:
	s_or_b32 exec_lo, exec_lo, s0
	v_lshl_add_u32 v116, v124, 3, v120
	s_barrier_signal -1
	s_barrier_wait -1
	ds_store_b64 v116, v[20:21]
	s_wait_dscnt 0x0
	s_barrier_signal -1
	s_barrier_wait -1
	ds_load_b64 v[116:117], v120 offset:280
	v_mov_b32_e32 v118, 35
	s_cmp_lt_i32 s18, 37
	s_cbranch_scc1 .LBB108_737
; %bb.735:
	v_add3_u32 v119, v121, 0, 0x120
	v_mov_b32_e32 v118, 35
	s_mov_b32 s0, 36
.LBB108_736:                            ; =>This Inner Loop Header: Depth=1
	ds_load_b64 v[126:127], v119
	s_wait_dscnt 0x1
	v_cmp_gt_f32_e32 vcc_lo, 0, v116
	v_cndmask_b32_e64 v128, v116, -v116, vcc_lo
	v_cmp_gt_f32_e32 vcc_lo, 0, v117
	v_cndmask_b32_e64 v130, v117, -v117, vcc_lo
	s_wait_dscnt 0x0
	v_cmp_gt_f32_e32 vcc_lo, 0, v126
	v_cndmask_b32_e64 v129, v126, -v126, vcc_lo
	v_cmp_gt_f32_e32 vcc_lo, 0, v127
	v_cndmask_b32_e64 v131, v127, -v127, vcc_lo
	s_delay_alu instid0(VALU_DEP_1) | instskip(NEXT) | instid1(VALU_DEP_1)
	v_pk_add_f32 v[128:129], v[128:129], v[130:131]
	v_cmp_lt_f32_e32 vcc_lo, v128, v129
	v_dual_cndmask_b32 v116, v116, v126 :: v_dual_add_nc_u32 v119, 8, v119
	v_cndmask_b32_e32 v117, v117, v127, vcc_lo
	v_cndmask_b32_e64 v118, v118, s0, vcc_lo
	s_add_co_i32 s0, s0, 1
	s_delay_alu instid0(SALU_CYCLE_1)
	s_cmp_lg_u32 s18, s0
	s_cbranch_scc1 .LBB108_736
.LBB108_737:
	s_wait_dscnt 0x0
	v_cmp_eq_f32_e32 vcc_lo, 0, v116
	v_cmp_eq_f32_e64 s0, 0, v117
	s_and_b32 s0, vcc_lo, s0
	s_delay_alu instid0(SALU_CYCLE_1) | instskip(NEXT) | instid1(SALU_CYCLE_1)
	s_and_saveexec_b32 s1, s0
	s_xor_b32 s0, exec_lo, s1
; %bb.738:
	v_cmp_ne_u32_e32 vcc_lo, 0, v122
	v_cndmask_b32_e32 v122, 36, v122, vcc_lo
; %bb.739:
	s_and_not1_saveexec_b32 s0, s0
	s_cbranch_execz .LBB108_745
; %bb.740:
	v_cmp_ngt_f32_e64 s1, |v116|, |v117|
	s_and_saveexec_b32 s12, s1
	s_delay_alu instid0(SALU_CYCLE_1)
	s_xor_b32 s1, exec_lo, s12
	s_cbranch_execz .LBB108_742
; %bb.741:
	v_div_scale_f32 v119, null, v117, v117, v116
	v_div_scale_f32 v127, vcc_lo, v116, v117, v116
	s_delay_alu instid0(VALU_DEP_2) | instskip(SKIP_1) | instid1(TRANS32_DEP_1)
	v_rcp_f32_e32 v125, v119
	v_nop
	v_fma_f32 v126, -v119, v125, 1.0
	s_delay_alu instid0(VALU_DEP_1) | instskip(NEXT) | instid1(VALU_DEP_1)
	v_fmac_f32_e32 v125, v126, v125
	v_mul_f32_e32 v126, v127, v125
	s_delay_alu instid0(VALU_DEP_1) | instskip(NEXT) | instid1(VALU_DEP_1)
	v_fma_f32 v128, -v119, v126, v127
	v_fmac_f32_e32 v126, v128, v125
	s_delay_alu instid0(VALU_DEP_1) | instskip(NEXT) | instid1(VALU_DEP_1)
	v_fma_f32 v119, -v119, v126, v127
	v_div_fmas_f32 v119, v119, v125, v126
	s_delay_alu instid0(VALU_DEP_1) | instskip(NEXT) | instid1(VALU_DEP_1)
	v_div_fixup_f32 v119, v119, v117, v116
	v_fmac_f32_e32 v117, v116, v119
	s_delay_alu instid0(VALU_DEP_1) | instskip(SKIP_1) | instid1(VALU_DEP_2)
	v_div_scale_f32 v116, null, v117, v117, 1.0
	v_div_scale_f32 v127, vcc_lo, 1.0, v117, 1.0
	v_rcp_f32_e32 v125, v116
	v_nop
	s_delay_alu instid0(TRANS32_DEP_1) | instskip(NEXT) | instid1(VALU_DEP_1)
	v_fma_f32 v126, -v116, v125, 1.0
	v_fmac_f32_e32 v125, v126, v125
	s_delay_alu instid0(VALU_DEP_1) | instskip(NEXT) | instid1(VALU_DEP_1)
	v_mul_f32_e32 v126, v127, v125
	v_fma_f32 v128, -v116, v126, v127
	s_delay_alu instid0(VALU_DEP_1) | instskip(NEXT) | instid1(VALU_DEP_1)
	v_fmac_f32_e32 v126, v128, v125
	v_fma_f32 v116, -v116, v126, v127
	s_delay_alu instid0(VALU_DEP_1) | instskip(NEXT) | instid1(VALU_DEP_1)
	v_div_fmas_f32 v116, v116, v125, v126
	v_div_fixup_f32 v117, v116, v117, 1.0
	s_delay_alu instid0(VALU_DEP_1)
	v_mul_f32_e32 v116, v119, v117
	v_xor_b32_e32 v117, 0x80000000, v117
.LBB108_742:
	s_and_not1_saveexec_b32 s1, s1
	s_cbranch_execz .LBB108_744
; %bb.743:
	s_delay_alu instid0(VALU_DEP_1) | instskip(SKIP_1) | instid1(VALU_DEP_2)
	v_div_scale_f32 v119, null, v116, v116, v117
	v_div_scale_f32 v127, vcc_lo, v117, v116, v117
	v_rcp_f32_e32 v125, v119
	v_nop
	s_delay_alu instid0(TRANS32_DEP_1) | instskip(NEXT) | instid1(VALU_DEP_1)
	v_fma_f32 v126, -v119, v125, 1.0
	v_fmac_f32_e32 v125, v126, v125
	s_delay_alu instid0(VALU_DEP_1) | instskip(NEXT) | instid1(VALU_DEP_1)
	v_mul_f32_e32 v126, v127, v125
	v_fma_f32 v128, -v119, v126, v127
	s_delay_alu instid0(VALU_DEP_1) | instskip(NEXT) | instid1(VALU_DEP_1)
	v_fmac_f32_e32 v126, v128, v125
	v_fma_f32 v119, -v119, v126, v127
	s_delay_alu instid0(VALU_DEP_1) | instskip(NEXT) | instid1(VALU_DEP_1)
	v_div_fmas_f32 v119, v119, v125, v126
	v_div_fixup_f32 v119, v119, v116, v117
	s_delay_alu instid0(VALU_DEP_1) | instskip(NEXT) | instid1(VALU_DEP_1)
	v_fmac_f32_e32 v116, v117, v119
	v_div_scale_f32 v117, null, v116, v116, 1.0
	s_delay_alu instid0(VALU_DEP_1) | instskip(SKIP_1) | instid1(TRANS32_DEP_1)
	v_rcp_f32_e32 v125, v117
	v_nop
	v_fma_f32 v126, -v117, v125, 1.0
	s_delay_alu instid0(VALU_DEP_1) | instskip(SKIP_1) | instid1(VALU_DEP_1)
	v_fmac_f32_e32 v125, v126, v125
	v_div_scale_f32 v126, vcc_lo, 1.0, v116, 1.0
	v_mul_f32_e32 v127, v126, v125
	s_delay_alu instid0(VALU_DEP_1) | instskip(NEXT) | instid1(VALU_DEP_1)
	v_fma_f32 v128, -v117, v127, v126
	v_fmac_f32_e32 v127, v128, v125
	s_delay_alu instid0(VALU_DEP_1) | instskip(NEXT) | instid1(VALU_DEP_1)
	v_fma_f32 v117, -v117, v127, v126
	v_div_fmas_f32 v117, v117, v125, v127
	s_delay_alu instid0(VALU_DEP_1) | instskip(NEXT) | instid1(VALU_DEP_1)
	v_div_fixup_f32 v116, v117, v116, 1.0
	v_mul_f32_e64 v117, v119, -v116
.LBB108_744:
	s_or_b32 exec_lo, exec_lo, s1
.LBB108_745:
	s_delay_alu instid0(SALU_CYCLE_1) | instskip(NEXT) | instid1(SALU_CYCLE_1)
	s_or_b32 exec_lo, exec_lo, s0
	s_mov_b32 s0, exec_lo
	v_cmpx_ne_u32_e64 v124, v118
	s_xor_b32 s0, exec_lo, s0
	s_cbranch_execz .LBB108_751
; %bb.746:
	s_mov_b32 s1, exec_lo
	v_cmpx_eq_u32_e32 35, v124
	s_cbranch_execz .LBB108_750
; %bb.747:
	v_cmp_ne_u32_e32 vcc_lo, 35, v118
	s_xor_b32 s12, s16, -1
	s_delay_alu instid0(SALU_CYCLE_1) | instskip(NEXT) | instid1(SALU_CYCLE_1)
	s_and_b32 s13, s12, vcc_lo
	s_and_saveexec_b32 s12, s13
	s_cbranch_execz .LBB108_749
; %bb.748:
	v_ashrrev_i32_e32 v119, 31, v118
	s_delay_alu instid0(VALU_DEP_1)
	v_lshl_add_u64 v[124:125], v[118:119], 2, v[4:5]
	s_clause 0x1
	global_load_b32 v119, v[124:125], off
	global_load_b32 v123, v[4:5], off offset:140
	s_wait_loadcnt 0x1
	global_store_b32 v[4:5], v119, off offset:140
	s_wait_loadcnt 0x0
	global_store_b32 v[124:125], v123, off
.LBB108_749:
	s_wait_xcnt 0x0
	s_or_b32 exec_lo, exec_lo, s12
	v_dual_mov_b32 v124, v118 :: v_dual_mov_b32 v123, v118
.LBB108_750:
	s_or_b32 exec_lo, exec_lo, s1
.LBB108_751:
	s_and_not1_saveexec_b32 s0, s0
	s_cbranch_execz .LBB108_753
; %bb.752:
	v_dual_mov_b32 v118, v72 :: v_dual_mov_b32 v119, v73
	v_dual_mov_b32 v124, v70 :: v_dual_mov_b32 v125, v71
	;; [unrolled: 1-line block ×8, first 2 shown]
	ds_store_2addr_b64 v120, v[118:119], v[124:125] offset0:36 offset1:37
	ds_store_2addr_b64 v120, v[126:127], v[128:129] offset0:38 offset1:39
	;; [unrolled: 1-line block ×4, first 2 shown]
	v_dual_mov_b32 v118, v64 :: v_dual_mov_b32 v119, v65
	v_dual_mov_b32 v124, v62 :: v_dual_mov_b32 v125, v63
	v_dual_mov_b32 v126, v10 :: v_dual_mov_b32 v127, v11
	v_dual_mov_b32 v128, v6 :: v_dual_mov_b32 v129, v7
	v_dual_mov_b32 v130, v52 :: v_dual_mov_b32 v131, v53
	v_dual_mov_b32 v132, v50 :: v_dual_mov_b32 v133, v51
	ds_store_2addr_b64 v120, v[118:119], v[124:125] offset0:44 offset1:45
	ds_store_2addr_b64 v120, v[126:127], v[128:129] offset0:46 offset1:47
	v_dual_mov_b32 v124, 35 :: v_dual_mov_b32 v134, v8
	v_dual_mov_b32 v135, v9 :: v_dual_mov_b32 v136, v30
	v_dual_mov_b32 v137, v31 :: v_dual_mov_b32 v138, v34
	v_dual_mov_b32 v139, v35 :: v_dual_mov_b32 v140, v24
	v_mov_b32_e32 v141, v25
	ds_store_2addr_b64 v120, v[130:131], v[132:133] offset0:48 offset1:49
	ds_store_2addr_b64 v120, v[134:135], v[136:137] offset0:50 offset1:51
	;; [unrolled: 1-line block ×3, first 2 shown]
	ds_store_b64 v120, v[114:115] offset:432
.LBB108_753:
	s_or_b32 exec_lo, exec_lo, s0
	s_delay_alu instid0(SALU_CYCLE_1)
	s_mov_b32 s0, exec_lo
	s_wait_storecnt_dscnt 0x0
	s_barrier_signal -1
	s_barrier_wait -1
	v_cmpx_lt_i32_e32 35, v124
	s_cbranch_execz .LBB108_755
; %bb.754:
	v_pk_mul_f32 v[126:127], v[116:117], v[20:21] op_sel:[1,1] op_sel_hi:[0,1]
	s_delay_alu instid0(VALU_DEP_1)
	v_pk_fma_f32 v[118:119], v[116:117], v[20:21], v[126:127] op_sel_hi:[1,0,1] neg_lo:[0,0,1] neg_hi:[0,0,1]
	v_pk_fma_f32 v[116:117], v[116:117], v[20:21], v[126:127] op_sel_hi:[1,0,1]
	ds_load_2addr_b64 v[126:129], v120 offset0:36 offset1:37
	v_dual_mov_b32 v20, v118 :: v_dual_mov_b32 v21, v117
	s_wait_dscnt 0x0
	v_pk_mul_f32 v[130:131], v[126:127], v[116:117] op_sel:[0,1]
	s_delay_alu instid0(VALU_DEP_1) | instskip(SKIP_1) | instid1(VALU_DEP_1)
	v_pk_fma_f32 v[132:133], v[126:127], v[118:119], v[130:131] op_sel:[0,0,1] op_sel_hi:[1,1,0] neg_lo:[0,0,1] neg_hi:[0,0,1]
	v_pk_fma_f32 v[126:127], v[126:127], v[118:119], v[130:131] op_sel:[0,0,1] op_sel_hi:[1,0,0]
	v_mov_b32_e32 v133, v127
	v_pk_mul_f32 v[126:127], v[128:129], v[116:117] op_sel:[0,1]
	s_delay_alu instid0(VALU_DEP_1) | instskip(SKIP_1) | instid1(VALU_DEP_1)
	v_pk_fma_f32 v[130:131], v[128:129], v[118:119], v[126:127] op_sel:[0,0,1] op_sel_hi:[1,1,0] neg_lo:[0,0,1] neg_hi:[0,0,1]
	v_pk_fma_f32 v[126:127], v[128:129], v[118:119], v[126:127] op_sel:[0,0,1] op_sel_hi:[1,0,0]
	v_mov_b32_e32 v131, v127
	ds_load_2addr_b64 v[126:129], v120 offset0:38 offset1:39
	v_pk_add_f32 v[72:73], v[72:73], v[132:133] neg_lo:[0,1] neg_hi:[0,1]
	v_pk_add_f32 v[70:71], v[70:71], v[130:131] neg_lo:[0,1] neg_hi:[0,1]
	s_wait_dscnt 0x0
	v_pk_mul_f32 v[130:131], v[126:127], v[116:117] op_sel:[0,1]
	s_delay_alu instid0(VALU_DEP_1) | instskip(SKIP_2) | instid1(VALU_DEP_2)
	v_pk_fma_f32 v[132:133], v[126:127], v[118:119], v[130:131] op_sel:[0,0,1] op_sel_hi:[1,1,0] neg_lo:[0,0,1] neg_hi:[0,0,1]
	v_pk_fma_f32 v[126:127], v[126:127], v[118:119], v[130:131] op_sel:[0,0,1] op_sel_hi:[1,0,0]
	v_dual_mul_f32 v130, v129, v117 :: v_dual_mov_b32 v126, v129
	v_dual_mov_b32 v133, v127 :: v_dual_mov_b32 v127, v128
	s_delay_alu instid0(VALU_DEP_2) | instskip(SKIP_1) | instid1(VALU_DEP_3)
	v_pk_fma_f32 v[130:131], v[128:129], v[20:21], v[130:131] op_sel_hi:[1,1,0] neg_lo:[0,0,1] neg_hi:[0,0,1]
	v_mul_f32_e32 v128, v129, v118
	v_pk_add_f32 v[18:19], v[18:19], v[132:133] neg_lo:[0,1] neg_hi:[0,1]
	s_delay_alu instid0(VALU_DEP_2) | instskip(NEXT) | instid1(VALU_DEP_1)
	v_pk_fma_f32 v[126:127], v[126:127], v[20:21], v[128:129] op_sel_hi:[1,1,0]
	v_mov_b32_e32 v131, v127
	ds_load_2addr_b64 v[126:129], v120 offset0:40 offset1:41
	v_pk_add_f32 v[16:17], v[16:17], v[130:131] neg_lo:[0,1] neg_hi:[0,1]
	s_wait_dscnt 0x0
	v_pk_mul_f32 v[130:131], v[126:127], v[116:117] op_sel:[0,1]
	s_delay_alu instid0(VALU_DEP_1) | instskip(SKIP_1) | instid1(VALU_DEP_1)
	v_pk_fma_f32 v[132:133], v[126:127], v[118:119], v[130:131] op_sel:[0,0,1] op_sel_hi:[1,1,0] neg_lo:[0,0,1] neg_hi:[0,0,1]
	v_pk_fma_f32 v[126:127], v[126:127], v[118:119], v[130:131] op_sel:[0,0,1] op_sel_hi:[1,0,0]
	v_mov_b32_e32 v133, v127
	v_pk_mul_f32 v[126:127], v[128:129], v[116:117] op_sel:[0,1]
	s_delay_alu instid0(VALU_DEP_1) | instskip(SKIP_1) | instid1(VALU_DEP_1)
	v_pk_fma_f32 v[130:131], v[128:129], v[118:119], v[126:127] op_sel:[0,0,1] op_sel_hi:[1,1,0] neg_lo:[0,0,1] neg_hi:[0,0,1]
	v_pk_fma_f32 v[126:127], v[128:129], v[118:119], v[126:127] op_sel:[0,0,1] op_sel_hi:[1,0,0]
	v_mov_b32_e32 v131, v127
	ds_load_2addr_b64 v[126:129], v120 offset0:42 offset1:43
	v_pk_add_f32 v[68:69], v[68:69], v[132:133] neg_lo:[0,1] neg_hi:[0,1]
	v_pk_add_f32 v[66:67], v[66:67], v[130:131] neg_lo:[0,1] neg_hi:[0,1]
	s_wait_dscnt 0x0
	v_pk_mul_f32 v[130:131], v[126:127], v[116:117] op_sel:[0,1]
	s_delay_alu instid0(VALU_DEP_1) | instskip(SKIP_1) | instid1(VALU_DEP_1)
	v_pk_fma_f32 v[132:133], v[126:127], v[118:119], v[130:131] op_sel:[0,0,1] op_sel_hi:[1,1,0] neg_lo:[0,0,1] neg_hi:[0,0,1]
	v_pk_fma_f32 v[126:127], v[126:127], v[118:119], v[130:131] op_sel:[0,0,1] op_sel_hi:[1,0,0]
	v_mov_b32_e32 v133, v127
	v_pk_mul_f32 v[126:127], v[128:129], v[116:117] op_sel:[0,1]
	s_delay_alu instid0(VALU_DEP_1) | instskip(SKIP_1) | instid1(VALU_DEP_1)
	v_pk_fma_f32 v[130:131], v[128:129], v[118:119], v[126:127] op_sel:[0,0,1] op_sel_hi:[1,1,0] neg_lo:[0,0,1] neg_hi:[0,0,1]
	v_pk_fma_f32 v[126:127], v[128:129], v[118:119], v[126:127] op_sel:[0,0,1] op_sel_hi:[1,0,0]
	v_mov_b32_e32 v131, v127
	ds_load_2addr_b64 v[126:129], v120 offset0:44 offset1:45
	v_pk_add_f32 v[14:15], v[14:15], v[132:133] neg_lo:[0,1] neg_hi:[0,1]
	v_pk_add_f32 v[12:13], v[12:13], v[130:131] neg_lo:[0,1] neg_hi:[0,1]
	s_wait_dscnt 0x0
	v_dual_mul_f32 v130, v127, v117 :: v_dual_mul_f32 v132, v127, v118
	s_delay_alu instid0(VALU_DEP_1) | instskip(NEXT) | instid1(VALU_DEP_2)
	v_pk_fma_f32 v[130:131], v[126:127], v[20:21], v[130:131] op_sel_hi:[1,1,0] neg_lo:[0,0,1] neg_hi:[0,0,1]
	v_pk_fma_f32 v[126:127], v[126:127], v[20:21], v[132:133] op_sel:[1,0,0] op_sel_hi:[0,1,0]
	s_delay_alu instid0(VALU_DEP_1) | instskip(SKIP_1) | instid1(VALU_DEP_2)
	v_mov_b32_e32 v131, v127
	v_pk_mul_f32 v[126:127], v[128:129], v[116:117] op_sel:[0,1]
	v_pk_add_f32 v[64:65], v[64:65], v[130:131] neg_lo:[0,1] neg_hi:[0,1]
	s_delay_alu instid0(VALU_DEP_2) | instskip(SKIP_1) | instid1(VALU_DEP_1)
	v_pk_fma_f32 v[130:131], v[128:129], v[118:119], v[126:127] op_sel:[0,0,1] op_sel_hi:[1,1,0] neg_lo:[0,0,1] neg_hi:[0,0,1]
	v_pk_fma_f32 v[126:127], v[128:129], v[118:119], v[126:127] op_sel:[0,0,1] op_sel_hi:[1,0,0]
	v_mov_b32_e32 v131, v127
	ds_load_2addr_b64 v[126:129], v120 offset0:46 offset1:47
	v_pk_add_f32 v[62:63], v[62:63], v[130:131] neg_lo:[0,1] neg_hi:[0,1]
	s_wait_dscnt 0x0
	v_pk_mul_f32 v[130:131], v[126:127], v[116:117] op_sel:[0,1]
	s_delay_alu instid0(VALU_DEP_1) | instskip(SKIP_1) | instid1(VALU_DEP_1)
	v_pk_fma_f32 v[132:133], v[126:127], v[118:119], v[130:131] op_sel:[0,0,1] op_sel_hi:[1,1,0] neg_lo:[0,0,1] neg_hi:[0,0,1]
	v_pk_fma_f32 v[126:127], v[126:127], v[118:119], v[130:131] op_sel:[0,0,1] op_sel_hi:[1,0,0]
	v_mov_b32_e32 v133, v127
	v_pk_mul_f32 v[126:127], v[128:129], v[116:117] op_sel:[0,1]
	s_delay_alu instid0(VALU_DEP_2) | instskip(NEXT) | instid1(VALU_DEP_2)
	v_pk_add_f32 v[10:11], v[10:11], v[132:133] neg_lo:[0,1] neg_hi:[0,1]
	v_pk_fma_f32 v[130:131], v[128:129], v[118:119], v[126:127] op_sel:[0,0,1] op_sel_hi:[1,1,0] neg_lo:[0,0,1] neg_hi:[0,0,1]
	v_pk_fma_f32 v[126:127], v[128:129], v[118:119], v[126:127] op_sel:[0,0,1] op_sel_hi:[1,0,0]
	s_delay_alu instid0(VALU_DEP_1) | instskip(SKIP_4) | instid1(VALU_DEP_1)
	v_mov_b32_e32 v131, v127
	ds_load_2addr_b64 v[126:129], v120 offset0:48 offset1:49
	v_pk_add_f32 v[6:7], v[6:7], v[130:131] neg_lo:[0,1] neg_hi:[0,1]
	s_wait_dscnt 0x0
	v_pk_mul_f32 v[130:131], v[126:127], v[116:117] op_sel:[0,1]
	v_pk_fma_f32 v[132:133], v[126:127], v[118:119], v[130:131] op_sel:[0,0,1] op_sel_hi:[1,1,0] neg_lo:[0,0,1] neg_hi:[0,0,1]
	v_pk_fma_f32 v[126:127], v[126:127], v[118:119], v[130:131] op_sel:[0,0,1] op_sel_hi:[1,0,0]
	v_dual_mul_f32 v130, v129, v117 :: v_dual_mov_b32 v126, v129
	s_delay_alu instid0(VALU_DEP_2) | instskip(NEXT) | instid1(VALU_DEP_2)
	v_dual_mov_b32 v133, v127 :: v_dual_mov_b32 v127, v128
	v_pk_fma_f32 v[130:131], v[128:129], v[20:21], v[130:131] op_sel_hi:[1,1,0] neg_lo:[0,0,1] neg_hi:[0,0,1]
	v_mul_f32_e32 v128, v129, v118
	s_delay_alu instid0(VALU_DEP_3) | instskip(NEXT) | instid1(VALU_DEP_2)
	v_pk_add_f32 v[52:53], v[52:53], v[132:133] neg_lo:[0,1] neg_hi:[0,1]
	v_pk_fma_f32 v[126:127], v[126:127], v[20:21], v[128:129] op_sel_hi:[1,1,0]
	s_delay_alu instid0(VALU_DEP_1) | instskip(SKIP_4) | instid1(VALU_DEP_1)
	v_mov_b32_e32 v131, v127
	ds_load_2addr_b64 v[126:129], v120 offset0:50 offset1:51
	v_pk_add_f32 v[50:51], v[50:51], v[130:131] neg_lo:[0,1] neg_hi:[0,1]
	s_wait_dscnt 0x0
	v_pk_mul_f32 v[130:131], v[126:127], v[116:117] op_sel:[0,1]
	v_pk_fma_f32 v[132:133], v[126:127], v[118:119], v[130:131] op_sel:[0,0,1] op_sel_hi:[1,1,0] neg_lo:[0,0,1] neg_hi:[0,0,1]
	v_pk_fma_f32 v[126:127], v[126:127], v[118:119], v[130:131] op_sel:[0,0,1] op_sel_hi:[1,0,0]
	s_delay_alu instid0(VALU_DEP_1) | instskip(SKIP_1) | instid1(VALU_DEP_1)
	v_mov_b32_e32 v133, v127
	v_pk_mul_f32 v[126:127], v[128:129], v[116:117] op_sel:[0,1]
	v_pk_fma_f32 v[130:131], v[128:129], v[118:119], v[126:127] op_sel:[0,0,1] op_sel_hi:[1,1,0] neg_lo:[0,0,1] neg_hi:[0,0,1]
	v_pk_fma_f32 v[126:127], v[128:129], v[118:119], v[126:127] op_sel:[0,0,1] op_sel_hi:[1,0,0]
	s_delay_alu instid0(VALU_DEP_1)
	v_mov_b32_e32 v131, v127
	ds_load_2addr_b64 v[126:129], v120 offset0:52 offset1:53
	v_pk_add_f32 v[8:9], v[8:9], v[132:133] neg_lo:[0,1] neg_hi:[0,1]
	v_pk_add_f32 v[30:31], v[30:31], v[130:131] neg_lo:[0,1] neg_hi:[0,1]
	s_wait_dscnt 0x0
	v_pk_mul_f32 v[130:131], v[126:127], v[116:117] op_sel:[0,1]
	s_delay_alu instid0(VALU_DEP_1) | instskip(SKIP_1) | instid1(VALU_DEP_1)
	v_pk_fma_f32 v[132:133], v[126:127], v[118:119], v[130:131] op_sel:[0,0,1] op_sel_hi:[1,1,0] neg_lo:[0,0,1] neg_hi:[0,0,1]
	v_pk_fma_f32 v[126:127], v[126:127], v[118:119], v[130:131] op_sel:[0,0,1] op_sel_hi:[1,0,0]
	v_mov_b32_e32 v133, v127
	v_pk_mul_f32 v[126:127], v[128:129], v[116:117] op_sel:[0,1]
	s_delay_alu instid0(VALU_DEP_1) | instskip(SKIP_1) | instid1(VALU_DEP_1)
	v_pk_fma_f32 v[130:131], v[128:129], v[118:119], v[126:127] op_sel:[0,0,1] op_sel_hi:[1,1,0] neg_lo:[0,0,1] neg_hi:[0,0,1]
	v_pk_fma_f32 v[126:127], v[128:129], v[118:119], v[126:127] op_sel:[0,0,1] op_sel_hi:[1,0,0]
	v_mov_b32_e32 v131, v127
	ds_load_b64 v[126:127], v120 offset:432
	v_pk_add_f32 v[34:35], v[34:35], v[132:133] neg_lo:[0,1] neg_hi:[0,1]
	v_pk_add_f32 v[24:25], v[24:25], v[130:131] neg_lo:[0,1] neg_hi:[0,1]
	s_wait_dscnt 0x0
	v_pk_mul_f32 v[116:117], v[126:127], v[116:117] op_sel:[0,1]
	s_delay_alu instid0(VALU_DEP_1) | instskip(SKIP_1) | instid1(VALU_DEP_1)
	v_pk_fma_f32 v[128:129], v[126:127], v[118:119], v[116:117] op_sel:[0,0,1] op_sel_hi:[1,1,0] neg_lo:[0,0,1] neg_hi:[0,0,1]
	v_pk_fma_f32 v[116:117], v[126:127], v[118:119], v[116:117] op_sel:[0,0,1] op_sel_hi:[1,0,0]
	v_mov_b32_e32 v129, v117
	s_delay_alu instid0(VALU_DEP_1)
	v_pk_add_f32 v[114:115], v[114:115], v[128:129] neg_lo:[0,1] neg_hi:[0,1]
.LBB108_755:
	s_or_b32 exec_lo, exec_lo, s0
	v_lshl_add_u32 v116, v124, 3, v120
	s_barrier_signal -1
	s_barrier_wait -1
	ds_store_b64 v116, v[72:73]
	s_wait_dscnt 0x0
	s_barrier_signal -1
	s_barrier_wait -1
	ds_load_b64 v[116:117], v120 offset:288
	v_mov_b32_e32 v118, 36
	s_cmp_lt_i32 s18, 38
	s_cbranch_scc1 .LBB108_758
; %bb.756:
	v_add3_u32 v119, v121, 0, 0x128
	v_mov_b32_e32 v118, 36
	s_mov_b32 s0, 37
.LBB108_757:                            ; =>This Inner Loop Header: Depth=1
	ds_load_b64 v[126:127], v119
	s_wait_dscnt 0x1
	v_cmp_gt_f32_e32 vcc_lo, 0, v116
	v_cndmask_b32_e64 v128, v116, -v116, vcc_lo
	v_cmp_gt_f32_e32 vcc_lo, 0, v117
	v_cndmask_b32_e64 v130, v117, -v117, vcc_lo
	s_wait_dscnt 0x0
	v_cmp_gt_f32_e32 vcc_lo, 0, v126
	v_cndmask_b32_e64 v129, v126, -v126, vcc_lo
	v_cmp_gt_f32_e32 vcc_lo, 0, v127
	v_cndmask_b32_e64 v131, v127, -v127, vcc_lo
	s_delay_alu instid0(VALU_DEP_1) | instskip(NEXT) | instid1(VALU_DEP_1)
	v_pk_add_f32 v[128:129], v[128:129], v[130:131]
	v_cmp_lt_f32_e32 vcc_lo, v128, v129
	v_dual_cndmask_b32 v116, v116, v126 :: v_dual_add_nc_u32 v119, 8, v119
	v_cndmask_b32_e32 v117, v117, v127, vcc_lo
	v_cndmask_b32_e64 v118, v118, s0, vcc_lo
	s_add_co_i32 s0, s0, 1
	s_delay_alu instid0(SALU_CYCLE_1)
	s_cmp_lg_u32 s18, s0
	s_cbranch_scc1 .LBB108_757
.LBB108_758:
	s_wait_dscnt 0x0
	v_cmp_eq_f32_e32 vcc_lo, 0, v116
	v_cmp_eq_f32_e64 s0, 0, v117
	s_and_b32 s0, vcc_lo, s0
	s_delay_alu instid0(SALU_CYCLE_1) | instskip(NEXT) | instid1(SALU_CYCLE_1)
	s_and_saveexec_b32 s1, s0
	s_xor_b32 s0, exec_lo, s1
; %bb.759:
	v_cmp_ne_u32_e32 vcc_lo, 0, v122
	v_cndmask_b32_e32 v122, 37, v122, vcc_lo
; %bb.760:
	s_and_not1_saveexec_b32 s0, s0
	s_cbranch_execz .LBB108_766
; %bb.761:
	v_cmp_ngt_f32_e64 s1, |v116|, |v117|
	s_and_saveexec_b32 s12, s1
	s_delay_alu instid0(SALU_CYCLE_1)
	s_xor_b32 s1, exec_lo, s12
	s_cbranch_execz .LBB108_763
; %bb.762:
	v_div_scale_f32 v119, null, v117, v117, v116
	v_div_scale_f32 v127, vcc_lo, v116, v117, v116
	s_delay_alu instid0(VALU_DEP_2) | instskip(SKIP_1) | instid1(TRANS32_DEP_1)
	v_rcp_f32_e32 v125, v119
	v_nop
	v_fma_f32 v126, -v119, v125, 1.0
	s_delay_alu instid0(VALU_DEP_1) | instskip(NEXT) | instid1(VALU_DEP_1)
	v_fmac_f32_e32 v125, v126, v125
	v_mul_f32_e32 v126, v127, v125
	s_delay_alu instid0(VALU_DEP_1) | instskip(NEXT) | instid1(VALU_DEP_1)
	v_fma_f32 v128, -v119, v126, v127
	v_fmac_f32_e32 v126, v128, v125
	s_delay_alu instid0(VALU_DEP_1) | instskip(NEXT) | instid1(VALU_DEP_1)
	v_fma_f32 v119, -v119, v126, v127
	v_div_fmas_f32 v119, v119, v125, v126
	s_delay_alu instid0(VALU_DEP_1) | instskip(NEXT) | instid1(VALU_DEP_1)
	v_div_fixup_f32 v119, v119, v117, v116
	v_fmac_f32_e32 v117, v116, v119
	s_delay_alu instid0(VALU_DEP_1) | instskip(SKIP_1) | instid1(VALU_DEP_2)
	v_div_scale_f32 v116, null, v117, v117, 1.0
	v_div_scale_f32 v127, vcc_lo, 1.0, v117, 1.0
	v_rcp_f32_e32 v125, v116
	v_nop
	s_delay_alu instid0(TRANS32_DEP_1) | instskip(NEXT) | instid1(VALU_DEP_1)
	v_fma_f32 v126, -v116, v125, 1.0
	v_fmac_f32_e32 v125, v126, v125
	s_delay_alu instid0(VALU_DEP_1) | instskip(NEXT) | instid1(VALU_DEP_1)
	v_mul_f32_e32 v126, v127, v125
	v_fma_f32 v128, -v116, v126, v127
	s_delay_alu instid0(VALU_DEP_1) | instskip(NEXT) | instid1(VALU_DEP_1)
	v_fmac_f32_e32 v126, v128, v125
	v_fma_f32 v116, -v116, v126, v127
	s_delay_alu instid0(VALU_DEP_1) | instskip(NEXT) | instid1(VALU_DEP_1)
	v_div_fmas_f32 v116, v116, v125, v126
	v_div_fixup_f32 v117, v116, v117, 1.0
	s_delay_alu instid0(VALU_DEP_1)
	v_mul_f32_e32 v116, v119, v117
	v_xor_b32_e32 v117, 0x80000000, v117
.LBB108_763:
	s_and_not1_saveexec_b32 s1, s1
	s_cbranch_execz .LBB108_765
; %bb.764:
	s_delay_alu instid0(VALU_DEP_1) | instskip(SKIP_1) | instid1(VALU_DEP_2)
	v_div_scale_f32 v119, null, v116, v116, v117
	v_div_scale_f32 v127, vcc_lo, v117, v116, v117
	v_rcp_f32_e32 v125, v119
	v_nop
	s_delay_alu instid0(TRANS32_DEP_1) | instskip(NEXT) | instid1(VALU_DEP_1)
	v_fma_f32 v126, -v119, v125, 1.0
	v_fmac_f32_e32 v125, v126, v125
	s_delay_alu instid0(VALU_DEP_1) | instskip(NEXT) | instid1(VALU_DEP_1)
	v_mul_f32_e32 v126, v127, v125
	v_fma_f32 v128, -v119, v126, v127
	s_delay_alu instid0(VALU_DEP_1) | instskip(NEXT) | instid1(VALU_DEP_1)
	v_fmac_f32_e32 v126, v128, v125
	v_fma_f32 v119, -v119, v126, v127
	s_delay_alu instid0(VALU_DEP_1) | instskip(NEXT) | instid1(VALU_DEP_1)
	v_div_fmas_f32 v119, v119, v125, v126
	v_div_fixup_f32 v119, v119, v116, v117
	s_delay_alu instid0(VALU_DEP_1) | instskip(NEXT) | instid1(VALU_DEP_1)
	v_fmac_f32_e32 v116, v117, v119
	v_div_scale_f32 v117, null, v116, v116, 1.0
	s_delay_alu instid0(VALU_DEP_1) | instskip(SKIP_1) | instid1(TRANS32_DEP_1)
	v_rcp_f32_e32 v125, v117
	v_nop
	v_fma_f32 v126, -v117, v125, 1.0
	s_delay_alu instid0(VALU_DEP_1) | instskip(SKIP_1) | instid1(VALU_DEP_1)
	v_fmac_f32_e32 v125, v126, v125
	v_div_scale_f32 v126, vcc_lo, 1.0, v116, 1.0
	v_mul_f32_e32 v127, v126, v125
	s_delay_alu instid0(VALU_DEP_1) | instskip(NEXT) | instid1(VALU_DEP_1)
	v_fma_f32 v128, -v117, v127, v126
	v_fmac_f32_e32 v127, v128, v125
	s_delay_alu instid0(VALU_DEP_1) | instskip(NEXT) | instid1(VALU_DEP_1)
	v_fma_f32 v117, -v117, v127, v126
	v_div_fmas_f32 v117, v117, v125, v127
	s_delay_alu instid0(VALU_DEP_1) | instskip(NEXT) | instid1(VALU_DEP_1)
	v_div_fixup_f32 v116, v117, v116, 1.0
	v_mul_f32_e64 v117, v119, -v116
.LBB108_765:
	s_or_b32 exec_lo, exec_lo, s1
.LBB108_766:
	s_delay_alu instid0(SALU_CYCLE_1) | instskip(NEXT) | instid1(SALU_CYCLE_1)
	s_or_b32 exec_lo, exec_lo, s0
	s_mov_b32 s0, exec_lo
	v_cmpx_ne_u32_e64 v124, v118
	s_xor_b32 s0, exec_lo, s0
	s_cbranch_execz .LBB108_772
; %bb.767:
	s_mov_b32 s1, exec_lo
	v_cmpx_eq_u32_e32 36, v124
	s_cbranch_execz .LBB108_771
; %bb.768:
	v_cmp_ne_u32_e32 vcc_lo, 36, v118
	s_xor_b32 s12, s16, -1
	s_delay_alu instid0(SALU_CYCLE_1) | instskip(NEXT) | instid1(SALU_CYCLE_1)
	s_and_b32 s13, s12, vcc_lo
	s_and_saveexec_b32 s12, s13
	s_cbranch_execz .LBB108_770
; %bb.769:
	v_ashrrev_i32_e32 v119, 31, v118
	s_delay_alu instid0(VALU_DEP_1)
	v_lshl_add_u64 v[124:125], v[118:119], 2, v[4:5]
	s_clause 0x1
	global_load_b32 v119, v[124:125], off
	global_load_b32 v123, v[4:5], off offset:144
	s_wait_loadcnt 0x1
	global_store_b32 v[4:5], v119, off offset:144
	s_wait_loadcnt 0x0
	global_store_b32 v[124:125], v123, off
.LBB108_770:
	s_wait_xcnt 0x0
	s_or_b32 exec_lo, exec_lo, s12
	v_dual_mov_b32 v124, v118 :: v_dual_mov_b32 v123, v118
.LBB108_771:
	s_or_b32 exec_lo, exec_lo, s1
.LBB108_772:
	s_and_not1_saveexec_b32 s0, s0
	s_cbranch_execz .LBB108_774
; %bb.773:
	v_mov_b32_e32 v124, 36
	ds_store_2addr_b64 v120, v[70:71], v[18:19] offset0:37 offset1:38
	ds_store_2addr_b64 v120, v[16:17], v[68:69] offset0:39 offset1:40
	;; [unrolled: 1-line block ×9, first 2 shown]
.LBB108_774:
	s_or_b32 exec_lo, exec_lo, s0
	s_delay_alu instid0(SALU_CYCLE_1)
	s_mov_b32 s0, exec_lo
	s_wait_storecnt_dscnt 0x0
	s_barrier_signal -1
	s_barrier_wait -1
	v_cmpx_lt_i32_e32 36, v124
	s_cbranch_execz .LBB108_776
; %bb.775:
	v_pk_mul_f32 v[126:127], v[116:117], v[72:73] op_sel:[1,1] op_sel_hi:[0,1]
	s_delay_alu instid0(VALU_DEP_1)
	v_pk_fma_f32 v[118:119], v[116:117], v[72:73], v[126:127] op_sel_hi:[1,0,1] neg_lo:[0,0,1] neg_hi:[0,0,1]
	v_pk_fma_f32 v[116:117], v[116:117], v[72:73], v[126:127] op_sel_hi:[1,0,1]
	ds_load_2addr_b64 v[126:129], v120 offset0:37 offset1:38
	v_dual_mov_b32 v72, v118 :: v_dual_mov_b32 v73, v117
	s_wait_dscnt 0x0
	v_pk_mul_f32 v[130:131], v[126:127], v[116:117] op_sel:[0,1]
	s_delay_alu instid0(VALU_DEP_1) | instskip(SKIP_1) | instid1(VALU_DEP_1)
	v_pk_fma_f32 v[132:133], v[126:127], v[118:119], v[130:131] op_sel:[0,0,1] op_sel_hi:[1,1,0] neg_lo:[0,0,1] neg_hi:[0,0,1]
	v_pk_fma_f32 v[126:127], v[126:127], v[118:119], v[130:131] op_sel:[0,0,1] op_sel_hi:[1,0,0]
	v_mov_b32_e32 v133, v127
	v_pk_mul_f32 v[126:127], v[128:129], v[116:117] op_sel:[0,1]
	s_delay_alu instid0(VALU_DEP_1) | instskip(SKIP_1) | instid1(VALU_DEP_1)
	v_pk_fma_f32 v[130:131], v[128:129], v[118:119], v[126:127] op_sel:[0,0,1] op_sel_hi:[1,1,0] neg_lo:[0,0,1] neg_hi:[0,0,1]
	v_pk_fma_f32 v[126:127], v[128:129], v[118:119], v[126:127] op_sel:[0,0,1] op_sel_hi:[1,0,0]
	v_mov_b32_e32 v131, v127
	ds_load_2addr_b64 v[126:129], v120 offset0:39 offset1:40
	v_pk_add_f32 v[70:71], v[70:71], v[132:133] neg_lo:[0,1] neg_hi:[0,1]
	v_pk_add_f32 v[18:19], v[18:19], v[130:131] neg_lo:[0,1] neg_hi:[0,1]
	s_wait_dscnt 0x0
	v_pk_mul_f32 v[130:131], v[126:127], v[116:117] op_sel:[0,1]
	s_delay_alu instid0(VALU_DEP_1) | instskip(SKIP_2) | instid1(VALU_DEP_2)
	v_pk_fma_f32 v[132:133], v[126:127], v[118:119], v[130:131] op_sel:[0,0,1] op_sel_hi:[1,1,0] neg_lo:[0,0,1] neg_hi:[0,0,1]
	v_pk_fma_f32 v[126:127], v[126:127], v[118:119], v[130:131] op_sel:[0,0,1] op_sel_hi:[1,0,0]
	v_dual_mul_f32 v130, v129, v117 :: v_dual_mov_b32 v126, v129
	v_dual_mov_b32 v133, v127 :: v_dual_mov_b32 v127, v128
	s_delay_alu instid0(VALU_DEP_2) | instskip(SKIP_1) | instid1(VALU_DEP_3)
	v_pk_fma_f32 v[130:131], v[128:129], v[72:73], v[130:131] op_sel_hi:[1,1,0] neg_lo:[0,0,1] neg_hi:[0,0,1]
	v_mul_f32_e32 v128, v129, v118
	v_pk_add_f32 v[16:17], v[16:17], v[132:133] neg_lo:[0,1] neg_hi:[0,1]
	s_delay_alu instid0(VALU_DEP_2) | instskip(NEXT) | instid1(VALU_DEP_1)
	v_pk_fma_f32 v[126:127], v[126:127], v[72:73], v[128:129] op_sel_hi:[1,1,0]
	v_mov_b32_e32 v131, v127
	ds_load_2addr_b64 v[126:129], v120 offset0:41 offset1:42
	v_pk_add_f32 v[68:69], v[68:69], v[130:131] neg_lo:[0,1] neg_hi:[0,1]
	s_wait_dscnt 0x0
	v_pk_mul_f32 v[130:131], v[126:127], v[116:117] op_sel:[0,1]
	s_delay_alu instid0(VALU_DEP_1) | instskip(SKIP_1) | instid1(VALU_DEP_1)
	v_pk_fma_f32 v[132:133], v[126:127], v[118:119], v[130:131] op_sel:[0,0,1] op_sel_hi:[1,1,0] neg_lo:[0,0,1] neg_hi:[0,0,1]
	v_pk_fma_f32 v[126:127], v[126:127], v[118:119], v[130:131] op_sel:[0,0,1] op_sel_hi:[1,0,0]
	v_mov_b32_e32 v133, v127
	v_pk_mul_f32 v[126:127], v[128:129], v[116:117] op_sel:[0,1]
	s_delay_alu instid0(VALU_DEP_1) | instskip(SKIP_1) | instid1(VALU_DEP_1)
	v_pk_fma_f32 v[130:131], v[128:129], v[118:119], v[126:127] op_sel:[0,0,1] op_sel_hi:[1,1,0] neg_lo:[0,0,1] neg_hi:[0,0,1]
	v_pk_fma_f32 v[126:127], v[128:129], v[118:119], v[126:127] op_sel:[0,0,1] op_sel_hi:[1,0,0]
	v_mov_b32_e32 v131, v127
	ds_load_2addr_b64 v[126:129], v120 offset0:43 offset1:44
	v_pk_add_f32 v[66:67], v[66:67], v[132:133] neg_lo:[0,1] neg_hi:[0,1]
	v_pk_add_f32 v[14:15], v[14:15], v[130:131] neg_lo:[0,1] neg_hi:[0,1]
	s_wait_dscnt 0x0
	v_pk_mul_f32 v[130:131], v[126:127], v[116:117] op_sel:[0,1]
	s_delay_alu instid0(VALU_DEP_1) | instskip(SKIP_1) | instid1(VALU_DEP_1)
	v_pk_fma_f32 v[132:133], v[126:127], v[118:119], v[130:131] op_sel:[0,0,1] op_sel_hi:[1,1,0] neg_lo:[0,0,1] neg_hi:[0,0,1]
	v_pk_fma_f32 v[126:127], v[126:127], v[118:119], v[130:131] op_sel:[0,0,1] op_sel_hi:[1,0,0]
	v_mov_b32_e32 v133, v127
	v_pk_mul_f32 v[126:127], v[128:129], v[116:117] op_sel:[0,1]
	s_delay_alu instid0(VALU_DEP_1) | instskip(SKIP_1) | instid1(VALU_DEP_1)
	v_pk_fma_f32 v[130:131], v[128:129], v[118:119], v[126:127] op_sel:[0,0,1] op_sel_hi:[1,1,0] neg_lo:[0,0,1] neg_hi:[0,0,1]
	v_pk_fma_f32 v[126:127], v[128:129], v[118:119], v[126:127] op_sel:[0,0,1] op_sel_hi:[1,0,0]
	v_mov_b32_e32 v131, v127
	ds_load_2addr_b64 v[126:129], v120 offset0:45 offset1:46
	v_pk_add_f32 v[12:13], v[12:13], v[132:133] neg_lo:[0,1] neg_hi:[0,1]
	v_pk_add_f32 v[64:65], v[64:65], v[130:131] neg_lo:[0,1] neg_hi:[0,1]
	s_wait_dscnt 0x0
	v_dual_mul_f32 v130, v127, v117 :: v_dual_mul_f32 v132, v127, v118
	s_delay_alu instid0(VALU_DEP_1) | instskip(NEXT) | instid1(VALU_DEP_2)
	v_pk_fma_f32 v[130:131], v[126:127], v[72:73], v[130:131] op_sel_hi:[1,1,0] neg_lo:[0,0,1] neg_hi:[0,0,1]
	v_pk_fma_f32 v[126:127], v[126:127], v[72:73], v[132:133] op_sel:[1,0,0] op_sel_hi:[0,1,0]
	s_delay_alu instid0(VALU_DEP_1) | instskip(SKIP_1) | instid1(VALU_DEP_2)
	v_mov_b32_e32 v131, v127
	v_pk_mul_f32 v[126:127], v[128:129], v[116:117] op_sel:[0,1]
	v_pk_add_f32 v[62:63], v[62:63], v[130:131] neg_lo:[0,1] neg_hi:[0,1]
	s_delay_alu instid0(VALU_DEP_2) | instskip(SKIP_1) | instid1(VALU_DEP_1)
	v_pk_fma_f32 v[130:131], v[128:129], v[118:119], v[126:127] op_sel:[0,0,1] op_sel_hi:[1,1,0] neg_lo:[0,0,1] neg_hi:[0,0,1]
	v_pk_fma_f32 v[126:127], v[128:129], v[118:119], v[126:127] op_sel:[0,0,1] op_sel_hi:[1,0,0]
	v_mov_b32_e32 v131, v127
	ds_load_2addr_b64 v[126:129], v120 offset0:47 offset1:48
	v_pk_add_f32 v[10:11], v[10:11], v[130:131] neg_lo:[0,1] neg_hi:[0,1]
	s_wait_dscnt 0x0
	v_pk_mul_f32 v[130:131], v[126:127], v[116:117] op_sel:[0,1]
	s_delay_alu instid0(VALU_DEP_1) | instskip(SKIP_1) | instid1(VALU_DEP_1)
	v_pk_fma_f32 v[132:133], v[126:127], v[118:119], v[130:131] op_sel:[0,0,1] op_sel_hi:[1,1,0] neg_lo:[0,0,1] neg_hi:[0,0,1]
	v_pk_fma_f32 v[126:127], v[126:127], v[118:119], v[130:131] op_sel:[0,0,1] op_sel_hi:[1,0,0]
	v_mov_b32_e32 v133, v127
	v_pk_mul_f32 v[126:127], v[128:129], v[116:117] op_sel:[0,1]
	s_delay_alu instid0(VALU_DEP_2) | instskip(NEXT) | instid1(VALU_DEP_2)
	v_pk_add_f32 v[6:7], v[6:7], v[132:133] neg_lo:[0,1] neg_hi:[0,1]
	v_pk_fma_f32 v[130:131], v[128:129], v[118:119], v[126:127] op_sel:[0,0,1] op_sel_hi:[1,1,0] neg_lo:[0,0,1] neg_hi:[0,0,1]
	v_pk_fma_f32 v[126:127], v[128:129], v[118:119], v[126:127] op_sel:[0,0,1] op_sel_hi:[1,0,0]
	s_delay_alu instid0(VALU_DEP_1) | instskip(SKIP_4) | instid1(VALU_DEP_1)
	v_mov_b32_e32 v131, v127
	ds_load_2addr_b64 v[126:129], v120 offset0:49 offset1:50
	v_pk_add_f32 v[52:53], v[52:53], v[130:131] neg_lo:[0,1] neg_hi:[0,1]
	s_wait_dscnt 0x0
	v_pk_mul_f32 v[130:131], v[126:127], v[116:117] op_sel:[0,1]
	v_pk_fma_f32 v[132:133], v[126:127], v[118:119], v[130:131] op_sel:[0,0,1] op_sel_hi:[1,1,0] neg_lo:[0,0,1] neg_hi:[0,0,1]
	v_pk_fma_f32 v[126:127], v[126:127], v[118:119], v[130:131] op_sel:[0,0,1] op_sel_hi:[1,0,0]
	v_dual_mul_f32 v130, v129, v117 :: v_dual_mov_b32 v126, v129
	s_delay_alu instid0(VALU_DEP_2) | instskip(NEXT) | instid1(VALU_DEP_2)
	v_dual_mov_b32 v133, v127 :: v_dual_mov_b32 v127, v128
	v_pk_fma_f32 v[130:131], v[128:129], v[72:73], v[130:131] op_sel_hi:[1,1,0] neg_lo:[0,0,1] neg_hi:[0,0,1]
	v_mul_f32_e32 v128, v129, v118
	s_delay_alu instid0(VALU_DEP_3) | instskip(NEXT) | instid1(VALU_DEP_2)
	v_pk_add_f32 v[50:51], v[50:51], v[132:133] neg_lo:[0,1] neg_hi:[0,1]
	v_pk_fma_f32 v[126:127], v[126:127], v[72:73], v[128:129] op_sel_hi:[1,1,0]
	s_delay_alu instid0(VALU_DEP_1) | instskip(SKIP_4) | instid1(VALU_DEP_1)
	v_mov_b32_e32 v131, v127
	ds_load_2addr_b64 v[126:129], v120 offset0:51 offset1:52
	v_pk_add_f32 v[8:9], v[8:9], v[130:131] neg_lo:[0,1] neg_hi:[0,1]
	s_wait_dscnt 0x0
	v_pk_mul_f32 v[130:131], v[126:127], v[116:117] op_sel:[0,1]
	v_pk_fma_f32 v[132:133], v[126:127], v[118:119], v[130:131] op_sel:[0,0,1] op_sel_hi:[1,1,0] neg_lo:[0,0,1] neg_hi:[0,0,1]
	v_pk_fma_f32 v[126:127], v[126:127], v[118:119], v[130:131] op_sel:[0,0,1] op_sel_hi:[1,0,0]
	s_delay_alu instid0(VALU_DEP_1) | instskip(SKIP_1) | instid1(VALU_DEP_1)
	v_mov_b32_e32 v133, v127
	v_pk_mul_f32 v[126:127], v[128:129], v[116:117] op_sel:[0,1]
	v_pk_fma_f32 v[130:131], v[128:129], v[118:119], v[126:127] op_sel:[0,0,1] op_sel_hi:[1,1,0] neg_lo:[0,0,1] neg_hi:[0,0,1]
	v_pk_fma_f32 v[126:127], v[128:129], v[118:119], v[126:127] op_sel:[0,0,1] op_sel_hi:[1,0,0]
	s_delay_alu instid0(VALU_DEP_1)
	v_mov_b32_e32 v131, v127
	ds_load_2addr_b64 v[126:129], v120 offset0:53 offset1:54
	v_pk_add_f32 v[30:31], v[30:31], v[132:133] neg_lo:[0,1] neg_hi:[0,1]
	v_pk_add_f32 v[34:35], v[34:35], v[130:131] neg_lo:[0,1] neg_hi:[0,1]
	s_wait_dscnt 0x0
	v_pk_mul_f32 v[130:131], v[126:127], v[116:117] op_sel:[0,1]
	v_mul_f32_e32 v116, v129, v117
	s_delay_alu instid0(VALU_DEP_2) | instskip(SKIP_2) | instid1(VALU_DEP_4)
	v_pk_fma_f32 v[132:133], v[126:127], v[118:119], v[130:131] op_sel:[0,0,1] op_sel_hi:[1,1,0] neg_lo:[0,0,1] neg_hi:[0,0,1]
	v_pk_fma_f32 v[126:127], v[126:127], v[118:119], v[130:131] op_sel:[0,0,1] op_sel_hi:[1,0,0]
	v_dual_mov_b32 v126, v129 :: v_dual_mul_f32 v118, v129, v118
	v_pk_fma_f32 v[116:117], v[128:129], v[72:73], v[116:117] op_sel_hi:[1,1,0] neg_lo:[0,0,1] neg_hi:[0,0,1]
	s_delay_alu instid0(VALU_DEP_3) | instskip(NEXT) | instid1(VALU_DEP_1)
	v_dual_mov_b32 v133, v127 :: v_dual_mov_b32 v127, v128
	v_pk_add_f32 v[24:25], v[24:25], v[132:133] neg_lo:[0,1] neg_hi:[0,1]
	s_delay_alu instid0(VALU_DEP_2) | instskip(NEXT) | instid1(VALU_DEP_1)
	v_pk_fma_f32 v[118:119], v[126:127], v[72:73], v[118:119] op_sel_hi:[1,1,0]
	v_mov_b32_e32 v117, v119
	s_delay_alu instid0(VALU_DEP_1)
	v_pk_add_f32 v[114:115], v[114:115], v[116:117] neg_lo:[0,1] neg_hi:[0,1]
.LBB108_776:
	s_or_b32 exec_lo, exec_lo, s0
	v_lshl_add_u32 v116, v124, 3, v120
	s_barrier_signal -1
	s_barrier_wait -1
	ds_store_b64 v116, v[70:71]
	s_wait_dscnt 0x0
	s_barrier_signal -1
	s_barrier_wait -1
	ds_load_b64 v[116:117], v120 offset:296
	v_mov_b32_e32 v118, 37
	s_cmp_lt_i32 s18, 39
	s_cbranch_scc1 .LBB108_779
; %bb.777:
	v_add3_u32 v119, v121, 0, 0x130
	v_mov_b32_e32 v118, 37
	s_mov_b32 s0, 38
.LBB108_778:                            ; =>This Inner Loop Header: Depth=1
	ds_load_b64 v[126:127], v119
	s_wait_dscnt 0x1
	v_cmp_gt_f32_e32 vcc_lo, 0, v116
	v_cndmask_b32_e64 v128, v116, -v116, vcc_lo
	v_cmp_gt_f32_e32 vcc_lo, 0, v117
	v_cndmask_b32_e64 v130, v117, -v117, vcc_lo
	s_wait_dscnt 0x0
	v_cmp_gt_f32_e32 vcc_lo, 0, v126
	v_cndmask_b32_e64 v129, v126, -v126, vcc_lo
	v_cmp_gt_f32_e32 vcc_lo, 0, v127
	v_cndmask_b32_e64 v131, v127, -v127, vcc_lo
	s_delay_alu instid0(VALU_DEP_1) | instskip(NEXT) | instid1(VALU_DEP_1)
	v_pk_add_f32 v[128:129], v[128:129], v[130:131]
	v_cmp_lt_f32_e32 vcc_lo, v128, v129
	v_dual_cndmask_b32 v116, v116, v126 :: v_dual_add_nc_u32 v119, 8, v119
	v_cndmask_b32_e32 v117, v117, v127, vcc_lo
	v_cndmask_b32_e64 v118, v118, s0, vcc_lo
	s_add_co_i32 s0, s0, 1
	s_delay_alu instid0(SALU_CYCLE_1)
	s_cmp_lg_u32 s18, s0
	s_cbranch_scc1 .LBB108_778
.LBB108_779:
	s_wait_dscnt 0x0
	v_cmp_eq_f32_e32 vcc_lo, 0, v116
	v_cmp_eq_f32_e64 s0, 0, v117
	s_and_b32 s0, vcc_lo, s0
	s_delay_alu instid0(SALU_CYCLE_1) | instskip(NEXT) | instid1(SALU_CYCLE_1)
	s_and_saveexec_b32 s1, s0
	s_xor_b32 s0, exec_lo, s1
; %bb.780:
	v_cmp_ne_u32_e32 vcc_lo, 0, v122
	v_cndmask_b32_e32 v122, 38, v122, vcc_lo
; %bb.781:
	s_and_not1_saveexec_b32 s0, s0
	s_cbranch_execz .LBB108_787
; %bb.782:
	v_cmp_ngt_f32_e64 s1, |v116|, |v117|
	s_and_saveexec_b32 s12, s1
	s_delay_alu instid0(SALU_CYCLE_1)
	s_xor_b32 s1, exec_lo, s12
	s_cbranch_execz .LBB108_784
; %bb.783:
	v_div_scale_f32 v119, null, v117, v117, v116
	v_div_scale_f32 v127, vcc_lo, v116, v117, v116
	s_delay_alu instid0(VALU_DEP_2) | instskip(SKIP_1) | instid1(TRANS32_DEP_1)
	v_rcp_f32_e32 v125, v119
	v_nop
	v_fma_f32 v126, -v119, v125, 1.0
	s_delay_alu instid0(VALU_DEP_1) | instskip(NEXT) | instid1(VALU_DEP_1)
	v_fmac_f32_e32 v125, v126, v125
	v_mul_f32_e32 v126, v127, v125
	s_delay_alu instid0(VALU_DEP_1) | instskip(NEXT) | instid1(VALU_DEP_1)
	v_fma_f32 v128, -v119, v126, v127
	v_fmac_f32_e32 v126, v128, v125
	s_delay_alu instid0(VALU_DEP_1) | instskip(NEXT) | instid1(VALU_DEP_1)
	v_fma_f32 v119, -v119, v126, v127
	v_div_fmas_f32 v119, v119, v125, v126
	s_delay_alu instid0(VALU_DEP_1) | instskip(NEXT) | instid1(VALU_DEP_1)
	v_div_fixup_f32 v119, v119, v117, v116
	v_fmac_f32_e32 v117, v116, v119
	s_delay_alu instid0(VALU_DEP_1) | instskip(SKIP_1) | instid1(VALU_DEP_2)
	v_div_scale_f32 v116, null, v117, v117, 1.0
	v_div_scale_f32 v127, vcc_lo, 1.0, v117, 1.0
	v_rcp_f32_e32 v125, v116
	v_nop
	s_delay_alu instid0(TRANS32_DEP_1) | instskip(NEXT) | instid1(VALU_DEP_1)
	v_fma_f32 v126, -v116, v125, 1.0
	v_fmac_f32_e32 v125, v126, v125
	s_delay_alu instid0(VALU_DEP_1) | instskip(NEXT) | instid1(VALU_DEP_1)
	v_mul_f32_e32 v126, v127, v125
	v_fma_f32 v128, -v116, v126, v127
	s_delay_alu instid0(VALU_DEP_1) | instskip(NEXT) | instid1(VALU_DEP_1)
	v_fmac_f32_e32 v126, v128, v125
	v_fma_f32 v116, -v116, v126, v127
	s_delay_alu instid0(VALU_DEP_1) | instskip(NEXT) | instid1(VALU_DEP_1)
	v_div_fmas_f32 v116, v116, v125, v126
	v_div_fixup_f32 v117, v116, v117, 1.0
	s_delay_alu instid0(VALU_DEP_1)
	v_mul_f32_e32 v116, v119, v117
	v_xor_b32_e32 v117, 0x80000000, v117
.LBB108_784:
	s_and_not1_saveexec_b32 s1, s1
	s_cbranch_execz .LBB108_786
; %bb.785:
	s_delay_alu instid0(VALU_DEP_1) | instskip(SKIP_1) | instid1(VALU_DEP_2)
	v_div_scale_f32 v119, null, v116, v116, v117
	v_div_scale_f32 v127, vcc_lo, v117, v116, v117
	v_rcp_f32_e32 v125, v119
	v_nop
	s_delay_alu instid0(TRANS32_DEP_1) | instskip(NEXT) | instid1(VALU_DEP_1)
	v_fma_f32 v126, -v119, v125, 1.0
	v_fmac_f32_e32 v125, v126, v125
	s_delay_alu instid0(VALU_DEP_1) | instskip(NEXT) | instid1(VALU_DEP_1)
	v_mul_f32_e32 v126, v127, v125
	v_fma_f32 v128, -v119, v126, v127
	s_delay_alu instid0(VALU_DEP_1) | instskip(NEXT) | instid1(VALU_DEP_1)
	v_fmac_f32_e32 v126, v128, v125
	v_fma_f32 v119, -v119, v126, v127
	s_delay_alu instid0(VALU_DEP_1) | instskip(NEXT) | instid1(VALU_DEP_1)
	v_div_fmas_f32 v119, v119, v125, v126
	v_div_fixup_f32 v119, v119, v116, v117
	s_delay_alu instid0(VALU_DEP_1) | instskip(NEXT) | instid1(VALU_DEP_1)
	v_fmac_f32_e32 v116, v117, v119
	v_div_scale_f32 v117, null, v116, v116, 1.0
	s_delay_alu instid0(VALU_DEP_1) | instskip(SKIP_1) | instid1(TRANS32_DEP_1)
	v_rcp_f32_e32 v125, v117
	v_nop
	v_fma_f32 v126, -v117, v125, 1.0
	s_delay_alu instid0(VALU_DEP_1) | instskip(SKIP_1) | instid1(VALU_DEP_1)
	v_fmac_f32_e32 v125, v126, v125
	v_div_scale_f32 v126, vcc_lo, 1.0, v116, 1.0
	v_mul_f32_e32 v127, v126, v125
	s_delay_alu instid0(VALU_DEP_1) | instskip(NEXT) | instid1(VALU_DEP_1)
	v_fma_f32 v128, -v117, v127, v126
	v_fmac_f32_e32 v127, v128, v125
	s_delay_alu instid0(VALU_DEP_1) | instskip(NEXT) | instid1(VALU_DEP_1)
	v_fma_f32 v117, -v117, v127, v126
	v_div_fmas_f32 v117, v117, v125, v127
	s_delay_alu instid0(VALU_DEP_1) | instskip(NEXT) | instid1(VALU_DEP_1)
	v_div_fixup_f32 v116, v117, v116, 1.0
	v_mul_f32_e64 v117, v119, -v116
.LBB108_786:
	s_or_b32 exec_lo, exec_lo, s1
.LBB108_787:
	s_delay_alu instid0(SALU_CYCLE_1) | instskip(NEXT) | instid1(SALU_CYCLE_1)
	s_or_b32 exec_lo, exec_lo, s0
	s_mov_b32 s0, exec_lo
	v_cmpx_ne_u32_e64 v124, v118
	s_xor_b32 s0, exec_lo, s0
	s_cbranch_execz .LBB108_793
; %bb.788:
	s_mov_b32 s1, exec_lo
	v_cmpx_eq_u32_e32 37, v124
	s_cbranch_execz .LBB108_792
; %bb.789:
	v_cmp_ne_u32_e32 vcc_lo, 37, v118
	s_xor_b32 s12, s16, -1
	s_delay_alu instid0(SALU_CYCLE_1) | instskip(NEXT) | instid1(SALU_CYCLE_1)
	s_and_b32 s13, s12, vcc_lo
	s_and_saveexec_b32 s12, s13
	s_cbranch_execz .LBB108_791
; %bb.790:
	v_ashrrev_i32_e32 v119, 31, v118
	s_delay_alu instid0(VALU_DEP_1)
	v_lshl_add_u64 v[124:125], v[118:119], 2, v[4:5]
	s_clause 0x1
	global_load_b32 v119, v[124:125], off
	global_load_b32 v123, v[4:5], off offset:148
	s_wait_loadcnt 0x1
	global_store_b32 v[4:5], v119, off offset:148
	s_wait_loadcnt 0x0
	global_store_b32 v[124:125], v123, off
.LBB108_791:
	s_wait_xcnt 0x0
	s_or_b32 exec_lo, exec_lo, s12
	v_dual_mov_b32 v124, v118 :: v_dual_mov_b32 v123, v118
.LBB108_792:
	s_or_b32 exec_lo, exec_lo, s1
.LBB108_793:
	s_and_not1_saveexec_b32 s0, s0
	s_cbranch_execz .LBB108_795
; %bb.794:
	v_dual_mov_b32 v118, v18 :: v_dual_mov_b32 v119, v19
	v_dual_mov_b32 v124, v16 :: v_dual_mov_b32 v125, v17
	;; [unrolled: 1-line block ×8, first 2 shown]
	ds_store_2addr_b64 v120, v[118:119], v[124:125] offset0:38 offset1:39
	ds_store_2addr_b64 v120, v[126:127], v[128:129] offset0:40 offset1:41
	;; [unrolled: 1-line block ×4, first 2 shown]
	v_dual_mov_b32 v118, v10 :: v_dual_mov_b32 v119, v11
	v_dual_mov_b32 v126, v6 :: v_dual_mov_b32 v127, v7
	;; [unrolled: 1-line block ×8, first 2 shown]
	v_mov_b32_e32 v139, v25
	ds_store_2addr_b64 v120, v[118:119], v[126:127] offset0:46 offset1:47
	ds_store_2addr_b64 v120, v[128:129], v[130:131] offset0:48 offset1:49
	ds_store_2addr_b64 v120, v[132:133], v[134:135] offset0:50 offset1:51
	ds_store_2addr_b64 v120, v[136:137], v[138:139] offset0:52 offset1:53
	ds_store_b64 v120, v[114:115] offset:432
.LBB108_795:
	s_or_b32 exec_lo, exec_lo, s0
	s_delay_alu instid0(SALU_CYCLE_1)
	s_mov_b32 s0, exec_lo
	s_wait_storecnt_dscnt 0x0
	s_barrier_signal -1
	s_barrier_wait -1
	v_cmpx_lt_i32_e32 37, v124
	s_cbranch_execz .LBB108_797
; %bb.796:
	v_pk_mul_f32 v[126:127], v[116:117], v[70:71] op_sel:[1,1] op_sel_hi:[0,1]
	s_delay_alu instid0(VALU_DEP_1)
	v_pk_fma_f32 v[118:119], v[116:117], v[70:71], v[126:127] op_sel_hi:[1,0,1] neg_lo:[0,0,1] neg_hi:[0,0,1]
	v_pk_fma_f32 v[116:117], v[116:117], v[70:71], v[126:127] op_sel_hi:[1,0,1]
	ds_load_2addr_b64 v[126:129], v120 offset0:38 offset1:39
	v_dual_mov_b32 v70, v118 :: v_dual_mov_b32 v71, v117
	s_wait_dscnt 0x0
	v_pk_mul_f32 v[130:131], v[126:127], v[116:117] op_sel:[0,1]
	s_delay_alu instid0(VALU_DEP_1) | instskip(SKIP_1) | instid1(VALU_DEP_1)
	v_pk_fma_f32 v[132:133], v[126:127], v[118:119], v[130:131] op_sel:[0,0,1] op_sel_hi:[1,1,0] neg_lo:[0,0,1] neg_hi:[0,0,1]
	v_pk_fma_f32 v[126:127], v[126:127], v[118:119], v[130:131] op_sel:[0,0,1] op_sel_hi:[1,0,0]
	v_mov_b32_e32 v133, v127
	v_pk_mul_f32 v[126:127], v[128:129], v[116:117] op_sel:[0,1]
	s_delay_alu instid0(VALU_DEP_1) | instskip(SKIP_1) | instid1(VALU_DEP_1)
	v_pk_fma_f32 v[130:131], v[128:129], v[118:119], v[126:127] op_sel:[0,0,1] op_sel_hi:[1,1,0] neg_lo:[0,0,1] neg_hi:[0,0,1]
	v_pk_fma_f32 v[126:127], v[128:129], v[118:119], v[126:127] op_sel:[0,0,1] op_sel_hi:[1,0,0]
	v_mov_b32_e32 v131, v127
	ds_load_2addr_b64 v[126:129], v120 offset0:40 offset1:41
	v_pk_add_f32 v[18:19], v[18:19], v[132:133] neg_lo:[0,1] neg_hi:[0,1]
	v_pk_add_f32 v[16:17], v[16:17], v[130:131] neg_lo:[0,1] neg_hi:[0,1]
	s_wait_dscnt 0x0
	v_pk_mul_f32 v[130:131], v[126:127], v[116:117] op_sel:[0,1]
	s_delay_alu instid0(VALU_DEP_1) | instskip(SKIP_2) | instid1(VALU_DEP_2)
	v_pk_fma_f32 v[132:133], v[126:127], v[118:119], v[130:131] op_sel:[0,0,1] op_sel_hi:[1,1,0] neg_lo:[0,0,1] neg_hi:[0,0,1]
	v_pk_fma_f32 v[126:127], v[126:127], v[118:119], v[130:131] op_sel:[0,0,1] op_sel_hi:[1,0,0]
	v_dual_mul_f32 v130, v129, v117 :: v_dual_mov_b32 v126, v129
	v_dual_mov_b32 v133, v127 :: v_dual_mov_b32 v127, v128
	s_delay_alu instid0(VALU_DEP_2) | instskip(SKIP_1) | instid1(VALU_DEP_3)
	v_pk_fma_f32 v[130:131], v[128:129], v[70:71], v[130:131] op_sel_hi:[1,1,0] neg_lo:[0,0,1] neg_hi:[0,0,1]
	v_mul_f32_e32 v128, v129, v118
	v_pk_add_f32 v[68:69], v[68:69], v[132:133] neg_lo:[0,1] neg_hi:[0,1]
	s_delay_alu instid0(VALU_DEP_2) | instskip(NEXT) | instid1(VALU_DEP_1)
	v_pk_fma_f32 v[126:127], v[126:127], v[70:71], v[128:129] op_sel_hi:[1,1,0]
	v_mov_b32_e32 v131, v127
	ds_load_2addr_b64 v[126:129], v120 offset0:42 offset1:43
	v_pk_add_f32 v[66:67], v[66:67], v[130:131] neg_lo:[0,1] neg_hi:[0,1]
	s_wait_dscnt 0x0
	v_pk_mul_f32 v[130:131], v[126:127], v[116:117] op_sel:[0,1]
	s_delay_alu instid0(VALU_DEP_1) | instskip(SKIP_1) | instid1(VALU_DEP_1)
	v_pk_fma_f32 v[132:133], v[126:127], v[118:119], v[130:131] op_sel:[0,0,1] op_sel_hi:[1,1,0] neg_lo:[0,0,1] neg_hi:[0,0,1]
	v_pk_fma_f32 v[126:127], v[126:127], v[118:119], v[130:131] op_sel:[0,0,1] op_sel_hi:[1,0,0]
	v_mov_b32_e32 v133, v127
	v_pk_mul_f32 v[126:127], v[128:129], v[116:117] op_sel:[0,1]
	s_delay_alu instid0(VALU_DEP_1) | instskip(SKIP_1) | instid1(VALU_DEP_1)
	v_pk_fma_f32 v[130:131], v[128:129], v[118:119], v[126:127] op_sel:[0,0,1] op_sel_hi:[1,1,0] neg_lo:[0,0,1] neg_hi:[0,0,1]
	v_pk_fma_f32 v[126:127], v[128:129], v[118:119], v[126:127] op_sel:[0,0,1] op_sel_hi:[1,0,0]
	v_mov_b32_e32 v131, v127
	ds_load_2addr_b64 v[126:129], v120 offset0:44 offset1:45
	v_pk_add_f32 v[14:15], v[14:15], v[132:133] neg_lo:[0,1] neg_hi:[0,1]
	v_pk_add_f32 v[12:13], v[12:13], v[130:131] neg_lo:[0,1] neg_hi:[0,1]
	s_wait_dscnt 0x0
	v_pk_mul_f32 v[130:131], v[126:127], v[116:117] op_sel:[0,1]
	s_delay_alu instid0(VALU_DEP_1) | instskip(SKIP_1) | instid1(VALU_DEP_1)
	v_pk_fma_f32 v[132:133], v[126:127], v[118:119], v[130:131] op_sel:[0,0,1] op_sel_hi:[1,1,0] neg_lo:[0,0,1] neg_hi:[0,0,1]
	v_pk_fma_f32 v[126:127], v[126:127], v[118:119], v[130:131] op_sel:[0,0,1] op_sel_hi:[1,0,0]
	v_mov_b32_e32 v133, v127
	v_pk_mul_f32 v[126:127], v[128:129], v[116:117] op_sel:[0,1]
	s_delay_alu instid0(VALU_DEP_1) | instskip(SKIP_1) | instid1(VALU_DEP_1)
	v_pk_fma_f32 v[130:131], v[128:129], v[118:119], v[126:127] op_sel:[0,0,1] op_sel_hi:[1,1,0] neg_lo:[0,0,1] neg_hi:[0,0,1]
	v_pk_fma_f32 v[126:127], v[128:129], v[118:119], v[126:127] op_sel:[0,0,1] op_sel_hi:[1,0,0]
	v_mov_b32_e32 v131, v127
	ds_load_2addr_b64 v[126:129], v120 offset0:46 offset1:47
	v_pk_add_f32 v[64:65], v[64:65], v[132:133] neg_lo:[0,1] neg_hi:[0,1]
	v_pk_add_f32 v[62:63], v[62:63], v[130:131] neg_lo:[0,1] neg_hi:[0,1]
	s_wait_dscnt 0x0
	v_dual_mul_f32 v130, v127, v117 :: v_dual_mul_f32 v132, v127, v118
	s_delay_alu instid0(VALU_DEP_1) | instskip(NEXT) | instid1(VALU_DEP_2)
	v_pk_fma_f32 v[130:131], v[126:127], v[70:71], v[130:131] op_sel_hi:[1,1,0] neg_lo:[0,0,1] neg_hi:[0,0,1]
	v_pk_fma_f32 v[126:127], v[126:127], v[70:71], v[132:133] op_sel:[1,0,0] op_sel_hi:[0,1,0]
	s_delay_alu instid0(VALU_DEP_1) | instskip(SKIP_1) | instid1(VALU_DEP_2)
	v_mov_b32_e32 v131, v127
	v_pk_mul_f32 v[126:127], v[128:129], v[116:117] op_sel:[0,1]
	v_pk_add_f32 v[10:11], v[10:11], v[130:131] neg_lo:[0,1] neg_hi:[0,1]
	s_delay_alu instid0(VALU_DEP_2) | instskip(SKIP_1) | instid1(VALU_DEP_1)
	v_pk_fma_f32 v[130:131], v[128:129], v[118:119], v[126:127] op_sel:[0,0,1] op_sel_hi:[1,1,0] neg_lo:[0,0,1] neg_hi:[0,0,1]
	v_pk_fma_f32 v[126:127], v[128:129], v[118:119], v[126:127] op_sel:[0,0,1] op_sel_hi:[1,0,0]
	v_mov_b32_e32 v131, v127
	ds_load_2addr_b64 v[126:129], v120 offset0:48 offset1:49
	v_pk_add_f32 v[6:7], v[6:7], v[130:131] neg_lo:[0,1] neg_hi:[0,1]
	s_wait_dscnt 0x0
	v_pk_mul_f32 v[130:131], v[126:127], v[116:117] op_sel:[0,1]
	s_delay_alu instid0(VALU_DEP_1) | instskip(SKIP_1) | instid1(VALU_DEP_1)
	v_pk_fma_f32 v[132:133], v[126:127], v[118:119], v[130:131] op_sel:[0,0,1] op_sel_hi:[1,1,0] neg_lo:[0,0,1] neg_hi:[0,0,1]
	v_pk_fma_f32 v[126:127], v[126:127], v[118:119], v[130:131] op_sel:[0,0,1] op_sel_hi:[1,0,0]
	v_mov_b32_e32 v133, v127
	v_pk_mul_f32 v[126:127], v[128:129], v[116:117] op_sel:[0,1]
	s_delay_alu instid0(VALU_DEP_2) | instskip(NEXT) | instid1(VALU_DEP_2)
	v_pk_add_f32 v[52:53], v[52:53], v[132:133] neg_lo:[0,1] neg_hi:[0,1]
	v_pk_fma_f32 v[130:131], v[128:129], v[118:119], v[126:127] op_sel:[0,0,1] op_sel_hi:[1,1,0] neg_lo:[0,0,1] neg_hi:[0,0,1]
	v_pk_fma_f32 v[126:127], v[128:129], v[118:119], v[126:127] op_sel:[0,0,1] op_sel_hi:[1,0,0]
	s_delay_alu instid0(VALU_DEP_1) | instskip(SKIP_4) | instid1(VALU_DEP_1)
	v_mov_b32_e32 v131, v127
	ds_load_2addr_b64 v[126:129], v120 offset0:50 offset1:51
	v_pk_add_f32 v[50:51], v[50:51], v[130:131] neg_lo:[0,1] neg_hi:[0,1]
	s_wait_dscnt 0x0
	v_pk_mul_f32 v[130:131], v[126:127], v[116:117] op_sel:[0,1]
	v_pk_fma_f32 v[132:133], v[126:127], v[118:119], v[130:131] op_sel:[0,0,1] op_sel_hi:[1,1,0] neg_lo:[0,0,1] neg_hi:[0,0,1]
	v_pk_fma_f32 v[126:127], v[126:127], v[118:119], v[130:131] op_sel:[0,0,1] op_sel_hi:[1,0,0]
	v_dual_mul_f32 v130, v129, v117 :: v_dual_mov_b32 v126, v129
	s_delay_alu instid0(VALU_DEP_2) | instskip(NEXT) | instid1(VALU_DEP_2)
	v_dual_mov_b32 v133, v127 :: v_dual_mov_b32 v127, v128
	v_pk_fma_f32 v[130:131], v[128:129], v[70:71], v[130:131] op_sel_hi:[1,1,0] neg_lo:[0,0,1] neg_hi:[0,0,1]
	v_mul_f32_e32 v128, v129, v118
	s_delay_alu instid0(VALU_DEP_3) | instskip(NEXT) | instid1(VALU_DEP_2)
	v_pk_add_f32 v[8:9], v[8:9], v[132:133] neg_lo:[0,1] neg_hi:[0,1]
	v_pk_fma_f32 v[126:127], v[126:127], v[70:71], v[128:129] op_sel_hi:[1,1,0]
	s_delay_alu instid0(VALU_DEP_1) | instskip(SKIP_4) | instid1(VALU_DEP_1)
	v_mov_b32_e32 v131, v127
	ds_load_2addr_b64 v[126:129], v120 offset0:52 offset1:53
	v_pk_add_f32 v[30:31], v[30:31], v[130:131] neg_lo:[0,1] neg_hi:[0,1]
	s_wait_dscnt 0x0
	v_pk_mul_f32 v[130:131], v[126:127], v[116:117] op_sel:[0,1]
	v_pk_fma_f32 v[132:133], v[126:127], v[118:119], v[130:131] op_sel:[0,0,1] op_sel_hi:[1,1,0] neg_lo:[0,0,1] neg_hi:[0,0,1]
	v_pk_fma_f32 v[126:127], v[126:127], v[118:119], v[130:131] op_sel:[0,0,1] op_sel_hi:[1,0,0]
	s_delay_alu instid0(VALU_DEP_1) | instskip(SKIP_1) | instid1(VALU_DEP_1)
	v_mov_b32_e32 v133, v127
	v_pk_mul_f32 v[126:127], v[128:129], v[116:117] op_sel:[0,1]
	v_pk_fma_f32 v[130:131], v[128:129], v[118:119], v[126:127] op_sel:[0,0,1] op_sel_hi:[1,1,0] neg_lo:[0,0,1] neg_hi:[0,0,1]
	v_pk_fma_f32 v[126:127], v[128:129], v[118:119], v[126:127] op_sel:[0,0,1] op_sel_hi:[1,0,0]
	s_delay_alu instid0(VALU_DEP_1)
	v_mov_b32_e32 v131, v127
	ds_load_b64 v[126:127], v120 offset:432
	v_pk_add_f32 v[34:35], v[34:35], v[132:133] neg_lo:[0,1] neg_hi:[0,1]
	v_pk_add_f32 v[24:25], v[24:25], v[130:131] neg_lo:[0,1] neg_hi:[0,1]
	s_wait_dscnt 0x0
	v_pk_mul_f32 v[116:117], v[126:127], v[116:117] op_sel:[0,1]
	s_delay_alu instid0(VALU_DEP_1) | instskip(SKIP_1) | instid1(VALU_DEP_1)
	v_pk_fma_f32 v[128:129], v[126:127], v[118:119], v[116:117] op_sel:[0,0,1] op_sel_hi:[1,1,0] neg_lo:[0,0,1] neg_hi:[0,0,1]
	v_pk_fma_f32 v[116:117], v[126:127], v[118:119], v[116:117] op_sel:[0,0,1] op_sel_hi:[1,0,0]
	v_mov_b32_e32 v129, v117
	s_delay_alu instid0(VALU_DEP_1)
	v_pk_add_f32 v[114:115], v[114:115], v[128:129] neg_lo:[0,1] neg_hi:[0,1]
.LBB108_797:
	s_or_b32 exec_lo, exec_lo, s0
	v_lshl_add_u32 v116, v124, 3, v120
	s_barrier_signal -1
	s_barrier_wait -1
	ds_store_b64 v116, v[18:19]
	s_wait_dscnt 0x0
	s_barrier_signal -1
	s_barrier_wait -1
	ds_load_b64 v[116:117], v120 offset:304
	v_mov_b32_e32 v118, 38
	s_cmp_lt_i32 s18, 40
	s_cbranch_scc1 .LBB108_800
; %bb.798:
	v_add3_u32 v119, v121, 0, 0x138
	v_mov_b32_e32 v118, 38
	s_mov_b32 s0, 39
.LBB108_799:                            ; =>This Inner Loop Header: Depth=1
	ds_load_b64 v[126:127], v119
	s_wait_dscnt 0x1
	v_cmp_gt_f32_e32 vcc_lo, 0, v116
	v_cndmask_b32_e64 v128, v116, -v116, vcc_lo
	v_cmp_gt_f32_e32 vcc_lo, 0, v117
	v_cndmask_b32_e64 v130, v117, -v117, vcc_lo
	s_wait_dscnt 0x0
	v_cmp_gt_f32_e32 vcc_lo, 0, v126
	v_cndmask_b32_e64 v129, v126, -v126, vcc_lo
	v_cmp_gt_f32_e32 vcc_lo, 0, v127
	v_cndmask_b32_e64 v131, v127, -v127, vcc_lo
	s_delay_alu instid0(VALU_DEP_1) | instskip(NEXT) | instid1(VALU_DEP_1)
	v_pk_add_f32 v[128:129], v[128:129], v[130:131]
	v_cmp_lt_f32_e32 vcc_lo, v128, v129
	v_dual_cndmask_b32 v116, v116, v126 :: v_dual_add_nc_u32 v119, 8, v119
	v_cndmask_b32_e32 v117, v117, v127, vcc_lo
	v_cndmask_b32_e64 v118, v118, s0, vcc_lo
	s_add_co_i32 s0, s0, 1
	s_delay_alu instid0(SALU_CYCLE_1)
	s_cmp_lg_u32 s18, s0
	s_cbranch_scc1 .LBB108_799
.LBB108_800:
	s_wait_dscnt 0x0
	v_cmp_eq_f32_e32 vcc_lo, 0, v116
	v_cmp_eq_f32_e64 s0, 0, v117
	s_and_b32 s0, vcc_lo, s0
	s_delay_alu instid0(SALU_CYCLE_1) | instskip(NEXT) | instid1(SALU_CYCLE_1)
	s_and_saveexec_b32 s1, s0
	s_xor_b32 s0, exec_lo, s1
; %bb.801:
	v_cmp_ne_u32_e32 vcc_lo, 0, v122
	v_cndmask_b32_e32 v122, 39, v122, vcc_lo
; %bb.802:
	s_and_not1_saveexec_b32 s0, s0
	s_cbranch_execz .LBB108_808
; %bb.803:
	v_cmp_ngt_f32_e64 s1, |v116|, |v117|
	s_and_saveexec_b32 s12, s1
	s_delay_alu instid0(SALU_CYCLE_1)
	s_xor_b32 s1, exec_lo, s12
	s_cbranch_execz .LBB108_805
; %bb.804:
	v_div_scale_f32 v119, null, v117, v117, v116
	v_div_scale_f32 v127, vcc_lo, v116, v117, v116
	s_delay_alu instid0(VALU_DEP_2) | instskip(SKIP_1) | instid1(TRANS32_DEP_1)
	v_rcp_f32_e32 v125, v119
	v_nop
	v_fma_f32 v126, -v119, v125, 1.0
	s_delay_alu instid0(VALU_DEP_1) | instskip(NEXT) | instid1(VALU_DEP_1)
	v_fmac_f32_e32 v125, v126, v125
	v_mul_f32_e32 v126, v127, v125
	s_delay_alu instid0(VALU_DEP_1) | instskip(NEXT) | instid1(VALU_DEP_1)
	v_fma_f32 v128, -v119, v126, v127
	v_fmac_f32_e32 v126, v128, v125
	s_delay_alu instid0(VALU_DEP_1) | instskip(NEXT) | instid1(VALU_DEP_1)
	v_fma_f32 v119, -v119, v126, v127
	v_div_fmas_f32 v119, v119, v125, v126
	s_delay_alu instid0(VALU_DEP_1) | instskip(NEXT) | instid1(VALU_DEP_1)
	v_div_fixup_f32 v119, v119, v117, v116
	v_fmac_f32_e32 v117, v116, v119
	s_delay_alu instid0(VALU_DEP_1) | instskip(SKIP_1) | instid1(VALU_DEP_2)
	v_div_scale_f32 v116, null, v117, v117, 1.0
	v_div_scale_f32 v127, vcc_lo, 1.0, v117, 1.0
	v_rcp_f32_e32 v125, v116
	v_nop
	s_delay_alu instid0(TRANS32_DEP_1) | instskip(NEXT) | instid1(VALU_DEP_1)
	v_fma_f32 v126, -v116, v125, 1.0
	v_fmac_f32_e32 v125, v126, v125
	s_delay_alu instid0(VALU_DEP_1) | instskip(NEXT) | instid1(VALU_DEP_1)
	v_mul_f32_e32 v126, v127, v125
	v_fma_f32 v128, -v116, v126, v127
	s_delay_alu instid0(VALU_DEP_1) | instskip(NEXT) | instid1(VALU_DEP_1)
	v_fmac_f32_e32 v126, v128, v125
	v_fma_f32 v116, -v116, v126, v127
	s_delay_alu instid0(VALU_DEP_1) | instskip(NEXT) | instid1(VALU_DEP_1)
	v_div_fmas_f32 v116, v116, v125, v126
	v_div_fixup_f32 v117, v116, v117, 1.0
	s_delay_alu instid0(VALU_DEP_1)
	v_mul_f32_e32 v116, v119, v117
	v_xor_b32_e32 v117, 0x80000000, v117
.LBB108_805:
	s_and_not1_saveexec_b32 s1, s1
	s_cbranch_execz .LBB108_807
; %bb.806:
	s_delay_alu instid0(VALU_DEP_1) | instskip(SKIP_1) | instid1(VALU_DEP_2)
	v_div_scale_f32 v119, null, v116, v116, v117
	v_div_scale_f32 v127, vcc_lo, v117, v116, v117
	v_rcp_f32_e32 v125, v119
	v_nop
	s_delay_alu instid0(TRANS32_DEP_1) | instskip(NEXT) | instid1(VALU_DEP_1)
	v_fma_f32 v126, -v119, v125, 1.0
	v_fmac_f32_e32 v125, v126, v125
	s_delay_alu instid0(VALU_DEP_1) | instskip(NEXT) | instid1(VALU_DEP_1)
	v_mul_f32_e32 v126, v127, v125
	v_fma_f32 v128, -v119, v126, v127
	s_delay_alu instid0(VALU_DEP_1) | instskip(NEXT) | instid1(VALU_DEP_1)
	v_fmac_f32_e32 v126, v128, v125
	v_fma_f32 v119, -v119, v126, v127
	s_delay_alu instid0(VALU_DEP_1) | instskip(NEXT) | instid1(VALU_DEP_1)
	v_div_fmas_f32 v119, v119, v125, v126
	v_div_fixup_f32 v119, v119, v116, v117
	s_delay_alu instid0(VALU_DEP_1) | instskip(NEXT) | instid1(VALU_DEP_1)
	v_fmac_f32_e32 v116, v117, v119
	v_div_scale_f32 v117, null, v116, v116, 1.0
	s_delay_alu instid0(VALU_DEP_1) | instskip(SKIP_1) | instid1(TRANS32_DEP_1)
	v_rcp_f32_e32 v125, v117
	v_nop
	v_fma_f32 v126, -v117, v125, 1.0
	s_delay_alu instid0(VALU_DEP_1) | instskip(SKIP_1) | instid1(VALU_DEP_1)
	v_fmac_f32_e32 v125, v126, v125
	v_div_scale_f32 v126, vcc_lo, 1.0, v116, 1.0
	v_mul_f32_e32 v127, v126, v125
	s_delay_alu instid0(VALU_DEP_1) | instskip(NEXT) | instid1(VALU_DEP_1)
	v_fma_f32 v128, -v117, v127, v126
	v_fmac_f32_e32 v127, v128, v125
	s_delay_alu instid0(VALU_DEP_1) | instskip(NEXT) | instid1(VALU_DEP_1)
	v_fma_f32 v117, -v117, v127, v126
	v_div_fmas_f32 v117, v117, v125, v127
	s_delay_alu instid0(VALU_DEP_1) | instskip(NEXT) | instid1(VALU_DEP_1)
	v_div_fixup_f32 v116, v117, v116, 1.0
	v_mul_f32_e64 v117, v119, -v116
.LBB108_807:
	s_or_b32 exec_lo, exec_lo, s1
.LBB108_808:
	s_delay_alu instid0(SALU_CYCLE_1) | instskip(NEXT) | instid1(SALU_CYCLE_1)
	s_or_b32 exec_lo, exec_lo, s0
	s_mov_b32 s0, exec_lo
	v_cmpx_ne_u32_e64 v124, v118
	s_xor_b32 s0, exec_lo, s0
	s_cbranch_execz .LBB108_814
; %bb.809:
	s_mov_b32 s1, exec_lo
	v_cmpx_eq_u32_e32 38, v124
	s_cbranch_execz .LBB108_813
; %bb.810:
	v_cmp_ne_u32_e32 vcc_lo, 38, v118
	s_xor_b32 s12, s16, -1
	s_delay_alu instid0(SALU_CYCLE_1) | instskip(NEXT) | instid1(SALU_CYCLE_1)
	s_and_b32 s13, s12, vcc_lo
	s_and_saveexec_b32 s12, s13
	s_cbranch_execz .LBB108_812
; %bb.811:
	v_ashrrev_i32_e32 v119, 31, v118
	s_delay_alu instid0(VALU_DEP_1)
	v_lshl_add_u64 v[124:125], v[118:119], 2, v[4:5]
	s_clause 0x1
	global_load_b32 v119, v[124:125], off
	global_load_b32 v123, v[4:5], off offset:152
	s_wait_loadcnt 0x1
	global_store_b32 v[4:5], v119, off offset:152
	s_wait_loadcnt 0x0
	global_store_b32 v[124:125], v123, off
.LBB108_812:
	s_wait_xcnt 0x0
	s_or_b32 exec_lo, exec_lo, s12
	v_dual_mov_b32 v124, v118 :: v_dual_mov_b32 v123, v118
.LBB108_813:
	s_or_b32 exec_lo, exec_lo, s1
.LBB108_814:
	s_and_not1_saveexec_b32 s0, s0
	s_cbranch_execz .LBB108_816
; %bb.815:
	v_mov_b32_e32 v124, 38
	ds_store_2addr_b64 v120, v[16:17], v[68:69] offset0:39 offset1:40
	ds_store_2addr_b64 v120, v[66:67], v[14:15] offset0:41 offset1:42
	;; [unrolled: 1-line block ×8, first 2 shown]
.LBB108_816:
	s_or_b32 exec_lo, exec_lo, s0
	s_delay_alu instid0(SALU_CYCLE_1)
	s_mov_b32 s0, exec_lo
	s_wait_storecnt_dscnt 0x0
	s_barrier_signal -1
	s_barrier_wait -1
	v_cmpx_lt_i32_e32 38, v124
	s_cbranch_execz .LBB108_818
; %bb.817:
	v_pk_mul_f32 v[126:127], v[116:117], v[18:19] op_sel:[1,1] op_sel_hi:[0,1]
	s_delay_alu instid0(VALU_DEP_1)
	v_pk_fma_f32 v[118:119], v[116:117], v[18:19], v[126:127] op_sel_hi:[1,0,1] neg_lo:[0,0,1] neg_hi:[0,0,1]
	v_pk_fma_f32 v[116:117], v[116:117], v[18:19], v[126:127] op_sel_hi:[1,0,1]
	ds_load_2addr_b64 v[126:129], v120 offset0:39 offset1:40
	v_dual_mov_b32 v18, v118 :: v_dual_mov_b32 v19, v117
	s_wait_dscnt 0x0
	v_pk_mul_f32 v[130:131], v[126:127], v[116:117] op_sel:[0,1]
	s_delay_alu instid0(VALU_DEP_1) | instskip(SKIP_1) | instid1(VALU_DEP_1)
	v_pk_fma_f32 v[132:133], v[126:127], v[118:119], v[130:131] op_sel:[0,0,1] op_sel_hi:[1,1,0] neg_lo:[0,0,1] neg_hi:[0,0,1]
	v_pk_fma_f32 v[126:127], v[126:127], v[118:119], v[130:131] op_sel:[0,0,1] op_sel_hi:[1,0,0]
	v_mov_b32_e32 v133, v127
	v_pk_mul_f32 v[126:127], v[128:129], v[116:117] op_sel:[0,1]
	s_delay_alu instid0(VALU_DEP_1) | instskip(SKIP_1) | instid1(VALU_DEP_1)
	v_pk_fma_f32 v[130:131], v[128:129], v[118:119], v[126:127] op_sel:[0,0,1] op_sel_hi:[1,1,0] neg_lo:[0,0,1] neg_hi:[0,0,1]
	v_pk_fma_f32 v[126:127], v[128:129], v[118:119], v[126:127] op_sel:[0,0,1] op_sel_hi:[1,0,0]
	v_mov_b32_e32 v131, v127
	ds_load_2addr_b64 v[126:129], v120 offset0:41 offset1:42
	v_pk_add_f32 v[16:17], v[16:17], v[132:133] neg_lo:[0,1] neg_hi:[0,1]
	v_pk_add_f32 v[68:69], v[68:69], v[130:131] neg_lo:[0,1] neg_hi:[0,1]
	s_wait_dscnt 0x0
	v_pk_mul_f32 v[130:131], v[126:127], v[116:117] op_sel:[0,1]
	s_delay_alu instid0(VALU_DEP_1) | instskip(SKIP_2) | instid1(VALU_DEP_2)
	v_pk_fma_f32 v[132:133], v[126:127], v[118:119], v[130:131] op_sel:[0,0,1] op_sel_hi:[1,1,0] neg_lo:[0,0,1] neg_hi:[0,0,1]
	v_pk_fma_f32 v[126:127], v[126:127], v[118:119], v[130:131] op_sel:[0,0,1] op_sel_hi:[1,0,0]
	v_dual_mul_f32 v130, v129, v117 :: v_dual_mov_b32 v126, v129
	v_dual_mov_b32 v133, v127 :: v_dual_mov_b32 v127, v128
	s_delay_alu instid0(VALU_DEP_2) | instskip(SKIP_1) | instid1(VALU_DEP_3)
	v_pk_fma_f32 v[130:131], v[128:129], v[18:19], v[130:131] op_sel_hi:[1,1,0] neg_lo:[0,0,1] neg_hi:[0,0,1]
	v_mul_f32_e32 v128, v129, v118
	v_pk_add_f32 v[66:67], v[66:67], v[132:133] neg_lo:[0,1] neg_hi:[0,1]
	s_delay_alu instid0(VALU_DEP_2) | instskip(NEXT) | instid1(VALU_DEP_1)
	v_pk_fma_f32 v[126:127], v[126:127], v[18:19], v[128:129] op_sel_hi:[1,1,0]
	v_mov_b32_e32 v131, v127
	ds_load_2addr_b64 v[126:129], v120 offset0:43 offset1:44
	v_pk_add_f32 v[14:15], v[14:15], v[130:131] neg_lo:[0,1] neg_hi:[0,1]
	s_wait_dscnt 0x0
	v_pk_mul_f32 v[130:131], v[126:127], v[116:117] op_sel:[0,1]
	s_delay_alu instid0(VALU_DEP_1) | instskip(SKIP_1) | instid1(VALU_DEP_1)
	v_pk_fma_f32 v[132:133], v[126:127], v[118:119], v[130:131] op_sel:[0,0,1] op_sel_hi:[1,1,0] neg_lo:[0,0,1] neg_hi:[0,0,1]
	v_pk_fma_f32 v[126:127], v[126:127], v[118:119], v[130:131] op_sel:[0,0,1] op_sel_hi:[1,0,0]
	v_mov_b32_e32 v133, v127
	v_pk_mul_f32 v[126:127], v[128:129], v[116:117] op_sel:[0,1]
	s_delay_alu instid0(VALU_DEP_1) | instskip(SKIP_1) | instid1(VALU_DEP_1)
	v_pk_fma_f32 v[130:131], v[128:129], v[118:119], v[126:127] op_sel:[0,0,1] op_sel_hi:[1,1,0] neg_lo:[0,0,1] neg_hi:[0,0,1]
	v_pk_fma_f32 v[126:127], v[128:129], v[118:119], v[126:127] op_sel:[0,0,1] op_sel_hi:[1,0,0]
	v_mov_b32_e32 v131, v127
	ds_load_2addr_b64 v[126:129], v120 offset0:45 offset1:46
	v_pk_add_f32 v[12:13], v[12:13], v[132:133] neg_lo:[0,1] neg_hi:[0,1]
	v_pk_add_f32 v[64:65], v[64:65], v[130:131] neg_lo:[0,1] neg_hi:[0,1]
	s_wait_dscnt 0x0
	v_pk_mul_f32 v[130:131], v[126:127], v[116:117] op_sel:[0,1]
	s_delay_alu instid0(VALU_DEP_1) | instskip(SKIP_1) | instid1(VALU_DEP_1)
	v_pk_fma_f32 v[132:133], v[126:127], v[118:119], v[130:131] op_sel:[0,0,1] op_sel_hi:[1,1,0] neg_lo:[0,0,1] neg_hi:[0,0,1]
	v_pk_fma_f32 v[126:127], v[126:127], v[118:119], v[130:131] op_sel:[0,0,1] op_sel_hi:[1,0,0]
	v_mov_b32_e32 v133, v127
	v_pk_mul_f32 v[126:127], v[128:129], v[116:117] op_sel:[0,1]
	s_delay_alu instid0(VALU_DEP_1) | instskip(SKIP_1) | instid1(VALU_DEP_1)
	v_pk_fma_f32 v[130:131], v[128:129], v[118:119], v[126:127] op_sel:[0,0,1] op_sel_hi:[1,1,0] neg_lo:[0,0,1] neg_hi:[0,0,1]
	v_pk_fma_f32 v[126:127], v[128:129], v[118:119], v[126:127] op_sel:[0,0,1] op_sel_hi:[1,0,0]
	v_mov_b32_e32 v131, v127
	ds_load_2addr_b64 v[126:129], v120 offset0:47 offset1:48
	v_pk_add_f32 v[62:63], v[62:63], v[132:133] neg_lo:[0,1] neg_hi:[0,1]
	v_pk_add_f32 v[10:11], v[10:11], v[130:131] neg_lo:[0,1] neg_hi:[0,1]
	s_wait_dscnt 0x0
	v_dual_mul_f32 v130, v127, v117 :: v_dual_mul_f32 v132, v127, v118
	s_delay_alu instid0(VALU_DEP_1) | instskip(NEXT) | instid1(VALU_DEP_2)
	v_pk_fma_f32 v[130:131], v[126:127], v[18:19], v[130:131] op_sel_hi:[1,1,0] neg_lo:[0,0,1] neg_hi:[0,0,1]
	v_pk_fma_f32 v[126:127], v[126:127], v[18:19], v[132:133] op_sel:[1,0,0] op_sel_hi:[0,1,0]
	s_delay_alu instid0(VALU_DEP_1) | instskip(SKIP_1) | instid1(VALU_DEP_2)
	v_mov_b32_e32 v131, v127
	v_pk_mul_f32 v[126:127], v[128:129], v[116:117] op_sel:[0,1]
	v_pk_add_f32 v[6:7], v[6:7], v[130:131] neg_lo:[0,1] neg_hi:[0,1]
	s_delay_alu instid0(VALU_DEP_2) | instskip(SKIP_1) | instid1(VALU_DEP_1)
	v_pk_fma_f32 v[130:131], v[128:129], v[118:119], v[126:127] op_sel:[0,0,1] op_sel_hi:[1,1,0] neg_lo:[0,0,1] neg_hi:[0,0,1]
	v_pk_fma_f32 v[126:127], v[128:129], v[118:119], v[126:127] op_sel:[0,0,1] op_sel_hi:[1,0,0]
	v_mov_b32_e32 v131, v127
	ds_load_2addr_b64 v[126:129], v120 offset0:49 offset1:50
	v_pk_add_f32 v[52:53], v[52:53], v[130:131] neg_lo:[0,1] neg_hi:[0,1]
	s_wait_dscnt 0x0
	v_pk_mul_f32 v[130:131], v[126:127], v[116:117] op_sel:[0,1]
	s_delay_alu instid0(VALU_DEP_1) | instskip(SKIP_1) | instid1(VALU_DEP_1)
	v_pk_fma_f32 v[132:133], v[126:127], v[118:119], v[130:131] op_sel:[0,0,1] op_sel_hi:[1,1,0] neg_lo:[0,0,1] neg_hi:[0,0,1]
	v_pk_fma_f32 v[126:127], v[126:127], v[118:119], v[130:131] op_sel:[0,0,1] op_sel_hi:[1,0,0]
	v_mov_b32_e32 v133, v127
	v_pk_mul_f32 v[126:127], v[128:129], v[116:117] op_sel:[0,1]
	s_delay_alu instid0(VALU_DEP_2) | instskip(NEXT) | instid1(VALU_DEP_2)
	v_pk_add_f32 v[50:51], v[50:51], v[132:133] neg_lo:[0,1] neg_hi:[0,1]
	v_pk_fma_f32 v[130:131], v[128:129], v[118:119], v[126:127] op_sel:[0,0,1] op_sel_hi:[1,1,0] neg_lo:[0,0,1] neg_hi:[0,0,1]
	v_pk_fma_f32 v[126:127], v[128:129], v[118:119], v[126:127] op_sel:[0,0,1] op_sel_hi:[1,0,0]
	s_delay_alu instid0(VALU_DEP_1) | instskip(SKIP_4) | instid1(VALU_DEP_1)
	v_mov_b32_e32 v131, v127
	ds_load_2addr_b64 v[126:129], v120 offset0:51 offset1:52
	v_pk_add_f32 v[8:9], v[8:9], v[130:131] neg_lo:[0,1] neg_hi:[0,1]
	s_wait_dscnt 0x0
	v_pk_mul_f32 v[130:131], v[126:127], v[116:117] op_sel:[0,1]
	v_pk_fma_f32 v[132:133], v[126:127], v[118:119], v[130:131] op_sel:[0,0,1] op_sel_hi:[1,1,0] neg_lo:[0,0,1] neg_hi:[0,0,1]
	v_pk_fma_f32 v[126:127], v[126:127], v[118:119], v[130:131] op_sel:[0,0,1] op_sel_hi:[1,0,0]
	v_dual_mul_f32 v130, v129, v117 :: v_dual_mov_b32 v126, v129
	s_delay_alu instid0(VALU_DEP_2) | instskip(NEXT) | instid1(VALU_DEP_2)
	v_dual_mov_b32 v133, v127 :: v_dual_mov_b32 v127, v128
	v_pk_fma_f32 v[130:131], v[128:129], v[18:19], v[130:131] op_sel_hi:[1,1,0] neg_lo:[0,0,1] neg_hi:[0,0,1]
	v_mul_f32_e32 v128, v129, v118
	s_delay_alu instid0(VALU_DEP_3) | instskip(NEXT) | instid1(VALU_DEP_2)
	v_pk_add_f32 v[30:31], v[30:31], v[132:133] neg_lo:[0,1] neg_hi:[0,1]
	v_pk_fma_f32 v[126:127], v[126:127], v[18:19], v[128:129] op_sel_hi:[1,1,0]
	s_delay_alu instid0(VALU_DEP_1)
	v_mov_b32_e32 v131, v127
	ds_load_2addr_b64 v[126:129], v120 offset0:53 offset1:54
	v_pk_add_f32 v[34:35], v[34:35], v[130:131] neg_lo:[0,1] neg_hi:[0,1]
	s_wait_dscnt 0x0
	v_pk_mul_f32 v[130:131], v[126:127], v[116:117] op_sel:[0,1]
	v_pk_mul_f32 v[116:117], v[128:129], v[116:117] op_sel:[0,1]
	s_delay_alu instid0(VALU_DEP_2) | instskip(SKIP_1) | instid1(VALU_DEP_1)
	v_pk_fma_f32 v[132:133], v[126:127], v[118:119], v[130:131] op_sel:[0,0,1] op_sel_hi:[1,1,0] neg_lo:[0,0,1] neg_hi:[0,0,1]
	v_pk_fma_f32 v[126:127], v[126:127], v[118:119], v[130:131] op_sel:[0,0,1] op_sel_hi:[1,0,0]
	v_mov_b32_e32 v133, v127
	s_delay_alu instid0(VALU_DEP_4) | instskip(SKIP_1) | instid1(VALU_DEP_1)
	v_pk_fma_f32 v[126:127], v[128:129], v[118:119], v[116:117] op_sel:[0,0,1] op_sel_hi:[1,1,0] neg_lo:[0,0,1] neg_hi:[0,0,1]
	v_pk_fma_f32 v[116:117], v[128:129], v[118:119], v[116:117] op_sel:[0,0,1] op_sel_hi:[1,0,0]
	v_mov_b32_e32 v127, v117
	s_delay_alu instid0(VALU_DEP_4) | instskip(NEXT) | instid1(VALU_DEP_2)
	v_pk_add_f32 v[24:25], v[24:25], v[132:133] neg_lo:[0,1] neg_hi:[0,1]
	v_pk_add_f32 v[114:115], v[114:115], v[126:127] neg_lo:[0,1] neg_hi:[0,1]
.LBB108_818:
	s_or_b32 exec_lo, exec_lo, s0
	v_lshl_add_u32 v116, v124, 3, v120
	s_barrier_signal -1
	s_barrier_wait -1
	ds_store_b64 v116, v[16:17]
	s_wait_dscnt 0x0
	s_barrier_signal -1
	s_barrier_wait -1
	ds_load_b64 v[116:117], v120 offset:312
	v_mov_b32_e32 v118, 39
	s_cmp_lt_i32 s18, 41
	s_cbranch_scc1 .LBB108_821
; %bb.819:
	v_add3_u32 v119, v121, 0, 0x140
	v_mov_b32_e32 v118, 39
	s_mov_b32 s0, 40
.LBB108_820:                            ; =>This Inner Loop Header: Depth=1
	ds_load_b64 v[126:127], v119
	s_wait_dscnt 0x1
	v_cmp_gt_f32_e32 vcc_lo, 0, v116
	v_cndmask_b32_e64 v128, v116, -v116, vcc_lo
	v_cmp_gt_f32_e32 vcc_lo, 0, v117
	v_cndmask_b32_e64 v130, v117, -v117, vcc_lo
	s_wait_dscnt 0x0
	v_cmp_gt_f32_e32 vcc_lo, 0, v126
	v_cndmask_b32_e64 v129, v126, -v126, vcc_lo
	v_cmp_gt_f32_e32 vcc_lo, 0, v127
	v_cndmask_b32_e64 v131, v127, -v127, vcc_lo
	s_delay_alu instid0(VALU_DEP_1) | instskip(NEXT) | instid1(VALU_DEP_1)
	v_pk_add_f32 v[128:129], v[128:129], v[130:131]
	v_cmp_lt_f32_e32 vcc_lo, v128, v129
	v_dual_cndmask_b32 v116, v116, v126 :: v_dual_add_nc_u32 v119, 8, v119
	v_cndmask_b32_e32 v117, v117, v127, vcc_lo
	v_cndmask_b32_e64 v118, v118, s0, vcc_lo
	s_add_co_i32 s0, s0, 1
	s_delay_alu instid0(SALU_CYCLE_1)
	s_cmp_lg_u32 s18, s0
	s_cbranch_scc1 .LBB108_820
.LBB108_821:
	s_wait_dscnt 0x0
	v_cmp_eq_f32_e32 vcc_lo, 0, v116
	v_cmp_eq_f32_e64 s0, 0, v117
	s_and_b32 s0, vcc_lo, s0
	s_delay_alu instid0(SALU_CYCLE_1) | instskip(NEXT) | instid1(SALU_CYCLE_1)
	s_and_saveexec_b32 s1, s0
	s_xor_b32 s0, exec_lo, s1
; %bb.822:
	v_cmp_ne_u32_e32 vcc_lo, 0, v122
	v_cndmask_b32_e32 v122, 40, v122, vcc_lo
; %bb.823:
	s_and_not1_saveexec_b32 s0, s0
	s_cbranch_execz .LBB108_829
; %bb.824:
	v_cmp_ngt_f32_e64 s1, |v116|, |v117|
	s_and_saveexec_b32 s12, s1
	s_delay_alu instid0(SALU_CYCLE_1)
	s_xor_b32 s1, exec_lo, s12
	s_cbranch_execz .LBB108_826
; %bb.825:
	v_div_scale_f32 v119, null, v117, v117, v116
	v_div_scale_f32 v127, vcc_lo, v116, v117, v116
	s_delay_alu instid0(VALU_DEP_2) | instskip(SKIP_1) | instid1(TRANS32_DEP_1)
	v_rcp_f32_e32 v125, v119
	v_nop
	v_fma_f32 v126, -v119, v125, 1.0
	s_delay_alu instid0(VALU_DEP_1) | instskip(NEXT) | instid1(VALU_DEP_1)
	v_fmac_f32_e32 v125, v126, v125
	v_mul_f32_e32 v126, v127, v125
	s_delay_alu instid0(VALU_DEP_1) | instskip(NEXT) | instid1(VALU_DEP_1)
	v_fma_f32 v128, -v119, v126, v127
	v_fmac_f32_e32 v126, v128, v125
	s_delay_alu instid0(VALU_DEP_1) | instskip(NEXT) | instid1(VALU_DEP_1)
	v_fma_f32 v119, -v119, v126, v127
	v_div_fmas_f32 v119, v119, v125, v126
	s_delay_alu instid0(VALU_DEP_1) | instskip(NEXT) | instid1(VALU_DEP_1)
	v_div_fixup_f32 v119, v119, v117, v116
	v_fmac_f32_e32 v117, v116, v119
	s_delay_alu instid0(VALU_DEP_1) | instskip(SKIP_1) | instid1(VALU_DEP_2)
	v_div_scale_f32 v116, null, v117, v117, 1.0
	v_div_scale_f32 v127, vcc_lo, 1.0, v117, 1.0
	v_rcp_f32_e32 v125, v116
	v_nop
	s_delay_alu instid0(TRANS32_DEP_1) | instskip(NEXT) | instid1(VALU_DEP_1)
	v_fma_f32 v126, -v116, v125, 1.0
	v_fmac_f32_e32 v125, v126, v125
	s_delay_alu instid0(VALU_DEP_1) | instskip(NEXT) | instid1(VALU_DEP_1)
	v_mul_f32_e32 v126, v127, v125
	v_fma_f32 v128, -v116, v126, v127
	s_delay_alu instid0(VALU_DEP_1) | instskip(NEXT) | instid1(VALU_DEP_1)
	v_fmac_f32_e32 v126, v128, v125
	v_fma_f32 v116, -v116, v126, v127
	s_delay_alu instid0(VALU_DEP_1) | instskip(NEXT) | instid1(VALU_DEP_1)
	v_div_fmas_f32 v116, v116, v125, v126
	v_div_fixup_f32 v117, v116, v117, 1.0
	s_delay_alu instid0(VALU_DEP_1)
	v_mul_f32_e32 v116, v119, v117
	v_xor_b32_e32 v117, 0x80000000, v117
.LBB108_826:
	s_and_not1_saveexec_b32 s1, s1
	s_cbranch_execz .LBB108_828
; %bb.827:
	s_delay_alu instid0(VALU_DEP_1) | instskip(SKIP_1) | instid1(VALU_DEP_2)
	v_div_scale_f32 v119, null, v116, v116, v117
	v_div_scale_f32 v127, vcc_lo, v117, v116, v117
	v_rcp_f32_e32 v125, v119
	v_nop
	s_delay_alu instid0(TRANS32_DEP_1) | instskip(NEXT) | instid1(VALU_DEP_1)
	v_fma_f32 v126, -v119, v125, 1.0
	v_fmac_f32_e32 v125, v126, v125
	s_delay_alu instid0(VALU_DEP_1) | instskip(NEXT) | instid1(VALU_DEP_1)
	v_mul_f32_e32 v126, v127, v125
	v_fma_f32 v128, -v119, v126, v127
	s_delay_alu instid0(VALU_DEP_1) | instskip(NEXT) | instid1(VALU_DEP_1)
	v_fmac_f32_e32 v126, v128, v125
	v_fma_f32 v119, -v119, v126, v127
	s_delay_alu instid0(VALU_DEP_1) | instskip(NEXT) | instid1(VALU_DEP_1)
	v_div_fmas_f32 v119, v119, v125, v126
	v_div_fixup_f32 v119, v119, v116, v117
	s_delay_alu instid0(VALU_DEP_1) | instskip(NEXT) | instid1(VALU_DEP_1)
	v_fmac_f32_e32 v116, v117, v119
	v_div_scale_f32 v117, null, v116, v116, 1.0
	s_delay_alu instid0(VALU_DEP_1) | instskip(SKIP_1) | instid1(TRANS32_DEP_1)
	v_rcp_f32_e32 v125, v117
	v_nop
	v_fma_f32 v126, -v117, v125, 1.0
	s_delay_alu instid0(VALU_DEP_1) | instskip(SKIP_1) | instid1(VALU_DEP_1)
	v_fmac_f32_e32 v125, v126, v125
	v_div_scale_f32 v126, vcc_lo, 1.0, v116, 1.0
	v_mul_f32_e32 v127, v126, v125
	s_delay_alu instid0(VALU_DEP_1) | instskip(NEXT) | instid1(VALU_DEP_1)
	v_fma_f32 v128, -v117, v127, v126
	v_fmac_f32_e32 v127, v128, v125
	s_delay_alu instid0(VALU_DEP_1) | instskip(NEXT) | instid1(VALU_DEP_1)
	v_fma_f32 v117, -v117, v127, v126
	v_div_fmas_f32 v117, v117, v125, v127
	s_delay_alu instid0(VALU_DEP_1) | instskip(NEXT) | instid1(VALU_DEP_1)
	v_div_fixup_f32 v116, v117, v116, 1.0
	v_mul_f32_e64 v117, v119, -v116
.LBB108_828:
	s_or_b32 exec_lo, exec_lo, s1
.LBB108_829:
	s_delay_alu instid0(SALU_CYCLE_1) | instskip(NEXT) | instid1(SALU_CYCLE_1)
	s_or_b32 exec_lo, exec_lo, s0
	s_mov_b32 s0, exec_lo
	v_cmpx_ne_u32_e64 v124, v118
	s_xor_b32 s0, exec_lo, s0
	s_cbranch_execz .LBB108_835
; %bb.830:
	s_mov_b32 s1, exec_lo
	v_cmpx_eq_u32_e32 39, v124
	s_cbranch_execz .LBB108_834
; %bb.831:
	v_cmp_ne_u32_e32 vcc_lo, 39, v118
	s_xor_b32 s12, s16, -1
	s_delay_alu instid0(SALU_CYCLE_1) | instskip(NEXT) | instid1(SALU_CYCLE_1)
	s_and_b32 s13, s12, vcc_lo
	s_and_saveexec_b32 s12, s13
	s_cbranch_execz .LBB108_833
; %bb.832:
	v_ashrrev_i32_e32 v119, 31, v118
	s_delay_alu instid0(VALU_DEP_1)
	v_lshl_add_u64 v[124:125], v[118:119], 2, v[4:5]
	s_clause 0x1
	global_load_b32 v119, v[124:125], off
	global_load_b32 v123, v[4:5], off offset:156
	s_wait_loadcnt 0x1
	global_store_b32 v[4:5], v119, off offset:156
	s_wait_loadcnt 0x0
	global_store_b32 v[124:125], v123, off
.LBB108_833:
	s_wait_xcnt 0x0
	s_or_b32 exec_lo, exec_lo, s12
	v_dual_mov_b32 v124, v118 :: v_dual_mov_b32 v123, v118
.LBB108_834:
	s_or_b32 exec_lo, exec_lo, s1
.LBB108_835:
	s_and_not1_saveexec_b32 s0, s0
	s_cbranch_execz .LBB108_837
; %bb.836:
	v_dual_mov_b32 v118, v68 :: v_dual_mov_b32 v119, v69
	v_dual_mov_b32 v124, v66 :: v_dual_mov_b32 v125, v67
	;; [unrolled: 1-line block ×4, first 2 shown]
	ds_store_2addr_b64 v120, v[118:119], v[124:125] offset0:40 offset1:41
	ds_store_2addr_b64 v120, v[126:127], v[128:129] offset0:42 offset1:43
	v_dual_mov_b32 v118, v64 :: v_dual_mov_b32 v119, v65
	v_dual_mov_b32 v124, v62 :: v_dual_mov_b32 v125, v63
	;; [unrolled: 1-line block ×6, first 2 shown]
	ds_store_2addr_b64 v120, v[118:119], v[124:125] offset0:44 offset1:45
	ds_store_2addr_b64 v120, v[126:127], v[128:129] offset0:46 offset1:47
	v_dual_mov_b32 v124, 39 :: v_dual_mov_b32 v134, v8
	v_dual_mov_b32 v135, v9 :: v_dual_mov_b32 v136, v30
	;; [unrolled: 1-line block ×4, first 2 shown]
	v_mov_b32_e32 v141, v25
	ds_store_2addr_b64 v120, v[130:131], v[132:133] offset0:48 offset1:49
	ds_store_2addr_b64 v120, v[134:135], v[136:137] offset0:50 offset1:51
	;; [unrolled: 1-line block ×3, first 2 shown]
	ds_store_b64 v120, v[114:115] offset:432
.LBB108_837:
	s_or_b32 exec_lo, exec_lo, s0
	s_delay_alu instid0(SALU_CYCLE_1)
	s_mov_b32 s0, exec_lo
	s_wait_storecnt_dscnt 0x0
	s_barrier_signal -1
	s_barrier_wait -1
	v_cmpx_lt_i32_e32 39, v124
	s_cbranch_execz .LBB108_839
; %bb.838:
	v_pk_mul_f32 v[126:127], v[116:117], v[16:17] op_sel:[1,1] op_sel_hi:[0,1]
	s_delay_alu instid0(VALU_DEP_1)
	v_pk_fma_f32 v[118:119], v[116:117], v[16:17], v[126:127] op_sel_hi:[1,0,1] neg_lo:[0,0,1] neg_hi:[0,0,1]
	v_pk_fma_f32 v[116:117], v[116:117], v[16:17], v[126:127] op_sel_hi:[1,0,1]
	ds_load_2addr_b64 v[126:129], v120 offset0:40 offset1:41
	v_dual_mov_b32 v16, v118 :: v_dual_mov_b32 v17, v117
	s_wait_dscnt 0x0
	v_pk_mul_f32 v[130:131], v[126:127], v[116:117] op_sel:[0,1]
	s_delay_alu instid0(VALU_DEP_1) | instskip(SKIP_1) | instid1(VALU_DEP_1)
	v_pk_fma_f32 v[132:133], v[126:127], v[118:119], v[130:131] op_sel:[0,0,1] op_sel_hi:[1,1,0] neg_lo:[0,0,1] neg_hi:[0,0,1]
	v_pk_fma_f32 v[126:127], v[126:127], v[118:119], v[130:131] op_sel:[0,0,1] op_sel_hi:[1,0,0]
	v_mov_b32_e32 v133, v127
	v_pk_mul_f32 v[126:127], v[128:129], v[116:117] op_sel:[0,1]
	s_delay_alu instid0(VALU_DEP_1) | instskip(SKIP_1) | instid1(VALU_DEP_1)
	v_pk_fma_f32 v[130:131], v[128:129], v[118:119], v[126:127] op_sel:[0,0,1] op_sel_hi:[1,1,0] neg_lo:[0,0,1] neg_hi:[0,0,1]
	v_pk_fma_f32 v[126:127], v[128:129], v[118:119], v[126:127] op_sel:[0,0,1] op_sel_hi:[1,0,0]
	v_mov_b32_e32 v131, v127
	ds_load_2addr_b64 v[126:129], v120 offset0:42 offset1:43
	v_pk_add_f32 v[68:69], v[68:69], v[132:133] neg_lo:[0,1] neg_hi:[0,1]
	v_pk_add_f32 v[66:67], v[66:67], v[130:131] neg_lo:[0,1] neg_hi:[0,1]
	s_wait_dscnt 0x0
	v_pk_mul_f32 v[130:131], v[126:127], v[116:117] op_sel:[0,1]
	s_delay_alu instid0(VALU_DEP_1) | instskip(SKIP_2) | instid1(VALU_DEP_2)
	v_pk_fma_f32 v[132:133], v[126:127], v[118:119], v[130:131] op_sel:[0,0,1] op_sel_hi:[1,1,0] neg_lo:[0,0,1] neg_hi:[0,0,1]
	v_pk_fma_f32 v[126:127], v[126:127], v[118:119], v[130:131] op_sel:[0,0,1] op_sel_hi:[1,0,0]
	v_dual_mul_f32 v130, v129, v117 :: v_dual_mov_b32 v126, v129
	v_dual_mov_b32 v133, v127 :: v_dual_mov_b32 v127, v128
	s_delay_alu instid0(VALU_DEP_2) | instskip(SKIP_1) | instid1(VALU_DEP_3)
	v_pk_fma_f32 v[130:131], v[128:129], v[16:17], v[130:131] op_sel_hi:[1,1,0] neg_lo:[0,0,1] neg_hi:[0,0,1]
	v_mul_f32_e32 v128, v129, v118
	v_pk_add_f32 v[14:15], v[14:15], v[132:133] neg_lo:[0,1] neg_hi:[0,1]
	s_delay_alu instid0(VALU_DEP_2) | instskip(NEXT) | instid1(VALU_DEP_1)
	v_pk_fma_f32 v[126:127], v[126:127], v[16:17], v[128:129] op_sel_hi:[1,1,0]
	v_mov_b32_e32 v131, v127
	ds_load_2addr_b64 v[126:129], v120 offset0:44 offset1:45
	v_pk_add_f32 v[12:13], v[12:13], v[130:131] neg_lo:[0,1] neg_hi:[0,1]
	s_wait_dscnt 0x0
	v_pk_mul_f32 v[130:131], v[126:127], v[116:117] op_sel:[0,1]
	s_delay_alu instid0(VALU_DEP_1) | instskip(SKIP_1) | instid1(VALU_DEP_1)
	v_pk_fma_f32 v[132:133], v[126:127], v[118:119], v[130:131] op_sel:[0,0,1] op_sel_hi:[1,1,0] neg_lo:[0,0,1] neg_hi:[0,0,1]
	v_pk_fma_f32 v[126:127], v[126:127], v[118:119], v[130:131] op_sel:[0,0,1] op_sel_hi:[1,0,0]
	v_mov_b32_e32 v133, v127
	v_pk_mul_f32 v[126:127], v[128:129], v[116:117] op_sel:[0,1]
	s_delay_alu instid0(VALU_DEP_1) | instskip(SKIP_1) | instid1(VALU_DEP_1)
	v_pk_fma_f32 v[130:131], v[128:129], v[118:119], v[126:127] op_sel:[0,0,1] op_sel_hi:[1,1,0] neg_lo:[0,0,1] neg_hi:[0,0,1]
	v_pk_fma_f32 v[126:127], v[128:129], v[118:119], v[126:127] op_sel:[0,0,1] op_sel_hi:[1,0,0]
	v_mov_b32_e32 v131, v127
	ds_load_2addr_b64 v[126:129], v120 offset0:46 offset1:47
	v_pk_add_f32 v[64:65], v[64:65], v[132:133] neg_lo:[0,1] neg_hi:[0,1]
	v_pk_add_f32 v[62:63], v[62:63], v[130:131] neg_lo:[0,1] neg_hi:[0,1]
	s_wait_dscnt 0x0
	v_pk_mul_f32 v[130:131], v[126:127], v[116:117] op_sel:[0,1]
	s_delay_alu instid0(VALU_DEP_1) | instskip(SKIP_1) | instid1(VALU_DEP_1)
	v_pk_fma_f32 v[132:133], v[126:127], v[118:119], v[130:131] op_sel:[0,0,1] op_sel_hi:[1,1,0] neg_lo:[0,0,1] neg_hi:[0,0,1]
	v_pk_fma_f32 v[126:127], v[126:127], v[118:119], v[130:131] op_sel:[0,0,1] op_sel_hi:[1,0,0]
	v_mov_b32_e32 v133, v127
	v_pk_mul_f32 v[126:127], v[128:129], v[116:117] op_sel:[0,1]
	s_delay_alu instid0(VALU_DEP_1) | instskip(SKIP_1) | instid1(VALU_DEP_1)
	v_pk_fma_f32 v[130:131], v[128:129], v[118:119], v[126:127] op_sel:[0,0,1] op_sel_hi:[1,1,0] neg_lo:[0,0,1] neg_hi:[0,0,1]
	v_pk_fma_f32 v[126:127], v[128:129], v[118:119], v[126:127] op_sel:[0,0,1] op_sel_hi:[1,0,0]
	v_mov_b32_e32 v131, v127
	ds_load_2addr_b64 v[126:129], v120 offset0:48 offset1:49
	v_pk_add_f32 v[10:11], v[10:11], v[132:133] neg_lo:[0,1] neg_hi:[0,1]
	v_pk_add_f32 v[6:7], v[6:7], v[130:131] neg_lo:[0,1] neg_hi:[0,1]
	s_wait_dscnt 0x0
	v_dual_mul_f32 v130, v127, v117 :: v_dual_mul_f32 v132, v127, v118
	s_delay_alu instid0(VALU_DEP_1) | instskip(NEXT) | instid1(VALU_DEP_2)
	v_pk_fma_f32 v[130:131], v[126:127], v[16:17], v[130:131] op_sel_hi:[1,1,0] neg_lo:[0,0,1] neg_hi:[0,0,1]
	v_pk_fma_f32 v[126:127], v[126:127], v[16:17], v[132:133] op_sel:[1,0,0] op_sel_hi:[0,1,0]
	s_delay_alu instid0(VALU_DEP_1) | instskip(SKIP_1) | instid1(VALU_DEP_2)
	v_mov_b32_e32 v131, v127
	v_pk_mul_f32 v[126:127], v[128:129], v[116:117] op_sel:[0,1]
	v_pk_add_f32 v[52:53], v[52:53], v[130:131] neg_lo:[0,1] neg_hi:[0,1]
	s_delay_alu instid0(VALU_DEP_2) | instskip(SKIP_1) | instid1(VALU_DEP_1)
	v_pk_fma_f32 v[130:131], v[128:129], v[118:119], v[126:127] op_sel:[0,0,1] op_sel_hi:[1,1,0] neg_lo:[0,0,1] neg_hi:[0,0,1]
	v_pk_fma_f32 v[126:127], v[128:129], v[118:119], v[126:127] op_sel:[0,0,1] op_sel_hi:[1,0,0]
	v_mov_b32_e32 v131, v127
	ds_load_2addr_b64 v[126:129], v120 offset0:50 offset1:51
	v_pk_add_f32 v[50:51], v[50:51], v[130:131] neg_lo:[0,1] neg_hi:[0,1]
	s_wait_dscnt 0x0
	v_pk_mul_f32 v[130:131], v[126:127], v[116:117] op_sel:[0,1]
	s_delay_alu instid0(VALU_DEP_1) | instskip(SKIP_1) | instid1(VALU_DEP_1)
	v_pk_fma_f32 v[132:133], v[126:127], v[118:119], v[130:131] op_sel:[0,0,1] op_sel_hi:[1,1,0] neg_lo:[0,0,1] neg_hi:[0,0,1]
	v_pk_fma_f32 v[126:127], v[126:127], v[118:119], v[130:131] op_sel:[0,0,1] op_sel_hi:[1,0,0]
	v_mov_b32_e32 v133, v127
	v_pk_mul_f32 v[126:127], v[128:129], v[116:117] op_sel:[0,1]
	s_delay_alu instid0(VALU_DEP_2) | instskip(NEXT) | instid1(VALU_DEP_2)
	v_pk_add_f32 v[8:9], v[8:9], v[132:133] neg_lo:[0,1] neg_hi:[0,1]
	v_pk_fma_f32 v[130:131], v[128:129], v[118:119], v[126:127] op_sel:[0,0,1] op_sel_hi:[1,1,0] neg_lo:[0,0,1] neg_hi:[0,0,1]
	v_pk_fma_f32 v[126:127], v[128:129], v[118:119], v[126:127] op_sel:[0,0,1] op_sel_hi:[1,0,0]
	s_delay_alu instid0(VALU_DEP_1) | instskip(SKIP_4) | instid1(VALU_DEP_1)
	v_mov_b32_e32 v131, v127
	ds_load_2addr_b64 v[126:129], v120 offset0:52 offset1:53
	v_pk_add_f32 v[30:31], v[30:31], v[130:131] neg_lo:[0,1] neg_hi:[0,1]
	s_wait_dscnt 0x0
	v_pk_mul_f32 v[130:131], v[126:127], v[116:117] op_sel:[0,1]
	v_pk_fma_f32 v[132:133], v[126:127], v[118:119], v[130:131] op_sel:[0,0,1] op_sel_hi:[1,1,0] neg_lo:[0,0,1] neg_hi:[0,0,1]
	v_pk_fma_f32 v[126:127], v[126:127], v[118:119], v[130:131] op_sel:[0,0,1] op_sel_hi:[1,0,0]
	v_dual_mul_f32 v130, v129, v117 :: v_dual_mov_b32 v126, v129
	s_delay_alu instid0(VALU_DEP_2) | instskip(NEXT) | instid1(VALU_DEP_2)
	v_dual_mov_b32 v133, v127 :: v_dual_mov_b32 v127, v128
	v_pk_fma_f32 v[130:131], v[128:129], v[16:17], v[130:131] op_sel_hi:[1,1,0] neg_lo:[0,0,1] neg_hi:[0,0,1]
	v_mul_f32_e32 v128, v129, v118
	s_delay_alu instid0(VALU_DEP_3) | instskip(NEXT) | instid1(VALU_DEP_2)
	v_pk_add_f32 v[34:35], v[34:35], v[132:133] neg_lo:[0,1] neg_hi:[0,1]
	v_pk_fma_f32 v[126:127], v[126:127], v[16:17], v[128:129] op_sel_hi:[1,1,0]
	s_delay_alu instid0(VALU_DEP_1) | instskip(SKIP_4) | instid1(VALU_DEP_1)
	v_mov_b32_e32 v131, v127
	ds_load_b64 v[126:127], v120 offset:432
	v_pk_add_f32 v[24:25], v[24:25], v[130:131] neg_lo:[0,1] neg_hi:[0,1]
	s_wait_dscnt 0x0
	v_pk_mul_f32 v[116:117], v[126:127], v[116:117] op_sel:[0,1]
	v_pk_fma_f32 v[128:129], v[126:127], v[118:119], v[116:117] op_sel:[0,0,1] op_sel_hi:[1,1,0] neg_lo:[0,0,1] neg_hi:[0,0,1]
	v_pk_fma_f32 v[116:117], v[126:127], v[118:119], v[116:117] op_sel:[0,0,1] op_sel_hi:[1,0,0]
	s_delay_alu instid0(VALU_DEP_1) | instskip(NEXT) | instid1(VALU_DEP_1)
	v_mov_b32_e32 v129, v117
	v_pk_add_f32 v[114:115], v[114:115], v[128:129] neg_lo:[0,1] neg_hi:[0,1]
.LBB108_839:
	s_or_b32 exec_lo, exec_lo, s0
	v_lshl_add_u32 v116, v124, 3, v120
	s_barrier_signal -1
	s_barrier_wait -1
	ds_store_b64 v116, v[68:69]
	s_wait_dscnt 0x0
	s_barrier_signal -1
	s_barrier_wait -1
	ds_load_b64 v[116:117], v120 offset:320
	v_mov_b32_e32 v118, 40
	s_cmp_lt_i32 s18, 42
	s_cbranch_scc1 .LBB108_842
; %bb.840:
	v_add3_u32 v119, v121, 0, 0x148
	v_mov_b32_e32 v118, 40
	s_mov_b32 s0, 41
.LBB108_841:                            ; =>This Inner Loop Header: Depth=1
	ds_load_b64 v[126:127], v119
	s_wait_dscnt 0x1
	v_cmp_gt_f32_e32 vcc_lo, 0, v116
	v_cndmask_b32_e64 v128, v116, -v116, vcc_lo
	v_cmp_gt_f32_e32 vcc_lo, 0, v117
	v_cndmask_b32_e64 v130, v117, -v117, vcc_lo
	s_wait_dscnt 0x0
	v_cmp_gt_f32_e32 vcc_lo, 0, v126
	v_cndmask_b32_e64 v129, v126, -v126, vcc_lo
	v_cmp_gt_f32_e32 vcc_lo, 0, v127
	v_cndmask_b32_e64 v131, v127, -v127, vcc_lo
	s_delay_alu instid0(VALU_DEP_1) | instskip(NEXT) | instid1(VALU_DEP_1)
	v_pk_add_f32 v[128:129], v[128:129], v[130:131]
	v_cmp_lt_f32_e32 vcc_lo, v128, v129
	v_dual_cndmask_b32 v116, v116, v126 :: v_dual_add_nc_u32 v119, 8, v119
	v_cndmask_b32_e32 v117, v117, v127, vcc_lo
	v_cndmask_b32_e64 v118, v118, s0, vcc_lo
	s_add_co_i32 s0, s0, 1
	s_delay_alu instid0(SALU_CYCLE_1)
	s_cmp_lg_u32 s18, s0
	s_cbranch_scc1 .LBB108_841
.LBB108_842:
	s_wait_dscnt 0x0
	v_cmp_eq_f32_e32 vcc_lo, 0, v116
	v_cmp_eq_f32_e64 s0, 0, v117
	s_and_b32 s0, vcc_lo, s0
	s_delay_alu instid0(SALU_CYCLE_1) | instskip(NEXT) | instid1(SALU_CYCLE_1)
	s_and_saveexec_b32 s1, s0
	s_xor_b32 s0, exec_lo, s1
; %bb.843:
	v_cmp_ne_u32_e32 vcc_lo, 0, v122
	v_cndmask_b32_e32 v122, 41, v122, vcc_lo
; %bb.844:
	s_and_not1_saveexec_b32 s0, s0
	s_cbranch_execz .LBB108_850
; %bb.845:
	v_cmp_ngt_f32_e64 s1, |v116|, |v117|
	s_and_saveexec_b32 s12, s1
	s_delay_alu instid0(SALU_CYCLE_1)
	s_xor_b32 s1, exec_lo, s12
	s_cbranch_execz .LBB108_847
; %bb.846:
	v_div_scale_f32 v119, null, v117, v117, v116
	v_div_scale_f32 v127, vcc_lo, v116, v117, v116
	s_delay_alu instid0(VALU_DEP_2) | instskip(SKIP_1) | instid1(TRANS32_DEP_1)
	v_rcp_f32_e32 v125, v119
	v_nop
	v_fma_f32 v126, -v119, v125, 1.0
	s_delay_alu instid0(VALU_DEP_1) | instskip(NEXT) | instid1(VALU_DEP_1)
	v_fmac_f32_e32 v125, v126, v125
	v_mul_f32_e32 v126, v127, v125
	s_delay_alu instid0(VALU_DEP_1) | instskip(NEXT) | instid1(VALU_DEP_1)
	v_fma_f32 v128, -v119, v126, v127
	v_fmac_f32_e32 v126, v128, v125
	s_delay_alu instid0(VALU_DEP_1) | instskip(NEXT) | instid1(VALU_DEP_1)
	v_fma_f32 v119, -v119, v126, v127
	v_div_fmas_f32 v119, v119, v125, v126
	s_delay_alu instid0(VALU_DEP_1) | instskip(NEXT) | instid1(VALU_DEP_1)
	v_div_fixup_f32 v119, v119, v117, v116
	v_fmac_f32_e32 v117, v116, v119
	s_delay_alu instid0(VALU_DEP_1) | instskip(SKIP_1) | instid1(VALU_DEP_2)
	v_div_scale_f32 v116, null, v117, v117, 1.0
	v_div_scale_f32 v127, vcc_lo, 1.0, v117, 1.0
	v_rcp_f32_e32 v125, v116
	v_nop
	s_delay_alu instid0(TRANS32_DEP_1) | instskip(NEXT) | instid1(VALU_DEP_1)
	v_fma_f32 v126, -v116, v125, 1.0
	v_fmac_f32_e32 v125, v126, v125
	s_delay_alu instid0(VALU_DEP_1) | instskip(NEXT) | instid1(VALU_DEP_1)
	v_mul_f32_e32 v126, v127, v125
	v_fma_f32 v128, -v116, v126, v127
	s_delay_alu instid0(VALU_DEP_1) | instskip(NEXT) | instid1(VALU_DEP_1)
	v_fmac_f32_e32 v126, v128, v125
	v_fma_f32 v116, -v116, v126, v127
	s_delay_alu instid0(VALU_DEP_1) | instskip(NEXT) | instid1(VALU_DEP_1)
	v_div_fmas_f32 v116, v116, v125, v126
	v_div_fixup_f32 v117, v116, v117, 1.0
	s_delay_alu instid0(VALU_DEP_1)
	v_mul_f32_e32 v116, v119, v117
	v_xor_b32_e32 v117, 0x80000000, v117
.LBB108_847:
	s_and_not1_saveexec_b32 s1, s1
	s_cbranch_execz .LBB108_849
; %bb.848:
	s_delay_alu instid0(VALU_DEP_1) | instskip(SKIP_1) | instid1(VALU_DEP_2)
	v_div_scale_f32 v119, null, v116, v116, v117
	v_div_scale_f32 v127, vcc_lo, v117, v116, v117
	v_rcp_f32_e32 v125, v119
	v_nop
	s_delay_alu instid0(TRANS32_DEP_1) | instskip(NEXT) | instid1(VALU_DEP_1)
	v_fma_f32 v126, -v119, v125, 1.0
	v_fmac_f32_e32 v125, v126, v125
	s_delay_alu instid0(VALU_DEP_1) | instskip(NEXT) | instid1(VALU_DEP_1)
	v_mul_f32_e32 v126, v127, v125
	v_fma_f32 v128, -v119, v126, v127
	s_delay_alu instid0(VALU_DEP_1) | instskip(NEXT) | instid1(VALU_DEP_1)
	v_fmac_f32_e32 v126, v128, v125
	v_fma_f32 v119, -v119, v126, v127
	s_delay_alu instid0(VALU_DEP_1) | instskip(NEXT) | instid1(VALU_DEP_1)
	v_div_fmas_f32 v119, v119, v125, v126
	v_div_fixup_f32 v119, v119, v116, v117
	s_delay_alu instid0(VALU_DEP_1) | instskip(NEXT) | instid1(VALU_DEP_1)
	v_fmac_f32_e32 v116, v117, v119
	v_div_scale_f32 v117, null, v116, v116, 1.0
	s_delay_alu instid0(VALU_DEP_1) | instskip(SKIP_1) | instid1(TRANS32_DEP_1)
	v_rcp_f32_e32 v125, v117
	v_nop
	v_fma_f32 v126, -v117, v125, 1.0
	s_delay_alu instid0(VALU_DEP_1) | instskip(SKIP_1) | instid1(VALU_DEP_1)
	v_fmac_f32_e32 v125, v126, v125
	v_div_scale_f32 v126, vcc_lo, 1.0, v116, 1.0
	v_mul_f32_e32 v127, v126, v125
	s_delay_alu instid0(VALU_DEP_1) | instskip(NEXT) | instid1(VALU_DEP_1)
	v_fma_f32 v128, -v117, v127, v126
	v_fmac_f32_e32 v127, v128, v125
	s_delay_alu instid0(VALU_DEP_1) | instskip(NEXT) | instid1(VALU_DEP_1)
	v_fma_f32 v117, -v117, v127, v126
	v_div_fmas_f32 v117, v117, v125, v127
	s_delay_alu instid0(VALU_DEP_1) | instskip(NEXT) | instid1(VALU_DEP_1)
	v_div_fixup_f32 v116, v117, v116, 1.0
	v_mul_f32_e64 v117, v119, -v116
.LBB108_849:
	s_or_b32 exec_lo, exec_lo, s1
.LBB108_850:
	s_delay_alu instid0(SALU_CYCLE_1) | instskip(NEXT) | instid1(SALU_CYCLE_1)
	s_or_b32 exec_lo, exec_lo, s0
	s_mov_b32 s0, exec_lo
	v_cmpx_ne_u32_e64 v124, v118
	s_xor_b32 s0, exec_lo, s0
	s_cbranch_execz .LBB108_856
; %bb.851:
	s_mov_b32 s1, exec_lo
	v_cmpx_eq_u32_e32 40, v124
	s_cbranch_execz .LBB108_855
; %bb.852:
	v_cmp_ne_u32_e32 vcc_lo, 40, v118
	s_xor_b32 s12, s16, -1
	s_delay_alu instid0(SALU_CYCLE_1) | instskip(NEXT) | instid1(SALU_CYCLE_1)
	s_and_b32 s13, s12, vcc_lo
	s_and_saveexec_b32 s12, s13
	s_cbranch_execz .LBB108_854
; %bb.853:
	v_ashrrev_i32_e32 v119, 31, v118
	s_delay_alu instid0(VALU_DEP_1)
	v_lshl_add_u64 v[124:125], v[118:119], 2, v[4:5]
	s_clause 0x1
	global_load_b32 v119, v[124:125], off
	global_load_b32 v123, v[4:5], off offset:160
	s_wait_loadcnt 0x1
	global_store_b32 v[4:5], v119, off offset:160
	s_wait_loadcnt 0x0
	global_store_b32 v[124:125], v123, off
.LBB108_854:
	s_wait_xcnt 0x0
	s_or_b32 exec_lo, exec_lo, s12
	v_dual_mov_b32 v124, v118 :: v_dual_mov_b32 v123, v118
.LBB108_855:
	s_or_b32 exec_lo, exec_lo, s1
.LBB108_856:
	s_and_not1_saveexec_b32 s0, s0
	s_cbranch_execz .LBB108_858
; %bb.857:
	v_mov_b32_e32 v124, 40
	ds_store_2addr_b64 v120, v[66:67], v[14:15] offset0:41 offset1:42
	ds_store_2addr_b64 v120, v[12:13], v[64:65] offset0:43 offset1:44
	;; [unrolled: 1-line block ×7, first 2 shown]
.LBB108_858:
	s_or_b32 exec_lo, exec_lo, s0
	s_delay_alu instid0(SALU_CYCLE_1)
	s_mov_b32 s0, exec_lo
	s_wait_storecnt_dscnt 0x0
	s_barrier_signal -1
	s_barrier_wait -1
	v_cmpx_lt_i32_e32 40, v124
	s_cbranch_execz .LBB108_860
; %bb.859:
	v_pk_mul_f32 v[118:119], v[116:117], v[68:69] op_sel:[1,1] op_sel_hi:[0,1]
	s_delay_alu instid0(VALU_DEP_1)
	v_pk_fma_f32 v[126:127], v[116:117], v[68:69], v[118:119] op_sel_hi:[1,0,1] neg_lo:[0,0,1] neg_hi:[0,0,1]
	v_pk_fma_f32 v[128:129], v[116:117], v[68:69], v[118:119] op_sel_hi:[1,0,1]
	ds_load_2addr_b64 v[116:119], v120 offset0:41 offset1:42
	v_dual_mov_b32 v68, v126 :: v_dual_mov_b32 v69, v129
	s_wait_dscnt 0x0
	v_pk_mul_f32 v[130:131], v[116:117], v[128:129] op_sel:[0,1]
	s_delay_alu instid0(VALU_DEP_1) | instskip(SKIP_1) | instid1(VALU_DEP_1)
	v_pk_fma_f32 v[132:133], v[116:117], v[126:127], v[130:131] op_sel:[0,0,1] op_sel_hi:[1,1,0] neg_lo:[0,0,1] neg_hi:[0,0,1]
	v_pk_fma_f32 v[116:117], v[116:117], v[126:127], v[130:131] op_sel:[0,0,1] op_sel_hi:[1,0,0]
	v_mov_b32_e32 v133, v117
	v_pk_mul_f32 v[116:117], v[118:119], v[128:129] op_sel:[0,1]
	s_delay_alu instid0(VALU_DEP_1) | instskip(SKIP_1) | instid1(VALU_DEP_1)
	v_pk_fma_f32 v[130:131], v[118:119], v[126:127], v[116:117] op_sel:[0,0,1] op_sel_hi:[1,1,0] neg_lo:[0,0,1] neg_hi:[0,0,1]
	v_pk_fma_f32 v[116:117], v[118:119], v[126:127], v[116:117] op_sel:[0,0,1] op_sel_hi:[1,0,0]
	v_mov_b32_e32 v131, v117
	ds_load_2addr_b64 v[116:119], v120 offset0:43 offset1:44
	v_pk_add_f32 v[66:67], v[66:67], v[132:133] neg_lo:[0,1] neg_hi:[0,1]
	v_pk_add_f32 v[14:15], v[14:15], v[130:131] neg_lo:[0,1] neg_hi:[0,1]
	s_wait_dscnt 0x0
	v_pk_mul_f32 v[130:131], v[116:117], v[128:129] op_sel:[0,1]
	s_delay_alu instid0(VALU_DEP_1) | instskip(SKIP_2) | instid1(VALU_DEP_2)
	v_pk_fma_f32 v[132:133], v[116:117], v[126:127], v[130:131] op_sel:[0,0,1] op_sel_hi:[1,1,0] neg_lo:[0,0,1] neg_hi:[0,0,1]
	v_pk_fma_f32 v[116:117], v[116:117], v[126:127], v[130:131] op_sel:[0,0,1] op_sel_hi:[1,0,0]
	v_dual_mul_f32 v130, v119, v129 :: v_dual_mov_b32 v116, v119
	v_dual_mov_b32 v133, v117 :: v_dual_mov_b32 v117, v118
	s_delay_alu instid0(VALU_DEP_2) | instskip(SKIP_1) | instid1(VALU_DEP_3)
	v_pk_fma_f32 v[130:131], v[118:119], v[68:69], v[130:131] op_sel_hi:[1,1,0] neg_lo:[0,0,1] neg_hi:[0,0,1]
	v_mul_f32_e32 v118, v119, v126
	v_pk_add_f32 v[12:13], v[12:13], v[132:133] neg_lo:[0,1] neg_hi:[0,1]
	s_delay_alu instid0(VALU_DEP_2) | instskip(NEXT) | instid1(VALU_DEP_1)
	v_pk_fma_f32 v[116:117], v[116:117], v[68:69], v[118:119] op_sel_hi:[1,1,0]
	v_mov_b32_e32 v131, v117
	ds_load_2addr_b64 v[116:119], v120 offset0:45 offset1:46
	v_pk_add_f32 v[64:65], v[64:65], v[130:131] neg_lo:[0,1] neg_hi:[0,1]
	s_wait_dscnt 0x0
	v_pk_mul_f32 v[130:131], v[116:117], v[128:129] op_sel:[0,1]
	s_delay_alu instid0(VALU_DEP_1) | instskip(SKIP_1) | instid1(VALU_DEP_1)
	v_pk_fma_f32 v[132:133], v[116:117], v[126:127], v[130:131] op_sel:[0,0,1] op_sel_hi:[1,1,0] neg_lo:[0,0,1] neg_hi:[0,0,1]
	v_pk_fma_f32 v[116:117], v[116:117], v[126:127], v[130:131] op_sel:[0,0,1] op_sel_hi:[1,0,0]
	v_mov_b32_e32 v133, v117
	v_pk_mul_f32 v[116:117], v[118:119], v[128:129] op_sel:[0,1]
	s_delay_alu instid0(VALU_DEP_1) | instskip(SKIP_1) | instid1(VALU_DEP_1)
	v_pk_fma_f32 v[130:131], v[118:119], v[126:127], v[116:117] op_sel:[0,0,1] op_sel_hi:[1,1,0] neg_lo:[0,0,1] neg_hi:[0,0,1]
	v_pk_fma_f32 v[116:117], v[118:119], v[126:127], v[116:117] op_sel:[0,0,1] op_sel_hi:[1,0,0]
	v_mov_b32_e32 v131, v117
	ds_load_2addr_b64 v[116:119], v120 offset0:47 offset1:48
	v_pk_add_f32 v[62:63], v[62:63], v[132:133] neg_lo:[0,1] neg_hi:[0,1]
	v_pk_add_f32 v[10:11], v[10:11], v[130:131] neg_lo:[0,1] neg_hi:[0,1]
	s_wait_dscnt 0x0
	v_pk_mul_f32 v[130:131], v[116:117], v[128:129] op_sel:[0,1]
	s_delay_alu instid0(VALU_DEP_1) | instskip(SKIP_1) | instid1(VALU_DEP_1)
	v_pk_fma_f32 v[132:133], v[116:117], v[126:127], v[130:131] op_sel:[0,0,1] op_sel_hi:[1,1,0] neg_lo:[0,0,1] neg_hi:[0,0,1]
	v_pk_fma_f32 v[116:117], v[116:117], v[126:127], v[130:131] op_sel:[0,0,1] op_sel_hi:[1,0,0]
	v_mov_b32_e32 v133, v117
	v_pk_mul_f32 v[116:117], v[118:119], v[128:129] op_sel:[0,1]
	s_delay_alu instid0(VALU_DEP_1) | instskip(SKIP_1) | instid1(VALU_DEP_1)
	v_pk_fma_f32 v[130:131], v[118:119], v[126:127], v[116:117] op_sel:[0,0,1] op_sel_hi:[1,1,0] neg_lo:[0,0,1] neg_hi:[0,0,1]
	v_pk_fma_f32 v[116:117], v[118:119], v[126:127], v[116:117] op_sel:[0,0,1] op_sel_hi:[1,0,0]
	v_mov_b32_e32 v131, v117
	ds_load_2addr_b64 v[116:119], v120 offset0:49 offset1:50
	v_pk_add_f32 v[6:7], v[6:7], v[132:133] neg_lo:[0,1] neg_hi:[0,1]
	v_pk_add_f32 v[52:53], v[52:53], v[130:131] neg_lo:[0,1] neg_hi:[0,1]
	s_wait_dscnt 0x0
	v_dual_mul_f32 v130, v117, v129 :: v_dual_mul_f32 v132, v117, v126
	s_delay_alu instid0(VALU_DEP_1) | instskip(NEXT) | instid1(VALU_DEP_2)
	v_pk_fma_f32 v[130:131], v[116:117], v[68:69], v[130:131] op_sel_hi:[1,1,0] neg_lo:[0,0,1] neg_hi:[0,0,1]
	v_pk_fma_f32 v[116:117], v[116:117], v[68:69], v[132:133] op_sel:[1,0,0] op_sel_hi:[0,1,0]
	s_delay_alu instid0(VALU_DEP_1) | instskip(SKIP_1) | instid1(VALU_DEP_2)
	v_mov_b32_e32 v131, v117
	v_pk_mul_f32 v[116:117], v[118:119], v[128:129] op_sel:[0,1]
	v_pk_add_f32 v[50:51], v[50:51], v[130:131] neg_lo:[0,1] neg_hi:[0,1]
	s_delay_alu instid0(VALU_DEP_2) | instskip(SKIP_1) | instid1(VALU_DEP_1)
	v_pk_fma_f32 v[130:131], v[118:119], v[126:127], v[116:117] op_sel:[0,0,1] op_sel_hi:[1,1,0] neg_lo:[0,0,1] neg_hi:[0,0,1]
	v_pk_fma_f32 v[116:117], v[118:119], v[126:127], v[116:117] op_sel:[0,0,1] op_sel_hi:[1,0,0]
	v_mov_b32_e32 v131, v117
	ds_load_2addr_b64 v[116:119], v120 offset0:51 offset1:52
	v_pk_add_f32 v[8:9], v[8:9], v[130:131] neg_lo:[0,1] neg_hi:[0,1]
	s_wait_dscnt 0x0
	v_pk_mul_f32 v[130:131], v[116:117], v[128:129] op_sel:[0,1]
	s_delay_alu instid0(VALU_DEP_1) | instskip(SKIP_1) | instid1(VALU_DEP_1)
	v_pk_fma_f32 v[132:133], v[116:117], v[126:127], v[130:131] op_sel:[0,0,1] op_sel_hi:[1,1,0] neg_lo:[0,0,1] neg_hi:[0,0,1]
	v_pk_fma_f32 v[116:117], v[116:117], v[126:127], v[130:131] op_sel:[0,0,1] op_sel_hi:[1,0,0]
	v_mov_b32_e32 v133, v117
	v_pk_mul_f32 v[116:117], v[118:119], v[128:129] op_sel:[0,1]
	s_delay_alu instid0(VALU_DEP_2) | instskip(NEXT) | instid1(VALU_DEP_2)
	v_pk_add_f32 v[30:31], v[30:31], v[132:133] neg_lo:[0,1] neg_hi:[0,1]
	v_pk_fma_f32 v[130:131], v[118:119], v[126:127], v[116:117] op_sel:[0,0,1] op_sel_hi:[1,1,0] neg_lo:[0,0,1] neg_hi:[0,0,1]
	v_pk_fma_f32 v[116:117], v[118:119], v[126:127], v[116:117] op_sel:[0,0,1] op_sel_hi:[1,0,0]
	s_delay_alu instid0(VALU_DEP_1) | instskip(SKIP_4) | instid1(VALU_DEP_1)
	v_mov_b32_e32 v131, v117
	ds_load_2addr_b64 v[116:119], v120 offset0:53 offset1:54
	v_pk_add_f32 v[34:35], v[34:35], v[130:131] neg_lo:[0,1] neg_hi:[0,1]
	s_wait_dscnt 0x0
	v_pk_mul_f32 v[130:131], v[116:117], v[128:129] op_sel:[0,1]
	v_pk_fma_f32 v[132:133], v[116:117], v[126:127], v[130:131] op_sel:[0,0,1] op_sel_hi:[1,1,0] neg_lo:[0,0,1] neg_hi:[0,0,1]
	v_pk_fma_f32 v[116:117], v[116:117], v[126:127], v[130:131] op_sel:[0,0,1] op_sel_hi:[1,0,0]
	s_delay_alu instid0(VALU_DEP_1) | instskip(SKIP_1) | instid1(VALU_DEP_2)
	v_mov_b32_e32 v133, v117
	v_pk_mul_f32 v[116:117], v[118:119], v[128:129] op_sel:[0,1]
	v_pk_add_f32 v[24:25], v[24:25], v[132:133] neg_lo:[0,1] neg_hi:[0,1]
	s_delay_alu instid0(VALU_DEP_2) | instskip(SKIP_1) | instid1(VALU_DEP_1)
	v_pk_fma_f32 v[128:129], v[118:119], v[126:127], v[116:117] op_sel:[0,0,1] op_sel_hi:[1,1,0] neg_lo:[0,0,1] neg_hi:[0,0,1]
	v_pk_fma_f32 v[116:117], v[118:119], v[126:127], v[116:117] op_sel:[0,0,1] op_sel_hi:[1,0,0]
	v_mov_b32_e32 v129, v117
	s_delay_alu instid0(VALU_DEP_1)
	v_pk_add_f32 v[114:115], v[114:115], v[128:129] neg_lo:[0,1] neg_hi:[0,1]
.LBB108_860:
	s_or_b32 exec_lo, exec_lo, s0
	v_lshl_add_u32 v116, v124, 3, v120
	s_barrier_signal -1
	s_barrier_wait -1
	ds_store_b64 v116, v[66:67]
	s_wait_dscnt 0x0
	s_barrier_signal -1
	s_barrier_wait -1
	ds_load_b64 v[116:117], v120 offset:328
	v_mov_b32_e32 v118, 41
	s_cmp_lt_i32 s18, 43
	s_cbranch_scc1 .LBB108_863
; %bb.861:
	v_add3_u32 v119, v121, 0, 0x150
	v_mov_b32_e32 v118, 41
	s_mov_b32 s0, 42
.LBB108_862:                            ; =>This Inner Loop Header: Depth=1
	ds_load_b64 v[126:127], v119
	s_wait_dscnt 0x1
	v_cmp_gt_f32_e32 vcc_lo, 0, v116
	v_cndmask_b32_e64 v128, v116, -v116, vcc_lo
	v_cmp_gt_f32_e32 vcc_lo, 0, v117
	v_cndmask_b32_e64 v130, v117, -v117, vcc_lo
	s_wait_dscnt 0x0
	v_cmp_gt_f32_e32 vcc_lo, 0, v126
	v_cndmask_b32_e64 v129, v126, -v126, vcc_lo
	v_cmp_gt_f32_e32 vcc_lo, 0, v127
	v_cndmask_b32_e64 v131, v127, -v127, vcc_lo
	s_delay_alu instid0(VALU_DEP_1) | instskip(NEXT) | instid1(VALU_DEP_1)
	v_pk_add_f32 v[128:129], v[128:129], v[130:131]
	v_cmp_lt_f32_e32 vcc_lo, v128, v129
	v_dual_cndmask_b32 v116, v116, v126 :: v_dual_add_nc_u32 v119, 8, v119
	v_cndmask_b32_e32 v117, v117, v127, vcc_lo
	v_cndmask_b32_e64 v118, v118, s0, vcc_lo
	s_add_co_i32 s0, s0, 1
	s_delay_alu instid0(SALU_CYCLE_1)
	s_cmp_lg_u32 s18, s0
	s_cbranch_scc1 .LBB108_862
.LBB108_863:
	s_wait_dscnt 0x0
	v_cmp_eq_f32_e32 vcc_lo, 0, v116
	v_cmp_eq_f32_e64 s0, 0, v117
	s_and_b32 s0, vcc_lo, s0
	s_delay_alu instid0(SALU_CYCLE_1) | instskip(NEXT) | instid1(SALU_CYCLE_1)
	s_and_saveexec_b32 s1, s0
	s_xor_b32 s0, exec_lo, s1
; %bb.864:
	v_cmp_ne_u32_e32 vcc_lo, 0, v122
	v_cndmask_b32_e32 v122, 42, v122, vcc_lo
; %bb.865:
	s_and_not1_saveexec_b32 s0, s0
	s_cbranch_execz .LBB108_871
; %bb.866:
	v_cmp_ngt_f32_e64 s1, |v116|, |v117|
	s_and_saveexec_b32 s12, s1
	s_delay_alu instid0(SALU_CYCLE_1)
	s_xor_b32 s1, exec_lo, s12
	s_cbranch_execz .LBB108_868
; %bb.867:
	v_div_scale_f32 v119, null, v117, v117, v116
	v_div_scale_f32 v127, vcc_lo, v116, v117, v116
	s_delay_alu instid0(VALU_DEP_2) | instskip(SKIP_1) | instid1(TRANS32_DEP_1)
	v_rcp_f32_e32 v125, v119
	v_nop
	v_fma_f32 v126, -v119, v125, 1.0
	s_delay_alu instid0(VALU_DEP_1) | instskip(NEXT) | instid1(VALU_DEP_1)
	v_fmac_f32_e32 v125, v126, v125
	v_mul_f32_e32 v126, v127, v125
	s_delay_alu instid0(VALU_DEP_1) | instskip(NEXT) | instid1(VALU_DEP_1)
	v_fma_f32 v128, -v119, v126, v127
	v_fmac_f32_e32 v126, v128, v125
	s_delay_alu instid0(VALU_DEP_1) | instskip(NEXT) | instid1(VALU_DEP_1)
	v_fma_f32 v119, -v119, v126, v127
	v_div_fmas_f32 v119, v119, v125, v126
	s_delay_alu instid0(VALU_DEP_1) | instskip(NEXT) | instid1(VALU_DEP_1)
	v_div_fixup_f32 v119, v119, v117, v116
	v_fmac_f32_e32 v117, v116, v119
	s_delay_alu instid0(VALU_DEP_1) | instskip(SKIP_1) | instid1(VALU_DEP_2)
	v_div_scale_f32 v116, null, v117, v117, 1.0
	v_div_scale_f32 v127, vcc_lo, 1.0, v117, 1.0
	v_rcp_f32_e32 v125, v116
	v_nop
	s_delay_alu instid0(TRANS32_DEP_1) | instskip(NEXT) | instid1(VALU_DEP_1)
	v_fma_f32 v126, -v116, v125, 1.0
	v_fmac_f32_e32 v125, v126, v125
	s_delay_alu instid0(VALU_DEP_1) | instskip(NEXT) | instid1(VALU_DEP_1)
	v_mul_f32_e32 v126, v127, v125
	v_fma_f32 v128, -v116, v126, v127
	s_delay_alu instid0(VALU_DEP_1) | instskip(NEXT) | instid1(VALU_DEP_1)
	v_fmac_f32_e32 v126, v128, v125
	v_fma_f32 v116, -v116, v126, v127
	s_delay_alu instid0(VALU_DEP_1) | instskip(NEXT) | instid1(VALU_DEP_1)
	v_div_fmas_f32 v116, v116, v125, v126
	v_div_fixup_f32 v117, v116, v117, 1.0
	s_delay_alu instid0(VALU_DEP_1)
	v_mul_f32_e32 v116, v119, v117
	v_xor_b32_e32 v117, 0x80000000, v117
.LBB108_868:
	s_and_not1_saveexec_b32 s1, s1
	s_cbranch_execz .LBB108_870
; %bb.869:
	s_delay_alu instid0(VALU_DEP_1) | instskip(SKIP_1) | instid1(VALU_DEP_2)
	v_div_scale_f32 v119, null, v116, v116, v117
	v_div_scale_f32 v127, vcc_lo, v117, v116, v117
	v_rcp_f32_e32 v125, v119
	v_nop
	s_delay_alu instid0(TRANS32_DEP_1) | instskip(NEXT) | instid1(VALU_DEP_1)
	v_fma_f32 v126, -v119, v125, 1.0
	v_fmac_f32_e32 v125, v126, v125
	s_delay_alu instid0(VALU_DEP_1) | instskip(NEXT) | instid1(VALU_DEP_1)
	v_mul_f32_e32 v126, v127, v125
	v_fma_f32 v128, -v119, v126, v127
	s_delay_alu instid0(VALU_DEP_1) | instskip(NEXT) | instid1(VALU_DEP_1)
	v_fmac_f32_e32 v126, v128, v125
	v_fma_f32 v119, -v119, v126, v127
	s_delay_alu instid0(VALU_DEP_1) | instskip(NEXT) | instid1(VALU_DEP_1)
	v_div_fmas_f32 v119, v119, v125, v126
	v_div_fixup_f32 v119, v119, v116, v117
	s_delay_alu instid0(VALU_DEP_1) | instskip(NEXT) | instid1(VALU_DEP_1)
	v_fmac_f32_e32 v116, v117, v119
	v_div_scale_f32 v117, null, v116, v116, 1.0
	s_delay_alu instid0(VALU_DEP_1) | instskip(SKIP_1) | instid1(TRANS32_DEP_1)
	v_rcp_f32_e32 v125, v117
	v_nop
	v_fma_f32 v126, -v117, v125, 1.0
	s_delay_alu instid0(VALU_DEP_1) | instskip(SKIP_1) | instid1(VALU_DEP_1)
	v_fmac_f32_e32 v125, v126, v125
	v_div_scale_f32 v126, vcc_lo, 1.0, v116, 1.0
	v_mul_f32_e32 v127, v126, v125
	s_delay_alu instid0(VALU_DEP_1) | instskip(NEXT) | instid1(VALU_DEP_1)
	v_fma_f32 v128, -v117, v127, v126
	v_fmac_f32_e32 v127, v128, v125
	s_delay_alu instid0(VALU_DEP_1) | instskip(NEXT) | instid1(VALU_DEP_1)
	v_fma_f32 v117, -v117, v127, v126
	v_div_fmas_f32 v117, v117, v125, v127
	s_delay_alu instid0(VALU_DEP_1) | instskip(NEXT) | instid1(VALU_DEP_1)
	v_div_fixup_f32 v116, v117, v116, 1.0
	v_mul_f32_e64 v117, v119, -v116
.LBB108_870:
	s_or_b32 exec_lo, exec_lo, s1
.LBB108_871:
	s_delay_alu instid0(SALU_CYCLE_1) | instskip(NEXT) | instid1(SALU_CYCLE_1)
	s_or_b32 exec_lo, exec_lo, s0
	s_mov_b32 s0, exec_lo
	v_cmpx_ne_u32_e64 v124, v118
	s_xor_b32 s0, exec_lo, s0
	s_cbranch_execz .LBB108_877
; %bb.872:
	s_mov_b32 s1, exec_lo
	v_cmpx_eq_u32_e32 41, v124
	s_cbranch_execz .LBB108_876
; %bb.873:
	v_cmp_ne_u32_e32 vcc_lo, 41, v118
	s_xor_b32 s12, s16, -1
	s_delay_alu instid0(SALU_CYCLE_1) | instskip(NEXT) | instid1(SALU_CYCLE_1)
	s_and_b32 s13, s12, vcc_lo
	s_and_saveexec_b32 s12, s13
	s_cbranch_execz .LBB108_875
; %bb.874:
	v_ashrrev_i32_e32 v119, 31, v118
	s_delay_alu instid0(VALU_DEP_1)
	v_lshl_add_u64 v[124:125], v[118:119], 2, v[4:5]
	s_clause 0x1
	global_load_b32 v119, v[124:125], off
	global_load_b32 v123, v[4:5], off offset:164
	s_wait_loadcnt 0x1
	global_store_b32 v[4:5], v119, off offset:164
	s_wait_loadcnt 0x0
	global_store_b32 v[124:125], v123, off
.LBB108_875:
	s_wait_xcnt 0x0
	s_or_b32 exec_lo, exec_lo, s12
	v_dual_mov_b32 v124, v118 :: v_dual_mov_b32 v123, v118
.LBB108_876:
	s_or_b32 exec_lo, exec_lo, s1
.LBB108_877:
	s_and_not1_saveexec_b32 s0, s0
	s_cbranch_execz .LBB108_879
; %bb.878:
	v_dual_mov_b32 v118, v14 :: v_dual_mov_b32 v119, v15
	v_dual_mov_b32 v124, v12 :: v_dual_mov_b32 v125, v13
	;; [unrolled: 1-line block ×4, first 2 shown]
	ds_store_2addr_b64 v120, v[118:119], v[124:125] offset0:42 offset1:43
	ds_store_2addr_b64 v120, v[126:127], v[128:129] offset0:44 offset1:45
	v_dual_mov_b32 v118, v10 :: v_dual_mov_b32 v119, v11
	v_dual_mov_b32 v126, v6 :: v_dual_mov_b32 v127, v7
	;; [unrolled: 1-line block ×8, first 2 shown]
	v_mov_b32_e32 v139, v25
	ds_store_2addr_b64 v120, v[118:119], v[126:127] offset0:46 offset1:47
	ds_store_2addr_b64 v120, v[128:129], v[130:131] offset0:48 offset1:49
	;; [unrolled: 1-line block ×4, first 2 shown]
	ds_store_b64 v120, v[114:115] offset:432
.LBB108_879:
	s_or_b32 exec_lo, exec_lo, s0
	s_delay_alu instid0(SALU_CYCLE_1)
	s_mov_b32 s0, exec_lo
	s_wait_storecnt_dscnt 0x0
	s_barrier_signal -1
	s_barrier_wait -1
	v_cmpx_lt_i32_e32 41, v124
	s_cbranch_execz .LBB108_881
; %bb.880:
	v_pk_mul_f32 v[118:119], v[116:117], v[66:67] op_sel:[1,1] op_sel_hi:[0,1]
	s_delay_alu instid0(VALU_DEP_1)
	v_pk_fma_f32 v[126:127], v[116:117], v[66:67], v[118:119] op_sel_hi:[1,0,1] neg_lo:[0,0,1] neg_hi:[0,0,1]
	v_pk_fma_f32 v[128:129], v[116:117], v[66:67], v[118:119] op_sel_hi:[1,0,1]
	ds_load_2addr_b64 v[116:119], v120 offset0:42 offset1:43
	v_dual_mov_b32 v66, v126 :: v_dual_mov_b32 v67, v129
	s_wait_dscnt 0x0
	v_pk_mul_f32 v[130:131], v[116:117], v[128:129] op_sel:[0,1]
	s_delay_alu instid0(VALU_DEP_1) | instskip(SKIP_1) | instid1(VALU_DEP_1)
	v_pk_fma_f32 v[132:133], v[116:117], v[126:127], v[130:131] op_sel:[0,0,1] op_sel_hi:[1,1,0] neg_lo:[0,0,1] neg_hi:[0,0,1]
	v_pk_fma_f32 v[116:117], v[116:117], v[126:127], v[130:131] op_sel:[0,0,1] op_sel_hi:[1,0,0]
	v_mov_b32_e32 v133, v117
	v_pk_mul_f32 v[116:117], v[118:119], v[128:129] op_sel:[0,1]
	s_delay_alu instid0(VALU_DEP_1) | instskip(SKIP_1) | instid1(VALU_DEP_1)
	v_pk_fma_f32 v[130:131], v[118:119], v[126:127], v[116:117] op_sel:[0,0,1] op_sel_hi:[1,1,0] neg_lo:[0,0,1] neg_hi:[0,0,1]
	v_pk_fma_f32 v[116:117], v[118:119], v[126:127], v[116:117] op_sel:[0,0,1] op_sel_hi:[1,0,0]
	v_mov_b32_e32 v131, v117
	ds_load_2addr_b64 v[116:119], v120 offset0:44 offset1:45
	v_pk_add_f32 v[14:15], v[14:15], v[132:133] neg_lo:[0,1] neg_hi:[0,1]
	v_pk_add_f32 v[12:13], v[12:13], v[130:131] neg_lo:[0,1] neg_hi:[0,1]
	s_wait_dscnt 0x0
	v_pk_mul_f32 v[130:131], v[116:117], v[128:129] op_sel:[0,1]
	s_delay_alu instid0(VALU_DEP_1) | instskip(SKIP_2) | instid1(VALU_DEP_2)
	v_pk_fma_f32 v[132:133], v[116:117], v[126:127], v[130:131] op_sel:[0,0,1] op_sel_hi:[1,1,0] neg_lo:[0,0,1] neg_hi:[0,0,1]
	v_pk_fma_f32 v[116:117], v[116:117], v[126:127], v[130:131] op_sel:[0,0,1] op_sel_hi:[1,0,0]
	v_dual_mul_f32 v130, v119, v129 :: v_dual_mov_b32 v116, v119
	v_dual_mov_b32 v133, v117 :: v_dual_mov_b32 v117, v118
	s_delay_alu instid0(VALU_DEP_2) | instskip(SKIP_1) | instid1(VALU_DEP_3)
	v_pk_fma_f32 v[130:131], v[118:119], v[66:67], v[130:131] op_sel_hi:[1,1,0] neg_lo:[0,0,1] neg_hi:[0,0,1]
	v_mul_f32_e32 v118, v119, v126
	v_pk_add_f32 v[64:65], v[64:65], v[132:133] neg_lo:[0,1] neg_hi:[0,1]
	s_delay_alu instid0(VALU_DEP_2) | instskip(NEXT) | instid1(VALU_DEP_1)
	v_pk_fma_f32 v[116:117], v[116:117], v[66:67], v[118:119] op_sel_hi:[1,1,0]
	v_mov_b32_e32 v131, v117
	ds_load_2addr_b64 v[116:119], v120 offset0:46 offset1:47
	v_pk_add_f32 v[62:63], v[62:63], v[130:131] neg_lo:[0,1] neg_hi:[0,1]
	s_wait_dscnt 0x0
	v_pk_mul_f32 v[130:131], v[116:117], v[128:129] op_sel:[0,1]
	s_delay_alu instid0(VALU_DEP_1) | instskip(SKIP_1) | instid1(VALU_DEP_1)
	v_pk_fma_f32 v[132:133], v[116:117], v[126:127], v[130:131] op_sel:[0,0,1] op_sel_hi:[1,1,0] neg_lo:[0,0,1] neg_hi:[0,0,1]
	v_pk_fma_f32 v[116:117], v[116:117], v[126:127], v[130:131] op_sel:[0,0,1] op_sel_hi:[1,0,0]
	v_mov_b32_e32 v133, v117
	v_pk_mul_f32 v[116:117], v[118:119], v[128:129] op_sel:[0,1]
	s_delay_alu instid0(VALU_DEP_1) | instskip(SKIP_1) | instid1(VALU_DEP_1)
	v_pk_fma_f32 v[130:131], v[118:119], v[126:127], v[116:117] op_sel:[0,0,1] op_sel_hi:[1,1,0] neg_lo:[0,0,1] neg_hi:[0,0,1]
	v_pk_fma_f32 v[116:117], v[118:119], v[126:127], v[116:117] op_sel:[0,0,1] op_sel_hi:[1,0,0]
	v_mov_b32_e32 v131, v117
	ds_load_2addr_b64 v[116:119], v120 offset0:48 offset1:49
	v_pk_add_f32 v[10:11], v[10:11], v[132:133] neg_lo:[0,1] neg_hi:[0,1]
	v_pk_add_f32 v[6:7], v[6:7], v[130:131] neg_lo:[0,1] neg_hi:[0,1]
	s_wait_dscnt 0x0
	v_pk_mul_f32 v[130:131], v[116:117], v[128:129] op_sel:[0,1]
	s_delay_alu instid0(VALU_DEP_1) | instskip(SKIP_1) | instid1(VALU_DEP_1)
	v_pk_fma_f32 v[132:133], v[116:117], v[126:127], v[130:131] op_sel:[0,0,1] op_sel_hi:[1,1,0] neg_lo:[0,0,1] neg_hi:[0,0,1]
	v_pk_fma_f32 v[116:117], v[116:117], v[126:127], v[130:131] op_sel:[0,0,1] op_sel_hi:[1,0,0]
	v_mov_b32_e32 v133, v117
	v_pk_mul_f32 v[116:117], v[118:119], v[128:129] op_sel:[0,1]
	s_delay_alu instid0(VALU_DEP_1) | instskip(SKIP_1) | instid1(VALU_DEP_1)
	v_pk_fma_f32 v[130:131], v[118:119], v[126:127], v[116:117] op_sel:[0,0,1] op_sel_hi:[1,1,0] neg_lo:[0,0,1] neg_hi:[0,0,1]
	v_pk_fma_f32 v[116:117], v[118:119], v[126:127], v[116:117] op_sel:[0,0,1] op_sel_hi:[1,0,0]
	v_mov_b32_e32 v131, v117
	ds_load_2addr_b64 v[116:119], v120 offset0:50 offset1:51
	v_pk_add_f32 v[52:53], v[52:53], v[132:133] neg_lo:[0,1] neg_hi:[0,1]
	v_pk_add_f32 v[50:51], v[50:51], v[130:131] neg_lo:[0,1] neg_hi:[0,1]
	s_wait_dscnt 0x0
	v_dual_mul_f32 v130, v117, v129 :: v_dual_mul_f32 v132, v117, v126
	s_delay_alu instid0(VALU_DEP_1) | instskip(NEXT) | instid1(VALU_DEP_2)
	v_pk_fma_f32 v[130:131], v[116:117], v[66:67], v[130:131] op_sel_hi:[1,1,0] neg_lo:[0,0,1] neg_hi:[0,0,1]
	v_pk_fma_f32 v[116:117], v[116:117], v[66:67], v[132:133] op_sel:[1,0,0] op_sel_hi:[0,1,0]
	s_delay_alu instid0(VALU_DEP_1) | instskip(SKIP_1) | instid1(VALU_DEP_2)
	v_mov_b32_e32 v131, v117
	v_pk_mul_f32 v[116:117], v[118:119], v[128:129] op_sel:[0,1]
	v_pk_add_f32 v[8:9], v[8:9], v[130:131] neg_lo:[0,1] neg_hi:[0,1]
	s_delay_alu instid0(VALU_DEP_2) | instskip(SKIP_1) | instid1(VALU_DEP_1)
	v_pk_fma_f32 v[130:131], v[118:119], v[126:127], v[116:117] op_sel:[0,0,1] op_sel_hi:[1,1,0] neg_lo:[0,0,1] neg_hi:[0,0,1]
	v_pk_fma_f32 v[116:117], v[118:119], v[126:127], v[116:117] op_sel:[0,0,1] op_sel_hi:[1,0,0]
	v_mov_b32_e32 v131, v117
	ds_load_2addr_b64 v[116:119], v120 offset0:52 offset1:53
	v_pk_add_f32 v[30:31], v[30:31], v[130:131] neg_lo:[0,1] neg_hi:[0,1]
	s_wait_dscnt 0x0
	v_pk_mul_f32 v[130:131], v[116:117], v[128:129] op_sel:[0,1]
	s_delay_alu instid0(VALU_DEP_1) | instskip(SKIP_1) | instid1(VALU_DEP_1)
	v_pk_fma_f32 v[132:133], v[116:117], v[126:127], v[130:131] op_sel:[0,0,1] op_sel_hi:[1,1,0] neg_lo:[0,0,1] neg_hi:[0,0,1]
	v_pk_fma_f32 v[116:117], v[116:117], v[126:127], v[130:131] op_sel:[0,0,1] op_sel_hi:[1,0,0]
	v_mov_b32_e32 v133, v117
	v_pk_mul_f32 v[116:117], v[118:119], v[128:129] op_sel:[0,1]
	s_delay_alu instid0(VALU_DEP_2) | instskip(NEXT) | instid1(VALU_DEP_2)
	v_pk_add_f32 v[34:35], v[34:35], v[132:133] neg_lo:[0,1] neg_hi:[0,1]
	v_pk_fma_f32 v[130:131], v[118:119], v[126:127], v[116:117] op_sel:[0,0,1] op_sel_hi:[1,1,0] neg_lo:[0,0,1] neg_hi:[0,0,1]
	v_pk_fma_f32 v[116:117], v[118:119], v[126:127], v[116:117] op_sel:[0,0,1] op_sel_hi:[1,0,0]
	s_delay_alu instid0(VALU_DEP_1) | instskip(SKIP_4) | instid1(VALU_DEP_1)
	v_mov_b32_e32 v131, v117
	ds_load_b64 v[116:117], v120 offset:432
	v_pk_add_f32 v[24:25], v[24:25], v[130:131] neg_lo:[0,1] neg_hi:[0,1]
	s_wait_dscnt 0x0
	v_pk_mul_f32 v[118:119], v[116:117], v[128:129] op_sel:[0,1]
	v_pk_fma_f32 v[128:129], v[116:117], v[126:127], v[118:119] op_sel:[0,0,1] op_sel_hi:[1,1,0] neg_lo:[0,0,1] neg_hi:[0,0,1]
	v_pk_fma_f32 v[116:117], v[116:117], v[126:127], v[118:119] op_sel:[0,0,1] op_sel_hi:[1,0,0]
	s_delay_alu instid0(VALU_DEP_1) | instskip(NEXT) | instid1(VALU_DEP_1)
	v_mov_b32_e32 v129, v117
	v_pk_add_f32 v[114:115], v[114:115], v[128:129] neg_lo:[0,1] neg_hi:[0,1]
.LBB108_881:
	s_or_b32 exec_lo, exec_lo, s0
	v_lshl_add_u32 v116, v124, 3, v120
	s_barrier_signal -1
	s_barrier_wait -1
	ds_store_b64 v116, v[14:15]
	s_wait_dscnt 0x0
	s_barrier_signal -1
	s_barrier_wait -1
	ds_load_b64 v[116:117], v120 offset:336
	v_mov_b32_e32 v118, 42
	s_cmp_lt_i32 s18, 44
	s_cbranch_scc1 .LBB108_884
; %bb.882:
	v_add3_u32 v119, v121, 0, 0x158
	v_mov_b32_e32 v118, 42
	s_mov_b32 s0, 43
.LBB108_883:                            ; =>This Inner Loop Header: Depth=1
	ds_load_b64 v[126:127], v119
	s_wait_dscnt 0x1
	v_cmp_gt_f32_e32 vcc_lo, 0, v116
	v_cndmask_b32_e64 v128, v116, -v116, vcc_lo
	v_cmp_gt_f32_e32 vcc_lo, 0, v117
	v_cndmask_b32_e64 v130, v117, -v117, vcc_lo
	s_wait_dscnt 0x0
	v_cmp_gt_f32_e32 vcc_lo, 0, v126
	v_cndmask_b32_e64 v129, v126, -v126, vcc_lo
	v_cmp_gt_f32_e32 vcc_lo, 0, v127
	v_cndmask_b32_e64 v131, v127, -v127, vcc_lo
	s_delay_alu instid0(VALU_DEP_1) | instskip(NEXT) | instid1(VALU_DEP_1)
	v_pk_add_f32 v[128:129], v[128:129], v[130:131]
	v_cmp_lt_f32_e32 vcc_lo, v128, v129
	v_dual_cndmask_b32 v116, v116, v126 :: v_dual_add_nc_u32 v119, 8, v119
	v_cndmask_b32_e32 v117, v117, v127, vcc_lo
	v_cndmask_b32_e64 v118, v118, s0, vcc_lo
	s_add_co_i32 s0, s0, 1
	s_delay_alu instid0(SALU_CYCLE_1)
	s_cmp_lg_u32 s18, s0
	s_cbranch_scc1 .LBB108_883
.LBB108_884:
	s_wait_dscnt 0x0
	v_cmp_eq_f32_e32 vcc_lo, 0, v116
	v_cmp_eq_f32_e64 s0, 0, v117
	s_and_b32 s0, vcc_lo, s0
	s_delay_alu instid0(SALU_CYCLE_1) | instskip(NEXT) | instid1(SALU_CYCLE_1)
	s_and_saveexec_b32 s1, s0
	s_xor_b32 s0, exec_lo, s1
; %bb.885:
	v_cmp_ne_u32_e32 vcc_lo, 0, v122
	v_cndmask_b32_e32 v122, 43, v122, vcc_lo
; %bb.886:
	s_and_not1_saveexec_b32 s0, s0
	s_cbranch_execz .LBB108_892
; %bb.887:
	v_cmp_ngt_f32_e64 s1, |v116|, |v117|
	s_and_saveexec_b32 s12, s1
	s_delay_alu instid0(SALU_CYCLE_1)
	s_xor_b32 s1, exec_lo, s12
	s_cbranch_execz .LBB108_889
; %bb.888:
	v_div_scale_f32 v119, null, v117, v117, v116
	v_div_scale_f32 v127, vcc_lo, v116, v117, v116
	s_delay_alu instid0(VALU_DEP_2) | instskip(SKIP_1) | instid1(TRANS32_DEP_1)
	v_rcp_f32_e32 v125, v119
	v_nop
	v_fma_f32 v126, -v119, v125, 1.0
	s_delay_alu instid0(VALU_DEP_1) | instskip(NEXT) | instid1(VALU_DEP_1)
	v_fmac_f32_e32 v125, v126, v125
	v_mul_f32_e32 v126, v127, v125
	s_delay_alu instid0(VALU_DEP_1) | instskip(NEXT) | instid1(VALU_DEP_1)
	v_fma_f32 v128, -v119, v126, v127
	v_fmac_f32_e32 v126, v128, v125
	s_delay_alu instid0(VALU_DEP_1) | instskip(NEXT) | instid1(VALU_DEP_1)
	v_fma_f32 v119, -v119, v126, v127
	v_div_fmas_f32 v119, v119, v125, v126
	s_delay_alu instid0(VALU_DEP_1) | instskip(NEXT) | instid1(VALU_DEP_1)
	v_div_fixup_f32 v119, v119, v117, v116
	v_fmac_f32_e32 v117, v116, v119
	s_delay_alu instid0(VALU_DEP_1) | instskip(SKIP_1) | instid1(VALU_DEP_2)
	v_div_scale_f32 v116, null, v117, v117, 1.0
	v_div_scale_f32 v127, vcc_lo, 1.0, v117, 1.0
	v_rcp_f32_e32 v125, v116
	v_nop
	s_delay_alu instid0(TRANS32_DEP_1) | instskip(NEXT) | instid1(VALU_DEP_1)
	v_fma_f32 v126, -v116, v125, 1.0
	v_fmac_f32_e32 v125, v126, v125
	s_delay_alu instid0(VALU_DEP_1) | instskip(NEXT) | instid1(VALU_DEP_1)
	v_mul_f32_e32 v126, v127, v125
	v_fma_f32 v128, -v116, v126, v127
	s_delay_alu instid0(VALU_DEP_1) | instskip(NEXT) | instid1(VALU_DEP_1)
	v_fmac_f32_e32 v126, v128, v125
	v_fma_f32 v116, -v116, v126, v127
	s_delay_alu instid0(VALU_DEP_1) | instskip(NEXT) | instid1(VALU_DEP_1)
	v_div_fmas_f32 v116, v116, v125, v126
	v_div_fixup_f32 v117, v116, v117, 1.0
	s_delay_alu instid0(VALU_DEP_1)
	v_mul_f32_e32 v116, v119, v117
	v_xor_b32_e32 v117, 0x80000000, v117
.LBB108_889:
	s_and_not1_saveexec_b32 s1, s1
	s_cbranch_execz .LBB108_891
; %bb.890:
	s_delay_alu instid0(VALU_DEP_1) | instskip(SKIP_1) | instid1(VALU_DEP_2)
	v_div_scale_f32 v119, null, v116, v116, v117
	v_div_scale_f32 v127, vcc_lo, v117, v116, v117
	v_rcp_f32_e32 v125, v119
	v_nop
	s_delay_alu instid0(TRANS32_DEP_1) | instskip(NEXT) | instid1(VALU_DEP_1)
	v_fma_f32 v126, -v119, v125, 1.0
	v_fmac_f32_e32 v125, v126, v125
	s_delay_alu instid0(VALU_DEP_1) | instskip(NEXT) | instid1(VALU_DEP_1)
	v_mul_f32_e32 v126, v127, v125
	v_fma_f32 v128, -v119, v126, v127
	s_delay_alu instid0(VALU_DEP_1) | instskip(NEXT) | instid1(VALU_DEP_1)
	v_fmac_f32_e32 v126, v128, v125
	v_fma_f32 v119, -v119, v126, v127
	s_delay_alu instid0(VALU_DEP_1) | instskip(NEXT) | instid1(VALU_DEP_1)
	v_div_fmas_f32 v119, v119, v125, v126
	v_div_fixup_f32 v119, v119, v116, v117
	s_delay_alu instid0(VALU_DEP_1) | instskip(NEXT) | instid1(VALU_DEP_1)
	v_fmac_f32_e32 v116, v117, v119
	v_div_scale_f32 v117, null, v116, v116, 1.0
	s_delay_alu instid0(VALU_DEP_1) | instskip(SKIP_1) | instid1(TRANS32_DEP_1)
	v_rcp_f32_e32 v125, v117
	v_nop
	v_fma_f32 v126, -v117, v125, 1.0
	s_delay_alu instid0(VALU_DEP_1) | instskip(SKIP_1) | instid1(VALU_DEP_1)
	v_fmac_f32_e32 v125, v126, v125
	v_div_scale_f32 v126, vcc_lo, 1.0, v116, 1.0
	v_mul_f32_e32 v127, v126, v125
	s_delay_alu instid0(VALU_DEP_1) | instskip(NEXT) | instid1(VALU_DEP_1)
	v_fma_f32 v128, -v117, v127, v126
	v_fmac_f32_e32 v127, v128, v125
	s_delay_alu instid0(VALU_DEP_1) | instskip(NEXT) | instid1(VALU_DEP_1)
	v_fma_f32 v117, -v117, v127, v126
	v_div_fmas_f32 v117, v117, v125, v127
	s_delay_alu instid0(VALU_DEP_1) | instskip(NEXT) | instid1(VALU_DEP_1)
	v_div_fixup_f32 v116, v117, v116, 1.0
	v_mul_f32_e64 v117, v119, -v116
.LBB108_891:
	s_or_b32 exec_lo, exec_lo, s1
.LBB108_892:
	s_delay_alu instid0(SALU_CYCLE_1) | instskip(NEXT) | instid1(SALU_CYCLE_1)
	s_or_b32 exec_lo, exec_lo, s0
	s_mov_b32 s0, exec_lo
	v_cmpx_ne_u32_e64 v124, v118
	s_xor_b32 s0, exec_lo, s0
	s_cbranch_execz .LBB108_898
; %bb.893:
	s_mov_b32 s1, exec_lo
	v_cmpx_eq_u32_e32 42, v124
	s_cbranch_execz .LBB108_897
; %bb.894:
	v_cmp_ne_u32_e32 vcc_lo, 42, v118
	s_xor_b32 s12, s16, -1
	s_delay_alu instid0(SALU_CYCLE_1) | instskip(NEXT) | instid1(SALU_CYCLE_1)
	s_and_b32 s13, s12, vcc_lo
	s_and_saveexec_b32 s12, s13
	s_cbranch_execz .LBB108_896
; %bb.895:
	v_ashrrev_i32_e32 v119, 31, v118
	s_delay_alu instid0(VALU_DEP_1)
	v_lshl_add_u64 v[124:125], v[118:119], 2, v[4:5]
	s_clause 0x1
	global_load_b32 v119, v[124:125], off
	global_load_b32 v123, v[4:5], off offset:168
	s_wait_loadcnt 0x1
	global_store_b32 v[4:5], v119, off offset:168
	s_wait_loadcnt 0x0
	global_store_b32 v[124:125], v123, off
.LBB108_896:
	s_wait_xcnt 0x0
	s_or_b32 exec_lo, exec_lo, s12
	v_dual_mov_b32 v124, v118 :: v_dual_mov_b32 v123, v118
.LBB108_897:
	s_or_b32 exec_lo, exec_lo, s1
.LBB108_898:
	s_and_not1_saveexec_b32 s0, s0
	s_cbranch_execz .LBB108_900
; %bb.899:
	v_mov_b32_e32 v124, 42
	ds_store_2addr_b64 v120, v[12:13], v[64:65] offset0:43 offset1:44
	ds_store_2addr_b64 v120, v[62:63], v[10:11] offset0:45 offset1:46
	;; [unrolled: 1-line block ×6, first 2 shown]
.LBB108_900:
	s_or_b32 exec_lo, exec_lo, s0
	s_delay_alu instid0(SALU_CYCLE_1)
	s_mov_b32 s0, exec_lo
	s_wait_storecnt_dscnt 0x0
	s_barrier_signal -1
	s_barrier_wait -1
	v_cmpx_lt_i32_e32 42, v124
	s_cbranch_execz .LBB108_902
; %bb.901:
	v_pk_mul_f32 v[118:119], v[116:117], v[14:15] op_sel:[1,1] op_sel_hi:[0,1]
	s_delay_alu instid0(VALU_DEP_1)
	v_pk_fma_f32 v[126:127], v[116:117], v[14:15], v[118:119] op_sel_hi:[1,0,1] neg_lo:[0,0,1] neg_hi:[0,0,1]
	v_pk_fma_f32 v[128:129], v[116:117], v[14:15], v[118:119] op_sel_hi:[1,0,1]
	ds_load_2addr_b64 v[116:119], v120 offset0:43 offset1:44
	v_dual_mov_b32 v14, v126 :: v_dual_mov_b32 v15, v129
	s_wait_dscnt 0x0
	v_pk_mul_f32 v[130:131], v[116:117], v[128:129] op_sel:[0,1]
	s_delay_alu instid0(VALU_DEP_1) | instskip(SKIP_1) | instid1(VALU_DEP_1)
	v_pk_fma_f32 v[132:133], v[116:117], v[126:127], v[130:131] op_sel:[0,0,1] op_sel_hi:[1,1,0] neg_lo:[0,0,1] neg_hi:[0,0,1]
	v_pk_fma_f32 v[116:117], v[116:117], v[126:127], v[130:131] op_sel:[0,0,1] op_sel_hi:[1,0,0]
	v_mov_b32_e32 v133, v117
	v_pk_mul_f32 v[116:117], v[118:119], v[128:129] op_sel:[0,1]
	s_delay_alu instid0(VALU_DEP_1) | instskip(SKIP_1) | instid1(VALU_DEP_1)
	v_pk_fma_f32 v[130:131], v[118:119], v[126:127], v[116:117] op_sel:[0,0,1] op_sel_hi:[1,1,0] neg_lo:[0,0,1] neg_hi:[0,0,1]
	v_pk_fma_f32 v[116:117], v[118:119], v[126:127], v[116:117] op_sel:[0,0,1] op_sel_hi:[1,0,0]
	v_mov_b32_e32 v131, v117
	ds_load_2addr_b64 v[116:119], v120 offset0:45 offset1:46
	v_pk_add_f32 v[12:13], v[12:13], v[132:133] neg_lo:[0,1] neg_hi:[0,1]
	v_pk_add_f32 v[64:65], v[64:65], v[130:131] neg_lo:[0,1] neg_hi:[0,1]
	s_wait_dscnt 0x0
	v_pk_mul_f32 v[130:131], v[116:117], v[128:129] op_sel:[0,1]
	s_delay_alu instid0(VALU_DEP_1) | instskip(SKIP_2) | instid1(VALU_DEP_2)
	v_pk_fma_f32 v[132:133], v[116:117], v[126:127], v[130:131] op_sel:[0,0,1] op_sel_hi:[1,1,0] neg_lo:[0,0,1] neg_hi:[0,0,1]
	v_pk_fma_f32 v[116:117], v[116:117], v[126:127], v[130:131] op_sel:[0,0,1] op_sel_hi:[1,0,0]
	v_dual_mul_f32 v130, v119, v129 :: v_dual_mov_b32 v116, v119
	v_dual_mov_b32 v133, v117 :: v_dual_mov_b32 v117, v118
	s_delay_alu instid0(VALU_DEP_2) | instskip(SKIP_1) | instid1(VALU_DEP_3)
	v_pk_fma_f32 v[130:131], v[118:119], v[14:15], v[130:131] op_sel_hi:[1,1,0] neg_lo:[0,0,1] neg_hi:[0,0,1]
	v_mul_f32_e32 v118, v119, v126
	v_pk_add_f32 v[62:63], v[62:63], v[132:133] neg_lo:[0,1] neg_hi:[0,1]
	s_delay_alu instid0(VALU_DEP_2) | instskip(NEXT) | instid1(VALU_DEP_1)
	v_pk_fma_f32 v[116:117], v[116:117], v[14:15], v[118:119] op_sel_hi:[1,1,0]
	v_mov_b32_e32 v131, v117
	ds_load_2addr_b64 v[116:119], v120 offset0:47 offset1:48
	v_pk_add_f32 v[10:11], v[10:11], v[130:131] neg_lo:[0,1] neg_hi:[0,1]
	s_wait_dscnt 0x0
	v_pk_mul_f32 v[130:131], v[116:117], v[128:129] op_sel:[0,1]
	s_delay_alu instid0(VALU_DEP_1) | instskip(SKIP_1) | instid1(VALU_DEP_1)
	v_pk_fma_f32 v[132:133], v[116:117], v[126:127], v[130:131] op_sel:[0,0,1] op_sel_hi:[1,1,0] neg_lo:[0,0,1] neg_hi:[0,0,1]
	v_pk_fma_f32 v[116:117], v[116:117], v[126:127], v[130:131] op_sel:[0,0,1] op_sel_hi:[1,0,0]
	v_mov_b32_e32 v133, v117
	v_pk_mul_f32 v[116:117], v[118:119], v[128:129] op_sel:[0,1]
	s_delay_alu instid0(VALU_DEP_1) | instskip(SKIP_1) | instid1(VALU_DEP_1)
	v_pk_fma_f32 v[130:131], v[118:119], v[126:127], v[116:117] op_sel:[0,0,1] op_sel_hi:[1,1,0] neg_lo:[0,0,1] neg_hi:[0,0,1]
	v_pk_fma_f32 v[116:117], v[118:119], v[126:127], v[116:117] op_sel:[0,0,1] op_sel_hi:[1,0,0]
	v_mov_b32_e32 v131, v117
	ds_load_2addr_b64 v[116:119], v120 offset0:49 offset1:50
	v_pk_add_f32 v[6:7], v[6:7], v[132:133] neg_lo:[0,1] neg_hi:[0,1]
	v_pk_add_f32 v[52:53], v[52:53], v[130:131] neg_lo:[0,1] neg_hi:[0,1]
	s_wait_dscnt 0x0
	v_pk_mul_f32 v[130:131], v[116:117], v[128:129] op_sel:[0,1]
	s_delay_alu instid0(VALU_DEP_1) | instskip(SKIP_1) | instid1(VALU_DEP_1)
	v_pk_fma_f32 v[132:133], v[116:117], v[126:127], v[130:131] op_sel:[0,0,1] op_sel_hi:[1,1,0] neg_lo:[0,0,1] neg_hi:[0,0,1]
	v_pk_fma_f32 v[116:117], v[116:117], v[126:127], v[130:131] op_sel:[0,0,1] op_sel_hi:[1,0,0]
	v_mov_b32_e32 v133, v117
	v_pk_mul_f32 v[116:117], v[118:119], v[128:129] op_sel:[0,1]
	s_delay_alu instid0(VALU_DEP_1) | instskip(SKIP_1) | instid1(VALU_DEP_1)
	v_pk_fma_f32 v[130:131], v[118:119], v[126:127], v[116:117] op_sel:[0,0,1] op_sel_hi:[1,1,0] neg_lo:[0,0,1] neg_hi:[0,0,1]
	v_pk_fma_f32 v[116:117], v[118:119], v[126:127], v[116:117] op_sel:[0,0,1] op_sel_hi:[1,0,0]
	v_mov_b32_e32 v131, v117
	ds_load_2addr_b64 v[116:119], v120 offset0:51 offset1:52
	v_pk_add_f32 v[50:51], v[50:51], v[132:133] neg_lo:[0,1] neg_hi:[0,1]
	v_pk_add_f32 v[8:9], v[8:9], v[130:131] neg_lo:[0,1] neg_hi:[0,1]
	s_wait_dscnt 0x0
	v_dual_mul_f32 v130, v117, v129 :: v_dual_mul_f32 v132, v117, v126
	s_delay_alu instid0(VALU_DEP_1) | instskip(NEXT) | instid1(VALU_DEP_2)
	v_pk_fma_f32 v[130:131], v[116:117], v[14:15], v[130:131] op_sel_hi:[1,1,0] neg_lo:[0,0,1] neg_hi:[0,0,1]
	v_pk_fma_f32 v[116:117], v[116:117], v[14:15], v[132:133] op_sel:[1,0,0] op_sel_hi:[0,1,0]
	s_delay_alu instid0(VALU_DEP_1) | instskip(SKIP_1) | instid1(VALU_DEP_2)
	v_mov_b32_e32 v131, v117
	v_pk_mul_f32 v[116:117], v[118:119], v[128:129] op_sel:[0,1]
	v_pk_add_f32 v[30:31], v[30:31], v[130:131] neg_lo:[0,1] neg_hi:[0,1]
	s_delay_alu instid0(VALU_DEP_2) | instskip(SKIP_1) | instid1(VALU_DEP_1)
	v_pk_fma_f32 v[130:131], v[118:119], v[126:127], v[116:117] op_sel:[0,0,1] op_sel_hi:[1,1,0] neg_lo:[0,0,1] neg_hi:[0,0,1]
	v_pk_fma_f32 v[116:117], v[118:119], v[126:127], v[116:117] op_sel:[0,0,1] op_sel_hi:[1,0,0]
	v_mov_b32_e32 v131, v117
	ds_load_2addr_b64 v[116:119], v120 offset0:53 offset1:54
	v_pk_add_f32 v[34:35], v[34:35], v[130:131] neg_lo:[0,1] neg_hi:[0,1]
	s_wait_dscnt 0x0
	v_pk_mul_f32 v[130:131], v[116:117], v[128:129] op_sel:[0,1]
	v_mul_f32_e32 v128, v119, v129
	s_delay_alu instid0(VALU_DEP_2) | instskip(SKIP_2) | instid1(VALU_DEP_4)
	v_pk_fma_f32 v[132:133], v[116:117], v[126:127], v[130:131] op_sel:[0,0,1] op_sel_hi:[1,1,0] neg_lo:[0,0,1] neg_hi:[0,0,1]
	v_pk_fma_f32 v[116:117], v[116:117], v[126:127], v[130:131] op_sel:[0,0,1] op_sel_hi:[1,0,0]
	v_mov_b32_e32 v116, v119
	v_pk_fma_f32 v[128:129], v[118:119], v[14:15], v[128:129] op_sel_hi:[1,1,0] neg_lo:[0,0,1] neg_hi:[0,0,1]
	s_delay_alu instid0(VALU_DEP_3) | instskip(SKIP_1) | instid1(VALU_DEP_2)
	v_dual_mov_b32 v133, v117 :: v_dual_mov_b32 v117, v118
	v_mul_f32_e32 v118, v119, v126
	v_pk_add_f32 v[24:25], v[24:25], v[132:133] neg_lo:[0,1] neg_hi:[0,1]
	s_delay_alu instid0(VALU_DEP_2) | instskip(NEXT) | instid1(VALU_DEP_1)
	v_pk_fma_f32 v[116:117], v[116:117], v[14:15], v[118:119] op_sel_hi:[1,1,0]
	v_mov_b32_e32 v129, v117
	s_delay_alu instid0(VALU_DEP_1)
	v_pk_add_f32 v[114:115], v[114:115], v[128:129] neg_lo:[0,1] neg_hi:[0,1]
.LBB108_902:
	s_or_b32 exec_lo, exec_lo, s0
	v_lshl_add_u32 v116, v124, 3, v120
	s_barrier_signal -1
	s_barrier_wait -1
	ds_store_b64 v116, v[12:13]
	s_wait_dscnt 0x0
	s_barrier_signal -1
	s_barrier_wait -1
	ds_load_b64 v[116:117], v120 offset:344
	v_mov_b32_e32 v118, 43
	s_cmp_lt_i32 s18, 45
	s_cbranch_scc1 .LBB108_905
; %bb.903:
	v_add3_u32 v119, v121, 0, 0x160
	v_mov_b32_e32 v118, 43
	s_mov_b32 s0, 44
.LBB108_904:                            ; =>This Inner Loop Header: Depth=1
	ds_load_b64 v[126:127], v119
	s_wait_dscnt 0x1
	v_cmp_gt_f32_e32 vcc_lo, 0, v116
	v_cndmask_b32_e64 v128, v116, -v116, vcc_lo
	v_cmp_gt_f32_e32 vcc_lo, 0, v117
	v_cndmask_b32_e64 v130, v117, -v117, vcc_lo
	s_wait_dscnt 0x0
	v_cmp_gt_f32_e32 vcc_lo, 0, v126
	v_cndmask_b32_e64 v129, v126, -v126, vcc_lo
	v_cmp_gt_f32_e32 vcc_lo, 0, v127
	v_cndmask_b32_e64 v131, v127, -v127, vcc_lo
	s_delay_alu instid0(VALU_DEP_1) | instskip(NEXT) | instid1(VALU_DEP_1)
	v_pk_add_f32 v[128:129], v[128:129], v[130:131]
	v_cmp_lt_f32_e32 vcc_lo, v128, v129
	v_dual_cndmask_b32 v116, v116, v126 :: v_dual_add_nc_u32 v119, 8, v119
	v_cndmask_b32_e32 v117, v117, v127, vcc_lo
	v_cndmask_b32_e64 v118, v118, s0, vcc_lo
	s_add_co_i32 s0, s0, 1
	s_delay_alu instid0(SALU_CYCLE_1)
	s_cmp_lg_u32 s18, s0
	s_cbranch_scc1 .LBB108_904
.LBB108_905:
	s_wait_dscnt 0x0
	v_cmp_eq_f32_e32 vcc_lo, 0, v116
	v_cmp_eq_f32_e64 s0, 0, v117
	s_and_b32 s0, vcc_lo, s0
	s_delay_alu instid0(SALU_CYCLE_1) | instskip(NEXT) | instid1(SALU_CYCLE_1)
	s_and_saveexec_b32 s1, s0
	s_xor_b32 s0, exec_lo, s1
; %bb.906:
	v_cmp_ne_u32_e32 vcc_lo, 0, v122
	v_cndmask_b32_e32 v122, 44, v122, vcc_lo
; %bb.907:
	s_and_not1_saveexec_b32 s0, s0
	s_cbranch_execz .LBB108_913
; %bb.908:
	v_cmp_ngt_f32_e64 s1, |v116|, |v117|
	s_and_saveexec_b32 s12, s1
	s_delay_alu instid0(SALU_CYCLE_1)
	s_xor_b32 s1, exec_lo, s12
	s_cbranch_execz .LBB108_910
; %bb.909:
	v_div_scale_f32 v119, null, v117, v117, v116
	v_div_scale_f32 v127, vcc_lo, v116, v117, v116
	s_delay_alu instid0(VALU_DEP_2) | instskip(SKIP_1) | instid1(TRANS32_DEP_1)
	v_rcp_f32_e32 v125, v119
	v_nop
	v_fma_f32 v126, -v119, v125, 1.0
	s_delay_alu instid0(VALU_DEP_1) | instskip(NEXT) | instid1(VALU_DEP_1)
	v_fmac_f32_e32 v125, v126, v125
	v_mul_f32_e32 v126, v127, v125
	s_delay_alu instid0(VALU_DEP_1) | instskip(NEXT) | instid1(VALU_DEP_1)
	v_fma_f32 v128, -v119, v126, v127
	v_fmac_f32_e32 v126, v128, v125
	s_delay_alu instid0(VALU_DEP_1) | instskip(NEXT) | instid1(VALU_DEP_1)
	v_fma_f32 v119, -v119, v126, v127
	v_div_fmas_f32 v119, v119, v125, v126
	s_delay_alu instid0(VALU_DEP_1) | instskip(NEXT) | instid1(VALU_DEP_1)
	v_div_fixup_f32 v119, v119, v117, v116
	v_fmac_f32_e32 v117, v116, v119
	s_delay_alu instid0(VALU_DEP_1) | instskip(SKIP_1) | instid1(VALU_DEP_2)
	v_div_scale_f32 v116, null, v117, v117, 1.0
	v_div_scale_f32 v127, vcc_lo, 1.0, v117, 1.0
	v_rcp_f32_e32 v125, v116
	v_nop
	s_delay_alu instid0(TRANS32_DEP_1) | instskip(NEXT) | instid1(VALU_DEP_1)
	v_fma_f32 v126, -v116, v125, 1.0
	v_fmac_f32_e32 v125, v126, v125
	s_delay_alu instid0(VALU_DEP_1) | instskip(NEXT) | instid1(VALU_DEP_1)
	v_mul_f32_e32 v126, v127, v125
	v_fma_f32 v128, -v116, v126, v127
	s_delay_alu instid0(VALU_DEP_1) | instskip(NEXT) | instid1(VALU_DEP_1)
	v_fmac_f32_e32 v126, v128, v125
	v_fma_f32 v116, -v116, v126, v127
	s_delay_alu instid0(VALU_DEP_1) | instskip(NEXT) | instid1(VALU_DEP_1)
	v_div_fmas_f32 v116, v116, v125, v126
	v_div_fixup_f32 v117, v116, v117, 1.0
	s_delay_alu instid0(VALU_DEP_1)
	v_mul_f32_e32 v116, v119, v117
	v_xor_b32_e32 v117, 0x80000000, v117
.LBB108_910:
	s_and_not1_saveexec_b32 s1, s1
	s_cbranch_execz .LBB108_912
; %bb.911:
	s_delay_alu instid0(VALU_DEP_1) | instskip(SKIP_1) | instid1(VALU_DEP_2)
	v_div_scale_f32 v119, null, v116, v116, v117
	v_div_scale_f32 v127, vcc_lo, v117, v116, v117
	v_rcp_f32_e32 v125, v119
	v_nop
	s_delay_alu instid0(TRANS32_DEP_1) | instskip(NEXT) | instid1(VALU_DEP_1)
	v_fma_f32 v126, -v119, v125, 1.0
	v_fmac_f32_e32 v125, v126, v125
	s_delay_alu instid0(VALU_DEP_1) | instskip(NEXT) | instid1(VALU_DEP_1)
	v_mul_f32_e32 v126, v127, v125
	v_fma_f32 v128, -v119, v126, v127
	s_delay_alu instid0(VALU_DEP_1) | instskip(NEXT) | instid1(VALU_DEP_1)
	v_fmac_f32_e32 v126, v128, v125
	v_fma_f32 v119, -v119, v126, v127
	s_delay_alu instid0(VALU_DEP_1) | instskip(NEXT) | instid1(VALU_DEP_1)
	v_div_fmas_f32 v119, v119, v125, v126
	v_div_fixup_f32 v119, v119, v116, v117
	s_delay_alu instid0(VALU_DEP_1) | instskip(NEXT) | instid1(VALU_DEP_1)
	v_fmac_f32_e32 v116, v117, v119
	v_div_scale_f32 v117, null, v116, v116, 1.0
	s_delay_alu instid0(VALU_DEP_1) | instskip(SKIP_1) | instid1(TRANS32_DEP_1)
	v_rcp_f32_e32 v125, v117
	v_nop
	v_fma_f32 v126, -v117, v125, 1.0
	s_delay_alu instid0(VALU_DEP_1) | instskip(SKIP_1) | instid1(VALU_DEP_1)
	v_fmac_f32_e32 v125, v126, v125
	v_div_scale_f32 v126, vcc_lo, 1.0, v116, 1.0
	v_mul_f32_e32 v127, v126, v125
	s_delay_alu instid0(VALU_DEP_1) | instskip(NEXT) | instid1(VALU_DEP_1)
	v_fma_f32 v128, -v117, v127, v126
	v_fmac_f32_e32 v127, v128, v125
	s_delay_alu instid0(VALU_DEP_1) | instskip(NEXT) | instid1(VALU_DEP_1)
	v_fma_f32 v117, -v117, v127, v126
	v_div_fmas_f32 v117, v117, v125, v127
	s_delay_alu instid0(VALU_DEP_1) | instskip(NEXT) | instid1(VALU_DEP_1)
	v_div_fixup_f32 v116, v117, v116, 1.0
	v_mul_f32_e64 v117, v119, -v116
.LBB108_912:
	s_or_b32 exec_lo, exec_lo, s1
.LBB108_913:
	s_delay_alu instid0(SALU_CYCLE_1) | instskip(NEXT) | instid1(SALU_CYCLE_1)
	s_or_b32 exec_lo, exec_lo, s0
	s_mov_b32 s0, exec_lo
	v_cmpx_ne_u32_e64 v124, v118
	s_xor_b32 s0, exec_lo, s0
	s_cbranch_execz .LBB108_919
; %bb.914:
	s_mov_b32 s1, exec_lo
	v_cmpx_eq_u32_e32 43, v124
	s_cbranch_execz .LBB108_918
; %bb.915:
	v_cmp_ne_u32_e32 vcc_lo, 43, v118
	s_xor_b32 s12, s16, -1
	s_delay_alu instid0(SALU_CYCLE_1) | instskip(NEXT) | instid1(SALU_CYCLE_1)
	s_and_b32 s13, s12, vcc_lo
	s_and_saveexec_b32 s12, s13
	s_cbranch_execz .LBB108_917
; %bb.916:
	v_ashrrev_i32_e32 v119, 31, v118
	s_delay_alu instid0(VALU_DEP_1)
	v_lshl_add_u64 v[124:125], v[118:119], 2, v[4:5]
	s_clause 0x1
	global_load_b32 v119, v[124:125], off
	global_load_b32 v123, v[4:5], off offset:172
	s_wait_loadcnt 0x1
	global_store_b32 v[4:5], v119, off offset:172
	s_wait_loadcnt 0x0
	global_store_b32 v[124:125], v123, off
.LBB108_917:
	s_wait_xcnt 0x0
	s_or_b32 exec_lo, exec_lo, s12
	v_dual_mov_b32 v124, v118 :: v_dual_mov_b32 v123, v118
.LBB108_918:
	s_or_b32 exec_lo, exec_lo, s1
.LBB108_919:
	s_and_not1_saveexec_b32 s0, s0
	s_cbranch_execz .LBB108_921
; %bb.920:
	v_dual_mov_b32 v118, v64 :: v_dual_mov_b32 v119, v65
	v_dual_mov_b32 v124, v62 :: v_dual_mov_b32 v125, v63
	v_dual_mov_b32 v126, v10 :: v_dual_mov_b32 v127, v11
	v_dual_mov_b32 v128, v6 :: v_dual_mov_b32 v129, v7
	v_dual_mov_b32 v130, v52 :: v_dual_mov_b32 v131, v53
	v_dual_mov_b32 v132, v50 :: v_dual_mov_b32 v133, v51
	ds_store_2addr_b64 v120, v[118:119], v[124:125] offset0:44 offset1:45
	ds_store_2addr_b64 v120, v[126:127], v[128:129] offset0:46 offset1:47
	v_dual_mov_b32 v124, 43 :: v_dual_mov_b32 v134, v8
	v_dual_mov_b32 v135, v9 :: v_dual_mov_b32 v136, v30
	;; [unrolled: 1-line block ×4, first 2 shown]
	v_mov_b32_e32 v141, v25
	ds_store_2addr_b64 v120, v[130:131], v[132:133] offset0:48 offset1:49
	ds_store_2addr_b64 v120, v[134:135], v[136:137] offset0:50 offset1:51
	;; [unrolled: 1-line block ×3, first 2 shown]
	ds_store_b64 v120, v[114:115] offset:432
.LBB108_921:
	s_or_b32 exec_lo, exec_lo, s0
	s_delay_alu instid0(SALU_CYCLE_1)
	s_mov_b32 s0, exec_lo
	s_wait_storecnt_dscnt 0x0
	s_barrier_signal -1
	s_barrier_wait -1
	v_cmpx_lt_i32_e32 43, v124
	s_cbranch_execz .LBB108_923
; %bb.922:
	v_pk_mul_f32 v[118:119], v[116:117], v[12:13] op_sel:[1,1] op_sel_hi:[0,1]
	s_delay_alu instid0(VALU_DEP_1)
	v_pk_fma_f32 v[126:127], v[116:117], v[12:13], v[118:119] op_sel_hi:[1,0,1] neg_lo:[0,0,1] neg_hi:[0,0,1]
	v_pk_fma_f32 v[128:129], v[116:117], v[12:13], v[118:119] op_sel_hi:[1,0,1]
	ds_load_2addr_b64 v[116:119], v120 offset0:44 offset1:45
	v_dual_mov_b32 v12, v126 :: v_dual_mov_b32 v13, v129
	s_wait_dscnt 0x0
	v_pk_mul_f32 v[130:131], v[116:117], v[128:129] op_sel:[0,1]
	s_delay_alu instid0(VALU_DEP_1) | instskip(SKIP_1) | instid1(VALU_DEP_1)
	v_pk_fma_f32 v[132:133], v[116:117], v[126:127], v[130:131] op_sel:[0,0,1] op_sel_hi:[1,1,0] neg_lo:[0,0,1] neg_hi:[0,0,1]
	v_pk_fma_f32 v[116:117], v[116:117], v[126:127], v[130:131] op_sel:[0,0,1] op_sel_hi:[1,0,0]
	v_mov_b32_e32 v133, v117
	v_pk_mul_f32 v[116:117], v[118:119], v[128:129] op_sel:[0,1]
	s_delay_alu instid0(VALU_DEP_1) | instskip(SKIP_1) | instid1(VALU_DEP_1)
	v_pk_fma_f32 v[130:131], v[118:119], v[126:127], v[116:117] op_sel:[0,0,1] op_sel_hi:[1,1,0] neg_lo:[0,0,1] neg_hi:[0,0,1]
	v_pk_fma_f32 v[116:117], v[118:119], v[126:127], v[116:117] op_sel:[0,0,1] op_sel_hi:[1,0,0]
	v_mov_b32_e32 v131, v117
	ds_load_2addr_b64 v[116:119], v120 offset0:46 offset1:47
	v_pk_add_f32 v[64:65], v[64:65], v[132:133] neg_lo:[0,1] neg_hi:[0,1]
	v_pk_add_f32 v[62:63], v[62:63], v[130:131] neg_lo:[0,1] neg_hi:[0,1]
	s_wait_dscnt 0x0
	v_pk_mul_f32 v[130:131], v[116:117], v[128:129] op_sel:[0,1]
	s_delay_alu instid0(VALU_DEP_1) | instskip(SKIP_2) | instid1(VALU_DEP_2)
	v_pk_fma_f32 v[132:133], v[116:117], v[126:127], v[130:131] op_sel:[0,0,1] op_sel_hi:[1,1,0] neg_lo:[0,0,1] neg_hi:[0,0,1]
	v_pk_fma_f32 v[116:117], v[116:117], v[126:127], v[130:131] op_sel:[0,0,1] op_sel_hi:[1,0,0]
	v_dual_mul_f32 v130, v119, v129 :: v_dual_mov_b32 v116, v119
	v_dual_mov_b32 v133, v117 :: v_dual_mov_b32 v117, v118
	s_delay_alu instid0(VALU_DEP_2) | instskip(SKIP_1) | instid1(VALU_DEP_3)
	v_pk_fma_f32 v[130:131], v[118:119], v[12:13], v[130:131] op_sel_hi:[1,1,0] neg_lo:[0,0,1] neg_hi:[0,0,1]
	v_mul_f32_e32 v118, v119, v126
	v_pk_add_f32 v[10:11], v[10:11], v[132:133] neg_lo:[0,1] neg_hi:[0,1]
	s_delay_alu instid0(VALU_DEP_2) | instskip(NEXT) | instid1(VALU_DEP_1)
	v_pk_fma_f32 v[116:117], v[116:117], v[12:13], v[118:119] op_sel_hi:[1,1,0]
	v_mov_b32_e32 v131, v117
	ds_load_2addr_b64 v[116:119], v120 offset0:48 offset1:49
	v_pk_add_f32 v[6:7], v[6:7], v[130:131] neg_lo:[0,1] neg_hi:[0,1]
	s_wait_dscnt 0x0
	v_pk_mul_f32 v[130:131], v[116:117], v[128:129] op_sel:[0,1]
	s_delay_alu instid0(VALU_DEP_1) | instskip(SKIP_1) | instid1(VALU_DEP_1)
	v_pk_fma_f32 v[132:133], v[116:117], v[126:127], v[130:131] op_sel:[0,0,1] op_sel_hi:[1,1,0] neg_lo:[0,0,1] neg_hi:[0,0,1]
	v_pk_fma_f32 v[116:117], v[116:117], v[126:127], v[130:131] op_sel:[0,0,1] op_sel_hi:[1,0,0]
	v_mov_b32_e32 v133, v117
	v_pk_mul_f32 v[116:117], v[118:119], v[128:129] op_sel:[0,1]
	s_delay_alu instid0(VALU_DEP_1) | instskip(SKIP_1) | instid1(VALU_DEP_1)
	v_pk_fma_f32 v[130:131], v[118:119], v[126:127], v[116:117] op_sel:[0,0,1] op_sel_hi:[1,1,0] neg_lo:[0,0,1] neg_hi:[0,0,1]
	v_pk_fma_f32 v[116:117], v[118:119], v[126:127], v[116:117] op_sel:[0,0,1] op_sel_hi:[1,0,0]
	v_mov_b32_e32 v131, v117
	ds_load_2addr_b64 v[116:119], v120 offset0:50 offset1:51
	v_pk_add_f32 v[52:53], v[52:53], v[132:133] neg_lo:[0,1] neg_hi:[0,1]
	v_pk_add_f32 v[50:51], v[50:51], v[130:131] neg_lo:[0,1] neg_hi:[0,1]
	s_wait_dscnt 0x0
	v_pk_mul_f32 v[130:131], v[116:117], v[128:129] op_sel:[0,1]
	s_delay_alu instid0(VALU_DEP_1) | instskip(SKIP_1) | instid1(VALU_DEP_1)
	v_pk_fma_f32 v[132:133], v[116:117], v[126:127], v[130:131] op_sel:[0,0,1] op_sel_hi:[1,1,0] neg_lo:[0,0,1] neg_hi:[0,0,1]
	v_pk_fma_f32 v[116:117], v[116:117], v[126:127], v[130:131] op_sel:[0,0,1] op_sel_hi:[1,0,0]
	v_mov_b32_e32 v133, v117
	v_pk_mul_f32 v[116:117], v[118:119], v[128:129] op_sel:[0,1]
	s_delay_alu instid0(VALU_DEP_1) | instskip(SKIP_1) | instid1(VALU_DEP_1)
	v_pk_fma_f32 v[130:131], v[118:119], v[126:127], v[116:117] op_sel:[0,0,1] op_sel_hi:[1,1,0] neg_lo:[0,0,1] neg_hi:[0,0,1]
	v_pk_fma_f32 v[116:117], v[118:119], v[126:127], v[116:117] op_sel:[0,0,1] op_sel_hi:[1,0,0]
	v_mov_b32_e32 v131, v117
	ds_load_2addr_b64 v[116:119], v120 offset0:52 offset1:53
	v_pk_add_f32 v[8:9], v[8:9], v[132:133] neg_lo:[0,1] neg_hi:[0,1]
	v_pk_add_f32 v[30:31], v[30:31], v[130:131] neg_lo:[0,1] neg_hi:[0,1]
	s_wait_dscnt 0x0
	v_dual_mul_f32 v130, v117, v129 :: v_dual_mul_f32 v132, v117, v126
	s_delay_alu instid0(VALU_DEP_1) | instskip(NEXT) | instid1(VALU_DEP_2)
	v_pk_fma_f32 v[130:131], v[116:117], v[12:13], v[130:131] op_sel_hi:[1,1,0] neg_lo:[0,0,1] neg_hi:[0,0,1]
	v_pk_fma_f32 v[116:117], v[116:117], v[12:13], v[132:133] op_sel:[1,0,0] op_sel_hi:[0,1,0]
	s_delay_alu instid0(VALU_DEP_1) | instskip(SKIP_1) | instid1(VALU_DEP_2)
	v_mov_b32_e32 v131, v117
	v_pk_mul_f32 v[116:117], v[118:119], v[128:129] op_sel:[0,1]
	v_pk_add_f32 v[34:35], v[34:35], v[130:131] neg_lo:[0,1] neg_hi:[0,1]
	s_delay_alu instid0(VALU_DEP_2) | instskip(SKIP_1) | instid1(VALU_DEP_1)
	v_pk_fma_f32 v[130:131], v[118:119], v[126:127], v[116:117] op_sel:[0,0,1] op_sel_hi:[1,1,0] neg_lo:[0,0,1] neg_hi:[0,0,1]
	v_pk_fma_f32 v[116:117], v[118:119], v[126:127], v[116:117] op_sel:[0,0,1] op_sel_hi:[1,0,0]
	v_mov_b32_e32 v131, v117
	ds_load_b64 v[116:117], v120 offset:432
	v_pk_add_f32 v[24:25], v[24:25], v[130:131] neg_lo:[0,1] neg_hi:[0,1]
	s_wait_dscnt 0x0
	v_pk_mul_f32 v[118:119], v[116:117], v[128:129] op_sel:[0,1]
	s_delay_alu instid0(VALU_DEP_1) | instskip(SKIP_1) | instid1(VALU_DEP_1)
	v_pk_fma_f32 v[128:129], v[116:117], v[126:127], v[118:119] op_sel:[0,0,1] op_sel_hi:[1,1,0] neg_lo:[0,0,1] neg_hi:[0,0,1]
	v_pk_fma_f32 v[116:117], v[116:117], v[126:127], v[118:119] op_sel:[0,0,1] op_sel_hi:[1,0,0]
	v_mov_b32_e32 v129, v117
	s_delay_alu instid0(VALU_DEP_1)
	v_pk_add_f32 v[114:115], v[114:115], v[128:129] neg_lo:[0,1] neg_hi:[0,1]
.LBB108_923:
	s_or_b32 exec_lo, exec_lo, s0
	v_lshl_add_u32 v116, v124, 3, v120
	s_barrier_signal -1
	s_barrier_wait -1
	ds_store_b64 v116, v[64:65]
	s_wait_dscnt 0x0
	s_barrier_signal -1
	s_barrier_wait -1
	ds_load_b64 v[116:117], v120 offset:352
	v_mov_b32_e32 v118, 44
	s_cmp_lt_i32 s18, 46
	s_cbranch_scc1 .LBB108_926
; %bb.924:
	v_add3_u32 v119, v121, 0, 0x168
	v_mov_b32_e32 v118, 44
	s_mov_b32 s0, 45
.LBB108_925:                            ; =>This Inner Loop Header: Depth=1
	ds_load_b64 v[126:127], v119
	s_wait_dscnt 0x1
	v_cmp_gt_f32_e32 vcc_lo, 0, v116
	v_cndmask_b32_e64 v128, v116, -v116, vcc_lo
	v_cmp_gt_f32_e32 vcc_lo, 0, v117
	v_cndmask_b32_e64 v130, v117, -v117, vcc_lo
	s_wait_dscnt 0x0
	v_cmp_gt_f32_e32 vcc_lo, 0, v126
	v_cndmask_b32_e64 v129, v126, -v126, vcc_lo
	v_cmp_gt_f32_e32 vcc_lo, 0, v127
	v_cndmask_b32_e64 v131, v127, -v127, vcc_lo
	s_delay_alu instid0(VALU_DEP_1) | instskip(NEXT) | instid1(VALU_DEP_1)
	v_pk_add_f32 v[128:129], v[128:129], v[130:131]
	v_cmp_lt_f32_e32 vcc_lo, v128, v129
	v_dual_cndmask_b32 v116, v116, v126 :: v_dual_add_nc_u32 v119, 8, v119
	v_cndmask_b32_e32 v117, v117, v127, vcc_lo
	v_cndmask_b32_e64 v118, v118, s0, vcc_lo
	s_add_co_i32 s0, s0, 1
	s_delay_alu instid0(SALU_CYCLE_1)
	s_cmp_lg_u32 s18, s0
	s_cbranch_scc1 .LBB108_925
.LBB108_926:
	s_wait_dscnt 0x0
	v_cmp_eq_f32_e32 vcc_lo, 0, v116
	v_cmp_eq_f32_e64 s0, 0, v117
	s_and_b32 s0, vcc_lo, s0
	s_delay_alu instid0(SALU_CYCLE_1) | instskip(NEXT) | instid1(SALU_CYCLE_1)
	s_and_saveexec_b32 s1, s0
	s_xor_b32 s0, exec_lo, s1
; %bb.927:
	v_cmp_ne_u32_e32 vcc_lo, 0, v122
	v_cndmask_b32_e32 v122, 45, v122, vcc_lo
; %bb.928:
	s_and_not1_saveexec_b32 s0, s0
	s_cbranch_execz .LBB108_934
; %bb.929:
	v_cmp_ngt_f32_e64 s1, |v116|, |v117|
	s_and_saveexec_b32 s12, s1
	s_delay_alu instid0(SALU_CYCLE_1)
	s_xor_b32 s1, exec_lo, s12
	s_cbranch_execz .LBB108_931
; %bb.930:
	v_div_scale_f32 v119, null, v117, v117, v116
	v_div_scale_f32 v127, vcc_lo, v116, v117, v116
	s_delay_alu instid0(VALU_DEP_2) | instskip(SKIP_1) | instid1(TRANS32_DEP_1)
	v_rcp_f32_e32 v125, v119
	v_nop
	v_fma_f32 v126, -v119, v125, 1.0
	s_delay_alu instid0(VALU_DEP_1) | instskip(NEXT) | instid1(VALU_DEP_1)
	v_fmac_f32_e32 v125, v126, v125
	v_mul_f32_e32 v126, v127, v125
	s_delay_alu instid0(VALU_DEP_1) | instskip(NEXT) | instid1(VALU_DEP_1)
	v_fma_f32 v128, -v119, v126, v127
	v_fmac_f32_e32 v126, v128, v125
	s_delay_alu instid0(VALU_DEP_1) | instskip(NEXT) | instid1(VALU_DEP_1)
	v_fma_f32 v119, -v119, v126, v127
	v_div_fmas_f32 v119, v119, v125, v126
	s_delay_alu instid0(VALU_DEP_1) | instskip(NEXT) | instid1(VALU_DEP_1)
	v_div_fixup_f32 v119, v119, v117, v116
	v_fmac_f32_e32 v117, v116, v119
	s_delay_alu instid0(VALU_DEP_1) | instskip(SKIP_1) | instid1(VALU_DEP_2)
	v_div_scale_f32 v116, null, v117, v117, 1.0
	v_div_scale_f32 v127, vcc_lo, 1.0, v117, 1.0
	v_rcp_f32_e32 v125, v116
	v_nop
	s_delay_alu instid0(TRANS32_DEP_1) | instskip(NEXT) | instid1(VALU_DEP_1)
	v_fma_f32 v126, -v116, v125, 1.0
	v_fmac_f32_e32 v125, v126, v125
	s_delay_alu instid0(VALU_DEP_1) | instskip(NEXT) | instid1(VALU_DEP_1)
	v_mul_f32_e32 v126, v127, v125
	v_fma_f32 v128, -v116, v126, v127
	s_delay_alu instid0(VALU_DEP_1) | instskip(NEXT) | instid1(VALU_DEP_1)
	v_fmac_f32_e32 v126, v128, v125
	v_fma_f32 v116, -v116, v126, v127
	s_delay_alu instid0(VALU_DEP_1) | instskip(NEXT) | instid1(VALU_DEP_1)
	v_div_fmas_f32 v116, v116, v125, v126
	v_div_fixup_f32 v117, v116, v117, 1.0
	s_delay_alu instid0(VALU_DEP_1)
	v_mul_f32_e32 v116, v119, v117
	v_xor_b32_e32 v117, 0x80000000, v117
.LBB108_931:
	s_and_not1_saveexec_b32 s1, s1
	s_cbranch_execz .LBB108_933
; %bb.932:
	s_delay_alu instid0(VALU_DEP_1) | instskip(SKIP_1) | instid1(VALU_DEP_2)
	v_div_scale_f32 v119, null, v116, v116, v117
	v_div_scale_f32 v127, vcc_lo, v117, v116, v117
	v_rcp_f32_e32 v125, v119
	v_nop
	s_delay_alu instid0(TRANS32_DEP_1) | instskip(NEXT) | instid1(VALU_DEP_1)
	v_fma_f32 v126, -v119, v125, 1.0
	v_fmac_f32_e32 v125, v126, v125
	s_delay_alu instid0(VALU_DEP_1) | instskip(NEXT) | instid1(VALU_DEP_1)
	v_mul_f32_e32 v126, v127, v125
	v_fma_f32 v128, -v119, v126, v127
	s_delay_alu instid0(VALU_DEP_1) | instskip(NEXT) | instid1(VALU_DEP_1)
	v_fmac_f32_e32 v126, v128, v125
	v_fma_f32 v119, -v119, v126, v127
	s_delay_alu instid0(VALU_DEP_1) | instskip(NEXT) | instid1(VALU_DEP_1)
	v_div_fmas_f32 v119, v119, v125, v126
	v_div_fixup_f32 v119, v119, v116, v117
	s_delay_alu instid0(VALU_DEP_1) | instskip(NEXT) | instid1(VALU_DEP_1)
	v_fmac_f32_e32 v116, v117, v119
	v_div_scale_f32 v117, null, v116, v116, 1.0
	s_delay_alu instid0(VALU_DEP_1) | instskip(SKIP_1) | instid1(TRANS32_DEP_1)
	v_rcp_f32_e32 v125, v117
	v_nop
	v_fma_f32 v126, -v117, v125, 1.0
	s_delay_alu instid0(VALU_DEP_1) | instskip(SKIP_1) | instid1(VALU_DEP_1)
	v_fmac_f32_e32 v125, v126, v125
	v_div_scale_f32 v126, vcc_lo, 1.0, v116, 1.0
	v_mul_f32_e32 v127, v126, v125
	s_delay_alu instid0(VALU_DEP_1) | instskip(NEXT) | instid1(VALU_DEP_1)
	v_fma_f32 v128, -v117, v127, v126
	v_fmac_f32_e32 v127, v128, v125
	s_delay_alu instid0(VALU_DEP_1) | instskip(NEXT) | instid1(VALU_DEP_1)
	v_fma_f32 v117, -v117, v127, v126
	v_div_fmas_f32 v117, v117, v125, v127
	s_delay_alu instid0(VALU_DEP_1) | instskip(NEXT) | instid1(VALU_DEP_1)
	v_div_fixup_f32 v116, v117, v116, 1.0
	v_mul_f32_e64 v117, v119, -v116
.LBB108_933:
	s_or_b32 exec_lo, exec_lo, s1
.LBB108_934:
	s_delay_alu instid0(SALU_CYCLE_1) | instskip(NEXT) | instid1(SALU_CYCLE_1)
	s_or_b32 exec_lo, exec_lo, s0
	s_mov_b32 s0, exec_lo
	v_cmpx_ne_u32_e64 v124, v118
	s_xor_b32 s0, exec_lo, s0
	s_cbranch_execz .LBB108_940
; %bb.935:
	s_mov_b32 s1, exec_lo
	v_cmpx_eq_u32_e32 44, v124
	s_cbranch_execz .LBB108_939
; %bb.936:
	v_cmp_ne_u32_e32 vcc_lo, 44, v118
	s_xor_b32 s12, s16, -1
	s_delay_alu instid0(SALU_CYCLE_1) | instskip(NEXT) | instid1(SALU_CYCLE_1)
	s_and_b32 s13, s12, vcc_lo
	s_and_saveexec_b32 s12, s13
	s_cbranch_execz .LBB108_938
; %bb.937:
	v_ashrrev_i32_e32 v119, 31, v118
	s_delay_alu instid0(VALU_DEP_1)
	v_lshl_add_u64 v[124:125], v[118:119], 2, v[4:5]
	s_clause 0x1
	global_load_b32 v119, v[124:125], off
	global_load_b32 v123, v[4:5], off offset:176
	s_wait_loadcnt 0x1
	global_store_b32 v[4:5], v119, off offset:176
	s_wait_loadcnt 0x0
	global_store_b32 v[124:125], v123, off
.LBB108_938:
	s_wait_xcnt 0x0
	s_or_b32 exec_lo, exec_lo, s12
	v_dual_mov_b32 v124, v118 :: v_dual_mov_b32 v123, v118
.LBB108_939:
	s_or_b32 exec_lo, exec_lo, s1
.LBB108_940:
	s_and_not1_saveexec_b32 s0, s0
	s_cbranch_execz .LBB108_942
; %bb.941:
	v_mov_b32_e32 v124, 44
	ds_store_2addr_b64 v120, v[62:63], v[10:11] offset0:45 offset1:46
	ds_store_2addr_b64 v120, v[6:7], v[52:53] offset0:47 offset1:48
	ds_store_2addr_b64 v120, v[50:51], v[8:9] offset0:49 offset1:50
	ds_store_2addr_b64 v120, v[30:31], v[34:35] offset0:51 offset1:52
	ds_store_2addr_b64 v120, v[24:25], v[114:115] offset0:53 offset1:54
.LBB108_942:
	s_or_b32 exec_lo, exec_lo, s0
	s_delay_alu instid0(SALU_CYCLE_1)
	s_mov_b32 s0, exec_lo
	s_wait_storecnt_dscnt 0x0
	s_barrier_signal -1
	s_barrier_wait -1
	v_cmpx_lt_i32_e32 44, v124
	s_cbranch_execz .LBB108_944
; %bb.943:
	v_pk_mul_f32 v[118:119], v[116:117], v[64:65] op_sel:[1,1] op_sel_hi:[0,1]
	s_delay_alu instid0(VALU_DEP_1)
	v_pk_fma_f32 v[126:127], v[116:117], v[64:65], v[118:119] op_sel_hi:[1,0,1] neg_lo:[0,0,1] neg_hi:[0,0,1]
	v_pk_fma_f32 v[128:129], v[116:117], v[64:65], v[118:119] op_sel_hi:[1,0,1]
	ds_load_2addr_b64 v[116:119], v120 offset0:45 offset1:46
	v_dual_mov_b32 v64, v126 :: v_dual_mov_b32 v65, v129
	s_wait_dscnt 0x0
	v_pk_mul_f32 v[130:131], v[116:117], v[128:129] op_sel:[0,1]
	s_delay_alu instid0(VALU_DEP_1) | instskip(SKIP_1) | instid1(VALU_DEP_1)
	v_pk_fma_f32 v[132:133], v[116:117], v[126:127], v[130:131] op_sel:[0,0,1] op_sel_hi:[1,1,0] neg_lo:[0,0,1] neg_hi:[0,0,1]
	v_pk_fma_f32 v[116:117], v[116:117], v[126:127], v[130:131] op_sel:[0,0,1] op_sel_hi:[1,0,0]
	v_mov_b32_e32 v133, v117
	v_pk_mul_f32 v[116:117], v[118:119], v[128:129] op_sel:[0,1]
	s_delay_alu instid0(VALU_DEP_1) | instskip(SKIP_1) | instid1(VALU_DEP_1)
	v_pk_fma_f32 v[130:131], v[118:119], v[126:127], v[116:117] op_sel:[0,0,1] op_sel_hi:[1,1,0] neg_lo:[0,0,1] neg_hi:[0,0,1]
	v_pk_fma_f32 v[116:117], v[118:119], v[126:127], v[116:117] op_sel:[0,0,1] op_sel_hi:[1,0,0]
	v_mov_b32_e32 v131, v117
	ds_load_2addr_b64 v[116:119], v120 offset0:47 offset1:48
	v_pk_add_f32 v[62:63], v[62:63], v[132:133] neg_lo:[0,1] neg_hi:[0,1]
	v_pk_add_f32 v[10:11], v[10:11], v[130:131] neg_lo:[0,1] neg_hi:[0,1]
	s_wait_dscnt 0x0
	v_pk_mul_f32 v[130:131], v[116:117], v[128:129] op_sel:[0,1]
	s_delay_alu instid0(VALU_DEP_1) | instskip(SKIP_2) | instid1(VALU_DEP_2)
	v_pk_fma_f32 v[132:133], v[116:117], v[126:127], v[130:131] op_sel:[0,0,1] op_sel_hi:[1,1,0] neg_lo:[0,0,1] neg_hi:[0,0,1]
	v_pk_fma_f32 v[116:117], v[116:117], v[126:127], v[130:131] op_sel:[0,0,1] op_sel_hi:[1,0,0]
	v_dual_mul_f32 v130, v119, v129 :: v_dual_mov_b32 v116, v119
	v_dual_mov_b32 v133, v117 :: v_dual_mov_b32 v117, v118
	s_delay_alu instid0(VALU_DEP_2) | instskip(SKIP_1) | instid1(VALU_DEP_3)
	v_pk_fma_f32 v[130:131], v[118:119], v[64:65], v[130:131] op_sel_hi:[1,1,0] neg_lo:[0,0,1] neg_hi:[0,0,1]
	v_mul_f32_e32 v118, v119, v126
	v_pk_add_f32 v[6:7], v[6:7], v[132:133] neg_lo:[0,1] neg_hi:[0,1]
	s_delay_alu instid0(VALU_DEP_2) | instskip(NEXT) | instid1(VALU_DEP_1)
	v_pk_fma_f32 v[116:117], v[116:117], v[64:65], v[118:119] op_sel_hi:[1,1,0]
	v_mov_b32_e32 v131, v117
	ds_load_2addr_b64 v[116:119], v120 offset0:49 offset1:50
	v_pk_add_f32 v[52:53], v[52:53], v[130:131] neg_lo:[0,1] neg_hi:[0,1]
	s_wait_dscnt 0x0
	v_pk_mul_f32 v[130:131], v[116:117], v[128:129] op_sel:[0,1]
	s_delay_alu instid0(VALU_DEP_1) | instskip(SKIP_1) | instid1(VALU_DEP_1)
	v_pk_fma_f32 v[132:133], v[116:117], v[126:127], v[130:131] op_sel:[0,0,1] op_sel_hi:[1,1,0] neg_lo:[0,0,1] neg_hi:[0,0,1]
	v_pk_fma_f32 v[116:117], v[116:117], v[126:127], v[130:131] op_sel:[0,0,1] op_sel_hi:[1,0,0]
	v_mov_b32_e32 v133, v117
	v_pk_mul_f32 v[116:117], v[118:119], v[128:129] op_sel:[0,1]
	s_delay_alu instid0(VALU_DEP_1) | instskip(SKIP_1) | instid1(VALU_DEP_1)
	v_pk_fma_f32 v[130:131], v[118:119], v[126:127], v[116:117] op_sel:[0,0,1] op_sel_hi:[1,1,0] neg_lo:[0,0,1] neg_hi:[0,0,1]
	v_pk_fma_f32 v[116:117], v[118:119], v[126:127], v[116:117] op_sel:[0,0,1] op_sel_hi:[1,0,0]
	v_mov_b32_e32 v131, v117
	ds_load_2addr_b64 v[116:119], v120 offset0:51 offset1:52
	v_pk_add_f32 v[50:51], v[50:51], v[132:133] neg_lo:[0,1] neg_hi:[0,1]
	v_pk_add_f32 v[8:9], v[8:9], v[130:131] neg_lo:[0,1] neg_hi:[0,1]
	s_wait_dscnt 0x0
	v_pk_mul_f32 v[130:131], v[116:117], v[128:129] op_sel:[0,1]
	s_delay_alu instid0(VALU_DEP_1) | instskip(SKIP_1) | instid1(VALU_DEP_1)
	v_pk_fma_f32 v[132:133], v[116:117], v[126:127], v[130:131] op_sel:[0,0,1] op_sel_hi:[1,1,0] neg_lo:[0,0,1] neg_hi:[0,0,1]
	v_pk_fma_f32 v[116:117], v[116:117], v[126:127], v[130:131] op_sel:[0,0,1] op_sel_hi:[1,0,0]
	v_mov_b32_e32 v133, v117
	v_pk_mul_f32 v[116:117], v[118:119], v[128:129] op_sel:[0,1]
	s_delay_alu instid0(VALU_DEP_1) | instskip(SKIP_1) | instid1(VALU_DEP_1)
	v_pk_fma_f32 v[130:131], v[118:119], v[126:127], v[116:117] op_sel:[0,0,1] op_sel_hi:[1,1,0] neg_lo:[0,0,1] neg_hi:[0,0,1]
	v_pk_fma_f32 v[116:117], v[118:119], v[126:127], v[116:117] op_sel:[0,0,1] op_sel_hi:[1,0,0]
	v_mov_b32_e32 v131, v117
	ds_load_2addr_b64 v[116:119], v120 offset0:53 offset1:54
	v_pk_add_f32 v[30:31], v[30:31], v[132:133] neg_lo:[0,1] neg_hi:[0,1]
	v_pk_add_f32 v[34:35], v[34:35], v[130:131] neg_lo:[0,1] neg_hi:[0,1]
	s_wait_dscnt 0x0
	v_dual_mul_f32 v130, v117, v129 :: v_dual_mul_f32 v132, v117, v126
	s_delay_alu instid0(VALU_DEP_1) | instskip(NEXT) | instid1(VALU_DEP_2)
	v_pk_fma_f32 v[130:131], v[116:117], v[64:65], v[130:131] op_sel_hi:[1,1,0] neg_lo:[0,0,1] neg_hi:[0,0,1]
	v_pk_fma_f32 v[116:117], v[116:117], v[64:65], v[132:133] op_sel:[1,0,0] op_sel_hi:[0,1,0]
	s_delay_alu instid0(VALU_DEP_1) | instskip(SKIP_1) | instid1(VALU_DEP_1)
	v_mov_b32_e32 v131, v117
	v_pk_mul_f32 v[116:117], v[118:119], v[128:129] op_sel:[0,1]
	v_pk_fma_f32 v[128:129], v[118:119], v[126:127], v[116:117] op_sel:[0,0,1] op_sel_hi:[1,1,0] neg_lo:[0,0,1] neg_hi:[0,0,1]
	v_pk_fma_f32 v[116:117], v[118:119], v[126:127], v[116:117] op_sel:[0,0,1] op_sel_hi:[1,0,0]
	s_delay_alu instid0(VALU_DEP_1) | instskip(SKIP_1) | instid1(VALU_DEP_2)
	v_mov_b32_e32 v129, v117
	v_pk_add_f32 v[24:25], v[24:25], v[130:131] neg_lo:[0,1] neg_hi:[0,1]
	v_pk_add_f32 v[114:115], v[114:115], v[128:129] neg_lo:[0,1] neg_hi:[0,1]
.LBB108_944:
	s_or_b32 exec_lo, exec_lo, s0
	v_lshl_add_u32 v116, v124, 3, v120
	s_barrier_signal -1
	s_barrier_wait -1
	ds_store_b64 v116, v[62:63]
	s_wait_dscnt 0x0
	s_barrier_signal -1
	s_barrier_wait -1
	ds_load_b64 v[116:117], v120 offset:360
	v_mov_b32_e32 v118, 45
	s_cmp_lt_i32 s18, 47
	s_cbranch_scc1 .LBB108_947
; %bb.945:
	v_add3_u32 v119, v121, 0, 0x170
	v_mov_b32_e32 v118, 45
	s_mov_b32 s0, 46
.LBB108_946:                            ; =>This Inner Loop Header: Depth=1
	ds_load_b64 v[126:127], v119
	s_wait_dscnt 0x1
	v_cmp_gt_f32_e32 vcc_lo, 0, v116
	v_cndmask_b32_e64 v128, v116, -v116, vcc_lo
	v_cmp_gt_f32_e32 vcc_lo, 0, v117
	v_cndmask_b32_e64 v130, v117, -v117, vcc_lo
	s_wait_dscnt 0x0
	v_cmp_gt_f32_e32 vcc_lo, 0, v126
	v_cndmask_b32_e64 v129, v126, -v126, vcc_lo
	v_cmp_gt_f32_e32 vcc_lo, 0, v127
	v_cndmask_b32_e64 v131, v127, -v127, vcc_lo
	s_delay_alu instid0(VALU_DEP_1) | instskip(NEXT) | instid1(VALU_DEP_1)
	v_pk_add_f32 v[128:129], v[128:129], v[130:131]
	v_cmp_lt_f32_e32 vcc_lo, v128, v129
	v_dual_cndmask_b32 v116, v116, v126 :: v_dual_add_nc_u32 v119, 8, v119
	v_cndmask_b32_e32 v117, v117, v127, vcc_lo
	v_cndmask_b32_e64 v118, v118, s0, vcc_lo
	s_add_co_i32 s0, s0, 1
	s_delay_alu instid0(SALU_CYCLE_1)
	s_cmp_lg_u32 s18, s0
	s_cbranch_scc1 .LBB108_946
.LBB108_947:
	s_wait_dscnt 0x0
	v_cmp_eq_f32_e32 vcc_lo, 0, v116
	v_cmp_eq_f32_e64 s0, 0, v117
	s_and_b32 s0, vcc_lo, s0
	s_delay_alu instid0(SALU_CYCLE_1) | instskip(NEXT) | instid1(SALU_CYCLE_1)
	s_and_saveexec_b32 s1, s0
	s_xor_b32 s0, exec_lo, s1
; %bb.948:
	v_cmp_ne_u32_e32 vcc_lo, 0, v122
	v_cndmask_b32_e32 v122, 46, v122, vcc_lo
; %bb.949:
	s_and_not1_saveexec_b32 s0, s0
	s_cbranch_execz .LBB108_955
; %bb.950:
	v_cmp_ngt_f32_e64 s1, |v116|, |v117|
	s_and_saveexec_b32 s12, s1
	s_delay_alu instid0(SALU_CYCLE_1)
	s_xor_b32 s1, exec_lo, s12
	s_cbranch_execz .LBB108_952
; %bb.951:
	v_div_scale_f32 v119, null, v117, v117, v116
	v_div_scale_f32 v127, vcc_lo, v116, v117, v116
	s_delay_alu instid0(VALU_DEP_2) | instskip(SKIP_1) | instid1(TRANS32_DEP_1)
	v_rcp_f32_e32 v125, v119
	v_nop
	v_fma_f32 v126, -v119, v125, 1.0
	s_delay_alu instid0(VALU_DEP_1) | instskip(NEXT) | instid1(VALU_DEP_1)
	v_fmac_f32_e32 v125, v126, v125
	v_mul_f32_e32 v126, v127, v125
	s_delay_alu instid0(VALU_DEP_1) | instskip(NEXT) | instid1(VALU_DEP_1)
	v_fma_f32 v128, -v119, v126, v127
	v_fmac_f32_e32 v126, v128, v125
	s_delay_alu instid0(VALU_DEP_1) | instskip(NEXT) | instid1(VALU_DEP_1)
	v_fma_f32 v119, -v119, v126, v127
	v_div_fmas_f32 v119, v119, v125, v126
	s_delay_alu instid0(VALU_DEP_1) | instskip(NEXT) | instid1(VALU_DEP_1)
	v_div_fixup_f32 v119, v119, v117, v116
	v_fmac_f32_e32 v117, v116, v119
	s_delay_alu instid0(VALU_DEP_1) | instskip(SKIP_1) | instid1(VALU_DEP_2)
	v_div_scale_f32 v116, null, v117, v117, 1.0
	v_div_scale_f32 v127, vcc_lo, 1.0, v117, 1.0
	v_rcp_f32_e32 v125, v116
	v_nop
	s_delay_alu instid0(TRANS32_DEP_1) | instskip(NEXT) | instid1(VALU_DEP_1)
	v_fma_f32 v126, -v116, v125, 1.0
	v_fmac_f32_e32 v125, v126, v125
	s_delay_alu instid0(VALU_DEP_1) | instskip(NEXT) | instid1(VALU_DEP_1)
	v_mul_f32_e32 v126, v127, v125
	v_fma_f32 v128, -v116, v126, v127
	s_delay_alu instid0(VALU_DEP_1) | instskip(NEXT) | instid1(VALU_DEP_1)
	v_fmac_f32_e32 v126, v128, v125
	v_fma_f32 v116, -v116, v126, v127
	s_delay_alu instid0(VALU_DEP_1) | instskip(NEXT) | instid1(VALU_DEP_1)
	v_div_fmas_f32 v116, v116, v125, v126
	v_div_fixup_f32 v117, v116, v117, 1.0
	s_delay_alu instid0(VALU_DEP_1)
	v_mul_f32_e32 v116, v119, v117
	v_xor_b32_e32 v117, 0x80000000, v117
.LBB108_952:
	s_and_not1_saveexec_b32 s1, s1
	s_cbranch_execz .LBB108_954
; %bb.953:
	s_delay_alu instid0(VALU_DEP_1) | instskip(SKIP_1) | instid1(VALU_DEP_2)
	v_div_scale_f32 v119, null, v116, v116, v117
	v_div_scale_f32 v127, vcc_lo, v117, v116, v117
	v_rcp_f32_e32 v125, v119
	v_nop
	s_delay_alu instid0(TRANS32_DEP_1) | instskip(NEXT) | instid1(VALU_DEP_1)
	v_fma_f32 v126, -v119, v125, 1.0
	v_fmac_f32_e32 v125, v126, v125
	s_delay_alu instid0(VALU_DEP_1) | instskip(NEXT) | instid1(VALU_DEP_1)
	v_mul_f32_e32 v126, v127, v125
	v_fma_f32 v128, -v119, v126, v127
	s_delay_alu instid0(VALU_DEP_1) | instskip(NEXT) | instid1(VALU_DEP_1)
	v_fmac_f32_e32 v126, v128, v125
	v_fma_f32 v119, -v119, v126, v127
	s_delay_alu instid0(VALU_DEP_1) | instskip(NEXT) | instid1(VALU_DEP_1)
	v_div_fmas_f32 v119, v119, v125, v126
	v_div_fixup_f32 v119, v119, v116, v117
	s_delay_alu instid0(VALU_DEP_1) | instskip(NEXT) | instid1(VALU_DEP_1)
	v_fmac_f32_e32 v116, v117, v119
	v_div_scale_f32 v117, null, v116, v116, 1.0
	s_delay_alu instid0(VALU_DEP_1) | instskip(SKIP_1) | instid1(TRANS32_DEP_1)
	v_rcp_f32_e32 v125, v117
	v_nop
	v_fma_f32 v126, -v117, v125, 1.0
	s_delay_alu instid0(VALU_DEP_1) | instskip(SKIP_1) | instid1(VALU_DEP_1)
	v_fmac_f32_e32 v125, v126, v125
	v_div_scale_f32 v126, vcc_lo, 1.0, v116, 1.0
	v_mul_f32_e32 v127, v126, v125
	s_delay_alu instid0(VALU_DEP_1) | instskip(NEXT) | instid1(VALU_DEP_1)
	v_fma_f32 v128, -v117, v127, v126
	v_fmac_f32_e32 v127, v128, v125
	s_delay_alu instid0(VALU_DEP_1) | instskip(NEXT) | instid1(VALU_DEP_1)
	v_fma_f32 v117, -v117, v127, v126
	v_div_fmas_f32 v117, v117, v125, v127
	s_delay_alu instid0(VALU_DEP_1) | instskip(NEXT) | instid1(VALU_DEP_1)
	v_div_fixup_f32 v116, v117, v116, 1.0
	v_mul_f32_e64 v117, v119, -v116
.LBB108_954:
	s_or_b32 exec_lo, exec_lo, s1
.LBB108_955:
	s_delay_alu instid0(SALU_CYCLE_1) | instskip(NEXT) | instid1(SALU_CYCLE_1)
	s_or_b32 exec_lo, exec_lo, s0
	s_mov_b32 s0, exec_lo
	v_cmpx_ne_u32_e64 v124, v118
	s_xor_b32 s0, exec_lo, s0
	s_cbranch_execz .LBB108_961
; %bb.956:
	s_mov_b32 s1, exec_lo
	v_cmpx_eq_u32_e32 45, v124
	s_cbranch_execz .LBB108_960
; %bb.957:
	v_cmp_ne_u32_e32 vcc_lo, 45, v118
	s_xor_b32 s12, s16, -1
	s_delay_alu instid0(SALU_CYCLE_1) | instskip(NEXT) | instid1(SALU_CYCLE_1)
	s_and_b32 s13, s12, vcc_lo
	s_and_saveexec_b32 s12, s13
	s_cbranch_execz .LBB108_959
; %bb.958:
	v_ashrrev_i32_e32 v119, 31, v118
	s_delay_alu instid0(VALU_DEP_1)
	v_lshl_add_u64 v[124:125], v[118:119], 2, v[4:5]
	s_clause 0x1
	global_load_b32 v119, v[124:125], off
	global_load_b32 v123, v[4:5], off offset:180
	s_wait_loadcnt 0x1
	global_store_b32 v[4:5], v119, off offset:180
	s_wait_loadcnt 0x0
	global_store_b32 v[124:125], v123, off
.LBB108_959:
	s_wait_xcnt 0x0
	s_or_b32 exec_lo, exec_lo, s12
	v_dual_mov_b32 v124, v118 :: v_dual_mov_b32 v123, v118
.LBB108_960:
	s_or_b32 exec_lo, exec_lo, s1
.LBB108_961:
	s_and_not1_saveexec_b32 s0, s0
	s_cbranch_execz .LBB108_963
; %bb.962:
	v_dual_mov_b32 v118, v10 :: v_dual_mov_b32 v119, v11
	v_dual_mov_b32 v126, v6 :: v_dual_mov_b32 v127, v7
	;; [unrolled: 1-line block ×8, first 2 shown]
	v_mov_b32_e32 v139, v25
	ds_store_2addr_b64 v120, v[118:119], v[126:127] offset0:46 offset1:47
	ds_store_2addr_b64 v120, v[128:129], v[130:131] offset0:48 offset1:49
	ds_store_2addr_b64 v120, v[132:133], v[134:135] offset0:50 offset1:51
	ds_store_2addr_b64 v120, v[136:137], v[138:139] offset0:52 offset1:53
	ds_store_b64 v120, v[114:115] offset:432
.LBB108_963:
	s_or_b32 exec_lo, exec_lo, s0
	s_delay_alu instid0(SALU_CYCLE_1)
	s_mov_b32 s0, exec_lo
	s_wait_storecnt_dscnt 0x0
	s_barrier_signal -1
	s_barrier_wait -1
	v_cmpx_lt_i32_e32 45, v124
	s_cbranch_execz .LBB108_965
; %bb.964:
	v_pk_mul_f32 v[118:119], v[116:117], v[62:63] op_sel:[1,1] op_sel_hi:[0,1]
	s_delay_alu instid0(VALU_DEP_1)
	v_pk_fma_f32 v[126:127], v[116:117], v[62:63], v[118:119] op_sel_hi:[1,0,1] neg_lo:[0,0,1] neg_hi:[0,0,1]
	v_pk_fma_f32 v[128:129], v[116:117], v[62:63], v[118:119] op_sel_hi:[1,0,1]
	ds_load_2addr_b64 v[116:119], v120 offset0:46 offset1:47
	v_dual_mov_b32 v62, v126 :: v_dual_mov_b32 v63, v129
	s_wait_dscnt 0x0
	v_pk_mul_f32 v[130:131], v[116:117], v[128:129] op_sel:[0,1]
	s_delay_alu instid0(VALU_DEP_1) | instskip(SKIP_1) | instid1(VALU_DEP_1)
	v_pk_fma_f32 v[132:133], v[116:117], v[126:127], v[130:131] op_sel:[0,0,1] op_sel_hi:[1,1,0] neg_lo:[0,0,1] neg_hi:[0,0,1]
	v_pk_fma_f32 v[116:117], v[116:117], v[126:127], v[130:131] op_sel:[0,0,1] op_sel_hi:[1,0,0]
	v_mov_b32_e32 v133, v117
	v_pk_mul_f32 v[116:117], v[118:119], v[128:129] op_sel:[0,1]
	s_delay_alu instid0(VALU_DEP_1) | instskip(SKIP_1) | instid1(VALU_DEP_1)
	v_pk_fma_f32 v[130:131], v[118:119], v[126:127], v[116:117] op_sel:[0,0,1] op_sel_hi:[1,1,0] neg_lo:[0,0,1] neg_hi:[0,0,1]
	v_pk_fma_f32 v[116:117], v[118:119], v[126:127], v[116:117] op_sel:[0,0,1] op_sel_hi:[1,0,0]
	v_mov_b32_e32 v131, v117
	ds_load_2addr_b64 v[116:119], v120 offset0:48 offset1:49
	v_pk_add_f32 v[10:11], v[10:11], v[132:133] neg_lo:[0,1] neg_hi:[0,1]
	v_pk_add_f32 v[6:7], v[6:7], v[130:131] neg_lo:[0,1] neg_hi:[0,1]
	s_wait_dscnt 0x0
	v_pk_mul_f32 v[130:131], v[116:117], v[128:129] op_sel:[0,1]
	s_delay_alu instid0(VALU_DEP_1) | instskip(SKIP_2) | instid1(VALU_DEP_2)
	v_pk_fma_f32 v[132:133], v[116:117], v[126:127], v[130:131] op_sel:[0,0,1] op_sel_hi:[1,1,0] neg_lo:[0,0,1] neg_hi:[0,0,1]
	v_pk_fma_f32 v[116:117], v[116:117], v[126:127], v[130:131] op_sel:[0,0,1] op_sel_hi:[1,0,0]
	v_dual_mul_f32 v130, v119, v129 :: v_dual_mov_b32 v116, v119
	v_dual_mov_b32 v133, v117 :: v_dual_mov_b32 v117, v118
	s_delay_alu instid0(VALU_DEP_2) | instskip(SKIP_1) | instid1(VALU_DEP_3)
	v_pk_fma_f32 v[130:131], v[118:119], v[62:63], v[130:131] op_sel_hi:[1,1,0] neg_lo:[0,0,1] neg_hi:[0,0,1]
	v_mul_f32_e32 v118, v119, v126
	v_pk_add_f32 v[52:53], v[52:53], v[132:133] neg_lo:[0,1] neg_hi:[0,1]
	s_delay_alu instid0(VALU_DEP_2) | instskip(NEXT) | instid1(VALU_DEP_1)
	v_pk_fma_f32 v[116:117], v[116:117], v[62:63], v[118:119] op_sel_hi:[1,1,0]
	v_mov_b32_e32 v131, v117
	ds_load_2addr_b64 v[116:119], v120 offset0:50 offset1:51
	v_pk_add_f32 v[50:51], v[50:51], v[130:131] neg_lo:[0,1] neg_hi:[0,1]
	s_wait_dscnt 0x0
	v_pk_mul_f32 v[130:131], v[116:117], v[128:129] op_sel:[0,1]
	s_delay_alu instid0(VALU_DEP_1) | instskip(SKIP_1) | instid1(VALU_DEP_1)
	v_pk_fma_f32 v[132:133], v[116:117], v[126:127], v[130:131] op_sel:[0,0,1] op_sel_hi:[1,1,0] neg_lo:[0,0,1] neg_hi:[0,0,1]
	v_pk_fma_f32 v[116:117], v[116:117], v[126:127], v[130:131] op_sel:[0,0,1] op_sel_hi:[1,0,0]
	v_mov_b32_e32 v133, v117
	v_pk_mul_f32 v[116:117], v[118:119], v[128:129] op_sel:[0,1]
	s_delay_alu instid0(VALU_DEP_1) | instskip(SKIP_1) | instid1(VALU_DEP_1)
	v_pk_fma_f32 v[130:131], v[118:119], v[126:127], v[116:117] op_sel:[0,0,1] op_sel_hi:[1,1,0] neg_lo:[0,0,1] neg_hi:[0,0,1]
	v_pk_fma_f32 v[116:117], v[118:119], v[126:127], v[116:117] op_sel:[0,0,1] op_sel_hi:[1,0,0]
	v_mov_b32_e32 v131, v117
	ds_load_2addr_b64 v[116:119], v120 offset0:52 offset1:53
	v_pk_add_f32 v[8:9], v[8:9], v[132:133] neg_lo:[0,1] neg_hi:[0,1]
	v_pk_add_f32 v[30:31], v[30:31], v[130:131] neg_lo:[0,1] neg_hi:[0,1]
	s_wait_dscnt 0x0
	v_pk_mul_f32 v[130:131], v[116:117], v[128:129] op_sel:[0,1]
	s_delay_alu instid0(VALU_DEP_1) | instskip(SKIP_1) | instid1(VALU_DEP_1)
	v_pk_fma_f32 v[132:133], v[116:117], v[126:127], v[130:131] op_sel:[0,0,1] op_sel_hi:[1,1,0] neg_lo:[0,0,1] neg_hi:[0,0,1]
	v_pk_fma_f32 v[116:117], v[116:117], v[126:127], v[130:131] op_sel:[0,0,1] op_sel_hi:[1,0,0]
	v_mov_b32_e32 v133, v117
	v_pk_mul_f32 v[116:117], v[118:119], v[128:129] op_sel:[0,1]
	s_delay_alu instid0(VALU_DEP_1) | instskip(SKIP_1) | instid1(VALU_DEP_1)
	v_pk_fma_f32 v[130:131], v[118:119], v[126:127], v[116:117] op_sel:[0,0,1] op_sel_hi:[1,1,0] neg_lo:[0,0,1] neg_hi:[0,0,1]
	v_pk_fma_f32 v[116:117], v[118:119], v[126:127], v[116:117] op_sel:[0,0,1] op_sel_hi:[1,0,0]
	v_mov_b32_e32 v131, v117
	ds_load_b64 v[116:117], v120 offset:432
	v_pk_add_f32 v[34:35], v[34:35], v[132:133] neg_lo:[0,1] neg_hi:[0,1]
	v_pk_add_f32 v[24:25], v[24:25], v[130:131] neg_lo:[0,1] neg_hi:[0,1]
	s_wait_dscnt 0x0
	v_pk_mul_f32 v[118:119], v[116:117], v[128:129] op_sel:[0,1]
	s_delay_alu instid0(VALU_DEP_1) | instskip(SKIP_1) | instid1(VALU_DEP_1)
	v_pk_fma_f32 v[128:129], v[116:117], v[126:127], v[118:119] op_sel:[0,0,1] op_sel_hi:[1,1,0] neg_lo:[0,0,1] neg_hi:[0,0,1]
	v_pk_fma_f32 v[116:117], v[116:117], v[126:127], v[118:119] op_sel:[0,0,1] op_sel_hi:[1,0,0]
	v_mov_b32_e32 v129, v117
	s_delay_alu instid0(VALU_DEP_1)
	v_pk_add_f32 v[114:115], v[114:115], v[128:129] neg_lo:[0,1] neg_hi:[0,1]
.LBB108_965:
	s_or_b32 exec_lo, exec_lo, s0
	v_lshl_add_u32 v116, v124, 3, v120
	s_barrier_signal -1
	s_barrier_wait -1
	ds_store_b64 v116, v[10:11]
	s_wait_dscnt 0x0
	s_barrier_signal -1
	s_barrier_wait -1
	ds_load_b64 v[116:117], v120 offset:368
	v_mov_b32_e32 v118, 46
	s_cmp_lt_i32 s18, 48
	s_cbranch_scc1 .LBB108_968
; %bb.966:
	v_add3_u32 v119, v121, 0, 0x178
	v_mov_b32_e32 v118, 46
	s_mov_b32 s0, 47
.LBB108_967:                            ; =>This Inner Loop Header: Depth=1
	ds_load_b64 v[126:127], v119
	s_wait_dscnt 0x1
	v_cmp_gt_f32_e32 vcc_lo, 0, v116
	v_cndmask_b32_e64 v128, v116, -v116, vcc_lo
	v_cmp_gt_f32_e32 vcc_lo, 0, v117
	v_cndmask_b32_e64 v130, v117, -v117, vcc_lo
	s_wait_dscnt 0x0
	v_cmp_gt_f32_e32 vcc_lo, 0, v126
	v_cndmask_b32_e64 v129, v126, -v126, vcc_lo
	v_cmp_gt_f32_e32 vcc_lo, 0, v127
	v_cndmask_b32_e64 v131, v127, -v127, vcc_lo
	s_delay_alu instid0(VALU_DEP_1) | instskip(NEXT) | instid1(VALU_DEP_1)
	v_pk_add_f32 v[128:129], v[128:129], v[130:131]
	v_cmp_lt_f32_e32 vcc_lo, v128, v129
	v_dual_cndmask_b32 v116, v116, v126 :: v_dual_add_nc_u32 v119, 8, v119
	v_cndmask_b32_e32 v117, v117, v127, vcc_lo
	v_cndmask_b32_e64 v118, v118, s0, vcc_lo
	s_add_co_i32 s0, s0, 1
	s_delay_alu instid0(SALU_CYCLE_1)
	s_cmp_lg_u32 s18, s0
	s_cbranch_scc1 .LBB108_967
.LBB108_968:
	s_wait_dscnt 0x0
	v_cmp_eq_f32_e32 vcc_lo, 0, v116
	v_cmp_eq_f32_e64 s0, 0, v117
	s_and_b32 s0, vcc_lo, s0
	s_delay_alu instid0(SALU_CYCLE_1) | instskip(NEXT) | instid1(SALU_CYCLE_1)
	s_and_saveexec_b32 s1, s0
	s_xor_b32 s0, exec_lo, s1
; %bb.969:
	v_cmp_ne_u32_e32 vcc_lo, 0, v122
	v_cndmask_b32_e32 v122, 47, v122, vcc_lo
; %bb.970:
	s_and_not1_saveexec_b32 s0, s0
	s_cbranch_execz .LBB108_976
; %bb.971:
	v_cmp_ngt_f32_e64 s1, |v116|, |v117|
	s_and_saveexec_b32 s12, s1
	s_delay_alu instid0(SALU_CYCLE_1)
	s_xor_b32 s1, exec_lo, s12
	s_cbranch_execz .LBB108_973
; %bb.972:
	v_div_scale_f32 v119, null, v117, v117, v116
	v_div_scale_f32 v127, vcc_lo, v116, v117, v116
	s_delay_alu instid0(VALU_DEP_2) | instskip(SKIP_1) | instid1(TRANS32_DEP_1)
	v_rcp_f32_e32 v125, v119
	v_nop
	v_fma_f32 v126, -v119, v125, 1.0
	s_delay_alu instid0(VALU_DEP_1) | instskip(NEXT) | instid1(VALU_DEP_1)
	v_fmac_f32_e32 v125, v126, v125
	v_mul_f32_e32 v126, v127, v125
	s_delay_alu instid0(VALU_DEP_1) | instskip(NEXT) | instid1(VALU_DEP_1)
	v_fma_f32 v128, -v119, v126, v127
	v_fmac_f32_e32 v126, v128, v125
	s_delay_alu instid0(VALU_DEP_1) | instskip(NEXT) | instid1(VALU_DEP_1)
	v_fma_f32 v119, -v119, v126, v127
	v_div_fmas_f32 v119, v119, v125, v126
	s_delay_alu instid0(VALU_DEP_1) | instskip(NEXT) | instid1(VALU_DEP_1)
	v_div_fixup_f32 v119, v119, v117, v116
	v_fmac_f32_e32 v117, v116, v119
	s_delay_alu instid0(VALU_DEP_1) | instskip(SKIP_1) | instid1(VALU_DEP_2)
	v_div_scale_f32 v116, null, v117, v117, 1.0
	v_div_scale_f32 v127, vcc_lo, 1.0, v117, 1.0
	v_rcp_f32_e32 v125, v116
	v_nop
	s_delay_alu instid0(TRANS32_DEP_1) | instskip(NEXT) | instid1(VALU_DEP_1)
	v_fma_f32 v126, -v116, v125, 1.0
	v_fmac_f32_e32 v125, v126, v125
	s_delay_alu instid0(VALU_DEP_1) | instskip(NEXT) | instid1(VALU_DEP_1)
	v_mul_f32_e32 v126, v127, v125
	v_fma_f32 v128, -v116, v126, v127
	s_delay_alu instid0(VALU_DEP_1) | instskip(NEXT) | instid1(VALU_DEP_1)
	v_fmac_f32_e32 v126, v128, v125
	v_fma_f32 v116, -v116, v126, v127
	s_delay_alu instid0(VALU_DEP_1) | instskip(NEXT) | instid1(VALU_DEP_1)
	v_div_fmas_f32 v116, v116, v125, v126
	v_div_fixup_f32 v117, v116, v117, 1.0
	s_delay_alu instid0(VALU_DEP_1)
	v_mul_f32_e32 v116, v119, v117
	v_xor_b32_e32 v117, 0x80000000, v117
.LBB108_973:
	s_and_not1_saveexec_b32 s1, s1
	s_cbranch_execz .LBB108_975
; %bb.974:
	s_delay_alu instid0(VALU_DEP_1) | instskip(SKIP_1) | instid1(VALU_DEP_2)
	v_div_scale_f32 v119, null, v116, v116, v117
	v_div_scale_f32 v127, vcc_lo, v117, v116, v117
	v_rcp_f32_e32 v125, v119
	v_nop
	s_delay_alu instid0(TRANS32_DEP_1) | instskip(NEXT) | instid1(VALU_DEP_1)
	v_fma_f32 v126, -v119, v125, 1.0
	v_fmac_f32_e32 v125, v126, v125
	s_delay_alu instid0(VALU_DEP_1) | instskip(NEXT) | instid1(VALU_DEP_1)
	v_mul_f32_e32 v126, v127, v125
	v_fma_f32 v128, -v119, v126, v127
	s_delay_alu instid0(VALU_DEP_1) | instskip(NEXT) | instid1(VALU_DEP_1)
	v_fmac_f32_e32 v126, v128, v125
	v_fma_f32 v119, -v119, v126, v127
	s_delay_alu instid0(VALU_DEP_1) | instskip(NEXT) | instid1(VALU_DEP_1)
	v_div_fmas_f32 v119, v119, v125, v126
	v_div_fixup_f32 v119, v119, v116, v117
	s_delay_alu instid0(VALU_DEP_1) | instskip(NEXT) | instid1(VALU_DEP_1)
	v_fmac_f32_e32 v116, v117, v119
	v_div_scale_f32 v117, null, v116, v116, 1.0
	s_delay_alu instid0(VALU_DEP_1) | instskip(SKIP_1) | instid1(TRANS32_DEP_1)
	v_rcp_f32_e32 v125, v117
	v_nop
	v_fma_f32 v126, -v117, v125, 1.0
	s_delay_alu instid0(VALU_DEP_1) | instskip(SKIP_1) | instid1(VALU_DEP_1)
	v_fmac_f32_e32 v125, v126, v125
	v_div_scale_f32 v126, vcc_lo, 1.0, v116, 1.0
	v_mul_f32_e32 v127, v126, v125
	s_delay_alu instid0(VALU_DEP_1) | instskip(NEXT) | instid1(VALU_DEP_1)
	v_fma_f32 v128, -v117, v127, v126
	v_fmac_f32_e32 v127, v128, v125
	s_delay_alu instid0(VALU_DEP_1) | instskip(NEXT) | instid1(VALU_DEP_1)
	v_fma_f32 v117, -v117, v127, v126
	v_div_fmas_f32 v117, v117, v125, v127
	s_delay_alu instid0(VALU_DEP_1) | instskip(NEXT) | instid1(VALU_DEP_1)
	v_div_fixup_f32 v116, v117, v116, 1.0
	v_mul_f32_e64 v117, v119, -v116
.LBB108_975:
	s_or_b32 exec_lo, exec_lo, s1
.LBB108_976:
	s_delay_alu instid0(SALU_CYCLE_1) | instskip(NEXT) | instid1(SALU_CYCLE_1)
	s_or_b32 exec_lo, exec_lo, s0
	s_mov_b32 s0, exec_lo
	v_cmpx_ne_u32_e64 v124, v118
	s_xor_b32 s0, exec_lo, s0
	s_cbranch_execz .LBB108_982
; %bb.977:
	s_mov_b32 s1, exec_lo
	v_cmpx_eq_u32_e32 46, v124
	s_cbranch_execz .LBB108_981
; %bb.978:
	v_cmp_ne_u32_e32 vcc_lo, 46, v118
	s_xor_b32 s12, s16, -1
	s_delay_alu instid0(SALU_CYCLE_1) | instskip(NEXT) | instid1(SALU_CYCLE_1)
	s_and_b32 s13, s12, vcc_lo
	s_and_saveexec_b32 s12, s13
	s_cbranch_execz .LBB108_980
; %bb.979:
	v_ashrrev_i32_e32 v119, 31, v118
	s_delay_alu instid0(VALU_DEP_1)
	v_lshl_add_u64 v[124:125], v[118:119], 2, v[4:5]
	s_clause 0x1
	global_load_b32 v119, v[124:125], off
	global_load_b32 v123, v[4:5], off offset:184
	s_wait_loadcnt 0x1
	global_store_b32 v[4:5], v119, off offset:184
	s_wait_loadcnt 0x0
	global_store_b32 v[124:125], v123, off
.LBB108_980:
	s_wait_xcnt 0x0
	s_or_b32 exec_lo, exec_lo, s12
	v_dual_mov_b32 v124, v118 :: v_dual_mov_b32 v123, v118
.LBB108_981:
	s_or_b32 exec_lo, exec_lo, s1
.LBB108_982:
	s_and_not1_saveexec_b32 s0, s0
	s_cbranch_execz .LBB108_984
; %bb.983:
	v_mov_b32_e32 v124, 46
	ds_store_2addr_b64 v120, v[6:7], v[52:53] offset0:47 offset1:48
	ds_store_2addr_b64 v120, v[50:51], v[8:9] offset0:49 offset1:50
	;; [unrolled: 1-line block ×4, first 2 shown]
.LBB108_984:
	s_or_b32 exec_lo, exec_lo, s0
	s_delay_alu instid0(SALU_CYCLE_1)
	s_mov_b32 s0, exec_lo
	s_wait_storecnt_dscnt 0x0
	s_barrier_signal -1
	s_barrier_wait -1
	v_cmpx_lt_i32_e32 46, v124
	s_cbranch_execz .LBB108_986
; %bb.985:
	v_pk_mul_f32 v[118:119], v[116:117], v[10:11] op_sel:[1,1] op_sel_hi:[0,1]
	s_delay_alu instid0(VALU_DEP_1)
	v_pk_fma_f32 v[126:127], v[116:117], v[10:11], v[118:119] op_sel_hi:[1,0,1] neg_lo:[0,0,1] neg_hi:[0,0,1]
	v_pk_fma_f32 v[128:129], v[116:117], v[10:11], v[118:119] op_sel_hi:[1,0,1]
	ds_load_2addr_b64 v[116:119], v120 offset0:47 offset1:48
	v_dual_mov_b32 v10, v126 :: v_dual_mov_b32 v11, v129
	s_wait_dscnt 0x0
	v_pk_mul_f32 v[130:131], v[116:117], v[128:129] op_sel:[0,1]
	s_delay_alu instid0(VALU_DEP_1) | instskip(SKIP_1) | instid1(VALU_DEP_1)
	v_pk_fma_f32 v[132:133], v[116:117], v[126:127], v[130:131] op_sel:[0,0,1] op_sel_hi:[1,1,0] neg_lo:[0,0,1] neg_hi:[0,0,1]
	v_pk_fma_f32 v[116:117], v[116:117], v[126:127], v[130:131] op_sel:[0,0,1] op_sel_hi:[1,0,0]
	v_mov_b32_e32 v133, v117
	v_pk_mul_f32 v[116:117], v[118:119], v[128:129] op_sel:[0,1]
	s_delay_alu instid0(VALU_DEP_1) | instskip(SKIP_1) | instid1(VALU_DEP_1)
	v_pk_fma_f32 v[130:131], v[118:119], v[126:127], v[116:117] op_sel:[0,0,1] op_sel_hi:[1,1,0] neg_lo:[0,0,1] neg_hi:[0,0,1]
	v_pk_fma_f32 v[116:117], v[118:119], v[126:127], v[116:117] op_sel:[0,0,1] op_sel_hi:[1,0,0]
	v_mov_b32_e32 v131, v117
	ds_load_2addr_b64 v[116:119], v120 offset0:49 offset1:50
	v_pk_add_f32 v[6:7], v[6:7], v[132:133] neg_lo:[0,1] neg_hi:[0,1]
	v_pk_add_f32 v[52:53], v[52:53], v[130:131] neg_lo:[0,1] neg_hi:[0,1]
	s_wait_dscnt 0x0
	v_pk_mul_f32 v[130:131], v[116:117], v[128:129] op_sel:[0,1]
	s_delay_alu instid0(VALU_DEP_1) | instskip(SKIP_2) | instid1(VALU_DEP_2)
	v_pk_fma_f32 v[132:133], v[116:117], v[126:127], v[130:131] op_sel:[0,0,1] op_sel_hi:[1,1,0] neg_lo:[0,0,1] neg_hi:[0,0,1]
	v_pk_fma_f32 v[116:117], v[116:117], v[126:127], v[130:131] op_sel:[0,0,1] op_sel_hi:[1,0,0]
	v_dual_mul_f32 v130, v119, v129 :: v_dual_mov_b32 v116, v119
	v_dual_mov_b32 v133, v117 :: v_dual_mov_b32 v117, v118
	s_delay_alu instid0(VALU_DEP_2) | instskip(SKIP_1) | instid1(VALU_DEP_3)
	v_pk_fma_f32 v[130:131], v[118:119], v[10:11], v[130:131] op_sel_hi:[1,1,0] neg_lo:[0,0,1] neg_hi:[0,0,1]
	v_mul_f32_e32 v118, v119, v126
	v_pk_add_f32 v[50:51], v[50:51], v[132:133] neg_lo:[0,1] neg_hi:[0,1]
	s_delay_alu instid0(VALU_DEP_2) | instskip(NEXT) | instid1(VALU_DEP_1)
	v_pk_fma_f32 v[116:117], v[116:117], v[10:11], v[118:119] op_sel_hi:[1,1,0]
	v_mov_b32_e32 v131, v117
	ds_load_2addr_b64 v[116:119], v120 offset0:51 offset1:52
	v_pk_add_f32 v[8:9], v[8:9], v[130:131] neg_lo:[0,1] neg_hi:[0,1]
	s_wait_dscnt 0x0
	v_pk_mul_f32 v[130:131], v[116:117], v[128:129] op_sel:[0,1]
	s_delay_alu instid0(VALU_DEP_1) | instskip(SKIP_1) | instid1(VALU_DEP_1)
	v_pk_fma_f32 v[132:133], v[116:117], v[126:127], v[130:131] op_sel:[0,0,1] op_sel_hi:[1,1,0] neg_lo:[0,0,1] neg_hi:[0,0,1]
	v_pk_fma_f32 v[116:117], v[116:117], v[126:127], v[130:131] op_sel:[0,0,1] op_sel_hi:[1,0,0]
	v_mov_b32_e32 v133, v117
	v_pk_mul_f32 v[116:117], v[118:119], v[128:129] op_sel:[0,1]
	s_delay_alu instid0(VALU_DEP_1) | instskip(SKIP_1) | instid1(VALU_DEP_1)
	v_pk_fma_f32 v[130:131], v[118:119], v[126:127], v[116:117] op_sel:[0,0,1] op_sel_hi:[1,1,0] neg_lo:[0,0,1] neg_hi:[0,0,1]
	v_pk_fma_f32 v[116:117], v[118:119], v[126:127], v[116:117] op_sel:[0,0,1] op_sel_hi:[1,0,0]
	v_mov_b32_e32 v131, v117
	ds_load_2addr_b64 v[116:119], v120 offset0:53 offset1:54
	v_pk_add_f32 v[30:31], v[30:31], v[132:133] neg_lo:[0,1] neg_hi:[0,1]
	v_pk_add_f32 v[34:35], v[34:35], v[130:131] neg_lo:[0,1] neg_hi:[0,1]
	s_wait_dscnt 0x0
	v_pk_mul_f32 v[130:131], v[116:117], v[128:129] op_sel:[0,1]
	s_delay_alu instid0(VALU_DEP_1) | instskip(SKIP_1) | instid1(VALU_DEP_1)
	v_pk_fma_f32 v[132:133], v[116:117], v[126:127], v[130:131] op_sel:[0,0,1] op_sel_hi:[1,1,0] neg_lo:[0,0,1] neg_hi:[0,0,1]
	v_pk_fma_f32 v[116:117], v[116:117], v[126:127], v[130:131] op_sel:[0,0,1] op_sel_hi:[1,0,0]
	v_mov_b32_e32 v133, v117
	v_pk_mul_f32 v[116:117], v[118:119], v[128:129] op_sel:[0,1]
	s_delay_alu instid0(VALU_DEP_1) | instskip(SKIP_1) | instid1(VALU_DEP_1)
	v_pk_fma_f32 v[128:129], v[118:119], v[126:127], v[116:117] op_sel:[0,0,1] op_sel_hi:[1,1,0] neg_lo:[0,0,1] neg_hi:[0,0,1]
	v_pk_fma_f32 v[116:117], v[118:119], v[126:127], v[116:117] op_sel:[0,0,1] op_sel_hi:[1,0,0]
	v_mov_b32_e32 v129, v117
	v_pk_add_f32 v[24:25], v[24:25], v[132:133] neg_lo:[0,1] neg_hi:[0,1]
	s_delay_alu instid0(VALU_DEP_2)
	v_pk_add_f32 v[114:115], v[114:115], v[128:129] neg_lo:[0,1] neg_hi:[0,1]
.LBB108_986:
	s_or_b32 exec_lo, exec_lo, s0
	v_lshl_add_u32 v116, v124, 3, v120
	s_barrier_signal -1
	s_barrier_wait -1
	ds_store_b64 v116, v[6:7]
	s_wait_dscnt 0x0
	s_barrier_signal -1
	s_barrier_wait -1
	ds_load_b64 v[116:117], v120 offset:376
	v_mov_b32_e32 v118, 47
	s_cmp_lt_i32 s18, 49
	s_cbranch_scc1 .LBB108_989
; %bb.987:
	v_add3_u32 v119, v121, 0, 0x180
	v_mov_b32_e32 v118, 47
	s_mov_b32 s0, 48
.LBB108_988:                            ; =>This Inner Loop Header: Depth=1
	ds_load_b64 v[126:127], v119
	s_wait_dscnt 0x1
	v_cmp_gt_f32_e32 vcc_lo, 0, v116
	v_cndmask_b32_e64 v128, v116, -v116, vcc_lo
	v_cmp_gt_f32_e32 vcc_lo, 0, v117
	v_cndmask_b32_e64 v130, v117, -v117, vcc_lo
	s_wait_dscnt 0x0
	v_cmp_gt_f32_e32 vcc_lo, 0, v126
	v_cndmask_b32_e64 v129, v126, -v126, vcc_lo
	v_cmp_gt_f32_e32 vcc_lo, 0, v127
	v_cndmask_b32_e64 v131, v127, -v127, vcc_lo
	s_delay_alu instid0(VALU_DEP_1) | instskip(NEXT) | instid1(VALU_DEP_1)
	v_pk_add_f32 v[128:129], v[128:129], v[130:131]
	v_cmp_lt_f32_e32 vcc_lo, v128, v129
	v_dual_cndmask_b32 v116, v116, v126 :: v_dual_add_nc_u32 v119, 8, v119
	v_cndmask_b32_e32 v117, v117, v127, vcc_lo
	v_cndmask_b32_e64 v118, v118, s0, vcc_lo
	s_add_co_i32 s0, s0, 1
	s_delay_alu instid0(SALU_CYCLE_1)
	s_cmp_lg_u32 s18, s0
	s_cbranch_scc1 .LBB108_988
.LBB108_989:
	s_wait_dscnt 0x0
	v_cmp_eq_f32_e32 vcc_lo, 0, v116
	v_cmp_eq_f32_e64 s0, 0, v117
	s_and_b32 s0, vcc_lo, s0
	s_delay_alu instid0(SALU_CYCLE_1) | instskip(NEXT) | instid1(SALU_CYCLE_1)
	s_and_saveexec_b32 s1, s0
	s_xor_b32 s0, exec_lo, s1
; %bb.990:
	v_cmp_ne_u32_e32 vcc_lo, 0, v122
	v_cndmask_b32_e32 v122, 48, v122, vcc_lo
; %bb.991:
	s_and_not1_saveexec_b32 s0, s0
	s_cbranch_execz .LBB108_997
; %bb.992:
	v_cmp_ngt_f32_e64 s1, |v116|, |v117|
	s_and_saveexec_b32 s12, s1
	s_delay_alu instid0(SALU_CYCLE_1)
	s_xor_b32 s1, exec_lo, s12
	s_cbranch_execz .LBB108_994
; %bb.993:
	v_div_scale_f32 v119, null, v117, v117, v116
	v_div_scale_f32 v127, vcc_lo, v116, v117, v116
	s_delay_alu instid0(VALU_DEP_2) | instskip(SKIP_1) | instid1(TRANS32_DEP_1)
	v_rcp_f32_e32 v125, v119
	v_nop
	v_fma_f32 v126, -v119, v125, 1.0
	s_delay_alu instid0(VALU_DEP_1) | instskip(NEXT) | instid1(VALU_DEP_1)
	v_fmac_f32_e32 v125, v126, v125
	v_mul_f32_e32 v126, v127, v125
	s_delay_alu instid0(VALU_DEP_1) | instskip(NEXT) | instid1(VALU_DEP_1)
	v_fma_f32 v128, -v119, v126, v127
	v_fmac_f32_e32 v126, v128, v125
	s_delay_alu instid0(VALU_DEP_1) | instskip(NEXT) | instid1(VALU_DEP_1)
	v_fma_f32 v119, -v119, v126, v127
	v_div_fmas_f32 v119, v119, v125, v126
	s_delay_alu instid0(VALU_DEP_1) | instskip(NEXT) | instid1(VALU_DEP_1)
	v_div_fixup_f32 v119, v119, v117, v116
	v_fmac_f32_e32 v117, v116, v119
	s_delay_alu instid0(VALU_DEP_1) | instskip(SKIP_1) | instid1(VALU_DEP_2)
	v_div_scale_f32 v116, null, v117, v117, 1.0
	v_div_scale_f32 v127, vcc_lo, 1.0, v117, 1.0
	v_rcp_f32_e32 v125, v116
	v_nop
	s_delay_alu instid0(TRANS32_DEP_1) | instskip(NEXT) | instid1(VALU_DEP_1)
	v_fma_f32 v126, -v116, v125, 1.0
	v_fmac_f32_e32 v125, v126, v125
	s_delay_alu instid0(VALU_DEP_1) | instskip(NEXT) | instid1(VALU_DEP_1)
	v_mul_f32_e32 v126, v127, v125
	v_fma_f32 v128, -v116, v126, v127
	s_delay_alu instid0(VALU_DEP_1) | instskip(NEXT) | instid1(VALU_DEP_1)
	v_fmac_f32_e32 v126, v128, v125
	v_fma_f32 v116, -v116, v126, v127
	s_delay_alu instid0(VALU_DEP_1) | instskip(NEXT) | instid1(VALU_DEP_1)
	v_div_fmas_f32 v116, v116, v125, v126
	v_div_fixup_f32 v117, v116, v117, 1.0
	s_delay_alu instid0(VALU_DEP_1)
	v_mul_f32_e32 v116, v119, v117
	v_xor_b32_e32 v117, 0x80000000, v117
.LBB108_994:
	s_and_not1_saveexec_b32 s1, s1
	s_cbranch_execz .LBB108_996
; %bb.995:
	s_delay_alu instid0(VALU_DEP_1) | instskip(SKIP_1) | instid1(VALU_DEP_2)
	v_div_scale_f32 v119, null, v116, v116, v117
	v_div_scale_f32 v127, vcc_lo, v117, v116, v117
	v_rcp_f32_e32 v125, v119
	v_nop
	s_delay_alu instid0(TRANS32_DEP_1) | instskip(NEXT) | instid1(VALU_DEP_1)
	v_fma_f32 v126, -v119, v125, 1.0
	v_fmac_f32_e32 v125, v126, v125
	s_delay_alu instid0(VALU_DEP_1) | instskip(NEXT) | instid1(VALU_DEP_1)
	v_mul_f32_e32 v126, v127, v125
	v_fma_f32 v128, -v119, v126, v127
	s_delay_alu instid0(VALU_DEP_1) | instskip(NEXT) | instid1(VALU_DEP_1)
	v_fmac_f32_e32 v126, v128, v125
	v_fma_f32 v119, -v119, v126, v127
	s_delay_alu instid0(VALU_DEP_1) | instskip(NEXT) | instid1(VALU_DEP_1)
	v_div_fmas_f32 v119, v119, v125, v126
	v_div_fixup_f32 v119, v119, v116, v117
	s_delay_alu instid0(VALU_DEP_1) | instskip(NEXT) | instid1(VALU_DEP_1)
	v_fmac_f32_e32 v116, v117, v119
	v_div_scale_f32 v117, null, v116, v116, 1.0
	s_delay_alu instid0(VALU_DEP_1) | instskip(SKIP_1) | instid1(TRANS32_DEP_1)
	v_rcp_f32_e32 v125, v117
	v_nop
	v_fma_f32 v126, -v117, v125, 1.0
	s_delay_alu instid0(VALU_DEP_1) | instskip(SKIP_1) | instid1(VALU_DEP_1)
	v_fmac_f32_e32 v125, v126, v125
	v_div_scale_f32 v126, vcc_lo, 1.0, v116, 1.0
	v_mul_f32_e32 v127, v126, v125
	s_delay_alu instid0(VALU_DEP_1) | instskip(NEXT) | instid1(VALU_DEP_1)
	v_fma_f32 v128, -v117, v127, v126
	v_fmac_f32_e32 v127, v128, v125
	s_delay_alu instid0(VALU_DEP_1) | instskip(NEXT) | instid1(VALU_DEP_1)
	v_fma_f32 v117, -v117, v127, v126
	v_div_fmas_f32 v117, v117, v125, v127
	s_delay_alu instid0(VALU_DEP_1) | instskip(NEXT) | instid1(VALU_DEP_1)
	v_div_fixup_f32 v116, v117, v116, 1.0
	v_mul_f32_e64 v117, v119, -v116
.LBB108_996:
	s_or_b32 exec_lo, exec_lo, s1
.LBB108_997:
	s_delay_alu instid0(SALU_CYCLE_1) | instskip(NEXT) | instid1(SALU_CYCLE_1)
	s_or_b32 exec_lo, exec_lo, s0
	s_mov_b32 s0, exec_lo
	v_cmpx_ne_u32_e64 v124, v118
	s_xor_b32 s0, exec_lo, s0
	s_cbranch_execz .LBB108_1003
; %bb.998:
	s_mov_b32 s1, exec_lo
	v_cmpx_eq_u32_e32 47, v124
	s_cbranch_execz .LBB108_1002
; %bb.999:
	v_cmp_ne_u32_e32 vcc_lo, 47, v118
	s_xor_b32 s12, s16, -1
	s_delay_alu instid0(SALU_CYCLE_1) | instskip(NEXT) | instid1(SALU_CYCLE_1)
	s_and_b32 s13, s12, vcc_lo
	s_and_saveexec_b32 s12, s13
	s_cbranch_execz .LBB108_1001
; %bb.1000:
	v_ashrrev_i32_e32 v119, 31, v118
	s_delay_alu instid0(VALU_DEP_1)
	v_lshl_add_u64 v[124:125], v[118:119], 2, v[4:5]
	s_clause 0x1
	global_load_b32 v119, v[124:125], off
	global_load_b32 v123, v[4:5], off offset:188
	s_wait_loadcnt 0x1
	global_store_b32 v[4:5], v119, off offset:188
	s_wait_loadcnt 0x0
	global_store_b32 v[124:125], v123, off
.LBB108_1001:
	s_wait_xcnt 0x0
	s_or_b32 exec_lo, exec_lo, s12
	v_dual_mov_b32 v124, v118 :: v_dual_mov_b32 v123, v118
.LBB108_1002:
	s_or_b32 exec_lo, exec_lo, s1
.LBB108_1003:
	s_and_not1_saveexec_b32 s0, s0
	s_cbranch_execz .LBB108_1005
; %bb.1004:
	v_dual_mov_b32 v118, v52 :: v_dual_mov_b32 v119, v53
	v_dual_mov_b32 v126, v50 :: v_dual_mov_b32 v127, v51
	v_dual_mov_b32 v124, 47 :: v_dual_mov_b32 v128, v8
	v_dual_mov_b32 v129, v9 :: v_dual_mov_b32 v130, v30
	v_dual_mov_b32 v131, v31 :: v_dual_mov_b32 v132, v34
	v_dual_mov_b32 v133, v35 :: v_dual_mov_b32 v134, v24
	v_mov_b32_e32 v135, v25
	ds_store_2addr_b64 v120, v[118:119], v[126:127] offset0:48 offset1:49
	ds_store_2addr_b64 v120, v[128:129], v[130:131] offset0:50 offset1:51
	;; [unrolled: 1-line block ×3, first 2 shown]
	ds_store_b64 v120, v[114:115] offset:432
.LBB108_1005:
	s_or_b32 exec_lo, exec_lo, s0
	s_delay_alu instid0(SALU_CYCLE_1)
	s_mov_b32 s0, exec_lo
	s_wait_storecnt_dscnt 0x0
	s_barrier_signal -1
	s_barrier_wait -1
	v_cmpx_lt_i32_e32 47, v124
	s_cbranch_execz .LBB108_1007
; %bb.1006:
	v_pk_mul_f32 v[118:119], v[116:117], v[6:7] op_sel:[1,1] op_sel_hi:[0,1]
	s_delay_alu instid0(VALU_DEP_1)
	v_pk_fma_f32 v[126:127], v[116:117], v[6:7], v[118:119] op_sel_hi:[1,0,1] neg_lo:[0,0,1] neg_hi:[0,0,1]
	v_pk_fma_f32 v[128:129], v[116:117], v[6:7], v[118:119] op_sel_hi:[1,0,1]
	ds_load_2addr_b64 v[116:119], v120 offset0:48 offset1:49
	v_dual_mov_b32 v6, v126 :: v_dual_mov_b32 v7, v129
	s_wait_dscnt 0x0
	v_pk_mul_f32 v[130:131], v[116:117], v[128:129] op_sel:[0,1]
	s_delay_alu instid0(VALU_DEP_1) | instskip(SKIP_1) | instid1(VALU_DEP_1)
	v_pk_fma_f32 v[132:133], v[116:117], v[126:127], v[130:131] op_sel:[0,0,1] op_sel_hi:[1,1,0] neg_lo:[0,0,1] neg_hi:[0,0,1]
	v_pk_fma_f32 v[116:117], v[116:117], v[126:127], v[130:131] op_sel:[0,0,1] op_sel_hi:[1,0,0]
	v_mov_b32_e32 v133, v117
	v_pk_mul_f32 v[116:117], v[118:119], v[128:129] op_sel:[0,1]
	s_delay_alu instid0(VALU_DEP_1) | instskip(SKIP_1) | instid1(VALU_DEP_1)
	v_pk_fma_f32 v[130:131], v[118:119], v[126:127], v[116:117] op_sel:[0,0,1] op_sel_hi:[1,1,0] neg_lo:[0,0,1] neg_hi:[0,0,1]
	v_pk_fma_f32 v[116:117], v[118:119], v[126:127], v[116:117] op_sel:[0,0,1] op_sel_hi:[1,0,0]
	v_mov_b32_e32 v131, v117
	ds_load_2addr_b64 v[116:119], v120 offset0:50 offset1:51
	v_pk_add_f32 v[52:53], v[52:53], v[132:133] neg_lo:[0,1] neg_hi:[0,1]
	v_pk_add_f32 v[50:51], v[50:51], v[130:131] neg_lo:[0,1] neg_hi:[0,1]
	s_wait_dscnt 0x0
	v_pk_mul_f32 v[130:131], v[116:117], v[128:129] op_sel:[0,1]
	s_delay_alu instid0(VALU_DEP_1) | instskip(SKIP_2) | instid1(VALU_DEP_2)
	v_pk_fma_f32 v[132:133], v[116:117], v[126:127], v[130:131] op_sel:[0,0,1] op_sel_hi:[1,1,0] neg_lo:[0,0,1] neg_hi:[0,0,1]
	v_pk_fma_f32 v[116:117], v[116:117], v[126:127], v[130:131] op_sel:[0,0,1] op_sel_hi:[1,0,0]
	v_dual_mul_f32 v130, v119, v129 :: v_dual_mov_b32 v116, v119
	v_dual_mov_b32 v133, v117 :: v_dual_mov_b32 v117, v118
	s_delay_alu instid0(VALU_DEP_2) | instskip(SKIP_1) | instid1(VALU_DEP_3)
	v_pk_fma_f32 v[130:131], v[118:119], v[6:7], v[130:131] op_sel_hi:[1,1,0] neg_lo:[0,0,1] neg_hi:[0,0,1]
	v_mul_f32_e32 v118, v119, v126
	v_pk_add_f32 v[8:9], v[8:9], v[132:133] neg_lo:[0,1] neg_hi:[0,1]
	s_delay_alu instid0(VALU_DEP_2) | instskip(NEXT) | instid1(VALU_DEP_1)
	v_pk_fma_f32 v[116:117], v[116:117], v[6:7], v[118:119] op_sel_hi:[1,1,0]
	v_mov_b32_e32 v131, v117
	ds_load_2addr_b64 v[116:119], v120 offset0:52 offset1:53
	v_pk_add_f32 v[30:31], v[30:31], v[130:131] neg_lo:[0,1] neg_hi:[0,1]
	s_wait_dscnt 0x0
	v_pk_mul_f32 v[130:131], v[116:117], v[128:129] op_sel:[0,1]
	s_delay_alu instid0(VALU_DEP_1) | instskip(SKIP_1) | instid1(VALU_DEP_1)
	v_pk_fma_f32 v[132:133], v[116:117], v[126:127], v[130:131] op_sel:[0,0,1] op_sel_hi:[1,1,0] neg_lo:[0,0,1] neg_hi:[0,0,1]
	v_pk_fma_f32 v[116:117], v[116:117], v[126:127], v[130:131] op_sel:[0,0,1] op_sel_hi:[1,0,0]
	v_mov_b32_e32 v133, v117
	v_pk_mul_f32 v[116:117], v[118:119], v[128:129] op_sel:[0,1]
	s_delay_alu instid0(VALU_DEP_1) | instskip(SKIP_1) | instid1(VALU_DEP_1)
	v_pk_fma_f32 v[130:131], v[118:119], v[126:127], v[116:117] op_sel:[0,0,1] op_sel_hi:[1,1,0] neg_lo:[0,0,1] neg_hi:[0,0,1]
	v_pk_fma_f32 v[116:117], v[118:119], v[126:127], v[116:117] op_sel:[0,0,1] op_sel_hi:[1,0,0]
	v_mov_b32_e32 v131, v117
	ds_load_b64 v[116:117], v120 offset:432
	v_pk_add_f32 v[34:35], v[34:35], v[132:133] neg_lo:[0,1] neg_hi:[0,1]
	v_pk_add_f32 v[24:25], v[24:25], v[130:131] neg_lo:[0,1] neg_hi:[0,1]
	s_wait_dscnt 0x0
	v_pk_mul_f32 v[118:119], v[116:117], v[128:129] op_sel:[0,1]
	s_delay_alu instid0(VALU_DEP_1) | instskip(SKIP_1) | instid1(VALU_DEP_1)
	v_pk_fma_f32 v[128:129], v[116:117], v[126:127], v[118:119] op_sel:[0,0,1] op_sel_hi:[1,1,0] neg_lo:[0,0,1] neg_hi:[0,0,1]
	v_pk_fma_f32 v[116:117], v[116:117], v[126:127], v[118:119] op_sel:[0,0,1] op_sel_hi:[1,0,0]
	v_mov_b32_e32 v129, v117
	s_delay_alu instid0(VALU_DEP_1)
	v_pk_add_f32 v[114:115], v[114:115], v[128:129] neg_lo:[0,1] neg_hi:[0,1]
.LBB108_1007:
	s_or_b32 exec_lo, exec_lo, s0
	v_lshl_add_u32 v116, v124, 3, v120
	s_barrier_signal -1
	s_barrier_wait -1
	ds_store_b64 v116, v[52:53]
	s_wait_dscnt 0x0
	s_barrier_signal -1
	s_barrier_wait -1
	ds_load_b64 v[116:117], v120 offset:384
	v_mov_b32_e32 v118, 48
	s_cmp_lt_i32 s18, 50
	s_cbranch_scc1 .LBB108_1010
; %bb.1008:
	v_add3_u32 v119, v121, 0, 0x188
	v_mov_b32_e32 v118, 48
	s_mov_b32 s0, 49
.LBB108_1009:                           ; =>This Inner Loop Header: Depth=1
	ds_load_b64 v[126:127], v119
	s_wait_dscnt 0x1
	v_cmp_gt_f32_e32 vcc_lo, 0, v116
	v_cndmask_b32_e64 v128, v116, -v116, vcc_lo
	v_cmp_gt_f32_e32 vcc_lo, 0, v117
	v_cndmask_b32_e64 v130, v117, -v117, vcc_lo
	s_wait_dscnt 0x0
	v_cmp_gt_f32_e32 vcc_lo, 0, v126
	v_cndmask_b32_e64 v129, v126, -v126, vcc_lo
	v_cmp_gt_f32_e32 vcc_lo, 0, v127
	v_cndmask_b32_e64 v131, v127, -v127, vcc_lo
	s_delay_alu instid0(VALU_DEP_1) | instskip(NEXT) | instid1(VALU_DEP_1)
	v_pk_add_f32 v[128:129], v[128:129], v[130:131]
	v_cmp_lt_f32_e32 vcc_lo, v128, v129
	v_dual_cndmask_b32 v116, v116, v126 :: v_dual_add_nc_u32 v119, 8, v119
	v_cndmask_b32_e32 v117, v117, v127, vcc_lo
	v_cndmask_b32_e64 v118, v118, s0, vcc_lo
	s_add_co_i32 s0, s0, 1
	s_delay_alu instid0(SALU_CYCLE_1)
	s_cmp_lg_u32 s18, s0
	s_cbranch_scc1 .LBB108_1009
.LBB108_1010:
	s_wait_dscnt 0x0
	v_cmp_eq_f32_e32 vcc_lo, 0, v116
	v_cmp_eq_f32_e64 s0, 0, v117
	s_and_b32 s0, vcc_lo, s0
	s_delay_alu instid0(SALU_CYCLE_1) | instskip(NEXT) | instid1(SALU_CYCLE_1)
	s_and_saveexec_b32 s1, s0
	s_xor_b32 s0, exec_lo, s1
; %bb.1011:
	v_cmp_ne_u32_e32 vcc_lo, 0, v122
	v_cndmask_b32_e32 v122, 49, v122, vcc_lo
; %bb.1012:
	s_and_not1_saveexec_b32 s0, s0
	s_cbranch_execz .LBB108_1018
; %bb.1013:
	v_cmp_ngt_f32_e64 s1, |v116|, |v117|
	s_and_saveexec_b32 s12, s1
	s_delay_alu instid0(SALU_CYCLE_1)
	s_xor_b32 s1, exec_lo, s12
	s_cbranch_execz .LBB108_1015
; %bb.1014:
	v_div_scale_f32 v119, null, v117, v117, v116
	v_div_scale_f32 v127, vcc_lo, v116, v117, v116
	s_delay_alu instid0(VALU_DEP_2) | instskip(SKIP_1) | instid1(TRANS32_DEP_1)
	v_rcp_f32_e32 v125, v119
	v_nop
	v_fma_f32 v126, -v119, v125, 1.0
	s_delay_alu instid0(VALU_DEP_1) | instskip(NEXT) | instid1(VALU_DEP_1)
	v_fmac_f32_e32 v125, v126, v125
	v_mul_f32_e32 v126, v127, v125
	s_delay_alu instid0(VALU_DEP_1) | instskip(NEXT) | instid1(VALU_DEP_1)
	v_fma_f32 v128, -v119, v126, v127
	v_fmac_f32_e32 v126, v128, v125
	s_delay_alu instid0(VALU_DEP_1) | instskip(NEXT) | instid1(VALU_DEP_1)
	v_fma_f32 v119, -v119, v126, v127
	v_div_fmas_f32 v119, v119, v125, v126
	s_delay_alu instid0(VALU_DEP_1) | instskip(NEXT) | instid1(VALU_DEP_1)
	v_div_fixup_f32 v119, v119, v117, v116
	v_fmac_f32_e32 v117, v116, v119
	s_delay_alu instid0(VALU_DEP_1) | instskip(SKIP_1) | instid1(VALU_DEP_2)
	v_div_scale_f32 v116, null, v117, v117, 1.0
	v_div_scale_f32 v127, vcc_lo, 1.0, v117, 1.0
	v_rcp_f32_e32 v125, v116
	v_nop
	s_delay_alu instid0(TRANS32_DEP_1) | instskip(NEXT) | instid1(VALU_DEP_1)
	v_fma_f32 v126, -v116, v125, 1.0
	v_fmac_f32_e32 v125, v126, v125
	s_delay_alu instid0(VALU_DEP_1) | instskip(NEXT) | instid1(VALU_DEP_1)
	v_mul_f32_e32 v126, v127, v125
	v_fma_f32 v128, -v116, v126, v127
	s_delay_alu instid0(VALU_DEP_1) | instskip(NEXT) | instid1(VALU_DEP_1)
	v_fmac_f32_e32 v126, v128, v125
	v_fma_f32 v116, -v116, v126, v127
	s_delay_alu instid0(VALU_DEP_1) | instskip(NEXT) | instid1(VALU_DEP_1)
	v_div_fmas_f32 v116, v116, v125, v126
	v_div_fixup_f32 v117, v116, v117, 1.0
	s_delay_alu instid0(VALU_DEP_1)
	v_mul_f32_e32 v116, v119, v117
	v_xor_b32_e32 v117, 0x80000000, v117
.LBB108_1015:
	s_and_not1_saveexec_b32 s1, s1
	s_cbranch_execz .LBB108_1017
; %bb.1016:
	s_delay_alu instid0(VALU_DEP_1) | instskip(SKIP_1) | instid1(VALU_DEP_2)
	v_div_scale_f32 v119, null, v116, v116, v117
	v_div_scale_f32 v127, vcc_lo, v117, v116, v117
	v_rcp_f32_e32 v125, v119
	v_nop
	s_delay_alu instid0(TRANS32_DEP_1) | instskip(NEXT) | instid1(VALU_DEP_1)
	v_fma_f32 v126, -v119, v125, 1.0
	v_fmac_f32_e32 v125, v126, v125
	s_delay_alu instid0(VALU_DEP_1) | instskip(NEXT) | instid1(VALU_DEP_1)
	v_mul_f32_e32 v126, v127, v125
	v_fma_f32 v128, -v119, v126, v127
	s_delay_alu instid0(VALU_DEP_1) | instskip(NEXT) | instid1(VALU_DEP_1)
	v_fmac_f32_e32 v126, v128, v125
	v_fma_f32 v119, -v119, v126, v127
	s_delay_alu instid0(VALU_DEP_1) | instskip(NEXT) | instid1(VALU_DEP_1)
	v_div_fmas_f32 v119, v119, v125, v126
	v_div_fixup_f32 v119, v119, v116, v117
	s_delay_alu instid0(VALU_DEP_1) | instskip(NEXT) | instid1(VALU_DEP_1)
	v_fmac_f32_e32 v116, v117, v119
	v_div_scale_f32 v117, null, v116, v116, 1.0
	s_delay_alu instid0(VALU_DEP_1) | instskip(SKIP_1) | instid1(TRANS32_DEP_1)
	v_rcp_f32_e32 v125, v117
	v_nop
	v_fma_f32 v126, -v117, v125, 1.0
	s_delay_alu instid0(VALU_DEP_1) | instskip(SKIP_1) | instid1(VALU_DEP_1)
	v_fmac_f32_e32 v125, v126, v125
	v_div_scale_f32 v126, vcc_lo, 1.0, v116, 1.0
	v_mul_f32_e32 v127, v126, v125
	s_delay_alu instid0(VALU_DEP_1) | instskip(NEXT) | instid1(VALU_DEP_1)
	v_fma_f32 v128, -v117, v127, v126
	v_fmac_f32_e32 v127, v128, v125
	s_delay_alu instid0(VALU_DEP_1) | instskip(NEXT) | instid1(VALU_DEP_1)
	v_fma_f32 v117, -v117, v127, v126
	v_div_fmas_f32 v117, v117, v125, v127
	s_delay_alu instid0(VALU_DEP_1) | instskip(NEXT) | instid1(VALU_DEP_1)
	v_div_fixup_f32 v116, v117, v116, 1.0
	v_mul_f32_e64 v117, v119, -v116
.LBB108_1017:
	s_or_b32 exec_lo, exec_lo, s1
.LBB108_1018:
	s_delay_alu instid0(SALU_CYCLE_1) | instskip(NEXT) | instid1(SALU_CYCLE_1)
	s_or_b32 exec_lo, exec_lo, s0
	s_mov_b32 s0, exec_lo
	v_cmpx_ne_u32_e64 v124, v118
	s_xor_b32 s0, exec_lo, s0
	s_cbranch_execz .LBB108_1024
; %bb.1019:
	s_mov_b32 s1, exec_lo
	v_cmpx_eq_u32_e32 48, v124
	s_cbranch_execz .LBB108_1023
; %bb.1020:
	v_cmp_ne_u32_e32 vcc_lo, 48, v118
	s_xor_b32 s12, s16, -1
	s_delay_alu instid0(SALU_CYCLE_1) | instskip(NEXT) | instid1(SALU_CYCLE_1)
	s_and_b32 s13, s12, vcc_lo
	s_and_saveexec_b32 s12, s13
	s_cbranch_execz .LBB108_1022
; %bb.1021:
	v_ashrrev_i32_e32 v119, 31, v118
	s_delay_alu instid0(VALU_DEP_1)
	v_lshl_add_u64 v[124:125], v[118:119], 2, v[4:5]
	s_clause 0x1
	global_load_b32 v119, v[124:125], off
	global_load_b32 v123, v[4:5], off offset:192
	s_wait_loadcnt 0x1
	global_store_b32 v[4:5], v119, off offset:192
	s_wait_loadcnt 0x0
	global_store_b32 v[124:125], v123, off
.LBB108_1022:
	s_wait_xcnt 0x0
	s_or_b32 exec_lo, exec_lo, s12
	v_dual_mov_b32 v124, v118 :: v_dual_mov_b32 v123, v118
.LBB108_1023:
	s_or_b32 exec_lo, exec_lo, s1
.LBB108_1024:
	s_and_not1_saveexec_b32 s0, s0
	s_cbranch_execz .LBB108_1026
; %bb.1025:
	v_mov_b32_e32 v124, 48
	ds_store_2addr_b64 v120, v[50:51], v[8:9] offset0:49 offset1:50
	ds_store_2addr_b64 v120, v[30:31], v[34:35] offset0:51 offset1:52
	;; [unrolled: 1-line block ×3, first 2 shown]
.LBB108_1026:
	s_or_b32 exec_lo, exec_lo, s0
	s_delay_alu instid0(SALU_CYCLE_1)
	s_mov_b32 s0, exec_lo
	s_wait_storecnt_dscnt 0x0
	s_barrier_signal -1
	s_barrier_wait -1
	v_cmpx_lt_i32_e32 48, v124
	s_cbranch_execz .LBB108_1028
; %bb.1027:
	v_pk_mul_f32 v[118:119], v[116:117], v[52:53] op_sel:[1,1] op_sel_hi:[0,1]
	s_delay_alu instid0(VALU_DEP_1)
	v_pk_fma_f32 v[126:127], v[116:117], v[52:53], v[118:119] op_sel_hi:[1,0,1] neg_lo:[0,0,1] neg_hi:[0,0,1]
	v_pk_fma_f32 v[128:129], v[116:117], v[52:53], v[118:119] op_sel_hi:[1,0,1]
	ds_load_2addr_b64 v[116:119], v120 offset0:49 offset1:50
	v_dual_mov_b32 v52, v126 :: v_dual_mov_b32 v53, v129
	s_wait_dscnt 0x0
	v_pk_mul_f32 v[130:131], v[116:117], v[128:129] op_sel:[0,1]
	s_delay_alu instid0(VALU_DEP_1) | instskip(SKIP_1) | instid1(VALU_DEP_1)
	v_pk_fma_f32 v[132:133], v[116:117], v[126:127], v[130:131] op_sel:[0,0,1] op_sel_hi:[1,1,0] neg_lo:[0,0,1] neg_hi:[0,0,1]
	v_pk_fma_f32 v[116:117], v[116:117], v[126:127], v[130:131] op_sel:[0,0,1] op_sel_hi:[1,0,0]
	v_mov_b32_e32 v133, v117
	v_pk_mul_f32 v[116:117], v[118:119], v[128:129] op_sel:[0,1]
	s_delay_alu instid0(VALU_DEP_1) | instskip(SKIP_1) | instid1(VALU_DEP_1)
	v_pk_fma_f32 v[130:131], v[118:119], v[126:127], v[116:117] op_sel:[0,0,1] op_sel_hi:[1,1,0] neg_lo:[0,0,1] neg_hi:[0,0,1]
	v_pk_fma_f32 v[116:117], v[118:119], v[126:127], v[116:117] op_sel:[0,0,1] op_sel_hi:[1,0,0]
	v_mov_b32_e32 v131, v117
	ds_load_2addr_b64 v[116:119], v120 offset0:51 offset1:52
	v_pk_add_f32 v[50:51], v[50:51], v[132:133] neg_lo:[0,1] neg_hi:[0,1]
	v_pk_add_f32 v[8:9], v[8:9], v[130:131] neg_lo:[0,1] neg_hi:[0,1]
	s_wait_dscnt 0x0
	v_pk_mul_f32 v[130:131], v[116:117], v[128:129] op_sel:[0,1]
	s_delay_alu instid0(VALU_DEP_1) | instskip(SKIP_2) | instid1(VALU_DEP_2)
	v_pk_fma_f32 v[132:133], v[116:117], v[126:127], v[130:131] op_sel:[0,0,1] op_sel_hi:[1,1,0] neg_lo:[0,0,1] neg_hi:[0,0,1]
	v_pk_fma_f32 v[116:117], v[116:117], v[126:127], v[130:131] op_sel:[0,0,1] op_sel_hi:[1,0,0]
	v_dual_mul_f32 v130, v119, v129 :: v_dual_mov_b32 v116, v119
	v_dual_mov_b32 v133, v117 :: v_dual_mov_b32 v117, v118
	s_delay_alu instid0(VALU_DEP_2) | instskip(SKIP_1) | instid1(VALU_DEP_3)
	v_pk_fma_f32 v[130:131], v[118:119], v[52:53], v[130:131] op_sel_hi:[1,1,0] neg_lo:[0,0,1] neg_hi:[0,0,1]
	v_mul_f32_e32 v118, v119, v126
	v_pk_add_f32 v[30:31], v[30:31], v[132:133] neg_lo:[0,1] neg_hi:[0,1]
	s_delay_alu instid0(VALU_DEP_2) | instskip(NEXT) | instid1(VALU_DEP_1)
	v_pk_fma_f32 v[116:117], v[116:117], v[52:53], v[118:119] op_sel_hi:[1,1,0]
	v_mov_b32_e32 v131, v117
	ds_load_2addr_b64 v[116:119], v120 offset0:53 offset1:54
	v_pk_add_f32 v[34:35], v[34:35], v[130:131] neg_lo:[0,1] neg_hi:[0,1]
	s_wait_dscnt 0x0
	v_pk_mul_f32 v[130:131], v[116:117], v[128:129] op_sel:[0,1]
	v_mul_f32_e32 v128, v119, v129
	s_delay_alu instid0(VALU_DEP_2) | instskip(SKIP_2) | instid1(VALU_DEP_4)
	v_pk_fma_f32 v[132:133], v[116:117], v[126:127], v[130:131] op_sel:[0,0,1] op_sel_hi:[1,1,0] neg_lo:[0,0,1] neg_hi:[0,0,1]
	v_pk_fma_f32 v[116:117], v[116:117], v[126:127], v[130:131] op_sel:[0,0,1] op_sel_hi:[1,0,0]
	v_mov_b32_e32 v116, v119
	v_pk_fma_f32 v[128:129], v[118:119], v[52:53], v[128:129] op_sel_hi:[1,1,0] neg_lo:[0,0,1] neg_hi:[0,0,1]
	s_delay_alu instid0(VALU_DEP_3) | instskip(SKIP_1) | instid1(VALU_DEP_2)
	v_dual_mov_b32 v133, v117 :: v_dual_mov_b32 v117, v118
	v_mul_f32_e32 v118, v119, v126
	v_pk_add_f32 v[24:25], v[24:25], v[132:133] neg_lo:[0,1] neg_hi:[0,1]
	s_delay_alu instid0(VALU_DEP_2) | instskip(NEXT) | instid1(VALU_DEP_1)
	v_pk_fma_f32 v[116:117], v[116:117], v[52:53], v[118:119] op_sel_hi:[1,1,0]
	v_mov_b32_e32 v129, v117
	s_delay_alu instid0(VALU_DEP_1)
	v_pk_add_f32 v[114:115], v[114:115], v[128:129] neg_lo:[0,1] neg_hi:[0,1]
.LBB108_1028:
	s_or_b32 exec_lo, exec_lo, s0
	v_lshl_add_u32 v116, v124, 3, v120
	s_barrier_signal -1
	s_barrier_wait -1
	ds_store_b64 v116, v[50:51]
	s_wait_dscnt 0x0
	s_barrier_signal -1
	s_barrier_wait -1
	ds_load_b64 v[116:117], v120 offset:392
	v_mov_b32_e32 v118, 49
	s_cmp_lt_i32 s18, 51
	s_cbranch_scc1 .LBB108_1031
; %bb.1029:
	v_add3_u32 v119, v121, 0, 0x190
	v_mov_b32_e32 v118, 49
	s_mov_b32 s0, 50
.LBB108_1030:                           ; =>This Inner Loop Header: Depth=1
	ds_load_b64 v[126:127], v119
	s_wait_dscnt 0x1
	v_cmp_gt_f32_e32 vcc_lo, 0, v116
	v_cndmask_b32_e64 v128, v116, -v116, vcc_lo
	v_cmp_gt_f32_e32 vcc_lo, 0, v117
	v_cndmask_b32_e64 v130, v117, -v117, vcc_lo
	s_wait_dscnt 0x0
	v_cmp_gt_f32_e32 vcc_lo, 0, v126
	v_cndmask_b32_e64 v129, v126, -v126, vcc_lo
	v_cmp_gt_f32_e32 vcc_lo, 0, v127
	v_cndmask_b32_e64 v131, v127, -v127, vcc_lo
	s_delay_alu instid0(VALU_DEP_1) | instskip(NEXT) | instid1(VALU_DEP_1)
	v_pk_add_f32 v[128:129], v[128:129], v[130:131]
	v_cmp_lt_f32_e32 vcc_lo, v128, v129
	v_dual_cndmask_b32 v116, v116, v126 :: v_dual_add_nc_u32 v119, 8, v119
	v_cndmask_b32_e32 v117, v117, v127, vcc_lo
	v_cndmask_b32_e64 v118, v118, s0, vcc_lo
	s_add_co_i32 s0, s0, 1
	s_delay_alu instid0(SALU_CYCLE_1)
	s_cmp_lg_u32 s18, s0
	s_cbranch_scc1 .LBB108_1030
.LBB108_1031:
	s_wait_dscnt 0x0
	v_cmp_eq_f32_e32 vcc_lo, 0, v116
	v_cmp_eq_f32_e64 s0, 0, v117
	s_and_b32 s0, vcc_lo, s0
	s_delay_alu instid0(SALU_CYCLE_1) | instskip(NEXT) | instid1(SALU_CYCLE_1)
	s_and_saveexec_b32 s1, s0
	s_xor_b32 s0, exec_lo, s1
; %bb.1032:
	v_cmp_ne_u32_e32 vcc_lo, 0, v122
	v_cndmask_b32_e32 v122, 50, v122, vcc_lo
; %bb.1033:
	s_and_not1_saveexec_b32 s0, s0
	s_cbranch_execz .LBB108_1039
; %bb.1034:
	v_cmp_ngt_f32_e64 s1, |v116|, |v117|
	s_and_saveexec_b32 s12, s1
	s_delay_alu instid0(SALU_CYCLE_1)
	s_xor_b32 s1, exec_lo, s12
	s_cbranch_execz .LBB108_1036
; %bb.1035:
	v_div_scale_f32 v119, null, v117, v117, v116
	v_div_scale_f32 v127, vcc_lo, v116, v117, v116
	s_delay_alu instid0(VALU_DEP_2) | instskip(SKIP_1) | instid1(TRANS32_DEP_1)
	v_rcp_f32_e32 v125, v119
	v_nop
	v_fma_f32 v126, -v119, v125, 1.0
	s_delay_alu instid0(VALU_DEP_1) | instskip(NEXT) | instid1(VALU_DEP_1)
	v_fmac_f32_e32 v125, v126, v125
	v_mul_f32_e32 v126, v127, v125
	s_delay_alu instid0(VALU_DEP_1) | instskip(NEXT) | instid1(VALU_DEP_1)
	v_fma_f32 v128, -v119, v126, v127
	v_fmac_f32_e32 v126, v128, v125
	s_delay_alu instid0(VALU_DEP_1) | instskip(NEXT) | instid1(VALU_DEP_1)
	v_fma_f32 v119, -v119, v126, v127
	v_div_fmas_f32 v119, v119, v125, v126
	s_delay_alu instid0(VALU_DEP_1) | instskip(NEXT) | instid1(VALU_DEP_1)
	v_div_fixup_f32 v119, v119, v117, v116
	v_fmac_f32_e32 v117, v116, v119
	s_delay_alu instid0(VALU_DEP_1) | instskip(SKIP_1) | instid1(VALU_DEP_2)
	v_div_scale_f32 v116, null, v117, v117, 1.0
	v_div_scale_f32 v127, vcc_lo, 1.0, v117, 1.0
	v_rcp_f32_e32 v125, v116
	v_nop
	s_delay_alu instid0(TRANS32_DEP_1) | instskip(NEXT) | instid1(VALU_DEP_1)
	v_fma_f32 v126, -v116, v125, 1.0
	v_fmac_f32_e32 v125, v126, v125
	s_delay_alu instid0(VALU_DEP_1) | instskip(NEXT) | instid1(VALU_DEP_1)
	v_mul_f32_e32 v126, v127, v125
	v_fma_f32 v128, -v116, v126, v127
	s_delay_alu instid0(VALU_DEP_1) | instskip(NEXT) | instid1(VALU_DEP_1)
	v_fmac_f32_e32 v126, v128, v125
	v_fma_f32 v116, -v116, v126, v127
	s_delay_alu instid0(VALU_DEP_1) | instskip(NEXT) | instid1(VALU_DEP_1)
	v_div_fmas_f32 v116, v116, v125, v126
	v_div_fixup_f32 v117, v116, v117, 1.0
	s_delay_alu instid0(VALU_DEP_1)
	v_mul_f32_e32 v116, v119, v117
	v_xor_b32_e32 v117, 0x80000000, v117
.LBB108_1036:
	s_and_not1_saveexec_b32 s1, s1
	s_cbranch_execz .LBB108_1038
; %bb.1037:
	s_delay_alu instid0(VALU_DEP_1) | instskip(SKIP_1) | instid1(VALU_DEP_2)
	v_div_scale_f32 v119, null, v116, v116, v117
	v_div_scale_f32 v127, vcc_lo, v117, v116, v117
	v_rcp_f32_e32 v125, v119
	v_nop
	s_delay_alu instid0(TRANS32_DEP_1) | instskip(NEXT) | instid1(VALU_DEP_1)
	v_fma_f32 v126, -v119, v125, 1.0
	v_fmac_f32_e32 v125, v126, v125
	s_delay_alu instid0(VALU_DEP_1) | instskip(NEXT) | instid1(VALU_DEP_1)
	v_mul_f32_e32 v126, v127, v125
	v_fma_f32 v128, -v119, v126, v127
	s_delay_alu instid0(VALU_DEP_1) | instskip(NEXT) | instid1(VALU_DEP_1)
	v_fmac_f32_e32 v126, v128, v125
	v_fma_f32 v119, -v119, v126, v127
	s_delay_alu instid0(VALU_DEP_1) | instskip(NEXT) | instid1(VALU_DEP_1)
	v_div_fmas_f32 v119, v119, v125, v126
	v_div_fixup_f32 v119, v119, v116, v117
	s_delay_alu instid0(VALU_DEP_1) | instskip(NEXT) | instid1(VALU_DEP_1)
	v_fmac_f32_e32 v116, v117, v119
	v_div_scale_f32 v117, null, v116, v116, 1.0
	s_delay_alu instid0(VALU_DEP_1) | instskip(SKIP_1) | instid1(TRANS32_DEP_1)
	v_rcp_f32_e32 v125, v117
	v_nop
	v_fma_f32 v126, -v117, v125, 1.0
	s_delay_alu instid0(VALU_DEP_1) | instskip(SKIP_1) | instid1(VALU_DEP_1)
	v_fmac_f32_e32 v125, v126, v125
	v_div_scale_f32 v126, vcc_lo, 1.0, v116, 1.0
	v_mul_f32_e32 v127, v126, v125
	s_delay_alu instid0(VALU_DEP_1) | instskip(NEXT) | instid1(VALU_DEP_1)
	v_fma_f32 v128, -v117, v127, v126
	v_fmac_f32_e32 v127, v128, v125
	s_delay_alu instid0(VALU_DEP_1) | instskip(NEXT) | instid1(VALU_DEP_1)
	v_fma_f32 v117, -v117, v127, v126
	v_div_fmas_f32 v117, v117, v125, v127
	s_delay_alu instid0(VALU_DEP_1) | instskip(NEXT) | instid1(VALU_DEP_1)
	v_div_fixup_f32 v116, v117, v116, 1.0
	v_mul_f32_e64 v117, v119, -v116
.LBB108_1038:
	s_or_b32 exec_lo, exec_lo, s1
.LBB108_1039:
	s_delay_alu instid0(SALU_CYCLE_1) | instskip(NEXT) | instid1(SALU_CYCLE_1)
	s_or_b32 exec_lo, exec_lo, s0
	s_mov_b32 s0, exec_lo
	v_cmpx_ne_u32_e64 v124, v118
	s_xor_b32 s0, exec_lo, s0
	s_cbranch_execz .LBB108_1045
; %bb.1040:
	s_mov_b32 s1, exec_lo
	v_cmpx_eq_u32_e32 49, v124
	s_cbranch_execz .LBB108_1044
; %bb.1041:
	v_cmp_ne_u32_e32 vcc_lo, 49, v118
	s_xor_b32 s12, s16, -1
	s_delay_alu instid0(SALU_CYCLE_1) | instskip(NEXT) | instid1(SALU_CYCLE_1)
	s_and_b32 s13, s12, vcc_lo
	s_and_saveexec_b32 s12, s13
	s_cbranch_execz .LBB108_1043
; %bb.1042:
	v_ashrrev_i32_e32 v119, 31, v118
	s_delay_alu instid0(VALU_DEP_1)
	v_lshl_add_u64 v[124:125], v[118:119], 2, v[4:5]
	s_clause 0x1
	global_load_b32 v119, v[124:125], off
	global_load_b32 v123, v[4:5], off offset:196
	s_wait_loadcnt 0x1
	global_store_b32 v[4:5], v119, off offset:196
	s_wait_loadcnt 0x0
	global_store_b32 v[124:125], v123, off
.LBB108_1043:
	s_wait_xcnt 0x0
	s_or_b32 exec_lo, exec_lo, s12
	v_dual_mov_b32 v124, v118 :: v_dual_mov_b32 v123, v118
.LBB108_1044:
	s_or_b32 exec_lo, exec_lo, s1
.LBB108_1045:
	s_and_not1_saveexec_b32 s0, s0
	s_cbranch_execz .LBB108_1047
; %bb.1046:
	v_dual_mov_b32 v118, v8 :: v_dual_mov_b32 v119, v9
	v_dual_mov_b32 v126, v30 :: v_dual_mov_b32 v127, v31
	;; [unrolled: 1-line block ×4, first 2 shown]
	v_mov_b32_e32 v131, v25
	ds_store_2addr_b64 v120, v[118:119], v[126:127] offset0:50 offset1:51
	ds_store_2addr_b64 v120, v[128:129], v[130:131] offset0:52 offset1:53
	ds_store_b64 v120, v[114:115] offset:432
.LBB108_1047:
	s_or_b32 exec_lo, exec_lo, s0
	s_delay_alu instid0(SALU_CYCLE_1)
	s_mov_b32 s0, exec_lo
	s_wait_storecnt_dscnt 0x0
	s_barrier_signal -1
	s_barrier_wait -1
	v_cmpx_lt_i32_e32 49, v124
	s_cbranch_execz .LBB108_1049
; %bb.1048:
	v_pk_mul_f32 v[118:119], v[116:117], v[50:51] op_sel:[1,1] op_sel_hi:[0,1]
	s_delay_alu instid0(VALU_DEP_1)
	v_pk_fma_f32 v[126:127], v[116:117], v[50:51], v[118:119] op_sel_hi:[1,0,1] neg_lo:[0,0,1] neg_hi:[0,0,1]
	v_pk_fma_f32 v[128:129], v[116:117], v[50:51], v[118:119] op_sel_hi:[1,0,1]
	ds_load_2addr_b64 v[116:119], v120 offset0:50 offset1:51
	v_dual_mov_b32 v50, v126 :: v_dual_mov_b32 v51, v129
	s_wait_dscnt 0x0
	v_pk_mul_f32 v[130:131], v[116:117], v[128:129] op_sel:[0,1]
	s_delay_alu instid0(VALU_DEP_1) | instskip(SKIP_1) | instid1(VALU_DEP_1)
	v_pk_fma_f32 v[132:133], v[116:117], v[126:127], v[130:131] op_sel:[0,0,1] op_sel_hi:[1,1,0] neg_lo:[0,0,1] neg_hi:[0,0,1]
	v_pk_fma_f32 v[116:117], v[116:117], v[126:127], v[130:131] op_sel:[0,0,1] op_sel_hi:[1,0,0]
	v_mov_b32_e32 v133, v117
	v_pk_mul_f32 v[116:117], v[118:119], v[128:129] op_sel:[0,1]
	s_delay_alu instid0(VALU_DEP_1) | instskip(SKIP_1) | instid1(VALU_DEP_1)
	v_pk_fma_f32 v[130:131], v[118:119], v[126:127], v[116:117] op_sel:[0,0,1] op_sel_hi:[1,1,0] neg_lo:[0,0,1] neg_hi:[0,0,1]
	v_pk_fma_f32 v[116:117], v[118:119], v[126:127], v[116:117] op_sel:[0,0,1] op_sel_hi:[1,0,0]
	v_mov_b32_e32 v131, v117
	ds_load_2addr_b64 v[116:119], v120 offset0:52 offset1:53
	v_pk_add_f32 v[8:9], v[8:9], v[132:133] neg_lo:[0,1] neg_hi:[0,1]
	v_pk_add_f32 v[30:31], v[30:31], v[130:131] neg_lo:[0,1] neg_hi:[0,1]
	s_wait_dscnt 0x0
	v_pk_mul_f32 v[130:131], v[116:117], v[128:129] op_sel:[0,1]
	s_delay_alu instid0(VALU_DEP_1) | instskip(SKIP_2) | instid1(VALU_DEP_2)
	v_pk_fma_f32 v[132:133], v[116:117], v[126:127], v[130:131] op_sel:[0,0,1] op_sel_hi:[1,1,0] neg_lo:[0,0,1] neg_hi:[0,0,1]
	v_pk_fma_f32 v[116:117], v[116:117], v[126:127], v[130:131] op_sel:[0,0,1] op_sel_hi:[1,0,0]
	v_dual_mul_f32 v130, v119, v129 :: v_dual_mov_b32 v116, v119
	v_dual_mov_b32 v133, v117 :: v_dual_mov_b32 v117, v118
	s_delay_alu instid0(VALU_DEP_2) | instskip(SKIP_1) | instid1(VALU_DEP_3)
	v_pk_fma_f32 v[130:131], v[118:119], v[50:51], v[130:131] op_sel_hi:[1,1,0] neg_lo:[0,0,1] neg_hi:[0,0,1]
	v_mul_f32_e32 v118, v119, v126
	v_pk_add_f32 v[34:35], v[34:35], v[132:133] neg_lo:[0,1] neg_hi:[0,1]
	s_delay_alu instid0(VALU_DEP_2) | instskip(NEXT) | instid1(VALU_DEP_1)
	v_pk_fma_f32 v[116:117], v[116:117], v[50:51], v[118:119] op_sel_hi:[1,1,0]
	v_mov_b32_e32 v131, v117
	ds_load_b64 v[116:117], v120 offset:432
	v_pk_add_f32 v[24:25], v[24:25], v[130:131] neg_lo:[0,1] neg_hi:[0,1]
	s_wait_dscnt 0x0
	v_pk_mul_f32 v[118:119], v[116:117], v[128:129] op_sel:[0,1]
	s_delay_alu instid0(VALU_DEP_1) | instskip(SKIP_1) | instid1(VALU_DEP_1)
	v_pk_fma_f32 v[128:129], v[116:117], v[126:127], v[118:119] op_sel:[0,0,1] op_sel_hi:[1,1,0] neg_lo:[0,0,1] neg_hi:[0,0,1]
	v_pk_fma_f32 v[116:117], v[116:117], v[126:127], v[118:119] op_sel:[0,0,1] op_sel_hi:[1,0,0]
	v_mov_b32_e32 v129, v117
	s_delay_alu instid0(VALU_DEP_1)
	v_pk_add_f32 v[114:115], v[114:115], v[128:129] neg_lo:[0,1] neg_hi:[0,1]
.LBB108_1049:
	s_or_b32 exec_lo, exec_lo, s0
	v_lshl_add_u32 v116, v124, 3, v120
	s_barrier_signal -1
	s_barrier_wait -1
	ds_store_b64 v116, v[8:9]
	s_wait_dscnt 0x0
	s_barrier_signal -1
	s_barrier_wait -1
	ds_load_b64 v[116:117], v120 offset:400
	v_mov_b32_e32 v118, 50
	s_cmp_lt_i32 s18, 52
	s_cbranch_scc1 .LBB108_1052
; %bb.1050:
	v_add3_u32 v119, v121, 0, 0x198
	v_mov_b32_e32 v118, 50
	s_mov_b32 s0, 51
.LBB108_1051:                           ; =>This Inner Loop Header: Depth=1
	ds_load_b64 v[126:127], v119
	s_wait_dscnt 0x1
	v_cmp_gt_f32_e32 vcc_lo, 0, v116
	v_cndmask_b32_e64 v128, v116, -v116, vcc_lo
	v_cmp_gt_f32_e32 vcc_lo, 0, v117
	v_cndmask_b32_e64 v130, v117, -v117, vcc_lo
	s_wait_dscnt 0x0
	v_cmp_gt_f32_e32 vcc_lo, 0, v126
	v_cndmask_b32_e64 v129, v126, -v126, vcc_lo
	v_cmp_gt_f32_e32 vcc_lo, 0, v127
	v_cndmask_b32_e64 v131, v127, -v127, vcc_lo
	s_delay_alu instid0(VALU_DEP_1) | instskip(NEXT) | instid1(VALU_DEP_1)
	v_pk_add_f32 v[128:129], v[128:129], v[130:131]
	v_cmp_lt_f32_e32 vcc_lo, v128, v129
	v_dual_cndmask_b32 v116, v116, v126 :: v_dual_add_nc_u32 v119, 8, v119
	v_cndmask_b32_e32 v117, v117, v127, vcc_lo
	v_cndmask_b32_e64 v118, v118, s0, vcc_lo
	s_add_co_i32 s0, s0, 1
	s_delay_alu instid0(SALU_CYCLE_1)
	s_cmp_lg_u32 s18, s0
	s_cbranch_scc1 .LBB108_1051
.LBB108_1052:
	s_wait_dscnt 0x0
	v_cmp_eq_f32_e32 vcc_lo, 0, v116
	v_cmp_eq_f32_e64 s0, 0, v117
	s_and_b32 s0, vcc_lo, s0
	s_delay_alu instid0(SALU_CYCLE_1) | instskip(NEXT) | instid1(SALU_CYCLE_1)
	s_and_saveexec_b32 s1, s0
	s_xor_b32 s0, exec_lo, s1
; %bb.1053:
	v_cmp_ne_u32_e32 vcc_lo, 0, v122
	v_cndmask_b32_e32 v122, 51, v122, vcc_lo
; %bb.1054:
	s_and_not1_saveexec_b32 s0, s0
	s_cbranch_execz .LBB108_1060
; %bb.1055:
	v_cmp_ngt_f32_e64 s1, |v116|, |v117|
	s_and_saveexec_b32 s12, s1
	s_delay_alu instid0(SALU_CYCLE_1)
	s_xor_b32 s1, exec_lo, s12
	s_cbranch_execz .LBB108_1057
; %bb.1056:
	v_div_scale_f32 v119, null, v117, v117, v116
	v_div_scale_f32 v127, vcc_lo, v116, v117, v116
	s_delay_alu instid0(VALU_DEP_2) | instskip(SKIP_1) | instid1(TRANS32_DEP_1)
	v_rcp_f32_e32 v125, v119
	v_nop
	v_fma_f32 v126, -v119, v125, 1.0
	s_delay_alu instid0(VALU_DEP_1) | instskip(NEXT) | instid1(VALU_DEP_1)
	v_fmac_f32_e32 v125, v126, v125
	v_mul_f32_e32 v126, v127, v125
	s_delay_alu instid0(VALU_DEP_1) | instskip(NEXT) | instid1(VALU_DEP_1)
	v_fma_f32 v128, -v119, v126, v127
	v_fmac_f32_e32 v126, v128, v125
	s_delay_alu instid0(VALU_DEP_1) | instskip(NEXT) | instid1(VALU_DEP_1)
	v_fma_f32 v119, -v119, v126, v127
	v_div_fmas_f32 v119, v119, v125, v126
	s_delay_alu instid0(VALU_DEP_1) | instskip(NEXT) | instid1(VALU_DEP_1)
	v_div_fixup_f32 v119, v119, v117, v116
	v_fmac_f32_e32 v117, v116, v119
	s_delay_alu instid0(VALU_DEP_1) | instskip(SKIP_1) | instid1(VALU_DEP_2)
	v_div_scale_f32 v116, null, v117, v117, 1.0
	v_div_scale_f32 v127, vcc_lo, 1.0, v117, 1.0
	v_rcp_f32_e32 v125, v116
	v_nop
	s_delay_alu instid0(TRANS32_DEP_1) | instskip(NEXT) | instid1(VALU_DEP_1)
	v_fma_f32 v126, -v116, v125, 1.0
	v_fmac_f32_e32 v125, v126, v125
	s_delay_alu instid0(VALU_DEP_1) | instskip(NEXT) | instid1(VALU_DEP_1)
	v_mul_f32_e32 v126, v127, v125
	v_fma_f32 v128, -v116, v126, v127
	s_delay_alu instid0(VALU_DEP_1) | instskip(NEXT) | instid1(VALU_DEP_1)
	v_fmac_f32_e32 v126, v128, v125
	v_fma_f32 v116, -v116, v126, v127
	s_delay_alu instid0(VALU_DEP_1) | instskip(NEXT) | instid1(VALU_DEP_1)
	v_div_fmas_f32 v116, v116, v125, v126
	v_div_fixup_f32 v117, v116, v117, 1.0
	s_delay_alu instid0(VALU_DEP_1)
	v_mul_f32_e32 v116, v119, v117
	v_xor_b32_e32 v117, 0x80000000, v117
.LBB108_1057:
	s_and_not1_saveexec_b32 s1, s1
	s_cbranch_execz .LBB108_1059
; %bb.1058:
	s_delay_alu instid0(VALU_DEP_1) | instskip(SKIP_1) | instid1(VALU_DEP_2)
	v_div_scale_f32 v119, null, v116, v116, v117
	v_div_scale_f32 v127, vcc_lo, v117, v116, v117
	v_rcp_f32_e32 v125, v119
	v_nop
	s_delay_alu instid0(TRANS32_DEP_1) | instskip(NEXT) | instid1(VALU_DEP_1)
	v_fma_f32 v126, -v119, v125, 1.0
	v_fmac_f32_e32 v125, v126, v125
	s_delay_alu instid0(VALU_DEP_1) | instskip(NEXT) | instid1(VALU_DEP_1)
	v_mul_f32_e32 v126, v127, v125
	v_fma_f32 v128, -v119, v126, v127
	s_delay_alu instid0(VALU_DEP_1) | instskip(NEXT) | instid1(VALU_DEP_1)
	v_fmac_f32_e32 v126, v128, v125
	v_fma_f32 v119, -v119, v126, v127
	s_delay_alu instid0(VALU_DEP_1) | instskip(NEXT) | instid1(VALU_DEP_1)
	v_div_fmas_f32 v119, v119, v125, v126
	v_div_fixup_f32 v119, v119, v116, v117
	s_delay_alu instid0(VALU_DEP_1) | instskip(NEXT) | instid1(VALU_DEP_1)
	v_fmac_f32_e32 v116, v117, v119
	v_div_scale_f32 v117, null, v116, v116, 1.0
	s_delay_alu instid0(VALU_DEP_1) | instskip(SKIP_1) | instid1(TRANS32_DEP_1)
	v_rcp_f32_e32 v125, v117
	v_nop
	v_fma_f32 v126, -v117, v125, 1.0
	s_delay_alu instid0(VALU_DEP_1) | instskip(SKIP_1) | instid1(VALU_DEP_1)
	v_fmac_f32_e32 v125, v126, v125
	v_div_scale_f32 v126, vcc_lo, 1.0, v116, 1.0
	v_mul_f32_e32 v127, v126, v125
	s_delay_alu instid0(VALU_DEP_1) | instskip(NEXT) | instid1(VALU_DEP_1)
	v_fma_f32 v128, -v117, v127, v126
	v_fmac_f32_e32 v127, v128, v125
	s_delay_alu instid0(VALU_DEP_1) | instskip(NEXT) | instid1(VALU_DEP_1)
	v_fma_f32 v117, -v117, v127, v126
	v_div_fmas_f32 v117, v117, v125, v127
	s_delay_alu instid0(VALU_DEP_1) | instskip(NEXT) | instid1(VALU_DEP_1)
	v_div_fixup_f32 v116, v117, v116, 1.0
	v_mul_f32_e64 v117, v119, -v116
.LBB108_1059:
	s_or_b32 exec_lo, exec_lo, s1
.LBB108_1060:
	s_delay_alu instid0(SALU_CYCLE_1) | instskip(NEXT) | instid1(SALU_CYCLE_1)
	s_or_b32 exec_lo, exec_lo, s0
	s_mov_b32 s0, exec_lo
	v_cmpx_ne_u32_e64 v124, v118
	s_xor_b32 s0, exec_lo, s0
	s_cbranch_execz .LBB108_1066
; %bb.1061:
	s_mov_b32 s1, exec_lo
	v_cmpx_eq_u32_e32 50, v124
	s_cbranch_execz .LBB108_1065
; %bb.1062:
	v_cmp_ne_u32_e32 vcc_lo, 50, v118
	s_xor_b32 s12, s16, -1
	s_delay_alu instid0(SALU_CYCLE_1) | instskip(NEXT) | instid1(SALU_CYCLE_1)
	s_and_b32 s13, s12, vcc_lo
	s_and_saveexec_b32 s12, s13
	s_cbranch_execz .LBB108_1064
; %bb.1063:
	v_ashrrev_i32_e32 v119, 31, v118
	s_delay_alu instid0(VALU_DEP_1)
	v_lshl_add_u64 v[124:125], v[118:119], 2, v[4:5]
	s_clause 0x1
	global_load_b32 v119, v[124:125], off
	global_load_b32 v123, v[4:5], off offset:200
	s_wait_loadcnt 0x1
	global_store_b32 v[4:5], v119, off offset:200
	s_wait_loadcnt 0x0
	global_store_b32 v[124:125], v123, off
.LBB108_1064:
	s_wait_xcnt 0x0
	s_or_b32 exec_lo, exec_lo, s12
	v_dual_mov_b32 v124, v118 :: v_dual_mov_b32 v123, v118
.LBB108_1065:
	s_or_b32 exec_lo, exec_lo, s1
.LBB108_1066:
	s_and_not1_saveexec_b32 s0, s0
	s_cbranch_execz .LBB108_1068
; %bb.1067:
	v_mov_b32_e32 v124, 50
	ds_store_2addr_b64 v120, v[30:31], v[34:35] offset0:51 offset1:52
	ds_store_2addr_b64 v120, v[24:25], v[114:115] offset0:53 offset1:54
.LBB108_1068:
	s_or_b32 exec_lo, exec_lo, s0
	s_delay_alu instid0(SALU_CYCLE_1)
	s_mov_b32 s0, exec_lo
	s_wait_storecnt_dscnt 0x0
	s_barrier_signal -1
	s_barrier_wait -1
	v_cmpx_lt_i32_e32 50, v124
	s_cbranch_execz .LBB108_1070
; %bb.1069:
	ds_load_2addr_b64 v[126:129], v120 offset0:51 offset1:52
	ds_load_2addr_b64 v[130:133], v120 offset0:53 offset1:54
	v_pk_mul_f32 v[118:119], v[116:117], v[8:9] op_sel:[1,1] op_sel_hi:[0,1]
	s_delay_alu instid0(VALU_DEP_1) | instskip(SKIP_1) | instid1(VALU_DEP_1)
	v_pk_fma_f32 v[134:135], v[116:117], v[8:9], v[118:119] op_sel_hi:[1,0,1] neg_lo:[0,0,1] neg_hi:[0,0,1]
	v_pk_fma_f32 v[116:117], v[116:117], v[8:9], v[118:119] op_sel_hi:[1,0,1]
	v_dual_mov_b32 v8, v134 :: v_dual_mov_b32 v9, v117
	s_wait_dscnt 0x1
	s_delay_alu instid0(VALU_DEP_2)
	v_pk_mul_f32 v[118:119], v[126:127], v[116:117] op_sel:[0,1]
	s_wait_dscnt 0x0
	v_mov_b32_e32 v136, v133
	v_pk_mul_f32 v[138:139], v[128:129], v[116:117] op_sel:[0,1]
	v_pk_mul_f32 v[140:141], v[130:131], v[116:117] op_sel:[0,1]
	v_pk_fma_f32 v[142:143], v[126:127], v[134:135], v[118:119] op_sel:[0,0,1] op_sel_hi:[1,1,0] neg_lo:[0,0,1] neg_hi:[0,0,1]
	v_pk_fma_f32 v[118:119], v[126:127], v[134:135], v[118:119] op_sel:[0,0,1] op_sel_hi:[1,0,0]
	s_delay_alu instid0(VALU_DEP_1) | instskip(NEXT) | instid1(VALU_DEP_1)
	v_dual_mov_b32 v137, v132 :: v_dual_mov_b32 v143, v119
	v_pk_mul_f32 v[126:127], v[136:137], v[116:117] op_sel:[0,1]
	v_pk_fma_f32 v[136:137], v[128:129], v[134:135], v[138:139] op_sel:[0,0,1] op_sel_hi:[1,0,0]
	v_pk_fma_f32 v[128:129], v[128:129], v[134:135], v[138:139] op_sel:[0,0,1] op_sel_hi:[1,1,0] neg_lo:[0,0,1] neg_hi:[0,0,1]
	v_pk_fma_f32 v[138:139], v[130:131], v[134:135], v[140:141] op_sel:[0,0,1] op_sel_hi:[1,0,0]
	v_pk_fma_f32 v[130:131], v[130:131], v[134:135], v[140:141] op_sel:[0,0,1] op_sel_hi:[1,1,0] neg_lo:[0,0,1] neg_hi:[0,0,1]
	v_pk_fma_f32 v[118:119], v[132:133], v[134:135], v[126:127] op_sel_hi:[1,0,1]
	v_pk_fma_f32 v[126:127], v[132:133], v[134:135], v[126:127] neg_lo:[0,0,1] neg_hi:[0,0,1]
	s_delay_alu instid0(VALU_DEP_4) | instskip(SKIP_1) | instid1(VALU_DEP_4)
	v_dual_mov_b32 v129, v137 :: v_dual_mov_b32 v131, v139
	v_pk_add_f32 v[30:31], v[30:31], v[142:143] neg_lo:[0,1] neg_hi:[0,1]
	v_mov_b32_e32 v127, v119
	s_delay_alu instid0(VALU_DEP_3) | instskip(NEXT) | instid1(VALU_DEP_4)
	v_pk_add_f32 v[34:35], v[34:35], v[128:129] neg_lo:[0,1] neg_hi:[0,1]
	v_pk_add_f32 v[24:25], v[24:25], v[130:131] neg_lo:[0,1] neg_hi:[0,1]
	s_delay_alu instid0(VALU_DEP_3)
	v_pk_add_f32 v[114:115], v[114:115], v[126:127] neg_lo:[0,1] neg_hi:[0,1]
.LBB108_1070:
	s_or_b32 exec_lo, exec_lo, s0
	v_lshl_add_u32 v116, v124, 3, v120
	s_barrier_signal -1
	s_barrier_wait -1
	ds_store_b64 v116, v[30:31]
	s_wait_dscnt 0x0
	s_barrier_signal -1
	s_barrier_wait -1
	ds_load_b64 v[116:117], v120 offset:408
	v_mov_b32_e32 v118, 51
	s_cmp_lt_i32 s18, 53
	s_cbranch_scc1 .LBB108_1073
; %bb.1071:
	v_add3_u32 v119, v121, 0, 0x1a0
	v_mov_b32_e32 v118, 51
	s_mov_b32 s0, 52
.LBB108_1072:                           ; =>This Inner Loop Header: Depth=1
	ds_load_b64 v[126:127], v119
	s_wait_dscnt 0x1
	v_cmp_gt_f32_e32 vcc_lo, 0, v116
	v_cndmask_b32_e64 v128, v116, -v116, vcc_lo
	v_cmp_gt_f32_e32 vcc_lo, 0, v117
	v_cndmask_b32_e64 v130, v117, -v117, vcc_lo
	s_wait_dscnt 0x0
	v_cmp_gt_f32_e32 vcc_lo, 0, v126
	v_cndmask_b32_e64 v129, v126, -v126, vcc_lo
	v_cmp_gt_f32_e32 vcc_lo, 0, v127
	v_cndmask_b32_e64 v131, v127, -v127, vcc_lo
	s_delay_alu instid0(VALU_DEP_1) | instskip(NEXT) | instid1(VALU_DEP_1)
	v_pk_add_f32 v[128:129], v[128:129], v[130:131]
	v_cmp_lt_f32_e32 vcc_lo, v128, v129
	v_dual_cndmask_b32 v116, v116, v126 :: v_dual_add_nc_u32 v119, 8, v119
	v_cndmask_b32_e32 v117, v117, v127, vcc_lo
	v_cndmask_b32_e64 v118, v118, s0, vcc_lo
	s_add_co_i32 s0, s0, 1
	s_delay_alu instid0(SALU_CYCLE_1)
	s_cmp_lg_u32 s18, s0
	s_cbranch_scc1 .LBB108_1072
.LBB108_1073:
	s_wait_dscnt 0x0
	v_cmp_eq_f32_e32 vcc_lo, 0, v116
	v_cmp_eq_f32_e64 s0, 0, v117
	s_and_b32 s0, vcc_lo, s0
	s_delay_alu instid0(SALU_CYCLE_1) | instskip(NEXT) | instid1(SALU_CYCLE_1)
	s_and_saveexec_b32 s1, s0
	s_xor_b32 s0, exec_lo, s1
; %bb.1074:
	v_cmp_ne_u32_e32 vcc_lo, 0, v122
	v_cndmask_b32_e32 v122, 52, v122, vcc_lo
; %bb.1075:
	s_and_not1_saveexec_b32 s0, s0
	s_cbranch_execz .LBB108_1081
; %bb.1076:
	v_cmp_ngt_f32_e64 s1, |v116|, |v117|
	s_and_saveexec_b32 s12, s1
	s_delay_alu instid0(SALU_CYCLE_1)
	s_xor_b32 s1, exec_lo, s12
	s_cbranch_execz .LBB108_1078
; %bb.1077:
	v_div_scale_f32 v119, null, v117, v117, v116
	v_div_scale_f32 v127, vcc_lo, v116, v117, v116
	s_delay_alu instid0(VALU_DEP_2) | instskip(SKIP_1) | instid1(TRANS32_DEP_1)
	v_rcp_f32_e32 v125, v119
	v_nop
	v_fma_f32 v126, -v119, v125, 1.0
	s_delay_alu instid0(VALU_DEP_1) | instskip(NEXT) | instid1(VALU_DEP_1)
	v_fmac_f32_e32 v125, v126, v125
	v_mul_f32_e32 v126, v127, v125
	s_delay_alu instid0(VALU_DEP_1) | instskip(NEXT) | instid1(VALU_DEP_1)
	v_fma_f32 v128, -v119, v126, v127
	v_fmac_f32_e32 v126, v128, v125
	s_delay_alu instid0(VALU_DEP_1) | instskip(NEXT) | instid1(VALU_DEP_1)
	v_fma_f32 v119, -v119, v126, v127
	v_div_fmas_f32 v119, v119, v125, v126
	s_delay_alu instid0(VALU_DEP_1) | instskip(NEXT) | instid1(VALU_DEP_1)
	v_div_fixup_f32 v119, v119, v117, v116
	v_fmac_f32_e32 v117, v116, v119
	s_delay_alu instid0(VALU_DEP_1) | instskip(SKIP_1) | instid1(VALU_DEP_2)
	v_div_scale_f32 v116, null, v117, v117, 1.0
	v_div_scale_f32 v127, vcc_lo, 1.0, v117, 1.0
	v_rcp_f32_e32 v125, v116
	v_nop
	s_delay_alu instid0(TRANS32_DEP_1) | instskip(NEXT) | instid1(VALU_DEP_1)
	v_fma_f32 v126, -v116, v125, 1.0
	v_fmac_f32_e32 v125, v126, v125
	s_delay_alu instid0(VALU_DEP_1) | instskip(NEXT) | instid1(VALU_DEP_1)
	v_mul_f32_e32 v126, v127, v125
	v_fma_f32 v128, -v116, v126, v127
	s_delay_alu instid0(VALU_DEP_1) | instskip(NEXT) | instid1(VALU_DEP_1)
	v_fmac_f32_e32 v126, v128, v125
	v_fma_f32 v116, -v116, v126, v127
	s_delay_alu instid0(VALU_DEP_1) | instskip(NEXT) | instid1(VALU_DEP_1)
	v_div_fmas_f32 v116, v116, v125, v126
	v_div_fixup_f32 v117, v116, v117, 1.0
	s_delay_alu instid0(VALU_DEP_1)
	v_mul_f32_e32 v116, v119, v117
	v_xor_b32_e32 v117, 0x80000000, v117
.LBB108_1078:
	s_and_not1_saveexec_b32 s1, s1
	s_cbranch_execz .LBB108_1080
; %bb.1079:
	s_delay_alu instid0(VALU_DEP_1) | instskip(SKIP_1) | instid1(VALU_DEP_2)
	v_div_scale_f32 v119, null, v116, v116, v117
	v_div_scale_f32 v127, vcc_lo, v117, v116, v117
	v_rcp_f32_e32 v125, v119
	v_nop
	s_delay_alu instid0(TRANS32_DEP_1) | instskip(NEXT) | instid1(VALU_DEP_1)
	v_fma_f32 v126, -v119, v125, 1.0
	v_fmac_f32_e32 v125, v126, v125
	s_delay_alu instid0(VALU_DEP_1) | instskip(NEXT) | instid1(VALU_DEP_1)
	v_mul_f32_e32 v126, v127, v125
	v_fma_f32 v128, -v119, v126, v127
	s_delay_alu instid0(VALU_DEP_1) | instskip(NEXT) | instid1(VALU_DEP_1)
	v_fmac_f32_e32 v126, v128, v125
	v_fma_f32 v119, -v119, v126, v127
	s_delay_alu instid0(VALU_DEP_1) | instskip(NEXT) | instid1(VALU_DEP_1)
	v_div_fmas_f32 v119, v119, v125, v126
	v_div_fixup_f32 v119, v119, v116, v117
	s_delay_alu instid0(VALU_DEP_1) | instskip(NEXT) | instid1(VALU_DEP_1)
	v_fmac_f32_e32 v116, v117, v119
	v_div_scale_f32 v117, null, v116, v116, 1.0
	s_delay_alu instid0(VALU_DEP_1) | instskip(SKIP_1) | instid1(TRANS32_DEP_1)
	v_rcp_f32_e32 v125, v117
	v_nop
	v_fma_f32 v126, -v117, v125, 1.0
	s_delay_alu instid0(VALU_DEP_1) | instskip(SKIP_1) | instid1(VALU_DEP_1)
	v_fmac_f32_e32 v125, v126, v125
	v_div_scale_f32 v126, vcc_lo, 1.0, v116, 1.0
	v_mul_f32_e32 v127, v126, v125
	s_delay_alu instid0(VALU_DEP_1) | instskip(NEXT) | instid1(VALU_DEP_1)
	v_fma_f32 v128, -v117, v127, v126
	v_fmac_f32_e32 v127, v128, v125
	s_delay_alu instid0(VALU_DEP_1) | instskip(NEXT) | instid1(VALU_DEP_1)
	v_fma_f32 v117, -v117, v127, v126
	v_div_fmas_f32 v117, v117, v125, v127
	s_delay_alu instid0(VALU_DEP_1) | instskip(NEXT) | instid1(VALU_DEP_1)
	v_div_fixup_f32 v116, v117, v116, 1.0
	v_mul_f32_e64 v117, v119, -v116
.LBB108_1080:
	s_or_b32 exec_lo, exec_lo, s1
.LBB108_1081:
	s_delay_alu instid0(SALU_CYCLE_1) | instskip(NEXT) | instid1(SALU_CYCLE_1)
	s_or_b32 exec_lo, exec_lo, s0
	s_mov_b32 s0, exec_lo
	v_cmpx_ne_u32_e64 v124, v118
	s_xor_b32 s0, exec_lo, s0
	s_cbranch_execz .LBB108_1087
; %bb.1082:
	s_mov_b32 s1, exec_lo
	v_cmpx_eq_u32_e32 51, v124
	s_cbranch_execz .LBB108_1086
; %bb.1083:
	v_cmp_ne_u32_e32 vcc_lo, 51, v118
	s_xor_b32 s12, s16, -1
	s_delay_alu instid0(SALU_CYCLE_1) | instskip(NEXT) | instid1(SALU_CYCLE_1)
	s_and_b32 s13, s12, vcc_lo
	s_and_saveexec_b32 s12, s13
	s_cbranch_execz .LBB108_1085
; %bb.1084:
	v_ashrrev_i32_e32 v119, 31, v118
	s_delay_alu instid0(VALU_DEP_1)
	v_lshl_add_u64 v[124:125], v[118:119], 2, v[4:5]
	s_clause 0x1
	global_load_b32 v119, v[124:125], off
	global_load_b32 v123, v[4:5], off offset:204
	s_wait_loadcnt 0x1
	global_store_b32 v[4:5], v119, off offset:204
	s_wait_loadcnt 0x0
	global_store_b32 v[124:125], v123, off
.LBB108_1085:
	s_wait_xcnt 0x0
	s_or_b32 exec_lo, exec_lo, s12
	v_dual_mov_b32 v124, v118 :: v_dual_mov_b32 v123, v118
.LBB108_1086:
	s_or_b32 exec_lo, exec_lo, s1
.LBB108_1087:
	s_and_not1_saveexec_b32 s0, s0
	s_cbranch_execz .LBB108_1089
; %bb.1088:
	v_dual_mov_b32 v118, v34 :: v_dual_mov_b32 v119, v35
	v_dual_mov_b32 v126, v24 :: v_dual_mov_b32 v127, v25
	v_mov_b32_e32 v124, 51
	ds_store_2addr_b64 v120, v[118:119], v[126:127] offset0:52 offset1:53
	ds_store_b64 v120, v[114:115] offset:432
.LBB108_1089:
	s_or_b32 exec_lo, exec_lo, s0
	s_delay_alu instid0(SALU_CYCLE_1)
	s_mov_b32 s0, exec_lo
	s_wait_storecnt_dscnt 0x0
	s_barrier_signal -1
	s_barrier_wait -1
	v_cmpx_lt_i32_e32 51, v124
	s_cbranch_execz .LBB108_1091
; %bb.1090:
	ds_load_2addr_b64 v[126:129], v120 offset0:52 offset1:53
	ds_load_b64 v[118:119], v120 offset:432
	v_pk_mul_f32 v[130:131], v[116:117], v[30:31] op_sel:[1,1] op_sel_hi:[0,1]
	s_delay_alu instid0(VALU_DEP_1) | instskip(SKIP_2) | instid1(VALU_DEP_2)
	v_pk_fma_f32 v[132:133], v[116:117], v[30:31], v[130:131] op_sel_hi:[1,0,1]
	v_pk_fma_f32 v[30:31], v[116:117], v[30:31], v[130:131] op_sel_hi:[1,0,1] neg_lo:[0,0,1] neg_hi:[0,0,1]
	s_wait_dscnt 0x1
	v_pk_mul_f32 v[116:117], v[126:127], v[132:133] op_sel:[0,1]
	v_pk_mul_f32 v[130:131], v[128:129], v[132:133] op_sel:[0,1]
	s_wait_dscnt 0x0
	v_pk_mul_f32 v[134:135], v[118:119], v[132:133] op_sel:[1,1] op_sel_hi:[0,1]
	s_delay_alu instid0(VALU_DEP_3) | instskip(SKIP_2) | instid1(VALU_DEP_4)
	v_pk_fma_f32 v[136:137], v[126:127], v[30:31], v[116:117] op_sel:[0,0,1] op_sel_hi:[1,1,0] neg_lo:[0,0,1] neg_hi:[0,0,1]
	v_pk_fma_f32 v[116:117], v[126:127], v[30:31], v[116:117] op_sel:[0,0,1] op_sel_hi:[1,0,0]
	v_pk_fma_f32 v[126:127], v[128:129], v[30:31], v[130:131] op_sel:[0,0,1] op_sel_hi:[1,0,0]
	v_pk_fma_f32 v[138:139], v[118:119], v[30:31], v[134:135] op_sel_hi:[1,0,1]
	v_pk_fma_f32 v[128:129], v[128:129], v[30:31], v[130:131] op_sel:[0,0,1] op_sel_hi:[1,1,0] neg_lo:[0,0,1] neg_hi:[0,0,1]
	v_pk_fma_f32 v[118:119], v[118:119], v[30:31], v[134:135] neg_lo:[0,0,1] neg_hi:[0,0,1]
	s_delay_alu instid0(VALU_DEP_4) | instskip(NEXT) | instid1(VALU_DEP_4)
	v_dual_mov_b32 v137, v117 :: v_dual_mov_b32 v129, v127
	v_dual_mov_b32 v119, v139 :: v_dual_mov_b32 v31, v133
	s_delay_alu instid0(VALU_DEP_2) | instskip(NEXT) | instid1(VALU_DEP_3)
	v_pk_add_f32 v[34:35], v[34:35], v[136:137] neg_lo:[0,1] neg_hi:[0,1]
	v_pk_add_f32 v[24:25], v[24:25], v[128:129] neg_lo:[0,1] neg_hi:[0,1]
	s_delay_alu instid0(VALU_DEP_3)
	v_pk_add_f32 v[114:115], v[114:115], v[118:119] neg_lo:[0,1] neg_hi:[0,1]
.LBB108_1091:
	s_or_b32 exec_lo, exec_lo, s0
	v_lshl_add_u32 v116, v124, 3, v120
	s_barrier_signal -1
	s_barrier_wait -1
	ds_store_b64 v116, v[34:35]
	s_wait_dscnt 0x0
	s_barrier_signal -1
	s_barrier_wait -1
	ds_load_b64 v[116:117], v120 offset:416
	v_mov_b32_e32 v118, 52
	s_cmp_lt_i32 s18, 54
	s_cbranch_scc1 .LBB108_1094
; %bb.1092:
	v_add3_u32 v119, v121, 0, 0x1a8
	v_mov_b32_e32 v118, 52
	s_mov_b32 s0, 53
.LBB108_1093:                           ; =>This Inner Loop Header: Depth=1
	ds_load_b64 v[126:127], v119
	s_wait_dscnt 0x1
	v_cmp_gt_f32_e32 vcc_lo, 0, v116
	v_cndmask_b32_e64 v128, v116, -v116, vcc_lo
	v_cmp_gt_f32_e32 vcc_lo, 0, v117
	v_cndmask_b32_e64 v130, v117, -v117, vcc_lo
	s_wait_dscnt 0x0
	v_cmp_gt_f32_e32 vcc_lo, 0, v126
	v_cndmask_b32_e64 v129, v126, -v126, vcc_lo
	v_cmp_gt_f32_e32 vcc_lo, 0, v127
	v_cndmask_b32_e64 v131, v127, -v127, vcc_lo
	s_delay_alu instid0(VALU_DEP_1) | instskip(NEXT) | instid1(VALU_DEP_1)
	v_pk_add_f32 v[128:129], v[128:129], v[130:131]
	v_cmp_lt_f32_e32 vcc_lo, v128, v129
	v_dual_cndmask_b32 v116, v116, v126 :: v_dual_add_nc_u32 v119, 8, v119
	v_cndmask_b32_e32 v117, v117, v127, vcc_lo
	v_cndmask_b32_e64 v118, v118, s0, vcc_lo
	s_add_co_i32 s0, s0, 1
	s_delay_alu instid0(SALU_CYCLE_1)
	s_cmp_lg_u32 s18, s0
	s_cbranch_scc1 .LBB108_1093
.LBB108_1094:
	s_wait_dscnt 0x0
	v_cmp_eq_f32_e32 vcc_lo, 0, v116
	v_cmp_eq_f32_e64 s0, 0, v117
	s_and_b32 s0, vcc_lo, s0
	s_delay_alu instid0(SALU_CYCLE_1) | instskip(NEXT) | instid1(SALU_CYCLE_1)
	s_and_saveexec_b32 s1, s0
	s_xor_b32 s0, exec_lo, s1
; %bb.1095:
	v_cmp_ne_u32_e32 vcc_lo, 0, v122
	v_cndmask_b32_e32 v122, 53, v122, vcc_lo
; %bb.1096:
	s_and_not1_saveexec_b32 s0, s0
	s_cbranch_execz .LBB108_1102
; %bb.1097:
	v_cmp_ngt_f32_e64 s1, |v116|, |v117|
	s_and_saveexec_b32 s12, s1
	s_delay_alu instid0(SALU_CYCLE_1)
	s_xor_b32 s1, exec_lo, s12
	s_cbranch_execz .LBB108_1099
; %bb.1098:
	v_div_scale_f32 v119, null, v117, v117, v116
	v_div_scale_f32 v127, vcc_lo, v116, v117, v116
	s_delay_alu instid0(VALU_DEP_2) | instskip(SKIP_1) | instid1(TRANS32_DEP_1)
	v_rcp_f32_e32 v125, v119
	v_nop
	v_fma_f32 v126, -v119, v125, 1.0
	s_delay_alu instid0(VALU_DEP_1) | instskip(NEXT) | instid1(VALU_DEP_1)
	v_fmac_f32_e32 v125, v126, v125
	v_mul_f32_e32 v126, v127, v125
	s_delay_alu instid0(VALU_DEP_1) | instskip(NEXT) | instid1(VALU_DEP_1)
	v_fma_f32 v128, -v119, v126, v127
	v_fmac_f32_e32 v126, v128, v125
	s_delay_alu instid0(VALU_DEP_1) | instskip(NEXT) | instid1(VALU_DEP_1)
	v_fma_f32 v119, -v119, v126, v127
	v_div_fmas_f32 v119, v119, v125, v126
	s_delay_alu instid0(VALU_DEP_1) | instskip(NEXT) | instid1(VALU_DEP_1)
	v_div_fixup_f32 v119, v119, v117, v116
	v_fmac_f32_e32 v117, v116, v119
	s_delay_alu instid0(VALU_DEP_1) | instskip(SKIP_1) | instid1(VALU_DEP_2)
	v_div_scale_f32 v116, null, v117, v117, 1.0
	v_div_scale_f32 v127, vcc_lo, 1.0, v117, 1.0
	v_rcp_f32_e32 v125, v116
	v_nop
	s_delay_alu instid0(TRANS32_DEP_1) | instskip(NEXT) | instid1(VALU_DEP_1)
	v_fma_f32 v126, -v116, v125, 1.0
	v_fmac_f32_e32 v125, v126, v125
	s_delay_alu instid0(VALU_DEP_1) | instskip(NEXT) | instid1(VALU_DEP_1)
	v_mul_f32_e32 v126, v127, v125
	v_fma_f32 v128, -v116, v126, v127
	s_delay_alu instid0(VALU_DEP_1) | instskip(NEXT) | instid1(VALU_DEP_1)
	v_fmac_f32_e32 v126, v128, v125
	v_fma_f32 v116, -v116, v126, v127
	s_delay_alu instid0(VALU_DEP_1) | instskip(NEXT) | instid1(VALU_DEP_1)
	v_div_fmas_f32 v116, v116, v125, v126
	v_div_fixup_f32 v117, v116, v117, 1.0
	s_delay_alu instid0(VALU_DEP_1)
	v_mul_f32_e32 v116, v119, v117
	v_xor_b32_e32 v117, 0x80000000, v117
.LBB108_1099:
	s_and_not1_saveexec_b32 s1, s1
	s_cbranch_execz .LBB108_1101
; %bb.1100:
	s_delay_alu instid0(VALU_DEP_1) | instskip(SKIP_1) | instid1(VALU_DEP_2)
	v_div_scale_f32 v119, null, v116, v116, v117
	v_div_scale_f32 v127, vcc_lo, v117, v116, v117
	v_rcp_f32_e32 v125, v119
	v_nop
	s_delay_alu instid0(TRANS32_DEP_1) | instskip(NEXT) | instid1(VALU_DEP_1)
	v_fma_f32 v126, -v119, v125, 1.0
	v_fmac_f32_e32 v125, v126, v125
	s_delay_alu instid0(VALU_DEP_1) | instskip(NEXT) | instid1(VALU_DEP_1)
	v_mul_f32_e32 v126, v127, v125
	v_fma_f32 v128, -v119, v126, v127
	s_delay_alu instid0(VALU_DEP_1) | instskip(NEXT) | instid1(VALU_DEP_1)
	v_fmac_f32_e32 v126, v128, v125
	v_fma_f32 v119, -v119, v126, v127
	s_delay_alu instid0(VALU_DEP_1) | instskip(NEXT) | instid1(VALU_DEP_1)
	v_div_fmas_f32 v119, v119, v125, v126
	v_div_fixup_f32 v119, v119, v116, v117
	s_delay_alu instid0(VALU_DEP_1) | instskip(NEXT) | instid1(VALU_DEP_1)
	v_fmac_f32_e32 v116, v117, v119
	v_div_scale_f32 v117, null, v116, v116, 1.0
	s_delay_alu instid0(VALU_DEP_1) | instskip(SKIP_1) | instid1(TRANS32_DEP_1)
	v_rcp_f32_e32 v125, v117
	v_nop
	v_fma_f32 v126, -v117, v125, 1.0
	s_delay_alu instid0(VALU_DEP_1) | instskip(SKIP_1) | instid1(VALU_DEP_1)
	v_fmac_f32_e32 v125, v126, v125
	v_div_scale_f32 v126, vcc_lo, 1.0, v116, 1.0
	v_mul_f32_e32 v127, v126, v125
	s_delay_alu instid0(VALU_DEP_1) | instskip(NEXT) | instid1(VALU_DEP_1)
	v_fma_f32 v128, -v117, v127, v126
	v_fmac_f32_e32 v127, v128, v125
	s_delay_alu instid0(VALU_DEP_1) | instskip(NEXT) | instid1(VALU_DEP_1)
	v_fma_f32 v117, -v117, v127, v126
	v_div_fmas_f32 v117, v117, v125, v127
	s_delay_alu instid0(VALU_DEP_1) | instskip(NEXT) | instid1(VALU_DEP_1)
	v_div_fixup_f32 v116, v117, v116, 1.0
	v_mul_f32_e64 v117, v119, -v116
.LBB108_1101:
	s_or_b32 exec_lo, exec_lo, s1
.LBB108_1102:
	s_delay_alu instid0(SALU_CYCLE_1) | instskip(NEXT) | instid1(SALU_CYCLE_1)
	s_or_b32 exec_lo, exec_lo, s0
	s_mov_b32 s0, exec_lo
	v_cmpx_ne_u32_e64 v124, v118
	s_xor_b32 s0, exec_lo, s0
	s_cbranch_execz .LBB108_1108
; %bb.1103:
	s_mov_b32 s1, exec_lo
	v_cmpx_eq_u32_e32 52, v124
	s_cbranch_execz .LBB108_1107
; %bb.1104:
	v_cmp_ne_u32_e32 vcc_lo, 52, v118
	s_xor_b32 s12, s16, -1
	s_delay_alu instid0(SALU_CYCLE_1) | instskip(NEXT) | instid1(SALU_CYCLE_1)
	s_and_b32 s13, s12, vcc_lo
	s_and_saveexec_b32 s12, s13
	s_cbranch_execz .LBB108_1106
; %bb.1105:
	v_ashrrev_i32_e32 v119, 31, v118
	s_delay_alu instid0(VALU_DEP_1)
	v_lshl_add_u64 v[124:125], v[118:119], 2, v[4:5]
	s_clause 0x1
	global_load_b32 v119, v[124:125], off
	global_load_b32 v123, v[4:5], off offset:208
	s_wait_loadcnt 0x1
	global_store_b32 v[4:5], v119, off offset:208
	s_wait_loadcnt 0x0
	global_store_b32 v[124:125], v123, off
.LBB108_1106:
	s_wait_xcnt 0x0
	s_or_b32 exec_lo, exec_lo, s12
	v_dual_mov_b32 v124, v118 :: v_dual_mov_b32 v123, v118
.LBB108_1107:
	s_or_b32 exec_lo, exec_lo, s1
.LBB108_1108:
	s_and_not1_saveexec_b32 s0, s0
; %bb.1109:
	v_mov_b32_e32 v124, 52
	ds_store_2addr_b64 v120, v[24:25], v[114:115] offset0:53 offset1:54
; %bb.1110:
	s_or_b32 exec_lo, exec_lo, s0
	s_delay_alu instid0(SALU_CYCLE_1)
	s_mov_b32 s0, exec_lo
	s_wait_storecnt_dscnt 0x0
	s_barrier_signal -1
	s_barrier_wait -1
	v_cmpx_lt_i32_e32 52, v124
	s_cbranch_execz .LBB108_1112
; %bb.1111:
	ds_load_2addr_b64 v[126:129], v120 offset0:53 offset1:54
	v_pk_mul_f32 v[118:119], v[116:117], v[34:35] op_sel:[1,1] op_sel_hi:[0,1]
	s_delay_alu instid0(VALU_DEP_1) | instskip(SKIP_3) | instid1(VALU_DEP_3)
	v_pk_fma_f32 v[130:131], v[116:117], v[34:35], v[118:119] op_sel_hi:[1,0,1]
	v_pk_fma_f32 v[34:35], v[116:117], v[34:35], v[118:119] op_sel_hi:[1,0,1] neg_lo:[0,0,1] neg_hi:[0,0,1]
	s_wait_dscnt 0x0
	v_dual_mov_b32 v132, v129 :: v_dual_mov_b32 v133, v128
	v_pk_mul_f32 v[116:117], v[126:127], v[130:131] op_sel:[0,1]
	s_delay_alu instid0(VALU_DEP_2) | instskip(NEXT) | instid1(VALU_DEP_2)
	v_pk_mul_f32 v[118:119], v[132:133], v[130:131] op_sel:[0,1]
	v_pk_fma_f32 v[132:133], v[126:127], v[34:35], v[116:117] op_sel:[0,0,1] op_sel_hi:[1,0,0]
	v_pk_fma_f32 v[116:117], v[126:127], v[34:35], v[116:117] op_sel:[0,0,1] op_sel_hi:[1,1,0] neg_lo:[0,0,1] neg_hi:[0,0,1]
	s_delay_alu instid0(VALU_DEP_3) | instskip(SKIP_1) | instid1(VALU_DEP_4)
	v_pk_fma_f32 v[134:135], v[128:129], v[34:35], v[118:119] op_sel_hi:[1,0,1]
	v_pk_fma_f32 v[118:119], v[128:129], v[34:35], v[118:119] neg_lo:[0,0,1] neg_hi:[0,0,1]
	v_dual_mov_b32 v117, v133 :: v_dual_mov_b32 v35, v131
	s_delay_alu instid0(VALU_DEP_3) | instskip(NEXT) | instid1(VALU_DEP_2)
	v_mov_b32_e32 v119, v135
	v_pk_add_f32 v[24:25], v[24:25], v[116:117] neg_lo:[0,1] neg_hi:[0,1]
	s_delay_alu instid0(VALU_DEP_2)
	v_pk_add_f32 v[114:115], v[114:115], v[118:119] neg_lo:[0,1] neg_hi:[0,1]
.LBB108_1112:
	s_or_b32 exec_lo, exec_lo, s0
	v_lshl_add_u32 v116, v124, 3, v120
	s_barrier_signal -1
	s_barrier_wait -1
	ds_store_b64 v116, v[24:25]
	s_wait_dscnt 0x0
	s_barrier_signal -1
	s_barrier_wait -1
	ds_load_b64 v[116:117], v120 offset:424
	v_mov_b32_e32 v118, 53
	s_cmp_lt_i32 s18, 55
	s_cbranch_scc1 .LBB108_1115
; %bb.1113:
	v_add3_u32 v119, v121, 0, 0x1b0
	v_mov_b32_e32 v118, 53
	s_mov_b32 s0, 54
.LBB108_1114:                           ; =>This Inner Loop Header: Depth=1
	ds_load_b64 v[126:127], v119
	s_wait_dscnt 0x1
	v_cmp_gt_f32_e32 vcc_lo, 0, v116
	v_cndmask_b32_e64 v128, v116, -v116, vcc_lo
	v_cmp_gt_f32_e32 vcc_lo, 0, v117
	v_cndmask_b32_e64 v130, v117, -v117, vcc_lo
	s_wait_dscnt 0x0
	v_cmp_gt_f32_e32 vcc_lo, 0, v126
	v_cndmask_b32_e64 v129, v126, -v126, vcc_lo
	v_cmp_gt_f32_e32 vcc_lo, 0, v127
	v_cndmask_b32_e64 v131, v127, -v127, vcc_lo
	s_delay_alu instid0(VALU_DEP_1) | instskip(NEXT) | instid1(VALU_DEP_1)
	v_pk_add_f32 v[128:129], v[128:129], v[130:131]
	v_cmp_lt_f32_e32 vcc_lo, v128, v129
	v_dual_cndmask_b32 v116, v116, v126 :: v_dual_add_nc_u32 v119, 8, v119
	v_cndmask_b32_e32 v117, v117, v127, vcc_lo
	v_cndmask_b32_e64 v118, v118, s0, vcc_lo
	s_add_co_i32 s0, s0, 1
	s_delay_alu instid0(SALU_CYCLE_1)
	s_cmp_lg_u32 s18, s0
	s_cbranch_scc1 .LBB108_1114
.LBB108_1115:
	s_wait_dscnt 0x0
	v_cmp_eq_f32_e32 vcc_lo, 0, v116
	v_cmp_eq_f32_e64 s0, 0, v117
	s_and_b32 s0, vcc_lo, s0
	s_delay_alu instid0(SALU_CYCLE_1) | instskip(NEXT) | instid1(SALU_CYCLE_1)
	s_and_saveexec_b32 s1, s0
	s_xor_b32 s0, exec_lo, s1
; %bb.1116:
	v_cmp_ne_u32_e32 vcc_lo, 0, v122
	v_cndmask_b32_e32 v122, 54, v122, vcc_lo
; %bb.1117:
	s_and_not1_saveexec_b32 s0, s0
	s_cbranch_execz .LBB108_1123
; %bb.1118:
	v_cmp_ngt_f32_e64 s1, |v116|, |v117|
	s_and_saveexec_b32 s12, s1
	s_delay_alu instid0(SALU_CYCLE_1)
	s_xor_b32 s1, exec_lo, s12
	s_cbranch_execz .LBB108_1120
; %bb.1119:
	v_div_scale_f32 v119, null, v117, v117, v116
	v_div_scale_f32 v127, vcc_lo, v116, v117, v116
	s_delay_alu instid0(VALU_DEP_2) | instskip(SKIP_1) | instid1(TRANS32_DEP_1)
	v_rcp_f32_e32 v125, v119
	v_nop
	v_fma_f32 v126, -v119, v125, 1.0
	s_delay_alu instid0(VALU_DEP_1) | instskip(NEXT) | instid1(VALU_DEP_1)
	v_fmac_f32_e32 v125, v126, v125
	v_mul_f32_e32 v126, v127, v125
	s_delay_alu instid0(VALU_DEP_1) | instskip(NEXT) | instid1(VALU_DEP_1)
	v_fma_f32 v128, -v119, v126, v127
	v_fmac_f32_e32 v126, v128, v125
	s_delay_alu instid0(VALU_DEP_1) | instskip(NEXT) | instid1(VALU_DEP_1)
	v_fma_f32 v119, -v119, v126, v127
	v_div_fmas_f32 v119, v119, v125, v126
	s_delay_alu instid0(VALU_DEP_1) | instskip(NEXT) | instid1(VALU_DEP_1)
	v_div_fixup_f32 v119, v119, v117, v116
	v_fmac_f32_e32 v117, v116, v119
	s_delay_alu instid0(VALU_DEP_1) | instskip(SKIP_1) | instid1(VALU_DEP_2)
	v_div_scale_f32 v116, null, v117, v117, 1.0
	v_div_scale_f32 v127, vcc_lo, 1.0, v117, 1.0
	v_rcp_f32_e32 v125, v116
	v_nop
	s_delay_alu instid0(TRANS32_DEP_1) | instskip(NEXT) | instid1(VALU_DEP_1)
	v_fma_f32 v126, -v116, v125, 1.0
	v_fmac_f32_e32 v125, v126, v125
	s_delay_alu instid0(VALU_DEP_1) | instskip(NEXT) | instid1(VALU_DEP_1)
	v_mul_f32_e32 v126, v127, v125
	v_fma_f32 v128, -v116, v126, v127
	s_delay_alu instid0(VALU_DEP_1) | instskip(NEXT) | instid1(VALU_DEP_1)
	v_fmac_f32_e32 v126, v128, v125
	v_fma_f32 v116, -v116, v126, v127
	s_delay_alu instid0(VALU_DEP_1) | instskip(NEXT) | instid1(VALU_DEP_1)
	v_div_fmas_f32 v116, v116, v125, v126
	v_div_fixup_f32 v117, v116, v117, 1.0
	s_delay_alu instid0(VALU_DEP_1)
	v_mul_f32_e32 v116, v119, v117
	v_xor_b32_e32 v117, 0x80000000, v117
.LBB108_1120:
	s_and_not1_saveexec_b32 s1, s1
	s_cbranch_execz .LBB108_1122
; %bb.1121:
	s_delay_alu instid0(VALU_DEP_1) | instskip(SKIP_1) | instid1(VALU_DEP_2)
	v_div_scale_f32 v119, null, v116, v116, v117
	v_div_scale_f32 v127, vcc_lo, v117, v116, v117
	v_rcp_f32_e32 v125, v119
	v_nop
	s_delay_alu instid0(TRANS32_DEP_1) | instskip(NEXT) | instid1(VALU_DEP_1)
	v_fma_f32 v126, -v119, v125, 1.0
	v_fmac_f32_e32 v125, v126, v125
	s_delay_alu instid0(VALU_DEP_1) | instskip(NEXT) | instid1(VALU_DEP_1)
	v_mul_f32_e32 v126, v127, v125
	v_fma_f32 v128, -v119, v126, v127
	s_delay_alu instid0(VALU_DEP_1) | instskip(NEXT) | instid1(VALU_DEP_1)
	v_fmac_f32_e32 v126, v128, v125
	v_fma_f32 v119, -v119, v126, v127
	s_delay_alu instid0(VALU_DEP_1) | instskip(NEXT) | instid1(VALU_DEP_1)
	v_div_fmas_f32 v119, v119, v125, v126
	v_div_fixup_f32 v119, v119, v116, v117
	s_delay_alu instid0(VALU_DEP_1) | instskip(NEXT) | instid1(VALU_DEP_1)
	v_fmac_f32_e32 v116, v117, v119
	v_div_scale_f32 v117, null, v116, v116, 1.0
	s_delay_alu instid0(VALU_DEP_1) | instskip(SKIP_1) | instid1(TRANS32_DEP_1)
	v_rcp_f32_e32 v125, v117
	v_nop
	v_fma_f32 v126, -v117, v125, 1.0
	s_delay_alu instid0(VALU_DEP_1) | instskip(SKIP_1) | instid1(VALU_DEP_1)
	v_fmac_f32_e32 v125, v126, v125
	v_div_scale_f32 v126, vcc_lo, 1.0, v116, 1.0
	v_mul_f32_e32 v127, v126, v125
	s_delay_alu instid0(VALU_DEP_1) | instskip(NEXT) | instid1(VALU_DEP_1)
	v_fma_f32 v128, -v117, v127, v126
	v_fmac_f32_e32 v127, v128, v125
	s_delay_alu instid0(VALU_DEP_1) | instskip(NEXT) | instid1(VALU_DEP_1)
	v_fma_f32 v117, -v117, v127, v126
	v_div_fmas_f32 v117, v117, v125, v127
	s_delay_alu instid0(VALU_DEP_1) | instskip(NEXT) | instid1(VALU_DEP_1)
	v_div_fixup_f32 v116, v117, v116, 1.0
	v_mul_f32_e64 v117, v119, -v116
.LBB108_1122:
	s_or_b32 exec_lo, exec_lo, s1
.LBB108_1123:
	s_delay_alu instid0(SALU_CYCLE_1) | instskip(NEXT) | instid1(SALU_CYCLE_1)
	s_or_b32 exec_lo, exec_lo, s0
	s_mov_b32 s0, exec_lo
	v_cmpx_ne_u32_e64 v124, v118
	s_xor_b32 s0, exec_lo, s0
	s_cbranch_execz .LBB108_1129
; %bb.1124:
	s_mov_b32 s1, exec_lo
	v_cmpx_eq_u32_e32 53, v124
	s_cbranch_execz .LBB108_1128
; %bb.1125:
	v_cmp_ne_u32_e32 vcc_lo, 53, v118
	s_xor_b32 s12, s16, -1
	s_delay_alu instid0(SALU_CYCLE_1) | instskip(NEXT) | instid1(SALU_CYCLE_1)
	s_and_b32 s13, s12, vcc_lo
	s_and_saveexec_b32 s12, s13
	s_cbranch_execz .LBB108_1127
; %bb.1126:
	v_ashrrev_i32_e32 v119, 31, v118
	s_delay_alu instid0(VALU_DEP_1)
	v_lshl_add_u64 v[124:125], v[118:119], 2, v[4:5]
	s_clause 0x1
	global_load_b32 v119, v[124:125], off
	global_load_b32 v123, v[4:5], off offset:212
	s_wait_loadcnt 0x1
	global_store_b32 v[4:5], v119, off offset:212
	s_wait_loadcnt 0x0
	global_store_b32 v[124:125], v123, off
.LBB108_1127:
	s_wait_xcnt 0x0
	s_or_b32 exec_lo, exec_lo, s12
	v_dual_mov_b32 v124, v118 :: v_dual_mov_b32 v123, v118
.LBB108_1128:
	s_or_b32 exec_lo, exec_lo, s1
.LBB108_1129:
	s_and_not1_saveexec_b32 s0, s0
; %bb.1130:
	v_mov_b32_e32 v124, 53
	ds_store_b64 v120, v[114:115] offset:432
; %bb.1131:
	s_or_b32 exec_lo, exec_lo, s0
	s_delay_alu instid0(SALU_CYCLE_1)
	s_mov_b32 s0, exec_lo
	s_wait_storecnt_dscnt 0x0
	s_barrier_signal -1
	s_barrier_wait -1
	v_cmpx_lt_i32_e32 53, v124
	s_cbranch_execz .LBB108_1133
; %bb.1132:
	ds_load_b64 v[118:119], v120 offset:432
	v_pk_mul_f32 v[126:127], v[116:117], v[24:25] op_sel:[1,1] op_sel_hi:[0,1]
	s_delay_alu instid0(VALU_DEP_1) | instskip(SKIP_2) | instid1(VALU_DEP_2)
	v_pk_fma_f32 v[128:129], v[116:117], v[24:25], v[126:127] op_sel_hi:[1,0,1]
	v_pk_fma_f32 v[24:25], v[116:117], v[24:25], v[126:127] op_sel_hi:[1,0,1] neg_lo:[0,0,1] neg_hi:[0,0,1]
	s_wait_dscnt 0x0
	v_pk_mul_f32 v[116:117], v[118:119], v[128:129] op_sel:[1,1] op_sel_hi:[0,1]
	s_delay_alu instid0(VALU_DEP_1) | instskip(SKIP_1) | instid1(VALU_DEP_2)
	v_pk_fma_f32 v[126:127], v[118:119], v[24:25], v[116:117] op_sel_hi:[1,0,1]
	v_pk_fma_f32 v[116:117], v[118:119], v[24:25], v[116:117] neg_lo:[0,0,1] neg_hi:[0,0,1]
	v_dual_mov_b32 v25, v129 :: v_dual_mov_b32 v117, v127
	s_delay_alu instid0(VALU_DEP_1)
	v_pk_add_f32 v[114:115], v[114:115], v[116:117] neg_lo:[0,1] neg_hi:[0,1]
.LBB108_1133:
	s_or_b32 exec_lo, exec_lo, s0
	v_lshl_add_u32 v116, v124, 3, v120
	s_barrier_signal -1
	s_barrier_wait -1
	ds_store_b64 v116, v[114:115]
	s_wait_dscnt 0x0
	s_barrier_signal -1
	s_barrier_wait -1
	ds_load_b64 v[116:117], v120 offset:432
	v_mov_b32_e32 v118, 54
	s_cmp_lt_i32 s18, 56
	s_cbranch_scc1 .LBB108_1136
; %bb.1134:
	v_add3_u32 v119, v121, 0, 0x1b8
	v_mov_b32_e32 v118, 54
	s_mov_b32 s0, 55
.LBB108_1135:                           ; =>This Inner Loop Header: Depth=1
	ds_load_b64 v[120:121], v119
	s_wait_dscnt 0x1
	v_cmp_gt_f32_e32 vcc_lo, 0, v116
	v_cndmask_b32_e64 v126, v116, -v116, vcc_lo
	v_cmp_gt_f32_e32 vcc_lo, 0, v117
	v_cndmask_b32_e64 v128, v117, -v117, vcc_lo
	s_wait_dscnt 0x0
	v_cmp_gt_f32_e32 vcc_lo, 0, v120
	v_cndmask_b32_e64 v127, v120, -v120, vcc_lo
	v_cmp_gt_f32_e32 vcc_lo, 0, v121
	v_cndmask_b32_e64 v129, v121, -v121, vcc_lo
	s_delay_alu instid0(VALU_DEP_1) | instskip(NEXT) | instid1(VALU_DEP_1)
	v_pk_add_f32 v[126:127], v[126:127], v[128:129]
	v_cmp_lt_f32_e32 vcc_lo, v126, v127
	v_dual_add_nc_u32 v119, 8, v119 :: v_dual_cndmask_b32 v117, v117, v121, vcc_lo
	v_cndmask_b32_e32 v116, v116, v120, vcc_lo
	v_cndmask_b32_e64 v118, v118, s0, vcc_lo
	s_add_co_i32 s0, s0, 1
	s_delay_alu instid0(SALU_CYCLE_1)
	s_cmp_lg_u32 s18, s0
	s_cbranch_scc1 .LBB108_1135
.LBB108_1136:
	s_wait_dscnt 0x0
	v_cmp_eq_f32_e32 vcc_lo, 0, v116
	v_cmp_eq_f32_e64 s0, 0, v117
	s_and_b32 s0, vcc_lo, s0
	s_delay_alu instid0(SALU_CYCLE_1) | instskip(NEXT) | instid1(SALU_CYCLE_1)
	s_and_saveexec_b32 s1, s0
	s_xor_b32 s0, exec_lo, s1
; %bb.1137:
	v_cmp_ne_u32_e32 vcc_lo, 0, v122
	v_cndmask_b32_e32 v122, 55, v122, vcc_lo
; %bb.1138:
	s_and_not1_saveexec_b32 s0, s0
	s_cbranch_execz .LBB108_1144
; %bb.1139:
	v_cmp_ngt_f32_e64 s1, |v116|, |v117|
	s_and_saveexec_b32 s12, s1
	s_delay_alu instid0(SALU_CYCLE_1)
	s_xor_b32 s1, exec_lo, s12
	s_cbranch_execz .LBB108_1141
; %bb.1140:
	v_div_scale_f32 v119, null, v117, v117, v116
	v_div_scale_f32 v125, vcc_lo, v116, v117, v116
	s_delay_alu instid0(VALU_DEP_2) | instskip(SKIP_1) | instid1(TRANS32_DEP_1)
	v_rcp_f32_e32 v120, v119
	v_nop
	v_fma_f32 v121, -v119, v120, 1.0
	s_delay_alu instid0(VALU_DEP_1) | instskip(NEXT) | instid1(VALU_DEP_1)
	v_fmac_f32_e32 v120, v121, v120
	v_mul_f32_e32 v121, v125, v120
	s_delay_alu instid0(VALU_DEP_1) | instskip(NEXT) | instid1(VALU_DEP_1)
	v_fma_f32 v126, -v119, v121, v125
	v_fmac_f32_e32 v121, v126, v120
	s_delay_alu instid0(VALU_DEP_1) | instskip(NEXT) | instid1(VALU_DEP_1)
	v_fma_f32 v119, -v119, v121, v125
	v_div_fmas_f32 v119, v119, v120, v121
	s_delay_alu instid0(VALU_DEP_1) | instskip(NEXT) | instid1(VALU_DEP_1)
	v_div_fixup_f32 v119, v119, v117, v116
	v_fmac_f32_e32 v117, v116, v119
	s_delay_alu instid0(VALU_DEP_1) | instskip(SKIP_1) | instid1(VALU_DEP_2)
	v_div_scale_f32 v116, null, v117, v117, 1.0
	v_div_scale_f32 v125, vcc_lo, 1.0, v117, 1.0
	v_rcp_f32_e32 v120, v116
	v_nop
	s_delay_alu instid0(TRANS32_DEP_1) | instskip(NEXT) | instid1(VALU_DEP_1)
	v_fma_f32 v121, -v116, v120, 1.0
	v_fmac_f32_e32 v120, v121, v120
	s_delay_alu instid0(VALU_DEP_1) | instskip(NEXT) | instid1(VALU_DEP_1)
	v_mul_f32_e32 v121, v125, v120
	v_fma_f32 v126, -v116, v121, v125
	s_delay_alu instid0(VALU_DEP_1) | instskip(NEXT) | instid1(VALU_DEP_1)
	v_fmac_f32_e32 v121, v126, v120
	v_fma_f32 v116, -v116, v121, v125
	s_delay_alu instid0(VALU_DEP_1) | instskip(NEXT) | instid1(VALU_DEP_1)
	v_div_fmas_f32 v116, v116, v120, v121
	v_div_fixup_f32 v117, v116, v117, 1.0
	s_delay_alu instid0(VALU_DEP_1)
	v_mul_f32_e32 v116, v119, v117
	v_xor_b32_e32 v117, 0x80000000, v117
.LBB108_1141:
	s_and_not1_saveexec_b32 s1, s1
	s_cbranch_execz .LBB108_1143
; %bb.1142:
	s_delay_alu instid0(VALU_DEP_1) | instskip(SKIP_1) | instid1(VALU_DEP_2)
	v_div_scale_f32 v119, null, v116, v116, v117
	v_div_scale_f32 v125, vcc_lo, v117, v116, v117
	v_rcp_f32_e32 v120, v119
	v_nop
	s_delay_alu instid0(TRANS32_DEP_1) | instskip(NEXT) | instid1(VALU_DEP_1)
	v_fma_f32 v121, -v119, v120, 1.0
	v_fmac_f32_e32 v120, v121, v120
	s_delay_alu instid0(VALU_DEP_1) | instskip(NEXT) | instid1(VALU_DEP_1)
	v_mul_f32_e32 v121, v125, v120
	v_fma_f32 v126, -v119, v121, v125
	s_delay_alu instid0(VALU_DEP_1) | instskip(NEXT) | instid1(VALU_DEP_1)
	v_fmac_f32_e32 v121, v126, v120
	v_fma_f32 v119, -v119, v121, v125
	s_delay_alu instid0(VALU_DEP_1) | instskip(NEXT) | instid1(VALU_DEP_1)
	v_div_fmas_f32 v119, v119, v120, v121
	v_div_fixup_f32 v119, v119, v116, v117
	s_delay_alu instid0(VALU_DEP_1) | instskip(NEXT) | instid1(VALU_DEP_1)
	v_fmac_f32_e32 v116, v117, v119
	v_div_scale_f32 v117, null, v116, v116, 1.0
	s_delay_alu instid0(VALU_DEP_1) | instskip(SKIP_1) | instid1(TRANS32_DEP_1)
	v_rcp_f32_e32 v120, v117
	v_nop
	v_fma_f32 v121, -v117, v120, 1.0
	s_delay_alu instid0(VALU_DEP_1) | instskip(SKIP_1) | instid1(VALU_DEP_1)
	v_fmac_f32_e32 v120, v121, v120
	v_div_scale_f32 v121, vcc_lo, 1.0, v116, 1.0
	v_mul_f32_e32 v125, v121, v120
	s_delay_alu instid0(VALU_DEP_1) | instskip(NEXT) | instid1(VALU_DEP_1)
	v_fma_f32 v126, -v117, v125, v121
	v_fmac_f32_e32 v125, v126, v120
	s_delay_alu instid0(VALU_DEP_1) | instskip(NEXT) | instid1(VALU_DEP_1)
	v_fma_f32 v117, -v117, v125, v121
	v_div_fmas_f32 v117, v117, v120, v125
	s_delay_alu instid0(VALU_DEP_1) | instskip(NEXT) | instid1(VALU_DEP_1)
	v_div_fixup_f32 v116, v117, v116, 1.0
	v_mul_f32_e64 v117, v119, -v116
.LBB108_1143:
	s_or_b32 exec_lo, exec_lo, s1
.LBB108_1144:
	s_delay_alu instid0(SALU_CYCLE_1)
	s_or_b32 exec_lo, exec_lo, s0
	v_mov_b32_e32 v120, 54
	s_mov_b32 s0, exec_lo
	v_cmpx_ne_u32_e64 v124, v118
	s_cbranch_execz .LBB108_1150
; %bb.1145:
	s_mov_b32 s1, exec_lo
	v_cmpx_eq_u32_e32 54, v124
	s_cbranch_execz .LBB108_1149
; %bb.1146:
	v_cmp_ne_u32_e32 vcc_lo, 54, v118
	s_xor_b32 s12, s16, -1
	s_delay_alu instid0(SALU_CYCLE_1) | instskip(NEXT) | instid1(SALU_CYCLE_1)
	s_and_b32 s13, s12, vcc_lo
	s_and_saveexec_b32 s12, s13
	s_cbranch_execz .LBB108_1148
; %bb.1147:
	v_ashrrev_i32_e32 v119, 31, v118
	s_delay_alu instid0(VALU_DEP_1)
	v_lshl_add_u64 v[120:121], v[118:119], 2, v[4:5]
	s_clause 0x1
	global_load_b32 v119, v[120:121], off
	global_load_b32 v123, v[4:5], off offset:216
	s_wait_loadcnt 0x1
	global_store_b32 v[4:5], v119, off offset:216
	s_wait_loadcnt 0x0
	global_store_b32 v[120:121], v123, off
.LBB108_1148:
	s_wait_xcnt 0x0
	s_or_b32 exec_lo, exec_lo, s12
	v_dual_mov_b32 v124, v118 :: v_dual_mov_b32 v123, v118
.LBB108_1149:
	s_or_b32 exec_lo, exec_lo, s1
	s_delay_alu instid0(VALU_DEP_1)
	v_mov_b32_e32 v120, v124
.LBB108_1150:
	s_or_b32 exec_lo, exec_lo, s0
	s_delay_alu instid0(VALU_DEP_1)
	v_ashrrev_i32_e32 v121, 31, v120
	s_mov_b32 s0, exec_lo
	s_wait_storecnt 0x0
	s_barrier_signal -1
	s_barrier_wait -1
	s_barrier_signal -1
	s_barrier_wait -1
	v_cmpx_gt_i32_e32 55, v120
	s_cbranch_execz .LBB108_1152
; %bb.1151:
	v_mul_u64_e32 v[4:5], s[10:11], v[2:3]
	v_add3_u32 v118, v123, s17, 1
	s_delay_alu instid0(VALU_DEP_2) | instskip(NEXT) | instid1(VALU_DEP_1)
	v_lshl_add_u64 v[4:5], v[4:5], 2, s[6:7]
	v_lshl_add_u64 v[4:5], s[8:9], 2, v[4:5]
	s_delay_alu instid0(VALU_DEP_1)
	v_lshl_add_u64 v[4:5], v[120:121], 2, v[4:5]
	global_store_b32 v[4:5], v118, off
.LBB108_1152:
	s_wait_xcnt 0x0
	s_or_b32 exec_lo, exec_lo, s0
	s_delay_alu instid0(SALU_CYCLE_1)
	s_mov_b32 s1, exec_lo
	v_cmpx_eq_u32_e32 0, v120
	s_cbranch_execz .LBB108_1155
; %bb.1153:
	s_wait_kmcnt 0x0
	v_lshl_add_u64 v[2:3], v[2:3], 2, s[4:5]
	v_cmp_ne_u32_e64 s0, 0, v122
	global_load_b32 v4, v[2:3], off
	s_wait_loadcnt 0x0
	v_cmp_eq_u32_e32 vcc_lo, 0, v4
	s_and_b32 s0, vcc_lo, s0
	s_wait_xcnt 0x0
	s_and_b32 exec_lo, exec_lo, s0
	s_cbranch_execz .LBB108_1155
; %bb.1154:
	v_add_nc_u32_e32 v4, s17, v122
	global_store_b32 v[2:3], v4, off
.LBB108_1155:
	s_wait_xcnt 0x0
	s_or_b32 exec_lo, exec_lo, s1
	v_add3_u32 v4, s2, s2, v120
	v_pk_mul_f32 v[2:3], v[116:117], v[114:115] op_sel:[1,1] op_sel_hi:[0,1]
	v_cmp_lt_i32_e32 vcc_lo, 54, v120
	v_lshl_add_u64 v[120:121], v[120:121], 3, v[0:1]
	s_delay_alu instid0(VALU_DEP_4) | instskip(NEXT) | instid1(VALU_DEP_4)
	v_add_nc_u32_e32 v118, s2, v4
	v_pk_fma_f32 v[138:139], v[116:117], v[114:115], v[2:3] op_sel_hi:[1,0,1]
	v_pk_fma_f32 v[2:3], v[116:117], v[114:115], v[2:3] neg_lo:[0,0,1] neg_hi:[0,0,1]
	global_store_b64 v[120:121], v[112:113], off
	s_wait_xcnt 0x0
	v_lshl_add_u64 v[112:113], s[2:3], 3, v[120:121]
	v_dual_cndmask_b32 v3, v115, v139 :: v_dual_add_nc_u32 v122, s2, v118
	v_dual_cndmask_b32 v2, v114, v2 :: v_dual_ashrrev_i32 v5, 31, v4
	global_store_b64 v[112:113], v[110:111], off
	v_add_nc_u32_e32 v124, s2, v122
	v_ashrrev_i32_e32 v119, 31, v118
	v_lshl_add_u64 v[4:5], v[4:5], 3, v[0:1]
	s_delay_alu instid0(VALU_DEP_3)
	v_dual_add_nc_u32 v126, s2, v124 :: v_dual_ashrrev_i32 v125, 31, v124
	v_ashrrev_i32_e32 v123, 31, v122
	global_store_b64 v[4:5], v[108:109], off
	s_wait_xcnt 0x0
	v_lshl_add_u64 v[108:109], v[118:119], 3, v[0:1]
	v_add_nc_u32_e32 v128, s2, v126
	global_store_b64 v[108:109], v[106:107], off
	v_add_nc_u32_e32 v130, s2, v128
	s_wait_xcnt 0x0
	v_lshl_add_u64 v[108:109], v[124:125], 3, v[0:1]
	v_lshl_add_u64 v[106:107], v[122:123], 3, v[0:1]
	s_clause 0x1
	global_store_b64 v[106:107], v[96:97], off
	global_store_b64 v[108:109], v[94:95], off
	v_add_nc_u32_e32 v132, s2, v130
	s_delay_alu instid0(VALU_DEP_1) | instskip(NEXT) | instid1(VALU_DEP_1)
	v_add_nc_u32_e32 v134, s2, v132
	v_dual_ashrrev_i32 v129, 31, v128 :: v_dual_add_nc_u32 v136, s2, v134
	v_ashrrev_i32_e32 v135, 31, v134
	s_wait_xcnt 0x0
	s_delay_alu instid0(VALU_DEP_2) | instskip(NEXT) | instid1(VALU_DEP_3)
	v_lshl_add_u64 v[108:109], v[128:129], 3, v[0:1]
	v_dual_add_nc_u32 v116, s2, v136 :: v_dual_ashrrev_i32 v127, 31, v126
	v_ashrrev_i32_e32 v133, 31, v132
	v_ashrrev_i32_e32 v137, 31, v136
	s_delay_alu instid0(VALU_DEP_3) | instskip(NEXT) | instid1(VALU_DEP_4)
	v_add_nc_u32_e32 v114, s2, v116
	v_lshl_add_u64 v[106:107], v[126:127], 3, v[0:1]
	s_delay_alu instid0(VALU_DEP_4) | instskip(NEXT) | instid1(VALU_DEP_3)
	v_lshl_add_u64 v[126:127], v[132:133], 3, v[0:1]
	v_add_nc_u32_e32 v138, s2, v114
	s_delay_alu instid0(VALU_DEP_1) | instskip(SKIP_1) | instid1(VALU_DEP_2)
	v_dual_add_nc_u32 v120, s2, v138 :: v_dual_ashrrev_i32 v117, 31, v116
	v_ashrrev_i32_e32 v115, 31, v114
	v_dual_ashrrev_i32 v139, 31, v138 :: v_dual_add_nc_u32 v110, s2, v120
	s_delay_alu instid0(VALU_DEP_1) | instskip(NEXT) | instid1(VALU_DEP_1)
	v_dual_ashrrev_i32 v121, 31, v120 :: v_dual_add_nc_u32 v112, s2, v110
	v_dual_add_nc_u32 v4, s2, v112 :: v_dual_ashrrev_i32 v113, 31, v112
	s_delay_alu instid0(VALU_DEP_1) | instskip(NEXT) | instid1(VALU_DEP_1)
	v_dual_add_nc_u32 v118, s2, v4 :: v_dual_ashrrev_i32 v5, 31, v4
	v_add_nc_u32_e32 v122, s2, v118
	s_delay_alu instid0(VALU_DEP_2) | instskip(NEXT) | instid1(VALU_DEP_2)
	v_lshl_add_u64 v[4:5], v[4:5], 3, v[0:1]
	v_add_nc_u32_e32 v94, s2, v122
	s_delay_alu instid0(VALU_DEP_1) | instskip(NEXT) | instid1(VALU_DEP_1)
	v_add_nc_u32_e32 v96, s2, v94
	v_dual_ashrrev_i32 v131, 31, v130 :: v_dual_add_nc_u32 v128, s2, v96
	s_delay_alu instid0(VALU_DEP_1)
	v_lshl_add_u64 v[124:125], v[130:131], 3, v[0:1]
	s_clause 0x3
	global_store_b64 v[106:107], v[48:49], off
	global_store_b64 v[108:109], v[46:47], off
	;; [unrolled: 1-line block ×4, first 2 shown]
	s_wait_xcnt 0x2
	v_add_nc_u32_e32 v46, s2, v128
	s_wait_xcnt 0x0
	v_lshl_add_u64 v[102:103], v[134:135], 3, v[0:1]
	v_lshl_add_u64 v[108:109], v[114:115], 3, v[0:1]
	;; [unrolled: 1-line block ×4, first 2 shown]
	v_add_nc_u32_e32 v48, s2, v46
	s_clause 0x3
	global_store_b64 v[102:103], v[60:61], off
	global_store_b64 v[104:105], v[58:59], off
	;; [unrolled: 1-line block ×4, first 2 shown]
	s_wait_xcnt 0x0
	v_lshl_add_u64 v[98:99], v[138:139], 3, v[0:1]
	v_lshl_add_u64 v[100:101], v[120:121], 3, v[0:1]
	v_add_nc_u32_e32 v114, s2, v48
	v_lshl_add_u64 v[104:105], v[112:113], 3, v[0:1]
	v_dual_ashrrev_i32 v119, 31, v118 :: v_dual_ashrrev_i32 v97, 31, v96
	v_dual_ashrrev_i32 v123, 31, v122 :: v_dual_ashrrev_i32 v129, 31, v128
	s_delay_alu instid0(VALU_DEP_4) | instskip(SKIP_1) | instid1(VALU_DEP_2)
	v_add_nc_u32_e32 v58, s2, v114
	v_dual_ashrrev_i32 v95, 31, v94 :: v_dual_ashrrev_i32 v49, 31, v48
	v_add_nc_u32_e32 v60, s2, v58
	v_ashrrev_i32_e32 v111, 31, v110
	s_delay_alu instid0(VALU_DEP_3)
	v_lshl_add_u64 v[94:95], v[94:95], 3, v[0:1]
	v_ashrrev_i32_e32 v47, 31, v46
	v_lshl_add_u64 v[48:49], v[48:49], 3, v[0:1]
	v_add_nc_u32_e32 v106, s2, v60
	v_lshl_add_u64 v[102:103], v[110:111], 3, v[0:1]
	s_clause 0x3
	global_store_b64 v[98:99], v[56:57], off
	global_store_b64 v[100:101], v[54:55], off
	;; [unrolled: 1-line block ×4, first 2 shown]
	s_wait_xcnt 0x2
	v_add_nc_u32_e32 v54, s2, v106
	s_wait_xcnt 0x0
	v_lshl_add_u64 v[90:91], v[118:119], 3, v[0:1]
	v_lshl_add_u64 v[92:93], v[122:123], 3, v[0:1]
	s_clause 0x3
	global_store_b64 v[4:5], v[44:45], off
	global_store_b64 v[90:91], v[42:43], off
	;; [unrolled: 1-line block ×4, first 2 shown]
	v_add_nc_u32_e32 v56, s2, v54
	s_wait_xcnt 0x3
	v_lshl_add_u64 v[44:45], v[96:97], 3, v[0:1]
	s_wait_xcnt 0x0
	v_lshl_add_u64 v[86:87], v[128:129], 3, v[0:1]
	v_ashrrev_i32_e32 v61, 31, v60
	v_lshl_add_u64 v[46:47], v[46:47], 3, v[0:1]
	v_add_nc_u32_e32 v98, s2, v56
	s_clause 0x3
	global_store_b64 v[44:45], v[40:41], off
	global_store_b64 v[86:87], v[38:39], off
	;; [unrolled: 1-line block ×4, first 2 shown]
	s_wait_xcnt 0x0
	v_lshl_add_u64 v[48:49], v[60:61], 3, v[0:1]
	v_add_nc_u32_e32 v4, s2, v98
	s_delay_alu instid0(VALU_DEP_1) | instskip(NEXT) | instid1(VALU_DEP_1)
	v_dual_add_nc_u32 v42, s2, v4 :: v_dual_ashrrev_i32 v59, 31, v58
	v_dual_ashrrev_i32 v57, 31, v56 :: v_dual_add_nc_u32 v88, s2, v42
	s_delay_alu instid0(VALU_DEP_2) | instskip(NEXT) | instid1(VALU_DEP_2)
	v_lshl_add_u64 v[46:47], v[58:59], 3, v[0:1]
	v_dual_add_nc_u32 v38, s2, v88 :: v_dual_ashrrev_i32 v107, 31, v106
	s_delay_alu instid0(VALU_DEP_1) | instskip(NEXT) | instid1(VALU_DEP_2)
	v_dual_ashrrev_i32 v5, 31, v4 :: v_dual_add_nc_u32 v40, s2, v38
	v_lshl_add_u64 v[58:59], v[106:107], 3, v[0:1]
	s_delay_alu instid0(VALU_DEP_2) | instskip(NEXT) | instid1(VALU_DEP_3)
	v_lshl_add_u64 v[4:5], v[4:5], 3, v[0:1]
	v_dual_add_nc_u32 v60, s2, v40 :: v_dual_ashrrev_i32 v115, 31, v114
	v_dual_ashrrev_i32 v99, 31, v98 :: v_dual_ashrrev_i32 v89, 31, v88
	s_delay_alu instid0(VALU_DEP_2) | instskip(NEXT) | instid1(VALU_DEP_3)
	v_ashrrev_i32_e32 v61, 31, v60
	v_lshl_add_u64 v[44:45], v[114:115], 3, v[0:1]
	s_clause 0x3
	global_store_b64 v[44:45], v[36:37], off
	global_store_b64 v[46:47], v[32:33], off
	;; [unrolled: 1-line block ×4, first 2 shown]
	s_wait_xcnt 0x2
	v_add_nc_u32_e32 v32, s2, v60
	v_lshl_add_u64 v[46:47], v[56:57], 3, v[0:1]
	s_wait_xcnt 0x1
	v_lshl_add_u64 v[48:49], v[98:99], 3, v[0:1]
	s_delay_alu instid0(VALU_DEP_3) | instskip(SKIP_1) | instid1(VALU_DEP_2)
	v_dual_add_nc_u32 v36, s2, v32 :: v_dual_ashrrev_i32 v55, 31, v54
	v_ashrrev_i32_e32 v41, 31, v40
	v_lshl_add_u64 v[44:45], v[54:55], 3, v[0:1]
	s_delay_alu instid0(VALU_DEP_3)
	v_add_nc_u32_e32 v54, s2, v36
	s_clause 0x3
	global_store_b64 v[44:45], v[28:29], off
	global_store_b64 v[46:47], v[26:27], off
	;; [unrolled: 1-line block ×4, first 2 shown]
	s_wait_xcnt 0x0
	v_add_nc_u32_e32 v4, s2, v54
	v_ashrrev_i32_e32 v43, 31, v42
	v_lshl_add_u64 v[40:41], v[40:41], 3, v[0:1]
	v_dual_ashrrev_i32 v33, 31, v32 :: v_dual_ashrrev_i32 v55, 31, v54
	s_delay_alu instid0(VALU_DEP_4) | instskip(NEXT) | instid1(VALU_DEP_4)
	v_add_nc_u32_e32 v26, s2, v4
	v_lshl_add_u64 v[28:29], v[42:43], 3, v[0:1]
	v_lshl_add_u64 v[42:43], v[88:89], 3, v[0:1]
	s_delay_alu instid0(VALU_DEP_4) | instskip(NEXT) | instid1(VALU_DEP_4)
	v_lshl_add_u64 v[32:33], v[32:33], 3, v[0:1]
	v_add_nc_u32_e32 v44, s2, v26
	v_ashrrev_i32_e32 v39, 31, v38
	v_ashrrev_i32_e32 v27, 31, v26
	s_delay_alu instid0(VALU_DEP_2)
	v_lshl_add_u64 v[38:39], v[38:39], 3, v[0:1]
	s_clause 0x3
	global_store_b64 v[28:29], v[22:23], off
	global_store_b64 v[42:43], v[20:21], off
	;; [unrolled: 1-line block ×4, first 2 shown]
	s_wait_xcnt 0x2
	v_add_nc_u32_e32 v20, s2, v44
	v_lshl_add_u64 v[28:29], v[60:61], 3, v[0:1]
	s_wait_xcnt 0x1
	v_lshl_add_u64 v[38:39], v[54:55], 3, v[0:1]
	v_lshl_add_u64 v[26:27], v[26:27], 3, v[0:1]
	v_add_nc_u32_e32 v22, s2, v20
	v_ashrrev_i32_e32 v37, 31, v36
	v_ashrrev_i32_e32 v5, 31, v4
	s_wait_xcnt 0x0
	s_delay_alu instid0(VALU_DEP_3) | instskip(NEXT) | instid1(VALU_DEP_3)
	v_dual_ashrrev_i32 v21, 31, v20 :: v_dual_add_nc_u32 v40, s2, v22
	v_lshl_add_u64 v[36:37], v[36:37], 3, v[0:1]
	s_clause 0x3
	global_store_b64 v[28:29], v[18:19], off
	global_store_b64 v[32:33], v[16:17], off
	;; [unrolled: 1-line block ×4, first 2 shown]
	s_wait_xcnt 0x2
	v_dual_add_nc_u32 v16, s2, v40 :: v_dual_ashrrev_i32 v23, 31, v22
	v_lshl_add_u64 v[4:5], v[4:5], 3, v[0:1]
	v_lshl_add_u64 v[20:21], v[20:21], 3, v[0:1]
	s_delay_alu instid0(VALU_DEP_3) | instskip(NEXT) | instid1(VALU_DEP_1)
	v_add_nc_u32_e32 v18, s2, v16
	v_dual_add_nc_u32 v32, s2, v18 :: v_dual_ashrrev_i32 v17, 31, v16
	v_dual_ashrrev_i32 v45, 31, v44 :: v_dual_ashrrev_i32 v19, 31, v18
	s_delay_alu instid0(VALU_DEP_2) | instskip(NEXT) | instid1(VALU_DEP_3)
	v_ashrrev_i32_e32 v33, 31, v32
	v_lshl_add_u64 v[16:17], v[16:17], 3, v[0:1]
	s_delay_alu instid0(VALU_DEP_3)
	v_lshl_add_u64 v[28:29], v[44:45], 3, v[0:1]
	s_clause 0x3
	global_store_b64 v[4:5], v[14:15], off
	global_store_b64 v[26:27], v[12:13], off
	;; [unrolled: 1-line block ×4, first 2 shown]
	s_wait_xcnt 0x3
	v_add_nc_u32_e32 v4, s2, v32
	v_lshl_add_u64 v[14:15], v[22:23], 3, v[0:1]
	v_lshl_add_u64 v[18:19], v[18:19], 3, v[0:1]
	s_wait_xcnt 0x2
	s_delay_alu instid0(VALU_DEP_3) | instskip(NEXT) | instid1(VALU_DEP_1)
	v_dual_add_nc_u32 v12, s2, v4 :: v_dual_ashrrev_i32 v5, 31, v4
	v_dual_add_nc_u32 v22, s2, v12 :: v_dual_ashrrev_i32 v13, 31, v12
	v_ashrrev_i32_e32 v41, 31, v40
	s_delay_alu instid0(VALU_DEP_3) | instskip(NEXT) | instid1(VALU_DEP_3)
	v_lshl_add_u64 v[4:5], v[4:5], 3, v[0:1]
	v_ashrrev_i32_e32 v23, 31, v22
	s_delay_alu instid0(VALU_DEP_4)
	v_lshl_add_u64 v[12:13], v[12:13], 3, v[0:1]
	s_wait_xcnt 0x0
	v_lshl_add_u64 v[20:21], v[40:41], 3, v[0:1]
	s_clause 0x3
	global_store_b64 v[14:15], v[10:11], off
	global_store_b64 v[20:21], v[6:7], off
	;; [unrolled: 1-line block ×4, first 2 shown]
	s_wait_xcnt 0x2
	v_add_nc_u32_e32 v6, s2, v22
	v_lshl_add_u64 v[10:11], v[32:33], 3, v[0:1]
	v_lshl_add_u64 v[14:15], v[22:23], 3, v[0:1]
	s_delay_alu instid0(VALU_DEP_3) | instskip(NEXT) | instid1(VALU_DEP_1)
	v_ashrrev_i32_e32 v7, 31, v6
	v_lshl_add_u64 v[0:1], v[6:7], 3, v[0:1]
	s_clause 0x4
	global_store_b64 v[10:11], v[8:9], off
	global_store_b64 v[4:5], v[30:31], off
	;; [unrolled: 1-line block ×5, first 2 shown]
.LBB108_1156:
	s_sendmsg sendmsg(MSG_DEALLOC_VGPRS)
	s_endpgm
	.section	.rodata,"a",@progbits
	.p2align	6, 0x0
	.amdhsa_kernel _ZN9rocsolver6v33100L18getf2_small_kernelILi55E19rocblas_complex_numIfEiiPS3_EEvT1_T3_lS5_lPS5_llPT2_S5_S5_S7_l
		.amdhsa_group_segment_fixed_size 0
		.amdhsa_private_segment_fixed_size 0
		.amdhsa_kernarg_size 352
		.amdhsa_user_sgpr_count 2
		.amdhsa_user_sgpr_dispatch_ptr 0
		.amdhsa_user_sgpr_queue_ptr 0
		.amdhsa_user_sgpr_kernarg_segment_ptr 1
		.amdhsa_user_sgpr_dispatch_id 0
		.amdhsa_user_sgpr_kernarg_preload_length 0
		.amdhsa_user_sgpr_kernarg_preload_offset 0
		.amdhsa_user_sgpr_private_segment_size 0
		.amdhsa_wavefront_size32 1
		.amdhsa_uses_dynamic_stack 0
		.amdhsa_enable_private_segment 0
		.amdhsa_system_sgpr_workgroup_id_x 1
		.amdhsa_system_sgpr_workgroup_id_y 1
		.amdhsa_system_sgpr_workgroup_id_z 0
		.amdhsa_system_sgpr_workgroup_info 0
		.amdhsa_system_vgpr_workitem_id 1
		.amdhsa_next_free_vgpr 144
		.amdhsa_next_free_sgpr 19
		.amdhsa_named_barrier_count 0
		.amdhsa_reserve_vcc 1
		.amdhsa_float_round_mode_32 0
		.amdhsa_float_round_mode_16_64 0
		.amdhsa_float_denorm_mode_32 3
		.amdhsa_float_denorm_mode_16_64 3
		.amdhsa_fp16_overflow 0
		.amdhsa_memory_ordered 1
		.amdhsa_forward_progress 1
		.amdhsa_inst_pref_size 255
		.amdhsa_round_robin_scheduling 0
		.amdhsa_exception_fp_ieee_invalid_op 0
		.amdhsa_exception_fp_denorm_src 0
		.amdhsa_exception_fp_ieee_div_zero 0
		.amdhsa_exception_fp_ieee_overflow 0
		.amdhsa_exception_fp_ieee_underflow 0
		.amdhsa_exception_fp_ieee_inexact 0
		.amdhsa_exception_int_div_zero 0
	.end_amdhsa_kernel
	.section	.text._ZN9rocsolver6v33100L18getf2_small_kernelILi55E19rocblas_complex_numIfEiiPS3_EEvT1_T3_lS5_lPS5_llPT2_S5_S5_S7_l,"axG",@progbits,_ZN9rocsolver6v33100L18getf2_small_kernelILi55E19rocblas_complex_numIfEiiPS3_EEvT1_T3_lS5_lPS5_llPT2_S5_S5_S7_l,comdat
.Lfunc_end108:
	.size	_ZN9rocsolver6v33100L18getf2_small_kernelILi55E19rocblas_complex_numIfEiiPS3_EEvT1_T3_lS5_lPS5_llPT2_S5_S5_S7_l, .Lfunc_end108-_ZN9rocsolver6v33100L18getf2_small_kernelILi55E19rocblas_complex_numIfEiiPS3_EEvT1_T3_lS5_lPS5_llPT2_S5_S5_S7_l
                                        ; -- End function
	.set _ZN9rocsolver6v33100L18getf2_small_kernelILi55E19rocblas_complex_numIfEiiPS3_EEvT1_T3_lS5_lPS5_llPT2_S5_S5_S7_l.num_vgpr, 144
	.set _ZN9rocsolver6v33100L18getf2_small_kernelILi55E19rocblas_complex_numIfEiiPS3_EEvT1_T3_lS5_lPS5_llPT2_S5_S5_S7_l.num_agpr, 0
	.set _ZN9rocsolver6v33100L18getf2_small_kernelILi55E19rocblas_complex_numIfEiiPS3_EEvT1_T3_lS5_lPS5_llPT2_S5_S5_S7_l.numbered_sgpr, 19
	.set _ZN9rocsolver6v33100L18getf2_small_kernelILi55E19rocblas_complex_numIfEiiPS3_EEvT1_T3_lS5_lPS5_llPT2_S5_S5_S7_l.num_named_barrier, 0
	.set _ZN9rocsolver6v33100L18getf2_small_kernelILi55E19rocblas_complex_numIfEiiPS3_EEvT1_T3_lS5_lPS5_llPT2_S5_S5_S7_l.private_seg_size, 0
	.set _ZN9rocsolver6v33100L18getf2_small_kernelILi55E19rocblas_complex_numIfEiiPS3_EEvT1_T3_lS5_lPS5_llPT2_S5_S5_S7_l.uses_vcc, 1
	.set _ZN9rocsolver6v33100L18getf2_small_kernelILi55E19rocblas_complex_numIfEiiPS3_EEvT1_T3_lS5_lPS5_llPT2_S5_S5_S7_l.uses_flat_scratch, 0
	.set _ZN9rocsolver6v33100L18getf2_small_kernelILi55E19rocblas_complex_numIfEiiPS3_EEvT1_T3_lS5_lPS5_llPT2_S5_S5_S7_l.has_dyn_sized_stack, 0
	.set _ZN9rocsolver6v33100L18getf2_small_kernelILi55E19rocblas_complex_numIfEiiPS3_EEvT1_T3_lS5_lPS5_llPT2_S5_S5_S7_l.has_recursion, 0
	.set _ZN9rocsolver6v33100L18getf2_small_kernelILi55E19rocblas_complex_numIfEiiPS3_EEvT1_T3_lS5_lPS5_llPT2_S5_S5_S7_l.has_indirect_call, 0
	.section	.AMDGPU.csdata,"",@progbits
; Kernel info:
; codeLenInByte = 141036
; TotalNumSgprs: 21
; NumVgprs: 144
; ScratchSize: 0
; MemoryBound: 0
; FloatMode: 240
; IeeeMode: 1
; LDSByteSize: 0 bytes/workgroup (compile time only)
; SGPRBlocks: 0
; VGPRBlocks: 8
; NumSGPRsForWavesPerEU: 21
; NumVGPRsForWavesPerEU: 144
; NamedBarCnt: 0
; Occupancy: 7
; WaveLimiterHint : 0
; COMPUTE_PGM_RSRC2:SCRATCH_EN: 0
; COMPUTE_PGM_RSRC2:USER_SGPR: 2
; COMPUTE_PGM_RSRC2:TRAP_HANDLER: 0
; COMPUTE_PGM_RSRC2:TGID_X_EN: 1
; COMPUTE_PGM_RSRC2:TGID_Y_EN: 1
; COMPUTE_PGM_RSRC2:TGID_Z_EN: 0
; COMPUTE_PGM_RSRC2:TIDIG_COMP_CNT: 1
	.section	.text._ZN9rocsolver6v33100L23getf2_npvt_small_kernelILi55E19rocblas_complex_numIfEiiPS3_EEvT1_T3_lS5_lPT2_S5_S5_,"axG",@progbits,_ZN9rocsolver6v33100L23getf2_npvt_small_kernelILi55E19rocblas_complex_numIfEiiPS3_EEvT1_T3_lS5_lPT2_S5_S5_,comdat
	.globl	_ZN9rocsolver6v33100L23getf2_npvt_small_kernelILi55E19rocblas_complex_numIfEiiPS3_EEvT1_T3_lS5_lPT2_S5_S5_ ; -- Begin function _ZN9rocsolver6v33100L23getf2_npvt_small_kernelILi55E19rocblas_complex_numIfEiiPS3_EEvT1_T3_lS5_lPT2_S5_S5_
	.p2align	8
	.type	_ZN9rocsolver6v33100L23getf2_npvt_small_kernelILi55E19rocblas_complex_numIfEiiPS3_EEvT1_T3_lS5_lPT2_S5_S5_,@function
_ZN9rocsolver6v33100L23getf2_npvt_small_kernelILi55E19rocblas_complex_numIfEiiPS3_EEvT1_T3_lS5_lPT2_S5_S5_: ; @_ZN9rocsolver6v33100L23getf2_npvt_small_kernelILi55E19rocblas_complex_numIfEiiPS3_EEvT1_T3_lS5_lPT2_S5_S5_
; %bb.0:
	s_clause 0x1
	s_load_u16 s14, s[0:1], 0x46
	s_load_b64 s[2:3], s[0:1], 0x30
	s_bfe_u32 s4, ttmp6, 0x40010
	s_bfe_u32 s5, ttmp6, 0x40004
	s_add_co_i32 s4, s4, 1
	s_getreg_b32 s6, hwreg(HW_REG_IB_STS2, 6, 4)
	s_mul_i32 s4, ttmp7, s4
	v_bfe_u32 v42, v0, 10, 10
	s_add_co_i32 s5, s5, s4
	s_cmp_eq_u32 s6, 0
	s_cselect_b32 s4, ttmp7, s5
	s_wait_kmcnt 0x0
	v_mad_u32 v106, s4, s14, v42
	s_delay_alu instid0(VALU_DEP_1)
	v_cmp_gt_i32_e32 vcc_lo, s2, v106
	s_and_saveexec_b32 s2, vcc_lo
	s_cbranch_execz .LBB109_498
; %bb.1:
	s_clause 0x1
	s_load_b32 s12, s[0:1], 0x18
	s_load_b128 s[8:11], s[0:1], 0x8
	v_and_b32_e32 v152, 0x3ff, v0
	s_load_b128 s[4:7], s[0:1], 0x20
	s_mulk_i32 s14, 0x1b8
	v_mad_u32_u24 v154, 0x1b8, v42, 0
	v_ashrrev_i32_e32 v107, 31, v106
	s_wait_xcnt 0x0
	v_cmp_ne_u32_e64 s1, 0, v152
	v_cmp_eq_u32_e64 s0, 0, v152
	v_dual_mov_b32 v35, 0 :: v_dual_lshlrev_b32 v34, 3, v152
	s_wait_kmcnt 0x0
	v_add3_u32 v28, s12, s12, v152
	s_ashr_i32 s13, s12, 31
	v_mul_u64_e32 v[16:17], s[4:5], v[106:107]
	s_delay_alu instid0(VALU_DEP_2) | instskip(NEXT) | instid1(VALU_DEP_1)
	v_add_nc_u32_e32 v20, s12, v28
	v_add_nc_u32_e32 v22, s12, v20
	s_delay_alu instid0(VALU_DEP_1) | instskip(NEXT) | instid1(VALU_DEP_1)
	v_add_nc_u32_e32 v24, s12, v22
	v_add_nc_u32_e32 v26, s12, v24
	s_delay_alu instid0(VALU_DEP_1) | instskip(NEXT) | instid1(VALU_DEP_1)
	v_add_nc_u32_e32 v12, s12, v26
	v_dual_ashrrev_i32 v23, 31, v22 :: v_dual_add_nc_u32 v14, s12, v12
	s_delay_alu instid0(VALU_DEP_1) | instskip(SKIP_2) | instid1(VALU_DEP_3)
	v_dual_add_nc_u32 v18, s12, v14 :: v_dual_ashrrev_i32 v29, 31, v28
	v_dual_ashrrev_i32 v27, 31, v26 :: v_dual_ashrrev_i32 v25, 31, v24
	v_lshl_add_u64 v[16:17], v[16:17], 3, s[8:9]
	v_dual_add_nc_u32 v8, s12, v18 :: v_dual_ashrrev_i32 v19, 31, v18
	v_ashrrev_i32_e32 v15, 31, v14
	s_delay_alu instid0(VALU_DEP_3) | instskip(NEXT) | instid1(VALU_DEP_3)
	v_lshl_add_u64 v[52:53], s[10:11], 3, v[16:17]
	v_add_nc_u32_e32 v0, s12, v8
	s_delay_alu instid0(VALU_DEP_2) | instskip(NEXT) | instid1(VALU_DEP_2)
	v_lshl_add_u64 v[182:183], v[28:29], 3, v[52:53]
	v_add_nc_u32_e32 v4, s12, v0
	v_lshl_add_u64 v[186:187], v[14:15], 3, v[52:53]
	v_ashrrev_i32_e32 v1, 31, v0
	v_lshl_add_u64 v[200:201], v[18:19], 3, v[52:53]
	v_add_nc_u64_e32 v[16:17], v[52:53], v[34:35]
	v_add_nc_u32_e32 v2, s12, v4
	v_lshl_add_u64 v[198:199], v[22:23], 3, v[52:53]
	v_lshl_add_u64 v[204:205], v[0:1], 3, v[52:53]
	;; [unrolled: 1-line block ×4, first 2 shown]
	v_add_nc_u32_e32 v6, s12, v2
	v_lshl_add_u64 v[222:223], s[12:13], 3, v[16:17]
	s_delay_alu instid0(VALU_DEP_2) | instskip(SKIP_2) | instid1(VALU_DEP_3)
	v_dual_add_nc_u32 v10, s12, v6 :: v_dual_ashrrev_i32 v9, 31, v8
	v_ashrrev_i32_e32 v3, 31, v2
	v_ashrrev_i32_e32 v7, 31, v6
	v_add_nc_u32_e32 v30, s12, v10
	s_delay_alu instid0(VALU_DEP_4) | instskip(SKIP_4) | instid1(VALU_DEP_4)
	v_lshl_add_u64 v[202:203], v[8:9], 3, v[52:53]
	v_ashrrev_i32_e32 v5, 31, v4
	v_lshl_add_u64 v[224:225], v[2:3], 3, v[52:53]
	v_ashrrev_i32_e32 v11, 31, v10
	v_dual_add_nc_u32 v32, s12, v30 :: v_dual_ashrrev_i32 v31, 31, v30
	v_lshl_add_u64 v[206:207], v[4:5], 3, v[52:53]
	v_lshl_add_u64 v[226:227], v[6:7], 3, v[52:53]
	s_delay_alu instid0(VALU_DEP_4) | instskip(NEXT) | instid1(VALU_DEP_4)
	v_lshl_add_u64 v[228:229], v[10:11], 3, v[52:53]
	v_add_nc_u32_e32 v48, s12, v32
	v_lshl_add_u64 v[230:231], v[30:31], 3, v[52:53]
	s_delay_alu instid0(VALU_DEP_2) | instskip(SKIP_1) | instid1(VALU_DEP_2)
	v_add_nc_u32_e32 v50, s12, v48
	v_ashrrev_i32_e32 v21, 31, v20
	v_dual_ashrrev_i32 v33, 31, v32 :: v_dual_ashrrev_i32 v51, 31, v50
	v_dual_add_nc_u32 v66, s12, v50 :: v_dual_ashrrev_i32 v13, 31, v12
	s_delay_alu instid0(VALU_DEP_2) | instskip(SKIP_2) | instid1(VALU_DEP_4)
	v_lshl_add_u64 v[232:233], v[32:33], 3, v[52:53]
	v_ashrrev_i32_e32 v49, 31, v48
	v_lshl_add_u64 v[188:189], v[20:21], 3, v[52:53]
	v_add_nc_u32_e32 v28, s12, v66
	v_lshl_add_u64 v[184:185], v[12:13], 3, v[52:53]
	v_ashrrev_i32_e32 v67, 31, v66
	v_lshl_add_u64 v[234:235], v[48:49], 3, v[52:53]
	v_lshl_add_u64 v[236:237], v[50:51], 3, v[52:53]
	v_add_nc_u32_e32 v68, s12, v28
	s_clause 0x3
	global_load_b64 v[26:27], v[198:199], off
	global_load_b64 v[22:23], v[170:171], off
	global_load_b64 v[24:25], v[180:181], off
	global_load_b64 v[20:21], v[184:185], off
	v_lshl_add_u64 v[238:239], v[66:67], 3, v[52:53]
	s_clause 0x7
	global_load_b64 v[54:55], v[16:17], off
	global_load_b64 v[56:57], v[222:223], off
	global_load_b64 v[46:47], v[182:183], off
	global_load_b64 v[44:45], v[188:189], off
	global_load_b64 v[40:41], v[186:187], off
	global_load_b64 v[36:37], v[200:201], off
	global_load_b64 v[38:39], v[202:203], off
	global_load_b64 v[34:35], v[204:205], off
	v_add_nc_u32_e32 v12, s12, v68
	s_clause 0x7
	global_load_b64 v[64:65], v[206:207], off
	global_load_b64 v[60:61], v[224:225], off
	;; [unrolled: 1-line block ×8, first 2 shown]
	v_ashrrev_i32_e32 v29, 31, v28
	v_dual_add_nc_u32 v14, s12, v12 :: v_dual_ashrrev_i32 v13, 31, v12
	s_delay_alu instid0(VALU_DEP_2) | instskip(NEXT) | instid1(VALU_DEP_2)
	v_lshl_add_u64 v[240:241], v[28:29], 3, v[52:53]
	v_dual_add_nc_u32 v8, s12, v14 :: v_dual_ashrrev_i32 v69, 31, v68
	s_delay_alu instid0(VALU_DEP_3) | instskip(NEXT) | instid1(VALU_DEP_2)
	v_lshl_add_u64 v[244:245], v[12:13], 3, v[52:53]
	v_add_nc_u32_e32 v0, s12, v8
	s_delay_alu instid0(VALU_DEP_3)
	v_lshl_add_u64 v[242:243], v[68:69], 3, v[52:53]
	s_clause 0x3
	global_load_b64 v[96:97], v[238:239], off
	global_load_b64 v[92:93], v[240:241], off
	global_load_b64 v[94:95], v[242:243], off
	global_load_b64 v[90:91], v[244:245], off
	v_add_nc_u32_e32 v4, s12, v0
	s_delay_alu instid0(VALU_DEP_1) | instskip(NEXT) | instid1(VALU_DEP_1)
	v_add_nc_u32_e32 v2, s12, v4
	v_dual_add_nc_u32 v6, s12, v2 :: v_dual_ashrrev_i32 v1, 31, v0
	s_delay_alu instid0(VALU_DEP_1) | instskip(SKIP_1) | instid1(VALU_DEP_3)
	v_dual_add_nc_u32 v10, s12, v6 :: v_dual_ashrrev_i32 v9, 31, v8
	v_ashrrev_i32_e32 v3, 31, v2
	v_lshl_add_u64 v[250:251], v[0:1], 3, v[52:53]
	s_delay_alu instid0(VALU_DEP_3) | instskip(SKIP_3) | instid1(VALU_DEP_4)
	v_dual_ashrrev_i32 v5, 31, v4 :: v_dual_ashrrev_i32 v11, 31, v10
	v_add_nc_u32_e32 v18, s12, v10
	v_lshl_add_u64 v[248:249], v[8:9], 3, v[52:53]
	v_lshl_add_u64 v[254:255], v[2:3], 3, v[52:53]
	;; [unrolled: 1-line block ×4, first 2 shown]
	v_add_nc_u32_e32 v30, s12, v18
	v_ashrrev_i32_e32 v7, 31, v6
	v_ashrrev_i32_e32 v19, 31, v18
	s_delay_alu instid0(VALU_DEP_3)
	v_add_nc_u32_e32 v32, s12, v30
	v_ashrrev_i32_e32 v15, 31, v14
	v_ashrrev_i32_e32 v31, 31, v30
	v_lshl_add_u64 v[48:49], v[6:7], 3, v[52:53]
	v_lshl_add_u64 v[18:19], v[18:19], 3, v[52:53]
	v_add_nc_u32_e32 v28, s12, v32
	v_lshl_add_u64 v[246:247], v[14:15], 3, v[52:53]
	v_ashrrev_i32_e32 v33, 31, v32
	v_lshl_add_u64 v[30:31], v[30:31], 3, v[52:53]
	s_clause 0x3
	global_load_b64 v[114:115], v[246:247], off
	global_load_b64 v[110:111], v[248:249], off
	;; [unrolled: 1-line block ×4, first 2 shown]
	v_add_nc_u32_e32 v12, s12, v28
	s_clause 0x3
	scratch_store_b64 off, v[48:49], off
	scratch_store_b64 off, v[10:11], off offset:8
	scratch_store_b64 off, v[18:19], off offset:16
	;; [unrolled: 1-line block ×3, first 2 shown]
	v_add_nc_u32_e32 v14, s12, v12
	v_ashrrev_i32_e32 v29, 31, v28
	s_clause 0x2
	global_load_b64 v[128:129], v[10:11], off
	global_load_b64 v[124:125], v[18:19], off
	;; [unrolled: 1-line block ×3, first 2 shown]
	v_add_nc_u32_e32 v8, s12, v14
	v_lshl_add_u64 v[32:33], v[32:33], 3, v[52:53]
	s_clause 0x1
	global_load_b64 v[126:127], v[48:49], off
	global_load_b64 v[130:131], v[254:255], off
	v_lshl_add_u64 v[28:29], v[28:29], 3, v[52:53]
	v_dual_add_nc_u32 v0, s12, v8 :: v_dual_ashrrev_i32 v15, 31, v14
	scratch_store_b64 off, v[32:33], off offset:32 ; 8-byte Folded Spill
	s_clause 0x1
	global_load_b64 v[142:143], v[32:33], off
	global_load_b64 v[144:145], v[28:29], off
	v_add_nc_u32_e32 v2, s12, v0
	v_ashrrev_i32_e32 v13, 31, v12
	v_ashrrev_i32_e32 v1, 31, v0
	v_lshl_add_u64 v[50:51], v[14:15], 3, v[52:53]
	scratch_store_b64 off, v[28:29], off offset:40 ; 8-byte Folded Spill
	v_dual_add_nc_u32 v4, s12, v2 :: v_dual_ashrrev_i32 v9, 31, v8
	s_wait_xcnt 0x6
	v_lshl_add_u64 v[30:31], v[0:1], 3, v[52:53]
	scratch_store_b64 off, v[50:51], off offset:56 ; 8-byte Folded Spill
	v_dual_ashrrev_i32 v3, 31, v2 :: v_dual_add_nc_u32 v6, s12, v4
	v_ashrrev_i32_e32 v5, 31, v4
	s_wait_xcnt 0x1
	v_lshl_add_u64 v[28:29], v[8:9], 3, v[52:53]
	global_load_b64 v[160:161], v[30:31], off
	scratch_store_b64 off, v[30:31], off offset:72 ; 8-byte Folded Spill
	v_dual_add_nc_u32 v10, s12, v6 :: v_dual_ashrrev_i32 v7, 31, v6
	v_lshl_add_u64 v[32:33], v[4:5], 3, v[52:53]
	s_clause 0x1
	global_load_b64 v[158:159], v[28:29], off
	global_load_b64 v[162:163], v[50:51], off
	v_add_nc_u32_e32 v18, s12, v10
	v_lshl_add_u64 v[2:3], v[2:3], 3, v[52:53]
	global_load_b64 v[178:179], v[32:33], off
	v_lshl_add_u64 v[48:49], v[12:13], 3, v[52:53]
	s_clause 0x2
	scratch_store_b64 off, v[28:29], off offset:64
	scratch_store_b64 off, v[32:33], off offset:88
	;; [unrolled: 1-line block ×3, first 2 shown]
	v_add_nc_u32_e32 v12, s12, v18
	scratch_store_b64 off, v[48:49], off offset:48 ; 8-byte Folded Spill
	s_clause 0x1
	global_load_b64 v[156:157], v[2:3], off
	global_load_b64 v[140:141], v[48:49], off
	v_dual_ashrrev_i32 v19, 31, v18 :: v_dual_add_nc_u32 v14, s12, v12
	s_delay_alu instid0(VALU_DEP_1) | instskip(NEXT) | instid1(VALU_DEP_2)
	v_lshl_add_u64 v[18:19], v[18:19], 3, v[52:53]
	v_dual_add_nc_u32 v8, s12, v14 :: v_dual_ashrrev_i32 v15, 31, v14
	global_load_b64 v[172:173], v[18:19], off
	v_dual_add_nc_u32 v0, s12, v8 :: v_dual_ashrrev_i32 v11, 31, v10
	v_ashrrev_i32_e32 v13, 31, v12
	v_ashrrev_i32_e32 v9, 31, v8
	v_lshl_add_u64 v[14:15], v[14:15], 3, v[52:53]
	s_wait_xcnt 0x6
	v_lshl_add_u64 v[28:29], v[6:7], 3, v[52:53]
	v_lshl_add_u64 v[10:11], v[10:11], 3, v[52:53]
	v_ashrrev_i32_e32 v1, 31, v0
	v_lshl_add_u64 v[8:9], v[8:9], 3, v[52:53]
	global_load_b64 v[192:193], v[14:15], off
	v_lshl_add_u64 v[30:31], v[12:13], 3, v[52:53]
	global_load_b64 v[176:177], v[10:11], off
	scratch_store_b64 off, v[14:15], off offset:128 ; 8-byte Folded Spill
	global_load_b64 v[194:195], v[8:9], off
	s_wait_xcnt 0x6
	v_add_nc_u32_e32 v2, s12, v0
	global_load_b64 v[196:197], v[30:31], off
	s_clause 0x3
	scratch_store_b64 off, v[28:29], off offset:96
	scratch_store_b64 off, v[10:11], off offset:104
	;; [unrolled: 1-line block ×4, first 2 shown]
	v_dual_add_nc_u32 v4, s12, v2 :: v_dual_ashrrev_i32 v3, 31, v2
	s_wait_xcnt 0x1
	v_lshl_add_u64 v[18:19], v[0:1], 3, v[52:53]
	global_load_b64 v[174:175], v[28:29], off
	scratch_store_b64 off, v[8:9], off offset:136 ; 8-byte Folded Spill
	v_dual_add_nc_u32 v6, s12, v4 :: v_dual_ashrrev_i32 v5, 31, v4
	global_load_b64 v[190:191], v[18:19], off
	s_wait_xcnt 0x2
	v_lshl_add_u64 v[28:29], v[2:3], 3, v[52:53]
	scratch_store_b64 off, v[18:19], off offset:144 ; 8-byte Folded Spill
	v_add_nc_u32_e32 v10, s12, v6
	v_lshl_add_u64 v[4:5], v[4:5], 3, v[52:53]
	v_ashrrev_i32_e32 v7, 31, v6
	global_load_b64 v[216:217], v[28:29], off
	scratch_store_b64 off, v[28:29], off offset:152 ; 8-byte Folded Spill
	v_add_nc_u32_e32 v12, s12, v10
	global_load_b64 v[210:211], v[4:5], off
	v_lshl_add_u64 v[6:7], v[6:7], 3, v[52:53]
	v_add_nc_u32_e32 v0, s12, v12
	global_load_b64 v[214:215], v[6:7], off
	v_dual_add_nc_u32 v2, s12, v0 :: v_dual_ashrrev_i32 v11, 31, v10
	v_ashrrev_i32_e32 v13, 31, v12
	s_delay_alu instid0(VALU_DEP_2) | instskip(SKIP_1) | instid1(VALU_DEP_3)
	v_dual_ashrrev_i32 v1, 31, v0 :: v_dual_ashrrev_i32 v3, 31, v2
	s_wait_xcnt 0x6
	v_lshl_add_u64 v[8:9], v[10:11], 3, v[52:53]
	s_delay_alu instid0(VALU_DEP_3) | instskip(NEXT) | instid1(VALU_DEP_3)
	v_lshl_add_u64 v[10:11], v[12:13], 3, v[52:53]
	v_lshl_add_u64 v[12:13], v[0:1], 3, v[52:53]
	;; [unrolled: 1-line block ×3, first 2 shown]
	s_clause 0x2
	global_load_b64 v[208:209], v[8:9], off
	global_load_b64 v[212:213], v[10:11], off
	;; [unrolled: 1-line block ×3, first 2 shown]
	s_clause 0x3
	scratch_store_b64 off, v[4:5], off offset:160
	scratch_store_b64 off, v[6:7], off offset:176
	;; [unrolled: 1-line block ×4, first 2 shown]
	global_load_b64 v[220:221], v[0:1], off
	s_wait_xcnt 0x0
	v_lshlrev_b32_e32 v0, 3, v42
	s_clause 0x1
	scratch_store_b64 off, v[10:11], off offset:192
	scratch_store_b64 off, v[12:13], off offset:200
	v_add3_u32 v153, 0, s14, v0
	s_wait_xcnt 0x0
	s_and_saveexec_b32 s4, s0
	s_cbranch_execz .LBB109_8
; %bb.2:
	s_wait_loadcnt 0x32
	ds_store_b64 v153, v[54:55]
	s_wait_loadcnt 0x30
	ds_store_2addr_b64 v154, v[56:57], v[46:47] offset0:1 offset1:2
	s_wait_loadcnt 0x2f
	ds_store_2addr_b64 v154, v[44:45], v[26:27] offset0:3 offset1:4
	ds_store_2addr_b64 v154, v[22:23], v[24:25] offset0:5 offset1:6
	s_wait_loadcnt 0x2e
	ds_store_2addr_b64 v154, v[20:21], v[40:41] offset0:7 offset1:8
	s_wait_loadcnt 0x2c
	;; [unrolled: 2-line block ×11, first 2 shown]
	ds_store_2addr_b64 v154, v[108:109], v[130:131] offset0:27 offset1:28
	ds_store_2addr_b64 v154, v[126:127], v[128:129] offset0:29 offset1:30
	;; [unrolled: 1-line block ×3, first 2 shown]
	s_wait_loadcnt 0x14
	ds_store_2addr_b64 v154, v[142:143], v[144:145] offset0:33 offset1:34
	s_wait_loadcnt 0xe
	ds_store_2addr_b64 v154, v[140:141], v[162:163] offset0:35 offset1:36
	ds_store_2addr_b64 v154, v[158:159], v[160:161] offset0:37 offset1:38
	;; [unrolled: 1-line block ×3, first 2 shown]
	s_wait_loadcnt 0x8
	ds_store_2addr_b64 v154, v[174:175], v[176:177] offset0:41 offset1:42
	ds_store_2addr_b64 v154, v[172:173], v[196:197] offset0:43 offset1:44
	;; [unrolled: 1-line block ×3, first 2 shown]
	s_wait_loadcnt 0x6
	ds_store_2addr_b64 v154, v[190:191], v[216:217] offset0:47 offset1:48
	s_wait_loadcnt 0x4
	ds_store_2addr_b64 v154, v[210:211], v[214:215] offset0:49 offset1:50
	;; [unrolled: 2-line block ×4, first 2 shown]
	ds_load_b64 v[0:1], v153
	s_wait_dscnt 0x0
	v_cmp_neq_f32_e32 vcc_lo, 0, v0
	v_cmp_neq_f32_e64 s2, 0, v1
	s_or_b32 s2, vcc_lo, s2
	s_delay_alu instid0(SALU_CYCLE_1)
	s_and_b32 exec_lo, exec_lo, s2
	s_cbranch_execz .LBB109_8
; %bb.3:
	v_cmp_ngt_f32_e64 s2, |v0|, |v1|
                                        ; implicit-def: $vgpr2_vgpr3
	s_and_saveexec_b32 s5, s2
	s_delay_alu instid0(SALU_CYCLE_1)
	s_xor_b32 s2, exec_lo, s5
	s_cbranch_execz .LBB109_5
; %bb.4:
	v_div_scale_f32 v2, null, v1, v1, v0
	v_div_scale_f32 v5, vcc_lo, v0, v1, v0
	s_delay_alu instid0(VALU_DEP_2) | instskip(SKIP_1) | instid1(TRANS32_DEP_1)
	v_rcp_f32_e32 v3, v2
	v_nop
	v_fma_f32 v4, -v2, v3, 1.0
	s_delay_alu instid0(VALU_DEP_1) | instskip(NEXT) | instid1(VALU_DEP_1)
	v_fmac_f32_e32 v3, v4, v3
	v_mul_f32_e32 v4, v5, v3
	s_delay_alu instid0(VALU_DEP_1) | instskip(NEXT) | instid1(VALU_DEP_1)
	v_fma_f32 v6, -v2, v4, v5
	v_fmac_f32_e32 v4, v6, v3
	s_delay_alu instid0(VALU_DEP_1) | instskip(NEXT) | instid1(VALU_DEP_1)
	v_fma_f32 v2, -v2, v4, v5
	v_div_fmas_f32 v2, v2, v3, v4
	s_delay_alu instid0(VALU_DEP_1) | instskip(NEXT) | instid1(VALU_DEP_1)
	v_div_fixup_f32 v2, v2, v1, v0
	v_fmac_f32_e32 v1, v0, v2
	s_delay_alu instid0(VALU_DEP_1) | instskip(SKIP_1) | instid1(VALU_DEP_2)
	v_div_scale_f32 v0, null, v1, v1, 1.0
	v_div_scale_f32 v5, vcc_lo, 1.0, v1, 1.0
	v_rcp_f32_e32 v3, v0
	v_nop
	s_delay_alu instid0(TRANS32_DEP_1) | instskip(NEXT) | instid1(VALU_DEP_1)
	v_fma_f32 v4, -v0, v3, 1.0
	v_fmac_f32_e32 v3, v4, v3
	s_delay_alu instid0(VALU_DEP_1) | instskip(NEXT) | instid1(VALU_DEP_1)
	v_mul_f32_e32 v4, v5, v3
	v_fma_f32 v6, -v0, v4, v5
	s_delay_alu instid0(VALU_DEP_1) | instskip(NEXT) | instid1(VALU_DEP_1)
	v_fmac_f32_e32 v4, v6, v3
	v_fma_f32 v0, -v0, v4, v5
	s_delay_alu instid0(VALU_DEP_1) | instskip(NEXT) | instid1(VALU_DEP_1)
	v_div_fmas_f32 v0, v0, v3, v4
	v_div_fixup_f32 v0, v0, v1, 1.0
	s_delay_alu instid0(VALU_DEP_1)
	v_mul_f32_e32 v2, v2, v0
	v_xor_b32_e32 v3, 0x80000000, v0
                                        ; implicit-def: $vgpr0_vgpr1
.LBB109_5:
	s_and_not1_saveexec_b32 s2, s2
	s_cbranch_execz .LBB109_7
; %bb.6:
	v_div_scale_f32 v2, null, v0, v0, v1
	v_div_scale_f32 v5, vcc_lo, v1, v0, v1
	s_delay_alu instid0(VALU_DEP_2) | instskip(SKIP_1) | instid1(TRANS32_DEP_1)
	v_rcp_f32_e32 v3, v2
	v_nop
	v_fma_f32 v4, -v2, v3, 1.0
	s_delay_alu instid0(VALU_DEP_1) | instskip(NEXT) | instid1(VALU_DEP_1)
	v_fmac_f32_e32 v3, v4, v3
	v_mul_f32_e32 v4, v5, v3
	s_delay_alu instid0(VALU_DEP_1) | instskip(NEXT) | instid1(VALU_DEP_1)
	v_fma_f32 v6, -v2, v4, v5
	v_fmac_f32_e32 v4, v6, v3
	s_delay_alu instid0(VALU_DEP_1) | instskip(NEXT) | instid1(VALU_DEP_1)
	v_fma_f32 v2, -v2, v4, v5
	v_div_fmas_f32 v2, v2, v3, v4
	s_delay_alu instid0(VALU_DEP_1) | instskip(NEXT) | instid1(VALU_DEP_1)
	v_div_fixup_f32 v3, v2, v0, v1
	v_fmac_f32_e32 v0, v1, v3
	s_delay_alu instid0(VALU_DEP_1) | instskip(NEXT) | instid1(VALU_DEP_1)
	v_div_scale_f32 v1, null, v0, v0, 1.0
	v_rcp_f32_e32 v2, v1
	v_nop
	s_delay_alu instid0(TRANS32_DEP_1) | instskip(NEXT) | instid1(VALU_DEP_1)
	v_fma_f32 v4, -v1, v2, 1.0
	v_fmac_f32_e32 v2, v4, v2
	v_div_scale_f32 v4, vcc_lo, 1.0, v0, 1.0
	s_delay_alu instid0(VALU_DEP_1) | instskip(NEXT) | instid1(VALU_DEP_1)
	v_mul_f32_e32 v5, v4, v2
	v_fma_f32 v6, -v1, v5, v4
	s_delay_alu instid0(VALU_DEP_1) | instskip(NEXT) | instid1(VALU_DEP_1)
	v_fmac_f32_e32 v5, v6, v2
	v_fma_f32 v1, -v1, v5, v4
	s_delay_alu instid0(VALU_DEP_1) | instskip(NEXT) | instid1(VALU_DEP_1)
	v_div_fmas_f32 v1, v1, v2, v5
	v_div_fixup_f32 v2, v1, v0, 1.0
	s_delay_alu instid0(VALU_DEP_1)
	v_mul_f32_e64 v3, v3, -v2
.LBB109_7:
	s_or_b32 exec_lo, exec_lo, s2
	ds_store_b64 v153, v[2:3]
.LBB109_8:
	s_or_b32 exec_lo, exec_lo, s4
	s_wait_storecnt 0x0
	s_wait_loadcnt_dscnt 0x0
	s_barrier_signal -1
	s_barrier_wait -1
	ds_load_b64 v[0:1], v153
	s_wait_dscnt 0x0
	scratch_store_b64 off, v[0:1], off offset:208 ; 8-byte Folded Spill
	s_wait_xcnt 0x0
	s_and_saveexec_b32 s2, s1
	s_cbranch_execz .LBB109_10
; %bb.9:
	scratch_load_b64 v[4:5], off, off offset:208 ; 8-byte Folded Reload
	s_wait_loadcnt 0x0
	v_pk_mul_f32 v[2:3], v[4:5], v[54:55] op_sel:[1,1] op_sel_hi:[0,1]
	s_delay_alu instid0(VALU_DEP_1)
	v_pk_fma_f32 v[0:1], v[4:5], v[54:55], v[2:3] op_sel_hi:[1,0,1] neg_lo:[0,0,1] neg_hi:[0,0,1]
	v_pk_fma_f32 v[2:3], v[4:5], v[54:55], v[2:3] op_sel_hi:[1,0,1]
	ds_load_2addr_b64 v[4:7], v154 offset0:1 offset1:2
	v_dual_mov_b32 v54, v0 :: v_dual_mov_b32 v55, v3
	s_wait_dscnt 0x0
	v_pk_mul_f32 v[8:9], v[4:5], v[2:3] op_sel:[0,1]
	s_delay_alu instid0(VALU_DEP_1) | instskip(SKIP_1) | instid1(VALU_DEP_1)
	v_pk_fma_f32 v[10:11], v[4:5], v[0:1], v[8:9] op_sel:[0,0,1] op_sel_hi:[1,1,0] neg_lo:[0,0,1] neg_hi:[0,0,1]
	v_pk_fma_f32 v[4:5], v[4:5], v[0:1], v[8:9] op_sel:[0,0,1] op_sel_hi:[1,0,0]
	v_mov_b32_e32 v11, v5
	v_pk_mul_f32 v[4:5], v[6:7], v[2:3] op_sel:[0,1]
	s_delay_alu instid0(VALU_DEP_1) | instskip(SKIP_1) | instid1(VALU_DEP_1)
	v_pk_fma_f32 v[8:9], v[6:7], v[0:1], v[4:5] op_sel:[0,0,1] op_sel_hi:[1,1,0] neg_lo:[0,0,1] neg_hi:[0,0,1]
	v_pk_fma_f32 v[4:5], v[6:7], v[0:1], v[4:5] op_sel:[0,0,1] op_sel_hi:[1,0,0]
	v_mov_b32_e32 v9, v5
	ds_load_2addr_b64 v[4:7], v154 offset0:3 offset1:4
	v_pk_add_f32 v[56:57], v[56:57], v[10:11] neg_lo:[0,1] neg_hi:[0,1]
	v_pk_add_f32 v[46:47], v[46:47], v[8:9] neg_lo:[0,1] neg_hi:[0,1]
	s_wait_dscnt 0x0
	v_pk_mul_f32 v[8:9], v[4:5], v[2:3] op_sel:[0,1]
	s_delay_alu instid0(VALU_DEP_1) | instskip(SKIP_2) | instid1(VALU_DEP_2)
	v_pk_fma_f32 v[10:11], v[4:5], v[0:1], v[8:9] op_sel:[0,0,1] op_sel_hi:[1,1,0] neg_lo:[0,0,1] neg_hi:[0,0,1]
	v_pk_fma_f32 v[4:5], v[4:5], v[0:1], v[8:9] op_sel:[0,0,1] op_sel_hi:[1,0,0]
	v_dual_mul_f32 v8, v7, v3 :: v_dual_mov_b32 v4, v7
	v_dual_mov_b32 v11, v5 :: v_dual_mov_b32 v5, v6
	s_delay_alu instid0(VALU_DEP_2) | instskip(SKIP_1) | instid1(VALU_DEP_3)
	v_pk_fma_f32 v[8:9], v[6:7], v[54:55], v[8:9] op_sel_hi:[1,1,0] neg_lo:[0,0,1] neg_hi:[0,0,1]
	v_mul_f32_e32 v6, v7, v0
	v_pk_add_f32 v[44:45], v[44:45], v[10:11] neg_lo:[0,1] neg_hi:[0,1]
	s_delay_alu instid0(VALU_DEP_2) | instskip(NEXT) | instid1(VALU_DEP_1)
	v_pk_fma_f32 v[4:5], v[4:5], v[54:55], v[6:7] op_sel_hi:[1,1,0]
	v_mov_b32_e32 v9, v5
	ds_load_2addr_b64 v[4:7], v154 offset0:5 offset1:6
	v_pk_add_f32 v[26:27], v[26:27], v[8:9] neg_lo:[0,1] neg_hi:[0,1]
	s_wait_dscnt 0x0
	v_pk_mul_f32 v[8:9], v[4:5], v[2:3] op_sel:[0,1]
	s_delay_alu instid0(VALU_DEP_1) | instskip(SKIP_1) | instid1(VALU_DEP_1)
	v_pk_fma_f32 v[10:11], v[4:5], v[0:1], v[8:9] op_sel:[0,0,1] op_sel_hi:[1,1,0] neg_lo:[0,0,1] neg_hi:[0,0,1]
	v_pk_fma_f32 v[4:5], v[4:5], v[0:1], v[8:9] op_sel:[0,0,1] op_sel_hi:[1,0,0]
	v_mov_b32_e32 v11, v5
	v_pk_mul_f32 v[4:5], v[6:7], v[2:3] op_sel:[0,1]
	s_delay_alu instid0(VALU_DEP_1) | instskip(SKIP_1) | instid1(VALU_DEP_1)
	v_pk_fma_f32 v[8:9], v[6:7], v[0:1], v[4:5] op_sel:[0,0,1] op_sel_hi:[1,1,0] neg_lo:[0,0,1] neg_hi:[0,0,1]
	v_pk_fma_f32 v[4:5], v[6:7], v[0:1], v[4:5] op_sel:[0,0,1] op_sel_hi:[1,0,0]
	v_mov_b32_e32 v9, v5
	ds_load_2addr_b64 v[4:7], v154 offset0:7 offset1:8
	v_pk_add_f32 v[22:23], v[22:23], v[10:11] neg_lo:[0,1] neg_hi:[0,1]
	v_pk_add_f32 v[24:25], v[24:25], v[8:9] neg_lo:[0,1] neg_hi:[0,1]
	s_wait_dscnt 0x0
	v_pk_mul_f32 v[8:9], v[4:5], v[2:3] op_sel:[0,1]
	s_delay_alu instid0(VALU_DEP_1) | instskip(SKIP_1) | instid1(VALU_DEP_1)
	v_pk_fma_f32 v[10:11], v[4:5], v[0:1], v[8:9] op_sel:[0,0,1] op_sel_hi:[1,1,0] neg_lo:[0,0,1] neg_hi:[0,0,1]
	v_pk_fma_f32 v[4:5], v[4:5], v[0:1], v[8:9] op_sel:[0,0,1] op_sel_hi:[1,0,0]
	v_mov_b32_e32 v11, v5
	v_pk_mul_f32 v[4:5], v[6:7], v[2:3] op_sel:[0,1]
	s_delay_alu instid0(VALU_DEP_1) | instskip(SKIP_1) | instid1(VALU_DEP_1)
	v_pk_fma_f32 v[8:9], v[6:7], v[0:1], v[4:5] op_sel:[0,0,1] op_sel_hi:[1,1,0] neg_lo:[0,0,1] neg_hi:[0,0,1]
	v_pk_fma_f32 v[4:5], v[6:7], v[0:1], v[4:5] op_sel:[0,0,1] op_sel_hi:[1,0,0]
	v_mov_b32_e32 v9, v5
	ds_load_2addr_b64 v[4:7], v154 offset0:9 offset1:10
	v_pk_add_f32 v[20:21], v[20:21], v[10:11] neg_lo:[0,1] neg_hi:[0,1]
	v_pk_add_f32 v[40:41], v[40:41], v[8:9] neg_lo:[0,1] neg_hi:[0,1]
	s_wait_dscnt 0x0
	v_dual_mul_f32 v8, v5, v3 :: v_dual_mul_f32 v10, v5, v0
	s_delay_alu instid0(VALU_DEP_1) | instskip(NEXT) | instid1(VALU_DEP_2)
	v_pk_fma_f32 v[8:9], v[4:5], v[54:55], v[8:9] op_sel_hi:[1,1,0] neg_lo:[0,0,1] neg_hi:[0,0,1]
	v_pk_fma_f32 v[4:5], v[4:5], v[54:55], v[10:11] op_sel:[1,0,0] op_sel_hi:[0,1,0]
	s_delay_alu instid0(VALU_DEP_1) | instskip(SKIP_1) | instid1(VALU_DEP_2)
	v_mov_b32_e32 v9, v5
	v_pk_mul_f32 v[4:5], v[6:7], v[2:3] op_sel:[0,1]
	v_pk_add_f32 v[36:37], v[36:37], v[8:9] neg_lo:[0,1] neg_hi:[0,1]
	s_delay_alu instid0(VALU_DEP_2) | instskip(SKIP_1) | instid1(VALU_DEP_1)
	v_pk_fma_f32 v[8:9], v[6:7], v[0:1], v[4:5] op_sel:[0,0,1] op_sel_hi:[1,1,0] neg_lo:[0,0,1] neg_hi:[0,0,1]
	v_pk_fma_f32 v[4:5], v[6:7], v[0:1], v[4:5] op_sel:[0,0,1] op_sel_hi:[1,0,0]
	v_mov_b32_e32 v9, v5
	ds_load_2addr_b64 v[4:7], v154 offset0:11 offset1:12
	v_pk_add_f32 v[38:39], v[38:39], v[8:9] neg_lo:[0,1] neg_hi:[0,1]
	s_wait_dscnt 0x0
	v_pk_mul_f32 v[8:9], v[4:5], v[2:3] op_sel:[0,1]
	s_delay_alu instid0(VALU_DEP_1) | instskip(SKIP_1) | instid1(VALU_DEP_1)
	v_pk_fma_f32 v[10:11], v[4:5], v[0:1], v[8:9] op_sel:[0,0,1] op_sel_hi:[1,1,0] neg_lo:[0,0,1] neg_hi:[0,0,1]
	v_pk_fma_f32 v[4:5], v[4:5], v[0:1], v[8:9] op_sel:[0,0,1] op_sel_hi:[1,0,0]
	v_mov_b32_e32 v11, v5
	v_pk_mul_f32 v[4:5], v[6:7], v[2:3] op_sel:[0,1]
	s_delay_alu instid0(VALU_DEP_2) | instskip(NEXT) | instid1(VALU_DEP_2)
	v_pk_add_f32 v[34:35], v[34:35], v[10:11] neg_lo:[0,1] neg_hi:[0,1]
	v_pk_fma_f32 v[8:9], v[6:7], v[0:1], v[4:5] op_sel:[0,0,1] op_sel_hi:[1,1,0] neg_lo:[0,0,1] neg_hi:[0,0,1]
	v_pk_fma_f32 v[4:5], v[6:7], v[0:1], v[4:5] op_sel:[0,0,1] op_sel_hi:[1,0,0]
	s_delay_alu instid0(VALU_DEP_1) | instskip(SKIP_4) | instid1(VALU_DEP_1)
	v_mov_b32_e32 v9, v5
	ds_load_2addr_b64 v[4:7], v154 offset0:13 offset1:14
	v_pk_add_f32 v[64:65], v[64:65], v[8:9] neg_lo:[0,1] neg_hi:[0,1]
	s_wait_dscnt 0x0
	v_pk_mul_f32 v[8:9], v[4:5], v[2:3] op_sel:[0,1]
	v_pk_fma_f32 v[10:11], v[4:5], v[0:1], v[8:9] op_sel:[0,0,1] op_sel_hi:[1,1,0] neg_lo:[0,0,1] neg_hi:[0,0,1]
	v_pk_fma_f32 v[4:5], v[4:5], v[0:1], v[8:9] op_sel:[0,0,1] op_sel_hi:[1,0,0]
	v_dual_mul_f32 v8, v7, v3 :: v_dual_mov_b32 v4, v7
	s_delay_alu instid0(VALU_DEP_2) | instskip(NEXT) | instid1(VALU_DEP_2)
	v_dual_mov_b32 v11, v5 :: v_dual_mov_b32 v5, v6
	v_pk_fma_f32 v[8:9], v[6:7], v[54:55], v[8:9] op_sel_hi:[1,1,0] neg_lo:[0,0,1] neg_hi:[0,0,1]
	v_mul_f32_e32 v6, v7, v0
	s_delay_alu instid0(VALU_DEP_3) | instskip(NEXT) | instid1(VALU_DEP_2)
	v_pk_add_f32 v[60:61], v[60:61], v[10:11] neg_lo:[0,1] neg_hi:[0,1]
	v_pk_fma_f32 v[4:5], v[4:5], v[54:55], v[6:7] op_sel_hi:[1,1,0]
	s_delay_alu instid0(VALU_DEP_1) | instskip(SKIP_4) | instid1(VALU_DEP_1)
	v_mov_b32_e32 v9, v5
	ds_load_2addr_b64 v[4:7], v154 offset0:15 offset1:16
	v_pk_add_f32 v[62:63], v[62:63], v[8:9] neg_lo:[0,1] neg_hi:[0,1]
	s_wait_dscnt 0x0
	v_pk_mul_f32 v[8:9], v[4:5], v[2:3] op_sel:[0,1]
	v_pk_fma_f32 v[10:11], v[4:5], v[0:1], v[8:9] op_sel:[0,0,1] op_sel_hi:[1,1,0] neg_lo:[0,0,1] neg_hi:[0,0,1]
	v_pk_fma_f32 v[4:5], v[4:5], v[0:1], v[8:9] op_sel:[0,0,1] op_sel_hi:[1,0,0]
	s_delay_alu instid0(VALU_DEP_1) | instskip(SKIP_1) | instid1(VALU_DEP_1)
	v_mov_b32_e32 v11, v5
	v_pk_mul_f32 v[4:5], v[6:7], v[2:3] op_sel:[0,1]
	v_pk_fma_f32 v[8:9], v[6:7], v[0:1], v[4:5] op_sel:[0,0,1] op_sel_hi:[1,1,0] neg_lo:[0,0,1] neg_hi:[0,0,1]
	v_pk_fma_f32 v[4:5], v[6:7], v[0:1], v[4:5] op_sel:[0,0,1] op_sel_hi:[1,0,0]
	s_delay_alu instid0(VALU_DEP_1)
	v_mov_b32_e32 v9, v5
	ds_load_2addr_b64 v[4:7], v154 offset0:17 offset1:18
	v_pk_add_f32 v[58:59], v[58:59], v[10:11] neg_lo:[0,1] neg_hi:[0,1]
	v_pk_add_f32 v[80:81], v[80:81], v[8:9] neg_lo:[0,1] neg_hi:[0,1]
	s_wait_dscnt 0x0
	v_pk_mul_f32 v[8:9], v[4:5], v[2:3] op_sel:[0,1]
	s_delay_alu instid0(VALU_DEP_1) | instskip(SKIP_1) | instid1(VALU_DEP_1)
	v_pk_fma_f32 v[10:11], v[4:5], v[0:1], v[8:9] op_sel:[0,0,1] op_sel_hi:[1,1,0] neg_lo:[0,0,1] neg_hi:[0,0,1]
	v_pk_fma_f32 v[4:5], v[4:5], v[0:1], v[8:9] op_sel:[0,0,1] op_sel_hi:[1,0,0]
	v_mov_b32_e32 v11, v5
	v_pk_mul_f32 v[4:5], v[6:7], v[2:3] op_sel:[0,1]
	s_delay_alu instid0(VALU_DEP_1) | instskip(SKIP_1) | instid1(VALU_DEP_1)
	v_pk_fma_f32 v[8:9], v[6:7], v[0:1], v[4:5] op_sel:[0,0,1] op_sel_hi:[1,1,0] neg_lo:[0,0,1] neg_hi:[0,0,1]
	v_pk_fma_f32 v[4:5], v[6:7], v[0:1], v[4:5] op_sel:[0,0,1] op_sel_hi:[1,0,0]
	v_mov_b32_e32 v9, v5
	ds_load_2addr_b64 v[4:7], v154 offset0:19 offset1:20
	v_pk_add_f32 v[76:77], v[76:77], v[10:11] neg_lo:[0,1] neg_hi:[0,1]
	v_pk_add_f32 v[78:79], v[78:79], v[8:9] neg_lo:[0,1] neg_hi:[0,1]
	s_wait_dscnt 0x0
	v_dual_mul_f32 v8, v5, v3 :: v_dual_mul_f32 v10, v5, v0
	s_delay_alu instid0(VALU_DEP_1) | instskip(NEXT) | instid1(VALU_DEP_2)
	v_pk_fma_f32 v[8:9], v[4:5], v[54:55], v[8:9] op_sel_hi:[1,1,0] neg_lo:[0,0,1] neg_hi:[0,0,1]
	v_pk_fma_f32 v[4:5], v[4:5], v[54:55], v[10:11] op_sel:[1,0,0] op_sel_hi:[0,1,0]
	s_delay_alu instid0(VALU_DEP_1) | instskip(SKIP_1) | instid1(VALU_DEP_2)
	v_mov_b32_e32 v9, v5
	v_pk_mul_f32 v[4:5], v[6:7], v[2:3] op_sel:[0,1]
	v_pk_add_f32 v[74:75], v[74:75], v[8:9] neg_lo:[0,1] neg_hi:[0,1]
	s_delay_alu instid0(VALU_DEP_2) | instskip(SKIP_1) | instid1(VALU_DEP_1)
	v_pk_fma_f32 v[8:9], v[6:7], v[0:1], v[4:5] op_sel:[0,0,1] op_sel_hi:[1,1,0] neg_lo:[0,0,1] neg_hi:[0,0,1]
	v_pk_fma_f32 v[4:5], v[6:7], v[0:1], v[4:5] op_sel:[0,0,1] op_sel_hi:[1,0,0]
	v_mov_b32_e32 v9, v5
	ds_load_2addr_b64 v[4:7], v154 offset0:21 offset1:22
	v_pk_add_f32 v[96:97], v[96:97], v[8:9] neg_lo:[0,1] neg_hi:[0,1]
	s_wait_dscnt 0x0
	v_pk_mul_f32 v[8:9], v[4:5], v[2:3] op_sel:[0,1]
	s_delay_alu instid0(VALU_DEP_1) | instskip(SKIP_1) | instid1(VALU_DEP_1)
	v_pk_fma_f32 v[10:11], v[4:5], v[0:1], v[8:9] op_sel:[0,0,1] op_sel_hi:[1,1,0] neg_lo:[0,0,1] neg_hi:[0,0,1]
	v_pk_fma_f32 v[4:5], v[4:5], v[0:1], v[8:9] op_sel:[0,0,1] op_sel_hi:[1,0,0]
	v_mov_b32_e32 v11, v5
	v_pk_mul_f32 v[4:5], v[6:7], v[2:3] op_sel:[0,1]
	s_delay_alu instid0(VALU_DEP_2) | instskip(NEXT) | instid1(VALU_DEP_2)
	v_pk_add_f32 v[92:93], v[92:93], v[10:11] neg_lo:[0,1] neg_hi:[0,1]
	v_pk_fma_f32 v[8:9], v[6:7], v[0:1], v[4:5] op_sel:[0,0,1] op_sel_hi:[1,1,0] neg_lo:[0,0,1] neg_hi:[0,0,1]
	v_pk_fma_f32 v[4:5], v[6:7], v[0:1], v[4:5] op_sel:[0,0,1] op_sel_hi:[1,0,0]
	s_delay_alu instid0(VALU_DEP_1) | instskip(SKIP_4) | instid1(VALU_DEP_1)
	v_mov_b32_e32 v9, v5
	ds_load_2addr_b64 v[4:7], v154 offset0:23 offset1:24
	v_pk_add_f32 v[94:95], v[94:95], v[8:9] neg_lo:[0,1] neg_hi:[0,1]
	s_wait_dscnt 0x0
	v_pk_mul_f32 v[8:9], v[4:5], v[2:3] op_sel:[0,1]
	v_pk_fma_f32 v[10:11], v[4:5], v[0:1], v[8:9] op_sel:[0,0,1] op_sel_hi:[1,1,0] neg_lo:[0,0,1] neg_hi:[0,0,1]
	v_pk_fma_f32 v[4:5], v[4:5], v[0:1], v[8:9] op_sel:[0,0,1] op_sel_hi:[1,0,0]
	v_dual_mul_f32 v8, v7, v3 :: v_dual_mov_b32 v4, v7
	s_delay_alu instid0(VALU_DEP_2) | instskip(NEXT) | instid1(VALU_DEP_2)
	v_dual_mov_b32 v11, v5 :: v_dual_mov_b32 v5, v6
	v_pk_fma_f32 v[8:9], v[6:7], v[54:55], v[8:9] op_sel_hi:[1,1,0] neg_lo:[0,0,1] neg_hi:[0,0,1]
	v_mul_f32_e32 v6, v7, v0
	s_delay_alu instid0(VALU_DEP_3) | instskip(NEXT) | instid1(VALU_DEP_2)
	v_pk_add_f32 v[90:91], v[90:91], v[10:11] neg_lo:[0,1] neg_hi:[0,1]
	v_pk_fma_f32 v[4:5], v[4:5], v[54:55], v[6:7] op_sel_hi:[1,1,0]
	s_delay_alu instid0(VALU_DEP_1) | instskip(SKIP_4) | instid1(VALU_DEP_1)
	v_mov_b32_e32 v9, v5
	ds_load_2addr_b64 v[4:7], v154 offset0:25 offset1:26
	v_pk_add_f32 v[114:115], v[114:115], v[8:9] neg_lo:[0,1] neg_hi:[0,1]
	s_wait_dscnt 0x0
	v_pk_mul_f32 v[8:9], v[4:5], v[2:3] op_sel:[0,1]
	v_pk_fma_f32 v[10:11], v[4:5], v[0:1], v[8:9] op_sel:[0,0,1] op_sel_hi:[1,1,0] neg_lo:[0,0,1] neg_hi:[0,0,1]
	v_pk_fma_f32 v[4:5], v[4:5], v[0:1], v[8:9] op_sel:[0,0,1] op_sel_hi:[1,0,0]
	s_delay_alu instid0(VALU_DEP_1) | instskip(SKIP_1) | instid1(VALU_DEP_1)
	v_mov_b32_e32 v11, v5
	v_pk_mul_f32 v[4:5], v[6:7], v[2:3] op_sel:[0,1]
	v_pk_fma_f32 v[8:9], v[6:7], v[0:1], v[4:5] op_sel:[0,0,1] op_sel_hi:[1,1,0] neg_lo:[0,0,1] neg_hi:[0,0,1]
	v_pk_fma_f32 v[4:5], v[6:7], v[0:1], v[4:5] op_sel:[0,0,1] op_sel_hi:[1,0,0]
	s_delay_alu instid0(VALU_DEP_1)
	v_mov_b32_e32 v9, v5
	ds_load_2addr_b64 v[4:7], v154 offset0:27 offset1:28
	v_pk_add_f32 v[110:111], v[110:111], v[10:11] neg_lo:[0,1] neg_hi:[0,1]
	v_pk_add_f32 v[112:113], v[112:113], v[8:9] neg_lo:[0,1] neg_hi:[0,1]
	s_wait_dscnt 0x0
	v_pk_mul_f32 v[8:9], v[4:5], v[2:3] op_sel:[0,1]
	s_delay_alu instid0(VALU_DEP_1) | instskip(SKIP_1) | instid1(VALU_DEP_1)
	v_pk_fma_f32 v[10:11], v[4:5], v[0:1], v[8:9] op_sel:[0,0,1] op_sel_hi:[1,1,0] neg_lo:[0,0,1] neg_hi:[0,0,1]
	v_pk_fma_f32 v[4:5], v[4:5], v[0:1], v[8:9] op_sel:[0,0,1] op_sel_hi:[1,0,0]
	v_mov_b32_e32 v11, v5
	v_pk_mul_f32 v[4:5], v[6:7], v[2:3] op_sel:[0,1]
	s_delay_alu instid0(VALU_DEP_1) | instskip(SKIP_1) | instid1(VALU_DEP_1)
	v_pk_fma_f32 v[8:9], v[6:7], v[0:1], v[4:5] op_sel:[0,0,1] op_sel_hi:[1,1,0] neg_lo:[0,0,1] neg_hi:[0,0,1]
	v_pk_fma_f32 v[4:5], v[6:7], v[0:1], v[4:5] op_sel:[0,0,1] op_sel_hi:[1,0,0]
	v_mov_b32_e32 v9, v5
	ds_load_2addr_b64 v[4:7], v154 offset0:29 offset1:30
	v_pk_add_f32 v[108:109], v[108:109], v[10:11] neg_lo:[0,1] neg_hi:[0,1]
	v_pk_add_f32 v[130:131], v[130:131], v[8:9] neg_lo:[0,1] neg_hi:[0,1]
	s_wait_dscnt 0x0
	v_dual_mul_f32 v8, v5, v3 :: v_dual_mul_f32 v10, v5, v0
	s_delay_alu instid0(VALU_DEP_1) | instskip(NEXT) | instid1(VALU_DEP_2)
	v_pk_fma_f32 v[8:9], v[4:5], v[54:55], v[8:9] op_sel_hi:[1,1,0] neg_lo:[0,0,1] neg_hi:[0,0,1]
	v_pk_fma_f32 v[4:5], v[4:5], v[54:55], v[10:11] op_sel:[1,0,0] op_sel_hi:[0,1,0]
	s_delay_alu instid0(VALU_DEP_1) | instskip(SKIP_1) | instid1(VALU_DEP_2)
	v_mov_b32_e32 v9, v5
	v_pk_mul_f32 v[4:5], v[6:7], v[2:3] op_sel:[0,1]
	v_pk_add_f32 v[126:127], v[126:127], v[8:9] neg_lo:[0,1] neg_hi:[0,1]
	s_delay_alu instid0(VALU_DEP_2) | instskip(SKIP_1) | instid1(VALU_DEP_1)
	v_pk_fma_f32 v[8:9], v[6:7], v[0:1], v[4:5] op_sel:[0,0,1] op_sel_hi:[1,1,0] neg_lo:[0,0,1] neg_hi:[0,0,1]
	v_pk_fma_f32 v[4:5], v[6:7], v[0:1], v[4:5] op_sel:[0,0,1] op_sel_hi:[1,0,0]
	v_mov_b32_e32 v9, v5
	ds_load_2addr_b64 v[4:7], v154 offset0:31 offset1:32
	v_pk_add_f32 v[128:129], v[128:129], v[8:9] neg_lo:[0,1] neg_hi:[0,1]
	s_wait_dscnt 0x0
	v_pk_mul_f32 v[8:9], v[4:5], v[2:3] op_sel:[0,1]
	s_delay_alu instid0(VALU_DEP_1) | instskip(SKIP_1) | instid1(VALU_DEP_1)
	v_pk_fma_f32 v[10:11], v[4:5], v[0:1], v[8:9] op_sel:[0,0,1] op_sel_hi:[1,1,0] neg_lo:[0,0,1] neg_hi:[0,0,1]
	v_pk_fma_f32 v[4:5], v[4:5], v[0:1], v[8:9] op_sel:[0,0,1] op_sel_hi:[1,0,0]
	v_mov_b32_e32 v11, v5
	v_pk_mul_f32 v[4:5], v[6:7], v[2:3] op_sel:[0,1]
	s_delay_alu instid0(VALU_DEP_2) | instskip(NEXT) | instid1(VALU_DEP_2)
	v_pk_add_f32 v[124:125], v[124:125], v[10:11] neg_lo:[0,1] neg_hi:[0,1]
	v_pk_fma_f32 v[8:9], v[6:7], v[0:1], v[4:5] op_sel:[0,0,1] op_sel_hi:[1,1,0] neg_lo:[0,0,1] neg_hi:[0,0,1]
	v_pk_fma_f32 v[4:5], v[6:7], v[0:1], v[4:5] op_sel:[0,0,1] op_sel_hi:[1,0,0]
	s_delay_alu instid0(VALU_DEP_1) | instskip(SKIP_4) | instid1(VALU_DEP_1)
	v_mov_b32_e32 v9, v5
	ds_load_2addr_b64 v[4:7], v154 offset0:33 offset1:34
	v_pk_add_f32 v[146:147], v[146:147], v[8:9] neg_lo:[0,1] neg_hi:[0,1]
	s_wait_dscnt 0x0
	v_pk_mul_f32 v[8:9], v[4:5], v[2:3] op_sel:[0,1]
	v_pk_fma_f32 v[10:11], v[4:5], v[0:1], v[8:9] op_sel:[0,0,1] op_sel_hi:[1,1,0] neg_lo:[0,0,1] neg_hi:[0,0,1]
	v_pk_fma_f32 v[4:5], v[4:5], v[0:1], v[8:9] op_sel:[0,0,1] op_sel_hi:[1,0,0]
	v_dual_mul_f32 v8, v7, v3 :: v_dual_mov_b32 v4, v7
	s_delay_alu instid0(VALU_DEP_2) | instskip(NEXT) | instid1(VALU_DEP_2)
	v_dual_mov_b32 v11, v5 :: v_dual_mov_b32 v5, v6
	v_pk_fma_f32 v[8:9], v[6:7], v[54:55], v[8:9] op_sel_hi:[1,1,0] neg_lo:[0,0,1] neg_hi:[0,0,1]
	v_mul_f32_e32 v6, v7, v0
	s_delay_alu instid0(VALU_DEP_3) | instskip(NEXT) | instid1(VALU_DEP_2)
	v_pk_add_f32 v[142:143], v[142:143], v[10:11] neg_lo:[0,1] neg_hi:[0,1]
	v_pk_fma_f32 v[4:5], v[4:5], v[54:55], v[6:7] op_sel_hi:[1,1,0]
	s_delay_alu instid0(VALU_DEP_1) | instskip(SKIP_4) | instid1(VALU_DEP_1)
	v_mov_b32_e32 v9, v5
	ds_load_2addr_b64 v[4:7], v154 offset0:35 offset1:36
	v_pk_add_f32 v[144:145], v[144:145], v[8:9] neg_lo:[0,1] neg_hi:[0,1]
	s_wait_dscnt 0x0
	v_pk_mul_f32 v[8:9], v[4:5], v[2:3] op_sel:[0,1]
	v_pk_fma_f32 v[10:11], v[4:5], v[0:1], v[8:9] op_sel:[0,0,1] op_sel_hi:[1,1,0] neg_lo:[0,0,1] neg_hi:[0,0,1]
	v_pk_fma_f32 v[4:5], v[4:5], v[0:1], v[8:9] op_sel:[0,0,1] op_sel_hi:[1,0,0]
	s_delay_alu instid0(VALU_DEP_1) | instskip(SKIP_1) | instid1(VALU_DEP_1)
	v_mov_b32_e32 v11, v5
	v_pk_mul_f32 v[4:5], v[6:7], v[2:3] op_sel:[0,1]
	v_pk_fma_f32 v[8:9], v[6:7], v[0:1], v[4:5] op_sel:[0,0,1] op_sel_hi:[1,1,0] neg_lo:[0,0,1] neg_hi:[0,0,1]
	v_pk_fma_f32 v[4:5], v[6:7], v[0:1], v[4:5] op_sel:[0,0,1] op_sel_hi:[1,0,0]
	s_delay_alu instid0(VALU_DEP_1)
	v_mov_b32_e32 v9, v5
	ds_load_2addr_b64 v[4:7], v154 offset0:37 offset1:38
	v_pk_add_f32 v[140:141], v[140:141], v[10:11] neg_lo:[0,1] neg_hi:[0,1]
	v_pk_add_f32 v[162:163], v[162:163], v[8:9] neg_lo:[0,1] neg_hi:[0,1]
	s_wait_dscnt 0x0
	v_pk_mul_f32 v[8:9], v[4:5], v[2:3] op_sel:[0,1]
	s_delay_alu instid0(VALU_DEP_1) | instskip(SKIP_1) | instid1(VALU_DEP_1)
	v_pk_fma_f32 v[10:11], v[4:5], v[0:1], v[8:9] op_sel:[0,0,1] op_sel_hi:[1,1,0] neg_lo:[0,0,1] neg_hi:[0,0,1]
	v_pk_fma_f32 v[4:5], v[4:5], v[0:1], v[8:9] op_sel:[0,0,1] op_sel_hi:[1,0,0]
	v_mov_b32_e32 v11, v5
	v_pk_mul_f32 v[4:5], v[6:7], v[2:3] op_sel:[0,1]
	s_delay_alu instid0(VALU_DEP_1) | instskip(SKIP_1) | instid1(VALU_DEP_1)
	v_pk_fma_f32 v[8:9], v[6:7], v[0:1], v[4:5] op_sel:[0,0,1] op_sel_hi:[1,1,0] neg_lo:[0,0,1] neg_hi:[0,0,1]
	v_pk_fma_f32 v[4:5], v[6:7], v[0:1], v[4:5] op_sel:[0,0,1] op_sel_hi:[1,0,0]
	v_mov_b32_e32 v9, v5
	ds_load_2addr_b64 v[4:7], v154 offset0:39 offset1:40
	v_pk_add_f32 v[158:159], v[158:159], v[10:11] neg_lo:[0,1] neg_hi:[0,1]
	v_pk_add_f32 v[160:161], v[160:161], v[8:9] neg_lo:[0,1] neg_hi:[0,1]
	s_wait_dscnt 0x0
	v_dual_mul_f32 v8, v5, v3 :: v_dual_mul_f32 v10, v5, v0
	s_delay_alu instid0(VALU_DEP_1) | instskip(NEXT) | instid1(VALU_DEP_2)
	v_pk_fma_f32 v[8:9], v[4:5], v[54:55], v[8:9] op_sel_hi:[1,1,0] neg_lo:[0,0,1] neg_hi:[0,0,1]
	v_pk_fma_f32 v[4:5], v[4:5], v[54:55], v[10:11] op_sel:[1,0,0] op_sel_hi:[0,1,0]
	s_delay_alu instid0(VALU_DEP_1) | instskip(SKIP_1) | instid1(VALU_DEP_2)
	v_mov_b32_e32 v9, v5
	v_pk_mul_f32 v[4:5], v[6:7], v[2:3] op_sel:[0,1]
	v_pk_add_f32 v[156:157], v[156:157], v[8:9] neg_lo:[0,1] neg_hi:[0,1]
	s_delay_alu instid0(VALU_DEP_2) | instskip(SKIP_1) | instid1(VALU_DEP_1)
	v_pk_fma_f32 v[8:9], v[6:7], v[0:1], v[4:5] op_sel:[0,0,1] op_sel_hi:[1,1,0] neg_lo:[0,0,1] neg_hi:[0,0,1]
	v_pk_fma_f32 v[4:5], v[6:7], v[0:1], v[4:5] op_sel:[0,0,1] op_sel_hi:[1,0,0]
	v_mov_b32_e32 v9, v5
	ds_load_2addr_b64 v[4:7], v154 offset0:41 offset1:42
	v_pk_add_f32 v[178:179], v[178:179], v[8:9] neg_lo:[0,1] neg_hi:[0,1]
	s_wait_dscnt 0x0
	v_pk_mul_f32 v[8:9], v[4:5], v[2:3] op_sel:[0,1]
	s_delay_alu instid0(VALU_DEP_1) | instskip(SKIP_1) | instid1(VALU_DEP_1)
	v_pk_fma_f32 v[10:11], v[4:5], v[0:1], v[8:9] op_sel:[0,0,1] op_sel_hi:[1,1,0] neg_lo:[0,0,1] neg_hi:[0,0,1]
	v_pk_fma_f32 v[4:5], v[4:5], v[0:1], v[8:9] op_sel:[0,0,1] op_sel_hi:[1,0,0]
	v_mov_b32_e32 v11, v5
	v_pk_mul_f32 v[4:5], v[6:7], v[2:3] op_sel:[0,1]
	s_delay_alu instid0(VALU_DEP_2) | instskip(NEXT) | instid1(VALU_DEP_2)
	v_pk_add_f32 v[174:175], v[174:175], v[10:11] neg_lo:[0,1] neg_hi:[0,1]
	v_pk_fma_f32 v[8:9], v[6:7], v[0:1], v[4:5] op_sel:[0,0,1] op_sel_hi:[1,1,0] neg_lo:[0,0,1] neg_hi:[0,0,1]
	v_pk_fma_f32 v[4:5], v[6:7], v[0:1], v[4:5] op_sel:[0,0,1] op_sel_hi:[1,0,0]
	s_delay_alu instid0(VALU_DEP_1) | instskip(SKIP_4) | instid1(VALU_DEP_1)
	v_mov_b32_e32 v9, v5
	ds_load_2addr_b64 v[4:7], v154 offset0:43 offset1:44
	v_pk_add_f32 v[176:177], v[176:177], v[8:9] neg_lo:[0,1] neg_hi:[0,1]
	s_wait_dscnt 0x0
	v_pk_mul_f32 v[8:9], v[4:5], v[2:3] op_sel:[0,1]
	v_pk_fma_f32 v[10:11], v[4:5], v[0:1], v[8:9] op_sel:[0,0,1] op_sel_hi:[1,1,0] neg_lo:[0,0,1] neg_hi:[0,0,1]
	v_pk_fma_f32 v[4:5], v[4:5], v[0:1], v[8:9] op_sel:[0,0,1] op_sel_hi:[1,0,0]
	v_dual_mul_f32 v8, v7, v3 :: v_dual_mov_b32 v4, v7
	s_delay_alu instid0(VALU_DEP_2) | instskip(NEXT) | instid1(VALU_DEP_2)
	v_dual_mov_b32 v11, v5 :: v_dual_mov_b32 v5, v6
	v_pk_fma_f32 v[8:9], v[6:7], v[54:55], v[8:9] op_sel_hi:[1,1,0] neg_lo:[0,0,1] neg_hi:[0,0,1]
	v_mul_f32_e32 v6, v7, v0
	s_delay_alu instid0(VALU_DEP_3) | instskip(NEXT) | instid1(VALU_DEP_2)
	v_pk_add_f32 v[172:173], v[172:173], v[10:11] neg_lo:[0,1] neg_hi:[0,1]
	v_pk_fma_f32 v[4:5], v[4:5], v[54:55], v[6:7] op_sel_hi:[1,1,0]
	s_delay_alu instid0(VALU_DEP_1) | instskip(SKIP_4) | instid1(VALU_DEP_1)
	v_mov_b32_e32 v9, v5
	ds_load_2addr_b64 v[4:7], v154 offset0:45 offset1:46
	v_pk_add_f32 v[196:197], v[196:197], v[8:9] neg_lo:[0,1] neg_hi:[0,1]
	s_wait_dscnt 0x0
	v_pk_mul_f32 v[8:9], v[4:5], v[2:3] op_sel:[0,1]
	v_pk_fma_f32 v[10:11], v[4:5], v[0:1], v[8:9] op_sel:[0,0,1] op_sel_hi:[1,1,0] neg_lo:[0,0,1] neg_hi:[0,0,1]
	v_pk_fma_f32 v[4:5], v[4:5], v[0:1], v[8:9] op_sel:[0,0,1] op_sel_hi:[1,0,0]
	s_delay_alu instid0(VALU_DEP_1) | instskip(SKIP_1) | instid1(VALU_DEP_1)
	v_mov_b32_e32 v11, v5
	v_pk_mul_f32 v[4:5], v[6:7], v[2:3] op_sel:[0,1]
	v_pk_fma_f32 v[8:9], v[6:7], v[0:1], v[4:5] op_sel:[0,0,1] op_sel_hi:[1,1,0] neg_lo:[0,0,1] neg_hi:[0,0,1]
	v_pk_fma_f32 v[4:5], v[6:7], v[0:1], v[4:5] op_sel:[0,0,1] op_sel_hi:[1,0,0]
	s_delay_alu instid0(VALU_DEP_1)
	v_mov_b32_e32 v9, v5
	ds_load_2addr_b64 v[4:7], v154 offset0:47 offset1:48
	v_pk_add_f32 v[192:193], v[192:193], v[10:11] neg_lo:[0,1] neg_hi:[0,1]
	v_pk_add_f32 v[194:195], v[194:195], v[8:9] neg_lo:[0,1] neg_hi:[0,1]
	s_wait_dscnt 0x0
	v_pk_mul_f32 v[8:9], v[4:5], v[2:3] op_sel:[0,1]
	s_delay_alu instid0(VALU_DEP_1) | instskip(SKIP_1) | instid1(VALU_DEP_1)
	v_pk_fma_f32 v[10:11], v[4:5], v[0:1], v[8:9] op_sel:[0,0,1] op_sel_hi:[1,1,0] neg_lo:[0,0,1] neg_hi:[0,0,1]
	v_pk_fma_f32 v[4:5], v[4:5], v[0:1], v[8:9] op_sel:[0,0,1] op_sel_hi:[1,0,0]
	v_mov_b32_e32 v11, v5
	v_pk_mul_f32 v[4:5], v[6:7], v[2:3] op_sel:[0,1]
	s_delay_alu instid0(VALU_DEP_1) | instskip(SKIP_1) | instid1(VALU_DEP_1)
	v_pk_fma_f32 v[8:9], v[6:7], v[0:1], v[4:5] op_sel:[0,0,1] op_sel_hi:[1,1,0] neg_lo:[0,0,1] neg_hi:[0,0,1]
	v_pk_fma_f32 v[4:5], v[6:7], v[0:1], v[4:5] op_sel:[0,0,1] op_sel_hi:[1,0,0]
	v_mov_b32_e32 v9, v5
	ds_load_2addr_b64 v[4:7], v154 offset0:49 offset1:50
	v_pk_add_f32 v[190:191], v[190:191], v[10:11] neg_lo:[0,1] neg_hi:[0,1]
	v_pk_add_f32 v[216:217], v[216:217], v[8:9] neg_lo:[0,1] neg_hi:[0,1]
	s_wait_dscnt 0x0
	v_dual_mul_f32 v8, v5, v3 :: v_dual_mul_f32 v10, v5, v0
	s_delay_alu instid0(VALU_DEP_1) | instskip(NEXT) | instid1(VALU_DEP_2)
	v_pk_fma_f32 v[8:9], v[4:5], v[54:55], v[8:9] op_sel_hi:[1,1,0] neg_lo:[0,0,1] neg_hi:[0,0,1]
	v_pk_fma_f32 v[4:5], v[4:5], v[54:55], v[10:11] op_sel:[1,0,0] op_sel_hi:[0,1,0]
	s_delay_alu instid0(VALU_DEP_1) | instskip(SKIP_1) | instid1(VALU_DEP_2)
	v_mov_b32_e32 v9, v5
	v_pk_mul_f32 v[4:5], v[6:7], v[2:3] op_sel:[0,1]
	v_pk_add_f32 v[210:211], v[210:211], v[8:9] neg_lo:[0,1] neg_hi:[0,1]
	s_delay_alu instid0(VALU_DEP_2) | instskip(SKIP_1) | instid1(VALU_DEP_1)
	v_pk_fma_f32 v[8:9], v[6:7], v[0:1], v[4:5] op_sel:[0,0,1] op_sel_hi:[1,1,0] neg_lo:[0,0,1] neg_hi:[0,0,1]
	v_pk_fma_f32 v[4:5], v[6:7], v[0:1], v[4:5] op_sel:[0,0,1] op_sel_hi:[1,0,0]
	v_mov_b32_e32 v9, v5
	ds_load_2addr_b64 v[4:7], v154 offset0:51 offset1:52
	v_pk_add_f32 v[214:215], v[214:215], v[8:9] neg_lo:[0,1] neg_hi:[0,1]
	s_wait_dscnt 0x0
	v_pk_mul_f32 v[8:9], v[4:5], v[2:3] op_sel:[0,1]
	s_delay_alu instid0(VALU_DEP_1) | instskip(SKIP_1) | instid1(VALU_DEP_1)
	v_pk_fma_f32 v[10:11], v[4:5], v[0:1], v[8:9] op_sel:[0,0,1] op_sel_hi:[1,1,0] neg_lo:[0,0,1] neg_hi:[0,0,1]
	v_pk_fma_f32 v[4:5], v[4:5], v[0:1], v[8:9] op_sel:[0,0,1] op_sel_hi:[1,0,0]
	v_mov_b32_e32 v11, v5
	v_pk_mul_f32 v[4:5], v[6:7], v[2:3] op_sel:[0,1]
	s_delay_alu instid0(VALU_DEP_2) | instskip(NEXT) | instid1(VALU_DEP_2)
	v_pk_add_f32 v[208:209], v[208:209], v[10:11] neg_lo:[0,1] neg_hi:[0,1]
	v_pk_fma_f32 v[8:9], v[6:7], v[0:1], v[4:5] op_sel:[0,0,1] op_sel_hi:[1,1,0] neg_lo:[0,0,1] neg_hi:[0,0,1]
	v_pk_fma_f32 v[4:5], v[6:7], v[0:1], v[4:5] op_sel:[0,0,1] op_sel_hi:[1,0,0]
	s_delay_alu instid0(VALU_DEP_1)
	v_mov_b32_e32 v9, v5
	ds_load_2addr_b64 v[4:7], v154 offset0:53 offset1:54
	v_pk_add_f32 v[212:213], v[212:213], v[8:9] neg_lo:[0,1] neg_hi:[0,1]
	s_wait_dscnt 0x0
	v_pk_mul_f32 v[8:9], v[4:5], v[2:3] op_sel:[0,1]
	v_mul_f32_e32 v2, v7, v3
	s_delay_alu instid0(VALU_DEP_2) | instskip(SKIP_2) | instid1(VALU_DEP_4)
	v_pk_fma_f32 v[10:11], v[4:5], v[0:1], v[8:9] op_sel:[0,0,1] op_sel_hi:[1,1,0] neg_lo:[0,0,1] neg_hi:[0,0,1]
	v_pk_fma_f32 v[4:5], v[4:5], v[0:1], v[8:9] op_sel:[0,0,1] op_sel_hi:[1,0,0]
	v_dual_mov_b32 v4, v7 :: v_dual_mul_f32 v0, v7, v0
	v_pk_fma_f32 v[2:3], v[6:7], v[54:55], v[2:3] op_sel_hi:[1,1,0] neg_lo:[0,0,1] neg_hi:[0,0,1]
	s_delay_alu instid0(VALU_DEP_3) | instskip(NEXT) | instid1(VALU_DEP_1)
	v_dual_mov_b32 v11, v5 :: v_dual_mov_b32 v5, v6
	v_pk_add_f32 v[218:219], v[218:219], v[10:11] neg_lo:[0,1] neg_hi:[0,1]
	s_delay_alu instid0(VALU_DEP_2) | instskip(NEXT) | instid1(VALU_DEP_1)
	v_pk_fma_f32 v[0:1], v[4:5], v[54:55], v[0:1] op_sel_hi:[1,1,0]
	v_mov_b32_e32 v3, v1
	s_delay_alu instid0(VALU_DEP_1)
	v_pk_add_f32 v[220:221], v[220:221], v[2:3] neg_lo:[0,1] neg_hi:[0,1]
.LBB109_10:
	s_wait_xcnt 0x0
	s_or_b32 exec_lo, exec_lo, s2
	s_delay_alu instid0(SALU_CYCLE_1)
	s_mov_b32 s2, exec_lo
	s_wait_storecnt 0x0
	s_barrier_signal -1
	s_barrier_wait -1
	v_cmpx_eq_u32_e32 1, v152
	s_cbranch_execz .LBB109_17
; %bb.11:
	v_dual_mov_b32 v0, v46 :: v_dual_mov_b32 v1, v47
	v_dual_mov_b32 v2, v44 :: v_dual_mov_b32 v3, v45
	;; [unrolled: 1-line block ×4, first 2 shown]
	ds_store_b64 v153, v[56:57]
	ds_store_2addr_b64 v154, v[0:1], v[2:3] offset0:2 offset1:3
	ds_store_2addr_b64 v154, v[4:5], v[6:7] offset0:4 offset1:5
	v_dual_mov_b32 v0, v24 :: v_dual_mov_b32 v1, v25
	v_dual_mov_b32 v2, v20 :: v_dual_mov_b32 v3, v21
	v_dual_mov_b32 v4, v40 :: v_dual_mov_b32 v5, v41
	v_dual_mov_b32 v6, v36 :: v_dual_mov_b32 v7, v37
	v_dual_mov_b32 v8, v38 :: v_dual_mov_b32 v9, v39
	v_dual_mov_b32 v10, v34 :: v_dual_mov_b32 v11, v35
	v_dual_mov_b32 v12, v64 :: v_dual_mov_b32 v13, v65
	v_dual_mov_b32 v14, v60 :: v_dual_mov_b32 v15, v61
	v_dual_mov_b32 v18, v62 :: v_dual_mov_b32 v19, v63
	v_dual_mov_b32 v28, v58 :: v_dual_mov_b32 v29, v59
	v_dual_mov_b32 v30, v80 :: v_dual_mov_b32 v31, v81
	v_dual_mov_b32 v32, v76 :: v_dual_mov_b32 v33, v77
	ds_store_2addr_b64 v154, v[0:1], v[2:3] offset0:6 offset1:7
	ds_store_2addr_b64 v154, v[4:5], v[6:7] offset0:8 offset1:9
	ds_store_2addr_b64 v154, v[8:9], v[10:11] offset0:10 offset1:11
	ds_store_2addr_b64 v154, v[12:13], v[14:15] offset0:12 offset1:13
	ds_store_2addr_b64 v154, v[18:19], v[28:29] offset0:14 offset1:15
	ds_store_2addr_b64 v154, v[30:31], v[32:33] offset0:16 offset1:17
	v_dual_mov_b32 v0, v78 :: v_dual_mov_b32 v1, v79
	v_dual_mov_b32 v2, v74 :: v_dual_mov_b32 v3, v75
	v_dual_mov_b32 v4, v96 :: v_dual_mov_b32 v5, v97
	v_dual_mov_b32 v6, v92 :: v_dual_mov_b32 v7, v93
	v_dual_mov_b32 v8, v94 :: v_dual_mov_b32 v9, v95
	v_dual_mov_b32 v10, v90 :: v_dual_mov_b32 v11, v91
	v_dual_mov_b32 v12, v114 :: v_dual_mov_b32 v13, v115
	v_dual_mov_b32 v14, v110 :: v_dual_mov_b32 v15, v111
	v_dual_mov_b32 v18, v112 :: v_dual_mov_b32 v19, v113
	v_dual_mov_b32 v28, v108 :: v_dual_mov_b32 v29, v109
	v_dual_mov_b32 v30, v130 :: v_dual_mov_b32 v31, v131
	v_dual_mov_b32 v32, v126 :: v_dual_mov_b32 v33, v127
	ds_store_2addr_b64 v154, v[0:1], v[2:3] offset0:18 offset1:19
	ds_store_2addr_b64 v154, v[4:5], v[6:7] offset0:20 offset1:21
	ds_store_2addr_b64 v154, v[8:9], v[10:11] offset0:22 offset1:23
	ds_store_2addr_b64 v154, v[12:13], v[14:15] offset0:24 offset1:25
	;; [unrolled: 18-line block ×4, first 2 shown]
	ds_store_2addr_b64 v154, v[18:19], v[28:29] offset0:50 offset1:51
	ds_store_2addr_b64 v154, v[30:31], v[32:33] offset0:52 offset1:53
	ds_store_b64 v154, v[220:221] offset:432
	ds_load_b64 v[0:1], v153
	s_wait_dscnt 0x0
	v_cmp_neq_f32_e32 vcc_lo, 0, v0
	v_cmp_neq_f32_e64 s1, 0, v1
	s_or_b32 s1, vcc_lo, s1
	s_delay_alu instid0(SALU_CYCLE_1)
	s_and_b32 exec_lo, exec_lo, s1
	s_cbranch_execz .LBB109_17
; %bb.12:
	v_cmp_ngt_f32_e64 s1, |v0|, |v1|
                                        ; implicit-def: $vgpr2_vgpr3
	s_and_saveexec_b32 s4, s1
	s_delay_alu instid0(SALU_CYCLE_1)
	s_xor_b32 s1, exec_lo, s4
	s_cbranch_execz .LBB109_14
; %bb.13:
	v_div_scale_f32 v2, null, v1, v1, v0
	v_div_scale_f32 v5, vcc_lo, v0, v1, v0
	s_delay_alu instid0(VALU_DEP_2) | instskip(SKIP_1) | instid1(TRANS32_DEP_1)
	v_rcp_f32_e32 v3, v2
	v_nop
	v_fma_f32 v4, -v2, v3, 1.0
	s_delay_alu instid0(VALU_DEP_1) | instskip(NEXT) | instid1(VALU_DEP_1)
	v_fmac_f32_e32 v3, v4, v3
	v_mul_f32_e32 v4, v5, v3
	s_delay_alu instid0(VALU_DEP_1) | instskip(NEXT) | instid1(VALU_DEP_1)
	v_fma_f32 v6, -v2, v4, v5
	v_fmac_f32_e32 v4, v6, v3
	s_delay_alu instid0(VALU_DEP_1) | instskip(NEXT) | instid1(VALU_DEP_1)
	v_fma_f32 v2, -v2, v4, v5
	v_div_fmas_f32 v2, v2, v3, v4
	s_delay_alu instid0(VALU_DEP_1) | instskip(NEXT) | instid1(VALU_DEP_1)
	v_div_fixup_f32 v2, v2, v1, v0
	v_fmac_f32_e32 v1, v0, v2
	s_delay_alu instid0(VALU_DEP_1) | instskip(SKIP_1) | instid1(VALU_DEP_2)
	v_div_scale_f32 v0, null, v1, v1, 1.0
	v_div_scale_f32 v5, vcc_lo, 1.0, v1, 1.0
	v_rcp_f32_e32 v3, v0
	v_nop
	s_delay_alu instid0(TRANS32_DEP_1) | instskip(NEXT) | instid1(VALU_DEP_1)
	v_fma_f32 v4, -v0, v3, 1.0
	v_fmac_f32_e32 v3, v4, v3
	s_delay_alu instid0(VALU_DEP_1) | instskip(NEXT) | instid1(VALU_DEP_1)
	v_mul_f32_e32 v4, v5, v3
	v_fma_f32 v6, -v0, v4, v5
	s_delay_alu instid0(VALU_DEP_1) | instskip(NEXT) | instid1(VALU_DEP_1)
	v_fmac_f32_e32 v4, v6, v3
	v_fma_f32 v0, -v0, v4, v5
	s_delay_alu instid0(VALU_DEP_1) | instskip(NEXT) | instid1(VALU_DEP_1)
	v_div_fmas_f32 v0, v0, v3, v4
	v_div_fixup_f32 v0, v0, v1, 1.0
	s_delay_alu instid0(VALU_DEP_1)
	v_mul_f32_e32 v2, v2, v0
	v_xor_b32_e32 v3, 0x80000000, v0
                                        ; implicit-def: $vgpr0_vgpr1
.LBB109_14:
	s_and_not1_saveexec_b32 s1, s1
	s_cbranch_execz .LBB109_16
; %bb.15:
	v_div_scale_f32 v2, null, v0, v0, v1
	v_div_scale_f32 v5, vcc_lo, v1, v0, v1
	s_delay_alu instid0(VALU_DEP_2) | instskip(SKIP_1) | instid1(TRANS32_DEP_1)
	v_rcp_f32_e32 v3, v2
	v_nop
	v_fma_f32 v4, -v2, v3, 1.0
	s_delay_alu instid0(VALU_DEP_1) | instskip(NEXT) | instid1(VALU_DEP_1)
	v_fmac_f32_e32 v3, v4, v3
	v_mul_f32_e32 v4, v5, v3
	s_delay_alu instid0(VALU_DEP_1) | instskip(NEXT) | instid1(VALU_DEP_1)
	v_fma_f32 v6, -v2, v4, v5
	v_fmac_f32_e32 v4, v6, v3
	s_delay_alu instid0(VALU_DEP_1) | instskip(NEXT) | instid1(VALU_DEP_1)
	v_fma_f32 v2, -v2, v4, v5
	v_div_fmas_f32 v2, v2, v3, v4
	s_delay_alu instid0(VALU_DEP_1) | instskip(NEXT) | instid1(VALU_DEP_1)
	v_div_fixup_f32 v3, v2, v0, v1
	v_fmac_f32_e32 v0, v1, v3
	s_delay_alu instid0(VALU_DEP_1) | instskip(NEXT) | instid1(VALU_DEP_1)
	v_div_scale_f32 v1, null, v0, v0, 1.0
	v_rcp_f32_e32 v2, v1
	v_nop
	s_delay_alu instid0(TRANS32_DEP_1) | instskip(NEXT) | instid1(VALU_DEP_1)
	v_fma_f32 v4, -v1, v2, 1.0
	v_fmac_f32_e32 v2, v4, v2
	v_div_scale_f32 v4, vcc_lo, 1.0, v0, 1.0
	s_delay_alu instid0(VALU_DEP_1) | instskip(NEXT) | instid1(VALU_DEP_1)
	v_mul_f32_e32 v5, v4, v2
	v_fma_f32 v6, -v1, v5, v4
	s_delay_alu instid0(VALU_DEP_1) | instskip(NEXT) | instid1(VALU_DEP_1)
	v_fmac_f32_e32 v5, v6, v2
	v_fma_f32 v1, -v1, v5, v4
	s_delay_alu instid0(VALU_DEP_1) | instskip(NEXT) | instid1(VALU_DEP_1)
	v_div_fmas_f32 v1, v1, v2, v5
	v_div_fixup_f32 v2, v1, v0, 1.0
	s_delay_alu instid0(VALU_DEP_1)
	v_mul_f32_e64 v3, v3, -v2
.LBB109_16:
	s_or_b32 exec_lo, exec_lo, s1
	ds_store_b64 v153, v[2:3]
.LBB109_17:
	s_or_b32 exec_lo, exec_lo, s2
	s_wait_dscnt 0x0
	s_barrier_signal -1
	s_barrier_wait -1
	ds_load_b64 v[0:1], v153
	s_mov_b32 s1, exec_lo
	s_wait_dscnt 0x0
	scratch_store_b64 off, v[0:1], off offset:216 ; 8-byte Folded Spill
	s_wait_xcnt 0x0
	v_cmpx_lt_u32_e32 1, v152
	s_cbranch_execz .LBB109_19
; %bb.18:
	scratch_load_b64 v[4:5], off, off offset:216 ; 8-byte Folded Reload
	s_wait_loadcnt 0x0
	v_pk_mul_f32 v[2:3], v[4:5], v[56:57] op_sel:[1,1] op_sel_hi:[0,1]
	s_delay_alu instid0(VALU_DEP_1)
	v_pk_fma_f32 v[0:1], v[4:5], v[56:57], v[2:3] op_sel_hi:[1,0,1] neg_lo:[0,0,1] neg_hi:[0,0,1]
	v_pk_fma_f32 v[2:3], v[4:5], v[56:57], v[2:3] op_sel_hi:[1,0,1]
	ds_load_2addr_b64 v[4:7], v154 offset0:2 offset1:3
	v_dual_mov_b32 v56, v0 :: v_dual_mov_b32 v57, v3
	s_wait_dscnt 0x0
	v_pk_mul_f32 v[8:9], v[4:5], v[2:3] op_sel:[0,1]
	s_delay_alu instid0(VALU_DEP_1) | instskip(SKIP_1) | instid1(VALU_DEP_1)
	v_pk_fma_f32 v[10:11], v[4:5], v[0:1], v[8:9] op_sel:[0,0,1] op_sel_hi:[1,1,0] neg_lo:[0,0,1] neg_hi:[0,0,1]
	v_pk_fma_f32 v[4:5], v[4:5], v[0:1], v[8:9] op_sel:[0,0,1] op_sel_hi:[1,0,0]
	v_mov_b32_e32 v11, v5
	v_pk_mul_f32 v[4:5], v[6:7], v[2:3] op_sel:[0,1]
	s_delay_alu instid0(VALU_DEP_1) | instskip(SKIP_1) | instid1(VALU_DEP_1)
	v_pk_fma_f32 v[8:9], v[6:7], v[0:1], v[4:5] op_sel:[0,0,1] op_sel_hi:[1,1,0] neg_lo:[0,0,1] neg_hi:[0,0,1]
	v_pk_fma_f32 v[4:5], v[6:7], v[0:1], v[4:5] op_sel:[0,0,1] op_sel_hi:[1,0,0]
	v_mov_b32_e32 v9, v5
	ds_load_2addr_b64 v[4:7], v154 offset0:4 offset1:5
	v_pk_add_f32 v[46:47], v[46:47], v[10:11] neg_lo:[0,1] neg_hi:[0,1]
	v_pk_add_f32 v[44:45], v[44:45], v[8:9] neg_lo:[0,1] neg_hi:[0,1]
	s_wait_dscnt 0x0
	v_pk_mul_f32 v[8:9], v[4:5], v[2:3] op_sel:[0,1]
	s_delay_alu instid0(VALU_DEP_1) | instskip(SKIP_2) | instid1(VALU_DEP_2)
	v_pk_fma_f32 v[10:11], v[4:5], v[0:1], v[8:9] op_sel:[0,0,1] op_sel_hi:[1,1,0] neg_lo:[0,0,1] neg_hi:[0,0,1]
	v_pk_fma_f32 v[4:5], v[4:5], v[0:1], v[8:9] op_sel:[0,0,1] op_sel_hi:[1,0,0]
	v_dual_mul_f32 v8, v7, v3 :: v_dual_mov_b32 v4, v7
	v_dual_mov_b32 v11, v5 :: v_dual_mov_b32 v5, v6
	s_delay_alu instid0(VALU_DEP_2) | instskip(SKIP_1) | instid1(VALU_DEP_3)
	v_pk_fma_f32 v[8:9], v[6:7], v[56:57], v[8:9] op_sel_hi:[1,1,0] neg_lo:[0,0,1] neg_hi:[0,0,1]
	v_mul_f32_e32 v6, v7, v0
	v_pk_add_f32 v[26:27], v[26:27], v[10:11] neg_lo:[0,1] neg_hi:[0,1]
	s_delay_alu instid0(VALU_DEP_2) | instskip(NEXT) | instid1(VALU_DEP_1)
	v_pk_fma_f32 v[4:5], v[4:5], v[56:57], v[6:7] op_sel_hi:[1,1,0]
	v_mov_b32_e32 v9, v5
	ds_load_2addr_b64 v[4:7], v154 offset0:6 offset1:7
	v_pk_add_f32 v[22:23], v[22:23], v[8:9] neg_lo:[0,1] neg_hi:[0,1]
	s_wait_dscnt 0x0
	v_pk_mul_f32 v[8:9], v[4:5], v[2:3] op_sel:[0,1]
	s_delay_alu instid0(VALU_DEP_1) | instskip(SKIP_1) | instid1(VALU_DEP_1)
	v_pk_fma_f32 v[10:11], v[4:5], v[0:1], v[8:9] op_sel:[0,0,1] op_sel_hi:[1,1,0] neg_lo:[0,0,1] neg_hi:[0,0,1]
	v_pk_fma_f32 v[4:5], v[4:5], v[0:1], v[8:9] op_sel:[0,0,1] op_sel_hi:[1,0,0]
	v_mov_b32_e32 v11, v5
	v_pk_mul_f32 v[4:5], v[6:7], v[2:3] op_sel:[0,1]
	s_delay_alu instid0(VALU_DEP_1) | instskip(SKIP_1) | instid1(VALU_DEP_1)
	v_pk_fma_f32 v[8:9], v[6:7], v[0:1], v[4:5] op_sel:[0,0,1] op_sel_hi:[1,1,0] neg_lo:[0,0,1] neg_hi:[0,0,1]
	v_pk_fma_f32 v[4:5], v[6:7], v[0:1], v[4:5] op_sel:[0,0,1] op_sel_hi:[1,0,0]
	v_mov_b32_e32 v9, v5
	ds_load_2addr_b64 v[4:7], v154 offset0:8 offset1:9
	v_pk_add_f32 v[24:25], v[24:25], v[10:11] neg_lo:[0,1] neg_hi:[0,1]
	v_pk_add_f32 v[20:21], v[20:21], v[8:9] neg_lo:[0,1] neg_hi:[0,1]
	s_wait_dscnt 0x0
	v_pk_mul_f32 v[8:9], v[4:5], v[2:3] op_sel:[0,1]
	s_delay_alu instid0(VALU_DEP_1) | instskip(SKIP_1) | instid1(VALU_DEP_1)
	v_pk_fma_f32 v[10:11], v[4:5], v[0:1], v[8:9] op_sel:[0,0,1] op_sel_hi:[1,1,0] neg_lo:[0,0,1] neg_hi:[0,0,1]
	v_pk_fma_f32 v[4:5], v[4:5], v[0:1], v[8:9] op_sel:[0,0,1] op_sel_hi:[1,0,0]
	v_mov_b32_e32 v11, v5
	v_pk_mul_f32 v[4:5], v[6:7], v[2:3] op_sel:[0,1]
	s_delay_alu instid0(VALU_DEP_1) | instskip(SKIP_1) | instid1(VALU_DEP_1)
	v_pk_fma_f32 v[8:9], v[6:7], v[0:1], v[4:5] op_sel:[0,0,1] op_sel_hi:[1,1,0] neg_lo:[0,0,1] neg_hi:[0,0,1]
	v_pk_fma_f32 v[4:5], v[6:7], v[0:1], v[4:5] op_sel:[0,0,1] op_sel_hi:[1,0,0]
	v_mov_b32_e32 v9, v5
	ds_load_2addr_b64 v[4:7], v154 offset0:10 offset1:11
	v_pk_add_f32 v[40:41], v[40:41], v[10:11] neg_lo:[0,1] neg_hi:[0,1]
	v_pk_add_f32 v[36:37], v[36:37], v[8:9] neg_lo:[0,1] neg_hi:[0,1]
	s_wait_dscnt 0x0
	v_dual_mul_f32 v8, v5, v3 :: v_dual_mul_f32 v10, v5, v0
	s_delay_alu instid0(VALU_DEP_1) | instskip(NEXT) | instid1(VALU_DEP_2)
	v_pk_fma_f32 v[8:9], v[4:5], v[56:57], v[8:9] op_sel_hi:[1,1,0] neg_lo:[0,0,1] neg_hi:[0,0,1]
	v_pk_fma_f32 v[4:5], v[4:5], v[56:57], v[10:11] op_sel:[1,0,0] op_sel_hi:[0,1,0]
	s_delay_alu instid0(VALU_DEP_1) | instskip(SKIP_1) | instid1(VALU_DEP_2)
	v_mov_b32_e32 v9, v5
	v_pk_mul_f32 v[4:5], v[6:7], v[2:3] op_sel:[0,1]
	v_pk_add_f32 v[38:39], v[38:39], v[8:9] neg_lo:[0,1] neg_hi:[0,1]
	s_delay_alu instid0(VALU_DEP_2) | instskip(SKIP_1) | instid1(VALU_DEP_1)
	v_pk_fma_f32 v[8:9], v[6:7], v[0:1], v[4:5] op_sel:[0,0,1] op_sel_hi:[1,1,0] neg_lo:[0,0,1] neg_hi:[0,0,1]
	v_pk_fma_f32 v[4:5], v[6:7], v[0:1], v[4:5] op_sel:[0,0,1] op_sel_hi:[1,0,0]
	v_mov_b32_e32 v9, v5
	ds_load_2addr_b64 v[4:7], v154 offset0:12 offset1:13
	v_pk_add_f32 v[34:35], v[34:35], v[8:9] neg_lo:[0,1] neg_hi:[0,1]
	s_wait_dscnt 0x0
	v_pk_mul_f32 v[8:9], v[4:5], v[2:3] op_sel:[0,1]
	s_delay_alu instid0(VALU_DEP_1) | instskip(SKIP_1) | instid1(VALU_DEP_1)
	v_pk_fma_f32 v[10:11], v[4:5], v[0:1], v[8:9] op_sel:[0,0,1] op_sel_hi:[1,1,0] neg_lo:[0,0,1] neg_hi:[0,0,1]
	v_pk_fma_f32 v[4:5], v[4:5], v[0:1], v[8:9] op_sel:[0,0,1] op_sel_hi:[1,0,0]
	v_mov_b32_e32 v11, v5
	v_pk_mul_f32 v[4:5], v[6:7], v[2:3] op_sel:[0,1]
	s_delay_alu instid0(VALU_DEP_2) | instskip(NEXT) | instid1(VALU_DEP_2)
	v_pk_add_f32 v[64:65], v[64:65], v[10:11] neg_lo:[0,1] neg_hi:[0,1]
	v_pk_fma_f32 v[8:9], v[6:7], v[0:1], v[4:5] op_sel:[0,0,1] op_sel_hi:[1,1,0] neg_lo:[0,0,1] neg_hi:[0,0,1]
	v_pk_fma_f32 v[4:5], v[6:7], v[0:1], v[4:5] op_sel:[0,0,1] op_sel_hi:[1,0,0]
	s_delay_alu instid0(VALU_DEP_1) | instskip(SKIP_4) | instid1(VALU_DEP_1)
	v_mov_b32_e32 v9, v5
	ds_load_2addr_b64 v[4:7], v154 offset0:14 offset1:15
	v_pk_add_f32 v[60:61], v[60:61], v[8:9] neg_lo:[0,1] neg_hi:[0,1]
	s_wait_dscnt 0x0
	v_pk_mul_f32 v[8:9], v[4:5], v[2:3] op_sel:[0,1]
	v_pk_fma_f32 v[10:11], v[4:5], v[0:1], v[8:9] op_sel:[0,0,1] op_sel_hi:[1,1,0] neg_lo:[0,0,1] neg_hi:[0,0,1]
	v_pk_fma_f32 v[4:5], v[4:5], v[0:1], v[8:9] op_sel:[0,0,1] op_sel_hi:[1,0,0]
	v_dual_mul_f32 v8, v7, v3 :: v_dual_mov_b32 v4, v7
	s_delay_alu instid0(VALU_DEP_2) | instskip(NEXT) | instid1(VALU_DEP_2)
	v_dual_mov_b32 v11, v5 :: v_dual_mov_b32 v5, v6
	v_pk_fma_f32 v[8:9], v[6:7], v[56:57], v[8:9] op_sel_hi:[1,1,0] neg_lo:[0,0,1] neg_hi:[0,0,1]
	v_mul_f32_e32 v6, v7, v0
	s_delay_alu instid0(VALU_DEP_3) | instskip(NEXT) | instid1(VALU_DEP_2)
	v_pk_add_f32 v[62:63], v[62:63], v[10:11] neg_lo:[0,1] neg_hi:[0,1]
	v_pk_fma_f32 v[4:5], v[4:5], v[56:57], v[6:7] op_sel_hi:[1,1,0]
	s_delay_alu instid0(VALU_DEP_1) | instskip(SKIP_4) | instid1(VALU_DEP_1)
	v_mov_b32_e32 v9, v5
	ds_load_2addr_b64 v[4:7], v154 offset0:16 offset1:17
	v_pk_add_f32 v[58:59], v[58:59], v[8:9] neg_lo:[0,1] neg_hi:[0,1]
	s_wait_dscnt 0x0
	v_pk_mul_f32 v[8:9], v[4:5], v[2:3] op_sel:[0,1]
	v_pk_fma_f32 v[10:11], v[4:5], v[0:1], v[8:9] op_sel:[0,0,1] op_sel_hi:[1,1,0] neg_lo:[0,0,1] neg_hi:[0,0,1]
	v_pk_fma_f32 v[4:5], v[4:5], v[0:1], v[8:9] op_sel:[0,0,1] op_sel_hi:[1,0,0]
	s_delay_alu instid0(VALU_DEP_1) | instskip(SKIP_1) | instid1(VALU_DEP_1)
	v_mov_b32_e32 v11, v5
	v_pk_mul_f32 v[4:5], v[6:7], v[2:3] op_sel:[0,1]
	v_pk_fma_f32 v[8:9], v[6:7], v[0:1], v[4:5] op_sel:[0,0,1] op_sel_hi:[1,1,0] neg_lo:[0,0,1] neg_hi:[0,0,1]
	v_pk_fma_f32 v[4:5], v[6:7], v[0:1], v[4:5] op_sel:[0,0,1] op_sel_hi:[1,0,0]
	s_delay_alu instid0(VALU_DEP_1)
	v_mov_b32_e32 v9, v5
	ds_load_2addr_b64 v[4:7], v154 offset0:18 offset1:19
	v_pk_add_f32 v[80:81], v[80:81], v[10:11] neg_lo:[0,1] neg_hi:[0,1]
	v_pk_add_f32 v[76:77], v[76:77], v[8:9] neg_lo:[0,1] neg_hi:[0,1]
	s_wait_dscnt 0x0
	v_pk_mul_f32 v[8:9], v[4:5], v[2:3] op_sel:[0,1]
	s_delay_alu instid0(VALU_DEP_1) | instskip(SKIP_1) | instid1(VALU_DEP_1)
	v_pk_fma_f32 v[10:11], v[4:5], v[0:1], v[8:9] op_sel:[0,0,1] op_sel_hi:[1,1,0] neg_lo:[0,0,1] neg_hi:[0,0,1]
	v_pk_fma_f32 v[4:5], v[4:5], v[0:1], v[8:9] op_sel:[0,0,1] op_sel_hi:[1,0,0]
	v_mov_b32_e32 v11, v5
	v_pk_mul_f32 v[4:5], v[6:7], v[2:3] op_sel:[0,1]
	s_delay_alu instid0(VALU_DEP_1) | instskip(SKIP_1) | instid1(VALU_DEP_1)
	v_pk_fma_f32 v[8:9], v[6:7], v[0:1], v[4:5] op_sel:[0,0,1] op_sel_hi:[1,1,0] neg_lo:[0,0,1] neg_hi:[0,0,1]
	v_pk_fma_f32 v[4:5], v[6:7], v[0:1], v[4:5] op_sel:[0,0,1] op_sel_hi:[1,0,0]
	v_mov_b32_e32 v9, v5
	ds_load_2addr_b64 v[4:7], v154 offset0:20 offset1:21
	v_pk_add_f32 v[78:79], v[78:79], v[10:11] neg_lo:[0,1] neg_hi:[0,1]
	v_pk_add_f32 v[74:75], v[74:75], v[8:9] neg_lo:[0,1] neg_hi:[0,1]
	s_wait_dscnt 0x0
	v_dual_mul_f32 v8, v5, v3 :: v_dual_mul_f32 v10, v5, v0
	s_delay_alu instid0(VALU_DEP_1) | instskip(NEXT) | instid1(VALU_DEP_2)
	v_pk_fma_f32 v[8:9], v[4:5], v[56:57], v[8:9] op_sel_hi:[1,1,0] neg_lo:[0,0,1] neg_hi:[0,0,1]
	v_pk_fma_f32 v[4:5], v[4:5], v[56:57], v[10:11] op_sel:[1,0,0] op_sel_hi:[0,1,0]
	s_delay_alu instid0(VALU_DEP_1) | instskip(SKIP_1) | instid1(VALU_DEP_2)
	v_mov_b32_e32 v9, v5
	v_pk_mul_f32 v[4:5], v[6:7], v[2:3] op_sel:[0,1]
	v_pk_add_f32 v[96:97], v[96:97], v[8:9] neg_lo:[0,1] neg_hi:[0,1]
	s_delay_alu instid0(VALU_DEP_2) | instskip(SKIP_1) | instid1(VALU_DEP_1)
	v_pk_fma_f32 v[8:9], v[6:7], v[0:1], v[4:5] op_sel:[0,0,1] op_sel_hi:[1,1,0] neg_lo:[0,0,1] neg_hi:[0,0,1]
	v_pk_fma_f32 v[4:5], v[6:7], v[0:1], v[4:5] op_sel:[0,0,1] op_sel_hi:[1,0,0]
	v_mov_b32_e32 v9, v5
	ds_load_2addr_b64 v[4:7], v154 offset0:22 offset1:23
	v_pk_add_f32 v[92:93], v[92:93], v[8:9] neg_lo:[0,1] neg_hi:[0,1]
	s_wait_dscnt 0x0
	v_pk_mul_f32 v[8:9], v[4:5], v[2:3] op_sel:[0,1]
	s_delay_alu instid0(VALU_DEP_1) | instskip(SKIP_1) | instid1(VALU_DEP_1)
	v_pk_fma_f32 v[10:11], v[4:5], v[0:1], v[8:9] op_sel:[0,0,1] op_sel_hi:[1,1,0] neg_lo:[0,0,1] neg_hi:[0,0,1]
	v_pk_fma_f32 v[4:5], v[4:5], v[0:1], v[8:9] op_sel:[0,0,1] op_sel_hi:[1,0,0]
	v_mov_b32_e32 v11, v5
	v_pk_mul_f32 v[4:5], v[6:7], v[2:3] op_sel:[0,1]
	s_delay_alu instid0(VALU_DEP_2) | instskip(NEXT) | instid1(VALU_DEP_2)
	v_pk_add_f32 v[94:95], v[94:95], v[10:11] neg_lo:[0,1] neg_hi:[0,1]
	v_pk_fma_f32 v[8:9], v[6:7], v[0:1], v[4:5] op_sel:[0,0,1] op_sel_hi:[1,1,0] neg_lo:[0,0,1] neg_hi:[0,0,1]
	v_pk_fma_f32 v[4:5], v[6:7], v[0:1], v[4:5] op_sel:[0,0,1] op_sel_hi:[1,0,0]
	s_delay_alu instid0(VALU_DEP_1) | instskip(SKIP_4) | instid1(VALU_DEP_1)
	v_mov_b32_e32 v9, v5
	ds_load_2addr_b64 v[4:7], v154 offset0:24 offset1:25
	v_pk_add_f32 v[90:91], v[90:91], v[8:9] neg_lo:[0,1] neg_hi:[0,1]
	s_wait_dscnt 0x0
	v_pk_mul_f32 v[8:9], v[4:5], v[2:3] op_sel:[0,1]
	v_pk_fma_f32 v[10:11], v[4:5], v[0:1], v[8:9] op_sel:[0,0,1] op_sel_hi:[1,1,0] neg_lo:[0,0,1] neg_hi:[0,0,1]
	v_pk_fma_f32 v[4:5], v[4:5], v[0:1], v[8:9] op_sel:[0,0,1] op_sel_hi:[1,0,0]
	v_dual_mul_f32 v8, v7, v3 :: v_dual_mov_b32 v4, v7
	s_delay_alu instid0(VALU_DEP_2) | instskip(NEXT) | instid1(VALU_DEP_2)
	v_dual_mov_b32 v11, v5 :: v_dual_mov_b32 v5, v6
	v_pk_fma_f32 v[8:9], v[6:7], v[56:57], v[8:9] op_sel_hi:[1,1,0] neg_lo:[0,0,1] neg_hi:[0,0,1]
	v_mul_f32_e32 v6, v7, v0
	s_delay_alu instid0(VALU_DEP_3) | instskip(NEXT) | instid1(VALU_DEP_2)
	v_pk_add_f32 v[114:115], v[114:115], v[10:11] neg_lo:[0,1] neg_hi:[0,1]
	v_pk_fma_f32 v[4:5], v[4:5], v[56:57], v[6:7] op_sel_hi:[1,1,0]
	s_delay_alu instid0(VALU_DEP_1) | instskip(SKIP_4) | instid1(VALU_DEP_1)
	v_mov_b32_e32 v9, v5
	ds_load_2addr_b64 v[4:7], v154 offset0:26 offset1:27
	v_pk_add_f32 v[110:111], v[110:111], v[8:9] neg_lo:[0,1] neg_hi:[0,1]
	s_wait_dscnt 0x0
	v_pk_mul_f32 v[8:9], v[4:5], v[2:3] op_sel:[0,1]
	v_pk_fma_f32 v[10:11], v[4:5], v[0:1], v[8:9] op_sel:[0,0,1] op_sel_hi:[1,1,0] neg_lo:[0,0,1] neg_hi:[0,0,1]
	v_pk_fma_f32 v[4:5], v[4:5], v[0:1], v[8:9] op_sel:[0,0,1] op_sel_hi:[1,0,0]
	s_delay_alu instid0(VALU_DEP_1) | instskip(SKIP_1) | instid1(VALU_DEP_1)
	v_mov_b32_e32 v11, v5
	v_pk_mul_f32 v[4:5], v[6:7], v[2:3] op_sel:[0,1]
	v_pk_fma_f32 v[8:9], v[6:7], v[0:1], v[4:5] op_sel:[0,0,1] op_sel_hi:[1,1,0] neg_lo:[0,0,1] neg_hi:[0,0,1]
	v_pk_fma_f32 v[4:5], v[6:7], v[0:1], v[4:5] op_sel:[0,0,1] op_sel_hi:[1,0,0]
	s_delay_alu instid0(VALU_DEP_1)
	v_mov_b32_e32 v9, v5
	ds_load_2addr_b64 v[4:7], v154 offset0:28 offset1:29
	v_pk_add_f32 v[112:113], v[112:113], v[10:11] neg_lo:[0,1] neg_hi:[0,1]
	v_pk_add_f32 v[108:109], v[108:109], v[8:9] neg_lo:[0,1] neg_hi:[0,1]
	s_wait_dscnt 0x0
	v_pk_mul_f32 v[8:9], v[4:5], v[2:3] op_sel:[0,1]
	s_delay_alu instid0(VALU_DEP_1) | instskip(SKIP_1) | instid1(VALU_DEP_1)
	v_pk_fma_f32 v[10:11], v[4:5], v[0:1], v[8:9] op_sel:[0,0,1] op_sel_hi:[1,1,0] neg_lo:[0,0,1] neg_hi:[0,0,1]
	v_pk_fma_f32 v[4:5], v[4:5], v[0:1], v[8:9] op_sel:[0,0,1] op_sel_hi:[1,0,0]
	v_mov_b32_e32 v11, v5
	v_pk_mul_f32 v[4:5], v[6:7], v[2:3] op_sel:[0,1]
	s_delay_alu instid0(VALU_DEP_1) | instskip(SKIP_1) | instid1(VALU_DEP_1)
	v_pk_fma_f32 v[8:9], v[6:7], v[0:1], v[4:5] op_sel:[0,0,1] op_sel_hi:[1,1,0] neg_lo:[0,0,1] neg_hi:[0,0,1]
	v_pk_fma_f32 v[4:5], v[6:7], v[0:1], v[4:5] op_sel:[0,0,1] op_sel_hi:[1,0,0]
	v_mov_b32_e32 v9, v5
	ds_load_2addr_b64 v[4:7], v154 offset0:30 offset1:31
	v_pk_add_f32 v[130:131], v[130:131], v[10:11] neg_lo:[0,1] neg_hi:[0,1]
	v_pk_add_f32 v[126:127], v[126:127], v[8:9] neg_lo:[0,1] neg_hi:[0,1]
	s_wait_dscnt 0x0
	v_dual_mul_f32 v8, v5, v3 :: v_dual_mul_f32 v10, v5, v0
	s_delay_alu instid0(VALU_DEP_1) | instskip(NEXT) | instid1(VALU_DEP_2)
	v_pk_fma_f32 v[8:9], v[4:5], v[56:57], v[8:9] op_sel_hi:[1,1,0] neg_lo:[0,0,1] neg_hi:[0,0,1]
	v_pk_fma_f32 v[4:5], v[4:5], v[56:57], v[10:11] op_sel:[1,0,0] op_sel_hi:[0,1,0]
	s_delay_alu instid0(VALU_DEP_1) | instskip(SKIP_1) | instid1(VALU_DEP_2)
	v_mov_b32_e32 v9, v5
	v_pk_mul_f32 v[4:5], v[6:7], v[2:3] op_sel:[0,1]
	v_pk_add_f32 v[128:129], v[128:129], v[8:9] neg_lo:[0,1] neg_hi:[0,1]
	s_delay_alu instid0(VALU_DEP_2) | instskip(SKIP_1) | instid1(VALU_DEP_1)
	v_pk_fma_f32 v[8:9], v[6:7], v[0:1], v[4:5] op_sel:[0,0,1] op_sel_hi:[1,1,0] neg_lo:[0,0,1] neg_hi:[0,0,1]
	v_pk_fma_f32 v[4:5], v[6:7], v[0:1], v[4:5] op_sel:[0,0,1] op_sel_hi:[1,0,0]
	v_mov_b32_e32 v9, v5
	ds_load_2addr_b64 v[4:7], v154 offset0:32 offset1:33
	v_pk_add_f32 v[124:125], v[124:125], v[8:9] neg_lo:[0,1] neg_hi:[0,1]
	s_wait_dscnt 0x0
	v_pk_mul_f32 v[8:9], v[4:5], v[2:3] op_sel:[0,1]
	s_delay_alu instid0(VALU_DEP_1) | instskip(SKIP_1) | instid1(VALU_DEP_1)
	v_pk_fma_f32 v[10:11], v[4:5], v[0:1], v[8:9] op_sel:[0,0,1] op_sel_hi:[1,1,0] neg_lo:[0,0,1] neg_hi:[0,0,1]
	v_pk_fma_f32 v[4:5], v[4:5], v[0:1], v[8:9] op_sel:[0,0,1] op_sel_hi:[1,0,0]
	v_mov_b32_e32 v11, v5
	v_pk_mul_f32 v[4:5], v[6:7], v[2:3] op_sel:[0,1]
	s_delay_alu instid0(VALU_DEP_2) | instskip(NEXT) | instid1(VALU_DEP_2)
	v_pk_add_f32 v[146:147], v[146:147], v[10:11] neg_lo:[0,1] neg_hi:[0,1]
	v_pk_fma_f32 v[8:9], v[6:7], v[0:1], v[4:5] op_sel:[0,0,1] op_sel_hi:[1,1,0] neg_lo:[0,0,1] neg_hi:[0,0,1]
	v_pk_fma_f32 v[4:5], v[6:7], v[0:1], v[4:5] op_sel:[0,0,1] op_sel_hi:[1,0,0]
	s_delay_alu instid0(VALU_DEP_1) | instskip(SKIP_4) | instid1(VALU_DEP_1)
	v_mov_b32_e32 v9, v5
	ds_load_2addr_b64 v[4:7], v154 offset0:34 offset1:35
	v_pk_add_f32 v[142:143], v[142:143], v[8:9] neg_lo:[0,1] neg_hi:[0,1]
	s_wait_dscnt 0x0
	v_pk_mul_f32 v[8:9], v[4:5], v[2:3] op_sel:[0,1]
	v_pk_fma_f32 v[10:11], v[4:5], v[0:1], v[8:9] op_sel:[0,0,1] op_sel_hi:[1,1,0] neg_lo:[0,0,1] neg_hi:[0,0,1]
	v_pk_fma_f32 v[4:5], v[4:5], v[0:1], v[8:9] op_sel:[0,0,1] op_sel_hi:[1,0,0]
	v_dual_mul_f32 v8, v7, v3 :: v_dual_mov_b32 v4, v7
	s_delay_alu instid0(VALU_DEP_2) | instskip(NEXT) | instid1(VALU_DEP_2)
	v_dual_mov_b32 v11, v5 :: v_dual_mov_b32 v5, v6
	v_pk_fma_f32 v[8:9], v[6:7], v[56:57], v[8:9] op_sel_hi:[1,1,0] neg_lo:[0,0,1] neg_hi:[0,0,1]
	v_mul_f32_e32 v6, v7, v0
	s_delay_alu instid0(VALU_DEP_3) | instskip(NEXT) | instid1(VALU_DEP_2)
	v_pk_add_f32 v[144:145], v[144:145], v[10:11] neg_lo:[0,1] neg_hi:[0,1]
	v_pk_fma_f32 v[4:5], v[4:5], v[56:57], v[6:7] op_sel_hi:[1,1,0]
	s_delay_alu instid0(VALU_DEP_1) | instskip(SKIP_4) | instid1(VALU_DEP_1)
	v_mov_b32_e32 v9, v5
	ds_load_2addr_b64 v[4:7], v154 offset0:36 offset1:37
	v_pk_add_f32 v[140:141], v[140:141], v[8:9] neg_lo:[0,1] neg_hi:[0,1]
	s_wait_dscnt 0x0
	v_pk_mul_f32 v[8:9], v[4:5], v[2:3] op_sel:[0,1]
	v_pk_fma_f32 v[10:11], v[4:5], v[0:1], v[8:9] op_sel:[0,0,1] op_sel_hi:[1,1,0] neg_lo:[0,0,1] neg_hi:[0,0,1]
	v_pk_fma_f32 v[4:5], v[4:5], v[0:1], v[8:9] op_sel:[0,0,1] op_sel_hi:[1,0,0]
	s_delay_alu instid0(VALU_DEP_1) | instskip(SKIP_1) | instid1(VALU_DEP_1)
	v_mov_b32_e32 v11, v5
	v_pk_mul_f32 v[4:5], v[6:7], v[2:3] op_sel:[0,1]
	v_pk_fma_f32 v[8:9], v[6:7], v[0:1], v[4:5] op_sel:[0,0,1] op_sel_hi:[1,1,0] neg_lo:[0,0,1] neg_hi:[0,0,1]
	v_pk_fma_f32 v[4:5], v[6:7], v[0:1], v[4:5] op_sel:[0,0,1] op_sel_hi:[1,0,0]
	s_delay_alu instid0(VALU_DEP_1)
	v_mov_b32_e32 v9, v5
	ds_load_2addr_b64 v[4:7], v154 offset0:38 offset1:39
	v_pk_add_f32 v[162:163], v[162:163], v[10:11] neg_lo:[0,1] neg_hi:[0,1]
	v_pk_add_f32 v[158:159], v[158:159], v[8:9] neg_lo:[0,1] neg_hi:[0,1]
	s_wait_dscnt 0x0
	v_pk_mul_f32 v[8:9], v[4:5], v[2:3] op_sel:[0,1]
	s_delay_alu instid0(VALU_DEP_1) | instskip(SKIP_1) | instid1(VALU_DEP_1)
	v_pk_fma_f32 v[10:11], v[4:5], v[0:1], v[8:9] op_sel:[0,0,1] op_sel_hi:[1,1,0] neg_lo:[0,0,1] neg_hi:[0,0,1]
	v_pk_fma_f32 v[4:5], v[4:5], v[0:1], v[8:9] op_sel:[0,0,1] op_sel_hi:[1,0,0]
	v_mov_b32_e32 v11, v5
	v_pk_mul_f32 v[4:5], v[6:7], v[2:3] op_sel:[0,1]
	s_delay_alu instid0(VALU_DEP_1) | instskip(SKIP_1) | instid1(VALU_DEP_1)
	v_pk_fma_f32 v[8:9], v[6:7], v[0:1], v[4:5] op_sel:[0,0,1] op_sel_hi:[1,1,0] neg_lo:[0,0,1] neg_hi:[0,0,1]
	v_pk_fma_f32 v[4:5], v[6:7], v[0:1], v[4:5] op_sel:[0,0,1] op_sel_hi:[1,0,0]
	v_mov_b32_e32 v9, v5
	ds_load_2addr_b64 v[4:7], v154 offset0:40 offset1:41
	v_pk_add_f32 v[160:161], v[160:161], v[10:11] neg_lo:[0,1] neg_hi:[0,1]
	v_pk_add_f32 v[156:157], v[156:157], v[8:9] neg_lo:[0,1] neg_hi:[0,1]
	s_wait_dscnt 0x0
	v_dual_mul_f32 v8, v5, v3 :: v_dual_mul_f32 v10, v5, v0
	s_delay_alu instid0(VALU_DEP_1) | instskip(NEXT) | instid1(VALU_DEP_2)
	v_pk_fma_f32 v[8:9], v[4:5], v[56:57], v[8:9] op_sel_hi:[1,1,0] neg_lo:[0,0,1] neg_hi:[0,0,1]
	v_pk_fma_f32 v[4:5], v[4:5], v[56:57], v[10:11] op_sel:[1,0,0] op_sel_hi:[0,1,0]
	s_delay_alu instid0(VALU_DEP_1) | instskip(SKIP_1) | instid1(VALU_DEP_2)
	v_mov_b32_e32 v9, v5
	v_pk_mul_f32 v[4:5], v[6:7], v[2:3] op_sel:[0,1]
	v_pk_add_f32 v[178:179], v[178:179], v[8:9] neg_lo:[0,1] neg_hi:[0,1]
	s_delay_alu instid0(VALU_DEP_2) | instskip(SKIP_1) | instid1(VALU_DEP_1)
	v_pk_fma_f32 v[8:9], v[6:7], v[0:1], v[4:5] op_sel:[0,0,1] op_sel_hi:[1,1,0] neg_lo:[0,0,1] neg_hi:[0,0,1]
	v_pk_fma_f32 v[4:5], v[6:7], v[0:1], v[4:5] op_sel:[0,0,1] op_sel_hi:[1,0,0]
	v_mov_b32_e32 v9, v5
	ds_load_2addr_b64 v[4:7], v154 offset0:42 offset1:43
	v_pk_add_f32 v[174:175], v[174:175], v[8:9] neg_lo:[0,1] neg_hi:[0,1]
	s_wait_dscnt 0x0
	v_pk_mul_f32 v[8:9], v[4:5], v[2:3] op_sel:[0,1]
	s_delay_alu instid0(VALU_DEP_1) | instskip(SKIP_1) | instid1(VALU_DEP_1)
	v_pk_fma_f32 v[10:11], v[4:5], v[0:1], v[8:9] op_sel:[0,0,1] op_sel_hi:[1,1,0] neg_lo:[0,0,1] neg_hi:[0,0,1]
	v_pk_fma_f32 v[4:5], v[4:5], v[0:1], v[8:9] op_sel:[0,0,1] op_sel_hi:[1,0,0]
	v_mov_b32_e32 v11, v5
	v_pk_mul_f32 v[4:5], v[6:7], v[2:3] op_sel:[0,1]
	s_delay_alu instid0(VALU_DEP_2) | instskip(NEXT) | instid1(VALU_DEP_2)
	v_pk_add_f32 v[176:177], v[176:177], v[10:11] neg_lo:[0,1] neg_hi:[0,1]
	v_pk_fma_f32 v[8:9], v[6:7], v[0:1], v[4:5] op_sel:[0,0,1] op_sel_hi:[1,1,0] neg_lo:[0,0,1] neg_hi:[0,0,1]
	v_pk_fma_f32 v[4:5], v[6:7], v[0:1], v[4:5] op_sel:[0,0,1] op_sel_hi:[1,0,0]
	s_delay_alu instid0(VALU_DEP_1) | instskip(SKIP_4) | instid1(VALU_DEP_1)
	v_mov_b32_e32 v9, v5
	ds_load_2addr_b64 v[4:7], v154 offset0:44 offset1:45
	v_pk_add_f32 v[172:173], v[172:173], v[8:9] neg_lo:[0,1] neg_hi:[0,1]
	s_wait_dscnt 0x0
	v_pk_mul_f32 v[8:9], v[4:5], v[2:3] op_sel:[0,1]
	v_pk_fma_f32 v[10:11], v[4:5], v[0:1], v[8:9] op_sel:[0,0,1] op_sel_hi:[1,1,0] neg_lo:[0,0,1] neg_hi:[0,0,1]
	v_pk_fma_f32 v[4:5], v[4:5], v[0:1], v[8:9] op_sel:[0,0,1] op_sel_hi:[1,0,0]
	v_dual_mul_f32 v8, v7, v3 :: v_dual_mov_b32 v4, v7
	s_delay_alu instid0(VALU_DEP_2) | instskip(NEXT) | instid1(VALU_DEP_2)
	v_dual_mov_b32 v11, v5 :: v_dual_mov_b32 v5, v6
	v_pk_fma_f32 v[8:9], v[6:7], v[56:57], v[8:9] op_sel_hi:[1,1,0] neg_lo:[0,0,1] neg_hi:[0,0,1]
	v_mul_f32_e32 v6, v7, v0
	s_delay_alu instid0(VALU_DEP_3) | instskip(NEXT) | instid1(VALU_DEP_2)
	v_pk_add_f32 v[196:197], v[196:197], v[10:11] neg_lo:[0,1] neg_hi:[0,1]
	v_pk_fma_f32 v[4:5], v[4:5], v[56:57], v[6:7] op_sel_hi:[1,1,0]
	s_delay_alu instid0(VALU_DEP_1) | instskip(SKIP_4) | instid1(VALU_DEP_1)
	v_mov_b32_e32 v9, v5
	ds_load_2addr_b64 v[4:7], v154 offset0:46 offset1:47
	v_pk_add_f32 v[192:193], v[192:193], v[8:9] neg_lo:[0,1] neg_hi:[0,1]
	s_wait_dscnt 0x0
	v_pk_mul_f32 v[8:9], v[4:5], v[2:3] op_sel:[0,1]
	v_pk_fma_f32 v[10:11], v[4:5], v[0:1], v[8:9] op_sel:[0,0,1] op_sel_hi:[1,1,0] neg_lo:[0,0,1] neg_hi:[0,0,1]
	v_pk_fma_f32 v[4:5], v[4:5], v[0:1], v[8:9] op_sel:[0,0,1] op_sel_hi:[1,0,0]
	s_delay_alu instid0(VALU_DEP_1) | instskip(SKIP_1) | instid1(VALU_DEP_1)
	v_mov_b32_e32 v11, v5
	v_pk_mul_f32 v[4:5], v[6:7], v[2:3] op_sel:[0,1]
	v_pk_fma_f32 v[8:9], v[6:7], v[0:1], v[4:5] op_sel:[0,0,1] op_sel_hi:[1,1,0] neg_lo:[0,0,1] neg_hi:[0,0,1]
	v_pk_fma_f32 v[4:5], v[6:7], v[0:1], v[4:5] op_sel:[0,0,1] op_sel_hi:[1,0,0]
	s_delay_alu instid0(VALU_DEP_1)
	v_mov_b32_e32 v9, v5
	ds_load_2addr_b64 v[4:7], v154 offset0:48 offset1:49
	v_pk_add_f32 v[194:195], v[194:195], v[10:11] neg_lo:[0,1] neg_hi:[0,1]
	v_pk_add_f32 v[190:191], v[190:191], v[8:9] neg_lo:[0,1] neg_hi:[0,1]
	s_wait_dscnt 0x0
	v_pk_mul_f32 v[8:9], v[4:5], v[2:3] op_sel:[0,1]
	s_delay_alu instid0(VALU_DEP_1) | instskip(SKIP_1) | instid1(VALU_DEP_1)
	v_pk_fma_f32 v[10:11], v[4:5], v[0:1], v[8:9] op_sel:[0,0,1] op_sel_hi:[1,1,0] neg_lo:[0,0,1] neg_hi:[0,0,1]
	v_pk_fma_f32 v[4:5], v[4:5], v[0:1], v[8:9] op_sel:[0,0,1] op_sel_hi:[1,0,0]
	v_mov_b32_e32 v11, v5
	v_pk_mul_f32 v[4:5], v[6:7], v[2:3] op_sel:[0,1]
	s_delay_alu instid0(VALU_DEP_1) | instskip(SKIP_1) | instid1(VALU_DEP_1)
	v_pk_fma_f32 v[8:9], v[6:7], v[0:1], v[4:5] op_sel:[0,0,1] op_sel_hi:[1,1,0] neg_lo:[0,0,1] neg_hi:[0,0,1]
	v_pk_fma_f32 v[4:5], v[6:7], v[0:1], v[4:5] op_sel:[0,0,1] op_sel_hi:[1,0,0]
	v_mov_b32_e32 v9, v5
	ds_load_2addr_b64 v[4:7], v154 offset0:50 offset1:51
	v_pk_add_f32 v[216:217], v[216:217], v[10:11] neg_lo:[0,1] neg_hi:[0,1]
	v_pk_add_f32 v[210:211], v[210:211], v[8:9] neg_lo:[0,1] neg_hi:[0,1]
	s_wait_dscnt 0x0
	v_dual_mul_f32 v8, v5, v3 :: v_dual_mul_f32 v10, v5, v0
	s_delay_alu instid0(VALU_DEP_1) | instskip(NEXT) | instid1(VALU_DEP_2)
	v_pk_fma_f32 v[8:9], v[4:5], v[56:57], v[8:9] op_sel_hi:[1,1,0] neg_lo:[0,0,1] neg_hi:[0,0,1]
	v_pk_fma_f32 v[4:5], v[4:5], v[56:57], v[10:11] op_sel:[1,0,0] op_sel_hi:[0,1,0]
	s_delay_alu instid0(VALU_DEP_1) | instskip(SKIP_1) | instid1(VALU_DEP_2)
	v_mov_b32_e32 v9, v5
	v_pk_mul_f32 v[4:5], v[6:7], v[2:3] op_sel:[0,1]
	v_pk_add_f32 v[214:215], v[214:215], v[8:9] neg_lo:[0,1] neg_hi:[0,1]
	s_delay_alu instid0(VALU_DEP_2) | instskip(SKIP_1) | instid1(VALU_DEP_1)
	v_pk_fma_f32 v[8:9], v[6:7], v[0:1], v[4:5] op_sel:[0,0,1] op_sel_hi:[1,1,0] neg_lo:[0,0,1] neg_hi:[0,0,1]
	v_pk_fma_f32 v[4:5], v[6:7], v[0:1], v[4:5] op_sel:[0,0,1] op_sel_hi:[1,0,0]
	v_mov_b32_e32 v9, v5
	ds_load_2addr_b64 v[4:7], v154 offset0:52 offset1:53
	v_pk_add_f32 v[208:209], v[208:209], v[8:9] neg_lo:[0,1] neg_hi:[0,1]
	s_wait_dscnt 0x0
	v_pk_mul_f32 v[8:9], v[4:5], v[2:3] op_sel:[0,1]
	s_delay_alu instid0(VALU_DEP_1) | instskip(SKIP_1) | instid1(VALU_DEP_1)
	v_pk_fma_f32 v[10:11], v[4:5], v[0:1], v[8:9] op_sel:[0,0,1] op_sel_hi:[1,1,0] neg_lo:[0,0,1] neg_hi:[0,0,1]
	v_pk_fma_f32 v[4:5], v[4:5], v[0:1], v[8:9] op_sel:[0,0,1] op_sel_hi:[1,0,0]
	v_mov_b32_e32 v11, v5
	v_pk_mul_f32 v[4:5], v[6:7], v[2:3] op_sel:[0,1]
	s_delay_alu instid0(VALU_DEP_2) | instskip(NEXT) | instid1(VALU_DEP_2)
	v_pk_add_f32 v[212:213], v[212:213], v[10:11] neg_lo:[0,1] neg_hi:[0,1]
	v_pk_fma_f32 v[8:9], v[6:7], v[0:1], v[4:5] op_sel:[0,0,1] op_sel_hi:[1,1,0] neg_lo:[0,0,1] neg_hi:[0,0,1]
	v_pk_fma_f32 v[4:5], v[6:7], v[0:1], v[4:5] op_sel:[0,0,1] op_sel_hi:[1,0,0]
	s_delay_alu instid0(VALU_DEP_1) | instskip(SKIP_4) | instid1(VALU_DEP_1)
	v_mov_b32_e32 v9, v5
	ds_load_b64 v[4:5], v154 offset:432
	v_pk_add_f32 v[218:219], v[218:219], v[8:9] neg_lo:[0,1] neg_hi:[0,1]
	s_wait_dscnt 0x0
	v_pk_mul_f32 v[2:3], v[4:5], v[2:3] op_sel:[0,1]
	v_pk_fma_f32 v[6:7], v[4:5], v[0:1], v[2:3] op_sel:[0,0,1] op_sel_hi:[1,1,0] neg_lo:[0,0,1] neg_hi:[0,0,1]
	v_pk_fma_f32 v[0:1], v[4:5], v[0:1], v[2:3] op_sel:[0,0,1] op_sel_hi:[1,0,0]
	s_delay_alu instid0(VALU_DEP_1) | instskip(NEXT) | instid1(VALU_DEP_1)
	v_mov_b32_e32 v7, v1
	v_pk_add_f32 v[220:221], v[220:221], v[6:7] neg_lo:[0,1] neg_hi:[0,1]
.LBB109_19:
	s_wait_xcnt 0x0
	s_or_b32 exec_lo, exec_lo, s1
	s_delay_alu instid0(SALU_CYCLE_1)
	s_mov_b32 s2, exec_lo
	s_wait_storecnt 0x0
	s_barrier_signal -1
	s_barrier_wait -1
	v_cmpx_eq_u32_e32 2, v152
	s_cbranch_execz .LBB109_26
; %bb.20:
	ds_store_b64 v153, v[46:47]
	ds_store_2addr_b64 v154, v[44:45], v[26:27] offset0:3 offset1:4
	ds_store_2addr_b64 v154, v[22:23], v[24:25] offset0:5 offset1:6
	;; [unrolled: 1-line block ×26, first 2 shown]
	ds_load_b64 v[0:1], v153
	s_wait_dscnt 0x0
	v_cmp_neq_f32_e32 vcc_lo, 0, v0
	v_cmp_neq_f32_e64 s1, 0, v1
	s_or_b32 s1, vcc_lo, s1
	s_delay_alu instid0(SALU_CYCLE_1)
	s_and_b32 exec_lo, exec_lo, s1
	s_cbranch_execz .LBB109_26
; %bb.21:
	v_cmp_ngt_f32_e64 s1, |v0|, |v1|
                                        ; implicit-def: $vgpr2_vgpr3
	s_and_saveexec_b32 s4, s1
	s_delay_alu instid0(SALU_CYCLE_1)
	s_xor_b32 s1, exec_lo, s4
	s_cbranch_execz .LBB109_23
; %bb.22:
	v_div_scale_f32 v2, null, v1, v1, v0
	v_div_scale_f32 v5, vcc_lo, v0, v1, v0
	s_delay_alu instid0(VALU_DEP_2) | instskip(SKIP_1) | instid1(TRANS32_DEP_1)
	v_rcp_f32_e32 v3, v2
	v_nop
	v_fma_f32 v4, -v2, v3, 1.0
	s_delay_alu instid0(VALU_DEP_1) | instskip(NEXT) | instid1(VALU_DEP_1)
	v_fmac_f32_e32 v3, v4, v3
	v_mul_f32_e32 v4, v5, v3
	s_delay_alu instid0(VALU_DEP_1) | instskip(NEXT) | instid1(VALU_DEP_1)
	v_fma_f32 v6, -v2, v4, v5
	v_fmac_f32_e32 v4, v6, v3
	s_delay_alu instid0(VALU_DEP_1) | instskip(NEXT) | instid1(VALU_DEP_1)
	v_fma_f32 v2, -v2, v4, v5
	v_div_fmas_f32 v2, v2, v3, v4
	s_delay_alu instid0(VALU_DEP_1) | instskip(NEXT) | instid1(VALU_DEP_1)
	v_div_fixup_f32 v2, v2, v1, v0
	v_fmac_f32_e32 v1, v0, v2
	s_delay_alu instid0(VALU_DEP_1) | instskip(SKIP_1) | instid1(VALU_DEP_2)
	v_div_scale_f32 v0, null, v1, v1, 1.0
	v_div_scale_f32 v5, vcc_lo, 1.0, v1, 1.0
	v_rcp_f32_e32 v3, v0
	v_nop
	s_delay_alu instid0(TRANS32_DEP_1) | instskip(NEXT) | instid1(VALU_DEP_1)
	v_fma_f32 v4, -v0, v3, 1.0
	v_fmac_f32_e32 v3, v4, v3
	s_delay_alu instid0(VALU_DEP_1) | instskip(NEXT) | instid1(VALU_DEP_1)
	v_mul_f32_e32 v4, v5, v3
	v_fma_f32 v6, -v0, v4, v5
	s_delay_alu instid0(VALU_DEP_1) | instskip(NEXT) | instid1(VALU_DEP_1)
	v_fmac_f32_e32 v4, v6, v3
	v_fma_f32 v0, -v0, v4, v5
	s_delay_alu instid0(VALU_DEP_1) | instskip(NEXT) | instid1(VALU_DEP_1)
	v_div_fmas_f32 v0, v0, v3, v4
	v_div_fixup_f32 v0, v0, v1, 1.0
	s_delay_alu instid0(VALU_DEP_1)
	v_mul_f32_e32 v2, v2, v0
	v_xor_b32_e32 v3, 0x80000000, v0
                                        ; implicit-def: $vgpr0_vgpr1
.LBB109_23:
	s_and_not1_saveexec_b32 s1, s1
	s_cbranch_execz .LBB109_25
; %bb.24:
	v_div_scale_f32 v2, null, v0, v0, v1
	v_div_scale_f32 v5, vcc_lo, v1, v0, v1
	s_delay_alu instid0(VALU_DEP_2) | instskip(SKIP_1) | instid1(TRANS32_DEP_1)
	v_rcp_f32_e32 v3, v2
	v_nop
	v_fma_f32 v4, -v2, v3, 1.0
	s_delay_alu instid0(VALU_DEP_1) | instskip(NEXT) | instid1(VALU_DEP_1)
	v_fmac_f32_e32 v3, v4, v3
	v_mul_f32_e32 v4, v5, v3
	s_delay_alu instid0(VALU_DEP_1) | instskip(NEXT) | instid1(VALU_DEP_1)
	v_fma_f32 v6, -v2, v4, v5
	v_fmac_f32_e32 v4, v6, v3
	s_delay_alu instid0(VALU_DEP_1) | instskip(NEXT) | instid1(VALU_DEP_1)
	v_fma_f32 v2, -v2, v4, v5
	v_div_fmas_f32 v2, v2, v3, v4
	s_delay_alu instid0(VALU_DEP_1) | instskip(NEXT) | instid1(VALU_DEP_1)
	v_div_fixup_f32 v3, v2, v0, v1
	v_fmac_f32_e32 v0, v1, v3
	s_delay_alu instid0(VALU_DEP_1) | instskip(NEXT) | instid1(VALU_DEP_1)
	v_div_scale_f32 v1, null, v0, v0, 1.0
	v_rcp_f32_e32 v2, v1
	v_nop
	s_delay_alu instid0(TRANS32_DEP_1) | instskip(NEXT) | instid1(VALU_DEP_1)
	v_fma_f32 v4, -v1, v2, 1.0
	v_fmac_f32_e32 v2, v4, v2
	v_div_scale_f32 v4, vcc_lo, 1.0, v0, 1.0
	s_delay_alu instid0(VALU_DEP_1) | instskip(NEXT) | instid1(VALU_DEP_1)
	v_mul_f32_e32 v5, v4, v2
	v_fma_f32 v6, -v1, v5, v4
	s_delay_alu instid0(VALU_DEP_1) | instskip(NEXT) | instid1(VALU_DEP_1)
	v_fmac_f32_e32 v5, v6, v2
	v_fma_f32 v1, -v1, v5, v4
	s_delay_alu instid0(VALU_DEP_1) | instskip(NEXT) | instid1(VALU_DEP_1)
	v_div_fmas_f32 v1, v1, v2, v5
	v_div_fixup_f32 v2, v1, v0, 1.0
	s_delay_alu instid0(VALU_DEP_1)
	v_mul_f32_e64 v3, v3, -v2
.LBB109_25:
	s_or_b32 exec_lo, exec_lo, s1
	ds_store_b64 v153, v[2:3]
.LBB109_26:
	s_or_b32 exec_lo, exec_lo, s2
	s_wait_dscnt 0x0
	s_barrier_signal -1
	s_barrier_wait -1
	ds_load_b64 v[0:1], v153
	s_mov_b32 s1, exec_lo
	s_wait_dscnt 0x0
	scratch_store_b64 off, v[0:1], off offset:224 ; 8-byte Folded Spill
	s_wait_xcnt 0x0
	v_cmpx_lt_u32_e32 2, v152
	s_cbranch_execz .LBB109_28
; %bb.27:
	scratch_load_b64 v[4:5], off, off offset:224 ; 8-byte Folded Reload
	s_wait_loadcnt 0x0
	v_pk_mul_f32 v[2:3], v[4:5], v[46:47] op_sel:[1,1] op_sel_hi:[0,1]
	s_delay_alu instid0(VALU_DEP_1)
	v_pk_fma_f32 v[0:1], v[4:5], v[46:47], v[2:3] op_sel_hi:[1,0,1] neg_lo:[0,0,1] neg_hi:[0,0,1]
	v_pk_fma_f32 v[2:3], v[4:5], v[46:47], v[2:3] op_sel_hi:[1,0,1]
	ds_load_2addr_b64 v[4:7], v154 offset0:3 offset1:4
	v_dual_mov_b32 v46, v0 :: v_dual_mov_b32 v47, v3
	s_wait_dscnt 0x0
	v_pk_mul_f32 v[8:9], v[4:5], v[2:3] op_sel:[0,1]
	s_delay_alu instid0(VALU_DEP_1) | instskip(SKIP_1) | instid1(VALU_DEP_1)
	v_pk_fma_f32 v[10:11], v[4:5], v[0:1], v[8:9] op_sel:[0,0,1] op_sel_hi:[1,1,0] neg_lo:[0,0,1] neg_hi:[0,0,1]
	v_pk_fma_f32 v[4:5], v[4:5], v[0:1], v[8:9] op_sel:[0,0,1] op_sel_hi:[1,0,0]
	v_mov_b32_e32 v11, v5
	v_pk_mul_f32 v[4:5], v[6:7], v[2:3] op_sel:[0,1]
	s_delay_alu instid0(VALU_DEP_1) | instskip(SKIP_1) | instid1(VALU_DEP_1)
	v_pk_fma_f32 v[8:9], v[6:7], v[0:1], v[4:5] op_sel:[0,0,1] op_sel_hi:[1,1,0] neg_lo:[0,0,1] neg_hi:[0,0,1]
	v_pk_fma_f32 v[4:5], v[6:7], v[0:1], v[4:5] op_sel:[0,0,1] op_sel_hi:[1,0,0]
	v_mov_b32_e32 v9, v5
	ds_load_2addr_b64 v[4:7], v154 offset0:5 offset1:6
	v_pk_add_f32 v[44:45], v[44:45], v[10:11] neg_lo:[0,1] neg_hi:[0,1]
	v_pk_add_f32 v[26:27], v[26:27], v[8:9] neg_lo:[0,1] neg_hi:[0,1]
	s_wait_dscnt 0x0
	v_pk_mul_f32 v[8:9], v[4:5], v[2:3] op_sel:[0,1]
	s_delay_alu instid0(VALU_DEP_1) | instskip(SKIP_2) | instid1(VALU_DEP_2)
	v_pk_fma_f32 v[10:11], v[4:5], v[0:1], v[8:9] op_sel:[0,0,1] op_sel_hi:[1,1,0] neg_lo:[0,0,1] neg_hi:[0,0,1]
	v_pk_fma_f32 v[4:5], v[4:5], v[0:1], v[8:9] op_sel:[0,0,1] op_sel_hi:[1,0,0]
	v_dual_mul_f32 v8, v7, v3 :: v_dual_mov_b32 v4, v7
	v_dual_mov_b32 v11, v5 :: v_dual_mov_b32 v5, v6
	s_delay_alu instid0(VALU_DEP_2) | instskip(SKIP_1) | instid1(VALU_DEP_3)
	v_pk_fma_f32 v[8:9], v[6:7], v[46:47], v[8:9] op_sel_hi:[1,1,0] neg_lo:[0,0,1] neg_hi:[0,0,1]
	v_mul_f32_e32 v6, v7, v0
	v_pk_add_f32 v[22:23], v[22:23], v[10:11] neg_lo:[0,1] neg_hi:[0,1]
	s_delay_alu instid0(VALU_DEP_2) | instskip(NEXT) | instid1(VALU_DEP_1)
	v_pk_fma_f32 v[4:5], v[4:5], v[46:47], v[6:7] op_sel_hi:[1,1,0]
	v_mov_b32_e32 v9, v5
	ds_load_2addr_b64 v[4:7], v154 offset0:7 offset1:8
	v_pk_add_f32 v[24:25], v[24:25], v[8:9] neg_lo:[0,1] neg_hi:[0,1]
	s_wait_dscnt 0x0
	v_pk_mul_f32 v[8:9], v[4:5], v[2:3] op_sel:[0,1]
	s_delay_alu instid0(VALU_DEP_1) | instskip(SKIP_1) | instid1(VALU_DEP_1)
	v_pk_fma_f32 v[10:11], v[4:5], v[0:1], v[8:9] op_sel:[0,0,1] op_sel_hi:[1,1,0] neg_lo:[0,0,1] neg_hi:[0,0,1]
	v_pk_fma_f32 v[4:5], v[4:5], v[0:1], v[8:9] op_sel:[0,0,1] op_sel_hi:[1,0,0]
	v_mov_b32_e32 v11, v5
	v_pk_mul_f32 v[4:5], v[6:7], v[2:3] op_sel:[0,1]
	s_delay_alu instid0(VALU_DEP_1) | instskip(SKIP_1) | instid1(VALU_DEP_1)
	v_pk_fma_f32 v[8:9], v[6:7], v[0:1], v[4:5] op_sel:[0,0,1] op_sel_hi:[1,1,0] neg_lo:[0,0,1] neg_hi:[0,0,1]
	v_pk_fma_f32 v[4:5], v[6:7], v[0:1], v[4:5] op_sel:[0,0,1] op_sel_hi:[1,0,0]
	v_mov_b32_e32 v9, v5
	ds_load_2addr_b64 v[4:7], v154 offset0:9 offset1:10
	v_pk_add_f32 v[20:21], v[20:21], v[10:11] neg_lo:[0,1] neg_hi:[0,1]
	v_pk_add_f32 v[40:41], v[40:41], v[8:9] neg_lo:[0,1] neg_hi:[0,1]
	s_wait_dscnt 0x0
	v_pk_mul_f32 v[8:9], v[4:5], v[2:3] op_sel:[0,1]
	s_delay_alu instid0(VALU_DEP_1) | instskip(SKIP_1) | instid1(VALU_DEP_1)
	v_pk_fma_f32 v[10:11], v[4:5], v[0:1], v[8:9] op_sel:[0,0,1] op_sel_hi:[1,1,0] neg_lo:[0,0,1] neg_hi:[0,0,1]
	v_pk_fma_f32 v[4:5], v[4:5], v[0:1], v[8:9] op_sel:[0,0,1] op_sel_hi:[1,0,0]
	v_mov_b32_e32 v11, v5
	v_pk_mul_f32 v[4:5], v[6:7], v[2:3] op_sel:[0,1]
	s_delay_alu instid0(VALU_DEP_1) | instskip(SKIP_1) | instid1(VALU_DEP_1)
	v_pk_fma_f32 v[8:9], v[6:7], v[0:1], v[4:5] op_sel:[0,0,1] op_sel_hi:[1,1,0] neg_lo:[0,0,1] neg_hi:[0,0,1]
	v_pk_fma_f32 v[4:5], v[6:7], v[0:1], v[4:5] op_sel:[0,0,1] op_sel_hi:[1,0,0]
	v_mov_b32_e32 v9, v5
	ds_load_2addr_b64 v[4:7], v154 offset0:11 offset1:12
	v_pk_add_f32 v[36:37], v[36:37], v[10:11] neg_lo:[0,1] neg_hi:[0,1]
	v_pk_add_f32 v[38:39], v[38:39], v[8:9] neg_lo:[0,1] neg_hi:[0,1]
	s_wait_dscnt 0x0
	v_dual_mul_f32 v8, v5, v3 :: v_dual_mul_f32 v10, v5, v0
	s_delay_alu instid0(VALU_DEP_1) | instskip(NEXT) | instid1(VALU_DEP_2)
	v_pk_fma_f32 v[8:9], v[4:5], v[46:47], v[8:9] op_sel_hi:[1,1,0] neg_lo:[0,0,1] neg_hi:[0,0,1]
	v_pk_fma_f32 v[4:5], v[4:5], v[46:47], v[10:11] op_sel:[1,0,0] op_sel_hi:[0,1,0]
	s_delay_alu instid0(VALU_DEP_1) | instskip(SKIP_1) | instid1(VALU_DEP_2)
	v_mov_b32_e32 v9, v5
	v_pk_mul_f32 v[4:5], v[6:7], v[2:3] op_sel:[0,1]
	v_pk_add_f32 v[34:35], v[34:35], v[8:9] neg_lo:[0,1] neg_hi:[0,1]
	s_delay_alu instid0(VALU_DEP_2) | instskip(SKIP_1) | instid1(VALU_DEP_1)
	v_pk_fma_f32 v[8:9], v[6:7], v[0:1], v[4:5] op_sel:[0,0,1] op_sel_hi:[1,1,0] neg_lo:[0,0,1] neg_hi:[0,0,1]
	v_pk_fma_f32 v[4:5], v[6:7], v[0:1], v[4:5] op_sel:[0,0,1] op_sel_hi:[1,0,0]
	v_mov_b32_e32 v9, v5
	ds_load_2addr_b64 v[4:7], v154 offset0:13 offset1:14
	v_pk_add_f32 v[64:65], v[64:65], v[8:9] neg_lo:[0,1] neg_hi:[0,1]
	s_wait_dscnt 0x0
	v_pk_mul_f32 v[8:9], v[4:5], v[2:3] op_sel:[0,1]
	s_delay_alu instid0(VALU_DEP_1) | instskip(SKIP_1) | instid1(VALU_DEP_1)
	v_pk_fma_f32 v[10:11], v[4:5], v[0:1], v[8:9] op_sel:[0,0,1] op_sel_hi:[1,1,0] neg_lo:[0,0,1] neg_hi:[0,0,1]
	v_pk_fma_f32 v[4:5], v[4:5], v[0:1], v[8:9] op_sel:[0,0,1] op_sel_hi:[1,0,0]
	v_mov_b32_e32 v11, v5
	v_pk_mul_f32 v[4:5], v[6:7], v[2:3] op_sel:[0,1]
	s_delay_alu instid0(VALU_DEP_2) | instskip(NEXT) | instid1(VALU_DEP_2)
	v_pk_add_f32 v[60:61], v[60:61], v[10:11] neg_lo:[0,1] neg_hi:[0,1]
	v_pk_fma_f32 v[8:9], v[6:7], v[0:1], v[4:5] op_sel:[0,0,1] op_sel_hi:[1,1,0] neg_lo:[0,0,1] neg_hi:[0,0,1]
	v_pk_fma_f32 v[4:5], v[6:7], v[0:1], v[4:5] op_sel:[0,0,1] op_sel_hi:[1,0,0]
	s_delay_alu instid0(VALU_DEP_1) | instskip(SKIP_4) | instid1(VALU_DEP_1)
	v_mov_b32_e32 v9, v5
	ds_load_2addr_b64 v[4:7], v154 offset0:15 offset1:16
	v_pk_add_f32 v[62:63], v[62:63], v[8:9] neg_lo:[0,1] neg_hi:[0,1]
	s_wait_dscnt 0x0
	v_pk_mul_f32 v[8:9], v[4:5], v[2:3] op_sel:[0,1]
	v_pk_fma_f32 v[10:11], v[4:5], v[0:1], v[8:9] op_sel:[0,0,1] op_sel_hi:[1,1,0] neg_lo:[0,0,1] neg_hi:[0,0,1]
	v_pk_fma_f32 v[4:5], v[4:5], v[0:1], v[8:9] op_sel:[0,0,1] op_sel_hi:[1,0,0]
	v_dual_mul_f32 v8, v7, v3 :: v_dual_mov_b32 v4, v7
	s_delay_alu instid0(VALU_DEP_2) | instskip(NEXT) | instid1(VALU_DEP_2)
	v_dual_mov_b32 v11, v5 :: v_dual_mov_b32 v5, v6
	v_pk_fma_f32 v[8:9], v[6:7], v[46:47], v[8:9] op_sel_hi:[1,1,0] neg_lo:[0,0,1] neg_hi:[0,0,1]
	v_mul_f32_e32 v6, v7, v0
	s_delay_alu instid0(VALU_DEP_3) | instskip(NEXT) | instid1(VALU_DEP_2)
	v_pk_add_f32 v[58:59], v[58:59], v[10:11] neg_lo:[0,1] neg_hi:[0,1]
	v_pk_fma_f32 v[4:5], v[4:5], v[46:47], v[6:7] op_sel_hi:[1,1,0]
	s_delay_alu instid0(VALU_DEP_1) | instskip(SKIP_4) | instid1(VALU_DEP_1)
	v_mov_b32_e32 v9, v5
	ds_load_2addr_b64 v[4:7], v154 offset0:17 offset1:18
	v_pk_add_f32 v[80:81], v[80:81], v[8:9] neg_lo:[0,1] neg_hi:[0,1]
	s_wait_dscnt 0x0
	v_pk_mul_f32 v[8:9], v[4:5], v[2:3] op_sel:[0,1]
	v_pk_fma_f32 v[10:11], v[4:5], v[0:1], v[8:9] op_sel:[0,0,1] op_sel_hi:[1,1,0] neg_lo:[0,0,1] neg_hi:[0,0,1]
	v_pk_fma_f32 v[4:5], v[4:5], v[0:1], v[8:9] op_sel:[0,0,1] op_sel_hi:[1,0,0]
	s_delay_alu instid0(VALU_DEP_1) | instskip(SKIP_1) | instid1(VALU_DEP_1)
	v_mov_b32_e32 v11, v5
	v_pk_mul_f32 v[4:5], v[6:7], v[2:3] op_sel:[0,1]
	v_pk_fma_f32 v[8:9], v[6:7], v[0:1], v[4:5] op_sel:[0,0,1] op_sel_hi:[1,1,0] neg_lo:[0,0,1] neg_hi:[0,0,1]
	v_pk_fma_f32 v[4:5], v[6:7], v[0:1], v[4:5] op_sel:[0,0,1] op_sel_hi:[1,0,0]
	s_delay_alu instid0(VALU_DEP_1)
	v_mov_b32_e32 v9, v5
	ds_load_2addr_b64 v[4:7], v154 offset0:19 offset1:20
	v_pk_add_f32 v[76:77], v[76:77], v[10:11] neg_lo:[0,1] neg_hi:[0,1]
	v_pk_add_f32 v[78:79], v[78:79], v[8:9] neg_lo:[0,1] neg_hi:[0,1]
	s_wait_dscnt 0x0
	v_pk_mul_f32 v[8:9], v[4:5], v[2:3] op_sel:[0,1]
	s_delay_alu instid0(VALU_DEP_1) | instskip(SKIP_1) | instid1(VALU_DEP_1)
	v_pk_fma_f32 v[10:11], v[4:5], v[0:1], v[8:9] op_sel:[0,0,1] op_sel_hi:[1,1,0] neg_lo:[0,0,1] neg_hi:[0,0,1]
	v_pk_fma_f32 v[4:5], v[4:5], v[0:1], v[8:9] op_sel:[0,0,1] op_sel_hi:[1,0,0]
	v_mov_b32_e32 v11, v5
	v_pk_mul_f32 v[4:5], v[6:7], v[2:3] op_sel:[0,1]
	s_delay_alu instid0(VALU_DEP_1) | instskip(SKIP_1) | instid1(VALU_DEP_1)
	v_pk_fma_f32 v[8:9], v[6:7], v[0:1], v[4:5] op_sel:[0,0,1] op_sel_hi:[1,1,0] neg_lo:[0,0,1] neg_hi:[0,0,1]
	v_pk_fma_f32 v[4:5], v[6:7], v[0:1], v[4:5] op_sel:[0,0,1] op_sel_hi:[1,0,0]
	v_mov_b32_e32 v9, v5
	ds_load_2addr_b64 v[4:7], v154 offset0:21 offset1:22
	v_pk_add_f32 v[74:75], v[74:75], v[10:11] neg_lo:[0,1] neg_hi:[0,1]
	v_pk_add_f32 v[96:97], v[96:97], v[8:9] neg_lo:[0,1] neg_hi:[0,1]
	s_wait_dscnt 0x0
	v_dual_mul_f32 v8, v5, v3 :: v_dual_mul_f32 v10, v5, v0
	s_delay_alu instid0(VALU_DEP_1) | instskip(NEXT) | instid1(VALU_DEP_2)
	v_pk_fma_f32 v[8:9], v[4:5], v[46:47], v[8:9] op_sel_hi:[1,1,0] neg_lo:[0,0,1] neg_hi:[0,0,1]
	v_pk_fma_f32 v[4:5], v[4:5], v[46:47], v[10:11] op_sel:[1,0,0] op_sel_hi:[0,1,0]
	s_delay_alu instid0(VALU_DEP_1) | instskip(SKIP_1) | instid1(VALU_DEP_2)
	v_mov_b32_e32 v9, v5
	v_pk_mul_f32 v[4:5], v[6:7], v[2:3] op_sel:[0,1]
	v_pk_add_f32 v[92:93], v[92:93], v[8:9] neg_lo:[0,1] neg_hi:[0,1]
	s_delay_alu instid0(VALU_DEP_2) | instskip(SKIP_1) | instid1(VALU_DEP_1)
	v_pk_fma_f32 v[8:9], v[6:7], v[0:1], v[4:5] op_sel:[0,0,1] op_sel_hi:[1,1,0] neg_lo:[0,0,1] neg_hi:[0,0,1]
	v_pk_fma_f32 v[4:5], v[6:7], v[0:1], v[4:5] op_sel:[0,0,1] op_sel_hi:[1,0,0]
	v_mov_b32_e32 v9, v5
	ds_load_2addr_b64 v[4:7], v154 offset0:23 offset1:24
	v_pk_add_f32 v[94:95], v[94:95], v[8:9] neg_lo:[0,1] neg_hi:[0,1]
	s_wait_dscnt 0x0
	v_pk_mul_f32 v[8:9], v[4:5], v[2:3] op_sel:[0,1]
	s_delay_alu instid0(VALU_DEP_1) | instskip(SKIP_1) | instid1(VALU_DEP_1)
	v_pk_fma_f32 v[10:11], v[4:5], v[0:1], v[8:9] op_sel:[0,0,1] op_sel_hi:[1,1,0] neg_lo:[0,0,1] neg_hi:[0,0,1]
	v_pk_fma_f32 v[4:5], v[4:5], v[0:1], v[8:9] op_sel:[0,0,1] op_sel_hi:[1,0,0]
	v_mov_b32_e32 v11, v5
	v_pk_mul_f32 v[4:5], v[6:7], v[2:3] op_sel:[0,1]
	s_delay_alu instid0(VALU_DEP_2) | instskip(NEXT) | instid1(VALU_DEP_2)
	v_pk_add_f32 v[90:91], v[90:91], v[10:11] neg_lo:[0,1] neg_hi:[0,1]
	v_pk_fma_f32 v[8:9], v[6:7], v[0:1], v[4:5] op_sel:[0,0,1] op_sel_hi:[1,1,0] neg_lo:[0,0,1] neg_hi:[0,0,1]
	v_pk_fma_f32 v[4:5], v[6:7], v[0:1], v[4:5] op_sel:[0,0,1] op_sel_hi:[1,0,0]
	s_delay_alu instid0(VALU_DEP_1) | instskip(SKIP_4) | instid1(VALU_DEP_1)
	v_mov_b32_e32 v9, v5
	ds_load_2addr_b64 v[4:7], v154 offset0:25 offset1:26
	v_pk_add_f32 v[114:115], v[114:115], v[8:9] neg_lo:[0,1] neg_hi:[0,1]
	s_wait_dscnt 0x0
	v_pk_mul_f32 v[8:9], v[4:5], v[2:3] op_sel:[0,1]
	v_pk_fma_f32 v[10:11], v[4:5], v[0:1], v[8:9] op_sel:[0,0,1] op_sel_hi:[1,1,0] neg_lo:[0,0,1] neg_hi:[0,0,1]
	v_pk_fma_f32 v[4:5], v[4:5], v[0:1], v[8:9] op_sel:[0,0,1] op_sel_hi:[1,0,0]
	v_dual_mul_f32 v8, v7, v3 :: v_dual_mov_b32 v4, v7
	s_delay_alu instid0(VALU_DEP_2) | instskip(NEXT) | instid1(VALU_DEP_2)
	v_dual_mov_b32 v11, v5 :: v_dual_mov_b32 v5, v6
	v_pk_fma_f32 v[8:9], v[6:7], v[46:47], v[8:9] op_sel_hi:[1,1,0] neg_lo:[0,0,1] neg_hi:[0,0,1]
	v_mul_f32_e32 v6, v7, v0
	s_delay_alu instid0(VALU_DEP_3) | instskip(NEXT) | instid1(VALU_DEP_2)
	v_pk_add_f32 v[110:111], v[110:111], v[10:11] neg_lo:[0,1] neg_hi:[0,1]
	v_pk_fma_f32 v[4:5], v[4:5], v[46:47], v[6:7] op_sel_hi:[1,1,0]
	s_delay_alu instid0(VALU_DEP_1) | instskip(SKIP_4) | instid1(VALU_DEP_1)
	v_mov_b32_e32 v9, v5
	ds_load_2addr_b64 v[4:7], v154 offset0:27 offset1:28
	v_pk_add_f32 v[112:113], v[112:113], v[8:9] neg_lo:[0,1] neg_hi:[0,1]
	s_wait_dscnt 0x0
	v_pk_mul_f32 v[8:9], v[4:5], v[2:3] op_sel:[0,1]
	v_pk_fma_f32 v[10:11], v[4:5], v[0:1], v[8:9] op_sel:[0,0,1] op_sel_hi:[1,1,0] neg_lo:[0,0,1] neg_hi:[0,0,1]
	v_pk_fma_f32 v[4:5], v[4:5], v[0:1], v[8:9] op_sel:[0,0,1] op_sel_hi:[1,0,0]
	s_delay_alu instid0(VALU_DEP_1) | instskip(SKIP_1) | instid1(VALU_DEP_1)
	v_mov_b32_e32 v11, v5
	v_pk_mul_f32 v[4:5], v[6:7], v[2:3] op_sel:[0,1]
	v_pk_fma_f32 v[8:9], v[6:7], v[0:1], v[4:5] op_sel:[0,0,1] op_sel_hi:[1,1,0] neg_lo:[0,0,1] neg_hi:[0,0,1]
	v_pk_fma_f32 v[4:5], v[6:7], v[0:1], v[4:5] op_sel:[0,0,1] op_sel_hi:[1,0,0]
	s_delay_alu instid0(VALU_DEP_1)
	v_mov_b32_e32 v9, v5
	ds_load_2addr_b64 v[4:7], v154 offset0:29 offset1:30
	v_pk_add_f32 v[108:109], v[108:109], v[10:11] neg_lo:[0,1] neg_hi:[0,1]
	v_pk_add_f32 v[130:131], v[130:131], v[8:9] neg_lo:[0,1] neg_hi:[0,1]
	s_wait_dscnt 0x0
	v_pk_mul_f32 v[8:9], v[4:5], v[2:3] op_sel:[0,1]
	s_delay_alu instid0(VALU_DEP_1) | instskip(SKIP_1) | instid1(VALU_DEP_1)
	v_pk_fma_f32 v[10:11], v[4:5], v[0:1], v[8:9] op_sel:[0,0,1] op_sel_hi:[1,1,0] neg_lo:[0,0,1] neg_hi:[0,0,1]
	v_pk_fma_f32 v[4:5], v[4:5], v[0:1], v[8:9] op_sel:[0,0,1] op_sel_hi:[1,0,0]
	v_mov_b32_e32 v11, v5
	v_pk_mul_f32 v[4:5], v[6:7], v[2:3] op_sel:[0,1]
	s_delay_alu instid0(VALU_DEP_1) | instskip(SKIP_1) | instid1(VALU_DEP_1)
	v_pk_fma_f32 v[8:9], v[6:7], v[0:1], v[4:5] op_sel:[0,0,1] op_sel_hi:[1,1,0] neg_lo:[0,0,1] neg_hi:[0,0,1]
	v_pk_fma_f32 v[4:5], v[6:7], v[0:1], v[4:5] op_sel:[0,0,1] op_sel_hi:[1,0,0]
	v_mov_b32_e32 v9, v5
	ds_load_2addr_b64 v[4:7], v154 offset0:31 offset1:32
	v_pk_add_f32 v[126:127], v[126:127], v[10:11] neg_lo:[0,1] neg_hi:[0,1]
	v_pk_add_f32 v[128:129], v[128:129], v[8:9] neg_lo:[0,1] neg_hi:[0,1]
	s_wait_dscnt 0x0
	v_dual_mul_f32 v8, v5, v3 :: v_dual_mul_f32 v10, v5, v0
	s_delay_alu instid0(VALU_DEP_1) | instskip(NEXT) | instid1(VALU_DEP_2)
	v_pk_fma_f32 v[8:9], v[4:5], v[46:47], v[8:9] op_sel_hi:[1,1,0] neg_lo:[0,0,1] neg_hi:[0,0,1]
	v_pk_fma_f32 v[4:5], v[4:5], v[46:47], v[10:11] op_sel:[1,0,0] op_sel_hi:[0,1,0]
	s_delay_alu instid0(VALU_DEP_1) | instskip(SKIP_1) | instid1(VALU_DEP_2)
	v_mov_b32_e32 v9, v5
	v_pk_mul_f32 v[4:5], v[6:7], v[2:3] op_sel:[0,1]
	v_pk_add_f32 v[124:125], v[124:125], v[8:9] neg_lo:[0,1] neg_hi:[0,1]
	s_delay_alu instid0(VALU_DEP_2) | instskip(SKIP_1) | instid1(VALU_DEP_1)
	v_pk_fma_f32 v[8:9], v[6:7], v[0:1], v[4:5] op_sel:[0,0,1] op_sel_hi:[1,1,0] neg_lo:[0,0,1] neg_hi:[0,0,1]
	v_pk_fma_f32 v[4:5], v[6:7], v[0:1], v[4:5] op_sel:[0,0,1] op_sel_hi:[1,0,0]
	v_mov_b32_e32 v9, v5
	ds_load_2addr_b64 v[4:7], v154 offset0:33 offset1:34
	v_pk_add_f32 v[146:147], v[146:147], v[8:9] neg_lo:[0,1] neg_hi:[0,1]
	s_wait_dscnt 0x0
	v_pk_mul_f32 v[8:9], v[4:5], v[2:3] op_sel:[0,1]
	s_delay_alu instid0(VALU_DEP_1) | instskip(SKIP_1) | instid1(VALU_DEP_1)
	v_pk_fma_f32 v[10:11], v[4:5], v[0:1], v[8:9] op_sel:[0,0,1] op_sel_hi:[1,1,0] neg_lo:[0,0,1] neg_hi:[0,0,1]
	v_pk_fma_f32 v[4:5], v[4:5], v[0:1], v[8:9] op_sel:[0,0,1] op_sel_hi:[1,0,0]
	v_mov_b32_e32 v11, v5
	v_pk_mul_f32 v[4:5], v[6:7], v[2:3] op_sel:[0,1]
	s_delay_alu instid0(VALU_DEP_2) | instskip(NEXT) | instid1(VALU_DEP_2)
	v_pk_add_f32 v[142:143], v[142:143], v[10:11] neg_lo:[0,1] neg_hi:[0,1]
	v_pk_fma_f32 v[8:9], v[6:7], v[0:1], v[4:5] op_sel:[0,0,1] op_sel_hi:[1,1,0] neg_lo:[0,0,1] neg_hi:[0,0,1]
	v_pk_fma_f32 v[4:5], v[6:7], v[0:1], v[4:5] op_sel:[0,0,1] op_sel_hi:[1,0,0]
	s_delay_alu instid0(VALU_DEP_1) | instskip(SKIP_4) | instid1(VALU_DEP_1)
	v_mov_b32_e32 v9, v5
	ds_load_2addr_b64 v[4:7], v154 offset0:35 offset1:36
	v_pk_add_f32 v[144:145], v[144:145], v[8:9] neg_lo:[0,1] neg_hi:[0,1]
	s_wait_dscnt 0x0
	v_pk_mul_f32 v[8:9], v[4:5], v[2:3] op_sel:[0,1]
	v_pk_fma_f32 v[10:11], v[4:5], v[0:1], v[8:9] op_sel:[0,0,1] op_sel_hi:[1,1,0] neg_lo:[0,0,1] neg_hi:[0,0,1]
	v_pk_fma_f32 v[4:5], v[4:5], v[0:1], v[8:9] op_sel:[0,0,1] op_sel_hi:[1,0,0]
	v_dual_mul_f32 v8, v7, v3 :: v_dual_mov_b32 v4, v7
	s_delay_alu instid0(VALU_DEP_2) | instskip(NEXT) | instid1(VALU_DEP_2)
	v_dual_mov_b32 v11, v5 :: v_dual_mov_b32 v5, v6
	v_pk_fma_f32 v[8:9], v[6:7], v[46:47], v[8:9] op_sel_hi:[1,1,0] neg_lo:[0,0,1] neg_hi:[0,0,1]
	v_mul_f32_e32 v6, v7, v0
	s_delay_alu instid0(VALU_DEP_3) | instskip(NEXT) | instid1(VALU_DEP_2)
	v_pk_add_f32 v[140:141], v[140:141], v[10:11] neg_lo:[0,1] neg_hi:[0,1]
	v_pk_fma_f32 v[4:5], v[4:5], v[46:47], v[6:7] op_sel_hi:[1,1,0]
	s_delay_alu instid0(VALU_DEP_1) | instskip(SKIP_4) | instid1(VALU_DEP_1)
	v_mov_b32_e32 v9, v5
	ds_load_2addr_b64 v[4:7], v154 offset0:37 offset1:38
	v_pk_add_f32 v[162:163], v[162:163], v[8:9] neg_lo:[0,1] neg_hi:[0,1]
	s_wait_dscnt 0x0
	v_pk_mul_f32 v[8:9], v[4:5], v[2:3] op_sel:[0,1]
	v_pk_fma_f32 v[10:11], v[4:5], v[0:1], v[8:9] op_sel:[0,0,1] op_sel_hi:[1,1,0] neg_lo:[0,0,1] neg_hi:[0,0,1]
	v_pk_fma_f32 v[4:5], v[4:5], v[0:1], v[8:9] op_sel:[0,0,1] op_sel_hi:[1,0,0]
	s_delay_alu instid0(VALU_DEP_1) | instskip(SKIP_1) | instid1(VALU_DEP_1)
	v_mov_b32_e32 v11, v5
	v_pk_mul_f32 v[4:5], v[6:7], v[2:3] op_sel:[0,1]
	v_pk_fma_f32 v[8:9], v[6:7], v[0:1], v[4:5] op_sel:[0,0,1] op_sel_hi:[1,1,0] neg_lo:[0,0,1] neg_hi:[0,0,1]
	v_pk_fma_f32 v[4:5], v[6:7], v[0:1], v[4:5] op_sel:[0,0,1] op_sel_hi:[1,0,0]
	s_delay_alu instid0(VALU_DEP_1)
	v_mov_b32_e32 v9, v5
	ds_load_2addr_b64 v[4:7], v154 offset0:39 offset1:40
	v_pk_add_f32 v[158:159], v[158:159], v[10:11] neg_lo:[0,1] neg_hi:[0,1]
	v_pk_add_f32 v[160:161], v[160:161], v[8:9] neg_lo:[0,1] neg_hi:[0,1]
	s_wait_dscnt 0x0
	v_pk_mul_f32 v[8:9], v[4:5], v[2:3] op_sel:[0,1]
	s_delay_alu instid0(VALU_DEP_1) | instskip(SKIP_1) | instid1(VALU_DEP_1)
	v_pk_fma_f32 v[10:11], v[4:5], v[0:1], v[8:9] op_sel:[0,0,1] op_sel_hi:[1,1,0] neg_lo:[0,0,1] neg_hi:[0,0,1]
	v_pk_fma_f32 v[4:5], v[4:5], v[0:1], v[8:9] op_sel:[0,0,1] op_sel_hi:[1,0,0]
	v_mov_b32_e32 v11, v5
	v_pk_mul_f32 v[4:5], v[6:7], v[2:3] op_sel:[0,1]
	s_delay_alu instid0(VALU_DEP_1) | instskip(SKIP_1) | instid1(VALU_DEP_1)
	v_pk_fma_f32 v[8:9], v[6:7], v[0:1], v[4:5] op_sel:[0,0,1] op_sel_hi:[1,1,0] neg_lo:[0,0,1] neg_hi:[0,0,1]
	v_pk_fma_f32 v[4:5], v[6:7], v[0:1], v[4:5] op_sel:[0,0,1] op_sel_hi:[1,0,0]
	v_mov_b32_e32 v9, v5
	ds_load_2addr_b64 v[4:7], v154 offset0:41 offset1:42
	v_pk_add_f32 v[156:157], v[156:157], v[10:11] neg_lo:[0,1] neg_hi:[0,1]
	v_pk_add_f32 v[178:179], v[178:179], v[8:9] neg_lo:[0,1] neg_hi:[0,1]
	s_wait_dscnt 0x0
	v_dual_mul_f32 v8, v5, v3 :: v_dual_mul_f32 v10, v5, v0
	s_delay_alu instid0(VALU_DEP_1) | instskip(NEXT) | instid1(VALU_DEP_2)
	v_pk_fma_f32 v[8:9], v[4:5], v[46:47], v[8:9] op_sel_hi:[1,1,0] neg_lo:[0,0,1] neg_hi:[0,0,1]
	v_pk_fma_f32 v[4:5], v[4:5], v[46:47], v[10:11] op_sel:[1,0,0] op_sel_hi:[0,1,0]
	s_delay_alu instid0(VALU_DEP_1) | instskip(SKIP_1) | instid1(VALU_DEP_2)
	v_mov_b32_e32 v9, v5
	v_pk_mul_f32 v[4:5], v[6:7], v[2:3] op_sel:[0,1]
	v_pk_add_f32 v[174:175], v[174:175], v[8:9] neg_lo:[0,1] neg_hi:[0,1]
	s_delay_alu instid0(VALU_DEP_2) | instskip(SKIP_1) | instid1(VALU_DEP_1)
	v_pk_fma_f32 v[8:9], v[6:7], v[0:1], v[4:5] op_sel:[0,0,1] op_sel_hi:[1,1,0] neg_lo:[0,0,1] neg_hi:[0,0,1]
	v_pk_fma_f32 v[4:5], v[6:7], v[0:1], v[4:5] op_sel:[0,0,1] op_sel_hi:[1,0,0]
	v_mov_b32_e32 v9, v5
	ds_load_2addr_b64 v[4:7], v154 offset0:43 offset1:44
	v_pk_add_f32 v[176:177], v[176:177], v[8:9] neg_lo:[0,1] neg_hi:[0,1]
	s_wait_dscnt 0x0
	v_pk_mul_f32 v[8:9], v[4:5], v[2:3] op_sel:[0,1]
	s_delay_alu instid0(VALU_DEP_1) | instskip(SKIP_1) | instid1(VALU_DEP_1)
	v_pk_fma_f32 v[10:11], v[4:5], v[0:1], v[8:9] op_sel:[0,0,1] op_sel_hi:[1,1,0] neg_lo:[0,0,1] neg_hi:[0,0,1]
	v_pk_fma_f32 v[4:5], v[4:5], v[0:1], v[8:9] op_sel:[0,0,1] op_sel_hi:[1,0,0]
	v_mov_b32_e32 v11, v5
	v_pk_mul_f32 v[4:5], v[6:7], v[2:3] op_sel:[0,1]
	s_delay_alu instid0(VALU_DEP_2) | instskip(NEXT) | instid1(VALU_DEP_2)
	v_pk_add_f32 v[172:173], v[172:173], v[10:11] neg_lo:[0,1] neg_hi:[0,1]
	v_pk_fma_f32 v[8:9], v[6:7], v[0:1], v[4:5] op_sel:[0,0,1] op_sel_hi:[1,1,0] neg_lo:[0,0,1] neg_hi:[0,0,1]
	v_pk_fma_f32 v[4:5], v[6:7], v[0:1], v[4:5] op_sel:[0,0,1] op_sel_hi:[1,0,0]
	s_delay_alu instid0(VALU_DEP_1) | instskip(SKIP_4) | instid1(VALU_DEP_1)
	v_mov_b32_e32 v9, v5
	ds_load_2addr_b64 v[4:7], v154 offset0:45 offset1:46
	v_pk_add_f32 v[196:197], v[196:197], v[8:9] neg_lo:[0,1] neg_hi:[0,1]
	s_wait_dscnt 0x0
	v_pk_mul_f32 v[8:9], v[4:5], v[2:3] op_sel:[0,1]
	v_pk_fma_f32 v[10:11], v[4:5], v[0:1], v[8:9] op_sel:[0,0,1] op_sel_hi:[1,1,0] neg_lo:[0,0,1] neg_hi:[0,0,1]
	v_pk_fma_f32 v[4:5], v[4:5], v[0:1], v[8:9] op_sel:[0,0,1] op_sel_hi:[1,0,0]
	v_dual_mul_f32 v8, v7, v3 :: v_dual_mov_b32 v4, v7
	s_delay_alu instid0(VALU_DEP_2) | instskip(NEXT) | instid1(VALU_DEP_2)
	v_dual_mov_b32 v11, v5 :: v_dual_mov_b32 v5, v6
	v_pk_fma_f32 v[8:9], v[6:7], v[46:47], v[8:9] op_sel_hi:[1,1,0] neg_lo:[0,0,1] neg_hi:[0,0,1]
	v_mul_f32_e32 v6, v7, v0
	s_delay_alu instid0(VALU_DEP_3) | instskip(NEXT) | instid1(VALU_DEP_2)
	v_pk_add_f32 v[192:193], v[192:193], v[10:11] neg_lo:[0,1] neg_hi:[0,1]
	v_pk_fma_f32 v[4:5], v[4:5], v[46:47], v[6:7] op_sel_hi:[1,1,0]
	s_delay_alu instid0(VALU_DEP_1) | instskip(SKIP_4) | instid1(VALU_DEP_1)
	v_mov_b32_e32 v9, v5
	ds_load_2addr_b64 v[4:7], v154 offset0:47 offset1:48
	v_pk_add_f32 v[194:195], v[194:195], v[8:9] neg_lo:[0,1] neg_hi:[0,1]
	s_wait_dscnt 0x0
	v_pk_mul_f32 v[8:9], v[4:5], v[2:3] op_sel:[0,1]
	v_pk_fma_f32 v[10:11], v[4:5], v[0:1], v[8:9] op_sel:[0,0,1] op_sel_hi:[1,1,0] neg_lo:[0,0,1] neg_hi:[0,0,1]
	v_pk_fma_f32 v[4:5], v[4:5], v[0:1], v[8:9] op_sel:[0,0,1] op_sel_hi:[1,0,0]
	s_delay_alu instid0(VALU_DEP_1) | instskip(SKIP_1) | instid1(VALU_DEP_1)
	v_mov_b32_e32 v11, v5
	v_pk_mul_f32 v[4:5], v[6:7], v[2:3] op_sel:[0,1]
	v_pk_fma_f32 v[8:9], v[6:7], v[0:1], v[4:5] op_sel:[0,0,1] op_sel_hi:[1,1,0] neg_lo:[0,0,1] neg_hi:[0,0,1]
	v_pk_fma_f32 v[4:5], v[6:7], v[0:1], v[4:5] op_sel:[0,0,1] op_sel_hi:[1,0,0]
	s_delay_alu instid0(VALU_DEP_1)
	v_mov_b32_e32 v9, v5
	ds_load_2addr_b64 v[4:7], v154 offset0:49 offset1:50
	v_pk_add_f32 v[190:191], v[190:191], v[10:11] neg_lo:[0,1] neg_hi:[0,1]
	v_pk_add_f32 v[216:217], v[216:217], v[8:9] neg_lo:[0,1] neg_hi:[0,1]
	s_wait_dscnt 0x0
	v_pk_mul_f32 v[8:9], v[4:5], v[2:3] op_sel:[0,1]
	s_delay_alu instid0(VALU_DEP_1) | instskip(SKIP_1) | instid1(VALU_DEP_1)
	v_pk_fma_f32 v[10:11], v[4:5], v[0:1], v[8:9] op_sel:[0,0,1] op_sel_hi:[1,1,0] neg_lo:[0,0,1] neg_hi:[0,0,1]
	v_pk_fma_f32 v[4:5], v[4:5], v[0:1], v[8:9] op_sel:[0,0,1] op_sel_hi:[1,0,0]
	v_mov_b32_e32 v11, v5
	v_pk_mul_f32 v[4:5], v[6:7], v[2:3] op_sel:[0,1]
	s_delay_alu instid0(VALU_DEP_1) | instskip(SKIP_1) | instid1(VALU_DEP_1)
	v_pk_fma_f32 v[8:9], v[6:7], v[0:1], v[4:5] op_sel:[0,0,1] op_sel_hi:[1,1,0] neg_lo:[0,0,1] neg_hi:[0,0,1]
	v_pk_fma_f32 v[4:5], v[6:7], v[0:1], v[4:5] op_sel:[0,0,1] op_sel_hi:[1,0,0]
	v_mov_b32_e32 v9, v5
	ds_load_2addr_b64 v[4:7], v154 offset0:51 offset1:52
	v_pk_add_f32 v[210:211], v[210:211], v[10:11] neg_lo:[0,1] neg_hi:[0,1]
	v_pk_add_f32 v[214:215], v[214:215], v[8:9] neg_lo:[0,1] neg_hi:[0,1]
	s_wait_dscnt 0x0
	v_dual_mul_f32 v8, v5, v3 :: v_dual_mul_f32 v10, v5, v0
	s_delay_alu instid0(VALU_DEP_1) | instskip(NEXT) | instid1(VALU_DEP_2)
	v_pk_fma_f32 v[8:9], v[4:5], v[46:47], v[8:9] op_sel_hi:[1,1,0] neg_lo:[0,0,1] neg_hi:[0,0,1]
	v_pk_fma_f32 v[4:5], v[4:5], v[46:47], v[10:11] op_sel:[1,0,0] op_sel_hi:[0,1,0]
	s_delay_alu instid0(VALU_DEP_1) | instskip(SKIP_1) | instid1(VALU_DEP_2)
	v_mov_b32_e32 v9, v5
	v_pk_mul_f32 v[4:5], v[6:7], v[2:3] op_sel:[0,1]
	v_pk_add_f32 v[208:209], v[208:209], v[8:9] neg_lo:[0,1] neg_hi:[0,1]
	s_delay_alu instid0(VALU_DEP_2) | instskip(SKIP_1) | instid1(VALU_DEP_1)
	v_pk_fma_f32 v[8:9], v[6:7], v[0:1], v[4:5] op_sel:[0,0,1] op_sel_hi:[1,1,0] neg_lo:[0,0,1] neg_hi:[0,0,1]
	v_pk_fma_f32 v[4:5], v[6:7], v[0:1], v[4:5] op_sel:[0,0,1] op_sel_hi:[1,0,0]
	v_mov_b32_e32 v9, v5
	ds_load_2addr_b64 v[4:7], v154 offset0:53 offset1:54
	v_pk_add_f32 v[212:213], v[212:213], v[8:9] neg_lo:[0,1] neg_hi:[0,1]
	s_wait_dscnt 0x0
	v_pk_mul_f32 v[8:9], v[4:5], v[2:3] op_sel:[0,1]
	v_pk_mul_f32 v[2:3], v[6:7], v[2:3] op_sel:[0,1]
	s_delay_alu instid0(VALU_DEP_2) | instskip(SKIP_1) | instid1(VALU_DEP_1)
	v_pk_fma_f32 v[10:11], v[4:5], v[0:1], v[8:9] op_sel:[0,0,1] op_sel_hi:[1,1,0] neg_lo:[0,0,1] neg_hi:[0,0,1]
	v_pk_fma_f32 v[4:5], v[4:5], v[0:1], v[8:9] op_sel:[0,0,1] op_sel_hi:[1,0,0]
	v_mov_b32_e32 v11, v5
	s_delay_alu instid0(VALU_DEP_4) | instskip(SKIP_1) | instid1(VALU_DEP_3)
	v_pk_fma_f32 v[4:5], v[6:7], v[0:1], v[2:3] op_sel:[0,0,1] op_sel_hi:[1,1,0] neg_lo:[0,0,1] neg_hi:[0,0,1]
	v_pk_fma_f32 v[0:1], v[6:7], v[0:1], v[2:3] op_sel:[0,0,1] op_sel_hi:[1,0,0]
	v_pk_add_f32 v[218:219], v[218:219], v[10:11] neg_lo:[0,1] neg_hi:[0,1]
	s_delay_alu instid0(VALU_DEP_2) | instskip(NEXT) | instid1(VALU_DEP_1)
	v_mov_b32_e32 v5, v1
	v_pk_add_f32 v[220:221], v[220:221], v[4:5] neg_lo:[0,1] neg_hi:[0,1]
.LBB109_28:
	s_wait_xcnt 0x0
	s_or_b32 exec_lo, exec_lo, s1
	s_delay_alu instid0(SALU_CYCLE_1)
	s_mov_b32 s2, exec_lo
	s_wait_storecnt 0x0
	s_barrier_signal -1
	s_barrier_wait -1
	v_cmpx_eq_u32_e32 3, v152
	s_cbranch_execz .LBB109_35
; %bb.29:
	v_dual_mov_b32 v0, v26 :: v_dual_mov_b32 v1, v27
	v_dual_mov_b32 v2, v22 :: v_dual_mov_b32 v3, v23
	;; [unrolled: 1-line block ×4, first 2 shown]
	ds_store_b64 v153, v[44:45]
	ds_store_2addr_b64 v154, v[0:1], v[2:3] offset0:4 offset1:5
	ds_store_2addr_b64 v154, v[4:5], v[6:7] offset0:6 offset1:7
	v_dual_mov_b32 v0, v40 :: v_dual_mov_b32 v1, v41
	v_dual_mov_b32 v2, v36 :: v_dual_mov_b32 v3, v37
	v_dual_mov_b32 v4, v38 :: v_dual_mov_b32 v5, v39
	v_dual_mov_b32 v6, v34 :: v_dual_mov_b32 v7, v35
	v_dual_mov_b32 v8, v64 :: v_dual_mov_b32 v9, v65
	v_dual_mov_b32 v10, v60 :: v_dual_mov_b32 v11, v61
	v_dual_mov_b32 v12, v62 :: v_dual_mov_b32 v13, v63
	v_dual_mov_b32 v14, v58 :: v_dual_mov_b32 v15, v59
	v_dual_mov_b32 v18, v80 :: v_dual_mov_b32 v19, v81
	v_dual_mov_b32 v28, v76 :: v_dual_mov_b32 v29, v77
	v_dual_mov_b32 v30, v78 :: v_dual_mov_b32 v31, v79
	v_dual_mov_b32 v32, v74 :: v_dual_mov_b32 v33, v75
	ds_store_2addr_b64 v154, v[0:1], v[2:3] offset0:8 offset1:9
	ds_store_2addr_b64 v154, v[4:5], v[6:7] offset0:10 offset1:11
	ds_store_2addr_b64 v154, v[8:9], v[10:11] offset0:12 offset1:13
	ds_store_2addr_b64 v154, v[12:13], v[14:15] offset0:14 offset1:15
	ds_store_2addr_b64 v154, v[18:19], v[28:29] offset0:16 offset1:17
	ds_store_2addr_b64 v154, v[30:31], v[32:33] offset0:18 offset1:19
	v_dual_mov_b32 v0, v96 :: v_dual_mov_b32 v1, v97
	v_dual_mov_b32 v2, v92 :: v_dual_mov_b32 v3, v93
	v_dual_mov_b32 v4, v94 :: v_dual_mov_b32 v5, v95
	v_dual_mov_b32 v6, v90 :: v_dual_mov_b32 v7, v91
	v_dual_mov_b32 v8, v114 :: v_dual_mov_b32 v9, v115
	v_dual_mov_b32 v10, v110 :: v_dual_mov_b32 v11, v111
	v_dual_mov_b32 v12, v112 :: v_dual_mov_b32 v13, v113
	v_dual_mov_b32 v14, v108 :: v_dual_mov_b32 v15, v109
	v_dual_mov_b32 v18, v130 :: v_dual_mov_b32 v19, v131
	v_dual_mov_b32 v28, v126 :: v_dual_mov_b32 v29, v127
	v_dual_mov_b32 v30, v128 :: v_dual_mov_b32 v31, v129
	v_dual_mov_b32 v32, v124 :: v_dual_mov_b32 v33, v125
	ds_store_2addr_b64 v154, v[0:1], v[2:3] offset0:20 offset1:21
	ds_store_2addr_b64 v154, v[4:5], v[6:7] offset0:22 offset1:23
	ds_store_2addr_b64 v154, v[8:9], v[10:11] offset0:24 offset1:25
	ds_store_2addr_b64 v154, v[12:13], v[14:15] offset0:26 offset1:27
	;; [unrolled: 18-line block ×3, first 2 shown]
	ds_store_2addr_b64 v154, v[18:19], v[28:29] offset0:40 offset1:41
	ds_store_2addr_b64 v154, v[30:31], v[32:33] offset0:42 offset1:43
	v_dual_mov_b32 v0, v196 :: v_dual_mov_b32 v1, v197
	v_dual_mov_b32 v2, v192 :: v_dual_mov_b32 v3, v193
	;; [unrolled: 1-line block ×10, first 2 shown]
	ds_store_2addr_b64 v154, v[0:1], v[2:3] offset0:44 offset1:45
	ds_store_2addr_b64 v154, v[4:5], v[6:7] offset0:46 offset1:47
	;; [unrolled: 1-line block ×5, first 2 shown]
	ds_store_b64 v154, v[220:221] offset:432
	ds_load_b64 v[0:1], v153
	s_wait_dscnt 0x0
	v_cmp_neq_f32_e32 vcc_lo, 0, v0
	v_cmp_neq_f32_e64 s1, 0, v1
	s_or_b32 s1, vcc_lo, s1
	s_delay_alu instid0(SALU_CYCLE_1)
	s_and_b32 exec_lo, exec_lo, s1
	s_cbranch_execz .LBB109_35
; %bb.30:
	v_cmp_ngt_f32_e64 s1, |v0|, |v1|
                                        ; implicit-def: $vgpr2_vgpr3
	s_and_saveexec_b32 s4, s1
	s_delay_alu instid0(SALU_CYCLE_1)
	s_xor_b32 s1, exec_lo, s4
	s_cbranch_execz .LBB109_32
; %bb.31:
	v_div_scale_f32 v2, null, v1, v1, v0
	v_div_scale_f32 v5, vcc_lo, v0, v1, v0
	s_delay_alu instid0(VALU_DEP_2) | instskip(SKIP_1) | instid1(TRANS32_DEP_1)
	v_rcp_f32_e32 v3, v2
	v_nop
	v_fma_f32 v4, -v2, v3, 1.0
	s_delay_alu instid0(VALU_DEP_1) | instskip(NEXT) | instid1(VALU_DEP_1)
	v_fmac_f32_e32 v3, v4, v3
	v_mul_f32_e32 v4, v5, v3
	s_delay_alu instid0(VALU_DEP_1) | instskip(NEXT) | instid1(VALU_DEP_1)
	v_fma_f32 v6, -v2, v4, v5
	v_fmac_f32_e32 v4, v6, v3
	s_delay_alu instid0(VALU_DEP_1) | instskip(NEXT) | instid1(VALU_DEP_1)
	v_fma_f32 v2, -v2, v4, v5
	v_div_fmas_f32 v2, v2, v3, v4
	s_delay_alu instid0(VALU_DEP_1) | instskip(NEXT) | instid1(VALU_DEP_1)
	v_div_fixup_f32 v2, v2, v1, v0
	v_fmac_f32_e32 v1, v0, v2
	s_delay_alu instid0(VALU_DEP_1) | instskip(SKIP_1) | instid1(VALU_DEP_2)
	v_div_scale_f32 v0, null, v1, v1, 1.0
	v_div_scale_f32 v5, vcc_lo, 1.0, v1, 1.0
	v_rcp_f32_e32 v3, v0
	v_nop
	s_delay_alu instid0(TRANS32_DEP_1) | instskip(NEXT) | instid1(VALU_DEP_1)
	v_fma_f32 v4, -v0, v3, 1.0
	v_fmac_f32_e32 v3, v4, v3
	s_delay_alu instid0(VALU_DEP_1) | instskip(NEXT) | instid1(VALU_DEP_1)
	v_mul_f32_e32 v4, v5, v3
	v_fma_f32 v6, -v0, v4, v5
	s_delay_alu instid0(VALU_DEP_1) | instskip(NEXT) | instid1(VALU_DEP_1)
	v_fmac_f32_e32 v4, v6, v3
	v_fma_f32 v0, -v0, v4, v5
	s_delay_alu instid0(VALU_DEP_1) | instskip(NEXT) | instid1(VALU_DEP_1)
	v_div_fmas_f32 v0, v0, v3, v4
	v_div_fixup_f32 v0, v0, v1, 1.0
	s_delay_alu instid0(VALU_DEP_1)
	v_mul_f32_e32 v2, v2, v0
	v_xor_b32_e32 v3, 0x80000000, v0
                                        ; implicit-def: $vgpr0_vgpr1
.LBB109_32:
	s_and_not1_saveexec_b32 s1, s1
	s_cbranch_execz .LBB109_34
; %bb.33:
	v_div_scale_f32 v2, null, v0, v0, v1
	v_div_scale_f32 v5, vcc_lo, v1, v0, v1
	s_delay_alu instid0(VALU_DEP_2) | instskip(SKIP_1) | instid1(TRANS32_DEP_1)
	v_rcp_f32_e32 v3, v2
	v_nop
	v_fma_f32 v4, -v2, v3, 1.0
	s_delay_alu instid0(VALU_DEP_1) | instskip(NEXT) | instid1(VALU_DEP_1)
	v_fmac_f32_e32 v3, v4, v3
	v_mul_f32_e32 v4, v5, v3
	s_delay_alu instid0(VALU_DEP_1) | instskip(NEXT) | instid1(VALU_DEP_1)
	v_fma_f32 v6, -v2, v4, v5
	v_fmac_f32_e32 v4, v6, v3
	s_delay_alu instid0(VALU_DEP_1) | instskip(NEXT) | instid1(VALU_DEP_1)
	v_fma_f32 v2, -v2, v4, v5
	v_div_fmas_f32 v2, v2, v3, v4
	s_delay_alu instid0(VALU_DEP_1) | instskip(NEXT) | instid1(VALU_DEP_1)
	v_div_fixup_f32 v3, v2, v0, v1
	v_fmac_f32_e32 v0, v1, v3
	s_delay_alu instid0(VALU_DEP_1) | instskip(NEXT) | instid1(VALU_DEP_1)
	v_div_scale_f32 v1, null, v0, v0, 1.0
	v_rcp_f32_e32 v2, v1
	v_nop
	s_delay_alu instid0(TRANS32_DEP_1) | instskip(NEXT) | instid1(VALU_DEP_1)
	v_fma_f32 v4, -v1, v2, 1.0
	v_fmac_f32_e32 v2, v4, v2
	v_div_scale_f32 v4, vcc_lo, 1.0, v0, 1.0
	s_delay_alu instid0(VALU_DEP_1) | instskip(NEXT) | instid1(VALU_DEP_1)
	v_mul_f32_e32 v5, v4, v2
	v_fma_f32 v6, -v1, v5, v4
	s_delay_alu instid0(VALU_DEP_1) | instskip(NEXT) | instid1(VALU_DEP_1)
	v_fmac_f32_e32 v5, v6, v2
	v_fma_f32 v1, -v1, v5, v4
	s_delay_alu instid0(VALU_DEP_1) | instskip(NEXT) | instid1(VALU_DEP_1)
	v_div_fmas_f32 v1, v1, v2, v5
	v_div_fixup_f32 v2, v1, v0, 1.0
	s_delay_alu instid0(VALU_DEP_1)
	v_mul_f32_e64 v3, v3, -v2
.LBB109_34:
	s_or_b32 exec_lo, exec_lo, s1
	ds_store_b64 v153, v[2:3]
.LBB109_35:
	s_or_b32 exec_lo, exec_lo, s2
	s_wait_dscnt 0x0
	s_barrier_signal -1
	s_barrier_wait -1
	ds_load_b64 v[0:1], v153
	s_mov_b32 s1, exec_lo
	s_wait_dscnt 0x0
	scratch_store_b64 off, v[0:1], off offset:232 ; 8-byte Folded Spill
	s_wait_xcnt 0x0
	v_cmpx_lt_u32_e32 3, v152
	s_cbranch_execz .LBB109_37
; %bb.36:
	scratch_load_b64 v[4:5], off, off offset:232 ; 8-byte Folded Reload
	s_wait_loadcnt 0x0
	v_pk_mul_f32 v[2:3], v[4:5], v[44:45] op_sel:[1,1] op_sel_hi:[0,1]
	s_delay_alu instid0(VALU_DEP_1)
	v_pk_fma_f32 v[0:1], v[4:5], v[44:45], v[2:3] op_sel_hi:[1,0,1] neg_lo:[0,0,1] neg_hi:[0,0,1]
	v_pk_fma_f32 v[2:3], v[4:5], v[44:45], v[2:3] op_sel_hi:[1,0,1]
	ds_load_2addr_b64 v[4:7], v154 offset0:4 offset1:5
	v_dual_mov_b32 v44, v0 :: v_dual_mov_b32 v45, v3
	s_wait_dscnt 0x0
	v_pk_mul_f32 v[8:9], v[4:5], v[2:3] op_sel:[0,1]
	s_delay_alu instid0(VALU_DEP_1) | instskip(SKIP_1) | instid1(VALU_DEP_1)
	v_pk_fma_f32 v[10:11], v[4:5], v[0:1], v[8:9] op_sel:[0,0,1] op_sel_hi:[1,1,0] neg_lo:[0,0,1] neg_hi:[0,0,1]
	v_pk_fma_f32 v[4:5], v[4:5], v[0:1], v[8:9] op_sel:[0,0,1] op_sel_hi:[1,0,0]
	v_mov_b32_e32 v11, v5
	v_pk_mul_f32 v[4:5], v[6:7], v[2:3] op_sel:[0,1]
	s_delay_alu instid0(VALU_DEP_1) | instskip(SKIP_1) | instid1(VALU_DEP_1)
	v_pk_fma_f32 v[8:9], v[6:7], v[0:1], v[4:5] op_sel:[0,0,1] op_sel_hi:[1,1,0] neg_lo:[0,0,1] neg_hi:[0,0,1]
	v_pk_fma_f32 v[4:5], v[6:7], v[0:1], v[4:5] op_sel:[0,0,1] op_sel_hi:[1,0,0]
	v_mov_b32_e32 v9, v5
	ds_load_2addr_b64 v[4:7], v154 offset0:6 offset1:7
	v_pk_add_f32 v[26:27], v[26:27], v[10:11] neg_lo:[0,1] neg_hi:[0,1]
	v_pk_add_f32 v[22:23], v[22:23], v[8:9] neg_lo:[0,1] neg_hi:[0,1]
	s_wait_dscnt 0x0
	v_pk_mul_f32 v[8:9], v[4:5], v[2:3] op_sel:[0,1]
	s_delay_alu instid0(VALU_DEP_1) | instskip(SKIP_2) | instid1(VALU_DEP_2)
	v_pk_fma_f32 v[10:11], v[4:5], v[0:1], v[8:9] op_sel:[0,0,1] op_sel_hi:[1,1,0] neg_lo:[0,0,1] neg_hi:[0,0,1]
	v_pk_fma_f32 v[4:5], v[4:5], v[0:1], v[8:9] op_sel:[0,0,1] op_sel_hi:[1,0,0]
	v_dual_mul_f32 v8, v7, v3 :: v_dual_mov_b32 v4, v7
	v_dual_mov_b32 v11, v5 :: v_dual_mov_b32 v5, v6
	s_delay_alu instid0(VALU_DEP_2) | instskip(SKIP_1) | instid1(VALU_DEP_3)
	v_pk_fma_f32 v[8:9], v[6:7], v[44:45], v[8:9] op_sel_hi:[1,1,0] neg_lo:[0,0,1] neg_hi:[0,0,1]
	v_mul_f32_e32 v6, v7, v0
	v_pk_add_f32 v[24:25], v[24:25], v[10:11] neg_lo:[0,1] neg_hi:[0,1]
	s_delay_alu instid0(VALU_DEP_2) | instskip(NEXT) | instid1(VALU_DEP_1)
	v_pk_fma_f32 v[4:5], v[4:5], v[44:45], v[6:7] op_sel_hi:[1,1,0]
	v_mov_b32_e32 v9, v5
	ds_load_2addr_b64 v[4:7], v154 offset0:8 offset1:9
	v_pk_add_f32 v[20:21], v[20:21], v[8:9] neg_lo:[0,1] neg_hi:[0,1]
	s_wait_dscnt 0x0
	v_pk_mul_f32 v[8:9], v[4:5], v[2:3] op_sel:[0,1]
	s_delay_alu instid0(VALU_DEP_1) | instskip(SKIP_1) | instid1(VALU_DEP_1)
	v_pk_fma_f32 v[10:11], v[4:5], v[0:1], v[8:9] op_sel:[0,0,1] op_sel_hi:[1,1,0] neg_lo:[0,0,1] neg_hi:[0,0,1]
	v_pk_fma_f32 v[4:5], v[4:5], v[0:1], v[8:9] op_sel:[0,0,1] op_sel_hi:[1,0,0]
	v_mov_b32_e32 v11, v5
	v_pk_mul_f32 v[4:5], v[6:7], v[2:3] op_sel:[0,1]
	s_delay_alu instid0(VALU_DEP_1) | instskip(SKIP_1) | instid1(VALU_DEP_1)
	v_pk_fma_f32 v[8:9], v[6:7], v[0:1], v[4:5] op_sel:[0,0,1] op_sel_hi:[1,1,0] neg_lo:[0,0,1] neg_hi:[0,0,1]
	v_pk_fma_f32 v[4:5], v[6:7], v[0:1], v[4:5] op_sel:[0,0,1] op_sel_hi:[1,0,0]
	v_mov_b32_e32 v9, v5
	ds_load_2addr_b64 v[4:7], v154 offset0:10 offset1:11
	v_pk_add_f32 v[40:41], v[40:41], v[10:11] neg_lo:[0,1] neg_hi:[0,1]
	v_pk_add_f32 v[36:37], v[36:37], v[8:9] neg_lo:[0,1] neg_hi:[0,1]
	s_wait_dscnt 0x0
	v_pk_mul_f32 v[8:9], v[4:5], v[2:3] op_sel:[0,1]
	s_delay_alu instid0(VALU_DEP_1) | instskip(SKIP_1) | instid1(VALU_DEP_1)
	v_pk_fma_f32 v[10:11], v[4:5], v[0:1], v[8:9] op_sel:[0,0,1] op_sel_hi:[1,1,0] neg_lo:[0,0,1] neg_hi:[0,0,1]
	v_pk_fma_f32 v[4:5], v[4:5], v[0:1], v[8:9] op_sel:[0,0,1] op_sel_hi:[1,0,0]
	v_mov_b32_e32 v11, v5
	v_pk_mul_f32 v[4:5], v[6:7], v[2:3] op_sel:[0,1]
	s_delay_alu instid0(VALU_DEP_1) | instskip(SKIP_1) | instid1(VALU_DEP_1)
	v_pk_fma_f32 v[8:9], v[6:7], v[0:1], v[4:5] op_sel:[0,0,1] op_sel_hi:[1,1,0] neg_lo:[0,0,1] neg_hi:[0,0,1]
	v_pk_fma_f32 v[4:5], v[6:7], v[0:1], v[4:5] op_sel:[0,0,1] op_sel_hi:[1,0,0]
	v_mov_b32_e32 v9, v5
	ds_load_2addr_b64 v[4:7], v154 offset0:12 offset1:13
	v_pk_add_f32 v[38:39], v[38:39], v[10:11] neg_lo:[0,1] neg_hi:[0,1]
	v_pk_add_f32 v[34:35], v[34:35], v[8:9] neg_lo:[0,1] neg_hi:[0,1]
	s_wait_dscnt 0x0
	v_dual_mul_f32 v8, v5, v3 :: v_dual_mul_f32 v10, v5, v0
	s_delay_alu instid0(VALU_DEP_1) | instskip(NEXT) | instid1(VALU_DEP_2)
	v_pk_fma_f32 v[8:9], v[4:5], v[44:45], v[8:9] op_sel_hi:[1,1,0] neg_lo:[0,0,1] neg_hi:[0,0,1]
	v_pk_fma_f32 v[4:5], v[4:5], v[44:45], v[10:11] op_sel:[1,0,0] op_sel_hi:[0,1,0]
	s_delay_alu instid0(VALU_DEP_1) | instskip(SKIP_1) | instid1(VALU_DEP_2)
	v_mov_b32_e32 v9, v5
	v_pk_mul_f32 v[4:5], v[6:7], v[2:3] op_sel:[0,1]
	v_pk_add_f32 v[64:65], v[64:65], v[8:9] neg_lo:[0,1] neg_hi:[0,1]
	s_delay_alu instid0(VALU_DEP_2) | instskip(SKIP_1) | instid1(VALU_DEP_1)
	v_pk_fma_f32 v[8:9], v[6:7], v[0:1], v[4:5] op_sel:[0,0,1] op_sel_hi:[1,1,0] neg_lo:[0,0,1] neg_hi:[0,0,1]
	v_pk_fma_f32 v[4:5], v[6:7], v[0:1], v[4:5] op_sel:[0,0,1] op_sel_hi:[1,0,0]
	v_mov_b32_e32 v9, v5
	ds_load_2addr_b64 v[4:7], v154 offset0:14 offset1:15
	v_pk_add_f32 v[60:61], v[60:61], v[8:9] neg_lo:[0,1] neg_hi:[0,1]
	s_wait_dscnt 0x0
	v_pk_mul_f32 v[8:9], v[4:5], v[2:3] op_sel:[0,1]
	s_delay_alu instid0(VALU_DEP_1) | instskip(SKIP_1) | instid1(VALU_DEP_1)
	v_pk_fma_f32 v[10:11], v[4:5], v[0:1], v[8:9] op_sel:[0,0,1] op_sel_hi:[1,1,0] neg_lo:[0,0,1] neg_hi:[0,0,1]
	v_pk_fma_f32 v[4:5], v[4:5], v[0:1], v[8:9] op_sel:[0,0,1] op_sel_hi:[1,0,0]
	v_mov_b32_e32 v11, v5
	v_pk_mul_f32 v[4:5], v[6:7], v[2:3] op_sel:[0,1]
	s_delay_alu instid0(VALU_DEP_2) | instskip(NEXT) | instid1(VALU_DEP_2)
	v_pk_add_f32 v[62:63], v[62:63], v[10:11] neg_lo:[0,1] neg_hi:[0,1]
	v_pk_fma_f32 v[8:9], v[6:7], v[0:1], v[4:5] op_sel:[0,0,1] op_sel_hi:[1,1,0] neg_lo:[0,0,1] neg_hi:[0,0,1]
	v_pk_fma_f32 v[4:5], v[6:7], v[0:1], v[4:5] op_sel:[0,0,1] op_sel_hi:[1,0,0]
	s_delay_alu instid0(VALU_DEP_1) | instskip(SKIP_4) | instid1(VALU_DEP_1)
	v_mov_b32_e32 v9, v5
	ds_load_2addr_b64 v[4:7], v154 offset0:16 offset1:17
	v_pk_add_f32 v[58:59], v[58:59], v[8:9] neg_lo:[0,1] neg_hi:[0,1]
	s_wait_dscnt 0x0
	v_pk_mul_f32 v[8:9], v[4:5], v[2:3] op_sel:[0,1]
	v_pk_fma_f32 v[10:11], v[4:5], v[0:1], v[8:9] op_sel:[0,0,1] op_sel_hi:[1,1,0] neg_lo:[0,0,1] neg_hi:[0,0,1]
	v_pk_fma_f32 v[4:5], v[4:5], v[0:1], v[8:9] op_sel:[0,0,1] op_sel_hi:[1,0,0]
	v_dual_mul_f32 v8, v7, v3 :: v_dual_mov_b32 v4, v7
	s_delay_alu instid0(VALU_DEP_2) | instskip(NEXT) | instid1(VALU_DEP_2)
	v_dual_mov_b32 v11, v5 :: v_dual_mov_b32 v5, v6
	v_pk_fma_f32 v[8:9], v[6:7], v[44:45], v[8:9] op_sel_hi:[1,1,0] neg_lo:[0,0,1] neg_hi:[0,0,1]
	v_mul_f32_e32 v6, v7, v0
	s_delay_alu instid0(VALU_DEP_3) | instskip(NEXT) | instid1(VALU_DEP_2)
	v_pk_add_f32 v[80:81], v[80:81], v[10:11] neg_lo:[0,1] neg_hi:[0,1]
	v_pk_fma_f32 v[4:5], v[4:5], v[44:45], v[6:7] op_sel_hi:[1,1,0]
	s_delay_alu instid0(VALU_DEP_1) | instskip(SKIP_4) | instid1(VALU_DEP_1)
	v_mov_b32_e32 v9, v5
	ds_load_2addr_b64 v[4:7], v154 offset0:18 offset1:19
	v_pk_add_f32 v[76:77], v[76:77], v[8:9] neg_lo:[0,1] neg_hi:[0,1]
	s_wait_dscnt 0x0
	v_pk_mul_f32 v[8:9], v[4:5], v[2:3] op_sel:[0,1]
	v_pk_fma_f32 v[10:11], v[4:5], v[0:1], v[8:9] op_sel:[0,0,1] op_sel_hi:[1,1,0] neg_lo:[0,0,1] neg_hi:[0,0,1]
	v_pk_fma_f32 v[4:5], v[4:5], v[0:1], v[8:9] op_sel:[0,0,1] op_sel_hi:[1,0,0]
	s_delay_alu instid0(VALU_DEP_1) | instskip(SKIP_1) | instid1(VALU_DEP_1)
	v_mov_b32_e32 v11, v5
	v_pk_mul_f32 v[4:5], v[6:7], v[2:3] op_sel:[0,1]
	v_pk_fma_f32 v[8:9], v[6:7], v[0:1], v[4:5] op_sel:[0,0,1] op_sel_hi:[1,1,0] neg_lo:[0,0,1] neg_hi:[0,0,1]
	v_pk_fma_f32 v[4:5], v[6:7], v[0:1], v[4:5] op_sel:[0,0,1] op_sel_hi:[1,0,0]
	s_delay_alu instid0(VALU_DEP_1)
	v_mov_b32_e32 v9, v5
	ds_load_2addr_b64 v[4:7], v154 offset0:20 offset1:21
	v_pk_add_f32 v[78:79], v[78:79], v[10:11] neg_lo:[0,1] neg_hi:[0,1]
	v_pk_add_f32 v[74:75], v[74:75], v[8:9] neg_lo:[0,1] neg_hi:[0,1]
	s_wait_dscnt 0x0
	v_pk_mul_f32 v[8:9], v[4:5], v[2:3] op_sel:[0,1]
	s_delay_alu instid0(VALU_DEP_1) | instskip(SKIP_1) | instid1(VALU_DEP_1)
	v_pk_fma_f32 v[10:11], v[4:5], v[0:1], v[8:9] op_sel:[0,0,1] op_sel_hi:[1,1,0] neg_lo:[0,0,1] neg_hi:[0,0,1]
	v_pk_fma_f32 v[4:5], v[4:5], v[0:1], v[8:9] op_sel:[0,0,1] op_sel_hi:[1,0,0]
	v_mov_b32_e32 v11, v5
	v_pk_mul_f32 v[4:5], v[6:7], v[2:3] op_sel:[0,1]
	s_delay_alu instid0(VALU_DEP_1) | instskip(SKIP_1) | instid1(VALU_DEP_1)
	v_pk_fma_f32 v[8:9], v[6:7], v[0:1], v[4:5] op_sel:[0,0,1] op_sel_hi:[1,1,0] neg_lo:[0,0,1] neg_hi:[0,0,1]
	v_pk_fma_f32 v[4:5], v[6:7], v[0:1], v[4:5] op_sel:[0,0,1] op_sel_hi:[1,0,0]
	v_mov_b32_e32 v9, v5
	ds_load_2addr_b64 v[4:7], v154 offset0:22 offset1:23
	v_pk_add_f32 v[96:97], v[96:97], v[10:11] neg_lo:[0,1] neg_hi:[0,1]
	v_pk_add_f32 v[92:93], v[92:93], v[8:9] neg_lo:[0,1] neg_hi:[0,1]
	s_wait_dscnt 0x0
	v_dual_mul_f32 v8, v5, v3 :: v_dual_mul_f32 v10, v5, v0
	s_delay_alu instid0(VALU_DEP_1) | instskip(NEXT) | instid1(VALU_DEP_2)
	v_pk_fma_f32 v[8:9], v[4:5], v[44:45], v[8:9] op_sel_hi:[1,1,0] neg_lo:[0,0,1] neg_hi:[0,0,1]
	v_pk_fma_f32 v[4:5], v[4:5], v[44:45], v[10:11] op_sel:[1,0,0] op_sel_hi:[0,1,0]
	s_delay_alu instid0(VALU_DEP_1) | instskip(SKIP_1) | instid1(VALU_DEP_2)
	v_mov_b32_e32 v9, v5
	v_pk_mul_f32 v[4:5], v[6:7], v[2:3] op_sel:[0,1]
	v_pk_add_f32 v[94:95], v[94:95], v[8:9] neg_lo:[0,1] neg_hi:[0,1]
	s_delay_alu instid0(VALU_DEP_2) | instskip(SKIP_1) | instid1(VALU_DEP_1)
	v_pk_fma_f32 v[8:9], v[6:7], v[0:1], v[4:5] op_sel:[0,0,1] op_sel_hi:[1,1,0] neg_lo:[0,0,1] neg_hi:[0,0,1]
	v_pk_fma_f32 v[4:5], v[6:7], v[0:1], v[4:5] op_sel:[0,0,1] op_sel_hi:[1,0,0]
	v_mov_b32_e32 v9, v5
	ds_load_2addr_b64 v[4:7], v154 offset0:24 offset1:25
	v_pk_add_f32 v[90:91], v[90:91], v[8:9] neg_lo:[0,1] neg_hi:[0,1]
	s_wait_dscnt 0x0
	v_pk_mul_f32 v[8:9], v[4:5], v[2:3] op_sel:[0,1]
	s_delay_alu instid0(VALU_DEP_1) | instskip(SKIP_1) | instid1(VALU_DEP_1)
	v_pk_fma_f32 v[10:11], v[4:5], v[0:1], v[8:9] op_sel:[0,0,1] op_sel_hi:[1,1,0] neg_lo:[0,0,1] neg_hi:[0,0,1]
	v_pk_fma_f32 v[4:5], v[4:5], v[0:1], v[8:9] op_sel:[0,0,1] op_sel_hi:[1,0,0]
	v_mov_b32_e32 v11, v5
	v_pk_mul_f32 v[4:5], v[6:7], v[2:3] op_sel:[0,1]
	s_delay_alu instid0(VALU_DEP_2) | instskip(NEXT) | instid1(VALU_DEP_2)
	v_pk_add_f32 v[114:115], v[114:115], v[10:11] neg_lo:[0,1] neg_hi:[0,1]
	v_pk_fma_f32 v[8:9], v[6:7], v[0:1], v[4:5] op_sel:[0,0,1] op_sel_hi:[1,1,0] neg_lo:[0,0,1] neg_hi:[0,0,1]
	v_pk_fma_f32 v[4:5], v[6:7], v[0:1], v[4:5] op_sel:[0,0,1] op_sel_hi:[1,0,0]
	s_delay_alu instid0(VALU_DEP_1) | instskip(SKIP_4) | instid1(VALU_DEP_1)
	v_mov_b32_e32 v9, v5
	ds_load_2addr_b64 v[4:7], v154 offset0:26 offset1:27
	v_pk_add_f32 v[110:111], v[110:111], v[8:9] neg_lo:[0,1] neg_hi:[0,1]
	s_wait_dscnt 0x0
	v_pk_mul_f32 v[8:9], v[4:5], v[2:3] op_sel:[0,1]
	v_pk_fma_f32 v[10:11], v[4:5], v[0:1], v[8:9] op_sel:[0,0,1] op_sel_hi:[1,1,0] neg_lo:[0,0,1] neg_hi:[0,0,1]
	v_pk_fma_f32 v[4:5], v[4:5], v[0:1], v[8:9] op_sel:[0,0,1] op_sel_hi:[1,0,0]
	v_dual_mul_f32 v8, v7, v3 :: v_dual_mov_b32 v4, v7
	s_delay_alu instid0(VALU_DEP_2) | instskip(NEXT) | instid1(VALU_DEP_2)
	v_dual_mov_b32 v11, v5 :: v_dual_mov_b32 v5, v6
	v_pk_fma_f32 v[8:9], v[6:7], v[44:45], v[8:9] op_sel_hi:[1,1,0] neg_lo:[0,0,1] neg_hi:[0,0,1]
	v_mul_f32_e32 v6, v7, v0
	s_delay_alu instid0(VALU_DEP_3) | instskip(NEXT) | instid1(VALU_DEP_2)
	v_pk_add_f32 v[112:113], v[112:113], v[10:11] neg_lo:[0,1] neg_hi:[0,1]
	v_pk_fma_f32 v[4:5], v[4:5], v[44:45], v[6:7] op_sel_hi:[1,1,0]
	s_delay_alu instid0(VALU_DEP_1) | instskip(SKIP_4) | instid1(VALU_DEP_1)
	v_mov_b32_e32 v9, v5
	ds_load_2addr_b64 v[4:7], v154 offset0:28 offset1:29
	v_pk_add_f32 v[108:109], v[108:109], v[8:9] neg_lo:[0,1] neg_hi:[0,1]
	s_wait_dscnt 0x0
	v_pk_mul_f32 v[8:9], v[4:5], v[2:3] op_sel:[0,1]
	v_pk_fma_f32 v[10:11], v[4:5], v[0:1], v[8:9] op_sel:[0,0,1] op_sel_hi:[1,1,0] neg_lo:[0,0,1] neg_hi:[0,0,1]
	v_pk_fma_f32 v[4:5], v[4:5], v[0:1], v[8:9] op_sel:[0,0,1] op_sel_hi:[1,0,0]
	s_delay_alu instid0(VALU_DEP_1) | instskip(SKIP_1) | instid1(VALU_DEP_1)
	v_mov_b32_e32 v11, v5
	v_pk_mul_f32 v[4:5], v[6:7], v[2:3] op_sel:[0,1]
	v_pk_fma_f32 v[8:9], v[6:7], v[0:1], v[4:5] op_sel:[0,0,1] op_sel_hi:[1,1,0] neg_lo:[0,0,1] neg_hi:[0,0,1]
	v_pk_fma_f32 v[4:5], v[6:7], v[0:1], v[4:5] op_sel:[0,0,1] op_sel_hi:[1,0,0]
	s_delay_alu instid0(VALU_DEP_1)
	v_mov_b32_e32 v9, v5
	ds_load_2addr_b64 v[4:7], v154 offset0:30 offset1:31
	v_pk_add_f32 v[130:131], v[130:131], v[10:11] neg_lo:[0,1] neg_hi:[0,1]
	v_pk_add_f32 v[126:127], v[126:127], v[8:9] neg_lo:[0,1] neg_hi:[0,1]
	s_wait_dscnt 0x0
	v_pk_mul_f32 v[8:9], v[4:5], v[2:3] op_sel:[0,1]
	s_delay_alu instid0(VALU_DEP_1) | instskip(SKIP_1) | instid1(VALU_DEP_1)
	v_pk_fma_f32 v[10:11], v[4:5], v[0:1], v[8:9] op_sel:[0,0,1] op_sel_hi:[1,1,0] neg_lo:[0,0,1] neg_hi:[0,0,1]
	v_pk_fma_f32 v[4:5], v[4:5], v[0:1], v[8:9] op_sel:[0,0,1] op_sel_hi:[1,0,0]
	v_mov_b32_e32 v11, v5
	v_pk_mul_f32 v[4:5], v[6:7], v[2:3] op_sel:[0,1]
	s_delay_alu instid0(VALU_DEP_1) | instskip(SKIP_1) | instid1(VALU_DEP_1)
	v_pk_fma_f32 v[8:9], v[6:7], v[0:1], v[4:5] op_sel:[0,0,1] op_sel_hi:[1,1,0] neg_lo:[0,0,1] neg_hi:[0,0,1]
	v_pk_fma_f32 v[4:5], v[6:7], v[0:1], v[4:5] op_sel:[0,0,1] op_sel_hi:[1,0,0]
	v_mov_b32_e32 v9, v5
	ds_load_2addr_b64 v[4:7], v154 offset0:32 offset1:33
	v_pk_add_f32 v[128:129], v[128:129], v[10:11] neg_lo:[0,1] neg_hi:[0,1]
	v_pk_add_f32 v[124:125], v[124:125], v[8:9] neg_lo:[0,1] neg_hi:[0,1]
	s_wait_dscnt 0x0
	v_dual_mul_f32 v8, v5, v3 :: v_dual_mul_f32 v10, v5, v0
	s_delay_alu instid0(VALU_DEP_1) | instskip(NEXT) | instid1(VALU_DEP_2)
	v_pk_fma_f32 v[8:9], v[4:5], v[44:45], v[8:9] op_sel_hi:[1,1,0] neg_lo:[0,0,1] neg_hi:[0,0,1]
	v_pk_fma_f32 v[4:5], v[4:5], v[44:45], v[10:11] op_sel:[1,0,0] op_sel_hi:[0,1,0]
	s_delay_alu instid0(VALU_DEP_1) | instskip(SKIP_1) | instid1(VALU_DEP_2)
	v_mov_b32_e32 v9, v5
	v_pk_mul_f32 v[4:5], v[6:7], v[2:3] op_sel:[0,1]
	v_pk_add_f32 v[146:147], v[146:147], v[8:9] neg_lo:[0,1] neg_hi:[0,1]
	s_delay_alu instid0(VALU_DEP_2) | instskip(SKIP_1) | instid1(VALU_DEP_1)
	v_pk_fma_f32 v[8:9], v[6:7], v[0:1], v[4:5] op_sel:[0,0,1] op_sel_hi:[1,1,0] neg_lo:[0,0,1] neg_hi:[0,0,1]
	v_pk_fma_f32 v[4:5], v[6:7], v[0:1], v[4:5] op_sel:[0,0,1] op_sel_hi:[1,0,0]
	v_mov_b32_e32 v9, v5
	ds_load_2addr_b64 v[4:7], v154 offset0:34 offset1:35
	v_pk_add_f32 v[142:143], v[142:143], v[8:9] neg_lo:[0,1] neg_hi:[0,1]
	s_wait_dscnt 0x0
	v_pk_mul_f32 v[8:9], v[4:5], v[2:3] op_sel:[0,1]
	s_delay_alu instid0(VALU_DEP_1) | instskip(SKIP_1) | instid1(VALU_DEP_1)
	v_pk_fma_f32 v[10:11], v[4:5], v[0:1], v[8:9] op_sel:[0,0,1] op_sel_hi:[1,1,0] neg_lo:[0,0,1] neg_hi:[0,0,1]
	v_pk_fma_f32 v[4:5], v[4:5], v[0:1], v[8:9] op_sel:[0,0,1] op_sel_hi:[1,0,0]
	v_mov_b32_e32 v11, v5
	v_pk_mul_f32 v[4:5], v[6:7], v[2:3] op_sel:[0,1]
	s_delay_alu instid0(VALU_DEP_2) | instskip(NEXT) | instid1(VALU_DEP_2)
	v_pk_add_f32 v[144:145], v[144:145], v[10:11] neg_lo:[0,1] neg_hi:[0,1]
	v_pk_fma_f32 v[8:9], v[6:7], v[0:1], v[4:5] op_sel:[0,0,1] op_sel_hi:[1,1,0] neg_lo:[0,0,1] neg_hi:[0,0,1]
	v_pk_fma_f32 v[4:5], v[6:7], v[0:1], v[4:5] op_sel:[0,0,1] op_sel_hi:[1,0,0]
	s_delay_alu instid0(VALU_DEP_1) | instskip(SKIP_4) | instid1(VALU_DEP_1)
	v_mov_b32_e32 v9, v5
	ds_load_2addr_b64 v[4:7], v154 offset0:36 offset1:37
	v_pk_add_f32 v[140:141], v[140:141], v[8:9] neg_lo:[0,1] neg_hi:[0,1]
	s_wait_dscnt 0x0
	v_pk_mul_f32 v[8:9], v[4:5], v[2:3] op_sel:[0,1]
	v_pk_fma_f32 v[10:11], v[4:5], v[0:1], v[8:9] op_sel:[0,0,1] op_sel_hi:[1,1,0] neg_lo:[0,0,1] neg_hi:[0,0,1]
	v_pk_fma_f32 v[4:5], v[4:5], v[0:1], v[8:9] op_sel:[0,0,1] op_sel_hi:[1,0,0]
	v_dual_mul_f32 v8, v7, v3 :: v_dual_mov_b32 v4, v7
	s_delay_alu instid0(VALU_DEP_2) | instskip(NEXT) | instid1(VALU_DEP_2)
	v_dual_mov_b32 v11, v5 :: v_dual_mov_b32 v5, v6
	v_pk_fma_f32 v[8:9], v[6:7], v[44:45], v[8:9] op_sel_hi:[1,1,0] neg_lo:[0,0,1] neg_hi:[0,0,1]
	v_mul_f32_e32 v6, v7, v0
	s_delay_alu instid0(VALU_DEP_3) | instskip(NEXT) | instid1(VALU_DEP_2)
	v_pk_add_f32 v[162:163], v[162:163], v[10:11] neg_lo:[0,1] neg_hi:[0,1]
	v_pk_fma_f32 v[4:5], v[4:5], v[44:45], v[6:7] op_sel_hi:[1,1,0]
	s_delay_alu instid0(VALU_DEP_1) | instskip(SKIP_4) | instid1(VALU_DEP_1)
	v_mov_b32_e32 v9, v5
	ds_load_2addr_b64 v[4:7], v154 offset0:38 offset1:39
	v_pk_add_f32 v[158:159], v[158:159], v[8:9] neg_lo:[0,1] neg_hi:[0,1]
	s_wait_dscnt 0x0
	v_pk_mul_f32 v[8:9], v[4:5], v[2:3] op_sel:[0,1]
	v_pk_fma_f32 v[10:11], v[4:5], v[0:1], v[8:9] op_sel:[0,0,1] op_sel_hi:[1,1,0] neg_lo:[0,0,1] neg_hi:[0,0,1]
	v_pk_fma_f32 v[4:5], v[4:5], v[0:1], v[8:9] op_sel:[0,0,1] op_sel_hi:[1,0,0]
	s_delay_alu instid0(VALU_DEP_1) | instskip(SKIP_1) | instid1(VALU_DEP_1)
	v_mov_b32_e32 v11, v5
	v_pk_mul_f32 v[4:5], v[6:7], v[2:3] op_sel:[0,1]
	v_pk_fma_f32 v[8:9], v[6:7], v[0:1], v[4:5] op_sel:[0,0,1] op_sel_hi:[1,1,0] neg_lo:[0,0,1] neg_hi:[0,0,1]
	v_pk_fma_f32 v[4:5], v[6:7], v[0:1], v[4:5] op_sel:[0,0,1] op_sel_hi:[1,0,0]
	s_delay_alu instid0(VALU_DEP_1)
	v_mov_b32_e32 v9, v5
	ds_load_2addr_b64 v[4:7], v154 offset0:40 offset1:41
	v_pk_add_f32 v[160:161], v[160:161], v[10:11] neg_lo:[0,1] neg_hi:[0,1]
	v_pk_add_f32 v[156:157], v[156:157], v[8:9] neg_lo:[0,1] neg_hi:[0,1]
	s_wait_dscnt 0x0
	v_pk_mul_f32 v[8:9], v[4:5], v[2:3] op_sel:[0,1]
	s_delay_alu instid0(VALU_DEP_1) | instskip(SKIP_1) | instid1(VALU_DEP_1)
	v_pk_fma_f32 v[10:11], v[4:5], v[0:1], v[8:9] op_sel:[0,0,1] op_sel_hi:[1,1,0] neg_lo:[0,0,1] neg_hi:[0,0,1]
	v_pk_fma_f32 v[4:5], v[4:5], v[0:1], v[8:9] op_sel:[0,0,1] op_sel_hi:[1,0,0]
	v_mov_b32_e32 v11, v5
	v_pk_mul_f32 v[4:5], v[6:7], v[2:3] op_sel:[0,1]
	s_delay_alu instid0(VALU_DEP_1) | instskip(SKIP_1) | instid1(VALU_DEP_1)
	v_pk_fma_f32 v[8:9], v[6:7], v[0:1], v[4:5] op_sel:[0,0,1] op_sel_hi:[1,1,0] neg_lo:[0,0,1] neg_hi:[0,0,1]
	v_pk_fma_f32 v[4:5], v[6:7], v[0:1], v[4:5] op_sel:[0,0,1] op_sel_hi:[1,0,0]
	v_mov_b32_e32 v9, v5
	ds_load_2addr_b64 v[4:7], v154 offset0:42 offset1:43
	v_pk_add_f32 v[178:179], v[178:179], v[10:11] neg_lo:[0,1] neg_hi:[0,1]
	v_pk_add_f32 v[174:175], v[174:175], v[8:9] neg_lo:[0,1] neg_hi:[0,1]
	s_wait_dscnt 0x0
	v_dual_mul_f32 v8, v5, v3 :: v_dual_mul_f32 v10, v5, v0
	s_delay_alu instid0(VALU_DEP_1) | instskip(NEXT) | instid1(VALU_DEP_2)
	v_pk_fma_f32 v[8:9], v[4:5], v[44:45], v[8:9] op_sel_hi:[1,1,0] neg_lo:[0,0,1] neg_hi:[0,0,1]
	v_pk_fma_f32 v[4:5], v[4:5], v[44:45], v[10:11] op_sel:[1,0,0] op_sel_hi:[0,1,0]
	s_delay_alu instid0(VALU_DEP_1) | instskip(SKIP_1) | instid1(VALU_DEP_2)
	v_mov_b32_e32 v9, v5
	v_pk_mul_f32 v[4:5], v[6:7], v[2:3] op_sel:[0,1]
	v_pk_add_f32 v[176:177], v[176:177], v[8:9] neg_lo:[0,1] neg_hi:[0,1]
	s_delay_alu instid0(VALU_DEP_2) | instskip(SKIP_1) | instid1(VALU_DEP_1)
	v_pk_fma_f32 v[8:9], v[6:7], v[0:1], v[4:5] op_sel:[0,0,1] op_sel_hi:[1,1,0] neg_lo:[0,0,1] neg_hi:[0,0,1]
	v_pk_fma_f32 v[4:5], v[6:7], v[0:1], v[4:5] op_sel:[0,0,1] op_sel_hi:[1,0,0]
	v_mov_b32_e32 v9, v5
	ds_load_2addr_b64 v[4:7], v154 offset0:44 offset1:45
	v_pk_add_f32 v[172:173], v[172:173], v[8:9] neg_lo:[0,1] neg_hi:[0,1]
	s_wait_dscnt 0x0
	v_pk_mul_f32 v[8:9], v[4:5], v[2:3] op_sel:[0,1]
	s_delay_alu instid0(VALU_DEP_1) | instskip(SKIP_1) | instid1(VALU_DEP_1)
	v_pk_fma_f32 v[10:11], v[4:5], v[0:1], v[8:9] op_sel:[0,0,1] op_sel_hi:[1,1,0] neg_lo:[0,0,1] neg_hi:[0,0,1]
	v_pk_fma_f32 v[4:5], v[4:5], v[0:1], v[8:9] op_sel:[0,0,1] op_sel_hi:[1,0,0]
	v_mov_b32_e32 v11, v5
	v_pk_mul_f32 v[4:5], v[6:7], v[2:3] op_sel:[0,1]
	s_delay_alu instid0(VALU_DEP_2) | instskip(NEXT) | instid1(VALU_DEP_2)
	v_pk_add_f32 v[196:197], v[196:197], v[10:11] neg_lo:[0,1] neg_hi:[0,1]
	v_pk_fma_f32 v[8:9], v[6:7], v[0:1], v[4:5] op_sel:[0,0,1] op_sel_hi:[1,1,0] neg_lo:[0,0,1] neg_hi:[0,0,1]
	v_pk_fma_f32 v[4:5], v[6:7], v[0:1], v[4:5] op_sel:[0,0,1] op_sel_hi:[1,0,0]
	s_delay_alu instid0(VALU_DEP_1) | instskip(SKIP_4) | instid1(VALU_DEP_1)
	v_mov_b32_e32 v9, v5
	ds_load_2addr_b64 v[4:7], v154 offset0:46 offset1:47
	v_pk_add_f32 v[192:193], v[192:193], v[8:9] neg_lo:[0,1] neg_hi:[0,1]
	s_wait_dscnt 0x0
	v_pk_mul_f32 v[8:9], v[4:5], v[2:3] op_sel:[0,1]
	v_pk_fma_f32 v[10:11], v[4:5], v[0:1], v[8:9] op_sel:[0,0,1] op_sel_hi:[1,1,0] neg_lo:[0,0,1] neg_hi:[0,0,1]
	v_pk_fma_f32 v[4:5], v[4:5], v[0:1], v[8:9] op_sel:[0,0,1] op_sel_hi:[1,0,0]
	v_dual_mul_f32 v8, v7, v3 :: v_dual_mov_b32 v4, v7
	s_delay_alu instid0(VALU_DEP_2) | instskip(NEXT) | instid1(VALU_DEP_2)
	v_dual_mov_b32 v11, v5 :: v_dual_mov_b32 v5, v6
	v_pk_fma_f32 v[8:9], v[6:7], v[44:45], v[8:9] op_sel_hi:[1,1,0] neg_lo:[0,0,1] neg_hi:[0,0,1]
	v_mul_f32_e32 v6, v7, v0
	s_delay_alu instid0(VALU_DEP_3) | instskip(NEXT) | instid1(VALU_DEP_2)
	v_pk_add_f32 v[194:195], v[194:195], v[10:11] neg_lo:[0,1] neg_hi:[0,1]
	v_pk_fma_f32 v[4:5], v[4:5], v[44:45], v[6:7] op_sel_hi:[1,1,0]
	s_delay_alu instid0(VALU_DEP_1) | instskip(SKIP_4) | instid1(VALU_DEP_1)
	v_mov_b32_e32 v9, v5
	ds_load_2addr_b64 v[4:7], v154 offset0:48 offset1:49
	v_pk_add_f32 v[190:191], v[190:191], v[8:9] neg_lo:[0,1] neg_hi:[0,1]
	s_wait_dscnt 0x0
	v_pk_mul_f32 v[8:9], v[4:5], v[2:3] op_sel:[0,1]
	v_pk_fma_f32 v[10:11], v[4:5], v[0:1], v[8:9] op_sel:[0,0,1] op_sel_hi:[1,1,0] neg_lo:[0,0,1] neg_hi:[0,0,1]
	v_pk_fma_f32 v[4:5], v[4:5], v[0:1], v[8:9] op_sel:[0,0,1] op_sel_hi:[1,0,0]
	s_delay_alu instid0(VALU_DEP_1) | instskip(SKIP_1) | instid1(VALU_DEP_1)
	v_mov_b32_e32 v11, v5
	v_pk_mul_f32 v[4:5], v[6:7], v[2:3] op_sel:[0,1]
	v_pk_fma_f32 v[8:9], v[6:7], v[0:1], v[4:5] op_sel:[0,0,1] op_sel_hi:[1,1,0] neg_lo:[0,0,1] neg_hi:[0,0,1]
	v_pk_fma_f32 v[4:5], v[6:7], v[0:1], v[4:5] op_sel:[0,0,1] op_sel_hi:[1,0,0]
	s_delay_alu instid0(VALU_DEP_1)
	v_mov_b32_e32 v9, v5
	ds_load_2addr_b64 v[4:7], v154 offset0:50 offset1:51
	v_pk_add_f32 v[216:217], v[216:217], v[10:11] neg_lo:[0,1] neg_hi:[0,1]
	v_pk_add_f32 v[210:211], v[210:211], v[8:9] neg_lo:[0,1] neg_hi:[0,1]
	s_wait_dscnt 0x0
	v_pk_mul_f32 v[8:9], v[4:5], v[2:3] op_sel:[0,1]
	s_delay_alu instid0(VALU_DEP_1) | instskip(SKIP_1) | instid1(VALU_DEP_1)
	v_pk_fma_f32 v[10:11], v[4:5], v[0:1], v[8:9] op_sel:[0,0,1] op_sel_hi:[1,1,0] neg_lo:[0,0,1] neg_hi:[0,0,1]
	v_pk_fma_f32 v[4:5], v[4:5], v[0:1], v[8:9] op_sel:[0,0,1] op_sel_hi:[1,0,0]
	v_mov_b32_e32 v11, v5
	v_pk_mul_f32 v[4:5], v[6:7], v[2:3] op_sel:[0,1]
	s_delay_alu instid0(VALU_DEP_1) | instskip(SKIP_1) | instid1(VALU_DEP_1)
	v_pk_fma_f32 v[8:9], v[6:7], v[0:1], v[4:5] op_sel:[0,0,1] op_sel_hi:[1,1,0] neg_lo:[0,0,1] neg_hi:[0,0,1]
	v_pk_fma_f32 v[4:5], v[6:7], v[0:1], v[4:5] op_sel:[0,0,1] op_sel_hi:[1,0,0]
	v_mov_b32_e32 v9, v5
	ds_load_2addr_b64 v[4:7], v154 offset0:52 offset1:53
	v_pk_add_f32 v[214:215], v[214:215], v[10:11] neg_lo:[0,1] neg_hi:[0,1]
	v_pk_add_f32 v[208:209], v[208:209], v[8:9] neg_lo:[0,1] neg_hi:[0,1]
	s_wait_dscnt 0x0
	v_dual_mul_f32 v8, v5, v3 :: v_dual_mul_f32 v10, v5, v0
	s_delay_alu instid0(VALU_DEP_1) | instskip(NEXT) | instid1(VALU_DEP_2)
	v_pk_fma_f32 v[8:9], v[4:5], v[44:45], v[8:9] op_sel_hi:[1,1,0] neg_lo:[0,0,1] neg_hi:[0,0,1]
	v_pk_fma_f32 v[4:5], v[4:5], v[44:45], v[10:11] op_sel:[1,0,0] op_sel_hi:[0,1,0]
	s_delay_alu instid0(VALU_DEP_1) | instskip(SKIP_1) | instid1(VALU_DEP_2)
	v_mov_b32_e32 v9, v5
	v_pk_mul_f32 v[4:5], v[6:7], v[2:3] op_sel:[0,1]
	v_pk_add_f32 v[212:213], v[212:213], v[8:9] neg_lo:[0,1] neg_hi:[0,1]
	s_delay_alu instid0(VALU_DEP_2) | instskip(SKIP_1) | instid1(VALU_DEP_1)
	v_pk_fma_f32 v[8:9], v[6:7], v[0:1], v[4:5] op_sel:[0,0,1] op_sel_hi:[1,1,0] neg_lo:[0,0,1] neg_hi:[0,0,1]
	v_pk_fma_f32 v[4:5], v[6:7], v[0:1], v[4:5] op_sel:[0,0,1] op_sel_hi:[1,0,0]
	v_mov_b32_e32 v9, v5
	ds_load_b64 v[4:5], v154 offset:432
	v_pk_add_f32 v[218:219], v[218:219], v[8:9] neg_lo:[0,1] neg_hi:[0,1]
	s_wait_dscnt 0x0
	v_pk_mul_f32 v[2:3], v[4:5], v[2:3] op_sel:[0,1]
	s_delay_alu instid0(VALU_DEP_1) | instskip(SKIP_1) | instid1(VALU_DEP_1)
	v_pk_fma_f32 v[6:7], v[4:5], v[0:1], v[2:3] op_sel:[0,0,1] op_sel_hi:[1,1,0] neg_lo:[0,0,1] neg_hi:[0,0,1]
	v_pk_fma_f32 v[0:1], v[4:5], v[0:1], v[2:3] op_sel:[0,0,1] op_sel_hi:[1,0,0]
	v_mov_b32_e32 v7, v1
	s_delay_alu instid0(VALU_DEP_1)
	v_pk_add_f32 v[220:221], v[220:221], v[6:7] neg_lo:[0,1] neg_hi:[0,1]
.LBB109_37:
	s_wait_xcnt 0x0
	s_or_b32 exec_lo, exec_lo, s1
	s_delay_alu instid0(SALU_CYCLE_1)
	s_mov_b32 s2, exec_lo
	s_wait_storecnt 0x0
	s_barrier_signal -1
	s_barrier_wait -1
	v_cmpx_eq_u32_e32 4, v152
	s_cbranch_execz .LBB109_44
; %bb.38:
	ds_store_b64 v153, v[26:27]
	ds_store_2addr_b64 v154, v[22:23], v[24:25] offset0:5 offset1:6
	ds_store_2addr_b64 v154, v[20:21], v[40:41] offset0:7 offset1:8
	;; [unrolled: 1-line block ×25, first 2 shown]
	ds_load_b64 v[0:1], v153
	s_wait_dscnt 0x0
	v_cmp_neq_f32_e32 vcc_lo, 0, v0
	v_cmp_neq_f32_e64 s1, 0, v1
	s_or_b32 s1, vcc_lo, s1
	s_delay_alu instid0(SALU_CYCLE_1)
	s_and_b32 exec_lo, exec_lo, s1
	s_cbranch_execz .LBB109_44
; %bb.39:
	v_cmp_ngt_f32_e64 s1, |v0|, |v1|
                                        ; implicit-def: $vgpr2_vgpr3
	s_and_saveexec_b32 s4, s1
	s_delay_alu instid0(SALU_CYCLE_1)
	s_xor_b32 s1, exec_lo, s4
	s_cbranch_execz .LBB109_41
; %bb.40:
	v_div_scale_f32 v2, null, v1, v1, v0
	v_div_scale_f32 v5, vcc_lo, v0, v1, v0
	s_delay_alu instid0(VALU_DEP_2) | instskip(SKIP_1) | instid1(TRANS32_DEP_1)
	v_rcp_f32_e32 v3, v2
	v_nop
	v_fma_f32 v4, -v2, v3, 1.0
	s_delay_alu instid0(VALU_DEP_1) | instskip(NEXT) | instid1(VALU_DEP_1)
	v_fmac_f32_e32 v3, v4, v3
	v_mul_f32_e32 v4, v5, v3
	s_delay_alu instid0(VALU_DEP_1) | instskip(NEXT) | instid1(VALU_DEP_1)
	v_fma_f32 v6, -v2, v4, v5
	v_fmac_f32_e32 v4, v6, v3
	s_delay_alu instid0(VALU_DEP_1) | instskip(NEXT) | instid1(VALU_DEP_1)
	v_fma_f32 v2, -v2, v4, v5
	v_div_fmas_f32 v2, v2, v3, v4
	s_delay_alu instid0(VALU_DEP_1) | instskip(NEXT) | instid1(VALU_DEP_1)
	v_div_fixup_f32 v2, v2, v1, v0
	v_fmac_f32_e32 v1, v0, v2
	s_delay_alu instid0(VALU_DEP_1) | instskip(SKIP_1) | instid1(VALU_DEP_2)
	v_div_scale_f32 v0, null, v1, v1, 1.0
	v_div_scale_f32 v5, vcc_lo, 1.0, v1, 1.0
	v_rcp_f32_e32 v3, v0
	v_nop
	s_delay_alu instid0(TRANS32_DEP_1) | instskip(NEXT) | instid1(VALU_DEP_1)
	v_fma_f32 v4, -v0, v3, 1.0
	v_fmac_f32_e32 v3, v4, v3
	s_delay_alu instid0(VALU_DEP_1) | instskip(NEXT) | instid1(VALU_DEP_1)
	v_mul_f32_e32 v4, v5, v3
	v_fma_f32 v6, -v0, v4, v5
	s_delay_alu instid0(VALU_DEP_1) | instskip(NEXT) | instid1(VALU_DEP_1)
	v_fmac_f32_e32 v4, v6, v3
	v_fma_f32 v0, -v0, v4, v5
	s_delay_alu instid0(VALU_DEP_1) | instskip(NEXT) | instid1(VALU_DEP_1)
	v_div_fmas_f32 v0, v0, v3, v4
	v_div_fixup_f32 v0, v0, v1, 1.0
	s_delay_alu instid0(VALU_DEP_1)
	v_mul_f32_e32 v2, v2, v0
	v_xor_b32_e32 v3, 0x80000000, v0
                                        ; implicit-def: $vgpr0_vgpr1
.LBB109_41:
	s_and_not1_saveexec_b32 s1, s1
	s_cbranch_execz .LBB109_43
; %bb.42:
	v_div_scale_f32 v2, null, v0, v0, v1
	v_div_scale_f32 v5, vcc_lo, v1, v0, v1
	s_delay_alu instid0(VALU_DEP_2) | instskip(SKIP_1) | instid1(TRANS32_DEP_1)
	v_rcp_f32_e32 v3, v2
	v_nop
	v_fma_f32 v4, -v2, v3, 1.0
	s_delay_alu instid0(VALU_DEP_1) | instskip(NEXT) | instid1(VALU_DEP_1)
	v_fmac_f32_e32 v3, v4, v3
	v_mul_f32_e32 v4, v5, v3
	s_delay_alu instid0(VALU_DEP_1) | instskip(NEXT) | instid1(VALU_DEP_1)
	v_fma_f32 v6, -v2, v4, v5
	v_fmac_f32_e32 v4, v6, v3
	s_delay_alu instid0(VALU_DEP_1) | instskip(NEXT) | instid1(VALU_DEP_1)
	v_fma_f32 v2, -v2, v4, v5
	v_div_fmas_f32 v2, v2, v3, v4
	s_delay_alu instid0(VALU_DEP_1) | instskip(NEXT) | instid1(VALU_DEP_1)
	v_div_fixup_f32 v3, v2, v0, v1
	v_fmac_f32_e32 v0, v1, v3
	s_delay_alu instid0(VALU_DEP_1) | instskip(NEXT) | instid1(VALU_DEP_1)
	v_div_scale_f32 v1, null, v0, v0, 1.0
	v_rcp_f32_e32 v2, v1
	v_nop
	s_delay_alu instid0(TRANS32_DEP_1) | instskip(NEXT) | instid1(VALU_DEP_1)
	v_fma_f32 v4, -v1, v2, 1.0
	v_fmac_f32_e32 v2, v4, v2
	v_div_scale_f32 v4, vcc_lo, 1.0, v0, 1.0
	s_delay_alu instid0(VALU_DEP_1) | instskip(NEXT) | instid1(VALU_DEP_1)
	v_mul_f32_e32 v5, v4, v2
	v_fma_f32 v6, -v1, v5, v4
	s_delay_alu instid0(VALU_DEP_1) | instskip(NEXT) | instid1(VALU_DEP_1)
	v_fmac_f32_e32 v5, v6, v2
	v_fma_f32 v1, -v1, v5, v4
	s_delay_alu instid0(VALU_DEP_1) | instskip(NEXT) | instid1(VALU_DEP_1)
	v_div_fmas_f32 v1, v1, v2, v5
	v_div_fixup_f32 v2, v1, v0, 1.0
	s_delay_alu instid0(VALU_DEP_1)
	v_mul_f32_e64 v3, v3, -v2
.LBB109_43:
	s_or_b32 exec_lo, exec_lo, s1
	ds_store_b64 v153, v[2:3]
.LBB109_44:
	s_or_b32 exec_lo, exec_lo, s2
	s_wait_dscnt 0x0
	s_barrier_signal -1
	s_barrier_wait -1
	ds_load_b64 v[0:1], v153
	s_mov_b32 s1, exec_lo
	s_wait_dscnt 0x0
	scratch_store_b64 off, v[0:1], off offset:240 ; 8-byte Folded Spill
	s_wait_xcnt 0x0
	v_cmpx_lt_u32_e32 4, v152
	s_cbranch_execz .LBB109_46
; %bb.45:
	scratch_load_b64 v[4:5], off, off offset:240 ; 8-byte Folded Reload
	s_wait_loadcnt 0x0
	v_pk_mul_f32 v[2:3], v[4:5], v[26:27] op_sel:[1,1] op_sel_hi:[0,1]
	s_delay_alu instid0(VALU_DEP_1)
	v_pk_fma_f32 v[0:1], v[4:5], v[26:27], v[2:3] op_sel_hi:[1,0,1] neg_lo:[0,0,1] neg_hi:[0,0,1]
	v_pk_fma_f32 v[2:3], v[4:5], v[26:27], v[2:3] op_sel_hi:[1,0,1]
	ds_load_2addr_b64 v[4:7], v154 offset0:5 offset1:6
	v_dual_mov_b32 v26, v0 :: v_dual_mov_b32 v27, v3
	s_wait_dscnt 0x0
	v_pk_mul_f32 v[8:9], v[4:5], v[2:3] op_sel:[0,1]
	s_delay_alu instid0(VALU_DEP_1) | instskip(SKIP_1) | instid1(VALU_DEP_1)
	v_pk_fma_f32 v[10:11], v[4:5], v[0:1], v[8:9] op_sel:[0,0,1] op_sel_hi:[1,1,0] neg_lo:[0,0,1] neg_hi:[0,0,1]
	v_pk_fma_f32 v[4:5], v[4:5], v[0:1], v[8:9] op_sel:[0,0,1] op_sel_hi:[1,0,0]
	v_mov_b32_e32 v11, v5
	v_pk_mul_f32 v[4:5], v[6:7], v[2:3] op_sel:[0,1]
	s_delay_alu instid0(VALU_DEP_1) | instskip(SKIP_1) | instid1(VALU_DEP_1)
	v_pk_fma_f32 v[8:9], v[6:7], v[0:1], v[4:5] op_sel:[0,0,1] op_sel_hi:[1,1,0] neg_lo:[0,0,1] neg_hi:[0,0,1]
	v_pk_fma_f32 v[4:5], v[6:7], v[0:1], v[4:5] op_sel:[0,0,1] op_sel_hi:[1,0,0]
	v_mov_b32_e32 v9, v5
	ds_load_2addr_b64 v[4:7], v154 offset0:7 offset1:8
	v_pk_add_f32 v[22:23], v[22:23], v[10:11] neg_lo:[0,1] neg_hi:[0,1]
	v_pk_add_f32 v[24:25], v[24:25], v[8:9] neg_lo:[0,1] neg_hi:[0,1]
	s_wait_dscnt 0x0
	v_pk_mul_f32 v[8:9], v[4:5], v[2:3] op_sel:[0,1]
	s_delay_alu instid0(VALU_DEP_1) | instskip(SKIP_2) | instid1(VALU_DEP_2)
	v_pk_fma_f32 v[10:11], v[4:5], v[0:1], v[8:9] op_sel:[0,0,1] op_sel_hi:[1,1,0] neg_lo:[0,0,1] neg_hi:[0,0,1]
	v_pk_fma_f32 v[4:5], v[4:5], v[0:1], v[8:9] op_sel:[0,0,1] op_sel_hi:[1,0,0]
	v_dual_mul_f32 v8, v7, v3 :: v_dual_mov_b32 v4, v7
	v_dual_mov_b32 v11, v5 :: v_dual_mov_b32 v5, v6
	s_delay_alu instid0(VALU_DEP_2) | instskip(SKIP_1) | instid1(VALU_DEP_3)
	v_pk_fma_f32 v[8:9], v[6:7], v[26:27], v[8:9] op_sel_hi:[1,1,0] neg_lo:[0,0,1] neg_hi:[0,0,1]
	v_mul_f32_e32 v6, v7, v0
	v_pk_add_f32 v[20:21], v[20:21], v[10:11] neg_lo:[0,1] neg_hi:[0,1]
	s_delay_alu instid0(VALU_DEP_2) | instskip(NEXT) | instid1(VALU_DEP_1)
	v_pk_fma_f32 v[4:5], v[4:5], v[26:27], v[6:7] op_sel_hi:[1,1,0]
	v_mov_b32_e32 v9, v5
	ds_load_2addr_b64 v[4:7], v154 offset0:9 offset1:10
	v_pk_add_f32 v[40:41], v[40:41], v[8:9] neg_lo:[0,1] neg_hi:[0,1]
	s_wait_dscnt 0x0
	v_pk_mul_f32 v[8:9], v[4:5], v[2:3] op_sel:[0,1]
	s_delay_alu instid0(VALU_DEP_1) | instskip(SKIP_1) | instid1(VALU_DEP_1)
	v_pk_fma_f32 v[10:11], v[4:5], v[0:1], v[8:9] op_sel:[0,0,1] op_sel_hi:[1,1,0] neg_lo:[0,0,1] neg_hi:[0,0,1]
	v_pk_fma_f32 v[4:5], v[4:5], v[0:1], v[8:9] op_sel:[0,0,1] op_sel_hi:[1,0,0]
	v_mov_b32_e32 v11, v5
	v_pk_mul_f32 v[4:5], v[6:7], v[2:3] op_sel:[0,1]
	s_delay_alu instid0(VALU_DEP_1) | instskip(SKIP_1) | instid1(VALU_DEP_1)
	v_pk_fma_f32 v[8:9], v[6:7], v[0:1], v[4:5] op_sel:[0,0,1] op_sel_hi:[1,1,0] neg_lo:[0,0,1] neg_hi:[0,0,1]
	v_pk_fma_f32 v[4:5], v[6:7], v[0:1], v[4:5] op_sel:[0,0,1] op_sel_hi:[1,0,0]
	v_mov_b32_e32 v9, v5
	ds_load_2addr_b64 v[4:7], v154 offset0:11 offset1:12
	v_pk_add_f32 v[36:37], v[36:37], v[10:11] neg_lo:[0,1] neg_hi:[0,1]
	v_pk_add_f32 v[38:39], v[38:39], v[8:9] neg_lo:[0,1] neg_hi:[0,1]
	s_wait_dscnt 0x0
	v_pk_mul_f32 v[8:9], v[4:5], v[2:3] op_sel:[0,1]
	s_delay_alu instid0(VALU_DEP_1) | instskip(SKIP_1) | instid1(VALU_DEP_1)
	v_pk_fma_f32 v[10:11], v[4:5], v[0:1], v[8:9] op_sel:[0,0,1] op_sel_hi:[1,1,0] neg_lo:[0,0,1] neg_hi:[0,0,1]
	v_pk_fma_f32 v[4:5], v[4:5], v[0:1], v[8:9] op_sel:[0,0,1] op_sel_hi:[1,0,0]
	v_mov_b32_e32 v11, v5
	v_pk_mul_f32 v[4:5], v[6:7], v[2:3] op_sel:[0,1]
	s_delay_alu instid0(VALU_DEP_1) | instskip(SKIP_1) | instid1(VALU_DEP_1)
	v_pk_fma_f32 v[8:9], v[6:7], v[0:1], v[4:5] op_sel:[0,0,1] op_sel_hi:[1,1,0] neg_lo:[0,0,1] neg_hi:[0,0,1]
	v_pk_fma_f32 v[4:5], v[6:7], v[0:1], v[4:5] op_sel:[0,0,1] op_sel_hi:[1,0,0]
	v_mov_b32_e32 v9, v5
	ds_load_2addr_b64 v[4:7], v154 offset0:13 offset1:14
	v_pk_add_f32 v[34:35], v[34:35], v[10:11] neg_lo:[0,1] neg_hi:[0,1]
	v_pk_add_f32 v[64:65], v[64:65], v[8:9] neg_lo:[0,1] neg_hi:[0,1]
	s_wait_dscnt 0x0
	v_dual_mul_f32 v8, v5, v3 :: v_dual_mul_f32 v10, v5, v0
	s_delay_alu instid0(VALU_DEP_1) | instskip(NEXT) | instid1(VALU_DEP_2)
	v_pk_fma_f32 v[8:9], v[4:5], v[26:27], v[8:9] op_sel_hi:[1,1,0] neg_lo:[0,0,1] neg_hi:[0,0,1]
	v_pk_fma_f32 v[4:5], v[4:5], v[26:27], v[10:11] op_sel:[1,0,0] op_sel_hi:[0,1,0]
	s_delay_alu instid0(VALU_DEP_1) | instskip(SKIP_1) | instid1(VALU_DEP_2)
	v_mov_b32_e32 v9, v5
	v_pk_mul_f32 v[4:5], v[6:7], v[2:3] op_sel:[0,1]
	v_pk_add_f32 v[60:61], v[60:61], v[8:9] neg_lo:[0,1] neg_hi:[0,1]
	s_delay_alu instid0(VALU_DEP_2) | instskip(SKIP_1) | instid1(VALU_DEP_1)
	v_pk_fma_f32 v[8:9], v[6:7], v[0:1], v[4:5] op_sel:[0,0,1] op_sel_hi:[1,1,0] neg_lo:[0,0,1] neg_hi:[0,0,1]
	v_pk_fma_f32 v[4:5], v[6:7], v[0:1], v[4:5] op_sel:[0,0,1] op_sel_hi:[1,0,0]
	v_mov_b32_e32 v9, v5
	ds_load_2addr_b64 v[4:7], v154 offset0:15 offset1:16
	v_pk_add_f32 v[62:63], v[62:63], v[8:9] neg_lo:[0,1] neg_hi:[0,1]
	s_wait_dscnt 0x0
	v_pk_mul_f32 v[8:9], v[4:5], v[2:3] op_sel:[0,1]
	s_delay_alu instid0(VALU_DEP_1) | instskip(SKIP_1) | instid1(VALU_DEP_1)
	v_pk_fma_f32 v[10:11], v[4:5], v[0:1], v[8:9] op_sel:[0,0,1] op_sel_hi:[1,1,0] neg_lo:[0,0,1] neg_hi:[0,0,1]
	v_pk_fma_f32 v[4:5], v[4:5], v[0:1], v[8:9] op_sel:[0,0,1] op_sel_hi:[1,0,0]
	v_mov_b32_e32 v11, v5
	v_pk_mul_f32 v[4:5], v[6:7], v[2:3] op_sel:[0,1]
	s_delay_alu instid0(VALU_DEP_2) | instskip(NEXT) | instid1(VALU_DEP_2)
	v_pk_add_f32 v[58:59], v[58:59], v[10:11] neg_lo:[0,1] neg_hi:[0,1]
	v_pk_fma_f32 v[8:9], v[6:7], v[0:1], v[4:5] op_sel:[0,0,1] op_sel_hi:[1,1,0] neg_lo:[0,0,1] neg_hi:[0,0,1]
	v_pk_fma_f32 v[4:5], v[6:7], v[0:1], v[4:5] op_sel:[0,0,1] op_sel_hi:[1,0,0]
	s_delay_alu instid0(VALU_DEP_1) | instskip(SKIP_4) | instid1(VALU_DEP_1)
	v_mov_b32_e32 v9, v5
	ds_load_2addr_b64 v[4:7], v154 offset0:17 offset1:18
	v_pk_add_f32 v[80:81], v[80:81], v[8:9] neg_lo:[0,1] neg_hi:[0,1]
	s_wait_dscnt 0x0
	v_pk_mul_f32 v[8:9], v[4:5], v[2:3] op_sel:[0,1]
	v_pk_fma_f32 v[10:11], v[4:5], v[0:1], v[8:9] op_sel:[0,0,1] op_sel_hi:[1,1,0] neg_lo:[0,0,1] neg_hi:[0,0,1]
	v_pk_fma_f32 v[4:5], v[4:5], v[0:1], v[8:9] op_sel:[0,0,1] op_sel_hi:[1,0,0]
	v_dual_mul_f32 v8, v7, v3 :: v_dual_mov_b32 v4, v7
	s_delay_alu instid0(VALU_DEP_2) | instskip(NEXT) | instid1(VALU_DEP_2)
	v_dual_mov_b32 v11, v5 :: v_dual_mov_b32 v5, v6
	v_pk_fma_f32 v[8:9], v[6:7], v[26:27], v[8:9] op_sel_hi:[1,1,0] neg_lo:[0,0,1] neg_hi:[0,0,1]
	v_mul_f32_e32 v6, v7, v0
	s_delay_alu instid0(VALU_DEP_3) | instskip(NEXT) | instid1(VALU_DEP_2)
	v_pk_add_f32 v[76:77], v[76:77], v[10:11] neg_lo:[0,1] neg_hi:[0,1]
	v_pk_fma_f32 v[4:5], v[4:5], v[26:27], v[6:7] op_sel_hi:[1,1,0]
	s_delay_alu instid0(VALU_DEP_1) | instskip(SKIP_4) | instid1(VALU_DEP_1)
	v_mov_b32_e32 v9, v5
	ds_load_2addr_b64 v[4:7], v154 offset0:19 offset1:20
	v_pk_add_f32 v[78:79], v[78:79], v[8:9] neg_lo:[0,1] neg_hi:[0,1]
	s_wait_dscnt 0x0
	v_pk_mul_f32 v[8:9], v[4:5], v[2:3] op_sel:[0,1]
	v_pk_fma_f32 v[10:11], v[4:5], v[0:1], v[8:9] op_sel:[0,0,1] op_sel_hi:[1,1,0] neg_lo:[0,0,1] neg_hi:[0,0,1]
	v_pk_fma_f32 v[4:5], v[4:5], v[0:1], v[8:9] op_sel:[0,0,1] op_sel_hi:[1,0,0]
	s_delay_alu instid0(VALU_DEP_1) | instskip(SKIP_1) | instid1(VALU_DEP_1)
	v_mov_b32_e32 v11, v5
	v_pk_mul_f32 v[4:5], v[6:7], v[2:3] op_sel:[0,1]
	v_pk_fma_f32 v[8:9], v[6:7], v[0:1], v[4:5] op_sel:[0,0,1] op_sel_hi:[1,1,0] neg_lo:[0,0,1] neg_hi:[0,0,1]
	v_pk_fma_f32 v[4:5], v[6:7], v[0:1], v[4:5] op_sel:[0,0,1] op_sel_hi:[1,0,0]
	s_delay_alu instid0(VALU_DEP_1)
	v_mov_b32_e32 v9, v5
	ds_load_2addr_b64 v[4:7], v154 offset0:21 offset1:22
	v_pk_add_f32 v[74:75], v[74:75], v[10:11] neg_lo:[0,1] neg_hi:[0,1]
	v_pk_add_f32 v[96:97], v[96:97], v[8:9] neg_lo:[0,1] neg_hi:[0,1]
	s_wait_dscnt 0x0
	v_pk_mul_f32 v[8:9], v[4:5], v[2:3] op_sel:[0,1]
	s_delay_alu instid0(VALU_DEP_1) | instskip(SKIP_1) | instid1(VALU_DEP_1)
	v_pk_fma_f32 v[10:11], v[4:5], v[0:1], v[8:9] op_sel:[0,0,1] op_sel_hi:[1,1,0] neg_lo:[0,0,1] neg_hi:[0,0,1]
	v_pk_fma_f32 v[4:5], v[4:5], v[0:1], v[8:9] op_sel:[0,0,1] op_sel_hi:[1,0,0]
	v_mov_b32_e32 v11, v5
	v_pk_mul_f32 v[4:5], v[6:7], v[2:3] op_sel:[0,1]
	s_delay_alu instid0(VALU_DEP_1) | instskip(SKIP_1) | instid1(VALU_DEP_1)
	v_pk_fma_f32 v[8:9], v[6:7], v[0:1], v[4:5] op_sel:[0,0,1] op_sel_hi:[1,1,0] neg_lo:[0,0,1] neg_hi:[0,0,1]
	v_pk_fma_f32 v[4:5], v[6:7], v[0:1], v[4:5] op_sel:[0,0,1] op_sel_hi:[1,0,0]
	v_mov_b32_e32 v9, v5
	ds_load_2addr_b64 v[4:7], v154 offset0:23 offset1:24
	v_pk_add_f32 v[92:93], v[92:93], v[10:11] neg_lo:[0,1] neg_hi:[0,1]
	v_pk_add_f32 v[94:95], v[94:95], v[8:9] neg_lo:[0,1] neg_hi:[0,1]
	s_wait_dscnt 0x0
	v_dual_mul_f32 v8, v5, v3 :: v_dual_mul_f32 v10, v5, v0
	s_delay_alu instid0(VALU_DEP_1) | instskip(NEXT) | instid1(VALU_DEP_2)
	v_pk_fma_f32 v[8:9], v[4:5], v[26:27], v[8:9] op_sel_hi:[1,1,0] neg_lo:[0,0,1] neg_hi:[0,0,1]
	v_pk_fma_f32 v[4:5], v[4:5], v[26:27], v[10:11] op_sel:[1,0,0] op_sel_hi:[0,1,0]
	s_delay_alu instid0(VALU_DEP_1) | instskip(SKIP_1) | instid1(VALU_DEP_2)
	v_mov_b32_e32 v9, v5
	v_pk_mul_f32 v[4:5], v[6:7], v[2:3] op_sel:[0,1]
	v_pk_add_f32 v[90:91], v[90:91], v[8:9] neg_lo:[0,1] neg_hi:[0,1]
	s_delay_alu instid0(VALU_DEP_2) | instskip(SKIP_1) | instid1(VALU_DEP_1)
	v_pk_fma_f32 v[8:9], v[6:7], v[0:1], v[4:5] op_sel:[0,0,1] op_sel_hi:[1,1,0] neg_lo:[0,0,1] neg_hi:[0,0,1]
	v_pk_fma_f32 v[4:5], v[6:7], v[0:1], v[4:5] op_sel:[0,0,1] op_sel_hi:[1,0,0]
	v_mov_b32_e32 v9, v5
	ds_load_2addr_b64 v[4:7], v154 offset0:25 offset1:26
	v_pk_add_f32 v[114:115], v[114:115], v[8:9] neg_lo:[0,1] neg_hi:[0,1]
	s_wait_dscnt 0x0
	v_pk_mul_f32 v[8:9], v[4:5], v[2:3] op_sel:[0,1]
	s_delay_alu instid0(VALU_DEP_1) | instskip(SKIP_1) | instid1(VALU_DEP_1)
	v_pk_fma_f32 v[10:11], v[4:5], v[0:1], v[8:9] op_sel:[0,0,1] op_sel_hi:[1,1,0] neg_lo:[0,0,1] neg_hi:[0,0,1]
	v_pk_fma_f32 v[4:5], v[4:5], v[0:1], v[8:9] op_sel:[0,0,1] op_sel_hi:[1,0,0]
	v_mov_b32_e32 v11, v5
	v_pk_mul_f32 v[4:5], v[6:7], v[2:3] op_sel:[0,1]
	s_delay_alu instid0(VALU_DEP_2) | instskip(NEXT) | instid1(VALU_DEP_2)
	v_pk_add_f32 v[110:111], v[110:111], v[10:11] neg_lo:[0,1] neg_hi:[0,1]
	v_pk_fma_f32 v[8:9], v[6:7], v[0:1], v[4:5] op_sel:[0,0,1] op_sel_hi:[1,1,0] neg_lo:[0,0,1] neg_hi:[0,0,1]
	v_pk_fma_f32 v[4:5], v[6:7], v[0:1], v[4:5] op_sel:[0,0,1] op_sel_hi:[1,0,0]
	s_delay_alu instid0(VALU_DEP_1) | instskip(SKIP_4) | instid1(VALU_DEP_1)
	v_mov_b32_e32 v9, v5
	ds_load_2addr_b64 v[4:7], v154 offset0:27 offset1:28
	v_pk_add_f32 v[112:113], v[112:113], v[8:9] neg_lo:[0,1] neg_hi:[0,1]
	s_wait_dscnt 0x0
	v_pk_mul_f32 v[8:9], v[4:5], v[2:3] op_sel:[0,1]
	v_pk_fma_f32 v[10:11], v[4:5], v[0:1], v[8:9] op_sel:[0,0,1] op_sel_hi:[1,1,0] neg_lo:[0,0,1] neg_hi:[0,0,1]
	v_pk_fma_f32 v[4:5], v[4:5], v[0:1], v[8:9] op_sel:[0,0,1] op_sel_hi:[1,0,0]
	v_dual_mul_f32 v8, v7, v3 :: v_dual_mov_b32 v4, v7
	s_delay_alu instid0(VALU_DEP_2) | instskip(NEXT) | instid1(VALU_DEP_2)
	v_dual_mov_b32 v11, v5 :: v_dual_mov_b32 v5, v6
	v_pk_fma_f32 v[8:9], v[6:7], v[26:27], v[8:9] op_sel_hi:[1,1,0] neg_lo:[0,0,1] neg_hi:[0,0,1]
	v_mul_f32_e32 v6, v7, v0
	s_delay_alu instid0(VALU_DEP_3) | instskip(NEXT) | instid1(VALU_DEP_2)
	v_pk_add_f32 v[108:109], v[108:109], v[10:11] neg_lo:[0,1] neg_hi:[0,1]
	v_pk_fma_f32 v[4:5], v[4:5], v[26:27], v[6:7] op_sel_hi:[1,1,0]
	s_delay_alu instid0(VALU_DEP_1) | instskip(SKIP_4) | instid1(VALU_DEP_1)
	v_mov_b32_e32 v9, v5
	ds_load_2addr_b64 v[4:7], v154 offset0:29 offset1:30
	v_pk_add_f32 v[130:131], v[130:131], v[8:9] neg_lo:[0,1] neg_hi:[0,1]
	s_wait_dscnt 0x0
	v_pk_mul_f32 v[8:9], v[4:5], v[2:3] op_sel:[0,1]
	v_pk_fma_f32 v[10:11], v[4:5], v[0:1], v[8:9] op_sel:[0,0,1] op_sel_hi:[1,1,0] neg_lo:[0,0,1] neg_hi:[0,0,1]
	v_pk_fma_f32 v[4:5], v[4:5], v[0:1], v[8:9] op_sel:[0,0,1] op_sel_hi:[1,0,0]
	s_delay_alu instid0(VALU_DEP_1) | instskip(SKIP_1) | instid1(VALU_DEP_1)
	v_mov_b32_e32 v11, v5
	v_pk_mul_f32 v[4:5], v[6:7], v[2:3] op_sel:[0,1]
	v_pk_fma_f32 v[8:9], v[6:7], v[0:1], v[4:5] op_sel:[0,0,1] op_sel_hi:[1,1,0] neg_lo:[0,0,1] neg_hi:[0,0,1]
	v_pk_fma_f32 v[4:5], v[6:7], v[0:1], v[4:5] op_sel:[0,0,1] op_sel_hi:[1,0,0]
	s_delay_alu instid0(VALU_DEP_1)
	v_mov_b32_e32 v9, v5
	ds_load_2addr_b64 v[4:7], v154 offset0:31 offset1:32
	v_pk_add_f32 v[126:127], v[126:127], v[10:11] neg_lo:[0,1] neg_hi:[0,1]
	v_pk_add_f32 v[128:129], v[128:129], v[8:9] neg_lo:[0,1] neg_hi:[0,1]
	s_wait_dscnt 0x0
	v_pk_mul_f32 v[8:9], v[4:5], v[2:3] op_sel:[0,1]
	s_delay_alu instid0(VALU_DEP_1) | instskip(SKIP_1) | instid1(VALU_DEP_1)
	v_pk_fma_f32 v[10:11], v[4:5], v[0:1], v[8:9] op_sel:[0,0,1] op_sel_hi:[1,1,0] neg_lo:[0,0,1] neg_hi:[0,0,1]
	v_pk_fma_f32 v[4:5], v[4:5], v[0:1], v[8:9] op_sel:[0,0,1] op_sel_hi:[1,0,0]
	v_mov_b32_e32 v11, v5
	v_pk_mul_f32 v[4:5], v[6:7], v[2:3] op_sel:[0,1]
	s_delay_alu instid0(VALU_DEP_1) | instskip(SKIP_1) | instid1(VALU_DEP_1)
	v_pk_fma_f32 v[8:9], v[6:7], v[0:1], v[4:5] op_sel:[0,0,1] op_sel_hi:[1,1,0] neg_lo:[0,0,1] neg_hi:[0,0,1]
	v_pk_fma_f32 v[4:5], v[6:7], v[0:1], v[4:5] op_sel:[0,0,1] op_sel_hi:[1,0,0]
	v_mov_b32_e32 v9, v5
	ds_load_2addr_b64 v[4:7], v154 offset0:33 offset1:34
	v_pk_add_f32 v[124:125], v[124:125], v[10:11] neg_lo:[0,1] neg_hi:[0,1]
	v_pk_add_f32 v[146:147], v[146:147], v[8:9] neg_lo:[0,1] neg_hi:[0,1]
	s_wait_dscnt 0x0
	v_dual_mul_f32 v8, v5, v3 :: v_dual_mul_f32 v10, v5, v0
	s_delay_alu instid0(VALU_DEP_1) | instskip(NEXT) | instid1(VALU_DEP_2)
	v_pk_fma_f32 v[8:9], v[4:5], v[26:27], v[8:9] op_sel_hi:[1,1,0] neg_lo:[0,0,1] neg_hi:[0,0,1]
	v_pk_fma_f32 v[4:5], v[4:5], v[26:27], v[10:11] op_sel:[1,0,0] op_sel_hi:[0,1,0]
	s_delay_alu instid0(VALU_DEP_1) | instskip(SKIP_1) | instid1(VALU_DEP_2)
	v_mov_b32_e32 v9, v5
	v_pk_mul_f32 v[4:5], v[6:7], v[2:3] op_sel:[0,1]
	v_pk_add_f32 v[142:143], v[142:143], v[8:9] neg_lo:[0,1] neg_hi:[0,1]
	s_delay_alu instid0(VALU_DEP_2) | instskip(SKIP_1) | instid1(VALU_DEP_1)
	v_pk_fma_f32 v[8:9], v[6:7], v[0:1], v[4:5] op_sel:[0,0,1] op_sel_hi:[1,1,0] neg_lo:[0,0,1] neg_hi:[0,0,1]
	v_pk_fma_f32 v[4:5], v[6:7], v[0:1], v[4:5] op_sel:[0,0,1] op_sel_hi:[1,0,0]
	v_mov_b32_e32 v9, v5
	ds_load_2addr_b64 v[4:7], v154 offset0:35 offset1:36
	v_pk_add_f32 v[144:145], v[144:145], v[8:9] neg_lo:[0,1] neg_hi:[0,1]
	s_wait_dscnt 0x0
	v_pk_mul_f32 v[8:9], v[4:5], v[2:3] op_sel:[0,1]
	s_delay_alu instid0(VALU_DEP_1) | instskip(SKIP_1) | instid1(VALU_DEP_1)
	v_pk_fma_f32 v[10:11], v[4:5], v[0:1], v[8:9] op_sel:[0,0,1] op_sel_hi:[1,1,0] neg_lo:[0,0,1] neg_hi:[0,0,1]
	v_pk_fma_f32 v[4:5], v[4:5], v[0:1], v[8:9] op_sel:[0,0,1] op_sel_hi:[1,0,0]
	v_mov_b32_e32 v11, v5
	v_pk_mul_f32 v[4:5], v[6:7], v[2:3] op_sel:[0,1]
	s_delay_alu instid0(VALU_DEP_2) | instskip(NEXT) | instid1(VALU_DEP_2)
	v_pk_add_f32 v[140:141], v[140:141], v[10:11] neg_lo:[0,1] neg_hi:[0,1]
	v_pk_fma_f32 v[8:9], v[6:7], v[0:1], v[4:5] op_sel:[0,0,1] op_sel_hi:[1,1,0] neg_lo:[0,0,1] neg_hi:[0,0,1]
	v_pk_fma_f32 v[4:5], v[6:7], v[0:1], v[4:5] op_sel:[0,0,1] op_sel_hi:[1,0,0]
	s_delay_alu instid0(VALU_DEP_1) | instskip(SKIP_4) | instid1(VALU_DEP_1)
	v_mov_b32_e32 v9, v5
	ds_load_2addr_b64 v[4:7], v154 offset0:37 offset1:38
	v_pk_add_f32 v[162:163], v[162:163], v[8:9] neg_lo:[0,1] neg_hi:[0,1]
	s_wait_dscnt 0x0
	v_pk_mul_f32 v[8:9], v[4:5], v[2:3] op_sel:[0,1]
	v_pk_fma_f32 v[10:11], v[4:5], v[0:1], v[8:9] op_sel:[0,0,1] op_sel_hi:[1,1,0] neg_lo:[0,0,1] neg_hi:[0,0,1]
	v_pk_fma_f32 v[4:5], v[4:5], v[0:1], v[8:9] op_sel:[0,0,1] op_sel_hi:[1,0,0]
	v_dual_mul_f32 v8, v7, v3 :: v_dual_mov_b32 v4, v7
	s_delay_alu instid0(VALU_DEP_2) | instskip(NEXT) | instid1(VALU_DEP_2)
	v_dual_mov_b32 v11, v5 :: v_dual_mov_b32 v5, v6
	v_pk_fma_f32 v[8:9], v[6:7], v[26:27], v[8:9] op_sel_hi:[1,1,0] neg_lo:[0,0,1] neg_hi:[0,0,1]
	v_mul_f32_e32 v6, v7, v0
	s_delay_alu instid0(VALU_DEP_3) | instskip(NEXT) | instid1(VALU_DEP_2)
	v_pk_add_f32 v[158:159], v[158:159], v[10:11] neg_lo:[0,1] neg_hi:[0,1]
	v_pk_fma_f32 v[4:5], v[4:5], v[26:27], v[6:7] op_sel_hi:[1,1,0]
	s_delay_alu instid0(VALU_DEP_1) | instskip(SKIP_4) | instid1(VALU_DEP_1)
	v_mov_b32_e32 v9, v5
	ds_load_2addr_b64 v[4:7], v154 offset0:39 offset1:40
	v_pk_add_f32 v[160:161], v[160:161], v[8:9] neg_lo:[0,1] neg_hi:[0,1]
	s_wait_dscnt 0x0
	v_pk_mul_f32 v[8:9], v[4:5], v[2:3] op_sel:[0,1]
	v_pk_fma_f32 v[10:11], v[4:5], v[0:1], v[8:9] op_sel:[0,0,1] op_sel_hi:[1,1,0] neg_lo:[0,0,1] neg_hi:[0,0,1]
	v_pk_fma_f32 v[4:5], v[4:5], v[0:1], v[8:9] op_sel:[0,0,1] op_sel_hi:[1,0,0]
	s_delay_alu instid0(VALU_DEP_1) | instskip(SKIP_1) | instid1(VALU_DEP_1)
	v_mov_b32_e32 v11, v5
	v_pk_mul_f32 v[4:5], v[6:7], v[2:3] op_sel:[0,1]
	v_pk_fma_f32 v[8:9], v[6:7], v[0:1], v[4:5] op_sel:[0,0,1] op_sel_hi:[1,1,0] neg_lo:[0,0,1] neg_hi:[0,0,1]
	v_pk_fma_f32 v[4:5], v[6:7], v[0:1], v[4:5] op_sel:[0,0,1] op_sel_hi:[1,0,0]
	s_delay_alu instid0(VALU_DEP_1)
	v_mov_b32_e32 v9, v5
	ds_load_2addr_b64 v[4:7], v154 offset0:41 offset1:42
	v_pk_add_f32 v[156:157], v[156:157], v[10:11] neg_lo:[0,1] neg_hi:[0,1]
	v_pk_add_f32 v[178:179], v[178:179], v[8:9] neg_lo:[0,1] neg_hi:[0,1]
	s_wait_dscnt 0x0
	v_pk_mul_f32 v[8:9], v[4:5], v[2:3] op_sel:[0,1]
	s_delay_alu instid0(VALU_DEP_1) | instskip(SKIP_1) | instid1(VALU_DEP_1)
	v_pk_fma_f32 v[10:11], v[4:5], v[0:1], v[8:9] op_sel:[0,0,1] op_sel_hi:[1,1,0] neg_lo:[0,0,1] neg_hi:[0,0,1]
	v_pk_fma_f32 v[4:5], v[4:5], v[0:1], v[8:9] op_sel:[0,0,1] op_sel_hi:[1,0,0]
	v_mov_b32_e32 v11, v5
	v_pk_mul_f32 v[4:5], v[6:7], v[2:3] op_sel:[0,1]
	s_delay_alu instid0(VALU_DEP_1) | instskip(SKIP_1) | instid1(VALU_DEP_1)
	v_pk_fma_f32 v[8:9], v[6:7], v[0:1], v[4:5] op_sel:[0,0,1] op_sel_hi:[1,1,0] neg_lo:[0,0,1] neg_hi:[0,0,1]
	v_pk_fma_f32 v[4:5], v[6:7], v[0:1], v[4:5] op_sel:[0,0,1] op_sel_hi:[1,0,0]
	v_mov_b32_e32 v9, v5
	ds_load_2addr_b64 v[4:7], v154 offset0:43 offset1:44
	v_pk_add_f32 v[174:175], v[174:175], v[10:11] neg_lo:[0,1] neg_hi:[0,1]
	v_pk_add_f32 v[176:177], v[176:177], v[8:9] neg_lo:[0,1] neg_hi:[0,1]
	s_wait_dscnt 0x0
	v_dual_mul_f32 v8, v5, v3 :: v_dual_mul_f32 v10, v5, v0
	s_delay_alu instid0(VALU_DEP_1) | instskip(NEXT) | instid1(VALU_DEP_2)
	v_pk_fma_f32 v[8:9], v[4:5], v[26:27], v[8:9] op_sel_hi:[1,1,0] neg_lo:[0,0,1] neg_hi:[0,0,1]
	v_pk_fma_f32 v[4:5], v[4:5], v[26:27], v[10:11] op_sel:[1,0,0] op_sel_hi:[0,1,0]
	s_delay_alu instid0(VALU_DEP_1) | instskip(SKIP_1) | instid1(VALU_DEP_2)
	v_mov_b32_e32 v9, v5
	v_pk_mul_f32 v[4:5], v[6:7], v[2:3] op_sel:[0,1]
	v_pk_add_f32 v[172:173], v[172:173], v[8:9] neg_lo:[0,1] neg_hi:[0,1]
	s_delay_alu instid0(VALU_DEP_2) | instskip(SKIP_1) | instid1(VALU_DEP_1)
	v_pk_fma_f32 v[8:9], v[6:7], v[0:1], v[4:5] op_sel:[0,0,1] op_sel_hi:[1,1,0] neg_lo:[0,0,1] neg_hi:[0,0,1]
	v_pk_fma_f32 v[4:5], v[6:7], v[0:1], v[4:5] op_sel:[0,0,1] op_sel_hi:[1,0,0]
	v_mov_b32_e32 v9, v5
	ds_load_2addr_b64 v[4:7], v154 offset0:45 offset1:46
	v_pk_add_f32 v[196:197], v[196:197], v[8:9] neg_lo:[0,1] neg_hi:[0,1]
	s_wait_dscnt 0x0
	v_pk_mul_f32 v[8:9], v[4:5], v[2:3] op_sel:[0,1]
	s_delay_alu instid0(VALU_DEP_1) | instskip(SKIP_1) | instid1(VALU_DEP_1)
	v_pk_fma_f32 v[10:11], v[4:5], v[0:1], v[8:9] op_sel:[0,0,1] op_sel_hi:[1,1,0] neg_lo:[0,0,1] neg_hi:[0,0,1]
	v_pk_fma_f32 v[4:5], v[4:5], v[0:1], v[8:9] op_sel:[0,0,1] op_sel_hi:[1,0,0]
	v_mov_b32_e32 v11, v5
	v_pk_mul_f32 v[4:5], v[6:7], v[2:3] op_sel:[0,1]
	s_delay_alu instid0(VALU_DEP_2) | instskip(NEXT) | instid1(VALU_DEP_2)
	v_pk_add_f32 v[192:193], v[192:193], v[10:11] neg_lo:[0,1] neg_hi:[0,1]
	v_pk_fma_f32 v[8:9], v[6:7], v[0:1], v[4:5] op_sel:[0,0,1] op_sel_hi:[1,1,0] neg_lo:[0,0,1] neg_hi:[0,0,1]
	v_pk_fma_f32 v[4:5], v[6:7], v[0:1], v[4:5] op_sel:[0,0,1] op_sel_hi:[1,0,0]
	s_delay_alu instid0(VALU_DEP_1) | instskip(SKIP_4) | instid1(VALU_DEP_1)
	v_mov_b32_e32 v9, v5
	ds_load_2addr_b64 v[4:7], v154 offset0:47 offset1:48
	v_pk_add_f32 v[194:195], v[194:195], v[8:9] neg_lo:[0,1] neg_hi:[0,1]
	s_wait_dscnt 0x0
	v_pk_mul_f32 v[8:9], v[4:5], v[2:3] op_sel:[0,1]
	v_pk_fma_f32 v[10:11], v[4:5], v[0:1], v[8:9] op_sel:[0,0,1] op_sel_hi:[1,1,0] neg_lo:[0,0,1] neg_hi:[0,0,1]
	v_pk_fma_f32 v[4:5], v[4:5], v[0:1], v[8:9] op_sel:[0,0,1] op_sel_hi:[1,0,0]
	v_dual_mul_f32 v8, v7, v3 :: v_dual_mov_b32 v4, v7
	s_delay_alu instid0(VALU_DEP_2) | instskip(NEXT) | instid1(VALU_DEP_2)
	v_dual_mov_b32 v11, v5 :: v_dual_mov_b32 v5, v6
	v_pk_fma_f32 v[8:9], v[6:7], v[26:27], v[8:9] op_sel_hi:[1,1,0] neg_lo:[0,0,1] neg_hi:[0,0,1]
	v_mul_f32_e32 v6, v7, v0
	s_delay_alu instid0(VALU_DEP_3) | instskip(NEXT) | instid1(VALU_DEP_2)
	v_pk_add_f32 v[190:191], v[190:191], v[10:11] neg_lo:[0,1] neg_hi:[0,1]
	v_pk_fma_f32 v[4:5], v[4:5], v[26:27], v[6:7] op_sel_hi:[1,1,0]
	s_delay_alu instid0(VALU_DEP_1) | instskip(SKIP_4) | instid1(VALU_DEP_1)
	v_mov_b32_e32 v9, v5
	ds_load_2addr_b64 v[4:7], v154 offset0:49 offset1:50
	v_pk_add_f32 v[216:217], v[216:217], v[8:9] neg_lo:[0,1] neg_hi:[0,1]
	s_wait_dscnt 0x0
	v_pk_mul_f32 v[8:9], v[4:5], v[2:3] op_sel:[0,1]
	v_pk_fma_f32 v[10:11], v[4:5], v[0:1], v[8:9] op_sel:[0,0,1] op_sel_hi:[1,1,0] neg_lo:[0,0,1] neg_hi:[0,0,1]
	v_pk_fma_f32 v[4:5], v[4:5], v[0:1], v[8:9] op_sel:[0,0,1] op_sel_hi:[1,0,0]
	s_delay_alu instid0(VALU_DEP_1) | instskip(SKIP_1) | instid1(VALU_DEP_1)
	v_mov_b32_e32 v11, v5
	v_pk_mul_f32 v[4:5], v[6:7], v[2:3] op_sel:[0,1]
	v_pk_fma_f32 v[8:9], v[6:7], v[0:1], v[4:5] op_sel:[0,0,1] op_sel_hi:[1,1,0] neg_lo:[0,0,1] neg_hi:[0,0,1]
	v_pk_fma_f32 v[4:5], v[6:7], v[0:1], v[4:5] op_sel:[0,0,1] op_sel_hi:[1,0,0]
	s_delay_alu instid0(VALU_DEP_1)
	v_mov_b32_e32 v9, v5
	ds_load_2addr_b64 v[4:7], v154 offset0:51 offset1:52
	v_pk_add_f32 v[210:211], v[210:211], v[10:11] neg_lo:[0,1] neg_hi:[0,1]
	v_pk_add_f32 v[214:215], v[214:215], v[8:9] neg_lo:[0,1] neg_hi:[0,1]
	s_wait_dscnt 0x0
	v_pk_mul_f32 v[8:9], v[4:5], v[2:3] op_sel:[0,1]
	s_delay_alu instid0(VALU_DEP_1) | instskip(SKIP_1) | instid1(VALU_DEP_1)
	v_pk_fma_f32 v[10:11], v[4:5], v[0:1], v[8:9] op_sel:[0,0,1] op_sel_hi:[1,1,0] neg_lo:[0,0,1] neg_hi:[0,0,1]
	v_pk_fma_f32 v[4:5], v[4:5], v[0:1], v[8:9] op_sel:[0,0,1] op_sel_hi:[1,0,0]
	v_mov_b32_e32 v11, v5
	v_pk_mul_f32 v[4:5], v[6:7], v[2:3] op_sel:[0,1]
	s_delay_alu instid0(VALU_DEP_1) | instskip(SKIP_1) | instid1(VALU_DEP_1)
	v_pk_fma_f32 v[8:9], v[6:7], v[0:1], v[4:5] op_sel:[0,0,1] op_sel_hi:[1,1,0] neg_lo:[0,0,1] neg_hi:[0,0,1]
	v_pk_fma_f32 v[4:5], v[6:7], v[0:1], v[4:5] op_sel:[0,0,1] op_sel_hi:[1,0,0]
	v_mov_b32_e32 v9, v5
	ds_load_2addr_b64 v[4:7], v154 offset0:53 offset1:54
	v_pk_add_f32 v[208:209], v[208:209], v[10:11] neg_lo:[0,1] neg_hi:[0,1]
	v_pk_add_f32 v[212:213], v[212:213], v[8:9] neg_lo:[0,1] neg_hi:[0,1]
	s_wait_dscnt 0x0
	v_dual_mul_f32 v8, v5, v3 :: v_dual_mul_f32 v10, v5, v0
	v_pk_mul_f32 v[2:3], v[6:7], v[2:3] op_sel:[0,1]
	s_delay_alu instid0(VALU_DEP_2) | instskip(NEXT) | instid1(VALU_DEP_3)
	v_pk_fma_f32 v[8:9], v[4:5], v[26:27], v[8:9] op_sel_hi:[1,1,0] neg_lo:[0,0,1] neg_hi:[0,0,1]
	v_pk_fma_f32 v[4:5], v[4:5], v[26:27], v[10:11] op_sel:[1,0,0] op_sel_hi:[0,1,0]
	s_delay_alu instid0(VALU_DEP_1) | instskip(NEXT) | instid1(VALU_DEP_4)
	v_mov_b32_e32 v9, v5
	v_pk_fma_f32 v[4:5], v[6:7], v[0:1], v[2:3] op_sel:[0,0,1] op_sel_hi:[1,1,0] neg_lo:[0,0,1] neg_hi:[0,0,1]
	v_pk_fma_f32 v[0:1], v[6:7], v[0:1], v[2:3] op_sel:[0,0,1] op_sel_hi:[1,0,0]
	s_delay_alu instid0(VALU_DEP_1) | instskip(NEXT) | instid1(VALU_DEP_4)
	v_mov_b32_e32 v5, v1
	v_pk_add_f32 v[218:219], v[218:219], v[8:9] neg_lo:[0,1] neg_hi:[0,1]
	s_delay_alu instid0(VALU_DEP_2)
	v_pk_add_f32 v[220:221], v[220:221], v[4:5] neg_lo:[0,1] neg_hi:[0,1]
.LBB109_46:
	s_wait_xcnt 0x0
	s_or_b32 exec_lo, exec_lo, s1
	s_delay_alu instid0(SALU_CYCLE_1)
	s_mov_b32 s2, exec_lo
	s_wait_storecnt 0x0
	s_barrier_signal -1
	s_barrier_wait -1
	v_cmpx_eq_u32_e32 5, v152
	s_cbranch_execz .LBB109_53
; %bb.47:
	v_dual_mov_b32 v0, v24 :: v_dual_mov_b32 v1, v25
	v_dual_mov_b32 v2, v20 :: v_dual_mov_b32 v3, v21
	ds_store_b64 v153, v[22:23]
	ds_store_2addr_b64 v154, v[0:1], v[2:3] offset0:6 offset1:7
	v_dual_mov_b32 v0, v40 :: v_dual_mov_b32 v1, v41
	v_dual_mov_b32 v2, v36 :: v_dual_mov_b32 v3, v37
	ds_store_2addr_b64 v154, v[0:1], v[2:3] offset0:8 offset1:9
	v_dual_mov_b32 v0, v38 :: v_dual_mov_b32 v1, v39
	v_dual_mov_b32 v2, v34 :: v_dual_mov_b32 v3, v35
	;; [unrolled: 3-line block ×23, first 2 shown]
	ds_store_2addr_b64 v154, v[0:1], v[2:3] offset0:52 offset1:53
	ds_store_b64 v154, v[220:221] offset:432
	ds_load_b64 v[0:1], v153
	s_wait_dscnt 0x0
	v_cmp_neq_f32_e32 vcc_lo, 0, v0
	v_cmp_neq_f32_e64 s1, 0, v1
	s_or_b32 s1, vcc_lo, s1
	s_delay_alu instid0(SALU_CYCLE_1)
	s_and_b32 exec_lo, exec_lo, s1
	s_cbranch_execz .LBB109_53
; %bb.48:
	v_cmp_ngt_f32_e64 s1, |v0|, |v1|
                                        ; implicit-def: $vgpr2_vgpr3
	s_and_saveexec_b32 s4, s1
	s_delay_alu instid0(SALU_CYCLE_1)
	s_xor_b32 s1, exec_lo, s4
	s_cbranch_execz .LBB109_50
; %bb.49:
	v_div_scale_f32 v2, null, v1, v1, v0
	v_div_scale_f32 v5, vcc_lo, v0, v1, v0
	s_delay_alu instid0(VALU_DEP_2) | instskip(SKIP_1) | instid1(TRANS32_DEP_1)
	v_rcp_f32_e32 v3, v2
	v_nop
	v_fma_f32 v4, -v2, v3, 1.0
	s_delay_alu instid0(VALU_DEP_1) | instskip(NEXT) | instid1(VALU_DEP_1)
	v_fmac_f32_e32 v3, v4, v3
	v_mul_f32_e32 v4, v5, v3
	s_delay_alu instid0(VALU_DEP_1) | instskip(NEXT) | instid1(VALU_DEP_1)
	v_fma_f32 v6, -v2, v4, v5
	v_fmac_f32_e32 v4, v6, v3
	s_delay_alu instid0(VALU_DEP_1) | instskip(NEXT) | instid1(VALU_DEP_1)
	v_fma_f32 v2, -v2, v4, v5
	v_div_fmas_f32 v2, v2, v3, v4
	s_delay_alu instid0(VALU_DEP_1) | instskip(NEXT) | instid1(VALU_DEP_1)
	v_div_fixup_f32 v2, v2, v1, v0
	v_fmac_f32_e32 v1, v0, v2
	s_delay_alu instid0(VALU_DEP_1) | instskip(SKIP_1) | instid1(VALU_DEP_2)
	v_div_scale_f32 v0, null, v1, v1, 1.0
	v_div_scale_f32 v5, vcc_lo, 1.0, v1, 1.0
	v_rcp_f32_e32 v3, v0
	v_nop
	s_delay_alu instid0(TRANS32_DEP_1) | instskip(NEXT) | instid1(VALU_DEP_1)
	v_fma_f32 v4, -v0, v3, 1.0
	v_fmac_f32_e32 v3, v4, v3
	s_delay_alu instid0(VALU_DEP_1) | instskip(NEXT) | instid1(VALU_DEP_1)
	v_mul_f32_e32 v4, v5, v3
	v_fma_f32 v6, -v0, v4, v5
	s_delay_alu instid0(VALU_DEP_1) | instskip(NEXT) | instid1(VALU_DEP_1)
	v_fmac_f32_e32 v4, v6, v3
	v_fma_f32 v0, -v0, v4, v5
	s_delay_alu instid0(VALU_DEP_1) | instskip(NEXT) | instid1(VALU_DEP_1)
	v_div_fmas_f32 v0, v0, v3, v4
	v_div_fixup_f32 v0, v0, v1, 1.0
	s_delay_alu instid0(VALU_DEP_1)
	v_mul_f32_e32 v2, v2, v0
	v_xor_b32_e32 v3, 0x80000000, v0
                                        ; implicit-def: $vgpr0_vgpr1
.LBB109_50:
	s_and_not1_saveexec_b32 s1, s1
	s_cbranch_execz .LBB109_52
; %bb.51:
	v_div_scale_f32 v2, null, v0, v0, v1
	v_div_scale_f32 v5, vcc_lo, v1, v0, v1
	s_delay_alu instid0(VALU_DEP_2) | instskip(SKIP_1) | instid1(TRANS32_DEP_1)
	v_rcp_f32_e32 v3, v2
	v_nop
	v_fma_f32 v4, -v2, v3, 1.0
	s_delay_alu instid0(VALU_DEP_1) | instskip(NEXT) | instid1(VALU_DEP_1)
	v_fmac_f32_e32 v3, v4, v3
	v_mul_f32_e32 v4, v5, v3
	s_delay_alu instid0(VALU_DEP_1) | instskip(NEXT) | instid1(VALU_DEP_1)
	v_fma_f32 v6, -v2, v4, v5
	v_fmac_f32_e32 v4, v6, v3
	s_delay_alu instid0(VALU_DEP_1) | instskip(NEXT) | instid1(VALU_DEP_1)
	v_fma_f32 v2, -v2, v4, v5
	v_div_fmas_f32 v2, v2, v3, v4
	s_delay_alu instid0(VALU_DEP_1) | instskip(NEXT) | instid1(VALU_DEP_1)
	v_div_fixup_f32 v3, v2, v0, v1
	v_fmac_f32_e32 v0, v1, v3
	s_delay_alu instid0(VALU_DEP_1) | instskip(NEXT) | instid1(VALU_DEP_1)
	v_div_scale_f32 v1, null, v0, v0, 1.0
	v_rcp_f32_e32 v2, v1
	v_nop
	s_delay_alu instid0(TRANS32_DEP_1) | instskip(NEXT) | instid1(VALU_DEP_1)
	v_fma_f32 v4, -v1, v2, 1.0
	v_fmac_f32_e32 v2, v4, v2
	v_div_scale_f32 v4, vcc_lo, 1.0, v0, 1.0
	s_delay_alu instid0(VALU_DEP_1) | instskip(NEXT) | instid1(VALU_DEP_1)
	v_mul_f32_e32 v5, v4, v2
	v_fma_f32 v6, -v1, v5, v4
	s_delay_alu instid0(VALU_DEP_1) | instskip(NEXT) | instid1(VALU_DEP_1)
	v_fmac_f32_e32 v5, v6, v2
	v_fma_f32 v1, -v1, v5, v4
	s_delay_alu instid0(VALU_DEP_1) | instskip(NEXT) | instid1(VALU_DEP_1)
	v_div_fmas_f32 v1, v1, v2, v5
	v_div_fixup_f32 v2, v1, v0, 1.0
	s_delay_alu instid0(VALU_DEP_1)
	v_mul_f32_e64 v3, v3, -v2
.LBB109_52:
	s_or_b32 exec_lo, exec_lo, s1
	ds_store_b64 v153, v[2:3]
.LBB109_53:
	s_or_b32 exec_lo, exec_lo, s2
	s_wait_dscnt 0x0
	s_barrier_signal -1
	s_barrier_wait -1
	ds_load_b64 v[0:1], v153
	s_mov_b32 s1, exec_lo
	s_wait_dscnt 0x0
	scratch_store_b64 off, v[0:1], off offset:248 ; 8-byte Folded Spill
	s_wait_xcnt 0x0
	v_cmpx_lt_u32_e32 5, v152
	s_cbranch_execz .LBB109_55
; %bb.54:
	scratch_load_b64 v[4:5], off, off offset:248 ; 8-byte Folded Reload
	s_wait_loadcnt 0x0
	v_pk_mul_f32 v[2:3], v[4:5], v[22:23] op_sel:[1,1] op_sel_hi:[0,1]
	s_delay_alu instid0(VALU_DEP_1)
	v_pk_fma_f32 v[0:1], v[4:5], v[22:23], v[2:3] op_sel_hi:[1,0,1] neg_lo:[0,0,1] neg_hi:[0,0,1]
	v_pk_fma_f32 v[2:3], v[4:5], v[22:23], v[2:3] op_sel_hi:[1,0,1]
	ds_load_2addr_b64 v[4:7], v154 offset0:6 offset1:7
	v_dual_mov_b32 v22, v0 :: v_dual_mov_b32 v23, v3
	s_wait_dscnt 0x0
	v_pk_mul_f32 v[8:9], v[4:5], v[2:3] op_sel:[0,1]
	s_delay_alu instid0(VALU_DEP_1) | instskip(SKIP_1) | instid1(VALU_DEP_1)
	v_pk_fma_f32 v[10:11], v[4:5], v[0:1], v[8:9] op_sel:[0,0,1] op_sel_hi:[1,1,0] neg_lo:[0,0,1] neg_hi:[0,0,1]
	v_pk_fma_f32 v[4:5], v[4:5], v[0:1], v[8:9] op_sel:[0,0,1] op_sel_hi:[1,0,0]
	v_mov_b32_e32 v11, v5
	v_pk_mul_f32 v[4:5], v[6:7], v[2:3] op_sel:[0,1]
	s_delay_alu instid0(VALU_DEP_1) | instskip(SKIP_1) | instid1(VALU_DEP_1)
	v_pk_fma_f32 v[8:9], v[6:7], v[0:1], v[4:5] op_sel:[0,0,1] op_sel_hi:[1,1,0] neg_lo:[0,0,1] neg_hi:[0,0,1]
	v_pk_fma_f32 v[4:5], v[6:7], v[0:1], v[4:5] op_sel:[0,0,1] op_sel_hi:[1,0,0]
	v_mov_b32_e32 v9, v5
	ds_load_2addr_b64 v[4:7], v154 offset0:8 offset1:9
	v_pk_add_f32 v[24:25], v[24:25], v[10:11] neg_lo:[0,1] neg_hi:[0,1]
	v_pk_add_f32 v[20:21], v[20:21], v[8:9] neg_lo:[0,1] neg_hi:[0,1]
	s_wait_dscnt 0x0
	v_pk_mul_f32 v[8:9], v[4:5], v[2:3] op_sel:[0,1]
	s_delay_alu instid0(VALU_DEP_1) | instskip(SKIP_2) | instid1(VALU_DEP_2)
	v_pk_fma_f32 v[10:11], v[4:5], v[0:1], v[8:9] op_sel:[0,0,1] op_sel_hi:[1,1,0] neg_lo:[0,0,1] neg_hi:[0,0,1]
	v_pk_fma_f32 v[4:5], v[4:5], v[0:1], v[8:9] op_sel:[0,0,1] op_sel_hi:[1,0,0]
	v_dual_mul_f32 v8, v7, v3 :: v_dual_mov_b32 v4, v7
	v_dual_mov_b32 v11, v5 :: v_dual_mov_b32 v5, v6
	s_delay_alu instid0(VALU_DEP_2) | instskip(SKIP_1) | instid1(VALU_DEP_3)
	v_pk_fma_f32 v[8:9], v[6:7], v[22:23], v[8:9] op_sel_hi:[1,1,0] neg_lo:[0,0,1] neg_hi:[0,0,1]
	v_mul_f32_e32 v6, v7, v0
	v_pk_add_f32 v[40:41], v[40:41], v[10:11] neg_lo:[0,1] neg_hi:[0,1]
	s_delay_alu instid0(VALU_DEP_2) | instskip(NEXT) | instid1(VALU_DEP_1)
	v_pk_fma_f32 v[4:5], v[4:5], v[22:23], v[6:7] op_sel_hi:[1,1,0]
	v_mov_b32_e32 v9, v5
	ds_load_2addr_b64 v[4:7], v154 offset0:10 offset1:11
	v_pk_add_f32 v[36:37], v[36:37], v[8:9] neg_lo:[0,1] neg_hi:[0,1]
	s_wait_dscnt 0x0
	v_pk_mul_f32 v[8:9], v[4:5], v[2:3] op_sel:[0,1]
	s_delay_alu instid0(VALU_DEP_1) | instskip(SKIP_1) | instid1(VALU_DEP_1)
	v_pk_fma_f32 v[10:11], v[4:5], v[0:1], v[8:9] op_sel:[0,0,1] op_sel_hi:[1,1,0] neg_lo:[0,0,1] neg_hi:[0,0,1]
	v_pk_fma_f32 v[4:5], v[4:5], v[0:1], v[8:9] op_sel:[0,0,1] op_sel_hi:[1,0,0]
	v_mov_b32_e32 v11, v5
	v_pk_mul_f32 v[4:5], v[6:7], v[2:3] op_sel:[0,1]
	s_delay_alu instid0(VALU_DEP_1) | instskip(SKIP_1) | instid1(VALU_DEP_1)
	v_pk_fma_f32 v[8:9], v[6:7], v[0:1], v[4:5] op_sel:[0,0,1] op_sel_hi:[1,1,0] neg_lo:[0,0,1] neg_hi:[0,0,1]
	v_pk_fma_f32 v[4:5], v[6:7], v[0:1], v[4:5] op_sel:[0,0,1] op_sel_hi:[1,0,0]
	v_mov_b32_e32 v9, v5
	ds_load_2addr_b64 v[4:7], v154 offset0:12 offset1:13
	v_pk_add_f32 v[38:39], v[38:39], v[10:11] neg_lo:[0,1] neg_hi:[0,1]
	v_pk_add_f32 v[34:35], v[34:35], v[8:9] neg_lo:[0,1] neg_hi:[0,1]
	s_wait_dscnt 0x0
	v_pk_mul_f32 v[8:9], v[4:5], v[2:3] op_sel:[0,1]
	s_delay_alu instid0(VALU_DEP_1) | instskip(SKIP_1) | instid1(VALU_DEP_1)
	v_pk_fma_f32 v[10:11], v[4:5], v[0:1], v[8:9] op_sel:[0,0,1] op_sel_hi:[1,1,0] neg_lo:[0,0,1] neg_hi:[0,0,1]
	v_pk_fma_f32 v[4:5], v[4:5], v[0:1], v[8:9] op_sel:[0,0,1] op_sel_hi:[1,0,0]
	v_mov_b32_e32 v11, v5
	v_pk_mul_f32 v[4:5], v[6:7], v[2:3] op_sel:[0,1]
	s_delay_alu instid0(VALU_DEP_1) | instskip(SKIP_1) | instid1(VALU_DEP_1)
	v_pk_fma_f32 v[8:9], v[6:7], v[0:1], v[4:5] op_sel:[0,0,1] op_sel_hi:[1,1,0] neg_lo:[0,0,1] neg_hi:[0,0,1]
	v_pk_fma_f32 v[4:5], v[6:7], v[0:1], v[4:5] op_sel:[0,0,1] op_sel_hi:[1,0,0]
	v_mov_b32_e32 v9, v5
	ds_load_2addr_b64 v[4:7], v154 offset0:14 offset1:15
	v_pk_add_f32 v[64:65], v[64:65], v[10:11] neg_lo:[0,1] neg_hi:[0,1]
	v_pk_add_f32 v[60:61], v[60:61], v[8:9] neg_lo:[0,1] neg_hi:[0,1]
	s_wait_dscnt 0x0
	v_dual_mul_f32 v8, v5, v3 :: v_dual_mul_f32 v10, v5, v0
	s_delay_alu instid0(VALU_DEP_1) | instskip(NEXT) | instid1(VALU_DEP_2)
	v_pk_fma_f32 v[8:9], v[4:5], v[22:23], v[8:9] op_sel_hi:[1,1,0] neg_lo:[0,0,1] neg_hi:[0,0,1]
	v_pk_fma_f32 v[4:5], v[4:5], v[22:23], v[10:11] op_sel:[1,0,0] op_sel_hi:[0,1,0]
	s_delay_alu instid0(VALU_DEP_1) | instskip(SKIP_1) | instid1(VALU_DEP_2)
	v_mov_b32_e32 v9, v5
	v_pk_mul_f32 v[4:5], v[6:7], v[2:3] op_sel:[0,1]
	v_pk_add_f32 v[62:63], v[62:63], v[8:9] neg_lo:[0,1] neg_hi:[0,1]
	s_delay_alu instid0(VALU_DEP_2) | instskip(SKIP_1) | instid1(VALU_DEP_1)
	v_pk_fma_f32 v[8:9], v[6:7], v[0:1], v[4:5] op_sel:[0,0,1] op_sel_hi:[1,1,0] neg_lo:[0,0,1] neg_hi:[0,0,1]
	v_pk_fma_f32 v[4:5], v[6:7], v[0:1], v[4:5] op_sel:[0,0,1] op_sel_hi:[1,0,0]
	v_mov_b32_e32 v9, v5
	ds_load_2addr_b64 v[4:7], v154 offset0:16 offset1:17
	v_pk_add_f32 v[58:59], v[58:59], v[8:9] neg_lo:[0,1] neg_hi:[0,1]
	s_wait_dscnt 0x0
	v_pk_mul_f32 v[8:9], v[4:5], v[2:3] op_sel:[0,1]
	s_delay_alu instid0(VALU_DEP_1) | instskip(SKIP_1) | instid1(VALU_DEP_1)
	v_pk_fma_f32 v[10:11], v[4:5], v[0:1], v[8:9] op_sel:[0,0,1] op_sel_hi:[1,1,0] neg_lo:[0,0,1] neg_hi:[0,0,1]
	v_pk_fma_f32 v[4:5], v[4:5], v[0:1], v[8:9] op_sel:[0,0,1] op_sel_hi:[1,0,0]
	v_mov_b32_e32 v11, v5
	v_pk_mul_f32 v[4:5], v[6:7], v[2:3] op_sel:[0,1]
	s_delay_alu instid0(VALU_DEP_2) | instskip(NEXT) | instid1(VALU_DEP_2)
	v_pk_add_f32 v[80:81], v[80:81], v[10:11] neg_lo:[0,1] neg_hi:[0,1]
	v_pk_fma_f32 v[8:9], v[6:7], v[0:1], v[4:5] op_sel:[0,0,1] op_sel_hi:[1,1,0] neg_lo:[0,0,1] neg_hi:[0,0,1]
	v_pk_fma_f32 v[4:5], v[6:7], v[0:1], v[4:5] op_sel:[0,0,1] op_sel_hi:[1,0,0]
	s_delay_alu instid0(VALU_DEP_1) | instskip(SKIP_4) | instid1(VALU_DEP_1)
	v_mov_b32_e32 v9, v5
	ds_load_2addr_b64 v[4:7], v154 offset0:18 offset1:19
	v_pk_add_f32 v[76:77], v[76:77], v[8:9] neg_lo:[0,1] neg_hi:[0,1]
	s_wait_dscnt 0x0
	v_pk_mul_f32 v[8:9], v[4:5], v[2:3] op_sel:[0,1]
	v_pk_fma_f32 v[10:11], v[4:5], v[0:1], v[8:9] op_sel:[0,0,1] op_sel_hi:[1,1,0] neg_lo:[0,0,1] neg_hi:[0,0,1]
	v_pk_fma_f32 v[4:5], v[4:5], v[0:1], v[8:9] op_sel:[0,0,1] op_sel_hi:[1,0,0]
	v_dual_mul_f32 v8, v7, v3 :: v_dual_mov_b32 v4, v7
	s_delay_alu instid0(VALU_DEP_2) | instskip(NEXT) | instid1(VALU_DEP_2)
	v_dual_mov_b32 v11, v5 :: v_dual_mov_b32 v5, v6
	v_pk_fma_f32 v[8:9], v[6:7], v[22:23], v[8:9] op_sel_hi:[1,1,0] neg_lo:[0,0,1] neg_hi:[0,0,1]
	v_mul_f32_e32 v6, v7, v0
	s_delay_alu instid0(VALU_DEP_3) | instskip(NEXT) | instid1(VALU_DEP_2)
	v_pk_add_f32 v[78:79], v[78:79], v[10:11] neg_lo:[0,1] neg_hi:[0,1]
	v_pk_fma_f32 v[4:5], v[4:5], v[22:23], v[6:7] op_sel_hi:[1,1,0]
	s_delay_alu instid0(VALU_DEP_1) | instskip(SKIP_4) | instid1(VALU_DEP_1)
	v_mov_b32_e32 v9, v5
	ds_load_2addr_b64 v[4:7], v154 offset0:20 offset1:21
	v_pk_add_f32 v[74:75], v[74:75], v[8:9] neg_lo:[0,1] neg_hi:[0,1]
	s_wait_dscnt 0x0
	v_pk_mul_f32 v[8:9], v[4:5], v[2:3] op_sel:[0,1]
	v_pk_fma_f32 v[10:11], v[4:5], v[0:1], v[8:9] op_sel:[0,0,1] op_sel_hi:[1,1,0] neg_lo:[0,0,1] neg_hi:[0,0,1]
	v_pk_fma_f32 v[4:5], v[4:5], v[0:1], v[8:9] op_sel:[0,0,1] op_sel_hi:[1,0,0]
	s_delay_alu instid0(VALU_DEP_1) | instskip(SKIP_1) | instid1(VALU_DEP_1)
	v_mov_b32_e32 v11, v5
	v_pk_mul_f32 v[4:5], v[6:7], v[2:3] op_sel:[0,1]
	v_pk_fma_f32 v[8:9], v[6:7], v[0:1], v[4:5] op_sel:[0,0,1] op_sel_hi:[1,1,0] neg_lo:[0,0,1] neg_hi:[0,0,1]
	v_pk_fma_f32 v[4:5], v[6:7], v[0:1], v[4:5] op_sel:[0,0,1] op_sel_hi:[1,0,0]
	s_delay_alu instid0(VALU_DEP_1)
	v_mov_b32_e32 v9, v5
	ds_load_2addr_b64 v[4:7], v154 offset0:22 offset1:23
	v_pk_add_f32 v[96:97], v[96:97], v[10:11] neg_lo:[0,1] neg_hi:[0,1]
	v_pk_add_f32 v[92:93], v[92:93], v[8:9] neg_lo:[0,1] neg_hi:[0,1]
	s_wait_dscnt 0x0
	v_pk_mul_f32 v[8:9], v[4:5], v[2:3] op_sel:[0,1]
	s_delay_alu instid0(VALU_DEP_1) | instskip(SKIP_1) | instid1(VALU_DEP_1)
	v_pk_fma_f32 v[10:11], v[4:5], v[0:1], v[8:9] op_sel:[0,0,1] op_sel_hi:[1,1,0] neg_lo:[0,0,1] neg_hi:[0,0,1]
	v_pk_fma_f32 v[4:5], v[4:5], v[0:1], v[8:9] op_sel:[0,0,1] op_sel_hi:[1,0,0]
	v_mov_b32_e32 v11, v5
	v_pk_mul_f32 v[4:5], v[6:7], v[2:3] op_sel:[0,1]
	s_delay_alu instid0(VALU_DEP_1) | instskip(SKIP_1) | instid1(VALU_DEP_1)
	v_pk_fma_f32 v[8:9], v[6:7], v[0:1], v[4:5] op_sel:[0,0,1] op_sel_hi:[1,1,0] neg_lo:[0,0,1] neg_hi:[0,0,1]
	v_pk_fma_f32 v[4:5], v[6:7], v[0:1], v[4:5] op_sel:[0,0,1] op_sel_hi:[1,0,0]
	v_mov_b32_e32 v9, v5
	ds_load_2addr_b64 v[4:7], v154 offset0:24 offset1:25
	v_pk_add_f32 v[94:95], v[94:95], v[10:11] neg_lo:[0,1] neg_hi:[0,1]
	v_pk_add_f32 v[90:91], v[90:91], v[8:9] neg_lo:[0,1] neg_hi:[0,1]
	s_wait_dscnt 0x0
	v_dual_mul_f32 v8, v5, v3 :: v_dual_mul_f32 v10, v5, v0
	s_delay_alu instid0(VALU_DEP_1) | instskip(NEXT) | instid1(VALU_DEP_2)
	v_pk_fma_f32 v[8:9], v[4:5], v[22:23], v[8:9] op_sel_hi:[1,1,0] neg_lo:[0,0,1] neg_hi:[0,0,1]
	v_pk_fma_f32 v[4:5], v[4:5], v[22:23], v[10:11] op_sel:[1,0,0] op_sel_hi:[0,1,0]
	s_delay_alu instid0(VALU_DEP_1) | instskip(SKIP_1) | instid1(VALU_DEP_2)
	v_mov_b32_e32 v9, v5
	v_pk_mul_f32 v[4:5], v[6:7], v[2:3] op_sel:[0,1]
	v_pk_add_f32 v[114:115], v[114:115], v[8:9] neg_lo:[0,1] neg_hi:[0,1]
	s_delay_alu instid0(VALU_DEP_2) | instskip(SKIP_1) | instid1(VALU_DEP_1)
	v_pk_fma_f32 v[8:9], v[6:7], v[0:1], v[4:5] op_sel:[0,0,1] op_sel_hi:[1,1,0] neg_lo:[0,0,1] neg_hi:[0,0,1]
	v_pk_fma_f32 v[4:5], v[6:7], v[0:1], v[4:5] op_sel:[0,0,1] op_sel_hi:[1,0,0]
	v_mov_b32_e32 v9, v5
	ds_load_2addr_b64 v[4:7], v154 offset0:26 offset1:27
	v_pk_add_f32 v[110:111], v[110:111], v[8:9] neg_lo:[0,1] neg_hi:[0,1]
	s_wait_dscnt 0x0
	v_pk_mul_f32 v[8:9], v[4:5], v[2:3] op_sel:[0,1]
	s_delay_alu instid0(VALU_DEP_1) | instskip(SKIP_1) | instid1(VALU_DEP_1)
	v_pk_fma_f32 v[10:11], v[4:5], v[0:1], v[8:9] op_sel:[0,0,1] op_sel_hi:[1,1,0] neg_lo:[0,0,1] neg_hi:[0,0,1]
	v_pk_fma_f32 v[4:5], v[4:5], v[0:1], v[8:9] op_sel:[0,0,1] op_sel_hi:[1,0,0]
	v_mov_b32_e32 v11, v5
	v_pk_mul_f32 v[4:5], v[6:7], v[2:3] op_sel:[0,1]
	s_delay_alu instid0(VALU_DEP_2) | instskip(NEXT) | instid1(VALU_DEP_2)
	v_pk_add_f32 v[112:113], v[112:113], v[10:11] neg_lo:[0,1] neg_hi:[0,1]
	v_pk_fma_f32 v[8:9], v[6:7], v[0:1], v[4:5] op_sel:[0,0,1] op_sel_hi:[1,1,0] neg_lo:[0,0,1] neg_hi:[0,0,1]
	v_pk_fma_f32 v[4:5], v[6:7], v[0:1], v[4:5] op_sel:[0,0,1] op_sel_hi:[1,0,0]
	s_delay_alu instid0(VALU_DEP_1) | instskip(SKIP_4) | instid1(VALU_DEP_1)
	v_mov_b32_e32 v9, v5
	ds_load_2addr_b64 v[4:7], v154 offset0:28 offset1:29
	v_pk_add_f32 v[108:109], v[108:109], v[8:9] neg_lo:[0,1] neg_hi:[0,1]
	s_wait_dscnt 0x0
	v_pk_mul_f32 v[8:9], v[4:5], v[2:3] op_sel:[0,1]
	v_pk_fma_f32 v[10:11], v[4:5], v[0:1], v[8:9] op_sel:[0,0,1] op_sel_hi:[1,1,0] neg_lo:[0,0,1] neg_hi:[0,0,1]
	v_pk_fma_f32 v[4:5], v[4:5], v[0:1], v[8:9] op_sel:[0,0,1] op_sel_hi:[1,0,0]
	v_dual_mul_f32 v8, v7, v3 :: v_dual_mov_b32 v4, v7
	s_delay_alu instid0(VALU_DEP_2) | instskip(NEXT) | instid1(VALU_DEP_2)
	v_dual_mov_b32 v11, v5 :: v_dual_mov_b32 v5, v6
	v_pk_fma_f32 v[8:9], v[6:7], v[22:23], v[8:9] op_sel_hi:[1,1,0] neg_lo:[0,0,1] neg_hi:[0,0,1]
	v_mul_f32_e32 v6, v7, v0
	s_delay_alu instid0(VALU_DEP_3) | instskip(NEXT) | instid1(VALU_DEP_2)
	v_pk_add_f32 v[130:131], v[130:131], v[10:11] neg_lo:[0,1] neg_hi:[0,1]
	v_pk_fma_f32 v[4:5], v[4:5], v[22:23], v[6:7] op_sel_hi:[1,1,0]
	s_delay_alu instid0(VALU_DEP_1) | instskip(SKIP_4) | instid1(VALU_DEP_1)
	v_mov_b32_e32 v9, v5
	ds_load_2addr_b64 v[4:7], v154 offset0:30 offset1:31
	v_pk_add_f32 v[126:127], v[126:127], v[8:9] neg_lo:[0,1] neg_hi:[0,1]
	s_wait_dscnt 0x0
	v_pk_mul_f32 v[8:9], v[4:5], v[2:3] op_sel:[0,1]
	v_pk_fma_f32 v[10:11], v[4:5], v[0:1], v[8:9] op_sel:[0,0,1] op_sel_hi:[1,1,0] neg_lo:[0,0,1] neg_hi:[0,0,1]
	v_pk_fma_f32 v[4:5], v[4:5], v[0:1], v[8:9] op_sel:[0,0,1] op_sel_hi:[1,0,0]
	s_delay_alu instid0(VALU_DEP_1) | instskip(SKIP_1) | instid1(VALU_DEP_1)
	v_mov_b32_e32 v11, v5
	v_pk_mul_f32 v[4:5], v[6:7], v[2:3] op_sel:[0,1]
	v_pk_fma_f32 v[8:9], v[6:7], v[0:1], v[4:5] op_sel:[0,0,1] op_sel_hi:[1,1,0] neg_lo:[0,0,1] neg_hi:[0,0,1]
	v_pk_fma_f32 v[4:5], v[6:7], v[0:1], v[4:5] op_sel:[0,0,1] op_sel_hi:[1,0,0]
	s_delay_alu instid0(VALU_DEP_1)
	v_mov_b32_e32 v9, v5
	ds_load_2addr_b64 v[4:7], v154 offset0:32 offset1:33
	v_pk_add_f32 v[128:129], v[128:129], v[10:11] neg_lo:[0,1] neg_hi:[0,1]
	v_pk_add_f32 v[124:125], v[124:125], v[8:9] neg_lo:[0,1] neg_hi:[0,1]
	s_wait_dscnt 0x0
	v_pk_mul_f32 v[8:9], v[4:5], v[2:3] op_sel:[0,1]
	s_delay_alu instid0(VALU_DEP_1) | instskip(SKIP_1) | instid1(VALU_DEP_1)
	v_pk_fma_f32 v[10:11], v[4:5], v[0:1], v[8:9] op_sel:[0,0,1] op_sel_hi:[1,1,0] neg_lo:[0,0,1] neg_hi:[0,0,1]
	v_pk_fma_f32 v[4:5], v[4:5], v[0:1], v[8:9] op_sel:[0,0,1] op_sel_hi:[1,0,0]
	v_mov_b32_e32 v11, v5
	v_pk_mul_f32 v[4:5], v[6:7], v[2:3] op_sel:[0,1]
	s_delay_alu instid0(VALU_DEP_1) | instskip(SKIP_1) | instid1(VALU_DEP_1)
	v_pk_fma_f32 v[8:9], v[6:7], v[0:1], v[4:5] op_sel:[0,0,1] op_sel_hi:[1,1,0] neg_lo:[0,0,1] neg_hi:[0,0,1]
	v_pk_fma_f32 v[4:5], v[6:7], v[0:1], v[4:5] op_sel:[0,0,1] op_sel_hi:[1,0,0]
	v_mov_b32_e32 v9, v5
	ds_load_2addr_b64 v[4:7], v154 offset0:34 offset1:35
	v_pk_add_f32 v[146:147], v[146:147], v[10:11] neg_lo:[0,1] neg_hi:[0,1]
	v_pk_add_f32 v[142:143], v[142:143], v[8:9] neg_lo:[0,1] neg_hi:[0,1]
	s_wait_dscnt 0x0
	v_dual_mul_f32 v8, v5, v3 :: v_dual_mul_f32 v10, v5, v0
	s_delay_alu instid0(VALU_DEP_1) | instskip(NEXT) | instid1(VALU_DEP_2)
	v_pk_fma_f32 v[8:9], v[4:5], v[22:23], v[8:9] op_sel_hi:[1,1,0] neg_lo:[0,0,1] neg_hi:[0,0,1]
	v_pk_fma_f32 v[4:5], v[4:5], v[22:23], v[10:11] op_sel:[1,0,0] op_sel_hi:[0,1,0]
	s_delay_alu instid0(VALU_DEP_1) | instskip(SKIP_1) | instid1(VALU_DEP_2)
	v_mov_b32_e32 v9, v5
	v_pk_mul_f32 v[4:5], v[6:7], v[2:3] op_sel:[0,1]
	v_pk_add_f32 v[144:145], v[144:145], v[8:9] neg_lo:[0,1] neg_hi:[0,1]
	s_delay_alu instid0(VALU_DEP_2) | instskip(SKIP_1) | instid1(VALU_DEP_1)
	v_pk_fma_f32 v[8:9], v[6:7], v[0:1], v[4:5] op_sel:[0,0,1] op_sel_hi:[1,1,0] neg_lo:[0,0,1] neg_hi:[0,0,1]
	v_pk_fma_f32 v[4:5], v[6:7], v[0:1], v[4:5] op_sel:[0,0,1] op_sel_hi:[1,0,0]
	v_mov_b32_e32 v9, v5
	ds_load_2addr_b64 v[4:7], v154 offset0:36 offset1:37
	v_pk_add_f32 v[140:141], v[140:141], v[8:9] neg_lo:[0,1] neg_hi:[0,1]
	s_wait_dscnt 0x0
	v_pk_mul_f32 v[8:9], v[4:5], v[2:3] op_sel:[0,1]
	s_delay_alu instid0(VALU_DEP_1) | instskip(SKIP_1) | instid1(VALU_DEP_1)
	v_pk_fma_f32 v[10:11], v[4:5], v[0:1], v[8:9] op_sel:[0,0,1] op_sel_hi:[1,1,0] neg_lo:[0,0,1] neg_hi:[0,0,1]
	v_pk_fma_f32 v[4:5], v[4:5], v[0:1], v[8:9] op_sel:[0,0,1] op_sel_hi:[1,0,0]
	v_mov_b32_e32 v11, v5
	v_pk_mul_f32 v[4:5], v[6:7], v[2:3] op_sel:[0,1]
	s_delay_alu instid0(VALU_DEP_2) | instskip(NEXT) | instid1(VALU_DEP_2)
	v_pk_add_f32 v[162:163], v[162:163], v[10:11] neg_lo:[0,1] neg_hi:[0,1]
	v_pk_fma_f32 v[8:9], v[6:7], v[0:1], v[4:5] op_sel:[0,0,1] op_sel_hi:[1,1,0] neg_lo:[0,0,1] neg_hi:[0,0,1]
	v_pk_fma_f32 v[4:5], v[6:7], v[0:1], v[4:5] op_sel:[0,0,1] op_sel_hi:[1,0,0]
	s_delay_alu instid0(VALU_DEP_1) | instskip(SKIP_4) | instid1(VALU_DEP_1)
	v_mov_b32_e32 v9, v5
	ds_load_2addr_b64 v[4:7], v154 offset0:38 offset1:39
	v_pk_add_f32 v[158:159], v[158:159], v[8:9] neg_lo:[0,1] neg_hi:[0,1]
	s_wait_dscnt 0x0
	v_pk_mul_f32 v[8:9], v[4:5], v[2:3] op_sel:[0,1]
	v_pk_fma_f32 v[10:11], v[4:5], v[0:1], v[8:9] op_sel:[0,0,1] op_sel_hi:[1,1,0] neg_lo:[0,0,1] neg_hi:[0,0,1]
	v_pk_fma_f32 v[4:5], v[4:5], v[0:1], v[8:9] op_sel:[0,0,1] op_sel_hi:[1,0,0]
	v_dual_mul_f32 v8, v7, v3 :: v_dual_mov_b32 v4, v7
	s_delay_alu instid0(VALU_DEP_2) | instskip(NEXT) | instid1(VALU_DEP_2)
	v_dual_mov_b32 v11, v5 :: v_dual_mov_b32 v5, v6
	v_pk_fma_f32 v[8:9], v[6:7], v[22:23], v[8:9] op_sel_hi:[1,1,0] neg_lo:[0,0,1] neg_hi:[0,0,1]
	v_mul_f32_e32 v6, v7, v0
	s_delay_alu instid0(VALU_DEP_3) | instskip(NEXT) | instid1(VALU_DEP_2)
	v_pk_add_f32 v[160:161], v[160:161], v[10:11] neg_lo:[0,1] neg_hi:[0,1]
	v_pk_fma_f32 v[4:5], v[4:5], v[22:23], v[6:7] op_sel_hi:[1,1,0]
	s_delay_alu instid0(VALU_DEP_1) | instskip(SKIP_4) | instid1(VALU_DEP_1)
	v_mov_b32_e32 v9, v5
	ds_load_2addr_b64 v[4:7], v154 offset0:40 offset1:41
	v_pk_add_f32 v[156:157], v[156:157], v[8:9] neg_lo:[0,1] neg_hi:[0,1]
	s_wait_dscnt 0x0
	v_pk_mul_f32 v[8:9], v[4:5], v[2:3] op_sel:[0,1]
	v_pk_fma_f32 v[10:11], v[4:5], v[0:1], v[8:9] op_sel:[0,0,1] op_sel_hi:[1,1,0] neg_lo:[0,0,1] neg_hi:[0,0,1]
	v_pk_fma_f32 v[4:5], v[4:5], v[0:1], v[8:9] op_sel:[0,0,1] op_sel_hi:[1,0,0]
	s_delay_alu instid0(VALU_DEP_1) | instskip(SKIP_1) | instid1(VALU_DEP_1)
	v_mov_b32_e32 v11, v5
	v_pk_mul_f32 v[4:5], v[6:7], v[2:3] op_sel:[0,1]
	v_pk_fma_f32 v[8:9], v[6:7], v[0:1], v[4:5] op_sel:[0,0,1] op_sel_hi:[1,1,0] neg_lo:[0,0,1] neg_hi:[0,0,1]
	v_pk_fma_f32 v[4:5], v[6:7], v[0:1], v[4:5] op_sel:[0,0,1] op_sel_hi:[1,0,0]
	s_delay_alu instid0(VALU_DEP_1)
	v_mov_b32_e32 v9, v5
	ds_load_2addr_b64 v[4:7], v154 offset0:42 offset1:43
	v_pk_add_f32 v[178:179], v[178:179], v[10:11] neg_lo:[0,1] neg_hi:[0,1]
	v_pk_add_f32 v[174:175], v[174:175], v[8:9] neg_lo:[0,1] neg_hi:[0,1]
	s_wait_dscnt 0x0
	v_pk_mul_f32 v[8:9], v[4:5], v[2:3] op_sel:[0,1]
	s_delay_alu instid0(VALU_DEP_1) | instskip(SKIP_1) | instid1(VALU_DEP_1)
	v_pk_fma_f32 v[10:11], v[4:5], v[0:1], v[8:9] op_sel:[0,0,1] op_sel_hi:[1,1,0] neg_lo:[0,0,1] neg_hi:[0,0,1]
	v_pk_fma_f32 v[4:5], v[4:5], v[0:1], v[8:9] op_sel:[0,0,1] op_sel_hi:[1,0,0]
	v_mov_b32_e32 v11, v5
	v_pk_mul_f32 v[4:5], v[6:7], v[2:3] op_sel:[0,1]
	s_delay_alu instid0(VALU_DEP_1) | instskip(SKIP_1) | instid1(VALU_DEP_1)
	v_pk_fma_f32 v[8:9], v[6:7], v[0:1], v[4:5] op_sel:[0,0,1] op_sel_hi:[1,1,0] neg_lo:[0,0,1] neg_hi:[0,0,1]
	v_pk_fma_f32 v[4:5], v[6:7], v[0:1], v[4:5] op_sel:[0,0,1] op_sel_hi:[1,0,0]
	v_mov_b32_e32 v9, v5
	ds_load_2addr_b64 v[4:7], v154 offset0:44 offset1:45
	v_pk_add_f32 v[176:177], v[176:177], v[10:11] neg_lo:[0,1] neg_hi:[0,1]
	v_pk_add_f32 v[172:173], v[172:173], v[8:9] neg_lo:[0,1] neg_hi:[0,1]
	s_wait_dscnt 0x0
	v_dual_mul_f32 v8, v5, v3 :: v_dual_mul_f32 v10, v5, v0
	s_delay_alu instid0(VALU_DEP_1) | instskip(NEXT) | instid1(VALU_DEP_2)
	v_pk_fma_f32 v[8:9], v[4:5], v[22:23], v[8:9] op_sel_hi:[1,1,0] neg_lo:[0,0,1] neg_hi:[0,0,1]
	v_pk_fma_f32 v[4:5], v[4:5], v[22:23], v[10:11] op_sel:[1,0,0] op_sel_hi:[0,1,0]
	s_delay_alu instid0(VALU_DEP_1) | instskip(SKIP_1) | instid1(VALU_DEP_2)
	v_mov_b32_e32 v9, v5
	v_pk_mul_f32 v[4:5], v[6:7], v[2:3] op_sel:[0,1]
	v_pk_add_f32 v[196:197], v[196:197], v[8:9] neg_lo:[0,1] neg_hi:[0,1]
	s_delay_alu instid0(VALU_DEP_2) | instskip(SKIP_1) | instid1(VALU_DEP_1)
	v_pk_fma_f32 v[8:9], v[6:7], v[0:1], v[4:5] op_sel:[0,0,1] op_sel_hi:[1,1,0] neg_lo:[0,0,1] neg_hi:[0,0,1]
	v_pk_fma_f32 v[4:5], v[6:7], v[0:1], v[4:5] op_sel:[0,0,1] op_sel_hi:[1,0,0]
	v_mov_b32_e32 v9, v5
	ds_load_2addr_b64 v[4:7], v154 offset0:46 offset1:47
	v_pk_add_f32 v[192:193], v[192:193], v[8:9] neg_lo:[0,1] neg_hi:[0,1]
	s_wait_dscnt 0x0
	v_pk_mul_f32 v[8:9], v[4:5], v[2:3] op_sel:[0,1]
	s_delay_alu instid0(VALU_DEP_1) | instskip(SKIP_1) | instid1(VALU_DEP_1)
	v_pk_fma_f32 v[10:11], v[4:5], v[0:1], v[8:9] op_sel:[0,0,1] op_sel_hi:[1,1,0] neg_lo:[0,0,1] neg_hi:[0,0,1]
	v_pk_fma_f32 v[4:5], v[4:5], v[0:1], v[8:9] op_sel:[0,0,1] op_sel_hi:[1,0,0]
	v_mov_b32_e32 v11, v5
	v_pk_mul_f32 v[4:5], v[6:7], v[2:3] op_sel:[0,1]
	s_delay_alu instid0(VALU_DEP_2) | instskip(NEXT) | instid1(VALU_DEP_2)
	v_pk_add_f32 v[194:195], v[194:195], v[10:11] neg_lo:[0,1] neg_hi:[0,1]
	v_pk_fma_f32 v[8:9], v[6:7], v[0:1], v[4:5] op_sel:[0,0,1] op_sel_hi:[1,1,0] neg_lo:[0,0,1] neg_hi:[0,0,1]
	v_pk_fma_f32 v[4:5], v[6:7], v[0:1], v[4:5] op_sel:[0,0,1] op_sel_hi:[1,0,0]
	s_delay_alu instid0(VALU_DEP_1) | instskip(SKIP_4) | instid1(VALU_DEP_1)
	v_mov_b32_e32 v9, v5
	ds_load_2addr_b64 v[4:7], v154 offset0:48 offset1:49
	v_pk_add_f32 v[190:191], v[190:191], v[8:9] neg_lo:[0,1] neg_hi:[0,1]
	s_wait_dscnt 0x0
	v_pk_mul_f32 v[8:9], v[4:5], v[2:3] op_sel:[0,1]
	v_pk_fma_f32 v[10:11], v[4:5], v[0:1], v[8:9] op_sel:[0,0,1] op_sel_hi:[1,1,0] neg_lo:[0,0,1] neg_hi:[0,0,1]
	v_pk_fma_f32 v[4:5], v[4:5], v[0:1], v[8:9] op_sel:[0,0,1] op_sel_hi:[1,0,0]
	v_dual_mul_f32 v8, v7, v3 :: v_dual_mov_b32 v4, v7
	s_delay_alu instid0(VALU_DEP_2) | instskip(NEXT) | instid1(VALU_DEP_2)
	v_dual_mov_b32 v11, v5 :: v_dual_mov_b32 v5, v6
	v_pk_fma_f32 v[8:9], v[6:7], v[22:23], v[8:9] op_sel_hi:[1,1,0] neg_lo:[0,0,1] neg_hi:[0,0,1]
	v_mul_f32_e32 v6, v7, v0
	s_delay_alu instid0(VALU_DEP_3) | instskip(NEXT) | instid1(VALU_DEP_2)
	v_pk_add_f32 v[216:217], v[216:217], v[10:11] neg_lo:[0,1] neg_hi:[0,1]
	v_pk_fma_f32 v[4:5], v[4:5], v[22:23], v[6:7] op_sel_hi:[1,1,0]
	s_delay_alu instid0(VALU_DEP_1) | instskip(SKIP_4) | instid1(VALU_DEP_1)
	v_mov_b32_e32 v9, v5
	ds_load_2addr_b64 v[4:7], v154 offset0:50 offset1:51
	v_pk_add_f32 v[210:211], v[210:211], v[8:9] neg_lo:[0,1] neg_hi:[0,1]
	s_wait_dscnt 0x0
	v_pk_mul_f32 v[8:9], v[4:5], v[2:3] op_sel:[0,1]
	v_pk_fma_f32 v[10:11], v[4:5], v[0:1], v[8:9] op_sel:[0,0,1] op_sel_hi:[1,1,0] neg_lo:[0,0,1] neg_hi:[0,0,1]
	v_pk_fma_f32 v[4:5], v[4:5], v[0:1], v[8:9] op_sel:[0,0,1] op_sel_hi:[1,0,0]
	s_delay_alu instid0(VALU_DEP_1) | instskip(SKIP_1) | instid1(VALU_DEP_1)
	v_mov_b32_e32 v11, v5
	v_pk_mul_f32 v[4:5], v[6:7], v[2:3] op_sel:[0,1]
	v_pk_fma_f32 v[8:9], v[6:7], v[0:1], v[4:5] op_sel:[0,0,1] op_sel_hi:[1,1,0] neg_lo:[0,0,1] neg_hi:[0,0,1]
	v_pk_fma_f32 v[4:5], v[6:7], v[0:1], v[4:5] op_sel:[0,0,1] op_sel_hi:[1,0,0]
	s_delay_alu instid0(VALU_DEP_1)
	v_mov_b32_e32 v9, v5
	ds_load_2addr_b64 v[4:7], v154 offset0:52 offset1:53
	v_pk_add_f32 v[214:215], v[214:215], v[10:11] neg_lo:[0,1] neg_hi:[0,1]
	v_pk_add_f32 v[208:209], v[208:209], v[8:9] neg_lo:[0,1] neg_hi:[0,1]
	s_wait_dscnt 0x0
	v_pk_mul_f32 v[8:9], v[4:5], v[2:3] op_sel:[0,1]
	s_delay_alu instid0(VALU_DEP_1) | instskip(SKIP_1) | instid1(VALU_DEP_1)
	v_pk_fma_f32 v[10:11], v[4:5], v[0:1], v[8:9] op_sel:[0,0,1] op_sel_hi:[1,1,0] neg_lo:[0,0,1] neg_hi:[0,0,1]
	v_pk_fma_f32 v[4:5], v[4:5], v[0:1], v[8:9] op_sel:[0,0,1] op_sel_hi:[1,0,0]
	v_mov_b32_e32 v11, v5
	v_pk_mul_f32 v[4:5], v[6:7], v[2:3] op_sel:[0,1]
	s_delay_alu instid0(VALU_DEP_1) | instskip(SKIP_1) | instid1(VALU_DEP_1)
	v_pk_fma_f32 v[8:9], v[6:7], v[0:1], v[4:5] op_sel:[0,0,1] op_sel_hi:[1,1,0] neg_lo:[0,0,1] neg_hi:[0,0,1]
	v_pk_fma_f32 v[4:5], v[6:7], v[0:1], v[4:5] op_sel:[0,0,1] op_sel_hi:[1,0,0]
	v_mov_b32_e32 v9, v5
	ds_load_b64 v[4:5], v154 offset:432
	v_pk_add_f32 v[212:213], v[212:213], v[10:11] neg_lo:[0,1] neg_hi:[0,1]
	v_pk_add_f32 v[218:219], v[218:219], v[8:9] neg_lo:[0,1] neg_hi:[0,1]
	s_wait_dscnt 0x0
	v_pk_mul_f32 v[2:3], v[4:5], v[2:3] op_sel:[0,1]
	s_delay_alu instid0(VALU_DEP_1) | instskip(SKIP_1) | instid1(VALU_DEP_1)
	v_pk_fma_f32 v[6:7], v[4:5], v[0:1], v[2:3] op_sel:[0,0,1] op_sel_hi:[1,1,0] neg_lo:[0,0,1] neg_hi:[0,0,1]
	v_pk_fma_f32 v[0:1], v[4:5], v[0:1], v[2:3] op_sel:[0,0,1] op_sel_hi:[1,0,0]
	v_mov_b32_e32 v7, v1
	s_delay_alu instid0(VALU_DEP_1)
	v_pk_add_f32 v[220:221], v[220:221], v[6:7] neg_lo:[0,1] neg_hi:[0,1]
.LBB109_55:
	s_wait_xcnt 0x0
	s_or_b32 exec_lo, exec_lo, s1
	s_delay_alu instid0(SALU_CYCLE_1)
	s_mov_b32 s2, exec_lo
	s_wait_storecnt 0x0
	s_barrier_signal -1
	s_barrier_wait -1
	v_cmpx_eq_u32_e32 6, v152
	s_cbranch_execz .LBB109_62
; %bb.56:
	ds_store_b64 v153, v[24:25]
	ds_store_2addr_b64 v154, v[20:21], v[40:41] offset0:7 offset1:8
	ds_store_2addr_b64 v154, v[36:37], v[38:39] offset0:9 offset1:10
	;; [unrolled: 1-line block ×24, first 2 shown]
	ds_load_b64 v[0:1], v153
	s_wait_dscnt 0x0
	v_cmp_neq_f32_e32 vcc_lo, 0, v0
	v_cmp_neq_f32_e64 s1, 0, v1
	s_or_b32 s1, vcc_lo, s1
	s_delay_alu instid0(SALU_CYCLE_1)
	s_and_b32 exec_lo, exec_lo, s1
	s_cbranch_execz .LBB109_62
; %bb.57:
	v_cmp_ngt_f32_e64 s1, |v0|, |v1|
                                        ; implicit-def: $vgpr2_vgpr3
	s_and_saveexec_b32 s4, s1
	s_delay_alu instid0(SALU_CYCLE_1)
	s_xor_b32 s1, exec_lo, s4
	s_cbranch_execz .LBB109_59
; %bb.58:
	v_div_scale_f32 v2, null, v1, v1, v0
	v_div_scale_f32 v5, vcc_lo, v0, v1, v0
	s_delay_alu instid0(VALU_DEP_2) | instskip(SKIP_1) | instid1(TRANS32_DEP_1)
	v_rcp_f32_e32 v3, v2
	v_nop
	v_fma_f32 v4, -v2, v3, 1.0
	s_delay_alu instid0(VALU_DEP_1) | instskip(NEXT) | instid1(VALU_DEP_1)
	v_fmac_f32_e32 v3, v4, v3
	v_mul_f32_e32 v4, v5, v3
	s_delay_alu instid0(VALU_DEP_1) | instskip(NEXT) | instid1(VALU_DEP_1)
	v_fma_f32 v6, -v2, v4, v5
	v_fmac_f32_e32 v4, v6, v3
	s_delay_alu instid0(VALU_DEP_1) | instskip(NEXT) | instid1(VALU_DEP_1)
	v_fma_f32 v2, -v2, v4, v5
	v_div_fmas_f32 v2, v2, v3, v4
	s_delay_alu instid0(VALU_DEP_1) | instskip(NEXT) | instid1(VALU_DEP_1)
	v_div_fixup_f32 v2, v2, v1, v0
	v_fmac_f32_e32 v1, v0, v2
	s_delay_alu instid0(VALU_DEP_1) | instskip(SKIP_1) | instid1(VALU_DEP_2)
	v_div_scale_f32 v0, null, v1, v1, 1.0
	v_div_scale_f32 v5, vcc_lo, 1.0, v1, 1.0
	v_rcp_f32_e32 v3, v0
	v_nop
	s_delay_alu instid0(TRANS32_DEP_1) | instskip(NEXT) | instid1(VALU_DEP_1)
	v_fma_f32 v4, -v0, v3, 1.0
	v_fmac_f32_e32 v3, v4, v3
	s_delay_alu instid0(VALU_DEP_1) | instskip(NEXT) | instid1(VALU_DEP_1)
	v_mul_f32_e32 v4, v5, v3
	v_fma_f32 v6, -v0, v4, v5
	s_delay_alu instid0(VALU_DEP_1) | instskip(NEXT) | instid1(VALU_DEP_1)
	v_fmac_f32_e32 v4, v6, v3
	v_fma_f32 v0, -v0, v4, v5
	s_delay_alu instid0(VALU_DEP_1) | instskip(NEXT) | instid1(VALU_DEP_1)
	v_div_fmas_f32 v0, v0, v3, v4
	v_div_fixup_f32 v0, v0, v1, 1.0
	s_delay_alu instid0(VALU_DEP_1)
	v_mul_f32_e32 v2, v2, v0
	v_xor_b32_e32 v3, 0x80000000, v0
                                        ; implicit-def: $vgpr0_vgpr1
.LBB109_59:
	s_and_not1_saveexec_b32 s1, s1
	s_cbranch_execz .LBB109_61
; %bb.60:
	v_div_scale_f32 v2, null, v0, v0, v1
	v_div_scale_f32 v5, vcc_lo, v1, v0, v1
	s_delay_alu instid0(VALU_DEP_2) | instskip(SKIP_1) | instid1(TRANS32_DEP_1)
	v_rcp_f32_e32 v3, v2
	v_nop
	v_fma_f32 v4, -v2, v3, 1.0
	s_delay_alu instid0(VALU_DEP_1) | instskip(NEXT) | instid1(VALU_DEP_1)
	v_fmac_f32_e32 v3, v4, v3
	v_mul_f32_e32 v4, v5, v3
	s_delay_alu instid0(VALU_DEP_1) | instskip(NEXT) | instid1(VALU_DEP_1)
	v_fma_f32 v6, -v2, v4, v5
	v_fmac_f32_e32 v4, v6, v3
	s_delay_alu instid0(VALU_DEP_1) | instskip(NEXT) | instid1(VALU_DEP_1)
	v_fma_f32 v2, -v2, v4, v5
	v_div_fmas_f32 v2, v2, v3, v4
	s_delay_alu instid0(VALU_DEP_1) | instskip(NEXT) | instid1(VALU_DEP_1)
	v_div_fixup_f32 v3, v2, v0, v1
	v_fmac_f32_e32 v0, v1, v3
	s_delay_alu instid0(VALU_DEP_1) | instskip(NEXT) | instid1(VALU_DEP_1)
	v_div_scale_f32 v1, null, v0, v0, 1.0
	v_rcp_f32_e32 v2, v1
	v_nop
	s_delay_alu instid0(TRANS32_DEP_1) | instskip(NEXT) | instid1(VALU_DEP_1)
	v_fma_f32 v4, -v1, v2, 1.0
	v_fmac_f32_e32 v2, v4, v2
	v_div_scale_f32 v4, vcc_lo, 1.0, v0, 1.0
	s_delay_alu instid0(VALU_DEP_1) | instskip(NEXT) | instid1(VALU_DEP_1)
	v_mul_f32_e32 v5, v4, v2
	v_fma_f32 v6, -v1, v5, v4
	s_delay_alu instid0(VALU_DEP_1) | instskip(NEXT) | instid1(VALU_DEP_1)
	v_fmac_f32_e32 v5, v6, v2
	v_fma_f32 v1, -v1, v5, v4
	s_delay_alu instid0(VALU_DEP_1) | instskip(NEXT) | instid1(VALU_DEP_1)
	v_div_fmas_f32 v1, v1, v2, v5
	v_div_fixup_f32 v2, v1, v0, 1.0
	s_delay_alu instid0(VALU_DEP_1)
	v_mul_f32_e64 v3, v3, -v2
.LBB109_61:
	s_or_b32 exec_lo, exec_lo, s1
	ds_store_b64 v153, v[2:3]
.LBB109_62:
	s_or_b32 exec_lo, exec_lo, s2
	s_wait_dscnt 0x0
	s_barrier_signal -1
	s_barrier_wait -1
	ds_load_b64 v[0:1], v153
	s_mov_b32 s1, exec_lo
	s_wait_dscnt 0x0
	scratch_store_b64 off, v[0:1], off offset:256 ; 8-byte Folded Spill
	s_wait_xcnt 0x0
	v_cmpx_lt_u32_e32 6, v152
	s_cbranch_execz .LBB109_64
; %bb.63:
	scratch_load_b64 v[4:5], off, off offset:256 ; 8-byte Folded Reload
	s_wait_loadcnt 0x0
	v_pk_mul_f32 v[2:3], v[4:5], v[24:25] op_sel:[1,1] op_sel_hi:[0,1]
	s_delay_alu instid0(VALU_DEP_1)
	v_pk_fma_f32 v[0:1], v[4:5], v[24:25], v[2:3] op_sel_hi:[1,0,1] neg_lo:[0,0,1] neg_hi:[0,0,1]
	v_pk_fma_f32 v[2:3], v[4:5], v[24:25], v[2:3] op_sel_hi:[1,0,1]
	ds_load_2addr_b64 v[4:7], v154 offset0:7 offset1:8
	v_dual_mov_b32 v24, v0 :: v_dual_mov_b32 v25, v3
	s_wait_dscnt 0x0
	v_pk_mul_f32 v[8:9], v[4:5], v[2:3] op_sel:[0,1]
	s_delay_alu instid0(VALU_DEP_1) | instskip(SKIP_1) | instid1(VALU_DEP_1)
	v_pk_fma_f32 v[10:11], v[4:5], v[0:1], v[8:9] op_sel:[0,0,1] op_sel_hi:[1,1,0] neg_lo:[0,0,1] neg_hi:[0,0,1]
	v_pk_fma_f32 v[4:5], v[4:5], v[0:1], v[8:9] op_sel:[0,0,1] op_sel_hi:[1,0,0]
	v_mov_b32_e32 v11, v5
	v_pk_mul_f32 v[4:5], v[6:7], v[2:3] op_sel:[0,1]
	s_delay_alu instid0(VALU_DEP_1) | instskip(SKIP_1) | instid1(VALU_DEP_1)
	v_pk_fma_f32 v[8:9], v[6:7], v[0:1], v[4:5] op_sel:[0,0,1] op_sel_hi:[1,1,0] neg_lo:[0,0,1] neg_hi:[0,0,1]
	v_pk_fma_f32 v[4:5], v[6:7], v[0:1], v[4:5] op_sel:[0,0,1] op_sel_hi:[1,0,0]
	v_mov_b32_e32 v9, v5
	ds_load_2addr_b64 v[4:7], v154 offset0:9 offset1:10
	v_pk_add_f32 v[20:21], v[20:21], v[10:11] neg_lo:[0,1] neg_hi:[0,1]
	v_pk_add_f32 v[40:41], v[40:41], v[8:9] neg_lo:[0,1] neg_hi:[0,1]
	s_wait_dscnt 0x0
	v_pk_mul_f32 v[8:9], v[4:5], v[2:3] op_sel:[0,1]
	s_delay_alu instid0(VALU_DEP_1) | instskip(SKIP_2) | instid1(VALU_DEP_2)
	v_pk_fma_f32 v[10:11], v[4:5], v[0:1], v[8:9] op_sel:[0,0,1] op_sel_hi:[1,1,0] neg_lo:[0,0,1] neg_hi:[0,0,1]
	v_pk_fma_f32 v[4:5], v[4:5], v[0:1], v[8:9] op_sel:[0,0,1] op_sel_hi:[1,0,0]
	v_dual_mul_f32 v8, v7, v3 :: v_dual_mov_b32 v4, v7
	v_dual_mov_b32 v11, v5 :: v_dual_mov_b32 v5, v6
	s_delay_alu instid0(VALU_DEP_2) | instskip(SKIP_1) | instid1(VALU_DEP_3)
	v_pk_fma_f32 v[8:9], v[6:7], v[24:25], v[8:9] op_sel_hi:[1,1,0] neg_lo:[0,0,1] neg_hi:[0,0,1]
	v_mul_f32_e32 v6, v7, v0
	v_pk_add_f32 v[36:37], v[36:37], v[10:11] neg_lo:[0,1] neg_hi:[0,1]
	s_delay_alu instid0(VALU_DEP_2) | instskip(NEXT) | instid1(VALU_DEP_1)
	v_pk_fma_f32 v[4:5], v[4:5], v[24:25], v[6:7] op_sel_hi:[1,1,0]
	v_mov_b32_e32 v9, v5
	ds_load_2addr_b64 v[4:7], v154 offset0:11 offset1:12
	v_pk_add_f32 v[38:39], v[38:39], v[8:9] neg_lo:[0,1] neg_hi:[0,1]
	s_wait_dscnt 0x0
	v_pk_mul_f32 v[8:9], v[4:5], v[2:3] op_sel:[0,1]
	s_delay_alu instid0(VALU_DEP_1) | instskip(SKIP_1) | instid1(VALU_DEP_1)
	v_pk_fma_f32 v[10:11], v[4:5], v[0:1], v[8:9] op_sel:[0,0,1] op_sel_hi:[1,1,0] neg_lo:[0,0,1] neg_hi:[0,0,1]
	v_pk_fma_f32 v[4:5], v[4:5], v[0:1], v[8:9] op_sel:[0,0,1] op_sel_hi:[1,0,0]
	v_mov_b32_e32 v11, v5
	v_pk_mul_f32 v[4:5], v[6:7], v[2:3] op_sel:[0,1]
	s_delay_alu instid0(VALU_DEP_1) | instskip(SKIP_1) | instid1(VALU_DEP_1)
	v_pk_fma_f32 v[8:9], v[6:7], v[0:1], v[4:5] op_sel:[0,0,1] op_sel_hi:[1,1,0] neg_lo:[0,0,1] neg_hi:[0,0,1]
	v_pk_fma_f32 v[4:5], v[6:7], v[0:1], v[4:5] op_sel:[0,0,1] op_sel_hi:[1,0,0]
	v_mov_b32_e32 v9, v5
	ds_load_2addr_b64 v[4:7], v154 offset0:13 offset1:14
	v_pk_add_f32 v[34:35], v[34:35], v[10:11] neg_lo:[0,1] neg_hi:[0,1]
	v_pk_add_f32 v[64:65], v[64:65], v[8:9] neg_lo:[0,1] neg_hi:[0,1]
	s_wait_dscnt 0x0
	v_pk_mul_f32 v[8:9], v[4:5], v[2:3] op_sel:[0,1]
	s_delay_alu instid0(VALU_DEP_1) | instskip(SKIP_1) | instid1(VALU_DEP_1)
	v_pk_fma_f32 v[10:11], v[4:5], v[0:1], v[8:9] op_sel:[0,0,1] op_sel_hi:[1,1,0] neg_lo:[0,0,1] neg_hi:[0,0,1]
	v_pk_fma_f32 v[4:5], v[4:5], v[0:1], v[8:9] op_sel:[0,0,1] op_sel_hi:[1,0,0]
	v_mov_b32_e32 v11, v5
	v_pk_mul_f32 v[4:5], v[6:7], v[2:3] op_sel:[0,1]
	s_delay_alu instid0(VALU_DEP_1) | instskip(SKIP_1) | instid1(VALU_DEP_1)
	v_pk_fma_f32 v[8:9], v[6:7], v[0:1], v[4:5] op_sel:[0,0,1] op_sel_hi:[1,1,0] neg_lo:[0,0,1] neg_hi:[0,0,1]
	v_pk_fma_f32 v[4:5], v[6:7], v[0:1], v[4:5] op_sel:[0,0,1] op_sel_hi:[1,0,0]
	v_mov_b32_e32 v9, v5
	ds_load_2addr_b64 v[4:7], v154 offset0:15 offset1:16
	v_pk_add_f32 v[60:61], v[60:61], v[10:11] neg_lo:[0,1] neg_hi:[0,1]
	v_pk_add_f32 v[62:63], v[62:63], v[8:9] neg_lo:[0,1] neg_hi:[0,1]
	s_wait_dscnt 0x0
	v_dual_mul_f32 v8, v5, v3 :: v_dual_mul_f32 v10, v5, v0
	s_delay_alu instid0(VALU_DEP_1) | instskip(NEXT) | instid1(VALU_DEP_2)
	v_pk_fma_f32 v[8:9], v[4:5], v[24:25], v[8:9] op_sel_hi:[1,1,0] neg_lo:[0,0,1] neg_hi:[0,0,1]
	v_pk_fma_f32 v[4:5], v[4:5], v[24:25], v[10:11] op_sel:[1,0,0] op_sel_hi:[0,1,0]
	s_delay_alu instid0(VALU_DEP_1) | instskip(SKIP_1) | instid1(VALU_DEP_2)
	v_mov_b32_e32 v9, v5
	v_pk_mul_f32 v[4:5], v[6:7], v[2:3] op_sel:[0,1]
	v_pk_add_f32 v[58:59], v[58:59], v[8:9] neg_lo:[0,1] neg_hi:[0,1]
	s_delay_alu instid0(VALU_DEP_2) | instskip(SKIP_1) | instid1(VALU_DEP_1)
	v_pk_fma_f32 v[8:9], v[6:7], v[0:1], v[4:5] op_sel:[0,0,1] op_sel_hi:[1,1,0] neg_lo:[0,0,1] neg_hi:[0,0,1]
	v_pk_fma_f32 v[4:5], v[6:7], v[0:1], v[4:5] op_sel:[0,0,1] op_sel_hi:[1,0,0]
	v_mov_b32_e32 v9, v5
	ds_load_2addr_b64 v[4:7], v154 offset0:17 offset1:18
	v_pk_add_f32 v[80:81], v[80:81], v[8:9] neg_lo:[0,1] neg_hi:[0,1]
	s_wait_dscnt 0x0
	v_pk_mul_f32 v[8:9], v[4:5], v[2:3] op_sel:[0,1]
	s_delay_alu instid0(VALU_DEP_1) | instskip(SKIP_1) | instid1(VALU_DEP_1)
	v_pk_fma_f32 v[10:11], v[4:5], v[0:1], v[8:9] op_sel:[0,0,1] op_sel_hi:[1,1,0] neg_lo:[0,0,1] neg_hi:[0,0,1]
	v_pk_fma_f32 v[4:5], v[4:5], v[0:1], v[8:9] op_sel:[0,0,1] op_sel_hi:[1,0,0]
	v_mov_b32_e32 v11, v5
	v_pk_mul_f32 v[4:5], v[6:7], v[2:3] op_sel:[0,1]
	s_delay_alu instid0(VALU_DEP_2) | instskip(NEXT) | instid1(VALU_DEP_2)
	v_pk_add_f32 v[76:77], v[76:77], v[10:11] neg_lo:[0,1] neg_hi:[0,1]
	v_pk_fma_f32 v[8:9], v[6:7], v[0:1], v[4:5] op_sel:[0,0,1] op_sel_hi:[1,1,0] neg_lo:[0,0,1] neg_hi:[0,0,1]
	v_pk_fma_f32 v[4:5], v[6:7], v[0:1], v[4:5] op_sel:[0,0,1] op_sel_hi:[1,0,0]
	s_delay_alu instid0(VALU_DEP_1) | instskip(SKIP_4) | instid1(VALU_DEP_1)
	v_mov_b32_e32 v9, v5
	ds_load_2addr_b64 v[4:7], v154 offset0:19 offset1:20
	v_pk_add_f32 v[78:79], v[78:79], v[8:9] neg_lo:[0,1] neg_hi:[0,1]
	s_wait_dscnt 0x0
	v_pk_mul_f32 v[8:9], v[4:5], v[2:3] op_sel:[0,1]
	v_pk_fma_f32 v[10:11], v[4:5], v[0:1], v[8:9] op_sel:[0,0,1] op_sel_hi:[1,1,0] neg_lo:[0,0,1] neg_hi:[0,0,1]
	v_pk_fma_f32 v[4:5], v[4:5], v[0:1], v[8:9] op_sel:[0,0,1] op_sel_hi:[1,0,0]
	v_dual_mul_f32 v8, v7, v3 :: v_dual_mov_b32 v4, v7
	s_delay_alu instid0(VALU_DEP_2) | instskip(NEXT) | instid1(VALU_DEP_2)
	v_dual_mov_b32 v11, v5 :: v_dual_mov_b32 v5, v6
	v_pk_fma_f32 v[8:9], v[6:7], v[24:25], v[8:9] op_sel_hi:[1,1,0] neg_lo:[0,0,1] neg_hi:[0,0,1]
	v_mul_f32_e32 v6, v7, v0
	s_delay_alu instid0(VALU_DEP_3) | instskip(NEXT) | instid1(VALU_DEP_2)
	v_pk_add_f32 v[74:75], v[74:75], v[10:11] neg_lo:[0,1] neg_hi:[0,1]
	v_pk_fma_f32 v[4:5], v[4:5], v[24:25], v[6:7] op_sel_hi:[1,1,0]
	s_delay_alu instid0(VALU_DEP_1) | instskip(SKIP_4) | instid1(VALU_DEP_1)
	v_mov_b32_e32 v9, v5
	ds_load_2addr_b64 v[4:7], v154 offset0:21 offset1:22
	v_pk_add_f32 v[96:97], v[96:97], v[8:9] neg_lo:[0,1] neg_hi:[0,1]
	s_wait_dscnt 0x0
	v_pk_mul_f32 v[8:9], v[4:5], v[2:3] op_sel:[0,1]
	v_pk_fma_f32 v[10:11], v[4:5], v[0:1], v[8:9] op_sel:[0,0,1] op_sel_hi:[1,1,0] neg_lo:[0,0,1] neg_hi:[0,0,1]
	v_pk_fma_f32 v[4:5], v[4:5], v[0:1], v[8:9] op_sel:[0,0,1] op_sel_hi:[1,0,0]
	s_delay_alu instid0(VALU_DEP_1) | instskip(SKIP_1) | instid1(VALU_DEP_1)
	v_mov_b32_e32 v11, v5
	v_pk_mul_f32 v[4:5], v[6:7], v[2:3] op_sel:[0,1]
	v_pk_fma_f32 v[8:9], v[6:7], v[0:1], v[4:5] op_sel:[0,0,1] op_sel_hi:[1,1,0] neg_lo:[0,0,1] neg_hi:[0,0,1]
	v_pk_fma_f32 v[4:5], v[6:7], v[0:1], v[4:5] op_sel:[0,0,1] op_sel_hi:[1,0,0]
	s_delay_alu instid0(VALU_DEP_1)
	v_mov_b32_e32 v9, v5
	ds_load_2addr_b64 v[4:7], v154 offset0:23 offset1:24
	v_pk_add_f32 v[92:93], v[92:93], v[10:11] neg_lo:[0,1] neg_hi:[0,1]
	v_pk_add_f32 v[94:95], v[94:95], v[8:9] neg_lo:[0,1] neg_hi:[0,1]
	s_wait_dscnt 0x0
	v_pk_mul_f32 v[8:9], v[4:5], v[2:3] op_sel:[0,1]
	s_delay_alu instid0(VALU_DEP_1) | instskip(SKIP_1) | instid1(VALU_DEP_1)
	v_pk_fma_f32 v[10:11], v[4:5], v[0:1], v[8:9] op_sel:[0,0,1] op_sel_hi:[1,1,0] neg_lo:[0,0,1] neg_hi:[0,0,1]
	v_pk_fma_f32 v[4:5], v[4:5], v[0:1], v[8:9] op_sel:[0,0,1] op_sel_hi:[1,0,0]
	v_mov_b32_e32 v11, v5
	v_pk_mul_f32 v[4:5], v[6:7], v[2:3] op_sel:[0,1]
	s_delay_alu instid0(VALU_DEP_1) | instskip(SKIP_1) | instid1(VALU_DEP_1)
	v_pk_fma_f32 v[8:9], v[6:7], v[0:1], v[4:5] op_sel:[0,0,1] op_sel_hi:[1,1,0] neg_lo:[0,0,1] neg_hi:[0,0,1]
	v_pk_fma_f32 v[4:5], v[6:7], v[0:1], v[4:5] op_sel:[0,0,1] op_sel_hi:[1,0,0]
	v_mov_b32_e32 v9, v5
	ds_load_2addr_b64 v[4:7], v154 offset0:25 offset1:26
	v_pk_add_f32 v[90:91], v[90:91], v[10:11] neg_lo:[0,1] neg_hi:[0,1]
	v_pk_add_f32 v[114:115], v[114:115], v[8:9] neg_lo:[0,1] neg_hi:[0,1]
	s_wait_dscnt 0x0
	v_dual_mul_f32 v8, v5, v3 :: v_dual_mul_f32 v10, v5, v0
	s_delay_alu instid0(VALU_DEP_1) | instskip(NEXT) | instid1(VALU_DEP_2)
	v_pk_fma_f32 v[8:9], v[4:5], v[24:25], v[8:9] op_sel_hi:[1,1,0] neg_lo:[0,0,1] neg_hi:[0,0,1]
	v_pk_fma_f32 v[4:5], v[4:5], v[24:25], v[10:11] op_sel:[1,0,0] op_sel_hi:[0,1,0]
	s_delay_alu instid0(VALU_DEP_1) | instskip(SKIP_1) | instid1(VALU_DEP_2)
	v_mov_b32_e32 v9, v5
	v_pk_mul_f32 v[4:5], v[6:7], v[2:3] op_sel:[0,1]
	v_pk_add_f32 v[110:111], v[110:111], v[8:9] neg_lo:[0,1] neg_hi:[0,1]
	s_delay_alu instid0(VALU_DEP_2) | instskip(SKIP_1) | instid1(VALU_DEP_1)
	v_pk_fma_f32 v[8:9], v[6:7], v[0:1], v[4:5] op_sel:[0,0,1] op_sel_hi:[1,1,0] neg_lo:[0,0,1] neg_hi:[0,0,1]
	v_pk_fma_f32 v[4:5], v[6:7], v[0:1], v[4:5] op_sel:[0,0,1] op_sel_hi:[1,0,0]
	v_mov_b32_e32 v9, v5
	ds_load_2addr_b64 v[4:7], v154 offset0:27 offset1:28
	v_pk_add_f32 v[112:113], v[112:113], v[8:9] neg_lo:[0,1] neg_hi:[0,1]
	s_wait_dscnt 0x0
	v_pk_mul_f32 v[8:9], v[4:5], v[2:3] op_sel:[0,1]
	s_delay_alu instid0(VALU_DEP_1) | instskip(SKIP_1) | instid1(VALU_DEP_1)
	v_pk_fma_f32 v[10:11], v[4:5], v[0:1], v[8:9] op_sel:[0,0,1] op_sel_hi:[1,1,0] neg_lo:[0,0,1] neg_hi:[0,0,1]
	v_pk_fma_f32 v[4:5], v[4:5], v[0:1], v[8:9] op_sel:[0,0,1] op_sel_hi:[1,0,0]
	v_mov_b32_e32 v11, v5
	v_pk_mul_f32 v[4:5], v[6:7], v[2:3] op_sel:[0,1]
	s_delay_alu instid0(VALU_DEP_2) | instskip(NEXT) | instid1(VALU_DEP_2)
	v_pk_add_f32 v[108:109], v[108:109], v[10:11] neg_lo:[0,1] neg_hi:[0,1]
	v_pk_fma_f32 v[8:9], v[6:7], v[0:1], v[4:5] op_sel:[0,0,1] op_sel_hi:[1,1,0] neg_lo:[0,0,1] neg_hi:[0,0,1]
	v_pk_fma_f32 v[4:5], v[6:7], v[0:1], v[4:5] op_sel:[0,0,1] op_sel_hi:[1,0,0]
	s_delay_alu instid0(VALU_DEP_1) | instskip(SKIP_4) | instid1(VALU_DEP_1)
	v_mov_b32_e32 v9, v5
	ds_load_2addr_b64 v[4:7], v154 offset0:29 offset1:30
	v_pk_add_f32 v[130:131], v[130:131], v[8:9] neg_lo:[0,1] neg_hi:[0,1]
	s_wait_dscnt 0x0
	v_pk_mul_f32 v[8:9], v[4:5], v[2:3] op_sel:[0,1]
	v_pk_fma_f32 v[10:11], v[4:5], v[0:1], v[8:9] op_sel:[0,0,1] op_sel_hi:[1,1,0] neg_lo:[0,0,1] neg_hi:[0,0,1]
	v_pk_fma_f32 v[4:5], v[4:5], v[0:1], v[8:9] op_sel:[0,0,1] op_sel_hi:[1,0,0]
	v_dual_mul_f32 v8, v7, v3 :: v_dual_mov_b32 v4, v7
	s_delay_alu instid0(VALU_DEP_2) | instskip(NEXT) | instid1(VALU_DEP_2)
	v_dual_mov_b32 v11, v5 :: v_dual_mov_b32 v5, v6
	v_pk_fma_f32 v[8:9], v[6:7], v[24:25], v[8:9] op_sel_hi:[1,1,0] neg_lo:[0,0,1] neg_hi:[0,0,1]
	v_mul_f32_e32 v6, v7, v0
	s_delay_alu instid0(VALU_DEP_3) | instskip(NEXT) | instid1(VALU_DEP_2)
	v_pk_add_f32 v[126:127], v[126:127], v[10:11] neg_lo:[0,1] neg_hi:[0,1]
	v_pk_fma_f32 v[4:5], v[4:5], v[24:25], v[6:7] op_sel_hi:[1,1,0]
	s_delay_alu instid0(VALU_DEP_1) | instskip(SKIP_4) | instid1(VALU_DEP_1)
	v_mov_b32_e32 v9, v5
	ds_load_2addr_b64 v[4:7], v154 offset0:31 offset1:32
	v_pk_add_f32 v[128:129], v[128:129], v[8:9] neg_lo:[0,1] neg_hi:[0,1]
	s_wait_dscnt 0x0
	v_pk_mul_f32 v[8:9], v[4:5], v[2:3] op_sel:[0,1]
	v_pk_fma_f32 v[10:11], v[4:5], v[0:1], v[8:9] op_sel:[0,0,1] op_sel_hi:[1,1,0] neg_lo:[0,0,1] neg_hi:[0,0,1]
	v_pk_fma_f32 v[4:5], v[4:5], v[0:1], v[8:9] op_sel:[0,0,1] op_sel_hi:[1,0,0]
	s_delay_alu instid0(VALU_DEP_1) | instskip(SKIP_1) | instid1(VALU_DEP_1)
	v_mov_b32_e32 v11, v5
	v_pk_mul_f32 v[4:5], v[6:7], v[2:3] op_sel:[0,1]
	v_pk_fma_f32 v[8:9], v[6:7], v[0:1], v[4:5] op_sel:[0,0,1] op_sel_hi:[1,1,0] neg_lo:[0,0,1] neg_hi:[0,0,1]
	v_pk_fma_f32 v[4:5], v[6:7], v[0:1], v[4:5] op_sel:[0,0,1] op_sel_hi:[1,0,0]
	s_delay_alu instid0(VALU_DEP_1)
	v_mov_b32_e32 v9, v5
	ds_load_2addr_b64 v[4:7], v154 offset0:33 offset1:34
	v_pk_add_f32 v[124:125], v[124:125], v[10:11] neg_lo:[0,1] neg_hi:[0,1]
	v_pk_add_f32 v[146:147], v[146:147], v[8:9] neg_lo:[0,1] neg_hi:[0,1]
	s_wait_dscnt 0x0
	v_pk_mul_f32 v[8:9], v[4:5], v[2:3] op_sel:[0,1]
	s_delay_alu instid0(VALU_DEP_1) | instskip(SKIP_1) | instid1(VALU_DEP_1)
	v_pk_fma_f32 v[10:11], v[4:5], v[0:1], v[8:9] op_sel:[0,0,1] op_sel_hi:[1,1,0] neg_lo:[0,0,1] neg_hi:[0,0,1]
	v_pk_fma_f32 v[4:5], v[4:5], v[0:1], v[8:9] op_sel:[0,0,1] op_sel_hi:[1,0,0]
	v_mov_b32_e32 v11, v5
	v_pk_mul_f32 v[4:5], v[6:7], v[2:3] op_sel:[0,1]
	s_delay_alu instid0(VALU_DEP_1) | instskip(SKIP_1) | instid1(VALU_DEP_1)
	v_pk_fma_f32 v[8:9], v[6:7], v[0:1], v[4:5] op_sel:[0,0,1] op_sel_hi:[1,1,0] neg_lo:[0,0,1] neg_hi:[0,0,1]
	v_pk_fma_f32 v[4:5], v[6:7], v[0:1], v[4:5] op_sel:[0,0,1] op_sel_hi:[1,0,0]
	v_mov_b32_e32 v9, v5
	ds_load_2addr_b64 v[4:7], v154 offset0:35 offset1:36
	v_pk_add_f32 v[142:143], v[142:143], v[10:11] neg_lo:[0,1] neg_hi:[0,1]
	v_pk_add_f32 v[144:145], v[144:145], v[8:9] neg_lo:[0,1] neg_hi:[0,1]
	s_wait_dscnt 0x0
	v_dual_mul_f32 v8, v5, v3 :: v_dual_mul_f32 v10, v5, v0
	s_delay_alu instid0(VALU_DEP_1) | instskip(NEXT) | instid1(VALU_DEP_2)
	v_pk_fma_f32 v[8:9], v[4:5], v[24:25], v[8:9] op_sel_hi:[1,1,0] neg_lo:[0,0,1] neg_hi:[0,0,1]
	v_pk_fma_f32 v[4:5], v[4:5], v[24:25], v[10:11] op_sel:[1,0,0] op_sel_hi:[0,1,0]
	s_delay_alu instid0(VALU_DEP_1) | instskip(SKIP_1) | instid1(VALU_DEP_2)
	v_mov_b32_e32 v9, v5
	v_pk_mul_f32 v[4:5], v[6:7], v[2:3] op_sel:[0,1]
	v_pk_add_f32 v[140:141], v[140:141], v[8:9] neg_lo:[0,1] neg_hi:[0,1]
	s_delay_alu instid0(VALU_DEP_2) | instskip(SKIP_1) | instid1(VALU_DEP_1)
	v_pk_fma_f32 v[8:9], v[6:7], v[0:1], v[4:5] op_sel:[0,0,1] op_sel_hi:[1,1,0] neg_lo:[0,0,1] neg_hi:[0,0,1]
	v_pk_fma_f32 v[4:5], v[6:7], v[0:1], v[4:5] op_sel:[0,0,1] op_sel_hi:[1,0,0]
	v_mov_b32_e32 v9, v5
	ds_load_2addr_b64 v[4:7], v154 offset0:37 offset1:38
	v_pk_add_f32 v[162:163], v[162:163], v[8:9] neg_lo:[0,1] neg_hi:[0,1]
	s_wait_dscnt 0x0
	v_pk_mul_f32 v[8:9], v[4:5], v[2:3] op_sel:[0,1]
	s_delay_alu instid0(VALU_DEP_1) | instskip(SKIP_1) | instid1(VALU_DEP_1)
	v_pk_fma_f32 v[10:11], v[4:5], v[0:1], v[8:9] op_sel:[0,0,1] op_sel_hi:[1,1,0] neg_lo:[0,0,1] neg_hi:[0,0,1]
	v_pk_fma_f32 v[4:5], v[4:5], v[0:1], v[8:9] op_sel:[0,0,1] op_sel_hi:[1,0,0]
	v_mov_b32_e32 v11, v5
	v_pk_mul_f32 v[4:5], v[6:7], v[2:3] op_sel:[0,1]
	s_delay_alu instid0(VALU_DEP_2) | instskip(NEXT) | instid1(VALU_DEP_2)
	v_pk_add_f32 v[158:159], v[158:159], v[10:11] neg_lo:[0,1] neg_hi:[0,1]
	v_pk_fma_f32 v[8:9], v[6:7], v[0:1], v[4:5] op_sel:[0,0,1] op_sel_hi:[1,1,0] neg_lo:[0,0,1] neg_hi:[0,0,1]
	v_pk_fma_f32 v[4:5], v[6:7], v[0:1], v[4:5] op_sel:[0,0,1] op_sel_hi:[1,0,0]
	s_delay_alu instid0(VALU_DEP_1) | instskip(SKIP_4) | instid1(VALU_DEP_1)
	v_mov_b32_e32 v9, v5
	ds_load_2addr_b64 v[4:7], v154 offset0:39 offset1:40
	v_pk_add_f32 v[160:161], v[160:161], v[8:9] neg_lo:[0,1] neg_hi:[0,1]
	s_wait_dscnt 0x0
	v_pk_mul_f32 v[8:9], v[4:5], v[2:3] op_sel:[0,1]
	v_pk_fma_f32 v[10:11], v[4:5], v[0:1], v[8:9] op_sel:[0,0,1] op_sel_hi:[1,1,0] neg_lo:[0,0,1] neg_hi:[0,0,1]
	v_pk_fma_f32 v[4:5], v[4:5], v[0:1], v[8:9] op_sel:[0,0,1] op_sel_hi:[1,0,0]
	v_dual_mul_f32 v8, v7, v3 :: v_dual_mov_b32 v4, v7
	s_delay_alu instid0(VALU_DEP_2) | instskip(NEXT) | instid1(VALU_DEP_2)
	v_dual_mov_b32 v11, v5 :: v_dual_mov_b32 v5, v6
	v_pk_fma_f32 v[8:9], v[6:7], v[24:25], v[8:9] op_sel_hi:[1,1,0] neg_lo:[0,0,1] neg_hi:[0,0,1]
	v_mul_f32_e32 v6, v7, v0
	s_delay_alu instid0(VALU_DEP_3) | instskip(NEXT) | instid1(VALU_DEP_2)
	v_pk_add_f32 v[156:157], v[156:157], v[10:11] neg_lo:[0,1] neg_hi:[0,1]
	v_pk_fma_f32 v[4:5], v[4:5], v[24:25], v[6:7] op_sel_hi:[1,1,0]
	s_delay_alu instid0(VALU_DEP_1) | instskip(SKIP_4) | instid1(VALU_DEP_1)
	v_mov_b32_e32 v9, v5
	ds_load_2addr_b64 v[4:7], v154 offset0:41 offset1:42
	v_pk_add_f32 v[178:179], v[178:179], v[8:9] neg_lo:[0,1] neg_hi:[0,1]
	s_wait_dscnt 0x0
	v_pk_mul_f32 v[8:9], v[4:5], v[2:3] op_sel:[0,1]
	v_pk_fma_f32 v[10:11], v[4:5], v[0:1], v[8:9] op_sel:[0,0,1] op_sel_hi:[1,1,0] neg_lo:[0,0,1] neg_hi:[0,0,1]
	v_pk_fma_f32 v[4:5], v[4:5], v[0:1], v[8:9] op_sel:[0,0,1] op_sel_hi:[1,0,0]
	s_delay_alu instid0(VALU_DEP_1) | instskip(SKIP_1) | instid1(VALU_DEP_1)
	v_mov_b32_e32 v11, v5
	v_pk_mul_f32 v[4:5], v[6:7], v[2:3] op_sel:[0,1]
	v_pk_fma_f32 v[8:9], v[6:7], v[0:1], v[4:5] op_sel:[0,0,1] op_sel_hi:[1,1,0] neg_lo:[0,0,1] neg_hi:[0,0,1]
	v_pk_fma_f32 v[4:5], v[6:7], v[0:1], v[4:5] op_sel:[0,0,1] op_sel_hi:[1,0,0]
	s_delay_alu instid0(VALU_DEP_1)
	v_mov_b32_e32 v9, v5
	ds_load_2addr_b64 v[4:7], v154 offset0:43 offset1:44
	v_pk_add_f32 v[174:175], v[174:175], v[10:11] neg_lo:[0,1] neg_hi:[0,1]
	v_pk_add_f32 v[176:177], v[176:177], v[8:9] neg_lo:[0,1] neg_hi:[0,1]
	s_wait_dscnt 0x0
	v_pk_mul_f32 v[8:9], v[4:5], v[2:3] op_sel:[0,1]
	s_delay_alu instid0(VALU_DEP_1) | instskip(SKIP_1) | instid1(VALU_DEP_1)
	v_pk_fma_f32 v[10:11], v[4:5], v[0:1], v[8:9] op_sel:[0,0,1] op_sel_hi:[1,1,0] neg_lo:[0,0,1] neg_hi:[0,0,1]
	v_pk_fma_f32 v[4:5], v[4:5], v[0:1], v[8:9] op_sel:[0,0,1] op_sel_hi:[1,0,0]
	v_mov_b32_e32 v11, v5
	v_pk_mul_f32 v[4:5], v[6:7], v[2:3] op_sel:[0,1]
	s_delay_alu instid0(VALU_DEP_1) | instskip(SKIP_1) | instid1(VALU_DEP_1)
	v_pk_fma_f32 v[8:9], v[6:7], v[0:1], v[4:5] op_sel:[0,0,1] op_sel_hi:[1,1,0] neg_lo:[0,0,1] neg_hi:[0,0,1]
	v_pk_fma_f32 v[4:5], v[6:7], v[0:1], v[4:5] op_sel:[0,0,1] op_sel_hi:[1,0,0]
	v_mov_b32_e32 v9, v5
	ds_load_2addr_b64 v[4:7], v154 offset0:45 offset1:46
	v_pk_add_f32 v[172:173], v[172:173], v[10:11] neg_lo:[0,1] neg_hi:[0,1]
	v_pk_add_f32 v[196:197], v[196:197], v[8:9] neg_lo:[0,1] neg_hi:[0,1]
	s_wait_dscnt 0x0
	v_dual_mul_f32 v8, v5, v3 :: v_dual_mul_f32 v10, v5, v0
	s_delay_alu instid0(VALU_DEP_1) | instskip(NEXT) | instid1(VALU_DEP_2)
	v_pk_fma_f32 v[8:9], v[4:5], v[24:25], v[8:9] op_sel_hi:[1,1,0] neg_lo:[0,0,1] neg_hi:[0,0,1]
	v_pk_fma_f32 v[4:5], v[4:5], v[24:25], v[10:11] op_sel:[1,0,0] op_sel_hi:[0,1,0]
	s_delay_alu instid0(VALU_DEP_1) | instskip(SKIP_1) | instid1(VALU_DEP_2)
	v_mov_b32_e32 v9, v5
	v_pk_mul_f32 v[4:5], v[6:7], v[2:3] op_sel:[0,1]
	v_pk_add_f32 v[192:193], v[192:193], v[8:9] neg_lo:[0,1] neg_hi:[0,1]
	s_delay_alu instid0(VALU_DEP_2) | instskip(SKIP_1) | instid1(VALU_DEP_1)
	v_pk_fma_f32 v[8:9], v[6:7], v[0:1], v[4:5] op_sel:[0,0,1] op_sel_hi:[1,1,0] neg_lo:[0,0,1] neg_hi:[0,0,1]
	v_pk_fma_f32 v[4:5], v[6:7], v[0:1], v[4:5] op_sel:[0,0,1] op_sel_hi:[1,0,0]
	v_mov_b32_e32 v9, v5
	ds_load_2addr_b64 v[4:7], v154 offset0:47 offset1:48
	v_pk_add_f32 v[194:195], v[194:195], v[8:9] neg_lo:[0,1] neg_hi:[0,1]
	s_wait_dscnt 0x0
	v_pk_mul_f32 v[8:9], v[4:5], v[2:3] op_sel:[0,1]
	s_delay_alu instid0(VALU_DEP_1) | instskip(SKIP_1) | instid1(VALU_DEP_1)
	v_pk_fma_f32 v[10:11], v[4:5], v[0:1], v[8:9] op_sel:[0,0,1] op_sel_hi:[1,1,0] neg_lo:[0,0,1] neg_hi:[0,0,1]
	v_pk_fma_f32 v[4:5], v[4:5], v[0:1], v[8:9] op_sel:[0,0,1] op_sel_hi:[1,0,0]
	v_mov_b32_e32 v11, v5
	v_pk_mul_f32 v[4:5], v[6:7], v[2:3] op_sel:[0,1]
	s_delay_alu instid0(VALU_DEP_2) | instskip(NEXT) | instid1(VALU_DEP_2)
	v_pk_add_f32 v[190:191], v[190:191], v[10:11] neg_lo:[0,1] neg_hi:[0,1]
	v_pk_fma_f32 v[8:9], v[6:7], v[0:1], v[4:5] op_sel:[0,0,1] op_sel_hi:[1,1,0] neg_lo:[0,0,1] neg_hi:[0,0,1]
	v_pk_fma_f32 v[4:5], v[6:7], v[0:1], v[4:5] op_sel:[0,0,1] op_sel_hi:[1,0,0]
	s_delay_alu instid0(VALU_DEP_1) | instskip(SKIP_4) | instid1(VALU_DEP_1)
	v_mov_b32_e32 v9, v5
	ds_load_2addr_b64 v[4:7], v154 offset0:49 offset1:50
	v_pk_add_f32 v[216:217], v[216:217], v[8:9] neg_lo:[0,1] neg_hi:[0,1]
	s_wait_dscnt 0x0
	v_pk_mul_f32 v[8:9], v[4:5], v[2:3] op_sel:[0,1]
	v_pk_fma_f32 v[10:11], v[4:5], v[0:1], v[8:9] op_sel:[0,0,1] op_sel_hi:[1,1,0] neg_lo:[0,0,1] neg_hi:[0,0,1]
	v_pk_fma_f32 v[4:5], v[4:5], v[0:1], v[8:9] op_sel:[0,0,1] op_sel_hi:[1,0,0]
	v_dual_mul_f32 v8, v7, v3 :: v_dual_mov_b32 v4, v7
	s_delay_alu instid0(VALU_DEP_2) | instskip(NEXT) | instid1(VALU_DEP_2)
	v_dual_mov_b32 v11, v5 :: v_dual_mov_b32 v5, v6
	v_pk_fma_f32 v[8:9], v[6:7], v[24:25], v[8:9] op_sel_hi:[1,1,0] neg_lo:[0,0,1] neg_hi:[0,0,1]
	v_mul_f32_e32 v6, v7, v0
	s_delay_alu instid0(VALU_DEP_3) | instskip(NEXT) | instid1(VALU_DEP_2)
	v_pk_add_f32 v[210:211], v[210:211], v[10:11] neg_lo:[0,1] neg_hi:[0,1]
	v_pk_fma_f32 v[4:5], v[4:5], v[24:25], v[6:7] op_sel_hi:[1,1,0]
	s_delay_alu instid0(VALU_DEP_1) | instskip(SKIP_4) | instid1(VALU_DEP_1)
	v_mov_b32_e32 v9, v5
	ds_load_2addr_b64 v[4:7], v154 offset0:51 offset1:52
	v_pk_add_f32 v[214:215], v[214:215], v[8:9] neg_lo:[0,1] neg_hi:[0,1]
	s_wait_dscnt 0x0
	v_pk_mul_f32 v[8:9], v[4:5], v[2:3] op_sel:[0,1]
	v_pk_fma_f32 v[10:11], v[4:5], v[0:1], v[8:9] op_sel:[0,0,1] op_sel_hi:[1,1,0] neg_lo:[0,0,1] neg_hi:[0,0,1]
	v_pk_fma_f32 v[4:5], v[4:5], v[0:1], v[8:9] op_sel:[0,0,1] op_sel_hi:[1,0,0]
	s_delay_alu instid0(VALU_DEP_1) | instskip(SKIP_1) | instid1(VALU_DEP_1)
	v_mov_b32_e32 v11, v5
	v_pk_mul_f32 v[4:5], v[6:7], v[2:3] op_sel:[0,1]
	v_pk_fma_f32 v[8:9], v[6:7], v[0:1], v[4:5] op_sel:[0,0,1] op_sel_hi:[1,1,0] neg_lo:[0,0,1] neg_hi:[0,0,1]
	v_pk_fma_f32 v[4:5], v[6:7], v[0:1], v[4:5] op_sel:[0,0,1] op_sel_hi:[1,0,0]
	s_delay_alu instid0(VALU_DEP_1)
	v_mov_b32_e32 v9, v5
	ds_load_2addr_b64 v[4:7], v154 offset0:53 offset1:54
	v_pk_add_f32 v[208:209], v[208:209], v[10:11] neg_lo:[0,1] neg_hi:[0,1]
	v_pk_add_f32 v[212:213], v[212:213], v[8:9] neg_lo:[0,1] neg_hi:[0,1]
	s_wait_dscnt 0x0
	v_pk_mul_f32 v[8:9], v[4:5], v[2:3] op_sel:[0,1]
	v_mul_f32_e32 v2, v7, v3
	s_delay_alu instid0(VALU_DEP_2) | instskip(SKIP_2) | instid1(VALU_DEP_4)
	v_pk_fma_f32 v[10:11], v[4:5], v[0:1], v[8:9] op_sel:[0,0,1] op_sel_hi:[1,1,0] neg_lo:[0,0,1] neg_hi:[0,0,1]
	v_pk_fma_f32 v[4:5], v[4:5], v[0:1], v[8:9] op_sel:[0,0,1] op_sel_hi:[1,0,0]
	v_dual_mov_b32 v4, v7 :: v_dual_mul_f32 v0, v7, v0
	v_pk_fma_f32 v[2:3], v[6:7], v[24:25], v[2:3] op_sel_hi:[1,1,0] neg_lo:[0,0,1] neg_hi:[0,0,1]
	s_delay_alu instid0(VALU_DEP_3) | instskip(NEXT) | instid1(VALU_DEP_1)
	v_dual_mov_b32 v11, v5 :: v_dual_mov_b32 v5, v6
	v_pk_add_f32 v[218:219], v[218:219], v[10:11] neg_lo:[0,1] neg_hi:[0,1]
	s_delay_alu instid0(VALU_DEP_2) | instskip(NEXT) | instid1(VALU_DEP_1)
	v_pk_fma_f32 v[0:1], v[4:5], v[24:25], v[0:1] op_sel_hi:[1,1,0]
	v_mov_b32_e32 v3, v1
	s_delay_alu instid0(VALU_DEP_1)
	v_pk_add_f32 v[220:221], v[220:221], v[2:3] neg_lo:[0,1] neg_hi:[0,1]
.LBB109_64:
	s_wait_xcnt 0x0
	s_or_b32 exec_lo, exec_lo, s1
	s_delay_alu instid0(SALU_CYCLE_1)
	s_mov_b32 s2, exec_lo
	s_wait_storecnt 0x0
	s_barrier_signal -1
	s_barrier_wait -1
	v_cmpx_eq_u32_e32 7, v152
	s_cbranch_execz .LBB109_71
; %bb.65:
	v_dual_mov_b32 v0, v40 :: v_dual_mov_b32 v1, v41
	v_dual_mov_b32 v2, v36 :: v_dual_mov_b32 v3, v37
	ds_store_b64 v153, v[20:21]
	ds_store_2addr_b64 v154, v[0:1], v[2:3] offset0:8 offset1:9
	v_dual_mov_b32 v0, v38 :: v_dual_mov_b32 v1, v39
	v_dual_mov_b32 v2, v34 :: v_dual_mov_b32 v3, v35
	ds_store_2addr_b64 v154, v[0:1], v[2:3] offset0:10 offset1:11
	v_dual_mov_b32 v0, v64 :: v_dual_mov_b32 v1, v65
	v_dual_mov_b32 v2, v60 :: v_dual_mov_b32 v3, v61
	;; [unrolled: 3-line block ×22, first 2 shown]
	ds_store_2addr_b64 v154, v[0:1], v[2:3] offset0:52 offset1:53
	ds_store_b64 v154, v[220:221] offset:432
	ds_load_b64 v[0:1], v153
	s_wait_dscnt 0x0
	v_cmp_neq_f32_e32 vcc_lo, 0, v0
	v_cmp_neq_f32_e64 s1, 0, v1
	s_or_b32 s1, vcc_lo, s1
	s_delay_alu instid0(SALU_CYCLE_1)
	s_and_b32 exec_lo, exec_lo, s1
	s_cbranch_execz .LBB109_71
; %bb.66:
	v_cmp_ngt_f32_e64 s1, |v0|, |v1|
                                        ; implicit-def: $vgpr2_vgpr3
	s_and_saveexec_b32 s4, s1
	s_delay_alu instid0(SALU_CYCLE_1)
	s_xor_b32 s1, exec_lo, s4
	s_cbranch_execz .LBB109_68
; %bb.67:
	v_div_scale_f32 v2, null, v1, v1, v0
	v_div_scale_f32 v5, vcc_lo, v0, v1, v0
	s_delay_alu instid0(VALU_DEP_2) | instskip(SKIP_1) | instid1(TRANS32_DEP_1)
	v_rcp_f32_e32 v3, v2
	v_nop
	v_fma_f32 v4, -v2, v3, 1.0
	s_delay_alu instid0(VALU_DEP_1) | instskip(NEXT) | instid1(VALU_DEP_1)
	v_fmac_f32_e32 v3, v4, v3
	v_mul_f32_e32 v4, v5, v3
	s_delay_alu instid0(VALU_DEP_1) | instskip(NEXT) | instid1(VALU_DEP_1)
	v_fma_f32 v6, -v2, v4, v5
	v_fmac_f32_e32 v4, v6, v3
	s_delay_alu instid0(VALU_DEP_1) | instskip(NEXT) | instid1(VALU_DEP_1)
	v_fma_f32 v2, -v2, v4, v5
	v_div_fmas_f32 v2, v2, v3, v4
	s_delay_alu instid0(VALU_DEP_1) | instskip(NEXT) | instid1(VALU_DEP_1)
	v_div_fixup_f32 v2, v2, v1, v0
	v_fmac_f32_e32 v1, v0, v2
	s_delay_alu instid0(VALU_DEP_1) | instskip(SKIP_1) | instid1(VALU_DEP_2)
	v_div_scale_f32 v0, null, v1, v1, 1.0
	v_div_scale_f32 v5, vcc_lo, 1.0, v1, 1.0
	v_rcp_f32_e32 v3, v0
	v_nop
	s_delay_alu instid0(TRANS32_DEP_1) | instskip(NEXT) | instid1(VALU_DEP_1)
	v_fma_f32 v4, -v0, v3, 1.0
	v_fmac_f32_e32 v3, v4, v3
	s_delay_alu instid0(VALU_DEP_1) | instskip(NEXT) | instid1(VALU_DEP_1)
	v_mul_f32_e32 v4, v5, v3
	v_fma_f32 v6, -v0, v4, v5
	s_delay_alu instid0(VALU_DEP_1) | instskip(NEXT) | instid1(VALU_DEP_1)
	v_fmac_f32_e32 v4, v6, v3
	v_fma_f32 v0, -v0, v4, v5
	s_delay_alu instid0(VALU_DEP_1) | instskip(NEXT) | instid1(VALU_DEP_1)
	v_div_fmas_f32 v0, v0, v3, v4
	v_div_fixup_f32 v0, v0, v1, 1.0
	s_delay_alu instid0(VALU_DEP_1)
	v_mul_f32_e32 v2, v2, v0
	v_xor_b32_e32 v3, 0x80000000, v0
                                        ; implicit-def: $vgpr0_vgpr1
.LBB109_68:
	s_and_not1_saveexec_b32 s1, s1
	s_cbranch_execz .LBB109_70
; %bb.69:
	v_div_scale_f32 v2, null, v0, v0, v1
	v_div_scale_f32 v5, vcc_lo, v1, v0, v1
	s_delay_alu instid0(VALU_DEP_2) | instskip(SKIP_1) | instid1(TRANS32_DEP_1)
	v_rcp_f32_e32 v3, v2
	v_nop
	v_fma_f32 v4, -v2, v3, 1.0
	s_delay_alu instid0(VALU_DEP_1) | instskip(NEXT) | instid1(VALU_DEP_1)
	v_fmac_f32_e32 v3, v4, v3
	v_mul_f32_e32 v4, v5, v3
	s_delay_alu instid0(VALU_DEP_1) | instskip(NEXT) | instid1(VALU_DEP_1)
	v_fma_f32 v6, -v2, v4, v5
	v_fmac_f32_e32 v4, v6, v3
	s_delay_alu instid0(VALU_DEP_1) | instskip(NEXT) | instid1(VALU_DEP_1)
	v_fma_f32 v2, -v2, v4, v5
	v_div_fmas_f32 v2, v2, v3, v4
	s_delay_alu instid0(VALU_DEP_1) | instskip(NEXT) | instid1(VALU_DEP_1)
	v_div_fixup_f32 v3, v2, v0, v1
	v_fmac_f32_e32 v0, v1, v3
	s_delay_alu instid0(VALU_DEP_1) | instskip(NEXT) | instid1(VALU_DEP_1)
	v_div_scale_f32 v1, null, v0, v0, 1.0
	v_rcp_f32_e32 v2, v1
	v_nop
	s_delay_alu instid0(TRANS32_DEP_1) | instskip(NEXT) | instid1(VALU_DEP_1)
	v_fma_f32 v4, -v1, v2, 1.0
	v_fmac_f32_e32 v2, v4, v2
	v_div_scale_f32 v4, vcc_lo, 1.0, v0, 1.0
	s_delay_alu instid0(VALU_DEP_1) | instskip(NEXT) | instid1(VALU_DEP_1)
	v_mul_f32_e32 v5, v4, v2
	v_fma_f32 v6, -v1, v5, v4
	s_delay_alu instid0(VALU_DEP_1) | instskip(NEXT) | instid1(VALU_DEP_1)
	v_fmac_f32_e32 v5, v6, v2
	v_fma_f32 v1, -v1, v5, v4
	s_delay_alu instid0(VALU_DEP_1) | instskip(NEXT) | instid1(VALU_DEP_1)
	v_div_fmas_f32 v1, v1, v2, v5
	v_div_fixup_f32 v2, v1, v0, 1.0
	s_delay_alu instid0(VALU_DEP_1)
	v_mul_f32_e64 v3, v3, -v2
.LBB109_70:
	s_or_b32 exec_lo, exec_lo, s1
	ds_store_b64 v153, v[2:3]
.LBB109_71:
	s_or_b32 exec_lo, exec_lo, s2
	s_wait_dscnt 0x0
	s_barrier_signal -1
	s_barrier_wait -1
	ds_load_b64 v[0:1], v153
	s_mov_b32 s1, exec_lo
	s_wait_dscnt 0x0
	scratch_store_b64 off, v[0:1], off offset:264 ; 8-byte Folded Spill
	s_wait_xcnt 0x0
	v_cmpx_lt_u32_e32 7, v152
	s_cbranch_execz .LBB109_73
; %bb.72:
	scratch_load_b64 v[4:5], off, off offset:264 ; 8-byte Folded Reload
	s_wait_loadcnt 0x0
	v_pk_mul_f32 v[2:3], v[4:5], v[20:21] op_sel:[1,1] op_sel_hi:[0,1]
	s_delay_alu instid0(VALU_DEP_1)
	v_pk_fma_f32 v[0:1], v[4:5], v[20:21], v[2:3] op_sel_hi:[1,0,1] neg_lo:[0,0,1] neg_hi:[0,0,1]
	v_pk_fma_f32 v[2:3], v[4:5], v[20:21], v[2:3] op_sel_hi:[1,0,1]
	ds_load_2addr_b64 v[4:7], v154 offset0:8 offset1:9
	v_dual_mov_b32 v20, v0 :: v_dual_mov_b32 v21, v3
	s_wait_dscnt 0x0
	v_pk_mul_f32 v[8:9], v[4:5], v[2:3] op_sel:[0,1]
	s_delay_alu instid0(VALU_DEP_1) | instskip(SKIP_1) | instid1(VALU_DEP_1)
	v_pk_fma_f32 v[10:11], v[4:5], v[0:1], v[8:9] op_sel:[0,0,1] op_sel_hi:[1,1,0] neg_lo:[0,0,1] neg_hi:[0,0,1]
	v_pk_fma_f32 v[4:5], v[4:5], v[0:1], v[8:9] op_sel:[0,0,1] op_sel_hi:[1,0,0]
	v_mov_b32_e32 v11, v5
	v_pk_mul_f32 v[4:5], v[6:7], v[2:3] op_sel:[0,1]
	s_delay_alu instid0(VALU_DEP_1) | instskip(SKIP_1) | instid1(VALU_DEP_1)
	v_pk_fma_f32 v[8:9], v[6:7], v[0:1], v[4:5] op_sel:[0,0,1] op_sel_hi:[1,1,0] neg_lo:[0,0,1] neg_hi:[0,0,1]
	v_pk_fma_f32 v[4:5], v[6:7], v[0:1], v[4:5] op_sel:[0,0,1] op_sel_hi:[1,0,0]
	v_mov_b32_e32 v9, v5
	ds_load_2addr_b64 v[4:7], v154 offset0:10 offset1:11
	v_pk_add_f32 v[40:41], v[40:41], v[10:11] neg_lo:[0,1] neg_hi:[0,1]
	v_pk_add_f32 v[36:37], v[36:37], v[8:9] neg_lo:[0,1] neg_hi:[0,1]
	s_wait_dscnt 0x0
	v_pk_mul_f32 v[8:9], v[4:5], v[2:3] op_sel:[0,1]
	s_delay_alu instid0(VALU_DEP_1) | instskip(SKIP_2) | instid1(VALU_DEP_2)
	v_pk_fma_f32 v[10:11], v[4:5], v[0:1], v[8:9] op_sel:[0,0,1] op_sel_hi:[1,1,0] neg_lo:[0,0,1] neg_hi:[0,0,1]
	v_pk_fma_f32 v[4:5], v[4:5], v[0:1], v[8:9] op_sel:[0,0,1] op_sel_hi:[1,0,0]
	v_dual_mul_f32 v8, v7, v3 :: v_dual_mov_b32 v4, v7
	v_dual_mov_b32 v11, v5 :: v_dual_mov_b32 v5, v6
	s_delay_alu instid0(VALU_DEP_2) | instskip(SKIP_1) | instid1(VALU_DEP_3)
	v_pk_fma_f32 v[8:9], v[6:7], v[20:21], v[8:9] op_sel_hi:[1,1,0] neg_lo:[0,0,1] neg_hi:[0,0,1]
	v_mul_f32_e32 v6, v7, v0
	v_pk_add_f32 v[38:39], v[38:39], v[10:11] neg_lo:[0,1] neg_hi:[0,1]
	s_delay_alu instid0(VALU_DEP_2) | instskip(NEXT) | instid1(VALU_DEP_1)
	v_pk_fma_f32 v[4:5], v[4:5], v[20:21], v[6:7] op_sel_hi:[1,1,0]
	v_mov_b32_e32 v9, v5
	ds_load_2addr_b64 v[4:7], v154 offset0:12 offset1:13
	v_pk_add_f32 v[34:35], v[34:35], v[8:9] neg_lo:[0,1] neg_hi:[0,1]
	s_wait_dscnt 0x0
	v_pk_mul_f32 v[8:9], v[4:5], v[2:3] op_sel:[0,1]
	s_delay_alu instid0(VALU_DEP_1) | instskip(SKIP_1) | instid1(VALU_DEP_1)
	v_pk_fma_f32 v[10:11], v[4:5], v[0:1], v[8:9] op_sel:[0,0,1] op_sel_hi:[1,1,0] neg_lo:[0,0,1] neg_hi:[0,0,1]
	v_pk_fma_f32 v[4:5], v[4:5], v[0:1], v[8:9] op_sel:[0,0,1] op_sel_hi:[1,0,0]
	v_mov_b32_e32 v11, v5
	v_pk_mul_f32 v[4:5], v[6:7], v[2:3] op_sel:[0,1]
	s_delay_alu instid0(VALU_DEP_1) | instskip(SKIP_1) | instid1(VALU_DEP_1)
	v_pk_fma_f32 v[8:9], v[6:7], v[0:1], v[4:5] op_sel:[0,0,1] op_sel_hi:[1,1,0] neg_lo:[0,0,1] neg_hi:[0,0,1]
	v_pk_fma_f32 v[4:5], v[6:7], v[0:1], v[4:5] op_sel:[0,0,1] op_sel_hi:[1,0,0]
	v_mov_b32_e32 v9, v5
	ds_load_2addr_b64 v[4:7], v154 offset0:14 offset1:15
	v_pk_add_f32 v[64:65], v[64:65], v[10:11] neg_lo:[0,1] neg_hi:[0,1]
	v_pk_add_f32 v[60:61], v[60:61], v[8:9] neg_lo:[0,1] neg_hi:[0,1]
	s_wait_dscnt 0x0
	v_pk_mul_f32 v[8:9], v[4:5], v[2:3] op_sel:[0,1]
	s_delay_alu instid0(VALU_DEP_1) | instskip(SKIP_1) | instid1(VALU_DEP_1)
	v_pk_fma_f32 v[10:11], v[4:5], v[0:1], v[8:9] op_sel:[0,0,1] op_sel_hi:[1,1,0] neg_lo:[0,0,1] neg_hi:[0,0,1]
	v_pk_fma_f32 v[4:5], v[4:5], v[0:1], v[8:9] op_sel:[0,0,1] op_sel_hi:[1,0,0]
	v_mov_b32_e32 v11, v5
	v_pk_mul_f32 v[4:5], v[6:7], v[2:3] op_sel:[0,1]
	s_delay_alu instid0(VALU_DEP_1) | instskip(SKIP_1) | instid1(VALU_DEP_1)
	v_pk_fma_f32 v[8:9], v[6:7], v[0:1], v[4:5] op_sel:[0,0,1] op_sel_hi:[1,1,0] neg_lo:[0,0,1] neg_hi:[0,0,1]
	v_pk_fma_f32 v[4:5], v[6:7], v[0:1], v[4:5] op_sel:[0,0,1] op_sel_hi:[1,0,0]
	v_mov_b32_e32 v9, v5
	ds_load_2addr_b64 v[4:7], v154 offset0:16 offset1:17
	v_pk_add_f32 v[62:63], v[62:63], v[10:11] neg_lo:[0,1] neg_hi:[0,1]
	v_pk_add_f32 v[58:59], v[58:59], v[8:9] neg_lo:[0,1] neg_hi:[0,1]
	s_wait_dscnt 0x0
	v_dual_mul_f32 v8, v5, v3 :: v_dual_mul_f32 v10, v5, v0
	s_delay_alu instid0(VALU_DEP_1) | instskip(NEXT) | instid1(VALU_DEP_2)
	v_pk_fma_f32 v[8:9], v[4:5], v[20:21], v[8:9] op_sel_hi:[1,1,0] neg_lo:[0,0,1] neg_hi:[0,0,1]
	v_pk_fma_f32 v[4:5], v[4:5], v[20:21], v[10:11] op_sel:[1,0,0] op_sel_hi:[0,1,0]
	s_delay_alu instid0(VALU_DEP_1) | instskip(SKIP_1) | instid1(VALU_DEP_2)
	v_mov_b32_e32 v9, v5
	v_pk_mul_f32 v[4:5], v[6:7], v[2:3] op_sel:[0,1]
	v_pk_add_f32 v[80:81], v[80:81], v[8:9] neg_lo:[0,1] neg_hi:[0,1]
	s_delay_alu instid0(VALU_DEP_2) | instskip(SKIP_1) | instid1(VALU_DEP_1)
	v_pk_fma_f32 v[8:9], v[6:7], v[0:1], v[4:5] op_sel:[0,0,1] op_sel_hi:[1,1,0] neg_lo:[0,0,1] neg_hi:[0,0,1]
	v_pk_fma_f32 v[4:5], v[6:7], v[0:1], v[4:5] op_sel:[0,0,1] op_sel_hi:[1,0,0]
	v_mov_b32_e32 v9, v5
	ds_load_2addr_b64 v[4:7], v154 offset0:18 offset1:19
	v_pk_add_f32 v[76:77], v[76:77], v[8:9] neg_lo:[0,1] neg_hi:[0,1]
	s_wait_dscnt 0x0
	v_pk_mul_f32 v[8:9], v[4:5], v[2:3] op_sel:[0,1]
	s_delay_alu instid0(VALU_DEP_1) | instskip(SKIP_1) | instid1(VALU_DEP_1)
	v_pk_fma_f32 v[10:11], v[4:5], v[0:1], v[8:9] op_sel:[0,0,1] op_sel_hi:[1,1,0] neg_lo:[0,0,1] neg_hi:[0,0,1]
	v_pk_fma_f32 v[4:5], v[4:5], v[0:1], v[8:9] op_sel:[0,0,1] op_sel_hi:[1,0,0]
	v_mov_b32_e32 v11, v5
	v_pk_mul_f32 v[4:5], v[6:7], v[2:3] op_sel:[0,1]
	s_delay_alu instid0(VALU_DEP_2) | instskip(NEXT) | instid1(VALU_DEP_2)
	v_pk_add_f32 v[78:79], v[78:79], v[10:11] neg_lo:[0,1] neg_hi:[0,1]
	v_pk_fma_f32 v[8:9], v[6:7], v[0:1], v[4:5] op_sel:[0,0,1] op_sel_hi:[1,1,0] neg_lo:[0,0,1] neg_hi:[0,0,1]
	v_pk_fma_f32 v[4:5], v[6:7], v[0:1], v[4:5] op_sel:[0,0,1] op_sel_hi:[1,0,0]
	s_delay_alu instid0(VALU_DEP_1) | instskip(SKIP_4) | instid1(VALU_DEP_1)
	v_mov_b32_e32 v9, v5
	ds_load_2addr_b64 v[4:7], v154 offset0:20 offset1:21
	v_pk_add_f32 v[74:75], v[74:75], v[8:9] neg_lo:[0,1] neg_hi:[0,1]
	s_wait_dscnt 0x0
	v_pk_mul_f32 v[8:9], v[4:5], v[2:3] op_sel:[0,1]
	v_pk_fma_f32 v[10:11], v[4:5], v[0:1], v[8:9] op_sel:[0,0,1] op_sel_hi:[1,1,0] neg_lo:[0,0,1] neg_hi:[0,0,1]
	v_pk_fma_f32 v[4:5], v[4:5], v[0:1], v[8:9] op_sel:[0,0,1] op_sel_hi:[1,0,0]
	v_dual_mul_f32 v8, v7, v3 :: v_dual_mov_b32 v4, v7
	s_delay_alu instid0(VALU_DEP_2) | instskip(NEXT) | instid1(VALU_DEP_2)
	v_dual_mov_b32 v11, v5 :: v_dual_mov_b32 v5, v6
	v_pk_fma_f32 v[8:9], v[6:7], v[20:21], v[8:9] op_sel_hi:[1,1,0] neg_lo:[0,0,1] neg_hi:[0,0,1]
	v_mul_f32_e32 v6, v7, v0
	s_delay_alu instid0(VALU_DEP_3) | instskip(NEXT) | instid1(VALU_DEP_2)
	v_pk_add_f32 v[96:97], v[96:97], v[10:11] neg_lo:[0,1] neg_hi:[0,1]
	v_pk_fma_f32 v[4:5], v[4:5], v[20:21], v[6:7] op_sel_hi:[1,1,0]
	s_delay_alu instid0(VALU_DEP_1) | instskip(SKIP_4) | instid1(VALU_DEP_1)
	v_mov_b32_e32 v9, v5
	ds_load_2addr_b64 v[4:7], v154 offset0:22 offset1:23
	v_pk_add_f32 v[92:93], v[92:93], v[8:9] neg_lo:[0,1] neg_hi:[0,1]
	s_wait_dscnt 0x0
	v_pk_mul_f32 v[8:9], v[4:5], v[2:3] op_sel:[0,1]
	v_pk_fma_f32 v[10:11], v[4:5], v[0:1], v[8:9] op_sel:[0,0,1] op_sel_hi:[1,1,0] neg_lo:[0,0,1] neg_hi:[0,0,1]
	v_pk_fma_f32 v[4:5], v[4:5], v[0:1], v[8:9] op_sel:[0,0,1] op_sel_hi:[1,0,0]
	s_delay_alu instid0(VALU_DEP_1) | instskip(SKIP_1) | instid1(VALU_DEP_1)
	v_mov_b32_e32 v11, v5
	v_pk_mul_f32 v[4:5], v[6:7], v[2:3] op_sel:[0,1]
	v_pk_fma_f32 v[8:9], v[6:7], v[0:1], v[4:5] op_sel:[0,0,1] op_sel_hi:[1,1,0] neg_lo:[0,0,1] neg_hi:[0,0,1]
	v_pk_fma_f32 v[4:5], v[6:7], v[0:1], v[4:5] op_sel:[0,0,1] op_sel_hi:[1,0,0]
	s_delay_alu instid0(VALU_DEP_1)
	v_mov_b32_e32 v9, v5
	ds_load_2addr_b64 v[4:7], v154 offset0:24 offset1:25
	v_pk_add_f32 v[94:95], v[94:95], v[10:11] neg_lo:[0,1] neg_hi:[0,1]
	v_pk_add_f32 v[90:91], v[90:91], v[8:9] neg_lo:[0,1] neg_hi:[0,1]
	s_wait_dscnt 0x0
	v_pk_mul_f32 v[8:9], v[4:5], v[2:3] op_sel:[0,1]
	s_delay_alu instid0(VALU_DEP_1) | instskip(SKIP_1) | instid1(VALU_DEP_1)
	v_pk_fma_f32 v[10:11], v[4:5], v[0:1], v[8:9] op_sel:[0,0,1] op_sel_hi:[1,1,0] neg_lo:[0,0,1] neg_hi:[0,0,1]
	v_pk_fma_f32 v[4:5], v[4:5], v[0:1], v[8:9] op_sel:[0,0,1] op_sel_hi:[1,0,0]
	v_mov_b32_e32 v11, v5
	v_pk_mul_f32 v[4:5], v[6:7], v[2:3] op_sel:[0,1]
	s_delay_alu instid0(VALU_DEP_1) | instskip(SKIP_1) | instid1(VALU_DEP_1)
	v_pk_fma_f32 v[8:9], v[6:7], v[0:1], v[4:5] op_sel:[0,0,1] op_sel_hi:[1,1,0] neg_lo:[0,0,1] neg_hi:[0,0,1]
	v_pk_fma_f32 v[4:5], v[6:7], v[0:1], v[4:5] op_sel:[0,0,1] op_sel_hi:[1,0,0]
	v_mov_b32_e32 v9, v5
	ds_load_2addr_b64 v[4:7], v154 offset0:26 offset1:27
	v_pk_add_f32 v[114:115], v[114:115], v[10:11] neg_lo:[0,1] neg_hi:[0,1]
	v_pk_add_f32 v[110:111], v[110:111], v[8:9] neg_lo:[0,1] neg_hi:[0,1]
	s_wait_dscnt 0x0
	v_dual_mul_f32 v8, v5, v3 :: v_dual_mul_f32 v10, v5, v0
	s_delay_alu instid0(VALU_DEP_1) | instskip(NEXT) | instid1(VALU_DEP_2)
	v_pk_fma_f32 v[8:9], v[4:5], v[20:21], v[8:9] op_sel_hi:[1,1,0] neg_lo:[0,0,1] neg_hi:[0,0,1]
	v_pk_fma_f32 v[4:5], v[4:5], v[20:21], v[10:11] op_sel:[1,0,0] op_sel_hi:[0,1,0]
	s_delay_alu instid0(VALU_DEP_1) | instskip(SKIP_1) | instid1(VALU_DEP_2)
	v_mov_b32_e32 v9, v5
	v_pk_mul_f32 v[4:5], v[6:7], v[2:3] op_sel:[0,1]
	v_pk_add_f32 v[112:113], v[112:113], v[8:9] neg_lo:[0,1] neg_hi:[0,1]
	s_delay_alu instid0(VALU_DEP_2) | instskip(SKIP_1) | instid1(VALU_DEP_1)
	v_pk_fma_f32 v[8:9], v[6:7], v[0:1], v[4:5] op_sel:[0,0,1] op_sel_hi:[1,1,0] neg_lo:[0,0,1] neg_hi:[0,0,1]
	v_pk_fma_f32 v[4:5], v[6:7], v[0:1], v[4:5] op_sel:[0,0,1] op_sel_hi:[1,0,0]
	v_mov_b32_e32 v9, v5
	ds_load_2addr_b64 v[4:7], v154 offset0:28 offset1:29
	v_pk_add_f32 v[108:109], v[108:109], v[8:9] neg_lo:[0,1] neg_hi:[0,1]
	s_wait_dscnt 0x0
	v_pk_mul_f32 v[8:9], v[4:5], v[2:3] op_sel:[0,1]
	s_delay_alu instid0(VALU_DEP_1) | instskip(SKIP_1) | instid1(VALU_DEP_1)
	v_pk_fma_f32 v[10:11], v[4:5], v[0:1], v[8:9] op_sel:[0,0,1] op_sel_hi:[1,1,0] neg_lo:[0,0,1] neg_hi:[0,0,1]
	v_pk_fma_f32 v[4:5], v[4:5], v[0:1], v[8:9] op_sel:[0,0,1] op_sel_hi:[1,0,0]
	v_mov_b32_e32 v11, v5
	v_pk_mul_f32 v[4:5], v[6:7], v[2:3] op_sel:[0,1]
	s_delay_alu instid0(VALU_DEP_2) | instskip(NEXT) | instid1(VALU_DEP_2)
	v_pk_add_f32 v[130:131], v[130:131], v[10:11] neg_lo:[0,1] neg_hi:[0,1]
	v_pk_fma_f32 v[8:9], v[6:7], v[0:1], v[4:5] op_sel:[0,0,1] op_sel_hi:[1,1,0] neg_lo:[0,0,1] neg_hi:[0,0,1]
	v_pk_fma_f32 v[4:5], v[6:7], v[0:1], v[4:5] op_sel:[0,0,1] op_sel_hi:[1,0,0]
	s_delay_alu instid0(VALU_DEP_1) | instskip(SKIP_4) | instid1(VALU_DEP_1)
	v_mov_b32_e32 v9, v5
	ds_load_2addr_b64 v[4:7], v154 offset0:30 offset1:31
	v_pk_add_f32 v[126:127], v[126:127], v[8:9] neg_lo:[0,1] neg_hi:[0,1]
	s_wait_dscnt 0x0
	v_pk_mul_f32 v[8:9], v[4:5], v[2:3] op_sel:[0,1]
	v_pk_fma_f32 v[10:11], v[4:5], v[0:1], v[8:9] op_sel:[0,0,1] op_sel_hi:[1,1,0] neg_lo:[0,0,1] neg_hi:[0,0,1]
	v_pk_fma_f32 v[4:5], v[4:5], v[0:1], v[8:9] op_sel:[0,0,1] op_sel_hi:[1,0,0]
	v_dual_mul_f32 v8, v7, v3 :: v_dual_mov_b32 v4, v7
	s_delay_alu instid0(VALU_DEP_2) | instskip(NEXT) | instid1(VALU_DEP_2)
	v_dual_mov_b32 v11, v5 :: v_dual_mov_b32 v5, v6
	v_pk_fma_f32 v[8:9], v[6:7], v[20:21], v[8:9] op_sel_hi:[1,1,0] neg_lo:[0,0,1] neg_hi:[0,0,1]
	v_mul_f32_e32 v6, v7, v0
	s_delay_alu instid0(VALU_DEP_3) | instskip(NEXT) | instid1(VALU_DEP_2)
	v_pk_add_f32 v[128:129], v[128:129], v[10:11] neg_lo:[0,1] neg_hi:[0,1]
	v_pk_fma_f32 v[4:5], v[4:5], v[20:21], v[6:7] op_sel_hi:[1,1,0]
	s_delay_alu instid0(VALU_DEP_1) | instskip(SKIP_4) | instid1(VALU_DEP_1)
	v_mov_b32_e32 v9, v5
	ds_load_2addr_b64 v[4:7], v154 offset0:32 offset1:33
	v_pk_add_f32 v[124:125], v[124:125], v[8:9] neg_lo:[0,1] neg_hi:[0,1]
	s_wait_dscnt 0x0
	v_pk_mul_f32 v[8:9], v[4:5], v[2:3] op_sel:[0,1]
	v_pk_fma_f32 v[10:11], v[4:5], v[0:1], v[8:9] op_sel:[0,0,1] op_sel_hi:[1,1,0] neg_lo:[0,0,1] neg_hi:[0,0,1]
	v_pk_fma_f32 v[4:5], v[4:5], v[0:1], v[8:9] op_sel:[0,0,1] op_sel_hi:[1,0,0]
	s_delay_alu instid0(VALU_DEP_1) | instskip(SKIP_1) | instid1(VALU_DEP_1)
	v_mov_b32_e32 v11, v5
	v_pk_mul_f32 v[4:5], v[6:7], v[2:3] op_sel:[0,1]
	v_pk_fma_f32 v[8:9], v[6:7], v[0:1], v[4:5] op_sel:[0,0,1] op_sel_hi:[1,1,0] neg_lo:[0,0,1] neg_hi:[0,0,1]
	v_pk_fma_f32 v[4:5], v[6:7], v[0:1], v[4:5] op_sel:[0,0,1] op_sel_hi:[1,0,0]
	s_delay_alu instid0(VALU_DEP_1)
	v_mov_b32_e32 v9, v5
	ds_load_2addr_b64 v[4:7], v154 offset0:34 offset1:35
	v_pk_add_f32 v[146:147], v[146:147], v[10:11] neg_lo:[0,1] neg_hi:[0,1]
	v_pk_add_f32 v[142:143], v[142:143], v[8:9] neg_lo:[0,1] neg_hi:[0,1]
	s_wait_dscnt 0x0
	v_pk_mul_f32 v[8:9], v[4:5], v[2:3] op_sel:[0,1]
	s_delay_alu instid0(VALU_DEP_1) | instskip(SKIP_1) | instid1(VALU_DEP_1)
	v_pk_fma_f32 v[10:11], v[4:5], v[0:1], v[8:9] op_sel:[0,0,1] op_sel_hi:[1,1,0] neg_lo:[0,0,1] neg_hi:[0,0,1]
	v_pk_fma_f32 v[4:5], v[4:5], v[0:1], v[8:9] op_sel:[0,0,1] op_sel_hi:[1,0,0]
	v_mov_b32_e32 v11, v5
	v_pk_mul_f32 v[4:5], v[6:7], v[2:3] op_sel:[0,1]
	s_delay_alu instid0(VALU_DEP_1) | instskip(SKIP_1) | instid1(VALU_DEP_1)
	v_pk_fma_f32 v[8:9], v[6:7], v[0:1], v[4:5] op_sel:[0,0,1] op_sel_hi:[1,1,0] neg_lo:[0,0,1] neg_hi:[0,0,1]
	v_pk_fma_f32 v[4:5], v[6:7], v[0:1], v[4:5] op_sel:[0,0,1] op_sel_hi:[1,0,0]
	v_mov_b32_e32 v9, v5
	ds_load_2addr_b64 v[4:7], v154 offset0:36 offset1:37
	v_pk_add_f32 v[144:145], v[144:145], v[10:11] neg_lo:[0,1] neg_hi:[0,1]
	v_pk_add_f32 v[140:141], v[140:141], v[8:9] neg_lo:[0,1] neg_hi:[0,1]
	s_wait_dscnt 0x0
	v_dual_mul_f32 v8, v5, v3 :: v_dual_mul_f32 v10, v5, v0
	s_delay_alu instid0(VALU_DEP_1) | instskip(NEXT) | instid1(VALU_DEP_2)
	v_pk_fma_f32 v[8:9], v[4:5], v[20:21], v[8:9] op_sel_hi:[1,1,0] neg_lo:[0,0,1] neg_hi:[0,0,1]
	v_pk_fma_f32 v[4:5], v[4:5], v[20:21], v[10:11] op_sel:[1,0,0] op_sel_hi:[0,1,0]
	s_delay_alu instid0(VALU_DEP_1) | instskip(SKIP_1) | instid1(VALU_DEP_2)
	v_mov_b32_e32 v9, v5
	v_pk_mul_f32 v[4:5], v[6:7], v[2:3] op_sel:[0,1]
	v_pk_add_f32 v[162:163], v[162:163], v[8:9] neg_lo:[0,1] neg_hi:[0,1]
	s_delay_alu instid0(VALU_DEP_2) | instskip(SKIP_1) | instid1(VALU_DEP_1)
	v_pk_fma_f32 v[8:9], v[6:7], v[0:1], v[4:5] op_sel:[0,0,1] op_sel_hi:[1,1,0] neg_lo:[0,0,1] neg_hi:[0,0,1]
	v_pk_fma_f32 v[4:5], v[6:7], v[0:1], v[4:5] op_sel:[0,0,1] op_sel_hi:[1,0,0]
	v_mov_b32_e32 v9, v5
	ds_load_2addr_b64 v[4:7], v154 offset0:38 offset1:39
	v_pk_add_f32 v[158:159], v[158:159], v[8:9] neg_lo:[0,1] neg_hi:[0,1]
	s_wait_dscnt 0x0
	v_pk_mul_f32 v[8:9], v[4:5], v[2:3] op_sel:[0,1]
	s_delay_alu instid0(VALU_DEP_1) | instskip(SKIP_1) | instid1(VALU_DEP_1)
	v_pk_fma_f32 v[10:11], v[4:5], v[0:1], v[8:9] op_sel:[0,0,1] op_sel_hi:[1,1,0] neg_lo:[0,0,1] neg_hi:[0,0,1]
	v_pk_fma_f32 v[4:5], v[4:5], v[0:1], v[8:9] op_sel:[0,0,1] op_sel_hi:[1,0,0]
	v_mov_b32_e32 v11, v5
	v_pk_mul_f32 v[4:5], v[6:7], v[2:3] op_sel:[0,1]
	s_delay_alu instid0(VALU_DEP_2) | instskip(NEXT) | instid1(VALU_DEP_2)
	v_pk_add_f32 v[160:161], v[160:161], v[10:11] neg_lo:[0,1] neg_hi:[0,1]
	v_pk_fma_f32 v[8:9], v[6:7], v[0:1], v[4:5] op_sel:[0,0,1] op_sel_hi:[1,1,0] neg_lo:[0,0,1] neg_hi:[0,0,1]
	v_pk_fma_f32 v[4:5], v[6:7], v[0:1], v[4:5] op_sel:[0,0,1] op_sel_hi:[1,0,0]
	s_delay_alu instid0(VALU_DEP_1) | instskip(SKIP_4) | instid1(VALU_DEP_1)
	v_mov_b32_e32 v9, v5
	ds_load_2addr_b64 v[4:7], v154 offset0:40 offset1:41
	v_pk_add_f32 v[156:157], v[156:157], v[8:9] neg_lo:[0,1] neg_hi:[0,1]
	s_wait_dscnt 0x0
	v_pk_mul_f32 v[8:9], v[4:5], v[2:3] op_sel:[0,1]
	v_pk_fma_f32 v[10:11], v[4:5], v[0:1], v[8:9] op_sel:[0,0,1] op_sel_hi:[1,1,0] neg_lo:[0,0,1] neg_hi:[0,0,1]
	v_pk_fma_f32 v[4:5], v[4:5], v[0:1], v[8:9] op_sel:[0,0,1] op_sel_hi:[1,0,0]
	v_dual_mul_f32 v8, v7, v3 :: v_dual_mov_b32 v4, v7
	s_delay_alu instid0(VALU_DEP_2) | instskip(NEXT) | instid1(VALU_DEP_2)
	v_dual_mov_b32 v11, v5 :: v_dual_mov_b32 v5, v6
	v_pk_fma_f32 v[8:9], v[6:7], v[20:21], v[8:9] op_sel_hi:[1,1,0] neg_lo:[0,0,1] neg_hi:[0,0,1]
	v_mul_f32_e32 v6, v7, v0
	s_delay_alu instid0(VALU_DEP_3) | instskip(NEXT) | instid1(VALU_DEP_2)
	v_pk_add_f32 v[178:179], v[178:179], v[10:11] neg_lo:[0,1] neg_hi:[0,1]
	v_pk_fma_f32 v[4:5], v[4:5], v[20:21], v[6:7] op_sel_hi:[1,1,0]
	s_delay_alu instid0(VALU_DEP_1) | instskip(SKIP_4) | instid1(VALU_DEP_1)
	v_mov_b32_e32 v9, v5
	ds_load_2addr_b64 v[4:7], v154 offset0:42 offset1:43
	v_pk_add_f32 v[174:175], v[174:175], v[8:9] neg_lo:[0,1] neg_hi:[0,1]
	s_wait_dscnt 0x0
	v_pk_mul_f32 v[8:9], v[4:5], v[2:3] op_sel:[0,1]
	v_pk_fma_f32 v[10:11], v[4:5], v[0:1], v[8:9] op_sel:[0,0,1] op_sel_hi:[1,1,0] neg_lo:[0,0,1] neg_hi:[0,0,1]
	v_pk_fma_f32 v[4:5], v[4:5], v[0:1], v[8:9] op_sel:[0,0,1] op_sel_hi:[1,0,0]
	s_delay_alu instid0(VALU_DEP_1) | instskip(SKIP_1) | instid1(VALU_DEP_1)
	v_mov_b32_e32 v11, v5
	v_pk_mul_f32 v[4:5], v[6:7], v[2:3] op_sel:[0,1]
	v_pk_fma_f32 v[8:9], v[6:7], v[0:1], v[4:5] op_sel:[0,0,1] op_sel_hi:[1,1,0] neg_lo:[0,0,1] neg_hi:[0,0,1]
	v_pk_fma_f32 v[4:5], v[6:7], v[0:1], v[4:5] op_sel:[0,0,1] op_sel_hi:[1,0,0]
	s_delay_alu instid0(VALU_DEP_1)
	v_mov_b32_e32 v9, v5
	ds_load_2addr_b64 v[4:7], v154 offset0:44 offset1:45
	v_pk_add_f32 v[176:177], v[176:177], v[10:11] neg_lo:[0,1] neg_hi:[0,1]
	v_pk_add_f32 v[172:173], v[172:173], v[8:9] neg_lo:[0,1] neg_hi:[0,1]
	s_wait_dscnt 0x0
	v_pk_mul_f32 v[8:9], v[4:5], v[2:3] op_sel:[0,1]
	s_delay_alu instid0(VALU_DEP_1) | instskip(SKIP_1) | instid1(VALU_DEP_1)
	v_pk_fma_f32 v[10:11], v[4:5], v[0:1], v[8:9] op_sel:[0,0,1] op_sel_hi:[1,1,0] neg_lo:[0,0,1] neg_hi:[0,0,1]
	v_pk_fma_f32 v[4:5], v[4:5], v[0:1], v[8:9] op_sel:[0,0,1] op_sel_hi:[1,0,0]
	v_mov_b32_e32 v11, v5
	v_pk_mul_f32 v[4:5], v[6:7], v[2:3] op_sel:[0,1]
	s_delay_alu instid0(VALU_DEP_1) | instskip(SKIP_1) | instid1(VALU_DEP_1)
	v_pk_fma_f32 v[8:9], v[6:7], v[0:1], v[4:5] op_sel:[0,0,1] op_sel_hi:[1,1,0] neg_lo:[0,0,1] neg_hi:[0,0,1]
	v_pk_fma_f32 v[4:5], v[6:7], v[0:1], v[4:5] op_sel:[0,0,1] op_sel_hi:[1,0,0]
	v_mov_b32_e32 v9, v5
	ds_load_2addr_b64 v[4:7], v154 offset0:46 offset1:47
	v_pk_add_f32 v[196:197], v[196:197], v[10:11] neg_lo:[0,1] neg_hi:[0,1]
	v_pk_add_f32 v[192:193], v[192:193], v[8:9] neg_lo:[0,1] neg_hi:[0,1]
	s_wait_dscnt 0x0
	v_dual_mul_f32 v8, v5, v3 :: v_dual_mul_f32 v10, v5, v0
	s_delay_alu instid0(VALU_DEP_1) | instskip(NEXT) | instid1(VALU_DEP_2)
	v_pk_fma_f32 v[8:9], v[4:5], v[20:21], v[8:9] op_sel_hi:[1,1,0] neg_lo:[0,0,1] neg_hi:[0,0,1]
	v_pk_fma_f32 v[4:5], v[4:5], v[20:21], v[10:11] op_sel:[1,0,0] op_sel_hi:[0,1,0]
	s_delay_alu instid0(VALU_DEP_1) | instskip(SKIP_1) | instid1(VALU_DEP_2)
	v_mov_b32_e32 v9, v5
	v_pk_mul_f32 v[4:5], v[6:7], v[2:3] op_sel:[0,1]
	v_pk_add_f32 v[194:195], v[194:195], v[8:9] neg_lo:[0,1] neg_hi:[0,1]
	s_delay_alu instid0(VALU_DEP_2) | instskip(SKIP_1) | instid1(VALU_DEP_1)
	v_pk_fma_f32 v[8:9], v[6:7], v[0:1], v[4:5] op_sel:[0,0,1] op_sel_hi:[1,1,0] neg_lo:[0,0,1] neg_hi:[0,0,1]
	v_pk_fma_f32 v[4:5], v[6:7], v[0:1], v[4:5] op_sel:[0,0,1] op_sel_hi:[1,0,0]
	v_mov_b32_e32 v9, v5
	ds_load_2addr_b64 v[4:7], v154 offset0:48 offset1:49
	v_pk_add_f32 v[190:191], v[190:191], v[8:9] neg_lo:[0,1] neg_hi:[0,1]
	s_wait_dscnt 0x0
	v_pk_mul_f32 v[8:9], v[4:5], v[2:3] op_sel:[0,1]
	s_delay_alu instid0(VALU_DEP_1) | instskip(SKIP_1) | instid1(VALU_DEP_1)
	v_pk_fma_f32 v[10:11], v[4:5], v[0:1], v[8:9] op_sel:[0,0,1] op_sel_hi:[1,1,0] neg_lo:[0,0,1] neg_hi:[0,0,1]
	v_pk_fma_f32 v[4:5], v[4:5], v[0:1], v[8:9] op_sel:[0,0,1] op_sel_hi:[1,0,0]
	v_mov_b32_e32 v11, v5
	v_pk_mul_f32 v[4:5], v[6:7], v[2:3] op_sel:[0,1]
	s_delay_alu instid0(VALU_DEP_2) | instskip(NEXT) | instid1(VALU_DEP_2)
	v_pk_add_f32 v[216:217], v[216:217], v[10:11] neg_lo:[0,1] neg_hi:[0,1]
	v_pk_fma_f32 v[8:9], v[6:7], v[0:1], v[4:5] op_sel:[0,0,1] op_sel_hi:[1,1,0] neg_lo:[0,0,1] neg_hi:[0,0,1]
	v_pk_fma_f32 v[4:5], v[6:7], v[0:1], v[4:5] op_sel:[0,0,1] op_sel_hi:[1,0,0]
	s_delay_alu instid0(VALU_DEP_1) | instskip(SKIP_4) | instid1(VALU_DEP_1)
	v_mov_b32_e32 v9, v5
	ds_load_2addr_b64 v[4:7], v154 offset0:50 offset1:51
	v_pk_add_f32 v[210:211], v[210:211], v[8:9] neg_lo:[0,1] neg_hi:[0,1]
	s_wait_dscnt 0x0
	v_pk_mul_f32 v[8:9], v[4:5], v[2:3] op_sel:[0,1]
	v_pk_fma_f32 v[10:11], v[4:5], v[0:1], v[8:9] op_sel:[0,0,1] op_sel_hi:[1,1,0] neg_lo:[0,0,1] neg_hi:[0,0,1]
	v_pk_fma_f32 v[4:5], v[4:5], v[0:1], v[8:9] op_sel:[0,0,1] op_sel_hi:[1,0,0]
	v_dual_mul_f32 v8, v7, v3 :: v_dual_mov_b32 v4, v7
	s_delay_alu instid0(VALU_DEP_2) | instskip(NEXT) | instid1(VALU_DEP_2)
	v_dual_mov_b32 v11, v5 :: v_dual_mov_b32 v5, v6
	v_pk_fma_f32 v[8:9], v[6:7], v[20:21], v[8:9] op_sel_hi:[1,1,0] neg_lo:[0,0,1] neg_hi:[0,0,1]
	v_mul_f32_e32 v6, v7, v0
	s_delay_alu instid0(VALU_DEP_3) | instskip(NEXT) | instid1(VALU_DEP_2)
	v_pk_add_f32 v[214:215], v[214:215], v[10:11] neg_lo:[0,1] neg_hi:[0,1]
	v_pk_fma_f32 v[4:5], v[4:5], v[20:21], v[6:7] op_sel_hi:[1,1,0]
	s_delay_alu instid0(VALU_DEP_1) | instskip(SKIP_4) | instid1(VALU_DEP_1)
	v_mov_b32_e32 v9, v5
	ds_load_2addr_b64 v[4:7], v154 offset0:52 offset1:53
	v_pk_add_f32 v[208:209], v[208:209], v[8:9] neg_lo:[0,1] neg_hi:[0,1]
	s_wait_dscnt 0x0
	v_pk_mul_f32 v[8:9], v[4:5], v[2:3] op_sel:[0,1]
	v_pk_fma_f32 v[10:11], v[4:5], v[0:1], v[8:9] op_sel:[0,0,1] op_sel_hi:[1,1,0] neg_lo:[0,0,1] neg_hi:[0,0,1]
	v_pk_fma_f32 v[4:5], v[4:5], v[0:1], v[8:9] op_sel:[0,0,1] op_sel_hi:[1,0,0]
	s_delay_alu instid0(VALU_DEP_1) | instskip(SKIP_1) | instid1(VALU_DEP_1)
	v_mov_b32_e32 v11, v5
	v_pk_mul_f32 v[4:5], v[6:7], v[2:3] op_sel:[0,1]
	v_pk_fma_f32 v[8:9], v[6:7], v[0:1], v[4:5] op_sel:[0,0,1] op_sel_hi:[1,1,0] neg_lo:[0,0,1] neg_hi:[0,0,1]
	v_pk_fma_f32 v[4:5], v[6:7], v[0:1], v[4:5] op_sel:[0,0,1] op_sel_hi:[1,0,0]
	s_delay_alu instid0(VALU_DEP_1)
	v_mov_b32_e32 v9, v5
	ds_load_b64 v[4:5], v154 offset:432
	v_pk_add_f32 v[212:213], v[212:213], v[10:11] neg_lo:[0,1] neg_hi:[0,1]
	v_pk_add_f32 v[218:219], v[218:219], v[8:9] neg_lo:[0,1] neg_hi:[0,1]
	s_wait_dscnt 0x0
	v_pk_mul_f32 v[2:3], v[4:5], v[2:3] op_sel:[0,1]
	s_delay_alu instid0(VALU_DEP_1) | instskip(SKIP_1) | instid1(VALU_DEP_1)
	v_pk_fma_f32 v[6:7], v[4:5], v[0:1], v[2:3] op_sel:[0,0,1] op_sel_hi:[1,1,0] neg_lo:[0,0,1] neg_hi:[0,0,1]
	v_pk_fma_f32 v[0:1], v[4:5], v[0:1], v[2:3] op_sel:[0,0,1] op_sel_hi:[1,0,0]
	v_mov_b32_e32 v7, v1
	s_delay_alu instid0(VALU_DEP_1)
	v_pk_add_f32 v[220:221], v[220:221], v[6:7] neg_lo:[0,1] neg_hi:[0,1]
.LBB109_73:
	s_wait_xcnt 0x0
	s_or_b32 exec_lo, exec_lo, s1
	s_delay_alu instid0(SALU_CYCLE_1)
	s_mov_b32 s2, exec_lo
	s_wait_storecnt 0x0
	s_barrier_signal -1
	s_barrier_wait -1
	v_cmpx_eq_u32_e32 8, v152
	s_cbranch_execz .LBB109_80
; %bb.74:
	ds_store_b64 v153, v[40:41]
	ds_store_2addr_b64 v154, v[36:37], v[38:39] offset0:9 offset1:10
	ds_store_2addr_b64 v154, v[34:35], v[64:65] offset0:11 offset1:12
	;; [unrolled: 1-line block ×23, first 2 shown]
	ds_load_b64 v[0:1], v153
	s_wait_dscnt 0x0
	v_cmp_neq_f32_e32 vcc_lo, 0, v0
	v_cmp_neq_f32_e64 s1, 0, v1
	s_or_b32 s1, vcc_lo, s1
	s_delay_alu instid0(SALU_CYCLE_1)
	s_and_b32 exec_lo, exec_lo, s1
	s_cbranch_execz .LBB109_80
; %bb.75:
	v_cmp_ngt_f32_e64 s1, |v0|, |v1|
                                        ; implicit-def: $vgpr2_vgpr3
	s_and_saveexec_b32 s4, s1
	s_delay_alu instid0(SALU_CYCLE_1)
	s_xor_b32 s1, exec_lo, s4
	s_cbranch_execz .LBB109_77
; %bb.76:
	v_div_scale_f32 v2, null, v1, v1, v0
	v_div_scale_f32 v5, vcc_lo, v0, v1, v0
	s_delay_alu instid0(VALU_DEP_2) | instskip(SKIP_1) | instid1(TRANS32_DEP_1)
	v_rcp_f32_e32 v3, v2
	v_nop
	v_fma_f32 v4, -v2, v3, 1.0
	s_delay_alu instid0(VALU_DEP_1) | instskip(NEXT) | instid1(VALU_DEP_1)
	v_fmac_f32_e32 v3, v4, v3
	v_mul_f32_e32 v4, v5, v3
	s_delay_alu instid0(VALU_DEP_1) | instskip(NEXT) | instid1(VALU_DEP_1)
	v_fma_f32 v6, -v2, v4, v5
	v_fmac_f32_e32 v4, v6, v3
	s_delay_alu instid0(VALU_DEP_1) | instskip(NEXT) | instid1(VALU_DEP_1)
	v_fma_f32 v2, -v2, v4, v5
	v_div_fmas_f32 v2, v2, v3, v4
	s_delay_alu instid0(VALU_DEP_1) | instskip(NEXT) | instid1(VALU_DEP_1)
	v_div_fixup_f32 v2, v2, v1, v0
	v_fmac_f32_e32 v1, v0, v2
	s_delay_alu instid0(VALU_DEP_1) | instskip(SKIP_1) | instid1(VALU_DEP_2)
	v_div_scale_f32 v0, null, v1, v1, 1.0
	v_div_scale_f32 v5, vcc_lo, 1.0, v1, 1.0
	v_rcp_f32_e32 v3, v0
	v_nop
	s_delay_alu instid0(TRANS32_DEP_1) | instskip(NEXT) | instid1(VALU_DEP_1)
	v_fma_f32 v4, -v0, v3, 1.0
	v_fmac_f32_e32 v3, v4, v3
	s_delay_alu instid0(VALU_DEP_1) | instskip(NEXT) | instid1(VALU_DEP_1)
	v_mul_f32_e32 v4, v5, v3
	v_fma_f32 v6, -v0, v4, v5
	s_delay_alu instid0(VALU_DEP_1) | instskip(NEXT) | instid1(VALU_DEP_1)
	v_fmac_f32_e32 v4, v6, v3
	v_fma_f32 v0, -v0, v4, v5
	s_delay_alu instid0(VALU_DEP_1) | instskip(NEXT) | instid1(VALU_DEP_1)
	v_div_fmas_f32 v0, v0, v3, v4
	v_div_fixup_f32 v0, v0, v1, 1.0
	s_delay_alu instid0(VALU_DEP_1)
	v_mul_f32_e32 v2, v2, v0
	v_xor_b32_e32 v3, 0x80000000, v0
                                        ; implicit-def: $vgpr0_vgpr1
.LBB109_77:
	s_and_not1_saveexec_b32 s1, s1
	s_cbranch_execz .LBB109_79
; %bb.78:
	v_div_scale_f32 v2, null, v0, v0, v1
	v_div_scale_f32 v5, vcc_lo, v1, v0, v1
	s_delay_alu instid0(VALU_DEP_2) | instskip(SKIP_1) | instid1(TRANS32_DEP_1)
	v_rcp_f32_e32 v3, v2
	v_nop
	v_fma_f32 v4, -v2, v3, 1.0
	s_delay_alu instid0(VALU_DEP_1) | instskip(NEXT) | instid1(VALU_DEP_1)
	v_fmac_f32_e32 v3, v4, v3
	v_mul_f32_e32 v4, v5, v3
	s_delay_alu instid0(VALU_DEP_1) | instskip(NEXT) | instid1(VALU_DEP_1)
	v_fma_f32 v6, -v2, v4, v5
	v_fmac_f32_e32 v4, v6, v3
	s_delay_alu instid0(VALU_DEP_1) | instskip(NEXT) | instid1(VALU_DEP_1)
	v_fma_f32 v2, -v2, v4, v5
	v_div_fmas_f32 v2, v2, v3, v4
	s_delay_alu instid0(VALU_DEP_1) | instskip(NEXT) | instid1(VALU_DEP_1)
	v_div_fixup_f32 v3, v2, v0, v1
	v_fmac_f32_e32 v0, v1, v3
	s_delay_alu instid0(VALU_DEP_1) | instskip(NEXT) | instid1(VALU_DEP_1)
	v_div_scale_f32 v1, null, v0, v0, 1.0
	v_rcp_f32_e32 v2, v1
	v_nop
	s_delay_alu instid0(TRANS32_DEP_1) | instskip(NEXT) | instid1(VALU_DEP_1)
	v_fma_f32 v4, -v1, v2, 1.0
	v_fmac_f32_e32 v2, v4, v2
	v_div_scale_f32 v4, vcc_lo, 1.0, v0, 1.0
	s_delay_alu instid0(VALU_DEP_1) | instskip(NEXT) | instid1(VALU_DEP_1)
	v_mul_f32_e32 v5, v4, v2
	v_fma_f32 v6, -v1, v5, v4
	s_delay_alu instid0(VALU_DEP_1) | instskip(NEXT) | instid1(VALU_DEP_1)
	v_fmac_f32_e32 v5, v6, v2
	v_fma_f32 v1, -v1, v5, v4
	s_delay_alu instid0(VALU_DEP_1) | instskip(NEXT) | instid1(VALU_DEP_1)
	v_div_fmas_f32 v1, v1, v2, v5
	v_div_fixup_f32 v2, v1, v0, 1.0
	s_delay_alu instid0(VALU_DEP_1)
	v_mul_f32_e64 v3, v3, -v2
.LBB109_79:
	s_or_b32 exec_lo, exec_lo, s1
	ds_store_b64 v153, v[2:3]
.LBB109_80:
	s_or_b32 exec_lo, exec_lo, s2
	s_wait_dscnt 0x0
	s_barrier_signal -1
	s_barrier_wait -1
	ds_load_b64 v[0:1], v153
	s_mov_b32 s1, exec_lo
	s_wait_dscnt 0x0
	scratch_store_b64 off, v[0:1], off offset:272 ; 8-byte Folded Spill
	s_wait_xcnt 0x0
	v_cmpx_lt_u32_e32 8, v152
	s_cbranch_execz .LBB109_82
; %bb.81:
	scratch_load_b64 v[4:5], off, off offset:272 ; 8-byte Folded Reload
	s_wait_loadcnt 0x0
	v_pk_mul_f32 v[2:3], v[4:5], v[40:41] op_sel:[1,1] op_sel_hi:[0,1]
	s_delay_alu instid0(VALU_DEP_1)
	v_pk_fma_f32 v[0:1], v[4:5], v[40:41], v[2:3] op_sel_hi:[1,0,1] neg_lo:[0,0,1] neg_hi:[0,0,1]
	v_pk_fma_f32 v[2:3], v[4:5], v[40:41], v[2:3] op_sel_hi:[1,0,1]
	ds_load_2addr_b64 v[4:7], v154 offset0:9 offset1:10
	v_dual_mov_b32 v40, v0 :: v_dual_mov_b32 v41, v3
	s_wait_dscnt 0x0
	v_pk_mul_f32 v[8:9], v[4:5], v[2:3] op_sel:[0,1]
	s_delay_alu instid0(VALU_DEP_1) | instskip(SKIP_1) | instid1(VALU_DEP_1)
	v_pk_fma_f32 v[10:11], v[4:5], v[0:1], v[8:9] op_sel:[0,0,1] op_sel_hi:[1,1,0] neg_lo:[0,0,1] neg_hi:[0,0,1]
	v_pk_fma_f32 v[4:5], v[4:5], v[0:1], v[8:9] op_sel:[0,0,1] op_sel_hi:[1,0,0]
	v_mov_b32_e32 v11, v5
	v_pk_mul_f32 v[4:5], v[6:7], v[2:3] op_sel:[0,1]
	s_delay_alu instid0(VALU_DEP_1) | instskip(SKIP_1) | instid1(VALU_DEP_1)
	v_pk_fma_f32 v[8:9], v[6:7], v[0:1], v[4:5] op_sel:[0,0,1] op_sel_hi:[1,1,0] neg_lo:[0,0,1] neg_hi:[0,0,1]
	v_pk_fma_f32 v[4:5], v[6:7], v[0:1], v[4:5] op_sel:[0,0,1] op_sel_hi:[1,0,0]
	v_mov_b32_e32 v9, v5
	ds_load_2addr_b64 v[4:7], v154 offset0:11 offset1:12
	v_pk_add_f32 v[36:37], v[36:37], v[10:11] neg_lo:[0,1] neg_hi:[0,1]
	v_pk_add_f32 v[38:39], v[38:39], v[8:9] neg_lo:[0,1] neg_hi:[0,1]
	s_wait_dscnt 0x0
	v_pk_mul_f32 v[8:9], v[4:5], v[2:3] op_sel:[0,1]
	s_delay_alu instid0(VALU_DEP_1) | instskip(SKIP_2) | instid1(VALU_DEP_2)
	v_pk_fma_f32 v[10:11], v[4:5], v[0:1], v[8:9] op_sel:[0,0,1] op_sel_hi:[1,1,0] neg_lo:[0,0,1] neg_hi:[0,0,1]
	v_pk_fma_f32 v[4:5], v[4:5], v[0:1], v[8:9] op_sel:[0,0,1] op_sel_hi:[1,0,0]
	v_dual_mul_f32 v8, v7, v3 :: v_dual_mov_b32 v4, v7
	v_dual_mov_b32 v11, v5 :: v_dual_mov_b32 v5, v6
	s_delay_alu instid0(VALU_DEP_2) | instskip(SKIP_1) | instid1(VALU_DEP_3)
	v_pk_fma_f32 v[8:9], v[6:7], v[40:41], v[8:9] op_sel_hi:[1,1,0] neg_lo:[0,0,1] neg_hi:[0,0,1]
	v_mul_f32_e32 v6, v7, v0
	v_pk_add_f32 v[34:35], v[34:35], v[10:11] neg_lo:[0,1] neg_hi:[0,1]
	s_delay_alu instid0(VALU_DEP_2) | instskip(NEXT) | instid1(VALU_DEP_1)
	v_pk_fma_f32 v[4:5], v[4:5], v[40:41], v[6:7] op_sel_hi:[1,1,0]
	v_mov_b32_e32 v9, v5
	ds_load_2addr_b64 v[4:7], v154 offset0:13 offset1:14
	v_pk_add_f32 v[64:65], v[64:65], v[8:9] neg_lo:[0,1] neg_hi:[0,1]
	s_wait_dscnt 0x0
	v_pk_mul_f32 v[8:9], v[4:5], v[2:3] op_sel:[0,1]
	s_delay_alu instid0(VALU_DEP_1) | instskip(SKIP_1) | instid1(VALU_DEP_1)
	v_pk_fma_f32 v[10:11], v[4:5], v[0:1], v[8:9] op_sel:[0,0,1] op_sel_hi:[1,1,0] neg_lo:[0,0,1] neg_hi:[0,0,1]
	v_pk_fma_f32 v[4:5], v[4:5], v[0:1], v[8:9] op_sel:[0,0,1] op_sel_hi:[1,0,0]
	v_mov_b32_e32 v11, v5
	v_pk_mul_f32 v[4:5], v[6:7], v[2:3] op_sel:[0,1]
	s_delay_alu instid0(VALU_DEP_1) | instskip(SKIP_1) | instid1(VALU_DEP_1)
	v_pk_fma_f32 v[8:9], v[6:7], v[0:1], v[4:5] op_sel:[0,0,1] op_sel_hi:[1,1,0] neg_lo:[0,0,1] neg_hi:[0,0,1]
	v_pk_fma_f32 v[4:5], v[6:7], v[0:1], v[4:5] op_sel:[0,0,1] op_sel_hi:[1,0,0]
	v_mov_b32_e32 v9, v5
	ds_load_2addr_b64 v[4:7], v154 offset0:15 offset1:16
	v_pk_add_f32 v[60:61], v[60:61], v[10:11] neg_lo:[0,1] neg_hi:[0,1]
	v_pk_add_f32 v[62:63], v[62:63], v[8:9] neg_lo:[0,1] neg_hi:[0,1]
	s_wait_dscnt 0x0
	v_pk_mul_f32 v[8:9], v[4:5], v[2:3] op_sel:[0,1]
	s_delay_alu instid0(VALU_DEP_1) | instskip(SKIP_1) | instid1(VALU_DEP_1)
	v_pk_fma_f32 v[10:11], v[4:5], v[0:1], v[8:9] op_sel:[0,0,1] op_sel_hi:[1,1,0] neg_lo:[0,0,1] neg_hi:[0,0,1]
	v_pk_fma_f32 v[4:5], v[4:5], v[0:1], v[8:9] op_sel:[0,0,1] op_sel_hi:[1,0,0]
	v_mov_b32_e32 v11, v5
	v_pk_mul_f32 v[4:5], v[6:7], v[2:3] op_sel:[0,1]
	s_delay_alu instid0(VALU_DEP_1) | instskip(SKIP_1) | instid1(VALU_DEP_1)
	v_pk_fma_f32 v[8:9], v[6:7], v[0:1], v[4:5] op_sel:[0,0,1] op_sel_hi:[1,1,0] neg_lo:[0,0,1] neg_hi:[0,0,1]
	v_pk_fma_f32 v[4:5], v[6:7], v[0:1], v[4:5] op_sel:[0,0,1] op_sel_hi:[1,0,0]
	v_mov_b32_e32 v9, v5
	ds_load_2addr_b64 v[4:7], v154 offset0:17 offset1:18
	v_pk_add_f32 v[58:59], v[58:59], v[10:11] neg_lo:[0,1] neg_hi:[0,1]
	v_pk_add_f32 v[80:81], v[80:81], v[8:9] neg_lo:[0,1] neg_hi:[0,1]
	s_wait_dscnt 0x0
	v_dual_mul_f32 v8, v5, v3 :: v_dual_mul_f32 v10, v5, v0
	s_delay_alu instid0(VALU_DEP_1) | instskip(NEXT) | instid1(VALU_DEP_2)
	v_pk_fma_f32 v[8:9], v[4:5], v[40:41], v[8:9] op_sel_hi:[1,1,0] neg_lo:[0,0,1] neg_hi:[0,0,1]
	v_pk_fma_f32 v[4:5], v[4:5], v[40:41], v[10:11] op_sel:[1,0,0] op_sel_hi:[0,1,0]
	s_delay_alu instid0(VALU_DEP_1) | instskip(SKIP_1) | instid1(VALU_DEP_2)
	v_mov_b32_e32 v9, v5
	v_pk_mul_f32 v[4:5], v[6:7], v[2:3] op_sel:[0,1]
	v_pk_add_f32 v[76:77], v[76:77], v[8:9] neg_lo:[0,1] neg_hi:[0,1]
	s_delay_alu instid0(VALU_DEP_2) | instskip(SKIP_1) | instid1(VALU_DEP_1)
	v_pk_fma_f32 v[8:9], v[6:7], v[0:1], v[4:5] op_sel:[0,0,1] op_sel_hi:[1,1,0] neg_lo:[0,0,1] neg_hi:[0,0,1]
	v_pk_fma_f32 v[4:5], v[6:7], v[0:1], v[4:5] op_sel:[0,0,1] op_sel_hi:[1,0,0]
	v_mov_b32_e32 v9, v5
	ds_load_2addr_b64 v[4:7], v154 offset0:19 offset1:20
	v_pk_add_f32 v[78:79], v[78:79], v[8:9] neg_lo:[0,1] neg_hi:[0,1]
	s_wait_dscnt 0x0
	v_pk_mul_f32 v[8:9], v[4:5], v[2:3] op_sel:[0,1]
	s_delay_alu instid0(VALU_DEP_1) | instskip(SKIP_1) | instid1(VALU_DEP_1)
	v_pk_fma_f32 v[10:11], v[4:5], v[0:1], v[8:9] op_sel:[0,0,1] op_sel_hi:[1,1,0] neg_lo:[0,0,1] neg_hi:[0,0,1]
	v_pk_fma_f32 v[4:5], v[4:5], v[0:1], v[8:9] op_sel:[0,0,1] op_sel_hi:[1,0,0]
	v_mov_b32_e32 v11, v5
	v_pk_mul_f32 v[4:5], v[6:7], v[2:3] op_sel:[0,1]
	s_delay_alu instid0(VALU_DEP_2) | instskip(NEXT) | instid1(VALU_DEP_2)
	v_pk_add_f32 v[74:75], v[74:75], v[10:11] neg_lo:[0,1] neg_hi:[0,1]
	v_pk_fma_f32 v[8:9], v[6:7], v[0:1], v[4:5] op_sel:[0,0,1] op_sel_hi:[1,1,0] neg_lo:[0,0,1] neg_hi:[0,0,1]
	v_pk_fma_f32 v[4:5], v[6:7], v[0:1], v[4:5] op_sel:[0,0,1] op_sel_hi:[1,0,0]
	s_delay_alu instid0(VALU_DEP_1) | instskip(SKIP_4) | instid1(VALU_DEP_1)
	v_mov_b32_e32 v9, v5
	ds_load_2addr_b64 v[4:7], v154 offset0:21 offset1:22
	v_pk_add_f32 v[96:97], v[96:97], v[8:9] neg_lo:[0,1] neg_hi:[0,1]
	s_wait_dscnt 0x0
	v_pk_mul_f32 v[8:9], v[4:5], v[2:3] op_sel:[0,1]
	v_pk_fma_f32 v[10:11], v[4:5], v[0:1], v[8:9] op_sel:[0,0,1] op_sel_hi:[1,1,0] neg_lo:[0,0,1] neg_hi:[0,0,1]
	v_pk_fma_f32 v[4:5], v[4:5], v[0:1], v[8:9] op_sel:[0,0,1] op_sel_hi:[1,0,0]
	v_dual_mul_f32 v8, v7, v3 :: v_dual_mov_b32 v4, v7
	s_delay_alu instid0(VALU_DEP_2) | instskip(NEXT) | instid1(VALU_DEP_2)
	v_dual_mov_b32 v11, v5 :: v_dual_mov_b32 v5, v6
	v_pk_fma_f32 v[8:9], v[6:7], v[40:41], v[8:9] op_sel_hi:[1,1,0] neg_lo:[0,0,1] neg_hi:[0,0,1]
	v_mul_f32_e32 v6, v7, v0
	s_delay_alu instid0(VALU_DEP_3) | instskip(NEXT) | instid1(VALU_DEP_2)
	v_pk_add_f32 v[92:93], v[92:93], v[10:11] neg_lo:[0,1] neg_hi:[0,1]
	v_pk_fma_f32 v[4:5], v[4:5], v[40:41], v[6:7] op_sel_hi:[1,1,0]
	s_delay_alu instid0(VALU_DEP_1) | instskip(SKIP_4) | instid1(VALU_DEP_1)
	v_mov_b32_e32 v9, v5
	ds_load_2addr_b64 v[4:7], v154 offset0:23 offset1:24
	v_pk_add_f32 v[94:95], v[94:95], v[8:9] neg_lo:[0,1] neg_hi:[0,1]
	s_wait_dscnt 0x0
	v_pk_mul_f32 v[8:9], v[4:5], v[2:3] op_sel:[0,1]
	v_pk_fma_f32 v[10:11], v[4:5], v[0:1], v[8:9] op_sel:[0,0,1] op_sel_hi:[1,1,0] neg_lo:[0,0,1] neg_hi:[0,0,1]
	v_pk_fma_f32 v[4:5], v[4:5], v[0:1], v[8:9] op_sel:[0,0,1] op_sel_hi:[1,0,0]
	s_delay_alu instid0(VALU_DEP_1) | instskip(SKIP_1) | instid1(VALU_DEP_1)
	v_mov_b32_e32 v11, v5
	v_pk_mul_f32 v[4:5], v[6:7], v[2:3] op_sel:[0,1]
	v_pk_fma_f32 v[8:9], v[6:7], v[0:1], v[4:5] op_sel:[0,0,1] op_sel_hi:[1,1,0] neg_lo:[0,0,1] neg_hi:[0,0,1]
	v_pk_fma_f32 v[4:5], v[6:7], v[0:1], v[4:5] op_sel:[0,0,1] op_sel_hi:[1,0,0]
	s_delay_alu instid0(VALU_DEP_1)
	v_mov_b32_e32 v9, v5
	ds_load_2addr_b64 v[4:7], v154 offset0:25 offset1:26
	v_pk_add_f32 v[90:91], v[90:91], v[10:11] neg_lo:[0,1] neg_hi:[0,1]
	v_pk_add_f32 v[114:115], v[114:115], v[8:9] neg_lo:[0,1] neg_hi:[0,1]
	s_wait_dscnt 0x0
	v_pk_mul_f32 v[8:9], v[4:5], v[2:3] op_sel:[0,1]
	s_delay_alu instid0(VALU_DEP_1) | instskip(SKIP_1) | instid1(VALU_DEP_1)
	v_pk_fma_f32 v[10:11], v[4:5], v[0:1], v[8:9] op_sel:[0,0,1] op_sel_hi:[1,1,0] neg_lo:[0,0,1] neg_hi:[0,0,1]
	v_pk_fma_f32 v[4:5], v[4:5], v[0:1], v[8:9] op_sel:[0,0,1] op_sel_hi:[1,0,0]
	v_mov_b32_e32 v11, v5
	v_pk_mul_f32 v[4:5], v[6:7], v[2:3] op_sel:[0,1]
	s_delay_alu instid0(VALU_DEP_1) | instskip(SKIP_1) | instid1(VALU_DEP_1)
	v_pk_fma_f32 v[8:9], v[6:7], v[0:1], v[4:5] op_sel:[0,0,1] op_sel_hi:[1,1,0] neg_lo:[0,0,1] neg_hi:[0,0,1]
	v_pk_fma_f32 v[4:5], v[6:7], v[0:1], v[4:5] op_sel:[0,0,1] op_sel_hi:[1,0,0]
	v_mov_b32_e32 v9, v5
	ds_load_2addr_b64 v[4:7], v154 offset0:27 offset1:28
	v_pk_add_f32 v[110:111], v[110:111], v[10:11] neg_lo:[0,1] neg_hi:[0,1]
	v_pk_add_f32 v[112:113], v[112:113], v[8:9] neg_lo:[0,1] neg_hi:[0,1]
	s_wait_dscnt 0x0
	v_dual_mul_f32 v8, v5, v3 :: v_dual_mul_f32 v10, v5, v0
	s_delay_alu instid0(VALU_DEP_1) | instskip(NEXT) | instid1(VALU_DEP_2)
	v_pk_fma_f32 v[8:9], v[4:5], v[40:41], v[8:9] op_sel_hi:[1,1,0] neg_lo:[0,0,1] neg_hi:[0,0,1]
	v_pk_fma_f32 v[4:5], v[4:5], v[40:41], v[10:11] op_sel:[1,0,0] op_sel_hi:[0,1,0]
	s_delay_alu instid0(VALU_DEP_1) | instskip(SKIP_1) | instid1(VALU_DEP_2)
	v_mov_b32_e32 v9, v5
	v_pk_mul_f32 v[4:5], v[6:7], v[2:3] op_sel:[0,1]
	v_pk_add_f32 v[108:109], v[108:109], v[8:9] neg_lo:[0,1] neg_hi:[0,1]
	s_delay_alu instid0(VALU_DEP_2) | instskip(SKIP_1) | instid1(VALU_DEP_1)
	v_pk_fma_f32 v[8:9], v[6:7], v[0:1], v[4:5] op_sel:[0,0,1] op_sel_hi:[1,1,0] neg_lo:[0,0,1] neg_hi:[0,0,1]
	v_pk_fma_f32 v[4:5], v[6:7], v[0:1], v[4:5] op_sel:[0,0,1] op_sel_hi:[1,0,0]
	v_mov_b32_e32 v9, v5
	ds_load_2addr_b64 v[4:7], v154 offset0:29 offset1:30
	v_pk_add_f32 v[130:131], v[130:131], v[8:9] neg_lo:[0,1] neg_hi:[0,1]
	s_wait_dscnt 0x0
	v_pk_mul_f32 v[8:9], v[4:5], v[2:3] op_sel:[0,1]
	s_delay_alu instid0(VALU_DEP_1) | instskip(SKIP_1) | instid1(VALU_DEP_1)
	v_pk_fma_f32 v[10:11], v[4:5], v[0:1], v[8:9] op_sel:[0,0,1] op_sel_hi:[1,1,0] neg_lo:[0,0,1] neg_hi:[0,0,1]
	v_pk_fma_f32 v[4:5], v[4:5], v[0:1], v[8:9] op_sel:[0,0,1] op_sel_hi:[1,0,0]
	v_mov_b32_e32 v11, v5
	v_pk_mul_f32 v[4:5], v[6:7], v[2:3] op_sel:[0,1]
	s_delay_alu instid0(VALU_DEP_2) | instskip(NEXT) | instid1(VALU_DEP_2)
	v_pk_add_f32 v[126:127], v[126:127], v[10:11] neg_lo:[0,1] neg_hi:[0,1]
	v_pk_fma_f32 v[8:9], v[6:7], v[0:1], v[4:5] op_sel:[0,0,1] op_sel_hi:[1,1,0] neg_lo:[0,0,1] neg_hi:[0,0,1]
	v_pk_fma_f32 v[4:5], v[6:7], v[0:1], v[4:5] op_sel:[0,0,1] op_sel_hi:[1,0,0]
	s_delay_alu instid0(VALU_DEP_1) | instskip(SKIP_4) | instid1(VALU_DEP_1)
	v_mov_b32_e32 v9, v5
	ds_load_2addr_b64 v[4:7], v154 offset0:31 offset1:32
	v_pk_add_f32 v[128:129], v[128:129], v[8:9] neg_lo:[0,1] neg_hi:[0,1]
	s_wait_dscnt 0x0
	v_pk_mul_f32 v[8:9], v[4:5], v[2:3] op_sel:[0,1]
	v_pk_fma_f32 v[10:11], v[4:5], v[0:1], v[8:9] op_sel:[0,0,1] op_sel_hi:[1,1,0] neg_lo:[0,0,1] neg_hi:[0,0,1]
	v_pk_fma_f32 v[4:5], v[4:5], v[0:1], v[8:9] op_sel:[0,0,1] op_sel_hi:[1,0,0]
	v_dual_mul_f32 v8, v7, v3 :: v_dual_mov_b32 v4, v7
	s_delay_alu instid0(VALU_DEP_2) | instskip(NEXT) | instid1(VALU_DEP_2)
	v_dual_mov_b32 v11, v5 :: v_dual_mov_b32 v5, v6
	v_pk_fma_f32 v[8:9], v[6:7], v[40:41], v[8:9] op_sel_hi:[1,1,0] neg_lo:[0,0,1] neg_hi:[0,0,1]
	v_mul_f32_e32 v6, v7, v0
	s_delay_alu instid0(VALU_DEP_3) | instskip(NEXT) | instid1(VALU_DEP_2)
	v_pk_add_f32 v[124:125], v[124:125], v[10:11] neg_lo:[0,1] neg_hi:[0,1]
	v_pk_fma_f32 v[4:5], v[4:5], v[40:41], v[6:7] op_sel_hi:[1,1,0]
	s_delay_alu instid0(VALU_DEP_1) | instskip(SKIP_4) | instid1(VALU_DEP_1)
	v_mov_b32_e32 v9, v5
	ds_load_2addr_b64 v[4:7], v154 offset0:33 offset1:34
	v_pk_add_f32 v[146:147], v[146:147], v[8:9] neg_lo:[0,1] neg_hi:[0,1]
	s_wait_dscnt 0x0
	v_pk_mul_f32 v[8:9], v[4:5], v[2:3] op_sel:[0,1]
	v_pk_fma_f32 v[10:11], v[4:5], v[0:1], v[8:9] op_sel:[0,0,1] op_sel_hi:[1,1,0] neg_lo:[0,0,1] neg_hi:[0,0,1]
	v_pk_fma_f32 v[4:5], v[4:5], v[0:1], v[8:9] op_sel:[0,0,1] op_sel_hi:[1,0,0]
	s_delay_alu instid0(VALU_DEP_1) | instskip(SKIP_1) | instid1(VALU_DEP_1)
	v_mov_b32_e32 v11, v5
	v_pk_mul_f32 v[4:5], v[6:7], v[2:3] op_sel:[0,1]
	v_pk_fma_f32 v[8:9], v[6:7], v[0:1], v[4:5] op_sel:[0,0,1] op_sel_hi:[1,1,0] neg_lo:[0,0,1] neg_hi:[0,0,1]
	v_pk_fma_f32 v[4:5], v[6:7], v[0:1], v[4:5] op_sel:[0,0,1] op_sel_hi:[1,0,0]
	s_delay_alu instid0(VALU_DEP_1)
	v_mov_b32_e32 v9, v5
	ds_load_2addr_b64 v[4:7], v154 offset0:35 offset1:36
	v_pk_add_f32 v[142:143], v[142:143], v[10:11] neg_lo:[0,1] neg_hi:[0,1]
	v_pk_add_f32 v[144:145], v[144:145], v[8:9] neg_lo:[0,1] neg_hi:[0,1]
	s_wait_dscnt 0x0
	v_pk_mul_f32 v[8:9], v[4:5], v[2:3] op_sel:[0,1]
	s_delay_alu instid0(VALU_DEP_1) | instskip(SKIP_1) | instid1(VALU_DEP_1)
	v_pk_fma_f32 v[10:11], v[4:5], v[0:1], v[8:9] op_sel:[0,0,1] op_sel_hi:[1,1,0] neg_lo:[0,0,1] neg_hi:[0,0,1]
	v_pk_fma_f32 v[4:5], v[4:5], v[0:1], v[8:9] op_sel:[0,0,1] op_sel_hi:[1,0,0]
	v_mov_b32_e32 v11, v5
	v_pk_mul_f32 v[4:5], v[6:7], v[2:3] op_sel:[0,1]
	s_delay_alu instid0(VALU_DEP_1) | instskip(SKIP_1) | instid1(VALU_DEP_1)
	v_pk_fma_f32 v[8:9], v[6:7], v[0:1], v[4:5] op_sel:[0,0,1] op_sel_hi:[1,1,0] neg_lo:[0,0,1] neg_hi:[0,0,1]
	v_pk_fma_f32 v[4:5], v[6:7], v[0:1], v[4:5] op_sel:[0,0,1] op_sel_hi:[1,0,0]
	v_mov_b32_e32 v9, v5
	ds_load_2addr_b64 v[4:7], v154 offset0:37 offset1:38
	v_pk_add_f32 v[140:141], v[140:141], v[10:11] neg_lo:[0,1] neg_hi:[0,1]
	v_pk_add_f32 v[162:163], v[162:163], v[8:9] neg_lo:[0,1] neg_hi:[0,1]
	s_wait_dscnt 0x0
	v_dual_mul_f32 v8, v5, v3 :: v_dual_mul_f32 v10, v5, v0
	s_delay_alu instid0(VALU_DEP_1) | instskip(NEXT) | instid1(VALU_DEP_2)
	v_pk_fma_f32 v[8:9], v[4:5], v[40:41], v[8:9] op_sel_hi:[1,1,0] neg_lo:[0,0,1] neg_hi:[0,0,1]
	v_pk_fma_f32 v[4:5], v[4:5], v[40:41], v[10:11] op_sel:[1,0,0] op_sel_hi:[0,1,0]
	s_delay_alu instid0(VALU_DEP_1) | instskip(SKIP_1) | instid1(VALU_DEP_2)
	v_mov_b32_e32 v9, v5
	v_pk_mul_f32 v[4:5], v[6:7], v[2:3] op_sel:[0,1]
	v_pk_add_f32 v[158:159], v[158:159], v[8:9] neg_lo:[0,1] neg_hi:[0,1]
	s_delay_alu instid0(VALU_DEP_2) | instskip(SKIP_1) | instid1(VALU_DEP_1)
	v_pk_fma_f32 v[8:9], v[6:7], v[0:1], v[4:5] op_sel:[0,0,1] op_sel_hi:[1,1,0] neg_lo:[0,0,1] neg_hi:[0,0,1]
	v_pk_fma_f32 v[4:5], v[6:7], v[0:1], v[4:5] op_sel:[0,0,1] op_sel_hi:[1,0,0]
	v_mov_b32_e32 v9, v5
	ds_load_2addr_b64 v[4:7], v154 offset0:39 offset1:40
	v_pk_add_f32 v[160:161], v[160:161], v[8:9] neg_lo:[0,1] neg_hi:[0,1]
	s_wait_dscnt 0x0
	v_pk_mul_f32 v[8:9], v[4:5], v[2:3] op_sel:[0,1]
	s_delay_alu instid0(VALU_DEP_1) | instskip(SKIP_1) | instid1(VALU_DEP_1)
	v_pk_fma_f32 v[10:11], v[4:5], v[0:1], v[8:9] op_sel:[0,0,1] op_sel_hi:[1,1,0] neg_lo:[0,0,1] neg_hi:[0,0,1]
	v_pk_fma_f32 v[4:5], v[4:5], v[0:1], v[8:9] op_sel:[0,0,1] op_sel_hi:[1,0,0]
	v_mov_b32_e32 v11, v5
	v_pk_mul_f32 v[4:5], v[6:7], v[2:3] op_sel:[0,1]
	s_delay_alu instid0(VALU_DEP_2) | instskip(NEXT) | instid1(VALU_DEP_2)
	v_pk_add_f32 v[156:157], v[156:157], v[10:11] neg_lo:[0,1] neg_hi:[0,1]
	v_pk_fma_f32 v[8:9], v[6:7], v[0:1], v[4:5] op_sel:[0,0,1] op_sel_hi:[1,1,0] neg_lo:[0,0,1] neg_hi:[0,0,1]
	v_pk_fma_f32 v[4:5], v[6:7], v[0:1], v[4:5] op_sel:[0,0,1] op_sel_hi:[1,0,0]
	s_delay_alu instid0(VALU_DEP_1) | instskip(SKIP_4) | instid1(VALU_DEP_1)
	v_mov_b32_e32 v9, v5
	ds_load_2addr_b64 v[4:7], v154 offset0:41 offset1:42
	v_pk_add_f32 v[178:179], v[178:179], v[8:9] neg_lo:[0,1] neg_hi:[0,1]
	s_wait_dscnt 0x0
	v_pk_mul_f32 v[8:9], v[4:5], v[2:3] op_sel:[0,1]
	v_pk_fma_f32 v[10:11], v[4:5], v[0:1], v[8:9] op_sel:[0,0,1] op_sel_hi:[1,1,0] neg_lo:[0,0,1] neg_hi:[0,0,1]
	v_pk_fma_f32 v[4:5], v[4:5], v[0:1], v[8:9] op_sel:[0,0,1] op_sel_hi:[1,0,0]
	v_dual_mul_f32 v8, v7, v3 :: v_dual_mov_b32 v4, v7
	s_delay_alu instid0(VALU_DEP_2) | instskip(NEXT) | instid1(VALU_DEP_2)
	v_dual_mov_b32 v11, v5 :: v_dual_mov_b32 v5, v6
	v_pk_fma_f32 v[8:9], v[6:7], v[40:41], v[8:9] op_sel_hi:[1,1,0] neg_lo:[0,0,1] neg_hi:[0,0,1]
	v_mul_f32_e32 v6, v7, v0
	s_delay_alu instid0(VALU_DEP_3) | instskip(NEXT) | instid1(VALU_DEP_2)
	v_pk_add_f32 v[174:175], v[174:175], v[10:11] neg_lo:[0,1] neg_hi:[0,1]
	v_pk_fma_f32 v[4:5], v[4:5], v[40:41], v[6:7] op_sel_hi:[1,1,0]
	s_delay_alu instid0(VALU_DEP_1) | instskip(SKIP_4) | instid1(VALU_DEP_1)
	v_mov_b32_e32 v9, v5
	ds_load_2addr_b64 v[4:7], v154 offset0:43 offset1:44
	v_pk_add_f32 v[176:177], v[176:177], v[8:9] neg_lo:[0,1] neg_hi:[0,1]
	s_wait_dscnt 0x0
	v_pk_mul_f32 v[8:9], v[4:5], v[2:3] op_sel:[0,1]
	v_pk_fma_f32 v[10:11], v[4:5], v[0:1], v[8:9] op_sel:[0,0,1] op_sel_hi:[1,1,0] neg_lo:[0,0,1] neg_hi:[0,0,1]
	v_pk_fma_f32 v[4:5], v[4:5], v[0:1], v[8:9] op_sel:[0,0,1] op_sel_hi:[1,0,0]
	s_delay_alu instid0(VALU_DEP_1) | instskip(SKIP_1) | instid1(VALU_DEP_1)
	v_mov_b32_e32 v11, v5
	v_pk_mul_f32 v[4:5], v[6:7], v[2:3] op_sel:[0,1]
	v_pk_fma_f32 v[8:9], v[6:7], v[0:1], v[4:5] op_sel:[0,0,1] op_sel_hi:[1,1,0] neg_lo:[0,0,1] neg_hi:[0,0,1]
	v_pk_fma_f32 v[4:5], v[6:7], v[0:1], v[4:5] op_sel:[0,0,1] op_sel_hi:[1,0,0]
	s_delay_alu instid0(VALU_DEP_1)
	v_mov_b32_e32 v9, v5
	ds_load_2addr_b64 v[4:7], v154 offset0:45 offset1:46
	v_pk_add_f32 v[172:173], v[172:173], v[10:11] neg_lo:[0,1] neg_hi:[0,1]
	v_pk_add_f32 v[196:197], v[196:197], v[8:9] neg_lo:[0,1] neg_hi:[0,1]
	s_wait_dscnt 0x0
	v_pk_mul_f32 v[8:9], v[4:5], v[2:3] op_sel:[0,1]
	s_delay_alu instid0(VALU_DEP_1) | instskip(SKIP_1) | instid1(VALU_DEP_1)
	v_pk_fma_f32 v[10:11], v[4:5], v[0:1], v[8:9] op_sel:[0,0,1] op_sel_hi:[1,1,0] neg_lo:[0,0,1] neg_hi:[0,0,1]
	v_pk_fma_f32 v[4:5], v[4:5], v[0:1], v[8:9] op_sel:[0,0,1] op_sel_hi:[1,0,0]
	v_mov_b32_e32 v11, v5
	v_pk_mul_f32 v[4:5], v[6:7], v[2:3] op_sel:[0,1]
	s_delay_alu instid0(VALU_DEP_1) | instskip(SKIP_1) | instid1(VALU_DEP_1)
	v_pk_fma_f32 v[8:9], v[6:7], v[0:1], v[4:5] op_sel:[0,0,1] op_sel_hi:[1,1,0] neg_lo:[0,0,1] neg_hi:[0,0,1]
	v_pk_fma_f32 v[4:5], v[6:7], v[0:1], v[4:5] op_sel:[0,0,1] op_sel_hi:[1,0,0]
	v_mov_b32_e32 v9, v5
	ds_load_2addr_b64 v[4:7], v154 offset0:47 offset1:48
	v_pk_add_f32 v[192:193], v[192:193], v[10:11] neg_lo:[0,1] neg_hi:[0,1]
	v_pk_add_f32 v[194:195], v[194:195], v[8:9] neg_lo:[0,1] neg_hi:[0,1]
	s_wait_dscnt 0x0
	v_dual_mul_f32 v8, v5, v3 :: v_dual_mul_f32 v10, v5, v0
	s_delay_alu instid0(VALU_DEP_1) | instskip(NEXT) | instid1(VALU_DEP_2)
	v_pk_fma_f32 v[8:9], v[4:5], v[40:41], v[8:9] op_sel_hi:[1,1,0] neg_lo:[0,0,1] neg_hi:[0,0,1]
	v_pk_fma_f32 v[4:5], v[4:5], v[40:41], v[10:11] op_sel:[1,0,0] op_sel_hi:[0,1,0]
	s_delay_alu instid0(VALU_DEP_1) | instskip(SKIP_1) | instid1(VALU_DEP_2)
	v_mov_b32_e32 v9, v5
	v_pk_mul_f32 v[4:5], v[6:7], v[2:3] op_sel:[0,1]
	v_pk_add_f32 v[190:191], v[190:191], v[8:9] neg_lo:[0,1] neg_hi:[0,1]
	s_delay_alu instid0(VALU_DEP_2) | instskip(SKIP_1) | instid1(VALU_DEP_1)
	v_pk_fma_f32 v[8:9], v[6:7], v[0:1], v[4:5] op_sel:[0,0,1] op_sel_hi:[1,1,0] neg_lo:[0,0,1] neg_hi:[0,0,1]
	v_pk_fma_f32 v[4:5], v[6:7], v[0:1], v[4:5] op_sel:[0,0,1] op_sel_hi:[1,0,0]
	v_mov_b32_e32 v9, v5
	ds_load_2addr_b64 v[4:7], v154 offset0:49 offset1:50
	v_pk_add_f32 v[216:217], v[216:217], v[8:9] neg_lo:[0,1] neg_hi:[0,1]
	s_wait_dscnt 0x0
	v_pk_mul_f32 v[8:9], v[4:5], v[2:3] op_sel:[0,1]
	s_delay_alu instid0(VALU_DEP_1) | instskip(SKIP_1) | instid1(VALU_DEP_1)
	v_pk_fma_f32 v[10:11], v[4:5], v[0:1], v[8:9] op_sel:[0,0,1] op_sel_hi:[1,1,0] neg_lo:[0,0,1] neg_hi:[0,0,1]
	v_pk_fma_f32 v[4:5], v[4:5], v[0:1], v[8:9] op_sel:[0,0,1] op_sel_hi:[1,0,0]
	v_mov_b32_e32 v11, v5
	v_pk_mul_f32 v[4:5], v[6:7], v[2:3] op_sel:[0,1]
	s_delay_alu instid0(VALU_DEP_2) | instskip(NEXT) | instid1(VALU_DEP_2)
	v_pk_add_f32 v[210:211], v[210:211], v[10:11] neg_lo:[0,1] neg_hi:[0,1]
	v_pk_fma_f32 v[8:9], v[6:7], v[0:1], v[4:5] op_sel:[0,0,1] op_sel_hi:[1,1,0] neg_lo:[0,0,1] neg_hi:[0,0,1]
	v_pk_fma_f32 v[4:5], v[6:7], v[0:1], v[4:5] op_sel:[0,0,1] op_sel_hi:[1,0,0]
	s_delay_alu instid0(VALU_DEP_1) | instskip(SKIP_4) | instid1(VALU_DEP_1)
	v_mov_b32_e32 v9, v5
	ds_load_2addr_b64 v[4:7], v154 offset0:51 offset1:52
	v_pk_add_f32 v[214:215], v[214:215], v[8:9] neg_lo:[0,1] neg_hi:[0,1]
	s_wait_dscnt 0x0
	v_pk_mul_f32 v[8:9], v[4:5], v[2:3] op_sel:[0,1]
	v_pk_fma_f32 v[10:11], v[4:5], v[0:1], v[8:9] op_sel:[0,0,1] op_sel_hi:[1,1,0] neg_lo:[0,0,1] neg_hi:[0,0,1]
	v_pk_fma_f32 v[4:5], v[4:5], v[0:1], v[8:9] op_sel:[0,0,1] op_sel_hi:[1,0,0]
	v_dual_mul_f32 v8, v7, v3 :: v_dual_mov_b32 v4, v7
	s_delay_alu instid0(VALU_DEP_2) | instskip(NEXT) | instid1(VALU_DEP_2)
	v_dual_mov_b32 v11, v5 :: v_dual_mov_b32 v5, v6
	v_pk_fma_f32 v[8:9], v[6:7], v[40:41], v[8:9] op_sel_hi:[1,1,0] neg_lo:[0,0,1] neg_hi:[0,0,1]
	v_mul_f32_e32 v6, v7, v0
	s_delay_alu instid0(VALU_DEP_3) | instskip(NEXT) | instid1(VALU_DEP_2)
	v_pk_add_f32 v[208:209], v[208:209], v[10:11] neg_lo:[0,1] neg_hi:[0,1]
	v_pk_fma_f32 v[4:5], v[4:5], v[40:41], v[6:7] op_sel_hi:[1,1,0]
	s_delay_alu instid0(VALU_DEP_1)
	v_mov_b32_e32 v9, v5
	ds_load_2addr_b64 v[4:7], v154 offset0:53 offset1:54
	v_pk_add_f32 v[212:213], v[212:213], v[8:9] neg_lo:[0,1] neg_hi:[0,1]
	s_wait_dscnt 0x0
	v_pk_mul_f32 v[8:9], v[4:5], v[2:3] op_sel:[0,1]
	v_pk_mul_f32 v[2:3], v[6:7], v[2:3] op_sel:[0,1]
	s_delay_alu instid0(VALU_DEP_2) | instskip(SKIP_1) | instid1(VALU_DEP_1)
	v_pk_fma_f32 v[10:11], v[4:5], v[0:1], v[8:9] op_sel:[0,0,1] op_sel_hi:[1,1,0] neg_lo:[0,0,1] neg_hi:[0,0,1]
	v_pk_fma_f32 v[4:5], v[4:5], v[0:1], v[8:9] op_sel:[0,0,1] op_sel_hi:[1,0,0]
	v_mov_b32_e32 v11, v5
	s_delay_alu instid0(VALU_DEP_4) | instskip(SKIP_1) | instid1(VALU_DEP_1)
	v_pk_fma_f32 v[4:5], v[6:7], v[0:1], v[2:3] op_sel:[0,0,1] op_sel_hi:[1,1,0] neg_lo:[0,0,1] neg_hi:[0,0,1]
	v_pk_fma_f32 v[0:1], v[6:7], v[0:1], v[2:3] op_sel:[0,0,1] op_sel_hi:[1,0,0]
	v_mov_b32_e32 v5, v1
	s_delay_alu instid0(VALU_DEP_4) | instskip(NEXT) | instid1(VALU_DEP_2)
	v_pk_add_f32 v[218:219], v[218:219], v[10:11] neg_lo:[0,1] neg_hi:[0,1]
	v_pk_add_f32 v[220:221], v[220:221], v[4:5] neg_lo:[0,1] neg_hi:[0,1]
.LBB109_82:
	s_wait_xcnt 0x0
	s_or_b32 exec_lo, exec_lo, s1
	s_delay_alu instid0(SALU_CYCLE_1)
	s_mov_b32 s2, exec_lo
	s_wait_storecnt 0x0
	s_barrier_signal -1
	s_barrier_wait -1
	v_cmpx_eq_u32_e32 9, v152
	s_cbranch_execz .LBB109_89
; %bb.83:
	v_dual_mov_b32 v0, v38 :: v_dual_mov_b32 v1, v39
	v_dual_mov_b32 v2, v34 :: v_dual_mov_b32 v3, v35
	ds_store_b64 v153, v[36:37]
	ds_store_2addr_b64 v154, v[0:1], v[2:3] offset0:10 offset1:11
	v_dual_mov_b32 v0, v64 :: v_dual_mov_b32 v1, v65
	v_dual_mov_b32 v2, v60 :: v_dual_mov_b32 v3, v61
	ds_store_2addr_b64 v154, v[0:1], v[2:3] offset0:12 offset1:13
	v_dual_mov_b32 v0, v62 :: v_dual_mov_b32 v1, v63
	v_dual_mov_b32 v2, v58 :: v_dual_mov_b32 v3, v59
	;; [unrolled: 3-line block ×21, first 2 shown]
	ds_store_2addr_b64 v154, v[0:1], v[2:3] offset0:52 offset1:53
	ds_store_b64 v154, v[220:221] offset:432
	ds_load_b64 v[0:1], v153
	s_wait_dscnt 0x0
	v_cmp_neq_f32_e32 vcc_lo, 0, v0
	v_cmp_neq_f32_e64 s1, 0, v1
	s_or_b32 s1, vcc_lo, s1
	s_delay_alu instid0(SALU_CYCLE_1)
	s_and_b32 exec_lo, exec_lo, s1
	s_cbranch_execz .LBB109_89
; %bb.84:
	v_cmp_ngt_f32_e64 s1, |v0|, |v1|
                                        ; implicit-def: $vgpr2_vgpr3
	s_and_saveexec_b32 s4, s1
	s_delay_alu instid0(SALU_CYCLE_1)
	s_xor_b32 s1, exec_lo, s4
	s_cbranch_execz .LBB109_86
; %bb.85:
	v_div_scale_f32 v2, null, v1, v1, v0
	v_div_scale_f32 v5, vcc_lo, v0, v1, v0
	s_delay_alu instid0(VALU_DEP_2) | instskip(SKIP_1) | instid1(TRANS32_DEP_1)
	v_rcp_f32_e32 v3, v2
	v_nop
	v_fma_f32 v4, -v2, v3, 1.0
	s_delay_alu instid0(VALU_DEP_1) | instskip(NEXT) | instid1(VALU_DEP_1)
	v_fmac_f32_e32 v3, v4, v3
	v_mul_f32_e32 v4, v5, v3
	s_delay_alu instid0(VALU_DEP_1) | instskip(NEXT) | instid1(VALU_DEP_1)
	v_fma_f32 v6, -v2, v4, v5
	v_fmac_f32_e32 v4, v6, v3
	s_delay_alu instid0(VALU_DEP_1) | instskip(NEXT) | instid1(VALU_DEP_1)
	v_fma_f32 v2, -v2, v4, v5
	v_div_fmas_f32 v2, v2, v3, v4
	s_delay_alu instid0(VALU_DEP_1) | instskip(NEXT) | instid1(VALU_DEP_1)
	v_div_fixup_f32 v2, v2, v1, v0
	v_fmac_f32_e32 v1, v0, v2
	s_delay_alu instid0(VALU_DEP_1) | instskip(SKIP_1) | instid1(VALU_DEP_2)
	v_div_scale_f32 v0, null, v1, v1, 1.0
	v_div_scale_f32 v5, vcc_lo, 1.0, v1, 1.0
	v_rcp_f32_e32 v3, v0
	v_nop
	s_delay_alu instid0(TRANS32_DEP_1) | instskip(NEXT) | instid1(VALU_DEP_1)
	v_fma_f32 v4, -v0, v3, 1.0
	v_fmac_f32_e32 v3, v4, v3
	s_delay_alu instid0(VALU_DEP_1) | instskip(NEXT) | instid1(VALU_DEP_1)
	v_mul_f32_e32 v4, v5, v3
	v_fma_f32 v6, -v0, v4, v5
	s_delay_alu instid0(VALU_DEP_1) | instskip(NEXT) | instid1(VALU_DEP_1)
	v_fmac_f32_e32 v4, v6, v3
	v_fma_f32 v0, -v0, v4, v5
	s_delay_alu instid0(VALU_DEP_1) | instskip(NEXT) | instid1(VALU_DEP_1)
	v_div_fmas_f32 v0, v0, v3, v4
	v_div_fixup_f32 v0, v0, v1, 1.0
	s_delay_alu instid0(VALU_DEP_1)
	v_mul_f32_e32 v2, v2, v0
	v_xor_b32_e32 v3, 0x80000000, v0
                                        ; implicit-def: $vgpr0_vgpr1
.LBB109_86:
	s_and_not1_saveexec_b32 s1, s1
	s_cbranch_execz .LBB109_88
; %bb.87:
	v_div_scale_f32 v2, null, v0, v0, v1
	v_div_scale_f32 v5, vcc_lo, v1, v0, v1
	s_delay_alu instid0(VALU_DEP_2) | instskip(SKIP_1) | instid1(TRANS32_DEP_1)
	v_rcp_f32_e32 v3, v2
	v_nop
	v_fma_f32 v4, -v2, v3, 1.0
	s_delay_alu instid0(VALU_DEP_1) | instskip(NEXT) | instid1(VALU_DEP_1)
	v_fmac_f32_e32 v3, v4, v3
	v_mul_f32_e32 v4, v5, v3
	s_delay_alu instid0(VALU_DEP_1) | instskip(NEXT) | instid1(VALU_DEP_1)
	v_fma_f32 v6, -v2, v4, v5
	v_fmac_f32_e32 v4, v6, v3
	s_delay_alu instid0(VALU_DEP_1) | instskip(NEXT) | instid1(VALU_DEP_1)
	v_fma_f32 v2, -v2, v4, v5
	v_div_fmas_f32 v2, v2, v3, v4
	s_delay_alu instid0(VALU_DEP_1) | instskip(NEXT) | instid1(VALU_DEP_1)
	v_div_fixup_f32 v3, v2, v0, v1
	v_fmac_f32_e32 v0, v1, v3
	s_delay_alu instid0(VALU_DEP_1) | instskip(NEXT) | instid1(VALU_DEP_1)
	v_div_scale_f32 v1, null, v0, v0, 1.0
	v_rcp_f32_e32 v2, v1
	v_nop
	s_delay_alu instid0(TRANS32_DEP_1) | instskip(NEXT) | instid1(VALU_DEP_1)
	v_fma_f32 v4, -v1, v2, 1.0
	v_fmac_f32_e32 v2, v4, v2
	v_div_scale_f32 v4, vcc_lo, 1.0, v0, 1.0
	s_delay_alu instid0(VALU_DEP_1) | instskip(NEXT) | instid1(VALU_DEP_1)
	v_mul_f32_e32 v5, v4, v2
	v_fma_f32 v6, -v1, v5, v4
	s_delay_alu instid0(VALU_DEP_1) | instskip(NEXT) | instid1(VALU_DEP_1)
	v_fmac_f32_e32 v5, v6, v2
	v_fma_f32 v1, -v1, v5, v4
	s_delay_alu instid0(VALU_DEP_1) | instskip(NEXT) | instid1(VALU_DEP_1)
	v_div_fmas_f32 v1, v1, v2, v5
	v_div_fixup_f32 v2, v1, v0, 1.0
	s_delay_alu instid0(VALU_DEP_1)
	v_mul_f32_e64 v3, v3, -v2
.LBB109_88:
	s_or_b32 exec_lo, exec_lo, s1
	ds_store_b64 v153, v[2:3]
.LBB109_89:
	s_or_b32 exec_lo, exec_lo, s2
	s_wait_dscnt 0x0
	s_barrier_signal -1
	s_barrier_wait -1
	ds_load_b64 v[0:1], v153
	s_mov_b32 s1, exec_lo
	s_wait_dscnt 0x0
	scratch_store_b64 off, v[0:1], off offset:280 ; 8-byte Folded Spill
	s_wait_xcnt 0x0
	v_cmpx_lt_u32_e32 9, v152
	s_cbranch_execz .LBB109_91
; %bb.90:
	scratch_load_b64 v[4:5], off, off offset:280 ; 8-byte Folded Reload
	s_wait_loadcnt 0x0
	v_pk_mul_f32 v[2:3], v[4:5], v[36:37] op_sel:[1,1] op_sel_hi:[0,1]
	s_delay_alu instid0(VALU_DEP_1)
	v_pk_fma_f32 v[0:1], v[4:5], v[36:37], v[2:3] op_sel_hi:[1,0,1] neg_lo:[0,0,1] neg_hi:[0,0,1]
	v_pk_fma_f32 v[2:3], v[4:5], v[36:37], v[2:3] op_sel_hi:[1,0,1]
	ds_load_2addr_b64 v[4:7], v154 offset0:10 offset1:11
	v_dual_mov_b32 v36, v0 :: v_dual_mov_b32 v37, v3
	s_wait_dscnt 0x0
	v_pk_mul_f32 v[8:9], v[4:5], v[2:3] op_sel:[0,1]
	s_delay_alu instid0(VALU_DEP_1) | instskip(SKIP_1) | instid1(VALU_DEP_1)
	v_pk_fma_f32 v[10:11], v[4:5], v[0:1], v[8:9] op_sel:[0,0,1] op_sel_hi:[1,1,0] neg_lo:[0,0,1] neg_hi:[0,0,1]
	v_pk_fma_f32 v[4:5], v[4:5], v[0:1], v[8:9] op_sel:[0,0,1] op_sel_hi:[1,0,0]
	v_mov_b32_e32 v11, v5
	v_pk_mul_f32 v[4:5], v[6:7], v[2:3] op_sel:[0,1]
	s_delay_alu instid0(VALU_DEP_1) | instskip(SKIP_1) | instid1(VALU_DEP_1)
	v_pk_fma_f32 v[8:9], v[6:7], v[0:1], v[4:5] op_sel:[0,0,1] op_sel_hi:[1,1,0] neg_lo:[0,0,1] neg_hi:[0,0,1]
	v_pk_fma_f32 v[4:5], v[6:7], v[0:1], v[4:5] op_sel:[0,0,1] op_sel_hi:[1,0,0]
	v_mov_b32_e32 v9, v5
	ds_load_2addr_b64 v[4:7], v154 offset0:12 offset1:13
	v_pk_add_f32 v[38:39], v[38:39], v[10:11] neg_lo:[0,1] neg_hi:[0,1]
	v_pk_add_f32 v[34:35], v[34:35], v[8:9] neg_lo:[0,1] neg_hi:[0,1]
	s_wait_dscnt 0x0
	v_pk_mul_f32 v[8:9], v[4:5], v[2:3] op_sel:[0,1]
	s_delay_alu instid0(VALU_DEP_1) | instskip(SKIP_2) | instid1(VALU_DEP_2)
	v_pk_fma_f32 v[10:11], v[4:5], v[0:1], v[8:9] op_sel:[0,0,1] op_sel_hi:[1,1,0] neg_lo:[0,0,1] neg_hi:[0,0,1]
	v_pk_fma_f32 v[4:5], v[4:5], v[0:1], v[8:9] op_sel:[0,0,1] op_sel_hi:[1,0,0]
	v_dual_mul_f32 v8, v7, v3 :: v_dual_mov_b32 v4, v7
	v_dual_mov_b32 v11, v5 :: v_dual_mov_b32 v5, v6
	s_delay_alu instid0(VALU_DEP_2) | instskip(SKIP_1) | instid1(VALU_DEP_3)
	v_pk_fma_f32 v[8:9], v[6:7], v[36:37], v[8:9] op_sel_hi:[1,1,0] neg_lo:[0,0,1] neg_hi:[0,0,1]
	v_mul_f32_e32 v6, v7, v0
	v_pk_add_f32 v[64:65], v[64:65], v[10:11] neg_lo:[0,1] neg_hi:[0,1]
	s_delay_alu instid0(VALU_DEP_2) | instskip(NEXT) | instid1(VALU_DEP_1)
	v_pk_fma_f32 v[4:5], v[4:5], v[36:37], v[6:7] op_sel_hi:[1,1,0]
	v_mov_b32_e32 v9, v5
	ds_load_2addr_b64 v[4:7], v154 offset0:14 offset1:15
	v_pk_add_f32 v[60:61], v[60:61], v[8:9] neg_lo:[0,1] neg_hi:[0,1]
	s_wait_dscnt 0x0
	v_pk_mul_f32 v[8:9], v[4:5], v[2:3] op_sel:[0,1]
	s_delay_alu instid0(VALU_DEP_1) | instskip(SKIP_1) | instid1(VALU_DEP_1)
	v_pk_fma_f32 v[10:11], v[4:5], v[0:1], v[8:9] op_sel:[0,0,1] op_sel_hi:[1,1,0] neg_lo:[0,0,1] neg_hi:[0,0,1]
	v_pk_fma_f32 v[4:5], v[4:5], v[0:1], v[8:9] op_sel:[0,0,1] op_sel_hi:[1,0,0]
	v_mov_b32_e32 v11, v5
	v_pk_mul_f32 v[4:5], v[6:7], v[2:3] op_sel:[0,1]
	s_delay_alu instid0(VALU_DEP_1) | instskip(SKIP_1) | instid1(VALU_DEP_1)
	v_pk_fma_f32 v[8:9], v[6:7], v[0:1], v[4:5] op_sel:[0,0,1] op_sel_hi:[1,1,0] neg_lo:[0,0,1] neg_hi:[0,0,1]
	v_pk_fma_f32 v[4:5], v[6:7], v[0:1], v[4:5] op_sel:[0,0,1] op_sel_hi:[1,0,0]
	v_mov_b32_e32 v9, v5
	ds_load_2addr_b64 v[4:7], v154 offset0:16 offset1:17
	v_pk_add_f32 v[62:63], v[62:63], v[10:11] neg_lo:[0,1] neg_hi:[0,1]
	v_pk_add_f32 v[58:59], v[58:59], v[8:9] neg_lo:[0,1] neg_hi:[0,1]
	s_wait_dscnt 0x0
	v_pk_mul_f32 v[8:9], v[4:5], v[2:3] op_sel:[0,1]
	s_delay_alu instid0(VALU_DEP_1) | instskip(SKIP_1) | instid1(VALU_DEP_1)
	v_pk_fma_f32 v[10:11], v[4:5], v[0:1], v[8:9] op_sel:[0,0,1] op_sel_hi:[1,1,0] neg_lo:[0,0,1] neg_hi:[0,0,1]
	v_pk_fma_f32 v[4:5], v[4:5], v[0:1], v[8:9] op_sel:[0,0,1] op_sel_hi:[1,0,0]
	v_mov_b32_e32 v11, v5
	v_pk_mul_f32 v[4:5], v[6:7], v[2:3] op_sel:[0,1]
	s_delay_alu instid0(VALU_DEP_1) | instskip(SKIP_1) | instid1(VALU_DEP_1)
	v_pk_fma_f32 v[8:9], v[6:7], v[0:1], v[4:5] op_sel:[0,0,1] op_sel_hi:[1,1,0] neg_lo:[0,0,1] neg_hi:[0,0,1]
	v_pk_fma_f32 v[4:5], v[6:7], v[0:1], v[4:5] op_sel:[0,0,1] op_sel_hi:[1,0,0]
	v_mov_b32_e32 v9, v5
	ds_load_2addr_b64 v[4:7], v154 offset0:18 offset1:19
	v_pk_add_f32 v[80:81], v[80:81], v[10:11] neg_lo:[0,1] neg_hi:[0,1]
	v_pk_add_f32 v[76:77], v[76:77], v[8:9] neg_lo:[0,1] neg_hi:[0,1]
	s_wait_dscnt 0x0
	v_dual_mul_f32 v8, v5, v3 :: v_dual_mul_f32 v10, v5, v0
	s_delay_alu instid0(VALU_DEP_1) | instskip(NEXT) | instid1(VALU_DEP_2)
	v_pk_fma_f32 v[8:9], v[4:5], v[36:37], v[8:9] op_sel_hi:[1,1,0] neg_lo:[0,0,1] neg_hi:[0,0,1]
	v_pk_fma_f32 v[4:5], v[4:5], v[36:37], v[10:11] op_sel:[1,0,0] op_sel_hi:[0,1,0]
	s_delay_alu instid0(VALU_DEP_1) | instskip(SKIP_1) | instid1(VALU_DEP_2)
	v_mov_b32_e32 v9, v5
	v_pk_mul_f32 v[4:5], v[6:7], v[2:3] op_sel:[0,1]
	v_pk_add_f32 v[78:79], v[78:79], v[8:9] neg_lo:[0,1] neg_hi:[0,1]
	s_delay_alu instid0(VALU_DEP_2) | instskip(SKIP_1) | instid1(VALU_DEP_1)
	v_pk_fma_f32 v[8:9], v[6:7], v[0:1], v[4:5] op_sel:[0,0,1] op_sel_hi:[1,1,0] neg_lo:[0,0,1] neg_hi:[0,0,1]
	v_pk_fma_f32 v[4:5], v[6:7], v[0:1], v[4:5] op_sel:[0,0,1] op_sel_hi:[1,0,0]
	v_mov_b32_e32 v9, v5
	ds_load_2addr_b64 v[4:7], v154 offset0:20 offset1:21
	v_pk_add_f32 v[74:75], v[74:75], v[8:9] neg_lo:[0,1] neg_hi:[0,1]
	s_wait_dscnt 0x0
	v_pk_mul_f32 v[8:9], v[4:5], v[2:3] op_sel:[0,1]
	s_delay_alu instid0(VALU_DEP_1) | instskip(SKIP_1) | instid1(VALU_DEP_1)
	v_pk_fma_f32 v[10:11], v[4:5], v[0:1], v[8:9] op_sel:[0,0,1] op_sel_hi:[1,1,0] neg_lo:[0,0,1] neg_hi:[0,0,1]
	v_pk_fma_f32 v[4:5], v[4:5], v[0:1], v[8:9] op_sel:[0,0,1] op_sel_hi:[1,0,0]
	v_mov_b32_e32 v11, v5
	v_pk_mul_f32 v[4:5], v[6:7], v[2:3] op_sel:[0,1]
	s_delay_alu instid0(VALU_DEP_2) | instskip(NEXT) | instid1(VALU_DEP_2)
	v_pk_add_f32 v[96:97], v[96:97], v[10:11] neg_lo:[0,1] neg_hi:[0,1]
	v_pk_fma_f32 v[8:9], v[6:7], v[0:1], v[4:5] op_sel:[0,0,1] op_sel_hi:[1,1,0] neg_lo:[0,0,1] neg_hi:[0,0,1]
	v_pk_fma_f32 v[4:5], v[6:7], v[0:1], v[4:5] op_sel:[0,0,1] op_sel_hi:[1,0,0]
	s_delay_alu instid0(VALU_DEP_1) | instskip(SKIP_4) | instid1(VALU_DEP_1)
	v_mov_b32_e32 v9, v5
	ds_load_2addr_b64 v[4:7], v154 offset0:22 offset1:23
	v_pk_add_f32 v[92:93], v[92:93], v[8:9] neg_lo:[0,1] neg_hi:[0,1]
	s_wait_dscnt 0x0
	v_pk_mul_f32 v[8:9], v[4:5], v[2:3] op_sel:[0,1]
	v_pk_fma_f32 v[10:11], v[4:5], v[0:1], v[8:9] op_sel:[0,0,1] op_sel_hi:[1,1,0] neg_lo:[0,0,1] neg_hi:[0,0,1]
	v_pk_fma_f32 v[4:5], v[4:5], v[0:1], v[8:9] op_sel:[0,0,1] op_sel_hi:[1,0,0]
	v_dual_mul_f32 v8, v7, v3 :: v_dual_mov_b32 v4, v7
	s_delay_alu instid0(VALU_DEP_2) | instskip(NEXT) | instid1(VALU_DEP_2)
	v_dual_mov_b32 v11, v5 :: v_dual_mov_b32 v5, v6
	v_pk_fma_f32 v[8:9], v[6:7], v[36:37], v[8:9] op_sel_hi:[1,1,0] neg_lo:[0,0,1] neg_hi:[0,0,1]
	v_mul_f32_e32 v6, v7, v0
	s_delay_alu instid0(VALU_DEP_3) | instskip(NEXT) | instid1(VALU_DEP_2)
	v_pk_add_f32 v[94:95], v[94:95], v[10:11] neg_lo:[0,1] neg_hi:[0,1]
	v_pk_fma_f32 v[4:5], v[4:5], v[36:37], v[6:7] op_sel_hi:[1,1,0]
	s_delay_alu instid0(VALU_DEP_1) | instskip(SKIP_4) | instid1(VALU_DEP_1)
	v_mov_b32_e32 v9, v5
	ds_load_2addr_b64 v[4:7], v154 offset0:24 offset1:25
	v_pk_add_f32 v[90:91], v[90:91], v[8:9] neg_lo:[0,1] neg_hi:[0,1]
	s_wait_dscnt 0x0
	v_pk_mul_f32 v[8:9], v[4:5], v[2:3] op_sel:[0,1]
	v_pk_fma_f32 v[10:11], v[4:5], v[0:1], v[8:9] op_sel:[0,0,1] op_sel_hi:[1,1,0] neg_lo:[0,0,1] neg_hi:[0,0,1]
	v_pk_fma_f32 v[4:5], v[4:5], v[0:1], v[8:9] op_sel:[0,0,1] op_sel_hi:[1,0,0]
	s_delay_alu instid0(VALU_DEP_1) | instskip(SKIP_1) | instid1(VALU_DEP_1)
	v_mov_b32_e32 v11, v5
	v_pk_mul_f32 v[4:5], v[6:7], v[2:3] op_sel:[0,1]
	v_pk_fma_f32 v[8:9], v[6:7], v[0:1], v[4:5] op_sel:[0,0,1] op_sel_hi:[1,1,0] neg_lo:[0,0,1] neg_hi:[0,0,1]
	v_pk_fma_f32 v[4:5], v[6:7], v[0:1], v[4:5] op_sel:[0,0,1] op_sel_hi:[1,0,0]
	s_delay_alu instid0(VALU_DEP_1)
	v_mov_b32_e32 v9, v5
	ds_load_2addr_b64 v[4:7], v154 offset0:26 offset1:27
	v_pk_add_f32 v[114:115], v[114:115], v[10:11] neg_lo:[0,1] neg_hi:[0,1]
	v_pk_add_f32 v[110:111], v[110:111], v[8:9] neg_lo:[0,1] neg_hi:[0,1]
	s_wait_dscnt 0x0
	v_pk_mul_f32 v[8:9], v[4:5], v[2:3] op_sel:[0,1]
	s_delay_alu instid0(VALU_DEP_1) | instskip(SKIP_1) | instid1(VALU_DEP_1)
	v_pk_fma_f32 v[10:11], v[4:5], v[0:1], v[8:9] op_sel:[0,0,1] op_sel_hi:[1,1,0] neg_lo:[0,0,1] neg_hi:[0,0,1]
	v_pk_fma_f32 v[4:5], v[4:5], v[0:1], v[8:9] op_sel:[0,0,1] op_sel_hi:[1,0,0]
	v_mov_b32_e32 v11, v5
	v_pk_mul_f32 v[4:5], v[6:7], v[2:3] op_sel:[0,1]
	s_delay_alu instid0(VALU_DEP_1) | instskip(SKIP_1) | instid1(VALU_DEP_1)
	v_pk_fma_f32 v[8:9], v[6:7], v[0:1], v[4:5] op_sel:[0,0,1] op_sel_hi:[1,1,0] neg_lo:[0,0,1] neg_hi:[0,0,1]
	v_pk_fma_f32 v[4:5], v[6:7], v[0:1], v[4:5] op_sel:[0,0,1] op_sel_hi:[1,0,0]
	v_mov_b32_e32 v9, v5
	ds_load_2addr_b64 v[4:7], v154 offset0:28 offset1:29
	v_pk_add_f32 v[112:113], v[112:113], v[10:11] neg_lo:[0,1] neg_hi:[0,1]
	v_pk_add_f32 v[108:109], v[108:109], v[8:9] neg_lo:[0,1] neg_hi:[0,1]
	s_wait_dscnt 0x0
	v_dual_mul_f32 v8, v5, v3 :: v_dual_mul_f32 v10, v5, v0
	s_delay_alu instid0(VALU_DEP_1) | instskip(NEXT) | instid1(VALU_DEP_2)
	v_pk_fma_f32 v[8:9], v[4:5], v[36:37], v[8:9] op_sel_hi:[1,1,0] neg_lo:[0,0,1] neg_hi:[0,0,1]
	v_pk_fma_f32 v[4:5], v[4:5], v[36:37], v[10:11] op_sel:[1,0,0] op_sel_hi:[0,1,0]
	s_delay_alu instid0(VALU_DEP_1) | instskip(SKIP_1) | instid1(VALU_DEP_2)
	v_mov_b32_e32 v9, v5
	v_pk_mul_f32 v[4:5], v[6:7], v[2:3] op_sel:[0,1]
	v_pk_add_f32 v[130:131], v[130:131], v[8:9] neg_lo:[0,1] neg_hi:[0,1]
	s_delay_alu instid0(VALU_DEP_2) | instskip(SKIP_1) | instid1(VALU_DEP_1)
	v_pk_fma_f32 v[8:9], v[6:7], v[0:1], v[4:5] op_sel:[0,0,1] op_sel_hi:[1,1,0] neg_lo:[0,0,1] neg_hi:[0,0,1]
	v_pk_fma_f32 v[4:5], v[6:7], v[0:1], v[4:5] op_sel:[0,0,1] op_sel_hi:[1,0,0]
	v_mov_b32_e32 v9, v5
	ds_load_2addr_b64 v[4:7], v154 offset0:30 offset1:31
	v_pk_add_f32 v[126:127], v[126:127], v[8:9] neg_lo:[0,1] neg_hi:[0,1]
	s_wait_dscnt 0x0
	v_pk_mul_f32 v[8:9], v[4:5], v[2:3] op_sel:[0,1]
	s_delay_alu instid0(VALU_DEP_1) | instskip(SKIP_1) | instid1(VALU_DEP_1)
	v_pk_fma_f32 v[10:11], v[4:5], v[0:1], v[8:9] op_sel:[0,0,1] op_sel_hi:[1,1,0] neg_lo:[0,0,1] neg_hi:[0,0,1]
	v_pk_fma_f32 v[4:5], v[4:5], v[0:1], v[8:9] op_sel:[0,0,1] op_sel_hi:[1,0,0]
	v_mov_b32_e32 v11, v5
	v_pk_mul_f32 v[4:5], v[6:7], v[2:3] op_sel:[0,1]
	s_delay_alu instid0(VALU_DEP_2) | instskip(NEXT) | instid1(VALU_DEP_2)
	v_pk_add_f32 v[128:129], v[128:129], v[10:11] neg_lo:[0,1] neg_hi:[0,1]
	v_pk_fma_f32 v[8:9], v[6:7], v[0:1], v[4:5] op_sel:[0,0,1] op_sel_hi:[1,1,0] neg_lo:[0,0,1] neg_hi:[0,0,1]
	v_pk_fma_f32 v[4:5], v[6:7], v[0:1], v[4:5] op_sel:[0,0,1] op_sel_hi:[1,0,0]
	s_delay_alu instid0(VALU_DEP_1) | instskip(SKIP_4) | instid1(VALU_DEP_1)
	v_mov_b32_e32 v9, v5
	ds_load_2addr_b64 v[4:7], v154 offset0:32 offset1:33
	v_pk_add_f32 v[124:125], v[124:125], v[8:9] neg_lo:[0,1] neg_hi:[0,1]
	s_wait_dscnt 0x0
	v_pk_mul_f32 v[8:9], v[4:5], v[2:3] op_sel:[0,1]
	v_pk_fma_f32 v[10:11], v[4:5], v[0:1], v[8:9] op_sel:[0,0,1] op_sel_hi:[1,1,0] neg_lo:[0,0,1] neg_hi:[0,0,1]
	v_pk_fma_f32 v[4:5], v[4:5], v[0:1], v[8:9] op_sel:[0,0,1] op_sel_hi:[1,0,0]
	v_dual_mul_f32 v8, v7, v3 :: v_dual_mov_b32 v4, v7
	s_delay_alu instid0(VALU_DEP_2) | instskip(NEXT) | instid1(VALU_DEP_2)
	v_dual_mov_b32 v11, v5 :: v_dual_mov_b32 v5, v6
	v_pk_fma_f32 v[8:9], v[6:7], v[36:37], v[8:9] op_sel_hi:[1,1,0] neg_lo:[0,0,1] neg_hi:[0,0,1]
	v_mul_f32_e32 v6, v7, v0
	s_delay_alu instid0(VALU_DEP_3) | instskip(NEXT) | instid1(VALU_DEP_2)
	v_pk_add_f32 v[146:147], v[146:147], v[10:11] neg_lo:[0,1] neg_hi:[0,1]
	v_pk_fma_f32 v[4:5], v[4:5], v[36:37], v[6:7] op_sel_hi:[1,1,0]
	s_delay_alu instid0(VALU_DEP_1) | instskip(SKIP_4) | instid1(VALU_DEP_1)
	v_mov_b32_e32 v9, v5
	ds_load_2addr_b64 v[4:7], v154 offset0:34 offset1:35
	v_pk_add_f32 v[142:143], v[142:143], v[8:9] neg_lo:[0,1] neg_hi:[0,1]
	s_wait_dscnt 0x0
	v_pk_mul_f32 v[8:9], v[4:5], v[2:3] op_sel:[0,1]
	v_pk_fma_f32 v[10:11], v[4:5], v[0:1], v[8:9] op_sel:[0,0,1] op_sel_hi:[1,1,0] neg_lo:[0,0,1] neg_hi:[0,0,1]
	v_pk_fma_f32 v[4:5], v[4:5], v[0:1], v[8:9] op_sel:[0,0,1] op_sel_hi:[1,0,0]
	s_delay_alu instid0(VALU_DEP_1) | instskip(SKIP_1) | instid1(VALU_DEP_1)
	v_mov_b32_e32 v11, v5
	v_pk_mul_f32 v[4:5], v[6:7], v[2:3] op_sel:[0,1]
	v_pk_fma_f32 v[8:9], v[6:7], v[0:1], v[4:5] op_sel:[0,0,1] op_sel_hi:[1,1,0] neg_lo:[0,0,1] neg_hi:[0,0,1]
	v_pk_fma_f32 v[4:5], v[6:7], v[0:1], v[4:5] op_sel:[0,0,1] op_sel_hi:[1,0,0]
	s_delay_alu instid0(VALU_DEP_1)
	v_mov_b32_e32 v9, v5
	ds_load_2addr_b64 v[4:7], v154 offset0:36 offset1:37
	v_pk_add_f32 v[144:145], v[144:145], v[10:11] neg_lo:[0,1] neg_hi:[0,1]
	v_pk_add_f32 v[140:141], v[140:141], v[8:9] neg_lo:[0,1] neg_hi:[0,1]
	s_wait_dscnt 0x0
	v_pk_mul_f32 v[8:9], v[4:5], v[2:3] op_sel:[0,1]
	s_delay_alu instid0(VALU_DEP_1) | instskip(SKIP_1) | instid1(VALU_DEP_1)
	v_pk_fma_f32 v[10:11], v[4:5], v[0:1], v[8:9] op_sel:[0,0,1] op_sel_hi:[1,1,0] neg_lo:[0,0,1] neg_hi:[0,0,1]
	v_pk_fma_f32 v[4:5], v[4:5], v[0:1], v[8:9] op_sel:[0,0,1] op_sel_hi:[1,0,0]
	v_mov_b32_e32 v11, v5
	v_pk_mul_f32 v[4:5], v[6:7], v[2:3] op_sel:[0,1]
	s_delay_alu instid0(VALU_DEP_1) | instskip(SKIP_1) | instid1(VALU_DEP_1)
	v_pk_fma_f32 v[8:9], v[6:7], v[0:1], v[4:5] op_sel:[0,0,1] op_sel_hi:[1,1,0] neg_lo:[0,0,1] neg_hi:[0,0,1]
	v_pk_fma_f32 v[4:5], v[6:7], v[0:1], v[4:5] op_sel:[0,0,1] op_sel_hi:[1,0,0]
	v_mov_b32_e32 v9, v5
	ds_load_2addr_b64 v[4:7], v154 offset0:38 offset1:39
	v_pk_add_f32 v[162:163], v[162:163], v[10:11] neg_lo:[0,1] neg_hi:[0,1]
	v_pk_add_f32 v[158:159], v[158:159], v[8:9] neg_lo:[0,1] neg_hi:[0,1]
	s_wait_dscnt 0x0
	v_dual_mul_f32 v8, v5, v3 :: v_dual_mul_f32 v10, v5, v0
	s_delay_alu instid0(VALU_DEP_1) | instskip(NEXT) | instid1(VALU_DEP_2)
	v_pk_fma_f32 v[8:9], v[4:5], v[36:37], v[8:9] op_sel_hi:[1,1,0] neg_lo:[0,0,1] neg_hi:[0,0,1]
	v_pk_fma_f32 v[4:5], v[4:5], v[36:37], v[10:11] op_sel:[1,0,0] op_sel_hi:[0,1,0]
	s_delay_alu instid0(VALU_DEP_1) | instskip(SKIP_1) | instid1(VALU_DEP_2)
	v_mov_b32_e32 v9, v5
	v_pk_mul_f32 v[4:5], v[6:7], v[2:3] op_sel:[0,1]
	v_pk_add_f32 v[160:161], v[160:161], v[8:9] neg_lo:[0,1] neg_hi:[0,1]
	s_delay_alu instid0(VALU_DEP_2) | instskip(SKIP_1) | instid1(VALU_DEP_1)
	v_pk_fma_f32 v[8:9], v[6:7], v[0:1], v[4:5] op_sel:[0,0,1] op_sel_hi:[1,1,0] neg_lo:[0,0,1] neg_hi:[0,0,1]
	v_pk_fma_f32 v[4:5], v[6:7], v[0:1], v[4:5] op_sel:[0,0,1] op_sel_hi:[1,0,0]
	v_mov_b32_e32 v9, v5
	ds_load_2addr_b64 v[4:7], v154 offset0:40 offset1:41
	v_pk_add_f32 v[156:157], v[156:157], v[8:9] neg_lo:[0,1] neg_hi:[0,1]
	s_wait_dscnt 0x0
	v_pk_mul_f32 v[8:9], v[4:5], v[2:3] op_sel:[0,1]
	s_delay_alu instid0(VALU_DEP_1) | instskip(SKIP_1) | instid1(VALU_DEP_1)
	v_pk_fma_f32 v[10:11], v[4:5], v[0:1], v[8:9] op_sel:[0,0,1] op_sel_hi:[1,1,0] neg_lo:[0,0,1] neg_hi:[0,0,1]
	v_pk_fma_f32 v[4:5], v[4:5], v[0:1], v[8:9] op_sel:[0,0,1] op_sel_hi:[1,0,0]
	v_mov_b32_e32 v11, v5
	v_pk_mul_f32 v[4:5], v[6:7], v[2:3] op_sel:[0,1]
	s_delay_alu instid0(VALU_DEP_2) | instskip(NEXT) | instid1(VALU_DEP_2)
	v_pk_add_f32 v[178:179], v[178:179], v[10:11] neg_lo:[0,1] neg_hi:[0,1]
	v_pk_fma_f32 v[8:9], v[6:7], v[0:1], v[4:5] op_sel:[0,0,1] op_sel_hi:[1,1,0] neg_lo:[0,0,1] neg_hi:[0,0,1]
	v_pk_fma_f32 v[4:5], v[6:7], v[0:1], v[4:5] op_sel:[0,0,1] op_sel_hi:[1,0,0]
	s_delay_alu instid0(VALU_DEP_1) | instskip(SKIP_4) | instid1(VALU_DEP_1)
	v_mov_b32_e32 v9, v5
	ds_load_2addr_b64 v[4:7], v154 offset0:42 offset1:43
	v_pk_add_f32 v[174:175], v[174:175], v[8:9] neg_lo:[0,1] neg_hi:[0,1]
	s_wait_dscnt 0x0
	v_pk_mul_f32 v[8:9], v[4:5], v[2:3] op_sel:[0,1]
	v_pk_fma_f32 v[10:11], v[4:5], v[0:1], v[8:9] op_sel:[0,0,1] op_sel_hi:[1,1,0] neg_lo:[0,0,1] neg_hi:[0,0,1]
	v_pk_fma_f32 v[4:5], v[4:5], v[0:1], v[8:9] op_sel:[0,0,1] op_sel_hi:[1,0,0]
	v_dual_mul_f32 v8, v7, v3 :: v_dual_mov_b32 v4, v7
	s_delay_alu instid0(VALU_DEP_2) | instskip(NEXT) | instid1(VALU_DEP_2)
	v_dual_mov_b32 v11, v5 :: v_dual_mov_b32 v5, v6
	v_pk_fma_f32 v[8:9], v[6:7], v[36:37], v[8:9] op_sel_hi:[1,1,0] neg_lo:[0,0,1] neg_hi:[0,0,1]
	v_mul_f32_e32 v6, v7, v0
	s_delay_alu instid0(VALU_DEP_3) | instskip(NEXT) | instid1(VALU_DEP_2)
	v_pk_add_f32 v[176:177], v[176:177], v[10:11] neg_lo:[0,1] neg_hi:[0,1]
	v_pk_fma_f32 v[4:5], v[4:5], v[36:37], v[6:7] op_sel_hi:[1,1,0]
	s_delay_alu instid0(VALU_DEP_1) | instskip(SKIP_4) | instid1(VALU_DEP_1)
	v_mov_b32_e32 v9, v5
	ds_load_2addr_b64 v[4:7], v154 offset0:44 offset1:45
	v_pk_add_f32 v[172:173], v[172:173], v[8:9] neg_lo:[0,1] neg_hi:[0,1]
	s_wait_dscnt 0x0
	v_pk_mul_f32 v[8:9], v[4:5], v[2:3] op_sel:[0,1]
	v_pk_fma_f32 v[10:11], v[4:5], v[0:1], v[8:9] op_sel:[0,0,1] op_sel_hi:[1,1,0] neg_lo:[0,0,1] neg_hi:[0,0,1]
	v_pk_fma_f32 v[4:5], v[4:5], v[0:1], v[8:9] op_sel:[0,0,1] op_sel_hi:[1,0,0]
	s_delay_alu instid0(VALU_DEP_1) | instskip(SKIP_1) | instid1(VALU_DEP_1)
	v_mov_b32_e32 v11, v5
	v_pk_mul_f32 v[4:5], v[6:7], v[2:3] op_sel:[0,1]
	v_pk_fma_f32 v[8:9], v[6:7], v[0:1], v[4:5] op_sel:[0,0,1] op_sel_hi:[1,1,0] neg_lo:[0,0,1] neg_hi:[0,0,1]
	v_pk_fma_f32 v[4:5], v[6:7], v[0:1], v[4:5] op_sel:[0,0,1] op_sel_hi:[1,0,0]
	s_delay_alu instid0(VALU_DEP_1)
	v_mov_b32_e32 v9, v5
	ds_load_2addr_b64 v[4:7], v154 offset0:46 offset1:47
	v_pk_add_f32 v[196:197], v[196:197], v[10:11] neg_lo:[0,1] neg_hi:[0,1]
	v_pk_add_f32 v[192:193], v[192:193], v[8:9] neg_lo:[0,1] neg_hi:[0,1]
	s_wait_dscnt 0x0
	v_pk_mul_f32 v[8:9], v[4:5], v[2:3] op_sel:[0,1]
	s_delay_alu instid0(VALU_DEP_1) | instskip(SKIP_1) | instid1(VALU_DEP_1)
	v_pk_fma_f32 v[10:11], v[4:5], v[0:1], v[8:9] op_sel:[0,0,1] op_sel_hi:[1,1,0] neg_lo:[0,0,1] neg_hi:[0,0,1]
	v_pk_fma_f32 v[4:5], v[4:5], v[0:1], v[8:9] op_sel:[0,0,1] op_sel_hi:[1,0,0]
	v_mov_b32_e32 v11, v5
	v_pk_mul_f32 v[4:5], v[6:7], v[2:3] op_sel:[0,1]
	s_delay_alu instid0(VALU_DEP_1) | instskip(SKIP_1) | instid1(VALU_DEP_1)
	v_pk_fma_f32 v[8:9], v[6:7], v[0:1], v[4:5] op_sel:[0,0,1] op_sel_hi:[1,1,0] neg_lo:[0,0,1] neg_hi:[0,0,1]
	v_pk_fma_f32 v[4:5], v[6:7], v[0:1], v[4:5] op_sel:[0,0,1] op_sel_hi:[1,0,0]
	v_mov_b32_e32 v9, v5
	ds_load_2addr_b64 v[4:7], v154 offset0:48 offset1:49
	v_pk_add_f32 v[194:195], v[194:195], v[10:11] neg_lo:[0,1] neg_hi:[0,1]
	v_pk_add_f32 v[190:191], v[190:191], v[8:9] neg_lo:[0,1] neg_hi:[0,1]
	s_wait_dscnt 0x0
	v_dual_mul_f32 v8, v5, v3 :: v_dual_mul_f32 v10, v5, v0
	s_delay_alu instid0(VALU_DEP_1) | instskip(NEXT) | instid1(VALU_DEP_2)
	v_pk_fma_f32 v[8:9], v[4:5], v[36:37], v[8:9] op_sel_hi:[1,1,0] neg_lo:[0,0,1] neg_hi:[0,0,1]
	v_pk_fma_f32 v[4:5], v[4:5], v[36:37], v[10:11] op_sel:[1,0,0] op_sel_hi:[0,1,0]
	s_delay_alu instid0(VALU_DEP_1) | instskip(SKIP_1) | instid1(VALU_DEP_2)
	v_mov_b32_e32 v9, v5
	v_pk_mul_f32 v[4:5], v[6:7], v[2:3] op_sel:[0,1]
	v_pk_add_f32 v[216:217], v[216:217], v[8:9] neg_lo:[0,1] neg_hi:[0,1]
	s_delay_alu instid0(VALU_DEP_2) | instskip(SKIP_1) | instid1(VALU_DEP_1)
	v_pk_fma_f32 v[8:9], v[6:7], v[0:1], v[4:5] op_sel:[0,0,1] op_sel_hi:[1,1,0] neg_lo:[0,0,1] neg_hi:[0,0,1]
	v_pk_fma_f32 v[4:5], v[6:7], v[0:1], v[4:5] op_sel:[0,0,1] op_sel_hi:[1,0,0]
	v_mov_b32_e32 v9, v5
	ds_load_2addr_b64 v[4:7], v154 offset0:50 offset1:51
	v_pk_add_f32 v[210:211], v[210:211], v[8:9] neg_lo:[0,1] neg_hi:[0,1]
	s_wait_dscnt 0x0
	v_pk_mul_f32 v[8:9], v[4:5], v[2:3] op_sel:[0,1]
	s_delay_alu instid0(VALU_DEP_1) | instskip(SKIP_1) | instid1(VALU_DEP_1)
	v_pk_fma_f32 v[10:11], v[4:5], v[0:1], v[8:9] op_sel:[0,0,1] op_sel_hi:[1,1,0] neg_lo:[0,0,1] neg_hi:[0,0,1]
	v_pk_fma_f32 v[4:5], v[4:5], v[0:1], v[8:9] op_sel:[0,0,1] op_sel_hi:[1,0,0]
	v_mov_b32_e32 v11, v5
	v_pk_mul_f32 v[4:5], v[6:7], v[2:3] op_sel:[0,1]
	s_delay_alu instid0(VALU_DEP_2) | instskip(NEXT) | instid1(VALU_DEP_2)
	v_pk_add_f32 v[214:215], v[214:215], v[10:11] neg_lo:[0,1] neg_hi:[0,1]
	v_pk_fma_f32 v[8:9], v[6:7], v[0:1], v[4:5] op_sel:[0,0,1] op_sel_hi:[1,1,0] neg_lo:[0,0,1] neg_hi:[0,0,1]
	v_pk_fma_f32 v[4:5], v[6:7], v[0:1], v[4:5] op_sel:[0,0,1] op_sel_hi:[1,0,0]
	s_delay_alu instid0(VALU_DEP_1) | instskip(SKIP_4) | instid1(VALU_DEP_1)
	v_mov_b32_e32 v9, v5
	ds_load_2addr_b64 v[4:7], v154 offset0:52 offset1:53
	v_pk_add_f32 v[208:209], v[208:209], v[8:9] neg_lo:[0,1] neg_hi:[0,1]
	s_wait_dscnt 0x0
	v_pk_mul_f32 v[8:9], v[4:5], v[2:3] op_sel:[0,1]
	v_pk_fma_f32 v[10:11], v[4:5], v[0:1], v[8:9] op_sel:[0,0,1] op_sel_hi:[1,1,0] neg_lo:[0,0,1] neg_hi:[0,0,1]
	v_pk_fma_f32 v[4:5], v[4:5], v[0:1], v[8:9] op_sel:[0,0,1] op_sel_hi:[1,0,0]
	v_dual_mul_f32 v8, v7, v3 :: v_dual_mov_b32 v4, v7
	s_delay_alu instid0(VALU_DEP_2) | instskip(NEXT) | instid1(VALU_DEP_2)
	v_dual_mov_b32 v11, v5 :: v_dual_mov_b32 v5, v6
	v_pk_fma_f32 v[8:9], v[6:7], v[36:37], v[8:9] op_sel_hi:[1,1,0] neg_lo:[0,0,1] neg_hi:[0,0,1]
	v_mul_f32_e32 v6, v7, v0
	s_delay_alu instid0(VALU_DEP_3) | instskip(NEXT) | instid1(VALU_DEP_2)
	v_pk_add_f32 v[212:213], v[212:213], v[10:11] neg_lo:[0,1] neg_hi:[0,1]
	v_pk_fma_f32 v[4:5], v[4:5], v[36:37], v[6:7] op_sel_hi:[1,1,0]
	s_delay_alu instid0(VALU_DEP_1) | instskip(SKIP_4) | instid1(VALU_DEP_1)
	v_mov_b32_e32 v9, v5
	ds_load_b64 v[4:5], v154 offset:432
	v_pk_add_f32 v[218:219], v[218:219], v[8:9] neg_lo:[0,1] neg_hi:[0,1]
	s_wait_dscnt 0x0
	v_pk_mul_f32 v[2:3], v[4:5], v[2:3] op_sel:[0,1]
	v_pk_fma_f32 v[6:7], v[4:5], v[0:1], v[2:3] op_sel:[0,0,1] op_sel_hi:[1,1,0] neg_lo:[0,0,1] neg_hi:[0,0,1]
	v_pk_fma_f32 v[0:1], v[4:5], v[0:1], v[2:3] op_sel:[0,0,1] op_sel_hi:[1,0,0]
	s_delay_alu instid0(VALU_DEP_1) | instskip(NEXT) | instid1(VALU_DEP_1)
	v_mov_b32_e32 v7, v1
	v_pk_add_f32 v[220:221], v[220:221], v[6:7] neg_lo:[0,1] neg_hi:[0,1]
.LBB109_91:
	s_wait_xcnt 0x0
	s_or_b32 exec_lo, exec_lo, s1
	s_delay_alu instid0(SALU_CYCLE_1)
	s_mov_b32 s2, exec_lo
	s_wait_storecnt 0x0
	s_barrier_signal -1
	s_barrier_wait -1
	v_cmpx_eq_u32_e32 10, v152
	s_cbranch_execz .LBB109_98
; %bb.92:
	ds_store_b64 v153, v[38:39]
	ds_store_2addr_b64 v154, v[34:35], v[64:65] offset0:11 offset1:12
	ds_store_2addr_b64 v154, v[60:61], v[62:63] offset0:13 offset1:14
	;; [unrolled: 1-line block ×22, first 2 shown]
	ds_load_b64 v[0:1], v153
	s_wait_dscnt 0x0
	v_cmp_neq_f32_e32 vcc_lo, 0, v0
	v_cmp_neq_f32_e64 s1, 0, v1
	s_or_b32 s1, vcc_lo, s1
	s_delay_alu instid0(SALU_CYCLE_1)
	s_and_b32 exec_lo, exec_lo, s1
	s_cbranch_execz .LBB109_98
; %bb.93:
	v_cmp_ngt_f32_e64 s1, |v0|, |v1|
                                        ; implicit-def: $vgpr2_vgpr3
	s_and_saveexec_b32 s4, s1
	s_delay_alu instid0(SALU_CYCLE_1)
	s_xor_b32 s1, exec_lo, s4
	s_cbranch_execz .LBB109_95
; %bb.94:
	v_div_scale_f32 v2, null, v1, v1, v0
	v_div_scale_f32 v5, vcc_lo, v0, v1, v0
	s_delay_alu instid0(VALU_DEP_2) | instskip(SKIP_1) | instid1(TRANS32_DEP_1)
	v_rcp_f32_e32 v3, v2
	v_nop
	v_fma_f32 v4, -v2, v3, 1.0
	s_delay_alu instid0(VALU_DEP_1) | instskip(NEXT) | instid1(VALU_DEP_1)
	v_fmac_f32_e32 v3, v4, v3
	v_mul_f32_e32 v4, v5, v3
	s_delay_alu instid0(VALU_DEP_1) | instskip(NEXT) | instid1(VALU_DEP_1)
	v_fma_f32 v6, -v2, v4, v5
	v_fmac_f32_e32 v4, v6, v3
	s_delay_alu instid0(VALU_DEP_1) | instskip(NEXT) | instid1(VALU_DEP_1)
	v_fma_f32 v2, -v2, v4, v5
	v_div_fmas_f32 v2, v2, v3, v4
	s_delay_alu instid0(VALU_DEP_1) | instskip(NEXT) | instid1(VALU_DEP_1)
	v_div_fixup_f32 v2, v2, v1, v0
	v_fmac_f32_e32 v1, v0, v2
	s_delay_alu instid0(VALU_DEP_1) | instskip(SKIP_1) | instid1(VALU_DEP_2)
	v_div_scale_f32 v0, null, v1, v1, 1.0
	v_div_scale_f32 v5, vcc_lo, 1.0, v1, 1.0
	v_rcp_f32_e32 v3, v0
	v_nop
	s_delay_alu instid0(TRANS32_DEP_1) | instskip(NEXT) | instid1(VALU_DEP_1)
	v_fma_f32 v4, -v0, v3, 1.0
	v_fmac_f32_e32 v3, v4, v3
	s_delay_alu instid0(VALU_DEP_1) | instskip(NEXT) | instid1(VALU_DEP_1)
	v_mul_f32_e32 v4, v5, v3
	v_fma_f32 v6, -v0, v4, v5
	s_delay_alu instid0(VALU_DEP_1) | instskip(NEXT) | instid1(VALU_DEP_1)
	v_fmac_f32_e32 v4, v6, v3
	v_fma_f32 v0, -v0, v4, v5
	s_delay_alu instid0(VALU_DEP_1) | instskip(NEXT) | instid1(VALU_DEP_1)
	v_div_fmas_f32 v0, v0, v3, v4
	v_div_fixup_f32 v0, v0, v1, 1.0
	s_delay_alu instid0(VALU_DEP_1)
	v_mul_f32_e32 v2, v2, v0
	v_xor_b32_e32 v3, 0x80000000, v0
                                        ; implicit-def: $vgpr0_vgpr1
.LBB109_95:
	s_and_not1_saveexec_b32 s1, s1
	s_cbranch_execz .LBB109_97
; %bb.96:
	v_div_scale_f32 v2, null, v0, v0, v1
	v_div_scale_f32 v5, vcc_lo, v1, v0, v1
	s_delay_alu instid0(VALU_DEP_2) | instskip(SKIP_1) | instid1(TRANS32_DEP_1)
	v_rcp_f32_e32 v3, v2
	v_nop
	v_fma_f32 v4, -v2, v3, 1.0
	s_delay_alu instid0(VALU_DEP_1) | instskip(NEXT) | instid1(VALU_DEP_1)
	v_fmac_f32_e32 v3, v4, v3
	v_mul_f32_e32 v4, v5, v3
	s_delay_alu instid0(VALU_DEP_1) | instskip(NEXT) | instid1(VALU_DEP_1)
	v_fma_f32 v6, -v2, v4, v5
	v_fmac_f32_e32 v4, v6, v3
	s_delay_alu instid0(VALU_DEP_1) | instskip(NEXT) | instid1(VALU_DEP_1)
	v_fma_f32 v2, -v2, v4, v5
	v_div_fmas_f32 v2, v2, v3, v4
	s_delay_alu instid0(VALU_DEP_1) | instskip(NEXT) | instid1(VALU_DEP_1)
	v_div_fixup_f32 v3, v2, v0, v1
	v_fmac_f32_e32 v0, v1, v3
	s_delay_alu instid0(VALU_DEP_1) | instskip(NEXT) | instid1(VALU_DEP_1)
	v_div_scale_f32 v1, null, v0, v0, 1.0
	v_rcp_f32_e32 v2, v1
	v_nop
	s_delay_alu instid0(TRANS32_DEP_1) | instskip(NEXT) | instid1(VALU_DEP_1)
	v_fma_f32 v4, -v1, v2, 1.0
	v_fmac_f32_e32 v2, v4, v2
	v_div_scale_f32 v4, vcc_lo, 1.0, v0, 1.0
	s_delay_alu instid0(VALU_DEP_1) | instskip(NEXT) | instid1(VALU_DEP_1)
	v_mul_f32_e32 v5, v4, v2
	v_fma_f32 v6, -v1, v5, v4
	s_delay_alu instid0(VALU_DEP_1) | instskip(NEXT) | instid1(VALU_DEP_1)
	v_fmac_f32_e32 v5, v6, v2
	v_fma_f32 v1, -v1, v5, v4
	s_delay_alu instid0(VALU_DEP_1) | instskip(NEXT) | instid1(VALU_DEP_1)
	v_div_fmas_f32 v1, v1, v2, v5
	v_div_fixup_f32 v2, v1, v0, 1.0
	s_delay_alu instid0(VALU_DEP_1)
	v_mul_f32_e64 v3, v3, -v2
.LBB109_97:
	s_or_b32 exec_lo, exec_lo, s1
	ds_store_b64 v153, v[2:3]
.LBB109_98:
	s_or_b32 exec_lo, exec_lo, s2
	s_wait_dscnt 0x0
	s_barrier_signal -1
	s_barrier_wait -1
	ds_load_b64 v[0:1], v153
	s_mov_b32 s1, exec_lo
	s_wait_dscnt 0x0
	scratch_store_b64 off, v[0:1], off offset:288 ; 8-byte Folded Spill
	s_wait_xcnt 0x0
	v_cmpx_lt_u32_e32 10, v152
	s_cbranch_execz .LBB109_100
; %bb.99:
	scratch_load_b64 v[4:5], off, off offset:288 ; 8-byte Folded Reload
	s_wait_loadcnt 0x0
	v_pk_mul_f32 v[2:3], v[4:5], v[38:39] op_sel:[1,1] op_sel_hi:[0,1]
	s_delay_alu instid0(VALU_DEP_1)
	v_pk_fma_f32 v[0:1], v[4:5], v[38:39], v[2:3] op_sel_hi:[1,0,1] neg_lo:[0,0,1] neg_hi:[0,0,1]
	v_pk_fma_f32 v[2:3], v[4:5], v[38:39], v[2:3] op_sel_hi:[1,0,1]
	ds_load_2addr_b64 v[4:7], v154 offset0:11 offset1:12
	v_dual_mov_b32 v38, v0 :: v_dual_mov_b32 v39, v3
	s_wait_dscnt 0x0
	v_pk_mul_f32 v[8:9], v[4:5], v[2:3] op_sel:[0,1]
	s_delay_alu instid0(VALU_DEP_1) | instskip(SKIP_1) | instid1(VALU_DEP_1)
	v_pk_fma_f32 v[10:11], v[4:5], v[0:1], v[8:9] op_sel:[0,0,1] op_sel_hi:[1,1,0] neg_lo:[0,0,1] neg_hi:[0,0,1]
	v_pk_fma_f32 v[4:5], v[4:5], v[0:1], v[8:9] op_sel:[0,0,1] op_sel_hi:[1,0,0]
	v_mov_b32_e32 v11, v5
	v_pk_mul_f32 v[4:5], v[6:7], v[2:3] op_sel:[0,1]
	s_delay_alu instid0(VALU_DEP_1) | instskip(SKIP_1) | instid1(VALU_DEP_1)
	v_pk_fma_f32 v[8:9], v[6:7], v[0:1], v[4:5] op_sel:[0,0,1] op_sel_hi:[1,1,0] neg_lo:[0,0,1] neg_hi:[0,0,1]
	v_pk_fma_f32 v[4:5], v[6:7], v[0:1], v[4:5] op_sel:[0,0,1] op_sel_hi:[1,0,0]
	v_mov_b32_e32 v9, v5
	ds_load_2addr_b64 v[4:7], v154 offset0:13 offset1:14
	v_pk_add_f32 v[34:35], v[34:35], v[10:11] neg_lo:[0,1] neg_hi:[0,1]
	v_pk_add_f32 v[64:65], v[64:65], v[8:9] neg_lo:[0,1] neg_hi:[0,1]
	s_wait_dscnt 0x0
	v_pk_mul_f32 v[8:9], v[4:5], v[2:3] op_sel:[0,1]
	s_delay_alu instid0(VALU_DEP_1) | instskip(SKIP_2) | instid1(VALU_DEP_2)
	v_pk_fma_f32 v[10:11], v[4:5], v[0:1], v[8:9] op_sel:[0,0,1] op_sel_hi:[1,1,0] neg_lo:[0,0,1] neg_hi:[0,0,1]
	v_pk_fma_f32 v[4:5], v[4:5], v[0:1], v[8:9] op_sel:[0,0,1] op_sel_hi:[1,0,0]
	v_dual_mul_f32 v8, v7, v3 :: v_dual_mov_b32 v4, v7
	v_dual_mov_b32 v11, v5 :: v_dual_mov_b32 v5, v6
	s_delay_alu instid0(VALU_DEP_2) | instskip(SKIP_1) | instid1(VALU_DEP_3)
	v_pk_fma_f32 v[8:9], v[6:7], v[38:39], v[8:9] op_sel_hi:[1,1,0] neg_lo:[0,0,1] neg_hi:[0,0,1]
	v_mul_f32_e32 v6, v7, v0
	v_pk_add_f32 v[60:61], v[60:61], v[10:11] neg_lo:[0,1] neg_hi:[0,1]
	s_delay_alu instid0(VALU_DEP_2) | instskip(NEXT) | instid1(VALU_DEP_1)
	v_pk_fma_f32 v[4:5], v[4:5], v[38:39], v[6:7] op_sel_hi:[1,1,0]
	v_mov_b32_e32 v9, v5
	ds_load_2addr_b64 v[4:7], v154 offset0:15 offset1:16
	v_pk_add_f32 v[62:63], v[62:63], v[8:9] neg_lo:[0,1] neg_hi:[0,1]
	s_wait_dscnt 0x0
	v_pk_mul_f32 v[8:9], v[4:5], v[2:3] op_sel:[0,1]
	s_delay_alu instid0(VALU_DEP_1) | instskip(SKIP_1) | instid1(VALU_DEP_1)
	v_pk_fma_f32 v[10:11], v[4:5], v[0:1], v[8:9] op_sel:[0,0,1] op_sel_hi:[1,1,0] neg_lo:[0,0,1] neg_hi:[0,0,1]
	v_pk_fma_f32 v[4:5], v[4:5], v[0:1], v[8:9] op_sel:[0,0,1] op_sel_hi:[1,0,0]
	v_mov_b32_e32 v11, v5
	v_pk_mul_f32 v[4:5], v[6:7], v[2:3] op_sel:[0,1]
	s_delay_alu instid0(VALU_DEP_1) | instskip(SKIP_1) | instid1(VALU_DEP_1)
	v_pk_fma_f32 v[8:9], v[6:7], v[0:1], v[4:5] op_sel:[0,0,1] op_sel_hi:[1,1,0] neg_lo:[0,0,1] neg_hi:[0,0,1]
	v_pk_fma_f32 v[4:5], v[6:7], v[0:1], v[4:5] op_sel:[0,0,1] op_sel_hi:[1,0,0]
	v_mov_b32_e32 v9, v5
	ds_load_2addr_b64 v[4:7], v154 offset0:17 offset1:18
	v_pk_add_f32 v[58:59], v[58:59], v[10:11] neg_lo:[0,1] neg_hi:[0,1]
	v_pk_add_f32 v[80:81], v[80:81], v[8:9] neg_lo:[0,1] neg_hi:[0,1]
	s_wait_dscnt 0x0
	v_pk_mul_f32 v[8:9], v[4:5], v[2:3] op_sel:[0,1]
	s_delay_alu instid0(VALU_DEP_1) | instskip(SKIP_1) | instid1(VALU_DEP_1)
	v_pk_fma_f32 v[10:11], v[4:5], v[0:1], v[8:9] op_sel:[0,0,1] op_sel_hi:[1,1,0] neg_lo:[0,0,1] neg_hi:[0,0,1]
	v_pk_fma_f32 v[4:5], v[4:5], v[0:1], v[8:9] op_sel:[0,0,1] op_sel_hi:[1,0,0]
	v_mov_b32_e32 v11, v5
	v_pk_mul_f32 v[4:5], v[6:7], v[2:3] op_sel:[0,1]
	s_delay_alu instid0(VALU_DEP_1) | instskip(SKIP_1) | instid1(VALU_DEP_1)
	v_pk_fma_f32 v[8:9], v[6:7], v[0:1], v[4:5] op_sel:[0,0,1] op_sel_hi:[1,1,0] neg_lo:[0,0,1] neg_hi:[0,0,1]
	v_pk_fma_f32 v[4:5], v[6:7], v[0:1], v[4:5] op_sel:[0,0,1] op_sel_hi:[1,0,0]
	v_mov_b32_e32 v9, v5
	ds_load_2addr_b64 v[4:7], v154 offset0:19 offset1:20
	v_pk_add_f32 v[76:77], v[76:77], v[10:11] neg_lo:[0,1] neg_hi:[0,1]
	v_pk_add_f32 v[78:79], v[78:79], v[8:9] neg_lo:[0,1] neg_hi:[0,1]
	s_wait_dscnt 0x0
	v_dual_mul_f32 v8, v5, v3 :: v_dual_mul_f32 v10, v5, v0
	s_delay_alu instid0(VALU_DEP_1) | instskip(NEXT) | instid1(VALU_DEP_2)
	v_pk_fma_f32 v[8:9], v[4:5], v[38:39], v[8:9] op_sel_hi:[1,1,0] neg_lo:[0,0,1] neg_hi:[0,0,1]
	v_pk_fma_f32 v[4:5], v[4:5], v[38:39], v[10:11] op_sel:[1,0,0] op_sel_hi:[0,1,0]
	s_delay_alu instid0(VALU_DEP_1) | instskip(SKIP_1) | instid1(VALU_DEP_2)
	v_mov_b32_e32 v9, v5
	v_pk_mul_f32 v[4:5], v[6:7], v[2:3] op_sel:[0,1]
	v_pk_add_f32 v[74:75], v[74:75], v[8:9] neg_lo:[0,1] neg_hi:[0,1]
	s_delay_alu instid0(VALU_DEP_2) | instskip(SKIP_1) | instid1(VALU_DEP_1)
	v_pk_fma_f32 v[8:9], v[6:7], v[0:1], v[4:5] op_sel:[0,0,1] op_sel_hi:[1,1,0] neg_lo:[0,0,1] neg_hi:[0,0,1]
	v_pk_fma_f32 v[4:5], v[6:7], v[0:1], v[4:5] op_sel:[0,0,1] op_sel_hi:[1,0,0]
	v_mov_b32_e32 v9, v5
	ds_load_2addr_b64 v[4:7], v154 offset0:21 offset1:22
	v_pk_add_f32 v[96:97], v[96:97], v[8:9] neg_lo:[0,1] neg_hi:[0,1]
	s_wait_dscnt 0x0
	v_pk_mul_f32 v[8:9], v[4:5], v[2:3] op_sel:[0,1]
	s_delay_alu instid0(VALU_DEP_1) | instskip(SKIP_1) | instid1(VALU_DEP_1)
	v_pk_fma_f32 v[10:11], v[4:5], v[0:1], v[8:9] op_sel:[0,0,1] op_sel_hi:[1,1,0] neg_lo:[0,0,1] neg_hi:[0,0,1]
	v_pk_fma_f32 v[4:5], v[4:5], v[0:1], v[8:9] op_sel:[0,0,1] op_sel_hi:[1,0,0]
	v_mov_b32_e32 v11, v5
	v_pk_mul_f32 v[4:5], v[6:7], v[2:3] op_sel:[0,1]
	s_delay_alu instid0(VALU_DEP_2) | instskip(NEXT) | instid1(VALU_DEP_2)
	v_pk_add_f32 v[92:93], v[92:93], v[10:11] neg_lo:[0,1] neg_hi:[0,1]
	v_pk_fma_f32 v[8:9], v[6:7], v[0:1], v[4:5] op_sel:[0,0,1] op_sel_hi:[1,1,0] neg_lo:[0,0,1] neg_hi:[0,0,1]
	v_pk_fma_f32 v[4:5], v[6:7], v[0:1], v[4:5] op_sel:[0,0,1] op_sel_hi:[1,0,0]
	s_delay_alu instid0(VALU_DEP_1) | instskip(SKIP_4) | instid1(VALU_DEP_1)
	v_mov_b32_e32 v9, v5
	ds_load_2addr_b64 v[4:7], v154 offset0:23 offset1:24
	v_pk_add_f32 v[94:95], v[94:95], v[8:9] neg_lo:[0,1] neg_hi:[0,1]
	s_wait_dscnt 0x0
	v_pk_mul_f32 v[8:9], v[4:5], v[2:3] op_sel:[0,1]
	v_pk_fma_f32 v[10:11], v[4:5], v[0:1], v[8:9] op_sel:[0,0,1] op_sel_hi:[1,1,0] neg_lo:[0,0,1] neg_hi:[0,0,1]
	v_pk_fma_f32 v[4:5], v[4:5], v[0:1], v[8:9] op_sel:[0,0,1] op_sel_hi:[1,0,0]
	v_dual_mul_f32 v8, v7, v3 :: v_dual_mov_b32 v4, v7
	s_delay_alu instid0(VALU_DEP_2) | instskip(NEXT) | instid1(VALU_DEP_2)
	v_dual_mov_b32 v11, v5 :: v_dual_mov_b32 v5, v6
	v_pk_fma_f32 v[8:9], v[6:7], v[38:39], v[8:9] op_sel_hi:[1,1,0] neg_lo:[0,0,1] neg_hi:[0,0,1]
	v_mul_f32_e32 v6, v7, v0
	s_delay_alu instid0(VALU_DEP_3) | instskip(NEXT) | instid1(VALU_DEP_2)
	v_pk_add_f32 v[90:91], v[90:91], v[10:11] neg_lo:[0,1] neg_hi:[0,1]
	v_pk_fma_f32 v[4:5], v[4:5], v[38:39], v[6:7] op_sel_hi:[1,1,0]
	s_delay_alu instid0(VALU_DEP_1) | instskip(SKIP_4) | instid1(VALU_DEP_1)
	v_mov_b32_e32 v9, v5
	ds_load_2addr_b64 v[4:7], v154 offset0:25 offset1:26
	v_pk_add_f32 v[114:115], v[114:115], v[8:9] neg_lo:[0,1] neg_hi:[0,1]
	s_wait_dscnt 0x0
	v_pk_mul_f32 v[8:9], v[4:5], v[2:3] op_sel:[0,1]
	v_pk_fma_f32 v[10:11], v[4:5], v[0:1], v[8:9] op_sel:[0,0,1] op_sel_hi:[1,1,0] neg_lo:[0,0,1] neg_hi:[0,0,1]
	v_pk_fma_f32 v[4:5], v[4:5], v[0:1], v[8:9] op_sel:[0,0,1] op_sel_hi:[1,0,0]
	s_delay_alu instid0(VALU_DEP_1) | instskip(SKIP_1) | instid1(VALU_DEP_1)
	v_mov_b32_e32 v11, v5
	v_pk_mul_f32 v[4:5], v[6:7], v[2:3] op_sel:[0,1]
	v_pk_fma_f32 v[8:9], v[6:7], v[0:1], v[4:5] op_sel:[0,0,1] op_sel_hi:[1,1,0] neg_lo:[0,0,1] neg_hi:[0,0,1]
	v_pk_fma_f32 v[4:5], v[6:7], v[0:1], v[4:5] op_sel:[0,0,1] op_sel_hi:[1,0,0]
	s_delay_alu instid0(VALU_DEP_1)
	v_mov_b32_e32 v9, v5
	ds_load_2addr_b64 v[4:7], v154 offset0:27 offset1:28
	v_pk_add_f32 v[110:111], v[110:111], v[10:11] neg_lo:[0,1] neg_hi:[0,1]
	v_pk_add_f32 v[112:113], v[112:113], v[8:9] neg_lo:[0,1] neg_hi:[0,1]
	s_wait_dscnt 0x0
	v_pk_mul_f32 v[8:9], v[4:5], v[2:3] op_sel:[0,1]
	s_delay_alu instid0(VALU_DEP_1) | instskip(SKIP_1) | instid1(VALU_DEP_1)
	v_pk_fma_f32 v[10:11], v[4:5], v[0:1], v[8:9] op_sel:[0,0,1] op_sel_hi:[1,1,0] neg_lo:[0,0,1] neg_hi:[0,0,1]
	v_pk_fma_f32 v[4:5], v[4:5], v[0:1], v[8:9] op_sel:[0,0,1] op_sel_hi:[1,0,0]
	v_mov_b32_e32 v11, v5
	v_pk_mul_f32 v[4:5], v[6:7], v[2:3] op_sel:[0,1]
	s_delay_alu instid0(VALU_DEP_1) | instskip(SKIP_1) | instid1(VALU_DEP_1)
	v_pk_fma_f32 v[8:9], v[6:7], v[0:1], v[4:5] op_sel:[0,0,1] op_sel_hi:[1,1,0] neg_lo:[0,0,1] neg_hi:[0,0,1]
	v_pk_fma_f32 v[4:5], v[6:7], v[0:1], v[4:5] op_sel:[0,0,1] op_sel_hi:[1,0,0]
	v_mov_b32_e32 v9, v5
	ds_load_2addr_b64 v[4:7], v154 offset0:29 offset1:30
	v_pk_add_f32 v[108:109], v[108:109], v[10:11] neg_lo:[0,1] neg_hi:[0,1]
	v_pk_add_f32 v[130:131], v[130:131], v[8:9] neg_lo:[0,1] neg_hi:[0,1]
	s_wait_dscnt 0x0
	v_dual_mul_f32 v8, v5, v3 :: v_dual_mul_f32 v10, v5, v0
	s_delay_alu instid0(VALU_DEP_1) | instskip(NEXT) | instid1(VALU_DEP_2)
	v_pk_fma_f32 v[8:9], v[4:5], v[38:39], v[8:9] op_sel_hi:[1,1,0] neg_lo:[0,0,1] neg_hi:[0,0,1]
	v_pk_fma_f32 v[4:5], v[4:5], v[38:39], v[10:11] op_sel:[1,0,0] op_sel_hi:[0,1,0]
	s_delay_alu instid0(VALU_DEP_1) | instskip(SKIP_1) | instid1(VALU_DEP_2)
	v_mov_b32_e32 v9, v5
	v_pk_mul_f32 v[4:5], v[6:7], v[2:3] op_sel:[0,1]
	v_pk_add_f32 v[126:127], v[126:127], v[8:9] neg_lo:[0,1] neg_hi:[0,1]
	s_delay_alu instid0(VALU_DEP_2) | instskip(SKIP_1) | instid1(VALU_DEP_1)
	v_pk_fma_f32 v[8:9], v[6:7], v[0:1], v[4:5] op_sel:[0,0,1] op_sel_hi:[1,1,0] neg_lo:[0,0,1] neg_hi:[0,0,1]
	v_pk_fma_f32 v[4:5], v[6:7], v[0:1], v[4:5] op_sel:[0,0,1] op_sel_hi:[1,0,0]
	v_mov_b32_e32 v9, v5
	ds_load_2addr_b64 v[4:7], v154 offset0:31 offset1:32
	v_pk_add_f32 v[128:129], v[128:129], v[8:9] neg_lo:[0,1] neg_hi:[0,1]
	s_wait_dscnt 0x0
	v_pk_mul_f32 v[8:9], v[4:5], v[2:3] op_sel:[0,1]
	s_delay_alu instid0(VALU_DEP_1) | instskip(SKIP_1) | instid1(VALU_DEP_1)
	v_pk_fma_f32 v[10:11], v[4:5], v[0:1], v[8:9] op_sel:[0,0,1] op_sel_hi:[1,1,0] neg_lo:[0,0,1] neg_hi:[0,0,1]
	v_pk_fma_f32 v[4:5], v[4:5], v[0:1], v[8:9] op_sel:[0,0,1] op_sel_hi:[1,0,0]
	v_mov_b32_e32 v11, v5
	v_pk_mul_f32 v[4:5], v[6:7], v[2:3] op_sel:[0,1]
	s_delay_alu instid0(VALU_DEP_2) | instskip(NEXT) | instid1(VALU_DEP_2)
	v_pk_add_f32 v[124:125], v[124:125], v[10:11] neg_lo:[0,1] neg_hi:[0,1]
	v_pk_fma_f32 v[8:9], v[6:7], v[0:1], v[4:5] op_sel:[0,0,1] op_sel_hi:[1,1,0] neg_lo:[0,0,1] neg_hi:[0,0,1]
	v_pk_fma_f32 v[4:5], v[6:7], v[0:1], v[4:5] op_sel:[0,0,1] op_sel_hi:[1,0,0]
	s_delay_alu instid0(VALU_DEP_1) | instskip(SKIP_4) | instid1(VALU_DEP_1)
	v_mov_b32_e32 v9, v5
	ds_load_2addr_b64 v[4:7], v154 offset0:33 offset1:34
	v_pk_add_f32 v[146:147], v[146:147], v[8:9] neg_lo:[0,1] neg_hi:[0,1]
	s_wait_dscnt 0x0
	v_pk_mul_f32 v[8:9], v[4:5], v[2:3] op_sel:[0,1]
	v_pk_fma_f32 v[10:11], v[4:5], v[0:1], v[8:9] op_sel:[0,0,1] op_sel_hi:[1,1,0] neg_lo:[0,0,1] neg_hi:[0,0,1]
	v_pk_fma_f32 v[4:5], v[4:5], v[0:1], v[8:9] op_sel:[0,0,1] op_sel_hi:[1,0,0]
	v_dual_mul_f32 v8, v7, v3 :: v_dual_mov_b32 v4, v7
	s_delay_alu instid0(VALU_DEP_2) | instskip(NEXT) | instid1(VALU_DEP_2)
	v_dual_mov_b32 v11, v5 :: v_dual_mov_b32 v5, v6
	v_pk_fma_f32 v[8:9], v[6:7], v[38:39], v[8:9] op_sel_hi:[1,1,0] neg_lo:[0,0,1] neg_hi:[0,0,1]
	v_mul_f32_e32 v6, v7, v0
	s_delay_alu instid0(VALU_DEP_3) | instskip(NEXT) | instid1(VALU_DEP_2)
	v_pk_add_f32 v[142:143], v[142:143], v[10:11] neg_lo:[0,1] neg_hi:[0,1]
	v_pk_fma_f32 v[4:5], v[4:5], v[38:39], v[6:7] op_sel_hi:[1,1,0]
	s_delay_alu instid0(VALU_DEP_1) | instskip(SKIP_4) | instid1(VALU_DEP_1)
	v_mov_b32_e32 v9, v5
	ds_load_2addr_b64 v[4:7], v154 offset0:35 offset1:36
	v_pk_add_f32 v[144:145], v[144:145], v[8:9] neg_lo:[0,1] neg_hi:[0,1]
	s_wait_dscnt 0x0
	v_pk_mul_f32 v[8:9], v[4:5], v[2:3] op_sel:[0,1]
	v_pk_fma_f32 v[10:11], v[4:5], v[0:1], v[8:9] op_sel:[0,0,1] op_sel_hi:[1,1,0] neg_lo:[0,0,1] neg_hi:[0,0,1]
	v_pk_fma_f32 v[4:5], v[4:5], v[0:1], v[8:9] op_sel:[0,0,1] op_sel_hi:[1,0,0]
	s_delay_alu instid0(VALU_DEP_1) | instskip(SKIP_1) | instid1(VALU_DEP_1)
	v_mov_b32_e32 v11, v5
	v_pk_mul_f32 v[4:5], v[6:7], v[2:3] op_sel:[0,1]
	v_pk_fma_f32 v[8:9], v[6:7], v[0:1], v[4:5] op_sel:[0,0,1] op_sel_hi:[1,1,0] neg_lo:[0,0,1] neg_hi:[0,0,1]
	v_pk_fma_f32 v[4:5], v[6:7], v[0:1], v[4:5] op_sel:[0,0,1] op_sel_hi:[1,0,0]
	s_delay_alu instid0(VALU_DEP_1)
	v_mov_b32_e32 v9, v5
	ds_load_2addr_b64 v[4:7], v154 offset0:37 offset1:38
	v_pk_add_f32 v[140:141], v[140:141], v[10:11] neg_lo:[0,1] neg_hi:[0,1]
	v_pk_add_f32 v[162:163], v[162:163], v[8:9] neg_lo:[0,1] neg_hi:[0,1]
	s_wait_dscnt 0x0
	v_pk_mul_f32 v[8:9], v[4:5], v[2:3] op_sel:[0,1]
	s_delay_alu instid0(VALU_DEP_1) | instskip(SKIP_1) | instid1(VALU_DEP_1)
	v_pk_fma_f32 v[10:11], v[4:5], v[0:1], v[8:9] op_sel:[0,0,1] op_sel_hi:[1,1,0] neg_lo:[0,0,1] neg_hi:[0,0,1]
	v_pk_fma_f32 v[4:5], v[4:5], v[0:1], v[8:9] op_sel:[0,0,1] op_sel_hi:[1,0,0]
	v_mov_b32_e32 v11, v5
	v_pk_mul_f32 v[4:5], v[6:7], v[2:3] op_sel:[0,1]
	s_delay_alu instid0(VALU_DEP_1) | instskip(SKIP_1) | instid1(VALU_DEP_1)
	v_pk_fma_f32 v[8:9], v[6:7], v[0:1], v[4:5] op_sel:[0,0,1] op_sel_hi:[1,1,0] neg_lo:[0,0,1] neg_hi:[0,0,1]
	v_pk_fma_f32 v[4:5], v[6:7], v[0:1], v[4:5] op_sel:[0,0,1] op_sel_hi:[1,0,0]
	v_mov_b32_e32 v9, v5
	ds_load_2addr_b64 v[4:7], v154 offset0:39 offset1:40
	v_pk_add_f32 v[158:159], v[158:159], v[10:11] neg_lo:[0,1] neg_hi:[0,1]
	v_pk_add_f32 v[160:161], v[160:161], v[8:9] neg_lo:[0,1] neg_hi:[0,1]
	s_wait_dscnt 0x0
	v_dual_mul_f32 v8, v5, v3 :: v_dual_mul_f32 v10, v5, v0
	s_delay_alu instid0(VALU_DEP_1) | instskip(NEXT) | instid1(VALU_DEP_2)
	v_pk_fma_f32 v[8:9], v[4:5], v[38:39], v[8:9] op_sel_hi:[1,1,0] neg_lo:[0,0,1] neg_hi:[0,0,1]
	v_pk_fma_f32 v[4:5], v[4:5], v[38:39], v[10:11] op_sel:[1,0,0] op_sel_hi:[0,1,0]
	s_delay_alu instid0(VALU_DEP_1) | instskip(SKIP_1) | instid1(VALU_DEP_2)
	v_mov_b32_e32 v9, v5
	v_pk_mul_f32 v[4:5], v[6:7], v[2:3] op_sel:[0,1]
	v_pk_add_f32 v[156:157], v[156:157], v[8:9] neg_lo:[0,1] neg_hi:[0,1]
	s_delay_alu instid0(VALU_DEP_2) | instskip(SKIP_1) | instid1(VALU_DEP_1)
	v_pk_fma_f32 v[8:9], v[6:7], v[0:1], v[4:5] op_sel:[0,0,1] op_sel_hi:[1,1,0] neg_lo:[0,0,1] neg_hi:[0,0,1]
	v_pk_fma_f32 v[4:5], v[6:7], v[0:1], v[4:5] op_sel:[0,0,1] op_sel_hi:[1,0,0]
	v_mov_b32_e32 v9, v5
	ds_load_2addr_b64 v[4:7], v154 offset0:41 offset1:42
	v_pk_add_f32 v[178:179], v[178:179], v[8:9] neg_lo:[0,1] neg_hi:[0,1]
	s_wait_dscnt 0x0
	v_pk_mul_f32 v[8:9], v[4:5], v[2:3] op_sel:[0,1]
	s_delay_alu instid0(VALU_DEP_1) | instskip(SKIP_1) | instid1(VALU_DEP_1)
	v_pk_fma_f32 v[10:11], v[4:5], v[0:1], v[8:9] op_sel:[0,0,1] op_sel_hi:[1,1,0] neg_lo:[0,0,1] neg_hi:[0,0,1]
	v_pk_fma_f32 v[4:5], v[4:5], v[0:1], v[8:9] op_sel:[0,0,1] op_sel_hi:[1,0,0]
	v_mov_b32_e32 v11, v5
	v_pk_mul_f32 v[4:5], v[6:7], v[2:3] op_sel:[0,1]
	s_delay_alu instid0(VALU_DEP_2) | instskip(NEXT) | instid1(VALU_DEP_2)
	v_pk_add_f32 v[174:175], v[174:175], v[10:11] neg_lo:[0,1] neg_hi:[0,1]
	v_pk_fma_f32 v[8:9], v[6:7], v[0:1], v[4:5] op_sel:[0,0,1] op_sel_hi:[1,1,0] neg_lo:[0,0,1] neg_hi:[0,0,1]
	v_pk_fma_f32 v[4:5], v[6:7], v[0:1], v[4:5] op_sel:[0,0,1] op_sel_hi:[1,0,0]
	s_delay_alu instid0(VALU_DEP_1) | instskip(SKIP_4) | instid1(VALU_DEP_1)
	v_mov_b32_e32 v9, v5
	ds_load_2addr_b64 v[4:7], v154 offset0:43 offset1:44
	v_pk_add_f32 v[176:177], v[176:177], v[8:9] neg_lo:[0,1] neg_hi:[0,1]
	s_wait_dscnt 0x0
	v_pk_mul_f32 v[8:9], v[4:5], v[2:3] op_sel:[0,1]
	v_pk_fma_f32 v[10:11], v[4:5], v[0:1], v[8:9] op_sel:[0,0,1] op_sel_hi:[1,1,0] neg_lo:[0,0,1] neg_hi:[0,0,1]
	v_pk_fma_f32 v[4:5], v[4:5], v[0:1], v[8:9] op_sel:[0,0,1] op_sel_hi:[1,0,0]
	v_dual_mul_f32 v8, v7, v3 :: v_dual_mov_b32 v4, v7
	s_delay_alu instid0(VALU_DEP_2) | instskip(NEXT) | instid1(VALU_DEP_2)
	v_dual_mov_b32 v11, v5 :: v_dual_mov_b32 v5, v6
	v_pk_fma_f32 v[8:9], v[6:7], v[38:39], v[8:9] op_sel_hi:[1,1,0] neg_lo:[0,0,1] neg_hi:[0,0,1]
	v_mul_f32_e32 v6, v7, v0
	s_delay_alu instid0(VALU_DEP_3) | instskip(NEXT) | instid1(VALU_DEP_2)
	v_pk_add_f32 v[172:173], v[172:173], v[10:11] neg_lo:[0,1] neg_hi:[0,1]
	v_pk_fma_f32 v[4:5], v[4:5], v[38:39], v[6:7] op_sel_hi:[1,1,0]
	s_delay_alu instid0(VALU_DEP_1) | instskip(SKIP_4) | instid1(VALU_DEP_1)
	v_mov_b32_e32 v9, v5
	ds_load_2addr_b64 v[4:7], v154 offset0:45 offset1:46
	v_pk_add_f32 v[196:197], v[196:197], v[8:9] neg_lo:[0,1] neg_hi:[0,1]
	s_wait_dscnt 0x0
	v_pk_mul_f32 v[8:9], v[4:5], v[2:3] op_sel:[0,1]
	v_pk_fma_f32 v[10:11], v[4:5], v[0:1], v[8:9] op_sel:[0,0,1] op_sel_hi:[1,1,0] neg_lo:[0,0,1] neg_hi:[0,0,1]
	v_pk_fma_f32 v[4:5], v[4:5], v[0:1], v[8:9] op_sel:[0,0,1] op_sel_hi:[1,0,0]
	s_delay_alu instid0(VALU_DEP_1) | instskip(SKIP_1) | instid1(VALU_DEP_1)
	v_mov_b32_e32 v11, v5
	v_pk_mul_f32 v[4:5], v[6:7], v[2:3] op_sel:[0,1]
	v_pk_fma_f32 v[8:9], v[6:7], v[0:1], v[4:5] op_sel:[0,0,1] op_sel_hi:[1,1,0] neg_lo:[0,0,1] neg_hi:[0,0,1]
	v_pk_fma_f32 v[4:5], v[6:7], v[0:1], v[4:5] op_sel:[0,0,1] op_sel_hi:[1,0,0]
	s_delay_alu instid0(VALU_DEP_1)
	v_mov_b32_e32 v9, v5
	ds_load_2addr_b64 v[4:7], v154 offset0:47 offset1:48
	v_pk_add_f32 v[192:193], v[192:193], v[10:11] neg_lo:[0,1] neg_hi:[0,1]
	v_pk_add_f32 v[194:195], v[194:195], v[8:9] neg_lo:[0,1] neg_hi:[0,1]
	s_wait_dscnt 0x0
	v_pk_mul_f32 v[8:9], v[4:5], v[2:3] op_sel:[0,1]
	s_delay_alu instid0(VALU_DEP_1) | instskip(SKIP_1) | instid1(VALU_DEP_1)
	v_pk_fma_f32 v[10:11], v[4:5], v[0:1], v[8:9] op_sel:[0,0,1] op_sel_hi:[1,1,0] neg_lo:[0,0,1] neg_hi:[0,0,1]
	v_pk_fma_f32 v[4:5], v[4:5], v[0:1], v[8:9] op_sel:[0,0,1] op_sel_hi:[1,0,0]
	v_mov_b32_e32 v11, v5
	v_pk_mul_f32 v[4:5], v[6:7], v[2:3] op_sel:[0,1]
	s_delay_alu instid0(VALU_DEP_1) | instskip(SKIP_1) | instid1(VALU_DEP_1)
	v_pk_fma_f32 v[8:9], v[6:7], v[0:1], v[4:5] op_sel:[0,0,1] op_sel_hi:[1,1,0] neg_lo:[0,0,1] neg_hi:[0,0,1]
	v_pk_fma_f32 v[4:5], v[6:7], v[0:1], v[4:5] op_sel:[0,0,1] op_sel_hi:[1,0,0]
	v_mov_b32_e32 v9, v5
	ds_load_2addr_b64 v[4:7], v154 offset0:49 offset1:50
	v_pk_add_f32 v[190:191], v[190:191], v[10:11] neg_lo:[0,1] neg_hi:[0,1]
	v_pk_add_f32 v[216:217], v[216:217], v[8:9] neg_lo:[0,1] neg_hi:[0,1]
	s_wait_dscnt 0x0
	v_dual_mul_f32 v8, v5, v3 :: v_dual_mul_f32 v10, v5, v0
	s_delay_alu instid0(VALU_DEP_1) | instskip(NEXT) | instid1(VALU_DEP_2)
	v_pk_fma_f32 v[8:9], v[4:5], v[38:39], v[8:9] op_sel_hi:[1,1,0] neg_lo:[0,0,1] neg_hi:[0,0,1]
	v_pk_fma_f32 v[4:5], v[4:5], v[38:39], v[10:11] op_sel:[1,0,0] op_sel_hi:[0,1,0]
	s_delay_alu instid0(VALU_DEP_1) | instskip(SKIP_1) | instid1(VALU_DEP_2)
	v_mov_b32_e32 v9, v5
	v_pk_mul_f32 v[4:5], v[6:7], v[2:3] op_sel:[0,1]
	v_pk_add_f32 v[210:211], v[210:211], v[8:9] neg_lo:[0,1] neg_hi:[0,1]
	s_delay_alu instid0(VALU_DEP_2) | instskip(SKIP_1) | instid1(VALU_DEP_1)
	v_pk_fma_f32 v[8:9], v[6:7], v[0:1], v[4:5] op_sel:[0,0,1] op_sel_hi:[1,1,0] neg_lo:[0,0,1] neg_hi:[0,0,1]
	v_pk_fma_f32 v[4:5], v[6:7], v[0:1], v[4:5] op_sel:[0,0,1] op_sel_hi:[1,0,0]
	v_mov_b32_e32 v9, v5
	ds_load_2addr_b64 v[4:7], v154 offset0:51 offset1:52
	v_pk_add_f32 v[214:215], v[214:215], v[8:9] neg_lo:[0,1] neg_hi:[0,1]
	s_wait_dscnt 0x0
	v_pk_mul_f32 v[8:9], v[4:5], v[2:3] op_sel:[0,1]
	s_delay_alu instid0(VALU_DEP_1) | instskip(SKIP_1) | instid1(VALU_DEP_1)
	v_pk_fma_f32 v[10:11], v[4:5], v[0:1], v[8:9] op_sel:[0,0,1] op_sel_hi:[1,1,0] neg_lo:[0,0,1] neg_hi:[0,0,1]
	v_pk_fma_f32 v[4:5], v[4:5], v[0:1], v[8:9] op_sel:[0,0,1] op_sel_hi:[1,0,0]
	v_mov_b32_e32 v11, v5
	v_pk_mul_f32 v[4:5], v[6:7], v[2:3] op_sel:[0,1]
	s_delay_alu instid0(VALU_DEP_2) | instskip(NEXT) | instid1(VALU_DEP_2)
	v_pk_add_f32 v[208:209], v[208:209], v[10:11] neg_lo:[0,1] neg_hi:[0,1]
	v_pk_fma_f32 v[8:9], v[6:7], v[0:1], v[4:5] op_sel:[0,0,1] op_sel_hi:[1,1,0] neg_lo:[0,0,1] neg_hi:[0,0,1]
	v_pk_fma_f32 v[4:5], v[6:7], v[0:1], v[4:5] op_sel:[0,0,1] op_sel_hi:[1,0,0]
	s_delay_alu instid0(VALU_DEP_1)
	v_mov_b32_e32 v9, v5
	ds_load_2addr_b64 v[4:7], v154 offset0:53 offset1:54
	v_pk_add_f32 v[212:213], v[212:213], v[8:9] neg_lo:[0,1] neg_hi:[0,1]
	s_wait_dscnt 0x0
	v_pk_mul_f32 v[8:9], v[4:5], v[2:3] op_sel:[0,1]
	v_pk_mul_f32 v[2:3], v[6:7], v[2:3] op_sel:[0,1]
	s_delay_alu instid0(VALU_DEP_2) | instskip(SKIP_1) | instid1(VALU_DEP_1)
	v_pk_fma_f32 v[10:11], v[4:5], v[0:1], v[8:9] op_sel:[0,0,1] op_sel_hi:[1,1,0] neg_lo:[0,0,1] neg_hi:[0,0,1]
	v_pk_fma_f32 v[4:5], v[4:5], v[0:1], v[8:9] op_sel:[0,0,1] op_sel_hi:[1,0,0]
	v_mov_b32_e32 v11, v5
	s_delay_alu instid0(VALU_DEP_4) | instskip(SKIP_1) | instid1(VALU_DEP_3)
	v_pk_fma_f32 v[4:5], v[6:7], v[0:1], v[2:3] op_sel:[0,0,1] op_sel_hi:[1,1,0] neg_lo:[0,0,1] neg_hi:[0,0,1]
	v_pk_fma_f32 v[0:1], v[6:7], v[0:1], v[2:3] op_sel:[0,0,1] op_sel_hi:[1,0,0]
	v_pk_add_f32 v[218:219], v[218:219], v[10:11] neg_lo:[0,1] neg_hi:[0,1]
	s_delay_alu instid0(VALU_DEP_2) | instskip(NEXT) | instid1(VALU_DEP_1)
	v_mov_b32_e32 v5, v1
	v_pk_add_f32 v[220:221], v[220:221], v[4:5] neg_lo:[0,1] neg_hi:[0,1]
.LBB109_100:
	s_wait_xcnt 0x0
	s_or_b32 exec_lo, exec_lo, s1
	s_delay_alu instid0(SALU_CYCLE_1)
	s_mov_b32 s2, exec_lo
	s_wait_storecnt 0x0
	s_barrier_signal -1
	s_barrier_wait -1
	v_cmpx_eq_u32_e32 11, v152
	s_cbranch_execz .LBB109_107
; %bb.101:
	v_dual_mov_b32 v0, v64 :: v_dual_mov_b32 v1, v65
	v_dual_mov_b32 v2, v60 :: v_dual_mov_b32 v3, v61
	ds_store_b64 v153, v[34:35]
	ds_store_2addr_b64 v154, v[0:1], v[2:3] offset0:12 offset1:13
	v_dual_mov_b32 v0, v62 :: v_dual_mov_b32 v1, v63
	v_dual_mov_b32 v2, v58 :: v_dual_mov_b32 v3, v59
	ds_store_2addr_b64 v154, v[0:1], v[2:3] offset0:14 offset1:15
	v_dual_mov_b32 v0, v80 :: v_dual_mov_b32 v1, v81
	v_dual_mov_b32 v2, v76 :: v_dual_mov_b32 v3, v77
	;; [unrolled: 3-line block ×20, first 2 shown]
	ds_store_2addr_b64 v154, v[0:1], v[2:3] offset0:52 offset1:53
	ds_store_b64 v154, v[220:221] offset:432
	ds_load_b64 v[0:1], v153
	s_wait_dscnt 0x0
	v_cmp_neq_f32_e32 vcc_lo, 0, v0
	v_cmp_neq_f32_e64 s1, 0, v1
	s_or_b32 s1, vcc_lo, s1
	s_delay_alu instid0(SALU_CYCLE_1)
	s_and_b32 exec_lo, exec_lo, s1
	s_cbranch_execz .LBB109_107
; %bb.102:
	v_cmp_ngt_f32_e64 s1, |v0|, |v1|
                                        ; implicit-def: $vgpr2_vgpr3
	s_and_saveexec_b32 s4, s1
	s_delay_alu instid0(SALU_CYCLE_1)
	s_xor_b32 s1, exec_lo, s4
	s_cbranch_execz .LBB109_104
; %bb.103:
	v_div_scale_f32 v2, null, v1, v1, v0
	v_div_scale_f32 v5, vcc_lo, v0, v1, v0
	s_delay_alu instid0(VALU_DEP_2) | instskip(SKIP_1) | instid1(TRANS32_DEP_1)
	v_rcp_f32_e32 v3, v2
	v_nop
	v_fma_f32 v4, -v2, v3, 1.0
	s_delay_alu instid0(VALU_DEP_1) | instskip(NEXT) | instid1(VALU_DEP_1)
	v_fmac_f32_e32 v3, v4, v3
	v_mul_f32_e32 v4, v5, v3
	s_delay_alu instid0(VALU_DEP_1) | instskip(NEXT) | instid1(VALU_DEP_1)
	v_fma_f32 v6, -v2, v4, v5
	v_fmac_f32_e32 v4, v6, v3
	s_delay_alu instid0(VALU_DEP_1) | instskip(NEXT) | instid1(VALU_DEP_1)
	v_fma_f32 v2, -v2, v4, v5
	v_div_fmas_f32 v2, v2, v3, v4
	s_delay_alu instid0(VALU_DEP_1) | instskip(NEXT) | instid1(VALU_DEP_1)
	v_div_fixup_f32 v2, v2, v1, v0
	v_fmac_f32_e32 v1, v0, v2
	s_delay_alu instid0(VALU_DEP_1) | instskip(SKIP_1) | instid1(VALU_DEP_2)
	v_div_scale_f32 v0, null, v1, v1, 1.0
	v_div_scale_f32 v5, vcc_lo, 1.0, v1, 1.0
	v_rcp_f32_e32 v3, v0
	v_nop
	s_delay_alu instid0(TRANS32_DEP_1) | instskip(NEXT) | instid1(VALU_DEP_1)
	v_fma_f32 v4, -v0, v3, 1.0
	v_fmac_f32_e32 v3, v4, v3
	s_delay_alu instid0(VALU_DEP_1) | instskip(NEXT) | instid1(VALU_DEP_1)
	v_mul_f32_e32 v4, v5, v3
	v_fma_f32 v6, -v0, v4, v5
	s_delay_alu instid0(VALU_DEP_1) | instskip(NEXT) | instid1(VALU_DEP_1)
	v_fmac_f32_e32 v4, v6, v3
	v_fma_f32 v0, -v0, v4, v5
	s_delay_alu instid0(VALU_DEP_1) | instskip(NEXT) | instid1(VALU_DEP_1)
	v_div_fmas_f32 v0, v0, v3, v4
	v_div_fixup_f32 v0, v0, v1, 1.0
	s_delay_alu instid0(VALU_DEP_1)
	v_mul_f32_e32 v2, v2, v0
	v_xor_b32_e32 v3, 0x80000000, v0
                                        ; implicit-def: $vgpr0_vgpr1
.LBB109_104:
	s_and_not1_saveexec_b32 s1, s1
	s_cbranch_execz .LBB109_106
; %bb.105:
	v_div_scale_f32 v2, null, v0, v0, v1
	v_div_scale_f32 v5, vcc_lo, v1, v0, v1
	s_delay_alu instid0(VALU_DEP_2) | instskip(SKIP_1) | instid1(TRANS32_DEP_1)
	v_rcp_f32_e32 v3, v2
	v_nop
	v_fma_f32 v4, -v2, v3, 1.0
	s_delay_alu instid0(VALU_DEP_1) | instskip(NEXT) | instid1(VALU_DEP_1)
	v_fmac_f32_e32 v3, v4, v3
	v_mul_f32_e32 v4, v5, v3
	s_delay_alu instid0(VALU_DEP_1) | instskip(NEXT) | instid1(VALU_DEP_1)
	v_fma_f32 v6, -v2, v4, v5
	v_fmac_f32_e32 v4, v6, v3
	s_delay_alu instid0(VALU_DEP_1) | instskip(NEXT) | instid1(VALU_DEP_1)
	v_fma_f32 v2, -v2, v4, v5
	v_div_fmas_f32 v2, v2, v3, v4
	s_delay_alu instid0(VALU_DEP_1) | instskip(NEXT) | instid1(VALU_DEP_1)
	v_div_fixup_f32 v3, v2, v0, v1
	v_fmac_f32_e32 v0, v1, v3
	s_delay_alu instid0(VALU_DEP_1) | instskip(NEXT) | instid1(VALU_DEP_1)
	v_div_scale_f32 v1, null, v0, v0, 1.0
	v_rcp_f32_e32 v2, v1
	v_nop
	s_delay_alu instid0(TRANS32_DEP_1) | instskip(NEXT) | instid1(VALU_DEP_1)
	v_fma_f32 v4, -v1, v2, 1.0
	v_fmac_f32_e32 v2, v4, v2
	v_div_scale_f32 v4, vcc_lo, 1.0, v0, 1.0
	s_delay_alu instid0(VALU_DEP_1) | instskip(NEXT) | instid1(VALU_DEP_1)
	v_mul_f32_e32 v5, v4, v2
	v_fma_f32 v6, -v1, v5, v4
	s_delay_alu instid0(VALU_DEP_1) | instskip(NEXT) | instid1(VALU_DEP_1)
	v_fmac_f32_e32 v5, v6, v2
	v_fma_f32 v1, -v1, v5, v4
	s_delay_alu instid0(VALU_DEP_1) | instskip(NEXT) | instid1(VALU_DEP_1)
	v_div_fmas_f32 v1, v1, v2, v5
	v_div_fixup_f32 v2, v1, v0, 1.0
	s_delay_alu instid0(VALU_DEP_1)
	v_mul_f32_e64 v3, v3, -v2
.LBB109_106:
	s_or_b32 exec_lo, exec_lo, s1
	ds_store_b64 v153, v[2:3]
.LBB109_107:
	s_or_b32 exec_lo, exec_lo, s2
	s_wait_dscnt 0x0
	s_barrier_signal -1
	s_barrier_wait -1
	ds_load_b64 v[0:1], v153
	s_mov_b32 s1, exec_lo
	s_wait_dscnt 0x0
	scratch_store_b64 off, v[0:1], off offset:296 ; 8-byte Folded Spill
	s_wait_xcnt 0x0
	v_cmpx_lt_u32_e32 11, v152
	s_cbranch_execz .LBB109_109
; %bb.108:
	scratch_load_b64 v[4:5], off, off offset:296 ; 8-byte Folded Reload
	s_wait_loadcnt 0x0
	v_pk_mul_f32 v[2:3], v[4:5], v[34:35] op_sel:[1,1] op_sel_hi:[0,1]
	s_delay_alu instid0(VALU_DEP_1)
	v_pk_fma_f32 v[0:1], v[4:5], v[34:35], v[2:3] op_sel_hi:[1,0,1] neg_lo:[0,0,1] neg_hi:[0,0,1]
	v_pk_fma_f32 v[2:3], v[4:5], v[34:35], v[2:3] op_sel_hi:[1,0,1]
	ds_load_2addr_b64 v[4:7], v154 offset0:12 offset1:13
	v_dual_mov_b32 v34, v0 :: v_dual_mov_b32 v35, v3
	s_wait_dscnt 0x0
	v_pk_mul_f32 v[8:9], v[4:5], v[2:3] op_sel:[0,1]
	s_delay_alu instid0(VALU_DEP_1) | instskip(SKIP_1) | instid1(VALU_DEP_1)
	v_pk_fma_f32 v[10:11], v[4:5], v[0:1], v[8:9] op_sel:[0,0,1] op_sel_hi:[1,1,0] neg_lo:[0,0,1] neg_hi:[0,0,1]
	v_pk_fma_f32 v[4:5], v[4:5], v[0:1], v[8:9] op_sel:[0,0,1] op_sel_hi:[1,0,0]
	v_mov_b32_e32 v11, v5
	v_pk_mul_f32 v[4:5], v[6:7], v[2:3] op_sel:[0,1]
	s_delay_alu instid0(VALU_DEP_1) | instskip(SKIP_1) | instid1(VALU_DEP_1)
	v_pk_fma_f32 v[8:9], v[6:7], v[0:1], v[4:5] op_sel:[0,0,1] op_sel_hi:[1,1,0] neg_lo:[0,0,1] neg_hi:[0,0,1]
	v_pk_fma_f32 v[4:5], v[6:7], v[0:1], v[4:5] op_sel:[0,0,1] op_sel_hi:[1,0,0]
	v_mov_b32_e32 v9, v5
	ds_load_2addr_b64 v[4:7], v154 offset0:14 offset1:15
	v_pk_add_f32 v[64:65], v[64:65], v[10:11] neg_lo:[0,1] neg_hi:[0,1]
	v_pk_add_f32 v[60:61], v[60:61], v[8:9] neg_lo:[0,1] neg_hi:[0,1]
	s_wait_dscnt 0x0
	v_pk_mul_f32 v[8:9], v[4:5], v[2:3] op_sel:[0,1]
	s_delay_alu instid0(VALU_DEP_1) | instskip(SKIP_2) | instid1(VALU_DEP_2)
	v_pk_fma_f32 v[10:11], v[4:5], v[0:1], v[8:9] op_sel:[0,0,1] op_sel_hi:[1,1,0] neg_lo:[0,0,1] neg_hi:[0,0,1]
	v_pk_fma_f32 v[4:5], v[4:5], v[0:1], v[8:9] op_sel:[0,0,1] op_sel_hi:[1,0,0]
	v_dual_mul_f32 v8, v7, v3 :: v_dual_mov_b32 v4, v7
	v_dual_mov_b32 v11, v5 :: v_dual_mov_b32 v5, v6
	s_delay_alu instid0(VALU_DEP_2) | instskip(SKIP_1) | instid1(VALU_DEP_3)
	v_pk_fma_f32 v[8:9], v[6:7], v[34:35], v[8:9] op_sel_hi:[1,1,0] neg_lo:[0,0,1] neg_hi:[0,0,1]
	v_mul_f32_e32 v6, v7, v0
	v_pk_add_f32 v[62:63], v[62:63], v[10:11] neg_lo:[0,1] neg_hi:[0,1]
	s_delay_alu instid0(VALU_DEP_2) | instskip(NEXT) | instid1(VALU_DEP_1)
	v_pk_fma_f32 v[4:5], v[4:5], v[34:35], v[6:7] op_sel_hi:[1,1,0]
	v_mov_b32_e32 v9, v5
	ds_load_2addr_b64 v[4:7], v154 offset0:16 offset1:17
	v_pk_add_f32 v[58:59], v[58:59], v[8:9] neg_lo:[0,1] neg_hi:[0,1]
	s_wait_dscnt 0x0
	v_pk_mul_f32 v[8:9], v[4:5], v[2:3] op_sel:[0,1]
	s_delay_alu instid0(VALU_DEP_1) | instskip(SKIP_1) | instid1(VALU_DEP_1)
	v_pk_fma_f32 v[10:11], v[4:5], v[0:1], v[8:9] op_sel:[0,0,1] op_sel_hi:[1,1,0] neg_lo:[0,0,1] neg_hi:[0,0,1]
	v_pk_fma_f32 v[4:5], v[4:5], v[0:1], v[8:9] op_sel:[0,0,1] op_sel_hi:[1,0,0]
	v_mov_b32_e32 v11, v5
	v_pk_mul_f32 v[4:5], v[6:7], v[2:3] op_sel:[0,1]
	s_delay_alu instid0(VALU_DEP_1) | instskip(SKIP_1) | instid1(VALU_DEP_1)
	v_pk_fma_f32 v[8:9], v[6:7], v[0:1], v[4:5] op_sel:[0,0,1] op_sel_hi:[1,1,0] neg_lo:[0,0,1] neg_hi:[0,0,1]
	v_pk_fma_f32 v[4:5], v[6:7], v[0:1], v[4:5] op_sel:[0,0,1] op_sel_hi:[1,0,0]
	v_mov_b32_e32 v9, v5
	ds_load_2addr_b64 v[4:7], v154 offset0:18 offset1:19
	v_pk_add_f32 v[80:81], v[80:81], v[10:11] neg_lo:[0,1] neg_hi:[0,1]
	v_pk_add_f32 v[76:77], v[76:77], v[8:9] neg_lo:[0,1] neg_hi:[0,1]
	s_wait_dscnt 0x0
	v_pk_mul_f32 v[8:9], v[4:5], v[2:3] op_sel:[0,1]
	s_delay_alu instid0(VALU_DEP_1) | instskip(SKIP_1) | instid1(VALU_DEP_1)
	v_pk_fma_f32 v[10:11], v[4:5], v[0:1], v[8:9] op_sel:[0,0,1] op_sel_hi:[1,1,0] neg_lo:[0,0,1] neg_hi:[0,0,1]
	v_pk_fma_f32 v[4:5], v[4:5], v[0:1], v[8:9] op_sel:[0,0,1] op_sel_hi:[1,0,0]
	v_mov_b32_e32 v11, v5
	v_pk_mul_f32 v[4:5], v[6:7], v[2:3] op_sel:[0,1]
	s_delay_alu instid0(VALU_DEP_1) | instskip(SKIP_1) | instid1(VALU_DEP_1)
	v_pk_fma_f32 v[8:9], v[6:7], v[0:1], v[4:5] op_sel:[0,0,1] op_sel_hi:[1,1,0] neg_lo:[0,0,1] neg_hi:[0,0,1]
	v_pk_fma_f32 v[4:5], v[6:7], v[0:1], v[4:5] op_sel:[0,0,1] op_sel_hi:[1,0,0]
	v_mov_b32_e32 v9, v5
	ds_load_2addr_b64 v[4:7], v154 offset0:20 offset1:21
	v_pk_add_f32 v[78:79], v[78:79], v[10:11] neg_lo:[0,1] neg_hi:[0,1]
	v_pk_add_f32 v[74:75], v[74:75], v[8:9] neg_lo:[0,1] neg_hi:[0,1]
	s_wait_dscnt 0x0
	v_dual_mul_f32 v8, v5, v3 :: v_dual_mul_f32 v10, v5, v0
	s_delay_alu instid0(VALU_DEP_1) | instskip(NEXT) | instid1(VALU_DEP_2)
	v_pk_fma_f32 v[8:9], v[4:5], v[34:35], v[8:9] op_sel_hi:[1,1,0] neg_lo:[0,0,1] neg_hi:[0,0,1]
	v_pk_fma_f32 v[4:5], v[4:5], v[34:35], v[10:11] op_sel:[1,0,0] op_sel_hi:[0,1,0]
	s_delay_alu instid0(VALU_DEP_1) | instskip(SKIP_1) | instid1(VALU_DEP_2)
	v_mov_b32_e32 v9, v5
	v_pk_mul_f32 v[4:5], v[6:7], v[2:3] op_sel:[0,1]
	v_pk_add_f32 v[96:97], v[96:97], v[8:9] neg_lo:[0,1] neg_hi:[0,1]
	s_delay_alu instid0(VALU_DEP_2) | instskip(SKIP_1) | instid1(VALU_DEP_1)
	v_pk_fma_f32 v[8:9], v[6:7], v[0:1], v[4:5] op_sel:[0,0,1] op_sel_hi:[1,1,0] neg_lo:[0,0,1] neg_hi:[0,0,1]
	v_pk_fma_f32 v[4:5], v[6:7], v[0:1], v[4:5] op_sel:[0,0,1] op_sel_hi:[1,0,0]
	v_mov_b32_e32 v9, v5
	ds_load_2addr_b64 v[4:7], v154 offset0:22 offset1:23
	v_pk_add_f32 v[92:93], v[92:93], v[8:9] neg_lo:[0,1] neg_hi:[0,1]
	s_wait_dscnt 0x0
	v_pk_mul_f32 v[8:9], v[4:5], v[2:3] op_sel:[0,1]
	s_delay_alu instid0(VALU_DEP_1) | instskip(SKIP_1) | instid1(VALU_DEP_1)
	v_pk_fma_f32 v[10:11], v[4:5], v[0:1], v[8:9] op_sel:[0,0,1] op_sel_hi:[1,1,0] neg_lo:[0,0,1] neg_hi:[0,0,1]
	v_pk_fma_f32 v[4:5], v[4:5], v[0:1], v[8:9] op_sel:[0,0,1] op_sel_hi:[1,0,0]
	v_mov_b32_e32 v11, v5
	v_pk_mul_f32 v[4:5], v[6:7], v[2:3] op_sel:[0,1]
	s_delay_alu instid0(VALU_DEP_2) | instskip(NEXT) | instid1(VALU_DEP_2)
	v_pk_add_f32 v[94:95], v[94:95], v[10:11] neg_lo:[0,1] neg_hi:[0,1]
	v_pk_fma_f32 v[8:9], v[6:7], v[0:1], v[4:5] op_sel:[0,0,1] op_sel_hi:[1,1,0] neg_lo:[0,0,1] neg_hi:[0,0,1]
	v_pk_fma_f32 v[4:5], v[6:7], v[0:1], v[4:5] op_sel:[0,0,1] op_sel_hi:[1,0,0]
	s_delay_alu instid0(VALU_DEP_1) | instskip(SKIP_4) | instid1(VALU_DEP_1)
	v_mov_b32_e32 v9, v5
	ds_load_2addr_b64 v[4:7], v154 offset0:24 offset1:25
	v_pk_add_f32 v[90:91], v[90:91], v[8:9] neg_lo:[0,1] neg_hi:[0,1]
	s_wait_dscnt 0x0
	v_pk_mul_f32 v[8:9], v[4:5], v[2:3] op_sel:[0,1]
	v_pk_fma_f32 v[10:11], v[4:5], v[0:1], v[8:9] op_sel:[0,0,1] op_sel_hi:[1,1,0] neg_lo:[0,0,1] neg_hi:[0,0,1]
	v_pk_fma_f32 v[4:5], v[4:5], v[0:1], v[8:9] op_sel:[0,0,1] op_sel_hi:[1,0,0]
	v_dual_mul_f32 v8, v7, v3 :: v_dual_mov_b32 v4, v7
	s_delay_alu instid0(VALU_DEP_2) | instskip(NEXT) | instid1(VALU_DEP_2)
	v_dual_mov_b32 v11, v5 :: v_dual_mov_b32 v5, v6
	v_pk_fma_f32 v[8:9], v[6:7], v[34:35], v[8:9] op_sel_hi:[1,1,0] neg_lo:[0,0,1] neg_hi:[0,0,1]
	v_mul_f32_e32 v6, v7, v0
	s_delay_alu instid0(VALU_DEP_3) | instskip(NEXT) | instid1(VALU_DEP_2)
	v_pk_add_f32 v[114:115], v[114:115], v[10:11] neg_lo:[0,1] neg_hi:[0,1]
	v_pk_fma_f32 v[4:5], v[4:5], v[34:35], v[6:7] op_sel_hi:[1,1,0]
	s_delay_alu instid0(VALU_DEP_1) | instskip(SKIP_4) | instid1(VALU_DEP_1)
	v_mov_b32_e32 v9, v5
	ds_load_2addr_b64 v[4:7], v154 offset0:26 offset1:27
	v_pk_add_f32 v[110:111], v[110:111], v[8:9] neg_lo:[0,1] neg_hi:[0,1]
	s_wait_dscnt 0x0
	v_pk_mul_f32 v[8:9], v[4:5], v[2:3] op_sel:[0,1]
	v_pk_fma_f32 v[10:11], v[4:5], v[0:1], v[8:9] op_sel:[0,0,1] op_sel_hi:[1,1,0] neg_lo:[0,0,1] neg_hi:[0,0,1]
	v_pk_fma_f32 v[4:5], v[4:5], v[0:1], v[8:9] op_sel:[0,0,1] op_sel_hi:[1,0,0]
	s_delay_alu instid0(VALU_DEP_1) | instskip(SKIP_1) | instid1(VALU_DEP_1)
	v_mov_b32_e32 v11, v5
	v_pk_mul_f32 v[4:5], v[6:7], v[2:3] op_sel:[0,1]
	v_pk_fma_f32 v[8:9], v[6:7], v[0:1], v[4:5] op_sel:[0,0,1] op_sel_hi:[1,1,0] neg_lo:[0,0,1] neg_hi:[0,0,1]
	v_pk_fma_f32 v[4:5], v[6:7], v[0:1], v[4:5] op_sel:[0,0,1] op_sel_hi:[1,0,0]
	s_delay_alu instid0(VALU_DEP_1)
	v_mov_b32_e32 v9, v5
	ds_load_2addr_b64 v[4:7], v154 offset0:28 offset1:29
	v_pk_add_f32 v[112:113], v[112:113], v[10:11] neg_lo:[0,1] neg_hi:[0,1]
	v_pk_add_f32 v[108:109], v[108:109], v[8:9] neg_lo:[0,1] neg_hi:[0,1]
	s_wait_dscnt 0x0
	v_pk_mul_f32 v[8:9], v[4:5], v[2:3] op_sel:[0,1]
	s_delay_alu instid0(VALU_DEP_1) | instskip(SKIP_1) | instid1(VALU_DEP_1)
	v_pk_fma_f32 v[10:11], v[4:5], v[0:1], v[8:9] op_sel:[0,0,1] op_sel_hi:[1,1,0] neg_lo:[0,0,1] neg_hi:[0,0,1]
	v_pk_fma_f32 v[4:5], v[4:5], v[0:1], v[8:9] op_sel:[0,0,1] op_sel_hi:[1,0,0]
	v_mov_b32_e32 v11, v5
	v_pk_mul_f32 v[4:5], v[6:7], v[2:3] op_sel:[0,1]
	s_delay_alu instid0(VALU_DEP_1) | instskip(SKIP_1) | instid1(VALU_DEP_1)
	v_pk_fma_f32 v[8:9], v[6:7], v[0:1], v[4:5] op_sel:[0,0,1] op_sel_hi:[1,1,0] neg_lo:[0,0,1] neg_hi:[0,0,1]
	v_pk_fma_f32 v[4:5], v[6:7], v[0:1], v[4:5] op_sel:[0,0,1] op_sel_hi:[1,0,0]
	v_mov_b32_e32 v9, v5
	ds_load_2addr_b64 v[4:7], v154 offset0:30 offset1:31
	v_pk_add_f32 v[130:131], v[130:131], v[10:11] neg_lo:[0,1] neg_hi:[0,1]
	v_pk_add_f32 v[126:127], v[126:127], v[8:9] neg_lo:[0,1] neg_hi:[0,1]
	s_wait_dscnt 0x0
	v_dual_mul_f32 v8, v5, v3 :: v_dual_mul_f32 v10, v5, v0
	s_delay_alu instid0(VALU_DEP_1) | instskip(NEXT) | instid1(VALU_DEP_2)
	v_pk_fma_f32 v[8:9], v[4:5], v[34:35], v[8:9] op_sel_hi:[1,1,0] neg_lo:[0,0,1] neg_hi:[0,0,1]
	v_pk_fma_f32 v[4:5], v[4:5], v[34:35], v[10:11] op_sel:[1,0,0] op_sel_hi:[0,1,0]
	s_delay_alu instid0(VALU_DEP_1) | instskip(SKIP_1) | instid1(VALU_DEP_2)
	v_mov_b32_e32 v9, v5
	v_pk_mul_f32 v[4:5], v[6:7], v[2:3] op_sel:[0,1]
	v_pk_add_f32 v[128:129], v[128:129], v[8:9] neg_lo:[0,1] neg_hi:[0,1]
	s_delay_alu instid0(VALU_DEP_2) | instskip(SKIP_1) | instid1(VALU_DEP_1)
	v_pk_fma_f32 v[8:9], v[6:7], v[0:1], v[4:5] op_sel:[0,0,1] op_sel_hi:[1,1,0] neg_lo:[0,0,1] neg_hi:[0,0,1]
	v_pk_fma_f32 v[4:5], v[6:7], v[0:1], v[4:5] op_sel:[0,0,1] op_sel_hi:[1,0,0]
	v_mov_b32_e32 v9, v5
	ds_load_2addr_b64 v[4:7], v154 offset0:32 offset1:33
	v_pk_add_f32 v[124:125], v[124:125], v[8:9] neg_lo:[0,1] neg_hi:[0,1]
	s_wait_dscnt 0x0
	v_pk_mul_f32 v[8:9], v[4:5], v[2:3] op_sel:[0,1]
	s_delay_alu instid0(VALU_DEP_1) | instskip(SKIP_1) | instid1(VALU_DEP_1)
	v_pk_fma_f32 v[10:11], v[4:5], v[0:1], v[8:9] op_sel:[0,0,1] op_sel_hi:[1,1,0] neg_lo:[0,0,1] neg_hi:[0,0,1]
	v_pk_fma_f32 v[4:5], v[4:5], v[0:1], v[8:9] op_sel:[0,0,1] op_sel_hi:[1,0,0]
	v_mov_b32_e32 v11, v5
	v_pk_mul_f32 v[4:5], v[6:7], v[2:3] op_sel:[0,1]
	s_delay_alu instid0(VALU_DEP_2) | instskip(NEXT) | instid1(VALU_DEP_2)
	v_pk_add_f32 v[146:147], v[146:147], v[10:11] neg_lo:[0,1] neg_hi:[0,1]
	v_pk_fma_f32 v[8:9], v[6:7], v[0:1], v[4:5] op_sel:[0,0,1] op_sel_hi:[1,1,0] neg_lo:[0,0,1] neg_hi:[0,0,1]
	v_pk_fma_f32 v[4:5], v[6:7], v[0:1], v[4:5] op_sel:[0,0,1] op_sel_hi:[1,0,0]
	s_delay_alu instid0(VALU_DEP_1) | instskip(SKIP_4) | instid1(VALU_DEP_1)
	v_mov_b32_e32 v9, v5
	ds_load_2addr_b64 v[4:7], v154 offset0:34 offset1:35
	v_pk_add_f32 v[142:143], v[142:143], v[8:9] neg_lo:[0,1] neg_hi:[0,1]
	s_wait_dscnt 0x0
	v_pk_mul_f32 v[8:9], v[4:5], v[2:3] op_sel:[0,1]
	v_pk_fma_f32 v[10:11], v[4:5], v[0:1], v[8:9] op_sel:[0,0,1] op_sel_hi:[1,1,0] neg_lo:[0,0,1] neg_hi:[0,0,1]
	v_pk_fma_f32 v[4:5], v[4:5], v[0:1], v[8:9] op_sel:[0,0,1] op_sel_hi:[1,0,0]
	v_dual_mul_f32 v8, v7, v3 :: v_dual_mov_b32 v4, v7
	s_delay_alu instid0(VALU_DEP_2) | instskip(NEXT) | instid1(VALU_DEP_2)
	v_dual_mov_b32 v11, v5 :: v_dual_mov_b32 v5, v6
	v_pk_fma_f32 v[8:9], v[6:7], v[34:35], v[8:9] op_sel_hi:[1,1,0] neg_lo:[0,0,1] neg_hi:[0,0,1]
	v_mul_f32_e32 v6, v7, v0
	s_delay_alu instid0(VALU_DEP_3) | instskip(NEXT) | instid1(VALU_DEP_2)
	v_pk_add_f32 v[144:145], v[144:145], v[10:11] neg_lo:[0,1] neg_hi:[0,1]
	v_pk_fma_f32 v[4:5], v[4:5], v[34:35], v[6:7] op_sel_hi:[1,1,0]
	s_delay_alu instid0(VALU_DEP_1) | instskip(SKIP_4) | instid1(VALU_DEP_1)
	v_mov_b32_e32 v9, v5
	ds_load_2addr_b64 v[4:7], v154 offset0:36 offset1:37
	v_pk_add_f32 v[140:141], v[140:141], v[8:9] neg_lo:[0,1] neg_hi:[0,1]
	s_wait_dscnt 0x0
	v_pk_mul_f32 v[8:9], v[4:5], v[2:3] op_sel:[0,1]
	v_pk_fma_f32 v[10:11], v[4:5], v[0:1], v[8:9] op_sel:[0,0,1] op_sel_hi:[1,1,0] neg_lo:[0,0,1] neg_hi:[0,0,1]
	v_pk_fma_f32 v[4:5], v[4:5], v[0:1], v[8:9] op_sel:[0,0,1] op_sel_hi:[1,0,0]
	s_delay_alu instid0(VALU_DEP_1) | instskip(SKIP_1) | instid1(VALU_DEP_1)
	v_mov_b32_e32 v11, v5
	v_pk_mul_f32 v[4:5], v[6:7], v[2:3] op_sel:[0,1]
	v_pk_fma_f32 v[8:9], v[6:7], v[0:1], v[4:5] op_sel:[0,0,1] op_sel_hi:[1,1,0] neg_lo:[0,0,1] neg_hi:[0,0,1]
	v_pk_fma_f32 v[4:5], v[6:7], v[0:1], v[4:5] op_sel:[0,0,1] op_sel_hi:[1,0,0]
	s_delay_alu instid0(VALU_DEP_1)
	v_mov_b32_e32 v9, v5
	ds_load_2addr_b64 v[4:7], v154 offset0:38 offset1:39
	v_pk_add_f32 v[162:163], v[162:163], v[10:11] neg_lo:[0,1] neg_hi:[0,1]
	v_pk_add_f32 v[158:159], v[158:159], v[8:9] neg_lo:[0,1] neg_hi:[0,1]
	s_wait_dscnt 0x0
	v_pk_mul_f32 v[8:9], v[4:5], v[2:3] op_sel:[0,1]
	s_delay_alu instid0(VALU_DEP_1) | instskip(SKIP_1) | instid1(VALU_DEP_1)
	v_pk_fma_f32 v[10:11], v[4:5], v[0:1], v[8:9] op_sel:[0,0,1] op_sel_hi:[1,1,0] neg_lo:[0,0,1] neg_hi:[0,0,1]
	v_pk_fma_f32 v[4:5], v[4:5], v[0:1], v[8:9] op_sel:[0,0,1] op_sel_hi:[1,0,0]
	v_mov_b32_e32 v11, v5
	v_pk_mul_f32 v[4:5], v[6:7], v[2:3] op_sel:[0,1]
	s_delay_alu instid0(VALU_DEP_1) | instskip(SKIP_1) | instid1(VALU_DEP_1)
	v_pk_fma_f32 v[8:9], v[6:7], v[0:1], v[4:5] op_sel:[0,0,1] op_sel_hi:[1,1,0] neg_lo:[0,0,1] neg_hi:[0,0,1]
	v_pk_fma_f32 v[4:5], v[6:7], v[0:1], v[4:5] op_sel:[0,0,1] op_sel_hi:[1,0,0]
	v_mov_b32_e32 v9, v5
	ds_load_2addr_b64 v[4:7], v154 offset0:40 offset1:41
	v_pk_add_f32 v[160:161], v[160:161], v[10:11] neg_lo:[0,1] neg_hi:[0,1]
	v_pk_add_f32 v[156:157], v[156:157], v[8:9] neg_lo:[0,1] neg_hi:[0,1]
	s_wait_dscnt 0x0
	v_dual_mul_f32 v8, v5, v3 :: v_dual_mul_f32 v10, v5, v0
	s_delay_alu instid0(VALU_DEP_1) | instskip(NEXT) | instid1(VALU_DEP_2)
	v_pk_fma_f32 v[8:9], v[4:5], v[34:35], v[8:9] op_sel_hi:[1,1,0] neg_lo:[0,0,1] neg_hi:[0,0,1]
	v_pk_fma_f32 v[4:5], v[4:5], v[34:35], v[10:11] op_sel:[1,0,0] op_sel_hi:[0,1,0]
	s_delay_alu instid0(VALU_DEP_1) | instskip(SKIP_1) | instid1(VALU_DEP_2)
	v_mov_b32_e32 v9, v5
	v_pk_mul_f32 v[4:5], v[6:7], v[2:3] op_sel:[0,1]
	v_pk_add_f32 v[178:179], v[178:179], v[8:9] neg_lo:[0,1] neg_hi:[0,1]
	s_delay_alu instid0(VALU_DEP_2) | instskip(SKIP_1) | instid1(VALU_DEP_1)
	v_pk_fma_f32 v[8:9], v[6:7], v[0:1], v[4:5] op_sel:[0,0,1] op_sel_hi:[1,1,0] neg_lo:[0,0,1] neg_hi:[0,0,1]
	v_pk_fma_f32 v[4:5], v[6:7], v[0:1], v[4:5] op_sel:[0,0,1] op_sel_hi:[1,0,0]
	v_mov_b32_e32 v9, v5
	ds_load_2addr_b64 v[4:7], v154 offset0:42 offset1:43
	v_pk_add_f32 v[174:175], v[174:175], v[8:9] neg_lo:[0,1] neg_hi:[0,1]
	s_wait_dscnt 0x0
	v_pk_mul_f32 v[8:9], v[4:5], v[2:3] op_sel:[0,1]
	s_delay_alu instid0(VALU_DEP_1) | instskip(SKIP_1) | instid1(VALU_DEP_1)
	v_pk_fma_f32 v[10:11], v[4:5], v[0:1], v[8:9] op_sel:[0,0,1] op_sel_hi:[1,1,0] neg_lo:[0,0,1] neg_hi:[0,0,1]
	v_pk_fma_f32 v[4:5], v[4:5], v[0:1], v[8:9] op_sel:[0,0,1] op_sel_hi:[1,0,0]
	v_mov_b32_e32 v11, v5
	v_pk_mul_f32 v[4:5], v[6:7], v[2:3] op_sel:[0,1]
	s_delay_alu instid0(VALU_DEP_2) | instskip(NEXT) | instid1(VALU_DEP_2)
	v_pk_add_f32 v[176:177], v[176:177], v[10:11] neg_lo:[0,1] neg_hi:[0,1]
	v_pk_fma_f32 v[8:9], v[6:7], v[0:1], v[4:5] op_sel:[0,0,1] op_sel_hi:[1,1,0] neg_lo:[0,0,1] neg_hi:[0,0,1]
	v_pk_fma_f32 v[4:5], v[6:7], v[0:1], v[4:5] op_sel:[0,0,1] op_sel_hi:[1,0,0]
	s_delay_alu instid0(VALU_DEP_1) | instskip(SKIP_4) | instid1(VALU_DEP_1)
	v_mov_b32_e32 v9, v5
	ds_load_2addr_b64 v[4:7], v154 offset0:44 offset1:45
	v_pk_add_f32 v[172:173], v[172:173], v[8:9] neg_lo:[0,1] neg_hi:[0,1]
	s_wait_dscnt 0x0
	v_pk_mul_f32 v[8:9], v[4:5], v[2:3] op_sel:[0,1]
	v_pk_fma_f32 v[10:11], v[4:5], v[0:1], v[8:9] op_sel:[0,0,1] op_sel_hi:[1,1,0] neg_lo:[0,0,1] neg_hi:[0,0,1]
	v_pk_fma_f32 v[4:5], v[4:5], v[0:1], v[8:9] op_sel:[0,0,1] op_sel_hi:[1,0,0]
	v_dual_mul_f32 v8, v7, v3 :: v_dual_mov_b32 v4, v7
	s_delay_alu instid0(VALU_DEP_2) | instskip(NEXT) | instid1(VALU_DEP_2)
	v_dual_mov_b32 v11, v5 :: v_dual_mov_b32 v5, v6
	v_pk_fma_f32 v[8:9], v[6:7], v[34:35], v[8:9] op_sel_hi:[1,1,0] neg_lo:[0,0,1] neg_hi:[0,0,1]
	v_mul_f32_e32 v6, v7, v0
	s_delay_alu instid0(VALU_DEP_3) | instskip(NEXT) | instid1(VALU_DEP_2)
	v_pk_add_f32 v[196:197], v[196:197], v[10:11] neg_lo:[0,1] neg_hi:[0,1]
	v_pk_fma_f32 v[4:5], v[4:5], v[34:35], v[6:7] op_sel_hi:[1,1,0]
	s_delay_alu instid0(VALU_DEP_1) | instskip(SKIP_4) | instid1(VALU_DEP_1)
	v_mov_b32_e32 v9, v5
	ds_load_2addr_b64 v[4:7], v154 offset0:46 offset1:47
	v_pk_add_f32 v[192:193], v[192:193], v[8:9] neg_lo:[0,1] neg_hi:[0,1]
	s_wait_dscnt 0x0
	v_pk_mul_f32 v[8:9], v[4:5], v[2:3] op_sel:[0,1]
	v_pk_fma_f32 v[10:11], v[4:5], v[0:1], v[8:9] op_sel:[0,0,1] op_sel_hi:[1,1,0] neg_lo:[0,0,1] neg_hi:[0,0,1]
	v_pk_fma_f32 v[4:5], v[4:5], v[0:1], v[8:9] op_sel:[0,0,1] op_sel_hi:[1,0,0]
	s_delay_alu instid0(VALU_DEP_1) | instskip(SKIP_1) | instid1(VALU_DEP_1)
	v_mov_b32_e32 v11, v5
	v_pk_mul_f32 v[4:5], v[6:7], v[2:3] op_sel:[0,1]
	v_pk_fma_f32 v[8:9], v[6:7], v[0:1], v[4:5] op_sel:[0,0,1] op_sel_hi:[1,1,0] neg_lo:[0,0,1] neg_hi:[0,0,1]
	v_pk_fma_f32 v[4:5], v[6:7], v[0:1], v[4:5] op_sel:[0,0,1] op_sel_hi:[1,0,0]
	s_delay_alu instid0(VALU_DEP_1)
	v_mov_b32_e32 v9, v5
	ds_load_2addr_b64 v[4:7], v154 offset0:48 offset1:49
	v_pk_add_f32 v[194:195], v[194:195], v[10:11] neg_lo:[0,1] neg_hi:[0,1]
	v_pk_add_f32 v[190:191], v[190:191], v[8:9] neg_lo:[0,1] neg_hi:[0,1]
	s_wait_dscnt 0x0
	v_pk_mul_f32 v[8:9], v[4:5], v[2:3] op_sel:[0,1]
	s_delay_alu instid0(VALU_DEP_1) | instskip(SKIP_1) | instid1(VALU_DEP_1)
	v_pk_fma_f32 v[10:11], v[4:5], v[0:1], v[8:9] op_sel:[0,0,1] op_sel_hi:[1,1,0] neg_lo:[0,0,1] neg_hi:[0,0,1]
	v_pk_fma_f32 v[4:5], v[4:5], v[0:1], v[8:9] op_sel:[0,0,1] op_sel_hi:[1,0,0]
	v_mov_b32_e32 v11, v5
	v_pk_mul_f32 v[4:5], v[6:7], v[2:3] op_sel:[0,1]
	s_delay_alu instid0(VALU_DEP_1) | instskip(SKIP_1) | instid1(VALU_DEP_1)
	v_pk_fma_f32 v[8:9], v[6:7], v[0:1], v[4:5] op_sel:[0,0,1] op_sel_hi:[1,1,0] neg_lo:[0,0,1] neg_hi:[0,0,1]
	v_pk_fma_f32 v[4:5], v[6:7], v[0:1], v[4:5] op_sel:[0,0,1] op_sel_hi:[1,0,0]
	v_mov_b32_e32 v9, v5
	ds_load_2addr_b64 v[4:7], v154 offset0:50 offset1:51
	v_pk_add_f32 v[216:217], v[216:217], v[10:11] neg_lo:[0,1] neg_hi:[0,1]
	v_pk_add_f32 v[210:211], v[210:211], v[8:9] neg_lo:[0,1] neg_hi:[0,1]
	s_wait_dscnt 0x0
	v_dual_mul_f32 v8, v5, v3 :: v_dual_mul_f32 v10, v5, v0
	s_delay_alu instid0(VALU_DEP_1) | instskip(NEXT) | instid1(VALU_DEP_2)
	v_pk_fma_f32 v[8:9], v[4:5], v[34:35], v[8:9] op_sel_hi:[1,1,0] neg_lo:[0,0,1] neg_hi:[0,0,1]
	v_pk_fma_f32 v[4:5], v[4:5], v[34:35], v[10:11] op_sel:[1,0,0] op_sel_hi:[0,1,0]
	s_delay_alu instid0(VALU_DEP_1) | instskip(SKIP_1) | instid1(VALU_DEP_2)
	v_mov_b32_e32 v9, v5
	v_pk_mul_f32 v[4:5], v[6:7], v[2:3] op_sel:[0,1]
	v_pk_add_f32 v[214:215], v[214:215], v[8:9] neg_lo:[0,1] neg_hi:[0,1]
	s_delay_alu instid0(VALU_DEP_2) | instskip(SKIP_1) | instid1(VALU_DEP_1)
	v_pk_fma_f32 v[8:9], v[6:7], v[0:1], v[4:5] op_sel:[0,0,1] op_sel_hi:[1,1,0] neg_lo:[0,0,1] neg_hi:[0,0,1]
	v_pk_fma_f32 v[4:5], v[6:7], v[0:1], v[4:5] op_sel:[0,0,1] op_sel_hi:[1,0,0]
	v_mov_b32_e32 v9, v5
	ds_load_2addr_b64 v[4:7], v154 offset0:52 offset1:53
	v_pk_add_f32 v[208:209], v[208:209], v[8:9] neg_lo:[0,1] neg_hi:[0,1]
	s_wait_dscnt 0x0
	v_pk_mul_f32 v[8:9], v[4:5], v[2:3] op_sel:[0,1]
	s_delay_alu instid0(VALU_DEP_1) | instskip(SKIP_1) | instid1(VALU_DEP_1)
	v_pk_fma_f32 v[10:11], v[4:5], v[0:1], v[8:9] op_sel:[0,0,1] op_sel_hi:[1,1,0] neg_lo:[0,0,1] neg_hi:[0,0,1]
	v_pk_fma_f32 v[4:5], v[4:5], v[0:1], v[8:9] op_sel:[0,0,1] op_sel_hi:[1,0,0]
	v_mov_b32_e32 v11, v5
	v_pk_mul_f32 v[4:5], v[6:7], v[2:3] op_sel:[0,1]
	s_delay_alu instid0(VALU_DEP_2) | instskip(NEXT) | instid1(VALU_DEP_2)
	v_pk_add_f32 v[212:213], v[212:213], v[10:11] neg_lo:[0,1] neg_hi:[0,1]
	v_pk_fma_f32 v[8:9], v[6:7], v[0:1], v[4:5] op_sel:[0,0,1] op_sel_hi:[1,1,0] neg_lo:[0,0,1] neg_hi:[0,0,1]
	v_pk_fma_f32 v[4:5], v[6:7], v[0:1], v[4:5] op_sel:[0,0,1] op_sel_hi:[1,0,0]
	s_delay_alu instid0(VALU_DEP_1) | instskip(SKIP_4) | instid1(VALU_DEP_1)
	v_mov_b32_e32 v9, v5
	ds_load_b64 v[4:5], v154 offset:432
	v_pk_add_f32 v[218:219], v[218:219], v[8:9] neg_lo:[0,1] neg_hi:[0,1]
	s_wait_dscnt 0x0
	v_pk_mul_f32 v[2:3], v[4:5], v[2:3] op_sel:[0,1]
	v_pk_fma_f32 v[6:7], v[4:5], v[0:1], v[2:3] op_sel:[0,0,1] op_sel_hi:[1,1,0] neg_lo:[0,0,1] neg_hi:[0,0,1]
	v_pk_fma_f32 v[0:1], v[4:5], v[0:1], v[2:3] op_sel:[0,0,1] op_sel_hi:[1,0,0]
	s_delay_alu instid0(VALU_DEP_1) | instskip(NEXT) | instid1(VALU_DEP_1)
	v_mov_b32_e32 v7, v1
	v_pk_add_f32 v[220:221], v[220:221], v[6:7] neg_lo:[0,1] neg_hi:[0,1]
.LBB109_109:
	s_wait_xcnt 0x0
	s_or_b32 exec_lo, exec_lo, s1
	s_delay_alu instid0(SALU_CYCLE_1)
	s_mov_b32 s2, exec_lo
	s_wait_storecnt 0x0
	s_barrier_signal -1
	s_barrier_wait -1
	v_cmpx_eq_u32_e32 12, v152
	s_cbranch_execz .LBB109_116
; %bb.110:
	ds_store_b64 v153, v[64:65]
	ds_store_2addr_b64 v154, v[60:61], v[62:63] offset0:13 offset1:14
	ds_store_2addr_b64 v154, v[58:59], v[80:81] offset0:15 offset1:16
	ds_store_2addr_b64 v154, v[76:77], v[78:79] offset0:17 offset1:18
	ds_store_2addr_b64 v154, v[74:75], v[96:97] offset0:19 offset1:20
	ds_store_2addr_b64 v154, v[92:93], v[94:95] offset0:21 offset1:22
	ds_store_2addr_b64 v154, v[90:91], v[114:115] offset0:23 offset1:24
	ds_store_2addr_b64 v154, v[110:111], v[112:113] offset0:25 offset1:26
	ds_store_2addr_b64 v154, v[108:109], v[130:131] offset0:27 offset1:28
	ds_store_2addr_b64 v154, v[126:127], v[128:129] offset0:29 offset1:30
	ds_store_2addr_b64 v154, v[124:125], v[146:147] offset0:31 offset1:32
	ds_store_2addr_b64 v154, v[142:143], v[144:145] offset0:33 offset1:34
	ds_store_2addr_b64 v154, v[140:141], v[162:163] offset0:35 offset1:36
	ds_store_2addr_b64 v154, v[158:159], v[160:161] offset0:37 offset1:38
	ds_store_2addr_b64 v154, v[156:157], v[178:179] offset0:39 offset1:40
	ds_store_2addr_b64 v154, v[174:175], v[176:177] offset0:41 offset1:42
	ds_store_2addr_b64 v154, v[172:173], v[196:197] offset0:43 offset1:44
	ds_store_2addr_b64 v154, v[192:193], v[194:195] offset0:45 offset1:46
	ds_store_2addr_b64 v154, v[190:191], v[216:217] offset0:47 offset1:48
	ds_store_2addr_b64 v154, v[210:211], v[214:215] offset0:49 offset1:50
	ds_store_2addr_b64 v154, v[208:209], v[212:213] offset0:51 offset1:52
	ds_store_2addr_b64 v154, v[218:219], v[220:221] offset0:53 offset1:54
	ds_load_b64 v[0:1], v153
	s_wait_dscnt 0x0
	v_cmp_neq_f32_e32 vcc_lo, 0, v0
	v_cmp_neq_f32_e64 s1, 0, v1
	s_or_b32 s1, vcc_lo, s1
	s_delay_alu instid0(SALU_CYCLE_1)
	s_and_b32 exec_lo, exec_lo, s1
	s_cbranch_execz .LBB109_116
; %bb.111:
	v_cmp_ngt_f32_e64 s1, |v0|, |v1|
                                        ; implicit-def: $vgpr2_vgpr3
	s_and_saveexec_b32 s4, s1
	s_delay_alu instid0(SALU_CYCLE_1)
	s_xor_b32 s1, exec_lo, s4
	s_cbranch_execz .LBB109_113
; %bb.112:
	v_div_scale_f32 v2, null, v1, v1, v0
	v_div_scale_f32 v5, vcc_lo, v0, v1, v0
	s_delay_alu instid0(VALU_DEP_2) | instskip(SKIP_1) | instid1(TRANS32_DEP_1)
	v_rcp_f32_e32 v3, v2
	v_nop
	v_fma_f32 v4, -v2, v3, 1.0
	s_delay_alu instid0(VALU_DEP_1) | instskip(NEXT) | instid1(VALU_DEP_1)
	v_fmac_f32_e32 v3, v4, v3
	v_mul_f32_e32 v4, v5, v3
	s_delay_alu instid0(VALU_DEP_1) | instskip(NEXT) | instid1(VALU_DEP_1)
	v_fma_f32 v6, -v2, v4, v5
	v_fmac_f32_e32 v4, v6, v3
	s_delay_alu instid0(VALU_DEP_1) | instskip(NEXT) | instid1(VALU_DEP_1)
	v_fma_f32 v2, -v2, v4, v5
	v_div_fmas_f32 v2, v2, v3, v4
	s_delay_alu instid0(VALU_DEP_1) | instskip(NEXT) | instid1(VALU_DEP_1)
	v_div_fixup_f32 v2, v2, v1, v0
	v_fmac_f32_e32 v1, v0, v2
	s_delay_alu instid0(VALU_DEP_1) | instskip(SKIP_1) | instid1(VALU_DEP_2)
	v_div_scale_f32 v0, null, v1, v1, 1.0
	v_div_scale_f32 v5, vcc_lo, 1.0, v1, 1.0
	v_rcp_f32_e32 v3, v0
	v_nop
	s_delay_alu instid0(TRANS32_DEP_1) | instskip(NEXT) | instid1(VALU_DEP_1)
	v_fma_f32 v4, -v0, v3, 1.0
	v_fmac_f32_e32 v3, v4, v3
	s_delay_alu instid0(VALU_DEP_1) | instskip(NEXT) | instid1(VALU_DEP_1)
	v_mul_f32_e32 v4, v5, v3
	v_fma_f32 v6, -v0, v4, v5
	s_delay_alu instid0(VALU_DEP_1) | instskip(NEXT) | instid1(VALU_DEP_1)
	v_fmac_f32_e32 v4, v6, v3
	v_fma_f32 v0, -v0, v4, v5
	s_delay_alu instid0(VALU_DEP_1) | instskip(NEXT) | instid1(VALU_DEP_1)
	v_div_fmas_f32 v0, v0, v3, v4
	v_div_fixup_f32 v0, v0, v1, 1.0
	s_delay_alu instid0(VALU_DEP_1)
	v_mul_f32_e32 v2, v2, v0
	v_xor_b32_e32 v3, 0x80000000, v0
                                        ; implicit-def: $vgpr0_vgpr1
.LBB109_113:
	s_and_not1_saveexec_b32 s1, s1
	s_cbranch_execz .LBB109_115
; %bb.114:
	v_div_scale_f32 v2, null, v0, v0, v1
	v_div_scale_f32 v5, vcc_lo, v1, v0, v1
	s_delay_alu instid0(VALU_DEP_2) | instskip(SKIP_1) | instid1(TRANS32_DEP_1)
	v_rcp_f32_e32 v3, v2
	v_nop
	v_fma_f32 v4, -v2, v3, 1.0
	s_delay_alu instid0(VALU_DEP_1) | instskip(NEXT) | instid1(VALU_DEP_1)
	v_fmac_f32_e32 v3, v4, v3
	v_mul_f32_e32 v4, v5, v3
	s_delay_alu instid0(VALU_DEP_1) | instskip(NEXT) | instid1(VALU_DEP_1)
	v_fma_f32 v6, -v2, v4, v5
	v_fmac_f32_e32 v4, v6, v3
	s_delay_alu instid0(VALU_DEP_1) | instskip(NEXT) | instid1(VALU_DEP_1)
	v_fma_f32 v2, -v2, v4, v5
	v_div_fmas_f32 v2, v2, v3, v4
	s_delay_alu instid0(VALU_DEP_1) | instskip(NEXT) | instid1(VALU_DEP_1)
	v_div_fixup_f32 v3, v2, v0, v1
	v_fmac_f32_e32 v0, v1, v3
	s_delay_alu instid0(VALU_DEP_1) | instskip(NEXT) | instid1(VALU_DEP_1)
	v_div_scale_f32 v1, null, v0, v0, 1.0
	v_rcp_f32_e32 v2, v1
	v_nop
	s_delay_alu instid0(TRANS32_DEP_1) | instskip(NEXT) | instid1(VALU_DEP_1)
	v_fma_f32 v4, -v1, v2, 1.0
	v_fmac_f32_e32 v2, v4, v2
	v_div_scale_f32 v4, vcc_lo, 1.0, v0, 1.0
	s_delay_alu instid0(VALU_DEP_1) | instskip(NEXT) | instid1(VALU_DEP_1)
	v_mul_f32_e32 v5, v4, v2
	v_fma_f32 v6, -v1, v5, v4
	s_delay_alu instid0(VALU_DEP_1) | instskip(NEXT) | instid1(VALU_DEP_1)
	v_fmac_f32_e32 v5, v6, v2
	v_fma_f32 v1, -v1, v5, v4
	s_delay_alu instid0(VALU_DEP_1) | instskip(NEXT) | instid1(VALU_DEP_1)
	v_div_fmas_f32 v1, v1, v2, v5
	v_div_fixup_f32 v2, v1, v0, 1.0
	s_delay_alu instid0(VALU_DEP_1)
	v_mul_f32_e64 v3, v3, -v2
.LBB109_115:
	s_or_b32 exec_lo, exec_lo, s1
	ds_store_b64 v153, v[2:3]
.LBB109_116:
	s_or_b32 exec_lo, exec_lo, s2
	s_wait_dscnt 0x0
	s_barrier_signal -1
	s_barrier_wait -1
	ds_load_b64 v[0:1], v153
	s_mov_b32 s1, exec_lo
	s_wait_dscnt 0x0
	scratch_store_b64 off, v[0:1], off offset:304 ; 8-byte Folded Spill
	s_wait_xcnt 0x0
	v_cmpx_lt_u32_e32 12, v152
	s_cbranch_execz .LBB109_118
; %bb.117:
	scratch_load_b64 v[4:5], off, off offset:304 ; 8-byte Folded Reload
	s_wait_loadcnt 0x0
	v_pk_mul_f32 v[2:3], v[4:5], v[64:65] op_sel:[1,1] op_sel_hi:[0,1]
	s_delay_alu instid0(VALU_DEP_1)
	v_pk_fma_f32 v[0:1], v[4:5], v[64:65], v[2:3] op_sel_hi:[1,0,1] neg_lo:[0,0,1] neg_hi:[0,0,1]
	v_pk_fma_f32 v[2:3], v[4:5], v[64:65], v[2:3] op_sel_hi:[1,0,1]
	ds_load_2addr_b64 v[4:7], v154 offset0:13 offset1:14
	v_dual_mov_b32 v64, v0 :: v_dual_mov_b32 v65, v3
	s_wait_dscnt 0x0
	v_pk_mul_f32 v[8:9], v[4:5], v[2:3] op_sel:[0,1]
	s_delay_alu instid0(VALU_DEP_1) | instskip(SKIP_1) | instid1(VALU_DEP_1)
	v_pk_fma_f32 v[10:11], v[4:5], v[0:1], v[8:9] op_sel:[0,0,1] op_sel_hi:[1,1,0] neg_lo:[0,0,1] neg_hi:[0,0,1]
	v_pk_fma_f32 v[4:5], v[4:5], v[0:1], v[8:9] op_sel:[0,0,1] op_sel_hi:[1,0,0]
	v_mov_b32_e32 v11, v5
	v_pk_mul_f32 v[4:5], v[6:7], v[2:3] op_sel:[0,1]
	s_delay_alu instid0(VALU_DEP_1) | instskip(SKIP_1) | instid1(VALU_DEP_1)
	v_pk_fma_f32 v[8:9], v[6:7], v[0:1], v[4:5] op_sel:[0,0,1] op_sel_hi:[1,1,0] neg_lo:[0,0,1] neg_hi:[0,0,1]
	v_pk_fma_f32 v[4:5], v[6:7], v[0:1], v[4:5] op_sel:[0,0,1] op_sel_hi:[1,0,0]
	v_mov_b32_e32 v9, v5
	ds_load_2addr_b64 v[4:7], v154 offset0:15 offset1:16
	v_pk_add_f32 v[60:61], v[60:61], v[10:11] neg_lo:[0,1] neg_hi:[0,1]
	v_pk_add_f32 v[62:63], v[62:63], v[8:9] neg_lo:[0,1] neg_hi:[0,1]
	s_wait_dscnt 0x0
	v_pk_mul_f32 v[8:9], v[4:5], v[2:3] op_sel:[0,1]
	s_delay_alu instid0(VALU_DEP_1) | instskip(SKIP_2) | instid1(VALU_DEP_2)
	v_pk_fma_f32 v[10:11], v[4:5], v[0:1], v[8:9] op_sel:[0,0,1] op_sel_hi:[1,1,0] neg_lo:[0,0,1] neg_hi:[0,0,1]
	v_pk_fma_f32 v[4:5], v[4:5], v[0:1], v[8:9] op_sel:[0,0,1] op_sel_hi:[1,0,0]
	v_dual_mul_f32 v8, v7, v3 :: v_dual_mov_b32 v4, v7
	v_dual_mov_b32 v11, v5 :: v_dual_mov_b32 v5, v6
	s_delay_alu instid0(VALU_DEP_2) | instskip(SKIP_1) | instid1(VALU_DEP_3)
	v_pk_fma_f32 v[8:9], v[6:7], v[64:65], v[8:9] op_sel_hi:[1,1,0] neg_lo:[0,0,1] neg_hi:[0,0,1]
	v_mul_f32_e32 v6, v7, v0
	v_pk_add_f32 v[58:59], v[58:59], v[10:11] neg_lo:[0,1] neg_hi:[0,1]
	s_delay_alu instid0(VALU_DEP_2) | instskip(NEXT) | instid1(VALU_DEP_1)
	v_pk_fma_f32 v[4:5], v[4:5], v[64:65], v[6:7] op_sel_hi:[1,1,0]
	v_mov_b32_e32 v9, v5
	ds_load_2addr_b64 v[4:7], v154 offset0:17 offset1:18
	v_pk_add_f32 v[80:81], v[80:81], v[8:9] neg_lo:[0,1] neg_hi:[0,1]
	s_wait_dscnt 0x0
	v_pk_mul_f32 v[8:9], v[4:5], v[2:3] op_sel:[0,1]
	s_delay_alu instid0(VALU_DEP_1) | instskip(SKIP_1) | instid1(VALU_DEP_1)
	v_pk_fma_f32 v[10:11], v[4:5], v[0:1], v[8:9] op_sel:[0,0,1] op_sel_hi:[1,1,0] neg_lo:[0,0,1] neg_hi:[0,0,1]
	v_pk_fma_f32 v[4:5], v[4:5], v[0:1], v[8:9] op_sel:[0,0,1] op_sel_hi:[1,0,0]
	v_mov_b32_e32 v11, v5
	v_pk_mul_f32 v[4:5], v[6:7], v[2:3] op_sel:[0,1]
	s_delay_alu instid0(VALU_DEP_1) | instskip(SKIP_1) | instid1(VALU_DEP_1)
	v_pk_fma_f32 v[8:9], v[6:7], v[0:1], v[4:5] op_sel:[0,0,1] op_sel_hi:[1,1,0] neg_lo:[0,0,1] neg_hi:[0,0,1]
	v_pk_fma_f32 v[4:5], v[6:7], v[0:1], v[4:5] op_sel:[0,0,1] op_sel_hi:[1,0,0]
	v_mov_b32_e32 v9, v5
	ds_load_2addr_b64 v[4:7], v154 offset0:19 offset1:20
	v_pk_add_f32 v[76:77], v[76:77], v[10:11] neg_lo:[0,1] neg_hi:[0,1]
	v_pk_add_f32 v[78:79], v[78:79], v[8:9] neg_lo:[0,1] neg_hi:[0,1]
	s_wait_dscnt 0x0
	v_pk_mul_f32 v[8:9], v[4:5], v[2:3] op_sel:[0,1]
	s_delay_alu instid0(VALU_DEP_1) | instskip(SKIP_1) | instid1(VALU_DEP_1)
	v_pk_fma_f32 v[10:11], v[4:5], v[0:1], v[8:9] op_sel:[0,0,1] op_sel_hi:[1,1,0] neg_lo:[0,0,1] neg_hi:[0,0,1]
	v_pk_fma_f32 v[4:5], v[4:5], v[0:1], v[8:9] op_sel:[0,0,1] op_sel_hi:[1,0,0]
	v_mov_b32_e32 v11, v5
	v_pk_mul_f32 v[4:5], v[6:7], v[2:3] op_sel:[0,1]
	s_delay_alu instid0(VALU_DEP_1) | instskip(SKIP_1) | instid1(VALU_DEP_1)
	v_pk_fma_f32 v[8:9], v[6:7], v[0:1], v[4:5] op_sel:[0,0,1] op_sel_hi:[1,1,0] neg_lo:[0,0,1] neg_hi:[0,0,1]
	v_pk_fma_f32 v[4:5], v[6:7], v[0:1], v[4:5] op_sel:[0,0,1] op_sel_hi:[1,0,0]
	v_mov_b32_e32 v9, v5
	ds_load_2addr_b64 v[4:7], v154 offset0:21 offset1:22
	v_pk_add_f32 v[74:75], v[74:75], v[10:11] neg_lo:[0,1] neg_hi:[0,1]
	v_pk_add_f32 v[96:97], v[96:97], v[8:9] neg_lo:[0,1] neg_hi:[0,1]
	s_wait_dscnt 0x0
	v_dual_mul_f32 v8, v5, v3 :: v_dual_mul_f32 v10, v5, v0
	s_delay_alu instid0(VALU_DEP_1) | instskip(NEXT) | instid1(VALU_DEP_2)
	v_pk_fma_f32 v[8:9], v[4:5], v[64:65], v[8:9] op_sel_hi:[1,1,0] neg_lo:[0,0,1] neg_hi:[0,0,1]
	v_pk_fma_f32 v[4:5], v[4:5], v[64:65], v[10:11] op_sel:[1,0,0] op_sel_hi:[0,1,0]
	s_delay_alu instid0(VALU_DEP_1) | instskip(SKIP_1) | instid1(VALU_DEP_2)
	v_mov_b32_e32 v9, v5
	v_pk_mul_f32 v[4:5], v[6:7], v[2:3] op_sel:[0,1]
	v_pk_add_f32 v[92:93], v[92:93], v[8:9] neg_lo:[0,1] neg_hi:[0,1]
	s_delay_alu instid0(VALU_DEP_2) | instskip(SKIP_1) | instid1(VALU_DEP_1)
	v_pk_fma_f32 v[8:9], v[6:7], v[0:1], v[4:5] op_sel:[0,0,1] op_sel_hi:[1,1,0] neg_lo:[0,0,1] neg_hi:[0,0,1]
	v_pk_fma_f32 v[4:5], v[6:7], v[0:1], v[4:5] op_sel:[0,0,1] op_sel_hi:[1,0,0]
	v_mov_b32_e32 v9, v5
	ds_load_2addr_b64 v[4:7], v154 offset0:23 offset1:24
	v_pk_add_f32 v[94:95], v[94:95], v[8:9] neg_lo:[0,1] neg_hi:[0,1]
	s_wait_dscnt 0x0
	v_pk_mul_f32 v[8:9], v[4:5], v[2:3] op_sel:[0,1]
	s_delay_alu instid0(VALU_DEP_1) | instskip(SKIP_1) | instid1(VALU_DEP_1)
	v_pk_fma_f32 v[10:11], v[4:5], v[0:1], v[8:9] op_sel:[0,0,1] op_sel_hi:[1,1,0] neg_lo:[0,0,1] neg_hi:[0,0,1]
	v_pk_fma_f32 v[4:5], v[4:5], v[0:1], v[8:9] op_sel:[0,0,1] op_sel_hi:[1,0,0]
	v_mov_b32_e32 v11, v5
	v_pk_mul_f32 v[4:5], v[6:7], v[2:3] op_sel:[0,1]
	s_delay_alu instid0(VALU_DEP_2) | instskip(NEXT) | instid1(VALU_DEP_2)
	v_pk_add_f32 v[90:91], v[90:91], v[10:11] neg_lo:[0,1] neg_hi:[0,1]
	v_pk_fma_f32 v[8:9], v[6:7], v[0:1], v[4:5] op_sel:[0,0,1] op_sel_hi:[1,1,0] neg_lo:[0,0,1] neg_hi:[0,0,1]
	v_pk_fma_f32 v[4:5], v[6:7], v[0:1], v[4:5] op_sel:[0,0,1] op_sel_hi:[1,0,0]
	s_delay_alu instid0(VALU_DEP_1) | instskip(SKIP_4) | instid1(VALU_DEP_1)
	v_mov_b32_e32 v9, v5
	ds_load_2addr_b64 v[4:7], v154 offset0:25 offset1:26
	v_pk_add_f32 v[114:115], v[114:115], v[8:9] neg_lo:[0,1] neg_hi:[0,1]
	s_wait_dscnt 0x0
	v_pk_mul_f32 v[8:9], v[4:5], v[2:3] op_sel:[0,1]
	v_pk_fma_f32 v[10:11], v[4:5], v[0:1], v[8:9] op_sel:[0,0,1] op_sel_hi:[1,1,0] neg_lo:[0,0,1] neg_hi:[0,0,1]
	v_pk_fma_f32 v[4:5], v[4:5], v[0:1], v[8:9] op_sel:[0,0,1] op_sel_hi:[1,0,0]
	v_dual_mul_f32 v8, v7, v3 :: v_dual_mov_b32 v4, v7
	s_delay_alu instid0(VALU_DEP_2) | instskip(NEXT) | instid1(VALU_DEP_2)
	v_dual_mov_b32 v11, v5 :: v_dual_mov_b32 v5, v6
	v_pk_fma_f32 v[8:9], v[6:7], v[64:65], v[8:9] op_sel_hi:[1,1,0] neg_lo:[0,0,1] neg_hi:[0,0,1]
	v_mul_f32_e32 v6, v7, v0
	s_delay_alu instid0(VALU_DEP_3) | instskip(NEXT) | instid1(VALU_DEP_2)
	v_pk_add_f32 v[110:111], v[110:111], v[10:11] neg_lo:[0,1] neg_hi:[0,1]
	v_pk_fma_f32 v[4:5], v[4:5], v[64:65], v[6:7] op_sel_hi:[1,1,0]
	s_delay_alu instid0(VALU_DEP_1) | instskip(SKIP_4) | instid1(VALU_DEP_1)
	v_mov_b32_e32 v9, v5
	ds_load_2addr_b64 v[4:7], v154 offset0:27 offset1:28
	v_pk_add_f32 v[112:113], v[112:113], v[8:9] neg_lo:[0,1] neg_hi:[0,1]
	s_wait_dscnt 0x0
	v_pk_mul_f32 v[8:9], v[4:5], v[2:3] op_sel:[0,1]
	v_pk_fma_f32 v[10:11], v[4:5], v[0:1], v[8:9] op_sel:[0,0,1] op_sel_hi:[1,1,0] neg_lo:[0,0,1] neg_hi:[0,0,1]
	v_pk_fma_f32 v[4:5], v[4:5], v[0:1], v[8:9] op_sel:[0,0,1] op_sel_hi:[1,0,0]
	s_delay_alu instid0(VALU_DEP_1) | instskip(SKIP_1) | instid1(VALU_DEP_1)
	v_mov_b32_e32 v11, v5
	v_pk_mul_f32 v[4:5], v[6:7], v[2:3] op_sel:[0,1]
	v_pk_fma_f32 v[8:9], v[6:7], v[0:1], v[4:5] op_sel:[0,0,1] op_sel_hi:[1,1,0] neg_lo:[0,0,1] neg_hi:[0,0,1]
	v_pk_fma_f32 v[4:5], v[6:7], v[0:1], v[4:5] op_sel:[0,0,1] op_sel_hi:[1,0,0]
	s_delay_alu instid0(VALU_DEP_1)
	v_mov_b32_e32 v9, v5
	ds_load_2addr_b64 v[4:7], v154 offset0:29 offset1:30
	v_pk_add_f32 v[108:109], v[108:109], v[10:11] neg_lo:[0,1] neg_hi:[0,1]
	v_pk_add_f32 v[130:131], v[130:131], v[8:9] neg_lo:[0,1] neg_hi:[0,1]
	s_wait_dscnt 0x0
	v_pk_mul_f32 v[8:9], v[4:5], v[2:3] op_sel:[0,1]
	s_delay_alu instid0(VALU_DEP_1) | instskip(SKIP_1) | instid1(VALU_DEP_1)
	v_pk_fma_f32 v[10:11], v[4:5], v[0:1], v[8:9] op_sel:[0,0,1] op_sel_hi:[1,1,0] neg_lo:[0,0,1] neg_hi:[0,0,1]
	v_pk_fma_f32 v[4:5], v[4:5], v[0:1], v[8:9] op_sel:[0,0,1] op_sel_hi:[1,0,0]
	v_mov_b32_e32 v11, v5
	v_pk_mul_f32 v[4:5], v[6:7], v[2:3] op_sel:[0,1]
	s_delay_alu instid0(VALU_DEP_1) | instskip(SKIP_1) | instid1(VALU_DEP_1)
	v_pk_fma_f32 v[8:9], v[6:7], v[0:1], v[4:5] op_sel:[0,0,1] op_sel_hi:[1,1,0] neg_lo:[0,0,1] neg_hi:[0,0,1]
	v_pk_fma_f32 v[4:5], v[6:7], v[0:1], v[4:5] op_sel:[0,0,1] op_sel_hi:[1,0,0]
	v_mov_b32_e32 v9, v5
	ds_load_2addr_b64 v[4:7], v154 offset0:31 offset1:32
	v_pk_add_f32 v[126:127], v[126:127], v[10:11] neg_lo:[0,1] neg_hi:[0,1]
	v_pk_add_f32 v[128:129], v[128:129], v[8:9] neg_lo:[0,1] neg_hi:[0,1]
	s_wait_dscnt 0x0
	v_dual_mul_f32 v8, v5, v3 :: v_dual_mul_f32 v10, v5, v0
	s_delay_alu instid0(VALU_DEP_1) | instskip(NEXT) | instid1(VALU_DEP_2)
	v_pk_fma_f32 v[8:9], v[4:5], v[64:65], v[8:9] op_sel_hi:[1,1,0] neg_lo:[0,0,1] neg_hi:[0,0,1]
	v_pk_fma_f32 v[4:5], v[4:5], v[64:65], v[10:11] op_sel:[1,0,0] op_sel_hi:[0,1,0]
	s_delay_alu instid0(VALU_DEP_1) | instskip(SKIP_1) | instid1(VALU_DEP_2)
	v_mov_b32_e32 v9, v5
	v_pk_mul_f32 v[4:5], v[6:7], v[2:3] op_sel:[0,1]
	v_pk_add_f32 v[124:125], v[124:125], v[8:9] neg_lo:[0,1] neg_hi:[0,1]
	s_delay_alu instid0(VALU_DEP_2) | instskip(SKIP_1) | instid1(VALU_DEP_1)
	v_pk_fma_f32 v[8:9], v[6:7], v[0:1], v[4:5] op_sel:[0,0,1] op_sel_hi:[1,1,0] neg_lo:[0,0,1] neg_hi:[0,0,1]
	v_pk_fma_f32 v[4:5], v[6:7], v[0:1], v[4:5] op_sel:[0,0,1] op_sel_hi:[1,0,0]
	v_mov_b32_e32 v9, v5
	ds_load_2addr_b64 v[4:7], v154 offset0:33 offset1:34
	v_pk_add_f32 v[146:147], v[146:147], v[8:9] neg_lo:[0,1] neg_hi:[0,1]
	s_wait_dscnt 0x0
	v_pk_mul_f32 v[8:9], v[4:5], v[2:3] op_sel:[0,1]
	s_delay_alu instid0(VALU_DEP_1) | instskip(SKIP_1) | instid1(VALU_DEP_1)
	v_pk_fma_f32 v[10:11], v[4:5], v[0:1], v[8:9] op_sel:[0,0,1] op_sel_hi:[1,1,0] neg_lo:[0,0,1] neg_hi:[0,0,1]
	v_pk_fma_f32 v[4:5], v[4:5], v[0:1], v[8:9] op_sel:[0,0,1] op_sel_hi:[1,0,0]
	v_mov_b32_e32 v11, v5
	v_pk_mul_f32 v[4:5], v[6:7], v[2:3] op_sel:[0,1]
	s_delay_alu instid0(VALU_DEP_2) | instskip(NEXT) | instid1(VALU_DEP_2)
	v_pk_add_f32 v[142:143], v[142:143], v[10:11] neg_lo:[0,1] neg_hi:[0,1]
	v_pk_fma_f32 v[8:9], v[6:7], v[0:1], v[4:5] op_sel:[0,0,1] op_sel_hi:[1,1,0] neg_lo:[0,0,1] neg_hi:[0,0,1]
	v_pk_fma_f32 v[4:5], v[6:7], v[0:1], v[4:5] op_sel:[0,0,1] op_sel_hi:[1,0,0]
	s_delay_alu instid0(VALU_DEP_1) | instskip(SKIP_4) | instid1(VALU_DEP_1)
	v_mov_b32_e32 v9, v5
	ds_load_2addr_b64 v[4:7], v154 offset0:35 offset1:36
	v_pk_add_f32 v[144:145], v[144:145], v[8:9] neg_lo:[0,1] neg_hi:[0,1]
	s_wait_dscnt 0x0
	v_pk_mul_f32 v[8:9], v[4:5], v[2:3] op_sel:[0,1]
	v_pk_fma_f32 v[10:11], v[4:5], v[0:1], v[8:9] op_sel:[0,0,1] op_sel_hi:[1,1,0] neg_lo:[0,0,1] neg_hi:[0,0,1]
	v_pk_fma_f32 v[4:5], v[4:5], v[0:1], v[8:9] op_sel:[0,0,1] op_sel_hi:[1,0,0]
	v_dual_mul_f32 v8, v7, v3 :: v_dual_mov_b32 v4, v7
	s_delay_alu instid0(VALU_DEP_2) | instskip(NEXT) | instid1(VALU_DEP_2)
	v_dual_mov_b32 v11, v5 :: v_dual_mov_b32 v5, v6
	v_pk_fma_f32 v[8:9], v[6:7], v[64:65], v[8:9] op_sel_hi:[1,1,0] neg_lo:[0,0,1] neg_hi:[0,0,1]
	v_mul_f32_e32 v6, v7, v0
	s_delay_alu instid0(VALU_DEP_3) | instskip(NEXT) | instid1(VALU_DEP_2)
	v_pk_add_f32 v[140:141], v[140:141], v[10:11] neg_lo:[0,1] neg_hi:[0,1]
	v_pk_fma_f32 v[4:5], v[4:5], v[64:65], v[6:7] op_sel_hi:[1,1,0]
	s_delay_alu instid0(VALU_DEP_1) | instskip(SKIP_4) | instid1(VALU_DEP_1)
	v_mov_b32_e32 v9, v5
	ds_load_2addr_b64 v[4:7], v154 offset0:37 offset1:38
	v_pk_add_f32 v[162:163], v[162:163], v[8:9] neg_lo:[0,1] neg_hi:[0,1]
	s_wait_dscnt 0x0
	v_pk_mul_f32 v[8:9], v[4:5], v[2:3] op_sel:[0,1]
	v_pk_fma_f32 v[10:11], v[4:5], v[0:1], v[8:9] op_sel:[0,0,1] op_sel_hi:[1,1,0] neg_lo:[0,0,1] neg_hi:[0,0,1]
	v_pk_fma_f32 v[4:5], v[4:5], v[0:1], v[8:9] op_sel:[0,0,1] op_sel_hi:[1,0,0]
	s_delay_alu instid0(VALU_DEP_1) | instskip(SKIP_1) | instid1(VALU_DEP_1)
	v_mov_b32_e32 v11, v5
	v_pk_mul_f32 v[4:5], v[6:7], v[2:3] op_sel:[0,1]
	v_pk_fma_f32 v[8:9], v[6:7], v[0:1], v[4:5] op_sel:[0,0,1] op_sel_hi:[1,1,0] neg_lo:[0,0,1] neg_hi:[0,0,1]
	v_pk_fma_f32 v[4:5], v[6:7], v[0:1], v[4:5] op_sel:[0,0,1] op_sel_hi:[1,0,0]
	s_delay_alu instid0(VALU_DEP_1)
	v_mov_b32_e32 v9, v5
	ds_load_2addr_b64 v[4:7], v154 offset0:39 offset1:40
	v_pk_add_f32 v[158:159], v[158:159], v[10:11] neg_lo:[0,1] neg_hi:[0,1]
	v_pk_add_f32 v[160:161], v[160:161], v[8:9] neg_lo:[0,1] neg_hi:[0,1]
	s_wait_dscnt 0x0
	v_pk_mul_f32 v[8:9], v[4:5], v[2:3] op_sel:[0,1]
	s_delay_alu instid0(VALU_DEP_1) | instskip(SKIP_1) | instid1(VALU_DEP_1)
	v_pk_fma_f32 v[10:11], v[4:5], v[0:1], v[8:9] op_sel:[0,0,1] op_sel_hi:[1,1,0] neg_lo:[0,0,1] neg_hi:[0,0,1]
	v_pk_fma_f32 v[4:5], v[4:5], v[0:1], v[8:9] op_sel:[0,0,1] op_sel_hi:[1,0,0]
	v_mov_b32_e32 v11, v5
	v_pk_mul_f32 v[4:5], v[6:7], v[2:3] op_sel:[0,1]
	s_delay_alu instid0(VALU_DEP_1) | instskip(SKIP_1) | instid1(VALU_DEP_1)
	v_pk_fma_f32 v[8:9], v[6:7], v[0:1], v[4:5] op_sel:[0,0,1] op_sel_hi:[1,1,0] neg_lo:[0,0,1] neg_hi:[0,0,1]
	v_pk_fma_f32 v[4:5], v[6:7], v[0:1], v[4:5] op_sel:[0,0,1] op_sel_hi:[1,0,0]
	v_mov_b32_e32 v9, v5
	ds_load_2addr_b64 v[4:7], v154 offset0:41 offset1:42
	v_pk_add_f32 v[156:157], v[156:157], v[10:11] neg_lo:[0,1] neg_hi:[0,1]
	v_pk_add_f32 v[178:179], v[178:179], v[8:9] neg_lo:[0,1] neg_hi:[0,1]
	s_wait_dscnt 0x0
	v_dual_mul_f32 v8, v5, v3 :: v_dual_mul_f32 v10, v5, v0
	s_delay_alu instid0(VALU_DEP_1) | instskip(NEXT) | instid1(VALU_DEP_2)
	v_pk_fma_f32 v[8:9], v[4:5], v[64:65], v[8:9] op_sel_hi:[1,1,0] neg_lo:[0,0,1] neg_hi:[0,0,1]
	v_pk_fma_f32 v[4:5], v[4:5], v[64:65], v[10:11] op_sel:[1,0,0] op_sel_hi:[0,1,0]
	s_delay_alu instid0(VALU_DEP_1) | instskip(SKIP_1) | instid1(VALU_DEP_2)
	v_mov_b32_e32 v9, v5
	v_pk_mul_f32 v[4:5], v[6:7], v[2:3] op_sel:[0,1]
	v_pk_add_f32 v[174:175], v[174:175], v[8:9] neg_lo:[0,1] neg_hi:[0,1]
	s_delay_alu instid0(VALU_DEP_2) | instskip(SKIP_1) | instid1(VALU_DEP_1)
	v_pk_fma_f32 v[8:9], v[6:7], v[0:1], v[4:5] op_sel:[0,0,1] op_sel_hi:[1,1,0] neg_lo:[0,0,1] neg_hi:[0,0,1]
	v_pk_fma_f32 v[4:5], v[6:7], v[0:1], v[4:5] op_sel:[0,0,1] op_sel_hi:[1,0,0]
	v_mov_b32_e32 v9, v5
	ds_load_2addr_b64 v[4:7], v154 offset0:43 offset1:44
	v_pk_add_f32 v[176:177], v[176:177], v[8:9] neg_lo:[0,1] neg_hi:[0,1]
	s_wait_dscnt 0x0
	v_pk_mul_f32 v[8:9], v[4:5], v[2:3] op_sel:[0,1]
	s_delay_alu instid0(VALU_DEP_1) | instskip(SKIP_1) | instid1(VALU_DEP_1)
	v_pk_fma_f32 v[10:11], v[4:5], v[0:1], v[8:9] op_sel:[0,0,1] op_sel_hi:[1,1,0] neg_lo:[0,0,1] neg_hi:[0,0,1]
	v_pk_fma_f32 v[4:5], v[4:5], v[0:1], v[8:9] op_sel:[0,0,1] op_sel_hi:[1,0,0]
	v_mov_b32_e32 v11, v5
	v_pk_mul_f32 v[4:5], v[6:7], v[2:3] op_sel:[0,1]
	s_delay_alu instid0(VALU_DEP_2) | instskip(NEXT) | instid1(VALU_DEP_2)
	v_pk_add_f32 v[172:173], v[172:173], v[10:11] neg_lo:[0,1] neg_hi:[0,1]
	v_pk_fma_f32 v[8:9], v[6:7], v[0:1], v[4:5] op_sel:[0,0,1] op_sel_hi:[1,1,0] neg_lo:[0,0,1] neg_hi:[0,0,1]
	v_pk_fma_f32 v[4:5], v[6:7], v[0:1], v[4:5] op_sel:[0,0,1] op_sel_hi:[1,0,0]
	s_delay_alu instid0(VALU_DEP_1) | instskip(SKIP_4) | instid1(VALU_DEP_1)
	v_mov_b32_e32 v9, v5
	ds_load_2addr_b64 v[4:7], v154 offset0:45 offset1:46
	v_pk_add_f32 v[196:197], v[196:197], v[8:9] neg_lo:[0,1] neg_hi:[0,1]
	s_wait_dscnt 0x0
	v_pk_mul_f32 v[8:9], v[4:5], v[2:3] op_sel:[0,1]
	v_pk_fma_f32 v[10:11], v[4:5], v[0:1], v[8:9] op_sel:[0,0,1] op_sel_hi:[1,1,0] neg_lo:[0,0,1] neg_hi:[0,0,1]
	v_pk_fma_f32 v[4:5], v[4:5], v[0:1], v[8:9] op_sel:[0,0,1] op_sel_hi:[1,0,0]
	v_dual_mul_f32 v8, v7, v3 :: v_dual_mov_b32 v4, v7
	s_delay_alu instid0(VALU_DEP_2) | instskip(NEXT) | instid1(VALU_DEP_2)
	v_dual_mov_b32 v11, v5 :: v_dual_mov_b32 v5, v6
	v_pk_fma_f32 v[8:9], v[6:7], v[64:65], v[8:9] op_sel_hi:[1,1,0] neg_lo:[0,0,1] neg_hi:[0,0,1]
	v_mul_f32_e32 v6, v7, v0
	s_delay_alu instid0(VALU_DEP_3) | instskip(NEXT) | instid1(VALU_DEP_2)
	v_pk_add_f32 v[192:193], v[192:193], v[10:11] neg_lo:[0,1] neg_hi:[0,1]
	v_pk_fma_f32 v[4:5], v[4:5], v[64:65], v[6:7] op_sel_hi:[1,1,0]
	s_delay_alu instid0(VALU_DEP_1) | instskip(SKIP_4) | instid1(VALU_DEP_1)
	v_mov_b32_e32 v9, v5
	ds_load_2addr_b64 v[4:7], v154 offset0:47 offset1:48
	v_pk_add_f32 v[194:195], v[194:195], v[8:9] neg_lo:[0,1] neg_hi:[0,1]
	s_wait_dscnt 0x0
	v_pk_mul_f32 v[8:9], v[4:5], v[2:3] op_sel:[0,1]
	v_pk_fma_f32 v[10:11], v[4:5], v[0:1], v[8:9] op_sel:[0,0,1] op_sel_hi:[1,1,0] neg_lo:[0,0,1] neg_hi:[0,0,1]
	v_pk_fma_f32 v[4:5], v[4:5], v[0:1], v[8:9] op_sel:[0,0,1] op_sel_hi:[1,0,0]
	s_delay_alu instid0(VALU_DEP_1) | instskip(SKIP_1) | instid1(VALU_DEP_1)
	v_mov_b32_e32 v11, v5
	v_pk_mul_f32 v[4:5], v[6:7], v[2:3] op_sel:[0,1]
	v_pk_fma_f32 v[8:9], v[6:7], v[0:1], v[4:5] op_sel:[0,0,1] op_sel_hi:[1,1,0] neg_lo:[0,0,1] neg_hi:[0,0,1]
	v_pk_fma_f32 v[4:5], v[6:7], v[0:1], v[4:5] op_sel:[0,0,1] op_sel_hi:[1,0,0]
	s_delay_alu instid0(VALU_DEP_1)
	v_mov_b32_e32 v9, v5
	ds_load_2addr_b64 v[4:7], v154 offset0:49 offset1:50
	v_pk_add_f32 v[190:191], v[190:191], v[10:11] neg_lo:[0,1] neg_hi:[0,1]
	v_pk_add_f32 v[216:217], v[216:217], v[8:9] neg_lo:[0,1] neg_hi:[0,1]
	s_wait_dscnt 0x0
	v_pk_mul_f32 v[8:9], v[4:5], v[2:3] op_sel:[0,1]
	s_delay_alu instid0(VALU_DEP_1) | instskip(SKIP_1) | instid1(VALU_DEP_1)
	v_pk_fma_f32 v[10:11], v[4:5], v[0:1], v[8:9] op_sel:[0,0,1] op_sel_hi:[1,1,0] neg_lo:[0,0,1] neg_hi:[0,0,1]
	v_pk_fma_f32 v[4:5], v[4:5], v[0:1], v[8:9] op_sel:[0,0,1] op_sel_hi:[1,0,0]
	v_mov_b32_e32 v11, v5
	v_pk_mul_f32 v[4:5], v[6:7], v[2:3] op_sel:[0,1]
	s_delay_alu instid0(VALU_DEP_1) | instskip(SKIP_1) | instid1(VALU_DEP_1)
	v_pk_fma_f32 v[8:9], v[6:7], v[0:1], v[4:5] op_sel:[0,0,1] op_sel_hi:[1,1,0] neg_lo:[0,0,1] neg_hi:[0,0,1]
	v_pk_fma_f32 v[4:5], v[6:7], v[0:1], v[4:5] op_sel:[0,0,1] op_sel_hi:[1,0,0]
	v_mov_b32_e32 v9, v5
	ds_load_2addr_b64 v[4:7], v154 offset0:51 offset1:52
	v_pk_add_f32 v[210:211], v[210:211], v[10:11] neg_lo:[0,1] neg_hi:[0,1]
	v_pk_add_f32 v[214:215], v[214:215], v[8:9] neg_lo:[0,1] neg_hi:[0,1]
	s_wait_dscnt 0x0
	v_dual_mul_f32 v8, v5, v3 :: v_dual_mul_f32 v10, v5, v0
	s_delay_alu instid0(VALU_DEP_1) | instskip(NEXT) | instid1(VALU_DEP_2)
	v_pk_fma_f32 v[8:9], v[4:5], v[64:65], v[8:9] op_sel_hi:[1,1,0] neg_lo:[0,0,1] neg_hi:[0,0,1]
	v_pk_fma_f32 v[4:5], v[4:5], v[64:65], v[10:11] op_sel:[1,0,0] op_sel_hi:[0,1,0]
	s_delay_alu instid0(VALU_DEP_1) | instskip(SKIP_1) | instid1(VALU_DEP_2)
	v_mov_b32_e32 v9, v5
	v_pk_mul_f32 v[4:5], v[6:7], v[2:3] op_sel:[0,1]
	v_pk_add_f32 v[208:209], v[208:209], v[8:9] neg_lo:[0,1] neg_hi:[0,1]
	s_delay_alu instid0(VALU_DEP_2) | instskip(SKIP_1) | instid1(VALU_DEP_1)
	v_pk_fma_f32 v[8:9], v[6:7], v[0:1], v[4:5] op_sel:[0,0,1] op_sel_hi:[1,1,0] neg_lo:[0,0,1] neg_hi:[0,0,1]
	v_pk_fma_f32 v[4:5], v[6:7], v[0:1], v[4:5] op_sel:[0,0,1] op_sel_hi:[1,0,0]
	v_mov_b32_e32 v9, v5
	ds_load_2addr_b64 v[4:7], v154 offset0:53 offset1:54
	v_pk_add_f32 v[212:213], v[212:213], v[8:9] neg_lo:[0,1] neg_hi:[0,1]
	s_wait_dscnt 0x0
	v_pk_mul_f32 v[8:9], v[4:5], v[2:3] op_sel:[0,1]
	v_mul_f32_e32 v2, v7, v3
	s_delay_alu instid0(VALU_DEP_2) | instskip(SKIP_2) | instid1(VALU_DEP_4)
	v_pk_fma_f32 v[10:11], v[4:5], v[0:1], v[8:9] op_sel:[0,0,1] op_sel_hi:[1,1,0] neg_lo:[0,0,1] neg_hi:[0,0,1]
	v_pk_fma_f32 v[4:5], v[4:5], v[0:1], v[8:9] op_sel:[0,0,1] op_sel_hi:[1,0,0]
	v_dual_mov_b32 v4, v7 :: v_dual_mul_f32 v0, v7, v0
	v_pk_fma_f32 v[2:3], v[6:7], v[64:65], v[2:3] op_sel_hi:[1,1,0] neg_lo:[0,0,1] neg_hi:[0,0,1]
	s_delay_alu instid0(VALU_DEP_3) | instskip(NEXT) | instid1(VALU_DEP_1)
	v_dual_mov_b32 v11, v5 :: v_dual_mov_b32 v5, v6
	v_pk_add_f32 v[218:219], v[218:219], v[10:11] neg_lo:[0,1] neg_hi:[0,1]
	s_delay_alu instid0(VALU_DEP_2) | instskip(NEXT) | instid1(VALU_DEP_1)
	v_pk_fma_f32 v[0:1], v[4:5], v[64:65], v[0:1] op_sel_hi:[1,1,0]
	v_mov_b32_e32 v3, v1
	s_delay_alu instid0(VALU_DEP_1)
	v_pk_add_f32 v[220:221], v[220:221], v[2:3] neg_lo:[0,1] neg_hi:[0,1]
.LBB109_118:
	s_wait_xcnt 0x0
	s_or_b32 exec_lo, exec_lo, s1
	s_delay_alu instid0(SALU_CYCLE_1)
	s_mov_b32 s2, exec_lo
	s_wait_storecnt 0x0
	s_barrier_signal -1
	s_barrier_wait -1
	v_cmpx_eq_u32_e32 13, v152
	s_cbranch_execz .LBB109_125
; %bb.119:
	v_dual_mov_b32 v0, v62 :: v_dual_mov_b32 v1, v63
	v_dual_mov_b32 v2, v58 :: v_dual_mov_b32 v3, v59
	ds_store_b64 v153, v[60:61]
	ds_store_2addr_b64 v154, v[0:1], v[2:3] offset0:14 offset1:15
	v_dual_mov_b32 v0, v80 :: v_dual_mov_b32 v1, v81
	v_dual_mov_b32 v2, v76 :: v_dual_mov_b32 v3, v77
	ds_store_2addr_b64 v154, v[0:1], v[2:3] offset0:16 offset1:17
	v_dual_mov_b32 v0, v78 :: v_dual_mov_b32 v1, v79
	v_dual_mov_b32 v2, v74 :: v_dual_mov_b32 v3, v75
	;; [unrolled: 3-line block ×19, first 2 shown]
	ds_store_2addr_b64 v154, v[0:1], v[2:3] offset0:52 offset1:53
	ds_store_b64 v154, v[220:221] offset:432
	ds_load_b64 v[0:1], v153
	s_wait_dscnt 0x0
	v_cmp_neq_f32_e32 vcc_lo, 0, v0
	v_cmp_neq_f32_e64 s1, 0, v1
	s_or_b32 s1, vcc_lo, s1
	s_delay_alu instid0(SALU_CYCLE_1)
	s_and_b32 exec_lo, exec_lo, s1
	s_cbranch_execz .LBB109_125
; %bb.120:
	v_cmp_ngt_f32_e64 s1, |v0|, |v1|
                                        ; implicit-def: $vgpr2_vgpr3
	s_and_saveexec_b32 s4, s1
	s_delay_alu instid0(SALU_CYCLE_1)
	s_xor_b32 s1, exec_lo, s4
	s_cbranch_execz .LBB109_122
; %bb.121:
	v_div_scale_f32 v2, null, v1, v1, v0
	v_div_scale_f32 v5, vcc_lo, v0, v1, v0
	s_delay_alu instid0(VALU_DEP_2) | instskip(SKIP_1) | instid1(TRANS32_DEP_1)
	v_rcp_f32_e32 v3, v2
	v_nop
	v_fma_f32 v4, -v2, v3, 1.0
	s_delay_alu instid0(VALU_DEP_1) | instskip(NEXT) | instid1(VALU_DEP_1)
	v_fmac_f32_e32 v3, v4, v3
	v_mul_f32_e32 v4, v5, v3
	s_delay_alu instid0(VALU_DEP_1) | instskip(NEXT) | instid1(VALU_DEP_1)
	v_fma_f32 v6, -v2, v4, v5
	v_fmac_f32_e32 v4, v6, v3
	s_delay_alu instid0(VALU_DEP_1) | instskip(NEXT) | instid1(VALU_DEP_1)
	v_fma_f32 v2, -v2, v4, v5
	v_div_fmas_f32 v2, v2, v3, v4
	s_delay_alu instid0(VALU_DEP_1) | instskip(NEXT) | instid1(VALU_DEP_1)
	v_div_fixup_f32 v2, v2, v1, v0
	v_fmac_f32_e32 v1, v0, v2
	s_delay_alu instid0(VALU_DEP_1) | instskip(SKIP_1) | instid1(VALU_DEP_2)
	v_div_scale_f32 v0, null, v1, v1, 1.0
	v_div_scale_f32 v5, vcc_lo, 1.0, v1, 1.0
	v_rcp_f32_e32 v3, v0
	v_nop
	s_delay_alu instid0(TRANS32_DEP_1) | instskip(NEXT) | instid1(VALU_DEP_1)
	v_fma_f32 v4, -v0, v3, 1.0
	v_fmac_f32_e32 v3, v4, v3
	s_delay_alu instid0(VALU_DEP_1) | instskip(NEXT) | instid1(VALU_DEP_1)
	v_mul_f32_e32 v4, v5, v3
	v_fma_f32 v6, -v0, v4, v5
	s_delay_alu instid0(VALU_DEP_1) | instskip(NEXT) | instid1(VALU_DEP_1)
	v_fmac_f32_e32 v4, v6, v3
	v_fma_f32 v0, -v0, v4, v5
	s_delay_alu instid0(VALU_DEP_1) | instskip(NEXT) | instid1(VALU_DEP_1)
	v_div_fmas_f32 v0, v0, v3, v4
	v_div_fixup_f32 v0, v0, v1, 1.0
	s_delay_alu instid0(VALU_DEP_1)
	v_mul_f32_e32 v2, v2, v0
	v_xor_b32_e32 v3, 0x80000000, v0
                                        ; implicit-def: $vgpr0_vgpr1
.LBB109_122:
	s_and_not1_saveexec_b32 s1, s1
	s_cbranch_execz .LBB109_124
; %bb.123:
	v_div_scale_f32 v2, null, v0, v0, v1
	v_div_scale_f32 v5, vcc_lo, v1, v0, v1
	s_delay_alu instid0(VALU_DEP_2) | instskip(SKIP_1) | instid1(TRANS32_DEP_1)
	v_rcp_f32_e32 v3, v2
	v_nop
	v_fma_f32 v4, -v2, v3, 1.0
	s_delay_alu instid0(VALU_DEP_1) | instskip(NEXT) | instid1(VALU_DEP_1)
	v_fmac_f32_e32 v3, v4, v3
	v_mul_f32_e32 v4, v5, v3
	s_delay_alu instid0(VALU_DEP_1) | instskip(NEXT) | instid1(VALU_DEP_1)
	v_fma_f32 v6, -v2, v4, v5
	v_fmac_f32_e32 v4, v6, v3
	s_delay_alu instid0(VALU_DEP_1) | instskip(NEXT) | instid1(VALU_DEP_1)
	v_fma_f32 v2, -v2, v4, v5
	v_div_fmas_f32 v2, v2, v3, v4
	s_delay_alu instid0(VALU_DEP_1) | instskip(NEXT) | instid1(VALU_DEP_1)
	v_div_fixup_f32 v3, v2, v0, v1
	v_fmac_f32_e32 v0, v1, v3
	s_delay_alu instid0(VALU_DEP_1) | instskip(NEXT) | instid1(VALU_DEP_1)
	v_div_scale_f32 v1, null, v0, v0, 1.0
	v_rcp_f32_e32 v2, v1
	v_nop
	s_delay_alu instid0(TRANS32_DEP_1) | instskip(NEXT) | instid1(VALU_DEP_1)
	v_fma_f32 v4, -v1, v2, 1.0
	v_fmac_f32_e32 v2, v4, v2
	v_div_scale_f32 v4, vcc_lo, 1.0, v0, 1.0
	s_delay_alu instid0(VALU_DEP_1) | instskip(NEXT) | instid1(VALU_DEP_1)
	v_mul_f32_e32 v5, v4, v2
	v_fma_f32 v6, -v1, v5, v4
	s_delay_alu instid0(VALU_DEP_1) | instskip(NEXT) | instid1(VALU_DEP_1)
	v_fmac_f32_e32 v5, v6, v2
	v_fma_f32 v1, -v1, v5, v4
	s_delay_alu instid0(VALU_DEP_1) | instskip(NEXT) | instid1(VALU_DEP_1)
	v_div_fmas_f32 v1, v1, v2, v5
	v_div_fixup_f32 v2, v1, v0, 1.0
	s_delay_alu instid0(VALU_DEP_1)
	v_mul_f32_e64 v3, v3, -v2
.LBB109_124:
	s_or_b32 exec_lo, exec_lo, s1
	ds_store_b64 v153, v[2:3]
.LBB109_125:
	s_or_b32 exec_lo, exec_lo, s2
	s_wait_dscnt 0x0
	s_barrier_signal -1
	s_barrier_wait -1
	ds_load_b64 v[0:1], v153
	s_mov_b32 s1, exec_lo
	s_wait_dscnt 0x0
	scratch_store_b64 off, v[0:1], off offset:312 ; 8-byte Folded Spill
	s_wait_xcnt 0x0
	v_cmpx_lt_u32_e32 13, v152
	s_cbranch_execz .LBB109_127
; %bb.126:
	scratch_load_b64 v[4:5], off, off offset:312 ; 8-byte Folded Reload
	s_wait_loadcnt 0x0
	v_pk_mul_f32 v[2:3], v[4:5], v[60:61] op_sel:[1,1] op_sel_hi:[0,1]
	s_delay_alu instid0(VALU_DEP_1)
	v_pk_fma_f32 v[0:1], v[4:5], v[60:61], v[2:3] op_sel_hi:[1,0,1] neg_lo:[0,0,1] neg_hi:[0,0,1]
	v_pk_fma_f32 v[2:3], v[4:5], v[60:61], v[2:3] op_sel_hi:[1,0,1]
	ds_load_2addr_b64 v[4:7], v154 offset0:14 offset1:15
	v_dual_mov_b32 v60, v0 :: v_dual_mov_b32 v61, v3
	s_wait_dscnt 0x0
	v_pk_mul_f32 v[8:9], v[4:5], v[2:3] op_sel:[0,1]
	s_delay_alu instid0(VALU_DEP_1) | instskip(SKIP_1) | instid1(VALU_DEP_1)
	v_pk_fma_f32 v[10:11], v[4:5], v[0:1], v[8:9] op_sel:[0,0,1] op_sel_hi:[1,1,0] neg_lo:[0,0,1] neg_hi:[0,0,1]
	v_pk_fma_f32 v[4:5], v[4:5], v[0:1], v[8:9] op_sel:[0,0,1] op_sel_hi:[1,0,0]
	v_mov_b32_e32 v11, v5
	v_pk_mul_f32 v[4:5], v[6:7], v[2:3] op_sel:[0,1]
	s_delay_alu instid0(VALU_DEP_1) | instskip(SKIP_1) | instid1(VALU_DEP_1)
	v_pk_fma_f32 v[8:9], v[6:7], v[0:1], v[4:5] op_sel:[0,0,1] op_sel_hi:[1,1,0] neg_lo:[0,0,1] neg_hi:[0,0,1]
	v_pk_fma_f32 v[4:5], v[6:7], v[0:1], v[4:5] op_sel:[0,0,1] op_sel_hi:[1,0,0]
	v_mov_b32_e32 v9, v5
	ds_load_2addr_b64 v[4:7], v154 offset0:16 offset1:17
	v_pk_add_f32 v[62:63], v[62:63], v[10:11] neg_lo:[0,1] neg_hi:[0,1]
	v_pk_add_f32 v[58:59], v[58:59], v[8:9] neg_lo:[0,1] neg_hi:[0,1]
	s_wait_dscnt 0x0
	v_pk_mul_f32 v[8:9], v[4:5], v[2:3] op_sel:[0,1]
	s_delay_alu instid0(VALU_DEP_1) | instskip(SKIP_2) | instid1(VALU_DEP_2)
	v_pk_fma_f32 v[10:11], v[4:5], v[0:1], v[8:9] op_sel:[0,0,1] op_sel_hi:[1,1,0] neg_lo:[0,0,1] neg_hi:[0,0,1]
	v_pk_fma_f32 v[4:5], v[4:5], v[0:1], v[8:9] op_sel:[0,0,1] op_sel_hi:[1,0,0]
	v_dual_mul_f32 v8, v7, v3 :: v_dual_mov_b32 v4, v7
	v_dual_mov_b32 v11, v5 :: v_dual_mov_b32 v5, v6
	s_delay_alu instid0(VALU_DEP_2) | instskip(SKIP_1) | instid1(VALU_DEP_3)
	v_pk_fma_f32 v[8:9], v[6:7], v[60:61], v[8:9] op_sel_hi:[1,1,0] neg_lo:[0,0,1] neg_hi:[0,0,1]
	v_mul_f32_e32 v6, v7, v0
	v_pk_add_f32 v[80:81], v[80:81], v[10:11] neg_lo:[0,1] neg_hi:[0,1]
	s_delay_alu instid0(VALU_DEP_2) | instskip(NEXT) | instid1(VALU_DEP_1)
	v_pk_fma_f32 v[4:5], v[4:5], v[60:61], v[6:7] op_sel_hi:[1,1,0]
	v_mov_b32_e32 v9, v5
	ds_load_2addr_b64 v[4:7], v154 offset0:18 offset1:19
	v_pk_add_f32 v[76:77], v[76:77], v[8:9] neg_lo:[0,1] neg_hi:[0,1]
	s_wait_dscnt 0x0
	v_pk_mul_f32 v[8:9], v[4:5], v[2:3] op_sel:[0,1]
	s_delay_alu instid0(VALU_DEP_1) | instskip(SKIP_1) | instid1(VALU_DEP_1)
	v_pk_fma_f32 v[10:11], v[4:5], v[0:1], v[8:9] op_sel:[0,0,1] op_sel_hi:[1,1,0] neg_lo:[0,0,1] neg_hi:[0,0,1]
	v_pk_fma_f32 v[4:5], v[4:5], v[0:1], v[8:9] op_sel:[0,0,1] op_sel_hi:[1,0,0]
	v_mov_b32_e32 v11, v5
	v_pk_mul_f32 v[4:5], v[6:7], v[2:3] op_sel:[0,1]
	s_delay_alu instid0(VALU_DEP_1) | instskip(SKIP_1) | instid1(VALU_DEP_1)
	v_pk_fma_f32 v[8:9], v[6:7], v[0:1], v[4:5] op_sel:[0,0,1] op_sel_hi:[1,1,0] neg_lo:[0,0,1] neg_hi:[0,0,1]
	v_pk_fma_f32 v[4:5], v[6:7], v[0:1], v[4:5] op_sel:[0,0,1] op_sel_hi:[1,0,0]
	v_mov_b32_e32 v9, v5
	ds_load_2addr_b64 v[4:7], v154 offset0:20 offset1:21
	v_pk_add_f32 v[78:79], v[78:79], v[10:11] neg_lo:[0,1] neg_hi:[0,1]
	v_pk_add_f32 v[74:75], v[74:75], v[8:9] neg_lo:[0,1] neg_hi:[0,1]
	s_wait_dscnt 0x0
	v_pk_mul_f32 v[8:9], v[4:5], v[2:3] op_sel:[0,1]
	s_delay_alu instid0(VALU_DEP_1) | instskip(SKIP_1) | instid1(VALU_DEP_1)
	v_pk_fma_f32 v[10:11], v[4:5], v[0:1], v[8:9] op_sel:[0,0,1] op_sel_hi:[1,1,0] neg_lo:[0,0,1] neg_hi:[0,0,1]
	v_pk_fma_f32 v[4:5], v[4:5], v[0:1], v[8:9] op_sel:[0,0,1] op_sel_hi:[1,0,0]
	v_mov_b32_e32 v11, v5
	v_pk_mul_f32 v[4:5], v[6:7], v[2:3] op_sel:[0,1]
	s_delay_alu instid0(VALU_DEP_1) | instskip(SKIP_1) | instid1(VALU_DEP_1)
	v_pk_fma_f32 v[8:9], v[6:7], v[0:1], v[4:5] op_sel:[0,0,1] op_sel_hi:[1,1,0] neg_lo:[0,0,1] neg_hi:[0,0,1]
	v_pk_fma_f32 v[4:5], v[6:7], v[0:1], v[4:5] op_sel:[0,0,1] op_sel_hi:[1,0,0]
	v_mov_b32_e32 v9, v5
	ds_load_2addr_b64 v[4:7], v154 offset0:22 offset1:23
	v_pk_add_f32 v[96:97], v[96:97], v[10:11] neg_lo:[0,1] neg_hi:[0,1]
	v_pk_add_f32 v[92:93], v[92:93], v[8:9] neg_lo:[0,1] neg_hi:[0,1]
	s_wait_dscnt 0x0
	v_dual_mul_f32 v8, v5, v3 :: v_dual_mul_f32 v10, v5, v0
	s_delay_alu instid0(VALU_DEP_1) | instskip(NEXT) | instid1(VALU_DEP_2)
	v_pk_fma_f32 v[8:9], v[4:5], v[60:61], v[8:9] op_sel_hi:[1,1,0] neg_lo:[0,0,1] neg_hi:[0,0,1]
	v_pk_fma_f32 v[4:5], v[4:5], v[60:61], v[10:11] op_sel:[1,0,0] op_sel_hi:[0,1,0]
	s_delay_alu instid0(VALU_DEP_1) | instskip(SKIP_1) | instid1(VALU_DEP_2)
	v_mov_b32_e32 v9, v5
	v_pk_mul_f32 v[4:5], v[6:7], v[2:3] op_sel:[0,1]
	v_pk_add_f32 v[94:95], v[94:95], v[8:9] neg_lo:[0,1] neg_hi:[0,1]
	s_delay_alu instid0(VALU_DEP_2) | instskip(SKIP_1) | instid1(VALU_DEP_1)
	v_pk_fma_f32 v[8:9], v[6:7], v[0:1], v[4:5] op_sel:[0,0,1] op_sel_hi:[1,1,0] neg_lo:[0,0,1] neg_hi:[0,0,1]
	v_pk_fma_f32 v[4:5], v[6:7], v[0:1], v[4:5] op_sel:[0,0,1] op_sel_hi:[1,0,0]
	v_mov_b32_e32 v9, v5
	ds_load_2addr_b64 v[4:7], v154 offset0:24 offset1:25
	v_pk_add_f32 v[90:91], v[90:91], v[8:9] neg_lo:[0,1] neg_hi:[0,1]
	s_wait_dscnt 0x0
	v_pk_mul_f32 v[8:9], v[4:5], v[2:3] op_sel:[0,1]
	s_delay_alu instid0(VALU_DEP_1) | instskip(SKIP_1) | instid1(VALU_DEP_1)
	v_pk_fma_f32 v[10:11], v[4:5], v[0:1], v[8:9] op_sel:[0,0,1] op_sel_hi:[1,1,0] neg_lo:[0,0,1] neg_hi:[0,0,1]
	v_pk_fma_f32 v[4:5], v[4:5], v[0:1], v[8:9] op_sel:[0,0,1] op_sel_hi:[1,0,0]
	v_mov_b32_e32 v11, v5
	v_pk_mul_f32 v[4:5], v[6:7], v[2:3] op_sel:[0,1]
	s_delay_alu instid0(VALU_DEP_2) | instskip(NEXT) | instid1(VALU_DEP_2)
	v_pk_add_f32 v[114:115], v[114:115], v[10:11] neg_lo:[0,1] neg_hi:[0,1]
	v_pk_fma_f32 v[8:9], v[6:7], v[0:1], v[4:5] op_sel:[0,0,1] op_sel_hi:[1,1,0] neg_lo:[0,0,1] neg_hi:[0,0,1]
	v_pk_fma_f32 v[4:5], v[6:7], v[0:1], v[4:5] op_sel:[0,0,1] op_sel_hi:[1,0,0]
	s_delay_alu instid0(VALU_DEP_1) | instskip(SKIP_4) | instid1(VALU_DEP_1)
	v_mov_b32_e32 v9, v5
	ds_load_2addr_b64 v[4:7], v154 offset0:26 offset1:27
	v_pk_add_f32 v[110:111], v[110:111], v[8:9] neg_lo:[0,1] neg_hi:[0,1]
	s_wait_dscnt 0x0
	v_pk_mul_f32 v[8:9], v[4:5], v[2:3] op_sel:[0,1]
	v_pk_fma_f32 v[10:11], v[4:5], v[0:1], v[8:9] op_sel:[0,0,1] op_sel_hi:[1,1,0] neg_lo:[0,0,1] neg_hi:[0,0,1]
	v_pk_fma_f32 v[4:5], v[4:5], v[0:1], v[8:9] op_sel:[0,0,1] op_sel_hi:[1,0,0]
	v_dual_mul_f32 v8, v7, v3 :: v_dual_mov_b32 v4, v7
	s_delay_alu instid0(VALU_DEP_2) | instskip(NEXT) | instid1(VALU_DEP_2)
	v_dual_mov_b32 v11, v5 :: v_dual_mov_b32 v5, v6
	v_pk_fma_f32 v[8:9], v[6:7], v[60:61], v[8:9] op_sel_hi:[1,1,0] neg_lo:[0,0,1] neg_hi:[0,0,1]
	v_mul_f32_e32 v6, v7, v0
	s_delay_alu instid0(VALU_DEP_3) | instskip(NEXT) | instid1(VALU_DEP_2)
	v_pk_add_f32 v[112:113], v[112:113], v[10:11] neg_lo:[0,1] neg_hi:[0,1]
	v_pk_fma_f32 v[4:5], v[4:5], v[60:61], v[6:7] op_sel_hi:[1,1,0]
	s_delay_alu instid0(VALU_DEP_1) | instskip(SKIP_4) | instid1(VALU_DEP_1)
	v_mov_b32_e32 v9, v5
	ds_load_2addr_b64 v[4:7], v154 offset0:28 offset1:29
	v_pk_add_f32 v[108:109], v[108:109], v[8:9] neg_lo:[0,1] neg_hi:[0,1]
	s_wait_dscnt 0x0
	v_pk_mul_f32 v[8:9], v[4:5], v[2:3] op_sel:[0,1]
	v_pk_fma_f32 v[10:11], v[4:5], v[0:1], v[8:9] op_sel:[0,0,1] op_sel_hi:[1,1,0] neg_lo:[0,0,1] neg_hi:[0,0,1]
	v_pk_fma_f32 v[4:5], v[4:5], v[0:1], v[8:9] op_sel:[0,0,1] op_sel_hi:[1,0,0]
	s_delay_alu instid0(VALU_DEP_1) | instskip(SKIP_1) | instid1(VALU_DEP_1)
	v_mov_b32_e32 v11, v5
	v_pk_mul_f32 v[4:5], v[6:7], v[2:3] op_sel:[0,1]
	v_pk_fma_f32 v[8:9], v[6:7], v[0:1], v[4:5] op_sel:[0,0,1] op_sel_hi:[1,1,0] neg_lo:[0,0,1] neg_hi:[0,0,1]
	v_pk_fma_f32 v[4:5], v[6:7], v[0:1], v[4:5] op_sel:[0,0,1] op_sel_hi:[1,0,0]
	s_delay_alu instid0(VALU_DEP_1)
	v_mov_b32_e32 v9, v5
	ds_load_2addr_b64 v[4:7], v154 offset0:30 offset1:31
	v_pk_add_f32 v[130:131], v[130:131], v[10:11] neg_lo:[0,1] neg_hi:[0,1]
	v_pk_add_f32 v[126:127], v[126:127], v[8:9] neg_lo:[0,1] neg_hi:[0,1]
	s_wait_dscnt 0x0
	v_pk_mul_f32 v[8:9], v[4:5], v[2:3] op_sel:[0,1]
	s_delay_alu instid0(VALU_DEP_1) | instskip(SKIP_1) | instid1(VALU_DEP_1)
	v_pk_fma_f32 v[10:11], v[4:5], v[0:1], v[8:9] op_sel:[0,0,1] op_sel_hi:[1,1,0] neg_lo:[0,0,1] neg_hi:[0,0,1]
	v_pk_fma_f32 v[4:5], v[4:5], v[0:1], v[8:9] op_sel:[0,0,1] op_sel_hi:[1,0,0]
	v_mov_b32_e32 v11, v5
	v_pk_mul_f32 v[4:5], v[6:7], v[2:3] op_sel:[0,1]
	s_delay_alu instid0(VALU_DEP_1) | instskip(SKIP_1) | instid1(VALU_DEP_1)
	v_pk_fma_f32 v[8:9], v[6:7], v[0:1], v[4:5] op_sel:[0,0,1] op_sel_hi:[1,1,0] neg_lo:[0,0,1] neg_hi:[0,0,1]
	v_pk_fma_f32 v[4:5], v[6:7], v[0:1], v[4:5] op_sel:[0,0,1] op_sel_hi:[1,0,0]
	v_mov_b32_e32 v9, v5
	ds_load_2addr_b64 v[4:7], v154 offset0:32 offset1:33
	v_pk_add_f32 v[128:129], v[128:129], v[10:11] neg_lo:[0,1] neg_hi:[0,1]
	v_pk_add_f32 v[124:125], v[124:125], v[8:9] neg_lo:[0,1] neg_hi:[0,1]
	s_wait_dscnt 0x0
	v_dual_mul_f32 v8, v5, v3 :: v_dual_mul_f32 v10, v5, v0
	s_delay_alu instid0(VALU_DEP_1) | instskip(NEXT) | instid1(VALU_DEP_2)
	v_pk_fma_f32 v[8:9], v[4:5], v[60:61], v[8:9] op_sel_hi:[1,1,0] neg_lo:[0,0,1] neg_hi:[0,0,1]
	v_pk_fma_f32 v[4:5], v[4:5], v[60:61], v[10:11] op_sel:[1,0,0] op_sel_hi:[0,1,0]
	s_delay_alu instid0(VALU_DEP_1) | instskip(SKIP_1) | instid1(VALU_DEP_2)
	v_mov_b32_e32 v9, v5
	v_pk_mul_f32 v[4:5], v[6:7], v[2:3] op_sel:[0,1]
	v_pk_add_f32 v[146:147], v[146:147], v[8:9] neg_lo:[0,1] neg_hi:[0,1]
	s_delay_alu instid0(VALU_DEP_2) | instskip(SKIP_1) | instid1(VALU_DEP_1)
	v_pk_fma_f32 v[8:9], v[6:7], v[0:1], v[4:5] op_sel:[0,0,1] op_sel_hi:[1,1,0] neg_lo:[0,0,1] neg_hi:[0,0,1]
	v_pk_fma_f32 v[4:5], v[6:7], v[0:1], v[4:5] op_sel:[0,0,1] op_sel_hi:[1,0,0]
	v_mov_b32_e32 v9, v5
	ds_load_2addr_b64 v[4:7], v154 offset0:34 offset1:35
	v_pk_add_f32 v[142:143], v[142:143], v[8:9] neg_lo:[0,1] neg_hi:[0,1]
	s_wait_dscnt 0x0
	v_pk_mul_f32 v[8:9], v[4:5], v[2:3] op_sel:[0,1]
	s_delay_alu instid0(VALU_DEP_1) | instskip(SKIP_1) | instid1(VALU_DEP_1)
	v_pk_fma_f32 v[10:11], v[4:5], v[0:1], v[8:9] op_sel:[0,0,1] op_sel_hi:[1,1,0] neg_lo:[0,0,1] neg_hi:[0,0,1]
	v_pk_fma_f32 v[4:5], v[4:5], v[0:1], v[8:9] op_sel:[0,0,1] op_sel_hi:[1,0,0]
	v_mov_b32_e32 v11, v5
	v_pk_mul_f32 v[4:5], v[6:7], v[2:3] op_sel:[0,1]
	s_delay_alu instid0(VALU_DEP_2) | instskip(NEXT) | instid1(VALU_DEP_2)
	v_pk_add_f32 v[144:145], v[144:145], v[10:11] neg_lo:[0,1] neg_hi:[0,1]
	v_pk_fma_f32 v[8:9], v[6:7], v[0:1], v[4:5] op_sel:[0,0,1] op_sel_hi:[1,1,0] neg_lo:[0,0,1] neg_hi:[0,0,1]
	v_pk_fma_f32 v[4:5], v[6:7], v[0:1], v[4:5] op_sel:[0,0,1] op_sel_hi:[1,0,0]
	s_delay_alu instid0(VALU_DEP_1) | instskip(SKIP_4) | instid1(VALU_DEP_1)
	v_mov_b32_e32 v9, v5
	ds_load_2addr_b64 v[4:7], v154 offset0:36 offset1:37
	v_pk_add_f32 v[140:141], v[140:141], v[8:9] neg_lo:[0,1] neg_hi:[0,1]
	s_wait_dscnt 0x0
	v_pk_mul_f32 v[8:9], v[4:5], v[2:3] op_sel:[0,1]
	v_pk_fma_f32 v[10:11], v[4:5], v[0:1], v[8:9] op_sel:[0,0,1] op_sel_hi:[1,1,0] neg_lo:[0,0,1] neg_hi:[0,0,1]
	v_pk_fma_f32 v[4:5], v[4:5], v[0:1], v[8:9] op_sel:[0,0,1] op_sel_hi:[1,0,0]
	v_dual_mul_f32 v8, v7, v3 :: v_dual_mov_b32 v4, v7
	s_delay_alu instid0(VALU_DEP_2) | instskip(NEXT) | instid1(VALU_DEP_2)
	v_dual_mov_b32 v11, v5 :: v_dual_mov_b32 v5, v6
	v_pk_fma_f32 v[8:9], v[6:7], v[60:61], v[8:9] op_sel_hi:[1,1,0] neg_lo:[0,0,1] neg_hi:[0,0,1]
	v_mul_f32_e32 v6, v7, v0
	s_delay_alu instid0(VALU_DEP_3) | instskip(NEXT) | instid1(VALU_DEP_2)
	v_pk_add_f32 v[162:163], v[162:163], v[10:11] neg_lo:[0,1] neg_hi:[0,1]
	v_pk_fma_f32 v[4:5], v[4:5], v[60:61], v[6:7] op_sel_hi:[1,1,0]
	s_delay_alu instid0(VALU_DEP_1) | instskip(SKIP_4) | instid1(VALU_DEP_1)
	v_mov_b32_e32 v9, v5
	ds_load_2addr_b64 v[4:7], v154 offset0:38 offset1:39
	v_pk_add_f32 v[158:159], v[158:159], v[8:9] neg_lo:[0,1] neg_hi:[0,1]
	s_wait_dscnt 0x0
	v_pk_mul_f32 v[8:9], v[4:5], v[2:3] op_sel:[0,1]
	v_pk_fma_f32 v[10:11], v[4:5], v[0:1], v[8:9] op_sel:[0,0,1] op_sel_hi:[1,1,0] neg_lo:[0,0,1] neg_hi:[0,0,1]
	v_pk_fma_f32 v[4:5], v[4:5], v[0:1], v[8:9] op_sel:[0,0,1] op_sel_hi:[1,0,0]
	s_delay_alu instid0(VALU_DEP_1) | instskip(SKIP_1) | instid1(VALU_DEP_1)
	v_mov_b32_e32 v11, v5
	v_pk_mul_f32 v[4:5], v[6:7], v[2:3] op_sel:[0,1]
	v_pk_fma_f32 v[8:9], v[6:7], v[0:1], v[4:5] op_sel:[0,0,1] op_sel_hi:[1,1,0] neg_lo:[0,0,1] neg_hi:[0,0,1]
	v_pk_fma_f32 v[4:5], v[6:7], v[0:1], v[4:5] op_sel:[0,0,1] op_sel_hi:[1,0,0]
	s_delay_alu instid0(VALU_DEP_1)
	v_mov_b32_e32 v9, v5
	ds_load_2addr_b64 v[4:7], v154 offset0:40 offset1:41
	v_pk_add_f32 v[160:161], v[160:161], v[10:11] neg_lo:[0,1] neg_hi:[0,1]
	v_pk_add_f32 v[156:157], v[156:157], v[8:9] neg_lo:[0,1] neg_hi:[0,1]
	s_wait_dscnt 0x0
	v_pk_mul_f32 v[8:9], v[4:5], v[2:3] op_sel:[0,1]
	s_delay_alu instid0(VALU_DEP_1) | instskip(SKIP_1) | instid1(VALU_DEP_1)
	v_pk_fma_f32 v[10:11], v[4:5], v[0:1], v[8:9] op_sel:[0,0,1] op_sel_hi:[1,1,0] neg_lo:[0,0,1] neg_hi:[0,0,1]
	v_pk_fma_f32 v[4:5], v[4:5], v[0:1], v[8:9] op_sel:[0,0,1] op_sel_hi:[1,0,0]
	v_mov_b32_e32 v11, v5
	v_pk_mul_f32 v[4:5], v[6:7], v[2:3] op_sel:[0,1]
	s_delay_alu instid0(VALU_DEP_1) | instskip(SKIP_1) | instid1(VALU_DEP_1)
	v_pk_fma_f32 v[8:9], v[6:7], v[0:1], v[4:5] op_sel:[0,0,1] op_sel_hi:[1,1,0] neg_lo:[0,0,1] neg_hi:[0,0,1]
	v_pk_fma_f32 v[4:5], v[6:7], v[0:1], v[4:5] op_sel:[0,0,1] op_sel_hi:[1,0,0]
	v_mov_b32_e32 v9, v5
	ds_load_2addr_b64 v[4:7], v154 offset0:42 offset1:43
	v_pk_add_f32 v[178:179], v[178:179], v[10:11] neg_lo:[0,1] neg_hi:[0,1]
	v_pk_add_f32 v[174:175], v[174:175], v[8:9] neg_lo:[0,1] neg_hi:[0,1]
	s_wait_dscnt 0x0
	v_dual_mul_f32 v8, v5, v3 :: v_dual_mul_f32 v10, v5, v0
	s_delay_alu instid0(VALU_DEP_1) | instskip(NEXT) | instid1(VALU_DEP_2)
	v_pk_fma_f32 v[8:9], v[4:5], v[60:61], v[8:9] op_sel_hi:[1,1,0] neg_lo:[0,0,1] neg_hi:[0,0,1]
	v_pk_fma_f32 v[4:5], v[4:5], v[60:61], v[10:11] op_sel:[1,0,0] op_sel_hi:[0,1,0]
	s_delay_alu instid0(VALU_DEP_1) | instskip(SKIP_1) | instid1(VALU_DEP_2)
	v_mov_b32_e32 v9, v5
	v_pk_mul_f32 v[4:5], v[6:7], v[2:3] op_sel:[0,1]
	v_pk_add_f32 v[176:177], v[176:177], v[8:9] neg_lo:[0,1] neg_hi:[0,1]
	s_delay_alu instid0(VALU_DEP_2) | instskip(SKIP_1) | instid1(VALU_DEP_1)
	v_pk_fma_f32 v[8:9], v[6:7], v[0:1], v[4:5] op_sel:[0,0,1] op_sel_hi:[1,1,0] neg_lo:[0,0,1] neg_hi:[0,0,1]
	v_pk_fma_f32 v[4:5], v[6:7], v[0:1], v[4:5] op_sel:[0,0,1] op_sel_hi:[1,0,0]
	v_mov_b32_e32 v9, v5
	ds_load_2addr_b64 v[4:7], v154 offset0:44 offset1:45
	v_pk_add_f32 v[172:173], v[172:173], v[8:9] neg_lo:[0,1] neg_hi:[0,1]
	s_wait_dscnt 0x0
	v_pk_mul_f32 v[8:9], v[4:5], v[2:3] op_sel:[0,1]
	s_delay_alu instid0(VALU_DEP_1) | instskip(SKIP_1) | instid1(VALU_DEP_1)
	v_pk_fma_f32 v[10:11], v[4:5], v[0:1], v[8:9] op_sel:[0,0,1] op_sel_hi:[1,1,0] neg_lo:[0,0,1] neg_hi:[0,0,1]
	v_pk_fma_f32 v[4:5], v[4:5], v[0:1], v[8:9] op_sel:[0,0,1] op_sel_hi:[1,0,0]
	v_mov_b32_e32 v11, v5
	v_pk_mul_f32 v[4:5], v[6:7], v[2:3] op_sel:[0,1]
	s_delay_alu instid0(VALU_DEP_2) | instskip(NEXT) | instid1(VALU_DEP_2)
	v_pk_add_f32 v[196:197], v[196:197], v[10:11] neg_lo:[0,1] neg_hi:[0,1]
	v_pk_fma_f32 v[8:9], v[6:7], v[0:1], v[4:5] op_sel:[0,0,1] op_sel_hi:[1,1,0] neg_lo:[0,0,1] neg_hi:[0,0,1]
	v_pk_fma_f32 v[4:5], v[6:7], v[0:1], v[4:5] op_sel:[0,0,1] op_sel_hi:[1,0,0]
	s_delay_alu instid0(VALU_DEP_1) | instskip(SKIP_4) | instid1(VALU_DEP_1)
	v_mov_b32_e32 v9, v5
	ds_load_2addr_b64 v[4:7], v154 offset0:46 offset1:47
	v_pk_add_f32 v[192:193], v[192:193], v[8:9] neg_lo:[0,1] neg_hi:[0,1]
	s_wait_dscnt 0x0
	v_pk_mul_f32 v[8:9], v[4:5], v[2:3] op_sel:[0,1]
	v_pk_fma_f32 v[10:11], v[4:5], v[0:1], v[8:9] op_sel:[0,0,1] op_sel_hi:[1,1,0] neg_lo:[0,0,1] neg_hi:[0,0,1]
	v_pk_fma_f32 v[4:5], v[4:5], v[0:1], v[8:9] op_sel:[0,0,1] op_sel_hi:[1,0,0]
	v_dual_mul_f32 v8, v7, v3 :: v_dual_mov_b32 v4, v7
	s_delay_alu instid0(VALU_DEP_2) | instskip(NEXT) | instid1(VALU_DEP_2)
	v_dual_mov_b32 v11, v5 :: v_dual_mov_b32 v5, v6
	v_pk_fma_f32 v[8:9], v[6:7], v[60:61], v[8:9] op_sel_hi:[1,1,0] neg_lo:[0,0,1] neg_hi:[0,0,1]
	v_mul_f32_e32 v6, v7, v0
	s_delay_alu instid0(VALU_DEP_3) | instskip(NEXT) | instid1(VALU_DEP_2)
	v_pk_add_f32 v[194:195], v[194:195], v[10:11] neg_lo:[0,1] neg_hi:[0,1]
	v_pk_fma_f32 v[4:5], v[4:5], v[60:61], v[6:7] op_sel_hi:[1,1,0]
	s_delay_alu instid0(VALU_DEP_1) | instskip(SKIP_4) | instid1(VALU_DEP_1)
	v_mov_b32_e32 v9, v5
	ds_load_2addr_b64 v[4:7], v154 offset0:48 offset1:49
	v_pk_add_f32 v[190:191], v[190:191], v[8:9] neg_lo:[0,1] neg_hi:[0,1]
	s_wait_dscnt 0x0
	v_pk_mul_f32 v[8:9], v[4:5], v[2:3] op_sel:[0,1]
	v_pk_fma_f32 v[10:11], v[4:5], v[0:1], v[8:9] op_sel:[0,0,1] op_sel_hi:[1,1,0] neg_lo:[0,0,1] neg_hi:[0,0,1]
	v_pk_fma_f32 v[4:5], v[4:5], v[0:1], v[8:9] op_sel:[0,0,1] op_sel_hi:[1,0,0]
	s_delay_alu instid0(VALU_DEP_1) | instskip(SKIP_1) | instid1(VALU_DEP_1)
	v_mov_b32_e32 v11, v5
	v_pk_mul_f32 v[4:5], v[6:7], v[2:3] op_sel:[0,1]
	v_pk_fma_f32 v[8:9], v[6:7], v[0:1], v[4:5] op_sel:[0,0,1] op_sel_hi:[1,1,0] neg_lo:[0,0,1] neg_hi:[0,0,1]
	v_pk_fma_f32 v[4:5], v[6:7], v[0:1], v[4:5] op_sel:[0,0,1] op_sel_hi:[1,0,0]
	s_delay_alu instid0(VALU_DEP_1)
	v_mov_b32_e32 v9, v5
	ds_load_2addr_b64 v[4:7], v154 offset0:50 offset1:51
	v_pk_add_f32 v[216:217], v[216:217], v[10:11] neg_lo:[0,1] neg_hi:[0,1]
	v_pk_add_f32 v[210:211], v[210:211], v[8:9] neg_lo:[0,1] neg_hi:[0,1]
	s_wait_dscnt 0x0
	v_pk_mul_f32 v[8:9], v[4:5], v[2:3] op_sel:[0,1]
	s_delay_alu instid0(VALU_DEP_1) | instskip(SKIP_1) | instid1(VALU_DEP_1)
	v_pk_fma_f32 v[10:11], v[4:5], v[0:1], v[8:9] op_sel:[0,0,1] op_sel_hi:[1,1,0] neg_lo:[0,0,1] neg_hi:[0,0,1]
	v_pk_fma_f32 v[4:5], v[4:5], v[0:1], v[8:9] op_sel:[0,0,1] op_sel_hi:[1,0,0]
	v_mov_b32_e32 v11, v5
	v_pk_mul_f32 v[4:5], v[6:7], v[2:3] op_sel:[0,1]
	s_delay_alu instid0(VALU_DEP_1) | instskip(SKIP_1) | instid1(VALU_DEP_1)
	v_pk_fma_f32 v[8:9], v[6:7], v[0:1], v[4:5] op_sel:[0,0,1] op_sel_hi:[1,1,0] neg_lo:[0,0,1] neg_hi:[0,0,1]
	v_pk_fma_f32 v[4:5], v[6:7], v[0:1], v[4:5] op_sel:[0,0,1] op_sel_hi:[1,0,0]
	v_mov_b32_e32 v9, v5
	ds_load_2addr_b64 v[4:7], v154 offset0:52 offset1:53
	v_pk_add_f32 v[214:215], v[214:215], v[10:11] neg_lo:[0,1] neg_hi:[0,1]
	v_pk_add_f32 v[208:209], v[208:209], v[8:9] neg_lo:[0,1] neg_hi:[0,1]
	s_wait_dscnt 0x0
	v_dual_mul_f32 v8, v5, v3 :: v_dual_mul_f32 v10, v5, v0
	s_delay_alu instid0(VALU_DEP_1) | instskip(NEXT) | instid1(VALU_DEP_2)
	v_pk_fma_f32 v[8:9], v[4:5], v[60:61], v[8:9] op_sel_hi:[1,1,0] neg_lo:[0,0,1] neg_hi:[0,0,1]
	v_pk_fma_f32 v[4:5], v[4:5], v[60:61], v[10:11] op_sel:[1,0,0] op_sel_hi:[0,1,0]
	s_delay_alu instid0(VALU_DEP_1) | instskip(SKIP_1) | instid1(VALU_DEP_2)
	v_mov_b32_e32 v9, v5
	v_pk_mul_f32 v[4:5], v[6:7], v[2:3] op_sel:[0,1]
	v_pk_add_f32 v[212:213], v[212:213], v[8:9] neg_lo:[0,1] neg_hi:[0,1]
	s_delay_alu instid0(VALU_DEP_2) | instskip(SKIP_1) | instid1(VALU_DEP_1)
	v_pk_fma_f32 v[8:9], v[6:7], v[0:1], v[4:5] op_sel:[0,0,1] op_sel_hi:[1,1,0] neg_lo:[0,0,1] neg_hi:[0,0,1]
	v_pk_fma_f32 v[4:5], v[6:7], v[0:1], v[4:5] op_sel:[0,0,1] op_sel_hi:[1,0,0]
	v_mov_b32_e32 v9, v5
	ds_load_b64 v[4:5], v154 offset:432
	v_pk_add_f32 v[218:219], v[218:219], v[8:9] neg_lo:[0,1] neg_hi:[0,1]
	s_wait_dscnt 0x0
	v_pk_mul_f32 v[2:3], v[4:5], v[2:3] op_sel:[0,1]
	s_delay_alu instid0(VALU_DEP_1) | instskip(SKIP_1) | instid1(VALU_DEP_1)
	v_pk_fma_f32 v[6:7], v[4:5], v[0:1], v[2:3] op_sel:[0,0,1] op_sel_hi:[1,1,0] neg_lo:[0,0,1] neg_hi:[0,0,1]
	v_pk_fma_f32 v[0:1], v[4:5], v[0:1], v[2:3] op_sel:[0,0,1] op_sel_hi:[1,0,0]
	v_mov_b32_e32 v7, v1
	s_delay_alu instid0(VALU_DEP_1)
	v_pk_add_f32 v[220:221], v[220:221], v[6:7] neg_lo:[0,1] neg_hi:[0,1]
.LBB109_127:
	s_wait_xcnt 0x0
	s_or_b32 exec_lo, exec_lo, s1
	s_delay_alu instid0(SALU_CYCLE_1)
	s_mov_b32 s2, exec_lo
	s_wait_storecnt 0x0
	s_barrier_signal -1
	s_barrier_wait -1
	v_cmpx_eq_u32_e32 14, v152
	s_cbranch_execz .LBB109_134
; %bb.128:
	ds_store_b64 v153, v[62:63]
	ds_store_2addr_b64 v154, v[58:59], v[80:81] offset0:15 offset1:16
	ds_store_2addr_b64 v154, v[76:77], v[78:79] offset0:17 offset1:18
	;; [unrolled: 1-line block ×20, first 2 shown]
	ds_load_b64 v[0:1], v153
	s_wait_dscnt 0x0
	v_cmp_neq_f32_e32 vcc_lo, 0, v0
	v_cmp_neq_f32_e64 s1, 0, v1
	s_or_b32 s1, vcc_lo, s1
	s_delay_alu instid0(SALU_CYCLE_1)
	s_and_b32 exec_lo, exec_lo, s1
	s_cbranch_execz .LBB109_134
; %bb.129:
	v_cmp_ngt_f32_e64 s1, |v0|, |v1|
                                        ; implicit-def: $vgpr2_vgpr3
	s_and_saveexec_b32 s4, s1
	s_delay_alu instid0(SALU_CYCLE_1)
	s_xor_b32 s1, exec_lo, s4
	s_cbranch_execz .LBB109_131
; %bb.130:
	v_div_scale_f32 v2, null, v1, v1, v0
	v_div_scale_f32 v5, vcc_lo, v0, v1, v0
	s_delay_alu instid0(VALU_DEP_2) | instskip(SKIP_1) | instid1(TRANS32_DEP_1)
	v_rcp_f32_e32 v3, v2
	v_nop
	v_fma_f32 v4, -v2, v3, 1.0
	s_delay_alu instid0(VALU_DEP_1) | instskip(NEXT) | instid1(VALU_DEP_1)
	v_fmac_f32_e32 v3, v4, v3
	v_mul_f32_e32 v4, v5, v3
	s_delay_alu instid0(VALU_DEP_1) | instskip(NEXT) | instid1(VALU_DEP_1)
	v_fma_f32 v6, -v2, v4, v5
	v_fmac_f32_e32 v4, v6, v3
	s_delay_alu instid0(VALU_DEP_1) | instskip(NEXT) | instid1(VALU_DEP_1)
	v_fma_f32 v2, -v2, v4, v5
	v_div_fmas_f32 v2, v2, v3, v4
	s_delay_alu instid0(VALU_DEP_1) | instskip(NEXT) | instid1(VALU_DEP_1)
	v_div_fixup_f32 v2, v2, v1, v0
	v_fmac_f32_e32 v1, v0, v2
	s_delay_alu instid0(VALU_DEP_1) | instskip(SKIP_1) | instid1(VALU_DEP_2)
	v_div_scale_f32 v0, null, v1, v1, 1.0
	v_div_scale_f32 v5, vcc_lo, 1.0, v1, 1.0
	v_rcp_f32_e32 v3, v0
	v_nop
	s_delay_alu instid0(TRANS32_DEP_1) | instskip(NEXT) | instid1(VALU_DEP_1)
	v_fma_f32 v4, -v0, v3, 1.0
	v_fmac_f32_e32 v3, v4, v3
	s_delay_alu instid0(VALU_DEP_1) | instskip(NEXT) | instid1(VALU_DEP_1)
	v_mul_f32_e32 v4, v5, v3
	v_fma_f32 v6, -v0, v4, v5
	s_delay_alu instid0(VALU_DEP_1) | instskip(NEXT) | instid1(VALU_DEP_1)
	v_fmac_f32_e32 v4, v6, v3
	v_fma_f32 v0, -v0, v4, v5
	s_delay_alu instid0(VALU_DEP_1) | instskip(NEXT) | instid1(VALU_DEP_1)
	v_div_fmas_f32 v0, v0, v3, v4
	v_div_fixup_f32 v0, v0, v1, 1.0
	s_delay_alu instid0(VALU_DEP_1)
	v_mul_f32_e32 v2, v2, v0
	v_xor_b32_e32 v3, 0x80000000, v0
                                        ; implicit-def: $vgpr0_vgpr1
.LBB109_131:
	s_and_not1_saveexec_b32 s1, s1
	s_cbranch_execz .LBB109_133
; %bb.132:
	v_div_scale_f32 v2, null, v0, v0, v1
	v_div_scale_f32 v5, vcc_lo, v1, v0, v1
	s_delay_alu instid0(VALU_DEP_2) | instskip(SKIP_1) | instid1(TRANS32_DEP_1)
	v_rcp_f32_e32 v3, v2
	v_nop
	v_fma_f32 v4, -v2, v3, 1.0
	s_delay_alu instid0(VALU_DEP_1) | instskip(NEXT) | instid1(VALU_DEP_1)
	v_fmac_f32_e32 v3, v4, v3
	v_mul_f32_e32 v4, v5, v3
	s_delay_alu instid0(VALU_DEP_1) | instskip(NEXT) | instid1(VALU_DEP_1)
	v_fma_f32 v6, -v2, v4, v5
	v_fmac_f32_e32 v4, v6, v3
	s_delay_alu instid0(VALU_DEP_1) | instskip(NEXT) | instid1(VALU_DEP_1)
	v_fma_f32 v2, -v2, v4, v5
	v_div_fmas_f32 v2, v2, v3, v4
	s_delay_alu instid0(VALU_DEP_1) | instskip(NEXT) | instid1(VALU_DEP_1)
	v_div_fixup_f32 v3, v2, v0, v1
	v_fmac_f32_e32 v0, v1, v3
	s_delay_alu instid0(VALU_DEP_1) | instskip(NEXT) | instid1(VALU_DEP_1)
	v_div_scale_f32 v1, null, v0, v0, 1.0
	v_rcp_f32_e32 v2, v1
	v_nop
	s_delay_alu instid0(TRANS32_DEP_1) | instskip(NEXT) | instid1(VALU_DEP_1)
	v_fma_f32 v4, -v1, v2, 1.0
	v_fmac_f32_e32 v2, v4, v2
	v_div_scale_f32 v4, vcc_lo, 1.0, v0, 1.0
	s_delay_alu instid0(VALU_DEP_1) | instskip(NEXT) | instid1(VALU_DEP_1)
	v_mul_f32_e32 v5, v4, v2
	v_fma_f32 v6, -v1, v5, v4
	s_delay_alu instid0(VALU_DEP_1) | instskip(NEXT) | instid1(VALU_DEP_1)
	v_fmac_f32_e32 v5, v6, v2
	v_fma_f32 v1, -v1, v5, v4
	s_delay_alu instid0(VALU_DEP_1) | instskip(NEXT) | instid1(VALU_DEP_1)
	v_div_fmas_f32 v1, v1, v2, v5
	v_div_fixup_f32 v2, v1, v0, 1.0
	s_delay_alu instid0(VALU_DEP_1)
	v_mul_f32_e64 v3, v3, -v2
.LBB109_133:
	s_or_b32 exec_lo, exec_lo, s1
	ds_store_b64 v153, v[2:3]
.LBB109_134:
	s_or_b32 exec_lo, exec_lo, s2
	s_wait_dscnt 0x0
	s_barrier_signal -1
	s_barrier_wait -1
	ds_load_b64 v[0:1], v153
	s_mov_b32 s1, exec_lo
	s_wait_dscnt 0x0
	scratch_store_b64 off, v[0:1], off offset:320 ; 8-byte Folded Spill
	s_wait_xcnt 0x0
	v_cmpx_lt_u32_e32 14, v152
	s_cbranch_execz .LBB109_136
; %bb.135:
	scratch_load_b64 v[4:5], off, off offset:320 ; 8-byte Folded Reload
	s_wait_loadcnt 0x0
	v_pk_mul_f32 v[2:3], v[4:5], v[62:63] op_sel:[1,1] op_sel_hi:[0,1]
	s_delay_alu instid0(VALU_DEP_1)
	v_pk_fma_f32 v[0:1], v[4:5], v[62:63], v[2:3] op_sel_hi:[1,0,1] neg_lo:[0,0,1] neg_hi:[0,0,1]
	v_pk_fma_f32 v[2:3], v[4:5], v[62:63], v[2:3] op_sel_hi:[1,0,1]
	ds_load_2addr_b64 v[4:7], v154 offset0:15 offset1:16
	v_dual_mov_b32 v62, v0 :: v_dual_mov_b32 v63, v3
	s_wait_dscnt 0x0
	v_pk_mul_f32 v[8:9], v[4:5], v[2:3] op_sel:[0,1]
	s_delay_alu instid0(VALU_DEP_1) | instskip(SKIP_1) | instid1(VALU_DEP_1)
	v_pk_fma_f32 v[10:11], v[4:5], v[0:1], v[8:9] op_sel:[0,0,1] op_sel_hi:[1,1,0] neg_lo:[0,0,1] neg_hi:[0,0,1]
	v_pk_fma_f32 v[4:5], v[4:5], v[0:1], v[8:9] op_sel:[0,0,1] op_sel_hi:[1,0,0]
	v_mov_b32_e32 v11, v5
	v_pk_mul_f32 v[4:5], v[6:7], v[2:3] op_sel:[0,1]
	s_delay_alu instid0(VALU_DEP_1) | instskip(SKIP_1) | instid1(VALU_DEP_1)
	v_pk_fma_f32 v[8:9], v[6:7], v[0:1], v[4:5] op_sel:[0,0,1] op_sel_hi:[1,1,0] neg_lo:[0,0,1] neg_hi:[0,0,1]
	v_pk_fma_f32 v[4:5], v[6:7], v[0:1], v[4:5] op_sel:[0,0,1] op_sel_hi:[1,0,0]
	v_mov_b32_e32 v9, v5
	ds_load_2addr_b64 v[4:7], v154 offset0:17 offset1:18
	v_pk_add_f32 v[58:59], v[58:59], v[10:11] neg_lo:[0,1] neg_hi:[0,1]
	v_pk_add_f32 v[80:81], v[80:81], v[8:9] neg_lo:[0,1] neg_hi:[0,1]
	s_wait_dscnt 0x0
	v_pk_mul_f32 v[8:9], v[4:5], v[2:3] op_sel:[0,1]
	s_delay_alu instid0(VALU_DEP_1) | instskip(SKIP_2) | instid1(VALU_DEP_2)
	v_pk_fma_f32 v[10:11], v[4:5], v[0:1], v[8:9] op_sel:[0,0,1] op_sel_hi:[1,1,0] neg_lo:[0,0,1] neg_hi:[0,0,1]
	v_pk_fma_f32 v[4:5], v[4:5], v[0:1], v[8:9] op_sel:[0,0,1] op_sel_hi:[1,0,0]
	v_dual_mul_f32 v8, v7, v3 :: v_dual_mov_b32 v4, v7
	v_dual_mov_b32 v11, v5 :: v_dual_mov_b32 v5, v6
	s_delay_alu instid0(VALU_DEP_2) | instskip(SKIP_1) | instid1(VALU_DEP_3)
	v_pk_fma_f32 v[8:9], v[6:7], v[62:63], v[8:9] op_sel_hi:[1,1,0] neg_lo:[0,0,1] neg_hi:[0,0,1]
	v_mul_f32_e32 v6, v7, v0
	v_pk_add_f32 v[76:77], v[76:77], v[10:11] neg_lo:[0,1] neg_hi:[0,1]
	s_delay_alu instid0(VALU_DEP_2) | instskip(NEXT) | instid1(VALU_DEP_1)
	v_pk_fma_f32 v[4:5], v[4:5], v[62:63], v[6:7] op_sel_hi:[1,1,0]
	v_mov_b32_e32 v9, v5
	ds_load_2addr_b64 v[4:7], v154 offset0:19 offset1:20
	v_pk_add_f32 v[78:79], v[78:79], v[8:9] neg_lo:[0,1] neg_hi:[0,1]
	s_wait_dscnt 0x0
	v_pk_mul_f32 v[8:9], v[4:5], v[2:3] op_sel:[0,1]
	s_delay_alu instid0(VALU_DEP_1) | instskip(SKIP_1) | instid1(VALU_DEP_1)
	v_pk_fma_f32 v[10:11], v[4:5], v[0:1], v[8:9] op_sel:[0,0,1] op_sel_hi:[1,1,0] neg_lo:[0,0,1] neg_hi:[0,0,1]
	v_pk_fma_f32 v[4:5], v[4:5], v[0:1], v[8:9] op_sel:[0,0,1] op_sel_hi:[1,0,0]
	v_mov_b32_e32 v11, v5
	v_pk_mul_f32 v[4:5], v[6:7], v[2:3] op_sel:[0,1]
	s_delay_alu instid0(VALU_DEP_1) | instskip(SKIP_1) | instid1(VALU_DEP_1)
	v_pk_fma_f32 v[8:9], v[6:7], v[0:1], v[4:5] op_sel:[0,0,1] op_sel_hi:[1,1,0] neg_lo:[0,0,1] neg_hi:[0,0,1]
	v_pk_fma_f32 v[4:5], v[6:7], v[0:1], v[4:5] op_sel:[0,0,1] op_sel_hi:[1,0,0]
	v_mov_b32_e32 v9, v5
	ds_load_2addr_b64 v[4:7], v154 offset0:21 offset1:22
	v_pk_add_f32 v[74:75], v[74:75], v[10:11] neg_lo:[0,1] neg_hi:[0,1]
	v_pk_add_f32 v[96:97], v[96:97], v[8:9] neg_lo:[0,1] neg_hi:[0,1]
	s_wait_dscnt 0x0
	v_pk_mul_f32 v[8:9], v[4:5], v[2:3] op_sel:[0,1]
	s_delay_alu instid0(VALU_DEP_1) | instskip(SKIP_1) | instid1(VALU_DEP_1)
	v_pk_fma_f32 v[10:11], v[4:5], v[0:1], v[8:9] op_sel:[0,0,1] op_sel_hi:[1,1,0] neg_lo:[0,0,1] neg_hi:[0,0,1]
	v_pk_fma_f32 v[4:5], v[4:5], v[0:1], v[8:9] op_sel:[0,0,1] op_sel_hi:[1,0,0]
	v_mov_b32_e32 v11, v5
	v_pk_mul_f32 v[4:5], v[6:7], v[2:3] op_sel:[0,1]
	s_delay_alu instid0(VALU_DEP_1) | instskip(SKIP_1) | instid1(VALU_DEP_1)
	v_pk_fma_f32 v[8:9], v[6:7], v[0:1], v[4:5] op_sel:[0,0,1] op_sel_hi:[1,1,0] neg_lo:[0,0,1] neg_hi:[0,0,1]
	v_pk_fma_f32 v[4:5], v[6:7], v[0:1], v[4:5] op_sel:[0,0,1] op_sel_hi:[1,0,0]
	v_mov_b32_e32 v9, v5
	ds_load_2addr_b64 v[4:7], v154 offset0:23 offset1:24
	v_pk_add_f32 v[92:93], v[92:93], v[10:11] neg_lo:[0,1] neg_hi:[0,1]
	v_pk_add_f32 v[94:95], v[94:95], v[8:9] neg_lo:[0,1] neg_hi:[0,1]
	s_wait_dscnt 0x0
	v_dual_mul_f32 v8, v5, v3 :: v_dual_mul_f32 v10, v5, v0
	s_delay_alu instid0(VALU_DEP_1) | instskip(NEXT) | instid1(VALU_DEP_2)
	v_pk_fma_f32 v[8:9], v[4:5], v[62:63], v[8:9] op_sel_hi:[1,1,0] neg_lo:[0,0,1] neg_hi:[0,0,1]
	v_pk_fma_f32 v[4:5], v[4:5], v[62:63], v[10:11] op_sel:[1,0,0] op_sel_hi:[0,1,0]
	s_delay_alu instid0(VALU_DEP_1) | instskip(SKIP_1) | instid1(VALU_DEP_2)
	v_mov_b32_e32 v9, v5
	v_pk_mul_f32 v[4:5], v[6:7], v[2:3] op_sel:[0,1]
	v_pk_add_f32 v[90:91], v[90:91], v[8:9] neg_lo:[0,1] neg_hi:[0,1]
	s_delay_alu instid0(VALU_DEP_2) | instskip(SKIP_1) | instid1(VALU_DEP_1)
	v_pk_fma_f32 v[8:9], v[6:7], v[0:1], v[4:5] op_sel:[0,0,1] op_sel_hi:[1,1,0] neg_lo:[0,0,1] neg_hi:[0,0,1]
	v_pk_fma_f32 v[4:5], v[6:7], v[0:1], v[4:5] op_sel:[0,0,1] op_sel_hi:[1,0,0]
	v_mov_b32_e32 v9, v5
	ds_load_2addr_b64 v[4:7], v154 offset0:25 offset1:26
	v_pk_add_f32 v[114:115], v[114:115], v[8:9] neg_lo:[0,1] neg_hi:[0,1]
	s_wait_dscnt 0x0
	v_pk_mul_f32 v[8:9], v[4:5], v[2:3] op_sel:[0,1]
	s_delay_alu instid0(VALU_DEP_1) | instskip(SKIP_1) | instid1(VALU_DEP_1)
	v_pk_fma_f32 v[10:11], v[4:5], v[0:1], v[8:9] op_sel:[0,0,1] op_sel_hi:[1,1,0] neg_lo:[0,0,1] neg_hi:[0,0,1]
	v_pk_fma_f32 v[4:5], v[4:5], v[0:1], v[8:9] op_sel:[0,0,1] op_sel_hi:[1,0,0]
	v_mov_b32_e32 v11, v5
	v_pk_mul_f32 v[4:5], v[6:7], v[2:3] op_sel:[0,1]
	s_delay_alu instid0(VALU_DEP_2) | instskip(NEXT) | instid1(VALU_DEP_2)
	v_pk_add_f32 v[110:111], v[110:111], v[10:11] neg_lo:[0,1] neg_hi:[0,1]
	v_pk_fma_f32 v[8:9], v[6:7], v[0:1], v[4:5] op_sel:[0,0,1] op_sel_hi:[1,1,0] neg_lo:[0,0,1] neg_hi:[0,0,1]
	v_pk_fma_f32 v[4:5], v[6:7], v[0:1], v[4:5] op_sel:[0,0,1] op_sel_hi:[1,0,0]
	s_delay_alu instid0(VALU_DEP_1) | instskip(SKIP_4) | instid1(VALU_DEP_1)
	v_mov_b32_e32 v9, v5
	ds_load_2addr_b64 v[4:7], v154 offset0:27 offset1:28
	v_pk_add_f32 v[112:113], v[112:113], v[8:9] neg_lo:[0,1] neg_hi:[0,1]
	s_wait_dscnt 0x0
	v_pk_mul_f32 v[8:9], v[4:5], v[2:3] op_sel:[0,1]
	v_pk_fma_f32 v[10:11], v[4:5], v[0:1], v[8:9] op_sel:[0,0,1] op_sel_hi:[1,1,0] neg_lo:[0,0,1] neg_hi:[0,0,1]
	v_pk_fma_f32 v[4:5], v[4:5], v[0:1], v[8:9] op_sel:[0,0,1] op_sel_hi:[1,0,0]
	v_dual_mul_f32 v8, v7, v3 :: v_dual_mov_b32 v4, v7
	s_delay_alu instid0(VALU_DEP_2) | instskip(NEXT) | instid1(VALU_DEP_2)
	v_dual_mov_b32 v11, v5 :: v_dual_mov_b32 v5, v6
	v_pk_fma_f32 v[8:9], v[6:7], v[62:63], v[8:9] op_sel_hi:[1,1,0] neg_lo:[0,0,1] neg_hi:[0,0,1]
	v_mul_f32_e32 v6, v7, v0
	s_delay_alu instid0(VALU_DEP_3) | instskip(NEXT) | instid1(VALU_DEP_2)
	v_pk_add_f32 v[108:109], v[108:109], v[10:11] neg_lo:[0,1] neg_hi:[0,1]
	v_pk_fma_f32 v[4:5], v[4:5], v[62:63], v[6:7] op_sel_hi:[1,1,0]
	s_delay_alu instid0(VALU_DEP_1) | instskip(SKIP_4) | instid1(VALU_DEP_1)
	v_mov_b32_e32 v9, v5
	ds_load_2addr_b64 v[4:7], v154 offset0:29 offset1:30
	v_pk_add_f32 v[130:131], v[130:131], v[8:9] neg_lo:[0,1] neg_hi:[0,1]
	s_wait_dscnt 0x0
	v_pk_mul_f32 v[8:9], v[4:5], v[2:3] op_sel:[0,1]
	v_pk_fma_f32 v[10:11], v[4:5], v[0:1], v[8:9] op_sel:[0,0,1] op_sel_hi:[1,1,0] neg_lo:[0,0,1] neg_hi:[0,0,1]
	v_pk_fma_f32 v[4:5], v[4:5], v[0:1], v[8:9] op_sel:[0,0,1] op_sel_hi:[1,0,0]
	s_delay_alu instid0(VALU_DEP_1) | instskip(SKIP_1) | instid1(VALU_DEP_1)
	v_mov_b32_e32 v11, v5
	v_pk_mul_f32 v[4:5], v[6:7], v[2:3] op_sel:[0,1]
	v_pk_fma_f32 v[8:9], v[6:7], v[0:1], v[4:5] op_sel:[0,0,1] op_sel_hi:[1,1,0] neg_lo:[0,0,1] neg_hi:[0,0,1]
	v_pk_fma_f32 v[4:5], v[6:7], v[0:1], v[4:5] op_sel:[0,0,1] op_sel_hi:[1,0,0]
	s_delay_alu instid0(VALU_DEP_1)
	v_mov_b32_e32 v9, v5
	ds_load_2addr_b64 v[4:7], v154 offset0:31 offset1:32
	v_pk_add_f32 v[126:127], v[126:127], v[10:11] neg_lo:[0,1] neg_hi:[0,1]
	v_pk_add_f32 v[128:129], v[128:129], v[8:9] neg_lo:[0,1] neg_hi:[0,1]
	s_wait_dscnt 0x0
	v_pk_mul_f32 v[8:9], v[4:5], v[2:3] op_sel:[0,1]
	s_delay_alu instid0(VALU_DEP_1) | instskip(SKIP_1) | instid1(VALU_DEP_1)
	v_pk_fma_f32 v[10:11], v[4:5], v[0:1], v[8:9] op_sel:[0,0,1] op_sel_hi:[1,1,0] neg_lo:[0,0,1] neg_hi:[0,0,1]
	v_pk_fma_f32 v[4:5], v[4:5], v[0:1], v[8:9] op_sel:[0,0,1] op_sel_hi:[1,0,0]
	v_mov_b32_e32 v11, v5
	v_pk_mul_f32 v[4:5], v[6:7], v[2:3] op_sel:[0,1]
	s_delay_alu instid0(VALU_DEP_1) | instskip(SKIP_1) | instid1(VALU_DEP_1)
	v_pk_fma_f32 v[8:9], v[6:7], v[0:1], v[4:5] op_sel:[0,0,1] op_sel_hi:[1,1,0] neg_lo:[0,0,1] neg_hi:[0,0,1]
	v_pk_fma_f32 v[4:5], v[6:7], v[0:1], v[4:5] op_sel:[0,0,1] op_sel_hi:[1,0,0]
	v_mov_b32_e32 v9, v5
	ds_load_2addr_b64 v[4:7], v154 offset0:33 offset1:34
	v_pk_add_f32 v[124:125], v[124:125], v[10:11] neg_lo:[0,1] neg_hi:[0,1]
	v_pk_add_f32 v[146:147], v[146:147], v[8:9] neg_lo:[0,1] neg_hi:[0,1]
	s_wait_dscnt 0x0
	v_dual_mul_f32 v8, v5, v3 :: v_dual_mul_f32 v10, v5, v0
	s_delay_alu instid0(VALU_DEP_1) | instskip(NEXT) | instid1(VALU_DEP_2)
	v_pk_fma_f32 v[8:9], v[4:5], v[62:63], v[8:9] op_sel_hi:[1,1,0] neg_lo:[0,0,1] neg_hi:[0,0,1]
	v_pk_fma_f32 v[4:5], v[4:5], v[62:63], v[10:11] op_sel:[1,0,0] op_sel_hi:[0,1,0]
	s_delay_alu instid0(VALU_DEP_1) | instskip(SKIP_1) | instid1(VALU_DEP_2)
	v_mov_b32_e32 v9, v5
	v_pk_mul_f32 v[4:5], v[6:7], v[2:3] op_sel:[0,1]
	v_pk_add_f32 v[142:143], v[142:143], v[8:9] neg_lo:[0,1] neg_hi:[0,1]
	s_delay_alu instid0(VALU_DEP_2) | instskip(SKIP_1) | instid1(VALU_DEP_1)
	v_pk_fma_f32 v[8:9], v[6:7], v[0:1], v[4:5] op_sel:[0,0,1] op_sel_hi:[1,1,0] neg_lo:[0,0,1] neg_hi:[0,0,1]
	v_pk_fma_f32 v[4:5], v[6:7], v[0:1], v[4:5] op_sel:[0,0,1] op_sel_hi:[1,0,0]
	v_mov_b32_e32 v9, v5
	ds_load_2addr_b64 v[4:7], v154 offset0:35 offset1:36
	v_pk_add_f32 v[144:145], v[144:145], v[8:9] neg_lo:[0,1] neg_hi:[0,1]
	s_wait_dscnt 0x0
	v_pk_mul_f32 v[8:9], v[4:5], v[2:3] op_sel:[0,1]
	s_delay_alu instid0(VALU_DEP_1) | instskip(SKIP_1) | instid1(VALU_DEP_1)
	v_pk_fma_f32 v[10:11], v[4:5], v[0:1], v[8:9] op_sel:[0,0,1] op_sel_hi:[1,1,0] neg_lo:[0,0,1] neg_hi:[0,0,1]
	v_pk_fma_f32 v[4:5], v[4:5], v[0:1], v[8:9] op_sel:[0,0,1] op_sel_hi:[1,0,0]
	v_mov_b32_e32 v11, v5
	v_pk_mul_f32 v[4:5], v[6:7], v[2:3] op_sel:[0,1]
	s_delay_alu instid0(VALU_DEP_2) | instskip(NEXT) | instid1(VALU_DEP_2)
	v_pk_add_f32 v[140:141], v[140:141], v[10:11] neg_lo:[0,1] neg_hi:[0,1]
	v_pk_fma_f32 v[8:9], v[6:7], v[0:1], v[4:5] op_sel:[0,0,1] op_sel_hi:[1,1,0] neg_lo:[0,0,1] neg_hi:[0,0,1]
	v_pk_fma_f32 v[4:5], v[6:7], v[0:1], v[4:5] op_sel:[0,0,1] op_sel_hi:[1,0,0]
	s_delay_alu instid0(VALU_DEP_1) | instskip(SKIP_4) | instid1(VALU_DEP_1)
	v_mov_b32_e32 v9, v5
	ds_load_2addr_b64 v[4:7], v154 offset0:37 offset1:38
	v_pk_add_f32 v[162:163], v[162:163], v[8:9] neg_lo:[0,1] neg_hi:[0,1]
	s_wait_dscnt 0x0
	v_pk_mul_f32 v[8:9], v[4:5], v[2:3] op_sel:[0,1]
	v_pk_fma_f32 v[10:11], v[4:5], v[0:1], v[8:9] op_sel:[0,0,1] op_sel_hi:[1,1,0] neg_lo:[0,0,1] neg_hi:[0,0,1]
	v_pk_fma_f32 v[4:5], v[4:5], v[0:1], v[8:9] op_sel:[0,0,1] op_sel_hi:[1,0,0]
	v_dual_mul_f32 v8, v7, v3 :: v_dual_mov_b32 v4, v7
	s_delay_alu instid0(VALU_DEP_2) | instskip(NEXT) | instid1(VALU_DEP_2)
	v_dual_mov_b32 v11, v5 :: v_dual_mov_b32 v5, v6
	v_pk_fma_f32 v[8:9], v[6:7], v[62:63], v[8:9] op_sel_hi:[1,1,0] neg_lo:[0,0,1] neg_hi:[0,0,1]
	v_mul_f32_e32 v6, v7, v0
	s_delay_alu instid0(VALU_DEP_3) | instskip(NEXT) | instid1(VALU_DEP_2)
	v_pk_add_f32 v[158:159], v[158:159], v[10:11] neg_lo:[0,1] neg_hi:[0,1]
	v_pk_fma_f32 v[4:5], v[4:5], v[62:63], v[6:7] op_sel_hi:[1,1,0]
	s_delay_alu instid0(VALU_DEP_1) | instskip(SKIP_4) | instid1(VALU_DEP_1)
	v_mov_b32_e32 v9, v5
	ds_load_2addr_b64 v[4:7], v154 offset0:39 offset1:40
	v_pk_add_f32 v[160:161], v[160:161], v[8:9] neg_lo:[0,1] neg_hi:[0,1]
	s_wait_dscnt 0x0
	v_pk_mul_f32 v[8:9], v[4:5], v[2:3] op_sel:[0,1]
	v_pk_fma_f32 v[10:11], v[4:5], v[0:1], v[8:9] op_sel:[0,0,1] op_sel_hi:[1,1,0] neg_lo:[0,0,1] neg_hi:[0,0,1]
	v_pk_fma_f32 v[4:5], v[4:5], v[0:1], v[8:9] op_sel:[0,0,1] op_sel_hi:[1,0,0]
	s_delay_alu instid0(VALU_DEP_1) | instskip(SKIP_1) | instid1(VALU_DEP_1)
	v_mov_b32_e32 v11, v5
	v_pk_mul_f32 v[4:5], v[6:7], v[2:3] op_sel:[0,1]
	v_pk_fma_f32 v[8:9], v[6:7], v[0:1], v[4:5] op_sel:[0,0,1] op_sel_hi:[1,1,0] neg_lo:[0,0,1] neg_hi:[0,0,1]
	v_pk_fma_f32 v[4:5], v[6:7], v[0:1], v[4:5] op_sel:[0,0,1] op_sel_hi:[1,0,0]
	s_delay_alu instid0(VALU_DEP_1)
	v_mov_b32_e32 v9, v5
	ds_load_2addr_b64 v[4:7], v154 offset0:41 offset1:42
	v_pk_add_f32 v[156:157], v[156:157], v[10:11] neg_lo:[0,1] neg_hi:[0,1]
	v_pk_add_f32 v[178:179], v[178:179], v[8:9] neg_lo:[0,1] neg_hi:[0,1]
	s_wait_dscnt 0x0
	v_pk_mul_f32 v[8:9], v[4:5], v[2:3] op_sel:[0,1]
	s_delay_alu instid0(VALU_DEP_1) | instskip(SKIP_1) | instid1(VALU_DEP_1)
	v_pk_fma_f32 v[10:11], v[4:5], v[0:1], v[8:9] op_sel:[0,0,1] op_sel_hi:[1,1,0] neg_lo:[0,0,1] neg_hi:[0,0,1]
	v_pk_fma_f32 v[4:5], v[4:5], v[0:1], v[8:9] op_sel:[0,0,1] op_sel_hi:[1,0,0]
	v_mov_b32_e32 v11, v5
	v_pk_mul_f32 v[4:5], v[6:7], v[2:3] op_sel:[0,1]
	s_delay_alu instid0(VALU_DEP_1) | instskip(SKIP_1) | instid1(VALU_DEP_1)
	v_pk_fma_f32 v[8:9], v[6:7], v[0:1], v[4:5] op_sel:[0,0,1] op_sel_hi:[1,1,0] neg_lo:[0,0,1] neg_hi:[0,0,1]
	v_pk_fma_f32 v[4:5], v[6:7], v[0:1], v[4:5] op_sel:[0,0,1] op_sel_hi:[1,0,0]
	v_mov_b32_e32 v9, v5
	ds_load_2addr_b64 v[4:7], v154 offset0:43 offset1:44
	v_pk_add_f32 v[174:175], v[174:175], v[10:11] neg_lo:[0,1] neg_hi:[0,1]
	v_pk_add_f32 v[176:177], v[176:177], v[8:9] neg_lo:[0,1] neg_hi:[0,1]
	s_wait_dscnt 0x0
	v_dual_mul_f32 v8, v5, v3 :: v_dual_mul_f32 v10, v5, v0
	s_delay_alu instid0(VALU_DEP_1) | instskip(NEXT) | instid1(VALU_DEP_2)
	v_pk_fma_f32 v[8:9], v[4:5], v[62:63], v[8:9] op_sel_hi:[1,1,0] neg_lo:[0,0,1] neg_hi:[0,0,1]
	v_pk_fma_f32 v[4:5], v[4:5], v[62:63], v[10:11] op_sel:[1,0,0] op_sel_hi:[0,1,0]
	s_delay_alu instid0(VALU_DEP_1) | instskip(SKIP_1) | instid1(VALU_DEP_2)
	v_mov_b32_e32 v9, v5
	v_pk_mul_f32 v[4:5], v[6:7], v[2:3] op_sel:[0,1]
	v_pk_add_f32 v[172:173], v[172:173], v[8:9] neg_lo:[0,1] neg_hi:[0,1]
	s_delay_alu instid0(VALU_DEP_2) | instskip(SKIP_1) | instid1(VALU_DEP_1)
	v_pk_fma_f32 v[8:9], v[6:7], v[0:1], v[4:5] op_sel:[0,0,1] op_sel_hi:[1,1,0] neg_lo:[0,0,1] neg_hi:[0,0,1]
	v_pk_fma_f32 v[4:5], v[6:7], v[0:1], v[4:5] op_sel:[0,0,1] op_sel_hi:[1,0,0]
	v_mov_b32_e32 v9, v5
	ds_load_2addr_b64 v[4:7], v154 offset0:45 offset1:46
	v_pk_add_f32 v[196:197], v[196:197], v[8:9] neg_lo:[0,1] neg_hi:[0,1]
	s_wait_dscnt 0x0
	v_pk_mul_f32 v[8:9], v[4:5], v[2:3] op_sel:[0,1]
	s_delay_alu instid0(VALU_DEP_1) | instskip(SKIP_1) | instid1(VALU_DEP_1)
	v_pk_fma_f32 v[10:11], v[4:5], v[0:1], v[8:9] op_sel:[0,0,1] op_sel_hi:[1,1,0] neg_lo:[0,0,1] neg_hi:[0,0,1]
	v_pk_fma_f32 v[4:5], v[4:5], v[0:1], v[8:9] op_sel:[0,0,1] op_sel_hi:[1,0,0]
	v_mov_b32_e32 v11, v5
	v_pk_mul_f32 v[4:5], v[6:7], v[2:3] op_sel:[0,1]
	s_delay_alu instid0(VALU_DEP_2) | instskip(NEXT) | instid1(VALU_DEP_2)
	v_pk_add_f32 v[192:193], v[192:193], v[10:11] neg_lo:[0,1] neg_hi:[0,1]
	v_pk_fma_f32 v[8:9], v[6:7], v[0:1], v[4:5] op_sel:[0,0,1] op_sel_hi:[1,1,0] neg_lo:[0,0,1] neg_hi:[0,0,1]
	v_pk_fma_f32 v[4:5], v[6:7], v[0:1], v[4:5] op_sel:[0,0,1] op_sel_hi:[1,0,0]
	s_delay_alu instid0(VALU_DEP_1) | instskip(SKIP_4) | instid1(VALU_DEP_1)
	v_mov_b32_e32 v9, v5
	ds_load_2addr_b64 v[4:7], v154 offset0:47 offset1:48
	v_pk_add_f32 v[194:195], v[194:195], v[8:9] neg_lo:[0,1] neg_hi:[0,1]
	s_wait_dscnt 0x0
	v_pk_mul_f32 v[8:9], v[4:5], v[2:3] op_sel:[0,1]
	v_pk_fma_f32 v[10:11], v[4:5], v[0:1], v[8:9] op_sel:[0,0,1] op_sel_hi:[1,1,0] neg_lo:[0,0,1] neg_hi:[0,0,1]
	v_pk_fma_f32 v[4:5], v[4:5], v[0:1], v[8:9] op_sel:[0,0,1] op_sel_hi:[1,0,0]
	v_dual_mul_f32 v8, v7, v3 :: v_dual_mov_b32 v4, v7
	s_delay_alu instid0(VALU_DEP_2) | instskip(NEXT) | instid1(VALU_DEP_2)
	v_dual_mov_b32 v11, v5 :: v_dual_mov_b32 v5, v6
	v_pk_fma_f32 v[8:9], v[6:7], v[62:63], v[8:9] op_sel_hi:[1,1,0] neg_lo:[0,0,1] neg_hi:[0,0,1]
	v_mul_f32_e32 v6, v7, v0
	s_delay_alu instid0(VALU_DEP_3) | instskip(NEXT) | instid1(VALU_DEP_2)
	v_pk_add_f32 v[190:191], v[190:191], v[10:11] neg_lo:[0,1] neg_hi:[0,1]
	v_pk_fma_f32 v[4:5], v[4:5], v[62:63], v[6:7] op_sel_hi:[1,1,0]
	s_delay_alu instid0(VALU_DEP_1) | instskip(SKIP_4) | instid1(VALU_DEP_1)
	v_mov_b32_e32 v9, v5
	ds_load_2addr_b64 v[4:7], v154 offset0:49 offset1:50
	v_pk_add_f32 v[216:217], v[216:217], v[8:9] neg_lo:[0,1] neg_hi:[0,1]
	s_wait_dscnt 0x0
	v_pk_mul_f32 v[8:9], v[4:5], v[2:3] op_sel:[0,1]
	v_pk_fma_f32 v[10:11], v[4:5], v[0:1], v[8:9] op_sel:[0,0,1] op_sel_hi:[1,1,0] neg_lo:[0,0,1] neg_hi:[0,0,1]
	v_pk_fma_f32 v[4:5], v[4:5], v[0:1], v[8:9] op_sel:[0,0,1] op_sel_hi:[1,0,0]
	s_delay_alu instid0(VALU_DEP_1) | instskip(SKIP_1) | instid1(VALU_DEP_1)
	v_mov_b32_e32 v11, v5
	v_pk_mul_f32 v[4:5], v[6:7], v[2:3] op_sel:[0,1]
	v_pk_fma_f32 v[8:9], v[6:7], v[0:1], v[4:5] op_sel:[0,0,1] op_sel_hi:[1,1,0] neg_lo:[0,0,1] neg_hi:[0,0,1]
	v_pk_fma_f32 v[4:5], v[6:7], v[0:1], v[4:5] op_sel:[0,0,1] op_sel_hi:[1,0,0]
	s_delay_alu instid0(VALU_DEP_1)
	v_mov_b32_e32 v9, v5
	ds_load_2addr_b64 v[4:7], v154 offset0:51 offset1:52
	v_pk_add_f32 v[210:211], v[210:211], v[10:11] neg_lo:[0,1] neg_hi:[0,1]
	v_pk_add_f32 v[214:215], v[214:215], v[8:9] neg_lo:[0,1] neg_hi:[0,1]
	s_wait_dscnt 0x0
	v_pk_mul_f32 v[8:9], v[4:5], v[2:3] op_sel:[0,1]
	s_delay_alu instid0(VALU_DEP_1) | instskip(SKIP_1) | instid1(VALU_DEP_1)
	v_pk_fma_f32 v[10:11], v[4:5], v[0:1], v[8:9] op_sel:[0,0,1] op_sel_hi:[1,1,0] neg_lo:[0,0,1] neg_hi:[0,0,1]
	v_pk_fma_f32 v[4:5], v[4:5], v[0:1], v[8:9] op_sel:[0,0,1] op_sel_hi:[1,0,0]
	v_mov_b32_e32 v11, v5
	v_pk_mul_f32 v[4:5], v[6:7], v[2:3] op_sel:[0,1]
	s_delay_alu instid0(VALU_DEP_1) | instskip(SKIP_1) | instid1(VALU_DEP_1)
	v_pk_fma_f32 v[8:9], v[6:7], v[0:1], v[4:5] op_sel:[0,0,1] op_sel_hi:[1,1,0] neg_lo:[0,0,1] neg_hi:[0,0,1]
	v_pk_fma_f32 v[4:5], v[6:7], v[0:1], v[4:5] op_sel:[0,0,1] op_sel_hi:[1,0,0]
	v_mov_b32_e32 v9, v5
	ds_load_2addr_b64 v[4:7], v154 offset0:53 offset1:54
	v_pk_add_f32 v[208:209], v[208:209], v[10:11] neg_lo:[0,1] neg_hi:[0,1]
	v_pk_add_f32 v[212:213], v[212:213], v[8:9] neg_lo:[0,1] neg_hi:[0,1]
	s_wait_dscnt 0x0
	v_dual_mul_f32 v8, v5, v3 :: v_dual_mul_f32 v10, v5, v0
	v_pk_mul_f32 v[2:3], v[6:7], v[2:3] op_sel:[0,1]
	s_delay_alu instid0(VALU_DEP_2) | instskip(NEXT) | instid1(VALU_DEP_3)
	v_pk_fma_f32 v[8:9], v[4:5], v[62:63], v[8:9] op_sel_hi:[1,1,0] neg_lo:[0,0,1] neg_hi:[0,0,1]
	v_pk_fma_f32 v[4:5], v[4:5], v[62:63], v[10:11] op_sel:[1,0,0] op_sel_hi:[0,1,0]
	s_delay_alu instid0(VALU_DEP_1) | instskip(NEXT) | instid1(VALU_DEP_4)
	v_mov_b32_e32 v9, v5
	v_pk_fma_f32 v[4:5], v[6:7], v[0:1], v[2:3] op_sel:[0,0,1] op_sel_hi:[1,1,0] neg_lo:[0,0,1] neg_hi:[0,0,1]
	v_pk_fma_f32 v[0:1], v[6:7], v[0:1], v[2:3] op_sel:[0,0,1] op_sel_hi:[1,0,0]
	s_delay_alu instid0(VALU_DEP_1) | instskip(NEXT) | instid1(VALU_DEP_4)
	v_mov_b32_e32 v5, v1
	v_pk_add_f32 v[218:219], v[218:219], v[8:9] neg_lo:[0,1] neg_hi:[0,1]
	s_delay_alu instid0(VALU_DEP_2)
	v_pk_add_f32 v[220:221], v[220:221], v[4:5] neg_lo:[0,1] neg_hi:[0,1]
.LBB109_136:
	s_wait_xcnt 0x0
	s_or_b32 exec_lo, exec_lo, s1
	s_delay_alu instid0(SALU_CYCLE_1)
	s_mov_b32 s2, exec_lo
	s_wait_storecnt 0x0
	s_barrier_signal -1
	s_barrier_wait -1
	v_cmpx_eq_u32_e32 15, v152
	s_cbranch_execz .LBB109_143
; %bb.137:
	v_dual_mov_b32 v0, v80 :: v_dual_mov_b32 v1, v81
	v_dual_mov_b32 v2, v76 :: v_dual_mov_b32 v3, v77
	ds_store_b64 v153, v[58:59]
	ds_store_2addr_b64 v154, v[0:1], v[2:3] offset0:16 offset1:17
	v_dual_mov_b32 v0, v78 :: v_dual_mov_b32 v1, v79
	v_dual_mov_b32 v2, v74 :: v_dual_mov_b32 v3, v75
	ds_store_2addr_b64 v154, v[0:1], v[2:3] offset0:18 offset1:19
	v_dual_mov_b32 v0, v96 :: v_dual_mov_b32 v1, v97
	v_dual_mov_b32 v2, v92 :: v_dual_mov_b32 v3, v93
	;; [unrolled: 3-line block ×18, first 2 shown]
	ds_store_2addr_b64 v154, v[0:1], v[2:3] offset0:52 offset1:53
	ds_store_b64 v154, v[220:221] offset:432
	ds_load_b64 v[0:1], v153
	s_wait_dscnt 0x0
	v_cmp_neq_f32_e32 vcc_lo, 0, v0
	v_cmp_neq_f32_e64 s1, 0, v1
	s_or_b32 s1, vcc_lo, s1
	s_delay_alu instid0(SALU_CYCLE_1)
	s_and_b32 exec_lo, exec_lo, s1
	s_cbranch_execz .LBB109_143
; %bb.138:
	v_cmp_ngt_f32_e64 s1, |v0|, |v1|
                                        ; implicit-def: $vgpr2_vgpr3
	s_and_saveexec_b32 s4, s1
	s_delay_alu instid0(SALU_CYCLE_1)
	s_xor_b32 s1, exec_lo, s4
	s_cbranch_execz .LBB109_140
; %bb.139:
	v_div_scale_f32 v2, null, v1, v1, v0
	v_div_scale_f32 v5, vcc_lo, v0, v1, v0
	s_delay_alu instid0(VALU_DEP_2) | instskip(SKIP_1) | instid1(TRANS32_DEP_1)
	v_rcp_f32_e32 v3, v2
	v_nop
	v_fma_f32 v4, -v2, v3, 1.0
	s_delay_alu instid0(VALU_DEP_1) | instskip(NEXT) | instid1(VALU_DEP_1)
	v_fmac_f32_e32 v3, v4, v3
	v_mul_f32_e32 v4, v5, v3
	s_delay_alu instid0(VALU_DEP_1) | instskip(NEXT) | instid1(VALU_DEP_1)
	v_fma_f32 v6, -v2, v4, v5
	v_fmac_f32_e32 v4, v6, v3
	s_delay_alu instid0(VALU_DEP_1) | instskip(NEXT) | instid1(VALU_DEP_1)
	v_fma_f32 v2, -v2, v4, v5
	v_div_fmas_f32 v2, v2, v3, v4
	s_delay_alu instid0(VALU_DEP_1) | instskip(NEXT) | instid1(VALU_DEP_1)
	v_div_fixup_f32 v2, v2, v1, v0
	v_fmac_f32_e32 v1, v0, v2
	s_delay_alu instid0(VALU_DEP_1) | instskip(SKIP_1) | instid1(VALU_DEP_2)
	v_div_scale_f32 v0, null, v1, v1, 1.0
	v_div_scale_f32 v5, vcc_lo, 1.0, v1, 1.0
	v_rcp_f32_e32 v3, v0
	v_nop
	s_delay_alu instid0(TRANS32_DEP_1) | instskip(NEXT) | instid1(VALU_DEP_1)
	v_fma_f32 v4, -v0, v3, 1.0
	v_fmac_f32_e32 v3, v4, v3
	s_delay_alu instid0(VALU_DEP_1) | instskip(NEXT) | instid1(VALU_DEP_1)
	v_mul_f32_e32 v4, v5, v3
	v_fma_f32 v6, -v0, v4, v5
	s_delay_alu instid0(VALU_DEP_1) | instskip(NEXT) | instid1(VALU_DEP_1)
	v_fmac_f32_e32 v4, v6, v3
	v_fma_f32 v0, -v0, v4, v5
	s_delay_alu instid0(VALU_DEP_1) | instskip(NEXT) | instid1(VALU_DEP_1)
	v_div_fmas_f32 v0, v0, v3, v4
	v_div_fixup_f32 v0, v0, v1, 1.0
	s_delay_alu instid0(VALU_DEP_1)
	v_mul_f32_e32 v2, v2, v0
	v_xor_b32_e32 v3, 0x80000000, v0
                                        ; implicit-def: $vgpr0_vgpr1
.LBB109_140:
	s_and_not1_saveexec_b32 s1, s1
	s_cbranch_execz .LBB109_142
; %bb.141:
	v_div_scale_f32 v2, null, v0, v0, v1
	v_div_scale_f32 v5, vcc_lo, v1, v0, v1
	s_delay_alu instid0(VALU_DEP_2) | instskip(SKIP_1) | instid1(TRANS32_DEP_1)
	v_rcp_f32_e32 v3, v2
	v_nop
	v_fma_f32 v4, -v2, v3, 1.0
	s_delay_alu instid0(VALU_DEP_1) | instskip(NEXT) | instid1(VALU_DEP_1)
	v_fmac_f32_e32 v3, v4, v3
	v_mul_f32_e32 v4, v5, v3
	s_delay_alu instid0(VALU_DEP_1) | instskip(NEXT) | instid1(VALU_DEP_1)
	v_fma_f32 v6, -v2, v4, v5
	v_fmac_f32_e32 v4, v6, v3
	s_delay_alu instid0(VALU_DEP_1) | instskip(NEXT) | instid1(VALU_DEP_1)
	v_fma_f32 v2, -v2, v4, v5
	v_div_fmas_f32 v2, v2, v3, v4
	s_delay_alu instid0(VALU_DEP_1) | instskip(NEXT) | instid1(VALU_DEP_1)
	v_div_fixup_f32 v3, v2, v0, v1
	v_fmac_f32_e32 v0, v1, v3
	s_delay_alu instid0(VALU_DEP_1) | instskip(NEXT) | instid1(VALU_DEP_1)
	v_div_scale_f32 v1, null, v0, v0, 1.0
	v_rcp_f32_e32 v2, v1
	v_nop
	s_delay_alu instid0(TRANS32_DEP_1) | instskip(NEXT) | instid1(VALU_DEP_1)
	v_fma_f32 v4, -v1, v2, 1.0
	v_fmac_f32_e32 v2, v4, v2
	v_div_scale_f32 v4, vcc_lo, 1.0, v0, 1.0
	s_delay_alu instid0(VALU_DEP_1) | instskip(NEXT) | instid1(VALU_DEP_1)
	v_mul_f32_e32 v5, v4, v2
	v_fma_f32 v6, -v1, v5, v4
	s_delay_alu instid0(VALU_DEP_1) | instskip(NEXT) | instid1(VALU_DEP_1)
	v_fmac_f32_e32 v5, v6, v2
	v_fma_f32 v1, -v1, v5, v4
	s_delay_alu instid0(VALU_DEP_1) | instskip(NEXT) | instid1(VALU_DEP_1)
	v_div_fmas_f32 v1, v1, v2, v5
	v_div_fixup_f32 v2, v1, v0, 1.0
	s_delay_alu instid0(VALU_DEP_1)
	v_mul_f32_e64 v3, v3, -v2
.LBB109_142:
	s_or_b32 exec_lo, exec_lo, s1
	ds_store_b64 v153, v[2:3]
.LBB109_143:
	s_or_b32 exec_lo, exec_lo, s2
	s_wait_dscnt 0x0
	s_barrier_signal -1
	s_barrier_wait -1
	ds_load_b64 v[0:1], v153
	s_mov_b32 s1, exec_lo
	s_wait_dscnt 0x0
	scratch_store_b64 off, v[0:1], off offset:328 ; 8-byte Folded Spill
	s_wait_xcnt 0x0
	v_cmpx_lt_u32_e32 15, v152
	s_cbranch_execz .LBB109_145
; %bb.144:
	scratch_load_b64 v[4:5], off, off offset:328 ; 8-byte Folded Reload
	s_wait_loadcnt 0x0
	v_pk_mul_f32 v[2:3], v[4:5], v[58:59] op_sel:[1,1] op_sel_hi:[0,1]
	s_delay_alu instid0(VALU_DEP_1)
	v_pk_fma_f32 v[0:1], v[4:5], v[58:59], v[2:3] op_sel_hi:[1,0,1] neg_lo:[0,0,1] neg_hi:[0,0,1]
	v_pk_fma_f32 v[2:3], v[4:5], v[58:59], v[2:3] op_sel_hi:[1,0,1]
	ds_load_2addr_b64 v[4:7], v154 offset0:16 offset1:17
	v_dual_mov_b32 v58, v0 :: v_dual_mov_b32 v59, v3
	s_wait_dscnt 0x0
	v_pk_mul_f32 v[8:9], v[4:5], v[2:3] op_sel:[0,1]
	s_delay_alu instid0(VALU_DEP_1) | instskip(SKIP_1) | instid1(VALU_DEP_1)
	v_pk_fma_f32 v[10:11], v[4:5], v[0:1], v[8:9] op_sel:[0,0,1] op_sel_hi:[1,1,0] neg_lo:[0,0,1] neg_hi:[0,0,1]
	v_pk_fma_f32 v[4:5], v[4:5], v[0:1], v[8:9] op_sel:[0,0,1] op_sel_hi:[1,0,0]
	v_mov_b32_e32 v11, v5
	v_pk_mul_f32 v[4:5], v[6:7], v[2:3] op_sel:[0,1]
	s_delay_alu instid0(VALU_DEP_1) | instskip(SKIP_1) | instid1(VALU_DEP_1)
	v_pk_fma_f32 v[8:9], v[6:7], v[0:1], v[4:5] op_sel:[0,0,1] op_sel_hi:[1,1,0] neg_lo:[0,0,1] neg_hi:[0,0,1]
	v_pk_fma_f32 v[4:5], v[6:7], v[0:1], v[4:5] op_sel:[0,0,1] op_sel_hi:[1,0,0]
	v_mov_b32_e32 v9, v5
	ds_load_2addr_b64 v[4:7], v154 offset0:18 offset1:19
	v_pk_add_f32 v[80:81], v[80:81], v[10:11] neg_lo:[0,1] neg_hi:[0,1]
	v_pk_add_f32 v[76:77], v[76:77], v[8:9] neg_lo:[0,1] neg_hi:[0,1]
	s_wait_dscnt 0x0
	v_pk_mul_f32 v[8:9], v[4:5], v[2:3] op_sel:[0,1]
	s_delay_alu instid0(VALU_DEP_1) | instskip(SKIP_2) | instid1(VALU_DEP_2)
	v_pk_fma_f32 v[10:11], v[4:5], v[0:1], v[8:9] op_sel:[0,0,1] op_sel_hi:[1,1,0] neg_lo:[0,0,1] neg_hi:[0,0,1]
	v_pk_fma_f32 v[4:5], v[4:5], v[0:1], v[8:9] op_sel:[0,0,1] op_sel_hi:[1,0,0]
	v_dual_mul_f32 v8, v7, v3 :: v_dual_mov_b32 v4, v7
	v_dual_mov_b32 v11, v5 :: v_dual_mov_b32 v5, v6
	s_delay_alu instid0(VALU_DEP_2) | instskip(SKIP_1) | instid1(VALU_DEP_3)
	v_pk_fma_f32 v[8:9], v[6:7], v[58:59], v[8:9] op_sel_hi:[1,1,0] neg_lo:[0,0,1] neg_hi:[0,0,1]
	v_mul_f32_e32 v6, v7, v0
	v_pk_add_f32 v[78:79], v[78:79], v[10:11] neg_lo:[0,1] neg_hi:[0,1]
	s_delay_alu instid0(VALU_DEP_2) | instskip(NEXT) | instid1(VALU_DEP_1)
	v_pk_fma_f32 v[4:5], v[4:5], v[58:59], v[6:7] op_sel_hi:[1,1,0]
	v_mov_b32_e32 v9, v5
	ds_load_2addr_b64 v[4:7], v154 offset0:20 offset1:21
	v_pk_add_f32 v[74:75], v[74:75], v[8:9] neg_lo:[0,1] neg_hi:[0,1]
	s_wait_dscnt 0x0
	v_pk_mul_f32 v[8:9], v[4:5], v[2:3] op_sel:[0,1]
	s_delay_alu instid0(VALU_DEP_1) | instskip(SKIP_1) | instid1(VALU_DEP_1)
	v_pk_fma_f32 v[10:11], v[4:5], v[0:1], v[8:9] op_sel:[0,0,1] op_sel_hi:[1,1,0] neg_lo:[0,0,1] neg_hi:[0,0,1]
	v_pk_fma_f32 v[4:5], v[4:5], v[0:1], v[8:9] op_sel:[0,0,1] op_sel_hi:[1,0,0]
	v_mov_b32_e32 v11, v5
	v_pk_mul_f32 v[4:5], v[6:7], v[2:3] op_sel:[0,1]
	s_delay_alu instid0(VALU_DEP_1) | instskip(SKIP_1) | instid1(VALU_DEP_1)
	v_pk_fma_f32 v[8:9], v[6:7], v[0:1], v[4:5] op_sel:[0,0,1] op_sel_hi:[1,1,0] neg_lo:[0,0,1] neg_hi:[0,0,1]
	v_pk_fma_f32 v[4:5], v[6:7], v[0:1], v[4:5] op_sel:[0,0,1] op_sel_hi:[1,0,0]
	v_mov_b32_e32 v9, v5
	ds_load_2addr_b64 v[4:7], v154 offset0:22 offset1:23
	v_pk_add_f32 v[96:97], v[96:97], v[10:11] neg_lo:[0,1] neg_hi:[0,1]
	v_pk_add_f32 v[92:93], v[92:93], v[8:9] neg_lo:[0,1] neg_hi:[0,1]
	s_wait_dscnt 0x0
	v_pk_mul_f32 v[8:9], v[4:5], v[2:3] op_sel:[0,1]
	s_delay_alu instid0(VALU_DEP_1) | instskip(SKIP_1) | instid1(VALU_DEP_1)
	v_pk_fma_f32 v[10:11], v[4:5], v[0:1], v[8:9] op_sel:[0,0,1] op_sel_hi:[1,1,0] neg_lo:[0,0,1] neg_hi:[0,0,1]
	v_pk_fma_f32 v[4:5], v[4:5], v[0:1], v[8:9] op_sel:[0,0,1] op_sel_hi:[1,0,0]
	v_mov_b32_e32 v11, v5
	v_pk_mul_f32 v[4:5], v[6:7], v[2:3] op_sel:[0,1]
	s_delay_alu instid0(VALU_DEP_1) | instskip(SKIP_1) | instid1(VALU_DEP_1)
	v_pk_fma_f32 v[8:9], v[6:7], v[0:1], v[4:5] op_sel:[0,0,1] op_sel_hi:[1,1,0] neg_lo:[0,0,1] neg_hi:[0,0,1]
	v_pk_fma_f32 v[4:5], v[6:7], v[0:1], v[4:5] op_sel:[0,0,1] op_sel_hi:[1,0,0]
	v_mov_b32_e32 v9, v5
	ds_load_2addr_b64 v[4:7], v154 offset0:24 offset1:25
	v_pk_add_f32 v[94:95], v[94:95], v[10:11] neg_lo:[0,1] neg_hi:[0,1]
	v_pk_add_f32 v[90:91], v[90:91], v[8:9] neg_lo:[0,1] neg_hi:[0,1]
	s_wait_dscnt 0x0
	v_dual_mul_f32 v8, v5, v3 :: v_dual_mul_f32 v10, v5, v0
	s_delay_alu instid0(VALU_DEP_1) | instskip(NEXT) | instid1(VALU_DEP_2)
	v_pk_fma_f32 v[8:9], v[4:5], v[58:59], v[8:9] op_sel_hi:[1,1,0] neg_lo:[0,0,1] neg_hi:[0,0,1]
	v_pk_fma_f32 v[4:5], v[4:5], v[58:59], v[10:11] op_sel:[1,0,0] op_sel_hi:[0,1,0]
	s_delay_alu instid0(VALU_DEP_1) | instskip(SKIP_1) | instid1(VALU_DEP_2)
	v_mov_b32_e32 v9, v5
	v_pk_mul_f32 v[4:5], v[6:7], v[2:3] op_sel:[0,1]
	v_pk_add_f32 v[114:115], v[114:115], v[8:9] neg_lo:[0,1] neg_hi:[0,1]
	s_delay_alu instid0(VALU_DEP_2) | instskip(SKIP_1) | instid1(VALU_DEP_1)
	v_pk_fma_f32 v[8:9], v[6:7], v[0:1], v[4:5] op_sel:[0,0,1] op_sel_hi:[1,1,0] neg_lo:[0,0,1] neg_hi:[0,0,1]
	v_pk_fma_f32 v[4:5], v[6:7], v[0:1], v[4:5] op_sel:[0,0,1] op_sel_hi:[1,0,0]
	v_mov_b32_e32 v9, v5
	ds_load_2addr_b64 v[4:7], v154 offset0:26 offset1:27
	v_pk_add_f32 v[110:111], v[110:111], v[8:9] neg_lo:[0,1] neg_hi:[0,1]
	s_wait_dscnt 0x0
	v_pk_mul_f32 v[8:9], v[4:5], v[2:3] op_sel:[0,1]
	s_delay_alu instid0(VALU_DEP_1) | instskip(SKIP_1) | instid1(VALU_DEP_1)
	v_pk_fma_f32 v[10:11], v[4:5], v[0:1], v[8:9] op_sel:[0,0,1] op_sel_hi:[1,1,0] neg_lo:[0,0,1] neg_hi:[0,0,1]
	v_pk_fma_f32 v[4:5], v[4:5], v[0:1], v[8:9] op_sel:[0,0,1] op_sel_hi:[1,0,0]
	v_mov_b32_e32 v11, v5
	v_pk_mul_f32 v[4:5], v[6:7], v[2:3] op_sel:[0,1]
	s_delay_alu instid0(VALU_DEP_2) | instskip(NEXT) | instid1(VALU_DEP_2)
	v_pk_add_f32 v[112:113], v[112:113], v[10:11] neg_lo:[0,1] neg_hi:[0,1]
	v_pk_fma_f32 v[8:9], v[6:7], v[0:1], v[4:5] op_sel:[0,0,1] op_sel_hi:[1,1,0] neg_lo:[0,0,1] neg_hi:[0,0,1]
	v_pk_fma_f32 v[4:5], v[6:7], v[0:1], v[4:5] op_sel:[0,0,1] op_sel_hi:[1,0,0]
	s_delay_alu instid0(VALU_DEP_1) | instskip(SKIP_4) | instid1(VALU_DEP_1)
	v_mov_b32_e32 v9, v5
	ds_load_2addr_b64 v[4:7], v154 offset0:28 offset1:29
	v_pk_add_f32 v[108:109], v[108:109], v[8:9] neg_lo:[0,1] neg_hi:[0,1]
	s_wait_dscnt 0x0
	v_pk_mul_f32 v[8:9], v[4:5], v[2:3] op_sel:[0,1]
	v_pk_fma_f32 v[10:11], v[4:5], v[0:1], v[8:9] op_sel:[0,0,1] op_sel_hi:[1,1,0] neg_lo:[0,0,1] neg_hi:[0,0,1]
	v_pk_fma_f32 v[4:5], v[4:5], v[0:1], v[8:9] op_sel:[0,0,1] op_sel_hi:[1,0,0]
	v_dual_mul_f32 v8, v7, v3 :: v_dual_mov_b32 v4, v7
	s_delay_alu instid0(VALU_DEP_2) | instskip(NEXT) | instid1(VALU_DEP_2)
	v_dual_mov_b32 v11, v5 :: v_dual_mov_b32 v5, v6
	v_pk_fma_f32 v[8:9], v[6:7], v[58:59], v[8:9] op_sel_hi:[1,1,0] neg_lo:[0,0,1] neg_hi:[0,0,1]
	v_mul_f32_e32 v6, v7, v0
	s_delay_alu instid0(VALU_DEP_3) | instskip(NEXT) | instid1(VALU_DEP_2)
	v_pk_add_f32 v[130:131], v[130:131], v[10:11] neg_lo:[0,1] neg_hi:[0,1]
	v_pk_fma_f32 v[4:5], v[4:5], v[58:59], v[6:7] op_sel_hi:[1,1,0]
	s_delay_alu instid0(VALU_DEP_1) | instskip(SKIP_4) | instid1(VALU_DEP_1)
	v_mov_b32_e32 v9, v5
	ds_load_2addr_b64 v[4:7], v154 offset0:30 offset1:31
	v_pk_add_f32 v[126:127], v[126:127], v[8:9] neg_lo:[0,1] neg_hi:[0,1]
	s_wait_dscnt 0x0
	v_pk_mul_f32 v[8:9], v[4:5], v[2:3] op_sel:[0,1]
	v_pk_fma_f32 v[10:11], v[4:5], v[0:1], v[8:9] op_sel:[0,0,1] op_sel_hi:[1,1,0] neg_lo:[0,0,1] neg_hi:[0,0,1]
	v_pk_fma_f32 v[4:5], v[4:5], v[0:1], v[8:9] op_sel:[0,0,1] op_sel_hi:[1,0,0]
	s_delay_alu instid0(VALU_DEP_1) | instskip(SKIP_1) | instid1(VALU_DEP_1)
	v_mov_b32_e32 v11, v5
	v_pk_mul_f32 v[4:5], v[6:7], v[2:3] op_sel:[0,1]
	v_pk_fma_f32 v[8:9], v[6:7], v[0:1], v[4:5] op_sel:[0,0,1] op_sel_hi:[1,1,0] neg_lo:[0,0,1] neg_hi:[0,0,1]
	v_pk_fma_f32 v[4:5], v[6:7], v[0:1], v[4:5] op_sel:[0,0,1] op_sel_hi:[1,0,0]
	s_delay_alu instid0(VALU_DEP_1)
	v_mov_b32_e32 v9, v5
	ds_load_2addr_b64 v[4:7], v154 offset0:32 offset1:33
	v_pk_add_f32 v[128:129], v[128:129], v[10:11] neg_lo:[0,1] neg_hi:[0,1]
	v_pk_add_f32 v[124:125], v[124:125], v[8:9] neg_lo:[0,1] neg_hi:[0,1]
	s_wait_dscnt 0x0
	v_pk_mul_f32 v[8:9], v[4:5], v[2:3] op_sel:[0,1]
	s_delay_alu instid0(VALU_DEP_1) | instskip(SKIP_1) | instid1(VALU_DEP_1)
	v_pk_fma_f32 v[10:11], v[4:5], v[0:1], v[8:9] op_sel:[0,0,1] op_sel_hi:[1,1,0] neg_lo:[0,0,1] neg_hi:[0,0,1]
	v_pk_fma_f32 v[4:5], v[4:5], v[0:1], v[8:9] op_sel:[0,0,1] op_sel_hi:[1,0,0]
	v_mov_b32_e32 v11, v5
	v_pk_mul_f32 v[4:5], v[6:7], v[2:3] op_sel:[0,1]
	s_delay_alu instid0(VALU_DEP_1) | instskip(SKIP_1) | instid1(VALU_DEP_1)
	v_pk_fma_f32 v[8:9], v[6:7], v[0:1], v[4:5] op_sel:[0,0,1] op_sel_hi:[1,1,0] neg_lo:[0,0,1] neg_hi:[0,0,1]
	v_pk_fma_f32 v[4:5], v[6:7], v[0:1], v[4:5] op_sel:[0,0,1] op_sel_hi:[1,0,0]
	v_mov_b32_e32 v9, v5
	ds_load_2addr_b64 v[4:7], v154 offset0:34 offset1:35
	v_pk_add_f32 v[146:147], v[146:147], v[10:11] neg_lo:[0,1] neg_hi:[0,1]
	v_pk_add_f32 v[142:143], v[142:143], v[8:9] neg_lo:[0,1] neg_hi:[0,1]
	s_wait_dscnt 0x0
	v_dual_mul_f32 v8, v5, v3 :: v_dual_mul_f32 v10, v5, v0
	s_delay_alu instid0(VALU_DEP_1) | instskip(NEXT) | instid1(VALU_DEP_2)
	v_pk_fma_f32 v[8:9], v[4:5], v[58:59], v[8:9] op_sel_hi:[1,1,0] neg_lo:[0,0,1] neg_hi:[0,0,1]
	v_pk_fma_f32 v[4:5], v[4:5], v[58:59], v[10:11] op_sel:[1,0,0] op_sel_hi:[0,1,0]
	s_delay_alu instid0(VALU_DEP_1) | instskip(SKIP_1) | instid1(VALU_DEP_2)
	v_mov_b32_e32 v9, v5
	v_pk_mul_f32 v[4:5], v[6:7], v[2:3] op_sel:[0,1]
	v_pk_add_f32 v[144:145], v[144:145], v[8:9] neg_lo:[0,1] neg_hi:[0,1]
	s_delay_alu instid0(VALU_DEP_2) | instskip(SKIP_1) | instid1(VALU_DEP_1)
	v_pk_fma_f32 v[8:9], v[6:7], v[0:1], v[4:5] op_sel:[0,0,1] op_sel_hi:[1,1,0] neg_lo:[0,0,1] neg_hi:[0,0,1]
	v_pk_fma_f32 v[4:5], v[6:7], v[0:1], v[4:5] op_sel:[0,0,1] op_sel_hi:[1,0,0]
	v_mov_b32_e32 v9, v5
	ds_load_2addr_b64 v[4:7], v154 offset0:36 offset1:37
	v_pk_add_f32 v[140:141], v[140:141], v[8:9] neg_lo:[0,1] neg_hi:[0,1]
	s_wait_dscnt 0x0
	v_pk_mul_f32 v[8:9], v[4:5], v[2:3] op_sel:[0,1]
	s_delay_alu instid0(VALU_DEP_1) | instskip(SKIP_1) | instid1(VALU_DEP_1)
	v_pk_fma_f32 v[10:11], v[4:5], v[0:1], v[8:9] op_sel:[0,0,1] op_sel_hi:[1,1,0] neg_lo:[0,0,1] neg_hi:[0,0,1]
	v_pk_fma_f32 v[4:5], v[4:5], v[0:1], v[8:9] op_sel:[0,0,1] op_sel_hi:[1,0,0]
	v_mov_b32_e32 v11, v5
	v_pk_mul_f32 v[4:5], v[6:7], v[2:3] op_sel:[0,1]
	s_delay_alu instid0(VALU_DEP_2) | instskip(NEXT) | instid1(VALU_DEP_2)
	v_pk_add_f32 v[162:163], v[162:163], v[10:11] neg_lo:[0,1] neg_hi:[0,1]
	v_pk_fma_f32 v[8:9], v[6:7], v[0:1], v[4:5] op_sel:[0,0,1] op_sel_hi:[1,1,0] neg_lo:[0,0,1] neg_hi:[0,0,1]
	v_pk_fma_f32 v[4:5], v[6:7], v[0:1], v[4:5] op_sel:[0,0,1] op_sel_hi:[1,0,0]
	s_delay_alu instid0(VALU_DEP_1) | instskip(SKIP_4) | instid1(VALU_DEP_1)
	v_mov_b32_e32 v9, v5
	ds_load_2addr_b64 v[4:7], v154 offset0:38 offset1:39
	v_pk_add_f32 v[158:159], v[158:159], v[8:9] neg_lo:[0,1] neg_hi:[0,1]
	s_wait_dscnt 0x0
	v_pk_mul_f32 v[8:9], v[4:5], v[2:3] op_sel:[0,1]
	v_pk_fma_f32 v[10:11], v[4:5], v[0:1], v[8:9] op_sel:[0,0,1] op_sel_hi:[1,1,0] neg_lo:[0,0,1] neg_hi:[0,0,1]
	v_pk_fma_f32 v[4:5], v[4:5], v[0:1], v[8:9] op_sel:[0,0,1] op_sel_hi:[1,0,0]
	v_dual_mul_f32 v8, v7, v3 :: v_dual_mov_b32 v4, v7
	s_delay_alu instid0(VALU_DEP_2) | instskip(NEXT) | instid1(VALU_DEP_2)
	v_dual_mov_b32 v11, v5 :: v_dual_mov_b32 v5, v6
	v_pk_fma_f32 v[8:9], v[6:7], v[58:59], v[8:9] op_sel_hi:[1,1,0] neg_lo:[0,0,1] neg_hi:[0,0,1]
	v_mul_f32_e32 v6, v7, v0
	s_delay_alu instid0(VALU_DEP_3) | instskip(NEXT) | instid1(VALU_DEP_2)
	v_pk_add_f32 v[160:161], v[160:161], v[10:11] neg_lo:[0,1] neg_hi:[0,1]
	v_pk_fma_f32 v[4:5], v[4:5], v[58:59], v[6:7] op_sel_hi:[1,1,0]
	s_delay_alu instid0(VALU_DEP_1) | instskip(SKIP_4) | instid1(VALU_DEP_1)
	v_mov_b32_e32 v9, v5
	ds_load_2addr_b64 v[4:7], v154 offset0:40 offset1:41
	v_pk_add_f32 v[156:157], v[156:157], v[8:9] neg_lo:[0,1] neg_hi:[0,1]
	s_wait_dscnt 0x0
	v_pk_mul_f32 v[8:9], v[4:5], v[2:3] op_sel:[0,1]
	v_pk_fma_f32 v[10:11], v[4:5], v[0:1], v[8:9] op_sel:[0,0,1] op_sel_hi:[1,1,0] neg_lo:[0,0,1] neg_hi:[0,0,1]
	v_pk_fma_f32 v[4:5], v[4:5], v[0:1], v[8:9] op_sel:[0,0,1] op_sel_hi:[1,0,0]
	s_delay_alu instid0(VALU_DEP_1) | instskip(SKIP_1) | instid1(VALU_DEP_1)
	v_mov_b32_e32 v11, v5
	v_pk_mul_f32 v[4:5], v[6:7], v[2:3] op_sel:[0,1]
	v_pk_fma_f32 v[8:9], v[6:7], v[0:1], v[4:5] op_sel:[0,0,1] op_sel_hi:[1,1,0] neg_lo:[0,0,1] neg_hi:[0,0,1]
	v_pk_fma_f32 v[4:5], v[6:7], v[0:1], v[4:5] op_sel:[0,0,1] op_sel_hi:[1,0,0]
	s_delay_alu instid0(VALU_DEP_1)
	v_mov_b32_e32 v9, v5
	ds_load_2addr_b64 v[4:7], v154 offset0:42 offset1:43
	v_pk_add_f32 v[178:179], v[178:179], v[10:11] neg_lo:[0,1] neg_hi:[0,1]
	v_pk_add_f32 v[174:175], v[174:175], v[8:9] neg_lo:[0,1] neg_hi:[0,1]
	s_wait_dscnt 0x0
	v_pk_mul_f32 v[8:9], v[4:5], v[2:3] op_sel:[0,1]
	s_delay_alu instid0(VALU_DEP_1) | instskip(SKIP_1) | instid1(VALU_DEP_1)
	v_pk_fma_f32 v[10:11], v[4:5], v[0:1], v[8:9] op_sel:[0,0,1] op_sel_hi:[1,1,0] neg_lo:[0,0,1] neg_hi:[0,0,1]
	v_pk_fma_f32 v[4:5], v[4:5], v[0:1], v[8:9] op_sel:[0,0,1] op_sel_hi:[1,0,0]
	v_mov_b32_e32 v11, v5
	v_pk_mul_f32 v[4:5], v[6:7], v[2:3] op_sel:[0,1]
	s_delay_alu instid0(VALU_DEP_1) | instskip(SKIP_1) | instid1(VALU_DEP_1)
	v_pk_fma_f32 v[8:9], v[6:7], v[0:1], v[4:5] op_sel:[0,0,1] op_sel_hi:[1,1,0] neg_lo:[0,0,1] neg_hi:[0,0,1]
	v_pk_fma_f32 v[4:5], v[6:7], v[0:1], v[4:5] op_sel:[0,0,1] op_sel_hi:[1,0,0]
	v_mov_b32_e32 v9, v5
	ds_load_2addr_b64 v[4:7], v154 offset0:44 offset1:45
	v_pk_add_f32 v[176:177], v[176:177], v[10:11] neg_lo:[0,1] neg_hi:[0,1]
	v_pk_add_f32 v[172:173], v[172:173], v[8:9] neg_lo:[0,1] neg_hi:[0,1]
	s_wait_dscnt 0x0
	v_dual_mul_f32 v8, v5, v3 :: v_dual_mul_f32 v10, v5, v0
	s_delay_alu instid0(VALU_DEP_1) | instskip(NEXT) | instid1(VALU_DEP_2)
	v_pk_fma_f32 v[8:9], v[4:5], v[58:59], v[8:9] op_sel_hi:[1,1,0] neg_lo:[0,0,1] neg_hi:[0,0,1]
	v_pk_fma_f32 v[4:5], v[4:5], v[58:59], v[10:11] op_sel:[1,0,0] op_sel_hi:[0,1,0]
	s_delay_alu instid0(VALU_DEP_1) | instskip(SKIP_1) | instid1(VALU_DEP_2)
	v_mov_b32_e32 v9, v5
	v_pk_mul_f32 v[4:5], v[6:7], v[2:3] op_sel:[0,1]
	v_pk_add_f32 v[196:197], v[196:197], v[8:9] neg_lo:[0,1] neg_hi:[0,1]
	s_delay_alu instid0(VALU_DEP_2) | instskip(SKIP_1) | instid1(VALU_DEP_1)
	v_pk_fma_f32 v[8:9], v[6:7], v[0:1], v[4:5] op_sel:[0,0,1] op_sel_hi:[1,1,0] neg_lo:[0,0,1] neg_hi:[0,0,1]
	v_pk_fma_f32 v[4:5], v[6:7], v[0:1], v[4:5] op_sel:[0,0,1] op_sel_hi:[1,0,0]
	v_mov_b32_e32 v9, v5
	ds_load_2addr_b64 v[4:7], v154 offset0:46 offset1:47
	v_pk_add_f32 v[192:193], v[192:193], v[8:9] neg_lo:[0,1] neg_hi:[0,1]
	s_wait_dscnt 0x0
	v_pk_mul_f32 v[8:9], v[4:5], v[2:3] op_sel:[0,1]
	s_delay_alu instid0(VALU_DEP_1) | instskip(SKIP_1) | instid1(VALU_DEP_1)
	v_pk_fma_f32 v[10:11], v[4:5], v[0:1], v[8:9] op_sel:[0,0,1] op_sel_hi:[1,1,0] neg_lo:[0,0,1] neg_hi:[0,0,1]
	v_pk_fma_f32 v[4:5], v[4:5], v[0:1], v[8:9] op_sel:[0,0,1] op_sel_hi:[1,0,0]
	v_mov_b32_e32 v11, v5
	v_pk_mul_f32 v[4:5], v[6:7], v[2:3] op_sel:[0,1]
	s_delay_alu instid0(VALU_DEP_2) | instskip(NEXT) | instid1(VALU_DEP_2)
	v_pk_add_f32 v[194:195], v[194:195], v[10:11] neg_lo:[0,1] neg_hi:[0,1]
	v_pk_fma_f32 v[8:9], v[6:7], v[0:1], v[4:5] op_sel:[0,0,1] op_sel_hi:[1,1,0] neg_lo:[0,0,1] neg_hi:[0,0,1]
	v_pk_fma_f32 v[4:5], v[6:7], v[0:1], v[4:5] op_sel:[0,0,1] op_sel_hi:[1,0,0]
	s_delay_alu instid0(VALU_DEP_1) | instskip(SKIP_4) | instid1(VALU_DEP_1)
	v_mov_b32_e32 v9, v5
	ds_load_2addr_b64 v[4:7], v154 offset0:48 offset1:49
	v_pk_add_f32 v[190:191], v[190:191], v[8:9] neg_lo:[0,1] neg_hi:[0,1]
	s_wait_dscnt 0x0
	v_pk_mul_f32 v[8:9], v[4:5], v[2:3] op_sel:[0,1]
	v_pk_fma_f32 v[10:11], v[4:5], v[0:1], v[8:9] op_sel:[0,0,1] op_sel_hi:[1,1,0] neg_lo:[0,0,1] neg_hi:[0,0,1]
	v_pk_fma_f32 v[4:5], v[4:5], v[0:1], v[8:9] op_sel:[0,0,1] op_sel_hi:[1,0,0]
	v_dual_mul_f32 v8, v7, v3 :: v_dual_mov_b32 v4, v7
	s_delay_alu instid0(VALU_DEP_2) | instskip(NEXT) | instid1(VALU_DEP_2)
	v_dual_mov_b32 v11, v5 :: v_dual_mov_b32 v5, v6
	v_pk_fma_f32 v[8:9], v[6:7], v[58:59], v[8:9] op_sel_hi:[1,1,0] neg_lo:[0,0,1] neg_hi:[0,0,1]
	v_mul_f32_e32 v6, v7, v0
	s_delay_alu instid0(VALU_DEP_3) | instskip(NEXT) | instid1(VALU_DEP_2)
	v_pk_add_f32 v[216:217], v[216:217], v[10:11] neg_lo:[0,1] neg_hi:[0,1]
	v_pk_fma_f32 v[4:5], v[4:5], v[58:59], v[6:7] op_sel_hi:[1,1,0]
	s_delay_alu instid0(VALU_DEP_1) | instskip(SKIP_4) | instid1(VALU_DEP_1)
	v_mov_b32_e32 v9, v5
	ds_load_2addr_b64 v[4:7], v154 offset0:50 offset1:51
	v_pk_add_f32 v[210:211], v[210:211], v[8:9] neg_lo:[0,1] neg_hi:[0,1]
	s_wait_dscnt 0x0
	v_pk_mul_f32 v[8:9], v[4:5], v[2:3] op_sel:[0,1]
	v_pk_fma_f32 v[10:11], v[4:5], v[0:1], v[8:9] op_sel:[0,0,1] op_sel_hi:[1,1,0] neg_lo:[0,0,1] neg_hi:[0,0,1]
	v_pk_fma_f32 v[4:5], v[4:5], v[0:1], v[8:9] op_sel:[0,0,1] op_sel_hi:[1,0,0]
	s_delay_alu instid0(VALU_DEP_1) | instskip(SKIP_1) | instid1(VALU_DEP_1)
	v_mov_b32_e32 v11, v5
	v_pk_mul_f32 v[4:5], v[6:7], v[2:3] op_sel:[0,1]
	v_pk_fma_f32 v[8:9], v[6:7], v[0:1], v[4:5] op_sel:[0,0,1] op_sel_hi:[1,1,0] neg_lo:[0,0,1] neg_hi:[0,0,1]
	v_pk_fma_f32 v[4:5], v[6:7], v[0:1], v[4:5] op_sel:[0,0,1] op_sel_hi:[1,0,0]
	s_delay_alu instid0(VALU_DEP_1)
	v_mov_b32_e32 v9, v5
	ds_load_2addr_b64 v[4:7], v154 offset0:52 offset1:53
	v_pk_add_f32 v[214:215], v[214:215], v[10:11] neg_lo:[0,1] neg_hi:[0,1]
	v_pk_add_f32 v[208:209], v[208:209], v[8:9] neg_lo:[0,1] neg_hi:[0,1]
	s_wait_dscnt 0x0
	v_pk_mul_f32 v[8:9], v[4:5], v[2:3] op_sel:[0,1]
	s_delay_alu instid0(VALU_DEP_1) | instskip(SKIP_1) | instid1(VALU_DEP_1)
	v_pk_fma_f32 v[10:11], v[4:5], v[0:1], v[8:9] op_sel:[0,0,1] op_sel_hi:[1,1,0] neg_lo:[0,0,1] neg_hi:[0,0,1]
	v_pk_fma_f32 v[4:5], v[4:5], v[0:1], v[8:9] op_sel:[0,0,1] op_sel_hi:[1,0,0]
	v_mov_b32_e32 v11, v5
	v_pk_mul_f32 v[4:5], v[6:7], v[2:3] op_sel:[0,1]
	s_delay_alu instid0(VALU_DEP_1) | instskip(SKIP_1) | instid1(VALU_DEP_1)
	v_pk_fma_f32 v[8:9], v[6:7], v[0:1], v[4:5] op_sel:[0,0,1] op_sel_hi:[1,1,0] neg_lo:[0,0,1] neg_hi:[0,0,1]
	v_pk_fma_f32 v[4:5], v[6:7], v[0:1], v[4:5] op_sel:[0,0,1] op_sel_hi:[1,0,0]
	v_mov_b32_e32 v9, v5
	ds_load_b64 v[4:5], v154 offset:432
	v_pk_add_f32 v[212:213], v[212:213], v[10:11] neg_lo:[0,1] neg_hi:[0,1]
	v_pk_add_f32 v[218:219], v[218:219], v[8:9] neg_lo:[0,1] neg_hi:[0,1]
	s_wait_dscnt 0x0
	v_pk_mul_f32 v[2:3], v[4:5], v[2:3] op_sel:[0,1]
	s_delay_alu instid0(VALU_DEP_1) | instskip(SKIP_1) | instid1(VALU_DEP_1)
	v_pk_fma_f32 v[6:7], v[4:5], v[0:1], v[2:3] op_sel:[0,0,1] op_sel_hi:[1,1,0] neg_lo:[0,0,1] neg_hi:[0,0,1]
	v_pk_fma_f32 v[0:1], v[4:5], v[0:1], v[2:3] op_sel:[0,0,1] op_sel_hi:[1,0,0]
	v_mov_b32_e32 v7, v1
	s_delay_alu instid0(VALU_DEP_1)
	v_pk_add_f32 v[220:221], v[220:221], v[6:7] neg_lo:[0,1] neg_hi:[0,1]
.LBB109_145:
	s_wait_xcnt 0x0
	s_or_b32 exec_lo, exec_lo, s1
	s_delay_alu instid0(SALU_CYCLE_1)
	s_mov_b32 s2, exec_lo
	s_wait_storecnt 0x0
	s_barrier_signal -1
	s_barrier_wait -1
	v_cmpx_eq_u32_e32 16, v152
	s_cbranch_execz .LBB109_152
; %bb.146:
	ds_store_b64 v153, v[80:81]
	ds_store_2addr_b64 v154, v[76:77], v[78:79] offset0:17 offset1:18
	ds_store_2addr_b64 v154, v[74:75], v[96:97] offset0:19 offset1:20
	;; [unrolled: 1-line block ×19, first 2 shown]
	ds_load_b64 v[0:1], v153
	s_wait_dscnt 0x0
	v_cmp_neq_f32_e32 vcc_lo, 0, v0
	v_cmp_neq_f32_e64 s1, 0, v1
	s_or_b32 s1, vcc_lo, s1
	s_delay_alu instid0(SALU_CYCLE_1)
	s_and_b32 exec_lo, exec_lo, s1
	s_cbranch_execz .LBB109_152
; %bb.147:
	v_cmp_ngt_f32_e64 s1, |v0|, |v1|
                                        ; implicit-def: $vgpr2_vgpr3
	s_and_saveexec_b32 s4, s1
	s_delay_alu instid0(SALU_CYCLE_1)
	s_xor_b32 s1, exec_lo, s4
	s_cbranch_execz .LBB109_149
; %bb.148:
	v_div_scale_f32 v2, null, v1, v1, v0
	v_div_scale_f32 v5, vcc_lo, v0, v1, v0
	s_delay_alu instid0(VALU_DEP_2) | instskip(SKIP_1) | instid1(TRANS32_DEP_1)
	v_rcp_f32_e32 v3, v2
	v_nop
	v_fma_f32 v4, -v2, v3, 1.0
	s_delay_alu instid0(VALU_DEP_1) | instskip(NEXT) | instid1(VALU_DEP_1)
	v_fmac_f32_e32 v3, v4, v3
	v_mul_f32_e32 v4, v5, v3
	s_delay_alu instid0(VALU_DEP_1) | instskip(NEXT) | instid1(VALU_DEP_1)
	v_fma_f32 v6, -v2, v4, v5
	v_fmac_f32_e32 v4, v6, v3
	s_delay_alu instid0(VALU_DEP_1) | instskip(NEXT) | instid1(VALU_DEP_1)
	v_fma_f32 v2, -v2, v4, v5
	v_div_fmas_f32 v2, v2, v3, v4
	s_delay_alu instid0(VALU_DEP_1) | instskip(NEXT) | instid1(VALU_DEP_1)
	v_div_fixup_f32 v2, v2, v1, v0
	v_fmac_f32_e32 v1, v0, v2
	s_delay_alu instid0(VALU_DEP_1) | instskip(SKIP_1) | instid1(VALU_DEP_2)
	v_div_scale_f32 v0, null, v1, v1, 1.0
	v_div_scale_f32 v5, vcc_lo, 1.0, v1, 1.0
	v_rcp_f32_e32 v3, v0
	v_nop
	s_delay_alu instid0(TRANS32_DEP_1) | instskip(NEXT) | instid1(VALU_DEP_1)
	v_fma_f32 v4, -v0, v3, 1.0
	v_fmac_f32_e32 v3, v4, v3
	s_delay_alu instid0(VALU_DEP_1) | instskip(NEXT) | instid1(VALU_DEP_1)
	v_mul_f32_e32 v4, v5, v3
	v_fma_f32 v6, -v0, v4, v5
	s_delay_alu instid0(VALU_DEP_1) | instskip(NEXT) | instid1(VALU_DEP_1)
	v_fmac_f32_e32 v4, v6, v3
	v_fma_f32 v0, -v0, v4, v5
	s_delay_alu instid0(VALU_DEP_1) | instskip(NEXT) | instid1(VALU_DEP_1)
	v_div_fmas_f32 v0, v0, v3, v4
	v_div_fixup_f32 v0, v0, v1, 1.0
	s_delay_alu instid0(VALU_DEP_1)
	v_mul_f32_e32 v2, v2, v0
	v_xor_b32_e32 v3, 0x80000000, v0
                                        ; implicit-def: $vgpr0_vgpr1
.LBB109_149:
	s_and_not1_saveexec_b32 s1, s1
	s_cbranch_execz .LBB109_151
; %bb.150:
	v_div_scale_f32 v2, null, v0, v0, v1
	v_div_scale_f32 v5, vcc_lo, v1, v0, v1
	s_delay_alu instid0(VALU_DEP_2) | instskip(SKIP_1) | instid1(TRANS32_DEP_1)
	v_rcp_f32_e32 v3, v2
	v_nop
	v_fma_f32 v4, -v2, v3, 1.0
	s_delay_alu instid0(VALU_DEP_1) | instskip(NEXT) | instid1(VALU_DEP_1)
	v_fmac_f32_e32 v3, v4, v3
	v_mul_f32_e32 v4, v5, v3
	s_delay_alu instid0(VALU_DEP_1) | instskip(NEXT) | instid1(VALU_DEP_1)
	v_fma_f32 v6, -v2, v4, v5
	v_fmac_f32_e32 v4, v6, v3
	s_delay_alu instid0(VALU_DEP_1) | instskip(NEXT) | instid1(VALU_DEP_1)
	v_fma_f32 v2, -v2, v4, v5
	v_div_fmas_f32 v2, v2, v3, v4
	s_delay_alu instid0(VALU_DEP_1) | instskip(NEXT) | instid1(VALU_DEP_1)
	v_div_fixup_f32 v3, v2, v0, v1
	v_fmac_f32_e32 v0, v1, v3
	s_delay_alu instid0(VALU_DEP_1) | instskip(NEXT) | instid1(VALU_DEP_1)
	v_div_scale_f32 v1, null, v0, v0, 1.0
	v_rcp_f32_e32 v2, v1
	v_nop
	s_delay_alu instid0(TRANS32_DEP_1) | instskip(NEXT) | instid1(VALU_DEP_1)
	v_fma_f32 v4, -v1, v2, 1.0
	v_fmac_f32_e32 v2, v4, v2
	v_div_scale_f32 v4, vcc_lo, 1.0, v0, 1.0
	s_delay_alu instid0(VALU_DEP_1) | instskip(NEXT) | instid1(VALU_DEP_1)
	v_mul_f32_e32 v5, v4, v2
	v_fma_f32 v6, -v1, v5, v4
	s_delay_alu instid0(VALU_DEP_1) | instskip(NEXT) | instid1(VALU_DEP_1)
	v_fmac_f32_e32 v5, v6, v2
	v_fma_f32 v1, -v1, v5, v4
	s_delay_alu instid0(VALU_DEP_1) | instskip(NEXT) | instid1(VALU_DEP_1)
	v_div_fmas_f32 v1, v1, v2, v5
	v_div_fixup_f32 v2, v1, v0, 1.0
	s_delay_alu instid0(VALU_DEP_1)
	v_mul_f32_e64 v3, v3, -v2
.LBB109_151:
	s_or_b32 exec_lo, exec_lo, s1
	ds_store_b64 v153, v[2:3]
.LBB109_152:
	s_or_b32 exec_lo, exec_lo, s2
	s_wait_dscnt 0x0
	s_barrier_signal -1
	s_barrier_wait -1
	ds_load_b64 v[0:1], v153
	s_mov_b32 s1, exec_lo
	s_wait_dscnt 0x0
	scratch_store_b64 off, v[0:1], off offset:336 ; 8-byte Folded Spill
	s_wait_xcnt 0x0
	v_cmpx_lt_u32_e32 16, v152
	s_cbranch_execz .LBB109_154
; %bb.153:
	scratch_load_b64 v[4:5], off, off offset:336 ; 8-byte Folded Reload
	s_wait_loadcnt 0x0
	v_pk_mul_f32 v[2:3], v[4:5], v[80:81] op_sel:[1,1] op_sel_hi:[0,1]
	s_delay_alu instid0(VALU_DEP_1)
	v_pk_fma_f32 v[0:1], v[4:5], v[80:81], v[2:3] op_sel_hi:[1,0,1] neg_lo:[0,0,1] neg_hi:[0,0,1]
	v_pk_fma_f32 v[2:3], v[4:5], v[80:81], v[2:3] op_sel_hi:[1,0,1]
	ds_load_2addr_b64 v[4:7], v154 offset0:17 offset1:18
	v_dual_mov_b32 v80, v0 :: v_dual_mov_b32 v81, v3
	s_wait_dscnt 0x0
	v_pk_mul_f32 v[8:9], v[4:5], v[2:3] op_sel:[0,1]
	s_delay_alu instid0(VALU_DEP_1) | instskip(SKIP_1) | instid1(VALU_DEP_1)
	v_pk_fma_f32 v[10:11], v[4:5], v[0:1], v[8:9] op_sel:[0,0,1] op_sel_hi:[1,1,0] neg_lo:[0,0,1] neg_hi:[0,0,1]
	v_pk_fma_f32 v[4:5], v[4:5], v[0:1], v[8:9] op_sel:[0,0,1] op_sel_hi:[1,0,0]
	v_mov_b32_e32 v11, v5
	v_pk_mul_f32 v[4:5], v[6:7], v[2:3] op_sel:[0,1]
	s_delay_alu instid0(VALU_DEP_1) | instskip(SKIP_1) | instid1(VALU_DEP_1)
	v_pk_fma_f32 v[8:9], v[6:7], v[0:1], v[4:5] op_sel:[0,0,1] op_sel_hi:[1,1,0] neg_lo:[0,0,1] neg_hi:[0,0,1]
	v_pk_fma_f32 v[4:5], v[6:7], v[0:1], v[4:5] op_sel:[0,0,1] op_sel_hi:[1,0,0]
	v_mov_b32_e32 v9, v5
	ds_load_2addr_b64 v[4:7], v154 offset0:19 offset1:20
	v_pk_add_f32 v[76:77], v[76:77], v[10:11] neg_lo:[0,1] neg_hi:[0,1]
	v_pk_add_f32 v[78:79], v[78:79], v[8:9] neg_lo:[0,1] neg_hi:[0,1]
	s_wait_dscnt 0x0
	v_pk_mul_f32 v[8:9], v[4:5], v[2:3] op_sel:[0,1]
	s_delay_alu instid0(VALU_DEP_1) | instskip(SKIP_2) | instid1(VALU_DEP_2)
	v_pk_fma_f32 v[10:11], v[4:5], v[0:1], v[8:9] op_sel:[0,0,1] op_sel_hi:[1,1,0] neg_lo:[0,0,1] neg_hi:[0,0,1]
	v_pk_fma_f32 v[4:5], v[4:5], v[0:1], v[8:9] op_sel:[0,0,1] op_sel_hi:[1,0,0]
	v_dual_mul_f32 v8, v7, v3 :: v_dual_mov_b32 v4, v7
	v_dual_mov_b32 v11, v5 :: v_dual_mov_b32 v5, v6
	s_delay_alu instid0(VALU_DEP_2) | instskip(SKIP_1) | instid1(VALU_DEP_3)
	v_pk_fma_f32 v[8:9], v[6:7], v[80:81], v[8:9] op_sel_hi:[1,1,0] neg_lo:[0,0,1] neg_hi:[0,0,1]
	v_mul_f32_e32 v6, v7, v0
	v_pk_add_f32 v[74:75], v[74:75], v[10:11] neg_lo:[0,1] neg_hi:[0,1]
	s_delay_alu instid0(VALU_DEP_2) | instskip(NEXT) | instid1(VALU_DEP_1)
	v_pk_fma_f32 v[4:5], v[4:5], v[80:81], v[6:7] op_sel_hi:[1,1,0]
	v_mov_b32_e32 v9, v5
	ds_load_2addr_b64 v[4:7], v154 offset0:21 offset1:22
	v_pk_add_f32 v[96:97], v[96:97], v[8:9] neg_lo:[0,1] neg_hi:[0,1]
	s_wait_dscnt 0x0
	v_pk_mul_f32 v[8:9], v[4:5], v[2:3] op_sel:[0,1]
	s_delay_alu instid0(VALU_DEP_1) | instskip(SKIP_1) | instid1(VALU_DEP_1)
	v_pk_fma_f32 v[10:11], v[4:5], v[0:1], v[8:9] op_sel:[0,0,1] op_sel_hi:[1,1,0] neg_lo:[0,0,1] neg_hi:[0,0,1]
	v_pk_fma_f32 v[4:5], v[4:5], v[0:1], v[8:9] op_sel:[0,0,1] op_sel_hi:[1,0,0]
	v_mov_b32_e32 v11, v5
	v_pk_mul_f32 v[4:5], v[6:7], v[2:3] op_sel:[0,1]
	s_delay_alu instid0(VALU_DEP_1) | instskip(SKIP_1) | instid1(VALU_DEP_1)
	v_pk_fma_f32 v[8:9], v[6:7], v[0:1], v[4:5] op_sel:[0,0,1] op_sel_hi:[1,1,0] neg_lo:[0,0,1] neg_hi:[0,0,1]
	v_pk_fma_f32 v[4:5], v[6:7], v[0:1], v[4:5] op_sel:[0,0,1] op_sel_hi:[1,0,0]
	v_mov_b32_e32 v9, v5
	ds_load_2addr_b64 v[4:7], v154 offset0:23 offset1:24
	v_pk_add_f32 v[92:93], v[92:93], v[10:11] neg_lo:[0,1] neg_hi:[0,1]
	v_pk_add_f32 v[94:95], v[94:95], v[8:9] neg_lo:[0,1] neg_hi:[0,1]
	s_wait_dscnt 0x0
	v_pk_mul_f32 v[8:9], v[4:5], v[2:3] op_sel:[0,1]
	s_delay_alu instid0(VALU_DEP_1) | instskip(SKIP_1) | instid1(VALU_DEP_1)
	v_pk_fma_f32 v[10:11], v[4:5], v[0:1], v[8:9] op_sel:[0,0,1] op_sel_hi:[1,1,0] neg_lo:[0,0,1] neg_hi:[0,0,1]
	v_pk_fma_f32 v[4:5], v[4:5], v[0:1], v[8:9] op_sel:[0,0,1] op_sel_hi:[1,0,0]
	v_mov_b32_e32 v11, v5
	v_pk_mul_f32 v[4:5], v[6:7], v[2:3] op_sel:[0,1]
	s_delay_alu instid0(VALU_DEP_1) | instskip(SKIP_1) | instid1(VALU_DEP_1)
	v_pk_fma_f32 v[8:9], v[6:7], v[0:1], v[4:5] op_sel:[0,0,1] op_sel_hi:[1,1,0] neg_lo:[0,0,1] neg_hi:[0,0,1]
	v_pk_fma_f32 v[4:5], v[6:7], v[0:1], v[4:5] op_sel:[0,0,1] op_sel_hi:[1,0,0]
	v_mov_b32_e32 v9, v5
	ds_load_2addr_b64 v[4:7], v154 offset0:25 offset1:26
	v_pk_add_f32 v[90:91], v[90:91], v[10:11] neg_lo:[0,1] neg_hi:[0,1]
	v_pk_add_f32 v[114:115], v[114:115], v[8:9] neg_lo:[0,1] neg_hi:[0,1]
	s_wait_dscnt 0x0
	v_dual_mul_f32 v8, v5, v3 :: v_dual_mul_f32 v10, v5, v0
	s_delay_alu instid0(VALU_DEP_1) | instskip(NEXT) | instid1(VALU_DEP_2)
	v_pk_fma_f32 v[8:9], v[4:5], v[80:81], v[8:9] op_sel_hi:[1,1,0] neg_lo:[0,0,1] neg_hi:[0,0,1]
	v_pk_fma_f32 v[4:5], v[4:5], v[80:81], v[10:11] op_sel:[1,0,0] op_sel_hi:[0,1,0]
	s_delay_alu instid0(VALU_DEP_1) | instskip(SKIP_1) | instid1(VALU_DEP_2)
	v_mov_b32_e32 v9, v5
	v_pk_mul_f32 v[4:5], v[6:7], v[2:3] op_sel:[0,1]
	v_pk_add_f32 v[110:111], v[110:111], v[8:9] neg_lo:[0,1] neg_hi:[0,1]
	s_delay_alu instid0(VALU_DEP_2) | instskip(SKIP_1) | instid1(VALU_DEP_1)
	v_pk_fma_f32 v[8:9], v[6:7], v[0:1], v[4:5] op_sel:[0,0,1] op_sel_hi:[1,1,0] neg_lo:[0,0,1] neg_hi:[0,0,1]
	v_pk_fma_f32 v[4:5], v[6:7], v[0:1], v[4:5] op_sel:[0,0,1] op_sel_hi:[1,0,0]
	v_mov_b32_e32 v9, v5
	ds_load_2addr_b64 v[4:7], v154 offset0:27 offset1:28
	v_pk_add_f32 v[112:113], v[112:113], v[8:9] neg_lo:[0,1] neg_hi:[0,1]
	s_wait_dscnt 0x0
	v_pk_mul_f32 v[8:9], v[4:5], v[2:3] op_sel:[0,1]
	s_delay_alu instid0(VALU_DEP_1) | instskip(SKIP_1) | instid1(VALU_DEP_1)
	v_pk_fma_f32 v[10:11], v[4:5], v[0:1], v[8:9] op_sel:[0,0,1] op_sel_hi:[1,1,0] neg_lo:[0,0,1] neg_hi:[0,0,1]
	v_pk_fma_f32 v[4:5], v[4:5], v[0:1], v[8:9] op_sel:[0,0,1] op_sel_hi:[1,0,0]
	v_mov_b32_e32 v11, v5
	v_pk_mul_f32 v[4:5], v[6:7], v[2:3] op_sel:[0,1]
	s_delay_alu instid0(VALU_DEP_2) | instskip(NEXT) | instid1(VALU_DEP_2)
	v_pk_add_f32 v[108:109], v[108:109], v[10:11] neg_lo:[0,1] neg_hi:[0,1]
	v_pk_fma_f32 v[8:9], v[6:7], v[0:1], v[4:5] op_sel:[0,0,1] op_sel_hi:[1,1,0] neg_lo:[0,0,1] neg_hi:[0,0,1]
	v_pk_fma_f32 v[4:5], v[6:7], v[0:1], v[4:5] op_sel:[0,0,1] op_sel_hi:[1,0,0]
	s_delay_alu instid0(VALU_DEP_1) | instskip(SKIP_4) | instid1(VALU_DEP_1)
	v_mov_b32_e32 v9, v5
	ds_load_2addr_b64 v[4:7], v154 offset0:29 offset1:30
	v_pk_add_f32 v[130:131], v[130:131], v[8:9] neg_lo:[0,1] neg_hi:[0,1]
	s_wait_dscnt 0x0
	v_pk_mul_f32 v[8:9], v[4:5], v[2:3] op_sel:[0,1]
	v_pk_fma_f32 v[10:11], v[4:5], v[0:1], v[8:9] op_sel:[0,0,1] op_sel_hi:[1,1,0] neg_lo:[0,0,1] neg_hi:[0,0,1]
	v_pk_fma_f32 v[4:5], v[4:5], v[0:1], v[8:9] op_sel:[0,0,1] op_sel_hi:[1,0,0]
	v_dual_mul_f32 v8, v7, v3 :: v_dual_mov_b32 v4, v7
	s_delay_alu instid0(VALU_DEP_2) | instskip(NEXT) | instid1(VALU_DEP_2)
	v_dual_mov_b32 v11, v5 :: v_dual_mov_b32 v5, v6
	v_pk_fma_f32 v[8:9], v[6:7], v[80:81], v[8:9] op_sel_hi:[1,1,0] neg_lo:[0,0,1] neg_hi:[0,0,1]
	v_mul_f32_e32 v6, v7, v0
	s_delay_alu instid0(VALU_DEP_3) | instskip(NEXT) | instid1(VALU_DEP_2)
	v_pk_add_f32 v[126:127], v[126:127], v[10:11] neg_lo:[0,1] neg_hi:[0,1]
	v_pk_fma_f32 v[4:5], v[4:5], v[80:81], v[6:7] op_sel_hi:[1,1,0]
	s_delay_alu instid0(VALU_DEP_1) | instskip(SKIP_4) | instid1(VALU_DEP_1)
	v_mov_b32_e32 v9, v5
	ds_load_2addr_b64 v[4:7], v154 offset0:31 offset1:32
	v_pk_add_f32 v[128:129], v[128:129], v[8:9] neg_lo:[0,1] neg_hi:[0,1]
	s_wait_dscnt 0x0
	v_pk_mul_f32 v[8:9], v[4:5], v[2:3] op_sel:[0,1]
	v_pk_fma_f32 v[10:11], v[4:5], v[0:1], v[8:9] op_sel:[0,0,1] op_sel_hi:[1,1,0] neg_lo:[0,0,1] neg_hi:[0,0,1]
	v_pk_fma_f32 v[4:5], v[4:5], v[0:1], v[8:9] op_sel:[0,0,1] op_sel_hi:[1,0,0]
	s_delay_alu instid0(VALU_DEP_1) | instskip(SKIP_1) | instid1(VALU_DEP_1)
	v_mov_b32_e32 v11, v5
	v_pk_mul_f32 v[4:5], v[6:7], v[2:3] op_sel:[0,1]
	v_pk_fma_f32 v[8:9], v[6:7], v[0:1], v[4:5] op_sel:[0,0,1] op_sel_hi:[1,1,0] neg_lo:[0,0,1] neg_hi:[0,0,1]
	v_pk_fma_f32 v[4:5], v[6:7], v[0:1], v[4:5] op_sel:[0,0,1] op_sel_hi:[1,0,0]
	s_delay_alu instid0(VALU_DEP_1)
	v_mov_b32_e32 v9, v5
	ds_load_2addr_b64 v[4:7], v154 offset0:33 offset1:34
	v_pk_add_f32 v[124:125], v[124:125], v[10:11] neg_lo:[0,1] neg_hi:[0,1]
	v_pk_add_f32 v[146:147], v[146:147], v[8:9] neg_lo:[0,1] neg_hi:[0,1]
	s_wait_dscnt 0x0
	v_pk_mul_f32 v[8:9], v[4:5], v[2:3] op_sel:[0,1]
	s_delay_alu instid0(VALU_DEP_1) | instskip(SKIP_1) | instid1(VALU_DEP_1)
	v_pk_fma_f32 v[10:11], v[4:5], v[0:1], v[8:9] op_sel:[0,0,1] op_sel_hi:[1,1,0] neg_lo:[0,0,1] neg_hi:[0,0,1]
	v_pk_fma_f32 v[4:5], v[4:5], v[0:1], v[8:9] op_sel:[0,0,1] op_sel_hi:[1,0,0]
	v_mov_b32_e32 v11, v5
	v_pk_mul_f32 v[4:5], v[6:7], v[2:3] op_sel:[0,1]
	s_delay_alu instid0(VALU_DEP_1) | instskip(SKIP_1) | instid1(VALU_DEP_1)
	v_pk_fma_f32 v[8:9], v[6:7], v[0:1], v[4:5] op_sel:[0,0,1] op_sel_hi:[1,1,0] neg_lo:[0,0,1] neg_hi:[0,0,1]
	v_pk_fma_f32 v[4:5], v[6:7], v[0:1], v[4:5] op_sel:[0,0,1] op_sel_hi:[1,0,0]
	v_mov_b32_e32 v9, v5
	ds_load_2addr_b64 v[4:7], v154 offset0:35 offset1:36
	v_pk_add_f32 v[142:143], v[142:143], v[10:11] neg_lo:[0,1] neg_hi:[0,1]
	v_pk_add_f32 v[144:145], v[144:145], v[8:9] neg_lo:[0,1] neg_hi:[0,1]
	s_wait_dscnt 0x0
	v_dual_mul_f32 v8, v5, v3 :: v_dual_mul_f32 v10, v5, v0
	s_delay_alu instid0(VALU_DEP_1) | instskip(NEXT) | instid1(VALU_DEP_2)
	v_pk_fma_f32 v[8:9], v[4:5], v[80:81], v[8:9] op_sel_hi:[1,1,0] neg_lo:[0,0,1] neg_hi:[0,0,1]
	v_pk_fma_f32 v[4:5], v[4:5], v[80:81], v[10:11] op_sel:[1,0,0] op_sel_hi:[0,1,0]
	s_delay_alu instid0(VALU_DEP_1) | instskip(SKIP_1) | instid1(VALU_DEP_2)
	v_mov_b32_e32 v9, v5
	v_pk_mul_f32 v[4:5], v[6:7], v[2:3] op_sel:[0,1]
	v_pk_add_f32 v[140:141], v[140:141], v[8:9] neg_lo:[0,1] neg_hi:[0,1]
	s_delay_alu instid0(VALU_DEP_2) | instskip(SKIP_1) | instid1(VALU_DEP_1)
	v_pk_fma_f32 v[8:9], v[6:7], v[0:1], v[4:5] op_sel:[0,0,1] op_sel_hi:[1,1,0] neg_lo:[0,0,1] neg_hi:[0,0,1]
	v_pk_fma_f32 v[4:5], v[6:7], v[0:1], v[4:5] op_sel:[0,0,1] op_sel_hi:[1,0,0]
	v_mov_b32_e32 v9, v5
	ds_load_2addr_b64 v[4:7], v154 offset0:37 offset1:38
	v_pk_add_f32 v[162:163], v[162:163], v[8:9] neg_lo:[0,1] neg_hi:[0,1]
	s_wait_dscnt 0x0
	v_pk_mul_f32 v[8:9], v[4:5], v[2:3] op_sel:[0,1]
	s_delay_alu instid0(VALU_DEP_1) | instskip(SKIP_1) | instid1(VALU_DEP_1)
	v_pk_fma_f32 v[10:11], v[4:5], v[0:1], v[8:9] op_sel:[0,0,1] op_sel_hi:[1,1,0] neg_lo:[0,0,1] neg_hi:[0,0,1]
	v_pk_fma_f32 v[4:5], v[4:5], v[0:1], v[8:9] op_sel:[0,0,1] op_sel_hi:[1,0,0]
	v_mov_b32_e32 v11, v5
	v_pk_mul_f32 v[4:5], v[6:7], v[2:3] op_sel:[0,1]
	s_delay_alu instid0(VALU_DEP_2) | instskip(NEXT) | instid1(VALU_DEP_2)
	v_pk_add_f32 v[158:159], v[158:159], v[10:11] neg_lo:[0,1] neg_hi:[0,1]
	v_pk_fma_f32 v[8:9], v[6:7], v[0:1], v[4:5] op_sel:[0,0,1] op_sel_hi:[1,1,0] neg_lo:[0,0,1] neg_hi:[0,0,1]
	v_pk_fma_f32 v[4:5], v[6:7], v[0:1], v[4:5] op_sel:[0,0,1] op_sel_hi:[1,0,0]
	s_delay_alu instid0(VALU_DEP_1) | instskip(SKIP_4) | instid1(VALU_DEP_1)
	v_mov_b32_e32 v9, v5
	ds_load_2addr_b64 v[4:7], v154 offset0:39 offset1:40
	v_pk_add_f32 v[160:161], v[160:161], v[8:9] neg_lo:[0,1] neg_hi:[0,1]
	s_wait_dscnt 0x0
	v_pk_mul_f32 v[8:9], v[4:5], v[2:3] op_sel:[0,1]
	v_pk_fma_f32 v[10:11], v[4:5], v[0:1], v[8:9] op_sel:[0,0,1] op_sel_hi:[1,1,0] neg_lo:[0,0,1] neg_hi:[0,0,1]
	v_pk_fma_f32 v[4:5], v[4:5], v[0:1], v[8:9] op_sel:[0,0,1] op_sel_hi:[1,0,0]
	v_dual_mul_f32 v8, v7, v3 :: v_dual_mov_b32 v4, v7
	s_delay_alu instid0(VALU_DEP_2) | instskip(NEXT) | instid1(VALU_DEP_2)
	v_dual_mov_b32 v11, v5 :: v_dual_mov_b32 v5, v6
	v_pk_fma_f32 v[8:9], v[6:7], v[80:81], v[8:9] op_sel_hi:[1,1,0] neg_lo:[0,0,1] neg_hi:[0,0,1]
	v_mul_f32_e32 v6, v7, v0
	s_delay_alu instid0(VALU_DEP_3) | instskip(NEXT) | instid1(VALU_DEP_2)
	v_pk_add_f32 v[156:157], v[156:157], v[10:11] neg_lo:[0,1] neg_hi:[0,1]
	v_pk_fma_f32 v[4:5], v[4:5], v[80:81], v[6:7] op_sel_hi:[1,1,0]
	s_delay_alu instid0(VALU_DEP_1) | instskip(SKIP_4) | instid1(VALU_DEP_1)
	v_mov_b32_e32 v9, v5
	ds_load_2addr_b64 v[4:7], v154 offset0:41 offset1:42
	v_pk_add_f32 v[178:179], v[178:179], v[8:9] neg_lo:[0,1] neg_hi:[0,1]
	s_wait_dscnt 0x0
	v_pk_mul_f32 v[8:9], v[4:5], v[2:3] op_sel:[0,1]
	v_pk_fma_f32 v[10:11], v[4:5], v[0:1], v[8:9] op_sel:[0,0,1] op_sel_hi:[1,1,0] neg_lo:[0,0,1] neg_hi:[0,0,1]
	v_pk_fma_f32 v[4:5], v[4:5], v[0:1], v[8:9] op_sel:[0,0,1] op_sel_hi:[1,0,0]
	s_delay_alu instid0(VALU_DEP_1) | instskip(SKIP_1) | instid1(VALU_DEP_1)
	v_mov_b32_e32 v11, v5
	v_pk_mul_f32 v[4:5], v[6:7], v[2:3] op_sel:[0,1]
	v_pk_fma_f32 v[8:9], v[6:7], v[0:1], v[4:5] op_sel:[0,0,1] op_sel_hi:[1,1,0] neg_lo:[0,0,1] neg_hi:[0,0,1]
	v_pk_fma_f32 v[4:5], v[6:7], v[0:1], v[4:5] op_sel:[0,0,1] op_sel_hi:[1,0,0]
	s_delay_alu instid0(VALU_DEP_1)
	v_mov_b32_e32 v9, v5
	ds_load_2addr_b64 v[4:7], v154 offset0:43 offset1:44
	v_pk_add_f32 v[174:175], v[174:175], v[10:11] neg_lo:[0,1] neg_hi:[0,1]
	v_pk_add_f32 v[176:177], v[176:177], v[8:9] neg_lo:[0,1] neg_hi:[0,1]
	s_wait_dscnt 0x0
	v_pk_mul_f32 v[8:9], v[4:5], v[2:3] op_sel:[0,1]
	s_delay_alu instid0(VALU_DEP_1) | instskip(SKIP_1) | instid1(VALU_DEP_1)
	v_pk_fma_f32 v[10:11], v[4:5], v[0:1], v[8:9] op_sel:[0,0,1] op_sel_hi:[1,1,0] neg_lo:[0,0,1] neg_hi:[0,0,1]
	v_pk_fma_f32 v[4:5], v[4:5], v[0:1], v[8:9] op_sel:[0,0,1] op_sel_hi:[1,0,0]
	v_mov_b32_e32 v11, v5
	v_pk_mul_f32 v[4:5], v[6:7], v[2:3] op_sel:[0,1]
	s_delay_alu instid0(VALU_DEP_1) | instskip(SKIP_1) | instid1(VALU_DEP_1)
	v_pk_fma_f32 v[8:9], v[6:7], v[0:1], v[4:5] op_sel:[0,0,1] op_sel_hi:[1,1,0] neg_lo:[0,0,1] neg_hi:[0,0,1]
	v_pk_fma_f32 v[4:5], v[6:7], v[0:1], v[4:5] op_sel:[0,0,1] op_sel_hi:[1,0,0]
	v_mov_b32_e32 v9, v5
	ds_load_2addr_b64 v[4:7], v154 offset0:45 offset1:46
	v_pk_add_f32 v[172:173], v[172:173], v[10:11] neg_lo:[0,1] neg_hi:[0,1]
	v_pk_add_f32 v[196:197], v[196:197], v[8:9] neg_lo:[0,1] neg_hi:[0,1]
	s_wait_dscnt 0x0
	v_dual_mul_f32 v8, v5, v3 :: v_dual_mul_f32 v10, v5, v0
	s_delay_alu instid0(VALU_DEP_1) | instskip(NEXT) | instid1(VALU_DEP_2)
	v_pk_fma_f32 v[8:9], v[4:5], v[80:81], v[8:9] op_sel_hi:[1,1,0] neg_lo:[0,0,1] neg_hi:[0,0,1]
	v_pk_fma_f32 v[4:5], v[4:5], v[80:81], v[10:11] op_sel:[1,0,0] op_sel_hi:[0,1,0]
	s_delay_alu instid0(VALU_DEP_1) | instskip(SKIP_1) | instid1(VALU_DEP_2)
	v_mov_b32_e32 v9, v5
	v_pk_mul_f32 v[4:5], v[6:7], v[2:3] op_sel:[0,1]
	v_pk_add_f32 v[192:193], v[192:193], v[8:9] neg_lo:[0,1] neg_hi:[0,1]
	s_delay_alu instid0(VALU_DEP_2) | instskip(SKIP_1) | instid1(VALU_DEP_1)
	v_pk_fma_f32 v[8:9], v[6:7], v[0:1], v[4:5] op_sel:[0,0,1] op_sel_hi:[1,1,0] neg_lo:[0,0,1] neg_hi:[0,0,1]
	v_pk_fma_f32 v[4:5], v[6:7], v[0:1], v[4:5] op_sel:[0,0,1] op_sel_hi:[1,0,0]
	v_mov_b32_e32 v9, v5
	ds_load_2addr_b64 v[4:7], v154 offset0:47 offset1:48
	v_pk_add_f32 v[194:195], v[194:195], v[8:9] neg_lo:[0,1] neg_hi:[0,1]
	s_wait_dscnt 0x0
	v_pk_mul_f32 v[8:9], v[4:5], v[2:3] op_sel:[0,1]
	s_delay_alu instid0(VALU_DEP_1) | instskip(SKIP_1) | instid1(VALU_DEP_1)
	v_pk_fma_f32 v[10:11], v[4:5], v[0:1], v[8:9] op_sel:[0,0,1] op_sel_hi:[1,1,0] neg_lo:[0,0,1] neg_hi:[0,0,1]
	v_pk_fma_f32 v[4:5], v[4:5], v[0:1], v[8:9] op_sel:[0,0,1] op_sel_hi:[1,0,0]
	v_mov_b32_e32 v11, v5
	v_pk_mul_f32 v[4:5], v[6:7], v[2:3] op_sel:[0,1]
	s_delay_alu instid0(VALU_DEP_2) | instskip(NEXT) | instid1(VALU_DEP_2)
	v_pk_add_f32 v[190:191], v[190:191], v[10:11] neg_lo:[0,1] neg_hi:[0,1]
	v_pk_fma_f32 v[8:9], v[6:7], v[0:1], v[4:5] op_sel:[0,0,1] op_sel_hi:[1,1,0] neg_lo:[0,0,1] neg_hi:[0,0,1]
	v_pk_fma_f32 v[4:5], v[6:7], v[0:1], v[4:5] op_sel:[0,0,1] op_sel_hi:[1,0,0]
	s_delay_alu instid0(VALU_DEP_1) | instskip(SKIP_4) | instid1(VALU_DEP_1)
	v_mov_b32_e32 v9, v5
	ds_load_2addr_b64 v[4:7], v154 offset0:49 offset1:50
	v_pk_add_f32 v[216:217], v[216:217], v[8:9] neg_lo:[0,1] neg_hi:[0,1]
	s_wait_dscnt 0x0
	v_pk_mul_f32 v[8:9], v[4:5], v[2:3] op_sel:[0,1]
	v_pk_fma_f32 v[10:11], v[4:5], v[0:1], v[8:9] op_sel:[0,0,1] op_sel_hi:[1,1,0] neg_lo:[0,0,1] neg_hi:[0,0,1]
	v_pk_fma_f32 v[4:5], v[4:5], v[0:1], v[8:9] op_sel:[0,0,1] op_sel_hi:[1,0,0]
	v_dual_mul_f32 v8, v7, v3 :: v_dual_mov_b32 v4, v7
	s_delay_alu instid0(VALU_DEP_2) | instskip(NEXT) | instid1(VALU_DEP_2)
	v_dual_mov_b32 v11, v5 :: v_dual_mov_b32 v5, v6
	v_pk_fma_f32 v[8:9], v[6:7], v[80:81], v[8:9] op_sel_hi:[1,1,0] neg_lo:[0,0,1] neg_hi:[0,0,1]
	v_mul_f32_e32 v6, v7, v0
	s_delay_alu instid0(VALU_DEP_3) | instskip(NEXT) | instid1(VALU_DEP_2)
	v_pk_add_f32 v[210:211], v[210:211], v[10:11] neg_lo:[0,1] neg_hi:[0,1]
	v_pk_fma_f32 v[4:5], v[4:5], v[80:81], v[6:7] op_sel_hi:[1,1,0]
	s_delay_alu instid0(VALU_DEP_1) | instskip(SKIP_4) | instid1(VALU_DEP_1)
	v_mov_b32_e32 v9, v5
	ds_load_2addr_b64 v[4:7], v154 offset0:51 offset1:52
	v_pk_add_f32 v[214:215], v[214:215], v[8:9] neg_lo:[0,1] neg_hi:[0,1]
	s_wait_dscnt 0x0
	v_pk_mul_f32 v[8:9], v[4:5], v[2:3] op_sel:[0,1]
	v_pk_fma_f32 v[10:11], v[4:5], v[0:1], v[8:9] op_sel:[0,0,1] op_sel_hi:[1,1,0] neg_lo:[0,0,1] neg_hi:[0,0,1]
	v_pk_fma_f32 v[4:5], v[4:5], v[0:1], v[8:9] op_sel:[0,0,1] op_sel_hi:[1,0,0]
	s_delay_alu instid0(VALU_DEP_1) | instskip(SKIP_1) | instid1(VALU_DEP_1)
	v_mov_b32_e32 v11, v5
	v_pk_mul_f32 v[4:5], v[6:7], v[2:3] op_sel:[0,1]
	v_pk_fma_f32 v[8:9], v[6:7], v[0:1], v[4:5] op_sel:[0,0,1] op_sel_hi:[1,1,0] neg_lo:[0,0,1] neg_hi:[0,0,1]
	v_pk_fma_f32 v[4:5], v[6:7], v[0:1], v[4:5] op_sel:[0,0,1] op_sel_hi:[1,0,0]
	s_delay_alu instid0(VALU_DEP_1)
	v_mov_b32_e32 v9, v5
	ds_load_2addr_b64 v[4:7], v154 offset0:53 offset1:54
	v_pk_add_f32 v[208:209], v[208:209], v[10:11] neg_lo:[0,1] neg_hi:[0,1]
	v_pk_add_f32 v[212:213], v[212:213], v[8:9] neg_lo:[0,1] neg_hi:[0,1]
	s_wait_dscnt 0x0
	v_pk_mul_f32 v[8:9], v[4:5], v[2:3] op_sel:[0,1]
	v_pk_mul_f32 v[2:3], v[6:7], v[2:3] op_sel:[0,1]
	s_delay_alu instid0(VALU_DEP_2) | instskip(SKIP_1) | instid1(VALU_DEP_1)
	v_pk_fma_f32 v[10:11], v[4:5], v[0:1], v[8:9] op_sel:[0,0,1] op_sel_hi:[1,1,0] neg_lo:[0,0,1] neg_hi:[0,0,1]
	v_pk_fma_f32 v[4:5], v[4:5], v[0:1], v[8:9] op_sel:[0,0,1] op_sel_hi:[1,0,0]
	v_mov_b32_e32 v11, v5
	s_delay_alu instid0(VALU_DEP_4) | instskip(SKIP_1) | instid1(VALU_DEP_1)
	v_pk_fma_f32 v[4:5], v[6:7], v[0:1], v[2:3] op_sel:[0,0,1] op_sel_hi:[1,1,0] neg_lo:[0,0,1] neg_hi:[0,0,1]
	v_pk_fma_f32 v[0:1], v[6:7], v[0:1], v[2:3] op_sel:[0,0,1] op_sel_hi:[1,0,0]
	v_mov_b32_e32 v5, v1
	s_delay_alu instid0(VALU_DEP_4) | instskip(NEXT) | instid1(VALU_DEP_2)
	v_pk_add_f32 v[218:219], v[218:219], v[10:11] neg_lo:[0,1] neg_hi:[0,1]
	v_pk_add_f32 v[220:221], v[220:221], v[4:5] neg_lo:[0,1] neg_hi:[0,1]
.LBB109_154:
	s_wait_xcnt 0x0
	s_or_b32 exec_lo, exec_lo, s1
	s_delay_alu instid0(SALU_CYCLE_1)
	s_mov_b32 s2, exec_lo
	s_wait_storecnt 0x0
	s_barrier_signal -1
	s_barrier_wait -1
	v_cmpx_eq_u32_e32 17, v152
	s_cbranch_execz .LBB109_161
; %bb.155:
	v_dual_mov_b32 v0, v78 :: v_dual_mov_b32 v1, v79
	v_dual_mov_b32 v2, v74 :: v_dual_mov_b32 v3, v75
	ds_store_b64 v153, v[76:77]
	ds_store_2addr_b64 v154, v[0:1], v[2:3] offset0:18 offset1:19
	v_dual_mov_b32 v0, v96 :: v_dual_mov_b32 v1, v97
	v_dual_mov_b32 v2, v92 :: v_dual_mov_b32 v3, v93
	ds_store_2addr_b64 v154, v[0:1], v[2:3] offset0:20 offset1:21
	v_dual_mov_b32 v0, v94 :: v_dual_mov_b32 v1, v95
	v_dual_mov_b32 v2, v90 :: v_dual_mov_b32 v3, v91
	ds_store_2addr_b64 v154, v[0:1], v[2:3] offset0:22 offset1:23
	v_dual_mov_b32 v0, v114 :: v_dual_mov_b32 v1, v115
	v_dual_mov_b32 v2, v110 :: v_dual_mov_b32 v3, v111
	ds_store_2addr_b64 v154, v[0:1], v[2:3] offset0:24 offset1:25
	v_dual_mov_b32 v0, v112 :: v_dual_mov_b32 v1, v113
	v_dual_mov_b32 v2, v108 :: v_dual_mov_b32 v3, v109
	ds_store_2addr_b64 v154, v[0:1], v[2:3] offset0:26 offset1:27
	v_dual_mov_b32 v0, v130 :: v_dual_mov_b32 v1, v131
	v_dual_mov_b32 v2, v126 :: v_dual_mov_b32 v3, v127
	ds_store_2addr_b64 v154, v[0:1], v[2:3] offset0:28 offset1:29
	v_dual_mov_b32 v0, v128 :: v_dual_mov_b32 v1, v129
	v_dual_mov_b32 v2, v124 :: v_dual_mov_b32 v3, v125
	ds_store_2addr_b64 v154, v[0:1], v[2:3] offset0:30 offset1:31
	v_dual_mov_b32 v0, v146 :: v_dual_mov_b32 v1, v147
	v_dual_mov_b32 v2, v142 :: v_dual_mov_b32 v3, v143
	ds_store_2addr_b64 v154, v[0:1], v[2:3] offset0:32 offset1:33
	v_dual_mov_b32 v0, v144 :: v_dual_mov_b32 v1, v145
	v_dual_mov_b32 v2, v140 :: v_dual_mov_b32 v3, v141
	ds_store_2addr_b64 v154, v[0:1], v[2:3] offset0:34 offset1:35
	v_dual_mov_b32 v0, v162 :: v_dual_mov_b32 v1, v163
	v_dual_mov_b32 v2, v158 :: v_dual_mov_b32 v3, v159
	ds_store_2addr_b64 v154, v[0:1], v[2:3] offset0:36 offset1:37
	v_dual_mov_b32 v0, v160 :: v_dual_mov_b32 v1, v161
	v_dual_mov_b32 v2, v156 :: v_dual_mov_b32 v3, v157
	ds_store_2addr_b64 v154, v[0:1], v[2:3] offset0:38 offset1:39
	v_dual_mov_b32 v0, v178 :: v_dual_mov_b32 v1, v179
	v_dual_mov_b32 v2, v174 :: v_dual_mov_b32 v3, v175
	ds_store_2addr_b64 v154, v[0:1], v[2:3] offset0:40 offset1:41
	v_dual_mov_b32 v0, v176 :: v_dual_mov_b32 v1, v177
	v_dual_mov_b32 v2, v172 :: v_dual_mov_b32 v3, v173
	ds_store_2addr_b64 v154, v[0:1], v[2:3] offset0:42 offset1:43
	v_dual_mov_b32 v0, v196 :: v_dual_mov_b32 v1, v197
	v_dual_mov_b32 v2, v192 :: v_dual_mov_b32 v3, v193
	ds_store_2addr_b64 v154, v[0:1], v[2:3] offset0:44 offset1:45
	v_dual_mov_b32 v0, v194 :: v_dual_mov_b32 v1, v195
	v_dual_mov_b32 v2, v190 :: v_dual_mov_b32 v3, v191
	ds_store_2addr_b64 v154, v[0:1], v[2:3] offset0:46 offset1:47
	v_dual_mov_b32 v0, v216 :: v_dual_mov_b32 v1, v217
	v_dual_mov_b32 v2, v210 :: v_dual_mov_b32 v3, v211
	ds_store_2addr_b64 v154, v[0:1], v[2:3] offset0:48 offset1:49
	v_dual_mov_b32 v0, v214 :: v_dual_mov_b32 v1, v215
	v_dual_mov_b32 v2, v208 :: v_dual_mov_b32 v3, v209
	ds_store_2addr_b64 v154, v[0:1], v[2:3] offset0:50 offset1:51
	v_dual_mov_b32 v0, v212 :: v_dual_mov_b32 v1, v213
	v_dual_mov_b32 v2, v218 :: v_dual_mov_b32 v3, v219
	ds_store_2addr_b64 v154, v[0:1], v[2:3] offset0:52 offset1:53
	ds_store_b64 v154, v[220:221] offset:432
	ds_load_b64 v[0:1], v153
	s_wait_dscnt 0x0
	v_cmp_neq_f32_e32 vcc_lo, 0, v0
	v_cmp_neq_f32_e64 s1, 0, v1
	s_or_b32 s1, vcc_lo, s1
	s_delay_alu instid0(SALU_CYCLE_1)
	s_and_b32 exec_lo, exec_lo, s1
	s_cbranch_execz .LBB109_161
; %bb.156:
	v_cmp_ngt_f32_e64 s1, |v0|, |v1|
                                        ; implicit-def: $vgpr2_vgpr3
	s_and_saveexec_b32 s4, s1
	s_delay_alu instid0(SALU_CYCLE_1)
	s_xor_b32 s1, exec_lo, s4
	s_cbranch_execz .LBB109_158
; %bb.157:
	v_div_scale_f32 v2, null, v1, v1, v0
	v_div_scale_f32 v5, vcc_lo, v0, v1, v0
	s_delay_alu instid0(VALU_DEP_2) | instskip(SKIP_1) | instid1(TRANS32_DEP_1)
	v_rcp_f32_e32 v3, v2
	v_nop
	v_fma_f32 v4, -v2, v3, 1.0
	s_delay_alu instid0(VALU_DEP_1) | instskip(NEXT) | instid1(VALU_DEP_1)
	v_fmac_f32_e32 v3, v4, v3
	v_mul_f32_e32 v4, v5, v3
	s_delay_alu instid0(VALU_DEP_1) | instskip(NEXT) | instid1(VALU_DEP_1)
	v_fma_f32 v6, -v2, v4, v5
	v_fmac_f32_e32 v4, v6, v3
	s_delay_alu instid0(VALU_DEP_1) | instskip(NEXT) | instid1(VALU_DEP_1)
	v_fma_f32 v2, -v2, v4, v5
	v_div_fmas_f32 v2, v2, v3, v4
	s_delay_alu instid0(VALU_DEP_1) | instskip(NEXT) | instid1(VALU_DEP_1)
	v_div_fixup_f32 v2, v2, v1, v0
	v_fmac_f32_e32 v1, v0, v2
	s_delay_alu instid0(VALU_DEP_1) | instskip(SKIP_1) | instid1(VALU_DEP_2)
	v_div_scale_f32 v0, null, v1, v1, 1.0
	v_div_scale_f32 v5, vcc_lo, 1.0, v1, 1.0
	v_rcp_f32_e32 v3, v0
	v_nop
	s_delay_alu instid0(TRANS32_DEP_1) | instskip(NEXT) | instid1(VALU_DEP_1)
	v_fma_f32 v4, -v0, v3, 1.0
	v_fmac_f32_e32 v3, v4, v3
	s_delay_alu instid0(VALU_DEP_1) | instskip(NEXT) | instid1(VALU_DEP_1)
	v_mul_f32_e32 v4, v5, v3
	v_fma_f32 v6, -v0, v4, v5
	s_delay_alu instid0(VALU_DEP_1) | instskip(NEXT) | instid1(VALU_DEP_1)
	v_fmac_f32_e32 v4, v6, v3
	v_fma_f32 v0, -v0, v4, v5
	s_delay_alu instid0(VALU_DEP_1) | instskip(NEXT) | instid1(VALU_DEP_1)
	v_div_fmas_f32 v0, v0, v3, v4
	v_div_fixup_f32 v0, v0, v1, 1.0
	s_delay_alu instid0(VALU_DEP_1)
	v_mul_f32_e32 v2, v2, v0
	v_xor_b32_e32 v3, 0x80000000, v0
                                        ; implicit-def: $vgpr0_vgpr1
.LBB109_158:
	s_and_not1_saveexec_b32 s1, s1
	s_cbranch_execz .LBB109_160
; %bb.159:
	v_div_scale_f32 v2, null, v0, v0, v1
	v_div_scale_f32 v5, vcc_lo, v1, v0, v1
	s_delay_alu instid0(VALU_DEP_2) | instskip(SKIP_1) | instid1(TRANS32_DEP_1)
	v_rcp_f32_e32 v3, v2
	v_nop
	v_fma_f32 v4, -v2, v3, 1.0
	s_delay_alu instid0(VALU_DEP_1) | instskip(NEXT) | instid1(VALU_DEP_1)
	v_fmac_f32_e32 v3, v4, v3
	v_mul_f32_e32 v4, v5, v3
	s_delay_alu instid0(VALU_DEP_1) | instskip(NEXT) | instid1(VALU_DEP_1)
	v_fma_f32 v6, -v2, v4, v5
	v_fmac_f32_e32 v4, v6, v3
	s_delay_alu instid0(VALU_DEP_1) | instskip(NEXT) | instid1(VALU_DEP_1)
	v_fma_f32 v2, -v2, v4, v5
	v_div_fmas_f32 v2, v2, v3, v4
	s_delay_alu instid0(VALU_DEP_1) | instskip(NEXT) | instid1(VALU_DEP_1)
	v_div_fixup_f32 v3, v2, v0, v1
	v_fmac_f32_e32 v0, v1, v3
	s_delay_alu instid0(VALU_DEP_1) | instskip(NEXT) | instid1(VALU_DEP_1)
	v_div_scale_f32 v1, null, v0, v0, 1.0
	v_rcp_f32_e32 v2, v1
	v_nop
	s_delay_alu instid0(TRANS32_DEP_1) | instskip(NEXT) | instid1(VALU_DEP_1)
	v_fma_f32 v4, -v1, v2, 1.0
	v_fmac_f32_e32 v2, v4, v2
	v_div_scale_f32 v4, vcc_lo, 1.0, v0, 1.0
	s_delay_alu instid0(VALU_DEP_1) | instskip(NEXT) | instid1(VALU_DEP_1)
	v_mul_f32_e32 v5, v4, v2
	v_fma_f32 v6, -v1, v5, v4
	s_delay_alu instid0(VALU_DEP_1) | instskip(NEXT) | instid1(VALU_DEP_1)
	v_fmac_f32_e32 v5, v6, v2
	v_fma_f32 v1, -v1, v5, v4
	s_delay_alu instid0(VALU_DEP_1) | instskip(NEXT) | instid1(VALU_DEP_1)
	v_div_fmas_f32 v1, v1, v2, v5
	v_div_fixup_f32 v2, v1, v0, 1.0
	s_delay_alu instid0(VALU_DEP_1)
	v_mul_f32_e64 v3, v3, -v2
.LBB109_160:
	s_or_b32 exec_lo, exec_lo, s1
	ds_store_b64 v153, v[2:3]
.LBB109_161:
	s_or_b32 exec_lo, exec_lo, s2
	s_wait_dscnt 0x0
	s_barrier_signal -1
	s_barrier_wait -1
	ds_load_b64 v[0:1], v153
	s_mov_b32 s1, exec_lo
	s_wait_dscnt 0x0
	scratch_store_b64 off, v[0:1], off offset:344 ; 8-byte Folded Spill
	s_wait_xcnt 0x0
	v_cmpx_lt_u32_e32 17, v152
	s_cbranch_execz .LBB109_163
; %bb.162:
	scratch_load_b64 v[0:1], off, off offset:344 ; 8-byte Folded Reload
	ds_load_2addr_b64 v[6:9], v154 offset0:18 offset1:19
	s_wait_loadcnt 0x0
	v_pk_mul_f32 v[4:5], v[0:1], v[76:77] op_sel:[1,1] op_sel_hi:[0,1]
	s_delay_alu instid0(VALU_DEP_1) | instskip(SKIP_1) | instid1(VALU_DEP_1)
	v_pk_fma_f32 v[2:3], v[0:1], v[76:77], v[4:5] op_sel_hi:[1,0,1] neg_lo:[0,0,1] neg_hi:[0,0,1]
	v_pk_fma_f32 v[4:5], v[0:1], v[76:77], v[4:5] op_sel_hi:[1,0,1]
	v_dual_mov_b32 v76, v2 :: v_dual_mov_b32 v77, v5
	s_wait_dscnt 0x0
	s_delay_alu instid0(VALU_DEP_2) | instskip(NEXT) | instid1(VALU_DEP_1)
	v_pk_mul_f32 v[10:11], v[6:7], v[4:5] op_sel:[0,1]
	v_pk_fma_f32 v[12:13], v[6:7], v[2:3], v[10:11] op_sel:[0,0,1] op_sel_hi:[1,1,0] neg_lo:[0,0,1] neg_hi:[0,0,1]
	v_pk_fma_f32 v[6:7], v[6:7], v[2:3], v[10:11] op_sel:[0,0,1] op_sel_hi:[1,0,0]
	s_delay_alu instid0(VALU_DEP_1) | instskip(SKIP_1) | instid1(VALU_DEP_1)
	v_mov_b32_e32 v13, v7
	v_pk_mul_f32 v[6:7], v[8:9], v[4:5] op_sel:[0,1]
	v_pk_fma_f32 v[10:11], v[8:9], v[2:3], v[6:7] op_sel:[0,0,1] op_sel_hi:[1,1,0] neg_lo:[0,0,1] neg_hi:[0,0,1]
	v_pk_fma_f32 v[6:7], v[8:9], v[2:3], v[6:7] op_sel:[0,0,1] op_sel_hi:[1,0,0]
	s_delay_alu instid0(VALU_DEP_1)
	v_mov_b32_e32 v11, v7
	ds_load_2addr_b64 v[6:9], v154 offset0:20 offset1:21
	v_pk_add_f32 v[78:79], v[78:79], v[12:13] neg_lo:[0,1] neg_hi:[0,1]
	v_pk_add_f32 v[74:75], v[74:75], v[10:11] neg_lo:[0,1] neg_hi:[0,1]
	s_wait_dscnt 0x0
	v_pk_mul_f32 v[10:11], v[6:7], v[4:5] op_sel:[0,1]
	s_delay_alu instid0(VALU_DEP_1) | instskip(SKIP_2) | instid1(VALU_DEP_2)
	v_pk_fma_f32 v[12:13], v[6:7], v[2:3], v[10:11] op_sel:[0,0,1] op_sel_hi:[1,1,0] neg_lo:[0,0,1] neg_hi:[0,0,1]
	v_pk_fma_f32 v[6:7], v[6:7], v[2:3], v[10:11] op_sel:[0,0,1] op_sel_hi:[1,0,0]
	v_dual_mul_f32 v10, v9, v5 :: v_dual_mov_b32 v6, v9
	v_dual_mov_b32 v13, v7 :: v_dual_mov_b32 v7, v8
	s_delay_alu instid0(VALU_DEP_2) | instskip(SKIP_1) | instid1(VALU_DEP_3)
	v_pk_fma_f32 v[10:11], v[8:9], v[76:77], v[10:11] op_sel_hi:[1,1,0] neg_lo:[0,0,1] neg_hi:[0,0,1]
	v_mul_f32_e32 v8, v9, v2
	v_pk_add_f32 v[96:97], v[96:97], v[12:13] neg_lo:[0,1] neg_hi:[0,1]
	s_delay_alu instid0(VALU_DEP_2) | instskip(NEXT) | instid1(VALU_DEP_1)
	v_pk_fma_f32 v[6:7], v[6:7], v[76:77], v[8:9] op_sel_hi:[1,1,0]
	v_mov_b32_e32 v11, v7
	ds_load_2addr_b64 v[6:9], v154 offset0:22 offset1:23
	v_pk_add_f32 v[92:93], v[92:93], v[10:11] neg_lo:[0,1] neg_hi:[0,1]
	s_wait_dscnt 0x0
	v_pk_mul_f32 v[10:11], v[6:7], v[4:5] op_sel:[0,1]
	s_delay_alu instid0(VALU_DEP_1) | instskip(SKIP_1) | instid1(VALU_DEP_1)
	v_pk_fma_f32 v[12:13], v[6:7], v[2:3], v[10:11] op_sel:[0,0,1] op_sel_hi:[1,1,0] neg_lo:[0,0,1] neg_hi:[0,0,1]
	v_pk_fma_f32 v[6:7], v[6:7], v[2:3], v[10:11] op_sel:[0,0,1] op_sel_hi:[1,0,0]
	v_mov_b32_e32 v13, v7
	v_pk_mul_f32 v[6:7], v[8:9], v[4:5] op_sel:[0,1]
	s_delay_alu instid0(VALU_DEP_1) | instskip(SKIP_1) | instid1(VALU_DEP_1)
	v_pk_fma_f32 v[10:11], v[8:9], v[2:3], v[6:7] op_sel:[0,0,1] op_sel_hi:[1,1,0] neg_lo:[0,0,1] neg_hi:[0,0,1]
	v_pk_fma_f32 v[6:7], v[8:9], v[2:3], v[6:7] op_sel:[0,0,1] op_sel_hi:[1,0,0]
	v_mov_b32_e32 v11, v7
	ds_load_2addr_b64 v[6:9], v154 offset0:24 offset1:25
	v_pk_add_f32 v[94:95], v[94:95], v[12:13] neg_lo:[0,1] neg_hi:[0,1]
	v_pk_add_f32 v[90:91], v[90:91], v[10:11] neg_lo:[0,1] neg_hi:[0,1]
	s_wait_dscnt 0x0
	v_pk_mul_f32 v[10:11], v[6:7], v[4:5] op_sel:[0,1]
	s_delay_alu instid0(VALU_DEP_1) | instskip(SKIP_1) | instid1(VALU_DEP_1)
	v_pk_fma_f32 v[12:13], v[6:7], v[2:3], v[10:11] op_sel:[0,0,1] op_sel_hi:[1,1,0] neg_lo:[0,0,1] neg_hi:[0,0,1]
	v_pk_fma_f32 v[6:7], v[6:7], v[2:3], v[10:11] op_sel:[0,0,1] op_sel_hi:[1,0,0]
	v_mov_b32_e32 v13, v7
	v_pk_mul_f32 v[6:7], v[8:9], v[4:5] op_sel:[0,1]
	s_delay_alu instid0(VALU_DEP_1) | instskip(SKIP_1) | instid1(VALU_DEP_1)
	v_pk_fma_f32 v[10:11], v[8:9], v[2:3], v[6:7] op_sel:[0,0,1] op_sel_hi:[1,1,0] neg_lo:[0,0,1] neg_hi:[0,0,1]
	v_pk_fma_f32 v[6:7], v[8:9], v[2:3], v[6:7] op_sel:[0,0,1] op_sel_hi:[1,0,0]
	v_mov_b32_e32 v11, v7
	ds_load_2addr_b64 v[6:9], v154 offset0:26 offset1:27
	v_pk_add_f32 v[114:115], v[114:115], v[12:13] neg_lo:[0,1] neg_hi:[0,1]
	v_pk_add_f32 v[110:111], v[110:111], v[10:11] neg_lo:[0,1] neg_hi:[0,1]
	s_wait_dscnt 0x0
	v_dual_mul_f32 v10, v7, v5 :: v_dual_mul_f32 v12, v7, v2
	s_delay_alu instid0(VALU_DEP_1) | instskip(NEXT) | instid1(VALU_DEP_2)
	v_pk_fma_f32 v[10:11], v[6:7], v[76:77], v[10:11] op_sel_hi:[1,1,0] neg_lo:[0,0,1] neg_hi:[0,0,1]
	v_pk_fma_f32 v[6:7], v[6:7], v[76:77], v[12:13] op_sel:[1,0,0] op_sel_hi:[0,1,0]
	s_delay_alu instid0(VALU_DEP_1) | instskip(SKIP_1) | instid1(VALU_DEP_2)
	v_mov_b32_e32 v11, v7
	v_pk_mul_f32 v[6:7], v[8:9], v[4:5] op_sel:[0,1]
	v_pk_add_f32 v[112:113], v[112:113], v[10:11] neg_lo:[0,1] neg_hi:[0,1]
	s_delay_alu instid0(VALU_DEP_2) | instskip(SKIP_1) | instid1(VALU_DEP_1)
	v_pk_fma_f32 v[10:11], v[8:9], v[2:3], v[6:7] op_sel:[0,0,1] op_sel_hi:[1,1,0] neg_lo:[0,0,1] neg_hi:[0,0,1]
	v_pk_fma_f32 v[6:7], v[8:9], v[2:3], v[6:7] op_sel:[0,0,1] op_sel_hi:[1,0,0]
	v_mov_b32_e32 v11, v7
	ds_load_2addr_b64 v[6:9], v154 offset0:28 offset1:29
	v_pk_add_f32 v[108:109], v[108:109], v[10:11] neg_lo:[0,1] neg_hi:[0,1]
	s_wait_dscnt 0x0
	v_pk_mul_f32 v[10:11], v[6:7], v[4:5] op_sel:[0,1]
	s_delay_alu instid0(VALU_DEP_1) | instskip(SKIP_1) | instid1(VALU_DEP_1)
	v_pk_fma_f32 v[12:13], v[6:7], v[2:3], v[10:11] op_sel:[0,0,1] op_sel_hi:[1,1,0] neg_lo:[0,0,1] neg_hi:[0,0,1]
	v_pk_fma_f32 v[6:7], v[6:7], v[2:3], v[10:11] op_sel:[0,0,1] op_sel_hi:[1,0,0]
	v_mov_b32_e32 v13, v7
	v_pk_mul_f32 v[6:7], v[8:9], v[4:5] op_sel:[0,1]
	s_delay_alu instid0(VALU_DEP_2) | instskip(NEXT) | instid1(VALU_DEP_2)
	v_pk_add_f32 v[130:131], v[130:131], v[12:13] neg_lo:[0,1] neg_hi:[0,1]
	v_pk_fma_f32 v[10:11], v[8:9], v[2:3], v[6:7] op_sel:[0,0,1] op_sel_hi:[1,1,0] neg_lo:[0,0,1] neg_hi:[0,0,1]
	v_pk_fma_f32 v[6:7], v[8:9], v[2:3], v[6:7] op_sel:[0,0,1] op_sel_hi:[1,0,0]
	s_delay_alu instid0(VALU_DEP_1) | instskip(SKIP_4) | instid1(VALU_DEP_1)
	v_mov_b32_e32 v11, v7
	ds_load_2addr_b64 v[6:9], v154 offset0:30 offset1:31
	v_pk_add_f32 v[126:127], v[126:127], v[10:11] neg_lo:[0,1] neg_hi:[0,1]
	s_wait_dscnt 0x0
	v_pk_mul_f32 v[10:11], v[6:7], v[4:5] op_sel:[0,1]
	v_pk_fma_f32 v[12:13], v[6:7], v[2:3], v[10:11] op_sel:[0,0,1] op_sel_hi:[1,1,0] neg_lo:[0,0,1] neg_hi:[0,0,1]
	v_pk_fma_f32 v[6:7], v[6:7], v[2:3], v[10:11] op_sel:[0,0,1] op_sel_hi:[1,0,0]
	v_dual_mul_f32 v10, v9, v5 :: v_dual_mov_b32 v6, v9
	s_delay_alu instid0(VALU_DEP_2) | instskip(NEXT) | instid1(VALU_DEP_2)
	v_dual_mov_b32 v13, v7 :: v_dual_mov_b32 v7, v8
	v_pk_fma_f32 v[10:11], v[8:9], v[76:77], v[10:11] op_sel_hi:[1,1,0] neg_lo:[0,0,1] neg_hi:[0,0,1]
	v_mul_f32_e32 v8, v9, v2
	s_delay_alu instid0(VALU_DEP_3) | instskip(NEXT) | instid1(VALU_DEP_2)
	v_pk_add_f32 v[128:129], v[128:129], v[12:13] neg_lo:[0,1] neg_hi:[0,1]
	v_pk_fma_f32 v[6:7], v[6:7], v[76:77], v[8:9] op_sel_hi:[1,1,0]
	s_delay_alu instid0(VALU_DEP_1) | instskip(SKIP_4) | instid1(VALU_DEP_1)
	v_mov_b32_e32 v11, v7
	ds_load_2addr_b64 v[6:9], v154 offset0:32 offset1:33
	v_pk_add_f32 v[124:125], v[124:125], v[10:11] neg_lo:[0,1] neg_hi:[0,1]
	s_wait_dscnt 0x0
	v_pk_mul_f32 v[10:11], v[6:7], v[4:5] op_sel:[0,1]
	v_pk_fma_f32 v[12:13], v[6:7], v[2:3], v[10:11] op_sel:[0,0,1] op_sel_hi:[1,1,0] neg_lo:[0,0,1] neg_hi:[0,0,1]
	v_pk_fma_f32 v[6:7], v[6:7], v[2:3], v[10:11] op_sel:[0,0,1] op_sel_hi:[1,0,0]
	s_delay_alu instid0(VALU_DEP_1) | instskip(SKIP_1) | instid1(VALU_DEP_1)
	v_mov_b32_e32 v13, v7
	v_pk_mul_f32 v[6:7], v[8:9], v[4:5] op_sel:[0,1]
	v_pk_fma_f32 v[10:11], v[8:9], v[2:3], v[6:7] op_sel:[0,0,1] op_sel_hi:[1,1,0] neg_lo:[0,0,1] neg_hi:[0,0,1]
	v_pk_fma_f32 v[6:7], v[8:9], v[2:3], v[6:7] op_sel:[0,0,1] op_sel_hi:[1,0,0]
	s_delay_alu instid0(VALU_DEP_1)
	v_mov_b32_e32 v11, v7
	ds_load_2addr_b64 v[6:9], v154 offset0:34 offset1:35
	v_pk_add_f32 v[146:147], v[146:147], v[12:13] neg_lo:[0,1] neg_hi:[0,1]
	v_pk_add_f32 v[142:143], v[142:143], v[10:11] neg_lo:[0,1] neg_hi:[0,1]
	s_wait_dscnt 0x0
	v_pk_mul_f32 v[10:11], v[6:7], v[4:5] op_sel:[0,1]
	s_delay_alu instid0(VALU_DEP_1) | instskip(SKIP_1) | instid1(VALU_DEP_1)
	v_pk_fma_f32 v[12:13], v[6:7], v[2:3], v[10:11] op_sel:[0,0,1] op_sel_hi:[1,1,0] neg_lo:[0,0,1] neg_hi:[0,0,1]
	v_pk_fma_f32 v[6:7], v[6:7], v[2:3], v[10:11] op_sel:[0,0,1] op_sel_hi:[1,0,0]
	v_mov_b32_e32 v13, v7
	v_pk_mul_f32 v[6:7], v[8:9], v[4:5] op_sel:[0,1]
	s_delay_alu instid0(VALU_DEP_1) | instskip(SKIP_1) | instid1(VALU_DEP_1)
	v_pk_fma_f32 v[10:11], v[8:9], v[2:3], v[6:7] op_sel:[0,0,1] op_sel_hi:[1,1,0] neg_lo:[0,0,1] neg_hi:[0,0,1]
	v_pk_fma_f32 v[6:7], v[8:9], v[2:3], v[6:7] op_sel:[0,0,1] op_sel_hi:[1,0,0]
	v_mov_b32_e32 v11, v7
	ds_load_2addr_b64 v[6:9], v154 offset0:36 offset1:37
	v_pk_add_f32 v[144:145], v[144:145], v[12:13] neg_lo:[0,1] neg_hi:[0,1]
	v_pk_add_f32 v[140:141], v[140:141], v[10:11] neg_lo:[0,1] neg_hi:[0,1]
	s_wait_dscnt 0x0
	v_dual_mul_f32 v10, v7, v5 :: v_dual_mul_f32 v12, v7, v2
	s_delay_alu instid0(VALU_DEP_1) | instskip(NEXT) | instid1(VALU_DEP_2)
	v_pk_fma_f32 v[10:11], v[6:7], v[76:77], v[10:11] op_sel_hi:[1,1,0] neg_lo:[0,0,1] neg_hi:[0,0,1]
	v_pk_fma_f32 v[6:7], v[6:7], v[76:77], v[12:13] op_sel:[1,0,0] op_sel_hi:[0,1,0]
	s_delay_alu instid0(VALU_DEP_1) | instskip(SKIP_1) | instid1(VALU_DEP_2)
	v_mov_b32_e32 v11, v7
	v_pk_mul_f32 v[6:7], v[8:9], v[4:5] op_sel:[0,1]
	v_pk_add_f32 v[162:163], v[162:163], v[10:11] neg_lo:[0,1] neg_hi:[0,1]
	s_delay_alu instid0(VALU_DEP_2) | instskip(SKIP_1) | instid1(VALU_DEP_1)
	v_pk_fma_f32 v[10:11], v[8:9], v[2:3], v[6:7] op_sel:[0,0,1] op_sel_hi:[1,1,0] neg_lo:[0,0,1] neg_hi:[0,0,1]
	v_pk_fma_f32 v[6:7], v[8:9], v[2:3], v[6:7] op_sel:[0,0,1] op_sel_hi:[1,0,0]
	v_mov_b32_e32 v11, v7
	ds_load_2addr_b64 v[6:9], v154 offset0:38 offset1:39
	v_pk_add_f32 v[158:159], v[158:159], v[10:11] neg_lo:[0,1] neg_hi:[0,1]
	s_wait_dscnt 0x0
	v_pk_mul_f32 v[10:11], v[6:7], v[4:5] op_sel:[0,1]
	s_delay_alu instid0(VALU_DEP_1) | instskip(SKIP_1) | instid1(VALU_DEP_1)
	v_pk_fma_f32 v[12:13], v[6:7], v[2:3], v[10:11] op_sel:[0,0,1] op_sel_hi:[1,1,0] neg_lo:[0,0,1] neg_hi:[0,0,1]
	v_pk_fma_f32 v[6:7], v[6:7], v[2:3], v[10:11] op_sel:[0,0,1] op_sel_hi:[1,0,0]
	v_mov_b32_e32 v13, v7
	v_pk_mul_f32 v[6:7], v[8:9], v[4:5] op_sel:[0,1]
	s_delay_alu instid0(VALU_DEP_2) | instskip(NEXT) | instid1(VALU_DEP_2)
	v_pk_add_f32 v[160:161], v[160:161], v[12:13] neg_lo:[0,1] neg_hi:[0,1]
	v_pk_fma_f32 v[10:11], v[8:9], v[2:3], v[6:7] op_sel:[0,0,1] op_sel_hi:[1,1,0] neg_lo:[0,0,1] neg_hi:[0,0,1]
	v_pk_fma_f32 v[6:7], v[8:9], v[2:3], v[6:7] op_sel:[0,0,1] op_sel_hi:[1,0,0]
	s_delay_alu instid0(VALU_DEP_1) | instskip(SKIP_4) | instid1(VALU_DEP_1)
	v_mov_b32_e32 v11, v7
	ds_load_2addr_b64 v[6:9], v154 offset0:40 offset1:41
	v_pk_add_f32 v[156:157], v[156:157], v[10:11] neg_lo:[0,1] neg_hi:[0,1]
	s_wait_dscnt 0x0
	v_pk_mul_f32 v[10:11], v[6:7], v[4:5] op_sel:[0,1]
	v_pk_fma_f32 v[12:13], v[6:7], v[2:3], v[10:11] op_sel:[0,0,1] op_sel_hi:[1,1,0] neg_lo:[0,0,1] neg_hi:[0,0,1]
	v_pk_fma_f32 v[6:7], v[6:7], v[2:3], v[10:11] op_sel:[0,0,1] op_sel_hi:[1,0,0]
	v_dual_mul_f32 v10, v9, v5 :: v_dual_mov_b32 v6, v9
	s_delay_alu instid0(VALU_DEP_2) | instskip(NEXT) | instid1(VALU_DEP_2)
	v_dual_mov_b32 v13, v7 :: v_dual_mov_b32 v7, v8
	v_pk_fma_f32 v[10:11], v[8:9], v[76:77], v[10:11] op_sel_hi:[1,1,0] neg_lo:[0,0,1] neg_hi:[0,0,1]
	v_mul_f32_e32 v8, v9, v2
	s_delay_alu instid0(VALU_DEP_3) | instskip(NEXT) | instid1(VALU_DEP_2)
	v_pk_add_f32 v[178:179], v[178:179], v[12:13] neg_lo:[0,1] neg_hi:[0,1]
	v_pk_fma_f32 v[6:7], v[6:7], v[76:77], v[8:9] op_sel_hi:[1,1,0]
	s_delay_alu instid0(VALU_DEP_1) | instskip(SKIP_4) | instid1(VALU_DEP_1)
	v_mov_b32_e32 v11, v7
	ds_load_2addr_b64 v[6:9], v154 offset0:42 offset1:43
	v_pk_add_f32 v[174:175], v[174:175], v[10:11] neg_lo:[0,1] neg_hi:[0,1]
	s_wait_dscnt 0x0
	v_pk_mul_f32 v[10:11], v[6:7], v[4:5] op_sel:[0,1]
	v_pk_fma_f32 v[12:13], v[6:7], v[2:3], v[10:11] op_sel:[0,0,1] op_sel_hi:[1,1,0] neg_lo:[0,0,1] neg_hi:[0,0,1]
	v_pk_fma_f32 v[6:7], v[6:7], v[2:3], v[10:11] op_sel:[0,0,1] op_sel_hi:[1,0,0]
	s_delay_alu instid0(VALU_DEP_1) | instskip(SKIP_1) | instid1(VALU_DEP_1)
	v_mov_b32_e32 v13, v7
	v_pk_mul_f32 v[6:7], v[8:9], v[4:5] op_sel:[0,1]
	v_pk_fma_f32 v[10:11], v[8:9], v[2:3], v[6:7] op_sel:[0,0,1] op_sel_hi:[1,1,0] neg_lo:[0,0,1] neg_hi:[0,0,1]
	v_pk_fma_f32 v[6:7], v[8:9], v[2:3], v[6:7] op_sel:[0,0,1] op_sel_hi:[1,0,0]
	s_delay_alu instid0(VALU_DEP_1)
	v_mov_b32_e32 v11, v7
	ds_load_2addr_b64 v[6:9], v154 offset0:44 offset1:45
	v_pk_add_f32 v[176:177], v[176:177], v[12:13] neg_lo:[0,1] neg_hi:[0,1]
	v_pk_add_f32 v[172:173], v[172:173], v[10:11] neg_lo:[0,1] neg_hi:[0,1]
	s_wait_dscnt 0x0
	v_pk_mul_f32 v[10:11], v[6:7], v[4:5] op_sel:[0,1]
	s_delay_alu instid0(VALU_DEP_1) | instskip(SKIP_1) | instid1(VALU_DEP_1)
	v_pk_fma_f32 v[12:13], v[6:7], v[2:3], v[10:11] op_sel:[0,0,1] op_sel_hi:[1,1,0] neg_lo:[0,0,1] neg_hi:[0,0,1]
	v_pk_fma_f32 v[6:7], v[6:7], v[2:3], v[10:11] op_sel:[0,0,1] op_sel_hi:[1,0,0]
	v_mov_b32_e32 v13, v7
	v_pk_mul_f32 v[6:7], v[8:9], v[4:5] op_sel:[0,1]
	s_delay_alu instid0(VALU_DEP_1) | instskip(SKIP_1) | instid1(VALU_DEP_1)
	v_pk_fma_f32 v[10:11], v[8:9], v[2:3], v[6:7] op_sel:[0,0,1] op_sel_hi:[1,1,0] neg_lo:[0,0,1] neg_hi:[0,0,1]
	v_pk_fma_f32 v[6:7], v[8:9], v[2:3], v[6:7] op_sel:[0,0,1] op_sel_hi:[1,0,0]
	v_mov_b32_e32 v11, v7
	ds_load_2addr_b64 v[6:9], v154 offset0:46 offset1:47
	v_pk_add_f32 v[196:197], v[196:197], v[12:13] neg_lo:[0,1] neg_hi:[0,1]
	v_pk_add_f32 v[192:193], v[192:193], v[10:11] neg_lo:[0,1] neg_hi:[0,1]
	s_wait_dscnt 0x0
	v_dual_mul_f32 v10, v7, v5 :: v_dual_mul_f32 v12, v7, v2
	s_delay_alu instid0(VALU_DEP_1) | instskip(NEXT) | instid1(VALU_DEP_2)
	v_pk_fma_f32 v[10:11], v[6:7], v[76:77], v[10:11] op_sel_hi:[1,1,0] neg_lo:[0,0,1] neg_hi:[0,0,1]
	v_pk_fma_f32 v[6:7], v[6:7], v[76:77], v[12:13] op_sel:[1,0,0] op_sel_hi:[0,1,0]
	s_delay_alu instid0(VALU_DEP_1) | instskip(SKIP_1) | instid1(VALU_DEP_2)
	v_mov_b32_e32 v11, v7
	v_pk_mul_f32 v[6:7], v[8:9], v[4:5] op_sel:[0,1]
	v_pk_add_f32 v[194:195], v[194:195], v[10:11] neg_lo:[0,1] neg_hi:[0,1]
	s_delay_alu instid0(VALU_DEP_2) | instskip(SKIP_1) | instid1(VALU_DEP_1)
	v_pk_fma_f32 v[10:11], v[8:9], v[2:3], v[6:7] op_sel:[0,0,1] op_sel_hi:[1,1,0] neg_lo:[0,0,1] neg_hi:[0,0,1]
	v_pk_fma_f32 v[6:7], v[8:9], v[2:3], v[6:7] op_sel:[0,0,1] op_sel_hi:[1,0,0]
	v_mov_b32_e32 v11, v7
	ds_load_2addr_b64 v[6:9], v154 offset0:48 offset1:49
	v_pk_add_f32 v[190:191], v[190:191], v[10:11] neg_lo:[0,1] neg_hi:[0,1]
	s_wait_dscnt 0x0
	v_pk_mul_f32 v[10:11], v[6:7], v[4:5] op_sel:[0,1]
	s_delay_alu instid0(VALU_DEP_1) | instskip(SKIP_1) | instid1(VALU_DEP_1)
	v_pk_fma_f32 v[12:13], v[6:7], v[2:3], v[10:11] op_sel:[0,0,1] op_sel_hi:[1,1,0] neg_lo:[0,0,1] neg_hi:[0,0,1]
	v_pk_fma_f32 v[6:7], v[6:7], v[2:3], v[10:11] op_sel:[0,0,1] op_sel_hi:[1,0,0]
	v_mov_b32_e32 v13, v7
	v_pk_mul_f32 v[6:7], v[8:9], v[4:5] op_sel:[0,1]
	s_delay_alu instid0(VALU_DEP_2) | instskip(NEXT) | instid1(VALU_DEP_2)
	v_pk_add_f32 v[216:217], v[216:217], v[12:13] neg_lo:[0,1] neg_hi:[0,1]
	v_pk_fma_f32 v[10:11], v[8:9], v[2:3], v[6:7] op_sel:[0,0,1] op_sel_hi:[1,1,0] neg_lo:[0,0,1] neg_hi:[0,0,1]
	v_pk_fma_f32 v[6:7], v[8:9], v[2:3], v[6:7] op_sel:[0,0,1] op_sel_hi:[1,0,0]
	s_delay_alu instid0(VALU_DEP_1) | instskip(SKIP_4) | instid1(VALU_DEP_1)
	v_mov_b32_e32 v11, v7
	ds_load_2addr_b64 v[6:9], v154 offset0:50 offset1:51
	v_pk_add_f32 v[210:211], v[210:211], v[10:11] neg_lo:[0,1] neg_hi:[0,1]
	s_wait_dscnt 0x0
	v_pk_mul_f32 v[10:11], v[6:7], v[4:5] op_sel:[0,1]
	v_pk_fma_f32 v[12:13], v[6:7], v[2:3], v[10:11] op_sel:[0,0,1] op_sel_hi:[1,1,0] neg_lo:[0,0,1] neg_hi:[0,0,1]
	v_pk_fma_f32 v[6:7], v[6:7], v[2:3], v[10:11] op_sel:[0,0,1] op_sel_hi:[1,0,0]
	v_dual_mul_f32 v10, v9, v5 :: v_dual_mov_b32 v6, v9
	s_delay_alu instid0(VALU_DEP_2) | instskip(NEXT) | instid1(VALU_DEP_2)
	v_dual_mov_b32 v13, v7 :: v_dual_mov_b32 v7, v8
	v_pk_fma_f32 v[10:11], v[8:9], v[76:77], v[10:11] op_sel_hi:[1,1,0] neg_lo:[0,0,1] neg_hi:[0,0,1]
	v_mul_f32_e32 v8, v9, v2
	s_delay_alu instid0(VALU_DEP_3) | instskip(NEXT) | instid1(VALU_DEP_2)
	v_pk_add_f32 v[214:215], v[214:215], v[12:13] neg_lo:[0,1] neg_hi:[0,1]
	v_pk_fma_f32 v[6:7], v[6:7], v[76:77], v[8:9] op_sel_hi:[1,1,0]
	s_delay_alu instid0(VALU_DEP_1) | instskip(SKIP_4) | instid1(VALU_DEP_1)
	v_mov_b32_e32 v11, v7
	ds_load_2addr_b64 v[6:9], v154 offset0:52 offset1:53
	v_pk_add_f32 v[208:209], v[208:209], v[10:11] neg_lo:[0,1] neg_hi:[0,1]
	s_wait_dscnt 0x0
	v_pk_mul_f32 v[10:11], v[6:7], v[4:5] op_sel:[0,1]
	v_pk_fma_f32 v[12:13], v[6:7], v[2:3], v[10:11] op_sel:[0,0,1] op_sel_hi:[1,1,0] neg_lo:[0,0,1] neg_hi:[0,0,1]
	v_pk_fma_f32 v[6:7], v[6:7], v[2:3], v[10:11] op_sel:[0,0,1] op_sel_hi:[1,0,0]
	s_delay_alu instid0(VALU_DEP_1) | instskip(SKIP_1) | instid1(VALU_DEP_1)
	v_mov_b32_e32 v13, v7
	v_pk_mul_f32 v[6:7], v[8:9], v[4:5] op_sel:[0,1]
	v_pk_fma_f32 v[10:11], v[8:9], v[2:3], v[6:7] op_sel:[0,0,1] op_sel_hi:[1,1,0] neg_lo:[0,0,1] neg_hi:[0,0,1]
	v_pk_fma_f32 v[6:7], v[8:9], v[2:3], v[6:7] op_sel:[0,0,1] op_sel_hi:[1,0,0]
	s_delay_alu instid0(VALU_DEP_1)
	v_mov_b32_e32 v11, v7
	ds_load_b64 v[6:7], v154 offset:432
	v_pk_add_f32 v[212:213], v[212:213], v[12:13] neg_lo:[0,1] neg_hi:[0,1]
	v_pk_add_f32 v[218:219], v[218:219], v[10:11] neg_lo:[0,1] neg_hi:[0,1]
	s_wait_dscnt 0x0
	v_pk_mul_f32 v[4:5], v[6:7], v[4:5] op_sel:[0,1]
	s_delay_alu instid0(VALU_DEP_1) | instskip(SKIP_1) | instid1(VALU_DEP_1)
	v_pk_fma_f32 v[8:9], v[6:7], v[2:3], v[4:5] op_sel:[0,0,1] op_sel_hi:[1,1,0] neg_lo:[0,0,1] neg_hi:[0,0,1]
	v_pk_fma_f32 v[2:3], v[6:7], v[2:3], v[4:5] op_sel:[0,0,1] op_sel_hi:[1,0,0]
	v_mov_b32_e32 v9, v3
	s_delay_alu instid0(VALU_DEP_1)
	v_pk_add_f32 v[220:221], v[220:221], v[8:9] neg_lo:[0,1] neg_hi:[0,1]
.LBB109_163:
	s_wait_xcnt 0x0
	s_or_b32 exec_lo, exec_lo, s1
	s_delay_alu instid0(SALU_CYCLE_1)
	s_mov_b32 s2, exec_lo
	s_wait_storecnt 0x0
	s_barrier_signal -1
	s_barrier_wait -1
	v_cmpx_eq_u32_e32 18, v152
	s_cbranch_execz .LBB109_170
; %bb.164:
	ds_store_b64 v153, v[78:79]
	ds_store_2addr_b64 v154, v[74:75], v[96:97] offset0:19 offset1:20
	ds_store_2addr_b64 v154, v[92:93], v[94:95] offset0:21 offset1:22
	;; [unrolled: 1-line block ×18, first 2 shown]
	ds_load_b64 v[2:3], v153
	s_wait_dscnt 0x0
	v_cmp_neq_f32_e32 vcc_lo, 0, v2
	v_cmp_neq_f32_e64 s1, 0, v3
	s_or_b32 s1, vcc_lo, s1
	s_delay_alu instid0(SALU_CYCLE_1)
	s_and_b32 exec_lo, exec_lo, s1
	s_cbranch_execz .LBB109_170
; %bb.165:
	v_cmp_ngt_f32_e64 s1, |v2|, |v3|
                                        ; implicit-def: $vgpr4_vgpr5
	s_and_saveexec_b32 s4, s1
	s_delay_alu instid0(SALU_CYCLE_1)
	s_xor_b32 s1, exec_lo, s4
	s_cbranch_execz .LBB109_167
; %bb.166:
	v_div_scale_f32 v4, null, v3, v3, v2
	v_div_scale_f32 v7, vcc_lo, v2, v3, v2
	s_delay_alu instid0(VALU_DEP_2) | instskip(SKIP_1) | instid1(TRANS32_DEP_1)
	v_rcp_f32_e32 v5, v4
	v_nop
	v_fma_f32 v6, -v4, v5, 1.0
	s_delay_alu instid0(VALU_DEP_1) | instskip(NEXT) | instid1(VALU_DEP_1)
	v_fmac_f32_e32 v5, v6, v5
	v_mul_f32_e32 v6, v7, v5
	s_delay_alu instid0(VALU_DEP_1) | instskip(NEXT) | instid1(VALU_DEP_1)
	v_fma_f32 v8, -v4, v6, v7
	v_fmac_f32_e32 v6, v8, v5
	s_delay_alu instid0(VALU_DEP_1) | instskip(NEXT) | instid1(VALU_DEP_1)
	v_fma_f32 v4, -v4, v6, v7
	v_div_fmas_f32 v4, v4, v5, v6
	s_delay_alu instid0(VALU_DEP_1) | instskip(NEXT) | instid1(VALU_DEP_1)
	v_div_fixup_f32 v4, v4, v3, v2
	v_fmac_f32_e32 v3, v2, v4
	s_delay_alu instid0(VALU_DEP_1) | instskip(SKIP_1) | instid1(VALU_DEP_2)
	v_div_scale_f32 v2, null, v3, v3, 1.0
	v_div_scale_f32 v7, vcc_lo, 1.0, v3, 1.0
	v_rcp_f32_e32 v5, v2
	v_nop
	s_delay_alu instid0(TRANS32_DEP_1) | instskip(NEXT) | instid1(VALU_DEP_1)
	v_fma_f32 v6, -v2, v5, 1.0
	v_fmac_f32_e32 v5, v6, v5
	s_delay_alu instid0(VALU_DEP_1) | instskip(NEXT) | instid1(VALU_DEP_1)
	v_mul_f32_e32 v6, v7, v5
	v_fma_f32 v8, -v2, v6, v7
	s_delay_alu instid0(VALU_DEP_1) | instskip(NEXT) | instid1(VALU_DEP_1)
	v_fmac_f32_e32 v6, v8, v5
	v_fma_f32 v2, -v2, v6, v7
	s_delay_alu instid0(VALU_DEP_1) | instskip(NEXT) | instid1(VALU_DEP_1)
	v_div_fmas_f32 v2, v2, v5, v6
	v_div_fixup_f32 v2, v2, v3, 1.0
	s_delay_alu instid0(VALU_DEP_1)
	v_mul_f32_e32 v4, v4, v2
	v_xor_b32_e32 v5, 0x80000000, v2
                                        ; implicit-def: $vgpr2_vgpr3
.LBB109_167:
	s_and_not1_saveexec_b32 s1, s1
	s_cbranch_execz .LBB109_169
; %bb.168:
	v_div_scale_f32 v4, null, v2, v2, v3
	v_div_scale_f32 v7, vcc_lo, v3, v2, v3
	s_delay_alu instid0(VALU_DEP_2) | instskip(SKIP_1) | instid1(TRANS32_DEP_1)
	v_rcp_f32_e32 v5, v4
	v_nop
	v_fma_f32 v6, -v4, v5, 1.0
	s_delay_alu instid0(VALU_DEP_1) | instskip(NEXT) | instid1(VALU_DEP_1)
	v_fmac_f32_e32 v5, v6, v5
	v_mul_f32_e32 v6, v7, v5
	s_delay_alu instid0(VALU_DEP_1) | instskip(NEXT) | instid1(VALU_DEP_1)
	v_fma_f32 v8, -v4, v6, v7
	v_fmac_f32_e32 v6, v8, v5
	s_delay_alu instid0(VALU_DEP_1) | instskip(NEXT) | instid1(VALU_DEP_1)
	v_fma_f32 v4, -v4, v6, v7
	v_div_fmas_f32 v4, v4, v5, v6
	s_delay_alu instid0(VALU_DEP_1) | instskip(NEXT) | instid1(VALU_DEP_1)
	v_div_fixup_f32 v5, v4, v2, v3
	v_fmac_f32_e32 v2, v3, v5
	s_delay_alu instid0(VALU_DEP_1) | instskip(NEXT) | instid1(VALU_DEP_1)
	v_div_scale_f32 v3, null, v2, v2, 1.0
	v_rcp_f32_e32 v4, v3
	v_nop
	s_delay_alu instid0(TRANS32_DEP_1) | instskip(NEXT) | instid1(VALU_DEP_1)
	v_fma_f32 v6, -v3, v4, 1.0
	v_fmac_f32_e32 v4, v6, v4
	v_div_scale_f32 v6, vcc_lo, 1.0, v2, 1.0
	s_delay_alu instid0(VALU_DEP_1) | instskip(NEXT) | instid1(VALU_DEP_1)
	v_mul_f32_e32 v7, v6, v4
	v_fma_f32 v8, -v3, v7, v6
	s_delay_alu instid0(VALU_DEP_1) | instskip(NEXT) | instid1(VALU_DEP_1)
	v_fmac_f32_e32 v7, v8, v4
	v_fma_f32 v3, -v3, v7, v6
	s_delay_alu instid0(VALU_DEP_1) | instskip(NEXT) | instid1(VALU_DEP_1)
	v_div_fmas_f32 v3, v3, v4, v7
	v_div_fixup_f32 v4, v3, v2, 1.0
	s_delay_alu instid0(VALU_DEP_1)
	v_mul_f32_e64 v5, v5, -v4
.LBB109_169:
	s_or_b32 exec_lo, exec_lo, s1
	ds_store_b64 v153, v[4:5]
.LBB109_170:
	s_or_b32 exec_lo, exec_lo, s2
	s_wait_dscnt 0x0
	s_barrier_signal -1
	s_barrier_wait -1
	ds_load_b64 v[2:3], v153
	s_mov_b32 s1, exec_lo
	v_cmpx_lt_u32_e32 18, v152
	s_cbranch_execz .LBB109_172
; %bb.171:
	ds_load_2addr_b64 v[8:11], v154 offset0:19 offset1:20
	s_wait_dscnt 0x1
	v_pk_mul_f32 v[6:7], v[2:3], v[78:79] op_sel:[1,1] op_sel_hi:[0,1]
	s_delay_alu instid0(VALU_DEP_1) | instskip(SKIP_1) | instid1(VALU_DEP_1)
	v_pk_fma_f32 v[4:5], v[2:3], v[78:79], v[6:7] op_sel_hi:[1,0,1] neg_lo:[0,0,1] neg_hi:[0,0,1]
	v_pk_fma_f32 v[6:7], v[2:3], v[78:79], v[6:7] op_sel_hi:[1,0,1]
	v_dual_mov_b32 v78, v4 :: v_dual_mov_b32 v79, v7
	s_wait_dscnt 0x0
	s_delay_alu instid0(VALU_DEP_2) | instskip(NEXT) | instid1(VALU_DEP_1)
	v_pk_mul_f32 v[12:13], v[8:9], v[6:7] op_sel:[0,1]
	v_pk_fma_f32 v[14:15], v[8:9], v[4:5], v[12:13] op_sel:[0,0,1] op_sel_hi:[1,1,0] neg_lo:[0,0,1] neg_hi:[0,0,1]
	v_pk_fma_f32 v[8:9], v[8:9], v[4:5], v[12:13] op_sel:[0,0,1] op_sel_hi:[1,0,0]
	s_delay_alu instid0(VALU_DEP_1) | instskip(SKIP_1) | instid1(VALU_DEP_1)
	v_mov_b32_e32 v15, v9
	v_pk_mul_f32 v[8:9], v[10:11], v[6:7] op_sel:[0,1]
	v_pk_fma_f32 v[12:13], v[10:11], v[4:5], v[8:9] op_sel:[0,0,1] op_sel_hi:[1,1,0] neg_lo:[0,0,1] neg_hi:[0,0,1]
	v_pk_fma_f32 v[8:9], v[10:11], v[4:5], v[8:9] op_sel:[0,0,1] op_sel_hi:[1,0,0]
	s_delay_alu instid0(VALU_DEP_1)
	v_mov_b32_e32 v13, v9
	ds_load_2addr_b64 v[8:11], v154 offset0:21 offset1:22
	v_pk_add_f32 v[74:75], v[74:75], v[14:15] neg_lo:[0,1] neg_hi:[0,1]
	v_pk_add_f32 v[96:97], v[96:97], v[12:13] neg_lo:[0,1] neg_hi:[0,1]
	s_wait_dscnt 0x0
	v_pk_mul_f32 v[12:13], v[8:9], v[6:7] op_sel:[0,1]
	s_delay_alu instid0(VALU_DEP_1) | instskip(SKIP_2) | instid1(VALU_DEP_2)
	v_pk_fma_f32 v[14:15], v[8:9], v[4:5], v[12:13] op_sel:[0,0,1] op_sel_hi:[1,1,0] neg_lo:[0,0,1] neg_hi:[0,0,1]
	v_pk_fma_f32 v[8:9], v[8:9], v[4:5], v[12:13] op_sel:[0,0,1] op_sel_hi:[1,0,0]
	v_dual_mul_f32 v12, v11, v7 :: v_dual_mov_b32 v8, v11
	v_dual_mov_b32 v15, v9 :: v_dual_mov_b32 v9, v10
	s_delay_alu instid0(VALU_DEP_2) | instskip(SKIP_1) | instid1(VALU_DEP_3)
	v_pk_fma_f32 v[12:13], v[10:11], v[78:79], v[12:13] op_sel_hi:[1,1,0] neg_lo:[0,0,1] neg_hi:[0,0,1]
	v_mul_f32_e32 v10, v11, v4
	v_pk_add_f32 v[92:93], v[92:93], v[14:15] neg_lo:[0,1] neg_hi:[0,1]
	s_delay_alu instid0(VALU_DEP_2) | instskip(NEXT) | instid1(VALU_DEP_1)
	v_pk_fma_f32 v[8:9], v[8:9], v[78:79], v[10:11] op_sel_hi:[1,1,0]
	v_mov_b32_e32 v13, v9
	ds_load_2addr_b64 v[8:11], v154 offset0:23 offset1:24
	v_pk_add_f32 v[94:95], v[94:95], v[12:13] neg_lo:[0,1] neg_hi:[0,1]
	s_wait_dscnt 0x0
	v_pk_mul_f32 v[12:13], v[8:9], v[6:7] op_sel:[0,1]
	s_delay_alu instid0(VALU_DEP_1) | instskip(SKIP_1) | instid1(VALU_DEP_1)
	v_pk_fma_f32 v[14:15], v[8:9], v[4:5], v[12:13] op_sel:[0,0,1] op_sel_hi:[1,1,0] neg_lo:[0,0,1] neg_hi:[0,0,1]
	v_pk_fma_f32 v[8:9], v[8:9], v[4:5], v[12:13] op_sel:[0,0,1] op_sel_hi:[1,0,0]
	v_mov_b32_e32 v15, v9
	v_pk_mul_f32 v[8:9], v[10:11], v[6:7] op_sel:[0,1]
	s_delay_alu instid0(VALU_DEP_1) | instskip(SKIP_1) | instid1(VALU_DEP_1)
	v_pk_fma_f32 v[12:13], v[10:11], v[4:5], v[8:9] op_sel:[0,0,1] op_sel_hi:[1,1,0] neg_lo:[0,0,1] neg_hi:[0,0,1]
	v_pk_fma_f32 v[8:9], v[10:11], v[4:5], v[8:9] op_sel:[0,0,1] op_sel_hi:[1,0,0]
	v_mov_b32_e32 v13, v9
	ds_load_2addr_b64 v[8:11], v154 offset0:25 offset1:26
	v_pk_add_f32 v[90:91], v[90:91], v[14:15] neg_lo:[0,1] neg_hi:[0,1]
	v_pk_add_f32 v[114:115], v[114:115], v[12:13] neg_lo:[0,1] neg_hi:[0,1]
	s_wait_dscnt 0x0
	v_pk_mul_f32 v[12:13], v[8:9], v[6:7] op_sel:[0,1]
	s_delay_alu instid0(VALU_DEP_1) | instskip(SKIP_1) | instid1(VALU_DEP_1)
	v_pk_fma_f32 v[14:15], v[8:9], v[4:5], v[12:13] op_sel:[0,0,1] op_sel_hi:[1,1,0] neg_lo:[0,0,1] neg_hi:[0,0,1]
	v_pk_fma_f32 v[8:9], v[8:9], v[4:5], v[12:13] op_sel:[0,0,1] op_sel_hi:[1,0,0]
	v_mov_b32_e32 v15, v9
	v_pk_mul_f32 v[8:9], v[10:11], v[6:7] op_sel:[0,1]
	s_delay_alu instid0(VALU_DEP_1) | instskip(SKIP_1) | instid1(VALU_DEP_1)
	v_pk_fma_f32 v[12:13], v[10:11], v[4:5], v[8:9] op_sel:[0,0,1] op_sel_hi:[1,1,0] neg_lo:[0,0,1] neg_hi:[0,0,1]
	v_pk_fma_f32 v[8:9], v[10:11], v[4:5], v[8:9] op_sel:[0,0,1] op_sel_hi:[1,0,0]
	v_mov_b32_e32 v13, v9
	ds_load_2addr_b64 v[8:11], v154 offset0:27 offset1:28
	v_pk_add_f32 v[110:111], v[110:111], v[14:15] neg_lo:[0,1] neg_hi:[0,1]
	v_pk_add_f32 v[112:113], v[112:113], v[12:13] neg_lo:[0,1] neg_hi:[0,1]
	s_wait_dscnt 0x0
	v_dual_mul_f32 v12, v9, v7 :: v_dual_mul_f32 v14, v9, v4
	s_delay_alu instid0(VALU_DEP_1) | instskip(NEXT) | instid1(VALU_DEP_2)
	v_pk_fma_f32 v[12:13], v[8:9], v[78:79], v[12:13] op_sel_hi:[1,1,0] neg_lo:[0,0,1] neg_hi:[0,0,1]
	v_pk_fma_f32 v[8:9], v[8:9], v[78:79], v[14:15] op_sel:[1,0,0] op_sel_hi:[0,1,0]
	s_delay_alu instid0(VALU_DEP_1) | instskip(SKIP_1) | instid1(VALU_DEP_2)
	v_mov_b32_e32 v13, v9
	v_pk_mul_f32 v[8:9], v[10:11], v[6:7] op_sel:[0,1]
	v_pk_add_f32 v[108:109], v[108:109], v[12:13] neg_lo:[0,1] neg_hi:[0,1]
	s_delay_alu instid0(VALU_DEP_2) | instskip(SKIP_1) | instid1(VALU_DEP_1)
	v_pk_fma_f32 v[12:13], v[10:11], v[4:5], v[8:9] op_sel:[0,0,1] op_sel_hi:[1,1,0] neg_lo:[0,0,1] neg_hi:[0,0,1]
	v_pk_fma_f32 v[8:9], v[10:11], v[4:5], v[8:9] op_sel:[0,0,1] op_sel_hi:[1,0,0]
	v_mov_b32_e32 v13, v9
	ds_load_2addr_b64 v[8:11], v154 offset0:29 offset1:30
	v_pk_add_f32 v[130:131], v[130:131], v[12:13] neg_lo:[0,1] neg_hi:[0,1]
	s_wait_dscnt 0x0
	v_pk_mul_f32 v[12:13], v[8:9], v[6:7] op_sel:[0,1]
	s_delay_alu instid0(VALU_DEP_1) | instskip(SKIP_1) | instid1(VALU_DEP_1)
	v_pk_fma_f32 v[14:15], v[8:9], v[4:5], v[12:13] op_sel:[0,0,1] op_sel_hi:[1,1,0] neg_lo:[0,0,1] neg_hi:[0,0,1]
	v_pk_fma_f32 v[8:9], v[8:9], v[4:5], v[12:13] op_sel:[0,0,1] op_sel_hi:[1,0,0]
	v_mov_b32_e32 v15, v9
	v_pk_mul_f32 v[8:9], v[10:11], v[6:7] op_sel:[0,1]
	s_delay_alu instid0(VALU_DEP_2) | instskip(NEXT) | instid1(VALU_DEP_2)
	v_pk_add_f32 v[126:127], v[126:127], v[14:15] neg_lo:[0,1] neg_hi:[0,1]
	v_pk_fma_f32 v[12:13], v[10:11], v[4:5], v[8:9] op_sel:[0,0,1] op_sel_hi:[1,1,0] neg_lo:[0,0,1] neg_hi:[0,0,1]
	v_pk_fma_f32 v[8:9], v[10:11], v[4:5], v[8:9] op_sel:[0,0,1] op_sel_hi:[1,0,0]
	s_delay_alu instid0(VALU_DEP_1) | instskip(SKIP_4) | instid1(VALU_DEP_1)
	v_mov_b32_e32 v13, v9
	ds_load_2addr_b64 v[8:11], v154 offset0:31 offset1:32
	v_pk_add_f32 v[128:129], v[128:129], v[12:13] neg_lo:[0,1] neg_hi:[0,1]
	s_wait_dscnt 0x0
	v_pk_mul_f32 v[12:13], v[8:9], v[6:7] op_sel:[0,1]
	v_pk_fma_f32 v[14:15], v[8:9], v[4:5], v[12:13] op_sel:[0,0,1] op_sel_hi:[1,1,0] neg_lo:[0,0,1] neg_hi:[0,0,1]
	v_pk_fma_f32 v[8:9], v[8:9], v[4:5], v[12:13] op_sel:[0,0,1] op_sel_hi:[1,0,0]
	v_dual_mul_f32 v12, v11, v7 :: v_dual_mov_b32 v8, v11
	s_delay_alu instid0(VALU_DEP_2) | instskip(NEXT) | instid1(VALU_DEP_2)
	v_dual_mov_b32 v15, v9 :: v_dual_mov_b32 v9, v10
	v_pk_fma_f32 v[12:13], v[10:11], v[78:79], v[12:13] op_sel_hi:[1,1,0] neg_lo:[0,0,1] neg_hi:[0,0,1]
	v_mul_f32_e32 v10, v11, v4
	s_delay_alu instid0(VALU_DEP_3) | instskip(NEXT) | instid1(VALU_DEP_2)
	v_pk_add_f32 v[124:125], v[124:125], v[14:15] neg_lo:[0,1] neg_hi:[0,1]
	v_pk_fma_f32 v[8:9], v[8:9], v[78:79], v[10:11] op_sel_hi:[1,1,0]
	s_delay_alu instid0(VALU_DEP_1) | instskip(SKIP_4) | instid1(VALU_DEP_1)
	v_mov_b32_e32 v13, v9
	ds_load_2addr_b64 v[8:11], v154 offset0:33 offset1:34
	v_pk_add_f32 v[146:147], v[146:147], v[12:13] neg_lo:[0,1] neg_hi:[0,1]
	s_wait_dscnt 0x0
	v_pk_mul_f32 v[12:13], v[8:9], v[6:7] op_sel:[0,1]
	v_pk_fma_f32 v[14:15], v[8:9], v[4:5], v[12:13] op_sel:[0,0,1] op_sel_hi:[1,1,0] neg_lo:[0,0,1] neg_hi:[0,0,1]
	v_pk_fma_f32 v[8:9], v[8:9], v[4:5], v[12:13] op_sel:[0,0,1] op_sel_hi:[1,0,0]
	s_delay_alu instid0(VALU_DEP_1) | instskip(SKIP_1) | instid1(VALU_DEP_1)
	v_mov_b32_e32 v15, v9
	v_pk_mul_f32 v[8:9], v[10:11], v[6:7] op_sel:[0,1]
	v_pk_fma_f32 v[12:13], v[10:11], v[4:5], v[8:9] op_sel:[0,0,1] op_sel_hi:[1,1,0] neg_lo:[0,0,1] neg_hi:[0,0,1]
	v_pk_fma_f32 v[8:9], v[10:11], v[4:5], v[8:9] op_sel:[0,0,1] op_sel_hi:[1,0,0]
	s_delay_alu instid0(VALU_DEP_1)
	v_mov_b32_e32 v13, v9
	ds_load_2addr_b64 v[8:11], v154 offset0:35 offset1:36
	v_pk_add_f32 v[142:143], v[142:143], v[14:15] neg_lo:[0,1] neg_hi:[0,1]
	v_pk_add_f32 v[144:145], v[144:145], v[12:13] neg_lo:[0,1] neg_hi:[0,1]
	s_wait_dscnt 0x0
	v_pk_mul_f32 v[12:13], v[8:9], v[6:7] op_sel:[0,1]
	s_delay_alu instid0(VALU_DEP_1) | instskip(SKIP_1) | instid1(VALU_DEP_1)
	v_pk_fma_f32 v[14:15], v[8:9], v[4:5], v[12:13] op_sel:[0,0,1] op_sel_hi:[1,1,0] neg_lo:[0,0,1] neg_hi:[0,0,1]
	v_pk_fma_f32 v[8:9], v[8:9], v[4:5], v[12:13] op_sel:[0,0,1] op_sel_hi:[1,0,0]
	v_mov_b32_e32 v15, v9
	v_pk_mul_f32 v[8:9], v[10:11], v[6:7] op_sel:[0,1]
	s_delay_alu instid0(VALU_DEP_1) | instskip(SKIP_1) | instid1(VALU_DEP_1)
	v_pk_fma_f32 v[12:13], v[10:11], v[4:5], v[8:9] op_sel:[0,0,1] op_sel_hi:[1,1,0] neg_lo:[0,0,1] neg_hi:[0,0,1]
	v_pk_fma_f32 v[8:9], v[10:11], v[4:5], v[8:9] op_sel:[0,0,1] op_sel_hi:[1,0,0]
	v_mov_b32_e32 v13, v9
	ds_load_2addr_b64 v[8:11], v154 offset0:37 offset1:38
	v_pk_add_f32 v[140:141], v[140:141], v[14:15] neg_lo:[0,1] neg_hi:[0,1]
	v_pk_add_f32 v[162:163], v[162:163], v[12:13] neg_lo:[0,1] neg_hi:[0,1]
	s_wait_dscnt 0x0
	v_dual_mul_f32 v12, v9, v7 :: v_dual_mul_f32 v14, v9, v4
	s_delay_alu instid0(VALU_DEP_1) | instskip(NEXT) | instid1(VALU_DEP_2)
	v_pk_fma_f32 v[12:13], v[8:9], v[78:79], v[12:13] op_sel_hi:[1,1,0] neg_lo:[0,0,1] neg_hi:[0,0,1]
	v_pk_fma_f32 v[8:9], v[8:9], v[78:79], v[14:15] op_sel:[1,0,0] op_sel_hi:[0,1,0]
	s_delay_alu instid0(VALU_DEP_1) | instskip(SKIP_1) | instid1(VALU_DEP_2)
	v_mov_b32_e32 v13, v9
	v_pk_mul_f32 v[8:9], v[10:11], v[6:7] op_sel:[0,1]
	v_pk_add_f32 v[158:159], v[158:159], v[12:13] neg_lo:[0,1] neg_hi:[0,1]
	s_delay_alu instid0(VALU_DEP_2) | instskip(SKIP_1) | instid1(VALU_DEP_1)
	v_pk_fma_f32 v[12:13], v[10:11], v[4:5], v[8:9] op_sel:[0,0,1] op_sel_hi:[1,1,0] neg_lo:[0,0,1] neg_hi:[0,0,1]
	v_pk_fma_f32 v[8:9], v[10:11], v[4:5], v[8:9] op_sel:[0,0,1] op_sel_hi:[1,0,0]
	v_mov_b32_e32 v13, v9
	ds_load_2addr_b64 v[8:11], v154 offset0:39 offset1:40
	v_pk_add_f32 v[160:161], v[160:161], v[12:13] neg_lo:[0,1] neg_hi:[0,1]
	s_wait_dscnt 0x0
	v_pk_mul_f32 v[12:13], v[8:9], v[6:7] op_sel:[0,1]
	s_delay_alu instid0(VALU_DEP_1) | instskip(SKIP_1) | instid1(VALU_DEP_1)
	v_pk_fma_f32 v[14:15], v[8:9], v[4:5], v[12:13] op_sel:[0,0,1] op_sel_hi:[1,1,0] neg_lo:[0,0,1] neg_hi:[0,0,1]
	v_pk_fma_f32 v[8:9], v[8:9], v[4:5], v[12:13] op_sel:[0,0,1] op_sel_hi:[1,0,0]
	v_mov_b32_e32 v15, v9
	v_pk_mul_f32 v[8:9], v[10:11], v[6:7] op_sel:[0,1]
	s_delay_alu instid0(VALU_DEP_2) | instskip(NEXT) | instid1(VALU_DEP_2)
	v_pk_add_f32 v[156:157], v[156:157], v[14:15] neg_lo:[0,1] neg_hi:[0,1]
	v_pk_fma_f32 v[12:13], v[10:11], v[4:5], v[8:9] op_sel:[0,0,1] op_sel_hi:[1,1,0] neg_lo:[0,0,1] neg_hi:[0,0,1]
	v_pk_fma_f32 v[8:9], v[10:11], v[4:5], v[8:9] op_sel:[0,0,1] op_sel_hi:[1,0,0]
	s_delay_alu instid0(VALU_DEP_1) | instskip(SKIP_4) | instid1(VALU_DEP_1)
	v_mov_b32_e32 v13, v9
	ds_load_2addr_b64 v[8:11], v154 offset0:41 offset1:42
	v_pk_add_f32 v[178:179], v[178:179], v[12:13] neg_lo:[0,1] neg_hi:[0,1]
	s_wait_dscnt 0x0
	v_pk_mul_f32 v[12:13], v[8:9], v[6:7] op_sel:[0,1]
	v_pk_fma_f32 v[14:15], v[8:9], v[4:5], v[12:13] op_sel:[0,0,1] op_sel_hi:[1,1,0] neg_lo:[0,0,1] neg_hi:[0,0,1]
	v_pk_fma_f32 v[8:9], v[8:9], v[4:5], v[12:13] op_sel:[0,0,1] op_sel_hi:[1,0,0]
	v_dual_mul_f32 v12, v11, v7 :: v_dual_mov_b32 v8, v11
	s_delay_alu instid0(VALU_DEP_2) | instskip(NEXT) | instid1(VALU_DEP_2)
	v_dual_mov_b32 v15, v9 :: v_dual_mov_b32 v9, v10
	v_pk_fma_f32 v[12:13], v[10:11], v[78:79], v[12:13] op_sel_hi:[1,1,0] neg_lo:[0,0,1] neg_hi:[0,0,1]
	v_mul_f32_e32 v10, v11, v4
	s_delay_alu instid0(VALU_DEP_3) | instskip(NEXT) | instid1(VALU_DEP_2)
	v_pk_add_f32 v[174:175], v[174:175], v[14:15] neg_lo:[0,1] neg_hi:[0,1]
	v_pk_fma_f32 v[8:9], v[8:9], v[78:79], v[10:11] op_sel_hi:[1,1,0]
	s_delay_alu instid0(VALU_DEP_1) | instskip(SKIP_4) | instid1(VALU_DEP_1)
	v_mov_b32_e32 v13, v9
	ds_load_2addr_b64 v[8:11], v154 offset0:43 offset1:44
	v_pk_add_f32 v[176:177], v[176:177], v[12:13] neg_lo:[0,1] neg_hi:[0,1]
	s_wait_dscnt 0x0
	v_pk_mul_f32 v[12:13], v[8:9], v[6:7] op_sel:[0,1]
	v_pk_fma_f32 v[14:15], v[8:9], v[4:5], v[12:13] op_sel:[0,0,1] op_sel_hi:[1,1,0] neg_lo:[0,0,1] neg_hi:[0,0,1]
	v_pk_fma_f32 v[8:9], v[8:9], v[4:5], v[12:13] op_sel:[0,0,1] op_sel_hi:[1,0,0]
	s_delay_alu instid0(VALU_DEP_1) | instskip(SKIP_1) | instid1(VALU_DEP_1)
	v_mov_b32_e32 v15, v9
	v_pk_mul_f32 v[8:9], v[10:11], v[6:7] op_sel:[0,1]
	v_pk_fma_f32 v[12:13], v[10:11], v[4:5], v[8:9] op_sel:[0,0,1] op_sel_hi:[1,1,0] neg_lo:[0,0,1] neg_hi:[0,0,1]
	v_pk_fma_f32 v[8:9], v[10:11], v[4:5], v[8:9] op_sel:[0,0,1] op_sel_hi:[1,0,0]
	s_delay_alu instid0(VALU_DEP_1)
	v_mov_b32_e32 v13, v9
	ds_load_2addr_b64 v[8:11], v154 offset0:45 offset1:46
	v_pk_add_f32 v[172:173], v[172:173], v[14:15] neg_lo:[0,1] neg_hi:[0,1]
	v_pk_add_f32 v[196:197], v[196:197], v[12:13] neg_lo:[0,1] neg_hi:[0,1]
	s_wait_dscnt 0x0
	v_pk_mul_f32 v[12:13], v[8:9], v[6:7] op_sel:[0,1]
	s_delay_alu instid0(VALU_DEP_1) | instskip(SKIP_1) | instid1(VALU_DEP_1)
	v_pk_fma_f32 v[14:15], v[8:9], v[4:5], v[12:13] op_sel:[0,0,1] op_sel_hi:[1,1,0] neg_lo:[0,0,1] neg_hi:[0,0,1]
	v_pk_fma_f32 v[8:9], v[8:9], v[4:5], v[12:13] op_sel:[0,0,1] op_sel_hi:[1,0,0]
	v_mov_b32_e32 v15, v9
	v_pk_mul_f32 v[8:9], v[10:11], v[6:7] op_sel:[0,1]
	s_delay_alu instid0(VALU_DEP_1) | instskip(SKIP_1) | instid1(VALU_DEP_1)
	v_pk_fma_f32 v[12:13], v[10:11], v[4:5], v[8:9] op_sel:[0,0,1] op_sel_hi:[1,1,0] neg_lo:[0,0,1] neg_hi:[0,0,1]
	v_pk_fma_f32 v[8:9], v[10:11], v[4:5], v[8:9] op_sel:[0,0,1] op_sel_hi:[1,0,0]
	v_mov_b32_e32 v13, v9
	ds_load_2addr_b64 v[8:11], v154 offset0:47 offset1:48
	v_pk_add_f32 v[192:193], v[192:193], v[14:15] neg_lo:[0,1] neg_hi:[0,1]
	v_pk_add_f32 v[194:195], v[194:195], v[12:13] neg_lo:[0,1] neg_hi:[0,1]
	s_wait_dscnt 0x0
	v_dual_mul_f32 v12, v9, v7 :: v_dual_mul_f32 v14, v9, v4
	s_delay_alu instid0(VALU_DEP_1) | instskip(NEXT) | instid1(VALU_DEP_2)
	v_pk_fma_f32 v[12:13], v[8:9], v[78:79], v[12:13] op_sel_hi:[1,1,0] neg_lo:[0,0,1] neg_hi:[0,0,1]
	v_pk_fma_f32 v[8:9], v[8:9], v[78:79], v[14:15] op_sel:[1,0,0] op_sel_hi:[0,1,0]
	s_delay_alu instid0(VALU_DEP_1) | instskip(SKIP_1) | instid1(VALU_DEP_2)
	v_mov_b32_e32 v13, v9
	v_pk_mul_f32 v[8:9], v[10:11], v[6:7] op_sel:[0,1]
	v_pk_add_f32 v[190:191], v[190:191], v[12:13] neg_lo:[0,1] neg_hi:[0,1]
	s_delay_alu instid0(VALU_DEP_2) | instskip(SKIP_1) | instid1(VALU_DEP_1)
	v_pk_fma_f32 v[12:13], v[10:11], v[4:5], v[8:9] op_sel:[0,0,1] op_sel_hi:[1,1,0] neg_lo:[0,0,1] neg_hi:[0,0,1]
	v_pk_fma_f32 v[8:9], v[10:11], v[4:5], v[8:9] op_sel:[0,0,1] op_sel_hi:[1,0,0]
	v_mov_b32_e32 v13, v9
	ds_load_2addr_b64 v[8:11], v154 offset0:49 offset1:50
	v_pk_add_f32 v[216:217], v[216:217], v[12:13] neg_lo:[0,1] neg_hi:[0,1]
	s_wait_dscnt 0x0
	v_pk_mul_f32 v[12:13], v[8:9], v[6:7] op_sel:[0,1]
	s_delay_alu instid0(VALU_DEP_1) | instskip(SKIP_1) | instid1(VALU_DEP_1)
	v_pk_fma_f32 v[14:15], v[8:9], v[4:5], v[12:13] op_sel:[0,0,1] op_sel_hi:[1,1,0] neg_lo:[0,0,1] neg_hi:[0,0,1]
	v_pk_fma_f32 v[8:9], v[8:9], v[4:5], v[12:13] op_sel:[0,0,1] op_sel_hi:[1,0,0]
	v_mov_b32_e32 v15, v9
	v_pk_mul_f32 v[8:9], v[10:11], v[6:7] op_sel:[0,1]
	s_delay_alu instid0(VALU_DEP_2) | instskip(NEXT) | instid1(VALU_DEP_2)
	v_pk_add_f32 v[210:211], v[210:211], v[14:15] neg_lo:[0,1] neg_hi:[0,1]
	v_pk_fma_f32 v[12:13], v[10:11], v[4:5], v[8:9] op_sel:[0,0,1] op_sel_hi:[1,1,0] neg_lo:[0,0,1] neg_hi:[0,0,1]
	v_pk_fma_f32 v[8:9], v[10:11], v[4:5], v[8:9] op_sel:[0,0,1] op_sel_hi:[1,0,0]
	s_delay_alu instid0(VALU_DEP_1) | instskip(SKIP_4) | instid1(VALU_DEP_1)
	v_mov_b32_e32 v13, v9
	ds_load_2addr_b64 v[8:11], v154 offset0:51 offset1:52
	v_pk_add_f32 v[214:215], v[214:215], v[12:13] neg_lo:[0,1] neg_hi:[0,1]
	s_wait_dscnt 0x0
	v_pk_mul_f32 v[12:13], v[8:9], v[6:7] op_sel:[0,1]
	v_pk_fma_f32 v[14:15], v[8:9], v[4:5], v[12:13] op_sel:[0,0,1] op_sel_hi:[1,1,0] neg_lo:[0,0,1] neg_hi:[0,0,1]
	v_pk_fma_f32 v[8:9], v[8:9], v[4:5], v[12:13] op_sel:[0,0,1] op_sel_hi:[1,0,0]
	v_dual_mul_f32 v12, v11, v7 :: v_dual_mov_b32 v8, v11
	s_delay_alu instid0(VALU_DEP_2) | instskip(NEXT) | instid1(VALU_DEP_2)
	v_dual_mov_b32 v15, v9 :: v_dual_mov_b32 v9, v10
	v_pk_fma_f32 v[12:13], v[10:11], v[78:79], v[12:13] op_sel_hi:[1,1,0] neg_lo:[0,0,1] neg_hi:[0,0,1]
	v_mul_f32_e32 v10, v11, v4
	s_delay_alu instid0(VALU_DEP_3) | instskip(NEXT) | instid1(VALU_DEP_2)
	v_pk_add_f32 v[208:209], v[208:209], v[14:15] neg_lo:[0,1] neg_hi:[0,1]
	v_pk_fma_f32 v[8:9], v[8:9], v[78:79], v[10:11] op_sel_hi:[1,1,0]
	s_delay_alu instid0(VALU_DEP_1)
	v_mov_b32_e32 v13, v9
	ds_load_2addr_b64 v[8:11], v154 offset0:53 offset1:54
	v_pk_add_f32 v[212:213], v[212:213], v[12:13] neg_lo:[0,1] neg_hi:[0,1]
	s_wait_dscnt 0x0
	v_pk_mul_f32 v[12:13], v[8:9], v[6:7] op_sel:[0,1]
	v_mul_f32_e32 v6, v11, v7
	s_delay_alu instid0(VALU_DEP_2) | instskip(SKIP_2) | instid1(VALU_DEP_4)
	v_pk_fma_f32 v[14:15], v[8:9], v[4:5], v[12:13] op_sel:[0,0,1] op_sel_hi:[1,1,0] neg_lo:[0,0,1] neg_hi:[0,0,1]
	v_pk_fma_f32 v[8:9], v[8:9], v[4:5], v[12:13] op_sel:[0,0,1] op_sel_hi:[1,0,0]
	v_dual_mov_b32 v8, v11 :: v_dual_mul_f32 v4, v11, v4
	v_pk_fma_f32 v[6:7], v[10:11], v[78:79], v[6:7] op_sel_hi:[1,1,0] neg_lo:[0,0,1] neg_hi:[0,0,1]
	s_delay_alu instid0(VALU_DEP_3) | instskip(NEXT) | instid1(VALU_DEP_1)
	v_dual_mov_b32 v15, v9 :: v_dual_mov_b32 v9, v10
	v_pk_add_f32 v[218:219], v[218:219], v[14:15] neg_lo:[0,1] neg_hi:[0,1]
	s_delay_alu instid0(VALU_DEP_2) | instskip(NEXT) | instid1(VALU_DEP_1)
	v_pk_fma_f32 v[4:5], v[8:9], v[78:79], v[4:5] op_sel_hi:[1,1,0]
	v_mov_b32_e32 v7, v5
	s_delay_alu instid0(VALU_DEP_1)
	v_pk_add_f32 v[220:221], v[220:221], v[6:7] neg_lo:[0,1] neg_hi:[0,1]
.LBB109_172:
	s_or_b32 exec_lo, exec_lo, s1
	s_delay_alu instid0(SALU_CYCLE_1)
	s_mov_b32 s2, exec_lo
	s_wait_dscnt 0x0
	s_barrier_signal -1
	s_barrier_wait -1
	v_cmpx_eq_u32_e32 19, v152
	s_cbranch_execz .LBB109_179
; %bb.173:
	v_dual_mov_b32 v4, v96 :: v_dual_mov_b32 v5, v97
	v_dual_mov_b32 v6, v92 :: v_dual_mov_b32 v7, v93
	ds_store_b64 v153, v[74:75]
	ds_store_2addr_b64 v154, v[4:5], v[6:7] offset0:20 offset1:21
	v_dual_mov_b32 v4, v94 :: v_dual_mov_b32 v5, v95
	v_dual_mov_b32 v6, v90 :: v_dual_mov_b32 v7, v91
	ds_store_2addr_b64 v154, v[4:5], v[6:7] offset0:22 offset1:23
	v_dual_mov_b32 v4, v114 :: v_dual_mov_b32 v5, v115
	v_dual_mov_b32 v6, v110 :: v_dual_mov_b32 v7, v111
	ds_store_2addr_b64 v154, v[4:5], v[6:7] offset0:24 offset1:25
	v_dual_mov_b32 v4, v112 :: v_dual_mov_b32 v5, v113
	v_dual_mov_b32 v6, v108 :: v_dual_mov_b32 v7, v109
	ds_store_2addr_b64 v154, v[4:5], v[6:7] offset0:26 offset1:27
	v_dual_mov_b32 v4, v130 :: v_dual_mov_b32 v5, v131
	v_dual_mov_b32 v6, v126 :: v_dual_mov_b32 v7, v127
	ds_store_2addr_b64 v154, v[4:5], v[6:7] offset0:28 offset1:29
	v_dual_mov_b32 v4, v128 :: v_dual_mov_b32 v5, v129
	v_dual_mov_b32 v6, v124 :: v_dual_mov_b32 v7, v125
	ds_store_2addr_b64 v154, v[4:5], v[6:7] offset0:30 offset1:31
	v_dual_mov_b32 v4, v146 :: v_dual_mov_b32 v5, v147
	v_dual_mov_b32 v6, v142 :: v_dual_mov_b32 v7, v143
	ds_store_2addr_b64 v154, v[4:5], v[6:7] offset0:32 offset1:33
	v_dual_mov_b32 v4, v144 :: v_dual_mov_b32 v5, v145
	v_dual_mov_b32 v6, v140 :: v_dual_mov_b32 v7, v141
	ds_store_2addr_b64 v154, v[4:5], v[6:7] offset0:34 offset1:35
	v_dual_mov_b32 v4, v162 :: v_dual_mov_b32 v5, v163
	v_dual_mov_b32 v6, v158 :: v_dual_mov_b32 v7, v159
	ds_store_2addr_b64 v154, v[4:5], v[6:7] offset0:36 offset1:37
	v_dual_mov_b32 v4, v160 :: v_dual_mov_b32 v5, v161
	v_dual_mov_b32 v6, v156 :: v_dual_mov_b32 v7, v157
	ds_store_2addr_b64 v154, v[4:5], v[6:7] offset0:38 offset1:39
	v_dual_mov_b32 v4, v178 :: v_dual_mov_b32 v5, v179
	v_dual_mov_b32 v6, v174 :: v_dual_mov_b32 v7, v175
	ds_store_2addr_b64 v154, v[4:5], v[6:7] offset0:40 offset1:41
	v_dual_mov_b32 v4, v176 :: v_dual_mov_b32 v5, v177
	v_dual_mov_b32 v6, v172 :: v_dual_mov_b32 v7, v173
	ds_store_2addr_b64 v154, v[4:5], v[6:7] offset0:42 offset1:43
	v_dual_mov_b32 v4, v196 :: v_dual_mov_b32 v5, v197
	v_dual_mov_b32 v6, v192 :: v_dual_mov_b32 v7, v193
	ds_store_2addr_b64 v154, v[4:5], v[6:7] offset0:44 offset1:45
	v_dual_mov_b32 v4, v194 :: v_dual_mov_b32 v5, v195
	v_dual_mov_b32 v6, v190 :: v_dual_mov_b32 v7, v191
	ds_store_2addr_b64 v154, v[4:5], v[6:7] offset0:46 offset1:47
	v_dual_mov_b32 v4, v216 :: v_dual_mov_b32 v5, v217
	v_dual_mov_b32 v6, v210 :: v_dual_mov_b32 v7, v211
	ds_store_2addr_b64 v154, v[4:5], v[6:7] offset0:48 offset1:49
	v_dual_mov_b32 v4, v214 :: v_dual_mov_b32 v5, v215
	v_dual_mov_b32 v6, v208 :: v_dual_mov_b32 v7, v209
	ds_store_2addr_b64 v154, v[4:5], v[6:7] offset0:50 offset1:51
	v_dual_mov_b32 v4, v212 :: v_dual_mov_b32 v5, v213
	v_dual_mov_b32 v6, v218 :: v_dual_mov_b32 v7, v219
	ds_store_2addr_b64 v154, v[4:5], v[6:7] offset0:52 offset1:53
	ds_store_b64 v154, v[220:221] offset:432
	ds_load_b64 v[4:5], v153
	s_wait_dscnt 0x0
	v_cmp_neq_f32_e32 vcc_lo, 0, v4
	v_cmp_neq_f32_e64 s1, 0, v5
	s_or_b32 s1, vcc_lo, s1
	s_delay_alu instid0(SALU_CYCLE_1)
	s_and_b32 exec_lo, exec_lo, s1
	s_cbranch_execz .LBB109_179
; %bb.174:
	v_cmp_ngt_f32_e64 s1, |v4|, |v5|
                                        ; implicit-def: $vgpr6_vgpr7
	s_and_saveexec_b32 s4, s1
	s_delay_alu instid0(SALU_CYCLE_1)
	s_xor_b32 s1, exec_lo, s4
	s_cbranch_execz .LBB109_176
; %bb.175:
	v_div_scale_f32 v6, null, v5, v5, v4
	v_div_scale_f32 v9, vcc_lo, v4, v5, v4
	s_delay_alu instid0(VALU_DEP_2) | instskip(SKIP_1) | instid1(TRANS32_DEP_1)
	v_rcp_f32_e32 v7, v6
	v_nop
	v_fma_f32 v8, -v6, v7, 1.0
	s_delay_alu instid0(VALU_DEP_1) | instskip(NEXT) | instid1(VALU_DEP_1)
	v_fmac_f32_e32 v7, v8, v7
	v_mul_f32_e32 v8, v9, v7
	s_delay_alu instid0(VALU_DEP_1) | instskip(NEXT) | instid1(VALU_DEP_1)
	v_fma_f32 v10, -v6, v8, v9
	v_fmac_f32_e32 v8, v10, v7
	s_delay_alu instid0(VALU_DEP_1) | instskip(NEXT) | instid1(VALU_DEP_1)
	v_fma_f32 v6, -v6, v8, v9
	v_div_fmas_f32 v6, v6, v7, v8
	s_delay_alu instid0(VALU_DEP_1) | instskip(NEXT) | instid1(VALU_DEP_1)
	v_div_fixup_f32 v6, v6, v5, v4
	v_fmac_f32_e32 v5, v4, v6
	s_delay_alu instid0(VALU_DEP_1) | instskip(SKIP_1) | instid1(VALU_DEP_2)
	v_div_scale_f32 v4, null, v5, v5, 1.0
	v_div_scale_f32 v9, vcc_lo, 1.0, v5, 1.0
	v_rcp_f32_e32 v7, v4
	v_nop
	s_delay_alu instid0(TRANS32_DEP_1) | instskip(NEXT) | instid1(VALU_DEP_1)
	v_fma_f32 v8, -v4, v7, 1.0
	v_fmac_f32_e32 v7, v8, v7
	s_delay_alu instid0(VALU_DEP_1) | instskip(NEXT) | instid1(VALU_DEP_1)
	v_mul_f32_e32 v8, v9, v7
	v_fma_f32 v10, -v4, v8, v9
	s_delay_alu instid0(VALU_DEP_1) | instskip(NEXT) | instid1(VALU_DEP_1)
	v_fmac_f32_e32 v8, v10, v7
	v_fma_f32 v4, -v4, v8, v9
	s_delay_alu instid0(VALU_DEP_1) | instskip(NEXT) | instid1(VALU_DEP_1)
	v_div_fmas_f32 v4, v4, v7, v8
	v_div_fixup_f32 v4, v4, v5, 1.0
	s_delay_alu instid0(VALU_DEP_1)
	v_mul_f32_e32 v6, v6, v4
	v_xor_b32_e32 v7, 0x80000000, v4
                                        ; implicit-def: $vgpr4_vgpr5
.LBB109_176:
	s_and_not1_saveexec_b32 s1, s1
	s_cbranch_execz .LBB109_178
; %bb.177:
	v_div_scale_f32 v6, null, v4, v4, v5
	v_div_scale_f32 v9, vcc_lo, v5, v4, v5
	s_delay_alu instid0(VALU_DEP_2) | instskip(SKIP_1) | instid1(TRANS32_DEP_1)
	v_rcp_f32_e32 v7, v6
	v_nop
	v_fma_f32 v8, -v6, v7, 1.0
	s_delay_alu instid0(VALU_DEP_1) | instskip(NEXT) | instid1(VALU_DEP_1)
	v_fmac_f32_e32 v7, v8, v7
	v_mul_f32_e32 v8, v9, v7
	s_delay_alu instid0(VALU_DEP_1) | instskip(NEXT) | instid1(VALU_DEP_1)
	v_fma_f32 v10, -v6, v8, v9
	v_fmac_f32_e32 v8, v10, v7
	s_delay_alu instid0(VALU_DEP_1) | instskip(NEXT) | instid1(VALU_DEP_1)
	v_fma_f32 v6, -v6, v8, v9
	v_div_fmas_f32 v6, v6, v7, v8
	s_delay_alu instid0(VALU_DEP_1) | instskip(NEXT) | instid1(VALU_DEP_1)
	v_div_fixup_f32 v7, v6, v4, v5
	v_fmac_f32_e32 v4, v5, v7
	s_delay_alu instid0(VALU_DEP_1) | instskip(NEXT) | instid1(VALU_DEP_1)
	v_div_scale_f32 v5, null, v4, v4, 1.0
	v_rcp_f32_e32 v6, v5
	v_nop
	s_delay_alu instid0(TRANS32_DEP_1) | instskip(NEXT) | instid1(VALU_DEP_1)
	v_fma_f32 v8, -v5, v6, 1.0
	v_fmac_f32_e32 v6, v8, v6
	v_div_scale_f32 v8, vcc_lo, 1.0, v4, 1.0
	s_delay_alu instid0(VALU_DEP_1) | instskip(NEXT) | instid1(VALU_DEP_1)
	v_mul_f32_e32 v9, v8, v6
	v_fma_f32 v10, -v5, v9, v8
	s_delay_alu instid0(VALU_DEP_1) | instskip(NEXT) | instid1(VALU_DEP_1)
	v_fmac_f32_e32 v9, v10, v6
	v_fma_f32 v5, -v5, v9, v8
	s_delay_alu instid0(VALU_DEP_1) | instskip(NEXT) | instid1(VALU_DEP_1)
	v_div_fmas_f32 v5, v5, v6, v9
	v_div_fixup_f32 v6, v5, v4, 1.0
	s_delay_alu instid0(VALU_DEP_1)
	v_mul_f32_e64 v7, v7, -v6
.LBB109_178:
	s_or_b32 exec_lo, exec_lo, s1
	ds_store_b64 v153, v[6:7]
.LBB109_179:
	s_or_b32 exec_lo, exec_lo, s2
	s_wait_dscnt 0x0
	s_barrier_signal -1
	s_barrier_wait -1
	ds_load_b64 v[4:5], v153
	s_mov_b32 s1, exec_lo
	v_cmpx_lt_u32_e32 19, v152
	s_cbranch_execz .LBB109_181
; %bb.180:
	ds_load_2addr_b64 v[10:13], v154 offset0:20 offset1:21
	s_wait_dscnt 0x1
	v_pk_mul_f32 v[8:9], v[4:5], v[74:75] op_sel:[1,1] op_sel_hi:[0,1]
	s_delay_alu instid0(VALU_DEP_1) | instskip(SKIP_1) | instid1(VALU_DEP_1)
	v_pk_fma_f32 v[6:7], v[4:5], v[74:75], v[8:9] op_sel_hi:[1,0,1] neg_lo:[0,0,1] neg_hi:[0,0,1]
	v_pk_fma_f32 v[8:9], v[4:5], v[74:75], v[8:9] op_sel_hi:[1,0,1]
	v_dual_mov_b32 v74, v6 :: v_dual_mov_b32 v75, v9
	s_wait_dscnt 0x0
	s_delay_alu instid0(VALU_DEP_2) | instskip(NEXT) | instid1(VALU_DEP_1)
	v_pk_mul_f32 v[14:15], v[10:11], v[8:9] op_sel:[0,1]
	v_pk_fma_f32 v[18:19], v[10:11], v[6:7], v[14:15] op_sel:[0,0,1] op_sel_hi:[1,1,0] neg_lo:[0,0,1] neg_hi:[0,0,1]
	v_pk_fma_f32 v[10:11], v[10:11], v[6:7], v[14:15] op_sel:[0,0,1] op_sel_hi:[1,0,0]
	s_delay_alu instid0(VALU_DEP_1) | instskip(SKIP_1) | instid1(VALU_DEP_1)
	v_mov_b32_e32 v19, v11
	v_pk_mul_f32 v[10:11], v[12:13], v[8:9] op_sel:[0,1]
	v_pk_fma_f32 v[14:15], v[12:13], v[6:7], v[10:11] op_sel:[0,0,1] op_sel_hi:[1,1,0] neg_lo:[0,0,1] neg_hi:[0,0,1]
	v_pk_fma_f32 v[10:11], v[12:13], v[6:7], v[10:11] op_sel:[0,0,1] op_sel_hi:[1,0,0]
	s_delay_alu instid0(VALU_DEP_1)
	v_mov_b32_e32 v15, v11
	ds_load_2addr_b64 v[10:13], v154 offset0:22 offset1:23
	v_pk_add_f32 v[96:97], v[96:97], v[18:19] neg_lo:[0,1] neg_hi:[0,1]
	v_pk_add_f32 v[92:93], v[92:93], v[14:15] neg_lo:[0,1] neg_hi:[0,1]
	s_wait_dscnt 0x0
	v_pk_mul_f32 v[14:15], v[10:11], v[8:9] op_sel:[0,1]
	s_delay_alu instid0(VALU_DEP_1) | instskip(SKIP_2) | instid1(VALU_DEP_2)
	v_pk_fma_f32 v[18:19], v[10:11], v[6:7], v[14:15] op_sel:[0,0,1] op_sel_hi:[1,1,0] neg_lo:[0,0,1] neg_hi:[0,0,1]
	v_pk_fma_f32 v[10:11], v[10:11], v[6:7], v[14:15] op_sel:[0,0,1] op_sel_hi:[1,0,0]
	v_dual_mul_f32 v14, v13, v9 :: v_dual_mov_b32 v10, v13
	v_dual_mov_b32 v19, v11 :: v_dual_mov_b32 v11, v12
	s_delay_alu instid0(VALU_DEP_2) | instskip(SKIP_1) | instid1(VALU_DEP_3)
	v_pk_fma_f32 v[14:15], v[12:13], v[74:75], v[14:15] op_sel_hi:[1,1,0] neg_lo:[0,0,1] neg_hi:[0,0,1]
	v_mul_f32_e32 v12, v13, v6
	v_pk_add_f32 v[94:95], v[94:95], v[18:19] neg_lo:[0,1] neg_hi:[0,1]
	s_delay_alu instid0(VALU_DEP_2) | instskip(NEXT) | instid1(VALU_DEP_1)
	v_pk_fma_f32 v[10:11], v[10:11], v[74:75], v[12:13] op_sel_hi:[1,1,0]
	v_mov_b32_e32 v15, v11
	ds_load_2addr_b64 v[10:13], v154 offset0:24 offset1:25
	v_pk_add_f32 v[90:91], v[90:91], v[14:15] neg_lo:[0,1] neg_hi:[0,1]
	s_wait_dscnt 0x0
	v_pk_mul_f32 v[14:15], v[10:11], v[8:9] op_sel:[0,1]
	s_delay_alu instid0(VALU_DEP_1) | instskip(SKIP_1) | instid1(VALU_DEP_1)
	v_pk_fma_f32 v[18:19], v[10:11], v[6:7], v[14:15] op_sel:[0,0,1] op_sel_hi:[1,1,0] neg_lo:[0,0,1] neg_hi:[0,0,1]
	v_pk_fma_f32 v[10:11], v[10:11], v[6:7], v[14:15] op_sel:[0,0,1] op_sel_hi:[1,0,0]
	v_mov_b32_e32 v19, v11
	v_pk_mul_f32 v[10:11], v[12:13], v[8:9] op_sel:[0,1]
	s_delay_alu instid0(VALU_DEP_1) | instskip(SKIP_1) | instid1(VALU_DEP_1)
	v_pk_fma_f32 v[14:15], v[12:13], v[6:7], v[10:11] op_sel:[0,0,1] op_sel_hi:[1,1,0] neg_lo:[0,0,1] neg_hi:[0,0,1]
	v_pk_fma_f32 v[10:11], v[12:13], v[6:7], v[10:11] op_sel:[0,0,1] op_sel_hi:[1,0,0]
	v_mov_b32_e32 v15, v11
	ds_load_2addr_b64 v[10:13], v154 offset0:26 offset1:27
	v_pk_add_f32 v[114:115], v[114:115], v[18:19] neg_lo:[0,1] neg_hi:[0,1]
	v_pk_add_f32 v[110:111], v[110:111], v[14:15] neg_lo:[0,1] neg_hi:[0,1]
	s_wait_dscnt 0x0
	v_pk_mul_f32 v[14:15], v[10:11], v[8:9] op_sel:[0,1]
	s_delay_alu instid0(VALU_DEP_1) | instskip(SKIP_1) | instid1(VALU_DEP_1)
	v_pk_fma_f32 v[18:19], v[10:11], v[6:7], v[14:15] op_sel:[0,0,1] op_sel_hi:[1,1,0] neg_lo:[0,0,1] neg_hi:[0,0,1]
	v_pk_fma_f32 v[10:11], v[10:11], v[6:7], v[14:15] op_sel:[0,0,1] op_sel_hi:[1,0,0]
	v_mov_b32_e32 v19, v11
	v_pk_mul_f32 v[10:11], v[12:13], v[8:9] op_sel:[0,1]
	s_delay_alu instid0(VALU_DEP_1) | instskip(SKIP_1) | instid1(VALU_DEP_1)
	v_pk_fma_f32 v[14:15], v[12:13], v[6:7], v[10:11] op_sel:[0,0,1] op_sel_hi:[1,1,0] neg_lo:[0,0,1] neg_hi:[0,0,1]
	v_pk_fma_f32 v[10:11], v[12:13], v[6:7], v[10:11] op_sel:[0,0,1] op_sel_hi:[1,0,0]
	v_mov_b32_e32 v15, v11
	ds_load_2addr_b64 v[10:13], v154 offset0:28 offset1:29
	v_pk_add_f32 v[112:113], v[112:113], v[18:19] neg_lo:[0,1] neg_hi:[0,1]
	v_pk_add_f32 v[108:109], v[108:109], v[14:15] neg_lo:[0,1] neg_hi:[0,1]
	s_wait_dscnt 0x0
	v_dual_mul_f32 v14, v11, v9 :: v_dual_mul_f32 v18, v11, v6
	s_delay_alu instid0(VALU_DEP_1) | instskip(NEXT) | instid1(VALU_DEP_2)
	v_pk_fma_f32 v[14:15], v[10:11], v[74:75], v[14:15] op_sel_hi:[1,1,0] neg_lo:[0,0,1] neg_hi:[0,0,1]
	v_pk_fma_f32 v[10:11], v[10:11], v[74:75], v[18:19] op_sel:[1,0,0] op_sel_hi:[0,1,0]
	s_delay_alu instid0(VALU_DEP_1) | instskip(SKIP_1) | instid1(VALU_DEP_2)
	v_mov_b32_e32 v15, v11
	v_pk_mul_f32 v[10:11], v[12:13], v[8:9] op_sel:[0,1]
	v_pk_add_f32 v[130:131], v[130:131], v[14:15] neg_lo:[0,1] neg_hi:[0,1]
	s_delay_alu instid0(VALU_DEP_2) | instskip(SKIP_1) | instid1(VALU_DEP_1)
	v_pk_fma_f32 v[14:15], v[12:13], v[6:7], v[10:11] op_sel:[0,0,1] op_sel_hi:[1,1,0] neg_lo:[0,0,1] neg_hi:[0,0,1]
	v_pk_fma_f32 v[10:11], v[12:13], v[6:7], v[10:11] op_sel:[0,0,1] op_sel_hi:[1,0,0]
	v_mov_b32_e32 v15, v11
	ds_load_2addr_b64 v[10:13], v154 offset0:30 offset1:31
	v_pk_add_f32 v[126:127], v[126:127], v[14:15] neg_lo:[0,1] neg_hi:[0,1]
	s_wait_dscnt 0x0
	v_pk_mul_f32 v[14:15], v[10:11], v[8:9] op_sel:[0,1]
	s_delay_alu instid0(VALU_DEP_1) | instskip(SKIP_1) | instid1(VALU_DEP_1)
	v_pk_fma_f32 v[18:19], v[10:11], v[6:7], v[14:15] op_sel:[0,0,1] op_sel_hi:[1,1,0] neg_lo:[0,0,1] neg_hi:[0,0,1]
	v_pk_fma_f32 v[10:11], v[10:11], v[6:7], v[14:15] op_sel:[0,0,1] op_sel_hi:[1,0,0]
	v_mov_b32_e32 v19, v11
	v_pk_mul_f32 v[10:11], v[12:13], v[8:9] op_sel:[0,1]
	s_delay_alu instid0(VALU_DEP_2) | instskip(NEXT) | instid1(VALU_DEP_2)
	v_pk_add_f32 v[128:129], v[128:129], v[18:19] neg_lo:[0,1] neg_hi:[0,1]
	v_pk_fma_f32 v[14:15], v[12:13], v[6:7], v[10:11] op_sel:[0,0,1] op_sel_hi:[1,1,0] neg_lo:[0,0,1] neg_hi:[0,0,1]
	v_pk_fma_f32 v[10:11], v[12:13], v[6:7], v[10:11] op_sel:[0,0,1] op_sel_hi:[1,0,0]
	s_delay_alu instid0(VALU_DEP_1) | instskip(SKIP_4) | instid1(VALU_DEP_1)
	v_mov_b32_e32 v15, v11
	ds_load_2addr_b64 v[10:13], v154 offset0:32 offset1:33
	v_pk_add_f32 v[124:125], v[124:125], v[14:15] neg_lo:[0,1] neg_hi:[0,1]
	s_wait_dscnt 0x0
	v_pk_mul_f32 v[14:15], v[10:11], v[8:9] op_sel:[0,1]
	v_pk_fma_f32 v[18:19], v[10:11], v[6:7], v[14:15] op_sel:[0,0,1] op_sel_hi:[1,1,0] neg_lo:[0,0,1] neg_hi:[0,0,1]
	v_pk_fma_f32 v[10:11], v[10:11], v[6:7], v[14:15] op_sel:[0,0,1] op_sel_hi:[1,0,0]
	v_dual_mul_f32 v14, v13, v9 :: v_dual_mov_b32 v10, v13
	s_delay_alu instid0(VALU_DEP_2) | instskip(NEXT) | instid1(VALU_DEP_2)
	v_dual_mov_b32 v19, v11 :: v_dual_mov_b32 v11, v12
	v_pk_fma_f32 v[14:15], v[12:13], v[74:75], v[14:15] op_sel_hi:[1,1,0] neg_lo:[0,0,1] neg_hi:[0,0,1]
	v_mul_f32_e32 v12, v13, v6
	s_delay_alu instid0(VALU_DEP_3) | instskip(NEXT) | instid1(VALU_DEP_2)
	v_pk_add_f32 v[146:147], v[146:147], v[18:19] neg_lo:[0,1] neg_hi:[0,1]
	v_pk_fma_f32 v[10:11], v[10:11], v[74:75], v[12:13] op_sel_hi:[1,1,0]
	s_delay_alu instid0(VALU_DEP_1) | instskip(SKIP_4) | instid1(VALU_DEP_1)
	v_mov_b32_e32 v15, v11
	ds_load_2addr_b64 v[10:13], v154 offset0:34 offset1:35
	v_pk_add_f32 v[142:143], v[142:143], v[14:15] neg_lo:[0,1] neg_hi:[0,1]
	s_wait_dscnt 0x0
	v_pk_mul_f32 v[14:15], v[10:11], v[8:9] op_sel:[0,1]
	v_pk_fma_f32 v[18:19], v[10:11], v[6:7], v[14:15] op_sel:[0,0,1] op_sel_hi:[1,1,0] neg_lo:[0,0,1] neg_hi:[0,0,1]
	v_pk_fma_f32 v[10:11], v[10:11], v[6:7], v[14:15] op_sel:[0,0,1] op_sel_hi:[1,0,0]
	s_delay_alu instid0(VALU_DEP_1) | instskip(SKIP_1) | instid1(VALU_DEP_1)
	v_mov_b32_e32 v19, v11
	v_pk_mul_f32 v[10:11], v[12:13], v[8:9] op_sel:[0,1]
	v_pk_fma_f32 v[14:15], v[12:13], v[6:7], v[10:11] op_sel:[0,0,1] op_sel_hi:[1,1,0] neg_lo:[0,0,1] neg_hi:[0,0,1]
	v_pk_fma_f32 v[10:11], v[12:13], v[6:7], v[10:11] op_sel:[0,0,1] op_sel_hi:[1,0,0]
	s_delay_alu instid0(VALU_DEP_1)
	v_mov_b32_e32 v15, v11
	ds_load_2addr_b64 v[10:13], v154 offset0:36 offset1:37
	v_pk_add_f32 v[144:145], v[144:145], v[18:19] neg_lo:[0,1] neg_hi:[0,1]
	v_pk_add_f32 v[140:141], v[140:141], v[14:15] neg_lo:[0,1] neg_hi:[0,1]
	s_wait_dscnt 0x0
	v_pk_mul_f32 v[14:15], v[10:11], v[8:9] op_sel:[0,1]
	s_delay_alu instid0(VALU_DEP_1) | instskip(SKIP_1) | instid1(VALU_DEP_1)
	v_pk_fma_f32 v[18:19], v[10:11], v[6:7], v[14:15] op_sel:[0,0,1] op_sel_hi:[1,1,0] neg_lo:[0,0,1] neg_hi:[0,0,1]
	v_pk_fma_f32 v[10:11], v[10:11], v[6:7], v[14:15] op_sel:[0,0,1] op_sel_hi:[1,0,0]
	v_mov_b32_e32 v19, v11
	v_pk_mul_f32 v[10:11], v[12:13], v[8:9] op_sel:[0,1]
	s_delay_alu instid0(VALU_DEP_1) | instskip(SKIP_1) | instid1(VALU_DEP_1)
	v_pk_fma_f32 v[14:15], v[12:13], v[6:7], v[10:11] op_sel:[0,0,1] op_sel_hi:[1,1,0] neg_lo:[0,0,1] neg_hi:[0,0,1]
	v_pk_fma_f32 v[10:11], v[12:13], v[6:7], v[10:11] op_sel:[0,0,1] op_sel_hi:[1,0,0]
	v_mov_b32_e32 v15, v11
	ds_load_2addr_b64 v[10:13], v154 offset0:38 offset1:39
	v_pk_add_f32 v[162:163], v[162:163], v[18:19] neg_lo:[0,1] neg_hi:[0,1]
	v_pk_add_f32 v[158:159], v[158:159], v[14:15] neg_lo:[0,1] neg_hi:[0,1]
	s_wait_dscnt 0x0
	v_dual_mul_f32 v14, v11, v9 :: v_dual_mul_f32 v18, v11, v6
	s_delay_alu instid0(VALU_DEP_1) | instskip(NEXT) | instid1(VALU_DEP_2)
	v_pk_fma_f32 v[14:15], v[10:11], v[74:75], v[14:15] op_sel_hi:[1,1,0] neg_lo:[0,0,1] neg_hi:[0,0,1]
	v_pk_fma_f32 v[10:11], v[10:11], v[74:75], v[18:19] op_sel:[1,0,0] op_sel_hi:[0,1,0]
	s_delay_alu instid0(VALU_DEP_1) | instskip(SKIP_1) | instid1(VALU_DEP_2)
	v_mov_b32_e32 v15, v11
	v_pk_mul_f32 v[10:11], v[12:13], v[8:9] op_sel:[0,1]
	v_pk_add_f32 v[160:161], v[160:161], v[14:15] neg_lo:[0,1] neg_hi:[0,1]
	s_delay_alu instid0(VALU_DEP_2) | instskip(SKIP_1) | instid1(VALU_DEP_1)
	v_pk_fma_f32 v[14:15], v[12:13], v[6:7], v[10:11] op_sel:[0,0,1] op_sel_hi:[1,1,0] neg_lo:[0,0,1] neg_hi:[0,0,1]
	v_pk_fma_f32 v[10:11], v[12:13], v[6:7], v[10:11] op_sel:[0,0,1] op_sel_hi:[1,0,0]
	v_mov_b32_e32 v15, v11
	ds_load_2addr_b64 v[10:13], v154 offset0:40 offset1:41
	v_pk_add_f32 v[156:157], v[156:157], v[14:15] neg_lo:[0,1] neg_hi:[0,1]
	s_wait_dscnt 0x0
	v_pk_mul_f32 v[14:15], v[10:11], v[8:9] op_sel:[0,1]
	s_delay_alu instid0(VALU_DEP_1) | instskip(SKIP_1) | instid1(VALU_DEP_1)
	v_pk_fma_f32 v[18:19], v[10:11], v[6:7], v[14:15] op_sel:[0,0,1] op_sel_hi:[1,1,0] neg_lo:[0,0,1] neg_hi:[0,0,1]
	v_pk_fma_f32 v[10:11], v[10:11], v[6:7], v[14:15] op_sel:[0,0,1] op_sel_hi:[1,0,0]
	v_mov_b32_e32 v19, v11
	v_pk_mul_f32 v[10:11], v[12:13], v[8:9] op_sel:[0,1]
	s_delay_alu instid0(VALU_DEP_2) | instskip(NEXT) | instid1(VALU_DEP_2)
	v_pk_add_f32 v[178:179], v[178:179], v[18:19] neg_lo:[0,1] neg_hi:[0,1]
	v_pk_fma_f32 v[14:15], v[12:13], v[6:7], v[10:11] op_sel:[0,0,1] op_sel_hi:[1,1,0] neg_lo:[0,0,1] neg_hi:[0,0,1]
	v_pk_fma_f32 v[10:11], v[12:13], v[6:7], v[10:11] op_sel:[0,0,1] op_sel_hi:[1,0,0]
	s_delay_alu instid0(VALU_DEP_1) | instskip(SKIP_4) | instid1(VALU_DEP_1)
	v_mov_b32_e32 v15, v11
	ds_load_2addr_b64 v[10:13], v154 offset0:42 offset1:43
	v_pk_add_f32 v[174:175], v[174:175], v[14:15] neg_lo:[0,1] neg_hi:[0,1]
	s_wait_dscnt 0x0
	v_pk_mul_f32 v[14:15], v[10:11], v[8:9] op_sel:[0,1]
	v_pk_fma_f32 v[18:19], v[10:11], v[6:7], v[14:15] op_sel:[0,0,1] op_sel_hi:[1,1,0] neg_lo:[0,0,1] neg_hi:[0,0,1]
	v_pk_fma_f32 v[10:11], v[10:11], v[6:7], v[14:15] op_sel:[0,0,1] op_sel_hi:[1,0,0]
	v_dual_mul_f32 v14, v13, v9 :: v_dual_mov_b32 v10, v13
	s_delay_alu instid0(VALU_DEP_2) | instskip(NEXT) | instid1(VALU_DEP_2)
	v_dual_mov_b32 v19, v11 :: v_dual_mov_b32 v11, v12
	v_pk_fma_f32 v[14:15], v[12:13], v[74:75], v[14:15] op_sel_hi:[1,1,0] neg_lo:[0,0,1] neg_hi:[0,0,1]
	v_mul_f32_e32 v12, v13, v6
	s_delay_alu instid0(VALU_DEP_3) | instskip(NEXT) | instid1(VALU_DEP_2)
	v_pk_add_f32 v[176:177], v[176:177], v[18:19] neg_lo:[0,1] neg_hi:[0,1]
	v_pk_fma_f32 v[10:11], v[10:11], v[74:75], v[12:13] op_sel_hi:[1,1,0]
	s_delay_alu instid0(VALU_DEP_1) | instskip(SKIP_4) | instid1(VALU_DEP_1)
	v_mov_b32_e32 v15, v11
	ds_load_2addr_b64 v[10:13], v154 offset0:44 offset1:45
	v_pk_add_f32 v[172:173], v[172:173], v[14:15] neg_lo:[0,1] neg_hi:[0,1]
	s_wait_dscnt 0x0
	v_pk_mul_f32 v[14:15], v[10:11], v[8:9] op_sel:[0,1]
	v_pk_fma_f32 v[18:19], v[10:11], v[6:7], v[14:15] op_sel:[0,0,1] op_sel_hi:[1,1,0] neg_lo:[0,0,1] neg_hi:[0,0,1]
	v_pk_fma_f32 v[10:11], v[10:11], v[6:7], v[14:15] op_sel:[0,0,1] op_sel_hi:[1,0,0]
	s_delay_alu instid0(VALU_DEP_1) | instskip(SKIP_1) | instid1(VALU_DEP_1)
	v_mov_b32_e32 v19, v11
	v_pk_mul_f32 v[10:11], v[12:13], v[8:9] op_sel:[0,1]
	v_pk_fma_f32 v[14:15], v[12:13], v[6:7], v[10:11] op_sel:[0,0,1] op_sel_hi:[1,1,0] neg_lo:[0,0,1] neg_hi:[0,0,1]
	v_pk_fma_f32 v[10:11], v[12:13], v[6:7], v[10:11] op_sel:[0,0,1] op_sel_hi:[1,0,0]
	s_delay_alu instid0(VALU_DEP_1)
	v_mov_b32_e32 v15, v11
	ds_load_2addr_b64 v[10:13], v154 offset0:46 offset1:47
	v_pk_add_f32 v[196:197], v[196:197], v[18:19] neg_lo:[0,1] neg_hi:[0,1]
	v_pk_add_f32 v[192:193], v[192:193], v[14:15] neg_lo:[0,1] neg_hi:[0,1]
	s_wait_dscnt 0x0
	v_pk_mul_f32 v[14:15], v[10:11], v[8:9] op_sel:[0,1]
	s_delay_alu instid0(VALU_DEP_1) | instskip(SKIP_1) | instid1(VALU_DEP_1)
	v_pk_fma_f32 v[18:19], v[10:11], v[6:7], v[14:15] op_sel:[0,0,1] op_sel_hi:[1,1,0] neg_lo:[0,0,1] neg_hi:[0,0,1]
	v_pk_fma_f32 v[10:11], v[10:11], v[6:7], v[14:15] op_sel:[0,0,1] op_sel_hi:[1,0,0]
	v_mov_b32_e32 v19, v11
	v_pk_mul_f32 v[10:11], v[12:13], v[8:9] op_sel:[0,1]
	s_delay_alu instid0(VALU_DEP_1) | instskip(SKIP_1) | instid1(VALU_DEP_1)
	v_pk_fma_f32 v[14:15], v[12:13], v[6:7], v[10:11] op_sel:[0,0,1] op_sel_hi:[1,1,0] neg_lo:[0,0,1] neg_hi:[0,0,1]
	v_pk_fma_f32 v[10:11], v[12:13], v[6:7], v[10:11] op_sel:[0,0,1] op_sel_hi:[1,0,0]
	v_mov_b32_e32 v15, v11
	ds_load_2addr_b64 v[10:13], v154 offset0:48 offset1:49
	v_pk_add_f32 v[194:195], v[194:195], v[18:19] neg_lo:[0,1] neg_hi:[0,1]
	v_pk_add_f32 v[190:191], v[190:191], v[14:15] neg_lo:[0,1] neg_hi:[0,1]
	s_wait_dscnt 0x0
	v_dual_mul_f32 v14, v11, v9 :: v_dual_mul_f32 v18, v11, v6
	s_delay_alu instid0(VALU_DEP_1) | instskip(NEXT) | instid1(VALU_DEP_2)
	v_pk_fma_f32 v[14:15], v[10:11], v[74:75], v[14:15] op_sel_hi:[1,1,0] neg_lo:[0,0,1] neg_hi:[0,0,1]
	v_pk_fma_f32 v[10:11], v[10:11], v[74:75], v[18:19] op_sel:[1,0,0] op_sel_hi:[0,1,0]
	s_delay_alu instid0(VALU_DEP_1) | instskip(SKIP_1) | instid1(VALU_DEP_2)
	v_mov_b32_e32 v15, v11
	v_pk_mul_f32 v[10:11], v[12:13], v[8:9] op_sel:[0,1]
	v_pk_add_f32 v[216:217], v[216:217], v[14:15] neg_lo:[0,1] neg_hi:[0,1]
	s_delay_alu instid0(VALU_DEP_2) | instskip(SKIP_1) | instid1(VALU_DEP_1)
	v_pk_fma_f32 v[14:15], v[12:13], v[6:7], v[10:11] op_sel:[0,0,1] op_sel_hi:[1,1,0] neg_lo:[0,0,1] neg_hi:[0,0,1]
	v_pk_fma_f32 v[10:11], v[12:13], v[6:7], v[10:11] op_sel:[0,0,1] op_sel_hi:[1,0,0]
	v_mov_b32_e32 v15, v11
	ds_load_2addr_b64 v[10:13], v154 offset0:50 offset1:51
	v_pk_add_f32 v[210:211], v[210:211], v[14:15] neg_lo:[0,1] neg_hi:[0,1]
	s_wait_dscnt 0x0
	v_pk_mul_f32 v[14:15], v[10:11], v[8:9] op_sel:[0,1]
	s_delay_alu instid0(VALU_DEP_1) | instskip(SKIP_1) | instid1(VALU_DEP_1)
	v_pk_fma_f32 v[18:19], v[10:11], v[6:7], v[14:15] op_sel:[0,0,1] op_sel_hi:[1,1,0] neg_lo:[0,0,1] neg_hi:[0,0,1]
	v_pk_fma_f32 v[10:11], v[10:11], v[6:7], v[14:15] op_sel:[0,0,1] op_sel_hi:[1,0,0]
	v_mov_b32_e32 v19, v11
	v_pk_mul_f32 v[10:11], v[12:13], v[8:9] op_sel:[0,1]
	s_delay_alu instid0(VALU_DEP_2) | instskip(NEXT) | instid1(VALU_DEP_2)
	v_pk_add_f32 v[214:215], v[214:215], v[18:19] neg_lo:[0,1] neg_hi:[0,1]
	v_pk_fma_f32 v[14:15], v[12:13], v[6:7], v[10:11] op_sel:[0,0,1] op_sel_hi:[1,1,0] neg_lo:[0,0,1] neg_hi:[0,0,1]
	v_pk_fma_f32 v[10:11], v[12:13], v[6:7], v[10:11] op_sel:[0,0,1] op_sel_hi:[1,0,0]
	s_delay_alu instid0(VALU_DEP_1) | instskip(SKIP_4) | instid1(VALU_DEP_1)
	v_mov_b32_e32 v15, v11
	ds_load_2addr_b64 v[10:13], v154 offset0:52 offset1:53
	v_pk_add_f32 v[208:209], v[208:209], v[14:15] neg_lo:[0,1] neg_hi:[0,1]
	s_wait_dscnt 0x0
	v_pk_mul_f32 v[14:15], v[10:11], v[8:9] op_sel:[0,1]
	v_pk_fma_f32 v[18:19], v[10:11], v[6:7], v[14:15] op_sel:[0,0,1] op_sel_hi:[1,1,0] neg_lo:[0,0,1] neg_hi:[0,0,1]
	v_pk_fma_f32 v[10:11], v[10:11], v[6:7], v[14:15] op_sel:[0,0,1] op_sel_hi:[1,0,0]
	v_dual_mul_f32 v14, v13, v9 :: v_dual_mov_b32 v10, v13
	s_delay_alu instid0(VALU_DEP_2) | instskip(NEXT) | instid1(VALU_DEP_2)
	v_dual_mov_b32 v19, v11 :: v_dual_mov_b32 v11, v12
	v_pk_fma_f32 v[14:15], v[12:13], v[74:75], v[14:15] op_sel_hi:[1,1,0] neg_lo:[0,0,1] neg_hi:[0,0,1]
	v_mul_f32_e32 v12, v13, v6
	s_delay_alu instid0(VALU_DEP_3) | instskip(NEXT) | instid1(VALU_DEP_2)
	v_pk_add_f32 v[212:213], v[212:213], v[18:19] neg_lo:[0,1] neg_hi:[0,1]
	v_pk_fma_f32 v[10:11], v[10:11], v[74:75], v[12:13] op_sel_hi:[1,1,0]
	s_delay_alu instid0(VALU_DEP_1) | instskip(SKIP_4) | instid1(VALU_DEP_1)
	v_mov_b32_e32 v15, v11
	ds_load_b64 v[10:11], v154 offset:432
	v_pk_add_f32 v[218:219], v[218:219], v[14:15] neg_lo:[0,1] neg_hi:[0,1]
	s_wait_dscnt 0x0
	v_pk_mul_f32 v[8:9], v[10:11], v[8:9] op_sel:[0,1]
	v_pk_fma_f32 v[12:13], v[10:11], v[6:7], v[8:9] op_sel:[0,0,1] op_sel_hi:[1,1,0] neg_lo:[0,0,1] neg_hi:[0,0,1]
	v_pk_fma_f32 v[6:7], v[10:11], v[6:7], v[8:9] op_sel:[0,0,1] op_sel_hi:[1,0,0]
	s_delay_alu instid0(VALU_DEP_1) | instskip(NEXT) | instid1(VALU_DEP_1)
	v_mov_b32_e32 v13, v7
	v_pk_add_f32 v[220:221], v[220:221], v[12:13] neg_lo:[0,1] neg_hi:[0,1]
.LBB109_181:
	s_or_b32 exec_lo, exec_lo, s1
	s_delay_alu instid0(SALU_CYCLE_1)
	s_mov_b32 s2, exec_lo
	s_wait_dscnt 0x0
	s_barrier_signal -1
	s_barrier_wait -1
	v_cmpx_eq_u32_e32 20, v152
	s_cbranch_execz .LBB109_188
; %bb.182:
	ds_store_b64 v153, v[96:97]
	ds_store_2addr_b64 v154, v[92:93], v[94:95] offset0:21 offset1:22
	ds_store_2addr_b64 v154, v[90:91], v[114:115] offset0:23 offset1:24
	;; [unrolled: 1-line block ×17, first 2 shown]
	ds_load_b64 v[6:7], v153
	s_wait_dscnt 0x0
	v_cmp_neq_f32_e32 vcc_lo, 0, v6
	v_cmp_neq_f32_e64 s1, 0, v7
	s_or_b32 s1, vcc_lo, s1
	s_delay_alu instid0(SALU_CYCLE_1)
	s_and_b32 exec_lo, exec_lo, s1
	s_cbranch_execz .LBB109_188
; %bb.183:
	v_cmp_ngt_f32_e64 s1, |v6|, |v7|
                                        ; implicit-def: $vgpr8_vgpr9
	s_and_saveexec_b32 s4, s1
	s_delay_alu instid0(SALU_CYCLE_1)
	s_xor_b32 s1, exec_lo, s4
	s_cbranch_execz .LBB109_185
; %bb.184:
	v_div_scale_f32 v8, null, v7, v7, v6
	v_div_scale_f32 v11, vcc_lo, v6, v7, v6
	s_delay_alu instid0(VALU_DEP_2) | instskip(SKIP_1) | instid1(TRANS32_DEP_1)
	v_rcp_f32_e32 v9, v8
	v_nop
	v_fma_f32 v10, -v8, v9, 1.0
	s_delay_alu instid0(VALU_DEP_1) | instskip(NEXT) | instid1(VALU_DEP_1)
	v_fmac_f32_e32 v9, v10, v9
	v_mul_f32_e32 v10, v11, v9
	s_delay_alu instid0(VALU_DEP_1) | instskip(NEXT) | instid1(VALU_DEP_1)
	v_fma_f32 v12, -v8, v10, v11
	v_fmac_f32_e32 v10, v12, v9
	s_delay_alu instid0(VALU_DEP_1) | instskip(NEXT) | instid1(VALU_DEP_1)
	v_fma_f32 v8, -v8, v10, v11
	v_div_fmas_f32 v8, v8, v9, v10
	s_delay_alu instid0(VALU_DEP_1) | instskip(NEXT) | instid1(VALU_DEP_1)
	v_div_fixup_f32 v8, v8, v7, v6
	v_fmac_f32_e32 v7, v6, v8
	s_delay_alu instid0(VALU_DEP_1) | instskip(SKIP_1) | instid1(VALU_DEP_2)
	v_div_scale_f32 v6, null, v7, v7, 1.0
	v_div_scale_f32 v11, vcc_lo, 1.0, v7, 1.0
	v_rcp_f32_e32 v9, v6
	v_nop
	s_delay_alu instid0(TRANS32_DEP_1) | instskip(NEXT) | instid1(VALU_DEP_1)
	v_fma_f32 v10, -v6, v9, 1.0
	v_fmac_f32_e32 v9, v10, v9
	s_delay_alu instid0(VALU_DEP_1) | instskip(NEXT) | instid1(VALU_DEP_1)
	v_mul_f32_e32 v10, v11, v9
	v_fma_f32 v12, -v6, v10, v11
	s_delay_alu instid0(VALU_DEP_1) | instskip(NEXT) | instid1(VALU_DEP_1)
	v_fmac_f32_e32 v10, v12, v9
	v_fma_f32 v6, -v6, v10, v11
	s_delay_alu instid0(VALU_DEP_1) | instskip(NEXT) | instid1(VALU_DEP_1)
	v_div_fmas_f32 v6, v6, v9, v10
	v_div_fixup_f32 v6, v6, v7, 1.0
	s_delay_alu instid0(VALU_DEP_1)
	v_mul_f32_e32 v8, v8, v6
	v_xor_b32_e32 v9, 0x80000000, v6
                                        ; implicit-def: $vgpr6_vgpr7
.LBB109_185:
	s_and_not1_saveexec_b32 s1, s1
	s_cbranch_execz .LBB109_187
; %bb.186:
	v_div_scale_f32 v8, null, v6, v6, v7
	v_div_scale_f32 v11, vcc_lo, v7, v6, v7
	s_delay_alu instid0(VALU_DEP_2) | instskip(SKIP_1) | instid1(TRANS32_DEP_1)
	v_rcp_f32_e32 v9, v8
	v_nop
	v_fma_f32 v10, -v8, v9, 1.0
	s_delay_alu instid0(VALU_DEP_1) | instskip(NEXT) | instid1(VALU_DEP_1)
	v_fmac_f32_e32 v9, v10, v9
	v_mul_f32_e32 v10, v11, v9
	s_delay_alu instid0(VALU_DEP_1) | instskip(NEXT) | instid1(VALU_DEP_1)
	v_fma_f32 v12, -v8, v10, v11
	v_fmac_f32_e32 v10, v12, v9
	s_delay_alu instid0(VALU_DEP_1) | instskip(NEXT) | instid1(VALU_DEP_1)
	v_fma_f32 v8, -v8, v10, v11
	v_div_fmas_f32 v8, v8, v9, v10
	s_delay_alu instid0(VALU_DEP_1) | instskip(NEXT) | instid1(VALU_DEP_1)
	v_div_fixup_f32 v9, v8, v6, v7
	v_fmac_f32_e32 v6, v7, v9
	s_delay_alu instid0(VALU_DEP_1) | instskip(NEXT) | instid1(VALU_DEP_1)
	v_div_scale_f32 v7, null, v6, v6, 1.0
	v_rcp_f32_e32 v8, v7
	v_nop
	s_delay_alu instid0(TRANS32_DEP_1) | instskip(NEXT) | instid1(VALU_DEP_1)
	v_fma_f32 v10, -v7, v8, 1.0
	v_fmac_f32_e32 v8, v10, v8
	v_div_scale_f32 v10, vcc_lo, 1.0, v6, 1.0
	s_delay_alu instid0(VALU_DEP_1) | instskip(NEXT) | instid1(VALU_DEP_1)
	v_mul_f32_e32 v11, v10, v8
	v_fma_f32 v12, -v7, v11, v10
	s_delay_alu instid0(VALU_DEP_1) | instskip(NEXT) | instid1(VALU_DEP_1)
	v_fmac_f32_e32 v11, v12, v8
	v_fma_f32 v7, -v7, v11, v10
	s_delay_alu instid0(VALU_DEP_1) | instskip(NEXT) | instid1(VALU_DEP_1)
	v_div_fmas_f32 v7, v7, v8, v11
	v_div_fixup_f32 v8, v7, v6, 1.0
	s_delay_alu instid0(VALU_DEP_1)
	v_mul_f32_e64 v9, v9, -v8
.LBB109_187:
	s_or_b32 exec_lo, exec_lo, s1
	ds_store_b64 v153, v[8:9]
.LBB109_188:
	s_or_b32 exec_lo, exec_lo, s2
	s_wait_dscnt 0x0
	s_barrier_signal -1
	s_barrier_wait -1
	ds_load_b64 v[6:7], v153
	s_mov_b32 s1, exec_lo
	v_cmpx_lt_u32_e32 20, v152
	s_cbranch_execz .LBB109_190
; %bb.189:
	ds_load_2addr_b64 v[12:15], v154 offset0:21 offset1:22
	s_wait_dscnt 0x1
	v_pk_mul_f32 v[10:11], v[6:7], v[96:97] op_sel:[1,1] op_sel_hi:[0,1]
	s_delay_alu instid0(VALU_DEP_1) | instskip(SKIP_1) | instid1(VALU_DEP_1)
	v_pk_fma_f32 v[8:9], v[6:7], v[96:97], v[10:11] op_sel_hi:[1,0,1] neg_lo:[0,0,1] neg_hi:[0,0,1]
	v_pk_fma_f32 v[10:11], v[6:7], v[96:97], v[10:11] op_sel_hi:[1,0,1]
	v_dual_mov_b32 v96, v8 :: v_dual_mov_b32 v97, v11
	s_wait_dscnt 0x0
	s_delay_alu instid0(VALU_DEP_2) | instskip(NEXT) | instid1(VALU_DEP_1)
	v_pk_mul_f32 v[18:19], v[12:13], v[10:11] op_sel:[0,1]
	v_pk_fma_f32 v[28:29], v[12:13], v[8:9], v[18:19] op_sel:[0,0,1] op_sel_hi:[1,1,0] neg_lo:[0,0,1] neg_hi:[0,0,1]
	v_pk_fma_f32 v[12:13], v[12:13], v[8:9], v[18:19] op_sel:[0,0,1] op_sel_hi:[1,0,0]
	s_delay_alu instid0(VALU_DEP_1) | instskip(SKIP_1) | instid1(VALU_DEP_1)
	v_mov_b32_e32 v29, v13
	v_pk_mul_f32 v[12:13], v[14:15], v[10:11] op_sel:[0,1]
	v_pk_fma_f32 v[18:19], v[14:15], v[8:9], v[12:13] op_sel:[0,0,1] op_sel_hi:[1,1,0] neg_lo:[0,0,1] neg_hi:[0,0,1]
	v_pk_fma_f32 v[12:13], v[14:15], v[8:9], v[12:13] op_sel:[0,0,1] op_sel_hi:[1,0,0]
	s_delay_alu instid0(VALU_DEP_1)
	v_mov_b32_e32 v19, v13
	ds_load_2addr_b64 v[12:15], v154 offset0:23 offset1:24
	v_pk_add_f32 v[92:93], v[92:93], v[28:29] neg_lo:[0,1] neg_hi:[0,1]
	v_pk_add_f32 v[94:95], v[94:95], v[18:19] neg_lo:[0,1] neg_hi:[0,1]
	s_wait_dscnt 0x0
	v_pk_mul_f32 v[18:19], v[12:13], v[10:11] op_sel:[0,1]
	s_delay_alu instid0(VALU_DEP_1) | instskip(SKIP_2) | instid1(VALU_DEP_2)
	v_pk_fma_f32 v[28:29], v[12:13], v[8:9], v[18:19] op_sel:[0,0,1] op_sel_hi:[1,1,0] neg_lo:[0,0,1] neg_hi:[0,0,1]
	v_pk_fma_f32 v[12:13], v[12:13], v[8:9], v[18:19] op_sel:[0,0,1] op_sel_hi:[1,0,0]
	v_dual_mul_f32 v18, v15, v11 :: v_dual_mov_b32 v12, v15
	v_dual_mov_b32 v29, v13 :: v_dual_mov_b32 v13, v14
	s_delay_alu instid0(VALU_DEP_2) | instskip(SKIP_1) | instid1(VALU_DEP_3)
	v_pk_fma_f32 v[18:19], v[14:15], v[96:97], v[18:19] op_sel_hi:[1,1,0] neg_lo:[0,0,1] neg_hi:[0,0,1]
	v_mul_f32_e32 v14, v15, v8
	v_pk_add_f32 v[90:91], v[90:91], v[28:29] neg_lo:[0,1] neg_hi:[0,1]
	s_delay_alu instid0(VALU_DEP_2) | instskip(NEXT) | instid1(VALU_DEP_1)
	v_pk_fma_f32 v[12:13], v[12:13], v[96:97], v[14:15] op_sel_hi:[1,1,0]
	v_mov_b32_e32 v19, v13
	ds_load_2addr_b64 v[12:15], v154 offset0:25 offset1:26
	v_pk_add_f32 v[114:115], v[114:115], v[18:19] neg_lo:[0,1] neg_hi:[0,1]
	s_wait_dscnt 0x0
	v_pk_mul_f32 v[18:19], v[12:13], v[10:11] op_sel:[0,1]
	s_delay_alu instid0(VALU_DEP_1) | instskip(SKIP_1) | instid1(VALU_DEP_1)
	v_pk_fma_f32 v[28:29], v[12:13], v[8:9], v[18:19] op_sel:[0,0,1] op_sel_hi:[1,1,0] neg_lo:[0,0,1] neg_hi:[0,0,1]
	v_pk_fma_f32 v[12:13], v[12:13], v[8:9], v[18:19] op_sel:[0,0,1] op_sel_hi:[1,0,0]
	v_mov_b32_e32 v29, v13
	v_pk_mul_f32 v[12:13], v[14:15], v[10:11] op_sel:[0,1]
	s_delay_alu instid0(VALU_DEP_1) | instskip(SKIP_1) | instid1(VALU_DEP_1)
	v_pk_fma_f32 v[18:19], v[14:15], v[8:9], v[12:13] op_sel:[0,0,1] op_sel_hi:[1,1,0] neg_lo:[0,0,1] neg_hi:[0,0,1]
	v_pk_fma_f32 v[12:13], v[14:15], v[8:9], v[12:13] op_sel:[0,0,1] op_sel_hi:[1,0,0]
	v_mov_b32_e32 v19, v13
	ds_load_2addr_b64 v[12:15], v154 offset0:27 offset1:28
	v_pk_add_f32 v[110:111], v[110:111], v[28:29] neg_lo:[0,1] neg_hi:[0,1]
	v_pk_add_f32 v[112:113], v[112:113], v[18:19] neg_lo:[0,1] neg_hi:[0,1]
	s_wait_dscnt 0x0
	v_pk_mul_f32 v[18:19], v[12:13], v[10:11] op_sel:[0,1]
	s_delay_alu instid0(VALU_DEP_1) | instskip(SKIP_1) | instid1(VALU_DEP_1)
	v_pk_fma_f32 v[28:29], v[12:13], v[8:9], v[18:19] op_sel:[0,0,1] op_sel_hi:[1,1,0] neg_lo:[0,0,1] neg_hi:[0,0,1]
	v_pk_fma_f32 v[12:13], v[12:13], v[8:9], v[18:19] op_sel:[0,0,1] op_sel_hi:[1,0,0]
	v_mov_b32_e32 v29, v13
	v_pk_mul_f32 v[12:13], v[14:15], v[10:11] op_sel:[0,1]
	s_delay_alu instid0(VALU_DEP_1) | instskip(SKIP_1) | instid1(VALU_DEP_1)
	v_pk_fma_f32 v[18:19], v[14:15], v[8:9], v[12:13] op_sel:[0,0,1] op_sel_hi:[1,1,0] neg_lo:[0,0,1] neg_hi:[0,0,1]
	v_pk_fma_f32 v[12:13], v[14:15], v[8:9], v[12:13] op_sel:[0,0,1] op_sel_hi:[1,0,0]
	v_mov_b32_e32 v19, v13
	ds_load_2addr_b64 v[12:15], v154 offset0:29 offset1:30
	v_pk_add_f32 v[108:109], v[108:109], v[28:29] neg_lo:[0,1] neg_hi:[0,1]
	v_pk_add_f32 v[130:131], v[130:131], v[18:19] neg_lo:[0,1] neg_hi:[0,1]
	s_wait_dscnt 0x0
	v_dual_mul_f32 v18, v13, v11 :: v_dual_mul_f32 v28, v13, v8
	s_delay_alu instid0(VALU_DEP_1) | instskip(NEXT) | instid1(VALU_DEP_2)
	v_pk_fma_f32 v[18:19], v[12:13], v[96:97], v[18:19] op_sel_hi:[1,1,0] neg_lo:[0,0,1] neg_hi:[0,0,1]
	v_pk_fma_f32 v[12:13], v[12:13], v[96:97], v[28:29] op_sel:[1,0,0] op_sel_hi:[0,1,0]
	s_delay_alu instid0(VALU_DEP_1) | instskip(SKIP_1) | instid1(VALU_DEP_2)
	v_mov_b32_e32 v19, v13
	v_pk_mul_f32 v[12:13], v[14:15], v[10:11] op_sel:[0,1]
	v_pk_add_f32 v[126:127], v[126:127], v[18:19] neg_lo:[0,1] neg_hi:[0,1]
	s_delay_alu instid0(VALU_DEP_2) | instskip(SKIP_1) | instid1(VALU_DEP_1)
	v_pk_fma_f32 v[18:19], v[14:15], v[8:9], v[12:13] op_sel:[0,0,1] op_sel_hi:[1,1,0] neg_lo:[0,0,1] neg_hi:[0,0,1]
	v_pk_fma_f32 v[12:13], v[14:15], v[8:9], v[12:13] op_sel:[0,0,1] op_sel_hi:[1,0,0]
	v_mov_b32_e32 v19, v13
	ds_load_2addr_b64 v[12:15], v154 offset0:31 offset1:32
	v_pk_add_f32 v[128:129], v[128:129], v[18:19] neg_lo:[0,1] neg_hi:[0,1]
	s_wait_dscnt 0x0
	v_pk_mul_f32 v[18:19], v[12:13], v[10:11] op_sel:[0,1]
	s_delay_alu instid0(VALU_DEP_1) | instskip(SKIP_1) | instid1(VALU_DEP_1)
	v_pk_fma_f32 v[28:29], v[12:13], v[8:9], v[18:19] op_sel:[0,0,1] op_sel_hi:[1,1,0] neg_lo:[0,0,1] neg_hi:[0,0,1]
	v_pk_fma_f32 v[12:13], v[12:13], v[8:9], v[18:19] op_sel:[0,0,1] op_sel_hi:[1,0,0]
	v_mov_b32_e32 v29, v13
	v_pk_mul_f32 v[12:13], v[14:15], v[10:11] op_sel:[0,1]
	s_delay_alu instid0(VALU_DEP_2) | instskip(NEXT) | instid1(VALU_DEP_2)
	v_pk_add_f32 v[124:125], v[124:125], v[28:29] neg_lo:[0,1] neg_hi:[0,1]
	v_pk_fma_f32 v[18:19], v[14:15], v[8:9], v[12:13] op_sel:[0,0,1] op_sel_hi:[1,1,0] neg_lo:[0,0,1] neg_hi:[0,0,1]
	v_pk_fma_f32 v[12:13], v[14:15], v[8:9], v[12:13] op_sel:[0,0,1] op_sel_hi:[1,0,0]
	s_delay_alu instid0(VALU_DEP_1) | instskip(SKIP_4) | instid1(VALU_DEP_1)
	v_mov_b32_e32 v19, v13
	ds_load_2addr_b64 v[12:15], v154 offset0:33 offset1:34
	v_pk_add_f32 v[146:147], v[146:147], v[18:19] neg_lo:[0,1] neg_hi:[0,1]
	s_wait_dscnt 0x0
	v_pk_mul_f32 v[18:19], v[12:13], v[10:11] op_sel:[0,1]
	v_pk_fma_f32 v[28:29], v[12:13], v[8:9], v[18:19] op_sel:[0,0,1] op_sel_hi:[1,1,0] neg_lo:[0,0,1] neg_hi:[0,0,1]
	v_pk_fma_f32 v[12:13], v[12:13], v[8:9], v[18:19] op_sel:[0,0,1] op_sel_hi:[1,0,0]
	v_dual_mul_f32 v18, v15, v11 :: v_dual_mov_b32 v12, v15
	s_delay_alu instid0(VALU_DEP_2) | instskip(NEXT) | instid1(VALU_DEP_2)
	v_dual_mov_b32 v29, v13 :: v_dual_mov_b32 v13, v14
	v_pk_fma_f32 v[18:19], v[14:15], v[96:97], v[18:19] op_sel_hi:[1,1,0] neg_lo:[0,0,1] neg_hi:[0,0,1]
	v_mul_f32_e32 v14, v15, v8
	s_delay_alu instid0(VALU_DEP_3) | instskip(NEXT) | instid1(VALU_DEP_2)
	v_pk_add_f32 v[142:143], v[142:143], v[28:29] neg_lo:[0,1] neg_hi:[0,1]
	v_pk_fma_f32 v[12:13], v[12:13], v[96:97], v[14:15] op_sel_hi:[1,1,0]
	s_delay_alu instid0(VALU_DEP_1) | instskip(SKIP_4) | instid1(VALU_DEP_1)
	v_mov_b32_e32 v19, v13
	ds_load_2addr_b64 v[12:15], v154 offset0:35 offset1:36
	v_pk_add_f32 v[144:145], v[144:145], v[18:19] neg_lo:[0,1] neg_hi:[0,1]
	s_wait_dscnt 0x0
	v_pk_mul_f32 v[18:19], v[12:13], v[10:11] op_sel:[0,1]
	v_pk_fma_f32 v[28:29], v[12:13], v[8:9], v[18:19] op_sel:[0,0,1] op_sel_hi:[1,1,0] neg_lo:[0,0,1] neg_hi:[0,0,1]
	v_pk_fma_f32 v[12:13], v[12:13], v[8:9], v[18:19] op_sel:[0,0,1] op_sel_hi:[1,0,0]
	s_delay_alu instid0(VALU_DEP_1) | instskip(SKIP_1) | instid1(VALU_DEP_1)
	v_mov_b32_e32 v29, v13
	v_pk_mul_f32 v[12:13], v[14:15], v[10:11] op_sel:[0,1]
	v_pk_fma_f32 v[18:19], v[14:15], v[8:9], v[12:13] op_sel:[0,0,1] op_sel_hi:[1,1,0] neg_lo:[0,0,1] neg_hi:[0,0,1]
	v_pk_fma_f32 v[12:13], v[14:15], v[8:9], v[12:13] op_sel:[0,0,1] op_sel_hi:[1,0,0]
	s_delay_alu instid0(VALU_DEP_1)
	v_mov_b32_e32 v19, v13
	ds_load_2addr_b64 v[12:15], v154 offset0:37 offset1:38
	v_pk_add_f32 v[140:141], v[140:141], v[28:29] neg_lo:[0,1] neg_hi:[0,1]
	v_pk_add_f32 v[162:163], v[162:163], v[18:19] neg_lo:[0,1] neg_hi:[0,1]
	s_wait_dscnt 0x0
	v_pk_mul_f32 v[18:19], v[12:13], v[10:11] op_sel:[0,1]
	s_delay_alu instid0(VALU_DEP_1) | instskip(SKIP_1) | instid1(VALU_DEP_1)
	v_pk_fma_f32 v[28:29], v[12:13], v[8:9], v[18:19] op_sel:[0,0,1] op_sel_hi:[1,1,0] neg_lo:[0,0,1] neg_hi:[0,0,1]
	v_pk_fma_f32 v[12:13], v[12:13], v[8:9], v[18:19] op_sel:[0,0,1] op_sel_hi:[1,0,0]
	v_mov_b32_e32 v29, v13
	v_pk_mul_f32 v[12:13], v[14:15], v[10:11] op_sel:[0,1]
	s_delay_alu instid0(VALU_DEP_1) | instskip(SKIP_1) | instid1(VALU_DEP_1)
	v_pk_fma_f32 v[18:19], v[14:15], v[8:9], v[12:13] op_sel:[0,0,1] op_sel_hi:[1,1,0] neg_lo:[0,0,1] neg_hi:[0,0,1]
	v_pk_fma_f32 v[12:13], v[14:15], v[8:9], v[12:13] op_sel:[0,0,1] op_sel_hi:[1,0,0]
	v_mov_b32_e32 v19, v13
	ds_load_2addr_b64 v[12:15], v154 offset0:39 offset1:40
	v_pk_add_f32 v[158:159], v[158:159], v[28:29] neg_lo:[0,1] neg_hi:[0,1]
	v_pk_add_f32 v[160:161], v[160:161], v[18:19] neg_lo:[0,1] neg_hi:[0,1]
	s_wait_dscnt 0x0
	v_dual_mul_f32 v18, v13, v11 :: v_dual_mul_f32 v28, v13, v8
	s_delay_alu instid0(VALU_DEP_1) | instskip(NEXT) | instid1(VALU_DEP_2)
	v_pk_fma_f32 v[18:19], v[12:13], v[96:97], v[18:19] op_sel_hi:[1,1,0] neg_lo:[0,0,1] neg_hi:[0,0,1]
	v_pk_fma_f32 v[12:13], v[12:13], v[96:97], v[28:29] op_sel:[1,0,0] op_sel_hi:[0,1,0]
	s_delay_alu instid0(VALU_DEP_1) | instskip(SKIP_1) | instid1(VALU_DEP_2)
	v_mov_b32_e32 v19, v13
	v_pk_mul_f32 v[12:13], v[14:15], v[10:11] op_sel:[0,1]
	v_pk_add_f32 v[156:157], v[156:157], v[18:19] neg_lo:[0,1] neg_hi:[0,1]
	s_delay_alu instid0(VALU_DEP_2) | instskip(SKIP_1) | instid1(VALU_DEP_1)
	v_pk_fma_f32 v[18:19], v[14:15], v[8:9], v[12:13] op_sel:[0,0,1] op_sel_hi:[1,1,0] neg_lo:[0,0,1] neg_hi:[0,0,1]
	v_pk_fma_f32 v[12:13], v[14:15], v[8:9], v[12:13] op_sel:[0,0,1] op_sel_hi:[1,0,0]
	v_mov_b32_e32 v19, v13
	ds_load_2addr_b64 v[12:15], v154 offset0:41 offset1:42
	v_pk_add_f32 v[178:179], v[178:179], v[18:19] neg_lo:[0,1] neg_hi:[0,1]
	s_wait_dscnt 0x0
	v_pk_mul_f32 v[18:19], v[12:13], v[10:11] op_sel:[0,1]
	s_delay_alu instid0(VALU_DEP_1) | instskip(SKIP_1) | instid1(VALU_DEP_1)
	v_pk_fma_f32 v[28:29], v[12:13], v[8:9], v[18:19] op_sel:[0,0,1] op_sel_hi:[1,1,0] neg_lo:[0,0,1] neg_hi:[0,0,1]
	v_pk_fma_f32 v[12:13], v[12:13], v[8:9], v[18:19] op_sel:[0,0,1] op_sel_hi:[1,0,0]
	v_mov_b32_e32 v29, v13
	v_pk_mul_f32 v[12:13], v[14:15], v[10:11] op_sel:[0,1]
	s_delay_alu instid0(VALU_DEP_2) | instskip(NEXT) | instid1(VALU_DEP_2)
	v_pk_add_f32 v[174:175], v[174:175], v[28:29] neg_lo:[0,1] neg_hi:[0,1]
	v_pk_fma_f32 v[18:19], v[14:15], v[8:9], v[12:13] op_sel:[0,0,1] op_sel_hi:[1,1,0] neg_lo:[0,0,1] neg_hi:[0,0,1]
	v_pk_fma_f32 v[12:13], v[14:15], v[8:9], v[12:13] op_sel:[0,0,1] op_sel_hi:[1,0,0]
	s_delay_alu instid0(VALU_DEP_1) | instskip(SKIP_4) | instid1(VALU_DEP_1)
	v_mov_b32_e32 v19, v13
	ds_load_2addr_b64 v[12:15], v154 offset0:43 offset1:44
	v_pk_add_f32 v[176:177], v[176:177], v[18:19] neg_lo:[0,1] neg_hi:[0,1]
	s_wait_dscnt 0x0
	v_pk_mul_f32 v[18:19], v[12:13], v[10:11] op_sel:[0,1]
	v_pk_fma_f32 v[28:29], v[12:13], v[8:9], v[18:19] op_sel:[0,0,1] op_sel_hi:[1,1,0] neg_lo:[0,0,1] neg_hi:[0,0,1]
	v_pk_fma_f32 v[12:13], v[12:13], v[8:9], v[18:19] op_sel:[0,0,1] op_sel_hi:[1,0,0]
	v_dual_mul_f32 v18, v15, v11 :: v_dual_mov_b32 v12, v15
	s_delay_alu instid0(VALU_DEP_2) | instskip(NEXT) | instid1(VALU_DEP_2)
	v_dual_mov_b32 v29, v13 :: v_dual_mov_b32 v13, v14
	v_pk_fma_f32 v[18:19], v[14:15], v[96:97], v[18:19] op_sel_hi:[1,1,0] neg_lo:[0,0,1] neg_hi:[0,0,1]
	v_mul_f32_e32 v14, v15, v8
	s_delay_alu instid0(VALU_DEP_3) | instskip(NEXT) | instid1(VALU_DEP_2)
	v_pk_add_f32 v[172:173], v[172:173], v[28:29] neg_lo:[0,1] neg_hi:[0,1]
	v_pk_fma_f32 v[12:13], v[12:13], v[96:97], v[14:15] op_sel_hi:[1,1,0]
	s_delay_alu instid0(VALU_DEP_1) | instskip(SKIP_4) | instid1(VALU_DEP_1)
	v_mov_b32_e32 v19, v13
	ds_load_2addr_b64 v[12:15], v154 offset0:45 offset1:46
	v_pk_add_f32 v[196:197], v[196:197], v[18:19] neg_lo:[0,1] neg_hi:[0,1]
	s_wait_dscnt 0x0
	v_pk_mul_f32 v[18:19], v[12:13], v[10:11] op_sel:[0,1]
	v_pk_fma_f32 v[28:29], v[12:13], v[8:9], v[18:19] op_sel:[0,0,1] op_sel_hi:[1,1,0] neg_lo:[0,0,1] neg_hi:[0,0,1]
	v_pk_fma_f32 v[12:13], v[12:13], v[8:9], v[18:19] op_sel:[0,0,1] op_sel_hi:[1,0,0]
	s_delay_alu instid0(VALU_DEP_1) | instskip(SKIP_1) | instid1(VALU_DEP_1)
	v_mov_b32_e32 v29, v13
	v_pk_mul_f32 v[12:13], v[14:15], v[10:11] op_sel:[0,1]
	v_pk_fma_f32 v[18:19], v[14:15], v[8:9], v[12:13] op_sel:[0,0,1] op_sel_hi:[1,1,0] neg_lo:[0,0,1] neg_hi:[0,0,1]
	v_pk_fma_f32 v[12:13], v[14:15], v[8:9], v[12:13] op_sel:[0,0,1] op_sel_hi:[1,0,0]
	s_delay_alu instid0(VALU_DEP_1)
	v_mov_b32_e32 v19, v13
	ds_load_2addr_b64 v[12:15], v154 offset0:47 offset1:48
	v_pk_add_f32 v[192:193], v[192:193], v[28:29] neg_lo:[0,1] neg_hi:[0,1]
	v_pk_add_f32 v[194:195], v[194:195], v[18:19] neg_lo:[0,1] neg_hi:[0,1]
	s_wait_dscnt 0x0
	v_pk_mul_f32 v[18:19], v[12:13], v[10:11] op_sel:[0,1]
	s_delay_alu instid0(VALU_DEP_1) | instskip(SKIP_1) | instid1(VALU_DEP_1)
	v_pk_fma_f32 v[28:29], v[12:13], v[8:9], v[18:19] op_sel:[0,0,1] op_sel_hi:[1,1,0] neg_lo:[0,0,1] neg_hi:[0,0,1]
	v_pk_fma_f32 v[12:13], v[12:13], v[8:9], v[18:19] op_sel:[0,0,1] op_sel_hi:[1,0,0]
	v_mov_b32_e32 v29, v13
	v_pk_mul_f32 v[12:13], v[14:15], v[10:11] op_sel:[0,1]
	s_delay_alu instid0(VALU_DEP_1) | instskip(SKIP_1) | instid1(VALU_DEP_1)
	v_pk_fma_f32 v[18:19], v[14:15], v[8:9], v[12:13] op_sel:[0,0,1] op_sel_hi:[1,1,0] neg_lo:[0,0,1] neg_hi:[0,0,1]
	v_pk_fma_f32 v[12:13], v[14:15], v[8:9], v[12:13] op_sel:[0,0,1] op_sel_hi:[1,0,0]
	v_mov_b32_e32 v19, v13
	ds_load_2addr_b64 v[12:15], v154 offset0:49 offset1:50
	v_pk_add_f32 v[190:191], v[190:191], v[28:29] neg_lo:[0,1] neg_hi:[0,1]
	v_pk_add_f32 v[216:217], v[216:217], v[18:19] neg_lo:[0,1] neg_hi:[0,1]
	s_wait_dscnt 0x0
	v_dual_mul_f32 v18, v13, v11 :: v_dual_mul_f32 v28, v13, v8
	s_delay_alu instid0(VALU_DEP_1) | instskip(NEXT) | instid1(VALU_DEP_2)
	v_pk_fma_f32 v[18:19], v[12:13], v[96:97], v[18:19] op_sel_hi:[1,1,0] neg_lo:[0,0,1] neg_hi:[0,0,1]
	v_pk_fma_f32 v[12:13], v[12:13], v[96:97], v[28:29] op_sel:[1,0,0] op_sel_hi:[0,1,0]
	s_delay_alu instid0(VALU_DEP_1) | instskip(SKIP_1) | instid1(VALU_DEP_2)
	v_mov_b32_e32 v19, v13
	v_pk_mul_f32 v[12:13], v[14:15], v[10:11] op_sel:[0,1]
	v_pk_add_f32 v[210:211], v[210:211], v[18:19] neg_lo:[0,1] neg_hi:[0,1]
	s_delay_alu instid0(VALU_DEP_2) | instskip(SKIP_1) | instid1(VALU_DEP_1)
	v_pk_fma_f32 v[18:19], v[14:15], v[8:9], v[12:13] op_sel:[0,0,1] op_sel_hi:[1,1,0] neg_lo:[0,0,1] neg_hi:[0,0,1]
	v_pk_fma_f32 v[12:13], v[14:15], v[8:9], v[12:13] op_sel:[0,0,1] op_sel_hi:[1,0,0]
	v_mov_b32_e32 v19, v13
	ds_load_2addr_b64 v[12:15], v154 offset0:51 offset1:52
	v_pk_add_f32 v[214:215], v[214:215], v[18:19] neg_lo:[0,1] neg_hi:[0,1]
	s_wait_dscnt 0x0
	v_pk_mul_f32 v[18:19], v[12:13], v[10:11] op_sel:[0,1]
	s_delay_alu instid0(VALU_DEP_1) | instskip(SKIP_1) | instid1(VALU_DEP_1)
	v_pk_fma_f32 v[28:29], v[12:13], v[8:9], v[18:19] op_sel:[0,0,1] op_sel_hi:[1,1,0] neg_lo:[0,0,1] neg_hi:[0,0,1]
	v_pk_fma_f32 v[12:13], v[12:13], v[8:9], v[18:19] op_sel:[0,0,1] op_sel_hi:[1,0,0]
	v_mov_b32_e32 v29, v13
	v_pk_mul_f32 v[12:13], v[14:15], v[10:11] op_sel:[0,1]
	s_delay_alu instid0(VALU_DEP_2) | instskip(NEXT) | instid1(VALU_DEP_2)
	v_pk_add_f32 v[208:209], v[208:209], v[28:29] neg_lo:[0,1] neg_hi:[0,1]
	v_pk_fma_f32 v[18:19], v[14:15], v[8:9], v[12:13] op_sel:[0,0,1] op_sel_hi:[1,1,0] neg_lo:[0,0,1] neg_hi:[0,0,1]
	v_pk_fma_f32 v[12:13], v[14:15], v[8:9], v[12:13] op_sel:[0,0,1] op_sel_hi:[1,0,0]
	s_delay_alu instid0(VALU_DEP_1)
	v_mov_b32_e32 v19, v13
	ds_load_2addr_b64 v[12:15], v154 offset0:53 offset1:54
	v_pk_add_f32 v[212:213], v[212:213], v[18:19] neg_lo:[0,1] neg_hi:[0,1]
	s_wait_dscnt 0x0
	v_pk_mul_f32 v[18:19], v[12:13], v[10:11] op_sel:[0,1]
	v_pk_mul_f32 v[10:11], v[14:15], v[10:11] op_sel:[0,1]
	s_delay_alu instid0(VALU_DEP_2) | instskip(SKIP_1) | instid1(VALU_DEP_1)
	v_pk_fma_f32 v[28:29], v[12:13], v[8:9], v[18:19] op_sel:[0,0,1] op_sel_hi:[1,1,0] neg_lo:[0,0,1] neg_hi:[0,0,1]
	v_pk_fma_f32 v[12:13], v[12:13], v[8:9], v[18:19] op_sel:[0,0,1] op_sel_hi:[1,0,0]
	v_mov_b32_e32 v29, v13
	s_delay_alu instid0(VALU_DEP_4) | instskip(SKIP_1) | instid1(VALU_DEP_3)
	v_pk_fma_f32 v[12:13], v[14:15], v[8:9], v[10:11] op_sel:[0,0,1] op_sel_hi:[1,1,0] neg_lo:[0,0,1] neg_hi:[0,0,1]
	v_pk_fma_f32 v[8:9], v[14:15], v[8:9], v[10:11] op_sel:[0,0,1] op_sel_hi:[1,0,0]
	v_pk_add_f32 v[218:219], v[218:219], v[28:29] neg_lo:[0,1] neg_hi:[0,1]
	s_delay_alu instid0(VALU_DEP_2) | instskip(NEXT) | instid1(VALU_DEP_1)
	v_mov_b32_e32 v13, v9
	v_pk_add_f32 v[220:221], v[220:221], v[12:13] neg_lo:[0,1] neg_hi:[0,1]
.LBB109_190:
	s_or_b32 exec_lo, exec_lo, s1
	s_delay_alu instid0(SALU_CYCLE_1)
	s_mov_b32 s2, exec_lo
	s_wait_dscnt 0x0
	s_barrier_signal -1
	s_barrier_wait -1
	v_cmpx_eq_u32_e32 21, v152
	s_cbranch_execz .LBB109_197
; %bb.191:
	v_dual_mov_b32 v8, v94 :: v_dual_mov_b32 v9, v95
	v_dual_mov_b32 v10, v90 :: v_dual_mov_b32 v11, v91
	ds_store_b64 v153, v[92:93]
	ds_store_2addr_b64 v154, v[8:9], v[10:11] offset0:22 offset1:23
	v_dual_mov_b32 v8, v114 :: v_dual_mov_b32 v9, v115
	v_dual_mov_b32 v10, v110 :: v_dual_mov_b32 v11, v111
	ds_store_2addr_b64 v154, v[8:9], v[10:11] offset0:24 offset1:25
	v_dual_mov_b32 v8, v112 :: v_dual_mov_b32 v9, v113
	v_dual_mov_b32 v10, v108 :: v_dual_mov_b32 v11, v109
	;; [unrolled: 3-line block ×15, first 2 shown]
	ds_store_2addr_b64 v154, v[8:9], v[10:11] offset0:52 offset1:53
	ds_store_b64 v154, v[220:221] offset:432
	ds_load_b64 v[8:9], v153
	s_wait_dscnt 0x0
	v_cmp_neq_f32_e32 vcc_lo, 0, v8
	v_cmp_neq_f32_e64 s1, 0, v9
	s_or_b32 s1, vcc_lo, s1
	s_delay_alu instid0(SALU_CYCLE_1)
	s_and_b32 exec_lo, exec_lo, s1
	s_cbranch_execz .LBB109_197
; %bb.192:
	v_cmp_ngt_f32_e64 s1, |v8|, |v9|
                                        ; implicit-def: $vgpr10_vgpr11
	s_and_saveexec_b32 s4, s1
	s_delay_alu instid0(SALU_CYCLE_1)
	s_xor_b32 s1, exec_lo, s4
	s_cbranch_execz .LBB109_194
; %bb.193:
	v_div_scale_f32 v10, null, v9, v9, v8
	v_div_scale_f32 v13, vcc_lo, v8, v9, v8
	s_delay_alu instid0(VALU_DEP_2) | instskip(SKIP_1) | instid1(TRANS32_DEP_1)
	v_rcp_f32_e32 v11, v10
	v_nop
	v_fma_f32 v12, -v10, v11, 1.0
	s_delay_alu instid0(VALU_DEP_1) | instskip(NEXT) | instid1(VALU_DEP_1)
	v_fmac_f32_e32 v11, v12, v11
	v_mul_f32_e32 v12, v13, v11
	s_delay_alu instid0(VALU_DEP_1) | instskip(NEXT) | instid1(VALU_DEP_1)
	v_fma_f32 v14, -v10, v12, v13
	v_fmac_f32_e32 v12, v14, v11
	s_delay_alu instid0(VALU_DEP_1) | instskip(NEXT) | instid1(VALU_DEP_1)
	v_fma_f32 v10, -v10, v12, v13
	v_div_fmas_f32 v10, v10, v11, v12
	s_delay_alu instid0(VALU_DEP_1) | instskip(NEXT) | instid1(VALU_DEP_1)
	v_div_fixup_f32 v10, v10, v9, v8
	v_fmac_f32_e32 v9, v8, v10
	s_delay_alu instid0(VALU_DEP_1) | instskip(SKIP_1) | instid1(VALU_DEP_2)
	v_div_scale_f32 v8, null, v9, v9, 1.0
	v_div_scale_f32 v13, vcc_lo, 1.0, v9, 1.0
	v_rcp_f32_e32 v11, v8
	v_nop
	s_delay_alu instid0(TRANS32_DEP_1) | instskip(NEXT) | instid1(VALU_DEP_1)
	v_fma_f32 v12, -v8, v11, 1.0
	v_fmac_f32_e32 v11, v12, v11
	s_delay_alu instid0(VALU_DEP_1) | instskip(NEXT) | instid1(VALU_DEP_1)
	v_mul_f32_e32 v12, v13, v11
	v_fma_f32 v14, -v8, v12, v13
	s_delay_alu instid0(VALU_DEP_1) | instskip(NEXT) | instid1(VALU_DEP_1)
	v_fmac_f32_e32 v12, v14, v11
	v_fma_f32 v8, -v8, v12, v13
	s_delay_alu instid0(VALU_DEP_1) | instskip(NEXT) | instid1(VALU_DEP_1)
	v_div_fmas_f32 v8, v8, v11, v12
	v_div_fixup_f32 v8, v8, v9, 1.0
	s_delay_alu instid0(VALU_DEP_1)
	v_mul_f32_e32 v10, v10, v8
	v_xor_b32_e32 v11, 0x80000000, v8
                                        ; implicit-def: $vgpr8_vgpr9
.LBB109_194:
	s_and_not1_saveexec_b32 s1, s1
	s_cbranch_execz .LBB109_196
; %bb.195:
	v_div_scale_f32 v10, null, v8, v8, v9
	v_div_scale_f32 v13, vcc_lo, v9, v8, v9
	s_delay_alu instid0(VALU_DEP_2) | instskip(SKIP_1) | instid1(TRANS32_DEP_1)
	v_rcp_f32_e32 v11, v10
	v_nop
	v_fma_f32 v12, -v10, v11, 1.0
	s_delay_alu instid0(VALU_DEP_1) | instskip(NEXT) | instid1(VALU_DEP_1)
	v_fmac_f32_e32 v11, v12, v11
	v_mul_f32_e32 v12, v13, v11
	s_delay_alu instid0(VALU_DEP_1) | instskip(NEXT) | instid1(VALU_DEP_1)
	v_fma_f32 v14, -v10, v12, v13
	v_fmac_f32_e32 v12, v14, v11
	s_delay_alu instid0(VALU_DEP_1) | instskip(NEXT) | instid1(VALU_DEP_1)
	v_fma_f32 v10, -v10, v12, v13
	v_div_fmas_f32 v10, v10, v11, v12
	s_delay_alu instid0(VALU_DEP_1) | instskip(NEXT) | instid1(VALU_DEP_1)
	v_div_fixup_f32 v11, v10, v8, v9
	v_fmac_f32_e32 v8, v9, v11
	s_delay_alu instid0(VALU_DEP_1) | instskip(NEXT) | instid1(VALU_DEP_1)
	v_div_scale_f32 v9, null, v8, v8, 1.0
	v_rcp_f32_e32 v10, v9
	v_nop
	s_delay_alu instid0(TRANS32_DEP_1) | instskip(NEXT) | instid1(VALU_DEP_1)
	v_fma_f32 v12, -v9, v10, 1.0
	v_fmac_f32_e32 v10, v12, v10
	v_div_scale_f32 v12, vcc_lo, 1.0, v8, 1.0
	s_delay_alu instid0(VALU_DEP_1) | instskip(NEXT) | instid1(VALU_DEP_1)
	v_mul_f32_e32 v13, v12, v10
	v_fma_f32 v14, -v9, v13, v12
	s_delay_alu instid0(VALU_DEP_1) | instskip(NEXT) | instid1(VALU_DEP_1)
	v_fmac_f32_e32 v13, v14, v10
	v_fma_f32 v9, -v9, v13, v12
	s_delay_alu instid0(VALU_DEP_1) | instskip(NEXT) | instid1(VALU_DEP_1)
	v_div_fmas_f32 v9, v9, v10, v13
	v_div_fixup_f32 v10, v9, v8, 1.0
	s_delay_alu instid0(VALU_DEP_1)
	v_mul_f32_e64 v11, v11, -v10
.LBB109_196:
	s_or_b32 exec_lo, exec_lo, s1
	ds_store_b64 v153, v[10:11]
.LBB109_197:
	s_or_b32 exec_lo, exec_lo, s2
	s_wait_dscnt 0x0
	s_barrier_signal -1
	s_barrier_wait -1
	ds_load_b64 v[8:9], v153
	s_mov_b32 s1, exec_lo
	v_cmpx_lt_u32_e32 21, v152
	s_cbranch_execz .LBB109_199
; %bb.198:
	ds_load_2addr_b64 v[28:31], v154 offset0:22 offset1:23
	s_wait_dscnt 0x1
	v_pk_mul_f32 v[12:13], v[8:9], v[92:93] op_sel:[1,1] op_sel_hi:[0,1]
	s_delay_alu instid0(VALU_DEP_1) | instskip(SKIP_1) | instid1(VALU_DEP_1)
	v_pk_fma_f32 v[10:11], v[8:9], v[92:93], v[12:13] op_sel_hi:[1,0,1] neg_lo:[0,0,1] neg_hi:[0,0,1]
	v_pk_fma_f32 v[12:13], v[8:9], v[92:93], v[12:13] op_sel_hi:[1,0,1]
	v_dual_mov_b32 v92, v10 :: v_dual_mov_b32 v93, v13
	s_wait_dscnt 0x0
	s_delay_alu instid0(VALU_DEP_2) | instskip(NEXT) | instid1(VALU_DEP_1)
	v_pk_mul_f32 v[14:15], v[28:29], v[12:13] op_sel:[0,1]
	v_pk_fma_f32 v[18:19], v[28:29], v[10:11], v[14:15] op_sel:[0,0,1] op_sel_hi:[1,1,0] neg_lo:[0,0,1] neg_hi:[0,0,1]
	v_pk_fma_f32 v[14:15], v[28:29], v[10:11], v[14:15] op_sel:[0,0,1] op_sel_hi:[1,0,0]
	s_delay_alu instid0(VALU_DEP_1) | instskip(SKIP_1) | instid1(VALU_DEP_2)
	v_mov_b32_e32 v19, v15
	v_pk_mul_f32 v[14:15], v[30:31], v[12:13] op_sel:[0,1]
	v_pk_add_f32 v[94:95], v[94:95], v[18:19] neg_lo:[0,1] neg_hi:[0,1]
	s_delay_alu instid0(VALU_DEP_2) | instskip(SKIP_3) | instid1(VALU_DEP_1)
	v_pk_fma_f32 v[18:19], v[30:31], v[10:11], v[14:15] op_sel:[0,0,1] op_sel_hi:[1,1,0] neg_lo:[0,0,1] neg_hi:[0,0,1]
	v_pk_fma_f32 v[14:15], v[30:31], v[10:11], v[14:15] op_sel:[0,0,1] op_sel_hi:[1,0,0]
	ds_load_2addr_b64 v[28:31], v154 offset0:24 offset1:25
	v_mov_b32_e32 v19, v15
	v_pk_add_f32 v[90:91], v[90:91], v[18:19] neg_lo:[0,1] neg_hi:[0,1]
	s_wait_dscnt 0x0
	v_pk_mul_f32 v[14:15], v[28:29], v[12:13] op_sel:[0,1]
	s_delay_alu instid0(VALU_DEP_1) | instskip(SKIP_2) | instid1(VALU_DEP_2)
	v_pk_fma_f32 v[18:19], v[28:29], v[10:11], v[14:15] op_sel:[0,0,1] op_sel_hi:[1,1,0] neg_lo:[0,0,1] neg_hi:[0,0,1]
	v_pk_fma_f32 v[14:15], v[28:29], v[10:11], v[14:15] op_sel:[0,0,1] op_sel_hi:[1,0,0]
	v_dual_mov_b32 v14, v31 :: v_dual_mul_f32 v28, v31, v10
	v_dual_mov_b32 v19, v15 :: v_dual_mov_b32 v15, v30
	s_delay_alu instid0(VALU_DEP_1) | instskip(SKIP_1) | instid1(VALU_DEP_3)
	v_pk_add_f32 v[114:115], v[114:115], v[18:19] neg_lo:[0,1] neg_hi:[0,1]
	v_mul_f32_e32 v18, v31, v13
	v_pk_fma_f32 v[14:15], v[14:15], v[92:93], v[28:29] op_sel_hi:[1,1,0]
	s_delay_alu instid0(VALU_DEP_2) | instskip(SKIP_2) | instid1(VALU_DEP_1)
	v_pk_fma_f32 v[18:19], v[30:31], v[92:93], v[18:19] op_sel_hi:[1,1,0] neg_lo:[0,0,1] neg_hi:[0,0,1]
	ds_load_2addr_b64 v[28:31], v154 offset0:26 offset1:27
	v_mov_b32_e32 v19, v15
	v_pk_add_f32 v[110:111], v[110:111], v[18:19] neg_lo:[0,1] neg_hi:[0,1]
	s_wait_dscnt 0x0
	v_pk_mul_f32 v[14:15], v[28:29], v[12:13] op_sel:[0,1]
	s_delay_alu instid0(VALU_DEP_1) | instskip(SKIP_1) | instid1(VALU_DEP_1)
	v_pk_fma_f32 v[18:19], v[28:29], v[10:11], v[14:15] op_sel:[0,0,1] op_sel_hi:[1,1,0] neg_lo:[0,0,1] neg_hi:[0,0,1]
	v_pk_fma_f32 v[14:15], v[28:29], v[10:11], v[14:15] op_sel:[0,0,1] op_sel_hi:[1,0,0]
	v_mov_b32_e32 v19, v15
	v_pk_mul_f32 v[14:15], v[30:31], v[12:13] op_sel:[0,1]
	s_delay_alu instid0(VALU_DEP_2) | instskip(NEXT) | instid1(VALU_DEP_2)
	v_pk_add_f32 v[112:113], v[112:113], v[18:19] neg_lo:[0,1] neg_hi:[0,1]
	v_pk_fma_f32 v[18:19], v[30:31], v[10:11], v[14:15] op_sel:[0,0,1] op_sel_hi:[1,1,0] neg_lo:[0,0,1] neg_hi:[0,0,1]
	v_pk_fma_f32 v[14:15], v[30:31], v[10:11], v[14:15] op_sel:[0,0,1] op_sel_hi:[1,0,0]
	ds_load_2addr_b64 v[28:31], v154 offset0:28 offset1:29
	v_mov_b32_e32 v19, v15
	s_delay_alu instid0(VALU_DEP_1) | instskip(SKIP_2) | instid1(VALU_DEP_1)
	v_pk_add_f32 v[108:109], v[108:109], v[18:19] neg_lo:[0,1] neg_hi:[0,1]
	s_wait_dscnt 0x0
	v_pk_mul_f32 v[14:15], v[28:29], v[12:13] op_sel:[0,1]
	v_pk_fma_f32 v[18:19], v[28:29], v[10:11], v[14:15] op_sel:[0,0,1] op_sel_hi:[1,1,0] neg_lo:[0,0,1] neg_hi:[0,0,1]
	v_pk_fma_f32 v[14:15], v[28:29], v[10:11], v[14:15] op_sel:[0,0,1] op_sel_hi:[1,0,0]
	s_delay_alu instid0(VALU_DEP_1) | instskip(SKIP_1) | instid1(VALU_DEP_2)
	v_mov_b32_e32 v19, v15
	v_pk_mul_f32 v[14:15], v[30:31], v[12:13] op_sel:[0,1]
	v_pk_add_f32 v[130:131], v[130:131], v[18:19] neg_lo:[0,1] neg_hi:[0,1]
	s_delay_alu instid0(VALU_DEP_2) | instskip(SKIP_3) | instid1(VALU_DEP_1)
	v_pk_fma_f32 v[18:19], v[30:31], v[10:11], v[14:15] op_sel:[0,0,1] op_sel_hi:[1,1,0] neg_lo:[0,0,1] neg_hi:[0,0,1]
	v_pk_fma_f32 v[14:15], v[30:31], v[10:11], v[14:15] op_sel:[0,0,1] op_sel_hi:[1,0,0]
	ds_load_2addr_b64 v[28:31], v154 offset0:30 offset1:31
	v_mov_b32_e32 v19, v15
	v_pk_add_f32 v[126:127], v[126:127], v[18:19] neg_lo:[0,1] neg_hi:[0,1]
	s_wait_dscnt 0x0
	v_dual_mul_f32 v18, v29, v10 :: v_dual_mul_f32 v14, v29, v13
	s_delay_alu instid0(VALU_DEP_1) | instskip(NEXT) | instid1(VALU_DEP_2)
	v_pk_fma_f32 v[18:19], v[28:29], v[92:93], v[18:19] op_sel:[1,0,0] op_sel_hi:[0,1,0]
	v_pk_fma_f32 v[14:15], v[28:29], v[92:93], v[14:15] op_sel_hi:[1,1,0] neg_lo:[0,0,1] neg_hi:[0,0,1]
	s_delay_alu instid0(VALU_DEP_2) | instskip(NEXT) | instid1(VALU_DEP_1)
	v_mov_b32_e32 v15, v19
	v_pk_add_f32 v[128:129], v[128:129], v[14:15] neg_lo:[0,1] neg_hi:[0,1]
	v_pk_mul_f32 v[14:15], v[30:31], v[12:13] op_sel:[0,1]
	s_delay_alu instid0(VALU_DEP_1) | instskip(SKIP_3) | instid1(VALU_DEP_1)
	v_pk_fma_f32 v[18:19], v[30:31], v[10:11], v[14:15] op_sel:[0,0,1] op_sel_hi:[1,1,0] neg_lo:[0,0,1] neg_hi:[0,0,1]
	v_pk_fma_f32 v[14:15], v[30:31], v[10:11], v[14:15] op_sel:[0,0,1] op_sel_hi:[1,0,0]
	ds_load_2addr_b64 v[28:31], v154 offset0:32 offset1:33
	v_mov_b32_e32 v19, v15
	v_pk_add_f32 v[124:125], v[124:125], v[18:19] neg_lo:[0,1] neg_hi:[0,1]
	s_wait_dscnt 0x0
	v_pk_mul_f32 v[14:15], v[28:29], v[12:13] op_sel:[0,1]
	s_delay_alu instid0(VALU_DEP_1) | instskip(SKIP_1) | instid1(VALU_DEP_1)
	v_pk_fma_f32 v[18:19], v[28:29], v[10:11], v[14:15] op_sel:[0,0,1] op_sel_hi:[1,1,0] neg_lo:[0,0,1] neg_hi:[0,0,1]
	v_pk_fma_f32 v[14:15], v[28:29], v[10:11], v[14:15] op_sel:[0,0,1] op_sel_hi:[1,0,0]
	v_mov_b32_e32 v19, v15
	v_pk_mul_f32 v[14:15], v[30:31], v[12:13] op_sel:[0,1]
	s_delay_alu instid0(VALU_DEP_2) | instskip(NEXT) | instid1(VALU_DEP_2)
	v_pk_add_f32 v[146:147], v[146:147], v[18:19] neg_lo:[0,1] neg_hi:[0,1]
	v_pk_fma_f32 v[18:19], v[30:31], v[10:11], v[14:15] op_sel:[0,0,1] op_sel_hi:[1,1,0] neg_lo:[0,0,1] neg_hi:[0,0,1]
	v_pk_fma_f32 v[14:15], v[30:31], v[10:11], v[14:15] op_sel:[0,0,1] op_sel_hi:[1,0,0]
	ds_load_2addr_b64 v[28:31], v154 offset0:34 offset1:35
	v_mov_b32_e32 v19, v15
	s_delay_alu instid0(VALU_DEP_1) | instskip(SKIP_2) | instid1(VALU_DEP_1)
	v_pk_add_f32 v[142:143], v[142:143], v[18:19] neg_lo:[0,1] neg_hi:[0,1]
	s_wait_dscnt 0x0
	v_pk_mul_f32 v[14:15], v[28:29], v[12:13] op_sel:[0,1]
	v_pk_fma_f32 v[18:19], v[28:29], v[10:11], v[14:15] op_sel:[0,0,1] op_sel_hi:[1,1,0] neg_lo:[0,0,1] neg_hi:[0,0,1]
	v_pk_fma_f32 v[14:15], v[28:29], v[10:11], v[14:15] op_sel:[0,0,1] op_sel_hi:[1,0,0]
	v_dual_mov_b32 v14, v31 :: v_dual_mul_f32 v28, v31, v10
	s_delay_alu instid0(VALU_DEP_2) | instskip(NEXT) | instid1(VALU_DEP_1)
	v_dual_mov_b32 v19, v15 :: v_dual_mov_b32 v15, v30
	v_pk_add_f32 v[144:145], v[144:145], v[18:19] neg_lo:[0,1] neg_hi:[0,1]
	v_mul_f32_e32 v18, v31, v13
	s_delay_alu instid0(VALU_DEP_3) | instskip(NEXT) | instid1(VALU_DEP_2)
	v_pk_fma_f32 v[14:15], v[14:15], v[92:93], v[28:29] op_sel_hi:[1,1,0]
	v_pk_fma_f32 v[18:19], v[30:31], v[92:93], v[18:19] op_sel_hi:[1,1,0] neg_lo:[0,0,1] neg_hi:[0,0,1]
	ds_load_2addr_b64 v[28:31], v154 offset0:36 offset1:37
	v_mov_b32_e32 v19, v15
	s_delay_alu instid0(VALU_DEP_1) | instskip(SKIP_2) | instid1(VALU_DEP_1)
	v_pk_add_f32 v[140:141], v[140:141], v[18:19] neg_lo:[0,1] neg_hi:[0,1]
	s_wait_dscnt 0x0
	v_pk_mul_f32 v[14:15], v[28:29], v[12:13] op_sel:[0,1]
	v_pk_fma_f32 v[18:19], v[28:29], v[10:11], v[14:15] op_sel:[0,0,1] op_sel_hi:[1,1,0] neg_lo:[0,0,1] neg_hi:[0,0,1]
	v_pk_fma_f32 v[14:15], v[28:29], v[10:11], v[14:15] op_sel:[0,0,1] op_sel_hi:[1,0,0]
	s_delay_alu instid0(VALU_DEP_1) | instskip(SKIP_1) | instid1(VALU_DEP_2)
	v_mov_b32_e32 v19, v15
	v_pk_mul_f32 v[14:15], v[30:31], v[12:13] op_sel:[0,1]
	v_pk_add_f32 v[162:163], v[162:163], v[18:19] neg_lo:[0,1] neg_hi:[0,1]
	s_delay_alu instid0(VALU_DEP_2) | instskip(SKIP_3) | instid1(VALU_DEP_1)
	v_pk_fma_f32 v[18:19], v[30:31], v[10:11], v[14:15] op_sel:[0,0,1] op_sel_hi:[1,1,0] neg_lo:[0,0,1] neg_hi:[0,0,1]
	v_pk_fma_f32 v[14:15], v[30:31], v[10:11], v[14:15] op_sel:[0,0,1] op_sel_hi:[1,0,0]
	ds_load_2addr_b64 v[28:31], v154 offset0:38 offset1:39
	v_mov_b32_e32 v19, v15
	v_pk_add_f32 v[158:159], v[158:159], v[18:19] neg_lo:[0,1] neg_hi:[0,1]
	s_wait_dscnt 0x0
	v_pk_mul_f32 v[14:15], v[28:29], v[12:13] op_sel:[0,1]
	s_delay_alu instid0(VALU_DEP_1) | instskip(SKIP_1) | instid1(VALU_DEP_1)
	v_pk_fma_f32 v[18:19], v[28:29], v[10:11], v[14:15] op_sel:[0,0,1] op_sel_hi:[1,1,0] neg_lo:[0,0,1] neg_hi:[0,0,1]
	v_pk_fma_f32 v[14:15], v[28:29], v[10:11], v[14:15] op_sel:[0,0,1] op_sel_hi:[1,0,0]
	v_mov_b32_e32 v19, v15
	v_pk_mul_f32 v[14:15], v[30:31], v[12:13] op_sel:[0,1]
	s_delay_alu instid0(VALU_DEP_2) | instskip(NEXT) | instid1(VALU_DEP_2)
	v_pk_add_f32 v[160:161], v[160:161], v[18:19] neg_lo:[0,1] neg_hi:[0,1]
	v_pk_fma_f32 v[18:19], v[30:31], v[10:11], v[14:15] op_sel:[0,0,1] op_sel_hi:[1,1,0] neg_lo:[0,0,1] neg_hi:[0,0,1]
	v_pk_fma_f32 v[14:15], v[30:31], v[10:11], v[14:15] op_sel:[0,0,1] op_sel_hi:[1,0,0]
	ds_load_2addr_b64 v[28:31], v154 offset0:40 offset1:41
	v_mov_b32_e32 v19, v15
	s_delay_alu instid0(VALU_DEP_1) | instskip(SKIP_2) | instid1(VALU_DEP_1)
	v_pk_add_f32 v[156:157], v[156:157], v[18:19] neg_lo:[0,1] neg_hi:[0,1]
	s_wait_dscnt 0x0
	v_dual_mul_f32 v18, v29, v10 :: v_dual_mul_f32 v14, v29, v13
	v_pk_fma_f32 v[18:19], v[28:29], v[92:93], v[18:19] op_sel:[1,0,0] op_sel_hi:[0,1,0]
	s_delay_alu instid0(VALU_DEP_2) | instskip(NEXT) | instid1(VALU_DEP_2)
	v_pk_fma_f32 v[14:15], v[28:29], v[92:93], v[14:15] op_sel_hi:[1,1,0] neg_lo:[0,0,1] neg_hi:[0,0,1]
	v_mov_b32_e32 v15, v19
	s_delay_alu instid0(VALU_DEP_1) | instskip(SKIP_1) | instid1(VALU_DEP_1)
	v_pk_add_f32 v[178:179], v[178:179], v[14:15] neg_lo:[0,1] neg_hi:[0,1]
	v_pk_mul_f32 v[14:15], v[30:31], v[12:13] op_sel:[0,1]
	v_pk_fma_f32 v[18:19], v[30:31], v[10:11], v[14:15] op_sel:[0,0,1] op_sel_hi:[1,1,0] neg_lo:[0,0,1] neg_hi:[0,0,1]
	v_pk_fma_f32 v[14:15], v[30:31], v[10:11], v[14:15] op_sel:[0,0,1] op_sel_hi:[1,0,0]
	ds_load_2addr_b64 v[28:31], v154 offset0:42 offset1:43
	v_mov_b32_e32 v19, v15
	s_delay_alu instid0(VALU_DEP_1) | instskip(SKIP_2) | instid1(VALU_DEP_1)
	v_pk_add_f32 v[174:175], v[174:175], v[18:19] neg_lo:[0,1] neg_hi:[0,1]
	s_wait_dscnt 0x0
	v_pk_mul_f32 v[14:15], v[28:29], v[12:13] op_sel:[0,1]
	v_pk_fma_f32 v[18:19], v[28:29], v[10:11], v[14:15] op_sel:[0,0,1] op_sel_hi:[1,1,0] neg_lo:[0,0,1] neg_hi:[0,0,1]
	v_pk_fma_f32 v[14:15], v[28:29], v[10:11], v[14:15] op_sel:[0,0,1] op_sel_hi:[1,0,0]
	s_delay_alu instid0(VALU_DEP_1) | instskip(SKIP_1) | instid1(VALU_DEP_2)
	v_mov_b32_e32 v19, v15
	v_pk_mul_f32 v[14:15], v[30:31], v[12:13] op_sel:[0,1]
	v_pk_add_f32 v[176:177], v[176:177], v[18:19] neg_lo:[0,1] neg_hi:[0,1]
	s_delay_alu instid0(VALU_DEP_2) | instskip(SKIP_3) | instid1(VALU_DEP_1)
	v_pk_fma_f32 v[18:19], v[30:31], v[10:11], v[14:15] op_sel:[0,0,1] op_sel_hi:[1,1,0] neg_lo:[0,0,1] neg_hi:[0,0,1]
	v_pk_fma_f32 v[14:15], v[30:31], v[10:11], v[14:15] op_sel:[0,0,1] op_sel_hi:[1,0,0]
	ds_load_2addr_b64 v[28:31], v154 offset0:44 offset1:45
	v_mov_b32_e32 v19, v15
	v_pk_add_f32 v[172:173], v[172:173], v[18:19] neg_lo:[0,1] neg_hi:[0,1]
	s_wait_dscnt 0x0
	v_pk_mul_f32 v[14:15], v[28:29], v[12:13] op_sel:[0,1]
	s_delay_alu instid0(VALU_DEP_1) | instskip(SKIP_2) | instid1(VALU_DEP_2)
	v_pk_fma_f32 v[18:19], v[28:29], v[10:11], v[14:15] op_sel:[0,0,1] op_sel_hi:[1,1,0] neg_lo:[0,0,1] neg_hi:[0,0,1]
	v_pk_fma_f32 v[14:15], v[28:29], v[10:11], v[14:15] op_sel:[0,0,1] op_sel_hi:[1,0,0]
	v_dual_mov_b32 v14, v31 :: v_dual_mul_f32 v28, v31, v10
	v_dual_mov_b32 v19, v15 :: v_dual_mov_b32 v15, v30
	s_delay_alu instid0(VALU_DEP_1) | instskip(SKIP_1) | instid1(VALU_DEP_3)
	v_pk_add_f32 v[196:197], v[196:197], v[18:19] neg_lo:[0,1] neg_hi:[0,1]
	v_mul_f32_e32 v18, v31, v13
	v_pk_fma_f32 v[14:15], v[14:15], v[92:93], v[28:29] op_sel_hi:[1,1,0]
	s_delay_alu instid0(VALU_DEP_2) | instskip(SKIP_2) | instid1(VALU_DEP_1)
	v_pk_fma_f32 v[18:19], v[30:31], v[92:93], v[18:19] op_sel_hi:[1,1,0] neg_lo:[0,0,1] neg_hi:[0,0,1]
	ds_load_2addr_b64 v[28:31], v154 offset0:46 offset1:47
	v_mov_b32_e32 v19, v15
	v_pk_add_f32 v[192:193], v[192:193], v[18:19] neg_lo:[0,1] neg_hi:[0,1]
	s_wait_dscnt 0x0
	v_pk_mul_f32 v[14:15], v[28:29], v[12:13] op_sel:[0,1]
	s_delay_alu instid0(VALU_DEP_1) | instskip(SKIP_1) | instid1(VALU_DEP_1)
	v_pk_fma_f32 v[18:19], v[28:29], v[10:11], v[14:15] op_sel:[0,0,1] op_sel_hi:[1,1,0] neg_lo:[0,0,1] neg_hi:[0,0,1]
	v_pk_fma_f32 v[14:15], v[28:29], v[10:11], v[14:15] op_sel:[0,0,1] op_sel_hi:[1,0,0]
	v_mov_b32_e32 v19, v15
	v_pk_mul_f32 v[14:15], v[30:31], v[12:13] op_sel:[0,1]
	s_delay_alu instid0(VALU_DEP_2) | instskip(NEXT) | instid1(VALU_DEP_2)
	v_pk_add_f32 v[194:195], v[194:195], v[18:19] neg_lo:[0,1] neg_hi:[0,1]
	v_pk_fma_f32 v[18:19], v[30:31], v[10:11], v[14:15] op_sel:[0,0,1] op_sel_hi:[1,1,0] neg_lo:[0,0,1] neg_hi:[0,0,1]
	v_pk_fma_f32 v[14:15], v[30:31], v[10:11], v[14:15] op_sel:[0,0,1] op_sel_hi:[1,0,0]
	ds_load_2addr_b64 v[28:31], v154 offset0:48 offset1:49
	v_mov_b32_e32 v19, v15
	s_delay_alu instid0(VALU_DEP_1) | instskip(SKIP_2) | instid1(VALU_DEP_1)
	v_pk_add_f32 v[190:191], v[190:191], v[18:19] neg_lo:[0,1] neg_hi:[0,1]
	s_wait_dscnt 0x0
	v_pk_mul_f32 v[14:15], v[28:29], v[12:13] op_sel:[0,1]
	v_pk_fma_f32 v[18:19], v[28:29], v[10:11], v[14:15] op_sel:[0,0,1] op_sel_hi:[1,1,0] neg_lo:[0,0,1] neg_hi:[0,0,1]
	v_pk_fma_f32 v[14:15], v[28:29], v[10:11], v[14:15] op_sel:[0,0,1] op_sel_hi:[1,0,0]
	s_delay_alu instid0(VALU_DEP_1) | instskip(SKIP_1) | instid1(VALU_DEP_2)
	v_mov_b32_e32 v19, v15
	v_pk_mul_f32 v[14:15], v[30:31], v[12:13] op_sel:[0,1]
	v_pk_add_f32 v[216:217], v[216:217], v[18:19] neg_lo:[0,1] neg_hi:[0,1]
	s_delay_alu instid0(VALU_DEP_2) | instskip(SKIP_3) | instid1(VALU_DEP_1)
	v_pk_fma_f32 v[18:19], v[30:31], v[10:11], v[14:15] op_sel:[0,0,1] op_sel_hi:[1,1,0] neg_lo:[0,0,1] neg_hi:[0,0,1]
	v_pk_fma_f32 v[14:15], v[30:31], v[10:11], v[14:15] op_sel:[0,0,1] op_sel_hi:[1,0,0]
	ds_load_2addr_b64 v[28:31], v154 offset0:50 offset1:51
	v_mov_b32_e32 v19, v15
	v_pk_add_f32 v[210:211], v[210:211], v[18:19] neg_lo:[0,1] neg_hi:[0,1]
	s_wait_dscnt 0x0
	v_dual_mul_f32 v18, v29, v10 :: v_dual_mul_f32 v14, v29, v13
	s_delay_alu instid0(VALU_DEP_1) | instskip(NEXT) | instid1(VALU_DEP_2)
	v_pk_fma_f32 v[18:19], v[28:29], v[92:93], v[18:19] op_sel:[1,0,0] op_sel_hi:[0,1,0]
	v_pk_fma_f32 v[14:15], v[28:29], v[92:93], v[14:15] op_sel_hi:[1,1,0] neg_lo:[0,0,1] neg_hi:[0,0,1]
	s_delay_alu instid0(VALU_DEP_2) | instskip(NEXT) | instid1(VALU_DEP_1)
	v_mov_b32_e32 v15, v19
	v_pk_add_f32 v[214:215], v[214:215], v[14:15] neg_lo:[0,1] neg_hi:[0,1]
	v_pk_mul_f32 v[14:15], v[30:31], v[12:13] op_sel:[0,1]
	s_delay_alu instid0(VALU_DEP_1) | instskip(SKIP_3) | instid1(VALU_DEP_1)
	v_pk_fma_f32 v[18:19], v[30:31], v[10:11], v[14:15] op_sel:[0,0,1] op_sel_hi:[1,1,0] neg_lo:[0,0,1] neg_hi:[0,0,1]
	v_pk_fma_f32 v[14:15], v[30:31], v[10:11], v[14:15] op_sel:[0,0,1] op_sel_hi:[1,0,0]
	ds_load_2addr_b64 v[28:31], v154 offset0:52 offset1:53
	v_mov_b32_e32 v19, v15
	v_pk_add_f32 v[208:209], v[208:209], v[18:19] neg_lo:[0,1] neg_hi:[0,1]
	s_wait_dscnt 0x0
	v_pk_mul_f32 v[14:15], v[28:29], v[12:13] op_sel:[0,1]
	s_delay_alu instid0(VALU_DEP_1) | instskip(SKIP_1) | instid1(VALU_DEP_1)
	v_pk_fma_f32 v[18:19], v[28:29], v[10:11], v[14:15] op_sel:[0,0,1] op_sel_hi:[1,1,0] neg_lo:[0,0,1] neg_hi:[0,0,1]
	v_pk_fma_f32 v[14:15], v[28:29], v[10:11], v[14:15] op_sel:[0,0,1] op_sel_hi:[1,0,0]
	v_mov_b32_e32 v19, v15
	v_pk_mul_f32 v[14:15], v[30:31], v[12:13] op_sel:[0,1]
	s_delay_alu instid0(VALU_DEP_2) | instskip(NEXT) | instid1(VALU_DEP_2)
	v_pk_add_f32 v[212:213], v[212:213], v[18:19] neg_lo:[0,1] neg_hi:[0,1]
	v_pk_fma_f32 v[18:19], v[30:31], v[10:11], v[14:15] op_sel:[0,0,1] op_sel_hi:[1,1,0] neg_lo:[0,0,1] neg_hi:[0,0,1]
	v_pk_fma_f32 v[14:15], v[30:31], v[10:11], v[14:15] op_sel:[0,0,1] op_sel_hi:[1,0,0]
	s_delay_alu instid0(VALU_DEP_1) | instskip(SKIP_4) | instid1(VALU_DEP_1)
	v_mov_b32_e32 v19, v15
	ds_load_b64 v[14:15], v154 offset:432
	v_pk_add_f32 v[218:219], v[218:219], v[18:19] neg_lo:[0,1] neg_hi:[0,1]
	s_wait_dscnt 0x0
	v_pk_mul_f32 v[12:13], v[14:15], v[12:13] op_sel:[0,1]
	v_pk_fma_f32 v[18:19], v[14:15], v[10:11], v[12:13] op_sel:[0,0,1] op_sel_hi:[1,1,0] neg_lo:[0,0,1] neg_hi:[0,0,1]
	v_pk_fma_f32 v[10:11], v[14:15], v[10:11], v[12:13] op_sel:[0,0,1] op_sel_hi:[1,0,0]
	s_delay_alu instid0(VALU_DEP_1) | instskip(NEXT) | instid1(VALU_DEP_1)
	v_mov_b32_e32 v19, v11
	v_pk_add_f32 v[220:221], v[220:221], v[18:19] neg_lo:[0,1] neg_hi:[0,1]
.LBB109_199:
	s_or_b32 exec_lo, exec_lo, s1
	s_delay_alu instid0(SALU_CYCLE_1)
	s_mov_b32 s2, exec_lo
	s_wait_dscnt 0x0
	s_barrier_signal -1
	s_barrier_wait -1
	v_cmpx_eq_u32_e32 22, v152
	s_cbranch_execz .LBB109_206
; %bb.200:
	ds_store_b64 v153, v[94:95]
	ds_store_2addr_b64 v154, v[90:91], v[114:115] offset0:23 offset1:24
	ds_store_2addr_b64 v154, v[110:111], v[112:113] offset0:25 offset1:26
	;; [unrolled: 1-line block ×16, first 2 shown]
	ds_load_b64 v[10:11], v153
	s_wait_dscnt 0x0
	v_cmp_neq_f32_e32 vcc_lo, 0, v10
	v_cmp_neq_f32_e64 s1, 0, v11
	s_or_b32 s1, vcc_lo, s1
	s_delay_alu instid0(SALU_CYCLE_1)
	s_and_b32 exec_lo, exec_lo, s1
	s_cbranch_execz .LBB109_206
; %bb.201:
	v_cmp_ngt_f32_e64 s1, |v10|, |v11|
                                        ; implicit-def: $vgpr12_vgpr13
	s_and_saveexec_b32 s4, s1
	s_delay_alu instid0(SALU_CYCLE_1)
	s_xor_b32 s1, exec_lo, s4
	s_cbranch_execz .LBB109_203
; %bb.202:
	v_div_scale_f32 v12, null, v11, v11, v10
	v_div_scale_f32 v15, vcc_lo, v10, v11, v10
	s_delay_alu instid0(VALU_DEP_2) | instskip(SKIP_1) | instid1(TRANS32_DEP_1)
	v_rcp_f32_e32 v13, v12
	v_nop
	v_fma_f32 v14, -v12, v13, 1.0
	s_delay_alu instid0(VALU_DEP_1) | instskip(NEXT) | instid1(VALU_DEP_1)
	v_fmac_f32_e32 v13, v14, v13
	v_mul_f32_e32 v14, v15, v13
	s_delay_alu instid0(VALU_DEP_1) | instskip(NEXT) | instid1(VALU_DEP_1)
	v_fma_f32 v18, -v12, v14, v15
	v_fmac_f32_e32 v14, v18, v13
	s_delay_alu instid0(VALU_DEP_1) | instskip(NEXT) | instid1(VALU_DEP_1)
	v_fma_f32 v12, -v12, v14, v15
	v_div_fmas_f32 v12, v12, v13, v14
	s_delay_alu instid0(VALU_DEP_1) | instskip(NEXT) | instid1(VALU_DEP_1)
	v_div_fixup_f32 v12, v12, v11, v10
	v_fmac_f32_e32 v11, v10, v12
	s_delay_alu instid0(VALU_DEP_1) | instskip(SKIP_1) | instid1(VALU_DEP_2)
	v_div_scale_f32 v10, null, v11, v11, 1.0
	v_div_scale_f32 v15, vcc_lo, 1.0, v11, 1.0
	v_rcp_f32_e32 v13, v10
	v_nop
	s_delay_alu instid0(TRANS32_DEP_1) | instskip(NEXT) | instid1(VALU_DEP_1)
	v_fma_f32 v14, -v10, v13, 1.0
	v_fmac_f32_e32 v13, v14, v13
	s_delay_alu instid0(VALU_DEP_1) | instskip(NEXT) | instid1(VALU_DEP_1)
	v_mul_f32_e32 v14, v15, v13
	v_fma_f32 v18, -v10, v14, v15
	s_delay_alu instid0(VALU_DEP_1) | instskip(NEXT) | instid1(VALU_DEP_1)
	v_fmac_f32_e32 v14, v18, v13
	v_fma_f32 v10, -v10, v14, v15
	s_delay_alu instid0(VALU_DEP_1) | instskip(NEXT) | instid1(VALU_DEP_1)
	v_div_fmas_f32 v10, v10, v13, v14
	v_div_fixup_f32 v10, v10, v11, 1.0
	s_delay_alu instid0(VALU_DEP_1)
	v_mul_f32_e32 v12, v12, v10
	v_xor_b32_e32 v13, 0x80000000, v10
                                        ; implicit-def: $vgpr10_vgpr11
.LBB109_203:
	s_and_not1_saveexec_b32 s1, s1
	s_cbranch_execz .LBB109_205
; %bb.204:
	v_div_scale_f32 v12, null, v10, v10, v11
	v_div_scale_f32 v15, vcc_lo, v11, v10, v11
	s_delay_alu instid0(VALU_DEP_2) | instskip(SKIP_1) | instid1(TRANS32_DEP_1)
	v_rcp_f32_e32 v13, v12
	v_nop
	v_fma_f32 v14, -v12, v13, 1.0
	s_delay_alu instid0(VALU_DEP_1) | instskip(NEXT) | instid1(VALU_DEP_1)
	v_fmac_f32_e32 v13, v14, v13
	v_mul_f32_e32 v14, v15, v13
	s_delay_alu instid0(VALU_DEP_1) | instskip(NEXT) | instid1(VALU_DEP_1)
	v_fma_f32 v18, -v12, v14, v15
	v_fmac_f32_e32 v14, v18, v13
	s_delay_alu instid0(VALU_DEP_1) | instskip(NEXT) | instid1(VALU_DEP_1)
	v_fma_f32 v12, -v12, v14, v15
	v_div_fmas_f32 v12, v12, v13, v14
	s_delay_alu instid0(VALU_DEP_1) | instskip(NEXT) | instid1(VALU_DEP_1)
	v_div_fixup_f32 v13, v12, v10, v11
	v_fmac_f32_e32 v10, v11, v13
	s_delay_alu instid0(VALU_DEP_1) | instskip(NEXT) | instid1(VALU_DEP_1)
	v_div_scale_f32 v11, null, v10, v10, 1.0
	v_rcp_f32_e32 v12, v11
	v_nop
	s_delay_alu instid0(TRANS32_DEP_1) | instskip(NEXT) | instid1(VALU_DEP_1)
	v_fma_f32 v14, -v11, v12, 1.0
	v_fmac_f32_e32 v12, v14, v12
	v_div_scale_f32 v14, vcc_lo, 1.0, v10, 1.0
	s_delay_alu instid0(VALU_DEP_1) | instskip(NEXT) | instid1(VALU_DEP_1)
	v_mul_f32_e32 v15, v14, v12
	v_fma_f32 v18, -v11, v15, v14
	s_delay_alu instid0(VALU_DEP_1) | instskip(NEXT) | instid1(VALU_DEP_1)
	v_fmac_f32_e32 v15, v18, v12
	v_fma_f32 v11, -v11, v15, v14
	s_delay_alu instid0(VALU_DEP_1) | instskip(NEXT) | instid1(VALU_DEP_1)
	v_div_fmas_f32 v11, v11, v12, v15
	v_div_fixup_f32 v12, v11, v10, 1.0
	s_delay_alu instid0(VALU_DEP_1)
	v_mul_f32_e64 v13, v13, -v12
.LBB109_205:
	s_or_b32 exec_lo, exec_lo, s1
	ds_store_b64 v153, v[12:13]
.LBB109_206:
	s_or_b32 exec_lo, exec_lo, s2
	s_wait_dscnt 0x0
	s_barrier_signal -1
	s_barrier_wait -1
	ds_load_b64 v[10:11], v153
	s_mov_b32 s1, exec_lo
	v_cmpx_lt_u32_e32 22, v152
	s_cbranch_execz .LBB109_208
; %bb.207:
	ds_load_2addr_b64 v[28:31], v154 offset0:23 offset1:24
	s_wait_dscnt 0x1
	v_pk_mul_f32 v[14:15], v[10:11], v[94:95] op_sel:[1,1] op_sel_hi:[0,1]
	s_delay_alu instid0(VALU_DEP_1) | instskip(SKIP_1) | instid1(VALU_DEP_1)
	v_pk_fma_f32 v[12:13], v[10:11], v[94:95], v[14:15] op_sel_hi:[1,0,1] neg_lo:[0,0,1] neg_hi:[0,0,1]
	v_pk_fma_f32 v[14:15], v[10:11], v[94:95], v[14:15] op_sel_hi:[1,0,1]
	v_dual_mov_b32 v94, v12 :: v_dual_mov_b32 v95, v15
	s_wait_dscnt 0x0
	s_delay_alu instid0(VALU_DEP_2) | instskip(NEXT) | instid1(VALU_DEP_1)
	v_pk_mul_f32 v[18:19], v[28:29], v[14:15] op_sel:[0,1]
	v_pk_fma_f32 v[32:33], v[28:29], v[12:13], v[18:19] op_sel:[0,0,1] op_sel_hi:[1,1,0] neg_lo:[0,0,1] neg_hi:[0,0,1]
	v_pk_fma_f32 v[18:19], v[28:29], v[12:13], v[18:19] op_sel:[0,0,1] op_sel_hi:[1,0,0]
	s_delay_alu instid0(VALU_DEP_1) | instskip(SKIP_1) | instid1(VALU_DEP_1)
	v_mov_b32_e32 v33, v19
	v_pk_mul_f32 v[18:19], v[30:31], v[14:15] op_sel:[0,1]
	v_pk_fma_f32 v[28:29], v[30:31], v[12:13], v[18:19] op_sel:[0,0,1] op_sel_hi:[1,1,0] neg_lo:[0,0,1] neg_hi:[0,0,1]
	v_pk_fma_f32 v[18:19], v[30:31], v[12:13], v[18:19] op_sel:[0,0,1] op_sel_hi:[1,0,0]
	s_delay_alu instid0(VALU_DEP_1) | instskip(SKIP_1) | instid1(VALU_DEP_2)
	v_mov_b32_e32 v29, v19
	v_pk_add_f32 v[90:91], v[90:91], v[32:33] neg_lo:[0,1] neg_hi:[0,1]
	v_pk_add_f32 v[114:115], v[114:115], v[28:29] neg_lo:[0,1] neg_hi:[0,1]
	ds_load_2addr_b64 v[28:31], v154 offset0:25 offset1:26
	s_wait_dscnt 0x0
	v_pk_mul_f32 v[18:19], v[28:29], v[14:15] op_sel:[0,1]
	s_delay_alu instid0(VALU_DEP_1) | instskip(SKIP_2) | instid1(VALU_DEP_2)
	v_pk_fma_f32 v[32:33], v[28:29], v[12:13], v[18:19] op_sel:[0,0,1] op_sel_hi:[1,1,0] neg_lo:[0,0,1] neg_hi:[0,0,1]
	v_pk_fma_f32 v[18:19], v[28:29], v[12:13], v[18:19] op_sel:[0,0,1] op_sel_hi:[1,0,0]
	v_dual_mul_f32 v28, v31, v15 :: v_dual_mov_b32 v18, v31
	v_dual_mov_b32 v33, v19 :: v_dual_mov_b32 v19, v30
	s_delay_alu instid0(VALU_DEP_2) | instskip(SKIP_1) | instid1(VALU_DEP_3)
	v_pk_fma_f32 v[28:29], v[30:31], v[94:95], v[28:29] op_sel_hi:[1,1,0] neg_lo:[0,0,1] neg_hi:[0,0,1]
	v_mul_f32_e32 v30, v31, v12
	v_pk_add_f32 v[110:111], v[110:111], v[32:33] neg_lo:[0,1] neg_hi:[0,1]
	s_delay_alu instid0(VALU_DEP_2) | instskip(NEXT) | instid1(VALU_DEP_1)
	v_pk_fma_f32 v[18:19], v[18:19], v[94:95], v[30:31] op_sel_hi:[1,1,0]
	v_mov_b32_e32 v29, v19
	s_delay_alu instid0(VALU_DEP_1) | instskip(SKIP_3) | instid1(VALU_DEP_1)
	v_pk_add_f32 v[112:113], v[112:113], v[28:29] neg_lo:[0,1] neg_hi:[0,1]
	ds_load_2addr_b64 v[28:31], v154 offset0:27 offset1:28
	s_wait_dscnt 0x0
	v_pk_mul_f32 v[18:19], v[28:29], v[14:15] op_sel:[0,1]
	v_pk_fma_f32 v[32:33], v[28:29], v[12:13], v[18:19] op_sel:[0,0,1] op_sel_hi:[1,1,0] neg_lo:[0,0,1] neg_hi:[0,0,1]
	v_pk_fma_f32 v[18:19], v[28:29], v[12:13], v[18:19] op_sel:[0,0,1] op_sel_hi:[1,0,0]
	s_delay_alu instid0(VALU_DEP_1) | instskip(SKIP_1) | instid1(VALU_DEP_2)
	v_mov_b32_e32 v33, v19
	v_pk_mul_f32 v[18:19], v[30:31], v[14:15] op_sel:[0,1]
	v_pk_add_f32 v[108:109], v[108:109], v[32:33] neg_lo:[0,1] neg_hi:[0,1]
	s_delay_alu instid0(VALU_DEP_2) | instskip(SKIP_1) | instid1(VALU_DEP_1)
	v_pk_fma_f32 v[28:29], v[30:31], v[12:13], v[18:19] op_sel:[0,0,1] op_sel_hi:[1,1,0] neg_lo:[0,0,1] neg_hi:[0,0,1]
	v_pk_fma_f32 v[18:19], v[30:31], v[12:13], v[18:19] op_sel:[0,0,1] op_sel_hi:[1,0,0]
	v_mov_b32_e32 v29, v19
	s_delay_alu instid0(VALU_DEP_1) | instskip(SKIP_3) | instid1(VALU_DEP_1)
	v_pk_add_f32 v[130:131], v[130:131], v[28:29] neg_lo:[0,1] neg_hi:[0,1]
	ds_load_2addr_b64 v[28:31], v154 offset0:29 offset1:30
	s_wait_dscnt 0x0
	v_pk_mul_f32 v[18:19], v[28:29], v[14:15] op_sel:[0,1]
	v_pk_fma_f32 v[32:33], v[28:29], v[12:13], v[18:19] op_sel:[0,0,1] op_sel_hi:[1,1,0] neg_lo:[0,0,1] neg_hi:[0,0,1]
	v_pk_fma_f32 v[18:19], v[28:29], v[12:13], v[18:19] op_sel:[0,0,1] op_sel_hi:[1,0,0]
	s_delay_alu instid0(VALU_DEP_1) | instskip(SKIP_1) | instid1(VALU_DEP_2)
	v_mov_b32_e32 v33, v19
	v_pk_mul_f32 v[18:19], v[30:31], v[14:15] op_sel:[0,1]
	v_pk_add_f32 v[126:127], v[126:127], v[32:33] neg_lo:[0,1] neg_hi:[0,1]
	s_delay_alu instid0(VALU_DEP_2) | instskip(SKIP_1) | instid1(VALU_DEP_1)
	v_pk_fma_f32 v[28:29], v[30:31], v[12:13], v[18:19] op_sel:[0,0,1] op_sel_hi:[1,1,0] neg_lo:[0,0,1] neg_hi:[0,0,1]
	v_pk_fma_f32 v[18:19], v[30:31], v[12:13], v[18:19] op_sel:[0,0,1] op_sel_hi:[1,0,0]
	v_mov_b32_e32 v29, v19
	s_delay_alu instid0(VALU_DEP_1) | instskip(SKIP_3) | instid1(VALU_DEP_1)
	v_pk_add_f32 v[128:129], v[128:129], v[28:29] neg_lo:[0,1] neg_hi:[0,1]
	ds_load_2addr_b64 v[28:31], v154 offset0:31 offset1:32
	s_wait_dscnt 0x0
	v_dual_mul_f32 v18, v29, v15 :: v_dual_mul_f32 v32, v29, v12
	v_pk_fma_f32 v[18:19], v[28:29], v[94:95], v[18:19] op_sel_hi:[1,1,0] neg_lo:[0,0,1] neg_hi:[0,0,1]
	s_delay_alu instid0(VALU_DEP_2) | instskip(NEXT) | instid1(VALU_DEP_1)
	v_pk_fma_f32 v[28:29], v[28:29], v[94:95], v[32:33] op_sel:[1,0,0] op_sel_hi:[0,1,0]
	v_mov_b32_e32 v19, v29
	s_delay_alu instid0(VALU_DEP_1) | instskip(SKIP_1) | instid1(VALU_DEP_1)
	v_pk_add_f32 v[124:125], v[124:125], v[18:19] neg_lo:[0,1] neg_hi:[0,1]
	v_pk_mul_f32 v[18:19], v[30:31], v[14:15] op_sel:[0,1]
	v_pk_fma_f32 v[28:29], v[30:31], v[12:13], v[18:19] op_sel:[0,0,1] op_sel_hi:[1,1,0] neg_lo:[0,0,1] neg_hi:[0,0,1]
	v_pk_fma_f32 v[18:19], v[30:31], v[12:13], v[18:19] op_sel:[0,0,1] op_sel_hi:[1,0,0]
	s_delay_alu instid0(VALU_DEP_1) | instskip(NEXT) | instid1(VALU_DEP_1)
	v_mov_b32_e32 v29, v19
	v_pk_add_f32 v[146:147], v[146:147], v[28:29] neg_lo:[0,1] neg_hi:[0,1]
	ds_load_2addr_b64 v[28:31], v154 offset0:33 offset1:34
	s_wait_dscnt 0x0
	v_pk_mul_f32 v[18:19], v[28:29], v[14:15] op_sel:[0,1]
	s_delay_alu instid0(VALU_DEP_1) | instskip(SKIP_1) | instid1(VALU_DEP_1)
	v_pk_fma_f32 v[32:33], v[28:29], v[12:13], v[18:19] op_sel:[0,0,1] op_sel_hi:[1,1,0] neg_lo:[0,0,1] neg_hi:[0,0,1]
	v_pk_fma_f32 v[18:19], v[28:29], v[12:13], v[18:19] op_sel:[0,0,1] op_sel_hi:[1,0,0]
	v_mov_b32_e32 v33, v19
	v_pk_mul_f32 v[18:19], v[30:31], v[14:15] op_sel:[0,1]
	s_delay_alu instid0(VALU_DEP_2) | instskip(NEXT) | instid1(VALU_DEP_2)
	v_pk_add_f32 v[142:143], v[142:143], v[32:33] neg_lo:[0,1] neg_hi:[0,1]
	v_pk_fma_f32 v[28:29], v[30:31], v[12:13], v[18:19] op_sel:[0,0,1] op_sel_hi:[1,1,0] neg_lo:[0,0,1] neg_hi:[0,0,1]
	v_pk_fma_f32 v[18:19], v[30:31], v[12:13], v[18:19] op_sel:[0,0,1] op_sel_hi:[1,0,0]
	s_delay_alu instid0(VALU_DEP_1) | instskip(NEXT) | instid1(VALU_DEP_1)
	v_mov_b32_e32 v29, v19
	v_pk_add_f32 v[144:145], v[144:145], v[28:29] neg_lo:[0,1] neg_hi:[0,1]
	ds_load_2addr_b64 v[28:31], v154 offset0:35 offset1:36
	s_wait_dscnt 0x0
	v_pk_mul_f32 v[18:19], v[28:29], v[14:15] op_sel:[0,1]
	s_delay_alu instid0(VALU_DEP_1) | instskip(SKIP_2) | instid1(VALU_DEP_2)
	v_pk_fma_f32 v[32:33], v[28:29], v[12:13], v[18:19] op_sel:[0,0,1] op_sel_hi:[1,1,0] neg_lo:[0,0,1] neg_hi:[0,0,1]
	v_pk_fma_f32 v[18:19], v[28:29], v[12:13], v[18:19] op_sel:[0,0,1] op_sel_hi:[1,0,0]
	v_dual_mul_f32 v28, v31, v15 :: v_dual_mov_b32 v18, v31
	v_dual_mov_b32 v33, v19 :: v_dual_mov_b32 v19, v30
	s_delay_alu instid0(VALU_DEP_2) | instskip(SKIP_1) | instid1(VALU_DEP_3)
	v_pk_fma_f32 v[28:29], v[30:31], v[94:95], v[28:29] op_sel_hi:[1,1,0] neg_lo:[0,0,1] neg_hi:[0,0,1]
	v_mul_f32_e32 v30, v31, v12
	v_pk_add_f32 v[140:141], v[140:141], v[32:33] neg_lo:[0,1] neg_hi:[0,1]
	s_delay_alu instid0(VALU_DEP_2) | instskip(NEXT) | instid1(VALU_DEP_1)
	v_pk_fma_f32 v[18:19], v[18:19], v[94:95], v[30:31] op_sel_hi:[1,1,0]
	v_mov_b32_e32 v29, v19
	s_delay_alu instid0(VALU_DEP_1) | instskip(SKIP_3) | instid1(VALU_DEP_1)
	v_pk_add_f32 v[162:163], v[162:163], v[28:29] neg_lo:[0,1] neg_hi:[0,1]
	ds_load_2addr_b64 v[28:31], v154 offset0:37 offset1:38
	s_wait_dscnt 0x0
	v_pk_mul_f32 v[18:19], v[28:29], v[14:15] op_sel:[0,1]
	v_pk_fma_f32 v[32:33], v[28:29], v[12:13], v[18:19] op_sel:[0,0,1] op_sel_hi:[1,1,0] neg_lo:[0,0,1] neg_hi:[0,0,1]
	v_pk_fma_f32 v[18:19], v[28:29], v[12:13], v[18:19] op_sel:[0,0,1] op_sel_hi:[1,0,0]
	s_delay_alu instid0(VALU_DEP_1) | instskip(SKIP_1) | instid1(VALU_DEP_2)
	v_mov_b32_e32 v33, v19
	v_pk_mul_f32 v[18:19], v[30:31], v[14:15] op_sel:[0,1]
	v_pk_add_f32 v[158:159], v[158:159], v[32:33] neg_lo:[0,1] neg_hi:[0,1]
	s_delay_alu instid0(VALU_DEP_2) | instskip(SKIP_1) | instid1(VALU_DEP_1)
	v_pk_fma_f32 v[28:29], v[30:31], v[12:13], v[18:19] op_sel:[0,0,1] op_sel_hi:[1,1,0] neg_lo:[0,0,1] neg_hi:[0,0,1]
	v_pk_fma_f32 v[18:19], v[30:31], v[12:13], v[18:19] op_sel:[0,0,1] op_sel_hi:[1,0,0]
	v_mov_b32_e32 v29, v19
	s_delay_alu instid0(VALU_DEP_1) | instskip(SKIP_3) | instid1(VALU_DEP_1)
	v_pk_add_f32 v[160:161], v[160:161], v[28:29] neg_lo:[0,1] neg_hi:[0,1]
	ds_load_2addr_b64 v[28:31], v154 offset0:39 offset1:40
	s_wait_dscnt 0x0
	v_pk_mul_f32 v[18:19], v[28:29], v[14:15] op_sel:[0,1]
	v_pk_fma_f32 v[32:33], v[28:29], v[12:13], v[18:19] op_sel:[0,0,1] op_sel_hi:[1,1,0] neg_lo:[0,0,1] neg_hi:[0,0,1]
	v_pk_fma_f32 v[18:19], v[28:29], v[12:13], v[18:19] op_sel:[0,0,1] op_sel_hi:[1,0,0]
	s_delay_alu instid0(VALU_DEP_1) | instskip(SKIP_1) | instid1(VALU_DEP_2)
	v_mov_b32_e32 v33, v19
	v_pk_mul_f32 v[18:19], v[30:31], v[14:15] op_sel:[0,1]
	v_pk_add_f32 v[156:157], v[156:157], v[32:33] neg_lo:[0,1] neg_hi:[0,1]
	s_delay_alu instid0(VALU_DEP_2) | instskip(SKIP_1) | instid1(VALU_DEP_1)
	v_pk_fma_f32 v[28:29], v[30:31], v[12:13], v[18:19] op_sel:[0,0,1] op_sel_hi:[1,1,0] neg_lo:[0,0,1] neg_hi:[0,0,1]
	v_pk_fma_f32 v[18:19], v[30:31], v[12:13], v[18:19] op_sel:[0,0,1] op_sel_hi:[1,0,0]
	v_mov_b32_e32 v29, v19
	s_delay_alu instid0(VALU_DEP_1) | instskip(SKIP_3) | instid1(VALU_DEP_1)
	v_pk_add_f32 v[178:179], v[178:179], v[28:29] neg_lo:[0,1] neg_hi:[0,1]
	ds_load_2addr_b64 v[28:31], v154 offset0:41 offset1:42
	s_wait_dscnt 0x0
	v_dual_mul_f32 v18, v29, v15 :: v_dual_mul_f32 v32, v29, v12
	v_pk_fma_f32 v[18:19], v[28:29], v[94:95], v[18:19] op_sel_hi:[1,1,0] neg_lo:[0,0,1] neg_hi:[0,0,1]
	s_delay_alu instid0(VALU_DEP_2) | instskip(NEXT) | instid1(VALU_DEP_1)
	v_pk_fma_f32 v[28:29], v[28:29], v[94:95], v[32:33] op_sel:[1,0,0] op_sel_hi:[0,1,0]
	v_mov_b32_e32 v19, v29
	s_delay_alu instid0(VALU_DEP_1) | instskip(SKIP_1) | instid1(VALU_DEP_1)
	v_pk_add_f32 v[174:175], v[174:175], v[18:19] neg_lo:[0,1] neg_hi:[0,1]
	v_pk_mul_f32 v[18:19], v[30:31], v[14:15] op_sel:[0,1]
	v_pk_fma_f32 v[28:29], v[30:31], v[12:13], v[18:19] op_sel:[0,0,1] op_sel_hi:[1,1,0] neg_lo:[0,0,1] neg_hi:[0,0,1]
	v_pk_fma_f32 v[18:19], v[30:31], v[12:13], v[18:19] op_sel:[0,0,1] op_sel_hi:[1,0,0]
	s_delay_alu instid0(VALU_DEP_1) | instskip(NEXT) | instid1(VALU_DEP_1)
	v_mov_b32_e32 v29, v19
	v_pk_add_f32 v[176:177], v[176:177], v[28:29] neg_lo:[0,1] neg_hi:[0,1]
	ds_load_2addr_b64 v[28:31], v154 offset0:43 offset1:44
	s_wait_dscnt 0x0
	v_pk_mul_f32 v[18:19], v[28:29], v[14:15] op_sel:[0,1]
	s_delay_alu instid0(VALU_DEP_1) | instskip(SKIP_1) | instid1(VALU_DEP_1)
	v_pk_fma_f32 v[32:33], v[28:29], v[12:13], v[18:19] op_sel:[0,0,1] op_sel_hi:[1,1,0] neg_lo:[0,0,1] neg_hi:[0,0,1]
	v_pk_fma_f32 v[18:19], v[28:29], v[12:13], v[18:19] op_sel:[0,0,1] op_sel_hi:[1,0,0]
	v_mov_b32_e32 v33, v19
	v_pk_mul_f32 v[18:19], v[30:31], v[14:15] op_sel:[0,1]
	s_delay_alu instid0(VALU_DEP_2) | instskip(NEXT) | instid1(VALU_DEP_2)
	v_pk_add_f32 v[172:173], v[172:173], v[32:33] neg_lo:[0,1] neg_hi:[0,1]
	v_pk_fma_f32 v[28:29], v[30:31], v[12:13], v[18:19] op_sel:[0,0,1] op_sel_hi:[1,1,0] neg_lo:[0,0,1] neg_hi:[0,0,1]
	v_pk_fma_f32 v[18:19], v[30:31], v[12:13], v[18:19] op_sel:[0,0,1] op_sel_hi:[1,0,0]
	s_delay_alu instid0(VALU_DEP_1) | instskip(NEXT) | instid1(VALU_DEP_1)
	v_mov_b32_e32 v29, v19
	v_pk_add_f32 v[196:197], v[196:197], v[28:29] neg_lo:[0,1] neg_hi:[0,1]
	ds_load_2addr_b64 v[28:31], v154 offset0:45 offset1:46
	s_wait_dscnt 0x0
	v_pk_mul_f32 v[18:19], v[28:29], v[14:15] op_sel:[0,1]
	s_delay_alu instid0(VALU_DEP_1) | instskip(SKIP_2) | instid1(VALU_DEP_2)
	v_pk_fma_f32 v[32:33], v[28:29], v[12:13], v[18:19] op_sel:[0,0,1] op_sel_hi:[1,1,0] neg_lo:[0,0,1] neg_hi:[0,0,1]
	v_pk_fma_f32 v[18:19], v[28:29], v[12:13], v[18:19] op_sel:[0,0,1] op_sel_hi:[1,0,0]
	v_dual_mul_f32 v28, v31, v15 :: v_dual_mov_b32 v18, v31
	v_dual_mov_b32 v33, v19 :: v_dual_mov_b32 v19, v30
	s_delay_alu instid0(VALU_DEP_2) | instskip(SKIP_1) | instid1(VALU_DEP_3)
	v_pk_fma_f32 v[28:29], v[30:31], v[94:95], v[28:29] op_sel_hi:[1,1,0] neg_lo:[0,0,1] neg_hi:[0,0,1]
	v_mul_f32_e32 v30, v31, v12
	v_pk_add_f32 v[192:193], v[192:193], v[32:33] neg_lo:[0,1] neg_hi:[0,1]
	s_delay_alu instid0(VALU_DEP_2) | instskip(NEXT) | instid1(VALU_DEP_1)
	v_pk_fma_f32 v[18:19], v[18:19], v[94:95], v[30:31] op_sel_hi:[1,1,0]
	v_mov_b32_e32 v29, v19
	s_delay_alu instid0(VALU_DEP_1) | instskip(SKIP_3) | instid1(VALU_DEP_1)
	v_pk_add_f32 v[194:195], v[194:195], v[28:29] neg_lo:[0,1] neg_hi:[0,1]
	ds_load_2addr_b64 v[28:31], v154 offset0:47 offset1:48
	s_wait_dscnt 0x0
	v_pk_mul_f32 v[18:19], v[28:29], v[14:15] op_sel:[0,1]
	v_pk_fma_f32 v[32:33], v[28:29], v[12:13], v[18:19] op_sel:[0,0,1] op_sel_hi:[1,1,0] neg_lo:[0,0,1] neg_hi:[0,0,1]
	v_pk_fma_f32 v[18:19], v[28:29], v[12:13], v[18:19] op_sel:[0,0,1] op_sel_hi:[1,0,0]
	s_delay_alu instid0(VALU_DEP_1) | instskip(SKIP_1) | instid1(VALU_DEP_2)
	v_mov_b32_e32 v33, v19
	v_pk_mul_f32 v[18:19], v[30:31], v[14:15] op_sel:[0,1]
	v_pk_add_f32 v[190:191], v[190:191], v[32:33] neg_lo:[0,1] neg_hi:[0,1]
	s_delay_alu instid0(VALU_DEP_2) | instskip(SKIP_1) | instid1(VALU_DEP_1)
	v_pk_fma_f32 v[28:29], v[30:31], v[12:13], v[18:19] op_sel:[0,0,1] op_sel_hi:[1,1,0] neg_lo:[0,0,1] neg_hi:[0,0,1]
	v_pk_fma_f32 v[18:19], v[30:31], v[12:13], v[18:19] op_sel:[0,0,1] op_sel_hi:[1,0,0]
	v_mov_b32_e32 v29, v19
	s_delay_alu instid0(VALU_DEP_1) | instskip(SKIP_3) | instid1(VALU_DEP_1)
	v_pk_add_f32 v[216:217], v[216:217], v[28:29] neg_lo:[0,1] neg_hi:[0,1]
	ds_load_2addr_b64 v[28:31], v154 offset0:49 offset1:50
	s_wait_dscnt 0x0
	v_pk_mul_f32 v[18:19], v[28:29], v[14:15] op_sel:[0,1]
	v_pk_fma_f32 v[32:33], v[28:29], v[12:13], v[18:19] op_sel:[0,0,1] op_sel_hi:[1,1,0] neg_lo:[0,0,1] neg_hi:[0,0,1]
	v_pk_fma_f32 v[18:19], v[28:29], v[12:13], v[18:19] op_sel:[0,0,1] op_sel_hi:[1,0,0]
	s_delay_alu instid0(VALU_DEP_1) | instskip(SKIP_1) | instid1(VALU_DEP_2)
	v_mov_b32_e32 v33, v19
	v_pk_mul_f32 v[18:19], v[30:31], v[14:15] op_sel:[0,1]
	v_pk_add_f32 v[210:211], v[210:211], v[32:33] neg_lo:[0,1] neg_hi:[0,1]
	s_delay_alu instid0(VALU_DEP_2) | instskip(SKIP_1) | instid1(VALU_DEP_1)
	v_pk_fma_f32 v[28:29], v[30:31], v[12:13], v[18:19] op_sel:[0,0,1] op_sel_hi:[1,1,0] neg_lo:[0,0,1] neg_hi:[0,0,1]
	v_pk_fma_f32 v[18:19], v[30:31], v[12:13], v[18:19] op_sel:[0,0,1] op_sel_hi:[1,0,0]
	v_mov_b32_e32 v29, v19
	s_delay_alu instid0(VALU_DEP_1) | instskip(SKIP_3) | instid1(VALU_DEP_1)
	v_pk_add_f32 v[214:215], v[214:215], v[28:29] neg_lo:[0,1] neg_hi:[0,1]
	ds_load_2addr_b64 v[28:31], v154 offset0:51 offset1:52
	s_wait_dscnt 0x0
	v_dual_mul_f32 v18, v29, v15 :: v_dual_mul_f32 v32, v29, v12
	v_pk_fma_f32 v[18:19], v[28:29], v[94:95], v[18:19] op_sel_hi:[1,1,0] neg_lo:[0,0,1] neg_hi:[0,0,1]
	s_delay_alu instid0(VALU_DEP_2) | instskip(NEXT) | instid1(VALU_DEP_1)
	v_pk_fma_f32 v[28:29], v[28:29], v[94:95], v[32:33] op_sel:[1,0,0] op_sel_hi:[0,1,0]
	v_mov_b32_e32 v19, v29
	s_delay_alu instid0(VALU_DEP_1) | instskip(SKIP_1) | instid1(VALU_DEP_1)
	v_pk_add_f32 v[208:209], v[208:209], v[18:19] neg_lo:[0,1] neg_hi:[0,1]
	v_pk_mul_f32 v[18:19], v[30:31], v[14:15] op_sel:[0,1]
	v_pk_fma_f32 v[28:29], v[30:31], v[12:13], v[18:19] op_sel:[0,0,1] op_sel_hi:[1,1,0] neg_lo:[0,0,1] neg_hi:[0,0,1]
	v_pk_fma_f32 v[18:19], v[30:31], v[12:13], v[18:19] op_sel:[0,0,1] op_sel_hi:[1,0,0]
	s_delay_alu instid0(VALU_DEP_1) | instskip(NEXT) | instid1(VALU_DEP_1)
	v_mov_b32_e32 v29, v19
	v_pk_add_f32 v[212:213], v[212:213], v[28:29] neg_lo:[0,1] neg_hi:[0,1]
	ds_load_2addr_b64 v[28:31], v154 offset0:53 offset1:54
	s_wait_dscnt 0x0
	v_pk_mul_f32 v[18:19], v[28:29], v[14:15] op_sel:[0,1]
	v_pk_mul_f32 v[14:15], v[30:31], v[14:15] op_sel:[0,1]
	s_delay_alu instid0(VALU_DEP_2) | instskip(SKIP_1) | instid1(VALU_DEP_1)
	v_pk_fma_f32 v[32:33], v[28:29], v[12:13], v[18:19] op_sel:[0,0,1] op_sel_hi:[1,1,0] neg_lo:[0,0,1] neg_hi:[0,0,1]
	v_pk_fma_f32 v[18:19], v[28:29], v[12:13], v[18:19] op_sel:[0,0,1] op_sel_hi:[1,0,0]
	v_mov_b32_e32 v33, v19
	s_delay_alu instid0(VALU_DEP_4) | instskip(SKIP_1) | instid1(VALU_DEP_3)
	v_pk_fma_f32 v[18:19], v[30:31], v[12:13], v[14:15] op_sel:[0,0,1] op_sel_hi:[1,1,0] neg_lo:[0,0,1] neg_hi:[0,0,1]
	v_pk_fma_f32 v[12:13], v[30:31], v[12:13], v[14:15] op_sel:[0,0,1] op_sel_hi:[1,0,0]
	v_pk_add_f32 v[218:219], v[218:219], v[32:33] neg_lo:[0,1] neg_hi:[0,1]
	s_delay_alu instid0(VALU_DEP_2) | instskip(NEXT) | instid1(VALU_DEP_1)
	v_mov_b32_e32 v19, v13
	v_pk_add_f32 v[220:221], v[220:221], v[18:19] neg_lo:[0,1] neg_hi:[0,1]
.LBB109_208:
	s_or_b32 exec_lo, exec_lo, s1
	s_delay_alu instid0(SALU_CYCLE_1)
	s_mov_b32 s2, exec_lo
	s_wait_dscnt 0x0
	s_barrier_signal -1
	s_barrier_wait -1
	v_cmpx_eq_u32_e32 23, v152
	s_cbranch_execz .LBB109_215
; %bb.209:
	v_dual_mov_b32 v12, v114 :: v_dual_mov_b32 v13, v115
	v_dual_mov_b32 v14, v110 :: v_dual_mov_b32 v15, v111
	ds_store_b64 v153, v[90:91]
	ds_store_2addr_b64 v154, v[12:13], v[14:15] offset0:24 offset1:25
	v_dual_mov_b32 v12, v112 :: v_dual_mov_b32 v13, v113
	v_dual_mov_b32 v14, v108 :: v_dual_mov_b32 v15, v109
	ds_store_2addr_b64 v154, v[12:13], v[14:15] offset0:26 offset1:27
	v_dual_mov_b32 v12, v130 :: v_dual_mov_b32 v13, v131
	v_dual_mov_b32 v14, v126 :: v_dual_mov_b32 v15, v127
	;; [unrolled: 3-line block ×14, first 2 shown]
	ds_store_2addr_b64 v154, v[12:13], v[14:15] offset0:52 offset1:53
	ds_store_b64 v154, v[220:221] offset:432
	ds_load_b64 v[12:13], v153
	s_wait_dscnt 0x0
	v_cmp_neq_f32_e32 vcc_lo, 0, v12
	v_cmp_neq_f32_e64 s1, 0, v13
	s_or_b32 s1, vcc_lo, s1
	s_delay_alu instid0(SALU_CYCLE_1)
	s_and_b32 exec_lo, exec_lo, s1
	s_cbranch_execz .LBB109_215
; %bb.210:
	v_cmp_ngt_f32_e64 s1, |v12|, |v13|
                                        ; implicit-def: $vgpr14_vgpr15
	s_and_saveexec_b32 s4, s1
	s_delay_alu instid0(SALU_CYCLE_1)
	s_xor_b32 s1, exec_lo, s4
	s_cbranch_execz .LBB109_212
; %bb.211:
	v_div_scale_f32 v14, null, v13, v13, v12
	v_div_scale_f32 v19, vcc_lo, v12, v13, v12
	s_delay_alu instid0(VALU_DEP_2) | instskip(SKIP_1) | instid1(TRANS32_DEP_1)
	v_rcp_f32_e32 v15, v14
	v_nop
	v_fma_f32 v18, -v14, v15, 1.0
	s_delay_alu instid0(VALU_DEP_1) | instskip(NEXT) | instid1(VALU_DEP_1)
	v_fmac_f32_e32 v15, v18, v15
	v_mul_f32_e32 v18, v19, v15
	s_delay_alu instid0(VALU_DEP_1) | instskip(NEXT) | instid1(VALU_DEP_1)
	v_fma_f32 v28, -v14, v18, v19
	v_fmac_f32_e32 v18, v28, v15
	s_delay_alu instid0(VALU_DEP_1) | instskip(NEXT) | instid1(VALU_DEP_1)
	v_fma_f32 v14, -v14, v18, v19
	v_div_fmas_f32 v14, v14, v15, v18
	s_delay_alu instid0(VALU_DEP_1) | instskip(NEXT) | instid1(VALU_DEP_1)
	v_div_fixup_f32 v14, v14, v13, v12
	v_fmac_f32_e32 v13, v12, v14
	s_delay_alu instid0(VALU_DEP_1) | instskip(SKIP_1) | instid1(VALU_DEP_2)
	v_div_scale_f32 v12, null, v13, v13, 1.0
	v_div_scale_f32 v19, vcc_lo, 1.0, v13, 1.0
	v_rcp_f32_e32 v15, v12
	v_nop
	s_delay_alu instid0(TRANS32_DEP_1) | instskip(NEXT) | instid1(VALU_DEP_1)
	v_fma_f32 v18, -v12, v15, 1.0
	v_fmac_f32_e32 v15, v18, v15
	s_delay_alu instid0(VALU_DEP_1) | instskip(NEXT) | instid1(VALU_DEP_1)
	v_mul_f32_e32 v18, v19, v15
	v_fma_f32 v28, -v12, v18, v19
	s_delay_alu instid0(VALU_DEP_1) | instskip(NEXT) | instid1(VALU_DEP_1)
	v_fmac_f32_e32 v18, v28, v15
	v_fma_f32 v12, -v12, v18, v19
	s_delay_alu instid0(VALU_DEP_1) | instskip(NEXT) | instid1(VALU_DEP_1)
	v_div_fmas_f32 v12, v12, v15, v18
	v_div_fixup_f32 v12, v12, v13, 1.0
	s_delay_alu instid0(VALU_DEP_1)
	v_mul_f32_e32 v14, v14, v12
	v_xor_b32_e32 v15, 0x80000000, v12
                                        ; implicit-def: $vgpr12_vgpr13
.LBB109_212:
	s_and_not1_saveexec_b32 s1, s1
	s_cbranch_execz .LBB109_214
; %bb.213:
	v_div_scale_f32 v14, null, v12, v12, v13
	v_div_scale_f32 v19, vcc_lo, v13, v12, v13
	s_delay_alu instid0(VALU_DEP_2) | instskip(SKIP_1) | instid1(TRANS32_DEP_1)
	v_rcp_f32_e32 v15, v14
	v_nop
	v_fma_f32 v18, -v14, v15, 1.0
	s_delay_alu instid0(VALU_DEP_1) | instskip(NEXT) | instid1(VALU_DEP_1)
	v_fmac_f32_e32 v15, v18, v15
	v_mul_f32_e32 v18, v19, v15
	s_delay_alu instid0(VALU_DEP_1) | instskip(NEXT) | instid1(VALU_DEP_1)
	v_fma_f32 v28, -v14, v18, v19
	v_fmac_f32_e32 v18, v28, v15
	s_delay_alu instid0(VALU_DEP_1) | instskip(NEXT) | instid1(VALU_DEP_1)
	v_fma_f32 v14, -v14, v18, v19
	v_div_fmas_f32 v14, v14, v15, v18
	s_delay_alu instid0(VALU_DEP_1) | instskip(NEXT) | instid1(VALU_DEP_1)
	v_div_fixup_f32 v15, v14, v12, v13
	v_fmac_f32_e32 v12, v13, v15
	s_delay_alu instid0(VALU_DEP_1) | instskip(NEXT) | instid1(VALU_DEP_1)
	v_div_scale_f32 v13, null, v12, v12, 1.0
	v_rcp_f32_e32 v14, v13
	v_nop
	s_delay_alu instid0(TRANS32_DEP_1) | instskip(NEXT) | instid1(VALU_DEP_1)
	v_fma_f32 v18, -v13, v14, 1.0
	v_fmac_f32_e32 v14, v18, v14
	v_div_scale_f32 v18, vcc_lo, 1.0, v12, 1.0
	s_delay_alu instid0(VALU_DEP_1) | instskip(NEXT) | instid1(VALU_DEP_1)
	v_mul_f32_e32 v19, v18, v14
	v_fma_f32 v28, -v13, v19, v18
	s_delay_alu instid0(VALU_DEP_1) | instskip(NEXT) | instid1(VALU_DEP_1)
	v_fmac_f32_e32 v19, v28, v14
	v_fma_f32 v13, -v13, v19, v18
	s_delay_alu instid0(VALU_DEP_1) | instskip(NEXT) | instid1(VALU_DEP_1)
	v_div_fmas_f32 v13, v13, v14, v19
	v_div_fixup_f32 v14, v13, v12, 1.0
	s_delay_alu instid0(VALU_DEP_1)
	v_mul_f32_e64 v15, v15, -v14
.LBB109_214:
	s_or_b32 exec_lo, exec_lo, s1
	ds_store_b64 v153, v[14:15]
.LBB109_215:
	s_or_b32 exec_lo, exec_lo, s2
	s_wait_dscnt 0x0
	s_barrier_signal -1
	s_barrier_wait -1
	ds_load_b64 v[12:13], v153
	s_mov_b32 s1, exec_lo
	v_cmpx_lt_u32_e32 23, v152
	s_cbranch_execz .LBB109_217
; %bb.216:
	ds_load_2addr_b64 v[28:31], v154 offset0:24 offset1:25
	s_wait_dscnt 0x1
	v_pk_mul_f32 v[18:19], v[12:13], v[90:91] op_sel:[1,1] op_sel_hi:[0,1]
	s_delay_alu instid0(VALU_DEP_1) | instskip(SKIP_1) | instid1(VALU_DEP_1)
	v_pk_fma_f32 v[14:15], v[12:13], v[90:91], v[18:19] op_sel_hi:[1,0,1] neg_lo:[0,0,1] neg_hi:[0,0,1]
	v_pk_fma_f32 v[18:19], v[12:13], v[90:91], v[18:19] op_sel_hi:[1,0,1]
	v_dual_mov_b32 v90, v14 :: v_dual_mov_b32 v91, v19
	s_wait_dscnt 0x0
	s_delay_alu instid0(VALU_DEP_2) | instskip(NEXT) | instid1(VALU_DEP_1)
	v_pk_mul_f32 v[32:33], v[28:29], v[18:19] op_sel:[0,1]
	v_pk_fma_f32 v[42:43], v[28:29], v[14:15], v[32:33] op_sel:[0,0,1] op_sel_hi:[1,1,0] neg_lo:[0,0,1] neg_hi:[0,0,1]
	v_pk_fma_f32 v[28:29], v[28:29], v[14:15], v[32:33] op_sel:[0,0,1] op_sel_hi:[1,0,0]
	s_delay_alu instid0(VALU_DEP_1) | instskip(SKIP_1) | instid1(VALU_DEP_1)
	v_mov_b32_e32 v43, v29
	v_pk_mul_f32 v[28:29], v[30:31], v[18:19] op_sel:[0,1]
	v_pk_fma_f32 v[32:33], v[30:31], v[14:15], v[28:29] op_sel:[0,0,1] op_sel_hi:[1,1,0] neg_lo:[0,0,1] neg_hi:[0,0,1]
	v_pk_fma_f32 v[28:29], v[30:31], v[14:15], v[28:29] op_sel:[0,0,1] op_sel_hi:[1,0,0]
	s_delay_alu instid0(VALU_DEP_1)
	v_mov_b32_e32 v33, v29
	ds_load_2addr_b64 v[28:31], v154 offset0:26 offset1:27
	v_pk_add_f32 v[114:115], v[114:115], v[42:43] neg_lo:[0,1] neg_hi:[0,1]
	v_pk_add_f32 v[110:111], v[110:111], v[32:33] neg_lo:[0,1] neg_hi:[0,1]
	s_wait_dscnt 0x0
	v_pk_mul_f32 v[32:33], v[28:29], v[18:19] op_sel:[0,1]
	s_delay_alu instid0(VALU_DEP_1) | instskip(SKIP_2) | instid1(VALU_DEP_2)
	v_pk_fma_f32 v[42:43], v[28:29], v[14:15], v[32:33] op_sel:[0,0,1] op_sel_hi:[1,1,0] neg_lo:[0,0,1] neg_hi:[0,0,1]
	v_pk_fma_f32 v[28:29], v[28:29], v[14:15], v[32:33] op_sel:[0,0,1] op_sel_hi:[1,0,0]
	v_dual_mul_f32 v32, v31, v19 :: v_dual_mov_b32 v28, v31
	v_dual_mov_b32 v43, v29 :: v_dual_mov_b32 v29, v30
	s_delay_alu instid0(VALU_DEP_2) | instskip(SKIP_1) | instid1(VALU_DEP_3)
	v_pk_fma_f32 v[32:33], v[30:31], v[90:91], v[32:33] op_sel_hi:[1,1,0] neg_lo:[0,0,1] neg_hi:[0,0,1]
	v_mul_f32_e32 v30, v31, v14
	v_pk_add_f32 v[112:113], v[112:113], v[42:43] neg_lo:[0,1] neg_hi:[0,1]
	s_delay_alu instid0(VALU_DEP_2) | instskip(NEXT) | instid1(VALU_DEP_1)
	v_pk_fma_f32 v[28:29], v[28:29], v[90:91], v[30:31] op_sel_hi:[1,1,0]
	v_mov_b32_e32 v33, v29
	ds_load_2addr_b64 v[28:31], v154 offset0:28 offset1:29
	v_pk_add_f32 v[108:109], v[108:109], v[32:33] neg_lo:[0,1] neg_hi:[0,1]
	s_wait_dscnt 0x0
	v_pk_mul_f32 v[32:33], v[28:29], v[18:19] op_sel:[0,1]
	s_delay_alu instid0(VALU_DEP_1) | instskip(SKIP_1) | instid1(VALU_DEP_1)
	v_pk_fma_f32 v[42:43], v[28:29], v[14:15], v[32:33] op_sel:[0,0,1] op_sel_hi:[1,1,0] neg_lo:[0,0,1] neg_hi:[0,0,1]
	v_pk_fma_f32 v[28:29], v[28:29], v[14:15], v[32:33] op_sel:[0,0,1] op_sel_hi:[1,0,0]
	v_mov_b32_e32 v43, v29
	v_pk_mul_f32 v[28:29], v[30:31], v[18:19] op_sel:[0,1]
	s_delay_alu instid0(VALU_DEP_1) | instskip(SKIP_1) | instid1(VALU_DEP_1)
	v_pk_fma_f32 v[32:33], v[30:31], v[14:15], v[28:29] op_sel:[0,0,1] op_sel_hi:[1,1,0] neg_lo:[0,0,1] neg_hi:[0,0,1]
	v_pk_fma_f32 v[28:29], v[30:31], v[14:15], v[28:29] op_sel:[0,0,1] op_sel_hi:[1,0,0]
	v_mov_b32_e32 v33, v29
	ds_load_2addr_b64 v[28:31], v154 offset0:30 offset1:31
	v_pk_add_f32 v[130:131], v[130:131], v[42:43] neg_lo:[0,1] neg_hi:[0,1]
	v_pk_add_f32 v[126:127], v[126:127], v[32:33] neg_lo:[0,1] neg_hi:[0,1]
	s_wait_dscnt 0x0
	v_pk_mul_f32 v[32:33], v[28:29], v[18:19] op_sel:[0,1]
	s_delay_alu instid0(VALU_DEP_1) | instskip(SKIP_1) | instid1(VALU_DEP_1)
	v_pk_fma_f32 v[42:43], v[28:29], v[14:15], v[32:33] op_sel:[0,0,1] op_sel_hi:[1,1,0] neg_lo:[0,0,1] neg_hi:[0,0,1]
	v_pk_fma_f32 v[28:29], v[28:29], v[14:15], v[32:33] op_sel:[0,0,1] op_sel_hi:[1,0,0]
	v_mov_b32_e32 v43, v29
	v_pk_mul_f32 v[28:29], v[30:31], v[18:19] op_sel:[0,1]
	s_delay_alu instid0(VALU_DEP_1) | instskip(SKIP_1) | instid1(VALU_DEP_1)
	v_pk_fma_f32 v[32:33], v[30:31], v[14:15], v[28:29] op_sel:[0,0,1] op_sel_hi:[1,1,0] neg_lo:[0,0,1] neg_hi:[0,0,1]
	v_pk_fma_f32 v[28:29], v[30:31], v[14:15], v[28:29] op_sel:[0,0,1] op_sel_hi:[1,0,0]
	v_mov_b32_e32 v33, v29
	ds_load_2addr_b64 v[28:31], v154 offset0:32 offset1:33
	v_pk_add_f32 v[128:129], v[128:129], v[42:43] neg_lo:[0,1] neg_hi:[0,1]
	v_pk_add_f32 v[124:125], v[124:125], v[32:33] neg_lo:[0,1] neg_hi:[0,1]
	s_wait_dscnt 0x0
	v_dual_mul_f32 v32, v29, v19 :: v_dual_mul_f32 v42, v29, v14
	s_delay_alu instid0(VALU_DEP_1) | instskip(NEXT) | instid1(VALU_DEP_2)
	v_pk_fma_f32 v[32:33], v[28:29], v[90:91], v[32:33] op_sel_hi:[1,1,0] neg_lo:[0,0,1] neg_hi:[0,0,1]
	v_pk_fma_f32 v[28:29], v[28:29], v[90:91], v[42:43] op_sel:[1,0,0] op_sel_hi:[0,1,0]
	s_delay_alu instid0(VALU_DEP_1) | instskip(SKIP_1) | instid1(VALU_DEP_2)
	v_mov_b32_e32 v33, v29
	v_pk_mul_f32 v[28:29], v[30:31], v[18:19] op_sel:[0,1]
	v_pk_add_f32 v[146:147], v[146:147], v[32:33] neg_lo:[0,1] neg_hi:[0,1]
	s_delay_alu instid0(VALU_DEP_2) | instskip(SKIP_1) | instid1(VALU_DEP_1)
	v_pk_fma_f32 v[32:33], v[30:31], v[14:15], v[28:29] op_sel:[0,0,1] op_sel_hi:[1,1,0] neg_lo:[0,0,1] neg_hi:[0,0,1]
	v_pk_fma_f32 v[28:29], v[30:31], v[14:15], v[28:29] op_sel:[0,0,1] op_sel_hi:[1,0,0]
	v_mov_b32_e32 v33, v29
	ds_load_2addr_b64 v[28:31], v154 offset0:34 offset1:35
	v_pk_add_f32 v[142:143], v[142:143], v[32:33] neg_lo:[0,1] neg_hi:[0,1]
	s_wait_dscnt 0x0
	v_pk_mul_f32 v[32:33], v[28:29], v[18:19] op_sel:[0,1]
	s_delay_alu instid0(VALU_DEP_1) | instskip(SKIP_1) | instid1(VALU_DEP_1)
	v_pk_fma_f32 v[42:43], v[28:29], v[14:15], v[32:33] op_sel:[0,0,1] op_sel_hi:[1,1,0] neg_lo:[0,0,1] neg_hi:[0,0,1]
	v_pk_fma_f32 v[28:29], v[28:29], v[14:15], v[32:33] op_sel:[0,0,1] op_sel_hi:[1,0,0]
	v_mov_b32_e32 v43, v29
	v_pk_mul_f32 v[28:29], v[30:31], v[18:19] op_sel:[0,1]
	s_delay_alu instid0(VALU_DEP_2) | instskip(NEXT) | instid1(VALU_DEP_2)
	v_pk_add_f32 v[144:145], v[144:145], v[42:43] neg_lo:[0,1] neg_hi:[0,1]
	v_pk_fma_f32 v[32:33], v[30:31], v[14:15], v[28:29] op_sel:[0,0,1] op_sel_hi:[1,1,0] neg_lo:[0,0,1] neg_hi:[0,0,1]
	v_pk_fma_f32 v[28:29], v[30:31], v[14:15], v[28:29] op_sel:[0,0,1] op_sel_hi:[1,0,0]
	s_delay_alu instid0(VALU_DEP_1) | instskip(SKIP_4) | instid1(VALU_DEP_1)
	v_mov_b32_e32 v33, v29
	ds_load_2addr_b64 v[28:31], v154 offset0:36 offset1:37
	v_pk_add_f32 v[140:141], v[140:141], v[32:33] neg_lo:[0,1] neg_hi:[0,1]
	s_wait_dscnt 0x0
	v_pk_mul_f32 v[32:33], v[28:29], v[18:19] op_sel:[0,1]
	v_pk_fma_f32 v[42:43], v[28:29], v[14:15], v[32:33] op_sel:[0,0,1] op_sel_hi:[1,1,0] neg_lo:[0,0,1] neg_hi:[0,0,1]
	v_pk_fma_f32 v[28:29], v[28:29], v[14:15], v[32:33] op_sel:[0,0,1] op_sel_hi:[1,0,0]
	v_dual_mul_f32 v32, v31, v19 :: v_dual_mov_b32 v28, v31
	s_delay_alu instid0(VALU_DEP_2) | instskip(NEXT) | instid1(VALU_DEP_2)
	v_dual_mov_b32 v43, v29 :: v_dual_mov_b32 v29, v30
	v_pk_fma_f32 v[32:33], v[30:31], v[90:91], v[32:33] op_sel_hi:[1,1,0] neg_lo:[0,0,1] neg_hi:[0,0,1]
	v_mul_f32_e32 v30, v31, v14
	s_delay_alu instid0(VALU_DEP_3) | instskip(NEXT) | instid1(VALU_DEP_2)
	v_pk_add_f32 v[162:163], v[162:163], v[42:43] neg_lo:[0,1] neg_hi:[0,1]
	v_pk_fma_f32 v[28:29], v[28:29], v[90:91], v[30:31] op_sel_hi:[1,1,0]
	s_delay_alu instid0(VALU_DEP_1) | instskip(SKIP_4) | instid1(VALU_DEP_1)
	v_mov_b32_e32 v33, v29
	ds_load_2addr_b64 v[28:31], v154 offset0:38 offset1:39
	v_pk_add_f32 v[158:159], v[158:159], v[32:33] neg_lo:[0,1] neg_hi:[0,1]
	s_wait_dscnt 0x0
	v_pk_mul_f32 v[32:33], v[28:29], v[18:19] op_sel:[0,1]
	v_pk_fma_f32 v[42:43], v[28:29], v[14:15], v[32:33] op_sel:[0,0,1] op_sel_hi:[1,1,0] neg_lo:[0,0,1] neg_hi:[0,0,1]
	v_pk_fma_f32 v[28:29], v[28:29], v[14:15], v[32:33] op_sel:[0,0,1] op_sel_hi:[1,0,0]
	s_delay_alu instid0(VALU_DEP_1) | instskip(SKIP_1) | instid1(VALU_DEP_1)
	v_mov_b32_e32 v43, v29
	v_pk_mul_f32 v[28:29], v[30:31], v[18:19] op_sel:[0,1]
	v_pk_fma_f32 v[32:33], v[30:31], v[14:15], v[28:29] op_sel:[0,0,1] op_sel_hi:[1,1,0] neg_lo:[0,0,1] neg_hi:[0,0,1]
	v_pk_fma_f32 v[28:29], v[30:31], v[14:15], v[28:29] op_sel:[0,0,1] op_sel_hi:[1,0,0]
	s_delay_alu instid0(VALU_DEP_1)
	v_mov_b32_e32 v33, v29
	ds_load_2addr_b64 v[28:31], v154 offset0:40 offset1:41
	v_pk_add_f32 v[160:161], v[160:161], v[42:43] neg_lo:[0,1] neg_hi:[0,1]
	v_pk_add_f32 v[156:157], v[156:157], v[32:33] neg_lo:[0,1] neg_hi:[0,1]
	s_wait_dscnt 0x0
	v_pk_mul_f32 v[32:33], v[28:29], v[18:19] op_sel:[0,1]
	s_delay_alu instid0(VALU_DEP_1) | instskip(SKIP_1) | instid1(VALU_DEP_1)
	v_pk_fma_f32 v[42:43], v[28:29], v[14:15], v[32:33] op_sel:[0,0,1] op_sel_hi:[1,1,0] neg_lo:[0,0,1] neg_hi:[0,0,1]
	v_pk_fma_f32 v[28:29], v[28:29], v[14:15], v[32:33] op_sel:[0,0,1] op_sel_hi:[1,0,0]
	v_mov_b32_e32 v43, v29
	v_pk_mul_f32 v[28:29], v[30:31], v[18:19] op_sel:[0,1]
	s_delay_alu instid0(VALU_DEP_1) | instskip(SKIP_1) | instid1(VALU_DEP_1)
	v_pk_fma_f32 v[32:33], v[30:31], v[14:15], v[28:29] op_sel:[0,0,1] op_sel_hi:[1,1,0] neg_lo:[0,0,1] neg_hi:[0,0,1]
	v_pk_fma_f32 v[28:29], v[30:31], v[14:15], v[28:29] op_sel:[0,0,1] op_sel_hi:[1,0,0]
	v_mov_b32_e32 v33, v29
	ds_load_2addr_b64 v[28:31], v154 offset0:42 offset1:43
	v_pk_add_f32 v[178:179], v[178:179], v[42:43] neg_lo:[0,1] neg_hi:[0,1]
	v_pk_add_f32 v[174:175], v[174:175], v[32:33] neg_lo:[0,1] neg_hi:[0,1]
	s_wait_dscnt 0x0
	v_dual_mul_f32 v32, v29, v19 :: v_dual_mul_f32 v42, v29, v14
	s_delay_alu instid0(VALU_DEP_1) | instskip(NEXT) | instid1(VALU_DEP_2)
	v_pk_fma_f32 v[32:33], v[28:29], v[90:91], v[32:33] op_sel_hi:[1,1,0] neg_lo:[0,0,1] neg_hi:[0,0,1]
	v_pk_fma_f32 v[28:29], v[28:29], v[90:91], v[42:43] op_sel:[1,0,0] op_sel_hi:[0,1,0]
	s_delay_alu instid0(VALU_DEP_1) | instskip(SKIP_1) | instid1(VALU_DEP_2)
	v_mov_b32_e32 v33, v29
	v_pk_mul_f32 v[28:29], v[30:31], v[18:19] op_sel:[0,1]
	v_pk_add_f32 v[176:177], v[176:177], v[32:33] neg_lo:[0,1] neg_hi:[0,1]
	s_delay_alu instid0(VALU_DEP_2) | instskip(SKIP_1) | instid1(VALU_DEP_1)
	v_pk_fma_f32 v[32:33], v[30:31], v[14:15], v[28:29] op_sel:[0,0,1] op_sel_hi:[1,1,0] neg_lo:[0,0,1] neg_hi:[0,0,1]
	v_pk_fma_f32 v[28:29], v[30:31], v[14:15], v[28:29] op_sel:[0,0,1] op_sel_hi:[1,0,0]
	v_mov_b32_e32 v33, v29
	ds_load_2addr_b64 v[28:31], v154 offset0:44 offset1:45
	v_pk_add_f32 v[172:173], v[172:173], v[32:33] neg_lo:[0,1] neg_hi:[0,1]
	s_wait_dscnt 0x0
	v_pk_mul_f32 v[32:33], v[28:29], v[18:19] op_sel:[0,1]
	s_delay_alu instid0(VALU_DEP_1) | instskip(SKIP_1) | instid1(VALU_DEP_1)
	v_pk_fma_f32 v[42:43], v[28:29], v[14:15], v[32:33] op_sel:[0,0,1] op_sel_hi:[1,1,0] neg_lo:[0,0,1] neg_hi:[0,0,1]
	v_pk_fma_f32 v[28:29], v[28:29], v[14:15], v[32:33] op_sel:[0,0,1] op_sel_hi:[1,0,0]
	v_mov_b32_e32 v43, v29
	v_pk_mul_f32 v[28:29], v[30:31], v[18:19] op_sel:[0,1]
	s_delay_alu instid0(VALU_DEP_2) | instskip(NEXT) | instid1(VALU_DEP_2)
	v_pk_add_f32 v[196:197], v[196:197], v[42:43] neg_lo:[0,1] neg_hi:[0,1]
	v_pk_fma_f32 v[32:33], v[30:31], v[14:15], v[28:29] op_sel:[0,0,1] op_sel_hi:[1,1,0] neg_lo:[0,0,1] neg_hi:[0,0,1]
	v_pk_fma_f32 v[28:29], v[30:31], v[14:15], v[28:29] op_sel:[0,0,1] op_sel_hi:[1,0,0]
	s_delay_alu instid0(VALU_DEP_1) | instskip(SKIP_4) | instid1(VALU_DEP_1)
	v_mov_b32_e32 v33, v29
	ds_load_2addr_b64 v[28:31], v154 offset0:46 offset1:47
	v_pk_add_f32 v[192:193], v[192:193], v[32:33] neg_lo:[0,1] neg_hi:[0,1]
	s_wait_dscnt 0x0
	v_pk_mul_f32 v[32:33], v[28:29], v[18:19] op_sel:[0,1]
	v_pk_fma_f32 v[42:43], v[28:29], v[14:15], v[32:33] op_sel:[0,0,1] op_sel_hi:[1,1,0] neg_lo:[0,0,1] neg_hi:[0,0,1]
	v_pk_fma_f32 v[28:29], v[28:29], v[14:15], v[32:33] op_sel:[0,0,1] op_sel_hi:[1,0,0]
	v_dual_mul_f32 v32, v31, v19 :: v_dual_mov_b32 v28, v31
	s_delay_alu instid0(VALU_DEP_2) | instskip(NEXT) | instid1(VALU_DEP_2)
	v_dual_mov_b32 v43, v29 :: v_dual_mov_b32 v29, v30
	v_pk_fma_f32 v[32:33], v[30:31], v[90:91], v[32:33] op_sel_hi:[1,1,0] neg_lo:[0,0,1] neg_hi:[0,0,1]
	v_mul_f32_e32 v30, v31, v14
	s_delay_alu instid0(VALU_DEP_3) | instskip(NEXT) | instid1(VALU_DEP_2)
	v_pk_add_f32 v[194:195], v[194:195], v[42:43] neg_lo:[0,1] neg_hi:[0,1]
	v_pk_fma_f32 v[28:29], v[28:29], v[90:91], v[30:31] op_sel_hi:[1,1,0]
	s_delay_alu instid0(VALU_DEP_1) | instskip(SKIP_4) | instid1(VALU_DEP_1)
	v_mov_b32_e32 v33, v29
	ds_load_2addr_b64 v[28:31], v154 offset0:48 offset1:49
	v_pk_add_f32 v[190:191], v[190:191], v[32:33] neg_lo:[0,1] neg_hi:[0,1]
	s_wait_dscnt 0x0
	v_pk_mul_f32 v[32:33], v[28:29], v[18:19] op_sel:[0,1]
	v_pk_fma_f32 v[42:43], v[28:29], v[14:15], v[32:33] op_sel:[0,0,1] op_sel_hi:[1,1,0] neg_lo:[0,0,1] neg_hi:[0,0,1]
	v_pk_fma_f32 v[28:29], v[28:29], v[14:15], v[32:33] op_sel:[0,0,1] op_sel_hi:[1,0,0]
	s_delay_alu instid0(VALU_DEP_1) | instskip(SKIP_1) | instid1(VALU_DEP_1)
	v_mov_b32_e32 v43, v29
	v_pk_mul_f32 v[28:29], v[30:31], v[18:19] op_sel:[0,1]
	v_pk_fma_f32 v[32:33], v[30:31], v[14:15], v[28:29] op_sel:[0,0,1] op_sel_hi:[1,1,0] neg_lo:[0,0,1] neg_hi:[0,0,1]
	v_pk_fma_f32 v[28:29], v[30:31], v[14:15], v[28:29] op_sel:[0,0,1] op_sel_hi:[1,0,0]
	s_delay_alu instid0(VALU_DEP_1)
	v_mov_b32_e32 v33, v29
	ds_load_2addr_b64 v[28:31], v154 offset0:50 offset1:51
	v_pk_add_f32 v[216:217], v[216:217], v[42:43] neg_lo:[0,1] neg_hi:[0,1]
	v_pk_add_f32 v[210:211], v[210:211], v[32:33] neg_lo:[0,1] neg_hi:[0,1]
	s_wait_dscnt 0x0
	v_pk_mul_f32 v[32:33], v[28:29], v[18:19] op_sel:[0,1]
	s_delay_alu instid0(VALU_DEP_1) | instskip(SKIP_1) | instid1(VALU_DEP_1)
	v_pk_fma_f32 v[42:43], v[28:29], v[14:15], v[32:33] op_sel:[0,0,1] op_sel_hi:[1,1,0] neg_lo:[0,0,1] neg_hi:[0,0,1]
	v_pk_fma_f32 v[28:29], v[28:29], v[14:15], v[32:33] op_sel:[0,0,1] op_sel_hi:[1,0,0]
	v_mov_b32_e32 v43, v29
	v_pk_mul_f32 v[28:29], v[30:31], v[18:19] op_sel:[0,1]
	s_delay_alu instid0(VALU_DEP_1) | instskip(SKIP_1) | instid1(VALU_DEP_1)
	v_pk_fma_f32 v[32:33], v[30:31], v[14:15], v[28:29] op_sel:[0,0,1] op_sel_hi:[1,1,0] neg_lo:[0,0,1] neg_hi:[0,0,1]
	v_pk_fma_f32 v[28:29], v[30:31], v[14:15], v[28:29] op_sel:[0,0,1] op_sel_hi:[1,0,0]
	v_mov_b32_e32 v33, v29
	ds_load_2addr_b64 v[28:31], v154 offset0:52 offset1:53
	v_pk_add_f32 v[214:215], v[214:215], v[42:43] neg_lo:[0,1] neg_hi:[0,1]
	v_pk_add_f32 v[208:209], v[208:209], v[32:33] neg_lo:[0,1] neg_hi:[0,1]
	s_wait_dscnt 0x0
	v_dual_mul_f32 v32, v29, v19 :: v_dual_mul_f32 v42, v29, v14
	s_delay_alu instid0(VALU_DEP_1) | instskip(NEXT) | instid1(VALU_DEP_2)
	v_pk_fma_f32 v[32:33], v[28:29], v[90:91], v[32:33] op_sel_hi:[1,1,0] neg_lo:[0,0,1] neg_hi:[0,0,1]
	v_pk_fma_f32 v[28:29], v[28:29], v[90:91], v[42:43] op_sel:[1,0,0] op_sel_hi:[0,1,0]
	s_delay_alu instid0(VALU_DEP_1) | instskip(SKIP_1) | instid1(VALU_DEP_2)
	v_mov_b32_e32 v33, v29
	v_pk_mul_f32 v[28:29], v[30:31], v[18:19] op_sel:[0,1]
	v_pk_add_f32 v[212:213], v[212:213], v[32:33] neg_lo:[0,1] neg_hi:[0,1]
	s_delay_alu instid0(VALU_DEP_2) | instskip(SKIP_1) | instid1(VALU_DEP_1)
	v_pk_fma_f32 v[32:33], v[30:31], v[14:15], v[28:29] op_sel:[0,0,1] op_sel_hi:[1,1,0] neg_lo:[0,0,1] neg_hi:[0,0,1]
	v_pk_fma_f32 v[28:29], v[30:31], v[14:15], v[28:29] op_sel:[0,0,1] op_sel_hi:[1,0,0]
	v_mov_b32_e32 v33, v29
	ds_load_b64 v[28:29], v154 offset:432
	v_pk_add_f32 v[218:219], v[218:219], v[32:33] neg_lo:[0,1] neg_hi:[0,1]
	s_wait_dscnt 0x0
	v_pk_mul_f32 v[18:19], v[28:29], v[18:19] op_sel:[0,1]
	s_delay_alu instid0(VALU_DEP_1) | instskip(SKIP_1) | instid1(VALU_DEP_1)
	v_pk_fma_f32 v[30:31], v[28:29], v[14:15], v[18:19] op_sel:[0,0,1] op_sel_hi:[1,1,0] neg_lo:[0,0,1] neg_hi:[0,0,1]
	v_pk_fma_f32 v[14:15], v[28:29], v[14:15], v[18:19] op_sel:[0,0,1] op_sel_hi:[1,0,0]
	v_mov_b32_e32 v31, v15
	s_delay_alu instid0(VALU_DEP_1)
	v_pk_add_f32 v[220:221], v[220:221], v[30:31] neg_lo:[0,1] neg_hi:[0,1]
.LBB109_217:
	s_or_b32 exec_lo, exec_lo, s1
	s_delay_alu instid0(SALU_CYCLE_1)
	s_mov_b32 s2, exec_lo
	s_wait_dscnt 0x0
	s_barrier_signal -1
	s_barrier_wait -1
	v_cmpx_eq_u32_e32 24, v152
	s_cbranch_execz .LBB109_224
; %bb.218:
	ds_store_b64 v153, v[114:115]
	ds_store_2addr_b64 v154, v[110:111], v[112:113] offset0:25 offset1:26
	ds_store_2addr_b64 v154, v[108:109], v[130:131] offset0:27 offset1:28
	;; [unrolled: 1-line block ×15, first 2 shown]
	ds_load_b64 v[14:15], v153
	s_wait_dscnt 0x0
	v_cmp_neq_f32_e32 vcc_lo, 0, v14
	v_cmp_neq_f32_e64 s1, 0, v15
	s_or_b32 s1, vcc_lo, s1
	s_delay_alu instid0(SALU_CYCLE_1)
	s_and_b32 exec_lo, exec_lo, s1
	s_cbranch_execz .LBB109_224
; %bb.219:
	v_cmp_ngt_f32_e64 s1, |v14|, |v15|
                                        ; implicit-def: $vgpr18_vgpr19
	s_and_saveexec_b32 s4, s1
	s_delay_alu instid0(SALU_CYCLE_1)
	s_xor_b32 s1, exec_lo, s4
	s_cbranch_execz .LBB109_221
; %bb.220:
	v_div_scale_f32 v18, null, v15, v15, v14
	v_div_scale_f32 v29, vcc_lo, v14, v15, v14
	s_delay_alu instid0(VALU_DEP_2) | instskip(SKIP_1) | instid1(TRANS32_DEP_1)
	v_rcp_f32_e32 v19, v18
	v_nop
	v_fma_f32 v28, -v18, v19, 1.0
	s_delay_alu instid0(VALU_DEP_1) | instskip(NEXT) | instid1(VALU_DEP_1)
	v_fmac_f32_e32 v19, v28, v19
	v_mul_f32_e32 v28, v29, v19
	s_delay_alu instid0(VALU_DEP_1) | instskip(NEXT) | instid1(VALU_DEP_1)
	v_fma_f32 v30, -v18, v28, v29
	v_fmac_f32_e32 v28, v30, v19
	s_delay_alu instid0(VALU_DEP_1) | instskip(NEXT) | instid1(VALU_DEP_1)
	v_fma_f32 v18, -v18, v28, v29
	v_div_fmas_f32 v18, v18, v19, v28
	s_delay_alu instid0(VALU_DEP_1) | instskip(NEXT) | instid1(VALU_DEP_1)
	v_div_fixup_f32 v18, v18, v15, v14
	v_fmac_f32_e32 v15, v14, v18
	s_delay_alu instid0(VALU_DEP_1) | instskip(SKIP_1) | instid1(VALU_DEP_2)
	v_div_scale_f32 v14, null, v15, v15, 1.0
	v_div_scale_f32 v29, vcc_lo, 1.0, v15, 1.0
	v_rcp_f32_e32 v19, v14
	v_nop
	s_delay_alu instid0(TRANS32_DEP_1) | instskip(NEXT) | instid1(VALU_DEP_1)
	v_fma_f32 v28, -v14, v19, 1.0
	v_fmac_f32_e32 v19, v28, v19
	s_delay_alu instid0(VALU_DEP_1) | instskip(NEXT) | instid1(VALU_DEP_1)
	v_mul_f32_e32 v28, v29, v19
	v_fma_f32 v30, -v14, v28, v29
	s_delay_alu instid0(VALU_DEP_1) | instskip(NEXT) | instid1(VALU_DEP_1)
	v_fmac_f32_e32 v28, v30, v19
	v_fma_f32 v14, -v14, v28, v29
	s_delay_alu instid0(VALU_DEP_1) | instskip(NEXT) | instid1(VALU_DEP_1)
	v_div_fmas_f32 v14, v14, v19, v28
	v_div_fixup_f32 v14, v14, v15, 1.0
	s_delay_alu instid0(VALU_DEP_1)
	v_mul_f32_e32 v18, v18, v14
	v_xor_b32_e32 v19, 0x80000000, v14
                                        ; implicit-def: $vgpr14_vgpr15
.LBB109_221:
	s_and_not1_saveexec_b32 s1, s1
	s_cbranch_execz .LBB109_223
; %bb.222:
	v_div_scale_f32 v18, null, v14, v14, v15
	v_div_scale_f32 v29, vcc_lo, v15, v14, v15
	s_delay_alu instid0(VALU_DEP_2) | instskip(SKIP_1) | instid1(TRANS32_DEP_1)
	v_rcp_f32_e32 v19, v18
	v_nop
	v_fma_f32 v28, -v18, v19, 1.0
	s_delay_alu instid0(VALU_DEP_1) | instskip(NEXT) | instid1(VALU_DEP_1)
	v_fmac_f32_e32 v19, v28, v19
	v_mul_f32_e32 v28, v29, v19
	s_delay_alu instid0(VALU_DEP_1) | instskip(NEXT) | instid1(VALU_DEP_1)
	v_fma_f32 v30, -v18, v28, v29
	v_fmac_f32_e32 v28, v30, v19
	s_delay_alu instid0(VALU_DEP_1) | instskip(NEXT) | instid1(VALU_DEP_1)
	v_fma_f32 v18, -v18, v28, v29
	v_div_fmas_f32 v18, v18, v19, v28
	s_delay_alu instid0(VALU_DEP_1) | instskip(NEXT) | instid1(VALU_DEP_1)
	v_div_fixup_f32 v19, v18, v14, v15
	v_fmac_f32_e32 v14, v15, v19
	s_delay_alu instid0(VALU_DEP_1) | instskip(NEXT) | instid1(VALU_DEP_1)
	v_div_scale_f32 v15, null, v14, v14, 1.0
	v_rcp_f32_e32 v18, v15
	v_nop
	s_delay_alu instid0(TRANS32_DEP_1) | instskip(NEXT) | instid1(VALU_DEP_1)
	v_fma_f32 v28, -v15, v18, 1.0
	v_fmac_f32_e32 v18, v28, v18
	v_div_scale_f32 v28, vcc_lo, 1.0, v14, 1.0
	s_delay_alu instid0(VALU_DEP_1) | instskip(NEXT) | instid1(VALU_DEP_1)
	v_mul_f32_e32 v29, v28, v18
	v_fma_f32 v30, -v15, v29, v28
	s_delay_alu instid0(VALU_DEP_1) | instskip(NEXT) | instid1(VALU_DEP_1)
	v_fmac_f32_e32 v29, v30, v18
	v_fma_f32 v15, -v15, v29, v28
	s_delay_alu instid0(VALU_DEP_1) | instskip(NEXT) | instid1(VALU_DEP_1)
	v_div_fmas_f32 v15, v15, v18, v29
	v_div_fixup_f32 v18, v15, v14, 1.0
	s_delay_alu instid0(VALU_DEP_1)
	v_mul_f32_e64 v19, v19, -v18
.LBB109_223:
	s_or_b32 exec_lo, exec_lo, s1
	ds_store_b64 v153, v[18:19]
.LBB109_224:
	s_or_b32 exec_lo, exec_lo, s2
	s_wait_dscnt 0x0
	s_barrier_signal -1
	s_barrier_wait -1
	ds_load_b64 v[14:15], v153
	s_mov_b32 s1, exec_lo
	v_cmpx_lt_u32_e32 24, v152
	s_cbranch_execz .LBB109_226
; %bb.225:
	ds_load_2addr_b64 v[30:33], v154 offset0:25 offset1:26
	s_wait_dscnt 0x1
	v_pk_mul_f32 v[28:29], v[14:15], v[114:115] op_sel:[1,1] op_sel_hi:[0,1]
	s_delay_alu instid0(VALU_DEP_1) | instskip(SKIP_1) | instid1(VALU_DEP_1)
	v_pk_fma_f32 v[18:19], v[14:15], v[114:115], v[28:29] op_sel_hi:[1,0,1] neg_lo:[0,0,1] neg_hi:[0,0,1]
	v_pk_fma_f32 v[28:29], v[14:15], v[114:115], v[28:29] op_sel_hi:[1,0,1]
	v_dual_mov_b32 v114, v18 :: v_dual_mov_b32 v115, v29
	s_wait_dscnt 0x0
	s_delay_alu instid0(VALU_DEP_2) | instskip(NEXT) | instid1(VALU_DEP_1)
	v_pk_mul_f32 v[42:43], v[30:31], v[28:29] op_sel:[0,1]
	v_pk_fma_f32 v[48:49], v[30:31], v[18:19], v[42:43] op_sel:[0,0,1] op_sel_hi:[1,1,0] neg_lo:[0,0,1] neg_hi:[0,0,1]
	v_pk_fma_f32 v[30:31], v[30:31], v[18:19], v[42:43] op_sel:[0,0,1] op_sel_hi:[1,0,0]
	s_delay_alu instid0(VALU_DEP_1) | instskip(SKIP_1) | instid1(VALU_DEP_1)
	v_mov_b32_e32 v49, v31
	v_pk_mul_f32 v[30:31], v[32:33], v[28:29] op_sel:[0,1]
	v_pk_fma_f32 v[42:43], v[32:33], v[18:19], v[30:31] op_sel:[0,0,1] op_sel_hi:[1,1,0] neg_lo:[0,0,1] neg_hi:[0,0,1]
	v_pk_fma_f32 v[30:31], v[32:33], v[18:19], v[30:31] op_sel:[0,0,1] op_sel_hi:[1,0,0]
	s_delay_alu instid0(VALU_DEP_1)
	v_mov_b32_e32 v43, v31
	ds_load_2addr_b64 v[30:33], v154 offset0:27 offset1:28
	v_pk_add_f32 v[110:111], v[110:111], v[48:49] neg_lo:[0,1] neg_hi:[0,1]
	v_pk_add_f32 v[112:113], v[112:113], v[42:43] neg_lo:[0,1] neg_hi:[0,1]
	s_wait_dscnt 0x0
	v_pk_mul_f32 v[42:43], v[30:31], v[28:29] op_sel:[0,1]
	s_delay_alu instid0(VALU_DEP_1) | instskip(SKIP_2) | instid1(VALU_DEP_2)
	v_pk_fma_f32 v[48:49], v[30:31], v[18:19], v[42:43] op_sel:[0,0,1] op_sel_hi:[1,1,0] neg_lo:[0,0,1] neg_hi:[0,0,1]
	v_pk_fma_f32 v[30:31], v[30:31], v[18:19], v[42:43] op_sel:[0,0,1] op_sel_hi:[1,0,0]
	v_dual_mul_f32 v42, v33, v29 :: v_dual_mov_b32 v30, v33
	v_dual_mov_b32 v49, v31 :: v_dual_mov_b32 v31, v32
	s_delay_alu instid0(VALU_DEP_2) | instskip(SKIP_1) | instid1(VALU_DEP_3)
	v_pk_fma_f32 v[42:43], v[32:33], v[114:115], v[42:43] op_sel_hi:[1,1,0] neg_lo:[0,0,1] neg_hi:[0,0,1]
	v_mul_f32_e32 v32, v33, v18
	v_pk_add_f32 v[108:109], v[108:109], v[48:49] neg_lo:[0,1] neg_hi:[0,1]
	s_delay_alu instid0(VALU_DEP_2) | instskip(NEXT) | instid1(VALU_DEP_1)
	v_pk_fma_f32 v[30:31], v[30:31], v[114:115], v[32:33] op_sel_hi:[1,1,0]
	v_mov_b32_e32 v43, v31
	ds_load_2addr_b64 v[30:33], v154 offset0:29 offset1:30
	v_pk_add_f32 v[130:131], v[130:131], v[42:43] neg_lo:[0,1] neg_hi:[0,1]
	s_wait_dscnt 0x0
	v_pk_mul_f32 v[42:43], v[30:31], v[28:29] op_sel:[0,1]
	s_delay_alu instid0(VALU_DEP_1) | instskip(SKIP_1) | instid1(VALU_DEP_1)
	v_pk_fma_f32 v[48:49], v[30:31], v[18:19], v[42:43] op_sel:[0,0,1] op_sel_hi:[1,1,0] neg_lo:[0,0,1] neg_hi:[0,0,1]
	v_pk_fma_f32 v[30:31], v[30:31], v[18:19], v[42:43] op_sel:[0,0,1] op_sel_hi:[1,0,0]
	v_mov_b32_e32 v49, v31
	v_pk_mul_f32 v[30:31], v[32:33], v[28:29] op_sel:[0,1]
	s_delay_alu instid0(VALU_DEP_1) | instskip(SKIP_1) | instid1(VALU_DEP_1)
	v_pk_fma_f32 v[42:43], v[32:33], v[18:19], v[30:31] op_sel:[0,0,1] op_sel_hi:[1,1,0] neg_lo:[0,0,1] neg_hi:[0,0,1]
	v_pk_fma_f32 v[30:31], v[32:33], v[18:19], v[30:31] op_sel:[0,0,1] op_sel_hi:[1,0,0]
	v_mov_b32_e32 v43, v31
	ds_load_2addr_b64 v[30:33], v154 offset0:31 offset1:32
	v_pk_add_f32 v[126:127], v[126:127], v[48:49] neg_lo:[0,1] neg_hi:[0,1]
	v_pk_add_f32 v[128:129], v[128:129], v[42:43] neg_lo:[0,1] neg_hi:[0,1]
	s_wait_dscnt 0x0
	v_pk_mul_f32 v[42:43], v[30:31], v[28:29] op_sel:[0,1]
	s_delay_alu instid0(VALU_DEP_1) | instskip(SKIP_1) | instid1(VALU_DEP_1)
	v_pk_fma_f32 v[48:49], v[30:31], v[18:19], v[42:43] op_sel:[0,0,1] op_sel_hi:[1,1,0] neg_lo:[0,0,1] neg_hi:[0,0,1]
	v_pk_fma_f32 v[30:31], v[30:31], v[18:19], v[42:43] op_sel:[0,0,1] op_sel_hi:[1,0,0]
	v_mov_b32_e32 v49, v31
	v_pk_mul_f32 v[30:31], v[32:33], v[28:29] op_sel:[0,1]
	s_delay_alu instid0(VALU_DEP_1) | instskip(SKIP_1) | instid1(VALU_DEP_1)
	v_pk_fma_f32 v[42:43], v[32:33], v[18:19], v[30:31] op_sel:[0,0,1] op_sel_hi:[1,1,0] neg_lo:[0,0,1] neg_hi:[0,0,1]
	v_pk_fma_f32 v[30:31], v[32:33], v[18:19], v[30:31] op_sel:[0,0,1] op_sel_hi:[1,0,0]
	v_mov_b32_e32 v43, v31
	ds_load_2addr_b64 v[30:33], v154 offset0:33 offset1:34
	v_pk_add_f32 v[124:125], v[124:125], v[48:49] neg_lo:[0,1] neg_hi:[0,1]
	v_pk_add_f32 v[146:147], v[146:147], v[42:43] neg_lo:[0,1] neg_hi:[0,1]
	s_wait_dscnt 0x0
	v_dual_mul_f32 v42, v31, v29 :: v_dual_mul_f32 v48, v31, v18
	s_delay_alu instid0(VALU_DEP_1) | instskip(NEXT) | instid1(VALU_DEP_2)
	v_pk_fma_f32 v[42:43], v[30:31], v[114:115], v[42:43] op_sel_hi:[1,1,0] neg_lo:[0,0,1] neg_hi:[0,0,1]
	v_pk_fma_f32 v[30:31], v[30:31], v[114:115], v[48:49] op_sel:[1,0,0] op_sel_hi:[0,1,0]
	s_delay_alu instid0(VALU_DEP_1) | instskip(SKIP_1) | instid1(VALU_DEP_2)
	v_mov_b32_e32 v43, v31
	v_pk_mul_f32 v[30:31], v[32:33], v[28:29] op_sel:[0,1]
	v_pk_add_f32 v[142:143], v[142:143], v[42:43] neg_lo:[0,1] neg_hi:[0,1]
	s_delay_alu instid0(VALU_DEP_2) | instskip(SKIP_1) | instid1(VALU_DEP_1)
	v_pk_fma_f32 v[42:43], v[32:33], v[18:19], v[30:31] op_sel:[0,0,1] op_sel_hi:[1,1,0] neg_lo:[0,0,1] neg_hi:[0,0,1]
	v_pk_fma_f32 v[30:31], v[32:33], v[18:19], v[30:31] op_sel:[0,0,1] op_sel_hi:[1,0,0]
	v_mov_b32_e32 v43, v31
	ds_load_2addr_b64 v[30:33], v154 offset0:35 offset1:36
	v_pk_add_f32 v[144:145], v[144:145], v[42:43] neg_lo:[0,1] neg_hi:[0,1]
	s_wait_dscnt 0x0
	v_pk_mul_f32 v[42:43], v[30:31], v[28:29] op_sel:[0,1]
	s_delay_alu instid0(VALU_DEP_1) | instskip(SKIP_1) | instid1(VALU_DEP_1)
	v_pk_fma_f32 v[48:49], v[30:31], v[18:19], v[42:43] op_sel:[0,0,1] op_sel_hi:[1,1,0] neg_lo:[0,0,1] neg_hi:[0,0,1]
	v_pk_fma_f32 v[30:31], v[30:31], v[18:19], v[42:43] op_sel:[0,0,1] op_sel_hi:[1,0,0]
	v_mov_b32_e32 v49, v31
	v_pk_mul_f32 v[30:31], v[32:33], v[28:29] op_sel:[0,1]
	s_delay_alu instid0(VALU_DEP_2) | instskip(NEXT) | instid1(VALU_DEP_2)
	v_pk_add_f32 v[140:141], v[140:141], v[48:49] neg_lo:[0,1] neg_hi:[0,1]
	v_pk_fma_f32 v[42:43], v[32:33], v[18:19], v[30:31] op_sel:[0,0,1] op_sel_hi:[1,1,0] neg_lo:[0,0,1] neg_hi:[0,0,1]
	v_pk_fma_f32 v[30:31], v[32:33], v[18:19], v[30:31] op_sel:[0,0,1] op_sel_hi:[1,0,0]
	s_delay_alu instid0(VALU_DEP_1) | instskip(SKIP_4) | instid1(VALU_DEP_1)
	v_mov_b32_e32 v43, v31
	ds_load_2addr_b64 v[30:33], v154 offset0:37 offset1:38
	v_pk_add_f32 v[162:163], v[162:163], v[42:43] neg_lo:[0,1] neg_hi:[0,1]
	s_wait_dscnt 0x0
	v_pk_mul_f32 v[42:43], v[30:31], v[28:29] op_sel:[0,1]
	v_pk_fma_f32 v[48:49], v[30:31], v[18:19], v[42:43] op_sel:[0,0,1] op_sel_hi:[1,1,0] neg_lo:[0,0,1] neg_hi:[0,0,1]
	v_pk_fma_f32 v[30:31], v[30:31], v[18:19], v[42:43] op_sel:[0,0,1] op_sel_hi:[1,0,0]
	v_dual_mul_f32 v42, v33, v29 :: v_dual_mov_b32 v30, v33
	s_delay_alu instid0(VALU_DEP_2) | instskip(NEXT) | instid1(VALU_DEP_2)
	v_dual_mov_b32 v49, v31 :: v_dual_mov_b32 v31, v32
	v_pk_fma_f32 v[42:43], v[32:33], v[114:115], v[42:43] op_sel_hi:[1,1,0] neg_lo:[0,0,1] neg_hi:[0,0,1]
	v_mul_f32_e32 v32, v33, v18
	s_delay_alu instid0(VALU_DEP_3) | instskip(NEXT) | instid1(VALU_DEP_2)
	v_pk_add_f32 v[158:159], v[158:159], v[48:49] neg_lo:[0,1] neg_hi:[0,1]
	v_pk_fma_f32 v[30:31], v[30:31], v[114:115], v[32:33] op_sel_hi:[1,1,0]
	s_delay_alu instid0(VALU_DEP_1) | instskip(SKIP_4) | instid1(VALU_DEP_1)
	v_mov_b32_e32 v43, v31
	ds_load_2addr_b64 v[30:33], v154 offset0:39 offset1:40
	v_pk_add_f32 v[160:161], v[160:161], v[42:43] neg_lo:[0,1] neg_hi:[0,1]
	s_wait_dscnt 0x0
	v_pk_mul_f32 v[42:43], v[30:31], v[28:29] op_sel:[0,1]
	v_pk_fma_f32 v[48:49], v[30:31], v[18:19], v[42:43] op_sel:[0,0,1] op_sel_hi:[1,1,0] neg_lo:[0,0,1] neg_hi:[0,0,1]
	v_pk_fma_f32 v[30:31], v[30:31], v[18:19], v[42:43] op_sel:[0,0,1] op_sel_hi:[1,0,0]
	s_delay_alu instid0(VALU_DEP_1) | instskip(SKIP_1) | instid1(VALU_DEP_1)
	v_mov_b32_e32 v49, v31
	v_pk_mul_f32 v[30:31], v[32:33], v[28:29] op_sel:[0,1]
	v_pk_fma_f32 v[42:43], v[32:33], v[18:19], v[30:31] op_sel:[0,0,1] op_sel_hi:[1,1,0] neg_lo:[0,0,1] neg_hi:[0,0,1]
	v_pk_fma_f32 v[30:31], v[32:33], v[18:19], v[30:31] op_sel:[0,0,1] op_sel_hi:[1,0,0]
	s_delay_alu instid0(VALU_DEP_1)
	v_mov_b32_e32 v43, v31
	ds_load_2addr_b64 v[30:33], v154 offset0:41 offset1:42
	v_pk_add_f32 v[156:157], v[156:157], v[48:49] neg_lo:[0,1] neg_hi:[0,1]
	v_pk_add_f32 v[178:179], v[178:179], v[42:43] neg_lo:[0,1] neg_hi:[0,1]
	s_wait_dscnt 0x0
	v_pk_mul_f32 v[42:43], v[30:31], v[28:29] op_sel:[0,1]
	s_delay_alu instid0(VALU_DEP_1) | instskip(SKIP_1) | instid1(VALU_DEP_1)
	v_pk_fma_f32 v[48:49], v[30:31], v[18:19], v[42:43] op_sel:[0,0,1] op_sel_hi:[1,1,0] neg_lo:[0,0,1] neg_hi:[0,0,1]
	v_pk_fma_f32 v[30:31], v[30:31], v[18:19], v[42:43] op_sel:[0,0,1] op_sel_hi:[1,0,0]
	v_mov_b32_e32 v49, v31
	v_pk_mul_f32 v[30:31], v[32:33], v[28:29] op_sel:[0,1]
	s_delay_alu instid0(VALU_DEP_1) | instskip(SKIP_1) | instid1(VALU_DEP_1)
	v_pk_fma_f32 v[42:43], v[32:33], v[18:19], v[30:31] op_sel:[0,0,1] op_sel_hi:[1,1,0] neg_lo:[0,0,1] neg_hi:[0,0,1]
	v_pk_fma_f32 v[30:31], v[32:33], v[18:19], v[30:31] op_sel:[0,0,1] op_sel_hi:[1,0,0]
	v_mov_b32_e32 v43, v31
	ds_load_2addr_b64 v[30:33], v154 offset0:43 offset1:44
	v_pk_add_f32 v[174:175], v[174:175], v[48:49] neg_lo:[0,1] neg_hi:[0,1]
	v_pk_add_f32 v[176:177], v[176:177], v[42:43] neg_lo:[0,1] neg_hi:[0,1]
	s_wait_dscnt 0x0
	v_dual_mul_f32 v42, v31, v29 :: v_dual_mul_f32 v48, v31, v18
	s_delay_alu instid0(VALU_DEP_1) | instskip(NEXT) | instid1(VALU_DEP_2)
	v_pk_fma_f32 v[42:43], v[30:31], v[114:115], v[42:43] op_sel_hi:[1,1,0] neg_lo:[0,0,1] neg_hi:[0,0,1]
	v_pk_fma_f32 v[30:31], v[30:31], v[114:115], v[48:49] op_sel:[1,0,0] op_sel_hi:[0,1,0]
	s_delay_alu instid0(VALU_DEP_1) | instskip(SKIP_1) | instid1(VALU_DEP_2)
	v_mov_b32_e32 v43, v31
	v_pk_mul_f32 v[30:31], v[32:33], v[28:29] op_sel:[0,1]
	v_pk_add_f32 v[172:173], v[172:173], v[42:43] neg_lo:[0,1] neg_hi:[0,1]
	s_delay_alu instid0(VALU_DEP_2) | instskip(SKIP_1) | instid1(VALU_DEP_1)
	v_pk_fma_f32 v[42:43], v[32:33], v[18:19], v[30:31] op_sel:[0,0,1] op_sel_hi:[1,1,0] neg_lo:[0,0,1] neg_hi:[0,0,1]
	v_pk_fma_f32 v[30:31], v[32:33], v[18:19], v[30:31] op_sel:[0,0,1] op_sel_hi:[1,0,0]
	v_mov_b32_e32 v43, v31
	ds_load_2addr_b64 v[30:33], v154 offset0:45 offset1:46
	v_pk_add_f32 v[196:197], v[196:197], v[42:43] neg_lo:[0,1] neg_hi:[0,1]
	s_wait_dscnt 0x0
	v_pk_mul_f32 v[42:43], v[30:31], v[28:29] op_sel:[0,1]
	s_delay_alu instid0(VALU_DEP_1) | instskip(SKIP_1) | instid1(VALU_DEP_1)
	v_pk_fma_f32 v[48:49], v[30:31], v[18:19], v[42:43] op_sel:[0,0,1] op_sel_hi:[1,1,0] neg_lo:[0,0,1] neg_hi:[0,0,1]
	v_pk_fma_f32 v[30:31], v[30:31], v[18:19], v[42:43] op_sel:[0,0,1] op_sel_hi:[1,0,0]
	v_mov_b32_e32 v49, v31
	v_pk_mul_f32 v[30:31], v[32:33], v[28:29] op_sel:[0,1]
	s_delay_alu instid0(VALU_DEP_2) | instskip(NEXT) | instid1(VALU_DEP_2)
	v_pk_add_f32 v[192:193], v[192:193], v[48:49] neg_lo:[0,1] neg_hi:[0,1]
	v_pk_fma_f32 v[42:43], v[32:33], v[18:19], v[30:31] op_sel:[0,0,1] op_sel_hi:[1,1,0] neg_lo:[0,0,1] neg_hi:[0,0,1]
	v_pk_fma_f32 v[30:31], v[32:33], v[18:19], v[30:31] op_sel:[0,0,1] op_sel_hi:[1,0,0]
	s_delay_alu instid0(VALU_DEP_1) | instskip(SKIP_4) | instid1(VALU_DEP_1)
	v_mov_b32_e32 v43, v31
	ds_load_2addr_b64 v[30:33], v154 offset0:47 offset1:48
	v_pk_add_f32 v[194:195], v[194:195], v[42:43] neg_lo:[0,1] neg_hi:[0,1]
	s_wait_dscnt 0x0
	v_pk_mul_f32 v[42:43], v[30:31], v[28:29] op_sel:[0,1]
	v_pk_fma_f32 v[48:49], v[30:31], v[18:19], v[42:43] op_sel:[0,0,1] op_sel_hi:[1,1,0] neg_lo:[0,0,1] neg_hi:[0,0,1]
	v_pk_fma_f32 v[30:31], v[30:31], v[18:19], v[42:43] op_sel:[0,0,1] op_sel_hi:[1,0,0]
	v_dual_mul_f32 v42, v33, v29 :: v_dual_mov_b32 v30, v33
	s_delay_alu instid0(VALU_DEP_2) | instskip(NEXT) | instid1(VALU_DEP_2)
	v_dual_mov_b32 v49, v31 :: v_dual_mov_b32 v31, v32
	v_pk_fma_f32 v[42:43], v[32:33], v[114:115], v[42:43] op_sel_hi:[1,1,0] neg_lo:[0,0,1] neg_hi:[0,0,1]
	v_mul_f32_e32 v32, v33, v18
	s_delay_alu instid0(VALU_DEP_3) | instskip(NEXT) | instid1(VALU_DEP_2)
	v_pk_add_f32 v[190:191], v[190:191], v[48:49] neg_lo:[0,1] neg_hi:[0,1]
	v_pk_fma_f32 v[30:31], v[30:31], v[114:115], v[32:33] op_sel_hi:[1,1,0]
	s_delay_alu instid0(VALU_DEP_1) | instskip(SKIP_4) | instid1(VALU_DEP_1)
	v_mov_b32_e32 v43, v31
	ds_load_2addr_b64 v[30:33], v154 offset0:49 offset1:50
	v_pk_add_f32 v[216:217], v[216:217], v[42:43] neg_lo:[0,1] neg_hi:[0,1]
	s_wait_dscnt 0x0
	v_pk_mul_f32 v[42:43], v[30:31], v[28:29] op_sel:[0,1]
	v_pk_fma_f32 v[48:49], v[30:31], v[18:19], v[42:43] op_sel:[0,0,1] op_sel_hi:[1,1,0] neg_lo:[0,0,1] neg_hi:[0,0,1]
	v_pk_fma_f32 v[30:31], v[30:31], v[18:19], v[42:43] op_sel:[0,0,1] op_sel_hi:[1,0,0]
	s_delay_alu instid0(VALU_DEP_1) | instskip(SKIP_1) | instid1(VALU_DEP_1)
	v_mov_b32_e32 v49, v31
	v_pk_mul_f32 v[30:31], v[32:33], v[28:29] op_sel:[0,1]
	v_pk_fma_f32 v[42:43], v[32:33], v[18:19], v[30:31] op_sel:[0,0,1] op_sel_hi:[1,1,0] neg_lo:[0,0,1] neg_hi:[0,0,1]
	v_pk_fma_f32 v[30:31], v[32:33], v[18:19], v[30:31] op_sel:[0,0,1] op_sel_hi:[1,0,0]
	s_delay_alu instid0(VALU_DEP_1)
	v_mov_b32_e32 v43, v31
	ds_load_2addr_b64 v[30:33], v154 offset0:51 offset1:52
	v_pk_add_f32 v[210:211], v[210:211], v[48:49] neg_lo:[0,1] neg_hi:[0,1]
	v_pk_add_f32 v[214:215], v[214:215], v[42:43] neg_lo:[0,1] neg_hi:[0,1]
	s_wait_dscnt 0x0
	v_pk_mul_f32 v[42:43], v[30:31], v[28:29] op_sel:[0,1]
	s_delay_alu instid0(VALU_DEP_1) | instskip(SKIP_1) | instid1(VALU_DEP_1)
	v_pk_fma_f32 v[48:49], v[30:31], v[18:19], v[42:43] op_sel:[0,0,1] op_sel_hi:[1,1,0] neg_lo:[0,0,1] neg_hi:[0,0,1]
	v_pk_fma_f32 v[30:31], v[30:31], v[18:19], v[42:43] op_sel:[0,0,1] op_sel_hi:[1,0,0]
	v_mov_b32_e32 v49, v31
	v_pk_mul_f32 v[30:31], v[32:33], v[28:29] op_sel:[0,1]
	s_delay_alu instid0(VALU_DEP_1) | instskip(SKIP_1) | instid1(VALU_DEP_1)
	v_pk_fma_f32 v[42:43], v[32:33], v[18:19], v[30:31] op_sel:[0,0,1] op_sel_hi:[1,1,0] neg_lo:[0,0,1] neg_hi:[0,0,1]
	v_pk_fma_f32 v[30:31], v[32:33], v[18:19], v[30:31] op_sel:[0,0,1] op_sel_hi:[1,0,0]
	v_mov_b32_e32 v43, v31
	ds_load_2addr_b64 v[30:33], v154 offset0:53 offset1:54
	v_pk_add_f32 v[208:209], v[208:209], v[48:49] neg_lo:[0,1] neg_hi:[0,1]
	v_pk_add_f32 v[212:213], v[212:213], v[42:43] neg_lo:[0,1] neg_hi:[0,1]
	s_wait_dscnt 0x0
	v_mul_f32_e32 v28, v31, v29
	s_delay_alu instid0(VALU_DEP_1) | instskip(SKIP_1) | instid1(VALU_DEP_1)
	v_pk_fma_f32 v[42:43], v[30:31], v[114:115], v[28:29] op_sel_hi:[1,1,0] neg_lo:[0,0,1] neg_hi:[0,0,1]
	v_dual_mul_f32 v28, v31, v18 :: v_dual_mul_f32 v18, v33, v18
	v_pk_fma_f32 v[30:31], v[30:31], v[114:115], v[28:29] op_sel:[1,0,0] op_sel_hi:[0,1,0]
	v_dual_mov_b32 v30, v33 :: v_dual_mul_f32 v28, v33, v29
	s_delay_alu instid0(VALU_DEP_2) | instskip(NEXT) | instid1(VALU_DEP_2)
	v_dual_mov_b32 v43, v31 :: v_dual_mov_b32 v31, v32
	v_pk_fma_f32 v[28:29], v[32:33], v[114:115], v[28:29] op_sel_hi:[1,1,0] neg_lo:[0,0,1] neg_hi:[0,0,1]
	s_delay_alu instid0(VALU_DEP_2) | instskip(NEXT) | instid1(VALU_DEP_3)
	v_pk_add_f32 v[218:219], v[218:219], v[42:43] neg_lo:[0,1] neg_hi:[0,1]
	v_pk_fma_f32 v[18:19], v[30:31], v[114:115], v[18:19] op_sel_hi:[1,1,0]
	s_delay_alu instid0(VALU_DEP_1) | instskip(NEXT) | instid1(VALU_DEP_1)
	v_mov_b32_e32 v29, v19
	v_pk_add_f32 v[220:221], v[220:221], v[28:29] neg_lo:[0,1] neg_hi:[0,1]
.LBB109_226:
	s_or_b32 exec_lo, exec_lo, s1
	s_delay_alu instid0(SALU_CYCLE_1)
	s_mov_b32 s2, exec_lo
	s_wait_dscnt 0x0
	s_barrier_signal -1
	s_barrier_wait -1
	v_cmpx_eq_u32_e32 25, v152
	s_cbranch_execz .LBB109_233
; %bb.227:
	v_dual_mov_b32 v18, v112 :: v_dual_mov_b32 v19, v113
	v_dual_mov_b32 v28, v108 :: v_dual_mov_b32 v29, v109
	ds_store_b64 v153, v[110:111]
	ds_store_2addr_b64 v154, v[18:19], v[28:29] offset0:26 offset1:27
	v_dual_mov_b32 v18, v130 :: v_dual_mov_b32 v19, v131
	v_dual_mov_b32 v28, v126 :: v_dual_mov_b32 v29, v127
	ds_store_2addr_b64 v154, v[18:19], v[28:29] offset0:28 offset1:29
	v_dual_mov_b32 v18, v128 :: v_dual_mov_b32 v19, v129
	v_dual_mov_b32 v28, v124 :: v_dual_mov_b32 v29, v125
	ds_store_2addr_b64 v154, v[18:19], v[28:29] offset0:30 offset1:31
	v_dual_mov_b32 v18, v146 :: v_dual_mov_b32 v19, v147
	v_dual_mov_b32 v28, v142 :: v_dual_mov_b32 v29, v143
	ds_store_2addr_b64 v154, v[18:19], v[28:29] offset0:32 offset1:33
	v_dual_mov_b32 v18, v144 :: v_dual_mov_b32 v19, v145
	v_dual_mov_b32 v28, v140 :: v_dual_mov_b32 v29, v141
	ds_store_2addr_b64 v154, v[18:19], v[28:29] offset0:34 offset1:35
	v_dual_mov_b32 v18, v162 :: v_dual_mov_b32 v19, v163
	v_dual_mov_b32 v28, v158 :: v_dual_mov_b32 v29, v159
	ds_store_2addr_b64 v154, v[18:19], v[28:29] offset0:36 offset1:37
	v_dual_mov_b32 v18, v160 :: v_dual_mov_b32 v19, v161
	v_dual_mov_b32 v28, v156 :: v_dual_mov_b32 v29, v157
	ds_store_2addr_b64 v154, v[18:19], v[28:29] offset0:38 offset1:39
	v_dual_mov_b32 v18, v178 :: v_dual_mov_b32 v19, v179
	v_dual_mov_b32 v28, v174 :: v_dual_mov_b32 v29, v175
	ds_store_2addr_b64 v154, v[18:19], v[28:29] offset0:40 offset1:41
	v_dual_mov_b32 v18, v176 :: v_dual_mov_b32 v19, v177
	v_dual_mov_b32 v28, v172 :: v_dual_mov_b32 v29, v173
	ds_store_2addr_b64 v154, v[18:19], v[28:29] offset0:42 offset1:43
	v_dual_mov_b32 v18, v196 :: v_dual_mov_b32 v19, v197
	v_dual_mov_b32 v28, v192 :: v_dual_mov_b32 v29, v193
	ds_store_2addr_b64 v154, v[18:19], v[28:29] offset0:44 offset1:45
	v_dual_mov_b32 v18, v194 :: v_dual_mov_b32 v19, v195
	v_dual_mov_b32 v28, v190 :: v_dual_mov_b32 v29, v191
	ds_store_2addr_b64 v154, v[18:19], v[28:29] offset0:46 offset1:47
	v_dual_mov_b32 v18, v216 :: v_dual_mov_b32 v19, v217
	v_dual_mov_b32 v28, v210 :: v_dual_mov_b32 v29, v211
	ds_store_2addr_b64 v154, v[18:19], v[28:29] offset0:48 offset1:49
	v_dual_mov_b32 v18, v214 :: v_dual_mov_b32 v19, v215
	v_dual_mov_b32 v28, v208 :: v_dual_mov_b32 v29, v209
	ds_store_2addr_b64 v154, v[18:19], v[28:29] offset0:50 offset1:51
	v_dual_mov_b32 v18, v212 :: v_dual_mov_b32 v19, v213
	v_dual_mov_b32 v28, v218 :: v_dual_mov_b32 v29, v219
	ds_store_2addr_b64 v154, v[18:19], v[28:29] offset0:52 offset1:53
	ds_store_b64 v154, v[220:221] offset:432
	ds_load_b64 v[18:19], v153
	s_wait_dscnt 0x0
	v_cmp_neq_f32_e32 vcc_lo, 0, v18
	v_cmp_neq_f32_e64 s1, 0, v19
	s_or_b32 s1, vcc_lo, s1
	s_delay_alu instid0(SALU_CYCLE_1)
	s_and_b32 exec_lo, exec_lo, s1
	s_cbranch_execz .LBB109_233
; %bb.228:
	v_cmp_ngt_f32_e64 s1, |v18|, |v19|
                                        ; implicit-def: $vgpr28_vgpr29
	s_and_saveexec_b32 s4, s1
	s_delay_alu instid0(SALU_CYCLE_1)
	s_xor_b32 s1, exec_lo, s4
	s_cbranch_execz .LBB109_230
; %bb.229:
	v_div_scale_f32 v28, null, v19, v19, v18
	v_div_scale_f32 v31, vcc_lo, v18, v19, v18
	s_delay_alu instid0(VALU_DEP_2) | instskip(SKIP_1) | instid1(TRANS32_DEP_1)
	v_rcp_f32_e32 v29, v28
	v_nop
	v_fma_f32 v30, -v28, v29, 1.0
	s_delay_alu instid0(VALU_DEP_1) | instskip(NEXT) | instid1(VALU_DEP_1)
	v_fmac_f32_e32 v29, v30, v29
	v_mul_f32_e32 v30, v31, v29
	s_delay_alu instid0(VALU_DEP_1) | instskip(NEXT) | instid1(VALU_DEP_1)
	v_fma_f32 v32, -v28, v30, v31
	v_fmac_f32_e32 v30, v32, v29
	s_delay_alu instid0(VALU_DEP_1) | instskip(NEXT) | instid1(VALU_DEP_1)
	v_fma_f32 v28, -v28, v30, v31
	v_div_fmas_f32 v28, v28, v29, v30
	s_delay_alu instid0(VALU_DEP_1) | instskip(NEXT) | instid1(VALU_DEP_1)
	v_div_fixup_f32 v28, v28, v19, v18
	v_fmac_f32_e32 v19, v18, v28
	s_delay_alu instid0(VALU_DEP_1) | instskip(SKIP_1) | instid1(VALU_DEP_2)
	v_div_scale_f32 v18, null, v19, v19, 1.0
	v_div_scale_f32 v31, vcc_lo, 1.0, v19, 1.0
	v_rcp_f32_e32 v29, v18
	v_nop
	s_delay_alu instid0(TRANS32_DEP_1) | instskip(NEXT) | instid1(VALU_DEP_1)
	v_fma_f32 v30, -v18, v29, 1.0
	v_fmac_f32_e32 v29, v30, v29
	s_delay_alu instid0(VALU_DEP_1) | instskip(NEXT) | instid1(VALU_DEP_1)
	v_mul_f32_e32 v30, v31, v29
	v_fma_f32 v32, -v18, v30, v31
	s_delay_alu instid0(VALU_DEP_1) | instskip(NEXT) | instid1(VALU_DEP_1)
	v_fmac_f32_e32 v30, v32, v29
	v_fma_f32 v18, -v18, v30, v31
	s_delay_alu instid0(VALU_DEP_1) | instskip(NEXT) | instid1(VALU_DEP_1)
	v_div_fmas_f32 v18, v18, v29, v30
	v_div_fixup_f32 v18, v18, v19, 1.0
	s_delay_alu instid0(VALU_DEP_1)
	v_mul_f32_e32 v28, v28, v18
	v_xor_b32_e32 v29, 0x80000000, v18
                                        ; implicit-def: $vgpr18_vgpr19
.LBB109_230:
	s_and_not1_saveexec_b32 s1, s1
	s_cbranch_execz .LBB109_232
; %bb.231:
	v_div_scale_f32 v28, null, v18, v18, v19
	v_div_scale_f32 v31, vcc_lo, v19, v18, v19
	s_delay_alu instid0(VALU_DEP_2) | instskip(SKIP_1) | instid1(TRANS32_DEP_1)
	v_rcp_f32_e32 v29, v28
	v_nop
	v_fma_f32 v30, -v28, v29, 1.0
	s_delay_alu instid0(VALU_DEP_1) | instskip(NEXT) | instid1(VALU_DEP_1)
	v_fmac_f32_e32 v29, v30, v29
	v_mul_f32_e32 v30, v31, v29
	s_delay_alu instid0(VALU_DEP_1) | instskip(NEXT) | instid1(VALU_DEP_1)
	v_fma_f32 v32, -v28, v30, v31
	v_fmac_f32_e32 v30, v32, v29
	s_delay_alu instid0(VALU_DEP_1) | instskip(NEXT) | instid1(VALU_DEP_1)
	v_fma_f32 v28, -v28, v30, v31
	v_div_fmas_f32 v28, v28, v29, v30
	s_delay_alu instid0(VALU_DEP_1) | instskip(NEXT) | instid1(VALU_DEP_1)
	v_div_fixup_f32 v29, v28, v18, v19
	v_fmac_f32_e32 v18, v19, v29
	s_delay_alu instid0(VALU_DEP_1) | instskip(NEXT) | instid1(VALU_DEP_1)
	v_div_scale_f32 v19, null, v18, v18, 1.0
	v_rcp_f32_e32 v28, v19
	v_nop
	s_delay_alu instid0(TRANS32_DEP_1) | instskip(NEXT) | instid1(VALU_DEP_1)
	v_fma_f32 v30, -v19, v28, 1.0
	v_fmac_f32_e32 v28, v30, v28
	v_div_scale_f32 v30, vcc_lo, 1.0, v18, 1.0
	s_delay_alu instid0(VALU_DEP_1) | instskip(NEXT) | instid1(VALU_DEP_1)
	v_mul_f32_e32 v31, v30, v28
	v_fma_f32 v32, -v19, v31, v30
	s_delay_alu instid0(VALU_DEP_1) | instskip(NEXT) | instid1(VALU_DEP_1)
	v_fmac_f32_e32 v31, v32, v28
	v_fma_f32 v19, -v19, v31, v30
	s_delay_alu instid0(VALU_DEP_1) | instskip(NEXT) | instid1(VALU_DEP_1)
	v_div_fmas_f32 v19, v19, v28, v31
	v_div_fixup_f32 v28, v19, v18, 1.0
	s_delay_alu instid0(VALU_DEP_1)
	v_mul_f32_e64 v29, v29, -v28
.LBB109_232:
	s_or_b32 exec_lo, exec_lo, s1
	ds_store_b64 v153, v[28:29]
.LBB109_233:
	s_or_b32 exec_lo, exec_lo, s2
	s_wait_dscnt 0x0
	s_barrier_signal -1
	s_barrier_wait -1
	ds_load_b64 v[18:19], v153
	s_mov_b32 s1, exec_lo
	v_cmpx_lt_u32_e32 25, v152
	s_cbranch_execz .LBB109_235
; %bb.234:
	ds_load_2addr_b64 v[48:51], v154 offset0:26 offset1:27
	s_wait_dscnt 0x1
	v_pk_mul_f32 v[30:31], v[18:19], v[110:111] op_sel:[1,1] op_sel_hi:[0,1]
	s_delay_alu instid0(VALU_DEP_1) | instskip(SKIP_1) | instid1(VALU_DEP_1)
	v_pk_fma_f32 v[28:29], v[18:19], v[110:111], v[30:31] op_sel_hi:[1,0,1] neg_lo:[0,0,1] neg_hi:[0,0,1]
	v_pk_fma_f32 v[30:31], v[18:19], v[110:111], v[30:31] op_sel_hi:[1,0,1]
	v_dual_mov_b32 v110, v28 :: v_dual_mov_b32 v111, v31
	s_wait_dscnt 0x0
	s_delay_alu instid0(VALU_DEP_2) | instskip(NEXT) | instid1(VALU_DEP_1)
	v_pk_mul_f32 v[32:33], v[48:49], v[30:31] op_sel:[0,1]
	v_pk_fma_f32 v[42:43], v[48:49], v[28:29], v[32:33] op_sel:[0,0,1] op_sel_hi:[1,1,0] neg_lo:[0,0,1] neg_hi:[0,0,1]
	v_pk_fma_f32 v[32:33], v[48:49], v[28:29], v[32:33] op_sel:[0,0,1] op_sel_hi:[1,0,0]
	s_delay_alu instid0(VALU_DEP_1) | instskip(SKIP_1) | instid1(VALU_DEP_2)
	v_mov_b32_e32 v43, v33
	v_pk_mul_f32 v[32:33], v[50:51], v[30:31] op_sel:[0,1]
	v_pk_add_f32 v[112:113], v[112:113], v[42:43] neg_lo:[0,1] neg_hi:[0,1]
	s_delay_alu instid0(VALU_DEP_2) | instskip(SKIP_3) | instid1(VALU_DEP_1)
	v_pk_fma_f32 v[42:43], v[50:51], v[28:29], v[32:33] op_sel:[0,0,1] op_sel_hi:[1,1,0] neg_lo:[0,0,1] neg_hi:[0,0,1]
	v_pk_fma_f32 v[32:33], v[50:51], v[28:29], v[32:33] op_sel:[0,0,1] op_sel_hi:[1,0,0]
	ds_load_2addr_b64 v[48:51], v154 offset0:28 offset1:29
	v_mov_b32_e32 v43, v33
	v_pk_add_f32 v[108:109], v[108:109], v[42:43] neg_lo:[0,1] neg_hi:[0,1]
	s_wait_dscnt 0x0
	v_pk_mul_f32 v[32:33], v[48:49], v[30:31] op_sel:[0,1]
	s_delay_alu instid0(VALU_DEP_1) | instskip(SKIP_2) | instid1(VALU_DEP_2)
	v_pk_fma_f32 v[42:43], v[48:49], v[28:29], v[32:33] op_sel:[0,0,1] op_sel_hi:[1,1,0] neg_lo:[0,0,1] neg_hi:[0,0,1]
	v_pk_fma_f32 v[32:33], v[48:49], v[28:29], v[32:33] op_sel:[0,0,1] op_sel_hi:[1,0,0]
	v_dual_mov_b32 v32, v51 :: v_dual_mul_f32 v48, v51, v28
	v_dual_mov_b32 v43, v33 :: v_dual_mov_b32 v33, v50
	s_delay_alu instid0(VALU_DEP_1) | instskip(SKIP_1) | instid1(VALU_DEP_3)
	v_pk_add_f32 v[130:131], v[130:131], v[42:43] neg_lo:[0,1] neg_hi:[0,1]
	v_mul_f32_e32 v42, v51, v31
	v_pk_fma_f32 v[32:33], v[32:33], v[110:111], v[48:49] op_sel_hi:[1,1,0]
	s_delay_alu instid0(VALU_DEP_2) | instskip(SKIP_2) | instid1(VALU_DEP_1)
	v_pk_fma_f32 v[42:43], v[50:51], v[110:111], v[42:43] op_sel_hi:[1,1,0] neg_lo:[0,0,1] neg_hi:[0,0,1]
	ds_load_2addr_b64 v[48:51], v154 offset0:30 offset1:31
	v_mov_b32_e32 v43, v33
	v_pk_add_f32 v[126:127], v[126:127], v[42:43] neg_lo:[0,1] neg_hi:[0,1]
	s_wait_dscnt 0x0
	v_pk_mul_f32 v[32:33], v[48:49], v[30:31] op_sel:[0,1]
	s_delay_alu instid0(VALU_DEP_1) | instskip(SKIP_1) | instid1(VALU_DEP_1)
	v_pk_fma_f32 v[42:43], v[48:49], v[28:29], v[32:33] op_sel:[0,0,1] op_sel_hi:[1,1,0] neg_lo:[0,0,1] neg_hi:[0,0,1]
	v_pk_fma_f32 v[32:33], v[48:49], v[28:29], v[32:33] op_sel:[0,0,1] op_sel_hi:[1,0,0]
	v_mov_b32_e32 v43, v33
	v_pk_mul_f32 v[32:33], v[50:51], v[30:31] op_sel:[0,1]
	s_delay_alu instid0(VALU_DEP_2) | instskip(NEXT) | instid1(VALU_DEP_2)
	v_pk_add_f32 v[128:129], v[128:129], v[42:43] neg_lo:[0,1] neg_hi:[0,1]
	v_pk_fma_f32 v[42:43], v[50:51], v[28:29], v[32:33] op_sel:[0,0,1] op_sel_hi:[1,1,0] neg_lo:[0,0,1] neg_hi:[0,0,1]
	v_pk_fma_f32 v[32:33], v[50:51], v[28:29], v[32:33] op_sel:[0,0,1] op_sel_hi:[1,0,0]
	ds_load_2addr_b64 v[48:51], v154 offset0:32 offset1:33
	v_mov_b32_e32 v43, v33
	s_delay_alu instid0(VALU_DEP_1) | instskip(SKIP_2) | instid1(VALU_DEP_1)
	v_pk_add_f32 v[124:125], v[124:125], v[42:43] neg_lo:[0,1] neg_hi:[0,1]
	s_wait_dscnt 0x0
	v_pk_mul_f32 v[32:33], v[48:49], v[30:31] op_sel:[0,1]
	v_pk_fma_f32 v[42:43], v[48:49], v[28:29], v[32:33] op_sel:[0,0,1] op_sel_hi:[1,1,0] neg_lo:[0,0,1] neg_hi:[0,0,1]
	v_pk_fma_f32 v[32:33], v[48:49], v[28:29], v[32:33] op_sel:[0,0,1] op_sel_hi:[1,0,0]
	s_delay_alu instid0(VALU_DEP_1) | instskip(SKIP_1) | instid1(VALU_DEP_2)
	v_mov_b32_e32 v43, v33
	v_pk_mul_f32 v[32:33], v[50:51], v[30:31] op_sel:[0,1]
	v_pk_add_f32 v[146:147], v[146:147], v[42:43] neg_lo:[0,1] neg_hi:[0,1]
	s_delay_alu instid0(VALU_DEP_2) | instskip(SKIP_3) | instid1(VALU_DEP_1)
	v_pk_fma_f32 v[42:43], v[50:51], v[28:29], v[32:33] op_sel:[0,0,1] op_sel_hi:[1,1,0] neg_lo:[0,0,1] neg_hi:[0,0,1]
	v_pk_fma_f32 v[32:33], v[50:51], v[28:29], v[32:33] op_sel:[0,0,1] op_sel_hi:[1,0,0]
	ds_load_2addr_b64 v[48:51], v154 offset0:34 offset1:35
	v_mov_b32_e32 v43, v33
	v_pk_add_f32 v[142:143], v[142:143], v[42:43] neg_lo:[0,1] neg_hi:[0,1]
	s_wait_dscnt 0x0
	v_dual_mul_f32 v32, v49, v31 :: v_dual_mul_f32 v42, v49, v28
	s_delay_alu instid0(VALU_DEP_1) | instskip(NEXT) | instid1(VALU_DEP_2)
	v_pk_fma_f32 v[32:33], v[48:49], v[110:111], v[32:33] op_sel_hi:[1,1,0] neg_lo:[0,0,1] neg_hi:[0,0,1]
	v_pk_fma_f32 v[42:43], v[48:49], v[110:111], v[42:43] op_sel:[1,0,0] op_sel_hi:[0,1,0]
	s_delay_alu instid0(VALU_DEP_1) | instskip(NEXT) | instid1(VALU_DEP_1)
	v_mov_b32_e32 v33, v43
	v_pk_add_f32 v[144:145], v[144:145], v[32:33] neg_lo:[0,1] neg_hi:[0,1]
	v_pk_mul_f32 v[32:33], v[50:51], v[30:31] op_sel:[0,1]
	s_delay_alu instid0(VALU_DEP_1) | instskip(SKIP_3) | instid1(VALU_DEP_1)
	v_pk_fma_f32 v[42:43], v[50:51], v[28:29], v[32:33] op_sel:[0,0,1] op_sel_hi:[1,1,0] neg_lo:[0,0,1] neg_hi:[0,0,1]
	v_pk_fma_f32 v[32:33], v[50:51], v[28:29], v[32:33] op_sel:[0,0,1] op_sel_hi:[1,0,0]
	ds_load_2addr_b64 v[48:51], v154 offset0:36 offset1:37
	v_mov_b32_e32 v43, v33
	v_pk_add_f32 v[140:141], v[140:141], v[42:43] neg_lo:[0,1] neg_hi:[0,1]
	s_wait_dscnt 0x0
	v_pk_mul_f32 v[32:33], v[48:49], v[30:31] op_sel:[0,1]
	s_delay_alu instid0(VALU_DEP_1) | instskip(SKIP_1) | instid1(VALU_DEP_1)
	v_pk_fma_f32 v[42:43], v[48:49], v[28:29], v[32:33] op_sel:[0,0,1] op_sel_hi:[1,1,0] neg_lo:[0,0,1] neg_hi:[0,0,1]
	v_pk_fma_f32 v[32:33], v[48:49], v[28:29], v[32:33] op_sel:[0,0,1] op_sel_hi:[1,0,0]
	v_mov_b32_e32 v43, v33
	v_pk_mul_f32 v[32:33], v[50:51], v[30:31] op_sel:[0,1]
	s_delay_alu instid0(VALU_DEP_2) | instskip(NEXT) | instid1(VALU_DEP_2)
	v_pk_add_f32 v[162:163], v[162:163], v[42:43] neg_lo:[0,1] neg_hi:[0,1]
	v_pk_fma_f32 v[42:43], v[50:51], v[28:29], v[32:33] op_sel:[0,0,1] op_sel_hi:[1,1,0] neg_lo:[0,0,1] neg_hi:[0,0,1]
	v_pk_fma_f32 v[32:33], v[50:51], v[28:29], v[32:33] op_sel:[0,0,1] op_sel_hi:[1,0,0]
	ds_load_2addr_b64 v[48:51], v154 offset0:38 offset1:39
	v_mov_b32_e32 v43, v33
	s_delay_alu instid0(VALU_DEP_1) | instskip(SKIP_2) | instid1(VALU_DEP_1)
	v_pk_add_f32 v[158:159], v[158:159], v[42:43] neg_lo:[0,1] neg_hi:[0,1]
	s_wait_dscnt 0x0
	v_pk_mul_f32 v[32:33], v[48:49], v[30:31] op_sel:[0,1]
	v_pk_fma_f32 v[42:43], v[48:49], v[28:29], v[32:33] op_sel:[0,0,1] op_sel_hi:[1,1,0] neg_lo:[0,0,1] neg_hi:[0,0,1]
	v_pk_fma_f32 v[32:33], v[48:49], v[28:29], v[32:33] op_sel:[0,0,1] op_sel_hi:[1,0,0]
	v_dual_mov_b32 v32, v51 :: v_dual_mul_f32 v48, v51, v28
	s_delay_alu instid0(VALU_DEP_2) | instskip(NEXT) | instid1(VALU_DEP_1)
	v_dual_mov_b32 v43, v33 :: v_dual_mov_b32 v33, v50
	v_pk_add_f32 v[160:161], v[160:161], v[42:43] neg_lo:[0,1] neg_hi:[0,1]
	v_mul_f32_e32 v42, v51, v31
	s_delay_alu instid0(VALU_DEP_3) | instskip(NEXT) | instid1(VALU_DEP_2)
	v_pk_fma_f32 v[32:33], v[32:33], v[110:111], v[48:49] op_sel_hi:[1,1,0]
	v_pk_fma_f32 v[42:43], v[50:51], v[110:111], v[42:43] op_sel_hi:[1,1,0] neg_lo:[0,0,1] neg_hi:[0,0,1]
	ds_load_2addr_b64 v[48:51], v154 offset0:40 offset1:41
	v_mov_b32_e32 v43, v33
	s_delay_alu instid0(VALU_DEP_1) | instskip(SKIP_2) | instid1(VALU_DEP_1)
	v_pk_add_f32 v[156:157], v[156:157], v[42:43] neg_lo:[0,1] neg_hi:[0,1]
	s_wait_dscnt 0x0
	v_pk_mul_f32 v[32:33], v[48:49], v[30:31] op_sel:[0,1]
	v_pk_fma_f32 v[42:43], v[48:49], v[28:29], v[32:33] op_sel:[0,0,1] op_sel_hi:[1,1,0] neg_lo:[0,0,1] neg_hi:[0,0,1]
	v_pk_fma_f32 v[32:33], v[48:49], v[28:29], v[32:33] op_sel:[0,0,1] op_sel_hi:[1,0,0]
	s_delay_alu instid0(VALU_DEP_1) | instskip(SKIP_1) | instid1(VALU_DEP_2)
	v_mov_b32_e32 v43, v33
	v_pk_mul_f32 v[32:33], v[50:51], v[30:31] op_sel:[0,1]
	v_pk_add_f32 v[178:179], v[178:179], v[42:43] neg_lo:[0,1] neg_hi:[0,1]
	s_delay_alu instid0(VALU_DEP_2) | instskip(SKIP_3) | instid1(VALU_DEP_1)
	v_pk_fma_f32 v[42:43], v[50:51], v[28:29], v[32:33] op_sel:[0,0,1] op_sel_hi:[1,1,0] neg_lo:[0,0,1] neg_hi:[0,0,1]
	v_pk_fma_f32 v[32:33], v[50:51], v[28:29], v[32:33] op_sel:[0,0,1] op_sel_hi:[1,0,0]
	ds_load_2addr_b64 v[48:51], v154 offset0:42 offset1:43
	v_mov_b32_e32 v43, v33
	v_pk_add_f32 v[174:175], v[174:175], v[42:43] neg_lo:[0,1] neg_hi:[0,1]
	s_wait_dscnt 0x0
	v_pk_mul_f32 v[32:33], v[48:49], v[30:31] op_sel:[0,1]
	s_delay_alu instid0(VALU_DEP_1) | instskip(SKIP_1) | instid1(VALU_DEP_1)
	v_pk_fma_f32 v[42:43], v[48:49], v[28:29], v[32:33] op_sel:[0,0,1] op_sel_hi:[1,1,0] neg_lo:[0,0,1] neg_hi:[0,0,1]
	v_pk_fma_f32 v[32:33], v[48:49], v[28:29], v[32:33] op_sel:[0,0,1] op_sel_hi:[1,0,0]
	v_mov_b32_e32 v43, v33
	v_pk_mul_f32 v[32:33], v[50:51], v[30:31] op_sel:[0,1]
	s_delay_alu instid0(VALU_DEP_2) | instskip(NEXT) | instid1(VALU_DEP_2)
	v_pk_add_f32 v[176:177], v[176:177], v[42:43] neg_lo:[0,1] neg_hi:[0,1]
	v_pk_fma_f32 v[42:43], v[50:51], v[28:29], v[32:33] op_sel:[0,0,1] op_sel_hi:[1,1,0] neg_lo:[0,0,1] neg_hi:[0,0,1]
	v_pk_fma_f32 v[32:33], v[50:51], v[28:29], v[32:33] op_sel:[0,0,1] op_sel_hi:[1,0,0]
	ds_load_2addr_b64 v[48:51], v154 offset0:44 offset1:45
	v_mov_b32_e32 v43, v33
	s_delay_alu instid0(VALU_DEP_1) | instskip(SKIP_2) | instid1(VALU_DEP_1)
	v_pk_add_f32 v[172:173], v[172:173], v[42:43] neg_lo:[0,1] neg_hi:[0,1]
	s_wait_dscnt 0x0
	v_dual_mul_f32 v42, v49, v28 :: v_dual_mul_f32 v32, v49, v31
	v_pk_fma_f32 v[42:43], v[48:49], v[110:111], v[42:43] op_sel:[1,0,0] op_sel_hi:[0,1,0]
	s_delay_alu instid0(VALU_DEP_2) | instskip(NEXT) | instid1(VALU_DEP_2)
	v_pk_fma_f32 v[32:33], v[48:49], v[110:111], v[32:33] op_sel_hi:[1,1,0] neg_lo:[0,0,1] neg_hi:[0,0,1]
	v_mov_b32_e32 v33, v43
	s_delay_alu instid0(VALU_DEP_1) | instskip(SKIP_1) | instid1(VALU_DEP_1)
	v_pk_add_f32 v[196:197], v[196:197], v[32:33] neg_lo:[0,1] neg_hi:[0,1]
	v_pk_mul_f32 v[32:33], v[50:51], v[30:31] op_sel:[0,1]
	v_pk_fma_f32 v[42:43], v[50:51], v[28:29], v[32:33] op_sel:[0,0,1] op_sel_hi:[1,1,0] neg_lo:[0,0,1] neg_hi:[0,0,1]
	v_pk_fma_f32 v[32:33], v[50:51], v[28:29], v[32:33] op_sel:[0,0,1] op_sel_hi:[1,0,0]
	ds_load_2addr_b64 v[48:51], v154 offset0:46 offset1:47
	v_mov_b32_e32 v43, v33
	s_delay_alu instid0(VALU_DEP_1) | instskip(SKIP_2) | instid1(VALU_DEP_1)
	v_pk_add_f32 v[192:193], v[192:193], v[42:43] neg_lo:[0,1] neg_hi:[0,1]
	s_wait_dscnt 0x0
	v_pk_mul_f32 v[32:33], v[48:49], v[30:31] op_sel:[0,1]
	v_pk_fma_f32 v[42:43], v[48:49], v[28:29], v[32:33] op_sel:[0,0,1] op_sel_hi:[1,1,0] neg_lo:[0,0,1] neg_hi:[0,0,1]
	v_pk_fma_f32 v[32:33], v[48:49], v[28:29], v[32:33] op_sel:[0,0,1] op_sel_hi:[1,0,0]
	s_delay_alu instid0(VALU_DEP_1) | instskip(SKIP_1) | instid1(VALU_DEP_2)
	v_mov_b32_e32 v43, v33
	v_pk_mul_f32 v[32:33], v[50:51], v[30:31] op_sel:[0,1]
	v_pk_add_f32 v[194:195], v[194:195], v[42:43] neg_lo:[0,1] neg_hi:[0,1]
	s_delay_alu instid0(VALU_DEP_2) | instskip(SKIP_3) | instid1(VALU_DEP_1)
	v_pk_fma_f32 v[42:43], v[50:51], v[28:29], v[32:33] op_sel:[0,0,1] op_sel_hi:[1,1,0] neg_lo:[0,0,1] neg_hi:[0,0,1]
	v_pk_fma_f32 v[32:33], v[50:51], v[28:29], v[32:33] op_sel:[0,0,1] op_sel_hi:[1,0,0]
	ds_load_2addr_b64 v[48:51], v154 offset0:48 offset1:49
	v_mov_b32_e32 v43, v33
	v_pk_add_f32 v[190:191], v[190:191], v[42:43] neg_lo:[0,1] neg_hi:[0,1]
	s_wait_dscnt 0x0
	v_pk_mul_f32 v[32:33], v[48:49], v[30:31] op_sel:[0,1]
	s_delay_alu instid0(VALU_DEP_1) | instskip(SKIP_2) | instid1(VALU_DEP_2)
	v_pk_fma_f32 v[42:43], v[48:49], v[28:29], v[32:33] op_sel:[0,0,1] op_sel_hi:[1,1,0] neg_lo:[0,0,1] neg_hi:[0,0,1]
	v_pk_fma_f32 v[32:33], v[48:49], v[28:29], v[32:33] op_sel:[0,0,1] op_sel_hi:[1,0,0]
	v_dual_mov_b32 v32, v51 :: v_dual_mul_f32 v48, v51, v28
	v_dual_mov_b32 v43, v33 :: v_dual_mov_b32 v33, v50
	s_delay_alu instid0(VALU_DEP_1) | instskip(SKIP_1) | instid1(VALU_DEP_3)
	v_pk_add_f32 v[216:217], v[216:217], v[42:43] neg_lo:[0,1] neg_hi:[0,1]
	v_mul_f32_e32 v42, v51, v31
	v_pk_fma_f32 v[32:33], v[32:33], v[110:111], v[48:49] op_sel_hi:[1,1,0]
	s_delay_alu instid0(VALU_DEP_2) | instskip(SKIP_2) | instid1(VALU_DEP_1)
	v_pk_fma_f32 v[42:43], v[50:51], v[110:111], v[42:43] op_sel_hi:[1,1,0] neg_lo:[0,0,1] neg_hi:[0,0,1]
	ds_load_2addr_b64 v[48:51], v154 offset0:50 offset1:51
	v_mov_b32_e32 v43, v33
	v_pk_add_f32 v[210:211], v[210:211], v[42:43] neg_lo:[0,1] neg_hi:[0,1]
	s_wait_dscnt 0x0
	v_pk_mul_f32 v[32:33], v[48:49], v[30:31] op_sel:[0,1]
	s_delay_alu instid0(VALU_DEP_1) | instskip(SKIP_1) | instid1(VALU_DEP_1)
	v_pk_fma_f32 v[42:43], v[48:49], v[28:29], v[32:33] op_sel:[0,0,1] op_sel_hi:[1,1,0] neg_lo:[0,0,1] neg_hi:[0,0,1]
	v_pk_fma_f32 v[32:33], v[48:49], v[28:29], v[32:33] op_sel:[0,0,1] op_sel_hi:[1,0,0]
	v_mov_b32_e32 v43, v33
	v_pk_mul_f32 v[32:33], v[50:51], v[30:31] op_sel:[0,1]
	s_delay_alu instid0(VALU_DEP_2) | instskip(NEXT) | instid1(VALU_DEP_2)
	v_pk_add_f32 v[214:215], v[214:215], v[42:43] neg_lo:[0,1] neg_hi:[0,1]
	v_pk_fma_f32 v[42:43], v[50:51], v[28:29], v[32:33] op_sel:[0,0,1] op_sel_hi:[1,1,0] neg_lo:[0,0,1] neg_hi:[0,0,1]
	v_pk_fma_f32 v[32:33], v[50:51], v[28:29], v[32:33] op_sel:[0,0,1] op_sel_hi:[1,0,0]
	ds_load_2addr_b64 v[48:51], v154 offset0:52 offset1:53
	v_mov_b32_e32 v43, v33
	s_delay_alu instid0(VALU_DEP_1) | instskip(SKIP_2) | instid1(VALU_DEP_1)
	v_pk_add_f32 v[208:209], v[208:209], v[42:43] neg_lo:[0,1] neg_hi:[0,1]
	s_wait_dscnt 0x0
	v_pk_mul_f32 v[32:33], v[48:49], v[30:31] op_sel:[0,1]
	v_pk_fma_f32 v[42:43], v[48:49], v[28:29], v[32:33] op_sel:[0,0,1] op_sel_hi:[1,1,0] neg_lo:[0,0,1] neg_hi:[0,0,1]
	v_pk_fma_f32 v[32:33], v[48:49], v[28:29], v[32:33] op_sel:[0,0,1] op_sel_hi:[1,0,0]
	s_delay_alu instid0(VALU_DEP_1) | instskip(SKIP_1) | instid1(VALU_DEP_2)
	v_mov_b32_e32 v43, v33
	v_pk_mul_f32 v[32:33], v[50:51], v[30:31] op_sel:[0,1]
	v_pk_add_f32 v[212:213], v[212:213], v[42:43] neg_lo:[0,1] neg_hi:[0,1]
	s_delay_alu instid0(VALU_DEP_2) | instskip(SKIP_1) | instid1(VALU_DEP_1)
	v_pk_fma_f32 v[42:43], v[50:51], v[28:29], v[32:33] op_sel:[0,0,1] op_sel_hi:[1,1,0] neg_lo:[0,0,1] neg_hi:[0,0,1]
	v_pk_fma_f32 v[32:33], v[50:51], v[28:29], v[32:33] op_sel:[0,0,1] op_sel_hi:[1,0,0]
	v_mov_b32_e32 v43, v33
	ds_load_b64 v[32:33], v154 offset:432
	v_pk_add_f32 v[218:219], v[218:219], v[42:43] neg_lo:[0,1] neg_hi:[0,1]
	s_wait_dscnt 0x0
	v_pk_mul_f32 v[30:31], v[32:33], v[30:31] op_sel:[0,1]
	s_delay_alu instid0(VALU_DEP_1) | instskip(SKIP_1) | instid1(VALU_DEP_1)
	v_pk_fma_f32 v[42:43], v[32:33], v[28:29], v[30:31] op_sel:[0,0,1] op_sel_hi:[1,1,0] neg_lo:[0,0,1] neg_hi:[0,0,1]
	v_pk_fma_f32 v[28:29], v[32:33], v[28:29], v[30:31] op_sel:[0,0,1] op_sel_hi:[1,0,0]
	v_mov_b32_e32 v43, v29
	s_delay_alu instid0(VALU_DEP_1)
	v_pk_add_f32 v[220:221], v[220:221], v[42:43] neg_lo:[0,1] neg_hi:[0,1]
.LBB109_235:
	s_or_b32 exec_lo, exec_lo, s1
	s_delay_alu instid0(SALU_CYCLE_1)
	s_mov_b32 s2, exec_lo
	s_wait_dscnt 0x0
	s_barrier_signal -1
	s_barrier_wait -1
	v_cmpx_eq_u32_e32 26, v152
	s_cbranch_execz .LBB109_242
; %bb.236:
	ds_store_b64 v153, v[112:113]
	ds_store_2addr_b64 v154, v[108:109], v[130:131] offset0:27 offset1:28
	ds_store_2addr_b64 v154, v[126:127], v[128:129] offset0:29 offset1:30
	;; [unrolled: 1-line block ×14, first 2 shown]
	ds_load_b64 v[28:29], v153
	s_wait_dscnt 0x0
	v_cmp_neq_f32_e32 vcc_lo, 0, v28
	v_cmp_neq_f32_e64 s1, 0, v29
	s_or_b32 s1, vcc_lo, s1
	s_delay_alu instid0(SALU_CYCLE_1)
	s_and_b32 exec_lo, exec_lo, s1
	s_cbranch_execz .LBB109_242
; %bb.237:
	v_cmp_ngt_f32_e64 s1, |v28|, |v29|
                                        ; implicit-def: $vgpr30_vgpr31
	s_and_saveexec_b32 s4, s1
	s_delay_alu instid0(SALU_CYCLE_1)
	s_xor_b32 s1, exec_lo, s4
	s_cbranch_execz .LBB109_239
; %bb.238:
	v_div_scale_f32 v30, null, v29, v29, v28
	v_div_scale_f32 v33, vcc_lo, v28, v29, v28
	s_delay_alu instid0(VALU_DEP_2) | instskip(SKIP_1) | instid1(TRANS32_DEP_1)
	v_rcp_f32_e32 v31, v30
	v_nop
	v_fma_f32 v32, -v30, v31, 1.0
	s_delay_alu instid0(VALU_DEP_1) | instskip(NEXT) | instid1(VALU_DEP_1)
	v_fmac_f32_e32 v31, v32, v31
	v_mul_f32_e32 v32, v33, v31
	s_delay_alu instid0(VALU_DEP_1) | instskip(NEXT) | instid1(VALU_DEP_1)
	v_fma_f32 v42, -v30, v32, v33
	v_fmac_f32_e32 v32, v42, v31
	s_delay_alu instid0(VALU_DEP_1) | instskip(NEXT) | instid1(VALU_DEP_1)
	v_fma_f32 v30, -v30, v32, v33
	v_div_fmas_f32 v30, v30, v31, v32
	s_delay_alu instid0(VALU_DEP_1) | instskip(NEXT) | instid1(VALU_DEP_1)
	v_div_fixup_f32 v30, v30, v29, v28
	v_fmac_f32_e32 v29, v28, v30
	s_delay_alu instid0(VALU_DEP_1) | instskip(SKIP_1) | instid1(VALU_DEP_2)
	v_div_scale_f32 v28, null, v29, v29, 1.0
	v_div_scale_f32 v33, vcc_lo, 1.0, v29, 1.0
	v_rcp_f32_e32 v31, v28
	v_nop
	s_delay_alu instid0(TRANS32_DEP_1) | instskip(NEXT) | instid1(VALU_DEP_1)
	v_fma_f32 v32, -v28, v31, 1.0
	v_fmac_f32_e32 v31, v32, v31
	s_delay_alu instid0(VALU_DEP_1) | instskip(NEXT) | instid1(VALU_DEP_1)
	v_mul_f32_e32 v32, v33, v31
	v_fma_f32 v42, -v28, v32, v33
	s_delay_alu instid0(VALU_DEP_1) | instskip(NEXT) | instid1(VALU_DEP_1)
	v_fmac_f32_e32 v32, v42, v31
	v_fma_f32 v28, -v28, v32, v33
	s_delay_alu instid0(VALU_DEP_1) | instskip(NEXT) | instid1(VALU_DEP_1)
	v_div_fmas_f32 v28, v28, v31, v32
	v_div_fixup_f32 v28, v28, v29, 1.0
	s_delay_alu instid0(VALU_DEP_1)
	v_mul_f32_e32 v30, v30, v28
	v_xor_b32_e32 v31, 0x80000000, v28
                                        ; implicit-def: $vgpr28_vgpr29
.LBB109_239:
	s_and_not1_saveexec_b32 s1, s1
	s_cbranch_execz .LBB109_241
; %bb.240:
	v_div_scale_f32 v30, null, v28, v28, v29
	v_div_scale_f32 v33, vcc_lo, v29, v28, v29
	s_delay_alu instid0(VALU_DEP_2) | instskip(SKIP_1) | instid1(TRANS32_DEP_1)
	v_rcp_f32_e32 v31, v30
	v_nop
	v_fma_f32 v32, -v30, v31, 1.0
	s_delay_alu instid0(VALU_DEP_1) | instskip(NEXT) | instid1(VALU_DEP_1)
	v_fmac_f32_e32 v31, v32, v31
	v_mul_f32_e32 v32, v33, v31
	s_delay_alu instid0(VALU_DEP_1) | instskip(NEXT) | instid1(VALU_DEP_1)
	v_fma_f32 v42, -v30, v32, v33
	v_fmac_f32_e32 v32, v42, v31
	s_delay_alu instid0(VALU_DEP_1) | instskip(NEXT) | instid1(VALU_DEP_1)
	v_fma_f32 v30, -v30, v32, v33
	v_div_fmas_f32 v30, v30, v31, v32
	s_delay_alu instid0(VALU_DEP_1) | instskip(NEXT) | instid1(VALU_DEP_1)
	v_div_fixup_f32 v31, v30, v28, v29
	v_fmac_f32_e32 v28, v29, v31
	s_delay_alu instid0(VALU_DEP_1) | instskip(NEXT) | instid1(VALU_DEP_1)
	v_div_scale_f32 v29, null, v28, v28, 1.0
	v_rcp_f32_e32 v30, v29
	v_nop
	s_delay_alu instid0(TRANS32_DEP_1) | instskip(NEXT) | instid1(VALU_DEP_1)
	v_fma_f32 v32, -v29, v30, 1.0
	v_fmac_f32_e32 v30, v32, v30
	v_div_scale_f32 v32, vcc_lo, 1.0, v28, 1.0
	s_delay_alu instid0(VALU_DEP_1) | instskip(NEXT) | instid1(VALU_DEP_1)
	v_mul_f32_e32 v33, v32, v30
	v_fma_f32 v42, -v29, v33, v32
	s_delay_alu instid0(VALU_DEP_1) | instskip(NEXT) | instid1(VALU_DEP_1)
	v_fmac_f32_e32 v33, v42, v30
	v_fma_f32 v29, -v29, v33, v32
	s_delay_alu instid0(VALU_DEP_1) | instskip(NEXT) | instid1(VALU_DEP_1)
	v_div_fmas_f32 v29, v29, v30, v33
	v_div_fixup_f32 v30, v29, v28, 1.0
	s_delay_alu instid0(VALU_DEP_1)
	v_mul_f32_e64 v31, v31, -v30
.LBB109_241:
	s_or_b32 exec_lo, exec_lo, s1
	ds_store_b64 v153, v[30:31]
.LBB109_242:
	s_or_b32 exec_lo, exec_lo, s2
	s_wait_dscnt 0x0
	s_barrier_signal -1
	s_barrier_wait -1
	ds_load_b64 v[28:29], v153
	s_mov_b32 s1, exec_lo
	v_cmpx_lt_u32_e32 26, v152
	s_cbranch_execz .LBB109_244
; %bb.243:
	ds_load_2addr_b64 v[48:51], v154 offset0:27 offset1:28
	s_wait_dscnt 0x1
	v_pk_mul_f32 v[32:33], v[28:29], v[112:113] op_sel:[1,1] op_sel_hi:[0,1]
	s_delay_alu instid0(VALU_DEP_1) | instskip(SKIP_1) | instid1(VALU_DEP_1)
	v_pk_fma_f32 v[30:31], v[28:29], v[112:113], v[32:33] op_sel_hi:[1,0,1] neg_lo:[0,0,1] neg_hi:[0,0,1]
	v_pk_fma_f32 v[32:33], v[28:29], v[112:113], v[32:33] op_sel_hi:[1,0,1]
	v_dual_mov_b32 v112, v30 :: v_dual_mov_b32 v113, v33
	s_wait_dscnt 0x0
	s_delay_alu instid0(VALU_DEP_2) | instskip(NEXT) | instid1(VALU_DEP_1)
	v_pk_mul_f32 v[42:43], v[48:49], v[32:33] op_sel:[0,1]
	v_pk_fma_f32 v[52:53], v[48:49], v[30:31], v[42:43] op_sel:[0,0,1] op_sel_hi:[1,1,0] neg_lo:[0,0,1] neg_hi:[0,0,1]
	v_pk_fma_f32 v[42:43], v[48:49], v[30:31], v[42:43] op_sel:[0,0,1] op_sel_hi:[1,0,0]
	s_delay_alu instid0(VALU_DEP_1) | instskip(SKIP_1) | instid1(VALU_DEP_1)
	v_mov_b32_e32 v53, v43
	v_pk_mul_f32 v[42:43], v[50:51], v[32:33] op_sel:[0,1]
	v_pk_fma_f32 v[48:49], v[50:51], v[30:31], v[42:43] op_sel:[0,0,1] op_sel_hi:[1,1,0] neg_lo:[0,0,1] neg_hi:[0,0,1]
	v_pk_fma_f32 v[42:43], v[50:51], v[30:31], v[42:43] op_sel:[0,0,1] op_sel_hi:[1,0,0]
	s_delay_alu instid0(VALU_DEP_1) | instskip(SKIP_1) | instid1(VALU_DEP_2)
	v_mov_b32_e32 v49, v43
	v_pk_add_f32 v[108:109], v[108:109], v[52:53] neg_lo:[0,1] neg_hi:[0,1]
	v_pk_add_f32 v[130:131], v[130:131], v[48:49] neg_lo:[0,1] neg_hi:[0,1]
	ds_load_2addr_b64 v[48:51], v154 offset0:29 offset1:30
	s_wait_dscnt 0x0
	v_pk_mul_f32 v[42:43], v[48:49], v[32:33] op_sel:[0,1]
	s_delay_alu instid0(VALU_DEP_1) | instskip(SKIP_2) | instid1(VALU_DEP_2)
	v_pk_fma_f32 v[52:53], v[48:49], v[30:31], v[42:43] op_sel:[0,0,1] op_sel_hi:[1,1,0] neg_lo:[0,0,1] neg_hi:[0,0,1]
	v_pk_fma_f32 v[42:43], v[48:49], v[30:31], v[42:43] op_sel:[0,0,1] op_sel_hi:[1,0,0]
	v_dual_mul_f32 v48, v51, v33 :: v_dual_mov_b32 v42, v51
	v_dual_mov_b32 v53, v43 :: v_dual_mov_b32 v43, v50
	s_delay_alu instid0(VALU_DEP_2) | instskip(SKIP_1) | instid1(VALU_DEP_3)
	v_pk_fma_f32 v[48:49], v[50:51], v[112:113], v[48:49] op_sel_hi:[1,1,0] neg_lo:[0,0,1] neg_hi:[0,0,1]
	v_mul_f32_e32 v50, v51, v30
	v_pk_add_f32 v[126:127], v[126:127], v[52:53] neg_lo:[0,1] neg_hi:[0,1]
	s_delay_alu instid0(VALU_DEP_2) | instskip(NEXT) | instid1(VALU_DEP_1)
	v_pk_fma_f32 v[42:43], v[42:43], v[112:113], v[50:51] op_sel_hi:[1,1,0]
	v_mov_b32_e32 v49, v43
	s_delay_alu instid0(VALU_DEP_1) | instskip(SKIP_3) | instid1(VALU_DEP_1)
	v_pk_add_f32 v[128:129], v[128:129], v[48:49] neg_lo:[0,1] neg_hi:[0,1]
	ds_load_2addr_b64 v[48:51], v154 offset0:31 offset1:32
	s_wait_dscnt 0x0
	v_pk_mul_f32 v[42:43], v[48:49], v[32:33] op_sel:[0,1]
	v_pk_fma_f32 v[52:53], v[48:49], v[30:31], v[42:43] op_sel:[0,0,1] op_sel_hi:[1,1,0] neg_lo:[0,0,1] neg_hi:[0,0,1]
	v_pk_fma_f32 v[42:43], v[48:49], v[30:31], v[42:43] op_sel:[0,0,1] op_sel_hi:[1,0,0]
	s_delay_alu instid0(VALU_DEP_1) | instskip(SKIP_1) | instid1(VALU_DEP_2)
	v_mov_b32_e32 v53, v43
	v_pk_mul_f32 v[42:43], v[50:51], v[32:33] op_sel:[0,1]
	v_pk_add_f32 v[124:125], v[124:125], v[52:53] neg_lo:[0,1] neg_hi:[0,1]
	s_delay_alu instid0(VALU_DEP_2) | instskip(SKIP_1) | instid1(VALU_DEP_1)
	v_pk_fma_f32 v[48:49], v[50:51], v[30:31], v[42:43] op_sel:[0,0,1] op_sel_hi:[1,1,0] neg_lo:[0,0,1] neg_hi:[0,0,1]
	v_pk_fma_f32 v[42:43], v[50:51], v[30:31], v[42:43] op_sel:[0,0,1] op_sel_hi:[1,0,0]
	v_mov_b32_e32 v49, v43
	s_delay_alu instid0(VALU_DEP_1) | instskip(SKIP_3) | instid1(VALU_DEP_1)
	v_pk_add_f32 v[146:147], v[146:147], v[48:49] neg_lo:[0,1] neg_hi:[0,1]
	ds_load_2addr_b64 v[48:51], v154 offset0:33 offset1:34
	s_wait_dscnt 0x0
	v_pk_mul_f32 v[42:43], v[48:49], v[32:33] op_sel:[0,1]
	v_pk_fma_f32 v[52:53], v[48:49], v[30:31], v[42:43] op_sel:[0,0,1] op_sel_hi:[1,1,0] neg_lo:[0,0,1] neg_hi:[0,0,1]
	v_pk_fma_f32 v[42:43], v[48:49], v[30:31], v[42:43] op_sel:[0,0,1] op_sel_hi:[1,0,0]
	s_delay_alu instid0(VALU_DEP_1) | instskip(SKIP_1) | instid1(VALU_DEP_2)
	v_mov_b32_e32 v53, v43
	v_pk_mul_f32 v[42:43], v[50:51], v[32:33] op_sel:[0,1]
	v_pk_add_f32 v[142:143], v[142:143], v[52:53] neg_lo:[0,1] neg_hi:[0,1]
	s_delay_alu instid0(VALU_DEP_2) | instskip(SKIP_1) | instid1(VALU_DEP_1)
	v_pk_fma_f32 v[48:49], v[50:51], v[30:31], v[42:43] op_sel:[0,0,1] op_sel_hi:[1,1,0] neg_lo:[0,0,1] neg_hi:[0,0,1]
	v_pk_fma_f32 v[42:43], v[50:51], v[30:31], v[42:43] op_sel:[0,0,1] op_sel_hi:[1,0,0]
	v_mov_b32_e32 v49, v43
	s_delay_alu instid0(VALU_DEP_1) | instskip(SKIP_3) | instid1(VALU_DEP_1)
	v_pk_add_f32 v[144:145], v[144:145], v[48:49] neg_lo:[0,1] neg_hi:[0,1]
	ds_load_2addr_b64 v[48:51], v154 offset0:35 offset1:36
	s_wait_dscnt 0x0
	v_dual_mul_f32 v42, v49, v33 :: v_dual_mul_f32 v52, v49, v30
	v_pk_fma_f32 v[42:43], v[48:49], v[112:113], v[42:43] op_sel_hi:[1,1,0] neg_lo:[0,0,1] neg_hi:[0,0,1]
	s_delay_alu instid0(VALU_DEP_2) | instskip(NEXT) | instid1(VALU_DEP_1)
	v_pk_fma_f32 v[48:49], v[48:49], v[112:113], v[52:53] op_sel:[1,0,0] op_sel_hi:[0,1,0]
	v_mov_b32_e32 v43, v49
	s_delay_alu instid0(VALU_DEP_1) | instskip(SKIP_1) | instid1(VALU_DEP_1)
	v_pk_add_f32 v[140:141], v[140:141], v[42:43] neg_lo:[0,1] neg_hi:[0,1]
	v_pk_mul_f32 v[42:43], v[50:51], v[32:33] op_sel:[0,1]
	v_pk_fma_f32 v[48:49], v[50:51], v[30:31], v[42:43] op_sel:[0,0,1] op_sel_hi:[1,1,0] neg_lo:[0,0,1] neg_hi:[0,0,1]
	v_pk_fma_f32 v[42:43], v[50:51], v[30:31], v[42:43] op_sel:[0,0,1] op_sel_hi:[1,0,0]
	s_delay_alu instid0(VALU_DEP_1) | instskip(NEXT) | instid1(VALU_DEP_1)
	v_mov_b32_e32 v49, v43
	v_pk_add_f32 v[162:163], v[162:163], v[48:49] neg_lo:[0,1] neg_hi:[0,1]
	ds_load_2addr_b64 v[48:51], v154 offset0:37 offset1:38
	s_wait_dscnt 0x0
	v_pk_mul_f32 v[42:43], v[48:49], v[32:33] op_sel:[0,1]
	s_delay_alu instid0(VALU_DEP_1) | instskip(SKIP_1) | instid1(VALU_DEP_1)
	v_pk_fma_f32 v[52:53], v[48:49], v[30:31], v[42:43] op_sel:[0,0,1] op_sel_hi:[1,1,0] neg_lo:[0,0,1] neg_hi:[0,0,1]
	v_pk_fma_f32 v[42:43], v[48:49], v[30:31], v[42:43] op_sel:[0,0,1] op_sel_hi:[1,0,0]
	v_mov_b32_e32 v53, v43
	v_pk_mul_f32 v[42:43], v[50:51], v[32:33] op_sel:[0,1]
	s_delay_alu instid0(VALU_DEP_2) | instskip(NEXT) | instid1(VALU_DEP_2)
	v_pk_add_f32 v[158:159], v[158:159], v[52:53] neg_lo:[0,1] neg_hi:[0,1]
	v_pk_fma_f32 v[48:49], v[50:51], v[30:31], v[42:43] op_sel:[0,0,1] op_sel_hi:[1,1,0] neg_lo:[0,0,1] neg_hi:[0,0,1]
	v_pk_fma_f32 v[42:43], v[50:51], v[30:31], v[42:43] op_sel:[0,0,1] op_sel_hi:[1,0,0]
	s_delay_alu instid0(VALU_DEP_1) | instskip(NEXT) | instid1(VALU_DEP_1)
	v_mov_b32_e32 v49, v43
	v_pk_add_f32 v[160:161], v[160:161], v[48:49] neg_lo:[0,1] neg_hi:[0,1]
	ds_load_2addr_b64 v[48:51], v154 offset0:39 offset1:40
	s_wait_dscnt 0x0
	v_pk_mul_f32 v[42:43], v[48:49], v[32:33] op_sel:[0,1]
	s_delay_alu instid0(VALU_DEP_1) | instskip(SKIP_2) | instid1(VALU_DEP_2)
	v_pk_fma_f32 v[52:53], v[48:49], v[30:31], v[42:43] op_sel:[0,0,1] op_sel_hi:[1,1,0] neg_lo:[0,0,1] neg_hi:[0,0,1]
	v_pk_fma_f32 v[42:43], v[48:49], v[30:31], v[42:43] op_sel:[0,0,1] op_sel_hi:[1,0,0]
	v_dual_mul_f32 v48, v51, v33 :: v_dual_mov_b32 v42, v51
	v_dual_mov_b32 v53, v43 :: v_dual_mov_b32 v43, v50
	s_delay_alu instid0(VALU_DEP_2) | instskip(SKIP_1) | instid1(VALU_DEP_3)
	v_pk_fma_f32 v[48:49], v[50:51], v[112:113], v[48:49] op_sel_hi:[1,1,0] neg_lo:[0,0,1] neg_hi:[0,0,1]
	v_mul_f32_e32 v50, v51, v30
	v_pk_add_f32 v[156:157], v[156:157], v[52:53] neg_lo:[0,1] neg_hi:[0,1]
	s_delay_alu instid0(VALU_DEP_2) | instskip(NEXT) | instid1(VALU_DEP_1)
	v_pk_fma_f32 v[42:43], v[42:43], v[112:113], v[50:51] op_sel_hi:[1,1,0]
	v_mov_b32_e32 v49, v43
	s_delay_alu instid0(VALU_DEP_1) | instskip(SKIP_3) | instid1(VALU_DEP_1)
	v_pk_add_f32 v[178:179], v[178:179], v[48:49] neg_lo:[0,1] neg_hi:[0,1]
	ds_load_2addr_b64 v[48:51], v154 offset0:41 offset1:42
	s_wait_dscnt 0x0
	v_pk_mul_f32 v[42:43], v[48:49], v[32:33] op_sel:[0,1]
	v_pk_fma_f32 v[52:53], v[48:49], v[30:31], v[42:43] op_sel:[0,0,1] op_sel_hi:[1,1,0] neg_lo:[0,0,1] neg_hi:[0,0,1]
	v_pk_fma_f32 v[42:43], v[48:49], v[30:31], v[42:43] op_sel:[0,0,1] op_sel_hi:[1,0,0]
	s_delay_alu instid0(VALU_DEP_1) | instskip(SKIP_1) | instid1(VALU_DEP_2)
	v_mov_b32_e32 v53, v43
	v_pk_mul_f32 v[42:43], v[50:51], v[32:33] op_sel:[0,1]
	v_pk_add_f32 v[174:175], v[174:175], v[52:53] neg_lo:[0,1] neg_hi:[0,1]
	s_delay_alu instid0(VALU_DEP_2) | instskip(SKIP_1) | instid1(VALU_DEP_1)
	v_pk_fma_f32 v[48:49], v[50:51], v[30:31], v[42:43] op_sel:[0,0,1] op_sel_hi:[1,1,0] neg_lo:[0,0,1] neg_hi:[0,0,1]
	v_pk_fma_f32 v[42:43], v[50:51], v[30:31], v[42:43] op_sel:[0,0,1] op_sel_hi:[1,0,0]
	v_mov_b32_e32 v49, v43
	s_delay_alu instid0(VALU_DEP_1) | instskip(SKIP_3) | instid1(VALU_DEP_1)
	v_pk_add_f32 v[176:177], v[176:177], v[48:49] neg_lo:[0,1] neg_hi:[0,1]
	ds_load_2addr_b64 v[48:51], v154 offset0:43 offset1:44
	s_wait_dscnt 0x0
	v_pk_mul_f32 v[42:43], v[48:49], v[32:33] op_sel:[0,1]
	v_pk_fma_f32 v[52:53], v[48:49], v[30:31], v[42:43] op_sel:[0,0,1] op_sel_hi:[1,1,0] neg_lo:[0,0,1] neg_hi:[0,0,1]
	v_pk_fma_f32 v[42:43], v[48:49], v[30:31], v[42:43] op_sel:[0,0,1] op_sel_hi:[1,0,0]
	s_delay_alu instid0(VALU_DEP_1) | instskip(SKIP_1) | instid1(VALU_DEP_2)
	v_mov_b32_e32 v53, v43
	v_pk_mul_f32 v[42:43], v[50:51], v[32:33] op_sel:[0,1]
	v_pk_add_f32 v[172:173], v[172:173], v[52:53] neg_lo:[0,1] neg_hi:[0,1]
	s_delay_alu instid0(VALU_DEP_2) | instskip(SKIP_1) | instid1(VALU_DEP_1)
	v_pk_fma_f32 v[48:49], v[50:51], v[30:31], v[42:43] op_sel:[0,0,1] op_sel_hi:[1,1,0] neg_lo:[0,0,1] neg_hi:[0,0,1]
	v_pk_fma_f32 v[42:43], v[50:51], v[30:31], v[42:43] op_sel:[0,0,1] op_sel_hi:[1,0,0]
	v_mov_b32_e32 v49, v43
	s_delay_alu instid0(VALU_DEP_1) | instskip(SKIP_3) | instid1(VALU_DEP_1)
	v_pk_add_f32 v[196:197], v[196:197], v[48:49] neg_lo:[0,1] neg_hi:[0,1]
	ds_load_2addr_b64 v[48:51], v154 offset0:45 offset1:46
	s_wait_dscnt 0x0
	v_dual_mul_f32 v42, v49, v33 :: v_dual_mul_f32 v52, v49, v30
	v_pk_fma_f32 v[42:43], v[48:49], v[112:113], v[42:43] op_sel_hi:[1,1,0] neg_lo:[0,0,1] neg_hi:[0,0,1]
	s_delay_alu instid0(VALU_DEP_2) | instskip(NEXT) | instid1(VALU_DEP_1)
	v_pk_fma_f32 v[48:49], v[48:49], v[112:113], v[52:53] op_sel:[1,0,0] op_sel_hi:[0,1,0]
	v_mov_b32_e32 v43, v49
	s_delay_alu instid0(VALU_DEP_1) | instskip(SKIP_1) | instid1(VALU_DEP_1)
	v_pk_add_f32 v[192:193], v[192:193], v[42:43] neg_lo:[0,1] neg_hi:[0,1]
	v_pk_mul_f32 v[42:43], v[50:51], v[32:33] op_sel:[0,1]
	v_pk_fma_f32 v[48:49], v[50:51], v[30:31], v[42:43] op_sel:[0,0,1] op_sel_hi:[1,1,0] neg_lo:[0,0,1] neg_hi:[0,0,1]
	v_pk_fma_f32 v[42:43], v[50:51], v[30:31], v[42:43] op_sel:[0,0,1] op_sel_hi:[1,0,0]
	s_delay_alu instid0(VALU_DEP_1) | instskip(NEXT) | instid1(VALU_DEP_1)
	v_mov_b32_e32 v49, v43
	v_pk_add_f32 v[194:195], v[194:195], v[48:49] neg_lo:[0,1] neg_hi:[0,1]
	ds_load_2addr_b64 v[48:51], v154 offset0:47 offset1:48
	s_wait_dscnt 0x0
	v_pk_mul_f32 v[42:43], v[48:49], v[32:33] op_sel:[0,1]
	s_delay_alu instid0(VALU_DEP_1) | instskip(SKIP_1) | instid1(VALU_DEP_1)
	v_pk_fma_f32 v[52:53], v[48:49], v[30:31], v[42:43] op_sel:[0,0,1] op_sel_hi:[1,1,0] neg_lo:[0,0,1] neg_hi:[0,0,1]
	v_pk_fma_f32 v[42:43], v[48:49], v[30:31], v[42:43] op_sel:[0,0,1] op_sel_hi:[1,0,0]
	v_mov_b32_e32 v53, v43
	v_pk_mul_f32 v[42:43], v[50:51], v[32:33] op_sel:[0,1]
	s_delay_alu instid0(VALU_DEP_2) | instskip(NEXT) | instid1(VALU_DEP_2)
	v_pk_add_f32 v[190:191], v[190:191], v[52:53] neg_lo:[0,1] neg_hi:[0,1]
	v_pk_fma_f32 v[48:49], v[50:51], v[30:31], v[42:43] op_sel:[0,0,1] op_sel_hi:[1,1,0] neg_lo:[0,0,1] neg_hi:[0,0,1]
	v_pk_fma_f32 v[42:43], v[50:51], v[30:31], v[42:43] op_sel:[0,0,1] op_sel_hi:[1,0,0]
	s_delay_alu instid0(VALU_DEP_1) | instskip(NEXT) | instid1(VALU_DEP_1)
	v_mov_b32_e32 v49, v43
	v_pk_add_f32 v[216:217], v[216:217], v[48:49] neg_lo:[0,1] neg_hi:[0,1]
	ds_load_2addr_b64 v[48:51], v154 offset0:49 offset1:50
	s_wait_dscnt 0x0
	v_pk_mul_f32 v[42:43], v[48:49], v[32:33] op_sel:[0,1]
	s_delay_alu instid0(VALU_DEP_1) | instskip(SKIP_2) | instid1(VALU_DEP_2)
	v_pk_fma_f32 v[52:53], v[48:49], v[30:31], v[42:43] op_sel:[0,0,1] op_sel_hi:[1,1,0] neg_lo:[0,0,1] neg_hi:[0,0,1]
	v_pk_fma_f32 v[42:43], v[48:49], v[30:31], v[42:43] op_sel:[0,0,1] op_sel_hi:[1,0,0]
	v_dual_mul_f32 v48, v51, v33 :: v_dual_mov_b32 v42, v51
	v_dual_mov_b32 v53, v43 :: v_dual_mov_b32 v43, v50
	s_delay_alu instid0(VALU_DEP_2) | instskip(SKIP_1) | instid1(VALU_DEP_3)
	v_pk_fma_f32 v[48:49], v[50:51], v[112:113], v[48:49] op_sel_hi:[1,1,0] neg_lo:[0,0,1] neg_hi:[0,0,1]
	v_mul_f32_e32 v50, v51, v30
	v_pk_add_f32 v[210:211], v[210:211], v[52:53] neg_lo:[0,1] neg_hi:[0,1]
	s_delay_alu instid0(VALU_DEP_2) | instskip(NEXT) | instid1(VALU_DEP_1)
	v_pk_fma_f32 v[42:43], v[42:43], v[112:113], v[50:51] op_sel_hi:[1,1,0]
	v_mov_b32_e32 v49, v43
	s_delay_alu instid0(VALU_DEP_1) | instskip(SKIP_3) | instid1(VALU_DEP_1)
	v_pk_add_f32 v[214:215], v[214:215], v[48:49] neg_lo:[0,1] neg_hi:[0,1]
	ds_load_2addr_b64 v[48:51], v154 offset0:51 offset1:52
	s_wait_dscnt 0x0
	v_pk_mul_f32 v[42:43], v[48:49], v[32:33] op_sel:[0,1]
	v_pk_fma_f32 v[52:53], v[48:49], v[30:31], v[42:43] op_sel:[0,0,1] op_sel_hi:[1,1,0] neg_lo:[0,0,1] neg_hi:[0,0,1]
	v_pk_fma_f32 v[42:43], v[48:49], v[30:31], v[42:43] op_sel:[0,0,1] op_sel_hi:[1,0,0]
	s_delay_alu instid0(VALU_DEP_1) | instskip(SKIP_1) | instid1(VALU_DEP_2)
	v_mov_b32_e32 v53, v43
	v_pk_mul_f32 v[42:43], v[50:51], v[32:33] op_sel:[0,1]
	v_pk_add_f32 v[208:209], v[208:209], v[52:53] neg_lo:[0,1] neg_hi:[0,1]
	s_delay_alu instid0(VALU_DEP_2) | instskip(SKIP_1) | instid1(VALU_DEP_1)
	v_pk_fma_f32 v[48:49], v[50:51], v[30:31], v[42:43] op_sel:[0,0,1] op_sel_hi:[1,1,0] neg_lo:[0,0,1] neg_hi:[0,0,1]
	v_pk_fma_f32 v[42:43], v[50:51], v[30:31], v[42:43] op_sel:[0,0,1] op_sel_hi:[1,0,0]
	v_mov_b32_e32 v49, v43
	s_delay_alu instid0(VALU_DEP_1) | instskip(SKIP_4) | instid1(VALU_DEP_2)
	v_pk_add_f32 v[212:213], v[212:213], v[48:49] neg_lo:[0,1] neg_hi:[0,1]
	ds_load_2addr_b64 v[48:51], v154 offset0:53 offset1:54
	s_wait_dscnt 0x0
	v_pk_mul_f32 v[42:43], v[48:49], v[32:33] op_sel:[0,1]
	v_pk_mul_f32 v[32:33], v[50:51], v[32:33] op_sel:[0,1]
	v_pk_fma_f32 v[52:53], v[48:49], v[30:31], v[42:43] op_sel:[0,0,1] op_sel_hi:[1,1,0] neg_lo:[0,0,1] neg_hi:[0,0,1]
	v_pk_fma_f32 v[42:43], v[48:49], v[30:31], v[42:43] op_sel:[0,0,1] op_sel_hi:[1,0,0]
	s_delay_alu instid0(VALU_DEP_1) | instskip(NEXT) | instid1(VALU_DEP_4)
	v_mov_b32_e32 v53, v43
	v_pk_fma_f32 v[42:43], v[50:51], v[30:31], v[32:33] op_sel:[0,0,1] op_sel_hi:[1,1,0] neg_lo:[0,0,1] neg_hi:[0,0,1]
	v_pk_fma_f32 v[30:31], v[50:51], v[30:31], v[32:33] op_sel:[0,0,1] op_sel_hi:[1,0,0]
	s_delay_alu instid0(VALU_DEP_3) | instskip(NEXT) | instid1(VALU_DEP_2)
	v_pk_add_f32 v[218:219], v[218:219], v[52:53] neg_lo:[0,1] neg_hi:[0,1]
	v_mov_b32_e32 v43, v31
	s_delay_alu instid0(VALU_DEP_1)
	v_pk_add_f32 v[220:221], v[220:221], v[42:43] neg_lo:[0,1] neg_hi:[0,1]
.LBB109_244:
	s_or_b32 exec_lo, exec_lo, s1
	s_delay_alu instid0(SALU_CYCLE_1)
	s_mov_b32 s2, exec_lo
	s_wait_dscnt 0x0
	s_barrier_signal -1
	s_barrier_wait -1
	v_cmpx_eq_u32_e32 27, v152
	s_cbranch_execz .LBB109_251
; %bb.245:
	v_dual_mov_b32 v30, v130 :: v_dual_mov_b32 v31, v131
	v_dual_mov_b32 v32, v126 :: v_dual_mov_b32 v33, v127
	ds_store_b64 v153, v[108:109]
	ds_store_2addr_b64 v154, v[30:31], v[32:33] offset0:28 offset1:29
	v_dual_mov_b32 v30, v128 :: v_dual_mov_b32 v31, v129
	v_dual_mov_b32 v32, v124 :: v_dual_mov_b32 v33, v125
	ds_store_2addr_b64 v154, v[30:31], v[32:33] offset0:30 offset1:31
	v_dual_mov_b32 v30, v146 :: v_dual_mov_b32 v31, v147
	v_dual_mov_b32 v32, v142 :: v_dual_mov_b32 v33, v143
	ds_store_2addr_b64 v154, v[30:31], v[32:33] offset0:32 offset1:33
	v_dual_mov_b32 v30, v144 :: v_dual_mov_b32 v31, v145
	v_dual_mov_b32 v32, v140 :: v_dual_mov_b32 v33, v141
	ds_store_2addr_b64 v154, v[30:31], v[32:33] offset0:34 offset1:35
	v_dual_mov_b32 v30, v162 :: v_dual_mov_b32 v31, v163
	v_dual_mov_b32 v32, v158 :: v_dual_mov_b32 v33, v159
	ds_store_2addr_b64 v154, v[30:31], v[32:33] offset0:36 offset1:37
	v_dual_mov_b32 v30, v160 :: v_dual_mov_b32 v31, v161
	v_dual_mov_b32 v32, v156 :: v_dual_mov_b32 v33, v157
	ds_store_2addr_b64 v154, v[30:31], v[32:33] offset0:38 offset1:39
	v_dual_mov_b32 v30, v178 :: v_dual_mov_b32 v31, v179
	v_dual_mov_b32 v32, v174 :: v_dual_mov_b32 v33, v175
	ds_store_2addr_b64 v154, v[30:31], v[32:33] offset0:40 offset1:41
	v_dual_mov_b32 v30, v176 :: v_dual_mov_b32 v31, v177
	v_dual_mov_b32 v32, v172 :: v_dual_mov_b32 v33, v173
	ds_store_2addr_b64 v154, v[30:31], v[32:33] offset0:42 offset1:43
	v_dual_mov_b32 v30, v196 :: v_dual_mov_b32 v31, v197
	v_dual_mov_b32 v32, v192 :: v_dual_mov_b32 v33, v193
	ds_store_2addr_b64 v154, v[30:31], v[32:33] offset0:44 offset1:45
	v_dual_mov_b32 v30, v194 :: v_dual_mov_b32 v31, v195
	v_dual_mov_b32 v32, v190 :: v_dual_mov_b32 v33, v191
	ds_store_2addr_b64 v154, v[30:31], v[32:33] offset0:46 offset1:47
	v_dual_mov_b32 v30, v216 :: v_dual_mov_b32 v31, v217
	v_dual_mov_b32 v32, v210 :: v_dual_mov_b32 v33, v211
	ds_store_2addr_b64 v154, v[30:31], v[32:33] offset0:48 offset1:49
	v_dual_mov_b32 v30, v214 :: v_dual_mov_b32 v31, v215
	v_dual_mov_b32 v32, v208 :: v_dual_mov_b32 v33, v209
	ds_store_2addr_b64 v154, v[30:31], v[32:33] offset0:50 offset1:51
	v_dual_mov_b32 v30, v212 :: v_dual_mov_b32 v31, v213
	v_dual_mov_b32 v32, v218 :: v_dual_mov_b32 v33, v219
	ds_store_2addr_b64 v154, v[30:31], v[32:33] offset0:52 offset1:53
	ds_store_b64 v154, v[220:221] offset:432
	ds_load_b64 v[30:31], v153
	s_wait_dscnt 0x0
	v_cmp_neq_f32_e32 vcc_lo, 0, v30
	v_cmp_neq_f32_e64 s1, 0, v31
	s_or_b32 s1, vcc_lo, s1
	s_delay_alu instid0(SALU_CYCLE_1)
	s_and_b32 exec_lo, exec_lo, s1
	s_cbranch_execz .LBB109_251
; %bb.246:
	v_cmp_ngt_f32_e64 s1, |v30|, |v31|
                                        ; implicit-def: $vgpr32_vgpr33
	s_and_saveexec_b32 s4, s1
	s_delay_alu instid0(SALU_CYCLE_1)
	s_xor_b32 s1, exec_lo, s4
	s_cbranch_execz .LBB109_248
; %bb.247:
	v_div_scale_f32 v32, null, v31, v31, v30
	v_div_scale_f32 v43, vcc_lo, v30, v31, v30
	s_delay_alu instid0(VALU_DEP_2) | instskip(SKIP_1) | instid1(TRANS32_DEP_1)
	v_rcp_f32_e32 v33, v32
	v_nop
	v_fma_f32 v42, -v32, v33, 1.0
	s_delay_alu instid0(VALU_DEP_1) | instskip(NEXT) | instid1(VALU_DEP_1)
	v_fmac_f32_e32 v33, v42, v33
	v_mul_f32_e32 v42, v43, v33
	s_delay_alu instid0(VALU_DEP_1) | instskip(NEXT) | instid1(VALU_DEP_1)
	v_fma_f32 v48, -v32, v42, v43
	v_fmac_f32_e32 v42, v48, v33
	s_delay_alu instid0(VALU_DEP_1) | instskip(NEXT) | instid1(VALU_DEP_1)
	v_fma_f32 v32, -v32, v42, v43
	v_div_fmas_f32 v32, v32, v33, v42
	s_delay_alu instid0(VALU_DEP_1) | instskip(NEXT) | instid1(VALU_DEP_1)
	v_div_fixup_f32 v32, v32, v31, v30
	v_fmac_f32_e32 v31, v30, v32
	s_delay_alu instid0(VALU_DEP_1) | instskip(SKIP_1) | instid1(VALU_DEP_2)
	v_div_scale_f32 v30, null, v31, v31, 1.0
	v_div_scale_f32 v43, vcc_lo, 1.0, v31, 1.0
	v_rcp_f32_e32 v33, v30
	v_nop
	s_delay_alu instid0(TRANS32_DEP_1) | instskip(NEXT) | instid1(VALU_DEP_1)
	v_fma_f32 v42, -v30, v33, 1.0
	v_fmac_f32_e32 v33, v42, v33
	s_delay_alu instid0(VALU_DEP_1) | instskip(NEXT) | instid1(VALU_DEP_1)
	v_mul_f32_e32 v42, v43, v33
	v_fma_f32 v48, -v30, v42, v43
	s_delay_alu instid0(VALU_DEP_1) | instskip(NEXT) | instid1(VALU_DEP_1)
	v_fmac_f32_e32 v42, v48, v33
	v_fma_f32 v30, -v30, v42, v43
	s_delay_alu instid0(VALU_DEP_1) | instskip(NEXT) | instid1(VALU_DEP_1)
	v_div_fmas_f32 v30, v30, v33, v42
	v_div_fixup_f32 v30, v30, v31, 1.0
	s_delay_alu instid0(VALU_DEP_1)
	v_mul_f32_e32 v32, v32, v30
	v_xor_b32_e32 v33, 0x80000000, v30
                                        ; implicit-def: $vgpr30_vgpr31
.LBB109_248:
	s_and_not1_saveexec_b32 s1, s1
	s_cbranch_execz .LBB109_250
; %bb.249:
	v_div_scale_f32 v32, null, v30, v30, v31
	v_div_scale_f32 v43, vcc_lo, v31, v30, v31
	s_delay_alu instid0(VALU_DEP_2) | instskip(SKIP_1) | instid1(TRANS32_DEP_1)
	v_rcp_f32_e32 v33, v32
	v_nop
	v_fma_f32 v42, -v32, v33, 1.0
	s_delay_alu instid0(VALU_DEP_1) | instskip(NEXT) | instid1(VALU_DEP_1)
	v_fmac_f32_e32 v33, v42, v33
	v_mul_f32_e32 v42, v43, v33
	s_delay_alu instid0(VALU_DEP_1) | instskip(NEXT) | instid1(VALU_DEP_1)
	v_fma_f32 v48, -v32, v42, v43
	v_fmac_f32_e32 v42, v48, v33
	s_delay_alu instid0(VALU_DEP_1) | instskip(NEXT) | instid1(VALU_DEP_1)
	v_fma_f32 v32, -v32, v42, v43
	v_div_fmas_f32 v32, v32, v33, v42
	s_delay_alu instid0(VALU_DEP_1) | instskip(NEXT) | instid1(VALU_DEP_1)
	v_div_fixup_f32 v33, v32, v30, v31
	v_fmac_f32_e32 v30, v31, v33
	s_delay_alu instid0(VALU_DEP_1) | instskip(NEXT) | instid1(VALU_DEP_1)
	v_div_scale_f32 v31, null, v30, v30, 1.0
	v_rcp_f32_e32 v32, v31
	v_nop
	s_delay_alu instid0(TRANS32_DEP_1) | instskip(NEXT) | instid1(VALU_DEP_1)
	v_fma_f32 v42, -v31, v32, 1.0
	v_fmac_f32_e32 v32, v42, v32
	v_div_scale_f32 v42, vcc_lo, 1.0, v30, 1.0
	s_delay_alu instid0(VALU_DEP_1) | instskip(NEXT) | instid1(VALU_DEP_1)
	v_mul_f32_e32 v43, v42, v32
	v_fma_f32 v48, -v31, v43, v42
	s_delay_alu instid0(VALU_DEP_1) | instskip(NEXT) | instid1(VALU_DEP_1)
	v_fmac_f32_e32 v43, v48, v32
	v_fma_f32 v31, -v31, v43, v42
	s_delay_alu instid0(VALU_DEP_1) | instskip(NEXT) | instid1(VALU_DEP_1)
	v_div_fmas_f32 v31, v31, v32, v43
	v_div_fixup_f32 v32, v31, v30, 1.0
	s_delay_alu instid0(VALU_DEP_1)
	v_mul_f32_e64 v33, v33, -v32
.LBB109_250:
	s_or_b32 exec_lo, exec_lo, s1
	ds_store_b64 v153, v[32:33]
.LBB109_251:
	s_or_b32 exec_lo, exec_lo, s2
	s_wait_dscnt 0x0
	s_barrier_signal -1
	s_barrier_wait -1
	ds_load_b64 v[30:31], v153
	s_mov_b32 s1, exec_lo
	v_cmpx_lt_u32_e32 27, v152
	s_cbranch_execz .LBB109_253
; %bb.252:
	ds_load_2addr_b64 v[48:51], v154 offset0:28 offset1:29
	s_wait_dscnt 0x1
	v_pk_mul_f32 v[42:43], v[30:31], v[108:109] op_sel:[1,1] op_sel_hi:[0,1]
	s_delay_alu instid0(VALU_DEP_1) | instskip(SKIP_1) | instid1(VALU_DEP_1)
	v_pk_fma_f32 v[32:33], v[30:31], v[108:109], v[42:43] op_sel_hi:[1,0,1] neg_lo:[0,0,1] neg_hi:[0,0,1]
	v_pk_fma_f32 v[42:43], v[30:31], v[108:109], v[42:43] op_sel_hi:[1,0,1]
	v_dual_mov_b32 v108, v32 :: v_dual_mov_b32 v109, v43
	s_wait_dscnt 0x0
	s_delay_alu instid0(VALU_DEP_2) | instskip(NEXT) | instid1(VALU_DEP_1)
	v_pk_mul_f32 v[52:53], v[48:49], v[42:43] op_sel:[0,1]
	v_pk_fma_f32 v[66:67], v[48:49], v[32:33], v[52:53] op_sel:[0,0,1] op_sel_hi:[1,1,0] neg_lo:[0,0,1] neg_hi:[0,0,1]
	v_pk_fma_f32 v[48:49], v[48:49], v[32:33], v[52:53] op_sel:[0,0,1] op_sel_hi:[1,0,0]
	s_delay_alu instid0(VALU_DEP_1) | instskip(SKIP_1) | instid1(VALU_DEP_1)
	v_mov_b32_e32 v67, v49
	v_pk_mul_f32 v[48:49], v[50:51], v[42:43] op_sel:[0,1]
	v_pk_fma_f32 v[52:53], v[50:51], v[32:33], v[48:49] op_sel:[0,0,1] op_sel_hi:[1,1,0] neg_lo:[0,0,1] neg_hi:[0,0,1]
	v_pk_fma_f32 v[48:49], v[50:51], v[32:33], v[48:49] op_sel:[0,0,1] op_sel_hi:[1,0,0]
	s_delay_alu instid0(VALU_DEP_1)
	v_mov_b32_e32 v53, v49
	ds_load_2addr_b64 v[48:51], v154 offset0:30 offset1:31
	v_pk_add_f32 v[130:131], v[130:131], v[66:67] neg_lo:[0,1] neg_hi:[0,1]
	v_pk_add_f32 v[126:127], v[126:127], v[52:53] neg_lo:[0,1] neg_hi:[0,1]
	s_wait_dscnt 0x0
	v_pk_mul_f32 v[52:53], v[48:49], v[42:43] op_sel:[0,1]
	s_delay_alu instid0(VALU_DEP_1) | instskip(SKIP_2) | instid1(VALU_DEP_2)
	v_pk_fma_f32 v[66:67], v[48:49], v[32:33], v[52:53] op_sel:[0,0,1] op_sel_hi:[1,1,0] neg_lo:[0,0,1] neg_hi:[0,0,1]
	v_pk_fma_f32 v[48:49], v[48:49], v[32:33], v[52:53] op_sel:[0,0,1] op_sel_hi:[1,0,0]
	v_dual_mul_f32 v52, v51, v43 :: v_dual_mov_b32 v48, v51
	v_dual_mov_b32 v67, v49 :: v_dual_mov_b32 v49, v50
	s_delay_alu instid0(VALU_DEP_2) | instskip(SKIP_1) | instid1(VALU_DEP_3)
	v_pk_fma_f32 v[52:53], v[50:51], v[108:109], v[52:53] op_sel_hi:[1,1,0] neg_lo:[0,0,1] neg_hi:[0,0,1]
	v_mul_f32_e32 v50, v51, v32
	v_pk_add_f32 v[128:129], v[128:129], v[66:67] neg_lo:[0,1] neg_hi:[0,1]
	s_delay_alu instid0(VALU_DEP_2) | instskip(NEXT) | instid1(VALU_DEP_1)
	v_pk_fma_f32 v[48:49], v[48:49], v[108:109], v[50:51] op_sel_hi:[1,1,0]
	v_mov_b32_e32 v53, v49
	ds_load_2addr_b64 v[48:51], v154 offset0:32 offset1:33
	v_pk_add_f32 v[124:125], v[124:125], v[52:53] neg_lo:[0,1] neg_hi:[0,1]
	s_wait_dscnt 0x0
	v_pk_mul_f32 v[52:53], v[48:49], v[42:43] op_sel:[0,1]
	s_delay_alu instid0(VALU_DEP_1) | instskip(SKIP_1) | instid1(VALU_DEP_1)
	v_pk_fma_f32 v[66:67], v[48:49], v[32:33], v[52:53] op_sel:[0,0,1] op_sel_hi:[1,1,0] neg_lo:[0,0,1] neg_hi:[0,0,1]
	v_pk_fma_f32 v[48:49], v[48:49], v[32:33], v[52:53] op_sel:[0,0,1] op_sel_hi:[1,0,0]
	v_mov_b32_e32 v67, v49
	v_pk_mul_f32 v[48:49], v[50:51], v[42:43] op_sel:[0,1]
	s_delay_alu instid0(VALU_DEP_1) | instskip(SKIP_1) | instid1(VALU_DEP_1)
	v_pk_fma_f32 v[52:53], v[50:51], v[32:33], v[48:49] op_sel:[0,0,1] op_sel_hi:[1,1,0] neg_lo:[0,0,1] neg_hi:[0,0,1]
	v_pk_fma_f32 v[48:49], v[50:51], v[32:33], v[48:49] op_sel:[0,0,1] op_sel_hi:[1,0,0]
	v_mov_b32_e32 v53, v49
	ds_load_2addr_b64 v[48:51], v154 offset0:34 offset1:35
	v_pk_add_f32 v[146:147], v[146:147], v[66:67] neg_lo:[0,1] neg_hi:[0,1]
	v_pk_add_f32 v[142:143], v[142:143], v[52:53] neg_lo:[0,1] neg_hi:[0,1]
	s_wait_dscnt 0x0
	v_pk_mul_f32 v[52:53], v[48:49], v[42:43] op_sel:[0,1]
	s_delay_alu instid0(VALU_DEP_1) | instskip(SKIP_1) | instid1(VALU_DEP_1)
	v_pk_fma_f32 v[66:67], v[48:49], v[32:33], v[52:53] op_sel:[0,0,1] op_sel_hi:[1,1,0] neg_lo:[0,0,1] neg_hi:[0,0,1]
	v_pk_fma_f32 v[48:49], v[48:49], v[32:33], v[52:53] op_sel:[0,0,1] op_sel_hi:[1,0,0]
	v_mov_b32_e32 v67, v49
	v_pk_mul_f32 v[48:49], v[50:51], v[42:43] op_sel:[0,1]
	s_delay_alu instid0(VALU_DEP_1) | instskip(SKIP_1) | instid1(VALU_DEP_1)
	v_pk_fma_f32 v[52:53], v[50:51], v[32:33], v[48:49] op_sel:[0,0,1] op_sel_hi:[1,1,0] neg_lo:[0,0,1] neg_hi:[0,0,1]
	v_pk_fma_f32 v[48:49], v[50:51], v[32:33], v[48:49] op_sel:[0,0,1] op_sel_hi:[1,0,0]
	v_mov_b32_e32 v53, v49
	ds_load_2addr_b64 v[48:51], v154 offset0:36 offset1:37
	v_pk_add_f32 v[144:145], v[144:145], v[66:67] neg_lo:[0,1] neg_hi:[0,1]
	v_pk_add_f32 v[140:141], v[140:141], v[52:53] neg_lo:[0,1] neg_hi:[0,1]
	s_wait_dscnt 0x0
	v_dual_mul_f32 v52, v49, v43 :: v_dual_mul_f32 v66, v49, v32
	s_delay_alu instid0(VALU_DEP_1) | instskip(NEXT) | instid1(VALU_DEP_2)
	v_pk_fma_f32 v[52:53], v[48:49], v[108:109], v[52:53] op_sel_hi:[1,1,0] neg_lo:[0,0,1] neg_hi:[0,0,1]
	v_pk_fma_f32 v[48:49], v[48:49], v[108:109], v[66:67] op_sel:[1,0,0] op_sel_hi:[0,1,0]
	s_delay_alu instid0(VALU_DEP_1) | instskip(SKIP_1) | instid1(VALU_DEP_2)
	v_mov_b32_e32 v53, v49
	v_pk_mul_f32 v[48:49], v[50:51], v[42:43] op_sel:[0,1]
	v_pk_add_f32 v[162:163], v[162:163], v[52:53] neg_lo:[0,1] neg_hi:[0,1]
	s_delay_alu instid0(VALU_DEP_2) | instskip(SKIP_1) | instid1(VALU_DEP_1)
	v_pk_fma_f32 v[52:53], v[50:51], v[32:33], v[48:49] op_sel:[0,0,1] op_sel_hi:[1,1,0] neg_lo:[0,0,1] neg_hi:[0,0,1]
	v_pk_fma_f32 v[48:49], v[50:51], v[32:33], v[48:49] op_sel:[0,0,1] op_sel_hi:[1,0,0]
	v_mov_b32_e32 v53, v49
	ds_load_2addr_b64 v[48:51], v154 offset0:38 offset1:39
	v_pk_add_f32 v[158:159], v[158:159], v[52:53] neg_lo:[0,1] neg_hi:[0,1]
	s_wait_dscnt 0x0
	v_pk_mul_f32 v[52:53], v[48:49], v[42:43] op_sel:[0,1]
	s_delay_alu instid0(VALU_DEP_1) | instskip(SKIP_1) | instid1(VALU_DEP_1)
	v_pk_fma_f32 v[66:67], v[48:49], v[32:33], v[52:53] op_sel:[0,0,1] op_sel_hi:[1,1,0] neg_lo:[0,0,1] neg_hi:[0,0,1]
	v_pk_fma_f32 v[48:49], v[48:49], v[32:33], v[52:53] op_sel:[0,0,1] op_sel_hi:[1,0,0]
	v_mov_b32_e32 v67, v49
	v_pk_mul_f32 v[48:49], v[50:51], v[42:43] op_sel:[0,1]
	s_delay_alu instid0(VALU_DEP_2) | instskip(NEXT) | instid1(VALU_DEP_2)
	v_pk_add_f32 v[160:161], v[160:161], v[66:67] neg_lo:[0,1] neg_hi:[0,1]
	v_pk_fma_f32 v[52:53], v[50:51], v[32:33], v[48:49] op_sel:[0,0,1] op_sel_hi:[1,1,0] neg_lo:[0,0,1] neg_hi:[0,0,1]
	v_pk_fma_f32 v[48:49], v[50:51], v[32:33], v[48:49] op_sel:[0,0,1] op_sel_hi:[1,0,0]
	s_delay_alu instid0(VALU_DEP_1) | instskip(SKIP_4) | instid1(VALU_DEP_1)
	v_mov_b32_e32 v53, v49
	ds_load_2addr_b64 v[48:51], v154 offset0:40 offset1:41
	v_pk_add_f32 v[156:157], v[156:157], v[52:53] neg_lo:[0,1] neg_hi:[0,1]
	s_wait_dscnt 0x0
	v_pk_mul_f32 v[52:53], v[48:49], v[42:43] op_sel:[0,1]
	v_pk_fma_f32 v[66:67], v[48:49], v[32:33], v[52:53] op_sel:[0,0,1] op_sel_hi:[1,1,0] neg_lo:[0,0,1] neg_hi:[0,0,1]
	v_pk_fma_f32 v[48:49], v[48:49], v[32:33], v[52:53] op_sel:[0,0,1] op_sel_hi:[1,0,0]
	v_dual_mul_f32 v52, v51, v43 :: v_dual_mov_b32 v48, v51
	s_delay_alu instid0(VALU_DEP_2) | instskip(NEXT) | instid1(VALU_DEP_2)
	v_dual_mov_b32 v67, v49 :: v_dual_mov_b32 v49, v50
	v_pk_fma_f32 v[52:53], v[50:51], v[108:109], v[52:53] op_sel_hi:[1,1,0] neg_lo:[0,0,1] neg_hi:[0,0,1]
	v_mul_f32_e32 v50, v51, v32
	s_delay_alu instid0(VALU_DEP_3) | instskip(NEXT) | instid1(VALU_DEP_2)
	v_pk_add_f32 v[178:179], v[178:179], v[66:67] neg_lo:[0,1] neg_hi:[0,1]
	v_pk_fma_f32 v[48:49], v[48:49], v[108:109], v[50:51] op_sel_hi:[1,1,0]
	s_delay_alu instid0(VALU_DEP_1) | instskip(SKIP_4) | instid1(VALU_DEP_1)
	v_mov_b32_e32 v53, v49
	ds_load_2addr_b64 v[48:51], v154 offset0:42 offset1:43
	v_pk_add_f32 v[174:175], v[174:175], v[52:53] neg_lo:[0,1] neg_hi:[0,1]
	s_wait_dscnt 0x0
	v_pk_mul_f32 v[52:53], v[48:49], v[42:43] op_sel:[0,1]
	v_pk_fma_f32 v[66:67], v[48:49], v[32:33], v[52:53] op_sel:[0,0,1] op_sel_hi:[1,1,0] neg_lo:[0,0,1] neg_hi:[0,0,1]
	v_pk_fma_f32 v[48:49], v[48:49], v[32:33], v[52:53] op_sel:[0,0,1] op_sel_hi:[1,0,0]
	s_delay_alu instid0(VALU_DEP_1) | instskip(SKIP_1) | instid1(VALU_DEP_1)
	v_mov_b32_e32 v67, v49
	v_pk_mul_f32 v[48:49], v[50:51], v[42:43] op_sel:[0,1]
	v_pk_fma_f32 v[52:53], v[50:51], v[32:33], v[48:49] op_sel:[0,0,1] op_sel_hi:[1,1,0] neg_lo:[0,0,1] neg_hi:[0,0,1]
	v_pk_fma_f32 v[48:49], v[50:51], v[32:33], v[48:49] op_sel:[0,0,1] op_sel_hi:[1,0,0]
	s_delay_alu instid0(VALU_DEP_1)
	v_mov_b32_e32 v53, v49
	ds_load_2addr_b64 v[48:51], v154 offset0:44 offset1:45
	v_pk_add_f32 v[176:177], v[176:177], v[66:67] neg_lo:[0,1] neg_hi:[0,1]
	v_pk_add_f32 v[172:173], v[172:173], v[52:53] neg_lo:[0,1] neg_hi:[0,1]
	s_wait_dscnt 0x0
	v_pk_mul_f32 v[52:53], v[48:49], v[42:43] op_sel:[0,1]
	s_delay_alu instid0(VALU_DEP_1) | instskip(SKIP_1) | instid1(VALU_DEP_1)
	v_pk_fma_f32 v[66:67], v[48:49], v[32:33], v[52:53] op_sel:[0,0,1] op_sel_hi:[1,1,0] neg_lo:[0,0,1] neg_hi:[0,0,1]
	v_pk_fma_f32 v[48:49], v[48:49], v[32:33], v[52:53] op_sel:[0,0,1] op_sel_hi:[1,0,0]
	v_mov_b32_e32 v67, v49
	v_pk_mul_f32 v[48:49], v[50:51], v[42:43] op_sel:[0,1]
	s_delay_alu instid0(VALU_DEP_1) | instskip(SKIP_1) | instid1(VALU_DEP_1)
	v_pk_fma_f32 v[52:53], v[50:51], v[32:33], v[48:49] op_sel:[0,0,1] op_sel_hi:[1,1,0] neg_lo:[0,0,1] neg_hi:[0,0,1]
	v_pk_fma_f32 v[48:49], v[50:51], v[32:33], v[48:49] op_sel:[0,0,1] op_sel_hi:[1,0,0]
	v_mov_b32_e32 v53, v49
	ds_load_2addr_b64 v[48:51], v154 offset0:46 offset1:47
	v_pk_add_f32 v[196:197], v[196:197], v[66:67] neg_lo:[0,1] neg_hi:[0,1]
	v_pk_add_f32 v[192:193], v[192:193], v[52:53] neg_lo:[0,1] neg_hi:[0,1]
	s_wait_dscnt 0x0
	v_dual_mul_f32 v52, v49, v43 :: v_dual_mul_f32 v66, v49, v32
	s_delay_alu instid0(VALU_DEP_1) | instskip(NEXT) | instid1(VALU_DEP_2)
	v_pk_fma_f32 v[52:53], v[48:49], v[108:109], v[52:53] op_sel_hi:[1,1,0] neg_lo:[0,0,1] neg_hi:[0,0,1]
	v_pk_fma_f32 v[48:49], v[48:49], v[108:109], v[66:67] op_sel:[1,0,0] op_sel_hi:[0,1,0]
	s_delay_alu instid0(VALU_DEP_1) | instskip(SKIP_1) | instid1(VALU_DEP_2)
	v_mov_b32_e32 v53, v49
	v_pk_mul_f32 v[48:49], v[50:51], v[42:43] op_sel:[0,1]
	v_pk_add_f32 v[194:195], v[194:195], v[52:53] neg_lo:[0,1] neg_hi:[0,1]
	s_delay_alu instid0(VALU_DEP_2) | instskip(SKIP_1) | instid1(VALU_DEP_1)
	v_pk_fma_f32 v[52:53], v[50:51], v[32:33], v[48:49] op_sel:[0,0,1] op_sel_hi:[1,1,0] neg_lo:[0,0,1] neg_hi:[0,0,1]
	v_pk_fma_f32 v[48:49], v[50:51], v[32:33], v[48:49] op_sel:[0,0,1] op_sel_hi:[1,0,0]
	v_mov_b32_e32 v53, v49
	ds_load_2addr_b64 v[48:51], v154 offset0:48 offset1:49
	v_pk_add_f32 v[190:191], v[190:191], v[52:53] neg_lo:[0,1] neg_hi:[0,1]
	s_wait_dscnt 0x0
	v_pk_mul_f32 v[52:53], v[48:49], v[42:43] op_sel:[0,1]
	s_delay_alu instid0(VALU_DEP_1) | instskip(SKIP_1) | instid1(VALU_DEP_1)
	v_pk_fma_f32 v[66:67], v[48:49], v[32:33], v[52:53] op_sel:[0,0,1] op_sel_hi:[1,1,0] neg_lo:[0,0,1] neg_hi:[0,0,1]
	v_pk_fma_f32 v[48:49], v[48:49], v[32:33], v[52:53] op_sel:[0,0,1] op_sel_hi:[1,0,0]
	v_mov_b32_e32 v67, v49
	v_pk_mul_f32 v[48:49], v[50:51], v[42:43] op_sel:[0,1]
	s_delay_alu instid0(VALU_DEP_2) | instskip(NEXT) | instid1(VALU_DEP_2)
	v_pk_add_f32 v[216:217], v[216:217], v[66:67] neg_lo:[0,1] neg_hi:[0,1]
	v_pk_fma_f32 v[52:53], v[50:51], v[32:33], v[48:49] op_sel:[0,0,1] op_sel_hi:[1,1,0] neg_lo:[0,0,1] neg_hi:[0,0,1]
	v_pk_fma_f32 v[48:49], v[50:51], v[32:33], v[48:49] op_sel:[0,0,1] op_sel_hi:[1,0,0]
	s_delay_alu instid0(VALU_DEP_1) | instskip(SKIP_4) | instid1(VALU_DEP_1)
	v_mov_b32_e32 v53, v49
	ds_load_2addr_b64 v[48:51], v154 offset0:50 offset1:51
	v_pk_add_f32 v[210:211], v[210:211], v[52:53] neg_lo:[0,1] neg_hi:[0,1]
	s_wait_dscnt 0x0
	v_pk_mul_f32 v[52:53], v[48:49], v[42:43] op_sel:[0,1]
	v_pk_fma_f32 v[66:67], v[48:49], v[32:33], v[52:53] op_sel:[0,0,1] op_sel_hi:[1,1,0] neg_lo:[0,0,1] neg_hi:[0,0,1]
	v_pk_fma_f32 v[48:49], v[48:49], v[32:33], v[52:53] op_sel:[0,0,1] op_sel_hi:[1,0,0]
	v_dual_mul_f32 v52, v51, v43 :: v_dual_mov_b32 v48, v51
	s_delay_alu instid0(VALU_DEP_2) | instskip(NEXT) | instid1(VALU_DEP_2)
	v_dual_mov_b32 v67, v49 :: v_dual_mov_b32 v49, v50
	v_pk_fma_f32 v[52:53], v[50:51], v[108:109], v[52:53] op_sel_hi:[1,1,0] neg_lo:[0,0,1] neg_hi:[0,0,1]
	v_mul_f32_e32 v50, v51, v32
	s_delay_alu instid0(VALU_DEP_3) | instskip(NEXT) | instid1(VALU_DEP_2)
	v_pk_add_f32 v[214:215], v[214:215], v[66:67] neg_lo:[0,1] neg_hi:[0,1]
	v_pk_fma_f32 v[48:49], v[48:49], v[108:109], v[50:51] op_sel_hi:[1,1,0]
	s_delay_alu instid0(VALU_DEP_1) | instskip(SKIP_4) | instid1(VALU_DEP_1)
	v_mov_b32_e32 v53, v49
	ds_load_2addr_b64 v[48:51], v154 offset0:52 offset1:53
	v_pk_add_f32 v[208:209], v[208:209], v[52:53] neg_lo:[0,1] neg_hi:[0,1]
	s_wait_dscnt 0x0
	v_pk_mul_f32 v[52:53], v[48:49], v[42:43] op_sel:[0,1]
	v_pk_fma_f32 v[66:67], v[48:49], v[32:33], v[52:53] op_sel:[0,0,1] op_sel_hi:[1,1,0] neg_lo:[0,0,1] neg_hi:[0,0,1]
	v_pk_fma_f32 v[48:49], v[48:49], v[32:33], v[52:53] op_sel:[0,0,1] op_sel_hi:[1,0,0]
	s_delay_alu instid0(VALU_DEP_1) | instskip(SKIP_1) | instid1(VALU_DEP_1)
	v_mov_b32_e32 v67, v49
	v_pk_mul_f32 v[48:49], v[50:51], v[42:43] op_sel:[0,1]
	v_pk_fma_f32 v[52:53], v[50:51], v[32:33], v[48:49] op_sel:[0,0,1] op_sel_hi:[1,1,0] neg_lo:[0,0,1] neg_hi:[0,0,1]
	v_pk_fma_f32 v[48:49], v[50:51], v[32:33], v[48:49] op_sel:[0,0,1] op_sel_hi:[1,0,0]
	s_delay_alu instid0(VALU_DEP_1)
	v_mov_b32_e32 v53, v49
	ds_load_b64 v[48:49], v154 offset:432
	v_pk_add_f32 v[212:213], v[212:213], v[66:67] neg_lo:[0,1] neg_hi:[0,1]
	v_pk_add_f32 v[218:219], v[218:219], v[52:53] neg_lo:[0,1] neg_hi:[0,1]
	s_wait_dscnt 0x0
	v_pk_mul_f32 v[42:43], v[48:49], v[42:43] op_sel:[0,1]
	s_delay_alu instid0(VALU_DEP_1) | instskip(SKIP_1) | instid1(VALU_DEP_1)
	v_pk_fma_f32 v[50:51], v[48:49], v[32:33], v[42:43] op_sel:[0,0,1] op_sel_hi:[1,1,0] neg_lo:[0,0,1] neg_hi:[0,0,1]
	v_pk_fma_f32 v[32:33], v[48:49], v[32:33], v[42:43] op_sel:[0,0,1] op_sel_hi:[1,0,0]
	v_mov_b32_e32 v51, v33
	s_delay_alu instid0(VALU_DEP_1)
	v_pk_add_f32 v[220:221], v[220:221], v[50:51] neg_lo:[0,1] neg_hi:[0,1]
.LBB109_253:
	s_or_b32 exec_lo, exec_lo, s1
	s_delay_alu instid0(SALU_CYCLE_1)
	s_mov_b32 s2, exec_lo
	s_wait_dscnt 0x0
	s_barrier_signal -1
	s_barrier_wait -1
	v_cmpx_eq_u32_e32 28, v152
	s_cbranch_execz .LBB109_260
; %bb.254:
	ds_store_b64 v153, v[130:131]
	ds_store_2addr_b64 v154, v[126:127], v[128:129] offset0:29 offset1:30
	ds_store_2addr_b64 v154, v[124:125], v[146:147] offset0:31 offset1:32
	;; [unrolled: 1-line block ×13, first 2 shown]
	ds_load_b64 v[32:33], v153
	s_wait_dscnt 0x0
	v_cmp_neq_f32_e32 vcc_lo, 0, v32
	v_cmp_neq_f32_e64 s1, 0, v33
	s_or_b32 s1, vcc_lo, s1
	s_delay_alu instid0(SALU_CYCLE_1)
	s_and_b32 exec_lo, exec_lo, s1
	s_cbranch_execz .LBB109_260
; %bb.255:
	v_cmp_ngt_f32_e64 s1, |v32|, |v33|
                                        ; implicit-def: $vgpr42_vgpr43
	s_and_saveexec_b32 s4, s1
	s_delay_alu instid0(SALU_CYCLE_1)
	s_xor_b32 s1, exec_lo, s4
	s_cbranch_execz .LBB109_257
; %bb.256:
	v_div_scale_f32 v42, null, v33, v33, v32
	v_div_scale_f32 v49, vcc_lo, v32, v33, v32
	s_delay_alu instid0(VALU_DEP_2) | instskip(SKIP_1) | instid1(TRANS32_DEP_1)
	v_rcp_f32_e32 v43, v42
	v_nop
	v_fma_f32 v48, -v42, v43, 1.0
	s_delay_alu instid0(VALU_DEP_1) | instskip(NEXT) | instid1(VALU_DEP_1)
	v_fmac_f32_e32 v43, v48, v43
	v_mul_f32_e32 v48, v49, v43
	s_delay_alu instid0(VALU_DEP_1) | instskip(NEXT) | instid1(VALU_DEP_1)
	v_fma_f32 v50, -v42, v48, v49
	v_fmac_f32_e32 v48, v50, v43
	s_delay_alu instid0(VALU_DEP_1) | instskip(NEXT) | instid1(VALU_DEP_1)
	v_fma_f32 v42, -v42, v48, v49
	v_div_fmas_f32 v42, v42, v43, v48
	s_delay_alu instid0(VALU_DEP_1) | instskip(NEXT) | instid1(VALU_DEP_1)
	v_div_fixup_f32 v42, v42, v33, v32
	v_fmac_f32_e32 v33, v32, v42
	s_delay_alu instid0(VALU_DEP_1) | instskip(SKIP_1) | instid1(VALU_DEP_2)
	v_div_scale_f32 v32, null, v33, v33, 1.0
	v_div_scale_f32 v49, vcc_lo, 1.0, v33, 1.0
	v_rcp_f32_e32 v43, v32
	v_nop
	s_delay_alu instid0(TRANS32_DEP_1) | instskip(NEXT) | instid1(VALU_DEP_1)
	v_fma_f32 v48, -v32, v43, 1.0
	v_fmac_f32_e32 v43, v48, v43
	s_delay_alu instid0(VALU_DEP_1) | instskip(NEXT) | instid1(VALU_DEP_1)
	v_mul_f32_e32 v48, v49, v43
	v_fma_f32 v50, -v32, v48, v49
	s_delay_alu instid0(VALU_DEP_1) | instskip(NEXT) | instid1(VALU_DEP_1)
	v_fmac_f32_e32 v48, v50, v43
	v_fma_f32 v32, -v32, v48, v49
	s_delay_alu instid0(VALU_DEP_1) | instskip(NEXT) | instid1(VALU_DEP_1)
	v_div_fmas_f32 v32, v32, v43, v48
	v_div_fixup_f32 v32, v32, v33, 1.0
	s_delay_alu instid0(VALU_DEP_1)
	v_mul_f32_e32 v42, v42, v32
	v_xor_b32_e32 v43, 0x80000000, v32
                                        ; implicit-def: $vgpr32_vgpr33
.LBB109_257:
	s_and_not1_saveexec_b32 s1, s1
	s_cbranch_execz .LBB109_259
; %bb.258:
	v_div_scale_f32 v42, null, v32, v32, v33
	v_div_scale_f32 v49, vcc_lo, v33, v32, v33
	s_delay_alu instid0(VALU_DEP_2) | instskip(SKIP_1) | instid1(TRANS32_DEP_1)
	v_rcp_f32_e32 v43, v42
	v_nop
	v_fma_f32 v48, -v42, v43, 1.0
	s_delay_alu instid0(VALU_DEP_1) | instskip(NEXT) | instid1(VALU_DEP_1)
	v_fmac_f32_e32 v43, v48, v43
	v_mul_f32_e32 v48, v49, v43
	s_delay_alu instid0(VALU_DEP_1) | instskip(NEXT) | instid1(VALU_DEP_1)
	v_fma_f32 v50, -v42, v48, v49
	v_fmac_f32_e32 v48, v50, v43
	s_delay_alu instid0(VALU_DEP_1) | instskip(NEXT) | instid1(VALU_DEP_1)
	v_fma_f32 v42, -v42, v48, v49
	v_div_fmas_f32 v42, v42, v43, v48
	s_delay_alu instid0(VALU_DEP_1) | instskip(NEXT) | instid1(VALU_DEP_1)
	v_div_fixup_f32 v43, v42, v32, v33
	v_fmac_f32_e32 v32, v33, v43
	s_delay_alu instid0(VALU_DEP_1) | instskip(NEXT) | instid1(VALU_DEP_1)
	v_div_scale_f32 v33, null, v32, v32, 1.0
	v_rcp_f32_e32 v42, v33
	v_nop
	s_delay_alu instid0(TRANS32_DEP_1) | instskip(NEXT) | instid1(VALU_DEP_1)
	v_fma_f32 v48, -v33, v42, 1.0
	v_fmac_f32_e32 v42, v48, v42
	v_div_scale_f32 v48, vcc_lo, 1.0, v32, 1.0
	s_delay_alu instid0(VALU_DEP_1) | instskip(NEXT) | instid1(VALU_DEP_1)
	v_mul_f32_e32 v49, v48, v42
	v_fma_f32 v50, -v33, v49, v48
	s_delay_alu instid0(VALU_DEP_1) | instskip(NEXT) | instid1(VALU_DEP_1)
	v_fmac_f32_e32 v49, v50, v42
	v_fma_f32 v33, -v33, v49, v48
	s_delay_alu instid0(VALU_DEP_1) | instskip(NEXT) | instid1(VALU_DEP_1)
	v_div_fmas_f32 v33, v33, v42, v49
	v_div_fixup_f32 v42, v33, v32, 1.0
	s_delay_alu instid0(VALU_DEP_1)
	v_mul_f32_e64 v43, v43, -v42
.LBB109_259:
	s_or_b32 exec_lo, exec_lo, s1
	ds_store_b64 v153, v[42:43]
.LBB109_260:
	s_or_b32 exec_lo, exec_lo, s2
	s_wait_dscnt 0x0
	s_barrier_signal -1
	s_barrier_wait -1
	ds_load_b64 v[32:33], v153
	s_mov_b32 s1, exec_lo
	v_cmpx_lt_u32_e32 28, v152
	s_cbranch_execz .LBB109_262
; %bb.261:
	ds_load_2addr_b64 v[50:53], v154 offset0:29 offset1:30
	s_wait_dscnt 0x1
	v_pk_mul_f32 v[48:49], v[32:33], v[130:131] op_sel:[1,1] op_sel_hi:[0,1]
	s_delay_alu instid0(VALU_DEP_1) | instskip(SKIP_1) | instid1(VALU_DEP_1)
	v_pk_fma_f32 v[42:43], v[32:33], v[130:131], v[48:49] op_sel_hi:[1,0,1] neg_lo:[0,0,1] neg_hi:[0,0,1]
	v_pk_fma_f32 v[48:49], v[32:33], v[130:131], v[48:49] op_sel_hi:[1,0,1]
	v_dual_mov_b32 v130, v42 :: v_dual_mov_b32 v131, v49
	s_wait_dscnt 0x0
	s_delay_alu instid0(VALU_DEP_2) | instskip(NEXT) | instid1(VALU_DEP_1)
	v_pk_mul_f32 v[66:67], v[50:51], v[48:49] op_sel:[0,1]
	v_pk_fma_f32 v[68:69], v[50:51], v[42:43], v[66:67] op_sel:[0,0,1] op_sel_hi:[1,1,0] neg_lo:[0,0,1] neg_hi:[0,0,1]
	v_pk_fma_f32 v[50:51], v[50:51], v[42:43], v[66:67] op_sel:[0,0,1] op_sel_hi:[1,0,0]
	s_delay_alu instid0(VALU_DEP_1) | instskip(SKIP_1) | instid1(VALU_DEP_1)
	v_mov_b32_e32 v69, v51
	v_pk_mul_f32 v[50:51], v[52:53], v[48:49] op_sel:[0,1]
	v_pk_fma_f32 v[66:67], v[52:53], v[42:43], v[50:51] op_sel:[0,0,1] op_sel_hi:[1,1,0] neg_lo:[0,0,1] neg_hi:[0,0,1]
	v_pk_fma_f32 v[50:51], v[52:53], v[42:43], v[50:51] op_sel:[0,0,1] op_sel_hi:[1,0,0]
	s_delay_alu instid0(VALU_DEP_1)
	v_mov_b32_e32 v67, v51
	ds_load_2addr_b64 v[50:53], v154 offset0:31 offset1:32
	v_pk_add_f32 v[126:127], v[126:127], v[68:69] neg_lo:[0,1] neg_hi:[0,1]
	v_pk_add_f32 v[128:129], v[128:129], v[66:67] neg_lo:[0,1] neg_hi:[0,1]
	s_wait_dscnt 0x0
	v_pk_mul_f32 v[66:67], v[50:51], v[48:49] op_sel:[0,1]
	s_delay_alu instid0(VALU_DEP_1) | instskip(SKIP_2) | instid1(VALU_DEP_2)
	v_pk_fma_f32 v[68:69], v[50:51], v[42:43], v[66:67] op_sel:[0,0,1] op_sel_hi:[1,1,0] neg_lo:[0,0,1] neg_hi:[0,0,1]
	v_pk_fma_f32 v[50:51], v[50:51], v[42:43], v[66:67] op_sel:[0,0,1] op_sel_hi:[1,0,0]
	v_dual_mul_f32 v66, v53, v49 :: v_dual_mov_b32 v50, v53
	v_dual_mov_b32 v69, v51 :: v_dual_mov_b32 v51, v52
	s_delay_alu instid0(VALU_DEP_2) | instskip(SKIP_1) | instid1(VALU_DEP_3)
	v_pk_fma_f32 v[66:67], v[52:53], v[130:131], v[66:67] op_sel_hi:[1,1,0] neg_lo:[0,0,1] neg_hi:[0,0,1]
	v_mul_f32_e32 v52, v53, v42
	v_pk_add_f32 v[124:125], v[124:125], v[68:69] neg_lo:[0,1] neg_hi:[0,1]
	s_delay_alu instid0(VALU_DEP_2) | instskip(NEXT) | instid1(VALU_DEP_1)
	v_pk_fma_f32 v[50:51], v[50:51], v[130:131], v[52:53] op_sel_hi:[1,1,0]
	v_mov_b32_e32 v67, v51
	ds_load_2addr_b64 v[50:53], v154 offset0:33 offset1:34
	v_pk_add_f32 v[146:147], v[146:147], v[66:67] neg_lo:[0,1] neg_hi:[0,1]
	s_wait_dscnt 0x0
	v_pk_mul_f32 v[66:67], v[50:51], v[48:49] op_sel:[0,1]
	s_delay_alu instid0(VALU_DEP_1) | instskip(SKIP_1) | instid1(VALU_DEP_1)
	v_pk_fma_f32 v[68:69], v[50:51], v[42:43], v[66:67] op_sel:[0,0,1] op_sel_hi:[1,1,0] neg_lo:[0,0,1] neg_hi:[0,0,1]
	v_pk_fma_f32 v[50:51], v[50:51], v[42:43], v[66:67] op_sel:[0,0,1] op_sel_hi:[1,0,0]
	v_mov_b32_e32 v69, v51
	v_pk_mul_f32 v[50:51], v[52:53], v[48:49] op_sel:[0,1]
	s_delay_alu instid0(VALU_DEP_1) | instskip(SKIP_1) | instid1(VALU_DEP_1)
	v_pk_fma_f32 v[66:67], v[52:53], v[42:43], v[50:51] op_sel:[0,0,1] op_sel_hi:[1,1,0] neg_lo:[0,0,1] neg_hi:[0,0,1]
	v_pk_fma_f32 v[50:51], v[52:53], v[42:43], v[50:51] op_sel:[0,0,1] op_sel_hi:[1,0,0]
	v_mov_b32_e32 v67, v51
	ds_load_2addr_b64 v[50:53], v154 offset0:35 offset1:36
	v_pk_add_f32 v[142:143], v[142:143], v[68:69] neg_lo:[0,1] neg_hi:[0,1]
	v_pk_add_f32 v[144:145], v[144:145], v[66:67] neg_lo:[0,1] neg_hi:[0,1]
	s_wait_dscnt 0x0
	v_pk_mul_f32 v[66:67], v[50:51], v[48:49] op_sel:[0,1]
	s_delay_alu instid0(VALU_DEP_1) | instskip(SKIP_1) | instid1(VALU_DEP_1)
	v_pk_fma_f32 v[68:69], v[50:51], v[42:43], v[66:67] op_sel:[0,0,1] op_sel_hi:[1,1,0] neg_lo:[0,0,1] neg_hi:[0,0,1]
	v_pk_fma_f32 v[50:51], v[50:51], v[42:43], v[66:67] op_sel:[0,0,1] op_sel_hi:[1,0,0]
	v_mov_b32_e32 v69, v51
	v_pk_mul_f32 v[50:51], v[52:53], v[48:49] op_sel:[0,1]
	s_delay_alu instid0(VALU_DEP_1) | instskip(SKIP_1) | instid1(VALU_DEP_1)
	v_pk_fma_f32 v[66:67], v[52:53], v[42:43], v[50:51] op_sel:[0,0,1] op_sel_hi:[1,1,0] neg_lo:[0,0,1] neg_hi:[0,0,1]
	v_pk_fma_f32 v[50:51], v[52:53], v[42:43], v[50:51] op_sel:[0,0,1] op_sel_hi:[1,0,0]
	v_mov_b32_e32 v67, v51
	ds_load_2addr_b64 v[50:53], v154 offset0:37 offset1:38
	v_pk_add_f32 v[140:141], v[140:141], v[68:69] neg_lo:[0,1] neg_hi:[0,1]
	v_pk_add_f32 v[162:163], v[162:163], v[66:67] neg_lo:[0,1] neg_hi:[0,1]
	s_wait_dscnt 0x0
	v_dual_mul_f32 v66, v51, v49 :: v_dual_mul_f32 v68, v51, v42
	s_delay_alu instid0(VALU_DEP_1) | instskip(NEXT) | instid1(VALU_DEP_2)
	v_pk_fma_f32 v[66:67], v[50:51], v[130:131], v[66:67] op_sel_hi:[1,1,0] neg_lo:[0,0,1] neg_hi:[0,0,1]
	v_pk_fma_f32 v[50:51], v[50:51], v[130:131], v[68:69] op_sel:[1,0,0] op_sel_hi:[0,1,0]
	s_delay_alu instid0(VALU_DEP_1) | instskip(SKIP_1) | instid1(VALU_DEP_2)
	v_mov_b32_e32 v67, v51
	v_pk_mul_f32 v[50:51], v[52:53], v[48:49] op_sel:[0,1]
	v_pk_add_f32 v[158:159], v[158:159], v[66:67] neg_lo:[0,1] neg_hi:[0,1]
	s_delay_alu instid0(VALU_DEP_2) | instskip(SKIP_1) | instid1(VALU_DEP_1)
	v_pk_fma_f32 v[66:67], v[52:53], v[42:43], v[50:51] op_sel:[0,0,1] op_sel_hi:[1,1,0] neg_lo:[0,0,1] neg_hi:[0,0,1]
	v_pk_fma_f32 v[50:51], v[52:53], v[42:43], v[50:51] op_sel:[0,0,1] op_sel_hi:[1,0,0]
	v_mov_b32_e32 v67, v51
	ds_load_2addr_b64 v[50:53], v154 offset0:39 offset1:40
	v_pk_add_f32 v[160:161], v[160:161], v[66:67] neg_lo:[0,1] neg_hi:[0,1]
	s_wait_dscnt 0x0
	v_pk_mul_f32 v[66:67], v[50:51], v[48:49] op_sel:[0,1]
	s_delay_alu instid0(VALU_DEP_1) | instskip(SKIP_1) | instid1(VALU_DEP_1)
	v_pk_fma_f32 v[68:69], v[50:51], v[42:43], v[66:67] op_sel:[0,0,1] op_sel_hi:[1,1,0] neg_lo:[0,0,1] neg_hi:[0,0,1]
	v_pk_fma_f32 v[50:51], v[50:51], v[42:43], v[66:67] op_sel:[0,0,1] op_sel_hi:[1,0,0]
	v_mov_b32_e32 v69, v51
	v_pk_mul_f32 v[50:51], v[52:53], v[48:49] op_sel:[0,1]
	s_delay_alu instid0(VALU_DEP_2) | instskip(NEXT) | instid1(VALU_DEP_2)
	v_pk_add_f32 v[156:157], v[156:157], v[68:69] neg_lo:[0,1] neg_hi:[0,1]
	v_pk_fma_f32 v[66:67], v[52:53], v[42:43], v[50:51] op_sel:[0,0,1] op_sel_hi:[1,1,0] neg_lo:[0,0,1] neg_hi:[0,0,1]
	v_pk_fma_f32 v[50:51], v[52:53], v[42:43], v[50:51] op_sel:[0,0,1] op_sel_hi:[1,0,0]
	s_delay_alu instid0(VALU_DEP_1) | instskip(SKIP_4) | instid1(VALU_DEP_1)
	v_mov_b32_e32 v67, v51
	ds_load_2addr_b64 v[50:53], v154 offset0:41 offset1:42
	v_pk_add_f32 v[178:179], v[178:179], v[66:67] neg_lo:[0,1] neg_hi:[0,1]
	s_wait_dscnt 0x0
	v_pk_mul_f32 v[66:67], v[50:51], v[48:49] op_sel:[0,1]
	v_pk_fma_f32 v[68:69], v[50:51], v[42:43], v[66:67] op_sel:[0,0,1] op_sel_hi:[1,1,0] neg_lo:[0,0,1] neg_hi:[0,0,1]
	v_pk_fma_f32 v[50:51], v[50:51], v[42:43], v[66:67] op_sel:[0,0,1] op_sel_hi:[1,0,0]
	v_dual_mul_f32 v66, v53, v49 :: v_dual_mov_b32 v50, v53
	s_delay_alu instid0(VALU_DEP_2) | instskip(NEXT) | instid1(VALU_DEP_2)
	v_dual_mov_b32 v69, v51 :: v_dual_mov_b32 v51, v52
	v_pk_fma_f32 v[66:67], v[52:53], v[130:131], v[66:67] op_sel_hi:[1,1,0] neg_lo:[0,0,1] neg_hi:[0,0,1]
	v_mul_f32_e32 v52, v53, v42
	s_delay_alu instid0(VALU_DEP_3) | instskip(NEXT) | instid1(VALU_DEP_2)
	v_pk_add_f32 v[174:175], v[174:175], v[68:69] neg_lo:[0,1] neg_hi:[0,1]
	v_pk_fma_f32 v[50:51], v[50:51], v[130:131], v[52:53] op_sel_hi:[1,1,0]
	s_delay_alu instid0(VALU_DEP_1) | instskip(SKIP_4) | instid1(VALU_DEP_1)
	v_mov_b32_e32 v67, v51
	ds_load_2addr_b64 v[50:53], v154 offset0:43 offset1:44
	v_pk_add_f32 v[176:177], v[176:177], v[66:67] neg_lo:[0,1] neg_hi:[0,1]
	s_wait_dscnt 0x0
	v_pk_mul_f32 v[66:67], v[50:51], v[48:49] op_sel:[0,1]
	v_pk_fma_f32 v[68:69], v[50:51], v[42:43], v[66:67] op_sel:[0,0,1] op_sel_hi:[1,1,0] neg_lo:[0,0,1] neg_hi:[0,0,1]
	v_pk_fma_f32 v[50:51], v[50:51], v[42:43], v[66:67] op_sel:[0,0,1] op_sel_hi:[1,0,0]
	s_delay_alu instid0(VALU_DEP_1) | instskip(SKIP_1) | instid1(VALU_DEP_1)
	v_mov_b32_e32 v69, v51
	v_pk_mul_f32 v[50:51], v[52:53], v[48:49] op_sel:[0,1]
	v_pk_fma_f32 v[66:67], v[52:53], v[42:43], v[50:51] op_sel:[0,0,1] op_sel_hi:[1,1,0] neg_lo:[0,0,1] neg_hi:[0,0,1]
	v_pk_fma_f32 v[50:51], v[52:53], v[42:43], v[50:51] op_sel:[0,0,1] op_sel_hi:[1,0,0]
	s_delay_alu instid0(VALU_DEP_1)
	v_mov_b32_e32 v67, v51
	ds_load_2addr_b64 v[50:53], v154 offset0:45 offset1:46
	v_pk_add_f32 v[172:173], v[172:173], v[68:69] neg_lo:[0,1] neg_hi:[0,1]
	v_pk_add_f32 v[196:197], v[196:197], v[66:67] neg_lo:[0,1] neg_hi:[0,1]
	s_wait_dscnt 0x0
	v_pk_mul_f32 v[66:67], v[50:51], v[48:49] op_sel:[0,1]
	s_delay_alu instid0(VALU_DEP_1) | instskip(SKIP_1) | instid1(VALU_DEP_1)
	v_pk_fma_f32 v[68:69], v[50:51], v[42:43], v[66:67] op_sel:[0,0,1] op_sel_hi:[1,1,0] neg_lo:[0,0,1] neg_hi:[0,0,1]
	v_pk_fma_f32 v[50:51], v[50:51], v[42:43], v[66:67] op_sel:[0,0,1] op_sel_hi:[1,0,0]
	v_mov_b32_e32 v69, v51
	v_pk_mul_f32 v[50:51], v[52:53], v[48:49] op_sel:[0,1]
	s_delay_alu instid0(VALU_DEP_1) | instskip(SKIP_1) | instid1(VALU_DEP_1)
	v_pk_fma_f32 v[66:67], v[52:53], v[42:43], v[50:51] op_sel:[0,0,1] op_sel_hi:[1,1,0] neg_lo:[0,0,1] neg_hi:[0,0,1]
	v_pk_fma_f32 v[50:51], v[52:53], v[42:43], v[50:51] op_sel:[0,0,1] op_sel_hi:[1,0,0]
	v_mov_b32_e32 v67, v51
	ds_load_2addr_b64 v[50:53], v154 offset0:47 offset1:48
	v_pk_add_f32 v[192:193], v[192:193], v[68:69] neg_lo:[0,1] neg_hi:[0,1]
	v_pk_add_f32 v[194:195], v[194:195], v[66:67] neg_lo:[0,1] neg_hi:[0,1]
	s_wait_dscnt 0x0
	v_dual_mul_f32 v66, v51, v49 :: v_dual_mul_f32 v68, v51, v42
	s_delay_alu instid0(VALU_DEP_1) | instskip(NEXT) | instid1(VALU_DEP_2)
	v_pk_fma_f32 v[66:67], v[50:51], v[130:131], v[66:67] op_sel_hi:[1,1,0] neg_lo:[0,0,1] neg_hi:[0,0,1]
	v_pk_fma_f32 v[50:51], v[50:51], v[130:131], v[68:69] op_sel:[1,0,0] op_sel_hi:[0,1,0]
	s_delay_alu instid0(VALU_DEP_1) | instskip(SKIP_1) | instid1(VALU_DEP_2)
	v_mov_b32_e32 v67, v51
	v_pk_mul_f32 v[50:51], v[52:53], v[48:49] op_sel:[0,1]
	v_pk_add_f32 v[190:191], v[190:191], v[66:67] neg_lo:[0,1] neg_hi:[0,1]
	s_delay_alu instid0(VALU_DEP_2) | instskip(SKIP_1) | instid1(VALU_DEP_1)
	v_pk_fma_f32 v[66:67], v[52:53], v[42:43], v[50:51] op_sel:[0,0,1] op_sel_hi:[1,1,0] neg_lo:[0,0,1] neg_hi:[0,0,1]
	v_pk_fma_f32 v[50:51], v[52:53], v[42:43], v[50:51] op_sel:[0,0,1] op_sel_hi:[1,0,0]
	v_mov_b32_e32 v67, v51
	ds_load_2addr_b64 v[50:53], v154 offset0:49 offset1:50
	v_pk_add_f32 v[216:217], v[216:217], v[66:67] neg_lo:[0,1] neg_hi:[0,1]
	s_wait_dscnt 0x0
	v_pk_mul_f32 v[66:67], v[50:51], v[48:49] op_sel:[0,1]
	s_delay_alu instid0(VALU_DEP_1) | instskip(SKIP_1) | instid1(VALU_DEP_1)
	v_pk_fma_f32 v[68:69], v[50:51], v[42:43], v[66:67] op_sel:[0,0,1] op_sel_hi:[1,1,0] neg_lo:[0,0,1] neg_hi:[0,0,1]
	v_pk_fma_f32 v[50:51], v[50:51], v[42:43], v[66:67] op_sel:[0,0,1] op_sel_hi:[1,0,0]
	v_mov_b32_e32 v69, v51
	v_pk_mul_f32 v[50:51], v[52:53], v[48:49] op_sel:[0,1]
	s_delay_alu instid0(VALU_DEP_2) | instskip(NEXT) | instid1(VALU_DEP_2)
	v_pk_add_f32 v[210:211], v[210:211], v[68:69] neg_lo:[0,1] neg_hi:[0,1]
	v_pk_fma_f32 v[66:67], v[52:53], v[42:43], v[50:51] op_sel:[0,0,1] op_sel_hi:[1,1,0] neg_lo:[0,0,1] neg_hi:[0,0,1]
	v_pk_fma_f32 v[50:51], v[52:53], v[42:43], v[50:51] op_sel:[0,0,1] op_sel_hi:[1,0,0]
	s_delay_alu instid0(VALU_DEP_1) | instskip(SKIP_4) | instid1(VALU_DEP_1)
	v_mov_b32_e32 v67, v51
	ds_load_2addr_b64 v[50:53], v154 offset0:51 offset1:52
	v_pk_add_f32 v[214:215], v[214:215], v[66:67] neg_lo:[0,1] neg_hi:[0,1]
	s_wait_dscnt 0x0
	v_pk_mul_f32 v[66:67], v[50:51], v[48:49] op_sel:[0,1]
	v_pk_fma_f32 v[68:69], v[50:51], v[42:43], v[66:67] op_sel:[0,0,1] op_sel_hi:[1,1,0] neg_lo:[0,0,1] neg_hi:[0,0,1]
	v_pk_fma_f32 v[50:51], v[50:51], v[42:43], v[66:67] op_sel:[0,0,1] op_sel_hi:[1,0,0]
	v_dual_mul_f32 v66, v53, v49 :: v_dual_mov_b32 v50, v53
	s_delay_alu instid0(VALU_DEP_2) | instskip(NEXT) | instid1(VALU_DEP_2)
	v_dual_mov_b32 v69, v51 :: v_dual_mov_b32 v51, v52
	v_pk_fma_f32 v[66:67], v[52:53], v[130:131], v[66:67] op_sel_hi:[1,1,0] neg_lo:[0,0,1] neg_hi:[0,0,1]
	v_mul_f32_e32 v52, v53, v42
	s_delay_alu instid0(VALU_DEP_3) | instskip(NEXT) | instid1(VALU_DEP_2)
	v_pk_add_f32 v[208:209], v[208:209], v[68:69] neg_lo:[0,1] neg_hi:[0,1]
	v_pk_fma_f32 v[50:51], v[50:51], v[130:131], v[52:53] op_sel_hi:[1,1,0]
	s_delay_alu instid0(VALU_DEP_1)
	v_mov_b32_e32 v67, v51
	ds_load_2addr_b64 v[50:53], v154 offset0:53 offset1:54
	v_pk_add_f32 v[212:213], v[212:213], v[66:67] neg_lo:[0,1] neg_hi:[0,1]
	s_wait_dscnt 0x0
	v_pk_mul_f32 v[66:67], v[50:51], v[48:49] op_sel:[0,1]
	v_pk_mul_f32 v[48:49], v[52:53], v[48:49] op_sel:[0,1]
	s_delay_alu instid0(VALU_DEP_2) | instskip(SKIP_1) | instid1(VALU_DEP_1)
	v_pk_fma_f32 v[68:69], v[50:51], v[42:43], v[66:67] op_sel:[0,0,1] op_sel_hi:[1,1,0] neg_lo:[0,0,1] neg_hi:[0,0,1]
	v_pk_fma_f32 v[50:51], v[50:51], v[42:43], v[66:67] op_sel:[0,0,1] op_sel_hi:[1,0,0]
	v_mov_b32_e32 v69, v51
	s_delay_alu instid0(VALU_DEP_4) | instskip(SKIP_1) | instid1(VALU_DEP_1)
	v_pk_fma_f32 v[50:51], v[52:53], v[42:43], v[48:49] op_sel:[0,0,1] op_sel_hi:[1,1,0] neg_lo:[0,0,1] neg_hi:[0,0,1]
	v_pk_fma_f32 v[42:43], v[52:53], v[42:43], v[48:49] op_sel:[0,0,1] op_sel_hi:[1,0,0]
	v_mov_b32_e32 v51, v43
	s_delay_alu instid0(VALU_DEP_4) | instskip(NEXT) | instid1(VALU_DEP_2)
	v_pk_add_f32 v[218:219], v[218:219], v[68:69] neg_lo:[0,1] neg_hi:[0,1]
	v_pk_add_f32 v[220:221], v[220:221], v[50:51] neg_lo:[0,1] neg_hi:[0,1]
.LBB109_262:
	s_or_b32 exec_lo, exec_lo, s1
	s_delay_alu instid0(SALU_CYCLE_1)
	s_mov_b32 s2, exec_lo
	s_wait_dscnt 0x0
	s_barrier_signal -1
	s_barrier_wait -1
	v_cmpx_eq_u32_e32 29, v152
	s_cbranch_execz .LBB109_269
; %bb.263:
	v_dual_mov_b32 v42, v128 :: v_dual_mov_b32 v43, v129
	v_dual_mov_b32 v48, v124 :: v_dual_mov_b32 v49, v125
	ds_store_b64 v153, v[126:127]
	ds_store_2addr_b64 v154, v[42:43], v[48:49] offset0:30 offset1:31
	v_dual_mov_b32 v42, v146 :: v_dual_mov_b32 v43, v147
	v_dual_mov_b32 v48, v142 :: v_dual_mov_b32 v49, v143
	ds_store_2addr_b64 v154, v[42:43], v[48:49] offset0:32 offset1:33
	v_dual_mov_b32 v42, v144 :: v_dual_mov_b32 v43, v145
	v_dual_mov_b32 v48, v140 :: v_dual_mov_b32 v49, v141
	;; [unrolled: 3-line block ×11, first 2 shown]
	ds_store_2addr_b64 v154, v[42:43], v[48:49] offset0:52 offset1:53
	ds_store_b64 v154, v[220:221] offset:432
	ds_load_b64 v[42:43], v153
	s_wait_dscnt 0x0
	v_cmp_neq_f32_e32 vcc_lo, 0, v42
	v_cmp_neq_f32_e64 s1, 0, v43
	s_or_b32 s1, vcc_lo, s1
	s_delay_alu instid0(SALU_CYCLE_1)
	s_and_b32 exec_lo, exec_lo, s1
	s_cbranch_execz .LBB109_269
; %bb.264:
	v_cmp_ngt_f32_e64 s1, |v42|, |v43|
                                        ; implicit-def: $vgpr48_vgpr49
	s_and_saveexec_b32 s4, s1
	s_delay_alu instid0(SALU_CYCLE_1)
	s_xor_b32 s1, exec_lo, s4
	s_cbranch_execz .LBB109_266
; %bb.265:
	v_div_scale_f32 v48, null, v43, v43, v42
	v_div_scale_f32 v51, vcc_lo, v42, v43, v42
	s_delay_alu instid0(VALU_DEP_2) | instskip(SKIP_1) | instid1(TRANS32_DEP_1)
	v_rcp_f32_e32 v49, v48
	v_nop
	v_fma_f32 v50, -v48, v49, 1.0
	s_delay_alu instid0(VALU_DEP_1) | instskip(NEXT) | instid1(VALU_DEP_1)
	v_fmac_f32_e32 v49, v50, v49
	v_mul_f32_e32 v50, v51, v49
	s_delay_alu instid0(VALU_DEP_1) | instskip(NEXT) | instid1(VALU_DEP_1)
	v_fma_f32 v52, -v48, v50, v51
	v_fmac_f32_e32 v50, v52, v49
	s_delay_alu instid0(VALU_DEP_1) | instskip(NEXT) | instid1(VALU_DEP_1)
	v_fma_f32 v48, -v48, v50, v51
	v_div_fmas_f32 v48, v48, v49, v50
	s_delay_alu instid0(VALU_DEP_1) | instskip(NEXT) | instid1(VALU_DEP_1)
	v_div_fixup_f32 v48, v48, v43, v42
	v_fmac_f32_e32 v43, v42, v48
	s_delay_alu instid0(VALU_DEP_1) | instskip(SKIP_1) | instid1(VALU_DEP_2)
	v_div_scale_f32 v42, null, v43, v43, 1.0
	v_div_scale_f32 v51, vcc_lo, 1.0, v43, 1.0
	v_rcp_f32_e32 v49, v42
	v_nop
	s_delay_alu instid0(TRANS32_DEP_1) | instskip(NEXT) | instid1(VALU_DEP_1)
	v_fma_f32 v50, -v42, v49, 1.0
	v_fmac_f32_e32 v49, v50, v49
	s_delay_alu instid0(VALU_DEP_1) | instskip(NEXT) | instid1(VALU_DEP_1)
	v_mul_f32_e32 v50, v51, v49
	v_fma_f32 v52, -v42, v50, v51
	s_delay_alu instid0(VALU_DEP_1) | instskip(NEXT) | instid1(VALU_DEP_1)
	v_fmac_f32_e32 v50, v52, v49
	v_fma_f32 v42, -v42, v50, v51
	s_delay_alu instid0(VALU_DEP_1) | instskip(NEXT) | instid1(VALU_DEP_1)
	v_div_fmas_f32 v42, v42, v49, v50
	v_div_fixup_f32 v42, v42, v43, 1.0
	s_delay_alu instid0(VALU_DEP_1)
	v_mul_f32_e32 v48, v48, v42
	v_xor_b32_e32 v49, 0x80000000, v42
                                        ; implicit-def: $vgpr42_vgpr43
.LBB109_266:
	s_and_not1_saveexec_b32 s1, s1
	s_cbranch_execz .LBB109_268
; %bb.267:
	v_div_scale_f32 v48, null, v42, v42, v43
	v_div_scale_f32 v51, vcc_lo, v43, v42, v43
	s_delay_alu instid0(VALU_DEP_2) | instskip(SKIP_1) | instid1(TRANS32_DEP_1)
	v_rcp_f32_e32 v49, v48
	v_nop
	v_fma_f32 v50, -v48, v49, 1.0
	s_delay_alu instid0(VALU_DEP_1) | instskip(NEXT) | instid1(VALU_DEP_1)
	v_fmac_f32_e32 v49, v50, v49
	v_mul_f32_e32 v50, v51, v49
	s_delay_alu instid0(VALU_DEP_1) | instskip(NEXT) | instid1(VALU_DEP_1)
	v_fma_f32 v52, -v48, v50, v51
	v_fmac_f32_e32 v50, v52, v49
	s_delay_alu instid0(VALU_DEP_1) | instskip(NEXT) | instid1(VALU_DEP_1)
	v_fma_f32 v48, -v48, v50, v51
	v_div_fmas_f32 v48, v48, v49, v50
	s_delay_alu instid0(VALU_DEP_1) | instskip(NEXT) | instid1(VALU_DEP_1)
	v_div_fixup_f32 v49, v48, v42, v43
	v_fmac_f32_e32 v42, v43, v49
	s_delay_alu instid0(VALU_DEP_1) | instskip(NEXT) | instid1(VALU_DEP_1)
	v_div_scale_f32 v43, null, v42, v42, 1.0
	v_rcp_f32_e32 v48, v43
	v_nop
	s_delay_alu instid0(TRANS32_DEP_1) | instskip(NEXT) | instid1(VALU_DEP_1)
	v_fma_f32 v50, -v43, v48, 1.0
	v_fmac_f32_e32 v48, v50, v48
	v_div_scale_f32 v50, vcc_lo, 1.0, v42, 1.0
	s_delay_alu instid0(VALU_DEP_1) | instskip(NEXT) | instid1(VALU_DEP_1)
	v_mul_f32_e32 v51, v50, v48
	v_fma_f32 v52, -v43, v51, v50
	s_delay_alu instid0(VALU_DEP_1) | instskip(NEXT) | instid1(VALU_DEP_1)
	v_fmac_f32_e32 v51, v52, v48
	v_fma_f32 v43, -v43, v51, v50
	s_delay_alu instid0(VALU_DEP_1) | instskip(NEXT) | instid1(VALU_DEP_1)
	v_div_fmas_f32 v43, v43, v48, v51
	v_div_fixup_f32 v48, v43, v42, 1.0
	s_delay_alu instid0(VALU_DEP_1)
	v_mul_f32_e64 v49, v49, -v48
.LBB109_268:
	s_or_b32 exec_lo, exec_lo, s1
	ds_store_b64 v153, v[48:49]
.LBB109_269:
	s_or_b32 exec_lo, exec_lo, s2
	s_wait_dscnt 0x0
	s_barrier_signal -1
	s_barrier_wait -1
	ds_load_b64 v[42:43], v153
	s_mov_b32 s1, exec_lo
	v_cmpx_lt_u32_e32 29, v152
	s_cbranch_execz .LBB109_271
; %bb.270:
	ds_load_2addr_b64 v[66:69], v154 offset0:30 offset1:31
	s_wait_dscnt 0x1
	v_pk_mul_f32 v[50:51], v[42:43], v[126:127] op_sel:[1,1] op_sel_hi:[0,1]
	s_delay_alu instid0(VALU_DEP_1) | instskip(SKIP_1) | instid1(VALU_DEP_1)
	v_pk_fma_f32 v[48:49], v[42:43], v[126:127], v[50:51] op_sel_hi:[1,0,1] neg_lo:[0,0,1] neg_hi:[0,0,1]
	v_pk_fma_f32 v[50:51], v[42:43], v[126:127], v[50:51] op_sel_hi:[1,0,1]
	v_dual_mov_b32 v126, v48 :: v_dual_mov_b32 v127, v51
	s_wait_dscnt 0x0
	s_delay_alu instid0(VALU_DEP_2) | instskip(NEXT) | instid1(VALU_DEP_1)
	v_pk_mul_f32 v[52:53], v[66:67], v[50:51] op_sel:[0,1]
	v_pk_fma_f32 v[70:71], v[66:67], v[48:49], v[52:53] op_sel:[0,0,1] op_sel_hi:[1,1,0] neg_lo:[0,0,1] neg_hi:[0,0,1]
	v_pk_fma_f32 v[52:53], v[66:67], v[48:49], v[52:53] op_sel:[0,0,1] op_sel_hi:[1,0,0]
	s_delay_alu instid0(VALU_DEP_1) | instskip(SKIP_1) | instid1(VALU_DEP_1)
	v_mov_b32_e32 v71, v53
	v_pk_mul_f32 v[52:53], v[68:69], v[50:51] op_sel:[0,1]
	v_pk_fma_f32 v[66:67], v[68:69], v[48:49], v[52:53] op_sel:[0,0,1] op_sel_hi:[1,1,0] neg_lo:[0,0,1] neg_hi:[0,0,1]
	v_pk_fma_f32 v[52:53], v[68:69], v[48:49], v[52:53] op_sel:[0,0,1] op_sel_hi:[1,0,0]
	s_delay_alu instid0(VALU_DEP_1) | instskip(SKIP_1) | instid1(VALU_DEP_2)
	v_mov_b32_e32 v67, v53
	v_pk_add_f32 v[128:129], v[128:129], v[70:71] neg_lo:[0,1] neg_hi:[0,1]
	v_pk_add_f32 v[124:125], v[124:125], v[66:67] neg_lo:[0,1] neg_hi:[0,1]
	ds_load_2addr_b64 v[66:69], v154 offset0:32 offset1:33
	s_wait_dscnt 0x0
	v_pk_mul_f32 v[52:53], v[66:67], v[50:51] op_sel:[0,1]
	s_delay_alu instid0(VALU_DEP_1) | instskip(SKIP_2) | instid1(VALU_DEP_2)
	v_pk_fma_f32 v[70:71], v[66:67], v[48:49], v[52:53] op_sel:[0,0,1] op_sel_hi:[1,1,0] neg_lo:[0,0,1] neg_hi:[0,0,1]
	v_pk_fma_f32 v[52:53], v[66:67], v[48:49], v[52:53] op_sel:[0,0,1] op_sel_hi:[1,0,0]
	v_dual_mul_f32 v66, v69, v51 :: v_dual_mov_b32 v52, v69
	v_dual_mov_b32 v71, v53 :: v_dual_mov_b32 v53, v68
	s_delay_alu instid0(VALU_DEP_2) | instskip(SKIP_1) | instid1(VALU_DEP_3)
	v_pk_fma_f32 v[66:67], v[68:69], v[126:127], v[66:67] op_sel_hi:[1,1,0] neg_lo:[0,0,1] neg_hi:[0,0,1]
	v_mul_f32_e32 v68, v69, v48
	v_pk_add_f32 v[146:147], v[146:147], v[70:71] neg_lo:[0,1] neg_hi:[0,1]
	s_delay_alu instid0(VALU_DEP_2) | instskip(NEXT) | instid1(VALU_DEP_1)
	v_pk_fma_f32 v[52:53], v[52:53], v[126:127], v[68:69] op_sel_hi:[1,1,0]
	v_mov_b32_e32 v67, v53
	s_delay_alu instid0(VALU_DEP_1) | instskip(SKIP_3) | instid1(VALU_DEP_1)
	v_pk_add_f32 v[142:143], v[142:143], v[66:67] neg_lo:[0,1] neg_hi:[0,1]
	ds_load_2addr_b64 v[66:69], v154 offset0:34 offset1:35
	s_wait_dscnt 0x0
	v_pk_mul_f32 v[52:53], v[66:67], v[50:51] op_sel:[0,1]
	v_pk_fma_f32 v[70:71], v[66:67], v[48:49], v[52:53] op_sel:[0,0,1] op_sel_hi:[1,1,0] neg_lo:[0,0,1] neg_hi:[0,0,1]
	v_pk_fma_f32 v[52:53], v[66:67], v[48:49], v[52:53] op_sel:[0,0,1] op_sel_hi:[1,0,0]
	s_delay_alu instid0(VALU_DEP_1) | instskip(SKIP_1) | instid1(VALU_DEP_2)
	v_mov_b32_e32 v71, v53
	v_pk_mul_f32 v[52:53], v[68:69], v[50:51] op_sel:[0,1]
	v_pk_add_f32 v[144:145], v[144:145], v[70:71] neg_lo:[0,1] neg_hi:[0,1]
	s_delay_alu instid0(VALU_DEP_2) | instskip(SKIP_1) | instid1(VALU_DEP_1)
	v_pk_fma_f32 v[66:67], v[68:69], v[48:49], v[52:53] op_sel:[0,0,1] op_sel_hi:[1,1,0] neg_lo:[0,0,1] neg_hi:[0,0,1]
	v_pk_fma_f32 v[52:53], v[68:69], v[48:49], v[52:53] op_sel:[0,0,1] op_sel_hi:[1,0,0]
	v_mov_b32_e32 v67, v53
	s_delay_alu instid0(VALU_DEP_1) | instskip(SKIP_3) | instid1(VALU_DEP_1)
	v_pk_add_f32 v[140:141], v[140:141], v[66:67] neg_lo:[0,1] neg_hi:[0,1]
	ds_load_2addr_b64 v[66:69], v154 offset0:36 offset1:37
	s_wait_dscnt 0x0
	v_pk_mul_f32 v[52:53], v[66:67], v[50:51] op_sel:[0,1]
	v_pk_fma_f32 v[70:71], v[66:67], v[48:49], v[52:53] op_sel:[0,0,1] op_sel_hi:[1,1,0] neg_lo:[0,0,1] neg_hi:[0,0,1]
	v_pk_fma_f32 v[52:53], v[66:67], v[48:49], v[52:53] op_sel:[0,0,1] op_sel_hi:[1,0,0]
	s_delay_alu instid0(VALU_DEP_1) | instskip(SKIP_1) | instid1(VALU_DEP_2)
	v_mov_b32_e32 v71, v53
	v_pk_mul_f32 v[52:53], v[68:69], v[50:51] op_sel:[0,1]
	v_pk_add_f32 v[162:163], v[162:163], v[70:71] neg_lo:[0,1] neg_hi:[0,1]
	s_delay_alu instid0(VALU_DEP_2) | instskip(SKIP_1) | instid1(VALU_DEP_1)
	v_pk_fma_f32 v[66:67], v[68:69], v[48:49], v[52:53] op_sel:[0,0,1] op_sel_hi:[1,1,0] neg_lo:[0,0,1] neg_hi:[0,0,1]
	v_pk_fma_f32 v[52:53], v[68:69], v[48:49], v[52:53] op_sel:[0,0,1] op_sel_hi:[1,0,0]
	v_mov_b32_e32 v67, v53
	s_delay_alu instid0(VALU_DEP_1) | instskip(SKIP_3) | instid1(VALU_DEP_1)
	v_pk_add_f32 v[158:159], v[158:159], v[66:67] neg_lo:[0,1] neg_hi:[0,1]
	ds_load_2addr_b64 v[66:69], v154 offset0:38 offset1:39
	s_wait_dscnt 0x0
	v_dual_mul_f32 v52, v67, v51 :: v_dual_mul_f32 v70, v67, v48
	v_pk_fma_f32 v[52:53], v[66:67], v[126:127], v[52:53] op_sel_hi:[1,1,0] neg_lo:[0,0,1] neg_hi:[0,0,1]
	s_delay_alu instid0(VALU_DEP_2) | instskip(NEXT) | instid1(VALU_DEP_1)
	v_pk_fma_f32 v[66:67], v[66:67], v[126:127], v[70:71] op_sel:[1,0,0] op_sel_hi:[0,1,0]
	v_mov_b32_e32 v53, v67
	s_delay_alu instid0(VALU_DEP_1) | instskip(SKIP_1) | instid1(VALU_DEP_1)
	v_pk_add_f32 v[160:161], v[160:161], v[52:53] neg_lo:[0,1] neg_hi:[0,1]
	v_pk_mul_f32 v[52:53], v[68:69], v[50:51] op_sel:[0,1]
	v_pk_fma_f32 v[66:67], v[68:69], v[48:49], v[52:53] op_sel:[0,0,1] op_sel_hi:[1,1,0] neg_lo:[0,0,1] neg_hi:[0,0,1]
	v_pk_fma_f32 v[52:53], v[68:69], v[48:49], v[52:53] op_sel:[0,0,1] op_sel_hi:[1,0,0]
	s_delay_alu instid0(VALU_DEP_1) | instskip(NEXT) | instid1(VALU_DEP_1)
	v_mov_b32_e32 v67, v53
	v_pk_add_f32 v[156:157], v[156:157], v[66:67] neg_lo:[0,1] neg_hi:[0,1]
	ds_load_2addr_b64 v[66:69], v154 offset0:40 offset1:41
	s_wait_dscnt 0x0
	v_pk_mul_f32 v[52:53], v[66:67], v[50:51] op_sel:[0,1]
	s_delay_alu instid0(VALU_DEP_1) | instskip(SKIP_1) | instid1(VALU_DEP_1)
	v_pk_fma_f32 v[70:71], v[66:67], v[48:49], v[52:53] op_sel:[0,0,1] op_sel_hi:[1,1,0] neg_lo:[0,0,1] neg_hi:[0,0,1]
	v_pk_fma_f32 v[52:53], v[66:67], v[48:49], v[52:53] op_sel:[0,0,1] op_sel_hi:[1,0,0]
	v_mov_b32_e32 v71, v53
	v_pk_mul_f32 v[52:53], v[68:69], v[50:51] op_sel:[0,1]
	s_delay_alu instid0(VALU_DEP_2) | instskip(NEXT) | instid1(VALU_DEP_2)
	v_pk_add_f32 v[178:179], v[178:179], v[70:71] neg_lo:[0,1] neg_hi:[0,1]
	v_pk_fma_f32 v[66:67], v[68:69], v[48:49], v[52:53] op_sel:[0,0,1] op_sel_hi:[1,1,0] neg_lo:[0,0,1] neg_hi:[0,0,1]
	v_pk_fma_f32 v[52:53], v[68:69], v[48:49], v[52:53] op_sel:[0,0,1] op_sel_hi:[1,0,0]
	s_delay_alu instid0(VALU_DEP_1) | instskip(NEXT) | instid1(VALU_DEP_1)
	v_mov_b32_e32 v67, v53
	v_pk_add_f32 v[174:175], v[174:175], v[66:67] neg_lo:[0,1] neg_hi:[0,1]
	ds_load_2addr_b64 v[66:69], v154 offset0:42 offset1:43
	s_wait_dscnt 0x0
	v_pk_mul_f32 v[52:53], v[66:67], v[50:51] op_sel:[0,1]
	s_delay_alu instid0(VALU_DEP_1) | instskip(SKIP_2) | instid1(VALU_DEP_2)
	v_pk_fma_f32 v[70:71], v[66:67], v[48:49], v[52:53] op_sel:[0,0,1] op_sel_hi:[1,1,0] neg_lo:[0,0,1] neg_hi:[0,0,1]
	v_pk_fma_f32 v[52:53], v[66:67], v[48:49], v[52:53] op_sel:[0,0,1] op_sel_hi:[1,0,0]
	v_dual_mul_f32 v66, v69, v51 :: v_dual_mov_b32 v52, v69
	v_dual_mov_b32 v71, v53 :: v_dual_mov_b32 v53, v68
	s_delay_alu instid0(VALU_DEP_2) | instskip(SKIP_1) | instid1(VALU_DEP_3)
	v_pk_fma_f32 v[66:67], v[68:69], v[126:127], v[66:67] op_sel_hi:[1,1,0] neg_lo:[0,0,1] neg_hi:[0,0,1]
	v_mul_f32_e32 v68, v69, v48
	v_pk_add_f32 v[176:177], v[176:177], v[70:71] neg_lo:[0,1] neg_hi:[0,1]
	s_delay_alu instid0(VALU_DEP_2) | instskip(NEXT) | instid1(VALU_DEP_1)
	v_pk_fma_f32 v[52:53], v[52:53], v[126:127], v[68:69] op_sel_hi:[1,1,0]
	v_mov_b32_e32 v67, v53
	s_delay_alu instid0(VALU_DEP_1) | instskip(SKIP_3) | instid1(VALU_DEP_1)
	v_pk_add_f32 v[172:173], v[172:173], v[66:67] neg_lo:[0,1] neg_hi:[0,1]
	ds_load_2addr_b64 v[66:69], v154 offset0:44 offset1:45
	s_wait_dscnt 0x0
	v_pk_mul_f32 v[52:53], v[66:67], v[50:51] op_sel:[0,1]
	v_pk_fma_f32 v[70:71], v[66:67], v[48:49], v[52:53] op_sel:[0,0,1] op_sel_hi:[1,1,0] neg_lo:[0,0,1] neg_hi:[0,0,1]
	v_pk_fma_f32 v[52:53], v[66:67], v[48:49], v[52:53] op_sel:[0,0,1] op_sel_hi:[1,0,0]
	s_delay_alu instid0(VALU_DEP_1) | instskip(SKIP_1) | instid1(VALU_DEP_2)
	v_mov_b32_e32 v71, v53
	v_pk_mul_f32 v[52:53], v[68:69], v[50:51] op_sel:[0,1]
	v_pk_add_f32 v[196:197], v[196:197], v[70:71] neg_lo:[0,1] neg_hi:[0,1]
	s_delay_alu instid0(VALU_DEP_2) | instskip(SKIP_1) | instid1(VALU_DEP_1)
	v_pk_fma_f32 v[66:67], v[68:69], v[48:49], v[52:53] op_sel:[0,0,1] op_sel_hi:[1,1,0] neg_lo:[0,0,1] neg_hi:[0,0,1]
	v_pk_fma_f32 v[52:53], v[68:69], v[48:49], v[52:53] op_sel:[0,0,1] op_sel_hi:[1,0,0]
	v_mov_b32_e32 v67, v53
	s_delay_alu instid0(VALU_DEP_1) | instskip(SKIP_3) | instid1(VALU_DEP_1)
	v_pk_add_f32 v[192:193], v[192:193], v[66:67] neg_lo:[0,1] neg_hi:[0,1]
	ds_load_2addr_b64 v[66:69], v154 offset0:46 offset1:47
	s_wait_dscnt 0x0
	v_pk_mul_f32 v[52:53], v[66:67], v[50:51] op_sel:[0,1]
	v_pk_fma_f32 v[70:71], v[66:67], v[48:49], v[52:53] op_sel:[0,0,1] op_sel_hi:[1,1,0] neg_lo:[0,0,1] neg_hi:[0,0,1]
	v_pk_fma_f32 v[52:53], v[66:67], v[48:49], v[52:53] op_sel:[0,0,1] op_sel_hi:[1,0,0]
	s_delay_alu instid0(VALU_DEP_1) | instskip(SKIP_1) | instid1(VALU_DEP_2)
	v_mov_b32_e32 v71, v53
	v_pk_mul_f32 v[52:53], v[68:69], v[50:51] op_sel:[0,1]
	v_pk_add_f32 v[194:195], v[194:195], v[70:71] neg_lo:[0,1] neg_hi:[0,1]
	s_delay_alu instid0(VALU_DEP_2) | instskip(SKIP_1) | instid1(VALU_DEP_1)
	v_pk_fma_f32 v[66:67], v[68:69], v[48:49], v[52:53] op_sel:[0,0,1] op_sel_hi:[1,1,0] neg_lo:[0,0,1] neg_hi:[0,0,1]
	v_pk_fma_f32 v[52:53], v[68:69], v[48:49], v[52:53] op_sel:[0,0,1] op_sel_hi:[1,0,0]
	v_mov_b32_e32 v67, v53
	s_delay_alu instid0(VALU_DEP_1) | instskip(SKIP_3) | instid1(VALU_DEP_1)
	v_pk_add_f32 v[190:191], v[190:191], v[66:67] neg_lo:[0,1] neg_hi:[0,1]
	ds_load_2addr_b64 v[66:69], v154 offset0:48 offset1:49
	s_wait_dscnt 0x0
	v_dual_mul_f32 v52, v67, v51 :: v_dual_mul_f32 v70, v67, v48
	v_pk_fma_f32 v[52:53], v[66:67], v[126:127], v[52:53] op_sel_hi:[1,1,0] neg_lo:[0,0,1] neg_hi:[0,0,1]
	s_delay_alu instid0(VALU_DEP_2) | instskip(NEXT) | instid1(VALU_DEP_1)
	v_pk_fma_f32 v[66:67], v[66:67], v[126:127], v[70:71] op_sel:[1,0,0] op_sel_hi:[0,1,0]
	v_mov_b32_e32 v53, v67
	s_delay_alu instid0(VALU_DEP_1) | instskip(SKIP_1) | instid1(VALU_DEP_1)
	v_pk_add_f32 v[216:217], v[216:217], v[52:53] neg_lo:[0,1] neg_hi:[0,1]
	v_pk_mul_f32 v[52:53], v[68:69], v[50:51] op_sel:[0,1]
	v_pk_fma_f32 v[66:67], v[68:69], v[48:49], v[52:53] op_sel:[0,0,1] op_sel_hi:[1,1,0] neg_lo:[0,0,1] neg_hi:[0,0,1]
	v_pk_fma_f32 v[52:53], v[68:69], v[48:49], v[52:53] op_sel:[0,0,1] op_sel_hi:[1,0,0]
	s_delay_alu instid0(VALU_DEP_1) | instskip(NEXT) | instid1(VALU_DEP_1)
	v_mov_b32_e32 v67, v53
	v_pk_add_f32 v[210:211], v[210:211], v[66:67] neg_lo:[0,1] neg_hi:[0,1]
	ds_load_2addr_b64 v[66:69], v154 offset0:50 offset1:51
	s_wait_dscnt 0x0
	v_pk_mul_f32 v[52:53], v[66:67], v[50:51] op_sel:[0,1]
	s_delay_alu instid0(VALU_DEP_1) | instskip(SKIP_1) | instid1(VALU_DEP_1)
	v_pk_fma_f32 v[70:71], v[66:67], v[48:49], v[52:53] op_sel:[0,0,1] op_sel_hi:[1,1,0] neg_lo:[0,0,1] neg_hi:[0,0,1]
	v_pk_fma_f32 v[52:53], v[66:67], v[48:49], v[52:53] op_sel:[0,0,1] op_sel_hi:[1,0,0]
	v_mov_b32_e32 v71, v53
	v_pk_mul_f32 v[52:53], v[68:69], v[50:51] op_sel:[0,1]
	s_delay_alu instid0(VALU_DEP_2) | instskip(NEXT) | instid1(VALU_DEP_2)
	v_pk_add_f32 v[214:215], v[214:215], v[70:71] neg_lo:[0,1] neg_hi:[0,1]
	v_pk_fma_f32 v[66:67], v[68:69], v[48:49], v[52:53] op_sel:[0,0,1] op_sel_hi:[1,1,0] neg_lo:[0,0,1] neg_hi:[0,0,1]
	v_pk_fma_f32 v[52:53], v[68:69], v[48:49], v[52:53] op_sel:[0,0,1] op_sel_hi:[1,0,0]
	s_delay_alu instid0(VALU_DEP_1) | instskip(NEXT) | instid1(VALU_DEP_1)
	v_mov_b32_e32 v67, v53
	v_pk_add_f32 v[208:209], v[208:209], v[66:67] neg_lo:[0,1] neg_hi:[0,1]
	ds_load_2addr_b64 v[66:69], v154 offset0:52 offset1:53
	s_wait_dscnt 0x0
	v_pk_mul_f32 v[52:53], v[66:67], v[50:51] op_sel:[0,1]
	s_delay_alu instid0(VALU_DEP_1) | instskip(SKIP_2) | instid1(VALU_DEP_2)
	v_pk_fma_f32 v[70:71], v[66:67], v[48:49], v[52:53] op_sel:[0,0,1] op_sel_hi:[1,1,0] neg_lo:[0,0,1] neg_hi:[0,0,1]
	v_pk_fma_f32 v[52:53], v[66:67], v[48:49], v[52:53] op_sel:[0,0,1] op_sel_hi:[1,0,0]
	v_dual_mul_f32 v66, v69, v51 :: v_dual_mov_b32 v52, v69
	v_dual_mov_b32 v71, v53 :: v_dual_mov_b32 v53, v68
	s_delay_alu instid0(VALU_DEP_2) | instskip(SKIP_1) | instid1(VALU_DEP_3)
	v_pk_fma_f32 v[66:67], v[68:69], v[126:127], v[66:67] op_sel_hi:[1,1,0] neg_lo:[0,0,1] neg_hi:[0,0,1]
	v_mul_f32_e32 v68, v69, v48
	v_pk_add_f32 v[212:213], v[212:213], v[70:71] neg_lo:[0,1] neg_hi:[0,1]
	s_delay_alu instid0(VALU_DEP_2) | instskip(NEXT) | instid1(VALU_DEP_1)
	v_pk_fma_f32 v[52:53], v[52:53], v[126:127], v[68:69] op_sel_hi:[1,1,0]
	v_mov_b32_e32 v67, v53
	ds_load_b64 v[52:53], v154 offset:432
	v_pk_add_f32 v[218:219], v[218:219], v[66:67] neg_lo:[0,1] neg_hi:[0,1]
	s_wait_dscnt 0x0
	v_pk_mul_f32 v[50:51], v[52:53], v[50:51] op_sel:[0,1]
	s_delay_alu instid0(VALU_DEP_1) | instskip(SKIP_1) | instid1(VALU_DEP_1)
	v_pk_fma_f32 v[66:67], v[52:53], v[48:49], v[50:51] op_sel:[0,0,1] op_sel_hi:[1,1,0] neg_lo:[0,0,1] neg_hi:[0,0,1]
	v_pk_fma_f32 v[48:49], v[52:53], v[48:49], v[50:51] op_sel:[0,0,1] op_sel_hi:[1,0,0]
	v_mov_b32_e32 v67, v49
	s_delay_alu instid0(VALU_DEP_1)
	v_pk_add_f32 v[220:221], v[220:221], v[66:67] neg_lo:[0,1] neg_hi:[0,1]
.LBB109_271:
	s_or_b32 exec_lo, exec_lo, s1
	s_delay_alu instid0(SALU_CYCLE_1)
	s_mov_b32 s2, exec_lo
	s_wait_dscnt 0x0
	s_barrier_signal -1
	s_barrier_wait -1
	v_cmpx_eq_u32_e32 30, v152
	s_cbranch_execz .LBB109_278
; %bb.272:
	ds_store_b64 v153, v[128:129]
	ds_store_2addr_b64 v154, v[124:125], v[146:147] offset0:31 offset1:32
	ds_store_2addr_b64 v154, v[142:143], v[144:145] offset0:33 offset1:34
	;; [unrolled: 1-line block ×12, first 2 shown]
	ds_load_b64 v[48:49], v153
	s_wait_dscnt 0x0
	v_cmp_neq_f32_e32 vcc_lo, 0, v48
	v_cmp_neq_f32_e64 s1, 0, v49
	s_or_b32 s1, vcc_lo, s1
	s_delay_alu instid0(SALU_CYCLE_1)
	s_and_b32 exec_lo, exec_lo, s1
	s_cbranch_execz .LBB109_278
; %bb.273:
	v_cmp_ngt_f32_e64 s1, |v48|, |v49|
                                        ; implicit-def: $vgpr50_vgpr51
	s_and_saveexec_b32 s4, s1
	s_delay_alu instid0(SALU_CYCLE_1)
	s_xor_b32 s1, exec_lo, s4
	s_cbranch_execz .LBB109_275
; %bb.274:
	v_div_scale_f32 v50, null, v49, v49, v48
	v_div_scale_f32 v53, vcc_lo, v48, v49, v48
	s_delay_alu instid0(VALU_DEP_2) | instskip(SKIP_1) | instid1(TRANS32_DEP_1)
	v_rcp_f32_e32 v51, v50
	v_nop
	v_fma_f32 v52, -v50, v51, 1.0
	s_delay_alu instid0(VALU_DEP_1) | instskip(NEXT) | instid1(VALU_DEP_1)
	v_fmac_f32_e32 v51, v52, v51
	v_mul_f32_e32 v52, v53, v51
	s_delay_alu instid0(VALU_DEP_1) | instskip(NEXT) | instid1(VALU_DEP_1)
	v_fma_f32 v66, -v50, v52, v53
	v_fmac_f32_e32 v52, v66, v51
	s_delay_alu instid0(VALU_DEP_1) | instskip(NEXT) | instid1(VALU_DEP_1)
	v_fma_f32 v50, -v50, v52, v53
	v_div_fmas_f32 v50, v50, v51, v52
	s_delay_alu instid0(VALU_DEP_1) | instskip(NEXT) | instid1(VALU_DEP_1)
	v_div_fixup_f32 v50, v50, v49, v48
	v_fmac_f32_e32 v49, v48, v50
	s_delay_alu instid0(VALU_DEP_1) | instskip(SKIP_1) | instid1(VALU_DEP_2)
	v_div_scale_f32 v48, null, v49, v49, 1.0
	v_div_scale_f32 v53, vcc_lo, 1.0, v49, 1.0
	v_rcp_f32_e32 v51, v48
	v_nop
	s_delay_alu instid0(TRANS32_DEP_1) | instskip(NEXT) | instid1(VALU_DEP_1)
	v_fma_f32 v52, -v48, v51, 1.0
	v_fmac_f32_e32 v51, v52, v51
	s_delay_alu instid0(VALU_DEP_1) | instskip(NEXT) | instid1(VALU_DEP_1)
	v_mul_f32_e32 v52, v53, v51
	v_fma_f32 v66, -v48, v52, v53
	s_delay_alu instid0(VALU_DEP_1) | instskip(NEXT) | instid1(VALU_DEP_1)
	v_fmac_f32_e32 v52, v66, v51
	v_fma_f32 v48, -v48, v52, v53
	s_delay_alu instid0(VALU_DEP_1) | instskip(NEXT) | instid1(VALU_DEP_1)
	v_div_fmas_f32 v48, v48, v51, v52
	v_div_fixup_f32 v48, v48, v49, 1.0
	s_delay_alu instid0(VALU_DEP_1)
	v_mul_f32_e32 v50, v50, v48
	v_xor_b32_e32 v51, 0x80000000, v48
                                        ; implicit-def: $vgpr48_vgpr49
.LBB109_275:
	s_and_not1_saveexec_b32 s1, s1
	s_cbranch_execz .LBB109_277
; %bb.276:
	v_div_scale_f32 v50, null, v48, v48, v49
	v_div_scale_f32 v53, vcc_lo, v49, v48, v49
	s_delay_alu instid0(VALU_DEP_2) | instskip(SKIP_1) | instid1(TRANS32_DEP_1)
	v_rcp_f32_e32 v51, v50
	v_nop
	v_fma_f32 v52, -v50, v51, 1.0
	s_delay_alu instid0(VALU_DEP_1) | instskip(NEXT) | instid1(VALU_DEP_1)
	v_fmac_f32_e32 v51, v52, v51
	v_mul_f32_e32 v52, v53, v51
	s_delay_alu instid0(VALU_DEP_1) | instskip(NEXT) | instid1(VALU_DEP_1)
	v_fma_f32 v66, -v50, v52, v53
	v_fmac_f32_e32 v52, v66, v51
	s_delay_alu instid0(VALU_DEP_1) | instskip(NEXT) | instid1(VALU_DEP_1)
	v_fma_f32 v50, -v50, v52, v53
	v_div_fmas_f32 v50, v50, v51, v52
	s_delay_alu instid0(VALU_DEP_1) | instskip(NEXT) | instid1(VALU_DEP_1)
	v_div_fixup_f32 v51, v50, v48, v49
	v_fmac_f32_e32 v48, v49, v51
	s_delay_alu instid0(VALU_DEP_1) | instskip(NEXT) | instid1(VALU_DEP_1)
	v_div_scale_f32 v49, null, v48, v48, 1.0
	v_rcp_f32_e32 v50, v49
	v_nop
	s_delay_alu instid0(TRANS32_DEP_1) | instskip(NEXT) | instid1(VALU_DEP_1)
	v_fma_f32 v52, -v49, v50, 1.0
	v_fmac_f32_e32 v50, v52, v50
	v_div_scale_f32 v52, vcc_lo, 1.0, v48, 1.0
	s_delay_alu instid0(VALU_DEP_1) | instskip(NEXT) | instid1(VALU_DEP_1)
	v_mul_f32_e32 v53, v52, v50
	v_fma_f32 v66, -v49, v53, v52
	s_delay_alu instid0(VALU_DEP_1) | instskip(NEXT) | instid1(VALU_DEP_1)
	v_fmac_f32_e32 v53, v66, v50
	v_fma_f32 v49, -v49, v53, v52
	s_delay_alu instid0(VALU_DEP_1) | instskip(NEXT) | instid1(VALU_DEP_1)
	v_div_fmas_f32 v49, v49, v50, v53
	v_div_fixup_f32 v50, v49, v48, 1.0
	s_delay_alu instid0(VALU_DEP_1)
	v_mul_f32_e64 v51, v51, -v50
.LBB109_277:
	s_or_b32 exec_lo, exec_lo, s1
	ds_store_b64 v153, v[50:51]
.LBB109_278:
	s_or_b32 exec_lo, exec_lo, s2
	s_wait_dscnt 0x0
	s_barrier_signal -1
	s_barrier_wait -1
	ds_load_b64 v[48:49], v153
	s_mov_b32 s1, exec_lo
	v_cmpx_lt_u32_e32 30, v152
	s_cbranch_execz .LBB109_280
; %bb.279:
	ds_load_2addr_b64 v[66:69], v154 offset0:31 offset1:32
	s_wait_dscnt 0x1
	v_pk_mul_f32 v[52:53], v[48:49], v[128:129] op_sel:[1,1] op_sel_hi:[0,1]
	s_delay_alu instid0(VALU_DEP_1) | instskip(SKIP_1) | instid1(VALU_DEP_1)
	v_pk_fma_f32 v[50:51], v[48:49], v[128:129], v[52:53] op_sel_hi:[1,0,1] neg_lo:[0,0,1] neg_hi:[0,0,1]
	v_pk_fma_f32 v[52:53], v[48:49], v[128:129], v[52:53] op_sel_hi:[1,0,1]
	v_dual_mov_b32 v128, v50 :: v_dual_mov_b32 v129, v53
	s_wait_dscnt 0x0
	s_delay_alu instid0(VALU_DEP_2) | instskip(NEXT) | instid1(VALU_DEP_1)
	v_pk_mul_f32 v[70:71], v[66:67], v[52:53] op_sel:[0,1]
	v_pk_fma_f32 v[72:73], v[66:67], v[50:51], v[70:71] op_sel:[0,0,1] op_sel_hi:[1,1,0] neg_lo:[0,0,1] neg_hi:[0,0,1]
	v_pk_fma_f32 v[66:67], v[66:67], v[50:51], v[70:71] op_sel:[0,0,1] op_sel_hi:[1,0,0]
	s_delay_alu instid0(VALU_DEP_1) | instskip(SKIP_1) | instid1(VALU_DEP_1)
	v_mov_b32_e32 v73, v67
	v_pk_mul_f32 v[66:67], v[68:69], v[52:53] op_sel:[0,1]
	v_pk_fma_f32 v[70:71], v[68:69], v[50:51], v[66:67] op_sel:[0,0,1] op_sel_hi:[1,1,0] neg_lo:[0,0,1] neg_hi:[0,0,1]
	v_pk_fma_f32 v[66:67], v[68:69], v[50:51], v[66:67] op_sel:[0,0,1] op_sel_hi:[1,0,0]
	s_delay_alu instid0(VALU_DEP_1)
	v_mov_b32_e32 v71, v67
	ds_load_2addr_b64 v[66:69], v154 offset0:33 offset1:34
	v_pk_add_f32 v[124:125], v[124:125], v[72:73] neg_lo:[0,1] neg_hi:[0,1]
	v_pk_add_f32 v[146:147], v[146:147], v[70:71] neg_lo:[0,1] neg_hi:[0,1]
	s_wait_dscnt 0x0
	v_pk_mul_f32 v[70:71], v[66:67], v[52:53] op_sel:[0,1]
	s_delay_alu instid0(VALU_DEP_1) | instskip(SKIP_2) | instid1(VALU_DEP_2)
	v_pk_fma_f32 v[72:73], v[66:67], v[50:51], v[70:71] op_sel:[0,0,1] op_sel_hi:[1,1,0] neg_lo:[0,0,1] neg_hi:[0,0,1]
	v_pk_fma_f32 v[66:67], v[66:67], v[50:51], v[70:71] op_sel:[0,0,1] op_sel_hi:[1,0,0]
	v_dual_mul_f32 v70, v69, v53 :: v_dual_mov_b32 v66, v69
	v_dual_mov_b32 v73, v67 :: v_dual_mov_b32 v67, v68
	s_delay_alu instid0(VALU_DEP_2) | instskip(SKIP_1) | instid1(VALU_DEP_3)
	v_pk_fma_f32 v[70:71], v[68:69], v[128:129], v[70:71] op_sel_hi:[1,1,0] neg_lo:[0,0,1] neg_hi:[0,0,1]
	v_mul_f32_e32 v68, v69, v50
	v_pk_add_f32 v[142:143], v[142:143], v[72:73] neg_lo:[0,1] neg_hi:[0,1]
	s_delay_alu instid0(VALU_DEP_2) | instskip(NEXT) | instid1(VALU_DEP_1)
	v_pk_fma_f32 v[66:67], v[66:67], v[128:129], v[68:69] op_sel_hi:[1,1,0]
	v_mov_b32_e32 v71, v67
	ds_load_2addr_b64 v[66:69], v154 offset0:35 offset1:36
	v_pk_add_f32 v[144:145], v[144:145], v[70:71] neg_lo:[0,1] neg_hi:[0,1]
	s_wait_dscnt 0x0
	v_pk_mul_f32 v[70:71], v[66:67], v[52:53] op_sel:[0,1]
	s_delay_alu instid0(VALU_DEP_1) | instskip(SKIP_1) | instid1(VALU_DEP_1)
	v_pk_fma_f32 v[72:73], v[66:67], v[50:51], v[70:71] op_sel:[0,0,1] op_sel_hi:[1,1,0] neg_lo:[0,0,1] neg_hi:[0,0,1]
	v_pk_fma_f32 v[66:67], v[66:67], v[50:51], v[70:71] op_sel:[0,0,1] op_sel_hi:[1,0,0]
	v_mov_b32_e32 v73, v67
	v_pk_mul_f32 v[66:67], v[68:69], v[52:53] op_sel:[0,1]
	s_delay_alu instid0(VALU_DEP_1) | instskip(SKIP_1) | instid1(VALU_DEP_1)
	v_pk_fma_f32 v[70:71], v[68:69], v[50:51], v[66:67] op_sel:[0,0,1] op_sel_hi:[1,1,0] neg_lo:[0,0,1] neg_hi:[0,0,1]
	v_pk_fma_f32 v[66:67], v[68:69], v[50:51], v[66:67] op_sel:[0,0,1] op_sel_hi:[1,0,0]
	v_mov_b32_e32 v71, v67
	ds_load_2addr_b64 v[66:69], v154 offset0:37 offset1:38
	v_pk_add_f32 v[140:141], v[140:141], v[72:73] neg_lo:[0,1] neg_hi:[0,1]
	v_pk_add_f32 v[162:163], v[162:163], v[70:71] neg_lo:[0,1] neg_hi:[0,1]
	s_wait_dscnt 0x0
	v_pk_mul_f32 v[70:71], v[66:67], v[52:53] op_sel:[0,1]
	s_delay_alu instid0(VALU_DEP_1) | instskip(SKIP_1) | instid1(VALU_DEP_1)
	v_pk_fma_f32 v[72:73], v[66:67], v[50:51], v[70:71] op_sel:[0,0,1] op_sel_hi:[1,1,0] neg_lo:[0,0,1] neg_hi:[0,0,1]
	v_pk_fma_f32 v[66:67], v[66:67], v[50:51], v[70:71] op_sel:[0,0,1] op_sel_hi:[1,0,0]
	v_mov_b32_e32 v73, v67
	v_pk_mul_f32 v[66:67], v[68:69], v[52:53] op_sel:[0,1]
	s_delay_alu instid0(VALU_DEP_1) | instskip(SKIP_1) | instid1(VALU_DEP_1)
	v_pk_fma_f32 v[70:71], v[68:69], v[50:51], v[66:67] op_sel:[0,0,1] op_sel_hi:[1,1,0] neg_lo:[0,0,1] neg_hi:[0,0,1]
	v_pk_fma_f32 v[66:67], v[68:69], v[50:51], v[66:67] op_sel:[0,0,1] op_sel_hi:[1,0,0]
	v_mov_b32_e32 v71, v67
	ds_load_2addr_b64 v[66:69], v154 offset0:39 offset1:40
	v_pk_add_f32 v[158:159], v[158:159], v[72:73] neg_lo:[0,1] neg_hi:[0,1]
	v_pk_add_f32 v[160:161], v[160:161], v[70:71] neg_lo:[0,1] neg_hi:[0,1]
	s_wait_dscnt 0x0
	v_dual_mul_f32 v70, v67, v53 :: v_dual_mul_f32 v72, v67, v50
	s_delay_alu instid0(VALU_DEP_1) | instskip(NEXT) | instid1(VALU_DEP_2)
	v_pk_fma_f32 v[70:71], v[66:67], v[128:129], v[70:71] op_sel_hi:[1,1,0] neg_lo:[0,0,1] neg_hi:[0,0,1]
	v_pk_fma_f32 v[66:67], v[66:67], v[128:129], v[72:73] op_sel:[1,0,0] op_sel_hi:[0,1,0]
	s_delay_alu instid0(VALU_DEP_1) | instskip(SKIP_1) | instid1(VALU_DEP_2)
	v_mov_b32_e32 v71, v67
	v_pk_mul_f32 v[66:67], v[68:69], v[52:53] op_sel:[0,1]
	v_pk_add_f32 v[156:157], v[156:157], v[70:71] neg_lo:[0,1] neg_hi:[0,1]
	s_delay_alu instid0(VALU_DEP_2) | instskip(SKIP_1) | instid1(VALU_DEP_1)
	v_pk_fma_f32 v[70:71], v[68:69], v[50:51], v[66:67] op_sel:[0,0,1] op_sel_hi:[1,1,0] neg_lo:[0,0,1] neg_hi:[0,0,1]
	v_pk_fma_f32 v[66:67], v[68:69], v[50:51], v[66:67] op_sel:[0,0,1] op_sel_hi:[1,0,0]
	v_mov_b32_e32 v71, v67
	ds_load_2addr_b64 v[66:69], v154 offset0:41 offset1:42
	v_pk_add_f32 v[178:179], v[178:179], v[70:71] neg_lo:[0,1] neg_hi:[0,1]
	s_wait_dscnt 0x0
	v_pk_mul_f32 v[70:71], v[66:67], v[52:53] op_sel:[0,1]
	s_delay_alu instid0(VALU_DEP_1) | instskip(SKIP_1) | instid1(VALU_DEP_1)
	v_pk_fma_f32 v[72:73], v[66:67], v[50:51], v[70:71] op_sel:[0,0,1] op_sel_hi:[1,1,0] neg_lo:[0,0,1] neg_hi:[0,0,1]
	v_pk_fma_f32 v[66:67], v[66:67], v[50:51], v[70:71] op_sel:[0,0,1] op_sel_hi:[1,0,0]
	v_mov_b32_e32 v73, v67
	v_pk_mul_f32 v[66:67], v[68:69], v[52:53] op_sel:[0,1]
	s_delay_alu instid0(VALU_DEP_2) | instskip(NEXT) | instid1(VALU_DEP_2)
	v_pk_add_f32 v[174:175], v[174:175], v[72:73] neg_lo:[0,1] neg_hi:[0,1]
	v_pk_fma_f32 v[70:71], v[68:69], v[50:51], v[66:67] op_sel:[0,0,1] op_sel_hi:[1,1,0] neg_lo:[0,0,1] neg_hi:[0,0,1]
	v_pk_fma_f32 v[66:67], v[68:69], v[50:51], v[66:67] op_sel:[0,0,1] op_sel_hi:[1,0,0]
	s_delay_alu instid0(VALU_DEP_1) | instskip(SKIP_4) | instid1(VALU_DEP_1)
	v_mov_b32_e32 v71, v67
	ds_load_2addr_b64 v[66:69], v154 offset0:43 offset1:44
	v_pk_add_f32 v[176:177], v[176:177], v[70:71] neg_lo:[0,1] neg_hi:[0,1]
	s_wait_dscnt 0x0
	v_pk_mul_f32 v[70:71], v[66:67], v[52:53] op_sel:[0,1]
	v_pk_fma_f32 v[72:73], v[66:67], v[50:51], v[70:71] op_sel:[0,0,1] op_sel_hi:[1,1,0] neg_lo:[0,0,1] neg_hi:[0,0,1]
	v_pk_fma_f32 v[66:67], v[66:67], v[50:51], v[70:71] op_sel:[0,0,1] op_sel_hi:[1,0,0]
	v_dual_mul_f32 v70, v69, v53 :: v_dual_mov_b32 v66, v69
	s_delay_alu instid0(VALU_DEP_2) | instskip(NEXT) | instid1(VALU_DEP_2)
	v_dual_mov_b32 v73, v67 :: v_dual_mov_b32 v67, v68
	v_pk_fma_f32 v[70:71], v[68:69], v[128:129], v[70:71] op_sel_hi:[1,1,0] neg_lo:[0,0,1] neg_hi:[0,0,1]
	v_mul_f32_e32 v68, v69, v50
	s_delay_alu instid0(VALU_DEP_3) | instskip(NEXT) | instid1(VALU_DEP_2)
	v_pk_add_f32 v[172:173], v[172:173], v[72:73] neg_lo:[0,1] neg_hi:[0,1]
	v_pk_fma_f32 v[66:67], v[66:67], v[128:129], v[68:69] op_sel_hi:[1,1,0]
	s_delay_alu instid0(VALU_DEP_1) | instskip(SKIP_4) | instid1(VALU_DEP_1)
	v_mov_b32_e32 v71, v67
	ds_load_2addr_b64 v[66:69], v154 offset0:45 offset1:46
	v_pk_add_f32 v[196:197], v[196:197], v[70:71] neg_lo:[0,1] neg_hi:[0,1]
	s_wait_dscnt 0x0
	v_pk_mul_f32 v[70:71], v[66:67], v[52:53] op_sel:[0,1]
	v_pk_fma_f32 v[72:73], v[66:67], v[50:51], v[70:71] op_sel:[0,0,1] op_sel_hi:[1,1,0] neg_lo:[0,0,1] neg_hi:[0,0,1]
	v_pk_fma_f32 v[66:67], v[66:67], v[50:51], v[70:71] op_sel:[0,0,1] op_sel_hi:[1,0,0]
	s_delay_alu instid0(VALU_DEP_1) | instskip(SKIP_1) | instid1(VALU_DEP_1)
	v_mov_b32_e32 v73, v67
	v_pk_mul_f32 v[66:67], v[68:69], v[52:53] op_sel:[0,1]
	v_pk_fma_f32 v[70:71], v[68:69], v[50:51], v[66:67] op_sel:[0,0,1] op_sel_hi:[1,1,0] neg_lo:[0,0,1] neg_hi:[0,0,1]
	v_pk_fma_f32 v[66:67], v[68:69], v[50:51], v[66:67] op_sel:[0,0,1] op_sel_hi:[1,0,0]
	s_delay_alu instid0(VALU_DEP_1)
	v_mov_b32_e32 v71, v67
	ds_load_2addr_b64 v[66:69], v154 offset0:47 offset1:48
	v_pk_add_f32 v[192:193], v[192:193], v[72:73] neg_lo:[0,1] neg_hi:[0,1]
	v_pk_add_f32 v[194:195], v[194:195], v[70:71] neg_lo:[0,1] neg_hi:[0,1]
	s_wait_dscnt 0x0
	v_pk_mul_f32 v[70:71], v[66:67], v[52:53] op_sel:[0,1]
	s_delay_alu instid0(VALU_DEP_1) | instskip(SKIP_1) | instid1(VALU_DEP_1)
	v_pk_fma_f32 v[72:73], v[66:67], v[50:51], v[70:71] op_sel:[0,0,1] op_sel_hi:[1,1,0] neg_lo:[0,0,1] neg_hi:[0,0,1]
	v_pk_fma_f32 v[66:67], v[66:67], v[50:51], v[70:71] op_sel:[0,0,1] op_sel_hi:[1,0,0]
	v_mov_b32_e32 v73, v67
	v_pk_mul_f32 v[66:67], v[68:69], v[52:53] op_sel:[0,1]
	s_delay_alu instid0(VALU_DEP_1) | instskip(SKIP_1) | instid1(VALU_DEP_1)
	v_pk_fma_f32 v[70:71], v[68:69], v[50:51], v[66:67] op_sel:[0,0,1] op_sel_hi:[1,1,0] neg_lo:[0,0,1] neg_hi:[0,0,1]
	v_pk_fma_f32 v[66:67], v[68:69], v[50:51], v[66:67] op_sel:[0,0,1] op_sel_hi:[1,0,0]
	v_mov_b32_e32 v71, v67
	ds_load_2addr_b64 v[66:69], v154 offset0:49 offset1:50
	v_pk_add_f32 v[190:191], v[190:191], v[72:73] neg_lo:[0,1] neg_hi:[0,1]
	v_pk_add_f32 v[216:217], v[216:217], v[70:71] neg_lo:[0,1] neg_hi:[0,1]
	s_wait_dscnt 0x0
	v_dual_mul_f32 v70, v67, v53 :: v_dual_mul_f32 v72, v67, v50
	s_delay_alu instid0(VALU_DEP_1) | instskip(NEXT) | instid1(VALU_DEP_2)
	v_pk_fma_f32 v[70:71], v[66:67], v[128:129], v[70:71] op_sel_hi:[1,1,0] neg_lo:[0,0,1] neg_hi:[0,0,1]
	v_pk_fma_f32 v[66:67], v[66:67], v[128:129], v[72:73] op_sel:[1,0,0] op_sel_hi:[0,1,0]
	s_delay_alu instid0(VALU_DEP_1) | instskip(SKIP_1) | instid1(VALU_DEP_2)
	v_mov_b32_e32 v71, v67
	v_pk_mul_f32 v[66:67], v[68:69], v[52:53] op_sel:[0,1]
	v_pk_add_f32 v[210:211], v[210:211], v[70:71] neg_lo:[0,1] neg_hi:[0,1]
	s_delay_alu instid0(VALU_DEP_2) | instskip(SKIP_1) | instid1(VALU_DEP_1)
	v_pk_fma_f32 v[70:71], v[68:69], v[50:51], v[66:67] op_sel:[0,0,1] op_sel_hi:[1,1,0] neg_lo:[0,0,1] neg_hi:[0,0,1]
	v_pk_fma_f32 v[66:67], v[68:69], v[50:51], v[66:67] op_sel:[0,0,1] op_sel_hi:[1,0,0]
	v_mov_b32_e32 v71, v67
	ds_load_2addr_b64 v[66:69], v154 offset0:51 offset1:52
	v_pk_add_f32 v[214:215], v[214:215], v[70:71] neg_lo:[0,1] neg_hi:[0,1]
	s_wait_dscnt 0x0
	v_pk_mul_f32 v[70:71], v[66:67], v[52:53] op_sel:[0,1]
	s_delay_alu instid0(VALU_DEP_1) | instskip(SKIP_1) | instid1(VALU_DEP_1)
	v_pk_fma_f32 v[72:73], v[66:67], v[50:51], v[70:71] op_sel:[0,0,1] op_sel_hi:[1,1,0] neg_lo:[0,0,1] neg_hi:[0,0,1]
	v_pk_fma_f32 v[66:67], v[66:67], v[50:51], v[70:71] op_sel:[0,0,1] op_sel_hi:[1,0,0]
	v_mov_b32_e32 v73, v67
	v_pk_mul_f32 v[66:67], v[68:69], v[52:53] op_sel:[0,1]
	s_delay_alu instid0(VALU_DEP_2) | instskip(NEXT) | instid1(VALU_DEP_2)
	v_pk_add_f32 v[208:209], v[208:209], v[72:73] neg_lo:[0,1] neg_hi:[0,1]
	v_pk_fma_f32 v[70:71], v[68:69], v[50:51], v[66:67] op_sel:[0,0,1] op_sel_hi:[1,1,0] neg_lo:[0,0,1] neg_hi:[0,0,1]
	v_pk_fma_f32 v[66:67], v[68:69], v[50:51], v[66:67] op_sel:[0,0,1] op_sel_hi:[1,0,0]
	s_delay_alu instid0(VALU_DEP_1)
	v_mov_b32_e32 v71, v67
	ds_load_2addr_b64 v[66:69], v154 offset0:53 offset1:54
	v_pk_add_f32 v[212:213], v[212:213], v[70:71] neg_lo:[0,1] neg_hi:[0,1]
	s_wait_dscnt 0x0
	v_pk_mul_f32 v[70:71], v[66:67], v[52:53] op_sel:[0,1]
	v_mul_f32_e32 v52, v69, v53
	s_delay_alu instid0(VALU_DEP_2) | instskip(SKIP_2) | instid1(VALU_DEP_4)
	v_pk_fma_f32 v[72:73], v[66:67], v[50:51], v[70:71] op_sel:[0,0,1] op_sel_hi:[1,1,0] neg_lo:[0,0,1] neg_hi:[0,0,1]
	v_pk_fma_f32 v[66:67], v[66:67], v[50:51], v[70:71] op_sel:[0,0,1] op_sel_hi:[1,0,0]
	v_dual_mov_b32 v66, v69 :: v_dual_mul_f32 v50, v69, v50
	v_pk_fma_f32 v[52:53], v[68:69], v[128:129], v[52:53] op_sel_hi:[1,1,0] neg_lo:[0,0,1] neg_hi:[0,0,1]
	s_delay_alu instid0(VALU_DEP_3) | instskip(NEXT) | instid1(VALU_DEP_1)
	v_dual_mov_b32 v73, v67 :: v_dual_mov_b32 v67, v68
	v_pk_add_f32 v[218:219], v[218:219], v[72:73] neg_lo:[0,1] neg_hi:[0,1]
	s_delay_alu instid0(VALU_DEP_2) | instskip(NEXT) | instid1(VALU_DEP_1)
	v_pk_fma_f32 v[50:51], v[66:67], v[128:129], v[50:51] op_sel_hi:[1,1,0]
	v_mov_b32_e32 v53, v51
	s_delay_alu instid0(VALU_DEP_1)
	v_pk_add_f32 v[220:221], v[220:221], v[52:53] neg_lo:[0,1] neg_hi:[0,1]
.LBB109_280:
	s_or_b32 exec_lo, exec_lo, s1
	s_delay_alu instid0(SALU_CYCLE_1)
	s_mov_b32 s2, exec_lo
	s_wait_dscnt 0x0
	s_barrier_signal -1
	s_barrier_wait -1
	v_cmpx_eq_u32_e32 31, v152
	s_cbranch_execz .LBB109_287
; %bb.281:
	v_dual_mov_b32 v50, v146 :: v_dual_mov_b32 v51, v147
	v_dual_mov_b32 v52, v142 :: v_dual_mov_b32 v53, v143
	ds_store_b64 v153, v[124:125]
	ds_store_2addr_b64 v154, v[50:51], v[52:53] offset0:32 offset1:33
	v_dual_mov_b32 v50, v144 :: v_dual_mov_b32 v51, v145
	v_dual_mov_b32 v52, v140 :: v_dual_mov_b32 v53, v141
	ds_store_2addr_b64 v154, v[50:51], v[52:53] offset0:34 offset1:35
	v_dual_mov_b32 v50, v162 :: v_dual_mov_b32 v51, v163
	v_dual_mov_b32 v52, v158 :: v_dual_mov_b32 v53, v159
	;; [unrolled: 3-line block ×10, first 2 shown]
	ds_store_2addr_b64 v154, v[50:51], v[52:53] offset0:52 offset1:53
	ds_store_b64 v154, v[220:221] offset:432
	ds_load_b64 v[50:51], v153
	s_wait_dscnt 0x0
	v_cmp_neq_f32_e32 vcc_lo, 0, v50
	v_cmp_neq_f32_e64 s1, 0, v51
	s_or_b32 s1, vcc_lo, s1
	s_delay_alu instid0(SALU_CYCLE_1)
	s_and_b32 exec_lo, exec_lo, s1
	s_cbranch_execz .LBB109_287
; %bb.282:
	v_cmp_ngt_f32_e64 s1, |v50|, |v51|
                                        ; implicit-def: $vgpr52_vgpr53
	s_and_saveexec_b32 s4, s1
	s_delay_alu instid0(SALU_CYCLE_1)
	s_xor_b32 s1, exec_lo, s4
	s_cbranch_execz .LBB109_284
; %bb.283:
	v_div_scale_f32 v52, null, v51, v51, v50
	v_div_scale_f32 v67, vcc_lo, v50, v51, v50
	s_delay_alu instid0(VALU_DEP_2) | instskip(SKIP_1) | instid1(TRANS32_DEP_1)
	v_rcp_f32_e32 v53, v52
	v_nop
	v_fma_f32 v66, -v52, v53, 1.0
	s_delay_alu instid0(VALU_DEP_1) | instskip(NEXT) | instid1(VALU_DEP_1)
	v_fmac_f32_e32 v53, v66, v53
	v_mul_f32_e32 v66, v67, v53
	s_delay_alu instid0(VALU_DEP_1) | instskip(NEXT) | instid1(VALU_DEP_1)
	v_fma_f32 v68, -v52, v66, v67
	v_fmac_f32_e32 v66, v68, v53
	s_delay_alu instid0(VALU_DEP_1) | instskip(NEXT) | instid1(VALU_DEP_1)
	v_fma_f32 v52, -v52, v66, v67
	v_div_fmas_f32 v52, v52, v53, v66
	s_delay_alu instid0(VALU_DEP_1) | instskip(NEXT) | instid1(VALU_DEP_1)
	v_div_fixup_f32 v52, v52, v51, v50
	v_fmac_f32_e32 v51, v50, v52
	s_delay_alu instid0(VALU_DEP_1) | instskip(SKIP_1) | instid1(VALU_DEP_2)
	v_div_scale_f32 v50, null, v51, v51, 1.0
	v_div_scale_f32 v67, vcc_lo, 1.0, v51, 1.0
	v_rcp_f32_e32 v53, v50
	v_nop
	s_delay_alu instid0(TRANS32_DEP_1) | instskip(NEXT) | instid1(VALU_DEP_1)
	v_fma_f32 v66, -v50, v53, 1.0
	v_fmac_f32_e32 v53, v66, v53
	s_delay_alu instid0(VALU_DEP_1) | instskip(NEXT) | instid1(VALU_DEP_1)
	v_mul_f32_e32 v66, v67, v53
	v_fma_f32 v68, -v50, v66, v67
	s_delay_alu instid0(VALU_DEP_1) | instskip(NEXT) | instid1(VALU_DEP_1)
	v_fmac_f32_e32 v66, v68, v53
	v_fma_f32 v50, -v50, v66, v67
	s_delay_alu instid0(VALU_DEP_1) | instskip(NEXT) | instid1(VALU_DEP_1)
	v_div_fmas_f32 v50, v50, v53, v66
	v_div_fixup_f32 v50, v50, v51, 1.0
	s_delay_alu instid0(VALU_DEP_1)
	v_mul_f32_e32 v52, v52, v50
	v_xor_b32_e32 v53, 0x80000000, v50
                                        ; implicit-def: $vgpr50_vgpr51
.LBB109_284:
	s_and_not1_saveexec_b32 s1, s1
	s_cbranch_execz .LBB109_286
; %bb.285:
	v_div_scale_f32 v52, null, v50, v50, v51
	v_div_scale_f32 v67, vcc_lo, v51, v50, v51
	s_delay_alu instid0(VALU_DEP_2) | instskip(SKIP_1) | instid1(TRANS32_DEP_1)
	v_rcp_f32_e32 v53, v52
	v_nop
	v_fma_f32 v66, -v52, v53, 1.0
	s_delay_alu instid0(VALU_DEP_1) | instskip(NEXT) | instid1(VALU_DEP_1)
	v_fmac_f32_e32 v53, v66, v53
	v_mul_f32_e32 v66, v67, v53
	s_delay_alu instid0(VALU_DEP_1) | instskip(NEXT) | instid1(VALU_DEP_1)
	v_fma_f32 v68, -v52, v66, v67
	v_fmac_f32_e32 v66, v68, v53
	s_delay_alu instid0(VALU_DEP_1) | instskip(NEXT) | instid1(VALU_DEP_1)
	v_fma_f32 v52, -v52, v66, v67
	v_div_fmas_f32 v52, v52, v53, v66
	s_delay_alu instid0(VALU_DEP_1) | instskip(NEXT) | instid1(VALU_DEP_1)
	v_div_fixup_f32 v53, v52, v50, v51
	v_fmac_f32_e32 v50, v51, v53
	s_delay_alu instid0(VALU_DEP_1) | instskip(NEXT) | instid1(VALU_DEP_1)
	v_div_scale_f32 v51, null, v50, v50, 1.0
	v_rcp_f32_e32 v52, v51
	v_nop
	s_delay_alu instid0(TRANS32_DEP_1) | instskip(NEXT) | instid1(VALU_DEP_1)
	v_fma_f32 v66, -v51, v52, 1.0
	v_fmac_f32_e32 v52, v66, v52
	v_div_scale_f32 v66, vcc_lo, 1.0, v50, 1.0
	s_delay_alu instid0(VALU_DEP_1) | instskip(NEXT) | instid1(VALU_DEP_1)
	v_mul_f32_e32 v67, v66, v52
	v_fma_f32 v68, -v51, v67, v66
	s_delay_alu instid0(VALU_DEP_1) | instskip(NEXT) | instid1(VALU_DEP_1)
	v_fmac_f32_e32 v67, v68, v52
	v_fma_f32 v51, -v51, v67, v66
	s_delay_alu instid0(VALU_DEP_1) | instskip(NEXT) | instid1(VALU_DEP_1)
	v_div_fmas_f32 v51, v51, v52, v67
	v_div_fixup_f32 v52, v51, v50, 1.0
	s_delay_alu instid0(VALU_DEP_1)
	v_mul_f32_e64 v53, v53, -v52
.LBB109_286:
	s_or_b32 exec_lo, exec_lo, s1
	ds_store_b64 v153, v[52:53]
.LBB109_287:
	s_or_b32 exec_lo, exec_lo, s2
	s_wait_dscnt 0x0
	s_barrier_signal -1
	s_barrier_wait -1
	ds_load_b64 v[50:51], v153
	s_mov_b32 s1, exec_lo
	v_cmpx_lt_u32_e32 31, v152
	s_cbranch_execz .LBB109_289
; %bb.288:
	ds_load_2addr_b64 v[68:71], v154 offset0:32 offset1:33
	s_wait_dscnt 0x1
	v_pk_mul_f32 v[66:67], v[50:51], v[124:125] op_sel:[1,1] op_sel_hi:[0,1]
	s_delay_alu instid0(VALU_DEP_1) | instskip(SKIP_1) | instid1(VALU_DEP_1)
	v_pk_fma_f32 v[52:53], v[50:51], v[124:125], v[66:67] op_sel_hi:[1,0,1] neg_lo:[0,0,1] neg_hi:[0,0,1]
	v_pk_fma_f32 v[66:67], v[50:51], v[124:125], v[66:67] op_sel_hi:[1,0,1]
	v_dual_mov_b32 v124, v52 :: v_dual_mov_b32 v125, v67
	s_wait_dscnt 0x0
	s_delay_alu instid0(VALU_DEP_2) | instskip(NEXT) | instid1(VALU_DEP_1)
	v_pk_mul_f32 v[72:73], v[68:69], v[66:67] op_sel:[0,1]
	v_pk_fma_f32 v[82:83], v[68:69], v[52:53], v[72:73] op_sel:[0,0,1] op_sel_hi:[1,1,0] neg_lo:[0,0,1] neg_hi:[0,0,1]
	v_pk_fma_f32 v[68:69], v[68:69], v[52:53], v[72:73] op_sel:[0,0,1] op_sel_hi:[1,0,0]
	s_delay_alu instid0(VALU_DEP_1) | instskip(SKIP_1) | instid1(VALU_DEP_1)
	v_mov_b32_e32 v83, v69
	v_pk_mul_f32 v[68:69], v[70:71], v[66:67] op_sel:[0,1]
	v_pk_fma_f32 v[72:73], v[70:71], v[52:53], v[68:69] op_sel:[0,0,1] op_sel_hi:[1,1,0] neg_lo:[0,0,1] neg_hi:[0,0,1]
	v_pk_fma_f32 v[68:69], v[70:71], v[52:53], v[68:69] op_sel:[0,0,1] op_sel_hi:[1,0,0]
	s_delay_alu instid0(VALU_DEP_1)
	v_mov_b32_e32 v73, v69
	ds_load_2addr_b64 v[68:71], v154 offset0:34 offset1:35
	v_pk_add_f32 v[146:147], v[146:147], v[82:83] neg_lo:[0,1] neg_hi:[0,1]
	v_pk_add_f32 v[142:143], v[142:143], v[72:73] neg_lo:[0,1] neg_hi:[0,1]
	s_wait_dscnt 0x0
	v_pk_mul_f32 v[72:73], v[68:69], v[66:67] op_sel:[0,1]
	s_delay_alu instid0(VALU_DEP_1) | instskip(SKIP_2) | instid1(VALU_DEP_2)
	v_pk_fma_f32 v[82:83], v[68:69], v[52:53], v[72:73] op_sel:[0,0,1] op_sel_hi:[1,1,0] neg_lo:[0,0,1] neg_hi:[0,0,1]
	v_pk_fma_f32 v[68:69], v[68:69], v[52:53], v[72:73] op_sel:[0,0,1] op_sel_hi:[1,0,0]
	v_dual_mul_f32 v72, v71, v67 :: v_dual_mov_b32 v68, v71
	v_dual_mov_b32 v83, v69 :: v_dual_mov_b32 v69, v70
	s_delay_alu instid0(VALU_DEP_2) | instskip(SKIP_1) | instid1(VALU_DEP_3)
	v_pk_fma_f32 v[72:73], v[70:71], v[124:125], v[72:73] op_sel_hi:[1,1,0] neg_lo:[0,0,1] neg_hi:[0,0,1]
	v_mul_f32_e32 v70, v71, v52
	v_pk_add_f32 v[144:145], v[144:145], v[82:83] neg_lo:[0,1] neg_hi:[0,1]
	s_delay_alu instid0(VALU_DEP_2) | instskip(NEXT) | instid1(VALU_DEP_1)
	v_pk_fma_f32 v[68:69], v[68:69], v[124:125], v[70:71] op_sel_hi:[1,1,0]
	v_mov_b32_e32 v73, v69
	ds_load_2addr_b64 v[68:71], v154 offset0:36 offset1:37
	v_pk_add_f32 v[140:141], v[140:141], v[72:73] neg_lo:[0,1] neg_hi:[0,1]
	s_wait_dscnt 0x0
	v_pk_mul_f32 v[72:73], v[68:69], v[66:67] op_sel:[0,1]
	s_delay_alu instid0(VALU_DEP_1) | instskip(SKIP_1) | instid1(VALU_DEP_1)
	v_pk_fma_f32 v[82:83], v[68:69], v[52:53], v[72:73] op_sel:[0,0,1] op_sel_hi:[1,1,0] neg_lo:[0,0,1] neg_hi:[0,0,1]
	v_pk_fma_f32 v[68:69], v[68:69], v[52:53], v[72:73] op_sel:[0,0,1] op_sel_hi:[1,0,0]
	v_mov_b32_e32 v83, v69
	v_pk_mul_f32 v[68:69], v[70:71], v[66:67] op_sel:[0,1]
	s_delay_alu instid0(VALU_DEP_1) | instskip(SKIP_1) | instid1(VALU_DEP_1)
	v_pk_fma_f32 v[72:73], v[70:71], v[52:53], v[68:69] op_sel:[0,0,1] op_sel_hi:[1,1,0] neg_lo:[0,0,1] neg_hi:[0,0,1]
	v_pk_fma_f32 v[68:69], v[70:71], v[52:53], v[68:69] op_sel:[0,0,1] op_sel_hi:[1,0,0]
	v_mov_b32_e32 v73, v69
	ds_load_2addr_b64 v[68:71], v154 offset0:38 offset1:39
	v_pk_add_f32 v[162:163], v[162:163], v[82:83] neg_lo:[0,1] neg_hi:[0,1]
	v_pk_add_f32 v[158:159], v[158:159], v[72:73] neg_lo:[0,1] neg_hi:[0,1]
	s_wait_dscnt 0x0
	v_pk_mul_f32 v[72:73], v[68:69], v[66:67] op_sel:[0,1]
	s_delay_alu instid0(VALU_DEP_1) | instskip(SKIP_1) | instid1(VALU_DEP_1)
	v_pk_fma_f32 v[82:83], v[68:69], v[52:53], v[72:73] op_sel:[0,0,1] op_sel_hi:[1,1,0] neg_lo:[0,0,1] neg_hi:[0,0,1]
	v_pk_fma_f32 v[68:69], v[68:69], v[52:53], v[72:73] op_sel:[0,0,1] op_sel_hi:[1,0,0]
	v_mov_b32_e32 v83, v69
	v_pk_mul_f32 v[68:69], v[70:71], v[66:67] op_sel:[0,1]
	s_delay_alu instid0(VALU_DEP_1) | instskip(SKIP_1) | instid1(VALU_DEP_1)
	v_pk_fma_f32 v[72:73], v[70:71], v[52:53], v[68:69] op_sel:[0,0,1] op_sel_hi:[1,1,0] neg_lo:[0,0,1] neg_hi:[0,0,1]
	v_pk_fma_f32 v[68:69], v[70:71], v[52:53], v[68:69] op_sel:[0,0,1] op_sel_hi:[1,0,0]
	v_mov_b32_e32 v73, v69
	ds_load_2addr_b64 v[68:71], v154 offset0:40 offset1:41
	v_pk_add_f32 v[160:161], v[160:161], v[82:83] neg_lo:[0,1] neg_hi:[0,1]
	v_pk_add_f32 v[156:157], v[156:157], v[72:73] neg_lo:[0,1] neg_hi:[0,1]
	s_wait_dscnt 0x0
	v_dual_mul_f32 v72, v69, v67 :: v_dual_mul_f32 v82, v69, v52
	s_delay_alu instid0(VALU_DEP_1) | instskip(NEXT) | instid1(VALU_DEP_2)
	v_pk_fma_f32 v[72:73], v[68:69], v[124:125], v[72:73] op_sel_hi:[1,1,0] neg_lo:[0,0,1] neg_hi:[0,0,1]
	v_pk_fma_f32 v[68:69], v[68:69], v[124:125], v[82:83] op_sel:[1,0,0] op_sel_hi:[0,1,0]
	s_delay_alu instid0(VALU_DEP_1) | instskip(SKIP_1) | instid1(VALU_DEP_2)
	v_mov_b32_e32 v73, v69
	v_pk_mul_f32 v[68:69], v[70:71], v[66:67] op_sel:[0,1]
	v_pk_add_f32 v[178:179], v[178:179], v[72:73] neg_lo:[0,1] neg_hi:[0,1]
	s_delay_alu instid0(VALU_DEP_2) | instskip(SKIP_1) | instid1(VALU_DEP_1)
	v_pk_fma_f32 v[72:73], v[70:71], v[52:53], v[68:69] op_sel:[0,0,1] op_sel_hi:[1,1,0] neg_lo:[0,0,1] neg_hi:[0,0,1]
	v_pk_fma_f32 v[68:69], v[70:71], v[52:53], v[68:69] op_sel:[0,0,1] op_sel_hi:[1,0,0]
	v_mov_b32_e32 v73, v69
	ds_load_2addr_b64 v[68:71], v154 offset0:42 offset1:43
	v_pk_add_f32 v[174:175], v[174:175], v[72:73] neg_lo:[0,1] neg_hi:[0,1]
	s_wait_dscnt 0x0
	v_pk_mul_f32 v[72:73], v[68:69], v[66:67] op_sel:[0,1]
	s_delay_alu instid0(VALU_DEP_1) | instskip(SKIP_1) | instid1(VALU_DEP_1)
	v_pk_fma_f32 v[82:83], v[68:69], v[52:53], v[72:73] op_sel:[0,0,1] op_sel_hi:[1,1,0] neg_lo:[0,0,1] neg_hi:[0,0,1]
	v_pk_fma_f32 v[68:69], v[68:69], v[52:53], v[72:73] op_sel:[0,0,1] op_sel_hi:[1,0,0]
	v_mov_b32_e32 v83, v69
	v_pk_mul_f32 v[68:69], v[70:71], v[66:67] op_sel:[0,1]
	s_delay_alu instid0(VALU_DEP_2) | instskip(NEXT) | instid1(VALU_DEP_2)
	v_pk_add_f32 v[176:177], v[176:177], v[82:83] neg_lo:[0,1] neg_hi:[0,1]
	v_pk_fma_f32 v[72:73], v[70:71], v[52:53], v[68:69] op_sel:[0,0,1] op_sel_hi:[1,1,0] neg_lo:[0,0,1] neg_hi:[0,0,1]
	v_pk_fma_f32 v[68:69], v[70:71], v[52:53], v[68:69] op_sel:[0,0,1] op_sel_hi:[1,0,0]
	s_delay_alu instid0(VALU_DEP_1) | instskip(SKIP_4) | instid1(VALU_DEP_1)
	v_mov_b32_e32 v73, v69
	ds_load_2addr_b64 v[68:71], v154 offset0:44 offset1:45
	v_pk_add_f32 v[172:173], v[172:173], v[72:73] neg_lo:[0,1] neg_hi:[0,1]
	s_wait_dscnt 0x0
	v_pk_mul_f32 v[72:73], v[68:69], v[66:67] op_sel:[0,1]
	v_pk_fma_f32 v[82:83], v[68:69], v[52:53], v[72:73] op_sel:[0,0,1] op_sel_hi:[1,1,0] neg_lo:[0,0,1] neg_hi:[0,0,1]
	v_pk_fma_f32 v[68:69], v[68:69], v[52:53], v[72:73] op_sel:[0,0,1] op_sel_hi:[1,0,0]
	v_dual_mul_f32 v72, v71, v67 :: v_dual_mov_b32 v68, v71
	s_delay_alu instid0(VALU_DEP_2) | instskip(NEXT) | instid1(VALU_DEP_2)
	v_dual_mov_b32 v83, v69 :: v_dual_mov_b32 v69, v70
	v_pk_fma_f32 v[72:73], v[70:71], v[124:125], v[72:73] op_sel_hi:[1,1,0] neg_lo:[0,0,1] neg_hi:[0,0,1]
	v_mul_f32_e32 v70, v71, v52
	s_delay_alu instid0(VALU_DEP_3) | instskip(NEXT) | instid1(VALU_DEP_2)
	v_pk_add_f32 v[196:197], v[196:197], v[82:83] neg_lo:[0,1] neg_hi:[0,1]
	v_pk_fma_f32 v[68:69], v[68:69], v[124:125], v[70:71] op_sel_hi:[1,1,0]
	s_delay_alu instid0(VALU_DEP_1) | instskip(SKIP_4) | instid1(VALU_DEP_1)
	v_mov_b32_e32 v73, v69
	ds_load_2addr_b64 v[68:71], v154 offset0:46 offset1:47
	v_pk_add_f32 v[192:193], v[192:193], v[72:73] neg_lo:[0,1] neg_hi:[0,1]
	s_wait_dscnt 0x0
	v_pk_mul_f32 v[72:73], v[68:69], v[66:67] op_sel:[0,1]
	v_pk_fma_f32 v[82:83], v[68:69], v[52:53], v[72:73] op_sel:[0,0,1] op_sel_hi:[1,1,0] neg_lo:[0,0,1] neg_hi:[0,0,1]
	v_pk_fma_f32 v[68:69], v[68:69], v[52:53], v[72:73] op_sel:[0,0,1] op_sel_hi:[1,0,0]
	s_delay_alu instid0(VALU_DEP_1) | instskip(SKIP_1) | instid1(VALU_DEP_1)
	v_mov_b32_e32 v83, v69
	v_pk_mul_f32 v[68:69], v[70:71], v[66:67] op_sel:[0,1]
	v_pk_fma_f32 v[72:73], v[70:71], v[52:53], v[68:69] op_sel:[0,0,1] op_sel_hi:[1,1,0] neg_lo:[0,0,1] neg_hi:[0,0,1]
	v_pk_fma_f32 v[68:69], v[70:71], v[52:53], v[68:69] op_sel:[0,0,1] op_sel_hi:[1,0,0]
	s_delay_alu instid0(VALU_DEP_1)
	v_mov_b32_e32 v73, v69
	ds_load_2addr_b64 v[68:71], v154 offset0:48 offset1:49
	v_pk_add_f32 v[194:195], v[194:195], v[82:83] neg_lo:[0,1] neg_hi:[0,1]
	v_pk_add_f32 v[190:191], v[190:191], v[72:73] neg_lo:[0,1] neg_hi:[0,1]
	s_wait_dscnt 0x0
	v_pk_mul_f32 v[72:73], v[68:69], v[66:67] op_sel:[0,1]
	s_delay_alu instid0(VALU_DEP_1) | instskip(SKIP_1) | instid1(VALU_DEP_1)
	v_pk_fma_f32 v[82:83], v[68:69], v[52:53], v[72:73] op_sel:[0,0,1] op_sel_hi:[1,1,0] neg_lo:[0,0,1] neg_hi:[0,0,1]
	v_pk_fma_f32 v[68:69], v[68:69], v[52:53], v[72:73] op_sel:[0,0,1] op_sel_hi:[1,0,0]
	v_mov_b32_e32 v83, v69
	v_pk_mul_f32 v[68:69], v[70:71], v[66:67] op_sel:[0,1]
	s_delay_alu instid0(VALU_DEP_1) | instskip(SKIP_1) | instid1(VALU_DEP_1)
	v_pk_fma_f32 v[72:73], v[70:71], v[52:53], v[68:69] op_sel:[0,0,1] op_sel_hi:[1,1,0] neg_lo:[0,0,1] neg_hi:[0,0,1]
	v_pk_fma_f32 v[68:69], v[70:71], v[52:53], v[68:69] op_sel:[0,0,1] op_sel_hi:[1,0,0]
	v_mov_b32_e32 v73, v69
	ds_load_2addr_b64 v[68:71], v154 offset0:50 offset1:51
	v_pk_add_f32 v[216:217], v[216:217], v[82:83] neg_lo:[0,1] neg_hi:[0,1]
	v_pk_add_f32 v[210:211], v[210:211], v[72:73] neg_lo:[0,1] neg_hi:[0,1]
	s_wait_dscnt 0x0
	v_dual_mul_f32 v72, v69, v67 :: v_dual_mul_f32 v82, v69, v52
	s_delay_alu instid0(VALU_DEP_1) | instskip(NEXT) | instid1(VALU_DEP_2)
	v_pk_fma_f32 v[72:73], v[68:69], v[124:125], v[72:73] op_sel_hi:[1,1,0] neg_lo:[0,0,1] neg_hi:[0,0,1]
	v_pk_fma_f32 v[68:69], v[68:69], v[124:125], v[82:83] op_sel:[1,0,0] op_sel_hi:[0,1,0]
	s_delay_alu instid0(VALU_DEP_1) | instskip(SKIP_1) | instid1(VALU_DEP_2)
	v_mov_b32_e32 v73, v69
	v_pk_mul_f32 v[68:69], v[70:71], v[66:67] op_sel:[0,1]
	v_pk_add_f32 v[214:215], v[214:215], v[72:73] neg_lo:[0,1] neg_hi:[0,1]
	s_delay_alu instid0(VALU_DEP_2) | instskip(SKIP_1) | instid1(VALU_DEP_1)
	v_pk_fma_f32 v[72:73], v[70:71], v[52:53], v[68:69] op_sel:[0,0,1] op_sel_hi:[1,1,0] neg_lo:[0,0,1] neg_hi:[0,0,1]
	v_pk_fma_f32 v[68:69], v[70:71], v[52:53], v[68:69] op_sel:[0,0,1] op_sel_hi:[1,0,0]
	v_mov_b32_e32 v73, v69
	ds_load_2addr_b64 v[68:71], v154 offset0:52 offset1:53
	v_pk_add_f32 v[208:209], v[208:209], v[72:73] neg_lo:[0,1] neg_hi:[0,1]
	s_wait_dscnt 0x0
	v_pk_mul_f32 v[72:73], v[68:69], v[66:67] op_sel:[0,1]
	s_delay_alu instid0(VALU_DEP_1) | instskip(SKIP_1) | instid1(VALU_DEP_1)
	v_pk_fma_f32 v[82:83], v[68:69], v[52:53], v[72:73] op_sel:[0,0,1] op_sel_hi:[1,1,0] neg_lo:[0,0,1] neg_hi:[0,0,1]
	v_pk_fma_f32 v[68:69], v[68:69], v[52:53], v[72:73] op_sel:[0,0,1] op_sel_hi:[1,0,0]
	v_mov_b32_e32 v83, v69
	v_pk_mul_f32 v[68:69], v[70:71], v[66:67] op_sel:[0,1]
	s_delay_alu instid0(VALU_DEP_2) | instskip(NEXT) | instid1(VALU_DEP_2)
	v_pk_add_f32 v[212:213], v[212:213], v[82:83] neg_lo:[0,1] neg_hi:[0,1]
	v_pk_fma_f32 v[72:73], v[70:71], v[52:53], v[68:69] op_sel:[0,0,1] op_sel_hi:[1,1,0] neg_lo:[0,0,1] neg_hi:[0,0,1]
	v_pk_fma_f32 v[68:69], v[70:71], v[52:53], v[68:69] op_sel:[0,0,1] op_sel_hi:[1,0,0]
	s_delay_alu instid0(VALU_DEP_1) | instskip(SKIP_4) | instid1(VALU_DEP_1)
	v_mov_b32_e32 v73, v69
	ds_load_b64 v[68:69], v154 offset:432
	v_pk_add_f32 v[218:219], v[218:219], v[72:73] neg_lo:[0,1] neg_hi:[0,1]
	s_wait_dscnt 0x0
	v_pk_mul_f32 v[66:67], v[68:69], v[66:67] op_sel:[0,1]
	v_pk_fma_f32 v[70:71], v[68:69], v[52:53], v[66:67] op_sel:[0,0,1] op_sel_hi:[1,1,0] neg_lo:[0,0,1] neg_hi:[0,0,1]
	v_pk_fma_f32 v[52:53], v[68:69], v[52:53], v[66:67] op_sel:[0,0,1] op_sel_hi:[1,0,0]
	s_delay_alu instid0(VALU_DEP_1) | instskip(NEXT) | instid1(VALU_DEP_1)
	v_mov_b32_e32 v71, v53
	v_pk_add_f32 v[220:221], v[220:221], v[70:71] neg_lo:[0,1] neg_hi:[0,1]
.LBB109_289:
	s_or_b32 exec_lo, exec_lo, s1
	s_delay_alu instid0(SALU_CYCLE_1)
	s_mov_b32 s2, exec_lo
	s_wait_dscnt 0x0
	s_barrier_signal -1
	s_barrier_wait -1
	v_cmpx_eq_u32_e32 32, v152
	s_cbranch_execz .LBB109_296
; %bb.290:
	ds_store_b64 v153, v[146:147]
	ds_store_2addr_b64 v154, v[142:143], v[144:145] offset0:33 offset1:34
	ds_store_2addr_b64 v154, v[140:141], v[162:163] offset0:35 offset1:36
	;; [unrolled: 1-line block ×11, first 2 shown]
	ds_load_b64 v[52:53], v153
	s_wait_dscnt 0x0
	v_cmp_neq_f32_e32 vcc_lo, 0, v52
	v_cmp_neq_f32_e64 s1, 0, v53
	s_or_b32 s1, vcc_lo, s1
	s_delay_alu instid0(SALU_CYCLE_1)
	s_and_b32 exec_lo, exec_lo, s1
	s_cbranch_execz .LBB109_296
; %bb.291:
	v_cmp_ngt_f32_e64 s1, |v52|, |v53|
                                        ; implicit-def: $vgpr66_vgpr67
	s_and_saveexec_b32 s4, s1
	s_delay_alu instid0(SALU_CYCLE_1)
	s_xor_b32 s1, exec_lo, s4
	s_cbranch_execz .LBB109_293
; %bb.292:
	v_div_scale_f32 v66, null, v53, v53, v52
	v_div_scale_f32 v69, vcc_lo, v52, v53, v52
	s_delay_alu instid0(VALU_DEP_2) | instskip(SKIP_1) | instid1(TRANS32_DEP_1)
	v_rcp_f32_e32 v67, v66
	v_nop
	v_fma_f32 v68, -v66, v67, 1.0
	s_delay_alu instid0(VALU_DEP_1) | instskip(NEXT) | instid1(VALU_DEP_1)
	v_fmac_f32_e32 v67, v68, v67
	v_mul_f32_e32 v68, v69, v67
	s_delay_alu instid0(VALU_DEP_1) | instskip(NEXT) | instid1(VALU_DEP_1)
	v_fma_f32 v70, -v66, v68, v69
	v_fmac_f32_e32 v68, v70, v67
	s_delay_alu instid0(VALU_DEP_1) | instskip(NEXT) | instid1(VALU_DEP_1)
	v_fma_f32 v66, -v66, v68, v69
	v_div_fmas_f32 v66, v66, v67, v68
	s_delay_alu instid0(VALU_DEP_1) | instskip(NEXT) | instid1(VALU_DEP_1)
	v_div_fixup_f32 v66, v66, v53, v52
	v_fmac_f32_e32 v53, v52, v66
	s_delay_alu instid0(VALU_DEP_1) | instskip(SKIP_1) | instid1(VALU_DEP_2)
	v_div_scale_f32 v52, null, v53, v53, 1.0
	v_div_scale_f32 v69, vcc_lo, 1.0, v53, 1.0
	v_rcp_f32_e32 v67, v52
	v_nop
	s_delay_alu instid0(TRANS32_DEP_1) | instskip(NEXT) | instid1(VALU_DEP_1)
	v_fma_f32 v68, -v52, v67, 1.0
	v_fmac_f32_e32 v67, v68, v67
	s_delay_alu instid0(VALU_DEP_1) | instskip(NEXT) | instid1(VALU_DEP_1)
	v_mul_f32_e32 v68, v69, v67
	v_fma_f32 v70, -v52, v68, v69
	s_delay_alu instid0(VALU_DEP_1) | instskip(NEXT) | instid1(VALU_DEP_1)
	v_fmac_f32_e32 v68, v70, v67
	v_fma_f32 v52, -v52, v68, v69
	s_delay_alu instid0(VALU_DEP_1) | instskip(NEXT) | instid1(VALU_DEP_1)
	v_div_fmas_f32 v52, v52, v67, v68
	v_div_fixup_f32 v52, v52, v53, 1.0
	s_delay_alu instid0(VALU_DEP_1)
	v_mul_f32_e32 v66, v66, v52
	v_xor_b32_e32 v67, 0x80000000, v52
                                        ; implicit-def: $vgpr52_vgpr53
.LBB109_293:
	s_and_not1_saveexec_b32 s1, s1
	s_cbranch_execz .LBB109_295
; %bb.294:
	v_div_scale_f32 v66, null, v52, v52, v53
	v_div_scale_f32 v69, vcc_lo, v53, v52, v53
	s_delay_alu instid0(VALU_DEP_2) | instskip(SKIP_1) | instid1(TRANS32_DEP_1)
	v_rcp_f32_e32 v67, v66
	v_nop
	v_fma_f32 v68, -v66, v67, 1.0
	s_delay_alu instid0(VALU_DEP_1) | instskip(NEXT) | instid1(VALU_DEP_1)
	v_fmac_f32_e32 v67, v68, v67
	v_mul_f32_e32 v68, v69, v67
	s_delay_alu instid0(VALU_DEP_1) | instskip(NEXT) | instid1(VALU_DEP_1)
	v_fma_f32 v70, -v66, v68, v69
	v_fmac_f32_e32 v68, v70, v67
	s_delay_alu instid0(VALU_DEP_1) | instskip(NEXT) | instid1(VALU_DEP_1)
	v_fma_f32 v66, -v66, v68, v69
	v_div_fmas_f32 v66, v66, v67, v68
	s_delay_alu instid0(VALU_DEP_1) | instskip(NEXT) | instid1(VALU_DEP_1)
	v_div_fixup_f32 v67, v66, v52, v53
	v_fmac_f32_e32 v52, v53, v67
	s_delay_alu instid0(VALU_DEP_1) | instskip(NEXT) | instid1(VALU_DEP_1)
	v_div_scale_f32 v53, null, v52, v52, 1.0
	v_rcp_f32_e32 v66, v53
	v_nop
	s_delay_alu instid0(TRANS32_DEP_1) | instskip(NEXT) | instid1(VALU_DEP_1)
	v_fma_f32 v68, -v53, v66, 1.0
	v_fmac_f32_e32 v66, v68, v66
	v_div_scale_f32 v68, vcc_lo, 1.0, v52, 1.0
	s_delay_alu instid0(VALU_DEP_1) | instskip(NEXT) | instid1(VALU_DEP_1)
	v_mul_f32_e32 v69, v68, v66
	v_fma_f32 v70, -v53, v69, v68
	s_delay_alu instid0(VALU_DEP_1) | instskip(NEXT) | instid1(VALU_DEP_1)
	v_fmac_f32_e32 v69, v70, v66
	v_fma_f32 v53, -v53, v69, v68
	s_delay_alu instid0(VALU_DEP_1) | instskip(NEXT) | instid1(VALU_DEP_1)
	v_div_fmas_f32 v53, v53, v66, v69
	v_div_fixup_f32 v66, v53, v52, 1.0
	s_delay_alu instid0(VALU_DEP_1)
	v_mul_f32_e64 v67, v67, -v66
.LBB109_295:
	s_or_b32 exec_lo, exec_lo, s1
	ds_store_b64 v153, v[66:67]
.LBB109_296:
	s_or_b32 exec_lo, exec_lo, s2
	s_wait_dscnt 0x0
	s_barrier_signal -1
	s_barrier_wait -1
	ds_load_b64 v[52:53], v153
	s_mov_b32 s1, exec_lo
	v_cmpx_lt_u32_e32 32, v152
	s_cbranch_execz .LBB109_298
; %bb.297:
	ds_load_2addr_b64 v[70:73], v154 offset0:33 offset1:34
	s_wait_dscnt 0x1
	v_pk_mul_f32 v[68:69], v[52:53], v[146:147] op_sel:[1,1] op_sel_hi:[0,1]
	s_delay_alu instid0(VALU_DEP_1) | instskip(SKIP_1) | instid1(VALU_DEP_1)
	v_pk_fma_f32 v[66:67], v[52:53], v[146:147], v[68:69] op_sel_hi:[1,0,1] neg_lo:[0,0,1] neg_hi:[0,0,1]
	v_pk_fma_f32 v[68:69], v[52:53], v[146:147], v[68:69] op_sel_hi:[1,0,1]
	v_dual_mov_b32 v146, v66 :: v_dual_mov_b32 v147, v69
	s_wait_dscnt 0x0
	s_delay_alu instid0(VALU_DEP_2) | instskip(NEXT) | instid1(VALU_DEP_1)
	v_pk_mul_f32 v[82:83], v[70:71], v[68:69] op_sel:[0,1]
	v_pk_fma_f32 v[84:85], v[70:71], v[66:67], v[82:83] op_sel:[0,0,1] op_sel_hi:[1,1,0] neg_lo:[0,0,1] neg_hi:[0,0,1]
	v_pk_fma_f32 v[70:71], v[70:71], v[66:67], v[82:83] op_sel:[0,0,1] op_sel_hi:[1,0,0]
	s_delay_alu instid0(VALU_DEP_1) | instskip(SKIP_1) | instid1(VALU_DEP_1)
	v_mov_b32_e32 v85, v71
	v_pk_mul_f32 v[70:71], v[72:73], v[68:69] op_sel:[0,1]
	v_pk_fma_f32 v[82:83], v[72:73], v[66:67], v[70:71] op_sel:[0,0,1] op_sel_hi:[1,1,0] neg_lo:[0,0,1] neg_hi:[0,0,1]
	v_pk_fma_f32 v[70:71], v[72:73], v[66:67], v[70:71] op_sel:[0,0,1] op_sel_hi:[1,0,0]
	s_delay_alu instid0(VALU_DEP_1)
	v_mov_b32_e32 v83, v71
	ds_load_2addr_b64 v[70:73], v154 offset0:35 offset1:36
	v_pk_add_f32 v[142:143], v[142:143], v[84:85] neg_lo:[0,1] neg_hi:[0,1]
	v_pk_add_f32 v[144:145], v[144:145], v[82:83] neg_lo:[0,1] neg_hi:[0,1]
	s_wait_dscnt 0x0
	v_pk_mul_f32 v[82:83], v[70:71], v[68:69] op_sel:[0,1]
	s_delay_alu instid0(VALU_DEP_1) | instskip(SKIP_2) | instid1(VALU_DEP_2)
	v_pk_fma_f32 v[84:85], v[70:71], v[66:67], v[82:83] op_sel:[0,0,1] op_sel_hi:[1,1,0] neg_lo:[0,0,1] neg_hi:[0,0,1]
	v_pk_fma_f32 v[70:71], v[70:71], v[66:67], v[82:83] op_sel:[0,0,1] op_sel_hi:[1,0,0]
	v_dual_mul_f32 v82, v73, v69 :: v_dual_mov_b32 v70, v73
	v_dual_mov_b32 v85, v71 :: v_dual_mov_b32 v71, v72
	s_delay_alu instid0(VALU_DEP_2) | instskip(SKIP_1) | instid1(VALU_DEP_3)
	v_pk_fma_f32 v[82:83], v[72:73], v[146:147], v[82:83] op_sel_hi:[1,1,0] neg_lo:[0,0,1] neg_hi:[0,0,1]
	v_mul_f32_e32 v72, v73, v66
	v_pk_add_f32 v[140:141], v[140:141], v[84:85] neg_lo:[0,1] neg_hi:[0,1]
	s_delay_alu instid0(VALU_DEP_2) | instskip(NEXT) | instid1(VALU_DEP_1)
	v_pk_fma_f32 v[70:71], v[70:71], v[146:147], v[72:73] op_sel_hi:[1,1,0]
	v_mov_b32_e32 v83, v71
	ds_load_2addr_b64 v[70:73], v154 offset0:37 offset1:38
	v_pk_add_f32 v[162:163], v[162:163], v[82:83] neg_lo:[0,1] neg_hi:[0,1]
	s_wait_dscnt 0x0
	v_pk_mul_f32 v[82:83], v[70:71], v[68:69] op_sel:[0,1]
	s_delay_alu instid0(VALU_DEP_1) | instskip(SKIP_1) | instid1(VALU_DEP_1)
	v_pk_fma_f32 v[84:85], v[70:71], v[66:67], v[82:83] op_sel:[0,0,1] op_sel_hi:[1,1,0] neg_lo:[0,0,1] neg_hi:[0,0,1]
	v_pk_fma_f32 v[70:71], v[70:71], v[66:67], v[82:83] op_sel:[0,0,1] op_sel_hi:[1,0,0]
	v_mov_b32_e32 v85, v71
	v_pk_mul_f32 v[70:71], v[72:73], v[68:69] op_sel:[0,1]
	s_delay_alu instid0(VALU_DEP_1) | instskip(SKIP_1) | instid1(VALU_DEP_1)
	v_pk_fma_f32 v[82:83], v[72:73], v[66:67], v[70:71] op_sel:[0,0,1] op_sel_hi:[1,1,0] neg_lo:[0,0,1] neg_hi:[0,0,1]
	v_pk_fma_f32 v[70:71], v[72:73], v[66:67], v[70:71] op_sel:[0,0,1] op_sel_hi:[1,0,0]
	v_mov_b32_e32 v83, v71
	ds_load_2addr_b64 v[70:73], v154 offset0:39 offset1:40
	v_pk_add_f32 v[158:159], v[158:159], v[84:85] neg_lo:[0,1] neg_hi:[0,1]
	v_pk_add_f32 v[160:161], v[160:161], v[82:83] neg_lo:[0,1] neg_hi:[0,1]
	s_wait_dscnt 0x0
	v_pk_mul_f32 v[82:83], v[70:71], v[68:69] op_sel:[0,1]
	s_delay_alu instid0(VALU_DEP_1) | instskip(SKIP_1) | instid1(VALU_DEP_1)
	v_pk_fma_f32 v[84:85], v[70:71], v[66:67], v[82:83] op_sel:[0,0,1] op_sel_hi:[1,1,0] neg_lo:[0,0,1] neg_hi:[0,0,1]
	v_pk_fma_f32 v[70:71], v[70:71], v[66:67], v[82:83] op_sel:[0,0,1] op_sel_hi:[1,0,0]
	v_mov_b32_e32 v85, v71
	v_pk_mul_f32 v[70:71], v[72:73], v[68:69] op_sel:[0,1]
	s_delay_alu instid0(VALU_DEP_1) | instskip(SKIP_1) | instid1(VALU_DEP_1)
	v_pk_fma_f32 v[82:83], v[72:73], v[66:67], v[70:71] op_sel:[0,0,1] op_sel_hi:[1,1,0] neg_lo:[0,0,1] neg_hi:[0,0,1]
	v_pk_fma_f32 v[70:71], v[72:73], v[66:67], v[70:71] op_sel:[0,0,1] op_sel_hi:[1,0,0]
	v_mov_b32_e32 v83, v71
	ds_load_2addr_b64 v[70:73], v154 offset0:41 offset1:42
	v_pk_add_f32 v[156:157], v[156:157], v[84:85] neg_lo:[0,1] neg_hi:[0,1]
	v_pk_add_f32 v[178:179], v[178:179], v[82:83] neg_lo:[0,1] neg_hi:[0,1]
	s_wait_dscnt 0x0
	v_dual_mul_f32 v82, v71, v69 :: v_dual_mul_f32 v84, v71, v66
	s_delay_alu instid0(VALU_DEP_1) | instskip(NEXT) | instid1(VALU_DEP_2)
	v_pk_fma_f32 v[82:83], v[70:71], v[146:147], v[82:83] op_sel_hi:[1,1,0] neg_lo:[0,0,1] neg_hi:[0,0,1]
	v_pk_fma_f32 v[70:71], v[70:71], v[146:147], v[84:85] op_sel:[1,0,0] op_sel_hi:[0,1,0]
	s_delay_alu instid0(VALU_DEP_1) | instskip(SKIP_1) | instid1(VALU_DEP_2)
	v_mov_b32_e32 v83, v71
	v_pk_mul_f32 v[70:71], v[72:73], v[68:69] op_sel:[0,1]
	v_pk_add_f32 v[174:175], v[174:175], v[82:83] neg_lo:[0,1] neg_hi:[0,1]
	s_delay_alu instid0(VALU_DEP_2) | instskip(SKIP_1) | instid1(VALU_DEP_1)
	v_pk_fma_f32 v[82:83], v[72:73], v[66:67], v[70:71] op_sel:[0,0,1] op_sel_hi:[1,1,0] neg_lo:[0,0,1] neg_hi:[0,0,1]
	v_pk_fma_f32 v[70:71], v[72:73], v[66:67], v[70:71] op_sel:[0,0,1] op_sel_hi:[1,0,0]
	v_mov_b32_e32 v83, v71
	ds_load_2addr_b64 v[70:73], v154 offset0:43 offset1:44
	v_pk_add_f32 v[176:177], v[176:177], v[82:83] neg_lo:[0,1] neg_hi:[0,1]
	s_wait_dscnt 0x0
	v_pk_mul_f32 v[82:83], v[70:71], v[68:69] op_sel:[0,1]
	s_delay_alu instid0(VALU_DEP_1) | instskip(SKIP_1) | instid1(VALU_DEP_1)
	v_pk_fma_f32 v[84:85], v[70:71], v[66:67], v[82:83] op_sel:[0,0,1] op_sel_hi:[1,1,0] neg_lo:[0,0,1] neg_hi:[0,0,1]
	v_pk_fma_f32 v[70:71], v[70:71], v[66:67], v[82:83] op_sel:[0,0,1] op_sel_hi:[1,0,0]
	v_mov_b32_e32 v85, v71
	v_pk_mul_f32 v[70:71], v[72:73], v[68:69] op_sel:[0,1]
	s_delay_alu instid0(VALU_DEP_2) | instskip(NEXT) | instid1(VALU_DEP_2)
	v_pk_add_f32 v[172:173], v[172:173], v[84:85] neg_lo:[0,1] neg_hi:[0,1]
	v_pk_fma_f32 v[82:83], v[72:73], v[66:67], v[70:71] op_sel:[0,0,1] op_sel_hi:[1,1,0] neg_lo:[0,0,1] neg_hi:[0,0,1]
	v_pk_fma_f32 v[70:71], v[72:73], v[66:67], v[70:71] op_sel:[0,0,1] op_sel_hi:[1,0,0]
	s_delay_alu instid0(VALU_DEP_1) | instskip(SKIP_4) | instid1(VALU_DEP_1)
	v_mov_b32_e32 v83, v71
	ds_load_2addr_b64 v[70:73], v154 offset0:45 offset1:46
	v_pk_add_f32 v[196:197], v[196:197], v[82:83] neg_lo:[0,1] neg_hi:[0,1]
	s_wait_dscnt 0x0
	v_pk_mul_f32 v[82:83], v[70:71], v[68:69] op_sel:[0,1]
	v_pk_fma_f32 v[84:85], v[70:71], v[66:67], v[82:83] op_sel:[0,0,1] op_sel_hi:[1,1,0] neg_lo:[0,0,1] neg_hi:[0,0,1]
	v_pk_fma_f32 v[70:71], v[70:71], v[66:67], v[82:83] op_sel:[0,0,1] op_sel_hi:[1,0,0]
	v_dual_mul_f32 v82, v73, v69 :: v_dual_mov_b32 v70, v73
	s_delay_alu instid0(VALU_DEP_2) | instskip(NEXT) | instid1(VALU_DEP_2)
	v_dual_mov_b32 v85, v71 :: v_dual_mov_b32 v71, v72
	v_pk_fma_f32 v[82:83], v[72:73], v[146:147], v[82:83] op_sel_hi:[1,1,0] neg_lo:[0,0,1] neg_hi:[0,0,1]
	v_mul_f32_e32 v72, v73, v66
	s_delay_alu instid0(VALU_DEP_3) | instskip(NEXT) | instid1(VALU_DEP_2)
	v_pk_add_f32 v[192:193], v[192:193], v[84:85] neg_lo:[0,1] neg_hi:[0,1]
	v_pk_fma_f32 v[70:71], v[70:71], v[146:147], v[72:73] op_sel_hi:[1,1,0]
	s_delay_alu instid0(VALU_DEP_1) | instskip(SKIP_4) | instid1(VALU_DEP_1)
	v_mov_b32_e32 v83, v71
	ds_load_2addr_b64 v[70:73], v154 offset0:47 offset1:48
	v_pk_add_f32 v[194:195], v[194:195], v[82:83] neg_lo:[0,1] neg_hi:[0,1]
	s_wait_dscnt 0x0
	v_pk_mul_f32 v[82:83], v[70:71], v[68:69] op_sel:[0,1]
	v_pk_fma_f32 v[84:85], v[70:71], v[66:67], v[82:83] op_sel:[0,0,1] op_sel_hi:[1,1,0] neg_lo:[0,0,1] neg_hi:[0,0,1]
	v_pk_fma_f32 v[70:71], v[70:71], v[66:67], v[82:83] op_sel:[0,0,1] op_sel_hi:[1,0,0]
	s_delay_alu instid0(VALU_DEP_1) | instskip(SKIP_1) | instid1(VALU_DEP_1)
	v_mov_b32_e32 v85, v71
	v_pk_mul_f32 v[70:71], v[72:73], v[68:69] op_sel:[0,1]
	v_pk_fma_f32 v[82:83], v[72:73], v[66:67], v[70:71] op_sel:[0,0,1] op_sel_hi:[1,1,0] neg_lo:[0,0,1] neg_hi:[0,0,1]
	v_pk_fma_f32 v[70:71], v[72:73], v[66:67], v[70:71] op_sel:[0,0,1] op_sel_hi:[1,0,0]
	s_delay_alu instid0(VALU_DEP_1)
	v_mov_b32_e32 v83, v71
	ds_load_2addr_b64 v[70:73], v154 offset0:49 offset1:50
	v_pk_add_f32 v[190:191], v[190:191], v[84:85] neg_lo:[0,1] neg_hi:[0,1]
	v_pk_add_f32 v[216:217], v[216:217], v[82:83] neg_lo:[0,1] neg_hi:[0,1]
	s_wait_dscnt 0x0
	v_pk_mul_f32 v[82:83], v[70:71], v[68:69] op_sel:[0,1]
	s_delay_alu instid0(VALU_DEP_1) | instskip(SKIP_1) | instid1(VALU_DEP_1)
	v_pk_fma_f32 v[84:85], v[70:71], v[66:67], v[82:83] op_sel:[0,0,1] op_sel_hi:[1,1,0] neg_lo:[0,0,1] neg_hi:[0,0,1]
	v_pk_fma_f32 v[70:71], v[70:71], v[66:67], v[82:83] op_sel:[0,0,1] op_sel_hi:[1,0,0]
	v_mov_b32_e32 v85, v71
	v_pk_mul_f32 v[70:71], v[72:73], v[68:69] op_sel:[0,1]
	s_delay_alu instid0(VALU_DEP_1) | instskip(SKIP_1) | instid1(VALU_DEP_1)
	v_pk_fma_f32 v[82:83], v[72:73], v[66:67], v[70:71] op_sel:[0,0,1] op_sel_hi:[1,1,0] neg_lo:[0,0,1] neg_hi:[0,0,1]
	v_pk_fma_f32 v[70:71], v[72:73], v[66:67], v[70:71] op_sel:[0,0,1] op_sel_hi:[1,0,0]
	v_mov_b32_e32 v83, v71
	ds_load_2addr_b64 v[70:73], v154 offset0:51 offset1:52
	v_pk_add_f32 v[210:211], v[210:211], v[84:85] neg_lo:[0,1] neg_hi:[0,1]
	v_pk_add_f32 v[214:215], v[214:215], v[82:83] neg_lo:[0,1] neg_hi:[0,1]
	s_wait_dscnt 0x0
	v_dual_mul_f32 v82, v71, v69 :: v_dual_mul_f32 v84, v71, v66
	s_delay_alu instid0(VALU_DEP_1) | instskip(NEXT) | instid1(VALU_DEP_2)
	v_pk_fma_f32 v[82:83], v[70:71], v[146:147], v[82:83] op_sel_hi:[1,1,0] neg_lo:[0,0,1] neg_hi:[0,0,1]
	v_pk_fma_f32 v[70:71], v[70:71], v[146:147], v[84:85] op_sel:[1,0,0] op_sel_hi:[0,1,0]
	s_delay_alu instid0(VALU_DEP_1) | instskip(SKIP_1) | instid1(VALU_DEP_2)
	v_mov_b32_e32 v83, v71
	v_pk_mul_f32 v[70:71], v[72:73], v[68:69] op_sel:[0,1]
	v_pk_add_f32 v[208:209], v[208:209], v[82:83] neg_lo:[0,1] neg_hi:[0,1]
	s_delay_alu instid0(VALU_DEP_2) | instskip(SKIP_1) | instid1(VALU_DEP_1)
	v_pk_fma_f32 v[82:83], v[72:73], v[66:67], v[70:71] op_sel:[0,0,1] op_sel_hi:[1,1,0] neg_lo:[0,0,1] neg_hi:[0,0,1]
	v_pk_fma_f32 v[70:71], v[72:73], v[66:67], v[70:71] op_sel:[0,0,1] op_sel_hi:[1,0,0]
	v_mov_b32_e32 v83, v71
	ds_load_2addr_b64 v[70:73], v154 offset0:53 offset1:54
	v_pk_add_f32 v[212:213], v[212:213], v[82:83] neg_lo:[0,1] neg_hi:[0,1]
	s_wait_dscnt 0x0
	v_pk_mul_f32 v[82:83], v[70:71], v[68:69] op_sel:[0,1]
	v_pk_mul_f32 v[68:69], v[72:73], v[68:69] op_sel:[0,1]
	s_delay_alu instid0(VALU_DEP_2) | instskip(SKIP_1) | instid1(VALU_DEP_1)
	v_pk_fma_f32 v[84:85], v[70:71], v[66:67], v[82:83] op_sel:[0,0,1] op_sel_hi:[1,1,0] neg_lo:[0,0,1] neg_hi:[0,0,1]
	v_pk_fma_f32 v[70:71], v[70:71], v[66:67], v[82:83] op_sel:[0,0,1] op_sel_hi:[1,0,0]
	v_mov_b32_e32 v85, v71
	s_delay_alu instid0(VALU_DEP_4) | instskip(SKIP_1) | instid1(VALU_DEP_3)
	v_pk_fma_f32 v[70:71], v[72:73], v[66:67], v[68:69] op_sel:[0,0,1] op_sel_hi:[1,1,0] neg_lo:[0,0,1] neg_hi:[0,0,1]
	v_pk_fma_f32 v[66:67], v[72:73], v[66:67], v[68:69] op_sel:[0,0,1] op_sel_hi:[1,0,0]
	v_pk_add_f32 v[218:219], v[218:219], v[84:85] neg_lo:[0,1] neg_hi:[0,1]
	s_delay_alu instid0(VALU_DEP_2) | instskip(NEXT) | instid1(VALU_DEP_1)
	v_mov_b32_e32 v71, v67
	v_pk_add_f32 v[220:221], v[220:221], v[70:71] neg_lo:[0,1] neg_hi:[0,1]
.LBB109_298:
	s_or_b32 exec_lo, exec_lo, s1
	s_delay_alu instid0(SALU_CYCLE_1)
	s_mov_b32 s2, exec_lo
	s_wait_dscnt 0x0
	s_barrier_signal -1
	s_barrier_wait -1
	v_cmpx_eq_u32_e32 33, v152
	s_cbranch_execz .LBB109_305
; %bb.299:
	v_dual_mov_b32 v66, v144 :: v_dual_mov_b32 v67, v145
	v_dual_mov_b32 v68, v140 :: v_dual_mov_b32 v69, v141
	ds_store_b64 v153, v[142:143]
	ds_store_2addr_b64 v154, v[66:67], v[68:69] offset0:34 offset1:35
	v_dual_mov_b32 v66, v162 :: v_dual_mov_b32 v67, v163
	v_dual_mov_b32 v68, v158 :: v_dual_mov_b32 v69, v159
	ds_store_2addr_b64 v154, v[66:67], v[68:69] offset0:36 offset1:37
	v_dual_mov_b32 v66, v160 :: v_dual_mov_b32 v67, v161
	v_dual_mov_b32 v68, v156 :: v_dual_mov_b32 v69, v157
	;; [unrolled: 3-line block ×9, first 2 shown]
	ds_store_2addr_b64 v154, v[66:67], v[68:69] offset0:52 offset1:53
	ds_store_b64 v154, v[220:221] offset:432
	ds_load_b64 v[66:67], v153
	s_wait_dscnt 0x0
	v_cmp_neq_f32_e32 vcc_lo, 0, v66
	v_cmp_neq_f32_e64 s1, 0, v67
	s_or_b32 s1, vcc_lo, s1
	s_delay_alu instid0(SALU_CYCLE_1)
	s_and_b32 exec_lo, exec_lo, s1
	s_cbranch_execz .LBB109_305
; %bb.300:
	v_cmp_ngt_f32_e64 s1, |v66|, |v67|
                                        ; implicit-def: $vgpr68_vgpr69
	s_and_saveexec_b32 s4, s1
	s_delay_alu instid0(SALU_CYCLE_1)
	s_xor_b32 s1, exec_lo, s4
	s_cbranch_execz .LBB109_302
; %bb.301:
	v_div_scale_f32 v68, null, v67, v67, v66
	v_div_scale_f32 v71, vcc_lo, v66, v67, v66
	s_delay_alu instid0(VALU_DEP_2) | instskip(SKIP_1) | instid1(TRANS32_DEP_1)
	v_rcp_f32_e32 v69, v68
	v_nop
	v_fma_f32 v70, -v68, v69, 1.0
	s_delay_alu instid0(VALU_DEP_1) | instskip(NEXT) | instid1(VALU_DEP_1)
	v_fmac_f32_e32 v69, v70, v69
	v_mul_f32_e32 v70, v71, v69
	s_delay_alu instid0(VALU_DEP_1) | instskip(NEXT) | instid1(VALU_DEP_1)
	v_fma_f32 v72, -v68, v70, v71
	v_fmac_f32_e32 v70, v72, v69
	s_delay_alu instid0(VALU_DEP_1) | instskip(NEXT) | instid1(VALU_DEP_1)
	v_fma_f32 v68, -v68, v70, v71
	v_div_fmas_f32 v68, v68, v69, v70
	s_delay_alu instid0(VALU_DEP_1) | instskip(NEXT) | instid1(VALU_DEP_1)
	v_div_fixup_f32 v68, v68, v67, v66
	v_fmac_f32_e32 v67, v66, v68
	s_delay_alu instid0(VALU_DEP_1) | instskip(SKIP_1) | instid1(VALU_DEP_2)
	v_div_scale_f32 v66, null, v67, v67, 1.0
	v_div_scale_f32 v71, vcc_lo, 1.0, v67, 1.0
	v_rcp_f32_e32 v69, v66
	v_nop
	s_delay_alu instid0(TRANS32_DEP_1) | instskip(NEXT) | instid1(VALU_DEP_1)
	v_fma_f32 v70, -v66, v69, 1.0
	v_fmac_f32_e32 v69, v70, v69
	s_delay_alu instid0(VALU_DEP_1) | instskip(NEXT) | instid1(VALU_DEP_1)
	v_mul_f32_e32 v70, v71, v69
	v_fma_f32 v72, -v66, v70, v71
	s_delay_alu instid0(VALU_DEP_1) | instskip(NEXT) | instid1(VALU_DEP_1)
	v_fmac_f32_e32 v70, v72, v69
	v_fma_f32 v66, -v66, v70, v71
	s_delay_alu instid0(VALU_DEP_1) | instskip(NEXT) | instid1(VALU_DEP_1)
	v_div_fmas_f32 v66, v66, v69, v70
	v_div_fixup_f32 v66, v66, v67, 1.0
	s_delay_alu instid0(VALU_DEP_1)
	v_mul_f32_e32 v68, v68, v66
	v_xor_b32_e32 v69, 0x80000000, v66
                                        ; implicit-def: $vgpr66_vgpr67
.LBB109_302:
	s_and_not1_saveexec_b32 s1, s1
	s_cbranch_execz .LBB109_304
; %bb.303:
	v_div_scale_f32 v68, null, v66, v66, v67
	v_div_scale_f32 v71, vcc_lo, v67, v66, v67
	s_delay_alu instid0(VALU_DEP_2) | instskip(SKIP_1) | instid1(TRANS32_DEP_1)
	v_rcp_f32_e32 v69, v68
	v_nop
	v_fma_f32 v70, -v68, v69, 1.0
	s_delay_alu instid0(VALU_DEP_1) | instskip(NEXT) | instid1(VALU_DEP_1)
	v_fmac_f32_e32 v69, v70, v69
	v_mul_f32_e32 v70, v71, v69
	s_delay_alu instid0(VALU_DEP_1) | instskip(NEXT) | instid1(VALU_DEP_1)
	v_fma_f32 v72, -v68, v70, v71
	v_fmac_f32_e32 v70, v72, v69
	s_delay_alu instid0(VALU_DEP_1) | instskip(NEXT) | instid1(VALU_DEP_1)
	v_fma_f32 v68, -v68, v70, v71
	v_div_fmas_f32 v68, v68, v69, v70
	s_delay_alu instid0(VALU_DEP_1) | instskip(NEXT) | instid1(VALU_DEP_1)
	v_div_fixup_f32 v69, v68, v66, v67
	v_fmac_f32_e32 v66, v67, v69
	s_delay_alu instid0(VALU_DEP_1) | instskip(NEXT) | instid1(VALU_DEP_1)
	v_div_scale_f32 v67, null, v66, v66, 1.0
	v_rcp_f32_e32 v68, v67
	v_nop
	s_delay_alu instid0(TRANS32_DEP_1) | instskip(NEXT) | instid1(VALU_DEP_1)
	v_fma_f32 v70, -v67, v68, 1.0
	v_fmac_f32_e32 v68, v70, v68
	v_div_scale_f32 v70, vcc_lo, 1.0, v66, 1.0
	s_delay_alu instid0(VALU_DEP_1) | instskip(NEXT) | instid1(VALU_DEP_1)
	v_mul_f32_e32 v71, v70, v68
	v_fma_f32 v72, -v67, v71, v70
	s_delay_alu instid0(VALU_DEP_1) | instskip(NEXT) | instid1(VALU_DEP_1)
	v_fmac_f32_e32 v71, v72, v68
	v_fma_f32 v67, -v67, v71, v70
	s_delay_alu instid0(VALU_DEP_1) | instskip(NEXT) | instid1(VALU_DEP_1)
	v_div_fmas_f32 v67, v67, v68, v71
	v_div_fixup_f32 v68, v67, v66, 1.0
	s_delay_alu instid0(VALU_DEP_1)
	v_mul_f32_e64 v69, v69, -v68
.LBB109_304:
	s_or_b32 exec_lo, exec_lo, s1
	ds_store_b64 v153, v[68:69]
.LBB109_305:
	s_or_b32 exec_lo, exec_lo, s2
	s_wait_dscnt 0x0
	s_barrier_signal -1
	s_barrier_wait -1
	ds_load_b64 v[66:67], v153
	s_mov_b32 s1, exec_lo
	v_cmpx_lt_u32_e32 33, v152
	s_cbranch_execz .LBB109_307
; %bb.306:
	ds_load_2addr_b64 v[82:85], v154 offset0:34 offset1:35
	s_wait_dscnt 0x1
	v_pk_mul_f32 v[70:71], v[66:67], v[142:143] op_sel:[1,1] op_sel_hi:[0,1]
	s_delay_alu instid0(VALU_DEP_1) | instskip(SKIP_1) | instid1(VALU_DEP_1)
	v_pk_fma_f32 v[68:69], v[66:67], v[142:143], v[70:71] op_sel_hi:[1,0,1] neg_lo:[0,0,1] neg_hi:[0,0,1]
	v_pk_fma_f32 v[70:71], v[66:67], v[142:143], v[70:71] op_sel_hi:[1,0,1]
	v_dual_mov_b32 v142, v68 :: v_dual_mov_b32 v143, v71
	s_wait_dscnt 0x0
	s_delay_alu instid0(VALU_DEP_2) | instskip(NEXT) | instid1(VALU_DEP_1)
	v_pk_mul_f32 v[72:73], v[82:83], v[70:71] op_sel:[0,1]
	v_pk_fma_f32 v[86:87], v[82:83], v[68:69], v[72:73] op_sel:[0,0,1] op_sel_hi:[1,1,0] neg_lo:[0,0,1] neg_hi:[0,0,1]
	v_pk_fma_f32 v[72:73], v[82:83], v[68:69], v[72:73] op_sel:[0,0,1] op_sel_hi:[1,0,0]
	s_delay_alu instid0(VALU_DEP_1) | instskip(SKIP_1) | instid1(VALU_DEP_1)
	v_mov_b32_e32 v87, v73
	v_pk_mul_f32 v[72:73], v[84:85], v[70:71] op_sel:[0,1]
	v_pk_fma_f32 v[82:83], v[84:85], v[68:69], v[72:73] op_sel:[0,0,1] op_sel_hi:[1,1,0] neg_lo:[0,0,1] neg_hi:[0,0,1]
	v_pk_fma_f32 v[72:73], v[84:85], v[68:69], v[72:73] op_sel:[0,0,1] op_sel_hi:[1,0,0]
	s_delay_alu instid0(VALU_DEP_1) | instskip(SKIP_1) | instid1(VALU_DEP_2)
	v_mov_b32_e32 v83, v73
	v_pk_add_f32 v[144:145], v[144:145], v[86:87] neg_lo:[0,1] neg_hi:[0,1]
	v_pk_add_f32 v[140:141], v[140:141], v[82:83] neg_lo:[0,1] neg_hi:[0,1]
	ds_load_2addr_b64 v[82:85], v154 offset0:36 offset1:37
	s_wait_dscnt 0x0
	v_pk_mul_f32 v[72:73], v[82:83], v[70:71] op_sel:[0,1]
	s_delay_alu instid0(VALU_DEP_1) | instskip(SKIP_2) | instid1(VALU_DEP_2)
	v_pk_fma_f32 v[86:87], v[82:83], v[68:69], v[72:73] op_sel:[0,0,1] op_sel_hi:[1,1,0] neg_lo:[0,0,1] neg_hi:[0,0,1]
	v_pk_fma_f32 v[72:73], v[82:83], v[68:69], v[72:73] op_sel:[0,0,1] op_sel_hi:[1,0,0]
	v_dual_mul_f32 v82, v85, v71 :: v_dual_mov_b32 v72, v85
	v_dual_mov_b32 v87, v73 :: v_dual_mov_b32 v73, v84
	s_delay_alu instid0(VALU_DEP_2) | instskip(SKIP_1) | instid1(VALU_DEP_3)
	v_pk_fma_f32 v[82:83], v[84:85], v[142:143], v[82:83] op_sel_hi:[1,1,0] neg_lo:[0,0,1] neg_hi:[0,0,1]
	v_mul_f32_e32 v84, v85, v68
	v_pk_add_f32 v[162:163], v[162:163], v[86:87] neg_lo:[0,1] neg_hi:[0,1]
	s_delay_alu instid0(VALU_DEP_2) | instskip(NEXT) | instid1(VALU_DEP_1)
	v_pk_fma_f32 v[72:73], v[72:73], v[142:143], v[84:85] op_sel_hi:[1,1,0]
	v_mov_b32_e32 v83, v73
	s_delay_alu instid0(VALU_DEP_1) | instskip(SKIP_3) | instid1(VALU_DEP_1)
	v_pk_add_f32 v[158:159], v[158:159], v[82:83] neg_lo:[0,1] neg_hi:[0,1]
	ds_load_2addr_b64 v[82:85], v154 offset0:38 offset1:39
	s_wait_dscnt 0x0
	v_pk_mul_f32 v[72:73], v[82:83], v[70:71] op_sel:[0,1]
	v_pk_fma_f32 v[86:87], v[82:83], v[68:69], v[72:73] op_sel:[0,0,1] op_sel_hi:[1,1,0] neg_lo:[0,0,1] neg_hi:[0,0,1]
	v_pk_fma_f32 v[72:73], v[82:83], v[68:69], v[72:73] op_sel:[0,0,1] op_sel_hi:[1,0,0]
	s_delay_alu instid0(VALU_DEP_1) | instskip(SKIP_1) | instid1(VALU_DEP_2)
	v_mov_b32_e32 v87, v73
	v_pk_mul_f32 v[72:73], v[84:85], v[70:71] op_sel:[0,1]
	v_pk_add_f32 v[160:161], v[160:161], v[86:87] neg_lo:[0,1] neg_hi:[0,1]
	s_delay_alu instid0(VALU_DEP_2) | instskip(SKIP_1) | instid1(VALU_DEP_1)
	v_pk_fma_f32 v[82:83], v[84:85], v[68:69], v[72:73] op_sel:[0,0,1] op_sel_hi:[1,1,0] neg_lo:[0,0,1] neg_hi:[0,0,1]
	v_pk_fma_f32 v[72:73], v[84:85], v[68:69], v[72:73] op_sel:[0,0,1] op_sel_hi:[1,0,0]
	v_mov_b32_e32 v83, v73
	s_delay_alu instid0(VALU_DEP_1) | instskip(SKIP_3) | instid1(VALU_DEP_1)
	v_pk_add_f32 v[156:157], v[156:157], v[82:83] neg_lo:[0,1] neg_hi:[0,1]
	ds_load_2addr_b64 v[82:85], v154 offset0:40 offset1:41
	s_wait_dscnt 0x0
	v_pk_mul_f32 v[72:73], v[82:83], v[70:71] op_sel:[0,1]
	v_pk_fma_f32 v[86:87], v[82:83], v[68:69], v[72:73] op_sel:[0,0,1] op_sel_hi:[1,1,0] neg_lo:[0,0,1] neg_hi:[0,0,1]
	v_pk_fma_f32 v[72:73], v[82:83], v[68:69], v[72:73] op_sel:[0,0,1] op_sel_hi:[1,0,0]
	s_delay_alu instid0(VALU_DEP_1) | instskip(SKIP_1) | instid1(VALU_DEP_2)
	v_mov_b32_e32 v87, v73
	v_pk_mul_f32 v[72:73], v[84:85], v[70:71] op_sel:[0,1]
	v_pk_add_f32 v[178:179], v[178:179], v[86:87] neg_lo:[0,1] neg_hi:[0,1]
	s_delay_alu instid0(VALU_DEP_2) | instskip(SKIP_1) | instid1(VALU_DEP_1)
	v_pk_fma_f32 v[82:83], v[84:85], v[68:69], v[72:73] op_sel:[0,0,1] op_sel_hi:[1,1,0] neg_lo:[0,0,1] neg_hi:[0,0,1]
	v_pk_fma_f32 v[72:73], v[84:85], v[68:69], v[72:73] op_sel:[0,0,1] op_sel_hi:[1,0,0]
	v_mov_b32_e32 v83, v73
	s_delay_alu instid0(VALU_DEP_1) | instskip(SKIP_3) | instid1(VALU_DEP_1)
	v_pk_add_f32 v[174:175], v[174:175], v[82:83] neg_lo:[0,1] neg_hi:[0,1]
	ds_load_2addr_b64 v[82:85], v154 offset0:42 offset1:43
	s_wait_dscnt 0x0
	v_dual_mul_f32 v72, v83, v71 :: v_dual_mul_f32 v86, v83, v68
	v_pk_fma_f32 v[72:73], v[82:83], v[142:143], v[72:73] op_sel_hi:[1,1,0] neg_lo:[0,0,1] neg_hi:[0,0,1]
	s_delay_alu instid0(VALU_DEP_2) | instskip(NEXT) | instid1(VALU_DEP_1)
	v_pk_fma_f32 v[82:83], v[82:83], v[142:143], v[86:87] op_sel:[1,0,0] op_sel_hi:[0,1,0]
	v_mov_b32_e32 v73, v83
	s_delay_alu instid0(VALU_DEP_1) | instskip(SKIP_1) | instid1(VALU_DEP_1)
	v_pk_add_f32 v[176:177], v[176:177], v[72:73] neg_lo:[0,1] neg_hi:[0,1]
	v_pk_mul_f32 v[72:73], v[84:85], v[70:71] op_sel:[0,1]
	v_pk_fma_f32 v[82:83], v[84:85], v[68:69], v[72:73] op_sel:[0,0,1] op_sel_hi:[1,1,0] neg_lo:[0,0,1] neg_hi:[0,0,1]
	v_pk_fma_f32 v[72:73], v[84:85], v[68:69], v[72:73] op_sel:[0,0,1] op_sel_hi:[1,0,0]
	s_delay_alu instid0(VALU_DEP_1) | instskip(NEXT) | instid1(VALU_DEP_1)
	v_mov_b32_e32 v83, v73
	v_pk_add_f32 v[172:173], v[172:173], v[82:83] neg_lo:[0,1] neg_hi:[0,1]
	ds_load_2addr_b64 v[82:85], v154 offset0:44 offset1:45
	s_wait_dscnt 0x0
	v_pk_mul_f32 v[72:73], v[82:83], v[70:71] op_sel:[0,1]
	s_delay_alu instid0(VALU_DEP_1) | instskip(SKIP_1) | instid1(VALU_DEP_1)
	v_pk_fma_f32 v[86:87], v[82:83], v[68:69], v[72:73] op_sel:[0,0,1] op_sel_hi:[1,1,0] neg_lo:[0,0,1] neg_hi:[0,0,1]
	v_pk_fma_f32 v[72:73], v[82:83], v[68:69], v[72:73] op_sel:[0,0,1] op_sel_hi:[1,0,0]
	v_mov_b32_e32 v87, v73
	v_pk_mul_f32 v[72:73], v[84:85], v[70:71] op_sel:[0,1]
	s_delay_alu instid0(VALU_DEP_2) | instskip(NEXT) | instid1(VALU_DEP_2)
	v_pk_add_f32 v[196:197], v[196:197], v[86:87] neg_lo:[0,1] neg_hi:[0,1]
	v_pk_fma_f32 v[82:83], v[84:85], v[68:69], v[72:73] op_sel:[0,0,1] op_sel_hi:[1,1,0] neg_lo:[0,0,1] neg_hi:[0,0,1]
	v_pk_fma_f32 v[72:73], v[84:85], v[68:69], v[72:73] op_sel:[0,0,1] op_sel_hi:[1,0,0]
	s_delay_alu instid0(VALU_DEP_1) | instskip(NEXT) | instid1(VALU_DEP_1)
	v_mov_b32_e32 v83, v73
	v_pk_add_f32 v[192:193], v[192:193], v[82:83] neg_lo:[0,1] neg_hi:[0,1]
	ds_load_2addr_b64 v[82:85], v154 offset0:46 offset1:47
	s_wait_dscnt 0x0
	v_pk_mul_f32 v[72:73], v[82:83], v[70:71] op_sel:[0,1]
	s_delay_alu instid0(VALU_DEP_1) | instskip(SKIP_2) | instid1(VALU_DEP_2)
	v_pk_fma_f32 v[86:87], v[82:83], v[68:69], v[72:73] op_sel:[0,0,1] op_sel_hi:[1,1,0] neg_lo:[0,0,1] neg_hi:[0,0,1]
	v_pk_fma_f32 v[72:73], v[82:83], v[68:69], v[72:73] op_sel:[0,0,1] op_sel_hi:[1,0,0]
	v_dual_mul_f32 v82, v85, v71 :: v_dual_mov_b32 v72, v85
	v_dual_mov_b32 v87, v73 :: v_dual_mov_b32 v73, v84
	s_delay_alu instid0(VALU_DEP_2) | instskip(SKIP_1) | instid1(VALU_DEP_3)
	v_pk_fma_f32 v[82:83], v[84:85], v[142:143], v[82:83] op_sel_hi:[1,1,0] neg_lo:[0,0,1] neg_hi:[0,0,1]
	v_mul_f32_e32 v84, v85, v68
	v_pk_add_f32 v[194:195], v[194:195], v[86:87] neg_lo:[0,1] neg_hi:[0,1]
	s_delay_alu instid0(VALU_DEP_2) | instskip(NEXT) | instid1(VALU_DEP_1)
	v_pk_fma_f32 v[72:73], v[72:73], v[142:143], v[84:85] op_sel_hi:[1,1,0]
	v_mov_b32_e32 v83, v73
	s_delay_alu instid0(VALU_DEP_1) | instskip(SKIP_3) | instid1(VALU_DEP_1)
	v_pk_add_f32 v[190:191], v[190:191], v[82:83] neg_lo:[0,1] neg_hi:[0,1]
	ds_load_2addr_b64 v[82:85], v154 offset0:48 offset1:49
	s_wait_dscnt 0x0
	v_pk_mul_f32 v[72:73], v[82:83], v[70:71] op_sel:[0,1]
	v_pk_fma_f32 v[86:87], v[82:83], v[68:69], v[72:73] op_sel:[0,0,1] op_sel_hi:[1,1,0] neg_lo:[0,0,1] neg_hi:[0,0,1]
	v_pk_fma_f32 v[72:73], v[82:83], v[68:69], v[72:73] op_sel:[0,0,1] op_sel_hi:[1,0,0]
	s_delay_alu instid0(VALU_DEP_1) | instskip(SKIP_1) | instid1(VALU_DEP_2)
	v_mov_b32_e32 v87, v73
	v_pk_mul_f32 v[72:73], v[84:85], v[70:71] op_sel:[0,1]
	v_pk_add_f32 v[216:217], v[216:217], v[86:87] neg_lo:[0,1] neg_hi:[0,1]
	s_delay_alu instid0(VALU_DEP_2) | instskip(SKIP_1) | instid1(VALU_DEP_1)
	v_pk_fma_f32 v[82:83], v[84:85], v[68:69], v[72:73] op_sel:[0,0,1] op_sel_hi:[1,1,0] neg_lo:[0,0,1] neg_hi:[0,0,1]
	v_pk_fma_f32 v[72:73], v[84:85], v[68:69], v[72:73] op_sel:[0,0,1] op_sel_hi:[1,0,0]
	v_mov_b32_e32 v83, v73
	s_delay_alu instid0(VALU_DEP_1) | instskip(SKIP_3) | instid1(VALU_DEP_1)
	v_pk_add_f32 v[210:211], v[210:211], v[82:83] neg_lo:[0,1] neg_hi:[0,1]
	ds_load_2addr_b64 v[82:85], v154 offset0:50 offset1:51
	s_wait_dscnt 0x0
	v_pk_mul_f32 v[72:73], v[82:83], v[70:71] op_sel:[0,1]
	v_pk_fma_f32 v[86:87], v[82:83], v[68:69], v[72:73] op_sel:[0,0,1] op_sel_hi:[1,1,0] neg_lo:[0,0,1] neg_hi:[0,0,1]
	v_pk_fma_f32 v[72:73], v[82:83], v[68:69], v[72:73] op_sel:[0,0,1] op_sel_hi:[1,0,0]
	s_delay_alu instid0(VALU_DEP_1) | instskip(SKIP_1) | instid1(VALU_DEP_2)
	v_mov_b32_e32 v87, v73
	v_pk_mul_f32 v[72:73], v[84:85], v[70:71] op_sel:[0,1]
	v_pk_add_f32 v[214:215], v[214:215], v[86:87] neg_lo:[0,1] neg_hi:[0,1]
	s_delay_alu instid0(VALU_DEP_2) | instskip(SKIP_1) | instid1(VALU_DEP_1)
	v_pk_fma_f32 v[82:83], v[84:85], v[68:69], v[72:73] op_sel:[0,0,1] op_sel_hi:[1,1,0] neg_lo:[0,0,1] neg_hi:[0,0,1]
	v_pk_fma_f32 v[72:73], v[84:85], v[68:69], v[72:73] op_sel:[0,0,1] op_sel_hi:[1,0,0]
	v_mov_b32_e32 v83, v73
	s_delay_alu instid0(VALU_DEP_1) | instskip(SKIP_3) | instid1(VALU_DEP_1)
	v_pk_add_f32 v[208:209], v[208:209], v[82:83] neg_lo:[0,1] neg_hi:[0,1]
	ds_load_2addr_b64 v[82:85], v154 offset0:52 offset1:53
	s_wait_dscnt 0x0
	v_dual_mul_f32 v72, v83, v71 :: v_dual_mul_f32 v86, v83, v68
	v_pk_fma_f32 v[72:73], v[82:83], v[142:143], v[72:73] op_sel_hi:[1,1,0] neg_lo:[0,0,1] neg_hi:[0,0,1]
	s_delay_alu instid0(VALU_DEP_2) | instskip(NEXT) | instid1(VALU_DEP_1)
	v_pk_fma_f32 v[82:83], v[82:83], v[142:143], v[86:87] op_sel:[1,0,0] op_sel_hi:[0,1,0]
	v_mov_b32_e32 v73, v83
	s_delay_alu instid0(VALU_DEP_1) | instskip(SKIP_1) | instid1(VALU_DEP_1)
	v_pk_add_f32 v[212:213], v[212:213], v[72:73] neg_lo:[0,1] neg_hi:[0,1]
	v_pk_mul_f32 v[72:73], v[84:85], v[70:71] op_sel:[0,1]
	v_pk_fma_f32 v[82:83], v[84:85], v[68:69], v[72:73] op_sel:[0,0,1] op_sel_hi:[1,1,0] neg_lo:[0,0,1] neg_hi:[0,0,1]
	v_pk_fma_f32 v[72:73], v[84:85], v[68:69], v[72:73] op_sel:[0,0,1] op_sel_hi:[1,0,0]
	s_delay_alu instid0(VALU_DEP_1) | instskip(SKIP_4) | instid1(VALU_DEP_1)
	v_mov_b32_e32 v83, v73
	ds_load_b64 v[72:73], v154 offset:432
	v_pk_add_f32 v[218:219], v[218:219], v[82:83] neg_lo:[0,1] neg_hi:[0,1]
	s_wait_dscnt 0x0
	v_pk_mul_f32 v[70:71], v[72:73], v[70:71] op_sel:[0,1]
	v_pk_fma_f32 v[82:83], v[72:73], v[68:69], v[70:71] op_sel:[0,0,1] op_sel_hi:[1,1,0] neg_lo:[0,0,1] neg_hi:[0,0,1]
	v_pk_fma_f32 v[68:69], v[72:73], v[68:69], v[70:71] op_sel:[0,0,1] op_sel_hi:[1,0,0]
	s_delay_alu instid0(VALU_DEP_1) | instskip(NEXT) | instid1(VALU_DEP_1)
	v_mov_b32_e32 v83, v69
	v_pk_add_f32 v[220:221], v[220:221], v[82:83] neg_lo:[0,1] neg_hi:[0,1]
.LBB109_307:
	s_or_b32 exec_lo, exec_lo, s1
	s_delay_alu instid0(SALU_CYCLE_1)
	s_mov_b32 s2, exec_lo
	s_wait_dscnt 0x0
	s_barrier_signal -1
	s_barrier_wait -1
	v_cmpx_eq_u32_e32 34, v152
	s_cbranch_execz .LBB109_314
; %bb.308:
	ds_store_b64 v153, v[144:145]
	ds_store_2addr_b64 v154, v[140:141], v[162:163] offset0:35 offset1:36
	ds_store_2addr_b64 v154, v[158:159], v[160:161] offset0:37 offset1:38
	;; [unrolled: 1-line block ×10, first 2 shown]
	ds_load_b64 v[68:69], v153
	s_wait_dscnt 0x0
	v_cmp_neq_f32_e32 vcc_lo, 0, v68
	v_cmp_neq_f32_e64 s1, 0, v69
	s_or_b32 s1, vcc_lo, s1
	s_delay_alu instid0(SALU_CYCLE_1)
	s_and_b32 exec_lo, exec_lo, s1
	s_cbranch_execz .LBB109_314
; %bb.309:
	v_cmp_ngt_f32_e64 s1, |v68|, |v69|
                                        ; implicit-def: $vgpr70_vgpr71
	s_and_saveexec_b32 s4, s1
	s_delay_alu instid0(SALU_CYCLE_1)
	s_xor_b32 s1, exec_lo, s4
	s_cbranch_execz .LBB109_311
; %bb.310:
	v_div_scale_f32 v70, null, v69, v69, v68
	v_div_scale_f32 v73, vcc_lo, v68, v69, v68
	s_delay_alu instid0(VALU_DEP_2) | instskip(SKIP_1) | instid1(TRANS32_DEP_1)
	v_rcp_f32_e32 v71, v70
	v_nop
	v_fma_f32 v72, -v70, v71, 1.0
	s_delay_alu instid0(VALU_DEP_1) | instskip(NEXT) | instid1(VALU_DEP_1)
	v_fmac_f32_e32 v71, v72, v71
	v_mul_f32_e32 v72, v73, v71
	s_delay_alu instid0(VALU_DEP_1) | instskip(NEXT) | instid1(VALU_DEP_1)
	v_fma_f32 v82, -v70, v72, v73
	v_fmac_f32_e32 v72, v82, v71
	s_delay_alu instid0(VALU_DEP_1) | instskip(NEXT) | instid1(VALU_DEP_1)
	v_fma_f32 v70, -v70, v72, v73
	v_div_fmas_f32 v70, v70, v71, v72
	s_delay_alu instid0(VALU_DEP_1) | instskip(NEXT) | instid1(VALU_DEP_1)
	v_div_fixup_f32 v70, v70, v69, v68
	v_fmac_f32_e32 v69, v68, v70
	s_delay_alu instid0(VALU_DEP_1) | instskip(SKIP_1) | instid1(VALU_DEP_2)
	v_div_scale_f32 v68, null, v69, v69, 1.0
	v_div_scale_f32 v73, vcc_lo, 1.0, v69, 1.0
	v_rcp_f32_e32 v71, v68
	v_nop
	s_delay_alu instid0(TRANS32_DEP_1) | instskip(NEXT) | instid1(VALU_DEP_1)
	v_fma_f32 v72, -v68, v71, 1.0
	v_fmac_f32_e32 v71, v72, v71
	s_delay_alu instid0(VALU_DEP_1) | instskip(NEXT) | instid1(VALU_DEP_1)
	v_mul_f32_e32 v72, v73, v71
	v_fma_f32 v82, -v68, v72, v73
	s_delay_alu instid0(VALU_DEP_1) | instskip(NEXT) | instid1(VALU_DEP_1)
	v_fmac_f32_e32 v72, v82, v71
	v_fma_f32 v68, -v68, v72, v73
	s_delay_alu instid0(VALU_DEP_1) | instskip(NEXT) | instid1(VALU_DEP_1)
	v_div_fmas_f32 v68, v68, v71, v72
	v_div_fixup_f32 v68, v68, v69, 1.0
	s_delay_alu instid0(VALU_DEP_1)
	v_mul_f32_e32 v70, v70, v68
	v_xor_b32_e32 v71, 0x80000000, v68
                                        ; implicit-def: $vgpr68_vgpr69
.LBB109_311:
	s_and_not1_saveexec_b32 s1, s1
	s_cbranch_execz .LBB109_313
; %bb.312:
	v_div_scale_f32 v70, null, v68, v68, v69
	v_div_scale_f32 v73, vcc_lo, v69, v68, v69
	s_delay_alu instid0(VALU_DEP_2) | instskip(SKIP_1) | instid1(TRANS32_DEP_1)
	v_rcp_f32_e32 v71, v70
	v_nop
	v_fma_f32 v72, -v70, v71, 1.0
	s_delay_alu instid0(VALU_DEP_1) | instskip(NEXT) | instid1(VALU_DEP_1)
	v_fmac_f32_e32 v71, v72, v71
	v_mul_f32_e32 v72, v73, v71
	s_delay_alu instid0(VALU_DEP_1) | instskip(NEXT) | instid1(VALU_DEP_1)
	v_fma_f32 v82, -v70, v72, v73
	v_fmac_f32_e32 v72, v82, v71
	s_delay_alu instid0(VALU_DEP_1) | instskip(NEXT) | instid1(VALU_DEP_1)
	v_fma_f32 v70, -v70, v72, v73
	v_div_fmas_f32 v70, v70, v71, v72
	s_delay_alu instid0(VALU_DEP_1) | instskip(NEXT) | instid1(VALU_DEP_1)
	v_div_fixup_f32 v71, v70, v68, v69
	v_fmac_f32_e32 v68, v69, v71
	s_delay_alu instid0(VALU_DEP_1) | instskip(NEXT) | instid1(VALU_DEP_1)
	v_div_scale_f32 v69, null, v68, v68, 1.0
	v_rcp_f32_e32 v70, v69
	v_nop
	s_delay_alu instid0(TRANS32_DEP_1) | instskip(NEXT) | instid1(VALU_DEP_1)
	v_fma_f32 v72, -v69, v70, 1.0
	v_fmac_f32_e32 v70, v72, v70
	v_div_scale_f32 v72, vcc_lo, 1.0, v68, 1.0
	s_delay_alu instid0(VALU_DEP_1) | instskip(NEXT) | instid1(VALU_DEP_1)
	v_mul_f32_e32 v73, v72, v70
	v_fma_f32 v82, -v69, v73, v72
	s_delay_alu instid0(VALU_DEP_1) | instskip(NEXT) | instid1(VALU_DEP_1)
	v_fmac_f32_e32 v73, v82, v70
	v_fma_f32 v69, -v69, v73, v72
	s_delay_alu instid0(VALU_DEP_1) | instskip(NEXT) | instid1(VALU_DEP_1)
	v_div_fmas_f32 v69, v69, v70, v73
	v_div_fixup_f32 v70, v69, v68, 1.0
	s_delay_alu instid0(VALU_DEP_1)
	v_mul_f32_e64 v71, v71, -v70
.LBB109_313:
	s_or_b32 exec_lo, exec_lo, s1
	ds_store_b64 v153, v[70:71]
.LBB109_314:
	s_or_b32 exec_lo, exec_lo, s2
	s_wait_dscnt 0x0
	s_barrier_signal -1
	s_barrier_wait -1
	ds_load_b64 v[68:69], v153
	s_mov_b32 s1, exec_lo
	v_cmpx_lt_u32_e32 34, v152
	s_cbranch_execz .LBB109_316
; %bb.315:
	ds_load_2addr_b64 v[82:85], v154 offset0:35 offset1:36
	s_wait_dscnt 0x1
	v_pk_mul_f32 v[72:73], v[68:69], v[144:145] op_sel:[1,1] op_sel_hi:[0,1]
	s_delay_alu instid0(VALU_DEP_1) | instskip(SKIP_1) | instid1(VALU_DEP_1)
	v_pk_fma_f32 v[70:71], v[68:69], v[144:145], v[72:73] op_sel_hi:[1,0,1] neg_lo:[0,0,1] neg_hi:[0,0,1]
	v_pk_fma_f32 v[72:73], v[68:69], v[144:145], v[72:73] op_sel_hi:[1,0,1]
	v_dual_mov_b32 v144, v70 :: v_dual_mov_b32 v145, v73
	s_wait_dscnt 0x0
	s_delay_alu instid0(VALU_DEP_2) | instskip(NEXT) | instid1(VALU_DEP_1)
	v_pk_mul_f32 v[86:87], v[82:83], v[72:73] op_sel:[0,1]
	v_pk_fma_f32 v[88:89], v[82:83], v[70:71], v[86:87] op_sel:[0,0,1] op_sel_hi:[1,1,0] neg_lo:[0,0,1] neg_hi:[0,0,1]
	v_pk_fma_f32 v[82:83], v[82:83], v[70:71], v[86:87] op_sel:[0,0,1] op_sel_hi:[1,0,0]
	s_delay_alu instid0(VALU_DEP_1) | instskip(SKIP_1) | instid1(VALU_DEP_1)
	v_mov_b32_e32 v89, v83
	v_pk_mul_f32 v[82:83], v[84:85], v[72:73] op_sel:[0,1]
	v_pk_fma_f32 v[86:87], v[84:85], v[70:71], v[82:83] op_sel:[0,0,1] op_sel_hi:[1,1,0] neg_lo:[0,0,1] neg_hi:[0,0,1]
	v_pk_fma_f32 v[82:83], v[84:85], v[70:71], v[82:83] op_sel:[0,0,1] op_sel_hi:[1,0,0]
	s_delay_alu instid0(VALU_DEP_1)
	v_mov_b32_e32 v87, v83
	ds_load_2addr_b64 v[82:85], v154 offset0:37 offset1:38
	v_pk_add_f32 v[140:141], v[140:141], v[88:89] neg_lo:[0,1] neg_hi:[0,1]
	v_pk_add_f32 v[162:163], v[162:163], v[86:87] neg_lo:[0,1] neg_hi:[0,1]
	s_wait_dscnt 0x0
	v_pk_mul_f32 v[86:87], v[82:83], v[72:73] op_sel:[0,1]
	s_delay_alu instid0(VALU_DEP_1) | instskip(SKIP_2) | instid1(VALU_DEP_2)
	v_pk_fma_f32 v[88:89], v[82:83], v[70:71], v[86:87] op_sel:[0,0,1] op_sel_hi:[1,1,0] neg_lo:[0,0,1] neg_hi:[0,0,1]
	v_pk_fma_f32 v[82:83], v[82:83], v[70:71], v[86:87] op_sel:[0,0,1] op_sel_hi:[1,0,0]
	v_dual_mul_f32 v86, v85, v73 :: v_dual_mov_b32 v82, v85
	v_dual_mov_b32 v89, v83 :: v_dual_mov_b32 v83, v84
	s_delay_alu instid0(VALU_DEP_2) | instskip(SKIP_1) | instid1(VALU_DEP_3)
	v_pk_fma_f32 v[86:87], v[84:85], v[144:145], v[86:87] op_sel_hi:[1,1,0] neg_lo:[0,0,1] neg_hi:[0,0,1]
	v_mul_f32_e32 v84, v85, v70
	v_pk_add_f32 v[158:159], v[158:159], v[88:89] neg_lo:[0,1] neg_hi:[0,1]
	s_delay_alu instid0(VALU_DEP_2) | instskip(NEXT) | instid1(VALU_DEP_1)
	v_pk_fma_f32 v[82:83], v[82:83], v[144:145], v[84:85] op_sel_hi:[1,1,0]
	v_mov_b32_e32 v87, v83
	ds_load_2addr_b64 v[82:85], v154 offset0:39 offset1:40
	v_pk_add_f32 v[160:161], v[160:161], v[86:87] neg_lo:[0,1] neg_hi:[0,1]
	s_wait_dscnt 0x0
	v_pk_mul_f32 v[86:87], v[82:83], v[72:73] op_sel:[0,1]
	s_delay_alu instid0(VALU_DEP_1) | instskip(SKIP_1) | instid1(VALU_DEP_1)
	v_pk_fma_f32 v[88:89], v[82:83], v[70:71], v[86:87] op_sel:[0,0,1] op_sel_hi:[1,1,0] neg_lo:[0,0,1] neg_hi:[0,0,1]
	v_pk_fma_f32 v[82:83], v[82:83], v[70:71], v[86:87] op_sel:[0,0,1] op_sel_hi:[1,0,0]
	v_mov_b32_e32 v89, v83
	v_pk_mul_f32 v[82:83], v[84:85], v[72:73] op_sel:[0,1]
	s_delay_alu instid0(VALU_DEP_1) | instskip(SKIP_1) | instid1(VALU_DEP_1)
	v_pk_fma_f32 v[86:87], v[84:85], v[70:71], v[82:83] op_sel:[0,0,1] op_sel_hi:[1,1,0] neg_lo:[0,0,1] neg_hi:[0,0,1]
	v_pk_fma_f32 v[82:83], v[84:85], v[70:71], v[82:83] op_sel:[0,0,1] op_sel_hi:[1,0,0]
	v_mov_b32_e32 v87, v83
	ds_load_2addr_b64 v[82:85], v154 offset0:41 offset1:42
	v_pk_add_f32 v[156:157], v[156:157], v[88:89] neg_lo:[0,1] neg_hi:[0,1]
	v_pk_add_f32 v[178:179], v[178:179], v[86:87] neg_lo:[0,1] neg_hi:[0,1]
	s_wait_dscnt 0x0
	v_pk_mul_f32 v[86:87], v[82:83], v[72:73] op_sel:[0,1]
	s_delay_alu instid0(VALU_DEP_1) | instskip(SKIP_1) | instid1(VALU_DEP_1)
	v_pk_fma_f32 v[88:89], v[82:83], v[70:71], v[86:87] op_sel:[0,0,1] op_sel_hi:[1,1,0] neg_lo:[0,0,1] neg_hi:[0,0,1]
	v_pk_fma_f32 v[82:83], v[82:83], v[70:71], v[86:87] op_sel:[0,0,1] op_sel_hi:[1,0,0]
	v_mov_b32_e32 v89, v83
	v_pk_mul_f32 v[82:83], v[84:85], v[72:73] op_sel:[0,1]
	s_delay_alu instid0(VALU_DEP_1) | instskip(SKIP_1) | instid1(VALU_DEP_1)
	v_pk_fma_f32 v[86:87], v[84:85], v[70:71], v[82:83] op_sel:[0,0,1] op_sel_hi:[1,1,0] neg_lo:[0,0,1] neg_hi:[0,0,1]
	v_pk_fma_f32 v[82:83], v[84:85], v[70:71], v[82:83] op_sel:[0,0,1] op_sel_hi:[1,0,0]
	v_mov_b32_e32 v87, v83
	ds_load_2addr_b64 v[82:85], v154 offset0:43 offset1:44
	v_pk_add_f32 v[174:175], v[174:175], v[88:89] neg_lo:[0,1] neg_hi:[0,1]
	v_pk_add_f32 v[176:177], v[176:177], v[86:87] neg_lo:[0,1] neg_hi:[0,1]
	s_wait_dscnt 0x0
	v_dual_mul_f32 v86, v83, v73 :: v_dual_mul_f32 v88, v83, v70
	s_delay_alu instid0(VALU_DEP_1) | instskip(NEXT) | instid1(VALU_DEP_2)
	v_pk_fma_f32 v[86:87], v[82:83], v[144:145], v[86:87] op_sel_hi:[1,1,0] neg_lo:[0,0,1] neg_hi:[0,0,1]
	v_pk_fma_f32 v[82:83], v[82:83], v[144:145], v[88:89] op_sel:[1,0,0] op_sel_hi:[0,1,0]
	s_delay_alu instid0(VALU_DEP_1) | instskip(SKIP_1) | instid1(VALU_DEP_2)
	v_mov_b32_e32 v87, v83
	v_pk_mul_f32 v[82:83], v[84:85], v[72:73] op_sel:[0,1]
	v_pk_add_f32 v[172:173], v[172:173], v[86:87] neg_lo:[0,1] neg_hi:[0,1]
	s_delay_alu instid0(VALU_DEP_2) | instskip(SKIP_1) | instid1(VALU_DEP_1)
	v_pk_fma_f32 v[86:87], v[84:85], v[70:71], v[82:83] op_sel:[0,0,1] op_sel_hi:[1,1,0] neg_lo:[0,0,1] neg_hi:[0,0,1]
	v_pk_fma_f32 v[82:83], v[84:85], v[70:71], v[82:83] op_sel:[0,0,1] op_sel_hi:[1,0,0]
	v_mov_b32_e32 v87, v83
	ds_load_2addr_b64 v[82:85], v154 offset0:45 offset1:46
	v_pk_add_f32 v[196:197], v[196:197], v[86:87] neg_lo:[0,1] neg_hi:[0,1]
	s_wait_dscnt 0x0
	v_pk_mul_f32 v[86:87], v[82:83], v[72:73] op_sel:[0,1]
	s_delay_alu instid0(VALU_DEP_1) | instskip(SKIP_1) | instid1(VALU_DEP_1)
	v_pk_fma_f32 v[88:89], v[82:83], v[70:71], v[86:87] op_sel:[0,0,1] op_sel_hi:[1,1,0] neg_lo:[0,0,1] neg_hi:[0,0,1]
	v_pk_fma_f32 v[82:83], v[82:83], v[70:71], v[86:87] op_sel:[0,0,1] op_sel_hi:[1,0,0]
	v_mov_b32_e32 v89, v83
	v_pk_mul_f32 v[82:83], v[84:85], v[72:73] op_sel:[0,1]
	s_delay_alu instid0(VALU_DEP_2) | instskip(NEXT) | instid1(VALU_DEP_2)
	v_pk_add_f32 v[192:193], v[192:193], v[88:89] neg_lo:[0,1] neg_hi:[0,1]
	v_pk_fma_f32 v[86:87], v[84:85], v[70:71], v[82:83] op_sel:[0,0,1] op_sel_hi:[1,1,0] neg_lo:[0,0,1] neg_hi:[0,0,1]
	v_pk_fma_f32 v[82:83], v[84:85], v[70:71], v[82:83] op_sel:[0,0,1] op_sel_hi:[1,0,0]
	s_delay_alu instid0(VALU_DEP_1) | instskip(SKIP_4) | instid1(VALU_DEP_1)
	v_mov_b32_e32 v87, v83
	ds_load_2addr_b64 v[82:85], v154 offset0:47 offset1:48
	v_pk_add_f32 v[194:195], v[194:195], v[86:87] neg_lo:[0,1] neg_hi:[0,1]
	s_wait_dscnt 0x0
	v_pk_mul_f32 v[86:87], v[82:83], v[72:73] op_sel:[0,1]
	v_pk_fma_f32 v[88:89], v[82:83], v[70:71], v[86:87] op_sel:[0,0,1] op_sel_hi:[1,1,0] neg_lo:[0,0,1] neg_hi:[0,0,1]
	v_pk_fma_f32 v[82:83], v[82:83], v[70:71], v[86:87] op_sel:[0,0,1] op_sel_hi:[1,0,0]
	v_dual_mul_f32 v86, v85, v73 :: v_dual_mov_b32 v82, v85
	s_delay_alu instid0(VALU_DEP_2) | instskip(NEXT) | instid1(VALU_DEP_2)
	v_dual_mov_b32 v89, v83 :: v_dual_mov_b32 v83, v84
	v_pk_fma_f32 v[86:87], v[84:85], v[144:145], v[86:87] op_sel_hi:[1,1,0] neg_lo:[0,0,1] neg_hi:[0,0,1]
	v_mul_f32_e32 v84, v85, v70
	s_delay_alu instid0(VALU_DEP_3) | instskip(NEXT) | instid1(VALU_DEP_2)
	v_pk_add_f32 v[190:191], v[190:191], v[88:89] neg_lo:[0,1] neg_hi:[0,1]
	v_pk_fma_f32 v[82:83], v[82:83], v[144:145], v[84:85] op_sel_hi:[1,1,0]
	s_delay_alu instid0(VALU_DEP_1) | instskip(SKIP_4) | instid1(VALU_DEP_1)
	v_mov_b32_e32 v87, v83
	ds_load_2addr_b64 v[82:85], v154 offset0:49 offset1:50
	v_pk_add_f32 v[216:217], v[216:217], v[86:87] neg_lo:[0,1] neg_hi:[0,1]
	s_wait_dscnt 0x0
	v_pk_mul_f32 v[86:87], v[82:83], v[72:73] op_sel:[0,1]
	v_pk_fma_f32 v[88:89], v[82:83], v[70:71], v[86:87] op_sel:[0,0,1] op_sel_hi:[1,1,0] neg_lo:[0,0,1] neg_hi:[0,0,1]
	v_pk_fma_f32 v[82:83], v[82:83], v[70:71], v[86:87] op_sel:[0,0,1] op_sel_hi:[1,0,0]
	s_delay_alu instid0(VALU_DEP_1) | instskip(SKIP_1) | instid1(VALU_DEP_1)
	v_mov_b32_e32 v89, v83
	v_pk_mul_f32 v[82:83], v[84:85], v[72:73] op_sel:[0,1]
	v_pk_fma_f32 v[86:87], v[84:85], v[70:71], v[82:83] op_sel:[0,0,1] op_sel_hi:[1,1,0] neg_lo:[0,0,1] neg_hi:[0,0,1]
	v_pk_fma_f32 v[82:83], v[84:85], v[70:71], v[82:83] op_sel:[0,0,1] op_sel_hi:[1,0,0]
	s_delay_alu instid0(VALU_DEP_1)
	v_mov_b32_e32 v87, v83
	ds_load_2addr_b64 v[82:85], v154 offset0:51 offset1:52
	v_pk_add_f32 v[210:211], v[210:211], v[88:89] neg_lo:[0,1] neg_hi:[0,1]
	v_pk_add_f32 v[214:215], v[214:215], v[86:87] neg_lo:[0,1] neg_hi:[0,1]
	s_wait_dscnt 0x0
	v_pk_mul_f32 v[86:87], v[82:83], v[72:73] op_sel:[0,1]
	s_delay_alu instid0(VALU_DEP_1) | instskip(SKIP_1) | instid1(VALU_DEP_1)
	v_pk_fma_f32 v[88:89], v[82:83], v[70:71], v[86:87] op_sel:[0,0,1] op_sel_hi:[1,1,0] neg_lo:[0,0,1] neg_hi:[0,0,1]
	v_pk_fma_f32 v[82:83], v[82:83], v[70:71], v[86:87] op_sel:[0,0,1] op_sel_hi:[1,0,0]
	v_mov_b32_e32 v89, v83
	v_pk_mul_f32 v[82:83], v[84:85], v[72:73] op_sel:[0,1]
	s_delay_alu instid0(VALU_DEP_1) | instskip(SKIP_1) | instid1(VALU_DEP_1)
	v_pk_fma_f32 v[86:87], v[84:85], v[70:71], v[82:83] op_sel:[0,0,1] op_sel_hi:[1,1,0] neg_lo:[0,0,1] neg_hi:[0,0,1]
	v_pk_fma_f32 v[82:83], v[84:85], v[70:71], v[82:83] op_sel:[0,0,1] op_sel_hi:[1,0,0]
	v_mov_b32_e32 v87, v83
	ds_load_2addr_b64 v[82:85], v154 offset0:53 offset1:54
	v_pk_add_f32 v[208:209], v[208:209], v[88:89] neg_lo:[0,1] neg_hi:[0,1]
	v_pk_add_f32 v[212:213], v[212:213], v[86:87] neg_lo:[0,1] neg_hi:[0,1]
	s_wait_dscnt 0x0
	v_dual_mul_f32 v86, v83, v73 :: v_dual_mul_f32 v88, v83, v70
	v_pk_mul_f32 v[72:73], v[84:85], v[72:73] op_sel:[0,1]
	s_delay_alu instid0(VALU_DEP_2) | instskip(NEXT) | instid1(VALU_DEP_3)
	v_pk_fma_f32 v[86:87], v[82:83], v[144:145], v[86:87] op_sel_hi:[1,1,0] neg_lo:[0,0,1] neg_hi:[0,0,1]
	v_pk_fma_f32 v[82:83], v[82:83], v[144:145], v[88:89] op_sel:[1,0,0] op_sel_hi:[0,1,0]
	s_delay_alu instid0(VALU_DEP_1) | instskip(NEXT) | instid1(VALU_DEP_4)
	v_mov_b32_e32 v87, v83
	v_pk_fma_f32 v[82:83], v[84:85], v[70:71], v[72:73] op_sel:[0,0,1] op_sel_hi:[1,1,0] neg_lo:[0,0,1] neg_hi:[0,0,1]
	v_pk_fma_f32 v[70:71], v[84:85], v[70:71], v[72:73] op_sel:[0,0,1] op_sel_hi:[1,0,0]
	s_delay_alu instid0(VALU_DEP_1) | instskip(NEXT) | instid1(VALU_DEP_4)
	v_mov_b32_e32 v83, v71
	v_pk_add_f32 v[218:219], v[218:219], v[86:87] neg_lo:[0,1] neg_hi:[0,1]
	s_delay_alu instid0(VALU_DEP_2)
	v_pk_add_f32 v[220:221], v[220:221], v[82:83] neg_lo:[0,1] neg_hi:[0,1]
.LBB109_316:
	s_or_b32 exec_lo, exec_lo, s1
	s_delay_alu instid0(SALU_CYCLE_1)
	s_mov_b32 s2, exec_lo
	s_wait_dscnt 0x0
	s_barrier_signal -1
	s_barrier_wait -1
	v_cmpx_eq_u32_e32 35, v152
	s_cbranch_execz .LBB109_323
; %bb.317:
	v_dual_mov_b32 v70, v162 :: v_dual_mov_b32 v71, v163
	v_dual_mov_b32 v72, v158 :: v_dual_mov_b32 v73, v159
	ds_store_b64 v153, v[140:141]
	ds_store_2addr_b64 v154, v[70:71], v[72:73] offset0:36 offset1:37
	v_dual_mov_b32 v70, v160 :: v_dual_mov_b32 v71, v161
	v_dual_mov_b32 v72, v156 :: v_dual_mov_b32 v73, v157
	ds_store_2addr_b64 v154, v[70:71], v[72:73] offset0:38 offset1:39
	v_dual_mov_b32 v70, v178 :: v_dual_mov_b32 v71, v179
	v_dual_mov_b32 v72, v174 :: v_dual_mov_b32 v73, v175
	;; [unrolled: 3-line block ×8, first 2 shown]
	ds_store_2addr_b64 v154, v[70:71], v[72:73] offset0:52 offset1:53
	ds_store_b64 v154, v[220:221] offset:432
	ds_load_b64 v[70:71], v153
	s_wait_dscnt 0x0
	v_cmp_neq_f32_e32 vcc_lo, 0, v70
	v_cmp_neq_f32_e64 s1, 0, v71
	s_or_b32 s1, vcc_lo, s1
	s_delay_alu instid0(SALU_CYCLE_1)
	s_and_b32 exec_lo, exec_lo, s1
	s_cbranch_execz .LBB109_323
; %bb.318:
	v_cmp_ngt_f32_e64 s1, |v70|, |v71|
                                        ; implicit-def: $vgpr72_vgpr73
	s_and_saveexec_b32 s4, s1
	s_delay_alu instid0(SALU_CYCLE_1)
	s_xor_b32 s1, exec_lo, s4
	s_cbranch_execz .LBB109_320
; %bb.319:
	v_div_scale_f32 v72, null, v71, v71, v70
	v_div_scale_f32 v83, vcc_lo, v70, v71, v70
	s_delay_alu instid0(VALU_DEP_2) | instskip(SKIP_1) | instid1(TRANS32_DEP_1)
	v_rcp_f32_e32 v73, v72
	v_nop
	v_fma_f32 v82, -v72, v73, 1.0
	s_delay_alu instid0(VALU_DEP_1) | instskip(NEXT) | instid1(VALU_DEP_1)
	v_fmac_f32_e32 v73, v82, v73
	v_mul_f32_e32 v82, v83, v73
	s_delay_alu instid0(VALU_DEP_1) | instskip(NEXT) | instid1(VALU_DEP_1)
	v_fma_f32 v84, -v72, v82, v83
	v_fmac_f32_e32 v82, v84, v73
	s_delay_alu instid0(VALU_DEP_1) | instskip(NEXT) | instid1(VALU_DEP_1)
	v_fma_f32 v72, -v72, v82, v83
	v_div_fmas_f32 v72, v72, v73, v82
	s_delay_alu instid0(VALU_DEP_1) | instskip(NEXT) | instid1(VALU_DEP_1)
	v_div_fixup_f32 v72, v72, v71, v70
	v_fmac_f32_e32 v71, v70, v72
	s_delay_alu instid0(VALU_DEP_1) | instskip(SKIP_1) | instid1(VALU_DEP_2)
	v_div_scale_f32 v70, null, v71, v71, 1.0
	v_div_scale_f32 v83, vcc_lo, 1.0, v71, 1.0
	v_rcp_f32_e32 v73, v70
	v_nop
	s_delay_alu instid0(TRANS32_DEP_1) | instskip(NEXT) | instid1(VALU_DEP_1)
	v_fma_f32 v82, -v70, v73, 1.0
	v_fmac_f32_e32 v73, v82, v73
	s_delay_alu instid0(VALU_DEP_1) | instskip(NEXT) | instid1(VALU_DEP_1)
	v_mul_f32_e32 v82, v83, v73
	v_fma_f32 v84, -v70, v82, v83
	s_delay_alu instid0(VALU_DEP_1) | instskip(NEXT) | instid1(VALU_DEP_1)
	v_fmac_f32_e32 v82, v84, v73
	v_fma_f32 v70, -v70, v82, v83
	s_delay_alu instid0(VALU_DEP_1) | instskip(NEXT) | instid1(VALU_DEP_1)
	v_div_fmas_f32 v70, v70, v73, v82
	v_div_fixup_f32 v70, v70, v71, 1.0
	s_delay_alu instid0(VALU_DEP_1)
	v_mul_f32_e32 v72, v72, v70
	v_xor_b32_e32 v73, 0x80000000, v70
                                        ; implicit-def: $vgpr70_vgpr71
.LBB109_320:
	s_and_not1_saveexec_b32 s1, s1
	s_cbranch_execz .LBB109_322
; %bb.321:
	v_div_scale_f32 v72, null, v70, v70, v71
	v_div_scale_f32 v83, vcc_lo, v71, v70, v71
	s_delay_alu instid0(VALU_DEP_2) | instskip(SKIP_1) | instid1(TRANS32_DEP_1)
	v_rcp_f32_e32 v73, v72
	v_nop
	v_fma_f32 v82, -v72, v73, 1.0
	s_delay_alu instid0(VALU_DEP_1) | instskip(NEXT) | instid1(VALU_DEP_1)
	v_fmac_f32_e32 v73, v82, v73
	v_mul_f32_e32 v82, v83, v73
	s_delay_alu instid0(VALU_DEP_1) | instskip(NEXT) | instid1(VALU_DEP_1)
	v_fma_f32 v84, -v72, v82, v83
	v_fmac_f32_e32 v82, v84, v73
	s_delay_alu instid0(VALU_DEP_1) | instskip(NEXT) | instid1(VALU_DEP_1)
	v_fma_f32 v72, -v72, v82, v83
	v_div_fmas_f32 v72, v72, v73, v82
	s_delay_alu instid0(VALU_DEP_1) | instskip(NEXT) | instid1(VALU_DEP_1)
	v_div_fixup_f32 v73, v72, v70, v71
	v_fmac_f32_e32 v70, v71, v73
	s_delay_alu instid0(VALU_DEP_1) | instskip(NEXT) | instid1(VALU_DEP_1)
	v_div_scale_f32 v71, null, v70, v70, 1.0
	v_rcp_f32_e32 v72, v71
	v_nop
	s_delay_alu instid0(TRANS32_DEP_1) | instskip(NEXT) | instid1(VALU_DEP_1)
	v_fma_f32 v82, -v71, v72, 1.0
	v_fmac_f32_e32 v72, v82, v72
	v_div_scale_f32 v82, vcc_lo, 1.0, v70, 1.0
	s_delay_alu instid0(VALU_DEP_1) | instskip(NEXT) | instid1(VALU_DEP_1)
	v_mul_f32_e32 v83, v82, v72
	v_fma_f32 v84, -v71, v83, v82
	s_delay_alu instid0(VALU_DEP_1) | instskip(NEXT) | instid1(VALU_DEP_1)
	v_fmac_f32_e32 v83, v84, v72
	v_fma_f32 v71, -v71, v83, v82
	s_delay_alu instid0(VALU_DEP_1) | instskip(NEXT) | instid1(VALU_DEP_1)
	v_div_fmas_f32 v71, v71, v72, v83
	v_div_fixup_f32 v72, v71, v70, 1.0
	s_delay_alu instid0(VALU_DEP_1)
	v_mul_f32_e64 v73, v73, -v72
.LBB109_322:
	s_or_b32 exec_lo, exec_lo, s1
	ds_store_b64 v153, v[72:73]
.LBB109_323:
	s_or_b32 exec_lo, exec_lo, s2
	s_wait_dscnt 0x0
	s_barrier_signal -1
	s_barrier_wait -1
	ds_load_b64 v[70:71], v153
	s_mov_b32 s1, exec_lo
	v_cmpx_lt_u32_e32 35, v152
	s_cbranch_execz .LBB109_325
; %bb.324:
	ds_load_2addr_b64 v[84:87], v154 offset0:36 offset1:37
	s_wait_dscnt 0x1
	v_pk_mul_f32 v[82:83], v[70:71], v[140:141] op_sel:[1,1] op_sel_hi:[0,1]
	s_delay_alu instid0(VALU_DEP_1) | instskip(SKIP_1) | instid1(VALU_DEP_1)
	v_pk_fma_f32 v[72:73], v[70:71], v[140:141], v[82:83] op_sel_hi:[1,0,1] neg_lo:[0,0,1] neg_hi:[0,0,1]
	v_pk_fma_f32 v[82:83], v[70:71], v[140:141], v[82:83] op_sel_hi:[1,0,1]
	v_dual_mov_b32 v140, v72 :: v_dual_mov_b32 v141, v83
	s_wait_dscnt 0x0
	s_delay_alu instid0(VALU_DEP_2) | instskip(NEXT) | instid1(VALU_DEP_1)
	v_pk_mul_f32 v[88:89], v[84:85], v[82:83] op_sel:[0,1]
	v_pk_fma_f32 v[98:99], v[84:85], v[72:73], v[88:89] op_sel:[0,0,1] op_sel_hi:[1,1,0] neg_lo:[0,0,1] neg_hi:[0,0,1]
	v_pk_fma_f32 v[84:85], v[84:85], v[72:73], v[88:89] op_sel:[0,0,1] op_sel_hi:[1,0,0]
	s_delay_alu instid0(VALU_DEP_1) | instskip(SKIP_1) | instid1(VALU_DEP_1)
	v_mov_b32_e32 v99, v85
	v_pk_mul_f32 v[84:85], v[86:87], v[82:83] op_sel:[0,1]
	v_pk_fma_f32 v[88:89], v[86:87], v[72:73], v[84:85] op_sel:[0,0,1] op_sel_hi:[1,1,0] neg_lo:[0,0,1] neg_hi:[0,0,1]
	v_pk_fma_f32 v[84:85], v[86:87], v[72:73], v[84:85] op_sel:[0,0,1] op_sel_hi:[1,0,0]
	s_delay_alu instid0(VALU_DEP_1)
	v_mov_b32_e32 v89, v85
	ds_load_2addr_b64 v[84:87], v154 offset0:38 offset1:39
	v_pk_add_f32 v[162:163], v[162:163], v[98:99] neg_lo:[0,1] neg_hi:[0,1]
	v_pk_add_f32 v[158:159], v[158:159], v[88:89] neg_lo:[0,1] neg_hi:[0,1]
	s_wait_dscnt 0x0
	v_pk_mul_f32 v[88:89], v[84:85], v[82:83] op_sel:[0,1]
	s_delay_alu instid0(VALU_DEP_1) | instskip(SKIP_2) | instid1(VALU_DEP_2)
	v_pk_fma_f32 v[98:99], v[84:85], v[72:73], v[88:89] op_sel:[0,0,1] op_sel_hi:[1,1,0] neg_lo:[0,0,1] neg_hi:[0,0,1]
	v_pk_fma_f32 v[84:85], v[84:85], v[72:73], v[88:89] op_sel:[0,0,1] op_sel_hi:[1,0,0]
	v_dual_mul_f32 v88, v87, v83 :: v_dual_mov_b32 v84, v87
	v_dual_mov_b32 v99, v85 :: v_dual_mov_b32 v85, v86
	s_delay_alu instid0(VALU_DEP_2) | instskip(SKIP_1) | instid1(VALU_DEP_3)
	v_pk_fma_f32 v[88:89], v[86:87], v[140:141], v[88:89] op_sel_hi:[1,1,0] neg_lo:[0,0,1] neg_hi:[0,0,1]
	v_mul_f32_e32 v86, v87, v72
	v_pk_add_f32 v[160:161], v[160:161], v[98:99] neg_lo:[0,1] neg_hi:[0,1]
	s_delay_alu instid0(VALU_DEP_2) | instskip(NEXT) | instid1(VALU_DEP_1)
	v_pk_fma_f32 v[84:85], v[84:85], v[140:141], v[86:87] op_sel_hi:[1,1,0]
	v_mov_b32_e32 v89, v85
	ds_load_2addr_b64 v[84:87], v154 offset0:40 offset1:41
	v_pk_add_f32 v[156:157], v[156:157], v[88:89] neg_lo:[0,1] neg_hi:[0,1]
	s_wait_dscnt 0x0
	v_pk_mul_f32 v[88:89], v[84:85], v[82:83] op_sel:[0,1]
	s_delay_alu instid0(VALU_DEP_1) | instskip(SKIP_1) | instid1(VALU_DEP_1)
	v_pk_fma_f32 v[98:99], v[84:85], v[72:73], v[88:89] op_sel:[0,0,1] op_sel_hi:[1,1,0] neg_lo:[0,0,1] neg_hi:[0,0,1]
	v_pk_fma_f32 v[84:85], v[84:85], v[72:73], v[88:89] op_sel:[0,0,1] op_sel_hi:[1,0,0]
	v_mov_b32_e32 v99, v85
	v_pk_mul_f32 v[84:85], v[86:87], v[82:83] op_sel:[0,1]
	s_delay_alu instid0(VALU_DEP_1) | instskip(SKIP_1) | instid1(VALU_DEP_1)
	v_pk_fma_f32 v[88:89], v[86:87], v[72:73], v[84:85] op_sel:[0,0,1] op_sel_hi:[1,1,0] neg_lo:[0,0,1] neg_hi:[0,0,1]
	v_pk_fma_f32 v[84:85], v[86:87], v[72:73], v[84:85] op_sel:[0,0,1] op_sel_hi:[1,0,0]
	v_mov_b32_e32 v89, v85
	ds_load_2addr_b64 v[84:87], v154 offset0:42 offset1:43
	v_pk_add_f32 v[178:179], v[178:179], v[98:99] neg_lo:[0,1] neg_hi:[0,1]
	v_pk_add_f32 v[174:175], v[174:175], v[88:89] neg_lo:[0,1] neg_hi:[0,1]
	s_wait_dscnt 0x0
	v_pk_mul_f32 v[88:89], v[84:85], v[82:83] op_sel:[0,1]
	s_delay_alu instid0(VALU_DEP_1) | instskip(SKIP_1) | instid1(VALU_DEP_1)
	v_pk_fma_f32 v[98:99], v[84:85], v[72:73], v[88:89] op_sel:[0,0,1] op_sel_hi:[1,1,0] neg_lo:[0,0,1] neg_hi:[0,0,1]
	v_pk_fma_f32 v[84:85], v[84:85], v[72:73], v[88:89] op_sel:[0,0,1] op_sel_hi:[1,0,0]
	v_mov_b32_e32 v99, v85
	v_pk_mul_f32 v[84:85], v[86:87], v[82:83] op_sel:[0,1]
	s_delay_alu instid0(VALU_DEP_1) | instskip(SKIP_1) | instid1(VALU_DEP_1)
	v_pk_fma_f32 v[88:89], v[86:87], v[72:73], v[84:85] op_sel:[0,0,1] op_sel_hi:[1,1,0] neg_lo:[0,0,1] neg_hi:[0,0,1]
	v_pk_fma_f32 v[84:85], v[86:87], v[72:73], v[84:85] op_sel:[0,0,1] op_sel_hi:[1,0,0]
	v_mov_b32_e32 v89, v85
	ds_load_2addr_b64 v[84:87], v154 offset0:44 offset1:45
	v_pk_add_f32 v[176:177], v[176:177], v[98:99] neg_lo:[0,1] neg_hi:[0,1]
	v_pk_add_f32 v[172:173], v[172:173], v[88:89] neg_lo:[0,1] neg_hi:[0,1]
	s_wait_dscnt 0x0
	v_dual_mul_f32 v88, v85, v83 :: v_dual_mul_f32 v98, v85, v72
	s_delay_alu instid0(VALU_DEP_1) | instskip(NEXT) | instid1(VALU_DEP_2)
	v_pk_fma_f32 v[88:89], v[84:85], v[140:141], v[88:89] op_sel_hi:[1,1,0] neg_lo:[0,0,1] neg_hi:[0,0,1]
	v_pk_fma_f32 v[84:85], v[84:85], v[140:141], v[98:99] op_sel:[1,0,0] op_sel_hi:[0,1,0]
	s_delay_alu instid0(VALU_DEP_1) | instskip(SKIP_1) | instid1(VALU_DEP_2)
	v_mov_b32_e32 v89, v85
	v_pk_mul_f32 v[84:85], v[86:87], v[82:83] op_sel:[0,1]
	v_pk_add_f32 v[196:197], v[196:197], v[88:89] neg_lo:[0,1] neg_hi:[0,1]
	s_delay_alu instid0(VALU_DEP_2) | instskip(SKIP_1) | instid1(VALU_DEP_1)
	v_pk_fma_f32 v[88:89], v[86:87], v[72:73], v[84:85] op_sel:[0,0,1] op_sel_hi:[1,1,0] neg_lo:[0,0,1] neg_hi:[0,0,1]
	v_pk_fma_f32 v[84:85], v[86:87], v[72:73], v[84:85] op_sel:[0,0,1] op_sel_hi:[1,0,0]
	v_mov_b32_e32 v89, v85
	ds_load_2addr_b64 v[84:87], v154 offset0:46 offset1:47
	v_pk_add_f32 v[192:193], v[192:193], v[88:89] neg_lo:[0,1] neg_hi:[0,1]
	s_wait_dscnt 0x0
	v_pk_mul_f32 v[88:89], v[84:85], v[82:83] op_sel:[0,1]
	s_delay_alu instid0(VALU_DEP_1) | instskip(SKIP_1) | instid1(VALU_DEP_1)
	v_pk_fma_f32 v[98:99], v[84:85], v[72:73], v[88:89] op_sel:[0,0,1] op_sel_hi:[1,1,0] neg_lo:[0,0,1] neg_hi:[0,0,1]
	v_pk_fma_f32 v[84:85], v[84:85], v[72:73], v[88:89] op_sel:[0,0,1] op_sel_hi:[1,0,0]
	v_mov_b32_e32 v99, v85
	v_pk_mul_f32 v[84:85], v[86:87], v[82:83] op_sel:[0,1]
	s_delay_alu instid0(VALU_DEP_2) | instskip(NEXT) | instid1(VALU_DEP_2)
	v_pk_add_f32 v[194:195], v[194:195], v[98:99] neg_lo:[0,1] neg_hi:[0,1]
	v_pk_fma_f32 v[88:89], v[86:87], v[72:73], v[84:85] op_sel:[0,0,1] op_sel_hi:[1,1,0] neg_lo:[0,0,1] neg_hi:[0,0,1]
	v_pk_fma_f32 v[84:85], v[86:87], v[72:73], v[84:85] op_sel:[0,0,1] op_sel_hi:[1,0,0]
	s_delay_alu instid0(VALU_DEP_1) | instskip(SKIP_4) | instid1(VALU_DEP_1)
	v_mov_b32_e32 v89, v85
	ds_load_2addr_b64 v[84:87], v154 offset0:48 offset1:49
	v_pk_add_f32 v[190:191], v[190:191], v[88:89] neg_lo:[0,1] neg_hi:[0,1]
	s_wait_dscnt 0x0
	v_pk_mul_f32 v[88:89], v[84:85], v[82:83] op_sel:[0,1]
	v_pk_fma_f32 v[98:99], v[84:85], v[72:73], v[88:89] op_sel:[0,0,1] op_sel_hi:[1,1,0] neg_lo:[0,0,1] neg_hi:[0,0,1]
	v_pk_fma_f32 v[84:85], v[84:85], v[72:73], v[88:89] op_sel:[0,0,1] op_sel_hi:[1,0,0]
	v_dual_mul_f32 v88, v87, v83 :: v_dual_mov_b32 v84, v87
	s_delay_alu instid0(VALU_DEP_2) | instskip(NEXT) | instid1(VALU_DEP_2)
	v_dual_mov_b32 v99, v85 :: v_dual_mov_b32 v85, v86
	v_pk_fma_f32 v[88:89], v[86:87], v[140:141], v[88:89] op_sel_hi:[1,1,0] neg_lo:[0,0,1] neg_hi:[0,0,1]
	v_mul_f32_e32 v86, v87, v72
	s_delay_alu instid0(VALU_DEP_3) | instskip(NEXT) | instid1(VALU_DEP_2)
	v_pk_add_f32 v[216:217], v[216:217], v[98:99] neg_lo:[0,1] neg_hi:[0,1]
	v_pk_fma_f32 v[84:85], v[84:85], v[140:141], v[86:87] op_sel_hi:[1,1,0]
	s_delay_alu instid0(VALU_DEP_1) | instskip(SKIP_4) | instid1(VALU_DEP_1)
	v_mov_b32_e32 v89, v85
	ds_load_2addr_b64 v[84:87], v154 offset0:50 offset1:51
	v_pk_add_f32 v[210:211], v[210:211], v[88:89] neg_lo:[0,1] neg_hi:[0,1]
	s_wait_dscnt 0x0
	v_pk_mul_f32 v[88:89], v[84:85], v[82:83] op_sel:[0,1]
	v_pk_fma_f32 v[98:99], v[84:85], v[72:73], v[88:89] op_sel:[0,0,1] op_sel_hi:[1,1,0] neg_lo:[0,0,1] neg_hi:[0,0,1]
	v_pk_fma_f32 v[84:85], v[84:85], v[72:73], v[88:89] op_sel:[0,0,1] op_sel_hi:[1,0,0]
	s_delay_alu instid0(VALU_DEP_1) | instskip(SKIP_1) | instid1(VALU_DEP_1)
	v_mov_b32_e32 v99, v85
	v_pk_mul_f32 v[84:85], v[86:87], v[82:83] op_sel:[0,1]
	v_pk_fma_f32 v[88:89], v[86:87], v[72:73], v[84:85] op_sel:[0,0,1] op_sel_hi:[1,1,0] neg_lo:[0,0,1] neg_hi:[0,0,1]
	v_pk_fma_f32 v[84:85], v[86:87], v[72:73], v[84:85] op_sel:[0,0,1] op_sel_hi:[1,0,0]
	s_delay_alu instid0(VALU_DEP_1)
	v_mov_b32_e32 v89, v85
	ds_load_2addr_b64 v[84:87], v154 offset0:52 offset1:53
	v_pk_add_f32 v[214:215], v[214:215], v[98:99] neg_lo:[0,1] neg_hi:[0,1]
	v_pk_add_f32 v[208:209], v[208:209], v[88:89] neg_lo:[0,1] neg_hi:[0,1]
	s_wait_dscnt 0x0
	v_pk_mul_f32 v[88:89], v[84:85], v[82:83] op_sel:[0,1]
	s_delay_alu instid0(VALU_DEP_1) | instskip(SKIP_1) | instid1(VALU_DEP_1)
	v_pk_fma_f32 v[98:99], v[84:85], v[72:73], v[88:89] op_sel:[0,0,1] op_sel_hi:[1,1,0] neg_lo:[0,0,1] neg_hi:[0,0,1]
	v_pk_fma_f32 v[84:85], v[84:85], v[72:73], v[88:89] op_sel:[0,0,1] op_sel_hi:[1,0,0]
	v_mov_b32_e32 v99, v85
	v_pk_mul_f32 v[84:85], v[86:87], v[82:83] op_sel:[0,1]
	s_delay_alu instid0(VALU_DEP_1) | instskip(SKIP_1) | instid1(VALU_DEP_1)
	v_pk_fma_f32 v[88:89], v[86:87], v[72:73], v[84:85] op_sel:[0,0,1] op_sel_hi:[1,1,0] neg_lo:[0,0,1] neg_hi:[0,0,1]
	v_pk_fma_f32 v[84:85], v[86:87], v[72:73], v[84:85] op_sel:[0,0,1] op_sel_hi:[1,0,0]
	v_mov_b32_e32 v89, v85
	ds_load_b64 v[84:85], v154 offset:432
	v_pk_add_f32 v[212:213], v[212:213], v[98:99] neg_lo:[0,1] neg_hi:[0,1]
	v_pk_add_f32 v[218:219], v[218:219], v[88:89] neg_lo:[0,1] neg_hi:[0,1]
	s_wait_dscnt 0x0
	v_pk_mul_f32 v[82:83], v[84:85], v[82:83] op_sel:[0,1]
	s_delay_alu instid0(VALU_DEP_1) | instskip(SKIP_1) | instid1(VALU_DEP_1)
	v_pk_fma_f32 v[86:87], v[84:85], v[72:73], v[82:83] op_sel:[0,0,1] op_sel_hi:[1,1,0] neg_lo:[0,0,1] neg_hi:[0,0,1]
	v_pk_fma_f32 v[72:73], v[84:85], v[72:73], v[82:83] op_sel:[0,0,1] op_sel_hi:[1,0,0]
	v_mov_b32_e32 v87, v73
	s_delay_alu instid0(VALU_DEP_1)
	v_pk_add_f32 v[220:221], v[220:221], v[86:87] neg_lo:[0,1] neg_hi:[0,1]
.LBB109_325:
	s_or_b32 exec_lo, exec_lo, s1
	s_delay_alu instid0(SALU_CYCLE_1)
	s_mov_b32 s2, exec_lo
	s_wait_dscnt 0x0
	s_barrier_signal -1
	s_barrier_wait -1
	v_cmpx_eq_u32_e32 36, v152
	s_cbranch_execz .LBB109_332
; %bb.326:
	ds_store_b64 v153, v[162:163]
	ds_store_2addr_b64 v154, v[158:159], v[160:161] offset0:37 offset1:38
	ds_store_2addr_b64 v154, v[156:157], v[178:179] offset0:39 offset1:40
	;; [unrolled: 1-line block ×9, first 2 shown]
	ds_load_b64 v[72:73], v153
	s_wait_dscnt 0x0
	v_cmp_neq_f32_e32 vcc_lo, 0, v72
	v_cmp_neq_f32_e64 s1, 0, v73
	s_or_b32 s1, vcc_lo, s1
	s_delay_alu instid0(SALU_CYCLE_1)
	s_and_b32 exec_lo, exec_lo, s1
	s_cbranch_execz .LBB109_332
; %bb.327:
	v_cmp_ngt_f32_e64 s1, |v72|, |v73|
                                        ; implicit-def: $vgpr82_vgpr83
	s_and_saveexec_b32 s4, s1
	s_delay_alu instid0(SALU_CYCLE_1)
	s_xor_b32 s1, exec_lo, s4
	s_cbranch_execz .LBB109_329
; %bb.328:
	v_div_scale_f32 v82, null, v73, v73, v72
	v_div_scale_f32 v85, vcc_lo, v72, v73, v72
	s_delay_alu instid0(VALU_DEP_2) | instskip(SKIP_1) | instid1(TRANS32_DEP_1)
	v_rcp_f32_e32 v83, v82
	v_nop
	v_fma_f32 v84, -v82, v83, 1.0
	s_delay_alu instid0(VALU_DEP_1) | instskip(NEXT) | instid1(VALU_DEP_1)
	v_fmac_f32_e32 v83, v84, v83
	v_mul_f32_e32 v84, v85, v83
	s_delay_alu instid0(VALU_DEP_1) | instskip(NEXT) | instid1(VALU_DEP_1)
	v_fma_f32 v86, -v82, v84, v85
	v_fmac_f32_e32 v84, v86, v83
	s_delay_alu instid0(VALU_DEP_1) | instskip(NEXT) | instid1(VALU_DEP_1)
	v_fma_f32 v82, -v82, v84, v85
	v_div_fmas_f32 v82, v82, v83, v84
	s_delay_alu instid0(VALU_DEP_1) | instskip(NEXT) | instid1(VALU_DEP_1)
	v_div_fixup_f32 v82, v82, v73, v72
	v_fmac_f32_e32 v73, v72, v82
	s_delay_alu instid0(VALU_DEP_1) | instskip(SKIP_1) | instid1(VALU_DEP_2)
	v_div_scale_f32 v72, null, v73, v73, 1.0
	v_div_scale_f32 v85, vcc_lo, 1.0, v73, 1.0
	v_rcp_f32_e32 v83, v72
	v_nop
	s_delay_alu instid0(TRANS32_DEP_1) | instskip(NEXT) | instid1(VALU_DEP_1)
	v_fma_f32 v84, -v72, v83, 1.0
	v_fmac_f32_e32 v83, v84, v83
	s_delay_alu instid0(VALU_DEP_1) | instskip(NEXT) | instid1(VALU_DEP_1)
	v_mul_f32_e32 v84, v85, v83
	v_fma_f32 v86, -v72, v84, v85
	s_delay_alu instid0(VALU_DEP_1) | instskip(NEXT) | instid1(VALU_DEP_1)
	v_fmac_f32_e32 v84, v86, v83
	v_fma_f32 v72, -v72, v84, v85
	s_delay_alu instid0(VALU_DEP_1) | instskip(NEXT) | instid1(VALU_DEP_1)
	v_div_fmas_f32 v72, v72, v83, v84
	v_div_fixup_f32 v72, v72, v73, 1.0
	s_delay_alu instid0(VALU_DEP_1)
	v_mul_f32_e32 v82, v82, v72
	v_xor_b32_e32 v83, 0x80000000, v72
                                        ; implicit-def: $vgpr72_vgpr73
.LBB109_329:
	s_and_not1_saveexec_b32 s1, s1
	s_cbranch_execz .LBB109_331
; %bb.330:
	v_div_scale_f32 v82, null, v72, v72, v73
	v_div_scale_f32 v85, vcc_lo, v73, v72, v73
	s_delay_alu instid0(VALU_DEP_2) | instskip(SKIP_1) | instid1(TRANS32_DEP_1)
	v_rcp_f32_e32 v83, v82
	v_nop
	v_fma_f32 v84, -v82, v83, 1.0
	s_delay_alu instid0(VALU_DEP_1) | instskip(NEXT) | instid1(VALU_DEP_1)
	v_fmac_f32_e32 v83, v84, v83
	v_mul_f32_e32 v84, v85, v83
	s_delay_alu instid0(VALU_DEP_1) | instskip(NEXT) | instid1(VALU_DEP_1)
	v_fma_f32 v86, -v82, v84, v85
	v_fmac_f32_e32 v84, v86, v83
	s_delay_alu instid0(VALU_DEP_1) | instskip(NEXT) | instid1(VALU_DEP_1)
	v_fma_f32 v82, -v82, v84, v85
	v_div_fmas_f32 v82, v82, v83, v84
	s_delay_alu instid0(VALU_DEP_1) | instskip(NEXT) | instid1(VALU_DEP_1)
	v_div_fixup_f32 v83, v82, v72, v73
	v_fmac_f32_e32 v72, v73, v83
	s_delay_alu instid0(VALU_DEP_1) | instskip(NEXT) | instid1(VALU_DEP_1)
	v_div_scale_f32 v73, null, v72, v72, 1.0
	v_rcp_f32_e32 v82, v73
	v_nop
	s_delay_alu instid0(TRANS32_DEP_1) | instskip(NEXT) | instid1(VALU_DEP_1)
	v_fma_f32 v84, -v73, v82, 1.0
	v_fmac_f32_e32 v82, v84, v82
	v_div_scale_f32 v84, vcc_lo, 1.0, v72, 1.0
	s_delay_alu instid0(VALU_DEP_1) | instskip(NEXT) | instid1(VALU_DEP_1)
	v_mul_f32_e32 v85, v84, v82
	v_fma_f32 v86, -v73, v85, v84
	s_delay_alu instid0(VALU_DEP_1) | instskip(NEXT) | instid1(VALU_DEP_1)
	v_fmac_f32_e32 v85, v86, v82
	v_fma_f32 v73, -v73, v85, v84
	s_delay_alu instid0(VALU_DEP_1) | instskip(NEXT) | instid1(VALU_DEP_1)
	v_div_fmas_f32 v73, v73, v82, v85
	v_div_fixup_f32 v82, v73, v72, 1.0
	s_delay_alu instid0(VALU_DEP_1)
	v_mul_f32_e64 v83, v83, -v82
.LBB109_331:
	s_or_b32 exec_lo, exec_lo, s1
	ds_store_b64 v153, v[82:83]
.LBB109_332:
	s_or_b32 exec_lo, exec_lo, s2
	s_wait_dscnt 0x0
	s_barrier_signal -1
	s_barrier_wait -1
	ds_load_b64 v[72:73], v153
	s_mov_b32 s1, exec_lo
	v_cmpx_lt_u32_e32 36, v152
	s_cbranch_execz .LBB109_334
; %bb.333:
	ds_load_2addr_b64 v[86:89], v154 offset0:37 offset1:38
	s_wait_dscnt 0x1
	v_pk_mul_f32 v[84:85], v[72:73], v[162:163] op_sel:[1,1] op_sel_hi:[0,1]
	s_delay_alu instid0(VALU_DEP_1) | instskip(SKIP_1) | instid1(VALU_DEP_1)
	v_pk_fma_f32 v[82:83], v[72:73], v[162:163], v[84:85] op_sel_hi:[1,0,1] neg_lo:[0,0,1] neg_hi:[0,0,1]
	v_pk_fma_f32 v[84:85], v[72:73], v[162:163], v[84:85] op_sel_hi:[1,0,1]
	v_dual_mov_b32 v162, v82 :: v_dual_mov_b32 v163, v85
	s_wait_dscnt 0x0
	s_delay_alu instid0(VALU_DEP_2) | instskip(NEXT) | instid1(VALU_DEP_1)
	v_pk_mul_f32 v[98:99], v[86:87], v[84:85] op_sel:[0,1]
	v_pk_fma_f32 v[100:101], v[86:87], v[82:83], v[98:99] op_sel:[0,0,1] op_sel_hi:[1,1,0] neg_lo:[0,0,1] neg_hi:[0,0,1]
	v_pk_fma_f32 v[86:87], v[86:87], v[82:83], v[98:99] op_sel:[0,0,1] op_sel_hi:[1,0,0]
	s_delay_alu instid0(VALU_DEP_1) | instskip(SKIP_1) | instid1(VALU_DEP_1)
	v_mov_b32_e32 v101, v87
	v_pk_mul_f32 v[86:87], v[88:89], v[84:85] op_sel:[0,1]
	v_pk_fma_f32 v[98:99], v[88:89], v[82:83], v[86:87] op_sel:[0,0,1] op_sel_hi:[1,1,0] neg_lo:[0,0,1] neg_hi:[0,0,1]
	v_pk_fma_f32 v[86:87], v[88:89], v[82:83], v[86:87] op_sel:[0,0,1] op_sel_hi:[1,0,0]
	s_delay_alu instid0(VALU_DEP_1)
	v_mov_b32_e32 v99, v87
	ds_load_2addr_b64 v[86:89], v154 offset0:39 offset1:40
	v_pk_add_f32 v[158:159], v[158:159], v[100:101] neg_lo:[0,1] neg_hi:[0,1]
	v_pk_add_f32 v[160:161], v[160:161], v[98:99] neg_lo:[0,1] neg_hi:[0,1]
	s_wait_dscnt 0x0
	v_pk_mul_f32 v[98:99], v[86:87], v[84:85] op_sel:[0,1]
	s_delay_alu instid0(VALU_DEP_1) | instskip(SKIP_2) | instid1(VALU_DEP_2)
	v_pk_fma_f32 v[100:101], v[86:87], v[82:83], v[98:99] op_sel:[0,0,1] op_sel_hi:[1,1,0] neg_lo:[0,0,1] neg_hi:[0,0,1]
	v_pk_fma_f32 v[86:87], v[86:87], v[82:83], v[98:99] op_sel:[0,0,1] op_sel_hi:[1,0,0]
	v_dual_mul_f32 v98, v89, v85 :: v_dual_mov_b32 v86, v89
	v_dual_mov_b32 v101, v87 :: v_dual_mov_b32 v87, v88
	s_delay_alu instid0(VALU_DEP_2) | instskip(SKIP_1) | instid1(VALU_DEP_3)
	v_pk_fma_f32 v[98:99], v[88:89], v[162:163], v[98:99] op_sel_hi:[1,1,0] neg_lo:[0,0,1] neg_hi:[0,0,1]
	v_mul_f32_e32 v88, v89, v82
	v_pk_add_f32 v[156:157], v[156:157], v[100:101] neg_lo:[0,1] neg_hi:[0,1]
	s_delay_alu instid0(VALU_DEP_2) | instskip(NEXT) | instid1(VALU_DEP_1)
	v_pk_fma_f32 v[86:87], v[86:87], v[162:163], v[88:89] op_sel_hi:[1,1,0]
	v_mov_b32_e32 v99, v87
	ds_load_2addr_b64 v[86:89], v154 offset0:41 offset1:42
	v_pk_add_f32 v[178:179], v[178:179], v[98:99] neg_lo:[0,1] neg_hi:[0,1]
	s_wait_dscnt 0x0
	v_pk_mul_f32 v[98:99], v[86:87], v[84:85] op_sel:[0,1]
	s_delay_alu instid0(VALU_DEP_1) | instskip(SKIP_1) | instid1(VALU_DEP_1)
	v_pk_fma_f32 v[100:101], v[86:87], v[82:83], v[98:99] op_sel:[0,0,1] op_sel_hi:[1,1,0] neg_lo:[0,0,1] neg_hi:[0,0,1]
	v_pk_fma_f32 v[86:87], v[86:87], v[82:83], v[98:99] op_sel:[0,0,1] op_sel_hi:[1,0,0]
	v_mov_b32_e32 v101, v87
	v_pk_mul_f32 v[86:87], v[88:89], v[84:85] op_sel:[0,1]
	s_delay_alu instid0(VALU_DEP_1) | instskip(SKIP_1) | instid1(VALU_DEP_1)
	v_pk_fma_f32 v[98:99], v[88:89], v[82:83], v[86:87] op_sel:[0,0,1] op_sel_hi:[1,1,0] neg_lo:[0,0,1] neg_hi:[0,0,1]
	v_pk_fma_f32 v[86:87], v[88:89], v[82:83], v[86:87] op_sel:[0,0,1] op_sel_hi:[1,0,0]
	v_mov_b32_e32 v99, v87
	ds_load_2addr_b64 v[86:89], v154 offset0:43 offset1:44
	v_pk_add_f32 v[174:175], v[174:175], v[100:101] neg_lo:[0,1] neg_hi:[0,1]
	v_pk_add_f32 v[176:177], v[176:177], v[98:99] neg_lo:[0,1] neg_hi:[0,1]
	s_wait_dscnt 0x0
	v_pk_mul_f32 v[98:99], v[86:87], v[84:85] op_sel:[0,1]
	s_delay_alu instid0(VALU_DEP_1) | instskip(SKIP_1) | instid1(VALU_DEP_1)
	v_pk_fma_f32 v[100:101], v[86:87], v[82:83], v[98:99] op_sel:[0,0,1] op_sel_hi:[1,1,0] neg_lo:[0,0,1] neg_hi:[0,0,1]
	v_pk_fma_f32 v[86:87], v[86:87], v[82:83], v[98:99] op_sel:[0,0,1] op_sel_hi:[1,0,0]
	v_mov_b32_e32 v101, v87
	v_pk_mul_f32 v[86:87], v[88:89], v[84:85] op_sel:[0,1]
	s_delay_alu instid0(VALU_DEP_1) | instskip(SKIP_1) | instid1(VALU_DEP_1)
	v_pk_fma_f32 v[98:99], v[88:89], v[82:83], v[86:87] op_sel:[0,0,1] op_sel_hi:[1,1,0] neg_lo:[0,0,1] neg_hi:[0,0,1]
	v_pk_fma_f32 v[86:87], v[88:89], v[82:83], v[86:87] op_sel:[0,0,1] op_sel_hi:[1,0,0]
	v_mov_b32_e32 v99, v87
	ds_load_2addr_b64 v[86:89], v154 offset0:45 offset1:46
	v_pk_add_f32 v[172:173], v[172:173], v[100:101] neg_lo:[0,1] neg_hi:[0,1]
	v_pk_add_f32 v[196:197], v[196:197], v[98:99] neg_lo:[0,1] neg_hi:[0,1]
	s_wait_dscnt 0x0
	v_dual_mul_f32 v98, v87, v85 :: v_dual_mul_f32 v100, v87, v82
	s_delay_alu instid0(VALU_DEP_1) | instskip(NEXT) | instid1(VALU_DEP_2)
	v_pk_fma_f32 v[98:99], v[86:87], v[162:163], v[98:99] op_sel_hi:[1,1,0] neg_lo:[0,0,1] neg_hi:[0,0,1]
	v_pk_fma_f32 v[86:87], v[86:87], v[162:163], v[100:101] op_sel:[1,0,0] op_sel_hi:[0,1,0]
	s_delay_alu instid0(VALU_DEP_1) | instskip(SKIP_1) | instid1(VALU_DEP_2)
	v_mov_b32_e32 v99, v87
	v_pk_mul_f32 v[86:87], v[88:89], v[84:85] op_sel:[0,1]
	v_pk_add_f32 v[192:193], v[192:193], v[98:99] neg_lo:[0,1] neg_hi:[0,1]
	s_delay_alu instid0(VALU_DEP_2) | instskip(SKIP_1) | instid1(VALU_DEP_1)
	v_pk_fma_f32 v[98:99], v[88:89], v[82:83], v[86:87] op_sel:[0,0,1] op_sel_hi:[1,1,0] neg_lo:[0,0,1] neg_hi:[0,0,1]
	v_pk_fma_f32 v[86:87], v[88:89], v[82:83], v[86:87] op_sel:[0,0,1] op_sel_hi:[1,0,0]
	v_mov_b32_e32 v99, v87
	ds_load_2addr_b64 v[86:89], v154 offset0:47 offset1:48
	v_pk_add_f32 v[194:195], v[194:195], v[98:99] neg_lo:[0,1] neg_hi:[0,1]
	s_wait_dscnt 0x0
	v_pk_mul_f32 v[98:99], v[86:87], v[84:85] op_sel:[0,1]
	s_delay_alu instid0(VALU_DEP_1) | instskip(SKIP_1) | instid1(VALU_DEP_1)
	v_pk_fma_f32 v[100:101], v[86:87], v[82:83], v[98:99] op_sel:[0,0,1] op_sel_hi:[1,1,0] neg_lo:[0,0,1] neg_hi:[0,0,1]
	v_pk_fma_f32 v[86:87], v[86:87], v[82:83], v[98:99] op_sel:[0,0,1] op_sel_hi:[1,0,0]
	v_mov_b32_e32 v101, v87
	v_pk_mul_f32 v[86:87], v[88:89], v[84:85] op_sel:[0,1]
	s_delay_alu instid0(VALU_DEP_2) | instskip(NEXT) | instid1(VALU_DEP_2)
	v_pk_add_f32 v[190:191], v[190:191], v[100:101] neg_lo:[0,1] neg_hi:[0,1]
	v_pk_fma_f32 v[98:99], v[88:89], v[82:83], v[86:87] op_sel:[0,0,1] op_sel_hi:[1,1,0] neg_lo:[0,0,1] neg_hi:[0,0,1]
	v_pk_fma_f32 v[86:87], v[88:89], v[82:83], v[86:87] op_sel:[0,0,1] op_sel_hi:[1,0,0]
	s_delay_alu instid0(VALU_DEP_1) | instskip(SKIP_4) | instid1(VALU_DEP_1)
	v_mov_b32_e32 v99, v87
	ds_load_2addr_b64 v[86:89], v154 offset0:49 offset1:50
	v_pk_add_f32 v[216:217], v[216:217], v[98:99] neg_lo:[0,1] neg_hi:[0,1]
	s_wait_dscnt 0x0
	v_pk_mul_f32 v[98:99], v[86:87], v[84:85] op_sel:[0,1]
	v_pk_fma_f32 v[100:101], v[86:87], v[82:83], v[98:99] op_sel:[0,0,1] op_sel_hi:[1,1,0] neg_lo:[0,0,1] neg_hi:[0,0,1]
	v_pk_fma_f32 v[86:87], v[86:87], v[82:83], v[98:99] op_sel:[0,0,1] op_sel_hi:[1,0,0]
	v_dual_mul_f32 v98, v89, v85 :: v_dual_mov_b32 v86, v89
	s_delay_alu instid0(VALU_DEP_2) | instskip(NEXT) | instid1(VALU_DEP_2)
	v_dual_mov_b32 v101, v87 :: v_dual_mov_b32 v87, v88
	v_pk_fma_f32 v[98:99], v[88:89], v[162:163], v[98:99] op_sel_hi:[1,1,0] neg_lo:[0,0,1] neg_hi:[0,0,1]
	v_mul_f32_e32 v88, v89, v82
	s_delay_alu instid0(VALU_DEP_3) | instskip(NEXT) | instid1(VALU_DEP_2)
	v_pk_add_f32 v[210:211], v[210:211], v[100:101] neg_lo:[0,1] neg_hi:[0,1]
	v_pk_fma_f32 v[86:87], v[86:87], v[162:163], v[88:89] op_sel_hi:[1,1,0]
	s_delay_alu instid0(VALU_DEP_1) | instskip(SKIP_4) | instid1(VALU_DEP_1)
	v_mov_b32_e32 v99, v87
	ds_load_2addr_b64 v[86:89], v154 offset0:51 offset1:52
	v_pk_add_f32 v[214:215], v[214:215], v[98:99] neg_lo:[0,1] neg_hi:[0,1]
	s_wait_dscnt 0x0
	v_pk_mul_f32 v[98:99], v[86:87], v[84:85] op_sel:[0,1]
	v_pk_fma_f32 v[100:101], v[86:87], v[82:83], v[98:99] op_sel:[0,0,1] op_sel_hi:[1,1,0] neg_lo:[0,0,1] neg_hi:[0,0,1]
	v_pk_fma_f32 v[86:87], v[86:87], v[82:83], v[98:99] op_sel:[0,0,1] op_sel_hi:[1,0,0]
	s_delay_alu instid0(VALU_DEP_1) | instskip(SKIP_1) | instid1(VALU_DEP_1)
	v_mov_b32_e32 v101, v87
	v_pk_mul_f32 v[86:87], v[88:89], v[84:85] op_sel:[0,1]
	v_pk_fma_f32 v[98:99], v[88:89], v[82:83], v[86:87] op_sel:[0,0,1] op_sel_hi:[1,1,0] neg_lo:[0,0,1] neg_hi:[0,0,1]
	v_pk_fma_f32 v[86:87], v[88:89], v[82:83], v[86:87] op_sel:[0,0,1] op_sel_hi:[1,0,0]
	s_delay_alu instid0(VALU_DEP_1)
	v_mov_b32_e32 v99, v87
	ds_load_2addr_b64 v[86:89], v154 offset0:53 offset1:54
	v_pk_add_f32 v[208:209], v[208:209], v[100:101] neg_lo:[0,1] neg_hi:[0,1]
	v_pk_add_f32 v[212:213], v[212:213], v[98:99] neg_lo:[0,1] neg_hi:[0,1]
	s_wait_dscnt 0x0
	v_pk_mul_f32 v[98:99], v[86:87], v[84:85] op_sel:[0,1]
	v_mul_f32_e32 v84, v89, v85
	s_delay_alu instid0(VALU_DEP_2) | instskip(SKIP_2) | instid1(VALU_DEP_4)
	v_pk_fma_f32 v[100:101], v[86:87], v[82:83], v[98:99] op_sel:[0,0,1] op_sel_hi:[1,1,0] neg_lo:[0,0,1] neg_hi:[0,0,1]
	v_pk_fma_f32 v[86:87], v[86:87], v[82:83], v[98:99] op_sel:[0,0,1] op_sel_hi:[1,0,0]
	v_dual_mov_b32 v86, v89 :: v_dual_mul_f32 v82, v89, v82
	v_pk_fma_f32 v[84:85], v[88:89], v[162:163], v[84:85] op_sel_hi:[1,1,0] neg_lo:[0,0,1] neg_hi:[0,0,1]
	s_delay_alu instid0(VALU_DEP_3) | instskip(NEXT) | instid1(VALU_DEP_1)
	v_dual_mov_b32 v101, v87 :: v_dual_mov_b32 v87, v88
	v_pk_add_f32 v[218:219], v[218:219], v[100:101] neg_lo:[0,1] neg_hi:[0,1]
	s_delay_alu instid0(VALU_DEP_2) | instskip(NEXT) | instid1(VALU_DEP_1)
	v_pk_fma_f32 v[82:83], v[86:87], v[162:163], v[82:83] op_sel_hi:[1,1,0]
	v_mov_b32_e32 v85, v83
	s_delay_alu instid0(VALU_DEP_1)
	v_pk_add_f32 v[220:221], v[220:221], v[84:85] neg_lo:[0,1] neg_hi:[0,1]
.LBB109_334:
	s_or_b32 exec_lo, exec_lo, s1
	s_delay_alu instid0(SALU_CYCLE_1)
	s_mov_b32 s2, exec_lo
	s_wait_dscnt 0x0
	s_barrier_signal -1
	s_barrier_wait -1
	v_cmpx_eq_u32_e32 37, v152
	s_cbranch_execz .LBB109_341
; %bb.335:
	v_dual_mov_b32 v82, v160 :: v_dual_mov_b32 v83, v161
	v_dual_mov_b32 v84, v156 :: v_dual_mov_b32 v85, v157
	ds_store_b64 v153, v[158:159]
	ds_store_2addr_b64 v154, v[82:83], v[84:85] offset0:38 offset1:39
	v_dual_mov_b32 v82, v178 :: v_dual_mov_b32 v83, v179
	v_dual_mov_b32 v84, v174 :: v_dual_mov_b32 v85, v175
	ds_store_2addr_b64 v154, v[82:83], v[84:85] offset0:40 offset1:41
	v_dual_mov_b32 v82, v176 :: v_dual_mov_b32 v83, v177
	v_dual_mov_b32 v84, v172 :: v_dual_mov_b32 v85, v173
	;; [unrolled: 3-line block ×7, first 2 shown]
	ds_store_2addr_b64 v154, v[82:83], v[84:85] offset0:52 offset1:53
	ds_store_b64 v154, v[220:221] offset:432
	ds_load_b64 v[82:83], v153
	s_wait_dscnt 0x0
	v_cmp_neq_f32_e32 vcc_lo, 0, v82
	v_cmp_neq_f32_e64 s1, 0, v83
	s_or_b32 s1, vcc_lo, s1
	s_delay_alu instid0(SALU_CYCLE_1)
	s_and_b32 exec_lo, exec_lo, s1
	s_cbranch_execz .LBB109_341
; %bb.336:
	v_cmp_ngt_f32_e64 s1, |v82|, |v83|
                                        ; implicit-def: $vgpr84_vgpr85
	s_and_saveexec_b32 s4, s1
	s_delay_alu instid0(SALU_CYCLE_1)
	s_xor_b32 s1, exec_lo, s4
	s_cbranch_execz .LBB109_338
; %bb.337:
	v_div_scale_f32 v84, null, v83, v83, v82
	v_div_scale_f32 v87, vcc_lo, v82, v83, v82
	s_delay_alu instid0(VALU_DEP_2) | instskip(SKIP_1) | instid1(TRANS32_DEP_1)
	v_rcp_f32_e32 v85, v84
	v_nop
	v_fma_f32 v86, -v84, v85, 1.0
	s_delay_alu instid0(VALU_DEP_1) | instskip(NEXT) | instid1(VALU_DEP_1)
	v_fmac_f32_e32 v85, v86, v85
	v_mul_f32_e32 v86, v87, v85
	s_delay_alu instid0(VALU_DEP_1) | instskip(NEXT) | instid1(VALU_DEP_1)
	v_fma_f32 v88, -v84, v86, v87
	v_fmac_f32_e32 v86, v88, v85
	s_delay_alu instid0(VALU_DEP_1) | instskip(NEXT) | instid1(VALU_DEP_1)
	v_fma_f32 v84, -v84, v86, v87
	v_div_fmas_f32 v84, v84, v85, v86
	s_delay_alu instid0(VALU_DEP_1) | instskip(NEXT) | instid1(VALU_DEP_1)
	v_div_fixup_f32 v84, v84, v83, v82
	v_fmac_f32_e32 v83, v82, v84
	s_delay_alu instid0(VALU_DEP_1) | instskip(SKIP_1) | instid1(VALU_DEP_2)
	v_div_scale_f32 v82, null, v83, v83, 1.0
	v_div_scale_f32 v87, vcc_lo, 1.0, v83, 1.0
	v_rcp_f32_e32 v85, v82
	v_nop
	s_delay_alu instid0(TRANS32_DEP_1) | instskip(NEXT) | instid1(VALU_DEP_1)
	v_fma_f32 v86, -v82, v85, 1.0
	v_fmac_f32_e32 v85, v86, v85
	s_delay_alu instid0(VALU_DEP_1) | instskip(NEXT) | instid1(VALU_DEP_1)
	v_mul_f32_e32 v86, v87, v85
	v_fma_f32 v88, -v82, v86, v87
	s_delay_alu instid0(VALU_DEP_1) | instskip(NEXT) | instid1(VALU_DEP_1)
	v_fmac_f32_e32 v86, v88, v85
	v_fma_f32 v82, -v82, v86, v87
	s_delay_alu instid0(VALU_DEP_1) | instskip(NEXT) | instid1(VALU_DEP_1)
	v_div_fmas_f32 v82, v82, v85, v86
	v_div_fixup_f32 v82, v82, v83, 1.0
	s_delay_alu instid0(VALU_DEP_1)
	v_mul_f32_e32 v84, v84, v82
	v_xor_b32_e32 v85, 0x80000000, v82
                                        ; implicit-def: $vgpr82_vgpr83
.LBB109_338:
	s_and_not1_saveexec_b32 s1, s1
	s_cbranch_execz .LBB109_340
; %bb.339:
	v_div_scale_f32 v84, null, v82, v82, v83
	v_div_scale_f32 v87, vcc_lo, v83, v82, v83
	s_delay_alu instid0(VALU_DEP_2) | instskip(SKIP_1) | instid1(TRANS32_DEP_1)
	v_rcp_f32_e32 v85, v84
	v_nop
	v_fma_f32 v86, -v84, v85, 1.0
	s_delay_alu instid0(VALU_DEP_1) | instskip(NEXT) | instid1(VALU_DEP_1)
	v_fmac_f32_e32 v85, v86, v85
	v_mul_f32_e32 v86, v87, v85
	s_delay_alu instid0(VALU_DEP_1) | instskip(NEXT) | instid1(VALU_DEP_1)
	v_fma_f32 v88, -v84, v86, v87
	v_fmac_f32_e32 v86, v88, v85
	s_delay_alu instid0(VALU_DEP_1) | instskip(NEXT) | instid1(VALU_DEP_1)
	v_fma_f32 v84, -v84, v86, v87
	v_div_fmas_f32 v84, v84, v85, v86
	s_delay_alu instid0(VALU_DEP_1) | instskip(NEXT) | instid1(VALU_DEP_1)
	v_div_fixup_f32 v85, v84, v82, v83
	v_fmac_f32_e32 v82, v83, v85
	s_delay_alu instid0(VALU_DEP_1) | instskip(NEXT) | instid1(VALU_DEP_1)
	v_div_scale_f32 v83, null, v82, v82, 1.0
	v_rcp_f32_e32 v84, v83
	v_nop
	s_delay_alu instid0(TRANS32_DEP_1) | instskip(NEXT) | instid1(VALU_DEP_1)
	v_fma_f32 v86, -v83, v84, 1.0
	v_fmac_f32_e32 v84, v86, v84
	v_div_scale_f32 v86, vcc_lo, 1.0, v82, 1.0
	s_delay_alu instid0(VALU_DEP_1) | instskip(NEXT) | instid1(VALU_DEP_1)
	v_mul_f32_e32 v87, v86, v84
	v_fma_f32 v88, -v83, v87, v86
	s_delay_alu instid0(VALU_DEP_1) | instskip(NEXT) | instid1(VALU_DEP_1)
	v_fmac_f32_e32 v87, v88, v84
	v_fma_f32 v83, -v83, v87, v86
	s_delay_alu instid0(VALU_DEP_1) | instskip(NEXT) | instid1(VALU_DEP_1)
	v_div_fmas_f32 v83, v83, v84, v87
	v_div_fixup_f32 v84, v83, v82, 1.0
	s_delay_alu instid0(VALU_DEP_1)
	v_mul_f32_e64 v85, v85, -v84
.LBB109_340:
	s_or_b32 exec_lo, exec_lo, s1
	ds_store_b64 v153, v[84:85]
.LBB109_341:
	s_or_b32 exec_lo, exec_lo, s2
	s_wait_dscnt 0x0
	s_barrier_signal -1
	s_barrier_wait -1
	ds_load_b64 v[82:83], v153
	s_mov_b32 s1, exec_lo
	v_cmpx_lt_u32_e32 37, v152
	s_cbranch_execz .LBB109_343
; %bb.342:
	ds_load_2addr_b64 v[98:101], v154 offset0:38 offset1:39
	s_wait_dscnt 0x1
	v_pk_mul_f32 v[86:87], v[82:83], v[158:159] op_sel:[1,1] op_sel_hi:[0,1]
	s_delay_alu instid0(VALU_DEP_1) | instskip(SKIP_1) | instid1(VALU_DEP_1)
	v_pk_fma_f32 v[84:85], v[82:83], v[158:159], v[86:87] op_sel_hi:[1,0,1] neg_lo:[0,0,1] neg_hi:[0,0,1]
	v_pk_fma_f32 v[86:87], v[82:83], v[158:159], v[86:87] op_sel_hi:[1,0,1]
	v_dual_mov_b32 v158, v84 :: v_dual_mov_b32 v159, v87
	s_wait_dscnt 0x0
	s_delay_alu instid0(VALU_DEP_2) | instskip(NEXT) | instid1(VALU_DEP_1)
	v_pk_mul_f32 v[88:89], v[98:99], v[86:87] op_sel:[0,1]
	v_pk_fma_f32 v[102:103], v[98:99], v[84:85], v[88:89] op_sel:[0,0,1] op_sel_hi:[1,1,0] neg_lo:[0,0,1] neg_hi:[0,0,1]
	v_pk_fma_f32 v[88:89], v[98:99], v[84:85], v[88:89] op_sel:[0,0,1] op_sel_hi:[1,0,0]
	s_delay_alu instid0(VALU_DEP_1) | instskip(SKIP_1) | instid1(VALU_DEP_1)
	v_mov_b32_e32 v103, v89
	v_pk_mul_f32 v[88:89], v[100:101], v[86:87] op_sel:[0,1]
	v_pk_fma_f32 v[98:99], v[100:101], v[84:85], v[88:89] op_sel:[0,0,1] op_sel_hi:[1,1,0] neg_lo:[0,0,1] neg_hi:[0,0,1]
	v_pk_fma_f32 v[88:89], v[100:101], v[84:85], v[88:89] op_sel:[0,0,1] op_sel_hi:[1,0,0]
	s_delay_alu instid0(VALU_DEP_1) | instskip(SKIP_1) | instid1(VALU_DEP_2)
	v_mov_b32_e32 v99, v89
	v_pk_add_f32 v[160:161], v[160:161], v[102:103] neg_lo:[0,1] neg_hi:[0,1]
	v_pk_add_f32 v[156:157], v[156:157], v[98:99] neg_lo:[0,1] neg_hi:[0,1]
	ds_load_2addr_b64 v[98:101], v154 offset0:40 offset1:41
	s_wait_dscnt 0x0
	v_pk_mul_f32 v[88:89], v[98:99], v[86:87] op_sel:[0,1]
	s_delay_alu instid0(VALU_DEP_1) | instskip(SKIP_2) | instid1(VALU_DEP_2)
	v_pk_fma_f32 v[102:103], v[98:99], v[84:85], v[88:89] op_sel:[0,0,1] op_sel_hi:[1,1,0] neg_lo:[0,0,1] neg_hi:[0,0,1]
	v_pk_fma_f32 v[88:89], v[98:99], v[84:85], v[88:89] op_sel:[0,0,1] op_sel_hi:[1,0,0]
	v_dual_mul_f32 v98, v101, v87 :: v_dual_mov_b32 v88, v101
	v_dual_mov_b32 v103, v89 :: v_dual_mov_b32 v89, v100
	s_delay_alu instid0(VALU_DEP_2) | instskip(SKIP_1) | instid1(VALU_DEP_3)
	v_pk_fma_f32 v[98:99], v[100:101], v[158:159], v[98:99] op_sel_hi:[1,1,0] neg_lo:[0,0,1] neg_hi:[0,0,1]
	v_mul_f32_e32 v100, v101, v84
	v_pk_add_f32 v[178:179], v[178:179], v[102:103] neg_lo:[0,1] neg_hi:[0,1]
	s_delay_alu instid0(VALU_DEP_2) | instskip(NEXT) | instid1(VALU_DEP_1)
	v_pk_fma_f32 v[88:89], v[88:89], v[158:159], v[100:101] op_sel_hi:[1,1,0]
	v_mov_b32_e32 v99, v89
	s_delay_alu instid0(VALU_DEP_1) | instskip(SKIP_3) | instid1(VALU_DEP_1)
	v_pk_add_f32 v[174:175], v[174:175], v[98:99] neg_lo:[0,1] neg_hi:[0,1]
	ds_load_2addr_b64 v[98:101], v154 offset0:42 offset1:43
	s_wait_dscnt 0x0
	v_pk_mul_f32 v[88:89], v[98:99], v[86:87] op_sel:[0,1]
	v_pk_fma_f32 v[102:103], v[98:99], v[84:85], v[88:89] op_sel:[0,0,1] op_sel_hi:[1,1,0] neg_lo:[0,0,1] neg_hi:[0,0,1]
	v_pk_fma_f32 v[88:89], v[98:99], v[84:85], v[88:89] op_sel:[0,0,1] op_sel_hi:[1,0,0]
	s_delay_alu instid0(VALU_DEP_1) | instskip(SKIP_1) | instid1(VALU_DEP_2)
	v_mov_b32_e32 v103, v89
	v_pk_mul_f32 v[88:89], v[100:101], v[86:87] op_sel:[0,1]
	v_pk_add_f32 v[176:177], v[176:177], v[102:103] neg_lo:[0,1] neg_hi:[0,1]
	s_delay_alu instid0(VALU_DEP_2) | instskip(SKIP_1) | instid1(VALU_DEP_1)
	v_pk_fma_f32 v[98:99], v[100:101], v[84:85], v[88:89] op_sel:[0,0,1] op_sel_hi:[1,1,0] neg_lo:[0,0,1] neg_hi:[0,0,1]
	v_pk_fma_f32 v[88:89], v[100:101], v[84:85], v[88:89] op_sel:[0,0,1] op_sel_hi:[1,0,0]
	v_mov_b32_e32 v99, v89
	s_delay_alu instid0(VALU_DEP_1) | instskip(SKIP_3) | instid1(VALU_DEP_1)
	v_pk_add_f32 v[172:173], v[172:173], v[98:99] neg_lo:[0,1] neg_hi:[0,1]
	ds_load_2addr_b64 v[98:101], v154 offset0:44 offset1:45
	s_wait_dscnt 0x0
	v_pk_mul_f32 v[88:89], v[98:99], v[86:87] op_sel:[0,1]
	v_pk_fma_f32 v[102:103], v[98:99], v[84:85], v[88:89] op_sel:[0,0,1] op_sel_hi:[1,1,0] neg_lo:[0,0,1] neg_hi:[0,0,1]
	v_pk_fma_f32 v[88:89], v[98:99], v[84:85], v[88:89] op_sel:[0,0,1] op_sel_hi:[1,0,0]
	s_delay_alu instid0(VALU_DEP_1) | instskip(SKIP_1) | instid1(VALU_DEP_2)
	v_mov_b32_e32 v103, v89
	v_pk_mul_f32 v[88:89], v[100:101], v[86:87] op_sel:[0,1]
	v_pk_add_f32 v[196:197], v[196:197], v[102:103] neg_lo:[0,1] neg_hi:[0,1]
	s_delay_alu instid0(VALU_DEP_2) | instskip(SKIP_1) | instid1(VALU_DEP_1)
	v_pk_fma_f32 v[98:99], v[100:101], v[84:85], v[88:89] op_sel:[0,0,1] op_sel_hi:[1,1,0] neg_lo:[0,0,1] neg_hi:[0,0,1]
	v_pk_fma_f32 v[88:89], v[100:101], v[84:85], v[88:89] op_sel:[0,0,1] op_sel_hi:[1,0,0]
	v_mov_b32_e32 v99, v89
	s_delay_alu instid0(VALU_DEP_1) | instskip(SKIP_3) | instid1(VALU_DEP_1)
	v_pk_add_f32 v[192:193], v[192:193], v[98:99] neg_lo:[0,1] neg_hi:[0,1]
	ds_load_2addr_b64 v[98:101], v154 offset0:46 offset1:47
	s_wait_dscnt 0x0
	v_dual_mul_f32 v88, v99, v87 :: v_dual_mul_f32 v102, v99, v84
	v_pk_fma_f32 v[88:89], v[98:99], v[158:159], v[88:89] op_sel_hi:[1,1,0] neg_lo:[0,0,1] neg_hi:[0,0,1]
	s_delay_alu instid0(VALU_DEP_2) | instskip(NEXT) | instid1(VALU_DEP_1)
	v_pk_fma_f32 v[98:99], v[98:99], v[158:159], v[102:103] op_sel:[1,0,0] op_sel_hi:[0,1,0]
	v_mov_b32_e32 v89, v99
	s_delay_alu instid0(VALU_DEP_1) | instskip(SKIP_1) | instid1(VALU_DEP_1)
	v_pk_add_f32 v[194:195], v[194:195], v[88:89] neg_lo:[0,1] neg_hi:[0,1]
	v_pk_mul_f32 v[88:89], v[100:101], v[86:87] op_sel:[0,1]
	v_pk_fma_f32 v[98:99], v[100:101], v[84:85], v[88:89] op_sel:[0,0,1] op_sel_hi:[1,1,0] neg_lo:[0,0,1] neg_hi:[0,0,1]
	v_pk_fma_f32 v[88:89], v[100:101], v[84:85], v[88:89] op_sel:[0,0,1] op_sel_hi:[1,0,0]
	s_delay_alu instid0(VALU_DEP_1) | instskip(NEXT) | instid1(VALU_DEP_1)
	v_mov_b32_e32 v99, v89
	v_pk_add_f32 v[190:191], v[190:191], v[98:99] neg_lo:[0,1] neg_hi:[0,1]
	ds_load_2addr_b64 v[98:101], v154 offset0:48 offset1:49
	s_wait_dscnt 0x0
	v_pk_mul_f32 v[88:89], v[98:99], v[86:87] op_sel:[0,1]
	s_delay_alu instid0(VALU_DEP_1) | instskip(SKIP_1) | instid1(VALU_DEP_1)
	v_pk_fma_f32 v[102:103], v[98:99], v[84:85], v[88:89] op_sel:[0,0,1] op_sel_hi:[1,1,0] neg_lo:[0,0,1] neg_hi:[0,0,1]
	v_pk_fma_f32 v[88:89], v[98:99], v[84:85], v[88:89] op_sel:[0,0,1] op_sel_hi:[1,0,0]
	v_mov_b32_e32 v103, v89
	v_pk_mul_f32 v[88:89], v[100:101], v[86:87] op_sel:[0,1]
	s_delay_alu instid0(VALU_DEP_2) | instskip(NEXT) | instid1(VALU_DEP_2)
	v_pk_add_f32 v[216:217], v[216:217], v[102:103] neg_lo:[0,1] neg_hi:[0,1]
	v_pk_fma_f32 v[98:99], v[100:101], v[84:85], v[88:89] op_sel:[0,0,1] op_sel_hi:[1,1,0] neg_lo:[0,0,1] neg_hi:[0,0,1]
	v_pk_fma_f32 v[88:89], v[100:101], v[84:85], v[88:89] op_sel:[0,0,1] op_sel_hi:[1,0,0]
	s_delay_alu instid0(VALU_DEP_1) | instskip(NEXT) | instid1(VALU_DEP_1)
	v_mov_b32_e32 v99, v89
	v_pk_add_f32 v[210:211], v[210:211], v[98:99] neg_lo:[0,1] neg_hi:[0,1]
	ds_load_2addr_b64 v[98:101], v154 offset0:50 offset1:51
	s_wait_dscnt 0x0
	v_pk_mul_f32 v[88:89], v[98:99], v[86:87] op_sel:[0,1]
	s_delay_alu instid0(VALU_DEP_1) | instskip(SKIP_2) | instid1(VALU_DEP_2)
	v_pk_fma_f32 v[102:103], v[98:99], v[84:85], v[88:89] op_sel:[0,0,1] op_sel_hi:[1,1,0] neg_lo:[0,0,1] neg_hi:[0,0,1]
	v_pk_fma_f32 v[88:89], v[98:99], v[84:85], v[88:89] op_sel:[0,0,1] op_sel_hi:[1,0,0]
	v_dual_mul_f32 v98, v101, v87 :: v_dual_mov_b32 v88, v101
	v_dual_mov_b32 v103, v89 :: v_dual_mov_b32 v89, v100
	s_delay_alu instid0(VALU_DEP_2) | instskip(SKIP_1) | instid1(VALU_DEP_3)
	v_pk_fma_f32 v[98:99], v[100:101], v[158:159], v[98:99] op_sel_hi:[1,1,0] neg_lo:[0,0,1] neg_hi:[0,0,1]
	v_mul_f32_e32 v100, v101, v84
	v_pk_add_f32 v[214:215], v[214:215], v[102:103] neg_lo:[0,1] neg_hi:[0,1]
	s_delay_alu instid0(VALU_DEP_2) | instskip(NEXT) | instid1(VALU_DEP_1)
	v_pk_fma_f32 v[88:89], v[88:89], v[158:159], v[100:101] op_sel_hi:[1,1,0]
	v_mov_b32_e32 v99, v89
	s_delay_alu instid0(VALU_DEP_1) | instskip(SKIP_3) | instid1(VALU_DEP_1)
	v_pk_add_f32 v[208:209], v[208:209], v[98:99] neg_lo:[0,1] neg_hi:[0,1]
	ds_load_2addr_b64 v[98:101], v154 offset0:52 offset1:53
	s_wait_dscnt 0x0
	v_pk_mul_f32 v[88:89], v[98:99], v[86:87] op_sel:[0,1]
	v_pk_fma_f32 v[102:103], v[98:99], v[84:85], v[88:89] op_sel:[0,0,1] op_sel_hi:[1,1,0] neg_lo:[0,0,1] neg_hi:[0,0,1]
	v_pk_fma_f32 v[88:89], v[98:99], v[84:85], v[88:89] op_sel:[0,0,1] op_sel_hi:[1,0,0]
	s_delay_alu instid0(VALU_DEP_1) | instskip(SKIP_1) | instid1(VALU_DEP_2)
	v_mov_b32_e32 v103, v89
	v_pk_mul_f32 v[88:89], v[100:101], v[86:87] op_sel:[0,1]
	v_pk_add_f32 v[212:213], v[212:213], v[102:103] neg_lo:[0,1] neg_hi:[0,1]
	s_delay_alu instid0(VALU_DEP_2) | instskip(SKIP_1) | instid1(VALU_DEP_1)
	v_pk_fma_f32 v[98:99], v[100:101], v[84:85], v[88:89] op_sel:[0,0,1] op_sel_hi:[1,1,0] neg_lo:[0,0,1] neg_hi:[0,0,1]
	v_pk_fma_f32 v[88:89], v[100:101], v[84:85], v[88:89] op_sel:[0,0,1] op_sel_hi:[1,0,0]
	v_mov_b32_e32 v99, v89
	ds_load_b64 v[88:89], v154 offset:432
	v_pk_add_f32 v[218:219], v[218:219], v[98:99] neg_lo:[0,1] neg_hi:[0,1]
	s_wait_dscnt 0x0
	v_pk_mul_f32 v[86:87], v[88:89], v[86:87] op_sel:[0,1]
	s_delay_alu instid0(VALU_DEP_1) | instskip(SKIP_1) | instid1(VALU_DEP_1)
	v_pk_fma_f32 v[98:99], v[88:89], v[84:85], v[86:87] op_sel:[0,0,1] op_sel_hi:[1,1,0] neg_lo:[0,0,1] neg_hi:[0,0,1]
	v_pk_fma_f32 v[84:85], v[88:89], v[84:85], v[86:87] op_sel:[0,0,1] op_sel_hi:[1,0,0]
	v_mov_b32_e32 v99, v85
	s_delay_alu instid0(VALU_DEP_1)
	v_pk_add_f32 v[220:221], v[220:221], v[98:99] neg_lo:[0,1] neg_hi:[0,1]
.LBB109_343:
	s_or_b32 exec_lo, exec_lo, s1
	s_delay_alu instid0(SALU_CYCLE_1)
	s_mov_b32 s2, exec_lo
	s_wait_dscnt 0x0
	s_barrier_signal -1
	s_barrier_wait -1
	v_cmpx_eq_u32_e32 38, v152
	s_cbranch_execz .LBB109_350
; %bb.344:
	ds_store_b64 v153, v[160:161]
	ds_store_2addr_b64 v154, v[156:157], v[178:179] offset0:39 offset1:40
	ds_store_2addr_b64 v154, v[174:175], v[176:177] offset0:41 offset1:42
	;; [unrolled: 1-line block ×8, first 2 shown]
	ds_load_b64 v[84:85], v153
	s_wait_dscnt 0x0
	v_cmp_neq_f32_e32 vcc_lo, 0, v84
	v_cmp_neq_f32_e64 s1, 0, v85
	s_or_b32 s1, vcc_lo, s1
	s_delay_alu instid0(SALU_CYCLE_1)
	s_and_b32 exec_lo, exec_lo, s1
	s_cbranch_execz .LBB109_350
; %bb.345:
	v_cmp_ngt_f32_e64 s1, |v84|, |v85|
                                        ; implicit-def: $vgpr86_vgpr87
	s_and_saveexec_b32 s4, s1
	s_delay_alu instid0(SALU_CYCLE_1)
	s_xor_b32 s1, exec_lo, s4
	s_cbranch_execz .LBB109_347
; %bb.346:
	v_div_scale_f32 v86, null, v85, v85, v84
	v_div_scale_f32 v89, vcc_lo, v84, v85, v84
	s_delay_alu instid0(VALU_DEP_2) | instskip(SKIP_1) | instid1(TRANS32_DEP_1)
	v_rcp_f32_e32 v87, v86
	v_nop
	v_fma_f32 v88, -v86, v87, 1.0
	s_delay_alu instid0(VALU_DEP_1) | instskip(NEXT) | instid1(VALU_DEP_1)
	v_fmac_f32_e32 v87, v88, v87
	v_mul_f32_e32 v88, v89, v87
	s_delay_alu instid0(VALU_DEP_1) | instskip(NEXT) | instid1(VALU_DEP_1)
	v_fma_f32 v98, -v86, v88, v89
	v_fmac_f32_e32 v88, v98, v87
	s_delay_alu instid0(VALU_DEP_1) | instskip(NEXT) | instid1(VALU_DEP_1)
	v_fma_f32 v86, -v86, v88, v89
	v_div_fmas_f32 v86, v86, v87, v88
	s_delay_alu instid0(VALU_DEP_1) | instskip(NEXT) | instid1(VALU_DEP_1)
	v_div_fixup_f32 v86, v86, v85, v84
	v_fmac_f32_e32 v85, v84, v86
	s_delay_alu instid0(VALU_DEP_1) | instskip(SKIP_1) | instid1(VALU_DEP_2)
	v_div_scale_f32 v84, null, v85, v85, 1.0
	v_div_scale_f32 v89, vcc_lo, 1.0, v85, 1.0
	v_rcp_f32_e32 v87, v84
	v_nop
	s_delay_alu instid0(TRANS32_DEP_1) | instskip(NEXT) | instid1(VALU_DEP_1)
	v_fma_f32 v88, -v84, v87, 1.0
	v_fmac_f32_e32 v87, v88, v87
	s_delay_alu instid0(VALU_DEP_1) | instskip(NEXT) | instid1(VALU_DEP_1)
	v_mul_f32_e32 v88, v89, v87
	v_fma_f32 v98, -v84, v88, v89
	s_delay_alu instid0(VALU_DEP_1) | instskip(NEXT) | instid1(VALU_DEP_1)
	v_fmac_f32_e32 v88, v98, v87
	v_fma_f32 v84, -v84, v88, v89
	s_delay_alu instid0(VALU_DEP_1) | instskip(NEXT) | instid1(VALU_DEP_1)
	v_div_fmas_f32 v84, v84, v87, v88
	v_div_fixup_f32 v84, v84, v85, 1.0
	s_delay_alu instid0(VALU_DEP_1)
	v_mul_f32_e32 v86, v86, v84
	v_xor_b32_e32 v87, 0x80000000, v84
                                        ; implicit-def: $vgpr84_vgpr85
.LBB109_347:
	s_and_not1_saveexec_b32 s1, s1
	s_cbranch_execz .LBB109_349
; %bb.348:
	v_div_scale_f32 v86, null, v84, v84, v85
	v_div_scale_f32 v89, vcc_lo, v85, v84, v85
	s_delay_alu instid0(VALU_DEP_2) | instskip(SKIP_1) | instid1(TRANS32_DEP_1)
	v_rcp_f32_e32 v87, v86
	v_nop
	v_fma_f32 v88, -v86, v87, 1.0
	s_delay_alu instid0(VALU_DEP_1) | instskip(NEXT) | instid1(VALU_DEP_1)
	v_fmac_f32_e32 v87, v88, v87
	v_mul_f32_e32 v88, v89, v87
	s_delay_alu instid0(VALU_DEP_1) | instskip(NEXT) | instid1(VALU_DEP_1)
	v_fma_f32 v98, -v86, v88, v89
	v_fmac_f32_e32 v88, v98, v87
	s_delay_alu instid0(VALU_DEP_1) | instskip(NEXT) | instid1(VALU_DEP_1)
	v_fma_f32 v86, -v86, v88, v89
	v_div_fmas_f32 v86, v86, v87, v88
	s_delay_alu instid0(VALU_DEP_1) | instskip(NEXT) | instid1(VALU_DEP_1)
	v_div_fixup_f32 v87, v86, v84, v85
	v_fmac_f32_e32 v84, v85, v87
	s_delay_alu instid0(VALU_DEP_1) | instskip(NEXT) | instid1(VALU_DEP_1)
	v_div_scale_f32 v85, null, v84, v84, 1.0
	v_rcp_f32_e32 v86, v85
	v_nop
	s_delay_alu instid0(TRANS32_DEP_1) | instskip(NEXT) | instid1(VALU_DEP_1)
	v_fma_f32 v88, -v85, v86, 1.0
	v_fmac_f32_e32 v86, v88, v86
	v_div_scale_f32 v88, vcc_lo, 1.0, v84, 1.0
	s_delay_alu instid0(VALU_DEP_1) | instskip(NEXT) | instid1(VALU_DEP_1)
	v_mul_f32_e32 v89, v88, v86
	v_fma_f32 v98, -v85, v89, v88
	s_delay_alu instid0(VALU_DEP_1) | instskip(NEXT) | instid1(VALU_DEP_1)
	v_fmac_f32_e32 v89, v98, v86
	v_fma_f32 v85, -v85, v89, v88
	s_delay_alu instid0(VALU_DEP_1) | instskip(NEXT) | instid1(VALU_DEP_1)
	v_div_fmas_f32 v85, v85, v86, v89
	v_div_fixup_f32 v86, v85, v84, 1.0
	s_delay_alu instid0(VALU_DEP_1)
	v_mul_f32_e64 v87, v87, -v86
.LBB109_349:
	s_or_b32 exec_lo, exec_lo, s1
	ds_store_b64 v153, v[86:87]
.LBB109_350:
	s_or_b32 exec_lo, exec_lo, s2
	s_wait_dscnt 0x0
	s_barrier_signal -1
	s_barrier_wait -1
	ds_load_b64 v[84:85], v153
	s_mov_b32 s1, exec_lo
	v_cmpx_lt_u32_e32 38, v152
	s_cbranch_execz .LBB109_352
; %bb.351:
	ds_load_2addr_b64 v[98:101], v154 offset0:39 offset1:40
	s_wait_dscnt 0x1
	v_pk_mul_f32 v[88:89], v[84:85], v[160:161] op_sel:[1,1] op_sel_hi:[0,1]
	s_delay_alu instid0(VALU_DEP_1) | instskip(SKIP_1) | instid1(VALU_DEP_1)
	v_pk_fma_f32 v[86:87], v[84:85], v[160:161], v[88:89] op_sel_hi:[1,0,1] neg_lo:[0,0,1] neg_hi:[0,0,1]
	v_pk_fma_f32 v[88:89], v[84:85], v[160:161], v[88:89] op_sel_hi:[1,0,1]
	v_dual_mov_b32 v160, v86 :: v_dual_mov_b32 v161, v89
	s_wait_dscnt 0x0
	s_delay_alu instid0(VALU_DEP_2) | instskip(NEXT) | instid1(VALU_DEP_1)
	v_pk_mul_f32 v[102:103], v[98:99], v[88:89] op_sel:[0,1]
	v_pk_fma_f32 v[104:105], v[98:99], v[86:87], v[102:103] op_sel:[0,0,1] op_sel_hi:[1,1,0] neg_lo:[0,0,1] neg_hi:[0,0,1]
	v_pk_fma_f32 v[98:99], v[98:99], v[86:87], v[102:103] op_sel:[0,0,1] op_sel_hi:[1,0,0]
	s_delay_alu instid0(VALU_DEP_1) | instskip(SKIP_1) | instid1(VALU_DEP_1)
	v_mov_b32_e32 v105, v99
	v_pk_mul_f32 v[98:99], v[100:101], v[88:89] op_sel:[0,1]
	v_pk_fma_f32 v[102:103], v[100:101], v[86:87], v[98:99] op_sel:[0,0,1] op_sel_hi:[1,1,0] neg_lo:[0,0,1] neg_hi:[0,0,1]
	v_pk_fma_f32 v[98:99], v[100:101], v[86:87], v[98:99] op_sel:[0,0,1] op_sel_hi:[1,0,0]
	s_delay_alu instid0(VALU_DEP_1)
	v_mov_b32_e32 v103, v99
	ds_load_2addr_b64 v[98:101], v154 offset0:41 offset1:42
	v_pk_add_f32 v[156:157], v[156:157], v[104:105] neg_lo:[0,1] neg_hi:[0,1]
	v_pk_add_f32 v[178:179], v[178:179], v[102:103] neg_lo:[0,1] neg_hi:[0,1]
	s_wait_dscnt 0x0
	v_pk_mul_f32 v[102:103], v[98:99], v[88:89] op_sel:[0,1]
	s_delay_alu instid0(VALU_DEP_1) | instskip(SKIP_2) | instid1(VALU_DEP_2)
	v_pk_fma_f32 v[104:105], v[98:99], v[86:87], v[102:103] op_sel:[0,0,1] op_sel_hi:[1,1,0] neg_lo:[0,0,1] neg_hi:[0,0,1]
	v_pk_fma_f32 v[98:99], v[98:99], v[86:87], v[102:103] op_sel:[0,0,1] op_sel_hi:[1,0,0]
	v_dual_mul_f32 v102, v101, v89 :: v_dual_mov_b32 v98, v101
	v_dual_mov_b32 v105, v99 :: v_dual_mov_b32 v99, v100
	s_delay_alu instid0(VALU_DEP_2) | instskip(SKIP_1) | instid1(VALU_DEP_3)
	v_pk_fma_f32 v[102:103], v[100:101], v[160:161], v[102:103] op_sel_hi:[1,1,0] neg_lo:[0,0,1] neg_hi:[0,0,1]
	v_mul_f32_e32 v100, v101, v86
	v_pk_add_f32 v[174:175], v[174:175], v[104:105] neg_lo:[0,1] neg_hi:[0,1]
	s_delay_alu instid0(VALU_DEP_2) | instskip(NEXT) | instid1(VALU_DEP_1)
	v_pk_fma_f32 v[98:99], v[98:99], v[160:161], v[100:101] op_sel_hi:[1,1,0]
	v_mov_b32_e32 v103, v99
	ds_load_2addr_b64 v[98:101], v154 offset0:43 offset1:44
	v_pk_add_f32 v[176:177], v[176:177], v[102:103] neg_lo:[0,1] neg_hi:[0,1]
	s_wait_dscnt 0x0
	v_pk_mul_f32 v[102:103], v[98:99], v[88:89] op_sel:[0,1]
	s_delay_alu instid0(VALU_DEP_1) | instskip(SKIP_1) | instid1(VALU_DEP_1)
	v_pk_fma_f32 v[104:105], v[98:99], v[86:87], v[102:103] op_sel:[0,0,1] op_sel_hi:[1,1,0] neg_lo:[0,0,1] neg_hi:[0,0,1]
	v_pk_fma_f32 v[98:99], v[98:99], v[86:87], v[102:103] op_sel:[0,0,1] op_sel_hi:[1,0,0]
	v_mov_b32_e32 v105, v99
	v_pk_mul_f32 v[98:99], v[100:101], v[88:89] op_sel:[0,1]
	s_delay_alu instid0(VALU_DEP_1) | instskip(SKIP_1) | instid1(VALU_DEP_1)
	v_pk_fma_f32 v[102:103], v[100:101], v[86:87], v[98:99] op_sel:[0,0,1] op_sel_hi:[1,1,0] neg_lo:[0,0,1] neg_hi:[0,0,1]
	v_pk_fma_f32 v[98:99], v[100:101], v[86:87], v[98:99] op_sel:[0,0,1] op_sel_hi:[1,0,0]
	v_mov_b32_e32 v103, v99
	ds_load_2addr_b64 v[98:101], v154 offset0:45 offset1:46
	v_pk_add_f32 v[172:173], v[172:173], v[104:105] neg_lo:[0,1] neg_hi:[0,1]
	v_pk_add_f32 v[196:197], v[196:197], v[102:103] neg_lo:[0,1] neg_hi:[0,1]
	s_wait_dscnt 0x0
	v_pk_mul_f32 v[102:103], v[98:99], v[88:89] op_sel:[0,1]
	s_delay_alu instid0(VALU_DEP_1) | instskip(SKIP_1) | instid1(VALU_DEP_1)
	v_pk_fma_f32 v[104:105], v[98:99], v[86:87], v[102:103] op_sel:[0,0,1] op_sel_hi:[1,1,0] neg_lo:[0,0,1] neg_hi:[0,0,1]
	v_pk_fma_f32 v[98:99], v[98:99], v[86:87], v[102:103] op_sel:[0,0,1] op_sel_hi:[1,0,0]
	v_mov_b32_e32 v105, v99
	v_pk_mul_f32 v[98:99], v[100:101], v[88:89] op_sel:[0,1]
	s_delay_alu instid0(VALU_DEP_1) | instskip(SKIP_1) | instid1(VALU_DEP_1)
	v_pk_fma_f32 v[102:103], v[100:101], v[86:87], v[98:99] op_sel:[0,0,1] op_sel_hi:[1,1,0] neg_lo:[0,0,1] neg_hi:[0,0,1]
	v_pk_fma_f32 v[98:99], v[100:101], v[86:87], v[98:99] op_sel:[0,0,1] op_sel_hi:[1,0,0]
	v_mov_b32_e32 v103, v99
	ds_load_2addr_b64 v[98:101], v154 offset0:47 offset1:48
	v_pk_add_f32 v[192:193], v[192:193], v[104:105] neg_lo:[0,1] neg_hi:[0,1]
	v_pk_add_f32 v[194:195], v[194:195], v[102:103] neg_lo:[0,1] neg_hi:[0,1]
	s_wait_dscnt 0x0
	v_dual_mul_f32 v102, v99, v89 :: v_dual_mul_f32 v104, v99, v86
	s_delay_alu instid0(VALU_DEP_1) | instskip(NEXT) | instid1(VALU_DEP_2)
	v_pk_fma_f32 v[102:103], v[98:99], v[160:161], v[102:103] op_sel_hi:[1,1,0] neg_lo:[0,0,1] neg_hi:[0,0,1]
	v_pk_fma_f32 v[98:99], v[98:99], v[160:161], v[104:105] op_sel:[1,0,0] op_sel_hi:[0,1,0]
	s_delay_alu instid0(VALU_DEP_1) | instskip(SKIP_1) | instid1(VALU_DEP_2)
	v_mov_b32_e32 v103, v99
	v_pk_mul_f32 v[98:99], v[100:101], v[88:89] op_sel:[0,1]
	v_pk_add_f32 v[190:191], v[190:191], v[102:103] neg_lo:[0,1] neg_hi:[0,1]
	s_delay_alu instid0(VALU_DEP_2) | instskip(SKIP_1) | instid1(VALU_DEP_1)
	v_pk_fma_f32 v[102:103], v[100:101], v[86:87], v[98:99] op_sel:[0,0,1] op_sel_hi:[1,1,0] neg_lo:[0,0,1] neg_hi:[0,0,1]
	v_pk_fma_f32 v[98:99], v[100:101], v[86:87], v[98:99] op_sel:[0,0,1] op_sel_hi:[1,0,0]
	v_mov_b32_e32 v103, v99
	ds_load_2addr_b64 v[98:101], v154 offset0:49 offset1:50
	v_pk_add_f32 v[216:217], v[216:217], v[102:103] neg_lo:[0,1] neg_hi:[0,1]
	s_wait_dscnt 0x0
	v_pk_mul_f32 v[102:103], v[98:99], v[88:89] op_sel:[0,1]
	s_delay_alu instid0(VALU_DEP_1) | instskip(SKIP_1) | instid1(VALU_DEP_1)
	v_pk_fma_f32 v[104:105], v[98:99], v[86:87], v[102:103] op_sel:[0,0,1] op_sel_hi:[1,1,0] neg_lo:[0,0,1] neg_hi:[0,0,1]
	v_pk_fma_f32 v[98:99], v[98:99], v[86:87], v[102:103] op_sel:[0,0,1] op_sel_hi:[1,0,0]
	v_mov_b32_e32 v105, v99
	v_pk_mul_f32 v[98:99], v[100:101], v[88:89] op_sel:[0,1]
	s_delay_alu instid0(VALU_DEP_2) | instskip(NEXT) | instid1(VALU_DEP_2)
	v_pk_add_f32 v[210:211], v[210:211], v[104:105] neg_lo:[0,1] neg_hi:[0,1]
	v_pk_fma_f32 v[102:103], v[100:101], v[86:87], v[98:99] op_sel:[0,0,1] op_sel_hi:[1,1,0] neg_lo:[0,0,1] neg_hi:[0,0,1]
	v_pk_fma_f32 v[98:99], v[100:101], v[86:87], v[98:99] op_sel:[0,0,1] op_sel_hi:[1,0,0]
	s_delay_alu instid0(VALU_DEP_1) | instskip(SKIP_4) | instid1(VALU_DEP_1)
	v_mov_b32_e32 v103, v99
	ds_load_2addr_b64 v[98:101], v154 offset0:51 offset1:52
	v_pk_add_f32 v[214:215], v[214:215], v[102:103] neg_lo:[0,1] neg_hi:[0,1]
	s_wait_dscnt 0x0
	v_pk_mul_f32 v[102:103], v[98:99], v[88:89] op_sel:[0,1]
	v_pk_fma_f32 v[104:105], v[98:99], v[86:87], v[102:103] op_sel:[0,0,1] op_sel_hi:[1,1,0] neg_lo:[0,0,1] neg_hi:[0,0,1]
	v_pk_fma_f32 v[98:99], v[98:99], v[86:87], v[102:103] op_sel:[0,0,1] op_sel_hi:[1,0,0]
	v_dual_mul_f32 v102, v101, v89 :: v_dual_mov_b32 v98, v101
	s_delay_alu instid0(VALU_DEP_2) | instskip(NEXT) | instid1(VALU_DEP_2)
	v_dual_mov_b32 v105, v99 :: v_dual_mov_b32 v99, v100
	v_pk_fma_f32 v[102:103], v[100:101], v[160:161], v[102:103] op_sel_hi:[1,1,0] neg_lo:[0,0,1] neg_hi:[0,0,1]
	v_mul_f32_e32 v100, v101, v86
	s_delay_alu instid0(VALU_DEP_3) | instskip(NEXT) | instid1(VALU_DEP_2)
	v_pk_add_f32 v[208:209], v[208:209], v[104:105] neg_lo:[0,1] neg_hi:[0,1]
	v_pk_fma_f32 v[98:99], v[98:99], v[160:161], v[100:101] op_sel_hi:[1,1,0]
	s_delay_alu instid0(VALU_DEP_1)
	v_mov_b32_e32 v103, v99
	ds_load_2addr_b64 v[98:101], v154 offset0:53 offset1:54
	v_pk_add_f32 v[212:213], v[212:213], v[102:103] neg_lo:[0,1] neg_hi:[0,1]
	s_wait_dscnt 0x0
	v_pk_mul_f32 v[102:103], v[98:99], v[88:89] op_sel:[0,1]
	v_pk_mul_f32 v[88:89], v[100:101], v[88:89] op_sel:[0,1]
	s_delay_alu instid0(VALU_DEP_2) | instskip(SKIP_1) | instid1(VALU_DEP_1)
	v_pk_fma_f32 v[104:105], v[98:99], v[86:87], v[102:103] op_sel:[0,0,1] op_sel_hi:[1,1,0] neg_lo:[0,0,1] neg_hi:[0,0,1]
	v_pk_fma_f32 v[98:99], v[98:99], v[86:87], v[102:103] op_sel:[0,0,1] op_sel_hi:[1,0,0]
	v_mov_b32_e32 v105, v99
	s_delay_alu instid0(VALU_DEP_4) | instskip(SKIP_1) | instid1(VALU_DEP_1)
	v_pk_fma_f32 v[98:99], v[100:101], v[86:87], v[88:89] op_sel:[0,0,1] op_sel_hi:[1,1,0] neg_lo:[0,0,1] neg_hi:[0,0,1]
	v_pk_fma_f32 v[86:87], v[100:101], v[86:87], v[88:89] op_sel:[0,0,1] op_sel_hi:[1,0,0]
	v_mov_b32_e32 v99, v87
	s_delay_alu instid0(VALU_DEP_4) | instskip(NEXT) | instid1(VALU_DEP_2)
	v_pk_add_f32 v[218:219], v[218:219], v[104:105] neg_lo:[0,1] neg_hi:[0,1]
	v_pk_add_f32 v[220:221], v[220:221], v[98:99] neg_lo:[0,1] neg_hi:[0,1]
.LBB109_352:
	s_or_b32 exec_lo, exec_lo, s1
	s_delay_alu instid0(SALU_CYCLE_1)
	s_mov_b32 s2, exec_lo
	s_wait_dscnt 0x0
	s_barrier_signal -1
	s_barrier_wait -1
	v_cmpx_eq_u32_e32 39, v152
	s_cbranch_execz .LBB109_359
; %bb.353:
	v_dual_mov_b32 v86, v178 :: v_dual_mov_b32 v87, v179
	v_dual_mov_b32 v88, v174 :: v_dual_mov_b32 v89, v175
	ds_store_b64 v153, v[156:157]
	ds_store_2addr_b64 v154, v[86:87], v[88:89] offset0:40 offset1:41
	v_dual_mov_b32 v86, v176 :: v_dual_mov_b32 v87, v177
	v_dual_mov_b32 v88, v172 :: v_dual_mov_b32 v89, v173
	ds_store_2addr_b64 v154, v[86:87], v[88:89] offset0:42 offset1:43
	v_dual_mov_b32 v86, v196 :: v_dual_mov_b32 v87, v197
	v_dual_mov_b32 v88, v192 :: v_dual_mov_b32 v89, v193
	;; [unrolled: 3-line block ×6, first 2 shown]
	ds_store_2addr_b64 v154, v[86:87], v[88:89] offset0:52 offset1:53
	ds_store_b64 v154, v[220:221] offset:432
	ds_load_b64 v[86:87], v153
	s_wait_dscnt 0x0
	v_cmp_neq_f32_e32 vcc_lo, 0, v86
	v_cmp_neq_f32_e64 s1, 0, v87
	s_or_b32 s1, vcc_lo, s1
	s_delay_alu instid0(SALU_CYCLE_1)
	s_and_b32 exec_lo, exec_lo, s1
	s_cbranch_execz .LBB109_359
; %bb.354:
	v_cmp_ngt_f32_e64 s1, |v86|, |v87|
                                        ; implicit-def: $vgpr88_vgpr89
	s_and_saveexec_b32 s4, s1
	s_delay_alu instid0(SALU_CYCLE_1)
	s_xor_b32 s1, exec_lo, s4
	s_cbranch_execz .LBB109_356
; %bb.355:
	v_div_scale_f32 v88, null, v87, v87, v86
	v_div_scale_f32 v99, vcc_lo, v86, v87, v86
	s_delay_alu instid0(VALU_DEP_2) | instskip(SKIP_1) | instid1(TRANS32_DEP_1)
	v_rcp_f32_e32 v89, v88
	v_nop
	v_fma_f32 v98, -v88, v89, 1.0
	s_delay_alu instid0(VALU_DEP_1) | instskip(NEXT) | instid1(VALU_DEP_1)
	v_fmac_f32_e32 v89, v98, v89
	v_mul_f32_e32 v98, v99, v89
	s_delay_alu instid0(VALU_DEP_1) | instskip(NEXT) | instid1(VALU_DEP_1)
	v_fma_f32 v100, -v88, v98, v99
	v_fmac_f32_e32 v98, v100, v89
	s_delay_alu instid0(VALU_DEP_1) | instskip(NEXT) | instid1(VALU_DEP_1)
	v_fma_f32 v88, -v88, v98, v99
	v_div_fmas_f32 v88, v88, v89, v98
	s_delay_alu instid0(VALU_DEP_1) | instskip(NEXT) | instid1(VALU_DEP_1)
	v_div_fixup_f32 v88, v88, v87, v86
	v_fmac_f32_e32 v87, v86, v88
	s_delay_alu instid0(VALU_DEP_1) | instskip(SKIP_1) | instid1(VALU_DEP_2)
	v_div_scale_f32 v86, null, v87, v87, 1.0
	v_div_scale_f32 v99, vcc_lo, 1.0, v87, 1.0
	v_rcp_f32_e32 v89, v86
	v_nop
	s_delay_alu instid0(TRANS32_DEP_1) | instskip(NEXT) | instid1(VALU_DEP_1)
	v_fma_f32 v98, -v86, v89, 1.0
	v_fmac_f32_e32 v89, v98, v89
	s_delay_alu instid0(VALU_DEP_1) | instskip(NEXT) | instid1(VALU_DEP_1)
	v_mul_f32_e32 v98, v99, v89
	v_fma_f32 v100, -v86, v98, v99
	s_delay_alu instid0(VALU_DEP_1) | instskip(NEXT) | instid1(VALU_DEP_1)
	v_fmac_f32_e32 v98, v100, v89
	v_fma_f32 v86, -v86, v98, v99
	s_delay_alu instid0(VALU_DEP_1) | instskip(NEXT) | instid1(VALU_DEP_1)
	v_div_fmas_f32 v86, v86, v89, v98
	v_div_fixup_f32 v86, v86, v87, 1.0
	s_delay_alu instid0(VALU_DEP_1)
	v_mul_f32_e32 v88, v88, v86
	v_xor_b32_e32 v89, 0x80000000, v86
                                        ; implicit-def: $vgpr86_vgpr87
.LBB109_356:
	s_and_not1_saveexec_b32 s1, s1
	s_cbranch_execz .LBB109_358
; %bb.357:
	v_div_scale_f32 v88, null, v86, v86, v87
	v_div_scale_f32 v99, vcc_lo, v87, v86, v87
	s_delay_alu instid0(VALU_DEP_2) | instskip(SKIP_1) | instid1(TRANS32_DEP_1)
	v_rcp_f32_e32 v89, v88
	v_nop
	v_fma_f32 v98, -v88, v89, 1.0
	s_delay_alu instid0(VALU_DEP_1) | instskip(NEXT) | instid1(VALU_DEP_1)
	v_fmac_f32_e32 v89, v98, v89
	v_mul_f32_e32 v98, v99, v89
	s_delay_alu instid0(VALU_DEP_1) | instskip(NEXT) | instid1(VALU_DEP_1)
	v_fma_f32 v100, -v88, v98, v99
	v_fmac_f32_e32 v98, v100, v89
	s_delay_alu instid0(VALU_DEP_1) | instskip(NEXT) | instid1(VALU_DEP_1)
	v_fma_f32 v88, -v88, v98, v99
	v_div_fmas_f32 v88, v88, v89, v98
	s_delay_alu instid0(VALU_DEP_1) | instskip(NEXT) | instid1(VALU_DEP_1)
	v_div_fixup_f32 v89, v88, v86, v87
	v_fmac_f32_e32 v86, v87, v89
	s_delay_alu instid0(VALU_DEP_1) | instskip(NEXT) | instid1(VALU_DEP_1)
	v_div_scale_f32 v87, null, v86, v86, 1.0
	v_rcp_f32_e32 v88, v87
	v_nop
	s_delay_alu instid0(TRANS32_DEP_1) | instskip(NEXT) | instid1(VALU_DEP_1)
	v_fma_f32 v98, -v87, v88, 1.0
	v_fmac_f32_e32 v88, v98, v88
	v_div_scale_f32 v98, vcc_lo, 1.0, v86, 1.0
	s_delay_alu instid0(VALU_DEP_1) | instskip(NEXT) | instid1(VALU_DEP_1)
	v_mul_f32_e32 v99, v98, v88
	v_fma_f32 v100, -v87, v99, v98
	s_delay_alu instid0(VALU_DEP_1) | instskip(NEXT) | instid1(VALU_DEP_1)
	v_fmac_f32_e32 v99, v100, v88
	v_fma_f32 v87, -v87, v99, v98
	s_delay_alu instid0(VALU_DEP_1) | instskip(NEXT) | instid1(VALU_DEP_1)
	v_div_fmas_f32 v87, v87, v88, v99
	v_div_fixup_f32 v88, v87, v86, 1.0
	s_delay_alu instid0(VALU_DEP_1)
	v_mul_f32_e64 v89, v89, -v88
.LBB109_358:
	s_or_b32 exec_lo, exec_lo, s1
	ds_store_b64 v153, v[88:89]
.LBB109_359:
	s_or_b32 exec_lo, exec_lo, s2
	s_wait_dscnt 0x0
	s_barrier_signal -1
	s_barrier_wait -1
	ds_load_b64 v[86:87], v153
	s_mov_b32 s1, exec_lo
	v_cmpx_lt_u32_e32 39, v152
	s_cbranch_execz .LBB109_361
; %bb.360:
	ds_load_2addr_b64 v[100:103], v154 offset0:40 offset1:41
	s_wait_dscnt 0x1
	v_pk_mul_f32 v[98:99], v[86:87], v[156:157] op_sel:[1,1] op_sel_hi:[0,1]
	s_delay_alu instid0(VALU_DEP_1) | instskip(SKIP_1) | instid1(VALU_DEP_1)
	v_pk_fma_f32 v[88:89], v[86:87], v[156:157], v[98:99] op_sel_hi:[1,0,1] neg_lo:[0,0,1] neg_hi:[0,0,1]
	v_pk_fma_f32 v[98:99], v[86:87], v[156:157], v[98:99] op_sel_hi:[1,0,1]
	v_dual_mov_b32 v156, v88 :: v_dual_mov_b32 v157, v99
	s_wait_dscnt 0x0
	s_delay_alu instid0(VALU_DEP_2) | instskip(NEXT) | instid1(VALU_DEP_1)
	v_pk_mul_f32 v[104:105], v[100:101], v[98:99] op_sel:[0,1]
	v_pk_fma_f32 v[116:117], v[100:101], v[88:89], v[104:105] op_sel:[0,0,1] op_sel_hi:[1,1,0] neg_lo:[0,0,1] neg_hi:[0,0,1]
	v_pk_fma_f32 v[100:101], v[100:101], v[88:89], v[104:105] op_sel:[0,0,1] op_sel_hi:[1,0,0]
	s_delay_alu instid0(VALU_DEP_1) | instskip(SKIP_1) | instid1(VALU_DEP_1)
	v_mov_b32_e32 v117, v101
	v_pk_mul_f32 v[100:101], v[102:103], v[98:99] op_sel:[0,1]
	v_pk_fma_f32 v[104:105], v[102:103], v[88:89], v[100:101] op_sel:[0,0,1] op_sel_hi:[1,1,0] neg_lo:[0,0,1] neg_hi:[0,0,1]
	v_pk_fma_f32 v[100:101], v[102:103], v[88:89], v[100:101] op_sel:[0,0,1] op_sel_hi:[1,0,0]
	s_delay_alu instid0(VALU_DEP_1)
	v_mov_b32_e32 v105, v101
	ds_load_2addr_b64 v[100:103], v154 offset0:42 offset1:43
	v_pk_add_f32 v[178:179], v[178:179], v[116:117] neg_lo:[0,1] neg_hi:[0,1]
	v_pk_add_f32 v[174:175], v[174:175], v[104:105] neg_lo:[0,1] neg_hi:[0,1]
	s_wait_dscnt 0x0
	v_pk_mul_f32 v[104:105], v[100:101], v[98:99] op_sel:[0,1]
	s_delay_alu instid0(VALU_DEP_1) | instskip(SKIP_2) | instid1(VALU_DEP_2)
	v_pk_fma_f32 v[116:117], v[100:101], v[88:89], v[104:105] op_sel:[0,0,1] op_sel_hi:[1,1,0] neg_lo:[0,0,1] neg_hi:[0,0,1]
	v_pk_fma_f32 v[100:101], v[100:101], v[88:89], v[104:105] op_sel:[0,0,1] op_sel_hi:[1,0,0]
	v_dual_mul_f32 v104, v103, v99 :: v_dual_mov_b32 v100, v103
	v_dual_mov_b32 v117, v101 :: v_dual_mov_b32 v101, v102
	s_delay_alu instid0(VALU_DEP_2) | instskip(SKIP_1) | instid1(VALU_DEP_3)
	v_pk_fma_f32 v[104:105], v[102:103], v[156:157], v[104:105] op_sel_hi:[1,1,0] neg_lo:[0,0,1] neg_hi:[0,0,1]
	v_mul_f32_e32 v102, v103, v88
	v_pk_add_f32 v[176:177], v[176:177], v[116:117] neg_lo:[0,1] neg_hi:[0,1]
	s_delay_alu instid0(VALU_DEP_2) | instskip(NEXT) | instid1(VALU_DEP_1)
	v_pk_fma_f32 v[100:101], v[100:101], v[156:157], v[102:103] op_sel_hi:[1,1,0]
	v_mov_b32_e32 v105, v101
	ds_load_2addr_b64 v[100:103], v154 offset0:44 offset1:45
	v_pk_add_f32 v[172:173], v[172:173], v[104:105] neg_lo:[0,1] neg_hi:[0,1]
	s_wait_dscnt 0x0
	v_pk_mul_f32 v[104:105], v[100:101], v[98:99] op_sel:[0,1]
	s_delay_alu instid0(VALU_DEP_1) | instskip(SKIP_1) | instid1(VALU_DEP_1)
	v_pk_fma_f32 v[116:117], v[100:101], v[88:89], v[104:105] op_sel:[0,0,1] op_sel_hi:[1,1,0] neg_lo:[0,0,1] neg_hi:[0,0,1]
	v_pk_fma_f32 v[100:101], v[100:101], v[88:89], v[104:105] op_sel:[0,0,1] op_sel_hi:[1,0,0]
	v_mov_b32_e32 v117, v101
	v_pk_mul_f32 v[100:101], v[102:103], v[98:99] op_sel:[0,1]
	s_delay_alu instid0(VALU_DEP_1) | instskip(SKIP_1) | instid1(VALU_DEP_1)
	v_pk_fma_f32 v[104:105], v[102:103], v[88:89], v[100:101] op_sel:[0,0,1] op_sel_hi:[1,1,0] neg_lo:[0,0,1] neg_hi:[0,0,1]
	v_pk_fma_f32 v[100:101], v[102:103], v[88:89], v[100:101] op_sel:[0,0,1] op_sel_hi:[1,0,0]
	v_mov_b32_e32 v105, v101
	ds_load_2addr_b64 v[100:103], v154 offset0:46 offset1:47
	v_pk_add_f32 v[196:197], v[196:197], v[116:117] neg_lo:[0,1] neg_hi:[0,1]
	v_pk_add_f32 v[192:193], v[192:193], v[104:105] neg_lo:[0,1] neg_hi:[0,1]
	s_wait_dscnt 0x0
	v_pk_mul_f32 v[104:105], v[100:101], v[98:99] op_sel:[0,1]
	s_delay_alu instid0(VALU_DEP_1) | instskip(SKIP_1) | instid1(VALU_DEP_1)
	v_pk_fma_f32 v[116:117], v[100:101], v[88:89], v[104:105] op_sel:[0,0,1] op_sel_hi:[1,1,0] neg_lo:[0,0,1] neg_hi:[0,0,1]
	v_pk_fma_f32 v[100:101], v[100:101], v[88:89], v[104:105] op_sel:[0,0,1] op_sel_hi:[1,0,0]
	v_mov_b32_e32 v117, v101
	v_pk_mul_f32 v[100:101], v[102:103], v[98:99] op_sel:[0,1]
	s_delay_alu instid0(VALU_DEP_1) | instskip(SKIP_1) | instid1(VALU_DEP_1)
	v_pk_fma_f32 v[104:105], v[102:103], v[88:89], v[100:101] op_sel:[0,0,1] op_sel_hi:[1,1,0] neg_lo:[0,0,1] neg_hi:[0,0,1]
	v_pk_fma_f32 v[100:101], v[102:103], v[88:89], v[100:101] op_sel:[0,0,1] op_sel_hi:[1,0,0]
	v_mov_b32_e32 v105, v101
	ds_load_2addr_b64 v[100:103], v154 offset0:48 offset1:49
	v_pk_add_f32 v[194:195], v[194:195], v[116:117] neg_lo:[0,1] neg_hi:[0,1]
	v_pk_add_f32 v[190:191], v[190:191], v[104:105] neg_lo:[0,1] neg_hi:[0,1]
	s_wait_dscnt 0x0
	v_dual_mul_f32 v104, v101, v99 :: v_dual_mul_f32 v116, v101, v88
	s_delay_alu instid0(VALU_DEP_1) | instskip(NEXT) | instid1(VALU_DEP_2)
	v_pk_fma_f32 v[104:105], v[100:101], v[156:157], v[104:105] op_sel_hi:[1,1,0] neg_lo:[0,0,1] neg_hi:[0,0,1]
	v_pk_fma_f32 v[100:101], v[100:101], v[156:157], v[116:117] op_sel:[1,0,0] op_sel_hi:[0,1,0]
	s_delay_alu instid0(VALU_DEP_1) | instskip(SKIP_1) | instid1(VALU_DEP_2)
	v_mov_b32_e32 v105, v101
	v_pk_mul_f32 v[100:101], v[102:103], v[98:99] op_sel:[0,1]
	v_pk_add_f32 v[216:217], v[216:217], v[104:105] neg_lo:[0,1] neg_hi:[0,1]
	s_delay_alu instid0(VALU_DEP_2) | instskip(SKIP_1) | instid1(VALU_DEP_1)
	v_pk_fma_f32 v[104:105], v[102:103], v[88:89], v[100:101] op_sel:[0,0,1] op_sel_hi:[1,1,0] neg_lo:[0,0,1] neg_hi:[0,0,1]
	v_pk_fma_f32 v[100:101], v[102:103], v[88:89], v[100:101] op_sel:[0,0,1] op_sel_hi:[1,0,0]
	v_mov_b32_e32 v105, v101
	ds_load_2addr_b64 v[100:103], v154 offset0:50 offset1:51
	v_pk_add_f32 v[210:211], v[210:211], v[104:105] neg_lo:[0,1] neg_hi:[0,1]
	s_wait_dscnt 0x0
	v_pk_mul_f32 v[104:105], v[100:101], v[98:99] op_sel:[0,1]
	s_delay_alu instid0(VALU_DEP_1) | instskip(SKIP_1) | instid1(VALU_DEP_1)
	v_pk_fma_f32 v[116:117], v[100:101], v[88:89], v[104:105] op_sel:[0,0,1] op_sel_hi:[1,1,0] neg_lo:[0,0,1] neg_hi:[0,0,1]
	v_pk_fma_f32 v[100:101], v[100:101], v[88:89], v[104:105] op_sel:[0,0,1] op_sel_hi:[1,0,0]
	v_mov_b32_e32 v117, v101
	v_pk_mul_f32 v[100:101], v[102:103], v[98:99] op_sel:[0,1]
	s_delay_alu instid0(VALU_DEP_2) | instskip(NEXT) | instid1(VALU_DEP_2)
	v_pk_add_f32 v[214:215], v[214:215], v[116:117] neg_lo:[0,1] neg_hi:[0,1]
	v_pk_fma_f32 v[104:105], v[102:103], v[88:89], v[100:101] op_sel:[0,0,1] op_sel_hi:[1,1,0] neg_lo:[0,0,1] neg_hi:[0,0,1]
	v_pk_fma_f32 v[100:101], v[102:103], v[88:89], v[100:101] op_sel:[0,0,1] op_sel_hi:[1,0,0]
	s_delay_alu instid0(VALU_DEP_1) | instskip(SKIP_4) | instid1(VALU_DEP_1)
	v_mov_b32_e32 v105, v101
	ds_load_2addr_b64 v[100:103], v154 offset0:52 offset1:53
	v_pk_add_f32 v[208:209], v[208:209], v[104:105] neg_lo:[0,1] neg_hi:[0,1]
	s_wait_dscnt 0x0
	v_pk_mul_f32 v[104:105], v[100:101], v[98:99] op_sel:[0,1]
	v_pk_fma_f32 v[116:117], v[100:101], v[88:89], v[104:105] op_sel:[0,0,1] op_sel_hi:[1,1,0] neg_lo:[0,0,1] neg_hi:[0,0,1]
	v_pk_fma_f32 v[100:101], v[100:101], v[88:89], v[104:105] op_sel:[0,0,1] op_sel_hi:[1,0,0]
	v_dual_mul_f32 v104, v103, v99 :: v_dual_mov_b32 v100, v103
	s_delay_alu instid0(VALU_DEP_2) | instskip(NEXT) | instid1(VALU_DEP_2)
	v_dual_mov_b32 v117, v101 :: v_dual_mov_b32 v101, v102
	v_pk_fma_f32 v[104:105], v[102:103], v[156:157], v[104:105] op_sel_hi:[1,1,0] neg_lo:[0,0,1] neg_hi:[0,0,1]
	v_mul_f32_e32 v102, v103, v88
	s_delay_alu instid0(VALU_DEP_3) | instskip(NEXT) | instid1(VALU_DEP_2)
	v_pk_add_f32 v[212:213], v[212:213], v[116:117] neg_lo:[0,1] neg_hi:[0,1]
	v_pk_fma_f32 v[100:101], v[100:101], v[156:157], v[102:103] op_sel_hi:[1,1,0]
	s_delay_alu instid0(VALU_DEP_1) | instskip(SKIP_4) | instid1(VALU_DEP_1)
	v_mov_b32_e32 v105, v101
	ds_load_b64 v[100:101], v154 offset:432
	v_pk_add_f32 v[218:219], v[218:219], v[104:105] neg_lo:[0,1] neg_hi:[0,1]
	s_wait_dscnt 0x0
	v_pk_mul_f32 v[98:99], v[100:101], v[98:99] op_sel:[0,1]
	v_pk_fma_f32 v[102:103], v[100:101], v[88:89], v[98:99] op_sel:[0,0,1] op_sel_hi:[1,1,0] neg_lo:[0,0,1] neg_hi:[0,0,1]
	v_pk_fma_f32 v[88:89], v[100:101], v[88:89], v[98:99] op_sel:[0,0,1] op_sel_hi:[1,0,0]
	s_delay_alu instid0(VALU_DEP_1) | instskip(NEXT) | instid1(VALU_DEP_1)
	v_mov_b32_e32 v103, v89
	v_pk_add_f32 v[220:221], v[220:221], v[102:103] neg_lo:[0,1] neg_hi:[0,1]
.LBB109_361:
	s_or_b32 exec_lo, exec_lo, s1
	s_delay_alu instid0(SALU_CYCLE_1)
	s_mov_b32 s2, exec_lo
	s_wait_dscnt 0x0
	s_barrier_signal -1
	s_barrier_wait -1
	v_cmpx_eq_u32_e32 40, v152
	s_cbranch_execz .LBB109_368
; %bb.362:
	ds_store_b64 v153, v[178:179]
	ds_store_2addr_b64 v154, v[174:175], v[176:177] offset0:41 offset1:42
	ds_store_2addr_b64 v154, v[172:173], v[196:197] offset0:43 offset1:44
	;; [unrolled: 1-line block ×7, first 2 shown]
	ds_load_b64 v[88:89], v153
	s_wait_dscnt 0x0
	v_cmp_neq_f32_e32 vcc_lo, 0, v88
	v_cmp_neq_f32_e64 s1, 0, v89
	s_or_b32 s1, vcc_lo, s1
	s_delay_alu instid0(SALU_CYCLE_1)
	s_and_b32 exec_lo, exec_lo, s1
	s_cbranch_execz .LBB109_368
; %bb.363:
	v_cmp_ngt_f32_e64 s1, |v88|, |v89|
                                        ; implicit-def: $vgpr98_vgpr99
	s_and_saveexec_b32 s4, s1
	s_delay_alu instid0(SALU_CYCLE_1)
	s_xor_b32 s1, exec_lo, s4
	s_cbranch_execz .LBB109_365
; %bb.364:
	v_div_scale_f32 v98, null, v89, v89, v88
	v_div_scale_f32 v101, vcc_lo, v88, v89, v88
	s_delay_alu instid0(VALU_DEP_2) | instskip(SKIP_1) | instid1(TRANS32_DEP_1)
	v_rcp_f32_e32 v99, v98
	v_nop
	v_fma_f32 v100, -v98, v99, 1.0
	s_delay_alu instid0(VALU_DEP_1) | instskip(NEXT) | instid1(VALU_DEP_1)
	v_fmac_f32_e32 v99, v100, v99
	v_mul_f32_e32 v100, v101, v99
	s_delay_alu instid0(VALU_DEP_1) | instskip(NEXT) | instid1(VALU_DEP_1)
	v_fma_f32 v102, -v98, v100, v101
	v_fmac_f32_e32 v100, v102, v99
	s_delay_alu instid0(VALU_DEP_1) | instskip(NEXT) | instid1(VALU_DEP_1)
	v_fma_f32 v98, -v98, v100, v101
	v_div_fmas_f32 v98, v98, v99, v100
	s_delay_alu instid0(VALU_DEP_1) | instskip(NEXT) | instid1(VALU_DEP_1)
	v_div_fixup_f32 v98, v98, v89, v88
	v_fmac_f32_e32 v89, v88, v98
	s_delay_alu instid0(VALU_DEP_1) | instskip(SKIP_1) | instid1(VALU_DEP_2)
	v_div_scale_f32 v88, null, v89, v89, 1.0
	v_div_scale_f32 v101, vcc_lo, 1.0, v89, 1.0
	v_rcp_f32_e32 v99, v88
	v_nop
	s_delay_alu instid0(TRANS32_DEP_1) | instskip(NEXT) | instid1(VALU_DEP_1)
	v_fma_f32 v100, -v88, v99, 1.0
	v_fmac_f32_e32 v99, v100, v99
	s_delay_alu instid0(VALU_DEP_1) | instskip(NEXT) | instid1(VALU_DEP_1)
	v_mul_f32_e32 v100, v101, v99
	v_fma_f32 v102, -v88, v100, v101
	s_delay_alu instid0(VALU_DEP_1) | instskip(NEXT) | instid1(VALU_DEP_1)
	v_fmac_f32_e32 v100, v102, v99
	v_fma_f32 v88, -v88, v100, v101
	s_delay_alu instid0(VALU_DEP_1) | instskip(NEXT) | instid1(VALU_DEP_1)
	v_div_fmas_f32 v88, v88, v99, v100
	v_div_fixup_f32 v88, v88, v89, 1.0
	s_delay_alu instid0(VALU_DEP_1)
	v_mul_f32_e32 v98, v98, v88
	v_xor_b32_e32 v99, 0x80000000, v88
                                        ; implicit-def: $vgpr88_vgpr89
.LBB109_365:
	s_and_not1_saveexec_b32 s1, s1
	s_cbranch_execz .LBB109_367
; %bb.366:
	v_div_scale_f32 v98, null, v88, v88, v89
	v_div_scale_f32 v101, vcc_lo, v89, v88, v89
	s_delay_alu instid0(VALU_DEP_2) | instskip(SKIP_1) | instid1(TRANS32_DEP_1)
	v_rcp_f32_e32 v99, v98
	v_nop
	v_fma_f32 v100, -v98, v99, 1.0
	s_delay_alu instid0(VALU_DEP_1) | instskip(NEXT) | instid1(VALU_DEP_1)
	v_fmac_f32_e32 v99, v100, v99
	v_mul_f32_e32 v100, v101, v99
	s_delay_alu instid0(VALU_DEP_1) | instskip(NEXT) | instid1(VALU_DEP_1)
	v_fma_f32 v102, -v98, v100, v101
	v_fmac_f32_e32 v100, v102, v99
	s_delay_alu instid0(VALU_DEP_1) | instskip(NEXT) | instid1(VALU_DEP_1)
	v_fma_f32 v98, -v98, v100, v101
	v_div_fmas_f32 v98, v98, v99, v100
	s_delay_alu instid0(VALU_DEP_1) | instskip(NEXT) | instid1(VALU_DEP_1)
	v_div_fixup_f32 v99, v98, v88, v89
	v_fmac_f32_e32 v88, v89, v99
	s_delay_alu instid0(VALU_DEP_1) | instskip(NEXT) | instid1(VALU_DEP_1)
	v_div_scale_f32 v89, null, v88, v88, 1.0
	v_rcp_f32_e32 v98, v89
	v_nop
	s_delay_alu instid0(TRANS32_DEP_1) | instskip(NEXT) | instid1(VALU_DEP_1)
	v_fma_f32 v100, -v89, v98, 1.0
	v_fmac_f32_e32 v98, v100, v98
	v_div_scale_f32 v100, vcc_lo, 1.0, v88, 1.0
	s_delay_alu instid0(VALU_DEP_1) | instskip(NEXT) | instid1(VALU_DEP_1)
	v_mul_f32_e32 v101, v100, v98
	v_fma_f32 v102, -v89, v101, v100
	s_delay_alu instid0(VALU_DEP_1) | instskip(NEXT) | instid1(VALU_DEP_1)
	v_fmac_f32_e32 v101, v102, v98
	v_fma_f32 v89, -v89, v101, v100
	s_delay_alu instid0(VALU_DEP_1) | instskip(NEXT) | instid1(VALU_DEP_1)
	v_div_fmas_f32 v89, v89, v98, v101
	v_div_fixup_f32 v98, v89, v88, 1.0
	s_delay_alu instid0(VALU_DEP_1)
	v_mul_f32_e64 v99, v99, -v98
.LBB109_367:
	s_or_b32 exec_lo, exec_lo, s1
	ds_store_b64 v153, v[98:99]
.LBB109_368:
	s_or_b32 exec_lo, exec_lo, s2
	s_wait_dscnt 0x0
	s_barrier_signal -1
	s_barrier_wait -1
	ds_load_b64 v[88:89], v153
	s_mov_b32 s1, exec_lo
	v_cmpx_lt_u32_e32 40, v152
	s_cbranch_execz .LBB109_370
; %bb.369:
	ds_load_2addr_b64 v[102:105], v154 offset0:41 offset1:42
	s_wait_dscnt 0x1
	v_pk_mul_f32 v[100:101], v[88:89], v[178:179] op_sel:[1,1] op_sel_hi:[0,1]
	s_delay_alu instid0(VALU_DEP_1) | instskip(SKIP_1) | instid1(VALU_DEP_1)
	v_pk_fma_f32 v[98:99], v[88:89], v[178:179], v[100:101] op_sel_hi:[1,0,1] neg_lo:[0,0,1] neg_hi:[0,0,1]
	v_pk_fma_f32 v[100:101], v[88:89], v[178:179], v[100:101] op_sel_hi:[1,0,1]
	v_dual_mov_b32 v178, v98 :: v_dual_mov_b32 v179, v101
	s_wait_dscnt 0x0
	s_delay_alu instid0(VALU_DEP_2) | instskip(NEXT) | instid1(VALU_DEP_1)
	v_pk_mul_f32 v[116:117], v[102:103], v[100:101] op_sel:[0,1]
	v_pk_fma_f32 v[118:119], v[102:103], v[98:99], v[116:117] op_sel:[0,0,1] op_sel_hi:[1,1,0] neg_lo:[0,0,1] neg_hi:[0,0,1]
	v_pk_fma_f32 v[102:103], v[102:103], v[98:99], v[116:117] op_sel:[0,0,1] op_sel_hi:[1,0,0]
	s_delay_alu instid0(VALU_DEP_1) | instskip(SKIP_1) | instid1(VALU_DEP_1)
	v_mov_b32_e32 v119, v103
	v_pk_mul_f32 v[102:103], v[104:105], v[100:101] op_sel:[0,1]
	v_pk_fma_f32 v[116:117], v[104:105], v[98:99], v[102:103] op_sel:[0,0,1] op_sel_hi:[1,1,0] neg_lo:[0,0,1] neg_hi:[0,0,1]
	v_pk_fma_f32 v[102:103], v[104:105], v[98:99], v[102:103] op_sel:[0,0,1] op_sel_hi:[1,0,0]
	s_delay_alu instid0(VALU_DEP_1)
	v_mov_b32_e32 v117, v103
	ds_load_2addr_b64 v[102:105], v154 offset0:43 offset1:44
	v_pk_add_f32 v[174:175], v[174:175], v[118:119] neg_lo:[0,1] neg_hi:[0,1]
	v_pk_add_f32 v[176:177], v[176:177], v[116:117] neg_lo:[0,1] neg_hi:[0,1]
	s_wait_dscnt 0x0
	v_pk_mul_f32 v[116:117], v[102:103], v[100:101] op_sel:[0,1]
	s_delay_alu instid0(VALU_DEP_1) | instskip(SKIP_2) | instid1(VALU_DEP_2)
	v_pk_fma_f32 v[118:119], v[102:103], v[98:99], v[116:117] op_sel:[0,0,1] op_sel_hi:[1,1,0] neg_lo:[0,0,1] neg_hi:[0,0,1]
	v_pk_fma_f32 v[102:103], v[102:103], v[98:99], v[116:117] op_sel:[0,0,1] op_sel_hi:[1,0,0]
	v_dual_mul_f32 v116, v105, v101 :: v_dual_mov_b32 v102, v105
	v_dual_mov_b32 v119, v103 :: v_dual_mov_b32 v103, v104
	s_delay_alu instid0(VALU_DEP_2) | instskip(SKIP_1) | instid1(VALU_DEP_3)
	v_pk_fma_f32 v[116:117], v[104:105], v[178:179], v[116:117] op_sel_hi:[1,1,0] neg_lo:[0,0,1] neg_hi:[0,0,1]
	v_mul_f32_e32 v104, v105, v98
	v_pk_add_f32 v[172:173], v[172:173], v[118:119] neg_lo:[0,1] neg_hi:[0,1]
	s_delay_alu instid0(VALU_DEP_2) | instskip(NEXT) | instid1(VALU_DEP_1)
	v_pk_fma_f32 v[102:103], v[102:103], v[178:179], v[104:105] op_sel_hi:[1,1,0]
	v_mov_b32_e32 v117, v103
	ds_load_2addr_b64 v[102:105], v154 offset0:45 offset1:46
	v_pk_add_f32 v[196:197], v[196:197], v[116:117] neg_lo:[0,1] neg_hi:[0,1]
	s_wait_dscnt 0x0
	v_pk_mul_f32 v[116:117], v[102:103], v[100:101] op_sel:[0,1]
	s_delay_alu instid0(VALU_DEP_1) | instskip(SKIP_1) | instid1(VALU_DEP_1)
	v_pk_fma_f32 v[118:119], v[102:103], v[98:99], v[116:117] op_sel:[0,0,1] op_sel_hi:[1,1,0] neg_lo:[0,0,1] neg_hi:[0,0,1]
	v_pk_fma_f32 v[102:103], v[102:103], v[98:99], v[116:117] op_sel:[0,0,1] op_sel_hi:[1,0,0]
	v_mov_b32_e32 v119, v103
	v_pk_mul_f32 v[102:103], v[104:105], v[100:101] op_sel:[0,1]
	s_delay_alu instid0(VALU_DEP_1) | instskip(SKIP_1) | instid1(VALU_DEP_1)
	v_pk_fma_f32 v[116:117], v[104:105], v[98:99], v[102:103] op_sel:[0,0,1] op_sel_hi:[1,1,0] neg_lo:[0,0,1] neg_hi:[0,0,1]
	v_pk_fma_f32 v[102:103], v[104:105], v[98:99], v[102:103] op_sel:[0,0,1] op_sel_hi:[1,0,0]
	v_mov_b32_e32 v117, v103
	ds_load_2addr_b64 v[102:105], v154 offset0:47 offset1:48
	v_pk_add_f32 v[192:193], v[192:193], v[118:119] neg_lo:[0,1] neg_hi:[0,1]
	v_pk_add_f32 v[194:195], v[194:195], v[116:117] neg_lo:[0,1] neg_hi:[0,1]
	s_wait_dscnt 0x0
	v_pk_mul_f32 v[116:117], v[102:103], v[100:101] op_sel:[0,1]
	s_delay_alu instid0(VALU_DEP_1) | instskip(SKIP_1) | instid1(VALU_DEP_1)
	v_pk_fma_f32 v[118:119], v[102:103], v[98:99], v[116:117] op_sel:[0,0,1] op_sel_hi:[1,1,0] neg_lo:[0,0,1] neg_hi:[0,0,1]
	v_pk_fma_f32 v[102:103], v[102:103], v[98:99], v[116:117] op_sel:[0,0,1] op_sel_hi:[1,0,0]
	v_mov_b32_e32 v119, v103
	v_pk_mul_f32 v[102:103], v[104:105], v[100:101] op_sel:[0,1]
	s_delay_alu instid0(VALU_DEP_1) | instskip(SKIP_1) | instid1(VALU_DEP_1)
	v_pk_fma_f32 v[116:117], v[104:105], v[98:99], v[102:103] op_sel:[0,0,1] op_sel_hi:[1,1,0] neg_lo:[0,0,1] neg_hi:[0,0,1]
	v_pk_fma_f32 v[102:103], v[104:105], v[98:99], v[102:103] op_sel:[0,0,1] op_sel_hi:[1,0,0]
	v_mov_b32_e32 v117, v103
	ds_load_2addr_b64 v[102:105], v154 offset0:49 offset1:50
	v_pk_add_f32 v[190:191], v[190:191], v[118:119] neg_lo:[0,1] neg_hi:[0,1]
	v_pk_add_f32 v[216:217], v[216:217], v[116:117] neg_lo:[0,1] neg_hi:[0,1]
	s_wait_dscnt 0x0
	v_dual_mul_f32 v116, v103, v101 :: v_dual_mul_f32 v118, v103, v98
	s_delay_alu instid0(VALU_DEP_1) | instskip(NEXT) | instid1(VALU_DEP_2)
	v_pk_fma_f32 v[116:117], v[102:103], v[178:179], v[116:117] op_sel_hi:[1,1,0] neg_lo:[0,0,1] neg_hi:[0,0,1]
	v_pk_fma_f32 v[102:103], v[102:103], v[178:179], v[118:119] op_sel:[1,0,0] op_sel_hi:[0,1,0]
	s_delay_alu instid0(VALU_DEP_1) | instskip(SKIP_1) | instid1(VALU_DEP_2)
	v_mov_b32_e32 v117, v103
	v_pk_mul_f32 v[102:103], v[104:105], v[100:101] op_sel:[0,1]
	v_pk_add_f32 v[210:211], v[210:211], v[116:117] neg_lo:[0,1] neg_hi:[0,1]
	s_delay_alu instid0(VALU_DEP_2) | instskip(SKIP_1) | instid1(VALU_DEP_1)
	v_pk_fma_f32 v[116:117], v[104:105], v[98:99], v[102:103] op_sel:[0,0,1] op_sel_hi:[1,1,0] neg_lo:[0,0,1] neg_hi:[0,0,1]
	v_pk_fma_f32 v[102:103], v[104:105], v[98:99], v[102:103] op_sel:[0,0,1] op_sel_hi:[1,0,0]
	v_mov_b32_e32 v117, v103
	ds_load_2addr_b64 v[102:105], v154 offset0:51 offset1:52
	v_pk_add_f32 v[214:215], v[214:215], v[116:117] neg_lo:[0,1] neg_hi:[0,1]
	s_wait_dscnt 0x0
	v_pk_mul_f32 v[116:117], v[102:103], v[100:101] op_sel:[0,1]
	s_delay_alu instid0(VALU_DEP_1) | instskip(SKIP_1) | instid1(VALU_DEP_1)
	v_pk_fma_f32 v[118:119], v[102:103], v[98:99], v[116:117] op_sel:[0,0,1] op_sel_hi:[1,1,0] neg_lo:[0,0,1] neg_hi:[0,0,1]
	v_pk_fma_f32 v[102:103], v[102:103], v[98:99], v[116:117] op_sel:[0,0,1] op_sel_hi:[1,0,0]
	v_mov_b32_e32 v119, v103
	v_pk_mul_f32 v[102:103], v[104:105], v[100:101] op_sel:[0,1]
	s_delay_alu instid0(VALU_DEP_2) | instskip(NEXT) | instid1(VALU_DEP_2)
	v_pk_add_f32 v[208:209], v[208:209], v[118:119] neg_lo:[0,1] neg_hi:[0,1]
	v_pk_fma_f32 v[116:117], v[104:105], v[98:99], v[102:103] op_sel:[0,0,1] op_sel_hi:[1,1,0] neg_lo:[0,0,1] neg_hi:[0,0,1]
	v_pk_fma_f32 v[102:103], v[104:105], v[98:99], v[102:103] op_sel:[0,0,1] op_sel_hi:[1,0,0]
	s_delay_alu instid0(VALU_DEP_1)
	v_mov_b32_e32 v117, v103
	ds_load_2addr_b64 v[102:105], v154 offset0:53 offset1:54
	v_pk_add_f32 v[212:213], v[212:213], v[116:117] neg_lo:[0,1] neg_hi:[0,1]
	s_wait_dscnt 0x0
	v_pk_mul_f32 v[116:117], v[102:103], v[100:101] op_sel:[0,1]
	v_pk_mul_f32 v[100:101], v[104:105], v[100:101] op_sel:[0,1]
	s_delay_alu instid0(VALU_DEP_2) | instskip(SKIP_1) | instid1(VALU_DEP_1)
	v_pk_fma_f32 v[118:119], v[102:103], v[98:99], v[116:117] op_sel:[0,0,1] op_sel_hi:[1,1,0] neg_lo:[0,0,1] neg_hi:[0,0,1]
	v_pk_fma_f32 v[102:103], v[102:103], v[98:99], v[116:117] op_sel:[0,0,1] op_sel_hi:[1,0,0]
	v_mov_b32_e32 v119, v103
	s_delay_alu instid0(VALU_DEP_4) | instskip(SKIP_1) | instid1(VALU_DEP_3)
	v_pk_fma_f32 v[102:103], v[104:105], v[98:99], v[100:101] op_sel:[0,0,1] op_sel_hi:[1,1,0] neg_lo:[0,0,1] neg_hi:[0,0,1]
	v_pk_fma_f32 v[98:99], v[104:105], v[98:99], v[100:101] op_sel:[0,0,1] op_sel_hi:[1,0,0]
	v_pk_add_f32 v[218:219], v[218:219], v[118:119] neg_lo:[0,1] neg_hi:[0,1]
	s_delay_alu instid0(VALU_DEP_2) | instskip(NEXT) | instid1(VALU_DEP_1)
	v_mov_b32_e32 v103, v99
	v_pk_add_f32 v[220:221], v[220:221], v[102:103] neg_lo:[0,1] neg_hi:[0,1]
.LBB109_370:
	s_or_b32 exec_lo, exec_lo, s1
	s_delay_alu instid0(SALU_CYCLE_1)
	s_mov_b32 s2, exec_lo
	s_wait_dscnt 0x0
	s_barrier_signal -1
	s_barrier_wait -1
	v_cmpx_eq_u32_e32 41, v152
	s_cbranch_execz .LBB109_377
; %bb.371:
	v_dual_mov_b32 v98, v176 :: v_dual_mov_b32 v99, v177
	v_dual_mov_b32 v100, v172 :: v_dual_mov_b32 v101, v173
	ds_store_b64 v153, v[174:175]
	ds_store_2addr_b64 v154, v[98:99], v[100:101] offset0:42 offset1:43
	v_dual_mov_b32 v98, v196 :: v_dual_mov_b32 v99, v197
	v_dual_mov_b32 v100, v192 :: v_dual_mov_b32 v101, v193
	ds_store_2addr_b64 v154, v[98:99], v[100:101] offset0:44 offset1:45
	v_dual_mov_b32 v98, v194 :: v_dual_mov_b32 v99, v195
	v_dual_mov_b32 v100, v190 :: v_dual_mov_b32 v101, v191
	;; [unrolled: 3-line block ×5, first 2 shown]
	ds_store_2addr_b64 v154, v[98:99], v[100:101] offset0:52 offset1:53
	ds_store_b64 v154, v[220:221] offset:432
	ds_load_b64 v[98:99], v153
	s_wait_dscnt 0x0
	v_cmp_neq_f32_e32 vcc_lo, 0, v98
	v_cmp_neq_f32_e64 s1, 0, v99
	s_or_b32 s1, vcc_lo, s1
	s_delay_alu instid0(SALU_CYCLE_1)
	s_and_b32 exec_lo, exec_lo, s1
	s_cbranch_execz .LBB109_377
; %bb.372:
	v_cmp_ngt_f32_e64 s1, |v98|, |v99|
                                        ; implicit-def: $vgpr100_vgpr101
	s_and_saveexec_b32 s4, s1
	s_delay_alu instid0(SALU_CYCLE_1)
	s_xor_b32 s1, exec_lo, s4
	s_cbranch_execz .LBB109_374
; %bb.373:
	v_div_scale_f32 v100, null, v99, v99, v98
	v_div_scale_f32 v103, vcc_lo, v98, v99, v98
	s_delay_alu instid0(VALU_DEP_2) | instskip(SKIP_1) | instid1(TRANS32_DEP_1)
	v_rcp_f32_e32 v101, v100
	v_nop
	v_fma_f32 v102, -v100, v101, 1.0
	s_delay_alu instid0(VALU_DEP_1) | instskip(NEXT) | instid1(VALU_DEP_1)
	v_fmac_f32_e32 v101, v102, v101
	v_mul_f32_e32 v102, v103, v101
	s_delay_alu instid0(VALU_DEP_1) | instskip(NEXT) | instid1(VALU_DEP_1)
	v_fma_f32 v104, -v100, v102, v103
	v_fmac_f32_e32 v102, v104, v101
	s_delay_alu instid0(VALU_DEP_1) | instskip(NEXT) | instid1(VALU_DEP_1)
	v_fma_f32 v100, -v100, v102, v103
	v_div_fmas_f32 v100, v100, v101, v102
	s_delay_alu instid0(VALU_DEP_1) | instskip(NEXT) | instid1(VALU_DEP_1)
	v_div_fixup_f32 v100, v100, v99, v98
	v_fmac_f32_e32 v99, v98, v100
	s_delay_alu instid0(VALU_DEP_1) | instskip(SKIP_1) | instid1(VALU_DEP_2)
	v_div_scale_f32 v98, null, v99, v99, 1.0
	v_div_scale_f32 v103, vcc_lo, 1.0, v99, 1.0
	v_rcp_f32_e32 v101, v98
	v_nop
	s_delay_alu instid0(TRANS32_DEP_1) | instskip(NEXT) | instid1(VALU_DEP_1)
	v_fma_f32 v102, -v98, v101, 1.0
	v_fmac_f32_e32 v101, v102, v101
	s_delay_alu instid0(VALU_DEP_1) | instskip(NEXT) | instid1(VALU_DEP_1)
	v_mul_f32_e32 v102, v103, v101
	v_fma_f32 v104, -v98, v102, v103
	s_delay_alu instid0(VALU_DEP_1) | instskip(NEXT) | instid1(VALU_DEP_1)
	v_fmac_f32_e32 v102, v104, v101
	v_fma_f32 v98, -v98, v102, v103
	s_delay_alu instid0(VALU_DEP_1) | instskip(NEXT) | instid1(VALU_DEP_1)
	v_div_fmas_f32 v98, v98, v101, v102
	v_div_fixup_f32 v98, v98, v99, 1.0
	s_delay_alu instid0(VALU_DEP_1)
	v_mul_f32_e32 v100, v100, v98
	v_xor_b32_e32 v101, 0x80000000, v98
                                        ; implicit-def: $vgpr98_vgpr99
.LBB109_374:
	s_and_not1_saveexec_b32 s1, s1
	s_cbranch_execz .LBB109_376
; %bb.375:
	v_div_scale_f32 v100, null, v98, v98, v99
	v_div_scale_f32 v103, vcc_lo, v99, v98, v99
	s_delay_alu instid0(VALU_DEP_2) | instskip(SKIP_1) | instid1(TRANS32_DEP_1)
	v_rcp_f32_e32 v101, v100
	v_nop
	v_fma_f32 v102, -v100, v101, 1.0
	s_delay_alu instid0(VALU_DEP_1) | instskip(NEXT) | instid1(VALU_DEP_1)
	v_fmac_f32_e32 v101, v102, v101
	v_mul_f32_e32 v102, v103, v101
	s_delay_alu instid0(VALU_DEP_1) | instskip(NEXT) | instid1(VALU_DEP_1)
	v_fma_f32 v104, -v100, v102, v103
	v_fmac_f32_e32 v102, v104, v101
	s_delay_alu instid0(VALU_DEP_1) | instskip(NEXT) | instid1(VALU_DEP_1)
	v_fma_f32 v100, -v100, v102, v103
	v_div_fmas_f32 v100, v100, v101, v102
	s_delay_alu instid0(VALU_DEP_1) | instskip(NEXT) | instid1(VALU_DEP_1)
	v_div_fixup_f32 v101, v100, v98, v99
	v_fmac_f32_e32 v98, v99, v101
	s_delay_alu instid0(VALU_DEP_1) | instskip(NEXT) | instid1(VALU_DEP_1)
	v_div_scale_f32 v99, null, v98, v98, 1.0
	v_rcp_f32_e32 v100, v99
	v_nop
	s_delay_alu instid0(TRANS32_DEP_1) | instskip(NEXT) | instid1(VALU_DEP_1)
	v_fma_f32 v102, -v99, v100, 1.0
	v_fmac_f32_e32 v100, v102, v100
	v_div_scale_f32 v102, vcc_lo, 1.0, v98, 1.0
	s_delay_alu instid0(VALU_DEP_1) | instskip(NEXT) | instid1(VALU_DEP_1)
	v_mul_f32_e32 v103, v102, v100
	v_fma_f32 v104, -v99, v103, v102
	s_delay_alu instid0(VALU_DEP_1) | instskip(NEXT) | instid1(VALU_DEP_1)
	v_fmac_f32_e32 v103, v104, v100
	v_fma_f32 v99, -v99, v103, v102
	s_delay_alu instid0(VALU_DEP_1) | instskip(NEXT) | instid1(VALU_DEP_1)
	v_div_fmas_f32 v99, v99, v100, v103
	v_div_fixup_f32 v100, v99, v98, 1.0
	s_delay_alu instid0(VALU_DEP_1)
	v_mul_f32_e64 v101, v101, -v100
.LBB109_376:
	s_or_b32 exec_lo, exec_lo, s1
	ds_store_b64 v153, v[100:101]
.LBB109_377:
	s_or_b32 exec_lo, exec_lo, s2
	s_wait_dscnt 0x0
	s_barrier_signal -1
	s_barrier_wait -1
	ds_load_b64 v[98:99], v153
	s_mov_b32 s1, exec_lo
	v_cmpx_lt_u32_e32 41, v152
	s_cbranch_execz .LBB109_379
; %bb.378:
	ds_load_2addr_b64 v[116:119], v154 offset0:42 offset1:43
	s_wait_dscnt 0x1
	v_pk_mul_f32 v[102:103], v[98:99], v[174:175] op_sel:[1,1] op_sel_hi:[0,1]
	s_delay_alu instid0(VALU_DEP_1) | instskip(SKIP_1) | instid1(VALU_DEP_1)
	v_pk_fma_f32 v[100:101], v[98:99], v[174:175], v[102:103] op_sel_hi:[1,0,1] neg_lo:[0,0,1] neg_hi:[0,0,1]
	v_pk_fma_f32 v[102:103], v[98:99], v[174:175], v[102:103] op_sel_hi:[1,0,1]
	v_dual_mov_b32 v174, v100 :: v_dual_mov_b32 v175, v103
	s_wait_dscnt 0x0
	s_delay_alu instid0(VALU_DEP_2) | instskip(NEXT) | instid1(VALU_DEP_1)
	v_pk_mul_f32 v[104:105], v[116:117], v[102:103] op_sel:[0,1]
	v_pk_fma_f32 v[120:121], v[116:117], v[100:101], v[104:105] op_sel:[0,0,1] op_sel_hi:[1,1,0] neg_lo:[0,0,1] neg_hi:[0,0,1]
	v_pk_fma_f32 v[104:105], v[116:117], v[100:101], v[104:105] op_sel:[0,0,1] op_sel_hi:[1,0,0]
	s_delay_alu instid0(VALU_DEP_1) | instskip(SKIP_1) | instid1(VALU_DEP_1)
	v_mov_b32_e32 v121, v105
	v_pk_mul_f32 v[104:105], v[118:119], v[102:103] op_sel:[0,1]
	v_pk_fma_f32 v[116:117], v[118:119], v[100:101], v[104:105] op_sel:[0,0,1] op_sel_hi:[1,1,0] neg_lo:[0,0,1] neg_hi:[0,0,1]
	v_pk_fma_f32 v[104:105], v[118:119], v[100:101], v[104:105] op_sel:[0,0,1] op_sel_hi:[1,0,0]
	s_delay_alu instid0(VALU_DEP_1) | instskip(SKIP_1) | instid1(VALU_DEP_2)
	v_mov_b32_e32 v117, v105
	v_pk_add_f32 v[176:177], v[176:177], v[120:121] neg_lo:[0,1] neg_hi:[0,1]
	v_pk_add_f32 v[172:173], v[172:173], v[116:117] neg_lo:[0,1] neg_hi:[0,1]
	ds_load_2addr_b64 v[116:119], v154 offset0:44 offset1:45
	s_wait_dscnt 0x0
	v_pk_mul_f32 v[104:105], v[116:117], v[102:103] op_sel:[0,1]
	s_delay_alu instid0(VALU_DEP_1) | instskip(SKIP_2) | instid1(VALU_DEP_2)
	v_pk_fma_f32 v[120:121], v[116:117], v[100:101], v[104:105] op_sel:[0,0,1] op_sel_hi:[1,1,0] neg_lo:[0,0,1] neg_hi:[0,0,1]
	v_pk_fma_f32 v[104:105], v[116:117], v[100:101], v[104:105] op_sel:[0,0,1] op_sel_hi:[1,0,0]
	v_dual_mul_f32 v116, v119, v103 :: v_dual_mov_b32 v104, v119
	v_dual_mov_b32 v121, v105 :: v_dual_mov_b32 v105, v118
	s_delay_alu instid0(VALU_DEP_2) | instskip(SKIP_1) | instid1(VALU_DEP_3)
	v_pk_fma_f32 v[116:117], v[118:119], v[174:175], v[116:117] op_sel_hi:[1,1,0] neg_lo:[0,0,1] neg_hi:[0,0,1]
	v_mul_f32_e32 v118, v119, v100
	v_pk_add_f32 v[196:197], v[196:197], v[120:121] neg_lo:[0,1] neg_hi:[0,1]
	s_delay_alu instid0(VALU_DEP_2) | instskip(NEXT) | instid1(VALU_DEP_1)
	v_pk_fma_f32 v[104:105], v[104:105], v[174:175], v[118:119] op_sel_hi:[1,1,0]
	v_mov_b32_e32 v117, v105
	s_delay_alu instid0(VALU_DEP_1) | instskip(SKIP_3) | instid1(VALU_DEP_1)
	v_pk_add_f32 v[192:193], v[192:193], v[116:117] neg_lo:[0,1] neg_hi:[0,1]
	ds_load_2addr_b64 v[116:119], v154 offset0:46 offset1:47
	s_wait_dscnt 0x0
	v_pk_mul_f32 v[104:105], v[116:117], v[102:103] op_sel:[0,1]
	v_pk_fma_f32 v[120:121], v[116:117], v[100:101], v[104:105] op_sel:[0,0,1] op_sel_hi:[1,1,0] neg_lo:[0,0,1] neg_hi:[0,0,1]
	v_pk_fma_f32 v[104:105], v[116:117], v[100:101], v[104:105] op_sel:[0,0,1] op_sel_hi:[1,0,0]
	s_delay_alu instid0(VALU_DEP_1) | instskip(SKIP_1) | instid1(VALU_DEP_1)
	v_mov_b32_e32 v121, v105
	v_pk_mul_f32 v[104:105], v[118:119], v[102:103] op_sel:[0,1]
	v_pk_fma_f32 v[116:117], v[118:119], v[100:101], v[104:105] op_sel:[0,0,1] op_sel_hi:[1,1,0] neg_lo:[0,0,1] neg_hi:[0,0,1]
	v_pk_fma_f32 v[104:105], v[118:119], v[100:101], v[104:105] op_sel:[0,0,1] op_sel_hi:[1,0,0]
	s_delay_alu instid0(VALU_DEP_1) | instskip(SKIP_1) | instid1(VALU_DEP_2)
	v_mov_b32_e32 v117, v105
	v_pk_add_f32 v[194:195], v[194:195], v[120:121] neg_lo:[0,1] neg_hi:[0,1]
	v_pk_add_f32 v[190:191], v[190:191], v[116:117] neg_lo:[0,1] neg_hi:[0,1]
	ds_load_2addr_b64 v[116:119], v154 offset0:48 offset1:49
	s_wait_dscnt 0x0
	v_pk_mul_f32 v[104:105], v[116:117], v[102:103] op_sel:[0,1]
	s_delay_alu instid0(VALU_DEP_1) | instskip(SKIP_1) | instid1(VALU_DEP_1)
	v_pk_fma_f32 v[120:121], v[116:117], v[100:101], v[104:105] op_sel:[0,0,1] op_sel_hi:[1,1,0] neg_lo:[0,0,1] neg_hi:[0,0,1]
	v_pk_fma_f32 v[104:105], v[116:117], v[100:101], v[104:105] op_sel:[0,0,1] op_sel_hi:[1,0,0]
	v_mov_b32_e32 v121, v105
	v_pk_mul_f32 v[104:105], v[118:119], v[102:103] op_sel:[0,1]
	s_delay_alu instid0(VALU_DEP_1) | instskip(SKIP_1) | instid1(VALU_DEP_1)
	v_pk_fma_f32 v[116:117], v[118:119], v[100:101], v[104:105] op_sel:[0,0,1] op_sel_hi:[1,1,0] neg_lo:[0,0,1] neg_hi:[0,0,1]
	v_pk_fma_f32 v[104:105], v[118:119], v[100:101], v[104:105] op_sel:[0,0,1] op_sel_hi:[1,0,0]
	v_mov_b32_e32 v117, v105
	v_pk_add_f32 v[216:217], v[216:217], v[120:121] neg_lo:[0,1] neg_hi:[0,1]
	s_delay_alu instid0(VALU_DEP_2) | instskip(SKIP_3) | instid1(VALU_DEP_1)
	v_pk_add_f32 v[210:211], v[210:211], v[116:117] neg_lo:[0,1] neg_hi:[0,1]
	ds_load_2addr_b64 v[116:119], v154 offset0:50 offset1:51
	s_wait_dscnt 0x0
	v_dual_mul_f32 v104, v117, v103 :: v_dual_mul_f32 v120, v117, v100
	v_pk_fma_f32 v[104:105], v[116:117], v[174:175], v[104:105] op_sel_hi:[1,1,0] neg_lo:[0,0,1] neg_hi:[0,0,1]
	s_delay_alu instid0(VALU_DEP_2) | instskip(NEXT) | instid1(VALU_DEP_1)
	v_pk_fma_f32 v[116:117], v[116:117], v[174:175], v[120:121] op_sel:[1,0,0] op_sel_hi:[0,1,0]
	v_mov_b32_e32 v105, v117
	s_delay_alu instid0(VALU_DEP_1) | instskip(SKIP_1) | instid1(VALU_DEP_1)
	v_pk_add_f32 v[214:215], v[214:215], v[104:105] neg_lo:[0,1] neg_hi:[0,1]
	v_pk_mul_f32 v[104:105], v[118:119], v[102:103] op_sel:[0,1]
	v_pk_fma_f32 v[116:117], v[118:119], v[100:101], v[104:105] op_sel:[0,0,1] op_sel_hi:[1,1,0] neg_lo:[0,0,1] neg_hi:[0,0,1]
	v_pk_fma_f32 v[104:105], v[118:119], v[100:101], v[104:105] op_sel:[0,0,1] op_sel_hi:[1,0,0]
	s_delay_alu instid0(VALU_DEP_1) | instskip(NEXT) | instid1(VALU_DEP_1)
	v_mov_b32_e32 v117, v105
	v_pk_add_f32 v[208:209], v[208:209], v[116:117] neg_lo:[0,1] neg_hi:[0,1]
	ds_load_2addr_b64 v[116:119], v154 offset0:52 offset1:53
	s_wait_dscnt 0x0
	v_pk_mul_f32 v[104:105], v[116:117], v[102:103] op_sel:[0,1]
	s_delay_alu instid0(VALU_DEP_1) | instskip(SKIP_1) | instid1(VALU_DEP_1)
	v_pk_fma_f32 v[120:121], v[116:117], v[100:101], v[104:105] op_sel:[0,0,1] op_sel_hi:[1,1,0] neg_lo:[0,0,1] neg_hi:[0,0,1]
	v_pk_fma_f32 v[104:105], v[116:117], v[100:101], v[104:105] op_sel:[0,0,1] op_sel_hi:[1,0,0]
	v_mov_b32_e32 v121, v105
	v_pk_mul_f32 v[104:105], v[118:119], v[102:103] op_sel:[0,1]
	s_delay_alu instid0(VALU_DEP_2) | instskip(NEXT) | instid1(VALU_DEP_2)
	v_pk_add_f32 v[212:213], v[212:213], v[120:121] neg_lo:[0,1] neg_hi:[0,1]
	v_pk_fma_f32 v[116:117], v[118:119], v[100:101], v[104:105] op_sel:[0,0,1] op_sel_hi:[1,1,0] neg_lo:[0,0,1] neg_hi:[0,0,1]
	v_pk_fma_f32 v[104:105], v[118:119], v[100:101], v[104:105] op_sel:[0,0,1] op_sel_hi:[1,0,0]
	s_delay_alu instid0(VALU_DEP_1) | instskip(SKIP_4) | instid1(VALU_DEP_1)
	v_mov_b32_e32 v117, v105
	ds_load_b64 v[104:105], v154 offset:432
	v_pk_add_f32 v[218:219], v[218:219], v[116:117] neg_lo:[0,1] neg_hi:[0,1]
	s_wait_dscnt 0x0
	v_pk_mul_f32 v[102:103], v[104:105], v[102:103] op_sel:[0,1]
	v_pk_fma_f32 v[116:117], v[104:105], v[100:101], v[102:103] op_sel:[0,0,1] op_sel_hi:[1,1,0] neg_lo:[0,0,1] neg_hi:[0,0,1]
	v_pk_fma_f32 v[100:101], v[104:105], v[100:101], v[102:103] op_sel:[0,0,1] op_sel_hi:[1,0,0]
	s_delay_alu instid0(VALU_DEP_1) | instskip(NEXT) | instid1(VALU_DEP_1)
	v_mov_b32_e32 v117, v101
	v_pk_add_f32 v[220:221], v[220:221], v[116:117] neg_lo:[0,1] neg_hi:[0,1]
.LBB109_379:
	s_or_b32 exec_lo, exec_lo, s1
	s_delay_alu instid0(SALU_CYCLE_1)
	s_mov_b32 s2, exec_lo
	s_wait_dscnt 0x0
	s_barrier_signal -1
	s_barrier_wait -1
	v_cmpx_eq_u32_e32 42, v152
	s_cbranch_execz .LBB109_386
; %bb.380:
	ds_store_b64 v153, v[176:177]
	ds_store_2addr_b64 v154, v[172:173], v[196:197] offset0:43 offset1:44
	ds_store_2addr_b64 v154, v[192:193], v[194:195] offset0:45 offset1:46
	;; [unrolled: 1-line block ×6, first 2 shown]
	ds_load_b64 v[100:101], v153
	s_wait_dscnt 0x0
	v_cmp_neq_f32_e32 vcc_lo, 0, v100
	v_cmp_neq_f32_e64 s1, 0, v101
	s_or_b32 s1, vcc_lo, s1
	s_delay_alu instid0(SALU_CYCLE_1)
	s_and_b32 exec_lo, exec_lo, s1
	s_cbranch_execz .LBB109_386
; %bb.381:
	v_cmp_ngt_f32_e64 s1, |v100|, |v101|
                                        ; implicit-def: $vgpr102_vgpr103
	s_and_saveexec_b32 s4, s1
	s_delay_alu instid0(SALU_CYCLE_1)
	s_xor_b32 s1, exec_lo, s4
	s_cbranch_execz .LBB109_383
; %bb.382:
	v_div_scale_f32 v102, null, v101, v101, v100
	v_div_scale_f32 v105, vcc_lo, v100, v101, v100
	s_delay_alu instid0(VALU_DEP_2) | instskip(SKIP_1) | instid1(TRANS32_DEP_1)
	v_rcp_f32_e32 v103, v102
	v_nop
	v_fma_f32 v104, -v102, v103, 1.0
	s_delay_alu instid0(VALU_DEP_1) | instskip(NEXT) | instid1(VALU_DEP_1)
	v_fmac_f32_e32 v103, v104, v103
	v_mul_f32_e32 v104, v105, v103
	s_delay_alu instid0(VALU_DEP_1) | instskip(NEXT) | instid1(VALU_DEP_1)
	v_fma_f32 v116, -v102, v104, v105
	v_fmac_f32_e32 v104, v116, v103
	s_delay_alu instid0(VALU_DEP_1) | instskip(NEXT) | instid1(VALU_DEP_1)
	v_fma_f32 v102, -v102, v104, v105
	v_div_fmas_f32 v102, v102, v103, v104
	s_delay_alu instid0(VALU_DEP_1) | instskip(NEXT) | instid1(VALU_DEP_1)
	v_div_fixup_f32 v102, v102, v101, v100
	v_fmac_f32_e32 v101, v100, v102
	s_delay_alu instid0(VALU_DEP_1) | instskip(SKIP_1) | instid1(VALU_DEP_2)
	v_div_scale_f32 v100, null, v101, v101, 1.0
	v_div_scale_f32 v105, vcc_lo, 1.0, v101, 1.0
	v_rcp_f32_e32 v103, v100
	v_nop
	s_delay_alu instid0(TRANS32_DEP_1) | instskip(NEXT) | instid1(VALU_DEP_1)
	v_fma_f32 v104, -v100, v103, 1.0
	v_fmac_f32_e32 v103, v104, v103
	s_delay_alu instid0(VALU_DEP_1) | instskip(NEXT) | instid1(VALU_DEP_1)
	v_mul_f32_e32 v104, v105, v103
	v_fma_f32 v116, -v100, v104, v105
	s_delay_alu instid0(VALU_DEP_1) | instskip(NEXT) | instid1(VALU_DEP_1)
	v_fmac_f32_e32 v104, v116, v103
	v_fma_f32 v100, -v100, v104, v105
	s_delay_alu instid0(VALU_DEP_1) | instskip(NEXT) | instid1(VALU_DEP_1)
	v_div_fmas_f32 v100, v100, v103, v104
	v_div_fixup_f32 v100, v100, v101, 1.0
	s_delay_alu instid0(VALU_DEP_1)
	v_mul_f32_e32 v102, v102, v100
	v_xor_b32_e32 v103, 0x80000000, v100
                                        ; implicit-def: $vgpr100_vgpr101
.LBB109_383:
	s_and_not1_saveexec_b32 s1, s1
	s_cbranch_execz .LBB109_385
; %bb.384:
	v_div_scale_f32 v102, null, v100, v100, v101
	v_div_scale_f32 v105, vcc_lo, v101, v100, v101
	s_delay_alu instid0(VALU_DEP_2) | instskip(SKIP_1) | instid1(TRANS32_DEP_1)
	v_rcp_f32_e32 v103, v102
	v_nop
	v_fma_f32 v104, -v102, v103, 1.0
	s_delay_alu instid0(VALU_DEP_1) | instskip(NEXT) | instid1(VALU_DEP_1)
	v_fmac_f32_e32 v103, v104, v103
	v_mul_f32_e32 v104, v105, v103
	s_delay_alu instid0(VALU_DEP_1) | instskip(NEXT) | instid1(VALU_DEP_1)
	v_fma_f32 v116, -v102, v104, v105
	v_fmac_f32_e32 v104, v116, v103
	s_delay_alu instid0(VALU_DEP_1) | instskip(NEXT) | instid1(VALU_DEP_1)
	v_fma_f32 v102, -v102, v104, v105
	v_div_fmas_f32 v102, v102, v103, v104
	s_delay_alu instid0(VALU_DEP_1) | instskip(NEXT) | instid1(VALU_DEP_1)
	v_div_fixup_f32 v103, v102, v100, v101
	v_fmac_f32_e32 v100, v101, v103
	s_delay_alu instid0(VALU_DEP_1) | instskip(NEXT) | instid1(VALU_DEP_1)
	v_div_scale_f32 v101, null, v100, v100, 1.0
	v_rcp_f32_e32 v102, v101
	v_nop
	s_delay_alu instid0(TRANS32_DEP_1) | instskip(NEXT) | instid1(VALU_DEP_1)
	v_fma_f32 v104, -v101, v102, 1.0
	v_fmac_f32_e32 v102, v104, v102
	v_div_scale_f32 v104, vcc_lo, 1.0, v100, 1.0
	s_delay_alu instid0(VALU_DEP_1) | instskip(NEXT) | instid1(VALU_DEP_1)
	v_mul_f32_e32 v105, v104, v102
	v_fma_f32 v116, -v101, v105, v104
	s_delay_alu instid0(VALU_DEP_1) | instskip(NEXT) | instid1(VALU_DEP_1)
	v_fmac_f32_e32 v105, v116, v102
	v_fma_f32 v101, -v101, v105, v104
	s_delay_alu instid0(VALU_DEP_1) | instskip(NEXT) | instid1(VALU_DEP_1)
	v_div_fmas_f32 v101, v101, v102, v105
	v_div_fixup_f32 v102, v101, v100, 1.0
	s_delay_alu instid0(VALU_DEP_1)
	v_mul_f32_e64 v103, v103, -v102
.LBB109_385:
	s_or_b32 exec_lo, exec_lo, s1
	ds_store_b64 v153, v[102:103]
.LBB109_386:
	s_or_b32 exec_lo, exec_lo, s2
	s_wait_dscnt 0x0
	s_barrier_signal -1
	s_barrier_wait -1
	ds_load_b64 v[100:101], v153
	s_mov_b32 s1, exec_lo
	v_cmpx_lt_u32_e32 42, v152
	s_cbranch_execz .LBB109_388
; %bb.387:
	ds_load_2addr_b64 v[116:119], v154 offset0:43 offset1:44
	s_wait_dscnt 0x1
	v_pk_mul_f32 v[104:105], v[100:101], v[176:177] op_sel:[1,1] op_sel_hi:[0,1]
	s_delay_alu instid0(VALU_DEP_1) | instskip(SKIP_1) | instid1(VALU_DEP_1)
	v_pk_fma_f32 v[102:103], v[100:101], v[176:177], v[104:105] op_sel_hi:[1,0,1] neg_lo:[0,0,1] neg_hi:[0,0,1]
	v_pk_fma_f32 v[104:105], v[100:101], v[176:177], v[104:105] op_sel_hi:[1,0,1]
	v_dual_mov_b32 v176, v102 :: v_dual_mov_b32 v177, v105
	s_wait_dscnt 0x0
	s_delay_alu instid0(VALU_DEP_2) | instskip(NEXT) | instid1(VALU_DEP_1)
	v_pk_mul_f32 v[120:121], v[116:117], v[104:105] op_sel:[0,1]
	v_pk_fma_f32 v[122:123], v[116:117], v[102:103], v[120:121] op_sel:[0,0,1] op_sel_hi:[1,1,0] neg_lo:[0,0,1] neg_hi:[0,0,1]
	v_pk_fma_f32 v[116:117], v[116:117], v[102:103], v[120:121] op_sel:[0,0,1] op_sel_hi:[1,0,0]
	s_delay_alu instid0(VALU_DEP_1) | instskip(SKIP_1) | instid1(VALU_DEP_1)
	v_mov_b32_e32 v123, v117
	v_pk_mul_f32 v[116:117], v[118:119], v[104:105] op_sel:[0,1]
	v_pk_fma_f32 v[120:121], v[118:119], v[102:103], v[116:117] op_sel:[0,0,1] op_sel_hi:[1,1,0] neg_lo:[0,0,1] neg_hi:[0,0,1]
	v_pk_fma_f32 v[116:117], v[118:119], v[102:103], v[116:117] op_sel:[0,0,1] op_sel_hi:[1,0,0]
	s_delay_alu instid0(VALU_DEP_1)
	v_mov_b32_e32 v121, v117
	ds_load_2addr_b64 v[116:119], v154 offset0:45 offset1:46
	v_pk_add_f32 v[172:173], v[172:173], v[122:123] neg_lo:[0,1] neg_hi:[0,1]
	v_pk_add_f32 v[196:197], v[196:197], v[120:121] neg_lo:[0,1] neg_hi:[0,1]
	s_wait_dscnt 0x0
	v_pk_mul_f32 v[120:121], v[116:117], v[104:105] op_sel:[0,1]
	s_delay_alu instid0(VALU_DEP_1) | instskip(SKIP_2) | instid1(VALU_DEP_2)
	v_pk_fma_f32 v[122:123], v[116:117], v[102:103], v[120:121] op_sel:[0,0,1] op_sel_hi:[1,1,0] neg_lo:[0,0,1] neg_hi:[0,0,1]
	v_pk_fma_f32 v[116:117], v[116:117], v[102:103], v[120:121] op_sel:[0,0,1] op_sel_hi:[1,0,0]
	v_dual_mul_f32 v120, v119, v105 :: v_dual_mov_b32 v116, v119
	v_dual_mov_b32 v123, v117 :: v_dual_mov_b32 v117, v118
	s_delay_alu instid0(VALU_DEP_2) | instskip(SKIP_1) | instid1(VALU_DEP_3)
	v_pk_fma_f32 v[120:121], v[118:119], v[176:177], v[120:121] op_sel_hi:[1,1,0] neg_lo:[0,0,1] neg_hi:[0,0,1]
	v_mul_f32_e32 v118, v119, v102
	v_pk_add_f32 v[192:193], v[192:193], v[122:123] neg_lo:[0,1] neg_hi:[0,1]
	s_delay_alu instid0(VALU_DEP_2) | instskip(NEXT) | instid1(VALU_DEP_1)
	v_pk_fma_f32 v[116:117], v[116:117], v[176:177], v[118:119] op_sel_hi:[1,1,0]
	v_mov_b32_e32 v121, v117
	ds_load_2addr_b64 v[116:119], v154 offset0:47 offset1:48
	v_pk_add_f32 v[194:195], v[194:195], v[120:121] neg_lo:[0,1] neg_hi:[0,1]
	s_wait_dscnt 0x0
	v_pk_mul_f32 v[120:121], v[116:117], v[104:105] op_sel:[0,1]
	s_delay_alu instid0(VALU_DEP_1) | instskip(SKIP_1) | instid1(VALU_DEP_1)
	v_pk_fma_f32 v[122:123], v[116:117], v[102:103], v[120:121] op_sel:[0,0,1] op_sel_hi:[1,1,0] neg_lo:[0,0,1] neg_hi:[0,0,1]
	v_pk_fma_f32 v[116:117], v[116:117], v[102:103], v[120:121] op_sel:[0,0,1] op_sel_hi:[1,0,0]
	v_mov_b32_e32 v123, v117
	v_pk_mul_f32 v[116:117], v[118:119], v[104:105] op_sel:[0,1]
	s_delay_alu instid0(VALU_DEP_1) | instskip(SKIP_1) | instid1(VALU_DEP_1)
	v_pk_fma_f32 v[120:121], v[118:119], v[102:103], v[116:117] op_sel:[0,0,1] op_sel_hi:[1,1,0] neg_lo:[0,0,1] neg_hi:[0,0,1]
	v_pk_fma_f32 v[116:117], v[118:119], v[102:103], v[116:117] op_sel:[0,0,1] op_sel_hi:[1,0,0]
	v_mov_b32_e32 v121, v117
	ds_load_2addr_b64 v[116:119], v154 offset0:49 offset1:50
	v_pk_add_f32 v[190:191], v[190:191], v[122:123] neg_lo:[0,1] neg_hi:[0,1]
	v_pk_add_f32 v[216:217], v[216:217], v[120:121] neg_lo:[0,1] neg_hi:[0,1]
	s_wait_dscnt 0x0
	v_pk_mul_f32 v[120:121], v[116:117], v[104:105] op_sel:[0,1]
	s_delay_alu instid0(VALU_DEP_1) | instskip(SKIP_1) | instid1(VALU_DEP_1)
	v_pk_fma_f32 v[122:123], v[116:117], v[102:103], v[120:121] op_sel:[0,0,1] op_sel_hi:[1,1,0] neg_lo:[0,0,1] neg_hi:[0,0,1]
	v_pk_fma_f32 v[116:117], v[116:117], v[102:103], v[120:121] op_sel:[0,0,1] op_sel_hi:[1,0,0]
	v_mov_b32_e32 v123, v117
	v_pk_mul_f32 v[116:117], v[118:119], v[104:105] op_sel:[0,1]
	s_delay_alu instid0(VALU_DEP_1) | instskip(SKIP_1) | instid1(VALU_DEP_1)
	v_pk_fma_f32 v[120:121], v[118:119], v[102:103], v[116:117] op_sel:[0,0,1] op_sel_hi:[1,1,0] neg_lo:[0,0,1] neg_hi:[0,0,1]
	v_pk_fma_f32 v[116:117], v[118:119], v[102:103], v[116:117] op_sel:[0,0,1] op_sel_hi:[1,0,0]
	v_mov_b32_e32 v121, v117
	ds_load_2addr_b64 v[116:119], v154 offset0:51 offset1:52
	v_pk_add_f32 v[210:211], v[210:211], v[122:123] neg_lo:[0,1] neg_hi:[0,1]
	v_pk_add_f32 v[214:215], v[214:215], v[120:121] neg_lo:[0,1] neg_hi:[0,1]
	s_wait_dscnt 0x0
	v_dual_mul_f32 v120, v117, v105 :: v_dual_mul_f32 v122, v117, v102
	s_delay_alu instid0(VALU_DEP_1) | instskip(NEXT) | instid1(VALU_DEP_2)
	v_pk_fma_f32 v[120:121], v[116:117], v[176:177], v[120:121] op_sel_hi:[1,1,0] neg_lo:[0,0,1] neg_hi:[0,0,1]
	v_pk_fma_f32 v[116:117], v[116:117], v[176:177], v[122:123] op_sel:[1,0,0] op_sel_hi:[0,1,0]
	s_delay_alu instid0(VALU_DEP_1) | instskip(SKIP_1) | instid1(VALU_DEP_2)
	v_mov_b32_e32 v121, v117
	v_pk_mul_f32 v[116:117], v[118:119], v[104:105] op_sel:[0,1]
	v_pk_add_f32 v[208:209], v[208:209], v[120:121] neg_lo:[0,1] neg_hi:[0,1]
	s_delay_alu instid0(VALU_DEP_2) | instskip(SKIP_1) | instid1(VALU_DEP_1)
	v_pk_fma_f32 v[120:121], v[118:119], v[102:103], v[116:117] op_sel:[0,0,1] op_sel_hi:[1,1,0] neg_lo:[0,0,1] neg_hi:[0,0,1]
	v_pk_fma_f32 v[116:117], v[118:119], v[102:103], v[116:117] op_sel:[0,0,1] op_sel_hi:[1,0,0]
	v_mov_b32_e32 v121, v117
	ds_load_2addr_b64 v[116:119], v154 offset0:53 offset1:54
	v_pk_add_f32 v[212:213], v[212:213], v[120:121] neg_lo:[0,1] neg_hi:[0,1]
	s_wait_dscnt 0x0
	v_pk_mul_f32 v[120:121], v[116:117], v[104:105] op_sel:[0,1]
	v_mul_f32_e32 v104, v119, v105
	s_delay_alu instid0(VALU_DEP_2) | instskip(SKIP_2) | instid1(VALU_DEP_4)
	v_pk_fma_f32 v[122:123], v[116:117], v[102:103], v[120:121] op_sel:[0,0,1] op_sel_hi:[1,1,0] neg_lo:[0,0,1] neg_hi:[0,0,1]
	v_pk_fma_f32 v[116:117], v[116:117], v[102:103], v[120:121] op_sel:[0,0,1] op_sel_hi:[1,0,0]
	v_dual_mov_b32 v116, v119 :: v_dual_mul_f32 v102, v119, v102
	v_pk_fma_f32 v[104:105], v[118:119], v[176:177], v[104:105] op_sel_hi:[1,1,0] neg_lo:[0,0,1] neg_hi:[0,0,1]
	s_delay_alu instid0(VALU_DEP_3) | instskip(NEXT) | instid1(VALU_DEP_1)
	v_dual_mov_b32 v123, v117 :: v_dual_mov_b32 v117, v118
	v_pk_add_f32 v[218:219], v[218:219], v[122:123] neg_lo:[0,1] neg_hi:[0,1]
	s_delay_alu instid0(VALU_DEP_2) | instskip(NEXT) | instid1(VALU_DEP_1)
	v_pk_fma_f32 v[102:103], v[116:117], v[176:177], v[102:103] op_sel_hi:[1,1,0]
	v_mov_b32_e32 v105, v103
	s_delay_alu instid0(VALU_DEP_1)
	v_pk_add_f32 v[220:221], v[220:221], v[104:105] neg_lo:[0,1] neg_hi:[0,1]
.LBB109_388:
	s_or_b32 exec_lo, exec_lo, s1
	s_delay_alu instid0(SALU_CYCLE_1)
	s_mov_b32 s2, exec_lo
	s_wait_dscnt 0x0
	s_barrier_signal -1
	s_barrier_wait -1
	v_cmpx_eq_u32_e32 43, v152
	s_cbranch_execz .LBB109_395
; %bb.389:
	v_dual_mov_b32 v102, v196 :: v_dual_mov_b32 v103, v197
	v_dual_mov_b32 v104, v192 :: v_dual_mov_b32 v105, v193
	ds_store_b64 v153, v[172:173]
	ds_store_2addr_b64 v154, v[102:103], v[104:105] offset0:44 offset1:45
	v_dual_mov_b32 v102, v194 :: v_dual_mov_b32 v103, v195
	v_dual_mov_b32 v104, v190 :: v_dual_mov_b32 v105, v191
	ds_store_2addr_b64 v154, v[102:103], v[104:105] offset0:46 offset1:47
	v_dual_mov_b32 v102, v216 :: v_dual_mov_b32 v103, v217
	v_dual_mov_b32 v104, v210 :: v_dual_mov_b32 v105, v211
	;; [unrolled: 3-line block ×4, first 2 shown]
	ds_store_2addr_b64 v154, v[102:103], v[104:105] offset0:52 offset1:53
	ds_store_b64 v154, v[220:221] offset:432
	ds_load_b64 v[102:103], v153
	s_wait_dscnt 0x0
	v_cmp_neq_f32_e32 vcc_lo, 0, v102
	v_cmp_neq_f32_e64 s1, 0, v103
	s_or_b32 s1, vcc_lo, s1
	s_delay_alu instid0(SALU_CYCLE_1)
	s_and_b32 exec_lo, exec_lo, s1
	s_cbranch_execz .LBB109_395
; %bb.390:
	v_cmp_ngt_f32_e64 s1, |v102|, |v103|
                                        ; implicit-def: $vgpr104_vgpr105
	s_and_saveexec_b32 s4, s1
	s_delay_alu instid0(SALU_CYCLE_1)
	s_xor_b32 s1, exec_lo, s4
	s_cbranch_execz .LBB109_392
; %bb.391:
	v_div_scale_f32 v104, null, v103, v103, v102
	v_div_scale_f32 v117, vcc_lo, v102, v103, v102
	s_delay_alu instid0(VALU_DEP_2) | instskip(SKIP_1) | instid1(TRANS32_DEP_1)
	v_rcp_f32_e32 v105, v104
	v_nop
	v_fma_f32 v116, -v104, v105, 1.0
	s_delay_alu instid0(VALU_DEP_1) | instskip(NEXT) | instid1(VALU_DEP_1)
	v_fmac_f32_e32 v105, v116, v105
	v_mul_f32_e32 v116, v117, v105
	s_delay_alu instid0(VALU_DEP_1) | instskip(NEXT) | instid1(VALU_DEP_1)
	v_fma_f32 v118, -v104, v116, v117
	v_fmac_f32_e32 v116, v118, v105
	s_delay_alu instid0(VALU_DEP_1) | instskip(NEXT) | instid1(VALU_DEP_1)
	v_fma_f32 v104, -v104, v116, v117
	v_div_fmas_f32 v104, v104, v105, v116
	s_delay_alu instid0(VALU_DEP_1) | instskip(NEXT) | instid1(VALU_DEP_1)
	v_div_fixup_f32 v104, v104, v103, v102
	v_fmac_f32_e32 v103, v102, v104
	s_delay_alu instid0(VALU_DEP_1) | instskip(SKIP_1) | instid1(VALU_DEP_2)
	v_div_scale_f32 v102, null, v103, v103, 1.0
	v_div_scale_f32 v117, vcc_lo, 1.0, v103, 1.0
	v_rcp_f32_e32 v105, v102
	v_nop
	s_delay_alu instid0(TRANS32_DEP_1) | instskip(NEXT) | instid1(VALU_DEP_1)
	v_fma_f32 v116, -v102, v105, 1.0
	v_fmac_f32_e32 v105, v116, v105
	s_delay_alu instid0(VALU_DEP_1) | instskip(NEXT) | instid1(VALU_DEP_1)
	v_mul_f32_e32 v116, v117, v105
	v_fma_f32 v118, -v102, v116, v117
	s_delay_alu instid0(VALU_DEP_1) | instskip(NEXT) | instid1(VALU_DEP_1)
	v_fmac_f32_e32 v116, v118, v105
	v_fma_f32 v102, -v102, v116, v117
	s_delay_alu instid0(VALU_DEP_1) | instskip(NEXT) | instid1(VALU_DEP_1)
	v_div_fmas_f32 v102, v102, v105, v116
	v_div_fixup_f32 v102, v102, v103, 1.0
	s_delay_alu instid0(VALU_DEP_1)
	v_mul_f32_e32 v104, v104, v102
	v_xor_b32_e32 v105, 0x80000000, v102
                                        ; implicit-def: $vgpr102_vgpr103
.LBB109_392:
	s_and_not1_saveexec_b32 s1, s1
	s_cbranch_execz .LBB109_394
; %bb.393:
	v_div_scale_f32 v104, null, v102, v102, v103
	v_div_scale_f32 v117, vcc_lo, v103, v102, v103
	s_delay_alu instid0(VALU_DEP_2) | instskip(SKIP_1) | instid1(TRANS32_DEP_1)
	v_rcp_f32_e32 v105, v104
	v_nop
	v_fma_f32 v116, -v104, v105, 1.0
	s_delay_alu instid0(VALU_DEP_1) | instskip(NEXT) | instid1(VALU_DEP_1)
	v_fmac_f32_e32 v105, v116, v105
	v_mul_f32_e32 v116, v117, v105
	s_delay_alu instid0(VALU_DEP_1) | instskip(NEXT) | instid1(VALU_DEP_1)
	v_fma_f32 v118, -v104, v116, v117
	v_fmac_f32_e32 v116, v118, v105
	s_delay_alu instid0(VALU_DEP_1) | instskip(NEXT) | instid1(VALU_DEP_1)
	v_fma_f32 v104, -v104, v116, v117
	v_div_fmas_f32 v104, v104, v105, v116
	s_delay_alu instid0(VALU_DEP_1) | instskip(NEXT) | instid1(VALU_DEP_1)
	v_div_fixup_f32 v105, v104, v102, v103
	v_fmac_f32_e32 v102, v103, v105
	s_delay_alu instid0(VALU_DEP_1) | instskip(NEXT) | instid1(VALU_DEP_1)
	v_div_scale_f32 v103, null, v102, v102, 1.0
	v_rcp_f32_e32 v104, v103
	v_nop
	s_delay_alu instid0(TRANS32_DEP_1) | instskip(NEXT) | instid1(VALU_DEP_1)
	v_fma_f32 v116, -v103, v104, 1.0
	v_fmac_f32_e32 v104, v116, v104
	v_div_scale_f32 v116, vcc_lo, 1.0, v102, 1.0
	s_delay_alu instid0(VALU_DEP_1) | instskip(NEXT) | instid1(VALU_DEP_1)
	v_mul_f32_e32 v117, v116, v104
	v_fma_f32 v118, -v103, v117, v116
	s_delay_alu instid0(VALU_DEP_1) | instskip(NEXT) | instid1(VALU_DEP_1)
	v_fmac_f32_e32 v117, v118, v104
	v_fma_f32 v103, -v103, v117, v116
	s_delay_alu instid0(VALU_DEP_1) | instskip(NEXT) | instid1(VALU_DEP_1)
	v_div_fmas_f32 v103, v103, v104, v117
	v_div_fixup_f32 v104, v103, v102, 1.0
	s_delay_alu instid0(VALU_DEP_1)
	v_mul_f32_e64 v105, v105, -v104
.LBB109_394:
	s_or_b32 exec_lo, exec_lo, s1
	ds_store_b64 v153, v[104:105]
.LBB109_395:
	s_or_b32 exec_lo, exec_lo, s2
	s_wait_dscnt 0x0
	s_barrier_signal -1
	s_barrier_wait -1
	ds_load_b64 v[102:103], v153
	s_mov_b32 s1, exec_lo
	v_cmpx_lt_u32_e32 43, v152
	s_cbranch_execz .LBB109_397
; %bb.396:
	ds_load_2addr_b64 v[118:121], v154 offset0:44 offset1:45
	s_wait_dscnt 0x1
	v_pk_mul_f32 v[116:117], v[102:103], v[172:173] op_sel:[1,1] op_sel_hi:[0,1]
	s_delay_alu instid0(VALU_DEP_1) | instskip(SKIP_1) | instid1(VALU_DEP_1)
	v_pk_fma_f32 v[104:105], v[102:103], v[172:173], v[116:117] op_sel_hi:[1,0,1] neg_lo:[0,0,1] neg_hi:[0,0,1]
	v_pk_fma_f32 v[116:117], v[102:103], v[172:173], v[116:117] op_sel_hi:[1,0,1]
	v_dual_mov_b32 v172, v104 :: v_dual_mov_b32 v173, v117
	s_wait_dscnt 0x0
	s_delay_alu instid0(VALU_DEP_2) | instskip(NEXT) | instid1(VALU_DEP_1)
	v_pk_mul_f32 v[122:123], v[118:119], v[116:117] op_sel:[0,1]
	v_pk_fma_f32 v[132:133], v[118:119], v[104:105], v[122:123] op_sel:[0,0,1] op_sel_hi:[1,1,0] neg_lo:[0,0,1] neg_hi:[0,0,1]
	v_pk_fma_f32 v[118:119], v[118:119], v[104:105], v[122:123] op_sel:[0,0,1] op_sel_hi:[1,0,0]
	s_delay_alu instid0(VALU_DEP_1) | instskip(SKIP_1) | instid1(VALU_DEP_1)
	v_mov_b32_e32 v133, v119
	v_pk_mul_f32 v[118:119], v[120:121], v[116:117] op_sel:[0,1]
	v_pk_fma_f32 v[122:123], v[120:121], v[104:105], v[118:119] op_sel:[0,0,1] op_sel_hi:[1,1,0] neg_lo:[0,0,1] neg_hi:[0,0,1]
	v_pk_fma_f32 v[118:119], v[120:121], v[104:105], v[118:119] op_sel:[0,0,1] op_sel_hi:[1,0,0]
	s_delay_alu instid0(VALU_DEP_1)
	v_mov_b32_e32 v123, v119
	ds_load_2addr_b64 v[118:121], v154 offset0:46 offset1:47
	v_pk_add_f32 v[196:197], v[196:197], v[132:133] neg_lo:[0,1] neg_hi:[0,1]
	v_pk_add_f32 v[192:193], v[192:193], v[122:123] neg_lo:[0,1] neg_hi:[0,1]
	s_wait_dscnt 0x0
	v_pk_mul_f32 v[122:123], v[118:119], v[116:117] op_sel:[0,1]
	s_delay_alu instid0(VALU_DEP_1) | instskip(SKIP_2) | instid1(VALU_DEP_2)
	v_pk_fma_f32 v[132:133], v[118:119], v[104:105], v[122:123] op_sel:[0,0,1] op_sel_hi:[1,1,0] neg_lo:[0,0,1] neg_hi:[0,0,1]
	v_pk_fma_f32 v[118:119], v[118:119], v[104:105], v[122:123] op_sel:[0,0,1] op_sel_hi:[1,0,0]
	v_dual_mul_f32 v122, v121, v117 :: v_dual_mov_b32 v118, v121
	v_dual_mov_b32 v133, v119 :: v_dual_mov_b32 v119, v120
	s_delay_alu instid0(VALU_DEP_2) | instskip(SKIP_1) | instid1(VALU_DEP_3)
	v_pk_fma_f32 v[122:123], v[120:121], v[172:173], v[122:123] op_sel_hi:[1,1,0] neg_lo:[0,0,1] neg_hi:[0,0,1]
	v_mul_f32_e32 v120, v121, v104
	v_pk_add_f32 v[194:195], v[194:195], v[132:133] neg_lo:[0,1] neg_hi:[0,1]
	s_delay_alu instid0(VALU_DEP_2) | instskip(NEXT) | instid1(VALU_DEP_1)
	v_pk_fma_f32 v[118:119], v[118:119], v[172:173], v[120:121] op_sel_hi:[1,1,0]
	v_mov_b32_e32 v123, v119
	ds_load_2addr_b64 v[118:121], v154 offset0:48 offset1:49
	v_pk_add_f32 v[190:191], v[190:191], v[122:123] neg_lo:[0,1] neg_hi:[0,1]
	s_wait_dscnt 0x0
	v_pk_mul_f32 v[122:123], v[118:119], v[116:117] op_sel:[0,1]
	s_delay_alu instid0(VALU_DEP_1) | instskip(SKIP_1) | instid1(VALU_DEP_1)
	v_pk_fma_f32 v[132:133], v[118:119], v[104:105], v[122:123] op_sel:[0,0,1] op_sel_hi:[1,1,0] neg_lo:[0,0,1] neg_hi:[0,0,1]
	v_pk_fma_f32 v[118:119], v[118:119], v[104:105], v[122:123] op_sel:[0,0,1] op_sel_hi:[1,0,0]
	v_mov_b32_e32 v133, v119
	v_pk_mul_f32 v[118:119], v[120:121], v[116:117] op_sel:[0,1]
	s_delay_alu instid0(VALU_DEP_1) | instskip(SKIP_1) | instid1(VALU_DEP_1)
	v_pk_fma_f32 v[122:123], v[120:121], v[104:105], v[118:119] op_sel:[0,0,1] op_sel_hi:[1,1,0] neg_lo:[0,0,1] neg_hi:[0,0,1]
	v_pk_fma_f32 v[118:119], v[120:121], v[104:105], v[118:119] op_sel:[0,0,1] op_sel_hi:[1,0,0]
	v_mov_b32_e32 v123, v119
	ds_load_2addr_b64 v[118:121], v154 offset0:50 offset1:51
	v_pk_add_f32 v[216:217], v[216:217], v[132:133] neg_lo:[0,1] neg_hi:[0,1]
	v_pk_add_f32 v[210:211], v[210:211], v[122:123] neg_lo:[0,1] neg_hi:[0,1]
	s_wait_dscnt 0x0
	v_pk_mul_f32 v[122:123], v[118:119], v[116:117] op_sel:[0,1]
	s_delay_alu instid0(VALU_DEP_1) | instskip(SKIP_1) | instid1(VALU_DEP_1)
	v_pk_fma_f32 v[132:133], v[118:119], v[104:105], v[122:123] op_sel:[0,0,1] op_sel_hi:[1,1,0] neg_lo:[0,0,1] neg_hi:[0,0,1]
	v_pk_fma_f32 v[118:119], v[118:119], v[104:105], v[122:123] op_sel:[0,0,1] op_sel_hi:[1,0,0]
	v_mov_b32_e32 v133, v119
	v_pk_mul_f32 v[118:119], v[120:121], v[116:117] op_sel:[0,1]
	s_delay_alu instid0(VALU_DEP_1) | instskip(SKIP_1) | instid1(VALU_DEP_1)
	v_pk_fma_f32 v[122:123], v[120:121], v[104:105], v[118:119] op_sel:[0,0,1] op_sel_hi:[1,1,0] neg_lo:[0,0,1] neg_hi:[0,0,1]
	v_pk_fma_f32 v[118:119], v[120:121], v[104:105], v[118:119] op_sel:[0,0,1] op_sel_hi:[1,0,0]
	v_mov_b32_e32 v123, v119
	ds_load_2addr_b64 v[118:121], v154 offset0:52 offset1:53
	v_pk_add_f32 v[214:215], v[214:215], v[132:133] neg_lo:[0,1] neg_hi:[0,1]
	v_pk_add_f32 v[208:209], v[208:209], v[122:123] neg_lo:[0,1] neg_hi:[0,1]
	s_wait_dscnt 0x0
	v_dual_mul_f32 v122, v119, v117 :: v_dual_mul_f32 v132, v119, v104
	s_delay_alu instid0(VALU_DEP_1) | instskip(NEXT) | instid1(VALU_DEP_2)
	v_pk_fma_f32 v[122:123], v[118:119], v[172:173], v[122:123] op_sel_hi:[1,1,0] neg_lo:[0,0,1] neg_hi:[0,0,1]
	v_pk_fma_f32 v[118:119], v[118:119], v[172:173], v[132:133] op_sel:[1,0,0] op_sel_hi:[0,1,0]
	s_delay_alu instid0(VALU_DEP_1) | instskip(SKIP_1) | instid1(VALU_DEP_2)
	v_mov_b32_e32 v123, v119
	v_pk_mul_f32 v[118:119], v[120:121], v[116:117] op_sel:[0,1]
	v_pk_add_f32 v[212:213], v[212:213], v[122:123] neg_lo:[0,1] neg_hi:[0,1]
	s_delay_alu instid0(VALU_DEP_2) | instskip(SKIP_1) | instid1(VALU_DEP_1)
	v_pk_fma_f32 v[122:123], v[120:121], v[104:105], v[118:119] op_sel:[0,0,1] op_sel_hi:[1,1,0] neg_lo:[0,0,1] neg_hi:[0,0,1]
	v_pk_fma_f32 v[118:119], v[120:121], v[104:105], v[118:119] op_sel:[0,0,1] op_sel_hi:[1,0,0]
	v_mov_b32_e32 v123, v119
	ds_load_b64 v[118:119], v154 offset:432
	v_pk_add_f32 v[218:219], v[218:219], v[122:123] neg_lo:[0,1] neg_hi:[0,1]
	s_wait_dscnt 0x0
	v_pk_mul_f32 v[116:117], v[118:119], v[116:117] op_sel:[0,1]
	s_delay_alu instid0(VALU_DEP_1) | instskip(SKIP_1) | instid1(VALU_DEP_1)
	v_pk_fma_f32 v[120:121], v[118:119], v[104:105], v[116:117] op_sel:[0,0,1] op_sel_hi:[1,1,0] neg_lo:[0,0,1] neg_hi:[0,0,1]
	v_pk_fma_f32 v[104:105], v[118:119], v[104:105], v[116:117] op_sel:[0,0,1] op_sel_hi:[1,0,0]
	v_mov_b32_e32 v121, v105
	s_delay_alu instid0(VALU_DEP_1)
	v_pk_add_f32 v[220:221], v[220:221], v[120:121] neg_lo:[0,1] neg_hi:[0,1]
.LBB109_397:
	s_or_b32 exec_lo, exec_lo, s1
	s_delay_alu instid0(SALU_CYCLE_1)
	s_mov_b32 s2, exec_lo
	s_wait_dscnt 0x0
	s_barrier_signal -1
	s_barrier_wait -1
	v_cmpx_eq_u32_e32 44, v152
	s_cbranch_execz .LBB109_404
; %bb.398:
	ds_store_b64 v153, v[196:197]
	ds_store_2addr_b64 v154, v[192:193], v[194:195] offset0:45 offset1:46
	ds_store_2addr_b64 v154, v[190:191], v[216:217] offset0:47 offset1:48
	;; [unrolled: 1-line block ×5, first 2 shown]
	ds_load_b64 v[104:105], v153
	s_wait_dscnt 0x0
	v_cmp_neq_f32_e32 vcc_lo, 0, v104
	v_cmp_neq_f32_e64 s1, 0, v105
	s_or_b32 s1, vcc_lo, s1
	s_delay_alu instid0(SALU_CYCLE_1)
	s_and_b32 exec_lo, exec_lo, s1
	s_cbranch_execz .LBB109_404
; %bb.399:
	v_cmp_ngt_f32_e64 s1, |v104|, |v105|
                                        ; implicit-def: $vgpr116_vgpr117
	s_and_saveexec_b32 s4, s1
	s_delay_alu instid0(SALU_CYCLE_1)
	s_xor_b32 s1, exec_lo, s4
	s_cbranch_execz .LBB109_401
; %bb.400:
	v_div_scale_f32 v116, null, v105, v105, v104
	v_div_scale_f32 v119, vcc_lo, v104, v105, v104
	s_delay_alu instid0(VALU_DEP_2) | instskip(SKIP_1) | instid1(TRANS32_DEP_1)
	v_rcp_f32_e32 v117, v116
	v_nop
	v_fma_f32 v118, -v116, v117, 1.0
	s_delay_alu instid0(VALU_DEP_1) | instskip(NEXT) | instid1(VALU_DEP_1)
	v_fmac_f32_e32 v117, v118, v117
	v_mul_f32_e32 v118, v119, v117
	s_delay_alu instid0(VALU_DEP_1) | instskip(NEXT) | instid1(VALU_DEP_1)
	v_fma_f32 v120, -v116, v118, v119
	v_fmac_f32_e32 v118, v120, v117
	s_delay_alu instid0(VALU_DEP_1) | instskip(NEXT) | instid1(VALU_DEP_1)
	v_fma_f32 v116, -v116, v118, v119
	v_div_fmas_f32 v116, v116, v117, v118
	s_delay_alu instid0(VALU_DEP_1) | instskip(NEXT) | instid1(VALU_DEP_1)
	v_div_fixup_f32 v116, v116, v105, v104
	v_fmac_f32_e32 v105, v104, v116
	s_delay_alu instid0(VALU_DEP_1) | instskip(SKIP_1) | instid1(VALU_DEP_2)
	v_div_scale_f32 v104, null, v105, v105, 1.0
	v_div_scale_f32 v119, vcc_lo, 1.0, v105, 1.0
	v_rcp_f32_e32 v117, v104
	v_nop
	s_delay_alu instid0(TRANS32_DEP_1) | instskip(NEXT) | instid1(VALU_DEP_1)
	v_fma_f32 v118, -v104, v117, 1.0
	v_fmac_f32_e32 v117, v118, v117
	s_delay_alu instid0(VALU_DEP_1) | instskip(NEXT) | instid1(VALU_DEP_1)
	v_mul_f32_e32 v118, v119, v117
	v_fma_f32 v120, -v104, v118, v119
	s_delay_alu instid0(VALU_DEP_1) | instskip(NEXT) | instid1(VALU_DEP_1)
	v_fmac_f32_e32 v118, v120, v117
	v_fma_f32 v104, -v104, v118, v119
	s_delay_alu instid0(VALU_DEP_1) | instskip(NEXT) | instid1(VALU_DEP_1)
	v_div_fmas_f32 v104, v104, v117, v118
	v_div_fixup_f32 v104, v104, v105, 1.0
	s_delay_alu instid0(VALU_DEP_1)
	v_mul_f32_e32 v116, v116, v104
	v_xor_b32_e32 v117, 0x80000000, v104
                                        ; implicit-def: $vgpr104_vgpr105
.LBB109_401:
	s_and_not1_saveexec_b32 s1, s1
	s_cbranch_execz .LBB109_403
; %bb.402:
	v_div_scale_f32 v116, null, v104, v104, v105
	v_div_scale_f32 v119, vcc_lo, v105, v104, v105
	s_delay_alu instid0(VALU_DEP_2) | instskip(SKIP_1) | instid1(TRANS32_DEP_1)
	v_rcp_f32_e32 v117, v116
	v_nop
	v_fma_f32 v118, -v116, v117, 1.0
	s_delay_alu instid0(VALU_DEP_1) | instskip(NEXT) | instid1(VALU_DEP_1)
	v_fmac_f32_e32 v117, v118, v117
	v_mul_f32_e32 v118, v119, v117
	s_delay_alu instid0(VALU_DEP_1) | instskip(NEXT) | instid1(VALU_DEP_1)
	v_fma_f32 v120, -v116, v118, v119
	v_fmac_f32_e32 v118, v120, v117
	s_delay_alu instid0(VALU_DEP_1) | instskip(NEXT) | instid1(VALU_DEP_1)
	v_fma_f32 v116, -v116, v118, v119
	v_div_fmas_f32 v116, v116, v117, v118
	s_delay_alu instid0(VALU_DEP_1) | instskip(NEXT) | instid1(VALU_DEP_1)
	v_div_fixup_f32 v117, v116, v104, v105
	v_fmac_f32_e32 v104, v105, v117
	s_delay_alu instid0(VALU_DEP_1) | instskip(NEXT) | instid1(VALU_DEP_1)
	v_div_scale_f32 v105, null, v104, v104, 1.0
	v_rcp_f32_e32 v116, v105
	v_nop
	s_delay_alu instid0(TRANS32_DEP_1) | instskip(NEXT) | instid1(VALU_DEP_1)
	v_fma_f32 v118, -v105, v116, 1.0
	v_fmac_f32_e32 v116, v118, v116
	v_div_scale_f32 v118, vcc_lo, 1.0, v104, 1.0
	s_delay_alu instid0(VALU_DEP_1) | instskip(NEXT) | instid1(VALU_DEP_1)
	v_mul_f32_e32 v119, v118, v116
	v_fma_f32 v120, -v105, v119, v118
	s_delay_alu instid0(VALU_DEP_1) | instskip(NEXT) | instid1(VALU_DEP_1)
	v_fmac_f32_e32 v119, v120, v116
	v_fma_f32 v105, -v105, v119, v118
	s_delay_alu instid0(VALU_DEP_1) | instskip(NEXT) | instid1(VALU_DEP_1)
	v_div_fmas_f32 v105, v105, v116, v119
	v_div_fixup_f32 v116, v105, v104, 1.0
	s_delay_alu instid0(VALU_DEP_1)
	v_mul_f32_e64 v117, v117, -v116
.LBB109_403:
	s_or_b32 exec_lo, exec_lo, s1
	ds_store_b64 v153, v[116:117]
.LBB109_404:
	s_or_b32 exec_lo, exec_lo, s2
	s_wait_dscnt 0x0
	s_barrier_signal -1
	s_barrier_wait -1
	ds_load_b64 v[104:105], v153
	s_mov_b32 s1, exec_lo
	v_cmpx_lt_u32_e32 44, v152
	s_cbranch_execz .LBB109_406
; %bb.405:
	ds_load_2addr_b64 v[120:123], v154 offset0:45 offset1:46
	s_wait_dscnt 0x1
	v_pk_mul_f32 v[118:119], v[104:105], v[196:197] op_sel:[1,1] op_sel_hi:[0,1]
	s_delay_alu instid0(VALU_DEP_1) | instskip(SKIP_1) | instid1(VALU_DEP_1)
	v_pk_fma_f32 v[116:117], v[104:105], v[196:197], v[118:119] op_sel_hi:[1,0,1] neg_lo:[0,0,1] neg_hi:[0,0,1]
	v_pk_fma_f32 v[118:119], v[104:105], v[196:197], v[118:119] op_sel_hi:[1,0,1]
	v_dual_mov_b32 v196, v116 :: v_dual_mov_b32 v197, v119
	s_wait_dscnt 0x0
	s_delay_alu instid0(VALU_DEP_2) | instskip(NEXT) | instid1(VALU_DEP_1)
	v_pk_mul_f32 v[132:133], v[120:121], v[118:119] op_sel:[0,1]
	v_pk_fma_f32 v[134:135], v[120:121], v[116:117], v[132:133] op_sel:[0,0,1] op_sel_hi:[1,1,0] neg_lo:[0,0,1] neg_hi:[0,0,1]
	v_pk_fma_f32 v[120:121], v[120:121], v[116:117], v[132:133] op_sel:[0,0,1] op_sel_hi:[1,0,0]
	s_delay_alu instid0(VALU_DEP_1) | instskip(SKIP_1) | instid1(VALU_DEP_1)
	v_mov_b32_e32 v135, v121
	v_pk_mul_f32 v[120:121], v[122:123], v[118:119] op_sel:[0,1]
	v_pk_fma_f32 v[132:133], v[122:123], v[116:117], v[120:121] op_sel:[0,0,1] op_sel_hi:[1,1,0] neg_lo:[0,0,1] neg_hi:[0,0,1]
	v_pk_fma_f32 v[120:121], v[122:123], v[116:117], v[120:121] op_sel:[0,0,1] op_sel_hi:[1,0,0]
	s_delay_alu instid0(VALU_DEP_1)
	v_mov_b32_e32 v133, v121
	ds_load_2addr_b64 v[120:123], v154 offset0:47 offset1:48
	v_pk_add_f32 v[192:193], v[192:193], v[134:135] neg_lo:[0,1] neg_hi:[0,1]
	v_pk_add_f32 v[194:195], v[194:195], v[132:133] neg_lo:[0,1] neg_hi:[0,1]
	s_wait_dscnt 0x0
	v_pk_mul_f32 v[132:133], v[120:121], v[118:119] op_sel:[0,1]
	s_delay_alu instid0(VALU_DEP_1) | instskip(SKIP_2) | instid1(VALU_DEP_2)
	v_pk_fma_f32 v[134:135], v[120:121], v[116:117], v[132:133] op_sel:[0,0,1] op_sel_hi:[1,1,0] neg_lo:[0,0,1] neg_hi:[0,0,1]
	v_pk_fma_f32 v[120:121], v[120:121], v[116:117], v[132:133] op_sel:[0,0,1] op_sel_hi:[1,0,0]
	v_dual_mul_f32 v132, v123, v119 :: v_dual_mov_b32 v120, v123
	v_dual_mov_b32 v135, v121 :: v_dual_mov_b32 v121, v122
	s_delay_alu instid0(VALU_DEP_2) | instskip(SKIP_1) | instid1(VALU_DEP_3)
	v_pk_fma_f32 v[132:133], v[122:123], v[196:197], v[132:133] op_sel_hi:[1,1,0] neg_lo:[0,0,1] neg_hi:[0,0,1]
	v_mul_f32_e32 v122, v123, v116
	v_pk_add_f32 v[190:191], v[190:191], v[134:135] neg_lo:[0,1] neg_hi:[0,1]
	s_delay_alu instid0(VALU_DEP_2) | instskip(NEXT) | instid1(VALU_DEP_1)
	v_pk_fma_f32 v[120:121], v[120:121], v[196:197], v[122:123] op_sel_hi:[1,1,0]
	v_mov_b32_e32 v133, v121
	ds_load_2addr_b64 v[120:123], v154 offset0:49 offset1:50
	v_pk_add_f32 v[216:217], v[216:217], v[132:133] neg_lo:[0,1] neg_hi:[0,1]
	s_wait_dscnt 0x0
	v_pk_mul_f32 v[132:133], v[120:121], v[118:119] op_sel:[0,1]
	s_delay_alu instid0(VALU_DEP_1) | instskip(SKIP_1) | instid1(VALU_DEP_1)
	v_pk_fma_f32 v[134:135], v[120:121], v[116:117], v[132:133] op_sel:[0,0,1] op_sel_hi:[1,1,0] neg_lo:[0,0,1] neg_hi:[0,0,1]
	v_pk_fma_f32 v[120:121], v[120:121], v[116:117], v[132:133] op_sel:[0,0,1] op_sel_hi:[1,0,0]
	v_mov_b32_e32 v135, v121
	v_pk_mul_f32 v[120:121], v[122:123], v[118:119] op_sel:[0,1]
	s_delay_alu instid0(VALU_DEP_1) | instskip(SKIP_1) | instid1(VALU_DEP_1)
	v_pk_fma_f32 v[132:133], v[122:123], v[116:117], v[120:121] op_sel:[0,0,1] op_sel_hi:[1,1,0] neg_lo:[0,0,1] neg_hi:[0,0,1]
	v_pk_fma_f32 v[120:121], v[122:123], v[116:117], v[120:121] op_sel:[0,0,1] op_sel_hi:[1,0,0]
	v_mov_b32_e32 v133, v121
	ds_load_2addr_b64 v[120:123], v154 offset0:51 offset1:52
	v_pk_add_f32 v[210:211], v[210:211], v[134:135] neg_lo:[0,1] neg_hi:[0,1]
	v_pk_add_f32 v[214:215], v[214:215], v[132:133] neg_lo:[0,1] neg_hi:[0,1]
	s_wait_dscnt 0x0
	v_pk_mul_f32 v[132:133], v[120:121], v[118:119] op_sel:[0,1]
	s_delay_alu instid0(VALU_DEP_1) | instskip(SKIP_1) | instid1(VALU_DEP_1)
	v_pk_fma_f32 v[134:135], v[120:121], v[116:117], v[132:133] op_sel:[0,0,1] op_sel_hi:[1,1,0] neg_lo:[0,0,1] neg_hi:[0,0,1]
	v_pk_fma_f32 v[120:121], v[120:121], v[116:117], v[132:133] op_sel:[0,0,1] op_sel_hi:[1,0,0]
	v_mov_b32_e32 v135, v121
	v_pk_mul_f32 v[120:121], v[122:123], v[118:119] op_sel:[0,1]
	s_delay_alu instid0(VALU_DEP_1) | instskip(SKIP_1) | instid1(VALU_DEP_1)
	v_pk_fma_f32 v[132:133], v[122:123], v[116:117], v[120:121] op_sel:[0,0,1] op_sel_hi:[1,1,0] neg_lo:[0,0,1] neg_hi:[0,0,1]
	v_pk_fma_f32 v[120:121], v[122:123], v[116:117], v[120:121] op_sel:[0,0,1] op_sel_hi:[1,0,0]
	v_mov_b32_e32 v133, v121
	ds_load_2addr_b64 v[120:123], v154 offset0:53 offset1:54
	v_pk_add_f32 v[208:209], v[208:209], v[134:135] neg_lo:[0,1] neg_hi:[0,1]
	v_pk_add_f32 v[212:213], v[212:213], v[132:133] neg_lo:[0,1] neg_hi:[0,1]
	s_wait_dscnt 0x0
	v_dual_mul_f32 v132, v121, v119 :: v_dual_mul_f32 v134, v121, v116
	v_pk_mul_f32 v[118:119], v[122:123], v[118:119] op_sel:[0,1]
	s_delay_alu instid0(VALU_DEP_2) | instskip(NEXT) | instid1(VALU_DEP_3)
	v_pk_fma_f32 v[132:133], v[120:121], v[196:197], v[132:133] op_sel_hi:[1,1,0] neg_lo:[0,0,1] neg_hi:[0,0,1]
	v_pk_fma_f32 v[120:121], v[120:121], v[196:197], v[134:135] op_sel:[1,0,0] op_sel_hi:[0,1,0]
	s_delay_alu instid0(VALU_DEP_1) | instskip(NEXT) | instid1(VALU_DEP_4)
	v_mov_b32_e32 v133, v121
	v_pk_fma_f32 v[120:121], v[122:123], v[116:117], v[118:119] op_sel:[0,0,1] op_sel_hi:[1,1,0] neg_lo:[0,0,1] neg_hi:[0,0,1]
	v_pk_fma_f32 v[116:117], v[122:123], v[116:117], v[118:119] op_sel:[0,0,1] op_sel_hi:[1,0,0]
	s_delay_alu instid0(VALU_DEP_1) | instskip(NEXT) | instid1(VALU_DEP_4)
	v_mov_b32_e32 v121, v117
	v_pk_add_f32 v[218:219], v[218:219], v[132:133] neg_lo:[0,1] neg_hi:[0,1]
	s_delay_alu instid0(VALU_DEP_2)
	v_pk_add_f32 v[220:221], v[220:221], v[120:121] neg_lo:[0,1] neg_hi:[0,1]
.LBB109_406:
	s_or_b32 exec_lo, exec_lo, s1
	s_delay_alu instid0(SALU_CYCLE_1)
	s_mov_b32 s2, exec_lo
	s_wait_dscnt 0x0
	s_barrier_signal -1
	s_barrier_wait -1
	v_cmpx_eq_u32_e32 45, v152
	s_cbranch_execz .LBB109_413
; %bb.407:
	v_dual_mov_b32 v116, v194 :: v_dual_mov_b32 v117, v195
	v_dual_mov_b32 v118, v190 :: v_dual_mov_b32 v119, v191
	ds_store_b64 v153, v[192:193]
	ds_store_2addr_b64 v154, v[116:117], v[118:119] offset0:46 offset1:47
	v_dual_mov_b32 v116, v216 :: v_dual_mov_b32 v117, v217
	v_dual_mov_b32 v118, v210 :: v_dual_mov_b32 v119, v211
	ds_store_2addr_b64 v154, v[116:117], v[118:119] offset0:48 offset1:49
	v_dual_mov_b32 v116, v214 :: v_dual_mov_b32 v117, v215
	v_dual_mov_b32 v118, v208 :: v_dual_mov_b32 v119, v209
	;; [unrolled: 3-line block ×3, first 2 shown]
	ds_store_2addr_b64 v154, v[116:117], v[118:119] offset0:52 offset1:53
	ds_store_b64 v154, v[220:221] offset:432
	ds_load_b64 v[116:117], v153
	s_wait_dscnt 0x0
	v_cmp_neq_f32_e32 vcc_lo, 0, v116
	v_cmp_neq_f32_e64 s1, 0, v117
	s_or_b32 s1, vcc_lo, s1
	s_delay_alu instid0(SALU_CYCLE_1)
	s_and_b32 exec_lo, exec_lo, s1
	s_cbranch_execz .LBB109_413
; %bb.408:
	v_cmp_ngt_f32_e64 s1, |v116|, |v117|
                                        ; implicit-def: $vgpr118_vgpr119
	s_and_saveexec_b32 s4, s1
	s_delay_alu instid0(SALU_CYCLE_1)
	s_xor_b32 s1, exec_lo, s4
	s_cbranch_execz .LBB109_410
; %bb.409:
	v_div_scale_f32 v118, null, v117, v117, v116
	v_div_scale_f32 v121, vcc_lo, v116, v117, v116
	s_delay_alu instid0(VALU_DEP_2) | instskip(SKIP_1) | instid1(TRANS32_DEP_1)
	v_rcp_f32_e32 v119, v118
	v_nop
	v_fma_f32 v120, -v118, v119, 1.0
	s_delay_alu instid0(VALU_DEP_1) | instskip(NEXT) | instid1(VALU_DEP_1)
	v_fmac_f32_e32 v119, v120, v119
	v_mul_f32_e32 v120, v121, v119
	s_delay_alu instid0(VALU_DEP_1) | instskip(NEXT) | instid1(VALU_DEP_1)
	v_fma_f32 v122, -v118, v120, v121
	v_fmac_f32_e32 v120, v122, v119
	s_delay_alu instid0(VALU_DEP_1) | instskip(NEXT) | instid1(VALU_DEP_1)
	v_fma_f32 v118, -v118, v120, v121
	v_div_fmas_f32 v118, v118, v119, v120
	s_delay_alu instid0(VALU_DEP_1) | instskip(NEXT) | instid1(VALU_DEP_1)
	v_div_fixup_f32 v118, v118, v117, v116
	v_fmac_f32_e32 v117, v116, v118
	s_delay_alu instid0(VALU_DEP_1) | instskip(SKIP_1) | instid1(VALU_DEP_2)
	v_div_scale_f32 v116, null, v117, v117, 1.0
	v_div_scale_f32 v121, vcc_lo, 1.0, v117, 1.0
	v_rcp_f32_e32 v119, v116
	v_nop
	s_delay_alu instid0(TRANS32_DEP_1) | instskip(NEXT) | instid1(VALU_DEP_1)
	v_fma_f32 v120, -v116, v119, 1.0
	v_fmac_f32_e32 v119, v120, v119
	s_delay_alu instid0(VALU_DEP_1) | instskip(NEXT) | instid1(VALU_DEP_1)
	v_mul_f32_e32 v120, v121, v119
	v_fma_f32 v122, -v116, v120, v121
	s_delay_alu instid0(VALU_DEP_1) | instskip(NEXT) | instid1(VALU_DEP_1)
	v_fmac_f32_e32 v120, v122, v119
	v_fma_f32 v116, -v116, v120, v121
	s_delay_alu instid0(VALU_DEP_1) | instskip(NEXT) | instid1(VALU_DEP_1)
	v_div_fmas_f32 v116, v116, v119, v120
	v_div_fixup_f32 v116, v116, v117, 1.0
	s_delay_alu instid0(VALU_DEP_1)
	v_mul_f32_e32 v118, v118, v116
	v_xor_b32_e32 v119, 0x80000000, v116
                                        ; implicit-def: $vgpr116_vgpr117
.LBB109_410:
	s_and_not1_saveexec_b32 s1, s1
	s_cbranch_execz .LBB109_412
; %bb.411:
	v_div_scale_f32 v118, null, v116, v116, v117
	v_div_scale_f32 v121, vcc_lo, v117, v116, v117
	s_delay_alu instid0(VALU_DEP_2) | instskip(SKIP_1) | instid1(TRANS32_DEP_1)
	v_rcp_f32_e32 v119, v118
	v_nop
	v_fma_f32 v120, -v118, v119, 1.0
	s_delay_alu instid0(VALU_DEP_1) | instskip(NEXT) | instid1(VALU_DEP_1)
	v_fmac_f32_e32 v119, v120, v119
	v_mul_f32_e32 v120, v121, v119
	s_delay_alu instid0(VALU_DEP_1) | instskip(NEXT) | instid1(VALU_DEP_1)
	v_fma_f32 v122, -v118, v120, v121
	v_fmac_f32_e32 v120, v122, v119
	s_delay_alu instid0(VALU_DEP_1) | instskip(NEXT) | instid1(VALU_DEP_1)
	v_fma_f32 v118, -v118, v120, v121
	v_div_fmas_f32 v118, v118, v119, v120
	s_delay_alu instid0(VALU_DEP_1) | instskip(NEXT) | instid1(VALU_DEP_1)
	v_div_fixup_f32 v119, v118, v116, v117
	v_fmac_f32_e32 v116, v117, v119
	s_delay_alu instid0(VALU_DEP_1) | instskip(NEXT) | instid1(VALU_DEP_1)
	v_div_scale_f32 v117, null, v116, v116, 1.0
	v_rcp_f32_e32 v118, v117
	v_nop
	s_delay_alu instid0(TRANS32_DEP_1) | instskip(NEXT) | instid1(VALU_DEP_1)
	v_fma_f32 v120, -v117, v118, 1.0
	v_fmac_f32_e32 v118, v120, v118
	v_div_scale_f32 v120, vcc_lo, 1.0, v116, 1.0
	s_delay_alu instid0(VALU_DEP_1) | instskip(NEXT) | instid1(VALU_DEP_1)
	v_mul_f32_e32 v121, v120, v118
	v_fma_f32 v122, -v117, v121, v120
	s_delay_alu instid0(VALU_DEP_1) | instskip(NEXT) | instid1(VALU_DEP_1)
	v_fmac_f32_e32 v121, v122, v118
	v_fma_f32 v117, -v117, v121, v120
	s_delay_alu instid0(VALU_DEP_1) | instskip(NEXT) | instid1(VALU_DEP_1)
	v_div_fmas_f32 v117, v117, v118, v121
	v_div_fixup_f32 v118, v117, v116, 1.0
	s_delay_alu instid0(VALU_DEP_1)
	v_mul_f32_e64 v119, v119, -v118
.LBB109_412:
	s_or_b32 exec_lo, exec_lo, s1
	ds_store_b64 v153, v[118:119]
.LBB109_413:
	s_or_b32 exec_lo, exec_lo, s2
	s_wait_dscnt 0x0
	s_barrier_signal -1
	s_barrier_wait -1
	ds_load_b64 v[116:117], v153
	s_mov_b32 s1, exec_lo
	v_cmpx_lt_u32_e32 45, v152
	s_cbranch_execz .LBB109_415
; %bb.414:
	ds_load_2addr_b64 v[132:135], v154 offset0:46 offset1:47
	s_wait_dscnt 0x1
	v_pk_mul_f32 v[120:121], v[116:117], v[192:193] op_sel:[1,1] op_sel_hi:[0,1]
	s_delay_alu instid0(VALU_DEP_1) | instskip(SKIP_1) | instid1(VALU_DEP_1)
	v_pk_fma_f32 v[118:119], v[116:117], v[192:193], v[120:121] op_sel_hi:[1,0,1] neg_lo:[0,0,1] neg_hi:[0,0,1]
	v_pk_fma_f32 v[120:121], v[116:117], v[192:193], v[120:121] op_sel_hi:[1,0,1]
	v_dual_mov_b32 v192, v118 :: v_dual_mov_b32 v193, v121
	s_wait_dscnt 0x0
	s_delay_alu instid0(VALU_DEP_2) | instskip(NEXT) | instid1(VALU_DEP_1)
	v_pk_mul_f32 v[122:123], v[132:133], v[120:121] op_sel:[0,1]
	v_pk_fma_f32 v[136:137], v[132:133], v[118:119], v[122:123] op_sel:[0,0,1] op_sel_hi:[1,1,0] neg_lo:[0,0,1] neg_hi:[0,0,1]
	v_pk_fma_f32 v[122:123], v[132:133], v[118:119], v[122:123] op_sel:[0,0,1] op_sel_hi:[1,0,0]
	s_delay_alu instid0(VALU_DEP_1) | instskip(SKIP_1) | instid1(VALU_DEP_1)
	v_mov_b32_e32 v137, v123
	v_pk_mul_f32 v[122:123], v[134:135], v[120:121] op_sel:[0,1]
	v_pk_fma_f32 v[132:133], v[134:135], v[118:119], v[122:123] op_sel:[0,0,1] op_sel_hi:[1,1,0] neg_lo:[0,0,1] neg_hi:[0,0,1]
	v_pk_fma_f32 v[122:123], v[134:135], v[118:119], v[122:123] op_sel:[0,0,1] op_sel_hi:[1,0,0]
	s_delay_alu instid0(VALU_DEP_1) | instskip(SKIP_1) | instid1(VALU_DEP_2)
	v_mov_b32_e32 v133, v123
	v_pk_add_f32 v[194:195], v[194:195], v[136:137] neg_lo:[0,1] neg_hi:[0,1]
	v_pk_add_f32 v[190:191], v[190:191], v[132:133] neg_lo:[0,1] neg_hi:[0,1]
	ds_load_2addr_b64 v[132:135], v154 offset0:48 offset1:49
	s_wait_dscnt 0x0
	v_pk_mul_f32 v[122:123], v[132:133], v[120:121] op_sel:[0,1]
	s_delay_alu instid0(VALU_DEP_1) | instskip(SKIP_2) | instid1(VALU_DEP_2)
	v_pk_fma_f32 v[136:137], v[132:133], v[118:119], v[122:123] op_sel:[0,0,1] op_sel_hi:[1,1,0] neg_lo:[0,0,1] neg_hi:[0,0,1]
	v_pk_fma_f32 v[122:123], v[132:133], v[118:119], v[122:123] op_sel:[0,0,1] op_sel_hi:[1,0,0]
	v_dual_mul_f32 v132, v135, v121 :: v_dual_mov_b32 v122, v135
	v_dual_mov_b32 v137, v123 :: v_dual_mov_b32 v123, v134
	s_delay_alu instid0(VALU_DEP_2) | instskip(SKIP_1) | instid1(VALU_DEP_3)
	v_pk_fma_f32 v[132:133], v[134:135], v[192:193], v[132:133] op_sel_hi:[1,1,0] neg_lo:[0,0,1] neg_hi:[0,0,1]
	v_mul_f32_e32 v134, v135, v118
	v_pk_add_f32 v[216:217], v[216:217], v[136:137] neg_lo:[0,1] neg_hi:[0,1]
	s_delay_alu instid0(VALU_DEP_2) | instskip(NEXT) | instid1(VALU_DEP_1)
	v_pk_fma_f32 v[122:123], v[122:123], v[192:193], v[134:135] op_sel_hi:[1,1,0]
	v_mov_b32_e32 v133, v123
	s_delay_alu instid0(VALU_DEP_1) | instskip(SKIP_3) | instid1(VALU_DEP_1)
	v_pk_add_f32 v[210:211], v[210:211], v[132:133] neg_lo:[0,1] neg_hi:[0,1]
	ds_load_2addr_b64 v[132:135], v154 offset0:50 offset1:51
	s_wait_dscnt 0x0
	v_pk_mul_f32 v[122:123], v[132:133], v[120:121] op_sel:[0,1]
	v_pk_fma_f32 v[136:137], v[132:133], v[118:119], v[122:123] op_sel:[0,0,1] op_sel_hi:[1,1,0] neg_lo:[0,0,1] neg_hi:[0,0,1]
	v_pk_fma_f32 v[122:123], v[132:133], v[118:119], v[122:123] op_sel:[0,0,1] op_sel_hi:[1,0,0]
	s_delay_alu instid0(VALU_DEP_1) | instskip(SKIP_1) | instid1(VALU_DEP_2)
	v_mov_b32_e32 v137, v123
	v_pk_mul_f32 v[122:123], v[134:135], v[120:121] op_sel:[0,1]
	v_pk_add_f32 v[214:215], v[214:215], v[136:137] neg_lo:[0,1] neg_hi:[0,1]
	s_delay_alu instid0(VALU_DEP_2) | instskip(SKIP_1) | instid1(VALU_DEP_1)
	v_pk_fma_f32 v[132:133], v[134:135], v[118:119], v[122:123] op_sel:[0,0,1] op_sel_hi:[1,1,0] neg_lo:[0,0,1] neg_hi:[0,0,1]
	v_pk_fma_f32 v[122:123], v[134:135], v[118:119], v[122:123] op_sel:[0,0,1] op_sel_hi:[1,0,0]
	v_mov_b32_e32 v133, v123
	s_delay_alu instid0(VALU_DEP_1) | instskip(SKIP_3) | instid1(VALU_DEP_1)
	v_pk_add_f32 v[208:209], v[208:209], v[132:133] neg_lo:[0,1] neg_hi:[0,1]
	ds_load_2addr_b64 v[132:135], v154 offset0:52 offset1:53
	s_wait_dscnt 0x0
	v_pk_mul_f32 v[122:123], v[132:133], v[120:121] op_sel:[0,1]
	v_pk_fma_f32 v[136:137], v[132:133], v[118:119], v[122:123] op_sel:[0,0,1] op_sel_hi:[1,1,0] neg_lo:[0,0,1] neg_hi:[0,0,1]
	v_pk_fma_f32 v[122:123], v[132:133], v[118:119], v[122:123] op_sel:[0,0,1] op_sel_hi:[1,0,0]
	s_delay_alu instid0(VALU_DEP_1) | instskip(SKIP_1) | instid1(VALU_DEP_2)
	v_mov_b32_e32 v137, v123
	v_pk_mul_f32 v[122:123], v[134:135], v[120:121] op_sel:[0,1]
	v_pk_add_f32 v[212:213], v[212:213], v[136:137] neg_lo:[0,1] neg_hi:[0,1]
	s_delay_alu instid0(VALU_DEP_2) | instskip(SKIP_1) | instid1(VALU_DEP_1)
	v_pk_fma_f32 v[132:133], v[134:135], v[118:119], v[122:123] op_sel:[0,0,1] op_sel_hi:[1,1,0] neg_lo:[0,0,1] neg_hi:[0,0,1]
	v_pk_fma_f32 v[122:123], v[134:135], v[118:119], v[122:123] op_sel:[0,0,1] op_sel_hi:[1,0,0]
	v_mov_b32_e32 v133, v123
	ds_load_b64 v[122:123], v154 offset:432
	v_pk_add_f32 v[218:219], v[218:219], v[132:133] neg_lo:[0,1] neg_hi:[0,1]
	s_wait_dscnt 0x0
	v_pk_mul_f32 v[120:121], v[122:123], v[120:121] op_sel:[0,1]
	s_delay_alu instid0(VALU_DEP_1) | instskip(SKIP_1) | instid1(VALU_DEP_1)
	v_pk_fma_f32 v[132:133], v[122:123], v[118:119], v[120:121] op_sel:[0,0,1] op_sel_hi:[1,1,0] neg_lo:[0,0,1] neg_hi:[0,0,1]
	v_pk_fma_f32 v[118:119], v[122:123], v[118:119], v[120:121] op_sel:[0,0,1] op_sel_hi:[1,0,0]
	v_mov_b32_e32 v133, v119
	s_delay_alu instid0(VALU_DEP_1)
	v_pk_add_f32 v[220:221], v[220:221], v[132:133] neg_lo:[0,1] neg_hi:[0,1]
.LBB109_415:
	s_or_b32 exec_lo, exec_lo, s1
	s_delay_alu instid0(SALU_CYCLE_1)
	s_mov_b32 s2, exec_lo
	s_wait_dscnt 0x0
	s_barrier_signal -1
	s_barrier_wait -1
	v_cmpx_eq_u32_e32 46, v152
	s_cbranch_execz .LBB109_422
; %bb.416:
	ds_store_b64 v153, v[194:195]
	ds_store_2addr_b64 v154, v[190:191], v[216:217] offset0:47 offset1:48
	ds_store_2addr_b64 v154, v[210:211], v[214:215] offset0:49 offset1:50
	;; [unrolled: 1-line block ×4, first 2 shown]
	ds_load_b64 v[118:119], v153
	s_wait_dscnt 0x0
	v_cmp_neq_f32_e32 vcc_lo, 0, v118
	v_cmp_neq_f32_e64 s1, 0, v119
	s_or_b32 s1, vcc_lo, s1
	s_delay_alu instid0(SALU_CYCLE_1)
	s_and_b32 exec_lo, exec_lo, s1
	s_cbranch_execz .LBB109_422
; %bb.417:
	v_cmp_ngt_f32_e64 s1, |v118|, |v119|
                                        ; implicit-def: $vgpr120_vgpr121
	s_and_saveexec_b32 s4, s1
	s_delay_alu instid0(SALU_CYCLE_1)
	s_xor_b32 s1, exec_lo, s4
	s_cbranch_execz .LBB109_419
; %bb.418:
	v_div_scale_f32 v120, null, v119, v119, v118
	v_div_scale_f32 v123, vcc_lo, v118, v119, v118
	s_delay_alu instid0(VALU_DEP_2) | instskip(SKIP_1) | instid1(TRANS32_DEP_1)
	v_rcp_f32_e32 v121, v120
	v_nop
	v_fma_f32 v122, -v120, v121, 1.0
	s_delay_alu instid0(VALU_DEP_1) | instskip(NEXT) | instid1(VALU_DEP_1)
	v_fmac_f32_e32 v121, v122, v121
	v_mul_f32_e32 v122, v123, v121
	s_delay_alu instid0(VALU_DEP_1) | instskip(NEXT) | instid1(VALU_DEP_1)
	v_fma_f32 v132, -v120, v122, v123
	v_fmac_f32_e32 v122, v132, v121
	s_delay_alu instid0(VALU_DEP_1) | instskip(NEXT) | instid1(VALU_DEP_1)
	v_fma_f32 v120, -v120, v122, v123
	v_div_fmas_f32 v120, v120, v121, v122
	s_delay_alu instid0(VALU_DEP_1) | instskip(NEXT) | instid1(VALU_DEP_1)
	v_div_fixup_f32 v120, v120, v119, v118
	v_fmac_f32_e32 v119, v118, v120
	s_delay_alu instid0(VALU_DEP_1) | instskip(SKIP_1) | instid1(VALU_DEP_2)
	v_div_scale_f32 v118, null, v119, v119, 1.0
	v_div_scale_f32 v123, vcc_lo, 1.0, v119, 1.0
	v_rcp_f32_e32 v121, v118
	v_nop
	s_delay_alu instid0(TRANS32_DEP_1) | instskip(NEXT) | instid1(VALU_DEP_1)
	v_fma_f32 v122, -v118, v121, 1.0
	v_fmac_f32_e32 v121, v122, v121
	s_delay_alu instid0(VALU_DEP_1) | instskip(NEXT) | instid1(VALU_DEP_1)
	v_mul_f32_e32 v122, v123, v121
	v_fma_f32 v132, -v118, v122, v123
	s_delay_alu instid0(VALU_DEP_1) | instskip(NEXT) | instid1(VALU_DEP_1)
	v_fmac_f32_e32 v122, v132, v121
	v_fma_f32 v118, -v118, v122, v123
	s_delay_alu instid0(VALU_DEP_1) | instskip(NEXT) | instid1(VALU_DEP_1)
	v_div_fmas_f32 v118, v118, v121, v122
	v_div_fixup_f32 v118, v118, v119, 1.0
	s_delay_alu instid0(VALU_DEP_1)
	v_mul_f32_e32 v120, v120, v118
	v_xor_b32_e32 v121, 0x80000000, v118
                                        ; implicit-def: $vgpr118_vgpr119
.LBB109_419:
	s_and_not1_saveexec_b32 s1, s1
	s_cbranch_execz .LBB109_421
; %bb.420:
	v_div_scale_f32 v120, null, v118, v118, v119
	v_div_scale_f32 v123, vcc_lo, v119, v118, v119
	s_delay_alu instid0(VALU_DEP_2) | instskip(SKIP_1) | instid1(TRANS32_DEP_1)
	v_rcp_f32_e32 v121, v120
	v_nop
	v_fma_f32 v122, -v120, v121, 1.0
	s_delay_alu instid0(VALU_DEP_1) | instskip(NEXT) | instid1(VALU_DEP_1)
	v_fmac_f32_e32 v121, v122, v121
	v_mul_f32_e32 v122, v123, v121
	s_delay_alu instid0(VALU_DEP_1) | instskip(NEXT) | instid1(VALU_DEP_1)
	v_fma_f32 v132, -v120, v122, v123
	v_fmac_f32_e32 v122, v132, v121
	s_delay_alu instid0(VALU_DEP_1) | instskip(NEXT) | instid1(VALU_DEP_1)
	v_fma_f32 v120, -v120, v122, v123
	v_div_fmas_f32 v120, v120, v121, v122
	s_delay_alu instid0(VALU_DEP_1) | instskip(NEXT) | instid1(VALU_DEP_1)
	v_div_fixup_f32 v121, v120, v118, v119
	v_fmac_f32_e32 v118, v119, v121
	s_delay_alu instid0(VALU_DEP_1) | instskip(NEXT) | instid1(VALU_DEP_1)
	v_div_scale_f32 v119, null, v118, v118, 1.0
	v_rcp_f32_e32 v120, v119
	v_nop
	s_delay_alu instid0(TRANS32_DEP_1) | instskip(NEXT) | instid1(VALU_DEP_1)
	v_fma_f32 v122, -v119, v120, 1.0
	v_fmac_f32_e32 v120, v122, v120
	v_div_scale_f32 v122, vcc_lo, 1.0, v118, 1.0
	s_delay_alu instid0(VALU_DEP_1) | instskip(NEXT) | instid1(VALU_DEP_1)
	v_mul_f32_e32 v123, v122, v120
	v_fma_f32 v132, -v119, v123, v122
	s_delay_alu instid0(VALU_DEP_1) | instskip(NEXT) | instid1(VALU_DEP_1)
	v_fmac_f32_e32 v123, v132, v120
	v_fma_f32 v119, -v119, v123, v122
	s_delay_alu instid0(VALU_DEP_1) | instskip(NEXT) | instid1(VALU_DEP_1)
	v_div_fmas_f32 v119, v119, v120, v123
	v_div_fixup_f32 v120, v119, v118, 1.0
	s_delay_alu instid0(VALU_DEP_1)
	v_mul_f32_e64 v121, v121, -v120
.LBB109_421:
	s_or_b32 exec_lo, exec_lo, s1
	ds_store_b64 v153, v[120:121]
.LBB109_422:
	s_or_b32 exec_lo, exec_lo, s2
	s_wait_dscnt 0x0
	s_barrier_signal -1
	s_barrier_wait -1
	ds_load_b64 v[118:119], v153
	s_mov_b32 s1, exec_lo
	v_cmpx_lt_u32_e32 46, v152
	s_cbranch_execz .LBB109_424
; %bb.423:
	ds_load_2addr_b64 v[132:135], v154 offset0:47 offset1:48
	s_wait_dscnt 0x1
	v_pk_mul_f32 v[122:123], v[118:119], v[194:195] op_sel:[1,1] op_sel_hi:[0,1]
	s_delay_alu instid0(VALU_DEP_1) | instskip(SKIP_1) | instid1(VALU_DEP_1)
	v_pk_fma_f32 v[120:121], v[118:119], v[194:195], v[122:123] op_sel_hi:[1,0,1] neg_lo:[0,0,1] neg_hi:[0,0,1]
	v_pk_fma_f32 v[122:123], v[118:119], v[194:195], v[122:123] op_sel_hi:[1,0,1]
	v_dual_mov_b32 v194, v120 :: v_dual_mov_b32 v195, v123
	s_wait_dscnt 0x0
	s_delay_alu instid0(VALU_DEP_2) | instskip(NEXT) | instid1(VALU_DEP_1)
	v_pk_mul_f32 v[136:137], v[132:133], v[122:123] op_sel:[0,1]
	v_pk_fma_f32 v[138:139], v[132:133], v[120:121], v[136:137] op_sel:[0,0,1] op_sel_hi:[1,1,0] neg_lo:[0,0,1] neg_hi:[0,0,1]
	v_pk_fma_f32 v[132:133], v[132:133], v[120:121], v[136:137] op_sel:[0,0,1] op_sel_hi:[1,0,0]
	s_delay_alu instid0(VALU_DEP_1) | instskip(SKIP_1) | instid1(VALU_DEP_1)
	v_mov_b32_e32 v139, v133
	v_pk_mul_f32 v[132:133], v[134:135], v[122:123] op_sel:[0,1]
	v_pk_fma_f32 v[136:137], v[134:135], v[120:121], v[132:133] op_sel:[0,0,1] op_sel_hi:[1,1,0] neg_lo:[0,0,1] neg_hi:[0,0,1]
	v_pk_fma_f32 v[132:133], v[134:135], v[120:121], v[132:133] op_sel:[0,0,1] op_sel_hi:[1,0,0]
	s_delay_alu instid0(VALU_DEP_1)
	v_mov_b32_e32 v137, v133
	ds_load_2addr_b64 v[132:135], v154 offset0:49 offset1:50
	v_pk_add_f32 v[190:191], v[190:191], v[138:139] neg_lo:[0,1] neg_hi:[0,1]
	v_pk_add_f32 v[216:217], v[216:217], v[136:137] neg_lo:[0,1] neg_hi:[0,1]
	s_wait_dscnt 0x0
	v_pk_mul_f32 v[136:137], v[132:133], v[122:123] op_sel:[0,1]
	s_delay_alu instid0(VALU_DEP_1) | instskip(SKIP_2) | instid1(VALU_DEP_2)
	v_pk_fma_f32 v[138:139], v[132:133], v[120:121], v[136:137] op_sel:[0,0,1] op_sel_hi:[1,1,0] neg_lo:[0,0,1] neg_hi:[0,0,1]
	v_pk_fma_f32 v[132:133], v[132:133], v[120:121], v[136:137] op_sel:[0,0,1] op_sel_hi:[1,0,0]
	v_dual_mul_f32 v136, v135, v123 :: v_dual_mov_b32 v132, v135
	v_dual_mov_b32 v139, v133 :: v_dual_mov_b32 v133, v134
	s_delay_alu instid0(VALU_DEP_2) | instskip(SKIP_1) | instid1(VALU_DEP_3)
	v_pk_fma_f32 v[136:137], v[134:135], v[194:195], v[136:137] op_sel_hi:[1,1,0] neg_lo:[0,0,1] neg_hi:[0,0,1]
	v_mul_f32_e32 v134, v135, v120
	v_pk_add_f32 v[210:211], v[210:211], v[138:139] neg_lo:[0,1] neg_hi:[0,1]
	s_delay_alu instid0(VALU_DEP_2) | instskip(NEXT) | instid1(VALU_DEP_1)
	v_pk_fma_f32 v[132:133], v[132:133], v[194:195], v[134:135] op_sel_hi:[1,1,0]
	v_mov_b32_e32 v137, v133
	ds_load_2addr_b64 v[132:135], v154 offset0:51 offset1:52
	v_pk_add_f32 v[214:215], v[214:215], v[136:137] neg_lo:[0,1] neg_hi:[0,1]
	s_wait_dscnt 0x0
	v_pk_mul_f32 v[136:137], v[132:133], v[122:123] op_sel:[0,1]
	s_delay_alu instid0(VALU_DEP_1) | instskip(SKIP_1) | instid1(VALU_DEP_1)
	v_pk_fma_f32 v[138:139], v[132:133], v[120:121], v[136:137] op_sel:[0,0,1] op_sel_hi:[1,1,0] neg_lo:[0,0,1] neg_hi:[0,0,1]
	v_pk_fma_f32 v[132:133], v[132:133], v[120:121], v[136:137] op_sel:[0,0,1] op_sel_hi:[1,0,0]
	v_mov_b32_e32 v139, v133
	v_pk_mul_f32 v[132:133], v[134:135], v[122:123] op_sel:[0,1]
	s_delay_alu instid0(VALU_DEP_1) | instskip(SKIP_1) | instid1(VALU_DEP_1)
	v_pk_fma_f32 v[136:137], v[134:135], v[120:121], v[132:133] op_sel:[0,0,1] op_sel_hi:[1,1,0] neg_lo:[0,0,1] neg_hi:[0,0,1]
	v_pk_fma_f32 v[132:133], v[134:135], v[120:121], v[132:133] op_sel:[0,0,1] op_sel_hi:[1,0,0]
	v_mov_b32_e32 v137, v133
	ds_load_2addr_b64 v[132:135], v154 offset0:53 offset1:54
	v_pk_add_f32 v[208:209], v[208:209], v[138:139] neg_lo:[0,1] neg_hi:[0,1]
	v_pk_add_f32 v[212:213], v[212:213], v[136:137] neg_lo:[0,1] neg_hi:[0,1]
	s_wait_dscnt 0x0
	v_pk_mul_f32 v[136:137], v[132:133], v[122:123] op_sel:[0,1]
	v_pk_mul_f32 v[122:123], v[134:135], v[122:123] op_sel:[0,1]
	s_delay_alu instid0(VALU_DEP_2) | instskip(SKIP_1) | instid1(VALU_DEP_1)
	v_pk_fma_f32 v[138:139], v[132:133], v[120:121], v[136:137] op_sel:[0,0,1] op_sel_hi:[1,1,0] neg_lo:[0,0,1] neg_hi:[0,0,1]
	v_pk_fma_f32 v[132:133], v[132:133], v[120:121], v[136:137] op_sel:[0,0,1] op_sel_hi:[1,0,0]
	v_mov_b32_e32 v139, v133
	s_delay_alu instid0(VALU_DEP_4) | instskip(SKIP_1) | instid1(VALU_DEP_1)
	v_pk_fma_f32 v[132:133], v[134:135], v[120:121], v[122:123] op_sel:[0,0,1] op_sel_hi:[1,1,0] neg_lo:[0,0,1] neg_hi:[0,0,1]
	v_pk_fma_f32 v[120:121], v[134:135], v[120:121], v[122:123] op_sel:[0,0,1] op_sel_hi:[1,0,0]
	v_mov_b32_e32 v133, v121
	s_delay_alu instid0(VALU_DEP_4) | instskip(NEXT) | instid1(VALU_DEP_2)
	v_pk_add_f32 v[218:219], v[218:219], v[138:139] neg_lo:[0,1] neg_hi:[0,1]
	v_pk_add_f32 v[220:221], v[220:221], v[132:133] neg_lo:[0,1] neg_hi:[0,1]
.LBB109_424:
	s_or_b32 exec_lo, exec_lo, s1
	s_delay_alu instid0(SALU_CYCLE_1)
	s_mov_b32 s2, exec_lo
	s_wait_dscnt 0x0
	s_barrier_signal -1
	s_barrier_wait -1
	v_cmpx_eq_u32_e32 47, v152
	s_cbranch_execz .LBB109_431
; %bb.425:
	v_dual_mov_b32 v120, v216 :: v_dual_mov_b32 v121, v217
	v_dual_mov_b32 v122, v210 :: v_dual_mov_b32 v123, v211
	ds_store_b64 v153, v[190:191]
	ds_store_2addr_b64 v154, v[120:121], v[122:123] offset0:48 offset1:49
	v_dual_mov_b32 v120, v214 :: v_dual_mov_b32 v121, v215
	v_dual_mov_b32 v122, v208 :: v_dual_mov_b32 v123, v209
	ds_store_2addr_b64 v154, v[120:121], v[122:123] offset0:50 offset1:51
	v_dual_mov_b32 v120, v212 :: v_dual_mov_b32 v121, v213
	v_dual_mov_b32 v122, v218 :: v_dual_mov_b32 v123, v219
	ds_store_2addr_b64 v154, v[120:121], v[122:123] offset0:52 offset1:53
	ds_store_b64 v154, v[220:221] offset:432
	ds_load_b64 v[120:121], v153
	s_wait_dscnt 0x0
	v_cmp_neq_f32_e32 vcc_lo, 0, v120
	v_cmp_neq_f32_e64 s1, 0, v121
	s_or_b32 s1, vcc_lo, s1
	s_delay_alu instid0(SALU_CYCLE_1)
	s_and_b32 exec_lo, exec_lo, s1
	s_cbranch_execz .LBB109_431
; %bb.426:
	v_cmp_ngt_f32_e64 s1, |v120|, |v121|
                                        ; implicit-def: $vgpr122_vgpr123
	s_and_saveexec_b32 s4, s1
	s_delay_alu instid0(SALU_CYCLE_1)
	s_xor_b32 s1, exec_lo, s4
	s_cbranch_execz .LBB109_428
; %bb.427:
	v_div_scale_f32 v122, null, v121, v121, v120
	v_div_scale_f32 v133, vcc_lo, v120, v121, v120
	s_delay_alu instid0(VALU_DEP_2) | instskip(SKIP_1) | instid1(TRANS32_DEP_1)
	v_rcp_f32_e32 v123, v122
	v_nop
	v_fma_f32 v132, -v122, v123, 1.0
	s_delay_alu instid0(VALU_DEP_1) | instskip(NEXT) | instid1(VALU_DEP_1)
	v_fmac_f32_e32 v123, v132, v123
	v_mul_f32_e32 v132, v133, v123
	s_delay_alu instid0(VALU_DEP_1) | instskip(NEXT) | instid1(VALU_DEP_1)
	v_fma_f32 v134, -v122, v132, v133
	v_fmac_f32_e32 v132, v134, v123
	s_delay_alu instid0(VALU_DEP_1) | instskip(NEXT) | instid1(VALU_DEP_1)
	v_fma_f32 v122, -v122, v132, v133
	v_div_fmas_f32 v122, v122, v123, v132
	s_delay_alu instid0(VALU_DEP_1) | instskip(NEXT) | instid1(VALU_DEP_1)
	v_div_fixup_f32 v122, v122, v121, v120
	v_fmac_f32_e32 v121, v120, v122
	s_delay_alu instid0(VALU_DEP_1) | instskip(SKIP_1) | instid1(VALU_DEP_2)
	v_div_scale_f32 v120, null, v121, v121, 1.0
	v_div_scale_f32 v133, vcc_lo, 1.0, v121, 1.0
	v_rcp_f32_e32 v123, v120
	v_nop
	s_delay_alu instid0(TRANS32_DEP_1) | instskip(NEXT) | instid1(VALU_DEP_1)
	v_fma_f32 v132, -v120, v123, 1.0
	v_fmac_f32_e32 v123, v132, v123
	s_delay_alu instid0(VALU_DEP_1) | instskip(NEXT) | instid1(VALU_DEP_1)
	v_mul_f32_e32 v132, v133, v123
	v_fma_f32 v134, -v120, v132, v133
	s_delay_alu instid0(VALU_DEP_1) | instskip(NEXT) | instid1(VALU_DEP_1)
	v_fmac_f32_e32 v132, v134, v123
	v_fma_f32 v120, -v120, v132, v133
	s_delay_alu instid0(VALU_DEP_1) | instskip(NEXT) | instid1(VALU_DEP_1)
	v_div_fmas_f32 v120, v120, v123, v132
	v_div_fixup_f32 v120, v120, v121, 1.0
	s_delay_alu instid0(VALU_DEP_1)
	v_mul_f32_e32 v122, v122, v120
	v_xor_b32_e32 v123, 0x80000000, v120
                                        ; implicit-def: $vgpr120_vgpr121
.LBB109_428:
	s_and_not1_saveexec_b32 s1, s1
	s_cbranch_execz .LBB109_430
; %bb.429:
	v_div_scale_f32 v122, null, v120, v120, v121
	v_div_scale_f32 v133, vcc_lo, v121, v120, v121
	s_delay_alu instid0(VALU_DEP_2) | instskip(SKIP_1) | instid1(TRANS32_DEP_1)
	v_rcp_f32_e32 v123, v122
	v_nop
	v_fma_f32 v132, -v122, v123, 1.0
	s_delay_alu instid0(VALU_DEP_1) | instskip(NEXT) | instid1(VALU_DEP_1)
	v_fmac_f32_e32 v123, v132, v123
	v_mul_f32_e32 v132, v133, v123
	s_delay_alu instid0(VALU_DEP_1) | instskip(NEXT) | instid1(VALU_DEP_1)
	v_fma_f32 v134, -v122, v132, v133
	v_fmac_f32_e32 v132, v134, v123
	s_delay_alu instid0(VALU_DEP_1) | instskip(NEXT) | instid1(VALU_DEP_1)
	v_fma_f32 v122, -v122, v132, v133
	v_div_fmas_f32 v122, v122, v123, v132
	s_delay_alu instid0(VALU_DEP_1) | instskip(NEXT) | instid1(VALU_DEP_1)
	v_div_fixup_f32 v123, v122, v120, v121
	v_fmac_f32_e32 v120, v121, v123
	s_delay_alu instid0(VALU_DEP_1) | instskip(NEXT) | instid1(VALU_DEP_1)
	v_div_scale_f32 v121, null, v120, v120, 1.0
	v_rcp_f32_e32 v122, v121
	v_nop
	s_delay_alu instid0(TRANS32_DEP_1) | instskip(NEXT) | instid1(VALU_DEP_1)
	v_fma_f32 v132, -v121, v122, 1.0
	v_fmac_f32_e32 v122, v132, v122
	v_div_scale_f32 v132, vcc_lo, 1.0, v120, 1.0
	s_delay_alu instid0(VALU_DEP_1) | instskip(NEXT) | instid1(VALU_DEP_1)
	v_mul_f32_e32 v133, v132, v122
	v_fma_f32 v134, -v121, v133, v132
	s_delay_alu instid0(VALU_DEP_1) | instskip(NEXT) | instid1(VALU_DEP_1)
	v_fmac_f32_e32 v133, v134, v122
	v_fma_f32 v121, -v121, v133, v132
	s_delay_alu instid0(VALU_DEP_1) | instskip(NEXT) | instid1(VALU_DEP_1)
	v_div_fmas_f32 v121, v121, v122, v133
	v_div_fixup_f32 v122, v121, v120, 1.0
	s_delay_alu instid0(VALU_DEP_1)
	v_mul_f32_e64 v123, v123, -v122
.LBB109_430:
	s_or_b32 exec_lo, exec_lo, s1
	ds_store_b64 v153, v[122:123]
.LBB109_431:
	s_or_b32 exec_lo, exec_lo, s2
	s_wait_dscnt 0x0
	s_barrier_signal -1
	s_barrier_wait -1
	ds_load_b64 v[120:121], v153
	s_mov_b32 s1, exec_lo
	v_cmpx_lt_u32_e32 47, v152
	s_cbranch_execz .LBB109_433
; %bb.432:
	s_wait_dscnt 0x0
	v_pk_mul_f32 v[132:133], v[120:121], v[190:191] op_sel:[1,1] op_sel_hi:[0,1]
	s_delay_alu instid0(VALU_DEP_1)
	v_pk_fma_f32 v[122:123], v[120:121], v[190:191], v[132:133] op_sel_hi:[1,0,1] neg_lo:[0,0,1] neg_hi:[0,0,1]
	v_pk_fma_f32 v[136:137], v[120:121], v[190:191], v[132:133] op_sel_hi:[1,0,1]
	ds_load_2addr_b64 v[132:135], v154 offset0:48 offset1:49
	v_dual_mov_b32 v190, v122 :: v_dual_mov_b32 v191, v137
	s_wait_dscnt 0x0
	v_pk_mul_f32 v[138:139], v[132:133], v[136:137] op_sel:[0,1]
	s_delay_alu instid0(VALU_DEP_1) | instskip(SKIP_1) | instid1(VALU_DEP_1)
	v_pk_fma_f32 v[148:149], v[132:133], v[122:123], v[138:139] op_sel:[0,0,1] op_sel_hi:[1,1,0] neg_lo:[0,0,1] neg_hi:[0,0,1]
	v_pk_fma_f32 v[132:133], v[132:133], v[122:123], v[138:139] op_sel:[0,0,1] op_sel_hi:[1,0,0]
	v_mov_b32_e32 v149, v133
	v_pk_mul_f32 v[132:133], v[134:135], v[136:137] op_sel:[0,1]
	s_delay_alu instid0(VALU_DEP_1) | instskip(SKIP_1) | instid1(VALU_DEP_1)
	v_pk_fma_f32 v[138:139], v[134:135], v[122:123], v[132:133] op_sel:[0,0,1] op_sel_hi:[1,1,0] neg_lo:[0,0,1] neg_hi:[0,0,1]
	v_pk_fma_f32 v[132:133], v[134:135], v[122:123], v[132:133] op_sel:[0,0,1] op_sel_hi:[1,0,0]
	v_mov_b32_e32 v139, v133
	ds_load_2addr_b64 v[132:135], v154 offset0:50 offset1:51
	v_pk_add_f32 v[216:217], v[216:217], v[148:149] neg_lo:[0,1] neg_hi:[0,1]
	v_pk_add_f32 v[210:211], v[210:211], v[138:139] neg_lo:[0,1] neg_hi:[0,1]
	s_wait_dscnt 0x0
	v_pk_mul_f32 v[138:139], v[132:133], v[136:137] op_sel:[0,1]
	s_delay_alu instid0(VALU_DEP_1) | instskip(SKIP_2) | instid1(VALU_DEP_2)
	v_pk_fma_f32 v[148:149], v[132:133], v[122:123], v[138:139] op_sel:[0,0,1] op_sel_hi:[1,1,0] neg_lo:[0,0,1] neg_hi:[0,0,1]
	v_pk_fma_f32 v[132:133], v[132:133], v[122:123], v[138:139] op_sel:[0,0,1] op_sel_hi:[1,0,0]
	v_dual_mul_f32 v138, v135, v137 :: v_dual_mov_b32 v132, v135
	v_dual_mov_b32 v149, v133 :: v_dual_mov_b32 v133, v134
	s_delay_alu instid0(VALU_DEP_2) | instskip(SKIP_1) | instid1(VALU_DEP_3)
	v_pk_fma_f32 v[138:139], v[134:135], v[190:191], v[138:139] op_sel_hi:[1,1,0] neg_lo:[0,0,1] neg_hi:[0,0,1]
	v_mul_f32_e32 v134, v135, v122
	v_pk_add_f32 v[214:215], v[214:215], v[148:149] neg_lo:[0,1] neg_hi:[0,1]
	s_delay_alu instid0(VALU_DEP_2) | instskip(NEXT) | instid1(VALU_DEP_1)
	v_pk_fma_f32 v[132:133], v[132:133], v[190:191], v[134:135] op_sel_hi:[1,1,0]
	v_mov_b32_e32 v139, v133
	ds_load_2addr_b64 v[132:135], v154 offset0:52 offset1:53
	v_pk_add_f32 v[208:209], v[208:209], v[138:139] neg_lo:[0,1] neg_hi:[0,1]
	s_wait_dscnt 0x0
	v_pk_mul_f32 v[138:139], v[132:133], v[136:137] op_sel:[0,1]
	s_delay_alu instid0(VALU_DEP_1) | instskip(SKIP_1) | instid1(VALU_DEP_1)
	v_pk_fma_f32 v[148:149], v[132:133], v[122:123], v[138:139] op_sel:[0,0,1] op_sel_hi:[1,1,0] neg_lo:[0,0,1] neg_hi:[0,0,1]
	v_pk_fma_f32 v[132:133], v[132:133], v[122:123], v[138:139] op_sel:[0,0,1] op_sel_hi:[1,0,0]
	v_mov_b32_e32 v149, v133
	v_pk_mul_f32 v[132:133], v[134:135], v[136:137] op_sel:[0,1]
	s_delay_alu instid0(VALU_DEP_1) | instskip(SKIP_1) | instid1(VALU_DEP_1)
	v_pk_fma_f32 v[138:139], v[134:135], v[122:123], v[132:133] op_sel:[0,0,1] op_sel_hi:[1,1,0] neg_lo:[0,0,1] neg_hi:[0,0,1]
	v_pk_fma_f32 v[132:133], v[134:135], v[122:123], v[132:133] op_sel:[0,0,1] op_sel_hi:[1,0,0]
	v_mov_b32_e32 v139, v133
	ds_load_b64 v[132:133], v154 offset:432
	v_pk_add_f32 v[212:213], v[212:213], v[148:149] neg_lo:[0,1] neg_hi:[0,1]
	v_pk_add_f32 v[218:219], v[218:219], v[138:139] neg_lo:[0,1] neg_hi:[0,1]
	s_wait_dscnt 0x0
	v_pk_mul_f32 v[134:135], v[132:133], v[136:137] op_sel:[0,1]
	s_delay_alu instid0(VALU_DEP_1) | instskip(SKIP_1) | instid1(VALU_DEP_1)
	v_pk_fma_f32 v[136:137], v[132:133], v[122:123], v[134:135] op_sel:[0,0,1] op_sel_hi:[1,1,0] neg_lo:[0,0,1] neg_hi:[0,0,1]
	v_pk_fma_f32 v[122:123], v[132:133], v[122:123], v[134:135] op_sel:[0,0,1] op_sel_hi:[1,0,0]
	v_mov_b32_e32 v137, v123
	s_delay_alu instid0(VALU_DEP_1)
	v_pk_add_f32 v[220:221], v[220:221], v[136:137] neg_lo:[0,1] neg_hi:[0,1]
.LBB109_433:
	s_or_b32 exec_lo, exec_lo, s1
	s_delay_alu instid0(SALU_CYCLE_1)
	s_mov_b32 s2, exec_lo
	s_wait_dscnt 0x0
	s_barrier_signal -1
	s_barrier_wait -1
	v_cmpx_eq_u32_e32 48, v152
	s_cbranch_execz .LBB109_440
; %bb.434:
	ds_store_b64 v153, v[216:217]
	ds_store_2addr_b64 v154, v[210:211], v[214:215] offset0:49 offset1:50
	ds_store_2addr_b64 v154, v[208:209], v[212:213] offset0:51 offset1:52
	ds_store_2addr_b64 v154, v[218:219], v[220:221] offset0:53 offset1:54
	ds_load_b64 v[122:123], v153
	s_wait_dscnt 0x0
	v_cmp_neq_f32_e32 vcc_lo, 0, v122
	v_cmp_neq_f32_e64 s1, 0, v123
	s_or_b32 s1, vcc_lo, s1
	s_delay_alu instid0(SALU_CYCLE_1)
	s_and_b32 exec_lo, exec_lo, s1
	s_cbranch_execz .LBB109_440
; %bb.435:
	v_cmp_ngt_f32_e64 s1, |v122|, |v123|
                                        ; implicit-def: $vgpr132_vgpr133
	s_and_saveexec_b32 s4, s1
	s_delay_alu instid0(SALU_CYCLE_1)
	s_xor_b32 s1, exec_lo, s4
	s_cbranch_execz .LBB109_437
; %bb.436:
	v_div_scale_f32 v132, null, v123, v123, v122
	v_div_scale_f32 v135, vcc_lo, v122, v123, v122
	s_delay_alu instid0(VALU_DEP_2) | instskip(SKIP_1) | instid1(TRANS32_DEP_1)
	v_rcp_f32_e32 v133, v132
	v_nop
	v_fma_f32 v134, -v132, v133, 1.0
	s_delay_alu instid0(VALU_DEP_1) | instskip(NEXT) | instid1(VALU_DEP_1)
	v_fmac_f32_e32 v133, v134, v133
	v_mul_f32_e32 v134, v135, v133
	s_delay_alu instid0(VALU_DEP_1) | instskip(NEXT) | instid1(VALU_DEP_1)
	v_fma_f32 v136, -v132, v134, v135
	v_fmac_f32_e32 v134, v136, v133
	s_delay_alu instid0(VALU_DEP_1) | instskip(NEXT) | instid1(VALU_DEP_1)
	v_fma_f32 v132, -v132, v134, v135
	v_div_fmas_f32 v132, v132, v133, v134
	s_delay_alu instid0(VALU_DEP_1) | instskip(NEXT) | instid1(VALU_DEP_1)
	v_div_fixup_f32 v132, v132, v123, v122
	v_fmac_f32_e32 v123, v122, v132
	s_delay_alu instid0(VALU_DEP_1) | instskip(SKIP_1) | instid1(VALU_DEP_2)
	v_div_scale_f32 v122, null, v123, v123, 1.0
	v_div_scale_f32 v135, vcc_lo, 1.0, v123, 1.0
	v_rcp_f32_e32 v133, v122
	v_nop
	s_delay_alu instid0(TRANS32_DEP_1) | instskip(NEXT) | instid1(VALU_DEP_1)
	v_fma_f32 v134, -v122, v133, 1.0
	v_fmac_f32_e32 v133, v134, v133
	s_delay_alu instid0(VALU_DEP_1) | instskip(NEXT) | instid1(VALU_DEP_1)
	v_mul_f32_e32 v134, v135, v133
	v_fma_f32 v136, -v122, v134, v135
	s_delay_alu instid0(VALU_DEP_1) | instskip(NEXT) | instid1(VALU_DEP_1)
	v_fmac_f32_e32 v134, v136, v133
	v_fma_f32 v122, -v122, v134, v135
	s_delay_alu instid0(VALU_DEP_1) | instskip(NEXT) | instid1(VALU_DEP_1)
	v_div_fmas_f32 v122, v122, v133, v134
	v_div_fixup_f32 v122, v122, v123, 1.0
	s_delay_alu instid0(VALU_DEP_1)
	v_mul_f32_e32 v132, v132, v122
	v_xor_b32_e32 v133, 0x80000000, v122
                                        ; implicit-def: $vgpr122_vgpr123
.LBB109_437:
	s_and_not1_saveexec_b32 s1, s1
	s_cbranch_execz .LBB109_439
; %bb.438:
	v_div_scale_f32 v132, null, v122, v122, v123
	v_div_scale_f32 v135, vcc_lo, v123, v122, v123
	s_delay_alu instid0(VALU_DEP_2) | instskip(SKIP_1) | instid1(TRANS32_DEP_1)
	v_rcp_f32_e32 v133, v132
	v_nop
	v_fma_f32 v134, -v132, v133, 1.0
	s_delay_alu instid0(VALU_DEP_1) | instskip(NEXT) | instid1(VALU_DEP_1)
	v_fmac_f32_e32 v133, v134, v133
	v_mul_f32_e32 v134, v135, v133
	s_delay_alu instid0(VALU_DEP_1) | instskip(NEXT) | instid1(VALU_DEP_1)
	v_fma_f32 v136, -v132, v134, v135
	v_fmac_f32_e32 v134, v136, v133
	s_delay_alu instid0(VALU_DEP_1) | instskip(NEXT) | instid1(VALU_DEP_1)
	v_fma_f32 v132, -v132, v134, v135
	v_div_fmas_f32 v132, v132, v133, v134
	s_delay_alu instid0(VALU_DEP_1) | instskip(NEXT) | instid1(VALU_DEP_1)
	v_div_fixup_f32 v133, v132, v122, v123
	v_fmac_f32_e32 v122, v123, v133
	s_delay_alu instid0(VALU_DEP_1) | instskip(NEXT) | instid1(VALU_DEP_1)
	v_div_scale_f32 v123, null, v122, v122, 1.0
	v_rcp_f32_e32 v132, v123
	v_nop
	s_delay_alu instid0(TRANS32_DEP_1) | instskip(NEXT) | instid1(VALU_DEP_1)
	v_fma_f32 v134, -v123, v132, 1.0
	v_fmac_f32_e32 v132, v134, v132
	v_div_scale_f32 v134, vcc_lo, 1.0, v122, 1.0
	s_delay_alu instid0(VALU_DEP_1) | instskip(NEXT) | instid1(VALU_DEP_1)
	v_mul_f32_e32 v135, v134, v132
	v_fma_f32 v136, -v123, v135, v134
	s_delay_alu instid0(VALU_DEP_1) | instskip(NEXT) | instid1(VALU_DEP_1)
	v_fmac_f32_e32 v135, v136, v132
	v_fma_f32 v123, -v123, v135, v134
	s_delay_alu instid0(VALU_DEP_1) | instskip(NEXT) | instid1(VALU_DEP_1)
	v_div_fmas_f32 v123, v123, v132, v135
	v_div_fixup_f32 v132, v123, v122, 1.0
	s_delay_alu instid0(VALU_DEP_1)
	v_mul_f32_e64 v133, v133, -v132
.LBB109_439:
	s_or_b32 exec_lo, exec_lo, s1
	ds_store_b64 v153, v[132:133]
.LBB109_440:
	s_or_b32 exec_lo, exec_lo, s2
	s_wait_dscnt 0x0
	s_barrier_signal -1
	s_barrier_wait -1
	ds_load_b64 v[122:123], v153
	s_mov_b32 s1, exec_lo
	v_cmpx_lt_u32_e32 48, v152
	s_cbranch_execz .LBB109_442
; %bb.441:
	s_wait_dscnt 0x0
	v_pk_mul_f32 v[132:133], v[122:123], v[216:217] op_sel:[1,1] op_sel_hi:[0,1]
	s_delay_alu instid0(VALU_DEP_1)
	v_pk_fma_f32 v[136:137], v[122:123], v[216:217], v[132:133] op_sel_hi:[1,0,1] neg_lo:[0,0,1] neg_hi:[0,0,1]
	v_pk_fma_f32 v[138:139], v[122:123], v[216:217], v[132:133] op_sel_hi:[1,0,1]
	ds_load_2addr_b64 v[132:135], v154 offset0:49 offset1:50
	v_dual_mov_b32 v216, v136 :: v_dual_mov_b32 v217, v139
	s_wait_dscnt 0x0
	v_pk_mul_f32 v[148:149], v[132:133], v[138:139] op_sel:[0,1]
	s_delay_alu instid0(VALU_DEP_1) | instskip(SKIP_1) | instid1(VALU_DEP_1)
	v_pk_fma_f32 v[150:151], v[132:133], v[136:137], v[148:149] op_sel:[0,0,1] op_sel_hi:[1,1,0] neg_lo:[0,0,1] neg_hi:[0,0,1]
	v_pk_fma_f32 v[132:133], v[132:133], v[136:137], v[148:149] op_sel:[0,0,1] op_sel_hi:[1,0,0]
	v_mov_b32_e32 v151, v133
	v_pk_mul_f32 v[132:133], v[134:135], v[138:139] op_sel:[0,1]
	s_delay_alu instid0(VALU_DEP_1) | instskip(SKIP_1) | instid1(VALU_DEP_1)
	v_pk_fma_f32 v[148:149], v[134:135], v[136:137], v[132:133] op_sel:[0,0,1] op_sel_hi:[1,1,0] neg_lo:[0,0,1] neg_hi:[0,0,1]
	v_pk_fma_f32 v[132:133], v[134:135], v[136:137], v[132:133] op_sel:[0,0,1] op_sel_hi:[1,0,0]
	v_mov_b32_e32 v149, v133
	ds_load_2addr_b64 v[132:135], v154 offset0:51 offset1:52
	v_pk_add_f32 v[210:211], v[210:211], v[150:151] neg_lo:[0,1] neg_hi:[0,1]
	v_pk_add_f32 v[214:215], v[214:215], v[148:149] neg_lo:[0,1] neg_hi:[0,1]
	s_wait_dscnt 0x0
	v_pk_mul_f32 v[148:149], v[132:133], v[138:139] op_sel:[0,1]
	s_delay_alu instid0(VALU_DEP_1) | instskip(SKIP_2) | instid1(VALU_DEP_2)
	v_pk_fma_f32 v[150:151], v[132:133], v[136:137], v[148:149] op_sel:[0,0,1] op_sel_hi:[1,1,0] neg_lo:[0,0,1] neg_hi:[0,0,1]
	v_pk_fma_f32 v[132:133], v[132:133], v[136:137], v[148:149] op_sel:[0,0,1] op_sel_hi:[1,0,0]
	v_dual_mul_f32 v148, v135, v139 :: v_dual_mov_b32 v132, v135
	v_dual_mov_b32 v151, v133 :: v_dual_mov_b32 v133, v134
	s_delay_alu instid0(VALU_DEP_2) | instskip(SKIP_1) | instid1(VALU_DEP_3)
	v_pk_fma_f32 v[148:149], v[134:135], v[216:217], v[148:149] op_sel_hi:[1,1,0] neg_lo:[0,0,1] neg_hi:[0,0,1]
	v_mul_f32_e32 v134, v135, v136
	v_pk_add_f32 v[208:209], v[208:209], v[150:151] neg_lo:[0,1] neg_hi:[0,1]
	s_delay_alu instid0(VALU_DEP_2) | instskip(NEXT) | instid1(VALU_DEP_1)
	v_pk_fma_f32 v[132:133], v[132:133], v[216:217], v[134:135] op_sel_hi:[1,1,0]
	v_mov_b32_e32 v149, v133
	ds_load_2addr_b64 v[132:135], v154 offset0:53 offset1:54
	v_pk_add_f32 v[212:213], v[212:213], v[148:149] neg_lo:[0,1] neg_hi:[0,1]
	s_wait_dscnt 0x0
	v_pk_mul_f32 v[148:149], v[132:133], v[138:139] op_sel:[0,1]
	v_mul_f32_e32 v138, v135, v139
	s_delay_alu instid0(VALU_DEP_2) | instskip(SKIP_2) | instid1(VALU_DEP_4)
	v_pk_fma_f32 v[150:151], v[132:133], v[136:137], v[148:149] op_sel:[0,0,1] op_sel_hi:[1,1,0] neg_lo:[0,0,1] neg_hi:[0,0,1]
	v_pk_fma_f32 v[132:133], v[132:133], v[136:137], v[148:149] op_sel:[0,0,1] op_sel_hi:[1,0,0]
	v_mov_b32_e32 v132, v135
	v_pk_fma_f32 v[138:139], v[134:135], v[216:217], v[138:139] op_sel_hi:[1,1,0] neg_lo:[0,0,1] neg_hi:[0,0,1]
	s_delay_alu instid0(VALU_DEP_3) | instskip(SKIP_1) | instid1(VALU_DEP_2)
	v_dual_mov_b32 v151, v133 :: v_dual_mov_b32 v133, v134
	v_mul_f32_e32 v134, v135, v136
	v_pk_add_f32 v[218:219], v[218:219], v[150:151] neg_lo:[0,1] neg_hi:[0,1]
	s_delay_alu instid0(VALU_DEP_2) | instskip(NEXT) | instid1(VALU_DEP_1)
	v_pk_fma_f32 v[132:133], v[132:133], v[216:217], v[134:135] op_sel_hi:[1,1,0]
	v_mov_b32_e32 v139, v133
	s_delay_alu instid0(VALU_DEP_1)
	v_pk_add_f32 v[220:221], v[220:221], v[138:139] neg_lo:[0,1] neg_hi:[0,1]
.LBB109_442:
	s_or_b32 exec_lo, exec_lo, s1
	s_delay_alu instid0(SALU_CYCLE_1)
	s_mov_b32 s2, exec_lo
	s_wait_dscnt 0x0
	s_barrier_signal -1
	s_barrier_wait -1
	v_cmpx_eq_u32_e32 49, v152
	s_cbranch_execz .LBB109_449
; %bb.443:
	v_dual_mov_b32 v132, v214 :: v_dual_mov_b32 v133, v215
	v_dual_mov_b32 v134, v208 :: v_dual_mov_b32 v135, v209
	ds_store_b64 v153, v[210:211]
	ds_store_2addr_b64 v154, v[132:133], v[134:135] offset0:50 offset1:51
	v_dual_mov_b32 v132, v212 :: v_dual_mov_b32 v133, v213
	v_dual_mov_b32 v134, v218 :: v_dual_mov_b32 v135, v219
	ds_store_2addr_b64 v154, v[132:133], v[134:135] offset0:52 offset1:53
	ds_store_b64 v154, v[220:221] offset:432
	ds_load_b64 v[132:133], v153
	s_wait_dscnt 0x0
	v_cmp_neq_f32_e32 vcc_lo, 0, v132
	v_cmp_neq_f32_e64 s1, 0, v133
	s_or_b32 s1, vcc_lo, s1
	s_delay_alu instid0(SALU_CYCLE_1)
	s_and_b32 exec_lo, exec_lo, s1
	s_cbranch_execz .LBB109_449
; %bb.444:
	v_cmp_ngt_f32_e64 s1, |v132|, |v133|
                                        ; implicit-def: $vgpr134_vgpr135
	s_and_saveexec_b32 s4, s1
	s_delay_alu instid0(SALU_CYCLE_1)
	s_xor_b32 s1, exec_lo, s4
	s_cbranch_execz .LBB109_446
; %bb.445:
	v_div_scale_f32 v134, null, v133, v133, v132
	v_div_scale_f32 v137, vcc_lo, v132, v133, v132
	s_delay_alu instid0(VALU_DEP_2) | instskip(SKIP_1) | instid1(TRANS32_DEP_1)
	v_rcp_f32_e32 v135, v134
	v_nop
	v_fma_f32 v136, -v134, v135, 1.0
	s_delay_alu instid0(VALU_DEP_1) | instskip(NEXT) | instid1(VALU_DEP_1)
	v_fmac_f32_e32 v135, v136, v135
	v_mul_f32_e32 v136, v137, v135
	s_delay_alu instid0(VALU_DEP_1) | instskip(NEXT) | instid1(VALU_DEP_1)
	v_fma_f32 v138, -v134, v136, v137
	v_fmac_f32_e32 v136, v138, v135
	s_delay_alu instid0(VALU_DEP_1) | instskip(NEXT) | instid1(VALU_DEP_1)
	v_fma_f32 v134, -v134, v136, v137
	v_div_fmas_f32 v134, v134, v135, v136
	s_delay_alu instid0(VALU_DEP_1) | instskip(NEXT) | instid1(VALU_DEP_1)
	v_div_fixup_f32 v134, v134, v133, v132
	v_fmac_f32_e32 v133, v132, v134
	s_delay_alu instid0(VALU_DEP_1) | instskip(SKIP_1) | instid1(VALU_DEP_2)
	v_div_scale_f32 v132, null, v133, v133, 1.0
	v_div_scale_f32 v137, vcc_lo, 1.0, v133, 1.0
	v_rcp_f32_e32 v135, v132
	v_nop
	s_delay_alu instid0(TRANS32_DEP_1) | instskip(NEXT) | instid1(VALU_DEP_1)
	v_fma_f32 v136, -v132, v135, 1.0
	v_fmac_f32_e32 v135, v136, v135
	s_delay_alu instid0(VALU_DEP_1) | instskip(NEXT) | instid1(VALU_DEP_1)
	v_mul_f32_e32 v136, v137, v135
	v_fma_f32 v138, -v132, v136, v137
	s_delay_alu instid0(VALU_DEP_1) | instskip(NEXT) | instid1(VALU_DEP_1)
	v_fmac_f32_e32 v136, v138, v135
	v_fma_f32 v132, -v132, v136, v137
	s_delay_alu instid0(VALU_DEP_1) | instskip(NEXT) | instid1(VALU_DEP_1)
	v_div_fmas_f32 v132, v132, v135, v136
	v_div_fixup_f32 v132, v132, v133, 1.0
	s_delay_alu instid0(VALU_DEP_1)
	v_mul_f32_e32 v134, v134, v132
	v_xor_b32_e32 v135, 0x80000000, v132
                                        ; implicit-def: $vgpr132_vgpr133
.LBB109_446:
	s_and_not1_saveexec_b32 s1, s1
	s_cbranch_execz .LBB109_448
; %bb.447:
	v_div_scale_f32 v134, null, v132, v132, v133
	v_div_scale_f32 v137, vcc_lo, v133, v132, v133
	s_delay_alu instid0(VALU_DEP_2) | instskip(SKIP_1) | instid1(TRANS32_DEP_1)
	v_rcp_f32_e32 v135, v134
	v_nop
	v_fma_f32 v136, -v134, v135, 1.0
	s_delay_alu instid0(VALU_DEP_1) | instskip(NEXT) | instid1(VALU_DEP_1)
	v_fmac_f32_e32 v135, v136, v135
	v_mul_f32_e32 v136, v137, v135
	s_delay_alu instid0(VALU_DEP_1) | instskip(NEXT) | instid1(VALU_DEP_1)
	v_fma_f32 v138, -v134, v136, v137
	v_fmac_f32_e32 v136, v138, v135
	s_delay_alu instid0(VALU_DEP_1) | instskip(NEXT) | instid1(VALU_DEP_1)
	v_fma_f32 v134, -v134, v136, v137
	v_div_fmas_f32 v134, v134, v135, v136
	s_delay_alu instid0(VALU_DEP_1) | instskip(NEXT) | instid1(VALU_DEP_1)
	v_div_fixup_f32 v135, v134, v132, v133
	v_fmac_f32_e32 v132, v133, v135
	s_delay_alu instid0(VALU_DEP_1) | instskip(NEXT) | instid1(VALU_DEP_1)
	v_div_scale_f32 v133, null, v132, v132, 1.0
	v_rcp_f32_e32 v134, v133
	v_nop
	s_delay_alu instid0(TRANS32_DEP_1) | instskip(NEXT) | instid1(VALU_DEP_1)
	v_fma_f32 v136, -v133, v134, 1.0
	v_fmac_f32_e32 v134, v136, v134
	v_div_scale_f32 v136, vcc_lo, 1.0, v132, 1.0
	s_delay_alu instid0(VALU_DEP_1) | instskip(NEXT) | instid1(VALU_DEP_1)
	v_mul_f32_e32 v137, v136, v134
	v_fma_f32 v138, -v133, v137, v136
	s_delay_alu instid0(VALU_DEP_1) | instskip(NEXT) | instid1(VALU_DEP_1)
	v_fmac_f32_e32 v137, v138, v134
	v_fma_f32 v133, -v133, v137, v136
	s_delay_alu instid0(VALU_DEP_1) | instskip(NEXT) | instid1(VALU_DEP_1)
	v_div_fmas_f32 v133, v133, v134, v137
	v_div_fixup_f32 v134, v133, v132, 1.0
	s_delay_alu instid0(VALU_DEP_1)
	v_mul_f32_e64 v135, v135, -v134
.LBB109_448:
	s_or_b32 exec_lo, exec_lo, s1
	ds_store_b64 v153, v[134:135]
.LBB109_449:
	s_or_b32 exec_lo, exec_lo, s2
	s_wait_dscnt 0x0
	s_barrier_signal -1
	s_barrier_wait -1
	ds_load_b64 v[132:133], v153
	s_mov_b32 s1, exec_lo
	v_cmpx_lt_u32_e32 49, v152
	s_cbranch_execz .LBB109_451
; %bb.450:
	s_wait_dscnt 0x0
	v_pk_mul_f32 v[134:135], v[132:133], v[210:211] op_sel:[1,1] op_sel_hi:[0,1]
	s_delay_alu instid0(VALU_DEP_1)
	v_pk_fma_f32 v[138:139], v[132:133], v[210:211], v[134:135] op_sel_hi:[1,0,1] neg_lo:[0,0,1] neg_hi:[0,0,1]
	v_pk_fma_f32 v[148:149], v[132:133], v[210:211], v[134:135] op_sel_hi:[1,0,1]
	ds_load_2addr_b64 v[134:137], v154 offset0:50 offset1:51
	v_dual_mov_b32 v210, v138 :: v_dual_mov_b32 v211, v149
	s_wait_dscnt 0x0
	v_pk_mul_f32 v[150:151], v[134:135], v[148:149] op_sel:[0,1]
	s_delay_alu instid0(VALU_DEP_1) | instskip(SKIP_1) | instid1(VALU_DEP_1)
	v_pk_fma_f32 v[164:165], v[134:135], v[138:139], v[150:151] op_sel:[0,0,1] op_sel_hi:[1,1,0] neg_lo:[0,0,1] neg_hi:[0,0,1]
	v_pk_fma_f32 v[134:135], v[134:135], v[138:139], v[150:151] op_sel:[0,0,1] op_sel_hi:[1,0,0]
	v_mov_b32_e32 v165, v135
	v_pk_mul_f32 v[134:135], v[136:137], v[148:149] op_sel:[0,1]
	s_delay_alu instid0(VALU_DEP_1) | instskip(SKIP_1) | instid1(VALU_DEP_1)
	v_pk_fma_f32 v[150:151], v[136:137], v[138:139], v[134:135] op_sel:[0,0,1] op_sel_hi:[1,1,0] neg_lo:[0,0,1] neg_hi:[0,0,1]
	v_pk_fma_f32 v[134:135], v[136:137], v[138:139], v[134:135] op_sel:[0,0,1] op_sel_hi:[1,0,0]
	v_mov_b32_e32 v151, v135
	ds_load_2addr_b64 v[134:137], v154 offset0:52 offset1:53
	v_pk_add_f32 v[214:215], v[214:215], v[164:165] neg_lo:[0,1] neg_hi:[0,1]
	v_pk_add_f32 v[208:209], v[208:209], v[150:151] neg_lo:[0,1] neg_hi:[0,1]
	s_wait_dscnt 0x0
	v_pk_mul_f32 v[150:151], v[134:135], v[148:149] op_sel:[0,1]
	s_delay_alu instid0(VALU_DEP_1) | instskip(SKIP_2) | instid1(VALU_DEP_2)
	v_pk_fma_f32 v[164:165], v[134:135], v[138:139], v[150:151] op_sel:[0,0,1] op_sel_hi:[1,1,0] neg_lo:[0,0,1] neg_hi:[0,0,1]
	v_pk_fma_f32 v[134:135], v[134:135], v[138:139], v[150:151] op_sel:[0,0,1] op_sel_hi:[1,0,0]
	v_dual_mul_f32 v150, v137, v149 :: v_dual_mov_b32 v134, v137
	v_dual_mov_b32 v165, v135 :: v_dual_mov_b32 v135, v136
	s_delay_alu instid0(VALU_DEP_2) | instskip(SKIP_1) | instid1(VALU_DEP_3)
	v_pk_fma_f32 v[150:151], v[136:137], v[210:211], v[150:151] op_sel_hi:[1,1,0] neg_lo:[0,0,1] neg_hi:[0,0,1]
	v_mul_f32_e32 v136, v137, v138
	v_pk_add_f32 v[212:213], v[212:213], v[164:165] neg_lo:[0,1] neg_hi:[0,1]
	s_delay_alu instid0(VALU_DEP_2) | instskip(NEXT) | instid1(VALU_DEP_1)
	v_pk_fma_f32 v[134:135], v[134:135], v[210:211], v[136:137] op_sel_hi:[1,1,0]
	v_mov_b32_e32 v151, v135
	ds_load_b64 v[134:135], v154 offset:432
	v_pk_add_f32 v[218:219], v[218:219], v[150:151] neg_lo:[0,1] neg_hi:[0,1]
	s_wait_dscnt 0x0
	v_pk_mul_f32 v[136:137], v[134:135], v[148:149] op_sel:[0,1]
	s_delay_alu instid0(VALU_DEP_1) | instskip(SKIP_1) | instid1(VALU_DEP_1)
	v_pk_fma_f32 v[148:149], v[134:135], v[138:139], v[136:137] op_sel:[0,0,1] op_sel_hi:[1,1,0] neg_lo:[0,0,1] neg_hi:[0,0,1]
	v_pk_fma_f32 v[134:135], v[134:135], v[138:139], v[136:137] op_sel:[0,0,1] op_sel_hi:[1,0,0]
	v_mov_b32_e32 v149, v135
	s_delay_alu instid0(VALU_DEP_1)
	v_pk_add_f32 v[220:221], v[220:221], v[148:149] neg_lo:[0,1] neg_hi:[0,1]
.LBB109_451:
	s_or_b32 exec_lo, exec_lo, s1
	s_delay_alu instid0(SALU_CYCLE_1)
	s_mov_b32 s2, exec_lo
	s_wait_dscnt 0x0
	s_barrier_signal -1
	s_barrier_wait -1
	v_cmpx_eq_u32_e32 50, v152
	s_cbranch_execz .LBB109_458
; %bb.452:
	ds_store_b64 v153, v[214:215]
	ds_store_2addr_b64 v154, v[208:209], v[212:213] offset0:51 offset1:52
	ds_store_2addr_b64 v154, v[218:219], v[220:221] offset0:53 offset1:54
	ds_load_b64 v[134:135], v153
	s_wait_dscnt 0x0
	v_cmp_neq_f32_e32 vcc_lo, 0, v134
	v_cmp_neq_f32_e64 s1, 0, v135
	s_or_b32 s1, vcc_lo, s1
	s_delay_alu instid0(SALU_CYCLE_1)
	s_and_b32 exec_lo, exec_lo, s1
	s_cbranch_execz .LBB109_458
; %bb.453:
	v_cmp_ngt_f32_e64 s1, |v134|, |v135|
                                        ; implicit-def: $vgpr136_vgpr137
	s_and_saveexec_b32 s4, s1
	s_delay_alu instid0(SALU_CYCLE_1)
	s_xor_b32 s1, exec_lo, s4
	s_cbranch_execz .LBB109_455
; %bb.454:
	v_div_scale_f32 v136, null, v135, v135, v134
	v_div_scale_f32 v139, vcc_lo, v134, v135, v134
	s_delay_alu instid0(VALU_DEP_2) | instskip(SKIP_1) | instid1(TRANS32_DEP_1)
	v_rcp_f32_e32 v137, v136
	v_nop
	v_fma_f32 v138, -v136, v137, 1.0
	s_delay_alu instid0(VALU_DEP_1) | instskip(NEXT) | instid1(VALU_DEP_1)
	v_fmac_f32_e32 v137, v138, v137
	v_mul_f32_e32 v138, v139, v137
	s_delay_alu instid0(VALU_DEP_1) | instskip(NEXT) | instid1(VALU_DEP_1)
	v_fma_f32 v148, -v136, v138, v139
	v_fmac_f32_e32 v138, v148, v137
	s_delay_alu instid0(VALU_DEP_1) | instskip(NEXT) | instid1(VALU_DEP_1)
	v_fma_f32 v136, -v136, v138, v139
	v_div_fmas_f32 v136, v136, v137, v138
	s_delay_alu instid0(VALU_DEP_1) | instskip(NEXT) | instid1(VALU_DEP_1)
	v_div_fixup_f32 v136, v136, v135, v134
	v_fmac_f32_e32 v135, v134, v136
	s_delay_alu instid0(VALU_DEP_1) | instskip(SKIP_1) | instid1(VALU_DEP_2)
	v_div_scale_f32 v134, null, v135, v135, 1.0
	v_div_scale_f32 v139, vcc_lo, 1.0, v135, 1.0
	v_rcp_f32_e32 v137, v134
	v_nop
	s_delay_alu instid0(TRANS32_DEP_1) | instskip(NEXT) | instid1(VALU_DEP_1)
	v_fma_f32 v138, -v134, v137, 1.0
	v_fmac_f32_e32 v137, v138, v137
	s_delay_alu instid0(VALU_DEP_1) | instskip(NEXT) | instid1(VALU_DEP_1)
	v_mul_f32_e32 v138, v139, v137
	v_fma_f32 v148, -v134, v138, v139
	s_delay_alu instid0(VALU_DEP_1) | instskip(NEXT) | instid1(VALU_DEP_1)
	v_fmac_f32_e32 v138, v148, v137
	v_fma_f32 v134, -v134, v138, v139
	s_delay_alu instid0(VALU_DEP_1) | instskip(NEXT) | instid1(VALU_DEP_1)
	v_div_fmas_f32 v134, v134, v137, v138
	v_div_fixup_f32 v134, v134, v135, 1.0
	s_delay_alu instid0(VALU_DEP_1)
	v_mul_f32_e32 v136, v136, v134
	v_xor_b32_e32 v137, 0x80000000, v134
                                        ; implicit-def: $vgpr134_vgpr135
.LBB109_455:
	s_and_not1_saveexec_b32 s1, s1
	s_cbranch_execz .LBB109_457
; %bb.456:
	v_div_scale_f32 v136, null, v134, v134, v135
	v_div_scale_f32 v139, vcc_lo, v135, v134, v135
	s_delay_alu instid0(VALU_DEP_2) | instskip(SKIP_1) | instid1(TRANS32_DEP_1)
	v_rcp_f32_e32 v137, v136
	v_nop
	v_fma_f32 v138, -v136, v137, 1.0
	s_delay_alu instid0(VALU_DEP_1) | instskip(NEXT) | instid1(VALU_DEP_1)
	v_fmac_f32_e32 v137, v138, v137
	v_mul_f32_e32 v138, v139, v137
	s_delay_alu instid0(VALU_DEP_1) | instskip(NEXT) | instid1(VALU_DEP_1)
	v_fma_f32 v148, -v136, v138, v139
	v_fmac_f32_e32 v138, v148, v137
	s_delay_alu instid0(VALU_DEP_1) | instskip(NEXT) | instid1(VALU_DEP_1)
	v_fma_f32 v136, -v136, v138, v139
	v_div_fmas_f32 v136, v136, v137, v138
	s_delay_alu instid0(VALU_DEP_1) | instskip(NEXT) | instid1(VALU_DEP_1)
	v_div_fixup_f32 v137, v136, v134, v135
	v_fmac_f32_e32 v134, v135, v137
	s_delay_alu instid0(VALU_DEP_1) | instskip(NEXT) | instid1(VALU_DEP_1)
	v_div_scale_f32 v135, null, v134, v134, 1.0
	v_rcp_f32_e32 v136, v135
	v_nop
	s_delay_alu instid0(TRANS32_DEP_1) | instskip(NEXT) | instid1(VALU_DEP_1)
	v_fma_f32 v138, -v135, v136, 1.0
	v_fmac_f32_e32 v136, v138, v136
	v_div_scale_f32 v138, vcc_lo, 1.0, v134, 1.0
	s_delay_alu instid0(VALU_DEP_1) | instskip(NEXT) | instid1(VALU_DEP_1)
	v_mul_f32_e32 v139, v138, v136
	v_fma_f32 v148, -v135, v139, v138
	s_delay_alu instid0(VALU_DEP_1) | instskip(NEXT) | instid1(VALU_DEP_1)
	v_fmac_f32_e32 v139, v148, v136
	v_fma_f32 v135, -v135, v139, v138
	s_delay_alu instid0(VALU_DEP_1) | instskip(NEXT) | instid1(VALU_DEP_1)
	v_div_fmas_f32 v135, v135, v136, v139
	v_div_fixup_f32 v136, v135, v134, 1.0
	s_delay_alu instid0(VALU_DEP_1)
	v_mul_f32_e64 v137, v137, -v136
.LBB109_457:
	s_or_b32 exec_lo, exec_lo, s1
	ds_store_b64 v153, v[136:137]
.LBB109_458:
	s_or_b32 exec_lo, exec_lo, s2
	s_wait_dscnt 0x0
	s_barrier_signal -1
	s_barrier_wait -1
	ds_load_b64 v[136:137], v153
	s_mov_b32 s1, exec_lo
	v_cmpx_lt_u32_e32 50, v152
	s_cbranch_execz .LBB109_460
; %bb.459:
	ds_load_2addr_b64 v[148:151], v154 offset0:51 offset1:52
	s_wait_dscnt 0x1
	v_pk_mul_f32 v[134:135], v[136:137], v[214:215] op_sel:[1,1] op_sel_hi:[0,1]
	s_delay_alu instid0(VALU_DEP_1) | instskip(SKIP_1) | instid1(VALU_DEP_1)
	v_pk_fma_f32 v[138:139], v[136:137], v[214:215], v[134:135] op_sel_hi:[1,0,1] neg_lo:[0,0,1] neg_hi:[0,0,1]
	v_pk_fma_f32 v[134:135], v[136:137], v[214:215], v[134:135] op_sel_hi:[1,0,1]
	v_dual_mov_b32 v214, v138 :: v_dual_mov_b32 v215, v135
	s_wait_dscnt 0x0
	s_delay_alu instid0(VALU_DEP_2) | instskip(NEXT) | instid1(VALU_DEP_1)
	v_pk_mul_f32 v[164:165], v[148:149], v[134:135] op_sel:[0,1]
	v_pk_fma_f32 v[166:167], v[148:149], v[138:139], v[164:165] op_sel:[0,0,1] op_sel_hi:[1,1,0] neg_lo:[0,0,1] neg_hi:[0,0,1]
	v_pk_fma_f32 v[148:149], v[148:149], v[138:139], v[164:165] op_sel:[0,0,1] op_sel_hi:[1,0,0]
	s_delay_alu instid0(VALU_DEP_1) | instskip(SKIP_1) | instid1(VALU_DEP_1)
	v_mov_b32_e32 v167, v149
	v_pk_mul_f32 v[148:149], v[150:151], v[134:135] op_sel:[0,1]
	v_pk_fma_f32 v[164:165], v[150:151], v[138:139], v[148:149] op_sel:[0,0,1] op_sel_hi:[1,1,0] neg_lo:[0,0,1] neg_hi:[0,0,1]
	v_pk_fma_f32 v[148:149], v[150:151], v[138:139], v[148:149] op_sel:[0,0,1] op_sel_hi:[1,0,0]
	s_delay_alu instid0(VALU_DEP_1)
	v_mov_b32_e32 v165, v149
	ds_load_2addr_b64 v[148:151], v154 offset0:53 offset1:54
	v_pk_add_f32 v[208:209], v[208:209], v[166:167] neg_lo:[0,1] neg_hi:[0,1]
	v_pk_add_f32 v[212:213], v[212:213], v[164:165] neg_lo:[0,1] neg_hi:[0,1]
	s_wait_dscnt 0x0
	v_pk_mul_f32 v[164:165], v[148:149], v[134:135] op_sel:[0,1]
	s_delay_alu instid0(VALU_DEP_1) | instskip(SKIP_1) | instid1(VALU_DEP_1)
	v_pk_fma_f32 v[166:167], v[148:149], v[138:139], v[164:165] op_sel:[0,0,1] op_sel_hi:[1,1,0] neg_lo:[0,0,1] neg_hi:[0,0,1]
	v_pk_fma_f32 v[148:149], v[148:149], v[138:139], v[164:165] op_sel:[0,0,1] op_sel_hi:[1,0,0]
	v_dual_mov_b32 v148, v151 :: v_dual_mov_b32 v167, v149
	v_mov_b32_e32 v149, v150
	s_delay_alu instid0(VALU_DEP_2) | instskip(NEXT) | instid1(VALU_DEP_2)
	v_pk_add_f32 v[218:219], v[218:219], v[166:167] neg_lo:[0,1] neg_hi:[0,1]
	v_pk_mul_f32 v[134:135], v[148:149], v[134:135] op_sel:[0,1]
	s_delay_alu instid0(VALU_DEP_1) | instskip(SKIP_1) | instid1(VALU_DEP_1)
	v_pk_fma_f32 v[148:149], v[150:151], v[138:139], v[134:135] neg_lo:[0,0,1] neg_hi:[0,0,1]
	v_pk_fma_f32 v[134:135], v[150:151], v[138:139], v[134:135] op_sel_hi:[1,0,1]
	v_mov_b32_e32 v149, v135
	s_delay_alu instid0(VALU_DEP_1)
	v_pk_add_f32 v[220:221], v[220:221], v[148:149] neg_lo:[0,1] neg_hi:[0,1]
.LBB109_460:
	s_or_b32 exec_lo, exec_lo, s1
	s_delay_alu instid0(SALU_CYCLE_1)
	s_mov_b32 s2, exec_lo
	s_wait_dscnt 0x0
	s_barrier_signal -1
	s_barrier_wait -1
	v_cmpx_eq_u32_e32 51, v152
	s_cbranch_execz .LBB109_467
; %bb.461:
	v_dual_mov_b32 v134, v212 :: v_dual_mov_b32 v135, v213
	v_dual_mov_b32 v138, v218 :: v_dual_mov_b32 v139, v219
	ds_store_b64 v153, v[208:209]
	ds_store_2addr_b64 v154, v[134:135], v[138:139] offset0:52 offset1:53
	ds_store_b64 v154, v[220:221] offset:432
	ds_load_b64 v[134:135], v153
	s_wait_dscnt 0x0
	v_cmp_neq_f32_e32 vcc_lo, 0, v134
	v_cmp_neq_f32_e64 s1, 0, v135
	s_or_b32 s1, vcc_lo, s1
	s_delay_alu instid0(SALU_CYCLE_1)
	s_and_b32 exec_lo, exec_lo, s1
	s_cbranch_execz .LBB109_467
; %bb.462:
	v_cmp_ngt_f32_e64 s1, |v134|, |v135|
                                        ; implicit-def: $vgpr138_vgpr139
	s_and_saveexec_b32 s4, s1
	s_delay_alu instid0(SALU_CYCLE_1)
	s_xor_b32 s1, exec_lo, s4
	s_cbranch_execz .LBB109_464
; %bb.463:
	v_div_scale_f32 v138, null, v135, v135, v134
	v_div_scale_f32 v149, vcc_lo, v134, v135, v134
	s_delay_alu instid0(VALU_DEP_2) | instskip(SKIP_1) | instid1(TRANS32_DEP_1)
	v_rcp_f32_e32 v139, v138
	v_nop
	v_fma_f32 v148, -v138, v139, 1.0
	s_delay_alu instid0(VALU_DEP_1) | instskip(NEXT) | instid1(VALU_DEP_1)
	v_fmac_f32_e32 v139, v148, v139
	v_mul_f32_e32 v148, v149, v139
	s_delay_alu instid0(VALU_DEP_1) | instskip(NEXT) | instid1(VALU_DEP_1)
	v_fma_f32 v150, -v138, v148, v149
	v_fmac_f32_e32 v148, v150, v139
	s_delay_alu instid0(VALU_DEP_1) | instskip(NEXT) | instid1(VALU_DEP_1)
	v_fma_f32 v138, -v138, v148, v149
	v_div_fmas_f32 v138, v138, v139, v148
	s_delay_alu instid0(VALU_DEP_1) | instskip(NEXT) | instid1(VALU_DEP_1)
	v_div_fixup_f32 v138, v138, v135, v134
	v_fmac_f32_e32 v135, v134, v138
	s_delay_alu instid0(VALU_DEP_1) | instskip(SKIP_1) | instid1(VALU_DEP_2)
	v_div_scale_f32 v134, null, v135, v135, 1.0
	v_div_scale_f32 v149, vcc_lo, 1.0, v135, 1.0
	v_rcp_f32_e32 v139, v134
	v_nop
	s_delay_alu instid0(TRANS32_DEP_1) | instskip(NEXT) | instid1(VALU_DEP_1)
	v_fma_f32 v148, -v134, v139, 1.0
	v_fmac_f32_e32 v139, v148, v139
	s_delay_alu instid0(VALU_DEP_1) | instskip(NEXT) | instid1(VALU_DEP_1)
	v_mul_f32_e32 v148, v149, v139
	v_fma_f32 v150, -v134, v148, v149
	s_delay_alu instid0(VALU_DEP_1) | instskip(NEXT) | instid1(VALU_DEP_1)
	v_fmac_f32_e32 v148, v150, v139
	v_fma_f32 v134, -v134, v148, v149
	s_delay_alu instid0(VALU_DEP_1) | instskip(NEXT) | instid1(VALU_DEP_1)
	v_div_fmas_f32 v134, v134, v139, v148
	v_div_fixup_f32 v134, v134, v135, 1.0
	s_delay_alu instid0(VALU_DEP_1)
	v_mul_f32_e32 v138, v138, v134
	v_xor_b32_e32 v139, 0x80000000, v134
                                        ; implicit-def: $vgpr134_vgpr135
.LBB109_464:
	s_and_not1_saveexec_b32 s1, s1
	s_cbranch_execz .LBB109_466
; %bb.465:
	v_div_scale_f32 v138, null, v134, v134, v135
	v_div_scale_f32 v149, vcc_lo, v135, v134, v135
	s_delay_alu instid0(VALU_DEP_2) | instskip(SKIP_1) | instid1(TRANS32_DEP_1)
	v_rcp_f32_e32 v139, v138
	v_nop
	v_fma_f32 v148, -v138, v139, 1.0
	s_delay_alu instid0(VALU_DEP_1) | instskip(NEXT) | instid1(VALU_DEP_1)
	v_fmac_f32_e32 v139, v148, v139
	v_mul_f32_e32 v148, v149, v139
	s_delay_alu instid0(VALU_DEP_1) | instskip(NEXT) | instid1(VALU_DEP_1)
	v_fma_f32 v150, -v138, v148, v149
	v_fmac_f32_e32 v148, v150, v139
	s_delay_alu instid0(VALU_DEP_1) | instskip(NEXT) | instid1(VALU_DEP_1)
	v_fma_f32 v138, -v138, v148, v149
	v_div_fmas_f32 v138, v138, v139, v148
	s_delay_alu instid0(VALU_DEP_1) | instskip(NEXT) | instid1(VALU_DEP_1)
	v_div_fixup_f32 v139, v138, v134, v135
	v_fmac_f32_e32 v134, v135, v139
	s_delay_alu instid0(VALU_DEP_1) | instskip(NEXT) | instid1(VALU_DEP_1)
	v_div_scale_f32 v135, null, v134, v134, 1.0
	v_rcp_f32_e32 v138, v135
	v_nop
	s_delay_alu instid0(TRANS32_DEP_1) | instskip(NEXT) | instid1(VALU_DEP_1)
	v_fma_f32 v148, -v135, v138, 1.0
	v_fmac_f32_e32 v138, v148, v138
	v_div_scale_f32 v148, vcc_lo, 1.0, v134, 1.0
	s_delay_alu instid0(VALU_DEP_1) | instskip(NEXT) | instid1(VALU_DEP_1)
	v_mul_f32_e32 v149, v148, v138
	v_fma_f32 v150, -v135, v149, v148
	s_delay_alu instid0(VALU_DEP_1) | instskip(NEXT) | instid1(VALU_DEP_1)
	v_fmac_f32_e32 v149, v150, v138
	v_fma_f32 v135, -v135, v149, v148
	s_delay_alu instid0(VALU_DEP_1) | instskip(NEXT) | instid1(VALU_DEP_1)
	v_div_fmas_f32 v135, v135, v138, v149
	v_div_fixup_f32 v138, v135, v134, 1.0
	s_delay_alu instid0(VALU_DEP_1)
	v_mul_f32_e64 v139, v139, -v138
.LBB109_466:
	s_or_b32 exec_lo, exec_lo, s1
	ds_store_b64 v153, v[138:139]
.LBB109_467:
	s_or_b32 exec_lo, exec_lo, s2
	s_wait_dscnt 0x0
	s_barrier_signal -1
	s_barrier_wait -1
	ds_load_b64 v[138:139], v153
	s_mov_b32 s1, exec_lo
	v_cmpx_lt_u32_e32 51, v152
	s_cbranch_execz .LBB109_469
; %bb.468:
	ds_load_2addr_b64 v[148:151], v154 offset0:52 offset1:53
	s_wait_dscnt 0x1
	v_pk_mul_f32 v[134:135], v[138:139], v[208:209] op_sel:[1,1] op_sel_hi:[0,1]
	s_delay_alu instid0(VALU_DEP_1) | instskip(SKIP_1) | instid1(VALU_DEP_1)
	v_pk_fma_f32 v[164:165], v[138:139], v[208:209], v[134:135] op_sel_hi:[1,0,1] neg_lo:[0,0,1] neg_hi:[0,0,1]
	v_pk_fma_f32 v[134:135], v[138:139], v[208:209], v[134:135] op_sel_hi:[1,0,1]
	v_dual_mov_b32 v208, v164 :: v_dual_mov_b32 v209, v135
	s_wait_dscnt 0x0
	s_delay_alu instid0(VALU_DEP_2) | instskip(NEXT) | instid1(VALU_DEP_1)
	v_pk_mul_f32 v[166:167], v[148:149], v[134:135] op_sel:[0,1]
	v_pk_fma_f32 v[168:169], v[148:149], v[164:165], v[166:167] op_sel:[0,0,1] op_sel_hi:[1,1,0] neg_lo:[0,0,1] neg_hi:[0,0,1]
	v_pk_fma_f32 v[148:149], v[148:149], v[164:165], v[166:167] op_sel:[0,0,1] op_sel_hi:[1,0,0]
	s_delay_alu instid0(VALU_DEP_1) | instskip(SKIP_1) | instid1(VALU_DEP_1)
	v_mov_b32_e32 v169, v149
	v_pk_mul_f32 v[148:149], v[150:151], v[134:135] op_sel:[0,1]
	v_pk_fma_f32 v[166:167], v[150:151], v[164:165], v[148:149] op_sel:[0,0,1] op_sel_hi:[1,1,0] neg_lo:[0,0,1] neg_hi:[0,0,1]
	v_pk_fma_f32 v[148:149], v[150:151], v[164:165], v[148:149] op_sel:[0,0,1] op_sel_hi:[1,0,0]
	s_delay_alu instid0(VALU_DEP_1)
	v_mov_b32_e32 v167, v149
	ds_load_b64 v[148:149], v154 offset:432
	v_pk_add_f32 v[212:213], v[212:213], v[168:169] neg_lo:[0,1] neg_hi:[0,1]
	v_pk_add_f32 v[218:219], v[218:219], v[166:167] neg_lo:[0,1] neg_hi:[0,1]
	s_wait_dscnt 0x0
	v_pk_mul_f32 v[134:135], v[148:149], v[134:135] op_sel:[1,1] op_sel_hi:[0,1]
	s_delay_alu instid0(VALU_DEP_1) | instskip(SKIP_1) | instid1(VALU_DEP_1)
	v_pk_fma_f32 v[150:151], v[148:149], v[164:165], v[134:135] neg_lo:[0,0,1] neg_hi:[0,0,1]
	v_pk_fma_f32 v[134:135], v[148:149], v[164:165], v[134:135] op_sel_hi:[1,0,1]
	v_mov_b32_e32 v151, v135
	s_delay_alu instid0(VALU_DEP_1)
	v_pk_add_f32 v[220:221], v[220:221], v[150:151] neg_lo:[0,1] neg_hi:[0,1]
.LBB109_469:
	s_or_b32 exec_lo, exec_lo, s1
	s_delay_alu instid0(SALU_CYCLE_1)
	s_mov_b32 s2, exec_lo
	s_wait_dscnt 0x0
	s_barrier_signal -1
	s_barrier_wait -1
	v_cmpx_eq_u32_e32 52, v152
	s_cbranch_execz .LBB109_476
; %bb.470:
	ds_store_b64 v153, v[212:213]
	ds_store_2addr_b64 v154, v[218:219], v[220:221] offset0:53 offset1:54
	ds_load_b64 v[134:135], v153
	s_wait_dscnt 0x0
	v_cmp_neq_f32_e32 vcc_lo, 0, v134
	v_cmp_neq_f32_e64 s1, 0, v135
	s_or_b32 s1, vcc_lo, s1
	s_delay_alu instid0(SALU_CYCLE_1)
	s_and_b32 exec_lo, exec_lo, s1
	s_cbranch_execz .LBB109_476
; %bb.471:
	v_cmp_ngt_f32_e64 s1, |v134|, |v135|
                                        ; implicit-def: $vgpr148_vgpr149
	s_and_saveexec_b32 s4, s1
	s_delay_alu instid0(SALU_CYCLE_1)
	s_xor_b32 s1, exec_lo, s4
	s_cbranch_execz .LBB109_473
; %bb.472:
	v_div_scale_f32 v148, null, v135, v135, v134
	v_div_scale_f32 v151, vcc_lo, v134, v135, v134
	s_delay_alu instid0(VALU_DEP_2) | instskip(SKIP_1) | instid1(TRANS32_DEP_1)
	v_rcp_f32_e32 v149, v148
	v_nop
	v_fma_f32 v150, -v148, v149, 1.0
	s_delay_alu instid0(VALU_DEP_1) | instskip(NEXT) | instid1(VALU_DEP_1)
	v_fmac_f32_e32 v149, v150, v149
	v_mul_f32_e32 v150, v151, v149
	s_delay_alu instid0(VALU_DEP_1) | instskip(NEXT) | instid1(VALU_DEP_1)
	v_fma_f32 v155, -v148, v150, v151
	v_fmac_f32_e32 v150, v155, v149
	s_delay_alu instid0(VALU_DEP_1) | instskip(NEXT) | instid1(VALU_DEP_1)
	v_fma_f32 v148, -v148, v150, v151
	v_div_fmas_f32 v148, v148, v149, v150
	s_delay_alu instid0(VALU_DEP_1) | instskip(NEXT) | instid1(VALU_DEP_1)
	v_div_fixup_f32 v148, v148, v135, v134
	v_fmac_f32_e32 v135, v134, v148
	s_delay_alu instid0(VALU_DEP_1) | instskip(SKIP_1) | instid1(VALU_DEP_2)
	v_div_scale_f32 v134, null, v135, v135, 1.0
	v_div_scale_f32 v151, vcc_lo, 1.0, v135, 1.0
	v_rcp_f32_e32 v149, v134
	v_nop
	s_delay_alu instid0(TRANS32_DEP_1) | instskip(NEXT) | instid1(VALU_DEP_1)
	v_fma_f32 v150, -v134, v149, 1.0
	v_fmac_f32_e32 v149, v150, v149
	s_delay_alu instid0(VALU_DEP_1) | instskip(NEXT) | instid1(VALU_DEP_1)
	v_mul_f32_e32 v150, v151, v149
	v_fma_f32 v155, -v134, v150, v151
	s_delay_alu instid0(VALU_DEP_1) | instskip(NEXT) | instid1(VALU_DEP_1)
	v_fmac_f32_e32 v150, v155, v149
	v_fma_f32 v134, -v134, v150, v151
	s_delay_alu instid0(VALU_DEP_1) | instskip(NEXT) | instid1(VALU_DEP_1)
	v_div_fmas_f32 v134, v134, v149, v150
	v_div_fixup_f32 v134, v134, v135, 1.0
	s_delay_alu instid0(VALU_DEP_1)
	v_mul_f32_e32 v148, v148, v134
	v_xor_b32_e32 v149, 0x80000000, v134
                                        ; implicit-def: $vgpr134_vgpr135
.LBB109_473:
	s_and_not1_saveexec_b32 s1, s1
	s_cbranch_execz .LBB109_475
; %bb.474:
	v_div_scale_f32 v148, null, v134, v134, v135
	v_div_scale_f32 v151, vcc_lo, v135, v134, v135
	s_delay_alu instid0(VALU_DEP_2) | instskip(SKIP_1) | instid1(TRANS32_DEP_1)
	v_rcp_f32_e32 v149, v148
	v_nop
	v_fma_f32 v150, -v148, v149, 1.0
	s_delay_alu instid0(VALU_DEP_1) | instskip(NEXT) | instid1(VALU_DEP_1)
	v_fmac_f32_e32 v149, v150, v149
	v_mul_f32_e32 v150, v151, v149
	s_delay_alu instid0(VALU_DEP_1) | instskip(NEXT) | instid1(VALU_DEP_1)
	v_fma_f32 v155, -v148, v150, v151
	v_fmac_f32_e32 v150, v155, v149
	s_delay_alu instid0(VALU_DEP_1) | instskip(NEXT) | instid1(VALU_DEP_1)
	v_fma_f32 v148, -v148, v150, v151
	v_div_fmas_f32 v148, v148, v149, v150
	s_delay_alu instid0(VALU_DEP_1) | instskip(NEXT) | instid1(VALU_DEP_1)
	v_div_fixup_f32 v149, v148, v134, v135
	v_fmac_f32_e32 v134, v135, v149
	s_delay_alu instid0(VALU_DEP_1) | instskip(NEXT) | instid1(VALU_DEP_1)
	v_div_scale_f32 v135, null, v134, v134, 1.0
	v_rcp_f32_e32 v148, v135
	v_nop
	s_delay_alu instid0(TRANS32_DEP_1) | instskip(NEXT) | instid1(VALU_DEP_1)
	v_fma_f32 v150, -v135, v148, 1.0
	v_fmac_f32_e32 v148, v150, v148
	v_div_scale_f32 v150, vcc_lo, 1.0, v134, 1.0
	s_delay_alu instid0(VALU_DEP_1) | instskip(NEXT) | instid1(VALU_DEP_1)
	v_mul_f32_e32 v151, v150, v148
	v_fma_f32 v155, -v135, v151, v150
	s_delay_alu instid0(VALU_DEP_1) | instskip(NEXT) | instid1(VALU_DEP_1)
	v_fmac_f32_e32 v151, v155, v148
	v_fma_f32 v135, -v135, v151, v150
	s_delay_alu instid0(VALU_DEP_1) | instskip(NEXT) | instid1(VALU_DEP_1)
	v_div_fmas_f32 v135, v135, v148, v151
	v_div_fixup_f32 v148, v135, v134, 1.0
	s_delay_alu instid0(VALU_DEP_1)
	v_mul_f32_e64 v149, v149, -v148
.LBB109_475:
	s_or_b32 exec_lo, exec_lo, s1
	ds_store_b64 v153, v[148:149]
.LBB109_476:
	s_or_b32 exec_lo, exec_lo, s2
	s_wait_dscnt 0x0
	s_barrier_signal -1
	s_barrier_wait -1
	ds_load_b64 v[148:149], v153
	s_mov_b32 s1, exec_lo
	v_cmpx_lt_u32_e32 52, v152
	s_cbranch_execz .LBB109_478
; %bb.477:
	ds_load_2addr_b64 v[164:167], v154 offset0:53 offset1:54
	s_wait_dscnt 0x1
	v_pk_mul_f32 v[134:135], v[148:149], v[212:213] op_sel:[1,1] op_sel_hi:[0,1]
	v_mov_b64_e32 v[0:1], v[254:255]
	v_mov_b64_e32 v[254:255], v[252:253]
	;; [unrolled: 1-line block ×4, first 2 shown]
	v_pk_fma_f32 v[150:151], v[148:149], v[212:213], v[134:135] op_sel_hi:[1,0,1] neg_lo:[0,0,1] neg_hi:[0,0,1]
	v_pk_fma_f32 v[134:135], v[148:149], v[212:213], v[134:135] op_sel_hi:[1,0,1]
	v_mov_b64_e32 v[248:249], v[246:247]
	v_mov_b64_e32 v[246:247], v[244:245]
	;; [unrolled: 1-line block ×12, first 2 shown]
	s_wait_dscnt 0x0
	v_pk_mul_f32 v[168:169], v[164:165], v[134:135] op_sel:[0,1]
	v_mov_b64_e32 v[226:227], v[224:225]
	v_mov_b64_e32 v[224:225], v[222:223]
	;; [unrolled: 1-line block ×13, first 2 shown]
	v_pk_fma_f32 v[170:171], v[164:165], v[150:151], v[168:169] op_sel:[0,0,1] op_sel_hi:[1,1,0] neg_lo:[0,0,1] neg_hi:[0,0,1]
	v_pk_fma_f32 v[164:165], v[164:165], v[150:151], v[168:169] op_sel:[0,0,1] op_sel_hi:[1,0,0]
	v_dual_mov_b32 v164, v167 :: v_dual_mov_b32 v212, v150
	s_delay_alu instid0(VALU_DEP_2) | instskip(SKIP_1) | instid1(VALU_DEP_2)
	v_dual_mov_b32 v213, v135 :: v_dual_mov_b32 v171, v165
	v_mov_b32_e32 v165, v166
	v_pk_add_f32 v[218:219], v[218:219], v[170:171] neg_lo:[0,1] neg_hi:[0,1]
	s_delay_alu instid0(VALU_DEP_2)
	v_pk_mul_f32 v[134:135], v[164:165], v[134:135] op_sel:[0,1]
	v_mov_b64_e32 v[170:171], v[180:181]
	v_mov_b64_e32 v[180:181], v[182:183]
	;; [unrolled: 1-line block ×4, first 2 shown]
	v_pk_fma_f32 v[164:165], v[166:167], v[150:151], v[134:135] neg_lo:[0,0,1] neg_hi:[0,0,1]
	v_pk_fma_f32 v[134:135], v[166:167], v[150:151], v[134:135] op_sel_hi:[1,0,1]
	v_mov_b64_e32 v[186:187], v[188:189]
	v_mov_b64_e32 v[188:189], v[198:199]
	;; [unrolled: 1-line block ×4, first 2 shown]
	v_mov_b32_e32 v165, v135
	v_mov_b64_e32 v[202:203], v[204:205]
	v_mov_b64_e32 v[204:205], v[206:207]
	;; [unrolled: 1-line block ×21, first 2 shown]
	v_pk_add_f32 v[220:221], v[220:221], v[164:165] neg_lo:[0,1] neg_hi:[0,1]
.LBB109_478:
	s_or_b32 exec_lo, exec_lo, s1
	s_delay_alu instid0(SALU_CYCLE_1)
	s_mov_b32 s2, exec_lo
	s_wait_dscnt 0x0
	s_barrier_signal -1
	s_barrier_wait -1
	v_cmpx_eq_u32_e32 53, v152
	s_cbranch_execz .LBB109_485
; %bb.479:
	ds_store_b64 v153, v[218:219]
	ds_store_b64 v154, v[220:221] offset:432
	ds_load_b64 v[134:135], v153
	s_wait_dscnt 0x0
	v_cmp_neq_f32_e32 vcc_lo, 0, v134
	v_cmp_neq_f32_e64 s1, 0, v135
	s_or_b32 s1, vcc_lo, s1
	s_delay_alu instid0(SALU_CYCLE_1)
	s_and_b32 exec_lo, exec_lo, s1
	s_cbranch_execz .LBB109_485
; %bb.480:
	v_cmp_ngt_f32_e64 s1, |v134|, |v135|
                                        ; implicit-def: $vgpr150_vgpr151
	s_and_saveexec_b32 s4, s1
	s_delay_alu instid0(SALU_CYCLE_1)
	s_xor_b32 s1, exec_lo, s4
	s_cbranch_execz .LBB109_482
; %bb.481:
	v_div_scale_f32 v150, null, v135, v135, v134
	v_div_scale_f32 v164, vcc_lo, v134, v135, v134
	s_delay_alu instid0(VALU_DEP_2) | instskip(SKIP_1) | instid1(TRANS32_DEP_1)
	v_rcp_f32_e32 v151, v150
	v_nop
	v_fma_f32 v155, -v150, v151, 1.0
	s_delay_alu instid0(VALU_DEP_1) | instskip(NEXT) | instid1(VALU_DEP_1)
	v_fmac_f32_e32 v151, v155, v151
	v_mul_f32_e32 v155, v164, v151
	s_delay_alu instid0(VALU_DEP_1) | instskip(NEXT) | instid1(VALU_DEP_1)
	v_fma_f32 v165, -v150, v155, v164
	v_fmac_f32_e32 v155, v165, v151
	s_delay_alu instid0(VALU_DEP_1) | instskip(NEXT) | instid1(VALU_DEP_1)
	v_fma_f32 v150, -v150, v155, v164
	v_div_fmas_f32 v150, v150, v151, v155
	s_delay_alu instid0(VALU_DEP_1) | instskip(NEXT) | instid1(VALU_DEP_1)
	v_div_fixup_f32 v150, v150, v135, v134
	v_fmac_f32_e32 v135, v134, v150
	s_delay_alu instid0(VALU_DEP_1) | instskip(SKIP_1) | instid1(VALU_DEP_2)
	v_div_scale_f32 v134, null, v135, v135, 1.0
	v_div_scale_f32 v164, vcc_lo, 1.0, v135, 1.0
	v_rcp_f32_e32 v151, v134
	v_nop
	s_delay_alu instid0(TRANS32_DEP_1) | instskip(NEXT) | instid1(VALU_DEP_1)
	v_fma_f32 v155, -v134, v151, 1.0
	v_fmac_f32_e32 v151, v155, v151
	s_delay_alu instid0(VALU_DEP_1) | instskip(NEXT) | instid1(VALU_DEP_1)
	v_mul_f32_e32 v155, v164, v151
	v_fma_f32 v165, -v134, v155, v164
	s_delay_alu instid0(VALU_DEP_1) | instskip(NEXT) | instid1(VALU_DEP_1)
	v_fmac_f32_e32 v155, v165, v151
	v_fma_f32 v134, -v134, v155, v164
	s_delay_alu instid0(VALU_DEP_1) | instskip(NEXT) | instid1(VALU_DEP_1)
	v_div_fmas_f32 v134, v134, v151, v155
	v_div_fixup_f32 v134, v134, v135, 1.0
	s_delay_alu instid0(VALU_DEP_1)
	v_mul_f32_e32 v150, v150, v134
	v_xor_b32_e32 v151, 0x80000000, v134
                                        ; implicit-def: $vgpr134_vgpr135
.LBB109_482:
	s_and_not1_saveexec_b32 s1, s1
	s_cbranch_execz .LBB109_484
; %bb.483:
	v_div_scale_f32 v150, null, v134, v134, v135
	v_div_scale_f32 v164, vcc_lo, v135, v134, v135
	s_delay_alu instid0(VALU_DEP_2) | instskip(SKIP_1) | instid1(TRANS32_DEP_1)
	v_rcp_f32_e32 v151, v150
	v_nop
	v_fma_f32 v155, -v150, v151, 1.0
	s_delay_alu instid0(VALU_DEP_1) | instskip(NEXT) | instid1(VALU_DEP_1)
	v_fmac_f32_e32 v151, v155, v151
	v_mul_f32_e32 v155, v164, v151
	s_delay_alu instid0(VALU_DEP_1) | instskip(NEXT) | instid1(VALU_DEP_1)
	v_fma_f32 v165, -v150, v155, v164
	v_fmac_f32_e32 v155, v165, v151
	s_delay_alu instid0(VALU_DEP_1) | instskip(NEXT) | instid1(VALU_DEP_1)
	v_fma_f32 v150, -v150, v155, v164
	v_div_fmas_f32 v150, v150, v151, v155
	s_delay_alu instid0(VALU_DEP_1) | instskip(NEXT) | instid1(VALU_DEP_1)
	v_div_fixup_f32 v151, v150, v134, v135
	v_fmac_f32_e32 v134, v135, v151
	s_delay_alu instid0(VALU_DEP_1) | instskip(NEXT) | instid1(VALU_DEP_1)
	v_div_scale_f32 v135, null, v134, v134, 1.0
	v_rcp_f32_e32 v150, v135
	v_nop
	s_delay_alu instid0(TRANS32_DEP_1) | instskip(NEXT) | instid1(VALU_DEP_1)
	v_fma_f32 v155, -v135, v150, 1.0
	v_fmac_f32_e32 v150, v155, v150
	v_div_scale_f32 v155, vcc_lo, 1.0, v134, 1.0
	s_delay_alu instid0(VALU_DEP_1) | instskip(NEXT) | instid1(VALU_DEP_1)
	v_mul_f32_e32 v164, v155, v150
	v_fma_f32 v165, -v135, v164, v155
	s_delay_alu instid0(VALU_DEP_1) | instskip(NEXT) | instid1(VALU_DEP_1)
	v_fmac_f32_e32 v164, v165, v150
	v_fma_f32 v135, -v135, v164, v155
	s_delay_alu instid0(VALU_DEP_1) | instskip(NEXT) | instid1(VALU_DEP_1)
	v_div_fmas_f32 v135, v135, v150, v164
	v_div_fixup_f32 v150, v135, v134, 1.0
	s_delay_alu instid0(VALU_DEP_1)
	v_mul_f32_e64 v151, v151, -v150
.LBB109_484:
	s_or_b32 exec_lo, exec_lo, s1
	ds_store_b64 v153, v[150:151]
.LBB109_485:
	s_or_b32 exec_lo, exec_lo, s2
	s_wait_dscnt 0x0
	s_barrier_signal -1
	s_barrier_wait -1
	ds_load_b64 v[150:151], v153
	s_mov_b32 s1, exec_lo
	v_cmpx_lt_u32_e32 53, v152
	s_cbranch_execz .LBB109_487
; %bb.486:
	ds_load_b64 v[134:135], v154 offset:432
	s_wait_dscnt 0x1
	v_pk_mul_f32 v[154:155], v[150:151], v[218:219] op_sel:[1,1] op_sel_hi:[0,1]
	s_delay_alu instid0(VALU_DEP_1) | instskip(SKIP_2) | instid1(VALU_DEP_2)
	v_pk_fma_f32 v[164:165], v[150:151], v[218:219], v[154:155] op_sel_hi:[1,0,1]
	v_pk_fma_f32 v[218:219], v[150:151], v[218:219], v[154:155] op_sel_hi:[1,0,1] neg_lo:[0,0,1] neg_hi:[0,0,1]
	s_wait_dscnt 0x0
	v_pk_mul_f32 v[154:155], v[134:135], v[164:165] op_sel:[1,1] op_sel_hi:[0,1]
	s_delay_alu instid0(VALU_DEP_1) | instskip(SKIP_1) | instid1(VALU_DEP_2)
	v_pk_fma_f32 v[166:167], v[134:135], v[218:219], v[154:155] op_sel_hi:[1,0,1]
	v_pk_fma_f32 v[134:135], v[134:135], v[218:219], v[154:155] neg_lo:[0,0,1] neg_hi:[0,0,1]
	v_dual_mov_b32 v219, v165 :: v_dual_mov_b32 v135, v167
	s_delay_alu instid0(VALU_DEP_1)
	v_pk_add_f32 v[220:221], v[220:221], v[134:135] neg_lo:[0,1] neg_hi:[0,1]
.LBB109_487:
	s_or_b32 exec_lo, exec_lo, s1
	s_delay_alu instid0(SALU_CYCLE_1)
	s_mov_b32 s2, exec_lo
	s_wait_dscnt 0x0
	s_barrier_signal -1
	s_barrier_wait -1
	v_cmpx_eq_u32_e32 54, v152
	s_cbranch_execz .LBB109_494
; %bb.488:
	v_cmp_neq_f32_e32 vcc_lo, 0, v220
	v_cmp_neq_f32_e64 s1, 0, v221
	ds_store_b64 v153, v[220:221]
	s_or_b32 s1, vcc_lo, s1
	s_delay_alu instid0(SALU_CYCLE_1)
	s_and_b32 exec_lo, exec_lo, s1
	s_cbranch_execz .LBB109_494
; %bb.489:
	v_cmp_ngt_f32_e64 s1, |v220|, |v221|
                                        ; implicit-def: $vgpr134_vgpr135
	s_and_saveexec_b32 s4, s1
	s_delay_alu instid0(SALU_CYCLE_1)
	s_xor_b32 s1, exec_lo, s4
	s_cbranch_execz .LBB109_491
; %bb.490:
	v_div_scale_f32 v134, null, v221, v221, v220
	v_div_scale_f32 v155, vcc_lo, v220, v221, v220
	s_delay_alu instid0(VALU_DEP_2) | instskip(SKIP_1) | instid1(TRANS32_DEP_1)
	v_rcp_f32_e32 v135, v134
	v_nop
	v_fma_f32 v154, -v134, v135, 1.0
	s_delay_alu instid0(VALU_DEP_1) | instskip(NEXT) | instid1(VALU_DEP_1)
	v_fmac_f32_e32 v135, v154, v135
	v_mul_f32_e32 v154, v155, v135
	s_delay_alu instid0(VALU_DEP_1) | instskip(NEXT) | instid1(VALU_DEP_1)
	v_fma_f32 v164, -v134, v154, v155
	v_fmac_f32_e32 v154, v164, v135
	s_delay_alu instid0(VALU_DEP_1) | instskip(NEXT) | instid1(VALU_DEP_1)
	v_fma_f32 v134, -v134, v154, v155
	v_div_fmas_f32 v134, v134, v135, v154
	s_delay_alu instid0(VALU_DEP_1) | instskip(NEXT) | instid1(VALU_DEP_1)
	v_div_fixup_f32 v134, v134, v221, v220
	v_fma_f32 v135, v220, v134, v221
	s_delay_alu instid0(VALU_DEP_1) | instskip(SKIP_1) | instid1(VALU_DEP_2)
	v_div_scale_f32 v154, null, v135, v135, 1.0
	v_div_scale_f32 v165, vcc_lo, 1.0, v135, 1.0
	v_rcp_f32_e32 v155, v154
	v_nop
	s_delay_alu instid0(TRANS32_DEP_1) | instskip(NEXT) | instid1(VALU_DEP_1)
	v_fma_f32 v164, -v154, v155, 1.0
	v_fmac_f32_e32 v155, v164, v155
	s_delay_alu instid0(VALU_DEP_1) | instskip(NEXT) | instid1(VALU_DEP_1)
	v_mul_f32_e32 v164, v165, v155
	v_fma_f32 v166, -v154, v164, v165
	s_delay_alu instid0(VALU_DEP_1) | instskip(NEXT) | instid1(VALU_DEP_1)
	v_fmac_f32_e32 v164, v166, v155
	v_fma_f32 v154, -v154, v164, v165
	s_delay_alu instid0(VALU_DEP_1) | instskip(NEXT) | instid1(VALU_DEP_1)
	v_div_fmas_f32 v154, v154, v155, v164
	v_div_fixup_f32 v135, v154, v135, 1.0
	s_delay_alu instid0(VALU_DEP_1)
	v_mul_f32_e32 v134, v134, v135
	v_xor_b32_e32 v135, 0x80000000, v135
.LBB109_491:
	s_and_not1_saveexec_b32 s1, s1
	s_cbranch_execz .LBB109_493
; %bb.492:
	v_div_scale_f32 v134, null, v220, v220, v221
	v_div_scale_f32 v155, vcc_lo, v221, v220, v221
	s_delay_alu instid0(VALU_DEP_2) | instskip(SKIP_1) | instid1(TRANS32_DEP_1)
	v_rcp_f32_e32 v135, v134
	v_nop
	v_fma_f32 v154, -v134, v135, 1.0
	s_delay_alu instid0(VALU_DEP_1) | instskip(NEXT) | instid1(VALU_DEP_1)
	v_fmac_f32_e32 v135, v154, v135
	v_mul_f32_e32 v154, v155, v135
	s_delay_alu instid0(VALU_DEP_1) | instskip(NEXT) | instid1(VALU_DEP_1)
	v_fma_f32 v164, -v134, v154, v155
	v_fmac_f32_e32 v154, v164, v135
	s_delay_alu instid0(VALU_DEP_1) | instskip(NEXT) | instid1(VALU_DEP_1)
	v_fma_f32 v134, -v134, v154, v155
	v_div_fmas_f32 v134, v134, v135, v154
	s_delay_alu instid0(VALU_DEP_1) | instskip(NEXT) | instid1(VALU_DEP_1)
	v_div_fixup_f32 v135, v134, v220, v221
	v_fma_f32 v134, v221, v135, v220
	s_delay_alu instid0(VALU_DEP_1) | instskip(NEXT) | instid1(VALU_DEP_1)
	v_div_scale_f32 v154, null, v134, v134, 1.0
	v_rcp_f32_e32 v155, v154
	v_nop
	s_delay_alu instid0(TRANS32_DEP_1) | instskip(NEXT) | instid1(VALU_DEP_1)
	v_fma_f32 v164, -v154, v155, 1.0
	v_fmac_f32_e32 v155, v164, v155
	v_div_scale_f32 v164, vcc_lo, 1.0, v134, 1.0
	s_delay_alu instid0(VALU_DEP_1) | instskip(NEXT) | instid1(VALU_DEP_1)
	v_mul_f32_e32 v165, v164, v155
	v_fma_f32 v166, -v154, v165, v164
	s_delay_alu instid0(VALU_DEP_1) | instskip(NEXT) | instid1(VALU_DEP_1)
	v_fmac_f32_e32 v165, v166, v155
	v_fma_f32 v154, -v154, v165, v164
	s_delay_alu instid0(VALU_DEP_1) | instskip(NEXT) | instid1(VALU_DEP_1)
	v_div_fmas_f32 v154, v154, v155, v165
	v_div_fixup_f32 v134, v154, v134, 1.0
	s_delay_alu instid0(VALU_DEP_1)
	v_mul_f32_e64 v135, v135, -v134
.LBB109_493:
	s_or_b32 exec_lo, exec_lo, s1
	ds_store_b64 v153, v[134:135]
.LBB109_494:
	s_or_b32 exec_lo, exec_lo, s2
	s_wait_dscnt 0x0
	s_barrier_signal -1
	s_barrier_wait -1
	ds_load_b64 v[134:135], v153
	s_wait_dscnt 0x0
	s_barrier_signal -1
	s_barrier_wait -1
	s_and_saveexec_b32 s2, s0
	s_cbranch_execz .LBB109_497
; %bb.495:
	scratch_load_b64 v[0:1], off, off offset:208 th:TH_LOAD_LU ; 8-byte Folded Reload
	s_wait_loadcnt 0x0
	v_cmp_eq_f32_e32 vcc_lo, 0, v0
	v_cmp_eq_f32_e64 s0, 0, v1
	scratch_load_b64 v[0:1], off, off offset:216 th:TH_LOAD_LU ; 8-byte Folded Reload
	s_and_b32 s1, vcc_lo, s0
	s_delay_alu instid0(SALU_CYCLE_1)
	v_cndmask_b32_e64 v153, 0, 1, s1
	s_wait_loadcnt 0x0
	v_cmp_neq_f32_e32 vcc_lo, 0, v0
	v_cmp_neq_f32_e64 s0, 0, v1
	scratch_load_b64 v[0:1], off, off offset:224 th:TH_LOAD_LU ; 8-byte Folded Reload
	s_or_b32 s0, vcc_lo, s0
	s_delay_alu instid0(SALU_CYCLE_1)
	s_or_b32 vcc_lo, s0, s1
	v_cmp_eq_f32_e64 s1, 0, v135
	v_cndmask_b32_e32 v153, 2, v153, vcc_lo
	s_wait_loadcnt 0x0
	v_cmp_eq_f32_e32 vcc_lo, 0, v0
	v_cmp_eq_f32_e64 s0, 0, v1
	scratch_load_b64 v[0:1], off, off offset:232 th:TH_LOAD_LU ; 8-byte Folded Reload
	s_and_b32 s0, vcc_lo, s0
	v_cmp_eq_u32_e32 vcc_lo, 0, v153
	s_and_b32 s0, s0, vcc_lo
	s_delay_alu instid0(SALU_CYCLE_1)
	v_cndmask_b32_e64 v153, v153, 3, s0
	s_wait_loadcnt 0x0
	v_cmp_eq_f32_e32 vcc_lo, 0, v0
	v_cmp_eq_f32_e64 s0, 0, v1
	scratch_load_b64 v[0:1], off, off offset:240 th:TH_LOAD_LU ; 8-byte Folded Reload
	s_and_b32 s0, vcc_lo, s0
	v_cmp_eq_u32_e32 vcc_lo, 0, v153
	s_and_b32 s0, s0, vcc_lo
	s_delay_alu instid0(SALU_CYCLE_1)
	v_cndmask_b32_e64 v153, v153, 4, s0
	;; [unrolled: 9-line block ×15, first 2 shown]
	s_wait_loadcnt 0x0
	v_cmp_eq_f32_e32 vcc_lo, 0, v0
	v_cmp_eq_f32_e64 s0, 0, v1
	s_and_b32 s0, vcc_lo, s0
	v_cmp_eq_u32_e32 vcc_lo, 0, v153
	s_and_b32 s0, s0, vcc_lo
	v_cmp_eq_f32_e32 vcc_lo, 0, v2
	v_cndmask_b32_e64 v0, v153, 18, s0
	v_cmp_eq_f32_e64 s0, 0, v3
	s_and_b32 s0, vcc_lo, s0
	v_cmp_eq_u32_e32 vcc_lo, 0, v0
	s_and_b32 s0, s0, vcc_lo
	v_cmp_eq_f32_e32 vcc_lo, 0, v4
	v_cndmask_b32_e64 v0, v0, 19, s0
	;; [unrolled: 6-line block ×36, first 2 shown]
	v_cmp_eq_f32_e64 s0, 0, v151
	s_and_b32 s0, vcc_lo, s0
	v_cmp_eq_u32_e32 vcc_lo, 0, v0
	s_and_b32 s0, s0, vcc_lo
	s_delay_alu instid0(SALU_CYCLE_1) | instskip(SKIP_1) | instid1(VALU_DEP_2)
	v_cndmask_b32_e64 v0, v0, 54, s0
	v_cmp_eq_f32_e64 s0, 0, v134
	v_cmp_eq_u32_e32 vcc_lo, 0, v0
	s_and_b32 s0, s0, s1
	s_delay_alu instid0(SALU_CYCLE_1) | instskip(NEXT) | instid1(SALU_CYCLE_1)
	s_and_b32 s0, s0, vcc_lo
	v_cndmask_b32_e64 v2, v0, 55, s0
	v_lshl_add_u64 v[0:1], v[106:107], 2, s[6:7]
	s_delay_alu instid0(VALU_DEP_2) | instskip(SKIP_4) | instid1(SALU_CYCLE_1)
	v_cmp_ne_u32_e64 s0, 0, v2
	global_load_b32 v3, v[0:1], off
	s_wait_loadcnt 0x0
	v_cmp_eq_u32_e32 vcc_lo, 0, v3
	s_and_b32 s0, vcc_lo, s0
	s_and_b32 exec_lo, exec_lo, s0
	s_cbranch_execz .LBB109_497
; %bb.496:
	v_add_nc_u32_e32 v2, s3, v2
	global_store_b32 v[0:1], v2, off
.LBB109_497:
	s_wait_xcnt 0x0
	s_or_b32 exec_lo, exec_lo, s2
	v_pk_mul_f32 v[0:1], v[134:135], v[220:221] op_sel:[1,1] op_sel_hi:[0,1]
	v_cmp_lt_u32_e32 vcc_lo, 54, v152
	s_clause 0x1c
	global_store_b64 v[16:17], v[54:55], off
	global_store_b64 v[222:223], v[56:57], off
	;; [unrolled: 1-line block ×29, first 2 shown]
	v_pk_fma_f32 v[2:3], v[134:135], v[220:221], v[0:1] op_sel_hi:[1,0,1]
	v_pk_fma_f32 v[0:1], v[134:135], v[220:221], v[0:1] neg_lo:[0,0,1] neg_hi:[0,0,1]
	s_delay_alu instid0(VALU_DEP_1)
	v_dual_cndmask_b32 v1, v221, v3 :: v_dual_cndmask_b32 v0, v220, v0
	scratch_load_b64 v[2:3], off, off th:TH_LOAD_LU ; 8-byte Folded Reload
	s_wait_loadcnt 0x0
	global_store_b64 v[2:3], v[126:127], off
	scratch_load_b64 v[2:3], off, off offset:8 th:TH_LOAD_LU ; 8-byte Folded Reload
	s_wait_loadcnt 0x0
	global_store_b64 v[2:3], v[128:129], off
	scratch_load_b64 v[2:3], off, off offset:16 th:TH_LOAD_LU ; 8-byte Folded Reload
	s_wait_loadcnt 0x0
	global_store_b64 v[2:3], v[124:125], off
	scratch_load_b64 v[2:3], off, off offset:24 th:TH_LOAD_LU ; 8-byte Folded Reload
	s_wait_loadcnt 0x0
	global_store_b64 v[2:3], v[146:147], off
	scratch_load_b64 v[2:3], off, off offset:32 th:TH_LOAD_LU ; 8-byte Folded Reload
	s_wait_loadcnt 0x0
	global_store_b64 v[2:3], v[142:143], off
	scratch_load_b64 v[2:3], off, off offset:40 th:TH_LOAD_LU ; 8-byte Folded Reload
	s_wait_loadcnt 0x0
	global_store_b64 v[2:3], v[144:145], off
	scratch_load_b64 v[2:3], off, off offset:48 th:TH_LOAD_LU ; 8-byte Folded Reload
	s_wait_loadcnt 0x0
	global_store_b64 v[2:3], v[140:141], off
	scratch_load_b64 v[2:3], off, off offset:56 th:TH_LOAD_LU ; 8-byte Folded Reload
	s_wait_loadcnt 0x0
	global_store_b64 v[2:3], v[162:163], off
	scratch_load_b64 v[2:3], off, off offset:64 th:TH_LOAD_LU ; 8-byte Folded Reload
	s_wait_loadcnt 0x0
	global_store_b64 v[2:3], v[158:159], off
	scratch_load_b64 v[2:3], off, off offset:72 th:TH_LOAD_LU ; 8-byte Folded Reload
	s_wait_loadcnt 0x0
	global_store_b64 v[2:3], v[160:161], off
	scratch_load_b64 v[2:3], off, off offset:80 th:TH_LOAD_LU ; 8-byte Folded Reload
	s_wait_loadcnt 0x0
	global_store_b64 v[2:3], v[156:157], off
	scratch_load_b64 v[2:3], off, off offset:88 th:TH_LOAD_LU ; 8-byte Folded Reload
	s_wait_loadcnt 0x0
	global_store_b64 v[2:3], v[178:179], off
	scratch_load_b64 v[2:3], off, off offset:96 th:TH_LOAD_LU ; 8-byte Folded Reload
	s_wait_loadcnt 0x0
	global_store_b64 v[2:3], v[174:175], off
	scratch_load_b64 v[2:3], off, off offset:104 th:TH_LOAD_LU ; 8-byte Folded Reload
	s_wait_loadcnt 0x0
	global_store_b64 v[2:3], v[176:177], off
	scratch_load_b64 v[2:3], off, off offset:112 th:TH_LOAD_LU ; 8-byte Folded Reload
	s_wait_loadcnt 0x0
	global_store_b64 v[2:3], v[172:173], off
	scratch_load_b64 v[2:3], off, off offset:120 th:TH_LOAD_LU ; 8-byte Folded Reload
	s_wait_loadcnt 0x0
	global_store_b64 v[2:3], v[196:197], off
	scratch_load_b64 v[2:3], off, off offset:128 th:TH_LOAD_LU ; 8-byte Folded Reload
	s_wait_loadcnt 0x0
	global_store_b64 v[2:3], v[192:193], off
	scratch_load_b64 v[2:3], off, off offset:136 th:TH_LOAD_LU ; 8-byte Folded Reload
	s_wait_loadcnt 0x0
	global_store_b64 v[2:3], v[194:195], off
	scratch_load_b64 v[2:3], off, off offset:144 th:TH_LOAD_LU ; 8-byte Folded Reload
	s_wait_loadcnt 0x0
	global_store_b64 v[2:3], v[190:191], off
	scratch_load_b64 v[2:3], off, off offset:152 th:TH_LOAD_LU ; 8-byte Folded Reload
	s_wait_loadcnt 0x0
	global_store_b64 v[2:3], v[216:217], off
	scratch_load_b64 v[2:3], off, off offset:160 th:TH_LOAD_LU ; 8-byte Folded Reload
	s_wait_loadcnt 0x0
	global_store_b64 v[2:3], v[210:211], off
	scratch_load_b64 v[2:3], off, off offset:176 th:TH_LOAD_LU ; 8-byte Folded Reload
	s_wait_loadcnt 0x0
	global_store_b64 v[2:3], v[214:215], off
	scratch_load_b64 v[2:3], off, off offset:184 th:TH_LOAD_LU ; 8-byte Folded Reload
	s_wait_loadcnt 0x0
	global_store_b64 v[2:3], v[208:209], off
	scratch_load_b64 v[2:3], off, off offset:192 th:TH_LOAD_LU ; 8-byte Folded Reload
	s_wait_loadcnt 0x0
	global_store_b64 v[2:3], v[212:213], off
	scratch_load_b64 v[2:3], off, off offset:200 th:TH_LOAD_LU ; 8-byte Folded Reload
	s_wait_loadcnt 0x0
	global_store_b64 v[2:3], v[218:219], off
	scratch_load_b64 v[2:3], off, off offset:168 th:TH_LOAD_LU ; 8-byte Folded Reload
	s_wait_loadcnt 0x0
	global_store_b64 v[2:3], v[0:1], off
.LBB109_498:
	s_sendmsg sendmsg(MSG_DEALLOC_VGPRS)
	s_endpgm
	.section	.rodata,"a",@progbits
	.p2align	6, 0x0
	.amdhsa_kernel _ZN9rocsolver6v33100L23getf2_npvt_small_kernelILi55E19rocblas_complex_numIfEiiPS3_EEvT1_T3_lS5_lPT2_S5_S5_
		.amdhsa_group_segment_fixed_size 0
		.amdhsa_private_segment_fixed_size 356
		.amdhsa_kernarg_size 312
		.amdhsa_user_sgpr_count 2
		.amdhsa_user_sgpr_dispatch_ptr 0
		.amdhsa_user_sgpr_queue_ptr 0
		.amdhsa_user_sgpr_kernarg_segment_ptr 1
		.amdhsa_user_sgpr_dispatch_id 0
		.amdhsa_user_sgpr_kernarg_preload_length 0
		.amdhsa_user_sgpr_kernarg_preload_offset 0
		.amdhsa_user_sgpr_private_segment_size 0
		.amdhsa_wavefront_size32 1
		.amdhsa_uses_dynamic_stack 0
		.amdhsa_enable_private_segment 1
		.amdhsa_system_sgpr_workgroup_id_x 1
		.amdhsa_system_sgpr_workgroup_id_y 1
		.amdhsa_system_sgpr_workgroup_id_z 0
		.amdhsa_system_sgpr_workgroup_info 0
		.amdhsa_system_vgpr_workitem_id 1
		.amdhsa_next_free_vgpr 256
		.amdhsa_next_free_sgpr 15
		.amdhsa_named_barrier_count 0
		.amdhsa_reserve_vcc 1
		.amdhsa_float_round_mode_32 0
		.amdhsa_float_round_mode_16_64 0
		.amdhsa_float_denorm_mode_32 3
		.amdhsa_float_denorm_mode_16_64 3
		.amdhsa_fp16_overflow 0
		.amdhsa_memory_ordered 1
		.amdhsa_forward_progress 1
		.amdhsa_inst_pref_size 255
		.amdhsa_round_robin_scheduling 0
		.amdhsa_exception_fp_ieee_invalid_op 0
		.amdhsa_exception_fp_denorm_src 0
		.amdhsa_exception_fp_ieee_div_zero 0
		.amdhsa_exception_fp_ieee_overflow 0
		.amdhsa_exception_fp_ieee_underflow 0
		.amdhsa_exception_fp_ieee_inexact 0
		.amdhsa_exception_int_div_zero 0
	.end_amdhsa_kernel
	.section	.text._ZN9rocsolver6v33100L23getf2_npvt_small_kernelILi55E19rocblas_complex_numIfEiiPS3_EEvT1_T3_lS5_lPT2_S5_S5_,"axG",@progbits,_ZN9rocsolver6v33100L23getf2_npvt_small_kernelILi55E19rocblas_complex_numIfEiiPS3_EEvT1_T3_lS5_lPT2_S5_S5_,comdat
.Lfunc_end109:
	.size	_ZN9rocsolver6v33100L23getf2_npvt_small_kernelILi55E19rocblas_complex_numIfEiiPS3_EEvT1_T3_lS5_lPT2_S5_S5_, .Lfunc_end109-_ZN9rocsolver6v33100L23getf2_npvt_small_kernelILi55E19rocblas_complex_numIfEiiPS3_EEvT1_T3_lS5_lPT2_S5_S5_
                                        ; -- End function
	.set _ZN9rocsolver6v33100L23getf2_npvt_small_kernelILi55E19rocblas_complex_numIfEiiPS3_EEvT1_T3_lS5_lPT2_S5_S5_.num_vgpr, 256
	.set _ZN9rocsolver6v33100L23getf2_npvt_small_kernelILi55E19rocblas_complex_numIfEiiPS3_EEvT1_T3_lS5_lPT2_S5_S5_.num_agpr, 0
	.set _ZN9rocsolver6v33100L23getf2_npvt_small_kernelILi55E19rocblas_complex_numIfEiiPS3_EEvT1_T3_lS5_lPT2_S5_S5_.numbered_sgpr, 15
	.set _ZN9rocsolver6v33100L23getf2_npvt_small_kernelILi55E19rocblas_complex_numIfEiiPS3_EEvT1_T3_lS5_lPT2_S5_S5_.num_named_barrier, 0
	.set _ZN9rocsolver6v33100L23getf2_npvt_small_kernelILi55E19rocblas_complex_numIfEiiPS3_EEvT1_T3_lS5_lPT2_S5_S5_.private_seg_size, 356
	.set _ZN9rocsolver6v33100L23getf2_npvt_small_kernelILi55E19rocblas_complex_numIfEiiPS3_EEvT1_T3_lS5_lPT2_S5_S5_.uses_vcc, 1
	.set _ZN9rocsolver6v33100L23getf2_npvt_small_kernelILi55E19rocblas_complex_numIfEiiPS3_EEvT1_T3_lS5_lPT2_S5_S5_.uses_flat_scratch, 1
	.set _ZN9rocsolver6v33100L23getf2_npvt_small_kernelILi55E19rocblas_complex_numIfEiiPS3_EEvT1_T3_lS5_lPT2_S5_S5_.has_dyn_sized_stack, 0
	.set _ZN9rocsolver6v33100L23getf2_npvt_small_kernelILi55E19rocblas_complex_numIfEiiPS3_EEvT1_T3_lS5_lPT2_S5_S5_.has_recursion, 0
	.set _ZN9rocsolver6v33100L23getf2_npvt_small_kernelILi55E19rocblas_complex_numIfEiiPS3_EEvT1_T3_lS5_lPT2_S5_S5_.has_indirect_call, 0
	.section	.AMDGPU.csdata,"",@progbits
; Kernel info:
; codeLenInByte = 125896
; TotalNumSgprs: 17
; NumVgprs: 256
; ScratchSize: 356
; MemoryBound: 0
; FloatMode: 240
; IeeeMode: 1
; LDSByteSize: 0 bytes/workgroup (compile time only)
; SGPRBlocks: 0
; VGPRBlocks: 15
; NumSGPRsForWavesPerEU: 17
; NumVGPRsForWavesPerEU: 256
; NamedBarCnt: 0
; Occupancy: 4
; WaveLimiterHint : 0
; COMPUTE_PGM_RSRC2:SCRATCH_EN: 1
; COMPUTE_PGM_RSRC2:USER_SGPR: 2
; COMPUTE_PGM_RSRC2:TRAP_HANDLER: 0
; COMPUTE_PGM_RSRC2:TGID_X_EN: 1
; COMPUTE_PGM_RSRC2:TGID_Y_EN: 1
; COMPUTE_PGM_RSRC2:TGID_Z_EN: 0
; COMPUTE_PGM_RSRC2:TIDIG_COMP_CNT: 1
	.section	.text._ZN9rocsolver6v33100L18getf2_small_kernelILi56E19rocblas_complex_numIfEiiPS3_EEvT1_T3_lS5_lPS5_llPT2_S5_S5_S7_l,"axG",@progbits,_ZN9rocsolver6v33100L18getf2_small_kernelILi56E19rocblas_complex_numIfEiiPS3_EEvT1_T3_lS5_lPS5_llPT2_S5_S5_S7_l,comdat
	.globl	_ZN9rocsolver6v33100L18getf2_small_kernelILi56E19rocblas_complex_numIfEiiPS3_EEvT1_T3_lS5_lPS5_llPT2_S5_S5_S7_l ; -- Begin function _ZN9rocsolver6v33100L18getf2_small_kernelILi56E19rocblas_complex_numIfEiiPS3_EEvT1_T3_lS5_lPS5_llPT2_S5_S5_S7_l
	.p2align	8
	.type	_ZN9rocsolver6v33100L18getf2_small_kernelILi56E19rocblas_complex_numIfEiiPS3_EEvT1_T3_lS5_lPS5_llPT2_S5_S5_S7_l,@function
_ZN9rocsolver6v33100L18getf2_small_kernelILi56E19rocblas_complex_numIfEiiPS3_EEvT1_T3_lS5_lPS5_llPT2_S5_S5_S7_l: ; @_ZN9rocsolver6v33100L18getf2_small_kernelILi56E19rocblas_complex_numIfEiiPS3_EEvT1_T3_lS5_lPS5_llPT2_S5_S5_S7_l
; %bb.0:
	s_clause 0x1
	s_load_u16 s2, s[0:1], 0x6e
	s_load_b64 s[16:17], s[0:1], 0x48
	s_bfe_u32 s3, ttmp6, 0x40010
	s_bfe_u32 s4, ttmp6, 0x40004
	s_add_co_i32 s3, s3, 1
	s_getreg_b32 s5, hwreg(HW_REG_IB_STS2, 6, 4)
	s_mul_i32 s3, ttmp7, s3
	v_bfe_u32 v120, v0, 10, 10
	s_add_co_i32 s4, s4, s3
	s_cmp_eq_u32 s5, 0
	s_cselect_b32 s3, ttmp7, s4
	s_wait_kmcnt 0x0
	v_mad_u32 v2, s3, s2, v120
	s_mov_b32 s2, exec_lo
	s_delay_alu instid0(VALU_DEP_1)
	v_cmpx_gt_i32_e64 s16, v2
	s_cbranch_execnz .LBB110_1
; %bb.1178:
	s_add_pc_i64 .LBB110_1177-.Lpost_addpc3
.Lpost_addpc3:
.LBB110_1:
	s_load_b128 s[4:7], s[0:1], 0x50
	v_mov_b64_e32 v[4:5], 0
	v_ashrrev_i32_e32 v3, 31, v2
	s_wait_kmcnt 0x0
	s_cmp_eq_u64 s[4:5], 0
	s_cselect_b32 s16, -1, 0
	s_delay_alu instid0(SALU_CYCLE_1)
	s_and_b32 vcc_lo, exec_lo, s16
	s_cbranch_vccnz .LBB110_3
; %bb.2:
	v_mul_u64_e32 v[4:5], s[6:7], v[2:3]
	s_delay_alu instid0(VALU_DEP_1)
	v_lshl_add_u64 v[4:5], v[4:5], 2, s[4:5]
.LBB110_3:
	s_clause 0x2
	s_load_b32 s2, s[0:1], 0x18
	s_load_b128 s[12:15], s[0:1], 0x8
	s_load_b32 s18, s[0:1], 0x0
	v_and_b32_e32 v125, 0x3ff, v0
	s_load_b256 s[4:11], s[0:1], 0x20
	v_mov_b32_e32 v119, 0
	s_wait_kmcnt 0x0
	s_delay_alu instid0(VALU_DEP_2) | instskip(SKIP_2) | instid1(VALU_DEP_2)
	v_add3_u32 v6, s2, s2, v125
	s_ashr_i32 s3, s2, 31
	v_mul_u64_e32 v[0:1], s[4:5], v[2:3]
	v_add_nc_u32_e32 v8, s2, v6
	s_max_i32 s4, s18, 56
	s_cmp_lt_i32 s18, 2
	s_delay_alu instid0(VALU_DEP_1) | instskip(NEXT) | instid1(VALU_DEP_1)
	v_add_nc_u32_e32 v10, s2, v8
	v_add_nc_u32_e32 v12, s2, v10
	s_delay_alu instid0(VALU_DEP_1) | instskip(NEXT) | instid1(VALU_DEP_1)
	v_dual_add_nc_u32 v14, s2, v12 :: v_dual_ashrrev_i32 v7, 31, v6
	v_dual_ashrrev_i32 v9, 31, v8 :: v_dual_add_nc_u32 v16, s2, v14
	s_delay_alu instid0(VALU_DEP_1) | instskip(NEXT) | instid1(VALU_DEP_1)
	v_dual_ashrrev_i32 v15, 31, v14 :: v_dual_add_nc_u32 v18, s2, v16
	v_dual_ashrrev_i32 v13, 31, v12 :: v_dual_add_nc_u32 v20, s2, v18
	v_lshl_add_u64 v[0:1], v[0:1], 3, s[12:13]
	s_delay_alu instid0(VALU_DEP_2) | instskip(NEXT) | instid1(VALU_DEP_2)
	v_add_nc_u32_e32 v22, s2, v20
	v_lshl_add_u64 v[0:1], s[14:15], 3, v[0:1]
	s_delay_alu instid0(VALU_DEP_2) | instskip(NEXT) | instid1(VALU_DEP_2)
	v_add_nc_u32_e32 v24, s2, v22
	v_lshl_add_u64 v[12:13], v[12:13], 3, v[0:1]
	v_lshl_add_u64 v[14:15], v[14:15], 3, v[0:1]
	;; [unrolled: 1-line block ×4, first 2 shown]
	v_dual_add_nc_u32 v26, s2, v24 :: v_dual_ashrrev_i32 v19, 31, v18
	s_delay_alu instid0(VALU_DEP_1) | instskip(NEXT) | instid1(VALU_DEP_2)
	v_dual_ashrrev_i32 v21, 31, v20 :: v_dual_add_nc_u32 v28, s2, v26
	v_lshl_add_u64 v[18:19], v[18:19], 3, v[0:1]
	s_delay_alu instid0(VALU_DEP_2) | instskip(SKIP_1) | instid1(VALU_DEP_4)
	v_lshl_add_u64 v[20:21], v[20:21], 3, v[0:1]
	v_ashrrev_i32_e32 v23, 31, v22
	v_dual_ashrrev_i32 v27, 31, v26 :: v_dual_add_nc_u32 v30, s2, v28
	v_ashrrev_i32_e32 v25, 31, v24
	s_delay_alu instid0(VALU_DEP_2) | instskip(NEXT) | instid1(VALU_DEP_1)
	v_dual_ashrrev_i32 v29, 31, v28 :: v_dual_add_nc_u32 v32, s2, v30
	v_add_nc_u32_e32 v34, s2, v32
	s_delay_alu instid0(VALU_DEP_1) | instskip(NEXT) | instid1(VALU_DEP_1)
	v_add_nc_u32_e32 v42, s2, v34
	v_add_nc_u32_e32 v44, s2, v42
	s_delay_alu instid0(VALU_DEP_1) | instskip(SKIP_1) | instid1(VALU_DEP_2)
	v_dual_add_nc_u32 v46, s2, v44 :: v_dual_lshlrev_b32 v118, 3, v125
	v_dual_ashrrev_i32 v31, 31, v30 :: v_dual_ashrrev_i32 v33, 31, v32
	v_dual_ashrrev_i32 v45, 31, v44 :: v_dual_add_nc_u32 v48, s2, v46
	v_ashrrev_i32_e32 v11, 31, v10
	s_delay_alu instid0(VALU_DEP_4) | instskip(NEXT) | instid1(VALU_DEP_3)
	v_add_nc_u64_e32 v[36:37], v[0:1], v[118:119]
	v_add_nc_u32_e32 v50, s2, v48
	v_ashrrev_i32_e32 v17, 31, v16
	s_delay_alu instid0(VALU_DEP_4) | instskip(NEXT) | instid1(VALU_DEP_3)
	v_lshl_add_u64 v[10:11], v[10:11], 3, v[0:1]
	v_dual_ashrrev_i32 v49, 31, v48 :: v_dual_add_nc_u32 v52, s2, v50
	s_delay_alu instid0(VALU_DEP_3)
	v_lshl_add_u64 v[16:17], v[16:17], 3, v[0:1]
	s_clause 0x3
	global_load_b64 v[106:107], v[10:11], off
	global_load_b64 v[102:103], v[12:13], off
	;; [unrolled: 1-line block ×4, first 2 shown]
	s_wait_xcnt 0x3
	v_lshl_add_u64 v[10:11], s[2:3], 3, v[36:37]
	v_add_nc_u32_e32 v54, s2, v52
	s_clause 0x3
	global_load_b64 v[110:111], v[6:7], off
	global_load_b64 v[108:109], v[8:9], off
	;; [unrolled: 1-line block ×4, first 2 shown]
	s_wait_xcnt 0x6
	v_lshl_add_u64 v[12:13], v[22:23], 3, v[0:1]
	s_wait_xcnt 0x3
	v_lshl_add_u64 v[6:7], v[24:25], 3, v[0:1]
	s_clause 0x3
	global_load_b64 v[100:101], v[18:19], off
	global_load_b64 v[96:97], v[20:21], off
	;; [unrolled: 1-line block ×4, first 2 shown]
	v_add_nc_u32_e32 v56, s2, v54
	s_wait_xcnt 0x4
	v_lshl_add_u64 v[10:11], v[26:27], 3, v[0:1]
	v_lshl_add_u64 v[16:17], v[28:29], 3, v[0:1]
	s_wait_xcnt 0x3
	v_lshl_add_u64 v[18:19], v[30:31], 3, v[0:1]
	s_wait_xcnt 0x2
	v_lshl_add_u64 v[20:21], v[32:33], 3, v[0:1]
	v_add_nc_u32_e32 v58, s2, v56
	s_clause 0x3
	global_load_b64 v[94:95], v[10:11], off
	global_load_b64 v[90:91], v[16:17], off
	;; [unrolled: 1-line block ×4, first 2 shown]
	v_lshl_add_u64 v[24:25], v[44:45], 3, v[0:1]
	v_dual_ashrrev_i32 v51, 31, v50 :: v_dual_ashrrev_i32 v57, 31, v56
	v_dual_add_nc_u32 v14, s2, v58 :: v_dual_ashrrev_i32 v53, 31, v52
	s_delay_alu instid0(VALU_DEP_1) | instskip(NEXT) | instid1(VALU_DEP_1)
	v_add_nc_u32_e32 v8, s2, v14
	v_dual_ashrrev_i32 v59, 31, v58 :: v_dual_ashrrev_i32 v9, 31, v8
	s_wait_xcnt 0x4
	v_add_nc_u32_e32 v6, s2, v8
	s_delay_alu instid0(VALU_DEP_2) | instskip(NEXT) | instid1(VALU_DEP_2)
	v_lshl_add_u64 v[8:9], v[8:9], 3, v[0:1]
	v_add_nc_u32_e32 v12, s2, v6
	s_delay_alu instid0(VALU_DEP_1) | instskip(SKIP_1) | instid1(VALU_DEP_1)
	v_dual_ashrrev_i32 v35, 31, v34 :: v_dual_add_nc_u32 v22, s2, v12
	s_wait_xcnt 0x2
	v_lshl_add_u64 v[16:17], v[34:35], 3, v[0:1]
	v_lshl_add_u64 v[34:35], v[52:53], 3, v[0:1]
	s_delay_alu instid0(VALU_DEP_3) | instskip(SKIP_1) | instid1(VALU_DEP_2)
	v_dual_ashrrev_i32 v13, 31, v12 :: v_dual_add_nc_u32 v10, s2, v22
	v_ashrrev_i32_e32 v23, 31, v22
	v_lshl_add_u64 v[12:13], v[12:13], 3, v[0:1]
	s_wait_xcnt 0x0
	s_delay_alu instid0(VALU_DEP_3) | instskip(NEXT) | instid1(VALU_DEP_1)
	v_add_nc_u32_e32 v20, s2, v10
	v_dual_ashrrev_i32 v43, 31, v42 :: v_dual_add_nc_u32 v28, s2, v20
	v_ashrrev_i32_e32 v47, 31, v46
	s_delay_alu instid0(VALU_DEP_2) | instskip(SKIP_1) | instid1(VALU_DEP_4)
	v_lshl_add_u64 v[18:19], v[42:43], 3, v[0:1]
	v_dual_ashrrev_i32 v21, 31, v20 :: v_dual_ashrrev_i32 v11, 31, v10
	v_ashrrev_i32_e32 v29, 31, v28
	s_delay_alu instid0(VALU_DEP_4)
	v_lshl_add_u64 v[26:27], v[46:47], 3, v[0:1]
	s_clause 0x3
	global_load_b64 v[88:89], v[16:17], off
	global_load_b64 v[84:85], v[18:19], off
	;; [unrolled: 1-line block ×4, first 2 shown]
	s_wait_xcnt 0x0
	v_add_nc_u32_e32 v26, s2, v28
	v_lshl_add_u64 v[16:17], v[48:49], 3, v[0:1]
	v_lshl_add_u64 v[18:19], v[50:51], 3, v[0:1]
	;; [unrolled: 1-line block ×4, first 2 shown]
	v_add_nc_u32_e32 v32, s2, v26
	s_delay_alu instid0(VALU_DEP_1) | instskip(NEXT) | instid1(VALU_DEP_1)
	v_dual_ashrrev_i32 v55, 31, v54 :: v_dual_add_nc_u32 v44, s2, v32
	v_lshl_add_u64 v[42:43], v[54:55], 3, v[0:1]
	s_clause 0x3
	global_load_b64 v[82:83], v[16:17], off
	global_load_b64 v[78:79], v[18:19], off
	global_load_b64 v[80:81], v[34:35], off
	global_load_b64 v[24:25], v[42:43], off
	s_wait_xcnt 0x3
	v_lshl_add_u64 v[16:17], v[56:57], 3, v[0:1]
	s_wait_xcnt 0x1
	v_dual_add_nc_u32 v34, s2, v44 :: v_dual_ashrrev_i32 v27, 31, v26
	v_ashrrev_i32_e32 v45, 31, v44
	s_wait_xcnt 0x0
	s_delay_alu instid0(VALU_DEP_2) | instskip(NEXT) | instid1(VALU_DEP_3)
	v_dual_ashrrev_i32 v33, 31, v32 :: v_dual_add_nc_u32 v42, s2, v34
	v_lshl_add_u64 v[26:27], v[26:27], 3, v[0:1]
	v_ashrrev_i32_e32 v35, 31, v34
	s_delay_alu instid0(VALU_DEP_3) | instskip(SKIP_2) | instid1(VALU_DEP_4)
	v_add_nc_u32_e32 v48, s2, v42
	v_ashrrev_i32_e32 v15, 31, v14
	v_ashrrev_i32_e32 v43, 31, v42
	v_lshl_add_u64 v[34:35], v[34:35], 3, v[0:1]
	s_delay_alu instid0(VALU_DEP_4) | instskip(NEXT) | instid1(VALU_DEP_4)
	v_ashrrev_i32_e32 v49, 31, v48
	v_lshl_add_u64 v[14:15], v[14:15], 3, v[0:1]
	s_clause 0x3
	global_load_b64 v[76:77], v[16:17], off
	global_load_b64 v[72:73], v[46:47], off
	global_load_b64 v[74:75], v[14:15], off
	global_load_b64 v[18:19], v[8:9], off
	s_wait_xcnt 0x0
	v_dual_add_nc_u32 v8, s2, v48 :: v_dual_ashrrev_i32 v7, 31, v6
	v_lshl_add_u64 v[14:15], v[22:23], 3, v[0:1]
	v_lshl_add_u64 v[42:43], v[42:43], 3, v[0:1]
	s_delay_alu instid0(VALU_DEP_3) | instskip(NEXT) | instid1(VALU_DEP_4)
	v_add_nc_u32_e32 v46, s2, v8
	v_lshl_add_u64 v[6:7], v[6:7], 3, v[0:1]
	s_clause 0x3
	global_load_b64 v[70:71], v[6:7], off
	global_load_b64 v[66:67], v[12:13], off
	;; [unrolled: 1-line block ×4, first 2 shown]
	v_add_nc_u32_e32 v22, s2, v46
	s_wait_xcnt 0x0
	v_lshl_add_u64 v[10:11], v[20:21], 3, v[0:1]
	v_lshl_add_u64 v[12:13], v[28:29], 3, v[0:1]
	;; [unrolled: 1-line block ×3, first 2 shown]
	s_clause 0x3
	global_load_b64 v[64:65], v[10:11], off
	global_load_b64 v[60:61], v[12:13], off
	;; [unrolled: 1-line block ×4, first 2 shown]
	v_add_nc_u32_e32 v6, s2, v22
	s_wait_xcnt 0x3
	v_lshl_add_u64 v[10:11], v[44:45], 3, v[0:1]
	v_lshl_add_u64 v[44:45], v[48:49], 3, v[0:1]
	s_clause 0x3
	global_load_b64 v[58:59], v[10:11], off
	global_load_b64 v[54:55], v[34:35], off
	global_load_b64 v[56:57], v[42:43], off
	global_load_b64 v[12:13], v[44:45], off
	v_dual_add_nc_u32 v20, s2, v6 :: v_dual_ashrrev_i32 v9, 31, v8
	v_ashrrev_i32_e32 v47, 31, v46
	s_delay_alu instid0(VALU_DEP_2) | instskip(NEXT) | instid1(VALU_DEP_3)
	v_dual_ashrrev_i32 v23, 31, v22 :: v_dual_add_nc_u32 v32, s2, v20
	v_lshl_add_u64 v[8:9], v[8:9], 3, v[0:1]
	s_wait_xcnt 0x1
	s_delay_alu instid0(VALU_DEP_3) | instskip(NEXT) | instid1(VALU_DEP_3)
	v_lshl_add_u64 v[42:43], v[46:47], 3, v[0:1]
	v_lshl_add_u64 v[22:23], v[22:23], 3, v[0:1]
	v_dual_add_nc_u32 v26, s2, v32 :: v_dual_ashrrev_i32 v7, 31, v6
	v_ashrrev_i32_e32 v21, 31, v20
	s_delay_alu instid0(VALU_DEP_2) | instskip(NEXT) | instid1(VALU_DEP_3)
	v_dual_ashrrev_i32 v33, 31, v32 :: v_dual_add_nc_u32 v28, s2, v26
	v_lshl_add_u64 v[6:7], v[6:7], 3, v[0:1]
	s_delay_alu instid0(VALU_DEP_3)
	v_lshl_add_u64 v[20:21], v[20:21], 3, v[0:1]
	s_clause 0x3
	global_load_b64 v[52:53], v[8:9], off
	global_load_b64 v[48:49], v[42:43], off
	;; [unrolled: 1-line block ×4, first 2 shown]
	s_wait_xcnt 0x1
	v_lshl_add_u64 v[22:23], v[32:33], 3, v[0:1]
	v_dual_add_nc_u32 v116, s2, v28 :: v_dual_ashrrev_i32 v29, 31, v28
	s_delay_alu instid0(VALU_DEP_1) | instskip(NEXT) | instid1(VALU_DEP_2)
	v_dual_add_nc_u32 v34, s2, v116 :: v_dual_ashrrev_i32 v117, 31, v116
	v_lshl_add_u64 v[28:29], v[28:29], 3, v[0:1]
	s_delay_alu instid0(VALU_DEP_2) | instskip(NEXT) | instid1(VALU_DEP_1)
	v_add_nc_u32_e32 v122, s2, v34
	v_add_nc_u32_e32 v126, s2, v122
	s_delay_alu instid0(VALU_DEP_1) | instskip(SKIP_1) | instid1(VALU_DEP_2)
	v_add_nc_u32_e32 v8, s2, v126
	v_ashrrev_i32_e32 v27, 31, v26
	v_dual_ashrrev_i32 v127, 31, v126 :: v_dual_ashrrev_i32 v9, 31, v8
	v_dual_add_nc_u32 v32, s2, v8 :: v_dual_ashrrev_i32 v35, 31, v34
	s_delay_alu instid0(VALU_DEP_3)
	v_lshl_add_u64 v[26:27], v[26:27], 3, v[0:1]
	s_clause 0x3
	global_load_b64 v[46:47], v[20:21], off
	global_load_b64 v[42:43], v[22:23], off
	;; [unrolled: 1-line block ×4, first 2 shown]
	v_dual_add_nc_u32 v128, s2, v32 :: v_dual_ashrrev_i32 v123, 31, v122
	s_wait_xcnt 0x3
	v_lshl_add_u64 v[20:21], v[116:117], 3, v[0:1]
	v_ashrrev_i32_e32 v33, 31, v32
	s_wait_xcnt 0x2
	v_lshl_add_u64 v[22:23], v[34:35], 3, v[0:1]
	s_wait_xcnt 0x0
	v_dual_add_nc_u32 v28, s2, v128 :: v_dual_ashrrev_i32 v129, 31, v128
	v_lshl_add_u64 v[26:27], v[122:123], 3, v[0:1]
	v_lshl_add_u64 v[116:117], v[126:127], 3, v[0:1]
	;; [unrolled: 1-line block ×3, first 2 shown]
	s_delay_alu instid0(VALU_DEP_4) | instskip(SKIP_2) | instid1(VALU_DEP_3)
	v_ashrrev_i32_e32 v29, 31, v28
	v_lshl_add_u64 v[126:127], v[32:33], 3, v[0:1]
	v_lshl_add_u64 v[128:129], v[128:129], 3, v[0:1]
	v_lshl_add_u64 v[130:131], v[28:29], 3, v[0:1]
	s_clause 0x7
	global_load_b64 v[34:35], v[20:21], off
	global_load_b64 v[28:29], v[22:23], off
	;; [unrolled: 1-line block ×3, first 2 shown]
	; meta instruction
	; meta instruction
	;; [unrolled: 1-line block ×3, first 2 shown]
	global_load_b64 v[8:9], v[116:117], off
	global_load_b64 v[26:27], v[122:123], off
	;; [unrolled: 1-line block ×3, first 2 shown]
	; meta instruction
	; meta instruction
	;; [unrolled: 1-line block ×3, first 2 shown]
	global_load_b64 v[20:21], v[128:129], off
	global_load_b64 v[116:117], v[130:131], off
	s_wait_xcnt 0x3
	v_mul_lo_u32 v123, s4, v120
	s_load_b64 s[4:5], s[0:1], 0x40
	s_delay_alu instid0(VALU_DEP_1) | instskip(NEXT) | instid1(VALU_DEP_1)
	v_lshl_add_u32 v122, v123, 3, 0
	v_dual_lshlrev_b32 v123, 3, v123 :: v_dual_add_nc_u32 v118, v122, v118
	s_wait_loadcnt 0x31
	ds_store_b64 v118, v[114:115]
	s_wait_loadcnt_dscnt 0x0
	s_barrier_signal -1
	s_barrier_wait -1
	ds_load_b64 v[120:121], v122
	s_cbranch_scc1 .LBB110_6
; %bb.4:
	v_add3_u32 v118, v123, 0, 8
	v_mov_b32_e32 v119, 0
	s_wait_xcnt 0x0
	s_mov_b32 s1, 1
.LBB110_5:                              ; =>This Inner Loop Header: Depth=1
	ds_load_b64 v[126:127], v118
	s_wait_dscnt 0x1
	v_cmp_gt_f32_e32 vcc_lo, 0, v120
	v_cmp_gt_f32_e64 s0, 0, v121
	s_delay_alu instid0(VALU_DEP_1) | instskip(SKIP_3) | instid1(VALU_DEP_1)
	v_dual_cndmask_b32 v128, v120, -v120, vcc_lo :: v_dual_cndmask_b32 v130, v121, -v121, s0
	s_wait_dscnt 0x0
	v_cmp_gt_f32_e32 vcc_lo, 0, v126
	v_cmp_gt_f32_e64 s0, 0, v127
	v_dual_cndmask_b32 v129, v126, -v126, vcc_lo :: v_dual_cndmask_b32 v131, v127, -v127, s0
	s_delay_alu instid0(VALU_DEP_1) | instskip(NEXT) | instid1(VALU_DEP_1)
	v_pk_add_f32 v[128:129], v[128:129], v[130:131]
	v_cmp_lt_f32_e32 vcc_lo, v128, v129
	v_dual_cndmask_b32 v121, v121, v127 :: v_dual_add_nc_u32 v118, 8, v118
	v_cndmask_b32_e32 v120, v120, v126, vcc_lo
	v_cndmask_b32_e64 v119, v119, s1, vcc_lo
	s_add_co_i32 s1, s1, 1
	s_delay_alu instid0(SALU_CYCLE_1)
	s_cmp_eq_u32 s18, s1
	s_cbranch_scc0 .LBB110_5
.LBB110_6:
	s_wait_dscnt 0x0
	v_cmp_neq_f32_e32 vcc_lo, 0, v120
	s_wait_xcnt 0x0
	v_cmp_neq_f32_e64 s0, 0, v121
	v_dual_mov_b32 v124, 1 :: v_dual_mov_b32 v127, 1
	s_or_b32 s1, vcc_lo, s0
	s_delay_alu instid0(SALU_CYCLE_1)
	s_and_saveexec_b32 s0, s1
	s_cbranch_execz .LBB110_12
; %bb.7:
	v_cmp_ngt_f32_e64 s1, |v120|, |v121|
	s_and_saveexec_b32 s12, s1
	s_delay_alu instid0(SALU_CYCLE_1)
	s_xor_b32 s1, exec_lo, s12
	s_cbranch_execz .LBB110_9
; %bb.8:
	v_div_scale_f32 v118, null, v121, v121, v120
	v_div_scale_f32 v127, vcc_lo, v120, v121, v120
	s_delay_alu instid0(VALU_DEP_2) | instskip(SKIP_1) | instid1(TRANS32_DEP_1)
	v_rcp_f32_e32 v124, v118
	v_nop
	v_fma_f32 v126, -v118, v124, 1.0
	s_delay_alu instid0(VALU_DEP_1) | instskip(NEXT) | instid1(VALU_DEP_1)
	v_fmac_f32_e32 v124, v126, v124
	v_mul_f32_e32 v126, v127, v124
	s_delay_alu instid0(VALU_DEP_1) | instskip(NEXT) | instid1(VALU_DEP_1)
	v_fma_f32 v128, -v118, v126, v127
	v_fmac_f32_e32 v126, v128, v124
	s_delay_alu instid0(VALU_DEP_1) | instskip(NEXT) | instid1(VALU_DEP_1)
	v_fma_f32 v118, -v118, v126, v127
	v_div_fmas_f32 v118, v118, v124, v126
	s_delay_alu instid0(VALU_DEP_1) | instskip(NEXT) | instid1(VALU_DEP_1)
	v_div_fixup_f32 v118, v118, v121, v120
	v_fmac_f32_e32 v121, v120, v118
	s_delay_alu instid0(VALU_DEP_1) | instskip(SKIP_1) | instid1(VALU_DEP_2)
	v_div_scale_f32 v120, null, v121, v121, 1.0
	v_div_scale_f32 v127, vcc_lo, 1.0, v121, 1.0
	v_rcp_f32_e32 v124, v120
	v_nop
	s_delay_alu instid0(TRANS32_DEP_1) | instskip(NEXT) | instid1(VALU_DEP_1)
	v_fma_f32 v126, -v120, v124, 1.0
	v_fmac_f32_e32 v124, v126, v124
	s_delay_alu instid0(VALU_DEP_1) | instskip(NEXT) | instid1(VALU_DEP_1)
	v_mul_f32_e32 v126, v127, v124
	v_fma_f32 v128, -v120, v126, v127
	s_delay_alu instid0(VALU_DEP_1) | instskip(NEXT) | instid1(VALU_DEP_1)
	v_fmac_f32_e32 v126, v128, v124
	v_fma_f32 v120, -v120, v126, v127
	s_delay_alu instid0(VALU_DEP_1) | instskip(NEXT) | instid1(VALU_DEP_1)
	v_div_fmas_f32 v120, v120, v124, v126
	v_div_fixup_f32 v121, v120, v121, 1.0
	s_delay_alu instid0(VALU_DEP_1)
	v_mul_f32_e32 v120, v118, v121
	v_xor_b32_e32 v121, 0x80000000, v121
.LBB110_9:
	s_and_not1_saveexec_b32 s1, s1
	s_cbranch_execz .LBB110_11
; %bb.10:
	s_delay_alu instid0(VALU_DEP_1) | instskip(SKIP_1) | instid1(VALU_DEP_2)
	v_div_scale_f32 v118, null, v120, v120, v121
	v_div_scale_f32 v127, vcc_lo, v121, v120, v121
	v_rcp_f32_e32 v124, v118
	v_nop
	s_delay_alu instid0(TRANS32_DEP_1) | instskip(NEXT) | instid1(VALU_DEP_1)
	v_fma_f32 v126, -v118, v124, 1.0
	v_fmac_f32_e32 v124, v126, v124
	s_delay_alu instid0(VALU_DEP_1) | instskip(NEXT) | instid1(VALU_DEP_1)
	v_mul_f32_e32 v126, v127, v124
	v_fma_f32 v128, -v118, v126, v127
	s_delay_alu instid0(VALU_DEP_1) | instskip(NEXT) | instid1(VALU_DEP_1)
	v_fmac_f32_e32 v126, v128, v124
	v_fma_f32 v118, -v118, v126, v127
	s_delay_alu instid0(VALU_DEP_1) | instskip(NEXT) | instid1(VALU_DEP_1)
	v_div_fmas_f32 v118, v118, v124, v126
	v_div_fixup_f32 v118, v118, v120, v121
	s_delay_alu instid0(VALU_DEP_1) | instskip(NEXT) | instid1(VALU_DEP_1)
	v_fmac_f32_e32 v120, v121, v118
	v_div_scale_f32 v121, null, v120, v120, 1.0
	s_delay_alu instid0(VALU_DEP_1) | instskip(SKIP_1) | instid1(TRANS32_DEP_1)
	v_rcp_f32_e32 v124, v121
	v_nop
	v_fma_f32 v126, -v121, v124, 1.0
	s_delay_alu instid0(VALU_DEP_1) | instskip(SKIP_1) | instid1(VALU_DEP_1)
	v_fmac_f32_e32 v124, v126, v124
	v_div_scale_f32 v126, vcc_lo, 1.0, v120, 1.0
	v_mul_f32_e32 v127, v126, v124
	s_delay_alu instid0(VALU_DEP_1) | instskip(NEXT) | instid1(VALU_DEP_1)
	v_fma_f32 v128, -v121, v127, v126
	v_fmac_f32_e32 v127, v128, v124
	s_delay_alu instid0(VALU_DEP_1) | instskip(NEXT) | instid1(VALU_DEP_1)
	v_fma_f32 v121, -v121, v127, v126
	v_div_fmas_f32 v121, v121, v124, v127
	s_delay_alu instid0(VALU_DEP_1) | instskip(NEXT) | instid1(VALU_DEP_1)
	v_div_fixup_f32 v120, v121, v120, 1.0
	v_mul_f32_e64 v121, v118, -v120
.LBB110_11:
	s_or_b32 exec_lo, exec_lo, s1
	v_dual_mov_b32 v127, 0 :: v_dual_mov_b32 v124, 2
.LBB110_12:
	s_or_b32 exec_lo, exec_lo, s0
	s_delay_alu instid0(SALU_CYCLE_1)
	s_mov_b32 s0, exec_lo
	v_cmpx_ne_u32_e64 v125, v119
	s_xor_b32 s0, exec_lo, s0
	s_cbranch_execz .LBB110_18
; %bb.13:
	s_mov_b32 s1, exec_lo
	v_cmpx_eq_u32_e32 0, v125
	s_cbranch_execz .LBB110_17
; %bb.14:
	v_cmp_ne_u32_e32 vcc_lo, 0, v119
	s_xor_b32 s12, s16, -1
	s_delay_alu instid0(SALU_CYCLE_1) | instskip(NEXT) | instid1(SALU_CYCLE_1)
	s_and_b32 s13, s12, vcc_lo
	s_and_saveexec_b32 s12, s13
	s_cbranch_execz .LBB110_16
; %bb.15:
	v_dual_mov_b32 v128, v119 :: v_dual_ashrrev_i32 v129, 31, v119
	s_delay_alu instid0(VALU_DEP_1)
	v_lshl_add_u64 v[128:129], v[128:129], 2, v[4:5]
	s_clause 0x1
	global_load_b32 v118, v[128:129], off
	global_load_b32 v125, v[4:5], off
	s_wait_loadcnt 0x1
	global_store_b32 v[4:5], v118, off
	s_wait_loadcnt 0x0
	global_store_b32 v[128:129], v125, off
.LBB110_16:
	s_wait_xcnt 0x0
	s_or_b32 exec_lo, exec_lo, s12
	v_mov_b32_e32 v125, v119
.LBB110_17:
	s_or_b32 exec_lo, exec_lo, s1
.LBB110_18:
	s_or_saveexec_b32 s0, s0
	s_delay_alu instid0(VALU_DEP_1)
	v_mov_b32_e32 v126, v125
	s_xor_b32 exec_lo, exec_lo, s0
	s_cbranch_execz .LBB110_20
; %bb.19:
	v_mov_b32_e32 v126, 0
	ds_store_2addr_b64 v122, v[112:113], v[110:111] offset0:1 offset1:2
	ds_store_2addr_b64 v122, v[108:109], v[106:107] offset0:3 offset1:4
	;; [unrolled: 1-line block ×27, first 2 shown]
	ds_store_b64 v122, v[116:117] offset:440
.LBB110_20:
	s_or_b32 exec_lo, exec_lo, s0
	s_delay_alu instid0(SALU_CYCLE_1)
	s_mov_b32 s0, exec_lo
	s_wait_storecnt_dscnt 0x0
	s_barrier_signal -1
	s_barrier_wait -1
	v_cmpx_lt_i32_e32 0, v126
	s_cbranch_execz .LBB110_22
; %bb.21:
	v_pk_mul_f32 v[128:129], v[120:121], v[114:115] op_sel:[1,1] op_sel_hi:[0,1]
	s_delay_alu instid0(VALU_DEP_1)
	v_pk_fma_f32 v[118:119], v[120:121], v[114:115], v[128:129] op_sel_hi:[1,0,1] neg_lo:[0,0,1] neg_hi:[0,0,1]
	v_pk_fma_f32 v[120:121], v[120:121], v[114:115], v[128:129] op_sel_hi:[1,0,1]
	ds_load_2addr_b64 v[128:131], v122 offset0:1 offset1:2
	v_dual_mov_b32 v114, v118 :: v_dual_mov_b32 v115, v121
	s_wait_dscnt 0x0
	v_pk_mul_f32 v[132:133], v[128:129], v[120:121] op_sel:[0,1]
	s_delay_alu instid0(VALU_DEP_1) | instskip(SKIP_1) | instid1(VALU_DEP_1)
	v_pk_fma_f32 v[134:135], v[128:129], v[118:119], v[132:133] op_sel:[0,0,1] op_sel_hi:[1,1,0] neg_lo:[0,0,1] neg_hi:[0,0,1]
	v_pk_fma_f32 v[128:129], v[128:129], v[118:119], v[132:133] op_sel:[0,0,1] op_sel_hi:[1,0,0]
	v_mov_b32_e32 v135, v129
	v_pk_mul_f32 v[128:129], v[130:131], v[120:121] op_sel:[0,1]
	s_delay_alu instid0(VALU_DEP_1) | instskip(SKIP_1) | instid1(VALU_DEP_1)
	v_pk_fma_f32 v[132:133], v[130:131], v[118:119], v[128:129] op_sel:[0,0,1] op_sel_hi:[1,1,0] neg_lo:[0,0,1] neg_hi:[0,0,1]
	v_pk_fma_f32 v[128:129], v[130:131], v[118:119], v[128:129] op_sel:[0,0,1] op_sel_hi:[1,0,0]
	v_mov_b32_e32 v133, v129
	ds_load_2addr_b64 v[128:131], v122 offset0:3 offset1:4
	v_pk_add_f32 v[112:113], v[112:113], v[134:135] neg_lo:[0,1] neg_hi:[0,1]
	v_pk_add_f32 v[110:111], v[110:111], v[132:133] neg_lo:[0,1] neg_hi:[0,1]
	s_wait_dscnt 0x0
	v_pk_mul_f32 v[132:133], v[128:129], v[120:121] op_sel:[0,1]
	s_delay_alu instid0(VALU_DEP_1) | instskip(SKIP_2) | instid1(VALU_DEP_2)
	v_pk_fma_f32 v[134:135], v[128:129], v[118:119], v[132:133] op_sel:[0,0,1] op_sel_hi:[1,1,0] neg_lo:[0,0,1] neg_hi:[0,0,1]
	v_pk_fma_f32 v[128:129], v[128:129], v[118:119], v[132:133] op_sel:[0,0,1] op_sel_hi:[1,0,0]
	v_dual_mul_f32 v132, v131, v121 :: v_dual_mov_b32 v128, v131
	v_dual_mov_b32 v135, v129 :: v_dual_mov_b32 v129, v130
	s_delay_alu instid0(VALU_DEP_2) | instskip(SKIP_1) | instid1(VALU_DEP_3)
	v_pk_fma_f32 v[132:133], v[130:131], v[114:115], v[132:133] op_sel_hi:[1,1,0] neg_lo:[0,0,1] neg_hi:[0,0,1]
	v_mul_f32_e32 v130, v131, v118
	v_pk_add_f32 v[108:109], v[108:109], v[134:135] neg_lo:[0,1] neg_hi:[0,1]
	s_delay_alu instid0(VALU_DEP_2) | instskip(NEXT) | instid1(VALU_DEP_1)
	v_pk_fma_f32 v[128:129], v[128:129], v[114:115], v[130:131] op_sel_hi:[1,1,0]
	v_mov_b32_e32 v133, v129
	ds_load_2addr_b64 v[128:131], v122 offset0:5 offset1:6
	v_pk_add_f32 v[106:107], v[106:107], v[132:133] neg_lo:[0,1] neg_hi:[0,1]
	s_wait_dscnt 0x0
	v_pk_mul_f32 v[132:133], v[128:129], v[120:121] op_sel:[0,1]
	s_delay_alu instid0(VALU_DEP_1) | instskip(SKIP_1) | instid1(VALU_DEP_1)
	v_pk_fma_f32 v[134:135], v[128:129], v[118:119], v[132:133] op_sel:[0,0,1] op_sel_hi:[1,1,0] neg_lo:[0,0,1] neg_hi:[0,0,1]
	v_pk_fma_f32 v[128:129], v[128:129], v[118:119], v[132:133] op_sel:[0,0,1] op_sel_hi:[1,0,0]
	v_mov_b32_e32 v135, v129
	v_pk_mul_f32 v[128:129], v[130:131], v[120:121] op_sel:[0,1]
	s_delay_alu instid0(VALU_DEP_1) | instskip(SKIP_1) | instid1(VALU_DEP_1)
	v_pk_fma_f32 v[132:133], v[130:131], v[118:119], v[128:129] op_sel:[0,0,1] op_sel_hi:[1,1,0] neg_lo:[0,0,1] neg_hi:[0,0,1]
	v_pk_fma_f32 v[128:129], v[130:131], v[118:119], v[128:129] op_sel:[0,0,1] op_sel_hi:[1,0,0]
	v_mov_b32_e32 v133, v129
	ds_load_2addr_b64 v[128:131], v122 offset0:7 offset1:8
	v_pk_add_f32 v[102:103], v[102:103], v[134:135] neg_lo:[0,1] neg_hi:[0,1]
	v_pk_add_f32 v[104:105], v[104:105], v[132:133] neg_lo:[0,1] neg_hi:[0,1]
	s_wait_dscnt 0x0
	v_pk_mul_f32 v[132:133], v[128:129], v[120:121] op_sel:[0,1]
	s_delay_alu instid0(VALU_DEP_1) | instskip(SKIP_1) | instid1(VALU_DEP_1)
	v_pk_fma_f32 v[134:135], v[128:129], v[118:119], v[132:133] op_sel:[0,0,1] op_sel_hi:[1,1,0] neg_lo:[0,0,1] neg_hi:[0,0,1]
	v_pk_fma_f32 v[128:129], v[128:129], v[118:119], v[132:133] op_sel:[0,0,1] op_sel_hi:[1,0,0]
	v_mov_b32_e32 v135, v129
	v_pk_mul_f32 v[128:129], v[130:131], v[120:121] op_sel:[0,1]
	s_delay_alu instid0(VALU_DEP_1) | instskip(SKIP_1) | instid1(VALU_DEP_1)
	v_pk_fma_f32 v[132:133], v[130:131], v[118:119], v[128:129] op_sel:[0,0,1] op_sel_hi:[1,1,0] neg_lo:[0,0,1] neg_hi:[0,0,1]
	v_pk_fma_f32 v[128:129], v[130:131], v[118:119], v[128:129] op_sel:[0,0,1] op_sel_hi:[1,0,0]
	v_mov_b32_e32 v133, v129
	ds_load_2addr_b64 v[128:131], v122 offset0:9 offset1:10
	v_pk_add_f32 v[40:41], v[40:41], v[134:135] neg_lo:[0,1] neg_hi:[0,1]
	v_pk_add_f32 v[100:101], v[100:101], v[132:133] neg_lo:[0,1] neg_hi:[0,1]
	s_wait_dscnt 0x0
	v_dual_mul_f32 v132, v129, v121 :: v_dual_mul_f32 v134, v129, v118
	s_delay_alu instid0(VALU_DEP_1) | instskip(NEXT) | instid1(VALU_DEP_2)
	v_pk_fma_f32 v[132:133], v[128:129], v[114:115], v[132:133] op_sel_hi:[1,1,0] neg_lo:[0,0,1] neg_hi:[0,0,1]
	v_pk_fma_f32 v[128:129], v[128:129], v[114:115], v[134:135] op_sel:[1,0,0] op_sel_hi:[0,1,0]
	s_delay_alu instid0(VALU_DEP_1) | instskip(SKIP_1) | instid1(VALU_DEP_2)
	v_mov_b32_e32 v133, v129
	v_pk_mul_f32 v[128:129], v[130:131], v[120:121] op_sel:[0,1]
	v_pk_add_f32 v[96:97], v[96:97], v[132:133] neg_lo:[0,1] neg_hi:[0,1]
	s_delay_alu instid0(VALU_DEP_2) | instskip(SKIP_1) | instid1(VALU_DEP_1)
	v_pk_fma_f32 v[132:133], v[130:131], v[118:119], v[128:129] op_sel:[0,0,1] op_sel_hi:[1,1,0] neg_lo:[0,0,1] neg_hi:[0,0,1]
	v_pk_fma_f32 v[128:129], v[130:131], v[118:119], v[128:129] op_sel:[0,0,1] op_sel_hi:[1,0,0]
	v_mov_b32_e32 v133, v129
	ds_load_2addr_b64 v[128:131], v122 offset0:11 offset1:12
	v_pk_add_f32 v[98:99], v[98:99], v[132:133] neg_lo:[0,1] neg_hi:[0,1]
	s_wait_dscnt 0x0
	v_pk_mul_f32 v[132:133], v[128:129], v[120:121] op_sel:[0,1]
	s_delay_alu instid0(VALU_DEP_1) | instskip(SKIP_1) | instid1(VALU_DEP_1)
	v_pk_fma_f32 v[134:135], v[128:129], v[118:119], v[132:133] op_sel:[0,0,1] op_sel_hi:[1,1,0] neg_lo:[0,0,1] neg_hi:[0,0,1]
	v_pk_fma_f32 v[128:129], v[128:129], v[118:119], v[132:133] op_sel:[0,0,1] op_sel_hi:[1,0,0]
	v_mov_b32_e32 v135, v129
	v_pk_mul_f32 v[128:129], v[130:131], v[120:121] op_sel:[0,1]
	s_delay_alu instid0(VALU_DEP_2) | instskip(NEXT) | instid1(VALU_DEP_2)
	v_pk_add_f32 v[38:39], v[38:39], v[134:135] neg_lo:[0,1] neg_hi:[0,1]
	v_pk_fma_f32 v[132:133], v[130:131], v[118:119], v[128:129] op_sel:[0,0,1] op_sel_hi:[1,1,0] neg_lo:[0,0,1] neg_hi:[0,0,1]
	v_pk_fma_f32 v[128:129], v[130:131], v[118:119], v[128:129] op_sel:[0,0,1] op_sel_hi:[1,0,0]
	s_delay_alu instid0(VALU_DEP_1) | instskip(SKIP_4) | instid1(VALU_DEP_1)
	v_mov_b32_e32 v133, v129
	ds_load_2addr_b64 v[128:131], v122 offset0:13 offset1:14
	v_pk_add_f32 v[94:95], v[94:95], v[132:133] neg_lo:[0,1] neg_hi:[0,1]
	s_wait_dscnt 0x0
	v_pk_mul_f32 v[132:133], v[128:129], v[120:121] op_sel:[0,1]
	v_pk_fma_f32 v[134:135], v[128:129], v[118:119], v[132:133] op_sel:[0,0,1] op_sel_hi:[1,1,0] neg_lo:[0,0,1] neg_hi:[0,0,1]
	v_pk_fma_f32 v[128:129], v[128:129], v[118:119], v[132:133] op_sel:[0,0,1] op_sel_hi:[1,0,0]
	v_dual_mul_f32 v132, v131, v121 :: v_dual_mov_b32 v128, v131
	s_delay_alu instid0(VALU_DEP_2) | instskip(NEXT) | instid1(VALU_DEP_2)
	v_dual_mov_b32 v135, v129 :: v_dual_mov_b32 v129, v130
	v_pk_fma_f32 v[132:133], v[130:131], v[114:115], v[132:133] op_sel_hi:[1,1,0] neg_lo:[0,0,1] neg_hi:[0,0,1]
	v_mul_f32_e32 v130, v131, v118
	s_delay_alu instid0(VALU_DEP_3) | instskip(NEXT) | instid1(VALU_DEP_2)
	v_pk_add_f32 v[90:91], v[90:91], v[134:135] neg_lo:[0,1] neg_hi:[0,1]
	v_pk_fma_f32 v[128:129], v[128:129], v[114:115], v[130:131] op_sel_hi:[1,1,0]
	s_delay_alu instid0(VALU_DEP_1) | instskip(SKIP_4) | instid1(VALU_DEP_1)
	v_mov_b32_e32 v133, v129
	ds_load_2addr_b64 v[128:131], v122 offset0:15 offset1:16
	v_pk_add_f32 v[92:93], v[92:93], v[132:133] neg_lo:[0,1] neg_hi:[0,1]
	s_wait_dscnt 0x0
	v_pk_mul_f32 v[132:133], v[128:129], v[120:121] op_sel:[0,1]
	v_pk_fma_f32 v[134:135], v[128:129], v[118:119], v[132:133] op_sel:[0,0,1] op_sel_hi:[1,1,0] neg_lo:[0,0,1] neg_hi:[0,0,1]
	v_pk_fma_f32 v[128:129], v[128:129], v[118:119], v[132:133] op_sel:[0,0,1] op_sel_hi:[1,0,0]
	s_delay_alu instid0(VALU_DEP_1) | instskip(SKIP_1) | instid1(VALU_DEP_1)
	v_mov_b32_e32 v135, v129
	v_pk_mul_f32 v[128:129], v[130:131], v[120:121] op_sel:[0,1]
	v_pk_fma_f32 v[132:133], v[130:131], v[118:119], v[128:129] op_sel:[0,0,1] op_sel_hi:[1,1,0] neg_lo:[0,0,1] neg_hi:[0,0,1]
	v_pk_fma_f32 v[128:129], v[130:131], v[118:119], v[128:129] op_sel:[0,0,1] op_sel_hi:[1,0,0]
	s_delay_alu instid0(VALU_DEP_1)
	v_mov_b32_e32 v133, v129
	ds_load_2addr_b64 v[128:131], v122 offset0:17 offset1:18
	v_pk_add_f32 v[36:37], v[36:37], v[134:135] neg_lo:[0,1] neg_hi:[0,1]
	v_pk_add_f32 v[88:89], v[88:89], v[132:133] neg_lo:[0,1] neg_hi:[0,1]
	s_wait_dscnt 0x0
	v_pk_mul_f32 v[132:133], v[128:129], v[120:121] op_sel:[0,1]
	s_delay_alu instid0(VALU_DEP_1) | instskip(SKIP_1) | instid1(VALU_DEP_1)
	v_pk_fma_f32 v[134:135], v[128:129], v[118:119], v[132:133] op_sel:[0,0,1] op_sel_hi:[1,1,0] neg_lo:[0,0,1] neg_hi:[0,0,1]
	v_pk_fma_f32 v[128:129], v[128:129], v[118:119], v[132:133] op_sel:[0,0,1] op_sel_hi:[1,0,0]
	v_mov_b32_e32 v135, v129
	v_pk_mul_f32 v[128:129], v[130:131], v[120:121] op_sel:[0,1]
	s_delay_alu instid0(VALU_DEP_1) | instskip(SKIP_1) | instid1(VALU_DEP_1)
	v_pk_fma_f32 v[132:133], v[130:131], v[118:119], v[128:129] op_sel:[0,0,1] op_sel_hi:[1,1,0] neg_lo:[0,0,1] neg_hi:[0,0,1]
	v_pk_fma_f32 v[128:129], v[130:131], v[118:119], v[128:129] op_sel:[0,0,1] op_sel_hi:[1,0,0]
	v_mov_b32_e32 v133, v129
	ds_load_2addr_b64 v[128:131], v122 offset0:19 offset1:20
	v_pk_add_f32 v[84:85], v[84:85], v[134:135] neg_lo:[0,1] neg_hi:[0,1]
	v_pk_add_f32 v[86:87], v[86:87], v[132:133] neg_lo:[0,1] neg_hi:[0,1]
	s_wait_dscnt 0x0
	v_dual_mul_f32 v132, v129, v121 :: v_dual_mul_f32 v134, v129, v118
	s_delay_alu instid0(VALU_DEP_1) | instskip(NEXT) | instid1(VALU_DEP_2)
	v_pk_fma_f32 v[132:133], v[128:129], v[114:115], v[132:133] op_sel_hi:[1,1,0] neg_lo:[0,0,1] neg_hi:[0,0,1]
	v_pk_fma_f32 v[128:129], v[128:129], v[114:115], v[134:135] op_sel:[1,0,0] op_sel_hi:[0,1,0]
	s_delay_alu instid0(VALU_DEP_1) | instskip(SKIP_1) | instid1(VALU_DEP_2)
	v_mov_b32_e32 v133, v129
	v_pk_mul_f32 v[128:129], v[130:131], v[120:121] op_sel:[0,1]
	v_pk_add_f32 v[30:31], v[30:31], v[132:133] neg_lo:[0,1] neg_hi:[0,1]
	s_delay_alu instid0(VALU_DEP_2) | instskip(SKIP_1) | instid1(VALU_DEP_1)
	v_pk_fma_f32 v[132:133], v[130:131], v[118:119], v[128:129] op_sel:[0,0,1] op_sel_hi:[1,1,0] neg_lo:[0,0,1] neg_hi:[0,0,1]
	v_pk_fma_f32 v[128:129], v[130:131], v[118:119], v[128:129] op_sel:[0,0,1] op_sel_hi:[1,0,0]
	v_mov_b32_e32 v133, v129
	ds_load_2addr_b64 v[128:131], v122 offset0:21 offset1:22
	v_pk_add_f32 v[82:83], v[82:83], v[132:133] neg_lo:[0,1] neg_hi:[0,1]
	s_wait_dscnt 0x0
	v_pk_mul_f32 v[132:133], v[128:129], v[120:121] op_sel:[0,1]
	s_delay_alu instid0(VALU_DEP_1) | instskip(SKIP_1) | instid1(VALU_DEP_1)
	v_pk_fma_f32 v[134:135], v[128:129], v[118:119], v[132:133] op_sel:[0,0,1] op_sel_hi:[1,1,0] neg_lo:[0,0,1] neg_hi:[0,0,1]
	v_pk_fma_f32 v[128:129], v[128:129], v[118:119], v[132:133] op_sel:[0,0,1] op_sel_hi:[1,0,0]
	v_mov_b32_e32 v135, v129
	v_pk_mul_f32 v[128:129], v[130:131], v[120:121] op_sel:[0,1]
	s_delay_alu instid0(VALU_DEP_2) | instskip(NEXT) | instid1(VALU_DEP_2)
	v_pk_add_f32 v[78:79], v[78:79], v[134:135] neg_lo:[0,1] neg_hi:[0,1]
	v_pk_fma_f32 v[132:133], v[130:131], v[118:119], v[128:129] op_sel:[0,0,1] op_sel_hi:[1,1,0] neg_lo:[0,0,1] neg_hi:[0,0,1]
	v_pk_fma_f32 v[128:129], v[130:131], v[118:119], v[128:129] op_sel:[0,0,1] op_sel_hi:[1,0,0]
	s_delay_alu instid0(VALU_DEP_1) | instskip(SKIP_4) | instid1(VALU_DEP_1)
	v_mov_b32_e32 v133, v129
	ds_load_2addr_b64 v[128:131], v122 offset0:23 offset1:24
	v_pk_add_f32 v[80:81], v[80:81], v[132:133] neg_lo:[0,1] neg_hi:[0,1]
	s_wait_dscnt 0x0
	v_pk_mul_f32 v[132:133], v[128:129], v[120:121] op_sel:[0,1]
	v_pk_fma_f32 v[134:135], v[128:129], v[118:119], v[132:133] op_sel:[0,0,1] op_sel_hi:[1,1,0] neg_lo:[0,0,1] neg_hi:[0,0,1]
	v_pk_fma_f32 v[128:129], v[128:129], v[118:119], v[132:133] op_sel:[0,0,1] op_sel_hi:[1,0,0]
	v_dual_mul_f32 v132, v131, v121 :: v_dual_mov_b32 v128, v131
	s_delay_alu instid0(VALU_DEP_2) | instskip(NEXT) | instid1(VALU_DEP_2)
	v_dual_mov_b32 v135, v129 :: v_dual_mov_b32 v129, v130
	v_pk_fma_f32 v[132:133], v[130:131], v[114:115], v[132:133] op_sel_hi:[1,1,0] neg_lo:[0,0,1] neg_hi:[0,0,1]
	v_mul_f32_e32 v130, v131, v118
	s_delay_alu instid0(VALU_DEP_3) | instskip(NEXT) | instid1(VALU_DEP_2)
	v_pk_add_f32 v[24:25], v[24:25], v[134:135] neg_lo:[0,1] neg_hi:[0,1]
	v_pk_fma_f32 v[128:129], v[128:129], v[114:115], v[130:131] op_sel_hi:[1,1,0]
	s_delay_alu instid0(VALU_DEP_1) | instskip(SKIP_4) | instid1(VALU_DEP_1)
	v_mov_b32_e32 v133, v129
	ds_load_2addr_b64 v[128:131], v122 offset0:25 offset1:26
	v_pk_add_f32 v[76:77], v[76:77], v[132:133] neg_lo:[0,1] neg_hi:[0,1]
	s_wait_dscnt 0x0
	v_pk_mul_f32 v[132:133], v[128:129], v[120:121] op_sel:[0,1]
	v_pk_fma_f32 v[134:135], v[128:129], v[118:119], v[132:133] op_sel:[0,0,1] op_sel_hi:[1,1,0] neg_lo:[0,0,1] neg_hi:[0,0,1]
	v_pk_fma_f32 v[128:129], v[128:129], v[118:119], v[132:133] op_sel:[0,0,1] op_sel_hi:[1,0,0]
	s_delay_alu instid0(VALU_DEP_1) | instskip(SKIP_1) | instid1(VALU_DEP_1)
	v_mov_b32_e32 v135, v129
	v_pk_mul_f32 v[128:129], v[130:131], v[120:121] op_sel:[0,1]
	v_pk_fma_f32 v[132:133], v[130:131], v[118:119], v[128:129] op_sel:[0,0,1] op_sel_hi:[1,1,0] neg_lo:[0,0,1] neg_hi:[0,0,1]
	v_pk_fma_f32 v[128:129], v[130:131], v[118:119], v[128:129] op_sel:[0,0,1] op_sel_hi:[1,0,0]
	s_delay_alu instid0(VALU_DEP_1)
	v_mov_b32_e32 v133, v129
	ds_load_2addr_b64 v[128:131], v122 offset0:27 offset1:28
	v_pk_add_f32 v[72:73], v[72:73], v[134:135] neg_lo:[0,1] neg_hi:[0,1]
	v_pk_add_f32 v[74:75], v[74:75], v[132:133] neg_lo:[0,1] neg_hi:[0,1]
	s_wait_dscnt 0x0
	v_pk_mul_f32 v[132:133], v[128:129], v[120:121] op_sel:[0,1]
	s_delay_alu instid0(VALU_DEP_1) | instskip(SKIP_1) | instid1(VALU_DEP_1)
	v_pk_fma_f32 v[134:135], v[128:129], v[118:119], v[132:133] op_sel:[0,0,1] op_sel_hi:[1,1,0] neg_lo:[0,0,1] neg_hi:[0,0,1]
	v_pk_fma_f32 v[128:129], v[128:129], v[118:119], v[132:133] op_sel:[0,0,1] op_sel_hi:[1,0,0]
	v_mov_b32_e32 v135, v129
	v_pk_mul_f32 v[128:129], v[130:131], v[120:121] op_sel:[0,1]
	s_delay_alu instid0(VALU_DEP_1) | instskip(SKIP_1) | instid1(VALU_DEP_1)
	v_pk_fma_f32 v[132:133], v[130:131], v[118:119], v[128:129] op_sel:[0,0,1] op_sel_hi:[1,1,0] neg_lo:[0,0,1] neg_hi:[0,0,1]
	v_pk_fma_f32 v[128:129], v[130:131], v[118:119], v[128:129] op_sel:[0,0,1] op_sel_hi:[1,0,0]
	v_mov_b32_e32 v133, v129
	ds_load_2addr_b64 v[128:131], v122 offset0:29 offset1:30
	v_pk_add_f32 v[18:19], v[18:19], v[134:135] neg_lo:[0,1] neg_hi:[0,1]
	v_pk_add_f32 v[70:71], v[70:71], v[132:133] neg_lo:[0,1] neg_hi:[0,1]
	s_wait_dscnt 0x0
	v_dual_mul_f32 v132, v129, v121 :: v_dual_mul_f32 v134, v129, v118
	s_delay_alu instid0(VALU_DEP_1) | instskip(NEXT) | instid1(VALU_DEP_2)
	v_pk_fma_f32 v[132:133], v[128:129], v[114:115], v[132:133] op_sel_hi:[1,1,0] neg_lo:[0,0,1] neg_hi:[0,0,1]
	v_pk_fma_f32 v[128:129], v[128:129], v[114:115], v[134:135] op_sel:[1,0,0] op_sel_hi:[0,1,0]
	s_delay_alu instid0(VALU_DEP_1) | instskip(SKIP_1) | instid1(VALU_DEP_2)
	v_mov_b32_e32 v133, v129
	v_pk_mul_f32 v[128:129], v[130:131], v[120:121] op_sel:[0,1]
	v_pk_add_f32 v[66:67], v[66:67], v[132:133] neg_lo:[0,1] neg_hi:[0,1]
	s_delay_alu instid0(VALU_DEP_2) | instskip(SKIP_1) | instid1(VALU_DEP_1)
	v_pk_fma_f32 v[132:133], v[130:131], v[118:119], v[128:129] op_sel:[0,0,1] op_sel_hi:[1,1,0] neg_lo:[0,0,1] neg_hi:[0,0,1]
	v_pk_fma_f32 v[128:129], v[130:131], v[118:119], v[128:129] op_sel:[0,0,1] op_sel_hi:[1,0,0]
	v_mov_b32_e32 v133, v129
	ds_load_2addr_b64 v[128:131], v122 offset0:31 offset1:32
	v_pk_add_f32 v[68:69], v[68:69], v[132:133] neg_lo:[0,1] neg_hi:[0,1]
	s_wait_dscnt 0x0
	v_pk_mul_f32 v[132:133], v[128:129], v[120:121] op_sel:[0,1]
	s_delay_alu instid0(VALU_DEP_1) | instskip(SKIP_1) | instid1(VALU_DEP_1)
	v_pk_fma_f32 v[134:135], v[128:129], v[118:119], v[132:133] op_sel:[0,0,1] op_sel_hi:[1,1,0] neg_lo:[0,0,1] neg_hi:[0,0,1]
	v_pk_fma_f32 v[128:129], v[128:129], v[118:119], v[132:133] op_sel:[0,0,1] op_sel_hi:[1,0,0]
	v_mov_b32_e32 v135, v129
	v_pk_mul_f32 v[128:129], v[130:131], v[120:121] op_sel:[0,1]
	s_delay_alu instid0(VALU_DEP_2) | instskip(NEXT) | instid1(VALU_DEP_2)
	v_pk_add_f32 v[16:17], v[16:17], v[134:135] neg_lo:[0,1] neg_hi:[0,1]
	v_pk_fma_f32 v[132:133], v[130:131], v[118:119], v[128:129] op_sel:[0,0,1] op_sel_hi:[1,1,0] neg_lo:[0,0,1] neg_hi:[0,0,1]
	v_pk_fma_f32 v[128:129], v[130:131], v[118:119], v[128:129] op_sel:[0,0,1] op_sel_hi:[1,0,0]
	s_delay_alu instid0(VALU_DEP_1) | instskip(SKIP_4) | instid1(VALU_DEP_1)
	v_mov_b32_e32 v133, v129
	ds_load_2addr_b64 v[128:131], v122 offset0:33 offset1:34
	v_pk_add_f32 v[64:65], v[64:65], v[132:133] neg_lo:[0,1] neg_hi:[0,1]
	s_wait_dscnt 0x0
	v_pk_mul_f32 v[132:133], v[128:129], v[120:121] op_sel:[0,1]
	v_pk_fma_f32 v[134:135], v[128:129], v[118:119], v[132:133] op_sel:[0,0,1] op_sel_hi:[1,1,0] neg_lo:[0,0,1] neg_hi:[0,0,1]
	v_pk_fma_f32 v[128:129], v[128:129], v[118:119], v[132:133] op_sel:[0,0,1] op_sel_hi:[1,0,0]
	v_dual_mul_f32 v132, v131, v121 :: v_dual_mov_b32 v128, v131
	s_delay_alu instid0(VALU_DEP_2) | instskip(NEXT) | instid1(VALU_DEP_2)
	v_dual_mov_b32 v135, v129 :: v_dual_mov_b32 v129, v130
	v_pk_fma_f32 v[132:133], v[130:131], v[114:115], v[132:133] op_sel_hi:[1,1,0] neg_lo:[0,0,1] neg_hi:[0,0,1]
	v_mul_f32_e32 v130, v131, v118
	s_delay_alu instid0(VALU_DEP_3) | instskip(NEXT) | instid1(VALU_DEP_2)
	v_pk_add_f32 v[60:61], v[60:61], v[134:135] neg_lo:[0,1] neg_hi:[0,1]
	v_pk_fma_f32 v[128:129], v[128:129], v[114:115], v[130:131] op_sel_hi:[1,1,0]
	s_delay_alu instid0(VALU_DEP_1) | instskip(SKIP_4) | instid1(VALU_DEP_1)
	v_mov_b32_e32 v133, v129
	ds_load_2addr_b64 v[128:131], v122 offset0:35 offset1:36
	v_pk_add_f32 v[62:63], v[62:63], v[132:133] neg_lo:[0,1] neg_hi:[0,1]
	s_wait_dscnt 0x0
	v_pk_mul_f32 v[132:133], v[128:129], v[120:121] op_sel:[0,1]
	v_pk_fma_f32 v[134:135], v[128:129], v[118:119], v[132:133] op_sel:[0,0,1] op_sel_hi:[1,1,0] neg_lo:[0,0,1] neg_hi:[0,0,1]
	v_pk_fma_f32 v[128:129], v[128:129], v[118:119], v[132:133] op_sel:[0,0,1] op_sel_hi:[1,0,0]
	s_delay_alu instid0(VALU_DEP_1) | instskip(SKIP_1) | instid1(VALU_DEP_1)
	v_mov_b32_e32 v135, v129
	v_pk_mul_f32 v[128:129], v[130:131], v[120:121] op_sel:[0,1]
	v_pk_fma_f32 v[132:133], v[130:131], v[118:119], v[128:129] op_sel:[0,0,1] op_sel_hi:[1,1,0] neg_lo:[0,0,1] neg_hi:[0,0,1]
	v_pk_fma_f32 v[128:129], v[130:131], v[118:119], v[128:129] op_sel:[0,0,1] op_sel_hi:[1,0,0]
	s_delay_alu instid0(VALU_DEP_1)
	v_mov_b32_e32 v133, v129
	ds_load_2addr_b64 v[128:131], v122 offset0:37 offset1:38
	v_pk_add_f32 v[14:15], v[14:15], v[134:135] neg_lo:[0,1] neg_hi:[0,1]
	v_pk_add_f32 v[58:59], v[58:59], v[132:133] neg_lo:[0,1] neg_hi:[0,1]
	s_wait_dscnt 0x0
	v_pk_mul_f32 v[132:133], v[128:129], v[120:121] op_sel:[0,1]
	s_delay_alu instid0(VALU_DEP_1) | instskip(SKIP_1) | instid1(VALU_DEP_1)
	v_pk_fma_f32 v[134:135], v[128:129], v[118:119], v[132:133] op_sel:[0,0,1] op_sel_hi:[1,1,0] neg_lo:[0,0,1] neg_hi:[0,0,1]
	v_pk_fma_f32 v[128:129], v[128:129], v[118:119], v[132:133] op_sel:[0,0,1] op_sel_hi:[1,0,0]
	v_mov_b32_e32 v135, v129
	v_pk_mul_f32 v[128:129], v[130:131], v[120:121] op_sel:[0,1]
	s_delay_alu instid0(VALU_DEP_1) | instskip(SKIP_1) | instid1(VALU_DEP_1)
	v_pk_fma_f32 v[132:133], v[130:131], v[118:119], v[128:129] op_sel:[0,0,1] op_sel_hi:[1,1,0] neg_lo:[0,0,1] neg_hi:[0,0,1]
	v_pk_fma_f32 v[128:129], v[130:131], v[118:119], v[128:129] op_sel:[0,0,1] op_sel_hi:[1,0,0]
	v_mov_b32_e32 v133, v129
	ds_load_2addr_b64 v[128:131], v122 offset0:39 offset1:40
	v_pk_add_f32 v[54:55], v[54:55], v[134:135] neg_lo:[0,1] neg_hi:[0,1]
	v_pk_add_f32 v[56:57], v[56:57], v[132:133] neg_lo:[0,1] neg_hi:[0,1]
	s_wait_dscnt 0x0
	v_dual_mul_f32 v132, v129, v121 :: v_dual_mul_f32 v134, v129, v118
	s_delay_alu instid0(VALU_DEP_1) | instskip(NEXT) | instid1(VALU_DEP_2)
	v_pk_fma_f32 v[132:133], v[128:129], v[114:115], v[132:133] op_sel_hi:[1,1,0] neg_lo:[0,0,1] neg_hi:[0,0,1]
	v_pk_fma_f32 v[128:129], v[128:129], v[114:115], v[134:135] op_sel:[1,0,0] op_sel_hi:[0,1,0]
	s_delay_alu instid0(VALU_DEP_1) | instskip(SKIP_1) | instid1(VALU_DEP_2)
	v_mov_b32_e32 v133, v129
	v_pk_mul_f32 v[128:129], v[130:131], v[120:121] op_sel:[0,1]
	v_pk_add_f32 v[12:13], v[12:13], v[132:133] neg_lo:[0,1] neg_hi:[0,1]
	s_delay_alu instid0(VALU_DEP_2) | instskip(SKIP_1) | instid1(VALU_DEP_1)
	v_pk_fma_f32 v[132:133], v[130:131], v[118:119], v[128:129] op_sel:[0,0,1] op_sel_hi:[1,1,0] neg_lo:[0,0,1] neg_hi:[0,0,1]
	v_pk_fma_f32 v[128:129], v[130:131], v[118:119], v[128:129] op_sel:[0,0,1] op_sel_hi:[1,0,0]
	v_mov_b32_e32 v133, v129
	ds_load_2addr_b64 v[128:131], v122 offset0:41 offset1:42
	v_pk_add_f32 v[52:53], v[52:53], v[132:133] neg_lo:[0,1] neg_hi:[0,1]
	s_wait_dscnt 0x0
	v_pk_mul_f32 v[132:133], v[128:129], v[120:121] op_sel:[0,1]
	s_delay_alu instid0(VALU_DEP_1) | instskip(SKIP_1) | instid1(VALU_DEP_1)
	v_pk_fma_f32 v[134:135], v[128:129], v[118:119], v[132:133] op_sel:[0,0,1] op_sel_hi:[1,1,0] neg_lo:[0,0,1] neg_hi:[0,0,1]
	v_pk_fma_f32 v[128:129], v[128:129], v[118:119], v[132:133] op_sel:[0,0,1] op_sel_hi:[1,0,0]
	v_mov_b32_e32 v135, v129
	v_pk_mul_f32 v[128:129], v[130:131], v[120:121] op_sel:[0,1]
	s_delay_alu instid0(VALU_DEP_2) | instskip(NEXT) | instid1(VALU_DEP_2)
	v_pk_add_f32 v[48:49], v[48:49], v[134:135] neg_lo:[0,1] neg_hi:[0,1]
	v_pk_fma_f32 v[132:133], v[130:131], v[118:119], v[128:129] op_sel:[0,0,1] op_sel_hi:[1,1,0] neg_lo:[0,0,1] neg_hi:[0,0,1]
	v_pk_fma_f32 v[128:129], v[130:131], v[118:119], v[128:129] op_sel:[0,0,1] op_sel_hi:[1,0,0]
	s_delay_alu instid0(VALU_DEP_1) | instskip(SKIP_4) | instid1(VALU_DEP_1)
	v_mov_b32_e32 v133, v129
	ds_load_2addr_b64 v[128:131], v122 offset0:43 offset1:44
	v_pk_add_f32 v[50:51], v[50:51], v[132:133] neg_lo:[0,1] neg_hi:[0,1]
	s_wait_dscnt 0x0
	v_pk_mul_f32 v[132:133], v[128:129], v[120:121] op_sel:[0,1]
	v_pk_fma_f32 v[134:135], v[128:129], v[118:119], v[132:133] op_sel:[0,0,1] op_sel_hi:[1,1,0] neg_lo:[0,0,1] neg_hi:[0,0,1]
	v_pk_fma_f32 v[128:129], v[128:129], v[118:119], v[132:133] op_sel:[0,0,1] op_sel_hi:[1,0,0]
	v_dual_mul_f32 v132, v131, v121 :: v_dual_mov_b32 v128, v131
	s_delay_alu instid0(VALU_DEP_2) | instskip(NEXT) | instid1(VALU_DEP_2)
	v_dual_mov_b32 v135, v129 :: v_dual_mov_b32 v129, v130
	v_pk_fma_f32 v[132:133], v[130:131], v[114:115], v[132:133] op_sel_hi:[1,1,0] neg_lo:[0,0,1] neg_hi:[0,0,1]
	v_mul_f32_e32 v130, v131, v118
	s_delay_alu instid0(VALU_DEP_3) | instskip(NEXT) | instid1(VALU_DEP_2)
	v_pk_add_f32 v[10:11], v[10:11], v[134:135] neg_lo:[0,1] neg_hi:[0,1]
	v_pk_fma_f32 v[128:129], v[128:129], v[114:115], v[130:131] op_sel_hi:[1,1,0]
	s_delay_alu instid0(VALU_DEP_1) | instskip(SKIP_4) | instid1(VALU_DEP_1)
	v_mov_b32_e32 v133, v129
	ds_load_2addr_b64 v[128:131], v122 offset0:45 offset1:46
	v_pk_add_f32 v[46:47], v[46:47], v[132:133] neg_lo:[0,1] neg_hi:[0,1]
	s_wait_dscnt 0x0
	v_pk_mul_f32 v[132:133], v[128:129], v[120:121] op_sel:[0,1]
	v_pk_fma_f32 v[134:135], v[128:129], v[118:119], v[132:133] op_sel:[0,0,1] op_sel_hi:[1,1,0] neg_lo:[0,0,1] neg_hi:[0,0,1]
	v_pk_fma_f32 v[128:129], v[128:129], v[118:119], v[132:133] op_sel:[0,0,1] op_sel_hi:[1,0,0]
	s_delay_alu instid0(VALU_DEP_1) | instskip(SKIP_1) | instid1(VALU_DEP_1)
	v_mov_b32_e32 v135, v129
	v_pk_mul_f32 v[128:129], v[130:131], v[120:121] op_sel:[0,1]
	v_pk_fma_f32 v[132:133], v[130:131], v[118:119], v[128:129] op_sel:[0,0,1] op_sel_hi:[1,1,0] neg_lo:[0,0,1] neg_hi:[0,0,1]
	v_pk_fma_f32 v[128:129], v[130:131], v[118:119], v[128:129] op_sel:[0,0,1] op_sel_hi:[1,0,0]
	s_delay_alu instid0(VALU_DEP_1)
	v_mov_b32_e32 v133, v129
	ds_load_2addr_b64 v[128:131], v122 offset0:47 offset1:48
	v_pk_add_f32 v[42:43], v[42:43], v[134:135] neg_lo:[0,1] neg_hi:[0,1]
	v_pk_add_f32 v[44:45], v[44:45], v[132:133] neg_lo:[0,1] neg_hi:[0,1]
	s_wait_dscnt 0x0
	v_pk_mul_f32 v[132:133], v[128:129], v[120:121] op_sel:[0,1]
	s_delay_alu instid0(VALU_DEP_1) | instskip(SKIP_1) | instid1(VALU_DEP_1)
	v_pk_fma_f32 v[134:135], v[128:129], v[118:119], v[132:133] op_sel:[0,0,1] op_sel_hi:[1,1,0] neg_lo:[0,0,1] neg_hi:[0,0,1]
	v_pk_fma_f32 v[128:129], v[128:129], v[118:119], v[132:133] op_sel:[0,0,1] op_sel_hi:[1,0,0]
	v_mov_b32_e32 v135, v129
	v_pk_mul_f32 v[128:129], v[130:131], v[120:121] op_sel:[0,1]
	s_delay_alu instid0(VALU_DEP_1) | instskip(SKIP_1) | instid1(VALU_DEP_1)
	v_pk_fma_f32 v[132:133], v[130:131], v[118:119], v[128:129] op_sel:[0,0,1] op_sel_hi:[1,1,0] neg_lo:[0,0,1] neg_hi:[0,0,1]
	v_pk_fma_f32 v[128:129], v[130:131], v[118:119], v[128:129] op_sel:[0,0,1] op_sel_hi:[1,0,0]
	v_mov_b32_e32 v133, v129
	ds_load_2addr_b64 v[128:131], v122 offset0:49 offset1:50
	v_pk_add_f32 v[6:7], v[6:7], v[134:135] neg_lo:[0,1] neg_hi:[0,1]
	v_pk_add_f32 v[34:35], v[34:35], v[132:133] neg_lo:[0,1] neg_hi:[0,1]
	s_wait_dscnt 0x0
	v_dual_mul_f32 v132, v129, v121 :: v_dual_mul_f32 v134, v129, v118
	s_delay_alu instid0(VALU_DEP_1) | instskip(NEXT) | instid1(VALU_DEP_2)
	v_pk_fma_f32 v[132:133], v[128:129], v[114:115], v[132:133] op_sel_hi:[1,1,0] neg_lo:[0,0,1] neg_hi:[0,0,1]
	v_pk_fma_f32 v[128:129], v[128:129], v[114:115], v[134:135] op_sel:[1,0,0] op_sel_hi:[0,1,0]
	s_delay_alu instid0(VALU_DEP_1) | instskip(SKIP_1) | instid1(VALU_DEP_2)
	v_mov_b32_e32 v133, v129
	v_pk_mul_f32 v[128:129], v[130:131], v[120:121] op_sel:[0,1]
	v_pk_add_f32 v[28:29], v[28:29], v[132:133] neg_lo:[0,1] neg_hi:[0,1]
	s_delay_alu instid0(VALU_DEP_2) | instskip(SKIP_1) | instid1(VALU_DEP_1)
	v_pk_fma_f32 v[132:133], v[130:131], v[118:119], v[128:129] op_sel:[0,0,1] op_sel_hi:[1,1,0] neg_lo:[0,0,1] neg_hi:[0,0,1]
	v_pk_fma_f32 v[128:129], v[130:131], v[118:119], v[128:129] op_sel:[0,0,1] op_sel_hi:[1,0,0]
	v_mov_b32_e32 v133, v129
	ds_load_2addr_b64 v[128:131], v122 offset0:51 offset1:52
	v_pk_add_f32 v[32:33], v[32:33], v[132:133] neg_lo:[0,1] neg_hi:[0,1]
	s_wait_dscnt 0x0
	v_pk_mul_f32 v[132:133], v[128:129], v[120:121] op_sel:[0,1]
	s_delay_alu instid0(VALU_DEP_1) | instskip(SKIP_1) | instid1(VALU_DEP_1)
	v_pk_fma_f32 v[134:135], v[128:129], v[118:119], v[132:133] op_sel:[0,0,1] op_sel_hi:[1,1,0] neg_lo:[0,0,1] neg_hi:[0,0,1]
	v_pk_fma_f32 v[128:129], v[128:129], v[118:119], v[132:133] op_sel:[0,0,1] op_sel_hi:[1,0,0]
	v_mov_b32_e32 v135, v129
	v_pk_mul_f32 v[128:129], v[130:131], v[120:121] op_sel:[0,1]
	s_delay_alu instid0(VALU_DEP_2) | instskip(NEXT) | instid1(VALU_DEP_2)
	v_pk_add_f32 v[8:9], v[8:9], v[134:135] neg_lo:[0,1] neg_hi:[0,1]
	v_pk_fma_f32 v[132:133], v[130:131], v[118:119], v[128:129] op_sel:[0,0,1] op_sel_hi:[1,1,0] neg_lo:[0,0,1] neg_hi:[0,0,1]
	v_pk_fma_f32 v[128:129], v[130:131], v[118:119], v[128:129] op_sel:[0,0,1] op_sel_hi:[1,0,0]
	s_delay_alu instid0(VALU_DEP_1) | instskip(SKIP_4) | instid1(VALU_DEP_1)
	v_mov_b32_e32 v133, v129
	ds_load_2addr_b64 v[128:131], v122 offset0:53 offset1:54
	v_pk_add_f32 v[26:27], v[26:27], v[132:133] neg_lo:[0,1] neg_hi:[0,1]
	s_wait_dscnt 0x0
	v_pk_mul_f32 v[132:133], v[128:129], v[120:121] op_sel:[0,1]
	v_pk_fma_f32 v[134:135], v[128:129], v[118:119], v[132:133] op_sel:[0,0,1] op_sel_hi:[1,1,0] neg_lo:[0,0,1] neg_hi:[0,0,1]
	v_pk_fma_f32 v[128:129], v[128:129], v[118:119], v[132:133] op_sel:[0,0,1] op_sel_hi:[1,0,0]
	v_dual_mul_f32 v132, v131, v121 :: v_dual_mov_b32 v128, v131
	s_delay_alu instid0(VALU_DEP_2) | instskip(NEXT) | instid1(VALU_DEP_2)
	v_dual_mov_b32 v135, v129 :: v_dual_mov_b32 v129, v130
	v_pk_fma_f32 v[132:133], v[130:131], v[114:115], v[132:133] op_sel_hi:[1,1,0] neg_lo:[0,0,1] neg_hi:[0,0,1]
	v_mul_f32_e32 v130, v131, v118
	s_delay_alu instid0(VALU_DEP_3) | instskip(NEXT) | instid1(VALU_DEP_2)
	v_pk_add_f32 v[22:23], v[22:23], v[134:135] neg_lo:[0,1] neg_hi:[0,1]
	v_pk_fma_f32 v[128:129], v[128:129], v[114:115], v[130:131] op_sel_hi:[1,1,0]
	s_delay_alu instid0(VALU_DEP_1) | instskip(SKIP_4) | instid1(VALU_DEP_1)
	v_mov_b32_e32 v133, v129
	ds_load_b64 v[128:129], v122 offset:440
	v_pk_add_f32 v[20:21], v[20:21], v[132:133] neg_lo:[0,1] neg_hi:[0,1]
	s_wait_dscnt 0x0
	v_pk_mul_f32 v[120:121], v[128:129], v[120:121] op_sel:[0,1]
	v_pk_fma_f32 v[130:131], v[128:129], v[118:119], v[120:121] op_sel:[0,0,1] op_sel_hi:[1,1,0] neg_lo:[0,0,1] neg_hi:[0,0,1]
	v_pk_fma_f32 v[118:119], v[128:129], v[118:119], v[120:121] op_sel:[0,0,1] op_sel_hi:[1,0,0]
	s_delay_alu instid0(VALU_DEP_1) | instskip(NEXT) | instid1(VALU_DEP_1)
	v_mov_b32_e32 v131, v119
	v_pk_add_f32 v[116:117], v[116:117], v[130:131] neg_lo:[0,1] neg_hi:[0,1]
.LBB110_22:
	s_or_b32 exec_lo, exec_lo, s0
	v_lshl_add_u32 v118, v126, 3, v122
	s_barrier_signal -1
	s_barrier_wait -1
	ds_store_b64 v118, v[112:113]
	s_wait_dscnt 0x0
	s_barrier_signal -1
	s_barrier_wait -1
	ds_load_b64 v[120:121], v122 offset:8
	v_mov_b32_e32 v118, 1
	s_cmp_lt_i32 s18, 3
	s_cbranch_scc1 .LBB110_25
; %bb.23:
	v_add3_u32 v119, v123, 0, 16
	v_mov_b32_e32 v118, 1
	s_mov_b32 s0, 2
.LBB110_24:                             ; =>This Inner Loop Header: Depth=1
	ds_load_b64 v[128:129], v119
	s_wait_dscnt 0x1
	v_cmp_gt_f32_e32 vcc_lo, 0, v120
	v_cndmask_b32_e64 v130, v120, -v120, vcc_lo
	v_cmp_gt_f32_e32 vcc_lo, 0, v121
	v_cndmask_b32_e64 v132, v121, -v121, vcc_lo
	s_wait_dscnt 0x0
	v_cmp_gt_f32_e32 vcc_lo, 0, v128
	v_cndmask_b32_e64 v131, v128, -v128, vcc_lo
	v_cmp_gt_f32_e32 vcc_lo, 0, v129
	v_cndmask_b32_e64 v133, v129, -v129, vcc_lo
	s_delay_alu instid0(VALU_DEP_1) | instskip(NEXT) | instid1(VALU_DEP_1)
	v_pk_add_f32 v[130:131], v[130:131], v[132:133]
	v_cmp_lt_f32_e32 vcc_lo, v130, v131
	v_dual_add_nc_u32 v119, 8, v119 :: v_dual_cndmask_b32 v121, v121, v129, vcc_lo
	v_cndmask_b32_e32 v120, v120, v128, vcc_lo
	v_cndmask_b32_e64 v118, v118, s0, vcc_lo
	s_add_co_i32 s0, s0, 1
	s_delay_alu instid0(SALU_CYCLE_1)
	s_cmp_lg_u32 s18, s0
	s_cbranch_scc1 .LBB110_24
.LBB110_25:
	s_wait_dscnt 0x0
	v_cmp_neq_f32_e32 vcc_lo, 0, v120
	v_cmp_neq_f32_e64 s0, 0, v121
	s_or_b32 s1, vcc_lo, s0
	s_delay_alu instid0(SALU_CYCLE_1)
	s_and_saveexec_b32 s0, s1
	s_cbranch_execz .LBB110_31
; %bb.26:
	v_cmp_ngt_f32_e64 s1, |v120|, |v121|
	s_and_saveexec_b32 s12, s1
	s_delay_alu instid0(SALU_CYCLE_1)
	s_xor_b32 s1, exec_lo, s12
	s_cbranch_execz .LBB110_28
; %bb.27:
	v_div_scale_f32 v119, null, v121, v121, v120
	v_div_scale_f32 v129, vcc_lo, v120, v121, v120
	s_delay_alu instid0(VALU_DEP_2) | instskip(SKIP_1) | instid1(TRANS32_DEP_1)
	v_rcp_f32_e32 v124, v119
	v_nop
	v_fma_f32 v128, -v119, v124, 1.0
	s_delay_alu instid0(VALU_DEP_1) | instskip(NEXT) | instid1(VALU_DEP_1)
	v_fmac_f32_e32 v124, v128, v124
	v_mul_f32_e32 v128, v129, v124
	s_delay_alu instid0(VALU_DEP_1) | instskip(NEXT) | instid1(VALU_DEP_1)
	v_fma_f32 v130, -v119, v128, v129
	v_fmac_f32_e32 v128, v130, v124
	s_delay_alu instid0(VALU_DEP_1) | instskip(NEXT) | instid1(VALU_DEP_1)
	v_fma_f32 v119, -v119, v128, v129
	v_div_fmas_f32 v119, v119, v124, v128
	s_delay_alu instid0(VALU_DEP_1) | instskip(NEXT) | instid1(VALU_DEP_1)
	v_div_fixup_f32 v119, v119, v121, v120
	v_fmac_f32_e32 v121, v120, v119
	s_delay_alu instid0(VALU_DEP_1) | instskip(SKIP_1) | instid1(VALU_DEP_2)
	v_div_scale_f32 v120, null, v121, v121, 1.0
	v_div_scale_f32 v129, vcc_lo, 1.0, v121, 1.0
	v_rcp_f32_e32 v124, v120
	v_nop
	s_delay_alu instid0(TRANS32_DEP_1) | instskip(NEXT) | instid1(VALU_DEP_1)
	v_fma_f32 v128, -v120, v124, 1.0
	v_fmac_f32_e32 v124, v128, v124
	s_delay_alu instid0(VALU_DEP_1) | instskip(NEXT) | instid1(VALU_DEP_1)
	v_mul_f32_e32 v128, v129, v124
	v_fma_f32 v130, -v120, v128, v129
	s_delay_alu instid0(VALU_DEP_1) | instskip(NEXT) | instid1(VALU_DEP_1)
	v_fmac_f32_e32 v128, v130, v124
	v_fma_f32 v120, -v120, v128, v129
	s_delay_alu instid0(VALU_DEP_1) | instskip(NEXT) | instid1(VALU_DEP_1)
	v_div_fmas_f32 v120, v120, v124, v128
	v_div_fixup_f32 v121, v120, v121, 1.0
	s_delay_alu instid0(VALU_DEP_1)
	v_mul_f32_e32 v120, v119, v121
	v_xor_b32_e32 v121, 0x80000000, v121
.LBB110_28:
	s_and_not1_saveexec_b32 s1, s1
	s_cbranch_execz .LBB110_30
; %bb.29:
	s_delay_alu instid0(VALU_DEP_1) | instskip(SKIP_1) | instid1(VALU_DEP_2)
	v_div_scale_f32 v119, null, v120, v120, v121
	v_div_scale_f32 v129, vcc_lo, v121, v120, v121
	v_rcp_f32_e32 v124, v119
	v_nop
	s_delay_alu instid0(TRANS32_DEP_1) | instskip(NEXT) | instid1(VALU_DEP_1)
	v_fma_f32 v128, -v119, v124, 1.0
	v_fmac_f32_e32 v124, v128, v124
	s_delay_alu instid0(VALU_DEP_1) | instskip(NEXT) | instid1(VALU_DEP_1)
	v_mul_f32_e32 v128, v129, v124
	v_fma_f32 v130, -v119, v128, v129
	s_delay_alu instid0(VALU_DEP_1) | instskip(NEXT) | instid1(VALU_DEP_1)
	v_fmac_f32_e32 v128, v130, v124
	v_fma_f32 v119, -v119, v128, v129
	s_delay_alu instid0(VALU_DEP_1) | instskip(NEXT) | instid1(VALU_DEP_1)
	v_div_fmas_f32 v119, v119, v124, v128
	v_div_fixup_f32 v119, v119, v120, v121
	s_delay_alu instid0(VALU_DEP_1) | instskip(NEXT) | instid1(VALU_DEP_1)
	v_fmac_f32_e32 v120, v121, v119
	v_div_scale_f32 v121, null, v120, v120, 1.0
	s_delay_alu instid0(VALU_DEP_1) | instskip(SKIP_1) | instid1(TRANS32_DEP_1)
	v_rcp_f32_e32 v124, v121
	v_nop
	v_fma_f32 v128, -v121, v124, 1.0
	s_delay_alu instid0(VALU_DEP_1) | instskip(SKIP_1) | instid1(VALU_DEP_1)
	v_fmac_f32_e32 v124, v128, v124
	v_div_scale_f32 v128, vcc_lo, 1.0, v120, 1.0
	v_mul_f32_e32 v129, v128, v124
	s_delay_alu instid0(VALU_DEP_1) | instskip(NEXT) | instid1(VALU_DEP_1)
	v_fma_f32 v130, -v121, v129, v128
	v_fmac_f32_e32 v129, v130, v124
	s_delay_alu instid0(VALU_DEP_1) | instskip(NEXT) | instid1(VALU_DEP_1)
	v_fma_f32 v121, -v121, v129, v128
	v_div_fmas_f32 v121, v121, v124, v129
	s_delay_alu instid0(VALU_DEP_1) | instskip(NEXT) | instid1(VALU_DEP_1)
	v_div_fixup_f32 v120, v121, v120, 1.0
	v_mul_f32_e64 v121, v119, -v120
.LBB110_30:
	s_or_b32 exec_lo, exec_lo, s1
	v_mov_b32_e32 v124, v127
.LBB110_31:
	s_or_b32 exec_lo, exec_lo, s0
	s_delay_alu instid0(SALU_CYCLE_1)
	s_mov_b32 s0, exec_lo
	v_cmpx_ne_u32_e64 v126, v118
	s_xor_b32 s0, exec_lo, s0
	s_cbranch_execz .LBB110_37
; %bb.32:
	s_mov_b32 s1, exec_lo
	v_cmpx_eq_u32_e32 1, v126
	s_cbranch_execz .LBB110_36
; %bb.33:
	v_cmp_ne_u32_e32 vcc_lo, 1, v118
	s_xor_b32 s12, s16, -1
	s_delay_alu instid0(SALU_CYCLE_1) | instskip(NEXT) | instid1(SALU_CYCLE_1)
	s_and_b32 s13, s12, vcc_lo
	s_and_saveexec_b32 s12, s13
	s_cbranch_execz .LBB110_35
; %bb.34:
	v_ashrrev_i32_e32 v119, 31, v118
	s_delay_alu instid0(VALU_DEP_1)
	v_lshl_add_u64 v[126:127], v[118:119], 2, v[4:5]
	s_clause 0x1
	global_load_b32 v119, v[126:127], off
	global_load_b32 v125, v[4:5], off offset:4
	s_wait_loadcnt 0x1
	global_store_b32 v[4:5], v119, off offset:4
	s_wait_loadcnt 0x0
	global_store_b32 v[126:127], v125, off
.LBB110_35:
	s_wait_xcnt 0x0
	s_or_b32 exec_lo, exec_lo, s12
	v_dual_mov_b32 v126, v118 :: v_dual_mov_b32 v125, v118
.LBB110_36:
	s_or_b32 exec_lo, exec_lo, s1
.LBB110_37:
	s_and_not1_saveexec_b32 s0, s0
	s_cbranch_execz .LBB110_39
; %bb.38:
	v_dual_mov_b32 v118, v110 :: v_dual_mov_b32 v119, v111
	v_dual_mov_b32 v126, v108 :: v_dual_mov_b32 v127, v109
	ds_store_2addr_b64 v122, v[118:119], v[126:127] offset0:2 offset1:3
	v_dual_mov_b32 v118, v106 :: v_dual_mov_b32 v119, v107
	v_dual_mov_b32 v126, v102 :: v_dual_mov_b32 v127, v103
	ds_store_2addr_b64 v122, v[118:119], v[126:127] offset0:4 offset1:5
	;; [unrolled: 3-line block ×26, first 2 shown]
	v_dual_mov_b32 v118, v20 :: v_dual_mov_b32 v119, v21
	v_mov_b32_e32 v126, 1
	ds_store_2addr_b64 v122, v[118:119], v[116:117] offset0:54 offset1:55
.LBB110_39:
	s_or_b32 exec_lo, exec_lo, s0
	s_delay_alu instid0(SALU_CYCLE_1)
	s_mov_b32 s0, exec_lo
	s_wait_storecnt_dscnt 0x0
	s_barrier_signal -1
	s_barrier_wait -1
	v_cmpx_lt_i32_e32 1, v126
	s_cbranch_execz .LBB110_41
; %bb.40:
	v_pk_mul_f32 v[128:129], v[120:121], v[112:113] op_sel:[1,1] op_sel_hi:[0,1]
	s_delay_alu instid0(VALU_DEP_1)
	v_pk_fma_f32 v[118:119], v[120:121], v[112:113], v[128:129] op_sel_hi:[1,0,1] neg_lo:[0,0,1] neg_hi:[0,0,1]
	v_pk_fma_f32 v[120:121], v[120:121], v[112:113], v[128:129] op_sel_hi:[1,0,1]
	ds_load_2addr_b64 v[128:131], v122 offset0:2 offset1:3
	v_dual_mov_b32 v112, v118 :: v_dual_mov_b32 v113, v121
	s_wait_dscnt 0x0
	v_pk_mul_f32 v[132:133], v[128:129], v[120:121] op_sel:[0,1]
	s_delay_alu instid0(VALU_DEP_1) | instskip(SKIP_1) | instid1(VALU_DEP_1)
	v_pk_fma_f32 v[134:135], v[128:129], v[118:119], v[132:133] op_sel:[0,0,1] op_sel_hi:[1,1,0] neg_lo:[0,0,1] neg_hi:[0,0,1]
	v_pk_fma_f32 v[128:129], v[128:129], v[118:119], v[132:133] op_sel:[0,0,1] op_sel_hi:[1,0,0]
	v_mov_b32_e32 v135, v129
	v_pk_mul_f32 v[128:129], v[130:131], v[120:121] op_sel:[0,1]
	s_delay_alu instid0(VALU_DEP_1) | instskip(SKIP_1) | instid1(VALU_DEP_1)
	v_pk_fma_f32 v[132:133], v[130:131], v[118:119], v[128:129] op_sel:[0,0,1] op_sel_hi:[1,1,0] neg_lo:[0,0,1] neg_hi:[0,0,1]
	v_pk_fma_f32 v[128:129], v[130:131], v[118:119], v[128:129] op_sel:[0,0,1] op_sel_hi:[1,0,0]
	v_mov_b32_e32 v133, v129
	ds_load_2addr_b64 v[128:131], v122 offset0:4 offset1:5
	v_pk_add_f32 v[110:111], v[110:111], v[134:135] neg_lo:[0,1] neg_hi:[0,1]
	v_pk_add_f32 v[108:109], v[108:109], v[132:133] neg_lo:[0,1] neg_hi:[0,1]
	s_wait_dscnt 0x0
	v_pk_mul_f32 v[132:133], v[128:129], v[120:121] op_sel:[0,1]
	s_delay_alu instid0(VALU_DEP_1) | instskip(SKIP_2) | instid1(VALU_DEP_2)
	v_pk_fma_f32 v[134:135], v[128:129], v[118:119], v[132:133] op_sel:[0,0,1] op_sel_hi:[1,1,0] neg_lo:[0,0,1] neg_hi:[0,0,1]
	v_pk_fma_f32 v[128:129], v[128:129], v[118:119], v[132:133] op_sel:[0,0,1] op_sel_hi:[1,0,0]
	v_dual_mul_f32 v132, v131, v121 :: v_dual_mov_b32 v128, v131
	v_dual_mov_b32 v135, v129 :: v_dual_mov_b32 v129, v130
	s_delay_alu instid0(VALU_DEP_2) | instskip(SKIP_1) | instid1(VALU_DEP_3)
	v_pk_fma_f32 v[132:133], v[130:131], v[112:113], v[132:133] op_sel_hi:[1,1,0] neg_lo:[0,0,1] neg_hi:[0,0,1]
	v_mul_f32_e32 v130, v131, v118
	v_pk_add_f32 v[106:107], v[106:107], v[134:135] neg_lo:[0,1] neg_hi:[0,1]
	s_delay_alu instid0(VALU_DEP_2) | instskip(NEXT) | instid1(VALU_DEP_1)
	v_pk_fma_f32 v[128:129], v[128:129], v[112:113], v[130:131] op_sel_hi:[1,1,0]
	v_mov_b32_e32 v133, v129
	ds_load_2addr_b64 v[128:131], v122 offset0:6 offset1:7
	v_pk_add_f32 v[102:103], v[102:103], v[132:133] neg_lo:[0,1] neg_hi:[0,1]
	s_wait_dscnt 0x0
	v_pk_mul_f32 v[132:133], v[128:129], v[120:121] op_sel:[0,1]
	s_delay_alu instid0(VALU_DEP_1) | instskip(SKIP_1) | instid1(VALU_DEP_1)
	v_pk_fma_f32 v[134:135], v[128:129], v[118:119], v[132:133] op_sel:[0,0,1] op_sel_hi:[1,1,0] neg_lo:[0,0,1] neg_hi:[0,0,1]
	v_pk_fma_f32 v[128:129], v[128:129], v[118:119], v[132:133] op_sel:[0,0,1] op_sel_hi:[1,0,0]
	v_mov_b32_e32 v135, v129
	v_pk_mul_f32 v[128:129], v[130:131], v[120:121] op_sel:[0,1]
	s_delay_alu instid0(VALU_DEP_1) | instskip(SKIP_1) | instid1(VALU_DEP_1)
	v_pk_fma_f32 v[132:133], v[130:131], v[118:119], v[128:129] op_sel:[0,0,1] op_sel_hi:[1,1,0] neg_lo:[0,0,1] neg_hi:[0,0,1]
	v_pk_fma_f32 v[128:129], v[130:131], v[118:119], v[128:129] op_sel:[0,0,1] op_sel_hi:[1,0,0]
	v_mov_b32_e32 v133, v129
	ds_load_2addr_b64 v[128:131], v122 offset0:8 offset1:9
	v_pk_add_f32 v[104:105], v[104:105], v[134:135] neg_lo:[0,1] neg_hi:[0,1]
	v_pk_add_f32 v[40:41], v[40:41], v[132:133] neg_lo:[0,1] neg_hi:[0,1]
	s_wait_dscnt 0x0
	v_pk_mul_f32 v[132:133], v[128:129], v[120:121] op_sel:[0,1]
	s_delay_alu instid0(VALU_DEP_1) | instskip(SKIP_1) | instid1(VALU_DEP_1)
	v_pk_fma_f32 v[134:135], v[128:129], v[118:119], v[132:133] op_sel:[0,0,1] op_sel_hi:[1,1,0] neg_lo:[0,0,1] neg_hi:[0,0,1]
	v_pk_fma_f32 v[128:129], v[128:129], v[118:119], v[132:133] op_sel:[0,0,1] op_sel_hi:[1,0,0]
	v_mov_b32_e32 v135, v129
	v_pk_mul_f32 v[128:129], v[130:131], v[120:121] op_sel:[0,1]
	s_delay_alu instid0(VALU_DEP_1) | instskip(SKIP_1) | instid1(VALU_DEP_1)
	v_pk_fma_f32 v[132:133], v[130:131], v[118:119], v[128:129] op_sel:[0,0,1] op_sel_hi:[1,1,0] neg_lo:[0,0,1] neg_hi:[0,0,1]
	v_pk_fma_f32 v[128:129], v[130:131], v[118:119], v[128:129] op_sel:[0,0,1] op_sel_hi:[1,0,0]
	v_mov_b32_e32 v133, v129
	ds_load_2addr_b64 v[128:131], v122 offset0:10 offset1:11
	v_pk_add_f32 v[100:101], v[100:101], v[134:135] neg_lo:[0,1] neg_hi:[0,1]
	v_pk_add_f32 v[96:97], v[96:97], v[132:133] neg_lo:[0,1] neg_hi:[0,1]
	s_wait_dscnt 0x0
	v_dual_mul_f32 v132, v129, v121 :: v_dual_mul_f32 v134, v129, v118
	s_delay_alu instid0(VALU_DEP_1) | instskip(NEXT) | instid1(VALU_DEP_2)
	v_pk_fma_f32 v[132:133], v[128:129], v[112:113], v[132:133] op_sel_hi:[1,1,0] neg_lo:[0,0,1] neg_hi:[0,0,1]
	v_pk_fma_f32 v[128:129], v[128:129], v[112:113], v[134:135] op_sel:[1,0,0] op_sel_hi:[0,1,0]
	s_delay_alu instid0(VALU_DEP_1) | instskip(SKIP_1) | instid1(VALU_DEP_2)
	v_mov_b32_e32 v133, v129
	v_pk_mul_f32 v[128:129], v[130:131], v[120:121] op_sel:[0,1]
	v_pk_add_f32 v[98:99], v[98:99], v[132:133] neg_lo:[0,1] neg_hi:[0,1]
	s_delay_alu instid0(VALU_DEP_2) | instskip(SKIP_1) | instid1(VALU_DEP_1)
	v_pk_fma_f32 v[132:133], v[130:131], v[118:119], v[128:129] op_sel:[0,0,1] op_sel_hi:[1,1,0] neg_lo:[0,0,1] neg_hi:[0,0,1]
	v_pk_fma_f32 v[128:129], v[130:131], v[118:119], v[128:129] op_sel:[0,0,1] op_sel_hi:[1,0,0]
	v_mov_b32_e32 v133, v129
	ds_load_2addr_b64 v[128:131], v122 offset0:12 offset1:13
	v_pk_add_f32 v[38:39], v[38:39], v[132:133] neg_lo:[0,1] neg_hi:[0,1]
	s_wait_dscnt 0x0
	v_pk_mul_f32 v[132:133], v[128:129], v[120:121] op_sel:[0,1]
	s_delay_alu instid0(VALU_DEP_1) | instskip(SKIP_1) | instid1(VALU_DEP_1)
	v_pk_fma_f32 v[134:135], v[128:129], v[118:119], v[132:133] op_sel:[0,0,1] op_sel_hi:[1,1,0] neg_lo:[0,0,1] neg_hi:[0,0,1]
	v_pk_fma_f32 v[128:129], v[128:129], v[118:119], v[132:133] op_sel:[0,0,1] op_sel_hi:[1,0,0]
	v_mov_b32_e32 v135, v129
	v_pk_mul_f32 v[128:129], v[130:131], v[120:121] op_sel:[0,1]
	s_delay_alu instid0(VALU_DEP_2) | instskip(NEXT) | instid1(VALU_DEP_2)
	v_pk_add_f32 v[94:95], v[94:95], v[134:135] neg_lo:[0,1] neg_hi:[0,1]
	v_pk_fma_f32 v[132:133], v[130:131], v[118:119], v[128:129] op_sel:[0,0,1] op_sel_hi:[1,1,0] neg_lo:[0,0,1] neg_hi:[0,0,1]
	v_pk_fma_f32 v[128:129], v[130:131], v[118:119], v[128:129] op_sel:[0,0,1] op_sel_hi:[1,0,0]
	s_delay_alu instid0(VALU_DEP_1) | instskip(SKIP_4) | instid1(VALU_DEP_1)
	v_mov_b32_e32 v133, v129
	ds_load_2addr_b64 v[128:131], v122 offset0:14 offset1:15
	v_pk_add_f32 v[90:91], v[90:91], v[132:133] neg_lo:[0,1] neg_hi:[0,1]
	s_wait_dscnt 0x0
	v_pk_mul_f32 v[132:133], v[128:129], v[120:121] op_sel:[0,1]
	v_pk_fma_f32 v[134:135], v[128:129], v[118:119], v[132:133] op_sel:[0,0,1] op_sel_hi:[1,1,0] neg_lo:[0,0,1] neg_hi:[0,0,1]
	v_pk_fma_f32 v[128:129], v[128:129], v[118:119], v[132:133] op_sel:[0,0,1] op_sel_hi:[1,0,0]
	v_dual_mul_f32 v132, v131, v121 :: v_dual_mov_b32 v128, v131
	s_delay_alu instid0(VALU_DEP_2) | instskip(NEXT) | instid1(VALU_DEP_2)
	v_dual_mov_b32 v135, v129 :: v_dual_mov_b32 v129, v130
	v_pk_fma_f32 v[132:133], v[130:131], v[112:113], v[132:133] op_sel_hi:[1,1,0] neg_lo:[0,0,1] neg_hi:[0,0,1]
	v_mul_f32_e32 v130, v131, v118
	s_delay_alu instid0(VALU_DEP_3) | instskip(NEXT) | instid1(VALU_DEP_2)
	v_pk_add_f32 v[92:93], v[92:93], v[134:135] neg_lo:[0,1] neg_hi:[0,1]
	v_pk_fma_f32 v[128:129], v[128:129], v[112:113], v[130:131] op_sel_hi:[1,1,0]
	s_delay_alu instid0(VALU_DEP_1) | instskip(SKIP_4) | instid1(VALU_DEP_1)
	v_mov_b32_e32 v133, v129
	ds_load_2addr_b64 v[128:131], v122 offset0:16 offset1:17
	v_pk_add_f32 v[36:37], v[36:37], v[132:133] neg_lo:[0,1] neg_hi:[0,1]
	s_wait_dscnt 0x0
	v_pk_mul_f32 v[132:133], v[128:129], v[120:121] op_sel:[0,1]
	v_pk_fma_f32 v[134:135], v[128:129], v[118:119], v[132:133] op_sel:[0,0,1] op_sel_hi:[1,1,0] neg_lo:[0,0,1] neg_hi:[0,0,1]
	v_pk_fma_f32 v[128:129], v[128:129], v[118:119], v[132:133] op_sel:[0,0,1] op_sel_hi:[1,0,0]
	s_delay_alu instid0(VALU_DEP_1) | instskip(SKIP_1) | instid1(VALU_DEP_1)
	v_mov_b32_e32 v135, v129
	v_pk_mul_f32 v[128:129], v[130:131], v[120:121] op_sel:[0,1]
	v_pk_fma_f32 v[132:133], v[130:131], v[118:119], v[128:129] op_sel:[0,0,1] op_sel_hi:[1,1,0] neg_lo:[0,0,1] neg_hi:[0,0,1]
	v_pk_fma_f32 v[128:129], v[130:131], v[118:119], v[128:129] op_sel:[0,0,1] op_sel_hi:[1,0,0]
	s_delay_alu instid0(VALU_DEP_1)
	v_mov_b32_e32 v133, v129
	ds_load_2addr_b64 v[128:131], v122 offset0:18 offset1:19
	v_pk_add_f32 v[88:89], v[88:89], v[134:135] neg_lo:[0,1] neg_hi:[0,1]
	v_pk_add_f32 v[84:85], v[84:85], v[132:133] neg_lo:[0,1] neg_hi:[0,1]
	s_wait_dscnt 0x0
	v_pk_mul_f32 v[132:133], v[128:129], v[120:121] op_sel:[0,1]
	s_delay_alu instid0(VALU_DEP_1) | instskip(SKIP_1) | instid1(VALU_DEP_1)
	v_pk_fma_f32 v[134:135], v[128:129], v[118:119], v[132:133] op_sel:[0,0,1] op_sel_hi:[1,1,0] neg_lo:[0,0,1] neg_hi:[0,0,1]
	v_pk_fma_f32 v[128:129], v[128:129], v[118:119], v[132:133] op_sel:[0,0,1] op_sel_hi:[1,0,0]
	v_mov_b32_e32 v135, v129
	v_pk_mul_f32 v[128:129], v[130:131], v[120:121] op_sel:[0,1]
	s_delay_alu instid0(VALU_DEP_1) | instskip(SKIP_1) | instid1(VALU_DEP_1)
	v_pk_fma_f32 v[132:133], v[130:131], v[118:119], v[128:129] op_sel:[0,0,1] op_sel_hi:[1,1,0] neg_lo:[0,0,1] neg_hi:[0,0,1]
	v_pk_fma_f32 v[128:129], v[130:131], v[118:119], v[128:129] op_sel:[0,0,1] op_sel_hi:[1,0,0]
	v_mov_b32_e32 v133, v129
	ds_load_2addr_b64 v[128:131], v122 offset0:20 offset1:21
	v_pk_add_f32 v[86:87], v[86:87], v[134:135] neg_lo:[0,1] neg_hi:[0,1]
	v_pk_add_f32 v[30:31], v[30:31], v[132:133] neg_lo:[0,1] neg_hi:[0,1]
	s_wait_dscnt 0x0
	v_dual_mul_f32 v132, v129, v121 :: v_dual_mul_f32 v134, v129, v118
	s_delay_alu instid0(VALU_DEP_1) | instskip(NEXT) | instid1(VALU_DEP_2)
	v_pk_fma_f32 v[132:133], v[128:129], v[112:113], v[132:133] op_sel_hi:[1,1,0] neg_lo:[0,0,1] neg_hi:[0,0,1]
	v_pk_fma_f32 v[128:129], v[128:129], v[112:113], v[134:135] op_sel:[1,0,0] op_sel_hi:[0,1,0]
	s_delay_alu instid0(VALU_DEP_1) | instskip(SKIP_1) | instid1(VALU_DEP_2)
	v_mov_b32_e32 v133, v129
	v_pk_mul_f32 v[128:129], v[130:131], v[120:121] op_sel:[0,1]
	v_pk_add_f32 v[82:83], v[82:83], v[132:133] neg_lo:[0,1] neg_hi:[0,1]
	s_delay_alu instid0(VALU_DEP_2) | instskip(SKIP_1) | instid1(VALU_DEP_1)
	v_pk_fma_f32 v[132:133], v[130:131], v[118:119], v[128:129] op_sel:[0,0,1] op_sel_hi:[1,1,0] neg_lo:[0,0,1] neg_hi:[0,0,1]
	v_pk_fma_f32 v[128:129], v[130:131], v[118:119], v[128:129] op_sel:[0,0,1] op_sel_hi:[1,0,0]
	v_mov_b32_e32 v133, v129
	ds_load_2addr_b64 v[128:131], v122 offset0:22 offset1:23
	v_pk_add_f32 v[78:79], v[78:79], v[132:133] neg_lo:[0,1] neg_hi:[0,1]
	s_wait_dscnt 0x0
	v_pk_mul_f32 v[132:133], v[128:129], v[120:121] op_sel:[0,1]
	s_delay_alu instid0(VALU_DEP_1) | instskip(SKIP_1) | instid1(VALU_DEP_1)
	v_pk_fma_f32 v[134:135], v[128:129], v[118:119], v[132:133] op_sel:[0,0,1] op_sel_hi:[1,1,0] neg_lo:[0,0,1] neg_hi:[0,0,1]
	v_pk_fma_f32 v[128:129], v[128:129], v[118:119], v[132:133] op_sel:[0,0,1] op_sel_hi:[1,0,0]
	v_mov_b32_e32 v135, v129
	v_pk_mul_f32 v[128:129], v[130:131], v[120:121] op_sel:[0,1]
	s_delay_alu instid0(VALU_DEP_2) | instskip(NEXT) | instid1(VALU_DEP_2)
	v_pk_add_f32 v[80:81], v[80:81], v[134:135] neg_lo:[0,1] neg_hi:[0,1]
	v_pk_fma_f32 v[132:133], v[130:131], v[118:119], v[128:129] op_sel:[0,0,1] op_sel_hi:[1,1,0] neg_lo:[0,0,1] neg_hi:[0,0,1]
	v_pk_fma_f32 v[128:129], v[130:131], v[118:119], v[128:129] op_sel:[0,0,1] op_sel_hi:[1,0,0]
	s_delay_alu instid0(VALU_DEP_1) | instskip(SKIP_4) | instid1(VALU_DEP_1)
	v_mov_b32_e32 v133, v129
	ds_load_2addr_b64 v[128:131], v122 offset0:24 offset1:25
	v_pk_add_f32 v[24:25], v[24:25], v[132:133] neg_lo:[0,1] neg_hi:[0,1]
	s_wait_dscnt 0x0
	v_pk_mul_f32 v[132:133], v[128:129], v[120:121] op_sel:[0,1]
	v_pk_fma_f32 v[134:135], v[128:129], v[118:119], v[132:133] op_sel:[0,0,1] op_sel_hi:[1,1,0] neg_lo:[0,0,1] neg_hi:[0,0,1]
	v_pk_fma_f32 v[128:129], v[128:129], v[118:119], v[132:133] op_sel:[0,0,1] op_sel_hi:[1,0,0]
	v_dual_mul_f32 v132, v131, v121 :: v_dual_mov_b32 v128, v131
	s_delay_alu instid0(VALU_DEP_2) | instskip(NEXT) | instid1(VALU_DEP_2)
	v_dual_mov_b32 v135, v129 :: v_dual_mov_b32 v129, v130
	v_pk_fma_f32 v[132:133], v[130:131], v[112:113], v[132:133] op_sel_hi:[1,1,0] neg_lo:[0,0,1] neg_hi:[0,0,1]
	v_mul_f32_e32 v130, v131, v118
	s_delay_alu instid0(VALU_DEP_3) | instskip(NEXT) | instid1(VALU_DEP_2)
	v_pk_add_f32 v[76:77], v[76:77], v[134:135] neg_lo:[0,1] neg_hi:[0,1]
	v_pk_fma_f32 v[128:129], v[128:129], v[112:113], v[130:131] op_sel_hi:[1,1,0]
	s_delay_alu instid0(VALU_DEP_1) | instskip(SKIP_4) | instid1(VALU_DEP_1)
	v_mov_b32_e32 v133, v129
	ds_load_2addr_b64 v[128:131], v122 offset0:26 offset1:27
	v_pk_add_f32 v[72:73], v[72:73], v[132:133] neg_lo:[0,1] neg_hi:[0,1]
	s_wait_dscnt 0x0
	v_pk_mul_f32 v[132:133], v[128:129], v[120:121] op_sel:[0,1]
	v_pk_fma_f32 v[134:135], v[128:129], v[118:119], v[132:133] op_sel:[0,0,1] op_sel_hi:[1,1,0] neg_lo:[0,0,1] neg_hi:[0,0,1]
	v_pk_fma_f32 v[128:129], v[128:129], v[118:119], v[132:133] op_sel:[0,0,1] op_sel_hi:[1,0,0]
	s_delay_alu instid0(VALU_DEP_1) | instskip(SKIP_1) | instid1(VALU_DEP_1)
	v_mov_b32_e32 v135, v129
	v_pk_mul_f32 v[128:129], v[130:131], v[120:121] op_sel:[0,1]
	v_pk_fma_f32 v[132:133], v[130:131], v[118:119], v[128:129] op_sel:[0,0,1] op_sel_hi:[1,1,0] neg_lo:[0,0,1] neg_hi:[0,0,1]
	v_pk_fma_f32 v[128:129], v[130:131], v[118:119], v[128:129] op_sel:[0,0,1] op_sel_hi:[1,0,0]
	s_delay_alu instid0(VALU_DEP_1)
	v_mov_b32_e32 v133, v129
	ds_load_2addr_b64 v[128:131], v122 offset0:28 offset1:29
	v_pk_add_f32 v[74:75], v[74:75], v[134:135] neg_lo:[0,1] neg_hi:[0,1]
	v_pk_add_f32 v[18:19], v[18:19], v[132:133] neg_lo:[0,1] neg_hi:[0,1]
	s_wait_dscnt 0x0
	v_pk_mul_f32 v[132:133], v[128:129], v[120:121] op_sel:[0,1]
	s_delay_alu instid0(VALU_DEP_1) | instskip(SKIP_1) | instid1(VALU_DEP_1)
	v_pk_fma_f32 v[134:135], v[128:129], v[118:119], v[132:133] op_sel:[0,0,1] op_sel_hi:[1,1,0] neg_lo:[0,0,1] neg_hi:[0,0,1]
	v_pk_fma_f32 v[128:129], v[128:129], v[118:119], v[132:133] op_sel:[0,0,1] op_sel_hi:[1,0,0]
	v_mov_b32_e32 v135, v129
	v_pk_mul_f32 v[128:129], v[130:131], v[120:121] op_sel:[0,1]
	s_delay_alu instid0(VALU_DEP_1) | instskip(SKIP_1) | instid1(VALU_DEP_1)
	v_pk_fma_f32 v[132:133], v[130:131], v[118:119], v[128:129] op_sel:[0,0,1] op_sel_hi:[1,1,0] neg_lo:[0,0,1] neg_hi:[0,0,1]
	v_pk_fma_f32 v[128:129], v[130:131], v[118:119], v[128:129] op_sel:[0,0,1] op_sel_hi:[1,0,0]
	v_mov_b32_e32 v133, v129
	ds_load_2addr_b64 v[128:131], v122 offset0:30 offset1:31
	v_pk_add_f32 v[70:71], v[70:71], v[134:135] neg_lo:[0,1] neg_hi:[0,1]
	v_pk_add_f32 v[66:67], v[66:67], v[132:133] neg_lo:[0,1] neg_hi:[0,1]
	s_wait_dscnt 0x0
	v_dual_mul_f32 v132, v129, v121 :: v_dual_mul_f32 v134, v129, v118
	s_delay_alu instid0(VALU_DEP_1) | instskip(NEXT) | instid1(VALU_DEP_2)
	v_pk_fma_f32 v[132:133], v[128:129], v[112:113], v[132:133] op_sel_hi:[1,1,0] neg_lo:[0,0,1] neg_hi:[0,0,1]
	v_pk_fma_f32 v[128:129], v[128:129], v[112:113], v[134:135] op_sel:[1,0,0] op_sel_hi:[0,1,0]
	s_delay_alu instid0(VALU_DEP_1) | instskip(SKIP_1) | instid1(VALU_DEP_2)
	v_mov_b32_e32 v133, v129
	v_pk_mul_f32 v[128:129], v[130:131], v[120:121] op_sel:[0,1]
	v_pk_add_f32 v[68:69], v[68:69], v[132:133] neg_lo:[0,1] neg_hi:[0,1]
	s_delay_alu instid0(VALU_DEP_2) | instskip(SKIP_1) | instid1(VALU_DEP_1)
	v_pk_fma_f32 v[132:133], v[130:131], v[118:119], v[128:129] op_sel:[0,0,1] op_sel_hi:[1,1,0] neg_lo:[0,0,1] neg_hi:[0,0,1]
	v_pk_fma_f32 v[128:129], v[130:131], v[118:119], v[128:129] op_sel:[0,0,1] op_sel_hi:[1,0,0]
	v_mov_b32_e32 v133, v129
	ds_load_2addr_b64 v[128:131], v122 offset0:32 offset1:33
	v_pk_add_f32 v[16:17], v[16:17], v[132:133] neg_lo:[0,1] neg_hi:[0,1]
	s_wait_dscnt 0x0
	v_pk_mul_f32 v[132:133], v[128:129], v[120:121] op_sel:[0,1]
	s_delay_alu instid0(VALU_DEP_1) | instskip(SKIP_1) | instid1(VALU_DEP_1)
	v_pk_fma_f32 v[134:135], v[128:129], v[118:119], v[132:133] op_sel:[0,0,1] op_sel_hi:[1,1,0] neg_lo:[0,0,1] neg_hi:[0,0,1]
	v_pk_fma_f32 v[128:129], v[128:129], v[118:119], v[132:133] op_sel:[0,0,1] op_sel_hi:[1,0,0]
	v_mov_b32_e32 v135, v129
	v_pk_mul_f32 v[128:129], v[130:131], v[120:121] op_sel:[0,1]
	s_delay_alu instid0(VALU_DEP_2) | instskip(NEXT) | instid1(VALU_DEP_2)
	v_pk_add_f32 v[64:65], v[64:65], v[134:135] neg_lo:[0,1] neg_hi:[0,1]
	v_pk_fma_f32 v[132:133], v[130:131], v[118:119], v[128:129] op_sel:[0,0,1] op_sel_hi:[1,1,0] neg_lo:[0,0,1] neg_hi:[0,0,1]
	v_pk_fma_f32 v[128:129], v[130:131], v[118:119], v[128:129] op_sel:[0,0,1] op_sel_hi:[1,0,0]
	s_delay_alu instid0(VALU_DEP_1) | instskip(SKIP_4) | instid1(VALU_DEP_1)
	v_mov_b32_e32 v133, v129
	ds_load_2addr_b64 v[128:131], v122 offset0:34 offset1:35
	v_pk_add_f32 v[60:61], v[60:61], v[132:133] neg_lo:[0,1] neg_hi:[0,1]
	s_wait_dscnt 0x0
	v_pk_mul_f32 v[132:133], v[128:129], v[120:121] op_sel:[0,1]
	v_pk_fma_f32 v[134:135], v[128:129], v[118:119], v[132:133] op_sel:[0,0,1] op_sel_hi:[1,1,0] neg_lo:[0,0,1] neg_hi:[0,0,1]
	v_pk_fma_f32 v[128:129], v[128:129], v[118:119], v[132:133] op_sel:[0,0,1] op_sel_hi:[1,0,0]
	v_dual_mul_f32 v132, v131, v121 :: v_dual_mov_b32 v128, v131
	s_delay_alu instid0(VALU_DEP_2) | instskip(NEXT) | instid1(VALU_DEP_2)
	v_dual_mov_b32 v135, v129 :: v_dual_mov_b32 v129, v130
	v_pk_fma_f32 v[132:133], v[130:131], v[112:113], v[132:133] op_sel_hi:[1,1,0] neg_lo:[0,0,1] neg_hi:[0,0,1]
	v_mul_f32_e32 v130, v131, v118
	s_delay_alu instid0(VALU_DEP_3) | instskip(NEXT) | instid1(VALU_DEP_2)
	v_pk_add_f32 v[62:63], v[62:63], v[134:135] neg_lo:[0,1] neg_hi:[0,1]
	v_pk_fma_f32 v[128:129], v[128:129], v[112:113], v[130:131] op_sel_hi:[1,1,0]
	s_delay_alu instid0(VALU_DEP_1) | instskip(SKIP_4) | instid1(VALU_DEP_1)
	v_mov_b32_e32 v133, v129
	ds_load_2addr_b64 v[128:131], v122 offset0:36 offset1:37
	v_pk_add_f32 v[14:15], v[14:15], v[132:133] neg_lo:[0,1] neg_hi:[0,1]
	s_wait_dscnt 0x0
	v_pk_mul_f32 v[132:133], v[128:129], v[120:121] op_sel:[0,1]
	v_pk_fma_f32 v[134:135], v[128:129], v[118:119], v[132:133] op_sel:[0,0,1] op_sel_hi:[1,1,0] neg_lo:[0,0,1] neg_hi:[0,0,1]
	v_pk_fma_f32 v[128:129], v[128:129], v[118:119], v[132:133] op_sel:[0,0,1] op_sel_hi:[1,0,0]
	s_delay_alu instid0(VALU_DEP_1) | instskip(SKIP_1) | instid1(VALU_DEP_1)
	v_mov_b32_e32 v135, v129
	v_pk_mul_f32 v[128:129], v[130:131], v[120:121] op_sel:[0,1]
	v_pk_fma_f32 v[132:133], v[130:131], v[118:119], v[128:129] op_sel:[0,0,1] op_sel_hi:[1,1,0] neg_lo:[0,0,1] neg_hi:[0,0,1]
	v_pk_fma_f32 v[128:129], v[130:131], v[118:119], v[128:129] op_sel:[0,0,1] op_sel_hi:[1,0,0]
	s_delay_alu instid0(VALU_DEP_1)
	v_mov_b32_e32 v133, v129
	ds_load_2addr_b64 v[128:131], v122 offset0:38 offset1:39
	v_pk_add_f32 v[58:59], v[58:59], v[134:135] neg_lo:[0,1] neg_hi:[0,1]
	v_pk_add_f32 v[54:55], v[54:55], v[132:133] neg_lo:[0,1] neg_hi:[0,1]
	s_wait_dscnt 0x0
	v_pk_mul_f32 v[132:133], v[128:129], v[120:121] op_sel:[0,1]
	s_delay_alu instid0(VALU_DEP_1) | instskip(SKIP_1) | instid1(VALU_DEP_1)
	v_pk_fma_f32 v[134:135], v[128:129], v[118:119], v[132:133] op_sel:[0,0,1] op_sel_hi:[1,1,0] neg_lo:[0,0,1] neg_hi:[0,0,1]
	v_pk_fma_f32 v[128:129], v[128:129], v[118:119], v[132:133] op_sel:[0,0,1] op_sel_hi:[1,0,0]
	v_mov_b32_e32 v135, v129
	v_pk_mul_f32 v[128:129], v[130:131], v[120:121] op_sel:[0,1]
	s_delay_alu instid0(VALU_DEP_1) | instskip(SKIP_1) | instid1(VALU_DEP_1)
	v_pk_fma_f32 v[132:133], v[130:131], v[118:119], v[128:129] op_sel:[0,0,1] op_sel_hi:[1,1,0] neg_lo:[0,0,1] neg_hi:[0,0,1]
	v_pk_fma_f32 v[128:129], v[130:131], v[118:119], v[128:129] op_sel:[0,0,1] op_sel_hi:[1,0,0]
	v_mov_b32_e32 v133, v129
	ds_load_2addr_b64 v[128:131], v122 offset0:40 offset1:41
	v_pk_add_f32 v[56:57], v[56:57], v[134:135] neg_lo:[0,1] neg_hi:[0,1]
	v_pk_add_f32 v[12:13], v[12:13], v[132:133] neg_lo:[0,1] neg_hi:[0,1]
	s_wait_dscnt 0x0
	v_dual_mul_f32 v132, v129, v121 :: v_dual_mul_f32 v134, v129, v118
	s_delay_alu instid0(VALU_DEP_1) | instskip(NEXT) | instid1(VALU_DEP_2)
	v_pk_fma_f32 v[132:133], v[128:129], v[112:113], v[132:133] op_sel_hi:[1,1,0] neg_lo:[0,0,1] neg_hi:[0,0,1]
	v_pk_fma_f32 v[128:129], v[128:129], v[112:113], v[134:135] op_sel:[1,0,0] op_sel_hi:[0,1,0]
	s_delay_alu instid0(VALU_DEP_1) | instskip(SKIP_1) | instid1(VALU_DEP_2)
	v_mov_b32_e32 v133, v129
	v_pk_mul_f32 v[128:129], v[130:131], v[120:121] op_sel:[0,1]
	v_pk_add_f32 v[52:53], v[52:53], v[132:133] neg_lo:[0,1] neg_hi:[0,1]
	s_delay_alu instid0(VALU_DEP_2) | instskip(SKIP_1) | instid1(VALU_DEP_1)
	v_pk_fma_f32 v[132:133], v[130:131], v[118:119], v[128:129] op_sel:[0,0,1] op_sel_hi:[1,1,0] neg_lo:[0,0,1] neg_hi:[0,0,1]
	v_pk_fma_f32 v[128:129], v[130:131], v[118:119], v[128:129] op_sel:[0,0,1] op_sel_hi:[1,0,0]
	v_mov_b32_e32 v133, v129
	ds_load_2addr_b64 v[128:131], v122 offset0:42 offset1:43
	v_pk_add_f32 v[48:49], v[48:49], v[132:133] neg_lo:[0,1] neg_hi:[0,1]
	s_wait_dscnt 0x0
	v_pk_mul_f32 v[132:133], v[128:129], v[120:121] op_sel:[0,1]
	s_delay_alu instid0(VALU_DEP_1) | instskip(SKIP_1) | instid1(VALU_DEP_1)
	v_pk_fma_f32 v[134:135], v[128:129], v[118:119], v[132:133] op_sel:[0,0,1] op_sel_hi:[1,1,0] neg_lo:[0,0,1] neg_hi:[0,0,1]
	v_pk_fma_f32 v[128:129], v[128:129], v[118:119], v[132:133] op_sel:[0,0,1] op_sel_hi:[1,0,0]
	v_mov_b32_e32 v135, v129
	v_pk_mul_f32 v[128:129], v[130:131], v[120:121] op_sel:[0,1]
	s_delay_alu instid0(VALU_DEP_2) | instskip(NEXT) | instid1(VALU_DEP_2)
	v_pk_add_f32 v[50:51], v[50:51], v[134:135] neg_lo:[0,1] neg_hi:[0,1]
	v_pk_fma_f32 v[132:133], v[130:131], v[118:119], v[128:129] op_sel:[0,0,1] op_sel_hi:[1,1,0] neg_lo:[0,0,1] neg_hi:[0,0,1]
	v_pk_fma_f32 v[128:129], v[130:131], v[118:119], v[128:129] op_sel:[0,0,1] op_sel_hi:[1,0,0]
	s_delay_alu instid0(VALU_DEP_1) | instskip(SKIP_4) | instid1(VALU_DEP_1)
	v_mov_b32_e32 v133, v129
	ds_load_2addr_b64 v[128:131], v122 offset0:44 offset1:45
	v_pk_add_f32 v[10:11], v[10:11], v[132:133] neg_lo:[0,1] neg_hi:[0,1]
	s_wait_dscnt 0x0
	v_pk_mul_f32 v[132:133], v[128:129], v[120:121] op_sel:[0,1]
	v_pk_fma_f32 v[134:135], v[128:129], v[118:119], v[132:133] op_sel:[0,0,1] op_sel_hi:[1,1,0] neg_lo:[0,0,1] neg_hi:[0,0,1]
	v_pk_fma_f32 v[128:129], v[128:129], v[118:119], v[132:133] op_sel:[0,0,1] op_sel_hi:[1,0,0]
	v_dual_mul_f32 v132, v131, v121 :: v_dual_mov_b32 v128, v131
	s_delay_alu instid0(VALU_DEP_2) | instskip(NEXT) | instid1(VALU_DEP_2)
	v_dual_mov_b32 v135, v129 :: v_dual_mov_b32 v129, v130
	v_pk_fma_f32 v[132:133], v[130:131], v[112:113], v[132:133] op_sel_hi:[1,1,0] neg_lo:[0,0,1] neg_hi:[0,0,1]
	v_mul_f32_e32 v130, v131, v118
	s_delay_alu instid0(VALU_DEP_3) | instskip(NEXT) | instid1(VALU_DEP_2)
	v_pk_add_f32 v[46:47], v[46:47], v[134:135] neg_lo:[0,1] neg_hi:[0,1]
	v_pk_fma_f32 v[128:129], v[128:129], v[112:113], v[130:131] op_sel_hi:[1,1,0]
	s_delay_alu instid0(VALU_DEP_1) | instskip(SKIP_4) | instid1(VALU_DEP_1)
	v_mov_b32_e32 v133, v129
	ds_load_2addr_b64 v[128:131], v122 offset0:46 offset1:47
	v_pk_add_f32 v[42:43], v[42:43], v[132:133] neg_lo:[0,1] neg_hi:[0,1]
	s_wait_dscnt 0x0
	v_pk_mul_f32 v[132:133], v[128:129], v[120:121] op_sel:[0,1]
	v_pk_fma_f32 v[134:135], v[128:129], v[118:119], v[132:133] op_sel:[0,0,1] op_sel_hi:[1,1,0] neg_lo:[0,0,1] neg_hi:[0,0,1]
	v_pk_fma_f32 v[128:129], v[128:129], v[118:119], v[132:133] op_sel:[0,0,1] op_sel_hi:[1,0,0]
	s_delay_alu instid0(VALU_DEP_1) | instskip(SKIP_1) | instid1(VALU_DEP_1)
	v_mov_b32_e32 v135, v129
	v_pk_mul_f32 v[128:129], v[130:131], v[120:121] op_sel:[0,1]
	v_pk_fma_f32 v[132:133], v[130:131], v[118:119], v[128:129] op_sel:[0,0,1] op_sel_hi:[1,1,0] neg_lo:[0,0,1] neg_hi:[0,0,1]
	v_pk_fma_f32 v[128:129], v[130:131], v[118:119], v[128:129] op_sel:[0,0,1] op_sel_hi:[1,0,0]
	s_delay_alu instid0(VALU_DEP_1)
	v_mov_b32_e32 v133, v129
	ds_load_2addr_b64 v[128:131], v122 offset0:48 offset1:49
	v_pk_add_f32 v[44:45], v[44:45], v[134:135] neg_lo:[0,1] neg_hi:[0,1]
	v_pk_add_f32 v[6:7], v[6:7], v[132:133] neg_lo:[0,1] neg_hi:[0,1]
	s_wait_dscnt 0x0
	v_pk_mul_f32 v[132:133], v[128:129], v[120:121] op_sel:[0,1]
	s_delay_alu instid0(VALU_DEP_1) | instskip(SKIP_1) | instid1(VALU_DEP_1)
	v_pk_fma_f32 v[134:135], v[128:129], v[118:119], v[132:133] op_sel:[0,0,1] op_sel_hi:[1,1,0] neg_lo:[0,0,1] neg_hi:[0,0,1]
	v_pk_fma_f32 v[128:129], v[128:129], v[118:119], v[132:133] op_sel:[0,0,1] op_sel_hi:[1,0,0]
	v_mov_b32_e32 v135, v129
	v_pk_mul_f32 v[128:129], v[130:131], v[120:121] op_sel:[0,1]
	s_delay_alu instid0(VALU_DEP_1) | instskip(SKIP_1) | instid1(VALU_DEP_1)
	v_pk_fma_f32 v[132:133], v[130:131], v[118:119], v[128:129] op_sel:[0,0,1] op_sel_hi:[1,1,0] neg_lo:[0,0,1] neg_hi:[0,0,1]
	v_pk_fma_f32 v[128:129], v[130:131], v[118:119], v[128:129] op_sel:[0,0,1] op_sel_hi:[1,0,0]
	v_mov_b32_e32 v133, v129
	ds_load_2addr_b64 v[128:131], v122 offset0:50 offset1:51
	v_pk_add_f32 v[34:35], v[34:35], v[134:135] neg_lo:[0,1] neg_hi:[0,1]
	v_pk_add_f32 v[28:29], v[28:29], v[132:133] neg_lo:[0,1] neg_hi:[0,1]
	s_wait_dscnt 0x0
	v_dual_mul_f32 v132, v129, v121 :: v_dual_mul_f32 v134, v129, v118
	s_delay_alu instid0(VALU_DEP_1) | instskip(NEXT) | instid1(VALU_DEP_2)
	v_pk_fma_f32 v[132:133], v[128:129], v[112:113], v[132:133] op_sel_hi:[1,1,0] neg_lo:[0,0,1] neg_hi:[0,0,1]
	v_pk_fma_f32 v[128:129], v[128:129], v[112:113], v[134:135] op_sel:[1,0,0] op_sel_hi:[0,1,0]
	s_delay_alu instid0(VALU_DEP_1) | instskip(SKIP_1) | instid1(VALU_DEP_2)
	v_mov_b32_e32 v133, v129
	v_pk_mul_f32 v[128:129], v[130:131], v[120:121] op_sel:[0,1]
	v_pk_add_f32 v[32:33], v[32:33], v[132:133] neg_lo:[0,1] neg_hi:[0,1]
	s_delay_alu instid0(VALU_DEP_2) | instskip(SKIP_1) | instid1(VALU_DEP_1)
	v_pk_fma_f32 v[132:133], v[130:131], v[118:119], v[128:129] op_sel:[0,0,1] op_sel_hi:[1,1,0] neg_lo:[0,0,1] neg_hi:[0,0,1]
	v_pk_fma_f32 v[128:129], v[130:131], v[118:119], v[128:129] op_sel:[0,0,1] op_sel_hi:[1,0,0]
	v_mov_b32_e32 v133, v129
	ds_load_2addr_b64 v[128:131], v122 offset0:52 offset1:53
	v_pk_add_f32 v[8:9], v[8:9], v[132:133] neg_lo:[0,1] neg_hi:[0,1]
	s_wait_dscnt 0x0
	v_pk_mul_f32 v[132:133], v[128:129], v[120:121] op_sel:[0,1]
	s_delay_alu instid0(VALU_DEP_1) | instskip(SKIP_1) | instid1(VALU_DEP_1)
	v_pk_fma_f32 v[134:135], v[128:129], v[118:119], v[132:133] op_sel:[0,0,1] op_sel_hi:[1,1,0] neg_lo:[0,0,1] neg_hi:[0,0,1]
	v_pk_fma_f32 v[128:129], v[128:129], v[118:119], v[132:133] op_sel:[0,0,1] op_sel_hi:[1,0,0]
	v_mov_b32_e32 v135, v129
	v_pk_mul_f32 v[128:129], v[130:131], v[120:121] op_sel:[0,1]
	s_delay_alu instid0(VALU_DEP_2) | instskip(NEXT) | instid1(VALU_DEP_2)
	v_pk_add_f32 v[26:27], v[26:27], v[134:135] neg_lo:[0,1] neg_hi:[0,1]
	v_pk_fma_f32 v[132:133], v[130:131], v[118:119], v[128:129] op_sel:[0,0,1] op_sel_hi:[1,1,0] neg_lo:[0,0,1] neg_hi:[0,0,1]
	v_pk_fma_f32 v[128:129], v[130:131], v[118:119], v[128:129] op_sel:[0,0,1] op_sel_hi:[1,0,0]
	s_delay_alu instid0(VALU_DEP_1)
	v_mov_b32_e32 v133, v129
	ds_load_2addr_b64 v[128:131], v122 offset0:54 offset1:55
	v_pk_add_f32 v[22:23], v[22:23], v[132:133] neg_lo:[0,1] neg_hi:[0,1]
	s_wait_dscnt 0x0
	v_pk_mul_f32 v[132:133], v[128:129], v[120:121] op_sel:[0,1]
	v_mul_f32_e32 v120, v131, v121
	s_delay_alu instid0(VALU_DEP_2) | instskip(SKIP_2) | instid1(VALU_DEP_4)
	v_pk_fma_f32 v[134:135], v[128:129], v[118:119], v[132:133] op_sel:[0,0,1] op_sel_hi:[1,1,0] neg_lo:[0,0,1] neg_hi:[0,0,1]
	v_pk_fma_f32 v[128:129], v[128:129], v[118:119], v[132:133] op_sel:[0,0,1] op_sel_hi:[1,0,0]
	v_dual_mov_b32 v128, v131 :: v_dual_mul_f32 v118, v131, v118
	v_pk_fma_f32 v[120:121], v[130:131], v[112:113], v[120:121] op_sel_hi:[1,1,0] neg_lo:[0,0,1] neg_hi:[0,0,1]
	s_delay_alu instid0(VALU_DEP_3) | instskip(NEXT) | instid1(VALU_DEP_1)
	v_dual_mov_b32 v135, v129 :: v_dual_mov_b32 v129, v130
	v_pk_add_f32 v[20:21], v[20:21], v[134:135] neg_lo:[0,1] neg_hi:[0,1]
	s_delay_alu instid0(VALU_DEP_2) | instskip(NEXT) | instid1(VALU_DEP_1)
	v_pk_fma_f32 v[118:119], v[128:129], v[112:113], v[118:119] op_sel_hi:[1,1,0]
	v_mov_b32_e32 v121, v119
	s_delay_alu instid0(VALU_DEP_1)
	v_pk_add_f32 v[116:117], v[116:117], v[120:121] neg_lo:[0,1] neg_hi:[0,1]
.LBB110_41:
	s_or_b32 exec_lo, exec_lo, s0
	v_lshl_add_u32 v118, v126, 3, v122
	s_barrier_signal -1
	s_barrier_wait -1
	ds_store_b64 v118, v[110:111]
	s_wait_dscnt 0x0
	s_barrier_signal -1
	s_barrier_wait -1
	ds_load_b64 v[120:121], v122 offset:16
	v_mov_b32_e32 v118, 2
	s_cmp_lt_i32 s18, 4
	s_mov_b32 s0, 3
	s_cbranch_scc1 .LBB110_44
; %bb.42:
	v_add3_u32 v119, v123, 0, 24
	v_mov_b32_e32 v118, 2
.LBB110_43:                             ; =>This Inner Loop Header: Depth=1
	ds_load_b64 v[128:129], v119
	s_wait_dscnt 0x1
	v_cmp_gt_f32_e32 vcc_lo, 0, v120
	v_cndmask_b32_e64 v130, v120, -v120, vcc_lo
	v_cmp_gt_f32_e32 vcc_lo, 0, v121
	v_cndmask_b32_e64 v132, v121, -v121, vcc_lo
	s_wait_dscnt 0x0
	v_cmp_gt_f32_e32 vcc_lo, 0, v128
	v_cndmask_b32_e64 v131, v128, -v128, vcc_lo
	v_cmp_gt_f32_e32 vcc_lo, 0, v129
	v_cndmask_b32_e64 v133, v129, -v129, vcc_lo
	s_delay_alu instid0(VALU_DEP_1) | instskip(NEXT) | instid1(VALU_DEP_1)
	v_pk_add_f32 v[130:131], v[130:131], v[132:133]
	v_cmp_lt_f32_e32 vcc_lo, v130, v131
	v_dual_add_nc_u32 v119, 8, v119 :: v_dual_cndmask_b32 v121, v121, v129, vcc_lo
	v_cndmask_b32_e32 v120, v120, v128, vcc_lo
	v_cndmask_b32_e64 v118, v118, s0, vcc_lo
	s_add_co_i32 s0, s0, 1
	s_delay_alu instid0(SALU_CYCLE_1)
	s_cmp_lg_u32 s18, s0
	s_cbranch_scc1 .LBB110_43
.LBB110_44:
	s_wait_dscnt 0x0
	v_cmp_eq_f32_e32 vcc_lo, 0, v120
	v_cmp_eq_f32_e64 s0, 0, v121
	s_and_b32 s0, vcc_lo, s0
	s_delay_alu instid0(SALU_CYCLE_1) | instskip(NEXT) | instid1(SALU_CYCLE_1)
	s_and_saveexec_b32 s1, s0
	s_xor_b32 s0, exec_lo, s1
; %bb.45:
	v_cmp_ne_u32_e32 vcc_lo, 0, v124
	v_cndmask_b32_e32 v124, 3, v124, vcc_lo
; %bb.46:
	s_and_not1_saveexec_b32 s0, s0
	s_cbranch_execz .LBB110_52
; %bb.47:
	v_cmp_ngt_f32_e64 s1, |v120|, |v121|
	s_and_saveexec_b32 s12, s1
	s_delay_alu instid0(SALU_CYCLE_1)
	s_xor_b32 s1, exec_lo, s12
	s_cbranch_execz .LBB110_49
; %bb.48:
	v_div_scale_f32 v119, null, v121, v121, v120
	v_div_scale_f32 v129, vcc_lo, v120, v121, v120
	s_delay_alu instid0(VALU_DEP_2) | instskip(SKIP_1) | instid1(TRANS32_DEP_1)
	v_rcp_f32_e32 v127, v119
	v_nop
	v_fma_f32 v128, -v119, v127, 1.0
	s_delay_alu instid0(VALU_DEP_1) | instskip(NEXT) | instid1(VALU_DEP_1)
	v_fmac_f32_e32 v127, v128, v127
	v_mul_f32_e32 v128, v129, v127
	s_delay_alu instid0(VALU_DEP_1) | instskip(NEXT) | instid1(VALU_DEP_1)
	v_fma_f32 v130, -v119, v128, v129
	v_fmac_f32_e32 v128, v130, v127
	s_delay_alu instid0(VALU_DEP_1) | instskip(NEXT) | instid1(VALU_DEP_1)
	v_fma_f32 v119, -v119, v128, v129
	v_div_fmas_f32 v119, v119, v127, v128
	s_delay_alu instid0(VALU_DEP_1) | instskip(NEXT) | instid1(VALU_DEP_1)
	v_div_fixup_f32 v119, v119, v121, v120
	v_fmac_f32_e32 v121, v120, v119
	s_delay_alu instid0(VALU_DEP_1) | instskip(SKIP_1) | instid1(VALU_DEP_2)
	v_div_scale_f32 v120, null, v121, v121, 1.0
	v_div_scale_f32 v129, vcc_lo, 1.0, v121, 1.0
	v_rcp_f32_e32 v127, v120
	v_nop
	s_delay_alu instid0(TRANS32_DEP_1) | instskip(NEXT) | instid1(VALU_DEP_1)
	v_fma_f32 v128, -v120, v127, 1.0
	v_fmac_f32_e32 v127, v128, v127
	s_delay_alu instid0(VALU_DEP_1) | instskip(NEXT) | instid1(VALU_DEP_1)
	v_mul_f32_e32 v128, v129, v127
	v_fma_f32 v130, -v120, v128, v129
	s_delay_alu instid0(VALU_DEP_1) | instskip(NEXT) | instid1(VALU_DEP_1)
	v_fmac_f32_e32 v128, v130, v127
	v_fma_f32 v120, -v120, v128, v129
	s_delay_alu instid0(VALU_DEP_1) | instskip(NEXT) | instid1(VALU_DEP_1)
	v_div_fmas_f32 v120, v120, v127, v128
	v_div_fixup_f32 v121, v120, v121, 1.0
	s_delay_alu instid0(VALU_DEP_1)
	v_mul_f32_e32 v120, v119, v121
	v_xor_b32_e32 v121, 0x80000000, v121
.LBB110_49:
	s_and_not1_saveexec_b32 s1, s1
	s_cbranch_execz .LBB110_51
; %bb.50:
	s_delay_alu instid0(VALU_DEP_1) | instskip(SKIP_1) | instid1(VALU_DEP_2)
	v_div_scale_f32 v119, null, v120, v120, v121
	v_div_scale_f32 v129, vcc_lo, v121, v120, v121
	v_rcp_f32_e32 v127, v119
	v_nop
	s_delay_alu instid0(TRANS32_DEP_1) | instskip(NEXT) | instid1(VALU_DEP_1)
	v_fma_f32 v128, -v119, v127, 1.0
	v_fmac_f32_e32 v127, v128, v127
	s_delay_alu instid0(VALU_DEP_1) | instskip(NEXT) | instid1(VALU_DEP_1)
	v_mul_f32_e32 v128, v129, v127
	v_fma_f32 v130, -v119, v128, v129
	s_delay_alu instid0(VALU_DEP_1) | instskip(NEXT) | instid1(VALU_DEP_1)
	v_fmac_f32_e32 v128, v130, v127
	v_fma_f32 v119, -v119, v128, v129
	s_delay_alu instid0(VALU_DEP_1) | instskip(NEXT) | instid1(VALU_DEP_1)
	v_div_fmas_f32 v119, v119, v127, v128
	v_div_fixup_f32 v119, v119, v120, v121
	s_delay_alu instid0(VALU_DEP_1) | instskip(NEXT) | instid1(VALU_DEP_1)
	v_fmac_f32_e32 v120, v121, v119
	v_div_scale_f32 v121, null, v120, v120, 1.0
	s_delay_alu instid0(VALU_DEP_1) | instskip(SKIP_1) | instid1(TRANS32_DEP_1)
	v_rcp_f32_e32 v127, v121
	v_nop
	v_fma_f32 v128, -v121, v127, 1.0
	s_delay_alu instid0(VALU_DEP_1) | instskip(SKIP_1) | instid1(VALU_DEP_1)
	v_fmac_f32_e32 v127, v128, v127
	v_div_scale_f32 v128, vcc_lo, 1.0, v120, 1.0
	v_mul_f32_e32 v129, v128, v127
	s_delay_alu instid0(VALU_DEP_1) | instskip(NEXT) | instid1(VALU_DEP_1)
	v_fma_f32 v130, -v121, v129, v128
	v_fmac_f32_e32 v129, v130, v127
	s_delay_alu instid0(VALU_DEP_1) | instskip(NEXT) | instid1(VALU_DEP_1)
	v_fma_f32 v121, -v121, v129, v128
	v_div_fmas_f32 v121, v121, v127, v129
	s_delay_alu instid0(VALU_DEP_1) | instskip(NEXT) | instid1(VALU_DEP_1)
	v_div_fixup_f32 v120, v121, v120, 1.0
	v_mul_f32_e64 v121, v119, -v120
.LBB110_51:
	s_or_b32 exec_lo, exec_lo, s1
.LBB110_52:
	s_delay_alu instid0(SALU_CYCLE_1) | instskip(NEXT) | instid1(SALU_CYCLE_1)
	s_or_b32 exec_lo, exec_lo, s0
	s_mov_b32 s0, exec_lo
	v_cmpx_ne_u32_e64 v126, v118
	s_xor_b32 s0, exec_lo, s0
	s_cbranch_execz .LBB110_58
; %bb.53:
	s_mov_b32 s1, exec_lo
	v_cmpx_eq_u32_e32 2, v126
	s_cbranch_execz .LBB110_57
; %bb.54:
	v_cmp_ne_u32_e32 vcc_lo, 2, v118
	s_xor_b32 s12, s16, -1
	s_delay_alu instid0(SALU_CYCLE_1) | instskip(NEXT) | instid1(SALU_CYCLE_1)
	s_and_b32 s13, s12, vcc_lo
	s_and_saveexec_b32 s12, s13
	s_cbranch_execz .LBB110_56
; %bb.55:
	v_ashrrev_i32_e32 v119, 31, v118
	s_delay_alu instid0(VALU_DEP_1)
	v_lshl_add_u64 v[126:127], v[118:119], 2, v[4:5]
	s_clause 0x1
	global_load_b32 v119, v[126:127], off
	global_load_b32 v125, v[4:5], off offset:8
	s_wait_loadcnt 0x1
	global_store_b32 v[4:5], v119, off offset:8
	s_wait_loadcnt 0x0
	global_store_b32 v[126:127], v125, off
.LBB110_56:
	s_wait_xcnt 0x0
	s_or_b32 exec_lo, exec_lo, s12
	v_dual_mov_b32 v126, v118 :: v_dual_mov_b32 v125, v118
.LBB110_57:
	s_or_b32 exec_lo, exec_lo, s1
.LBB110_58:
	s_and_not1_saveexec_b32 s0, s0
	s_cbranch_execz .LBB110_60
; %bb.59:
	v_mov_b32_e32 v126, 2
	ds_store_2addr_b64 v122, v[108:109], v[106:107] offset0:3 offset1:4
	ds_store_2addr_b64 v122, v[102:103], v[104:105] offset0:5 offset1:6
	;; [unrolled: 1-line block ×26, first 2 shown]
	ds_store_b64 v122, v[116:117] offset:440
.LBB110_60:
	s_or_b32 exec_lo, exec_lo, s0
	s_delay_alu instid0(SALU_CYCLE_1)
	s_mov_b32 s0, exec_lo
	s_wait_storecnt_dscnt 0x0
	s_barrier_signal -1
	s_barrier_wait -1
	v_cmpx_lt_i32_e32 2, v126
	s_cbranch_execz .LBB110_62
; %bb.61:
	v_pk_mul_f32 v[128:129], v[120:121], v[110:111] op_sel:[1,1] op_sel_hi:[0,1]
	s_delay_alu instid0(VALU_DEP_1)
	v_pk_fma_f32 v[118:119], v[120:121], v[110:111], v[128:129] op_sel_hi:[1,0,1] neg_lo:[0,0,1] neg_hi:[0,0,1]
	v_pk_fma_f32 v[120:121], v[120:121], v[110:111], v[128:129] op_sel_hi:[1,0,1]
	ds_load_2addr_b64 v[128:131], v122 offset0:3 offset1:4
	v_dual_mov_b32 v110, v118 :: v_dual_mov_b32 v111, v121
	s_wait_dscnt 0x0
	v_pk_mul_f32 v[132:133], v[128:129], v[120:121] op_sel:[0,1]
	s_delay_alu instid0(VALU_DEP_1) | instskip(SKIP_1) | instid1(VALU_DEP_1)
	v_pk_fma_f32 v[134:135], v[128:129], v[118:119], v[132:133] op_sel:[0,0,1] op_sel_hi:[1,1,0] neg_lo:[0,0,1] neg_hi:[0,0,1]
	v_pk_fma_f32 v[128:129], v[128:129], v[118:119], v[132:133] op_sel:[0,0,1] op_sel_hi:[1,0,0]
	v_mov_b32_e32 v135, v129
	v_pk_mul_f32 v[128:129], v[130:131], v[120:121] op_sel:[0,1]
	s_delay_alu instid0(VALU_DEP_1) | instskip(SKIP_1) | instid1(VALU_DEP_1)
	v_pk_fma_f32 v[132:133], v[130:131], v[118:119], v[128:129] op_sel:[0,0,1] op_sel_hi:[1,1,0] neg_lo:[0,0,1] neg_hi:[0,0,1]
	v_pk_fma_f32 v[128:129], v[130:131], v[118:119], v[128:129] op_sel:[0,0,1] op_sel_hi:[1,0,0]
	v_mov_b32_e32 v133, v129
	ds_load_2addr_b64 v[128:131], v122 offset0:5 offset1:6
	v_pk_add_f32 v[108:109], v[108:109], v[134:135] neg_lo:[0,1] neg_hi:[0,1]
	v_pk_add_f32 v[106:107], v[106:107], v[132:133] neg_lo:[0,1] neg_hi:[0,1]
	s_wait_dscnt 0x0
	v_pk_mul_f32 v[132:133], v[128:129], v[120:121] op_sel:[0,1]
	s_delay_alu instid0(VALU_DEP_1) | instskip(SKIP_2) | instid1(VALU_DEP_2)
	v_pk_fma_f32 v[134:135], v[128:129], v[118:119], v[132:133] op_sel:[0,0,1] op_sel_hi:[1,1,0] neg_lo:[0,0,1] neg_hi:[0,0,1]
	v_pk_fma_f32 v[128:129], v[128:129], v[118:119], v[132:133] op_sel:[0,0,1] op_sel_hi:[1,0,0]
	v_dual_mul_f32 v132, v131, v121 :: v_dual_mov_b32 v128, v131
	v_dual_mov_b32 v135, v129 :: v_dual_mov_b32 v129, v130
	s_delay_alu instid0(VALU_DEP_2) | instskip(SKIP_1) | instid1(VALU_DEP_3)
	v_pk_fma_f32 v[132:133], v[130:131], v[110:111], v[132:133] op_sel_hi:[1,1,0] neg_lo:[0,0,1] neg_hi:[0,0,1]
	v_mul_f32_e32 v130, v131, v118
	v_pk_add_f32 v[102:103], v[102:103], v[134:135] neg_lo:[0,1] neg_hi:[0,1]
	s_delay_alu instid0(VALU_DEP_2) | instskip(NEXT) | instid1(VALU_DEP_1)
	v_pk_fma_f32 v[128:129], v[128:129], v[110:111], v[130:131] op_sel_hi:[1,1,0]
	v_mov_b32_e32 v133, v129
	ds_load_2addr_b64 v[128:131], v122 offset0:7 offset1:8
	v_pk_add_f32 v[104:105], v[104:105], v[132:133] neg_lo:[0,1] neg_hi:[0,1]
	s_wait_dscnt 0x0
	v_pk_mul_f32 v[132:133], v[128:129], v[120:121] op_sel:[0,1]
	s_delay_alu instid0(VALU_DEP_1) | instskip(SKIP_1) | instid1(VALU_DEP_1)
	v_pk_fma_f32 v[134:135], v[128:129], v[118:119], v[132:133] op_sel:[0,0,1] op_sel_hi:[1,1,0] neg_lo:[0,0,1] neg_hi:[0,0,1]
	v_pk_fma_f32 v[128:129], v[128:129], v[118:119], v[132:133] op_sel:[0,0,1] op_sel_hi:[1,0,0]
	v_mov_b32_e32 v135, v129
	v_pk_mul_f32 v[128:129], v[130:131], v[120:121] op_sel:[0,1]
	s_delay_alu instid0(VALU_DEP_1) | instskip(SKIP_1) | instid1(VALU_DEP_1)
	v_pk_fma_f32 v[132:133], v[130:131], v[118:119], v[128:129] op_sel:[0,0,1] op_sel_hi:[1,1,0] neg_lo:[0,0,1] neg_hi:[0,0,1]
	v_pk_fma_f32 v[128:129], v[130:131], v[118:119], v[128:129] op_sel:[0,0,1] op_sel_hi:[1,0,0]
	v_mov_b32_e32 v133, v129
	ds_load_2addr_b64 v[128:131], v122 offset0:9 offset1:10
	v_pk_add_f32 v[40:41], v[40:41], v[134:135] neg_lo:[0,1] neg_hi:[0,1]
	v_pk_add_f32 v[100:101], v[100:101], v[132:133] neg_lo:[0,1] neg_hi:[0,1]
	s_wait_dscnt 0x0
	v_pk_mul_f32 v[132:133], v[128:129], v[120:121] op_sel:[0,1]
	s_delay_alu instid0(VALU_DEP_1) | instskip(SKIP_1) | instid1(VALU_DEP_1)
	v_pk_fma_f32 v[134:135], v[128:129], v[118:119], v[132:133] op_sel:[0,0,1] op_sel_hi:[1,1,0] neg_lo:[0,0,1] neg_hi:[0,0,1]
	v_pk_fma_f32 v[128:129], v[128:129], v[118:119], v[132:133] op_sel:[0,0,1] op_sel_hi:[1,0,0]
	v_mov_b32_e32 v135, v129
	v_pk_mul_f32 v[128:129], v[130:131], v[120:121] op_sel:[0,1]
	s_delay_alu instid0(VALU_DEP_1) | instskip(SKIP_1) | instid1(VALU_DEP_1)
	v_pk_fma_f32 v[132:133], v[130:131], v[118:119], v[128:129] op_sel:[0,0,1] op_sel_hi:[1,1,0] neg_lo:[0,0,1] neg_hi:[0,0,1]
	v_pk_fma_f32 v[128:129], v[130:131], v[118:119], v[128:129] op_sel:[0,0,1] op_sel_hi:[1,0,0]
	v_mov_b32_e32 v133, v129
	ds_load_2addr_b64 v[128:131], v122 offset0:11 offset1:12
	v_pk_add_f32 v[96:97], v[96:97], v[134:135] neg_lo:[0,1] neg_hi:[0,1]
	v_pk_add_f32 v[98:99], v[98:99], v[132:133] neg_lo:[0,1] neg_hi:[0,1]
	s_wait_dscnt 0x0
	v_dual_mul_f32 v132, v129, v121 :: v_dual_mul_f32 v134, v129, v118
	s_delay_alu instid0(VALU_DEP_1) | instskip(NEXT) | instid1(VALU_DEP_2)
	v_pk_fma_f32 v[132:133], v[128:129], v[110:111], v[132:133] op_sel_hi:[1,1,0] neg_lo:[0,0,1] neg_hi:[0,0,1]
	v_pk_fma_f32 v[128:129], v[128:129], v[110:111], v[134:135] op_sel:[1,0,0] op_sel_hi:[0,1,0]
	s_delay_alu instid0(VALU_DEP_1) | instskip(SKIP_1) | instid1(VALU_DEP_2)
	v_mov_b32_e32 v133, v129
	v_pk_mul_f32 v[128:129], v[130:131], v[120:121] op_sel:[0,1]
	v_pk_add_f32 v[38:39], v[38:39], v[132:133] neg_lo:[0,1] neg_hi:[0,1]
	s_delay_alu instid0(VALU_DEP_2) | instskip(SKIP_1) | instid1(VALU_DEP_1)
	v_pk_fma_f32 v[132:133], v[130:131], v[118:119], v[128:129] op_sel:[0,0,1] op_sel_hi:[1,1,0] neg_lo:[0,0,1] neg_hi:[0,0,1]
	v_pk_fma_f32 v[128:129], v[130:131], v[118:119], v[128:129] op_sel:[0,0,1] op_sel_hi:[1,0,0]
	v_mov_b32_e32 v133, v129
	ds_load_2addr_b64 v[128:131], v122 offset0:13 offset1:14
	v_pk_add_f32 v[94:95], v[94:95], v[132:133] neg_lo:[0,1] neg_hi:[0,1]
	s_wait_dscnt 0x0
	v_pk_mul_f32 v[132:133], v[128:129], v[120:121] op_sel:[0,1]
	s_delay_alu instid0(VALU_DEP_1) | instskip(SKIP_1) | instid1(VALU_DEP_1)
	v_pk_fma_f32 v[134:135], v[128:129], v[118:119], v[132:133] op_sel:[0,0,1] op_sel_hi:[1,1,0] neg_lo:[0,0,1] neg_hi:[0,0,1]
	v_pk_fma_f32 v[128:129], v[128:129], v[118:119], v[132:133] op_sel:[0,0,1] op_sel_hi:[1,0,0]
	v_mov_b32_e32 v135, v129
	v_pk_mul_f32 v[128:129], v[130:131], v[120:121] op_sel:[0,1]
	s_delay_alu instid0(VALU_DEP_2) | instskip(NEXT) | instid1(VALU_DEP_2)
	v_pk_add_f32 v[90:91], v[90:91], v[134:135] neg_lo:[0,1] neg_hi:[0,1]
	v_pk_fma_f32 v[132:133], v[130:131], v[118:119], v[128:129] op_sel:[0,0,1] op_sel_hi:[1,1,0] neg_lo:[0,0,1] neg_hi:[0,0,1]
	v_pk_fma_f32 v[128:129], v[130:131], v[118:119], v[128:129] op_sel:[0,0,1] op_sel_hi:[1,0,0]
	s_delay_alu instid0(VALU_DEP_1) | instskip(SKIP_4) | instid1(VALU_DEP_1)
	v_mov_b32_e32 v133, v129
	ds_load_2addr_b64 v[128:131], v122 offset0:15 offset1:16
	v_pk_add_f32 v[92:93], v[92:93], v[132:133] neg_lo:[0,1] neg_hi:[0,1]
	s_wait_dscnt 0x0
	v_pk_mul_f32 v[132:133], v[128:129], v[120:121] op_sel:[0,1]
	v_pk_fma_f32 v[134:135], v[128:129], v[118:119], v[132:133] op_sel:[0,0,1] op_sel_hi:[1,1,0] neg_lo:[0,0,1] neg_hi:[0,0,1]
	v_pk_fma_f32 v[128:129], v[128:129], v[118:119], v[132:133] op_sel:[0,0,1] op_sel_hi:[1,0,0]
	v_dual_mul_f32 v132, v131, v121 :: v_dual_mov_b32 v128, v131
	s_delay_alu instid0(VALU_DEP_2) | instskip(NEXT) | instid1(VALU_DEP_2)
	v_dual_mov_b32 v135, v129 :: v_dual_mov_b32 v129, v130
	v_pk_fma_f32 v[132:133], v[130:131], v[110:111], v[132:133] op_sel_hi:[1,1,0] neg_lo:[0,0,1] neg_hi:[0,0,1]
	v_mul_f32_e32 v130, v131, v118
	s_delay_alu instid0(VALU_DEP_3) | instskip(NEXT) | instid1(VALU_DEP_2)
	v_pk_add_f32 v[36:37], v[36:37], v[134:135] neg_lo:[0,1] neg_hi:[0,1]
	v_pk_fma_f32 v[128:129], v[128:129], v[110:111], v[130:131] op_sel_hi:[1,1,0]
	s_delay_alu instid0(VALU_DEP_1) | instskip(SKIP_4) | instid1(VALU_DEP_1)
	v_mov_b32_e32 v133, v129
	ds_load_2addr_b64 v[128:131], v122 offset0:17 offset1:18
	v_pk_add_f32 v[88:89], v[88:89], v[132:133] neg_lo:[0,1] neg_hi:[0,1]
	s_wait_dscnt 0x0
	v_pk_mul_f32 v[132:133], v[128:129], v[120:121] op_sel:[0,1]
	v_pk_fma_f32 v[134:135], v[128:129], v[118:119], v[132:133] op_sel:[0,0,1] op_sel_hi:[1,1,0] neg_lo:[0,0,1] neg_hi:[0,0,1]
	v_pk_fma_f32 v[128:129], v[128:129], v[118:119], v[132:133] op_sel:[0,0,1] op_sel_hi:[1,0,0]
	s_delay_alu instid0(VALU_DEP_1) | instskip(SKIP_1) | instid1(VALU_DEP_1)
	v_mov_b32_e32 v135, v129
	v_pk_mul_f32 v[128:129], v[130:131], v[120:121] op_sel:[0,1]
	v_pk_fma_f32 v[132:133], v[130:131], v[118:119], v[128:129] op_sel:[0,0,1] op_sel_hi:[1,1,0] neg_lo:[0,0,1] neg_hi:[0,0,1]
	v_pk_fma_f32 v[128:129], v[130:131], v[118:119], v[128:129] op_sel:[0,0,1] op_sel_hi:[1,0,0]
	s_delay_alu instid0(VALU_DEP_1)
	v_mov_b32_e32 v133, v129
	ds_load_2addr_b64 v[128:131], v122 offset0:19 offset1:20
	v_pk_add_f32 v[84:85], v[84:85], v[134:135] neg_lo:[0,1] neg_hi:[0,1]
	v_pk_add_f32 v[86:87], v[86:87], v[132:133] neg_lo:[0,1] neg_hi:[0,1]
	s_wait_dscnt 0x0
	v_pk_mul_f32 v[132:133], v[128:129], v[120:121] op_sel:[0,1]
	s_delay_alu instid0(VALU_DEP_1) | instskip(SKIP_1) | instid1(VALU_DEP_1)
	v_pk_fma_f32 v[134:135], v[128:129], v[118:119], v[132:133] op_sel:[0,0,1] op_sel_hi:[1,1,0] neg_lo:[0,0,1] neg_hi:[0,0,1]
	v_pk_fma_f32 v[128:129], v[128:129], v[118:119], v[132:133] op_sel:[0,0,1] op_sel_hi:[1,0,0]
	v_mov_b32_e32 v135, v129
	v_pk_mul_f32 v[128:129], v[130:131], v[120:121] op_sel:[0,1]
	s_delay_alu instid0(VALU_DEP_1) | instskip(SKIP_1) | instid1(VALU_DEP_1)
	v_pk_fma_f32 v[132:133], v[130:131], v[118:119], v[128:129] op_sel:[0,0,1] op_sel_hi:[1,1,0] neg_lo:[0,0,1] neg_hi:[0,0,1]
	v_pk_fma_f32 v[128:129], v[130:131], v[118:119], v[128:129] op_sel:[0,0,1] op_sel_hi:[1,0,0]
	v_mov_b32_e32 v133, v129
	ds_load_2addr_b64 v[128:131], v122 offset0:21 offset1:22
	v_pk_add_f32 v[30:31], v[30:31], v[134:135] neg_lo:[0,1] neg_hi:[0,1]
	v_pk_add_f32 v[82:83], v[82:83], v[132:133] neg_lo:[0,1] neg_hi:[0,1]
	s_wait_dscnt 0x0
	v_dual_mul_f32 v132, v129, v121 :: v_dual_mul_f32 v134, v129, v118
	s_delay_alu instid0(VALU_DEP_1) | instskip(NEXT) | instid1(VALU_DEP_2)
	v_pk_fma_f32 v[132:133], v[128:129], v[110:111], v[132:133] op_sel_hi:[1,1,0] neg_lo:[0,0,1] neg_hi:[0,0,1]
	v_pk_fma_f32 v[128:129], v[128:129], v[110:111], v[134:135] op_sel:[1,0,0] op_sel_hi:[0,1,0]
	s_delay_alu instid0(VALU_DEP_1) | instskip(SKIP_1) | instid1(VALU_DEP_2)
	v_mov_b32_e32 v133, v129
	v_pk_mul_f32 v[128:129], v[130:131], v[120:121] op_sel:[0,1]
	v_pk_add_f32 v[78:79], v[78:79], v[132:133] neg_lo:[0,1] neg_hi:[0,1]
	s_delay_alu instid0(VALU_DEP_2) | instskip(SKIP_1) | instid1(VALU_DEP_1)
	v_pk_fma_f32 v[132:133], v[130:131], v[118:119], v[128:129] op_sel:[0,0,1] op_sel_hi:[1,1,0] neg_lo:[0,0,1] neg_hi:[0,0,1]
	v_pk_fma_f32 v[128:129], v[130:131], v[118:119], v[128:129] op_sel:[0,0,1] op_sel_hi:[1,0,0]
	v_mov_b32_e32 v133, v129
	ds_load_2addr_b64 v[128:131], v122 offset0:23 offset1:24
	v_pk_add_f32 v[80:81], v[80:81], v[132:133] neg_lo:[0,1] neg_hi:[0,1]
	s_wait_dscnt 0x0
	v_pk_mul_f32 v[132:133], v[128:129], v[120:121] op_sel:[0,1]
	s_delay_alu instid0(VALU_DEP_1) | instskip(SKIP_1) | instid1(VALU_DEP_1)
	v_pk_fma_f32 v[134:135], v[128:129], v[118:119], v[132:133] op_sel:[0,0,1] op_sel_hi:[1,1,0] neg_lo:[0,0,1] neg_hi:[0,0,1]
	v_pk_fma_f32 v[128:129], v[128:129], v[118:119], v[132:133] op_sel:[0,0,1] op_sel_hi:[1,0,0]
	v_mov_b32_e32 v135, v129
	v_pk_mul_f32 v[128:129], v[130:131], v[120:121] op_sel:[0,1]
	s_delay_alu instid0(VALU_DEP_2) | instskip(NEXT) | instid1(VALU_DEP_2)
	v_pk_add_f32 v[24:25], v[24:25], v[134:135] neg_lo:[0,1] neg_hi:[0,1]
	v_pk_fma_f32 v[132:133], v[130:131], v[118:119], v[128:129] op_sel:[0,0,1] op_sel_hi:[1,1,0] neg_lo:[0,0,1] neg_hi:[0,0,1]
	v_pk_fma_f32 v[128:129], v[130:131], v[118:119], v[128:129] op_sel:[0,0,1] op_sel_hi:[1,0,0]
	s_delay_alu instid0(VALU_DEP_1) | instskip(SKIP_4) | instid1(VALU_DEP_1)
	v_mov_b32_e32 v133, v129
	ds_load_2addr_b64 v[128:131], v122 offset0:25 offset1:26
	v_pk_add_f32 v[76:77], v[76:77], v[132:133] neg_lo:[0,1] neg_hi:[0,1]
	s_wait_dscnt 0x0
	v_pk_mul_f32 v[132:133], v[128:129], v[120:121] op_sel:[0,1]
	v_pk_fma_f32 v[134:135], v[128:129], v[118:119], v[132:133] op_sel:[0,0,1] op_sel_hi:[1,1,0] neg_lo:[0,0,1] neg_hi:[0,0,1]
	v_pk_fma_f32 v[128:129], v[128:129], v[118:119], v[132:133] op_sel:[0,0,1] op_sel_hi:[1,0,0]
	v_dual_mul_f32 v132, v131, v121 :: v_dual_mov_b32 v128, v131
	s_delay_alu instid0(VALU_DEP_2) | instskip(NEXT) | instid1(VALU_DEP_2)
	v_dual_mov_b32 v135, v129 :: v_dual_mov_b32 v129, v130
	v_pk_fma_f32 v[132:133], v[130:131], v[110:111], v[132:133] op_sel_hi:[1,1,0] neg_lo:[0,0,1] neg_hi:[0,0,1]
	v_mul_f32_e32 v130, v131, v118
	s_delay_alu instid0(VALU_DEP_3) | instskip(NEXT) | instid1(VALU_DEP_2)
	v_pk_add_f32 v[72:73], v[72:73], v[134:135] neg_lo:[0,1] neg_hi:[0,1]
	v_pk_fma_f32 v[128:129], v[128:129], v[110:111], v[130:131] op_sel_hi:[1,1,0]
	s_delay_alu instid0(VALU_DEP_1) | instskip(SKIP_4) | instid1(VALU_DEP_1)
	v_mov_b32_e32 v133, v129
	ds_load_2addr_b64 v[128:131], v122 offset0:27 offset1:28
	v_pk_add_f32 v[74:75], v[74:75], v[132:133] neg_lo:[0,1] neg_hi:[0,1]
	s_wait_dscnt 0x0
	v_pk_mul_f32 v[132:133], v[128:129], v[120:121] op_sel:[0,1]
	v_pk_fma_f32 v[134:135], v[128:129], v[118:119], v[132:133] op_sel:[0,0,1] op_sel_hi:[1,1,0] neg_lo:[0,0,1] neg_hi:[0,0,1]
	v_pk_fma_f32 v[128:129], v[128:129], v[118:119], v[132:133] op_sel:[0,0,1] op_sel_hi:[1,0,0]
	s_delay_alu instid0(VALU_DEP_1) | instskip(SKIP_1) | instid1(VALU_DEP_1)
	v_mov_b32_e32 v135, v129
	v_pk_mul_f32 v[128:129], v[130:131], v[120:121] op_sel:[0,1]
	v_pk_fma_f32 v[132:133], v[130:131], v[118:119], v[128:129] op_sel:[0,0,1] op_sel_hi:[1,1,0] neg_lo:[0,0,1] neg_hi:[0,0,1]
	v_pk_fma_f32 v[128:129], v[130:131], v[118:119], v[128:129] op_sel:[0,0,1] op_sel_hi:[1,0,0]
	s_delay_alu instid0(VALU_DEP_1)
	v_mov_b32_e32 v133, v129
	ds_load_2addr_b64 v[128:131], v122 offset0:29 offset1:30
	v_pk_add_f32 v[18:19], v[18:19], v[134:135] neg_lo:[0,1] neg_hi:[0,1]
	v_pk_add_f32 v[70:71], v[70:71], v[132:133] neg_lo:[0,1] neg_hi:[0,1]
	s_wait_dscnt 0x0
	v_pk_mul_f32 v[132:133], v[128:129], v[120:121] op_sel:[0,1]
	s_delay_alu instid0(VALU_DEP_1) | instskip(SKIP_1) | instid1(VALU_DEP_1)
	v_pk_fma_f32 v[134:135], v[128:129], v[118:119], v[132:133] op_sel:[0,0,1] op_sel_hi:[1,1,0] neg_lo:[0,0,1] neg_hi:[0,0,1]
	v_pk_fma_f32 v[128:129], v[128:129], v[118:119], v[132:133] op_sel:[0,0,1] op_sel_hi:[1,0,0]
	v_mov_b32_e32 v135, v129
	v_pk_mul_f32 v[128:129], v[130:131], v[120:121] op_sel:[0,1]
	s_delay_alu instid0(VALU_DEP_1) | instskip(SKIP_1) | instid1(VALU_DEP_1)
	v_pk_fma_f32 v[132:133], v[130:131], v[118:119], v[128:129] op_sel:[0,0,1] op_sel_hi:[1,1,0] neg_lo:[0,0,1] neg_hi:[0,0,1]
	v_pk_fma_f32 v[128:129], v[130:131], v[118:119], v[128:129] op_sel:[0,0,1] op_sel_hi:[1,0,0]
	v_mov_b32_e32 v133, v129
	ds_load_2addr_b64 v[128:131], v122 offset0:31 offset1:32
	v_pk_add_f32 v[66:67], v[66:67], v[134:135] neg_lo:[0,1] neg_hi:[0,1]
	v_pk_add_f32 v[68:69], v[68:69], v[132:133] neg_lo:[0,1] neg_hi:[0,1]
	s_wait_dscnt 0x0
	v_dual_mul_f32 v132, v129, v121 :: v_dual_mul_f32 v134, v129, v118
	s_delay_alu instid0(VALU_DEP_1) | instskip(NEXT) | instid1(VALU_DEP_2)
	v_pk_fma_f32 v[132:133], v[128:129], v[110:111], v[132:133] op_sel_hi:[1,1,0] neg_lo:[0,0,1] neg_hi:[0,0,1]
	v_pk_fma_f32 v[128:129], v[128:129], v[110:111], v[134:135] op_sel:[1,0,0] op_sel_hi:[0,1,0]
	s_delay_alu instid0(VALU_DEP_1) | instskip(SKIP_1) | instid1(VALU_DEP_2)
	v_mov_b32_e32 v133, v129
	v_pk_mul_f32 v[128:129], v[130:131], v[120:121] op_sel:[0,1]
	v_pk_add_f32 v[16:17], v[16:17], v[132:133] neg_lo:[0,1] neg_hi:[0,1]
	s_delay_alu instid0(VALU_DEP_2) | instskip(SKIP_1) | instid1(VALU_DEP_1)
	v_pk_fma_f32 v[132:133], v[130:131], v[118:119], v[128:129] op_sel:[0,0,1] op_sel_hi:[1,1,0] neg_lo:[0,0,1] neg_hi:[0,0,1]
	v_pk_fma_f32 v[128:129], v[130:131], v[118:119], v[128:129] op_sel:[0,0,1] op_sel_hi:[1,0,0]
	v_mov_b32_e32 v133, v129
	ds_load_2addr_b64 v[128:131], v122 offset0:33 offset1:34
	v_pk_add_f32 v[64:65], v[64:65], v[132:133] neg_lo:[0,1] neg_hi:[0,1]
	s_wait_dscnt 0x0
	v_pk_mul_f32 v[132:133], v[128:129], v[120:121] op_sel:[0,1]
	s_delay_alu instid0(VALU_DEP_1) | instskip(SKIP_1) | instid1(VALU_DEP_1)
	v_pk_fma_f32 v[134:135], v[128:129], v[118:119], v[132:133] op_sel:[0,0,1] op_sel_hi:[1,1,0] neg_lo:[0,0,1] neg_hi:[0,0,1]
	v_pk_fma_f32 v[128:129], v[128:129], v[118:119], v[132:133] op_sel:[0,0,1] op_sel_hi:[1,0,0]
	v_mov_b32_e32 v135, v129
	v_pk_mul_f32 v[128:129], v[130:131], v[120:121] op_sel:[0,1]
	s_delay_alu instid0(VALU_DEP_2) | instskip(NEXT) | instid1(VALU_DEP_2)
	v_pk_add_f32 v[60:61], v[60:61], v[134:135] neg_lo:[0,1] neg_hi:[0,1]
	v_pk_fma_f32 v[132:133], v[130:131], v[118:119], v[128:129] op_sel:[0,0,1] op_sel_hi:[1,1,0] neg_lo:[0,0,1] neg_hi:[0,0,1]
	v_pk_fma_f32 v[128:129], v[130:131], v[118:119], v[128:129] op_sel:[0,0,1] op_sel_hi:[1,0,0]
	s_delay_alu instid0(VALU_DEP_1) | instskip(SKIP_4) | instid1(VALU_DEP_1)
	v_mov_b32_e32 v133, v129
	ds_load_2addr_b64 v[128:131], v122 offset0:35 offset1:36
	v_pk_add_f32 v[62:63], v[62:63], v[132:133] neg_lo:[0,1] neg_hi:[0,1]
	s_wait_dscnt 0x0
	v_pk_mul_f32 v[132:133], v[128:129], v[120:121] op_sel:[0,1]
	v_pk_fma_f32 v[134:135], v[128:129], v[118:119], v[132:133] op_sel:[0,0,1] op_sel_hi:[1,1,0] neg_lo:[0,0,1] neg_hi:[0,0,1]
	v_pk_fma_f32 v[128:129], v[128:129], v[118:119], v[132:133] op_sel:[0,0,1] op_sel_hi:[1,0,0]
	v_dual_mul_f32 v132, v131, v121 :: v_dual_mov_b32 v128, v131
	s_delay_alu instid0(VALU_DEP_2) | instskip(NEXT) | instid1(VALU_DEP_2)
	v_dual_mov_b32 v135, v129 :: v_dual_mov_b32 v129, v130
	v_pk_fma_f32 v[132:133], v[130:131], v[110:111], v[132:133] op_sel_hi:[1,1,0] neg_lo:[0,0,1] neg_hi:[0,0,1]
	v_mul_f32_e32 v130, v131, v118
	s_delay_alu instid0(VALU_DEP_3) | instskip(NEXT) | instid1(VALU_DEP_2)
	v_pk_add_f32 v[14:15], v[14:15], v[134:135] neg_lo:[0,1] neg_hi:[0,1]
	v_pk_fma_f32 v[128:129], v[128:129], v[110:111], v[130:131] op_sel_hi:[1,1,0]
	s_delay_alu instid0(VALU_DEP_1) | instskip(SKIP_4) | instid1(VALU_DEP_1)
	v_mov_b32_e32 v133, v129
	ds_load_2addr_b64 v[128:131], v122 offset0:37 offset1:38
	v_pk_add_f32 v[58:59], v[58:59], v[132:133] neg_lo:[0,1] neg_hi:[0,1]
	s_wait_dscnt 0x0
	v_pk_mul_f32 v[132:133], v[128:129], v[120:121] op_sel:[0,1]
	v_pk_fma_f32 v[134:135], v[128:129], v[118:119], v[132:133] op_sel:[0,0,1] op_sel_hi:[1,1,0] neg_lo:[0,0,1] neg_hi:[0,0,1]
	v_pk_fma_f32 v[128:129], v[128:129], v[118:119], v[132:133] op_sel:[0,0,1] op_sel_hi:[1,0,0]
	s_delay_alu instid0(VALU_DEP_1) | instskip(SKIP_1) | instid1(VALU_DEP_1)
	v_mov_b32_e32 v135, v129
	v_pk_mul_f32 v[128:129], v[130:131], v[120:121] op_sel:[0,1]
	v_pk_fma_f32 v[132:133], v[130:131], v[118:119], v[128:129] op_sel:[0,0,1] op_sel_hi:[1,1,0] neg_lo:[0,0,1] neg_hi:[0,0,1]
	v_pk_fma_f32 v[128:129], v[130:131], v[118:119], v[128:129] op_sel:[0,0,1] op_sel_hi:[1,0,0]
	s_delay_alu instid0(VALU_DEP_1)
	v_mov_b32_e32 v133, v129
	ds_load_2addr_b64 v[128:131], v122 offset0:39 offset1:40
	v_pk_add_f32 v[54:55], v[54:55], v[134:135] neg_lo:[0,1] neg_hi:[0,1]
	v_pk_add_f32 v[56:57], v[56:57], v[132:133] neg_lo:[0,1] neg_hi:[0,1]
	s_wait_dscnt 0x0
	v_pk_mul_f32 v[132:133], v[128:129], v[120:121] op_sel:[0,1]
	s_delay_alu instid0(VALU_DEP_1) | instskip(SKIP_1) | instid1(VALU_DEP_1)
	v_pk_fma_f32 v[134:135], v[128:129], v[118:119], v[132:133] op_sel:[0,0,1] op_sel_hi:[1,1,0] neg_lo:[0,0,1] neg_hi:[0,0,1]
	v_pk_fma_f32 v[128:129], v[128:129], v[118:119], v[132:133] op_sel:[0,0,1] op_sel_hi:[1,0,0]
	v_mov_b32_e32 v135, v129
	v_pk_mul_f32 v[128:129], v[130:131], v[120:121] op_sel:[0,1]
	s_delay_alu instid0(VALU_DEP_1) | instskip(SKIP_1) | instid1(VALU_DEP_1)
	v_pk_fma_f32 v[132:133], v[130:131], v[118:119], v[128:129] op_sel:[0,0,1] op_sel_hi:[1,1,0] neg_lo:[0,0,1] neg_hi:[0,0,1]
	v_pk_fma_f32 v[128:129], v[130:131], v[118:119], v[128:129] op_sel:[0,0,1] op_sel_hi:[1,0,0]
	v_mov_b32_e32 v133, v129
	ds_load_2addr_b64 v[128:131], v122 offset0:41 offset1:42
	v_pk_add_f32 v[12:13], v[12:13], v[134:135] neg_lo:[0,1] neg_hi:[0,1]
	v_pk_add_f32 v[52:53], v[52:53], v[132:133] neg_lo:[0,1] neg_hi:[0,1]
	s_wait_dscnt 0x0
	v_dual_mul_f32 v132, v129, v121 :: v_dual_mul_f32 v134, v129, v118
	s_delay_alu instid0(VALU_DEP_1) | instskip(NEXT) | instid1(VALU_DEP_2)
	v_pk_fma_f32 v[132:133], v[128:129], v[110:111], v[132:133] op_sel_hi:[1,1,0] neg_lo:[0,0,1] neg_hi:[0,0,1]
	v_pk_fma_f32 v[128:129], v[128:129], v[110:111], v[134:135] op_sel:[1,0,0] op_sel_hi:[0,1,0]
	s_delay_alu instid0(VALU_DEP_1) | instskip(SKIP_1) | instid1(VALU_DEP_2)
	v_mov_b32_e32 v133, v129
	v_pk_mul_f32 v[128:129], v[130:131], v[120:121] op_sel:[0,1]
	v_pk_add_f32 v[48:49], v[48:49], v[132:133] neg_lo:[0,1] neg_hi:[0,1]
	s_delay_alu instid0(VALU_DEP_2) | instskip(SKIP_1) | instid1(VALU_DEP_1)
	v_pk_fma_f32 v[132:133], v[130:131], v[118:119], v[128:129] op_sel:[0,0,1] op_sel_hi:[1,1,0] neg_lo:[0,0,1] neg_hi:[0,0,1]
	v_pk_fma_f32 v[128:129], v[130:131], v[118:119], v[128:129] op_sel:[0,0,1] op_sel_hi:[1,0,0]
	v_mov_b32_e32 v133, v129
	ds_load_2addr_b64 v[128:131], v122 offset0:43 offset1:44
	v_pk_add_f32 v[50:51], v[50:51], v[132:133] neg_lo:[0,1] neg_hi:[0,1]
	s_wait_dscnt 0x0
	v_pk_mul_f32 v[132:133], v[128:129], v[120:121] op_sel:[0,1]
	s_delay_alu instid0(VALU_DEP_1) | instskip(SKIP_1) | instid1(VALU_DEP_1)
	v_pk_fma_f32 v[134:135], v[128:129], v[118:119], v[132:133] op_sel:[0,0,1] op_sel_hi:[1,1,0] neg_lo:[0,0,1] neg_hi:[0,0,1]
	v_pk_fma_f32 v[128:129], v[128:129], v[118:119], v[132:133] op_sel:[0,0,1] op_sel_hi:[1,0,0]
	v_mov_b32_e32 v135, v129
	v_pk_mul_f32 v[128:129], v[130:131], v[120:121] op_sel:[0,1]
	s_delay_alu instid0(VALU_DEP_2) | instskip(NEXT) | instid1(VALU_DEP_2)
	v_pk_add_f32 v[10:11], v[10:11], v[134:135] neg_lo:[0,1] neg_hi:[0,1]
	v_pk_fma_f32 v[132:133], v[130:131], v[118:119], v[128:129] op_sel:[0,0,1] op_sel_hi:[1,1,0] neg_lo:[0,0,1] neg_hi:[0,0,1]
	v_pk_fma_f32 v[128:129], v[130:131], v[118:119], v[128:129] op_sel:[0,0,1] op_sel_hi:[1,0,0]
	s_delay_alu instid0(VALU_DEP_1) | instskip(SKIP_4) | instid1(VALU_DEP_1)
	v_mov_b32_e32 v133, v129
	ds_load_2addr_b64 v[128:131], v122 offset0:45 offset1:46
	v_pk_add_f32 v[46:47], v[46:47], v[132:133] neg_lo:[0,1] neg_hi:[0,1]
	s_wait_dscnt 0x0
	v_pk_mul_f32 v[132:133], v[128:129], v[120:121] op_sel:[0,1]
	v_pk_fma_f32 v[134:135], v[128:129], v[118:119], v[132:133] op_sel:[0,0,1] op_sel_hi:[1,1,0] neg_lo:[0,0,1] neg_hi:[0,0,1]
	v_pk_fma_f32 v[128:129], v[128:129], v[118:119], v[132:133] op_sel:[0,0,1] op_sel_hi:[1,0,0]
	v_dual_mul_f32 v132, v131, v121 :: v_dual_mov_b32 v128, v131
	s_delay_alu instid0(VALU_DEP_2) | instskip(NEXT) | instid1(VALU_DEP_2)
	v_dual_mov_b32 v135, v129 :: v_dual_mov_b32 v129, v130
	v_pk_fma_f32 v[132:133], v[130:131], v[110:111], v[132:133] op_sel_hi:[1,1,0] neg_lo:[0,0,1] neg_hi:[0,0,1]
	v_mul_f32_e32 v130, v131, v118
	s_delay_alu instid0(VALU_DEP_3) | instskip(NEXT) | instid1(VALU_DEP_2)
	v_pk_add_f32 v[42:43], v[42:43], v[134:135] neg_lo:[0,1] neg_hi:[0,1]
	v_pk_fma_f32 v[128:129], v[128:129], v[110:111], v[130:131] op_sel_hi:[1,1,0]
	s_delay_alu instid0(VALU_DEP_1) | instskip(SKIP_4) | instid1(VALU_DEP_1)
	v_mov_b32_e32 v133, v129
	ds_load_2addr_b64 v[128:131], v122 offset0:47 offset1:48
	v_pk_add_f32 v[44:45], v[44:45], v[132:133] neg_lo:[0,1] neg_hi:[0,1]
	s_wait_dscnt 0x0
	v_pk_mul_f32 v[132:133], v[128:129], v[120:121] op_sel:[0,1]
	v_pk_fma_f32 v[134:135], v[128:129], v[118:119], v[132:133] op_sel:[0,0,1] op_sel_hi:[1,1,0] neg_lo:[0,0,1] neg_hi:[0,0,1]
	v_pk_fma_f32 v[128:129], v[128:129], v[118:119], v[132:133] op_sel:[0,0,1] op_sel_hi:[1,0,0]
	s_delay_alu instid0(VALU_DEP_1) | instskip(SKIP_1) | instid1(VALU_DEP_1)
	v_mov_b32_e32 v135, v129
	v_pk_mul_f32 v[128:129], v[130:131], v[120:121] op_sel:[0,1]
	v_pk_fma_f32 v[132:133], v[130:131], v[118:119], v[128:129] op_sel:[0,0,1] op_sel_hi:[1,1,0] neg_lo:[0,0,1] neg_hi:[0,0,1]
	v_pk_fma_f32 v[128:129], v[130:131], v[118:119], v[128:129] op_sel:[0,0,1] op_sel_hi:[1,0,0]
	s_delay_alu instid0(VALU_DEP_1)
	v_mov_b32_e32 v133, v129
	ds_load_2addr_b64 v[128:131], v122 offset0:49 offset1:50
	v_pk_add_f32 v[6:7], v[6:7], v[134:135] neg_lo:[0,1] neg_hi:[0,1]
	v_pk_add_f32 v[34:35], v[34:35], v[132:133] neg_lo:[0,1] neg_hi:[0,1]
	s_wait_dscnt 0x0
	v_pk_mul_f32 v[132:133], v[128:129], v[120:121] op_sel:[0,1]
	s_delay_alu instid0(VALU_DEP_1) | instskip(SKIP_1) | instid1(VALU_DEP_1)
	v_pk_fma_f32 v[134:135], v[128:129], v[118:119], v[132:133] op_sel:[0,0,1] op_sel_hi:[1,1,0] neg_lo:[0,0,1] neg_hi:[0,0,1]
	v_pk_fma_f32 v[128:129], v[128:129], v[118:119], v[132:133] op_sel:[0,0,1] op_sel_hi:[1,0,0]
	v_mov_b32_e32 v135, v129
	v_pk_mul_f32 v[128:129], v[130:131], v[120:121] op_sel:[0,1]
	s_delay_alu instid0(VALU_DEP_1) | instskip(SKIP_1) | instid1(VALU_DEP_1)
	v_pk_fma_f32 v[132:133], v[130:131], v[118:119], v[128:129] op_sel:[0,0,1] op_sel_hi:[1,1,0] neg_lo:[0,0,1] neg_hi:[0,0,1]
	v_pk_fma_f32 v[128:129], v[130:131], v[118:119], v[128:129] op_sel:[0,0,1] op_sel_hi:[1,0,0]
	v_mov_b32_e32 v133, v129
	ds_load_2addr_b64 v[128:131], v122 offset0:51 offset1:52
	v_pk_add_f32 v[28:29], v[28:29], v[134:135] neg_lo:[0,1] neg_hi:[0,1]
	v_pk_add_f32 v[32:33], v[32:33], v[132:133] neg_lo:[0,1] neg_hi:[0,1]
	s_wait_dscnt 0x0
	v_dual_mul_f32 v132, v129, v121 :: v_dual_mul_f32 v134, v129, v118
	s_delay_alu instid0(VALU_DEP_1) | instskip(NEXT) | instid1(VALU_DEP_2)
	v_pk_fma_f32 v[132:133], v[128:129], v[110:111], v[132:133] op_sel_hi:[1,1,0] neg_lo:[0,0,1] neg_hi:[0,0,1]
	v_pk_fma_f32 v[128:129], v[128:129], v[110:111], v[134:135] op_sel:[1,0,0] op_sel_hi:[0,1,0]
	s_delay_alu instid0(VALU_DEP_1) | instskip(SKIP_1) | instid1(VALU_DEP_2)
	v_mov_b32_e32 v133, v129
	v_pk_mul_f32 v[128:129], v[130:131], v[120:121] op_sel:[0,1]
	v_pk_add_f32 v[8:9], v[8:9], v[132:133] neg_lo:[0,1] neg_hi:[0,1]
	s_delay_alu instid0(VALU_DEP_2) | instskip(SKIP_1) | instid1(VALU_DEP_1)
	v_pk_fma_f32 v[132:133], v[130:131], v[118:119], v[128:129] op_sel:[0,0,1] op_sel_hi:[1,1,0] neg_lo:[0,0,1] neg_hi:[0,0,1]
	v_pk_fma_f32 v[128:129], v[130:131], v[118:119], v[128:129] op_sel:[0,0,1] op_sel_hi:[1,0,0]
	v_mov_b32_e32 v133, v129
	ds_load_2addr_b64 v[128:131], v122 offset0:53 offset1:54
	v_pk_add_f32 v[26:27], v[26:27], v[132:133] neg_lo:[0,1] neg_hi:[0,1]
	s_wait_dscnt 0x0
	v_pk_mul_f32 v[132:133], v[128:129], v[120:121] op_sel:[0,1]
	s_delay_alu instid0(VALU_DEP_1) | instskip(SKIP_1) | instid1(VALU_DEP_1)
	v_pk_fma_f32 v[134:135], v[128:129], v[118:119], v[132:133] op_sel:[0,0,1] op_sel_hi:[1,1,0] neg_lo:[0,0,1] neg_hi:[0,0,1]
	v_pk_fma_f32 v[128:129], v[128:129], v[118:119], v[132:133] op_sel:[0,0,1] op_sel_hi:[1,0,0]
	v_mov_b32_e32 v135, v129
	v_pk_mul_f32 v[128:129], v[130:131], v[120:121] op_sel:[0,1]
	s_delay_alu instid0(VALU_DEP_2) | instskip(NEXT) | instid1(VALU_DEP_2)
	v_pk_add_f32 v[22:23], v[22:23], v[134:135] neg_lo:[0,1] neg_hi:[0,1]
	v_pk_fma_f32 v[132:133], v[130:131], v[118:119], v[128:129] op_sel:[0,0,1] op_sel_hi:[1,1,0] neg_lo:[0,0,1] neg_hi:[0,0,1]
	v_pk_fma_f32 v[128:129], v[130:131], v[118:119], v[128:129] op_sel:[0,0,1] op_sel_hi:[1,0,0]
	s_delay_alu instid0(VALU_DEP_1) | instskip(SKIP_4) | instid1(VALU_DEP_1)
	v_mov_b32_e32 v133, v129
	ds_load_b64 v[128:129], v122 offset:440
	v_pk_add_f32 v[20:21], v[20:21], v[132:133] neg_lo:[0,1] neg_hi:[0,1]
	s_wait_dscnt 0x0
	v_pk_mul_f32 v[120:121], v[128:129], v[120:121] op_sel:[0,1]
	v_pk_fma_f32 v[130:131], v[128:129], v[118:119], v[120:121] op_sel:[0,0,1] op_sel_hi:[1,1,0] neg_lo:[0,0,1] neg_hi:[0,0,1]
	v_pk_fma_f32 v[118:119], v[128:129], v[118:119], v[120:121] op_sel:[0,0,1] op_sel_hi:[1,0,0]
	s_delay_alu instid0(VALU_DEP_1) | instskip(NEXT) | instid1(VALU_DEP_1)
	v_mov_b32_e32 v131, v119
	v_pk_add_f32 v[116:117], v[116:117], v[130:131] neg_lo:[0,1] neg_hi:[0,1]
.LBB110_62:
	s_or_b32 exec_lo, exec_lo, s0
	v_lshl_add_u32 v118, v126, 3, v122
	s_barrier_signal -1
	s_barrier_wait -1
	ds_store_b64 v118, v[108:109]
	s_wait_dscnt 0x0
	s_barrier_signal -1
	s_barrier_wait -1
	ds_load_b64 v[120:121], v122 offset:24
	v_mov_b32_e32 v118, 3
	s_cmp_lt_i32 s18, 5
	s_cbranch_scc1 .LBB110_65
; %bb.63:
	v_mov_b32_e32 v118, 3
	v_add3_u32 v119, v123, 0, 32
	s_mov_b32 s0, 4
.LBB110_64:                             ; =>This Inner Loop Header: Depth=1
	ds_load_b64 v[128:129], v119
	s_wait_dscnt 0x1
	v_cmp_gt_f32_e32 vcc_lo, 0, v120
	v_cndmask_b32_e64 v130, v120, -v120, vcc_lo
	v_cmp_gt_f32_e32 vcc_lo, 0, v121
	v_cndmask_b32_e64 v132, v121, -v121, vcc_lo
	s_wait_dscnt 0x0
	v_cmp_gt_f32_e32 vcc_lo, 0, v128
	v_cndmask_b32_e64 v131, v128, -v128, vcc_lo
	v_cmp_gt_f32_e32 vcc_lo, 0, v129
	v_cndmask_b32_e64 v133, v129, -v129, vcc_lo
	s_delay_alu instid0(VALU_DEP_1) | instskip(NEXT) | instid1(VALU_DEP_1)
	v_pk_add_f32 v[130:131], v[130:131], v[132:133]
	v_cmp_lt_f32_e32 vcc_lo, v130, v131
	v_dual_add_nc_u32 v119, 8, v119 :: v_dual_cndmask_b32 v121, v121, v129, vcc_lo
	v_cndmask_b32_e32 v120, v120, v128, vcc_lo
	v_cndmask_b32_e64 v118, v118, s0, vcc_lo
	s_add_co_i32 s0, s0, 1
	s_delay_alu instid0(SALU_CYCLE_1)
	s_cmp_lg_u32 s18, s0
	s_cbranch_scc1 .LBB110_64
.LBB110_65:
	s_wait_dscnt 0x0
	v_cmp_eq_f32_e32 vcc_lo, 0, v120
	v_cmp_eq_f32_e64 s0, 0, v121
	s_and_b32 s0, vcc_lo, s0
	s_delay_alu instid0(SALU_CYCLE_1) | instskip(NEXT) | instid1(SALU_CYCLE_1)
	s_and_saveexec_b32 s1, s0
	s_xor_b32 s0, exec_lo, s1
; %bb.66:
	v_cmp_ne_u32_e32 vcc_lo, 0, v124
	v_cndmask_b32_e32 v124, 4, v124, vcc_lo
; %bb.67:
	s_and_not1_saveexec_b32 s0, s0
	s_cbranch_execz .LBB110_73
; %bb.68:
	v_cmp_ngt_f32_e64 s1, |v120|, |v121|
	s_and_saveexec_b32 s12, s1
	s_delay_alu instid0(SALU_CYCLE_1)
	s_xor_b32 s1, exec_lo, s12
	s_cbranch_execz .LBB110_70
; %bb.69:
	v_div_scale_f32 v119, null, v121, v121, v120
	v_div_scale_f32 v129, vcc_lo, v120, v121, v120
	s_delay_alu instid0(VALU_DEP_2) | instskip(SKIP_1) | instid1(TRANS32_DEP_1)
	v_rcp_f32_e32 v127, v119
	v_nop
	v_fma_f32 v128, -v119, v127, 1.0
	s_delay_alu instid0(VALU_DEP_1) | instskip(NEXT) | instid1(VALU_DEP_1)
	v_fmac_f32_e32 v127, v128, v127
	v_mul_f32_e32 v128, v129, v127
	s_delay_alu instid0(VALU_DEP_1) | instskip(NEXT) | instid1(VALU_DEP_1)
	v_fma_f32 v130, -v119, v128, v129
	v_fmac_f32_e32 v128, v130, v127
	s_delay_alu instid0(VALU_DEP_1) | instskip(NEXT) | instid1(VALU_DEP_1)
	v_fma_f32 v119, -v119, v128, v129
	v_div_fmas_f32 v119, v119, v127, v128
	s_delay_alu instid0(VALU_DEP_1) | instskip(NEXT) | instid1(VALU_DEP_1)
	v_div_fixup_f32 v119, v119, v121, v120
	v_fmac_f32_e32 v121, v120, v119
	s_delay_alu instid0(VALU_DEP_1) | instskip(SKIP_1) | instid1(VALU_DEP_2)
	v_div_scale_f32 v120, null, v121, v121, 1.0
	v_div_scale_f32 v129, vcc_lo, 1.0, v121, 1.0
	v_rcp_f32_e32 v127, v120
	v_nop
	s_delay_alu instid0(TRANS32_DEP_1) | instskip(NEXT) | instid1(VALU_DEP_1)
	v_fma_f32 v128, -v120, v127, 1.0
	v_fmac_f32_e32 v127, v128, v127
	s_delay_alu instid0(VALU_DEP_1) | instskip(NEXT) | instid1(VALU_DEP_1)
	v_mul_f32_e32 v128, v129, v127
	v_fma_f32 v130, -v120, v128, v129
	s_delay_alu instid0(VALU_DEP_1) | instskip(NEXT) | instid1(VALU_DEP_1)
	v_fmac_f32_e32 v128, v130, v127
	v_fma_f32 v120, -v120, v128, v129
	s_delay_alu instid0(VALU_DEP_1) | instskip(NEXT) | instid1(VALU_DEP_1)
	v_div_fmas_f32 v120, v120, v127, v128
	v_div_fixup_f32 v121, v120, v121, 1.0
	s_delay_alu instid0(VALU_DEP_1)
	v_mul_f32_e32 v120, v119, v121
	v_xor_b32_e32 v121, 0x80000000, v121
.LBB110_70:
	s_and_not1_saveexec_b32 s1, s1
	s_cbranch_execz .LBB110_72
; %bb.71:
	s_delay_alu instid0(VALU_DEP_1) | instskip(SKIP_1) | instid1(VALU_DEP_2)
	v_div_scale_f32 v119, null, v120, v120, v121
	v_div_scale_f32 v129, vcc_lo, v121, v120, v121
	v_rcp_f32_e32 v127, v119
	v_nop
	s_delay_alu instid0(TRANS32_DEP_1) | instskip(NEXT) | instid1(VALU_DEP_1)
	v_fma_f32 v128, -v119, v127, 1.0
	v_fmac_f32_e32 v127, v128, v127
	s_delay_alu instid0(VALU_DEP_1) | instskip(NEXT) | instid1(VALU_DEP_1)
	v_mul_f32_e32 v128, v129, v127
	v_fma_f32 v130, -v119, v128, v129
	s_delay_alu instid0(VALU_DEP_1) | instskip(NEXT) | instid1(VALU_DEP_1)
	v_fmac_f32_e32 v128, v130, v127
	v_fma_f32 v119, -v119, v128, v129
	s_delay_alu instid0(VALU_DEP_1) | instskip(NEXT) | instid1(VALU_DEP_1)
	v_div_fmas_f32 v119, v119, v127, v128
	v_div_fixup_f32 v119, v119, v120, v121
	s_delay_alu instid0(VALU_DEP_1) | instskip(NEXT) | instid1(VALU_DEP_1)
	v_fmac_f32_e32 v120, v121, v119
	v_div_scale_f32 v121, null, v120, v120, 1.0
	s_delay_alu instid0(VALU_DEP_1) | instskip(SKIP_1) | instid1(TRANS32_DEP_1)
	v_rcp_f32_e32 v127, v121
	v_nop
	v_fma_f32 v128, -v121, v127, 1.0
	s_delay_alu instid0(VALU_DEP_1) | instskip(SKIP_1) | instid1(VALU_DEP_1)
	v_fmac_f32_e32 v127, v128, v127
	v_div_scale_f32 v128, vcc_lo, 1.0, v120, 1.0
	v_mul_f32_e32 v129, v128, v127
	s_delay_alu instid0(VALU_DEP_1) | instskip(NEXT) | instid1(VALU_DEP_1)
	v_fma_f32 v130, -v121, v129, v128
	v_fmac_f32_e32 v129, v130, v127
	s_delay_alu instid0(VALU_DEP_1) | instskip(NEXT) | instid1(VALU_DEP_1)
	v_fma_f32 v121, -v121, v129, v128
	v_div_fmas_f32 v121, v121, v127, v129
	s_delay_alu instid0(VALU_DEP_1) | instskip(NEXT) | instid1(VALU_DEP_1)
	v_div_fixup_f32 v120, v121, v120, 1.0
	v_mul_f32_e64 v121, v119, -v120
.LBB110_72:
	s_or_b32 exec_lo, exec_lo, s1
.LBB110_73:
	s_delay_alu instid0(SALU_CYCLE_1) | instskip(NEXT) | instid1(SALU_CYCLE_1)
	s_or_b32 exec_lo, exec_lo, s0
	s_mov_b32 s0, exec_lo
	v_cmpx_ne_u32_e64 v126, v118
	s_xor_b32 s0, exec_lo, s0
	s_cbranch_execz .LBB110_79
; %bb.74:
	s_mov_b32 s1, exec_lo
	v_cmpx_eq_u32_e32 3, v126
	s_cbranch_execz .LBB110_78
; %bb.75:
	v_cmp_ne_u32_e32 vcc_lo, 3, v118
	s_xor_b32 s12, s16, -1
	s_delay_alu instid0(SALU_CYCLE_1) | instskip(NEXT) | instid1(SALU_CYCLE_1)
	s_and_b32 s13, s12, vcc_lo
	s_and_saveexec_b32 s12, s13
	s_cbranch_execz .LBB110_77
; %bb.76:
	v_ashrrev_i32_e32 v119, 31, v118
	s_delay_alu instid0(VALU_DEP_1)
	v_lshl_add_u64 v[126:127], v[118:119], 2, v[4:5]
	s_clause 0x1
	global_load_b32 v119, v[126:127], off
	global_load_b32 v125, v[4:5], off offset:12
	s_wait_loadcnt 0x1
	global_store_b32 v[4:5], v119, off offset:12
	s_wait_loadcnt 0x0
	global_store_b32 v[126:127], v125, off
.LBB110_77:
	s_wait_xcnt 0x0
	s_or_b32 exec_lo, exec_lo, s12
	v_dual_mov_b32 v126, v118 :: v_dual_mov_b32 v125, v118
.LBB110_78:
	s_or_b32 exec_lo, exec_lo, s1
.LBB110_79:
	s_and_not1_saveexec_b32 s0, s0
	s_cbranch_execz .LBB110_81
; %bb.80:
	v_dual_mov_b32 v118, v106 :: v_dual_mov_b32 v119, v107
	v_dual_mov_b32 v126, v102 :: v_dual_mov_b32 v127, v103
	ds_store_2addr_b64 v122, v[118:119], v[126:127] offset0:4 offset1:5
	v_dual_mov_b32 v118, v104 :: v_dual_mov_b32 v119, v105
	v_dual_mov_b32 v126, v40 :: v_dual_mov_b32 v127, v41
	ds_store_2addr_b64 v122, v[118:119], v[126:127] offset0:6 offset1:7
	;; [unrolled: 3-line block ×25, first 2 shown]
	v_dual_mov_b32 v118, v20 :: v_dual_mov_b32 v119, v21
	v_mov_b32_e32 v126, 3
	ds_store_2addr_b64 v122, v[118:119], v[116:117] offset0:54 offset1:55
.LBB110_81:
	s_or_b32 exec_lo, exec_lo, s0
	s_delay_alu instid0(SALU_CYCLE_1)
	s_mov_b32 s0, exec_lo
	s_wait_storecnt_dscnt 0x0
	s_barrier_signal -1
	s_barrier_wait -1
	v_cmpx_lt_i32_e32 3, v126
	s_cbranch_execz .LBB110_83
; %bb.82:
	v_pk_mul_f32 v[128:129], v[120:121], v[108:109] op_sel:[1,1] op_sel_hi:[0,1]
	s_delay_alu instid0(VALU_DEP_1)
	v_pk_fma_f32 v[118:119], v[120:121], v[108:109], v[128:129] op_sel_hi:[1,0,1] neg_lo:[0,0,1] neg_hi:[0,0,1]
	v_pk_fma_f32 v[120:121], v[120:121], v[108:109], v[128:129] op_sel_hi:[1,0,1]
	ds_load_2addr_b64 v[128:131], v122 offset0:4 offset1:5
	v_dual_mov_b32 v108, v118 :: v_dual_mov_b32 v109, v121
	s_wait_dscnt 0x0
	v_pk_mul_f32 v[132:133], v[128:129], v[120:121] op_sel:[0,1]
	s_delay_alu instid0(VALU_DEP_1) | instskip(SKIP_1) | instid1(VALU_DEP_1)
	v_pk_fma_f32 v[134:135], v[128:129], v[118:119], v[132:133] op_sel:[0,0,1] op_sel_hi:[1,1,0] neg_lo:[0,0,1] neg_hi:[0,0,1]
	v_pk_fma_f32 v[128:129], v[128:129], v[118:119], v[132:133] op_sel:[0,0,1] op_sel_hi:[1,0,0]
	v_mov_b32_e32 v135, v129
	v_pk_mul_f32 v[128:129], v[130:131], v[120:121] op_sel:[0,1]
	s_delay_alu instid0(VALU_DEP_1) | instskip(SKIP_1) | instid1(VALU_DEP_1)
	v_pk_fma_f32 v[132:133], v[130:131], v[118:119], v[128:129] op_sel:[0,0,1] op_sel_hi:[1,1,0] neg_lo:[0,0,1] neg_hi:[0,0,1]
	v_pk_fma_f32 v[128:129], v[130:131], v[118:119], v[128:129] op_sel:[0,0,1] op_sel_hi:[1,0,0]
	v_mov_b32_e32 v133, v129
	ds_load_2addr_b64 v[128:131], v122 offset0:6 offset1:7
	v_pk_add_f32 v[106:107], v[106:107], v[134:135] neg_lo:[0,1] neg_hi:[0,1]
	v_pk_add_f32 v[102:103], v[102:103], v[132:133] neg_lo:[0,1] neg_hi:[0,1]
	s_wait_dscnt 0x0
	v_pk_mul_f32 v[132:133], v[128:129], v[120:121] op_sel:[0,1]
	s_delay_alu instid0(VALU_DEP_1) | instskip(SKIP_2) | instid1(VALU_DEP_2)
	v_pk_fma_f32 v[134:135], v[128:129], v[118:119], v[132:133] op_sel:[0,0,1] op_sel_hi:[1,1,0] neg_lo:[0,0,1] neg_hi:[0,0,1]
	v_pk_fma_f32 v[128:129], v[128:129], v[118:119], v[132:133] op_sel:[0,0,1] op_sel_hi:[1,0,0]
	v_dual_mul_f32 v132, v131, v121 :: v_dual_mov_b32 v128, v131
	v_dual_mov_b32 v135, v129 :: v_dual_mov_b32 v129, v130
	s_delay_alu instid0(VALU_DEP_2) | instskip(SKIP_1) | instid1(VALU_DEP_3)
	v_pk_fma_f32 v[132:133], v[130:131], v[108:109], v[132:133] op_sel_hi:[1,1,0] neg_lo:[0,0,1] neg_hi:[0,0,1]
	v_mul_f32_e32 v130, v131, v118
	v_pk_add_f32 v[104:105], v[104:105], v[134:135] neg_lo:[0,1] neg_hi:[0,1]
	s_delay_alu instid0(VALU_DEP_2) | instskip(NEXT) | instid1(VALU_DEP_1)
	v_pk_fma_f32 v[128:129], v[128:129], v[108:109], v[130:131] op_sel_hi:[1,1,0]
	v_mov_b32_e32 v133, v129
	ds_load_2addr_b64 v[128:131], v122 offset0:8 offset1:9
	v_pk_add_f32 v[40:41], v[40:41], v[132:133] neg_lo:[0,1] neg_hi:[0,1]
	s_wait_dscnt 0x0
	v_pk_mul_f32 v[132:133], v[128:129], v[120:121] op_sel:[0,1]
	s_delay_alu instid0(VALU_DEP_1) | instskip(SKIP_1) | instid1(VALU_DEP_1)
	v_pk_fma_f32 v[134:135], v[128:129], v[118:119], v[132:133] op_sel:[0,0,1] op_sel_hi:[1,1,0] neg_lo:[0,0,1] neg_hi:[0,0,1]
	v_pk_fma_f32 v[128:129], v[128:129], v[118:119], v[132:133] op_sel:[0,0,1] op_sel_hi:[1,0,0]
	v_mov_b32_e32 v135, v129
	v_pk_mul_f32 v[128:129], v[130:131], v[120:121] op_sel:[0,1]
	s_delay_alu instid0(VALU_DEP_1) | instskip(SKIP_1) | instid1(VALU_DEP_1)
	v_pk_fma_f32 v[132:133], v[130:131], v[118:119], v[128:129] op_sel:[0,0,1] op_sel_hi:[1,1,0] neg_lo:[0,0,1] neg_hi:[0,0,1]
	v_pk_fma_f32 v[128:129], v[130:131], v[118:119], v[128:129] op_sel:[0,0,1] op_sel_hi:[1,0,0]
	v_mov_b32_e32 v133, v129
	ds_load_2addr_b64 v[128:131], v122 offset0:10 offset1:11
	v_pk_add_f32 v[100:101], v[100:101], v[134:135] neg_lo:[0,1] neg_hi:[0,1]
	v_pk_add_f32 v[96:97], v[96:97], v[132:133] neg_lo:[0,1] neg_hi:[0,1]
	s_wait_dscnt 0x0
	v_pk_mul_f32 v[132:133], v[128:129], v[120:121] op_sel:[0,1]
	s_delay_alu instid0(VALU_DEP_1) | instskip(SKIP_1) | instid1(VALU_DEP_1)
	v_pk_fma_f32 v[134:135], v[128:129], v[118:119], v[132:133] op_sel:[0,0,1] op_sel_hi:[1,1,0] neg_lo:[0,0,1] neg_hi:[0,0,1]
	v_pk_fma_f32 v[128:129], v[128:129], v[118:119], v[132:133] op_sel:[0,0,1] op_sel_hi:[1,0,0]
	v_mov_b32_e32 v135, v129
	v_pk_mul_f32 v[128:129], v[130:131], v[120:121] op_sel:[0,1]
	s_delay_alu instid0(VALU_DEP_1) | instskip(SKIP_1) | instid1(VALU_DEP_1)
	v_pk_fma_f32 v[132:133], v[130:131], v[118:119], v[128:129] op_sel:[0,0,1] op_sel_hi:[1,1,0] neg_lo:[0,0,1] neg_hi:[0,0,1]
	v_pk_fma_f32 v[128:129], v[130:131], v[118:119], v[128:129] op_sel:[0,0,1] op_sel_hi:[1,0,0]
	v_mov_b32_e32 v133, v129
	ds_load_2addr_b64 v[128:131], v122 offset0:12 offset1:13
	v_pk_add_f32 v[98:99], v[98:99], v[134:135] neg_lo:[0,1] neg_hi:[0,1]
	v_pk_add_f32 v[38:39], v[38:39], v[132:133] neg_lo:[0,1] neg_hi:[0,1]
	s_wait_dscnt 0x0
	v_dual_mul_f32 v132, v129, v121 :: v_dual_mul_f32 v134, v129, v118
	s_delay_alu instid0(VALU_DEP_1) | instskip(NEXT) | instid1(VALU_DEP_2)
	v_pk_fma_f32 v[132:133], v[128:129], v[108:109], v[132:133] op_sel_hi:[1,1,0] neg_lo:[0,0,1] neg_hi:[0,0,1]
	v_pk_fma_f32 v[128:129], v[128:129], v[108:109], v[134:135] op_sel:[1,0,0] op_sel_hi:[0,1,0]
	s_delay_alu instid0(VALU_DEP_1) | instskip(SKIP_1) | instid1(VALU_DEP_2)
	v_mov_b32_e32 v133, v129
	v_pk_mul_f32 v[128:129], v[130:131], v[120:121] op_sel:[0,1]
	v_pk_add_f32 v[94:95], v[94:95], v[132:133] neg_lo:[0,1] neg_hi:[0,1]
	s_delay_alu instid0(VALU_DEP_2) | instskip(SKIP_1) | instid1(VALU_DEP_1)
	v_pk_fma_f32 v[132:133], v[130:131], v[118:119], v[128:129] op_sel:[0,0,1] op_sel_hi:[1,1,0] neg_lo:[0,0,1] neg_hi:[0,0,1]
	v_pk_fma_f32 v[128:129], v[130:131], v[118:119], v[128:129] op_sel:[0,0,1] op_sel_hi:[1,0,0]
	v_mov_b32_e32 v133, v129
	ds_load_2addr_b64 v[128:131], v122 offset0:14 offset1:15
	v_pk_add_f32 v[90:91], v[90:91], v[132:133] neg_lo:[0,1] neg_hi:[0,1]
	s_wait_dscnt 0x0
	v_pk_mul_f32 v[132:133], v[128:129], v[120:121] op_sel:[0,1]
	s_delay_alu instid0(VALU_DEP_1) | instskip(SKIP_1) | instid1(VALU_DEP_1)
	v_pk_fma_f32 v[134:135], v[128:129], v[118:119], v[132:133] op_sel:[0,0,1] op_sel_hi:[1,1,0] neg_lo:[0,0,1] neg_hi:[0,0,1]
	v_pk_fma_f32 v[128:129], v[128:129], v[118:119], v[132:133] op_sel:[0,0,1] op_sel_hi:[1,0,0]
	v_mov_b32_e32 v135, v129
	v_pk_mul_f32 v[128:129], v[130:131], v[120:121] op_sel:[0,1]
	s_delay_alu instid0(VALU_DEP_2) | instskip(NEXT) | instid1(VALU_DEP_2)
	v_pk_add_f32 v[92:93], v[92:93], v[134:135] neg_lo:[0,1] neg_hi:[0,1]
	v_pk_fma_f32 v[132:133], v[130:131], v[118:119], v[128:129] op_sel:[0,0,1] op_sel_hi:[1,1,0] neg_lo:[0,0,1] neg_hi:[0,0,1]
	v_pk_fma_f32 v[128:129], v[130:131], v[118:119], v[128:129] op_sel:[0,0,1] op_sel_hi:[1,0,0]
	s_delay_alu instid0(VALU_DEP_1) | instskip(SKIP_4) | instid1(VALU_DEP_1)
	v_mov_b32_e32 v133, v129
	ds_load_2addr_b64 v[128:131], v122 offset0:16 offset1:17
	v_pk_add_f32 v[36:37], v[36:37], v[132:133] neg_lo:[0,1] neg_hi:[0,1]
	s_wait_dscnt 0x0
	v_pk_mul_f32 v[132:133], v[128:129], v[120:121] op_sel:[0,1]
	v_pk_fma_f32 v[134:135], v[128:129], v[118:119], v[132:133] op_sel:[0,0,1] op_sel_hi:[1,1,0] neg_lo:[0,0,1] neg_hi:[0,0,1]
	v_pk_fma_f32 v[128:129], v[128:129], v[118:119], v[132:133] op_sel:[0,0,1] op_sel_hi:[1,0,0]
	v_dual_mul_f32 v132, v131, v121 :: v_dual_mov_b32 v128, v131
	s_delay_alu instid0(VALU_DEP_2) | instskip(NEXT) | instid1(VALU_DEP_2)
	v_dual_mov_b32 v135, v129 :: v_dual_mov_b32 v129, v130
	v_pk_fma_f32 v[132:133], v[130:131], v[108:109], v[132:133] op_sel_hi:[1,1,0] neg_lo:[0,0,1] neg_hi:[0,0,1]
	v_mul_f32_e32 v130, v131, v118
	s_delay_alu instid0(VALU_DEP_3) | instskip(NEXT) | instid1(VALU_DEP_2)
	v_pk_add_f32 v[88:89], v[88:89], v[134:135] neg_lo:[0,1] neg_hi:[0,1]
	v_pk_fma_f32 v[128:129], v[128:129], v[108:109], v[130:131] op_sel_hi:[1,1,0]
	s_delay_alu instid0(VALU_DEP_1) | instskip(SKIP_4) | instid1(VALU_DEP_1)
	v_mov_b32_e32 v133, v129
	ds_load_2addr_b64 v[128:131], v122 offset0:18 offset1:19
	v_pk_add_f32 v[84:85], v[84:85], v[132:133] neg_lo:[0,1] neg_hi:[0,1]
	s_wait_dscnt 0x0
	v_pk_mul_f32 v[132:133], v[128:129], v[120:121] op_sel:[0,1]
	v_pk_fma_f32 v[134:135], v[128:129], v[118:119], v[132:133] op_sel:[0,0,1] op_sel_hi:[1,1,0] neg_lo:[0,0,1] neg_hi:[0,0,1]
	v_pk_fma_f32 v[128:129], v[128:129], v[118:119], v[132:133] op_sel:[0,0,1] op_sel_hi:[1,0,0]
	s_delay_alu instid0(VALU_DEP_1) | instskip(SKIP_1) | instid1(VALU_DEP_1)
	v_mov_b32_e32 v135, v129
	v_pk_mul_f32 v[128:129], v[130:131], v[120:121] op_sel:[0,1]
	v_pk_fma_f32 v[132:133], v[130:131], v[118:119], v[128:129] op_sel:[0,0,1] op_sel_hi:[1,1,0] neg_lo:[0,0,1] neg_hi:[0,0,1]
	v_pk_fma_f32 v[128:129], v[130:131], v[118:119], v[128:129] op_sel:[0,0,1] op_sel_hi:[1,0,0]
	s_delay_alu instid0(VALU_DEP_1)
	v_mov_b32_e32 v133, v129
	ds_load_2addr_b64 v[128:131], v122 offset0:20 offset1:21
	v_pk_add_f32 v[86:87], v[86:87], v[134:135] neg_lo:[0,1] neg_hi:[0,1]
	v_pk_add_f32 v[30:31], v[30:31], v[132:133] neg_lo:[0,1] neg_hi:[0,1]
	s_wait_dscnt 0x0
	v_pk_mul_f32 v[132:133], v[128:129], v[120:121] op_sel:[0,1]
	s_delay_alu instid0(VALU_DEP_1) | instskip(SKIP_1) | instid1(VALU_DEP_1)
	v_pk_fma_f32 v[134:135], v[128:129], v[118:119], v[132:133] op_sel:[0,0,1] op_sel_hi:[1,1,0] neg_lo:[0,0,1] neg_hi:[0,0,1]
	v_pk_fma_f32 v[128:129], v[128:129], v[118:119], v[132:133] op_sel:[0,0,1] op_sel_hi:[1,0,0]
	v_mov_b32_e32 v135, v129
	v_pk_mul_f32 v[128:129], v[130:131], v[120:121] op_sel:[0,1]
	s_delay_alu instid0(VALU_DEP_1) | instskip(SKIP_1) | instid1(VALU_DEP_1)
	v_pk_fma_f32 v[132:133], v[130:131], v[118:119], v[128:129] op_sel:[0,0,1] op_sel_hi:[1,1,0] neg_lo:[0,0,1] neg_hi:[0,0,1]
	v_pk_fma_f32 v[128:129], v[130:131], v[118:119], v[128:129] op_sel:[0,0,1] op_sel_hi:[1,0,0]
	v_mov_b32_e32 v133, v129
	ds_load_2addr_b64 v[128:131], v122 offset0:22 offset1:23
	v_pk_add_f32 v[82:83], v[82:83], v[134:135] neg_lo:[0,1] neg_hi:[0,1]
	v_pk_add_f32 v[78:79], v[78:79], v[132:133] neg_lo:[0,1] neg_hi:[0,1]
	s_wait_dscnt 0x0
	v_dual_mul_f32 v132, v129, v121 :: v_dual_mul_f32 v134, v129, v118
	s_delay_alu instid0(VALU_DEP_1) | instskip(NEXT) | instid1(VALU_DEP_2)
	v_pk_fma_f32 v[132:133], v[128:129], v[108:109], v[132:133] op_sel_hi:[1,1,0] neg_lo:[0,0,1] neg_hi:[0,0,1]
	v_pk_fma_f32 v[128:129], v[128:129], v[108:109], v[134:135] op_sel:[1,0,0] op_sel_hi:[0,1,0]
	s_delay_alu instid0(VALU_DEP_1) | instskip(SKIP_1) | instid1(VALU_DEP_2)
	v_mov_b32_e32 v133, v129
	v_pk_mul_f32 v[128:129], v[130:131], v[120:121] op_sel:[0,1]
	v_pk_add_f32 v[80:81], v[80:81], v[132:133] neg_lo:[0,1] neg_hi:[0,1]
	s_delay_alu instid0(VALU_DEP_2) | instskip(SKIP_1) | instid1(VALU_DEP_1)
	v_pk_fma_f32 v[132:133], v[130:131], v[118:119], v[128:129] op_sel:[0,0,1] op_sel_hi:[1,1,0] neg_lo:[0,0,1] neg_hi:[0,0,1]
	v_pk_fma_f32 v[128:129], v[130:131], v[118:119], v[128:129] op_sel:[0,0,1] op_sel_hi:[1,0,0]
	v_mov_b32_e32 v133, v129
	ds_load_2addr_b64 v[128:131], v122 offset0:24 offset1:25
	v_pk_add_f32 v[24:25], v[24:25], v[132:133] neg_lo:[0,1] neg_hi:[0,1]
	s_wait_dscnt 0x0
	v_pk_mul_f32 v[132:133], v[128:129], v[120:121] op_sel:[0,1]
	s_delay_alu instid0(VALU_DEP_1) | instskip(SKIP_1) | instid1(VALU_DEP_1)
	v_pk_fma_f32 v[134:135], v[128:129], v[118:119], v[132:133] op_sel:[0,0,1] op_sel_hi:[1,1,0] neg_lo:[0,0,1] neg_hi:[0,0,1]
	v_pk_fma_f32 v[128:129], v[128:129], v[118:119], v[132:133] op_sel:[0,0,1] op_sel_hi:[1,0,0]
	v_mov_b32_e32 v135, v129
	v_pk_mul_f32 v[128:129], v[130:131], v[120:121] op_sel:[0,1]
	s_delay_alu instid0(VALU_DEP_2) | instskip(NEXT) | instid1(VALU_DEP_2)
	v_pk_add_f32 v[76:77], v[76:77], v[134:135] neg_lo:[0,1] neg_hi:[0,1]
	v_pk_fma_f32 v[132:133], v[130:131], v[118:119], v[128:129] op_sel:[0,0,1] op_sel_hi:[1,1,0] neg_lo:[0,0,1] neg_hi:[0,0,1]
	v_pk_fma_f32 v[128:129], v[130:131], v[118:119], v[128:129] op_sel:[0,0,1] op_sel_hi:[1,0,0]
	s_delay_alu instid0(VALU_DEP_1) | instskip(SKIP_4) | instid1(VALU_DEP_1)
	v_mov_b32_e32 v133, v129
	ds_load_2addr_b64 v[128:131], v122 offset0:26 offset1:27
	v_pk_add_f32 v[72:73], v[72:73], v[132:133] neg_lo:[0,1] neg_hi:[0,1]
	s_wait_dscnt 0x0
	v_pk_mul_f32 v[132:133], v[128:129], v[120:121] op_sel:[0,1]
	v_pk_fma_f32 v[134:135], v[128:129], v[118:119], v[132:133] op_sel:[0,0,1] op_sel_hi:[1,1,0] neg_lo:[0,0,1] neg_hi:[0,0,1]
	v_pk_fma_f32 v[128:129], v[128:129], v[118:119], v[132:133] op_sel:[0,0,1] op_sel_hi:[1,0,0]
	v_dual_mul_f32 v132, v131, v121 :: v_dual_mov_b32 v128, v131
	s_delay_alu instid0(VALU_DEP_2) | instskip(NEXT) | instid1(VALU_DEP_2)
	v_dual_mov_b32 v135, v129 :: v_dual_mov_b32 v129, v130
	v_pk_fma_f32 v[132:133], v[130:131], v[108:109], v[132:133] op_sel_hi:[1,1,0] neg_lo:[0,0,1] neg_hi:[0,0,1]
	v_mul_f32_e32 v130, v131, v118
	s_delay_alu instid0(VALU_DEP_3) | instskip(NEXT) | instid1(VALU_DEP_2)
	v_pk_add_f32 v[74:75], v[74:75], v[134:135] neg_lo:[0,1] neg_hi:[0,1]
	v_pk_fma_f32 v[128:129], v[128:129], v[108:109], v[130:131] op_sel_hi:[1,1,0]
	s_delay_alu instid0(VALU_DEP_1) | instskip(SKIP_4) | instid1(VALU_DEP_1)
	v_mov_b32_e32 v133, v129
	ds_load_2addr_b64 v[128:131], v122 offset0:28 offset1:29
	v_pk_add_f32 v[18:19], v[18:19], v[132:133] neg_lo:[0,1] neg_hi:[0,1]
	s_wait_dscnt 0x0
	v_pk_mul_f32 v[132:133], v[128:129], v[120:121] op_sel:[0,1]
	v_pk_fma_f32 v[134:135], v[128:129], v[118:119], v[132:133] op_sel:[0,0,1] op_sel_hi:[1,1,0] neg_lo:[0,0,1] neg_hi:[0,0,1]
	v_pk_fma_f32 v[128:129], v[128:129], v[118:119], v[132:133] op_sel:[0,0,1] op_sel_hi:[1,0,0]
	s_delay_alu instid0(VALU_DEP_1) | instskip(SKIP_1) | instid1(VALU_DEP_1)
	v_mov_b32_e32 v135, v129
	v_pk_mul_f32 v[128:129], v[130:131], v[120:121] op_sel:[0,1]
	v_pk_fma_f32 v[132:133], v[130:131], v[118:119], v[128:129] op_sel:[0,0,1] op_sel_hi:[1,1,0] neg_lo:[0,0,1] neg_hi:[0,0,1]
	v_pk_fma_f32 v[128:129], v[130:131], v[118:119], v[128:129] op_sel:[0,0,1] op_sel_hi:[1,0,0]
	s_delay_alu instid0(VALU_DEP_1)
	v_mov_b32_e32 v133, v129
	ds_load_2addr_b64 v[128:131], v122 offset0:30 offset1:31
	v_pk_add_f32 v[70:71], v[70:71], v[134:135] neg_lo:[0,1] neg_hi:[0,1]
	v_pk_add_f32 v[66:67], v[66:67], v[132:133] neg_lo:[0,1] neg_hi:[0,1]
	s_wait_dscnt 0x0
	v_pk_mul_f32 v[132:133], v[128:129], v[120:121] op_sel:[0,1]
	s_delay_alu instid0(VALU_DEP_1) | instskip(SKIP_1) | instid1(VALU_DEP_1)
	v_pk_fma_f32 v[134:135], v[128:129], v[118:119], v[132:133] op_sel:[0,0,1] op_sel_hi:[1,1,0] neg_lo:[0,0,1] neg_hi:[0,0,1]
	v_pk_fma_f32 v[128:129], v[128:129], v[118:119], v[132:133] op_sel:[0,0,1] op_sel_hi:[1,0,0]
	v_mov_b32_e32 v135, v129
	v_pk_mul_f32 v[128:129], v[130:131], v[120:121] op_sel:[0,1]
	s_delay_alu instid0(VALU_DEP_1) | instskip(SKIP_1) | instid1(VALU_DEP_1)
	v_pk_fma_f32 v[132:133], v[130:131], v[118:119], v[128:129] op_sel:[0,0,1] op_sel_hi:[1,1,0] neg_lo:[0,0,1] neg_hi:[0,0,1]
	v_pk_fma_f32 v[128:129], v[130:131], v[118:119], v[128:129] op_sel:[0,0,1] op_sel_hi:[1,0,0]
	v_mov_b32_e32 v133, v129
	ds_load_2addr_b64 v[128:131], v122 offset0:32 offset1:33
	v_pk_add_f32 v[68:69], v[68:69], v[134:135] neg_lo:[0,1] neg_hi:[0,1]
	v_pk_add_f32 v[16:17], v[16:17], v[132:133] neg_lo:[0,1] neg_hi:[0,1]
	s_wait_dscnt 0x0
	v_dual_mul_f32 v132, v129, v121 :: v_dual_mul_f32 v134, v129, v118
	s_delay_alu instid0(VALU_DEP_1) | instskip(NEXT) | instid1(VALU_DEP_2)
	v_pk_fma_f32 v[132:133], v[128:129], v[108:109], v[132:133] op_sel_hi:[1,1,0] neg_lo:[0,0,1] neg_hi:[0,0,1]
	v_pk_fma_f32 v[128:129], v[128:129], v[108:109], v[134:135] op_sel:[1,0,0] op_sel_hi:[0,1,0]
	s_delay_alu instid0(VALU_DEP_1) | instskip(SKIP_1) | instid1(VALU_DEP_2)
	v_mov_b32_e32 v133, v129
	v_pk_mul_f32 v[128:129], v[130:131], v[120:121] op_sel:[0,1]
	v_pk_add_f32 v[64:65], v[64:65], v[132:133] neg_lo:[0,1] neg_hi:[0,1]
	s_delay_alu instid0(VALU_DEP_2) | instskip(SKIP_1) | instid1(VALU_DEP_1)
	v_pk_fma_f32 v[132:133], v[130:131], v[118:119], v[128:129] op_sel:[0,0,1] op_sel_hi:[1,1,0] neg_lo:[0,0,1] neg_hi:[0,0,1]
	v_pk_fma_f32 v[128:129], v[130:131], v[118:119], v[128:129] op_sel:[0,0,1] op_sel_hi:[1,0,0]
	v_mov_b32_e32 v133, v129
	ds_load_2addr_b64 v[128:131], v122 offset0:34 offset1:35
	v_pk_add_f32 v[60:61], v[60:61], v[132:133] neg_lo:[0,1] neg_hi:[0,1]
	s_wait_dscnt 0x0
	v_pk_mul_f32 v[132:133], v[128:129], v[120:121] op_sel:[0,1]
	s_delay_alu instid0(VALU_DEP_1) | instskip(SKIP_1) | instid1(VALU_DEP_1)
	v_pk_fma_f32 v[134:135], v[128:129], v[118:119], v[132:133] op_sel:[0,0,1] op_sel_hi:[1,1,0] neg_lo:[0,0,1] neg_hi:[0,0,1]
	v_pk_fma_f32 v[128:129], v[128:129], v[118:119], v[132:133] op_sel:[0,0,1] op_sel_hi:[1,0,0]
	v_mov_b32_e32 v135, v129
	v_pk_mul_f32 v[128:129], v[130:131], v[120:121] op_sel:[0,1]
	s_delay_alu instid0(VALU_DEP_2) | instskip(NEXT) | instid1(VALU_DEP_2)
	v_pk_add_f32 v[62:63], v[62:63], v[134:135] neg_lo:[0,1] neg_hi:[0,1]
	v_pk_fma_f32 v[132:133], v[130:131], v[118:119], v[128:129] op_sel:[0,0,1] op_sel_hi:[1,1,0] neg_lo:[0,0,1] neg_hi:[0,0,1]
	v_pk_fma_f32 v[128:129], v[130:131], v[118:119], v[128:129] op_sel:[0,0,1] op_sel_hi:[1,0,0]
	s_delay_alu instid0(VALU_DEP_1) | instskip(SKIP_4) | instid1(VALU_DEP_1)
	v_mov_b32_e32 v133, v129
	ds_load_2addr_b64 v[128:131], v122 offset0:36 offset1:37
	v_pk_add_f32 v[14:15], v[14:15], v[132:133] neg_lo:[0,1] neg_hi:[0,1]
	s_wait_dscnt 0x0
	v_pk_mul_f32 v[132:133], v[128:129], v[120:121] op_sel:[0,1]
	v_pk_fma_f32 v[134:135], v[128:129], v[118:119], v[132:133] op_sel:[0,0,1] op_sel_hi:[1,1,0] neg_lo:[0,0,1] neg_hi:[0,0,1]
	v_pk_fma_f32 v[128:129], v[128:129], v[118:119], v[132:133] op_sel:[0,0,1] op_sel_hi:[1,0,0]
	v_dual_mul_f32 v132, v131, v121 :: v_dual_mov_b32 v128, v131
	s_delay_alu instid0(VALU_DEP_2) | instskip(NEXT) | instid1(VALU_DEP_2)
	v_dual_mov_b32 v135, v129 :: v_dual_mov_b32 v129, v130
	v_pk_fma_f32 v[132:133], v[130:131], v[108:109], v[132:133] op_sel_hi:[1,1,0] neg_lo:[0,0,1] neg_hi:[0,0,1]
	v_mul_f32_e32 v130, v131, v118
	s_delay_alu instid0(VALU_DEP_3) | instskip(NEXT) | instid1(VALU_DEP_2)
	v_pk_add_f32 v[58:59], v[58:59], v[134:135] neg_lo:[0,1] neg_hi:[0,1]
	v_pk_fma_f32 v[128:129], v[128:129], v[108:109], v[130:131] op_sel_hi:[1,1,0]
	s_delay_alu instid0(VALU_DEP_1) | instskip(SKIP_4) | instid1(VALU_DEP_1)
	v_mov_b32_e32 v133, v129
	ds_load_2addr_b64 v[128:131], v122 offset0:38 offset1:39
	v_pk_add_f32 v[54:55], v[54:55], v[132:133] neg_lo:[0,1] neg_hi:[0,1]
	s_wait_dscnt 0x0
	v_pk_mul_f32 v[132:133], v[128:129], v[120:121] op_sel:[0,1]
	v_pk_fma_f32 v[134:135], v[128:129], v[118:119], v[132:133] op_sel:[0,0,1] op_sel_hi:[1,1,0] neg_lo:[0,0,1] neg_hi:[0,0,1]
	v_pk_fma_f32 v[128:129], v[128:129], v[118:119], v[132:133] op_sel:[0,0,1] op_sel_hi:[1,0,0]
	s_delay_alu instid0(VALU_DEP_1) | instskip(SKIP_1) | instid1(VALU_DEP_1)
	v_mov_b32_e32 v135, v129
	v_pk_mul_f32 v[128:129], v[130:131], v[120:121] op_sel:[0,1]
	v_pk_fma_f32 v[132:133], v[130:131], v[118:119], v[128:129] op_sel:[0,0,1] op_sel_hi:[1,1,0] neg_lo:[0,0,1] neg_hi:[0,0,1]
	v_pk_fma_f32 v[128:129], v[130:131], v[118:119], v[128:129] op_sel:[0,0,1] op_sel_hi:[1,0,0]
	s_delay_alu instid0(VALU_DEP_1)
	v_mov_b32_e32 v133, v129
	ds_load_2addr_b64 v[128:131], v122 offset0:40 offset1:41
	v_pk_add_f32 v[56:57], v[56:57], v[134:135] neg_lo:[0,1] neg_hi:[0,1]
	v_pk_add_f32 v[12:13], v[12:13], v[132:133] neg_lo:[0,1] neg_hi:[0,1]
	s_wait_dscnt 0x0
	v_pk_mul_f32 v[132:133], v[128:129], v[120:121] op_sel:[0,1]
	s_delay_alu instid0(VALU_DEP_1) | instskip(SKIP_1) | instid1(VALU_DEP_1)
	v_pk_fma_f32 v[134:135], v[128:129], v[118:119], v[132:133] op_sel:[0,0,1] op_sel_hi:[1,1,0] neg_lo:[0,0,1] neg_hi:[0,0,1]
	v_pk_fma_f32 v[128:129], v[128:129], v[118:119], v[132:133] op_sel:[0,0,1] op_sel_hi:[1,0,0]
	v_mov_b32_e32 v135, v129
	v_pk_mul_f32 v[128:129], v[130:131], v[120:121] op_sel:[0,1]
	s_delay_alu instid0(VALU_DEP_1) | instskip(SKIP_1) | instid1(VALU_DEP_1)
	v_pk_fma_f32 v[132:133], v[130:131], v[118:119], v[128:129] op_sel:[0,0,1] op_sel_hi:[1,1,0] neg_lo:[0,0,1] neg_hi:[0,0,1]
	v_pk_fma_f32 v[128:129], v[130:131], v[118:119], v[128:129] op_sel:[0,0,1] op_sel_hi:[1,0,0]
	v_mov_b32_e32 v133, v129
	ds_load_2addr_b64 v[128:131], v122 offset0:42 offset1:43
	v_pk_add_f32 v[52:53], v[52:53], v[134:135] neg_lo:[0,1] neg_hi:[0,1]
	v_pk_add_f32 v[48:49], v[48:49], v[132:133] neg_lo:[0,1] neg_hi:[0,1]
	s_wait_dscnt 0x0
	v_dual_mul_f32 v132, v129, v121 :: v_dual_mul_f32 v134, v129, v118
	s_delay_alu instid0(VALU_DEP_1) | instskip(NEXT) | instid1(VALU_DEP_2)
	v_pk_fma_f32 v[132:133], v[128:129], v[108:109], v[132:133] op_sel_hi:[1,1,0] neg_lo:[0,0,1] neg_hi:[0,0,1]
	v_pk_fma_f32 v[128:129], v[128:129], v[108:109], v[134:135] op_sel:[1,0,0] op_sel_hi:[0,1,0]
	s_delay_alu instid0(VALU_DEP_1) | instskip(SKIP_1) | instid1(VALU_DEP_2)
	v_mov_b32_e32 v133, v129
	v_pk_mul_f32 v[128:129], v[130:131], v[120:121] op_sel:[0,1]
	v_pk_add_f32 v[50:51], v[50:51], v[132:133] neg_lo:[0,1] neg_hi:[0,1]
	s_delay_alu instid0(VALU_DEP_2) | instskip(SKIP_1) | instid1(VALU_DEP_1)
	v_pk_fma_f32 v[132:133], v[130:131], v[118:119], v[128:129] op_sel:[0,0,1] op_sel_hi:[1,1,0] neg_lo:[0,0,1] neg_hi:[0,0,1]
	v_pk_fma_f32 v[128:129], v[130:131], v[118:119], v[128:129] op_sel:[0,0,1] op_sel_hi:[1,0,0]
	v_mov_b32_e32 v133, v129
	ds_load_2addr_b64 v[128:131], v122 offset0:44 offset1:45
	v_pk_add_f32 v[10:11], v[10:11], v[132:133] neg_lo:[0,1] neg_hi:[0,1]
	s_wait_dscnt 0x0
	v_pk_mul_f32 v[132:133], v[128:129], v[120:121] op_sel:[0,1]
	s_delay_alu instid0(VALU_DEP_1) | instskip(SKIP_1) | instid1(VALU_DEP_1)
	v_pk_fma_f32 v[134:135], v[128:129], v[118:119], v[132:133] op_sel:[0,0,1] op_sel_hi:[1,1,0] neg_lo:[0,0,1] neg_hi:[0,0,1]
	v_pk_fma_f32 v[128:129], v[128:129], v[118:119], v[132:133] op_sel:[0,0,1] op_sel_hi:[1,0,0]
	v_mov_b32_e32 v135, v129
	v_pk_mul_f32 v[128:129], v[130:131], v[120:121] op_sel:[0,1]
	s_delay_alu instid0(VALU_DEP_2) | instskip(NEXT) | instid1(VALU_DEP_2)
	v_pk_add_f32 v[46:47], v[46:47], v[134:135] neg_lo:[0,1] neg_hi:[0,1]
	v_pk_fma_f32 v[132:133], v[130:131], v[118:119], v[128:129] op_sel:[0,0,1] op_sel_hi:[1,1,0] neg_lo:[0,0,1] neg_hi:[0,0,1]
	v_pk_fma_f32 v[128:129], v[130:131], v[118:119], v[128:129] op_sel:[0,0,1] op_sel_hi:[1,0,0]
	s_delay_alu instid0(VALU_DEP_1) | instskip(SKIP_4) | instid1(VALU_DEP_1)
	v_mov_b32_e32 v133, v129
	ds_load_2addr_b64 v[128:131], v122 offset0:46 offset1:47
	v_pk_add_f32 v[42:43], v[42:43], v[132:133] neg_lo:[0,1] neg_hi:[0,1]
	s_wait_dscnt 0x0
	v_pk_mul_f32 v[132:133], v[128:129], v[120:121] op_sel:[0,1]
	v_pk_fma_f32 v[134:135], v[128:129], v[118:119], v[132:133] op_sel:[0,0,1] op_sel_hi:[1,1,0] neg_lo:[0,0,1] neg_hi:[0,0,1]
	v_pk_fma_f32 v[128:129], v[128:129], v[118:119], v[132:133] op_sel:[0,0,1] op_sel_hi:[1,0,0]
	v_dual_mul_f32 v132, v131, v121 :: v_dual_mov_b32 v128, v131
	s_delay_alu instid0(VALU_DEP_2) | instskip(NEXT) | instid1(VALU_DEP_2)
	v_dual_mov_b32 v135, v129 :: v_dual_mov_b32 v129, v130
	v_pk_fma_f32 v[132:133], v[130:131], v[108:109], v[132:133] op_sel_hi:[1,1,0] neg_lo:[0,0,1] neg_hi:[0,0,1]
	v_mul_f32_e32 v130, v131, v118
	s_delay_alu instid0(VALU_DEP_3) | instskip(NEXT) | instid1(VALU_DEP_2)
	v_pk_add_f32 v[44:45], v[44:45], v[134:135] neg_lo:[0,1] neg_hi:[0,1]
	v_pk_fma_f32 v[128:129], v[128:129], v[108:109], v[130:131] op_sel_hi:[1,1,0]
	s_delay_alu instid0(VALU_DEP_1) | instskip(SKIP_4) | instid1(VALU_DEP_1)
	v_mov_b32_e32 v133, v129
	ds_load_2addr_b64 v[128:131], v122 offset0:48 offset1:49
	v_pk_add_f32 v[6:7], v[6:7], v[132:133] neg_lo:[0,1] neg_hi:[0,1]
	s_wait_dscnt 0x0
	v_pk_mul_f32 v[132:133], v[128:129], v[120:121] op_sel:[0,1]
	v_pk_fma_f32 v[134:135], v[128:129], v[118:119], v[132:133] op_sel:[0,0,1] op_sel_hi:[1,1,0] neg_lo:[0,0,1] neg_hi:[0,0,1]
	v_pk_fma_f32 v[128:129], v[128:129], v[118:119], v[132:133] op_sel:[0,0,1] op_sel_hi:[1,0,0]
	s_delay_alu instid0(VALU_DEP_1) | instskip(SKIP_1) | instid1(VALU_DEP_1)
	v_mov_b32_e32 v135, v129
	v_pk_mul_f32 v[128:129], v[130:131], v[120:121] op_sel:[0,1]
	v_pk_fma_f32 v[132:133], v[130:131], v[118:119], v[128:129] op_sel:[0,0,1] op_sel_hi:[1,1,0] neg_lo:[0,0,1] neg_hi:[0,0,1]
	v_pk_fma_f32 v[128:129], v[130:131], v[118:119], v[128:129] op_sel:[0,0,1] op_sel_hi:[1,0,0]
	s_delay_alu instid0(VALU_DEP_1)
	v_mov_b32_e32 v133, v129
	ds_load_2addr_b64 v[128:131], v122 offset0:50 offset1:51
	v_pk_add_f32 v[34:35], v[34:35], v[134:135] neg_lo:[0,1] neg_hi:[0,1]
	v_pk_add_f32 v[28:29], v[28:29], v[132:133] neg_lo:[0,1] neg_hi:[0,1]
	s_wait_dscnt 0x0
	v_pk_mul_f32 v[132:133], v[128:129], v[120:121] op_sel:[0,1]
	s_delay_alu instid0(VALU_DEP_1) | instskip(SKIP_1) | instid1(VALU_DEP_1)
	v_pk_fma_f32 v[134:135], v[128:129], v[118:119], v[132:133] op_sel:[0,0,1] op_sel_hi:[1,1,0] neg_lo:[0,0,1] neg_hi:[0,0,1]
	v_pk_fma_f32 v[128:129], v[128:129], v[118:119], v[132:133] op_sel:[0,0,1] op_sel_hi:[1,0,0]
	v_mov_b32_e32 v135, v129
	v_pk_mul_f32 v[128:129], v[130:131], v[120:121] op_sel:[0,1]
	s_delay_alu instid0(VALU_DEP_1) | instskip(SKIP_1) | instid1(VALU_DEP_1)
	v_pk_fma_f32 v[132:133], v[130:131], v[118:119], v[128:129] op_sel:[0,0,1] op_sel_hi:[1,1,0] neg_lo:[0,0,1] neg_hi:[0,0,1]
	v_pk_fma_f32 v[128:129], v[130:131], v[118:119], v[128:129] op_sel:[0,0,1] op_sel_hi:[1,0,0]
	v_mov_b32_e32 v133, v129
	ds_load_2addr_b64 v[128:131], v122 offset0:52 offset1:53
	v_pk_add_f32 v[32:33], v[32:33], v[134:135] neg_lo:[0,1] neg_hi:[0,1]
	v_pk_add_f32 v[8:9], v[8:9], v[132:133] neg_lo:[0,1] neg_hi:[0,1]
	s_wait_dscnt 0x0
	v_dual_mul_f32 v132, v129, v121 :: v_dual_mul_f32 v134, v129, v118
	s_delay_alu instid0(VALU_DEP_1) | instskip(NEXT) | instid1(VALU_DEP_2)
	v_pk_fma_f32 v[132:133], v[128:129], v[108:109], v[132:133] op_sel_hi:[1,1,0] neg_lo:[0,0,1] neg_hi:[0,0,1]
	v_pk_fma_f32 v[128:129], v[128:129], v[108:109], v[134:135] op_sel:[1,0,0] op_sel_hi:[0,1,0]
	s_delay_alu instid0(VALU_DEP_1) | instskip(SKIP_1) | instid1(VALU_DEP_2)
	v_mov_b32_e32 v133, v129
	v_pk_mul_f32 v[128:129], v[130:131], v[120:121] op_sel:[0,1]
	v_pk_add_f32 v[26:27], v[26:27], v[132:133] neg_lo:[0,1] neg_hi:[0,1]
	s_delay_alu instid0(VALU_DEP_2) | instskip(SKIP_1) | instid1(VALU_DEP_1)
	v_pk_fma_f32 v[132:133], v[130:131], v[118:119], v[128:129] op_sel:[0,0,1] op_sel_hi:[1,1,0] neg_lo:[0,0,1] neg_hi:[0,0,1]
	v_pk_fma_f32 v[128:129], v[130:131], v[118:119], v[128:129] op_sel:[0,0,1] op_sel_hi:[1,0,0]
	v_mov_b32_e32 v133, v129
	ds_load_2addr_b64 v[128:131], v122 offset0:54 offset1:55
	v_pk_add_f32 v[22:23], v[22:23], v[132:133] neg_lo:[0,1] neg_hi:[0,1]
	s_wait_dscnt 0x0
	v_pk_mul_f32 v[132:133], v[128:129], v[120:121] op_sel:[0,1]
	v_pk_mul_f32 v[120:121], v[130:131], v[120:121] op_sel:[0,1]
	s_delay_alu instid0(VALU_DEP_2) | instskip(SKIP_1) | instid1(VALU_DEP_1)
	v_pk_fma_f32 v[134:135], v[128:129], v[118:119], v[132:133] op_sel:[0,0,1] op_sel_hi:[1,1,0] neg_lo:[0,0,1] neg_hi:[0,0,1]
	v_pk_fma_f32 v[128:129], v[128:129], v[118:119], v[132:133] op_sel:[0,0,1] op_sel_hi:[1,0,0]
	v_mov_b32_e32 v135, v129
	s_delay_alu instid0(VALU_DEP_4) | instskip(SKIP_1) | instid1(VALU_DEP_3)
	v_pk_fma_f32 v[128:129], v[130:131], v[118:119], v[120:121] op_sel:[0,0,1] op_sel_hi:[1,1,0] neg_lo:[0,0,1] neg_hi:[0,0,1]
	v_pk_fma_f32 v[118:119], v[130:131], v[118:119], v[120:121] op_sel:[0,0,1] op_sel_hi:[1,0,0]
	v_pk_add_f32 v[20:21], v[20:21], v[134:135] neg_lo:[0,1] neg_hi:[0,1]
	s_delay_alu instid0(VALU_DEP_2) | instskip(NEXT) | instid1(VALU_DEP_1)
	v_mov_b32_e32 v129, v119
	v_pk_add_f32 v[116:117], v[116:117], v[128:129] neg_lo:[0,1] neg_hi:[0,1]
.LBB110_83:
	s_or_b32 exec_lo, exec_lo, s0
	v_lshl_add_u32 v118, v126, 3, v122
	s_barrier_signal -1
	s_barrier_wait -1
	ds_store_b64 v118, v[106:107]
	s_wait_dscnt 0x0
	s_barrier_signal -1
	s_barrier_wait -1
	ds_load_b64 v[120:121], v122 offset:32
	v_mov_b32_e32 v118, 4
	s_cmp_lt_i32 s18, 6
	s_cbranch_scc1 .LBB110_86
; %bb.84:
	v_add3_u32 v119, v123, 0, 40
	v_mov_b32_e32 v118, 4
	s_mov_b32 s0, 5
.LBB110_85:                             ; =>This Inner Loop Header: Depth=1
	ds_load_b64 v[128:129], v119
	s_wait_dscnt 0x1
	v_cmp_gt_f32_e32 vcc_lo, 0, v120
	v_cndmask_b32_e64 v130, v120, -v120, vcc_lo
	v_cmp_gt_f32_e32 vcc_lo, 0, v121
	v_cndmask_b32_e64 v132, v121, -v121, vcc_lo
	s_wait_dscnt 0x0
	v_cmp_gt_f32_e32 vcc_lo, 0, v128
	v_cndmask_b32_e64 v131, v128, -v128, vcc_lo
	v_cmp_gt_f32_e32 vcc_lo, 0, v129
	v_cndmask_b32_e64 v133, v129, -v129, vcc_lo
	s_delay_alu instid0(VALU_DEP_1) | instskip(NEXT) | instid1(VALU_DEP_1)
	v_pk_add_f32 v[130:131], v[130:131], v[132:133]
	v_cmp_lt_f32_e32 vcc_lo, v130, v131
	v_dual_add_nc_u32 v119, 8, v119 :: v_dual_cndmask_b32 v121, v121, v129, vcc_lo
	v_cndmask_b32_e32 v120, v120, v128, vcc_lo
	v_cndmask_b32_e64 v118, v118, s0, vcc_lo
	s_add_co_i32 s0, s0, 1
	s_delay_alu instid0(SALU_CYCLE_1)
	s_cmp_lg_u32 s18, s0
	s_cbranch_scc1 .LBB110_85
.LBB110_86:
	s_wait_dscnt 0x0
	v_cmp_eq_f32_e32 vcc_lo, 0, v120
	v_cmp_eq_f32_e64 s0, 0, v121
	s_and_b32 s0, vcc_lo, s0
	s_delay_alu instid0(SALU_CYCLE_1) | instskip(NEXT) | instid1(SALU_CYCLE_1)
	s_and_saveexec_b32 s1, s0
	s_xor_b32 s0, exec_lo, s1
; %bb.87:
	v_cmp_ne_u32_e32 vcc_lo, 0, v124
	v_cndmask_b32_e32 v124, 5, v124, vcc_lo
; %bb.88:
	s_and_not1_saveexec_b32 s0, s0
	s_cbranch_execz .LBB110_94
; %bb.89:
	v_cmp_ngt_f32_e64 s1, |v120|, |v121|
	s_and_saveexec_b32 s12, s1
	s_delay_alu instid0(SALU_CYCLE_1)
	s_xor_b32 s1, exec_lo, s12
	s_cbranch_execz .LBB110_91
; %bb.90:
	v_div_scale_f32 v119, null, v121, v121, v120
	v_div_scale_f32 v129, vcc_lo, v120, v121, v120
	s_delay_alu instid0(VALU_DEP_2) | instskip(SKIP_1) | instid1(TRANS32_DEP_1)
	v_rcp_f32_e32 v127, v119
	v_nop
	v_fma_f32 v128, -v119, v127, 1.0
	s_delay_alu instid0(VALU_DEP_1) | instskip(NEXT) | instid1(VALU_DEP_1)
	v_fmac_f32_e32 v127, v128, v127
	v_mul_f32_e32 v128, v129, v127
	s_delay_alu instid0(VALU_DEP_1) | instskip(NEXT) | instid1(VALU_DEP_1)
	v_fma_f32 v130, -v119, v128, v129
	v_fmac_f32_e32 v128, v130, v127
	s_delay_alu instid0(VALU_DEP_1) | instskip(NEXT) | instid1(VALU_DEP_1)
	v_fma_f32 v119, -v119, v128, v129
	v_div_fmas_f32 v119, v119, v127, v128
	s_delay_alu instid0(VALU_DEP_1) | instskip(NEXT) | instid1(VALU_DEP_1)
	v_div_fixup_f32 v119, v119, v121, v120
	v_fmac_f32_e32 v121, v120, v119
	s_delay_alu instid0(VALU_DEP_1) | instskip(SKIP_1) | instid1(VALU_DEP_2)
	v_div_scale_f32 v120, null, v121, v121, 1.0
	v_div_scale_f32 v129, vcc_lo, 1.0, v121, 1.0
	v_rcp_f32_e32 v127, v120
	v_nop
	s_delay_alu instid0(TRANS32_DEP_1) | instskip(NEXT) | instid1(VALU_DEP_1)
	v_fma_f32 v128, -v120, v127, 1.0
	v_fmac_f32_e32 v127, v128, v127
	s_delay_alu instid0(VALU_DEP_1) | instskip(NEXT) | instid1(VALU_DEP_1)
	v_mul_f32_e32 v128, v129, v127
	v_fma_f32 v130, -v120, v128, v129
	s_delay_alu instid0(VALU_DEP_1) | instskip(NEXT) | instid1(VALU_DEP_1)
	v_fmac_f32_e32 v128, v130, v127
	v_fma_f32 v120, -v120, v128, v129
	s_delay_alu instid0(VALU_DEP_1) | instskip(NEXT) | instid1(VALU_DEP_1)
	v_div_fmas_f32 v120, v120, v127, v128
	v_div_fixup_f32 v121, v120, v121, 1.0
	s_delay_alu instid0(VALU_DEP_1)
	v_mul_f32_e32 v120, v119, v121
	v_xor_b32_e32 v121, 0x80000000, v121
.LBB110_91:
	s_and_not1_saveexec_b32 s1, s1
	s_cbranch_execz .LBB110_93
; %bb.92:
	s_delay_alu instid0(VALU_DEP_1) | instskip(SKIP_1) | instid1(VALU_DEP_2)
	v_div_scale_f32 v119, null, v120, v120, v121
	v_div_scale_f32 v129, vcc_lo, v121, v120, v121
	v_rcp_f32_e32 v127, v119
	v_nop
	s_delay_alu instid0(TRANS32_DEP_1) | instskip(NEXT) | instid1(VALU_DEP_1)
	v_fma_f32 v128, -v119, v127, 1.0
	v_fmac_f32_e32 v127, v128, v127
	s_delay_alu instid0(VALU_DEP_1) | instskip(NEXT) | instid1(VALU_DEP_1)
	v_mul_f32_e32 v128, v129, v127
	v_fma_f32 v130, -v119, v128, v129
	s_delay_alu instid0(VALU_DEP_1) | instskip(NEXT) | instid1(VALU_DEP_1)
	v_fmac_f32_e32 v128, v130, v127
	v_fma_f32 v119, -v119, v128, v129
	s_delay_alu instid0(VALU_DEP_1) | instskip(NEXT) | instid1(VALU_DEP_1)
	v_div_fmas_f32 v119, v119, v127, v128
	v_div_fixup_f32 v119, v119, v120, v121
	s_delay_alu instid0(VALU_DEP_1) | instskip(NEXT) | instid1(VALU_DEP_1)
	v_fmac_f32_e32 v120, v121, v119
	v_div_scale_f32 v121, null, v120, v120, 1.0
	s_delay_alu instid0(VALU_DEP_1) | instskip(SKIP_1) | instid1(TRANS32_DEP_1)
	v_rcp_f32_e32 v127, v121
	v_nop
	v_fma_f32 v128, -v121, v127, 1.0
	s_delay_alu instid0(VALU_DEP_1) | instskip(SKIP_1) | instid1(VALU_DEP_1)
	v_fmac_f32_e32 v127, v128, v127
	v_div_scale_f32 v128, vcc_lo, 1.0, v120, 1.0
	v_mul_f32_e32 v129, v128, v127
	s_delay_alu instid0(VALU_DEP_1) | instskip(NEXT) | instid1(VALU_DEP_1)
	v_fma_f32 v130, -v121, v129, v128
	v_fmac_f32_e32 v129, v130, v127
	s_delay_alu instid0(VALU_DEP_1) | instskip(NEXT) | instid1(VALU_DEP_1)
	v_fma_f32 v121, -v121, v129, v128
	v_div_fmas_f32 v121, v121, v127, v129
	s_delay_alu instid0(VALU_DEP_1) | instskip(NEXT) | instid1(VALU_DEP_1)
	v_div_fixup_f32 v120, v121, v120, 1.0
	v_mul_f32_e64 v121, v119, -v120
.LBB110_93:
	s_or_b32 exec_lo, exec_lo, s1
.LBB110_94:
	s_delay_alu instid0(SALU_CYCLE_1) | instskip(NEXT) | instid1(SALU_CYCLE_1)
	s_or_b32 exec_lo, exec_lo, s0
	s_mov_b32 s0, exec_lo
	v_cmpx_ne_u32_e64 v126, v118
	s_xor_b32 s0, exec_lo, s0
	s_cbranch_execz .LBB110_100
; %bb.95:
	s_mov_b32 s1, exec_lo
	v_cmpx_eq_u32_e32 4, v126
	s_cbranch_execz .LBB110_99
; %bb.96:
	v_cmp_ne_u32_e32 vcc_lo, 4, v118
	s_xor_b32 s12, s16, -1
	s_delay_alu instid0(SALU_CYCLE_1) | instskip(NEXT) | instid1(SALU_CYCLE_1)
	s_and_b32 s13, s12, vcc_lo
	s_and_saveexec_b32 s12, s13
	s_cbranch_execz .LBB110_98
; %bb.97:
	v_ashrrev_i32_e32 v119, 31, v118
	s_delay_alu instid0(VALU_DEP_1)
	v_lshl_add_u64 v[126:127], v[118:119], 2, v[4:5]
	s_clause 0x1
	global_load_b32 v119, v[126:127], off
	global_load_b32 v125, v[4:5], off offset:16
	s_wait_loadcnt 0x1
	global_store_b32 v[4:5], v119, off offset:16
	s_wait_loadcnt 0x0
	global_store_b32 v[126:127], v125, off
.LBB110_98:
	s_wait_xcnt 0x0
	s_or_b32 exec_lo, exec_lo, s12
	v_dual_mov_b32 v126, v118 :: v_dual_mov_b32 v125, v118
.LBB110_99:
	s_or_b32 exec_lo, exec_lo, s1
.LBB110_100:
	s_and_not1_saveexec_b32 s0, s0
	s_cbranch_execz .LBB110_102
; %bb.101:
	v_mov_b32_e32 v126, 4
	ds_store_2addr_b64 v122, v[102:103], v[104:105] offset0:5 offset1:6
	ds_store_2addr_b64 v122, v[40:41], v[100:101] offset0:7 offset1:8
	;; [unrolled: 1-line block ×25, first 2 shown]
	ds_store_b64 v122, v[116:117] offset:440
.LBB110_102:
	s_or_b32 exec_lo, exec_lo, s0
	s_delay_alu instid0(SALU_CYCLE_1)
	s_mov_b32 s0, exec_lo
	s_wait_storecnt_dscnt 0x0
	s_barrier_signal -1
	s_barrier_wait -1
	v_cmpx_lt_i32_e32 4, v126
	s_cbranch_execz .LBB110_104
; %bb.103:
	v_pk_mul_f32 v[128:129], v[120:121], v[106:107] op_sel:[1,1] op_sel_hi:[0,1]
	s_delay_alu instid0(VALU_DEP_1)
	v_pk_fma_f32 v[118:119], v[120:121], v[106:107], v[128:129] op_sel_hi:[1,0,1] neg_lo:[0,0,1] neg_hi:[0,0,1]
	v_pk_fma_f32 v[120:121], v[120:121], v[106:107], v[128:129] op_sel_hi:[1,0,1]
	ds_load_2addr_b64 v[128:131], v122 offset0:5 offset1:6
	v_dual_mov_b32 v106, v118 :: v_dual_mov_b32 v107, v121
	s_wait_dscnt 0x0
	v_pk_mul_f32 v[132:133], v[128:129], v[120:121] op_sel:[0,1]
	s_delay_alu instid0(VALU_DEP_1) | instskip(SKIP_1) | instid1(VALU_DEP_1)
	v_pk_fma_f32 v[134:135], v[128:129], v[118:119], v[132:133] op_sel:[0,0,1] op_sel_hi:[1,1,0] neg_lo:[0,0,1] neg_hi:[0,0,1]
	v_pk_fma_f32 v[128:129], v[128:129], v[118:119], v[132:133] op_sel:[0,0,1] op_sel_hi:[1,0,0]
	v_mov_b32_e32 v135, v129
	v_pk_mul_f32 v[128:129], v[130:131], v[120:121] op_sel:[0,1]
	s_delay_alu instid0(VALU_DEP_1) | instskip(SKIP_1) | instid1(VALU_DEP_1)
	v_pk_fma_f32 v[132:133], v[130:131], v[118:119], v[128:129] op_sel:[0,0,1] op_sel_hi:[1,1,0] neg_lo:[0,0,1] neg_hi:[0,0,1]
	v_pk_fma_f32 v[128:129], v[130:131], v[118:119], v[128:129] op_sel:[0,0,1] op_sel_hi:[1,0,0]
	v_mov_b32_e32 v133, v129
	ds_load_2addr_b64 v[128:131], v122 offset0:7 offset1:8
	v_pk_add_f32 v[102:103], v[102:103], v[134:135] neg_lo:[0,1] neg_hi:[0,1]
	v_pk_add_f32 v[104:105], v[104:105], v[132:133] neg_lo:[0,1] neg_hi:[0,1]
	s_wait_dscnt 0x0
	v_pk_mul_f32 v[132:133], v[128:129], v[120:121] op_sel:[0,1]
	s_delay_alu instid0(VALU_DEP_1) | instskip(SKIP_2) | instid1(VALU_DEP_2)
	v_pk_fma_f32 v[134:135], v[128:129], v[118:119], v[132:133] op_sel:[0,0,1] op_sel_hi:[1,1,0] neg_lo:[0,0,1] neg_hi:[0,0,1]
	v_pk_fma_f32 v[128:129], v[128:129], v[118:119], v[132:133] op_sel:[0,0,1] op_sel_hi:[1,0,0]
	v_dual_mul_f32 v132, v131, v121 :: v_dual_mov_b32 v128, v131
	v_dual_mov_b32 v135, v129 :: v_dual_mov_b32 v129, v130
	s_delay_alu instid0(VALU_DEP_2) | instskip(SKIP_1) | instid1(VALU_DEP_3)
	v_pk_fma_f32 v[132:133], v[130:131], v[106:107], v[132:133] op_sel_hi:[1,1,0] neg_lo:[0,0,1] neg_hi:[0,0,1]
	v_mul_f32_e32 v130, v131, v118
	v_pk_add_f32 v[40:41], v[40:41], v[134:135] neg_lo:[0,1] neg_hi:[0,1]
	s_delay_alu instid0(VALU_DEP_2) | instskip(NEXT) | instid1(VALU_DEP_1)
	v_pk_fma_f32 v[128:129], v[128:129], v[106:107], v[130:131] op_sel_hi:[1,1,0]
	v_mov_b32_e32 v133, v129
	ds_load_2addr_b64 v[128:131], v122 offset0:9 offset1:10
	v_pk_add_f32 v[100:101], v[100:101], v[132:133] neg_lo:[0,1] neg_hi:[0,1]
	s_wait_dscnt 0x0
	v_pk_mul_f32 v[132:133], v[128:129], v[120:121] op_sel:[0,1]
	s_delay_alu instid0(VALU_DEP_1) | instskip(SKIP_1) | instid1(VALU_DEP_1)
	v_pk_fma_f32 v[134:135], v[128:129], v[118:119], v[132:133] op_sel:[0,0,1] op_sel_hi:[1,1,0] neg_lo:[0,0,1] neg_hi:[0,0,1]
	v_pk_fma_f32 v[128:129], v[128:129], v[118:119], v[132:133] op_sel:[0,0,1] op_sel_hi:[1,0,0]
	v_mov_b32_e32 v135, v129
	v_pk_mul_f32 v[128:129], v[130:131], v[120:121] op_sel:[0,1]
	s_delay_alu instid0(VALU_DEP_1) | instskip(SKIP_1) | instid1(VALU_DEP_1)
	v_pk_fma_f32 v[132:133], v[130:131], v[118:119], v[128:129] op_sel:[0,0,1] op_sel_hi:[1,1,0] neg_lo:[0,0,1] neg_hi:[0,0,1]
	v_pk_fma_f32 v[128:129], v[130:131], v[118:119], v[128:129] op_sel:[0,0,1] op_sel_hi:[1,0,0]
	v_mov_b32_e32 v133, v129
	ds_load_2addr_b64 v[128:131], v122 offset0:11 offset1:12
	v_pk_add_f32 v[96:97], v[96:97], v[134:135] neg_lo:[0,1] neg_hi:[0,1]
	v_pk_add_f32 v[98:99], v[98:99], v[132:133] neg_lo:[0,1] neg_hi:[0,1]
	s_wait_dscnt 0x0
	v_pk_mul_f32 v[132:133], v[128:129], v[120:121] op_sel:[0,1]
	s_delay_alu instid0(VALU_DEP_1) | instskip(SKIP_1) | instid1(VALU_DEP_1)
	v_pk_fma_f32 v[134:135], v[128:129], v[118:119], v[132:133] op_sel:[0,0,1] op_sel_hi:[1,1,0] neg_lo:[0,0,1] neg_hi:[0,0,1]
	v_pk_fma_f32 v[128:129], v[128:129], v[118:119], v[132:133] op_sel:[0,0,1] op_sel_hi:[1,0,0]
	v_mov_b32_e32 v135, v129
	v_pk_mul_f32 v[128:129], v[130:131], v[120:121] op_sel:[0,1]
	s_delay_alu instid0(VALU_DEP_1) | instskip(SKIP_1) | instid1(VALU_DEP_1)
	v_pk_fma_f32 v[132:133], v[130:131], v[118:119], v[128:129] op_sel:[0,0,1] op_sel_hi:[1,1,0] neg_lo:[0,0,1] neg_hi:[0,0,1]
	v_pk_fma_f32 v[128:129], v[130:131], v[118:119], v[128:129] op_sel:[0,0,1] op_sel_hi:[1,0,0]
	v_mov_b32_e32 v133, v129
	ds_load_2addr_b64 v[128:131], v122 offset0:13 offset1:14
	v_pk_add_f32 v[38:39], v[38:39], v[134:135] neg_lo:[0,1] neg_hi:[0,1]
	v_pk_add_f32 v[94:95], v[94:95], v[132:133] neg_lo:[0,1] neg_hi:[0,1]
	s_wait_dscnt 0x0
	v_dual_mul_f32 v132, v129, v121 :: v_dual_mul_f32 v134, v129, v118
	s_delay_alu instid0(VALU_DEP_1) | instskip(NEXT) | instid1(VALU_DEP_2)
	v_pk_fma_f32 v[132:133], v[128:129], v[106:107], v[132:133] op_sel_hi:[1,1,0] neg_lo:[0,0,1] neg_hi:[0,0,1]
	v_pk_fma_f32 v[128:129], v[128:129], v[106:107], v[134:135] op_sel:[1,0,0] op_sel_hi:[0,1,0]
	s_delay_alu instid0(VALU_DEP_1) | instskip(SKIP_1) | instid1(VALU_DEP_2)
	v_mov_b32_e32 v133, v129
	v_pk_mul_f32 v[128:129], v[130:131], v[120:121] op_sel:[0,1]
	v_pk_add_f32 v[90:91], v[90:91], v[132:133] neg_lo:[0,1] neg_hi:[0,1]
	s_delay_alu instid0(VALU_DEP_2) | instskip(SKIP_1) | instid1(VALU_DEP_1)
	v_pk_fma_f32 v[132:133], v[130:131], v[118:119], v[128:129] op_sel:[0,0,1] op_sel_hi:[1,1,0] neg_lo:[0,0,1] neg_hi:[0,0,1]
	v_pk_fma_f32 v[128:129], v[130:131], v[118:119], v[128:129] op_sel:[0,0,1] op_sel_hi:[1,0,0]
	v_mov_b32_e32 v133, v129
	ds_load_2addr_b64 v[128:131], v122 offset0:15 offset1:16
	v_pk_add_f32 v[92:93], v[92:93], v[132:133] neg_lo:[0,1] neg_hi:[0,1]
	s_wait_dscnt 0x0
	v_pk_mul_f32 v[132:133], v[128:129], v[120:121] op_sel:[0,1]
	s_delay_alu instid0(VALU_DEP_1) | instskip(SKIP_1) | instid1(VALU_DEP_1)
	v_pk_fma_f32 v[134:135], v[128:129], v[118:119], v[132:133] op_sel:[0,0,1] op_sel_hi:[1,1,0] neg_lo:[0,0,1] neg_hi:[0,0,1]
	v_pk_fma_f32 v[128:129], v[128:129], v[118:119], v[132:133] op_sel:[0,0,1] op_sel_hi:[1,0,0]
	v_mov_b32_e32 v135, v129
	v_pk_mul_f32 v[128:129], v[130:131], v[120:121] op_sel:[0,1]
	s_delay_alu instid0(VALU_DEP_2) | instskip(NEXT) | instid1(VALU_DEP_2)
	v_pk_add_f32 v[36:37], v[36:37], v[134:135] neg_lo:[0,1] neg_hi:[0,1]
	v_pk_fma_f32 v[132:133], v[130:131], v[118:119], v[128:129] op_sel:[0,0,1] op_sel_hi:[1,1,0] neg_lo:[0,0,1] neg_hi:[0,0,1]
	v_pk_fma_f32 v[128:129], v[130:131], v[118:119], v[128:129] op_sel:[0,0,1] op_sel_hi:[1,0,0]
	s_delay_alu instid0(VALU_DEP_1) | instskip(SKIP_4) | instid1(VALU_DEP_1)
	v_mov_b32_e32 v133, v129
	ds_load_2addr_b64 v[128:131], v122 offset0:17 offset1:18
	v_pk_add_f32 v[88:89], v[88:89], v[132:133] neg_lo:[0,1] neg_hi:[0,1]
	s_wait_dscnt 0x0
	v_pk_mul_f32 v[132:133], v[128:129], v[120:121] op_sel:[0,1]
	v_pk_fma_f32 v[134:135], v[128:129], v[118:119], v[132:133] op_sel:[0,0,1] op_sel_hi:[1,1,0] neg_lo:[0,0,1] neg_hi:[0,0,1]
	v_pk_fma_f32 v[128:129], v[128:129], v[118:119], v[132:133] op_sel:[0,0,1] op_sel_hi:[1,0,0]
	v_dual_mul_f32 v132, v131, v121 :: v_dual_mov_b32 v128, v131
	s_delay_alu instid0(VALU_DEP_2) | instskip(NEXT) | instid1(VALU_DEP_2)
	v_dual_mov_b32 v135, v129 :: v_dual_mov_b32 v129, v130
	v_pk_fma_f32 v[132:133], v[130:131], v[106:107], v[132:133] op_sel_hi:[1,1,0] neg_lo:[0,0,1] neg_hi:[0,0,1]
	v_mul_f32_e32 v130, v131, v118
	s_delay_alu instid0(VALU_DEP_3) | instskip(NEXT) | instid1(VALU_DEP_2)
	v_pk_add_f32 v[84:85], v[84:85], v[134:135] neg_lo:[0,1] neg_hi:[0,1]
	v_pk_fma_f32 v[128:129], v[128:129], v[106:107], v[130:131] op_sel_hi:[1,1,0]
	s_delay_alu instid0(VALU_DEP_1) | instskip(SKIP_4) | instid1(VALU_DEP_1)
	v_mov_b32_e32 v133, v129
	ds_load_2addr_b64 v[128:131], v122 offset0:19 offset1:20
	v_pk_add_f32 v[86:87], v[86:87], v[132:133] neg_lo:[0,1] neg_hi:[0,1]
	s_wait_dscnt 0x0
	v_pk_mul_f32 v[132:133], v[128:129], v[120:121] op_sel:[0,1]
	v_pk_fma_f32 v[134:135], v[128:129], v[118:119], v[132:133] op_sel:[0,0,1] op_sel_hi:[1,1,0] neg_lo:[0,0,1] neg_hi:[0,0,1]
	v_pk_fma_f32 v[128:129], v[128:129], v[118:119], v[132:133] op_sel:[0,0,1] op_sel_hi:[1,0,0]
	s_delay_alu instid0(VALU_DEP_1) | instskip(SKIP_1) | instid1(VALU_DEP_1)
	v_mov_b32_e32 v135, v129
	v_pk_mul_f32 v[128:129], v[130:131], v[120:121] op_sel:[0,1]
	v_pk_fma_f32 v[132:133], v[130:131], v[118:119], v[128:129] op_sel:[0,0,1] op_sel_hi:[1,1,0] neg_lo:[0,0,1] neg_hi:[0,0,1]
	v_pk_fma_f32 v[128:129], v[130:131], v[118:119], v[128:129] op_sel:[0,0,1] op_sel_hi:[1,0,0]
	s_delay_alu instid0(VALU_DEP_1)
	v_mov_b32_e32 v133, v129
	ds_load_2addr_b64 v[128:131], v122 offset0:21 offset1:22
	v_pk_add_f32 v[30:31], v[30:31], v[134:135] neg_lo:[0,1] neg_hi:[0,1]
	v_pk_add_f32 v[82:83], v[82:83], v[132:133] neg_lo:[0,1] neg_hi:[0,1]
	s_wait_dscnt 0x0
	v_pk_mul_f32 v[132:133], v[128:129], v[120:121] op_sel:[0,1]
	s_delay_alu instid0(VALU_DEP_1) | instskip(SKIP_1) | instid1(VALU_DEP_1)
	v_pk_fma_f32 v[134:135], v[128:129], v[118:119], v[132:133] op_sel:[0,0,1] op_sel_hi:[1,1,0] neg_lo:[0,0,1] neg_hi:[0,0,1]
	v_pk_fma_f32 v[128:129], v[128:129], v[118:119], v[132:133] op_sel:[0,0,1] op_sel_hi:[1,0,0]
	v_mov_b32_e32 v135, v129
	v_pk_mul_f32 v[128:129], v[130:131], v[120:121] op_sel:[0,1]
	s_delay_alu instid0(VALU_DEP_1) | instskip(SKIP_1) | instid1(VALU_DEP_1)
	v_pk_fma_f32 v[132:133], v[130:131], v[118:119], v[128:129] op_sel:[0,0,1] op_sel_hi:[1,1,0] neg_lo:[0,0,1] neg_hi:[0,0,1]
	v_pk_fma_f32 v[128:129], v[130:131], v[118:119], v[128:129] op_sel:[0,0,1] op_sel_hi:[1,0,0]
	v_mov_b32_e32 v133, v129
	ds_load_2addr_b64 v[128:131], v122 offset0:23 offset1:24
	v_pk_add_f32 v[78:79], v[78:79], v[134:135] neg_lo:[0,1] neg_hi:[0,1]
	v_pk_add_f32 v[80:81], v[80:81], v[132:133] neg_lo:[0,1] neg_hi:[0,1]
	s_wait_dscnt 0x0
	v_dual_mul_f32 v132, v129, v121 :: v_dual_mul_f32 v134, v129, v118
	s_delay_alu instid0(VALU_DEP_1) | instskip(NEXT) | instid1(VALU_DEP_2)
	v_pk_fma_f32 v[132:133], v[128:129], v[106:107], v[132:133] op_sel_hi:[1,1,0] neg_lo:[0,0,1] neg_hi:[0,0,1]
	v_pk_fma_f32 v[128:129], v[128:129], v[106:107], v[134:135] op_sel:[1,0,0] op_sel_hi:[0,1,0]
	s_delay_alu instid0(VALU_DEP_1) | instskip(SKIP_1) | instid1(VALU_DEP_2)
	v_mov_b32_e32 v133, v129
	v_pk_mul_f32 v[128:129], v[130:131], v[120:121] op_sel:[0,1]
	v_pk_add_f32 v[24:25], v[24:25], v[132:133] neg_lo:[0,1] neg_hi:[0,1]
	s_delay_alu instid0(VALU_DEP_2) | instskip(SKIP_1) | instid1(VALU_DEP_1)
	v_pk_fma_f32 v[132:133], v[130:131], v[118:119], v[128:129] op_sel:[0,0,1] op_sel_hi:[1,1,0] neg_lo:[0,0,1] neg_hi:[0,0,1]
	v_pk_fma_f32 v[128:129], v[130:131], v[118:119], v[128:129] op_sel:[0,0,1] op_sel_hi:[1,0,0]
	v_mov_b32_e32 v133, v129
	ds_load_2addr_b64 v[128:131], v122 offset0:25 offset1:26
	v_pk_add_f32 v[76:77], v[76:77], v[132:133] neg_lo:[0,1] neg_hi:[0,1]
	s_wait_dscnt 0x0
	v_pk_mul_f32 v[132:133], v[128:129], v[120:121] op_sel:[0,1]
	s_delay_alu instid0(VALU_DEP_1) | instskip(SKIP_1) | instid1(VALU_DEP_1)
	v_pk_fma_f32 v[134:135], v[128:129], v[118:119], v[132:133] op_sel:[0,0,1] op_sel_hi:[1,1,0] neg_lo:[0,0,1] neg_hi:[0,0,1]
	v_pk_fma_f32 v[128:129], v[128:129], v[118:119], v[132:133] op_sel:[0,0,1] op_sel_hi:[1,0,0]
	v_mov_b32_e32 v135, v129
	v_pk_mul_f32 v[128:129], v[130:131], v[120:121] op_sel:[0,1]
	s_delay_alu instid0(VALU_DEP_2) | instskip(NEXT) | instid1(VALU_DEP_2)
	v_pk_add_f32 v[72:73], v[72:73], v[134:135] neg_lo:[0,1] neg_hi:[0,1]
	v_pk_fma_f32 v[132:133], v[130:131], v[118:119], v[128:129] op_sel:[0,0,1] op_sel_hi:[1,1,0] neg_lo:[0,0,1] neg_hi:[0,0,1]
	v_pk_fma_f32 v[128:129], v[130:131], v[118:119], v[128:129] op_sel:[0,0,1] op_sel_hi:[1,0,0]
	s_delay_alu instid0(VALU_DEP_1) | instskip(SKIP_4) | instid1(VALU_DEP_1)
	v_mov_b32_e32 v133, v129
	ds_load_2addr_b64 v[128:131], v122 offset0:27 offset1:28
	v_pk_add_f32 v[74:75], v[74:75], v[132:133] neg_lo:[0,1] neg_hi:[0,1]
	s_wait_dscnt 0x0
	v_pk_mul_f32 v[132:133], v[128:129], v[120:121] op_sel:[0,1]
	v_pk_fma_f32 v[134:135], v[128:129], v[118:119], v[132:133] op_sel:[0,0,1] op_sel_hi:[1,1,0] neg_lo:[0,0,1] neg_hi:[0,0,1]
	v_pk_fma_f32 v[128:129], v[128:129], v[118:119], v[132:133] op_sel:[0,0,1] op_sel_hi:[1,0,0]
	v_dual_mul_f32 v132, v131, v121 :: v_dual_mov_b32 v128, v131
	s_delay_alu instid0(VALU_DEP_2) | instskip(NEXT) | instid1(VALU_DEP_2)
	v_dual_mov_b32 v135, v129 :: v_dual_mov_b32 v129, v130
	v_pk_fma_f32 v[132:133], v[130:131], v[106:107], v[132:133] op_sel_hi:[1,1,0] neg_lo:[0,0,1] neg_hi:[0,0,1]
	v_mul_f32_e32 v130, v131, v118
	s_delay_alu instid0(VALU_DEP_3) | instskip(NEXT) | instid1(VALU_DEP_2)
	v_pk_add_f32 v[18:19], v[18:19], v[134:135] neg_lo:[0,1] neg_hi:[0,1]
	v_pk_fma_f32 v[128:129], v[128:129], v[106:107], v[130:131] op_sel_hi:[1,1,0]
	s_delay_alu instid0(VALU_DEP_1) | instskip(SKIP_4) | instid1(VALU_DEP_1)
	v_mov_b32_e32 v133, v129
	ds_load_2addr_b64 v[128:131], v122 offset0:29 offset1:30
	v_pk_add_f32 v[70:71], v[70:71], v[132:133] neg_lo:[0,1] neg_hi:[0,1]
	s_wait_dscnt 0x0
	v_pk_mul_f32 v[132:133], v[128:129], v[120:121] op_sel:[0,1]
	v_pk_fma_f32 v[134:135], v[128:129], v[118:119], v[132:133] op_sel:[0,0,1] op_sel_hi:[1,1,0] neg_lo:[0,0,1] neg_hi:[0,0,1]
	v_pk_fma_f32 v[128:129], v[128:129], v[118:119], v[132:133] op_sel:[0,0,1] op_sel_hi:[1,0,0]
	s_delay_alu instid0(VALU_DEP_1) | instskip(SKIP_1) | instid1(VALU_DEP_1)
	v_mov_b32_e32 v135, v129
	v_pk_mul_f32 v[128:129], v[130:131], v[120:121] op_sel:[0,1]
	v_pk_fma_f32 v[132:133], v[130:131], v[118:119], v[128:129] op_sel:[0,0,1] op_sel_hi:[1,1,0] neg_lo:[0,0,1] neg_hi:[0,0,1]
	v_pk_fma_f32 v[128:129], v[130:131], v[118:119], v[128:129] op_sel:[0,0,1] op_sel_hi:[1,0,0]
	s_delay_alu instid0(VALU_DEP_1)
	v_mov_b32_e32 v133, v129
	ds_load_2addr_b64 v[128:131], v122 offset0:31 offset1:32
	v_pk_add_f32 v[66:67], v[66:67], v[134:135] neg_lo:[0,1] neg_hi:[0,1]
	v_pk_add_f32 v[68:69], v[68:69], v[132:133] neg_lo:[0,1] neg_hi:[0,1]
	s_wait_dscnt 0x0
	v_pk_mul_f32 v[132:133], v[128:129], v[120:121] op_sel:[0,1]
	s_delay_alu instid0(VALU_DEP_1) | instskip(SKIP_1) | instid1(VALU_DEP_1)
	v_pk_fma_f32 v[134:135], v[128:129], v[118:119], v[132:133] op_sel:[0,0,1] op_sel_hi:[1,1,0] neg_lo:[0,0,1] neg_hi:[0,0,1]
	v_pk_fma_f32 v[128:129], v[128:129], v[118:119], v[132:133] op_sel:[0,0,1] op_sel_hi:[1,0,0]
	v_mov_b32_e32 v135, v129
	v_pk_mul_f32 v[128:129], v[130:131], v[120:121] op_sel:[0,1]
	s_delay_alu instid0(VALU_DEP_1) | instskip(SKIP_1) | instid1(VALU_DEP_1)
	v_pk_fma_f32 v[132:133], v[130:131], v[118:119], v[128:129] op_sel:[0,0,1] op_sel_hi:[1,1,0] neg_lo:[0,0,1] neg_hi:[0,0,1]
	v_pk_fma_f32 v[128:129], v[130:131], v[118:119], v[128:129] op_sel:[0,0,1] op_sel_hi:[1,0,0]
	v_mov_b32_e32 v133, v129
	ds_load_2addr_b64 v[128:131], v122 offset0:33 offset1:34
	v_pk_add_f32 v[16:17], v[16:17], v[134:135] neg_lo:[0,1] neg_hi:[0,1]
	v_pk_add_f32 v[64:65], v[64:65], v[132:133] neg_lo:[0,1] neg_hi:[0,1]
	s_wait_dscnt 0x0
	v_dual_mul_f32 v132, v129, v121 :: v_dual_mul_f32 v134, v129, v118
	s_delay_alu instid0(VALU_DEP_1) | instskip(NEXT) | instid1(VALU_DEP_2)
	v_pk_fma_f32 v[132:133], v[128:129], v[106:107], v[132:133] op_sel_hi:[1,1,0] neg_lo:[0,0,1] neg_hi:[0,0,1]
	v_pk_fma_f32 v[128:129], v[128:129], v[106:107], v[134:135] op_sel:[1,0,0] op_sel_hi:[0,1,0]
	s_delay_alu instid0(VALU_DEP_1) | instskip(SKIP_1) | instid1(VALU_DEP_2)
	v_mov_b32_e32 v133, v129
	v_pk_mul_f32 v[128:129], v[130:131], v[120:121] op_sel:[0,1]
	v_pk_add_f32 v[60:61], v[60:61], v[132:133] neg_lo:[0,1] neg_hi:[0,1]
	s_delay_alu instid0(VALU_DEP_2) | instskip(SKIP_1) | instid1(VALU_DEP_1)
	v_pk_fma_f32 v[132:133], v[130:131], v[118:119], v[128:129] op_sel:[0,0,1] op_sel_hi:[1,1,0] neg_lo:[0,0,1] neg_hi:[0,0,1]
	v_pk_fma_f32 v[128:129], v[130:131], v[118:119], v[128:129] op_sel:[0,0,1] op_sel_hi:[1,0,0]
	v_mov_b32_e32 v133, v129
	ds_load_2addr_b64 v[128:131], v122 offset0:35 offset1:36
	v_pk_add_f32 v[62:63], v[62:63], v[132:133] neg_lo:[0,1] neg_hi:[0,1]
	s_wait_dscnt 0x0
	v_pk_mul_f32 v[132:133], v[128:129], v[120:121] op_sel:[0,1]
	s_delay_alu instid0(VALU_DEP_1) | instskip(SKIP_1) | instid1(VALU_DEP_1)
	v_pk_fma_f32 v[134:135], v[128:129], v[118:119], v[132:133] op_sel:[0,0,1] op_sel_hi:[1,1,0] neg_lo:[0,0,1] neg_hi:[0,0,1]
	v_pk_fma_f32 v[128:129], v[128:129], v[118:119], v[132:133] op_sel:[0,0,1] op_sel_hi:[1,0,0]
	v_mov_b32_e32 v135, v129
	v_pk_mul_f32 v[128:129], v[130:131], v[120:121] op_sel:[0,1]
	s_delay_alu instid0(VALU_DEP_2) | instskip(NEXT) | instid1(VALU_DEP_2)
	v_pk_add_f32 v[14:15], v[14:15], v[134:135] neg_lo:[0,1] neg_hi:[0,1]
	v_pk_fma_f32 v[132:133], v[130:131], v[118:119], v[128:129] op_sel:[0,0,1] op_sel_hi:[1,1,0] neg_lo:[0,0,1] neg_hi:[0,0,1]
	v_pk_fma_f32 v[128:129], v[130:131], v[118:119], v[128:129] op_sel:[0,0,1] op_sel_hi:[1,0,0]
	s_delay_alu instid0(VALU_DEP_1) | instskip(SKIP_4) | instid1(VALU_DEP_1)
	v_mov_b32_e32 v133, v129
	ds_load_2addr_b64 v[128:131], v122 offset0:37 offset1:38
	v_pk_add_f32 v[58:59], v[58:59], v[132:133] neg_lo:[0,1] neg_hi:[0,1]
	s_wait_dscnt 0x0
	v_pk_mul_f32 v[132:133], v[128:129], v[120:121] op_sel:[0,1]
	v_pk_fma_f32 v[134:135], v[128:129], v[118:119], v[132:133] op_sel:[0,0,1] op_sel_hi:[1,1,0] neg_lo:[0,0,1] neg_hi:[0,0,1]
	v_pk_fma_f32 v[128:129], v[128:129], v[118:119], v[132:133] op_sel:[0,0,1] op_sel_hi:[1,0,0]
	v_dual_mul_f32 v132, v131, v121 :: v_dual_mov_b32 v128, v131
	s_delay_alu instid0(VALU_DEP_2) | instskip(NEXT) | instid1(VALU_DEP_2)
	v_dual_mov_b32 v135, v129 :: v_dual_mov_b32 v129, v130
	v_pk_fma_f32 v[132:133], v[130:131], v[106:107], v[132:133] op_sel_hi:[1,1,0] neg_lo:[0,0,1] neg_hi:[0,0,1]
	v_mul_f32_e32 v130, v131, v118
	s_delay_alu instid0(VALU_DEP_3) | instskip(NEXT) | instid1(VALU_DEP_2)
	v_pk_add_f32 v[54:55], v[54:55], v[134:135] neg_lo:[0,1] neg_hi:[0,1]
	v_pk_fma_f32 v[128:129], v[128:129], v[106:107], v[130:131] op_sel_hi:[1,1,0]
	s_delay_alu instid0(VALU_DEP_1) | instskip(SKIP_4) | instid1(VALU_DEP_1)
	v_mov_b32_e32 v133, v129
	ds_load_2addr_b64 v[128:131], v122 offset0:39 offset1:40
	v_pk_add_f32 v[56:57], v[56:57], v[132:133] neg_lo:[0,1] neg_hi:[0,1]
	s_wait_dscnt 0x0
	v_pk_mul_f32 v[132:133], v[128:129], v[120:121] op_sel:[0,1]
	v_pk_fma_f32 v[134:135], v[128:129], v[118:119], v[132:133] op_sel:[0,0,1] op_sel_hi:[1,1,0] neg_lo:[0,0,1] neg_hi:[0,0,1]
	v_pk_fma_f32 v[128:129], v[128:129], v[118:119], v[132:133] op_sel:[0,0,1] op_sel_hi:[1,0,0]
	s_delay_alu instid0(VALU_DEP_1) | instskip(SKIP_1) | instid1(VALU_DEP_1)
	v_mov_b32_e32 v135, v129
	v_pk_mul_f32 v[128:129], v[130:131], v[120:121] op_sel:[0,1]
	v_pk_fma_f32 v[132:133], v[130:131], v[118:119], v[128:129] op_sel:[0,0,1] op_sel_hi:[1,1,0] neg_lo:[0,0,1] neg_hi:[0,0,1]
	v_pk_fma_f32 v[128:129], v[130:131], v[118:119], v[128:129] op_sel:[0,0,1] op_sel_hi:[1,0,0]
	s_delay_alu instid0(VALU_DEP_1)
	v_mov_b32_e32 v133, v129
	ds_load_2addr_b64 v[128:131], v122 offset0:41 offset1:42
	v_pk_add_f32 v[12:13], v[12:13], v[134:135] neg_lo:[0,1] neg_hi:[0,1]
	v_pk_add_f32 v[52:53], v[52:53], v[132:133] neg_lo:[0,1] neg_hi:[0,1]
	s_wait_dscnt 0x0
	v_pk_mul_f32 v[132:133], v[128:129], v[120:121] op_sel:[0,1]
	s_delay_alu instid0(VALU_DEP_1) | instskip(SKIP_1) | instid1(VALU_DEP_1)
	v_pk_fma_f32 v[134:135], v[128:129], v[118:119], v[132:133] op_sel:[0,0,1] op_sel_hi:[1,1,0] neg_lo:[0,0,1] neg_hi:[0,0,1]
	v_pk_fma_f32 v[128:129], v[128:129], v[118:119], v[132:133] op_sel:[0,0,1] op_sel_hi:[1,0,0]
	v_mov_b32_e32 v135, v129
	v_pk_mul_f32 v[128:129], v[130:131], v[120:121] op_sel:[0,1]
	s_delay_alu instid0(VALU_DEP_1) | instskip(SKIP_1) | instid1(VALU_DEP_1)
	v_pk_fma_f32 v[132:133], v[130:131], v[118:119], v[128:129] op_sel:[0,0,1] op_sel_hi:[1,1,0] neg_lo:[0,0,1] neg_hi:[0,0,1]
	v_pk_fma_f32 v[128:129], v[130:131], v[118:119], v[128:129] op_sel:[0,0,1] op_sel_hi:[1,0,0]
	v_mov_b32_e32 v133, v129
	ds_load_2addr_b64 v[128:131], v122 offset0:43 offset1:44
	v_pk_add_f32 v[48:49], v[48:49], v[134:135] neg_lo:[0,1] neg_hi:[0,1]
	v_pk_add_f32 v[50:51], v[50:51], v[132:133] neg_lo:[0,1] neg_hi:[0,1]
	s_wait_dscnt 0x0
	v_dual_mul_f32 v132, v129, v121 :: v_dual_mul_f32 v134, v129, v118
	s_delay_alu instid0(VALU_DEP_1) | instskip(NEXT) | instid1(VALU_DEP_2)
	v_pk_fma_f32 v[132:133], v[128:129], v[106:107], v[132:133] op_sel_hi:[1,1,0] neg_lo:[0,0,1] neg_hi:[0,0,1]
	v_pk_fma_f32 v[128:129], v[128:129], v[106:107], v[134:135] op_sel:[1,0,0] op_sel_hi:[0,1,0]
	s_delay_alu instid0(VALU_DEP_1) | instskip(SKIP_1) | instid1(VALU_DEP_2)
	v_mov_b32_e32 v133, v129
	v_pk_mul_f32 v[128:129], v[130:131], v[120:121] op_sel:[0,1]
	v_pk_add_f32 v[10:11], v[10:11], v[132:133] neg_lo:[0,1] neg_hi:[0,1]
	s_delay_alu instid0(VALU_DEP_2) | instskip(SKIP_1) | instid1(VALU_DEP_1)
	v_pk_fma_f32 v[132:133], v[130:131], v[118:119], v[128:129] op_sel:[0,0,1] op_sel_hi:[1,1,0] neg_lo:[0,0,1] neg_hi:[0,0,1]
	v_pk_fma_f32 v[128:129], v[130:131], v[118:119], v[128:129] op_sel:[0,0,1] op_sel_hi:[1,0,0]
	v_mov_b32_e32 v133, v129
	ds_load_2addr_b64 v[128:131], v122 offset0:45 offset1:46
	v_pk_add_f32 v[46:47], v[46:47], v[132:133] neg_lo:[0,1] neg_hi:[0,1]
	s_wait_dscnt 0x0
	v_pk_mul_f32 v[132:133], v[128:129], v[120:121] op_sel:[0,1]
	s_delay_alu instid0(VALU_DEP_1) | instskip(SKIP_1) | instid1(VALU_DEP_1)
	v_pk_fma_f32 v[134:135], v[128:129], v[118:119], v[132:133] op_sel:[0,0,1] op_sel_hi:[1,1,0] neg_lo:[0,0,1] neg_hi:[0,0,1]
	v_pk_fma_f32 v[128:129], v[128:129], v[118:119], v[132:133] op_sel:[0,0,1] op_sel_hi:[1,0,0]
	v_mov_b32_e32 v135, v129
	v_pk_mul_f32 v[128:129], v[130:131], v[120:121] op_sel:[0,1]
	s_delay_alu instid0(VALU_DEP_2) | instskip(NEXT) | instid1(VALU_DEP_2)
	v_pk_add_f32 v[42:43], v[42:43], v[134:135] neg_lo:[0,1] neg_hi:[0,1]
	v_pk_fma_f32 v[132:133], v[130:131], v[118:119], v[128:129] op_sel:[0,0,1] op_sel_hi:[1,1,0] neg_lo:[0,0,1] neg_hi:[0,0,1]
	v_pk_fma_f32 v[128:129], v[130:131], v[118:119], v[128:129] op_sel:[0,0,1] op_sel_hi:[1,0,0]
	s_delay_alu instid0(VALU_DEP_1) | instskip(SKIP_4) | instid1(VALU_DEP_1)
	v_mov_b32_e32 v133, v129
	ds_load_2addr_b64 v[128:131], v122 offset0:47 offset1:48
	v_pk_add_f32 v[44:45], v[44:45], v[132:133] neg_lo:[0,1] neg_hi:[0,1]
	s_wait_dscnt 0x0
	v_pk_mul_f32 v[132:133], v[128:129], v[120:121] op_sel:[0,1]
	v_pk_fma_f32 v[134:135], v[128:129], v[118:119], v[132:133] op_sel:[0,0,1] op_sel_hi:[1,1,0] neg_lo:[0,0,1] neg_hi:[0,0,1]
	v_pk_fma_f32 v[128:129], v[128:129], v[118:119], v[132:133] op_sel:[0,0,1] op_sel_hi:[1,0,0]
	v_dual_mul_f32 v132, v131, v121 :: v_dual_mov_b32 v128, v131
	s_delay_alu instid0(VALU_DEP_2) | instskip(NEXT) | instid1(VALU_DEP_2)
	v_dual_mov_b32 v135, v129 :: v_dual_mov_b32 v129, v130
	v_pk_fma_f32 v[132:133], v[130:131], v[106:107], v[132:133] op_sel_hi:[1,1,0] neg_lo:[0,0,1] neg_hi:[0,0,1]
	v_mul_f32_e32 v130, v131, v118
	s_delay_alu instid0(VALU_DEP_3) | instskip(NEXT) | instid1(VALU_DEP_2)
	v_pk_add_f32 v[6:7], v[6:7], v[134:135] neg_lo:[0,1] neg_hi:[0,1]
	v_pk_fma_f32 v[128:129], v[128:129], v[106:107], v[130:131] op_sel_hi:[1,1,0]
	s_delay_alu instid0(VALU_DEP_1) | instskip(SKIP_4) | instid1(VALU_DEP_1)
	v_mov_b32_e32 v133, v129
	ds_load_2addr_b64 v[128:131], v122 offset0:49 offset1:50
	v_pk_add_f32 v[34:35], v[34:35], v[132:133] neg_lo:[0,1] neg_hi:[0,1]
	s_wait_dscnt 0x0
	v_pk_mul_f32 v[132:133], v[128:129], v[120:121] op_sel:[0,1]
	v_pk_fma_f32 v[134:135], v[128:129], v[118:119], v[132:133] op_sel:[0,0,1] op_sel_hi:[1,1,0] neg_lo:[0,0,1] neg_hi:[0,0,1]
	v_pk_fma_f32 v[128:129], v[128:129], v[118:119], v[132:133] op_sel:[0,0,1] op_sel_hi:[1,0,0]
	s_delay_alu instid0(VALU_DEP_1) | instskip(SKIP_1) | instid1(VALU_DEP_1)
	v_mov_b32_e32 v135, v129
	v_pk_mul_f32 v[128:129], v[130:131], v[120:121] op_sel:[0,1]
	v_pk_fma_f32 v[132:133], v[130:131], v[118:119], v[128:129] op_sel:[0,0,1] op_sel_hi:[1,1,0] neg_lo:[0,0,1] neg_hi:[0,0,1]
	v_pk_fma_f32 v[128:129], v[130:131], v[118:119], v[128:129] op_sel:[0,0,1] op_sel_hi:[1,0,0]
	s_delay_alu instid0(VALU_DEP_1)
	v_mov_b32_e32 v133, v129
	ds_load_2addr_b64 v[128:131], v122 offset0:51 offset1:52
	v_pk_add_f32 v[28:29], v[28:29], v[134:135] neg_lo:[0,1] neg_hi:[0,1]
	v_pk_add_f32 v[32:33], v[32:33], v[132:133] neg_lo:[0,1] neg_hi:[0,1]
	s_wait_dscnt 0x0
	v_pk_mul_f32 v[132:133], v[128:129], v[120:121] op_sel:[0,1]
	s_delay_alu instid0(VALU_DEP_1) | instskip(SKIP_1) | instid1(VALU_DEP_1)
	v_pk_fma_f32 v[134:135], v[128:129], v[118:119], v[132:133] op_sel:[0,0,1] op_sel_hi:[1,1,0] neg_lo:[0,0,1] neg_hi:[0,0,1]
	v_pk_fma_f32 v[128:129], v[128:129], v[118:119], v[132:133] op_sel:[0,0,1] op_sel_hi:[1,0,0]
	v_mov_b32_e32 v135, v129
	v_pk_mul_f32 v[128:129], v[130:131], v[120:121] op_sel:[0,1]
	s_delay_alu instid0(VALU_DEP_1) | instskip(SKIP_1) | instid1(VALU_DEP_1)
	v_pk_fma_f32 v[132:133], v[130:131], v[118:119], v[128:129] op_sel:[0,0,1] op_sel_hi:[1,1,0] neg_lo:[0,0,1] neg_hi:[0,0,1]
	v_pk_fma_f32 v[128:129], v[130:131], v[118:119], v[128:129] op_sel:[0,0,1] op_sel_hi:[1,0,0]
	v_mov_b32_e32 v133, v129
	ds_load_2addr_b64 v[128:131], v122 offset0:53 offset1:54
	v_pk_add_f32 v[8:9], v[8:9], v[134:135] neg_lo:[0,1] neg_hi:[0,1]
	v_pk_add_f32 v[26:27], v[26:27], v[132:133] neg_lo:[0,1] neg_hi:[0,1]
	s_wait_dscnt 0x0
	v_dual_mul_f32 v132, v129, v121 :: v_dual_mul_f32 v134, v129, v118
	s_delay_alu instid0(VALU_DEP_1) | instskip(NEXT) | instid1(VALU_DEP_2)
	v_pk_fma_f32 v[132:133], v[128:129], v[106:107], v[132:133] op_sel_hi:[1,1,0] neg_lo:[0,0,1] neg_hi:[0,0,1]
	v_pk_fma_f32 v[128:129], v[128:129], v[106:107], v[134:135] op_sel:[1,0,0] op_sel_hi:[0,1,0]
	s_delay_alu instid0(VALU_DEP_1) | instskip(SKIP_1) | instid1(VALU_DEP_2)
	v_mov_b32_e32 v133, v129
	v_pk_mul_f32 v[128:129], v[130:131], v[120:121] op_sel:[0,1]
	v_pk_add_f32 v[22:23], v[22:23], v[132:133] neg_lo:[0,1] neg_hi:[0,1]
	s_delay_alu instid0(VALU_DEP_2) | instskip(SKIP_1) | instid1(VALU_DEP_1)
	v_pk_fma_f32 v[132:133], v[130:131], v[118:119], v[128:129] op_sel:[0,0,1] op_sel_hi:[1,1,0] neg_lo:[0,0,1] neg_hi:[0,0,1]
	v_pk_fma_f32 v[128:129], v[130:131], v[118:119], v[128:129] op_sel:[0,0,1] op_sel_hi:[1,0,0]
	v_mov_b32_e32 v133, v129
	ds_load_b64 v[128:129], v122 offset:440
	v_pk_add_f32 v[20:21], v[20:21], v[132:133] neg_lo:[0,1] neg_hi:[0,1]
	s_wait_dscnt 0x0
	v_pk_mul_f32 v[120:121], v[128:129], v[120:121] op_sel:[0,1]
	s_delay_alu instid0(VALU_DEP_1) | instskip(SKIP_1) | instid1(VALU_DEP_1)
	v_pk_fma_f32 v[130:131], v[128:129], v[118:119], v[120:121] op_sel:[0,0,1] op_sel_hi:[1,1,0] neg_lo:[0,0,1] neg_hi:[0,0,1]
	v_pk_fma_f32 v[118:119], v[128:129], v[118:119], v[120:121] op_sel:[0,0,1] op_sel_hi:[1,0,0]
	v_mov_b32_e32 v131, v119
	s_delay_alu instid0(VALU_DEP_1)
	v_pk_add_f32 v[116:117], v[116:117], v[130:131] neg_lo:[0,1] neg_hi:[0,1]
.LBB110_104:
	s_or_b32 exec_lo, exec_lo, s0
	v_lshl_add_u32 v118, v126, 3, v122
	s_barrier_signal -1
	s_barrier_wait -1
	ds_store_b64 v118, v[102:103]
	s_wait_dscnt 0x0
	s_barrier_signal -1
	s_barrier_wait -1
	ds_load_b64 v[120:121], v122 offset:40
	v_mov_b32_e32 v118, 5
	s_cmp_lt_i32 s18, 7
	s_cbranch_scc1 .LBB110_107
; %bb.105:
	v_add3_u32 v119, v123, 0, 48
	v_mov_b32_e32 v118, 5
	s_mov_b32 s0, 6
.LBB110_106:                            ; =>This Inner Loop Header: Depth=1
	ds_load_b64 v[128:129], v119
	s_wait_dscnt 0x1
	v_cmp_gt_f32_e32 vcc_lo, 0, v120
	v_cndmask_b32_e64 v130, v120, -v120, vcc_lo
	v_cmp_gt_f32_e32 vcc_lo, 0, v121
	v_cndmask_b32_e64 v132, v121, -v121, vcc_lo
	s_wait_dscnt 0x0
	v_cmp_gt_f32_e32 vcc_lo, 0, v128
	v_cndmask_b32_e64 v131, v128, -v128, vcc_lo
	v_cmp_gt_f32_e32 vcc_lo, 0, v129
	v_cndmask_b32_e64 v133, v129, -v129, vcc_lo
	s_delay_alu instid0(VALU_DEP_1) | instskip(NEXT) | instid1(VALU_DEP_1)
	v_pk_add_f32 v[130:131], v[130:131], v[132:133]
	v_cmp_lt_f32_e32 vcc_lo, v130, v131
	v_dual_add_nc_u32 v119, 8, v119 :: v_dual_cndmask_b32 v121, v121, v129, vcc_lo
	v_cndmask_b32_e32 v120, v120, v128, vcc_lo
	v_cndmask_b32_e64 v118, v118, s0, vcc_lo
	s_add_co_i32 s0, s0, 1
	s_delay_alu instid0(SALU_CYCLE_1)
	s_cmp_lg_u32 s18, s0
	s_cbranch_scc1 .LBB110_106
.LBB110_107:
	s_wait_dscnt 0x0
	v_cmp_eq_f32_e32 vcc_lo, 0, v120
	v_cmp_eq_f32_e64 s0, 0, v121
	s_and_b32 s0, vcc_lo, s0
	s_delay_alu instid0(SALU_CYCLE_1) | instskip(NEXT) | instid1(SALU_CYCLE_1)
	s_and_saveexec_b32 s1, s0
	s_xor_b32 s0, exec_lo, s1
; %bb.108:
	v_cmp_ne_u32_e32 vcc_lo, 0, v124
	v_cndmask_b32_e32 v124, 6, v124, vcc_lo
; %bb.109:
	s_and_not1_saveexec_b32 s0, s0
	s_cbranch_execz .LBB110_115
; %bb.110:
	v_cmp_ngt_f32_e64 s1, |v120|, |v121|
	s_and_saveexec_b32 s12, s1
	s_delay_alu instid0(SALU_CYCLE_1)
	s_xor_b32 s1, exec_lo, s12
	s_cbranch_execz .LBB110_112
; %bb.111:
	v_div_scale_f32 v119, null, v121, v121, v120
	v_div_scale_f32 v129, vcc_lo, v120, v121, v120
	s_delay_alu instid0(VALU_DEP_2) | instskip(SKIP_1) | instid1(TRANS32_DEP_1)
	v_rcp_f32_e32 v127, v119
	v_nop
	v_fma_f32 v128, -v119, v127, 1.0
	s_delay_alu instid0(VALU_DEP_1) | instskip(NEXT) | instid1(VALU_DEP_1)
	v_fmac_f32_e32 v127, v128, v127
	v_mul_f32_e32 v128, v129, v127
	s_delay_alu instid0(VALU_DEP_1) | instskip(NEXT) | instid1(VALU_DEP_1)
	v_fma_f32 v130, -v119, v128, v129
	v_fmac_f32_e32 v128, v130, v127
	s_delay_alu instid0(VALU_DEP_1) | instskip(NEXT) | instid1(VALU_DEP_1)
	v_fma_f32 v119, -v119, v128, v129
	v_div_fmas_f32 v119, v119, v127, v128
	s_delay_alu instid0(VALU_DEP_1) | instskip(NEXT) | instid1(VALU_DEP_1)
	v_div_fixup_f32 v119, v119, v121, v120
	v_fmac_f32_e32 v121, v120, v119
	s_delay_alu instid0(VALU_DEP_1) | instskip(SKIP_1) | instid1(VALU_DEP_2)
	v_div_scale_f32 v120, null, v121, v121, 1.0
	v_div_scale_f32 v129, vcc_lo, 1.0, v121, 1.0
	v_rcp_f32_e32 v127, v120
	v_nop
	s_delay_alu instid0(TRANS32_DEP_1) | instskip(NEXT) | instid1(VALU_DEP_1)
	v_fma_f32 v128, -v120, v127, 1.0
	v_fmac_f32_e32 v127, v128, v127
	s_delay_alu instid0(VALU_DEP_1) | instskip(NEXT) | instid1(VALU_DEP_1)
	v_mul_f32_e32 v128, v129, v127
	v_fma_f32 v130, -v120, v128, v129
	s_delay_alu instid0(VALU_DEP_1) | instskip(NEXT) | instid1(VALU_DEP_1)
	v_fmac_f32_e32 v128, v130, v127
	v_fma_f32 v120, -v120, v128, v129
	s_delay_alu instid0(VALU_DEP_1) | instskip(NEXT) | instid1(VALU_DEP_1)
	v_div_fmas_f32 v120, v120, v127, v128
	v_div_fixup_f32 v121, v120, v121, 1.0
	s_delay_alu instid0(VALU_DEP_1)
	v_mul_f32_e32 v120, v119, v121
	v_xor_b32_e32 v121, 0x80000000, v121
.LBB110_112:
	s_and_not1_saveexec_b32 s1, s1
	s_cbranch_execz .LBB110_114
; %bb.113:
	s_delay_alu instid0(VALU_DEP_1) | instskip(SKIP_1) | instid1(VALU_DEP_2)
	v_div_scale_f32 v119, null, v120, v120, v121
	v_div_scale_f32 v129, vcc_lo, v121, v120, v121
	v_rcp_f32_e32 v127, v119
	v_nop
	s_delay_alu instid0(TRANS32_DEP_1) | instskip(NEXT) | instid1(VALU_DEP_1)
	v_fma_f32 v128, -v119, v127, 1.0
	v_fmac_f32_e32 v127, v128, v127
	s_delay_alu instid0(VALU_DEP_1) | instskip(NEXT) | instid1(VALU_DEP_1)
	v_mul_f32_e32 v128, v129, v127
	v_fma_f32 v130, -v119, v128, v129
	s_delay_alu instid0(VALU_DEP_1) | instskip(NEXT) | instid1(VALU_DEP_1)
	v_fmac_f32_e32 v128, v130, v127
	v_fma_f32 v119, -v119, v128, v129
	s_delay_alu instid0(VALU_DEP_1) | instskip(NEXT) | instid1(VALU_DEP_1)
	v_div_fmas_f32 v119, v119, v127, v128
	v_div_fixup_f32 v119, v119, v120, v121
	s_delay_alu instid0(VALU_DEP_1) | instskip(NEXT) | instid1(VALU_DEP_1)
	v_fmac_f32_e32 v120, v121, v119
	v_div_scale_f32 v121, null, v120, v120, 1.0
	s_delay_alu instid0(VALU_DEP_1) | instskip(SKIP_1) | instid1(TRANS32_DEP_1)
	v_rcp_f32_e32 v127, v121
	v_nop
	v_fma_f32 v128, -v121, v127, 1.0
	s_delay_alu instid0(VALU_DEP_1) | instskip(SKIP_1) | instid1(VALU_DEP_1)
	v_fmac_f32_e32 v127, v128, v127
	v_div_scale_f32 v128, vcc_lo, 1.0, v120, 1.0
	v_mul_f32_e32 v129, v128, v127
	s_delay_alu instid0(VALU_DEP_1) | instskip(NEXT) | instid1(VALU_DEP_1)
	v_fma_f32 v130, -v121, v129, v128
	v_fmac_f32_e32 v129, v130, v127
	s_delay_alu instid0(VALU_DEP_1) | instskip(NEXT) | instid1(VALU_DEP_1)
	v_fma_f32 v121, -v121, v129, v128
	v_div_fmas_f32 v121, v121, v127, v129
	s_delay_alu instid0(VALU_DEP_1) | instskip(NEXT) | instid1(VALU_DEP_1)
	v_div_fixup_f32 v120, v121, v120, 1.0
	v_mul_f32_e64 v121, v119, -v120
.LBB110_114:
	s_or_b32 exec_lo, exec_lo, s1
.LBB110_115:
	s_delay_alu instid0(SALU_CYCLE_1) | instskip(NEXT) | instid1(SALU_CYCLE_1)
	s_or_b32 exec_lo, exec_lo, s0
	s_mov_b32 s0, exec_lo
	v_cmpx_ne_u32_e64 v126, v118
	s_xor_b32 s0, exec_lo, s0
	s_cbranch_execz .LBB110_121
; %bb.116:
	s_mov_b32 s1, exec_lo
	v_cmpx_eq_u32_e32 5, v126
	s_cbranch_execz .LBB110_120
; %bb.117:
	v_cmp_ne_u32_e32 vcc_lo, 5, v118
	s_xor_b32 s12, s16, -1
	s_delay_alu instid0(SALU_CYCLE_1) | instskip(NEXT) | instid1(SALU_CYCLE_1)
	s_and_b32 s13, s12, vcc_lo
	s_and_saveexec_b32 s12, s13
	s_cbranch_execz .LBB110_119
; %bb.118:
	v_ashrrev_i32_e32 v119, 31, v118
	s_delay_alu instid0(VALU_DEP_1)
	v_lshl_add_u64 v[126:127], v[118:119], 2, v[4:5]
	s_clause 0x1
	global_load_b32 v119, v[126:127], off
	global_load_b32 v125, v[4:5], off offset:20
	s_wait_loadcnt 0x1
	global_store_b32 v[4:5], v119, off offset:20
	s_wait_loadcnt 0x0
	global_store_b32 v[126:127], v125, off
.LBB110_119:
	s_wait_xcnt 0x0
	s_or_b32 exec_lo, exec_lo, s12
	v_dual_mov_b32 v126, v118 :: v_dual_mov_b32 v125, v118
.LBB110_120:
	s_or_b32 exec_lo, exec_lo, s1
.LBB110_121:
	s_and_not1_saveexec_b32 s0, s0
	s_cbranch_execz .LBB110_123
; %bb.122:
	v_dual_mov_b32 v118, v104 :: v_dual_mov_b32 v119, v105
	v_dual_mov_b32 v126, v40 :: v_dual_mov_b32 v127, v41
	ds_store_2addr_b64 v122, v[118:119], v[126:127] offset0:6 offset1:7
	v_dual_mov_b32 v118, v100 :: v_dual_mov_b32 v119, v101
	v_dual_mov_b32 v126, v96 :: v_dual_mov_b32 v127, v97
	ds_store_2addr_b64 v122, v[118:119], v[126:127] offset0:8 offset1:9
	;; [unrolled: 3-line block ×24, first 2 shown]
	v_dual_mov_b32 v118, v20 :: v_dual_mov_b32 v119, v21
	v_mov_b32_e32 v126, 5
	ds_store_2addr_b64 v122, v[118:119], v[116:117] offset0:54 offset1:55
.LBB110_123:
	s_or_b32 exec_lo, exec_lo, s0
	s_delay_alu instid0(SALU_CYCLE_1)
	s_mov_b32 s0, exec_lo
	s_wait_storecnt_dscnt 0x0
	s_barrier_signal -1
	s_barrier_wait -1
	v_cmpx_lt_i32_e32 5, v126
	s_cbranch_execz .LBB110_125
; %bb.124:
	v_pk_mul_f32 v[128:129], v[120:121], v[102:103] op_sel:[1,1] op_sel_hi:[0,1]
	s_delay_alu instid0(VALU_DEP_1)
	v_pk_fma_f32 v[118:119], v[120:121], v[102:103], v[128:129] op_sel_hi:[1,0,1] neg_lo:[0,0,1] neg_hi:[0,0,1]
	v_pk_fma_f32 v[120:121], v[120:121], v[102:103], v[128:129] op_sel_hi:[1,0,1]
	ds_load_2addr_b64 v[128:131], v122 offset0:6 offset1:7
	v_dual_mov_b32 v102, v118 :: v_dual_mov_b32 v103, v121
	s_wait_dscnt 0x0
	v_pk_mul_f32 v[132:133], v[128:129], v[120:121] op_sel:[0,1]
	s_delay_alu instid0(VALU_DEP_1) | instskip(SKIP_1) | instid1(VALU_DEP_1)
	v_pk_fma_f32 v[134:135], v[128:129], v[118:119], v[132:133] op_sel:[0,0,1] op_sel_hi:[1,1,0] neg_lo:[0,0,1] neg_hi:[0,0,1]
	v_pk_fma_f32 v[128:129], v[128:129], v[118:119], v[132:133] op_sel:[0,0,1] op_sel_hi:[1,0,0]
	v_mov_b32_e32 v135, v129
	v_pk_mul_f32 v[128:129], v[130:131], v[120:121] op_sel:[0,1]
	s_delay_alu instid0(VALU_DEP_1) | instskip(SKIP_1) | instid1(VALU_DEP_1)
	v_pk_fma_f32 v[132:133], v[130:131], v[118:119], v[128:129] op_sel:[0,0,1] op_sel_hi:[1,1,0] neg_lo:[0,0,1] neg_hi:[0,0,1]
	v_pk_fma_f32 v[128:129], v[130:131], v[118:119], v[128:129] op_sel:[0,0,1] op_sel_hi:[1,0,0]
	v_mov_b32_e32 v133, v129
	ds_load_2addr_b64 v[128:131], v122 offset0:8 offset1:9
	v_pk_add_f32 v[104:105], v[104:105], v[134:135] neg_lo:[0,1] neg_hi:[0,1]
	v_pk_add_f32 v[40:41], v[40:41], v[132:133] neg_lo:[0,1] neg_hi:[0,1]
	s_wait_dscnt 0x0
	v_pk_mul_f32 v[132:133], v[128:129], v[120:121] op_sel:[0,1]
	s_delay_alu instid0(VALU_DEP_1) | instskip(SKIP_2) | instid1(VALU_DEP_2)
	v_pk_fma_f32 v[134:135], v[128:129], v[118:119], v[132:133] op_sel:[0,0,1] op_sel_hi:[1,1,0] neg_lo:[0,0,1] neg_hi:[0,0,1]
	v_pk_fma_f32 v[128:129], v[128:129], v[118:119], v[132:133] op_sel:[0,0,1] op_sel_hi:[1,0,0]
	v_dual_mul_f32 v132, v131, v121 :: v_dual_mov_b32 v128, v131
	v_dual_mov_b32 v135, v129 :: v_dual_mov_b32 v129, v130
	s_delay_alu instid0(VALU_DEP_2) | instskip(SKIP_1) | instid1(VALU_DEP_3)
	v_pk_fma_f32 v[132:133], v[130:131], v[102:103], v[132:133] op_sel_hi:[1,1,0] neg_lo:[0,0,1] neg_hi:[0,0,1]
	v_mul_f32_e32 v130, v131, v118
	v_pk_add_f32 v[100:101], v[100:101], v[134:135] neg_lo:[0,1] neg_hi:[0,1]
	s_delay_alu instid0(VALU_DEP_2) | instskip(NEXT) | instid1(VALU_DEP_1)
	v_pk_fma_f32 v[128:129], v[128:129], v[102:103], v[130:131] op_sel_hi:[1,1,0]
	v_mov_b32_e32 v133, v129
	ds_load_2addr_b64 v[128:131], v122 offset0:10 offset1:11
	v_pk_add_f32 v[96:97], v[96:97], v[132:133] neg_lo:[0,1] neg_hi:[0,1]
	s_wait_dscnt 0x0
	v_pk_mul_f32 v[132:133], v[128:129], v[120:121] op_sel:[0,1]
	s_delay_alu instid0(VALU_DEP_1) | instskip(SKIP_1) | instid1(VALU_DEP_1)
	v_pk_fma_f32 v[134:135], v[128:129], v[118:119], v[132:133] op_sel:[0,0,1] op_sel_hi:[1,1,0] neg_lo:[0,0,1] neg_hi:[0,0,1]
	v_pk_fma_f32 v[128:129], v[128:129], v[118:119], v[132:133] op_sel:[0,0,1] op_sel_hi:[1,0,0]
	v_mov_b32_e32 v135, v129
	v_pk_mul_f32 v[128:129], v[130:131], v[120:121] op_sel:[0,1]
	s_delay_alu instid0(VALU_DEP_1) | instskip(SKIP_1) | instid1(VALU_DEP_1)
	v_pk_fma_f32 v[132:133], v[130:131], v[118:119], v[128:129] op_sel:[0,0,1] op_sel_hi:[1,1,0] neg_lo:[0,0,1] neg_hi:[0,0,1]
	v_pk_fma_f32 v[128:129], v[130:131], v[118:119], v[128:129] op_sel:[0,0,1] op_sel_hi:[1,0,0]
	v_mov_b32_e32 v133, v129
	ds_load_2addr_b64 v[128:131], v122 offset0:12 offset1:13
	v_pk_add_f32 v[98:99], v[98:99], v[134:135] neg_lo:[0,1] neg_hi:[0,1]
	v_pk_add_f32 v[38:39], v[38:39], v[132:133] neg_lo:[0,1] neg_hi:[0,1]
	s_wait_dscnt 0x0
	v_pk_mul_f32 v[132:133], v[128:129], v[120:121] op_sel:[0,1]
	s_delay_alu instid0(VALU_DEP_1) | instskip(SKIP_1) | instid1(VALU_DEP_1)
	v_pk_fma_f32 v[134:135], v[128:129], v[118:119], v[132:133] op_sel:[0,0,1] op_sel_hi:[1,1,0] neg_lo:[0,0,1] neg_hi:[0,0,1]
	v_pk_fma_f32 v[128:129], v[128:129], v[118:119], v[132:133] op_sel:[0,0,1] op_sel_hi:[1,0,0]
	v_mov_b32_e32 v135, v129
	v_pk_mul_f32 v[128:129], v[130:131], v[120:121] op_sel:[0,1]
	s_delay_alu instid0(VALU_DEP_1) | instskip(SKIP_1) | instid1(VALU_DEP_1)
	v_pk_fma_f32 v[132:133], v[130:131], v[118:119], v[128:129] op_sel:[0,0,1] op_sel_hi:[1,1,0] neg_lo:[0,0,1] neg_hi:[0,0,1]
	v_pk_fma_f32 v[128:129], v[130:131], v[118:119], v[128:129] op_sel:[0,0,1] op_sel_hi:[1,0,0]
	v_mov_b32_e32 v133, v129
	ds_load_2addr_b64 v[128:131], v122 offset0:14 offset1:15
	v_pk_add_f32 v[94:95], v[94:95], v[134:135] neg_lo:[0,1] neg_hi:[0,1]
	v_pk_add_f32 v[90:91], v[90:91], v[132:133] neg_lo:[0,1] neg_hi:[0,1]
	s_wait_dscnt 0x0
	v_dual_mul_f32 v132, v129, v121 :: v_dual_mul_f32 v134, v129, v118
	s_delay_alu instid0(VALU_DEP_1) | instskip(NEXT) | instid1(VALU_DEP_2)
	v_pk_fma_f32 v[132:133], v[128:129], v[102:103], v[132:133] op_sel_hi:[1,1,0] neg_lo:[0,0,1] neg_hi:[0,0,1]
	v_pk_fma_f32 v[128:129], v[128:129], v[102:103], v[134:135] op_sel:[1,0,0] op_sel_hi:[0,1,0]
	s_delay_alu instid0(VALU_DEP_1) | instskip(SKIP_1) | instid1(VALU_DEP_2)
	v_mov_b32_e32 v133, v129
	v_pk_mul_f32 v[128:129], v[130:131], v[120:121] op_sel:[0,1]
	v_pk_add_f32 v[92:93], v[92:93], v[132:133] neg_lo:[0,1] neg_hi:[0,1]
	s_delay_alu instid0(VALU_DEP_2) | instskip(SKIP_1) | instid1(VALU_DEP_1)
	v_pk_fma_f32 v[132:133], v[130:131], v[118:119], v[128:129] op_sel:[0,0,1] op_sel_hi:[1,1,0] neg_lo:[0,0,1] neg_hi:[0,0,1]
	v_pk_fma_f32 v[128:129], v[130:131], v[118:119], v[128:129] op_sel:[0,0,1] op_sel_hi:[1,0,0]
	v_mov_b32_e32 v133, v129
	ds_load_2addr_b64 v[128:131], v122 offset0:16 offset1:17
	v_pk_add_f32 v[36:37], v[36:37], v[132:133] neg_lo:[0,1] neg_hi:[0,1]
	s_wait_dscnt 0x0
	v_pk_mul_f32 v[132:133], v[128:129], v[120:121] op_sel:[0,1]
	s_delay_alu instid0(VALU_DEP_1) | instskip(SKIP_1) | instid1(VALU_DEP_1)
	v_pk_fma_f32 v[134:135], v[128:129], v[118:119], v[132:133] op_sel:[0,0,1] op_sel_hi:[1,1,0] neg_lo:[0,0,1] neg_hi:[0,0,1]
	v_pk_fma_f32 v[128:129], v[128:129], v[118:119], v[132:133] op_sel:[0,0,1] op_sel_hi:[1,0,0]
	v_mov_b32_e32 v135, v129
	v_pk_mul_f32 v[128:129], v[130:131], v[120:121] op_sel:[0,1]
	s_delay_alu instid0(VALU_DEP_2) | instskip(NEXT) | instid1(VALU_DEP_2)
	v_pk_add_f32 v[88:89], v[88:89], v[134:135] neg_lo:[0,1] neg_hi:[0,1]
	v_pk_fma_f32 v[132:133], v[130:131], v[118:119], v[128:129] op_sel:[0,0,1] op_sel_hi:[1,1,0] neg_lo:[0,0,1] neg_hi:[0,0,1]
	v_pk_fma_f32 v[128:129], v[130:131], v[118:119], v[128:129] op_sel:[0,0,1] op_sel_hi:[1,0,0]
	s_delay_alu instid0(VALU_DEP_1) | instskip(SKIP_4) | instid1(VALU_DEP_1)
	v_mov_b32_e32 v133, v129
	ds_load_2addr_b64 v[128:131], v122 offset0:18 offset1:19
	v_pk_add_f32 v[84:85], v[84:85], v[132:133] neg_lo:[0,1] neg_hi:[0,1]
	s_wait_dscnt 0x0
	v_pk_mul_f32 v[132:133], v[128:129], v[120:121] op_sel:[0,1]
	v_pk_fma_f32 v[134:135], v[128:129], v[118:119], v[132:133] op_sel:[0,0,1] op_sel_hi:[1,1,0] neg_lo:[0,0,1] neg_hi:[0,0,1]
	v_pk_fma_f32 v[128:129], v[128:129], v[118:119], v[132:133] op_sel:[0,0,1] op_sel_hi:[1,0,0]
	v_dual_mul_f32 v132, v131, v121 :: v_dual_mov_b32 v128, v131
	s_delay_alu instid0(VALU_DEP_2) | instskip(NEXT) | instid1(VALU_DEP_2)
	v_dual_mov_b32 v135, v129 :: v_dual_mov_b32 v129, v130
	v_pk_fma_f32 v[132:133], v[130:131], v[102:103], v[132:133] op_sel_hi:[1,1,0] neg_lo:[0,0,1] neg_hi:[0,0,1]
	v_mul_f32_e32 v130, v131, v118
	s_delay_alu instid0(VALU_DEP_3) | instskip(NEXT) | instid1(VALU_DEP_2)
	v_pk_add_f32 v[86:87], v[86:87], v[134:135] neg_lo:[0,1] neg_hi:[0,1]
	v_pk_fma_f32 v[128:129], v[128:129], v[102:103], v[130:131] op_sel_hi:[1,1,0]
	s_delay_alu instid0(VALU_DEP_1) | instskip(SKIP_4) | instid1(VALU_DEP_1)
	v_mov_b32_e32 v133, v129
	ds_load_2addr_b64 v[128:131], v122 offset0:20 offset1:21
	v_pk_add_f32 v[30:31], v[30:31], v[132:133] neg_lo:[0,1] neg_hi:[0,1]
	s_wait_dscnt 0x0
	v_pk_mul_f32 v[132:133], v[128:129], v[120:121] op_sel:[0,1]
	v_pk_fma_f32 v[134:135], v[128:129], v[118:119], v[132:133] op_sel:[0,0,1] op_sel_hi:[1,1,0] neg_lo:[0,0,1] neg_hi:[0,0,1]
	v_pk_fma_f32 v[128:129], v[128:129], v[118:119], v[132:133] op_sel:[0,0,1] op_sel_hi:[1,0,0]
	s_delay_alu instid0(VALU_DEP_1) | instskip(SKIP_1) | instid1(VALU_DEP_1)
	v_mov_b32_e32 v135, v129
	v_pk_mul_f32 v[128:129], v[130:131], v[120:121] op_sel:[0,1]
	v_pk_fma_f32 v[132:133], v[130:131], v[118:119], v[128:129] op_sel:[0,0,1] op_sel_hi:[1,1,0] neg_lo:[0,0,1] neg_hi:[0,0,1]
	v_pk_fma_f32 v[128:129], v[130:131], v[118:119], v[128:129] op_sel:[0,0,1] op_sel_hi:[1,0,0]
	s_delay_alu instid0(VALU_DEP_1)
	v_mov_b32_e32 v133, v129
	ds_load_2addr_b64 v[128:131], v122 offset0:22 offset1:23
	v_pk_add_f32 v[82:83], v[82:83], v[134:135] neg_lo:[0,1] neg_hi:[0,1]
	v_pk_add_f32 v[78:79], v[78:79], v[132:133] neg_lo:[0,1] neg_hi:[0,1]
	s_wait_dscnt 0x0
	v_pk_mul_f32 v[132:133], v[128:129], v[120:121] op_sel:[0,1]
	s_delay_alu instid0(VALU_DEP_1) | instskip(SKIP_1) | instid1(VALU_DEP_1)
	v_pk_fma_f32 v[134:135], v[128:129], v[118:119], v[132:133] op_sel:[0,0,1] op_sel_hi:[1,1,0] neg_lo:[0,0,1] neg_hi:[0,0,1]
	v_pk_fma_f32 v[128:129], v[128:129], v[118:119], v[132:133] op_sel:[0,0,1] op_sel_hi:[1,0,0]
	v_mov_b32_e32 v135, v129
	v_pk_mul_f32 v[128:129], v[130:131], v[120:121] op_sel:[0,1]
	s_delay_alu instid0(VALU_DEP_1) | instskip(SKIP_1) | instid1(VALU_DEP_1)
	v_pk_fma_f32 v[132:133], v[130:131], v[118:119], v[128:129] op_sel:[0,0,1] op_sel_hi:[1,1,0] neg_lo:[0,0,1] neg_hi:[0,0,1]
	v_pk_fma_f32 v[128:129], v[130:131], v[118:119], v[128:129] op_sel:[0,0,1] op_sel_hi:[1,0,0]
	v_mov_b32_e32 v133, v129
	ds_load_2addr_b64 v[128:131], v122 offset0:24 offset1:25
	v_pk_add_f32 v[80:81], v[80:81], v[134:135] neg_lo:[0,1] neg_hi:[0,1]
	v_pk_add_f32 v[24:25], v[24:25], v[132:133] neg_lo:[0,1] neg_hi:[0,1]
	s_wait_dscnt 0x0
	v_dual_mul_f32 v132, v129, v121 :: v_dual_mul_f32 v134, v129, v118
	s_delay_alu instid0(VALU_DEP_1) | instskip(NEXT) | instid1(VALU_DEP_2)
	v_pk_fma_f32 v[132:133], v[128:129], v[102:103], v[132:133] op_sel_hi:[1,1,0] neg_lo:[0,0,1] neg_hi:[0,0,1]
	v_pk_fma_f32 v[128:129], v[128:129], v[102:103], v[134:135] op_sel:[1,0,0] op_sel_hi:[0,1,0]
	s_delay_alu instid0(VALU_DEP_1) | instskip(SKIP_1) | instid1(VALU_DEP_2)
	v_mov_b32_e32 v133, v129
	v_pk_mul_f32 v[128:129], v[130:131], v[120:121] op_sel:[0,1]
	v_pk_add_f32 v[76:77], v[76:77], v[132:133] neg_lo:[0,1] neg_hi:[0,1]
	s_delay_alu instid0(VALU_DEP_2) | instskip(SKIP_1) | instid1(VALU_DEP_1)
	v_pk_fma_f32 v[132:133], v[130:131], v[118:119], v[128:129] op_sel:[0,0,1] op_sel_hi:[1,1,0] neg_lo:[0,0,1] neg_hi:[0,0,1]
	v_pk_fma_f32 v[128:129], v[130:131], v[118:119], v[128:129] op_sel:[0,0,1] op_sel_hi:[1,0,0]
	v_mov_b32_e32 v133, v129
	ds_load_2addr_b64 v[128:131], v122 offset0:26 offset1:27
	v_pk_add_f32 v[72:73], v[72:73], v[132:133] neg_lo:[0,1] neg_hi:[0,1]
	s_wait_dscnt 0x0
	v_pk_mul_f32 v[132:133], v[128:129], v[120:121] op_sel:[0,1]
	s_delay_alu instid0(VALU_DEP_1) | instskip(SKIP_1) | instid1(VALU_DEP_1)
	v_pk_fma_f32 v[134:135], v[128:129], v[118:119], v[132:133] op_sel:[0,0,1] op_sel_hi:[1,1,0] neg_lo:[0,0,1] neg_hi:[0,0,1]
	v_pk_fma_f32 v[128:129], v[128:129], v[118:119], v[132:133] op_sel:[0,0,1] op_sel_hi:[1,0,0]
	v_mov_b32_e32 v135, v129
	v_pk_mul_f32 v[128:129], v[130:131], v[120:121] op_sel:[0,1]
	s_delay_alu instid0(VALU_DEP_2) | instskip(NEXT) | instid1(VALU_DEP_2)
	v_pk_add_f32 v[74:75], v[74:75], v[134:135] neg_lo:[0,1] neg_hi:[0,1]
	v_pk_fma_f32 v[132:133], v[130:131], v[118:119], v[128:129] op_sel:[0,0,1] op_sel_hi:[1,1,0] neg_lo:[0,0,1] neg_hi:[0,0,1]
	v_pk_fma_f32 v[128:129], v[130:131], v[118:119], v[128:129] op_sel:[0,0,1] op_sel_hi:[1,0,0]
	s_delay_alu instid0(VALU_DEP_1) | instskip(SKIP_4) | instid1(VALU_DEP_1)
	v_mov_b32_e32 v133, v129
	ds_load_2addr_b64 v[128:131], v122 offset0:28 offset1:29
	v_pk_add_f32 v[18:19], v[18:19], v[132:133] neg_lo:[0,1] neg_hi:[0,1]
	s_wait_dscnt 0x0
	v_pk_mul_f32 v[132:133], v[128:129], v[120:121] op_sel:[0,1]
	v_pk_fma_f32 v[134:135], v[128:129], v[118:119], v[132:133] op_sel:[0,0,1] op_sel_hi:[1,1,0] neg_lo:[0,0,1] neg_hi:[0,0,1]
	v_pk_fma_f32 v[128:129], v[128:129], v[118:119], v[132:133] op_sel:[0,0,1] op_sel_hi:[1,0,0]
	v_dual_mul_f32 v132, v131, v121 :: v_dual_mov_b32 v128, v131
	s_delay_alu instid0(VALU_DEP_2) | instskip(NEXT) | instid1(VALU_DEP_2)
	v_dual_mov_b32 v135, v129 :: v_dual_mov_b32 v129, v130
	v_pk_fma_f32 v[132:133], v[130:131], v[102:103], v[132:133] op_sel_hi:[1,1,0] neg_lo:[0,0,1] neg_hi:[0,0,1]
	v_mul_f32_e32 v130, v131, v118
	s_delay_alu instid0(VALU_DEP_3) | instskip(NEXT) | instid1(VALU_DEP_2)
	v_pk_add_f32 v[70:71], v[70:71], v[134:135] neg_lo:[0,1] neg_hi:[0,1]
	v_pk_fma_f32 v[128:129], v[128:129], v[102:103], v[130:131] op_sel_hi:[1,1,0]
	s_delay_alu instid0(VALU_DEP_1) | instskip(SKIP_4) | instid1(VALU_DEP_1)
	v_mov_b32_e32 v133, v129
	ds_load_2addr_b64 v[128:131], v122 offset0:30 offset1:31
	v_pk_add_f32 v[66:67], v[66:67], v[132:133] neg_lo:[0,1] neg_hi:[0,1]
	s_wait_dscnt 0x0
	v_pk_mul_f32 v[132:133], v[128:129], v[120:121] op_sel:[0,1]
	v_pk_fma_f32 v[134:135], v[128:129], v[118:119], v[132:133] op_sel:[0,0,1] op_sel_hi:[1,1,0] neg_lo:[0,0,1] neg_hi:[0,0,1]
	v_pk_fma_f32 v[128:129], v[128:129], v[118:119], v[132:133] op_sel:[0,0,1] op_sel_hi:[1,0,0]
	s_delay_alu instid0(VALU_DEP_1) | instskip(SKIP_1) | instid1(VALU_DEP_1)
	v_mov_b32_e32 v135, v129
	v_pk_mul_f32 v[128:129], v[130:131], v[120:121] op_sel:[0,1]
	v_pk_fma_f32 v[132:133], v[130:131], v[118:119], v[128:129] op_sel:[0,0,1] op_sel_hi:[1,1,0] neg_lo:[0,0,1] neg_hi:[0,0,1]
	v_pk_fma_f32 v[128:129], v[130:131], v[118:119], v[128:129] op_sel:[0,0,1] op_sel_hi:[1,0,0]
	s_delay_alu instid0(VALU_DEP_1)
	v_mov_b32_e32 v133, v129
	ds_load_2addr_b64 v[128:131], v122 offset0:32 offset1:33
	v_pk_add_f32 v[68:69], v[68:69], v[134:135] neg_lo:[0,1] neg_hi:[0,1]
	v_pk_add_f32 v[16:17], v[16:17], v[132:133] neg_lo:[0,1] neg_hi:[0,1]
	s_wait_dscnt 0x0
	v_pk_mul_f32 v[132:133], v[128:129], v[120:121] op_sel:[0,1]
	s_delay_alu instid0(VALU_DEP_1) | instskip(SKIP_1) | instid1(VALU_DEP_1)
	v_pk_fma_f32 v[134:135], v[128:129], v[118:119], v[132:133] op_sel:[0,0,1] op_sel_hi:[1,1,0] neg_lo:[0,0,1] neg_hi:[0,0,1]
	v_pk_fma_f32 v[128:129], v[128:129], v[118:119], v[132:133] op_sel:[0,0,1] op_sel_hi:[1,0,0]
	v_mov_b32_e32 v135, v129
	v_pk_mul_f32 v[128:129], v[130:131], v[120:121] op_sel:[0,1]
	s_delay_alu instid0(VALU_DEP_1) | instskip(SKIP_1) | instid1(VALU_DEP_1)
	v_pk_fma_f32 v[132:133], v[130:131], v[118:119], v[128:129] op_sel:[0,0,1] op_sel_hi:[1,1,0] neg_lo:[0,0,1] neg_hi:[0,0,1]
	v_pk_fma_f32 v[128:129], v[130:131], v[118:119], v[128:129] op_sel:[0,0,1] op_sel_hi:[1,0,0]
	v_mov_b32_e32 v133, v129
	ds_load_2addr_b64 v[128:131], v122 offset0:34 offset1:35
	v_pk_add_f32 v[64:65], v[64:65], v[134:135] neg_lo:[0,1] neg_hi:[0,1]
	v_pk_add_f32 v[60:61], v[60:61], v[132:133] neg_lo:[0,1] neg_hi:[0,1]
	s_wait_dscnt 0x0
	v_dual_mul_f32 v132, v129, v121 :: v_dual_mul_f32 v134, v129, v118
	s_delay_alu instid0(VALU_DEP_1) | instskip(NEXT) | instid1(VALU_DEP_2)
	v_pk_fma_f32 v[132:133], v[128:129], v[102:103], v[132:133] op_sel_hi:[1,1,0] neg_lo:[0,0,1] neg_hi:[0,0,1]
	v_pk_fma_f32 v[128:129], v[128:129], v[102:103], v[134:135] op_sel:[1,0,0] op_sel_hi:[0,1,0]
	s_delay_alu instid0(VALU_DEP_1) | instskip(SKIP_1) | instid1(VALU_DEP_2)
	v_mov_b32_e32 v133, v129
	v_pk_mul_f32 v[128:129], v[130:131], v[120:121] op_sel:[0,1]
	v_pk_add_f32 v[62:63], v[62:63], v[132:133] neg_lo:[0,1] neg_hi:[0,1]
	s_delay_alu instid0(VALU_DEP_2) | instskip(SKIP_1) | instid1(VALU_DEP_1)
	v_pk_fma_f32 v[132:133], v[130:131], v[118:119], v[128:129] op_sel:[0,0,1] op_sel_hi:[1,1,0] neg_lo:[0,0,1] neg_hi:[0,0,1]
	v_pk_fma_f32 v[128:129], v[130:131], v[118:119], v[128:129] op_sel:[0,0,1] op_sel_hi:[1,0,0]
	v_mov_b32_e32 v133, v129
	ds_load_2addr_b64 v[128:131], v122 offset0:36 offset1:37
	v_pk_add_f32 v[14:15], v[14:15], v[132:133] neg_lo:[0,1] neg_hi:[0,1]
	s_wait_dscnt 0x0
	v_pk_mul_f32 v[132:133], v[128:129], v[120:121] op_sel:[0,1]
	s_delay_alu instid0(VALU_DEP_1) | instskip(SKIP_1) | instid1(VALU_DEP_1)
	v_pk_fma_f32 v[134:135], v[128:129], v[118:119], v[132:133] op_sel:[0,0,1] op_sel_hi:[1,1,0] neg_lo:[0,0,1] neg_hi:[0,0,1]
	v_pk_fma_f32 v[128:129], v[128:129], v[118:119], v[132:133] op_sel:[0,0,1] op_sel_hi:[1,0,0]
	v_mov_b32_e32 v135, v129
	v_pk_mul_f32 v[128:129], v[130:131], v[120:121] op_sel:[0,1]
	s_delay_alu instid0(VALU_DEP_2) | instskip(NEXT) | instid1(VALU_DEP_2)
	v_pk_add_f32 v[58:59], v[58:59], v[134:135] neg_lo:[0,1] neg_hi:[0,1]
	v_pk_fma_f32 v[132:133], v[130:131], v[118:119], v[128:129] op_sel:[0,0,1] op_sel_hi:[1,1,0] neg_lo:[0,0,1] neg_hi:[0,0,1]
	v_pk_fma_f32 v[128:129], v[130:131], v[118:119], v[128:129] op_sel:[0,0,1] op_sel_hi:[1,0,0]
	s_delay_alu instid0(VALU_DEP_1) | instskip(SKIP_4) | instid1(VALU_DEP_1)
	v_mov_b32_e32 v133, v129
	ds_load_2addr_b64 v[128:131], v122 offset0:38 offset1:39
	v_pk_add_f32 v[54:55], v[54:55], v[132:133] neg_lo:[0,1] neg_hi:[0,1]
	s_wait_dscnt 0x0
	v_pk_mul_f32 v[132:133], v[128:129], v[120:121] op_sel:[0,1]
	v_pk_fma_f32 v[134:135], v[128:129], v[118:119], v[132:133] op_sel:[0,0,1] op_sel_hi:[1,1,0] neg_lo:[0,0,1] neg_hi:[0,0,1]
	v_pk_fma_f32 v[128:129], v[128:129], v[118:119], v[132:133] op_sel:[0,0,1] op_sel_hi:[1,0,0]
	v_dual_mul_f32 v132, v131, v121 :: v_dual_mov_b32 v128, v131
	s_delay_alu instid0(VALU_DEP_2) | instskip(NEXT) | instid1(VALU_DEP_2)
	v_dual_mov_b32 v135, v129 :: v_dual_mov_b32 v129, v130
	v_pk_fma_f32 v[132:133], v[130:131], v[102:103], v[132:133] op_sel_hi:[1,1,0] neg_lo:[0,0,1] neg_hi:[0,0,1]
	v_mul_f32_e32 v130, v131, v118
	s_delay_alu instid0(VALU_DEP_3) | instskip(NEXT) | instid1(VALU_DEP_2)
	v_pk_add_f32 v[56:57], v[56:57], v[134:135] neg_lo:[0,1] neg_hi:[0,1]
	v_pk_fma_f32 v[128:129], v[128:129], v[102:103], v[130:131] op_sel_hi:[1,1,0]
	s_delay_alu instid0(VALU_DEP_1) | instskip(SKIP_4) | instid1(VALU_DEP_1)
	v_mov_b32_e32 v133, v129
	ds_load_2addr_b64 v[128:131], v122 offset0:40 offset1:41
	v_pk_add_f32 v[12:13], v[12:13], v[132:133] neg_lo:[0,1] neg_hi:[0,1]
	s_wait_dscnt 0x0
	v_pk_mul_f32 v[132:133], v[128:129], v[120:121] op_sel:[0,1]
	v_pk_fma_f32 v[134:135], v[128:129], v[118:119], v[132:133] op_sel:[0,0,1] op_sel_hi:[1,1,0] neg_lo:[0,0,1] neg_hi:[0,0,1]
	v_pk_fma_f32 v[128:129], v[128:129], v[118:119], v[132:133] op_sel:[0,0,1] op_sel_hi:[1,0,0]
	s_delay_alu instid0(VALU_DEP_1) | instskip(SKIP_1) | instid1(VALU_DEP_1)
	v_mov_b32_e32 v135, v129
	v_pk_mul_f32 v[128:129], v[130:131], v[120:121] op_sel:[0,1]
	v_pk_fma_f32 v[132:133], v[130:131], v[118:119], v[128:129] op_sel:[0,0,1] op_sel_hi:[1,1,0] neg_lo:[0,0,1] neg_hi:[0,0,1]
	v_pk_fma_f32 v[128:129], v[130:131], v[118:119], v[128:129] op_sel:[0,0,1] op_sel_hi:[1,0,0]
	s_delay_alu instid0(VALU_DEP_1)
	v_mov_b32_e32 v133, v129
	ds_load_2addr_b64 v[128:131], v122 offset0:42 offset1:43
	v_pk_add_f32 v[52:53], v[52:53], v[134:135] neg_lo:[0,1] neg_hi:[0,1]
	v_pk_add_f32 v[48:49], v[48:49], v[132:133] neg_lo:[0,1] neg_hi:[0,1]
	s_wait_dscnt 0x0
	v_pk_mul_f32 v[132:133], v[128:129], v[120:121] op_sel:[0,1]
	s_delay_alu instid0(VALU_DEP_1) | instskip(SKIP_1) | instid1(VALU_DEP_1)
	v_pk_fma_f32 v[134:135], v[128:129], v[118:119], v[132:133] op_sel:[0,0,1] op_sel_hi:[1,1,0] neg_lo:[0,0,1] neg_hi:[0,0,1]
	v_pk_fma_f32 v[128:129], v[128:129], v[118:119], v[132:133] op_sel:[0,0,1] op_sel_hi:[1,0,0]
	v_mov_b32_e32 v135, v129
	v_pk_mul_f32 v[128:129], v[130:131], v[120:121] op_sel:[0,1]
	s_delay_alu instid0(VALU_DEP_1) | instskip(SKIP_1) | instid1(VALU_DEP_1)
	v_pk_fma_f32 v[132:133], v[130:131], v[118:119], v[128:129] op_sel:[0,0,1] op_sel_hi:[1,1,0] neg_lo:[0,0,1] neg_hi:[0,0,1]
	v_pk_fma_f32 v[128:129], v[130:131], v[118:119], v[128:129] op_sel:[0,0,1] op_sel_hi:[1,0,0]
	v_mov_b32_e32 v133, v129
	ds_load_2addr_b64 v[128:131], v122 offset0:44 offset1:45
	v_pk_add_f32 v[50:51], v[50:51], v[134:135] neg_lo:[0,1] neg_hi:[0,1]
	v_pk_add_f32 v[10:11], v[10:11], v[132:133] neg_lo:[0,1] neg_hi:[0,1]
	s_wait_dscnt 0x0
	v_dual_mul_f32 v132, v129, v121 :: v_dual_mul_f32 v134, v129, v118
	s_delay_alu instid0(VALU_DEP_1) | instskip(NEXT) | instid1(VALU_DEP_2)
	v_pk_fma_f32 v[132:133], v[128:129], v[102:103], v[132:133] op_sel_hi:[1,1,0] neg_lo:[0,0,1] neg_hi:[0,0,1]
	v_pk_fma_f32 v[128:129], v[128:129], v[102:103], v[134:135] op_sel:[1,0,0] op_sel_hi:[0,1,0]
	s_delay_alu instid0(VALU_DEP_1) | instskip(SKIP_1) | instid1(VALU_DEP_2)
	v_mov_b32_e32 v133, v129
	v_pk_mul_f32 v[128:129], v[130:131], v[120:121] op_sel:[0,1]
	v_pk_add_f32 v[46:47], v[46:47], v[132:133] neg_lo:[0,1] neg_hi:[0,1]
	s_delay_alu instid0(VALU_DEP_2) | instskip(SKIP_1) | instid1(VALU_DEP_1)
	v_pk_fma_f32 v[132:133], v[130:131], v[118:119], v[128:129] op_sel:[0,0,1] op_sel_hi:[1,1,0] neg_lo:[0,0,1] neg_hi:[0,0,1]
	v_pk_fma_f32 v[128:129], v[130:131], v[118:119], v[128:129] op_sel:[0,0,1] op_sel_hi:[1,0,0]
	v_mov_b32_e32 v133, v129
	ds_load_2addr_b64 v[128:131], v122 offset0:46 offset1:47
	v_pk_add_f32 v[42:43], v[42:43], v[132:133] neg_lo:[0,1] neg_hi:[0,1]
	s_wait_dscnt 0x0
	v_pk_mul_f32 v[132:133], v[128:129], v[120:121] op_sel:[0,1]
	s_delay_alu instid0(VALU_DEP_1) | instskip(SKIP_1) | instid1(VALU_DEP_1)
	v_pk_fma_f32 v[134:135], v[128:129], v[118:119], v[132:133] op_sel:[0,0,1] op_sel_hi:[1,1,0] neg_lo:[0,0,1] neg_hi:[0,0,1]
	v_pk_fma_f32 v[128:129], v[128:129], v[118:119], v[132:133] op_sel:[0,0,1] op_sel_hi:[1,0,0]
	v_mov_b32_e32 v135, v129
	v_pk_mul_f32 v[128:129], v[130:131], v[120:121] op_sel:[0,1]
	s_delay_alu instid0(VALU_DEP_2) | instskip(NEXT) | instid1(VALU_DEP_2)
	v_pk_add_f32 v[44:45], v[44:45], v[134:135] neg_lo:[0,1] neg_hi:[0,1]
	v_pk_fma_f32 v[132:133], v[130:131], v[118:119], v[128:129] op_sel:[0,0,1] op_sel_hi:[1,1,0] neg_lo:[0,0,1] neg_hi:[0,0,1]
	v_pk_fma_f32 v[128:129], v[130:131], v[118:119], v[128:129] op_sel:[0,0,1] op_sel_hi:[1,0,0]
	s_delay_alu instid0(VALU_DEP_1) | instskip(SKIP_4) | instid1(VALU_DEP_1)
	v_mov_b32_e32 v133, v129
	ds_load_2addr_b64 v[128:131], v122 offset0:48 offset1:49
	v_pk_add_f32 v[6:7], v[6:7], v[132:133] neg_lo:[0,1] neg_hi:[0,1]
	s_wait_dscnt 0x0
	v_pk_mul_f32 v[132:133], v[128:129], v[120:121] op_sel:[0,1]
	v_pk_fma_f32 v[134:135], v[128:129], v[118:119], v[132:133] op_sel:[0,0,1] op_sel_hi:[1,1,0] neg_lo:[0,0,1] neg_hi:[0,0,1]
	v_pk_fma_f32 v[128:129], v[128:129], v[118:119], v[132:133] op_sel:[0,0,1] op_sel_hi:[1,0,0]
	v_dual_mul_f32 v132, v131, v121 :: v_dual_mov_b32 v128, v131
	s_delay_alu instid0(VALU_DEP_2) | instskip(NEXT) | instid1(VALU_DEP_2)
	v_dual_mov_b32 v135, v129 :: v_dual_mov_b32 v129, v130
	v_pk_fma_f32 v[132:133], v[130:131], v[102:103], v[132:133] op_sel_hi:[1,1,0] neg_lo:[0,0,1] neg_hi:[0,0,1]
	v_mul_f32_e32 v130, v131, v118
	s_delay_alu instid0(VALU_DEP_3) | instskip(NEXT) | instid1(VALU_DEP_2)
	v_pk_add_f32 v[34:35], v[34:35], v[134:135] neg_lo:[0,1] neg_hi:[0,1]
	v_pk_fma_f32 v[128:129], v[128:129], v[102:103], v[130:131] op_sel_hi:[1,1,0]
	s_delay_alu instid0(VALU_DEP_1) | instskip(SKIP_4) | instid1(VALU_DEP_1)
	v_mov_b32_e32 v133, v129
	ds_load_2addr_b64 v[128:131], v122 offset0:50 offset1:51
	v_pk_add_f32 v[28:29], v[28:29], v[132:133] neg_lo:[0,1] neg_hi:[0,1]
	s_wait_dscnt 0x0
	v_pk_mul_f32 v[132:133], v[128:129], v[120:121] op_sel:[0,1]
	v_pk_fma_f32 v[134:135], v[128:129], v[118:119], v[132:133] op_sel:[0,0,1] op_sel_hi:[1,1,0] neg_lo:[0,0,1] neg_hi:[0,0,1]
	v_pk_fma_f32 v[128:129], v[128:129], v[118:119], v[132:133] op_sel:[0,0,1] op_sel_hi:[1,0,0]
	s_delay_alu instid0(VALU_DEP_1) | instskip(SKIP_1) | instid1(VALU_DEP_1)
	v_mov_b32_e32 v135, v129
	v_pk_mul_f32 v[128:129], v[130:131], v[120:121] op_sel:[0,1]
	v_pk_fma_f32 v[132:133], v[130:131], v[118:119], v[128:129] op_sel:[0,0,1] op_sel_hi:[1,1,0] neg_lo:[0,0,1] neg_hi:[0,0,1]
	v_pk_fma_f32 v[128:129], v[130:131], v[118:119], v[128:129] op_sel:[0,0,1] op_sel_hi:[1,0,0]
	s_delay_alu instid0(VALU_DEP_1)
	v_mov_b32_e32 v133, v129
	ds_load_2addr_b64 v[128:131], v122 offset0:52 offset1:53
	v_pk_add_f32 v[32:33], v[32:33], v[134:135] neg_lo:[0,1] neg_hi:[0,1]
	v_pk_add_f32 v[8:9], v[8:9], v[132:133] neg_lo:[0,1] neg_hi:[0,1]
	s_wait_dscnt 0x0
	v_pk_mul_f32 v[132:133], v[128:129], v[120:121] op_sel:[0,1]
	s_delay_alu instid0(VALU_DEP_1) | instskip(SKIP_1) | instid1(VALU_DEP_1)
	v_pk_fma_f32 v[134:135], v[128:129], v[118:119], v[132:133] op_sel:[0,0,1] op_sel_hi:[1,1,0] neg_lo:[0,0,1] neg_hi:[0,0,1]
	v_pk_fma_f32 v[128:129], v[128:129], v[118:119], v[132:133] op_sel:[0,0,1] op_sel_hi:[1,0,0]
	v_mov_b32_e32 v135, v129
	v_pk_mul_f32 v[128:129], v[130:131], v[120:121] op_sel:[0,1]
	s_delay_alu instid0(VALU_DEP_1) | instskip(SKIP_1) | instid1(VALU_DEP_1)
	v_pk_fma_f32 v[132:133], v[130:131], v[118:119], v[128:129] op_sel:[0,0,1] op_sel_hi:[1,1,0] neg_lo:[0,0,1] neg_hi:[0,0,1]
	v_pk_fma_f32 v[128:129], v[130:131], v[118:119], v[128:129] op_sel:[0,0,1] op_sel_hi:[1,0,0]
	v_mov_b32_e32 v133, v129
	ds_load_2addr_b64 v[128:131], v122 offset0:54 offset1:55
	v_pk_add_f32 v[26:27], v[26:27], v[134:135] neg_lo:[0,1] neg_hi:[0,1]
	v_pk_add_f32 v[22:23], v[22:23], v[132:133] neg_lo:[0,1] neg_hi:[0,1]
	s_wait_dscnt 0x0
	v_dual_mul_f32 v132, v129, v121 :: v_dual_mul_f32 v134, v129, v118
	v_pk_mul_f32 v[120:121], v[130:131], v[120:121] op_sel:[0,1]
	s_delay_alu instid0(VALU_DEP_2) | instskip(NEXT) | instid1(VALU_DEP_3)
	v_pk_fma_f32 v[132:133], v[128:129], v[102:103], v[132:133] op_sel_hi:[1,1,0] neg_lo:[0,0,1] neg_hi:[0,0,1]
	v_pk_fma_f32 v[128:129], v[128:129], v[102:103], v[134:135] op_sel:[1,0,0] op_sel_hi:[0,1,0]
	s_delay_alu instid0(VALU_DEP_1) | instskip(NEXT) | instid1(VALU_DEP_4)
	v_mov_b32_e32 v133, v129
	v_pk_fma_f32 v[128:129], v[130:131], v[118:119], v[120:121] op_sel:[0,0,1] op_sel_hi:[1,1,0] neg_lo:[0,0,1] neg_hi:[0,0,1]
	v_pk_fma_f32 v[118:119], v[130:131], v[118:119], v[120:121] op_sel:[0,0,1] op_sel_hi:[1,0,0]
	s_delay_alu instid0(VALU_DEP_1) | instskip(NEXT) | instid1(VALU_DEP_4)
	v_mov_b32_e32 v129, v119
	v_pk_add_f32 v[20:21], v[20:21], v[132:133] neg_lo:[0,1] neg_hi:[0,1]
	s_delay_alu instid0(VALU_DEP_2)
	v_pk_add_f32 v[116:117], v[116:117], v[128:129] neg_lo:[0,1] neg_hi:[0,1]
.LBB110_125:
	s_or_b32 exec_lo, exec_lo, s0
	v_lshl_add_u32 v118, v126, 3, v122
	s_barrier_signal -1
	s_barrier_wait -1
	ds_store_b64 v118, v[104:105]
	s_wait_dscnt 0x0
	s_barrier_signal -1
	s_barrier_wait -1
	ds_load_b64 v[120:121], v122 offset:48
	v_mov_b32_e32 v118, 6
	s_cmp_lt_i32 s18, 8
	s_cbranch_scc1 .LBB110_128
; %bb.126:
	v_add3_u32 v119, v123, 0, 56
	v_mov_b32_e32 v118, 6
	s_mov_b32 s0, 7
.LBB110_127:                            ; =>This Inner Loop Header: Depth=1
	ds_load_b64 v[128:129], v119
	s_wait_dscnt 0x1
	v_cmp_gt_f32_e32 vcc_lo, 0, v120
	v_cndmask_b32_e64 v130, v120, -v120, vcc_lo
	v_cmp_gt_f32_e32 vcc_lo, 0, v121
	v_cndmask_b32_e64 v132, v121, -v121, vcc_lo
	s_wait_dscnt 0x0
	v_cmp_gt_f32_e32 vcc_lo, 0, v128
	v_cndmask_b32_e64 v131, v128, -v128, vcc_lo
	v_cmp_gt_f32_e32 vcc_lo, 0, v129
	v_cndmask_b32_e64 v133, v129, -v129, vcc_lo
	s_delay_alu instid0(VALU_DEP_1) | instskip(NEXT) | instid1(VALU_DEP_1)
	v_pk_add_f32 v[130:131], v[130:131], v[132:133]
	v_cmp_lt_f32_e32 vcc_lo, v130, v131
	v_dual_add_nc_u32 v119, 8, v119 :: v_dual_cndmask_b32 v121, v121, v129, vcc_lo
	v_cndmask_b32_e32 v120, v120, v128, vcc_lo
	v_cndmask_b32_e64 v118, v118, s0, vcc_lo
	s_add_co_i32 s0, s0, 1
	s_delay_alu instid0(SALU_CYCLE_1)
	s_cmp_lg_u32 s18, s0
	s_cbranch_scc1 .LBB110_127
.LBB110_128:
	s_wait_dscnt 0x0
	v_cmp_eq_f32_e32 vcc_lo, 0, v120
	v_cmp_eq_f32_e64 s0, 0, v121
	s_and_b32 s0, vcc_lo, s0
	s_delay_alu instid0(SALU_CYCLE_1) | instskip(NEXT) | instid1(SALU_CYCLE_1)
	s_and_saveexec_b32 s1, s0
	s_xor_b32 s0, exec_lo, s1
; %bb.129:
	v_cmp_ne_u32_e32 vcc_lo, 0, v124
	v_cndmask_b32_e32 v124, 7, v124, vcc_lo
; %bb.130:
	s_and_not1_saveexec_b32 s0, s0
	s_cbranch_execz .LBB110_136
; %bb.131:
	v_cmp_ngt_f32_e64 s1, |v120|, |v121|
	s_and_saveexec_b32 s12, s1
	s_delay_alu instid0(SALU_CYCLE_1)
	s_xor_b32 s1, exec_lo, s12
	s_cbranch_execz .LBB110_133
; %bb.132:
	v_div_scale_f32 v119, null, v121, v121, v120
	v_div_scale_f32 v129, vcc_lo, v120, v121, v120
	s_delay_alu instid0(VALU_DEP_2) | instskip(SKIP_1) | instid1(TRANS32_DEP_1)
	v_rcp_f32_e32 v127, v119
	v_nop
	v_fma_f32 v128, -v119, v127, 1.0
	s_delay_alu instid0(VALU_DEP_1) | instskip(NEXT) | instid1(VALU_DEP_1)
	v_fmac_f32_e32 v127, v128, v127
	v_mul_f32_e32 v128, v129, v127
	s_delay_alu instid0(VALU_DEP_1) | instskip(NEXT) | instid1(VALU_DEP_1)
	v_fma_f32 v130, -v119, v128, v129
	v_fmac_f32_e32 v128, v130, v127
	s_delay_alu instid0(VALU_DEP_1) | instskip(NEXT) | instid1(VALU_DEP_1)
	v_fma_f32 v119, -v119, v128, v129
	v_div_fmas_f32 v119, v119, v127, v128
	s_delay_alu instid0(VALU_DEP_1) | instskip(NEXT) | instid1(VALU_DEP_1)
	v_div_fixup_f32 v119, v119, v121, v120
	v_fmac_f32_e32 v121, v120, v119
	s_delay_alu instid0(VALU_DEP_1) | instskip(SKIP_1) | instid1(VALU_DEP_2)
	v_div_scale_f32 v120, null, v121, v121, 1.0
	v_div_scale_f32 v129, vcc_lo, 1.0, v121, 1.0
	v_rcp_f32_e32 v127, v120
	v_nop
	s_delay_alu instid0(TRANS32_DEP_1) | instskip(NEXT) | instid1(VALU_DEP_1)
	v_fma_f32 v128, -v120, v127, 1.0
	v_fmac_f32_e32 v127, v128, v127
	s_delay_alu instid0(VALU_DEP_1) | instskip(NEXT) | instid1(VALU_DEP_1)
	v_mul_f32_e32 v128, v129, v127
	v_fma_f32 v130, -v120, v128, v129
	s_delay_alu instid0(VALU_DEP_1) | instskip(NEXT) | instid1(VALU_DEP_1)
	v_fmac_f32_e32 v128, v130, v127
	v_fma_f32 v120, -v120, v128, v129
	s_delay_alu instid0(VALU_DEP_1) | instskip(NEXT) | instid1(VALU_DEP_1)
	v_div_fmas_f32 v120, v120, v127, v128
	v_div_fixup_f32 v121, v120, v121, 1.0
	s_delay_alu instid0(VALU_DEP_1)
	v_mul_f32_e32 v120, v119, v121
	v_xor_b32_e32 v121, 0x80000000, v121
.LBB110_133:
	s_and_not1_saveexec_b32 s1, s1
	s_cbranch_execz .LBB110_135
; %bb.134:
	s_delay_alu instid0(VALU_DEP_1) | instskip(SKIP_1) | instid1(VALU_DEP_2)
	v_div_scale_f32 v119, null, v120, v120, v121
	v_div_scale_f32 v129, vcc_lo, v121, v120, v121
	v_rcp_f32_e32 v127, v119
	v_nop
	s_delay_alu instid0(TRANS32_DEP_1) | instskip(NEXT) | instid1(VALU_DEP_1)
	v_fma_f32 v128, -v119, v127, 1.0
	v_fmac_f32_e32 v127, v128, v127
	s_delay_alu instid0(VALU_DEP_1) | instskip(NEXT) | instid1(VALU_DEP_1)
	v_mul_f32_e32 v128, v129, v127
	v_fma_f32 v130, -v119, v128, v129
	s_delay_alu instid0(VALU_DEP_1) | instskip(NEXT) | instid1(VALU_DEP_1)
	v_fmac_f32_e32 v128, v130, v127
	v_fma_f32 v119, -v119, v128, v129
	s_delay_alu instid0(VALU_DEP_1) | instskip(NEXT) | instid1(VALU_DEP_1)
	v_div_fmas_f32 v119, v119, v127, v128
	v_div_fixup_f32 v119, v119, v120, v121
	s_delay_alu instid0(VALU_DEP_1) | instskip(NEXT) | instid1(VALU_DEP_1)
	v_fmac_f32_e32 v120, v121, v119
	v_div_scale_f32 v121, null, v120, v120, 1.0
	s_delay_alu instid0(VALU_DEP_1) | instskip(SKIP_1) | instid1(TRANS32_DEP_1)
	v_rcp_f32_e32 v127, v121
	v_nop
	v_fma_f32 v128, -v121, v127, 1.0
	s_delay_alu instid0(VALU_DEP_1) | instskip(SKIP_1) | instid1(VALU_DEP_1)
	v_fmac_f32_e32 v127, v128, v127
	v_div_scale_f32 v128, vcc_lo, 1.0, v120, 1.0
	v_mul_f32_e32 v129, v128, v127
	s_delay_alu instid0(VALU_DEP_1) | instskip(NEXT) | instid1(VALU_DEP_1)
	v_fma_f32 v130, -v121, v129, v128
	v_fmac_f32_e32 v129, v130, v127
	s_delay_alu instid0(VALU_DEP_1) | instskip(NEXT) | instid1(VALU_DEP_1)
	v_fma_f32 v121, -v121, v129, v128
	v_div_fmas_f32 v121, v121, v127, v129
	s_delay_alu instid0(VALU_DEP_1) | instskip(NEXT) | instid1(VALU_DEP_1)
	v_div_fixup_f32 v120, v121, v120, 1.0
	v_mul_f32_e64 v121, v119, -v120
.LBB110_135:
	s_or_b32 exec_lo, exec_lo, s1
.LBB110_136:
	s_delay_alu instid0(SALU_CYCLE_1) | instskip(NEXT) | instid1(SALU_CYCLE_1)
	s_or_b32 exec_lo, exec_lo, s0
	s_mov_b32 s0, exec_lo
	v_cmpx_ne_u32_e64 v126, v118
	s_xor_b32 s0, exec_lo, s0
	s_cbranch_execz .LBB110_142
; %bb.137:
	s_mov_b32 s1, exec_lo
	v_cmpx_eq_u32_e32 6, v126
	s_cbranch_execz .LBB110_141
; %bb.138:
	v_cmp_ne_u32_e32 vcc_lo, 6, v118
	s_xor_b32 s12, s16, -1
	s_delay_alu instid0(SALU_CYCLE_1) | instskip(NEXT) | instid1(SALU_CYCLE_1)
	s_and_b32 s13, s12, vcc_lo
	s_and_saveexec_b32 s12, s13
	s_cbranch_execz .LBB110_140
; %bb.139:
	v_ashrrev_i32_e32 v119, 31, v118
	s_delay_alu instid0(VALU_DEP_1)
	v_lshl_add_u64 v[126:127], v[118:119], 2, v[4:5]
	s_clause 0x1
	global_load_b32 v119, v[126:127], off
	global_load_b32 v125, v[4:5], off offset:24
	s_wait_loadcnt 0x1
	global_store_b32 v[4:5], v119, off offset:24
	s_wait_loadcnt 0x0
	global_store_b32 v[126:127], v125, off
.LBB110_140:
	s_wait_xcnt 0x0
	s_or_b32 exec_lo, exec_lo, s12
	v_dual_mov_b32 v126, v118 :: v_dual_mov_b32 v125, v118
.LBB110_141:
	s_or_b32 exec_lo, exec_lo, s1
.LBB110_142:
	s_and_not1_saveexec_b32 s0, s0
	s_cbranch_execz .LBB110_144
; %bb.143:
	v_mov_b32_e32 v126, 6
	ds_store_2addr_b64 v122, v[40:41], v[100:101] offset0:7 offset1:8
	ds_store_2addr_b64 v122, v[96:97], v[98:99] offset0:9 offset1:10
	ds_store_2addr_b64 v122, v[38:39], v[94:95] offset0:11 offset1:12
	ds_store_2addr_b64 v122, v[90:91], v[92:93] offset0:13 offset1:14
	ds_store_2addr_b64 v122, v[36:37], v[88:89] offset0:15 offset1:16
	ds_store_2addr_b64 v122, v[84:85], v[86:87] offset0:17 offset1:18
	ds_store_2addr_b64 v122, v[30:31], v[82:83] offset0:19 offset1:20
	ds_store_2addr_b64 v122, v[78:79], v[80:81] offset0:21 offset1:22
	ds_store_2addr_b64 v122, v[24:25], v[76:77] offset0:23 offset1:24
	ds_store_2addr_b64 v122, v[72:73], v[74:75] offset0:25 offset1:26
	ds_store_2addr_b64 v122, v[18:19], v[70:71] offset0:27 offset1:28
	ds_store_2addr_b64 v122, v[66:67], v[68:69] offset0:29 offset1:30
	ds_store_2addr_b64 v122, v[16:17], v[64:65] offset0:31 offset1:32
	ds_store_2addr_b64 v122, v[60:61], v[62:63] offset0:33 offset1:34
	ds_store_2addr_b64 v122, v[14:15], v[58:59] offset0:35 offset1:36
	ds_store_2addr_b64 v122, v[54:55], v[56:57] offset0:37 offset1:38
	ds_store_2addr_b64 v122, v[12:13], v[52:53] offset0:39 offset1:40
	ds_store_2addr_b64 v122, v[48:49], v[50:51] offset0:41 offset1:42
	ds_store_2addr_b64 v122, v[10:11], v[46:47] offset0:43 offset1:44
	ds_store_2addr_b64 v122, v[42:43], v[44:45] offset0:45 offset1:46
	ds_store_2addr_b64 v122, v[6:7], v[34:35] offset0:47 offset1:48
	ds_store_2addr_b64 v122, v[28:29], v[32:33] offset0:49 offset1:50
	ds_store_2addr_b64 v122, v[8:9], v[26:27] offset0:51 offset1:52
	ds_store_2addr_b64 v122, v[22:23], v[20:21] offset0:53 offset1:54
	ds_store_b64 v122, v[116:117] offset:440
.LBB110_144:
	s_or_b32 exec_lo, exec_lo, s0
	s_delay_alu instid0(SALU_CYCLE_1)
	s_mov_b32 s0, exec_lo
	s_wait_storecnt_dscnt 0x0
	s_barrier_signal -1
	s_barrier_wait -1
	v_cmpx_lt_i32_e32 6, v126
	s_cbranch_execz .LBB110_146
; %bb.145:
	v_pk_mul_f32 v[128:129], v[120:121], v[104:105] op_sel:[1,1] op_sel_hi:[0,1]
	s_delay_alu instid0(VALU_DEP_1)
	v_pk_fma_f32 v[118:119], v[120:121], v[104:105], v[128:129] op_sel_hi:[1,0,1] neg_lo:[0,0,1] neg_hi:[0,0,1]
	v_pk_fma_f32 v[120:121], v[120:121], v[104:105], v[128:129] op_sel_hi:[1,0,1]
	ds_load_2addr_b64 v[128:131], v122 offset0:7 offset1:8
	v_dual_mov_b32 v104, v118 :: v_dual_mov_b32 v105, v121
	s_wait_dscnt 0x0
	v_pk_mul_f32 v[132:133], v[128:129], v[120:121] op_sel:[0,1]
	s_delay_alu instid0(VALU_DEP_1) | instskip(SKIP_1) | instid1(VALU_DEP_1)
	v_pk_fma_f32 v[134:135], v[128:129], v[118:119], v[132:133] op_sel:[0,0,1] op_sel_hi:[1,1,0] neg_lo:[0,0,1] neg_hi:[0,0,1]
	v_pk_fma_f32 v[128:129], v[128:129], v[118:119], v[132:133] op_sel:[0,0,1] op_sel_hi:[1,0,0]
	v_mov_b32_e32 v135, v129
	v_pk_mul_f32 v[128:129], v[130:131], v[120:121] op_sel:[0,1]
	s_delay_alu instid0(VALU_DEP_1) | instskip(SKIP_1) | instid1(VALU_DEP_1)
	v_pk_fma_f32 v[132:133], v[130:131], v[118:119], v[128:129] op_sel:[0,0,1] op_sel_hi:[1,1,0] neg_lo:[0,0,1] neg_hi:[0,0,1]
	v_pk_fma_f32 v[128:129], v[130:131], v[118:119], v[128:129] op_sel:[0,0,1] op_sel_hi:[1,0,0]
	v_mov_b32_e32 v133, v129
	ds_load_2addr_b64 v[128:131], v122 offset0:9 offset1:10
	v_pk_add_f32 v[40:41], v[40:41], v[134:135] neg_lo:[0,1] neg_hi:[0,1]
	v_pk_add_f32 v[100:101], v[100:101], v[132:133] neg_lo:[0,1] neg_hi:[0,1]
	s_wait_dscnt 0x0
	v_pk_mul_f32 v[132:133], v[128:129], v[120:121] op_sel:[0,1]
	s_delay_alu instid0(VALU_DEP_1) | instskip(SKIP_2) | instid1(VALU_DEP_2)
	v_pk_fma_f32 v[134:135], v[128:129], v[118:119], v[132:133] op_sel:[0,0,1] op_sel_hi:[1,1,0] neg_lo:[0,0,1] neg_hi:[0,0,1]
	v_pk_fma_f32 v[128:129], v[128:129], v[118:119], v[132:133] op_sel:[0,0,1] op_sel_hi:[1,0,0]
	v_dual_mul_f32 v132, v131, v121 :: v_dual_mov_b32 v128, v131
	v_dual_mov_b32 v135, v129 :: v_dual_mov_b32 v129, v130
	s_delay_alu instid0(VALU_DEP_2) | instskip(SKIP_1) | instid1(VALU_DEP_3)
	v_pk_fma_f32 v[132:133], v[130:131], v[104:105], v[132:133] op_sel_hi:[1,1,0] neg_lo:[0,0,1] neg_hi:[0,0,1]
	v_mul_f32_e32 v130, v131, v118
	v_pk_add_f32 v[96:97], v[96:97], v[134:135] neg_lo:[0,1] neg_hi:[0,1]
	s_delay_alu instid0(VALU_DEP_2) | instskip(NEXT) | instid1(VALU_DEP_1)
	v_pk_fma_f32 v[128:129], v[128:129], v[104:105], v[130:131] op_sel_hi:[1,1,0]
	v_mov_b32_e32 v133, v129
	ds_load_2addr_b64 v[128:131], v122 offset0:11 offset1:12
	v_pk_add_f32 v[98:99], v[98:99], v[132:133] neg_lo:[0,1] neg_hi:[0,1]
	s_wait_dscnt 0x0
	v_pk_mul_f32 v[132:133], v[128:129], v[120:121] op_sel:[0,1]
	s_delay_alu instid0(VALU_DEP_1) | instskip(SKIP_1) | instid1(VALU_DEP_1)
	v_pk_fma_f32 v[134:135], v[128:129], v[118:119], v[132:133] op_sel:[0,0,1] op_sel_hi:[1,1,0] neg_lo:[0,0,1] neg_hi:[0,0,1]
	v_pk_fma_f32 v[128:129], v[128:129], v[118:119], v[132:133] op_sel:[0,0,1] op_sel_hi:[1,0,0]
	v_mov_b32_e32 v135, v129
	v_pk_mul_f32 v[128:129], v[130:131], v[120:121] op_sel:[0,1]
	s_delay_alu instid0(VALU_DEP_1) | instskip(SKIP_1) | instid1(VALU_DEP_1)
	v_pk_fma_f32 v[132:133], v[130:131], v[118:119], v[128:129] op_sel:[0,0,1] op_sel_hi:[1,1,0] neg_lo:[0,0,1] neg_hi:[0,0,1]
	v_pk_fma_f32 v[128:129], v[130:131], v[118:119], v[128:129] op_sel:[0,0,1] op_sel_hi:[1,0,0]
	v_mov_b32_e32 v133, v129
	ds_load_2addr_b64 v[128:131], v122 offset0:13 offset1:14
	v_pk_add_f32 v[38:39], v[38:39], v[134:135] neg_lo:[0,1] neg_hi:[0,1]
	v_pk_add_f32 v[94:95], v[94:95], v[132:133] neg_lo:[0,1] neg_hi:[0,1]
	s_wait_dscnt 0x0
	v_pk_mul_f32 v[132:133], v[128:129], v[120:121] op_sel:[0,1]
	s_delay_alu instid0(VALU_DEP_1) | instskip(SKIP_1) | instid1(VALU_DEP_1)
	v_pk_fma_f32 v[134:135], v[128:129], v[118:119], v[132:133] op_sel:[0,0,1] op_sel_hi:[1,1,0] neg_lo:[0,0,1] neg_hi:[0,0,1]
	v_pk_fma_f32 v[128:129], v[128:129], v[118:119], v[132:133] op_sel:[0,0,1] op_sel_hi:[1,0,0]
	v_mov_b32_e32 v135, v129
	v_pk_mul_f32 v[128:129], v[130:131], v[120:121] op_sel:[0,1]
	s_delay_alu instid0(VALU_DEP_1) | instskip(SKIP_1) | instid1(VALU_DEP_1)
	v_pk_fma_f32 v[132:133], v[130:131], v[118:119], v[128:129] op_sel:[0,0,1] op_sel_hi:[1,1,0] neg_lo:[0,0,1] neg_hi:[0,0,1]
	v_pk_fma_f32 v[128:129], v[130:131], v[118:119], v[128:129] op_sel:[0,0,1] op_sel_hi:[1,0,0]
	v_mov_b32_e32 v133, v129
	ds_load_2addr_b64 v[128:131], v122 offset0:15 offset1:16
	v_pk_add_f32 v[90:91], v[90:91], v[134:135] neg_lo:[0,1] neg_hi:[0,1]
	v_pk_add_f32 v[92:93], v[92:93], v[132:133] neg_lo:[0,1] neg_hi:[0,1]
	s_wait_dscnt 0x0
	v_dual_mul_f32 v132, v129, v121 :: v_dual_mul_f32 v134, v129, v118
	s_delay_alu instid0(VALU_DEP_1) | instskip(NEXT) | instid1(VALU_DEP_2)
	v_pk_fma_f32 v[132:133], v[128:129], v[104:105], v[132:133] op_sel_hi:[1,1,0] neg_lo:[0,0,1] neg_hi:[0,0,1]
	v_pk_fma_f32 v[128:129], v[128:129], v[104:105], v[134:135] op_sel:[1,0,0] op_sel_hi:[0,1,0]
	s_delay_alu instid0(VALU_DEP_1) | instskip(SKIP_1) | instid1(VALU_DEP_2)
	v_mov_b32_e32 v133, v129
	v_pk_mul_f32 v[128:129], v[130:131], v[120:121] op_sel:[0,1]
	v_pk_add_f32 v[36:37], v[36:37], v[132:133] neg_lo:[0,1] neg_hi:[0,1]
	s_delay_alu instid0(VALU_DEP_2) | instskip(SKIP_1) | instid1(VALU_DEP_1)
	v_pk_fma_f32 v[132:133], v[130:131], v[118:119], v[128:129] op_sel:[0,0,1] op_sel_hi:[1,1,0] neg_lo:[0,0,1] neg_hi:[0,0,1]
	v_pk_fma_f32 v[128:129], v[130:131], v[118:119], v[128:129] op_sel:[0,0,1] op_sel_hi:[1,0,0]
	v_mov_b32_e32 v133, v129
	ds_load_2addr_b64 v[128:131], v122 offset0:17 offset1:18
	v_pk_add_f32 v[88:89], v[88:89], v[132:133] neg_lo:[0,1] neg_hi:[0,1]
	s_wait_dscnt 0x0
	v_pk_mul_f32 v[132:133], v[128:129], v[120:121] op_sel:[0,1]
	s_delay_alu instid0(VALU_DEP_1) | instskip(SKIP_1) | instid1(VALU_DEP_1)
	v_pk_fma_f32 v[134:135], v[128:129], v[118:119], v[132:133] op_sel:[0,0,1] op_sel_hi:[1,1,0] neg_lo:[0,0,1] neg_hi:[0,0,1]
	v_pk_fma_f32 v[128:129], v[128:129], v[118:119], v[132:133] op_sel:[0,0,1] op_sel_hi:[1,0,0]
	v_mov_b32_e32 v135, v129
	v_pk_mul_f32 v[128:129], v[130:131], v[120:121] op_sel:[0,1]
	s_delay_alu instid0(VALU_DEP_2) | instskip(NEXT) | instid1(VALU_DEP_2)
	v_pk_add_f32 v[84:85], v[84:85], v[134:135] neg_lo:[0,1] neg_hi:[0,1]
	v_pk_fma_f32 v[132:133], v[130:131], v[118:119], v[128:129] op_sel:[0,0,1] op_sel_hi:[1,1,0] neg_lo:[0,0,1] neg_hi:[0,0,1]
	v_pk_fma_f32 v[128:129], v[130:131], v[118:119], v[128:129] op_sel:[0,0,1] op_sel_hi:[1,0,0]
	s_delay_alu instid0(VALU_DEP_1) | instskip(SKIP_4) | instid1(VALU_DEP_1)
	v_mov_b32_e32 v133, v129
	ds_load_2addr_b64 v[128:131], v122 offset0:19 offset1:20
	v_pk_add_f32 v[86:87], v[86:87], v[132:133] neg_lo:[0,1] neg_hi:[0,1]
	s_wait_dscnt 0x0
	v_pk_mul_f32 v[132:133], v[128:129], v[120:121] op_sel:[0,1]
	v_pk_fma_f32 v[134:135], v[128:129], v[118:119], v[132:133] op_sel:[0,0,1] op_sel_hi:[1,1,0] neg_lo:[0,0,1] neg_hi:[0,0,1]
	v_pk_fma_f32 v[128:129], v[128:129], v[118:119], v[132:133] op_sel:[0,0,1] op_sel_hi:[1,0,0]
	v_dual_mul_f32 v132, v131, v121 :: v_dual_mov_b32 v128, v131
	s_delay_alu instid0(VALU_DEP_2) | instskip(NEXT) | instid1(VALU_DEP_2)
	v_dual_mov_b32 v135, v129 :: v_dual_mov_b32 v129, v130
	v_pk_fma_f32 v[132:133], v[130:131], v[104:105], v[132:133] op_sel_hi:[1,1,0] neg_lo:[0,0,1] neg_hi:[0,0,1]
	v_mul_f32_e32 v130, v131, v118
	s_delay_alu instid0(VALU_DEP_3) | instskip(NEXT) | instid1(VALU_DEP_2)
	v_pk_add_f32 v[30:31], v[30:31], v[134:135] neg_lo:[0,1] neg_hi:[0,1]
	v_pk_fma_f32 v[128:129], v[128:129], v[104:105], v[130:131] op_sel_hi:[1,1,0]
	s_delay_alu instid0(VALU_DEP_1) | instskip(SKIP_4) | instid1(VALU_DEP_1)
	v_mov_b32_e32 v133, v129
	ds_load_2addr_b64 v[128:131], v122 offset0:21 offset1:22
	v_pk_add_f32 v[82:83], v[82:83], v[132:133] neg_lo:[0,1] neg_hi:[0,1]
	s_wait_dscnt 0x0
	v_pk_mul_f32 v[132:133], v[128:129], v[120:121] op_sel:[0,1]
	v_pk_fma_f32 v[134:135], v[128:129], v[118:119], v[132:133] op_sel:[0,0,1] op_sel_hi:[1,1,0] neg_lo:[0,0,1] neg_hi:[0,0,1]
	v_pk_fma_f32 v[128:129], v[128:129], v[118:119], v[132:133] op_sel:[0,0,1] op_sel_hi:[1,0,0]
	s_delay_alu instid0(VALU_DEP_1) | instskip(SKIP_1) | instid1(VALU_DEP_1)
	v_mov_b32_e32 v135, v129
	v_pk_mul_f32 v[128:129], v[130:131], v[120:121] op_sel:[0,1]
	v_pk_fma_f32 v[132:133], v[130:131], v[118:119], v[128:129] op_sel:[0,0,1] op_sel_hi:[1,1,0] neg_lo:[0,0,1] neg_hi:[0,0,1]
	v_pk_fma_f32 v[128:129], v[130:131], v[118:119], v[128:129] op_sel:[0,0,1] op_sel_hi:[1,0,0]
	s_delay_alu instid0(VALU_DEP_1)
	v_mov_b32_e32 v133, v129
	ds_load_2addr_b64 v[128:131], v122 offset0:23 offset1:24
	v_pk_add_f32 v[78:79], v[78:79], v[134:135] neg_lo:[0,1] neg_hi:[0,1]
	v_pk_add_f32 v[80:81], v[80:81], v[132:133] neg_lo:[0,1] neg_hi:[0,1]
	s_wait_dscnt 0x0
	v_pk_mul_f32 v[132:133], v[128:129], v[120:121] op_sel:[0,1]
	s_delay_alu instid0(VALU_DEP_1) | instskip(SKIP_1) | instid1(VALU_DEP_1)
	v_pk_fma_f32 v[134:135], v[128:129], v[118:119], v[132:133] op_sel:[0,0,1] op_sel_hi:[1,1,0] neg_lo:[0,0,1] neg_hi:[0,0,1]
	v_pk_fma_f32 v[128:129], v[128:129], v[118:119], v[132:133] op_sel:[0,0,1] op_sel_hi:[1,0,0]
	v_mov_b32_e32 v135, v129
	v_pk_mul_f32 v[128:129], v[130:131], v[120:121] op_sel:[0,1]
	s_delay_alu instid0(VALU_DEP_1) | instskip(SKIP_1) | instid1(VALU_DEP_1)
	v_pk_fma_f32 v[132:133], v[130:131], v[118:119], v[128:129] op_sel:[0,0,1] op_sel_hi:[1,1,0] neg_lo:[0,0,1] neg_hi:[0,0,1]
	v_pk_fma_f32 v[128:129], v[130:131], v[118:119], v[128:129] op_sel:[0,0,1] op_sel_hi:[1,0,0]
	v_mov_b32_e32 v133, v129
	ds_load_2addr_b64 v[128:131], v122 offset0:25 offset1:26
	v_pk_add_f32 v[24:25], v[24:25], v[134:135] neg_lo:[0,1] neg_hi:[0,1]
	v_pk_add_f32 v[76:77], v[76:77], v[132:133] neg_lo:[0,1] neg_hi:[0,1]
	s_wait_dscnt 0x0
	v_dual_mul_f32 v132, v129, v121 :: v_dual_mul_f32 v134, v129, v118
	s_delay_alu instid0(VALU_DEP_1) | instskip(NEXT) | instid1(VALU_DEP_2)
	v_pk_fma_f32 v[132:133], v[128:129], v[104:105], v[132:133] op_sel_hi:[1,1,0] neg_lo:[0,0,1] neg_hi:[0,0,1]
	v_pk_fma_f32 v[128:129], v[128:129], v[104:105], v[134:135] op_sel:[1,0,0] op_sel_hi:[0,1,0]
	s_delay_alu instid0(VALU_DEP_1) | instskip(SKIP_1) | instid1(VALU_DEP_2)
	v_mov_b32_e32 v133, v129
	v_pk_mul_f32 v[128:129], v[130:131], v[120:121] op_sel:[0,1]
	v_pk_add_f32 v[72:73], v[72:73], v[132:133] neg_lo:[0,1] neg_hi:[0,1]
	s_delay_alu instid0(VALU_DEP_2) | instskip(SKIP_1) | instid1(VALU_DEP_1)
	v_pk_fma_f32 v[132:133], v[130:131], v[118:119], v[128:129] op_sel:[0,0,1] op_sel_hi:[1,1,0] neg_lo:[0,0,1] neg_hi:[0,0,1]
	v_pk_fma_f32 v[128:129], v[130:131], v[118:119], v[128:129] op_sel:[0,0,1] op_sel_hi:[1,0,0]
	v_mov_b32_e32 v133, v129
	ds_load_2addr_b64 v[128:131], v122 offset0:27 offset1:28
	v_pk_add_f32 v[74:75], v[74:75], v[132:133] neg_lo:[0,1] neg_hi:[0,1]
	s_wait_dscnt 0x0
	v_pk_mul_f32 v[132:133], v[128:129], v[120:121] op_sel:[0,1]
	s_delay_alu instid0(VALU_DEP_1) | instskip(SKIP_1) | instid1(VALU_DEP_1)
	v_pk_fma_f32 v[134:135], v[128:129], v[118:119], v[132:133] op_sel:[0,0,1] op_sel_hi:[1,1,0] neg_lo:[0,0,1] neg_hi:[0,0,1]
	v_pk_fma_f32 v[128:129], v[128:129], v[118:119], v[132:133] op_sel:[0,0,1] op_sel_hi:[1,0,0]
	v_mov_b32_e32 v135, v129
	v_pk_mul_f32 v[128:129], v[130:131], v[120:121] op_sel:[0,1]
	s_delay_alu instid0(VALU_DEP_2) | instskip(NEXT) | instid1(VALU_DEP_2)
	v_pk_add_f32 v[18:19], v[18:19], v[134:135] neg_lo:[0,1] neg_hi:[0,1]
	v_pk_fma_f32 v[132:133], v[130:131], v[118:119], v[128:129] op_sel:[0,0,1] op_sel_hi:[1,1,0] neg_lo:[0,0,1] neg_hi:[0,0,1]
	v_pk_fma_f32 v[128:129], v[130:131], v[118:119], v[128:129] op_sel:[0,0,1] op_sel_hi:[1,0,0]
	s_delay_alu instid0(VALU_DEP_1) | instskip(SKIP_4) | instid1(VALU_DEP_1)
	v_mov_b32_e32 v133, v129
	ds_load_2addr_b64 v[128:131], v122 offset0:29 offset1:30
	v_pk_add_f32 v[70:71], v[70:71], v[132:133] neg_lo:[0,1] neg_hi:[0,1]
	s_wait_dscnt 0x0
	v_pk_mul_f32 v[132:133], v[128:129], v[120:121] op_sel:[0,1]
	v_pk_fma_f32 v[134:135], v[128:129], v[118:119], v[132:133] op_sel:[0,0,1] op_sel_hi:[1,1,0] neg_lo:[0,0,1] neg_hi:[0,0,1]
	v_pk_fma_f32 v[128:129], v[128:129], v[118:119], v[132:133] op_sel:[0,0,1] op_sel_hi:[1,0,0]
	v_dual_mul_f32 v132, v131, v121 :: v_dual_mov_b32 v128, v131
	s_delay_alu instid0(VALU_DEP_2) | instskip(NEXT) | instid1(VALU_DEP_2)
	v_dual_mov_b32 v135, v129 :: v_dual_mov_b32 v129, v130
	v_pk_fma_f32 v[132:133], v[130:131], v[104:105], v[132:133] op_sel_hi:[1,1,0] neg_lo:[0,0,1] neg_hi:[0,0,1]
	v_mul_f32_e32 v130, v131, v118
	s_delay_alu instid0(VALU_DEP_3) | instskip(NEXT) | instid1(VALU_DEP_2)
	v_pk_add_f32 v[66:67], v[66:67], v[134:135] neg_lo:[0,1] neg_hi:[0,1]
	v_pk_fma_f32 v[128:129], v[128:129], v[104:105], v[130:131] op_sel_hi:[1,1,0]
	s_delay_alu instid0(VALU_DEP_1) | instskip(SKIP_4) | instid1(VALU_DEP_1)
	v_mov_b32_e32 v133, v129
	ds_load_2addr_b64 v[128:131], v122 offset0:31 offset1:32
	v_pk_add_f32 v[68:69], v[68:69], v[132:133] neg_lo:[0,1] neg_hi:[0,1]
	s_wait_dscnt 0x0
	v_pk_mul_f32 v[132:133], v[128:129], v[120:121] op_sel:[0,1]
	v_pk_fma_f32 v[134:135], v[128:129], v[118:119], v[132:133] op_sel:[0,0,1] op_sel_hi:[1,1,0] neg_lo:[0,0,1] neg_hi:[0,0,1]
	v_pk_fma_f32 v[128:129], v[128:129], v[118:119], v[132:133] op_sel:[0,0,1] op_sel_hi:[1,0,0]
	s_delay_alu instid0(VALU_DEP_1) | instskip(SKIP_1) | instid1(VALU_DEP_1)
	v_mov_b32_e32 v135, v129
	v_pk_mul_f32 v[128:129], v[130:131], v[120:121] op_sel:[0,1]
	v_pk_fma_f32 v[132:133], v[130:131], v[118:119], v[128:129] op_sel:[0,0,1] op_sel_hi:[1,1,0] neg_lo:[0,0,1] neg_hi:[0,0,1]
	v_pk_fma_f32 v[128:129], v[130:131], v[118:119], v[128:129] op_sel:[0,0,1] op_sel_hi:[1,0,0]
	s_delay_alu instid0(VALU_DEP_1)
	v_mov_b32_e32 v133, v129
	ds_load_2addr_b64 v[128:131], v122 offset0:33 offset1:34
	v_pk_add_f32 v[16:17], v[16:17], v[134:135] neg_lo:[0,1] neg_hi:[0,1]
	v_pk_add_f32 v[64:65], v[64:65], v[132:133] neg_lo:[0,1] neg_hi:[0,1]
	s_wait_dscnt 0x0
	v_pk_mul_f32 v[132:133], v[128:129], v[120:121] op_sel:[0,1]
	s_delay_alu instid0(VALU_DEP_1) | instskip(SKIP_1) | instid1(VALU_DEP_1)
	v_pk_fma_f32 v[134:135], v[128:129], v[118:119], v[132:133] op_sel:[0,0,1] op_sel_hi:[1,1,0] neg_lo:[0,0,1] neg_hi:[0,0,1]
	v_pk_fma_f32 v[128:129], v[128:129], v[118:119], v[132:133] op_sel:[0,0,1] op_sel_hi:[1,0,0]
	v_mov_b32_e32 v135, v129
	v_pk_mul_f32 v[128:129], v[130:131], v[120:121] op_sel:[0,1]
	s_delay_alu instid0(VALU_DEP_1) | instskip(SKIP_1) | instid1(VALU_DEP_1)
	v_pk_fma_f32 v[132:133], v[130:131], v[118:119], v[128:129] op_sel:[0,0,1] op_sel_hi:[1,1,0] neg_lo:[0,0,1] neg_hi:[0,0,1]
	v_pk_fma_f32 v[128:129], v[130:131], v[118:119], v[128:129] op_sel:[0,0,1] op_sel_hi:[1,0,0]
	v_mov_b32_e32 v133, v129
	ds_load_2addr_b64 v[128:131], v122 offset0:35 offset1:36
	v_pk_add_f32 v[60:61], v[60:61], v[134:135] neg_lo:[0,1] neg_hi:[0,1]
	v_pk_add_f32 v[62:63], v[62:63], v[132:133] neg_lo:[0,1] neg_hi:[0,1]
	s_wait_dscnt 0x0
	v_dual_mul_f32 v132, v129, v121 :: v_dual_mul_f32 v134, v129, v118
	s_delay_alu instid0(VALU_DEP_1) | instskip(NEXT) | instid1(VALU_DEP_2)
	v_pk_fma_f32 v[132:133], v[128:129], v[104:105], v[132:133] op_sel_hi:[1,1,0] neg_lo:[0,0,1] neg_hi:[0,0,1]
	v_pk_fma_f32 v[128:129], v[128:129], v[104:105], v[134:135] op_sel:[1,0,0] op_sel_hi:[0,1,0]
	s_delay_alu instid0(VALU_DEP_1) | instskip(SKIP_1) | instid1(VALU_DEP_2)
	v_mov_b32_e32 v133, v129
	v_pk_mul_f32 v[128:129], v[130:131], v[120:121] op_sel:[0,1]
	v_pk_add_f32 v[14:15], v[14:15], v[132:133] neg_lo:[0,1] neg_hi:[0,1]
	s_delay_alu instid0(VALU_DEP_2) | instskip(SKIP_1) | instid1(VALU_DEP_1)
	v_pk_fma_f32 v[132:133], v[130:131], v[118:119], v[128:129] op_sel:[0,0,1] op_sel_hi:[1,1,0] neg_lo:[0,0,1] neg_hi:[0,0,1]
	v_pk_fma_f32 v[128:129], v[130:131], v[118:119], v[128:129] op_sel:[0,0,1] op_sel_hi:[1,0,0]
	v_mov_b32_e32 v133, v129
	ds_load_2addr_b64 v[128:131], v122 offset0:37 offset1:38
	v_pk_add_f32 v[58:59], v[58:59], v[132:133] neg_lo:[0,1] neg_hi:[0,1]
	s_wait_dscnt 0x0
	v_pk_mul_f32 v[132:133], v[128:129], v[120:121] op_sel:[0,1]
	s_delay_alu instid0(VALU_DEP_1) | instskip(SKIP_1) | instid1(VALU_DEP_1)
	v_pk_fma_f32 v[134:135], v[128:129], v[118:119], v[132:133] op_sel:[0,0,1] op_sel_hi:[1,1,0] neg_lo:[0,0,1] neg_hi:[0,0,1]
	v_pk_fma_f32 v[128:129], v[128:129], v[118:119], v[132:133] op_sel:[0,0,1] op_sel_hi:[1,0,0]
	v_mov_b32_e32 v135, v129
	v_pk_mul_f32 v[128:129], v[130:131], v[120:121] op_sel:[0,1]
	s_delay_alu instid0(VALU_DEP_2) | instskip(NEXT) | instid1(VALU_DEP_2)
	v_pk_add_f32 v[54:55], v[54:55], v[134:135] neg_lo:[0,1] neg_hi:[0,1]
	v_pk_fma_f32 v[132:133], v[130:131], v[118:119], v[128:129] op_sel:[0,0,1] op_sel_hi:[1,1,0] neg_lo:[0,0,1] neg_hi:[0,0,1]
	v_pk_fma_f32 v[128:129], v[130:131], v[118:119], v[128:129] op_sel:[0,0,1] op_sel_hi:[1,0,0]
	s_delay_alu instid0(VALU_DEP_1) | instskip(SKIP_4) | instid1(VALU_DEP_1)
	v_mov_b32_e32 v133, v129
	ds_load_2addr_b64 v[128:131], v122 offset0:39 offset1:40
	v_pk_add_f32 v[56:57], v[56:57], v[132:133] neg_lo:[0,1] neg_hi:[0,1]
	s_wait_dscnt 0x0
	v_pk_mul_f32 v[132:133], v[128:129], v[120:121] op_sel:[0,1]
	v_pk_fma_f32 v[134:135], v[128:129], v[118:119], v[132:133] op_sel:[0,0,1] op_sel_hi:[1,1,0] neg_lo:[0,0,1] neg_hi:[0,0,1]
	v_pk_fma_f32 v[128:129], v[128:129], v[118:119], v[132:133] op_sel:[0,0,1] op_sel_hi:[1,0,0]
	v_dual_mul_f32 v132, v131, v121 :: v_dual_mov_b32 v128, v131
	s_delay_alu instid0(VALU_DEP_2) | instskip(NEXT) | instid1(VALU_DEP_2)
	v_dual_mov_b32 v135, v129 :: v_dual_mov_b32 v129, v130
	v_pk_fma_f32 v[132:133], v[130:131], v[104:105], v[132:133] op_sel_hi:[1,1,0] neg_lo:[0,0,1] neg_hi:[0,0,1]
	v_mul_f32_e32 v130, v131, v118
	s_delay_alu instid0(VALU_DEP_3) | instskip(NEXT) | instid1(VALU_DEP_2)
	v_pk_add_f32 v[12:13], v[12:13], v[134:135] neg_lo:[0,1] neg_hi:[0,1]
	v_pk_fma_f32 v[128:129], v[128:129], v[104:105], v[130:131] op_sel_hi:[1,1,0]
	s_delay_alu instid0(VALU_DEP_1) | instskip(SKIP_4) | instid1(VALU_DEP_1)
	v_mov_b32_e32 v133, v129
	ds_load_2addr_b64 v[128:131], v122 offset0:41 offset1:42
	v_pk_add_f32 v[52:53], v[52:53], v[132:133] neg_lo:[0,1] neg_hi:[0,1]
	s_wait_dscnt 0x0
	v_pk_mul_f32 v[132:133], v[128:129], v[120:121] op_sel:[0,1]
	v_pk_fma_f32 v[134:135], v[128:129], v[118:119], v[132:133] op_sel:[0,0,1] op_sel_hi:[1,1,0] neg_lo:[0,0,1] neg_hi:[0,0,1]
	v_pk_fma_f32 v[128:129], v[128:129], v[118:119], v[132:133] op_sel:[0,0,1] op_sel_hi:[1,0,0]
	s_delay_alu instid0(VALU_DEP_1) | instskip(SKIP_1) | instid1(VALU_DEP_1)
	v_mov_b32_e32 v135, v129
	v_pk_mul_f32 v[128:129], v[130:131], v[120:121] op_sel:[0,1]
	v_pk_fma_f32 v[132:133], v[130:131], v[118:119], v[128:129] op_sel:[0,0,1] op_sel_hi:[1,1,0] neg_lo:[0,0,1] neg_hi:[0,0,1]
	v_pk_fma_f32 v[128:129], v[130:131], v[118:119], v[128:129] op_sel:[0,0,1] op_sel_hi:[1,0,0]
	s_delay_alu instid0(VALU_DEP_1)
	v_mov_b32_e32 v133, v129
	ds_load_2addr_b64 v[128:131], v122 offset0:43 offset1:44
	v_pk_add_f32 v[48:49], v[48:49], v[134:135] neg_lo:[0,1] neg_hi:[0,1]
	v_pk_add_f32 v[50:51], v[50:51], v[132:133] neg_lo:[0,1] neg_hi:[0,1]
	s_wait_dscnt 0x0
	v_pk_mul_f32 v[132:133], v[128:129], v[120:121] op_sel:[0,1]
	s_delay_alu instid0(VALU_DEP_1) | instskip(SKIP_1) | instid1(VALU_DEP_1)
	v_pk_fma_f32 v[134:135], v[128:129], v[118:119], v[132:133] op_sel:[0,0,1] op_sel_hi:[1,1,0] neg_lo:[0,0,1] neg_hi:[0,0,1]
	v_pk_fma_f32 v[128:129], v[128:129], v[118:119], v[132:133] op_sel:[0,0,1] op_sel_hi:[1,0,0]
	v_mov_b32_e32 v135, v129
	v_pk_mul_f32 v[128:129], v[130:131], v[120:121] op_sel:[0,1]
	s_delay_alu instid0(VALU_DEP_1) | instskip(SKIP_1) | instid1(VALU_DEP_1)
	v_pk_fma_f32 v[132:133], v[130:131], v[118:119], v[128:129] op_sel:[0,0,1] op_sel_hi:[1,1,0] neg_lo:[0,0,1] neg_hi:[0,0,1]
	v_pk_fma_f32 v[128:129], v[130:131], v[118:119], v[128:129] op_sel:[0,0,1] op_sel_hi:[1,0,0]
	v_mov_b32_e32 v133, v129
	ds_load_2addr_b64 v[128:131], v122 offset0:45 offset1:46
	v_pk_add_f32 v[10:11], v[10:11], v[134:135] neg_lo:[0,1] neg_hi:[0,1]
	v_pk_add_f32 v[46:47], v[46:47], v[132:133] neg_lo:[0,1] neg_hi:[0,1]
	s_wait_dscnt 0x0
	v_dual_mul_f32 v132, v129, v121 :: v_dual_mul_f32 v134, v129, v118
	s_delay_alu instid0(VALU_DEP_1) | instskip(NEXT) | instid1(VALU_DEP_2)
	v_pk_fma_f32 v[132:133], v[128:129], v[104:105], v[132:133] op_sel_hi:[1,1,0] neg_lo:[0,0,1] neg_hi:[0,0,1]
	v_pk_fma_f32 v[128:129], v[128:129], v[104:105], v[134:135] op_sel:[1,0,0] op_sel_hi:[0,1,0]
	s_delay_alu instid0(VALU_DEP_1) | instskip(SKIP_1) | instid1(VALU_DEP_2)
	v_mov_b32_e32 v133, v129
	v_pk_mul_f32 v[128:129], v[130:131], v[120:121] op_sel:[0,1]
	v_pk_add_f32 v[42:43], v[42:43], v[132:133] neg_lo:[0,1] neg_hi:[0,1]
	s_delay_alu instid0(VALU_DEP_2) | instskip(SKIP_1) | instid1(VALU_DEP_1)
	v_pk_fma_f32 v[132:133], v[130:131], v[118:119], v[128:129] op_sel:[0,0,1] op_sel_hi:[1,1,0] neg_lo:[0,0,1] neg_hi:[0,0,1]
	v_pk_fma_f32 v[128:129], v[130:131], v[118:119], v[128:129] op_sel:[0,0,1] op_sel_hi:[1,0,0]
	v_mov_b32_e32 v133, v129
	ds_load_2addr_b64 v[128:131], v122 offset0:47 offset1:48
	v_pk_add_f32 v[44:45], v[44:45], v[132:133] neg_lo:[0,1] neg_hi:[0,1]
	s_wait_dscnt 0x0
	v_pk_mul_f32 v[132:133], v[128:129], v[120:121] op_sel:[0,1]
	s_delay_alu instid0(VALU_DEP_1) | instskip(SKIP_1) | instid1(VALU_DEP_1)
	v_pk_fma_f32 v[134:135], v[128:129], v[118:119], v[132:133] op_sel:[0,0,1] op_sel_hi:[1,1,0] neg_lo:[0,0,1] neg_hi:[0,0,1]
	v_pk_fma_f32 v[128:129], v[128:129], v[118:119], v[132:133] op_sel:[0,0,1] op_sel_hi:[1,0,0]
	v_mov_b32_e32 v135, v129
	v_pk_mul_f32 v[128:129], v[130:131], v[120:121] op_sel:[0,1]
	s_delay_alu instid0(VALU_DEP_2) | instskip(NEXT) | instid1(VALU_DEP_2)
	v_pk_add_f32 v[6:7], v[6:7], v[134:135] neg_lo:[0,1] neg_hi:[0,1]
	v_pk_fma_f32 v[132:133], v[130:131], v[118:119], v[128:129] op_sel:[0,0,1] op_sel_hi:[1,1,0] neg_lo:[0,0,1] neg_hi:[0,0,1]
	v_pk_fma_f32 v[128:129], v[130:131], v[118:119], v[128:129] op_sel:[0,0,1] op_sel_hi:[1,0,0]
	s_delay_alu instid0(VALU_DEP_1) | instskip(SKIP_4) | instid1(VALU_DEP_1)
	v_mov_b32_e32 v133, v129
	ds_load_2addr_b64 v[128:131], v122 offset0:49 offset1:50
	v_pk_add_f32 v[34:35], v[34:35], v[132:133] neg_lo:[0,1] neg_hi:[0,1]
	s_wait_dscnt 0x0
	v_pk_mul_f32 v[132:133], v[128:129], v[120:121] op_sel:[0,1]
	v_pk_fma_f32 v[134:135], v[128:129], v[118:119], v[132:133] op_sel:[0,0,1] op_sel_hi:[1,1,0] neg_lo:[0,0,1] neg_hi:[0,0,1]
	v_pk_fma_f32 v[128:129], v[128:129], v[118:119], v[132:133] op_sel:[0,0,1] op_sel_hi:[1,0,0]
	v_dual_mul_f32 v132, v131, v121 :: v_dual_mov_b32 v128, v131
	s_delay_alu instid0(VALU_DEP_2) | instskip(NEXT) | instid1(VALU_DEP_2)
	v_dual_mov_b32 v135, v129 :: v_dual_mov_b32 v129, v130
	v_pk_fma_f32 v[132:133], v[130:131], v[104:105], v[132:133] op_sel_hi:[1,1,0] neg_lo:[0,0,1] neg_hi:[0,0,1]
	v_mul_f32_e32 v130, v131, v118
	s_delay_alu instid0(VALU_DEP_3) | instskip(NEXT) | instid1(VALU_DEP_2)
	v_pk_add_f32 v[28:29], v[28:29], v[134:135] neg_lo:[0,1] neg_hi:[0,1]
	v_pk_fma_f32 v[128:129], v[128:129], v[104:105], v[130:131] op_sel_hi:[1,1,0]
	s_delay_alu instid0(VALU_DEP_1) | instskip(SKIP_4) | instid1(VALU_DEP_1)
	v_mov_b32_e32 v133, v129
	ds_load_2addr_b64 v[128:131], v122 offset0:51 offset1:52
	v_pk_add_f32 v[32:33], v[32:33], v[132:133] neg_lo:[0,1] neg_hi:[0,1]
	s_wait_dscnt 0x0
	v_pk_mul_f32 v[132:133], v[128:129], v[120:121] op_sel:[0,1]
	v_pk_fma_f32 v[134:135], v[128:129], v[118:119], v[132:133] op_sel:[0,0,1] op_sel_hi:[1,1,0] neg_lo:[0,0,1] neg_hi:[0,0,1]
	v_pk_fma_f32 v[128:129], v[128:129], v[118:119], v[132:133] op_sel:[0,0,1] op_sel_hi:[1,0,0]
	s_delay_alu instid0(VALU_DEP_1) | instskip(SKIP_1) | instid1(VALU_DEP_1)
	v_mov_b32_e32 v135, v129
	v_pk_mul_f32 v[128:129], v[130:131], v[120:121] op_sel:[0,1]
	v_pk_fma_f32 v[132:133], v[130:131], v[118:119], v[128:129] op_sel:[0,0,1] op_sel_hi:[1,1,0] neg_lo:[0,0,1] neg_hi:[0,0,1]
	v_pk_fma_f32 v[128:129], v[130:131], v[118:119], v[128:129] op_sel:[0,0,1] op_sel_hi:[1,0,0]
	s_delay_alu instid0(VALU_DEP_1)
	v_mov_b32_e32 v133, v129
	ds_load_2addr_b64 v[128:131], v122 offset0:53 offset1:54
	v_pk_add_f32 v[8:9], v[8:9], v[134:135] neg_lo:[0,1] neg_hi:[0,1]
	v_pk_add_f32 v[26:27], v[26:27], v[132:133] neg_lo:[0,1] neg_hi:[0,1]
	s_wait_dscnt 0x0
	v_pk_mul_f32 v[132:133], v[128:129], v[120:121] op_sel:[0,1]
	s_delay_alu instid0(VALU_DEP_1) | instskip(SKIP_1) | instid1(VALU_DEP_1)
	v_pk_fma_f32 v[134:135], v[128:129], v[118:119], v[132:133] op_sel:[0,0,1] op_sel_hi:[1,1,0] neg_lo:[0,0,1] neg_hi:[0,0,1]
	v_pk_fma_f32 v[128:129], v[128:129], v[118:119], v[132:133] op_sel:[0,0,1] op_sel_hi:[1,0,0]
	v_mov_b32_e32 v135, v129
	v_pk_mul_f32 v[128:129], v[130:131], v[120:121] op_sel:[0,1]
	s_delay_alu instid0(VALU_DEP_1) | instskip(SKIP_1) | instid1(VALU_DEP_1)
	v_pk_fma_f32 v[132:133], v[130:131], v[118:119], v[128:129] op_sel:[0,0,1] op_sel_hi:[1,1,0] neg_lo:[0,0,1] neg_hi:[0,0,1]
	v_pk_fma_f32 v[128:129], v[130:131], v[118:119], v[128:129] op_sel:[0,0,1] op_sel_hi:[1,0,0]
	v_mov_b32_e32 v133, v129
	ds_load_b64 v[128:129], v122 offset:440
	v_pk_add_f32 v[22:23], v[22:23], v[134:135] neg_lo:[0,1] neg_hi:[0,1]
	v_pk_add_f32 v[20:21], v[20:21], v[132:133] neg_lo:[0,1] neg_hi:[0,1]
	s_wait_dscnt 0x0
	v_pk_mul_f32 v[120:121], v[128:129], v[120:121] op_sel:[0,1]
	s_delay_alu instid0(VALU_DEP_1) | instskip(SKIP_1) | instid1(VALU_DEP_1)
	v_pk_fma_f32 v[130:131], v[128:129], v[118:119], v[120:121] op_sel:[0,0,1] op_sel_hi:[1,1,0] neg_lo:[0,0,1] neg_hi:[0,0,1]
	v_pk_fma_f32 v[118:119], v[128:129], v[118:119], v[120:121] op_sel:[0,0,1] op_sel_hi:[1,0,0]
	v_mov_b32_e32 v131, v119
	s_delay_alu instid0(VALU_DEP_1)
	v_pk_add_f32 v[116:117], v[116:117], v[130:131] neg_lo:[0,1] neg_hi:[0,1]
.LBB110_146:
	s_or_b32 exec_lo, exec_lo, s0
	v_lshl_add_u32 v118, v126, 3, v122
	s_barrier_signal -1
	s_barrier_wait -1
	ds_store_b64 v118, v[40:41]
	s_wait_dscnt 0x0
	s_barrier_signal -1
	s_barrier_wait -1
	ds_load_b64 v[120:121], v122 offset:56
	v_mov_b32_e32 v118, 7
	s_cmp_lt_i32 s18, 9
	s_cbranch_scc1 .LBB110_149
; %bb.147:
	v_add3_u32 v119, v123, 0, 64
	v_mov_b32_e32 v118, 7
	s_mov_b32 s0, 8
.LBB110_148:                            ; =>This Inner Loop Header: Depth=1
	ds_load_b64 v[128:129], v119
	s_wait_dscnt 0x1
	v_cmp_gt_f32_e32 vcc_lo, 0, v120
	v_cndmask_b32_e64 v130, v120, -v120, vcc_lo
	v_cmp_gt_f32_e32 vcc_lo, 0, v121
	v_cndmask_b32_e64 v132, v121, -v121, vcc_lo
	s_wait_dscnt 0x0
	v_cmp_gt_f32_e32 vcc_lo, 0, v128
	v_cndmask_b32_e64 v131, v128, -v128, vcc_lo
	v_cmp_gt_f32_e32 vcc_lo, 0, v129
	v_cndmask_b32_e64 v133, v129, -v129, vcc_lo
	s_delay_alu instid0(VALU_DEP_1) | instskip(NEXT) | instid1(VALU_DEP_1)
	v_pk_add_f32 v[130:131], v[130:131], v[132:133]
	v_cmp_lt_f32_e32 vcc_lo, v130, v131
	v_dual_add_nc_u32 v119, 8, v119 :: v_dual_cndmask_b32 v121, v121, v129, vcc_lo
	v_cndmask_b32_e32 v120, v120, v128, vcc_lo
	v_cndmask_b32_e64 v118, v118, s0, vcc_lo
	s_add_co_i32 s0, s0, 1
	s_delay_alu instid0(SALU_CYCLE_1)
	s_cmp_lg_u32 s18, s0
	s_cbranch_scc1 .LBB110_148
.LBB110_149:
	s_wait_dscnt 0x0
	v_cmp_eq_f32_e32 vcc_lo, 0, v120
	v_cmp_eq_f32_e64 s0, 0, v121
	s_and_b32 s0, vcc_lo, s0
	s_delay_alu instid0(SALU_CYCLE_1) | instskip(NEXT) | instid1(SALU_CYCLE_1)
	s_and_saveexec_b32 s1, s0
	s_xor_b32 s0, exec_lo, s1
; %bb.150:
	v_cmp_ne_u32_e32 vcc_lo, 0, v124
	v_cndmask_b32_e32 v124, 8, v124, vcc_lo
; %bb.151:
	s_and_not1_saveexec_b32 s0, s0
	s_cbranch_execz .LBB110_157
; %bb.152:
	v_cmp_ngt_f32_e64 s1, |v120|, |v121|
	s_and_saveexec_b32 s12, s1
	s_delay_alu instid0(SALU_CYCLE_1)
	s_xor_b32 s1, exec_lo, s12
	s_cbranch_execz .LBB110_154
; %bb.153:
	v_div_scale_f32 v119, null, v121, v121, v120
	v_div_scale_f32 v129, vcc_lo, v120, v121, v120
	s_delay_alu instid0(VALU_DEP_2) | instskip(SKIP_1) | instid1(TRANS32_DEP_1)
	v_rcp_f32_e32 v127, v119
	v_nop
	v_fma_f32 v128, -v119, v127, 1.0
	s_delay_alu instid0(VALU_DEP_1) | instskip(NEXT) | instid1(VALU_DEP_1)
	v_fmac_f32_e32 v127, v128, v127
	v_mul_f32_e32 v128, v129, v127
	s_delay_alu instid0(VALU_DEP_1) | instskip(NEXT) | instid1(VALU_DEP_1)
	v_fma_f32 v130, -v119, v128, v129
	v_fmac_f32_e32 v128, v130, v127
	s_delay_alu instid0(VALU_DEP_1) | instskip(NEXT) | instid1(VALU_DEP_1)
	v_fma_f32 v119, -v119, v128, v129
	v_div_fmas_f32 v119, v119, v127, v128
	s_delay_alu instid0(VALU_DEP_1) | instskip(NEXT) | instid1(VALU_DEP_1)
	v_div_fixup_f32 v119, v119, v121, v120
	v_fmac_f32_e32 v121, v120, v119
	s_delay_alu instid0(VALU_DEP_1) | instskip(SKIP_1) | instid1(VALU_DEP_2)
	v_div_scale_f32 v120, null, v121, v121, 1.0
	v_div_scale_f32 v129, vcc_lo, 1.0, v121, 1.0
	v_rcp_f32_e32 v127, v120
	v_nop
	s_delay_alu instid0(TRANS32_DEP_1) | instskip(NEXT) | instid1(VALU_DEP_1)
	v_fma_f32 v128, -v120, v127, 1.0
	v_fmac_f32_e32 v127, v128, v127
	s_delay_alu instid0(VALU_DEP_1) | instskip(NEXT) | instid1(VALU_DEP_1)
	v_mul_f32_e32 v128, v129, v127
	v_fma_f32 v130, -v120, v128, v129
	s_delay_alu instid0(VALU_DEP_1) | instskip(NEXT) | instid1(VALU_DEP_1)
	v_fmac_f32_e32 v128, v130, v127
	v_fma_f32 v120, -v120, v128, v129
	s_delay_alu instid0(VALU_DEP_1) | instskip(NEXT) | instid1(VALU_DEP_1)
	v_div_fmas_f32 v120, v120, v127, v128
	v_div_fixup_f32 v121, v120, v121, 1.0
	s_delay_alu instid0(VALU_DEP_1)
	v_mul_f32_e32 v120, v119, v121
	v_xor_b32_e32 v121, 0x80000000, v121
.LBB110_154:
	s_and_not1_saveexec_b32 s1, s1
	s_cbranch_execz .LBB110_156
; %bb.155:
	s_delay_alu instid0(VALU_DEP_1) | instskip(SKIP_1) | instid1(VALU_DEP_2)
	v_div_scale_f32 v119, null, v120, v120, v121
	v_div_scale_f32 v129, vcc_lo, v121, v120, v121
	v_rcp_f32_e32 v127, v119
	v_nop
	s_delay_alu instid0(TRANS32_DEP_1) | instskip(NEXT) | instid1(VALU_DEP_1)
	v_fma_f32 v128, -v119, v127, 1.0
	v_fmac_f32_e32 v127, v128, v127
	s_delay_alu instid0(VALU_DEP_1) | instskip(NEXT) | instid1(VALU_DEP_1)
	v_mul_f32_e32 v128, v129, v127
	v_fma_f32 v130, -v119, v128, v129
	s_delay_alu instid0(VALU_DEP_1) | instskip(NEXT) | instid1(VALU_DEP_1)
	v_fmac_f32_e32 v128, v130, v127
	v_fma_f32 v119, -v119, v128, v129
	s_delay_alu instid0(VALU_DEP_1) | instskip(NEXT) | instid1(VALU_DEP_1)
	v_div_fmas_f32 v119, v119, v127, v128
	v_div_fixup_f32 v119, v119, v120, v121
	s_delay_alu instid0(VALU_DEP_1) | instskip(NEXT) | instid1(VALU_DEP_1)
	v_fmac_f32_e32 v120, v121, v119
	v_div_scale_f32 v121, null, v120, v120, 1.0
	s_delay_alu instid0(VALU_DEP_1) | instskip(SKIP_1) | instid1(TRANS32_DEP_1)
	v_rcp_f32_e32 v127, v121
	v_nop
	v_fma_f32 v128, -v121, v127, 1.0
	s_delay_alu instid0(VALU_DEP_1) | instskip(SKIP_1) | instid1(VALU_DEP_1)
	v_fmac_f32_e32 v127, v128, v127
	v_div_scale_f32 v128, vcc_lo, 1.0, v120, 1.0
	v_mul_f32_e32 v129, v128, v127
	s_delay_alu instid0(VALU_DEP_1) | instskip(NEXT) | instid1(VALU_DEP_1)
	v_fma_f32 v130, -v121, v129, v128
	v_fmac_f32_e32 v129, v130, v127
	s_delay_alu instid0(VALU_DEP_1) | instskip(NEXT) | instid1(VALU_DEP_1)
	v_fma_f32 v121, -v121, v129, v128
	v_div_fmas_f32 v121, v121, v127, v129
	s_delay_alu instid0(VALU_DEP_1) | instskip(NEXT) | instid1(VALU_DEP_1)
	v_div_fixup_f32 v120, v121, v120, 1.0
	v_mul_f32_e64 v121, v119, -v120
.LBB110_156:
	s_or_b32 exec_lo, exec_lo, s1
.LBB110_157:
	s_delay_alu instid0(SALU_CYCLE_1) | instskip(NEXT) | instid1(SALU_CYCLE_1)
	s_or_b32 exec_lo, exec_lo, s0
	s_mov_b32 s0, exec_lo
	v_cmpx_ne_u32_e64 v126, v118
	s_xor_b32 s0, exec_lo, s0
	s_cbranch_execz .LBB110_163
; %bb.158:
	s_mov_b32 s1, exec_lo
	v_cmpx_eq_u32_e32 7, v126
	s_cbranch_execz .LBB110_162
; %bb.159:
	v_cmp_ne_u32_e32 vcc_lo, 7, v118
	s_xor_b32 s12, s16, -1
	s_delay_alu instid0(SALU_CYCLE_1) | instskip(NEXT) | instid1(SALU_CYCLE_1)
	s_and_b32 s13, s12, vcc_lo
	s_and_saveexec_b32 s12, s13
	s_cbranch_execz .LBB110_161
; %bb.160:
	v_ashrrev_i32_e32 v119, 31, v118
	s_delay_alu instid0(VALU_DEP_1)
	v_lshl_add_u64 v[126:127], v[118:119], 2, v[4:5]
	s_clause 0x1
	global_load_b32 v119, v[126:127], off
	global_load_b32 v125, v[4:5], off offset:28
	s_wait_loadcnt 0x1
	global_store_b32 v[4:5], v119, off offset:28
	s_wait_loadcnt 0x0
	global_store_b32 v[126:127], v125, off
.LBB110_161:
	s_wait_xcnt 0x0
	s_or_b32 exec_lo, exec_lo, s12
	v_dual_mov_b32 v126, v118 :: v_dual_mov_b32 v125, v118
.LBB110_162:
	s_or_b32 exec_lo, exec_lo, s1
.LBB110_163:
	s_and_not1_saveexec_b32 s0, s0
	s_cbranch_execz .LBB110_165
; %bb.164:
	v_dual_mov_b32 v118, v100 :: v_dual_mov_b32 v119, v101
	v_dual_mov_b32 v126, v96 :: v_dual_mov_b32 v127, v97
	ds_store_2addr_b64 v122, v[118:119], v[126:127] offset0:8 offset1:9
	v_dual_mov_b32 v118, v98 :: v_dual_mov_b32 v119, v99
	v_dual_mov_b32 v126, v38 :: v_dual_mov_b32 v127, v39
	ds_store_2addr_b64 v122, v[118:119], v[126:127] offset0:10 offset1:11
	;; [unrolled: 3-line block ×23, first 2 shown]
	v_dual_mov_b32 v118, v20 :: v_dual_mov_b32 v119, v21
	v_mov_b32_e32 v126, 7
	ds_store_2addr_b64 v122, v[118:119], v[116:117] offset0:54 offset1:55
.LBB110_165:
	s_or_b32 exec_lo, exec_lo, s0
	s_delay_alu instid0(SALU_CYCLE_1)
	s_mov_b32 s0, exec_lo
	s_wait_storecnt_dscnt 0x0
	s_barrier_signal -1
	s_barrier_wait -1
	v_cmpx_lt_i32_e32 7, v126
	s_cbranch_execz .LBB110_167
; %bb.166:
	v_pk_mul_f32 v[128:129], v[120:121], v[40:41] op_sel:[1,1] op_sel_hi:[0,1]
	s_delay_alu instid0(VALU_DEP_1)
	v_pk_fma_f32 v[118:119], v[120:121], v[40:41], v[128:129] op_sel_hi:[1,0,1] neg_lo:[0,0,1] neg_hi:[0,0,1]
	v_pk_fma_f32 v[120:121], v[120:121], v[40:41], v[128:129] op_sel_hi:[1,0,1]
	ds_load_2addr_b64 v[128:131], v122 offset0:8 offset1:9
	v_dual_mov_b32 v40, v118 :: v_dual_mov_b32 v41, v121
	s_wait_dscnt 0x0
	v_pk_mul_f32 v[132:133], v[128:129], v[120:121] op_sel:[0,1]
	s_delay_alu instid0(VALU_DEP_1) | instskip(SKIP_1) | instid1(VALU_DEP_1)
	v_pk_fma_f32 v[134:135], v[128:129], v[118:119], v[132:133] op_sel:[0,0,1] op_sel_hi:[1,1,0] neg_lo:[0,0,1] neg_hi:[0,0,1]
	v_pk_fma_f32 v[128:129], v[128:129], v[118:119], v[132:133] op_sel:[0,0,1] op_sel_hi:[1,0,0]
	v_mov_b32_e32 v135, v129
	v_pk_mul_f32 v[128:129], v[130:131], v[120:121] op_sel:[0,1]
	s_delay_alu instid0(VALU_DEP_1) | instskip(SKIP_1) | instid1(VALU_DEP_1)
	v_pk_fma_f32 v[132:133], v[130:131], v[118:119], v[128:129] op_sel:[0,0,1] op_sel_hi:[1,1,0] neg_lo:[0,0,1] neg_hi:[0,0,1]
	v_pk_fma_f32 v[128:129], v[130:131], v[118:119], v[128:129] op_sel:[0,0,1] op_sel_hi:[1,0,0]
	v_mov_b32_e32 v133, v129
	ds_load_2addr_b64 v[128:131], v122 offset0:10 offset1:11
	v_pk_add_f32 v[100:101], v[100:101], v[134:135] neg_lo:[0,1] neg_hi:[0,1]
	v_pk_add_f32 v[96:97], v[96:97], v[132:133] neg_lo:[0,1] neg_hi:[0,1]
	s_wait_dscnt 0x0
	v_pk_mul_f32 v[132:133], v[128:129], v[120:121] op_sel:[0,1]
	s_delay_alu instid0(VALU_DEP_1) | instskip(SKIP_2) | instid1(VALU_DEP_2)
	v_pk_fma_f32 v[134:135], v[128:129], v[118:119], v[132:133] op_sel:[0,0,1] op_sel_hi:[1,1,0] neg_lo:[0,0,1] neg_hi:[0,0,1]
	v_pk_fma_f32 v[128:129], v[128:129], v[118:119], v[132:133] op_sel:[0,0,1] op_sel_hi:[1,0,0]
	v_dual_mul_f32 v132, v131, v121 :: v_dual_mov_b32 v128, v131
	v_dual_mov_b32 v135, v129 :: v_dual_mov_b32 v129, v130
	s_delay_alu instid0(VALU_DEP_2) | instskip(SKIP_1) | instid1(VALU_DEP_3)
	v_pk_fma_f32 v[132:133], v[130:131], v[40:41], v[132:133] op_sel_hi:[1,1,0] neg_lo:[0,0,1] neg_hi:[0,0,1]
	v_mul_f32_e32 v130, v131, v118
	v_pk_add_f32 v[98:99], v[98:99], v[134:135] neg_lo:[0,1] neg_hi:[0,1]
	s_delay_alu instid0(VALU_DEP_2) | instskip(NEXT) | instid1(VALU_DEP_1)
	v_pk_fma_f32 v[128:129], v[128:129], v[40:41], v[130:131] op_sel_hi:[1,1,0]
	v_mov_b32_e32 v133, v129
	ds_load_2addr_b64 v[128:131], v122 offset0:12 offset1:13
	v_pk_add_f32 v[38:39], v[38:39], v[132:133] neg_lo:[0,1] neg_hi:[0,1]
	s_wait_dscnt 0x0
	v_pk_mul_f32 v[132:133], v[128:129], v[120:121] op_sel:[0,1]
	s_delay_alu instid0(VALU_DEP_1) | instskip(SKIP_1) | instid1(VALU_DEP_1)
	v_pk_fma_f32 v[134:135], v[128:129], v[118:119], v[132:133] op_sel:[0,0,1] op_sel_hi:[1,1,0] neg_lo:[0,0,1] neg_hi:[0,0,1]
	v_pk_fma_f32 v[128:129], v[128:129], v[118:119], v[132:133] op_sel:[0,0,1] op_sel_hi:[1,0,0]
	v_mov_b32_e32 v135, v129
	v_pk_mul_f32 v[128:129], v[130:131], v[120:121] op_sel:[0,1]
	s_delay_alu instid0(VALU_DEP_1) | instskip(SKIP_1) | instid1(VALU_DEP_1)
	v_pk_fma_f32 v[132:133], v[130:131], v[118:119], v[128:129] op_sel:[0,0,1] op_sel_hi:[1,1,0] neg_lo:[0,0,1] neg_hi:[0,0,1]
	v_pk_fma_f32 v[128:129], v[130:131], v[118:119], v[128:129] op_sel:[0,0,1] op_sel_hi:[1,0,0]
	v_mov_b32_e32 v133, v129
	ds_load_2addr_b64 v[128:131], v122 offset0:14 offset1:15
	v_pk_add_f32 v[94:95], v[94:95], v[134:135] neg_lo:[0,1] neg_hi:[0,1]
	v_pk_add_f32 v[90:91], v[90:91], v[132:133] neg_lo:[0,1] neg_hi:[0,1]
	s_wait_dscnt 0x0
	v_pk_mul_f32 v[132:133], v[128:129], v[120:121] op_sel:[0,1]
	s_delay_alu instid0(VALU_DEP_1) | instskip(SKIP_1) | instid1(VALU_DEP_1)
	v_pk_fma_f32 v[134:135], v[128:129], v[118:119], v[132:133] op_sel:[0,0,1] op_sel_hi:[1,1,0] neg_lo:[0,0,1] neg_hi:[0,0,1]
	v_pk_fma_f32 v[128:129], v[128:129], v[118:119], v[132:133] op_sel:[0,0,1] op_sel_hi:[1,0,0]
	v_mov_b32_e32 v135, v129
	v_pk_mul_f32 v[128:129], v[130:131], v[120:121] op_sel:[0,1]
	s_delay_alu instid0(VALU_DEP_1) | instskip(SKIP_1) | instid1(VALU_DEP_1)
	v_pk_fma_f32 v[132:133], v[130:131], v[118:119], v[128:129] op_sel:[0,0,1] op_sel_hi:[1,1,0] neg_lo:[0,0,1] neg_hi:[0,0,1]
	v_pk_fma_f32 v[128:129], v[130:131], v[118:119], v[128:129] op_sel:[0,0,1] op_sel_hi:[1,0,0]
	v_mov_b32_e32 v133, v129
	ds_load_2addr_b64 v[128:131], v122 offset0:16 offset1:17
	v_pk_add_f32 v[92:93], v[92:93], v[134:135] neg_lo:[0,1] neg_hi:[0,1]
	v_pk_add_f32 v[36:37], v[36:37], v[132:133] neg_lo:[0,1] neg_hi:[0,1]
	s_wait_dscnt 0x0
	v_dual_mul_f32 v132, v129, v121 :: v_dual_mul_f32 v134, v129, v118
	s_delay_alu instid0(VALU_DEP_1) | instskip(NEXT) | instid1(VALU_DEP_2)
	v_pk_fma_f32 v[132:133], v[128:129], v[40:41], v[132:133] op_sel_hi:[1,1,0] neg_lo:[0,0,1] neg_hi:[0,0,1]
	v_pk_fma_f32 v[128:129], v[128:129], v[40:41], v[134:135] op_sel:[1,0,0] op_sel_hi:[0,1,0]
	s_delay_alu instid0(VALU_DEP_1) | instskip(SKIP_1) | instid1(VALU_DEP_2)
	v_mov_b32_e32 v133, v129
	v_pk_mul_f32 v[128:129], v[130:131], v[120:121] op_sel:[0,1]
	v_pk_add_f32 v[88:89], v[88:89], v[132:133] neg_lo:[0,1] neg_hi:[0,1]
	s_delay_alu instid0(VALU_DEP_2) | instskip(SKIP_1) | instid1(VALU_DEP_1)
	v_pk_fma_f32 v[132:133], v[130:131], v[118:119], v[128:129] op_sel:[0,0,1] op_sel_hi:[1,1,0] neg_lo:[0,0,1] neg_hi:[0,0,1]
	v_pk_fma_f32 v[128:129], v[130:131], v[118:119], v[128:129] op_sel:[0,0,1] op_sel_hi:[1,0,0]
	v_mov_b32_e32 v133, v129
	ds_load_2addr_b64 v[128:131], v122 offset0:18 offset1:19
	v_pk_add_f32 v[84:85], v[84:85], v[132:133] neg_lo:[0,1] neg_hi:[0,1]
	s_wait_dscnt 0x0
	v_pk_mul_f32 v[132:133], v[128:129], v[120:121] op_sel:[0,1]
	s_delay_alu instid0(VALU_DEP_1) | instskip(SKIP_1) | instid1(VALU_DEP_1)
	v_pk_fma_f32 v[134:135], v[128:129], v[118:119], v[132:133] op_sel:[0,0,1] op_sel_hi:[1,1,0] neg_lo:[0,0,1] neg_hi:[0,0,1]
	v_pk_fma_f32 v[128:129], v[128:129], v[118:119], v[132:133] op_sel:[0,0,1] op_sel_hi:[1,0,0]
	v_mov_b32_e32 v135, v129
	v_pk_mul_f32 v[128:129], v[130:131], v[120:121] op_sel:[0,1]
	s_delay_alu instid0(VALU_DEP_2) | instskip(NEXT) | instid1(VALU_DEP_2)
	v_pk_add_f32 v[86:87], v[86:87], v[134:135] neg_lo:[0,1] neg_hi:[0,1]
	v_pk_fma_f32 v[132:133], v[130:131], v[118:119], v[128:129] op_sel:[0,0,1] op_sel_hi:[1,1,0] neg_lo:[0,0,1] neg_hi:[0,0,1]
	v_pk_fma_f32 v[128:129], v[130:131], v[118:119], v[128:129] op_sel:[0,0,1] op_sel_hi:[1,0,0]
	s_delay_alu instid0(VALU_DEP_1) | instskip(SKIP_4) | instid1(VALU_DEP_1)
	v_mov_b32_e32 v133, v129
	ds_load_2addr_b64 v[128:131], v122 offset0:20 offset1:21
	v_pk_add_f32 v[30:31], v[30:31], v[132:133] neg_lo:[0,1] neg_hi:[0,1]
	s_wait_dscnt 0x0
	v_pk_mul_f32 v[132:133], v[128:129], v[120:121] op_sel:[0,1]
	v_pk_fma_f32 v[134:135], v[128:129], v[118:119], v[132:133] op_sel:[0,0,1] op_sel_hi:[1,1,0] neg_lo:[0,0,1] neg_hi:[0,0,1]
	v_pk_fma_f32 v[128:129], v[128:129], v[118:119], v[132:133] op_sel:[0,0,1] op_sel_hi:[1,0,0]
	v_dual_mul_f32 v132, v131, v121 :: v_dual_mov_b32 v128, v131
	s_delay_alu instid0(VALU_DEP_2) | instskip(NEXT) | instid1(VALU_DEP_2)
	v_dual_mov_b32 v135, v129 :: v_dual_mov_b32 v129, v130
	v_pk_fma_f32 v[132:133], v[130:131], v[40:41], v[132:133] op_sel_hi:[1,1,0] neg_lo:[0,0,1] neg_hi:[0,0,1]
	v_mul_f32_e32 v130, v131, v118
	s_delay_alu instid0(VALU_DEP_3) | instskip(NEXT) | instid1(VALU_DEP_2)
	v_pk_add_f32 v[82:83], v[82:83], v[134:135] neg_lo:[0,1] neg_hi:[0,1]
	v_pk_fma_f32 v[128:129], v[128:129], v[40:41], v[130:131] op_sel_hi:[1,1,0]
	s_delay_alu instid0(VALU_DEP_1) | instskip(SKIP_4) | instid1(VALU_DEP_1)
	v_mov_b32_e32 v133, v129
	ds_load_2addr_b64 v[128:131], v122 offset0:22 offset1:23
	v_pk_add_f32 v[78:79], v[78:79], v[132:133] neg_lo:[0,1] neg_hi:[0,1]
	s_wait_dscnt 0x0
	v_pk_mul_f32 v[132:133], v[128:129], v[120:121] op_sel:[0,1]
	v_pk_fma_f32 v[134:135], v[128:129], v[118:119], v[132:133] op_sel:[0,0,1] op_sel_hi:[1,1,0] neg_lo:[0,0,1] neg_hi:[0,0,1]
	v_pk_fma_f32 v[128:129], v[128:129], v[118:119], v[132:133] op_sel:[0,0,1] op_sel_hi:[1,0,0]
	s_delay_alu instid0(VALU_DEP_1) | instskip(SKIP_1) | instid1(VALU_DEP_1)
	v_mov_b32_e32 v135, v129
	v_pk_mul_f32 v[128:129], v[130:131], v[120:121] op_sel:[0,1]
	v_pk_fma_f32 v[132:133], v[130:131], v[118:119], v[128:129] op_sel:[0,0,1] op_sel_hi:[1,1,0] neg_lo:[0,0,1] neg_hi:[0,0,1]
	v_pk_fma_f32 v[128:129], v[130:131], v[118:119], v[128:129] op_sel:[0,0,1] op_sel_hi:[1,0,0]
	s_delay_alu instid0(VALU_DEP_1)
	v_mov_b32_e32 v133, v129
	ds_load_2addr_b64 v[128:131], v122 offset0:24 offset1:25
	v_pk_add_f32 v[80:81], v[80:81], v[134:135] neg_lo:[0,1] neg_hi:[0,1]
	v_pk_add_f32 v[24:25], v[24:25], v[132:133] neg_lo:[0,1] neg_hi:[0,1]
	s_wait_dscnt 0x0
	v_pk_mul_f32 v[132:133], v[128:129], v[120:121] op_sel:[0,1]
	s_delay_alu instid0(VALU_DEP_1) | instskip(SKIP_1) | instid1(VALU_DEP_1)
	v_pk_fma_f32 v[134:135], v[128:129], v[118:119], v[132:133] op_sel:[0,0,1] op_sel_hi:[1,1,0] neg_lo:[0,0,1] neg_hi:[0,0,1]
	v_pk_fma_f32 v[128:129], v[128:129], v[118:119], v[132:133] op_sel:[0,0,1] op_sel_hi:[1,0,0]
	v_mov_b32_e32 v135, v129
	v_pk_mul_f32 v[128:129], v[130:131], v[120:121] op_sel:[0,1]
	s_delay_alu instid0(VALU_DEP_1) | instskip(SKIP_1) | instid1(VALU_DEP_1)
	v_pk_fma_f32 v[132:133], v[130:131], v[118:119], v[128:129] op_sel:[0,0,1] op_sel_hi:[1,1,0] neg_lo:[0,0,1] neg_hi:[0,0,1]
	v_pk_fma_f32 v[128:129], v[130:131], v[118:119], v[128:129] op_sel:[0,0,1] op_sel_hi:[1,0,0]
	v_mov_b32_e32 v133, v129
	ds_load_2addr_b64 v[128:131], v122 offset0:26 offset1:27
	v_pk_add_f32 v[76:77], v[76:77], v[134:135] neg_lo:[0,1] neg_hi:[0,1]
	v_pk_add_f32 v[72:73], v[72:73], v[132:133] neg_lo:[0,1] neg_hi:[0,1]
	s_wait_dscnt 0x0
	v_dual_mul_f32 v132, v129, v121 :: v_dual_mul_f32 v134, v129, v118
	s_delay_alu instid0(VALU_DEP_1) | instskip(NEXT) | instid1(VALU_DEP_2)
	v_pk_fma_f32 v[132:133], v[128:129], v[40:41], v[132:133] op_sel_hi:[1,1,0] neg_lo:[0,0,1] neg_hi:[0,0,1]
	v_pk_fma_f32 v[128:129], v[128:129], v[40:41], v[134:135] op_sel:[1,0,0] op_sel_hi:[0,1,0]
	s_delay_alu instid0(VALU_DEP_1) | instskip(SKIP_1) | instid1(VALU_DEP_2)
	v_mov_b32_e32 v133, v129
	v_pk_mul_f32 v[128:129], v[130:131], v[120:121] op_sel:[0,1]
	v_pk_add_f32 v[74:75], v[74:75], v[132:133] neg_lo:[0,1] neg_hi:[0,1]
	s_delay_alu instid0(VALU_DEP_2) | instskip(SKIP_1) | instid1(VALU_DEP_1)
	v_pk_fma_f32 v[132:133], v[130:131], v[118:119], v[128:129] op_sel:[0,0,1] op_sel_hi:[1,1,0] neg_lo:[0,0,1] neg_hi:[0,0,1]
	v_pk_fma_f32 v[128:129], v[130:131], v[118:119], v[128:129] op_sel:[0,0,1] op_sel_hi:[1,0,0]
	v_mov_b32_e32 v133, v129
	ds_load_2addr_b64 v[128:131], v122 offset0:28 offset1:29
	v_pk_add_f32 v[18:19], v[18:19], v[132:133] neg_lo:[0,1] neg_hi:[0,1]
	s_wait_dscnt 0x0
	v_pk_mul_f32 v[132:133], v[128:129], v[120:121] op_sel:[0,1]
	s_delay_alu instid0(VALU_DEP_1) | instskip(SKIP_1) | instid1(VALU_DEP_1)
	v_pk_fma_f32 v[134:135], v[128:129], v[118:119], v[132:133] op_sel:[0,0,1] op_sel_hi:[1,1,0] neg_lo:[0,0,1] neg_hi:[0,0,1]
	v_pk_fma_f32 v[128:129], v[128:129], v[118:119], v[132:133] op_sel:[0,0,1] op_sel_hi:[1,0,0]
	v_mov_b32_e32 v135, v129
	v_pk_mul_f32 v[128:129], v[130:131], v[120:121] op_sel:[0,1]
	s_delay_alu instid0(VALU_DEP_2) | instskip(NEXT) | instid1(VALU_DEP_2)
	v_pk_add_f32 v[70:71], v[70:71], v[134:135] neg_lo:[0,1] neg_hi:[0,1]
	v_pk_fma_f32 v[132:133], v[130:131], v[118:119], v[128:129] op_sel:[0,0,1] op_sel_hi:[1,1,0] neg_lo:[0,0,1] neg_hi:[0,0,1]
	v_pk_fma_f32 v[128:129], v[130:131], v[118:119], v[128:129] op_sel:[0,0,1] op_sel_hi:[1,0,0]
	s_delay_alu instid0(VALU_DEP_1) | instskip(SKIP_4) | instid1(VALU_DEP_1)
	v_mov_b32_e32 v133, v129
	ds_load_2addr_b64 v[128:131], v122 offset0:30 offset1:31
	v_pk_add_f32 v[66:67], v[66:67], v[132:133] neg_lo:[0,1] neg_hi:[0,1]
	s_wait_dscnt 0x0
	v_pk_mul_f32 v[132:133], v[128:129], v[120:121] op_sel:[0,1]
	v_pk_fma_f32 v[134:135], v[128:129], v[118:119], v[132:133] op_sel:[0,0,1] op_sel_hi:[1,1,0] neg_lo:[0,0,1] neg_hi:[0,0,1]
	v_pk_fma_f32 v[128:129], v[128:129], v[118:119], v[132:133] op_sel:[0,0,1] op_sel_hi:[1,0,0]
	v_dual_mul_f32 v132, v131, v121 :: v_dual_mov_b32 v128, v131
	s_delay_alu instid0(VALU_DEP_2) | instskip(NEXT) | instid1(VALU_DEP_2)
	v_dual_mov_b32 v135, v129 :: v_dual_mov_b32 v129, v130
	v_pk_fma_f32 v[132:133], v[130:131], v[40:41], v[132:133] op_sel_hi:[1,1,0] neg_lo:[0,0,1] neg_hi:[0,0,1]
	v_mul_f32_e32 v130, v131, v118
	s_delay_alu instid0(VALU_DEP_3) | instskip(NEXT) | instid1(VALU_DEP_2)
	v_pk_add_f32 v[68:69], v[68:69], v[134:135] neg_lo:[0,1] neg_hi:[0,1]
	v_pk_fma_f32 v[128:129], v[128:129], v[40:41], v[130:131] op_sel_hi:[1,1,0]
	s_delay_alu instid0(VALU_DEP_1) | instskip(SKIP_4) | instid1(VALU_DEP_1)
	v_mov_b32_e32 v133, v129
	ds_load_2addr_b64 v[128:131], v122 offset0:32 offset1:33
	v_pk_add_f32 v[16:17], v[16:17], v[132:133] neg_lo:[0,1] neg_hi:[0,1]
	s_wait_dscnt 0x0
	v_pk_mul_f32 v[132:133], v[128:129], v[120:121] op_sel:[0,1]
	v_pk_fma_f32 v[134:135], v[128:129], v[118:119], v[132:133] op_sel:[0,0,1] op_sel_hi:[1,1,0] neg_lo:[0,0,1] neg_hi:[0,0,1]
	v_pk_fma_f32 v[128:129], v[128:129], v[118:119], v[132:133] op_sel:[0,0,1] op_sel_hi:[1,0,0]
	s_delay_alu instid0(VALU_DEP_1) | instskip(SKIP_1) | instid1(VALU_DEP_1)
	v_mov_b32_e32 v135, v129
	v_pk_mul_f32 v[128:129], v[130:131], v[120:121] op_sel:[0,1]
	v_pk_fma_f32 v[132:133], v[130:131], v[118:119], v[128:129] op_sel:[0,0,1] op_sel_hi:[1,1,0] neg_lo:[0,0,1] neg_hi:[0,0,1]
	v_pk_fma_f32 v[128:129], v[130:131], v[118:119], v[128:129] op_sel:[0,0,1] op_sel_hi:[1,0,0]
	s_delay_alu instid0(VALU_DEP_1)
	v_mov_b32_e32 v133, v129
	ds_load_2addr_b64 v[128:131], v122 offset0:34 offset1:35
	v_pk_add_f32 v[64:65], v[64:65], v[134:135] neg_lo:[0,1] neg_hi:[0,1]
	v_pk_add_f32 v[60:61], v[60:61], v[132:133] neg_lo:[0,1] neg_hi:[0,1]
	s_wait_dscnt 0x0
	v_pk_mul_f32 v[132:133], v[128:129], v[120:121] op_sel:[0,1]
	s_delay_alu instid0(VALU_DEP_1) | instskip(SKIP_1) | instid1(VALU_DEP_1)
	v_pk_fma_f32 v[134:135], v[128:129], v[118:119], v[132:133] op_sel:[0,0,1] op_sel_hi:[1,1,0] neg_lo:[0,0,1] neg_hi:[0,0,1]
	v_pk_fma_f32 v[128:129], v[128:129], v[118:119], v[132:133] op_sel:[0,0,1] op_sel_hi:[1,0,0]
	v_mov_b32_e32 v135, v129
	v_pk_mul_f32 v[128:129], v[130:131], v[120:121] op_sel:[0,1]
	s_delay_alu instid0(VALU_DEP_1) | instskip(SKIP_1) | instid1(VALU_DEP_1)
	v_pk_fma_f32 v[132:133], v[130:131], v[118:119], v[128:129] op_sel:[0,0,1] op_sel_hi:[1,1,0] neg_lo:[0,0,1] neg_hi:[0,0,1]
	v_pk_fma_f32 v[128:129], v[130:131], v[118:119], v[128:129] op_sel:[0,0,1] op_sel_hi:[1,0,0]
	v_mov_b32_e32 v133, v129
	ds_load_2addr_b64 v[128:131], v122 offset0:36 offset1:37
	v_pk_add_f32 v[62:63], v[62:63], v[134:135] neg_lo:[0,1] neg_hi:[0,1]
	v_pk_add_f32 v[14:15], v[14:15], v[132:133] neg_lo:[0,1] neg_hi:[0,1]
	s_wait_dscnt 0x0
	v_dual_mul_f32 v132, v129, v121 :: v_dual_mul_f32 v134, v129, v118
	s_delay_alu instid0(VALU_DEP_1) | instskip(NEXT) | instid1(VALU_DEP_2)
	v_pk_fma_f32 v[132:133], v[128:129], v[40:41], v[132:133] op_sel_hi:[1,1,0] neg_lo:[0,0,1] neg_hi:[0,0,1]
	v_pk_fma_f32 v[128:129], v[128:129], v[40:41], v[134:135] op_sel:[1,0,0] op_sel_hi:[0,1,0]
	s_delay_alu instid0(VALU_DEP_1) | instskip(SKIP_1) | instid1(VALU_DEP_2)
	v_mov_b32_e32 v133, v129
	v_pk_mul_f32 v[128:129], v[130:131], v[120:121] op_sel:[0,1]
	v_pk_add_f32 v[58:59], v[58:59], v[132:133] neg_lo:[0,1] neg_hi:[0,1]
	s_delay_alu instid0(VALU_DEP_2) | instskip(SKIP_1) | instid1(VALU_DEP_1)
	v_pk_fma_f32 v[132:133], v[130:131], v[118:119], v[128:129] op_sel:[0,0,1] op_sel_hi:[1,1,0] neg_lo:[0,0,1] neg_hi:[0,0,1]
	v_pk_fma_f32 v[128:129], v[130:131], v[118:119], v[128:129] op_sel:[0,0,1] op_sel_hi:[1,0,0]
	v_mov_b32_e32 v133, v129
	ds_load_2addr_b64 v[128:131], v122 offset0:38 offset1:39
	v_pk_add_f32 v[54:55], v[54:55], v[132:133] neg_lo:[0,1] neg_hi:[0,1]
	s_wait_dscnt 0x0
	v_pk_mul_f32 v[132:133], v[128:129], v[120:121] op_sel:[0,1]
	s_delay_alu instid0(VALU_DEP_1) | instskip(SKIP_1) | instid1(VALU_DEP_1)
	v_pk_fma_f32 v[134:135], v[128:129], v[118:119], v[132:133] op_sel:[0,0,1] op_sel_hi:[1,1,0] neg_lo:[0,0,1] neg_hi:[0,0,1]
	v_pk_fma_f32 v[128:129], v[128:129], v[118:119], v[132:133] op_sel:[0,0,1] op_sel_hi:[1,0,0]
	v_mov_b32_e32 v135, v129
	v_pk_mul_f32 v[128:129], v[130:131], v[120:121] op_sel:[0,1]
	s_delay_alu instid0(VALU_DEP_2) | instskip(NEXT) | instid1(VALU_DEP_2)
	v_pk_add_f32 v[56:57], v[56:57], v[134:135] neg_lo:[0,1] neg_hi:[0,1]
	v_pk_fma_f32 v[132:133], v[130:131], v[118:119], v[128:129] op_sel:[0,0,1] op_sel_hi:[1,1,0] neg_lo:[0,0,1] neg_hi:[0,0,1]
	v_pk_fma_f32 v[128:129], v[130:131], v[118:119], v[128:129] op_sel:[0,0,1] op_sel_hi:[1,0,0]
	s_delay_alu instid0(VALU_DEP_1) | instskip(SKIP_4) | instid1(VALU_DEP_1)
	v_mov_b32_e32 v133, v129
	ds_load_2addr_b64 v[128:131], v122 offset0:40 offset1:41
	v_pk_add_f32 v[12:13], v[12:13], v[132:133] neg_lo:[0,1] neg_hi:[0,1]
	s_wait_dscnt 0x0
	v_pk_mul_f32 v[132:133], v[128:129], v[120:121] op_sel:[0,1]
	v_pk_fma_f32 v[134:135], v[128:129], v[118:119], v[132:133] op_sel:[0,0,1] op_sel_hi:[1,1,0] neg_lo:[0,0,1] neg_hi:[0,0,1]
	v_pk_fma_f32 v[128:129], v[128:129], v[118:119], v[132:133] op_sel:[0,0,1] op_sel_hi:[1,0,0]
	v_dual_mul_f32 v132, v131, v121 :: v_dual_mov_b32 v128, v131
	s_delay_alu instid0(VALU_DEP_2) | instskip(NEXT) | instid1(VALU_DEP_2)
	v_dual_mov_b32 v135, v129 :: v_dual_mov_b32 v129, v130
	v_pk_fma_f32 v[132:133], v[130:131], v[40:41], v[132:133] op_sel_hi:[1,1,0] neg_lo:[0,0,1] neg_hi:[0,0,1]
	v_mul_f32_e32 v130, v131, v118
	s_delay_alu instid0(VALU_DEP_3) | instskip(NEXT) | instid1(VALU_DEP_2)
	v_pk_add_f32 v[52:53], v[52:53], v[134:135] neg_lo:[0,1] neg_hi:[0,1]
	v_pk_fma_f32 v[128:129], v[128:129], v[40:41], v[130:131] op_sel_hi:[1,1,0]
	s_delay_alu instid0(VALU_DEP_1) | instskip(SKIP_4) | instid1(VALU_DEP_1)
	v_mov_b32_e32 v133, v129
	ds_load_2addr_b64 v[128:131], v122 offset0:42 offset1:43
	v_pk_add_f32 v[48:49], v[48:49], v[132:133] neg_lo:[0,1] neg_hi:[0,1]
	s_wait_dscnt 0x0
	v_pk_mul_f32 v[132:133], v[128:129], v[120:121] op_sel:[0,1]
	v_pk_fma_f32 v[134:135], v[128:129], v[118:119], v[132:133] op_sel:[0,0,1] op_sel_hi:[1,1,0] neg_lo:[0,0,1] neg_hi:[0,0,1]
	v_pk_fma_f32 v[128:129], v[128:129], v[118:119], v[132:133] op_sel:[0,0,1] op_sel_hi:[1,0,0]
	s_delay_alu instid0(VALU_DEP_1) | instskip(SKIP_1) | instid1(VALU_DEP_1)
	v_mov_b32_e32 v135, v129
	v_pk_mul_f32 v[128:129], v[130:131], v[120:121] op_sel:[0,1]
	v_pk_fma_f32 v[132:133], v[130:131], v[118:119], v[128:129] op_sel:[0,0,1] op_sel_hi:[1,1,0] neg_lo:[0,0,1] neg_hi:[0,0,1]
	v_pk_fma_f32 v[128:129], v[130:131], v[118:119], v[128:129] op_sel:[0,0,1] op_sel_hi:[1,0,0]
	s_delay_alu instid0(VALU_DEP_1)
	v_mov_b32_e32 v133, v129
	ds_load_2addr_b64 v[128:131], v122 offset0:44 offset1:45
	v_pk_add_f32 v[50:51], v[50:51], v[134:135] neg_lo:[0,1] neg_hi:[0,1]
	v_pk_add_f32 v[10:11], v[10:11], v[132:133] neg_lo:[0,1] neg_hi:[0,1]
	s_wait_dscnt 0x0
	v_pk_mul_f32 v[132:133], v[128:129], v[120:121] op_sel:[0,1]
	s_delay_alu instid0(VALU_DEP_1) | instskip(SKIP_1) | instid1(VALU_DEP_1)
	v_pk_fma_f32 v[134:135], v[128:129], v[118:119], v[132:133] op_sel:[0,0,1] op_sel_hi:[1,1,0] neg_lo:[0,0,1] neg_hi:[0,0,1]
	v_pk_fma_f32 v[128:129], v[128:129], v[118:119], v[132:133] op_sel:[0,0,1] op_sel_hi:[1,0,0]
	v_mov_b32_e32 v135, v129
	v_pk_mul_f32 v[128:129], v[130:131], v[120:121] op_sel:[0,1]
	s_delay_alu instid0(VALU_DEP_1) | instskip(SKIP_1) | instid1(VALU_DEP_1)
	v_pk_fma_f32 v[132:133], v[130:131], v[118:119], v[128:129] op_sel:[0,0,1] op_sel_hi:[1,1,0] neg_lo:[0,0,1] neg_hi:[0,0,1]
	v_pk_fma_f32 v[128:129], v[130:131], v[118:119], v[128:129] op_sel:[0,0,1] op_sel_hi:[1,0,0]
	v_mov_b32_e32 v133, v129
	ds_load_2addr_b64 v[128:131], v122 offset0:46 offset1:47
	v_pk_add_f32 v[46:47], v[46:47], v[134:135] neg_lo:[0,1] neg_hi:[0,1]
	v_pk_add_f32 v[42:43], v[42:43], v[132:133] neg_lo:[0,1] neg_hi:[0,1]
	s_wait_dscnt 0x0
	v_dual_mul_f32 v132, v129, v121 :: v_dual_mul_f32 v134, v129, v118
	s_delay_alu instid0(VALU_DEP_1) | instskip(NEXT) | instid1(VALU_DEP_2)
	v_pk_fma_f32 v[132:133], v[128:129], v[40:41], v[132:133] op_sel_hi:[1,1,0] neg_lo:[0,0,1] neg_hi:[0,0,1]
	v_pk_fma_f32 v[128:129], v[128:129], v[40:41], v[134:135] op_sel:[1,0,0] op_sel_hi:[0,1,0]
	s_delay_alu instid0(VALU_DEP_1) | instskip(SKIP_1) | instid1(VALU_DEP_2)
	v_mov_b32_e32 v133, v129
	v_pk_mul_f32 v[128:129], v[130:131], v[120:121] op_sel:[0,1]
	v_pk_add_f32 v[44:45], v[44:45], v[132:133] neg_lo:[0,1] neg_hi:[0,1]
	s_delay_alu instid0(VALU_DEP_2) | instskip(SKIP_1) | instid1(VALU_DEP_1)
	v_pk_fma_f32 v[132:133], v[130:131], v[118:119], v[128:129] op_sel:[0,0,1] op_sel_hi:[1,1,0] neg_lo:[0,0,1] neg_hi:[0,0,1]
	v_pk_fma_f32 v[128:129], v[130:131], v[118:119], v[128:129] op_sel:[0,0,1] op_sel_hi:[1,0,0]
	v_mov_b32_e32 v133, v129
	ds_load_2addr_b64 v[128:131], v122 offset0:48 offset1:49
	v_pk_add_f32 v[6:7], v[6:7], v[132:133] neg_lo:[0,1] neg_hi:[0,1]
	s_wait_dscnt 0x0
	v_pk_mul_f32 v[132:133], v[128:129], v[120:121] op_sel:[0,1]
	s_delay_alu instid0(VALU_DEP_1) | instskip(SKIP_1) | instid1(VALU_DEP_1)
	v_pk_fma_f32 v[134:135], v[128:129], v[118:119], v[132:133] op_sel:[0,0,1] op_sel_hi:[1,1,0] neg_lo:[0,0,1] neg_hi:[0,0,1]
	v_pk_fma_f32 v[128:129], v[128:129], v[118:119], v[132:133] op_sel:[0,0,1] op_sel_hi:[1,0,0]
	v_mov_b32_e32 v135, v129
	v_pk_mul_f32 v[128:129], v[130:131], v[120:121] op_sel:[0,1]
	s_delay_alu instid0(VALU_DEP_2) | instskip(NEXT) | instid1(VALU_DEP_2)
	v_pk_add_f32 v[34:35], v[34:35], v[134:135] neg_lo:[0,1] neg_hi:[0,1]
	v_pk_fma_f32 v[132:133], v[130:131], v[118:119], v[128:129] op_sel:[0,0,1] op_sel_hi:[1,1,0] neg_lo:[0,0,1] neg_hi:[0,0,1]
	v_pk_fma_f32 v[128:129], v[130:131], v[118:119], v[128:129] op_sel:[0,0,1] op_sel_hi:[1,0,0]
	s_delay_alu instid0(VALU_DEP_1) | instskip(SKIP_4) | instid1(VALU_DEP_1)
	v_mov_b32_e32 v133, v129
	ds_load_2addr_b64 v[128:131], v122 offset0:50 offset1:51
	v_pk_add_f32 v[28:29], v[28:29], v[132:133] neg_lo:[0,1] neg_hi:[0,1]
	s_wait_dscnt 0x0
	v_pk_mul_f32 v[132:133], v[128:129], v[120:121] op_sel:[0,1]
	v_pk_fma_f32 v[134:135], v[128:129], v[118:119], v[132:133] op_sel:[0,0,1] op_sel_hi:[1,1,0] neg_lo:[0,0,1] neg_hi:[0,0,1]
	v_pk_fma_f32 v[128:129], v[128:129], v[118:119], v[132:133] op_sel:[0,0,1] op_sel_hi:[1,0,0]
	v_dual_mul_f32 v132, v131, v121 :: v_dual_mov_b32 v128, v131
	s_delay_alu instid0(VALU_DEP_2) | instskip(NEXT) | instid1(VALU_DEP_2)
	v_dual_mov_b32 v135, v129 :: v_dual_mov_b32 v129, v130
	v_pk_fma_f32 v[132:133], v[130:131], v[40:41], v[132:133] op_sel_hi:[1,1,0] neg_lo:[0,0,1] neg_hi:[0,0,1]
	v_mul_f32_e32 v130, v131, v118
	s_delay_alu instid0(VALU_DEP_3) | instskip(NEXT) | instid1(VALU_DEP_2)
	v_pk_add_f32 v[32:33], v[32:33], v[134:135] neg_lo:[0,1] neg_hi:[0,1]
	v_pk_fma_f32 v[128:129], v[128:129], v[40:41], v[130:131] op_sel_hi:[1,1,0]
	s_delay_alu instid0(VALU_DEP_1) | instskip(SKIP_4) | instid1(VALU_DEP_1)
	v_mov_b32_e32 v133, v129
	ds_load_2addr_b64 v[128:131], v122 offset0:52 offset1:53
	v_pk_add_f32 v[8:9], v[8:9], v[132:133] neg_lo:[0,1] neg_hi:[0,1]
	s_wait_dscnt 0x0
	v_pk_mul_f32 v[132:133], v[128:129], v[120:121] op_sel:[0,1]
	v_pk_fma_f32 v[134:135], v[128:129], v[118:119], v[132:133] op_sel:[0,0,1] op_sel_hi:[1,1,0] neg_lo:[0,0,1] neg_hi:[0,0,1]
	v_pk_fma_f32 v[128:129], v[128:129], v[118:119], v[132:133] op_sel:[0,0,1] op_sel_hi:[1,0,0]
	s_delay_alu instid0(VALU_DEP_1) | instskip(SKIP_1) | instid1(VALU_DEP_1)
	v_mov_b32_e32 v135, v129
	v_pk_mul_f32 v[128:129], v[130:131], v[120:121] op_sel:[0,1]
	v_pk_fma_f32 v[132:133], v[130:131], v[118:119], v[128:129] op_sel:[0,0,1] op_sel_hi:[1,1,0] neg_lo:[0,0,1] neg_hi:[0,0,1]
	v_pk_fma_f32 v[128:129], v[130:131], v[118:119], v[128:129] op_sel:[0,0,1] op_sel_hi:[1,0,0]
	s_delay_alu instid0(VALU_DEP_1)
	v_mov_b32_e32 v133, v129
	ds_load_2addr_b64 v[128:131], v122 offset0:54 offset1:55
	v_pk_add_f32 v[26:27], v[26:27], v[134:135] neg_lo:[0,1] neg_hi:[0,1]
	v_pk_add_f32 v[22:23], v[22:23], v[132:133] neg_lo:[0,1] neg_hi:[0,1]
	s_wait_dscnt 0x0
	v_pk_mul_f32 v[132:133], v[128:129], v[120:121] op_sel:[0,1]
	v_mul_f32_e32 v120, v131, v121
	s_delay_alu instid0(VALU_DEP_2) | instskip(SKIP_2) | instid1(VALU_DEP_4)
	v_pk_fma_f32 v[134:135], v[128:129], v[118:119], v[132:133] op_sel:[0,0,1] op_sel_hi:[1,1,0] neg_lo:[0,0,1] neg_hi:[0,0,1]
	v_pk_fma_f32 v[128:129], v[128:129], v[118:119], v[132:133] op_sel:[0,0,1] op_sel_hi:[1,0,0]
	v_dual_mov_b32 v128, v131 :: v_dual_mul_f32 v118, v131, v118
	v_pk_fma_f32 v[120:121], v[130:131], v[40:41], v[120:121] op_sel_hi:[1,1,0] neg_lo:[0,0,1] neg_hi:[0,0,1]
	s_delay_alu instid0(VALU_DEP_3) | instskip(NEXT) | instid1(VALU_DEP_1)
	v_dual_mov_b32 v135, v129 :: v_dual_mov_b32 v129, v130
	v_pk_add_f32 v[20:21], v[20:21], v[134:135] neg_lo:[0,1] neg_hi:[0,1]
	s_delay_alu instid0(VALU_DEP_2) | instskip(NEXT) | instid1(VALU_DEP_1)
	v_pk_fma_f32 v[118:119], v[128:129], v[40:41], v[118:119] op_sel_hi:[1,1,0]
	v_mov_b32_e32 v121, v119
	s_delay_alu instid0(VALU_DEP_1)
	v_pk_add_f32 v[116:117], v[116:117], v[120:121] neg_lo:[0,1] neg_hi:[0,1]
.LBB110_167:
	s_or_b32 exec_lo, exec_lo, s0
	v_lshl_add_u32 v118, v126, 3, v122
	s_barrier_signal -1
	s_barrier_wait -1
	ds_store_b64 v118, v[100:101]
	s_wait_dscnt 0x0
	s_barrier_signal -1
	s_barrier_wait -1
	ds_load_b64 v[120:121], v122 offset:64
	v_mov_b32_e32 v118, 8
	s_cmp_lt_i32 s18, 10
	s_cbranch_scc1 .LBB110_170
; %bb.168:
	v_add3_u32 v119, v123, 0, 0x48
	v_mov_b32_e32 v118, 8
	s_mov_b32 s0, 9
.LBB110_169:                            ; =>This Inner Loop Header: Depth=1
	ds_load_b64 v[128:129], v119
	s_wait_dscnt 0x1
	v_cmp_gt_f32_e32 vcc_lo, 0, v120
	v_cndmask_b32_e64 v130, v120, -v120, vcc_lo
	v_cmp_gt_f32_e32 vcc_lo, 0, v121
	v_cndmask_b32_e64 v132, v121, -v121, vcc_lo
	s_wait_dscnt 0x0
	v_cmp_gt_f32_e32 vcc_lo, 0, v128
	v_cndmask_b32_e64 v131, v128, -v128, vcc_lo
	v_cmp_gt_f32_e32 vcc_lo, 0, v129
	v_cndmask_b32_e64 v133, v129, -v129, vcc_lo
	s_delay_alu instid0(VALU_DEP_1) | instskip(NEXT) | instid1(VALU_DEP_1)
	v_pk_add_f32 v[130:131], v[130:131], v[132:133]
	v_cmp_lt_f32_e32 vcc_lo, v130, v131
	v_dual_add_nc_u32 v119, 8, v119 :: v_dual_cndmask_b32 v121, v121, v129, vcc_lo
	v_cndmask_b32_e32 v120, v120, v128, vcc_lo
	v_cndmask_b32_e64 v118, v118, s0, vcc_lo
	s_add_co_i32 s0, s0, 1
	s_delay_alu instid0(SALU_CYCLE_1)
	s_cmp_lg_u32 s18, s0
	s_cbranch_scc1 .LBB110_169
.LBB110_170:
	s_wait_dscnt 0x0
	v_cmp_eq_f32_e32 vcc_lo, 0, v120
	v_cmp_eq_f32_e64 s0, 0, v121
	s_and_b32 s0, vcc_lo, s0
	s_delay_alu instid0(SALU_CYCLE_1) | instskip(NEXT) | instid1(SALU_CYCLE_1)
	s_and_saveexec_b32 s1, s0
	s_xor_b32 s0, exec_lo, s1
; %bb.171:
	v_cmp_ne_u32_e32 vcc_lo, 0, v124
	v_cndmask_b32_e32 v124, 9, v124, vcc_lo
; %bb.172:
	s_and_not1_saveexec_b32 s0, s0
	s_cbranch_execz .LBB110_178
; %bb.173:
	v_cmp_ngt_f32_e64 s1, |v120|, |v121|
	s_and_saveexec_b32 s12, s1
	s_delay_alu instid0(SALU_CYCLE_1)
	s_xor_b32 s1, exec_lo, s12
	s_cbranch_execz .LBB110_175
; %bb.174:
	v_div_scale_f32 v119, null, v121, v121, v120
	v_div_scale_f32 v129, vcc_lo, v120, v121, v120
	s_delay_alu instid0(VALU_DEP_2) | instskip(SKIP_1) | instid1(TRANS32_DEP_1)
	v_rcp_f32_e32 v127, v119
	v_nop
	v_fma_f32 v128, -v119, v127, 1.0
	s_delay_alu instid0(VALU_DEP_1) | instskip(NEXT) | instid1(VALU_DEP_1)
	v_fmac_f32_e32 v127, v128, v127
	v_mul_f32_e32 v128, v129, v127
	s_delay_alu instid0(VALU_DEP_1) | instskip(NEXT) | instid1(VALU_DEP_1)
	v_fma_f32 v130, -v119, v128, v129
	v_fmac_f32_e32 v128, v130, v127
	s_delay_alu instid0(VALU_DEP_1) | instskip(NEXT) | instid1(VALU_DEP_1)
	v_fma_f32 v119, -v119, v128, v129
	v_div_fmas_f32 v119, v119, v127, v128
	s_delay_alu instid0(VALU_DEP_1) | instskip(NEXT) | instid1(VALU_DEP_1)
	v_div_fixup_f32 v119, v119, v121, v120
	v_fmac_f32_e32 v121, v120, v119
	s_delay_alu instid0(VALU_DEP_1) | instskip(SKIP_1) | instid1(VALU_DEP_2)
	v_div_scale_f32 v120, null, v121, v121, 1.0
	v_div_scale_f32 v129, vcc_lo, 1.0, v121, 1.0
	v_rcp_f32_e32 v127, v120
	v_nop
	s_delay_alu instid0(TRANS32_DEP_1) | instskip(NEXT) | instid1(VALU_DEP_1)
	v_fma_f32 v128, -v120, v127, 1.0
	v_fmac_f32_e32 v127, v128, v127
	s_delay_alu instid0(VALU_DEP_1) | instskip(NEXT) | instid1(VALU_DEP_1)
	v_mul_f32_e32 v128, v129, v127
	v_fma_f32 v130, -v120, v128, v129
	s_delay_alu instid0(VALU_DEP_1) | instskip(NEXT) | instid1(VALU_DEP_1)
	v_fmac_f32_e32 v128, v130, v127
	v_fma_f32 v120, -v120, v128, v129
	s_delay_alu instid0(VALU_DEP_1) | instskip(NEXT) | instid1(VALU_DEP_1)
	v_div_fmas_f32 v120, v120, v127, v128
	v_div_fixup_f32 v121, v120, v121, 1.0
	s_delay_alu instid0(VALU_DEP_1)
	v_mul_f32_e32 v120, v119, v121
	v_xor_b32_e32 v121, 0x80000000, v121
.LBB110_175:
	s_and_not1_saveexec_b32 s1, s1
	s_cbranch_execz .LBB110_177
; %bb.176:
	s_delay_alu instid0(VALU_DEP_1) | instskip(SKIP_1) | instid1(VALU_DEP_2)
	v_div_scale_f32 v119, null, v120, v120, v121
	v_div_scale_f32 v129, vcc_lo, v121, v120, v121
	v_rcp_f32_e32 v127, v119
	v_nop
	s_delay_alu instid0(TRANS32_DEP_1) | instskip(NEXT) | instid1(VALU_DEP_1)
	v_fma_f32 v128, -v119, v127, 1.0
	v_fmac_f32_e32 v127, v128, v127
	s_delay_alu instid0(VALU_DEP_1) | instskip(NEXT) | instid1(VALU_DEP_1)
	v_mul_f32_e32 v128, v129, v127
	v_fma_f32 v130, -v119, v128, v129
	s_delay_alu instid0(VALU_DEP_1) | instskip(NEXT) | instid1(VALU_DEP_1)
	v_fmac_f32_e32 v128, v130, v127
	v_fma_f32 v119, -v119, v128, v129
	s_delay_alu instid0(VALU_DEP_1) | instskip(NEXT) | instid1(VALU_DEP_1)
	v_div_fmas_f32 v119, v119, v127, v128
	v_div_fixup_f32 v119, v119, v120, v121
	s_delay_alu instid0(VALU_DEP_1) | instskip(NEXT) | instid1(VALU_DEP_1)
	v_fmac_f32_e32 v120, v121, v119
	v_div_scale_f32 v121, null, v120, v120, 1.0
	s_delay_alu instid0(VALU_DEP_1) | instskip(SKIP_1) | instid1(TRANS32_DEP_1)
	v_rcp_f32_e32 v127, v121
	v_nop
	v_fma_f32 v128, -v121, v127, 1.0
	s_delay_alu instid0(VALU_DEP_1) | instskip(SKIP_1) | instid1(VALU_DEP_1)
	v_fmac_f32_e32 v127, v128, v127
	v_div_scale_f32 v128, vcc_lo, 1.0, v120, 1.0
	v_mul_f32_e32 v129, v128, v127
	s_delay_alu instid0(VALU_DEP_1) | instskip(NEXT) | instid1(VALU_DEP_1)
	v_fma_f32 v130, -v121, v129, v128
	v_fmac_f32_e32 v129, v130, v127
	s_delay_alu instid0(VALU_DEP_1) | instskip(NEXT) | instid1(VALU_DEP_1)
	v_fma_f32 v121, -v121, v129, v128
	v_div_fmas_f32 v121, v121, v127, v129
	s_delay_alu instid0(VALU_DEP_1) | instskip(NEXT) | instid1(VALU_DEP_1)
	v_div_fixup_f32 v120, v121, v120, 1.0
	v_mul_f32_e64 v121, v119, -v120
.LBB110_177:
	s_or_b32 exec_lo, exec_lo, s1
.LBB110_178:
	s_delay_alu instid0(SALU_CYCLE_1) | instskip(NEXT) | instid1(SALU_CYCLE_1)
	s_or_b32 exec_lo, exec_lo, s0
	s_mov_b32 s0, exec_lo
	v_cmpx_ne_u32_e64 v126, v118
	s_xor_b32 s0, exec_lo, s0
	s_cbranch_execz .LBB110_184
; %bb.179:
	s_mov_b32 s1, exec_lo
	v_cmpx_eq_u32_e32 8, v126
	s_cbranch_execz .LBB110_183
; %bb.180:
	v_cmp_ne_u32_e32 vcc_lo, 8, v118
	s_xor_b32 s12, s16, -1
	s_delay_alu instid0(SALU_CYCLE_1) | instskip(NEXT) | instid1(SALU_CYCLE_1)
	s_and_b32 s13, s12, vcc_lo
	s_and_saveexec_b32 s12, s13
	s_cbranch_execz .LBB110_182
; %bb.181:
	v_ashrrev_i32_e32 v119, 31, v118
	s_delay_alu instid0(VALU_DEP_1)
	v_lshl_add_u64 v[126:127], v[118:119], 2, v[4:5]
	s_clause 0x1
	global_load_b32 v119, v[126:127], off
	global_load_b32 v125, v[4:5], off offset:32
	s_wait_loadcnt 0x1
	global_store_b32 v[4:5], v119, off offset:32
	s_wait_loadcnt 0x0
	global_store_b32 v[126:127], v125, off
.LBB110_182:
	s_wait_xcnt 0x0
	s_or_b32 exec_lo, exec_lo, s12
	v_dual_mov_b32 v126, v118 :: v_dual_mov_b32 v125, v118
.LBB110_183:
	s_or_b32 exec_lo, exec_lo, s1
.LBB110_184:
	s_and_not1_saveexec_b32 s0, s0
	s_cbranch_execz .LBB110_186
; %bb.185:
	v_mov_b32_e32 v126, 8
	ds_store_2addr_b64 v122, v[96:97], v[98:99] offset0:9 offset1:10
	ds_store_2addr_b64 v122, v[38:39], v[94:95] offset0:11 offset1:12
	;; [unrolled: 1-line block ×23, first 2 shown]
	ds_store_b64 v122, v[116:117] offset:440
.LBB110_186:
	s_or_b32 exec_lo, exec_lo, s0
	s_delay_alu instid0(SALU_CYCLE_1)
	s_mov_b32 s0, exec_lo
	s_wait_storecnt_dscnt 0x0
	s_barrier_signal -1
	s_barrier_wait -1
	v_cmpx_lt_i32_e32 8, v126
	s_cbranch_execz .LBB110_188
; %bb.187:
	v_pk_mul_f32 v[128:129], v[120:121], v[100:101] op_sel:[1,1] op_sel_hi:[0,1]
	s_delay_alu instid0(VALU_DEP_1)
	v_pk_fma_f32 v[118:119], v[120:121], v[100:101], v[128:129] op_sel_hi:[1,0,1] neg_lo:[0,0,1] neg_hi:[0,0,1]
	v_pk_fma_f32 v[120:121], v[120:121], v[100:101], v[128:129] op_sel_hi:[1,0,1]
	ds_load_2addr_b64 v[128:131], v122 offset0:9 offset1:10
	v_dual_mov_b32 v100, v118 :: v_dual_mov_b32 v101, v121
	s_wait_dscnt 0x0
	v_pk_mul_f32 v[132:133], v[128:129], v[120:121] op_sel:[0,1]
	s_delay_alu instid0(VALU_DEP_1) | instskip(SKIP_1) | instid1(VALU_DEP_1)
	v_pk_fma_f32 v[134:135], v[128:129], v[118:119], v[132:133] op_sel:[0,0,1] op_sel_hi:[1,1,0] neg_lo:[0,0,1] neg_hi:[0,0,1]
	v_pk_fma_f32 v[128:129], v[128:129], v[118:119], v[132:133] op_sel:[0,0,1] op_sel_hi:[1,0,0]
	v_mov_b32_e32 v135, v129
	v_pk_mul_f32 v[128:129], v[130:131], v[120:121] op_sel:[0,1]
	s_delay_alu instid0(VALU_DEP_1) | instskip(SKIP_1) | instid1(VALU_DEP_1)
	v_pk_fma_f32 v[132:133], v[130:131], v[118:119], v[128:129] op_sel:[0,0,1] op_sel_hi:[1,1,0] neg_lo:[0,0,1] neg_hi:[0,0,1]
	v_pk_fma_f32 v[128:129], v[130:131], v[118:119], v[128:129] op_sel:[0,0,1] op_sel_hi:[1,0,0]
	v_mov_b32_e32 v133, v129
	ds_load_2addr_b64 v[128:131], v122 offset0:11 offset1:12
	v_pk_add_f32 v[96:97], v[96:97], v[134:135] neg_lo:[0,1] neg_hi:[0,1]
	v_pk_add_f32 v[98:99], v[98:99], v[132:133] neg_lo:[0,1] neg_hi:[0,1]
	s_wait_dscnt 0x0
	v_pk_mul_f32 v[132:133], v[128:129], v[120:121] op_sel:[0,1]
	s_delay_alu instid0(VALU_DEP_1) | instskip(SKIP_2) | instid1(VALU_DEP_2)
	v_pk_fma_f32 v[134:135], v[128:129], v[118:119], v[132:133] op_sel:[0,0,1] op_sel_hi:[1,1,0] neg_lo:[0,0,1] neg_hi:[0,0,1]
	v_pk_fma_f32 v[128:129], v[128:129], v[118:119], v[132:133] op_sel:[0,0,1] op_sel_hi:[1,0,0]
	v_dual_mul_f32 v132, v131, v121 :: v_dual_mov_b32 v128, v131
	v_dual_mov_b32 v135, v129 :: v_dual_mov_b32 v129, v130
	s_delay_alu instid0(VALU_DEP_2) | instskip(SKIP_1) | instid1(VALU_DEP_3)
	v_pk_fma_f32 v[132:133], v[130:131], v[100:101], v[132:133] op_sel_hi:[1,1,0] neg_lo:[0,0,1] neg_hi:[0,0,1]
	v_mul_f32_e32 v130, v131, v118
	v_pk_add_f32 v[38:39], v[38:39], v[134:135] neg_lo:[0,1] neg_hi:[0,1]
	s_delay_alu instid0(VALU_DEP_2) | instskip(NEXT) | instid1(VALU_DEP_1)
	v_pk_fma_f32 v[128:129], v[128:129], v[100:101], v[130:131] op_sel_hi:[1,1,0]
	v_mov_b32_e32 v133, v129
	ds_load_2addr_b64 v[128:131], v122 offset0:13 offset1:14
	v_pk_add_f32 v[94:95], v[94:95], v[132:133] neg_lo:[0,1] neg_hi:[0,1]
	s_wait_dscnt 0x0
	v_pk_mul_f32 v[132:133], v[128:129], v[120:121] op_sel:[0,1]
	s_delay_alu instid0(VALU_DEP_1) | instskip(SKIP_1) | instid1(VALU_DEP_1)
	v_pk_fma_f32 v[134:135], v[128:129], v[118:119], v[132:133] op_sel:[0,0,1] op_sel_hi:[1,1,0] neg_lo:[0,0,1] neg_hi:[0,0,1]
	v_pk_fma_f32 v[128:129], v[128:129], v[118:119], v[132:133] op_sel:[0,0,1] op_sel_hi:[1,0,0]
	v_mov_b32_e32 v135, v129
	v_pk_mul_f32 v[128:129], v[130:131], v[120:121] op_sel:[0,1]
	s_delay_alu instid0(VALU_DEP_1) | instskip(SKIP_1) | instid1(VALU_DEP_1)
	v_pk_fma_f32 v[132:133], v[130:131], v[118:119], v[128:129] op_sel:[0,0,1] op_sel_hi:[1,1,0] neg_lo:[0,0,1] neg_hi:[0,0,1]
	v_pk_fma_f32 v[128:129], v[130:131], v[118:119], v[128:129] op_sel:[0,0,1] op_sel_hi:[1,0,0]
	v_mov_b32_e32 v133, v129
	ds_load_2addr_b64 v[128:131], v122 offset0:15 offset1:16
	v_pk_add_f32 v[90:91], v[90:91], v[134:135] neg_lo:[0,1] neg_hi:[0,1]
	v_pk_add_f32 v[92:93], v[92:93], v[132:133] neg_lo:[0,1] neg_hi:[0,1]
	s_wait_dscnt 0x0
	v_pk_mul_f32 v[132:133], v[128:129], v[120:121] op_sel:[0,1]
	s_delay_alu instid0(VALU_DEP_1) | instskip(SKIP_1) | instid1(VALU_DEP_1)
	v_pk_fma_f32 v[134:135], v[128:129], v[118:119], v[132:133] op_sel:[0,0,1] op_sel_hi:[1,1,0] neg_lo:[0,0,1] neg_hi:[0,0,1]
	v_pk_fma_f32 v[128:129], v[128:129], v[118:119], v[132:133] op_sel:[0,0,1] op_sel_hi:[1,0,0]
	v_mov_b32_e32 v135, v129
	v_pk_mul_f32 v[128:129], v[130:131], v[120:121] op_sel:[0,1]
	s_delay_alu instid0(VALU_DEP_1) | instskip(SKIP_1) | instid1(VALU_DEP_1)
	v_pk_fma_f32 v[132:133], v[130:131], v[118:119], v[128:129] op_sel:[0,0,1] op_sel_hi:[1,1,0] neg_lo:[0,0,1] neg_hi:[0,0,1]
	v_pk_fma_f32 v[128:129], v[130:131], v[118:119], v[128:129] op_sel:[0,0,1] op_sel_hi:[1,0,0]
	v_mov_b32_e32 v133, v129
	ds_load_2addr_b64 v[128:131], v122 offset0:17 offset1:18
	v_pk_add_f32 v[36:37], v[36:37], v[134:135] neg_lo:[0,1] neg_hi:[0,1]
	v_pk_add_f32 v[88:89], v[88:89], v[132:133] neg_lo:[0,1] neg_hi:[0,1]
	s_wait_dscnt 0x0
	v_dual_mul_f32 v132, v129, v121 :: v_dual_mul_f32 v134, v129, v118
	s_delay_alu instid0(VALU_DEP_1) | instskip(NEXT) | instid1(VALU_DEP_2)
	v_pk_fma_f32 v[132:133], v[128:129], v[100:101], v[132:133] op_sel_hi:[1,1,0] neg_lo:[0,0,1] neg_hi:[0,0,1]
	v_pk_fma_f32 v[128:129], v[128:129], v[100:101], v[134:135] op_sel:[1,0,0] op_sel_hi:[0,1,0]
	s_delay_alu instid0(VALU_DEP_1) | instskip(SKIP_1) | instid1(VALU_DEP_2)
	v_mov_b32_e32 v133, v129
	v_pk_mul_f32 v[128:129], v[130:131], v[120:121] op_sel:[0,1]
	v_pk_add_f32 v[84:85], v[84:85], v[132:133] neg_lo:[0,1] neg_hi:[0,1]
	s_delay_alu instid0(VALU_DEP_2) | instskip(SKIP_1) | instid1(VALU_DEP_1)
	v_pk_fma_f32 v[132:133], v[130:131], v[118:119], v[128:129] op_sel:[0,0,1] op_sel_hi:[1,1,0] neg_lo:[0,0,1] neg_hi:[0,0,1]
	v_pk_fma_f32 v[128:129], v[130:131], v[118:119], v[128:129] op_sel:[0,0,1] op_sel_hi:[1,0,0]
	v_mov_b32_e32 v133, v129
	ds_load_2addr_b64 v[128:131], v122 offset0:19 offset1:20
	v_pk_add_f32 v[86:87], v[86:87], v[132:133] neg_lo:[0,1] neg_hi:[0,1]
	s_wait_dscnt 0x0
	v_pk_mul_f32 v[132:133], v[128:129], v[120:121] op_sel:[0,1]
	s_delay_alu instid0(VALU_DEP_1) | instskip(SKIP_1) | instid1(VALU_DEP_1)
	v_pk_fma_f32 v[134:135], v[128:129], v[118:119], v[132:133] op_sel:[0,0,1] op_sel_hi:[1,1,0] neg_lo:[0,0,1] neg_hi:[0,0,1]
	v_pk_fma_f32 v[128:129], v[128:129], v[118:119], v[132:133] op_sel:[0,0,1] op_sel_hi:[1,0,0]
	v_mov_b32_e32 v135, v129
	v_pk_mul_f32 v[128:129], v[130:131], v[120:121] op_sel:[0,1]
	s_delay_alu instid0(VALU_DEP_2) | instskip(NEXT) | instid1(VALU_DEP_2)
	v_pk_add_f32 v[30:31], v[30:31], v[134:135] neg_lo:[0,1] neg_hi:[0,1]
	v_pk_fma_f32 v[132:133], v[130:131], v[118:119], v[128:129] op_sel:[0,0,1] op_sel_hi:[1,1,0] neg_lo:[0,0,1] neg_hi:[0,0,1]
	v_pk_fma_f32 v[128:129], v[130:131], v[118:119], v[128:129] op_sel:[0,0,1] op_sel_hi:[1,0,0]
	s_delay_alu instid0(VALU_DEP_1) | instskip(SKIP_4) | instid1(VALU_DEP_1)
	v_mov_b32_e32 v133, v129
	ds_load_2addr_b64 v[128:131], v122 offset0:21 offset1:22
	v_pk_add_f32 v[82:83], v[82:83], v[132:133] neg_lo:[0,1] neg_hi:[0,1]
	s_wait_dscnt 0x0
	v_pk_mul_f32 v[132:133], v[128:129], v[120:121] op_sel:[0,1]
	v_pk_fma_f32 v[134:135], v[128:129], v[118:119], v[132:133] op_sel:[0,0,1] op_sel_hi:[1,1,0] neg_lo:[0,0,1] neg_hi:[0,0,1]
	v_pk_fma_f32 v[128:129], v[128:129], v[118:119], v[132:133] op_sel:[0,0,1] op_sel_hi:[1,0,0]
	v_dual_mul_f32 v132, v131, v121 :: v_dual_mov_b32 v128, v131
	s_delay_alu instid0(VALU_DEP_2) | instskip(NEXT) | instid1(VALU_DEP_2)
	v_dual_mov_b32 v135, v129 :: v_dual_mov_b32 v129, v130
	v_pk_fma_f32 v[132:133], v[130:131], v[100:101], v[132:133] op_sel_hi:[1,1,0] neg_lo:[0,0,1] neg_hi:[0,0,1]
	v_mul_f32_e32 v130, v131, v118
	s_delay_alu instid0(VALU_DEP_3) | instskip(NEXT) | instid1(VALU_DEP_2)
	v_pk_add_f32 v[78:79], v[78:79], v[134:135] neg_lo:[0,1] neg_hi:[0,1]
	v_pk_fma_f32 v[128:129], v[128:129], v[100:101], v[130:131] op_sel_hi:[1,1,0]
	s_delay_alu instid0(VALU_DEP_1) | instskip(SKIP_4) | instid1(VALU_DEP_1)
	v_mov_b32_e32 v133, v129
	ds_load_2addr_b64 v[128:131], v122 offset0:23 offset1:24
	v_pk_add_f32 v[80:81], v[80:81], v[132:133] neg_lo:[0,1] neg_hi:[0,1]
	s_wait_dscnt 0x0
	v_pk_mul_f32 v[132:133], v[128:129], v[120:121] op_sel:[0,1]
	v_pk_fma_f32 v[134:135], v[128:129], v[118:119], v[132:133] op_sel:[0,0,1] op_sel_hi:[1,1,0] neg_lo:[0,0,1] neg_hi:[0,0,1]
	v_pk_fma_f32 v[128:129], v[128:129], v[118:119], v[132:133] op_sel:[0,0,1] op_sel_hi:[1,0,0]
	s_delay_alu instid0(VALU_DEP_1) | instskip(SKIP_1) | instid1(VALU_DEP_1)
	v_mov_b32_e32 v135, v129
	v_pk_mul_f32 v[128:129], v[130:131], v[120:121] op_sel:[0,1]
	v_pk_fma_f32 v[132:133], v[130:131], v[118:119], v[128:129] op_sel:[0,0,1] op_sel_hi:[1,1,0] neg_lo:[0,0,1] neg_hi:[0,0,1]
	v_pk_fma_f32 v[128:129], v[130:131], v[118:119], v[128:129] op_sel:[0,0,1] op_sel_hi:[1,0,0]
	s_delay_alu instid0(VALU_DEP_1)
	v_mov_b32_e32 v133, v129
	ds_load_2addr_b64 v[128:131], v122 offset0:25 offset1:26
	v_pk_add_f32 v[24:25], v[24:25], v[134:135] neg_lo:[0,1] neg_hi:[0,1]
	v_pk_add_f32 v[76:77], v[76:77], v[132:133] neg_lo:[0,1] neg_hi:[0,1]
	s_wait_dscnt 0x0
	v_pk_mul_f32 v[132:133], v[128:129], v[120:121] op_sel:[0,1]
	s_delay_alu instid0(VALU_DEP_1) | instskip(SKIP_1) | instid1(VALU_DEP_1)
	v_pk_fma_f32 v[134:135], v[128:129], v[118:119], v[132:133] op_sel:[0,0,1] op_sel_hi:[1,1,0] neg_lo:[0,0,1] neg_hi:[0,0,1]
	v_pk_fma_f32 v[128:129], v[128:129], v[118:119], v[132:133] op_sel:[0,0,1] op_sel_hi:[1,0,0]
	v_mov_b32_e32 v135, v129
	v_pk_mul_f32 v[128:129], v[130:131], v[120:121] op_sel:[0,1]
	s_delay_alu instid0(VALU_DEP_1) | instskip(SKIP_1) | instid1(VALU_DEP_1)
	v_pk_fma_f32 v[132:133], v[130:131], v[118:119], v[128:129] op_sel:[0,0,1] op_sel_hi:[1,1,0] neg_lo:[0,0,1] neg_hi:[0,0,1]
	v_pk_fma_f32 v[128:129], v[130:131], v[118:119], v[128:129] op_sel:[0,0,1] op_sel_hi:[1,0,0]
	v_mov_b32_e32 v133, v129
	ds_load_2addr_b64 v[128:131], v122 offset0:27 offset1:28
	v_pk_add_f32 v[72:73], v[72:73], v[134:135] neg_lo:[0,1] neg_hi:[0,1]
	v_pk_add_f32 v[74:75], v[74:75], v[132:133] neg_lo:[0,1] neg_hi:[0,1]
	s_wait_dscnt 0x0
	v_dual_mul_f32 v132, v129, v121 :: v_dual_mul_f32 v134, v129, v118
	s_delay_alu instid0(VALU_DEP_1) | instskip(NEXT) | instid1(VALU_DEP_2)
	v_pk_fma_f32 v[132:133], v[128:129], v[100:101], v[132:133] op_sel_hi:[1,1,0] neg_lo:[0,0,1] neg_hi:[0,0,1]
	v_pk_fma_f32 v[128:129], v[128:129], v[100:101], v[134:135] op_sel:[1,0,0] op_sel_hi:[0,1,0]
	s_delay_alu instid0(VALU_DEP_1) | instskip(SKIP_1) | instid1(VALU_DEP_2)
	v_mov_b32_e32 v133, v129
	v_pk_mul_f32 v[128:129], v[130:131], v[120:121] op_sel:[0,1]
	v_pk_add_f32 v[18:19], v[18:19], v[132:133] neg_lo:[0,1] neg_hi:[0,1]
	s_delay_alu instid0(VALU_DEP_2) | instskip(SKIP_1) | instid1(VALU_DEP_1)
	v_pk_fma_f32 v[132:133], v[130:131], v[118:119], v[128:129] op_sel:[0,0,1] op_sel_hi:[1,1,0] neg_lo:[0,0,1] neg_hi:[0,0,1]
	v_pk_fma_f32 v[128:129], v[130:131], v[118:119], v[128:129] op_sel:[0,0,1] op_sel_hi:[1,0,0]
	v_mov_b32_e32 v133, v129
	ds_load_2addr_b64 v[128:131], v122 offset0:29 offset1:30
	v_pk_add_f32 v[70:71], v[70:71], v[132:133] neg_lo:[0,1] neg_hi:[0,1]
	s_wait_dscnt 0x0
	v_pk_mul_f32 v[132:133], v[128:129], v[120:121] op_sel:[0,1]
	s_delay_alu instid0(VALU_DEP_1) | instskip(SKIP_1) | instid1(VALU_DEP_1)
	v_pk_fma_f32 v[134:135], v[128:129], v[118:119], v[132:133] op_sel:[0,0,1] op_sel_hi:[1,1,0] neg_lo:[0,0,1] neg_hi:[0,0,1]
	v_pk_fma_f32 v[128:129], v[128:129], v[118:119], v[132:133] op_sel:[0,0,1] op_sel_hi:[1,0,0]
	v_mov_b32_e32 v135, v129
	v_pk_mul_f32 v[128:129], v[130:131], v[120:121] op_sel:[0,1]
	s_delay_alu instid0(VALU_DEP_2) | instskip(NEXT) | instid1(VALU_DEP_2)
	v_pk_add_f32 v[66:67], v[66:67], v[134:135] neg_lo:[0,1] neg_hi:[0,1]
	v_pk_fma_f32 v[132:133], v[130:131], v[118:119], v[128:129] op_sel:[0,0,1] op_sel_hi:[1,1,0] neg_lo:[0,0,1] neg_hi:[0,0,1]
	v_pk_fma_f32 v[128:129], v[130:131], v[118:119], v[128:129] op_sel:[0,0,1] op_sel_hi:[1,0,0]
	s_delay_alu instid0(VALU_DEP_1) | instskip(SKIP_4) | instid1(VALU_DEP_1)
	v_mov_b32_e32 v133, v129
	ds_load_2addr_b64 v[128:131], v122 offset0:31 offset1:32
	v_pk_add_f32 v[68:69], v[68:69], v[132:133] neg_lo:[0,1] neg_hi:[0,1]
	s_wait_dscnt 0x0
	v_pk_mul_f32 v[132:133], v[128:129], v[120:121] op_sel:[0,1]
	v_pk_fma_f32 v[134:135], v[128:129], v[118:119], v[132:133] op_sel:[0,0,1] op_sel_hi:[1,1,0] neg_lo:[0,0,1] neg_hi:[0,0,1]
	v_pk_fma_f32 v[128:129], v[128:129], v[118:119], v[132:133] op_sel:[0,0,1] op_sel_hi:[1,0,0]
	v_dual_mul_f32 v132, v131, v121 :: v_dual_mov_b32 v128, v131
	s_delay_alu instid0(VALU_DEP_2) | instskip(NEXT) | instid1(VALU_DEP_2)
	v_dual_mov_b32 v135, v129 :: v_dual_mov_b32 v129, v130
	v_pk_fma_f32 v[132:133], v[130:131], v[100:101], v[132:133] op_sel_hi:[1,1,0] neg_lo:[0,0,1] neg_hi:[0,0,1]
	v_mul_f32_e32 v130, v131, v118
	s_delay_alu instid0(VALU_DEP_3) | instskip(NEXT) | instid1(VALU_DEP_2)
	v_pk_add_f32 v[16:17], v[16:17], v[134:135] neg_lo:[0,1] neg_hi:[0,1]
	v_pk_fma_f32 v[128:129], v[128:129], v[100:101], v[130:131] op_sel_hi:[1,1,0]
	s_delay_alu instid0(VALU_DEP_1) | instskip(SKIP_4) | instid1(VALU_DEP_1)
	v_mov_b32_e32 v133, v129
	ds_load_2addr_b64 v[128:131], v122 offset0:33 offset1:34
	v_pk_add_f32 v[64:65], v[64:65], v[132:133] neg_lo:[0,1] neg_hi:[0,1]
	s_wait_dscnt 0x0
	v_pk_mul_f32 v[132:133], v[128:129], v[120:121] op_sel:[0,1]
	v_pk_fma_f32 v[134:135], v[128:129], v[118:119], v[132:133] op_sel:[0,0,1] op_sel_hi:[1,1,0] neg_lo:[0,0,1] neg_hi:[0,0,1]
	v_pk_fma_f32 v[128:129], v[128:129], v[118:119], v[132:133] op_sel:[0,0,1] op_sel_hi:[1,0,0]
	s_delay_alu instid0(VALU_DEP_1) | instskip(SKIP_1) | instid1(VALU_DEP_1)
	v_mov_b32_e32 v135, v129
	v_pk_mul_f32 v[128:129], v[130:131], v[120:121] op_sel:[0,1]
	v_pk_fma_f32 v[132:133], v[130:131], v[118:119], v[128:129] op_sel:[0,0,1] op_sel_hi:[1,1,0] neg_lo:[0,0,1] neg_hi:[0,0,1]
	v_pk_fma_f32 v[128:129], v[130:131], v[118:119], v[128:129] op_sel:[0,0,1] op_sel_hi:[1,0,0]
	s_delay_alu instid0(VALU_DEP_1)
	v_mov_b32_e32 v133, v129
	ds_load_2addr_b64 v[128:131], v122 offset0:35 offset1:36
	v_pk_add_f32 v[60:61], v[60:61], v[134:135] neg_lo:[0,1] neg_hi:[0,1]
	v_pk_add_f32 v[62:63], v[62:63], v[132:133] neg_lo:[0,1] neg_hi:[0,1]
	s_wait_dscnt 0x0
	v_pk_mul_f32 v[132:133], v[128:129], v[120:121] op_sel:[0,1]
	s_delay_alu instid0(VALU_DEP_1) | instskip(SKIP_1) | instid1(VALU_DEP_1)
	v_pk_fma_f32 v[134:135], v[128:129], v[118:119], v[132:133] op_sel:[0,0,1] op_sel_hi:[1,1,0] neg_lo:[0,0,1] neg_hi:[0,0,1]
	v_pk_fma_f32 v[128:129], v[128:129], v[118:119], v[132:133] op_sel:[0,0,1] op_sel_hi:[1,0,0]
	v_mov_b32_e32 v135, v129
	v_pk_mul_f32 v[128:129], v[130:131], v[120:121] op_sel:[0,1]
	s_delay_alu instid0(VALU_DEP_1) | instskip(SKIP_1) | instid1(VALU_DEP_1)
	v_pk_fma_f32 v[132:133], v[130:131], v[118:119], v[128:129] op_sel:[0,0,1] op_sel_hi:[1,1,0] neg_lo:[0,0,1] neg_hi:[0,0,1]
	v_pk_fma_f32 v[128:129], v[130:131], v[118:119], v[128:129] op_sel:[0,0,1] op_sel_hi:[1,0,0]
	v_mov_b32_e32 v133, v129
	ds_load_2addr_b64 v[128:131], v122 offset0:37 offset1:38
	v_pk_add_f32 v[14:15], v[14:15], v[134:135] neg_lo:[0,1] neg_hi:[0,1]
	v_pk_add_f32 v[58:59], v[58:59], v[132:133] neg_lo:[0,1] neg_hi:[0,1]
	s_wait_dscnt 0x0
	v_dual_mul_f32 v132, v129, v121 :: v_dual_mul_f32 v134, v129, v118
	s_delay_alu instid0(VALU_DEP_1) | instskip(NEXT) | instid1(VALU_DEP_2)
	v_pk_fma_f32 v[132:133], v[128:129], v[100:101], v[132:133] op_sel_hi:[1,1,0] neg_lo:[0,0,1] neg_hi:[0,0,1]
	v_pk_fma_f32 v[128:129], v[128:129], v[100:101], v[134:135] op_sel:[1,0,0] op_sel_hi:[0,1,0]
	s_delay_alu instid0(VALU_DEP_1) | instskip(SKIP_1) | instid1(VALU_DEP_2)
	v_mov_b32_e32 v133, v129
	v_pk_mul_f32 v[128:129], v[130:131], v[120:121] op_sel:[0,1]
	v_pk_add_f32 v[54:55], v[54:55], v[132:133] neg_lo:[0,1] neg_hi:[0,1]
	s_delay_alu instid0(VALU_DEP_2) | instskip(SKIP_1) | instid1(VALU_DEP_1)
	v_pk_fma_f32 v[132:133], v[130:131], v[118:119], v[128:129] op_sel:[0,0,1] op_sel_hi:[1,1,0] neg_lo:[0,0,1] neg_hi:[0,0,1]
	v_pk_fma_f32 v[128:129], v[130:131], v[118:119], v[128:129] op_sel:[0,0,1] op_sel_hi:[1,0,0]
	v_mov_b32_e32 v133, v129
	ds_load_2addr_b64 v[128:131], v122 offset0:39 offset1:40
	v_pk_add_f32 v[56:57], v[56:57], v[132:133] neg_lo:[0,1] neg_hi:[0,1]
	s_wait_dscnt 0x0
	v_pk_mul_f32 v[132:133], v[128:129], v[120:121] op_sel:[0,1]
	s_delay_alu instid0(VALU_DEP_1) | instskip(SKIP_1) | instid1(VALU_DEP_1)
	v_pk_fma_f32 v[134:135], v[128:129], v[118:119], v[132:133] op_sel:[0,0,1] op_sel_hi:[1,1,0] neg_lo:[0,0,1] neg_hi:[0,0,1]
	v_pk_fma_f32 v[128:129], v[128:129], v[118:119], v[132:133] op_sel:[0,0,1] op_sel_hi:[1,0,0]
	v_mov_b32_e32 v135, v129
	v_pk_mul_f32 v[128:129], v[130:131], v[120:121] op_sel:[0,1]
	s_delay_alu instid0(VALU_DEP_2) | instskip(NEXT) | instid1(VALU_DEP_2)
	v_pk_add_f32 v[12:13], v[12:13], v[134:135] neg_lo:[0,1] neg_hi:[0,1]
	v_pk_fma_f32 v[132:133], v[130:131], v[118:119], v[128:129] op_sel:[0,0,1] op_sel_hi:[1,1,0] neg_lo:[0,0,1] neg_hi:[0,0,1]
	v_pk_fma_f32 v[128:129], v[130:131], v[118:119], v[128:129] op_sel:[0,0,1] op_sel_hi:[1,0,0]
	s_delay_alu instid0(VALU_DEP_1) | instskip(SKIP_4) | instid1(VALU_DEP_1)
	v_mov_b32_e32 v133, v129
	ds_load_2addr_b64 v[128:131], v122 offset0:41 offset1:42
	v_pk_add_f32 v[52:53], v[52:53], v[132:133] neg_lo:[0,1] neg_hi:[0,1]
	s_wait_dscnt 0x0
	v_pk_mul_f32 v[132:133], v[128:129], v[120:121] op_sel:[0,1]
	v_pk_fma_f32 v[134:135], v[128:129], v[118:119], v[132:133] op_sel:[0,0,1] op_sel_hi:[1,1,0] neg_lo:[0,0,1] neg_hi:[0,0,1]
	v_pk_fma_f32 v[128:129], v[128:129], v[118:119], v[132:133] op_sel:[0,0,1] op_sel_hi:[1,0,0]
	v_dual_mul_f32 v132, v131, v121 :: v_dual_mov_b32 v128, v131
	s_delay_alu instid0(VALU_DEP_2) | instskip(NEXT) | instid1(VALU_DEP_2)
	v_dual_mov_b32 v135, v129 :: v_dual_mov_b32 v129, v130
	v_pk_fma_f32 v[132:133], v[130:131], v[100:101], v[132:133] op_sel_hi:[1,1,0] neg_lo:[0,0,1] neg_hi:[0,0,1]
	v_mul_f32_e32 v130, v131, v118
	s_delay_alu instid0(VALU_DEP_3) | instskip(NEXT) | instid1(VALU_DEP_2)
	v_pk_add_f32 v[48:49], v[48:49], v[134:135] neg_lo:[0,1] neg_hi:[0,1]
	v_pk_fma_f32 v[128:129], v[128:129], v[100:101], v[130:131] op_sel_hi:[1,1,0]
	s_delay_alu instid0(VALU_DEP_1) | instskip(SKIP_4) | instid1(VALU_DEP_1)
	v_mov_b32_e32 v133, v129
	ds_load_2addr_b64 v[128:131], v122 offset0:43 offset1:44
	v_pk_add_f32 v[50:51], v[50:51], v[132:133] neg_lo:[0,1] neg_hi:[0,1]
	s_wait_dscnt 0x0
	v_pk_mul_f32 v[132:133], v[128:129], v[120:121] op_sel:[0,1]
	v_pk_fma_f32 v[134:135], v[128:129], v[118:119], v[132:133] op_sel:[0,0,1] op_sel_hi:[1,1,0] neg_lo:[0,0,1] neg_hi:[0,0,1]
	v_pk_fma_f32 v[128:129], v[128:129], v[118:119], v[132:133] op_sel:[0,0,1] op_sel_hi:[1,0,0]
	s_delay_alu instid0(VALU_DEP_1) | instskip(SKIP_1) | instid1(VALU_DEP_1)
	v_mov_b32_e32 v135, v129
	v_pk_mul_f32 v[128:129], v[130:131], v[120:121] op_sel:[0,1]
	v_pk_fma_f32 v[132:133], v[130:131], v[118:119], v[128:129] op_sel:[0,0,1] op_sel_hi:[1,1,0] neg_lo:[0,0,1] neg_hi:[0,0,1]
	v_pk_fma_f32 v[128:129], v[130:131], v[118:119], v[128:129] op_sel:[0,0,1] op_sel_hi:[1,0,0]
	s_delay_alu instid0(VALU_DEP_1)
	v_mov_b32_e32 v133, v129
	ds_load_2addr_b64 v[128:131], v122 offset0:45 offset1:46
	v_pk_add_f32 v[10:11], v[10:11], v[134:135] neg_lo:[0,1] neg_hi:[0,1]
	v_pk_add_f32 v[46:47], v[46:47], v[132:133] neg_lo:[0,1] neg_hi:[0,1]
	s_wait_dscnt 0x0
	v_pk_mul_f32 v[132:133], v[128:129], v[120:121] op_sel:[0,1]
	s_delay_alu instid0(VALU_DEP_1) | instskip(SKIP_1) | instid1(VALU_DEP_1)
	v_pk_fma_f32 v[134:135], v[128:129], v[118:119], v[132:133] op_sel:[0,0,1] op_sel_hi:[1,1,0] neg_lo:[0,0,1] neg_hi:[0,0,1]
	v_pk_fma_f32 v[128:129], v[128:129], v[118:119], v[132:133] op_sel:[0,0,1] op_sel_hi:[1,0,0]
	v_mov_b32_e32 v135, v129
	v_pk_mul_f32 v[128:129], v[130:131], v[120:121] op_sel:[0,1]
	s_delay_alu instid0(VALU_DEP_1) | instskip(SKIP_1) | instid1(VALU_DEP_1)
	v_pk_fma_f32 v[132:133], v[130:131], v[118:119], v[128:129] op_sel:[0,0,1] op_sel_hi:[1,1,0] neg_lo:[0,0,1] neg_hi:[0,0,1]
	v_pk_fma_f32 v[128:129], v[130:131], v[118:119], v[128:129] op_sel:[0,0,1] op_sel_hi:[1,0,0]
	v_mov_b32_e32 v133, v129
	ds_load_2addr_b64 v[128:131], v122 offset0:47 offset1:48
	v_pk_add_f32 v[42:43], v[42:43], v[134:135] neg_lo:[0,1] neg_hi:[0,1]
	v_pk_add_f32 v[44:45], v[44:45], v[132:133] neg_lo:[0,1] neg_hi:[0,1]
	s_wait_dscnt 0x0
	v_dual_mul_f32 v132, v129, v121 :: v_dual_mul_f32 v134, v129, v118
	s_delay_alu instid0(VALU_DEP_1) | instskip(NEXT) | instid1(VALU_DEP_2)
	v_pk_fma_f32 v[132:133], v[128:129], v[100:101], v[132:133] op_sel_hi:[1,1,0] neg_lo:[0,0,1] neg_hi:[0,0,1]
	v_pk_fma_f32 v[128:129], v[128:129], v[100:101], v[134:135] op_sel:[1,0,0] op_sel_hi:[0,1,0]
	s_delay_alu instid0(VALU_DEP_1) | instskip(SKIP_1) | instid1(VALU_DEP_2)
	v_mov_b32_e32 v133, v129
	v_pk_mul_f32 v[128:129], v[130:131], v[120:121] op_sel:[0,1]
	v_pk_add_f32 v[6:7], v[6:7], v[132:133] neg_lo:[0,1] neg_hi:[0,1]
	s_delay_alu instid0(VALU_DEP_2) | instskip(SKIP_1) | instid1(VALU_DEP_1)
	v_pk_fma_f32 v[132:133], v[130:131], v[118:119], v[128:129] op_sel:[0,0,1] op_sel_hi:[1,1,0] neg_lo:[0,0,1] neg_hi:[0,0,1]
	v_pk_fma_f32 v[128:129], v[130:131], v[118:119], v[128:129] op_sel:[0,0,1] op_sel_hi:[1,0,0]
	v_mov_b32_e32 v133, v129
	ds_load_2addr_b64 v[128:131], v122 offset0:49 offset1:50
	v_pk_add_f32 v[34:35], v[34:35], v[132:133] neg_lo:[0,1] neg_hi:[0,1]
	s_wait_dscnt 0x0
	v_pk_mul_f32 v[132:133], v[128:129], v[120:121] op_sel:[0,1]
	s_delay_alu instid0(VALU_DEP_1) | instskip(SKIP_1) | instid1(VALU_DEP_1)
	v_pk_fma_f32 v[134:135], v[128:129], v[118:119], v[132:133] op_sel:[0,0,1] op_sel_hi:[1,1,0] neg_lo:[0,0,1] neg_hi:[0,0,1]
	v_pk_fma_f32 v[128:129], v[128:129], v[118:119], v[132:133] op_sel:[0,0,1] op_sel_hi:[1,0,0]
	v_mov_b32_e32 v135, v129
	v_pk_mul_f32 v[128:129], v[130:131], v[120:121] op_sel:[0,1]
	s_delay_alu instid0(VALU_DEP_2) | instskip(NEXT) | instid1(VALU_DEP_2)
	v_pk_add_f32 v[28:29], v[28:29], v[134:135] neg_lo:[0,1] neg_hi:[0,1]
	v_pk_fma_f32 v[132:133], v[130:131], v[118:119], v[128:129] op_sel:[0,0,1] op_sel_hi:[1,1,0] neg_lo:[0,0,1] neg_hi:[0,0,1]
	v_pk_fma_f32 v[128:129], v[130:131], v[118:119], v[128:129] op_sel:[0,0,1] op_sel_hi:[1,0,0]
	s_delay_alu instid0(VALU_DEP_1) | instskip(SKIP_4) | instid1(VALU_DEP_1)
	v_mov_b32_e32 v133, v129
	ds_load_2addr_b64 v[128:131], v122 offset0:51 offset1:52
	v_pk_add_f32 v[32:33], v[32:33], v[132:133] neg_lo:[0,1] neg_hi:[0,1]
	s_wait_dscnt 0x0
	v_pk_mul_f32 v[132:133], v[128:129], v[120:121] op_sel:[0,1]
	v_pk_fma_f32 v[134:135], v[128:129], v[118:119], v[132:133] op_sel:[0,0,1] op_sel_hi:[1,1,0] neg_lo:[0,0,1] neg_hi:[0,0,1]
	v_pk_fma_f32 v[128:129], v[128:129], v[118:119], v[132:133] op_sel:[0,0,1] op_sel_hi:[1,0,0]
	v_dual_mul_f32 v132, v131, v121 :: v_dual_mov_b32 v128, v131
	s_delay_alu instid0(VALU_DEP_2) | instskip(NEXT) | instid1(VALU_DEP_2)
	v_dual_mov_b32 v135, v129 :: v_dual_mov_b32 v129, v130
	v_pk_fma_f32 v[132:133], v[130:131], v[100:101], v[132:133] op_sel_hi:[1,1,0] neg_lo:[0,0,1] neg_hi:[0,0,1]
	v_mul_f32_e32 v130, v131, v118
	s_delay_alu instid0(VALU_DEP_3) | instskip(NEXT) | instid1(VALU_DEP_2)
	v_pk_add_f32 v[8:9], v[8:9], v[134:135] neg_lo:[0,1] neg_hi:[0,1]
	v_pk_fma_f32 v[128:129], v[128:129], v[100:101], v[130:131] op_sel_hi:[1,1,0]
	s_delay_alu instid0(VALU_DEP_1) | instskip(SKIP_4) | instid1(VALU_DEP_1)
	v_mov_b32_e32 v133, v129
	ds_load_2addr_b64 v[128:131], v122 offset0:53 offset1:54
	v_pk_add_f32 v[26:27], v[26:27], v[132:133] neg_lo:[0,1] neg_hi:[0,1]
	s_wait_dscnt 0x0
	v_pk_mul_f32 v[132:133], v[128:129], v[120:121] op_sel:[0,1]
	v_pk_fma_f32 v[134:135], v[128:129], v[118:119], v[132:133] op_sel:[0,0,1] op_sel_hi:[1,1,0] neg_lo:[0,0,1] neg_hi:[0,0,1]
	v_pk_fma_f32 v[128:129], v[128:129], v[118:119], v[132:133] op_sel:[0,0,1] op_sel_hi:[1,0,0]
	s_delay_alu instid0(VALU_DEP_1) | instskip(SKIP_1) | instid1(VALU_DEP_1)
	v_mov_b32_e32 v135, v129
	v_pk_mul_f32 v[128:129], v[130:131], v[120:121] op_sel:[0,1]
	v_pk_fma_f32 v[132:133], v[130:131], v[118:119], v[128:129] op_sel:[0,0,1] op_sel_hi:[1,1,0] neg_lo:[0,0,1] neg_hi:[0,0,1]
	v_pk_fma_f32 v[128:129], v[130:131], v[118:119], v[128:129] op_sel:[0,0,1] op_sel_hi:[1,0,0]
	s_delay_alu instid0(VALU_DEP_1)
	v_mov_b32_e32 v133, v129
	ds_load_b64 v[128:129], v122 offset:440
	v_pk_add_f32 v[22:23], v[22:23], v[134:135] neg_lo:[0,1] neg_hi:[0,1]
	v_pk_add_f32 v[20:21], v[20:21], v[132:133] neg_lo:[0,1] neg_hi:[0,1]
	s_wait_dscnt 0x0
	v_pk_mul_f32 v[120:121], v[128:129], v[120:121] op_sel:[0,1]
	s_delay_alu instid0(VALU_DEP_1) | instskip(SKIP_1) | instid1(VALU_DEP_1)
	v_pk_fma_f32 v[130:131], v[128:129], v[118:119], v[120:121] op_sel:[0,0,1] op_sel_hi:[1,1,0] neg_lo:[0,0,1] neg_hi:[0,0,1]
	v_pk_fma_f32 v[118:119], v[128:129], v[118:119], v[120:121] op_sel:[0,0,1] op_sel_hi:[1,0,0]
	v_mov_b32_e32 v131, v119
	s_delay_alu instid0(VALU_DEP_1)
	v_pk_add_f32 v[116:117], v[116:117], v[130:131] neg_lo:[0,1] neg_hi:[0,1]
.LBB110_188:
	s_or_b32 exec_lo, exec_lo, s0
	v_lshl_add_u32 v118, v126, 3, v122
	s_barrier_signal -1
	s_barrier_wait -1
	ds_store_b64 v118, v[96:97]
	s_wait_dscnt 0x0
	s_barrier_signal -1
	s_barrier_wait -1
	ds_load_b64 v[120:121], v122 offset:72
	v_mov_b32_e32 v118, 9
	s_cmp_lt_i32 s18, 11
	s_cbranch_scc1 .LBB110_191
; %bb.189:
	v_add3_u32 v119, v123, 0, 0x50
	v_mov_b32_e32 v118, 9
	s_mov_b32 s0, 10
.LBB110_190:                            ; =>This Inner Loop Header: Depth=1
	ds_load_b64 v[128:129], v119
	s_wait_dscnt 0x1
	v_cmp_gt_f32_e32 vcc_lo, 0, v120
	v_cndmask_b32_e64 v130, v120, -v120, vcc_lo
	v_cmp_gt_f32_e32 vcc_lo, 0, v121
	v_cndmask_b32_e64 v132, v121, -v121, vcc_lo
	s_wait_dscnt 0x0
	v_cmp_gt_f32_e32 vcc_lo, 0, v128
	v_cndmask_b32_e64 v131, v128, -v128, vcc_lo
	v_cmp_gt_f32_e32 vcc_lo, 0, v129
	v_cndmask_b32_e64 v133, v129, -v129, vcc_lo
	s_delay_alu instid0(VALU_DEP_1) | instskip(NEXT) | instid1(VALU_DEP_1)
	v_pk_add_f32 v[130:131], v[130:131], v[132:133]
	v_cmp_lt_f32_e32 vcc_lo, v130, v131
	v_dual_add_nc_u32 v119, 8, v119 :: v_dual_cndmask_b32 v121, v121, v129, vcc_lo
	v_cndmask_b32_e32 v120, v120, v128, vcc_lo
	v_cndmask_b32_e64 v118, v118, s0, vcc_lo
	s_add_co_i32 s0, s0, 1
	s_delay_alu instid0(SALU_CYCLE_1)
	s_cmp_lg_u32 s18, s0
	s_cbranch_scc1 .LBB110_190
.LBB110_191:
	s_wait_dscnt 0x0
	v_cmp_eq_f32_e32 vcc_lo, 0, v120
	v_cmp_eq_f32_e64 s0, 0, v121
	s_and_b32 s0, vcc_lo, s0
	s_delay_alu instid0(SALU_CYCLE_1) | instskip(NEXT) | instid1(SALU_CYCLE_1)
	s_and_saveexec_b32 s1, s0
	s_xor_b32 s0, exec_lo, s1
; %bb.192:
	v_cmp_ne_u32_e32 vcc_lo, 0, v124
	v_cndmask_b32_e32 v124, 10, v124, vcc_lo
; %bb.193:
	s_and_not1_saveexec_b32 s0, s0
	s_cbranch_execz .LBB110_199
; %bb.194:
	v_cmp_ngt_f32_e64 s1, |v120|, |v121|
	s_and_saveexec_b32 s12, s1
	s_delay_alu instid0(SALU_CYCLE_1)
	s_xor_b32 s1, exec_lo, s12
	s_cbranch_execz .LBB110_196
; %bb.195:
	v_div_scale_f32 v119, null, v121, v121, v120
	v_div_scale_f32 v129, vcc_lo, v120, v121, v120
	s_delay_alu instid0(VALU_DEP_2) | instskip(SKIP_1) | instid1(TRANS32_DEP_1)
	v_rcp_f32_e32 v127, v119
	v_nop
	v_fma_f32 v128, -v119, v127, 1.0
	s_delay_alu instid0(VALU_DEP_1) | instskip(NEXT) | instid1(VALU_DEP_1)
	v_fmac_f32_e32 v127, v128, v127
	v_mul_f32_e32 v128, v129, v127
	s_delay_alu instid0(VALU_DEP_1) | instskip(NEXT) | instid1(VALU_DEP_1)
	v_fma_f32 v130, -v119, v128, v129
	v_fmac_f32_e32 v128, v130, v127
	s_delay_alu instid0(VALU_DEP_1) | instskip(NEXT) | instid1(VALU_DEP_1)
	v_fma_f32 v119, -v119, v128, v129
	v_div_fmas_f32 v119, v119, v127, v128
	s_delay_alu instid0(VALU_DEP_1) | instskip(NEXT) | instid1(VALU_DEP_1)
	v_div_fixup_f32 v119, v119, v121, v120
	v_fmac_f32_e32 v121, v120, v119
	s_delay_alu instid0(VALU_DEP_1) | instskip(SKIP_1) | instid1(VALU_DEP_2)
	v_div_scale_f32 v120, null, v121, v121, 1.0
	v_div_scale_f32 v129, vcc_lo, 1.0, v121, 1.0
	v_rcp_f32_e32 v127, v120
	v_nop
	s_delay_alu instid0(TRANS32_DEP_1) | instskip(NEXT) | instid1(VALU_DEP_1)
	v_fma_f32 v128, -v120, v127, 1.0
	v_fmac_f32_e32 v127, v128, v127
	s_delay_alu instid0(VALU_DEP_1) | instskip(NEXT) | instid1(VALU_DEP_1)
	v_mul_f32_e32 v128, v129, v127
	v_fma_f32 v130, -v120, v128, v129
	s_delay_alu instid0(VALU_DEP_1) | instskip(NEXT) | instid1(VALU_DEP_1)
	v_fmac_f32_e32 v128, v130, v127
	v_fma_f32 v120, -v120, v128, v129
	s_delay_alu instid0(VALU_DEP_1) | instskip(NEXT) | instid1(VALU_DEP_1)
	v_div_fmas_f32 v120, v120, v127, v128
	v_div_fixup_f32 v121, v120, v121, 1.0
	s_delay_alu instid0(VALU_DEP_1)
	v_mul_f32_e32 v120, v119, v121
	v_xor_b32_e32 v121, 0x80000000, v121
.LBB110_196:
	s_and_not1_saveexec_b32 s1, s1
	s_cbranch_execz .LBB110_198
; %bb.197:
	s_delay_alu instid0(VALU_DEP_1) | instskip(SKIP_1) | instid1(VALU_DEP_2)
	v_div_scale_f32 v119, null, v120, v120, v121
	v_div_scale_f32 v129, vcc_lo, v121, v120, v121
	v_rcp_f32_e32 v127, v119
	v_nop
	s_delay_alu instid0(TRANS32_DEP_1) | instskip(NEXT) | instid1(VALU_DEP_1)
	v_fma_f32 v128, -v119, v127, 1.0
	v_fmac_f32_e32 v127, v128, v127
	s_delay_alu instid0(VALU_DEP_1) | instskip(NEXT) | instid1(VALU_DEP_1)
	v_mul_f32_e32 v128, v129, v127
	v_fma_f32 v130, -v119, v128, v129
	s_delay_alu instid0(VALU_DEP_1) | instskip(NEXT) | instid1(VALU_DEP_1)
	v_fmac_f32_e32 v128, v130, v127
	v_fma_f32 v119, -v119, v128, v129
	s_delay_alu instid0(VALU_DEP_1) | instskip(NEXT) | instid1(VALU_DEP_1)
	v_div_fmas_f32 v119, v119, v127, v128
	v_div_fixup_f32 v119, v119, v120, v121
	s_delay_alu instid0(VALU_DEP_1) | instskip(NEXT) | instid1(VALU_DEP_1)
	v_fmac_f32_e32 v120, v121, v119
	v_div_scale_f32 v121, null, v120, v120, 1.0
	s_delay_alu instid0(VALU_DEP_1) | instskip(SKIP_1) | instid1(TRANS32_DEP_1)
	v_rcp_f32_e32 v127, v121
	v_nop
	v_fma_f32 v128, -v121, v127, 1.0
	s_delay_alu instid0(VALU_DEP_1) | instskip(SKIP_1) | instid1(VALU_DEP_1)
	v_fmac_f32_e32 v127, v128, v127
	v_div_scale_f32 v128, vcc_lo, 1.0, v120, 1.0
	v_mul_f32_e32 v129, v128, v127
	s_delay_alu instid0(VALU_DEP_1) | instskip(NEXT) | instid1(VALU_DEP_1)
	v_fma_f32 v130, -v121, v129, v128
	v_fmac_f32_e32 v129, v130, v127
	s_delay_alu instid0(VALU_DEP_1) | instskip(NEXT) | instid1(VALU_DEP_1)
	v_fma_f32 v121, -v121, v129, v128
	v_div_fmas_f32 v121, v121, v127, v129
	s_delay_alu instid0(VALU_DEP_1) | instskip(NEXT) | instid1(VALU_DEP_1)
	v_div_fixup_f32 v120, v121, v120, 1.0
	v_mul_f32_e64 v121, v119, -v120
.LBB110_198:
	s_or_b32 exec_lo, exec_lo, s1
.LBB110_199:
	s_delay_alu instid0(SALU_CYCLE_1) | instskip(NEXT) | instid1(SALU_CYCLE_1)
	s_or_b32 exec_lo, exec_lo, s0
	s_mov_b32 s0, exec_lo
	v_cmpx_ne_u32_e64 v126, v118
	s_xor_b32 s0, exec_lo, s0
	s_cbranch_execz .LBB110_205
; %bb.200:
	s_mov_b32 s1, exec_lo
	v_cmpx_eq_u32_e32 9, v126
	s_cbranch_execz .LBB110_204
; %bb.201:
	v_cmp_ne_u32_e32 vcc_lo, 9, v118
	s_xor_b32 s12, s16, -1
	s_delay_alu instid0(SALU_CYCLE_1) | instskip(NEXT) | instid1(SALU_CYCLE_1)
	s_and_b32 s13, s12, vcc_lo
	s_and_saveexec_b32 s12, s13
	s_cbranch_execz .LBB110_203
; %bb.202:
	v_ashrrev_i32_e32 v119, 31, v118
	s_delay_alu instid0(VALU_DEP_1)
	v_lshl_add_u64 v[126:127], v[118:119], 2, v[4:5]
	s_clause 0x1
	global_load_b32 v119, v[126:127], off
	global_load_b32 v125, v[4:5], off offset:36
	s_wait_loadcnt 0x1
	global_store_b32 v[4:5], v119, off offset:36
	s_wait_loadcnt 0x0
	global_store_b32 v[126:127], v125, off
.LBB110_203:
	s_wait_xcnt 0x0
	s_or_b32 exec_lo, exec_lo, s12
	v_dual_mov_b32 v126, v118 :: v_dual_mov_b32 v125, v118
.LBB110_204:
	s_or_b32 exec_lo, exec_lo, s1
.LBB110_205:
	s_and_not1_saveexec_b32 s0, s0
	s_cbranch_execz .LBB110_207
; %bb.206:
	v_dual_mov_b32 v118, v98 :: v_dual_mov_b32 v119, v99
	v_dual_mov_b32 v126, v38 :: v_dual_mov_b32 v127, v39
	ds_store_2addr_b64 v122, v[118:119], v[126:127] offset0:10 offset1:11
	v_dual_mov_b32 v118, v94 :: v_dual_mov_b32 v119, v95
	v_dual_mov_b32 v126, v90 :: v_dual_mov_b32 v127, v91
	ds_store_2addr_b64 v122, v[118:119], v[126:127] offset0:12 offset1:13
	;; [unrolled: 3-line block ×22, first 2 shown]
	v_dual_mov_b32 v118, v20 :: v_dual_mov_b32 v119, v21
	v_mov_b32_e32 v126, 9
	ds_store_2addr_b64 v122, v[118:119], v[116:117] offset0:54 offset1:55
.LBB110_207:
	s_or_b32 exec_lo, exec_lo, s0
	s_delay_alu instid0(SALU_CYCLE_1)
	s_mov_b32 s0, exec_lo
	s_wait_storecnt_dscnt 0x0
	s_barrier_signal -1
	s_barrier_wait -1
	v_cmpx_lt_i32_e32 9, v126
	s_cbranch_execz .LBB110_209
; %bb.208:
	v_pk_mul_f32 v[128:129], v[120:121], v[96:97] op_sel:[1,1] op_sel_hi:[0,1]
	s_delay_alu instid0(VALU_DEP_1)
	v_pk_fma_f32 v[118:119], v[120:121], v[96:97], v[128:129] op_sel_hi:[1,0,1] neg_lo:[0,0,1] neg_hi:[0,0,1]
	v_pk_fma_f32 v[120:121], v[120:121], v[96:97], v[128:129] op_sel_hi:[1,0,1]
	ds_load_2addr_b64 v[128:131], v122 offset0:10 offset1:11
	v_dual_mov_b32 v96, v118 :: v_dual_mov_b32 v97, v121
	s_wait_dscnt 0x0
	v_pk_mul_f32 v[132:133], v[128:129], v[120:121] op_sel:[0,1]
	s_delay_alu instid0(VALU_DEP_1) | instskip(SKIP_1) | instid1(VALU_DEP_1)
	v_pk_fma_f32 v[134:135], v[128:129], v[118:119], v[132:133] op_sel:[0,0,1] op_sel_hi:[1,1,0] neg_lo:[0,0,1] neg_hi:[0,0,1]
	v_pk_fma_f32 v[128:129], v[128:129], v[118:119], v[132:133] op_sel:[0,0,1] op_sel_hi:[1,0,0]
	v_mov_b32_e32 v135, v129
	v_pk_mul_f32 v[128:129], v[130:131], v[120:121] op_sel:[0,1]
	s_delay_alu instid0(VALU_DEP_1) | instskip(SKIP_1) | instid1(VALU_DEP_1)
	v_pk_fma_f32 v[132:133], v[130:131], v[118:119], v[128:129] op_sel:[0,0,1] op_sel_hi:[1,1,0] neg_lo:[0,0,1] neg_hi:[0,0,1]
	v_pk_fma_f32 v[128:129], v[130:131], v[118:119], v[128:129] op_sel:[0,0,1] op_sel_hi:[1,0,0]
	v_mov_b32_e32 v133, v129
	ds_load_2addr_b64 v[128:131], v122 offset0:12 offset1:13
	v_pk_add_f32 v[98:99], v[98:99], v[134:135] neg_lo:[0,1] neg_hi:[0,1]
	v_pk_add_f32 v[38:39], v[38:39], v[132:133] neg_lo:[0,1] neg_hi:[0,1]
	s_wait_dscnt 0x0
	v_pk_mul_f32 v[132:133], v[128:129], v[120:121] op_sel:[0,1]
	s_delay_alu instid0(VALU_DEP_1) | instskip(SKIP_2) | instid1(VALU_DEP_2)
	v_pk_fma_f32 v[134:135], v[128:129], v[118:119], v[132:133] op_sel:[0,0,1] op_sel_hi:[1,1,0] neg_lo:[0,0,1] neg_hi:[0,0,1]
	v_pk_fma_f32 v[128:129], v[128:129], v[118:119], v[132:133] op_sel:[0,0,1] op_sel_hi:[1,0,0]
	v_dual_mul_f32 v132, v131, v121 :: v_dual_mov_b32 v128, v131
	v_dual_mov_b32 v135, v129 :: v_dual_mov_b32 v129, v130
	s_delay_alu instid0(VALU_DEP_2) | instskip(SKIP_1) | instid1(VALU_DEP_3)
	v_pk_fma_f32 v[132:133], v[130:131], v[96:97], v[132:133] op_sel_hi:[1,1,0] neg_lo:[0,0,1] neg_hi:[0,0,1]
	v_mul_f32_e32 v130, v131, v118
	v_pk_add_f32 v[94:95], v[94:95], v[134:135] neg_lo:[0,1] neg_hi:[0,1]
	s_delay_alu instid0(VALU_DEP_2) | instskip(NEXT) | instid1(VALU_DEP_1)
	v_pk_fma_f32 v[128:129], v[128:129], v[96:97], v[130:131] op_sel_hi:[1,1,0]
	v_mov_b32_e32 v133, v129
	ds_load_2addr_b64 v[128:131], v122 offset0:14 offset1:15
	v_pk_add_f32 v[90:91], v[90:91], v[132:133] neg_lo:[0,1] neg_hi:[0,1]
	s_wait_dscnt 0x0
	v_pk_mul_f32 v[132:133], v[128:129], v[120:121] op_sel:[0,1]
	s_delay_alu instid0(VALU_DEP_1) | instskip(SKIP_1) | instid1(VALU_DEP_1)
	v_pk_fma_f32 v[134:135], v[128:129], v[118:119], v[132:133] op_sel:[0,0,1] op_sel_hi:[1,1,0] neg_lo:[0,0,1] neg_hi:[0,0,1]
	v_pk_fma_f32 v[128:129], v[128:129], v[118:119], v[132:133] op_sel:[0,0,1] op_sel_hi:[1,0,0]
	v_mov_b32_e32 v135, v129
	v_pk_mul_f32 v[128:129], v[130:131], v[120:121] op_sel:[0,1]
	s_delay_alu instid0(VALU_DEP_1) | instskip(SKIP_1) | instid1(VALU_DEP_1)
	v_pk_fma_f32 v[132:133], v[130:131], v[118:119], v[128:129] op_sel:[0,0,1] op_sel_hi:[1,1,0] neg_lo:[0,0,1] neg_hi:[0,0,1]
	v_pk_fma_f32 v[128:129], v[130:131], v[118:119], v[128:129] op_sel:[0,0,1] op_sel_hi:[1,0,0]
	v_mov_b32_e32 v133, v129
	ds_load_2addr_b64 v[128:131], v122 offset0:16 offset1:17
	v_pk_add_f32 v[92:93], v[92:93], v[134:135] neg_lo:[0,1] neg_hi:[0,1]
	v_pk_add_f32 v[36:37], v[36:37], v[132:133] neg_lo:[0,1] neg_hi:[0,1]
	s_wait_dscnt 0x0
	v_pk_mul_f32 v[132:133], v[128:129], v[120:121] op_sel:[0,1]
	s_delay_alu instid0(VALU_DEP_1) | instskip(SKIP_1) | instid1(VALU_DEP_1)
	v_pk_fma_f32 v[134:135], v[128:129], v[118:119], v[132:133] op_sel:[0,0,1] op_sel_hi:[1,1,0] neg_lo:[0,0,1] neg_hi:[0,0,1]
	v_pk_fma_f32 v[128:129], v[128:129], v[118:119], v[132:133] op_sel:[0,0,1] op_sel_hi:[1,0,0]
	v_mov_b32_e32 v135, v129
	v_pk_mul_f32 v[128:129], v[130:131], v[120:121] op_sel:[0,1]
	s_delay_alu instid0(VALU_DEP_1) | instskip(SKIP_1) | instid1(VALU_DEP_1)
	v_pk_fma_f32 v[132:133], v[130:131], v[118:119], v[128:129] op_sel:[0,0,1] op_sel_hi:[1,1,0] neg_lo:[0,0,1] neg_hi:[0,0,1]
	v_pk_fma_f32 v[128:129], v[130:131], v[118:119], v[128:129] op_sel:[0,0,1] op_sel_hi:[1,0,0]
	v_mov_b32_e32 v133, v129
	ds_load_2addr_b64 v[128:131], v122 offset0:18 offset1:19
	v_pk_add_f32 v[88:89], v[88:89], v[134:135] neg_lo:[0,1] neg_hi:[0,1]
	v_pk_add_f32 v[84:85], v[84:85], v[132:133] neg_lo:[0,1] neg_hi:[0,1]
	s_wait_dscnt 0x0
	v_dual_mul_f32 v132, v129, v121 :: v_dual_mul_f32 v134, v129, v118
	s_delay_alu instid0(VALU_DEP_1) | instskip(NEXT) | instid1(VALU_DEP_2)
	v_pk_fma_f32 v[132:133], v[128:129], v[96:97], v[132:133] op_sel_hi:[1,1,0] neg_lo:[0,0,1] neg_hi:[0,0,1]
	v_pk_fma_f32 v[128:129], v[128:129], v[96:97], v[134:135] op_sel:[1,0,0] op_sel_hi:[0,1,0]
	s_delay_alu instid0(VALU_DEP_1) | instskip(SKIP_1) | instid1(VALU_DEP_2)
	v_mov_b32_e32 v133, v129
	v_pk_mul_f32 v[128:129], v[130:131], v[120:121] op_sel:[0,1]
	v_pk_add_f32 v[86:87], v[86:87], v[132:133] neg_lo:[0,1] neg_hi:[0,1]
	s_delay_alu instid0(VALU_DEP_2) | instskip(SKIP_1) | instid1(VALU_DEP_1)
	v_pk_fma_f32 v[132:133], v[130:131], v[118:119], v[128:129] op_sel:[0,0,1] op_sel_hi:[1,1,0] neg_lo:[0,0,1] neg_hi:[0,0,1]
	v_pk_fma_f32 v[128:129], v[130:131], v[118:119], v[128:129] op_sel:[0,0,1] op_sel_hi:[1,0,0]
	v_mov_b32_e32 v133, v129
	ds_load_2addr_b64 v[128:131], v122 offset0:20 offset1:21
	v_pk_add_f32 v[30:31], v[30:31], v[132:133] neg_lo:[0,1] neg_hi:[0,1]
	s_wait_dscnt 0x0
	v_pk_mul_f32 v[132:133], v[128:129], v[120:121] op_sel:[0,1]
	s_delay_alu instid0(VALU_DEP_1) | instskip(SKIP_1) | instid1(VALU_DEP_1)
	v_pk_fma_f32 v[134:135], v[128:129], v[118:119], v[132:133] op_sel:[0,0,1] op_sel_hi:[1,1,0] neg_lo:[0,0,1] neg_hi:[0,0,1]
	v_pk_fma_f32 v[128:129], v[128:129], v[118:119], v[132:133] op_sel:[0,0,1] op_sel_hi:[1,0,0]
	v_mov_b32_e32 v135, v129
	v_pk_mul_f32 v[128:129], v[130:131], v[120:121] op_sel:[0,1]
	s_delay_alu instid0(VALU_DEP_2) | instskip(NEXT) | instid1(VALU_DEP_2)
	v_pk_add_f32 v[82:83], v[82:83], v[134:135] neg_lo:[0,1] neg_hi:[0,1]
	v_pk_fma_f32 v[132:133], v[130:131], v[118:119], v[128:129] op_sel:[0,0,1] op_sel_hi:[1,1,0] neg_lo:[0,0,1] neg_hi:[0,0,1]
	v_pk_fma_f32 v[128:129], v[130:131], v[118:119], v[128:129] op_sel:[0,0,1] op_sel_hi:[1,0,0]
	s_delay_alu instid0(VALU_DEP_1) | instskip(SKIP_4) | instid1(VALU_DEP_1)
	v_mov_b32_e32 v133, v129
	ds_load_2addr_b64 v[128:131], v122 offset0:22 offset1:23
	v_pk_add_f32 v[78:79], v[78:79], v[132:133] neg_lo:[0,1] neg_hi:[0,1]
	s_wait_dscnt 0x0
	v_pk_mul_f32 v[132:133], v[128:129], v[120:121] op_sel:[0,1]
	v_pk_fma_f32 v[134:135], v[128:129], v[118:119], v[132:133] op_sel:[0,0,1] op_sel_hi:[1,1,0] neg_lo:[0,0,1] neg_hi:[0,0,1]
	v_pk_fma_f32 v[128:129], v[128:129], v[118:119], v[132:133] op_sel:[0,0,1] op_sel_hi:[1,0,0]
	v_dual_mul_f32 v132, v131, v121 :: v_dual_mov_b32 v128, v131
	s_delay_alu instid0(VALU_DEP_2) | instskip(NEXT) | instid1(VALU_DEP_2)
	v_dual_mov_b32 v135, v129 :: v_dual_mov_b32 v129, v130
	v_pk_fma_f32 v[132:133], v[130:131], v[96:97], v[132:133] op_sel_hi:[1,1,0] neg_lo:[0,0,1] neg_hi:[0,0,1]
	v_mul_f32_e32 v130, v131, v118
	s_delay_alu instid0(VALU_DEP_3) | instskip(NEXT) | instid1(VALU_DEP_2)
	v_pk_add_f32 v[80:81], v[80:81], v[134:135] neg_lo:[0,1] neg_hi:[0,1]
	v_pk_fma_f32 v[128:129], v[128:129], v[96:97], v[130:131] op_sel_hi:[1,1,0]
	s_delay_alu instid0(VALU_DEP_1) | instskip(SKIP_4) | instid1(VALU_DEP_1)
	v_mov_b32_e32 v133, v129
	ds_load_2addr_b64 v[128:131], v122 offset0:24 offset1:25
	v_pk_add_f32 v[24:25], v[24:25], v[132:133] neg_lo:[0,1] neg_hi:[0,1]
	s_wait_dscnt 0x0
	v_pk_mul_f32 v[132:133], v[128:129], v[120:121] op_sel:[0,1]
	v_pk_fma_f32 v[134:135], v[128:129], v[118:119], v[132:133] op_sel:[0,0,1] op_sel_hi:[1,1,0] neg_lo:[0,0,1] neg_hi:[0,0,1]
	v_pk_fma_f32 v[128:129], v[128:129], v[118:119], v[132:133] op_sel:[0,0,1] op_sel_hi:[1,0,0]
	s_delay_alu instid0(VALU_DEP_1) | instskip(SKIP_1) | instid1(VALU_DEP_1)
	v_mov_b32_e32 v135, v129
	v_pk_mul_f32 v[128:129], v[130:131], v[120:121] op_sel:[0,1]
	v_pk_fma_f32 v[132:133], v[130:131], v[118:119], v[128:129] op_sel:[0,0,1] op_sel_hi:[1,1,0] neg_lo:[0,0,1] neg_hi:[0,0,1]
	v_pk_fma_f32 v[128:129], v[130:131], v[118:119], v[128:129] op_sel:[0,0,1] op_sel_hi:[1,0,0]
	s_delay_alu instid0(VALU_DEP_1)
	v_mov_b32_e32 v133, v129
	ds_load_2addr_b64 v[128:131], v122 offset0:26 offset1:27
	v_pk_add_f32 v[76:77], v[76:77], v[134:135] neg_lo:[0,1] neg_hi:[0,1]
	v_pk_add_f32 v[72:73], v[72:73], v[132:133] neg_lo:[0,1] neg_hi:[0,1]
	s_wait_dscnt 0x0
	v_pk_mul_f32 v[132:133], v[128:129], v[120:121] op_sel:[0,1]
	s_delay_alu instid0(VALU_DEP_1) | instskip(SKIP_1) | instid1(VALU_DEP_1)
	v_pk_fma_f32 v[134:135], v[128:129], v[118:119], v[132:133] op_sel:[0,0,1] op_sel_hi:[1,1,0] neg_lo:[0,0,1] neg_hi:[0,0,1]
	v_pk_fma_f32 v[128:129], v[128:129], v[118:119], v[132:133] op_sel:[0,0,1] op_sel_hi:[1,0,0]
	v_mov_b32_e32 v135, v129
	v_pk_mul_f32 v[128:129], v[130:131], v[120:121] op_sel:[0,1]
	s_delay_alu instid0(VALU_DEP_1) | instskip(SKIP_1) | instid1(VALU_DEP_1)
	v_pk_fma_f32 v[132:133], v[130:131], v[118:119], v[128:129] op_sel:[0,0,1] op_sel_hi:[1,1,0] neg_lo:[0,0,1] neg_hi:[0,0,1]
	v_pk_fma_f32 v[128:129], v[130:131], v[118:119], v[128:129] op_sel:[0,0,1] op_sel_hi:[1,0,0]
	v_mov_b32_e32 v133, v129
	ds_load_2addr_b64 v[128:131], v122 offset0:28 offset1:29
	v_pk_add_f32 v[74:75], v[74:75], v[134:135] neg_lo:[0,1] neg_hi:[0,1]
	v_pk_add_f32 v[18:19], v[18:19], v[132:133] neg_lo:[0,1] neg_hi:[0,1]
	s_wait_dscnt 0x0
	v_dual_mul_f32 v132, v129, v121 :: v_dual_mul_f32 v134, v129, v118
	s_delay_alu instid0(VALU_DEP_1) | instskip(NEXT) | instid1(VALU_DEP_2)
	v_pk_fma_f32 v[132:133], v[128:129], v[96:97], v[132:133] op_sel_hi:[1,1,0] neg_lo:[0,0,1] neg_hi:[0,0,1]
	v_pk_fma_f32 v[128:129], v[128:129], v[96:97], v[134:135] op_sel:[1,0,0] op_sel_hi:[0,1,0]
	s_delay_alu instid0(VALU_DEP_1) | instskip(SKIP_1) | instid1(VALU_DEP_2)
	v_mov_b32_e32 v133, v129
	v_pk_mul_f32 v[128:129], v[130:131], v[120:121] op_sel:[0,1]
	v_pk_add_f32 v[70:71], v[70:71], v[132:133] neg_lo:[0,1] neg_hi:[0,1]
	s_delay_alu instid0(VALU_DEP_2) | instskip(SKIP_1) | instid1(VALU_DEP_1)
	v_pk_fma_f32 v[132:133], v[130:131], v[118:119], v[128:129] op_sel:[0,0,1] op_sel_hi:[1,1,0] neg_lo:[0,0,1] neg_hi:[0,0,1]
	v_pk_fma_f32 v[128:129], v[130:131], v[118:119], v[128:129] op_sel:[0,0,1] op_sel_hi:[1,0,0]
	v_mov_b32_e32 v133, v129
	ds_load_2addr_b64 v[128:131], v122 offset0:30 offset1:31
	v_pk_add_f32 v[66:67], v[66:67], v[132:133] neg_lo:[0,1] neg_hi:[0,1]
	s_wait_dscnt 0x0
	v_pk_mul_f32 v[132:133], v[128:129], v[120:121] op_sel:[0,1]
	s_delay_alu instid0(VALU_DEP_1) | instskip(SKIP_1) | instid1(VALU_DEP_1)
	v_pk_fma_f32 v[134:135], v[128:129], v[118:119], v[132:133] op_sel:[0,0,1] op_sel_hi:[1,1,0] neg_lo:[0,0,1] neg_hi:[0,0,1]
	v_pk_fma_f32 v[128:129], v[128:129], v[118:119], v[132:133] op_sel:[0,0,1] op_sel_hi:[1,0,0]
	v_mov_b32_e32 v135, v129
	v_pk_mul_f32 v[128:129], v[130:131], v[120:121] op_sel:[0,1]
	s_delay_alu instid0(VALU_DEP_2) | instskip(NEXT) | instid1(VALU_DEP_2)
	v_pk_add_f32 v[68:69], v[68:69], v[134:135] neg_lo:[0,1] neg_hi:[0,1]
	v_pk_fma_f32 v[132:133], v[130:131], v[118:119], v[128:129] op_sel:[0,0,1] op_sel_hi:[1,1,0] neg_lo:[0,0,1] neg_hi:[0,0,1]
	v_pk_fma_f32 v[128:129], v[130:131], v[118:119], v[128:129] op_sel:[0,0,1] op_sel_hi:[1,0,0]
	s_delay_alu instid0(VALU_DEP_1) | instskip(SKIP_4) | instid1(VALU_DEP_1)
	v_mov_b32_e32 v133, v129
	ds_load_2addr_b64 v[128:131], v122 offset0:32 offset1:33
	v_pk_add_f32 v[16:17], v[16:17], v[132:133] neg_lo:[0,1] neg_hi:[0,1]
	s_wait_dscnt 0x0
	v_pk_mul_f32 v[132:133], v[128:129], v[120:121] op_sel:[0,1]
	v_pk_fma_f32 v[134:135], v[128:129], v[118:119], v[132:133] op_sel:[0,0,1] op_sel_hi:[1,1,0] neg_lo:[0,0,1] neg_hi:[0,0,1]
	v_pk_fma_f32 v[128:129], v[128:129], v[118:119], v[132:133] op_sel:[0,0,1] op_sel_hi:[1,0,0]
	v_dual_mul_f32 v132, v131, v121 :: v_dual_mov_b32 v128, v131
	s_delay_alu instid0(VALU_DEP_2) | instskip(NEXT) | instid1(VALU_DEP_2)
	v_dual_mov_b32 v135, v129 :: v_dual_mov_b32 v129, v130
	v_pk_fma_f32 v[132:133], v[130:131], v[96:97], v[132:133] op_sel_hi:[1,1,0] neg_lo:[0,0,1] neg_hi:[0,0,1]
	v_mul_f32_e32 v130, v131, v118
	s_delay_alu instid0(VALU_DEP_3) | instskip(NEXT) | instid1(VALU_DEP_2)
	v_pk_add_f32 v[64:65], v[64:65], v[134:135] neg_lo:[0,1] neg_hi:[0,1]
	v_pk_fma_f32 v[128:129], v[128:129], v[96:97], v[130:131] op_sel_hi:[1,1,0]
	s_delay_alu instid0(VALU_DEP_1) | instskip(SKIP_4) | instid1(VALU_DEP_1)
	v_mov_b32_e32 v133, v129
	ds_load_2addr_b64 v[128:131], v122 offset0:34 offset1:35
	v_pk_add_f32 v[60:61], v[60:61], v[132:133] neg_lo:[0,1] neg_hi:[0,1]
	s_wait_dscnt 0x0
	v_pk_mul_f32 v[132:133], v[128:129], v[120:121] op_sel:[0,1]
	v_pk_fma_f32 v[134:135], v[128:129], v[118:119], v[132:133] op_sel:[0,0,1] op_sel_hi:[1,1,0] neg_lo:[0,0,1] neg_hi:[0,0,1]
	v_pk_fma_f32 v[128:129], v[128:129], v[118:119], v[132:133] op_sel:[0,0,1] op_sel_hi:[1,0,0]
	s_delay_alu instid0(VALU_DEP_1) | instskip(SKIP_1) | instid1(VALU_DEP_1)
	v_mov_b32_e32 v135, v129
	v_pk_mul_f32 v[128:129], v[130:131], v[120:121] op_sel:[0,1]
	v_pk_fma_f32 v[132:133], v[130:131], v[118:119], v[128:129] op_sel:[0,0,1] op_sel_hi:[1,1,0] neg_lo:[0,0,1] neg_hi:[0,0,1]
	v_pk_fma_f32 v[128:129], v[130:131], v[118:119], v[128:129] op_sel:[0,0,1] op_sel_hi:[1,0,0]
	s_delay_alu instid0(VALU_DEP_1)
	v_mov_b32_e32 v133, v129
	ds_load_2addr_b64 v[128:131], v122 offset0:36 offset1:37
	v_pk_add_f32 v[62:63], v[62:63], v[134:135] neg_lo:[0,1] neg_hi:[0,1]
	v_pk_add_f32 v[14:15], v[14:15], v[132:133] neg_lo:[0,1] neg_hi:[0,1]
	s_wait_dscnt 0x0
	v_pk_mul_f32 v[132:133], v[128:129], v[120:121] op_sel:[0,1]
	s_delay_alu instid0(VALU_DEP_1) | instskip(SKIP_1) | instid1(VALU_DEP_1)
	v_pk_fma_f32 v[134:135], v[128:129], v[118:119], v[132:133] op_sel:[0,0,1] op_sel_hi:[1,1,0] neg_lo:[0,0,1] neg_hi:[0,0,1]
	v_pk_fma_f32 v[128:129], v[128:129], v[118:119], v[132:133] op_sel:[0,0,1] op_sel_hi:[1,0,0]
	v_mov_b32_e32 v135, v129
	v_pk_mul_f32 v[128:129], v[130:131], v[120:121] op_sel:[0,1]
	s_delay_alu instid0(VALU_DEP_1) | instskip(SKIP_1) | instid1(VALU_DEP_1)
	v_pk_fma_f32 v[132:133], v[130:131], v[118:119], v[128:129] op_sel:[0,0,1] op_sel_hi:[1,1,0] neg_lo:[0,0,1] neg_hi:[0,0,1]
	v_pk_fma_f32 v[128:129], v[130:131], v[118:119], v[128:129] op_sel:[0,0,1] op_sel_hi:[1,0,0]
	v_mov_b32_e32 v133, v129
	ds_load_2addr_b64 v[128:131], v122 offset0:38 offset1:39
	v_pk_add_f32 v[58:59], v[58:59], v[134:135] neg_lo:[0,1] neg_hi:[0,1]
	v_pk_add_f32 v[54:55], v[54:55], v[132:133] neg_lo:[0,1] neg_hi:[0,1]
	s_wait_dscnt 0x0
	v_dual_mul_f32 v132, v129, v121 :: v_dual_mul_f32 v134, v129, v118
	s_delay_alu instid0(VALU_DEP_1) | instskip(NEXT) | instid1(VALU_DEP_2)
	v_pk_fma_f32 v[132:133], v[128:129], v[96:97], v[132:133] op_sel_hi:[1,1,0] neg_lo:[0,0,1] neg_hi:[0,0,1]
	v_pk_fma_f32 v[128:129], v[128:129], v[96:97], v[134:135] op_sel:[1,0,0] op_sel_hi:[0,1,0]
	s_delay_alu instid0(VALU_DEP_1) | instskip(SKIP_1) | instid1(VALU_DEP_2)
	v_mov_b32_e32 v133, v129
	v_pk_mul_f32 v[128:129], v[130:131], v[120:121] op_sel:[0,1]
	v_pk_add_f32 v[56:57], v[56:57], v[132:133] neg_lo:[0,1] neg_hi:[0,1]
	s_delay_alu instid0(VALU_DEP_2) | instskip(SKIP_1) | instid1(VALU_DEP_1)
	v_pk_fma_f32 v[132:133], v[130:131], v[118:119], v[128:129] op_sel:[0,0,1] op_sel_hi:[1,1,0] neg_lo:[0,0,1] neg_hi:[0,0,1]
	v_pk_fma_f32 v[128:129], v[130:131], v[118:119], v[128:129] op_sel:[0,0,1] op_sel_hi:[1,0,0]
	v_mov_b32_e32 v133, v129
	ds_load_2addr_b64 v[128:131], v122 offset0:40 offset1:41
	v_pk_add_f32 v[12:13], v[12:13], v[132:133] neg_lo:[0,1] neg_hi:[0,1]
	s_wait_dscnt 0x0
	v_pk_mul_f32 v[132:133], v[128:129], v[120:121] op_sel:[0,1]
	s_delay_alu instid0(VALU_DEP_1) | instskip(SKIP_1) | instid1(VALU_DEP_1)
	v_pk_fma_f32 v[134:135], v[128:129], v[118:119], v[132:133] op_sel:[0,0,1] op_sel_hi:[1,1,0] neg_lo:[0,0,1] neg_hi:[0,0,1]
	v_pk_fma_f32 v[128:129], v[128:129], v[118:119], v[132:133] op_sel:[0,0,1] op_sel_hi:[1,0,0]
	v_mov_b32_e32 v135, v129
	v_pk_mul_f32 v[128:129], v[130:131], v[120:121] op_sel:[0,1]
	s_delay_alu instid0(VALU_DEP_2) | instskip(NEXT) | instid1(VALU_DEP_2)
	v_pk_add_f32 v[52:53], v[52:53], v[134:135] neg_lo:[0,1] neg_hi:[0,1]
	v_pk_fma_f32 v[132:133], v[130:131], v[118:119], v[128:129] op_sel:[0,0,1] op_sel_hi:[1,1,0] neg_lo:[0,0,1] neg_hi:[0,0,1]
	v_pk_fma_f32 v[128:129], v[130:131], v[118:119], v[128:129] op_sel:[0,0,1] op_sel_hi:[1,0,0]
	s_delay_alu instid0(VALU_DEP_1) | instskip(SKIP_4) | instid1(VALU_DEP_1)
	v_mov_b32_e32 v133, v129
	ds_load_2addr_b64 v[128:131], v122 offset0:42 offset1:43
	v_pk_add_f32 v[48:49], v[48:49], v[132:133] neg_lo:[0,1] neg_hi:[0,1]
	s_wait_dscnt 0x0
	v_pk_mul_f32 v[132:133], v[128:129], v[120:121] op_sel:[0,1]
	v_pk_fma_f32 v[134:135], v[128:129], v[118:119], v[132:133] op_sel:[0,0,1] op_sel_hi:[1,1,0] neg_lo:[0,0,1] neg_hi:[0,0,1]
	v_pk_fma_f32 v[128:129], v[128:129], v[118:119], v[132:133] op_sel:[0,0,1] op_sel_hi:[1,0,0]
	v_dual_mul_f32 v132, v131, v121 :: v_dual_mov_b32 v128, v131
	s_delay_alu instid0(VALU_DEP_2) | instskip(NEXT) | instid1(VALU_DEP_2)
	v_dual_mov_b32 v135, v129 :: v_dual_mov_b32 v129, v130
	v_pk_fma_f32 v[132:133], v[130:131], v[96:97], v[132:133] op_sel_hi:[1,1,0] neg_lo:[0,0,1] neg_hi:[0,0,1]
	v_mul_f32_e32 v130, v131, v118
	s_delay_alu instid0(VALU_DEP_3) | instskip(NEXT) | instid1(VALU_DEP_2)
	v_pk_add_f32 v[50:51], v[50:51], v[134:135] neg_lo:[0,1] neg_hi:[0,1]
	v_pk_fma_f32 v[128:129], v[128:129], v[96:97], v[130:131] op_sel_hi:[1,1,0]
	s_delay_alu instid0(VALU_DEP_1) | instskip(SKIP_4) | instid1(VALU_DEP_1)
	v_mov_b32_e32 v133, v129
	ds_load_2addr_b64 v[128:131], v122 offset0:44 offset1:45
	v_pk_add_f32 v[10:11], v[10:11], v[132:133] neg_lo:[0,1] neg_hi:[0,1]
	s_wait_dscnt 0x0
	v_pk_mul_f32 v[132:133], v[128:129], v[120:121] op_sel:[0,1]
	v_pk_fma_f32 v[134:135], v[128:129], v[118:119], v[132:133] op_sel:[0,0,1] op_sel_hi:[1,1,0] neg_lo:[0,0,1] neg_hi:[0,0,1]
	v_pk_fma_f32 v[128:129], v[128:129], v[118:119], v[132:133] op_sel:[0,0,1] op_sel_hi:[1,0,0]
	s_delay_alu instid0(VALU_DEP_1) | instskip(SKIP_1) | instid1(VALU_DEP_1)
	v_mov_b32_e32 v135, v129
	v_pk_mul_f32 v[128:129], v[130:131], v[120:121] op_sel:[0,1]
	v_pk_fma_f32 v[132:133], v[130:131], v[118:119], v[128:129] op_sel:[0,0,1] op_sel_hi:[1,1,0] neg_lo:[0,0,1] neg_hi:[0,0,1]
	v_pk_fma_f32 v[128:129], v[130:131], v[118:119], v[128:129] op_sel:[0,0,1] op_sel_hi:[1,0,0]
	s_delay_alu instid0(VALU_DEP_1)
	v_mov_b32_e32 v133, v129
	ds_load_2addr_b64 v[128:131], v122 offset0:46 offset1:47
	v_pk_add_f32 v[46:47], v[46:47], v[134:135] neg_lo:[0,1] neg_hi:[0,1]
	v_pk_add_f32 v[42:43], v[42:43], v[132:133] neg_lo:[0,1] neg_hi:[0,1]
	s_wait_dscnt 0x0
	v_pk_mul_f32 v[132:133], v[128:129], v[120:121] op_sel:[0,1]
	s_delay_alu instid0(VALU_DEP_1) | instskip(SKIP_1) | instid1(VALU_DEP_1)
	v_pk_fma_f32 v[134:135], v[128:129], v[118:119], v[132:133] op_sel:[0,0,1] op_sel_hi:[1,1,0] neg_lo:[0,0,1] neg_hi:[0,0,1]
	v_pk_fma_f32 v[128:129], v[128:129], v[118:119], v[132:133] op_sel:[0,0,1] op_sel_hi:[1,0,0]
	v_mov_b32_e32 v135, v129
	v_pk_mul_f32 v[128:129], v[130:131], v[120:121] op_sel:[0,1]
	s_delay_alu instid0(VALU_DEP_1) | instskip(SKIP_1) | instid1(VALU_DEP_1)
	v_pk_fma_f32 v[132:133], v[130:131], v[118:119], v[128:129] op_sel:[0,0,1] op_sel_hi:[1,1,0] neg_lo:[0,0,1] neg_hi:[0,0,1]
	v_pk_fma_f32 v[128:129], v[130:131], v[118:119], v[128:129] op_sel:[0,0,1] op_sel_hi:[1,0,0]
	v_mov_b32_e32 v133, v129
	ds_load_2addr_b64 v[128:131], v122 offset0:48 offset1:49
	v_pk_add_f32 v[44:45], v[44:45], v[134:135] neg_lo:[0,1] neg_hi:[0,1]
	v_pk_add_f32 v[6:7], v[6:7], v[132:133] neg_lo:[0,1] neg_hi:[0,1]
	s_wait_dscnt 0x0
	v_dual_mul_f32 v132, v129, v121 :: v_dual_mul_f32 v134, v129, v118
	s_delay_alu instid0(VALU_DEP_1) | instskip(NEXT) | instid1(VALU_DEP_2)
	v_pk_fma_f32 v[132:133], v[128:129], v[96:97], v[132:133] op_sel_hi:[1,1,0] neg_lo:[0,0,1] neg_hi:[0,0,1]
	v_pk_fma_f32 v[128:129], v[128:129], v[96:97], v[134:135] op_sel:[1,0,0] op_sel_hi:[0,1,0]
	s_delay_alu instid0(VALU_DEP_1) | instskip(SKIP_1) | instid1(VALU_DEP_2)
	v_mov_b32_e32 v133, v129
	v_pk_mul_f32 v[128:129], v[130:131], v[120:121] op_sel:[0,1]
	v_pk_add_f32 v[34:35], v[34:35], v[132:133] neg_lo:[0,1] neg_hi:[0,1]
	s_delay_alu instid0(VALU_DEP_2) | instskip(SKIP_1) | instid1(VALU_DEP_1)
	v_pk_fma_f32 v[132:133], v[130:131], v[118:119], v[128:129] op_sel:[0,0,1] op_sel_hi:[1,1,0] neg_lo:[0,0,1] neg_hi:[0,0,1]
	v_pk_fma_f32 v[128:129], v[130:131], v[118:119], v[128:129] op_sel:[0,0,1] op_sel_hi:[1,0,0]
	v_mov_b32_e32 v133, v129
	ds_load_2addr_b64 v[128:131], v122 offset0:50 offset1:51
	v_pk_add_f32 v[28:29], v[28:29], v[132:133] neg_lo:[0,1] neg_hi:[0,1]
	s_wait_dscnt 0x0
	v_pk_mul_f32 v[132:133], v[128:129], v[120:121] op_sel:[0,1]
	s_delay_alu instid0(VALU_DEP_1) | instskip(SKIP_1) | instid1(VALU_DEP_1)
	v_pk_fma_f32 v[134:135], v[128:129], v[118:119], v[132:133] op_sel:[0,0,1] op_sel_hi:[1,1,0] neg_lo:[0,0,1] neg_hi:[0,0,1]
	v_pk_fma_f32 v[128:129], v[128:129], v[118:119], v[132:133] op_sel:[0,0,1] op_sel_hi:[1,0,0]
	v_mov_b32_e32 v135, v129
	v_pk_mul_f32 v[128:129], v[130:131], v[120:121] op_sel:[0,1]
	s_delay_alu instid0(VALU_DEP_2) | instskip(NEXT) | instid1(VALU_DEP_2)
	v_pk_add_f32 v[32:33], v[32:33], v[134:135] neg_lo:[0,1] neg_hi:[0,1]
	v_pk_fma_f32 v[132:133], v[130:131], v[118:119], v[128:129] op_sel:[0,0,1] op_sel_hi:[1,1,0] neg_lo:[0,0,1] neg_hi:[0,0,1]
	v_pk_fma_f32 v[128:129], v[130:131], v[118:119], v[128:129] op_sel:[0,0,1] op_sel_hi:[1,0,0]
	s_delay_alu instid0(VALU_DEP_1) | instskip(SKIP_4) | instid1(VALU_DEP_1)
	v_mov_b32_e32 v133, v129
	ds_load_2addr_b64 v[128:131], v122 offset0:52 offset1:53
	v_pk_add_f32 v[8:9], v[8:9], v[132:133] neg_lo:[0,1] neg_hi:[0,1]
	s_wait_dscnt 0x0
	v_pk_mul_f32 v[132:133], v[128:129], v[120:121] op_sel:[0,1]
	v_pk_fma_f32 v[134:135], v[128:129], v[118:119], v[132:133] op_sel:[0,0,1] op_sel_hi:[1,1,0] neg_lo:[0,0,1] neg_hi:[0,0,1]
	v_pk_fma_f32 v[128:129], v[128:129], v[118:119], v[132:133] op_sel:[0,0,1] op_sel_hi:[1,0,0]
	v_dual_mul_f32 v132, v131, v121 :: v_dual_mov_b32 v128, v131
	s_delay_alu instid0(VALU_DEP_2) | instskip(NEXT) | instid1(VALU_DEP_2)
	v_dual_mov_b32 v135, v129 :: v_dual_mov_b32 v129, v130
	v_pk_fma_f32 v[132:133], v[130:131], v[96:97], v[132:133] op_sel_hi:[1,1,0] neg_lo:[0,0,1] neg_hi:[0,0,1]
	v_mul_f32_e32 v130, v131, v118
	s_delay_alu instid0(VALU_DEP_3) | instskip(NEXT) | instid1(VALU_DEP_2)
	v_pk_add_f32 v[26:27], v[26:27], v[134:135] neg_lo:[0,1] neg_hi:[0,1]
	v_pk_fma_f32 v[128:129], v[128:129], v[96:97], v[130:131] op_sel_hi:[1,1,0]
	s_delay_alu instid0(VALU_DEP_1)
	v_mov_b32_e32 v133, v129
	ds_load_2addr_b64 v[128:131], v122 offset0:54 offset1:55
	v_pk_add_f32 v[22:23], v[22:23], v[132:133] neg_lo:[0,1] neg_hi:[0,1]
	s_wait_dscnt 0x0
	v_pk_mul_f32 v[132:133], v[128:129], v[120:121] op_sel:[0,1]
	v_pk_mul_f32 v[120:121], v[130:131], v[120:121] op_sel:[0,1]
	s_delay_alu instid0(VALU_DEP_2) | instskip(SKIP_1) | instid1(VALU_DEP_1)
	v_pk_fma_f32 v[134:135], v[128:129], v[118:119], v[132:133] op_sel:[0,0,1] op_sel_hi:[1,1,0] neg_lo:[0,0,1] neg_hi:[0,0,1]
	v_pk_fma_f32 v[128:129], v[128:129], v[118:119], v[132:133] op_sel:[0,0,1] op_sel_hi:[1,0,0]
	v_mov_b32_e32 v135, v129
	s_delay_alu instid0(VALU_DEP_4) | instskip(SKIP_1) | instid1(VALU_DEP_1)
	v_pk_fma_f32 v[128:129], v[130:131], v[118:119], v[120:121] op_sel:[0,0,1] op_sel_hi:[1,1,0] neg_lo:[0,0,1] neg_hi:[0,0,1]
	v_pk_fma_f32 v[118:119], v[130:131], v[118:119], v[120:121] op_sel:[0,0,1] op_sel_hi:[1,0,0]
	v_mov_b32_e32 v129, v119
	s_delay_alu instid0(VALU_DEP_4) | instskip(NEXT) | instid1(VALU_DEP_2)
	v_pk_add_f32 v[20:21], v[20:21], v[134:135] neg_lo:[0,1] neg_hi:[0,1]
	v_pk_add_f32 v[116:117], v[116:117], v[128:129] neg_lo:[0,1] neg_hi:[0,1]
.LBB110_209:
	s_or_b32 exec_lo, exec_lo, s0
	v_lshl_add_u32 v118, v126, 3, v122
	s_barrier_signal -1
	s_barrier_wait -1
	ds_store_b64 v118, v[98:99]
	s_wait_dscnt 0x0
	s_barrier_signal -1
	s_barrier_wait -1
	ds_load_b64 v[120:121], v122 offset:80
	v_mov_b32_e32 v118, 10
	s_cmp_lt_i32 s18, 12
	s_cbranch_scc1 .LBB110_212
; %bb.210:
	v_add3_u32 v119, v123, 0, 0x58
	v_mov_b32_e32 v118, 10
	s_mov_b32 s0, 11
.LBB110_211:                            ; =>This Inner Loop Header: Depth=1
	ds_load_b64 v[128:129], v119
	s_wait_dscnt 0x1
	v_cmp_gt_f32_e32 vcc_lo, 0, v120
	v_cndmask_b32_e64 v130, v120, -v120, vcc_lo
	v_cmp_gt_f32_e32 vcc_lo, 0, v121
	v_cndmask_b32_e64 v132, v121, -v121, vcc_lo
	s_wait_dscnt 0x0
	v_cmp_gt_f32_e32 vcc_lo, 0, v128
	v_cndmask_b32_e64 v131, v128, -v128, vcc_lo
	v_cmp_gt_f32_e32 vcc_lo, 0, v129
	v_cndmask_b32_e64 v133, v129, -v129, vcc_lo
	s_delay_alu instid0(VALU_DEP_1) | instskip(NEXT) | instid1(VALU_DEP_1)
	v_pk_add_f32 v[130:131], v[130:131], v[132:133]
	v_cmp_lt_f32_e32 vcc_lo, v130, v131
	v_dual_add_nc_u32 v119, 8, v119 :: v_dual_cndmask_b32 v121, v121, v129, vcc_lo
	v_cndmask_b32_e32 v120, v120, v128, vcc_lo
	v_cndmask_b32_e64 v118, v118, s0, vcc_lo
	s_add_co_i32 s0, s0, 1
	s_delay_alu instid0(SALU_CYCLE_1)
	s_cmp_lg_u32 s18, s0
	s_cbranch_scc1 .LBB110_211
.LBB110_212:
	s_wait_dscnt 0x0
	v_cmp_eq_f32_e32 vcc_lo, 0, v120
	v_cmp_eq_f32_e64 s0, 0, v121
	s_and_b32 s0, vcc_lo, s0
	s_delay_alu instid0(SALU_CYCLE_1) | instskip(NEXT) | instid1(SALU_CYCLE_1)
	s_and_saveexec_b32 s1, s0
	s_xor_b32 s0, exec_lo, s1
; %bb.213:
	v_cmp_ne_u32_e32 vcc_lo, 0, v124
	v_cndmask_b32_e32 v124, 11, v124, vcc_lo
; %bb.214:
	s_and_not1_saveexec_b32 s0, s0
	s_cbranch_execz .LBB110_220
; %bb.215:
	v_cmp_ngt_f32_e64 s1, |v120|, |v121|
	s_and_saveexec_b32 s12, s1
	s_delay_alu instid0(SALU_CYCLE_1)
	s_xor_b32 s1, exec_lo, s12
	s_cbranch_execz .LBB110_217
; %bb.216:
	v_div_scale_f32 v119, null, v121, v121, v120
	v_div_scale_f32 v129, vcc_lo, v120, v121, v120
	s_delay_alu instid0(VALU_DEP_2) | instskip(SKIP_1) | instid1(TRANS32_DEP_1)
	v_rcp_f32_e32 v127, v119
	v_nop
	v_fma_f32 v128, -v119, v127, 1.0
	s_delay_alu instid0(VALU_DEP_1) | instskip(NEXT) | instid1(VALU_DEP_1)
	v_fmac_f32_e32 v127, v128, v127
	v_mul_f32_e32 v128, v129, v127
	s_delay_alu instid0(VALU_DEP_1) | instskip(NEXT) | instid1(VALU_DEP_1)
	v_fma_f32 v130, -v119, v128, v129
	v_fmac_f32_e32 v128, v130, v127
	s_delay_alu instid0(VALU_DEP_1) | instskip(NEXT) | instid1(VALU_DEP_1)
	v_fma_f32 v119, -v119, v128, v129
	v_div_fmas_f32 v119, v119, v127, v128
	s_delay_alu instid0(VALU_DEP_1) | instskip(NEXT) | instid1(VALU_DEP_1)
	v_div_fixup_f32 v119, v119, v121, v120
	v_fmac_f32_e32 v121, v120, v119
	s_delay_alu instid0(VALU_DEP_1) | instskip(SKIP_1) | instid1(VALU_DEP_2)
	v_div_scale_f32 v120, null, v121, v121, 1.0
	v_div_scale_f32 v129, vcc_lo, 1.0, v121, 1.0
	v_rcp_f32_e32 v127, v120
	v_nop
	s_delay_alu instid0(TRANS32_DEP_1) | instskip(NEXT) | instid1(VALU_DEP_1)
	v_fma_f32 v128, -v120, v127, 1.0
	v_fmac_f32_e32 v127, v128, v127
	s_delay_alu instid0(VALU_DEP_1) | instskip(NEXT) | instid1(VALU_DEP_1)
	v_mul_f32_e32 v128, v129, v127
	v_fma_f32 v130, -v120, v128, v129
	s_delay_alu instid0(VALU_DEP_1) | instskip(NEXT) | instid1(VALU_DEP_1)
	v_fmac_f32_e32 v128, v130, v127
	v_fma_f32 v120, -v120, v128, v129
	s_delay_alu instid0(VALU_DEP_1) | instskip(NEXT) | instid1(VALU_DEP_1)
	v_div_fmas_f32 v120, v120, v127, v128
	v_div_fixup_f32 v121, v120, v121, 1.0
	s_delay_alu instid0(VALU_DEP_1)
	v_mul_f32_e32 v120, v119, v121
	v_xor_b32_e32 v121, 0x80000000, v121
.LBB110_217:
	s_and_not1_saveexec_b32 s1, s1
	s_cbranch_execz .LBB110_219
; %bb.218:
	s_delay_alu instid0(VALU_DEP_1) | instskip(SKIP_1) | instid1(VALU_DEP_2)
	v_div_scale_f32 v119, null, v120, v120, v121
	v_div_scale_f32 v129, vcc_lo, v121, v120, v121
	v_rcp_f32_e32 v127, v119
	v_nop
	s_delay_alu instid0(TRANS32_DEP_1) | instskip(NEXT) | instid1(VALU_DEP_1)
	v_fma_f32 v128, -v119, v127, 1.0
	v_fmac_f32_e32 v127, v128, v127
	s_delay_alu instid0(VALU_DEP_1) | instskip(NEXT) | instid1(VALU_DEP_1)
	v_mul_f32_e32 v128, v129, v127
	v_fma_f32 v130, -v119, v128, v129
	s_delay_alu instid0(VALU_DEP_1) | instskip(NEXT) | instid1(VALU_DEP_1)
	v_fmac_f32_e32 v128, v130, v127
	v_fma_f32 v119, -v119, v128, v129
	s_delay_alu instid0(VALU_DEP_1) | instskip(NEXT) | instid1(VALU_DEP_1)
	v_div_fmas_f32 v119, v119, v127, v128
	v_div_fixup_f32 v119, v119, v120, v121
	s_delay_alu instid0(VALU_DEP_1) | instskip(NEXT) | instid1(VALU_DEP_1)
	v_fmac_f32_e32 v120, v121, v119
	v_div_scale_f32 v121, null, v120, v120, 1.0
	s_delay_alu instid0(VALU_DEP_1) | instskip(SKIP_1) | instid1(TRANS32_DEP_1)
	v_rcp_f32_e32 v127, v121
	v_nop
	v_fma_f32 v128, -v121, v127, 1.0
	s_delay_alu instid0(VALU_DEP_1) | instskip(SKIP_1) | instid1(VALU_DEP_1)
	v_fmac_f32_e32 v127, v128, v127
	v_div_scale_f32 v128, vcc_lo, 1.0, v120, 1.0
	v_mul_f32_e32 v129, v128, v127
	s_delay_alu instid0(VALU_DEP_1) | instskip(NEXT) | instid1(VALU_DEP_1)
	v_fma_f32 v130, -v121, v129, v128
	v_fmac_f32_e32 v129, v130, v127
	s_delay_alu instid0(VALU_DEP_1) | instskip(NEXT) | instid1(VALU_DEP_1)
	v_fma_f32 v121, -v121, v129, v128
	v_div_fmas_f32 v121, v121, v127, v129
	s_delay_alu instid0(VALU_DEP_1) | instskip(NEXT) | instid1(VALU_DEP_1)
	v_div_fixup_f32 v120, v121, v120, 1.0
	v_mul_f32_e64 v121, v119, -v120
.LBB110_219:
	s_or_b32 exec_lo, exec_lo, s1
.LBB110_220:
	s_delay_alu instid0(SALU_CYCLE_1) | instskip(NEXT) | instid1(SALU_CYCLE_1)
	s_or_b32 exec_lo, exec_lo, s0
	s_mov_b32 s0, exec_lo
	v_cmpx_ne_u32_e64 v126, v118
	s_xor_b32 s0, exec_lo, s0
	s_cbranch_execz .LBB110_226
; %bb.221:
	s_mov_b32 s1, exec_lo
	v_cmpx_eq_u32_e32 10, v126
	s_cbranch_execz .LBB110_225
; %bb.222:
	v_cmp_ne_u32_e32 vcc_lo, 10, v118
	s_xor_b32 s12, s16, -1
	s_delay_alu instid0(SALU_CYCLE_1) | instskip(NEXT) | instid1(SALU_CYCLE_1)
	s_and_b32 s13, s12, vcc_lo
	s_and_saveexec_b32 s12, s13
	s_cbranch_execz .LBB110_224
; %bb.223:
	v_ashrrev_i32_e32 v119, 31, v118
	s_delay_alu instid0(VALU_DEP_1)
	v_lshl_add_u64 v[126:127], v[118:119], 2, v[4:5]
	s_clause 0x1
	global_load_b32 v119, v[126:127], off
	global_load_b32 v125, v[4:5], off offset:40
	s_wait_loadcnt 0x1
	global_store_b32 v[4:5], v119, off offset:40
	s_wait_loadcnt 0x0
	global_store_b32 v[126:127], v125, off
.LBB110_224:
	s_wait_xcnt 0x0
	s_or_b32 exec_lo, exec_lo, s12
	v_dual_mov_b32 v126, v118 :: v_dual_mov_b32 v125, v118
.LBB110_225:
	s_or_b32 exec_lo, exec_lo, s1
.LBB110_226:
	s_and_not1_saveexec_b32 s0, s0
	s_cbranch_execz .LBB110_228
; %bb.227:
	v_mov_b32_e32 v126, 10
	ds_store_2addr_b64 v122, v[38:39], v[94:95] offset0:11 offset1:12
	ds_store_2addr_b64 v122, v[90:91], v[92:93] offset0:13 offset1:14
	;; [unrolled: 1-line block ×22, first 2 shown]
	ds_store_b64 v122, v[116:117] offset:440
.LBB110_228:
	s_or_b32 exec_lo, exec_lo, s0
	s_delay_alu instid0(SALU_CYCLE_1)
	s_mov_b32 s0, exec_lo
	s_wait_storecnt_dscnt 0x0
	s_barrier_signal -1
	s_barrier_wait -1
	v_cmpx_lt_i32_e32 10, v126
	s_cbranch_execz .LBB110_230
; %bb.229:
	v_pk_mul_f32 v[128:129], v[120:121], v[98:99] op_sel:[1,1] op_sel_hi:[0,1]
	s_delay_alu instid0(VALU_DEP_1)
	v_pk_fma_f32 v[118:119], v[120:121], v[98:99], v[128:129] op_sel_hi:[1,0,1] neg_lo:[0,0,1] neg_hi:[0,0,1]
	v_pk_fma_f32 v[120:121], v[120:121], v[98:99], v[128:129] op_sel_hi:[1,0,1]
	ds_load_2addr_b64 v[128:131], v122 offset0:11 offset1:12
	v_dual_mov_b32 v98, v118 :: v_dual_mov_b32 v99, v121
	s_wait_dscnt 0x0
	v_pk_mul_f32 v[132:133], v[128:129], v[120:121] op_sel:[0,1]
	s_delay_alu instid0(VALU_DEP_1) | instskip(SKIP_1) | instid1(VALU_DEP_1)
	v_pk_fma_f32 v[134:135], v[128:129], v[118:119], v[132:133] op_sel:[0,0,1] op_sel_hi:[1,1,0] neg_lo:[0,0,1] neg_hi:[0,0,1]
	v_pk_fma_f32 v[128:129], v[128:129], v[118:119], v[132:133] op_sel:[0,0,1] op_sel_hi:[1,0,0]
	v_mov_b32_e32 v135, v129
	v_pk_mul_f32 v[128:129], v[130:131], v[120:121] op_sel:[0,1]
	s_delay_alu instid0(VALU_DEP_1) | instskip(SKIP_1) | instid1(VALU_DEP_1)
	v_pk_fma_f32 v[132:133], v[130:131], v[118:119], v[128:129] op_sel:[0,0,1] op_sel_hi:[1,1,0] neg_lo:[0,0,1] neg_hi:[0,0,1]
	v_pk_fma_f32 v[128:129], v[130:131], v[118:119], v[128:129] op_sel:[0,0,1] op_sel_hi:[1,0,0]
	v_mov_b32_e32 v133, v129
	ds_load_2addr_b64 v[128:131], v122 offset0:13 offset1:14
	v_pk_add_f32 v[38:39], v[38:39], v[134:135] neg_lo:[0,1] neg_hi:[0,1]
	v_pk_add_f32 v[94:95], v[94:95], v[132:133] neg_lo:[0,1] neg_hi:[0,1]
	s_wait_dscnt 0x0
	v_pk_mul_f32 v[132:133], v[128:129], v[120:121] op_sel:[0,1]
	s_delay_alu instid0(VALU_DEP_1) | instskip(SKIP_2) | instid1(VALU_DEP_2)
	v_pk_fma_f32 v[134:135], v[128:129], v[118:119], v[132:133] op_sel:[0,0,1] op_sel_hi:[1,1,0] neg_lo:[0,0,1] neg_hi:[0,0,1]
	v_pk_fma_f32 v[128:129], v[128:129], v[118:119], v[132:133] op_sel:[0,0,1] op_sel_hi:[1,0,0]
	v_dual_mul_f32 v132, v131, v121 :: v_dual_mov_b32 v128, v131
	v_dual_mov_b32 v135, v129 :: v_dual_mov_b32 v129, v130
	s_delay_alu instid0(VALU_DEP_2) | instskip(SKIP_1) | instid1(VALU_DEP_3)
	v_pk_fma_f32 v[132:133], v[130:131], v[98:99], v[132:133] op_sel_hi:[1,1,0] neg_lo:[0,0,1] neg_hi:[0,0,1]
	v_mul_f32_e32 v130, v131, v118
	v_pk_add_f32 v[90:91], v[90:91], v[134:135] neg_lo:[0,1] neg_hi:[0,1]
	s_delay_alu instid0(VALU_DEP_2) | instskip(NEXT) | instid1(VALU_DEP_1)
	v_pk_fma_f32 v[128:129], v[128:129], v[98:99], v[130:131] op_sel_hi:[1,1,0]
	v_mov_b32_e32 v133, v129
	ds_load_2addr_b64 v[128:131], v122 offset0:15 offset1:16
	v_pk_add_f32 v[92:93], v[92:93], v[132:133] neg_lo:[0,1] neg_hi:[0,1]
	s_wait_dscnt 0x0
	v_pk_mul_f32 v[132:133], v[128:129], v[120:121] op_sel:[0,1]
	s_delay_alu instid0(VALU_DEP_1) | instskip(SKIP_1) | instid1(VALU_DEP_1)
	v_pk_fma_f32 v[134:135], v[128:129], v[118:119], v[132:133] op_sel:[0,0,1] op_sel_hi:[1,1,0] neg_lo:[0,0,1] neg_hi:[0,0,1]
	v_pk_fma_f32 v[128:129], v[128:129], v[118:119], v[132:133] op_sel:[0,0,1] op_sel_hi:[1,0,0]
	v_mov_b32_e32 v135, v129
	v_pk_mul_f32 v[128:129], v[130:131], v[120:121] op_sel:[0,1]
	s_delay_alu instid0(VALU_DEP_1) | instskip(SKIP_1) | instid1(VALU_DEP_1)
	v_pk_fma_f32 v[132:133], v[130:131], v[118:119], v[128:129] op_sel:[0,0,1] op_sel_hi:[1,1,0] neg_lo:[0,0,1] neg_hi:[0,0,1]
	v_pk_fma_f32 v[128:129], v[130:131], v[118:119], v[128:129] op_sel:[0,0,1] op_sel_hi:[1,0,0]
	v_mov_b32_e32 v133, v129
	ds_load_2addr_b64 v[128:131], v122 offset0:17 offset1:18
	v_pk_add_f32 v[36:37], v[36:37], v[134:135] neg_lo:[0,1] neg_hi:[0,1]
	v_pk_add_f32 v[88:89], v[88:89], v[132:133] neg_lo:[0,1] neg_hi:[0,1]
	s_wait_dscnt 0x0
	v_pk_mul_f32 v[132:133], v[128:129], v[120:121] op_sel:[0,1]
	s_delay_alu instid0(VALU_DEP_1) | instskip(SKIP_1) | instid1(VALU_DEP_1)
	v_pk_fma_f32 v[134:135], v[128:129], v[118:119], v[132:133] op_sel:[0,0,1] op_sel_hi:[1,1,0] neg_lo:[0,0,1] neg_hi:[0,0,1]
	v_pk_fma_f32 v[128:129], v[128:129], v[118:119], v[132:133] op_sel:[0,0,1] op_sel_hi:[1,0,0]
	v_mov_b32_e32 v135, v129
	v_pk_mul_f32 v[128:129], v[130:131], v[120:121] op_sel:[0,1]
	s_delay_alu instid0(VALU_DEP_1) | instskip(SKIP_1) | instid1(VALU_DEP_1)
	v_pk_fma_f32 v[132:133], v[130:131], v[118:119], v[128:129] op_sel:[0,0,1] op_sel_hi:[1,1,0] neg_lo:[0,0,1] neg_hi:[0,0,1]
	v_pk_fma_f32 v[128:129], v[130:131], v[118:119], v[128:129] op_sel:[0,0,1] op_sel_hi:[1,0,0]
	v_mov_b32_e32 v133, v129
	ds_load_2addr_b64 v[128:131], v122 offset0:19 offset1:20
	v_pk_add_f32 v[84:85], v[84:85], v[134:135] neg_lo:[0,1] neg_hi:[0,1]
	v_pk_add_f32 v[86:87], v[86:87], v[132:133] neg_lo:[0,1] neg_hi:[0,1]
	s_wait_dscnt 0x0
	v_dual_mul_f32 v132, v129, v121 :: v_dual_mul_f32 v134, v129, v118
	s_delay_alu instid0(VALU_DEP_1) | instskip(NEXT) | instid1(VALU_DEP_2)
	v_pk_fma_f32 v[132:133], v[128:129], v[98:99], v[132:133] op_sel_hi:[1,1,0] neg_lo:[0,0,1] neg_hi:[0,0,1]
	v_pk_fma_f32 v[128:129], v[128:129], v[98:99], v[134:135] op_sel:[1,0,0] op_sel_hi:[0,1,0]
	s_delay_alu instid0(VALU_DEP_1) | instskip(SKIP_1) | instid1(VALU_DEP_2)
	v_mov_b32_e32 v133, v129
	v_pk_mul_f32 v[128:129], v[130:131], v[120:121] op_sel:[0,1]
	v_pk_add_f32 v[30:31], v[30:31], v[132:133] neg_lo:[0,1] neg_hi:[0,1]
	s_delay_alu instid0(VALU_DEP_2) | instskip(SKIP_1) | instid1(VALU_DEP_1)
	v_pk_fma_f32 v[132:133], v[130:131], v[118:119], v[128:129] op_sel:[0,0,1] op_sel_hi:[1,1,0] neg_lo:[0,0,1] neg_hi:[0,0,1]
	v_pk_fma_f32 v[128:129], v[130:131], v[118:119], v[128:129] op_sel:[0,0,1] op_sel_hi:[1,0,0]
	v_mov_b32_e32 v133, v129
	ds_load_2addr_b64 v[128:131], v122 offset0:21 offset1:22
	v_pk_add_f32 v[82:83], v[82:83], v[132:133] neg_lo:[0,1] neg_hi:[0,1]
	s_wait_dscnt 0x0
	v_pk_mul_f32 v[132:133], v[128:129], v[120:121] op_sel:[0,1]
	s_delay_alu instid0(VALU_DEP_1) | instskip(SKIP_1) | instid1(VALU_DEP_1)
	v_pk_fma_f32 v[134:135], v[128:129], v[118:119], v[132:133] op_sel:[0,0,1] op_sel_hi:[1,1,0] neg_lo:[0,0,1] neg_hi:[0,0,1]
	v_pk_fma_f32 v[128:129], v[128:129], v[118:119], v[132:133] op_sel:[0,0,1] op_sel_hi:[1,0,0]
	v_mov_b32_e32 v135, v129
	v_pk_mul_f32 v[128:129], v[130:131], v[120:121] op_sel:[0,1]
	s_delay_alu instid0(VALU_DEP_2) | instskip(NEXT) | instid1(VALU_DEP_2)
	v_pk_add_f32 v[78:79], v[78:79], v[134:135] neg_lo:[0,1] neg_hi:[0,1]
	v_pk_fma_f32 v[132:133], v[130:131], v[118:119], v[128:129] op_sel:[0,0,1] op_sel_hi:[1,1,0] neg_lo:[0,0,1] neg_hi:[0,0,1]
	v_pk_fma_f32 v[128:129], v[130:131], v[118:119], v[128:129] op_sel:[0,0,1] op_sel_hi:[1,0,0]
	s_delay_alu instid0(VALU_DEP_1) | instskip(SKIP_4) | instid1(VALU_DEP_1)
	v_mov_b32_e32 v133, v129
	ds_load_2addr_b64 v[128:131], v122 offset0:23 offset1:24
	v_pk_add_f32 v[80:81], v[80:81], v[132:133] neg_lo:[0,1] neg_hi:[0,1]
	s_wait_dscnt 0x0
	v_pk_mul_f32 v[132:133], v[128:129], v[120:121] op_sel:[0,1]
	v_pk_fma_f32 v[134:135], v[128:129], v[118:119], v[132:133] op_sel:[0,0,1] op_sel_hi:[1,1,0] neg_lo:[0,0,1] neg_hi:[0,0,1]
	v_pk_fma_f32 v[128:129], v[128:129], v[118:119], v[132:133] op_sel:[0,0,1] op_sel_hi:[1,0,0]
	v_dual_mul_f32 v132, v131, v121 :: v_dual_mov_b32 v128, v131
	s_delay_alu instid0(VALU_DEP_2) | instskip(NEXT) | instid1(VALU_DEP_2)
	v_dual_mov_b32 v135, v129 :: v_dual_mov_b32 v129, v130
	v_pk_fma_f32 v[132:133], v[130:131], v[98:99], v[132:133] op_sel_hi:[1,1,0] neg_lo:[0,0,1] neg_hi:[0,0,1]
	v_mul_f32_e32 v130, v131, v118
	s_delay_alu instid0(VALU_DEP_3) | instskip(NEXT) | instid1(VALU_DEP_2)
	v_pk_add_f32 v[24:25], v[24:25], v[134:135] neg_lo:[0,1] neg_hi:[0,1]
	v_pk_fma_f32 v[128:129], v[128:129], v[98:99], v[130:131] op_sel_hi:[1,1,0]
	s_delay_alu instid0(VALU_DEP_1) | instskip(SKIP_4) | instid1(VALU_DEP_1)
	v_mov_b32_e32 v133, v129
	ds_load_2addr_b64 v[128:131], v122 offset0:25 offset1:26
	v_pk_add_f32 v[76:77], v[76:77], v[132:133] neg_lo:[0,1] neg_hi:[0,1]
	s_wait_dscnt 0x0
	v_pk_mul_f32 v[132:133], v[128:129], v[120:121] op_sel:[0,1]
	v_pk_fma_f32 v[134:135], v[128:129], v[118:119], v[132:133] op_sel:[0,0,1] op_sel_hi:[1,1,0] neg_lo:[0,0,1] neg_hi:[0,0,1]
	v_pk_fma_f32 v[128:129], v[128:129], v[118:119], v[132:133] op_sel:[0,0,1] op_sel_hi:[1,0,0]
	s_delay_alu instid0(VALU_DEP_1) | instskip(SKIP_1) | instid1(VALU_DEP_1)
	v_mov_b32_e32 v135, v129
	v_pk_mul_f32 v[128:129], v[130:131], v[120:121] op_sel:[0,1]
	v_pk_fma_f32 v[132:133], v[130:131], v[118:119], v[128:129] op_sel:[0,0,1] op_sel_hi:[1,1,0] neg_lo:[0,0,1] neg_hi:[0,0,1]
	v_pk_fma_f32 v[128:129], v[130:131], v[118:119], v[128:129] op_sel:[0,0,1] op_sel_hi:[1,0,0]
	s_delay_alu instid0(VALU_DEP_1)
	v_mov_b32_e32 v133, v129
	ds_load_2addr_b64 v[128:131], v122 offset0:27 offset1:28
	v_pk_add_f32 v[72:73], v[72:73], v[134:135] neg_lo:[0,1] neg_hi:[0,1]
	v_pk_add_f32 v[74:75], v[74:75], v[132:133] neg_lo:[0,1] neg_hi:[0,1]
	s_wait_dscnt 0x0
	v_pk_mul_f32 v[132:133], v[128:129], v[120:121] op_sel:[0,1]
	s_delay_alu instid0(VALU_DEP_1) | instskip(SKIP_1) | instid1(VALU_DEP_1)
	v_pk_fma_f32 v[134:135], v[128:129], v[118:119], v[132:133] op_sel:[0,0,1] op_sel_hi:[1,1,0] neg_lo:[0,0,1] neg_hi:[0,0,1]
	v_pk_fma_f32 v[128:129], v[128:129], v[118:119], v[132:133] op_sel:[0,0,1] op_sel_hi:[1,0,0]
	v_mov_b32_e32 v135, v129
	v_pk_mul_f32 v[128:129], v[130:131], v[120:121] op_sel:[0,1]
	s_delay_alu instid0(VALU_DEP_1) | instskip(SKIP_1) | instid1(VALU_DEP_1)
	v_pk_fma_f32 v[132:133], v[130:131], v[118:119], v[128:129] op_sel:[0,0,1] op_sel_hi:[1,1,0] neg_lo:[0,0,1] neg_hi:[0,0,1]
	v_pk_fma_f32 v[128:129], v[130:131], v[118:119], v[128:129] op_sel:[0,0,1] op_sel_hi:[1,0,0]
	v_mov_b32_e32 v133, v129
	ds_load_2addr_b64 v[128:131], v122 offset0:29 offset1:30
	v_pk_add_f32 v[18:19], v[18:19], v[134:135] neg_lo:[0,1] neg_hi:[0,1]
	v_pk_add_f32 v[70:71], v[70:71], v[132:133] neg_lo:[0,1] neg_hi:[0,1]
	s_wait_dscnt 0x0
	v_dual_mul_f32 v132, v129, v121 :: v_dual_mul_f32 v134, v129, v118
	s_delay_alu instid0(VALU_DEP_1) | instskip(NEXT) | instid1(VALU_DEP_2)
	v_pk_fma_f32 v[132:133], v[128:129], v[98:99], v[132:133] op_sel_hi:[1,1,0] neg_lo:[0,0,1] neg_hi:[0,0,1]
	v_pk_fma_f32 v[128:129], v[128:129], v[98:99], v[134:135] op_sel:[1,0,0] op_sel_hi:[0,1,0]
	s_delay_alu instid0(VALU_DEP_1) | instskip(SKIP_1) | instid1(VALU_DEP_2)
	v_mov_b32_e32 v133, v129
	v_pk_mul_f32 v[128:129], v[130:131], v[120:121] op_sel:[0,1]
	v_pk_add_f32 v[66:67], v[66:67], v[132:133] neg_lo:[0,1] neg_hi:[0,1]
	s_delay_alu instid0(VALU_DEP_2) | instskip(SKIP_1) | instid1(VALU_DEP_1)
	v_pk_fma_f32 v[132:133], v[130:131], v[118:119], v[128:129] op_sel:[0,0,1] op_sel_hi:[1,1,0] neg_lo:[0,0,1] neg_hi:[0,0,1]
	v_pk_fma_f32 v[128:129], v[130:131], v[118:119], v[128:129] op_sel:[0,0,1] op_sel_hi:[1,0,0]
	v_mov_b32_e32 v133, v129
	ds_load_2addr_b64 v[128:131], v122 offset0:31 offset1:32
	v_pk_add_f32 v[68:69], v[68:69], v[132:133] neg_lo:[0,1] neg_hi:[0,1]
	s_wait_dscnt 0x0
	v_pk_mul_f32 v[132:133], v[128:129], v[120:121] op_sel:[0,1]
	s_delay_alu instid0(VALU_DEP_1) | instskip(SKIP_1) | instid1(VALU_DEP_1)
	v_pk_fma_f32 v[134:135], v[128:129], v[118:119], v[132:133] op_sel:[0,0,1] op_sel_hi:[1,1,0] neg_lo:[0,0,1] neg_hi:[0,0,1]
	v_pk_fma_f32 v[128:129], v[128:129], v[118:119], v[132:133] op_sel:[0,0,1] op_sel_hi:[1,0,0]
	v_mov_b32_e32 v135, v129
	v_pk_mul_f32 v[128:129], v[130:131], v[120:121] op_sel:[0,1]
	s_delay_alu instid0(VALU_DEP_2) | instskip(NEXT) | instid1(VALU_DEP_2)
	v_pk_add_f32 v[16:17], v[16:17], v[134:135] neg_lo:[0,1] neg_hi:[0,1]
	v_pk_fma_f32 v[132:133], v[130:131], v[118:119], v[128:129] op_sel:[0,0,1] op_sel_hi:[1,1,0] neg_lo:[0,0,1] neg_hi:[0,0,1]
	v_pk_fma_f32 v[128:129], v[130:131], v[118:119], v[128:129] op_sel:[0,0,1] op_sel_hi:[1,0,0]
	s_delay_alu instid0(VALU_DEP_1) | instskip(SKIP_4) | instid1(VALU_DEP_1)
	v_mov_b32_e32 v133, v129
	ds_load_2addr_b64 v[128:131], v122 offset0:33 offset1:34
	v_pk_add_f32 v[64:65], v[64:65], v[132:133] neg_lo:[0,1] neg_hi:[0,1]
	s_wait_dscnt 0x0
	v_pk_mul_f32 v[132:133], v[128:129], v[120:121] op_sel:[0,1]
	v_pk_fma_f32 v[134:135], v[128:129], v[118:119], v[132:133] op_sel:[0,0,1] op_sel_hi:[1,1,0] neg_lo:[0,0,1] neg_hi:[0,0,1]
	v_pk_fma_f32 v[128:129], v[128:129], v[118:119], v[132:133] op_sel:[0,0,1] op_sel_hi:[1,0,0]
	v_dual_mul_f32 v132, v131, v121 :: v_dual_mov_b32 v128, v131
	s_delay_alu instid0(VALU_DEP_2) | instskip(NEXT) | instid1(VALU_DEP_2)
	v_dual_mov_b32 v135, v129 :: v_dual_mov_b32 v129, v130
	v_pk_fma_f32 v[132:133], v[130:131], v[98:99], v[132:133] op_sel_hi:[1,1,0] neg_lo:[0,0,1] neg_hi:[0,0,1]
	v_mul_f32_e32 v130, v131, v118
	s_delay_alu instid0(VALU_DEP_3) | instskip(NEXT) | instid1(VALU_DEP_2)
	v_pk_add_f32 v[60:61], v[60:61], v[134:135] neg_lo:[0,1] neg_hi:[0,1]
	v_pk_fma_f32 v[128:129], v[128:129], v[98:99], v[130:131] op_sel_hi:[1,1,0]
	s_delay_alu instid0(VALU_DEP_1) | instskip(SKIP_4) | instid1(VALU_DEP_1)
	v_mov_b32_e32 v133, v129
	ds_load_2addr_b64 v[128:131], v122 offset0:35 offset1:36
	v_pk_add_f32 v[62:63], v[62:63], v[132:133] neg_lo:[0,1] neg_hi:[0,1]
	s_wait_dscnt 0x0
	v_pk_mul_f32 v[132:133], v[128:129], v[120:121] op_sel:[0,1]
	v_pk_fma_f32 v[134:135], v[128:129], v[118:119], v[132:133] op_sel:[0,0,1] op_sel_hi:[1,1,0] neg_lo:[0,0,1] neg_hi:[0,0,1]
	v_pk_fma_f32 v[128:129], v[128:129], v[118:119], v[132:133] op_sel:[0,0,1] op_sel_hi:[1,0,0]
	s_delay_alu instid0(VALU_DEP_1) | instskip(SKIP_1) | instid1(VALU_DEP_1)
	v_mov_b32_e32 v135, v129
	v_pk_mul_f32 v[128:129], v[130:131], v[120:121] op_sel:[0,1]
	v_pk_fma_f32 v[132:133], v[130:131], v[118:119], v[128:129] op_sel:[0,0,1] op_sel_hi:[1,1,0] neg_lo:[0,0,1] neg_hi:[0,0,1]
	v_pk_fma_f32 v[128:129], v[130:131], v[118:119], v[128:129] op_sel:[0,0,1] op_sel_hi:[1,0,0]
	s_delay_alu instid0(VALU_DEP_1)
	v_mov_b32_e32 v133, v129
	ds_load_2addr_b64 v[128:131], v122 offset0:37 offset1:38
	v_pk_add_f32 v[14:15], v[14:15], v[134:135] neg_lo:[0,1] neg_hi:[0,1]
	v_pk_add_f32 v[58:59], v[58:59], v[132:133] neg_lo:[0,1] neg_hi:[0,1]
	s_wait_dscnt 0x0
	v_pk_mul_f32 v[132:133], v[128:129], v[120:121] op_sel:[0,1]
	s_delay_alu instid0(VALU_DEP_1) | instskip(SKIP_1) | instid1(VALU_DEP_1)
	v_pk_fma_f32 v[134:135], v[128:129], v[118:119], v[132:133] op_sel:[0,0,1] op_sel_hi:[1,1,0] neg_lo:[0,0,1] neg_hi:[0,0,1]
	v_pk_fma_f32 v[128:129], v[128:129], v[118:119], v[132:133] op_sel:[0,0,1] op_sel_hi:[1,0,0]
	v_mov_b32_e32 v135, v129
	v_pk_mul_f32 v[128:129], v[130:131], v[120:121] op_sel:[0,1]
	s_delay_alu instid0(VALU_DEP_1) | instskip(SKIP_1) | instid1(VALU_DEP_1)
	v_pk_fma_f32 v[132:133], v[130:131], v[118:119], v[128:129] op_sel:[0,0,1] op_sel_hi:[1,1,0] neg_lo:[0,0,1] neg_hi:[0,0,1]
	v_pk_fma_f32 v[128:129], v[130:131], v[118:119], v[128:129] op_sel:[0,0,1] op_sel_hi:[1,0,0]
	v_mov_b32_e32 v133, v129
	ds_load_2addr_b64 v[128:131], v122 offset0:39 offset1:40
	v_pk_add_f32 v[54:55], v[54:55], v[134:135] neg_lo:[0,1] neg_hi:[0,1]
	v_pk_add_f32 v[56:57], v[56:57], v[132:133] neg_lo:[0,1] neg_hi:[0,1]
	s_wait_dscnt 0x0
	v_dual_mul_f32 v132, v129, v121 :: v_dual_mul_f32 v134, v129, v118
	s_delay_alu instid0(VALU_DEP_1) | instskip(NEXT) | instid1(VALU_DEP_2)
	v_pk_fma_f32 v[132:133], v[128:129], v[98:99], v[132:133] op_sel_hi:[1,1,0] neg_lo:[0,0,1] neg_hi:[0,0,1]
	v_pk_fma_f32 v[128:129], v[128:129], v[98:99], v[134:135] op_sel:[1,0,0] op_sel_hi:[0,1,0]
	s_delay_alu instid0(VALU_DEP_1) | instskip(SKIP_1) | instid1(VALU_DEP_2)
	v_mov_b32_e32 v133, v129
	v_pk_mul_f32 v[128:129], v[130:131], v[120:121] op_sel:[0,1]
	v_pk_add_f32 v[12:13], v[12:13], v[132:133] neg_lo:[0,1] neg_hi:[0,1]
	s_delay_alu instid0(VALU_DEP_2) | instskip(SKIP_1) | instid1(VALU_DEP_1)
	v_pk_fma_f32 v[132:133], v[130:131], v[118:119], v[128:129] op_sel:[0,0,1] op_sel_hi:[1,1,0] neg_lo:[0,0,1] neg_hi:[0,0,1]
	v_pk_fma_f32 v[128:129], v[130:131], v[118:119], v[128:129] op_sel:[0,0,1] op_sel_hi:[1,0,0]
	v_mov_b32_e32 v133, v129
	ds_load_2addr_b64 v[128:131], v122 offset0:41 offset1:42
	v_pk_add_f32 v[52:53], v[52:53], v[132:133] neg_lo:[0,1] neg_hi:[0,1]
	s_wait_dscnt 0x0
	v_pk_mul_f32 v[132:133], v[128:129], v[120:121] op_sel:[0,1]
	s_delay_alu instid0(VALU_DEP_1) | instskip(SKIP_1) | instid1(VALU_DEP_1)
	v_pk_fma_f32 v[134:135], v[128:129], v[118:119], v[132:133] op_sel:[0,0,1] op_sel_hi:[1,1,0] neg_lo:[0,0,1] neg_hi:[0,0,1]
	v_pk_fma_f32 v[128:129], v[128:129], v[118:119], v[132:133] op_sel:[0,0,1] op_sel_hi:[1,0,0]
	v_mov_b32_e32 v135, v129
	v_pk_mul_f32 v[128:129], v[130:131], v[120:121] op_sel:[0,1]
	s_delay_alu instid0(VALU_DEP_2) | instskip(NEXT) | instid1(VALU_DEP_2)
	v_pk_add_f32 v[48:49], v[48:49], v[134:135] neg_lo:[0,1] neg_hi:[0,1]
	v_pk_fma_f32 v[132:133], v[130:131], v[118:119], v[128:129] op_sel:[0,0,1] op_sel_hi:[1,1,0] neg_lo:[0,0,1] neg_hi:[0,0,1]
	v_pk_fma_f32 v[128:129], v[130:131], v[118:119], v[128:129] op_sel:[0,0,1] op_sel_hi:[1,0,0]
	s_delay_alu instid0(VALU_DEP_1) | instskip(SKIP_4) | instid1(VALU_DEP_1)
	v_mov_b32_e32 v133, v129
	ds_load_2addr_b64 v[128:131], v122 offset0:43 offset1:44
	v_pk_add_f32 v[50:51], v[50:51], v[132:133] neg_lo:[0,1] neg_hi:[0,1]
	s_wait_dscnt 0x0
	v_pk_mul_f32 v[132:133], v[128:129], v[120:121] op_sel:[0,1]
	v_pk_fma_f32 v[134:135], v[128:129], v[118:119], v[132:133] op_sel:[0,0,1] op_sel_hi:[1,1,0] neg_lo:[0,0,1] neg_hi:[0,0,1]
	v_pk_fma_f32 v[128:129], v[128:129], v[118:119], v[132:133] op_sel:[0,0,1] op_sel_hi:[1,0,0]
	v_dual_mul_f32 v132, v131, v121 :: v_dual_mov_b32 v128, v131
	s_delay_alu instid0(VALU_DEP_2) | instskip(NEXT) | instid1(VALU_DEP_2)
	v_dual_mov_b32 v135, v129 :: v_dual_mov_b32 v129, v130
	v_pk_fma_f32 v[132:133], v[130:131], v[98:99], v[132:133] op_sel_hi:[1,1,0] neg_lo:[0,0,1] neg_hi:[0,0,1]
	v_mul_f32_e32 v130, v131, v118
	s_delay_alu instid0(VALU_DEP_3) | instskip(NEXT) | instid1(VALU_DEP_2)
	v_pk_add_f32 v[10:11], v[10:11], v[134:135] neg_lo:[0,1] neg_hi:[0,1]
	v_pk_fma_f32 v[128:129], v[128:129], v[98:99], v[130:131] op_sel_hi:[1,1,0]
	s_delay_alu instid0(VALU_DEP_1) | instskip(SKIP_4) | instid1(VALU_DEP_1)
	v_mov_b32_e32 v133, v129
	ds_load_2addr_b64 v[128:131], v122 offset0:45 offset1:46
	v_pk_add_f32 v[46:47], v[46:47], v[132:133] neg_lo:[0,1] neg_hi:[0,1]
	s_wait_dscnt 0x0
	v_pk_mul_f32 v[132:133], v[128:129], v[120:121] op_sel:[0,1]
	v_pk_fma_f32 v[134:135], v[128:129], v[118:119], v[132:133] op_sel:[0,0,1] op_sel_hi:[1,1,0] neg_lo:[0,0,1] neg_hi:[0,0,1]
	v_pk_fma_f32 v[128:129], v[128:129], v[118:119], v[132:133] op_sel:[0,0,1] op_sel_hi:[1,0,0]
	s_delay_alu instid0(VALU_DEP_1) | instskip(SKIP_1) | instid1(VALU_DEP_1)
	v_mov_b32_e32 v135, v129
	v_pk_mul_f32 v[128:129], v[130:131], v[120:121] op_sel:[0,1]
	v_pk_fma_f32 v[132:133], v[130:131], v[118:119], v[128:129] op_sel:[0,0,1] op_sel_hi:[1,1,0] neg_lo:[0,0,1] neg_hi:[0,0,1]
	v_pk_fma_f32 v[128:129], v[130:131], v[118:119], v[128:129] op_sel:[0,0,1] op_sel_hi:[1,0,0]
	s_delay_alu instid0(VALU_DEP_1)
	v_mov_b32_e32 v133, v129
	ds_load_2addr_b64 v[128:131], v122 offset0:47 offset1:48
	v_pk_add_f32 v[42:43], v[42:43], v[134:135] neg_lo:[0,1] neg_hi:[0,1]
	v_pk_add_f32 v[44:45], v[44:45], v[132:133] neg_lo:[0,1] neg_hi:[0,1]
	s_wait_dscnt 0x0
	v_pk_mul_f32 v[132:133], v[128:129], v[120:121] op_sel:[0,1]
	s_delay_alu instid0(VALU_DEP_1) | instskip(SKIP_1) | instid1(VALU_DEP_1)
	v_pk_fma_f32 v[134:135], v[128:129], v[118:119], v[132:133] op_sel:[0,0,1] op_sel_hi:[1,1,0] neg_lo:[0,0,1] neg_hi:[0,0,1]
	v_pk_fma_f32 v[128:129], v[128:129], v[118:119], v[132:133] op_sel:[0,0,1] op_sel_hi:[1,0,0]
	v_mov_b32_e32 v135, v129
	v_pk_mul_f32 v[128:129], v[130:131], v[120:121] op_sel:[0,1]
	s_delay_alu instid0(VALU_DEP_1) | instskip(SKIP_1) | instid1(VALU_DEP_1)
	v_pk_fma_f32 v[132:133], v[130:131], v[118:119], v[128:129] op_sel:[0,0,1] op_sel_hi:[1,1,0] neg_lo:[0,0,1] neg_hi:[0,0,1]
	v_pk_fma_f32 v[128:129], v[130:131], v[118:119], v[128:129] op_sel:[0,0,1] op_sel_hi:[1,0,0]
	v_mov_b32_e32 v133, v129
	ds_load_2addr_b64 v[128:131], v122 offset0:49 offset1:50
	v_pk_add_f32 v[6:7], v[6:7], v[134:135] neg_lo:[0,1] neg_hi:[0,1]
	v_pk_add_f32 v[34:35], v[34:35], v[132:133] neg_lo:[0,1] neg_hi:[0,1]
	s_wait_dscnt 0x0
	v_dual_mul_f32 v132, v129, v121 :: v_dual_mul_f32 v134, v129, v118
	s_delay_alu instid0(VALU_DEP_1) | instskip(NEXT) | instid1(VALU_DEP_2)
	v_pk_fma_f32 v[132:133], v[128:129], v[98:99], v[132:133] op_sel_hi:[1,1,0] neg_lo:[0,0,1] neg_hi:[0,0,1]
	v_pk_fma_f32 v[128:129], v[128:129], v[98:99], v[134:135] op_sel:[1,0,0] op_sel_hi:[0,1,0]
	s_delay_alu instid0(VALU_DEP_1) | instskip(SKIP_1) | instid1(VALU_DEP_2)
	v_mov_b32_e32 v133, v129
	v_pk_mul_f32 v[128:129], v[130:131], v[120:121] op_sel:[0,1]
	v_pk_add_f32 v[28:29], v[28:29], v[132:133] neg_lo:[0,1] neg_hi:[0,1]
	s_delay_alu instid0(VALU_DEP_2) | instskip(SKIP_1) | instid1(VALU_DEP_1)
	v_pk_fma_f32 v[132:133], v[130:131], v[118:119], v[128:129] op_sel:[0,0,1] op_sel_hi:[1,1,0] neg_lo:[0,0,1] neg_hi:[0,0,1]
	v_pk_fma_f32 v[128:129], v[130:131], v[118:119], v[128:129] op_sel:[0,0,1] op_sel_hi:[1,0,0]
	v_mov_b32_e32 v133, v129
	ds_load_2addr_b64 v[128:131], v122 offset0:51 offset1:52
	v_pk_add_f32 v[32:33], v[32:33], v[132:133] neg_lo:[0,1] neg_hi:[0,1]
	s_wait_dscnt 0x0
	v_pk_mul_f32 v[132:133], v[128:129], v[120:121] op_sel:[0,1]
	s_delay_alu instid0(VALU_DEP_1) | instskip(SKIP_1) | instid1(VALU_DEP_1)
	v_pk_fma_f32 v[134:135], v[128:129], v[118:119], v[132:133] op_sel:[0,0,1] op_sel_hi:[1,1,0] neg_lo:[0,0,1] neg_hi:[0,0,1]
	v_pk_fma_f32 v[128:129], v[128:129], v[118:119], v[132:133] op_sel:[0,0,1] op_sel_hi:[1,0,0]
	v_mov_b32_e32 v135, v129
	v_pk_mul_f32 v[128:129], v[130:131], v[120:121] op_sel:[0,1]
	s_delay_alu instid0(VALU_DEP_2) | instskip(NEXT) | instid1(VALU_DEP_2)
	v_pk_add_f32 v[8:9], v[8:9], v[134:135] neg_lo:[0,1] neg_hi:[0,1]
	v_pk_fma_f32 v[132:133], v[130:131], v[118:119], v[128:129] op_sel:[0,0,1] op_sel_hi:[1,1,0] neg_lo:[0,0,1] neg_hi:[0,0,1]
	v_pk_fma_f32 v[128:129], v[130:131], v[118:119], v[128:129] op_sel:[0,0,1] op_sel_hi:[1,0,0]
	s_delay_alu instid0(VALU_DEP_1) | instskip(SKIP_4) | instid1(VALU_DEP_1)
	v_mov_b32_e32 v133, v129
	ds_load_2addr_b64 v[128:131], v122 offset0:53 offset1:54
	v_pk_add_f32 v[26:27], v[26:27], v[132:133] neg_lo:[0,1] neg_hi:[0,1]
	s_wait_dscnt 0x0
	v_pk_mul_f32 v[132:133], v[128:129], v[120:121] op_sel:[0,1]
	v_pk_fma_f32 v[134:135], v[128:129], v[118:119], v[132:133] op_sel:[0,0,1] op_sel_hi:[1,1,0] neg_lo:[0,0,1] neg_hi:[0,0,1]
	v_pk_fma_f32 v[128:129], v[128:129], v[118:119], v[132:133] op_sel:[0,0,1] op_sel_hi:[1,0,0]
	v_dual_mul_f32 v132, v131, v121 :: v_dual_mov_b32 v128, v131
	s_delay_alu instid0(VALU_DEP_2) | instskip(NEXT) | instid1(VALU_DEP_2)
	v_dual_mov_b32 v135, v129 :: v_dual_mov_b32 v129, v130
	v_pk_fma_f32 v[132:133], v[130:131], v[98:99], v[132:133] op_sel_hi:[1,1,0] neg_lo:[0,0,1] neg_hi:[0,0,1]
	v_mul_f32_e32 v130, v131, v118
	s_delay_alu instid0(VALU_DEP_3) | instskip(NEXT) | instid1(VALU_DEP_2)
	v_pk_add_f32 v[22:23], v[22:23], v[134:135] neg_lo:[0,1] neg_hi:[0,1]
	v_pk_fma_f32 v[128:129], v[128:129], v[98:99], v[130:131] op_sel_hi:[1,1,0]
	s_delay_alu instid0(VALU_DEP_1) | instskip(SKIP_4) | instid1(VALU_DEP_1)
	v_mov_b32_e32 v133, v129
	ds_load_b64 v[128:129], v122 offset:440
	v_pk_add_f32 v[20:21], v[20:21], v[132:133] neg_lo:[0,1] neg_hi:[0,1]
	s_wait_dscnt 0x0
	v_pk_mul_f32 v[120:121], v[128:129], v[120:121] op_sel:[0,1]
	v_pk_fma_f32 v[130:131], v[128:129], v[118:119], v[120:121] op_sel:[0,0,1] op_sel_hi:[1,1,0] neg_lo:[0,0,1] neg_hi:[0,0,1]
	v_pk_fma_f32 v[118:119], v[128:129], v[118:119], v[120:121] op_sel:[0,0,1] op_sel_hi:[1,0,0]
	s_delay_alu instid0(VALU_DEP_1) | instskip(NEXT) | instid1(VALU_DEP_1)
	v_mov_b32_e32 v131, v119
	v_pk_add_f32 v[116:117], v[116:117], v[130:131] neg_lo:[0,1] neg_hi:[0,1]
.LBB110_230:
	s_or_b32 exec_lo, exec_lo, s0
	v_lshl_add_u32 v118, v126, 3, v122
	s_barrier_signal -1
	s_barrier_wait -1
	ds_store_b64 v118, v[38:39]
	s_wait_dscnt 0x0
	s_barrier_signal -1
	s_barrier_wait -1
	ds_load_b64 v[120:121], v122 offset:88
	v_mov_b32_e32 v118, 11
	s_cmp_lt_i32 s18, 13
	s_cbranch_scc1 .LBB110_233
; %bb.231:
	v_add3_u32 v119, v123, 0, 0x60
	v_mov_b32_e32 v118, 11
	s_mov_b32 s0, 12
.LBB110_232:                            ; =>This Inner Loop Header: Depth=1
	ds_load_b64 v[128:129], v119
	s_wait_dscnt 0x1
	v_cmp_gt_f32_e32 vcc_lo, 0, v120
	v_cndmask_b32_e64 v130, v120, -v120, vcc_lo
	v_cmp_gt_f32_e32 vcc_lo, 0, v121
	v_cndmask_b32_e64 v132, v121, -v121, vcc_lo
	s_wait_dscnt 0x0
	v_cmp_gt_f32_e32 vcc_lo, 0, v128
	v_cndmask_b32_e64 v131, v128, -v128, vcc_lo
	v_cmp_gt_f32_e32 vcc_lo, 0, v129
	v_cndmask_b32_e64 v133, v129, -v129, vcc_lo
	s_delay_alu instid0(VALU_DEP_1) | instskip(NEXT) | instid1(VALU_DEP_1)
	v_pk_add_f32 v[130:131], v[130:131], v[132:133]
	v_cmp_lt_f32_e32 vcc_lo, v130, v131
	v_dual_add_nc_u32 v119, 8, v119 :: v_dual_cndmask_b32 v121, v121, v129, vcc_lo
	v_cndmask_b32_e32 v120, v120, v128, vcc_lo
	v_cndmask_b32_e64 v118, v118, s0, vcc_lo
	s_add_co_i32 s0, s0, 1
	s_delay_alu instid0(SALU_CYCLE_1)
	s_cmp_lg_u32 s18, s0
	s_cbranch_scc1 .LBB110_232
.LBB110_233:
	s_wait_dscnt 0x0
	v_cmp_eq_f32_e32 vcc_lo, 0, v120
	v_cmp_eq_f32_e64 s0, 0, v121
	s_and_b32 s0, vcc_lo, s0
	s_delay_alu instid0(SALU_CYCLE_1) | instskip(NEXT) | instid1(SALU_CYCLE_1)
	s_and_saveexec_b32 s1, s0
	s_xor_b32 s0, exec_lo, s1
; %bb.234:
	v_cmp_ne_u32_e32 vcc_lo, 0, v124
	v_cndmask_b32_e32 v124, 12, v124, vcc_lo
; %bb.235:
	s_and_not1_saveexec_b32 s0, s0
	s_cbranch_execz .LBB110_241
; %bb.236:
	v_cmp_ngt_f32_e64 s1, |v120|, |v121|
	s_and_saveexec_b32 s12, s1
	s_delay_alu instid0(SALU_CYCLE_1)
	s_xor_b32 s1, exec_lo, s12
	s_cbranch_execz .LBB110_238
; %bb.237:
	v_div_scale_f32 v119, null, v121, v121, v120
	v_div_scale_f32 v129, vcc_lo, v120, v121, v120
	s_delay_alu instid0(VALU_DEP_2) | instskip(SKIP_1) | instid1(TRANS32_DEP_1)
	v_rcp_f32_e32 v127, v119
	v_nop
	v_fma_f32 v128, -v119, v127, 1.0
	s_delay_alu instid0(VALU_DEP_1) | instskip(NEXT) | instid1(VALU_DEP_1)
	v_fmac_f32_e32 v127, v128, v127
	v_mul_f32_e32 v128, v129, v127
	s_delay_alu instid0(VALU_DEP_1) | instskip(NEXT) | instid1(VALU_DEP_1)
	v_fma_f32 v130, -v119, v128, v129
	v_fmac_f32_e32 v128, v130, v127
	s_delay_alu instid0(VALU_DEP_1) | instskip(NEXT) | instid1(VALU_DEP_1)
	v_fma_f32 v119, -v119, v128, v129
	v_div_fmas_f32 v119, v119, v127, v128
	s_delay_alu instid0(VALU_DEP_1) | instskip(NEXT) | instid1(VALU_DEP_1)
	v_div_fixup_f32 v119, v119, v121, v120
	v_fmac_f32_e32 v121, v120, v119
	s_delay_alu instid0(VALU_DEP_1) | instskip(SKIP_1) | instid1(VALU_DEP_2)
	v_div_scale_f32 v120, null, v121, v121, 1.0
	v_div_scale_f32 v129, vcc_lo, 1.0, v121, 1.0
	v_rcp_f32_e32 v127, v120
	v_nop
	s_delay_alu instid0(TRANS32_DEP_1) | instskip(NEXT) | instid1(VALU_DEP_1)
	v_fma_f32 v128, -v120, v127, 1.0
	v_fmac_f32_e32 v127, v128, v127
	s_delay_alu instid0(VALU_DEP_1) | instskip(NEXT) | instid1(VALU_DEP_1)
	v_mul_f32_e32 v128, v129, v127
	v_fma_f32 v130, -v120, v128, v129
	s_delay_alu instid0(VALU_DEP_1) | instskip(NEXT) | instid1(VALU_DEP_1)
	v_fmac_f32_e32 v128, v130, v127
	v_fma_f32 v120, -v120, v128, v129
	s_delay_alu instid0(VALU_DEP_1) | instskip(NEXT) | instid1(VALU_DEP_1)
	v_div_fmas_f32 v120, v120, v127, v128
	v_div_fixup_f32 v121, v120, v121, 1.0
	s_delay_alu instid0(VALU_DEP_1)
	v_mul_f32_e32 v120, v119, v121
	v_xor_b32_e32 v121, 0x80000000, v121
.LBB110_238:
	s_and_not1_saveexec_b32 s1, s1
	s_cbranch_execz .LBB110_240
; %bb.239:
	s_delay_alu instid0(VALU_DEP_1) | instskip(SKIP_1) | instid1(VALU_DEP_2)
	v_div_scale_f32 v119, null, v120, v120, v121
	v_div_scale_f32 v129, vcc_lo, v121, v120, v121
	v_rcp_f32_e32 v127, v119
	v_nop
	s_delay_alu instid0(TRANS32_DEP_1) | instskip(NEXT) | instid1(VALU_DEP_1)
	v_fma_f32 v128, -v119, v127, 1.0
	v_fmac_f32_e32 v127, v128, v127
	s_delay_alu instid0(VALU_DEP_1) | instskip(NEXT) | instid1(VALU_DEP_1)
	v_mul_f32_e32 v128, v129, v127
	v_fma_f32 v130, -v119, v128, v129
	s_delay_alu instid0(VALU_DEP_1) | instskip(NEXT) | instid1(VALU_DEP_1)
	v_fmac_f32_e32 v128, v130, v127
	v_fma_f32 v119, -v119, v128, v129
	s_delay_alu instid0(VALU_DEP_1) | instskip(NEXT) | instid1(VALU_DEP_1)
	v_div_fmas_f32 v119, v119, v127, v128
	v_div_fixup_f32 v119, v119, v120, v121
	s_delay_alu instid0(VALU_DEP_1) | instskip(NEXT) | instid1(VALU_DEP_1)
	v_fmac_f32_e32 v120, v121, v119
	v_div_scale_f32 v121, null, v120, v120, 1.0
	s_delay_alu instid0(VALU_DEP_1) | instskip(SKIP_1) | instid1(TRANS32_DEP_1)
	v_rcp_f32_e32 v127, v121
	v_nop
	v_fma_f32 v128, -v121, v127, 1.0
	s_delay_alu instid0(VALU_DEP_1) | instskip(SKIP_1) | instid1(VALU_DEP_1)
	v_fmac_f32_e32 v127, v128, v127
	v_div_scale_f32 v128, vcc_lo, 1.0, v120, 1.0
	v_mul_f32_e32 v129, v128, v127
	s_delay_alu instid0(VALU_DEP_1) | instskip(NEXT) | instid1(VALU_DEP_1)
	v_fma_f32 v130, -v121, v129, v128
	v_fmac_f32_e32 v129, v130, v127
	s_delay_alu instid0(VALU_DEP_1) | instskip(NEXT) | instid1(VALU_DEP_1)
	v_fma_f32 v121, -v121, v129, v128
	v_div_fmas_f32 v121, v121, v127, v129
	s_delay_alu instid0(VALU_DEP_1) | instskip(NEXT) | instid1(VALU_DEP_1)
	v_div_fixup_f32 v120, v121, v120, 1.0
	v_mul_f32_e64 v121, v119, -v120
.LBB110_240:
	s_or_b32 exec_lo, exec_lo, s1
.LBB110_241:
	s_delay_alu instid0(SALU_CYCLE_1) | instskip(NEXT) | instid1(SALU_CYCLE_1)
	s_or_b32 exec_lo, exec_lo, s0
	s_mov_b32 s0, exec_lo
	v_cmpx_ne_u32_e64 v126, v118
	s_xor_b32 s0, exec_lo, s0
	s_cbranch_execz .LBB110_247
; %bb.242:
	s_mov_b32 s1, exec_lo
	v_cmpx_eq_u32_e32 11, v126
	s_cbranch_execz .LBB110_246
; %bb.243:
	v_cmp_ne_u32_e32 vcc_lo, 11, v118
	s_xor_b32 s12, s16, -1
	s_delay_alu instid0(SALU_CYCLE_1) | instskip(NEXT) | instid1(SALU_CYCLE_1)
	s_and_b32 s13, s12, vcc_lo
	s_and_saveexec_b32 s12, s13
	s_cbranch_execz .LBB110_245
; %bb.244:
	v_ashrrev_i32_e32 v119, 31, v118
	s_delay_alu instid0(VALU_DEP_1)
	v_lshl_add_u64 v[126:127], v[118:119], 2, v[4:5]
	s_clause 0x1
	global_load_b32 v119, v[126:127], off
	global_load_b32 v125, v[4:5], off offset:44
	s_wait_loadcnt 0x1
	global_store_b32 v[4:5], v119, off offset:44
	s_wait_loadcnt 0x0
	global_store_b32 v[126:127], v125, off
.LBB110_245:
	s_wait_xcnt 0x0
	s_or_b32 exec_lo, exec_lo, s12
	v_dual_mov_b32 v126, v118 :: v_dual_mov_b32 v125, v118
.LBB110_246:
	s_or_b32 exec_lo, exec_lo, s1
.LBB110_247:
	s_and_not1_saveexec_b32 s0, s0
	s_cbranch_execz .LBB110_249
; %bb.248:
	v_dual_mov_b32 v118, v94 :: v_dual_mov_b32 v119, v95
	v_dual_mov_b32 v126, v90 :: v_dual_mov_b32 v127, v91
	ds_store_2addr_b64 v122, v[118:119], v[126:127] offset0:12 offset1:13
	v_dual_mov_b32 v118, v92 :: v_dual_mov_b32 v119, v93
	v_dual_mov_b32 v126, v36 :: v_dual_mov_b32 v127, v37
	ds_store_2addr_b64 v122, v[118:119], v[126:127] offset0:14 offset1:15
	;; [unrolled: 3-line block ×21, first 2 shown]
	v_dual_mov_b32 v118, v20 :: v_dual_mov_b32 v119, v21
	v_mov_b32_e32 v126, 11
	ds_store_2addr_b64 v122, v[118:119], v[116:117] offset0:54 offset1:55
.LBB110_249:
	s_or_b32 exec_lo, exec_lo, s0
	s_delay_alu instid0(SALU_CYCLE_1)
	s_mov_b32 s0, exec_lo
	s_wait_storecnt_dscnt 0x0
	s_barrier_signal -1
	s_barrier_wait -1
	v_cmpx_lt_i32_e32 11, v126
	s_cbranch_execz .LBB110_251
; %bb.250:
	v_pk_mul_f32 v[128:129], v[120:121], v[38:39] op_sel:[1,1] op_sel_hi:[0,1]
	s_delay_alu instid0(VALU_DEP_1)
	v_pk_fma_f32 v[118:119], v[120:121], v[38:39], v[128:129] op_sel_hi:[1,0,1] neg_lo:[0,0,1] neg_hi:[0,0,1]
	v_pk_fma_f32 v[120:121], v[120:121], v[38:39], v[128:129] op_sel_hi:[1,0,1]
	ds_load_2addr_b64 v[128:131], v122 offset0:12 offset1:13
	v_dual_mov_b32 v38, v118 :: v_dual_mov_b32 v39, v121
	s_wait_dscnt 0x0
	v_pk_mul_f32 v[132:133], v[128:129], v[120:121] op_sel:[0,1]
	s_delay_alu instid0(VALU_DEP_1) | instskip(SKIP_1) | instid1(VALU_DEP_1)
	v_pk_fma_f32 v[134:135], v[128:129], v[118:119], v[132:133] op_sel:[0,0,1] op_sel_hi:[1,1,0] neg_lo:[0,0,1] neg_hi:[0,0,1]
	v_pk_fma_f32 v[128:129], v[128:129], v[118:119], v[132:133] op_sel:[0,0,1] op_sel_hi:[1,0,0]
	v_mov_b32_e32 v135, v129
	v_pk_mul_f32 v[128:129], v[130:131], v[120:121] op_sel:[0,1]
	s_delay_alu instid0(VALU_DEP_1) | instskip(SKIP_1) | instid1(VALU_DEP_1)
	v_pk_fma_f32 v[132:133], v[130:131], v[118:119], v[128:129] op_sel:[0,0,1] op_sel_hi:[1,1,0] neg_lo:[0,0,1] neg_hi:[0,0,1]
	v_pk_fma_f32 v[128:129], v[130:131], v[118:119], v[128:129] op_sel:[0,0,1] op_sel_hi:[1,0,0]
	v_mov_b32_e32 v133, v129
	ds_load_2addr_b64 v[128:131], v122 offset0:14 offset1:15
	v_pk_add_f32 v[94:95], v[94:95], v[134:135] neg_lo:[0,1] neg_hi:[0,1]
	v_pk_add_f32 v[90:91], v[90:91], v[132:133] neg_lo:[0,1] neg_hi:[0,1]
	s_wait_dscnt 0x0
	v_pk_mul_f32 v[132:133], v[128:129], v[120:121] op_sel:[0,1]
	s_delay_alu instid0(VALU_DEP_1) | instskip(SKIP_2) | instid1(VALU_DEP_2)
	v_pk_fma_f32 v[134:135], v[128:129], v[118:119], v[132:133] op_sel:[0,0,1] op_sel_hi:[1,1,0] neg_lo:[0,0,1] neg_hi:[0,0,1]
	v_pk_fma_f32 v[128:129], v[128:129], v[118:119], v[132:133] op_sel:[0,0,1] op_sel_hi:[1,0,0]
	v_dual_mul_f32 v132, v131, v121 :: v_dual_mov_b32 v128, v131
	v_dual_mov_b32 v135, v129 :: v_dual_mov_b32 v129, v130
	s_delay_alu instid0(VALU_DEP_2) | instskip(SKIP_1) | instid1(VALU_DEP_3)
	v_pk_fma_f32 v[132:133], v[130:131], v[38:39], v[132:133] op_sel_hi:[1,1,0] neg_lo:[0,0,1] neg_hi:[0,0,1]
	v_mul_f32_e32 v130, v131, v118
	v_pk_add_f32 v[92:93], v[92:93], v[134:135] neg_lo:[0,1] neg_hi:[0,1]
	s_delay_alu instid0(VALU_DEP_2) | instskip(NEXT) | instid1(VALU_DEP_1)
	v_pk_fma_f32 v[128:129], v[128:129], v[38:39], v[130:131] op_sel_hi:[1,1,0]
	v_mov_b32_e32 v133, v129
	ds_load_2addr_b64 v[128:131], v122 offset0:16 offset1:17
	v_pk_add_f32 v[36:37], v[36:37], v[132:133] neg_lo:[0,1] neg_hi:[0,1]
	s_wait_dscnt 0x0
	v_pk_mul_f32 v[132:133], v[128:129], v[120:121] op_sel:[0,1]
	s_delay_alu instid0(VALU_DEP_1) | instskip(SKIP_1) | instid1(VALU_DEP_1)
	v_pk_fma_f32 v[134:135], v[128:129], v[118:119], v[132:133] op_sel:[0,0,1] op_sel_hi:[1,1,0] neg_lo:[0,0,1] neg_hi:[0,0,1]
	v_pk_fma_f32 v[128:129], v[128:129], v[118:119], v[132:133] op_sel:[0,0,1] op_sel_hi:[1,0,0]
	v_mov_b32_e32 v135, v129
	v_pk_mul_f32 v[128:129], v[130:131], v[120:121] op_sel:[0,1]
	s_delay_alu instid0(VALU_DEP_1) | instskip(SKIP_1) | instid1(VALU_DEP_1)
	v_pk_fma_f32 v[132:133], v[130:131], v[118:119], v[128:129] op_sel:[0,0,1] op_sel_hi:[1,1,0] neg_lo:[0,0,1] neg_hi:[0,0,1]
	v_pk_fma_f32 v[128:129], v[130:131], v[118:119], v[128:129] op_sel:[0,0,1] op_sel_hi:[1,0,0]
	v_mov_b32_e32 v133, v129
	ds_load_2addr_b64 v[128:131], v122 offset0:18 offset1:19
	v_pk_add_f32 v[88:89], v[88:89], v[134:135] neg_lo:[0,1] neg_hi:[0,1]
	v_pk_add_f32 v[84:85], v[84:85], v[132:133] neg_lo:[0,1] neg_hi:[0,1]
	s_wait_dscnt 0x0
	v_pk_mul_f32 v[132:133], v[128:129], v[120:121] op_sel:[0,1]
	s_delay_alu instid0(VALU_DEP_1) | instskip(SKIP_1) | instid1(VALU_DEP_1)
	v_pk_fma_f32 v[134:135], v[128:129], v[118:119], v[132:133] op_sel:[0,0,1] op_sel_hi:[1,1,0] neg_lo:[0,0,1] neg_hi:[0,0,1]
	v_pk_fma_f32 v[128:129], v[128:129], v[118:119], v[132:133] op_sel:[0,0,1] op_sel_hi:[1,0,0]
	v_mov_b32_e32 v135, v129
	v_pk_mul_f32 v[128:129], v[130:131], v[120:121] op_sel:[0,1]
	s_delay_alu instid0(VALU_DEP_1) | instskip(SKIP_1) | instid1(VALU_DEP_1)
	v_pk_fma_f32 v[132:133], v[130:131], v[118:119], v[128:129] op_sel:[0,0,1] op_sel_hi:[1,1,0] neg_lo:[0,0,1] neg_hi:[0,0,1]
	v_pk_fma_f32 v[128:129], v[130:131], v[118:119], v[128:129] op_sel:[0,0,1] op_sel_hi:[1,0,0]
	v_mov_b32_e32 v133, v129
	ds_load_2addr_b64 v[128:131], v122 offset0:20 offset1:21
	v_pk_add_f32 v[86:87], v[86:87], v[134:135] neg_lo:[0,1] neg_hi:[0,1]
	v_pk_add_f32 v[30:31], v[30:31], v[132:133] neg_lo:[0,1] neg_hi:[0,1]
	s_wait_dscnt 0x0
	v_dual_mul_f32 v132, v129, v121 :: v_dual_mul_f32 v134, v129, v118
	s_delay_alu instid0(VALU_DEP_1) | instskip(NEXT) | instid1(VALU_DEP_2)
	v_pk_fma_f32 v[132:133], v[128:129], v[38:39], v[132:133] op_sel_hi:[1,1,0] neg_lo:[0,0,1] neg_hi:[0,0,1]
	v_pk_fma_f32 v[128:129], v[128:129], v[38:39], v[134:135] op_sel:[1,0,0] op_sel_hi:[0,1,0]
	s_delay_alu instid0(VALU_DEP_1) | instskip(SKIP_1) | instid1(VALU_DEP_2)
	v_mov_b32_e32 v133, v129
	v_pk_mul_f32 v[128:129], v[130:131], v[120:121] op_sel:[0,1]
	v_pk_add_f32 v[82:83], v[82:83], v[132:133] neg_lo:[0,1] neg_hi:[0,1]
	s_delay_alu instid0(VALU_DEP_2) | instskip(SKIP_1) | instid1(VALU_DEP_1)
	v_pk_fma_f32 v[132:133], v[130:131], v[118:119], v[128:129] op_sel:[0,0,1] op_sel_hi:[1,1,0] neg_lo:[0,0,1] neg_hi:[0,0,1]
	v_pk_fma_f32 v[128:129], v[130:131], v[118:119], v[128:129] op_sel:[0,0,1] op_sel_hi:[1,0,0]
	v_mov_b32_e32 v133, v129
	ds_load_2addr_b64 v[128:131], v122 offset0:22 offset1:23
	v_pk_add_f32 v[78:79], v[78:79], v[132:133] neg_lo:[0,1] neg_hi:[0,1]
	s_wait_dscnt 0x0
	v_pk_mul_f32 v[132:133], v[128:129], v[120:121] op_sel:[0,1]
	s_delay_alu instid0(VALU_DEP_1) | instskip(SKIP_1) | instid1(VALU_DEP_1)
	v_pk_fma_f32 v[134:135], v[128:129], v[118:119], v[132:133] op_sel:[0,0,1] op_sel_hi:[1,1,0] neg_lo:[0,0,1] neg_hi:[0,0,1]
	v_pk_fma_f32 v[128:129], v[128:129], v[118:119], v[132:133] op_sel:[0,0,1] op_sel_hi:[1,0,0]
	v_mov_b32_e32 v135, v129
	v_pk_mul_f32 v[128:129], v[130:131], v[120:121] op_sel:[0,1]
	s_delay_alu instid0(VALU_DEP_2) | instskip(NEXT) | instid1(VALU_DEP_2)
	v_pk_add_f32 v[80:81], v[80:81], v[134:135] neg_lo:[0,1] neg_hi:[0,1]
	v_pk_fma_f32 v[132:133], v[130:131], v[118:119], v[128:129] op_sel:[0,0,1] op_sel_hi:[1,1,0] neg_lo:[0,0,1] neg_hi:[0,0,1]
	v_pk_fma_f32 v[128:129], v[130:131], v[118:119], v[128:129] op_sel:[0,0,1] op_sel_hi:[1,0,0]
	s_delay_alu instid0(VALU_DEP_1) | instskip(SKIP_4) | instid1(VALU_DEP_1)
	v_mov_b32_e32 v133, v129
	ds_load_2addr_b64 v[128:131], v122 offset0:24 offset1:25
	v_pk_add_f32 v[24:25], v[24:25], v[132:133] neg_lo:[0,1] neg_hi:[0,1]
	s_wait_dscnt 0x0
	v_pk_mul_f32 v[132:133], v[128:129], v[120:121] op_sel:[0,1]
	v_pk_fma_f32 v[134:135], v[128:129], v[118:119], v[132:133] op_sel:[0,0,1] op_sel_hi:[1,1,0] neg_lo:[0,0,1] neg_hi:[0,0,1]
	v_pk_fma_f32 v[128:129], v[128:129], v[118:119], v[132:133] op_sel:[0,0,1] op_sel_hi:[1,0,0]
	v_dual_mul_f32 v132, v131, v121 :: v_dual_mov_b32 v128, v131
	s_delay_alu instid0(VALU_DEP_2) | instskip(NEXT) | instid1(VALU_DEP_2)
	v_dual_mov_b32 v135, v129 :: v_dual_mov_b32 v129, v130
	v_pk_fma_f32 v[132:133], v[130:131], v[38:39], v[132:133] op_sel_hi:[1,1,0] neg_lo:[0,0,1] neg_hi:[0,0,1]
	v_mul_f32_e32 v130, v131, v118
	s_delay_alu instid0(VALU_DEP_3) | instskip(NEXT) | instid1(VALU_DEP_2)
	v_pk_add_f32 v[76:77], v[76:77], v[134:135] neg_lo:[0,1] neg_hi:[0,1]
	v_pk_fma_f32 v[128:129], v[128:129], v[38:39], v[130:131] op_sel_hi:[1,1,0]
	s_delay_alu instid0(VALU_DEP_1) | instskip(SKIP_4) | instid1(VALU_DEP_1)
	v_mov_b32_e32 v133, v129
	ds_load_2addr_b64 v[128:131], v122 offset0:26 offset1:27
	v_pk_add_f32 v[72:73], v[72:73], v[132:133] neg_lo:[0,1] neg_hi:[0,1]
	s_wait_dscnt 0x0
	v_pk_mul_f32 v[132:133], v[128:129], v[120:121] op_sel:[0,1]
	v_pk_fma_f32 v[134:135], v[128:129], v[118:119], v[132:133] op_sel:[0,0,1] op_sel_hi:[1,1,0] neg_lo:[0,0,1] neg_hi:[0,0,1]
	v_pk_fma_f32 v[128:129], v[128:129], v[118:119], v[132:133] op_sel:[0,0,1] op_sel_hi:[1,0,0]
	s_delay_alu instid0(VALU_DEP_1) | instskip(SKIP_1) | instid1(VALU_DEP_1)
	v_mov_b32_e32 v135, v129
	v_pk_mul_f32 v[128:129], v[130:131], v[120:121] op_sel:[0,1]
	v_pk_fma_f32 v[132:133], v[130:131], v[118:119], v[128:129] op_sel:[0,0,1] op_sel_hi:[1,1,0] neg_lo:[0,0,1] neg_hi:[0,0,1]
	v_pk_fma_f32 v[128:129], v[130:131], v[118:119], v[128:129] op_sel:[0,0,1] op_sel_hi:[1,0,0]
	s_delay_alu instid0(VALU_DEP_1)
	v_mov_b32_e32 v133, v129
	ds_load_2addr_b64 v[128:131], v122 offset0:28 offset1:29
	v_pk_add_f32 v[74:75], v[74:75], v[134:135] neg_lo:[0,1] neg_hi:[0,1]
	v_pk_add_f32 v[18:19], v[18:19], v[132:133] neg_lo:[0,1] neg_hi:[0,1]
	s_wait_dscnt 0x0
	v_pk_mul_f32 v[132:133], v[128:129], v[120:121] op_sel:[0,1]
	s_delay_alu instid0(VALU_DEP_1) | instskip(SKIP_1) | instid1(VALU_DEP_1)
	v_pk_fma_f32 v[134:135], v[128:129], v[118:119], v[132:133] op_sel:[0,0,1] op_sel_hi:[1,1,0] neg_lo:[0,0,1] neg_hi:[0,0,1]
	v_pk_fma_f32 v[128:129], v[128:129], v[118:119], v[132:133] op_sel:[0,0,1] op_sel_hi:[1,0,0]
	v_mov_b32_e32 v135, v129
	v_pk_mul_f32 v[128:129], v[130:131], v[120:121] op_sel:[0,1]
	s_delay_alu instid0(VALU_DEP_1) | instskip(SKIP_1) | instid1(VALU_DEP_1)
	v_pk_fma_f32 v[132:133], v[130:131], v[118:119], v[128:129] op_sel:[0,0,1] op_sel_hi:[1,1,0] neg_lo:[0,0,1] neg_hi:[0,0,1]
	v_pk_fma_f32 v[128:129], v[130:131], v[118:119], v[128:129] op_sel:[0,0,1] op_sel_hi:[1,0,0]
	v_mov_b32_e32 v133, v129
	ds_load_2addr_b64 v[128:131], v122 offset0:30 offset1:31
	v_pk_add_f32 v[70:71], v[70:71], v[134:135] neg_lo:[0,1] neg_hi:[0,1]
	v_pk_add_f32 v[66:67], v[66:67], v[132:133] neg_lo:[0,1] neg_hi:[0,1]
	s_wait_dscnt 0x0
	v_dual_mul_f32 v132, v129, v121 :: v_dual_mul_f32 v134, v129, v118
	s_delay_alu instid0(VALU_DEP_1) | instskip(NEXT) | instid1(VALU_DEP_2)
	v_pk_fma_f32 v[132:133], v[128:129], v[38:39], v[132:133] op_sel_hi:[1,1,0] neg_lo:[0,0,1] neg_hi:[0,0,1]
	v_pk_fma_f32 v[128:129], v[128:129], v[38:39], v[134:135] op_sel:[1,0,0] op_sel_hi:[0,1,0]
	s_delay_alu instid0(VALU_DEP_1) | instskip(SKIP_1) | instid1(VALU_DEP_2)
	v_mov_b32_e32 v133, v129
	v_pk_mul_f32 v[128:129], v[130:131], v[120:121] op_sel:[0,1]
	v_pk_add_f32 v[68:69], v[68:69], v[132:133] neg_lo:[0,1] neg_hi:[0,1]
	s_delay_alu instid0(VALU_DEP_2) | instskip(SKIP_1) | instid1(VALU_DEP_1)
	v_pk_fma_f32 v[132:133], v[130:131], v[118:119], v[128:129] op_sel:[0,0,1] op_sel_hi:[1,1,0] neg_lo:[0,0,1] neg_hi:[0,0,1]
	v_pk_fma_f32 v[128:129], v[130:131], v[118:119], v[128:129] op_sel:[0,0,1] op_sel_hi:[1,0,0]
	v_mov_b32_e32 v133, v129
	ds_load_2addr_b64 v[128:131], v122 offset0:32 offset1:33
	v_pk_add_f32 v[16:17], v[16:17], v[132:133] neg_lo:[0,1] neg_hi:[0,1]
	s_wait_dscnt 0x0
	v_pk_mul_f32 v[132:133], v[128:129], v[120:121] op_sel:[0,1]
	s_delay_alu instid0(VALU_DEP_1) | instskip(SKIP_1) | instid1(VALU_DEP_1)
	v_pk_fma_f32 v[134:135], v[128:129], v[118:119], v[132:133] op_sel:[0,0,1] op_sel_hi:[1,1,0] neg_lo:[0,0,1] neg_hi:[0,0,1]
	v_pk_fma_f32 v[128:129], v[128:129], v[118:119], v[132:133] op_sel:[0,0,1] op_sel_hi:[1,0,0]
	v_mov_b32_e32 v135, v129
	v_pk_mul_f32 v[128:129], v[130:131], v[120:121] op_sel:[0,1]
	s_delay_alu instid0(VALU_DEP_2) | instskip(NEXT) | instid1(VALU_DEP_2)
	v_pk_add_f32 v[64:65], v[64:65], v[134:135] neg_lo:[0,1] neg_hi:[0,1]
	v_pk_fma_f32 v[132:133], v[130:131], v[118:119], v[128:129] op_sel:[0,0,1] op_sel_hi:[1,1,0] neg_lo:[0,0,1] neg_hi:[0,0,1]
	v_pk_fma_f32 v[128:129], v[130:131], v[118:119], v[128:129] op_sel:[0,0,1] op_sel_hi:[1,0,0]
	s_delay_alu instid0(VALU_DEP_1) | instskip(SKIP_4) | instid1(VALU_DEP_1)
	v_mov_b32_e32 v133, v129
	ds_load_2addr_b64 v[128:131], v122 offset0:34 offset1:35
	v_pk_add_f32 v[60:61], v[60:61], v[132:133] neg_lo:[0,1] neg_hi:[0,1]
	s_wait_dscnt 0x0
	v_pk_mul_f32 v[132:133], v[128:129], v[120:121] op_sel:[0,1]
	v_pk_fma_f32 v[134:135], v[128:129], v[118:119], v[132:133] op_sel:[0,0,1] op_sel_hi:[1,1,0] neg_lo:[0,0,1] neg_hi:[0,0,1]
	v_pk_fma_f32 v[128:129], v[128:129], v[118:119], v[132:133] op_sel:[0,0,1] op_sel_hi:[1,0,0]
	v_dual_mul_f32 v132, v131, v121 :: v_dual_mov_b32 v128, v131
	s_delay_alu instid0(VALU_DEP_2) | instskip(NEXT) | instid1(VALU_DEP_2)
	v_dual_mov_b32 v135, v129 :: v_dual_mov_b32 v129, v130
	v_pk_fma_f32 v[132:133], v[130:131], v[38:39], v[132:133] op_sel_hi:[1,1,0] neg_lo:[0,0,1] neg_hi:[0,0,1]
	v_mul_f32_e32 v130, v131, v118
	s_delay_alu instid0(VALU_DEP_3) | instskip(NEXT) | instid1(VALU_DEP_2)
	v_pk_add_f32 v[62:63], v[62:63], v[134:135] neg_lo:[0,1] neg_hi:[0,1]
	v_pk_fma_f32 v[128:129], v[128:129], v[38:39], v[130:131] op_sel_hi:[1,1,0]
	s_delay_alu instid0(VALU_DEP_1) | instskip(SKIP_4) | instid1(VALU_DEP_1)
	v_mov_b32_e32 v133, v129
	ds_load_2addr_b64 v[128:131], v122 offset0:36 offset1:37
	v_pk_add_f32 v[14:15], v[14:15], v[132:133] neg_lo:[0,1] neg_hi:[0,1]
	s_wait_dscnt 0x0
	v_pk_mul_f32 v[132:133], v[128:129], v[120:121] op_sel:[0,1]
	v_pk_fma_f32 v[134:135], v[128:129], v[118:119], v[132:133] op_sel:[0,0,1] op_sel_hi:[1,1,0] neg_lo:[0,0,1] neg_hi:[0,0,1]
	v_pk_fma_f32 v[128:129], v[128:129], v[118:119], v[132:133] op_sel:[0,0,1] op_sel_hi:[1,0,0]
	s_delay_alu instid0(VALU_DEP_1) | instskip(SKIP_1) | instid1(VALU_DEP_1)
	v_mov_b32_e32 v135, v129
	v_pk_mul_f32 v[128:129], v[130:131], v[120:121] op_sel:[0,1]
	v_pk_fma_f32 v[132:133], v[130:131], v[118:119], v[128:129] op_sel:[0,0,1] op_sel_hi:[1,1,0] neg_lo:[0,0,1] neg_hi:[0,0,1]
	v_pk_fma_f32 v[128:129], v[130:131], v[118:119], v[128:129] op_sel:[0,0,1] op_sel_hi:[1,0,0]
	s_delay_alu instid0(VALU_DEP_1)
	v_mov_b32_e32 v133, v129
	ds_load_2addr_b64 v[128:131], v122 offset0:38 offset1:39
	v_pk_add_f32 v[58:59], v[58:59], v[134:135] neg_lo:[0,1] neg_hi:[0,1]
	v_pk_add_f32 v[54:55], v[54:55], v[132:133] neg_lo:[0,1] neg_hi:[0,1]
	s_wait_dscnt 0x0
	v_pk_mul_f32 v[132:133], v[128:129], v[120:121] op_sel:[0,1]
	s_delay_alu instid0(VALU_DEP_1) | instskip(SKIP_1) | instid1(VALU_DEP_1)
	v_pk_fma_f32 v[134:135], v[128:129], v[118:119], v[132:133] op_sel:[0,0,1] op_sel_hi:[1,1,0] neg_lo:[0,0,1] neg_hi:[0,0,1]
	v_pk_fma_f32 v[128:129], v[128:129], v[118:119], v[132:133] op_sel:[0,0,1] op_sel_hi:[1,0,0]
	v_mov_b32_e32 v135, v129
	v_pk_mul_f32 v[128:129], v[130:131], v[120:121] op_sel:[0,1]
	s_delay_alu instid0(VALU_DEP_1) | instskip(SKIP_1) | instid1(VALU_DEP_1)
	v_pk_fma_f32 v[132:133], v[130:131], v[118:119], v[128:129] op_sel:[0,0,1] op_sel_hi:[1,1,0] neg_lo:[0,0,1] neg_hi:[0,0,1]
	v_pk_fma_f32 v[128:129], v[130:131], v[118:119], v[128:129] op_sel:[0,0,1] op_sel_hi:[1,0,0]
	v_mov_b32_e32 v133, v129
	ds_load_2addr_b64 v[128:131], v122 offset0:40 offset1:41
	v_pk_add_f32 v[56:57], v[56:57], v[134:135] neg_lo:[0,1] neg_hi:[0,1]
	v_pk_add_f32 v[12:13], v[12:13], v[132:133] neg_lo:[0,1] neg_hi:[0,1]
	s_wait_dscnt 0x0
	v_dual_mul_f32 v132, v129, v121 :: v_dual_mul_f32 v134, v129, v118
	s_delay_alu instid0(VALU_DEP_1) | instskip(NEXT) | instid1(VALU_DEP_2)
	v_pk_fma_f32 v[132:133], v[128:129], v[38:39], v[132:133] op_sel_hi:[1,1,0] neg_lo:[0,0,1] neg_hi:[0,0,1]
	v_pk_fma_f32 v[128:129], v[128:129], v[38:39], v[134:135] op_sel:[1,0,0] op_sel_hi:[0,1,0]
	s_delay_alu instid0(VALU_DEP_1) | instskip(SKIP_1) | instid1(VALU_DEP_2)
	v_mov_b32_e32 v133, v129
	v_pk_mul_f32 v[128:129], v[130:131], v[120:121] op_sel:[0,1]
	v_pk_add_f32 v[52:53], v[52:53], v[132:133] neg_lo:[0,1] neg_hi:[0,1]
	s_delay_alu instid0(VALU_DEP_2) | instskip(SKIP_1) | instid1(VALU_DEP_1)
	v_pk_fma_f32 v[132:133], v[130:131], v[118:119], v[128:129] op_sel:[0,0,1] op_sel_hi:[1,1,0] neg_lo:[0,0,1] neg_hi:[0,0,1]
	v_pk_fma_f32 v[128:129], v[130:131], v[118:119], v[128:129] op_sel:[0,0,1] op_sel_hi:[1,0,0]
	v_mov_b32_e32 v133, v129
	ds_load_2addr_b64 v[128:131], v122 offset0:42 offset1:43
	v_pk_add_f32 v[48:49], v[48:49], v[132:133] neg_lo:[0,1] neg_hi:[0,1]
	s_wait_dscnt 0x0
	v_pk_mul_f32 v[132:133], v[128:129], v[120:121] op_sel:[0,1]
	s_delay_alu instid0(VALU_DEP_1) | instskip(SKIP_1) | instid1(VALU_DEP_1)
	v_pk_fma_f32 v[134:135], v[128:129], v[118:119], v[132:133] op_sel:[0,0,1] op_sel_hi:[1,1,0] neg_lo:[0,0,1] neg_hi:[0,0,1]
	v_pk_fma_f32 v[128:129], v[128:129], v[118:119], v[132:133] op_sel:[0,0,1] op_sel_hi:[1,0,0]
	v_mov_b32_e32 v135, v129
	v_pk_mul_f32 v[128:129], v[130:131], v[120:121] op_sel:[0,1]
	s_delay_alu instid0(VALU_DEP_2) | instskip(NEXT) | instid1(VALU_DEP_2)
	v_pk_add_f32 v[50:51], v[50:51], v[134:135] neg_lo:[0,1] neg_hi:[0,1]
	v_pk_fma_f32 v[132:133], v[130:131], v[118:119], v[128:129] op_sel:[0,0,1] op_sel_hi:[1,1,0] neg_lo:[0,0,1] neg_hi:[0,0,1]
	v_pk_fma_f32 v[128:129], v[130:131], v[118:119], v[128:129] op_sel:[0,0,1] op_sel_hi:[1,0,0]
	s_delay_alu instid0(VALU_DEP_1) | instskip(SKIP_4) | instid1(VALU_DEP_1)
	v_mov_b32_e32 v133, v129
	ds_load_2addr_b64 v[128:131], v122 offset0:44 offset1:45
	v_pk_add_f32 v[10:11], v[10:11], v[132:133] neg_lo:[0,1] neg_hi:[0,1]
	s_wait_dscnt 0x0
	v_pk_mul_f32 v[132:133], v[128:129], v[120:121] op_sel:[0,1]
	v_pk_fma_f32 v[134:135], v[128:129], v[118:119], v[132:133] op_sel:[0,0,1] op_sel_hi:[1,1,0] neg_lo:[0,0,1] neg_hi:[0,0,1]
	v_pk_fma_f32 v[128:129], v[128:129], v[118:119], v[132:133] op_sel:[0,0,1] op_sel_hi:[1,0,0]
	v_dual_mul_f32 v132, v131, v121 :: v_dual_mov_b32 v128, v131
	s_delay_alu instid0(VALU_DEP_2) | instskip(NEXT) | instid1(VALU_DEP_2)
	v_dual_mov_b32 v135, v129 :: v_dual_mov_b32 v129, v130
	v_pk_fma_f32 v[132:133], v[130:131], v[38:39], v[132:133] op_sel_hi:[1,1,0] neg_lo:[0,0,1] neg_hi:[0,0,1]
	v_mul_f32_e32 v130, v131, v118
	s_delay_alu instid0(VALU_DEP_3) | instskip(NEXT) | instid1(VALU_DEP_2)
	v_pk_add_f32 v[46:47], v[46:47], v[134:135] neg_lo:[0,1] neg_hi:[0,1]
	v_pk_fma_f32 v[128:129], v[128:129], v[38:39], v[130:131] op_sel_hi:[1,1,0]
	s_delay_alu instid0(VALU_DEP_1) | instskip(SKIP_4) | instid1(VALU_DEP_1)
	v_mov_b32_e32 v133, v129
	ds_load_2addr_b64 v[128:131], v122 offset0:46 offset1:47
	v_pk_add_f32 v[42:43], v[42:43], v[132:133] neg_lo:[0,1] neg_hi:[0,1]
	s_wait_dscnt 0x0
	v_pk_mul_f32 v[132:133], v[128:129], v[120:121] op_sel:[0,1]
	v_pk_fma_f32 v[134:135], v[128:129], v[118:119], v[132:133] op_sel:[0,0,1] op_sel_hi:[1,1,0] neg_lo:[0,0,1] neg_hi:[0,0,1]
	v_pk_fma_f32 v[128:129], v[128:129], v[118:119], v[132:133] op_sel:[0,0,1] op_sel_hi:[1,0,0]
	s_delay_alu instid0(VALU_DEP_1) | instskip(SKIP_1) | instid1(VALU_DEP_1)
	v_mov_b32_e32 v135, v129
	v_pk_mul_f32 v[128:129], v[130:131], v[120:121] op_sel:[0,1]
	v_pk_fma_f32 v[132:133], v[130:131], v[118:119], v[128:129] op_sel:[0,0,1] op_sel_hi:[1,1,0] neg_lo:[0,0,1] neg_hi:[0,0,1]
	v_pk_fma_f32 v[128:129], v[130:131], v[118:119], v[128:129] op_sel:[0,0,1] op_sel_hi:[1,0,0]
	s_delay_alu instid0(VALU_DEP_1)
	v_mov_b32_e32 v133, v129
	ds_load_2addr_b64 v[128:131], v122 offset0:48 offset1:49
	v_pk_add_f32 v[44:45], v[44:45], v[134:135] neg_lo:[0,1] neg_hi:[0,1]
	v_pk_add_f32 v[6:7], v[6:7], v[132:133] neg_lo:[0,1] neg_hi:[0,1]
	s_wait_dscnt 0x0
	v_pk_mul_f32 v[132:133], v[128:129], v[120:121] op_sel:[0,1]
	s_delay_alu instid0(VALU_DEP_1) | instskip(SKIP_1) | instid1(VALU_DEP_1)
	v_pk_fma_f32 v[134:135], v[128:129], v[118:119], v[132:133] op_sel:[0,0,1] op_sel_hi:[1,1,0] neg_lo:[0,0,1] neg_hi:[0,0,1]
	v_pk_fma_f32 v[128:129], v[128:129], v[118:119], v[132:133] op_sel:[0,0,1] op_sel_hi:[1,0,0]
	v_mov_b32_e32 v135, v129
	v_pk_mul_f32 v[128:129], v[130:131], v[120:121] op_sel:[0,1]
	s_delay_alu instid0(VALU_DEP_1) | instskip(SKIP_1) | instid1(VALU_DEP_1)
	v_pk_fma_f32 v[132:133], v[130:131], v[118:119], v[128:129] op_sel:[0,0,1] op_sel_hi:[1,1,0] neg_lo:[0,0,1] neg_hi:[0,0,1]
	v_pk_fma_f32 v[128:129], v[130:131], v[118:119], v[128:129] op_sel:[0,0,1] op_sel_hi:[1,0,0]
	v_mov_b32_e32 v133, v129
	ds_load_2addr_b64 v[128:131], v122 offset0:50 offset1:51
	v_pk_add_f32 v[34:35], v[34:35], v[134:135] neg_lo:[0,1] neg_hi:[0,1]
	v_pk_add_f32 v[28:29], v[28:29], v[132:133] neg_lo:[0,1] neg_hi:[0,1]
	s_wait_dscnt 0x0
	v_dual_mul_f32 v132, v129, v121 :: v_dual_mul_f32 v134, v129, v118
	s_delay_alu instid0(VALU_DEP_1) | instskip(NEXT) | instid1(VALU_DEP_2)
	v_pk_fma_f32 v[132:133], v[128:129], v[38:39], v[132:133] op_sel_hi:[1,1,0] neg_lo:[0,0,1] neg_hi:[0,0,1]
	v_pk_fma_f32 v[128:129], v[128:129], v[38:39], v[134:135] op_sel:[1,0,0] op_sel_hi:[0,1,0]
	s_delay_alu instid0(VALU_DEP_1) | instskip(SKIP_1) | instid1(VALU_DEP_2)
	v_mov_b32_e32 v133, v129
	v_pk_mul_f32 v[128:129], v[130:131], v[120:121] op_sel:[0,1]
	v_pk_add_f32 v[32:33], v[32:33], v[132:133] neg_lo:[0,1] neg_hi:[0,1]
	s_delay_alu instid0(VALU_DEP_2) | instskip(SKIP_1) | instid1(VALU_DEP_1)
	v_pk_fma_f32 v[132:133], v[130:131], v[118:119], v[128:129] op_sel:[0,0,1] op_sel_hi:[1,1,0] neg_lo:[0,0,1] neg_hi:[0,0,1]
	v_pk_fma_f32 v[128:129], v[130:131], v[118:119], v[128:129] op_sel:[0,0,1] op_sel_hi:[1,0,0]
	v_mov_b32_e32 v133, v129
	ds_load_2addr_b64 v[128:131], v122 offset0:52 offset1:53
	v_pk_add_f32 v[8:9], v[8:9], v[132:133] neg_lo:[0,1] neg_hi:[0,1]
	s_wait_dscnt 0x0
	v_pk_mul_f32 v[132:133], v[128:129], v[120:121] op_sel:[0,1]
	s_delay_alu instid0(VALU_DEP_1) | instskip(SKIP_1) | instid1(VALU_DEP_1)
	v_pk_fma_f32 v[134:135], v[128:129], v[118:119], v[132:133] op_sel:[0,0,1] op_sel_hi:[1,1,0] neg_lo:[0,0,1] neg_hi:[0,0,1]
	v_pk_fma_f32 v[128:129], v[128:129], v[118:119], v[132:133] op_sel:[0,0,1] op_sel_hi:[1,0,0]
	v_mov_b32_e32 v135, v129
	v_pk_mul_f32 v[128:129], v[130:131], v[120:121] op_sel:[0,1]
	s_delay_alu instid0(VALU_DEP_2) | instskip(NEXT) | instid1(VALU_DEP_2)
	v_pk_add_f32 v[26:27], v[26:27], v[134:135] neg_lo:[0,1] neg_hi:[0,1]
	v_pk_fma_f32 v[132:133], v[130:131], v[118:119], v[128:129] op_sel:[0,0,1] op_sel_hi:[1,1,0] neg_lo:[0,0,1] neg_hi:[0,0,1]
	v_pk_fma_f32 v[128:129], v[130:131], v[118:119], v[128:129] op_sel:[0,0,1] op_sel_hi:[1,0,0]
	s_delay_alu instid0(VALU_DEP_1)
	v_mov_b32_e32 v133, v129
	ds_load_2addr_b64 v[128:131], v122 offset0:54 offset1:55
	v_pk_add_f32 v[22:23], v[22:23], v[132:133] neg_lo:[0,1] neg_hi:[0,1]
	s_wait_dscnt 0x0
	v_pk_mul_f32 v[132:133], v[128:129], v[120:121] op_sel:[0,1]
	v_pk_mul_f32 v[120:121], v[130:131], v[120:121] op_sel:[0,1]
	s_delay_alu instid0(VALU_DEP_2) | instskip(SKIP_1) | instid1(VALU_DEP_1)
	v_pk_fma_f32 v[134:135], v[128:129], v[118:119], v[132:133] op_sel:[0,0,1] op_sel_hi:[1,1,0] neg_lo:[0,0,1] neg_hi:[0,0,1]
	v_pk_fma_f32 v[128:129], v[128:129], v[118:119], v[132:133] op_sel:[0,0,1] op_sel_hi:[1,0,0]
	v_mov_b32_e32 v135, v129
	s_delay_alu instid0(VALU_DEP_4) | instskip(SKIP_1) | instid1(VALU_DEP_3)
	v_pk_fma_f32 v[128:129], v[130:131], v[118:119], v[120:121] op_sel:[0,0,1] op_sel_hi:[1,1,0] neg_lo:[0,0,1] neg_hi:[0,0,1]
	v_pk_fma_f32 v[118:119], v[130:131], v[118:119], v[120:121] op_sel:[0,0,1] op_sel_hi:[1,0,0]
	v_pk_add_f32 v[20:21], v[20:21], v[134:135] neg_lo:[0,1] neg_hi:[0,1]
	s_delay_alu instid0(VALU_DEP_2) | instskip(NEXT) | instid1(VALU_DEP_1)
	v_mov_b32_e32 v129, v119
	v_pk_add_f32 v[116:117], v[116:117], v[128:129] neg_lo:[0,1] neg_hi:[0,1]
.LBB110_251:
	s_or_b32 exec_lo, exec_lo, s0
	v_lshl_add_u32 v118, v126, 3, v122
	s_barrier_signal -1
	s_barrier_wait -1
	ds_store_b64 v118, v[94:95]
	s_wait_dscnt 0x0
	s_barrier_signal -1
	s_barrier_wait -1
	ds_load_b64 v[120:121], v122 offset:96
	v_mov_b32_e32 v118, 12
	s_cmp_lt_i32 s18, 14
	s_cbranch_scc1 .LBB110_254
; %bb.252:
	v_add3_u32 v119, v123, 0, 0x68
	v_mov_b32_e32 v118, 12
	s_mov_b32 s0, 13
.LBB110_253:                            ; =>This Inner Loop Header: Depth=1
	ds_load_b64 v[128:129], v119
	s_wait_dscnt 0x1
	v_cmp_gt_f32_e32 vcc_lo, 0, v120
	v_cndmask_b32_e64 v130, v120, -v120, vcc_lo
	v_cmp_gt_f32_e32 vcc_lo, 0, v121
	v_cndmask_b32_e64 v132, v121, -v121, vcc_lo
	s_wait_dscnt 0x0
	v_cmp_gt_f32_e32 vcc_lo, 0, v128
	v_cndmask_b32_e64 v131, v128, -v128, vcc_lo
	v_cmp_gt_f32_e32 vcc_lo, 0, v129
	v_cndmask_b32_e64 v133, v129, -v129, vcc_lo
	s_delay_alu instid0(VALU_DEP_1) | instskip(NEXT) | instid1(VALU_DEP_1)
	v_pk_add_f32 v[130:131], v[130:131], v[132:133]
	v_cmp_lt_f32_e32 vcc_lo, v130, v131
	v_dual_add_nc_u32 v119, 8, v119 :: v_dual_cndmask_b32 v121, v121, v129, vcc_lo
	v_cndmask_b32_e32 v120, v120, v128, vcc_lo
	v_cndmask_b32_e64 v118, v118, s0, vcc_lo
	s_add_co_i32 s0, s0, 1
	s_delay_alu instid0(SALU_CYCLE_1)
	s_cmp_lg_u32 s18, s0
	s_cbranch_scc1 .LBB110_253
.LBB110_254:
	s_wait_dscnt 0x0
	v_cmp_eq_f32_e32 vcc_lo, 0, v120
	v_cmp_eq_f32_e64 s0, 0, v121
	s_and_b32 s0, vcc_lo, s0
	s_delay_alu instid0(SALU_CYCLE_1) | instskip(NEXT) | instid1(SALU_CYCLE_1)
	s_and_saveexec_b32 s1, s0
	s_xor_b32 s0, exec_lo, s1
; %bb.255:
	v_cmp_ne_u32_e32 vcc_lo, 0, v124
	v_cndmask_b32_e32 v124, 13, v124, vcc_lo
; %bb.256:
	s_and_not1_saveexec_b32 s0, s0
	s_cbranch_execz .LBB110_262
; %bb.257:
	v_cmp_ngt_f32_e64 s1, |v120|, |v121|
	s_and_saveexec_b32 s12, s1
	s_delay_alu instid0(SALU_CYCLE_1)
	s_xor_b32 s1, exec_lo, s12
	s_cbranch_execz .LBB110_259
; %bb.258:
	v_div_scale_f32 v119, null, v121, v121, v120
	v_div_scale_f32 v129, vcc_lo, v120, v121, v120
	s_delay_alu instid0(VALU_DEP_2) | instskip(SKIP_1) | instid1(TRANS32_DEP_1)
	v_rcp_f32_e32 v127, v119
	v_nop
	v_fma_f32 v128, -v119, v127, 1.0
	s_delay_alu instid0(VALU_DEP_1) | instskip(NEXT) | instid1(VALU_DEP_1)
	v_fmac_f32_e32 v127, v128, v127
	v_mul_f32_e32 v128, v129, v127
	s_delay_alu instid0(VALU_DEP_1) | instskip(NEXT) | instid1(VALU_DEP_1)
	v_fma_f32 v130, -v119, v128, v129
	v_fmac_f32_e32 v128, v130, v127
	s_delay_alu instid0(VALU_DEP_1) | instskip(NEXT) | instid1(VALU_DEP_1)
	v_fma_f32 v119, -v119, v128, v129
	v_div_fmas_f32 v119, v119, v127, v128
	s_delay_alu instid0(VALU_DEP_1) | instskip(NEXT) | instid1(VALU_DEP_1)
	v_div_fixup_f32 v119, v119, v121, v120
	v_fmac_f32_e32 v121, v120, v119
	s_delay_alu instid0(VALU_DEP_1) | instskip(SKIP_1) | instid1(VALU_DEP_2)
	v_div_scale_f32 v120, null, v121, v121, 1.0
	v_div_scale_f32 v129, vcc_lo, 1.0, v121, 1.0
	v_rcp_f32_e32 v127, v120
	v_nop
	s_delay_alu instid0(TRANS32_DEP_1) | instskip(NEXT) | instid1(VALU_DEP_1)
	v_fma_f32 v128, -v120, v127, 1.0
	v_fmac_f32_e32 v127, v128, v127
	s_delay_alu instid0(VALU_DEP_1) | instskip(NEXT) | instid1(VALU_DEP_1)
	v_mul_f32_e32 v128, v129, v127
	v_fma_f32 v130, -v120, v128, v129
	s_delay_alu instid0(VALU_DEP_1) | instskip(NEXT) | instid1(VALU_DEP_1)
	v_fmac_f32_e32 v128, v130, v127
	v_fma_f32 v120, -v120, v128, v129
	s_delay_alu instid0(VALU_DEP_1) | instskip(NEXT) | instid1(VALU_DEP_1)
	v_div_fmas_f32 v120, v120, v127, v128
	v_div_fixup_f32 v121, v120, v121, 1.0
	s_delay_alu instid0(VALU_DEP_1)
	v_mul_f32_e32 v120, v119, v121
	v_xor_b32_e32 v121, 0x80000000, v121
.LBB110_259:
	s_and_not1_saveexec_b32 s1, s1
	s_cbranch_execz .LBB110_261
; %bb.260:
	s_delay_alu instid0(VALU_DEP_1) | instskip(SKIP_1) | instid1(VALU_DEP_2)
	v_div_scale_f32 v119, null, v120, v120, v121
	v_div_scale_f32 v129, vcc_lo, v121, v120, v121
	v_rcp_f32_e32 v127, v119
	v_nop
	s_delay_alu instid0(TRANS32_DEP_1) | instskip(NEXT) | instid1(VALU_DEP_1)
	v_fma_f32 v128, -v119, v127, 1.0
	v_fmac_f32_e32 v127, v128, v127
	s_delay_alu instid0(VALU_DEP_1) | instskip(NEXT) | instid1(VALU_DEP_1)
	v_mul_f32_e32 v128, v129, v127
	v_fma_f32 v130, -v119, v128, v129
	s_delay_alu instid0(VALU_DEP_1) | instskip(NEXT) | instid1(VALU_DEP_1)
	v_fmac_f32_e32 v128, v130, v127
	v_fma_f32 v119, -v119, v128, v129
	s_delay_alu instid0(VALU_DEP_1) | instskip(NEXT) | instid1(VALU_DEP_1)
	v_div_fmas_f32 v119, v119, v127, v128
	v_div_fixup_f32 v119, v119, v120, v121
	s_delay_alu instid0(VALU_DEP_1) | instskip(NEXT) | instid1(VALU_DEP_1)
	v_fmac_f32_e32 v120, v121, v119
	v_div_scale_f32 v121, null, v120, v120, 1.0
	s_delay_alu instid0(VALU_DEP_1) | instskip(SKIP_1) | instid1(TRANS32_DEP_1)
	v_rcp_f32_e32 v127, v121
	v_nop
	v_fma_f32 v128, -v121, v127, 1.0
	s_delay_alu instid0(VALU_DEP_1) | instskip(SKIP_1) | instid1(VALU_DEP_1)
	v_fmac_f32_e32 v127, v128, v127
	v_div_scale_f32 v128, vcc_lo, 1.0, v120, 1.0
	v_mul_f32_e32 v129, v128, v127
	s_delay_alu instid0(VALU_DEP_1) | instskip(NEXT) | instid1(VALU_DEP_1)
	v_fma_f32 v130, -v121, v129, v128
	v_fmac_f32_e32 v129, v130, v127
	s_delay_alu instid0(VALU_DEP_1) | instskip(NEXT) | instid1(VALU_DEP_1)
	v_fma_f32 v121, -v121, v129, v128
	v_div_fmas_f32 v121, v121, v127, v129
	s_delay_alu instid0(VALU_DEP_1) | instskip(NEXT) | instid1(VALU_DEP_1)
	v_div_fixup_f32 v120, v121, v120, 1.0
	v_mul_f32_e64 v121, v119, -v120
.LBB110_261:
	s_or_b32 exec_lo, exec_lo, s1
.LBB110_262:
	s_delay_alu instid0(SALU_CYCLE_1) | instskip(NEXT) | instid1(SALU_CYCLE_1)
	s_or_b32 exec_lo, exec_lo, s0
	s_mov_b32 s0, exec_lo
	v_cmpx_ne_u32_e64 v126, v118
	s_xor_b32 s0, exec_lo, s0
	s_cbranch_execz .LBB110_268
; %bb.263:
	s_mov_b32 s1, exec_lo
	v_cmpx_eq_u32_e32 12, v126
	s_cbranch_execz .LBB110_267
; %bb.264:
	v_cmp_ne_u32_e32 vcc_lo, 12, v118
	s_xor_b32 s12, s16, -1
	s_delay_alu instid0(SALU_CYCLE_1) | instskip(NEXT) | instid1(SALU_CYCLE_1)
	s_and_b32 s13, s12, vcc_lo
	s_and_saveexec_b32 s12, s13
	s_cbranch_execz .LBB110_266
; %bb.265:
	v_ashrrev_i32_e32 v119, 31, v118
	s_delay_alu instid0(VALU_DEP_1)
	v_lshl_add_u64 v[126:127], v[118:119], 2, v[4:5]
	s_clause 0x1
	global_load_b32 v119, v[126:127], off
	global_load_b32 v125, v[4:5], off offset:48
	s_wait_loadcnt 0x1
	global_store_b32 v[4:5], v119, off offset:48
	s_wait_loadcnt 0x0
	global_store_b32 v[126:127], v125, off
.LBB110_266:
	s_wait_xcnt 0x0
	s_or_b32 exec_lo, exec_lo, s12
	v_dual_mov_b32 v126, v118 :: v_dual_mov_b32 v125, v118
.LBB110_267:
	s_or_b32 exec_lo, exec_lo, s1
.LBB110_268:
	s_and_not1_saveexec_b32 s0, s0
	s_cbranch_execz .LBB110_270
; %bb.269:
	v_mov_b32_e32 v126, 12
	ds_store_2addr_b64 v122, v[90:91], v[92:93] offset0:13 offset1:14
	ds_store_2addr_b64 v122, v[36:37], v[88:89] offset0:15 offset1:16
	;; [unrolled: 1-line block ×21, first 2 shown]
	ds_store_b64 v122, v[116:117] offset:440
.LBB110_270:
	s_or_b32 exec_lo, exec_lo, s0
	s_delay_alu instid0(SALU_CYCLE_1)
	s_mov_b32 s0, exec_lo
	s_wait_storecnt_dscnt 0x0
	s_barrier_signal -1
	s_barrier_wait -1
	v_cmpx_lt_i32_e32 12, v126
	s_cbranch_execz .LBB110_272
; %bb.271:
	v_pk_mul_f32 v[128:129], v[120:121], v[94:95] op_sel:[1,1] op_sel_hi:[0,1]
	s_delay_alu instid0(VALU_DEP_1)
	v_pk_fma_f32 v[118:119], v[120:121], v[94:95], v[128:129] op_sel_hi:[1,0,1] neg_lo:[0,0,1] neg_hi:[0,0,1]
	v_pk_fma_f32 v[120:121], v[120:121], v[94:95], v[128:129] op_sel_hi:[1,0,1]
	ds_load_2addr_b64 v[128:131], v122 offset0:13 offset1:14
	v_dual_mov_b32 v94, v118 :: v_dual_mov_b32 v95, v121
	s_wait_dscnt 0x0
	v_pk_mul_f32 v[132:133], v[128:129], v[120:121] op_sel:[0,1]
	s_delay_alu instid0(VALU_DEP_1) | instskip(SKIP_1) | instid1(VALU_DEP_1)
	v_pk_fma_f32 v[134:135], v[128:129], v[118:119], v[132:133] op_sel:[0,0,1] op_sel_hi:[1,1,0] neg_lo:[0,0,1] neg_hi:[0,0,1]
	v_pk_fma_f32 v[128:129], v[128:129], v[118:119], v[132:133] op_sel:[0,0,1] op_sel_hi:[1,0,0]
	v_mov_b32_e32 v135, v129
	v_pk_mul_f32 v[128:129], v[130:131], v[120:121] op_sel:[0,1]
	s_delay_alu instid0(VALU_DEP_1) | instskip(SKIP_1) | instid1(VALU_DEP_1)
	v_pk_fma_f32 v[132:133], v[130:131], v[118:119], v[128:129] op_sel:[0,0,1] op_sel_hi:[1,1,0] neg_lo:[0,0,1] neg_hi:[0,0,1]
	v_pk_fma_f32 v[128:129], v[130:131], v[118:119], v[128:129] op_sel:[0,0,1] op_sel_hi:[1,0,0]
	v_mov_b32_e32 v133, v129
	ds_load_2addr_b64 v[128:131], v122 offset0:15 offset1:16
	v_pk_add_f32 v[90:91], v[90:91], v[134:135] neg_lo:[0,1] neg_hi:[0,1]
	v_pk_add_f32 v[92:93], v[92:93], v[132:133] neg_lo:[0,1] neg_hi:[0,1]
	s_wait_dscnt 0x0
	v_pk_mul_f32 v[132:133], v[128:129], v[120:121] op_sel:[0,1]
	s_delay_alu instid0(VALU_DEP_1) | instskip(SKIP_2) | instid1(VALU_DEP_2)
	v_pk_fma_f32 v[134:135], v[128:129], v[118:119], v[132:133] op_sel:[0,0,1] op_sel_hi:[1,1,0] neg_lo:[0,0,1] neg_hi:[0,0,1]
	v_pk_fma_f32 v[128:129], v[128:129], v[118:119], v[132:133] op_sel:[0,0,1] op_sel_hi:[1,0,0]
	v_dual_mul_f32 v132, v131, v121 :: v_dual_mov_b32 v128, v131
	v_dual_mov_b32 v135, v129 :: v_dual_mov_b32 v129, v130
	s_delay_alu instid0(VALU_DEP_2) | instskip(SKIP_1) | instid1(VALU_DEP_3)
	v_pk_fma_f32 v[132:133], v[130:131], v[94:95], v[132:133] op_sel_hi:[1,1,0] neg_lo:[0,0,1] neg_hi:[0,0,1]
	v_mul_f32_e32 v130, v131, v118
	v_pk_add_f32 v[36:37], v[36:37], v[134:135] neg_lo:[0,1] neg_hi:[0,1]
	s_delay_alu instid0(VALU_DEP_2) | instskip(NEXT) | instid1(VALU_DEP_1)
	v_pk_fma_f32 v[128:129], v[128:129], v[94:95], v[130:131] op_sel_hi:[1,1,0]
	v_mov_b32_e32 v133, v129
	ds_load_2addr_b64 v[128:131], v122 offset0:17 offset1:18
	v_pk_add_f32 v[88:89], v[88:89], v[132:133] neg_lo:[0,1] neg_hi:[0,1]
	s_wait_dscnt 0x0
	v_pk_mul_f32 v[132:133], v[128:129], v[120:121] op_sel:[0,1]
	s_delay_alu instid0(VALU_DEP_1) | instskip(SKIP_1) | instid1(VALU_DEP_1)
	v_pk_fma_f32 v[134:135], v[128:129], v[118:119], v[132:133] op_sel:[0,0,1] op_sel_hi:[1,1,0] neg_lo:[0,0,1] neg_hi:[0,0,1]
	v_pk_fma_f32 v[128:129], v[128:129], v[118:119], v[132:133] op_sel:[0,0,1] op_sel_hi:[1,0,0]
	v_mov_b32_e32 v135, v129
	v_pk_mul_f32 v[128:129], v[130:131], v[120:121] op_sel:[0,1]
	s_delay_alu instid0(VALU_DEP_1) | instskip(SKIP_1) | instid1(VALU_DEP_1)
	v_pk_fma_f32 v[132:133], v[130:131], v[118:119], v[128:129] op_sel:[0,0,1] op_sel_hi:[1,1,0] neg_lo:[0,0,1] neg_hi:[0,0,1]
	v_pk_fma_f32 v[128:129], v[130:131], v[118:119], v[128:129] op_sel:[0,0,1] op_sel_hi:[1,0,0]
	v_mov_b32_e32 v133, v129
	ds_load_2addr_b64 v[128:131], v122 offset0:19 offset1:20
	v_pk_add_f32 v[84:85], v[84:85], v[134:135] neg_lo:[0,1] neg_hi:[0,1]
	v_pk_add_f32 v[86:87], v[86:87], v[132:133] neg_lo:[0,1] neg_hi:[0,1]
	s_wait_dscnt 0x0
	v_pk_mul_f32 v[132:133], v[128:129], v[120:121] op_sel:[0,1]
	s_delay_alu instid0(VALU_DEP_1) | instskip(SKIP_1) | instid1(VALU_DEP_1)
	v_pk_fma_f32 v[134:135], v[128:129], v[118:119], v[132:133] op_sel:[0,0,1] op_sel_hi:[1,1,0] neg_lo:[0,0,1] neg_hi:[0,0,1]
	v_pk_fma_f32 v[128:129], v[128:129], v[118:119], v[132:133] op_sel:[0,0,1] op_sel_hi:[1,0,0]
	v_mov_b32_e32 v135, v129
	v_pk_mul_f32 v[128:129], v[130:131], v[120:121] op_sel:[0,1]
	s_delay_alu instid0(VALU_DEP_1) | instskip(SKIP_1) | instid1(VALU_DEP_1)
	v_pk_fma_f32 v[132:133], v[130:131], v[118:119], v[128:129] op_sel:[0,0,1] op_sel_hi:[1,1,0] neg_lo:[0,0,1] neg_hi:[0,0,1]
	v_pk_fma_f32 v[128:129], v[130:131], v[118:119], v[128:129] op_sel:[0,0,1] op_sel_hi:[1,0,0]
	v_mov_b32_e32 v133, v129
	ds_load_2addr_b64 v[128:131], v122 offset0:21 offset1:22
	v_pk_add_f32 v[30:31], v[30:31], v[134:135] neg_lo:[0,1] neg_hi:[0,1]
	v_pk_add_f32 v[82:83], v[82:83], v[132:133] neg_lo:[0,1] neg_hi:[0,1]
	s_wait_dscnt 0x0
	v_dual_mul_f32 v132, v129, v121 :: v_dual_mul_f32 v134, v129, v118
	s_delay_alu instid0(VALU_DEP_1) | instskip(NEXT) | instid1(VALU_DEP_2)
	v_pk_fma_f32 v[132:133], v[128:129], v[94:95], v[132:133] op_sel_hi:[1,1,0] neg_lo:[0,0,1] neg_hi:[0,0,1]
	v_pk_fma_f32 v[128:129], v[128:129], v[94:95], v[134:135] op_sel:[1,0,0] op_sel_hi:[0,1,0]
	s_delay_alu instid0(VALU_DEP_1) | instskip(SKIP_1) | instid1(VALU_DEP_2)
	v_mov_b32_e32 v133, v129
	v_pk_mul_f32 v[128:129], v[130:131], v[120:121] op_sel:[0,1]
	v_pk_add_f32 v[78:79], v[78:79], v[132:133] neg_lo:[0,1] neg_hi:[0,1]
	s_delay_alu instid0(VALU_DEP_2) | instskip(SKIP_1) | instid1(VALU_DEP_1)
	v_pk_fma_f32 v[132:133], v[130:131], v[118:119], v[128:129] op_sel:[0,0,1] op_sel_hi:[1,1,0] neg_lo:[0,0,1] neg_hi:[0,0,1]
	v_pk_fma_f32 v[128:129], v[130:131], v[118:119], v[128:129] op_sel:[0,0,1] op_sel_hi:[1,0,0]
	v_mov_b32_e32 v133, v129
	ds_load_2addr_b64 v[128:131], v122 offset0:23 offset1:24
	v_pk_add_f32 v[80:81], v[80:81], v[132:133] neg_lo:[0,1] neg_hi:[0,1]
	s_wait_dscnt 0x0
	v_pk_mul_f32 v[132:133], v[128:129], v[120:121] op_sel:[0,1]
	s_delay_alu instid0(VALU_DEP_1) | instskip(SKIP_1) | instid1(VALU_DEP_1)
	v_pk_fma_f32 v[134:135], v[128:129], v[118:119], v[132:133] op_sel:[0,0,1] op_sel_hi:[1,1,0] neg_lo:[0,0,1] neg_hi:[0,0,1]
	v_pk_fma_f32 v[128:129], v[128:129], v[118:119], v[132:133] op_sel:[0,0,1] op_sel_hi:[1,0,0]
	v_mov_b32_e32 v135, v129
	v_pk_mul_f32 v[128:129], v[130:131], v[120:121] op_sel:[0,1]
	s_delay_alu instid0(VALU_DEP_2) | instskip(NEXT) | instid1(VALU_DEP_2)
	v_pk_add_f32 v[24:25], v[24:25], v[134:135] neg_lo:[0,1] neg_hi:[0,1]
	v_pk_fma_f32 v[132:133], v[130:131], v[118:119], v[128:129] op_sel:[0,0,1] op_sel_hi:[1,1,0] neg_lo:[0,0,1] neg_hi:[0,0,1]
	v_pk_fma_f32 v[128:129], v[130:131], v[118:119], v[128:129] op_sel:[0,0,1] op_sel_hi:[1,0,0]
	s_delay_alu instid0(VALU_DEP_1) | instskip(SKIP_4) | instid1(VALU_DEP_1)
	v_mov_b32_e32 v133, v129
	ds_load_2addr_b64 v[128:131], v122 offset0:25 offset1:26
	v_pk_add_f32 v[76:77], v[76:77], v[132:133] neg_lo:[0,1] neg_hi:[0,1]
	s_wait_dscnt 0x0
	v_pk_mul_f32 v[132:133], v[128:129], v[120:121] op_sel:[0,1]
	v_pk_fma_f32 v[134:135], v[128:129], v[118:119], v[132:133] op_sel:[0,0,1] op_sel_hi:[1,1,0] neg_lo:[0,0,1] neg_hi:[0,0,1]
	v_pk_fma_f32 v[128:129], v[128:129], v[118:119], v[132:133] op_sel:[0,0,1] op_sel_hi:[1,0,0]
	v_dual_mul_f32 v132, v131, v121 :: v_dual_mov_b32 v128, v131
	s_delay_alu instid0(VALU_DEP_2) | instskip(NEXT) | instid1(VALU_DEP_2)
	v_dual_mov_b32 v135, v129 :: v_dual_mov_b32 v129, v130
	v_pk_fma_f32 v[132:133], v[130:131], v[94:95], v[132:133] op_sel_hi:[1,1,0] neg_lo:[0,0,1] neg_hi:[0,0,1]
	v_mul_f32_e32 v130, v131, v118
	s_delay_alu instid0(VALU_DEP_3) | instskip(NEXT) | instid1(VALU_DEP_2)
	v_pk_add_f32 v[72:73], v[72:73], v[134:135] neg_lo:[0,1] neg_hi:[0,1]
	v_pk_fma_f32 v[128:129], v[128:129], v[94:95], v[130:131] op_sel_hi:[1,1,0]
	s_delay_alu instid0(VALU_DEP_1) | instskip(SKIP_4) | instid1(VALU_DEP_1)
	v_mov_b32_e32 v133, v129
	ds_load_2addr_b64 v[128:131], v122 offset0:27 offset1:28
	v_pk_add_f32 v[74:75], v[74:75], v[132:133] neg_lo:[0,1] neg_hi:[0,1]
	s_wait_dscnt 0x0
	v_pk_mul_f32 v[132:133], v[128:129], v[120:121] op_sel:[0,1]
	v_pk_fma_f32 v[134:135], v[128:129], v[118:119], v[132:133] op_sel:[0,0,1] op_sel_hi:[1,1,0] neg_lo:[0,0,1] neg_hi:[0,0,1]
	v_pk_fma_f32 v[128:129], v[128:129], v[118:119], v[132:133] op_sel:[0,0,1] op_sel_hi:[1,0,0]
	s_delay_alu instid0(VALU_DEP_1) | instskip(SKIP_1) | instid1(VALU_DEP_1)
	v_mov_b32_e32 v135, v129
	v_pk_mul_f32 v[128:129], v[130:131], v[120:121] op_sel:[0,1]
	v_pk_fma_f32 v[132:133], v[130:131], v[118:119], v[128:129] op_sel:[0,0,1] op_sel_hi:[1,1,0] neg_lo:[0,0,1] neg_hi:[0,0,1]
	v_pk_fma_f32 v[128:129], v[130:131], v[118:119], v[128:129] op_sel:[0,0,1] op_sel_hi:[1,0,0]
	s_delay_alu instid0(VALU_DEP_1)
	v_mov_b32_e32 v133, v129
	ds_load_2addr_b64 v[128:131], v122 offset0:29 offset1:30
	v_pk_add_f32 v[18:19], v[18:19], v[134:135] neg_lo:[0,1] neg_hi:[0,1]
	v_pk_add_f32 v[70:71], v[70:71], v[132:133] neg_lo:[0,1] neg_hi:[0,1]
	s_wait_dscnt 0x0
	v_pk_mul_f32 v[132:133], v[128:129], v[120:121] op_sel:[0,1]
	s_delay_alu instid0(VALU_DEP_1) | instskip(SKIP_1) | instid1(VALU_DEP_1)
	v_pk_fma_f32 v[134:135], v[128:129], v[118:119], v[132:133] op_sel:[0,0,1] op_sel_hi:[1,1,0] neg_lo:[0,0,1] neg_hi:[0,0,1]
	v_pk_fma_f32 v[128:129], v[128:129], v[118:119], v[132:133] op_sel:[0,0,1] op_sel_hi:[1,0,0]
	v_mov_b32_e32 v135, v129
	v_pk_mul_f32 v[128:129], v[130:131], v[120:121] op_sel:[0,1]
	s_delay_alu instid0(VALU_DEP_1) | instskip(SKIP_1) | instid1(VALU_DEP_1)
	v_pk_fma_f32 v[132:133], v[130:131], v[118:119], v[128:129] op_sel:[0,0,1] op_sel_hi:[1,1,0] neg_lo:[0,0,1] neg_hi:[0,0,1]
	v_pk_fma_f32 v[128:129], v[130:131], v[118:119], v[128:129] op_sel:[0,0,1] op_sel_hi:[1,0,0]
	v_mov_b32_e32 v133, v129
	ds_load_2addr_b64 v[128:131], v122 offset0:31 offset1:32
	v_pk_add_f32 v[66:67], v[66:67], v[134:135] neg_lo:[0,1] neg_hi:[0,1]
	v_pk_add_f32 v[68:69], v[68:69], v[132:133] neg_lo:[0,1] neg_hi:[0,1]
	s_wait_dscnt 0x0
	v_dual_mul_f32 v132, v129, v121 :: v_dual_mul_f32 v134, v129, v118
	s_delay_alu instid0(VALU_DEP_1) | instskip(NEXT) | instid1(VALU_DEP_2)
	v_pk_fma_f32 v[132:133], v[128:129], v[94:95], v[132:133] op_sel_hi:[1,1,0] neg_lo:[0,0,1] neg_hi:[0,0,1]
	v_pk_fma_f32 v[128:129], v[128:129], v[94:95], v[134:135] op_sel:[1,0,0] op_sel_hi:[0,1,0]
	s_delay_alu instid0(VALU_DEP_1) | instskip(SKIP_1) | instid1(VALU_DEP_2)
	v_mov_b32_e32 v133, v129
	v_pk_mul_f32 v[128:129], v[130:131], v[120:121] op_sel:[0,1]
	v_pk_add_f32 v[16:17], v[16:17], v[132:133] neg_lo:[0,1] neg_hi:[0,1]
	s_delay_alu instid0(VALU_DEP_2) | instskip(SKIP_1) | instid1(VALU_DEP_1)
	v_pk_fma_f32 v[132:133], v[130:131], v[118:119], v[128:129] op_sel:[0,0,1] op_sel_hi:[1,1,0] neg_lo:[0,0,1] neg_hi:[0,0,1]
	v_pk_fma_f32 v[128:129], v[130:131], v[118:119], v[128:129] op_sel:[0,0,1] op_sel_hi:[1,0,0]
	v_mov_b32_e32 v133, v129
	ds_load_2addr_b64 v[128:131], v122 offset0:33 offset1:34
	v_pk_add_f32 v[64:65], v[64:65], v[132:133] neg_lo:[0,1] neg_hi:[0,1]
	s_wait_dscnt 0x0
	v_pk_mul_f32 v[132:133], v[128:129], v[120:121] op_sel:[0,1]
	s_delay_alu instid0(VALU_DEP_1) | instskip(SKIP_1) | instid1(VALU_DEP_1)
	v_pk_fma_f32 v[134:135], v[128:129], v[118:119], v[132:133] op_sel:[0,0,1] op_sel_hi:[1,1,0] neg_lo:[0,0,1] neg_hi:[0,0,1]
	v_pk_fma_f32 v[128:129], v[128:129], v[118:119], v[132:133] op_sel:[0,0,1] op_sel_hi:[1,0,0]
	v_mov_b32_e32 v135, v129
	v_pk_mul_f32 v[128:129], v[130:131], v[120:121] op_sel:[0,1]
	s_delay_alu instid0(VALU_DEP_2) | instskip(NEXT) | instid1(VALU_DEP_2)
	v_pk_add_f32 v[60:61], v[60:61], v[134:135] neg_lo:[0,1] neg_hi:[0,1]
	v_pk_fma_f32 v[132:133], v[130:131], v[118:119], v[128:129] op_sel:[0,0,1] op_sel_hi:[1,1,0] neg_lo:[0,0,1] neg_hi:[0,0,1]
	v_pk_fma_f32 v[128:129], v[130:131], v[118:119], v[128:129] op_sel:[0,0,1] op_sel_hi:[1,0,0]
	s_delay_alu instid0(VALU_DEP_1) | instskip(SKIP_4) | instid1(VALU_DEP_1)
	v_mov_b32_e32 v133, v129
	ds_load_2addr_b64 v[128:131], v122 offset0:35 offset1:36
	v_pk_add_f32 v[62:63], v[62:63], v[132:133] neg_lo:[0,1] neg_hi:[0,1]
	s_wait_dscnt 0x0
	v_pk_mul_f32 v[132:133], v[128:129], v[120:121] op_sel:[0,1]
	v_pk_fma_f32 v[134:135], v[128:129], v[118:119], v[132:133] op_sel:[0,0,1] op_sel_hi:[1,1,0] neg_lo:[0,0,1] neg_hi:[0,0,1]
	v_pk_fma_f32 v[128:129], v[128:129], v[118:119], v[132:133] op_sel:[0,0,1] op_sel_hi:[1,0,0]
	v_dual_mul_f32 v132, v131, v121 :: v_dual_mov_b32 v128, v131
	s_delay_alu instid0(VALU_DEP_2) | instskip(NEXT) | instid1(VALU_DEP_2)
	v_dual_mov_b32 v135, v129 :: v_dual_mov_b32 v129, v130
	v_pk_fma_f32 v[132:133], v[130:131], v[94:95], v[132:133] op_sel_hi:[1,1,0] neg_lo:[0,0,1] neg_hi:[0,0,1]
	v_mul_f32_e32 v130, v131, v118
	s_delay_alu instid0(VALU_DEP_3) | instskip(NEXT) | instid1(VALU_DEP_2)
	v_pk_add_f32 v[14:15], v[14:15], v[134:135] neg_lo:[0,1] neg_hi:[0,1]
	v_pk_fma_f32 v[128:129], v[128:129], v[94:95], v[130:131] op_sel_hi:[1,1,0]
	s_delay_alu instid0(VALU_DEP_1) | instskip(SKIP_4) | instid1(VALU_DEP_1)
	v_mov_b32_e32 v133, v129
	ds_load_2addr_b64 v[128:131], v122 offset0:37 offset1:38
	v_pk_add_f32 v[58:59], v[58:59], v[132:133] neg_lo:[0,1] neg_hi:[0,1]
	s_wait_dscnt 0x0
	v_pk_mul_f32 v[132:133], v[128:129], v[120:121] op_sel:[0,1]
	v_pk_fma_f32 v[134:135], v[128:129], v[118:119], v[132:133] op_sel:[0,0,1] op_sel_hi:[1,1,0] neg_lo:[0,0,1] neg_hi:[0,0,1]
	v_pk_fma_f32 v[128:129], v[128:129], v[118:119], v[132:133] op_sel:[0,0,1] op_sel_hi:[1,0,0]
	s_delay_alu instid0(VALU_DEP_1) | instskip(SKIP_1) | instid1(VALU_DEP_1)
	v_mov_b32_e32 v135, v129
	v_pk_mul_f32 v[128:129], v[130:131], v[120:121] op_sel:[0,1]
	v_pk_fma_f32 v[132:133], v[130:131], v[118:119], v[128:129] op_sel:[0,0,1] op_sel_hi:[1,1,0] neg_lo:[0,0,1] neg_hi:[0,0,1]
	v_pk_fma_f32 v[128:129], v[130:131], v[118:119], v[128:129] op_sel:[0,0,1] op_sel_hi:[1,0,0]
	s_delay_alu instid0(VALU_DEP_1)
	v_mov_b32_e32 v133, v129
	ds_load_2addr_b64 v[128:131], v122 offset0:39 offset1:40
	v_pk_add_f32 v[54:55], v[54:55], v[134:135] neg_lo:[0,1] neg_hi:[0,1]
	v_pk_add_f32 v[56:57], v[56:57], v[132:133] neg_lo:[0,1] neg_hi:[0,1]
	s_wait_dscnt 0x0
	v_pk_mul_f32 v[132:133], v[128:129], v[120:121] op_sel:[0,1]
	s_delay_alu instid0(VALU_DEP_1) | instskip(SKIP_1) | instid1(VALU_DEP_1)
	v_pk_fma_f32 v[134:135], v[128:129], v[118:119], v[132:133] op_sel:[0,0,1] op_sel_hi:[1,1,0] neg_lo:[0,0,1] neg_hi:[0,0,1]
	v_pk_fma_f32 v[128:129], v[128:129], v[118:119], v[132:133] op_sel:[0,0,1] op_sel_hi:[1,0,0]
	v_mov_b32_e32 v135, v129
	v_pk_mul_f32 v[128:129], v[130:131], v[120:121] op_sel:[0,1]
	s_delay_alu instid0(VALU_DEP_1) | instskip(SKIP_1) | instid1(VALU_DEP_1)
	v_pk_fma_f32 v[132:133], v[130:131], v[118:119], v[128:129] op_sel:[0,0,1] op_sel_hi:[1,1,0] neg_lo:[0,0,1] neg_hi:[0,0,1]
	v_pk_fma_f32 v[128:129], v[130:131], v[118:119], v[128:129] op_sel:[0,0,1] op_sel_hi:[1,0,0]
	v_mov_b32_e32 v133, v129
	ds_load_2addr_b64 v[128:131], v122 offset0:41 offset1:42
	v_pk_add_f32 v[12:13], v[12:13], v[134:135] neg_lo:[0,1] neg_hi:[0,1]
	v_pk_add_f32 v[52:53], v[52:53], v[132:133] neg_lo:[0,1] neg_hi:[0,1]
	s_wait_dscnt 0x0
	v_dual_mul_f32 v132, v129, v121 :: v_dual_mul_f32 v134, v129, v118
	s_delay_alu instid0(VALU_DEP_1) | instskip(NEXT) | instid1(VALU_DEP_2)
	v_pk_fma_f32 v[132:133], v[128:129], v[94:95], v[132:133] op_sel_hi:[1,1,0] neg_lo:[0,0,1] neg_hi:[0,0,1]
	v_pk_fma_f32 v[128:129], v[128:129], v[94:95], v[134:135] op_sel:[1,0,0] op_sel_hi:[0,1,0]
	s_delay_alu instid0(VALU_DEP_1) | instskip(SKIP_1) | instid1(VALU_DEP_2)
	v_mov_b32_e32 v133, v129
	v_pk_mul_f32 v[128:129], v[130:131], v[120:121] op_sel:[0,1]
	v_pk_add_f32 v[48:49], v[48:49], v[132:133] neg_lo:[0,1] neg_hi:[0,1]
	s_delay_alu instid0(VALU_DEP_2) | instskip(SKIP_1) | instid1(VALU_DEP_1)
	v_pk_fma_f32 v[132:133], v[130:131], v[118:119], v[128:129] op_sel:[0,0,1] op_sel_hi:[1,1,0] neg_lo:[0,0,1] neg_hi:[0,0,1]
	v_pk_fma_f32 v[128:129], v[130:131], v[118:119], v[128:129] op_sel:[0,0,1] op_sel_hi:[1,0,0]
	v_mov_b32_e32 v133, v129
	ds_load_2addr_b64 v[128:131], v122 offset0:43 offset1:44
	v_pk_add_f32 v[50:51], v[50:51], v[132:133] neg_lo:[0,1] neg_hi:[0,1]
	s_wait_dscnt 0x0
	v_pk_mul_f32 v[132:133], v[128:129], v[120:121] op_sel:[0,1]
	s_delay_alu instid0(VALU_DEP_1) | instskip(SKIP_1) | instid1(VALU_DEP_1)
	v_pk_fma_f32 v[134:135], v[128:129], v[118:119], v[132:133] op_sel:[0,0,1] op_sel_hi:[1,1,0] neg_lo:[0,0,1] neg_hi:[0,0,1]
	v_pk_fma_f32 v[128:129], v[128:129], v[118:119], v[132:133] op_sel:[0,0,1] op_sel_hi:[1,0,0]
	v_mov_b32_e32 v135, v129
	v_pk_mul_f32 v[128:129], v[130:131], v[120:121] op_sel:[0,1]
	s_delay_alu instid0(VALU_DEP_2) | instskip(NEXT) | instid1(VALU_DEP_2)
	v_pk_add_f32 v[10:11], v[10:11], v[134:135] neg_lo:[0,1] neg_hi:[0,1]
	v_pk_fma_f32 v[132:133], v[130:131], v[118:119], v[128:129] op_sel:[0,0,1] op_sel_hi:[1,1,0] neg_lo:[0,0,1] neg_hi:[0,0,1]
	v_pk_fma_f32 v[128:129], v[130:131], v[118:119], v[128:129] op_sel:[0,0,1] op_sel_hi:[1,0,0]
	s_delay_alu instid0(VALU_DEP_1) | instskip(SKIP_4) | instid1(VALU_DEP_1)
	v_mov_b32_e32 v133, v129
	ds_load_2addr_b64 v[128:131], v122 offset0:45 offset1:46
	v_pk_add_f32 v[46:47], v[46:47], v[132:133] neg_lo:[0,1] neg_hi:[0,1]
	s_wait_dscnt 0x0
	v_pk_mul_f32 v[132:133], v[128:129], v[120:121] op_sel:[0,1]
	v_pk_fma_f32 v[134:135], v[128:129], v[118:119], v[132:133] op_sel:[0,0,1] op_sel_hi:[1,1,0] neg_lo:[0,0,1] neg_hi:[0,0,1]
	v_pk_fma_f32 v[128:129], v[128:129], v[118:119], v[132:133] op_sel:[0,0,1] op_sel_hi:[1,0,0]
	v_dual_mul_f32 v132, v131, v121 :: v_dual_mov_b32 v128, v131
	s_delay_alu instid0(VALU_DEP_2) | instskip(NEXT) | instid1(VALU_DEP_2)
	v_dual_mov_b32 v135, v129 :: v_dual_mov_b32 v129, v130
	v_pk_fma_f32 v[132:133], v[130:131], v[94:95], v[132:133] op_sel_hi:[1,1,0] neg_lo:[0,0,1] neg_hi:[0,0,1]
	v_mul_f32_e32 v130, v131, v118
	s_delay_alu instid0(VALU_DEP_3) | instskip(NEXT) | instid1(VALU_DEP_2)
	v_pk_add_f32 v[42:43], v[42:43], v[134:135] neg_lo:[0,1] neg_hi:[0,1]
	v_pk_fma_f32 v[128:129], v[128:129], v[94:95], v[130:131] op_sel_hi:[1,1,0]
	s_delay_alu instid0(VALU_DEP_1) | instskip(SKIP_4) | instid1(VALU_DEP_1)
	v_mov_b32_e32 v133, v129
	ds_load_2addr_b64 v[128:131], v122 offset0:47 offset1:48
	v_pk_add_f32 v[44:45], v[44:45], v[132:133] neg_lo:[0,1] neg_hi:[0,1]
	s_wait_dscnt 0x0
	v_pk_mul_f32 v[132:133], v[128:129], v[120:121] op_sel:[0,1]
	v_pk_fma_f32 v[134:135], v[128:129], v[118:119], v[132:133] op_sel:[0,0,1] op_sel_hi:[1,1,0] neg_lo:[0,0,1] neg_hi:[0,0,1]
	v_pk_fma_f32 v[128:129], v[128:129], v[118:119], v[132:133] op_sel:[0,0,1] op_sel_hi:[1,0,0]
	s_delay_alu instid0(VALU_DEP_1) | instskip(SKIP_1) | instid1(VALU_DEP_1)
	v_mov_b32_e32 v135, v129
	v_pk_mul_f32 v[128:129], v[130:131], v[120:121] op_sel:[0,1]
	v_pk_fma_f32 v[132:133], v[130:131], v[118:119], v[128:129] op_sel:[0,0,1] op_sel_hi:[1,1,0] neg_lo:[0,0,1] neg_hi:[0,0,1]
	v_pk_fma_f32 v[128:129], v[130:131], v[118:119], v[128:129] op_sel:[0,0,1] op_sel_hi:[1,0,0]
	s_delay_alu instid0(VALU_DEP_1)
	v_mov_b32_e32 v133, v129
	ds_load_2addr_b64 v[128:131], v122 offset0:49 offset1:50
	v_pk_add_f32 v[6:7], v[6:7], v[134:135] neg_lo:[0,1] neg_hi:[0,1]
	v_pk_add_f32 v[34:35], v[34:35], v[132:133] neg_lo:[0,1] neg_hi:[0,1]
	s_wait_dscnt 0x0
	v_pk_mul_f32 v[132:133], v[128:129], v[120:121] op_sel:[0,1]
	s_delay_alu instid0(VALU_DEP_1) | instskip(SKIP_1) | instid1(VALU_DEP_1)
	v_pk_fma_f32 v[134:135], v[128:129], v[118:119], v[132:133] op_sel:[0,0,1] op_sel_hi:[1,1,0] neg_lo:[0,0,1] neg_hi:[0,0,1]
	v_pk_fma_f32 v[128:129], v[128:129], v[118:119], v[132:133] op_sel:[0,0,1] op_sel_hi:[1,0,0]
	v_mov_b32_e32 v135, v129
	v_pk_mul_f32 v[128:129], v[130:131], v[120:121] op_sel:[0,1]
	s_delay_alu instid0(VALU_DEP_1) | instskip(SKIP_1) | instid1(VALU_DEP_1)
	v_pk_fma_f32 v[132:133], v[130:131], v[118:119], v[128:129] op_sel:[0,0,1] op_sel_hi:[1,1,0] neg_lo:[0,0,1] neg_hi:[0,0,1]
	v_pk_fma_f32 v[128:129], v[130:131], v[118:119], v[128:129] op_sel:[0,0,1] op_sel_hi:[1,0,0]
	v_mov_b32_e32 v133, v129
	ds_load_2addr_b64 v[128:131], v122 offset0:51 offset1:52
	v_pk_add_f32 v[28:29], v[28:29], v[134:135] neg_lo:[0,1] neg_hi:[0,1]
	v_pk_add_f32 v[32:33], v[32:33], v[132:133] neg_lo:[0,1] neg_hi:[0,1]
	s_wait_dscnt 0x0
	v_dual_mul_f32 v132, v129, v121 :: v_dual_mul_f32 v134, v129, v118
	s_delay_alu instid0(VALU_DEP_1) | instskip(NEXT) | instid1(VALU_DEP_2)
	v_pk_fma_f32 v[132:133], v[128:129], v[94:95], v[132:133] op_sel_hi:[1,1,0] neg_lo:[0,0,1] neg_hi:[0,0,1]
	v_pk_fma_f32 v[128:129], v[128:129], v[94:95], v[134:135] op_sel:[1,0,0] op_sel_hi:[0,1,0]
	s_delay_alu instid0(VALU_DEP_1) | instskip(SKIP_1) | instid1(VALU_DEP_2)
	v_mov_b32_e32 v133, v129
	v_pk_mul_f32 v[128:129], v[130:131], v[120:121] op_sel:[0,1]
	v_pk_add_f32 v[8:9], v[8:9], v[132:133] neg_lo:[0,1] neg_hi:[0,1]
	s_delay_alu instid0(VALU_DEP_2) | instskip(SKIP_1) | instid1(VALU_DEP_1)
	v_pk_fma_f32 v[132:133], v[130:131], v[118:119], v[128:129] op_sel:[0,0,1] op_sel_hi:[1,1,0] neg_lo:[0,0,1] neg_hi:[0,0,1]
	v_pk_fma_f32 v[128:129], v[130:131], v[118:119], v[128:129] op_sel:[0,0,1] op_sel_hi:[1,0,0]
	v_mov_b32_e32 v133, v129
	ds_load_2addr_b64 v[128:131], v122 offset0:53 offset1:54
	v_pk_add_f32 v[26:27], v[26:27], v[132:133] neg_lo:[0,1] neg_hi:[0,1]
	s_wait_dscnt 0x0
	v_pk_mul_f32 v[132:133], v[128:129], v[120:121] op_sel:[0,1]
	s_delay_alu instid0(VALU_DEP_1) | instskip(SKIP_1) | instid1(VALU_DEP_1)
	v_pk_fma_f32 v[134:135], v[128:129], v[118:119], v[132:133] op_sel:[0,0,1] op_sel_hi:[1,1,0] neg_lo:[0,0,1] neg_hi:[0,0,1]
	v_pk_fma_f32 v[128:129], v[128:129], v[118:119], v[132:133] op_sel:[0,0,1] op_sel_hi:[1,0,0]
	v_mov_b32_e32 v135, v129
	v_pk_mul_f32 v[128:129], v[130:131], v[120:121] op_sel:[0,1]
	s_delay_alu instid0(VALU_DEP_2) | instskip(NEXT) | instid1(VALU_DEP_2)
	v_pk_add_f32 v[22:23], v[22:23], v[134:135] neg_lo:[0,1] neg_hi:[0,1]
	v_pk_fma_f32 v[132:133], v[130:131], v[118:119], v[128:129] op_sel:[0,0,1] op_sel_hi:[1,1,0] neg_lo:[0,0,1] neg_hi:[0,0,1]
	v_pk_fma_f32 v[128:129], v[130:131], v[118:119], v[128:129] op_sel:[0,0,1] op_sel_hi:[1,0,0]
	s_delay_alu instid0(VALU_DEP_1) | instskip(SKIP_4) | instid1(VALU_DEP_1)
	v_mov_b32_e32 v133, v129
	ds_load_b64 v[128:129], v122 offset:440
	v_pk_add_f32 v[20:21], v[20:21], v[132:133] neg_lo:[0,1] neg_hi:[0,1]
	s_wait_dscnt 0x0
	v_pk_mul_f32 v[120:121], v[128:129], v[120:121] op_sel:[0,1]
	v_pk_fma_f32 v[130:131], v[128:129], v[118:119], v[120:121] op_sel:[0,0,1] op_sel_hi:[1,1,0] neg_lo:[0,0,1] neg_hi:[0,0,1]
	v_pk_fma_f32 v[118:119], v[128:129], v[118:119], v[120:121] op_sel:[0,0,1] op_sel_hi:[1,0,0]
	s_delay_alu instid0(VALU_DEP_1) | instskip(NEXT) | instid1(VALU_DEP_1)
	v_mov_b32_e32 v131, v119
	v_pk_add_f32 v[116:117], v[116:117], v[130:131] neg_lo:[0,1] neg_hi:[0,1]
.LBB110_272:
	s_or_b32 exec_lo, exec_lo, s0
	v_lshl_add_u32 v118, v126, 3, v122
	s_barrier_signal -1
	s_barrier_wait -1
	ds_store_b64 v118, v[90:91]
	s_wait_dscnt 0x0
	s_barrier_signal -1
	s_barrier_wait -1
	ds_load_b64 v[120:121], v122 offset:104
	v_mov_b32_e32 v118, 13
	s_cmp_lt_i32 s18, 15
	s_cbranch_scc1 .LBB110_275
; %bb.273:
	v_add3_u32 v119, v123, 0, 0x70
	v_mov_b32_e32 v118, 13
	s_mov_b32 s0, 14
.LBB110_274:                            ; =>This Inner Loop Header: Depth=1
	ds_load_b64 v[128:129], v119
	s_wait_dscnt 0x1
	v_cmp_gt_f32_e32 vcc_lo, 0, v120
	v_cndmask_b32_e64 v130, v120, -v120, vcc_lo
	v_cmp_gt_f32_e32 vcc_lo, 0, v121
	v_cndmask_b32_e64 v132, v121, -v121, vcc_lo
	s_wait_dscnt 0x0
	v_cmp_gt_f32_e32 vcc_lo, 0, v128
	v_cndmask_b32_e64 v131, v128, -v128, vcc_lo
	v_cmp_gt_f32_e32 vcc_lo, 0, v129
	v_cndmask_b32_e64 v133, v129, -v129, vcc_lo
	s_delay_alu instid0(VALU_DEP_1) | instskip(NEXT) | instid1(VALU_DEP_1)
	v_pk_add_f32 v[130:131], v[130:131], v[132:133]
	v_cmp_lt_f32_e32 vcc_lo, v130, v131
	v_dual_add_nc_u32 v119, 8, v119 :: v_dual_cndmask_b32 v121, v121, v129, vcc_lo
	v_cndmask_b32_e32 v120, v120, v128, vcc_lo
	v_cndmask_b32_e64 v118, v118, s0, vcc_lo
	s_add_co_i32 s0, s0, 1
	s_delay_alu instid0(SALU_CYCLE_1)
	s_cmp_lg_u32 s18, s0
	s_cbranch_scc1 .LBB110_274
.LBB110_275:
	s_wait_dscnt 0x0
	v_cmp_eq_f32_e32 vcc_lo, 0, v120
	v_cmp_eq_f32_e64 s0, 0, v121
	s_and_b32 s0, vcc_lo, s0
	s_delay_alu instid0(SALU_CYCLE_1) | instskip(NEXT) | instid1(SALU_CYCLE_1)
	s_and_saveexec_b32 s1, s0
	s_xor_b32 s0, exec_lo, s1
; %bb.276:
	v_cmp_ne_u32_e32 vcc_lo, 0, v124
	v_cndmask_b32_e32 v124, 14, v124, vcc_lo
; %bb.277:
	s_and_not1_saveexec_b32 s0, s0
	s_cbranch_execz .LBB110_283
; %bb.278:
	v_cmp_ngt_f32_e64 s1, |v120|, |v121|
	s_and_saveexec_b32 s12, s1
	s_delay_alu instid0(SALU_CYCLE_1)
	s_xor_b32 s1, exec_lo, s12
	s_cbranch_execz .LBB110_280
; %bb.279:
	v_div_scale_f32 v119, null, v121, v121, v120
	v_div_scale_f32 v129, vcc_lo, v120, v121, v120
	s_delay_alu instid0(VALU_DEP_2) | instskip(SKIP_1) | instid1(TRANS32_DEP_1)
	v_rcp_f32_e32 v127, v119
	v_nop
	v_fma_f32 v128, -v119, v127, 1.0
	s_delay_alu instid0(VALU_DEP_1) | instskip(NEXT) | instid1(VALU_DEP_1)
	v_fmac_f32_e32 v127, v128, v127
	v_mul_f32_e32 v128, v129, v127
	s_delay_alu instid0(VALU_DEP_1) | instskip(NEXT) | instid1(VALU_DEP_1)
	v_fma_f32 v130, -v119, v128, v129
	v_fmac_f32_e32 v128, v130, v127
	s_delay_alu instid0(VALU_DEP_1) | instskip(NEXT) | instid1(VALU_DEP_1)
	v_fma_f32 v119, -v119, v128, v129
	v_div_fmas_f32 v119, v119, v127, v128
	s_delay_alu instid0(VALU_DEP_1) | instskip(NEXT) | instid1(VALU_DEP_1)
	v_div_fixup_f32 v119, v119, v121, v120
	v_fmac_f32_e32 v121, v120, v119
	s_delay_alu instid0(VALU_DEP_1) | instskip(SKIP_1) | instid1(VALU_DEP_2)
	v_div_scale_f32 v120, null, v121, v121, 1.0
	v_div_scale_f32 v129, vcc_lo, 1.0, v121, 1.0
	v_rcp_f32_e32 v127, v120
	v_nop
	s_delay_alu instid0(TRANS32_DEP_1) | instskip(NEXT) | instid1(VALU_DEP_1)
	v_fma_f32 v128, -v120, v127, 1.0
	v_fmac_f32_e32 v127, v128, v127
	s_delay_alu instid0(VALU_DEP_1) | instskip(NEXT) | instid1(VALU_DEP_1)
	v_mul_f32_e32 v128, v129, v127
	v_fma_f32 v130, -v120, v128, v129
	s_delay_alu instid0(VALU_DEP_1) | instskip(NEXT) | instid1(VALU_DEP_1)
	v_fmac_f32_e32 v128, v130, v127
	v_fma_f32 v120, -v120, v128, v129
	s_delay_alu instid0(VALU_DEP_1) | instskip(NEXT) | instid1(VALU_DEP_1)
	v_div_fmas_f32 v120, v120, v127, v128
	v_div_fixup_f32 v121, v120, v121, 1.0
	s_delay_alu instid0(VALU_DEP_1)
	v_mul_f32_e32 v120, v119, v121
	v_xor_b32_e32 v121, 0x80000000, v121
.LBB110_280:
	s_and_not1_saveexec_b32 s1, s1
	s_cbranch_execz .LBB110_282
; %bb.281:
	s_delay_alu instid0(VALU_DEP_1) | instskip(SKIP_1) | instid1(VALU_DEP_2)
	v_div_scale_f32 v119, null, v120, v120, v121
	v_div_scale_f32 v129, vcc_lo, v121, v120, v121
	v_rcp_f32_e32 v127, v119
	v_nop
	s_delay_alu instid0(TRANS32_DEP_1) | instskip(NEXT) | instid1(VALU_DEP_1)
	v_fma_f32 v128, -v119, v127, 1.0
	v_fmac_f32_e32 v127, v128, v127
	s_delay_alu instid0(VALU_DEP_1) | instskip(NEXT) | instid1(VALU_DEP_1)
	v_mul_f32_e32 v128, v129, v127
	v_fma_f32 v130, -v119, v128, v129
	s_delay_alu instid0(VALU_DEP_1) | instskip(NEXT) | instid1(VALU_DEP_1)
	v_fmac_f32_e32 v128, v130, v127
	v_fma_f32 v119, -v119, v128, v129
	s_delay_alu instid0(VALU_DEP_1) | instskip(NEXT) | instid1(VALU_DEP_1)
	v_div_fmas_f32 v119, v119, v127, v128
	v_div_fixup_f32 v119, v119, v120, v121
	s_delay_alu instid0(VALU_DEP_1) | instskip(NEXT) | instid1(VALU_DEP_1)
	v_fmac_f32_e32 v120, v121, v119
	v_div_scale_f32 v121, null, v120, v120, 1.0
	s_delay_alu instid0(VALU_DEP_1) | instskip(SKIP_1) | instid1(TRANS32_DEP_1)
	v_rcp_f32_e32 v127, v121
	v_nop
	v_fma_f32 v128, -v121, v127, 1.0
	s_delay_alu instid0(VALU_DEP_1) | instskip(SKIP_1) | instid1(VALU_DEP_1)
	v_fmac_f32_e32 v127, v128, v127
	v_div_scale_f32 v128, vcc_lo, 1.0, v120, 1.0
	v_mul_f32_e32 v129, v128, v127
	s_delay_alu instid0(VALU_DEP_1) | instskip(NEXT) | instid1(VALU_DEP_1)
	v_fma_f32 v130, -v121, v129, v128
	v_fmac_f32_e32 v129, v130, v127
	s_delay_alu instid0(VALU_DEP_1) | instskip(NEXT) | instid1(VALU_DEP_1)
	v_fma_f32 v121, -v121, v129, v128
	v_div_fmas_f32 v121, v121, v127, v129
	s_delay_alu instid0(VALU_DEP_1) | instskip(NEXT) | instid1(VALU_DEP_1)
	v_div_fixup_f32 v120, v121, v120, 1.0
	v_mul_f32_e64 v121, v119, -v120
.LBB110_282:
	s_or_b32 exec_lo, exec_lo, s1
.LBB110_283:
	s_delay_alu instid0(SALU_CYCLE_1) | instskip(NEXT) | instid1(SALU_CYCLE_1)
	s_or_b32 exec_lo, exec_lo, s0
	s_mov_b32 s0, exec_lo
	v_cmpx_ne_u32_e64 v126, v118
	s_xor_b32 s0, exec_lo, s0
	s_cbranch_execz .LBB110_289
; %bb.284:
	s_mov_b32 s1, exec_lo
	v_cmpx_eq_u32_e32 13, v126
	s_cbranch_execz .LBB110_288
; %bb.285:
	v_cmp_ne_u32_e32 vcc_lo, 13, v118
	s_xor_b32 s12, s16, -1
	s_delay_alu instid0(SALU_CYCLE_1) | instskip(NEXT) | instid1(SALU_CYCLE_1)
	s_and_b32 s13, s12, vcc_lo
	s_and_saveexec_b32 s12, s13
	s_cbranch_execz .LBB110_287
; %bb.286:
	v_ashrrev_i32_e32 v119, 31, v118
	s_delay_alu instid0(VALU_DEP_1)
	v_lshl_add_u64 v[126:127], v[118:119], 2, v[4:5]
	s_clause 0x1
	global_load_b32 v119, v[126:127], off
	global_load_b32 v125, v[4:5], off offset:52
	s_wait_loadcnt 0x1
	global_store_b32 v[4:5], v119, off offset:52
	s_wait_loadcnt 0x0
	global_store_b32 v[126:127], v125, off
.LBB110_287:
	s_wait_xcnt 0x0
	s_or_b32 exec_lo, exec_lo, s12
	v_dual_mov_b32 v126, v118 :: v_dual_mov_b32 v125, v118
.LBB110_288:
	s_or_b32 exec_lo, exec_lo, s1
.LBB110_289:
	s_and_not1_saveexec_b32 s0, s0
	s_cbranch_execz .LBB110_291
; %bb.290:
	v_dual_mov_b32 v118, v92 :: v_dual_mov_b32 v119, v93
	v_dual_mov_b32 v126, v36 :: v_dual_mov_b32 v127, v37
	ds_store_2addr_b64 v122, v[118:119], v[126:127] offset0:14 offset1:15
	v_dual_mov_b32 v118, v88 :: v_dual_mov_b32 v119, v89
	v_dual_mov_b32 v126, v84 :: v_dual_mov_b32 v127, v85
	ds_store_2addr_b64 v122, v[118:119], v[126:127] offset0:16 offset1:17
	v_dual_mov_b32 v118, v86 :: v_dual_mov_b32 v119, v87
	v_dual_mov_b32 v126, v30 :: v_dual_mov_b32 v127, v31
	ds_store_2addr_b64 v122, v[118:119], v[126:127] offset0:18 offset1:19
	v_dual_mov_b32 v118, v82 :: v_dual_mov_b32 v119, v83
	v_dual_mov_b32 v126, v78 :: v_dual_mov_b32 v127, v79
	ds_store_2addr_b64 v122, v[118:119], v[126:127] offset0:20 offset1:21
	v_dual_mov_b32 v118, v80 :: v_dual_mov_b32 v119, v81
	v_dual_mov_b32 v126, v24 :: v_dual_mov_b32 v127, v25
	ds_store_2addr_b64 v122, v[118:119], v[126:127] offset0:22 offset1:23
	v_dual_mov_b32 v118, v76 :: v_dual_mov_b32 v119, v77
	v_dual_mov_b32 v126, v72 :: v_dual_mov_b32 v127, v73
	ds_store_2addr_b64 v122, v[118:119], v[126:127] offset0:24 offset1:25
	v_dual_mov_b32 v118, v74 :: v_dual_mov_b32 v119, v75
	v_dual_mov_b32 v126, v18 :: v_dual_mov_b32 v127, v19
	ds_store_2addr_b64 v122, v[118:119], v[126:127] offset0:26 offset1:27
	v_dual_mov_b32 v118, v70 :: v_dual_mov_b32 v119, v71
	v_dual_mov_b32 v126, v66 :: v_dual_mov_b32 v127, v67
	ds_store_2addr_b64 v122, v[118:119], v[126:127] offset0:28 offset1:29
	v_dual_mov_b32 v118, v68 :: v_dual_mov_b32 v119, v69
	v_dual_mov_b32 v126, v16 :: v_dual_mov_b32 v127, v17
	ds_store_2addr_b64 v122, v[118:119], v[126:127] offset0:30 offset1:31
	v_dual_mov_b32 v118, v64 :: v_dual_mov_b32 v119, v65
	v_dual_mov_b32 v126, v60 :: v_dual_mov_b32 v127, v61
	ds_store_2addr_b64 v122, v[118:119], v[126:127] offset0:32 offset1:33
	v_dual_mov_b32 v118, v62 :: v_dual_mov_b32 v119, v63
	v_dual_mov_b32 v126, v14 :: v_dual_mov_b32 v127, v15
	ds_store_2addr_b64 v122, v[118:119], v[126:127] offset0:34 offset1:35
	v_dual_mov_b32 v118, v58 :: v_dual_mov_b32 v119, v59
	v_dual_mov_b32 v126, v54 :: v_dual_mov_b32 v127, v55
	ds_store_2addr_b64 v122, v[118:119], v[126:127] offset0:36 offset1:37
	v_dual_mov_b32 v118, v56 :: v_dual_mov_b32 v119, v57
	v_dual_mov_b32 v126, v12 :: v_dual_mov_b32 v127, v13
	ds_store_2addr_b64 v122, v[118:119], v[126:127] offset0:38 offset1:39
	v_dual_mov_b32 v118, v52 :: v_dual_mov_b32 v119, v53
	v_dual_mov_b32 v126, v48 :: v_dual_mov_b32 v127, v49
	ds_store_2addr_b64 v122, v[118:119], v[126:127] offset0:40 offset1:41
	v_dual_mov_b32 v118, v50 :: v_dual_mov_b32 v119, v51
	v_dual_mov_b32 v126, v10 :: v_dual_mov_b32 v127, v11
	ds_store_2addr_b64 v122, v[118:119], v[126:127] offset0:42 offset1:43
	v_dual_mov_b32 v118, v46 :: v_dual_mov_b32 v119, v47
	v_dual_mov_b32 v126, v42 :: v_dual_mov_b32 v127, v43
	ds_store_2addr_b64 v122, v[118:119], v[126:127] offset0:44 offset1:45
	v_dual_mov_b32 v118, v44 :: v_dual_mov_b32 v119, v45
	v_dual_mov_b32 v126, v6 :: v_dual_mov_b32 v127, v7
	ds_store_2addr_b64 v122, v[118:119], v[126:127] offset0:46 offset1:47
	v_dual_mov_b32 v118, v34 :: v_dual_mov_b32 v119, v35
	v_dual_mov_b32 v126, v28 :: v_dual_mov_b32 v127, v29
	ds_store_2addr_b64 v122, v[118:119], v[126:127] offset0:48 offset1:49
	v_dual_mov_b32 v118, v32 :: v_dual_mov_b32 v119, v33
	v_dual_mov_b32 v126, v8 :: v_dual_mov_b32 v127, v9
	ds_store_2addr_b64 v122, v[118:119], v[126:127] offset0:50 offset1:51
	v_dual_mov_b32 v118, v26 :: v_dual_mov_b32 v119, v27
	v_dual_mov_b32 v126, v22 :: v_dual_mov_b32 v127, v23
	ds_store_2addr_b64 v122, v[118:119], v[126:127] offset0:52 offset1:53
	v_dual_mov_b32 v118, v20 :: v_dual_mov_b32 v119, v21
	v_mov_b32_e32 v126, 13
	ds_store_2addr_b64 v122, v[118:119], v[116:117] offset0:54 offset1:55
.LBB110_291:
	s_or_b32 exec_lo, exec_lo, s0
	s_delay_alu instid0(SALU_CYCLE_1)
	s_mov_b32 s0, exec_lo
	s_wait_storecnt_dscnt 0x0
	s_barrier_signal -1
	s_barrier_wait -1
	v_cmpx_lt_i32_e32 13, v126
	s_cbranch_execz .LBB110_293
; %bb.292:
	v_pk_mul_f32 v[128:129], v[120:121], v[90:91] op_sel:[1,1] op_sel_hi:[0,1]
	s_delay_alu instid0(VALU_DEP_1)
	v_pk_fma_f32 v[118:119], v[120:121], v[90:91], v[128:129] op_sel_hi:[1,0,1] neg_lo:[0,0,1] neg_hi:[0,0,1]
	v_pk_fma_f32 v[120:121], v[120:121], v[90:91], v[128:129] op_sel_hi:[1,0,1]
	ds_load_2addr_b64 v[128:131], v122 offset0:14 offset1:15
	v_dual_mov_b32 v90, v118 :: v_dual_mov_b32 v91, v121
	s_wait_dscnt 0x0
	v_pk_mul_f32 v[132:133], v[128:129], v[120:121] op_sel:[0,1]
	s_delay_alu instid0(VALU_DEP_1) | instskip(SKIP_1) | instid1(VALU_DEP_1)
	v_pk_fma_f32 v[134:135], v[128:129], v[118:119], v[132:133] op_sel:[0,0,1] op_sel_hi:[1,1,0] neg_lo:[0,0,1] neg_hi:[0,0,1]
	v_pk_fma_f32 v[128:129], v[128:129], v[118:119], v[132:133] op_sel:[0,0,1] op_sel_hi:[1,0,0]
	v_mov_b32_e32 v135, v129
	v_pk_mul_f32 v[128:129], v[130:131], v[120:121] op_sel:[0,1]
	s_delay_alu instid0(VALU_DEP_1) | instskip(SKIP_1) | instid1(VALU_DEP_1)
	v_pk_fma_f32 v[132:133], v[130:131], v[118:119], v[128:129] op_sel:[0,0,1] op_sel_hi:[1,1,0] neg_lo:[0,0,1] neg_hi:[0,0,1]
	v_pk_fma_f32 v[128:129], v[130:131], v[118:119], v[128:129] op_sel:[0,0,1] op_sel_hi:[1,0,0]
	v_mov_b32_e32 v133, v129
	ds_load_2addr_b64 v[128:131], v122 offset0:16 offset1:17
	v_pk_add_f32 v[92:93], v[92:93], v[134:135] neg_lo:[0,1] neg_hi:[0,1]
	v_pk_add_f32 v[36:37], v[36:37], v[132:133] neg_lo:[0,1] neg_hi:[0,1]
	s_wait_dscnt 0x0
	v_pk_mul_f32 v[132:133], v[128:129], v[120:121] op_sel:[0,1]
	s_delay_alu instid0(VALU_DEP_1) | instskip(SKIP_2) | instid1(VALU_DEP_2)
	v_pk_fma_f32 v[134:135], v[128:129], v[118:119], v[132:133] op_sel:[0,0,1] op_sel_hi:[1,1,0] neg_lo:[0,0,1] neg_hi:[0,0,1]
	v_pk_fma_f32 v[128:129], v[128:129], v[118:119], v[132:133] op_sel:[0,0,1] op_sel_hi:[1,0,0]
	v_dual_mul_f32 v132, v131, v121 :: v_dual_mov_b32 v128, v131
	v_dual_mov_b32 v135, v129 :: v_dual_mov_b32 v129, v130
	s_delay_alu instid0(VALU_DEP_2) | instskip(SKIP_1) | instid1(VALU_DEP_3)
	v_pk_fma_f32 v[132:133], v[130:131], v[90:91], v[132:133] op_sel_hi:[1,1,0] neg_lo:[0,0,1] neg_hi:[0,0,1]
	v_mul_f32_e32 v130, v131, v118
	v_pk_add_f32 v[88:89], v[88:89], v[134:135] neg_lo:[0,1] neg_hi:[0,1]
	s_delay_alu instid0(VALU_DEP_2) | instskip(NEXT) | instid1(VALU_DEP_1)
	v_pk_fma_f32 v[128:129], v[128:129], v[90:91], v[130:131] op_sel_hi:[1,1,0]
	v_mov_b32_e32 v133, v129
	ds_load_2addr_b64 v[128:131], v122 offset0:18 offset1:19
	v_pk_add_f32 v[84:85], v[84:85], v[132:133] neg_lo:[0,1] neg_hi:[0,1]
	s_wait_dscnt 0x0
	v_pk_mul_f32 v[132:133], v[128:129], v[120:121] op_sel:[0,1]
	s_delay_alu instid0(VALU_DEP_1) | instskip(SKIP_1) | instid1(VALU_DEP_1)
	v_pk_fma_f32 v[134:135], v[128:129], v[118:119], v[132:133] op_sel:[0,0,1] op_sel_hi:[1,1,0] neg_lo:[0,0,1] neg_hi:[0,0,1]
	v_pk_fma_f32 v[128:129], v[128:129], v[118:119], v[132:133] op_sel:[0,0,1] op_sel_hi:[1,0,0]
	v_mov_b32_e32 v135, v129
	v_pk_mul_f32 v[128:129], v[130:131], v[120:121] op_sel:[0,1]
	s_delay_alu instid0(VALU_DEP_1) | instskip(SKIP_1) | instid1(VALU_DEP_1)
	v_pk_fma_f32 v[132:133], v[130:131], v[118:119], v[128:129] op_sel:[0,0,1] op_sel_hi:[1,1,0] neg_lo:[0,0,1] neg_hi:[0,0,1]
	v_pk_fma_f32 v[128:129], v[130:131], v[118:119], v[128:129] op_sel:[0,0,1] op_sel_hi:[1,0,0]
	v_mov_b32_e32 v133, v129
	ds_load_2addr_b64 v[128:131], v122 offset0:20 offset1:21
	v_pk_add_f32 v[86:87], v[86:87], v[134:135] neg_lo:[0,1] neg_hi:[0,1]
	v_pk_add_f32 v[30:31], v[30:31], v[132:133] neg_lo:[0,1] neg_hi:[0,1]
	s_wait_dscnt 0x0
	v_pk_mul_f32 v[132:133], v[128:129], v[120:121] op_sel:[0,1]
	s_delay_alu instid0(VALU_DEP_1) | instskip(SKIP_1) | instid1(VALU_DEP_1)
	v_pk_fma_f32 v[134:135], v[128:129], v[118:119], v[132:133] op_sel:[0,0,1] op_sel_hi:[1,1,0] neg_lo:[0,0,1] neg_hi:[0,0,1]
	v_pk_fma_f32 v[128:129], v[128:129], v[118:119], v[132:133] op_sel:[0,0,1] op_sel_hi:[1,0,0]
	v_mov_b32_e32 v135, v129
	v_pk_mul_f32 v[128:129], v[130:131], v[120:121] op_sel:[0,1]
	s_delay_alu instid0(VALU_DEP_1) | instskip(SKIP_1) | instid1(VALU_DEP_1)
	v_pk_fma_f32 v[132:133], v[130:131], v[118:119], v[128:129] op_sel:[0,0,1] op_sel_hi:[1,1,0] neg_lo:[0,0,1] neg_hi:[0,0,1]
	v_pk_fma_f32 v[128:129], v[130:131], v[118:119], v[128:129] op_sel:[0,0,1] op_sel_hi:[1,0,0]
	v_mov_b32_e32 v133, v129
	ds_load_2addr_b64 v[128:131], v122 offset0:22 offset1:23
	v_pk_add_f32 v[82:83], v[82:83], v[134:135] neg_lo:[0,1] neg_hi:[0,1]
	v_pk_add_f32 v[78:79], v[78:79], v[132:133] neg_lo:[0,1] neg_hi:[0,1]
	s_wait_dscnt 0x0
	v_dual_mul_f32 v132, v129, v121 :: v_dual_mul_f32 v134, v129, v118
	s_delay_alu instid0(VALU_DEP_1) | instskip(NEXT) | instid1(VALU_DEP_2)
	v_pk_fma_f32 v[132:133], v[128:129], v[90:91], v[132:133] op_sel_hi:[1,1,0] neg_lo:[0,0,1] neg_hi:[0,0,1]
	v_pk_fma_f32 v[128:129], v[128:129], v[90:91], v[134:135] op_sel:[1,0,0] op_sel_hi:[0,1,0]
	s_delay_alu instid0(VALU_DEP_1) | instskip(SKIP_1) | instid1(VALU_DEP_2)
	v_mov_b32_e32 v133, v129
	v_pk_mul_f32 v[128:129], v[130:131], v[120:121] op_sel:[0,1]
	v_pk_add_f32 v[80:81], v[80:81], v[132:133] neg_lo:[0,1] neg_hi:[0,1]
	s_delay_alu instid0(VALU_DEP_2) | instskip(SKIP_1) | instid1(VALU_DEP_1)
	v_pk_fma_f32 v[132:133], v[130:131], v[118:119], v[128:129] op_sel:[0,0,1] op_sel_hi:[1,1,0] neg_lo:[0,0,1] neg_hi:[0,0,1]
	v_pk_fma_f32 v[128:129], v[130:131], v[118:119], v[128:129] op_sel:[0,0,1] op_sel_hi:[1,0,0]
	v_mov_b32_e32 v133, v129
	ds_load_2addr_b64 v[128:131], v122 offset0:24 offset1:25
	v_pk_add_f32 v[24:25], v[24:25], v[132:133] neg_lo:[0,1] neg_hi:[0,1]
	s_wait_dscnt 0x0
	v_pk_mul_f32 v[132:133], v[128:129], v[120:121] op_sel:[0,1]
	s_delay_alu instid0(VALU_DEP_1) | instskip(SKIP_1) | instid1(VALU_DEP_1)
	v_pk_fma_f32 v[134:135], v[128:129], v[118:119], v[132:133] op_sel:[0,0,1] op_sel_hi:[1,1,0] neg_lo:[0,0,1] neg_hi:[0,0,1]
	v_pk_fma_f32 v[128:129], v[128:129], v[118:119], v[132:133] op_sel:[0,0,1] op_sel_hi:[1,0,0]
	v_mov_b32_e32 v135, v129
	v_pk_mul_f32 v[128:129], v[130:131], v[120:121] op_sel:[0,1]
	s_delay_alu instid0(VALU_DEP_2) | instskip(NEXT) | instid1(VALU_DEP_2)
	v_pk_add_f32 v[76:77], v[76:77], v[134:135] neg_lo:[0,1] neg_hi:[0,1]
	v_pk_fma_f32 v[132:133], v[130:131], v[118:119], v[128:129] op_sel:[0,0,1] op_sel_hi:[1,1,0] neg_lo:[0,0,1] neg_hi:[0,0,1]
	v_pk_fma_f32 v[128:129], v[130:131], v[118:119], v[128:129] op_sel:[0,0,1] op_sel_hi:[1,0,0]
	s_delay_alu instid0(VALU_DEP_1) | instskip(SKIP_4) | instid1(VALU_DEP_1)
	v_mov_b32_e32 v133, v129
	ds_load_2addr_b64 v[128:131], v122 offset0:26 offset1:27
	v_pk_add_f32 v[72:73], v[72:73], v[132:133] neg_lo:[0,1] neg_hi:[0,1]
	s_wait_dscnt 0x0
	v_pk_mul_f32 v[132:133], v[128:129], v[120:121] op_sel:[0,1]
	v_pk_fma_f32 v[134:135], v[128:129], v[118:119], v[132:133] op_sel:[0,0,1] op_sel_hi:[1,1,0] neg_lo:[0,0,1] neg_hi:[0,0,1]
	v_pk_fma_f32 v[128:129], v[128:129], v[118:119], v[132:133] op_sel:[0,0,1] op_sel_hi:[1,0,0]
	v_dual_mul_f32 v132, v131, v121 :: v_dual_mov_b32 v128, v131
	s_delay_alu instid0(VALU_DEP_2) | instskip(NEXT) | instid1(VALU_DEP_2)
	v_dual_mov_b32 v135, v129 :: v_dual_mov_b32 v129, v130
	v_pk_fma_f32 v[132:133], v[130:131], v[90:91], v[132:133] op_sel_hi:[1,1,0] neg_lo:[0,0,1] neg_hi:[0,0,1]
	v_mul_f32_e32 v130, v131, v118
	s_delay_alu instid0(VALU_DEP_3) | instskip(NEXT) | instid1(VALU_DEP_2)
	v_pk_add_f32 v[74:75], v[74:75], v[134:135] neg_lo:[0,1] neg_hi:[0,1]
	v_pk_fma_f32 v[128:129], v[128:129], v[90:91], v[130:131] op_sel_hi:[1,1,0]
	s_delay_alu instid0(VALU_DEP_1) | instskip(SKIP_4) | instid1(VALU_DEP_1)
	v_mov_b32_e32 v133, v129
	ds_load_2addr_b64 v[128:131], v122 offset0:28 offset1:29
	v_pk_add_f32 v[18:19], v[18:19], v[132:133] neg_lo:[0,1] neg_hi:[0,1]
	s_wait_dscnt 0x0
	v_pk_mul_f32 v[132:133], v[128:129], v[120:121] op_sel:[0,1]
	v_pk_fma_f32 v[134:135], v[128:129], v[118:119], v[132:133] op_sel:[0,0,1] op_sel_hi:[1,1,0] neg_lo:[0,0,1] neg_hi:[0,0,1]
	v_pk_fma_f32 v[128:129], v[128:129], v[118:119], v[132:133] op_sel:[0,0,1] op_sel_hi:[1,0,0]
	s_delay_alu instid0(VALU_DEP_1) | instskip(SKIP_1) | instid1(VALU_DEP_1)
	v_mov_b32_e32 v135, v129
	v_pk_mul_f32 v[128:129], v[130:131], v[120:121] op_sel:[0,1]
	v_pk_fma_f32 v[132:133], v[130:131], v[118:119], v[128:129] op_sel:[0,0,1] op_sel_hi:[1,1,0] neg_lo:[0,0,1] neg_hi:[0,0,1]
	v_pk_fma_f32 v[128:129], v[130:131], v[118:119], v[128:129] op_sel:[0,0,1] op_sel_hi:[1,0,0]
	s_delay_alu instid0(VALU_DEP_1)
	v_mov_b32_e32 v133, v129
	ds_load_2addr_b64 v[128:131], v122 offset0:30 offset1:31
	v_pk_add_f32 v[70:71], v[70:71], v[134:135] neg_lo:[0,1] neg_hi:[0,1]
	v_pk_add_f32 v[66:67], v[66:67], v[132:133] neg_lo:[0,1] neg_hi:[0,1]
	s_wait_dscnt 0x0
	v_pk_mul_f32 v[132:133], v[128:129], v[120:121] op_sel:[0,1]
	s_delay_alu instid0(VALU_DEP_1) | instskip(SKIP_1) | instid1(VALU_DEP_1)
	v_pk_fma_f32 v[134:135], v[128:129], v[118:119], v[132:133] op_sel:[0,0,1] op_sel_hi:[1,1,0] neg_lo:[0,0,1] neg_hi:[0,0,1]
	v_pk_fma_f32 v[128:129], v[128:129], v[118:119], v[132:133] op_sel:[0,0,1] op_sel_hi:[1,0,0]
	v_mov_b32_e32 v135, v129
	v_pk_mul_f32 v[128:129], v[130:131], v[120:121] op_sel:[0,1]
	s_delay_alu instid0(VALU_DEP_1) | instskip(SKIP_1) | instid1(VALU_DEP_1)
	v_pk_fma_f32 v[132:133], v[130:131], v[118:119], v[128:129] op_sel:[0,0,1] op_sel_hi:[1,1,0] neg_lo:[0,0,1] neg_hi:[0,0,1]
	v_pk_fma_f32 v[128:129], v[130:131], v[118:119], v[128:129] op_sel:[0,0,1] op_sel_hi:[1,0,0]
	v_mov_b32_e32 v133, v129
	ds_load_2addr_b64 v[128:131], v122 offset0:32 offset1:33
	v_pk_add_f32 v[68:69], v[68:69], v[134:135] neg_lo:[0,1] neg_hi:[0,1]
	v_pk_add_f32 v[16:17], v[16:17], v[132:133] neg_lo:[0,1] neg_hi:[0,1]
	s_wait_dscnt 0x0
	v_dual_mul_f32 v132, v129, v121 :: v_dual_mul_f32 v134, v129, v118
	s_delay_alu instid0(VALU_DEP_1) | instskip(NEXT) | instid1(VALU_DEP_2)
	v_pk_fma_f32 v[132:133], v[128:129], v[90:91], v[132:133] op_sel_hi:[1,1,0] neg_lo:[0,0,1] neg_hi:[0,0,1]
	v_pk_fma_f32 v[128:129], v[128:129], v[90:91], v[134:135] op_sel:[1,0,0] op_sel_hi:[0,1,0]
	s_delay_alu instid0(VALU_DEP_1) | instskip(SKIP_1) | instid1(VALU_DEP_2)
	v_mov_b32_e32 v133, v129
	v_pk_mul_f32 v[128:129], v[130:131], v[120:121] op_sel:[0,1]
	v_pk_add_f32 v[64:65], v[64:65], v[132:133] neg_lo:[0,1] neg_hi:[0,1]
	s_delay_alu instid0(VALU_DEP_2) | instskip(SKIP_1) | instid1(VALU_DEP_1)
	v_pk_fma_f32 v[132:133], v[130:131], v[118:119], v[128:129] op_sel:[0,0,1] op_sel_hi:[1,1,0] neg_lo:[0,0,1] neg_hi:[0,0,1]
	v_pk_fma_f32 v[128:129], v[130:131], v[118:119], v[128:129] op_sel:[0,0,1] op_sel_hi:[1,0,0]
	v_mov_b32_e32 v133, v129
	ds_load_2addr_b64 v[128:131], v122 offset0:34 offset1:35
	v_pk_add_f32 v[60:61], v[60:61], v[132:133] neg_lo:[0,1] neg_hi:[0,1]
	s_wait_dscnt 0x0
	v_pk_mul_f32 v[132:133], v[128:129], v[120:121] op_sel:[0,1]
	s_delay_alu instid0(VALU_DEP_1) | instskip(SKIP_1) | instid1(VALU_DEP_1)
	v_pk_fma_f32 v[134:135], v[128:129], v[118:119], v[132:133] op_sel:[0,0,1] op_sel_hi:[1,1,0] neg_lo:[0,0,1] neg_hi:[0,0,1]
	v_pk_fma_f32 v[128:129], v[128:129], v[118:119], v[132:133] op_sel:[0,0,1] op_sel_hi:[1,0,0]
	v_mov_b32_e32 v135, v129
	v_pk_mul_f32 v[128:129], v[130:131], v[120:121] op_sel:[0,1]
	s_delay_alu instid0(VALU_DEP_2) | instskip(NEXT) | instid1(VALU_DEP_2)
	v_pk_add_f32 v[62:63], v[62:63], v[134:135] neg_lo:[0,1] neg_hi:[0,1]
	v_pk_fma_f32 v[132:133], v[130:131], v[118:119], v[128:129] op_sel:[0,0,1] op_sel_hi:[1,1,0] neg_lo:[0,0,1] neg_hi:[0,0,1]
	v_pk_fma_f32 v[128:129], v[130:131], v[118:119], v[128:129] op_sel:[0,0,1] op_sel_hi:[1,0,0]
	s_delay_alu instid0(VALU_DEP_1) | instskip(SKIP_4) | instid1(VALU_DEP_1)
	v_mov_b32_e32 v133, v129
	ds_load_2addr_b64 v[128:131], v122 offset0:36 offset1:37
	v_pk_add_f32 v[14:15], v[14:15], v[132:133] neg_lo:[0,1] neg_hi:[0,1]
	s_wait_dscnt 0x0
	v_pk_mul_f32 v[132:133], v[128:129], v[120:121] op_sel:[0,1]
	v_pk_fma_f32 v[134:135], v[128:129], v[118:119], v[132:133] op_sel:[0,0,1] op_sel_hi:[1,1,0] neg_lo:[0,0,1] neg_hi:[0,0,1]
	v_pk_fma_f32 v[128:129], v[128:129], v[118:119], v[132:133] op_sel:[0,0,1] op_sel_hi:[1,0,0]
	v_dual_mul_f32 v132, v131, v121 :: v_dual_mov_b32 v128, v131
	s_delay_alu instid0(VALU_DEP_2) | instskip(NEXT) | instid1(VALU_DEP_2)
	v_dual_mov_b32 v135, v129 :: v_dual_mov_b32 v129, v130
	v_pk_fma_f32 v[132:133], v[130:131], v[90:91], v[132:133] op_sel_hi:[1,1,0] neg_lo:[0,0,1] neg_hi:[0,0,1]
	v_mul_f32_e32 v130, v131, v118
	s_delay_alu instid0(VALU_DEP_3) | instskip(NEXT) | instid1(VALU_DEP_2)
	v_pk_add_f32 v[58:59], v[58:59], v[134:135] neg_lo:[0,1] neg_hi:[0,1]
	v_pk_fma_f32 v[128:129], v[128:129], v[90:91], v[130:131] op_sel_hi:[1,1,0]
	s_delay_alu instid0(VALU_DEP_1) | instskip(SKIP_4) | instid1(VALU_DEP_1)
	v_mov_b32_e32 v133, v129
	ds_load_2addr_b64 v[128:131], v122 offset0:38 offset1:39
	v_pk_add_f32 v[54:55], v[54:55], v[132:133] neg_lo:[0,1] neg_hi:[0,1]
	s_wait_dscnt 0x0
	v_pk_mul_f32 v[132:133], v[128:129], v[120:121] op_sel:[0,1]
	v_pk_fma_f32 v[134:135], v[128:129], v[118:119], v[132:133] op_sel:[0,0,1] op_sel_hi:[1,1,0] neg_lo:[0,0,1] neg_hi:[0,0,1]
	v_pk_fma_f32 v[128:129], v[128:129], v[118:119], v[132:133] op_sel:[0,0,1] op_sel_hi:[1,0,0]
	s_delay_alu instid0(VALU_DEP_1) | instskip(SKIP_1) | instid1(VALU_DEP_1)
	v_mov_b32_e32 v135, v129
	v_pk_mul_f32 v[128:129], v[130:131], v[120:121] op_sel:[0,1]
	v_pk_fma_f32 v[132:133], v[130:131], v[118:119], v[128:129] op_sel:[0,0,1] op_sel_hi:[1,1,0] neg_lo:[0,0,1] neg_hi:[0,0,1]
	v_pk_fma_f32 v[128:129], v[130:131], v[118:119], v[128:129] op_sel:[0,0,1] op_sel_hi:[1,0,0]
	s_delay_alu instid0(VALU_DEP_1)
	v_mov_b32_e32 v133, v129
	ds_load_2addr_b64 v[128:131], v122 offset0:40 offset1:41
	v_pk_add_f32 v[56:57], v[56:57], v[134:135] neg_lo:[0,1] neg_hi:[0,1]
	v_pk_add_f32 v[12:13], v[12:13], v[132:133] neg_lo:[0,1] neg_hi:[0,1]
	s_wait_dscnt 0x0
	v_pk_mul_f32 v[132:133], v[128:129], v[120:121] op_sel:[0,1]
	s_delay_alu instid0(VALU_DEP_1) | instskip(SKIP_1) | instid1(VALU_DEP_1)
	v_pk_fma_f32 v[134:135], v[128:129], v[118:119], v[132:133] op_sel:[0,0,1] op_sel_hi:[1,1,0] neg_lo:[0,0,1] neg_hi:[0,0,1]
	v_pk_fma_f32 v[128:129], v[128:129], v[118:119], v[132:133] op_sel:[0,0,1] op_sel_hi:[1,0,0]
	v_mov_b32_e32 v135, v129
	v_pk_mul_f32 v[128:129], v[130:131], v[120:121] op_sel:[0,1]
	s_delay_alu instid0(VALU_DEP_1) | instskip(SKIP_1) | instid1(VALU_DEP_1)
	v_pk_fma_f32 v[132:133], v[130:131], v[118:119], v[128:129] op_sel:[0,0,1] op_sel_hi:[1,1,0] neg_lo:[0,0,1] neg_hi:[0,0,1]
	v_pk_fma_f32 v[128:129], v[130:131], v[118:119], v[128:129] op_sel:[0,0,1] op_sel_hi:[1,0,0]
	v_mov_b32_e32 v133, v129
	ds_load_2addr_b64 v[128:131], v122 offset0:42 offset1:43
	v_pk_add_f32 v[52:53], v[52:53], v[134:135] neg_lo:[0,1] neg_hi:[0,1]
	v_pk_add_f32 v[48:49], v[48:49], v[132:133] neg_lo:[0,1] neg_hi:[0,1]
	s_wait_dscnt 0x0
	v_dual_mul_f32 v132, v129, v121 :: v_dual_mul_f32 v134, v129, v118
	s_delay_alu instid0(VALU_DEP_1) | instskip(NEXT) | instid1(VALU_DEP_2)
	v_pk_fma_f32 v[132:133], v[128:129], v[90:91], v[132:133] op_sel_hi:[1,1,0] neg_lo:[0,0,1] neg_hi:[0,0,1]
	v_pk_fma_f32 v[128:129], v[128:129], v[90:91], v[134:135] op_sel:[1,0,0] op_sel_hi:[0,1,0]
	s_delay_alu instid0(VALU_DEP_1) | instskip(SKIP_1) | instid1(VALU_DEP_2)
	v_mov_b32_e32 v133, v129
	v_pk_mul_f32 v[128:129], v[130:131], v[120:121] op_sel:[0,1]
	v_pk_add_f32 v[50:51], v[50:51], v[132:133] neg_lo:[0,1] neg_hi:[0,1]
	s_delay_alu instid0(VALU_DEP_2) | instskip(SKIP_1) | instid1(VALU_DEP_1)
	v_pk_fma_f32 v[132:133], v[130:131], v[118:119], v[128:129] op_sel:[0,0,1] op_sel_hi:[1,1,0] neg_lo:[0,0,1] neg_hi:[0,0,1]
	v_pk_fma_f32 v[128:129], v[130:131], v[118:119], v[128:129] op_sel:[0,0,1] op_sel_hi:[1,0,0]
	v_mov_b32_e32 v133, v129
	ds_load_2addr_b64 v[128:131], v122 offset0:44 offset1:45
	v_pk_add_f32 v[10:11], v[10:11], v[132:133] neg_lo:[0,1] neg_hi:[0,1]
	s_wait_dscnt 0x0
	v_pk_mul_f32 v[132:133], v[128:129], v[120:121] op_sel:[0,1]
	s_delay_alu instid0(VALU_DEP_1) | instskip(SKIP_1) | instid1(VALU_DEP_1)
	v_pk_fma_f32 v[134:135], v[128:129], v[118:119], v[132:133] op_sel:[0,0,1] op_sel_hi:[1,1,0] neg_lo:[0,0,1] neg_hi:[0,0,1]
	v_pk_fma_f32 v[128:129], v[128:129], v[118:119], v[132:133] op_sel:[0,0,1] op_sel_hi:[1,0,0]
	v_mov_b32_e32 v135, v129
	v_pk_mul_f32 v[128:129], v[130:131], v[120:121] op_sel:[0,1]
	s_delay_alu instid0(VALU_DEP_2) | instskip(NEXT) | instid1(VALU_DEP_2)
	v_pk_add_f32 v[46:47], v[46:47], v[134:135] neg_lo:[0,1] neg_hi:[0,1]
	v_pk_fma_f32 v[132:133], v[130:131], v[118:119], v[128:129] op_sel:[0,0,1] op_sel_hi:[1,1,0] neg_lo:[0,0,1] neg_hi:[0,0,1]
	v_pk_fma_f32 v[128:129], v[130:131], v[118:119], v[128:129] op_sel:[0,0,1] op_sel_hi:[1,0,0]
	s_delay_alu instid0(VALU_DEP_1) | instskip(SKIP_4) | instid1(VALU_DEP_1)
	v_mov_b32_e32 v133, v129
	ds_load_2addr_b64 v[128:131], v122 offset0:46 offset1:47
	v_pk_add_f32 v[42:43], v[42:43], v[132:133] neg_lo:[0,1] neg_hi:[0,1]
	s_wait_dscnt 0x0
	v_pk_mul_f32 v[132:133], v[128:129], v[120:121] op_sel:[0,1]
	v_pk_fma_f32 v[134:135], v[128:129], v[118:119], v[132:133] op_sel:[0,0,1] op_sel_hi:[1,1,0] neg_lo:[0,0,1] neg_hi:[0,0,1]
	v_pk_fma_f32 v[128:129], v[128:129], v[118:119], v[132:133] op_sel:[0,0,1] op_sel_hi:[1,0,0]
	v_dual_mul_f32 v132, v131, v121 :: v_dual_mov_b32 v128, v131
	s_delay_alu instid0(VALU_DEP_2) | instskip(NEXT) | instid1(VALU_DEP_2)
	v_dual_mov_b32 v135, v129 :: v_dual_mov_b32 v129, v130
	v_pk_fma_f32 v[132:133], v[130:131], v[90:91], v[132:133] op_sel_hi:[1,1,0] neg_lo:[0,0,1] neg_hi:[0,0,1]
	v_mul_f32_e32 v130, v131, v118
	s_delay_alu instid0(VALU_DEP_3) | instskip(NEXT) | instid1(VALU_DEP_2)
	v_pk_add_f32 v[44:45], v[44:45], v[134:135] neg_lo:[0,1] neg_hi:[0,1]
	v_pk_fma_f32 v[128:129], v[128:129], v[90:91], v[130:131] op_sel_hi:[1,1,0]
	s_delay_alu instid0(VALU_DEP_1) | instskip(SKIP_4) | instid1(VALU_DEP_1)
	v_mov_b32_e32 v133, v129
	ds_load_2addr_b64 v[128:131], v122 offset0:48 offset1:49
	v_pk_add_f32 v[6:7], v[6:7], v[132:133] neg_lo:[0,1] neg_hi:[0,1]
	s_wait_dscnt 0x0
	v_pk_mul_f32 v[132:133], v[128:129], v[120:121] op_sel:[0,1]
	v_pk_fma_f32 v[134:135], v[128:129], v[118:119], v[132:133] op_sel:[0,0,1] op_sel_hi:[1,1,0] neg_lo:[0,0,1] neg_hi:[0,0,1]
	v_pk_fma_f32 v[128:129], v[128:129], v[118:119], v[132:133] op_sel:[0,0,1] op_sel_hi:[1,0,0]
	s_delay_alu instid0(VALU_DEP_1) | instskip(SKIP_1) | instid1(VALU_DEP_1)
	v_mov_b32_e32 v135, v129
	v_pk_mul_f32 v[128:129], v[130:131], v[120:121] op_sel:[0,1]
	v_pk_fma_f32 v[132:133], v[130:131], v[118:119], v[128:129] op_sel:[0,0,1] op_sel_hi:[1,1,0] neg_lo:[0,0,1] neg_hi:[0,0,1]
	v_pk_fma_f32 v[128:129], v[130:131], v[118:119], v[128:129] op_sel:[0,0,1] op_sel_hi:[1,0,0]
	s_delay_alu instid0(VALU_DEP_1)
	v_mov_b32_e32 v133, v129
	ds_load_2addr_b64 v[128:131], v122 offset0:50 offset1:51
	v_pk_add_f32 v[34:35], v[34:35], v[134:135] neg_lo:[0,1] neg_hi:[0,1]
	v_pk_add_f32 v[28:29], v[28:29], v[132:133] neg_lo:[0,1] neg_hi:[0,1]
	s_wait_dscnt 0x0
	v_pk_mul_f32 v[132:133], v[128:129], v[120:121] op_sel:[0,1]
	s_delay_alu instid0(VALU_DEP_1) | instskip(SKIP_1) | instid1(VALU_DEP_1)
	v_pk_fma_f32 v[134:135], v[128:129], v[118:119], v[132:133] op_sel:[0,0,1] op_sel_hi:[1,1,0] neg_lo:[0,0,1] neg_hi:[0,0,1]
	v_pk_fma_f32 v[128:129], v[128:129], v[118:119], v[132:133] op_sel:[0,0,1] op_sel_hi:[1,0,0]
	v_mov_b32_e32 v135, v129
	v_pk_mul_f32 v[128:129], v[130:131], v[120:121] op_sel:[0,1]
	s_delay_alu instid0(VALU_DEP_1) | instskip(SKIP_1) | instid1(VALU_DEP_1)
	v_pk_fma_f32 v[132:133], v[130:131], v[118:119], v[128:129] op_sel:[0,0,1] op_sel_hi:[1,1,0] neg_lo:[0,0,1] neg_hi:[0,0,1]
	v_pk_fma_f32 v[128:129], v[130:131], v[118:119], v[128:129] op_sel:[0,0,1] op_sel_hi:[1,0,0]
	v_mov_b32_e32 v133, v129
	ds_load_2addr_b64 v[128:131], v122 offset0:52 offset1:53
	v_pk_add_f32 v[32:33], v[32:33], v[134:135] neg_lo:[0,1] neg_hi:[0,1]
	v_pk_add_f32 v[8:9], v[8:9], v[132:133] neg_lo:[0,1] neg_hi:[0,1]
	s_wait_dscnt 0x0
	v_dual_mul_f32 v132, v129, v121 :: v_dual_mul_f32 v134, v129, v118
	s_delay_alu instid0(VALU_DEP_1) | instskip(NEXT) | instid1(VALU_DEP_2)
	v_pk_fma_f32 v[132:133], v[128:129], v[90:91], v[132:133] op_sel_hi:[1,1,0] neg_lo:[0,0,1] neg_hi:[0,0,1]
	v_pk_fma_f32 v[128:129], v[128:129], v[90:91], v[134:135] op_sel:[1,0,0] op_sel_hi:[0,1,0]
	s_delay_alu instid0(VALU_DEP_1) | instskip(SKIP_1) | instid1(VALU_DEP_2)
	v_mov_b32_e32 v133, v129
	v_pk_mul_f32 v[128:129], v[130:131], v[120:121] op_sel:[0,1]
	v_pk_add_f32 v[26:27], v[26:27], v[132:133] neg_lo:[0,1] neg_hi:[0,1]
	s_delay_alu instid0(VALU_DEP_2) | instskip(SKIP_1) | instid1(VALU_DEP_1)
	v_pk_fma_f32 v[132:133], v[130:131], v[118:119], v[128:129] op_sel:[0,0,1] op_sel_hi:[1,1,0] neg_lo:[0,0,1] neg_hi:[0,0,1]
	v_pk_fma_f32 v[128:129], v[130:131], v[118:119], v[128:129] op_sel:[0,0,1] op_sel_hi:[1,0,0]
	v_mov_b32_e32 v133, v129
	ds_load_2addr_b64 v[128:131], v122 offset0:54 offset1:55
	v_pk_add_f32 v[22:23], v[22:23], v[132:133] neg_lo:[0,1] neg_hi:[0,1]
	s_wait_dscnt 0x0
	v_pk_mul_f32 v[132:133], v[128:129], v[120:121] op_sel:[0,1]
	v_mul_f32_e32 v120, v131, v121
	s_delay_alu instid0(VALU_DEP_2) | instskip(SKIP_2) | instid1(VALU_DEP_4)
	v_pk_fma_f32 v[134:135], v[128:129], v[118:119], v[132:133] op_sel:[0,0,1] op_sel_hi:[1,1,0] neg_lo:[0,0,1] neg_hi:[0,0,1]
	v_pk_fma_f32 v[128:129], v[128:129], v[118:119], v[132:133] op_sel:[0,0,1] op_sel_hi:[1,0,0]
	v_dual_mov_b32 v128, v131 :: v_dual_mul_f32 v118, v131, v118
	v_pk_fma_f32 v[120:121], v[130:131], v[90:91], v[120:121] op_sel_hi:[1,1,0] neg_lo:[0,0,1] neg_hi:[0,0,1]
	s_delay_alu instid0(VALU_DEP_3) | instskip(NEXT) | instid1(VALU_DEP_1)
	v_dual_mov_b32 v135, v129 :: v_dual_mov_b32 v129, v130
	v_pk_add_f32 v[20:21], v[20:21], v[134:135] neg_lo:[0,1] neg_hi:[0,1]
	s_delay_alu instid0(VALU_DEP_2) | instskip(NEXT) | instid1(VALU_DEP_1)
	v_pk_fma_f32 v[118:119], v[128:129], v[90:91], v[118:119] op_sel_hi:[1,1,0]
	v_mov_b32_e32 v121, v119
	s_delay_alu instid0(VALU_DEP_1)
	v_pk_add_f32 v[116:117], v[116:117], v[120:121] neg_lo:[0,1] neg_hi:[0,1]
.LBB110_293:
	s_or_b32 exec_lo, exec_lo, s0
	v_lshl_add_u32 v118, v126, 3, v122
	s_barrier_signal -1
	s_barrier_wait -1
	ds_store_b64 v118, v[92:93]
	s_wait_dscnt 0x0
	s_barrier_signal -1
	s_barrier_wait -1
	ds_load_b64 v[120:121], v122 offset:112
	v_mov_b32_e32 v118, 14
	s_cmp_lt_i32 s18, 16
	s_cbranch_scc1 .LBB110_296
; %bb.294:
	v_add3_u32 v119, v123, 0, 0x78
	v_mov_b32_e32 v118, 14
	s_mov_b32 s0, 15
.LBB110_295:                            ; =>This Inner Loop Header: Depth=1
	ds_load_b64 v[128:129], v119
	s_wait_dscnt 0x1
	v_cmp_gt_f32_e32 vcc_lo, 0, v120
	v_cndmask_b32_e64 v130, v120, -v120, vcc_lo
	v_cmp_gt_f32_e32 vcc_lo, 0, v121
	v_cndmask_b32_e64 v132, v121, -v121, vcc_lo
	s_wait_dscnt 0x0
	v_cmp_gt_f32_e32 vcc_lo, 0, v128
	v_cndmask_b32_e64 v131, v128, -v128, vcc_lo
	v_cmp_gt_f32_e32 vcc_lo, 0, v129
	v_cndmask_b32_e64 v133, v129, -v129, vcc_lo
	s_delay_alu instid0(VALU_DEP_1) | instskip(NEXT) | instid1(VALU_DEP_1)
	v_pk_add_f32 v[130:131], v[130:131], v[132:133]
	v_cmp_lt_f32_e32 vcc_lo, v130, v131
	v_dual_add_nc_u32 v119, 8, v119 :: v_dual_cndmask_b32 v121, v121, v129, vcc_lo
	v_cndmask_b32_e32 v120, v120, v128, vcc_lo
	v_cndmask_b32_e64 v118, v118, s0, vcc_lo
	s_add_co_i32 s0, s0, 1
	s_delay_alu instid0(SALU_CYCLE_1)
	s_cmp_lg_u32 s18, s0
	s_cbranch_scc1 .LBB110_295
.LBB110_296:
	s_wait_dscnt 0x0
	v_cmp_eq_f32_e32 vcc_lo, 0, v120
	v_cmp_eq_f32_e64 s0, 0, v121
	s_and_b32 s0, vcc_lo, s0
	s_delay_alu instid0(SALU_CYCLE_1) | instskip(NEXT) | instid1(SALU_CYCLE_1)
	s_and_saveexec_b32 s1, s0
	s_xor_b32 s0, exec_lo, s1
; %bb.297:
	v_cmp_ne_u32_e32 vcc_lo, 0, v124
	v_cndmask_b32_e32 v124, 15, v124, vcc_lo
; %bb.298:
	s_and_not1_saveexec_b32 s0, s0
	s_cbranch_execz .LBB110_304
; %bb.299:
	v_cmp_ngt_f32_e64 s1, |v120|, |v121|
	s_and_saveexec_b32 s12, s1
	s_delay_alu instid0(SALU_CYCLE_1)
	s_xor_b32 s1, exec_lo, s12
	s_cbranch_execz .LBB110_301
; %bb.300:
	v_div_scale_f32 v119, null, v121, v121, v120
	v_div_scale_f32 v129, vcc_lo, v120, v121, v120
	s_delay_alu instid0(VALU_DEP_2) | instskip(SKIP_1) | instid1(TRANS32_DEP_1)
	v_rcp_f32_e32 v127, v119
	v_nop
	v_fma_f32 v128, -v119, v127, 1.0
	s_delay_alu instid0(VALU_DEP_1) | instskip(NEXT) | instid1(VALU_DEP_1)
	v_fmac_f32_e32 v127, v128, v127
	v_mul_f32_e32 v128, v129, v127
	s_delay_alu instid0(VALU_DEP_1) | instskip(NEXT) | instid1(VALU_DEP_1)
	v_fma_f32 v130, -v119, v128, v129
	v_fmac_f32_e32 v128, v130, v127
	s_delay_alu instid0(VALU_DEP_1) | instskip(NEXT) | instid1(VALU_DEP_1)
	v_fma_f32 v119, -v119, v128, v129
	v_div_fmas_f32 v119, v119, v127, v128
	s_delay_alu instid0(VALU_DEP_1) | instskip(NEXT) | instid1(VALU_DEP_1)
	v_div_fixup_f32 v119, v119, v121, v120
	v_fmac_f32_e32 v121, v120, v119
	s_delay_alu instid0(VALU_DEP_1) | instskip(SKIP_1) | instid1(VALU_DEP_2)
	v_div_scale_f32 v120, null, v121, v121, 1.0
	v_div_scale_f32 v129, vcc_lo, 1.0, v121, 1.0
	v_rcp_f32_e32 v127, v120
	v_nop
	s_delay_alu instid0(TRANS32_DEP_1) | instskip(NEXT) | instid1(VALU_DEP_1)
	v_fma_f32 v128, -v120, v127, 1.0
	v_fmac_f32_e32 v127, v128, v127
	s_delay_alu instid0(VALU_DEP_1) | instskip(NEXT) | instid1(VALU_DEP_1)
	v_mul_f32_e32 v128, v129, v127
	v_fma_f32 v130, -v120, v128, v129
	s_delay_alu instid0(VALU_DEP_1) | instskip(NEXT) | instid1(VALU_DEP_1)
	v_fmac_f32_e32 v128, v130, v127
	v_fma_f32 v120, -v120, v128, v129
	s_delay_alu instid0(VALU_DEP_1) | instskip(NEXT) | instid1(VALU_DEP_1)
	v_div_fmas_f32 v120, v120, v127, v128
	v_div_fixup_f32 v121, v120, v121, 1.0
	s_delay_alu instid0(VALU_DEP_1)
	v_mul_f32_e32 v120, v119, v121
	v_xor_b32_e32 v121, 0x80000000, v121
.LBB110_301:
	s_and_not1_saveexec_b32 s1, s1
	s_cbranch_execz .LBB110_303
; %bb.302:
	s_delay_alu instid0(VALU_DEP_1) | instskip(SKIP_1) | instid1(VALU_DEP_2)
	v_div_scale_f32 v119, null, v120, v120, v121
	v_div_scale_f32 v129, vcc_lo, v121, v120, v121
	v_rcp_f32_e32 v127, v119
	v_nop
	s_delay_alu instid0(TRANS32_DEP_1) | instskip(NEXT) | instid1(VALU_DEP_1)
	v_fma_f32 v128, -v119, v127, 1.0
	v_fmac_f32_e32 v127, v128, v127
	s_delay_alu instid0(VALU_DEP_1) | instskip(NEXT) | instid1(VALU_DEP_1)
	v_mul_f32_e32 v128, v129, v127
	v_fma_f32 v130, -v119, v128, v129
	s_delay_alu instid0(VALU_DEP_1) | instskip(NEXT) | instid1(VALU_DEP_1)
	v_fmac_f32_e32 v128, v130, v127
	v_fma_f32 v119, -v119, v128, v129
	s_delay_alu instid0(VALU_DEP_1) | instskip(NEXT) | instid1(VALU_DEP_1)
	v_div_fmas_f32 v119, v119, v127, v128
	v_div_fixup_f32 v119, v119, v120, v121
	s_delay_alu instid0(VALU_DEP_1) | instskip(NEXT) | instid1(VALU_DEP_1)
	v_fmac_f32_e32 v120, v121, v119
	v_div_scale_f32 v121, null, v120, v120, 1.0
	s_delay_alu instid0(VALU_DEP_1) | instskip(SKIP_1) | instid1(TRANS32_DEP_1)
	v_rcp_f32_e32 v127, v121
	v_nop
	v_fma_f32 v128, -v121, v127, 1.0
	s_delay_alu instid0(VALU_DEP_1) | instskip(SKIP_1) | instid1(VALU_DEP_1)
	v_fmac_f32_e32 v127, v128, v127
	v_div_scale_f32 v128, vcc_lo, 1.0, v120, 1.0
	v_mul_f32_e32 v129, v128, v127
	s_delay_alu instid0(VALU_DEP_1) | instskip(NEXT) | instid1(VALU_DEP_1)
	v_fma_f32 v130, -v121, v129, v128
	v_fmac_f32_e32 v129, v130, v127
	s_delay_alu instid0(VALU_DEP_1) | instskip(NEXT) | instid1(VALU_DEP_1)
	v_fma_f32 v121, -v121, v129, v128
	v_div_fmas_f32 v121, v121, v127, v129
	s_delay_alu instid0(VALU_DEP_1) | instskip(NEXT) | instid1(VALU_DEP_1)
	v_div_fixup_f32 v120, v121, v120, 1.0
	v_mul_f32_e64 v121, v119, -v120
.LBB110_303:
	s_or_b32 exec_lo, exec_lo, s1
.LBB110_304:
	s_delay_alu instid0(SALU_CYCLE_1) | instskip(NEXT) | instid1(SALU_CYCLE_1)
	s_or_b32 exec_lo, exec_lo, s0
	s_mov_b32 s0, exec_lo
	v_cmpx_ne_u32_e64 v126, v118
	s_xor_b32 s0, exec_lo, s0
	s_cbranch_execz .LBB110_310
; %bb.305:
	s_mov_b32 s1, exec_lo
	v_cmpx_eq_u32_e32 14, v126
	s_cbranch_execz .LBB110_309
; %bb.306:
	v_cmp_ne_u32_e32 vcc_lo, 14, v118
	s_xor_b32 s12, s16, -1
	s_delay_alu instid0(SALU_CYCLE_1) | instskip(NEXT) | instid1(SALU_CYCLE_1)
	s_and_b32 s13, s12, vcc_lo
	s_and_saveexec_b32 s12, s13
	s_cbranch_execz .LBB110_308
; %bb.307:
	v_ashrrev_i32_e32 v119, 31, v118
	s_delay_alu instid0(VALU_DEP_1)
	v_lshl_add_u64 v[126:127], v[118:119], 2, v[4:5]
	s_clause 0x1
	global_load_b32 v119, v[126:127], off
	global_load_b32 v125, v[4:5], off offset:56
	s_wait_loadcnt 0x1
	global_store_b32 v[4:5], v119, off offset:56
	s_wait_loadcnt 0x0
	global_store_b32 v[126:127], v125, off
.LBB110_308:
	s_wait_xcnt 0x0
	s_or_b32 exec_lo, exec_lo, s12
	v_dual_mov_b32 v126, v118 :: v_dual_mov_b32 v125, v118
.LBB110_309:
	s_or_b32 exec_lo, exec_lo, s1
.LBB110_310:
	s_and_not1_saveexec_b32 s0, s0
	s_cbranch_execz .LBB110_312
; %bb.311:
	v_mov_b32_e32 v126, 14
	ds_store_2addr_b64 v122, v[36:37], v[88:89] offset0:15 offset1:16
	ds_store_2addr_b64 v122, v[84:85], v[86:87] offset0:17 offset1:18
	;; [unrolled: 1-line block ×20, first 2 shown]
	ds_store_b64 v122, v[116:117] offset:440
.LBB110_312:
	s_or_b32 exec_lo, exec_lo, s0
	s_delay_alu instid0(SALU_CYCLE_1)
	s_mov_b32 s0, exec_lo
	s_wait_storecnt_dscnt 0x0
	s_barrier_signal -1
	s_barrier_wait -1
	v_cmpx_lt_i32_e32 14, v126
	s_cbranch_execz .LBB110_314
; %bb.313:
	v_pk_mul_f32 v[128:129], v[120:121], v[92:93] op_sel:[1,1] op_sel_hi:[0,1]
	s_delay_alu instid0(VALU_DEP_1)
	v_pk_fma_f32 v[118:119], v[120:121], v[92:93], v[128:129] op_sel_hi:[1,0,1] neg_lo:[0,0,1] neg_hi:[0,0,1]
	v_pk_fma_f32 v[120:121], v[120:121], v[92:93], v[128:129] op_sel_hi:[1,0,1]
	ds_load_2addr_b64 v[128:131], v122 offset0:15 offset1:16
	v_dual_mov_b32 v92, v118 :: v_dual_mov_b32 v93, v121
	s_wait_dscnt 0x0
	v_pk_mul_f32 v[132:133], v[128:129], v[120:121] op_sel:[0,1]
	s_delay_alu instid0(VALU_DEP_1) | instskip(SKIP_1) | instid1(VALU_DEP_1)
	v_pk_fma_f32 v[134:135], v[128:129], v[118:119], v[132:133] op_sel:[0,0,1] op_sel_hi:[1,1,0] neg_lo:[0,0,1] neg_hi:[0,0,1]
	v_pk_fma_f32 v[128:129], v[128:129], v[118:119], v[132:133] op_sel:[0,0,1] op_sel_hi:[1,0,0]
	v_mov_b32_e32 v135, v129
	v_pk_mul_f32 v[128:129], v[130:131], v[120:121] op_sel:[0,1]
	s_delay_alu instid0(VALU_DEP_1) | instskip(SKIP_1) | instid1(VALU_DEP_1)
	v_pk_fma_f32 v[132:133], v[130:131], v[118:119], v[128:129] op_sel:[0,0,1] op_sel_hi:[1,1,0] neg_lo:[0,0,1] neg_hi:[0,0,1]
	v_pk_fma_f32 v[128:129], v[130:131], v[118:119], v[128:129] op_sel:[0,0,1] op_sel_hi:[1,0,0]
	v_mov_b32_e32 v133, v129
	ds_load_2addr_b64 v[128:131], v122 offset0:17 offset1:18
	v_pk_add_f32 v[36:37], v[36:37], v[134:135] neg_lo:[0,1] neg_hi:[0,1]
	v_pk_add_f32 v[88:89], v[88:89], v[132:133] neg_lo:[0,1] neg_hi:[0,1]
	s_wait_dscnt 0x0
	v_pk_mul_f32 v[132:133], v[128:129], v[120:121] op_sel:[0,1]
	s_delay_alu instid0(VALU_DEP_1) | instskip(SKIP_2) | instid1(VALU_DEP_2)
	v_pk_fma_f32 v[134:135], v[128:129], v[118:119], v[132:133] op_sel:[0,0,1] op_sel_hi:[1,1,0] neg_lo:[0,0,1] neg_hi:[0,0,1]
	v_pk_fma_f32 v[128:129], v[128:129], v[118:119], v[132:133] op_sel:[0,0,1] op_sel_hi:[1,0,0]
	v_dual_mul_f32 v132, v131, v121 :: v_dual_mov_b32 v128, v131
	v_dual_mov_b32 v135, v129 :: v_dual_mov_b32 v129, v130
	s_delay_alu instid0(VALU_DEP_2) | instskip(SKIP_1) | instid1(VALU_DEP_3)
	v_pk_fma_f32 v[132:133], v[130:131], v[92:93], v[132:133] op_sel_hi:[1,1,0] neg_lo:[0,0,1] neg_hi:[0,0,1]
	v_mul_f32_e32 v130, v131, v118
	v_pk_add_f32 v[84:85], v[84:85], v[134:135] neg_lo:[0,1] neg_hi:[0,1]
	s_delay_alu instid0(VALU_DEP_2) | instskip(NEXT) | instid1(VALU_DEP_1)
	v_pk_fma_f32 v[128:129], v[128:129], v[92:93], v[130:131] op_sel_hi:[1,1,0]
	v_mov_b32_e32 v133, v129
	ds_load_2addr_b64 v[128:131], v122 offset0:19 offset1:20
	v_pk_add_f32 v[86:87], v[86:87], v[132:133] neg_lo:[0,1] neg_hi:[0,1]
	s_wait_dscnt 0x0
	v_pk_mul_f32 v[132:133], v[128:129], v[120:121] op_sel:[0,1]
	s_delay_alu instid0(VALU_DEP_1) | instskip(SKIP_1) | instid1(VALU_DEP_1)
	v_pk_fma_f32 v[134:135], v[128:129], v[118:119], v[132:133] op_sel:[0,0,1] op_sel_hi:[1,1,0] neg_lo:[0,0,1] neg_hi:[0,0,1]
	v_pk_fma_f32 v[128:129], v[128:129], v[118:119], v[132:133] op_sel:[0,0,1] op_sel_hi:[1,0,0]
	v_mov_b32_e32 v135, v129
	v_pk_mul_f32 v[128:129], v[130:131], v[120:121] op_sel:[0,1]
	s_delay_alu instid0(VALU_DEP_1) | instskip(SKIP_1) | instid1(VALU_DEP_1)
	v_pk_fma_f32 v[132:133], v[130:131], v[118:119], v[128:129] op_sel:[0,0,1] op_sel_hi:[1,1,0] neg_lo:[0,0,1] neg_hi:[0,0,1]
	v_pk_fma_f32 v[128:129], v[130:131], v[118:119], v[128:129] op_sel:[0,0,1] op_sel_hi:[1,0,0]
	v_mov_b32_e32 v133, v129
	ds_load_2addr_b64 v[128:131], v122 offset0:21 offset1:22
	v_pk_add_f32 v[30:31], v[30:31], v[134:135] neg_lo:[0,1] neg_hi:[0,1]
	v_pk_add_f32 v[82:83], v[82:83], v[132:133] neg_lo:[0,1] neg_hi:[0,1]
	s_wait_dscnt 0x0
	v_pk_mul_f32 v[132:133], v[128:129], v[120:121] op_sel:[0,1]
	s_delay_alu instid0(VALU_DEP_1) | instskip(SKIP_1) | instid1(VALU_DEP_1)
	v_pk_fma_f32 v[134:135], v[128:129], v[118:119], v[132:133] op_sel:[0,0,1] op_sel_hi:[1,1,0] neg_lo:[0,0,1] neg_hi:[0,0,1]
	v_pk_fma_f32 v[128:129], v[128:129], v[118:119], v[132:133] op_sel:[0,0,1] op_sel_hi:[1,0,0]
	v_mov_b32_e32 v135, v129
	v_pk_mul_f32 v[128:129], v[130:131], v[120:121] op_sel:[0,1]
	s_delay_alu instid0(VALU_DEP_1) | instskip(SKIP_1) | instid1(VALU_DEP_1)
	v_pk_fma_f32 v[132:133], v[130:131], v[118:119], v[128:129] op_sel:[0,0,1] op_sel_hi:[1,1,0] neg_lo:[0,0,1] neg_hi:[0,0,1]
	v_pk_fma_f32 v[128:129], v[130:131], v[118:119], v[128:129] op_sel:[0,0,1] op_sel_hi:[1,0,0]
	v_mov_b32_e32 v133, v129
	ds_load_2addr_b64 v[128:131], v122 offset0:23 offset1:24
	v_pk_add_f32 v[78:79], v[78:79], v[134:135] neg_lo:[0,1] neg_hi:[0,1]
	v_pk_add_f32 v[80:81], v[80:81], v[132:133] neg_lo:[0,1] neg_hi:[0,1]
	s_wait_dscnt 0x0
	v_dual_mul_f32 v132, v129, v121 :: v_dual_mul_f32 v134, v129, v118
	s_delay_alu instid0(VALU_DEP_1) | instskip(NEXT) | instid1(VALU_DEP_2)
	v_pk_fma_f32 v[132:133], v[128:129], v[92:93], v[132:133] op_sel_hi:[1,1,0] neg_lo:[0,0,1] neg_hi:[0,0,1]
	v_pk_fma_f32 v[128:129], v[128:129], v[92:93], v[134:135] op_sel:[1,0,0] op_sel_hi:[0,1,0]
	s_delay_alu instid0(VALU_DEP_1) | instskip(SKIP_1) | instid1(VALU_DEP_2)
	v_mov_b32_e32 v133, v129
	v_pk_mul_f32 v[128:129], v[130:131], v[120:121] op_sel:[0,1]
	v_pk_add_f32 v[24:25], v[24:25], v[132:133] neg_lo:[0,1] neg_hi:[0,1]
	s_delay_alu instid0(VALU_DEP_2) | instskip(SKIP_1) | instid1(VALU_DEP_1)
	v_pk_fma_f32 v[132:133], v[130:131], v[118:119], v[128:129] op_sel:[0,0,1] op_sel_hi:[1,1,0] neg_lo:[0,0,1] neg_hi:[0,0,1]
	v_pk_fma_f32 v[128:129], v[130:131], v[118:119], v[128:129] op_sel:[0,0,1] op_sel_hi:[1,0,0]
	v_mov_b32_e32 v133, v129
	ds_load_2addr_b64 v[128:131], v122 offset0:25 offset1:26
	v_pk_add_f32 v[76:77], v[76:77], v[132:133] neg_lo:[0,1] neg_hi:[0,1]
	s_wait_dscnt 0x0
	v_pk_mul_f32 v[132:133], v[128:129], v[120:121] op_sel:[0,1]
	s_delay_alu instid0(VALU_DEP_1) | instskip(SKIP_1) | instid1(VALU_DEP_1)
	v_pk_fma_f32 v[134:135], v[128:129], v[118:119], v[132:133] op_sel:[0,0,1] op_sel_hi:[1,1,0] neg_lo:[0,0,1] neg_hi:[0,0,1]
	v_pk_fma_f32 v[128:129], v[128:129], v[118:119], v[132:133] op_sel:[0,0,1] op_sel_hi:[1,0,0]
	v_mov_b32_e32 v135, v129
	v_pk_mul_f32 v[128:129], v[130:131], v[120:121] op_sel:[0,1]
	s_delay_alu instid0(VALU_DEP_2) | instskip(NEXT) | instid1(VALU_DEP_2)
	v_pk_add_f32 v[72:73], v[72:73], v[134:135] neg_lo:[0,1] neg_hi:[0,1]
	v_pk_fma_f32 v[132:133], v[130:131], v[118:119], v[128:129] op_sel:[0,0,1] op_sel_hi:[1,1,0] neg_lo:[0,0,1] neg_hi:[0,0,1]
	v_pk_fma_f32 v[128:129], v[130:131], v[118:119], v[128:129] op_sel:[0,0,1] op_sel_hi:[1,0,0]
	s_delay_alu instid0(VALU_DEP_1) | instskip(SKIP_4) | instid1(VALU_DEP_1)
	v_mov_b32_e32 v133, v129
	ds_load_2addr_b64 v[128:131], v122 offset0:27 offset1:28
	v_pk_add_f32 v[74:75], v[74:75], v[132:133] neg_lo:[0,1] neg_hi:[0,1]
	s_wait_dscnt 0x0
	v_pk_mul_f32 v[132:133], v[128:129], v[120:121] op_sel:[0,1]
	v_pk_fma_f32 v[134:135], v[128:129], v[118:119], v[132:133] op_sel:[0,0,1] op_sel_hi:[1,1,0] neg_lo:[0,0,1] neg_hi:[0,0,1]
	v_pk_fma_f32 v[128:129], v[128:129], v[118:119], v[132:133] op_sel:[0,0,1] op_sel_hi:[1,0,0]
	v_dual_mul_f32 v132, v131, v121 :: v_dual_mov_b32 v128, v131
	s_delay_alu instid0(VALU_DEP_2) | instskip(NEXT) | instid1(VALU_DEP_2)
	v_dual_mov_b32 v135, v129 :: v_dual_mov_b32 v129, v130
	v_pk_fma_f32 v[132:133], v[130:131], v[92:93], v[132:133] op_sel_hi:[1,1,0] neg_lo:[0,0,1] neg_hi:[0,0,1]
	v_mul_f32_e32 v130, v131, v118
	s_delay_alu instid0(VALU_DEP_3) | instskip(NEXT) | instid1(VALU_DEP_2)
	v_pk_add_f32 v[18:19], v[18:19], v[134:135] neg_lo:[0,1] neg_hi:[0,1]
	v_pk_fma_f32 v[128:129], v[128:129], v[92:93], v[130:131] op_sel_hi:[1,1,0]
	s_delay_alu instid0(VALU_DEP_1) | instskip(SKIP_4) | instid1(VALU_DEP_1)
	v_mov_b32_e32 v133, v129
	ds_load_2addr_b64 v[128:131], v122 offset0:29 offset1:30
	v_pk_add_f32 v[70:71], v[70:71], v[132:133] neg_lo:[0,1] neg_hi:[0,1]
	s_wait_dscnt 0x0
	v_pk_mul_f32 v[132:133], v[128:129], v[120:121] op_sel:[0,1]
	v_pk_fma_f32 v[134:135], v[128:129], v[118:119], v[132:133] op_sel:[0,0,1] op_sel_hi:[1,1,0] neg_lo:[0,0,1] neg_hi:[0,0,1]
	v_pk_fma_f32 v[128:129], v[128:129], v[118:119], v[132:133] op_sel:[0,0,1] op_sel_hi:[1,0,0]
	s_delay_alu instid0(VALU_DEP_1) | instskip(SKIP_1) | instid1(VALU_DEP_1)
	v_mov_b32_e32 v135, v129
	v_pk_mul_f32 v[128:129], v[130:131], v[120:121] op_sel:[0,1]
	v_pk_fma_f32 v[132:133], v[130:131], v[118:119], v[128:129] op_sel:[0,0,1] op_sel_hi:[1,1,0] neg_lo:[0,0,1] neg_hi:[0,0,1]
	v_pk_fma_f32 v[128:129], v[130:131], v[118:119], v[128:129] op_sel:[0,0,1] op_sel_hi:[1,0,0]
	s_delay_alu instid0(VALU_DEP_1)
	v_mov_b32_e32 v133, v129
	ds_load_2addr_b64 v[128:131], v122 offset0:31 offset1:32
	v_pk_add_f32 v[66:67], v[66:67], v[134:135] neg_lo:[0,1] neg_hi:[0,1]
	v_pk_add_f32 v[68:69], v[68:69], v[132:133] neg_lo:[0,1] neg_hi:[0,1]
	s_wait_dscnt 0x0
	v_pk_mul_f32 v[132:133], v[128:129], v[120:121] op_sel:[0,1]
	s_delay_alu instid0(VALU_DEP_1) | instskip(SKIP_1) | instid1(VALU_DEP_1)
	v_pk_fma_f32 v[134:135], v[128:129], v[118:119], v[132:133] op_sel:[0,0,1] op_sel_hi:[1,1,0] neg_lo:[0,0,1] neg_hi:[0,0,1]
	v_pk_fma_f32 v[128:129], v[128:129], v[118:119], v[132:133] op_sel:[0,0,1] op_sel_hi:[1,0,0]
	v_mov_b32_e32 v135, v129
	v_pk_mul_f32 v[128:129], v[130:131], v[120:121] op_sel:[0,1]
	s_delay_alu instid0(VALU_DEP_1) | instskip(SKIP_1) | instid1(VALU_DEP_1)
	v_pk_fma_f32 v[132:133], v[130:131], v[118:119], v[128:129] op_sel:[0,0,1] op_sel_hi:[1,1,0] neg_lo:[0,0,1] neg_hi:[0,0,1]
	v_pk_fma_f32 v[128:129], v[130:131], v[118:119], v[128:129] op_sel:[0,0,1] op_sel_hi:[1,0,0]
	v_mov_b32_e32 v133, v129
	ds_load_2addr_b64 v[128:131], v122 offset0:33 offset1:34
	v_pk_add_f32 v[16:17], v[16:17], v[134:135] neg_lo:[0,1] neg_hi:[0,1]
	v_pk_add_f32 v[64:65], v[64:65], v[132:133] neg_lo:[0,1] neg_hi:[0,1]
	s_wait_dscnt 0x0
	v_dual_mul_f32 v132, v129, v121 :: v_dual_mul_f32 v134, v129, v118
	s_delay_alu instid0(VALU_DEP_1) | instskip(NEXT) | instid1(VALU_DEP_2)
	v_pk_fma_f32 v[132:133], v[128:129], v[92:93], v[132:133] op_sel_hi:[1,1,0] neg_lo:[0,0,1] neg_hi:[0,0,1]
	v_pk_fma_f32 v[128:129], v[128:129], v[92:93], v[134:135] op_sel:[1,0,0] op_sel_hi:[0,1,0]
	s_delay_alu instid0(VALU_DEP_1) | instskip(SKIP_1) | instid1(VALU_DEP_2)
	v_mov_b32_e32 v133, v129
	v_pk_mul_f32 v[128:129], v[130:131], v[120:121] op_sel:[0,1]
	v_pk_add_f32 v[60:61], v[60:61], v[132:133] neg_lo:[0,1] neg_hi:[0,1]
	s_delay_alu instid0(VALU_DEP_2) | instskip(SKIP_1) | instid1(VALU_DEP_1)
	v_pk_fma_f32 v[132:133], v[130:131], v[118:119], v[128:129] op_sel:[0,0,1] op_sel_hi:[1,1,0] neg_lo:[0,0,1] neg_hi:[0,0,1]
	v_pk_fma_f32 v[128:129], v[130:131], v[118:119], v[128:129] op_sel:[0,0,1] op_sel_hi:[1,0,0]
	v_mov_b32_e32 v133, v129
	ds_load_2addr_b64 v[128:131], v122 offset0:35 offset1:36
	v_pk_add_f32 v[62:63], v[62:63], v[132:133] neg_lo:[0,1] neg_hi:[0,1]
	s_wait_dscnt 0x0
	v_pk_mul_f32 v[132:133], v[128:129], v[120:121] op_sel:[0,1]
	s_delay_alu instid0(VALU_DEP_1) | instskip(SKIP_1) | instid1(VALU_DEP_1)
	v_pk_fma_f32 v[134:135], v[128:129], v[118:119], v[132:133] op_sel:[0,0,1] op_sel_hi:[1,1,0] neg_lo:[0,0,1] neg_hi:[0,0,1]
	v_pk_fma_f32 v[128:129], v[128:129], v[118:119], v[132:133] op_sel:[0,0,1] op_sel_hi:[1,0,0]
	v_mov_b32_e32 v135, v129
	v_pk_mul_f32 v[128:129], v[130:131], v[120:121] op_sel:[0,1]
	s_delay_alu instid0(VALU_DEP_2) | instskip(NEXT) | instid1(VALU_DEP_2)
	v_pk_add_f32 v[14:15], v[14:15], v[134:135] neg_lo:[0,1] neg_hi:[0,1]
	v_pk_fma_f32 v[132:133], v[130:131], v[118:119], v[128:129] op_sel:[0,0,1] op_sel_hi:[1,1,0] neg_lo:[0,0,1] neg_hi:[0,0,1]
	v_pk_fma_f32 v[128:129], v[130:131], v[118:119], v[128:129] op_sel:[0,0,1] op_sel_hi:[1,0,0]
	s_delay_alu instid0(VALU_DEP_1) | instskip(SKIP_4) | instid1(VALU_DEP_1)
	v_mov_b32_e32 v133, v129
	ds_load_2addr_b64 v[128:131], v122 offset0:37 offset1:38
	v_pk_add_f32 v[58:59], v[58:59], v[132:133] neg_lo:[0,1] neg_hi:[0,1]
	s_wait_dscnt 0x0
	v_pk_mul_f32 v[132:133], v[128:129], v[120:121] op_sel:[0,1]
	v_pk_fma_f32 v[134:135], v[128:129], v[118:119], v[132:133] op_sel:[0,0,1] op_sel_hi:[1,1,0] neg_lo:[0,0,1] neg_hi:[0,0,1]
	v_pk_fma_f32 v[128:129], v[128:129], v[118:119], v[132:133] op_sel:[0,0,1] op_sel_hi:[1,0,0]
	v_dual_mul_f32 v132, v131, v121 :: v_dual_mov_b32 v128, v131
	s_delay_alu instid0(VALU_DEP_2) | instskip(NEXT) | instid1(VALU_DEP_2)
	v_dual_mov_b32 v135, v129 :: v_dual_mov_b32 v129, v130
	v_pk_fma_f32 v[132:133], v[130:131], v[92:93], v[132:133] op_sel_hi:[1,1,0] neg_lo:[0,0,1] neg_hi:[0,0,1]
	v_mul_f32_e32 v130, v131, v118
	s_delay_alu instid0(VALU_DEP_3) | instskip(NEXT) | instid1(VALU_DEP_2)
	v_pk_add_f32 v[54:55], v[54:55], v[134:135] neg_lo:[0,1] neg_hi:[0,1]
	v_pk_fma_f32 v[128:129], v[128:129], v[92:93], v[130:131] op_sel_hi:[1,1,0]
	s_delay_alu instid0(VALU_DEP_1) | instskip(SKIP_4) | instid1(VALU_DEP_1)
	v_mov_b32_e32 v133, v129
	ds_load_2addr_b64 v[128:131], v122 offset0:39 offset1:40
	v_pk_add_f32 v[56:57], v[56:57], v[132:133] neg_lo:[0,1] neg_hi:[0,1]
	s_wait_dscnt 0x0
	v_pk_mul_f32 v[132:133], v[128:129], v[120:121] op_sel:[0,1]
	v_pk_fma_f32 v[134:135], v[128:129], v[118:119], v[132:133] op_sel:[0,0,1] op_sel_hi:[1,1,0] neg_lo:[0,0,1] neg_hi:[0,0,1]
	v_pk_fma_f32 v[128:129], v[128:129], v[118:119], v[132:133] op_sel:[0,0,1] op_sel_hi:[1,0,0]
	s_delay_alu instid0(VALU_DEP_1) | instskip(SKIP_1) | instid1(VALU_DEP_1)
	v_mov_b32_e32 v135, v129
	v_pk_mul_f32 v[128:129], v[130:131], v[120:121] op_sel:[0,1]
	v_pk_fma_f32 v[132:133], v[130:131], v[118:119], v[128:129] op_sel:[0,0,1] op_sel_hi:[1,1,0] neg_lo:[0,0,1] neg_hi:[0,0,1]
	v_pk_fma_f32 v[128:129], v[130:131], v[118:119], v[128:129] op_sel:[0,0,1] op_sel_hi:[1,0,0]
	s_delay_alu instid0(VALU_DEP_1)
	v_mov_b32_e32 v133, v129
	ds_load_2addr_b64 v[128:131], v122 offset0:41 offset1:42
	v_pk_add_f32 v[12:13], v[12:13], v[134:135] neg_lo:[0,1] neg_hi:[0,1]
	v_pk_add_f32 v[52:53], v[52:53], v[132:133] neg_lo:[0,1] neg_hi:[0,1]
	s_wait_dscnt 0x0
	v_pk_mul_f32 v[132:133], v[128:129], v[120:121] op_sel:[0,1]
	s_delay_alu instid0(VALU_DEP_1) | instskip(SKIP_1) | instid1(VALU_DEP_1)
	v_pk_fma_f32 v[134:135], v[128:129], v[118:119], v[132:133] op_sel:[0,0,1] op_sel_hi:[1,1,0] neg_lo:[0,0,1] neg_hi:[0,0,1]
	v_pk_fma_f32 v[128:129], v[128:129], v[118:119], v[132:133] op_sel:[0,0,1] op_sel_hi:[1,0,0]
	v_mov_b32_e32 v135, v129
	v_pk_mul_f32 v[128:129], v[130:131], v[120:121] op_sel:[0,1]
	s_delay_alu instid0(VALU_DEP_1) | instskip(SKIP_1) | instid1(VALU_DEP_1)
	v_pk_fma_f32 v[132:133], v[130:131], v[118:119], v[128:129] op_sel:[0,0,1] op_sel_hi:[1,1,0] neg_lo:[0,0,1] neg_hi:[0,0,1]
	v_pk_fma_f32 v[128:129], v[130:131], v[118:119], v[128:129] op_sel:[0,0,1] op_sel_hi:[1,0,0]
	v_mov_b32_e32 v133, v129
	ds_load_2addr_b64 v[128:131], v122 offset0:43 offset1:44
	v_pk_add_f32 v[48:49], v[48:49], v[134:135] neg_lo:[0,1] neg_hi:[0,1]
	v_pk_add_f32 v[50:51], v[50:51], v[132:133] neg_lo:[0,1] neg_hi:[0,1]
	s_wait_dscnt 0x0
	v_dual_mul_f32 v132, v129, v121 :: v_dual_mul_f32 v134, v129, v118
	s_delay_alu instid0(VALU_DEP_1) | instskip(NEXT) | instid1(VALU_DEP_2)
	v_pk_fma_f32 v[132:133], v[128:129], v[92:93], v[132:133] op_sel_hi:[1,1,0] neg_lo:[0,0,1] neg_hi:[0,0,1]
	v_pk_fma_f32 v[128:129], v[128:129], v[92:93], v[134:135] op_sel:[1,0,0] op_sel_hi:[0,1,0]
	s_delay_alu instid0(VALU_DEP_1) | instskip(SKIP_1) | instid1(VALU_DEP_2)
	v_mov_b32_e32 v133, v129
	v_pk_mul_f32 v[128:129], v[130:131], v[120:121] op_sel:[0,1]
	v_pk_add_f32 v[10:11], v[10:11], v[132:133] neg_lo:[0,1] neg_hi:[0,1]
	s_delay_alu instid0(VALU_DEP_2) | instskip(SKIP_1) | instid1(VALU_DEP_1)
	v_pk_fma_f32 v[132:133], v[130:131], v[118:119], v[128:129] op_sel:[0,0,1] op_sel_hi:[1,1,0] neg_lo:[0,0,1] neg_hi:[0,0,1]
	v_pk_fma_f32 v[128:129], v[130:131], v[118:119], v[128:129] op_sel:[0,0,1] op_sel_hi:[1,0,0]
	v_mov_b32_e32 v133, v129
	ds_load_2addr_b64 v[128:131], v122 offset0:45 offset1:46
	v_pk_add_f32 v[46:47], v[46:47], v[132:133] neg_lo:[0,1] neg_hi:[0,1]
	s_wait_dscnt 0x0
	v_pk_mul_f32 v[132:133], v[128:129], v[120:121] op_sel:[0,1]
	s_delay_alu instid0(VALU_DEP_1) | instskip(SKIP_1) | instid1(VALU_DEP_1)
	v_pk_fma_f32 v[134:135], v[128:129], v[118:119], v[132:133] op_sel:[0,0,1] op_sel_hi:[1,1,0] neg_lo:[0,0,1] neg_hi:[0,0,1]
	v_pk_fma_f32 v[128:129], v[128:129], v[118:119], v[132:133] op_sel:[0,0,1] op_sel_hi:[1,0,0]
	v_mov_b32_e32 v135, v129
	v_pk_mul_f32 v[128:129], v[130:131], v[120:121] op_sel:[0,1]
	s_delay_alu instid0(VALU_DEP_2) | instskip(NEXT) | instid1(VALU_DEP_2)
	v_pk_add_f32 v[42:43], v[42:43], v[134:135] neg_lo:[0,1] neg_hi:[0,1]
	v_pk_fma_f32 v[132:133], v[130:131], v[118:119], v[128:129] op_sel:[0,0,1] op_sel_hi:[1,1,0] neg_lo:[0,0,1] neg_hi:[0,0,1]
	v_pk_fma_f32 v[128:129], v[130:131], v[118:119], v[128:129] op_sel:[0,0,1] op_sel_hi:[1,0,0]
	s_delay_alu instid0(VALU_DEP_1) | instskip(SKIP_4) | instid1(VALU_DEP_1)
	v_mov_b32_e32 v133, v129
	ds_load_2addr_b64 v[128:131], v122 offset0:47 offset1:48
	v_pk_add_f32 v[44:45], v[44:45], v[132:133] neg_lo:[0,1] neg_hi:[0,1]
	s_wait_dscnt 0x0
	v_pk_mul_f32 v[132:133], v[128:129], v[120:121] op_sel:[0,1]
	v_pk_fma_f32 v[134:135], v[128:129], v[118:119], v[132:133] op_sel:[0,0,1] op_sel_hi:[1,1,0] neg_lo:[0,0,1] neg_hi:[0,0,1]
	v_pk_fma_f32 v[128:129], v[128:129], v[118:119], v[132:133] op_sel:[0,0,1] op_sel_hi:[1,0,0]
	v_dual_mul_f32 v132, v131, v121 :: v_dual_mov_b32 v128, v131
	s_delay_alu instid0(VALU_DEP_2) | instskip(NEXT) | instid1(VALU_DEP_2)
	v_dual_mov_b32 v135, v129 :: v_dual_mov_b32 v129, v130
	v_pk_fma_f32 v[132:133], v[130:131], v[92:93], v[132:133] op_sel_hi:[1,1,0] neg_lo:[0,0,1] neg_hi:[0,0,1]
	v_mul_f32_e32 v130, v131, v118
	s_delay_alu instid0(VALU_DEP_3) | instskip(NEXT) | instid1(VALU_DEP_2)
	v_pk_add_f32 v[6:7], v[6:7], v[134:135] neg_lo:[0,1] neg_hi:[0,1]
	v_pk_fma_f32 v[128:129], v[128:129], v[92:93], v[130:131] op_sel_hi:[1,1,0]
	s_delay_alu instid0(VALU_DEP_1) | instskip(SKIP_4) | instid1(VALU_DEP_1)
	v_mov_b32_e32 v133, v129
	ds_load_2addr_b64 v[128:131], v122 offset0:49 offset1:50
	v_pk_add_f32 v[34:35], v[34:35], v[132:133] neg_lo:[0,1] neg_hi:[0,1]
	s_wait_dscnt 0x0
	v_pk_mul_f32 v[132:133], v[128:129], v[120:121] op_sel:[0,1]
	v_pk_fma_f32 v[134:135], v[128:129], v[118:119], v[132:133] op_sel:[0,0,1] op_sel_hi:[1,1,0] neg_lo:[0,0,1] neg_hi:[0,0,1]
	v_pk_fma_f32 v[128:129], v[128:129], v[118:119], v[132:133] op_sel:[0,0,1] op_sel_hi:[1,0,0]
	s_delay_alu instid0(VALU_DEP_1) | instskip(SKIP_1) | instid1(VALU_DEP_1)
	v_mov_b32_e32 v135, v129
	v_pk_mul_f32 v[128:129], v[130:131], v[120:121] op_sel:[0,1]
	v_pk_fma_f32 v[132:133], v[130:131], v[118:119], v[128:129] op_sel:[0,0,1] op_sel_hi:[1,1,0] neg_lo:[0,0,1] neg_hi:[0,0,1]
	v_pk_fma_f32 v[128:129], v[130:131], v[118:119], v[128:129] op_sel:[0,0,1] op_sel_hi:[1,0,0]
	s_delay_alu instid0(VALU_DEP_1)
	v_mov_b32_e32 v133, v129
	ds_load_2addr_b64 v[128:131], v122 offset0:51 offset1:52
	v_pk_add_f32 v[28:29], v[28:29], v[134:135] neg_lo:[0,1] neg_hi:[0,1]
	v_pk_add_f32 v[32:33], v[32:33], v[132:133] neg_lo:[0,1] neg_hi:[0,1]
	s_wait_dscnt 0x0
	v_pk_mul_f32 v[132:133], v[128:129], v[120:121] op_sel:[0,1]
	s_delay_alu instid0(VALU_DEP_1) | instskip(SKIP_1) | instid1(VALU_DEP_1)
	v_pk_fma_f32 v[134:135], v[128:129], v[118:119], v[132:133] op_sel:[0,0,1] op_sel_hi:[1,1,0] neg_lo:[0,0,1] neg_hi:[0,0,1]
	v_pk_fma_f32 v[128:129], v[128:129], v[118:119], v[132:133] op_sel:[0,0,1] op_sel_hi:[1,0,0]
	v_mov_b32_e32 v135, v129
	v_pk_mul_f32 v[128:129], v[130:131], v[120:121] op_sel:[0,1]
	s_delay_alu instid0(VALU_DEP_1) | instskip(SKIP_1) | instid1(VALU_DEP_1)
	v_pk_fma_f32 v[132:133], v[130:131], v[118:119], v[128:129] op_sel:[0,0,1] op_sel_hi:[1,1,0] neg_lo:[0,0,1] neg_hi:[0,0,1]
	v_pk_fma_f32 v[128:129], v[130:131], v[118:119], v[128:129] op_sel:[0,0,1] op_sel_hi:[1,0,0]
	v_mov_b32_e32 v133, v129
	ds_load_2addr_b64 v[128:131], v122 offset0:53 offset1:54
	v_pk_add_f32 v[8:9], v[8:9], v[134:135] neg_lo:[0,1] neg_hi:[0,1]
	v_pk_add_f32 v[26:27], v[26:27], v[132:133] neg_lo:[0,1] neg_hi:[0,1]
	s_wait_dscnt 0x0
	v_dual_mul_f32 v132, v129, v121 :: v_dual_mul_f32 v134, v129, v118
	s_delay_alu instid0(VALU_DEP_1) | instskip(NEXT) | instid1(VALU_DEP_2)
	v_pk_fma_f32 v[132:133], v[128:129], v[92:93], v[132:133] op_sel_hi:[1,1,0] neg_lo:[0,0,1] neg_hi:[0,0,1]
	v_pk_fma_f32 v[128:129], v[128:129], v[92:93], v[134:135] op_sel:[1,0,0] op_sel_hi:[0,1,0]
	s_delay_alu instid0(VALU_DEP_1) | instskip(SKIP_1) | instid1(VALU_DEP_2)
	v_mov_b32_e32 v133, v129
	v_pk_mul_f32 v[128:129], v[130:131], v[120:121] op_sel:[0,1]
	v_pk_add_f32 v[22:23], v[22:23], v[132:133] neg_lo:[0,1] neg_hi:[0,1]
	s_delay_alu instid0(VALU_DEP_2) | instskip(SKIP_1) | instid1(VALU_DEP_1)
	v_pk_fma_f32 v[132:133], v[130:131], v[118:119], v[128:129] op_sel:[0,0,1] op_sel_hi:[1,1,0] neg_lo:[0,0,1] neg_hi:[0,0,1]
	v_pk_fma_f32 v[128:129], v[130:131], v[118:119], v[128:129] op_sel:[0,0,1] op_sel_hi:[1,0,0]
	v_mov_b32_e32 v133, v129
	ds_load_b64 v[128:129], v122 offset:440
	v_pk_add_f32 v[20:21], v[20:21], v[132:133] neg_lo:[0,1] neg_hi:[0,1]
	s_wait_dscnt 0x0
	v_pk_mul_f32 v[120:121], v[128:129], v[120:121] op_sel:[0,1]
	s_delay_alu instid0(VALU_DEP_1) | instskip(SKIP_1) | instid1(VALU_DEP_1)
	v_pk_fma_f32 v[130:131], v[128:129], v[118:119], v[120:121] op_sel:[0,0,1] op_sel_hi:[1,1,0] neg_lo:[0,0,1] neg_hi:[0,0,1]
	v_pk_fma_f32 v[118:119], v[128:129], v[118:119], v[120:121] op_sel:[0,0,1] op_sel_hi:[1,0,0]
	v_mov_b32_e32 v131, v119
	s_delay_alu instid0(VALU_DEP_1)
	v_pk_add_f32 v[116:117], v[116:117], v[130:131] neg_lo:[0,1] neg_hi:[0,1]
.LBB110_314:
	s_or_b32 exec_lo, exec_lo, s0
	v_lshl_add_u32 v118, v126, 3, v122
	s_barrier_signal -1
	s_barrier_wait -1
	ds_store_b64 v118, v[36:37]
	s_wait_dscnt 0x0
	s_barrier_signal -1
	s_barrier_wait -1
	ds_load_b64 v[120:121], v122 offset:120
	v_mov_b32_e32 v118, 15
	s_cmp_lt_i32 s18, 17
	s_cbranch_scc1 .LBB110_317
; %bb.315:
	v_add3_u32 v119, v123, 0, 0x80
	v_mov_b32_e32 v118, 15
	s_mov_b32 s0, 16
.LBB110_316:                            ; =>This Inner Loop Header: Depth=1
	ds_load_b64 v[128:129], v119
	s_wait_dscnt 0x1
	v_cmp_gt_f32_e32 vcc_lo, 0, v120
	v_cndmask_b32_e64 v130, v120, -v120, vcc_lo
	v_cmp_gt_f32_e32 vcc_lo, 0, v121
	v_cndmask_b32_e64 v132, v121, -v121, vcc_lo
	s_wait_dscnt 0x0
	v_cmp_gt_f32_e32 vcc_lo, 0, v128
	v_cndmask_b32_e64 v131, v128, -v128, vcc_lo
	v_cmp_gt_f32_e32 vcc_lo, 0, v129
	v_cndmask_b32_e64 v133, v129, -v129, vcc_lo
	s_delay_alu instid0(VALU_DEP_1) | instskip(NEXT) | instid1(VALU_DEP_1)
	v_pk_add_f32 v[130:131], v[130:131], v[132:133]
	v_cmp_lt_f32_e32 vcc_lo, v130, v131
	v_dual_add_nc_u32 v119, 8, v119 :: v_dual_cndmask_b32 v121, v121, v129, vcc_lo
	v_cndmask_b32_e32 v120, v120, v128, vcc_lo
	v_cndmask_b32_e64 v118, v118, s0, vcc_lo
	s_add_co_i32 s0, s0, 1
	s_delay_alu instid0(SALU_CYCLE_1)
	s_cmp_lg_u32 s18, s0
	s_cbranch_scc1 .LBB110_316
.LBB110_317:
	s_wait_dscnt 0x0
	v_cmp_eq_f32_e32 vcc_lo, 0, v120
	v_cmp_eq_f32_e64 s0, 0, v121
	s_and_b32 s0, vcc_lo, s0
	s_delay_alu instid0(SALU_CYCLE_1) | instskip(NEXT) | instid1(SALU_CYCLE_1)
	s_and_saveexec_b32 s1, s0
	s_xor_b32 s0, exec_lo, s1
; %bb.318:
	v_cmp_ne_u32_e32 vcc_lo, 0, v124
	v_cndmask_b32_e32 v124, 16, v124, vcc_lo
; %bb.319:
	s_and_not1_saveexec_b32 s0, s0
	s_cbranch_execz .LBB110_325
; %bb.320:
	v_cmp_ngt_f32_e64 s1, |v120|, |v121|
	s_and_saveexec_b32 s12, s1
	s_delay_alu instid0(SALU_CYCLE_1)
	s_xor_b32 s1, exec_lo, s12
	s_cbranch_execz .LBB110_322
; %bb.321:
	v_div_scale_f32 v119, null, v121, v121, v120
	v_div_scale_f32 v129, vcc_lo, v120, v121, v120
	s_delay_alu instid0(VALU_DEP_2) | instskip(SKIP_1) | instid1(TRANS32_DEP_1)
	v_rcp_f32_e32 v127, v119
	v_nop
	v_fma_f32 v128, -v119, v127, 1.0
	s_delay_alu instid0(VALU_DEP_1) | instskip(NEXT) | instid1(VALU_DEP_1)
	v_fmac_f32_e32 v127, v128, v127
	v_mul_f32_e32 v128, v129, v127
	s_delay_alu instid0(VALU_DEP_1) | instskip(NEXT) | instid1(VALU_DEP_1)
	v_fma_f32 v130, -v119, v128, v129
	v_fmac_f32_e32 v128, v130, v127
	s_delay_alu instid0(VALU_DEP_1) | instskip(NEXT) | instid1(VALU_DEP_1)
	v_fma_f32 v119, -v119, v128, v129
	v_div_fmas_f32 v119, v119, v127, v128
	s_delay_alu instid0(VALU_DEP_1) | instskip(NEXT) | instid1(VALU_DEP_1)
	v_div_fixup_f32 v119, v119, v121, v120
	v_fmac_f32_e32 v121, v120, v119
	s_delay_alu instid0(VALU_DEP_1) | instskip(SKIP_1) | instid1(VALU_DEP_2)
	v_div_scale_f32 v120, null, v121, v121, 1.0
	v_div_scale_f32 v129, vcc_lo, 1.0, v121, 1.0
	v_rcp_f32_e32 v127, v120
	v_nop
	s_delay_alu instid0(TRANS32_DEP_1) | instskip(NEXT) | instid1(VALU_DEP_1)
	v_fma_f32 v128, -v120, v127, 1.0
	v_fmac_f32_e32 v127, v128, v127
	s_delay_alu instid0(VALU_DEP_1) | instskip(NEXT) | instid1(VALU_DEP_1)
	v_mul_f32_e32 v128, v129, v127
	v_fma_f32 v130, -v120, v128, v129
	s_delay_alu instid0(VALU_DEP_1) | instskip(NEXT) | instid1(VALU_DEP_1)
	v_fmac_f32_e32 v128, v130, v127
	v_fma_f32 v120, -v120, v128, v129
	s_delay_alu instid0(VALU_DEP_1) | instskip(NEXT) | instid1(VALU_DEP_1)
	v_div_fmas_f32 v120, v120, v127, v128
	v_div_fixup_f32 v121, v120, v121, 1.0
	s_delay_alu instid0(VALU_DEP_1)
	v_mul_f32_e32 v120, v119, v121
	v_xor_b32_e32 v121, 0x80000000, v121
.LBB110_322:
	s_and_not1_saveexec_b32 s1, s1
	s_cbranch_execz .LBB110_324
; %bb.323:
	s_delay_alu instid0(VALU_DEP_1) | instskip(SKIP_1) | instid1(VALU_DEP_2)
	v_div_scale_f32 v119, null, v120, v120, v121
	v_div_scale_f32 v129, vcc_lo, v121, v120, v121
	v_rcp_f32_e32 v127, v119
	v_nop
	s_delay_alu instid0(TRANS32_DEP_1) | instskip(NEXT) | instid1(VALU_DEP_1)
	v_fma_f32 v128, -v119, v127, 1.0
	v_fmac_f32_e32 v127, v128, v127
	s_delay_alu instid0(VALU_DEP_1) | instskip(NEXT) | instid1(VALU_DEP_1)
	v_mul_f32_e32 v128, v129, v127
	v_fma_f32 v130, -v119, v128, v129
	s_delay_alu instid0(VALU_DEP_1) | instskip(NEXT) | instid1(VALU_DEP_1)
	v_fmac_f32_e32 v128, v130, v127
	v_fma_f32 v119, -v119, v128, v129
	s_delay_alu instid0(VALU_DEP_1) | instskip(NEXT) | instid1(VALU_DEP_1)
	v_div_fmas_f32 v119, v119, v127, v128
	v_div_fixup_f32 v119, v119, v120, v121
	s_delay_alu instid0(VALU_DEP_1) | instskip(NEXT) | instid1(VALU_DEP_1)
	v_fmac_f32_e32 v120, v121, v119
	v_div_scale_f32 v121, null, v120, v120, 1.0
	s_delay_alu instid0(VALU_DEP_1) | instskip(SKIP_1) | instid1(TRANS32_DEP_1)
	v_rcp_f32_e32 v127, v121
	v_nop
	v_fma_f32 v128, -v121, v127, 1.0
	s_delay_alu instid0(VALU_DEP_1) | instskip(SKIP_1) | instid1(VALU_DEP_1)
	v_fmac_f32_e32 v127, v128, v127
	v_div_scale_f32 v128, vcc_lo, 1.0, v120, 1.0
	v_mul_f32_e32 v129, v128, v127
	s_delay_alu instid0(VALU_DEP_1) | instskip(NEXT) | instid1(VALU_DEP_1)
	v_fma_f32 v130, -v121, v129, v128
	v_fmac_f32_e32 v129, v130, v127
	s_delay_alu instid0(VALU_DEP_1) | instskip(NEXT) | instid1(VALU_DEP_1)
	v_fma_f32 v121, -v121, v129, v128
	v_div_fmas_f32 v121, v121, v127, v129
	s_delay_alu instid0(VALU_DEP_1) | instskip(NEXT) | instid1(VALU_DEP_1)
	v_div_fixup_f32 v120, v121, v120, 1.0
	v_mul_f32_e64 v121, v119, -v120
.LBB110_324:
	s_or_b32 exec_lo, exec_lo, s1
.LBB110_325:
	s_delay_alu instid0(SALU_CYCLE_1) | instskip(NEXT) | instid1(SALU_CYCLE_1)
	s_or_b32 exec_lo, exec_lo, s0
	s_mov_b32 s0, exec_lo
	v_cmpx_ne_u32_e64 v126, v118
	s_xor_b32 s0, exec_lo, s0
	s_cbranch_execz .LBB110_331
; %bb.326:
	s_mov_b32 s1, exec_lo
	v_cmpx_eq_u32_e32 15, v126
	s_cbranch_execz .LBB110_330
; %bb.327:
	v_cmp_ne_u32_e32 vcc_lo, 15, v118
	s_xor_b32 s12, s16, -1
	s_delay_alu instid0(SALU_CYCLE_1) | instskip(NEXT) | instid1(SALU_CYCLE_1)
	s_and_b32 s13, s12, vcc_lo
	s_and_saveexec_b32 s12, s13
	s_cbranch_execz .LBB110_329
; %bb.328:
	v_ashrrev_i32_e32 v119, 31, v118
	s_delay_alu instid0(VALU_DEP_1)
	v_lshl_add_u64 v[126:127], v[118:119], 2, v[4:5]
	s_clause 0x1
	global_load_b32 v119, v[126:127], off
	global_load_b32 v125, v[4:5], off offset:60
	s_wait_loadcnt 0x1
	global_store_b32 v[4:5], v119, off offset:60
	s_wait_loadcnt 0x0
	global_store_b32 v[126:127], v125, off
.LBB110_329:
	s_wait_xcnt 0x0
	s_or_b32 exec_lo, exec_lo, s12
	v_dual_mov_b32 v126, v118 :: v_dual_mov_b32 v125, v118
.LBB110_330:
	s_or_b32 exec_lo, exec_lo, s1
.LBB110_331:
	s_and_not1_saveexec_b32 s0, s0
	s_cbranch_execz .LBB110_333
; %bb.332:
	v_dual_mov_b32 v118, v88 :: v_dual_mov_b32 v119, v89
	v_dual_mov_b32 v126, v84 :: v_dual_mov_b32 v127, v85
	ds_store_2addr_b64 v122, v[118:119], v[126:127] offset0:16 offset1:17
	v_dual_mov_b32 v118, v86 :: v_dual_mov_b32 v119, v87
	v_dual_mov_b32 v126, v30 :: v_dual_mov_b32 v127, v31
	ds_store_2addr_b64 v122, v[118:119], v[126:127] offset0:18 offset1:19
	;; [unrolled: 3-line block ×19, first 2 shown]
	v_dual_mov_b32 v118, v20 :: v_dual_mov_b32 v119, v21
	v_mov_b32_e32 v126, 15
	ds_store_2addr_b64 v122, v[118:119], v[116:117] offset0:54 offset1:55
.LBB110_333:
	s_or_b32 exec_lo, exec_lo, s0
	s_delay_alu instid0(SALU_CYCLE_1)
	s_mov_b32 s0, exec_lo
	s_wait_storecnt_dscnt 0x0
	s_barrier_signal -1
	s_barrier_wait -1
	v_cmpx_lt_i32_e32 15, v126
	s_cbranch_execz .LBB110_335
; %bb.334:
	v_pk_mul_f32 v[128:129], v[120:121], v[36:37] op_sel:[1,1] op_sel_hi:[0,1]
	s_delay_alu instid0(VALU_DEP_1)
	v_pk_fma_f32 v[118:119], v[120:121], v[36:37], v[128:129] op_sel_hi:[1,0,1] neg_lo:[0,0,1] neg_hi:[0,0,1]
	v_pk_fma_f32 v[120:121], v[120:121], v[36:37], v[128:129] op_sel_hi:[1,0,1]
	ds_load_2addr_b64 v[128:131], v122 offset0:16 offset1:17
	v_dual_mov_b32 v36, v118 :: v_dual_mov_b32 v37, v121
	s_wait_dscnt 0x0
	v_pk_mul_f32 v[132:133], v[128:129], v[120:121] op_sel:[0,1]
	s_delay_alu instid0(VALU_DEP_1) | instskip(SKIP_1) | instid1(VALU_DEP_1)
	v_pk_fma_f32 v[134:135], v[128:129], v[118:119], v[132:133] op_sel:[0,0,1] op_sel_hi:[1,1,0] neg_lo:[0,0,1] neg_hi:[0,0,1]
	v_pk_fma_f32 v[128:129], v[128:129], v[118:119], v[132:133] op_sel:[0,0,1] op_sel_hi:[1,0,0]
	v_mov_b32_e32 v135, v129
	v_pk_mul_f32 v[128:129], v[130:131], v[120:121] op_sel:[0,1]
	s_delay_alu instid0(VALU_DEP_1) | instskip(SKIP_1) | instid1(VALU_DEP_1)
	v_pk_fma_f32 v[132:133], v[130:131], v[118:119], v[128:129] op_sel:[0,0,1] op_sel_hi:[1,1,0] neg_lo:[0,0,1] neg_hi:[0,0,1]
	v_pk_fma_f32 v[128:129], v[130:131], v[118:119], v[128:129] op_sel:[0,0,1] op_sel_hi:[1,0,0]
	v_mov_b32_e32 v133, v129
	ds_load_2addr_b64 v[128:131], v122 offset0:18 offset1:19
	v_pk_add_f32 v[88:89], v[88:89], v[134:135] neg_lo:[0,1] neg_hi:[0,1]
	v_pk_add_f32 v[84:85], v[84:85], v[132:133] neg_lo:[0,1] neg_hi:[0,1]
	s_wait_dscnt 0x0
	v_pk_mul_f32 v[132:133], v[128:129], v[120:121] op_sel:[0,1]
	s_delay_alu instid0(VALU_DEP_1) | instskip(SKIP_2) | instid1(VALU_DEP_2)
	v_pk_fma_f32 v[134:135], v[128:129], v[118:119], v[132:133] op_sel:[0,0,1] op_sel_hi:[1,1,0] neg_lo:[0,0,1] neg_hi:[0,0,1]
	v_pk_fma_f32 v[128:129], v[128:129], v[118:119], v[132:133] op_sel:[0,0,1] op_sel_hi:[1,0,0]
	v_dual_mul_f32 v132, v131, v121 :: v_dual_mov_b32 v128, v131
	v_dual_mov_b32 v135, v129 :: v_dual_mov_b32 v129, v130
	s_delay_alu instid0(VALU_DEP_2) | instskip(SKIP_1) | instid1(VALU_DEP_3)
	v_pk_fma_f32 v[132:133], v[130:131], v[36:37], v[132:133] op_sel_hi:[1,1,0] neg_lo:[0,0,1] neg_hi:[0,0,1]
	v_mul_f32_e32 v130, v131, v118
	v_pk_add_f32 v[86:87], v[86:87], v[134:135] neg_lo:[0,1] neg_hi:[0,1]
	s_delay_alu instid0(VALU_DEP_2) | instskip(NEXT) | instid1(VALU_DEP_1)
	v_pk_fma_f32 v[128:129], v[128:129], v[36:37], v[130:131] op_sel_hi:[1,1,0]
	v_mov_b32_e32 v133, v129
	ds_load_2addr_b64 v[128:131], v122 offset0:20 offset1:21
	v_pk_add_f32 v[30:31], v[30:31], v[132:133] neg_lo:[0,1] neg_hi:[0,1]
	s_wait_dscnt 0x0
	v_pk_mul_f32 v[132:133], v[128:129], v[120:121] op_sel:[0,1]
	s_delay_alu instid0(VALU_DEP_1) | instskip(SKIP_1) | instid1(VALU_DEP_1)
	v_pk_fma_f32 v[134:135], v[128:129], v[118:119], v[132:133] op_sel:[0,0,1] op_sel_hi:[1,1,0] neg_lo:[0,0,1] neg_hi:[0,0,1]
	v_pk_fma_f32 v[128:129], v[128:129], v[118:119], v[132:133] op_sel:[0,0,1] op_sel_hi:[1,0,0]
	v_mov_b32_e32 v135, v129
	v_pk_mul_f32 v[128:129], v[130:131], v[120:121] op_sel:[0,1]
	s_delay_alu instid0(VALU_DEP_1) | instskip(SKIP_1) | instid1(VALU_DEP_1)
	v_pk_fma_f32 v[132:133], v[130:131], v[118:119], v[128:129] op_sel:[0,0,1] op_sel_hi:[1,1,0] neg_lo:[0,0,1] neg_hi:[0,0,1]
	v_pk_fma_f32 v[128:129], v[130:131], v[118:119], v[128:129] op_sel:[0,0,1] op_sel_hi:[1,0,0]
	v_mov_b32_e32 v133, v129
	ds_load_2addr_b64 v[128:131], v122 offset0:22 offset1:23
	v_pk_add_f32 v[82:83], v[82:83], v[134:135] neg_lo:[0,1] neg_hi:[0,1]
	v_pk_add_f32 v[78:79], v[78:79], v[132:133] neg_lo:[0,1] neg_hi:[0,1]
	s_wait_dscnt 0x0
	v_pk_mul_f32 v[132:133], v[128:129], v[120:121] op_sel:[0,1]
	s_delay_alu instid0(VALU_DEP_1) | instskip(SKIP_1) | instid1(VALU_DEP_1)
	v_pk_fma_f32 v[134:135], v[128:129], v[118:119], v[132:133] op_sel:[0,0,1] op_sel_hi:[1,1,0] neg_lo:[0,0,1] neg_hi:[0,0,1]
	v_pk_fma_f32 v[128:129], v[128:129], v[118:119], v[132:133] op_sel:[0,0,1] op_sel_hi:[1,0,0]
	v_mov_b32_e32 v135, v129
	v_pk_mul_f32 v[128:129], v[130:131], v[120:121] op_sel:[0,1]
	s_delay_alu instid0(VALU_DEP_1) | instskip(SKIP_1) | instid1(VALU_DEP_1)
	v_pk_fma_f32 v[132:133], v[130:131], v[118:119], v[128:129] op_sel:[0,0,1] op_sel_hi:[1,1,0] neg_lo:[0,0,1] neg_hi:[0,0,1]
	v_pk_fma_f32 v[128:129], v[130:131], v[118:119], v[128:129] op_sel:[0,0,1] op_sel_hi:[1,0,0]
	v_mov_b32_e32 v133, v129
	ds_load_2addr_b64 v[128:131], v122 offset0:24 offset1:25
	v_pk_add_f32 v[80:81], v[80:81], v[134:135] neg_lo:[0,1] neg_hi:[0,1]
	v_pk_add_f32 v[24:25], v[24:25], v[132:133] neg_lo:[0,1] neg_hi:[0,1]
	s_wait_dscnt 0x0
	v_dual_mul_f32 v132, v129, v121 :: v_dual_mul_f32 v134, v129, v118
	s_delay_alu instid0(VALU_DEP_1) | instskip(NEXT) | instid1(VALU_DEP_2)
	v_pk_fma_f32 v[132:133], v[128:129], v[36:37], v[132:133] op_sel_hi:[1,1,0] neg_lo:[0,0,1] neg_hi:[0,0,1]
	v_pk_fma_f32 v[128:129], v[128:129], v[36:37], v[134:135] op_sel:[1,0,0] op_sel_hi:[0,1,0]
	s_delay_alu instid0(VALU_DEP_1) | instskip(SKIP_1) | instid1(VALU_DEP_2)
	v_mov_b32_e32 v133, v129
	v_pk_mul_f32 v[128:129], v[130:131], v[120:121] op_sel:[0,1]
	v_pk_add_f32 v[76:77], v[76:77], v[132:133] neg_lo:[0,1] neg_hi:[0,1]
	s_delay_alu instid0(VALU_DEP_2) | instskip(SKIP_1) | instid1(VALU_DEP_1)
	v_pk_fma_f32 v[132:133], v[130:131], v[118:119], v[128:129] op_sel:[0,0,1] op_sel_hi:[1,1,0] neg_lo:[0,0,1] neg_hi:[0,0,1]
	v_pk_fma_f32 v[128:129], v[130:131], v[118:119], v[128:129] op_sel:[0,0,1] op_sel_hi:[1,0,0]
	v_mov_b32_e32 v133, v129
	ds_load_2addr_b64 v[128:131], v122 offset0:26 offset1:27
	v_pk_add_f32 v[72:73], v[72:73], v[132:133] neg_lo:[0,1] neg_hi:[0,1]
	s_wait_dscnt 0x0
	v_pk_mul_f32 v[132:133], v[128:129], v[120:121] op_sel:[0,1]
	s_delay_alu instid0(VALU_DEP_1) | instskip(SKIP_1) | instid1(VALU_DEP_1)
	v_pk_fma_f32 v[134:135], v[128:129], v[118:119], v[132:133] op_sel:[0,0,1] op_sel_hi:[1,1,0] neg_lo:[0,0,1] neg_hi:[0,0,1]
	v_pk_fma_f32 v[128:129], v[128:129], v[118:119], v[132:133] op_sel:[0,0,1] op_sel_hi:[1,0,0]
	v_mov_b32_e32 v135, v129
	v_pk_mul_f32 v[128:129], v[130:131], v[120:121] op_sel:[0,1]
	s_delay_alu instid0(VALU_DEP_2) | instskip(NEXT) | instid1(VALU_DEP_2)
	v_pk_add_f32 v[74:75], v[74:75], v[134:135] neg_lo:[0,1] neg_hi:[0,1]
	v_pk_fma_f32 v[132:133], v[130:131], v[118:119], v[128:129] op_sel:[0,0,1] op_sel_hi:[1,1,0] neg_lo:[0,0,1] neg_hi:[0,0,1]
	v_pk_fma_f32 v[128:129], v[130:131], v[118:119], v[128:129] op_sel:[0,0,1] op_sel_hi:[1,0,0]
	s_delay_alu instid0(VALU_DEP_1) | instskip(SKIP_4) | instid1(VALU_DEP_1)
	v_mov_b32_e32 v133, v129
	ds_load_2addr_b64 v[128:131], v122 offset0:28 offset1:29
	v_pk_add_f32 v[18:19], v[18:19], v[132:133] neg_lo:[0,1] neg_hi:[0,1]
	s_wait_dscnt 0x0
	v_pk_mul_f32 v[132:133], v[128:129], v[120:121] op_sel:[0,1]
	v_pk_fma_f32 v[134:135], v[128:129], v[118:119], v[132:133] op_sel:[0,0,1] op_sel_hi:[1,1,0] neg_lo:[0,0,1] neg_hi:[0,0,1]
	v_pk_fma_f32 v[128:129], v[128:129], v[118:119], v[132:133] op_sel:[0,0,1] op_sel_hi:[1,0,0]
	v_dual_mul_f32 v132, v131, v121 :: v_dual_mov_b32 v128, v131
	s_delay_alu instid0(VALU_DEP_2) | instskip(NEXT) | instid1(VALU_DEP_2)
	v_dual_mov_b32 v135, v129 :: v_dual_mov_b32 v129, v130
	v_pk_fma_f32 v[132:133], v[130:131], v[36:37], v[132:133] op_sel_hi:[1,1,0] neg_lo:[0,0,1] neg_hi:[0,0,1]
	v_mul_f32_e32 v130, v131, v118
	s_delay_alu instid0(VALU_DEP_3) | instskip(NEXT) | instid1(VALU_DEP_2)
	v_pk_add_f32 v[70:71], v[70:71], v[134:135] neg_lo:[0,1] neg_hi:[0,1]
	v_pk_fma_f32 v[128:129], v[128:129], v[36:37], v[130:131] op_sel_hi:[1,1,0]
	s_delay_alu instid0(VALU_DEP_1) | instskip(SKIP_4) | instid1(VALU_DEP_1)
	v_mov_b32_e32 v133, v129
	ds_load_2addr_b64 v[128:131], v122 offset0:30 offset1:31
	v_pk_add_f32 v[66:67], v[66:67], v[132:133] neg_lo:[0,1] neg_hi:[0,1]
	s_wait_dscnt 0x0
	v_pk_mul_f32 v[132:133], v[128:129], v[120:121] op_sel:[0,1]
	v_pk_fma_f32 v[134:135], v[128:129], v[118:119], v[132:133] op_sel:[0,0,1] op_sel_hi:[1,1,0] neg_lo:[0,0,1] neg_hi:[0,0,1]
	v_pk_fma_f32 v[128:129], v[128:129], v[118:119], v[132:133] op_sel:[0,0,1] op_sel_hi:[1,0,0]
	s_delay_alu instid0(VALU_DEP_1) | instskip(SKIP_1) | instid1(VALU_DEP_1)
	v_mov_b32_e32 v135, v129
	v_pk_mul_f32 v[128:129], v[130:131], v[120:121] op_sel:[0,1]
	v_pk_fma_f32 v[132:133], v[130:131], v[118:119], v[128:129] op_sel:[0,0,1] op_sel_hi:[1,1,0] neg_lo:[0,0,1] neg_hi:[0,0,1]
	v_pk_fma_f32 v[128:129], v[130:131], v[118:119], v[128:129] op_sel:[0,0,1] op_sel_hi:[1,0,0]
	s_delay_alu instid0(VALU_DEP_1)
	v_mov_b32_e32 v133, v129
	ds_load_2addr_b64 v[128:131], v122 offset0:32 offset1:33
	v_pk_add_f32 v[68:69], v[68:69], v[134:135] neg_lo:[0,1] neg_hi:[0,1]
	v_pk_add_f32 v[16:17], v[16:17], v[132:133] neg_lo:[0,1] neg_hi:[0,1]
	s_wait_dscnt 0x0
	v_pk_mul_f32 v[132:133], v[128:129], v[120:121] op_sel:[0,1]
	s_delay_alu instid0(VALU_DEP_1) | instskip(SKIP_1) | instid1(VALU_DEP_1)
	v_pk_fma_f32 v[134:135], v[128:129], v[118:119], v[132:133] op_sel:[0,0,1] op_sel_hi:[1,1,0] neg_lo:[0,0,1] neg_hi:[0,0,1]
	v_pk_fma_f32 v[128:129], v[128:129], v[118:119], v[132:133] op_sel:[0,0,1] op_sel_hi:[1,0,0]
	v_mov_b32_e32 v135, v129
	v_pk_mul_f32 v[128:129], v[130:131], v[120:121] op_sel:[0,1]
	s_delay_alu instid0(VALU_DEP_1) | instskip(SKIP_1) | instid1(VALU_DEP_1)
	v_pk_fma_f32 v[132:133], v[130:131], v[118:119], v[128:129] op_sel:[0,0,1] op_sel_hi:[1,1,0] neg_lo:[0,0,1] neg_hi:[0,0,1]
	v_pk_fma_f32 v[128:129], v[130:131], v[118:119], v[128:129] op_sel:[0,0,1] op_sel_hi:[1,0,0]
	v_mov_b32_e32 v133, v129
	ds_load_2addr_b64 v[128:131], v122 offset0:34 offset1:35
	v_pk_add_f32 v[64:65], v[64:65], v[134:135] neg_lo:[0,1] neg_hi:[0,1]
	v_pk_add_f32 v[60:61], v[60:61], v[132:133] neg_lo:[0,1] neg_hi:[0,1]
	s_wait_dscnt 0x0
	v_dual_mul_f32 v132, v129, v121 :: v_dual_mul_f32 v134, v129, v118
	s_delay_alu instid0(VALU_DEP_1) | instskip(NEXT) | instid1(VALU_DEP_2)
	v_pk_fma_f32 v[132:133], v[128:129], v[36:37], v[132:133] op_sel_hi:[1,1,0] neg_lo:[0,0,1] neg_hi:[0,0,1]
	v_pk_fma_f32 v[128:129], v[128:129], v[36:37], v[134:135] op_sel:[1,0,0] op_sel_hi:[0,1,0]
	s_delay_alu instid0(VALU_DEP_1) | instskip(SKIP_1) | instid1(VALU_DEP_2)
	v_mov_b32_e32 v133, v129
	v_pk_mul_f32 v[128:129], v[130:131], v[120:121] op_sel:[0,1]
	v_pk_add_f32 v[62:63], v[62:63], v[132:133] neg_lo:[0,1] neg_hi:[0,1]
	s_delay_alu instid0(VALU_DEP_2) | instskip(SKIP_1) | instid1(VALU_DEP_1)
	v_pk_fma_f32 v[132:133], v[130:131], v[118:119], v[128:129] op_sel:[0,0,1] op_sel_hi:[1,1,0] neg_lo:[0,0,1] neg_hi:[0,0,1]
	v_pk_fma_f32 v[128:129], v[130:131], v[118:119], v[128:129] op_sel:[0,0,1] op_sel_hi:[1,0,0]
	v_mov_b32_e32 v133, v129
	ds_load_2addr_b64 v[128:131], v122 offset0:36 offset1:37
	v_pk_add_f32 v[14:15], v[14:15], v[132:133] neg_lo:[0,1] neg_hi:[0,1]
	s_wait_dscnt 0x0
	v_pk_mul_f32 v[132:133], v[128:129], v[120:121] op_sel:[0,1]
	s_delay_alu instid0(VALU_DEP_1) | instskip(SKIP_1) | instid1(VALU_DEP_1)
	v_pk_fma_f32 v[134:135], v[128:129], v[118:119], v[132:133] op_sel:[0,0,1] op_sel_hi:[1,1,0] neg_lo:[0,0,1] neg_hi:[0,0,1]
	v_pk_fma_f32 v[128:129], v[128:129], v[118:119], v[132:133] op_sel:[0,0,1] op_sel_hi:[1,0,0]
	v_mov_b32_e32 v135, v129
	v_pk_mul_f32 v[128:129], v[130:131], v[120:121] op_sel:[0,1]
	s_delay_alu instid0(VALU_DEP_2) | instskip(NEXT) | instid1(VALU_DEP_2)
	v_pk_add_f32 v[58:59], v[58:59], v[134:135] neg_lo:[0,1] neg_hi:[0,1]
	v_pk_fma_f32 v[132:133], v[130:131], v[118:119], v[128:129] op_sel:[0,0,1] op_sel_hi:[1,1,0] neg_lo:[0,0,1] neg_hi:[0,0,1]
	v_pk_fma_f32 v[128:129], v[130:131], v[118:119], v[128:129] op_sel:[0,0,1] op_sel_hi:[1,0,0]
	s_delay_alu instid0(VALU_DEP_1) | instskip(SKIP_4) | instid1(VALU_DEP_1)
	v_mov_b32_e32 v133, v129
	ds_load_2addr_b64 v[128:131], v122 offset0:38 offset1:39
	v_pk_add_f32 v[54:55], v[54:55], v[132:133] neg_lo:[0,1] neg_hi:[0,1]
	s_wait_dscnt 0x0
	v_pk_mul_f32 v[132:133], v[128:129], v[120:121] op_sel:[0,1]
	v_pk_fma_f32 v[134:135], v[128:129], v[118:119], v[132:133] op_sel:[0,0,1] op_sel_hi:[1,1,0] neg_lo:[0,0,1] neg_hi:[0,0,1]
	v_pk_fma_f32 v[128:129], v[128:129], v[118:119], v[132:133] op_sel:[0,0,1] op_sel_hi:[1,0,0]
	v_dual_mul_f32 v132, v131, v121 :: v_dual_mov_b32 v128, v131
	s_delay_alu instid0(VALU_DEP_2) | instskip(NEXT) | instid1(VALU_DEP_2)
	v_dual_mov_b32 v135, v129 :: v_dual_mov_b32 v129, v130
	v_pk_fma_f32 v[132:133], v[130:131], v[36:37], v[132:133] op_sel_hi:[1,1,0] neg_lo:[0,0,1] neg_hi:[0,0,1]
	v_mul_f32_e32 v130, v131, v118
	s_delay_alu instid0(VALU_DEP_3) | instskip(NEXT) | instid1(VALU_DEP_2)
	v_pk_add_f32 v[56:57], v[56:57], v[134:135] neg_lo:[0,1] neg_hi:[0,1]
	v_pk_fma_f32 v[128:129], v[128:129], v[36:37], v[130:131] op_sel_hi:[1,1,0]
	s_delay_alu instid0(VALU_DEP_1) | instskip(SKIP_4) | instid1(VALU_DEP_1)
	v_mov_b32_e32 v133, v129
	ds_load_2addr_b64 v[128:131], v122 offset0:40 offset1:41
	v_pk_add_f32 v[12:13], v[12:13], v[132:133] neg_lo:[0,1] neg_hi:[0,1]
	s_wait_dscnt 0x0
	v_pk_mul_f32 v[132:133], v[128:129], v[120:121] op_sel:[0,1]
	v_pk_fma_f32 v[134:135], v[128:129], v[118:119], v[132:133] op_sel:[0,0,1] op_sel_hi:[1,1,0] neg_lo:[0,0,1] neg_hi:[0,0,1]
	v_pk_fma_f32 v[128:129], v[128:129], v[118:119], v[132:133] op_sel:[0,0,1] op_sel_hi:[1,0,0]
	s_delay_alu instid0(VALU_DEP_1) | instskip(SKIP_1) | instid1(VALU_DEP_1)
	v_mov_b32_e32 v135, v129
	v_pk_mul_f32 v[128:129], v[130:131], v[120:121] op_sel:[0,1]
	v_pk_fma_f32 v[132:133], v[130:131], v[118:119], v[128:129] op_sel:[0,0,1] op_sel_hi:[1,1,0] neg_lo:[0,0,1] neg_hi:[0,0,1]
	v_pk_fma_f32 v[128:129], v[130:131], v[118:119], v[128:129] op_sel:[0,0,1] op_sel_hi:[1,0,0]
	s_delay_alu instid0(VALU_DEP_1)
	v_mov_b32_e32 v133, v129
	ds_load_2addr_b64 v[128:131], v122 offset0:42 offset1:43
	v_pk_add_f32 v[52:53], v[52:53], v[134:135] neg_lo:[0,1] neg_hi:[0,1]
	v_pk_add_f32 v[48:49], v[48:49], v[132:133] neg_lo:[0,1] neg_hi:[0,1]
	s_wait_dscnt 0x0
	v_pk_mul_f32 v[132:133], v[128:129], v[120:121] op_sel:[0,1]
	s_delay_alu instid0(VALU_DEP_1) | instskip(SKIP_1) | instid1(VALU_DEP_1)
	v_pk_fma_f32 v[134:135], v[128:129], v[118:119], v[132:133] op_sel:[0,0,1] op_sel_hi:[1,1,0] neg_lo:[0,0,1] neg_hi:[0,0,1]
	v_pk_fma_f32 v[128:129], v[128:129], v[118:119], v[132:133] op_sel:[0,0,1] op_sel_hi:[1,0,0]
	v_mov_b32_e32 v135, v129
	v_pk_mul_f32 v[128:129], v[130:131], v[120:121] op_sel:[0,1]
	s_delay_alu instid0(VALU_DEP_1) | instskip(SKIP_1) | instid1(VALU_DEP_1)
	v_pk_fma_f32 v[132:133], v[130:131], v[118:119], v[128:129] op_sel:[0,0,1] op_sel_hi:[1,1,0] neg_lo:[0,0,1] neg_hi:[0,0,1]
	v_pk_fma_f32 v[128:129], v[130:131], v[118:119], v[128:129] op_sel:[0,0,1] op_sel_hi:[1,0,0]
	v_mov_b32_e32 v133, v129
	ds_load_2addr_b64 v[128:131], v122 offset0:44 offset1:45
	v_pk_add_f32 v[50:51], v[50:51], v[134:135] neg_lo:[0,1] neg_hi:[0,1]
	v_pk_add_f32 v[10:11], v[10:11], v[132:133] neg_lo:[0,1] neg_hi:[0,1]
	s_wait_dscnt 0x0
	v_dual_mul_f32 v132, v129, v121 :: v_dual_mul_f32 v134, v129, v118
	s_delay_alu instid0(VALU_DEP_1) | instskip(NEXT) | instid1(VALU_DEP_2)
	v_pk_fma_f32 v[132:133], v[128:129], v[36:37], v[132:133] op_sel_hi:[1,1,0] neg_lo:[0,0,1] neg_hi:[0,0,1]
	v_pk_fma_f32 v[128:129], v[128:129], v[36:37], v[134:135] op_sel:[1,0,0] op_sel_hi:[0,1,0]
	s_delay_alu instid0(VALU_DEP_1) | instskip(SKIP_1) | instid1(VALU_DEP_2)
	v_mov_b32_e32 v133, v129
	v_pk_mul_f32 v[128:129], v[130:131], v[120:121] op_sel:[0,1]
	v_pk_add_f32 v[46:47], v[46:47], v[132:133] neg_lo:[0,1] neg_hi:[0,1]
	s_delay_alu instid0(VALU_DEP_2) | instskip(SKIP_1) | instid1(VALU_DEP_1)
	v_pk_fma_f32 v[132:133], v[130:131], v[118:119], v[128:129] op_sel:[0,0,1] op_sel_hi:[1,1,0] neg_lo:[0,0,1] neg_hi:[0,0,1]
	v_pk_fma_f32 v[128:129], v[130:131], v[118:119], v[128:129] op_sel:[0,0,1] op_sel_hi:[1,0,0]
	v_mov_b32_e32 v133, v129
	ds_load_2addr_b64 v[128:131], v122 offset0:46 offset1:47
	v_pk_add_f32 v[42:43], v[42:43], v[132:133] neg_lo:[0,1] neg_hi:[0,1]
	s_wait_dscnt 0x0
	v_pk_mul_f32 v[132:133], v[128:129], v[120:121] op_sel:[0,1]
	s_delay_alu instid0(VALU_DEP_1) | instskip(SKIP_1) | instid1(VALU_DEP_1)
	v_pk_fma_f32 v[134:135], v[128:129], v[118:119], v[132:133] op_sel:[0,0,1] op_sel_hi:[1,1,0] neg_lo:[0,0,1] neg_hi:[0,0,1]
	v_pk_fma_f32 v[128:129], v[128:129], v[118:119], v[132:133] op_sel:[0,0,1] op_sel_hi:[1,0,0]
	v_mov_b32_e32 v135, v129
	v_pk_mul_f32 v[128:129], v[130:131], v[120:121] op_sel:[0,1]
	s_delay_alu instid0(VALU_DEP_2) | instskip(NEXT) | instid1(VALU_DEP_2)
	v_pk_add_f32 v[44:45], v[44:45], v[134:135] neg_lo:[0,1] neg_hi:[0,1]
	v_pk_fma_f32 v[132:133], v[130:131], v[118:119], v[128:129] op_sel:[0,0,1] op_sel_hi:[1,1,0] neg_lo:[0,0,1] neg_hi:[0,0,1]
	v_pk_fma_f32 v[128:129], v[130:131], v[118:119], v[128:129] op_sel:[0,0,1] op_sel_hi:[1,0,0]
	s_delay_alu instid0(VALU_DEP_1) | instskip(SKIP_4) | instid1(VALU_DEP_1)
	v_mov_b32_e32 v133, v129
	ds_load_2addr_b64 v[128:131], v122 offset0:48 offset1:49
	v_pk_add_f32 v[6:7], v[6:7], v[132:133] neg_lo:[0,1] neg_hi:[0,1]
	s_wait_dscnt 0x0
	v_pk_mul_f32 v[132:133], v[128:129], v[120:121] op_sel:[0,1]
	v_pk_fma_f32 v[134:135], v[128:129], v[118:119], v[132:133] op_sel:[0,0,1] op_sel_hi:[1,1,0] neg_lo:[0,0,1] neg_hi:[0,0,1]
	v_pk_fma_f32 v[128:129], v[128:129], v[118:119], v[132:133] op_sel:[0,0,1] op_sel_hi:[1,0,0]
	v_dual_mul_f32 v132, v131, v121 :: v_dual_mov_b32 v128, v131
	s_delay_alu instid0(VALU_DEP_2) | instskip(NEXT) | instid1(VALU_DEP_2)
	v_dual_mov_b32 v135, v129 :: v_dual_mov_b32 v129, v130
	v_pk_fma_f32 v[132:133], v[130:131], v[36:37], v[132:133] op_sel_hi:[1,1,0] neg_lo:[0,0,1] neg_hi:[0,0,1]
	v_mul_f32_e32 v130, v131, v118
	s_delay_alu instid0(VALU_DEP_3) | instskip(NEXT) | instid1(VALU_DEP_2)
	v_pk_add_f32 v[34:35], v[34:35], v[134:135] neg_lo:[0,1] neg_hi:[0,1]
	v_pk_fma_f32 v[128:129], v[128:129], v[36:37], v[130:131] op_sel_hi:[1,1,0]
	s_delay_alu instid0(VALU_DEP_1) | instskip(SKIP_4) | instid1(VALU_DEP_1)
	v_mov_b32_e32 v133, v129
	ds_load_2addr_b64 v[128:131], v122 offset0:50 offset1:51
	v_pk_add_f32 v[28:29], v[28:29], v[132:133] neg_lo:[0,1] neg_hi:[0,1]
	s_wait_dscnt 0x0
	v_pk_mul_f32 v[132:133], v[128:129], v[120:121] op_sel:[0,1]
	v_pk_fma_f32 v[134:135], v[128:129], v[118:119], v[132:133] op_sel:[0,0,1] op_sel_hi:[1,1,0] neg_lo:[0,0,1] neg_hi:[0,0,1]
	v_pk_fma_f32 v[128:129], v[128:129], v[118:119], v[132:133] op_sel:[0,0,1] op_sel_hi:[1,0,0]
	s_delay_alu instid0(VALU_DEP_1) | instskip(SKIP_1) | instid1(VALU_DEP_1)
	v_mov_b32_e32 v135, v129
	v_pk_mul_f32 v[128:129], v[130:131], v[120:121] op_sel:[0,1]
	v_pk_fma_f32 v[132:133], v[130:131], v[118:119], v[128:129] op_sel:[0,0,1] op_sel_hi:[1,1,0] neg_lo:[0,0,1] neg_hi:[0,0,1]
	v_pk_fma_f32 v[128:129], v[130:131], v[118:119], v[128:129] op_sel:[0,0,1] op_sel_hi:[1,0,0]
	s_delay_alu instid0(VALU_DEP_1)
	v_mov_b32_e32 v133, v129
	ds_load_2addr_b64 v[128:131], v122 offset0:52 offset1:53
	v_pk_add_f32 v[32:33], v[32:33], v[134:135] neg_lo:[0,1] neg_hi:[0,1]
	v_pk_add_f32 v[8:9], v[8:9], v[132:133] neg_lo:[0,1] neg_hi:[0,1]
	s_wait_dscnt 0x0
	v_pk_mul_f32 v[132:133], v[128:129], v[120:121] op_sel:[0,1]
	s_delay_alu instid0(VALU_DEP_1) | instskip(SKIP_1) | instid1(VALU_DEP_1)
	v_pk_fma_f32 v[134:135], v[128:129], v[118:119], v[132:133] op_sel:[0,0,1] op_sel_hi:[1,1,0] neg_lo:[0,0,1] neg_hi:[0,0,1]
	v_pk_fma_f32 v[128:129], v[128:129], v[118:119], v[132:133] op_sel:[0,0,1] op_sel_hi:[1,0,0]
	v_mov_b32_e32 v135, v129
	v_pk_mul_f32 v[128:129], v[130:131], v[120:121] op_sel:[0,1]
	s_delay_alu instid0(VALU_DEP_1) | instskip(SKIP_1) | instid1(VALU_DEP_1)
	v_pk_fma_f32 v[132:133], v[130:131], v[118:119], v[128:129] op_sel:[0,0,1] op_sel_hi:[1,1,0] neg_lo:[0,0,1] neg_hi:[0,0,1]
	v_pk_fma_f32 v[128:129], v[130:131], v[118:119], v[128:129] op_sel:[0,0,1] op_sel_hi:[1,0,0]
	v_mov_b32_e32 v133, v129
	ds_load_2addr_b64 v[128:131], v122 offset0:54 offset1:55
	v_pk_add_f32 v[26:27], v[26:27], v[134:135] neg_lo:[0,1] neg_hi:[0,1]
	v_pk_add_f32 v[22:23], v[22:23], v[132:133] neg_lo:[0,1] neg_hi:[0,1]
	s_wait_dscnt 0x0
	v_dual_mul_f32 v132, v129, v121 :: v_dual_mul_f32 v134, v129, v118
	v_pk_mul_f32 v[120:121], v[130:131], v[120:121] op_sel:[0,1]
	s_delay_alu instid0(VALU_DEP_2) | instskip(NEXT) | instid1(VALU_DEP_3)
	v_pk_fma_f32 v[132:133], v[128:129], v[36:37], v[132:133] op_sel_hi:[1,1,0] neg_lo:[0,0,1] neg_hi:[0,0,1]
	v_pk_fma_f32 v[128:129], v[128:129], v[36:37], v[134:135] op_sel:[1,0,0] op_sel_hi:[0,1,0]
	s_delay_alu instid0(VALU_DEP_1) | instskip(NEXT) | instid1(VALU_DEP_4)
	v_mov_b32_e32 v133, v129
	v_pk_fma_f32 v[128:129], v[130:131], v[118:119], v[120:121] op_sel:[0,0,1] op_sel_hi:[1,1,0] neg_lo:[0,0,1] neg_hi:[0,0,1]
	v_pk_fma_f32 v[118:119], v[130:131], v[118:119], v[120:121] op_sel:[0,0,1] op_sel_hi:[1,0,0]
	s_delay_alu instid0(VALU_DEP_1) | instskip(NEXT) | instid1(VALU_DEP_4)
	v_mov_b32_e32 v129, v119
	v_pk_add_f32 v[20:21], v[20:21], v[132:133] neg_lo:[0,1] neg_hi:[0,1]
	s_delay_alu instid0(VALU_DEP_2)
	v_pk_add_f32 v[116:117], v[116:117], v[128:129] neg_lo:[0,1] neg_hi:[0,1]
.LBB110_335:
	s_or_b32 exec_lo, exec_lo, s0
	v_lshl_add_u32 v118, v126, 3, v122
	s_barrier_signal -1
	s_barrier_wait -1
	ds_store_b64 v118, v[88:89]
	s_wait_dscnt 0x0
	s_barrier_signal -1
	s_barrier_wait -1
	ds_load_b64 v[120:121], v122 offset:128
	v_mov_b32_e32 v118, 16
	s_cmp_lt_i32 s18, 18
	s_cbranch_scc1 .LBB110_338
; %bb.336:
	v_add3_u32 v119, v123, 0, 0x88
	v_mov_b32_e32 v118, 16
	s_mov_b32 s0, 17
.LBB110_337:                            ; =>This Inner Loop Header: Depth=1
	ds_load_b64 v[128:129], v119
	s_wait_dscnt 0x1
	v_cmp_gt_f32_e32 vcc_lo, 0, v120
	v_cndmask_b32_e64 v130, v120, -v120, vcc_lo
	v_cmp_gt_f32_e32 vcc_lo, 0, v121
	v_cndmask_b32_e64 v132, v121, -v121, vcc_lo
	s_wait_dscnt 0x0
	v_cmp_gt_f32_e32 vcc_lo, 0, v128
	v_cndmask_b32_e64 v131, v128, -v128, vcc_lo
	v_cmp_gt_f32_e32 vcc_lo, 0, v129
	v_cndmask_b32_e64 v133, v129, -v129, vcc_lo
	s_delay_alu instid0(VALU_DEP_1) | instskip(NEXT) | instid1(VALU_DEP_1)
	v_pk_add_f32 v[130:131], v[130:131], v[132:133]
	v_cmp_lt_f32_e32 vcc_lo, v130, v131
	v_dual_add_nc_u32 v119, 8, v119 :: v_dual_cndmask_b32 v121, v121, v129, vcc_lo
	v_cndmask_b32_e32 v120, v120, v128, vcc_lo
	v_cndmask_b32_e64 v118, v118, s0, vcc_lo
	s_add_co_i32 s0, s0, 1
	s_delay_alu instid0(SALU_CYCLE_1)
	s_cmp_lg_u32 s18, s0
	s_cbranch_scc1 .LBB110_337
.LBB110_338:
	s_wait_dscnt 0x0
	v_cmp_eq_f32_e32 vcc_lo, 0, v120
	v_cmp_eq_f32_e64 s0, 0, v121
	s_and_b32 s0, vcc_lo, s0
	s_delay_alu instid0(SALU_CYCLE_1) | instskip(NEXT) | instid1(SALU_CYCLE_1)
	s_and_saveexec_b32 s1, s0
	s_xor_b32 s0, exec_lo, s1
; %bb.339:
	v_cmp_ne_u32_e32 vcc_lo, 0, v124
	v_cndmask_b32_e32 v124, 17, v124, vcc_lo
; %bb.340:
	s_and_not1_saveexec_b32 s0, s0
	s_cbranch_execz .LBB110_346
; %bb.341:
	v_cmp_ngt_f32_e64 s1, |v120|, |v121|
	s_and_saveexec_b32 s12, s1
	s_delay_alu instid0(SALU_CYCLE_1)
	s_xor_b32 s1, exec_lo, s12
	s_cbranch_execz .LBB110_343
; %bb.342:
	v_div_scale_f32 v119, null, v121, v121, v120
	v_div_scale_f32 v129, vcc_lo, v120, v121, v120
	s_delay_alu instid0(VALU_DEP_2) | instskip(SKIP_1) | instid1(TRANS32_DEP_1)
	v_rcp_f32_e32 v127, v119
	v_nop
	v_fma_f32 v128, -v119, v127, 1.0
	s_delay_alu instid0(VALU_DEP_1) | instskip(NEXT) | instid1(VALU_DEP_1)
	v_fmac_f32_e32 v127, v128, v127
	v_mul_f32_e32 v128, v129, v127
	s_delay_alu instid0(VALU_DEP_1) | instskip(NEXT) | instid1(VALU_DEP_1)
	v_fma_f32 v130, -v119, v128, v129
	v_fmac_f32_e32 v128, v130, v127
	s_delay_alu instid0(VALU_DEP_1) | instskip(NEXT) | instid1(VALU_DEP_1)
	v_fma_f32 v119, -v119, v128, v129
	v_div_fmas_f32 v119, v119, v127, v128
	s_delay_alu instid0(VALU_DEP_1) | instskip(NEXT) | instid1(VALU_DEP_1)
	v_div_fixup_f32 v119, v119, v121, v120
	v_fmac_f32_e32 v121, v120, v119
	s_delay_alu instid0(VALU_DEP_1) | instskip(SKIP_1) | instid1(VALU_DEP_2)
	v_div_scale_f32 v120, null, v121, v121, 1.0
	v_div_scale_f32 v129, vcc_lo, 1.0, v121, 1.0
	v_rcp_f32_e32 v127, v120
	v_nop
	s_delay_alu instid0(TRANS32_DEP_1) | instskip(NEXT) | instid1(VALU_DEP_1)
	v_fma_f32 v128, -v120, v127, 1.0
	v_fmac_f32_e32 v127, v128, v127
	s_delay_alu instid0(VALU_DEP_1) | instskip(NEXT) | instid1(VALU_DEP_1)
	v_mul_f32_e32 v128, v129, v127
	v_fma_f32 v130, -v120, v128, v129
	s_delay_alu instid0(VALU_DEP_1) | instskip(NEXT) | instid1(VALU_DEP_1)
	v_fmac_f32_e32 v128, v130, v127
	v_fma_f32 v120, -v120, v128, v129
	s_delay_alu instid0(VALU_DEP_1) | instskip(NEXT) | instid1(VALU_DEP_1)
	v_div_fmas_f32 v120, v120, v127, v128
	v_div_fixup_f32 v121, v120, v121, 1.0
	s_delay_alu instid0(VALU_DEP_1)
	v_mul_f32_e32 v120, v119, v121
	v_xor_b32_e32 v121, 0x80000000, v121
.LBB110_343:
	s_and_not1_saveexec_b32 s1, s1
	s_cbranch_execz .LBB110_345
; %bb.344:
	s_delay_alu instid0(VALU_DEP_1) | instskip(SKIP_1) | instid1(VALU_DEP_2)
	v_div_scale_f32 v119, null, v120, v120, v121
	v_div_scale_f32 v129, vcc_lo, v121, v120, v121
	v_rcp_f32_e32 v127, v119
	v_nop
	s_delay_alu instid0(TRANS32_DEP_1) | instskip(NEXT) | instid1(VALU_DEP_1)
	v_fma_f32 v128, -v119, v127, 1.0
	v_fmac_f32_e32 v127, v128, v127
	s_delay_alu instid0(VALU_DEP_1) | instskip(NEXT) | instid1(VALU_DEP_1)
	v_mul_f32_e32 v128, v129, v127
	v_fma_f32 v130, -v119, v128, v129
	s_delay_alu instid0(VALU_DEP_1) | instskip(NEXT) | instid1(VALU_DEP_1)
	v_fmac_f32_e32 v128, v130, v127
	v_fma_f32 v119, -v119, v128, v129
	s_delay_alu instid0(VALU_DEP_1) | instskip(NEXT) | instid1(VALU_DEP_1)
	v_div_fmas_f32 v119, v119, v127, v128
	v_div_fixup_f32 v119, v119, v120, v121
	s_delay_alu instid0(VALU_DEP_1) | instskip(NEXT) | instid1(VALU_DEP_1)
	v_fmac_f32_e32 v120, v121, v119
	v_div_scale_f32 v121, null, v120, v120, 1.0
	s_delay_alu instid0(VALU_DEP_1) | instskip(SKIP_1) | instid1(TRANS32_DEP_1)
	v_rcp_f32_e32 v127, v121
	v_nop
	v_fma_f32 v128, -v121, v127, 1.0
	s_delay_alu instid0(VALU_DEP_1) | instskip(SKIP_1) | instid1(VALU_DEP_1)
	v_fmac_f32_e32 v127, v128, v127
	v_div_scale_f32 v128, vcc_lo, 1.0, v120, 1.0
	v_mul_f32_e32 v129, v128, v127
	s_delay_alu instid0(VALU_DEP_1) | instskip(NEXT) | instid1(VALU_DEP_1)
	v_fma_f32 v130, -v121, v129, v128
	v_fmac_f32_e32 v129, v130, v127
	s_delay_alu instid0(VALU_DEP_1) | instskip(NEXT) | instid1(VALU_DEP_1)
	v_fma_f32 v121, -v121, v129, v128
	v_div_fmas_f32 v121, v121, v127, v129
	s_delay_alu instid0(VALU_DEP_1) | instskip(NEXT) | instid1(VALU_DEP_1)
	v_div_fixup_f32 v120, v121, v120, 1.0
	v_mul_f32_e64 v121, v119, -v120
.LBB110_345:
	s_or_b32 exec_lo, exec_lo, s1
.LBB110_346:
	s_delay_alu instid0(SALU_CYCLE_1) | instskip(NEXT) | instid1(SALU_CYCLE_1)
	s_or_b32 exec_lo, exec_lo, s0
	s_mov_b32 s0, exec_lo
	v_cmpx_ne_u32_e64 v126, v118
	s_xor_b32 s0, exec_lo, s0
	s_cbranch_execz .LBB110_352
; %bb.347:
	s_mov_b32 s1, exec_lo
	v_cmpx_eq_u32_e32 16, v126
	s_cbranch_execz .LBB110_351
; %bb.348:
	v_cmp_ne_u32_e32 vcc_lo, 16, v118
	s_xor_b32 s12, s16, -1
	s_delay_alu instid0(SALU_CYCLE_1) | instskip(NEXT) | instid1(SALU_CYCLE_1)
	s_and_b32 s13, s12, vcc_lo
	s_and_saveexec_b32 s12, s13
	s_cbranch_execz .LBB110_350
; %bb.349:
	v_ashrrev_i32_e32 v119, 31, v118
	s_delay_alu instid0(VALU_DEP_1)
	v_lshl_add_u64 v[126:127], v[118:119], 2, v[4:5]
	s_clause 0x1
	global_load_b32 v119, v[126:127], off
	global_load_b32 v125, v[4:5], off offset:64
	s_wait_loadcnt 0x1
	global_store_b32 v[4:5], v119, off offset:64
	s_wait_loadcnt 0x0
	global_store_b32 v[126:127], v125, off
.LBB110_350:
	s_wait_xcnt 0x0
	s_or_b32 exec_lo, exec_lo, s12
	v_dual_mov_b32 v126, v118 :: v_dual_mov_b32 v125, v118
.LBB110_351:
	s_or_b32 exec_lo, exec_lo, s1
.LBB110_352:
	s_and_not1_saveexec_b32 s0, s0
	s_cbranch_execz .LBB110_354
; %bb.353:
	v_mov_b32_e32 v126, 16
	ds_store_2addr_b64 v122, v[84:85], v[86:87] offset0:17 offset1:18
	ds_store_2addr_b64 v122, v[30:31], v[82:83] offset0:19 offset1:20
	;; [unrolled: 1-line block ×19, first 2 shown]
	ds_store_b64 v122, v[116:117] offset:440
.LBB110_354:
	s_or_b32 exec_lo, exec_lo, s0
	s_delay_alu instid0(SALU_CYCLE_1)
	s_mov_b32 s0, exec_lo
	s_wait_storecnt_dscnt 0x0
	s_barrier_signal -1
	s_barrier_wait -1
	v_cmpx_lt_i32_e32 16, v126
	s_cbranch_execz .LBB110_356
; %bb.355:
	v_pk_mul_f32 v[128:129], v[120:121], v[88:89] op_sel:[1,1] op_sel_hi:[0,1]
	s_delay_alu instid0(VALU_DEP_1)
	v_pk_fma_f32 v[118:119], v[120:121], v[88:89], v[128:129] op_sel_hi:[1,0,1] neg_lo:[0,0,1] neg_hi:[0,0,1]
	v_pk_fma_f32 v[120:121], v[120:121], v[88:89], v[128:129] op_sel_hi:[1,0,1]
	ds_load_2addr_b64 v[128:131], v122 offset0:17 offset1:18
	v_dual_mov_b32 v88, v118 :: v_dual_mov_b32 v89, v121
	s_wait_dscnt 0x0
	v_pk_mul_f32 v[132:133], v[128:129], v[120:121] op_sel:[0,1]
	s_delay_alu instid0(VALU_DEP_1) | instskip(SKIP_1) | instid1(VALU_DEP_1)
	v_pk_fma_f32 v[134:135], v[128:129], v[118:119], v[132:133] op_sel:[0,0,1] op_sel_hi:[1,1,0] neg_lo:[0,0,1] neg_hi:[0,0,1]
	v_pk_fma_f32 v[128:129], v[128:129], v[118:119], v[132:133] op_sel:[0,0,1] op_sel_hi:[1,0,0]
	v_mov_b32_e32 v135, v129
	v_pk_mul_f32 v[128:129], v[130:131], v[120:121] op_sel:[0,1]
	s_delay_alu instid0(VALU_DEP_1) | instskip(SKIP_1) | instid1(VALU_DEP_1)
	v_pk_fma_f32 v[132:133], v[130:131], v[118:119], v[128:129] op_sel:[0,0,1] op_sel_hi:[1,1,0] neg_lo:[0,0,1] neg_hi:[0,0,1]
	v_pk_fma_f32 v[128:129], v[130:131], v[118:119], v[128:129] op_sel:[0,0,1] op_sel_hi:[1,0,0]
	v_mov_b32_e32 v133, v129
	ds_load_2addr_b64 v[128:131], v122 offset0:19 offset1:20
	v_pk_add_f32 v[84:85], v[84:85], v[134:135] neg_lo:[0,1] neg_hi:[0,1]
	v_pk_add_f32 v[86:87], v[86:87], v[132:133] neg_lo:[0,1] neg_hi:[0,1]
	s_wait_dscnt 0x0
	v_pk_mul_f32 v[132:133], v[128:129], v[120:121] op_sel:[0,1]
	s_delay_alu instid0(VALU_DEP_1) | instskip(SKIP_2) | instid1(VALU_DEP_2)
	v_pk_fma_f32 v[134:135], v[128:129], v[118:119], v[132:133] op_sel:[0,0,1] op_sel_hi:[1,1,0] neg_lo:[0,0,1] neg_hi:[0,0,1]
	v_pk_fma_f32 v[128:129], v[128:129], v[118:119], v[132:133] op_sel:[0,0,1] op_sel_hi:[1,0,0]
	v_dual_mul_f32 v132, v131, v121 :: v_dual_mov_b32 v128, v131
	v_dual_mov_b32 v135, v129 :: v_dual_mov_b32 v129, v130
	s_delay_alu instid0(VALU_DEP_2) | instskip(SKIP_1) | instid1(VALU_DEP_3)
	v_pk_fma_f32 v[132:133], v[130:131], v[88:89], v[132:133] op_sel_hi:[1,1,0] neg_lo:[0,0,1] neg_hi:[0,0,1]
	v_mul_f32_e32 v130, v131, v118
	v_pk_add_f32 v[30:31], v[30:31], v[134:135] neg_lo:[0,1] neg_hi:[0,1]
	s_delay_alu instid0(VALU_DEP_2) | instskip(NEXT) | instid1(VALU_DEP_1)
	v_pk_fma_f32 v[128:129], v[128:129], v[88:89], v[130:131] op_sel_hi:[1,1,0]
	v_mov_b32_e32 v133, v129
	ds_load_2addr_b64 v[128:131], v122 offset0:21 offset1:22
	v_pk_add_f32 v[82:83], v[82:83], v[132:133] neg_lo:[0,1] neg_hi:[0,1]
	s_wait_dscnt 0x0
	v_pk_mul_f32 v[132:133], v[128:129], v[120:121] op_sel:[0,1]
	s_delay_alu instid0(VALU_DEP_1) | instskip(SKIP_1) | instid1(VALU_DEP_1)
	v_pk_fma_f32 v[134:135], v[128:129], v[118:119], v[132:133] op_sel:[0,0,1] op_sel_hi:[1,1,0] neg_lo:[0,0,1] neg_hi:[0,0,1]
	v_pk_fma_f32 v[128:129], v[128:129], v[118:119], v[132:133] op_sel:[0,0,1] op_sel_hi:[1,0,0]
	v_mov_b32_e32 v135, v129
	v_pk_mul_f32 v[128:129], v[130:131], v[120:121] op_sel:[0,1]
	s_delay_alu instid0(VALU_DEP_1) | instskip(SKIP_1) | instid1(VALU_DEP_1)
	v_pk_fma_f32 v[132:133], v[130:131], v[118:119], v[128:129] op_sel:[0,0,1] op_sel_hi:[1,1,0] neg_lo:[0,0,1] neg_hi:[0,0,1]
	v_pk_fma_f32 v[128:129], v[130:131], v[118:119], v[128:129] op_sel:[0,0,1] op_sel_hi:[1,0,0]
	v_mov_b32_e32 v133, v129
	ds_load_2addr_b64 v[128:131], v122 offset0:23 offset1:24
	v_pk_add_f32 v[78:79], v[78:79], v[134:135] neg_lo:[0,1] neg_hi:[0,1]
	v_pk_add_f32 v[80:81], v[80:81], v[132:133] neg_lo:[0,1] neg_hi:[0,1]
	s_wait_dscnt 0x0
	v_pk_mul_f32 v[132:133], v[128:129], v[120:121] op_sel:[0,1]
	s_delay_alu instid0(VALU_DEP_1) | instskip(SKIP_1) | instid1(VALU_DEP_1)
	v_pk_fma_f32 v[134:135], v[128:129], v[118:119], v[132:133] op_sel:[0,0,1] op_sel_hi:[1,1,0] neg_lo:[0,0,1] neg_hi:[0,0,1]
	v_pk_fma_f32 v[128:129], v[128:129], v[118:119], v[132:133] op_sel:[0,0,1] op_sel_hi:[1,0,0]
	v_mov_b32_e32 v135, v129
	v_pk_mul_f32 v[128:129], v[130:131], v[120:121] op_sel:[0,1]
	s_delay_alu instid0(VALU_DEP_1) | instskip(SKIP_1) | instid1(VALU_DEP_1)
	v_pk_fma_f32 v[132:133], v[130:131], v[118:119], v[128:129] op_sel:[0,0,1] op_sel_hi:[1,1,0] neg_lo:[0,0,1] neg_hi:[0,0,1]
	v_pk_fma_f32 v[128:129], v[130:131], v[118:119], v[128:129] op_sel:[0,0,1] op_sel_hi:[1,0,0]
	v_mov_b32_e32 v133, v129
	ds_load_2addr_b64 v[128:131], v122 offset0:25 offset1:26
	v_pk_add_f32 v[24:25], v[24:25], v[134:135] neg_lo:[0,1] neg_hi:[0,1]
	v_pk_add_f32 v[76:77], v[76:77], v[132:133] neg_lo:[0,1] neg_hi:[0,1]
	s_wait_dscnt 0x0
	v_dual_mul_f32 v132, v129, v121 :: v_dual_mul_f32 v134, v129, v118
	s_delay_alu instid0(VALU_DEP_1) | instskip(NEXT) | instid1(VALU_DEP_2)
	v_pk_fma_f32 v[132:133], v[128:129], v[88:89], v[132:133] op_sel_hi:[1,1,0] neg_lo:[0,0,1] neg_hi:[0,0,1]
	v_pk_fma_f32 v[128:129], v[128:129], v[88:89], v[134:135] op_sel:[1,0,0] op_sel_hi:[0,1,0]
	s_delay_alu instid0(VALU_DEP_1) | instskip(SKIP_1) | instid1(VALU_DEP_2)
	v_mov_b32_e32 v133, v129
	v_pk_mul_f32 v[128:129], v[130:131], v[120:121] op_sel:[0,1]
	v_pk_add_f32 v[72:73], v[72:73], v[132:133] neg_lo:[0,1] neg_hi:[0,1]
	s_delay_alu instid0(VALU_DEP_2) | instskip(SKIP_1) | instid1(VALU_DEP_1)
	v_pk_fma_f32 v[132:133], v[130:131], v[118:119], v[128:129] op_sel:[0,0,1] op_sel_hi:[1,1,0] neg_lo:[0,0,1] neg_hi:[0,0,1]
	v_pk_fma_f32 v[128:129], v[130:131], v[118:119], v[128:129] op_sel:[0,0,1] op_sel_hi:[1,0,0]
	v_mov_b32_e32 v133, v129
	ds_load_2addr_b64 v[128:131], v122 offset0:27 offset1:28
	v_pk_add_f32 v[74:75], v[74:75], v[132:133] neg_lo:[0,1] neg_hi:[0,1]
	s_wait_dscnt 0x0
	v_pk_mul_f32 v[132:133], v[128:129], v[120:121] op_sel:[0,1]
	s_delay_alu instid0(VALU_DEP_1) | instskip(SKIP_1) | instid1(VALU_DEP_1)
	v_pk_fma_f32 v[134:135], v[128:129], v[118:119], v[132:133] op_sel:[0,0,1] op_sel_hi:[1,1,0] neg_lo:[0,0,1] neg_hi:[0,0,1]
	v_pk_fma_f32 v[128:129], v[128:129], v[118:119], v[132:133] op_sel:[0,0,1] op_sel_hi:[1,0,0]
	v_mov_b32_e32 v135, v129
	v_pk_mul_f32 v[128:129], v[130:131], v[120:121] op_sel:[0,1]
	s_delay_alu instid0(VALU_DEP_2) | instskip(NEXT) | instid1(VALU_DEP_2)
	v_pk_add_f32 v[18:19], v[18:19], v[134:135] neg_lo:[0,1] neg_hi:[0,1]
	v_pk_fma_f32 v[132:133], v[130:131], v[118:119], v[128:129] op_sel:[0,0,1] op_sel_hi:[1,1,0] neg_lo:[0,0,1] neg_hi:[0,0,1]
	v_pk_fma_f32 v[128:129], v[130:131], v[118:119], v[128:129] op_sel:[0,0,1] op_sel_hi:[1,0,0]
	s_delay_alu instid0(VALU_DEP_1) | instskip(SKIP_4) | instid1(VALU_DEP_1)
	v_mov_b32_e32 v133, v129
	ds_load_2addr_b64 v[128:131], v122 offset0:29 offset1:30
	v_pk_add_f32 v[70:71], v[70:71], v[132:133] neg_lo:[0,1] neg_hi:[0,1]
	s_wait_dscnt 0x0
	v_pk_mul_f32 v[132:133], v[128:129], v[120:121] op_sel:[0,1]
	v_pk_fma_f32 v[134:135], v[128:129], v[118:119], v[132:133] op_sel:[0,0,1] op_sel_hi:[1,1,0] neg_lo:[0,0,1] neg_hi:[0,0,1]
	v_pk_fma_f32 v[128:129], v[128:129], v[118:119], v[132:133] op_sel:[0,0,1] op_sel_hi:[1,0,0]
	v_dual_mul_f32 v132, v131, v121 :: v_dual_mov_b32 v128, v131
	s_delay_alu instid0(VALU_DEP_2) | instskip(NEXT) | instid1(VALU_DEP_2)
	v_dual_mov_b32 v135, v129 :: v_dual_mov_b32 v129, v130
	v_pk_fma_f32 v[132:133], v[130:131], v[88:89], v[132:133] op_sel_hi:[1,1,0] neg_lo:[0,0,1] neg_hi:[0,0,1]
	v_mul_f32_e32 v130, v131, v118
	s_delay_alu instid0(VALU_DEP_3) | instskip(NEXT) | instid1(VALU_DEP_2)
	v_pk_add_f32 v[66:67], v[66:67], v[134:135] neg_lo:[0,1] neg_hi:[0,1]
	v_pk_fma_f32 v[128:129], v[128:129], v[88:89], v[130:131] op_sel_hi:[1,1,0]
	s_delay_alu instid0(VALU_DEP_1) | instskip(SKIP_4) | instid1(VALU_DEP_1)
	v_mov_b32_e32 v133, v129
	ds_load_2addr_b64 v[128:131], v122 offset0:31 offset1:32
	v_pk_add_f32 v[68:69], v[68:69], v[132:133] neg_lo:[0,1] neg_hi:[0,1]
	s_wait_dscnt 0x0
	v_pk_mul_f32 v[132:133], v[128:129], v[120:121] op_sel:[0,1]
	v_pk_fma_f32 v[134:135], v[128:129], v[118:119], v[132:133] op_sel:[0,0,1] op_sel_hi:[1,1,0] neg_lo:[0,0,1] neg_hi:[0,0,1]
	v_pk_fma_f32 v[128:129], v[128:129], v[118:119], v[132:133] op_sel:[0,0,1] op_sel_hi:[1,0,0]
	s_delay_alu instid0(VALU_DEP_1) | instskip(SKIP_1) | instid1(VALU_DEP_1)
	v_mov_b32_e32 v135, v129
	v_pk_mul_f32 v[128:129], v[130:131], v[120:121] op_sel:[0,1]
	v_pk_fma_f32 v[132:133], v[130:131], v[118:119], v[128:129] op_sel:[0,0,1] op_sel_hi:[1,1,0] neg_lo:[0,0,1] neg_hi:[0,0,1]
	v_pk_fma_f32 v[128:129], v[130:131], v[118:119], v[128:129] op_sel:[0,0,1] op_sel_hi:[1,0,0]
	s_delay_alu instid0(VALU_DEP_1)
	v_mov_b32_e32 v133, v129
	ds_load_2addr_b64 v[128:131], v122 offset0:33 offset1:34
	v_pk_add_f32 v[16:17], v[16:17], v[134:135] neg_lo:[0,1] neg_hi:[0,1]
	v_pk_add_f32 v[64:65], v[64:65], v[132:133] neg_lo:[0,1] neg_hi:[0,1]
	s_wait_dscnt 0x0
	v_pk_mul_f32 v[132:133], v[128:129], v[120:121] op_sel:[0,1]
	s_delay_alu instid0(VALU_DEP_1) | instskip(SKIP_1) | instid1(VALU_DEP_1)
	v_pk_fma_f32 v[134:135], v[128:129], v[118:119], v[132:133] op_sel:[0,0,1] op_sel_hi:[1,1,0] neg_lo:[0,0,1] neg_hi:[0,0,1]
	v_pk_fma_f32 v[128:129], v[128:129], v[118:119], v[132:133] op_sel:[0,0,1] op_sel_hi:[1,0,0]
	v_mov_b32_e32 v135, v129
	v_pk_mul_f32 v[128:129], v[130:131], v[120:121] op_sel:[0,1]
	s_delay_alu instid0(VALU_DEP_1) | instskip(SKIP_1) | instid1(VALU_DEP_1)
	v_pk_fma_f32 v[132:133], v[130:131], v[118:119], v[128:129] op_sel:[0,0,1] op_sel_hi:[1,1,0] neg_lo:[0,0,1] neg_hi:[0,0,1]
	v_pk_fma_f32 v[128:129], v[130:131], v[118:119], v[128:129] op_sel:[0,0,1] op_sel_hi:[1,0,0]
	v_mov_b32_e32 v133, v129
	ds_load_2addr_b64 v[128:131], v122 offset0:35 offset1:36
	v_pk_add_f32 v[60:61], v[60:61], v[134:135] neg_lo:[0,1] neg_hi:[0,1]
	v_pk_add_f32 v[62:63], v[62:63], v[132:133] neg_lo:[0,1] neg_hi:[0,1]
	s_wait_dscnt 0x0
	v_dual_mul_f32 v132, v129, v121 :: v_dual_mul_f32 v134, v129, v118
	s_delay_alu instid0(VALU_DEP_1) | instskip(NEXT) | instid1(VALU_DEP_2)
	v_pk_fma_f32 v[132:133], v[128:129], v[88:89], v[132:133] op_sel_hi:[1,1,0] neg_lo:[0,0,1] neg_hi:[0,0,1]
	v_pk_fma_f32 v[128:129], v[128:129], v[88:89], v[134:135] op_sel:[1,0,0] op_sel_hi:[0,1,0]
	s_delay_alu instid0(VALU_DEP_1) | instskip(SKIP_1) | instid1(VALU_DEP_2)
	v_mov_b32_e32 v133, v129
	v_pk_mul_f32 v[128:129], v[130:131], v[120:121] op_sel:[0,1]
	v_pk_add_f32 v[14:15], v[14:15], v[132:133] neg_lo:[0,1] neg_hi:[0,1]
	s_delay_alu instid0(VALU_DEP_2) | instskip(SKIP_1) | instid1(VALU_DEP_1)
	v_pk_fma_f32 v[132:133], v[130:131], v[118:119], v[128:129] op_sel:[0,0,1] op_sel_hi:[1,1,0] neg_lo:[0,0,1] neg_hi:[0,0,1]
	v_pk_fma_f32 v[128:129], v[130:131], v[118:119], v[128:129] op_sel:[0,0,1] op_sel_hi:[1,0,0]
	v_mov_b32_e32 v133, v129
	ds_load_2addr_b64 v[128:131], v122 offset0:37 offset1:38
	v_pk_add_f32 v[58:59], v[58:59], v[132:133] neg_lo:[0,1] neg_hi:[0,1]
	s_wait_dscnt 0x0
	v_pk_mul_f32 v[132:133], v[128:129], v[120:121] op_sel:[0,1]
	s_delay_alu instid0(VALU_DEP_1) | instskip(SKIP_1) | instid1(VALU_DEP_1)
	v_pk_fma_f32 v[134:135], v[128:129], v[118:119], v[132:133] op_sel:[0,0,1] op_sel_hi:[1,1,0] neg_lo:[0,0,1] neg_hi:[0,0,1]
	v_pk_fma_f32 v[128:129], v[128:129], v[118:119], v[132:133] op_sel:[0,0,1] op_sel_hi:[1,0,0]
	v_mov_b32_e32 v135, v129
	v_pk_mul_f32 v[128:129], v[130:131], v[120:121] op_sel:[0,1]
	s_delay_alu instid0(VALU_DEP_2) | instskip(NEXT) | instid1(VALU_DEP_2)
	v_pk_add_f32 v[54:55], v[54:55], v[134:135] neg_lo:[0,1] neg_hi:[0,1]
	v_pk_fma_f32 v[132:133], v[130:131], v[118:119], v[128:129] op_sel:[0,0,1] op_sel_hi:[1,1,0] neg_lo:[0,0,1] neg_hi:[0,0,1]
	v_pk_fma_f32 v[128:129], v[130:131], v[118:119], v[128:129] op_sel:[0,0,1] op_sel_hi:[1,0,0]
	s_delay_alu instid0(VALU_DEP_1) | instskip(SKIP_4) | instid1(VALU_DEP_1)
	v_mov_b32_e32 v133, v129
	ds_load_2addr_b64 v[128:131], v122 offset0:39 offset1:40
	v_pk_add_f32 v[56:57], v[56:57], v[132:133] neg_lo:[0,1] neg_hi:[0,1]
	s_wait_dscnt 0x0
	v_pk_mul_f32 v[132:133], v[128:129], v[120:121] op_sel:[0,1]
	v_pk_fma_f32 v[134:135], v[128:129], v[118:119], v[132:133] op_sel:[0,0,1] op_sel_hi:[1,1,0] neg_lo:[0,0,1] neg_hi:[0,0,1]
	v_pk_fma_f32 v[128:129], v[128:129], v[118:119], v[132:133] op_sel:[0,0,1] op_sel_hi:[1,0,0]
	v_dual_mul_f32 v132, v131, v121 :: v_dual_mov_b32 v128, v131
	s_delay_alu instid0(VALU_DEP_2) | instskip(NEXT) | instid1(VALU_DEP_2)
	v_dual_mov_b32 v135, v129 :: v_dual_mov_b32 v129, v130
	v_pk_fma_f32 v[132:133], v[130:131], v[88:89], v[132:133] op_sel_hi:[1,1,0] neg_lo:[0,0,1] neg_hi:[0,0,1]
	v_mul_f32_e32 v130, v131, v118
	s_delay_alu instid0(VALU_DEP_3) | instskip(NEXT) | instid1(VALU_DEP_2)
	v_pk_add_f32 v[12:13], v[12:13], v[134:135] neg_lo:[0,1] neg_hi:[0,1]
	v_pk_fma_f32 v[128:129], v[128:129], v[88:89], v[130:131] op_sel_hi:[1,1,0]
	s_delay_alu instid0(VALU_DEP_1) | instskip(SKIP_4) | instid1(VALU_DEP_1)
	v_mov_b32_e32 v133, v129
	ds_load_2addr_b64 v[128:131], v122 offset0:41 offset1:42
	v_pk_add_f32 v[52:53], v[52:53], v[132:133] neg_lo:[0,1] neg_hi:[0,1]
	s_wait_dscnt 0x0
	v_pk_mul_f32 v[132:133], v[128:129], v[120:121] op_sel:[0,1]
	v_pk_fma_f32 v[134:135], v[128:129], v[118:119], v[132:133] op_sel:[0,0,1] op_sel_hi:[1,1,0] neg_lo:[0,0,1] neg_hi:[0,0,1]
	v_pk_fma_f32 v[128:129], v[128:129], v[118:119], v[132:133] op_sel:[0,0,1] op_sel_hi:[1,0,0]
	s_delay_alu instid0(VALU_DEP_1) | instskip(SKIP_1) | instid1(VALU_DEP_1)
	v_mov_b32_e32 v135, v129
	v_pk_mul_f32 v[128:129], v[130:131], v[120:121] op_sel:[0,1]
	v_pk_fma_f32 v[132:133], v[130:131], v[118:119], v[128:129] op_sel:[0,0,1] op_sel_hi:[1,1,0] neg_lo:[0,0,1] neg_hi:[0,0,1]
	v_pk_fma_f32 v[128:129], v[130:131], v[118:119], v[128:129] op_sel:[0,0,1] op_sel_hi:[1,0,0]
	s_delay_alu instid0(VALU_DEP_1)
	v_mov_b32_e32 v133, v129
	ds_load_2addr_b64 v[128:131], v122 offset0:43 offset1:44
	v_pk_add_f32 v[48:49], v[48:49], v[134:135] neg_lo:[0,1] neg_hi:[0,1]
	v_pk_add_f32 v[50:51], v[50:51], v[132:133] neg_lo:[0,1] neg_hi:[0,1]
	s_wait_dscnt 0x0
	v_pk_mul_f32 v[132:133], v[128:129], v[120:121] op_sel:[0,1]
	s_delay_alu instid0(VALU_DEP_1) | instskip(SKIP_1) | instid1(VALU_DEP_1)
	v_pk_fma_f32 v[134:135], v[128:129], v[118:119], v[132:133] op_sel:[0,0,1] op_sel_hi:[1,1,0] neg_lo:[0,0,1] neg_hi:[0,0,1]
	v_pk_fma_f32 v[128:129], v[128:129], v[118:119], v[132:133] op_sel:[0,0,1] op_sel_hi:[1,0,0]
	v_mov_b32_e32 v135, v129
	v_pk_mul_f32 v[128:129], v[130:131], v[120:121] op_sel:[0,1]
	s_delay_alu instid0(VALU_DEP_1) | instskip(SKIP_1) | instid1(VALU_DEP_1)
	v_pk_fma_f32 v[132:133], v[130:131], v[118:119], v[128:129] op_sel:[0,0,1] op_sel_hi:[1,1,0] neg_lo:[0,0,1] neg_hi:[0,0,1]
	v_pk_fma_f32 v[128:129], v[130:131], v[118:119], v[128:129] op_sel:[0,0,1] op_sel_hi:[1,0,0]
	v_mov_b32_e32 v133, v129
	ds_load_2addr_b64 v[128:131], v122 offset0:45 offset1:46
	v_pk_add_f32 v[10:11], v[10:11], v[134:135] neg_lo:[0,1] neg_hi:[0,1]
	v_pk_add_f32 v[46:47], v[46:47], v[132:133] neg_lo:[0,1] neg_hi:[0,1]
	s_wait_dscnt 0x0
	v_dual_mul_f32 v132, v129, v121 :: v_dual_mul_f32 v134, v129, v118
	s_delay_alu instid0(VALU_DEP_1) | instskip(NEXT) | instid1(VALU_DEP_2)
	v_pk_fma_f32 v[132:133], v[128:129], v[88:89], v[132:133] op_sel_hi:[1,1,0] neg_lo:[0,0,1] neg_hi:[0,0,1]
	v_pk_fma_f32 v[128:129], v[128:129], v[88:89], v[134:135] op_sel:[1,0,0] op_sel_hi:[0,1,0]
	s_delay_alu instid0(VALU_DEP_1) | instskip(SKIP_1) | instid1(VALU_DEP_2)
	v_mov_b32_e32 v133, v129
	v_pk_mul_f32 v[128:129], v[130:131], v[120:121] op_sel:[0,1]
	v_pk_add_f32 v[42:43], v[42:43], v[132:133] neg_lo:[0,1] neg_hi:[0,1]
	s_delay_alu instid0(VALU_DEP_2) | instskip(SKIP_1) | instid1(VALU_DEP_1)
	v_pk_fma_f32 v[132:133], v[130:131], v[118:119], v[128:129] op_sel:[0,0,1] op_sel_hi:[1,1,0] neg_lo:[0,0,1] neg_hi:[0,0,1]
	v_pk_fma_f32 v[128:129], v[130:131], v[118:119], v[128:129] op_sel:[0,0,1] op_sel_hi:[1,0,0]
	v_mov_b32_e32 v133, v129
	ds_load_2addr_b64 v[128:131], v122 offset0:47 offset1:48
	v_pk_add_f32 v[44:45], v[44:45], v[132:133] neg_lo:[0,1] neg_hi:[0,1]
	s_wait_dscnt 0x0
	v_pk_mul_f32 v[132:133], v[128:129], v[120:121] op_sel:[0,1]
	s_delay_alu instid0(VALU_DEP_1) | instskip(SKIP_1) | instid1(VALU_DEP_1)
	v_pk_fma_f32 v[134:135], v[128:129], v[118:119], v[132:133] op_sel:[0,0,1] op_sel_hi:[1,1,0] neg_lo:[0,0,1] neg_hi:[0,0,1]
	v_pk_fma_f32 v[128:129], v[128:129], v[118:119], v[132:133] op_sel:[0,0,1] op_sel_hi:[1,0,0]
	v_mov_b32_e32 v135, v129
	v_pk_mul_f32 v[128:129], v[130:131], v[120:121] op_sel:[0,1]
	s_delay_alu instid0(VALU_DEP_2) | instskip(NEXT) | instid1(VALU_DEP_2)
	v_pk_add_f32 v[6:7], v[6:7], v[134:135] neg_lo:[0,1] neg_hi:[0,1]
	v_pk_fma_f32 v[132:133], v[130:131], v[118:119], v[128:129] op_sel:[0,0,1] op_sel_hi:[1,1,0] neg_lo:[0,0,1] neg_hi:[0,0,1]
	v_pk_fma_f32 v[128:129], v[130:131], v[118:119], v[128:129] op_sel:[0,0,1] op_sel_hi:[1,0,0]
	s_delay_alu instid0(VALU_DEP_1) | instskip(SKIP_4) | instid1(VALU_DEP_1)
	v_mov_b32_e32 v133, v129
	ds_load_2addr_b64 v[128:131], v122 offset0:49 offset1:50
	v_pk_add_f32 v[34:35], v[34:35], v[132:133] neg_lo:[0,1] neg_hi:[0,1]
	s_wait_dscnt 0x0
	v_pk_mul_f32 v[132:133], v[128:129], v[120:121] op_sel:[0,1]
	v_pk_fma_f32 v[134:135], v[128:129], v[118:119], v[132:133] op_sel:[0,0,1] op_sel_hi:[1,1,0] neg_lo:[0,0,1] neg_hi:[0,0,1]
	v_pk_fma_f32 v[128:129], v[128:129], v[118:119], v[132:133] op_sel:[0,0,1] op_sel_hi:[1,0,0]
	v_dual_mul_f32 v132, v131, v121 :: v_dual_mov_b32 v128, v131
	s_delay_alu instid0(VALU_DEP_2) | instskip(NEXT) | instid1(VALU_DEP_2)
	v_dual_mov_b32 v135, v129 :: v_dual_mov_b32 v129, v130
	v_pk_fma_f32 v[132:133], v[130:131], v[88:89], v[132:133] op_sel_hi:[1,1,0] neg_lo:[0,0,1] neg_hi:[0,0,1]
	v_mul_f32_e32 v130, v131, v118
	s_delay_alu instid0(VALU_DEP_3) | instskip(NEXT) | instid1(VALU_DEP_2)
	v_pk_add_f32 v[28:29], v[28:29], v[134:135] neg_lo:[0,1] neg_hi:[0,1]
	v_pk_fma_f32 v[128:129], v[128:129], v[88:89], v[130:131] op_sel_hi:[1,1,0]
	s_delay_alu instid0(VALU_DEP_1) | instskip(SKIP_4) | instid1(VALU_DEP_1)
	v_mov_b32_e32 v133, v129
	ds_load_2addr_b64 v[128:131], v122 offset0:51 offset1:52
	v_pk_add_f32 v[32:33], v[32:33], v[132:133] neg_lo:[0,1] neg_hi:[0,1]
	s_wait_dscnt 0x0
	v_pk_mul_f32 v[132:133], v[128:129], v[120:121] op_sel:[0,1]
	v_pk_fma_f32 v[134:135], v[128:129], v[118:119], v[132:133] op_sel:[0,0,1] op_sel_hi:[1,1,0] neg_lo:[0,0,1] neg_hi:[0,0,1]
	v_pk_fma_f32 v[128:129], v[128:129], v[118:119], v[132:133] op_sel:[0,0,1] op_sel_hi:[1,0,0]
	s_delay_alu instid0(VALU_DEP_1) | instskip(SKIP_1) | instid1(VALU_DEP_1)
	v_mov_b32_e32 v135, v129
	v_pk_mul_f32 v[128:129], v[130:131], v[120:121] op_sel:[0,1]
	v_pk_fma_f32 v[132:133], v[130:131], v[118:119], v[128:129] op_sel:[0,0,1] op_sel_hi:[1,1,0] neg_lo:[0,0,1] neg_hi:[0,0,1]
	v_pk_fma_f32 v[128:129], v[130:131], v[118:119], v[128:129] op_sel:[0,0,1] op_sel_hi:[1,0,0]
	s_delay_alu instid0(VALU_DEP_1)
	v_mov_b32_e32 v133, v129
	ds_load_2addr_b64 v[128:131], v122 offset0:53 offset1:54
	v_pk_add_f32 v[8:9], v[8:9], v[134:135] neg_lo:[0,1] neg_hi:[0,1]
	v_pk_add_f32 v[26:27], v[26:27], v[132:133] neg_lo:[0,1] neg_hi:[0,1]
	s_wait_dscnt 0x0
	v_pk_mul_f32 v[132:133], v[128:129], v[120:121] op_sel:[0,1]
	s_delay_alu instid0(VALU_DEP_1) | instskip(SKIP_1) | instid1(VALU_DEP_1)
	v_pk_fma_f32 v[134:135], v[128:129], v[118:119], v[132:133] op_sel:[0,0,1] op_sel_hi:[1,1,0] neg_lo:[0,0,1] neg_hi:[0,0,1]
	v_pk_fma_f32 v[128:129], v[128:129], v[118:119], v[132:133] op_sel:[0,0,1] op_sel_hi:[1,0,0]
	v_mov_b32_e32 v135, v129
	v_pk_mul_f32 v[128:129], v[130:131], v[120:121] op_sel:[0,1]
	s_delay_alu instid0(VALU_DEP_1) | instskip(SKIP_1) | instid1(VALU_DEP_1)
	v_pk_fma_f32 v[132:133], v[130:131], v[118:119], v[128:129] op_sel:[0,0,1] op_sel_hi:[1,1,0] neg_lo:[0,0,1] neg_hi:[0,0,1]
	v_pk_fma_f32 v[128:129], v[130:131], v[118:119], v[128:129] op_sel:[0,0,1] op_sel_hi:[1,0,0]
	v_mov_b32_e32 v133, v129
	ds_load_b64 v[128:129], v122 offset:440
	v_pk_add_f32 v[22:23], v[22:23], v[134:135] neg_lo:[0,1] neg_hi:[0,1]
	v_pk_add_f32 v[20:21], v[20:21], v[132:133] neg_lo:[0,1] neg_hi:[0,1]
	s_wait_dscnt 0x0
	v_pk_mul_f32 v[120:121], v[128:129], v[120:121] op_sel:[0,1]
	s_delay_alu instid0(VALU_DEP_1) | instskip(SKIP_1) | instid1(VALU_DEP_1)
	v_pk_fma_f32 v[130:131], v[128:129], v[118:119], v[120:121] op_sel:[0,0,1] op_sel_hi:[1,1,0] neg_lo:[0,0,1] neg_hi:[0,0,1]
	v_pk_fma_f32 v[118:119], v[128:129], v[118:119], v[120:121] op_sel:[0,0,1] op_sel_hi:[1,0,0]
	v_mov_b32_e32 v131, v119
	s_delay_alu instid0(VALU_DEP_1)
	v_pk_add_f32 v[116:117], v[116:117], v[130:131] neg_lo:[0,1] neg_hi:[0,1]
.LBB110_356:
	s_or_b32 exec_lo, exec_lo, s0
	v_lshl_add_u32 v118, v126, 3, v122
	s_barrier_signal -1
	s_barrier_wait -1
	ds_store_b64 v118, v[84:85]
	s_wait_dscnt 0x0
	s_barrier_signal -1
	s_barrier_wait -1
	ds_load_b64 v[120:121], v122 offset:136
	v_mov_b32_e32 v118, 17
	s_cmp_lt_i32 s18, 19
	s_cbranch_scc1 .LBB110_359
; %bb.357:
	v_add3_u32 v119, v123, 0, 0x90
	v_mov_b32_e32 v118, 17
	s_mov_b32 s0, 18
.LBB110_358:                            ; =>This Inner Loop Header: Depth=1
	ds_load_b64 v[128:129], v119
	s_wait_dscnt 0x1
	v_cmp_gt_f32_e32 vcc_lo, 0, v120
	v_cndmask_b32_e64 v130, v120, -v120, vcc_lo
	v_cmp_gt_f32_e32 vcc_lo, 0, v121
	v_cndmask_b32_e64 v132, v121, -v121, vcc_lo
	s_wait_dscnt 0x0
	v_cmp_gt_f32_e32 vcc_lo, 0, v128
	v_cndmask_b32_e64 v131, v128, -v128, vcc_lo
	v_cmp_gt_f32_e32 vcc_lo, 0, v129
	v_cndmask_b32_e64 v133, v129, -v129, vcc_lo
	s_delay_alu instid0(VALU_DEP_1) | instskip(NEXT) | instid1(VALU_DEP_1)
	v_pk_add_f32 v[130:131], v[130:131], v[132:133]
	v_cmp_lt_f32_e32 vcc_lo, v130, v131
	v_dual_add_nc_u32 v119, 8, v119 :: v_dual_cndmask_b32 v121, v121, v129, vcc_lo
	v_cndmask_b32_e32 v120, v120, v128, vcc_lo
	v_cndmask_b32_e64 v118, v118, s0, vcc_lo
	s_add_co_i32 s0, s0, 1
	s_delay_alu instid0(SALU_CYCLE_1)
	s_cmp_lg_u32 s18, s0
	s_cbranch_scc1 .LBB110_358
.LBB110_359:
	s_wait_dscnt 0x0
	v_cmp_eq_f32_e32 vcc_lo, 0, v120
	v_cmp_eq_f32_e64 s0, 0, v121
	s_and_b32 s0, vcc_lo, s0
	s_delay_alu instid0(SALU_CYCLE_1) | instskip(NEXT) | instid1(SALU_CYCLE_1)
	s_and_saveexec_b32 s1, s0
	s_xor_b32 s0, exec_lo, s1
; %bb.360:
	v_cmp_ne_u32_e32 vcc_lo, 0, v124
	v_cndmask_b32_e32 v124, 18, v124, vcc_lo
; %bb.361:
	s_and_not1_saveexec_b32 s0, s0
	s_cbranch_execz .LBB110_367
; %bb.362:
	v_cmp_ngt_f32_e64 s1, |v120|, |v121|
	s_and_saveexec_b32 s12, s1
	s_delay_alu instid0(SALU_CYCLE_1)
	s_xor_b32 s1, exec_lo, s12
	s_cbranch_execz .LBB110_364
; %bb.363:
	v_div_scale_f32 v119, null, v121, v121, v120
	v_div_scale_f32 v129, vcc_lo, v120, v121, v120
	s_delay_alu instid0(VALU_DEP_2) | instskip(SKIP_1) | instid1(TRANS32_DEP_1)
	v_rcp_f32_e32 v127, v119
	v_nop
	v_fma_f32 v128, -v119, v127, 1.0
	s_delay_alu instid0(VALU_DEP_1) | instskip(NEXT) | instid1(VALU_DEP_1)
	v_fmac_f32_e32 v127, v128, v127
	v_mul_f32_e32 v128, v129, v127
	s_delay_alu instid0(VALU_DEP_1) | instskip(NEXT) | instid1(VALU_DEP_1)
	v_fma_f32 v130, -v119, v128, v129
	v_fmac_f32_e32 v128, v130, v127
	s_delay_alu instid0(VALU_DEP_1) | instskip(NEXT) | instid1(VALU_DEP_1)
	v_fma_f32 v119, -v119, v128, v129
	v_div_fmas_f32 v119, v119, v127, v128
	s_delay_alu instid0(VALU_DEP_1) | instskip(NEXT) | instid1(VALU_DEP_1)
	v_div_fixup_f32 v119, v119, v121, v120
	v_fmac_f32_e32 v121, v120, v119
	s_delay_alu instid0(VALU_DEP_1) | instskip(SKIP_1) | instid1(VALU_DEP_2)
	v_div_scale_f32 v120, null, v121, v121, 1.0
	v_div_scale_f32 v129, vcc_lo, 1.0, v121, 1.0
	v_rcp_f32_e32 v127, v120
	v_nop
	s_delay_alu instid0(TRANS32_DEP_1) | instskip(NEXT) | instid1(VALU_DEP_1)
	v_fma_f32 v128, -v120, v127, 1.0
	v_fmac_f32_e32 v127, v128, v127
	s_delay_alu instid0(VALU_DEP_1) | instskip(NEXT) | instid1(VALU_DEP_1)
	v_mul_f32_e32 v128, v129, v127
	v_fma_f32 v130, -v120, v128, v129
	s_delay_alu instid0(VALU_DEP_1) | instskip(NEXT) | instid1(VALU_DEP_1)
	v_fmac_f32_e32 v128, v130, v127
	v_fma_f32 v120, -v120, v128, v129
	s_delay_alu instid0(VALU_DEP_1) | instskip(NEXT) | instid1(VALU_DEP_1)
	v_div_fmas_f32 v120, v120, v127, v128
	v_div_fixup_f32 v121, v120, v121, 1.0
	s_delay_alu instid0(VALU_DEP_1)
	v_mul_f32_e32 v120, v119, v121
	v_xor_b32_e32 v121, 0x80000000, v121
.LBB110_364:
	s_and_not1_saveexec_b32 s1, s1
	s_cbranch_execz .LBB110_366
; %bb.365:
	s_delay_alu instid0(VALU_DEP_1) | instskip(SKIP_1) | instid1(VALU_DEP_2)
	v_div_scale_f32 v119, null, v120, v120, v121
	v_div_scale_f32 v129, vcc_lo, v121, v120, v121
	v_rcp_f32_e32 v127, v119
	v_nop
	s_delay_alu instid0(TRANS32_DEP_1) | instskip(NEXT) | instid1(VALU_DEP_1)
	v_fma_f32 v128, -v119, v127, 1.0
	v_fmac_f32_e32 v127, v128, v127
	s_delay_alu instid0(VALU_DEP_1) | instskip(NEXT) | instid1(VALU_DEP_1)
	v_mul_f32_e32 v128, v129, v127
	v_fma_f32 v130, -v119, v128, v129
	s_delay_alu instid0(VALU_DEP_1) | instskip(NEXT) | instid1(VALU_DEP_1)
	v_fmac_f32_e32 v128, v130, v127
	v_fma_f32 v119, -v119, v128, v129
	s_delay_alu instid0(VALU_DEP_1) | instskip(NEXT) | instid1(VALU_DEP_1)
	v_div_fmas_f32 v119, v119, v127, v128
	v_div_fixup_f32 v119, v119, v120, v121
	s_delay_alu instid0(VALU_DEP_1) | instskip(NEXT) | instid1(VALU_DEP_1)
	v_fmac_f32_e32 v120, v121, v119
	v_div_scale_f32 v121, null, v120, v120, 1.0
	s_delay_alu instid0(VALU_DEP_1) | instskip(SKIP_1) | instid1(TRANS32_DEP_1)
	v_rcp_f32_e32 v127, v121
	v_nop
	v_fma_f32 v128, -v121, v127, 1.0
	s_delay_alu instid0(VALU_DEP_1) | instskip(SKIP_1) | instid1(VALU_DEP_1)
	v_fmac_f32_e32 v127, v128, v127
	v_div_scale_f32 v128, vcc_lo, 1.0, v120, 1.0
	v_mul_f32_e32 v129, v128, v127
	s_delay_alu instid0(VALU_DEP_1) | instskip(NEXT) | instid1(VALU_DEP_1)
	v_fma_f32 v130, -v121, v129, v128
	v_fmac_f32_e32 v129, v130, v127
	s_delay_alu instid0(VALU_DEP_1) | instskip(NEXT) | instid1(VALU_DEP_1)
	v_fma_f32 v121, -v121, v129, v128
	v_div_fmas_f32 v121, v121, v127, v129
	s_delay_alu instid0(VALU_DEP_1) | instskip(NEXT) | instid1(VALU_DEP_1)
	v_div_fixup_f32 v120, v121, v120, 1.0
	v_mul_f32_e64 v121, v119, -v120
.LBB110_366:
	s_or_b32 exec_lo, exec_lo, s1
.LBB110_367:
	s_delay_alu instid0(SALU_CYCLE_1) | instskip(NEXT) | instid1(SALU_CYCLE_1)
	s_or_b32 exec_lo, exec_lo, s0
	s_mov_b32 s0, exec_lo
	v_cmpx_ne_u32_e64 v126, v118
	s_xor_b32 s0, exec_lo, s0
	s_cbranch_execz .LBB110_373
; %bb.368:
	s_mov_b32 s1, exec_lo
	v_cmpx_eq_u32_e32 17, v126
	s_cbranch_execz .LBB110_372
; %bb.369:
	v_cmp_ne_u32_e32 vcc_lo, 17, v118
	s_xor_b32 s12, s16, -1
	s_delay_alu instid0(SALU_CYCLE_1) | instskip(NEXT) | instid1(SALU_CYCLE_1)
	s_and_b32 s13, s12, vcc_lo
	s_and_saveexec_b32 s12, s13
	s_cbranch_execz .LBB110_371
; %bb.370:
	v_ashrrev_i32_e32 v119, 31, v118
	s_delay_alu instid0(VALU_DEP_1)
	v_lshl_add_u64 v[126:127], v[118:119], 2, v[4:5]
	s_clause 0x1
	global_load_b32 v119, v[126:127], off
	global_load_b32 v125, v[4:5], off offset:68
	s_wait_loadcnt 0x1
	global_store_b32 v[4:5], v119, off offset:68
	s_wait_loadcnt 0x0
	global_store_b32 v[126:127], v125, off
.LBB110_371:
	s_wait_xcnt 0x0
	s_or_b32 exec_lo, exec_lo, s12
	v_dual_mov_b32 v126, v118 :: v_dual_mov_b32 v125, v118
.LBB110_372:
	s_or_b32 exec_lo, exec_lo, s1
.LBB110_373:
	s_and_not1_saveexec_b32 s0, s0
	s_cbranch_execz .LBB110_375
; %bb.374:
	v_dual_mov_b32 v118, v86 :: v_dual_mov_b32 v119, v87
	v_dual_mov_b32 v126, v30 :: v_dual_mov_b32 v127, v31
	ds_store_2addr_b64 v122, v[118:119], v[126:127] offset0:18 offset1:19
	v_dual_mov_b32 v118, v82 :: v_dual_mov_b32 v119, v83
	v_dual_mov_b32 v126, v78 :: v_dual_mov_b32 v127, v79
	ds_store_2addr_b64 v122, v[118:119], v[126:127] offset0:20 offset1:21
	;; [unrolled: 3-line block ×18, first 2 shown]
	v_dual_mov_b32 v118, v20 :: v_dual_mov_b32 v119, v21
	v_mov_b32_e32 v126, 17
	ds_store_2addr_b64 v122, v[118:119], v[116:117] offset0:54 offset1:55
.LBB110_375:
	s_or_b32 exec_lo, exec_lo, s0
	s_delay_alu instid0(SALU_CYCLE_1)
	s_mov_b32 s0, exec_lo
	s_wait_storecnt_dscnt 0x0
	s_barrier_signal -1
	s_barrier_wait -1
	v_cmpx_lt_i32_e32 17, v126
	s_cbranch_execz .LBB110_377
; %bb.376:
	v_pk_mul_f32 v[128:129], v[120:121], v[84:85] op_sel:[1,1] op_sel_hi:[0,1]
	s_delay_alu instid0(VALU_DEP_1)
	v_pk_fma_f32 v[118:119], v[120:121], v[84:85], v[128:129] op_sel_hi:[1,0,1] neg_lo:[0,0,1] neg_hi:[0,0,1]
	v_pk_fma_f32 v[120:121], v[120:121], v[84:85], v[128:129] op_sel_hi:[1,0,1]
	ds_load_2addr_b64 v[128:131], v122 offset0:18 offset1:19
	v_dual_mov_b32 v84, v118 :: v_dual_mov_b32 v85, v121
	s_wait_dscnt 0x0
	v_pk_mul_f32 v[132:133], v[128:129], v[120:121] op_sel:[0,1]
	s_delay_alu instid0(VALU_DEP_1) | instskip(SKIP_1) | instid1(VALU_DEP_1)
	v_pk_fma_f32 v[134:135], v[128:129], v[118:119], v[132:133] op_sel:[0,0,1] op_sel_hi:[1,1,0] neg_lo:[0,0,1] neg_hi:[0,0,1]
	v_pk_fma_f32 v[128:129], v[128:129], v[118:119], v[132:133] op_sel:[0,0,1] op_sel_hi:[1,0,0]
	v_mov_b32_e32 v135, v129
	v_pk_mul_f32 v[128:129], v[130:131], v[120:121] op_sel:[0,1]
	s_delay_alu instid0(VALU_DEP_1) | instskip(SKIP_1) | instid1(VALU_DEP_1)
	v_pk_fma_f32 v[132:133], v[130:131], v[118:119], v[128:129] op_sel:[0,0,1] op_sel_hi:[1,1,0] neg_lo:[0,0,1] neg_hi:[0,0,1]
	v_pk_fma_f32 v[128:129], v[130:131], v[118:119], v[128:129] op_sel:[0,0,1] op_sel_hi:[1,0,0]
	v_mov_b32_e32 v133, v129
	ds_load_2addr_b64 v[128:131], v122 offset0:20 offset1:21
	v_pk_add_f32 v[86:87], v[86:87], v[134:135] neg_lo:[0,1] neg_hi:[0,1]
	v_pk_add_f32 v[30:31], v[30:31], v[132:133] neg_lo:[0,1] neg_hi:[0,1]
	s_wait_dscnt 0x0
	v_pk_mul_f32 v[132:133], v[128:129], v[120:121] op_sel:[0,1]
	s_delay_alu instid0(VALU_DEP_1) | instskip(SKIP_2) | instid1(VALU_DEP_2)
	v_pk_fma_f32 v[134:135], v[128:129], v[118:119], v[132:133] op_sel:[0,0,1] op_sel_hi:[1,1,0] neg_lo:[0,0,1] neg_hi:[0,0,1]
	v_pk_fma_f32 v[128:129], v[128:129], v[118:119], v[132:133] op_sel:[0,0,1] op_sel_hi:[1,0,0]
	v_dual_mul_f32 v132, v131, v121 :: v_dual_mov_b32 v128, v131
	v_dual_mov_b32 v135, v129 :: v_dual_mov_b32 v129, v130
	s_delay_alu instid0(VALU_DEP_2) | instskip(SKIP_1) | instid1(VALU_DEP_3)
	v_pk_fma_f32 v[132:133], v[130:131], v[84:85], v[132:133] op_sel_hi:[1,1,0] neg_lo:[0,0,1] neg_hi:[0,0,1]
	v_mul_f32_e32 v130, v131, v118
	v_pk_add_f32 v[82:83], v[82:83], v[134:135] neg_lo:[0,1] neg_hi:[0,1]
	s_delay_alu instid0(VALU_DEP_2) | instskip(NEXT) | instid1(VALU_DEP_1)
	v_pk_fma_f32 v[128:129], v[128:129], v[84:85], v[130:131] op_sel_hi:[1,1,0]
	v_mov_b32_e32 v133, v129
	ds_load_2addr_b64 v[128:131], v122 offset0:22 offset1:23
	v_pk_add_f32 v[78:79], v[78:79], v[132:133] neg_lo:[0,1] neg_hi:[0,1]
	s_wait_dscnt 0x0
	v_pk_mul_f32 v[132:133], v[128:129], v[120:121] op_sel:[0,1]
	s_delay_alu instid0(VALU_DEP_1) | instskip(SKIP_1) | instid1(VALU_DEP_1)
	v_pk_fma_f32 v[134:135], v[128:129], v[118:119], v[132:133] op_sel:[0,0,1] op_sel_hi:[1,1,0] neg_lo:[0,0,1] neg_hi:[0,0,1]
	v_pk_fma_f32 v[128:129], v[128:129], v[118:119], v[132:133] op_sel:[0,0,1] op_sel_hi:[1,0,0]
	v_mov_b32_e32 v135, v129
	v_pk_mul_f32 v[128:129], v[130:131], v[120:121] op_sel:[0,1]
	s_delay_alu instid0(VALU_DEP_1) | instskip(SKIP_1) | instid1(VALU_DEP_1)
	v_pk_fma_f32 v[132:133], v[130:131], v[118:119], v[128:129] op_sel:[0,0,1] op_sel_hi:[1,1,0] neg_lo:[0,0,1] neg_hi:[0,0,1]
	v_pk_fma_f32 v[128:129], v[130:131], v[118:119], v[128:129] op_sel:[0,0,1] op_sel_hi:[1,0,0]
	v_mov_b32_e32 v133, v129
	ds_load_2addr_b64 v[128:131], v122 offset0:24 offset1:25
	v_pk_add_f32 v[80:81], v[80:81], v[134:135] neg_lo:[0,1] neg_hi:[0,1]
	v_pk_add_f32 v[24:25], v[24:25], v[132:133] neg_lo:[0,1] neg_hi:[0,1]
	s_wait_dscnt 0x0
	v_pk_mul_f32 v[132:133], v[128:129], v[120:121] op_sel:[0,1]
	s_delay_alu instid0(VALU_DEP_1) | instskip(SKIP_1) | instid1(VALU_DEP_1)
	v_pk_fma_f32 v[134:135], v[128:129], v[118:119], v[132:133] op_sel:[0,0,1] op_sel_hi:[1,1,0] neg_lo:[0,0,1] neg_hi:[0,0,1]
	v_pk_fma_f32 v[128:129], v[128:129], v[118:119], v[132:133] op_sel:[0,0,1] op_sel_hi:[1,0,0]
	v_mov_b32_e32 v135, v129
	v_pk_mul_f32 v[128:129], v[130:131], v[120:121] op_sel:[0,1]
	s_delay_alu instid0(VALU_DEP_1) | instskip(SKIP_1) | instid1(VALU_DEP_1)
	v_pk_fma_f32 v[132:133], v[130:131], v[118:119], v[128:129] op_sel:[0,0,1] op_sel_hi:[1,1,0] neg_lo:[0,0,1] neg_hi:[0,0,1]
	v_pk_fma_f32 v[128:129], v[130:131], v[118:119], v[128:129] op_sel:[0,0,1] op_sel_hi:[1,0,0]
	v_mov_b32_e32 v133, v129
	ds_load_2addr_b64 v[128:131], v122 offset0:26 offset1:27
	v_pk_add_f32 v[76:77], v[76:77], v[134:135] neg_lo:[0,1] neg_hi:[0,1]
	v_pk_add_f32 v[72:73], v[72:73], v[132:133] neg_lo:[0,1] neg_hi:[0,1]
	s_wait_dscnt 0x0
	v_dual_mul_f32 v132, v129, v121 :: v_dual_mul_f32 v134, v129, v118
	s_delay_alu instid0(VALU_DEP_1) | instskip(NEXT) | instid1(VALU_DEP_2)
	v_pk_fma_f32 v[132:133], v[128:129], v[84:85], v[132:133] op_sel_hi:[1,1,0] neg_lo:[0,0,1] neg_hi:[0,0,1]
	v_pk_fma_f32 v[128:129], v[128:129], v[84:85], v[134:135] op_sel:[1,0,0] op_sel_hi:[0,1,0]
	s_delay_alu instid0(VALU_DEP_1) | instskip(SKIP_1) | instid1(VALU_DEP_2)
	v_mov_b32_e32 v133, v129
	v_pk_mul_f32 v[128:129], v[130:131], v[120:121] op_sel:[0,1]
	v_pk_add_f32 v[74:75], v[74:75], v[132:133] neg_lo:[0,1] neg_hi:[0,1]
	s_delay_alu instid0(VALU_DEP_2) | instskip(SKIP_1) | instid1(VALU_DEP_1)
	v_pk_fma_f32 v[132:133], v[130:131], v[118:119], v[128:129] op_sel:[0,0,1] op_sel_hi:[1,1,0] neg_lo:[0,0,1] neg_hi:[0,0,1]
	v_pk_fma_f32 v[128:129], v[130:131], v[118:119], v[128:129] op_sel:[0,0,1] op_sel_hi:[1,0,0]
	v_mov_b32_e32 v133, v129
	ds_load_2addr_b64 v[128:131], v122 offset0:28 offset1:29
	v_pk_add_f32 v[18:19], v[18:19], v[132:133] neg_lo:[0,1] neg_hi:[0,1]
	s_wait_dscnt 0x0
	v_pk_mul_f32 v[132:133], v[128:129], v[120:121] op_sel:[0,1]
	s_delay_alu instid0(VALU_DEP_1) | instskip(SKIP_1) | instid1(VALU_DEP_1)
	v_pk_fma_f32 v[134:135], v[128:129], v[118:119], v[132:133] op_sel:[0,0,1] op_sel_hi:[1,1,0] neg_lo:[0,0,1] neg_hi:[0,0,1]
	v_pk_fma_f32 v[128:129], v[128:129], v[118:119], v[132:133] op_sel:[0,0,1] op_sel_hi:[1,0,0]
	v_mov_b32_e32 v135, v129
	v_pk_mul_f32 v[128:129], v[130:131], v[120:121] op_sel:[0,1]
	s_delay_alu instid0(VALU_DEP_2) | instskip(NEXT) | instid1(VALU_DEP_2)
	v_pk_add_f32 v[70:71], v[70:71], v[134:135] neg_lo:[0,1] neg_hi:[0,1]
	v_pk_fma_f32 v[132:133], v[130:131], v[118:119], v[128:129] op_sel:[0,0,1] op_sel_hi:[1,1,0] neg_lo:[0,0,1] neg_hi:[0,0,1]
	v_pk_fma_f32 v[128:129], v[130:131], v[118:119], v[128:129] op_sel:[0,0,1] op_sel_hi:[1,0,0]
	s_delay_alu instid0(VALU_DEP_1) | instskip(SKIP_4) | instid1(VALU_DEP_1)
	v_mov_b32_e32 v133, v129
	ds_load_2addr_b64 v[128:131], v122 offset0:30 offset1:31
	v_pk_add_f32 v[66:67], v[66:67], v[132:133] neg_lo:[0,1] neg_hi:[0,1]
	s_wait_dscnt 0x0
	v_pk_mul_f32 v[132:133], v[128:129], v[120:121] op_sel:[0,1]
	v_pk_fma_f32 v[134:135], v[128:129], v[118:119], v[132:133] op_sel:[0,0,1] op_sel_hi:[1,1,0] neg_lo:[0,0,1] neg_hi:[0,0,1]
	v_pk_fma_f32 v[128:129], v[128:129], v[118:119], v[132:133] op_sel:[0,0,1] op_sel_hi:[1,0,0]
	v_dual_mul_f32 v132, v131, v121 :: v_dual_mov_b32 v128, v131
	s_delay_alu instid0(VALU_DEP_2) | instskip(NEXT) | instid1(VALU_DEP_2)
	v_dual_mov_b32 v135, v129 :: v_dual_mov_b32 v129, v130
	v_pk_fma_f32 v[132:133], v[130:131], v[84:85], v[132:133] op_sel_hi:[1,1,0] neg_lo:[0,0,1] neg_hi:[0,0,1]
	v_mul_f32_e32 v130, v131, v118
	s_delay_alu instid0(VALU_DEP_3) | instskip(NEXT) | instid1(VALU_DEP_2)
	v_pk_add_f32 v[68:69], v[68:69], v[134:135] neg_lo:[0,1] neg_hi:[0,1]
	v_pk_fma_f32 v[128:129], v[128:129], v[84:85], v[130:131] op_sel_hi:[1,1,0]
	s_delay_alu instid0(VALU_DEP_1) | instskip(SKIP_4) | instid1(VALU_DEP_1)
	v_mov_b32_e32 v133, v129
	ds_load_2addr_b64 v[128:131], v122 offset0:32 offset1:33
	v_pk_add_f32 v[16:17], v[16:17], v[132:133] neg_lo:[0,1] neg_hi:[0,1]
	s_wait_dscnt 0x0
	v_pk_mul_f32 v[132:133], v[128:129], v[120:121] op_sel:[0,1]
	v_pk_fma_f32 v[134:135], v[128:129], v[118:119], v[132:133] op_sel:[0,0,1] op_sel_hi:[1,1,0] neg_lo:[0,0,1] neg_hi:[0,0,1]
	v_pk_fma_f32 v[128:129], v[128:129], v[118:119], v[132:133] op_sel:[0,0,1] op_sel_hi:[1,0,0]
	s_delay_alu instid0(VALU_DEP_1) | instskip(SKIP_1) | instid1(VALU_DEP_1)
	v_mov_b32_e32 v135, v129
	v_pk_mul_f32 v[128:129], v[130:131], v[120:121] op_sel:[0,1]
	v_pk_fma_f32 v[132:133], v[130:131], v[118:119], v[128:129] op_sel:[0,0,1] op_sel_hi:[1,1,0] neg_lo:[0,0,1] neg_hi:[0,0,1]
	v_pk_fma_f32 v[128:129], v[130:131], v[118:119], v[128:129] op_sel:[0,0,1] op_sel_hi:[1,0,0]
	s_delay_alu instid0(VALU_DEP_1)
	v_mov_b32_e32 v133, v129
	ds_load_2addr_b64 v[128:131], v122 offset0:34 offset1:35
	v_pk_add_f32 v[64:65], v[64:65], v[134:135] neg_lo:[0,1] neg_hi:[0,1]
	v_pk_add_f32 v[60:61], v[60:61], v[132:133] neg_lo:[0,1] neg_hi:[0,1]
	s_wait_dscnt 0x0
	v_pk_mul_f32 v[132:133], v[128:129], v[120:121] op_sel:[0,1]
	s_delay_alu instid0(VALU_DEP_1) | instskip(SKIP_1) | instid1(VALU_DEP_1)
	v_pk_fma_f32 v[134:135], v[128:129], v[118:119], v[132:133] op_sel:[0,0,1] op_sel_hi:[1,1,0] neg_lo:[0,0,1] neg_hi:[0,0,1]
	v_pk_fma_f32 v[128:129], v[128:129], v[118:119], v[132:133] op_sel:[0,0,1] op_sel_hi:[1,0,0]
	v_mov_b32_e32 v135, v129
	v_pk_mul_f32 v[128:129], v[130:131], v[120:121] op_sel:[0,1]
	s_delay_alu instid0(VALU_DEP_1) | instskip(SKIP_1) | instid1(VALU_DEP_1)
	v_pk_fma_f32 v[132:133], v[130:131], v[118:119], v[128:129] op_sel:[0,0,1] op_sel_hi:[1,1,0] neg_lo:[0,0,1] neg_hi:[0,0,1]
	v_pk_fma_f32 v[128:129], v[130:131], v[118:119], v[128:129] op_sel:[0,0,1] op_sel_hi:[1,0,0]
	v_mov_b32_e32 v133, v129
	ds_load_2addr_b64 v[128:131], v122 offset0:36 offset1:37
	v_pk_add_f32 v[62:63], v[62:63], v[134:135] neg_lo:[0,1] neg_hi:[0,1]
	v_pk_add_f32 v[14:15], v[14:15], v[132:133] neg_lo:[0,1] neg_hi:[0,1]
	s_wait_dscnt 0x0
	v_dual_mul_f32 v132, v129, v121 :: v_dual_mul_f32 v134, v129, v118
	s_delay_alu instid0(VALU_DEP_1) | instskip(NEXT) | instid1(VALU_DEP_2)
	v_pk_fma_f32 v[132:133], v[128:129], v[84:85], v[132:133] op_sel_hi:[1,1,0] neg_lo:[0,0,1] neg_hi:[0,0,1]
	v_pk_fma_f32 v[128:129], v[128:129], v[84:85], v[134:135] op_sel:[1,0,0] op_sel_hi:[0,1,0]
	s_delay_alu instid0(VALU_DEP_1) | instskip(SKIP_1) | instid1(VALU_DEP_2)
	v_mov_b32_e32 v133, v129
	v_pk_mul_f32 v[128:129], v[130:131], v[120:121] op_sel:[0,1]
	v_pk_add_f32 v[58:59], v[58:59], v[132:133] neg_lo:[0,1] neg_hi:[0,1]
	s_delay_alu instid0(VALU_DEP_2) | instskip(SKIP_1) | instid1(VALU_DEP_1)
	v_pk_fma_f32 v[132:133], v[130:131], v[118:119], v[128:129] op_sel:[0,0,1] op_sel_hi:[1,1,0] neg_lo:[0,0,1] neg_hi:[0,0,1]
	v_pk_fma_f32 v[128:129], v[130:131], v[118:119], v[128:129] op_sel:[0,0,1] op_sel_hi:[1,0,0]
	v_mov_b32_e32 v133, v129
	ds_load_2addr_b64 v[128:131], v122 offset0:38 offset1:39
	v_pk_add_f32 v[54:55], v[54:55], v[132:133] neg_lo:[0,1] neg_hi:[0,1]
	s_wait_dscnt 0x0
	v_pk_mul_f32 v[132:133], v[128:129], v[120:121] op_sel:[0,1]
	s_delay_alu instid0(VALU_DEP_1) | instskip(SKIP_1) | instid1(VALU_DEP_1)
	v_pk_fma_f32 v[134:135], v[128:129], v[118:119], v[132:133] op_sel:[0,0,1] op_sel_hi:[1,1,0] neg_lo:[0,0,1] neg_hi:[0,0,1]
	v_pk_fma_f32 v[128:129], v[128:129], v[118:119], v[132:133] op_sel:[0,0,1] op_sel_hi:[1,0,0]
	v_mov_b32_e32 v135, v129
	v_pk_mul_f32 v[128:129], v[130:131], v[120:121] op_sel:[0,1]
	s_delay_alu instid0(VALU_DEP_2) | instskip(NEXT) | instid1(VALU_DEP_2)
	v_pk_add_f32 v[56:57], v[56:57], v[134:135] neg_lo:[0,1] neg_hi:[0,1]
	v_pk_fma_f32 v[132:133], v[130:131], v[118:119], v[128:129] op_sel:[0,0,1] op_sel_hi:[1,1,0] neg_lo:[0,0,1] neg_hi:[0,0,1]
	v_pk_fma_f32 v[128:129], v[130:131], v[118:119], v[128:129] op_sel:[0,0,1] op_sel_hi:[1,0,0]
	s_delay_alu instid0(VALU_DEP_1) | instskip(SKIP_4) | instid1(VALU_DEP_1)
	v_mov_b32_e32 v133, v129
	ds_load_2addr_b64 v[128:131], v122 offset0:40 offset1:41
	v_pk_add_f32 v[12:13], v[12:13], v[132:133] neg_lo:[0,1] neg_hi:[0,1]
	s_wait_dscnt 0x0
	v_pk_mul_f32 v[132:133], v[128:129], v[120:121] op_sel:[0,1]
	v_pk_fma_f32 v[134:135], v[128:129], v[118:119], v[132:133] op_sel:[0,0,1] op_sel_hi:[1,1,0] neg_lo:[0,0,1] neg_hi:[0,0,1]
	v_pk_fma_f32 v[128:129], v[128:129], v[118:119], v[132:133] op_sel:[0,0,1] op_sel_hi:[1,0,0]
	v_dual_mul_f32 v132, v131, v121 :: v_dual_mov_b32 v128, v131
	s_delay_alu instid0(VALU_DEP_2) | instskip(NEXT) | instid1(VALU_DEP_2)
	v_dual_mov_b32 v135, v129 :: v_dual_mov_b32 v129, v130
	v_pk_fma_f32 v[132:133], v[130:131], v[84:85], v[132:133] op_sel_hi:[1,1,0] neg_lo:[0,0,1] neg_hi:[0,0,1]
	v_mul_f32_e32 v130, v131, v118
	s_delay_alu instid0(VALU_DEP_3) | instskip(NEXT) | instid1(VALU_DEP_2)
	v_pk_add_f32 v[52:53], v[52:53], v[134:135] neg_lo:[0,1] neg_hi:[0,1]
	v_pk_fma_f32 v[128:129], v[128:129], v[84:85], v[130:131] op_sel_hi:[1,1,0]
	s_delay_alu instid0(VALU_DEP_1) | instskip(SKIP_4) | instid1(VALU_DEP_1)
	v_mov_b32_e32 v133, v129
	ds_load_2addr_b64 v[128:131], v122 offset0:42 offset1:43
	v_pk_add_f32 v[48:49], v[48:49], v[132:133] neg_lo:[0,1] neg_hi:[0,1]
	s_wait_dscnt 0x0
	v_pk_mul_f32 v[132:133], v[128:129], v[120:121] op_sel:[0,1]
	v_pk_fma_f32 v[134:135], v[128:129], v[118:119], v[132:133] op_sel:[0,0,1] op_sel_hi:[1,1,0] neg_lo:[0,0,1] neg_hi:[0,0,1]
	v_pk_fma_f32 v[128:129], v[128:129], v[118:119], v[132:133] op_sel:[0,0,1] op_sel_hi:[1,0,0]
	s_delay_alu instid0(VALU_DEP_1) | instskip(SKIP_1) | instid1(VALU_DEP_1)
	v_mov_b32_e32 v135, v129
	v_pk_mul_f32 v[128:129], v[130:131], v[120:121] op_sel:[0,1]
	v_pk_fma_f32 v[132:133], v[130:131], v[118:119], v[128:129] op_sel:[0,0,1] op_sel_hi:[1,1,0] neg_lo:[0,0,1] neg_hi:[0,0,1]
	v_pk_fma_f32 v[128:129], v[130:131], v[118:119], v[128:129] op_sel:[0,0,1] op_sel_hi:[1,0,0]
	s_delay_alu instid0(VALU_DEP_1)
	v_mov_b32_e32 v133, v129
	ds_load_2addr_b64 v[128:131], v122 offset0:44 offset1:45
	v_pk_add_f32 v[50:51], v[50:51], v[134:135] neg_lo:[0,1] neg_hi:[0,1]
	v_pk_add_f32 v[10:11], v[10:11], v[132:133] neg_lo:[0,1] neg_hi:[0,1]
	s_wait_dscnt 0x0
	v_pk_mul_f32 v[132:133], v[128:129], v[120:121] op_sel:[0,1]
	s_delay_alu instid0(VALU_DEP_1) | instskip(SKIP_1) | instid1(VALU_DEP_1)
	v_pk_fma_f32 v[134:135], v[128:129], v[118:119], v[132:133] op_sel:[0,0,1] op_sel_hi:[1,1,0] neg_lo:[0,0,1] neg_hi:[0,0,1]
	v_pk_fma_f32 v[128:129], v[128:129], v[118:119], v[132:133] op_sel:[0,0,1] op_sel_hi:[1,0,0]
	v_mov_b32_e32 v135, v129
	v_pk_mul_f32 v[128:129], v[130:131], v[120:121] op_sel:[0,1]
	s_delay_alu instid0(VALU_DEP_1) | instskip(SKIP_1) | instid1(VALU_DEP_1)
	v_pk_fma_f32 v[132:133], v[130:131], v[118:119], v[128:129] op_sel:[0,0,1] op_sel_hi:[1,1,0] neg_lo:[0,0,1] neg_hi:[0,0,1]
	v_pk_fma_f32 v[128:129], v[130:131], v[118:119], v[128:129] op_sel:[0,0,1] op_sel_hi:[1,0,0]
	v_mov_b32_e32 v133, v129
	ds_load_2addr_b64 v[128:131], v122 offset0:46 offset1:47
	v_pk_add_f32 v[46:47], v[46:47], v[134:135] neg_lo:[0,1] neg_hi:[0,1]
	v_pk_add_f32 v[42:43], v[42:43], v[132:133] neg_lo:[0,1] neg_hi:[0,1]
	s_wait_dscnt 0x0
	v_dual_mul_f32 v132, v129, v121 :: v_dual_mul_f32 v134, v129, v118
	s_delay_alu instid0(VALU_DEP_1) | instskip(NEXT) | instid1(VALU_DEP_2)
	v_pk_fma_f32 v[132:133], v[128:129], v[84:85], v[132:133] op_sel_hi:[1,1,0] neg_lo:[0,0,1] neg_hi:[0,0,1]
	v_pk_fma_f32 v[128:129], v[128:129], v[84:85], v[134:135] op_sel:[1,0,0] op_sel_hi:[0,1,0]
	s_delay_alu instid0(VALU_DEP_1) | instskip(SKIP_1) | instid1(VALU_DEP_2)
	v_mov_b32_e32 v133, v129
	v_pk_mul_f32 v[128:129], v[130:131], v[120:121] op_sel:[0,1]
	v_pk_add_f32 v[44:45], v[44:45], v[132:133] neg_lo:[0,1] neg_hi:[0,1]
	s_delay_alu instid0(VALU_DEP_2) | instskip(SKIP_1) | instid1(VALU_DEP_1)
	v_pk_fma_f32 v[132:133], v[130:131], v[118:119], v[128:129] op_sel:[0,0,1] op_sel_hi:[1,1,0] neg_lo:[0,0,1] neg_hi:[0,0,1]
	v_pk_fma_f32 v[128:129], v[130:131], v[118:119], v[128:129] op_sel:[0,0,1] op_sel_hi:[1,0,0]
	v_mov_b32_e32 v133, v129
	ds_load_2addr_b64 v[128:131], v122 offset0:48 offset1:49
	v_pk_add_f32 v[6:7], v[6:7], v[132:133] neg_lo:[0,1] neg_hi:[0,1]
	s_wait_dscnt 0x0
	v_pk_mul_f32 v[132:133], v[128:129], v[120:121] op_sel:[0,1]
	s_delay_alu instid0(VALU_DEP_1) | instskip(SKIP_1) | instid1(VALU_DEP_1)
	v_pk_fma_f32 v[134:135], v[128:129], v[118:119], v[132:133] op_sel:[0,0,1] op_sel_hi:[1,1,0] neg_lo:[0,0,1] neg_hi:[0,0,1]
	v_pk_fma_f32 v[128:129], v[128:129], v[118:119], v[132:133] op_sel:[0,0,1] op_sel_hi:[1,0,0]
	v_mov_b32_e32 v135, v129
	v_pk_mul_f32 v[128:129], v[130:131], v[120:121] op_sel:[0,1]
	s_delay_alu instid0(VALU_DEP_2) | instskip(NEXT) | instid1(VALU_DEP_2)
	v_pk_add_f32 v[34:35], v[34:35], v[134:135] neg_lo:[0,1] neg_hi:[0,1]
	v_pk_fma_f32 v[132:133], v[130:131], v[118:119], v[128:129] op_sel:[0,0,1] op_sel_hi:[1,1,0] neg_lo:[0,0,1] neg_hi:[0,0,1]
	v_pk_fma_f32 v[128:129], v[130:131], v[118:119], v[128:129] op_sel:[0,0,1] op_sel_hi:[1,0,0]
	s_delay_alu instid0(VALU_DEP_1) | instskip(SKIP_4) | instid1(VALU_DEP_1)
	v_mov_b32_e32 v133, v129
	ds_load_2addr_b64 v[128:131], v122 offset0:50 offset1:51
	v_pk_add_f32 v[28:29], v[28:29], v[132:133] neg_lo:[0,1] neg_hi:[0,1]
	s_wait_dscnt 0x0
	v_pk_mul_f32 v[132:133], v[128:129], v[120:121] op_sel:[0,1]
	v_pk_fma_f32 v[134:135], v[128:129], v[118:119], v[132:133] op_sel:[0,0,1] op_sel_hi:[1,1,0] neg_lo:[0,0,1] neg_hi:[0,0,1]
	v_pk_fma_f32 v[128:129], v[128:129], v[118:119], v[132:133] op_sel:[0,0,1] op_sel_hi:[1,0,0]
	v_dual_mul_f32 v132, v131, v121 :: v_dual_mov_b32 v128, v131
	s_delay_alu instid0(VALU_DEP_2) | instskip(NEXT) | instid1(VALU_DEP_2)
	v_dual_mov_b32 v135, v129 :: v_dual_mov_b32 v129, v130
	v_pk_fma_f32 v[132:133], v[130:131], v[84:85], v[132:133] op_sel_hi:[1,1,0] neg_lo:[0,0,1] neg_hi:[0,0,1]
	v_mul_f32_e32 v130, v131, v118
	s_delay_alu instid0(VALU_DEP_3) | instskip(NEXT) | instid1(VALU_DEP_2)
	v_pk_add_f32 v[32:33], v[32:33], v[134:135] neg_lo:[0,1] neg_hi:[0,1]
	v_pk_fma_f32 v[128:129], v[128:129], v[84:85], v[130:131] op_sel_hi:[1,1,0]
	s_delay_alu instid0(VALU_DEP_1) | instskip(SKIP_4) | instid1(VALU_DEP_1)
	v_mov_b32_e32 v133, v129
	ds_load_2addr_b64 v[128:131], v122 offset0:52 offset1:53
	v_pk_add_f32 v[8:9], v[8:9], v[132:133] neg_lo:[0,1] neg_hi:[0,1]
	s_wait_dscnt 0x0
	v_pk_mul_f32 v[132:133], v[128:129], v[120:121] op_sel:[0,1]
	v_pk_fma_f32 v[134:135], v[128:129], v[118:119], v[132:133] op_sel:[0,0,1] op_sel_hi:[1,1,0] neg_lo:[0,0,1] neg_hi:[0,0,1]
	v_pk_fma_f32 v[128:129], v[128:129], v[118:119], v[132:133] op_sel:[0,0,1] op_sel_hi:[1,0,0]
	s_delay_alu instid0(VALU_DEP_1) | instskip(SKIP_1) | instid1(VALU_DEP_1)
	v_mov_b32_e32 v135, v129
	v_pk_mul_f32 v[128:129], v[130:131], v[120:121] op_sel:[0,1]
	v_pk_fma_f32 v[132:133], v[130:131], v[118:119], v[128:129] op_sel:[0,0,1] op_sel_hi:[1,1,0] neg_lo:[0,0,1] neg_hi:[0,0,1]
	v_pk_fma_f32 v[128:129], v[130:131], v[118:119], v[128:129] op_sel:[0,0,1] op_sel_hi:[1,0,0]
	s_delay_alu instid0(VALU_DEP_1)
	v_mov_b32_e32 v133, v129
	ds_load_2addr_b64 v[128:131], v122 offset0:54 offset1:55
	v_pk_add_f32 v[26:27], v[26:27], v[134:135] neg_lo:[0,1] neg_hi:[0,1]
	v_pk_add_f32 v[22:23], v[22:23], v[132:133] neg_lo:[0,1] neg_hi:[0,1]
	s_wait_dscnt 0x0
	v_pk_mul_f32 v[132:133], v[128:129], v[120:121] op_sel:[0,1]
	v_pk_mul_f32 v[120:121], v[130:131], v[120:121] op_sel:[0,1]
	s_delay_alu instid0(VALU_DEP_2) | instskip(SKIP_1) | instid1(VALU_DEP_1)
	v_pk_fma_f32 v[134:135], v[128:129], v[118:119], v[132:133] op_sel:[0,0,1] op_sel_hi:[1,1,0] neg_lo:[0,0,1] neg_hi:[0,0,1]
	v_pk_fma_f32 v[128:129], v[128:129], v[118:119], v[132:133] op_sel:[0,0,1] op_sel_hi:[1,0,0]
	v_mov_b32_e32 v135, v129
	s_delay_alu instid0(VALU_DEP_4) | instskip(SKIP_1) | instid1(VALU_DEP_1)
	v_pk_fma_f32 v[128:129], v[130:131], v[118:119], v[120:121] op_sel:[0,0,1] op_sel_hi:[1,1,0] neg_lo:[0,0,1] neg_hi:[0,0,1]
	v_pk_fma_f32 v[118:119], v[130:131], v[118:119], v[120:121] op_sel:[0,0,1] op_sel_hi:[1,0,0]
	v_mov_b32_e32 v129, v119
	s_delay_alu instid0(VALU_DEP_4) | instskip(NEXT) | instid1(VALU_DEP_2)
	v_pk_add_f32 v[20:21], v[20:21], v[134:135] neg_lo:[0,1] neg_hi:[0,1]
	v_pk_add_f32 v[116:117], v[116:117], v[128:129] neg_lo:[0,1] neg_hi:[0,1]
.LBB110_377:
	s_or_b32 exec_lo, exec_lo, s0
	v_lshl_add_u32 v118, v126, 3, v122
	s_barrier_signal -1
	s_barrier_wait -1
	ds_store_b64 v118, v[86:87]
	s_wait_dscnt 0x0
	s_barrier_signal -1
	s_barrier_wait -1
	ds_load_b64 v[120:121], v122 offset:144
	v_mov_b32_e32 v118, 18
	s_cmp_lt_i32 s18, 20
	s_cbranch_scc1 .LBB110_380
; %bb.378:
	v_add3_u32 v119, v123, 0, 0x98
	v_mov_b32_e32 v118, 18
	s_mov_b32 s0, 19
.LBB110_379:                            ; =>This Inner Loop Header: Depth=1
	ds_load_b64 v[128:129], v119
	s_wait_dscnt 0x1
	v_cmp_gt_f32_e32 vcc_lo, 0, v120
	v_cndmask_b32_e64 v130, v120, -v120, vcc_lo
	v_cmp_gt_f32_e32 vcc_lo, 0, v121
	v_cndmask_b32_e64 v132, v121, -v121, vcc_lo
	s_wait_dscnt 0x0
	v_cmp_gt_f32_e32 vcc_lo, 0, v128
	v_cndmask_b32_e64 v131, v128, -v128, vcc_lo
	v_cmp_gt_f32_e32 vcc_lo, 0, v129
	v_cndmask_b32_e64 v133, v129, -v129, vcc_lo
	s_delay_alu instid0(VALU_DEP_1) | instskip(NEXT) | instid1(VALU_DEP_1)
	v_pk_add_f32 v[130:131], v[130:131], v[132:133]
	v_cmp_lt_f32_e32 vcc_lo, v130, v131
	v_dual_add_nc_u32 v119, 8, v119 :: v_dual_cndmask_b32 v121, v121, v129, vcc_lo
	v_cndmask_b32_e32 v120, v120, v128, vcc_lo
	v_cndmask_b32_e64 v118, v118, s0, vcc_lo
	s_add_co_i32 s0, s0, 1
	s_delay_alu instid0(SALU_CYCLE_1)
	s_cmp_lg_u32 s18, s0
	s_cbranch_scc1 .LBB110_379
.LBB110_380:
	s_wait_dscnt 0x0
	v_cmp_eq_f32_e32 vcc_lo, 0, v120
	v_cmp_eq_f32_e64 s0, 0, v121
	s_and_b32 s0, vcc_lo, s0
	s_delay_alu instid0(SALU_CYCLE_1) | instskip(NEXT) | instid1(SALU_CYCLE_1)
	s_and_saveexec_b32 s1, s0
	s_xor_b32 s0, exec_lo, s1
; %bb.381:
	v_cmp_ne_u32_e32 vcc_lo, 0, v124
	v_cndmask_b32_e32 v124, 19, v124, vcc_lo
; %bb.382:
	s_and_not1_saveexec_b32 s0, s0
	s_cbranch_execz .LBB110_388
; %bb.383:
	v_cmp_ngt_f32_e64 s1, |v120|, |v121|
	s_and_saveexec_b32 s12, s1
	s_delay_alu instid0(SALU_CYCLE_1)
	s_xor_b32 s1, exec_lo, s12
	s_cbranch_execz .LBB110_385
; %bb.384:
	v_div_scale_f32 v119, null, v121, v121, v120
	v_div_scale_f32 v129, vcc_lo, v120, v121, v120
	s_delay_alu instid0(VALU_DEP_2) | instskip(SKIP_1) | instid1(TRANS32_DEP_1)
	v_rcp_f32_e32 v127, v119
	v_nop
	v_fma_f32 v128, -v119, v127, 1.0
	s_delay_alu instid0(VALU_DEP_1) | instskip(NEXT) | instid1(VALU_DEP_1)
	v_fmac_f32_e32 v127, v128, v127
	v_mul_f32_e32 v128, v129, v127
	s_delay_alu instid0(VALU_DEP_1) | instskip(NEXT) | instid1(VALU_DEP_1)
	v_fma_f32 v130, -v119, v128, v129
	v_fmac_f32_e32 v128, v130, v127
	s_delay_alu instid0(VALU_DEP_1) | instskip(NEXT) | instid1(VALU_DEP_1)
	v_fma_f32 v119, -v119, v128, v129
	v_div_fmas_f32 v119, v119, v127, v128
	s_delay_alu instid0(VALU_DEP_1) | instskip(NEXT) | instid1(VALU_DEP_1)
	v_div_fixup_f32 v119, v119, v121, v120
	v_fmac_f32_e32 v121, v120, v119
	s_delay_alu instid0(VALU_DEP_1) | instskip(SKIP_1) | instid1(VALU_DEP_2)
	v_div_scale_f32 v120, null, v121, v121, 1.0
	v_div_scale_f32 v129, vcc_lo, 1.0, v121, 1.0
	v_rcp_f32_e32 v127, v120
	v_nop
	s_delay_alu instid0(TRANS32_DEP_1) | instskip(NEXT) | instid1(VALU_DEP_1)
	v_fma_f32 v128, -v120, v127, 1.0
	v_fmac_f32_e32 v127, v128, v127
	s_delay_alu instid0(VALU_DEP_1) | instskip(NEXT) | instid1(VALU_DEP_1)
	v_mul_f32_e32 v128, v129, v127
	v_fma_f32 v130, -v120, v128, v129
	s_delay_alu instid0(VALU_DEP_1) | instskip(NEXT) | instid1(VALU_DEP_1)
	v_fmac_f32_e32 v128, v130, v127
	v_fma_f32 v120, -v120, v128, v129
	s_delay_alu instid0(VALU_DEP_1) | instskip(NEXT) | instid1(VALU_DEP_1)
	v_div_fmas_f32 v120, v120, v127, v128
	v_div_fixup_f32 v121, v120, v121, 1.0
	s_delay_alu instid0(VALU_DEP_1)
	v_mul_f32_e32 v120, v119, v121
	v_xor_b32_e32 v121, 0x80000000, v121
.LBB110_385:
	s_and_not1_saveexec_b32 s1, s1
	s_cbranch_execz .LBB110_387
; %bb.386:
	s_delay_alu instid0(VALU_DEP_1) | instskip(SKIP_1) | instid1(VALU_DEP_2)
	v_div_scale_f32 v119, null, v120, v120, v121
	v_div_scale_f32 v129, vcc_lo, v121, v120, v121
	v_rcp_f32_e32 v127, v119
	v_nop
	s_delay_alu instid0(TRANS32_DEP_1) | instskip(NEXT) | instid1(VALU_DEP_1)
	v_fma_f32 v128, -v119, v127, 1.0
	v_fmac_f32_e32 v127, v128, v127
	s_delay_alu instid0(VALU_DEP_1) | instskip(NEXT) | instid1(VALU_DEP_1)
	v_mul_f32_e32 v128, v129, v127
	v_fma_f32 v130, -v119, v128, v129
	s_delay_alu instid0(VALU_DEP_1) | instskip(NEXT) | instid1(VALU_DEP_1)
	v_fmac_f32_e32 v128, v130, v127
	v_fma_f32 v119, -v119, v128, v129
	s_delay_alu instid0(VALU_DEP_1) | instskip(NEXT) | instid1(VALU_DEP_1)
	v_div_fmas_f32 v119, v119, v127, v128
	v_div_fixup_f32 v119, v119, v120, v121
	s_delay_alu instid0(VALU_DEP_1) | instskip(NEXT) | instid1(VALU_DEP_1)
	v_fmac_f32_e32 v120, v121, v119
	v_div_scale_f32 v121, null, v120, v120, 1.0
	s_delay_alu instid0(VALU_DEP_1) | instskip(SKIP_1) | instid1(TRANS32_DEP_1)
	v_rcp_f32_e32 v127, v121
	v_nop
	v_fma_f32 v128, -v121, v127, 1.0
	s_delay_alu instid0(VALU_DEP_1) | instskip(SKIP_1) | instid1(VALU_DEP_1)
	v_fmac_f32_e32 v127, v128, v127
	v_div_scale_f32 v128, vcc_lo, 1.0, v120, 1.0
	v_mul_f32_e32 v129, v128, v127
	s_delay_alu instid0(VALU_DEP_1) | instskip(NEXT) | instid1(VALU_DEP_1)
	v_fma_f32 v130, -v121, v129, v128
	v_fmac_f32_e32 v129, v130, v127
	s_delay_alu instid0(VALU_DEP_1) | instskip(NEXT) | instid1(VALU_DEP_1)
	v_fma_f32 v121, -v121, v129, v128
	v_div_fmas_f32 v121, v121, v127, v129
	s_delay_alu instid0(VALU_DEP_1) | instskip(NEXT) | instid1(VALU_DEP_1)
	v_div_fixup_f32 v120, v121, v120, 1.0
	v_mul_f32_e64 v121, v119, -v120
.LBB110_387:
	s_or_b32 exec_lo, exec_lo, s1
.LBB110_388:
	s_delay_alu instid0(SALU_CYCLE_1) | instskip(NEXT) | instid1(SALU_CYCLE_1)
	s_or_b32 exec_lo, exec_lo, s0
	s_mov_b32 s0, exec_lo
	v_cmpx_ne_u32_e64 v126, v118
	s_xor_b32 s0, exec_lo, s0
	s_cbranch_execz .LBB110_394
; %bb.389:
	s_mov_b32 s1, exec_lo
	v_cmpx_eq_u32_e32 18, v126
	s_cbranch_execz .LBB110_393
; %bb.390:
	v_cmp_ne_u32_e32 vcc_lo, 18, v118
	s_xor_b32 s12, s16, -1
	s_delay_alu instid0(SALU_CYCLE_1) | instskip(NEXT) | instid1(SALU_CYCLE_1)
	s_and_b32 s13, s12, vcc_lo
	s_and_saveexec_b32 s12, s13
	s_cbranch_execz .LBB110_392
; %bb.391:
	v_ashrrev_i32_e32 v119, 31, v118
	s_delay_alu instid0(VALU_DEP_1)
	v_lshl_add_u64 v[126:127], v[118:119], 2, v[4:5]
	s_clause 0x1
	global_load_b32 v119, v[126:127], off
	global_load_b32 v125, v[4:5], off offset:72
	s_wait_loadcnt 0x1
	global_store_b32 v[4:5], v119, off offset:72
	s_wait_loadcnt 0x0
	global_store_b32 v[126:127], v125, off
.LBB110_392:
	s_wait_xcnt 0x0
	s_or_b32 exec_lo, exec_lo, s12
	v_dual_mov_b32 v126, v118 :: v_dual_mov_b32 v125, v118
.LBB110_393:
	s_or_b32 exec_lo, exec_lo, s1
.LBB110_394:
	s_and_not1_saveexec_b32 s0, s0
	s_cbranch_execz .LBB110_396
; %bb.395:
	v_mov_b32_e32 v126, 18
	ds_store_2addr_b64 v122, v[30:31], v[82:83] offset0:19 offset1:20
	ds_store_2addr_b64 v122, v[78:79], v[80:81] offset0:21 offset1:22
	;; [unrolled: 1-line block ×18, first 2 shown]
	ds_store_b64 v122, v[116:117] offset:440
.LBB110_396:
	s_or_b32 exec_lo, exec_lo, s0
	s_delay_alu instid0(SALU_CYCLE_1)
	s_mov_b32 s0, exec_lo
	s_wait_storecnt_dscnt 0x0
	s_barrier_signal -1
	s_barrier_wait -1
	v_cmpx_lt_i32_e32 18, v126
	s_cbranch_execz .LBB110_398
; %bb.397:
	v_pk_mul_f32 v[128:129], v[120:121], v[86:87] op_sel:[1,1] op_sel_hi:[0,1]
	s_delay_alu instid0(VALU_DEP_1)
	v_pk_fma_f32 v[118:119], v[120:121], v[86:87], v[128:129] op_sel_hi:[1,0,1] neg_lo:[0,0,1] neg_hi:[0,0,1]
	v_pk_fma_f32 v[120:121], v[120:121], v[86:87], v[128:129] op_sel_hi:[1,0,1]
	ds_load_2addr_b64 v[128:131], v122 offset0:19 offset1:20
	v_dual_mov_b32 v86, v118 :: v_dual_mov_b32 v87, v121
	s_wait_dscnt 0x0
	v_pk_mul_f32 v[132:133], v[128:129], v[120:121] op_sel:[0,1]
	s_delay_alu instid0(VALU_DEP_1) | instskip(SKIP_1) | instid1(VALU_DEP_1)
	v_pk_fma_f32 v[134:135], v[128:129], v[118:119], v[132:133] op_sel:[0,0,1] op_sel_hi:[1,1,0] neg_lo:[0,0,1] neg_hi:[0,0,1]
	v_pk_fma_f32 v[128:129], v[128:129], v[118:119], v[132:133] op_sel:[0,0,1] op_sel_hi:[1,0,0]
	v_mov_b32_e32 v135, v129
	v_pk_mul_f32 v[128:129], v[130:131], v[120:121] op_sel:[0,1]
	s_delay_alu instid0(VALU_DEP_1) | instskip(SKIP_1) | instid1(VALU_DEP_1)
	v_pk_fma_f32 v[132:133], v[130:131], v[118:119], v[128:129] op_sel:[0,0,1] op_sel_hi:[1,1,0] neg_lo:[0,0,1] neg_hi:[0,0,1]
	v_pk_fma_f32 v[128:129], v[130:131], v[118:119], v[128:129] op_sel:[0,0,1] op_sel_hi:[1,0,0]
	v_mov_b32_e32 v133, v129
	ds_load_2addr_b64 v[128:131], v122 offset0:21 offset1:22
	v_pk_add_f32 v[30:31], v[30:31], v[134:135] neg_lo:[0,1] neg_hi:[0,1]
	v_pk_add_f32 v[82:83], v[82:83], v[132:133] neg_lo:[0,1] neg_hi:[0,1]
	s_wait_dscnt 0x0
	v_pk_mul_f32 v[132:133], v[128:129], v[120:121] op_sel:[0,1]
	s_delay_alu instid0(VALU_DEP_1) | instskip(SKIP_2) | instid1(VALU_DEP_2)
	v_pk_fma_f32 v[134:135], v[128:129], v[118:119], v[132:133] op_sel:[0,0,1] op_sel_hi:[1,1,0] neg_lo:[0,0,1] neg_hi:[0,0,1]
	v_pk_fma_f32 v[128:129], v[128:129], v[118:119], v[132:133] op_sel:[0,0,1] op_sel_hi:[1,0,0]
	v_dual_mul_f32 v132, v131, v121 :: v_dual_mov_b32 v128, v131
	v_dual_mov_b32 v135, v129 :: v_dual_mov_b32 v129, v130
	s_delay_alu instid0(VALU_DEP_2) | instskip(SKIP_1) | instid1(VALU_DEP_3)
	v_pk_fma_f32 v[132:133], v[130:131], v[86:87], v[132:133] op_sel_hi:[1,1,0] neg_lo:[0,0,1] neg_hi:[0,0,1]
	v_mul_f32_e32 v130, v131, v118
	v_pk_add_f32 v[78:79], v[78:79], v[134:135] neg_lo:[0,1] neg_hi:[0,1]
	s_delay_alu instid0(VALU_DEP_2) | instskip(NEXT) | instid1(VALU_DEP_1)
	v_pk_fma_f32 v[128:129], v[128:129], v[86:87], v[130:131] op_sel_hi:[1,1,0]
	v_mov_b32_e32 v133, v129
	ds_load_2addr_b64 v[128:131], v122 offset0:23 offset1:24
	v_pk_add_f32 v[80:81], v[80:81], v[132:133] neg_lo:[0,1] neg_hi:[0,1]
	s_wait_dscnt 0x0
	v_pk_mul_f32 v[132:133], v[128:129], v[120:121] op_sel:[0,1]
	s_delay_alu instid0(VALU_DEP_1) | instskip(SKIP_1) | instid1(VALU_DEP_1)
	v_pk_fma_f32 v[134:135], v[128:129], v[118:119], v[132:133] op_sel:[0,0,1] op_sel_hi:[1,1,0] neg_lo:[0,0,1] neg_hi:[0,0,1]
	v_pk_fma_f32 v[128:129], v[128:129], v[118:119], v[132:133] op_sel:[0,0,1] op_sel_hi:[1,0,0]
	v_mov_b32_e32 v135, v129
	v_pk_mul_f32 v[128:129], v[130:131], v[120:121] op_sel:[0,1]
	s_delay_alu instid0(VALU_DEP_1) | instskip(SKIP_1) | instid1(VALU_DEP_1)
	v_pk_fma_f32 v[132:133], v[130:131], v[118:119], v[128:129] op_sel:[0,0,1] op_sel_hi:[1,1,0] neg_lo:[0,0,1] neg_hi:[0,0,1]
	v_pk_fma_f32 v[128:129], v[130:131], v[118:119], v[128:129] op_sel:[0,0,1] op_sel_hi:[1,0,0]
	v_mov_b32_e32 v133, v129
	ds_load_2addr_b64 v[128:131], v122 offset0:25 offset1:26
	v_pk_add_f32 v[24:25], v[24:25], v[134:135] neg_lo:[0,1] neg_hi:[0,1]
	v_pk_add_f32 v[76:77], v[76:77], v[132:133] neg_lo:[0,1] neg_hi:[0,1]
	s_wait_dscnt 0x0
	v_pk_mul_f32 v[132:133], v[128:129], v[120:121] op_sel:[0,1]
	s_delay_alu instid0(VALU_DEP_1) | instskip(SKIP_1) | instid1(VALU_DEP_1)
	v_pk_fma_f32 v[134:135], v[128:129], v[118:119], v[132:133] op_sel:[0,0,1] op_sel_hi:[1,1,0] neg_lo:[0,0,1] neg_hi:[0,0,1]
	v_pk_fma_f32 v[128:129], v[128:129], v[118:119], v[132:133] op_sel:[0,0,1] op_sel_hi:[1,0,0]
	v_mov_b32_e32 v135, v129
	v_pk_mul_f32 v[128:129], v[130:131], v[120:121] op_sel:[0,1]
	s_delay_alu instid0(VALU_DEP_1) | instskip(SKIP_1) | instid1(VALU_DEP_1)
	v_pk_fma_f32 v[132:133], v[130:131], v[118:119], v[128:129] op_sel:[0,0,1] op_sel_hi:[1,1,0] neg_lo:[0,0,1] neg_hi:[0,0,1]
	v_pk_fma_f32 v[128:129], v[130:131], v[118:119], v[128:129] op_sel:[0,0,1] op_sel_hi:[1,0,0]
	v_mov_b32_e32 v133, v129
	ds_load_2addr_b64 v[128:131], v122 offset0:27 offset1:28
	v_pk_add_f32 v[72:73], v[72:73], v[134:135] neg_lo:[0,1] neg_hi:[0,1]
	v_pk_add_f32 v[74:75], v[74:75], v[132:133] neg_lo:[0,1] neg_hi:[0,1]
	s_wait_dscnt 0x0
	v_dual_mul_f32 v132, v129, v121 :: v_dual_mul_f32 v134, v129, v118
	s_delay_alu instid0(VALU_DEP_1) | instskip(NEXT) | instid1(VALU_DEP_2)
	v_pk_fma_f32 v[132:133], v[128:129], v[86:87], v[132:133] op_sel_hi:[1,1,0] neg_lo:[0,0,1] neg_hi:[0,0,1]
	v_pk_fma_f32 v[128:129], v[128:129], v[86:87], v[134:135] op_sel:[1,0,0] op_sel_hi:[0,1,0]
	s_delay_alu instid0(VALU_DEP_1) | instskip(SKIP_1) | instid1(VALU_DEP_2)
	v_mov_b32_e32 v133, v129
	v_pk_mul_f32 v[128:129], v[130:131], v[120:121] op_sel:[0,1]
	v_pk_add_f32 v[18:19], v[18:19], v[132:133] neg_lo:[0,1] neg_hi:[0,1]
	s_delay_alu instid0(VALU_DEP_2) | instskip(SKIP_1) | instid1(VALU_DEP_1)
	v_pk_fma_f32 v[132:133], v[130:131], v[118:119], v[128:129] op_sel:[0,0,1] op_sel_hi:[1,1,0] neg_lo:[0,0,1] neg_hi:[0,0,1]
	v_pk_fma_f32 v[128:129], v[130:131], v[118:119], v[128:129] op_sel:[0,0,1] op_sel_hi:[1,0,0]
	v_mov_b32_e32 v133, v129
	ds_load_2addr_b64 v[128:131], v122 offset0:29 offset1:30
	v_pk_add_f32 v[70:71], v[70:71], v[132:133] neg_lo:[0,1] neg_hi:[0,1]
	s_wait_dscnt 0x0
	v_pk_mul_f32 v[132:133], v[128:129], v[120:121] op_sel:[0,1]
	s_delay_alu instid0(VALU_DEP_1) | instskip(SKIP_1) | instid1(VALU_DEP_1)
	v_pk_fma_f32 v[134:135], v[128:129], v[118:119], v[132:133] op_sel:[0,0,1] op_sel_hi:[1,1,0] neg_lo:[0,0,1] neg_hi:[0,0,1]
	v_pk_fma_f32 v[128:129], v[128:129], v[118:119], v[132:133] op_sel:[0,0,1] op_sel_hi:[1,0,0]
	v_mov_b32_e32 v135, v129
	v_pk_mul_f32 v[128:129], v[130:131], v[120:121] op_sel:[0,1]
	s_delay_alu instid0(VALU_DEP_2) | instskip(NEXT) | instid1(VALU_DEP_2)
	v_pk_add_f32 v[66:67], v[66:67], v[134:135] neg_lo:[0,1] neg_hi:[0,1]
	v_pk_fma_f32 v[132:133], v[130:131], v[118:119], v[128:129] op_sel:[0,0,1] op_sel_hi:[1,1,0] neg_lo:[0,0,1] neg_hi:[0,0,1]
	v_pk_fma_f32 v[128:129], v[130:131], v[118:119], v[128:129] op_sel:[0,0,1] op_sel_hi:[1,0,0]
	s_delay_alu instid0(VALU_DEP_1) | instskip(SKIP_4) | instid1(VALU_DEP_1)
	v_mov_b32_e32 v133, v129
	ds_load_2addr_b64 v[128:131], v122 offset0:31 offset1:32
	v_pk_add_f32 v[68:69], v[68:69], v[132:133] neg_lo:[0,1] neg_hi:[0,1]
	s_wait_dscnt 0x0
	v_pk_mul_f32 v[132:133], v[128:129], v[120:121] op_sel:[0,1]
	v_pk_fma_f32 v[134:135], v[128:129], v[118:119], v[132:133] op_sel:[0,0,1] op_sel_hi:[1,1,0] neg_lo:[0,0,1] neg_hi:[0,0,1]
	v_pk_fma_f32 v[128:129], v[128:129], v[118:119], v[132:133] op_sel:[0,0,1] op_sel_hi:[1,0,0]
	v_dual_mul_f32 v132, v131, v121 :: v_dual_mov_b32 v128, v131
	s_delay_alu instid0(VALU_DEP_2) | instskip(NEXT) | instid1(VALU_DEP_2)
	v_dual_mov_b32 v135, v129 :: v_dual_mov_b32 v129, v130
	v_pk_fma_f32 v[132:133], v[130:131], v[86:87], v[132:133] op_sel_hi:[1,1,0] neg_lo:[0,0,1] neg_hi:[0,0,1]
	v_mul_f32_e32 v130, v131, v118
	s_delay_alu instid0(VALU_DEP_3) | instskip(NEXT) | instid1(VALU_DEP_2)
	v_pk_add_f32 v[16:17], v[16:17], v[134:135] neg_lo:[0,1] neg_hi:[0,1]
	v_pk_fma_f32 v[128:129], v[128:129], v[86:87], v[130:131] op_sel_hi:[1,1,0]
	s_delay_alu instid0(VALU_DEP_1) | instskip(SKIP_4) | instid1(VALU_DEP_1)
	v_mov_b32_e32 v133, v129
	ds_load_2addr_b64 v[128:131], v122 offset0:33 offset1:34
	v_pk_add_f32 v[64:65], v[64:65], v[132:133] neg_lo:[0,1] neg_hi:[0,1]
	s_wait_dscnt 0x0
	v_pk_mul_f32 v[132:133], v[128:129], v[120:121] op_sel:[0,1]
	v_pk_fma_f32 v[134:135], v[128:129], v[118:119], v[132:133] op_sel:[0,0,1] op_sel_hi:[1,1,0] neg_lo:[0,0,1] neg_hi:[0,0,1]
	v_pk_fma_f32 v[128:129], v[128:129], v[118:119], v[132:133] op_sel:[0,0,1] op_sel_hi:[1,0,0]
	s_delay_alu instid0(VALU_DEP_1) | instskip(SKIP_1) | instid1(VALU_DEP_1)
	v_mov_b32_e32 v135, v129
	v_pk_mul_f32 v[128:129], v[130:131], v[120:121] op_sel:[0,1]
	v_pk_fma_f32 v[132:133], v[130:131], v[118:119], v[128:129] op_sel:[0,0,1] op_sel_hi:[1,1,0] neg_lo:[0,0,1] neg_hi:[0,0,1]
	v_pk_fma_f32 v[128:129], v[130:131], v[118:119], v[128:129] op_sel:[0,0,1] op_sel_hi:[1,0,0]
	s_delay_alu instid0(VALU_DEP_1)
	v_mov_b32_e32 v133, v129
	ds_load_2addr_b64 v[128:131], v122 offset0:35 offset1:36
	v_pk_add_f32 v[60:61], v[60:61], v[134:135] neg_lo:[0,1] neg_hi:[0,1]
	v_pk_add_f32 v[62:63], v[62:63], v[132:133] neg_lo:[0,1] neg_hi:[0,1]
	s_wait_dscnt 0x0
	v_pk_mul_f32 v[132:133], v[128:129], v[120:121] op_sel:[0,1]
	s_delay_alu instid0(VALU_DEP_1) | instskip(SKIP_1) | instid1(VALU_DEP_1)
	v_pk_fma_f32 v[134:135], v[128:129], v[118:119], v[132:133] op_sel:[0,0,1] op_sel_hi:[1,1,0] neg_lo:[0,0,1] neg_hi:[0,0,1]
	v_pk_fma_f32 v[128:129], v[128:129], v[118:119], v[132:133] op_sel:[0,0,1] op_sel_hi:[1,0,0]
	v_mov_b32_e32 v135, v129
	v_pk_mul_f32 v[128:129], v[130:131], v[120:121] op_sel:[0,1]
	s_delay_alu instid0(VALU_DEP_1) | instskip(SKIP_1) | instid1(VALU_DEP_1)
	v_pk_fma_f32 v[132:133], v[130:131], v[118:119], v[128:129] op_sel:[0,0,1] op_sel_hi:[1,1,0] neg_lo:[0,0,1] neg_hi:[0,0,1]
	v_pk_fma_f32 v[128:129], v[130:131], v[118:119], v[128:129] op_sel:[0,0,1] op_sel_hi:[1,0,0]
	v_mov_b32_e32 v133, v129
	ds_load_2addr_b64 v[128:131], v122 offset0:37 offset1:38
	v_pk_add_f32 v[14:15], v[14:15], v[134:135] neg_lo:[0,1] neg_hi:[0,1]
	v_pk_add_f32 v[58:59], v[58:59], v[132:133] neg_lo:[0,1] neg_hi:[0,1]
	s_wait_dscnt 0x0
	v_dual_mul_f32 v132, v129, v121 :: v_dual_mul_f32 v134, v129, v118
	s_delay_alu instid0(VALU_DEP_1) | instskip(NEXT) | instid1(VALU_DEP_2)
	v_pk_fma_f32 v[132:133], v[128:129], v[86:87], v[132:133] op_sel_hi:[1,1,0] neg_lo:[0,0,1] neg_hi:[0,0,1]
	v_pk_fma_f32 v[128:129], v[128:129], v[86:87], v[134:135] op_sel:[1,0,0] op_sel_hi:[0,1,0]
	s_delay_alu instid0(VALU_DEP_1) | instskip(SKIP_1) | instid1(VALU_DEP_2)
	v_mov_b32_e32 v133, v129
	v_pk_mul_f32 v[128:129], v[130:131], v[120:121] op_sel:[0,1]
	v_pk_add_f32 v[54:55], v[54:55], v[132:133] neg_lo:[0,1] neg_hi:[0,1]
	s_delay_alu instid0(VALU_DEP_2) | instskip(SKIP_1) | instid1(VALU_DEP_1)
	v_pk_fma_f32 v[132:133], v[130:131], v[118:119], v[128:129] op_sel:[0,0,1] op_sel_hi:[1,1,0] neg_lo:[0,0,1] neg_hi:[0,0,1]
	v_pk_fma_f32 v[128:129], v[130:131], v[118:119], v[128:129] op_sel:[0,0,1] op_sel_hi:[1,0,0]
	v_mov_b32_e32 v133, v129
	ds_load_2addr_b64 v[128:131], v122 offset0:39 offset1:40
	v_pk_add_f32 v[56:57], v[56:57], v[132:133] neg_lo:[0,1] neg_hi:[0,1]
	s_wait_dscnt 0x0
	v_pk_mul_f32 v[132:133], v[128:129], v[120:121] op_sel:[0,1]
	s_delay_alu instid0(VALU_DEP_1) | instskip(SKIP_1) | instid1(VALU_DEP_1)
	v_pk_fma_f32 v[134:135], v[128:129], v[118:119], v[132:133] op_sel:[0,0,1] op_sel_hi:[1,1,0] neg_lo:[0,0,1] neg_hi:[0,0,1]
	v_pk_fma_f32 v[128:129], v[128:129], v[118:119], v[132:133] op_sel:[0,0,1] op_sel_hi:[1,0,0]
	v_mov_b32_e32 v135, v129
	v_pk_mul_f32 v[128:129], v[130:131], v[120:121] op_sel:[0,1]
	s_delay_alu instid0(VALU_DEP_2) | instskip(NEXT) | instid1(VALU_DEP_2)
	v_pk_add_f32 v[12:13], v[12:13], v[134:135] neg_lo:[0,1] neg_hi:[0,1]
	v_pk_fma_f32 v[132:133], v[130:131], v[118:119], v[128:129] op_sel:[0,0,1] op_sel_hi:[1,1,0] neg_lo:[0,0,1] neg_hi:[0,0,1]
	v_pk_fma_f32 v[128:129], v[130:131], v[118:119], v[128:129] op_sel:[0,0,1] op_sel_hi:[1,0,0]
	s_delay_alu instid0(VALU_DEP_1) | instskip(SKIP_4) | instid1(VALU_DEP_1)
	v_mov_b32_e32 v133, v129
	ds_load_2addr_b64 v[128:131], v122 offset0:41 offset1:42
	v_pk_add_f32 v[52:53], v[52:53], v[132:133] neg_lo:[0,1] neg_hi:[0,1]
	s_wait_dscnt 0x0
	v_pk_mul_f32 v[132:133], v[128:129], v[120:121] op_sel:[0,1]
	v_pk_fma_f32 v[134:135], v[128:129], v[118:119], v[132:133] op_sel:[0,0,1] op_sel_hi:[1,1,0] neg_lo:[0,0,1] neg_hi:[0,0,1]
	v_pk_fma_f32 v[128:129], v[128:129], v[118:119], v[132:133] op_sel:[0,0,1] op_sel_hi:[1,0,0]
	v_dual_mul_f32 v132, v131, v121 :: v_dual_mov_b32 v128, v131
	s_delay_alu instid0(VALU_DEP_2) | instskip(NEXT) | instid1(VALU_DEP_2)
	v_dual_mov_b32 v135, v129 :: v_dual_mov_b32 v129, v130
	v_pk_fma_f32 v[132:133], v[130:131], v[86:87], v[132:133] op_sel_hi:[1,1,0] neg_lo:[0,0,1] neg_hi:[0,0,1]
	v_mul_f32_e32 v130, v131, v118
	s_delay_alu instid0(VALU_DEP_3) | instskip(NEXT) | instid1(VALU_DEP_2)
	v_pk_add_f32 v[48:49], v[48:49], v[134:135] neg_lo:[0,1] neg_hi:[0,1]
	v_pk_fma_f32 v[128:129], v[128:129], v[86:87], v[130:131] op_sel_hi:[1,1,0]
	s_delay_alu instid0(VALU_DEP_1) | instskip(SKIP_4) | instid1(VALU_DEP_1)
	v_mov_b32_e32 v133, v129
	ds_load_2addr_b64 v[128:131], v122 offset0:43 offset1:44
	v_pk_add_f32 v[50:51], v[50:51], v[132:133] neg_lo:[0,1] neg_hi:[0,1]
	s_wait_dscnt 0x0
	v_pk_mul_f32 v[132:133], v[128:129], v[120:121] op_sel:[0,1]
	v_pk_fma_f32 v[134:135], v[128:129], v[118:119], v[132:133] op_sel:[0,0,1] op_sel_hi:[1,1,0] neg_lo:[0,0,1] neg_hi:[0,0,1]
	v_pk_fma_f32 v[128:129], v[128:129], v[118:119], v[132:133] op_sel:[0,0,1] op_sel_hi:[1,0,0]
	s_delay_alu instid0(VALU_DEP_1) | instskip(SKIP_1) | instid1(VALU_DEP_1)
	v_mov_b32_e32 v135, v129
	v_pk_mul_f32 v[128:129], v[130:131], v[120:121] op_sel:[0,1]
	v_pk_fma_f32 v[132:133], v[130:131], v[118:119], v[128:129] op_sel:[0,0,1] op_sel_hi:[1,1,0] neg_lo:[0,0,1] neg_hi:[0,0,1]
	v_pk_fma_f32 v[128:129], v[130:131], v[118:119], v[128:129] op_sel:[0,0,1] op_sel_hi:[1,0,0]
	s_delay_alu instid0(VALU_DEP_1)
	v_mov_b32_e32 v133, v129
	ds_load_2addr_b64 v[128:131], v122 offset0:45 offset1:46
	v_pk_add_f32 v[10:11], v[10:11], v[134:135] neg_lo:[0,1] neg_hi:[0,1]
	v_pk_add_f32 v[46:47], v[46:47], v[132:133] neg_lo:[0,1] neg_hi:[0,1]
	s_wait_dscnt 0x0
	v_pk_mul_f32 v[132:133], v[128:129], v[120:121] op_sel:[0,1]
	s_delay_alu instid0(VALU_DEP_1) | instskip(SKIP_1) | instid1(VALU_DEP_1)
	v_pk_fma_f32 v[134:135], v[128:129], v[118:119], v[132:133] op_sel:[0,0,1] op_sel_hi:[1,1,0] neg_lo:[0,0,1] neg_hi:[0,0,1]
	v_pk_fma_f32 v[128:129], v[128:129], v[118:119], v[132:133] op_sel:[0,0,1] op_sel_hi:[1,0,0]
	v_mov_b32_e32 v135, v129
	v_pk_mul_f32 v[128:129], v[130:131], v[120:121] op_sel:[0,1]
	s_delay_alu instid0(VALU_DEP_1) | instskip(SKIP_1) | instid1(VALU_DEP_1)
	v_pk_fma_f32 v[132:133], v[130:131], v[118:119], v[128:129] op_sel:[0,0,1] op_sel_hi:[1,1,0] neg_lo:[0,0,1] neg_hi:[0,0,1]
	v_pk_fma_f32 v[128:129], v[130:131], v[118:119], v[128:129] op_sel:[0,0,1] op_sel_hi:[1,0,0]
	v_mov_b32_e32 v133, v129
	ds_load_2addr_b64 v[128:131], v122 offset0:47 offset1:48
	v_pk_add_f32 v[42:43], v[42:43], v[134:135] neg_lo:[0,1] neg_hi:[0,1]
	v_pk_add_f32 v[44:45], v[44:45], v[132:133] neg_lo:[0,1] neg_hi:[0,1]
	s_wait_dscnt 0x0
	v_dual_mul_f32 v132, v129, v121 :: v_dual_mul_f32 v134, v129, v118
	s_delay_alu instid0(VALU_DEP_1) | instskip(NEXT) | instid1(VALU_DEP_2)
	v_pk_fma_f32 v[132:133], v[128:129], v[86:87], v[132:133] op_sel_hi:[1,1,0] neg_lo:[0,0,1] neg_hi:[0,0,1]
	v_pk_fma_f32 v[128:129], v[128:129], v[86:87], v[134:135] op_sel:[1,0,0] op_sel_hi:[0,1,0]
	s_delay_alu instid0(VALU_DEP_1) | instskip(SKIP_1) | instid1(VALU_DEP_2)
	v_mov_b32_e32 v133, v129
	v_pk_mul_f32 v[128:129], v[130:131], v[120:121] op_sel:[0,1]
	v_pk_add_f32 v[6:7], v[6:7], v[132:133] neg_lo:[0,1] neg_hi:[0,1]
	s_delay_alu instid0(VALU_DEP_2) | instskip(SKIP_1) | instid1(VALU_DEP_1)
	v_pk_fma_f32 v[132:133], v[130:131], v[118:119], v[128:129] op_sel:[0,0,1] op_sel_hi:[1,1,0] neg_lo:[0,0,1] neg_hi:[0,0,1]
	v_pk_fma_f32 v[128:129], v[130:131], v[118:119], v[128:129] op_sel:[0,0,1] op_sel_hi:[1,0,0]
	v_mov_b32_e32 v133, v129
	ds_load_2addr_b64 v[128:131], v122 offset0:49 offset1:50
	v_pk_add_f32 v[34:35], v[34:35], v[132:133] neg_lo:[0,1] neg_hi:[0,1]
	s_wait_dscnt 0x0
	v_pk_mul_f32 v[132:133], v[128:129], v[120:121] op_sel:[0,1]
	s_delay_alu instid0(VALU_DEP_1) | instskip(SKIP_1) | instid1(VALU_DEP_1)
	v_pk_fma_f32 v[134:135], v[128:129], v[118:119], v[132:133] op_sel:[0,0,1] op_sel_hi:[1,1,0] neg_lo:[0,0,1] neg_hi:[0,0,1]
	v_pk_fma_f32 v[128:129], v[128:129], v[118:119], v[132:133] op_sel:[0,0,1] op_sel_hi:[1,0,0]
	v_mov_b32_e32 v135, v129
	v_pk_mul_f32 v[128:129], v[130:131], v[120:121] op_sel:[0,1]
	s_delay_alu instid0(VALU_DEP_2) | instskip(NEXT) | instid1(VALU_DEP_2)
	v_pk_add_f32 v[28:29], v[28:29], v[134:135] neg_lo:[0,1] neg_hi:[0,1]
	v_pk_fma_f32 v[132:133], v[130:131], v[118:119], v[128:129] op_sel:[0,0,1] op_sel_hi:[1,1,0] neg_lo:[0,0,1] neg_hi:[0,0,1]
	v_pk_fma_f32 v[128:129], v[130:131], v[118:119], v[128:129] op_sel:[0,0,1] op_sel_hi:[1,0,0]
	s_delay_alu instid0(VALU_DEP_1) | instskip(SKIP_4) | instid1(VALU_DEP_1)
	v_mov_b32_e32 v133, v129
	ds_load_2addr_b64 v[128:131], v122 offset0:51 offset1:52
	v_pk_add_f32 v[32:33], v[32:33], v[132:133] neg_lo:[0,1] neg_hi:[0,1]
	s_wait_dscnt 0x0
	v_pk_mul_f32 v[132:133], v[128:129], v[120:121] op_sel:[0,1]
	v_pk_fma_f32 v[134:135], v[128:129], v[118:119], v[132:133] op_sel:[0,0,1] op_sel_hi:[1,1,0] neg_lo:[0,0,1] neg_hi:[0,0,1]
	v_pk_fma_f32 v[128:129], v[128:129], v[118:119], v[132:133] op_sel:[0,0,1] op_sel_hi:[1,0,0]
	v_dual_mul_f32 v132, v131, v121 :: v_dual_mov_b32 v128, v131
	s_delay_alu instid0(VALU_DEP_2) | instskip(NEXT) | instid1(VALU_DEP_2)
	v_dual_mov_b32 v135, v129 :: v_dual_mov_b32 v129, v130
	v_pk_fma_f32 v[132:133], v[130:131], v[86:87], v[132:133] op_sel_hi:[1,1,0] neg_lo:[0,0,1] neg_hi:[0,0,1]
	v_mul_f32_e32 v130, v131, v118
	s_delay_alu instid0(VALU_DEP_3) | instskip(NEXT) | instid1(VALU_DEP_2)
	v_pk_add_f32 v[8:9], v[8:9], v[134:135] neg_lo:[0,1] neg_hi:[0,1]
	v_pk_fma_f32 v[128:129], v[128:129], v[86:87], v[130:131] op_sel_hi:[1,1,0]
	s_delay_alu instid0(VALU_DEP_1) | instskip(SKIP_4) | instid1(VALU_DEP_1)
	v_mov_b32_e32 v133, v129
	ds_load_2addr_b64 v[128:131], v122 offset0:53 offset1:54
	v_pk_add_f32 v[26:27], v[26:27], v[132:133] neg_lo:[0,1] neg_hi:[0,1]
	s_wait_dscnt 0x0
	v_pk_mul_f32 v[132:133], v[128:129], v[120:121] op_sel:[0,1]
	v_pk_fma_f32 v[134:135], v[128:129], v[118:119], v[132:133] op_sel:[0,0,1] op_sel_hi:[1,1,0] neg_lo:[0,0,1] neg_hi:[0,0,1]
	v_pk_fma_f32 v[128:129], v[128:129], v[118:119], v[132:133] op_sel:[0,0,1] op_sel_hi:[1,0,0]
	s_delay_alu instid0(VALU_DEP_1) | instskip(SKIP_1) | instid1(VALU_DEP_1)
	v_mov_b32_e32 v135, v129
	v_pk_mul_f32 v[128:129], v[130:131], v[120:121] op_sel:[0,1]
	v_pk_fma_f32 v[132:133], v[130:131], v[118:119], v[128:129] op_sel:[0,0,1] op_sel_hi:[1,1,0] neg_lo:[0,0,1] neg_hi:[0,0,1]
	v_pk_fma_f32 v[128:129], v[130:131], v[118:119], v[128:129] op_sel:[0,0,1] op_sel_hi:[1,0,0]
	s_delay_alu instid0(VALU_DEP_1)
	v_mov_b32_e32 v133, v129
	ds_load_b64 v[128:129], v122 offset:440
	v_pk_add_f32 v[22:23], v[22:23], v[134:135] neg_lo:[0,1] neg_hi:[0,1]
	v_pk_add_f32 v[20:21], v[20:21], v[132:133] neg_lo:[0,1] neg_hi:[0,1]
	s_wait_dscnt 0x0
	v_pk_mul_f32 v[120:121], v[128:129], v[120:121] op_sel:[0,1]
	s_delay_alu instid0(VALU_DEP_1) | instskip(SKIP_1) | instid1(VALU_DEP_1)
	v_pk_fma_f32 v[130:131], v[128:129], v[118:119], v[120:121] op_sel:[0,0,1] op_sel_hi:[1,1,0] neg_lo:[0,0,1] neg_hi:[0,0,1]
	v_pk_fma_f32 v[118:119], v[128:129], v[118:119], v[120:121] op_sel:[0,0,1] op_sel_hi:[1,0,0]
	v_mov_b32_e32 v131, v119
	s_delay_alu instid0(VALU_DEP_1)
	v_pk_add_f32 v[116:117], v[116:117], v[130:131] neg_lo:[0,1] neg_hi:[0,1]
.LBB110_398:
	s_or_b32 exec_lo, exec_lo, s0
	v_lshl_add_u32 v118, v126, 3, v122
	s_barrier_signal -1
	s_barrier_wait -1
	ds_store_b64 v118, v[30:31]
	s_wait_dscnt 0x0
	s_barrier_signal -1
	s_barrier_wait -1
	ds_load_b64 v[120:121], v122 offset:152
	v_mov_b32_e32 v118, 19
	s_cmp_lt_i32 s18, 21
	s_cbranch_scc1 .LBB110_401
; %bb.399:
	v_add3_u32 v119, v123, 0, 0xa0
	v_mov_b32_e32 v118, 19
	s_mov_b32 s0, 20
.LBB110_400:                            ; =>This Inner Loop Header: Depth=1
	ds_load_b64 v[128:129], v119
	s_wait_dscnt 0x1
	v_cmp_gt_f32_e32 vcc_lo, 0, v120
	v_cndmask_b32_e64 v130, v120, -v120, vcc_lo
	v_cmp_gt_f32_e32 vcc_lo, 0, v121
	v_cndmask_b32_e64 v132, v121, -v121, vcc_lo
	s_wait_dscnt 0x0
	v_cmp_gt_f32_e32 vcc_lo, 0, v128
	v_cndmask_b32_e64 v131, v128, -v128, vcc_lo
	v_cmp_gt_f32_e32 vcc_lo, 0, v129
	v_cndmask_b32_e64 v133, v129, -v129, vcc_lo
	s_delay_alu instid0(VALU_DEP_1) | instskip(NEXT) | instid1(VALU_DEP_1)
	v_pk_add_f32 v[130:131], v[130:131], v[132:133]
	v_cmp_lt_f32_e32 vcc_lo, v130, v131
	v_dual_add_nc_u32 v119, 8, v119 :: v_dual_cndmask_b32 v121, v121, v129, vcc_lo
	v_cndmask_b32_e32 v120, v120, v128, vcc_lo
	v_cndmask_b32_e64 v118, v118, s0, vcc_lo
	s_add_co_i32 s0, s0, 1
	s_delay_alu instid0(SALU_CYCLE_1)
	s_cmp_lg_u32 s18, s0
	s_cbranch_scc1 .LBB110_400
.LBB110_401:
	s_wait_dscnt 0x0
	v_cmp_eq_f32_e32 vcc_lo, 0, v120
	v_cmp_eq_f32_e64 s0, 0, v121
	s_and_b32 s0, vcc_lo, s0
	s_delay_alu instid0(SALU_CYCLE_1) | instskip(NEXT) | instid1(SALU_CYCLE_1)
	s_and_saveexec_b32 s1, s0
	s_xor_b32 s0, exec_lo, s1
; %bb.402:
	v_cmp_ne_u32_e32 vcc_lo, 0, v124
	v_cndmask_b32_e32 v124, 20, v124, vcc_lo
; %bb.403:
	s_and_not1_saveexec_b32 s0, s0
	s_cbranch_execz .LBB110_409
; %bb.404:
	v_cmp_ngt_f32_e64 s1, |v120|, |v121|
	s_and_saveexec_b32 s12, s1
	s_delay_alu instid0(SALU_CYCLE_1)
	s_xor_b32 s1, exec_lo, s12
	s_cbranch_execz .LBB110_406
; %bb.405:
	v_div_scale_f32 v119, null, v121, v121, v120
	v_div_scale_f32 v129, vcc_lo, v120, v121, v120
	s_delay_alu instid0(VALU_DEP_2) | instskip(SKIP_1) | instid1(TRANS32_DEP_1)
	v_rcp_f32_e32 v127, v119
	v_nop
	v_fma_f32 v128, -v119, v127, 1.0
	s_delay_alu instid0(VALU_DEP_1) | instskip(NEXT) | instid1(VALU_DEP_1)
	v_fmac_f32_e32 v127, v128, v127
	v_mul_f32_e32 v128, v129, v127
	s_delay_alu instid0(VALU_DEP_1) | instskip(NEXT) | instid1(VALU_DEP_1)
	v_fma_f32 v130, -v119, v128, v129
	v_fmac_f32_e32 v128, v130, v127
	s_delay_alu instid0(VALU_DEP_1) | instskip(NEXT) | instid1(VALU_DEP_1)
	v_fma_f32 v119, -v119, v128, v129
	v_div_fmas_f32 v119, v119, v127, v128
	s_delay_alu instid0(VALU_DEP_1) | instskip(NEXT) | instid1(VALU_DEP_1)
	v_div_fixup_f32 v119, v119, v121, v120
	v_fmac_f32_e32 v121, v120, v119
	s_delay_alu instid0(VALU_DEP_1) | instskip(SKIP_1) | instid1(VALU_DEP_2)
	v_div_scale_f32 v120, null, v121, v121, 1.0
	v_div_scale_f32 v129, vcc_lo, 1.0, v121, 1.0
	v_rcp_f32_e32 v127, v120
	v_nop
	s_delay_alu instid0(TRANS32_DEP_1) | instskip(NEXT) | instid1(VALU_DEP_1)
	v_fma_f32 v128, -v120, v127, 1.0
	v_fmac_f32_e32 v127, v128, v127
	s_delay_alu instid0(VALU_DEP_1) | instskip(NEXT) | instid1(VALU_DEP_1)
	v_mul_f32_e32 v128, v129, v127
	v_fma_f32 v130, -v120, v128, v129
	s_delay_alu instid0(VALU_DEP_1) | instskip(NEXT) | instid1(VALU_DEP_1)
	v_fmac_f32_e32 v128, v130, v127
	v_fma_f32 v120, -v120, v128, v129
	s_delay_alu instid0(VALU_DEP_1) | instskip(NEXT) | instid1(VALU_DEP_1)
	v_div_fmas_f32 v120, v120, v127, v128
	v_div_fixup_f32 v121, v120, v121, 1.0
	s_delay_alu instid0(VALU_DEP_1)
	v_mul_f32_e32 v120, v119, v121
	v_xor_b32_e32 v121, 0x80000000, v121
.LBB110_406:
	s_and_not1_saveexec_b32 s1, s1
	s_cbranch_execz .LBB110_408
; %bb.407:
	s_delay_alu instid0(VALU_DEP_1) | instskip(SKIP_1) | instid1(VALU_DEP_2)
	v_div_scale_f32 v119, null, v120, v120, v121
	v_div_scale_f32 v129, vcc_lo, v121, v120, v121
	v_rcp_f32_e32 v127, v119
	v_nop
	s_delay_alu instid0(TRANS32_DEP_1) | instskip(NEXT) | instid1(VALU_DEP_1)
	v_fma_f32 v128, -v119, v127, 1.0
	v_fmac_f32_e32 v127, v128, v127
	s_delay_alu instid0(VALU_DEP_1) | instskip(NEXT) | instid1(VALU_DEP_1)
	v_mul_f32_e32 v128, v129, v127
	v_fma_f32 v130, -v119, v128, v129
	s_delay_alu instid0(VALU_DEP_1) | instskip(NEXT) | instid1(VALU_DEP_1)
	v_fmac_f32_e32 v128, v130, v127
	v_fma_f32 v119, -v119, v128, v129
	s_delay_alu instid0(VALU_DEP_1) | instskip(NEXT) | instid1(VALU_DEP_1)
	v_div_fmas_f32 v119, v119, v127, v128
	v_div_fixup_f32 v119, v119, v120, v121
	s_delay_alu instid0(VALU_DEP_1) | instskip(NEXT) | instid1(VALU_DEP_1)
	v_fmac_f32_e32 v120, v121, v119
	v_div_scale_f32 v121, null, v120, v120, 1.0
	s_delay_alu instid0(VALU_DEP_1) | instskip(SKIP_1) | instid1(TRANS32_DEP_1)
	v_rcp_f32_e32 v127, v121
	v_nop
	v_fma_f32 v128, -v121, v127, 1.0
	s_delay_alu instid0(VALU_DEP_1) | instskip(SKIP_1) | instid1(VALU_DEP_1)
	v_fmac_f32_e32 v127, v128, v127
	v_div_scale_f32 v128, vcc_lo, 1.0, v120, 1.0
	v_mul_f32_e32 v129, v128, v127
	s_delay_alu instid0(VALU_DEP_1) | instskip(NEXT) | instid1(VALU_DEP_1)
	v_fma_f32 v130, -v121, v129, v128
	v_fmac_f32_e32 v129, v130, v127
	s_delay_alu instid0(VALU_DEP_1) | instskip(NEXT) | instid1(VALU_DEP_1)
	v_fma_f32 v121, -v121, v129, v128
	v_div_fmas_f32 v121, v121, v127, v129
	s_delay_alu instid0(VALU_DEP_1) | instskip(NEXT) | instid1(VALU_DEP_1)
	v_div_fixup_f32 v120, v121, v120, 1.0
	v_mul_f32_e64 v121, v119, -v120
.LBB110_408:
	s_or_b32 exec_lo, exec_lo, s1
.LBB110_409:
	s_delay_alu instid0(SALU_CYCLE_1) | instskip(NEXT) | instid1(SALU_CYCLE_1)
	s_or_b32 exec_lo, exec_lo, s0
	s_mov_b32 s0, exec_lo
	v_cmpx_ne_u32_e64 v126, v118
	s_xor_b32 s0, exec_lo, s0
	s_cbranch_execz .LBB110_415
; %bb.410:
	s_mov_b32 s1, exec_lo
	v_cmpx_eq_u32_e32 19, v126
	s_cbranch_execz .LBB110_414
; %bb.411:
	v_cmp_ne_u32_e32 vcc_lo, 19, v118
	s_xor_b32 s12, s16, -1
	s_delay_alu instid0(SALU_CYCLE_1) | instskip(NEXT) | instid1(SALU_CYCLE_1)
	s_and_b32 s13, s12, vcc_lo
	s_and_saveexec_b32 s12, s13
	s_cbranch_execz .LBB110_413
; %bb.412:
	v_ashrrev_i32_e32 v119, 31, v118
	s_delay_alu instid0(VALU_DEP_1)
	v_lshl_add_u64 v[126:127], v[118:119], 2, v[4:5]
	s_clause 0x1
	global_load_b32 v119, v[126:127], off
	global_load_b32 v125, v[4:5], off offset:76
	s_wait_loadcnt 0x1
	global_store_b32 v[4:5], v119, off offset:76
	s_wait_loadcnt 0x0
	global_store_b32 v[126:127], v125, off
.LBB110_413:
	s_wait_xcnt 0x0
	s_or_b32 exec_lo, exec_lo, s12
	v_dual_mov_b32 v126, v118 :: v_dual_mov_b32 v125, v118
.LBB110_414:
	s_or_b32 exec_lo, exec_lo, s1
.LBB110_415:
	s_and_not1_saveexec_b32 s0, s0
	s_cbranch_execz .LBB110_417
; %bb.416:
	v_dual_mov_b32 v118, v82 :: v_dual_mov_b32 v119, v83
	v_dual_mov_b32 v126, v78 :: v_dual_mov_b32 v127, v79
	ds_store_2addr_b64 v122, v[118:119], v[126:127] offset0:20 offset1:21
	v_dual_mov_b32 v118, v80 :: v_dual_mov_b32 v119, v81
	v_dual_mov_b32 v126, v24 :: v_dual_mov_b32 v127, v25
	ds_store_2addr_b64 v122, v[118:119], v[126:127] offset0:22 offset1:23
	;; [unrolled: 3-line block ×17, first 2 shown]
	v_dual_mov_b32 v118, v20 :: v_dual_mov_b32 v119, v21
	v_mov_b32_e32 v126, 19
	ds_store_2addr_b64 v122, v[118:119], v[116:117] offset0:54 offset1:55
.LBB110_417:
	s_or_b32 exec_lo, exec_lo, s0
	s_delay_alu instid0(SALU_CYCLE_1)
	s_mov_b32 s0, exec_lo
	s_wait_storecnt_dscnt 0x0
	s_barrier_signal -1
	s_barrier_wait -1
	v_cmpx_lt_i32_e32 19, v126
	s_cbranch_execz .LBB110_419
; %bb.418:
	v_pk_mul_f32 v[128:129], v[120:121], v[30:31] op_sel:[1,1] op_sel_hi:[0,1]
	s_delay_alu instid0(VALU_DEP_1)
	v_pk_fma_f32 v[118:119], v[120:121], v[30:31], v[128:129] op_sel_hi:[1,0,1] neg_lo:[0,0,1] neg_hi:[0,0,1]
	v_pk_fma_f32 v[120:121], v[120:121], v[30:31], v[128:129] op_sel_hi:[1,0,1]
	ds_load_2addr_b64 v[128:131], v122 offset0:20 offset1:21
	v_dual_mov_b32 v30, v118 :: v_dual_mov_b32 v31, v121
	s_wait_dscnt 0x0
	v_pk_mul_f32 v[132:133], v[128:129], v[120:121] op_sel:[0,1]
	s_delay_alu instid0(VALU_DEP_1) | instskip(SKIP_1) | instid1(VALU_DEP_1)
	v_pk_fma_f32 v[134:135], v[128:129], v[118:119], v[132:133] op_sel:[0,0,1] op_sel_hi:[1,1,0] neg_lo:[0,0,1] neg_hi:[0,0,1]
	v_pk_fma_f32 v[128:129], v[128:129], v[118:119], v[132:133] op_sel:[0,0,1] op_sel_hi:[1,0,0]
	v_mov_b32_e32 v135, v129
	v_pk_mul_f32 v[128:129], v[130:131], v[120:121] op_sel:[0,1]
	s_delay_alu instid0(VALU_DEP_1) | instskip(SKIP_1) | instid1(VALU_DEP_1)
	v_pk_fma_f32 v[132:133], v[130:131], v[118:119], v[128:129] op_sel:[0,0,1] op_sel_hi:[1,1,0] neg_lo:[0,0,1] neg_hi:[0,0,1]
	v_pk_fma_f32 v[128:129], v[130:131], v[118:119], v[128:129] op_sel:[0,0,1] op_sel_hi:[1,0,0]
	v_mov_b32_e32 v133, v129
	ds_load_2addr_b64 v[128:131], v122 offset0:22 offset1:23
	v_pk_add_f32 v[82:83], v[82:83], v[134:135] neg_lo:[0,1] neg_hi:[0,1]
	v_pk_add_f32 v[78:79], v[78:79], v[132:133] neg_lo:[0,1] neg_hi:[0,1]
	s_wait_dscnt 0x0
	v_pk_mul_f32 v[132:133], v[128:129], v[120:121] op_sel:[0,1]
	s_delay_alu instid0(VALU_DEP_1) | instskip(SKIP_2) | instid1(VALU_DEP_2)
	v_pk_fma_f32 v[134:135], v[128:129], v[118:119], v[132:133] op_sel:[0,0,1] op_sel_hi:[1,1,0] neg_lo:[0,0,1] neg_hi:[0,0,1]
	v_pk_fma_f32 v[128:129], v[128:129], v[118:119], v[132:133] op_sel:[0,0,1] op_sel_hi:[1,0,0]
	v_dual_mul_f32 v132, v131, v121 :: v_dual_mov_b32 v128, v131
	v_dual_mov_b32 v135, v129 :: v_dual_mov_b32 v129, v130
	s_delay_alu instid0(VALU_DEP_2) | instskip(SKIP_1) | instid1(VALU_DEP_3)
	v_pk_fma_f32 v[132:133], v[130:131], v[30:31], v[132:133] op_sel_hi:[1,1,0] neg_lo:[0,0,1] neg_hi:[0,0,1]
	v_mul_f32_e32 v130, v131, v118
	v_pk_add_f32 v[80:81], v[80:81], v[134:135] neg_lo:[0,1] neg_hi:[0,1]
	s_delay_alu instid0(VALU_DEP_2) | instskip(NEXT) | instid1(VALU_DEP_1)
	v_pk_fma_f32 v[128:129], v[128:129], v[30:31], v[130:131] op_sel_hi:[1,1,0]
	v_mov_b32_e32 v133, v129
	ds_load_2addr_b64 v[128:131], v122 offset0:24 offset1:25
	v_pk_add_f32 v[24:25], v[24:25], v[132:133] neg_lo:[0,1] neg_hi:[0,1]
	s_wait_dscnt 0x0
	v_pk_mul_f32 v[132:133], v[128:129], v[120:121] op_sel:[0,1]
	s_delay_alu instid0(VALU_DEP_1) | instskip(SKIP_1) | instid1(VALU_DEP_1)
	v_pk_fma_f32 v[134:135], v[128:129], v[118:119], v[132:133] op_sel:[0,0,1] op_sel_hi:[1,1,0] neg_lo:[0,0,1] neg_hi:[0,0,1]
	v_pk_fma_f32 v[128:129], v[128:129], v[118:119], v[132:133] op_sel:[0,0,1] op_sel_hi:[1,0,0]
	v_mov_b32_e32 v135, v129
	v_pk_mul_f32 v[128:129], v[130:131], v[120:121] op_sel:[0,1]
	s_delay_alu instid0(VALU_DEP_1) | instskip(SKIP_1) | instid1(VALU_DEP_1)
	v_pk_fma_f32 v[132:133], v[130:131], v[118:119], v[128:129] op_sel:[0,0,1] op_sel_hi:[1,1,0] neg_lo:[0,0,1] neg_hi:[0,0,1]
	v_pk_fma_f32 v[128:129], v[130:131], v[118:119], v[128:129] op_sel:[0,0,1] op_sel_hi:[1,0,0]
	v_mov_b32_e32 v133, v129
	ds_load_2addr_b64 v[128:131], v122 offset0:26 offset1:27
	v_pk_add_f32 v[76:77], v[76:77], v[134:135] neg_lo:[0,1] neg_hi:[0,1]
	v_pk_add_f32 v[72:73], v[72:73], v[132:133] neg_lo:[0,1] neg_hi:[0,1]
	s_wait_dscnt 0x0
	v_pk_mul_f32 v[132:133], v[128:129], v[120:121] op_sel:[0,1]
	s_delay_alu instid0(VALU_DEP_1) | instskip(SKIP_1) | instid1(VALU_DEP_1)
	v_pk_fma_f32 v[134:135], v[128:129], v[118:119], v[132:133] op_sel:[0,0,1] op_sel_hi:[1,1,0] neg_lo:[0,0,1] neg_hi:[0,0,1]
	v_pk_fma_f32 v[128:129], v[128:129], v[118:119], v[132:133] op_sel:[0,0,1] op_sel_hi:[1,0,0]
	v_mov_b32_e32 v135, v129
	v_pk_mul_f32 v[128:129], v[130:131], v[120:121] op_sel:[0,1]
	s_delay_alu instid0(VALU_DEP_1) | instskip(SKIP_1) | instid1(VALU_DEP_1)
	v_pk_fma_f32 v[132:133], v[130:131], v[118:119], v[128:129] op_sel:[0,0,1] op_sel_hi:[1,1,0] neg_lo:[0,0,1] neg_hi:[0,0,1]
	v_pk_fma_f32 v[128:129], v[130:131], v[118:119], v[128:129] op_sel:[0,0,1] op_sel_hi:[1,0,0]
	v_mov_b32_e32 v133, v129
	ds_load_2addr_b64 v[128:131], v122 offset0:28 offset1:29
	v_pk_add_f32 v[74:75], v[74:75], v[134:135] neg_lo:[0,1] neg_hi:[0,1]
	v_pk_add_f32 v[18:19], v[18:19], v[132:133] neg_lo:[0,1] neg_hi:[0,1]
	s_wait_dscnt 0x0
	v_dual_mul_f32 v132, v129, v121 :: v_dual_mul_f32 v134, v129, v118
	s_delay_alu instid0(VALU_DEP_1) | instskip(NEXT) | instid1(VALU_DEP_2)
	v_pk_fma_f32 v[132:133], v[128:129], v[30:31], v[132:133] op_sel_hi:[1,1,0] neg_lo:[0,0,1] neg_hi:[0,0,1]
	v_pk_fma_f32 v[128:129], v[128:129], v[30:31], v[134:135] op_sel:[1,0,0] op_sel_hi:[0,1,0]
	s_delay_alu instid0(VALU_DEP_1) | instskip(SKIP_1) | instid1(VALU_DEP_2)
	v_mov_b32_e32 v133, v129
	v_pk_mul_f32 v[128:129], v[130:131], v[120:121] op_sel:[0,1]
	v_pk_add_f32 v[70:71], v[70:71], v[132:133] neg_lo:[0,1] neg_hi:[0,1]
	s_delay_alu instid0(VALU_DEP_2) | instskip(SKIP_1) | instid1(VALU_DEP_1)
	v_pk_fma_f32 v[132:133], v[130:131], v[118:119], v[128:129] op_sel:[0,0,1] op_sel_hi:[1,1,0] neg_lo:[0,0,1] neg_hi:[0,0,1]
	v_pk_fma_f32 v[128:129], v[130:131], v[118:119], v[128:129] op_sel:[0,0,1] op_sel_hi:[1,0,0]
	v_mov_b32_e32 v133, v129
	ds_load_2addr_b64 v[128:131], v122 offset0:30 offset1:31
	v_pk_add_f32 v[66:67], v[66:67], v[132:133] neg_lo:[0,1] neg_hi:[0,1]
	s_wait_dscnt 0x0
	v_pk_mul_f32 v[132:133], v[128:129], v[120:121] op_sel:[0,1]
	s_delay_alu instid0(VALU_DEP_1) | instskip(SKIP_1) | instid1(VALU_DEP_1)
	v_pk_fma_f32 v[134:135], v[128:129], v[118:119], v[132:133] op_sel:[0,0,1] op_sel_hi:[1,1,0] neg_lo:[0,0,1] neg_hi:[0,0,1]
	v_pk_fma_f32 v[128:129], v[128:129], v[118:119], v[132:133] op_sel:[0,0,1] op_sel_hi:[1,0,0]
	v_mov_b32_e32 v135, v129
	v_pk_mul_f32 v[128:129], v[130:131], v[120:121] op_sel:[0,1]
	s_delay_alu instid0(VALU_DEP_2) | instskip(NEXT) | instid1(VALU_DEP_2)
	v_pk_add_f32 v[68:69], v[68:69], v[134:135] neg_lo:[0,1] neg_hi:[0,1]
	v_pk_fma_f32 v[132:133], v[130:131], v[118:119], v[128:129] op_sel:[0,0,1] op_sel_hi:[1,1,0] neg_lo:[0,0,1] neg_hi:[0,0,1]
	v_pk_fma_f32 v[128:129], v[130:131], v[118:119], v[128:129] op_sel:[0,0,1] op_sel_hi:[1,0,0]
	s_delay_alu instid0(VALU_DEP_1) | instskip(SKIP_4) | instid1(VALU_DEP_1)
	v_mov_b32_e32 v133, v129
	ds_load_2addr_b64 v[128:131], v122 offset0:32 offset1:33
	v_pk_add_f32 v[16:17], v[16:17], v[132:133] neg_lo:[0,1] neg_hi:[0,1]
	s_wait_dscnt 0x0
	v_pk_mul_f32 v[132:133], v[128:129], v[120:121] op_sel:[0,1]
	v_pk_fma_f32 v[134:135], v[128:129], v[118:119], v[132:133] op_sel:[0,0,1] op_sel_hi:[1,1,0] neg_lo:[0,0,1] neg_hi:[0,0,1]
	v_pk_fma_f32 v[128:129], v[128:129], v[118:119], v[132:133] op_sel:[0,0,1] op_sel_hi:[1,0,0]
	v_dual_mul_f32 v132, v131, v121 :: v_dual_mov_b32 v128, v131
	s_delay_alu instid0(VALU_DEP_2) | instskip(NEXT) | instid1(VALU_DEP_2)
	v_dual_mov_b32 v135, v129 :: v_dual_mov_b32 v129, v130
	v_pk_fma_f32 v[132:133], v[130:131], v[30:31], v[132:133] op_sel_hi:[1,1,0] neg_lo:[0,0,1] neg_hi:[0,0,1]
	v_mul_f32_e32 v130, v131, v118
	s_delay_alu instid0(VALU_DEP_3) | instskip(NEXT) | instid1(VALU_DEP_2)
	v_pk_add_f32 v[64:65], v[64:65], v[134:135] neg_lo:[0,1] neg_hi:[0,1]
	v_pk_fma_f32 v[128:129], v[128:129], v[30:31], v[130:131] op_sel_hi:[1,1,0]
	s_delay_alu instid0(VALU_DEP_1) | instskip(SKIP_4) | instid1(VALU_DEP_1)
	v_mov_b32_e32 v133, v129
	ds_load_2addr_b64 v[128:131], v122 offset0:34 offset1:35
	v_pk_add_f32 v[60:61], v[60:61], v[132:133] neg_lo:[0,1] neg_hi:[0,1]
	s_wait_dscnt 0x0
	v_pk_mul_f32 v[132:133], v[128:129], v[120:121] op_sel:[0,1]
	v_pk_fma_f32 v[134:135], v[128:129], v[118:119], v[132:133] op_sel:[0,0,1] op_sel_hi:[1,1,0] neg_lo:[0,0,1] neg_hi:[0,0,1]
	v_pk_fma_f32 v[128:129], v[128:129], v[118:119], v[132:133] op_sel:[0,0,1] op_sel_hi:[1,0,0]
	s_delay_alu instid0(VALU_DEP_1) | instskip(SKIP_1) | instid1(VALU_DEP_1)
	v_mov_b32_e32 v135, v129
	v_pk_mul_f32 v[128:129], v[130:131], v[120:121] op_sel:[0,1]
	v_pk_fma_f32 v[132:133], v[130:131], v[118:119], v[128:129] op_sel:[0,0,1] op_sel_hi:[1,1,0] neg_lo:[0,0,1] neg_hi:[0,0,1]
	v_pk_fma_f32 v[128:129], v[130:131], v[118:119], v[128:129] op_sel:[0,0,1] op_sel_hi:[1,0,0]
	s_delay_alu instid0(VALU_DEP_1)
	v_mov_b32_e32 v133, v129
	ds_load_2addr_b64 v[128:131], v122 offset0:36 offset1:37
	v_pk_add_f32 v[62:63], v[62:63], v[134:135] neg_lo:[0,1] neg_hi:[0,1]
	v_pk_add_f32 v[14:15], v[14:15], v[132:133] neg_lo:[0,1] neg_hi:[0,1]
	s_wait_dscnt 0x0
	v_pk_mul_f32 v[132:133], v[128:129], v[120:121] op_sel:[0,1]
	s_delay_alu instid0(VALU_DEP_1) | instskip(SKIP_1) | instid1(VALU_DEP_1)
	v_pk_fma_f32 v[134:135], v[128:129], v[118:119], v[132:133] op_sel:[0,0,1] op_sel_hi:[1,1,0] neg_lo:[0,0,1] neg_hi:[0,0,1]
	v_pk_fma_f32 v[128:129], v[128:129], v[118:119], v[132:133] op_sel:[0,0,1] op_sel_hi:[1,0,0]
	v_mov_b32_e32 v135, v129
	v_pk_mul_f32 v[128:129], v[130:131], v[120:121] op_sel:[0,1]
	s_delay_alu instid0(VALU_DEP_1) | instskip(SKIP_1) | instid1(VALU_DEP_1)
	v_pk_fma_f32 v[132:133], v[130:131], v[118:119], v[128:129] op_sel:[0,0,1] op_sel_hi:[1,1,0] neg_lo:[0,0,1] neg_hi:[0,0,1]
	v_pk_fma_f32 v[128:129], v[130:131], v[118:119], v[128:129] op_sel:[0,0,1] op_sel_hi:[1,0,0]
	v_mov_b32_e32 v133, v129
	ds_load_2addr_b64 v[128:131], v122 offset0:38 offset1:39
	v_pk_add_f32 v[58:59], v[58:59], v[134:135] neg_lo:[0,1] neg_hi:[0,1]
	v_pk_add_f32 v[54:55], v[54:55], v[132:133] neg_lo:[0,1] neg_hi:[0,1]
	s_wait_dscnt 0x0
	v_dual_mul_f32 v132, v129, v121 :: v_dual_mul_f32 v134, v129, v118
	s_delay_alu instid0(VALU_DEP_1) | instskip(NEXT) | instid1(VALU_DEP_2)
	v_pk_fma_f32 v[132:133], v[128:129], v[30:31], v[132:133] op_sel_hi:[1,1,0] neg_lo:[0,0,1] neg_hi:[0,0,1]
	v_pk_fma_f32 v[128:129], v[128:129], v[30:31], v[134:135] op_sel:[1,0,0] op_sel_hi:[0,1,0]
	s_delay_alu instid0(VALU_DEP_1) | instskip(SKIP_1) | instid1(VALU_DEP_2)
	v_mov_b32_e32 v133, v129
	v_pk_mul_f32 v[128:129], v[130:131], v[120:121] op_sel:[0,1]
	v_pk_add_f32 v[56:57], v[56:57], v[132:133] neg_lo:[0,1] neg_hi:[0,1]
	s_delay_alu instid0(VALU_DEP_2) | instskip(SKIP_1) | instid1(VALU_DEP_1)
	v_pk_fma_f32 v[132:133], v[130:131], v[118:119], v[128:129] op_sel:[0,0,1] op_sel_hi:[1,1,0] neg_lo:[0,0,1] neg_hi:[0,0,1]
	v_pk_fma_f32 v[128:129], v[130:131], v[118:119], v[128:129] op_sel:[0,0,1] op_sel_hi:[1,0,0]
	v_mov_b32_e32 v133, v129
	ds_load_2addr_b64 v[128:131], v122 offset0:40 offset1:41
	v_pk_add_f32 v[12:13], v[12:13], v[132:133] neg_lo:[0,1] neg_hi:[0,1]
	s_wait_dscnt 0x0
	v_pk_mul_f32 v[132:133], v[128:129], v[120:121] op_sel:[0,1]
	s_delay_alu instid0(VALU_DEP_1) | instskip(SKIP_1) | instid1(VALU_DEP_1)
	v_pk_fma_f32 v[134:135], v[128:129], v[118:119], v[132:133] op_sel:[0,0,1] op_sel_hi:[1,1,0] neg_lo:[0,0,1] neg_hi:[0,0,1]
	v_pk_fma_f32 v[128:129], v[128:129], v[118:119], v[132:133] op_sel:[0,0,1] op_sel_hi:[1,0,0]
	v_mov_b32_e32 v135, v129
	v_pk_mul_f32 v[128:129], v[130:131], v[120:121] op_sel:[0,1]
	s_delay_alu instid0(VALU_DEP_2) | instskip(NEXT) | instid1(VALU_DEP_2)
	v_pk_add_f32 v[52:53], v[52:53], v[134:135] neg_lo:[0,1] neg_hi:[0,1]
	v_pk_fma_f32 v[132:133], v[130:131], v[118:119], v[128:129] op_sel:[0,0,1] op_sel_hi:[1,1,0] neg_lo:[0,0,1] neg_hi:[0,0,1]
	v_pk_fma_f32 v[128:129], v[130:131], v[118:119], v[128:129] op_sel:[0,0,1] op_sel_hi:[1,0,0]
	s_delay_alu instid0(VALU_DEP_1) | instskip(SKIP_4) | instid1(VALU_DEP_1)
	v_mov_b32_e32 v133, v129
	ds_load_2addr_b64 v[128:131], v122 offset0:42 offset1:43
	v_pk_add_f32 v[48:49], v[48:49], v[132:133] neg_lo:[0,1] neg_hi:[0,1]
	s_wait_dscnt 0x0
	v_pk_mul_f32 v[132:133], v[128:129], v[120:121] op_sel:[0,1]
	v_pk_fma_f32 v[134:135], v[128:129], v[118:119], v[132:133] op_sel:[0,0,1] op_sel_hi:[1,1,0] neg_lo:[0,0,1] neg_hi:[0,0,1]
	v_pk_fma_f32 v[128:129], v[128:129], v[118:119], v[132:133] op_sel:[0,0,1] op_sel_hi:[1,0,0]
	v_dual_mul_f32 v132, v131, v121 :: v_dual_mov_b32 v128, v131
	s_delay_alu instid0(VALU_DEP_2) | instskip(NEXT) | instid1(VALU_DEP_2)
	v_dual_mov_b32 v135, v129 :: v_dual_mov_b32 v129, v130
	v_pk_fma_f32 v[132:133], v[130:131], v[30:31], v[132:133] op_sel_hi:[1,1,0] neg_lo:[0,0,1] neg_hi:[0,0,1]
	v_mul_f32_e32 v130, v131, v118
	s_delay_alu instid0(VALU_DEP_3) | instskip(NEXT) | instid1(VALU_DEP_2)
	v_pk_add_f32 v[50:51], v[50:51], v[134:135] neg_lo:[0,1] neg_hi:[0,1]
	v_pk_fma_f32 v[128:129], v[128:129], v[30:31], v[130:131] op_sel_hi:[1,1,0]
	s_delay_alu instid0(VALU_DEP_1) | instskip(SKIP_4) | instid1(VALU_DEP_1)
	v_mov_b32_e32 v133, v129
	ds_load_2addr_b64 v[128:131], v122 offset0:44 offset1:45
	v_pk_add_f32 v[10:11], v[10:11], v[132:133] neg_lo:[0,1] neg_hi:[0,1]
	s_wait_dscnt 0x0
	v_pk_mul_f32 v[132:133], v[128:129], v[120:121] op_sel:[0,1]
	v_pk_fma_f32 v[134:135], v[128:129], v[118:119], v[132:133] op_sel:[0,0,1] op_sel_hi:[1,1,0] neg_lo:[0,0,1] neg_hi:[0,0,1]
	v_pk_fma_f32 v[128:129], v[128:129], v[118:119], v[132:133] op_sel:[0,0,1] op_sel_hi:[1,0,0]
	s_delay_alu instid0(VALU_DEP_1) | instskip(SKIP_1) | instid1(VALU_DEP_1)
	v_mov_b32_e32 v135, v129
	v_pk_mul_f32 v[128:129], v[130:131], v[120:121] op_sel:[0,1]
	v_pk_fma_f32 v[132:133], v[130:131], v[118:119], v[128:129] op_sel:[0,0,1] op_sel_hi:[1,1,0] neg_lo:[0,0,1] neg_hi:[0,0,1]
	v_pk_fma_f32 v[128:129], v[130:131], v[118:119], v[128:129] op_sel:[0,0,1] op_sel_hi:[1,0,0]
	s_delay_alu instid0(VALU_DEP_1)
	v_mov_b32_e32 v133, v129
	ds_load_2addr_b64 v[128:131], v122 offset0:46 offset1:47
	v_pk_add_f32 v[46:47], v[46:47], v[134:135] neg_lo:[0,1] neg_hi:[0,1]
	v_pk_add_f32 v[42:43], v[42:43], v[132:133] neg_lo:[0,1] neg_hi:[0,1]
	s_wait_dscnt 0x0
	v_pk_mul_f32 v[132:133], v[128:129], v[120:121] op_sel:[0,1]
	s_delay_alu instid0(VALU_DEP_1) | instskip(SKIP_1) | instid1(VALU_DEP_1)
	v_pk_fma_f32 v[134:135], v[128:129], v[118:119], v[132:133] op_sel:[0,0,1] op_sel_hi:[1,1,0] neg_lo:[0,0,1] neg_hi:[0,0,1]
	v_pk_fma_f32 v[128:129], v[128:129], v[118:119], v[132:133] op_sel:[0,0,1] op_sel_hi:[1,0,0]
	v_mov_b32_e32 v135, v129
	v_pk_mul_f32 v[128:129], v[130:131], v[120:121] op_sel:[0,1]
	s_delay_alu instid0(VALU_DEP_1) | instskip(SKIP_1) | instid1(VALU_DEP_1)
	v_pk_fma_f32 v[132:133], v[130:131], v[118:119], v[128:129] op_sel:[0,0,1] op_sel_hi:[1,1,0] neg_lo:[0,0,1] neg_hi:[0,0,1]
	v_pk_fma_f32 v[128:129], v[130:131], v[118:119], v[128:129] op_sel:[0,0,1] op_sel_hi:[1,0,0]
	v_mov_b32_e32 v133, v129
	ds_load_2addr_b64 v[128:131], v122 offset0:48 offset1:49
	v_pk_add_f32 v[44:45], v[44:45], v[134:135] neg_lo:[0,1] neg_hi:[0,1]
	v_pk_add_f32 v[6:7], v[6:7], v[132:133] neg_lo:[0,1] neg_hi:[0,1]
	s_wait_dscnt 0x0
	v_dual_mul_f32 v132, v129, v121 :: v_dual_mul_f32 v134, v129, v118
	s_delay_alu instid0(VALU_DEP_1) | instskip(NEXT) | instid1(VALU_DEP_2)
	v_pk_fma_f32 v[132:133], v[128:129], v[30:31], v[132:133] op_sel_hi:[1,1,0] neg_lo:[0,0,1] neg_hi:[0,0,1]
	v_pk_fma_f32 v[128:129], v[128:129], v[30:31], v[134:135] op_sel:[1,0,0] op_sel_hi:[0,1,0]
	s_delay_alu instid0(VALU_DEP_1) | instskip(SKIP_1) | instid1(VALU_DEP_2)
	v_mov_b32_e32 v133, v129
	v_pk_mul_f32 v[128:129], v[130:131], v[120:121] op_sel:[0,1]
	v_pk_add_f32 v[34:35], v[34:35], v[132:133] neg_lo:[0,1] neg_hi:[0,1]
	s_delay_alu instid0(VALU_DEP_2) | instskip(SKIP_1) | instid1(VALU_DEP_1)
	v_pk_fma_f32 v[132:133], v[130:131], v[118:119], v[128:129] op_sel:[0,0,1] op_sel_hi:[1,1,0] neg_lo:[0,0,1] neg_hi:[0,0,1]
	v_pk_fma_f32 v[128:129], v[130:131], v[118:119], v[128:129] op_sel:[0,0,1] op_sel_hi:[1,0,0]
	v_mov_b32_e32 v133, v129
	ds_load_2addr_b64 v[128:131], v122 offset0:50 offset1:51
	v_pk_add_f32 v[28:29], v[28:29], v[132:133] neg_lo:[0,1] neg_hi:[0,1]
	s_wait_dscnt 0x0
	v_pk_mul_f32 v[132:133], v[128:129], v[120:121] op_sel:[0,1]
	s_delay_alu instid0(VALU_DEP_1) | instskip(SKIP_1) | instid1(VALU_DEP_1)
	v_pk_fma_f32 v[134:135], v[128:129], v[118:119], v[132:133] op_sel:[0,0,1] op_sel_hi:[1,1,0] neg_lo:[0,0,1] neg_hi:[0,0,1]
	v_pk_fma_f32 v[128:129], v[128:129], v[118:119], v[132:133] op_sel:[0,0,1] op_sel_hi:[1,0,0]
	v_mov_b32_e32 v135, v129
	v_pk_mul_f32 v[128:129], v[130:131], v[120:121] op_sel:[0,1]
	s_delay_alu instid0(VALU_DEP_2) | instskip(NEXT) | instid1(VALU_DEP_2)
	v_pk_add_f32 v[32:33], v[32:33], v[134:135] neg_lo:[0,1] neg_hi:[0,1]
	v_pk_fma_f32 v[132:133], v[130:131], v[118:119], v[128:129] op_sel:[0,0,1] op_sel_hi:[1,1,0] neg_lo:[0,0,1] neg_hi:[0,0,1]
	v_pk_fma_f32 v[128:129], v[130:131], v[118:119], v[128:129] op_sel:[0,0,1] op_sel_hi:[1,0,0]
	s_delay_alu instid0(VALU_DEP_1) | instskip(SKIP_4) | instid1(VALU_DEP_1)
	v_mov_b32_e32 v133, v129
	ds_load_2addr_b64 v[128:131], v122 offset0:52 offset1:53
	v_pk_add_f32 v[8:9], v[8:9], v[132:133] neg_lo:[0,1] neg_hi:[0,1]
	s_wait_dscnt 0x0
	v_pk_mul_f32 v[132:133], v[128:129], v[120:121] op_sel:[0,1]
	v_pk_fma_f32 v[134:135], v[128:129], v[118:119], v[132:133] op_sel:[0,0,1] op_sel_hi:[1,1,0] neg_lo:[0,0,1] neg_hi:[0,0,1]
	v_pk_fma_f32 v[128:129], v[128:129], v[118:119], v[132:133] op_sel:[0,0,1] op_sel_hi:[1,0,0]
	v_dual_mul_f32 v132, v131, v121 :: v_dual_mov_b32 v128, v131
	s_delay_alu instid0(VALU_DEP_2) | instskip(NEXT) | instid1(VALU_DEP_2)
	v_dual_mov_b32 v135, v129 :: v_dual_mov_b32 v129, v130
	v_pk_fma_f32 v[132:133], v[130:131], v[30:31], v[132:133] op_sel_hi:[1,1,0] neg_lo:[0,0,1] neg_hi:[0,0,1]
	v_mul_f32_e32 v130, v131, v118
	s_delay_alu instid0(VALU_DEP_3) | instskip(NEXT) | instid1(VALU_DEP_2)
	v_pk_add_f32 v[26:27], v[26:27], v[134:135] neg_lo:[0,1] neg_hi:[0,1]
	v_pk_fma_f32 v[128:129], v[128:129], v[30:31], v[130:131] op_sel_hi:[1,1,0]
	s_delay_alu instid0(VALU_DEP_1)
	v_mov_b32_e32 v133, v129
	ds_load_2addr_b64 v[128:131], v122 offset0:54 offset1:55
	v_pk_add_f32 v[22:23], v[22:23], v[132:133] neg_lo:[0,1] neg_hi:[0,1]
	s_wait_dscnt 0x0
	v_pk_mul_f32 v[132:133], v[128:129], v[120:121] op_sel:[0,1]
	v_mul_f32_e32 v120, v131, v121
	s_delay_alu instid0(VALU_DEP_2) | instskip(SKIP_2) | instid1(VALU_DEP_4)
	v_pk_fma_f32 v[134:135], v[128:129], v[118:119], v[132:133] op_sel:[0,0,1] op_sel_hi:[1,1,0] neg_lo:[0,0,1] neg_hi:[0,0,1]
	v_pk_fma_f32 v[128:129], v[128:129], v[118:119], v[132:133] op_sel:[0,0,1] op_sel_hi:[1,0,0]
	v_dual_mov_b32 v128, v131 :: v_dual_mul_f32 v118, v131, v118
	v_pk_fma_f32 v[120:121], v[130:131], v[30:31], v[120:121] op_sel_hi:[1,1,0] neg_lo:[0,0,1] neg_hi:[0,0,1]
	s_delay_alu instid0(VALU_DEP_3) | instskip(NEXT) | instid1(VALU_DEP_1)
	v_dual_mov_b32 v135, v129 :: v_dual_mov_b32 v129, v130
	v_pk_add_f32 v[20:21], v[20:21], v[134:135] neg_lo:[0,1] neg_hi:[0,1]
	s_delay_alu instid0(VALU_DEP_2) | instskip(NEXT) | instid1(VALU_DEP_1)
	v_pk_fma_f32 v[118:119], v[128:129], v[30:31], v[118:119] op_sel_hi:[1,1,0]
	v_mov_b32_e32 v121, v119
	s_delay_alu instid0(VALU_DEP_1)
	v_pk_add_f32 v[116:117], v[116:117], v[120:121] neg_lo:[0,1] neg_hi:[0,1]
.LBB110_419:
	s_or_b32 exec_lo, exec_lo, s0
	v_lshl_add_u32 v118, v126, 3, v122
	s_barrier_signal -1
	s_barrier_wait -1
	ds_store_b64 v118, v[82:83]
	s_wait_dscnt 0x0
	s_barrier_signal -1
	s_barrier_wait -1
	ds_load_b64 v[120:121], v122 offset:160
	v_mov_b32_e32 v118, 20
	s_cmp_lt_i32 s18, 22
	s_cbranch_scc1 .LBB110_422
; %bb.420:
	v_add3_u32 v119, v123, 0, 0xa8
	v_mov_b32_e32 v118, 20
	s_mov_b32 s0, 21
.LBB110_421:                            ; =>This Inner Loop Header: Depth=1
	ds_load_b64 v[128:129], v119
	s_wait_dscnt 0x1
	v_cmp_gt_f32_e32 vcc_lo, 0, v120
	v_cndmask_b32_e64 v130, v120, -v120, vcc_lo
	v_cmp_gt_f32_e32 vcc_lo, 0, v121
	v_cndmask_b32_e64 v132, v121, -v121, vcc_lo
	s_wait_dscnt 0x0
	v_cmp_gt_f32_e32 vcc_lo, 0, v128
	v_cndmask_b32_e64 v131, v128, -v128, vcc_lo
	v_cmp_gt_f32_e32 vcc_lo, 0, v129
	v_cndmask_b32_e64 v133, v129, -v129, vcc_lo
	s_delay_alu instid0(VALU_DEP_1) | instskip(NEXT) | instid1(VALU_DEP_1)
	v_pk_add_f32 v[130:131], v[130:131], v[132:133]
	v_cmp_lt_f32_e32 vcc_lo, v130, v131
	v_dual_add_nc_u32 v119, 8, v119 :: v_dual_cndmask_b32 v121, v121, v129, vcc_lo
	v_cndmask_b32_e32 v120, v120, v128, vcc_lo
	v_cndmask_b32_e64 v118, v118, s0, vcc_lo
	s_add_co_i32 s0, s0, 1
	s_delay_alu instid0(SALU_CYCLE_1)
	s_cmp_lg_u32 s18, s0
	s_cbranch_scc1 .LBB110_421
.LBB110_422:
	s_wait_dscnt 0x0
	v_cmp_eq_f32_e32 vcc_lo, 0, v120
	v_cmp_eq_f32_e64 s0, 0, v121
	s_and_b32 s0, vcc_lo, s0
	s_delay_alu instid0(SALU_CYCLE_1) | instskip(NEXT) | instid1(SALU_CYCLE_1)
	s_and_saveexec_b32 s1, s0
	s_xor_b32 s0, exec_lo, s1
; %bb.423:
	v_cmp_ne_u32_e32 vcc_lo, 0, v124
	v_cndmask_b32_e32 v124, 21, v124, vcc_lo
; %bb.424:
	s_and_not1_saveexec_b32 s0, s0
	s_cbranch_execz .LBB110_430
; %bb.425:
	v_cmp_ngt_f32_e64 s1, |v120|, |v121|
	s_and_saveexec_b32 s12, s1
	s_delay_alu instid0(SALU_CYCLE_1)
	s_xor_b32 s1, exec_lo, s12
	s_cbranch_execz .LBB110_427
; %bb.426:
	v_div_scale_f32 v119, null, v121, v121, v120
	v_div_scale_f32 v129, vcc_lo, v120, v121, v120
	s_delay_alu instid0(VALU_DEP_2) | instskip(SKIP_1) | instid1(TRANS32_DEP_1)
	v_rcp_f32_e32 v127, v119
	v_nop
	v_fma_f32 v128, -v119, v127, 1.0
	s_delay_alu instid0(VALU_DEP_1) | instskip(NEXT) | instid1(VALU_DEP_1)
	v_fmac_f32_e32 v127, v128, v127
	v_mul_f32_e32 v128, v129, v127
	s_delay_alu instid0(VALU_DEP_1) | instskip(NEXT) | instid1(VALU_DEP_1)
	v_fma_f32 v130, -v119, v128, v129
	v_fmac_f32_e32 v128, v130, v127
	s_delay_alu instid0(VALU_DEP_1) | instskip(NEXT) | instid1(VALU_DEP_1)
	v_fma_f32 v119, -v119, v128, v129
	v_div_fmas_f32 v119, v119, v127, v128
	s_delay_alu instid0(VALU_DEP_1) | instskip(NEXT) | instid1(VALU_DEP_1)
	v_div_fixup_f32 v119, v119, v121, v120
	v_fmac_f32_e32 v121, v120, v119
	s_delay_alu instid0(VALU_DEP_1) | instskip(SKIP_1) | instid1(VALU_DEP_2)
	v_div_scale_f32 v120, null, v121, v121, 1.0
	v_div_scale_f32 v129, vcc_lo, 1.0, v121, 1.0
	v_rcp_f32_e32 v127, v120
	v_nop
	s_delay_alu instid0(TRANS32_DEP_1) | instskip(NEXT) | instid1(VALU_DEP_1)
	v_fma_f32 v128, -v120, v127, 1.0
	v_fmac_f32_e32 v127, v128, v127
	s_delay_alu instid0(VALU_DEP_1) | instskip(NEXT) | instid1(VALU_DEP_1)
	v_mul_f32_e32 v128, v129, v127
	v_fma_f32 v130, -v120, v128, v129
	s_delay_alu instid0(VALU_DEP_1) | instskip(NEXT) | instid1(VALU_DEP_1)
	v_fmac_f32_e32 v128, v130, v127
	v_fma_f32 v120, -v120, v128, v129
	s_delay_alu instid0(VALU_DEP_1) | instskip(NEXT) | instid1(VALU_DEP_1)
	v_div_fmas_f32 v120, v120, v127, v128
	v_div_fixup_f32 v121, v120, v121, 1.0
	s_delay_alu instid0(VALU_DEP_1)
	v_mul_f32_e32 v120, v119, v121
	v_xor_b32_e32 v121, 0x80000000, v121
.LBB110_427:
	s_and_not1_saveexec_b32 s1, s1
	s_cbranch_execz .LBB110_429
; %bb.428:
	s_delay_alu instid0(VALU_DEP_1) | instskip(SKIP_1) | instid1(VALU_DEP_2)
	v_div_scale_f32 v119, null, v120, v120, v121
	v_div_scale_f32 v129, vcc_lo, v121, v120, v121
	v_rcp_f32_e32 v127, v119
	v_nop
	s_delay_alu instid0(TRANS32_DEP_1) | instskip(NEXT) | instid1(VALU_DEP_1)
	v_fma_f32 v128, -v119, v127, 1.0
	v_fmac_f32_e32 v127, v128, v127
	s_delay_alu instid0(VALU_DEP_1) | instskip(NEXT) | instid1(VALU_DEP_1)
	v_mul_f32_e32 v128, v129, v127
	v_fma_f32 v130, -v119, v128, v129
	s_delay_alu instid0(VALU_DEP_1) | instskip(NEXT) | instid1(VALU_DEP_1)
	v_fmac_f32_e32 v128, v130, v127
	v_fma_f32 v119, -v119, v128, v129
	s_delay_alu instid0(VALU_DEP_1) | instskip(NEXT) | instid1(VALU_DEP_1)
	v_div_fmas_f32 v119, v119, v127, v128
	v_div_fixup_f32 v119, v119, v120, v121
	s_delay_alu instid0(VALU_DEP_1) | instskip(NEXT) | instid1(VALU_DEP_1)
	v_fmac_f32_e32 v120, v121, v119
	v_div_scale_f32 v121, null, v120, v120, 1.0
	s_delay_alu instid0(VALU_DEP_1) | instskip(SKIP_1) | instid1(TRANS32_DEP_1)
	v_rcp_f32_e32 v127, v121
	v_nop
	v_fma_f32 v128, -v121, v127, 1.0
	s_delay_alu instid0(VALU_DEP_1) | instskip(SKIP_1) | instid1(VALU_DEP_1)
	v_fmac_f32_e32 v127, v128, v127
	v_div_scale_f32 v128, vcc_lo, 1.0, v120, 1.0
	v_mul_f32_e32 v129, v128, v127
	s_delay_alu instid0(VALU_DEP_1) | instskip(NEXT) | instid1(VALU_DEP_1)
	v_fma_f32 v130, -v121, v129, v128
	v_fmac_f32_e32 v129, v130, v127
	s_delay_alu instid0(VALU_DEP_1) | instskip(NEXT) | instid1(VALU_DEP_1)
	v_fma_f32 v121, -v121, v129, v128
	v_div_fmas_f32 v121, v121, v127, v129
	s_delay_alu instid0(VALU_DEP_1) | instskip(NEXT) | instid1(VALU_DEP_1)
	v_div_fixup_f32 v120, v121, v120, 1.0
	v_mul_f32_e64 v121, v119, -v120
.LBB110_429:
	s_or_b32 exec_lo, exec_lo, s1
.LBB110_430:
	s_delay_alu instid0(SALU_CYCLE_1) | instskip(NEXT) | instid1(SALU_CYCLE_1)
	s_or_b32 exec_lo, exec_lo, s0
	s_mov_b32 s0, exec_lo
	v_cmpx_ne_u32_e64 v126, v118
	s_xor_b32 s0, exec_lo, s0
	s_cbranch_execz .LBB110_436
; %bb.431:
	s_mov_b32 s1, exec_lo
	v_cmpx_eq_u32_e32 20, v126
	s_cbranch_execz .LBB110_435
; %bb.432:
	v_cmp_ne_u32_e32 vcc_lo, 20, v118
	s_xor_b32 s12, s16, -1
	s_delay_alu instid0(SALU_CYCLE_1) | instskip(NEXT) | instid1(SALU_CYCLE_1)
	s_and_b32 s13, s12, vcc_lo
	s_and_saveexec_b32 s12, s13
	s_cbranch_execz .LBB110_434
; %bb.433:
	v_ashrrev_i32_e32 v119, 31, v118
	s_delay_alu instid0(VALU_DEP_1)
	v_lshl_add_u64 v[126:127], v[118:119], 2, v[4:5]
	s_clause 0x1
	global_load_b32 v119, v[126:127], off
	global_load_b32 v125, v[4:5], off offset:80
	s_wait_loadcnt 0x1
	global_store_b32 v[4:5], v119, off offset:80
	s_wait_loadcnt 0x0
	global_store_b32 v[126:127], v125, off
.LBB110_434:
	s_wait_xcnt 0x0
	s_or_b32 exec_lo, exec_lo, s12
	v_dual_mov_b32 v126, v118 :: v_dual_mov_b32 v125, v118
.LBB110_435:
	s_or_b32 exec_lo, exec_lo, s1
.LBB110_436:
	s_and_not1_saveexec_b32 s0, s0
	s_cbranch_execz .LBB110_438
; %bb.437:
	v_mov_b32_e32 v126, 20
	ds_store_2addr_b64 v122, v[78:79], v[80:81] offset0:21 offset1:22
	ds_store_2addr_b64 v122, v[24:25], v[76:77] offset0:23 offset1:24
	;; [unrolled: 1-line block ×17, first 2 shown]
	ds_store_b64 v122, v[116:117] offset:440
.LBB110_438:
	s_or_b32 exec_lo, exec_lo, s0
	s_delay_alu instid0(SALU_CYCLE_1)
	s_mov_b32 s0, exec_lo
	s_wait_storecnt_dscnt 0x0
	s_barrier_signal -1
	s_barrier_wait -1
	v_cmpx_lt_i32_e32 20, v126
	s_cbranch_execz .LBB110_440
; %bb.439:
	v_pk_mul_f32 v[128:129], v[120:121], v[82:83] op_sel:[1,1] op_sel_hi:[0,1]
	s_delay_alu instid0(VALU_DEP_1)
	v_pk_fma_f32 v[118:119], v[120:121], v[82:83], v[128:129] op_sel_hi:[1,0,1] neg_lo:[0,0,1] neg_hi:[0,0,1]
	v_pk_fma_f32 v[120:121], v[120:121], v[82:83], v[128:129] op_sel_hi:[1,0,1]
	ds_load_2addr_b64 v[128:131], v122 offset0:21 offset1:22
	v_dual_mov_b32 v82, v118 :: v_dual_mov_b32 v83, v121
	s_wait_dscnt 0x0
	v_pk_mul_f32 v[132:133], v[128:129], v[120:121] op_sel:[0,1]
	s_delay_alu instid0(VALU_DEP_1) | instskip(SKIP_1) | instid1(VALU_DEP_1)
	v_pk_fma_f32 v[134:135], v[128:129], v[118:119], v[132:133] op_sel:[0,0,1] op_sel_hi:[1,1,0] neg_lo:[0,0,1] neg_hi:[0,0,1]
	v_pk_fma_f32 v[128:129], v[128:129], v[118:119], v[132:133] op_sel:[0,0,1] op_sel_hi:[1,0,0]
	v_mov_b32_e32 v135, v129
	v_pk_mul_f32 v[128:129], v[130:131], v[120:121] op_sel:[0,1]
	s_delay_alu instid0(VALU_DEP_1) | instskip(SKIP_1) | instid1(VALU_DEP_1)
	v_pk_fma_f32 v[132:133], v[130:131], v[118:119], v[128:129] op_sel:[0,0,1] op_sel_hi:[1,1,0] neg_lo:[0,0,1] neg_hi:[0,0,1]
	v_pk_fma_f32 v[128:129], v[130:131], v[118:119], v[128:129] op_sel:[0,0,1] op_sel_hi:[1,0,0]
	v_mov_b32_e32 v133, v129
	ds_load_2addr_b64 v[128:131], v122 offset0:23 offset1:24
	v_pk_add_f32 v[78:79], v[78:79], v[134:135] neg_lo:[0,1] neg_hi:[0,1]
	v_pk_add_f32 v[80:81], v[80:81], v[132:133] neg_lo:[0,1] neg_hi:[0,1]
	s_wait_dscnt 0x0
	v_pk_mul_f32 v[132:133], v[128:129], v[120:121] op_sel:[0,1]
	s_delay_alu instid0(VALU_DEP_1) | instskip(SKIP_2) | instid1(VALU_DEP_2)
	v_pk_fma_f32 v[134:135], v[128:129], v[118:119], v[132:133] op_sel:[0,0,1] op_sel_hi:[1,1,0] neg_lo:[0,0,1] neg_hi:[0,0,1]
	v_pk_fma_f32 v[128:129], v[128:129], v[118:119], v[132:133] op_sel:[0,0,1] op_sel_hi:[1,0,0]
	v_dual_mul_f32 v132, v131, v121 :: v_dual_mov_b32 v128, v131
	v_dual_mov_b32 v135, v129 :: v_dual_mov_b32 v129, v130
	s_delay_alu instid0(VALU_DEP_2) | instskip(SKIP_1) | instid1(VALU_DEP_3)
	v_pk_fma_f32 v[132:133], v[130:131], v[82:83], v[132:133] op_sel_hi:[1,1,0] neg_lo:[0,0,1] neg_hi:[0,0,1]
	v_mul_f32_e32 v130, v131, v118
	v_pk_add_f32 v[24:25], v[24:25], v[134:135] neg_lo:[0,1] neg_hi:[0,1]
	s_delay_alu instid0(VALU_DEP_2) | instskip(NEXT) | instid1(VALU_DEP_1)
	v_pk_fma_f32 v[128:129], v[128:129], v[82:83], v[130:131] op_sel_hi:[1,1,0]
	v_mov_b32_e32 v133, v129
	ds_load_2addr_b64 v[128:131], v122 offset0:25 offset1:26
	v_pk_add_f32 v[76:77], v[76:77], v[132:133] neg_lo:[0,1] neg_hi:[0,1]
	s_wait_dscnt 0x0
	v_pk_mul_f32 v[132:133], v[128:129], v[120:121] op_sel:[0,1]
	s_delay_alu instid0(VALU_DEP_1) | instskip(SKIP_1) | instid1(VALU_DEP_1)
	v_pk_fma_f32 v[134:135], v[128:129], v[118:119], v[132:133] op_sel:[0,0,1] op_sel_hi:[1,1,0] neg_lo:[0,0,1] neg_hi:[0,0,1]
	v_pk_fma_f32 v[128:129], v[128:129], v[118:119], v[132:133] op_sel:[0,0,1] op_sel_hi:[1,0,0]
	v_mov_b32_e32 v135, v129
	v_pk_mul_f32 v[128:129], v[130:131], v[120:121] op_sel:[0,1]
	s_delay_alu instid0(VALU_DEP_1) | instskip(SKIP_1) | instid1(VALU_DEP_1)
	v_pk_fma_f32 v[132:133], v[130:131], v[118:119], v[128:129] op_sel:[0,0,1] op_sel_hi:[1,1,0] neg_lo:[0,0,1] neg_hi:[0,0,1]
	v_pk_fma_f32 v[128:129], v[130:131], v[118:119], v[128:129] op_sel:[0,0,1] op_sel_hi:[1,0,0]
	v_mov_b32_e32 v133, v129
	ds_load_2addr_b64 v[128:131], v122 offset0:27 offset1:28
	v_pk_add_f32 v[72:73], v[72:73], v[134:135] neg_lo:[0,1] neg_hi:[0,1]
	v_pk_add_f32 v[74:75], v[74:75], v[132:133] neg_lo:[0,1] neg_hi:[0,1]
	s_wait_dscnt 0x0
	v_pk_mul_f32 v[132:133], v[128:129], v[120:121] op_sel:[0,1]
	s_delay_alu instid0(VALU_DEP_1) | instskip(SKIP_1) | instid1(VALU_DEP_1)
	v_pk_fma_f32 v[134:135], v[128:129], v[118:119], v[132:133] op_sel:[0,0,1] op_sel_hi:[1,1,0] neg_lo:[0,0,1] neg_hi:[0,0,1]
	v_pk_fma_f32 v[128:129], v[128:129], v[118:119], v[132:133] op_sel:[0,0,1] op_sel_hi:[1,0,0]
	v_mov_b32_e32 v135, v129
	v_pk_mul_f32 v[128:129], v[130:131], v[120:121] op_sel:[0,1]
	s_delay_alu instid0(VALU_DEP_1) | instskip(SKIP_1) | instid1(VALU_DEP_1)
	v_pk_fma_f32 v[132:133], v[130:131], v[118:119], v[128:129] op_sel:[0,0,1] op_sel_hi:[1,1,0] neg_lo:[0,0,1] neg_hi:[0,0,1]
	v_pk_fma_f32 v[128:129], v[130:131], v[118:119], v[128:129] op_sel:[0,0,1] op_sel_hi:[1,0,0]
	v_mov_b32_e32 v133, v129
	ds_load_2addr_b64 v[128:131], v122 offset0:29 offset1:30
	v_pk_add_f32 v[18:19], v[18:19], v[134:135] neg_lo:[0,1] neg_hi:[0,1]
	v_pk_add_f32 v[70:71], v[70:71], v[132:133] neg_lo:[0,1] neg_hi:[0,1]
	s_wait_dscnt 0x0
	v_dual_mul_f32 v132, v129, v121 :: v_dual_mul_f32 v134, v129, v118
	s_delay_alu instid0(VALU_DEP_1) | instskip(NEXT) | instid1(VALU_DEP_2)
	v_pk_fma_f32 v[132:133], v[128:129], v[82:83], v[132:133] op_sel_hi:[1,1,0] neg_lo:[0,0,1] neg_hi:[0,0,1]
	v_pk_fma_f32 v[128:129], v[128:129], v[82:83], v[134:135] op_sel:[1,0,0] op_sel_hi:[0,1,0]
	s_delay_alu instid0(VALU_DEP_1) | instskip(SKIP_1) | instid1(VALU_DEP_2)
	v_mov_b32_e32 v133, v129
	v_pk_mul_f32 v[128:129], v[130:131], v[120:121] op_sel:[0,1]
	v_pk_add_f32 v[66:67], v[66:67], v[132:133] neg_lo:[0,1] neg_hi:[0,1]
	s_delay_alu instid0(VALU_DEP_2) | instskip(SKIP_1) | instid1(VALU_DEP_1)
	v_pk_fma_f32 v[132:133], v[130:131], v[118:119], v[128:129] op_sel:[0,0,1] op_sel_hi:[1,1,0] neg_lo:[0,0,1] neg_hi:[0,0,1]
	v_pk_fma_f32 v[128:129], v[130:131], v[118:119], v[128:129] op_sel:[0,0,1] op_sel_hi:[1,0,0]
	v_mov_b32_e32 v133, v129
	ds_load_2addr_b64 v[128:131], v122 offset0:31 offset1:32
	v_pk_add_f32 v[68:69], v[68:69], v[132:133] neg_lo:[0,1] neg_hi:[0,1]
	s_wait_dscnt 0x0
	v_pk_mul_f32 v[132:133], v[128:129], v[120:121] op_sel:[0,1]
	s_delay_alu instid0(VALU_DEP_1) | instskip(SKIP_1) | instid1(VALU_DEP_1)
	v_pk_fma_f32 v[134:135], v[128:129], v[118:119], v[132:133] op_sel:[0,0,1] op_sel_hi:[1,1,0] neg_lo:[0,0,1] neg_hi:[0,0,1]
	v_pk_fma_f32 v[128:129], v[128:129], v[118:119], v[132:133] op_sel:[0,0,1] op_sel_hi:[1,0,0]
	v_mov_b32_e32 v135, v129
	v_pk_mul_f32 v[128:129], v[130:131], v[120:121] op_sel:[0,1]
	s_delay_alu instid0(VALU_DEP_2) | instskip(NEXT) | instid1(VALU_DEP_2)
	v_pk_add_f32 v[16:17], v[16:17], v[134:135] neg_lo:[0,1] neg_hi:[0,1]
	v_pk_fma_f32 v[132:133], v[130:131], v[118:119], v[128:129] op_sel:[0,0,1] op_sel_hi:[1,1,0] neg_lo:[0,0,1] neg_hi:[0,0,1]
	v_pk_fma_f32 v[128:129], v[130:131], v[118:119], v[128:129] op_sel:[0,0,1] op_sel_hi:[1,0,0]
	s_delay_alu instid0(VALU_DEP_1) | instskip(SKIP_4) | instid1(VALU_DEP_1)
	v_mov_b32_e32 v133, v129
	ds_load_2addr_b64 v[128:131], v122 offset0:33 offset1:34
	v_pk_add_f32 v[64:65], v[64:65], v[132:133] neg_lo:[0,1] neg_hi:[0,1]
	s_wait_dscnt 0x0
	v_pk_mul_f32 v[132:133], v[128:129], v[120:121] op_sel:[0,1]
	v_pk_fma_f32 v[134:135], v[128:129], v[118:119], v[132:133] op_sel:[0,0,1] op_sel_hi:[1,1,0] neg_lo:[0,0,1] neg_hi:[0,0,1]
	v_pk_fma_f32 v[128:129], v[128:129], v[118:119], v[132:133] op_sel:[0,0,1] op_sel_hi:[1,0,0]
	v_dual_mul_f32 v132, v131, v121 :: v_dual_mov_b32 v128, v131
	s_delay_alu instid0(VALU_DEP_2) | instskip(NEXT) | instid1(VALU_DEP_2)
	v_dual_mov_b32 v135, v129 :: v_dual_mov_b32 v129, v130
	v_pk_fma_f32 v[132:133], v[130:131], v[82:83], v[132:133] op_sel_hi:[1,1,0] neg_lo:[0,0,1] neg_hi:[0,0,1]
	v_mul_f32_e32 v130, v131, v118
	s_delay_alu instid0(VALU_DEP_3) | instskip(NEXT) | instid1(VALU_DEP_2)
	v_pk_add_f32 v[60:61], v[60:61], v[134:135] neg_lo:[0,1] neg_hi:[0,1]
	v_pk_fma_f32 v[128:129], v[128:129], v[82:83], v[130:131] op_sel_hi:[1,1,0]
	s_delay_alu instid0(VALU_DEP_1) | instskip(SKIP_4) | instid1(VALU_DEP_1)
	v_mov_b32_e32 v133, v129
	ds_load_2addr_b64 v[128:131], v122 offset0:35 offset1:36
	v_pk_add_f32 v[62:63], v[62:63], v[132:133] neg_lo:[0,1] neg_hi:[0,1]
	s_wait_dscnt 0x0
	v_pk_mul_f32 v[132:133], v[128:129], v[120:121] op_sel:[0,1]
	v_pk_fma_f32 v[134:135], v[128:129], v[118:119], v[132:133] op_sel:[0,0,1] op_sel_hi:[1,1,0] neg_lo:[0,0,1] neg_hi:[0,0,1]
	v_pk_fma_f32 v[128:129], v[128:129], v[118:119], v[132:133] op_sel:[0,0,1] op_sel_hi:[1,0,0]
	s_delay_alu instid0(VALU_DEP_1) | instskip(SKIP_1) | instid1(VALU_DEP_1)
	v_mov_b32_e32 v135, v129
	v_pk_mul_f32 v[128:129], v[130:131], v[120:121] op_sel:[0,1]
	v_pk_fma_f32 v[132:133], v[130:131], v[118:119], v[128:129] op_sel:[0,0,1] op_sel_hi:[1,1,0] neg_lo:[0,0,1] neg_hi:[0,0,1]
	v_pk_fma_f32 v[128:129], v[130:131], v[118:119], v[128:129] op_sel:[0,0,1] op_sel_hi:[1,0,0]
	s_delay_alu instid0(VALU_DEP_1)
	v_mov_b32_e32 v133, v129
	ds_load_2addr_b64 v[128:131], v122 offset0:37 offset1:38
	v_pk_add_f32 v[14:15], v[14:15], v[134:135] neg_lo:[0,1] neg_hi:[0,1]
	v_pk_add_f32 v[58:59], v[58:59], v[132:133] neg_lo:[0,1] neg_hi:[0,1]
	s_wait_dscnt 0x0
	v_pk_mul_f32 v[132:133], v[128:129], v[120:121] op_sel:[0,1]
	s_delay_alu instid0(VALU_DEP_1) | instskip(SKIP_1) | instid1(VALU_DEP_1)
	v_pk_fma_f32 v[134:135], v[128:129], v[118:119], v[132:133] op_sel:[0,0,1] op_sel_hi:[1,1,0] neg_lo:[0,0,1] neg_hi:[0,0,1]
	v_pk_fma_f32 v[128:129], v[128:129], v[118:119], v[132:133] op_sel:[0,0,1] op_sel_hi:[1,0,0]
	v_mov_b32_e32 v135, v129
	v_pk_mul_f32 v[128:129], v[130:131], v[120:121] op_sel:[0,1]
	s_delay_alu instid0(VALU_DEP_1) | instskip(SKIP_1) | instid1(VALU_DEP_1)
	v_pk_fma_f32 v[132:133], v[130:131], v[118:119], v[128:129] op_sel:[0,0,1] op_sel_hi:[1,1,0] neg_lo:[0,0,1] neg_hi:[0,0,1]
	v_pk_fma_f32 v[128:129], v[130:131], v[118:119], v[128:129] op_sel:[0,0,1] op_sel_hi:[1,0,0]
	v_mov_b32_e32 v133, v129
	ds_load_2addr_b64 v[128:131], v122 offset0:39 offset1:40
	v_pk_add_f32 v[54:55], v[54:55], v[134:135] neg_lo:[0,1] neg_hi:[0,1]
	v_pk_add_f32 v[56:57], v[56:57], v[132:133] neg_lo:[0,1] neg_hi:[0,1]
	s_wait_dscnt 0x0
	v_dual_mul_f32 v132, v129, v121 :: v_dual_mul_f32 v134, v129, v118
	s_delay_alu instid0(VALU_DEP_1) | instskip(NEXT) | instid1(VALU_DEP_2)
	v_pk_fma_f32 v[132:133], v[128:129], v[82:83], v[132:133] op_sel_hi:[1,1,0] neg_lo:[0,0,1] neg_hi:[0,0,1]
	v_pk_fma_f32 v[128:129], v[128:129], v[82:83], v[134:135] op_sel:[1,0,0] op_sel_hi:[0,1,0]
	s_delay_alu instid0(VALU_DEP_1) | instskip(SKIP_1) | instid1(VALU_DEP_2)
	v_mov_b32_e32 v133, v129
	v_pk_mul_f32 v[128:129], v[130:131], v[120:121] op_sel:[0,1]
	v_pk_add_f32 v[12:13], v[12:13], v[132:133] neg_lo:[0,1] neg_hi:[0,1]
	s_delay_alu instid0(VALU_DEP_2) | instskip(SKIP_1) | instid1(VALU_DEP_1)
	v_pk_fma_f32 v[132:133], v[130:131], v[118:119], v[128:129] op_sel:[0,0,1] op_sel_hi:[1,1,0] neg_lo:[0,0,1] neg_hi:[0,0,1]
	v_pk_fma_f32 v[128:129], v[130:131], v[118:119], v[128:129] op_sel:[0,0,1] op_sel_hi:[1,0,0]
	v_mov_b32_e32 v133, v129
	ds_load_2addr_b64 v[128:131], v122 offset0:41 offset1:42
	v_pk_add_f32 v[52:53], v[52:53], v[132:133] neg_lo:[0,1] neg_hi:[0,1]
	s_wait_dscnt 0x0
	v_pk_mul_f32 v[132:133], v[128:129], v[120:121] op_sel:[0,1]
	s_delay_alu instid0(VALU_DEP_1) | instskip(SKIP_1) | instid1(VALU_DEP_1)
	v_pk_fma_f32 v[134:135], v[128:129], v[118:119], v[132:133] op_sel:[0,0,1] op_sel_hi:[1,1,0] neg_lo:[0,0,1] neg_hi:[0,0,1]
	v_pk_fma_f32 v[128:129], v[128:129], v[118:119], v[132:133] op_sel:[0,0,1] op_sel_hi:[1,0,0]
	v_mov_b32_e32 v135, v129
	v_pk_mul_f32 v[128:129], v[130:131], v[120:121] op_sel:[0,1]
	s_delay_alu instid0(VALU_DEP_2) | instskip(NEXT) | instid1(VALU_DEP_2)
	v_pk_add_f32 v[48:49], v[48:49], v[134:135] neg_lo:[0,1] neg_hi:[0,1]
	v_pk_fma_f32 v[132:133], v[130:131], v[118:119], v[128:129] op_sel:[0,0,1] op_sel_hi:[1,1,0] neg_lo:[0,0,1] neg_hi:[0,0,1]
	v_pk_fma_f32 v[128:129], v[130:131], v[118:119], v[128:129] op_sel:[0,0,1] op_sel_hi:[1,0,0]
	s_delay_alu instid0(VALU_DEP_1) | instskip(SKIP_4) | instid1(VALU_DEP_1)
	v_mov_b32_e32 v133, v129
	ds_load_2addr_b64 v[128:131], v122 offset0:43 offset1:44
	v_pk_add_f32 v[50:51], v[50:51], v[132:133] neg_lo:[0,1] neg_hi:[0,1]
	s_wait_dscnt 0x0
	v_pk_mul_f32 v[132:133], v[128:129], v[120:121] op_sel:[0,1]
	v_pk_fma_f32 v[134:135], v[128:129], v[118:119], v[132:133] op_sel:[0,0,1] op_sel_hi:[1,1,0] neg_lo:[0,0,1] neg_hi:[0,0,1]
	v_pk_fma_f32 v[128:129], v[128:129], v[118:119], v[132:133] op_sel:[0,0,1] op_sel_hi:[1,0,0]
	v_dual_mul_f32 v132, v131, v121 :: v_dual_mov_b32 v128, v131
	s_delay_alu instid0(VALU_DEP_2) | instskip(NEXT) | instid1(VALU_DEP_2)
	v_dual_mov_b32 v135, v129 :: v_dual_mov_b32 v129, v130
	v_pk_fma_f32 v[132:133], v[130:131], v[82:83], v[132:133] op_sel_hi:[1,1,0] neg_lo:[0,0,1] neg_hi:[0,0,1]
	v_mul_f32_e32 v130, v131, v118
	s_delay_alu instid0(VALU_DEP_3) | instskip(NEXT) | instid1(VALU_DEP_2)
	v_pk_add_f32 v[10:11], v[10:11], v[134:135] neg_lo:[0,1] neg_hi:[0,1]
	v_pk_fma_f32 v[128:129], v[128:129], v[82:83], v[130:131] op_sel_hi:[1,1,0]
	s_delay_alu instid0(VALU_DEP_1) | instskip(SKIP_4) | instid1(VALU_DEP_1)
	v_mov_b32_e32 v133, v129
	ds_load_2addr_b64 v[128:131], v122 offset0:45 offset1:46
	v_pk_add_f32 v[46:47], v[46:47], v[132:133] neg_lo:[0,1] neg_hi:[0,1]
	s_wait_dscnt 0x0
	v_pk_mul_f32 v[132:133], v[128:129], v[120:121] op_sel:[0,1]
	v_pk_fma_f32 v[134:135], v[128:129], v[118:119], v[132:133] op_sel:[0,0,1] op_sel_hi:[1,1,0] neg_lo:[0,0,1] neg_hi:[0,0,1]
	v_pk_fma_f32 v[128:129], v[128:129], v[118:119], v[132:133] op_sel:[0,0,1] op_sel_hi:[1,0,0]
	s_delay_alu instid0(VALU_DEP_1) | instskip(SKIP_1) | instid1(VALU_DEP_1)
	v_mov_b32_e32 v135, v129
	v_pk_mul_f32 v[128:129], v[130:131], v[120:121] op_sel:[0,1]
	v_pk_fma_f32 v[132:133], v[130:131], v[118:119], v[128:129] op_sel:[0,0,1] op_sel_hi:[1,1,0] neg_lo:[0,0,1] neg_hi:[0,0,1]
	v_pk_fma_f32 v[128:129], v[130:131], v[118:119], v[128:129] op_sel:[0,0,1] op_sel_hi:[1,0,0]
	s_delay_alu instid0(VALU_DEP_1)
	v_mov_b32_e32 v133, v129
	ds_load_2addr_b64 v[128:131], v122 offset0:47 offset1:48
	v_pk_add_f32 v[42:43], v[42:43], v[134:135] neg_lo:[0,1] neg_hi:[0,1]
	v_pk_add_f32 v[44:45], v[44:45], v[132:133] neg_lo:[0,1] neg_hi:[0,1]
	s_wait_dscnt 0x0
	v_pk_mul_f32 v[132:133], v[128:129], v[120:121] op_sel:[0,1]
	s_delay_alu instid0(VALU_DEP_1) | instskip(SKIP_1) | instid1(VALU_DEP_1)
	v_pk_fma_f32 v[134:135], v[128:129], v[118:119], v[132:133] op_sel:[0,0,1] op_sel_hi:[1,1,0] neg_lo:[0,0,1] neg_hi:[0,0,1]
	v_pk_fma_f32 v[128:129], v[128:129], v[118:119], v[132:133] op_sel:[0,0,1] op_sel_hi:[1,0,0]
	v_mov_b32_e32 v135, v129
	v_pk_mul_f32 v[128:129], v[130:131], v[120:121] op_sel:[0,1]
	s_delay_alu instid0(VALU_DEP_1) | instskip(SKIP_1) | instid1(VALU_DEP_1)
	v_pk_fma_f32 v[132:133], v[130:131], v[118:119], v[128:129] op_sel:[0,0,1] op_sel_hi:[1,1,0] neg_lo:[0,0,1] neg_hi:[0,0,1]
	v_pk_fma_f32 v[128:129], v[130:131], v[118:119], v[128:129] op_sel:[0,0,1] op_sel_hi:[1,0,0]
	v_mov_b32_e32 v133, v129
	ds_load_2addr_b64 v[128:131], v122 offset0:49 offset1:50
	v_pk_add_f32 v[6:7], v[6:7], v[134:135] neg_lo:[0,1] neg_hi:[0,1]
	v_pk_add_f32 v[34:35], v[34:35], v[132:133] neg_lo:[0,1] neg_hi:[0,1]
	s_wait_dscnt 0x0
	v_dual_mul_f32 v132, v129, v121 :: v_dual_mul_f32 v134, v129, v118
	s_delay_alu instid0(VALU_DEP_1) | instskip(NEXT) | instid1(VALU_DEP_2)
	v_pk_fma_f32 v[132:133], v[128:129], v[82:83], v[132:133] op_sel_hi:[1,1,0] neg_lo:[0,0,1] neg_hi:[0,0,1]
	v_pk_fma_f32 v[128:129], v[128:129], v[82:83], v[134:135] op_sel:[1,0,0] op_sel_hi:[0,1,0]
	s_delay_alu instid0(VALU_DEP_1) | instskip(SKIP_1) | instid1(VALU_DEP_2)
	v_mov_b32_e32 v133, v129
	v_pk_mul_f32 v[128:129], v[130:131], v[120:121] op_sel:[0,1]
	v_pk_add_f32 v[28:29], v[28:29], v[132:133] neg_lo:[0,1] neg_hi:[0,1]
	s_delay_alu instid0(VALU_DEP_2) | instskip(SKIP_1) | instid1(VALU_DEP_1)
	v_pk_fma_f32 v[132:133], v[130:131], v[118:119], v[128:129] op_sel:[0,0,1] op_sel_hi:[1,1,0] neg_lo:[0,0,1] neg_hi:[0,0,1]
	v_pk_fma_f32 v[128:129], v[130:131], v[118:119], v[128:129] op_sel:[0,0,1] op_sel_hi:[1,0,0]
	v_mov_b32_e32 v133, v129
	ds_load_2addr_b64 v[128:131], v122 offset0:51 offset1:52
	v_pk_add_f32 v[32:33], v[32:33], v[132:133] neg_lo:[0,1] neg_hi:[0,1]
	s_wait_dscnt 0x0
	v_pk_mul_f32 v[132:133], v[128:129], v[120:121] op_sel:[0,1]
	s_delay_alu instid0(VALU_DEP_1) | instskip(SKIP_1) | instid1(VALU_DEP_1)
	v_pk_fma_f32 v[134:135], v[128:129], v[118:119], v[132:133] op_sel:[0,0,1] op_sel_hi:[1,1,0] neg_lo:[0,0,1] neg_hi:[0,0,1]
	v_pk_fma_f32 v[128:129], v[128:129], v[118:119], v[132:133] op_sel:[0,0,1] op_sel_hi:[1,0,0]
	v_mov_b32_e32 v135, v129
	v_pk_mul_f32 v[128:129], v[130:131], v[120:121] op_sel:[0,1]
	s_delay_alu instid0(VALU_DEP_2) | instskip(NEXT) | instid1(VALU_DEP_2)
	v_pk_add_f32 v[8:9], v[8:9], v[134:135] neg_lo:[0,1] neg_hi:[0,1]
	v_pk_fma_f32 v[132:133], v[130:131], v[118:119], v[128:129] op_sel:[0,0,1] op_sel_hi:[1,1,0] neg_lo:[0,0,1] neg_hi:[0,0,1]
	v_pk_fma_f32 v[128:129], v[130:131], v[118:119], v[128:129] op_sel:[0,0,1] op_sel_hi:[1,0,0]
	s_delay_alu instid0(VALU_DEP_1) | instskip(SKIP_4) | instid1(VALU_DEP_1)
	v_mov_b32_e32 v133, v129
	ds_load_2addr_b64 v[128:131], v122 offset0:53 offset1:54
	v_pk_add_f32 v[26:27], v[26:27], v[132:133] neg_lo:[0,1] neg_hi:[0,1]
	s_wait_dscnt 0x0
	v_pk_mul_f32 v[132:133], v[128:129], v[120:121] op_sel:[0,1]
	v_pk_fma_f32 v[134:135], v[128:129], v[118:119], v[132:133] op_sel:[0,0,1] op_sel_hi:[1,1,0] neg_lo:[0,0,1] neg_hi:[0,0,1]
	v_pk_fma_f32 v[128:129], v[128:129], v[118:119], v[132:133] op_sel:[0,0,1] op_sel_hi:[1,0,0]
	v_dual_mul_f32 v132, v131, v121 :: v_dual_mov_b32 v128, v131
	s_delay_alu instid0(VALU_DEP_2) | instskip(NEXT) | instid1(VALU_DEP_2)
	v_dual_mov_b32 v135, v129 :: v_dual_mov_b32 v129, v130
	v_pk_fma_f32 v[132:133], v[130:131], v[82:83], v[132:133] op_sel_hi:[1,1,0] neg_lo:[0,0,1] neg_hi:[0,0,1]
	v_mul_f32_e32 v130, v131, v118
	s_delay_alu instid0(VALU_DEP_3) | instskip(NEXT) | instid1(VALU_DEP_2)
	v_pk_add_f32 v[22:23], v[22:23], v[134:135] neg_lo:[0,1] neg_hi:[0,1]
	v_pk_fma_f32 v[128:129], v[128:129], v[82:83], v[130:131] op_sel_hi:[1,1,0]
	s_delay_alu instid0(VALU_DEP_1) | instskip(SKIP_4) | instid1(VALU_DEP_1)
	v_mov_b32_e32 v133, v129
	ds_load_b64 v[128:129], v122 offset:440
	v_pk_add_f32 v[20:21], v[20:21], v[132:133] neg_lo:[0,1] neg_hi:[0,1]
	s_wait_dscnt 0x0
	v_pk_mul_f32 v[120:121], v[128:129], v[120:121] op_sel:[0,1]
	v_pk_fma_f32 v[130:131], v[128:129], v[118:119], v[120:121] op_sel:[0,0,1] op_sel_hi:[1,1,0] neg_lo:[0,0,1] neg_hi:[0,0,1]
	v_pk_fma_f32 v[118:119], v[128:129], v[118:119], v[120:121] op_sel:[0,0,1] op_sel_hi:[1,0,0]
	s_delay_alu instid0(VALU_DEP_1) | instskip(NEXT) | instid1(VALU_DEP_1)
	v_mov_b32_e32 v131, v119
	v_pk_add_f32 v[116:117], v[116:117], v[130:131] neg_lo:[0,1] neg_hi:[0,1]
.LBB110_440:
	s_or_b32 exec_lo, exec_lo, s0
	v_lshl_add_u32 v118, v126, 3, v122
	s_barrier_signal -1
	s_barrier_wait -1
	ds_store_b64 v118, v[78:79]
	s_wait_dscnt 0x0
	s_barrier_signal -1
	s_barrier_wait -1
	ds_load_b64 v[120:121], v122 offset:168
	v_mov_b32_e32 v118, 21
	s_cmp_lt_i32 s18, 23
	s_cbranch_scc1 .LBB110_443
; %bb.441:
	v_add3_u32 v119, v123, 0, 0xb0
	v_mov_b32_e32 v118, 21
	s_mov_b32 s0, 22
.LBB110_442:                            ; =>This Inner Loop Header: Depth=1
	ds_load_b64 v[128:129], v119
	s_wait_dscnt 0x1
	v_cmp_gt_f32_e32 vcc_lo, 0, v120
	v_cndmask_b32_e64 v130, v120, -v120, vcc_lo
	v_cmp_gt_f32_e32 vcc_lo, 0, v121
	v_cndmask_b32_e64 v132, v121, -v121, vcc_lo
	s_wait_dscnt 0x0
	v_cmp_gt_f32_e32 vcc_lo, 0, v128
	v_cndmask_b32_e64 v131, v128, -v128, vcc_lo
	v_cmp_gt_f32_e32 vcc_lo, 0, v129
	v_cndmask_b32_e64 v133, v129, -v129, vcc_lo
	s_delay_alu instid0(VALU_DEP_1) | instskip(NEXT) | instid1(VALU_DEP_1)
	v_pk_add_f32 v[130:131], v[130:131], v[132:133]
	v_cmp_lt_f32_e32 vcc_lo, v130, v131
	v_dual_add_nc_u32 v119, 8, v119 :: v_dual_cndmask_b32 v121, v121, v129, vcc_lo
	v_cndmask_b32_e32 v120, v120, v128, vcc_lo
	v_cndmask_b32_e64 v118, v118, s0, vcc_lo
	s_add_co_i32 s0, s0, 1
	s_delay_alu instid0(SALU_CYCLE_1)
	s_cmp_lg_u32 s18, s0
	s_cbranch_scc1 .LBB110_442
.LBB110_443:
	s_wait_dscnt 0x0
	v_cmp_eq_f32_e32 vcc_lo, 0, v120
	v_cmp_eq_f32_e64 s0, 0, v121
	s_and_b32 s0, vcc_lo, s0
	s_delay_alu instid0(SALU_CYCLE_1) | instskip(NEXT) | instid1(SALU_CYCLE_1)
	s_and_saveexec_b32 s1, s0
	s_xor_b32 s0, exec_lo, s1
; %bb.444:
	v_cmp_ne_u32_e32 vcc_lo, 0, v124
	v_cndmask_b32_e32 v124, 22, v124, vcc_lo
; %bb.445:
	s_and_not1_saveexec_b32 s0, s0
	s_cbranch_execz .LBB110_451
; %bb.446:
	v_cmp_ngt_f32_e64 s1, |v120|, |v121|
	s_and_saveexec_b32 s12, s1
	s_delay_alu instid0(SALU_CYCLE_1)
	s_xor_b32 s1, exec_lo, s12
	s_cbranch_execz .LBB110_448
; %bb.447:
	v_div_scale_f32 v119, null, v121, v121, v120
	v_div_scale_f32 v129, vcc_lo, v120, v121, v120
	s_delay_alu instid0(VALU_DEP_2) | instskip(SKIP_1) | instid1(TRANS32_DEP_1)
	v_rcp_f32_e32 v127, v119
	v_nop
	v_fma_f32 v128, -v119, v127, 1.0
	s_delay_alu instid0(VALU_DEP_1) | instskip(NEXT) | instid1(VALU_DEP_1)
	v_fmac_f32_e32 v127, v128, v127
	v_mul_f32_e32 v128, v129, v127
	s_delay_alu instid0(VALU_DEP_1) | instskip(NEXT) | instid1(VALU_DEP_1)
	v_fma_f32 v130, -v119, v128, v129
	v_fmac_f32_e32 v128, v130, v127
	s_delay_alu instid0(VALU_DEP_1) | instskip(NEXT) | instid1(VALU_DEP_1)
	v_fma_f32 v119, -v119, v128, v129
	v_div_fmas_f32 v119, v119, v127, v128
	s_delay_alu instid0(VALU_DEP_1) | instskip(NEXT) | instid1(VALU_DEP_1)
	v_div_fixup_f32 v119, v119, v121, v120
	v_fmac_f32_e32 v121, v120, v119
	s_delay_alu instid0(VALU_DEP_1) | instskip(SKIP_1) | instid1(VALU_DEP_2)
	v_div_scale_f32 v120, null, v121, v121, 1.0
	v_div_scale_f32 v129, vcc_lo, 1.0, v121, 1.0
	v_rcp_f32_e32 v127, v120
	v_nop
	s_delay_alu instid0(TRANS32_DEP_1) | instskip(NEXT) | instid1(VALU_DEP_1)
	v_fma_f32 v128, -v120, v127, 1.0
	v_fmac_f32_e32 v127, v128, v127
	s_delay_alu instid0(VALU_DEP_1) | instskip(NEXT) | instid1(VALU_DEP_1)
	v_mul_f32_e32 v128, v129, v127
	v_fma_f32 v130, -v120, v128, v129
	s_delay_alu instid0(VALU_DEP_1) | instskip(NEXT) | instid1(VALU_DEP_1)
	v_fmac_f32_e32 v128, v130, v127
	v_fma_f32 v120, -v120, v128, v129
	s_delay_alu instid0(VALU_DEP_1) | instskip(NEXT) | instid1(VALU_DEP_1)
	v_div_fmas_f32 v120, v120, v127, v128
	v_div_fixup_f32 v121, v120, v121, 1.0
	s_delay_alu instid0(VALU_DEP_1)
	v_mul_f32_e32 v120, v119, v121
	v_xor_b32_e32 v121, 0x80000000, v121
.LBB110_448:
	s_and_not1_saveexec_b32 s1, s1
	s_cbranch_execz .LBB110_450
; %bb.449:
	s_delay_alu instid0(VALU_DEP_1) | instskip(SKIP_1) | instid1(VALU_DEP_2)
	v_div_scale_f32 v119, null, v120, v120, v121
	v_div_scale_f32 v129, vcc_lo, v121, v120, v121
	v_rcp_f32_e32 v127, v119
	v_nop
	s_delay_alu instid0(TRANS32_DEP_1) | instskip(NEXT) | instid1(VALU_DEP_1)
	v_fma_f32 v128, -v119, v127, 1.0
	v_fmac_f32_e32 v127, v128, v127
	s_delay_alu instid0(VALU_DEP_1) | instskip(NEXT) | instid1(VALU_DEP_1)
	v_mul_f32_e32 v128, v129, v127
	v_fma_f32 v130, -v119, v128, v129
	s_delay_alu instid0(VALU_DEP_1) | instskip(NEXT) | instid1(VALU_DEP_1)
	v_fmac_f32_e32 v128, v130, v127
	v_fma_f32 v119, -v119, v128, v129
	s_delay_alu instid0(VALU_DEP_1) | instskip(NEXT) | instid1(VALU_DEP_1)
	v_div_fmas_f32 v119, v119, v127, v128
	v_div_fixup_f32 v119, v119, v120, v121
	s_delay_alu instid0(VALU_DEP_1) | instskip(NEXT) | instid1(VALU_DEP_1)
	v_fmac_f32_e32 v120, v121, v119
	v_div_scale_f32 v121, null, v120, v120, 1.0
	s_delay_alu instid0(VALU_DEP_1) | instskip(SKIP_1) | instid1(TRANS32_DEP_1)
	v_rcp_f32_e32 v127, v121
	v_nop
	v_fma_f32 v128, -v121, v127, 1.0
	s_delay_alu instid0(VALU_DEP_1) | instskip(SKIP_1) | instid1(VALU_DEP_1)
	v_fmac_f32_e32 v127, v128, v127
	v_div_scale_f32 v128, vcc_lo, 1.0, v120, 1.0
	v_mul_f32_e32 v129, v128, v127
	s_delay_alu instid0(VALU_DEP_1) | instskip(NEXT) | instid1(VALU_DEP_1)
	v_fma_f32 v130, -v121, v129, v128
	v_fmac_f32_e32 v129, v130, v127
	s_delay_alu instid0(VALU_DEP_1) | instskip(NEXT) | instid1(VALU_DEP_1)
	v_fma_f32 v121, -v121, v129, v128
	v_div_fmas_f32 v121, v121, v127, v129
	s_delay_alu instid0(VALU_DEP_1) | instskip(NEXT) | instid1(VALU_DEP_1)
	v_div_fixup_f32 v120, v121, v120, 1.0
	v_mul_f32_e64 v121, v119, -v120
.LBB110_450:
	s_or_b32 exec_lo, exec_lo, s1
.LBB110_451:
	s_delay_alu instid0(SALU_CYCLE_1) | instskip(NEXT) | instid1(SALU_CYCLE_1)
	s_or_b32 exec_lo, exec_lo, s0
	s_mov_b32 s0, exec_lo
	v_cmpx_ne_u32_e64 v126, v118
	s_xor_b32 s0, exec_lo, s0
	s_cbranch_execz .LBB110_457
; %bb.452:
	s_mov_b32 s1, exec_lo
	v_cmpx_eq_u32_e32 21, v126
	s_cbranch_execz .LBB110_456
; %bb.453:
	v_cmp_ne_u32_e32 vcc_lo, 21, v118
	s_xor_b32 s12, s16, -1
	s_delay_alu instid0(SALU_CYCLE_1) | instskip(NEXT) | instid1(SALU_CYCLE_1)
	s_and_b32 s13, s12, vcc_lo
	s_and_saveexec_b32 s12, s13
	s_cbranch_execz .LBB110_455
; %bb.454:
	v_ashrrev_i32_e32 v119, 31, v118
	s_delay_alu instid0(VALU_DEP_1)
	v_lshl_add_u64 v[126:127], v[118:119], 2, v[4:5]
	s_clause 0x1
	global_load_b32 v119, v[126:127], off
	global_load_b32 v125, v[4:5], off offset:84
	s_wait_loadcnt 0x1
	global_store_b32 v[4:5], v119, off offset:84
	s_wait_loadcnt 0x0
	global_store_b32 v[126:127], v125, off
.LBB110_455:
	s_wait_xcnt 0x0
	s_or_b32 exec_lo, exec_lo, s12
	v_dual_mov_b32 v126, v118 :: v_dual_mov_b32 v125, v118
.LBB110_456:
	s_or_b32 exec_lo, exec_lo, s1
.LBB110_457:
	s_and_not1_saveexec_b32 s0, s0
	s_cbranch_execz .LBB110_459
; %bb.458:
	v_dual_mov_b32 v118, v80 :: v_dual_mov_b32 v119, v81
	v_dual_mov_b32 v126, v24 :: v_dual_mov_b32 v127, v25
	ds_store_2addr_b64 v122, v[118:119], v[126:127] offset0:22 offset1:23
	v_dual_mov_b32 v118, v76 :: v_dual_mov_b32 v119, v77
	v_dual_mov_b32 v126, v72 :: v_dual_mov_b32 v127, v73
	ds_store_2addr_b64 v122, v[118:119], v[126:127] offset0:24 offset1:25
	;; [unrolled: 3-line block ×16, first 2 shown]
	v_dual_mov_b32 v118, v20 :: v_dual_mov_b32 v119, v21
	v_mov_b32_e32 v126, 21
	ds_store_2addr_b64 v122, v[118:119], v[116:117] offset0:54 offset1:55
.LBB110_459:
	s_or_b32 exec_lo, exec_lo, s0
	s_delay_alu instid0(SALU_CYCLE_1)
	s_mov_b32 s0, exec_lo
	s_wait_storecnt_dscnt 0x0
	s_barrier_signal -1
	s_barrier_wait -1
	v_cmpx_lt_i32_e32 21, v126
	s_cbranch_execz .LBB110_461
; %bb.460:
	v_pk_mul_f32 v[128:129], v[120:121], v[78:79] op_sel:[1,1] op_sel_hi:[0,1]
	s_delay_alu instid0(VALU_DEP_1)
	v_pk_fma_f32 v[118:119], v[120:121], v[78:79], v[128:129] op_sel_hi:[1,0,1] neg_lo:[0,0,1] neg_hi:[0,0,1]
	v_pk_fma_f32 v[120:121], v[120:121], v[78:79], v[128:129] op_sel_hi:[1,0,1]
	ds_load_2addr_b64 v[128:131], v122 offset0:22 offset1:23
	v_dual_mov_b32 v78, v118 :: v_dual_mov_b32 v79, v121
	s_wait_dscnt 0x0
	v_pk_mul_f32 v[132:133], v[128:129], v[120:121] op_sel:[0,1]
	s_delay_alu instid0(VALU_DEP_1) | instskip(SKIP_1) | instid1(VALU_DEP_1)
	v_pk_fma_f32 v[134:135], v[128:129], v[118:119], v[132:133] op_sel:[0,0,1] op_sel_hi:[1,1,0] neg_lo:[0,0,1] neg_hi:[0,0,1]
	v_pk_fma_f32 v[128:129], v[128:129], v[118:119], v[132:133] op_sel:[0,0,1] op_sel_hi:[1,0,0]
	v_mov_b32_e32 v135, v129
	v_pk_mul_f32 v[128:129], v[130:131], v[120:121] op_sel:[0,1]
	s_delay_alu instid0(VALU_DEP_1) | instskip(SKIP_1) | instid1(VALU_DEP_1)
	v_pk_fma_f32 v[132:133], v[130:131], v[118:119], v[128:129] op_sel:[0,0,1] op_sel_hi:[1,1,0] neg_lo:[0,0,1] neg_hi:[0,0,1]
	v_pk_fma_f32 v[128:129], v[130:131], v[118:119], v[128:129] op_sel:[0,0,1] op_sel_hi:[1,0,0]
	v_mov_b32_e32 v133, v129
	ds_load_2addr_b64 v[128:131], v122 offset0:24 offset1:25
	v_pk_add_f32 v[80:81], v[80:81], v[134:135] neg_lo:[0,1] neg_hi:[0,1]
	v_pk_add_f32 v[24:25], v[24:25], v[132:133] neg_lo:[0,1] neg_hi:[0,1]
	s_wait_dscnt 0x0
	v_pk_mul_f32 v[132:133], v[128:129], v[120:121] op_sel:[0,1]
	s_delay_alu instid0(VALU_DEP_1) | instskip(SKIP_2) | instid1(VALU_DEP_2)
	v_pk_fma_f32 v[134:135], v[128:129], v[118:119], v[132:133] op_sel:[0,0,1] op_sel_hi:[1,1,0] neg_lo:[0,0,1] neg_hi:[0,0,1]
	v_pk_fma_f32 v[128:129], v[128:129], v[118:119], v[132:133] op_sel:[0,0,1] op_sel_hi:[1,0,0]
	v_dual_mul_f32 v132, v131, v121 :: v_dual_mov_b32 v128, v131
	v_dual_mov_b32 v135, v129 :: v_dual_mov_b32 v129, v130
	s_delay_alu instid0(VALU_DEP_2) | instskip(SKIP_1) | instid1(VALU_DEP_3)
	v_pk_fma_f32 v[132:133], v[130:131], v[78:79], v[132:133] op_sel_hi:[1,1,0] neg_lo:[0,0,1] neg_hi:[0,0,1]
	v_mul_f32_e32 v130, v131, v118
	v_pk_add_f32 v[76:77], v[76:77], v[134:135] neg_lo:[0,1] neg_hi:[0,1]
	s_delay_alu instid0(VALU_DEP_2) | instskip(NEXT) | instid1(VALU_DEP_1)
	v_pk_fma_f32 v[128:129], v[128:129], v[78:79], v[130:131] op_sel_hi:[1,1,0]
	v_mov_b32_e32 v133, v129
	ds_load_2addr_b64 v[128:131], v122 offset0:26 offset1:27
	v_pk_add_f32 v[72:73], v[72:73], v[132:133] neg_lo:[0,1] neg_hi:[0,1]
	s_wait_dscnt 0x0
	v_pk_mul_f32 v[132:133], v[128:129], v[120:121] op_sel:[0,1]
	s_delay_alu instid0(VALU_DEP_1) | instskip(SKIP_1) | instid1(VALU_DEP_1)
	v_pk_fma_f32 v[134:135], v[128:129], v[118:119], v[132:133] op_sel:[0,0,1] op_sel_hi:[1,1,0] neg_lo:[0,0,1] neg_hi:[0,0,1]
	v_pk_fma_f32 v[128:129], v[128:129], v[118:119], v[132:133] op_sel:[0,0,1] op_sel_hi:[1,0,0]
	v_mov_b32_e32 v135, v129
	v_pk_mul_f32 v[128:129], v[130:131], v[120:121] op_sel:[0,1]
	s_delay_alu instid0(VALU_DEP_1) | instskip(SKIP_1) | instid1(VALU_DEP_1)
	v_pk_fma_f32 v[132:133], v[130:131], v[118:119], v[128:129] op_sel:[0,0,1] op_sel_hi:[1,1,0] neg_lo:[0,0,1] neg_hi:[0,0,1]
	v_pk_fma_f32 v[128:129], v[130:131], v[118:119], v[128:129] op_sel:[0,0,1] op_sel_hi:[1,0,0]
	v_mov_b32_e32 v133, v129
	ds_load_2addr_b64 v[128:131], v122 offset0:28 offset1:29
	v_pk_add_f32 v[74:75], v[74:75], v[134:135] neg_lo:[0,1] neg_hi:[0,1]
	v_pk_add_f32 v[18:19], v[18:19], v[132:133] neg_lo:[0,1] neg_hi:[0,1]
	s_wait_dscnt 0x0
	v_pk_mul_f32 v[132:133], v[128:129], v[120:121] op_sel:[0,1]
	s_delay_alu instid0(VALU_DEP_1) | instskip(SKIP_1) | instid1(VALU_DEP_1)
	v_pk_fma_f32 v[134:135], v[128:129], v[118:119], v[132:133] op_sel:[0,0,1] op_sel_hi:[1,1,0] neg_lo:[0,0,1] neg_hi:[0,0,1]
	v_pk_fma_f32 v[128:129], v[128:129], v[118:119], v[132:133] op_sel:[0,0,1] op_sel_hi:[1,0,0]
	v_mov_b32_e32 v135, v129
	v_pk_mul_f32 v[128:129], v[130:131], v[120:121] op_sel:[0,1]
	s_delay_alu instid0(VALU_DEP_1) | instskip(SKIP_1) | instid1(VALU_DEP_1)
	v_pk_fma_f32 v[132:133], v[130:131], v[118:119], v[128:129] op_sel:[0,0,1] op_sel_hi:[1,1,0] neg_lo:[0,0,1] neg_hi:[0,0,1]
	v_pk_fma_f32 v[128:129], v[130:131], v[118:119], v[128:129] op_sel:[0,0,1] op_sel_hi:[1,0,0]
	v_mov_b32_e32 v133, v129
	ds_load_2addr_b64 v[128:131], v122 offset0:30 offset1:31
	v_pk_add_f32 v[70:71], v[70:71], v[134:135] neg_lo:[0,1] neg_hi:[0,1]
	v_pk_add_f32 v[66:67], v[66:67], v[132:133] neg_lo:[0,1] neg_hi:[0,1]
	s_wait_dscnt 0x0
	v_dual_mul_f32 v132, v129, v121 :: v_dual_mul_f32 v134, v129, v118
	s_delay_alu instid0(VALU_DEP_1) | instskip(NEXT) | instid1(VALU_DEP_2)
	v_pk_fma_f32 v[132:133], v[128:129], v[78:79], v[132:133] op_sel_hi:[1,1,0] neg_lo:[0,0,1] neg_hi:[0,0,1]
	v_pk_fma_f32 v[128:129], v[128:129], v[78:79], v[134:135] op_sel:[1,0,0] op_sel_hi:[0,1,0]
	s_delay_alu instid0(VALU_DEP_1) | instskip(SKIP_1) | instid1(VALU_DEP_2)
	v_mov_b32_e32 v133, v129
	v_pk_mul_f32 v[128:129], v[130:131], v[120:121] op_sel:[0,1]
	v_pk_add_f32 v[68:69], v[68:69], v[132:133] neg_lo:[0,1] neg_hi:[0,1]
	s_delay_alu instid0(VALU_DEP_2) | instskip(SKIP_1) | instid1(VALU_DEP_1)
	v_pk_fma_f32 v[132:133], v[130:131], v[118:119], v[128:129] op_sel:[0,0,1] op_sel_hi:[1,1,0] neg_lo:[0,0,1] neg_hi:[0,0,1]
	v_pk_fma_f32 v[128:129], v[130:131], v[118:119], v[128:129] op_sel:[0,0,1] op_sel_hi:[1,0,0]
	v_mov_b32_e32 v133, v129
	ds_load_2addr_b64 v[128:131], v122 offset0:32 offset1:33
	v_pk_add_f32 v[16:17], v[16:17], v[132:133] neg_lo:[0,1] neg_hi:[0,1]
	s_wait_dscnt 0x0
	v_pk_mul_f32 v[132:133], v[128:129], v[120:121] op_sel:[0,1]
	s_delay_alu instid0(VALU_DEP_1) | instskip(SKIP_1) | instid1(VALU_DEP_1)
	v_pk_fma_f32 v[134:135], v[128:129], v[118:119], v[132:133] op_sel:[0,0,1] op_sel_hi:[1,1,0] neg_lo:[0,0,1] neg_hi:[0,0,1]
	v_pk_fma_f32 v[128:129], v[128:129], v[118:119], v[132:133] op_sel:[0,0,1] op_sel_hi:[1,0,0]
	v_mov_b32_e32 v135, v129
	v_pk_mul_f32 v[128:129], v[130:131], v[120:121] op_sel:[0,1]
	s_delay_alu instid0(VALU_DEP_2) | instskip(NEXT) | instid1(VALU_DEP_2)
	v_pk_add_f32 v[64:65], v[64:65], v[134:135] neg_lo:[0,1] neg_hi:[0,1]
	v_pk_fma_f32 v[132:133], v[130:131], v[118:119], v[128:129] op_sel:[0,0,1] op_sel_hi:[1,1,0] neg_lo:[0,0,1] neg_hi:[0,0,1]
	v_pk_fma_f32 v[128:129], v[130:131], v[118:119], v[128:129] op_sel:[0,0,1] op_sel_hi:[1,0,0]
	s_delay_alu instid0(VALU_DEP_1) | instskip(SKIP_4) | instid1(VALU_DEP_1)
	v_mov_b32_e32 v133, v129
	ds_load_2addr_b64 v[128:131], v122 offset0:34 offset1:35
	v_pk_add_f32 v[60:61], v[60:61], v[132:133] neg_lo:[0,1] neg_hi:[0,1]
	s_wait_dscnt 0x0
	v_pk_mul_f32 v[132:133], v[128:129], v[120:121] op_sel:[0,1]
	v_pk_fma_f32 v[134:135], v[128:129], v[118:119], v[132:133] op_sel:[0,0,1] op_sel_hi:[1,1,0] neg_lo:[0,0,1] neg_hi:[0,0,1]
	v_pk_fma_f32 v[128:129], v[128:129], v[118:119], v[132:133] op_sel:[0,0,1] op_sel_hi:[1,0,0]
	v_dual_mul_f32 v132, v131, v121 :: v_dual_mov_b32 v128, v131
	s_delay_alu instid0(VALU_DEP_2) | instskip(NEXT) | instid1(VALU_DEP_2)
	v_dual_mov_b32 v135, v129 :: v_dual_mov_b32 v129, v130
	v_pk_fma_f32 v[132:133], v[130:131], v[78:79], v[132:133] op_sel_hi:[1,1,0] neg_lo:[0,0,1] neg_hi:[0,0,1]
	v_mul_f32_e32 v130, v131, v118
	s_delay_alu instid0(VALU_DEP_3) | instskip(NEXT) | instid1(VALU_DEP_2)
	v_pk_add_f32 v[62:63], v[62:63], v[134:135] neg_lo:[0,1] neg_hi:[0,1]
	v_pk_fma_f32 v[128:129], v[128:129], v[78:79], v[130:131] op_sel_hi:[1,1,0]
	s_delay_alu instid0(VALU_DEP_1) | instskip(SKIP_4) | instid1(VALU_DEP_1)
	v_mov_b32_e32 v133, v129
	ds_load_2addr_b64 v[128:131], v122 offset0:36 offset1:37
	v_pk_add_f32 v[14:15], v[14:15], v[132:133] neg_lo:[0,1] neg_hi:[0,1]
	s_wait_dscnt 0x0
	v_pk_mul_f32 v[132:133], v[128:129], v[120:121] op_sel:[0,1]
	v_pk_fma_f32 v[134:135], v[128:129], v[118:119], v[132:133] op_sel:[0,0,1] op_sel_hi:[1,1,0] neg_lo:[0,0,1] neg_hi:[0,0,1]
	v_pk_fma_f32 v[128:129], v[128:129], v[118:119], v[132:133] op_sel:[0,0,1] op_sel_hi:[1,0,0]
	s_delay_alu instid0(VALU_DEP_1) | instskip(SKIP_1) | instid1(VALU_DEP_1)
	v_mov_b32_e32 v135, v129
	v_pk_mul_f32 v[128:129], v[130:131], v[120:121] op_sel:[0,1]
	v_pk_fma_f32 v[132:133], v[130:131], v[118:119], v[128:129] op_sel:[0,0,1] op_sel_hi:[1,1,0] neg_lo:[0,0,1] neg_hi:[0,0,1]
	v_pk_fma_f32 v[128:129], v[130:131], v[118:119], v[128:129] op_sel:[0,0,1] op_sel_hi:[1,0,0]
	s_delay_alu instid0(VALU_DEP_1)
	v_mov_b32_e32 v133, v129
	ds_load_2addr_b64 v[128:131], v122 offset0:38 offset1:39
	v_pk_add_f32 v[58:59], v[58:59], v[134:135] neg_lo:[0,1] neg_hi:[0,1]
	v_pk_add_f32 v[54:55], v[54:55], v[132:133] neg_lo:[0,1] neg_hi:[0,1]
	s_wait_dscnt 0x0
	v_pk_mul_f32 v[132:133], v[128:129], v[120:121] op_sel:[0,1]
	s_delay_alu instid0(VALU_DEP_1) | instskip(SKIP_1) | instid1(VALU_DEP_1)
	v_pk_fma_f32 v[134:135], v[128:129], v[118:119], v[132:133] op_sel:[0,0,1] op_sel_hi:[1,1,0] neg_lo:[0,0,1] neg_hi:[0,0,1]
	v_pk_fma_f32 v[128:129], v[128:129], v[118:119], v[132:133] op_sel:[0,0,1] op_sel_hi:[1,0,0]
	v_mov_b32_e32 v135, v129
	v_pk_mul_f32 v[128:129], v[130:131], v[120:121] op_sel:[0,1]
	s_delay_alu instid0(VALU_DEP_1) | instskip(SKIP_1) | instid1(VALU_DEP_1)
	v_pk_fma_f32 v[132:133], v[130:131], v[118:119], v[128:129] op_sel:[0,0,1] op_sel_hi:[1,1,0] neg_lo:[0,0,1] neg_hi:[0,0,1]
	v_pk_fma_f32 v[128:129], v[130:131], v[118:119], v[128:129] op_sel:[0,0,1] op_sel_hi:[1,0,0]
	v_mov_b32_e32 v133, v129
	ds_load_2addr_b64 v[128:131], v122 offset0:40 offset1:41
	v_pk_add_f32 v[56:57], v[56:57], v[134:135] neg_lo:[0,1] neg_hi:[0,1]
	v_pk_add_f32 v[12:13], v[12:13], v[132:133] neg_lo:[0,1] neg_hi:[0,1]
	s_wait_dscnt 0x0
	v_dual_mul_f32 v132, v129, v121 :: v_dual_mul_f32 v134, v129, v118
	s_delay_alu instid0(VALU_DEP_1) | instskip(NEXT) | instid1(VALU_DEP_2)
	v_pk_fma_f32 v[132:133], v[128:129], v[78:79], v[132:133] op_sel_hi:[1,1,0] neg_lo:[0,0,1] neg_hi:[0,0,1]
	v_pk_fma_f32 v[128:129], v[128:129], v[78:79], v[134:135] op_sel:[1,0,0] op_sel_hi:[0,1,0]
	s_delay_alu instid0(VALU_DEP_1) | instskip(SKIP_1) | instid1(VALU_DEP_2)
	v_mov_b32_e32 v133, v129
	v_pk_mul_f32 v[128:129], v[130:131], v[120:121] op_sel:[0,1]
	v_pk_add_f32 v[52:53], v[52:53], v[132:133] neg_lo:[0,1] neg_hi:[0,1]
	s_delay_alu instid0(VALU_DEP_2) | instskip(SKIP_1) | instid1(VALU_DEP_1)
	v_pk_fma_f32 v[132:133], v[130:131], v[118:119], v[128:129] op_sel:[0,0,1] op_sel_hi:[1,1,0] neg_lo:[0,0,1] neg_hi:[0,0,1]
	v_pk_fma_f32 v[128:129], v[130:131], v[118:119], v[128:129] op_sel:[0,0,1] op_sel_hi:[1,0,0]
	v_mov_b32_e32 v133, v129
	ds_load_2addr_b64 v[128:131], v122 offset0:42 offset1:43
	v_pk_add_f32 v[48:49], v[48:49], v[132:133] neg_lo:[0,1] neg_hi:[0,1]
	s_wait_dscnt 0x0
	v_pk_mul_f32 v[132:133], v[128:129], v[120:121] op_sel:[0,1]
	s_delay_alu instid0(VALU_DEP_1) | instskip(SKIP_1) | instid1(VALU_DEP_1)
	v_pk_fma_f32 v[134:135], v[128:129], v[118:119], v[132:133] op_sel:[0,0,1] op_sel_hi:[1,1,0] neg_lo:[0,0,1] neg_hi:[0,0,1]
	v_pk_fma_f32 v[128:129], v[128:129], v[118:119], v[132:133] op_sel:[0,0,1] op_sel_hi:[1,0,0]
	v_mov_b32_e32 v135, v129
	v_pk_mul_f32 v[128:129], v[130:131], v[120:121] op_sel:[0,1]
	s_delay_alu instid0(VALU_DEP_2) | instskip(NEXT) | instid1(VALU_DEP_2)
	v_pk_add_f32 v[50:51], v[50:51], v[134:135] neg_lo:[0,1] neg_hi:[0,1]
	v_pk_fma_f32 v[132:133], v[130:131], v[118:119], v[128:129] op_sel:[0,0,1] op_sel_hi:[1,1,0] neg_lo:[0,0,1] neg_hi:[0,0,1]
	v_pk_fma_f32 v[128:129], v[130:131], v[118:119], v[128:129] op_sel:[0,0,1] op_sel_hi:[1,0,0]
	s_delay_alu instid0(VALU_DEP_1) | instskip(SKIP_4) | instid1(VALU_DEP_1)
	v_mov_b32_e32 v133, v129
	ds_load_2addr_b64 v[128:131], v122 offset0:44 offset1:45
	v_pk_add_f32 v[10:11], v[10:11], v[132:133] neg_lo:[0,1] neg_hi:[0,1]
	s_wait_dscnt 0x0
	v_pk_mul_f32 v[132:133], v[128:129], v[120:121] op_sel:[0,1]
	v_pk_fma_f32 v[134:135], v[128:129], v[118:119], v[132:133] op_sel:[0,0,1] op_sel_hi:[1,1,0] neg_lo:[0,0,1] neg_hi:[0,0,1]
	v_pk_fma_f32 v[128:129], v[128:129], v[118:119], v[132:133] op_sel:[0,0,1] op_sel_hi:[1,0,0]
	v_dual_mul_f32 v132, v131, v121 :: v_dual_mov_b32 v128, v131
	s_delay_alu instid0(VALU_DEP_2) | instskip(NEXT) | instid1(VALU_DEP_2)
	v_dual_mov_b32 v135, v129 :: v_dual_mov_b32 v129, v130
	v_pk_fma_f32 v[132:133], v[130:131], v[78:79], v[132:133] op_sel_hi:[1,1,0] neg_lo:[0,0,1] neg_hi:[0,0,1]
	v_mul_f32_e32 v130, v131, v118
	s_delay_alu instid0(VALU_DEP_3) | instskip(NEXT) | instid1(VALU_DEP_2)
	v_pk_add_f32 v[46:47], v[46:47], v[134:135] neg_lo:[0,1] neg_hi:[0,1]
	v_pk_fma_f32 v[128:129], v[128:129], v[78:79], v[130:131] op_sel_hi:[1,1,0]
	s_delay_alu instid0(VALU_DEP_1) | instskip(SKIP_4) | instid1(VALU_DEP_1)
	v_mov_b32_e32 v133, v129
	ds_load_2addr_b64 v[128:131], v122 offset0:46 offset1:47
	v_pk_add_f32 v[42:43], v[42:43], v[132:133] neg_lo:[0,1] neg_hi:[0,1]
	s_wait_dscnt 0x0
	v_pk_mul_f32 v[132:133], v[128:129], v[120:121] op_sel:[0,1]
	v_pk_fma_f32 v[134:135], v[128:129], v[118:119], v[132:133] op_sel:[0,0,1] op_sel_hi:[1,1,0] neg_lo:[0,0,1] neg_hi:[0,0,1]
	v_pk_fma_f32 v[128:129], v[128:129], v[118:119], v[132:133] op_sel:[0,0,1] op_sel_hi:[1,0,0]
	s_delay_alu instid0(VALU_DEP_1) | instskip(SKIP_1) | instid1(VALU_DEP_1)
	v_mov_b32_e32 v135, v129
	v_pk_mul_f32 v[128:129], v[130:131], v[120:121] op_sel:[0,1]
	v_pk_fma_f32 v[132:133], v[130:131], v[118:119], v[128:129] op_sel:[0,0,1] op_sel_hi:[1,1,0] neg_lo:[0,0,1] neg_hi:[0,0,1]
	v_pk_fma_f32 v[128:129], v[130:131], v[118:119], v[128:129] op_sel:[0,0,1] op_sel_hi:[1,0,0]
	s_delay_alu instid0(VALU_DEP_1)
	v_mov_b32_e32 v133, v129
	ds_load_2addr_b64 v[128:131], v122 offset0:48 offset1:49
	v_pk_add_f32 v[44:45], v[44:45], v[134:135] neg_lo:[0,1] neg_hi:[0,1]
	v_pk_add_f32 v[6:7], v[6:7], v[132:133] neg_lo:[0,1] neg_hi:[0,1]
	s_wait_dscnt 0x0
	v_pk_mul_f32 v[132:133], v[128:129], v[120:121] op_sel:[0,1]
	s_delay_alu instid0(VALU_DEP_1) | instskip(SKIP_1) | instid1(VALU_DEP_1)
	v_pk_fma_f32 v[134:135], v[128:129], v[118:119], v[132:133] op_sel:[0,0,1] op_sel_hi:[1,1,0] neg_lo:[0,0,1] neg_hi:[0,0,1]
	v_pk_fma_f32 v[128:129], v[128:129], v[118:119], v[132:133] op_sel:[0,0,1] op_sel_hi:[1,0,0]
	v_mov_b32_e32 v135, v129
	v_pk_mul_f32 v[128:129], v[130:131], v[120:121] op_sel:[0,1]
	s_delay_alu instid0(VALU_DEP_1) | instskip(SKIP_1) | instid1(VALU_DEP_1)
	v_pk_fma_f32 v[132:133], v[130:131], v[118:119], v[128:129] op_sel:[0,0,1] op_sel_hi:[1,1,0] neg_lo:[0,0,1] neg_hi:[0,0,1]
	v_pk_fma_f32 v[128:129], v[130:131], v[118:119], v[128:129] op_sel:[0,0,1] op_sel_hi:[1,0,0]
	v_mov_b32_e32 v133, v129
	ds_load_2addr_b64 v[128:131], v122 offset0:50 offset1:51
	v_pk_add_f32 v[34:35], v[34:35], v[134:135] neg_lo:[0,1] neg_hi:[0,1]
	v_pk_add_f32 v[28:29], v[28:29], v[132:133] neg_lo:[0,1] neg_hi:[0,1]
	s_wait_dscnt 0x0
	v_dual_mul_f32 v132, v129, v121 :: v_dual_mul_f32 v134, v129, v118
	s_delay_alu instid0(VALU_DEP_1) | instskip(NEXT) | instid1(VALU_DEP_2)
	v_pk_fma_f32 v[132:133], v[128:129], v[78:79], v[132:133] op_sel_hi:[1,1,0] neg_lo:[0,0,1] neg_hi:[0,0,1]
	v_pk_fma_f32 v[128:129], v[128:129], v[78:79], v[134:135] op_sel:[1,0,0] op_sel_hi:[0,1,0]
	s_delay_alu instid0(VALU_DEP_1) | instskip(SKIP_1) | instid1(VALU_DEP_2)
	v_mov_b32_e32 v133, v129
	v_pk_mul_f32 v[128:129], v[130:131], v[120:121] op_sel:[0,1]
	v_pk_add_f32 v[32:33], v[32:33], v[132:133] neg_lo:[0,1] neg_hi:[0,1]
	s_delay_alu instid0(VALU_DEP_2) | instskip(SKIP_1) | instid1(VALU_DEP_1)
	v_pk_fma_f32 v[132:133], v[130:131], v[118:119], v[128:129] op_sel:[0,0,1] op_sel_hi:[1,1,0] neg_lo:[0,0,1] neg_hi:[0,0,1]
	v_pk_fma_f32 v[128:129], v[130:131], v[118:119], v[128:129] op_sel:[0,0,1] op_sel_hi:[1,0,0]
	v_mov_b32_e32 v133, v129
	ds_load_2addr_b64 v[128:131], v122 offset0:52 offset1:53
	v_pk_add_f32 v[8:9], v[8:9], v[132:133] neg_lo:[0,1] neg_hi:[0,1]
	s_wait_dscnt 0x0
	v_pk_mul_f32 v[132:133], v[128:129], v[120:121] op_sel:[0,1]
	s_delay_alu instid0(VALU_DEP_1) | instskip(SKIP_1) | instid1(VALU_DEP_1)
	v_pk_fma_f32 v[134:135], v[128:129], v[118:119], v[132:133] op_sel:[0,0,1] op_sel_hi:[1,1,0] neg_lo:[0,0,1] neg_hi:[0,0,1]
	v_pk_fma_f32 v[128:129], v[128:129], v[118:119], v[132:133] op_sel:[0,0,1] op_sel_hi:[1,0,0]
	v_mov_b32_e32 v135, v129
	v_pk_mul_f32 v[128:129], v[130:131], v[120:121] op_sel:[0,1]
	s_delay_alu instid0(VALU_DEP_2) | instskip(NEXT) | instid1(VALU_DEP_2)
	v_pk_add_f32 v[26:27], v[26:27], v[134:135] neg_lo:[0,1] neg_hi:[0,1]
	v_pk_fma_f32 v[132:133], v[130:131], v[118:119], v[128:129] op_sel:[0,0,1] op_sel_hi:[1,1,0] neg_lo:[0,0,1] neg_hi:[0,0,1]
	v_pk_fma_f32 v[128:129], v[130:131], v[118:119], v[128:129] op_sel:[0,0,1] op_sel_hi:[1,0,0]
	s_delay_alu instid0(VALU_DEP_1)
	v_mov_b32_e32 v133, v129
	ds_load_2addr_b64 v[128:131], v122 offset0:54 offset1:55
	v_pk_add_f32 v[22:23], v[22:23], v[132:133] neg_lo:[0,1] neg_hi:[0,1]
	s_wait_dscnt 0x0
	v_pk_mul_f32 v[132:133], v[128:129], v[120:121] op_sel:[0,1]
	v_pk_mul_f32 v[120:121], v[130:131], v[120:121] op_sel:[0,1]
	s_delay_alu instid0(VALU_DEP_2) | instskip(SKIP_1) | instid1(VALU_DEP_1)
	v_pk_fma_f32 v[134:135], v[128:129], v[118:119], v[132:133] op_sel:[0,0,1] op_sel_hi:[1,1,0] neg_lo:[0,0,1] neg_hi:[0,0,1]
	v_pk_fma_f32 v[128:129], v[128:129], v[118:119], v[132:133] op_sel:[0,0,1] op_sel_hi:[1,0,0]
	v_mov_b32_e32 v135, v129
	s_delay_alu instid0(VALU_DEP_4) | instskip(SKIP_1) | instid1(VALU_DEP_3)
	v_pk_fma_f32 v[128:129], v[130:131], v[118:119], v[120:121] op_sel:[0,0,1] op_sel_hi:[1,1,0] neg_lo:[0,0,1] neg_hi:[0,0,1]
	v_pk_fma_f32 v[118:119], v[130:131], v[118:119], v[120:121] op_sel:[0,0,1] op_sel_hi:[1,0,0]
	v_pk_add_f32 v[20:21], v[20:21], v[134:135] neg_lo:[0,1] neg_hi:[0,1]
	s_delay_alu instid0(VALU_DEP_2) | instskip(NEXT) | instid1(VALU_DEP_1)
	v_mov_b32_e32 v129, v119
	v_pk_add_f32 v[116:117], v[116:117], v[128:129] neg_lo:[0,1] neg_hi:[0,1]
.LBB110_461:
	s_or_b32 exec_lo, exec_lo, s0
	v_lshl_add_u32 v118, v126, 3, v122
	s_barrier_signal -1
	s_barrier_wait -1
	ds_store_b64 v118, v[80:81]
	s_wait_dscnt 0x0
	s_barrier_signal -1
	s_barrier_wait -1
	ds_load_b64 v[120:121], v122 offset:176
	v_mov_b32_e32 v118, 22
	s_cmp_lt_i32 s18, 24
	s_cbranch_scc1 .LBB110_464
; %bb.462:
	v_add3_u32 v119, v123, 0, 0xb8
	v_mov_b32_e32 v118, 22
	s_mov_b32 s0, 23
.LBB110_463:                            ; =>This Inner Loop Header: Depth=1
	ds_load_b64 v[128:129], v119
	s_wait_dscnt 0x1
	v_cmp_gt_f32_e32 vcc_lo, 0, v120
	v_cndmask_b32_e64 v130, v120, -v120, vcc_lo
	v_cmp_gt_f32_e32 vcc_lo, 0, v121
	v_cndmask_b32_e64 v132, v121, -v121, vcc_lo
	s_wait_dscnt 0x0
	v_cmp_gt_f32_e32 vcc_lo, 0, v128
	v_cndmask_b32_e64 v131, v128, -v128, vcc_lo
	v_cmp_gt_f32_e32 vcc_lo, 0, v129
	v_cndmask_b32_e64 v133, v129, -v129, vcc_lo
	s_delay_alu instid0(VALU_DEP_1) | instskip(NEXT) | instid1(VALU_DEP_1)
	v_pk_add_f32 v[130:131], v[130:131], v[132:133]
	v_cmp_lt_f32_e32 vcc_lo, v130, v131
	v_dual_add_nc_u32 v119, 8, v119 :: v_dual_cndmask_b32 v121, v121, v129, vcc_lo
	v_cndmask_b32_e32 v120, v120, v128, vcc_lo
	v_cndmask_b32_e64 v118, v118, s0, vcc_lo
	s_add_co_i32 s0, s0, 1
	s_delay_alu instid0(SALU_CYCLE_1)
	s_cmp_lg_u32 s18, s0
	s_cbranch_scc1 .LBB110_463
.LBB110_464:
	s_wait_dscnt 0x0
	v_cmp_eq_f32_e32 vcc_lo, 0, v120
	v_cmp_eq_f32_e64 s0, 0, v121
	s_and_b32 s0, vcc_lo, s0
	s_delay_alu instid0(SALU_CYCLE_1) | instskip(NEXT) | instid1(SALU_CYCLE_1)
	s_and_saveexec_b32 s1, s0
	s_xor_b32 s0, exec_lo, s1
; %bb.465:
	v_cmp_ne_u32_e32 vcc_lo, 0, v124
	v_cndmask_b32_e32 v124, 23, v124, vcc_lo
; %bb.466:
	s_and_not1_saveexec_b32 s0, s0
	s_cbranch_execz .LBB110_472
; %bb.467:
	v_cmp_ngt_f32_e64 s1, |v120|, |v121|
	s_and_saveexec_b32 s12, s1
	s_delay_alu instid0(SALU_CYCLE_1)
	s_xor_b32 s1, exec_lo, s12
	s_cbranch_execz .LBB110_469
; %bb.468:
	v_div_scale_f32 v119, null, v121, v121, v120
	v_div_scale_f32 v129, vcc_lo, v120, v121, v120
	s_delay_alu instid0(VALU_DEP_2) | instskip(SKIP_1) | instid1(TRANS32_DEP_1)
	v_rcp_f32_e32 v127, v119
	v_nop
	v_fma_f32 v128, -v119, v127, 1.0
	s_delay_alu instid0(VALU_DEP_1) | instskip(NEXT) | instid1(VALU_DEP_1)
	v_fmac_f32_e32 v127, v128, v127
	v_mul_f32_e32 v128, v129, v127
	s_delay_alu instid0(VALU_DEP_1) | instskip(NEXT) | instid1(VALU_DEP_1)
	v_fma_f32 v130, -v119, v128, v129
	v_fmac_f32_e32 v128, v130, v127
	s_delay_alu instid0(VALU_DEP_1) | instskip(NEXT) | instid1(VALU_DEP_1)
	v_fma_f32 v119, -v119, v128, v129
	v_div_fmas_f32 v119, v119, v127, v128
	s_delay_alu instid0(VALU_DEP_1) | instskip(NEXT) | instid1(VALU_DEP_1)
	v_div_fixup_f32 v119, v119, v121, v120
	v_fmac_f32_e32 v121, v120, v119
	s_delay_alu instid0(VALU_DEP_1) | instskip(SKIP_1) | instid1(VALU_DEP_2)
	v_div_scale_f32 v120, null, v121, v121, 1.0
	v_div_scale_f32 v129, vcc_lo, 1.0, v121, 1.0
	v_rcp_f32_e32 v127, v120
	v_nop
	s_delay_alu instid0(TRANS32_DEP_1) | instskip(NEXT) | instid1(VALU_DEP_1)
	v_fma_f32 v128, -v120, v127, 1.0
	v_fmac_f32_e32 v127, v128, v127
	s_delay_alu instid0(VALU_DEP_1) | instskip(NEXT) | instid1(VALU_DEP_1)
	v_mul_f32_e32 v128, v129, v127
	v_fma_f32 v130, -v120, v128, v129
	s_delay_alu instid0(VALU_DEP_1) | instskip(NEXT) | instid1(VALU_DEP_1)
	v_fmac_f32_e32 v128, v130, v127
	v_fma_f32 v120, -v120, v128, v129
	s_delay_alu instid0(VALU_DEP_1) | instskip(NEXT) | instid1(VALU_DEP_1)
	v_div_fmas_f32 v120, v120, v127, v128
	v_div_fixup_f32 v121, v120, v121, 1.0
	s_delay_alu instid0(VALU_DEP_1)
	v_mul_f32_e32 v120, v119, v121
	v_xor_b32_e32 v121, 0x80000000, v121
.LBB110_469:
	s_and_not1_saveexec_b32 s1, s1
	s_cbranch_execz .LBB110_471
; %bb.470:
	s_delay_alu instid0(VALU_DEP_1) | instskip(SKIP_1) | instid1(VALU_DEP_2)
	v_div_scale_f32 v119, null, v120, v120, v121
	v_div_scale_f32 v129, vcc_lo, v121, v120, v121
	v_rcp_f32_e32 v127, v119
	v_nop
	s_delay_alu instid0(TRANS32_DEP_1) | instskip(NEXT) | instid1(VALU_DEP_1)
	v_fma_f32 v128, -v119, v127, 1.0
	v_fmac_f32_e32 v127, v128, v127
	s_delay_alu instid0(VALU_DEP_1) | instskip(NEXT) | instid1(VALU_DEP_1)
	v_mul_f32_e32 v128, v129, v127
	v_fma_f32 v130, -v119, v128, v129
	s_delay_alu instid0(VALU_DEP_1) | instskip(NEXT) | instid1(VALU_DEP_1)
	v_fmac_f32_e32 v128, v130, v127
	v_fma_f32 v119, -v119, v128, v129
	s_delay_alu instid0(VALU_DEP_1) | instskip(NEXT) | instid1(VALU_DEP_1)
	v_div_fmas_f32 v119, v119, v127, v128
	v_div_fixup_f32 v119, v119, v120, v121
	s_delay_alu instid0(VALU_DEP_1) | instskip(NEXT) | instid1(VALU_DEP_1)
	v_fmac_f32_e32 v120, v121, v119
	v_div_scale_f32 v121, null, v120, v120, 1.0
	s_delay_alu instid0(VALU_DEP_1) | instskip(SKIP_1) | instid1(TRANS32_DEP_1)
	v_rcp_f32_e32 v127, v121
	v_nop
	v_fma_f32 v128, -v121, v127, 1.0
	s_delay_alu instid0(VALU_DEP_1) | instskip(SKIP_1) | instid1(VALU_DEP_1)
	v_fmac_f32_e32 v127, v128, v127
	v_div_scale_f32 v128, vcc_lo, 1.0, v120, 1.0
	v_mul_f32_e32 v129, v128, v127
	s_delay_alu instid0(VALU_DEP_1) | instskip(NEXT) | instid1(VALU_DEP_1)
	v_fma_f32 v130, -v121, v129, v128
	v_fmac_f32_e32 v129, v130, v127
	s_delay_alu instid0(VALU_DEP_1) | instskip(NEXT) | instid1(VALU_DEP_1)
	v_fma_f32 v121, -v121, v129, v128
	v_div_fmas_f32 v121, v121, v127, v129
	s_delay_alu instid0(VALU_DEP_1) | instskip(NEXT) | instid1(VALU_DEP_1)
	v_div_fixup_f32 v120, v121, v120, 1.0
	v_mul_f32_e64 v121, v119, -v120
.LBB110_471:
	s_or_b32 exec_lo, exec_lo, s1
.LBB110_472:
	s_delay_alu instid0(SALU_CYCLE_1) | instskip(NEXT) | instid1(SALU_CYCLE_1)
	s_or_b32 exec_lo, exec_lo, s0
	s_mov_b32 s0, exec_lo
	v_cmpx_ne_u32_e64 v126, v118
	s_xor_b32 s0, exec_lo, s0
	s_cbranch_execz .LBB110_478
; %bb.473:
	s_mov_b32 s1, exec_lo
	v_cmpx_eq_u32_e32 22, v126
	s_cbranch_execz .LBB110_477
; %bb.474:
	v_cmp_ne_u32_e32 vcc_lo, 22, v118
	s_xor_b32 s12, s16, -1
	s_delay_alu instid0(SALU_CYCLE_1) | instskip(NEXT) | instid1(SALU_CYCLE_1)
	s_and_b32 s13, s12, vcc_lo
	s_and_saveexec_b32 s12, s13
	s_cbranch_execz .LBB110_476
; %bb.475:
	v_ashrrev_i32_e32 v119, 31, v118
	s_delay_alu instid0(VALU_DEP_1)
	v_lshl_add_u64 v[126:127], v[118:119], 2, v[4:5]
	s_clause 0x1
	global_load_b32 v119, v[126:127], off
	global_load_b32 v125, v[4:5], off offset:88
	s_wait_loadcnt 0x1
	global_store_b32 v[4:5], v119, off offset:88
	s_wait_loadcnt 0x0
	global_store_b32 v[126:127], v125, off
.LBB110_476:
	s_wait_xcnt 0x0
	s_or_b32 exec_lo, exec_lo, s12
	v_dual_mov_b32 v126, v118 :: v_dual_mov_b32 v125, v118
.LBB110_477:
	s_or_b32 exec_lo, exec_lo, s1
.LBB110_478:
	s_and_not1_saveexec_b32 s0, s0
	s_cbranch_execz .LBB110_480
; %bb.479:
	v_mov_b32_e32 v126, 22
	ds_store_2addr_b64 v122, v[24:25], v[76:77] offset0:23 offset1:24
	ds_store_2addr_b64 v122, v[72:73], v[74:75] offset0:25 offset1:26
	;; [unrolled: 1-line block ×16, first 2 shown]
	ds_store_b64 v122, v[116:117] offset:440
.LBB110_480:
	s_or_b32 exec_lo, exec_lo, s0
	s_delay_alu instid0(SALU_CYCLE_1)
	s_mov_b32 s0, exec_lo
	s_wait_storecnt_dscnt 0x0
	s_barrier_signal -1
	s_barrier_wait -1
	v_cmpx_lt_i32_e32 22, v126
	s_cbranch_execz .LBB110_482
; %bb.481:
	v_pk_mul_f32 v[128:129], v[120:121], v[80:81] op_sel:[1,1] op_sel_hi:[0,1]
	s_delay_alu instid0(VALU_DEP_1)
	v_pk_fma_f32 v[118:119], v[120:121], v[80:81], v[128:129] op_sel_hi:[1,0,1] neg_lo:[0,0,1] neg_hi:[0,0,1]
	v_pk_fma_f32 v[120:121], v[120:121], v[80:81], v[128:129] op_sel_hi:[1,0,1]
	ds_load_2addr_b64 v[128:131], v122 offset0:23 offset1:24
	v_dual_mov_b32 v80, v118 :: v_dual_mov_b32 v81, v121
	s_wait_dscnt 0x0
	v_pk_mul_f32 v[132:133], v[128:129], v[120:121] op_sel:[0,1]
	s_delay_alu instid0(VALU_DEP_1) | instskip(SKIP_1) | instid1(VALU_DEP_1)
	v_pk_fma_f32 v[134:135], v[128:129], v[118:119], v[132:133] op_sel:[0,0,1] op_sel_hi:[1,1,0] neg_lo:[0,0,1] neg_hi:[0,0,1]
	v_pk_fma_f32 v[128:129], v[128:129], v[118:119], v[132:133] op_sel:[0,0,1] op_sel_hi:[1,0,0]
	v_mov_b32_e32 v135, v129
	v_pk_mul_f32 v[128:129], v[130:131], v[120:121] op_sel:[0,1]
	s_delay_alu instid0(VALU_DEP_1) | instskip(SKIP_1) | instid1(VALU_DEP_1)
	v_pk_fma_f32 v[132:133], v[130:131], v[118:119], v[128:129] op_sel:[0,0,1] op_sel_hi:[1,1,0] neg_lo:[0,0,1] neg_hi:[0,0,1]
	v_pk_fma_f32 v[128:129], v[130:131], v[118:119], v[128:129] op_sel:[0,0,1] op_sel_hi:[1,0,0]
	v_mov_b32_e32 v133, v129
	ds_load_2addr_b64 v[128:131], v122 offset0:25 offset1:26
	v_pk_add_f32 v[24:25], v[24:25], v[134:135] neg_lo:[0,1] neg_hi:[0,1]
	v_pk_add_f32 v[76:77], v[76:77], v[132:133] neg_lo:[0,1] neg_hi:[0,1]
	s_wait_dscnt 0x0
	v_pk_mul_f32 v[132:133], v[128:129], v[120:121] op_sel:[0,1]
	s_delay_alu instid0(VALU_DEP_1) | instskip(SKIP_2) | instid1(VALU_DEP_2)
	v_pk_fma_f32 v[134:135], v[128:129], v[118:119], v[132:133] op_sel:[0,0,1] op_sel_hi:[1,1,0] neg_lo:[0,0,1] neg_hi:[0,0,1]
	v_pk_fma_f32 v[128:129], v[128:129], v[118:119], v[132:133] op_sel:[0,0,1] op_sel_hi:[1,0,0]
	v_dual_mul_f32 v132, v131, v121 :: v_dual_mov_b32 v128, v131
	v_dual_mov_b32 v135, v129 :: v_dual_mov_b32 v129, v130
	s_delay_alu instid0(VALU_DEP_2) | instskip(SKIP_1) | instid1(VALU_DEP_3)
	v_pk_fma_f32 v[132:133], v[130:131], v[80:81], v[132:133] op_sel_hi:[1,1,0] neg_lo:[0,0,1] neg_hi:[0,0,1]
	v_mul_f32_e32 v130, v131, v118
	v_pk_add_f32 v[72:73], v[72:73], v[134:135] neg_lo:[0,1] neg_hi:[0,1]
	s_delay_alu instid0(VALU_DEP_2) | instskip(NEXT) | instid1(VALU_DEP_1)
	v_pk_fma_f32 v[128:129], v[128:129], v[80:81], v[130:131] op_sel_hi:[1,1,0]
	v_mov_b32_e32 v133, v129
	ds_load_2addr_b64 v[128:131], v122 offset0:27 offset1:28
	v_pk_add_f32 v[74:75], v[74:75], v[132:133] neg_lo:[0,1] neg_hi:[0,1]
	s_wait_dscnt 0x0
	v_pk_mul_f32 v[132:133], v[128:129], v[120:121] op_sel:[0,1]
	s_delay_alu instid0(VALU_DEP_1) | instskip(SKIP_1) | instid1(VALU_DEP_1)
	v_pk_fma_f32 v[134:135], v[128:129], v[118:119], v[132:133] op_sel:[0,0,1] op_sel_hi:[1,1,0] neg_lo:[0,0,1] neg_hi:[0,0,1]
	v_pk_fma_f32 v[128:129], v[128:129], v[118:119], v[132:133] op_sel:[0,0,1] op_sel_hi:[1,0,0]
	v_mov_b32_e32 v135, v129
	v_pk_mul_f32 v[128:129], v[130:131], v[120:121] op_sel:[0,1]
	s_delay_alu instid0(VALU_DEP_1) | instskip(SKIP_1) | instid1(VALU_DEP_1)
	v_pk_fma_f32 v[132:133], v[130:131], v[118:119], v[128:129] op_sel:[0,0,1] op_sel_hi:[1,1,0] neg_lo:[0,0,1] neg_hi:[0,0,1]
	v_pk_fma_f32 v[128:129], v[130:131], v[118:119], v[128:129] op_sel:[0,0,1] op_sel_hi:[1,0,0]
	v_mov_b32_e32 v133, v129
	ds_load_2addr_b64 v[128:131], v122 offset0:29 offset1:30
	v_pk_add_f32 v[18:19], v[18:19], v[134:135] neg_lo:[0,1] neg_hi:[0,1]
	v_pk_add_f32 v[70:71], v[70:71], v[132:133] neg_lo:[0,1] neg_hi:[0,1]
	s_wait_dscnt 0x0
	v_pk_mul_f32 v[132:133], v[128:129], v[120:121] op_sel:[0,1]
	s_delay_alu instid0(VALU_DEP_1) | instskip(SKIP_1) | instid1(VALU_DEP_1)
	v_pk_fma_f32 v[134:135], v[128:129], v[118:119], v[132:133] op_sel:[0,0,1] op_sel_hi:[1,1,0] neg_lo:[0,0,1] neg_hi:[0,0,1]
	v_pk_fma_f32 v[128:129], v[128:129], v[118:119], v[132:133] op_sel:[0,0,1] op_sel_hi:[1,0,0]
	v_mov_b32_e32 v135, v129
	v_pk_mul_f32 v[128:129], v[130:131], v[120:121] op_sel:[0,1]
	s_delay_alu instid0(VALU_DEP_1) | instskip(SKIP_1) | instid1(VALU_DEP_1)
	v_pk_fma_f32 v[132:133], v[130:131], v[118:119], v[128:129] op_sel:[0,0,1] op_sel_hi:[1,1,0] neg_lo:[0,0,1] neg_hi:[0,0,1]
	v_pk_fma_f32 v[128:129], v[130:131], v[118:119], v[128:129] op_sel:[0,0,1] op_sel_hi:[1,0,0]
	v_mov_b32_e32 v133, v129
	ds_load_2addr_b64 v[128:131], v122 offset0:31 offset1:32
	v_pk_add_f32 v[66:67], v[66:67], v[134:135] neg_lo:[0,1] neg_hi:[0,1]
	v_pk_add_f32 v[68:69], v[68:69], v[132:133] neg_lo:[0,1] neg_hi:[0,1]
	s_wait_dscnt 0x0
	v_dual_mul_f32 v132, v129, v121 :: v_dual_mul_f32 v134, v129, v118
	s_delay_alu instid0(VALU_DEP_1) | instskip(NEXT) | instid1(VALU_DEP_2)
	v_pk_fma_f32 v[132:133], v[128:129], v[80:81], v[132:133] op_sel_hi:[1,1,0] neg_lo:[0,0,1] neg_hi:[0,0,1]
	v_pk_fma_f32 v[128:129], v[128:129], v[80:81], v[134:135] op_sel:[1,0,0] op_sel_hi:[0,1,0]
	s_delay_alu instid0(VALU_DEP_1) | instskip(SKIP_1) | instid1(VALU_DEP_2)
	v_mov_b32_e32 v133, v129
	v_pk_mul_f32 v[128:129], v[130:131], v[120:121] op_sel:[0,1]
	v_pk_add_f32 v[16:17], v[16:17], v[132:133] neg_lo:[0,1] neg_hi:[0,1]
	s_delay_alu instid0(VALU_DEP_2) | instskip(SKIP_1) | instid1(VALU_DEP_1)
	v_pk_fma_f32 v[132:133], v[130:131], v[118:119], v[128:129] op_sel:[0,0,1] op_sel_hi:[1,1,0] neg_lo:[0,0,1] neg_hi:[0,0,1]
	v_pk_fma_f32 v[128:129], v[130:131], v[118:119], v[128:129] op_sel:[0,0,1] op_sel_hi:[1,0,0]
	v_mov_b32_e32 v133, v129
	ds_load_2addr_b64 v[128:131], v122 offset0:33 offset1:34
	v_pk_add_f32 v[64:65], v[64:65], v[132:133] neg_lo:[0,1] neg_hi:[0,1]
	s_wait_dscnt 0x0
	v_pk_mul_f32 v[132:133], v[128:129], v[120:121] op_sel:[0,1]
	s_delay_alu instid0(VALU_DEP_1) | instskip(SKIP_1) | instid1(VALU_DEP_1)
	v_pk_fma_f32 v[134:135], v[128:129], v[118:119], v[132:133] op_sel:[0,0,1] op_sel_hi:[1,1,0] neg_lo:[0,0,1] neg_hi:[0,0,1]
	v_pk_fma_f32 v[128:129], v[128:129], v[118:119], v[132:133] op_sel:[0,0,1] op_sel_hi:[1,0,0]
	v_mov_b32_e32 v135, v129
	v_pk_mul_f32 v[128:129], v[130:131], v[120:121] op_sel:[0,1]
	s_delay_alu instid0(VALU_DEP_2) | instskip(NEXT) | instid1(VALU_DEP_2)
	v_pk_add_f32 v[60:61], v[60:61], v[134:135] neg_lo:[0,1] neg_hi:[0,1]
	v_pk_fma_f32 v[132:133], v[130:131], v[118:119], v[128:129] op_sel:[0,0,1] op_sel_hi:[1,1,0] neg_lo:[0,0,1] neg_hi:[0,0,1]
	v_pk_fma_f32 v[128:129], v[130:131], v[118:119], v[128:129] op_sel:[0,0,1] op_sel_hi:[1,0,0]
	s_delay_alu instid0(VALU_DEP_1) | instskip(SKIP_4) | instid1(VALU_DEP_1)
	v_mov_b32_e32 v133, v129
	ds_load_2addr_b64 v[128:131], v122 offset0:35 offset1:36
	v_pk_add_f32 v[62:63], v[62:63], v[132:133] neg_lo:[0,1] neg_hi:[0,1]
	s_wait_dscnt 0x0
	v_pk_mul_f32 v[132:133], v[128:129], v[120:121] op_sel:[0,1]
	v_pk_fma_f32 v[134:135], v[128:129], v[118:119], v[132:133] op_sel:[0,0,1] op_sel_hi:[1,1,0] neg_lo:[0,0,1] neg_hi:[0,0,1]
	v_pk_fma_f32 v[128:129], v[128:129], v[118:119], v[132:133] op_sel:[0,0,1] op_sel_hi:[1,0,0]
	v_dual_mul_f32 v132, v131, v121 :: v_dual_mov_b32 v128, v131
	s_delay_alu instid0(VALU_DEP_2) | instskip(NEXT) | instid1(VALU_DEP_2)
	v_dual_mov_b32 v135, v129 :: v_dual_mov_b32 v129, v130
	v_pk_fma_f32 v[132:133], v[130:131], v[80:81], v[132:133] op_sel_hi:[1,1,0] neg_lo:[0,0,1] neg_hi:[0,0,1]
	v_mul_f32_e32 v130, v131, v118
	s_delay_alu instid0(VALU_DEP_3) | instskip(NEXT) | instid1(VALU_DEP_2)
	v_pk_add_f32 v[14:15], v[14:15], v[134:135] neg_lo:[0,1] neg_hi:[0,1]
	v_pk_fma_f32 v[128:129], v[128:129], v[80:81], v[130:131] op_sel_hi:[1,1,0]
	s_delay_alu instid0(VALU_DEP_1) | instskip(SKIP_4) | instid1(VALU_DEP_1)
	v_mov_b32_e32 v133, v129
	ds_load_2addr_b64 v[128:131], v122 offset0:37 offset1:38
	v_pk_add_f32 v[58:59], v[58:59], v[132:133] neg_lo:[0,1] neg_hi:[0,1]
	s_wait_dscnt 0x0
	v_pk_mul_f32 v[132:133], v[128:129], v[120:121] op_sel:[0,1]
	v_pk_fma_f32 v[134:135], v[128:129], v[118:119], v[132:133] op_sel:[0,0,1] op_sel_hi:[1,1,0] neg_lo:[0,0,1] neg_hi:[0,0,1]
	v_pk_fma_f32 v[128:129], v[128:129], v[118:119], v[132:133] op_sel:[0,0,1] op_sel_hi:[1,0,0]
	s_delay_alu instid0(VALU_DEP_1) | instskip(SKIP_1) | instid1(VALU_DEP_1)
	v_mov_b32_e32 v135, v129
	v_pk_mul_f32 v[128:129], v[130:131], v[120:121] op_sel:[0,1]
	v_pk_fma_f32 v[132:133], v[130:131], v[118:119], v[128:129] op_sel:[0,0,1] op_sel_hi:[1,1,0] neg_lo:[0,0,1] neg_hi:[0,0,1]
	v_pk_fma_f32 v[128:129], v[130:131], v[118:119], v[128:129] op_sel:[0,0,1] op_sel_hi:[1,0,0]
	s_delay_alu instid0(VALU_DEP_1)
	v_mov_b32_e32 v133, v129
	ds_load_2addr_b64 v[128:131], v122 offset0:39 offset1:40
	v_pk_add_f32 v[54:55], v[54:55], v[134:135] neg_lo:[0,1] neg_hi:[0,1]
	v_pk_add_f32 v[56:57], v[56:57], v[132:133] neg_lo:[0,1] neg_hi:[0,1]
	s_wait_dscnt 0x0
	v_pk_mul_f32 v[132:133], v[128:129], v[120:121] op_sel:[0,1]
	s_delay_alu instid0(VALU_DEP_1) | instskip(SKIP_1) | instid1(VALU_DEP_1)
	v_pk_fma_f32 v[134:135], v[128:129], v[118:119], v[132:133] op_sel:[0,0,1] op_sel_hi:[1,1,0] neg_lo:[0,0,1] neg_hi:[0,0,1]
	v_pk_fma_f32 v[128:129], v[128:129], v[118:119], v[132:133] op_sel:[0,0,1] op_sel_hi:[1,0,0]
	v_mov_b32_e32 v135, v129
	v_pk_mul_f32 v[128:129], v[130:131], v[120:121] op_sel:[0,1]
	s_delay_alu instid0(VALU_DEP_1) | instskip(SKIP_1) | instid1(VALU_DEP_1)
	v_pk_fma_f32 v[132:133], v[130:131], v[118:119], v[128:129] op_sel:[0,0,1] op_sel_hi:[1,1,0] neg_lo:[0,0,1] neg_hi:[0,0,1]
	v_pk_fma_f32 v[128:129], v[130:131], v[118:119], v[128:129] op_sel:[0,0,1] op_sel_hi:[1,0,0]
	v_mov_b32_e32 v133, v129
	ds_load_2addr_b64 v[128:131], v122 offset0:41 offset1:42
	v_pk_add_f32 v[12:13], v[12:13], v[134:135] neg_lo:[0,1] neg_hi:[0,1]
	v_pk_add_f32 v[52:53], v[52:53], v[132:133] neg_lo:[0,1] neg_hi:[0,1]
	s_wait_dscnt 0x0
	v_dual_mul_f32 v132, v129, v121 :: v_dual_mul_f32 v134, v129, v118
	s_delay_alu instid0(VALU_DEP_1) | instskip(NEXT) | instid1(VALU_DEP_2)
	v_pk_fma_f32 v[132:133], v[128:129], v[80:81], v[132:133] op_sel_hi:[1,1,0] neg_lo:[0,0,1] neg_hi:[0,0,1]
	v_pk_fma_f32 v[128:129], v[128:129], v[80:81], v[134:135] op_sel:[1,0,0] op_sel_hi:[0,1,0]
	s_delay_alu instid0(VALU_DEP_1) | instskip(SKIP_1) | instid1(VALU_DEP_2)
	v_mov_b32_e32 v133, v129
	v_pk_mul_f32 v[128:129], v[130:131], v[120:121] op_sel:[0,1]
	v_pk_add_f32 v[48:49], v[48:49], v[132:133] neg_lo:[0,1] neg_hi:[0,1]
	s_delay_alu instid0(VALU_DEP_2) | instskip(SKIP_1) | instid1(VALU_DEP_1)
	v_pk_fma_f32 v[132:133], v[130:131], v[118:119], v[128:129] op_sel:[0,0,1] op_sel_hi:[1,1,0] neg_lo:[0,0,1] neg_hi:[0,0,1]
	v_pk_fma_f32 v[128:129], v[130:131], v[118:119], v[128:129] op_sel:[0,0,1] op_sel_hi:[1,0,0]
	v_mov_b32_e32 v133, v129
	ds_load_2addr_b64 v[128:131], v122 offset0:43 offset1:44
	v_pk_add_f32 v[50:51], v[50:51], v[132:133] neg_lo:[0,1] neg_hi:[0,1]
	s_wait_dscnt 0x0
	v_pk_mul_f32 v[132:133], v[128:129], v[120:121] op_sel:[0,1]
	s_delay_alu instid0(VALU_DEP_1) | instskip(SKIP_1) | instid1(VALU_DEP_1)
	v_pk_fma_f32 v[134:135], v[128:129], v[118:119], v[132:133] op_sel:[0,0,1] op_sel_hi:[1,1,0] neg_lo:[0,0,1] neg_hi:[0,0,1]
	v_pk_fma_f32 v[128:129], v[128:129], v[118:119], v[132:133] op_sel:[0,0,1] op_sel_hi:[1,0,0]
	v_mov_b32_e32 v135, v129
	v_pk_mul_f32 v[128:129], v[130:131], v[120:121] op_sel:[0,1]
	s_delay_alu instid0(VALU_DEP_2) | instskip(NEXT) | instid1(VALU_DEP_2)
	v_pk_add_f32 v[10:11], v[10:11], v[134:135] neg_lo:[0,1] neg_hi:[0,1]
	v_pk_fma_f32 v[132:133], v[130:131], v[118:119], v[128:129] op_sel:[0,0,1] op_sel_hi:[1,1,0] neg_lo:[0,0,1] neg_hi:[0,0,1]
	v_pk_fma_f32 v[128:129], v[130:131], v[118:119], v[128:129] op_sel:[0,0,1] op_sel_hi:[1,0,0]
	s_delay_alu instid0(VALU_DEP_1) | instskip(SKIP_4) | instid1(VALU_DEP_1)
	v_mov_b32_e32 v133, v129
	ds_load_2addr_b64 v[128:131], v122 offset0:45 offset1:46
	v_pk_add_f32 v[46:47], v[46:47], v[132:133] neg_lo:[0,1] neg_hi:[0,1]
	s_wait_dscnt 0x0
	v_pk_mul_f32 v[132:133], v[128:129], v[120:121] op_sel:[0,1]
	v_pk_fma_f32 v[134:135], v[128:129], v[118:119], v[132:133] op_sel:[0,0,1] op_sel_hi:[1,1,0] neg_lo:[0,0,1] neg_hi:[0,0,1]
	v_pk_fma_f32 v[128:129], v[128:129], v[118:119], v[132:133] op_sel:[0,0,1] op_sel_hi:[1,0,0]
	v_dual_mul_f32 v132, v131, v121 :: v_dual_mov_b32 v128, v131
	s_delay_alu instid0(VALU_DEP_2) | instskip(NEXT) | instid1(VALU_DEP_2)
	v_dual_mov_b32 v135, v129 :: v_dual_mov_b32 v129, v130
	v_pk_fma_f32 v[132:133], v[130:131], v[80:81], v[132:133] op_sel_hi:[1,1,0] neg_lo:[0,0,1] neg_hi:[0,0,1]
	v_mul_f32_e32 v130, v131, v118
	s_delay_alu instid0(VALU_DEP_3) | instskip(NEXT) | instid1(VALU_DEP_2)
	v_pk_add_f32 v[42:43], v[42:43], v[134:135] neg_lo:[0,1] neg_hi:[0,1]
	v_pk_fma_f32 v[128:129], v[128:129], v[80:81], v[130:131] op_sel_hi:[1,1,0]
	s_delay_alu instid0(VALU_DEP_1) | instskip(SKIP_4) | instid1(VALU_DEP_1)
	v_mov_b32_e32 v133, v129
	ds_load_2addr_b64 v[128:131], v122 offset0:47 offset1:48
	v_pk_add_f32 v[44:45], v[44:45], v[132:133] neg_lo:[0,1] neg_hi:[0,1]
	s_wait_dscnt 0x0
	v_pk_mul_f32 v[132:133], v[128:129], v[120:121] op_sel:[0,1]
	v_pk_fma_f32 v[134:135], v[128:129], v[118:119], v[132:133] op_sel:[0,0,1] op_sel_hi:[1,1,0] neg_lo:[0,0,1] neg_hi:[0,0,1]
	v_pk_fma_f32 v[128:129], v[128:129], v[118:119], v[132:133] op_sel:[0,0,1] op_sel_hi:[1,0,0]
	s_delay_alu instid0(VALU_DEP_1) | instskip(SKIP_1) | instid1(VALU_DEP_1)
	v_mov_b32_e32 v135, v129
	v_pk_mul_f32 v[128:129], v[130:131], v[120:121] op_sel:[0,1]
	v_pk_fma_f32 v[132:133], v[130:131], v[118:119], v[128:129] op_sel:[0,0,1] op_sel_hi:[1,1,0] neg_lo:[0,0,1] neg_hi:[0,0,1]
	v_pk_fma_f32 v[128:129], v[130:131], v[118:119], v[128:129] op_sel:[0,0,1] op_sel_hi:[1,0,0]
	s_delay_alu instid0(VALU_DEP_1)
	v_mov_b32_e32 v133, v129
	ds_load_2addr_b64 v[128:131], v122 offset0:49 offset1:50
	v_pk_add_f32 v[6:7], v[6:7], v[134:135] neg_lo:[0,1] neg_hi:[0,1]
	v_pk_add_f32 v[34:35], v[34:35], v[132:133] neg_lo:[0,1] neg_hi:[0,1]
	s_wait_dscnt 0x0
	v_pk_mul_f32 v[132:133], v[128:129], v[120:121] op_sel:[0,1]
	s_delay_alu instid0(VALU_DEP_1) | instskip(SKIP_1) | instid1(VALU_DEP_1)
	v_pk_fma_f32 v[134:135], v[128:129], v[118:119], v[132:133] op_sel:[0,0,1] op_sel_hi:[1,1,0] neg_lo:[0,0,1] neg_hi:[0,0,1]
	v_pk_fma_f32 v[128:129], v[128:129], v[118:119], v[132:133] op_sel:[0,0,1] op_sel_hi:[1,0,0]
	v_mov_b32_e32 v135, v129
	v_pk_mul_f32 v[128:129], v[130:131], v[120:121] op_sel:[0,1]
	s_delay_alu instid0(VALU_DEP_1) | instskip(SKIP_1) | instid1(VALU_DEP_1)
	v_pk_fma_f32 v[132:133], v[130:131], v[118:119], v[128:129] op_sel:[0,0,1] op_sel_hi:[1,1,0] neg_lo:[0,0,1] neg_hi:[0,0,1]
	v_pk_fma_f32 v[128:129], v[130:131], v[118:119], v[128:129] op_sel:[0,0,1] op_sel_hi:[1,0,0]
	v_mov_b32_e32 v133, v129
	ds_load_2addr_b64 v[128:131], v122 offset0:51 offset1:52
	v_pk_add_f32 v[28:29], v[28:29], v[134:135] neg_lo:[0,1] neg_hi:[0,1]
	v_pk_add_f32 v[32:33], v[32:33], v[132:133] neg_lo:[0,1] neg_hi:[0,1]
	s_wait_dscnt 0x0
	v_dual_mul_f32 v132, v129, v121 :: v_dual_mul_f32 v134, v129, v118
	s_delay_alu instid0(VALU_DEP_1) | instskip(NEXT) | instid1(VALU_DEP_2)
	v_pk_fma_f32 v[132:133], v[128:129], v[80:81], v[132:133] op_sel_hi:[1,1,0] neg_lo:[0,0,1] neg_hi:[0,0,1]
	v_pk_fma_f32 v[128:129], v[128:129], v[80:81], v[134:135] op_sel:[1,0,0] op_sel_hi:[0,1,0]
	s_delay_alu instid0(VALU_DEP_1) | instskip(SKIP_1) | instid1(VALU_DEP_2)
	v_mov_b32_e32 v133, v129
	v_pk_mul_f32 v[128:129], v[130:131], v[120:121] op_sel:[0,1]
	v_pk_add_f32 v[8:9], v[8:9], v[132:133] neg_lo:[0,1] neg_hi:[0,1]
	s_delay_alu instid0(VALU_DEP_2) | instskip(SKIP_1) | instid1(VALU_DEP_1)
	v_pk_fma_f32 v[132:133], v[130:131], v[118:119], v[128:129] op_sel:[0,0,1] op_sel_hi:[1,1,0] neg_lo:[0,0,1] neg_hi:[0,0,1]
	v_pk_fma_f32 v[128:129], v[130:131], v[118:119], v[128:129] op_sel:[0,0,1] op_sel_hi:[1,0,0]
	v_mov_b32_e32 v133, v129
	ds_load_2addr_b64 v[128:131], v122 offset0:53 offset1:54
	v_pk_add_f32 v[26:27], v[26:27], v[132:133] neg_lo:[0,1] neg_hi:[0,1]
	s_wait_dscnt 0x0
	v_pk_mul_f32 v[132:133], v[128:129], v[120:121] op_sel:[0,1]
	s_delay_alu instid0(VALU_DEP_1) | instskip(SKIP_1) | instid1(VALU_DEP_1)
	v_pk_fma_f32 v[134:135], v[128:129], v[118:119], v[132:133] op_sel:[0,0,1] op_sel_hi:[1,1,0] neg_lo:[0,0,1] neg_hi:[0,0,1]
	v_pk_fma_f32 v[128:129], v[128:129], v[118:119], v[132:133] op_sel:[0,0,1] op_sel_hi:[1,0,0]
	v_mov_b32_e32 v135, v129
	v_pk_mul_f32 v[128:129], v[130:131], v[120:121] op_sel:[0,1]
	s_delay_alu instid0(VALU_DEP_2) | instskip(NEXT) | instid1(VALU_DEP_2)
	v_pk_add_f32 v[22:23], v[22:23], v[134:135] neg_lo:[0,1] neg_hi:[0,1]
	v_pk_fma_f32 v[132:133], v[130:131], v[118:119], v[128:129] op_sel:[0,0,1] op_sel_hi:[1,1,0] neg_lo:[0,0,1] neg_hi:[0,0,1]
	v_pk_fma_f32 v[128:129], v[130:131], v[118:119], v[128:129] op_sel:[0,0,1] op_sel_hi:[1,0,0]
	s_delay_alu instid0(VALU_DEP_1) | instskip(SKIP_4) | instid1(VALU_DEP_1)
	v_mov_b32_e32 v133, v129
	ds_load_b64 v[128:129], v122 offset:440
	v_pk_add_f32 v[20:21], v[20:21], v[132:133] neg_lo:[0,1] neg_hi:[0,1]
	s_wait_dscnt 0x0
	v_pk_mul_f32 v[120:121], v[128:129], v[120:121] op_sel:[0,1]
	v_pk_fma_f32 v[130:131], v[128:129], v[118:119], v[120:121] op_sel:[0,0,1] op_sel_hi:[1,1,0] neg_lo:[0,0,1] neg_hi:[0,0,1]
	v_pk_fma_f32 v[118:119], v[128:129], v[118:119], v[120:121] op_sel:[0,0,1] op_sel_hi:[1,0,0]
	s_delay_alu instid0(VALU_DEP_1) | instskip(NEXT) | instid1(VALU_DEP_1)
	v_mov_b32_e32 v131, v119
	v_pk_add_f32 v[116:117], v[116:117], v[130:131] neg_lo:[0,1] neg_hi:[0,1]
.LBB110_482:
	s_or_b32 exec_lo, exec_lo, s0
	v_lshl_add_u32 v118, v126, 3, v122
	s_barrier_signal -1
	s_barrier_wait -1
	ds_store_b64 v118, v[24:25]
	s_wait_dscnt 0x0
	s_barrier_signal -1
	s_barrier_wait -1
	ds_load_b64 v[120:121], v122 offset:184
	v_mov_b32_e32 v118, 23
	s_cmp_lt_i32 s18, 25
	s_cbranch_scc1 .LBB110_485
; %bb.483:
	v_add3_u32 v119, v123, 0, 0xc0
	v_mov_b32_e32 v118, 23
	s_mov_b32 s0, 24
.LBB110_484:                            ; =>This Inner Loop Header: Depth=1
	ds_load_b64 v[128:129], v119
	s_wait_dscnt 0x1
	v_cmp_gt_f32_e32 vcc_lo, 0, v120
	v_cndmask_b32_e64 v130, v120, -v120, vcc_lo
	v_cmp_gt_f32_e32 vcc_lo, 0, v121
	v_cndmask_b32_e64 v132, v121, -v121, vcc_lo
	s_wait_dscnt 0x0
	v_cmp_gt_f32_e32 vcc_lo, 0, v128
	v_cndmask_b32_e64 v131, v128, -v128, vcc_lo
	v_cmp_gt_f32_e32 vcc_lo, 0, v129
	v_cndmask_b32_e64 v133, v129, -v129, vcc_lo
	s_delay_alu instid0(VALU_DEP_1) | instskip(NEXT) | instid1(VALU_DEP_1)
	v_pk_add_f32 v[130:131], v[130:131], v[132:133]
	v_cmp_lt_f32_e32 vcc_lo, v130, v131
	v_dual_add_nc_u32 v119, 8, v119 :: v_dual_cndmask_b32 v121, v121, v129, vcc_lo
	v_cndmask_b32_e32 v120, v120, v128, vcc_lo
	v_cndmask_b32_e64 v118, v118, s0, vcc_lo
	s_add_co_i32 s0, s0, 1
	s_delay_alu instid0(SALU_CYCLE_1)
	s_cmp_lg_u32 s18, s0
	s_cbranch_scc1 .LBB110_484
.LBB110_485:
	s_wait_dscnt 0x0
	v_cmp_eq_f32_e32 vcc_lo, 0, v120
	v_cmp_eq_f32_e64 s0, 0, v121
	s_and_b32 s0, vcc_lo, s0
	s_delay_alu instid0(SALU_CYCLE_1) | instskip(NEXT) | instid1(SALU_CYCLE_1)
	s_and_saveexec_b32 s1, s0
	s_xor_b32 s0, exec_lo, s1
; %bb.486:
	v_cmp_ne_u32_e32 vcc_lo, 0, v124
	v_cndmask_b32_e32 v124, 24, v124, vcc_lo
; %bb.487:
	s_and_not1_saveexec_b32 s0, s0
	s_cbranch_execz .LBB110_493
; %bb.488:
	v_cmp_ngt_f32_e64 s1, |v120|, |v121|
	s_and_saveexec_b32 s12, s1
	s_delay_alu instid0(SALU_CYCLE_1)
	s_xor_b32 s1, exec_lo, s12
	s_cbranch_execz .LBB110_490
; %bb.489:
	v_div_scale_f32 v119, null, v121, v121, v120
	v_div_scale_f32 v129, vcc_lo, v120, v121, v120
	s_delay_alu instid0(VALU_DEP_2) | instskip(SKIP_1) | instid1(TRANS32_DEP_1)
	v_rcp_f32_e32 v127, v119
	v_nop
	v_fma_f32 v128, -v119, v127, 1.0
	s_delay_alu instid0(VALU_DEP_1) | instskip(NEXT) | instid1(VALU_DEP_1)
	v_fmac_f32_e32 v127, v128, v127
	v_mul_f32_e32 v128, v129, v127
	s_delay_alu instid0(VALU_DEP_1) | instskip(NEXT) | instid1(VALU_DEP_1)
	v_fma_f32 v130, -v119, v128, v129
	v_fmac_f32_e32 v128, v130, v127
	s_delay_alu instid0(VALU_DEP_1) | instskip(NEXT) | instid1(VALU_DEP_1)
	v_fma_f32 v119, -v119, v128, v129
	v_div_fmas_f32 v119, v119, v127, v128
	s_delay_alu instid0(VALU_DEP_1) | instskip(NEXT) | instid1(VALU_DEP_1)
	v_div_fixup_f32 v119, v119, v121, v120
	v_fmac_f32_e32 v121, v120, v119
	s_delay_alu instid0(VALU_DEP_1) | instskip(SKIP_1) | instid1(VALU_DEP_2)
	v_div_scale_f32 v120, null, v121, v121, 1.0
	v_div_scale_f32 v129, vcc_lo, 1.0, v121, 1.0
	v_rcp_f32_e32 v127, v120
	v_nop
	s_delay_alu instid0(TRANS32_DEP_1) | instskip(NEXT) | instid1(VALU_DEP_1)
	v_fma_f32 v128, -v120, v127, 1.0
	v_fmac_f32_e32 v127, v128, v127
	s_delay_alu instid0(VALU_DEP_1) | instskip(NEXT) | instid1(VALU_DEP_1)
	v_mul_f32_e32 v128, v129, v127
	v_fma_f32 v130, -v120, v128, v129
	s_delay_alu instid0(VALU_DEP_1) | instskip(NEXT) | instid1(VALU_DEP_1)
	v_fmac_f32_e32 v128, v130, v127
	v_fma_f32 v120, -v120, v128, v129
	s_delay_alu instid0(VALU_DEP_1) | instskip(NEXT) | instid1(VALU_DEP_1)
	v_div_fmas_f32 v120, v120, v127, v128
	v_div_fixup_f32 v121, v120, v121, 1.0
	s_delay_alu instid0(VALU_DEP_1)
	v_mul_f32_e32 v120, v119, v121
	v_xor_b32_e32 v121, 0x80000000, v121
.LBB110_490:
	s_and_not1_saveexec_b32 s1, s1
	s_cbranch_execz .LBB110_492
; %bb.491:
	s_delay_alu instid0(VALU_DEP_1) | instskip(SKIP_1) | instid1(VALU_DEP_2)
	v_div_scale_f32 v119, null, v120, v120, v121
	v_div_scale_f32 v129, vcc_lo, v121, v120, v121
	v_rcp_f32_e32 v127, v119
	v_nop
	s_delay_alu instid0(TRANS32_DEP_1) | instskip(NEXT) | instid1(VALU_DEP_1)
	v_fma_f32 v128, -v119, v127, 1.0
	v_fmac_f32_e32 v127, v128, v127
	s_delay_alu instid0(VALU_DEP_1) | instskip(NEXT) | instid1(VALU_DEP_1)
	v_mul_f32_e32 v128, v129, v127
	v_fma_f32 v130, -v119, v128, v129
	s_delay_alu instid0(VALU_DEP_1) | instskip(NEXT) | instid1(VALU_DEP_1)
	v_fmac_f32_e32 v128, v130, v127
	v_fma_f32 v119, -v119, v128, v129
	s_delay_alu instid0(VALU_DEP_1) | instskip(NEXT) | instid1(VALU_DEP_1)
	v_div_fmas_f32 v119, v119, v127, v128
	v_div_fixup_f32 v119, v119, v120, v121
	s_delay_alu instid0(VALU_DEP_1) | instskip(NEXT) | instid1(VALU_DEP_1)
	v_fmac_f32_e32 v120, v121, v119
	v_div_scale_f32 v121, null, v120, v120, 1.0
	s_delay_alu instid0(VALU_DEP_1) | instskip(SKIP_1) | instid1(TRANS32_DEP_1)
	v_rcp_f32_e32 v127, v121
	v_nop
	v_fma_f32 v128, -v121, v127, 1.0
	s_delay_alu instid0(VALU_DEP_1) | instskip(SKIP_1) | instid1(VALU_DEP_1)
	v_fmac_f32_e32 v127, v128, v127
	v_div_scale_f32 v128, vcc_lo, 1.0, v120, 1.0
	v_mul_f32_e32 v129, v128, v127
	s_delay_alu instid0(VALU_DEP_1) | instskip(NEXT) | instid1(VALU_DEP_1)
	v_fma_f32 v130, -v121, v129, v128
	v_fmac_f32_e32 v129, v130, v127
	s_delay_alu instid0(VALU_DEP_1) | instskip(NEXT) | instid1(VALU_DEP_1)
	v_fma_f32 v121, -v121, v129, v128
	v_div_fmas_f32 v121, v121, v127, v129
	s_delay_alu instid0(VALU_DEP_1) | instskip(NEXT) | instid1(VALU_DEP_1)
	v_div_fixup_f32 v120, v121, v120, 1.0
	v_mul_f32_e64 v121, v119, -v120
.LBB110_492:
	s_or_b32 exec_lo, exec_lo, s1
.LBB110_493:
	s_delay_alu instid0(SALU_CYCLE_1) | instskip(NEXT) | instid1(SALU_CYCLE_1)
	s_or_b32 exec_lo, exec_lo, s0
	s_mov_b32 s0, exec_lo
	v_cmpx_ne_u32_e64 v126, v118
	s_xor_b32 s0, exec_lo, s0
	s_cbranch_execz .LBB110_499
; %bb.494:
	s_mov_b32 s1, exec_lo
	v_cmpx_eq_u32_e32 23, v126
	s_cbranch_execz .LBB110_498
; %bb.495:
	v_cmp_ne_u32_e32 vcc_lo, 23, v118
	s_xor_b32 s12, s16, -1
	s_delay_alu instid0(SALU_CYCLE_1) | instskip(NEXT) | instid1(SALU_CYCLE_1)
	s_and_b32 s13, s12, vcc_lo
	s_and_saveexec_b32 s12, s13
	s_cbranch_execz .LBB110_497
; %bb.496:
	v_ashrrev_i32_e32 v119, 31, v118
	s_delay_alu instid0(VALU_DEP_1)
	v_lshl_add_u64 v[126:127], v[118:119], 2, v[4:5]
	s_clause 0x1
	global_load_b32 v119, v[126:127], off
	global_load_b32 v125, v[4:5], off offset:92
	s_wait_loadcnt 0x1
	global_store_b32 v[4:5], v119, off offset:92
	s_wait_loadcnt 0x0
	global_store_b32 v[126:127], v125, off
.LBB110_497:
	s_wait_xcnt 0x0
	s_or_b32 exec_lo, exec_lo, s12
	v_dual_mov_b32 v126, v118 :: v_dual_mov_b32 v125, v118
.LBB110_498:
	s_or_b32 exec_lo, exec_lo, s1
.LBB110_499:
	s_and_not1_saveexec_b32 s0, s0
	s_cbranch_execz .LBB110_501
; %bb.500:
	v_dual_mov_b32 v118, v76 :: v_dual_mov_b32 v119, v77
	v_dual_mov_b32 v126, v72 :: v_dual_mov_b32 v127, v73
	ds_store_2addr_b64 v122, v[118:119], v[126:127] offset0:24 offset1:25
	v_dual_mov_b32 v118, v74 :: v_dual_mov_b32 v119, v75
	v_dual_mov_b32 v126, v18 :: v_dual_mov_b32 v127, v19
	ds_store_2addr_b64 v122, v[118:119], v[126:127] offset0:26 offset1:27
	;; [unrolled: 3-line block ×15, first 2 shown]
	v_dual_mov_b32 v118, v20 :: v_dual_mov_b32 v119, v21
	v_mov_b32_e32 v126, 23
	ds_store_2addr_b64 v122, v[118:119], v[116:117] offset0:54 offset1:55
.LBB110_501:
	s_or_b32 exec_lo, exec_lo, s0
	s_delay_alu instid0(SALU_CYCLE_1)
	s_mov_b32 s0, exec_lo
	s_wait_storecnt_dscnt 0x0
	s_barrier_signal -1
	s_barrier_wait -1
	v_cmpx_lt_i32_e32 23, v126
	s_cbranch_execz .LBB110_503
; %bb.502:
	v_pk_mul_f32 v[128:129], v[120:121], v[24:25] op_sel:[1,1] op_sel_hi:[0,1]
	s_delay_alu instid0(VALU_DEP_1)
	v_pk_fma_f32 v[118:119], v[120:121], v[24:25], v[128:129] op_sel_hi:[1,0,1] neg_lo:[0,0,1] neg_hi:[0,0,1]
	v_pk_fma_f32 v[120:121], v[120:121], v[24:25], v[128:129] op_sel_hi:[1,0,1]
	ds_load_2addr_b64 v[128:131], v122 offset0:24 offset1:25
	v_dual_mov_b32 v24, v118 :: v_dual_mov_b32 v25, v121
	s_wait_dscnt 0x0
	v_pk_mul_f32 v[132:133], v[128:129], v[120:121] op_sel:[0,1]
	s_delay_alu instid0(VALU_DEP_1) | instskip(SKIP_1) | instid1(VALU_DEP_1)
	v_pk_fma_f32 v[134:135], v[128:129], v[118:119], v[132:133] op_sel:[0,0,1] op_sel_hi:[1,1,0] neg_lo:[0,0,1] neg_hi:[0,0,1]
	v_pk_fma_f32 v[128:129], v[128:129], v[118:119], v[132:133] op_sel:[0,0,1] op_sel_hi:[1,0,0]
	v_mov_b32_e32 v135, v129
	v_pk_mul_f32 v[128:129], v[130:131], v[120:121] op_sel:[0,1]
	s_delay_alu instid0(VALU_DEP_1) | instskip(SKIP_1) | instid1(VALU_DEP_1)
	v_pk_fma_f32 v[132:133], v[130:131], v[118:119], v[128:129] op_sel:[0,0,1] op_sel_hi:[1,1,0] neg_lo:[0,0,1] neg_hi:[0,0,1]
	v_pk_fma_f32 v[128:129], v[130:131], v[118:119], v[128:129] op_sel:[0,0,1] op_sel_hi:[1,0,0]
	v_mov_b32_e32 v133, v129
	ds_load_2addr_b64 v[128:131], v122 offset0:26 offset1:27
	v_pk_add_f32 v[76:77], v[76:77], v[134:135] neg_lo:[0,1] neg_hi:[0,1]
	v_pk_add_f32 v[72:73], v[72:73], v[132:133] neg_lo:[0,1] neg_hi:[0,1]
	s_wait_dscnt 0x0
	v_pk_mul_f32 v[132:133], v[128:129], v[120:121] op_sel:[0,1]
	s_delay_alu instid0(VALU_DEP_1) | instskip(SKIP_2) | instid1(VALU_DEP_2)
	v_pk_fma_f32 v[134:135], v[128:129], v[118:119], v[132:133] op_sel:[0,0,1] op_sel_hi:[1,1,0] neg_lo:[0,0,1] neg_hi:[0,0,1]
	v_pk_fma_f32 v[128:129], v[128:129], v[118:119], v[132:133] op_sel:[0,0,1] op_sel_hi:[1,0,0]
	v_dual_mul_f32 v132, v131, v121 :: v_dual_mov_b32 v128, v131
	v_dual_mov_b32 v135, v129 :: v_dual_mov_b32 v129, v130
	s_delay_alu instid0(VALU_DEP_2) | instskip(SKIP_1) | instid1(VALU_DEP_3)
	v_pk_fma_f32 v[132:133], v[130:131], v[24:25], v[132:133] op_sel_hi:[1,1,0] neg_lo:[0,0,1] neg_hi:[0,0,1]
	v_mul_f32_e32 v130, v131, v118
	v_pk_add_f32 v[74:75], v[74:75], v[134:135] neg_lo:[0,1] neg_hi:[0,1]
	s_delay_alu instid0(VALU_DEP_2) | instskip(NEXT) | instid1(VALU_DEP_1)
	v_pk_fma_f32 v[128:129], v[128:129], v[24:25], v[130:131] op_sel_hi:[1,1,0]
	v_mov_b32_e32 v133, v129
	ds_load_2addr_b64 v[128:131], v122 offset0:28 offset1:29
	v_pk_add_f32 v[18:19], v[18:19], v[132:133] neg_lo:[0,1] neg_hi:[0,1]
	s_wait_dscnt 0x0
	v_pk_mul_f32 v[132:133], v[128:129], v[120:121] op_sel:[0,1]
	s_delay_alu instid0(VALU_DEP_1) | instskip(SKIP_1) | instid1(VALU_DEP_1)
	v_pk_fma_f32 v[134:135], v[128:129], v[118:119], v[132:133] op_sel:[0,0,1] op_sel_hi:[1,1,0] neg_lo:[0,0,1] neg_hi:[0,0,1]
	v_pk_fma_f32 v[128:129], v[128:129], v[118:119], v[132:133] op_sel:[0,0,1] op_sel_hi:[1,0,0]
	v_mov_b32_e32 v135, v129
	v_pk_mul_f32 v[128:129], v[130:131], v[120:121] op_sel:[0,1]
	s_delay_alu instid0(VALU_DEP_1) | instskip(SKIP_1) | instid1(VALU_DEP_1)
	v_pk_fma_f32 v[132:133], v[130:131], v[118:119], v[128:129] op_sel:[0,0,1] op_sel_hi:[1,1,0] neg_lo:[0,0,1] neg_hi:[0,0,1]
	v_pk_fma_f32 v[128:129], v[130:131], v[118:119], v[128:129] op_sel:[0,0,1] op_sel_hi:[1,0,0]
	v_mov_b32_e32 v133, v129
	ds_load_2addr_b64 v[128:131], v122 offset0:30 offset1:31
	v_pk_add_f32 v[70:71], v[70:71], v[134:135] neg_lo:[0,1] neg_hi:[0,1]
	v_pk_add_f32 v[66:67], v[66:67], v[132:133] neg_lo:[0,1] neg_hi:[0,1]
	s_wait_dscnt 0x0
	v_pk_mul_f32 v[132:133], v[128:129], v[120:121] op_sel:[0,1]
	s_delay_alu instid0(VALU_DEP_1) | instskip(SKIP_1) | instid1(VALU_DEP_1)
	v_pk_fma_f32 v[134:135], v[128:129], v[118:119], v[132:133] op_sel:[0,0,1] op_sel_hi:[1,1,0] neg_lo:[0,0,1] neg_hi:[0,0,1]
	v_pk_fma_f32 v[128:129], v[128:129], v[118:119], v[132:133] op_sel:[0,0,1] op_sel_hi:[1,0,0]
	v_mov_b32_e32 v135, v129
	v_pk_mul_f32 v[128:129], v[130:131], v[120:121] op_sel:[0,1]
	s_delay_alu instid0(VALU_DEP_1) | instskip(SKIP_1) | instid1(VALU_DEP_1)
	v_pk_fma_f32 v[132:133], v[130:131], v[118:119], v[128:129] op_sel:[0,0,1] op_sel_hi:[1,1,0] neg_lo:[0,0,1] neg_hi:[0,0,1]
	v_pk_fma_f32 v[128:129], v[130:131], v[118:119], v[128:129] op_sel:[0,0,1] op_sel_hi:[1,0,0]
	v_mov_b32_e32 v133, v129
	ds_load_2addr_b64 v[128:131], v122 offset0:32 offset1:33
	v_pk_add_f32 v[68:69], v[68:69], v[134:135] neg_lo:[0,1] neg_hi:[0,1]
	v_pk_add_f32 v[16:17], v[16:17], v[132:133] neg_lo:[0,1] neg_hi:[0,1]
	s_wait_dscnt 0x0
	v_dual_mul_f32 v132, v129, v121 :: v_dual_mul_f32 v134, v129, v118
	s_delay_alu instid0(VALU_DEP_1) | instskip(NEXT) | instid1(VALU_DEP_2)
	v_pk_fma_f32 v[132:133], v[128:129], v[24:25], v[132:133] op_sel_hi:[1,1,0] neg_lo:[0,0,1] neg_hi:[0,0,1]
	v_pk_fma_f32 v[128:129], v[128:129], v[24:25], v[134:135] op_sel:[1,0,0] op_sel_hi:[0,1,0]
	s_delay_alu instid0(VALU_DEP_1) | instskip(SKIP_1) | instid1(VALU_DEP_2)
	v_mov_b32_e32 v133, v129
	v_pk_mul_f32 v[128:129], v[130:131], v[120:121] op_sel:[0,1]
	v_pk_add_f32 v[64:65], v[64:65], v[132:133] neg_lo:[0,1] neg_hi:[0,1]
	s_delay_alu instid0(VALU_DEP_2) | instskip(SKIP_1) | instid1(VALU_DEP_1)
	v_pk_fma_f32 v[132:133], v[130:131], v[118:119], v[128:129] op_sel:[0,0,1] op_sel_hi:[1,1,0] neg_lo:[0,0,1] neg_hi:[0,0,1]
	v_pk_fma_f32 v[128:129], v[130:131], v[118:119], v[128:129] op_sel:[0,0,1] op_sel_hi:[1,0,0]
	v_mov_b32_e32 v133, v129
	ds_load_2addr_b64 v[128:131], v122 offset0:34 offset1:35
	v_pk_add_f32 v[60:61], v[60:61], v[132:133] neg_lo:[0,1] neg_hi:[0,1]
	s_wait_dscnt 0x0
	v_pk_mul_f32 v[132:133], v[128:129], v[120:121] op_sel:[0,1]
	s_delay_alu instid0(VALU_DEP_1) | instskip(SKIP_1) | instid1(VALU_DEP_1)
	v_pk_fma_f32 v[134:135], v[128:129], v[118:119], v[132:133] op_sel:[0,0,1] op_sel_hi:[1,1,0] neg_lo:[0,0,1] neg_hi:[0,0,1]
	v_pk_fma_f32 v[128:129], v[128:129], v[118:119], v[132:133] op_sel:[0,0,1] op_sel_hi:[1,0,0]
	v_mov_b32_e32 v135, v129
	v_pk_mul_f32 v[128:129], v[130:131], v[120:121] op_sel:[0,1]
	s_delay_alu instid0(VALU_DEP_2) | instskip(NEXT) | instid1(VALU_DEP_2)
	v_pk_add_f32 v[62:63], v[62:63], v[134:135] neg_lo:[0,1] neg_hi:[0,1]
	v_pk_fma_f32 v[132:133], v[130:131], v[118:119], v[128:129] op_sel:[0,0,1] op_sel_hi:[1,1,0] neg_lo:[0,0,1] neg_hi:[0,0,1]
	v_pk_fma_f32 v[128:129], v[130:131], v[118:119], v[128:129] op_sel:[0,0,1] op_sel_hi:[1,0,0]
	s_delay_alu instid0(VALU_DEP_1) | instskip(SKIP_4) | instid1(VALU_DEP_1)
	v_mov_b32_e32 v133, v129
	ds_load_2addr_b64 v[128:131], v122 offset0:36 offset1:37
	v_pk_add_f32 v[14:15], v[14:15], v[132:133] neg_lo:[0,1] neg_hi:[0,1]
	s_wait_dscnt 0x0
	v_pk_mul_f32 v[132:133], v[128:129], v[120:121] op_sel:[0,1]
	v_pk_fma_f32 v[134:135], v[128:129], v[118:119], v[132:133] op_sel:[0,0,1] op_sel_hi:[1,1,0] neg_lo:[0,0,1] neg_hi:[0,0,1]
	v_pk_fma_f32 v[128:129], v[128:129], v[118:119], v[132:133] op_sel:[0,0,1] op_sel_hi:[1,0,0]
	v_dual_mul_f32 v132, v131, v121 :: v_dual_mov_b32 v128, v131
	s_delay_alu instid0(VALU_DEP_2) | instskip(NEXT) | instid1(VALU_DEP_2)
	v_dual_mov_b32 v135, v129 :: v_dual_mov_b32 v129, v130
	v_pk_fma_f32 v[132:133], v[130:131], v[24:25], v[132:133] op_sel_hi:[1,1,0] neg_lo:[0,0,1] neg_hi:[0,0,1]
	v_mul_f32_e32 v130, v131, v118
	s_delay_alu instid0(VALU_DEP_3) | instskip(NEXT) | instid1(VALU_DEP_2)
	v_pk_add_f32 v[58:59], v[58:59], v[134:135] neg_lo:[0,1] neg_hi:[0,1]
	v_pk_fma_f32 v[128:129], v[128:129], v[24:25], v[130:131] op_sel_hi:[1,1,0]
	s_delay_alu instid0(VALU_DEP_1) | instskip(SKIP_4) | instid1(VALU_DEP_1)
	v_mov_b32_e32 v133, v129
	ds_load_2addr_b64 v[128:131], v122 offset0:38 offset1:39
	v_pk_add_f32 v[54:55], v[54:55], v[132:133] neg_lo:[0,1] neg_hi:[0,1]
	s_wait_dscnt 0x0
	v_pk_mul_f32 v[132:133], v[128:129], v[120:121] op_sel:[0,1]
	v_pk_fma_f32 v[134:135], v[128:129], v[118:119], v[132:133] op_sel:[0,0,1] op_sel_hi:[1,1,0] neg_lo:[0,0,1] neg_hi:[0,0,1]
	v_pk_fma_f32 v[128:129], v[128:129], v[118:119], v[132:133] op_sel:[0,0,1] op_sel_hi:[1,0,0]
	s_delay_alu instid0(VALU_DEP_1) | instskip(SKIP_1) | instid1(VALU_DEP_1)
	v_mov_b32_e32 v135, v129
	v_pk_mul_f32 v[128:129], v[130:131], v[120:121] op_sel:[0,1]
	v_pk_fma_f32 v[132:133], v[130:131], v[118:119], v[128:129] op_sel:[0,0,1] op_sel_hi:[1,1,0] neg_lo:[0,0,1] neg_hi:[0,0,1]
	v_pk_fma_f32 v[128:129], v[130:131], v[118:119], v[128:129] op_sel:[0,0,1] op_sel_hi:[1,0,0]
	s_delay_alu instid0(VALU_DEP_1)
	v_mov_b32_e32 v133, v129
	ds_load_2addr_b64 v[128:131], v122 offset0:40 offset1:41
	v_pk_add_f32 v[56:57], v[56:57], v[134:135] neg_lo:[0,1] neg_hi:[0,1]
	v_pk_add_f32 v[12:13], v[12:13], v[132:133] neg_lo:[0,1] neg_hi:[0,1]
	s_wait_dscnt 0x0
	v_pk_mul_f32 v[132:133], v[128:129], v[120:121] op_sel:[0,1]
	s_delay_alu instid0(VALU_DEP_1) | instskip(SKIP_1) | instid1(VALU_DEP_1)
	v_pk_fma_f32 v[134:135], v[128:129], v[118:119], v[132:133] op_sel:[0,0,1] op_sel_hi:[1,1,0] neg_lo:[0,0,1] neg_hi:[0,0,1]
	v_pk_fma_f32 v[128:129], v[128:129], v[118:119], v[132:133] op_sel:[0,0,1] op_sel_hi:[1,0,0]
	v_mov_b32_e32 v135, v129
	v_pk_mul_f32 v[128:129], v[130:131], v[120:121] op_sel:[0,1]
	s_delay_alu instid0(VALU_DEP_1) | instskip(SKIP_1) | instid1(VALU_DEP_1)
	v_pk_fma_f32 v[132:133], v[130:131], v[118:119], v[128:129] op_sel:[0,0,1] op_sel_hi:[1,1,0] neg_lo:[0,0,1] neg_hi:[0,0,1]
	v_pk_fma_f32 v[128:129], v[130:131], v[118:119], v[128:129] op_sel:[0,0,1] op_sel_hi:[1,0,0]
	v_mov_b32_e32 v133, v129
	ds_load_2addr_b64 v[128:131], v122 offset0:42 offset1:43
	v_pk_add_f32 v[52:53], v[52:53], v[134:135] neg_lo:[0,1] neg_hi:[0,1]
	v_pk_add_f32 v[48:49], v[48:49], v[132:133] neg_lo:[0,1] neg_hi:[0,1]
	s_wait_dscnt 0x0
	v_dual_mul_f32 v132, v129, v121 :: v_dual_mul_f32 v134, v129, v118
	s_delay_alu instid0(VALU_DEP_1) | instskip(NEXT) | instid1(VALU_DEP_2)
	v_pk_fma_f32 v[132:133], v[128:129], v[24:25], v[132:133] op_sel_hi:[1,1,0] neg_lo:[0,0,1] neg_hi:[0,0,1]
	v_pk_fma_f32 v[128:129], v[128:129], v[24:25], v[134:135] op_sel:[1,0,0] op_sel_hi:[0,1,0]
	s_delay_alu instid0(VALU_DEP_1) | instskip(SKIP_1) | instid1(VALU_DEP_2)
	v_mov_b32_e32 v133, v129
	v_pk_mul_f32 v[128:129], v[130:131], v[120:121] op_sel:[0,1]
	v_pk_add_f32 v[50:51], v[50:51], v[132:133] neg_lo:[0,1] neg_hi:[0,1]
	s_delay_alu instid0(VALU_DEP_2) | instskip(SKIP_1) | instid1(VALU_DEP_1)
	v_pk_fma_f32 v[132:133], v[130:131], v[118:119], v[128:129] op_sel:[0,0,1] op_sel_hi:[1,1,0] neg_lo:[0,0,1] neg_hi:[0,0,1]
	v_pk_fma_f32 v[128:129], v[130:131], v[118:119], v[128:129] op_sel:[0,0,1] op_sel_hi:[1,0,0]
	v_mov_b32_e32 v133, v129
	ds_load_2addr_b64 v[128:131], v122 offset0:44 offset1:45
	v_pk_add_f32 v[10:11], v[10:11], v[132:133] neg_lo:[0,1] neg_hi:[0,1]
	s_wait_dscnt 0x0
	v_pk_mul_f32 v[132:133], v[128:129], v[120:121] op_sel:[0,1]
	s_delay_alu instid0(VALU_DEP_1) | instskip(SKIP_1) | instid1(VALU_DEP_1)
	v_pk_fma_f32 v[134:135], v[128:129], v[118:119], v[132:133] op_sel:[0,0,1] op_sel_hi:[1,1,0] neg_lo:[0,0,1] neg_hi:[0,0,1]
	v_pk_fma_f32 v[128:129], v[128:129], v[118:119], v[132:133] op_sel:[0,0,1] op_sel_hi:[1,0,0]
	v_mov_b32_e32 v135, v129
	v_pk_mul_f32 v[128:129], v[130:131], v[120:121] op_sel:[0,1]
	s_delay_alu instid0(VALU_DEP_2) | instskip(NEXT) | instid1(VALU_DEP_2)
	v_pk_add_f32 v[46:47], v[46:47], v[134:135] neg_lo:[0,1] neg_hi:[0,1]
	v_pk_fma_f32 v[132:133], v[130:131], v[118:119], v[128:129] op_sel:[0,0,1] op_sel_hi:[1,1,0] neg_lo:[0,0,1] neg_hi:[0,0,1]
	v_pk_fma_f32 v[128:129], v[130:131], v[118:119], v[128:129] op_sel:[0,0,1] op_sel_hi:[1,0,0]
	s_delay_alu instid0(VALU_DEP_1) | instskip(SKIP_4) | instid1(VALU_DEP_1)
	v_mov_b32_e32 v133, v129
	ds_load_2addr_b64 v[128:131], v122 offset0:46 offset1:47
	v_pk_add_f32 v[42:43], v[42:43], v[132:133] neg_lo:[0,1] neg_hi:[0,1]
	s_wait_dscnt 0x0
	v_pk_mul_f32 v[132:133], v[128:129], v[120:121] op_sel:[0,1]
	v_pk_fma_f32 v[134:135], v[128:129], v[118:119], v[132:133] op_sel:[0,0,1] op_sel_hi:[1,1,0] neg_lo:[0,0,1] neg_hi:[0,0,1]
	v_pk_fma_f32 v[128:129], v[128:129], v[118:119], v[132:133] op_sel:[0,0,1] op_sel_hi:[1,0,0]
	v_dual_mul_f32 v132, v131, v121 :: v_dual_mov_b32 v128, v131
	s_delay_alu instid0(VALU_DEP_2) | instskip(NEXT) | instid1(VALU_DEP_2)
	v_dual_mov_b32 v135, v129 :: v_dual_mov_b32 v129, v130
	v_pk_fma_f32 v[132:133], v[130:131], v[24:25], v[132:133] op_sel_hi:[1,1,0] neg_lo:[0,0,1] neg_hi:[0,0,1]
	v_mul_f32_e32 v130, v131, v118
	s_delay_alu instid0(VALU_DEP_3) | instskip(NEXT) | instid1(VALU_DEP_2)
	v_pk_add_f32 v[44:45], v[44:45], v[134:135] neg_lo:[0,1] neg_hi:[0,1]
	v_pk_fma_f32 v[128:129], v[128:129], v[24:25], v[130:131] op_sel_hi:[1,1,0]
	s_delay_alu instid0(VALU_DEP_1) | instskip(SKIP_4) | instid1(VALU_DEP_1)
	v_mov_b32_e32 v133, v129
	ds_load_2addr_b64 v[128:131], v122 offset0:48 offset1:49
	v_pk_add_f32 v[6:7], v[6:7], v[132:133] neg_lo:[0,1] neg_hi:[0,1]
	s_wait_dscnt 0x0
	v_pk_mul_f32 v[132:133], v[128:129], v[120:121] op_sel:[0,1]
	v_pk_fma_f32 v[134:135], v[128:129], v[118:119], v[132:133] op_sel:[0,0,1] op_sel_hi:[1,1,0] neg_lo:[0,0,1] neg_hi:[0,0,1]
	v_pk_fma_f32 v[128:129], v[128:129], v[118:119], v[132:133] op_sel:[0,0,1] op_sel_hi:[1,0,0]
	s_delay_alu instid0(VALU_DEP_1) | instskip(SKIP_1) | instid1(VALU_DEP_1)
	v_mov_b32_e32 v135, v129
	v_pk_mul_f32 v[128:129], v[130:131], v[120:121] op_sel:[0,1]
	v_pk_fma_f32 v[132:133], v[130:131], v[118:119], v[128:129] op_sel:[0,0,1] op_sel_hi:[1,1,0] neg_lo:[0,0,1] neg_hi:[0,0,1]
	v_pk_fma_f32 v[128:129], v[130:131], v[118:119], v[128:129] op_sel:[0,0,1] op_sel_hi:[1,0,0]
	s_delay_alu instid0(VALU_DEP_1)
	v_mov_b32_e32 v133, v129
	ds_load_2addr_b64 v[128:131], v122 offset0:50 offset1:51
	v_pk_add_f32 v[34:35], v[34:35], v[134:135] neg_lo:[0,1] neg_hi:[0,1]
	v_pk_add_f32 v[28:29], v[28:29], v[132:133] neg_lo:[0,1] neg_hi:[0,1]
	s_wait_dscnt 0x0
	v_pk_mul_f32 v[132:133], v[128:129], v[120:121] op_sel:[0,1]
	s_delay_alu instid0(VALU_DEP_1) | instskip(SKIP_1) | instid1(VALU_DEP_1)
	v_pk_fma_f32 v[134:135], v[128:129], v[118:119], v[132:133] op_sel:[0,0,1] op_sel_hi:[1,1,0] neg_lo:[0,0,1] neg_hi:[0,0,1]
	v_pk_fma_f32 v[128:129], v[128:129], v[118:119], v[132:133] op_sel:[0,0,1] op_sel_hi:[1,0,0]
	v_mov_b32_e32 v135, v129
	v_pk_mul_f32 v[128:129], v[130:131], v[120:121] op_sel:[0,1]
	s_delay_alu instid0(VALU_DEP_1) | instskip(SKIP_1) | instid1(VALU_DEP_1)
	v_pk_fma_f32 v[132:133], v[130:131], v[118:119], v[128:129] op_sel:[0,0,1] op_sel_hi:[1,1,0] neg_lo:[0,0,1] neg_hi:[0,0,1]
	v_pk_fma_f32 v[128:129], v[130:131], v[118:119], v[128:129] op_sel:[0,0,1] op_sel_hi:[1,0,0]
	v_mov_b32_e32 v133, v129
	ds_load_2addr_b64 v[128:131], v122 offset0:52 offset1:53
	v_pk_add_f32 v[32:33], v[32:33], v[134:135] neg_lo:[0,1] neg_hi:[0,1]
	v_pk_add_f32 v[8:9], v[8:9], v[132:133] neg_lo:[0,1] neg_hi:[0,1]
	s_wait_dscnt 0x0
	v_dual_mul_f32 v132, v129, v121 :: v_dual_mul_f32 v134, v129, v118
	s_delay_alu instid0(VALU_DEP_1) | instskip(NEXT) | instid1(VALU_DEP_2)
	v_pk_fma_f32 v[132:133], v[128:129], v[24:25], v[132:133] op_sel_hi:[1,1,0] neg_lo:[0,0,1] neg_hi:[0,0,1]
	v_pk_fma_f32 v[128:129], v[128:129], v[24:25], v[134:135] op_sel:[1,0,0] op_sel_hi:[0,1,0]
	s_delay_alu instid0(VALU_DEP_1) | instskip(SKIP_1) | instid1(VALU_DEP_2)
	v_mov_b32_e32 v133, v129
	v_pk_mul_f32 v[128:129], v[130:131], v[120:121] op_sel:[0,1]
	v_pk_add_f32 v[26:27], v[26:27], v[132:133] neg_lo:[0,1] neg_hi:[0,1]
	s_delay_alu instid0(VALU_DEP_2) | instskip(SKIP_1) | instid1(VALU_DEP_1)
	v_pk_fma_f32 v[132:133], v[130:131], v[118:119], v[128:129] op_sel:[0,0,1] op_sel_hi:[1,1,0] neg_lo:[0,0,1] neg_hi:[0,0,1]
	v_pk_fma_f32 v[128:129], v[130:131], v[118:119], v[128:129] op_sel:[0,0,1] op_sel_hi:[1,0,0]
	v_mov_b32_e32 v133, v129
	ds_load_2addr_b64 v[128:131], v122 offset0:54 offset1:55
	v_pk_add_f32 v[22:23], v[22:23], v[132:133] neg_lo:[0,1] neg_hi:[0,1]
	s_wait_dscnt 0x0
	v_pk_mul_f32 v[132:133], v[128:129], v[120:121] op_sel:[0,1]
	v_pk_mul_f32 v[120:121], v[130:131], v[120:121] op_sel:[0,1]
	s_delay_alu instid0(VALU_DEP_2) | instskip(SKIP_1) | instid1(VALU_DEP_1)
	v_pk_fma_f32 v[134:135], v[128:129], v[118:119], v[132:133] op_sel:[0,0,1] op_sel_hi:[1,1,0] neg_lo:[0,0,1] neg_hi:[0,0,1]
	v_pk_fma_f32 v[128:129], v[128:129], v[118:119], v[132:133] op_sel:[0,0,1] op_sel_hi:[1,0,0]
	v_mov_b32_e32 v135, v129
	s_delay_alu instid0(VALU_DEP_4) | instskip(SKIP_1) | instid1(VALU_DEP_3)
	v_pk_fma_f32 v[128:129], v[130:131], v[118:119], v[120:121] op_sel:[0,0,1] op_sel_hi:[1,1,0] neg_lo:[0,0,1] neg_hi:[0,0,1]
	v_pk_fma_f32 v[118:119], v[130:131], v[118:119], v[120:121] op_sel:[0,0,1] op_sel_hi:[1,0,0]
	v_pk_add_f32 v[20:21], v[20:21], v[134:135] neg_lo:[0,1] neg_hi:[0,1]
	s_delay_alu instid0(VALU_DEP_2) | instskip(NEXT) | instid1(VALU_DEP_1)
	v_mov_b32_e32 v129, v119
	v_pk_add_f32 v[116:117], v[116:117], v[128:129] neg_lo:[0,1] neg_hi:[0,1]
.LBB110_503:
	s_or_b32 exec_lo, exec_lo, s0
	v_lshl_add_u32 v118, v126, 3, v122
	s_barrier_signal -1
	s_barrier_wait -1
	ds_store_b64 v118, v[76:77]
	s_wait_dscnt 0x0
	s_barrier_signal -1
	s_barrier_wait -1
	ds_load_b64 v[120:121], v122 offset:192
	v_mov_b32_e32 v118, 24
	s_cmp_lt_i32 s18, 26
	s_cbranch_scc1 .LBB110_506
; %bb.504:
	v_add3_u32 v119, v123, 0, 0xc8
	v_mov_b32_e32 v118, 24
	s_mov_b32 s0, 25
.LBB110_505:                            ; =>This Inner Loop Header: Depth=1
	ds_load_b64 v[128:129], v119
	s_wait_dscnt 0x1
	v_cmp_gt_f32_e32 vcc_lo, 0, v120
	v_cndmask_b32_e64 v130, v120, -v120, vcc_lo
	v_cmp_gt_f32_e32 vcc_lo, 0, v121
	v_cndmask_b32_e64 v132, v121, -v121, vcc_lo
	s_wait_dscnt 0x0
	v_cmp_gt_f32_e32 vcc_lo, 0, v128
	v_cndmask_b32_e64 v131, v128, -v128, vcc_lo
	v_cmp_gt_f32_e32 vcc_lo, 0, v129
	v_cndmask_b32_e64 v133, v129, -v129, vcc_lo
	s_delay_alu instid0(VALU_DEP_1) | instskip(NEXT) | instid1(VALU_DEP_1)
	v_pk_add_f32 v[130:131], v[130:131], v[132:133]
	v_cmp_lt_f32_e32 vcc_lo, v130, v131
	v_dual_add_nc_u32 v119, 8, v119 :: v_dual_cndmask_b32 v121, v121, v129, vcc_lo
	v_cndmask_b32_e32 v120, v120, v128, vcc_lo
	v_cndmask_b32_e64 v118, v118, s0, vcc_lo
	s_add_co_i32 s0, s0, 1
	s_delay_alu instid0(SALU_CYCLE_1)
	s_cmp_lg_u32 s18, s0
	s_cbranch_scc1 .LBB110_505
.LBB110_506:
	s_wait_dscnt 0x0
	v_cmp_eq_f32_e32 vcc_lo, 0, v120
	v_cmp_eq_f32_e64 s0, 0, v121
	s_and_b32 s0, vcc_lo, s0
	s_delay_alu instid0(SALU_CYCLE_1) | instskip(NEXT) | instid1(SALU_CYCLE_1)
	s_and_saveexec_b32 s1, s0
	s_xor_b32 s0, exec_lo, s1
; %bb.507:
	v_cmp_ne_u32_e32 vcc_lo, 0, v124
	v_cndmask_b32_e32 v124, 25, v124, vcc_lo
; %bb.508:
	s_and_not1_saveexec_b32 s0, s0
	s_cbranch_execz .LBB110_514
; %bb.509:
	v_cmp_ngt_f32_e64 s1, |v120|, |v121|
	s_and_saveexec_b32 s12, s1
	s_delay_alu instid0(SALU_CYCLE_1)
	s_xor_b32 s1, exec_lo, s12
	s_cbranch_execz .LBB110_511
; %bb.510:
	v_div_scale_f32 v119, null, v121, v121, v120
	v_div_scale_f32 v129, vcc_lo, v120, v121, v120
	s_delay_alu instid0(VALU_DEP_2) | instskip(SKIP_1) | instid1(TRANS32_DEP_1)
	v_rcp_f32_e32 v127, v119
	v_nop
	v_fma_f32 v128, -v119, v127, 1.0
	s_delay_alu instid0(VALU_DEP_1) | instskip(NEXT) | instid1(VALU_DEP_1)
	v_fmac_f32_e32 v127, v128, v127
	v_mul_f32_e32 v128, v129, v127
	s_delay_alu instid0(VALU_DEP_1) | instskip(NEXT) | instid1(VALU_DEP_1)
	v_fma_f32 v130, -v119, v128, v129
	v_fmac_f32_e32 v128, v130, v127
	s_delay_alu instid0(VALU_DEP_1) | instskip(NEXT) | instid1(VALU_DEP_1)
	v_fma_f32 v119, -v119, v128, v129
	v_div_fmas_f32 v119, v119, v127, v128
	s_delay_alu instid0(VALU_DEP_1) | instskip(NEXT) | instid1(VALU_DEP_1)
	v_div_fixup_f32 v119, v119, v121, v120
	v_fmac_f32_e32 v121, v120, v119
	s_delay_alu instid0(VALU_DEP_1) | instskip(SKIP_1) | instid1(VALU_DEP_2)
	v_div_scale_f32 v120, null, v121, v121, 1.0
	v_div_scale_f32 v129, vcc_lo, 1.0, v121, 1.0
	v_rcp_f32_e32 v127, v120
	v_nop
	s_delay_alu instid0(TRANS32_DEP_1) | instskip(NEXT) | instid1(VALU_DEP_1)
	v_fma_f32 v128, -v120, v127, 1.0
	v_fmac_f32_e32 v127, v128, v127
	s_delay_alu instid0(VALU_DEP_1) | instskip(NEXT) | instid1(VALU_DEP_1)
	v_mul_f32_e32 v128, v129, v127
	v_fma_f32 v130, -v120, v128, v129
	s_delay_alu instid0(VALU_DEP_1) | instskip(NEXT) | instid1(VALU_DEP_1)
	v_fmac_f32_e32 v128, v130, v127
	v_fma_f32 v120, -v120, v128, v129
	s_delay_alu instid0(VALU_DEP_1) | instskip(NEXT) | instid1(VALU_DEP_1)
	v_div_fmas_f32 v120, v120, v127, v128
	v_div_fixup_f32 v121, v120, v121, 1.0
	s_delay_alu instid0(VALU_DEP_1)
	v_mul_f32_e32 v120, v119, v121
	v_xor_b32_e32 v121, 0x80000000, v121
.LBB110_511:
	s_and_not1_saveexec_b32 s1, s1
	s_cbranch_execz .LBB110_513
; %bb.512:
	s_delay_alu instid0(VALU_DEP_1) | instskip(SKIP_1) | instid1(VALU_DEP_2)
	v_div_scale_f32 v119, null, v120, v120, v121
	v_div_scale_f32 v129, vcc_lo, v121, v120, v121
	v_rcp_f32_e32 v127, v119
	v_nop
	s_delay_alu instid0(TRANS32_DEP_1) | instskip(NEXT) | instid1(VALU_DEP_1)
	v_fma_f32 v128, -v119, v127, 1.0
	v_fmac_f32_e32 v127, v128, v127
	s_delay_alu instid0(VALU_DEP_1) | instskip(NEXT) | instid1(VALU_DEP_1)
	v_mul_f32_e32 v128, v129, v127
	v_fma_f32 v130, -v119, v128, v129
	s_delay_alu instid0(VALU_DEP_1) | instskip(NEXT) | instid1(VALU_DEP_1)
	v_fmac_f32_e32 v128, v130, v127
	v_fma_f32 v119, -v119, v128, v129
	s_delay_alu instid0(VALU_DEP_1) | instskip(NEXT) | instid1(VALU_DEP_1)
	v_div_fmas_f32 v119, v119, v127, v128
	v_div_fixup_f32 v119, v119, v120, v121
	s_delay_alu instid0(VALU_DEP_1) | instskip(NEXT) | instid1(VALU_DEP_1)
	v_fmac_f32_e32 v120, v121, v119
	v_div_scale_f32 v121, null, v120, v120, 1.0
	s_delay_alu instid0(VALU_DEP_1) | instskip(SKIP_1) | instid1(TRANS32_DEP_1)
	v_rcp_f32_e32 v127, v121
	v_nop
	v_fma_f32 v128, -v121, v127, 1.0
	s_delay_alu instid0(VALU_DEP_1) | instskip(SKIP_1) | instid1(VALU_DEP_1)
	v_fmac_f32_e32 v127, v128, v127
	v_div_scale_f32 v128, vcc_lo, 1.0, v120, 1.0
	v_mul_f32_e32 v129, v128, v127
	s_delay_alu instid0(VALU_DEP_1) | instskip(NEXT) | instid1(VALU_DEP_1)
	v_fma_f32 v130, -v121, v129, v128
	v_fmac_f32_e32 v129, v130, v127
	s_delay_alu instid0(VALU_DEP_1) | instskip(NEXT) | instid1(VALU_DEP_1)
	v_fma_f32 v121, -v121, v129, v128
	v_div_fmas_f32 v121, v121, v127, v129
	s_delay_alu instid0(VALU_DEP_1) | instskip(NEXT) | instid1(VALU_DEP_1)
	v_div_fixup_f32 v120, v121, v120, 1.0
	v_mul_f32_e64 v121, v119, -v120
.LBB110_513:
	s_or_b32 exec_lo, exec_lo, s1
.LBB110_514:
	s_delay_alu instid0(SALU_CYCLE_1) | instskip(NEXT) | instid1(SALU_CYCLE_1)
	s_or_b32 exec_lo, exec_lo, s0
	s_mov_b32 s0, exec_lo
	v_cmpx_ne_u32_e64 v126, v118
	s_xor_b32 s0, exec_lo, s0
	s_cbranch_execz .LBB110_520
; %bb.515:
	s_mov_b32 s1, exec_lo
	v_cmpx_eq_u32_e32 24, v126
	s_cbranch_execz .LBB110_519
; %bb.516:
	v_cmp_ne_u32_e32 vcc_lo, 24, v118
	s_xor_b32 s12, s16, -1
	s_delay_alu instid0(SALU_CYCLE_1) | instskip(NEXT) | instid1(SALU_CYCLE_1)
	s_and_b32 s13, s12, vcc_lo
	s_and_saveexec_b32 s12, s13
	s_cbranch_execz .LBB110_518
; %bb.517:
	v_ashrrev_i32_e32 v119, 31, v118
	s_delay_alu instid0(VALU_DEP_1)
	v_lshl_add_u64 v[126:127], v[118:119], 2, v[4:5]
	s_clause 0x1
	global_load_b32 v119, v[126:127], off
	global_load_b32 v125, v[4:5], off offset:96
	s_wait_loadcnt 0x1
	global_store_b32 v[4:5], v119, off offset:96
	s_wait_loadcnt 0x0
	global_store_b32 v[126:127], v125, off
.LBB110_518:
	s_wait_xcnt 0x0
	s_or_b32 exec_lo, exec_lo, s12
	v_dual_mov_b32 v126, v118 :: v_dual_mov_b32 v125, v118
.LBB110_519:
	s_or_b32 exec_lo, exec_lo, s1
.LBB110_520:
	s_and_not1_saveexec_b32 s0, s0
	s_cbranch_execz .LBB110_522
; %bb.521:
	v_mov_b32_e32 v126, 24
	ds_store_2addr_b64 v122, v[72:73], v[74:75] offset0:25 offset1:26
	ds_store_2addr_b64 v122, v[18:19], v[70:71] offset0:27 offset1:28
	;; [unrolled: 1-line block ×15, first 2 shown]
	ds_store_b64 v122, v[116:117] offset:440
.LBB110_522:
	s_or_b32 exec_lo, exec_lo, s0
	s_delay_alu instid0(SALU_CYCLE_1)
	s_mov_b32 s0, exec_lo
	s_wait_storecnt_dscnt 0x0
	s_barrier_signal -1
	s_barrier_wait -1
	v_cmpx_lt_i32_e32 24, v126
	s_cbranch_execz .LBB110_524
; %bb.523:
	v_pk_mul_f32 v[128:129], v[120:121], v[76:77] op_sel:[1,1] op_sel_hi:[0,1]
	s_delay_alu instid0(VALU_DEP_1)
	v_pk_fma_f32 v[118:119], v[120:121], v[76:77], v[128:129] op_sel_hi:[1,0,1] neg_lo:[0,0,1] neg_hi:[0,0,1]
	v_pk_fma_f32 v[120:121], v[120:121], v[76:77], v[128:129] op_sel_hi:[1,0,1]
	ds_load_2addr_b64 v[128:131], v122 offset0:25 offset1:26
	v_dual_mov_b32 v76, v118 :: v_dual_mov_b32 v77, v121
	s_wait_dscnt 0x0
	v_pk_mul_f32 v[132:133], v[128:129], v[120:121] op_sel:[0,1]
	s_delay_alu instid0(VALU_DEP_1) | instskip(SKIP_1) | instid1(VALU_DEP_1)
	v_pk_fma_f32 v[134:135], v[128:129], v[118:119], v[132:133] op_sel:[0,0,1] op_sel_hi:[1,1,0] neg_lo:[0,0,1] neg_hi:[0,0,1]
	v_pk_fma_f32 v[128:129], v[128:129], v[118:119], v[132:133] op_sel:[0,0,1] op_sel_hi:[1,0,0]
	v_mov_b32_e32 v135, v129
	v_pk_mul_f32 v[128:129], v[130:131], v[120:121] op_sel:[0,1]
	s_delay_alu instid0(VALU_DEP_1) | instskip(SKIP_1) | instid1(VALU_DEP_1)
	v_pk_fma_f32 v[132:133], v[130:131], v[118:119], v[128:129] op_sel:[0,0,1] op_sel_hi:[1,1,0] neg_lo:[0,0,1] neg_hi:[0,0,1]
	v_pk_fma_f32 v[128:129], v[130:131], v[118:119], v[128:129] op_sel:[0,0,1] op_sel_hi:[1,0,0]
	v_mov_b32_e32 v133, v129
	ds_load_2addr_b64 v[128:131], v122 offset0:27 offset1:28
	v_pk_add_f32 v[72:73], v[72:73], v[134:135] neg_lo:[0,1] neg_hi:[0,1]
	v_pk_add_f32 v[74:75], v[74:75], v[132:133] neg_lo:[0,1] neg_hi:[0,1]
	s_wait_dscnt 0x0
	v_pk_mul_f32 v[132:133], v[128:129], v[120:121] op_sel:[0,1]
	s_delay_alu instid0(VALU_DEP_1) | instskip(SKIP_2) | instid1(VALU_DEP_2)
	v_pk_fma_f32 v[134:135], v[128:129], v[118:119], v[132:133] op_sel:[0,0,1] op_sel_hi:[1,1,0] neg_lo:[0,0,1] neg_hi:[0,0,1]
	v_pk_fma_f32 v[128:129], v[128:129], v[118:119], v[132:133] op_sel:[0,0,1] op_sel_hi:[1,0,0]
	v_dual_mul_f32 v132, v131, v121 :: v_dual_mov_b32 v128, v131
	v_dual_mov_b32 v135, v129 :: v_dual_mov_b32 v129, v130
	s_delay_alu instid0(VALU_DEP_2) | instskip(SKIP_1) | instid1(VALU_DEP_3)
	v_pk_fma_f32 v[132:133], v[130:131], v[76:77], v[132:133] op_sel_hi:[1,1,0] neg_lo:[0,0,1] neg_hi:[0,0,1]
	v_mul_f32_e32 v130, v131, v118
	v_pk_add_f32 v[18:19], v[18:19], v[134:135] neg_lo:[0,1] neg_hi:[0,1]
	s_delay_alu instid0(VALU_DEP_2) | instskip(NEXT) | instid1(VALU_DEP_1)
	v_pk_fma_f32 v[128:129], v[128:129], v[76:77], v[130:131] op_sel_hi:[1,1,0]
	v_mov_b32_e32 v133, v129
	ds_load_2addr_b64 v[128:131], v122 offset0:29 offset1:30
	v_pk_add_f32 v[70:71], v[70:71], v[132:133] neg_lo:[0,1] neg_hi:[0,1]
	s_wait_dscnt 0x0
	v_pk_mul_f32 v[132:133], v[128:129], v[120:121] op_sel:[0,1]
	s_delay_alu instid0(VALU_DEP_1) | instskip(SKIP_1) | instid1(VALU_DEP_1)
	v_pk_fma_f32 v[134:135], v[128:129], v[118:119], v[132:133] op_sel:[0,0,1] op_sel_hi:[1,1,0] neg_lo:[0,0,1] neg_hi:[0,0,1]
	v_pk_fma_f32 v[128:129], v[128:129], v[118:119], v[132:133] op_sel:[0,0,1] op_sel_hi:[1,0,0]
	v_mov_b32_e32 v135, v129
	v_pk_mul_f32 v[128:129], v[130:131], v[120:121] op_sel:[0,1]
	s_delay_alu instid0(VALU_DEP_1) | instskip(SKIP_1) | instid1(VALU_DEP_1)
	v_pk_fma_f32 v[132:133], v[130:131], v[118:119], v[128:129] op_sel:[0,0,1] op_sel_hi:[1,1,0] neg_lo:[0,0,1] neg_hi:[0,0,1]
	v_pk_fma_f32 v[128:129], v[130:131], v[118:119], v[128:129] op_sel:[0,0,1] op_sel_hi:[1,0,0]
	v_mov_b32_e32 v133, v129
	ds_load_2addr_b64 v[128:131], v122 offset0:31 offset1:32
	v_pk_add_f32 v[66:67], v[66:67], v[134:135] neg_lo:[0,1] neg_hi:[0,1]
	v_pk_add_f32 v[68:69], v[68:69], v[132:133] neg_lo:[0,1] neg_hi:[0,1]
	s_wait_dscnt 0x0
	v_pk_mul_f32 v[132:133], v[128:129], v[120:121] op_sel:[0,1]
	s_delay_alu instid0(VALU_DEP_1) | instskip(SKIP_1) | instid1(VALU_DEP_1)
	v_pk_fma_f32 v[134:135], v[128:129], v[118:119], v[132:133] op_sel:[0,0,1] op_sel_hi:[1,1,0] neg_lo:[0,0,1] neg_hi:[0,0,1]
	v_pk_fma_f32 v[128:129], v[128:129], v[118:119], v[132:133] op_sel:[0,0,1] op_sel_hi:[1,0,0]
	v_mov_b32_e32 v135, v129
	v_pk_mul_f32 v[128:129], v[130:131], v[120:121] op_sel:[0,1]
	s_delay_alu instid0(VALU_DEP_1) | instskip(SKIP_1) | instid1(VALU_DEP_1)
	v_pk_fma_f32 v[132:133], v[130:131], v[118:119], v[128:129] op_sel:[0,0,1] op_sel_hi:[1,1,0] neg_lo:[0,0,1] neg_hi:[0,0,1]
	v_pk_fma_f32 v[128:129], v[130:131], v[118:119], v[128:129] op_sel:[0,0,1] op_sel_hi:[1,0,0]
	v_mov_b32_e32 v133, v129
	ds_load_2addr_b64 v[128:131], v122 offset0:33 offset1:34
	v_pk_add_f32 v[16:17], v[16:17], v[134:135] neg_lo:[0,1] neg_hi:[0,1]
	v_pk_add_f32 v[64:65], v[64:65], v[132:133] neg_lo:[0,1] neg_hi:[0,1]
	s_wait_dscnt 0x0
	v_dual_mul_f32 v132, v129, v121 :: v_dual_mul_f32 v134, v129, v118
	s_delay_alu instid0(VALU_DEP_1) | instskip(NEXT) | instid1(VALU_DEP_2)
	v_pk_fma_f32 v[132:133], v[128:129], v[76:77], v[132:133] op_sel_hi:[1,1,0] neg_lo:[0,0,1] neg_hi:[0,0,1]
	v_pk_fma_f32 v[128:129], v[128:129], v[76:77], v[134:135] op_sel:[1,0,0] op_sel_hi:[0,1,0]
	s_delay_alu instid0(VALU_DEP_1) | instskip(SKIP_1) | instid1(VALU_DEP_2)
	v_mov_b32_e32 v133, v129
	v_pk_mul_f32 v[128:129], v[130:131], v[120:121] op_sel:[0,1]
	v_pk_add_f32 v[60:61], v[60:61], v[132:133] neg_lo:[0,1] neg_hi:[0,1]
	s_delay_alu instid0(VALU_DEP_2) | instskip(SKIP_1) | instid1(VALU_DEP_1)
	v_pk_fma_f32 v[132:133], v[130:131], v[118:119], v[128:129] op_sel:[0,0,1] op_sel_hi:[1,1,0] neg_lo:[0,0,1] neg_hi:[0,0,1]
	v_pk_fma_f32 v[128:129], v[130:131], v[118:119], v[128:129] op_sel:[0,0,1] op_sel_hi:[1,0,0]
	v_mov_b32_e32 v133, v129
	ds_load_2addr_b64 v[128:131], v122 offset0:35 offset1:36
	v_pk_add_f32 v[62:63], v[62:63], v[132:133] neg_lo:[0,1] neg_hi:[0,1]
	s_wait_dscnt 0x0
	v_pk_mul_f32 v[132:133], v[128:129], v[120:121] op_sel:[0,1]
	s_delay_alu instid0(VALU_DEP_1) | instskip(SKIP_1) | instid1(VALU_DEP_1)
	v_pk_fma_f32 v[134:135], v[128:129], v[118:119], v[132:133] op_sel:[0,0,1] op_sel_hi:[1,1,0] neg_lo:[0,0,1] neg_hi:[0,0,1]
	v_pk_fma_f32 v[128:129], v[128:129], v[118:119], v[132:133] op_sel:[0,0,1] op_sel_hi:[1,0,0]
	v_mov_b32_e32 v135, v129
	v_pk_mul_f32 v[128:129], v[130:131], v[120:121] op_sel:[0,1]
	s_delay_alu instid0(VALU_DEP_2) | instskip(NEXT) | instid1(VALU_DEP_2)
	v_pk_add_f32 v[14:15], v[14:15], v[134:135] neg_lo:[0,1] neg_hi:[0,1]
	v_pk_fma_f32 v[132:133], v[130:131], v[118:119], v[128:129] op_sel:[0,0,1] op_sel_hi:[1,1,0] neg_lo:[0,0,1] neg_hi:[0,0,1]
	v_pk_fma_f32 v[128:129], v[130:131], v[118:119], v[128:129] op_sel:[0,0,1] op_sel_hi:[1,0,0]
	s_delay_alu instid0(VALU_DEP_1) | instskip(SKIP_4) | instid1(VALU_DEP_1)
	v_mov_b32_e32 v133, v129
	ds_load_2addr_b64 v[128:131], v122 offset0:37 offset1:38
	v_pk_add_f32 v[58:59], v[58:59], v[132:133] neg_lo:[0,1] neg_hi:[0,1]
	s_wait_dscnt 0x0
	v_pk_mul_f32 v[132:133], v[128:129], v[120:121] op_sel:[0,1]
	v_pk_fma_f32 v[134:135], v[128:129], v[118:119], v[132:133] op_sel:[0,0,1] op_sel_hi:[1,1,0] neg_lo:[0,0,1] neg_hi:[0,0,1]
	v_pk_fma_f32 v[128:129], v[128:129], v[118:119], v[132:133] op_sel:[0,0,1] op_sel_hi:[1,0,0]
	v_dual_mul_f32 v132, v131, v121 :: v_dual_mov_b32 v128, v131
	s_delay_alu instid0(VALU_DEP_2) | instskip(NEXT) | instid1(VALU_DEP_2)
	v_dual_mov_b32 v135, v129 :: v_dual_mov_b32 v129, v130
	v_pk_fma_f32 v[132:133], v[130:131], v[76:77], v[132:133] op_sel_hi:[1,1,0] neg_lo:[0,0,1] neg_hi:[0,0,1]
	v_mul_f32_e32 v130, v131, v118
	s_delay_alu instid0(VALU_DEP_3) | instskip(NEXT) | instid1(VALU_DEP_2)
	v_pk_add_f32 v[54:55], v[54:55], v[134:135] neg_lo:[0,1] neg_hi:[0,1]
	v_pk_fma_f32 v[128:129], v[128:129], v[76:77], v[130:131] op_sel_hi:[1,1,0]
	s_delay_alu instid0(VALU_DEP_1) | instskip(SKIP_4) | instid1(VALU_DEP_1)
	v_mov_b32_e32 v133, v129
	ds_load_2addr_b64 v[128:131], v122 offset0:39 offset1:40
	v_pk_add_f32 v[56:57], v[56:57], v[132:133] neg_lo:[0,1] neg_hi:[0,1]
	s_wait_dscnt 0x0
	v_pk_mul_f32 v[132:133], v[128:129], v[120:121] op_sel:[0,1]
	v_pk_fma_f32 v[134:135], v[128:129], v[118:119], v[132:133] op_sel:[0,0,1] op_sel_hi:[1,1,0] neg_lo:[0,0,1] neg_hi:[0,0,1]
	v_pk_fma_f32 v[128:129], v[128:129], v[118:119], v[132:133] op_sel:[0,0,1] op_sel_hi:[1,0,0]
	s_delay_alu instid0(VALU_DEP_1) | instskip(SKIP_1) | instid1(VALU_DEP_1)
	v_mov_b32_e32 v135, v129
	v_pk_mul_f32 v[128:129], v[130:131], v[120:121] op_sel:[0,1]
	v_pk_fma_f32 v[132:133], v[130:131], v[118:119], v[128:129] op_sel:[0,0,1] op_sel_hi:[1,1,0] neg_lo:[0,0,1] neg_hi:[0,0,1]
	v_pk_fma_f32 v[128:129], v[130:131], v[118:119], v[128:129] op_sel:[0,0,1] op_sel_hi:[1,0,0]
	s_delay_alu instid0(VALU_DEP_1)
	v_mov_b32_e32 v133, v129
	ds_load_2addr_b64 v[128:131], v122 offset0:41 offset1:42
	v_pk_add_f32 v[12:13], v[12:13], v[134:135] neg_lo:[0,1] neg_hi:[0,1]
	v_pk_add_f32 v[52:53], v[52:53], v[132:133] neg_lo:[0,1] neg_hi:[0,1]
	s_wait_dscnt 0x0
	v_pk_mul_f32 v[132:133], v[128:129], v[120:121] op_sel:[0,1]
	s_delay_alu instid0(VALU_DEP_1) | instskip(SKIP_1) | instid1(VALU_DEP_1)
	v_pk_fma_f32 v[134:135], v[128:129], v[118:119], v[132:133] op_sel:[0,0,1] op_sel_hi:[1,1,0] neg_lo:[0,0,1] neg_hi:[0,0,1]
	v_pk_fma_f32 v[128:129], v[128:129], v[118:119], v[132:133] op_sel:[0,0,1] op_sel_hi:[1,0,0]
	v_mov_b32_e32 v135, v129
	v_pk_mul_f32 v[128:129], v[130:131], v[120:121] op_sel:[0,1]
	s_delay_alu instid0(VALU_DEP_1) | instskip(SKIP_1) | instid1(VALU_DEP_1)
	v_pk_fma_f32 v[132:133], v[130:131], v[118:119], v[128:129] op_sel:[0,0,1] op_sel_hi:[1,1,0] neg_lo:[0,0,1] neg_hi:[0,0,1]
	v_pk_fma_f32 v[128:129], v[130:131], v[118:119], v[128:129] op_sel:[0,0,1] op_sel_hi:[1,0,0]
	v_mov_b32_e32 v133, v129
	ds_load_2addr_b64 v[128:131], v122 offset0:43 offset1:44
	v_pk_add_f32 v[48:49], v[48:49], v[134:135] neg_lo:[0,1] neg_hi:[0,1]
	v_pk_add_f32 v[50:51], v[50:51], v[132:133] neg_lo:[0,1] neg_hi:[0,1]
	s_wait_dscnt 0x0
	v_dual_mul_f32 v132, v129, v121 :: v_dual_mul_f32 v134, v129, v118
	s_delay_alu instid0(VALU_DEP_1) | instskip(NEXT) | instid1(VALU_DEP_2)
	v_pk_fma_f32 v[132:133], v[128:129], v[76:77], v[132:133] op_sel_hi:[1,1,0] neg_lo:[0,0,1] neg_hi:[0,0,1]
	v_pk_fma_f32 v[128:129], v[128:129], v[76:77], v[134:135] op_sel:[1,0,0] op_sel_hi:[0,1,0]
	s_delay_alu instid0(VALU_DEP_1) | instskip(SKIP_1) | instid1(VALU_DEP_2)
	v_mov_b32_e32 v133, v129
	v_pk_mul_f32 v[128:129], v[130:131], v[120:121] op_sel:[0,1]
	v_pk_add_f32 v[10:11], v[10:11], v[132:133] neg_lo:[0,1] neg_hi:[0,1]
	s_delay_alu instid0(VALU_DEP_2) | instskip(SKIP_1) | instid1(VALU_DEP_1)
	v_pk_fma_f32 v[132:133], v[130:131], v[118:119], v[128:129] op_sel:[0,0,1] op_sel_hi:[1,1,0] neg_lo:[0,0,1] neg_hi:[0,0,1]
	v_pk_fma_f32 v[128:129], v[130:131], v[118:119], v[128:129] op_sel:[0,0,1] op_sel_hi:[1,0,0]
	v_mov_b32_e32 v133, v129
	ds_load_2addr_b64 v[128:131], v122 offset0:45 offset1:46
	v_pk_add_f32 v[46:47], v[46:47], v[132:133] neg_lo:[0,1] neg_hi:[0,1]
	s_wait_dscnt 0x0
	v_pk_mul_f32 v[132:133], v[128:129], v[120:121] op_sel:[0,1]
	s_delay_alu instid0(VALU_DEP_1) | instskip(SKIP_1) | instid1(VALU_DEP_1)
	v_pk_fma_f32 v[134:135], v[128:129], v[118:119], v[132:133] op_sel:[0,0,1] op_sel_hi:[1,1,0] neg_lo:[0,0,1] neg_hi:[0,0,1]
	v_pk_fma_f32 v[128:129], v[128:129], v[118:119], v[132:133] op_sel:[0,0,1] op_sel_hi:[1,0,0]
	v_mov_b32_e32 v135, v129
	v_pk_mul_f32 v[128:129], v[130:131], v[120:121] op_sel:[0,1]
	s_delay_alu instid0(VALU_DEP_2) | instskip(NEXT) | instid1(VALU_DEP_2)
	v_pk_add_f32 v[42:43], v[42:43], v[134:135] neg_lo:[0,1] neg_hi:[0,1]
	v_pk_fma_f32 v[132:133], v[130:131], v[118:119], v[128:129] op_sel:[0,0,1] op_sel_hi:[1,1,0] neg_lo:[0,0,1] neg_hi:[0,0,1]
	v_pk_fma_f32 v[128:129], v[130:131], v[118:119], v[128:129] op_sel:[0,0,1] op_sel_hi:[1,0,0]
	s_delay_alu instid0(VALU_DEP_1) | instskip(SKIP_4) | instid1(VALU_DEP_1)
	v_mov_b32_e32 v133, v129
	ds_load_2addr_b64 v[128:131], v122 offset0:47 offset1:48
	v_pk_add_f32 v[44:45], v[44:45], v[132:133] neg_lo:[0,1] neg_hi:[0,1]
	s_wait_dscnt 0x0
	v_pk_mul_f32 v[132:133], v[128:129], v[120:121] op_sel:[0,1]
	v_pk_fma_f32 v[134:135], v[128:129], v[118:119], v[132:133] op_sel:[0,0,1] op_sel_hi:[1,1,0] neg_lo:[0,0,1] neg_hi:[0,0,1]
	v_pk_fma_f32 v[128:129], v[128:129], v[118:119], v[132:133] op_sel:[0,0,1] op_sel_hi:[1,0,0]
	v_dual_mul_f32 v132, v131, v121 :: v_dual_mov_b32 v128, v131
	s_delay_alu instid0(VALU_DEP_2) | instskip(NEXT) | instid1(VALU_DEP_2)
	v_dual_mov_b32 v135, v129 :: v_dual_mov_b32 v129, v130
	v_pk_fma_f32 v[132:133], v[130:131], v[76:77], v[132:133] op_sel_hi:[1,1,0] neg_lo:[0,0,1] neg_hi:[0,0,1]
	v_mul_f32_e32 v130, v131, v118
	s_delay_alu instid0(VALU_DEP_3) | instskip(NEXT) | instid1(VALU_DEP_2)
	v_pk_add_f32 v[6:7], v[6:7], v[134:135] neg_lo:[0,1] neg_hi:[0,1]
	v_pk_fma_f32 v[128:129], v[128:129], v[76:77], v[130:131] op_sel_hi:[1,1,0]
	s_delay_alu instid0(VALU_DEP_1) | instskip(SKIP_4) | instid1(VALU_DEP_1)
	v_mov_b32_e32 v133, v129
	ds_load_2addr_b64 v[128:131], v122 offset0:49 offset1:50
	v_pk_add_f32 v[34:35], v[34:35], v[132:133] neg_lo:[0,1] neg_hi:[0,1]
	s_wait_dscnt 0x0
	v_pk_mul_f32 v[132:133], v[128:129], v[120:121] op_sel:[0,1]
	v_pk_fma_f32 v[134:135], v[128:129], v[118:119], v[132:133] op_sel:[0,0,1] op_sel_hi:[1,1,0] neg_lo:[0,0,1] neg_hi:[0,0,1]
	v_pk_fma_f32 v[128:129], v[128:129], v[118:119], v[132:133] op_sel:[0,0,1] op_sel_hi:[1,0,0]
	s_delay_alu instid0(VALU_DEP_1) | instskip(SKIP_1) | instid1(VALU_DEP_1)
	v_mov_b32_e32 v135, v129
	v_pk_mul_f32 v[128:129], v[130:131], v[120:121] op_sel:[0,1]
	v_pk_fma_f32 v[132:133], v[130:131], v[118:119], v[128:129] op_sel:[0,0,1] op_sel_hi:[1,1,0] neg_lo:[0,0,1] neg_hi:[0,0,1]
	v_pk_fma_f32 v[128:129], v[130:131], v[118:119], v[128:129] op_sel:[0,0,1] op_sel_hi:[1,0,0]
	s_delay_alu instid0(VALU_DEP_1)
	v_mov_b32_e32 v133, v129
	ds_load_2addr_b64 v[128:131], v122 offset0:51 offset1:52
	v_pk_add_f32 v[28:29], v[28:29], v[134:135] neg_lo:[0,1] neg_hi:[0,1]
	v_pk_add_f32 v[32:33], v[32:33], v[132:133] neg_lo:[0,1] neg_hi:[0,1]
	s_wait_dscnt 0x0
	v_pk_mul_f32 v[132:133], v[128:129], v[120:121] op_sel:[0,1]
	s_delay_alu instid0(VALU_DEP_1) | instskip(SKIP_1) | instid1(VALU_DEP_1)
	v_pk_fma_f32 v[134:135], v[128:129], v[118:119], v[132:133] op_sel:[0,0,1] op_sel_hi:[1,1,0] neg_lo:[0,0,1] neg_hi:[0,0,1]
	v_pk_fma_f32 v[128:129], v[128:129], v[118:119], v[132:133] op_sel:[0,0,1] op_sel_hi:[1,0,0]
	v_mov_b32_e32 v135, v129
	v_pk_mul_f32 v[128:129], v[130:131], v[120:121] op_sel:[0,1]
	s_delay_alu instid0(VALU_DEP_1) | instskip(SKIP_1) | instid1(VALU_DEP_1)
	v_pk_fma_f32 v[132:133], v[130:131], v[118:119], v[128:129] op_sel:[0,0,1] op_sel_hi:[1,1,0] neg_lo:[0,0,1] neg_hi:[0,0,1]
	v_pk_fma_f32 v[128:129], v[130:131], v[118:119], v[128:129] op_sel:[0,0,1] op_sel_hi:[1,0,0]
	v_mov_b32_e32 v133, v129
	ds_load_2addr_b64 v[128:131], v122 offset0:53 offset1:54
	v_pk_add_f32 v[8:9], v[8:9], v[134:135] neg_lo:[0,1] neg_hi:[0,1]
	v_pk_add_f32 v[26:27], v[26:27], v[132:133] neg_lo:[0,1] neg_hi:[0,1]
	s_wait_dscnt 0x0
	v_dual_mul_f32 v132, v129, v121 :: v_dual_mul_f32 v134, v129, v118
	s_delay_alu instid0(VALU_DEP_1) | instskip(NEXT) | instid1(VALU_DEP_2)
	v_pk_fma_f32 v[132:133], v[128:129], v[76:77], v[132:133] op_sel_hi:[1,1,0] neg_lo:[0,0,1] neg_hi:[0,0,1]
	v_pk_fma_f32 v[128:129], v[128:129], v[76:77], v[134:135] op_sel:[1,0,0] op_sel_hi:[0,1,0]
	s_delay_alu instid0(VALU_DEP_1) | instskip(SKIP_1) | instid1(VALU_DEP_2)
	v_mov_b32_e32 v133, v129
	v_pk_mul_f32 v[128:129], v[130:131], v[120:121] op_sel:[0,1]
	v_pk_add_f32 v[22:23], v[22:23], v[132:133] neg_lo:[0,1] neg_hi:[0,1]
	s_delay_alu instid0(VALU_DEP_2) | instskip(SKIP_1) | instid1(VALU_DEP_1)
	v_pk_fma_f32 v[132:133], v[130:131], v[118:119], v[128:129] op_sel:[0,0,1] op_sel_hi:[1,1,0] neg_lo:[0,0,1] neg_hi:[0,0,1]
	v_pk_fma_f32 v[128:129], v[130:131], v[118:119], v[128:129] op_sel:[0,0,1] op_sel_hi:[1,0,0]
	v_mov_b32_e32 v133, v129
	ds_load_b64 v[128:129], v122 offset:440
	v_pk_add_f32 v[20:21], v[20:21], v[132:133] neg_lo:[0,1] neg_hi:[0,1]
	s_wait_dscnt 0x0
	v_pk_mul_f32 v[120:121], v[128:129], v[120:121] op_sel:[0,1]
	s_delay_alu instid0(VALU_DEP_1) | instskip(SKIP_1) | instid1(VALU_DEP_1)
	v_pk_fma_f32 v[130:131], v[128:129], v[118:119], v[120:121] op_sel:[0,0,1] op_sel_hi:[1,1,0] neg_lo:[0,0,1] neg_hi:[0,0,1]
	v_pk_fma_f32 v[118:119], v[128:129], v[118:119], v[120:121] op_sel:[0,0,1] op_sel_hi:[1,0,0]
	v_mov_b32_e32 v131, v119
	s_delay_alu instid0(VALU_DEP_1)
	v_pk_add_f32 v[116:117], v[116:117], v[130:131] neg_lo:[0,1] neg_hi:[0,1]
.LBB110_524:
	s_or_b32 exec_lo, exec_lo, s0
	v_lshl_add_u32 v118, v126, 3, v122
	s_barrier_signal -1
	s_barrier_wait -1
	ds_store_b64 v118, v[72:73]
	s_wait_dscnt 0x0
	s_barrier_signal -1
	s_barrier_wait -1
	ds_load_b64 v[120:121], v122 offset:200
	v_mov_b32_e32 v118, 25
	s_cmp_lt_i32 s18, 27
	s_cbranch_scc1 .LBB110_527
; %bb.525:
	v_add3_u32 v119, v123, 0, 0xd0
	v_mov_b32_e32 v118, 25
	s_mov_b32 s0, 26
.LBB110_526:                            ; =>This Inner Loop Header: Depth=1
	ds_load_b64 v[128:129], v119
	s_wait_dscnt 0x1
	v_cmp_gt_f32_e32 vcc_lo, 0, v120
	v_cndmask_b32_e64 v130, v120, -v120, vcc_lo
	v_cmp_gt_f32_e32 vcc_lo, 0, v121
	v_cndmask_b32_e64 v132, v121, -v121, vcc_lo
	s_wait_dscnt 0x0
	v_cmp_gt_f32_e32 vcc_lo, 0, v128
	v_cndmask_b32_e64 v131, v128, -v128, vcc_lo
	v_cmp_gt_f32_e32 vcc_lo, 0, v129
	v_cndmask_b32_e64 v133, v129, -v129, vcc_lo
	s_delay_alu instid0(VALU_DEP_1) | instskip(NEXT) | instid1(VALU_DEP_1)
	v_pk_add_f32 v[130:131], v[130:131], v[132:133]
	v_cmp_lt_f32_e32 vcc_lo, v130, v131
	v_dual_add_nc_u32 v119, 8, v119 :: v_dual_cndmask_b32 v121, v121, v129, vcc_lo
	v_cndmask_b32_e32 v120, v120, v128, vcc_lo
	v_cndmask_b32_e64 v118, v118, s0, vcc_lo
	s_add_co_i32 s0, s0, 1
	s_delay_alu instid0(SALU_CYCLE_1)
	s_cmp_lg_u32 s18, s0
	s_cbranch_scc1 .LBB110_526
.LBB110_527:
	s_wait_dscnt 0x0
	v_cmp_eq_f32_e32 vcc_lo, 0, v120
	v_cmp_eq_f32_e64 s0, 0, v121
	s_and_b32 s0, vcc_lo, s0
	s_delay_alu instid0(SALU_CYCLE_1) | instskip(NEXT) | instid1(SALU_CYCLE_1)
	s_and_saveexec_b32 s1, s0
	s_xor_b32 s0, exec_lo, s1
; %bb.528:
	v_cmp_ne_u32_e32 vcc_lo, 0, v124
	v_cndmask_b32_e32 v124, 26, v124, vcc_lo
; %bb.529:
	s_and_not1_saveexec_b32 s0, s0
	s_cbranch_execz .LBB110_535
; %bb.530:
	v_cmp_ngt_f32_e64 s1, |v120|, |v121|
	s_and_saveexec_b32 s12, s1
	s_delay_alu instid0(SALU_CYCLE_1)
	s_xor_b32 s1, exec_lo, s12
	s_cbranch_execz .LBB110_532
; %bb.531:
	v_div_scale_f32 v119, null, v121, v121, v120
	v_div_scale_f32 v129, vcc_lo, v120, v121, v120
	s_delay_alu instid0(VALU_DEP_2) | instskip(SKIP_1) | instid1(TRANS32_DEP_1)
	v_rcp_f32_e32 v127, v119
	v_nop
	v_fma_f32 v128, -v119, v127, 1.0
	s_delay_alu instid0(VALU_DEP_1) | instskip(NEXT) | instid1(VALU_DEP_1)
	v_fmac_f32_e32 v127, v128, v127
	v_mul_f32_e32 v128, v129, v127
	s_delay_alu instid0(VALU_DEP_1) | instskip(NEXT) | instid1(VALU_DEP_1)
	v_fma_f32 v130, -v119, v128, v129
	v_fmac_f32_e32 v128, v130, v127
	s_delay_alu instid0(VALU_DEP_1) | instskip(NEXT) | instid1(VALU_DEP_1)
	v_fma_f32 v119, -v119, v128, v129
	v_div_fmas_f32 v119, v119, v127, v128
	s_delay_alu instid0(VALU_DEP_1) | instskip(NEXT) | instid1(VALU_DEP_1)
	v_div_fixup_f32 v119, v119, v121, v120
	v_fmac_f32_e32 v121, v120, v119
	s_delay_alu instid0(VALU_DEP_1) | instskip(SKIP_1) | instid1(VALU_DEP_2)
	v_div_scale_f32 v120, null, v121, v121, 1.0
	v_div_scale_f32 v129, vcc_lo, 1.0, v121, 1.0
	v_rcp_f32_e32 v127, v120
	v_nop
	s_delay_alu instid0(TRANS32_DEP_1) | instskip(NEXT) | instid1(VALU_DEP_1)
	v_fma_f32 v128, -v120, v127, 1.0
	v_fmac_f32_e32 v127, v128, v127
	s_delay_alu instid0(VALU_DEP_1) | instskip(NEXT) | instid1(VALU_DEP_1)
	v_mul_f32_e32 v128, v129, v127
	v_fma_f32 v130, -v120, v128, v129
	s_delay_alu instid0(VALU_DEP_1) | instskip(NEXT) | instid1(VALU_DEP_1)
	v_fmac_f32_e32 v128, v130, v127
	v_fma_f32 v120, -v120, v128, v129
	s_delay_alu instid0(VALU_DEP_1) | instskip(NEXT) | instid1(VALU_DEP_1)
	v_div_fmas_f32 v120, v120, v127, v128
	v_div_fixup_f32 v121, v120, v121, 1.0
	s_delay_alu instid0(VALU_DEP_1)
	v_mul_f32_e32 v120, v119, v121
	v_xor_b32_e32 v121, 0x80000000, v121
.LBB110_532:
	s_and_not1_saveexec_b32 s1, s1
	s_cbranch_execz .LBB110_534
; %bb.533:
	s_delay_alu instid0(VALU_DEP_1) | instskip(SKIP_1) | instid1(VALU_DEP_2)
	v_div_scale_f32 v119, null, v120, v120, v121
	v_div_scale_f32 v129, vcc_lo, v121, v120, v121
	v_rcp_f32_e32 v127, v119
	v_nop
	s_delay_alu instid0(TRANS32_DEP_1) | instskip(NEXT) | instid1(VALU_DEP_1)
	v_fma_f32 v128, -v119, v127, 1.0
	v_fmac_f32_e32 v127, v128, v127
	s_delay_alu instid0(VALU_DEP_1) | instskip(NEXT) | instid1(VALU_DEP_1)
	v_mul_f32_e32 v128, v129, v127
	v_fma_f32 v130, -v119, v128, v129
	s_delay_alu instid0(VALU_DEP_1) | instskip(NEXT) | instid1(VALU_DEP_1)
	v_fmac_f32_e32 v128, v130, v127
	v_fma_f32 v119, -v119, v128, v129
	s_delay_alu instid0(VALU_DEP_1) | instskip(NEXT) | instid1(VALU_DEP_1)
	v_div_fmas_f32 v119, v119, v127, v128
	v_div_fixup_f32 v119, v119, v120, v121
	s_delay_alu instid0(VALU_DEP_1) | instskip(NEXT) | instid1(VALU_DEP_1)
	v_fmac_f32_e32 v120, v121, v119
	v_div_scale_f32 v121, null, v120, v120, 1.0
	s_delay_alu instid0(VALU_DEP_1) | instskip(SKIP_1) | instid1(TRANS32_DEP_1)
	v_rcp_f32_e32 v127, v121
	v_nop
	v_fma_f32 v128, -v121, v127, 1.0
	s_delay_alu instid0(VALU_DEP_1) | instskip(SKIP_1) | instid1(VALU_DEP_1)
	v_fmac_f32_e32 v127, v128, v127
	v_div_scale_f32 v128, vcc_lo, 1.0, v120, 1.0
	v_mul_f32_e32 v129, v128, v127
	s_delay_alu instid0(VALU_DEP_1) | instskip(NEXT) | instid1(VALU_DEP_1)
	v_fma_f32 v130, -v121, v129, v128
	v_fmac_f32_e32 v129, v130, v127
	s_delay_alu instid0(VALU_DEP_1) | instskip(NEXT) | instid1(VALU_DEP_1)
	v_fma_f32 v121, -v121, v129, v128
	v_div_fmas_f32 v121, v121, v127, v129
	s_delay_alu instid0(VALU_DEP_1) | instskip(NEXT) | instid1(VALU_DEP_1)
	v_div_fixup_f32 v120, v121, v120, 1.0
	v_mul_f32_e64 v121, v119, -v120
.LBB110_534:
	s_or_b32 exec_lo, exec_lo, s1
.LBB110_535:
	s_delay_alu instid0(SALU_CYCLE_1) | instskip(NEXT) | instid1(SALU_CYCLE_1)
	s_or_b32 exec_lo, exec_lo, s0
	s_mov_b32 s0, exec_lo
	v_cmpx_ne_u32_e64 v126, v118
	s_xor_b32 s0, exec_lo, s0
	s_cbranch_execz .LBB110_541
; %bb.536:
	s_mov_b32 s1, exec_lo
	v_cmpx_eq_u32_e32 25, v126
	s_cbranch_execz .LBB110_540
; %bb.537:
	v_cmp_ne_u32_e32 vcc_lo, 25, v118
	s_xor_b32 s12, s16, -1
	s_delay_alu instid0(SALU_CYCLE_1) | instskip(NEXT) | instid1(SALU_CYCLE_1)
	s_and_b32 s13, s12, vcc_lo
	s_and_saveexec_b32 s12, s13
	s_cbranch_execz .LBB110_539
; %bb.538:
	v_ashrrev_i32_e32 v119, 31, v118
	s_delay_alu instid0(VALU_DEP_1)
	v_lshl_add_u64 v[126:127], v[118:119], 2, v[4:5]
	s_clause 0x1
	global_load_b32 v119, v[126:127], off
	global_load_b32 v125, v[4:5], off offset:100
	s_wait_loadcnt 0x1
	global_store_b32 v[4:5], v119, off offset:100
	s_wait_loadcnt 0x0
	global_store_b32 v[126:127], v125, off
.LBB110_539:
	s_wait_xcnt 0x0
	s_or_b32 exec_lo, exec_lo, s12
	v_dual_mov_b32 v126, v118 :: v_dual_mov_b32 v125, v118
.LBB110_540:
	s_or_b32 exec_lo, exec_lo, s1
.LBB110_541:
	s_and_not1_saveexec_b32 s0, s0
	s_cbranch_execz .LBB110_543
; %bb.542:
	v_dual_mov_b32 v118, v74 :: v_dual_mov_b32 v119, v75
	v_dual_mov_b32 v126, v18 :: v_dual_mov_b32 v127, v19
	ds_store_2addr_b64 v122, v[118:119], v[126:127] offset0:26 offset1:27
	v_dual_mov_b32 v118, v70 :: v_dual_mov_b32 v119, v71
	v_dual_mov_b32 v126, v66 :: v_dual_mov_b32 v127, v67
	ds_store_2addr_b64 v122, v[118:119], v[126:127] offset0:28 offset1:29
	;; [unrolled: 3-line block ×14, first 2 shown]
	v_dual_mov_b32 v118, v20 :: v_dual_mov_b32 v119, v21
	v_mov_b32_e32 v126, 25
	ds_store_2addr_b64 v122, v[118:119], v[116:117] offset0:54 offset1:55
.LBB110_543:
	s_or_b32 exec_lo, exec_lo, s0
	s_delay_alu instid0(SALU_CYCLE_1)
	s_mov_b32 s0, exec_lo
	s_wait_storecnt_dscnt 0x0
	s_barrier_signal -1
	s_barrier_wait -1
	v_cmpx_lt_i32_e32 25, v126
	s_cbranch_execz .LBB110_545
; %bb.544:
	v_pk_mul_f32 v[128:129], v[120:121], v[72:73] op_sel:[1,1] op_sel_hi:[0,1]
	s_delay_alu instid0(VALU_DEP_1)
	v_pk_fma_f32 v[118:119], v[120:121], v[72:73], v[128:129] op_sel_hi:[1,0,1] neg_lo:[0,0,1] neg_hi:[0,0,1]
	v_pk_fma_f32 v[120:121], v[120:121], v[72:73], v[128:129] op_sel_hi:[1,0,1]
	ds_load_2addr_b64 v[128:131], v122 offset0:26 offset1:27
	v_dual_mov_b32 v72, v118 :: v_dual_mov_b32 v73, v121
	s_wait_dscnt 0x0
	v_pk_mul_f32 v[132:133], v[128:129], v[120:121] op_sel:[0,1]
	s_delay_alu instid0(VALU_DEP_1) | instskip(SKIP_1) | instid1(VALU_DEP_1)
	v_pk_fma_f32 v[134:135], v[128:129], v[118:119], v[132:133] op_sel:[0,0,1] op_sel_hi:[1,1,0] neg_lo:[0,0,1] neg_hi:[0,0,1]
	v_pk_fma_f32 v[128:129], v[128:129], v[118:119], v[132:133] op_sel:[0,0,1] op_sel_hi:[1,0,0]
	v_mov_b32_e32 v135, v129
	v_pk_mul_f32 v[128:129], v[130:131], v[120:121] op_sel:[0,1]
	s_delay_alu instid0(VALU_DEP_1) | instskip(SKIP_1) | instid1(VALU_DEP_1)
	v_pk_fma_f32 v[132:133], v[130:131], v[118:119], v[128:129] op_sel:[0,0,1] op_sel_hi:[1,1,0] neg_lo:[0,0,1] neg_hi:[0,0,1]
	v_pk_fma_f32 v[128:129], v[130:131], v[118:119], v[128:129] op_sel:[0,0,1] op_sel_hi:[1,0,0]
	v_mov_b32_e32 v133, v129
	ds_load_2addr_b64 v[128:131], v122 offset0:28 offset1:29
	v_pk_add_f32 v[74:75], v[74:75], v[134:135] neg_lo:[0,1] neg_hi:[0,1]
	v_pk_add_f32 v[18:19], v[18:19], v[132:133] neg_lo:[0,1] neg_hi:[0,1]
	s_wait_dscnt 0x0
	v_pk_mul_f32 v[132:133], v[128:129], v[120:121] op_sel:[0,1]
	s_delay_alu instid0(VALU_DEP_1) | instskip(SKIP_2) | instid1(VALU_DEP_2)
	v_pk_fma_f32 v[134:135], v[128:129], v[118:119], v[132:133] op_sel:[0,0,1] op_sel_hi:[1,1,0] neg_lo:[0,0,1] neg_hi:[0,0,1]
	v_pk_fma_f32 v[128:129], v[128:129], v[118:119], v[132:133] op_sel:[0,0,1] op_sel_hi:[1,0,0]
	v_dual_mul_f32 v132, v131, v121 :: v_dual_mov_b32 v128, v131
	v_dual_mov_b32 v135, v129 :: v_dual_mov_b32 v129, v130
	s_delay_alu instid0(VALU_DEP_2) | instskip(SKIP_1) | instid1(VALU_DEP_3)
	v_pk_fma_f32 v[132:133], v[130:131], v[72:73], v[132:133] op_sel_hi:[1,1,0] neg_lo:[0,0,1] neg_hi:[0,0,1]
	v_mul_f32_e32 v130, v131, v118
	v_pk_add_f32 v[70:71], v[70:71], v[134:135] neg_lo:[0,1] neg_hi:[0,1]
	s_delay_alu instid0(VALU_DEP_2) | instskip(NEXT) | instid1(VALU_DEP_1)
	v_pk_fma_f32 v[128:129], v[128:129], v[72:73], v[130:131] op_sel_hi:[1,1,0]
	v_mov_b32_e32 v133, v129
	ds_load_2addr_b64 v[128:131], v122 offset0:30 offset1:31
	v_pk_add_f32 v[66:67], v[66:67], v[132:133] neg_lo:[0,1] neg_hi:[0,1]
	s_wait_dscnt 0x0
	v_pk_mul_f32 v[132:133], v[128:129], v[120:121] op_sel:[0,1]
	s_delay_alu instid0(VALU_DEP_1) | instskip(SKIP_1) | instid1(VALU_DEP_1)
	v_pk_fma_f32 v[134:135], v[128:129], v[118:119], v[132:133] op_sel:[0,0,1] op_sel_hi:[1,1,0] neg_lo:[0,0,1] neg_hi:[0,0,1]
	v_pk_fma_f32 v[128:129], v[128:129], v[118:119], v[132:133] op_sel:[0,0,1] op_sel_hi:[1,0,0]
	v_mov_b32_e32 v135, v129
	v_pk_mul_f32 v[128:129], v[130:131], v[120:121] op_sel:[0,1]
	s_delay_alu instid0(VALU_DEP_1) | instskip(SKIP_1) | instid1(VALU_DEP_1)
	v_pk_fma_f32 v[132:133], v[130:131], v[118:119], v[128:129] op_sel:[0,0,1] op_sel_hi:[1,1,0] neg_lo:[0,0,1] neg_hi:[0,0,1]
	v_pk_fma_f32 v[128:129], v[130:131], v[118:119], v[128:129] op_sel:[0,0,1] op_sel_hi:[1,0,0]
	v_mov_b32_e32 v133, v129
	ds_load_2addr_b64 v[128:131], v122 offset0:32 offset1:33
	v_pk_add_f32 v[68:69], v[68:69], v[134:135] neg_lo:[0,1] neg_hi:[0,1]
	v_pk_add_f32 v[16:17], v[16:17], v[132:133] neg_lo:[0,1] neg_hi:[0,1]
	s_wait_dscnt 0x0
	v_pk_mul_f32 v[132:133], v[128:129], v[120:121] op_sel:[0,1]
	s_delay_alu instid0(VALU_DEP_1) | instskip(SKIP_1) | instid1(VALU_DEP_1)
	v_pk_fma_f32 v[134:135], v[128:129], v[118:119], v[132:133] op_sel:[0,0,1] op_sel_hi:[1,1,0] neg_lo:[0,0,1] neg_hi:[0,0,1]
	v_pk_fma_f32 v[128:129], v[128:129], v[118:119], v[132:133] op_sel:[0,0,1] op_sel_hi:[1,0,0]
	v_mov_b32_e32 v135, v129
	v_pk_mul_f32 v[128:129], v[130:131], v[120:121] op_sel:[0,1]
	s_delay_alu instid0(VALU_DEP_1) | instskip(SKIP_1) | instid1(VALU_DEP_1)
	v_pk_fma_f32 v[132:133], v[130:131], v[118:119], v[128:129] op_sel:[0,0,1] op_sel_hi:[1,1,0] neg_lo:[0,0,1] neg_hi:[0,0,1]
	v_pk_fma_f32 v[128:129], v[130:131], v[118:119], v[128:129] op_sel:[0,0,1] op_sel_hi:[1,0,0]
	v_mov_b32_e32 v133, v129
	ds_load_2addr_b64 v[128:131], v122 offset0:34 offset1:35
	v_pk_add_f32 v[64:65], v[64:65], v[134:135] neg_lo:[0,1] neg_hi:[0,1]
	v_pk_add_f32 v[60:61], v[60:61], v[132:133] neg_lo:[0,1] neg_hi:[0,1]
	s_wait_dscnt 0x0
	v_dual_mul_f32 v132, v129, v121 :: v_dual_mul_f32 v134, v129, v118
	s_delay_alu instid0(VALU_DEP_1) | instskip(NEXT) | instid1(VALU_DEP_2)
	v_pk_fma_f32 v[132:133], v[128:129], v[72:73], v[132:133] op_sel_hi:[1,1,0] neg_lo:[0,0,1] neg_hi:[0,0,1]
	v_pk_fma_f32 v[128:129], v[128:129], v[72:73], v[134:135] op_sel:[1,0,0] op_sel_hi:[0,1,0]
	s_delay_alu instid0(VALU_DEP_1) | instskip(SKIP_1) | instid1(VALU_DEP_2)
	v_mov_b32_e32 v133, v129
	v_pk_mul_f32 v[128:129], v[130:131], v[120:121] op_sel:[0,1]
	v_pk_add_f32 v[62:63], v[62:63], v[132:133] neg_lo:[0,1] neg_hi:[0,1]
	s_delay_alu instid0(VALU_DEP_2) | instskip(SKIP_1) | instid1(VALU_DEP_1)
	v_pk_fma_f32 v[132:133], v[130:131], v[118:119], v[128:129] op_sel:[0,0,1] op_sel_hi:[1,1,0] neg_lo:[0,0,1] neg_hi:[0,0,1]
	v_pk_fma_f32 v[128:129], v[130:131], v[118:119], v[128:129] op_sel:[0,0,1] op_sel_hi:[1,0,0]
	v_mov_b32_e32 v133, v129
	ds_load_2addr_b64 v[128:131], v122 offset0:36 offset1:37
	v_pk_add_f32 v[14:15], v[14:15], v[132:133] neg_lo:[0,1] neg_hi:[0,1]
	s_wait_dscnt 0x0
	v_pk_mul_f32 v[132:133], v[128:129], v[120:121] op_sel:[0,1]
	s_delay_alu instid0(VALU_DEP_1) | instskip(SKIP_1) | instid1(VALU_DEP_1)
	v_pk_fma_f32 v[134:135], v[128:129], v[118:119], v[132:133] op_sel:[0,0,1] op_sel_hi:[1,1,0] neg_lo:[0,0,1] neg_hi:[0,0,1]
	v_pk_fma_f32 v[128:129], v[128:129], v[118:119], v[132:133] op_sel:[0,0,1] op_sel_hi:[1,0,0]
	v_mov_b32_e32 v135, v129
	v_pk_mul_f32 v[128:129], v[130:131], v[120:121] op_sel:[0,1]
	s_delay_alu instid0(VALU_DEP_2) | instskip(NEXT) | instid1(VALU_DEP_2)
	v_pk_add_f32 v[58:59], v[58:59], v[134:135] neg_lo:[0,1] neg_hi:[0,1]
	v_pk_fma_f32 v[132:133], v[130:131], v[118:119], v[128:129] op_sel:[0,0,1] op_sel_hi:[1,1,0] neg_lo:[0,0,1] neg_hi:[0,0,1]
	v_pk_fma_f32 v[128:129], v[130:131], v[118:119], v[128:129] op_sel:[0,0,1] op_sel_hi:[1,0,0]
	s_delay_alu instid0(VALU_DEP_1) | instskip(SKIP_4) | instid1(VALU_DEP_1)
	v_mov_b32_e32 v133, v129
	ds_load_2addr_b64 v[128:131], v122 offset0:38 offset1:39
	v_pk_add_f32 v[54:55], v[54:55], v[132:133] neg_lo:[0,1] neg_hi:[0,1]
	s_wait_dscnt 0x0
	v_pk_mul_f32 v[132:133], v[128:129], v[120:121] op_sel:[0,1]
	v_pk_fma_f32 v[134:135], v[128:129], v[118:119], v[132:133] op_sel:[0,0,1] op_sel_hi:[1,1,0] neg_lo:[0,0,1] neg_hi:[0,0,1]
	v_pk_fma_f32 v[128:129], v[128:129], v[118:119], v[132:133] op_sel:[0,0,1] op_sel_hi:[1,0,0]
	v_dual_mul_f32 v132, v131, v121 :: v_dual_mov_b32 v128, v131
	s_delay_alu instid0(VALU_DEP_2) | instskip(NEXT) | instid1(VALU_DEP_2)
	v_dual_mov_b32 v135, v129 :: v_dual_mov_b32 v129, v130
	v_pk_fma_f32 v[132:133], v[130:131], v[72:73], v[132:133] op_sel_hi:[1,1,0] neg_lo:[0,0,1] neg_hi:[0,0,1]
	v_mul_f32_e32 v130, v131, v118
	s_delay_alu instid0(VALU_DEP_3) | instskip(NEXT) | instid1(VALU_DEP_2)
	v_pk_add_f32 v[56:57], v[56:57], v[134:135] neg_lo:[0,1] neg_hi:[0,1]
	v_pk_fma_f32 v[128:129], v[128:129], v[72:73], v[130:131] op_sel_hi:[1,1,0]
	s_delay_alu instid0(VALU_DEP_1) | instskip(SKIP_4) | instid1(VALU_DEP_1)
	v_mov_b32_e32 v133, v129
	ds_load_2addr_b64 v[128:131], v122 offset0:40 offset1:41
	v_pk_add_f32 v[12:13], v[12:13], v[132:133] neg_lo:[0,1] neg_hi:[0,1]
	s_wait_dscnt 0x0
	v_pk_mul_f32 v[132:133], v[128:129], v[120:121] op_sel:[0,1]
	v_pk_fma_f32 v[134:135], v[128:129], v[118:119], v[132:133] op_sel:[0,0,1] op_sel_hi:[1,1,0] neg_lo:[0,0,1] neg_hi:[0,0,1]
	v_pk_fma_f32 v[128:129], v[128:129], v[118:119], v[132:133] op_sel:[0,0,1] op_sel_hi:[1,0,0]
	s_delay_alu instid0(VALU_DEP_1) | instskip(SKIP_1) | instid1(VALU_DEP_1)
	v_mov_b32_e32 v135, v129
	v_pk_mul_f32 v[128:129], v[130:131], v[120:121] op_sel:[0,1]
	v_pk_fma_f32 v[132:133], v[130:131], v[118:119], v[128:129] op_sel:[0,0,1] op_sel_hi:[1,1,0] neg_lo:[0,0,1] neg_hi:[0,0,1]
	v_pk_fma_f32 v[128:129], v[130:131], v[118:119], v[128:129] op_sel:[0,0,1] op_sel_hi:[1,0,0]
	s_delay_alu instid0(VALU_DEP_1)
	v_mov_b32_e32 v133, v129
	ds_load_2addr_b64 v[128:131], v122 offset0:42 offset1:43
	v_pk_add_f32 v[52:53], v[52:53], v[134:135] neg_lo:[0,1] neg_hi:[0,1]
	v_pk_add_f32 v[48:49], v[48:49], v[132:133] neg_lo:[0,1] neg_hi:[0,1]
	s_wait_dscnt 0x0
	v_pk_mul_f32 v[132:133], v[128:129], v[120:121] op_sel:[0,1]
	s_delay_alu instid0(VALU_DEP_1) | instskip(SKIP_1) | instid1(VALU_DEP_1)
	v_pk_fma_f32 v[134:135], v[128:129], v[118:119], v[132:133] op_sel:[0,0,1] op_sel_hi:[1,1,0] neg_lo:[0,0,1] neg_hi:[0,0,1]
	v_pk_fma_f32 v[128:129], v[128:129], v[118:119], v[132:133] op_sel:[0,0,1] op_sel_hi:[1,0,0]
	v_mov_b32_e32 v135, v129
	v_pk_mul_f32 v[128:129], v[130:131], v[120:121] op_sel:[0,1]
	s_delay_alu instid0(VALU_DEP_1) | instskip(SKIP_1) | instid1(VALU_DEP_1)
	v_pk_fma_f32 v[132:133], v[130:131], v[118:119], v[128:129] op_sel:[0,0,1] op_sel_hi:[1,1,0] neg_lo:[0,0,1] neg_hi:[0,0,1]
	v_pk_fma_f32 v[128:129], v[130:131], v[118:119], v[128:129] op_sel:[0,0,1] op_sel_hi:[1,0,0]
	v_mov_b32_e32 v133, v129
	ds_load_2addr_b64 v[128:131], v122 offset0:44 offset1:45
	v_pk_add_f32 v[50:51], v[50:51], v[134:135] neg_lo:[0,1] neg_hi:[0,1]
	v_pk_add_f32 v[10:11], v[10:11], v[132:133] neg_lo:[0,1] neg_hi:[0,1]
	s_wait_dscnt 0x0
	v_dual_mul_f32 v132, v129, v121 :: v_dual_mul_f32 v134, v129, v118
	s_delay_alu instid0(VALU_DEP_1) | instskip(NEXT) | instid1(VALU_DEP_2)
	v_pk_fma_f32 v[132:133], v[128:129], v[72:73], v[132:133] op_sel_hi:[1,1,0] neg_lo:[0,0,1] neg_hi:[0,0,1]
	v_pk_fma_f32 v[128:129], v[128:129], v[72:73], v[134:135] op_sel:[1,0,0] op_sel_hi:[0,1,0]
	s_delay_alu instid0(VALU_DEP_1) | instskip(SKIP_1) | instid1(VALU_DEP_2)
	v_mov_b32_e32 v133, v129
	v_pk_mul_f32 v[128:129], v[130:131], v[120:121] op_sel:[0,1]
	v_pk_add_f32 v[46:47], v[46:47], v[132:133] neg_lo:[0,1] neg_hi:[0,1]
	s_delay_alu instid0(VALU_DEP_2) | instskip(SKIP_1) | instid1(VALU_DEP_1)
	v_pk_fma_f32 v[132:133], v[130:131], v[118:119], v[128:129] op_sel:[0,0,1] op_sel_hi:[1,1,0] neg_lo:[0,0,1] neg_hi:[0,0,1]
	v_pk_fma_f32 v[128:129], v[130:131], v[118:119], v[128:129] op_sel:[0,0,1] op_sel_hi:[1,0,0]
	v_mov_b32_e32 v133, v129
	ds_load_2addr_b64 v[128:131], v122 offset0:46 offset1:47
	v_pk_add_f32 v[42:43], v[42:43], v[132:133] neg_lo:[0,1] neg_hi:[0,1]
	s_wait_dscnt 0x0
	v_pk_mul_f32 v[132:133], v[128:129], v[120:121] op_sel:[0,1]
	s_delay_alu instid0(VALU_DEP_1) | instskip(SKIP_1) | instid1(VALU_DEP_1)
	v_pk_fma_f32 v[134:135], v[128:129], v[118:119], v[132:133] op_sel:[0,0,1] op_sel_hi:[1,1,0] neg_lo:[0,0,1] neg_hi:[0,0,1]
	v_pk_fma_f32 v[128:129], v[128:129], v[118:119], v[132:133] op_sel:[0,0,1] op_sel_hi:[1,0,0]
	v_mov_b32_e32 v135, v129
	v_pk_mul_f32 v[128:129], v[130:131], v[120:121] op_sel:[0,1]
	s_delay_alu instid0(VALU_DEP_2) | instskip(NEXT) | instid1(VALU_DEP_2)
	v_pk_add_f32 v[44:45], v[44:45], v[134:135] neg_lo:[0,1] neg_hi:[0,1]
	v_pk_fma_f32 v[132:133], v[130:131], v[118:119], v[128:129] op_sel:[0,0,1] op_sel_hi:[1,1,0] neg_lo:[0,0,1] neg_hi:[0,0,1]
	v_pk_fma_f32 v[128:129], v[130:131], v[118:119], v[128:129] op_sel:[0,0,1] op_sel_hi:[1,0,0]
	s_delay_alu instid0(VALU_DEP_1) | instskip(SKIP_4) | instid1(VALU_DEP_1)
	v_mov_b32_e32 v133, v129
	ds_load_2addr_b64 v[128:131], v122 offset0:48 offset1:49
	v_pk_add_f32 v[6:7], v[6:7], v[132:133] neg_lo:[0,1] neg_hi:[0,1]
	s_wait_dscnt 0x0
	v_pk_mul_f32 v[132:133], v[128:129], v[120:121] op_sel:[0,1]
	v_pk_fma_f32 v[134:135], v[128:129], v[118:119], v[132:133] op_sel:[0,0,1] op_sel_hi:[1,1,0] neg_lo:[0,0,1] neg_hi:[0,0,1]
	v_pk_fma_f32 v[128:129], v[128:129], v[118:119], v[132:133] op_sel:[0,0,1] op_sel_hi:[1,0,0]
	v_dual_mul_f32 v132, v131, v121 :: v_dual_mov_b32 v128, v131
	s_delay_alu instid0(VALU_DEP_2) | instskip(NEXT) | instid1(VALU_DEP_2)
	v_dual_mov_b32 v135, v129 :: v_dual_mov_b32 v129, v130
	v_pk_fma_f32 v[132:133], v[130:131], v[72:73], v[132:133] op_sel_hi:[1,1,0] neg_lo:[0,0,1] neg_hi:[0,0,1]
	v_mul_f32_e32 v130, v131, v118
	s_delay_alu instid0(VALU_DEP_3) | instskip(NEXT) | instid1(VALU_DEP_2)
	v_pk_add_f32 v[34:35], v[34:35], v[134:135] neg_lo:[0,1] neg_hi:[0,1]
	v_pk_fma_f32 v[128:129], v[128:129], v[72:73], v[130:131] op_sel_hi:[1,1,0]
	s_delay_alu instid0(VALU_DEP_1) | instskip(SKIP_4) | instid1(VALU_DEP_1)
	v_mov_b32_e32 v133, v129
	ds_load_2addr_b64 v[128:131], v122 offset0:50 offset1:51
	v_pk_add_f32 v[28:29], v[28:29], v[132:133] neg_lo:[0,1] neg_hi:[0,1]
	s_wait_dscnt 0x0
	v_pk_mul_f32 v[132:133], v[128:129], v[120:121] op_sel:[0,1]
	v_pk_fma_f32 v[134:135], v[128:129], v[118:119], v[132:133] op_sel:[0,0,1] op_sel_hi:[1,1,0] neg_lo:[0,0,1] neg_hi:[0,0,1]
	v_pk_fma_f32 v[128:129], v[128:129], v[118:119], v[132:133] op_sel:[0,0,1] op_sel_hi:[1,0,0]
	s_delay_alu instid0(VALU_DEP_1) | instskip(SKIP_1) | instid1(VALU_DEP_1)
	v_mov_b32_e32 v135, v129
	v_pk_mul_f32 v[128:129], v[130:131], v[120:121] op_sel:[0,1]
	v_pk_fma_f32 v[132:133], v[130:131], v[118:119], v[128:129] op_sel:[0,0,1] op_sel_hi:[1,1,0] neg_lo:[0,0,1] neg_hi:[0,0,1]
	v_pk_fma_f32 v[128:129], v[130:131], v[118:119], v[128:129] op_sel:[0,0,1] op_sel_hi:[1,0,0]
	s_delay_alu instid0(VALU_DEP_1)
	v_mov_b32_e32 v133, v129
	ds_load_2addr_b64 v[128:131], v122 offset0:52 offset1:53
	v_pk_add_f32 v[32:33], v[32:33], v[134:135] neg_lo:[0,1] neg_hi:[0,1]
	v_pk_add_f32 v[8:9], v[8:9], v[132:133] neg_lo:[0,1] neg_hi:[0,1]
	s_wait_dscnt 0x0
	v_pk_mul_f32 v[132:133], v[128:129], v[120:121] op_sel:[0,1]
	s_delay_alu instid0(VALU_DEP_1) | instskip(SKIP_1) | instid1(VALU_DEP_1)
	v_pk_fma_f32 v[134:135], v[128:129], v[118:119], v[132:133] op_sel:[0,0,1] op_sel_hi:[1,1,0] neg_lo:[0,0,1] neg_hi:[0,0,1]
	v_pk_fma_f32 v[128:129], v[128:129], v[118:119], v[132:133] op_sel:[0,0,1] op_sel_hi:[1,0,0]
	v_mov_b32_e32 v135, v129
	v_pk_mul_f32 v[128:129], v[130:131], v[120:121] op_sel:[0,1]
	s_delay_alu instid0(VALU_DEP_1) | instskip(SKIP_1) | instid1(VALU_DEP_1)
	v_pk_fma_f32 v[132:133], v[130:131], v[118:119], v[128:129] op_sel:[0,0,1] op_sel_hi:[1,1,0] neg_lo:[0,0,1] neg_hi:[0,0,1]
	v_pk_fma_f32 v[128:129], v[130:131], v[118:119], v[128:129] op_sel:[0,0,1] op_sel_hi:[1,0,0]
	v_mov_b32_e32 v133, v129
	ds_load_2addr_b64 v[128:131], v122 offset0:54 offset1:55
	v_pk_add_f32 v[26:27], v[26:27], v[134:135] neg_lo:[0,1] neg_hi:[0,1]
	v_pk_add_f32 v[22:23], v[22:23], v[132:133] neg_lo:[0,1] neg_hi:[0,1]
	s_wait_dscnt 0x0
	v_mul_f32_e32 v120, v129, v121
	s_delay_alu instid0(VALU_DEP_1) | instskip(SKIP_1) | instid1(VALU_DEP_1)
	v_pk_fma_f32 v[132:133], v[128:129], v[72:73], v[120:121] op_sel_hi:[1,1,0] neg_lo:[0,0,1] neg_hi:[0,0,1]
	v_dual_mul_f32 v120, v129, v118 :: v_dual_mul_f32 v118, v131, v118
	v_pk_fma_f32 v[128:129], v[128:129], v[72:73], v[120:121] op_sel:[1,0,0] op_sel_hi:[0,1,0]
	v_dual_mov_b32 v128, v131 :: v_dual_mul_f32 v120, v131, v121
	s_delay_alu instid0(VALU_DEP_2) | instskip(NEXT) | instid1(VALU_DEP_2)
	v_dual_mov_b32 v133, v129 :: v_dual_mov_b32 v129, v130
	v_pk_fma_f32 v[120:121], v[130:131], v[72:73], v[120:121] op_sel_hi:[1,1,0] neg_lo:[0,0,1] neg_hi:[0,0,1]
	s_delay_alu instid0(VALU_DEP_2) | instskip(NEXT) | instid1(VALU_DEP_3)
	v_pk_add_f32 v[20:21], v[20:21], v[132:133] neg_lo:[0,1] neg_hi:[0,1]
	v_pk_fma_f32 v[118:119], v[128:129], v[72:73], v[118:119] op_sel_hi:[1,1,0]
	s_delay_alu instid0(VALU_DEP_1) | instskip(NEXT) | instid1(VALU_DEP_1)
	v_mov_b32_e32 v121, v119
	v_pk_add_f32 v[116:117], v[116:117], v[120:121] neg_lo:[0,1] neg_hi:[0,1]
.LBB110_545:
	s_or_b32 exec_lo, exec_lo, s0
	v_lshl_add_u32 v118, v126, 3, v122
	s_barrier_signal -1
	s_barrier_wait -1
	ds_store_b64 v118, v[74:75]
	s_wait_dscnt 0x0
	s_barrier_signal -1
	s_barrier_wait -1
	ds_load_b64 v[120:121], v122 offset:208
	v_mov_b32_e32 v118, 26
	s_cmp_lt_i32 s18, 28
	s_cbranch_scc1 .LBB110_548
; %bb.546:
	v_add3_u32 v119, v123, 0, 0xd8
	v_mov_b32_e32 v118, 26
	s_mov_b32 s0, 27
.LBB110_547:                            ; =>This Inner Loop Header: Depth=1
	ds_load_b64 v[128:129], v119
	s_wait_dscnt 0x1
	v_cmp_gt_f32_e32 vcc_lo, 0, v120
	v_cndmask_b32_e64 v130, v120, -v120, vcc_lo
	v_cmp_gt_f32_e32 vcc_lo, 0, v121
	v_cndmask_b32_e64 v132, v121, -v121, vcc_lo
	s_wait_dscnt 0x0
	v_cmp_gt_f32_e32 vcc_lo, 0, v128
	v_cndmask_b32_e64 v131, v128, -v128, vcc_lo
	v_cmp_gt_f32_e32 vcc_lo, 0, v129
	v_cndmask_b32_e64 v133, v129, -v129, vcc_lo
	s_delay_alu instid0(VALU_DEP_1) | instskip(NEXT) | instid1(VALU_DEP_1)
	v_pk_add_f32 v[130:131], v[130:131], v[132:133]
	v_cmp_lt_f32_e32 vcc_lo, v130, v131
	v_dual_add_nc_u32 v119, 8, v119 :: v_dual_cndmask_b32 v121, v121, v129, vcc_lo
	v_cndmask_b32_e32 v120, v120, v128, vcc_lo
	v_cndmask_b32_e64 v118, v118, s0, vcc_lo
	s_add_co_i32 s0, s0, 1
	s_delay_alu instid0(SALU_CYCLE_1)
	s_cmp_lg_u32 s18, s0
	s_cbranch_scc1 .LBB110_547
.LBB110_548:
	s_wait_dscnt 0x0
	v_cmp_eq_f32_e32 vcc_lo, 0, v120
	v_cmp_eq_f32_e64 s0, 0, v121
	s_and_b32 s0, vcc_lo, s0
	s_delay_alu instid0(SALU_CYCLE_1) | instskip(NEXT) | instid1(SALU_CYCLE_1)
	s_and_saveexec_b32 s1, s0
	s_xor_b32 s0, exec_lo, s1
; %bb.549:
	v_cmp_ne_u32_e32 vcc_lo, 0, v124
	v_cndmask_b32_e32 v124, 27, v124, vcc_lo
; %bb.550:
	s_and_not1_saveexec_b32 s0, s0
	s_cbranch_execz .LBB110_556
; %bb.551:
	v_cmp_ngt_f32_e64 s1, |v120|, |v121|
	s_and_saveexec_b32 s12, s1
	s_delay_alu instid0(SALU_CYCLE_1)
	s_xor_b32 s1, exec_lo, s12
	s_cbranch_execz .LBB110_553
; %bb.552:
	v_div_scale_f32 v119, null, v121, v121, v120
	v_div_scale_f32 v129, vcc_lo, v120, v121, v120
	s_delay_alu instid0(VALU_DEP_2) | instskip(SKIP_1) | instid1(TRANS32_DEP_1)
	v_rcp_f32_e32 v127, v119
	v_nop
	v_fma_f32 v128, -v119, v127, 1.0
	s_delay_alu instid0(VALU_DEP_1) | instskip(NEXT) | instid1(VALU_DEP_1)
	v_fmac_f32_e32 v127, v128, v127
	v_mul_f32_e32 v128, v129, v127
	s_delay_alu instid0(VALU_DEP_1) | instskip(NEXT) | instid1(VALU_DEP_1)
	v_fma_f32 v130, -v119, v128, v129
	v_fmac_f32_e32 v128, v130, v127
	s_delay_alu instid0(VALU_DEP_1) | instskip(NEXT) | instid1(VALU_DEP_1)
	v_fma_f32 v119, -v119, v128, v129
	v_div_fmas_f32 v119, v119, v127, v128
	s_delay_alu instid0(VALU_DEP_1) | instskip(NEXT) | instid1(VALU_DEP_1)
	v_div_fixup_f32 v119, v119, v121, v120
	v_fmac_f32_e32 v121, v120, v119
	s_delay_alu instid0(VALU_DEP_1) | instskip(SKIP_1) | instid1(VALU_DEP_2)
	v_div_scale_f32 v120, null, v121, v121, 1.0
	v_div_scale_f32 v129, vcc_lo, 1.0, v121, 1.0
	v_rcp_f32_e32 v127, v120
	v_nop
	s_delay_alu instid0(TRANS32_DEP_1) | instskip(NEXT) | instid1(VALU_DEP_1)
	v_fma_f32 v128, -v120, v127, 1.0
	v_fmac_f32_e32 v127, v128, v127
	s_delay_alu instid0(VALU_DEP_1) | instskip(NEXT) | instid1(VALU_DEP_1)
	v_mul_f32_e32 v128, v129, v127
	v_fma_f32 v130, -v120, v128, v129
	s_delay_alu instid0(VALU_DEP_1) | instskip(NEXT) | instid1(VALU_DEP_1)
	v_fmac_f32_e32 v128, v130, v127
	v_fma_f32 v120, -v120, v128, v129
	s_delay_alu instid0(VALU_DEP_1) | instskip(NEXT) | instid1(VALU_DEP_1)
	v_div_fmas_f32 v120, v120, v127, v128
	v_div_fixup_f32 v121, v120, v121, 1.0
	s_delay_alu instid0(VALU_DEP_1)
	v_mul_f32_e32 v120, v119, v121
	v_xor_b32_e32 v121, 0x80000000, v121
.LBB110_553:
	s_and_not1_saveexec_b32 s1, s1
	s_cbranch_execz .LBB110_555
; %bb.554:
	s_delay_alu instid0(VALU_DEP_1) | instskip(SKIP_1) | instid1(VALU_DEP_2)
	v_div_scale_f32 v119, null, v120, v120, v121
	v_div_scale_f32 v129, vcc_lo, v121, v120, v121
	v_rcp_f32_e32 v127, v119
	v_nop
	s_delay_alu instid0(TRANS32_DEP_1) | instskip(NEXT) | instid1(VALU_DEP_1)
	v_fma_f32 v128, -v119, v127, 1.0
	v_fmac_f32_e32 v127, v128, v127
	s_delay_alu instid0(VALU_DEP_1) | instskip(NEXT) | instid1(VALU_DEP_1)
	v_mul_f32_e32 v128, v129, v127
	v_fma_f32 v130, -v119, v128, v129
	s_delay_alu instid0(VALU_DEP_1) | instskip(NEXT) | instid1(VALU_DEP_1)
	v_fmac_f32_e32 v128, v130, v127
	v_fma_f32 v119, -v119, v128, v129
	s_delay_alu instid0(VALU_DEP_1) | instskip(NEXT) | instid1(VALU_DEP_1)
	v_div_fmas_f32 v119, v119, v127, v128
	v_div_fixup_f32 v119, v119, v120, v121
	s_delay_alu instid0(VALU_DEP_1) | instskip(NEXT) | instid1(VALU_DEP_1)
	v_fmac_f32_e32 v120, v121, v119
	v_div_scale_f32 v121, null, v120, v120, 1.0
	s_delay_alu instid0(VALU_DEP_1) | instskip(SKIP_1) | instid1(TRANS32_DEP_1)
	v_rcp_f32_e32 v127, v121
	v_nop
	v_fma_f32 v128, -v121, v127, 1.0
	s_delay_alu instid0(VALU_DEP_1) | instskip(SKIP_1) | instid1(VALU_DEP_1)
	v_fmac_f32_e32 v127, v128, v127
	v_div_scale_f32 v128, vcc_lo, 1.0, v120, 1.0
	v_mul_f32_e32 v129, v128, v127
	s_delay_alu instid0(VALU_DEP_1) | instskip(NEXT) | instid1(VALU_DEP_1)
	v_fma_f32 v130, -v121, v129, v128
	v_fmac_f32_e32 v129, v130, v127
	s_delay_alu instid0(VALU_DEP_1) | instskip(NEXT) | instid1(VALU_DEP_1)
	v_fma_f32 v121, -v121, v129, v128
	v_div_fmas_f32 v121, v121, v127, v129
	s_delay_alu instid0(VALU_DEP_1) | instskip(NEXT) | instid1(VALU_DEP_1)
	v_div_fixup_f32 v120, v121, v120, 1.0
	v_mul_f32_e64 v121, v119, -v120
.LBB110_555:
	s_or_b32 exec_lo, exec_lo, s1
.LBB110_556:
	s_delay_alu instid0(SALU_CYCLE_1) | instskip(NEXT) | instid1(SALU_CYCLE_1)
	s_or_b32 exec_lo, exec_lo, s0
	s_mov_b32 s0, exec_lo
	v_cmpx_ne_u32_e64 v126, v118
	s_xor_b32 s0, exec_lo, s0
	s_cbranch_execz .LBB110_562
; %bb.557:
	s_mov_b32 s1, exec_lo
	v_cmpx_eq_u32_e32 26, v126
	s_cbranch_execz .LBB110_561
; %bb.558:
	v_cmp_ne_u32_e32 vcc_lo, 26, v118
	s_xor_b32 s12, s16, -1
	s_delay_alu instid0(SALU_CYCLE_1) | instskip(NEXT) | instid1(SALU_CYCLE_1)
	s_and_b32 s13, s12, vcc_lo
	s_and_saveexec_b32 s12, s13
	s_cbranch_execz .LBB110_560
; %bb.559:
	v_ashrrev_i32_e32 v119, 31, v118
	s_delay_alu instid0(VALU_DEP_1)
	v_lshl_add_u64 v[126:127], v[118:119], 2, v[4:5]
	s_clause 0x1
	global_load_b32 v119, v[126:127], off
	global_load_b32 v125, v[4:5], off offset:104
	s_wait_loadcnt 0x1
	global_store_b32 v[4:5], v119, off offset:104
	s_wait_loadcnt 0x0
	global_store_b32 v[126:127], v125, off
.LBB110_560:
	s_wait_xcnt 0x0
	s_or_b32 exec_lo, exec_lo, s12
	v_dual_mov_b32 v126, v118 :: v_dual_mov_b32 v125, v118
.LBB110_561:
	s_or_b32 exec_lo, exec_lo, s1
.LBB110_562:
	s_and_not1_saveexec_b32 s0, s0
	s_cbranch_execz .LBB110_564
; %bb.563:
	v_mov_b32_e32 v126, 26
	ds_store_2addr_b64 v122, v[18:19], v[70:71] offset0:27 offset1:28
	ds_store_2addr_b64 v122, v[66:67], v[68:69] offset0:29 offset1:30
	;; [unrolled: 1-line block ×14, first 2 shown]
	ds_store_b64 v122, v[116:117] offset:440
.LBB110_564:
	s_or_b32 exec_lo, exec_lo, s0
	s_delay_alu instid0(SALU_CYCLE_1)
	s_mov_b32 s0, exec_lo
	s_wait_storecnt_dscnt 0x0
	s_barrier_signal -1
	s_barrier_wait -1
	v_cmpx_lt_i32_e32 26, v126
	s_cbranch_execz .LBB110_566
; %bb.565:
	v_pk_mul_f32 v[128:129], v[120:121], v[74:75] op_sel:[1,1] op_sel_hi:[0,1]
	s_delay_alu instid0(VALU_DEP_1)
	v_pk_fma_f32 v[118:119], v[120:121], v[74:75], v[128:129] op_sel_hi:[1,0,1] neg_lo:[0,0,1] neg_hi:[0,0,1]
	v_pk_fma_f32 v[120:121], v[120:121], v[74:75], v[128:129] op_sel_hi:[1,0,1]
	ds_load_2addr_b64 v[128:131], v122 offset0:27 offset1:28
	v_dual_mov_b32 v74, v118 :: v_dual_mov_b32 v75, v121
	s_wait_dscnt 0x0
	v_pk_mul_f32 v[132:133], v[128:129], v[120:121] op_sel:[0,1]
	s_delay_alu instid0(VALU_DEP_1) | instskip(SKIP_1) | instid1(VALU_DEP_1)
	v_pk_fma_f32 v[134:135], v[128:129], v[118:119], v[132:133] op_sel:[0,0,1] op_sel_hi:[1,1,0] neg_lo:[0,0,1] neg_hi:[0,0,1]
	v_pk_fma_f32 v[128:129], v[128:129], v[118:119], v[132:133] op_sel:[0,0,1] op_sel_hi:[1,0,0]
	v_mov_b32_e32 v135, v129
	v_pk_mul_f32 v[128:129], v[130:131], v[120:121] op_sel:[0,1]
	s_delay_alu instid0(VALU_DEP_1) | instskip(SKIP_1) | instid1(VALU_DEP_1)
	v_pk_fma_f32 v[132:133], v[130:131], v[118:119], v[128:129] op_sel:[0,0,1] op_sel_hi:[1,1,0] neg_lo:[0,0,1] neg_hi:[0,0,1]
	v_pk_fma_f32 v[128:129], v[130:131], v[118:119], v[128:129] op_sel:[0,0,1] op_sel_hi:[1,0,0]
	v_mov_b32_e32 v133, v129
	ds_load_2addr_b64 v[128:131], v122 offset0:29 offset1:30
	v_pk_add_f32 v[18:19], v[18:19], v[134:135] neg_lo:[0,1] neg_hi:[0,1]
	v_pk_add_f32 v[70:71], v[70:71], v[132:133] neg_lo:[0,1] neg_hi:[0,1]
	s_wait_dscnt 0x0
	v_pk_mul_f32 v[132:133], v[128:129], v[120:121] op_sel:[0,1]
	s_delay_alu instid0(VALU_DEP_1) | instskip(SKIP_2) | instid1(VALU_DEP_2)
	v_pk_fma_f32 v[134:135], v[128:129], v[118:119], v[132:133] op_sel:[0,0,1] op_sel_hi:[1,1,0] neg_lo:[0,0,1] neg_hi:[0,0,1]
	v_pk_fma_f32 v[128:129], v[128:129], v[118:119], v[132:133] op_sel:[0,0,1] op_sel_hi:[1,0,0]
	v_dual_mul_f32 v132, v131, v121 :: v_dual_mov_b32 v128, v131
	v_dual_mov_b32 v135, v129 :: v_dual_mov_b32 v129, v130
	s_delay_alu instid0(VALU_DEP_2) | instskip(SKIP_1) | instid1(VALU_DEP_3)
	v_pk_fma_f32 v[132:133], v[130:131], v[74:75], v[132:133] op_sel_hi:[1,1,0] neg_lo:[0,0,1] neg_hi:[0,0,1]
	v_mul_f32_e32 v130, v131, v118
	v_pk_add_f32 v[66:67], v[66:67], v[134:135] neg_lo:[0,1] neg_hi:[0,1]
	s_delay_alu instid0(VALU_DEP_2) | instskip(NEXT) | instid1(VALU_DEP_1)
	v_pk_fma_f32 v[128:129], v[128:129], v[74:75], v[130:131] op_sel_hi:[1,1,0]
	v_mov_b32_e32 v133, v129
	ds_load_2addr_b64 v[128:131], v122 offset0:31 offset1:32
	v_pk_add_f32 v[68:69], v[68:69], v[132:133] neg_lo:[0,1] neg_hi:[0,1]
	s_wait_dscnt 0x0
	v_pk_mul_f32 v[132:133], v[128:129], v[120:121] op_sel:[0,1]
	s_delay_alu instid0(VALU_DEP_1) | instskip(SKIP_1) | instid1(VALU_DEP_1)
	v_pk_fma_f32 v[134:135], v[128:129], v[118:119], v[132:133] op_sel:[0,0,1] op_sel_hi:[1,1,0] neg_lo:[0,0,1] neg_hi:[0,0,1]
	v_pk_fma_f32 v[128:129], v[128:129], v[118:119], v[132:133] op_sel:[0,0,1] op_sel_hi:[1,0,0]
	v_mov_b32_e32 v135, v129
	v_pk_mul_f32 v[128:129], v[130:131], v[120:121] op_sel:[0,1]
	s_delay_alu instid0(VALU_DEP_1) | instskip(SKIP_1) | instid1(VALU_DEP_1)
	v_pk_fma_f32 v[132:133], v[130:131], v[118:119], v[128:129] op_sel:[0,0,1] op_sel_hi:[1,1,0] neg_lo:[0,0,1] neg_hi:[0,0,1]
	v_pk_fma_f32 v[128:129], v[130:131], v[118:119], v[128:129] op_sel:[0,0,1] op_sel_hi:[1,0,0]
	v_mov_b32_e32 v133, v129
	ds_load_2addr_b64 v[128:131], v122 offset0:33 offset1:34
	v_pk_add_f32 v[16:17], v[16:17], v[134:135] neg_lo:[0,1] neg_hi:[0,1]
	v_pk_add_f32 v[64:65], v[64:65], v[132:133] neg_lo:[0,1] neg_hi:[0,1]
	s_wait_dscnt 0x0
	v_pk_mul_f32 v[132:133], v[128:129], v[120:121] op_sel:[0,1]
	s_delay_alu instid0(VALU_DEP_1) | instskip(SKIP_1) | instid1(VALU_DEP_1)
	v_pk_fma_f32 v[134:135], v[128:129], v[118:119], v[132:133] op_sel:[0,0,1] op_sel_hi:[1,1,0] neg_lo:[0,0,1] neg_hi:[0,0,1]
	v_pk_fma_f32 v[128:129], v[128:129], v[118:119], v[132:133] op_sel:[0,0,1] op_sel_hi:[1,0,0]
	v_mov_b32_e32 v135, v129
	v_pk_mul_f32 v[128:129], v[130:131], v[120:121] op_sel:[0,1]
	s_delay_alu instid0(VALU_DEP_1) | instskip(SKIP_1) | instid1(VALU_DEP_1)
	v_pk_fma_f32 v[132:133], v[130:131], v[118:119], v[128:129] op_sel:[0,0,1] op_sel_hi:[1,1,0] neg_lo:[0,0,1] neg_hi:[0,0,1]
	v_pk_fma_f32 v[128:129], v[130:131], v[118:119], v[128:129] op_sel:[0,0,1] op_sel_hi:[1,0,0]
	v_mov_b32_e32 v133, v129
	ds_load_2addr_b64 v[128:131], v122 offset0:35 offset1:36
	v_pk_add_f32 v[60:61], v[60:61], v[134:135] neg_lo:[0,1] neg_hi:[0,1]
	v_pk_add_f32 v[62:63], v[62:63], v[132:133] neg_lo:[0,1] neg_hi:[0,1]
	s_wait_dscnt 0x0
	v_dual_mul_f32 v132, v129, v121 :: v_dual_mul_f32 v134, v129, v118
	s_delay_alu instid0(VALU_DEP_1) | instskip(NEXT) | instid1(VALU_DEP_2)
	v_pk_fma_f32 v[132:133], v[128:129], v[74:75], v[132:133] op_sel_hi:[1,1,0] neg_lo:[0,0,1] neg_hi:[0,0,1]
	v_pk_fma_f32 v[128:129], v[128:129], v[74:75], v[134:135] op_sel:[1,0,0] op_sel_hi:[0,1,0]
	s_delay_alu instid0(VALU_DEP_1) | instskip(SKIP_1) | instid1(VALU_DEP_2)
	v_mov_b32_e32 v133, v129
	v_pk_mul_f32 v[128:129], v[130:131], v[120:121] op_sel:[0,1]
	v_pk_add_f32 v[14:15], v[14:15], v[132:133] neg_lo:[0,1] neg_hi:[0,1]
	s_delay_alu instid0(VALU_DEP_2) | instskip(SKIP_1) | instid1(VALU_DEP_1)
	v_pk_fma_f32 v[132:133], v[130:131], v[118:119], v[128:129] op_sel:[0,0,1] op_sel_hi:[1,1,0] neg_lo:[0,0,1] neg_hi:[0,0,1]
	v_pk_fma_f32 v[128:129], v[130:131], v[118:119], v[128:129] op_sel:[0,0,1] op_sel_hi:[1,0,0]
	v_mov_b32_e32 v133, v129
	ds_load_2addr_b64 v[128:131], v122 offset0:37 offset1:38
	v_pk_add_f32 v[58:59], v[58:59], v[132:133] neg_lo:[0,1] neg_hi:[0,1]
	s_wait_dscnt 0x0
	v_pk_mul_f32 v[132:133], v[128:129], v[120:121] op_sel:[0,1]
	s_delay_alu instid0(VALU_DEP_1) | instskip(SKIP_1) | instid1(VALU_DEP_1)
	v_pk_fma_f32 v[134:135], v[128:129], v[118:119], v[132:133] op_sel:[0,0,1] op_sel_hi:[1,1,0] neg_lo:[0,0,1] neg_hi:[0,0,1]
	v_pk_fma_f32 v[128:129], v[128:129], v[118:119], v[132:133] op_sel:[0,0,1] op_sel_hi:[1,0,0]
	v_mov_b32_e32 v135, v129
	v_pk_mul_f32 v[128:129], v[130:131], v[120:121] op_sel:[0,1]
	s_delay_alu instid0(VALU_DEP_2) | instskip(NEXT) | instid1(VALU_DEP_2)
	v_pk_add_f32 v[54:55], v[54:55], v[134:135] neg_lo:[0,1] neg_hi:[0,1]
	v_pk_fma_f32 v[132:133], v[130:131], v[118:119], v[128:129] op_sel:[0,0,1] op_sel_hi:[1,1,0] neg_lo:[0,0,1] neg_hi:[0,0,1]
	v_pk_fma_f32 v[128:129], v[130:131], v[118:119], v[128:129] op_sel:[0,0,1] op_sel_hi:[1,0,0]
	s_delay_alu instid0(VALU_DEP_1) | instskip(SKIP_4) | instid1(VALU_DEP_1)
	v_mov_b32_e32 v133, v129
	ds_load_2addr_b64 v[128:131], v122 offset0:39 offset1:40
	v_pk_add_f32 v[56:57], v[56:57], v[132:133] neg_lo:[0,1] neg_hi:[0,1]
	s_wait_dscnt 0x0
	v_pk_mul_f32 v[132:133], v[128:129], v[120:121] op_sel:[0,1]
	v_pk_fma_f32 v[134:135], v[128:129], v[118:119], v[132:133] op_sel:[0,0,1] op_sel_hi:[1,1,0] neg_lo:[0,0,1] neg_hi:[0,0,1]
	v_pk_fma_f32 v[128:129], v[128:129], v[118:119], v[132:133] op_sel:[0,0,1] op_sel_hi:[1,0,0]
	v_dual_mul_f32 v132, v131, v121 :: v_dual_mov_b32 v128, v131
	s_delay_alu instid0(VALU_DEP_2) | instskip(NEXT) | instid1(VALU_DEP_2)
	v_dual_mov_b32 v135, v129 :: v_dual_mov_b32 v129, v130
	v_pk_fma_f32 v[132:133], v[130:131], v[74:75], v[132:133] op_sel_hi:[1,1,0] neg_lo:[0,0,1] neg_hi:[0,0,1]
	v_mul_f32_e32 v130, v131, v118
	s_delay_alu instid0(VALU_DEP_3) | instskip(NEXT) | instid1(VALU_DEP_2)
	v_pk_add_f32 v[12:13], v[12:13], v[134:135] neg_lo:[0,1] neg_hi:[0,1]
	v_pk_fma_f32 v[128:129], v[128:129], v[74:75], v[130:131] op_sel_hi:[1,1,0]
	s_delay_alu instid0(VALU_DEP_1) | instskip(SKIP_4) | instid1(VALU_DEP_1)
	v_mov_b32_e32 v133, v129
	ds_load_2addr_b64 v[128:131], v122 offset0:41 offset1:42
	v_pk_add_f32 v[52:53], v[52:53], v[132:133] neg_lo:[0,1] neg_hi:[0,1]
	s_wait_dscnt 0x0
	v_pk_mul_f32 v[132:133], v[128:129], v[120:121] op_sel:[0,1]
	v_pk_fma_f32 v[134:135], v[128:129], v[118:119], v[132:133] op_sel:[0,0,1] op_sel_hi:[1,1,0] neg_lo:[0,0,1] neg_hi:[0,0,1]
	v_pk_fma_f32 v[128:129], v[128:129], v[118:119], v[132:133] op_sel:[0,0,1] op_sel_hi:[1,0,0]
	s_delay_alu instid0(VALU_DEP_1) | instskip(SKIP_1) | instid1(VALU_DEP_1)
	v_mov_b32_e32 v135, v129
	v_pk_mul_f32 v[128:129], v[130:131], v[120:121] op_sel:[0,1]
	v_pk_fma_f32 v[132:133], v[130:131], v[118:119], v[128:129] op_sel:[0,0,1] op_sel_hi:[1,1,0] neg_lo:[0,0,1] neg_hi:[0,0,1]
	v_pk_fma_f32 v[128:129], v[130:131], v[118:119], v[128:129] op_sel:[0,0,1] op_sel_hi:[1,0,0]
	s_delay_alu instid0(VALU_DEP_1)
	v_mov_b32_e32 v133, v129
	ds_load_2addr_b64 v[128:131], v122 offset0:43 offset1:44
	v_pk_add_f32 v[48:49], v[48:49], v[134:135] neg_lo:[0,1] neg_hi:[0,1]
	v_pk_add_f32 v[50:51], v[50:51], v[132:133] neg_lo:[0,1] neg_hi:[0,1]
	s_wait_dscnt 0x0
	v_pk_mul_f32 v[132:133], v[128:129], v[120:121] op_sel:[0,1]
	s_delay_alu instid0(VALU_DEP_1) | instskip(SKIP_1) | instid1(VALU_DEP_1)
	v_pk_fma_f32 v[134:135], v[128:129], v[118:119], v[132:133] op_sel:[0,0,1] op_sel_hi:[1,1,0] neg_lo:[0,0,1] neg_hi:[0,0,1]
	v_pk_fma_f32 v[128:129], v[128:129], v[118:119], v[132:133] op_sel:[0,0,1] op_sel_hi:[1,0,0]
	v_mov_b32_e32 v135, v129
	v_pk_mul_f32 v[128:129], v[130:131], v[120:121] op_sel:[0,1]
	s_delay_alu instid0(VALU_DEP_1) | instskip(SKIP_1) | instid1(VALU_DEP_1)
	v_pk_fma_f32 v[132:133], v[130:131], v[118:119], v[128:129] op_sel:[0,0,1] op_sel_hi:[1,1,0] neg_lo:[0,0,1] neg_hi:[0,0,1]
	v_pk_fma_f32 v[128:129], v[130:131], v[118:119], v[128:129] op_sel:[0,0,1] op_sel_hi:[1,0,0]
	v_mov_b32_e32 v133, v129
	ds_load_2addr_b64 v[128:131], v122 offset0:45 offset1:46
	v_pk_add_f32 v[10:11], v[10:11], v[134:135] neg_lo:[0,1] neg_hi:[0,1]
	v_pk_add_f32 v[46:47], v[46:47], v[132:133] neg_lo:[0,1] neg_hi:[0,1]
	s_wait_dscnt 0x0
	v_dual_mul_f32 v132, v129, v121 :: v_dual_mul_f32 v134, v129, v118
	s_delay_alu instid0(VALU_DEP_1) | instskip(NEXT) | instid1(VALU_DEP_2)
	v_pk_fma_f32 v[132:133], v[128:129], v[74:75], v[132:133] op_sel_hi:[1,1,0] neg_lo:[0,0,1] neg_hi:[0,0,1]
	v_pk_fma_f32 v[128:129], v[128:129], v[74:75], v[134:135] op_sel:[1,0,0] op_sel_hi:[0,1,0]
	s_delay_alu instid0(VALU_DEP_1) | instskip(SKIP_1) | instid1(VALU_DEP_2)
	v_mov_b32_e32 v133, v129
	v_pk_mul_f32 v[128:129], v[130:131], v[120:121] op_sel:[0,1]
	v_pk_add_f32 v[42:43], v[42:43], v[132:133] neg_lo:[0,1] neg_hi:[0,1]
	s_delay_alu instid0(VALU_DEP_2) | instskip(SKIP_1) | instid1(VALU_DEP_1)
	v_pk_fma_f32 v[132:133], v[130:131], v[118:119], v[128:129] op_sel:[0,0,1] op_sel_hi:[1,1,0] neg_lo:[0,0,1] neg_hi:[0,0,1]
	v_pk_fma_f32 v[128:129], v[130:131], v[118:119], v[128:129] op_sel:[0,0,1] op_sel_hi:[1,0,0]
	v_mov_b32_e32 v133, v129
	ds_load_2addr_b64 v[128:131], v122 offset0:47 offset1:48
	v_pk_add_f32 v[44:45], v[44:45], v[132:133] neg_lo:[0,1] neg_hi:[0,1]
	s_wait_dscnt 0x0
	v_pk_mul_f32 v[132:133], v[128:129], v[120:121] op_sel:[0,1]
	s_delay_alu instid0(VALU_DEP_1) | instskip(SKIP_1) | instid1(VALU_DEP_1)
	v_pk_fma_f32 v[134:135], v[128:129], v[118:119], v[132:133] op_sel:[0,0,1] op_sel_hi:[1,1,0] neg_lo:[0,0,1] neg_hi:[0,0,1]
	v_pk_fma_f32 v[128:129], v[128:129], v[118:119], v[132:133] op_sel:[0,0,1] op_sel_hi:[1,0,0]
	v_mov_b32_e32 v135, v129
	v_pk_mul_f32 v[128:129], v[130:131], v[120:121] op_sel:[0,1]
	s_delay_alu instid0(VALU_DEP_2) | instskip(NEXT) | instid1(VALU_DEP_2)
	v_pk_add_f32 v[6:7], v[6:7], v[134:135] neg_lo:[0,1] neg_hi:[0,1]
	v_pk_fma_f32 v[132:133], v[130:131], v[118:119], v[128:129] op_sel:[0,0,1] op_sel_hi:[1,1,0] neg_lo:[0,0,1] neg_hi:[0,0,1]
	v_pk_fma_f32 v[128:129], v[130:131], v[118:119], v[128:129] op_sel:[0,0,1] op_sel_hi:[1,0,0]
	s_delay_alu instid0(VALU_DEP_1) | instskip(SKIP_4) | instid1(VALU_DEP_1)
	v_mov_b32_e32 v133, v129
	ds_load_2addr_b64 v[128:131], v122 offset0:49 offset1:50
	v_pk_add_f32 v[34:35], v[34:35], v[132:133] neg_lo:[0,1] neg_hi:[0,1]
	s_wait_dscnt 0x0
	v_pk_mul_f32 v[132:133], v[128:129], v[120:121] op_sel:[0,1]
	v_pk_fma_f32 v[134:135], v[128:129], v[118:119], v[132:133] op_sel:[0,0,1] op_sel_hi:[1,1,0] neg_lo:[0,0,1] neg_hi:[0,0,1]
	v_pk_fma_f32 v[128:129], v[128:129], v[118:119], v[132:133] op_sel:[0,0,1] op_sel_hi:[1,0,0]
	v_dual_mul_f32 v132, v131, v121 :: v_dual_mov_b32 v128, v131
	s_delay_alu instid0(VALU_DEP_2) | instskip(NEXT) | instid1(VALU_DEP_2)
	v_dual_mov_b32 v135, v129 :: v_dual_mov_b32 v129, v130
	v_pk_fma_f32 v[132:133], v[130:131], v[74:75], v[132:133] op_sel_hi:[1,1,0] neg_lo:[0,0,1] neg_hi:[0,0,1]
	v_mul_f32_e32 v130, v131, v118
	s_delay_alu instid0(VALU_DEP_3) | instskip(NEXT) | instid1(VALU_DEP_2)
	v_pk_add_f32 v[28:29], v[28:29], v[134:135] neg_lo:[0,1] neg_hi:[0,1]
	v_pk_fma_f32 v[128:129], v[128:129], v[74:75], v[130:131] op_sel_hi:[1,1,0]
	s_delay_alu instid0(VALU_DEP_1) | instskip(SKIP_4) | instid1(VALU_DEP_1)
	v_mov_b32_e32 v133, v129
	ds_load_2addr_b64 v[128:131], v122 offset0:51 offset1:52
	v_pk_add_f32 v[32:33], v[32:33], v[132:133] neg_lo:[0,1] neg_hi:[0,1]
	s_wait_dscnt 0x0
	v_pk_mul_f32 v[132:133], v[128:129], v[120:121] op_sel:[0,1]
	v_pk_fma_f32 v[134:135], v[128:129], v[118:119], v[132:133] op_sel:[0,0,1] op_sel_hi:[1,1,0] neg_lo:[0,0,1] neg_hi:[0,0,1]
	v_pk_fma_f32 v[128:129], v[128:129], v[118:119], v[132:133] op_sel:[0,0,1] op_sel_hi:[1,0,0]
	s_delay_alu instid0(VALU_DEP_1) | instskip(SKIP_1) | instid1(VALU_DEP_1)
	v_mov_b32_e32 v135, v129
	v_pk_mul_f32 v[128:129], v[130:131], v[120:121] op_sel:[0,1]
	v_pk_fma_f32 v[132:133], v[130:131], v[118:119], v[128:129] op_sel:[0,0,1] op_sel_hi:[1,1,0] neg_lo:[0,0,1] neg_hi:[0,0,1]
	v_pk_fma_f32 v[128:129], v[130:131], v[118:119], v[128:129] op_sel:[0,0,1] op_sel_hi:[1,0,0]
	s_delay_alu instid0(VALU_DEP_1)
	v_mov_b32_e32 v133, v129
	ds_load_2addr_b64 v[128:131], v122 offset0:53 offset1:54
	v_pk_add_f32 v[8:9], v[8:9], v[134:135] neg_lo:[0,1] neg_hi:[0,1]
	v_pk_add_f32 v[26:27], v[26:27], v[132:133] neg_lo:[0,1] neg_hi:[0,1]
	s_wait_dscnt 0x0
	v_pk_mul_f32 v[132:133], v[128:129], v[120:121] op_sel:[0,1]
	s_delay_alu instid0(VALU_DEP_1) | instskip(SKIP_1) | instid1(VALU_DEP_1)
	v_pk_fma_f32 v[134:135], v[128:129], v[118:119], v[132:133] op_sel:[0,0,1] op_sel_hi:[1,1,0] neg_lo:[0,0,1] neg_hi:[0,0,1]
	v_pk_fma_f32 v[128:129], v[128:129], v[118:119], v[132:133] op_sel:[0,0,1] op_sel_hi:[1,0,0]
	v_mov_b32_e32 v135, v129
	v_pk_mul_f32 v[128:129], v[130:131], v[120:121] op_sel:[0,1]
	s_delay_alu instid0(VALU_DEP_1) | instskip(SKIP_1) | instid1(VALU_DEP_1)
	v_pk_fma_f32 v[132:133], v[130:131], v[118:119], v[128:129] op_sel:[0,0,1] op_sel_hi:[1,1,0] neg_lo:[0,0,1] neg_hi:[0,0,1]
	v_pk_fma_f32 v[128:129], v[130:131], v[118:119], v[128:129] op_sel:[0,0,1] op_sel_hi:[1,0,0]
	v_mov_b32_e32 v133, v129
	ds_load_b64 v[128:129], v122 offset:440
	v_pk_add_f32 v[22:23], v[22:23], v[134:135] neg_lo:[0,1] neg_hi:[0,1]
	v_pk_add_f32 v[20:21], v[20:21], v[132:133] neg_lo:[0,1] neg_hi:[0,1]
	s_wait_dscnt 0x0
	v_pk_mul_f32 v[120:121], v[128:129], v[120:121] op_sel:[0,1]
	s_delay_alu instid0(VALU_DEP_1) | instskip(SKIP_1) | instid1(VALU_DEP_1)
	v_pk_fma_f32 v[130:131], v[128:129], v[118:119], v[120:121] op_sel:[0,0,1] op_sel_hi:[1,1,0] neg_lo:[0,0,1] neg_hi:[0,0,1]
	v_pk_fma_f32 v[118:119], v[128:129], v[118:119], v[120:121] op_sel:[0,0,1] op_sel_hi:[1,0,0]
	v_mov_b32_e32 v131, v119
	s_delay_alu instid0(VALU_DEP_1)
	v_pk_add_f32 v[116:117], v[116:117], v[130:131] neg_lo:[0,1] neg_hi:[0,1]
.LBB110_566:
	s_or_b32 exec_lo, exec_lo, s0
	v_lshl_add_u32 v118, v126, 3, v122
	s_barrier_signal -1
	s_barrier_wait -1
	ds_store_b64 v118, v[18:19]
	s_wait_dscnt 0x0
	s_barrier_signal -1
	s_barrier_wait -1
	ds_load_b64 v[120:121], v122 offset:216
	v_mov_b32_e32 v118, 27
	s_cmp_lt_i32 s18, 29
	s_cbranch_scc1 .LBB110_569
; %bb.567:
	v_add3_u32 v119, v123, 0, 0xe0
	v_mov_b32_e32 v118, 27
	s_mov_b32 s0, 28
.LBB110_568:                            ; =>This Inner Loop Header: Depth=1
	ds_load_b64 v[128:129], v119
	s_wait_dscnt 0x1
	v_cmp_gt_f32_e32 vcc_lo, 0, v120
	v_cndmask_b32_e64 v130, v120, -v120, vcc_lo
	v_cmp_gt_f32_e32 vcc_lo, 0, v121
	v_cndmask_b32_e64 v132, v121, -v121, vcc_lo
	s_wait_dscnt 0x0
	v_cmp_gt_f32_e32 vcc_lo, 0, v128
	v_cndmask_b32_e64 v131, v128, -v128, vcc_lo
	v_cmp_gt_f32_e32 vcc_lo, 0, v129
	v_cndmask_b32_e64 v133, v129, -v129, vcc_lo
	s_delay_alu instid0(VALU_DEP_1) | instskip(NEXT) | instid1(VALU_DEP_1)
	v_pk_add_f32 v[130:131], v[130:131], v[132:133]
	v_cmp_lt_f32_e32 vcc_lo, v130, v131
	v_dual_add_nc_u32 v119, 8, v119 :: v_dual_cndmask_b32 v121, v121, v129, vcc_lo
	v_cndmask_b32_e32 v120, v120, v128, vcc_lo
	v_cndmask_b32_e64 v118, v118, s0, vcc_lo
	s_add_co_i32 s0, s0, 1
	s_delay_alu instid0(SALU_CYCLE_1)
	s_cmp_lg_u32 s18, s0
	s_cbranch_scc1 .LBB110_568
.LBB110_569:
	s_wait_dscnt 0x0
	v_cmp_eq_f32_e32 vcc_lo, 0, v120
	v_cmp_eq_f32_e64 s0, 0, v121
	s_and_b32 s0, vcc_lo, s0
	s_delay_alu instid0(SALU_CYCLE_1) | instskip(NEXT) | instid1(SALU_CYCLE_1)
	s_and_saveexec_b32 s1, s0
	s_xor_b32 s0, exec_lo, s1
; %bb.570:
	v_cmp_ne_u32_e32 vcc_lo, 0, v124
	v_cndmask_b32_e32 v124, 28, v124, vcc_lo
; %bb.571:
	s_and_not1_saveexec_b32 s0, s0
	s_cbranch_execz .LBB110_577
; %bb.572:
	v_cmp_ngt_f32_e64 s1, |v120|, |v121|
	s_and_saveexec_b32 s12, s1
	s_delay_alu instid0(SALU_CYCLE_1)
	s_xor_b32 s1, exec_lo, s12
	s_cbranch_execz .LBB110_574
; %bb.573:
	v_div_scale_f32 v119, null, v121, v121, v120
	v_div_scale_f32 v129, vcc_lo, v120, v121, v120
	s_delay_alu instid0(VALU_DEP_2) | instskip(SKIP_1) | instid1(TRANS32_DEP_1)
	v_rcp_f32_e32 v127, v119
	v_nop
	v_fma_f32 v128, -v119, v127, 1.0
	s_delay_alu instid0(VALU_DEP_1) | instskip(NEXT) | instid1(VALU_DEP_1)
	v_fmac_f32_e32 v127, v128, v127
	v_mul_f32_e32 v128, v129, v127
	s_delay_alu instid0(VALU_DEP_1) | instskip(NEXT) | instid1(VALU_DEP_1)
	v_fma_f32 v130, -v119, v128, v129
	v_fmac_f32_e32 v128, v130, v127
	s_delay_alu instid0(VALU_DEP_1) | instskip(NEXT) | instid1(VALU_DEP_1)
	v_fma_f32 v119, -v119, v128, v129
	v_div_fmas_f32 v119, v119, v127, v128
	s_delay_alu instid0(VALU_DEP_1) | instskip(NEXT) | instid1(VALU_DEP_1)
	v_div_fixup_f32 v119, v119, v121, v120
	v_fmac_f32_e32 v121, v120, v119
	s_delay_alu instid0(VALU_DEP_1) | instskip(SKIP_1) | instid1(VALU_DEP_2)
	v_div_scale_f32 v120, null, v121, v121, 1.0
	v_div_scale_f32 v129, vcc_lo, 1.0, v121, 1.0
	v_rcp_f32_e32 v127, v120
	v_nop
	s_delay_alu instid0(TRANS32_DEP_1) | instskip(NEXT) | instid1(VALU_DEP_1)
	v_fma_f32 v128, -v120, v127, 1.0
	v_fmac_f32_e32 v127, v128, v127
	s_delay_alu instid0(VALU_DEP_1) | instskip(NEXT) | instid1(VALU_DEP_1)
	v_mul_f32_e32 v128, v129, v127
	v_fma_f32 v130, -v120, v128, v129
	s_delay_alu instid0(VALU_DEP_1) | instskip(NEXT) | instid1(VALU_DEP_1)
	v_fmac_f32_e32 v128, v130, v127
	v_fma_f32 v120, -v120, v128, v129
	s_delay_alu instid0(VALU_DEP_1) | instskip(NEXT) | instid1(VALU_DEP_1)
	v_div_fmas_f32 v120, v120, v127, v128
	v_div_fixup_f32 v121, v120, v121, 1.0
	s_delay_alu instid0(VALU_DEP_1)
	v_mul_f32_e32 v120, v119, v121
	v_xor_b32_e32 v121, 0x80000000, v121
.LBB110_574:
	s_and_not1_saveexec_b32 s1, s1
	s_cbranch_execz .LBB110_576
; %bb.575:
	s_delay_alu instid0(VALU_DEP_1) | instskip(SKIP_1) | instid1(VALU_DEP_2)
	v_div_scale_f32 v119, null, v120, v120, v121
	v_div_scale_f32 v129, vcc_lo, v121, v120, v121
	v_rcp_f32_e32 v127, v119
	v_nop
	s_delay_alu instid0(TRANS32_DEP_1) | instskip(NEXT) | instid1(VALU_DEP_1)
	v_fma_f32 v128, -v119, v127, 1.0
	v_fmac_f32_e32 v127, v128, v127
	s_delay_alu instid0(VALU_DEP_1) | instskip(NEXT) | instid1(VALU_DEP_1)
	v_mul_f32_e32 v128, v129, v127
	v_fma_f32 v130, -v119, v128, v129
	s_delay_alu instid0(VALU_DEP_1) | instskip(NEXT) | instid1(VALU_DEP_1)
	v_fmac_f32_e32 v128, v130, v127
	v_fma_f32 v119, -v119, v128, v129
	s_delay_alu instid0(VALU_DEP_1) | instskip(NEXT) | instid1(VALU_DEP_1)
	v_div_fmas_f32 v119, v119, v127, v128
	v_div_fixup_f32 v119, v119, v120, v121
	s_delay_alu instid0(VALU_DEP_1) | instskip(NEXT) | instid1(VALU_DEP_1)
	v_fmac_f32_e32 v120, v121, v119
	v_div_scale_f32 v121, null, v120, v120, 1.0
	s_delay_alu instid0(VALU_DEP_1) | instskip(SKIP_1) | instid1(TRANS32_DEP_1)
	v_rcp_f32_e32 v127, v121
	v_nop
	v_fma_f32 v128, -v121, v127, 1.0
	s_delay_alu instid0(VALU_DEP_1) | instskip(SKIP_1) | instid1(VALU_DEP_1)
	v_fmac_f32_e32 v127, v128, v127
	v_div_scale_f32 v128, vcc_lo, 1.0, v120, 1.0
	v_mul_f32_e32 v129, v128, v127
	s_delay_alu instid0(VALU_DEP_1) | instskip(NEXT) | instid1(VALU_DEP_1)
	v_fma_f32 v130, -v121, v129, v128
	v_fmac_f32_e32 v129, v130, v127
	s_delay_alu instid0(VALU_DEP_1) | instskip(NEXT) | instid1(VALU_DEP_1)
	v_fma_f32 v121, -v121, v129, v128
	v_div_fmas_f32 v121, v121, v127, v129
	s_delay_alu instid0(VALU_DEP_1) | instskip(NEXT) | instid1(VALU_DEP_1)
	v_div_fixup_f32 v120, v121, v120, 1.0
	v_mul_f32_e64 v121, v119, -v120
.LBB110_576:
	s_or_b32 exec_lo, exec_lo, s1
.LBB110_577:
	s_delay_alu instid0(SALU_CYCLE_1) | instskip(NEXT) | instid1(SALU_CYCLE_1)
	s_or_b32 exec_lo, exec_lo, s0
	s_mov_b32 s0, exec_lo
	v_cmpx_ne_u32_e64 v126, v118
	s_xor_b32 s0, exec_lo, s0
	s_cbranch_execz .LBB110_583
; %bb.578:
	s_mov_b32 s1, exec_lo
	v_cmpx_eq_u32_e32 27, v126
	s_cbranch_execz .LBB110_582
; %bb.579:
	v_cmp_ne_u32_e32 vcc_lo, 27, v118
	s_xor_b32 s12, s16, -1
	s_delay_alu instid0(SALU_CYCLE_1) | instskip(NEXT) | instid1(SALU_CYCLE_1)
	s_and_b32 s13, s12, vcc_lo
	s_and_saveexec_b32 s12, s13
	s_cbranch_execz .LBB110_581
; %bb.580:
	v_ashrrev_i32_e32 v119, 31, v118
	s_delay_alu instid0(VALU_DEP_1)
	v_lshl_add_u64 v[126:127], v[118:119], 2, v[4:5]
	s_clause 0x1
	global_load_b32 v119, v[126:127], off
	global_load_b32 v125, v[4:5], off offset:108
	s_wait_loadcnt 0x1
	global_store_b32 v[4:5], v119, off offset:108
	s_wait_loadcnt 0x0
	global_store_b32 v[126:127], v125, off
.LBB110_581:
	s_wait_xcnt 0x0
	s_or_b32 exec_lo, exec_lo, s12
	v_dual_mov_b32 v126, v118 :: v_dual_mov_b32 v125, v118
.LBB110_582:
	s_or_b32 exec_lo, exec_lo, s1
.LBB110_583:
	s_and_not1_saveexec_b32 s0, s0
	s_cbranch_execz .LBB110_585
; %bb.584:
	v_dual_mov_b32 v118, v70 :: v_dual_mov_b32 v119, v71
	v_dual_mov_b32 v126, v66 :: v_dual_mov_b32 v127, v67
	ds_store_2addr_b64 v122, v[118:119], v[126:127] offset0:28 offset1:29
	v_dual_mov_b32 v118, v68 :: v_dual_mov_b32 v119, v69
	v_dual_mov_b32 v126, v16 :: v_dual_mov_b32 v127, v17
	ds_store_2addr_b64 v122, v[118:119], v[126:127] offset0:30 offset1:31
	;; [unrolled: 3-line block ×13, first 2 shown]
	v_dual_mov_b32 v118, v20 :: v_dual_mov_b32 v119, v21
	v_mov_b32_e32 v126, 27
	ds_store_2addr_b64 v122, v[118:119], v[116:117] offset0:54 offset1:55
.LBB110_585:
	s_or_b32 exec_lo, exec_lo, s0
	s_delay_alu instid0(SALU_CYCLE_1)
	s_mov_b32 s0, exec_lo
	s_wait_storecnt_dscnt 0x0
	s_barrier_signal -1
	s_barrier_wait -1
	v_cmpx_lt_i32_e32 27, v126
	s_cbranch_execz .LBB110_587
; %bb.586:
	v_pk_mul_f32 v[128:129], v[120:121], v[18:19] op_sel:[1,1] op_sel_hi:[0,1]
	s_delay_alu instid0(VALU_DEP_1)
	v_pk_fma_f32 v[118:119], v[120:121], v[18:19], v[128:129] op_sel_hi:[1,0,1] neg_lo:[0,0,1] neg_hi:[0,0,1]
	v_pk_fma_f32 v[120:121], v[120:121], v[18:19], v[128:129] op_sel_hi:[1,0,1]
	ds_load_2addr_b64 v[128:131], v122 offset0:28 offset1:29
	v_dual_mov_b32 v18, v118 :: v_dual_mov_b32 v19, v121
	s_wait_dscnt 0x0
	v_pk_mul_f32 v[132:133], v[128:129], v[120:121] op_sel:[0,1]
	s_delay_alu instid0(VALU_DEP_1) | instskip(SKIP_1) | instid1(VALU_DEP_1)
	v_pk_fma_f32 v[134:135], v[128:129], v[118:119], v[132:133] op_sel:[0,0,1] op_sel_hi:[1,1,0] neg_lo:[0,0,1] neg_hi:[0,0,1]
	v_pk_fma_f32 v[128:129], v[128:129], v[118:119], v[132:133] op_sel:[0,0,1] op_sel_hi:[1,0,0]
	v_mov_b32_e32 v135, v129
	v_pk_mul_f32 v[128:129], v[130:131], v[120:121] op_sel:[0,1]
	s_delay_alu instid0(VALU_DEP_1) | instskip(SKIP_1) | instid1(VALU_DEP_1)
	v_pk_fma_f32 v[132:133], v[130:131], v[118:119], v[128:129] op_sel:[0,0,1] op_sel_hi:[1,1,0] neg_lo:[0,0,1] neg_hi:[0,0,1]
	v_pk_fma_f32 v[128:129], v[130:131], v[118:119], v[128:129] op_sel:[0,0,1] op_sel_hi:[1,0,0]
	v_mov_b32_e32 v133, v129
	ds_load_2addr_b64 v[128:131], v122 offset0:30 offset1:31
	v_pk_add_f32 v[70:71], v[70:71], v[134:135] neg_lo:[0,1] neg_hi:[0,1]
	v_pk_add_f32 v[66:67], v[66:67], v[132:133] neg_lo:[0,1] neg_hi:[0,1]
	s_wait_dscnt 0x0
	v_pk_mul_f32 v[132:133], v[128:129], v[120:121] op_sel:[0,1]
	s_delay_alu instid0(VALU_DEP_1) | instskip(SKIP_2) | instid1(VALU_DEP_2)
	v_pk_fma_f32 v[134:135], v[128:129], v[118:119], v[132:133] op_sel:[0,0,1] op_sel_hi:[1,1,0] neg_lo:[0,0,1] neg_hi:[0,0,1]
	v_pk_fma_f32 v[128:129], v[128:129], v[118:119], v[132:133] op_sel:[0,0,1] op_sel_hi:[1,0,0]
	v_dual_mul_f32 v132, v131, v121 :: v_dual_mov_b32 v128, v131
	v_dual_mov_b32 v135, v129 :: v_dual_mov_b32 v129, v130
	s_delay_alu instid0(VALU_DEP_2) | instskip(SKIP_1) | instid1(VALU_DEP_3)
	v_pk_fma_f32 v[132:133], v[130:131], v[18:19], v[132:133] op_sel_hi:[1,1,0] neg_lo:[0,0,1] neg_hi:[0,0,1]
	v_mul_f32_e32 v130, v131, v118
	v_pk_add_f32 v[68:69], v[68:69], v[134:135] neg_lo:[0,1] neg_hi:[0,1]
	s_delay_alu instid0(VALU_DEP_2) | instskip(NEXT) | instid1(VALU_DEP_1)
	v_pk_fma_f32 v[128:129], v[128:129], v[18:19], v[130:131] op_sel_hi:[1,1,0]
	v_mov_b32_e32 v133, v129
	ds_load_2addr_b64 v[128:131], v122 offset0:32 offset1:33
	v_pk_add_f32 v[16:17], v[16:17], v[132:133] neg_lo:[0,1] neg_hi:[0,1]
	s_wait_dscnt 0x0
	v_pk_mul_f32 v[132:133], v[128:129], v[120:121] op_sel:[0,1]
	s_delay_alu instid0(VALU_DEP_1) | instskip(SKIP_1) | instid1(VALU_DEP_1)
	v_pk_fma_f32 v[134:135], v[128:129], v[118:119], v[132:133] op_sel:[0,0,1] op_sel_hi:[1,1,0] neg_lo:[0,0,1] neg_hi:[0,0,1]
	v_pk_fma_f32 v[128:129], v[128:129], v[118:119], v[132:133] op_sel:[0,0,1] op_sel_hi:[1,0,0]
	v_mov_b32_e32 v135, v129
	v_pk_mul_f32 v[128:129], v[130:131], v[120:121] op_sel:[0,1]
	s_delay_alu instid0(VALU_DEP_1) | instskip(SKIP_1) | instid1(VALU_DEP_1)
	v_pk_fma_f32 v[132:133], v[130:131], v[118:119], v[128:129] op_sel:[0,0,1] op_sel_hi:[1,1,0] neg_lo:[0,0,1] neg_hi:[0,0,1]
	v_pk_fma_f32 v[128:129], v[130:131], v[118:119], v[128:129] op_sel:[0,0,1] op_sel_hi:[1,0,0]
	v_mov_b32_e32 v133, v129
	ds_load_2addr_b64 v[128:131], v122 offset0:34 offset1:35
	v_pk_add_f32 v[64:65], v[64:65], v[134:135] neg_lo:[0,1] neg_hi:[0,1]
	v_pk_add_f32 v[60:61], v[60:61], v[132:133] neg_lo:[0,1] neg_hi:[0,1]
	s_wait_dscnt 0x0
	v_pk_mul_f32 v[132:133], v[128:129], v[120:121] op_sel:[0,1]
	s_delay_alu instid0(VALU_DEP_1) | instskip(SKIP_1) | instid1(VALU_DEP_1)
	v_pk_fma_f32 v[134:135], v[128:129], v[118:119], v[132:133] op_sel:[0,0,1] op_sel_hi:[1,1,0] neg_lo:[0,0,1] neg_hi:[0,0,1]
	v_pk_fma_f32 v[128:129], v[128:129], v[118:119], v[132:133] op_sel:[0,0,1] op_sel_hi:[1,0,0]
	v_mov_b32_e32 v135, v129
	v_pk_mul_f32 v[128:129], v[130:131], v[120:121] op_sel:[0,1]
	s_delay_alu instid0(VALU_DEP_1) | instskip(SKIP_1) | instid1(VALU_DEP_1)
	v_pk_fma_f32 v[132:133], v[130:131], v[118:119], v[128:129] op_sel:[0,0,1] op_sel_hi:[1,1,0] neg_lo:[0,0,1] neg_hi:[0,0,1]
	v_pk_fma_f32 v[128:129], v[130:131], v[118:119], v[128:129] op_sel:[0,0,1] op_sel_hi:[1,0,0]
	v_mov_b32_e32 v133, v129
	ds_load_2addr_b64 v[128:131], v122 offset0:36 offset1:37
	v_pk_add_f32 v[62:63], v[62:63], v[134:135] neg_lo:[0,1] neg_hi:[0,1]
	v_pk_add_f32 v[14:15], v[14:15], v[132:133] neg_lo:[0,1] neg_hi:[0,1]
	s_wait_dscnt 0x0
	v_dual_mul_f32 v132, v129, v121 :: v_dual_mul_f32 v134, v129, v118
	s_delay_alu instid0(VALU_DEP_1) | instskip(NEXT) | instid1(VALU_DEP_2)
	v_pk_fma_f32 v[132:133], v[128:129], v[18:19], v[132:133] op_sel_hi:[1,1,0] neg_lo:[0,0,1] neg_hi:[0,0,1]
	v_pk_fma_f32 v[128:129], v[128:129], v[18:19], v[134:135] op_sel:[1,0,0] op_sel_hi:[0,1,0]
	s_delay_alu instid0(VALU_DEP_1) | instskip(SKIP_1) | instid1(VALU_DEP_2)
	v_mov_b32_e32 v133, v129
	v_pk_mul_f32 v[128:129], v[130:131], v[120:121] op_sel:[0,1]
	v_pk_add_f32 v[58:59], v[58:59], v[132:133] neg_lo:[0,1] neg_hi:[0,1]
	s_delay_alu instid0(VALU_DEP_2) | instskip(SKIP_1) | instid1(VALU_DEP_1)
	v_pk_fma_f32 v[132:133], v[130:131], v[118:119], v[128:129] op_sel:[0,0,1] op_sel_hi:[1,1,0] neg_lo:[0,0,1] neg_hi:[0,0,1]
	v_pk_fma_f32 v[128:129], v[130:131], v[118:119], v[128:129] op_sel:[0,0,1] op_sel_hi:[1,0,0]
	v_mov_b32_e32 v133, v129
	ds_load_2addr_b64 v[128:131], v122 offset0:38 offset1:39
	v_pk_add_f32 v[54:55], v[54:55], v[132:133] neg_lo:[0,1] neg_hi:[0,1]
	s_wait_dscnt 0x0
	v_pk_mul_f32 v[132:133], v[128:129], v[120:121] op_sel:[0,1]
	s_delay_alu instid0(VALU_DEP_1) | instskip(SKIP_1) | instid1(VALU_DEP_1)
	v_pk_fma_f32 v[134:135], v[128:129], v[118:119], v[132:133] op_sel:[0,0,1] op_sel_hi:[1,1,0] neg_lo:[0,0,1] neg_hi:[0,0,1]
	v_pk_fma_f32 v[128:129], v[128:129], v[118:119], v[132:133] op_sel:[0,0,1] op_sel_hi:[1,0,0]
	v_mov_b32_e32 v135, v129
	v_pk_mul_f32 v[128:129], v[130:131], v[120:121] op_sel:[0,1]
	s_delay_alu instid0(VALU_DEP_2) | instskip(NEXT) | instid1(VALU_DEP_2)
	v_pk_add_f32 v[56:57], v[56:57], v[134:135] neg_lo:[0,1] neg_hi:[0,1]
	v_pk_fma_f32 v[132:133], v[130:131], v[118:119], v[128:129] op_sel:[0,0,1] op_sel_hi:[1,1,0] neg_lo:[0,0,1] neg_hi:[0,0,1]
	v_pk_fma_f32 v[128:129], v[130:131], v[118:119], v[128:129] op_sel:[0,0,1] op_sel_hi:[1,0,0]
	s_delay_alu instid0(VALU_DEP_1) | instskip(SKIP_4) | instid1(VALU_DEP_1)
	v_mov_b32_e32 v133, v129
	ds_load_2addr_b64 v[128:131], v122 offset0:40 offset1:41
	v_pk_add_f32 v[12:13], v[12:13], v[132:133] neg_lo:[0,1] neg_hi:[0,1]
	s_wait_dscnt 0x0
	v_pk_mul_f32 v[132:133], v[128:129], v[120:121] op_sel:[0,1]
	v_pk_fma_f32 v[134:135], v[128:129], v[118:119], v[132:133] op_sel:[0,0,1] op_sel_hi:[1,1,0] neg_lo:[0,0,1] neg_hi:[0,0,1]
	v_pk_fma_f32 v[128:129], v[128:129], v[118:119], v[132:133] op_sel:[0,0,1] op_sel_hi:[1,0,0]
	v_dual_mul_f32 v132, v131, v121 :: v_dual_mov_b32 v128, v131
	s_delay_alu instid0(VALU_DEP_2) | instskip(NEXT) | instid1(VALU_DEP_2)
	v_dual_mov_b32 v135, v129 :: v_dual_mov_b32 v129, v130
	v_pk_fma_f32 v[132:133], v[130:131], v[18:19], v[132:133] op_sel_hi:[1,1,0] neg_lo:[0,0,1] neg_hi:[0,0,1]
	v_mul_f32_e32 v130, v131, v118
	s_delay_alu instid0(VALU_DEP_3) | instskip(NEXT) | instid1(VALU_DEP_2)
	v_pk_add_f32 v[52:53], v[52:53], v[134:135] neg_lo:[0,1] neg_hi:[0,1]
	v_pk_fma_f32 v[128:129], v[128:129], v[18:19], v[130:131] op_sel_hi:[1,1,0]
	s_delay_alu instid0(VALU_DEP_1) | instskip(SKIP_4) | instid1(VALU_DEP_1)
	v_mov_b32_e32 v133, v129
	ds_load_2addr_b64 v[128:131], v122 offset0:42 offset1:43
	v_pk_add_f32 v[48:49], v[48:49], v[132:133] neg_lo:[0,1] neg_hi:[0,1]
	s_wait_dscnt 0x0
	v_pk_mul_f32 v[132:133], v[128:129], v[120:121] op_sel:[0,1]
	v_pk_fma_f32 v[134:135], v[128:129], v[118:119], v[132:133] op_sel:[0,0,1] op_sel_hi:[1,1,0] neg_lo:[0,0,1] neg_hi:[0,0,1]
	v_pk_fma_f32 v[128:129], v[128:129], v[118:119], v[132:133] op_sel:[0,0,1] op_sel_hi:[1,0,0]
	s_delay_alu instid0(VALU_DEP_1) | instskip(SKIP_1) | instid1(VALU_DEP_1)
	v_mov_b32_e32 v135, v129
	v_pk_mul_f32 v[128:129], v[130:131], v[120:121] op_sel:[0,1]
	v_pk_fma_f32 v[132:133], v[130:131], v[118:119], v[128:129] op_sel:[0,0,1] op_sel_hi:[1,1,0] neg_lo:[0,0,1] neg_hi:[0,0,1]
	v_pk_fma_f32 v[128:129], v[130:131], v[118:119], v[128:129] op_sel:[0,0,1] op_sel_hi:[1,0,0]
	s_delay_alu instid0(VALU_DEP_1)
	v_mov_b32_e32 v133, v129
	ds_load_2addr_b64 v[128:131], v122 offset0:44 offset1:45
	v_pk_add_f32 v[50:51], v[50:51], v[134:135] neg_lo:[0,1] neg_hi:[0,1]
	v_pk_add_f32 v[10:11], v[10:11], v[132:133] neg_lo:[0,1] neg_hi:[0,1]
	s_wait_dscnt 0x0
	v_pk_mul_f32 v[132:133], v[128:129], v[120:121] op_sel:[0,1]
	s_delay_alu instid0(VALU_DEP_1) | instskip(SKIP_1) | instid1(VALU_DEP_1)
	v_pk_fma_f32 v[134:135], v[128:129], v[118:119], v[132:133] op_sel:[0,0,1] op_sel_hi:[1,1,0] neg_lo:[0,0,1] neg_hi:[0,0,1]
	v_pk_fma_f32 v[128:129], v[128:129], v[118:119], v[132:133] op_sel:[0,0,1] op_sel_hi:[1,0,0]
	v_mov_b32_e32 v135, v129
	v_pk_mul_f32 v[128:129], v[130:131], v[120:121] op_sel:[0,1]
	s_delay_alu instid0(VALU_DEP_1) | instskip(SKIP_1) | instid1(VALU_DEP_1)
	v_pk_fma_f32 v[132:133], v[130:131], v[118:119], v[128:129] op_sel:[0,0,1] op_sel_hi:[1,1,0] neg_lo:[0,0,1] neg_hi:[0,0,1]
	v_pk_fma_f32 v[128:129], v[130:131], v[118:119], v[128:129] op_sel:[0,0,1] op_sel_hi:[1,0,0]
	v_mov_b32_e32 v133, v129
	ds_load_2addr_b64 v[128:131], v122 offset0:46 offset1:47
	v_pk_add_f32 v[46:47], v[46:47], v[134:135] neg_lo:[0,1] neg_hi:[0,1]
	v_pk_add_f32 v[42:43], v[42:43], v[132:133] neg_lo:[0,1] neg_hi:[0,1]
	s_wait_dscnt 0x0
	v_dual_mul_f32 v132, v129, v121 :: v_dual_mul_f32 v134, v129, v118
	s_delay_alu instid0(VALU_DEP_1) | instskip(NEXT) | instid1(VALU_DEP_2)
	v_pk_fma_f32 v[132:133], v[128:129], v[18:19], v[132:133] op_sel_hi:[1,1,0] neg_lo:[0,0,1] neg_hi:[0,0,1]
	v_pk_fma_f32 v[128:129], v[128:129], v[18:19], v[134:135] op_sel:[1,0,0] op_sel_hi:[0,1,0]
	s_delay_alu instid0(VALU_DEP_1) | instskip(SKIP_1) | instid1(VALU_DEP_2)
	v_mov_b32_e32 v133, v129
	v_pk_mul_f32 v[128:129], v[130:131], v[120:121] op_sel:[0,1]
	v_pk_add_f32 v[44:45], v[44:45], v[132:133] neg_lo:[0,1] neg_hi:[0,1]
	s_delay_alu instid0(VALU_DEP_2) | instskip(SKIP_1) | instid1(VALU_DEP_1)
	v_pk_fma_f32 v[132:133], v[130:131], v[118:119], v[128:129] op_sel:[0,0,1] op_sel_hi:[1,1,0] neg_lo:[0,0,1] neg_hi:[0,0,1]
	v_pk_fma_f32 v[128:129], v[130:131], v[118:119], v[128:129] op_sel:[0,0,1] op_sel_hi:[1,0,0]
	v_mov_b32_e32 v133, v129
	ds_load_2addr_b64 v[128:131], v122 offset0:48 offset1:49
	v_pk_add_f32 v[6:7], v[6:7], v[132:133] neg_lo:[0,1] neg_hi:[0,1]
	s_wait_dscnt 0x0
	v_pk_mul_f32 v[132:133], v[128:129], v[120:121] op_sel:[0,1]
	s_delay_alu instid0(VALU_DEP_1) | instskip(SKIP_1) | instid1(VALU_DEP_1)
	v_pk_fma_f32 v[134:135], v[128:129], v[118:119], v[132:133] op_sel:[0,0,1] op_sel_hi:[1,1,0] neg_lo:[0,0,1] neg_hi:[0,0,1]
	v_pk_fma_f32 v[128:129], v[128:129], v[118:119], v[132:133] op_sel:[0,0,1] op_sel_hi:[1,0,0]
	v_mov_b32_e32 v135, v129
	v_pk_mul_f32 v[128:129], v[130:131], v[120:121] op_sel:[0,1]
	s_delay_alu instid0(VALU_DEP_2) | instskip(NEXT) | instid1(VALU_DEP_2)
	v_pk_add_f32 v[34:35], v[34:35], v[134:135] neg_lo:[0,1] neg_hi:[0,1]
	v_pk_fma_f32 v[132:133], v[130:131], v[118:119], v[128:129] op_sel:[0,0,1] op_sel_hi:[1,1,0] neg_lo:[0,0,1] neg_hi:[0,0,1]
	v_pk_fma_f32 v[128:129], v[130:131], v[118:119], v[128:129] op_sel:[0,0,1] op_sel_hi:[1,0,0]
	s_delay_alu instid0(VALU_DEP_1) | instskip(SKIP_4) | instid1(VALU_DEP_1)
	v_mov_b32_e32 v133, v129
	ds_load_2addr_b64 v[128:131], v122 offset0:50 offset1:51
	v_pk_add_f32 v[28:29], v[28:29], v[132:133] neg_lo:[0,1] neg_hi:[0,1]
	s_wait_dscnt 0x0
	v_pk_mul_f32 v[132:133], v[128:129], v[120:121] op_sel:[0,1]
	v_pk_fma_f32 v[134:135], v[128:129], v[118:119], v[132:133] op_sel:[0,0,1] op_sel_hi:[1,1,0] neg_lo:[0,0,1] neg_hi:[0,0,1]
	v_pk_fma_f32 v[128:129], v[128:129], v[118:119], v[132:133] op_sel:[0,0,1] op_sel_hi:[1,0,0]
	v_dual_mul_f32 v132, v131, v121 :: v_dual_mov_b32 v128, v131
	s_delay_alu instid0(VALU_DEP_2) | instskip(NEXT) | instid1(VALU_DEP_2)
	v_dual_mov_b32 v135, v129 :: v_dual_mov_b32 v129, v130
	v_pk_fma_f32 v[132:133], v[130:131], v[18:19], v[132:133] op_sel_hi:[1,1,0] neg_lo:[0,0,1] neg_hi:[0,0,1]
	v_mul_f32_e32 v130, v131, v118
	s_delay_alu instid0(VALU_DEP_3) | instskip(NEXT) | instid1(VALU_DEP_2)
	v_pk_add_f32 v[32:33], v[32:33], v[134:135] neg_lo:[0,1] neg_hi:[0,1]
	v_pk_fma_f32 v[128:129], v[128:129], v[18:19], v[130:131] op_sel_hi:[1,1,0]
	s_delay_alu instid0(VALU_DEP_1) | instskip(SKIP_4) | instid1(VALU_DEP_1)
	v_mov_b32_e32 v133, v129
	ds_load_2addr_b64 v[128:131], v122 offset0:52 offset1:53
	v_pk_add_f32 v[8:9], v[8:9], v[132:133] neg_lo:[0,1] neg_hi:[0,1]
	s_wait_dscnt 0x0
	v_pk_mul_f32 v[132:133], v[128:129], v[120:121] op_sel:[0,1]
	v_pk_fma_f32 v[134:135], v[128:129], v[118:119], v[132:133] op_sel:[0,0,1] op_sel_hi:[1,1,0] neg_lo:[0,0,1] neg_hi:[0,0,1]
	v_pk_fma_f32 v[128:129], v[128:129], v[118:119], v[132:133] op_sel:[0,0,1] op_sel_hi:[1,0,0]
	s_delay_alu instid0(VALU_DEP_1) | instskip(SKIP_1) | instid1(VALU_DEP_1)
	v_mov_b32_e32 v135, v129
	v_pk_mul_f32 v[128:129], v[130:131], v[120:121] op_sel:[0,1]
	v_pk_fma_f32 v[132:133], v[130:131], v[118:119], v[128:129] op_sel:[0,0,1] op_sel_hi:[1,1,0] neg_lo:[0,0,1] neg_hi:[0,0,1]
	v_pk_fma_f32 v[128:129], v[130:131], v[118:119], v[128:129] op_sel:[0,0,1] op_sel_hi:[1,0,0]
	s_delay_alu instid0(VALU_DEP_1)
	v_mov_b32_e32 v133, v129
	ds_load_2addr_b64 v[128:131], v122 offset0:54 offset1:55
	v_pk_add_f32 v[26:27], v[26:27], v[134:135] neg_lo:[0,1] neg_hi:[0,1]
	v_pk_add_f32 v[22:23], v[22:23], v[132:133] neg_lo:[0,1] neg_hi:[0,1]
	s_wait_dscnt 0x0
	v_pk_mul_f32 v[132:133], v[128:129], v[120:121] op_sel:[0,1]
	v_pk_mul_f32 v[120:121], v[130:131], v[120:121] op_sel:[0,1]
	s_delay_alu instid0(VALU_DEP_2) | instskip(SKIP_1) | instid1(VALU_DEP_1)
	v_pk_fma_f32 v[134:135], v[128:129], v[118:119], v[132:133] op_sel:[0,0,1] op_sel_hi:[1,1,0] neg_lo:[0,0,1] neg_hi:[0,0,1]
	v_pk_fma_f32 v[128:129], v[128:129], v[118:119], v[132:133] op_sel:[0,0,1] op_sel_hi:[1,0,0]
	v_mov_b32_e32 v135, v129
	s_delay_alu instid0(VALU_DEP_4) | instskip(SKIP_1) | instid1(VALU_DEP_1)
	v_pk_fma_f32 v[128:129], v[130:131], v[118:119], v[120:121] op_sel:[0,0,1] op_sel_hi:[1,1,0] neg_lo:[0,0,1] neg_hi:[0,0,1]
	v_pk_fma_f32 v[118:119], v[130:131], v[118:119], v[120:121] op_sel:[0,0,1] op_sel_hi:[1,0,0]
	v_mov_b32_e32 v129, v119
	s_delay_alu instid0(VALU_DEP_4) | instskip(NEXT) | instid1(VALU_DEP_2)
	v_pk_add_f32 v[20:21], v[20:21], v[134:135] neg_lo:[0,1] neg_hi:[0,1]
	v_pk_add_f32 v[116:117], v[116:117], v[128:129] neg_lo:[0,1] neg_hi:[0,1]
.LBB110_587:
	s_or_b32 exec_lo, exec_lo, s0
	v_lshl_add_u32 v118, v126, 3, v122
	s_barrier_signal -1
	s_barrier_wait -1
	ds_store_b64 v118, v[70:71]
	s_wait_dscnt 0x0
	s_barrier_signal -1
	s_barrier_wait -1
	ds_load_b64 v[120:121], v122 offset:224
	v_mov_b32_e32 v118, 28
	s_cmp_lt_i32 s18, 30
	s_cbranch_scc1 .LBB110_590
; %bb.588:
	v_add3_u32 v119, v123, 0, 0xe8
	v_mov_b32_e32 v118, 28
	s_mov_b32 s0, 29
.LBB110_589:                            ; =>This Inner Loop Header: Depth=1
	ds_load_b64 v[128:129], v119
	s_wait_dscnt 0x1
	v_cmp_gt_f32_e32 vcc_lo, 0, v120
	v_cndmask_b32_e64 v130, v120, -v120, vcc_lo
	v_cmp_gt_f32_e32 vcc_lo, 0, v121
	v_cndmask_b32_e64 v132, v121, -v121, vcc_lo
	s_wait_dscnt 0x0
	v_cmp_gt_f32_e32 vcc_lo, 0, v128
	v_cndmask_b32_e64 v131, v128, -v128, vcc_lo
	v_cmp_gt_f32_e32 vcc_lo, 0, v129
	v_cndmask_b32_e64 v133, v129, -v129, vcc_lo
	s_delay_alu instid0(VALU_DEP_1) | instskip(NEXT) | instid1(VALU_DEP_1)
	v_pk_add_f32 v[130:131], v[130:131], v[132:133]
	v_cmp_lt_f32_e32 vcc_lo, v130, v131
	v_dual_add_nc_u32 v119, 8, v119 :: v_dual_cndmask_b32 v121, v121, v129, vcc_lo
	v_cndmask_b32_e32 v120, v120, v128, vcc_lo
	v_cndmask_b32_e64 v118, v118, s0, vcc_lo
	s_add_co_i32 s0, s0, 1
	s_delay_alu instid0(SALU_CYCLE_1)
	s_cmp_lg_u32 s18, s0
	s_cbranch_scc1 .LBB110_589
.LBB110_590:
	s_wait_dscnt 0x0
	v_cmp_eq_f32_e32 vcc_lo, 0, v120
	v_cmp_eq_f32_e64 s0, 0, v121
	s_and_b32 s0, vcc_lo, s0
	s_delay_alu instid0(SALU_CYCLE_1) | instskip(NEXT) | instid1(SALU_CYCLE_1)
	s_and_saveexec_b32 s1, s0
	s_xor_b32 s0, exec_lo, s1
; %bb.591:
	v_cmp_ne_u32_e32 vcc_lo, 0, v124
	v_cndmask_b32_e32 v124, 29, v124, vcc_lo
; %bb.592:
	s_and_not1_saveexec_b32 s0, s0
	s_cbranch_execz .LBB110_598
; %bb.593:
	v_cmp_ngt_f32_e64 s1, |v120|, |v121|
	s_and_saveexec_b32 s12, s1
	s_delay_alu instid0(SALU_CYCLE_1)
	s_xor_b32 s1, exec_lo, s12
	s_cbranch_execz .LBB110_595
; %bb.594:
	v_div_scale_f32 v119, null, v121, v121, v120
	v_div_scale_f32 v129, vcc_lo, v120, v121, v120
	s_delay_alu instid0(VALU_DEP_2) | instskip(SKIP_1) | instid1(TRANS32_DEP_1)
	v_rcp_f32_e32 v127, v119
	v_nop
	v_fma_f32 v128, -v119, v127, 1.0
	s_delay_alu instid0(VALU_DEP_1) | instskip(NEXT) | instid1(VALU_DEP_1)
	v_fmac_f32_e32 v127, v128, v127
	v_mul_f32_e32 v128, v129, v127
	s_delay_alu instid0(VALU_DEP_1) | instskip(NEXT) | instid1(VALU_DEP_1)
	v_fma_f32 v130, -v119, v128, v129
	v_fmac_f32_e32 v128, v130, v127
	s_delay_alu instid0(VALU_DEP_1) | instskip(NEXT) | instid1(VALU_DEP_1)
	v_fma_f32 v119, -v119, v128, v129
	v_div_fmas_f32 v119, v119, v127, v128
	s_delay_alu instid0(VALU_DEP_1) | instskip(NEXT) | instid1(VALU_DEP_1)
	v_div_fixup_f32 v119, v119, v121, v120
	v_fmac_f32_e32 v121, v120, v119
	s_delay_alu instid0(VALU_DEP_1) | instskip(SKIP_1) | instid1(VALU_DEP_2)
	v_div_scale_f32 v120, null, v121, v121, 1.0
	v_div_scale_f32 v129, vcc_lo, 1.0, v121, 1.0
	v_rcp_f32_e32 v127, v120
	v_nop
	s_delay_alu instid0(TRANS32_DEP_1) | instskip(NEXT) | instid1(VALU_DEP_1)
	v_fma_f32 v128, -v120, v127, 1.0
	v_fmac_f32_e32 v127, v128, v127
	s_delay_alu instid0(VALU_DEP_1) | instskip(NEXT) | instid1(VALU_DEP_1)
	v_mul_f32_e32 v128, v129, v127
	v_fma_f32 v130, -v120, v128, v129
	s_delay_alu instid0(VALU_DEP_1) | instskip(NEXT) | instid1(VALU_DEP_1)
	v_fmac_f32_e32 v128, v130, v127
	v_fma_f32 v120, -v120, v128, v129
	s_delay_alu instid0(VALU_DEP_1) | instskip(NEXT) | instid1(VALU_DEP_1)
	v_div_fmas_f32 v120, v120, v127, v128
	v_div_fixup_f32 v121, v120, v121, 1.0
	s_delay_alu instid0(VALU_DEP_1)
	v_mul_f32_e32 v120, v119, v121
	v_xor_b32_e32 v121, 0x80000000, v121
.LBB110_595:
	s_and_not1_saveexec_b32 s1, s1
	s_cbranch_execz .LBB110_597
; %bb.596:
	s_delay_alu instid0(VALU_DEP_1) | instskip(SKIP_1) | instid1(VALU_DEP_2)
	v_div_scale_f32 v119, null, v120, v120, v121
	v_div_scale_f32 v129, vcc_lo, v121, v120, v121
	v_rcp_f32_e32 v127, v119
	v_nop
	s_delay_alu instid0(TRANS32_DEP_1) | instskip(NEXT) | instid1(VALU_DEP_1)
	v_fma_f32 v128, -v119, v127, 1.0
	v_fmac_f32_e32 v127, v128, v127
	s_delay_alu instid0(VALU_DEP_1) | instskip(NEXT) | instid1(VALU_DEP_1)
	v_mul_f32_e32 v128, v129, v127
	v_fma_f32 v130, -v119, v128, v129
	s_delay_alu instid0(VALU_DEP_1) | instskip(NEXT) | instid1(VALU_DEP_1)
	v_fmac_f32_e32 v128, v130, v127
	v_fma_f32 v119, -v119, v128, v129
	s_delay_alu instid0(VALU_DEP_1) | instskip(NEXT) | instid1(VALU_DEP_1)
	v_div_fmas_f32 v119, v119, v127, v128
	v_div_fixup_f32 v119, v119, v120, v121
	s_delay_alu instid0(VALU_DEP_1) | instskip(NEXT) | instid1(VALU_DEP_1)
	v_fmac_f32_e32 v120, v121, v119
	v_div_scale_f32 v121, null, v120, v120, 1.0
	s_delay_alu instid0(VALU_DEP_1) | instskip(SKIP_1) | instid1(TRANS32_DEP_1)
	v_rcp_f32_e32 v127, v121
	v_nop
	v_fma_f32 v128, -v121, v127, 1.0
	s_delay_alu instid0(VALU_DEP_1) | instskip(SKIP_1) | instid1(VALU_DEP_1)
	v_fmac_f32_e32 v127, v128, v127
	v_div_scale_f32 v128, vcc_lo, 1.0, v120, 1.0
	v_mul_f32_e32 v129, v128, v127
	s_delay_alu instid0(VALU_DEP_1) | instskip(NEXT) | instid1(VALU_DEP_1)
	v_fma_f32 v130, -v121, v129, v128
	v_fmac_f32_e32 v129, v130, v127
	s_delay_alu instid0(VALU_DEP_1) | instskip(NEXT) | instid1(VALU_DEP_1)
	v_fma_f32 v121, -v121, v129, v128
	v_div_fmas_f32 v121, v121, v127, v129
	s_delay_alu instid0(VALU_DEP_1) | instskip(NEXT) | instid1(VALU_DEP_1)
	v_div_fixup_f32 v120, v121, v120, 1.0
	v_mul_f32_e64 v121, v119, -v120
.LBB110_597:
	s_or_b32 exec_lo, exec_lo, s1
.LBB110_598:
	s_delay_alu instid0(SALU_CYCLE_1) | instskip(NEXT) | instid1(SALU_CYCLE_1)
	s_or_b32 exec_lo, exec_lo, s0
	s_mov_b32 s0, exec_lo
	v_cmpx_ne_u32_e64 v126, v118
	s_xor_b32 s0, exec_lo, s0
	s_cbranch_execz .LBB110_604
; %bb.599:
	s_mov_b32 s1, exec_lo
	v_cmpx_eq_u32_e32 28, v126
	s_cbranch_execz .LBB110_603
; %bb.600:
	v_cmp_ne_u32_e32 vcc_lo, 28, v118
	s_xor_b32 s12, s16, -1
	s_delay_alu instid0(SALU_CYCLE_1) | instskip(NEXT) | instid1(SALU_CYCLE_1)
	s_and_b32 s13, s12, vcc_lo
	s_and_saveexec_b32 s12, s13
	s_cbranch_execz .LBB110_602
; %bb.601:
	v_ashrrev_i32_e32 v119, 31, v118
	s_delay_alu instid0(VALU_DEP_1)
	v_lshl_add_u64 v[126:127], v[118:119], 2, v[4:5]
	s_clause 0x1
	global_load_b32 v119, v[126:127], off
	global_load_b32 v125, v[4:5], off offset:112
	s_wait_loadcnt 0x1
	global_store_b32 v[4:5], v119, off offset:112
	s_wait_loadcnt 0x0
	global_store_b32 v[126:127], v125, off
.LBB110_602:
	s_wait_xcnt 0x0
	s_or_b32 exec_lo, exec_lo, s12
	v_dual_mov_b32 v126, v118 :: v_dual_mov_b32 v125, v118
.LBB110_603:
	s_or_b32 exec_lo, exec_lo, s1
.LBB110_604:
	s_and_not1_saveexec_b32 s0, s0
	s_cbranch_execz .LBB110_606
; %bb.605:
	v_mov_b32_e32 v126, 28
	ds_store_2addr_b64 v122, v[66:67], v[68:69] offset0:29 offset1:30
	ds_store_2addr_b64 v122, v[16:17], v[64:65] offset0:31 offset1:32
	;; [unrolled: 1-line block ×13, first 2 shown]
	ds_store_b64 v122, v[116:117] offset:440
.LBB110_606:
	s_or_b32 exec_lo, exec_lo, s0
	s_delay_alu instid0(SALU_CYCLE_1)
	s_mov_b32 s0, exec_lo
	s_wait_storecnt_dscnt 0x0
	s_barrier_signal -1
	s_barrier_wait -1
	v_cmpx_lt_i32_e32 28, v126
	s_cbranch_execz .LBB110_608
; %bb.607:
	v_pk_mul_f32 v[128:129], v[120:121], v[70:71] op_sel:[1,1] op_sel_hi:[0,1]
	s_delay_alu instid0(VALU_DEP_1)
	v_pk_fma_f32 v[118:119], v[120:121], v[70:71], v[128:129] op_sel_hi:[1,0,1] neg_lo:[0,0,1] neg_hi:[0,0,1]
	v_pk_fma_f32 v[120:121], v[120:121], v[70:71], v[128:129] op_sel_hi:[1,0,1]
	ds_load_2addr_b64 v[128:131], v122 offset0:29 offset1:30
	v_dual_mov_b32 v70, v118 :: v_dual_mov_b32 v71, v121
	s_wait_dscnt 0x0
	v_pk_mul_f32 v[132:133], v[128:129], v[120:121] op_sel:[0,1]
	s_delay_alu instid0(VALU_DEP_1) | instskip(SKIP_1) | instid1(VALU_DEP_1)
	v_pk_fma_f32 v[134:135], v[128:129], v[118:119], v[132:133] op_sel:[0,0,1] op_sel_hi:[1,1,0] neg_lo:[0,0,1] neg_hi:[0,0,1]
	v_pk_fma_f32 v[128:129], v[128:129], v[118:119], v[132:133] op_sel:[0,0,1] op_sel_hi:[1,0,0]
	v_mov_b32_e32 v135, v129
	v_pk_mul_f32 v[128:129], v[130:131], v[120:121] op_sel:[0,1]
	s_delay_alu instid0(VALU_DEP_1) | instskip(SKIP_1) | instid1(VALU_DEP_1)
	v_pk_fma_f32 v[132:133], v[130:131], v[118:119], v[128:129] op_sel:[0,0,1] op_sel_hi:[1,1,0] neg_lo:[0,0,1] neg_hi:[0,0,1]
	v_pk_fma_f32 v[128:129], v[130:131], v[118:119], v[128:129] op_sel:[0,0,1] op_sel_hi:[1,0,0]
	v_mov_b32_e32 v133, v129
	ds_load_2addr_b64 v[128:131], v122 offset0:31 offset1:32
	v_pk_add_f32 v[66:67], v[66:67], v[134:135] neg_lo:[0,1] neg_hi:[0,1]
	v_pk_add_f32 v[68:69], v[68:69], v[132:133] neg_lo:[0,1] neg_hi:[0,1]
	s_wait_dscnt 0x0
	v_pk_mul_f32 v[132:133], v[128:129], v[120:121] op_sel:[0,1]
	s_delay_alu instid0(VALU_DEP_1) | instskip(SKIP_2) | instid1(VALU_DEP_2)
	v_pk_fma_f32 v[134:135], v[128:129], v[118:119], v[132:133] op_sel:[0,0,1] op_sel_hi:[1,1,0] neg_lo:[0,0,1] neg_hi:[0,0,1]
	v_pk_fma_f32 v[128:129], v[128:129], v[118:119], v[132:133] op_sel:[0,0,1] op_sel_hi:[1,0,0]
	v_dual_mul_f32 v132, v131, v121 :: v_dual_mov_b32 v128, v131
	v_dual_mov_b32 v135, v129 :: v_dual_mov_b32 v129, v130
	s_delay_alu instid0(VALU_DEP_2) | instskip(SKIP_1) | instid1(VALU_DEP_3)
	v_pk_fma_f32 v[132:133], v[130:131], v[70:71], v[132:133] op_sel_hi:[1,1,0] neg_lo:[0,0,1] neg_hi:[0,0,1]
	v_mul_f32_e32 v130, v131, v118
	v_pk_add_f32 v[16:17], v[16:17], v[134:135] neg_lo:[0,1] neg_hi:[0,1]
	s_delay_alu instid0(VALU_DEP_2) | instskip(NEXT) | instid1(VALU_DEP_1)
	v_pk_fma_f32 v[128:129], v[128:129], v[70:71], v[130:131] op_sel_hi:[1,1,0]
	v_mov_b32_e32 v133, v129
	ds_load_2addr_b64 v[128:131], v122 offset0:33 offset1:34
	v_pk_add_f32 v[64:65], v[64:65], v[132:133] neg_lo:[0,1] neg_hi:[0,1]
	s_wait_dscnt 0x0
	v_pk_mul_f32 v[132:133], v[128:129], v[120:121] op_sel:[0,1]
	s_delay_alu instid0(VALU_DEP_1) | instskip(SKIP_1) | instid1(VALU_DEP_1)
	v_pk_fma_f32 v[134:135], v[128:129], v[118:119], v[132:133] op_sel:[0,0,1] op_sel_hi:[1,1,0] neg_lo:[0,0,1] neg_hi:[0,0,1]
	v_pk_fma_f32 v[128:129], v[128:129], v[118:119], v[132:133] op_sel:[0,0,1] op_sel_hi:[1,0,0]
	v_mov_b32_e32 v135, v129
	v_pk_mul_f32 v[128:129], v[130:131], v[120:121] op_sel:[0,1]
	s_delay_alu instid0(VALU_DEP_1) | instskip(SKIP_1) | instid1(VALU_DEP_1)
	v_pk_fma_f32 v[132:133], v[130:131], v[118:119], v[128:129] op_sel:[0,0,1] op_sel_hi:[1,1,0] neg_lo:[0,0,1] neg_hi:[0,0,1]
	v_pk_fma_f32 v[128:129], v[130:131], v[118:119], v[128:129] op_sel:[0,0,1] op_sel_hi:[1,0,0]
	v_mov_b32_e32 v133, v129
	ds_load_2addr_b64 v[128:131], v122 offset0:35 offset1:36
	v_pk_add_f32 v[60:61], v[60:61], v[134:135] neg_lo:[0,1] neg_hi:[0,1]
	v_pk_add_f32 v[62:63], v[62:63], v[132:133] neg_lo:[0,1] neg_hi:[0,1]
	s_wait_dscnt 0x0
	v_pk_mul_f32 v[132:133], v[128:129], v[120:121] op_sel:[0,1]
	s_delay_alu instid0(VALU_DEP_1) | instskip(SKIP_1) | instid1(VALU_DEP_1)
	v_pk_fma_f32 v[134:135], v[128:129], v[118:119], v[132:133] op_sel:[0,0,1] op_sel_hi:[1,1,0] neg_lo:[0,0,1] neg_hi:[0,0,1]
	v_pk_fma_f32 v[128:129], v[128:129], v[118:119], v[132:133] op_sel:[0,0,1] op_sel_hi:[1,0,0]
	v_mov_b32_e32 v135, v129
	v_pk_mul_f32 v[128:129], v[130:131], v[120:121] op_sel:[0,1]
	s_delay_alu instid0(VALU_DEP_1) | instskip(SKIP_1) | instid1(VALU_DEP_1)
	v_pk_fma_f32 v[132:133], v[130:131], v[118:119], v[128:129] op_sel:[0,0,1] op_sel_hi:[1,1,0] neg_lo:[0,0,1] neg_hi:[0,0,1]
	v_pk_fma_f32 v[128:129], v[130:131], v[118:119], v[128:129] op_sel:[0,0,1] op_sel_hi:[1,0,0]
	v_mov_b32_e32 v133, v129
	ds_load_2addr_b64 v[128:131], v122 offset0:37 offset1:38
	v_pk_add_f32 v[14:15], v[14:15], v[134:135] neg_lo:[0,1] neg_hi:[0,1]
	v_pk_add_f32 v[58:59], v[58:59], v[132:133] neg_lo:[0,1] neg_hi:[0,1]
	s_wait_dscnt 0x0
	v_dual_mul_f32 v132, v129, v121 :: v_dual_mul_f32 v134, v129, v118
	s_delay_alu instid0(VALU_DEP_1) | instskip(NEXT) | instid1(VALU_DEP_2)
	v_pk_fma_f32 v[132:133], v[128:129], v[70:71], v[132:133] op_sel_hi:[1,1,0] neg_lo:[0,0,1] neg_hi:[0,0,1]
	v_pk_fma_f32 v[128:129], v[128:129], v[70:71], v[134:135] op_sel:[1,0,0] op_sel_hi:[0,1,0]
	s_delay_alu instid0(VALU_DEP_1) | instskip(SKIP_1) | instid1(VALU_DEP_2)
	v_mov_b32_e32 v133, v129
	v_pk_mul_f32 v[128:129], v[130:131], v[120:121] op_sel:[0,1]
	v_pk_add_f32 v[54:55], v[54:55], v[132:133] neg_lo:[0,1] neg_hi:[0,1]
	s_delay_alu instid0(VALU_DEP_2) | instskip(SKIP_1) | instid1(VALU_DEP_1)
	v_pk_fma_f32 v[132:133], v[130:131], v[118:119], v[128:129] op_sel:[0,0,1] op_sel_hi:[1,1,0] neg_lo:[0,0,1] neg_hi:[0,0,1]
	v_pk_fma_f32 v[128:129], v[130:131], v[118:119], v[128:129] op_sel:[0,0,1] op_sel_hi:[1,0,0]
	v_mov_b32_e32 v133, v129
	ds_load_2addr_b64 v[128:131], v122 offset0:39 offset1:40
	v_pk_add_f32 v[56:57], v[56:57], v[132:133] neg_lo:[0,1] neg_hi:[0,1]
	s_wait_dscnt 0x0
	v_pk_mul_f32 v[132:133], v[128:129], v[120:121] op_sel:[0,1]
	s_delay_alu instid0(VALU_DEP_1) | instskip(SKIP_1) | instid1(VALU_DEP_1)
	v_pk_fma_f32 v[134:135], v[128:129], v[118:119], v[132:133] op_sel:[0,0,1] op_sel_hi:[1,1,0] neg_lo:[0,0,1] neg_hi:[0,0,1]
	v_pk_fma_f32 v[128:129], v[128:129], v[118:119], v[132:133] op_sel:[0,0,1] op_sel_hi:[1,0,0]
	v_mov_b32_e32 v135, v129
	v_pk_mul_f32 v[128:129], v[130:131], v[120:121] op_sel:[0,1]
	s_delay_alu instid0(VALU_DEP_2) | instskip(NEXT) | instid1(VALU_DEP_2)
	v_pk_add_f32 v[12:13], v[12:13], v[134:135] neg_lo:[0,1] neg_hi:[0,1]
	v_pk_fma_f32 v[132:133], v[130:131], v[118:119], v[128:129] op_sel:[0,0,1] op_sel_hi:[1,1,0] neg_lo:[0,0,1] neg_hi:[0,0,1]
	v_pk_fma_f32 v[128:129], v[130:131], v[118:119], v[128:129] op_sel:[0,0,1] op_sel_hi:[1,0,0]
	s_delay_alu instid0(VALU_DEP_1) | instskip(SKIP_4) | instid1(VALU_DEP_1)
	v_mov_b32_e32 v133, v129
	ds_load_2addr_b64 v[128:131], v122 offset0:41 offset1:42
	v_pk_add_f32 v[52:53], v[52:53], v[132:133] neg_lo:[0,1] neg_hi:[0,1]
	s_wait_dscnt 0x0
	v_pk_mul_f32 v[132:133], v[128:129], v[120:121] op_sel:[0,1]
	v_pk_fma_f32 v[134:135], v[128:129], v[118:119], v[132:133] op_sel:[0,0,1] op_sel_hi:[1,1,0] neg_lo:[0,0,1] neg_hi:[0,0,1]
	v_pk_fma_f32 v[128:129], v[128:129], v[118:119], v[132:133] op_sel:[0,0,1] op_sel_hi:[1,0,0]
	v_dual_mul_f32 v132, v131, v121 :: v_dual_mov_b32 v128, v131
	s_delay_alu instid0(VALU_DEP_2) | instskip(NEXT) | instid1(VALU_DEP_2)
	v_dual_mov_b32 v135, v129 :: v_dual_mov_b32 v129, v130
	v_pk_fma_f32 v[132:133], v[130:131], v[70:71], v[132:133] op_sel_hi:[1,1,0] neg_lo:[0,0,1] neg_hi:[0,0,1]
	v_mul_f32_e32 v130, v131, v118
	s_delay_alu instid0(VALU_DEP_3) | instskip(NEXT) | instid1(VALU_DEP_2)
	v_pk_add_f32 v[48:49], v[48:49], v[134:135] neg_lo:[0,1] neg_hi:[0,1]
	v_pk_fma_f32 v[128:129], v[128:129], v[70:71], v[130:131] op_sel_hi:[1,1,0]
	s_delay_alu instid0(VALU_DEP_1) | instskip(SKIP_4) | instid1(VALU_DEP_1)
	v_mov_b32_e32 v133, v129
	ds_load_2addr_b64 v[128:131], v122 offset0:43 offset1:44
	v_pk_add_f32 v[50:51], v[50:51], v[132:133] neg_lo:[0,1] neg_hi:[0,1]
	s_wait_dscnt 0x0
	v_pk_mul_f32 v[132:133], v[128:129], v[120:121] op_sel:[0,1]
	v_pk_fma_f32 v[134:135], v[128:129], v[118:119], v[132:133] op_sel:[0,0,1] op_sel_hi:[1,1,0] neg_lo:[0,0,1] neg_hi:[0,0,1]
	v_pk_fma_f32 v[128:129], v[128:129], v[118:119], v[132:133] op_sel:[0,0,1] op_sel_hi:[1,0,0]
	s_delay_alu instid0(VALU_DEP_1) | instskip(SKIP_1) | instid1(VALU_DEP_1)
	v_mov_b32_e32 v135, v129
	v_pk_mul_f32 v[128:129], v[130:131], v[120:121] op_sel:[0,1]
	v_pk_fma_f32 v[132:133], v[130:131], v[118:119], v[128:129] op_sel:[0,0,1] op_sel_hi:[1,1,0] neg_lo:[0,0,1] neg_hi:[0,0,1]
	v_pk_fma_f32 v[128:129], v[130:131], v[118:119], v[128:129] op_sel:[0,0,1] op_sel_hi:[1,0,0]
	s_delay_alu instid0(VALU_DEP_1)
	v_mov_b32_e32 v133, v129
	ds_load_2addr_b64 v[128:131], v122 offset0:45 offset1:46
	v_pk_add_f32 v[10:11], v[10:11], v[134:135] neg_lo:[0,1] neg_hi:[0,1]
	v_pk_add_f32 v[46:47], v[46:47], v[132:133] neg_lo:[0,1] neg_hi:[0,1]
	s_wait_dscnt 0x0
	v_pk_mul_f32 v[132:133], v[128:129], v[120:121] op_sel:[0,1]
	s_delay_alu instid0(VALU_DEP_1) | instskip(SKIP_1) | instid1(VALU_DEP_1)
	v_pk_fma_f32 v[134:135], v[128:129], v[118:119], v[132:133] op_sel:[0,0,1] op_sel_hi:[1,1,0] neg_lo:[0,0,1] neg_hi:[0,0,1]
	v_pk_fma_f32 v[128:129], v[128:129], v[118:119], v[132:133] op_sel:[0,0,1] op_sel_hi:[1,0,0]
	v_mov_b32_e32 v135, v129
	v_pk_mul_f32 v[128:129], v[130:131], v[120:121] op_sel:[0,1]
	s_delay_alu instid0(VALU_DEP_1) | instskip(SKIP_1) | instid1(VALU_DEP_1)
	v_pk_fma_f32 v[132:133], v[130:131], v[118:119], v[128:129] op_sel:[0,0,1] op_sel_hi:[1,1,0] neg_lo:[0,0,1] neg_hi:[0,0,1]
	v_pk_fma_f32 v[128:129], v[130:131], v[118:119], v[128:129] op_sel:[0,0,1] op_sel_hi:[1,0,0]
	v_mov_b32_e32 v133, v129
	ds_load_2addr_b64 v[128:131], v122 offset0:47 offset1:48
	v_pk_add_f32 v[42:43], v[42:43], v[134:135] neg_lo:[0,1] neg_hi:[0,1]
	v_pk_add_f32 v[44:45], v[44:45], v[132:133] neg_lo:[0,1] neg_hi:[0,1]
	s_wait_dscnt 0x0
	v_dual_mul_f32 v132, v129, v121 :: v_dual_mul_f32 v134, v129, v118
	s_delay_alu instid0(VALU_DEP_1) | instskip(NEXT) | instid1(VALU_DEP_2)
	v_pk_fma_f32 v[132:133], v[128:129], v[70:71], v[132:133] op_sel_hi:[1,1,0] neg_lo:[0,0,1] neg_hi:[0,0,1]
	v_pk_fma_f32 v[128:129], v[128:129], v[70:71], v[134:135] op_sel:[1,0,0] op_sel_hi:[0,1,0]
	s_delay_alu instid0(VALU_DEP_1) | instskip(SKIP_1) | instid1(VALU_DEP_2)
	v_mov_b32_e32 v133, v129
	v_pk_mul_f32 v[128:129], v[130:131], v[120:121] op_sel:[0,1]
	v_pk_add_f32 v[6:7], v[6:7], v[132:133] neg_lo:[0,1] neg_hi:[0,1]
	s_delay_alu instid0(VALU_DEP_2) | instskip(SKIP_1) | instid1(VALU_DEP_1)
	v_pk_fma_f32 v[132:133], v[130:131], v[118:119], v[128:129] op_sel:[0,0,1] op_sel_hi:[1,1,0] neg_lo:[0,0,1] neg_hi:[0,0,1]
	v_pk_fma_f32 v[128:129], v[130:131], v[118:119], v[128:129] op_sel:[0,0,1] op_sel_hi:[1,0,0]
	v_mov_b32_e32 v133, v129
	ds_load_2addr_b64 v[128:131], v122 offset0:49 offset1:50
	v_pk_add_f32 v[34:35], v[34:35], v[132:133] neg_lo:[0,1] neg_hi:[0,1]
	s_wait_dscnt 0x0
	v_pk_mul_f32 v[132:133], v[128:129], v[120:121] op_sel:[0,1]
	s_delay_alu instid0(VALU_DEP_1) | instskip(SKIP_1) | instid1(VALU_DEP_1)
	v_pk_fma_f32 v[134:135], v[128:129], v[118:119], v[132:133] op_sel:[0,0,1] op_sel_hi:[1,1,0] neg_lo:[0,0,1] neg_hi:[0,0,1]
	v_pk_fma_f32 v[128:129], v[128:129], v[118:119], v[132:133] op_sel:[0,0,1] op_sel_hi:[1,0,0]
	v_mov_b32_e32 v135, v129
	v_pk_mul_f32 v[128:129], v[130:131], v[120:121] op_sel:[0,1]
	s_delay_alu instid0(VALU_DEP_2) | instskip(NEXT) | instid1(VALU_DEP_2)
	v_pk_add_f32 v[28:29], v[28:29], v[134:135] neg_lo:[0,1] neg_hi:[0,1]
	v_pk_fma_f32 v[132:133], v[130:131], v[118:119], v[128:129] op_sel:[0,0,1] op_sel_hi:[1,1,0] neg_lo:[0,0,1] neg_hi:[0,0,1]
	v_pk_fma_f32 v[128:129], v[130:131], v[118:119], v[128:129] op_sel:[0,0,1] op_sel_hi:[1,0,0]
	s_delay_alu instid0(VALU_DEP_1) | instskip(SKIP_4) | instid1(VALU_DEP_1)
	v_mov_b32_e32 v133, v129
	ds_load_2addr_b64 v[128:131], v122 offset0:51 offset1:52
	v_pk_add_f32 v[32:33], v[32:33], v[132:133] neg_lo:[0,1] neg_hi:[0,1]
	s_wait_dscnt 0x0
	v_pk_mul_f32 v[132:133], v[128:129], v[120:121] op_sel:[0,1]
	v_pk_fma_f32 v[134:135], v[128:129], v[118:119], v[132:133] op_sel:[0,0,1] op_sel_hi:[1,1,0] neg_lo:[0,0,1] neg_hi:[0,0,1]
	v_pk_fma_f32 v[128:129], v[128:129], v[118:119], v[132:133] op_sel:[0,0,1] op_sel_hi:[1,0,0]
	v_dual_mul_f32 v132, v131, v121 :: v_dual_mov_b32 v128, v131
	s_delay_alu instid0(VALU_DEP_2) | instskip(NEXT) | instid1(VALU_DEP_2)
	v_dual_mov_b32 v135, v129 :: v_dual_mov_b32 v129, v130
	v_pk_fma_f32 v[132:133], v[130:131], v[70:71], v[132:133] op_sel_hi:[1,1,0] neg_lo:[0,0,1] neg_hi:[0,0,1]
	v_mul_f32_e32 v130, v131, v118
	s_delay_alu instid0(VALU_DEP_3) | instskip(NEXT) | instid1(VALU_DEP_2)
	v_pk_add_f32 v[8:9], v[8:9], v[134:135] neg_lo:[0,1] neg_hi:[0,1]
	v_pk_fma_f32 v[128:129], v[128:129], v[70:71], v[130:131] op_sel_hi:[1,1,0]
	s_delay_alu instid0(VALU_DEP_1) | instskip(SKIP_4) | instid1(VALU_DEP_1)
	v_mov_b32_e32 v133, v129
	ds_load_2addr_b64 v[128:131], v122 offset0:53 offset1:54
	v_pk_add_f32 v[26:27], v[26:27], v[132:133] neg_lo:[0,1] neg_hi:[0,1]
	s_wait_dscnt 0x0
	v_pk_mul_f32 v[132:133], v[128:129], v[120:121] op_sel:[0,1]
	v_pk_fma_f32 v[134:135], v[128:129], v[118:119], v[132:133] op_sel:[0,0,1] op_sel_hi:[1,1,0] neg_lo:[0,0,1] neg_hi:[0,0,1]
	v_pk_fma_f32 v[128:129], v[128:129], v[118:119], v[132:133] op_sel:[0,0,1] op_sel_hi:[1,0,0]
	s_delay_alu instid0(VALU_DEP_1) | instskip(SKIP_1) | instid1(VALU_DEP_1)
	v_mov_b32_e32 v135, v129
	v_pk_mul_f32 v[128:129], v[130:131], v[120:121] op_sel:[0,1]
	v_pk_fma_f32 v[132:133], v[130:131], v[118:119], v[128:129] op_sel:[0,0,1] op_sel_hi:[1,1,0] neg_lo:[0,0,1] neg_hi:[0,0,1]
	v_pk_fma_f32 v[128:129], v[130:131], v[118:119], v[128:129] op_sel:[0,0,1] op_sel_hi:[1,0,0]
	s_delay_alu instid0(VALU_DEP_1)
	v_mov_b32_e32 v133, v129
	ds_load_b64 v[128:129], v122 offset:440
	v_pk_add_f32 v[22:23], v[22:23], v[134:135] neg_lo:[0,1] neg_hi:[0,1]
	v_pk_add_f32 v[20:21], v[20:21], v[132:133] neg_lo:[0,1] neg_hi:[0,1]
	s_wait_dscnt 0x0
	v_pk_mul_f32 v[120:121], v[128:129], v[120:121] op_sel:[0,1]
	s_delay_alu instid0(VALU_DEP_1) | instskip(SKIP_1) | instid1(VALU_DEP_1)
	v_pk_fma_f32 v[130:131], v[128:129], v[118:119], v[120:121] op_sel:[0,0,1] op_sel_hi:[1,1,0] neg_lo:[0,0,1] neg_hi:[0,0,1]
	v_pk_fma_f32 v[118:119], v[128:129], v[118:119], v[120:121] op_sel:[0,0,1] op_sel_hi:[1,0,0]
	v_mov_b32_e32 v131, v119
	s_delay_alu instid0(VALU_DEP_1)
	v_pk_add_f32 v[116:117], v[116:117], v[130:131] neg_lo:[0,1] neg_hi:[0,1]
.LBB110_608:
	s_or_b32 exec_lo, exec_lo, s0
	v_lshl_add_u32 v118, v126, 3, v122
	s_barrier_signal -1
	s_barrier_wait -1
	ds_store_b64 v118, v[66:67]
	s_wait_dscnt 0x0
	s_barrier_signal -1
	s_barrier_wait -1
	ds_load_b64 v[120:121], v122 offset:232
	v_mov_b32_e32 v118, 29
	s_cmp_lt_i32 s18, 31
	s_cbranch_scc1 .LBB110_611
; %bb.609:
	v_add3_u32 v119, v123, 0, 0xf0
	v_mov_b32_e32 v118, 29
	s_mov_b32 s0, 30
.LBB110_610:                            ; =>This Inner Loop Header: Depth=1
	ds_load_b64 v[128:129], v119
	s_wait_dscnt 0x1
	v_cmp_gt_f32_e32 vcc_lo, 0, v120
	v_cndmask_b32_e64 v130, v120, -v120, vcc_lo
	v_cmp_gt_f32_e32 vcc_lo, 0, v121
	v_cndmask_b32_e64 v132, v121, -v121, vcc_lo
	s_wait_dscnt 0x0
	v_cmp_gt_f32_e32 vcc_lo, 0, v128
	v_cndmask_b32_e64 v131, v128, -v128, vcc_lo
	v_cmp_gt_f32_e32 vcc_lo, 0, v129
	v_cndmask_b32_e64 v133, v129, -v129, vcc_lo
	s_delay_alu instid0(VALU_DEP_1) | instskip(NEXT) | instid1(VALU_DEP_1)
	v_pk_add_f32 v[130:131], v[130:131], v[132:133]
	v_cmp_lt_f32_e32 vcc_lo, v130, v131
	v_dual_add_nc_u32 v119, 8, v119 :: v_dual_cndmask_b32 v121, v121, v129, vcc_lo
	v_cndmask_b32_e32 v120, v120, v128, vcc_lo
	v_cndmask_b32_e64 v118, v118, s0, vcc_lo
	s_add_co_i32 s0, s0, 1
	s_delay_alu instid0(SALU_CYCLE_1)
	s_cmp_lg_u32 s18, s0
	s_cbranch_scc1 .LBB110_610
.LBB110_611:
	s_wait_dscnt 0x0
	v_cmp_eq_f32_e32 vcc_lo, 0, v120
	v_cmp_eq_f32_e64 s0, 0, v121
	s_and_b32 s0, vcc_lo, s0
	s_delay_alu instid0(SALU_CYCLE_1) | instskip(NEXT) | instid1(SALU_CYCLE_1)
	s_and_saveexec_b32 s1, s0
	s_xor_b32 s0, exec_lo, s1
; %bb.612:
	v_cmp_ne_u32_e32 vcc_lo, 0, v124
	v_cndmask_b32_e32 v124, 30, v124, vcc_lo
; %bb.613:
	s_and_not1_saveexec_b32 s0, s0
	s_cbranch_execz .LBB110_619
; %bb.614:
	v_cmp_ngt_f32_e64 s1, |v120|, |v121|
	s_and_saveexec_b32 s12, s1
	s_delay_alu instid0(SALU_CYCLE_1)
	s_xor_b32 s1, exec_lo, s12
	s_cbranch_execz .LBB110_616
; %bb.615:
	v_div_scale_f32 v119, null, v121, v121, v120
	v_div_scale_f32 v129, vcc_lo, v120, v121, v120
	s_delay_alu instid0(VALU_DEP_2) | instskip(SKIP_1) | instid1(TRANS32_DEP_1)
	v_rcp_f32_e32 v127, v119
	v_nop
	v_fma_f32 v128, -v119, v127, 1.0
	s_delay_alu instid0(VALU_DEP_1) | instskip(NEXT) | instid1(VALU_DEP_1)
	v_fmac_f32_e32 v127, v128, v127
	v_mul_f32_e32 v128, v129, v127
	s_delay_alu instid0(VALU_DEP_1) | instskip(NEXT) | instid1(VALU_DEP_1)
	v_fma_f32 v130, -v119, v128, v129
	v_fmac_f32_e32 v128, v130, v127
	s_delay_alu instid0(VALU_DEP_1) | instskip(NEXT) | instid1(VALU_DEP_1)
	v_fma_f32 v119, -v119, v128, v129
	v_div_fmas_f32 v119, v119, v127, v128
	s_delay_alu instid0(VALU_DEP_1) | instskip(NEXT) | instid1(VALU_DEP_1)
	v_div_fixup_f32 v119, v119, v121, v120
	v_fmac_f32_e32 v121, v120, v119
	s_delay_alu instid0(VALU_DEP_1) | instskip(SKIP_1) | instid1(VALU_DEP_2)
	v_div_scale_f32 v120, null, v121, v121, 1.0
	v_div_scale_f32 v129, vcc_lo, 1.0, v121, 1.0
	v_rcp_f32_e32 v127, v120
	v_nop
	s_delay_alu instid0(TRANS32_DEP_1) | instskip(NEXT) | instid1(VALU_DEP_1)
	v_fma_f32 v128, -v120, v127, 1.0
	v_fmac_f32_e32 v127, v128, v127
	s_delay_alu instid0(VALU_DEP_1) | instskip(NEXT) | instid1(VALU_DEP_1)
	v_mul_f32_e32 v128, v129, v127
	v_fma_f32 v130, -v120, v128, v129
	s_delay_alu instid0(VALU_DEP_1) | instskip(NEXT) | instid1(VALU_DEP_1)
	v_fmac_f32_e32 v128, v130, v127
	v_fma_f32 v120, -v120, v128, v129
	s_delay_alu instid0(VALU_DEP_1) | instskip(NEXT) | instid1(VALU_DEP_1)
	v_div_fmas_f32 v120, v120, v127, v128
	v_div_fixup_f32 v121, v120, v121, 1.0
	s_delay_alu instid0(VALU_DEP_1)
	v_mul_f32_e32 v120, v119, v121
	v_xor_b32_e32 v121, 0x80000000, v121
.LBB110_616:
	s_and_not1_saveexec_b32 s1, s1
	s_cbranch_execz .LBB110_618
; %bb.617:
	s_delay_alu instid0(VALU_DEP_1) | instskip(SKIP_1) | instid1(VALU_DEP_2)
	v_div_scale_f32 v119, null, v120, v120, v121
	v_div_scale_f32 v129, vcc_lo, v121, v120, v121
	v_rcp_f32_e32 v127, v119
	v_nop
	s_delay_alu instid0(TRANS32_DEP_1) | instskip(NEXT) | instid1(VALU_DEP_1)
	v_fma_f32 v128, -v119, v127, 1.0
	v_fmac_f32_e32 v127, v128, v127
	s_delay_alu instid0(VALU_DEP_1) | instskip(NEXT) | instid1(VALU_DEP_1)
	v_mul_f32_e32 v128, v129, v127
	v_fma_f32 v130, -v119, v128, v129
	s_delay_alu instid0(VALU_DEP_1) | instskip(NEXT) | instid1(VALU_DEP_1)
	v_fmac_f32_e32 v128, v130, v127
	v_fma_f32 v119, -v119, v128, v129
	s_delay_alu instid0(VALU_DEP_1) | instskip(NEXT) | instid1(VALU_DEP_1)
	v_div_fmas_f32 v119, v119, v127, v128
	v_div_fixup_f32 v119, v119, v120, v121
	s_delay_alu instid0(VALU_DEP_1) | instskip(NEXT) | instid1(VALU_DEP_1)
	v_fmac_f32_e32 v120, v121, v119
	v_div_scale_f32 v121, null, v120, v120, 1.0
	s_delay_alu instid0(VALU_DEP_1) | instskip(SKIP_1) | instid1(TRANS32_DEP_1)
	v_rcp_f32_e32 v127, v121
	v_nop
	v_fma_f32 v128, -v121, v127, 1.0
	s_delay_alu instid0(VALU_DEP_1) | instskip(SKIP_1) | instid1(VALU_DEP_1)
	v_fmac_f32_e32 v127, v128, v127
	v_div_scale_f32 v128, vcc_lo, 1.0, v120, 1.0
	v_mul_f32_e32 v129, v128, v127
	s_delay_alu instid0(VALU_DEP_1) | instskip(NEXT) | instid1(VALU_DEP_1)
	v_fma_f32 v130, -v121, v129, v128
	v_fmac_f32_e32 v129, v130, v127
	s_delay_alu instid0(VALU_DEP_1) | instskip(NEXT) | instid1(VALU_DEP_1)
	v_fma_f32 v121, -v121, v129, v128
	v_div_fmas_f32 v121, v121, v127, v129
	s_delay_alu instid0(VALU_DEP_1) | instskip(NEXT) | instid1(VALU_DEP_1)
	v_div_fixup_f32 v120, v121, v120, 1.0
	v_mul_f32_e64 v121, v119, -v120
.LBB110_618:
	s_or_b32 exec_lo, exec_lo, s1
.LBB110_619:
	s_delay_alu instid0(SALU_CYCLE_1) | instskip(NEXT) | instid1(SALU_CYCLE_1)
	s_or_b32 exec_lo, exec_lo, s0
	s_mov_b32 s0, exec_lo
	v_cmpx_ne_u32_e64 v126, v118
	s_xor_b32 s0, exec_lo, s0
	s_cbranch_execz .LBB110_625
; %bb.620:
	s_mov_b32 s1, exec_lo
	v_cmpx_eq_u32_e32 29, v126
	s_cbranch_execz .LBB110_624
; %bb.621:
	v_cmp_ne_u32_e32 vcc_lo, 29, v118
	s_xor_b32 s12, s16, -1
	s_delay_alu instid0(SALU_CYCLE_1) | instskip(NEXT) | instid1(SALU_CYCLE_1)
	s_and_b32 s13, s12, vcc_lo
	s_and_saveexec_b32 s12, s13
	s_cbranch_execz .LBB110_623
; %bb.622:
	v_ashrrev_i32_e32 v119, 31, v118
	s_delay_alu instid0(VALU_DEP_1)
	v_lshl_add_u64 v[126:127], v[118:119], 2, v[4:5]
	s_clause 0x1
	global_load_b32 v119, v[126:127], off
	global_load_b32 v125, v[4:5], off offset:116
	s_wait_loadcnt 0x1
	global_store_b32 v[4:5], v119, off offset:116
	s_wait_loadcnt 0x0
	global_store_b32 v[126:127], v125, off
.LBB110_623:
	s_wait_xcnt 0x0
	s_or_b32 exec_lo, exec_lo, s12
	v_dual_mov_b32 v126, v118 :: v_dual_mov_b32 v125, v118
.LBB110_624:
	s_or_b32 exec_lo, exec_lo, s1
.LBB110_625:
	s_and_not1_saveexec_b32 s0, s0
	s_cbranch_execz .LBB110_627
; %bb.626:
	v_dual_mov_b32 v118, v68 :: v_dual_mov_b32 v119, v69
	v_dual_mov_b32 v126, v16 :: v_dual_mov_b32 v127, v17
	ds_store_2addr_b64 v122, v[118:119], v[126:127] offset0:30 offset1:31
	v_dual_mov_b32 v118, v64 :: v_dual_mov_b32 v119, v65
	v_dual_mov_b32 v126, v60 :: v_dual_mov_b32 v127, v61
	ds_store_2addr_b64 v122, v[118:119], v[126:127] offset0:32 offset1:33
	;; [unrolled: 3-line block ×12, first 2 shown]
	v_dual_mov_b32 v118, v20 :: v_dual_mov_b32 v119, v21
	v_mov_b32_e32 v126, 29
	ds_store_2addr_b64 v122, v[118:119], v[116:117] offset0:54 offset1:55
.LBB110_627:
	s_or_b32 exec_lo, exec_lo, s0
	s_delay_alu instid0(SALU_CYCLE_1)
	s_mov_b32 s0, exec_lo
	s_wait_storecnt_dscnt 0x0
	s_barrier_signal -1
	s_barrier_wait -1
	v_cmpx_lt_i32_e32 29, v126
	s_cbranch_execz .LBB110_629
; %bb.628:
	v_pk_mul_f32 v[128:129], v[120:121], v[66:67] op_sel:[1,1] op_sel_hi:[0,1]
	s_delay_alu instid0(VALU_DEP_1)
	v_pk_fma_f32 v[118:119], v[120:121], v[66:67], v[128:129] op_sel_hi:[1,0,1] neg_lo:[0,0,1] neg_hi:[0,0,1]
	v_pk_fma_f32 v[120:121], v[120:121], v[66:67], v[128:129] op_sel_hi:[1,0,1]
	ds_load_2addr_b64 v[128:131], v122 offset0:30 offset1:31
	v_dual_mov_b32 v66, v118 :: v_dual_mov_b32 v67, v121
	s_wait_dscnt 0x0
	v_pk_mul_f32 v[132:133], v[128:129], v[120:121] op_sel:[0,1]
	s_delay_alu instid0(VALU_DEP_1) | instskip(SKIP_1) | instid1(VALU_DEP_1)
	v_pk_fma_f32 v[134:135], v[128:129], v[118:119], v[132:133] op_sel:[0,0,1] op_sel_hi:[1,1,0] neg_lo:[0,0,1] neg_hi:[0,0,1]
	v_pk_fma_f32 v[128:129], v[128:129], v[118:119], v[132:133] op_sel:[0,0,1] op_sel_hi:[1,0,0]
	v_mov_b32_e32 v135, v129
	v_pk_mul_f32 v[128:129], v[130:131], v[120:121] op_sel:[0,1]
	s_delay_alu instid0(VALU_DEP_1) | instskip(SKIP_1) | instid1(VALU_DEP_1)
	v_pk_fma_f32 v[132:133], v[130:131], v[118:119], v[128:129] op_sel:[0,0,1] op_sel_hi:[1,1,0] neg_lo:[0,0,1] neg_hi:[0,0,1]
	v_pk_fma_f32 v[128:129], v[130:131], v[118:119], v[128:129] op_sel:[0,0,1] op_sel_hi:[1,0,0]
	v_mov_b32_e32 v133, v129
	ds_load_2addr_b64 v[128:131], v122 offset0:32 offset1:33
	v_pk_add_f32 v[68:69], v[68:69], v[134:135] neg_lo:[0,1] neg_hi:[0,1]
	v_pk_add_f32 v[16:17], v[16:17], v[132:133] neg_lo:[0,1] neg_hi:[0,1]
	s_wait_dscnt 0x0
	v_pk_mul_f32 v[132:133], v[128:129], v[120:121] op_sel:[0,1]
	s_delay_alu instid0(VALU_DEP_1) | instskip(SKIP_2) | instid1(VALU_DEP_2)
	v_pk_fma_f32 v[134:135], v[128:129], v[118:119], v[132:133] op_sel:[0,0,1] op_sel_hi:[1,1,0] neg_lo:[0,0,1] neg_hi:[0,0,1]
	v_pk_fma_f32 v[128:129], v[128:129], v[118:119], v[132:133] op_sel:[0,0,1] op_sel_hi:[1,0,0]
	v_dual_mul_f32 v132, v131, v121 :: v_dual_mov_b32 v128, v131
	v_dual_mov_b32 v135, v129 :: v_dual_mov_b32 v129, v130
	s_delay_alu instid0(VALU_DEP_2) | instskip(SKIP_1) | instid1(VALU_DEP_3)
	v_pk_fma_f32 v[132:133], v[130:131], v[66:67], v[132:133] op_sel_hi:[1,1,0] neg_lo:[0,0,1] neg_hi:[0,0,1]
	v_mul_f32_e32 v130, v131, v118
	v_pk_add_f32 v[64:65], v[64:65], v[134:135] neg_lo:[0,1] neg_hi:[0,1]
	s_delay_alu instid0(VALU_DEP_2) | instskip(NEXT) | instid1(VALU_DEP_1)
	v_pk_fma_f32 v[128:129], v[128:129], v[66:67], v[130:131] op_sel_hi:[1,1,0]
	v_mov_b32_e32 v133, v129
	ds_load_2addr_b64 v[128:131], v122 offset0:34 offset1:35
	v_pk_add_f32 v[60:61], v[60:61], v[132:133] neg_lo:[0,1] neg_hi:[0,1]
	s_wait_dscnt 0x0
	v_pk_mul_f32 v[132:133], v[128:129], v[120:121] op_sel:[0,1]
	s_delay_alu instid0(VALU_DEP_1) | instskip(SKIP_1) | instid1(VALU_DEP_1)
	v_pk_fma_f32 v[134:135], v[128:129], v[118:119], v[132:133] op_sel:[0,0,1] op_sel_hi:[1,1,0] neg_lo:[0,0,1] neg_hi:[0,0,1]
	v_pk_fma_f32 v[128:129], v[128:129], v[118:119], v[132:133] op_sel:[0,0,1] op_sel_hi:[1,0,0]
	v_mov_b32_e32 v135, v129
	v_pk_mul_f32 v[128:129], v[130:131], v[120:121] op_sel:[0,1]
	s_delay_alu instid0(VALU_DEP_1) | instskip(SKIP_1) | instid1(VALU_DEP_1)
	v_pk_fma_f32 v[132:133], v[130:131], v[118:119], v[128:129] op_sel:[0,0,1] op_sel_hi:[1,1,0] neg_lo:[0,0,1] neg_hi:[0,0,1]
	v_pk_fma_f32 v[128:129], v[130:131], v[118:119], v[128:129] op_sel:[0,0,1] op_sel_hi:[1,0,0]
	v_mov_b32_e32 v133, v129
	ds_load_2addr_b64 v[128:131], v122 offset0:36 offset1:37
	v_pk_add_f32 v[62:63], v[62:63], v[134:135] neg_lo:[0,1] neg_hi:[0,1]
	v_pk_add_f32 v[14:15], v[14:15], v[132:133] neg_lo:[0,1] neg_hi:[0,1]
	s_wait_dscnt 0x0
	v_pk_mul_f32 v[132:133], v[128:129], v[120:121] op_sel:[0,1]
	s_delay_alu instid0(VALU_DEP_1) | instskip(SKIP_1) | instid1(VALU_DEP_1)
	v_pk_fma_f32 v[134:135], v[128:129], v[118:119], v[132:133] op_sel:[0,0,1] op_sel_hi:[1,1,0] neg_lo:[0,0,1] neg_hi:[0,0,1]
	v_pk_fma_f32 v[128:129], v[128:129], v[118:119], v[132:133] op_sel:[0,0,1] op_sel_hi:[1,0,0]
	v_mov_b32_e32 v135, v129
	v_pk_mul_f32 v[128:129], v[130:131], v[120:121] op_sel:[0,1]
	s_delay_alu instid0(VALU_DEP_1) | instskip(SKIP_1) | instid1(VALU_DEP_1)
	v_pk_fma_f32 v[132:133], v[130:131], v[118:119], v[128:129] op_sel:[0,0,1] op_sel_hi:[1,1,0] neg_lo:[0,0,1] neg_hi:[0,0,1]
	v_pk_fma_f32 v[128:129], v[130:131], v[118:119], v[128:129] op_sel:[0,0,1] op_sel_hi:[1,0,0]
	v_mov_b32_e32 v133, v129
	ds_load_2addr_b64 v[128:131], v122 offset0:38 offset1:39
	v_pk_add_f32 v[58:59], v[58:59], v[134:135] neg_lo:[0,1] neg_hi:[0,1]
	v_pk_add_f32 v[54:55], v[54:55], v[132:133] neg_lo:[0,1] neg_hi:[0,1]
	s_wait_dscnt 0x0
	v_dual_mul_f32 v132, v129, v121 :: v_dual_mul_f32 v134, v129, v118
	s_delay_alu instid0(VALU_DEP_1) | instskip(NEXT) | instid1(VALU_DEP_2)
	v_pk_fma_f32 v[132:133], v[128:129], v[66:67], v[132:133] op_sel_hi:[1,1,0] neg_lo:[0,0,1] neg_hi:[0,0,1]
	v_pk_fma_f32 v[128:129], v[128:129], v[66:67], v[134:135] op_sel:[1,0,0] op_sel_hi:[0,1,0]
	s_delay_alu instid0(VALU_DEP_1) | instskip(SKIP_1) | instid1(VALU_DEP_2)
	v_mov_b32_e32 v133, v129
	v_pk_mul_f32 v[128:129], v[130:131], v[120:121] op_sel:[0,1]
	v_pk_add_f32 v[56:57], v[56:57], v[132:133] neg_lo:[0,1] neg_hi:[0,1]
	s_delay_alu instid0(VALU_DEP_2) | instskip(SKIP_1) | instid1(VALU_DEP_1)
	v_pk_fma_f32 v[132:133], v[130:131], v[118:119], v[128:129] op_sel:[0,0,1] op_sel_hi:[1,1,0] neg_lo:[0,0,1] neg_hi:[0,0,1]
	v_pk_fma_f32 v[128:129], v[130:131], v[118:119], v[128:129] op_sel:[0,0,1] op_sel_hi:[1,0,0]
	v_mov_b32_e32 v133, v129
	ds_load_2addr_b64 v[128:131], v122 offset0:40 offset1:41
	v_pk_add_f32 v[12:13], v[12:13], v[132:133] neg_lo:[0,1] neg_hi:[0,1]
	s_wait_dscnt 0x0
	v_pk_mul_f32 v[132:133], v[128:129], v[120:121] op_sel:[0,1]
	s_delay_alu instid0(VALU_DEP_1) | instskip(SKIP_1) | instid1(VALU_DEP_1)
	v_pk_fma_f32 v[134:135], v[128:129], v[118:119], v[132:133] op_sel:[0,0,1] op_sel_hi:[1,1,0] neg_lo:[0,0,1] neg_hi:[0,0,1]
	v_pk_fma_f32 v[128:129], v[128:129], v[118:119], v[132:133] op_sel:[0,0,1] op_sel_hi:[1,0,0]
	v_mov_b32_e32 v135, v129
	v_pk_mul_f32 v[128:129], v[130:131], v[120:121] op_sel:[0,1]
	s_delay_alu instid0(VALU_DEP_2) | instskip(NEXT) | instid1(VALU_DEP_2)
	v_pk_add_f32 v[52:53], v[52:53], v[134:135] neg_lo:[0,1] neg_hi:[0,1]
	v_pk_fma_f32 v[132:133], v[130:131], v[118:119], v[128:129] op_sel:[0,0,1] op_sel_hi:[1,1,0] neg_lo:[0,0,1] neg_hi:[0,0,1]
	v_pk_fma_f32 v[128:129], v[130:131], v[118:119], v[128:129] op_sel:[0,0,1] op_sel_hi:[1,0,0]
	s_delay_alu instid0(VALU_DEP_1) | instskip(SKIP_4) | instid1(VALU_DEP_1)
	v_mov_b32_e32 v133, v129
	ds_load_2addr_b64 v[128:131], v122 offset0:42 offset1:43
	v_pk_add_f32 v[48:49], v[48:49], v[132:133] neg_lo:[0,1] neg_hi:[0,1]
	s_wait_dscnt 0x0
	v_pk_mul_f32 v[132:133], v[128:129], v[120:121] op_sel:[0,1]
	v_pk_fma_f32 v[134:135], v[128:129], v[118:119], v[132:133] op_sel:[0,0,1] op_sel_hi:[1,1,0] neg_lo:[0,0,1] neg_hi:[0,0,1]
	v_pk_fma_f32 v[128:129], v[128:129], v[118:119], v[132:133] op_sel:[0,0,1] op_sel_hi:[1,0,0]
	v_dual_mul_f32 v132, v131, v121 :: v_dual_mov_b32 v128, v131
	s_delay_alu instid0(VALU_DEP_2) | instskip(NEXT) | instid1(VALU_DEP_2)
	v_dual_mov_b32 v135, v129 :: v_dual_mov_b32 v129, v130
	v_pk_fma_f32 v[132:133], v[130:131], v[66:67], v[132:133] op_sel_hi:[1,1,0] neg_lo:[0,0,1] neg_hi:[0,0,1]
	v_mul_f32_e32 v130, v131, v118
	s_delay_alu instid0(VALU_DEP_3) | instskip(NEXT) | instid1(VALU_DEP_2)
	v_pk_add_f32 v[50:51], v[50:51], v[134:135] neg_lo:[0,1] neg_hi:[0,1]
	v_pk_fma_f32 v[128:129], v[128:129], v[66:67], v[130:131] op_sel_hi:[1,1,0]
	s_delay_alu instid0(VALU_DEP_1) | instskip(SKIP_4) | instid1(VALU_DEP_1)
	v_mov_b32_e32 v133, v129
	ds_load_2addr_b64 v[128:131], v122 offset0:44 offset1:45
	v_pk_add_f32 v[10:11], v[10:11], v[132:133] neg_lo:[0,1] neg_hi:[0,1]
	s_wait_dscnt 0x0
	v_pk_mul_f32 v[132:133], v[128:129], v[120:121] op_sel:[0,1]
	v_pk_fma_f32 v[134:135], v[128:129], v[118:119], v[132:133] op_sel:[0,0,1] op_sel_hi:[1,1,0] neg_lo:[0,0,1] neg_hi:[0,0,1]
	v_pk_fma_f32 v[128:129], v[128:129], v[118:119], v[132:133] op_sel:[0,0,1] op_sel_hi:[1,0,0]
	s_delay_alu instid0(VALU_DEP_1) | instskip(SKIP_1) | instid1(VALU_DEP_1)
	v_mov_b32_e32 v135, v129
	v_pk_mul_f32 v[128:129], v[130:131], v[120:121] op_sel:[0,1]
	v_pk_fma_f32 v[132:133], v[130:131], v[118:119], v[128:129] op_sel:[0,0,1] op_sel_hi:[1,1,0] neg_lo:[0,0,1] neg_hi:[0,0,1]
	v_pk_fma_f32 v[128:129], v[130:131], v[118:119], v[128:129] op_sel:[0,0,1] op_sel_hi:[1,0,0]
	s_delay_alu instid0(VALU_DEP_1)
	v_mov_b32_e32 v133, v129
	ds_load_2addr_b64 v[128:131], v122 offset0:46 offset1:47
	v_pk_add_f32 v[46:47], v[46:47], v[134:135] neg_lo:[0,1] neg_hi:[0,1]
	v_pk_add_f32 v[42:43], v[42:43], v[132:133] neg_lo:[0,1] neg_hi:[0,1]
	s_wait_dscnt 0x0
	v_pk_mul_f32 v[132:133], v[128:129], v[120:121] op_sel:[0,1]
	s_delay_alu instid0(VALU_DEP_1) | instskip(SKIP_1) | instid1(VALU_DEP_1)
	v_pk_fma_f32 v[134:135], v[128:129], v[118:119], v[132:133] op_sel:[0,0,1] op_sel_hi:[1,1,0] neg_lo:[0,0,1] neg_hi:[0,0,1]
	v_pk_fma_f32 v[128:129], v[128:129], v[118:119], v[132:133] op_sel:[0,0,1] op_sel_hi:[1,0,0]
	v_mov_b32_e32 v135, v129
	v_pk_mul_f32 v[128:129], v[130:131], v[120:121] op_sel:[0,1]
	s_delay_alu instid0(VALU_DEP_1) | instskip(SKIP_1) | instid1(VALU_DEP_1)
	v_pk_fma_f32 v[132:133], v[130:131], v[118:119], v[128:129] op_sel:[0,0,1] op_sel_hi:[1,1,0] neg_lo:[0,0,1] neg_hi:[0,0,1]
	v_pk_fma_f32 v[128:129], v[130:131], v[118:119], v[128:129] op_sel:[0,0,1] op_sel_hi:[1,0,0]
	v_mov_b32_e32 v133, v129
	ds_load_2addr_b64 v[128:131], v122 offset0:48 offset1:49
	v_pk_add_f32 v[44:45], v[44:45], v[134:135] neg_lo:[0,1] neg_hi:[0,1]
	v_pk_add_f32 v[6:7], v[6:7], v[132:133] neg_lo:[0,1] neg_hi:[0,1]
	s_wait_dscnt 0x0
	v_dual_mul_f32 v132, v129, v121 :: v_dual_mul_f32 v134, v129, v118
	s_delay_alu instid0(VALU_DEP_1) | instskip(NEXT) | instid1(VALU_DEP_2)
	v_pk_fma_f32 v[132:133], v[128:129], v[66:67], v[132:133] op_sel_hi:[1,1,0] neg_lo:[0,0,1] neg_hi:[0,0,1]
	v_pk_fma_f32 v[128:129], v[128:129], v[66:67], v[134:135] op_sel:[1,0,0] op_sel_hi:[0,1,0]
	s_delay_alu instid0(VALU_DEP_1) | instskip(SKIP_1) | instid1(VALU_DEP_2)
	v_mov_b32_e32 v133, v129
	v_pk_mul_f32 v[128:129], v[130:131], v[120:121] op_sel:[0,1]
	v_pk_add_f32 v[34:35], v[34:35], v[132:133] neg_lo:[0,1] neg_hi:[0,1]
	s_delay_alu instid0(VALU_DEP_2) | instskip(SKIP_1) | instid1(VALU_DEP_1)
	v_pk_fma_f32 v[132:133], v[130:131], v[118:119], v[128:129] op_sel:[0,0,1] op_sel_hi:[1,1,0] neg_lo:[0,0,1] neg_hi:[0,0,1]
	v_pk_fma_f32 v[128:129], v[130:131], v[118:119], v[128:129] op_sel:[0,0,1] op_sel_hi:[1,0,0]
	v_mov_b32_e32 v133, v129
	ds_load_2addr_b64 v[128:131], v122 offset0:50 offset1:51
	v_pk_add_f32 v[28:29], v[28:29], v[132:133] neg_lo:[0,1] neg_hi:[0,1]
	s_wait_dscnt 0x0
	v_pk_mul_f32 v[132:133], v[128:129], v[120:121] op_sel:[0,1]
	s_delay_alu instid0(VALU_DEP_1) | instskip(SKIP_1) | instid1(VALU_DEP_1)
	v_pk_fma_f32 v[134:135], v[128:129], v[118:119], v[132:133] op_sel:[0,0,1] op_sel_hi:[1,1,0] neg_lo:[0,0,1] neg_hi:[0,0,1]
	v_pk_fma_f32 v[128:129], v[128:129], v[118:119], v[132:133] op_sel:[0,0,1] op_sel_hi:[1,0,0]
	v_mov_b32_e32 v135, v129
	v_pk_mul_f32 v[128:129], v[130:131], v[120:121] op_sel:[0,1]
	s_delay_alu instid0(VALU_DEP_2) | instskip(NEXT) | instid1(VALU_DEP_2)
	v_pk_add_f32 v[32:33], v[32:33], v[134:135] neg_lo:[0,1] neg_hi:[0,1]
	v_pk_fma_f32 v[132:133], v[130:131], v[118:119], v[128:129] op_sel:[0,0,1] op_sel_hi:[1,1,0] neg_lo:[0,0,1] neg_hi:[0,0,1]
	v_pk_fma_f32 v[128:129], v[130:131], v[118:119], v[128:129] op_sel:[0,0,1] op_sel_hi:[1,0,0]
	s_delay_alu instid0(VALU_DEP_1) | instskip(SKIP_4) | instid1(VALU_DEP_1)
	v_mov_b32_e32 v133, v129
	ds_load_2addr_b64 v[128:131], v122 offset0:52 offset1:53
	v_pk_add_f32 v[8:9], v[8:9], v[132:133] neg_lo:[0,1] neg_hi:[0,1]
	s_wait_dscnt 0x0
	v_pk_mul_f32 v[132:133], v[128:129], v[120:121] op_sel:[0,1]
	v_pk_fma_f32 v[134:135], v[128:129], v[118:119], v[132:133] op_sel:[0,0,1] op_sel_hi:[1,1,0] neg_lo:[0,0,1] neg_hi:[0,0,1]
	v_pk_fma_f32 v[128:129], v[128:129], v[118:119], v[132:133] op_sel:[0,0,1] op_sel_hi:[1,0,0]
	v_dual_mul_f32 v132, v131, v121 :: v_dual_mov_b32 v128, v131
	s_delay_alu instid0(VALU_DEP_2) | instskip(NEXT) | instid1(VALU_DEP_2)
	v_dual_mov_b32 v135, v129 :: v_dual_mov_b32 v129, v130
	v_pk_fma_f32 v[132:133], v[130:131], v[66:67], v[132:133] op_sel_hi:[1,1,0] neg_lo:[0,0,1] neg_hi:[0,0,1]
	v_mul_f32_e32 v130, v131, v118
	s_delay_alu instid0(VALU_DEP_3) | instskip(NEXT) | instid1(VALU_DEP_2)
	v_pk_add_f32 v[26:27], v[26:27], v[134:135] neg_lo:[0,1] neg_hi:[0,1]
	v_pk_fma_f32 v[128:129], v[128:129], v[66:67], v[130:131] op_sel_hi:[1,1,0]
	s_delay_alu instid0(VALU_DEP_1)
	v_mov_b32_e32 v133, v129
	ds_load_2addr_b64 v[128:131], v122 offset0:54 offset1:55
	v_pk_add_f32 v[22:23], v[22:23], v[132:133] neg_lo:[0,1] neg_hi:[0,1]
	s_wait_dscnt 0x0
	v_pk_mul_f32 v[132:133], v[128:129], v[120:121] op_sel:[0,1]
	v_pk_mul_f32 v[120:121], v[130:131], v[120:121] op_sel:[0,1]
	s_delay_alu instid0(VALU_DEP_2) | instskip(SKIP_1) | instid1(VALU_DEP_1)
	v_pk_fma_f32 v[134:135], v[128:129], v[118:119], v[132:133] op_sel:[0,0,1] op_sel_hi:[1,1,0] neg_lo:[0,0,1] neg_hi:[0,0,1]
	v_pk_fma_f32 v[128:129], v[128:129], v[118:119], v[132:133] op_sel:[0,0,1] op_sel_hi:[1,0,0]
	v_mov_b32_e32 v135, v129
	s_delay_alu instid0(VALU_DEP_4) | instskip(SKIP_1) | instid1(VALU_DEP_1)
	v_pk_fma_f32 v[128:129], v[130:131], v[118:119], v[120:121] op_sel:[0,0,1] op_sel_hi:[1,1,0] neg_lo:[0,0,1] neg_hi:[0,0,1]
	v_pk_fma_f32 v[118:119], v[130:131], v[118:119], v[120:121] op_sel:[0,0,1] op_sel_hi:[1,0,0]
	v_mov_b32_e32 v129, v119
	s_delay_alu instid0(VALU_DEP_4) | instskip(NEXT) | instid1(VALU_DEP_2)
	v_pk_add_f32 v[20:21], v[20:21], v[134:135] neg_lo:[0,1] neg_hi:[0,1]
	v_pk_add_f32 v[116:117], v[116:117], v[128:129] neg_lo:[0,1] neg_hi:[0,1]
.LBB110_629:
	s_or_b32 exec_lo, exec_lo, s0
	v_lshl_add_u32 v118, v126, 3, v122
	s_barrier_signal -1
	s_barrier_wait -1
	ds_store_b64 v118, v[68:69]
	s_wait_dscnt 0x0
	s_barrier_signal -1
	s_barrier_wait -1
	ds_load_b64 v[120:121], v122 offset:240
	v_mov_b32_e32 v118, 30
	s_cmp_lt_i32 s18, 32
	s_cbranch_scc1 .LBB110_632
; %bb.630:
	v_add3_u32 v119, v123, 0, 0xf8
	v_mov_b32_e32 v118, 30
	s_mov_b32 s0, 31
.LBB110_631:                            ; =>This Inner Loop Header: Depth=1
	ds_load_b64 v[128:129], v119
	s_wait_dscnt 0x1
	v_cmp_gt_f32_e32 vcc_lo, 0, v120
	v_cndmask_b32_e64 v130, v120, -v120, vcc_lo
	v_cmp_gt_f32_e32 vcc_lo, 0, v121
	v_cndmask_b32_e64 v132, v121, -v121, vcc_lo
	s_wait_dscnt 0x0
	v_cmp_gt_f32_e32 vcc_lo, 0, v128
	v_cndmask_b32_e64 v131, v128, -v128, vcc_lo
	v_cmp_gt_f32_e32 vcc_lo, 0, v129
	v_cndmask_b32_e64 v133, v129, -v129, vcc_lo
	s_delay_alu instid0(VALU_DEP_1) | instskip(NEXT) | instid1(VALU_DEP_1)
	v_pk_add_f32 v[130:131], v[130:131], v[132:133]
	v_cmp_lt_f32_e32 vcc_lo, v130, v131
	v_dual_add_nc_u32 v119, 8, v119 :: v_dual_cndmask_b32 v121, v121, v129, vcc_lo
	v_cndmask_b32_e32 v120, v120, v128, vcc_lo
	v_cndmask_b32_e64 v118, v118, s0, vcc_lo
	s_add_co_i32 s0, s0, 1
	s_delay_alu instid0(SALU_CYCLE_1)
	s_cmp_lg_u32 s18, s0
	s_cbranch_scc1 .LBB110_631
.LBB110_632:
	s_wait_dscnt 0x0
	v_cmp_eq_f32_e32 vcc_lo, 0, v120
	v_cmp_eq_f32_e64 s0, 0, v121
	s_and_b32 s0, vcc_lo, s0
	s_delay_alu instid0(SALU_CYCLE_1) | instskip(NEXT) | instid1(SALU_CYCLE_1)
	s_and_saveexec_b32 s1, s0
	s_xor_b32 s0, exec_lo, s1
; %bb.633:
	v_cmp_ne_u32_e32 vcc_lo, 0, v124
	v_cndmask_b32_e32 v124, 31, v124, vcc_lo
; %bb.634:
	s_and_not1_saveexec_b32 s0, s0
	s_cbranch_execz .LBB110_640
; %bb.635:
	v_cmp_ngt_f32_e64 s1, |v120|, |v121|
	s_and_saveexec_b32 s12, s1
	s_delay_alu instid0(SALU_CYCLE_1)
	s_xor_b32 s1, exec_lo, s12
	s_cbranch_execz .LBB110_637
; %bb.636:
	v_div_scale_f32 v119, null, v121, v121, v120
	v_div_scale_f32 v129, vcc_lo, v120, v121, v120
	s_delay_alu instid0(VALU_DEP_2) | instskip(SKIP_1) | instid1(TRANS32_DEP_1)
	v_rcp_f32_e32 v127, v119
	v_nop
	v_fma_f32 v128, -v119, v127, 1.0
	s_delay_alu instid0(VALU_DEP_1) | instskip(NEXT) | instid1(VALU_DEP_1)
	v_fmac_f32_e32 v127, v128, v127
	v_mul_f32_e32 v128, v129, v127
	s_delay_alu instid0(VALU_DEP_1) | instskip(NEXT) | instid1(VALU_DEP_1)
	v_fma_f32 v130, -v119, v128, v129
	v_fmac_f32_e32 v128, v130, v127
	s_delay_alu instid0(VALU_DEP_1) | instskip(NEXT) | instid1(VALU_DEP_1)
	v_fma_f32 v119, -v119, v128, v129
	v_div_fmas_f32 v119, v119, v127, v128
	s_delay_alu instid0(VALU_DEP_1) | instskip(NEXT) | instid1(VALU_DEP_1)
	v_div_fixup_f32 v119, v119, v121, v120
	v_fmac_f32_e32 v121, v120, v119
	s_delay_alu instid0(VALU_DEP_1) | instskip(SKIP_1) | instid1(VALU_DEP_2)
	v_div_scale_f32 v120, null, v121, v121, 1.0
	v_div_scale_f32 v129, vcc_lo, 1.0, v121, 1.0
	v_rcp_f32_e32 v127, v120
	v_nop
	s_delay_alu instid0(TRANS32_DEP_1) | instskip(NEXT) | instid1(VALU_DEP_1)
	v_fma_f32 v128, -v120, v127, 1.0
	v_fmac_f32_e32 v127, v128, v127
	s_delay_alu instid0(VALU_DEP_1) | instskip(NEXT) | instid1(VALU_DEP_1)
	v_mul_f32_e32 v128, v129, v127
	v_fma_f32 v130, -v120, v128, v129
	s_delay_alu instid0(VALU_DEP_1) | instskip(NEXT) | instid1(VALU_DEP_1)
	v_fmac_f32_e32 v128, v130, v127
	v_fma_f32 v120, -v120, v128, v129
	s_delay_alu instid0(VALU_DEP_1) | instskip(NEXT) | instid1(VALU_DEP_1)
	v_div_fmas_f32 v120, v120, v127, v128
	v_div_fixup_f32 v121, v120, v121, 1.0
	s_delay_alu instid0(VALU_DEP_1)
	v_mul_f32_e32 v120, v119, v121
	v_xor_b32_e32 v121, 0x80000000, v121
.LBB110_637:
	s_and_not1_saveexec_b32 s1, s1
	s_cbranch_execz .LBB110_639
; %bb.638:
	s_delay_alu instid0(VALU_DEP_1) | instskip(SKIP_1) | instid1(VALU_DEP_2)
	v_div_scale_f32 v119, null, v120, v120, v121
	v_div_scale_f32 v129, vcc_lo, v121, v120, v121
	v_rcp_f32_e32 v127, v119
	v_nop
	s_delay_alu instid0(TRANS32_DEP_1) | instskip(NEXT) | instid1(VALU_DEP_1)
	v_fma_f32 v128, -v119, v127, 1.0
	v_fmac_f32_e32 v127, v128, v127
	s_delay_alu instid0(VALU_DEP_1) | instskip(NEXT) | instid1(VALU_DEP_1)
	v_mul_f32_e32 v128, v129, v127
	v_fma_f32 v130, -v119, v128, v129
	s_delay_alu instid0(VALU_DEP_1) | instskip(NEXT) | instid1(VALU_DEP_1)
	v_fmac_f32_e32 v128, v130, v127
	v_fma_f32 v119, -v119, v128, v129
	s_delay_alu instid0(VALU_DEP_1) | instskip(NEXT) | instid1(VALU_DEP_1)
	v_div_fmas_f32 v119, v119, v127, v128
	v_div_fixup_f32 v119, v119, v120, v121
	s_delay_alu instid0(VALU_DEP_1) | instskip(NEXT) | instid1(VALU_DEP_1)
	v_fmac_f32_e32 v120, v121, v119
	v_div_scale_f32 v121, null, v120, v120, 1.0
	s_delay_alu instid0(VALU_DEP_1) | instskip(SKIP_1) | instid1(TRANS32_DEP_1)
	v_rcp_f32_e32 v127, v121
	v_nop
	v_fma_f32 v128, -v121, v127, 1.0
	s_delay_alu instid0(VALU_DEP_1) | instskip(SKIP_1) | instid1(VALU_DEP_1)
	v_fmac_f32_e32 v127, v128, v127
	v_div_scale_f32 v128, vcc_lo, 1.0, v120, 1.0
	v_mul_f32_e32 v129, v128, v127
	s_delay_alu instid0(VALU_DEP_1) | instskip(NEXT) | instid1(VALU_DEP_1)
	v_fma_f32 v130, -v121, v129, v128
	v_fmac_f32_e32 v129, v130, v127
	s_delay_alu instid0(VALU_DEP_1) | instskip(NEXT) | instid1(VALU_DEP_1)
	v_fma_f32 v121, -v121, v129, v128
	v_div_fmas_f32 v121, v121, v127, v129
	s_delay_alu instid0(VALU_DEP_1) | instskip(NEXT) | instid1(VALU_DEP_1)
	v_div_fixup_f32 v120, v121, v120, 1.0
	v_mul_f32_e64 v121, v119, -v120
.LBB110_639:
	s_or_b32 exec_lo, exec_lo, s1
.LBB110_640:
	s_delay_alu instid0(SALU_CYCLE_1) | instskip(NEXT) | instid1(SALU_CYCLE_1)
	s_or_b32 exec_lo, exec_lo, s0
	s_mov_b32 s0, exec_lo
	v_cmpx_ne_u32_e64 v126, v118
	s_xor_b32 s0, exec_lo, s0
	s_cbranch_execz .LBB110_646
; %bb.641:
	s_mov_b32 s1, exec_lo
	v_cmpx_eq_u32_e32 30, v126
	s_cbranch_execz .LBB110_645
; %bb.642:
	v_cmp_ne_u32_e32 vcc_lo, 30, v118
	s_xor_b32 s12, s16, -1
	s_delay_alu instid0(SALU_CYCLE_1) | instskip(NEXT) | instid1(SALU_CYCLE_1)
	s_and_b32 s13, s12, vcc_lo
	s_and_saveexec_b32 s12, s13
	s_cbranch_execz .LBB110_644
; %bb.643:
	v_ashrrev_i32_e32 v119, 31, v118
	s_delay_alu instid0(VALU_DEP_1)
	v_lshl_add_u64 v[126:127], v[118:119], 2, v[4:5]
	s_clause 0x1
	global_load_b32 v119, v[126:127], off
	global_load_b32 v125, v[4:5], off offset:120
	s_wait_loadcnt 0x1
	global_store_b32 v[4:5], v119, off offset:120
	s_wait_loadcnt 0x0
	global_store_b32 v[126:127], v125, off
.LBB110_644:
	s_wait_xcnt 0x0
	s_or_b32 exec_lo, exec_lo, s12
	v_dual_mov_b32 v126, v118 :: v_dual_mov_b32 v125, v118
.LBB110_645:
	s_or_b32 exec_lo, exec_lo, s1
.LBB110_646:
	s_and_not1_saveexec_b32 s0, s0
	s_cbranch_execz .LBB110_648
; %bb.647:
	v_mov_b32_e32 v126, 30
	ds_store_2addr_b64 v122, v[16:17], v[64:65] offset0:31 offset1:32
	ds_store_2addr_b64 v122, v[60:61], v[62:63] offset0:33 offset1:34
	;; [unrolled: 1-line block ×12, first 2 shown]
	ds_store_b64 v122, v[116:117] offset:440
.LBB110_648:
	s_or_b32 exec_lo, exec_lo, s0
	s_delay_alu instid0(SALU_CYCLE_1)
	s_mov_b32 s0, exec_lo
	s_wait_storecnt_dscnt 0x0
	s_barrier_signal -1
	s_barrier_wait -1
	v_cmpx_lt_i32_e32 30, v126
	s_cbranch_execz .LBB110_650
; %bb.649:
	v_pk_mul_f32 v[128:129], v[120:121], v[68:69] op_sel:[1,1] op_sel_hi:[0,1]
	s_delay_alu instid0(VALU_DEP_1)
	v_pk_fma_f32 v[118:119], v[120:121], v[68:69], v[128:129] op_sel_hi:[1,0,1] neg_lo:[0,0,1] neg_hi:[0,0,1]
	v_pk_fma_f32 v[120:121], v[120:121], v[68:69], v[128:129] op_sel_hi:[1,0,1]
	ds_load_2addr_b64 v[128:131], v122 offset0:31 offset1:32
	v_dual_mov_b32 v68, v118 :: v_dual_mov_b32 v69, v121
	s_wait_dscnt 0x0
	v_pk_mul_f32 v[132:133], v[128:129], v[120:121] op_sel:[0,1]
	s_delay_alu instid0(VALU_DEP_1) | instskip(SKIP_1) | instid1(VALU_DEP_1)
	v_pk_fma_f32 v[134:135], v[128:129], v[118:119], v[132:133] op_sel:[0,0,1] op_sel_hi:[1,1,0] neg_lo:[0,0,1] neg_hi:[0,0,1]
	v_pk_fma_f32 v[128:129], v[128:129], v[118:119], v[132:133] op_sel:[0,0,1] op_sel_hi:[1,0,0]
	v_mov_b32_e32 v135, v129
	v_pk_mul_f32 v[128:129], v[130:131], v[120:121] op_sel:[0,1]
	s_delay_alu instid0(VALU_DEP_1) | instskip(SKIP_1) | instid1(VALU_DEP_1)
	v_pk_fma_f32 v[132:133], v[130:131], v[118:119], v[128:129] op_sel:[0,0,1] op_sel_hi:[1,1,0] neg_lo:[0,0,1] neg_hi:[0,0,1]
	v_pk_fma_f32 v[128:129], v[130:131], v[118:119], v[128:129] op_sel:[0,0,1] op_sel_hi:[1,0,0]
	v_mov_b32_e32 v133, v129
	ds_load_2addr_b64 v[128:131], v122 offset0:33 offset1:34
	v_pk_add_f32 v[16:17], v[16:17], v[134:135] neg_lo:[0,1] neg_hi:[0,1]
	v_pk_add_f32 v[64:65], v[64:65], v[132:133] neg_lo:[0,1] neg_hi:[0,1]
	s_wait_dscnt 0x0
	v_pk_mul_f32 v[132:133], v[128:129], v[120:121] op_sel:[0,1]
	s_delay_alu instid0(VALU_DEP_1) | instskip(SKIP_2) | instid1(VALU_DEP_2)
	v_pk_fma_f32 v[134:135], v[128:129], v[118:119], v[132:133] op_sel:[0,0,1] op_sel_hi:[1,1,0] neg_lo:[0,0,1] neg_hi:[0,0,1]
	v_pk_fma_f32 v[128:129], v[128:129], v[118:119], v[132:133] op_sel:[0,0,1] op_sel_hi:[1,0,0]
	v_dual_mul_f32 v132, v131, v121 :: v_dual_mov_b32 v128, v131
	v_dual_mov_b32 v135, v129 :: v_dual_mov_b32 v129, v130
	s_delay_alu instid0(VALU_DEP_2) | instskip(SKIP_1) | instid1(VALU_DEP_3)
	v_pk_fma_f32 v[132:133], v[130:131], v[68:69], v[132:133] op_sel_hi:[1,1,0] neg_lo:[0,0,1] neg_hi:[0,0,1]
	v_mul_f32_e32 v130, v131, v118
	v_pk_add_f32 v[60:61], v[60:61], v[134:135] neg_lo:[0,1] neg_hi:[0,1]
	s_delay_alu instid0(VALU_DEP_2) | instskip(NEXT) | instid1(VALU_DEP_1)
	v_pk_fma_f32 v[128:129], v[128:129], v[68:69], v[130:131] op_sel_hi:[1,1,0]
	v_mov_b32_e32 v133, v129
	ds_load_2addr_b64 v[128:131], v122 offset0:35 offset1:36
	v_pk_add_f32 v[62:63], v[62:63], v[132:133] neg_lo:[0,1] neg_hi:[0,1]
	s_wait_dscnt 0x0
	v_pk_mul_f32 v[132:133], v[128:129], v[120:121] op_sel:[0,1]
	s_delay_alu instid0(VALU_DEP_1) | instskip(SKIP_1) | instid1(VALU_DEP_1)
	v_pk_fma_f32 v[134:135], v[128:129], v[118:119], v[132:133] op_sel:[0,0,1] op_sel_hi:[1,1,0] neg_lo:[0,0,1] neg_hi:[0,0,1]
	v_pk_fma_f32 v[128:129], v[128:129], v[118:119], v[132:133] op_sel:[0,0,1] op_sel_hi:[1,0,0]
	v_mov_b32_e32 v135, v129
	v_pk_mul_f32 v[128:129], v[130:131], v[120:121] op_sel:[0,1]
	s_delay_alu instid0(VALU_DEP_1) | instskip(SKIP_1) | instid1(VALU_DEP_1)
	v_pk_fma_f32 v[132:133], v[130:131], v[118:119], v[128:129] op_sel:[0,0,1] op_sel_hi:[1,1,0] neg_lo:[0,0,1] neg_hi:[0,0,1]
	v_pk_fma_f32 v[128:129], v[130:131], v[118:119], v[128:129] op_sel:[0,0,1] op_sel_hi:[1,0,0]
	v_mov_b32_e32 v133, v129
	ds_load_2addr_b64 v[128:131], v122 offset0:37 offset1:38
	v_pk_add_f32 v[14:15], v[14:15], v[134:135] neg_lo:[0,1] neg_hi:[0,1]
	v_pk_add_f32 v[58:59], v[58:59], v[132:133] neg_lo:[0,1] neg_hi:[0,1]
	s_wait_dscnt 0x0
	v_pk_mul_f32 v[132:133], v[128:129], v[120:121] op_sel:[0,1]
	s_delay_alu instid0(VALU_DEP_1) | instskip(SKIP_1) | instid1(VALU_DEP_1)
	v_pk_fma_f32 v[134:135], v[128:129], v[118:119], v[132:133] op_sel:[0,0,1] op_sel_hi:[1,1,0] neg_lo:[0,0,1] neg_hi:[0,0,1]
	v_pk_fma_f32 v[128:129], v[128:129], v[118:119], v[132:133] op_sel:[0,0,1] op_sel_hi:[1,0,0]
	v_mov_b32_e32 v135, v129
	v_pk_mul_f32 v[128:129], v[130:131], v[120:121] op_sel:[0,1]
	s_delay_alu instid0(VALU_DEP_1) | instskip(SKIP_1) | instid1(VALU_DEP_1)
	v_pk_fma_f32 v[132:133], v[130:131], v[118:119], v[128:129] op_sel:[0,0,1] op_sel_hi:[1,1,0] neg_lo:[0,0,1] neg_hi:[0,0,1]
	v_pk_fma_f32 v[128:129], v[130:131], v[118:119], v[128:129] op_sel:[0,0,1] op_sel_hi:[1,0,0]
	v_mov_b32_e32 v133, v129
	ds_load_2addr_b64 v[128:131], v122 offset0:39 offset1:40
	v_pk_add_f32 v[54:55], v[54:55], v[134:135] neg_lo:[0,1] neg_hi:[0,1]
	v_pk_add_f32 v[56:57], v[56:57], v[132:133] neg_lo:[0,1] neg_hi:[0,1]
	s_wait_dscnt 0x0
	v_dual_mul_f32 v132, v129, v121 :: v_dual_mul_f32 v134, v129, v118
	s_delay_alu instid0(VALU_DEP_1) | instskip(NEXT) | instid1(VALU_DEP_2)
	v_pk_fma_f32 v[132:133], v[128:129], v[68:69], v[132:133] op_sel_hi:[1,1,0] neg_lo:[0,0,1] neg_hi:[0,0,1]
	v_pk_fma_f32 v[128:129], v[128:129], v[68:69], v[134:135] op_sel:[1,0,0] op_sel_hi:[0,1,0]
	s_delay_alu instid0(VALU_DEP_1) | instskip(SKIP_1) | instid1(VALU_DEP_2)
	v_mov_b32_e32 v133, v129
	v_pk_mul_f32 v[128:129], v[130:131], v[120:121] op_sel:[0,1]
	v_pk_add_f32 v[12:13], v[12:13], v[132:133] neg_lo:[0,1] neg_hi:[0,1]
	s_delay_alu instid0(VALU_DEP_2) | instskip(SKIP_1) | instid1(VALU_DEP_1)
	v_pk_fma_f32 v[132:133], v[130:131], v[118:119], v[128:129] op_sel:[0,0,1] op_sel_hi:[1,1,0] neg_lo:[0,0,1] neg_hi:[0,0,1]
	v_pk_fma_f32 v[128:129], v[130:131], v[118:119], v[128:129] op_sel:[0,0,1] op_sel_hi:[1,0,0]
	v_mov_b32_e32 v133, v129
	ds_load_2addr_b64 v[128:131], v122 offset0:41 offset1:42
	v_pk_add_f32 v[52:53], v[52:53], v[132:133] neg_lo:[0,1] neg_hi:[0,1]
	s_wait_dscnt 0x0
	v_pk_mul_f32 v[132:133], v[128:129], v[120:121] op_sel:[0,1]
	s_delay_alu instid0(VALU_DEP_1) | instskip(SKIP_1) | instid1(VALU_DEP_1)
	v_pk_fma_f32 v[134:135], v[128:129], v[118:119], v[132:133] op_sel:[0,0,1] op_sel_hi:[1,1,0] neg_lo:[0,0,1] neg_hi:[0,0,1]
	v_pk_fma_f32 v[128:129], v[128:129], v[118:119], v[132:133] op_sel:[0,0,1] op_sel_hi:[1,0,0]
	v_mov_b32_e32 v135, v129
	v_pk_mul_f32 v[128:129], v[130:131], v[120:121] op_sel:[0,1]
	s_delay_alu instid0(VALU_DEP_2) | instskip(NEXT) | instid1(VALU_DEP_2)
	v_pk_add_f32 v[48:49], v[48:49], v[134:135] neg_lo:[0,1] neg_hi:[0,1]
	v_pk_fma_f32 v[132:133], v[130:131], v[118:119], v[128:129] op_sel:[0,0,1] op_sel_hi:[1,1,0] neg_lo:[0,0,1] neg_hi:[0,0,1]
	v_pk_fma_f32 v[128:129], v[130:131], v[118:119], v[128:129] op_sel:[0,0,1] op_sel_hi:[1,0,0]
	s_delay_alu instid0(VALU_DEP_1) | instskip(SKIP_4) | instid1(VALU_DEP_1)
	v_mov_b32_e32 v133, v129
	ds_load_2addr_b64 v[128:131], v122 offset0:43 offset1:44
	v_pk_add_f32 v[50:51], v[50:51], v[132:133] neg_lo:[0,1] neg_hi:[0,1]
	s_wait_dscnt 0x0
	v_pk_mul_f32 v[132:133], v[128:129], v[120:121] op_sel:[0,1]
	v_pk_fma_f32 v[134:135], v[128:129], v[118:119], v[132:133] op_sel:[0,0,1] op_sel_hi:[1,1,0] neg_lo:[0,0,1] neg_hi:[0,0,1]
	v_pk_fma_f32 v[128:129], v[128:129], v[118:119], v[132:133] op_sel:[0,0,1] op_sel_hi:[1,0,0]
	v_dual_mul_f32 v132, v131, v121 :: v_dual_mov_b32 v128, v131
	s_delay_alu instid0(VALU_DEP_2) | instskip(NEXT) | instid1(VALU_DEP_2)
	v_dual_mov_b32 v135, v129 :: v_dual_mov_b32 v129, v130
	v_pk_fma_f32 v[132:133], v[130:131], v[68:69], v[132:133] op_sel_hi:[1,1,0] neg_lo:[0,0,1] neg_hi:[0,0,1]
	v_mul_f32_e32 v130, v131, v118
	s_delay_alu instid0(VALU_DEP_3) | instskip(NEXT) | instid1(VALU_DEP_2)
	v_pk_add_f32 v[10:11], v[10:11], v[134:135] neg_lo:[0,1] neg_hi:[0,1]
	v_pk_fma_f32 v[128:129], v[128:129], v[68:69], v[130:131] op_sel_hi:[1,1,0]
	s_delay_alu instid0(VALU_DEP_1) | instskip(SKIP_4) | instid1(VALU_DEP_1)
	v_mov_b32_e32 v133, v129
	ds_load_2addr_b64 v[128:131], v122 offset0:45 offset1:46
	v_pk_add_f32 v[46:47], v[46:47], v[132:133] neg_lo:[0,1] neg_hi:[0,1]
	s_wait_dscnt 0x0
	v_pk_mul_f32 v[132:133], v[128:129], v[120:121] op_sel:[0,1]
	v_pk_fma_f32 v[134:135], v[128:129], v[118:119], v[132:133] op_sel:[0,0,1] op_sel_hi:[1,1,0] neg_lo:[0,0,1] neg_hi:[0,0,1]
	v_pk_fma_f32 v[128:129], v[128:129], v[118:119], v[132:133] op_sel:[0,0,1] op_sel_hi:[1,0,0]
	s_delay_alu instid0(VALU_DEP_1) | instskip(SKIP_1) | instid1(VALU_DEP_1)
	v_mov_b32_e32 v135, v129
	v_pk_mul_f32 v[128:129], v[130:131], v[120:121] op_sel:[0,1]
	v_pk_fma_f32 v[132:133], v[130:131], v[118:119], v[128:129] op_sel:[0,0,1] op_sel_hi:[1,1,0] neg_lo:[0,0,1] neg_hi:[0,0,1]
	v_pk_fma_f32 v[128:129], v[130:131], v[118:119], v[128:129] op_sel:[0,0,1] op_sel_hi:[1,0,0]
	s_delay_alu instid0(VALU_DEP_1)
	v_mov_b32_e32 v133, v129
	ds_load_2addr_b64 v[128:131], v122 offset0:47 offset1:48
	v_pk_add_f32 v[42:43], v[42:43], v[134:135] neg_lo:[0,1] neg_hi:[0,1]
	v_pk_add_f32 v[44:45], v[44:45], v[132:133] neg_lo:[0,1] neg_hi:[0,1]
	s_wait_dscnt 0x0
	v_pk_mul_f32 v[132:133], v[128:129], v[120:121] op_sel:[0,1]
	s_delay_alu instid0(VALU_DEP_1) | instskip(SKIP_1) | instid1(VALU_DEP_1)
	v_pk_fma_f32 v[134:135], v[128:129], v[118:119], v[132:133] op_sel:[0,0,1] op_sel_hi:[1,1,0] neg_lo:[0,0,1] neg_hi:[0,0,1]
	v_pk_fma_f32 v[128:129], v[128:129], v[118:119], v[132:133] op_sel:[0,0,1] op_sel_hi:[1,0,0]
	v_mov_b32_e32 v135, v129
	v_pk_mul_f32 v[128:129], v[130:131], v[120:121] op_sel:[0,1]
	s_delay_alu instid0(VALU_DEP_1) | instskip(SKIP_1) | instid1(VALU_DEP_1)
	v_pk_fma_f32 v[132:133], v[130:131], v[118:119], v[128:129] op_sel:[0,0,1] op_sel_hi:[1,1,0] neg_lo:[0,0,1] neg_hi:[0,0,1]
	v_pk_fma_f32 v[128:129], v[130:131], v[118:119], v[128:129] op_sel:[0,0,1] op_sel_hi:[1,0,0]
	v_mov_b32_e32 v133, v129
	ds_load_2addr_b64 v[128:131], v122 offset0:49 offset1:50
	v_pk_add_f32 v[6:7], v[6:7], v[134:135] neg_lo:[0,1] neg_hi:[0,1]
	v_pk_add_f32 v[34:35], v[34:35], v[132:133] neg_lo:[0,1] neg_hi:[0,1]
	s_wait_dscnt 0x0
	v_dual_mul_f32 v132, v129, v121 :: v_dual_mul_f32 v134, v129, v118
	s_delay_alu instid0(VALU_DEP_1) | instskip(NEXT) | instid1(VALU_DEP_2)
	v_pk_fma_f32 v[132:133], v[128:129], v[68:69], v[132:133] op_sel_hi:[1,1,0] neg_lo:[0,0,1] neg_hi:[0,0,1]
	v_pk_fma_f32 v[128:129], v[128:129], v[68:69], v[134:135] op_sel:[1,0,0] op_sel_hi:[0,1,0]
	s_delay_alu instid0(VALU_DEP_1) | instskip(SKIP_1) | instid1(VALU_DEP_2)
	v_mov_b32_e32 v133, v129
	v_pk_mul_f32 v[128:129], v[130:131], v[120:121] op_sel:[0,1]
	v_pk_add_f32 v[28:29], v[28:29], v[132:133] neg_lo:[0,1] neg_hi:[0,1]
	s_delay_alu instid0(VALU_DEP_2) | instskip(SKIP_1) | instid1(VALU_DEP_1)
	v_pk_fma_f32 v[132:133], v[130:131], v[118:119], v[128:129] op_sel:[0,0,1] op_sel_hi:[1,1,0] neg_lo:[0,0,1] neg_hi:[0,0,1]
	v_pk_fma_f32 v[128:129], v[130:131], v[118:119], v[128:129] op_sel:[0,0,1] op_sel_hi:[1,0,0]
	v_mov_b32_e32 v133, v129
	ds_load_2addr_b64 v[128:131], v122 offset0:51 offset1:52
	v_pk_add_f32 v[32:33], v[32:33], v[132:133] neg_lo:[0,1] neg_hi:[0,1]
	s_wait_dscnt 0x0
	v_pk_mul_f32 v[132:133], v[128:129], v[120:121] op_sel:[0,1]
	s_delay_alu instid0(VALU_DEP_1) | instskip(SKIP_1) | instid1(VALU_DEP_1)
	v_pk_fma_f32 v[134:135], v[128:129], v[118:119], v[132:133] op_sel:[0,0,1] op_sel_hi:[1,1,0] neg_lo:[0,0,1] neg_hi:[0,0,1]
	v_pk_fma_f32 v[128:129], v[128:129], v[118:119], v[132:133] op_sel:[0,0,1] op_sel_hi:[1,0,0]
	v_mov_b32_e32 v135, v129
	v_pk_mul_f32 v[128:129], v[130:131], v[120:121] op_sel:[0,1]
	s_delay_alu instid0(VALU_DEP_2) | instskip(NEXT) | instid1(VALU_DEP_2)
	v_pk_add_f32 v[8:9], v[8:9], v[134:135] neg_lo:[0,1] neg_hi:[0,1]
	v_pk_fma_f32 v[132:133], v[130:131], v[118:119], v[128:129] op_sel:[0,0,1] op_sel_hi:[1,1,0] neg_lo:[0,0,1] neg_hi:[0,0,1]
	v_pk_fma_f32 v[128:129], v[130:131], v[118:119], v[128:129] op_sel:[0,0,1] op_sel_hi:[1,0,0]
	s_delay_alu instid0(VALU_DEP_1) | instskip(SKIP_4) | instid1(VALU_DEP_1)
	v_mov_b32_e32 v133, v129
	ds_load_2addr_b64 v[128:131], v122 offset0:53 offset1:54
	v_pk_add_f32 v[26:27], v[26:27], v[132:133] neg_lo:[0,1] neg_hi:[0,1]
	s_wait_dscnt 0x0
	v_pk_mul_f32 v[132:133], v[128:129], v[120:121] op_sel:[0,1]
	v_pk_fma_f32 v[134:135], v[128:129], v[118:119], v[132:133] op_sel:[0,0,1] op_sel_hi:[1,1,0] neg_lo:[0,0,1] neg_hi:[0,0,1]
	v_pk_fma_f32 v[128:129], v[128:129], v[118:119], v[132:133] op_sel:[0,0,1] op_sel_hi:[1,0,0]
	v_dual_mul_f32 v132, v131, v121 :: v_dual_mov_b32 v128, v131
	s_delay_alu instid0(VALU_DEP_2) | instskip(NEXT) | instid1(VALU_DEP_2)
	v_dual_mov_b32 v135, v129 :: v_dual_mov_b32 v129, v130
	v_pk_fma_f32 v[132:133], v[130:131], v[68:69], v[132:133] op_sel_hi:[1,1,0] neg_lo:[0,0,1] neg_hi:[0,0,1]
	v_mul_f32_e32 v130, v131, v118
	s_delay_alu instid0(VALU_DEP_3) | instskip(NEXT) | instid1(VALU_DEP_2)
	v_pk_add_f32 v[22:23], v[22:23], v[134:135] neg_lo:[0,1] neg_hi:[0,1]
	v_pk_fma_f32 v[128:129], v[128:129], v[68:69], v[130:131] op_sel_hi:[1,1,0]
	s_delay_alu instid0(VALU_DEP_1) | instskip(SKIP_4) | instid1(VALU_DEP_1)
	v_mov_b32_e32 v133, v129
	ds_load_b64 v[128:129], v122 offset:440
	v_pk_add_f32 v[20:21], v[20:21], v[132:133] neg_lo:[0,1] neg_hi:[0,1]
	s_wait_dscnt 0x0
	v_pk_mul_f32 v[120:121], v[128:129], v[120:121] op_sel:[0,1]
	v_pk_fma_f32 v[130:131], v[128:129], v[118:119], v[120:121] op_sel:[0,0,1] op_sel_hi:[1,1,0] neg_lo:[0,0,1] neg_hi:[0,0,1]
	v_pk_fma_f32 v[118:119], v[128:129], v[118:119], v[120:121] op_sel:[0,0,1] op_sel_hi:[1,0,0]
	s_delay_alu instid0(VALU_DEP_1) | instskip(NEXT) | instid1(VALU_DEP_1)
	v_mov_b32_e32 v131, v119
	v_pk_add_f32 v[116:117], v[116:117], v[130:131] neg_lo:[0,1] neg_hi:[0,1]
.LBB110_650:
	s_or_b32 exec_lo, exec_lo, s0
	v_lshl_add_u32 v118, v126, 3, v122
	s_barrier_signal -1
	s_barrier_wait -1
	ds_store_b64 v118, v[16:17]
	s_wait_dscnt 0x0
	s_barrier_signal -1
	s_barrier_wait -1
	ds_load_b64 v[120:121], v122 offset:248
	v_mov_b32_e32 v118, 31
	s_cmp_lt_i32 s18, 33
	s_cbranch_scc1 .LBB110_653
; %bb.651:
	v_add3_u32 v119, v123, 0, 0x100
	v_mov_b32_e32 v118, 31
	s_mov_b32 s0, 32
.LBB110_652:                            ; =>This Inner Loop Header: Depth=1
	ds_load_b64 v[128:129], v119
	s_wait_dscnt 0x1
	v_cmp_gt_f32_e32 vcc_lo, 0, v120
	v_cndmask_b32_e64 v130, v120, -v120, vcc_lo
	v_cmp_gt_f32_e32 vcc_lo, 0, v121
	v_cndmask_b32_e64 v132, v121, -v121, vcc_lo
	s_wait_dscnt 0x0
	v_cmp_gt_f32_e32 vcc_lo, 0, v128
	v_cndmask_b32_e64 v131, v128, -v128, vcc_lo
	v_cmp_gt_f32_e32 vcc_lo, 0, v129
	v_cndmask_b32_e64 v133, v129, -v129, vcc_lo
	s_delay_alu instid0(VALU_DEP_1) | instskip(NEXT) | instid1(VALU_DEP_1)
	v_pk_add_f32 v[130:131], v[130:131], v[132:133]
	v_cmp_lt_f32_e32 vcc_lo, v130, v131
	v_dual_add_nc_u32 v119, 8, v119 :: v_dual_cndmask_b32 v121, v121, v129, vcc_lo
	v_cndmask_b32_e32 v120, v120, v128, vcc_lo
	v_cndmask_b32_e64 v118, v118, s0, vcc_lo
	s_add_co_i32 s0, s0, 1
	s_delay_alu instid0(SALU_CYCLE_1)
	s_cmp_lg_u32 s18, s0
	s_cbranch_scc1 .LBB110_652
.LBB110_653:
	s_wait_dscnt 0x0
	v_cmp_eq_f32_e32 vcc_lo, 0, v120
	v_cmp_eq_f32_e64 s0, 0, v121
	s_and_b32 s0, vcc_lo, s0
	s_delay_alu instid0(SALU_CYCLE_1) | instskip(NEXT) | instid1(SALU_CYCLE_1)
	s_and_saveexec_b32 s1, s0
	s_xor_b32 s0, exec_lo, s1
; %bb.654:
	v_cmp_ne_u32_e32 vcc_lo, 0, v124
	v_cndmask_b32_e32 v124, 32, v124, vcc_lo
; %bb.655:
	s_and_not1_saveexec_b32 s0, s0
	s_cbranch_execz .LBB110_661
; %bb.656:
	v_cmp_ngt_f32_e64 s1, |v120|, |v121|
	s_and_saveexec_b32 s12, s1
	s_delay_alu instid0(SALU_CYCLE_1)
	s_xor_b32 s1, exec_lo, s12
	s_cbranch_execz .LBB110_658
; %bb.657:
	v_div_scale_f32 v119, null, v121, v121, v120
	v_div_scale_f32 v129, vcc_lo, v120, v121, v120
	s_delay_alu instid0(VALU_DEP_2) | instskip(SKIP_1) | instid1(TRANS32_DEP_1)
	v_rcp_f32_e32 v127, v119
	v_nop
	v_fma_f32 v128, -v119, v127, 1.0
	s_delay_alu instid0(VALU_DEP_1) | instskip(NEXT) | instid1(VALU_DEP_1)
	v_fmac_f32_e32 v127, v128, v127
	v_mul_f32_e32 v128, v129, v127
	s_delay_alu instid0(VALU_DEP_1) | instskip(NEXT) | instid1(VALU_DEP_1)
	v_fma_f32 v130, -v119, v128, v129
	v_fmac_f32_e32 v128, v130, v127
	s_delay_alu instid0(VALU_DEP_1) | instskip(NEXT) | instid1(VALU_DEP_1)
	v_fma_f32 v119, -v119, v128, v129
	v_div_fmas_f32 v119, v119, v127, v128
	s_delay_alu instid0(VALU_DEP_1) | instskip(NEXT) | instid1(VALU_DEP_1)
	v_div_fixup_f32 v119, v119, v121, v120
	v_fmac_f32_e32 v121, v120, v119
	s_delay_alu instid0(VALU_DEP_1) | instskip(SKIP_1) | instid1(VALU_DEP_2)
	v_div_scale_f32 v120, null, v121, v121, 1.0
	v_div_scale_f32 v129, vcc_lo, 1.0, v121, 1.0
	v_rcp_f32_e32 v127, v120
	v_nop
	s_delay_alu instid0(TRANS32_DEP_1) | instskip(NEXT) | instid1(VALU_DEP_1)
	v_fma_f32 v128, -v120, v127, 1.0
	v_fmac_f32_e32 v127, v128, v127
	s_delay_alu instid0(VALU_DEP_1) | instskip(NEXT) | instid1(VALU_DEP_1)
	v_mul_f32_e32 v128, v129, v127
	v_fma_f32 v130, -v120, v128, v129
	s_delay_alu instid0(VALU_DEP_1) | instskip(NEXT) | instid1(VALU_DEP_1)
	v_fmac_f32_e32 v128, v130, v127
	v_fma_f32 v120, -v120, v128, v129
	s_delay_alu instid0(VALU_DEP_1) | instskip(NEXT) | instid1(VALU_DEP_1)
	v_div_fmas_f32 v120, v120, v127, v128
	v_div_fixup_f32 v121, v120, v121, 1.0
	s_delay_alu instid0(VALU_DEP_1)
	v_mul_f32_e32 v120, v119, v121
	v_xor_b32_e32 v121, 0x80000000, v121
.LBB110_658:
	s_and_not1_saveexec_b32 s1, s1
	s_cbranch_execz .LBB110_660
; %bb.659:
	s_delay_alu instid0(VALU_DEP_1) | instskip(SKIP_1) | instid1(VALU_DEP_2)
	v_div_scale_f32 v119, null, v120, v120, v121
	v_div_scale_f32 v129, vcc_lo, v121, v120, v121
	v_rcp_f32_e32 v127, v119
	v_nop
	s_delay_alu instid0(TRANS32_DEP_1) | instskip(NEXT) | instid1(VALU_DEP_1)
	v_fma_f32 v128, -v119, v127, 1.0
	v_fmac_f32_e32 v127, v128, v127
	s_delay_alu instid0(VALU_DEP_1) | instskip(NEXT) | instid1(VALU_DEP_1)
	v_mul_f32_e32 v128, v129, v127
	v_fma_f32 v130, -v119, v128, v129
	s_delay_alu instid0(VALU_DEP_1) | instskip(NEXT) | instid1(VALU_DEP_1)
	v_fmac_f32_e32 v128, v130, v127
	v_fma_f32 v119, -v119, v128, v129
	s_delay_alu instid0(VALU_DEP_1) | instskip(NEXT) | instid1(VALU_DEP_1)
	v_div_fmas_f32 v119, v119, v127, v128
	v_div_fixup_f32 v119, v119, v120, v121
	s_delay_alu instid0(VALU_DEP_1) | instskip(NEXT) | instid1(VALU_DEP_1)
	v_fmac_f32_e32 v120, v121, v119
	v_div_scale_f32 v121, null, v120, v120, 1.0
	s_delay_alu instid0(VALU_DEP_1) | instskip(SKIP_1) | instid1(TRANS32_DEP_1)
	v_rcp_f32_e32 v127, v121
	v_nop
	v_fma_f32 v128, -v121, v127, 1.0
	s_delay_alu instid0(VALU_DEP_1) | instskip(SKIP_1) | instid1(VALU_DEP_1)
	v_fmac_f32_e32 v127, v128, v127
	v_div_scale_f32 v128, vcc_lo, 1.0, v120, 1.0
	v_mul_f32_e32 v129, v128, v127
	s_delay_alu instid0(VALU_DEP_1) | instskip(NEXT) | instid1(VALU_DEP_1)
	v_fma_f32 v130, -v121, v129, v128
	v_fmac_f32_e32 v129, v130, v127
	s_delay_alu instid0(VALU_DEP_1) | instskip(NEXT) | instid1(VALU_DEP_1)
	v_fma_f32 v121, -v121, v129, v128
	v_div_fmas_f32 v121, v121, v127, v129
	s_delay_alu instid0(VALU_DEP_1) | instskip(NEXT) | instid1(VALU_DEP_1)
	v_div_fixup_f32 v120, v121, v120, 1.0
	v_mul_f32_e64 v121, v119, -v120
.LBB110_660:
	s_or_b32 exec_lo, exec_lo, s1
.LBB110_661:
	s_delay_alu instid0(SALU_CYCLE_1) | instskip(NEXT) | instid1(SALU_CYCLE_1)
	s_or_b32 exec_lo, exec_lo, s0
	s_mov_b32 s0, exec_lo
	v_cmpx_ne_u32_e64 v126, v118
	s_xor_b32 s0, exec_lo, s0
	s_cbranch_execz .LBB110_667
; %bb.662:
	s_mov_b32 s1, exec_lo
	v_cmpx_eq_u32_e32 31, v126
	s_cbranch_execz .LBB110_666
; %bb.663:
	v_cmp_ne_u32_e32 vcc_lo, 31, v118
	s_xor_b32 s12, s16, -1
	s_delay_alu instid0(SALU_CYCLE_1) | instskip(NEXT) | instid1(SALU_CYCLE_1)
	s_and_b32 s13, s12, vcc_lo
	s_and_saveexec_b32 s12, s13
	s_cbranch_execz .LBB110_665
; %bb.664:
	v_ashrrev_i32_e32 v119, 31, v118
	s_delay_alu instid0(VALU_DEP_1)
	v_lshl_add_u64 v[126:127], v[118:119], 2, v[4:5]
	s_clause 0x1
	global_load_b32 v119, v[126:127], off
	global_load_b32 v125, v[4:5], off offset:124
	s_wait_loadcnt 0x1
	global_store_b32 v[4:5], v119, off offset:124
	s_wait_loadcnt 0x0
	global_store_b32 v[126:127], v125, off
.LBB110_665:
	s_wait_xcnt 0x0
	s_or_b32 exec_lo, exec_lo, s12
	v_dual_mov_b32 v126, v118 :: v_dual_mov_b32 v125, v118
.LBB110_666:
	s_or_b32 exec_lo, exec_lo, s1
.LBB110_667:
	s_and_not1_saveexec_b32 s0, s0
	s_cbranch_execz .LBB110_669
; %bb.668:
	v_dual_mov_b32 v118, v64 :: v_dual_mov_b32 v119, v65
	v_dual_mov_b32 v126, v60 :: v_dual_mov_b32 v127, v61
	ds_store_2addr_b64 v122, v[118:119], v[126:127] offset0:32 offset1:33
	v_dual_mov_b32 v118, v62 :: v_dual_mov_b32 v119, v63
	v_dual_mov_b32 v126, v14 :: v_dual_mov_b32 v127, v15
	ds_store_2addr_b64 v122, v[118:119], v[126:127] offset0:34 offset1:35
	;; [unrolled: 3-line block ×11, first 2 shown]
	v_dual_mov_b32 v118, v20 :: v_dual_mov_b32 v119, v21
	v_mov_b32_e32 v126, 31
	ds_store_2addr_b64 v122, v[118:119], v[116:117] offset0:54 offset1:55
.LBB110_669:
	s_or_b32 exec_lo, exec_lo, s0
	s_delay_alu instid0(SALU_CYCLE_1)
	s_mov_b32 s0, exec_lo
	s_wait_storecnt_dscnt 0x0
	s_barrier_signal -1
	s_barrier_wait -1
	v_cmpx_lt_i32_e32 31, v126
	s_cbranch_execz .LBB110_671
; %bb.670:
	v_pk_mul_f32 v[128:129], v[120:121], v[16:17] op_sel:[1,1] op_sel_hi:[0,1]
	s_delay_alu instid0(VALU_DEP_1)
	v_pk_fma_f32 v[118:119], v[120:121], v[16:17], v[128:129] op_sel_hi:[1,0,1] neg_lo:[0,0,1] neg_hi:[0,0,1]
	v_pk_fma_f32 v[120:121], v[120:121], v[16:17], v[128:129] op_sel_hi:[1,0,1]
	ds_load_2addr_b64 v[128:131], v122 offset0:32 offset1:33
	v_dual_mov_b32 v16, v118 :: v_dual_mov_b32 v17, v121
	s_wait_dscnt 0x0
	v_pk_mul_f32 v[132:133], v[128:129], v[120:121] op_sel:[0,1]
	s_delay_alu instid0(VALU_DEP_1) | instskip(SKIP_1) | instid1(VALU_DEP_1)
	v_pk_fma_f32 v[134:135], v[128:129], v[118:119], v[132:133] op_sel:[0,0,1] op_sel_hi:[1,1,0] neg_lo:[0,0,1] neg_hi:[0,0,1]
	v_pk_fma_f32 v[128:129], v[128:129], v[118:119], v[132:133] op_sel:[0,0,1] op_sel_hi:[1,0,0]
	v_mov_b32_e32 v135, v129
	v_pk_mul_f32 v[128:129], v[130:131], v[120:121] op_sel:[0,1]
	s_delay_alu instid0(VALU_DEP_1) | instskip(SKIP_1) | instid1(VALU_DEP_1)
	v_pk_fma_f32 v[132:133], v[130:131], v[118:119], v[128:129] op_sel:[0,0,1] op_sel_hi:[1,1,0] neg_lo:[0,0,1] neg_hi:[0,0,1]
	v_pk_fma_f32 v[128:129], v[130:131], v[118:119], v[128:129] op_sel:[0,0,1] op_sel_hi:[1,0,0]
	v_mov_b32_e32 v133, v129
	ds_load_2addr_b64 v[128:131], v122 offset0:34 offset1:35
	v_pk_add_f32 v[64:65], v[64:65], v[134:135] neg_lo:[0,1] neg_hi:[0,1]
	v_pk_add_f32 v[60:61], v[60:61], v[132:133] neg_lo:[0,1] neg_hi:[0,1]
	s_wait_dscnt 0x0
	v_pk_mul_f32 v[132:133], v[128:129], v[120:121] op_sel:[0,1]
	s_delay_alu instid0(VALU_DEP_1) | instskip(SKIP_2) | instid1(VALU_DEP_2)
	v_pk_fma_f32 v[134:135], v[128:129], v[118:119], v[132:133] op_sel:[0,0,1] op_sel_hi:[1,1,0] neg_lo:[0,0,1] neg_hi:[0,0,1]
	v_pk_fma_f32 v[128:129], v[128:129], v[118:119], v[132:133] op_sel:[0,0,1] op_sel_hi:[1,0,0]
	v_dual_mul_f32 v132, v131, v121 :: v_dual_mov_b32 v128, v131
	v_dual_mov_b32 v135, v129 :: v_dual_mov_b32 v129, v130
	s_delay_alu instid0(VALU_DEP_2) | instskip(SKIP_1) | instid1(VALU_DEP_3)
	v_pk_fma_f32 v[132:133], v[130:131], v[16:17], v[132:133] op_sel_hi:[1,1,0] neg_lo:[0,0,1] neg_hi:[0,0,1]
	v_mul_f32_e32 v130, v131, v118
	v_pk_add_f32 v[62:63], v[62:63], v[134:135] neg_lo:[0,1] neg_hi:[0,1]
	s_delay_alu instid0(VALU_DEP_2) | instskip(NEXT) | instid1(VALU_DEP_1)
	v_pk_fma_f32 v[128:129], v[128:129], v[16:17], v[130:131] op_sel_hi:[1,1,0]
	v_mov_b32_e32 v133, v129
	ds_load_2addr_b64 v[128:131], v122 offset0:36 offset1:37
	v_pk_add_f32 v[14:15], v[14:15], v[132:133] neg_lo:[0,1] neg_hi:[0,1]
	s_wait_dscnt 0x0
	v_pk_mul_f32 v[132:133], v[128:129], v[120:121] op_sel:[0,1]
	s_delay_alu instid0(VALU_DEP_1) | instskip(SKIP_1) | instid1(VALU_DEP_1)
	v_pk_fma_f32 v[134:135], v[128:129], v[118:119], v[132:133] op_sel:[0,0,1] op_sel_hi:[1,1,0] neg_lo:[0,0,1] neg_hi:[0,0,1]
	v_pk_fma_f32 v[128:129], v[128:129], v[118:119], v[132:133] op_sel:[0,0,1] op_sel_hi:[1,0,0]
	v_mov_b32_e32 v135, v129
	v_pk_mul_f32 v[128:129], v[130:131], v[120:121] op_sel:[0,1]
	s_delay_alu instid0(VALU_DEP_1) | instskip(SKIP_1) | instid1(VALU_DEP_1)
	v_pk_fma_f32 v[132:133], v[130:131], v[118:119], v[128:129] op_sel:[0,0,1] op_sel_hi:[1,1,0] neg_lo:[0,0,1] neg_hi:[0,0,1]
	v_pk_fma_f32 v[128:129], v[130:131], v[118:119], v[128:129] op_sel:[0,0,1] op_sel_hi:[1,0,0]
	v_mov_b32_e32 v133, v129
	ds_load_2addr_b64 v[128:131], v122 offset0:38 offset1:39
	v_pk_add_f32 v[58:59], v[58:59], v[134:135] neg_lo:[0,1] neg_hi:[0,1]
	v_pk_add_f32 v[54:55], v[54:55], v[132:133] neg_lo:[0,1] neg_hi:[0,1]
	s_wait_dscnt 0x0
	v_pk_mul_f32 v[132:133], v[128:129], v[120:121] op_sel:[0,1]
	s_delay_alu instid0(VALU_DEP_1) | instskip(SKIP_1) | instid1(VALU_DEP_1)
	v_pk_fma_f32 v[134:135], v[128:129], v[118:119], v[132:133] op_sel:[0,0,1] op_sel_hi:[1,1,0] neg_lo:[0,0,1] neg_hi:[0,0,1]
	v_pk_fma_f32 v[128:129], v[128:129], v[118:119], v[132:133] op_sel:[0,0,1] op_sel_hi:[1,0,0]
	v_mov_b32_e32 v135, v129
	v_pk_mul_f32 v[128:129], v[130:131], v[120:121] op_sel:[0,1]
	s_delay_alu instid0(VALU_DEP_1) | instskip(SKIP_1) | instid1(VALU_DEP_1)
	v_pk_fma_f32 v[132:133], v[130:131], v[118:119], v[128:129] op_sel:[0,0,1] op_sel_hi:[1,1,0] neg_lo:[0,0,1] neg_hi:[0,0,1]
	v_pk_fma_f32 v[128:129], v[130:131], v[118:119], v[128:129] op_sel:[0,0,1] op_sel_hi:[1,0,0]
	v_mov_b32_e32 v133, v129
	ds_load_2addr_b64 v[128:131], v122 offset0:40 offset1:41
	v_pk_add_f32 v[56:57], v[56:57], v[134:135] neg_lo:[0,1] neg_hi:[0,1]
	v_pk_add_f32 v[12:13], v[12:13], v[132:133] neg_lo:[0,1] neg_hi:[0,1]
	s_wait_dscnt 0x0
	v_dual_mul_f32 v132, v129, v121 :: v_dual_mul_f32 v134, v129, v118
	s_delay_alu instid0(VALU_DEP_1) | instskip(NEXT) | instid1(VALU_DEP_2)
	v_pk_fma_f32 v[132:133], v[128:129], v[16:17], v[132:133] op_sel_hi:[1,1,0] neg_lo:[0,0,1] neg_hi:[0,0,1]
	v_pk_fma_f32 v[128:129], v[128:129], v[16:17], v[134:135] op_sel:[1,0,0] op_sel_hi:[0,1,0]
	s_delay_alu instid0(VALU_DEP_1) | instskip(SKIP_1) | instid1(VALU_DEP_2)
	v_mov_b32_e32 v133, v129
	v_pk_mul_f32 v[128:129], v[130:131], v[120:121] op_sel:[0,1]
	v_pk_add_f32 v[52:53], v[52:53], v[132:133] neg_lo:[0,1] neg_hi:[0,1]
	s_delay_alu instid0(VALU_DEP_2) | instskip(SKIP_1) | instid1(VALU_DEP_1)
	v_pk_fma_f32 v[132:133], v[130:131], v[118:119], v[128:129] op_sel:[0,0,1] op_sel_hi:[1,1,0] neg_lo:[0,0,1] neg_hi:[0,0,1]
	v_pk_fma_f32 v[128:129], v[130:131], v[118:119], v[128:129] op_sel:[0,0,1] op_sel_hi:[1,0,0]
	v_mov_b32_e32 v133, v129
	ds_load_2addr_b64 v[128:131], v122 offset0:42 offset1:43
	v_pk_add_f32 v[48:49], v[48:49], v[132:133] neg_lo:[0,1] neg_hi:[0,1]
	s_wait_dscnt 0x0
	v_pk_mul_f32 v[132:133], v[128:129], v[120:121] op_sel:[0,1]
	s_delay_alu instid0(VALU_DEP_1) | instskip(SKIP_1) | instid1(VALU_DEP_1)
	v_pk_fma_f32 v[134:135], v[128:129], v[118:119], v[132:133] op_sel:[0,0,1] op_sel_hi:[1,1,0] neg_lo:[0,0,1] neg_hi:[0,0,1]
	v_pk_fma_f32 v[128:129], v[128:129], v[118:119], v[132:133] op_sel:[0,0,1] op_sel_hi:[1,0,0]
	v_mov_b32_e32 v135, v129
	v_pk_mul_f32 v[128:129], v[130:131], v[120:121] op_sel:[0,1]
	s_delay_alu instid0(VALU_DEP_2) | instskip(NEXT) | instid1(VALU_DEP_2)
	v_pk_add_f32 v[50:51], v[50:51], v[134:135] neg_lo:[0,1] neg_hi:[0,1]
	v_pk_fma_f32 v[132:133], v[130:131], v[118:119], v[128:129] op_sel:[0,0,1] op_sel_hi:[1,1,0] neg_lo:[0,0,1] neg_hi:[0,0,1]
	v_pk_fma_f32 v[128:129], v[130:131], v[118:119], v[128:129] op_sel:[0,0,1] op_sel_hi:[1,0,0]
	s_delay_alu instid0(VALU_DEP_1) | instskip(SKIP_4) | instid1(VALU_DEP_1)
	v_mov_b32_e32 v133, v129
	ds_load_2addr_b64 v[128:131], v122 offset0:44 offset1:45
	v_pk_add_f32 v[10:11], v[10:11], v[132:133] neg_lo:[0,1] neg_hi:[0,1]
	s_wait_dscnt 0x0
	v_pk_mul_f32 v[132:133], v[128:129], v[120:121] op_sel:[0,1]
	v_pk_fma_f32 v[134:135], v[128:129], v[118:119], v[132:133] op_sel:[0,0,1] op_sel_hi:[1,1,0] neg_lo:[0,0,1] neg_hi:[0,0,1]
	v_pk_fma_f32 v[128:129], v[128:129], v[118:119], v[132:133] op_sel:[0,0,1] op_sel_hi:[1,0,0]
	v_dual_mul_f32 v132, v131, v121 :: v_dual_mov_b32 v128, v131
	s_delay_alu instid0(VALU_DEP_2) | instskip(NEXT) | instid1(VALU_DEP_2)
	v_dual_mov_b32 v135, v129 :: v_dual_mov_b32 v129, v130
	v_pk_fma_f32 v[132:133], v[130:131], v[16:17], v[132:133] op_sel_hi:[1,1,0] neg_lo:[0,0,1] neg_hi:[0,0,1]
	v_mul_f32_e32 v130, v131, v118
	s_delay_alu instid0(VALU_DEP_3) | instskip(NEXT) | instid1(VALU_DEP_2)
	v_pk_add_f32 v[46:47], v[46:47], v[134:135] neg_lo:[0,1] neg_hi:[0,1]
	v_pk_fma_f32 v[128:129], v[128:129], v[16:17], v[130:131] op_sel_hi:[1,1,0]
	s_delay_alu instid0(VALU_DEP_1) | instskip(SKIP_4) | instid1(VALU_DEP_1)
	v_mov_b32_e32 v133, v129
	ds_load_2addr_b64 v[128:131], v122 offset0:46 offset1:47
	v_pk_add_f32 v[42:43], v[42:43], v[132:133] neg_lo:[0,1] neg_hi:[0,1]
	s_wait_dscnt 0x0
	v_pk_mul_f32 v[132:133], v[128:129], v[120:121] op_sel:[0,1]
	v_pk_fma_f32 v[134:135], v[128:129], v[118:119], v[132:133] op_sel:[0,0,1] op_sel_hi:[1,1,0] neg_lo:[0,0,1] neg_hi:[0,0,1]
	v_pk_fma_f32 v[128:129], v[128:129], v[118:119], v[132:133] op_sel:[0,0,1] op_sel_hi:[1,0,0]
	s_delay_alu instid0(VALU_DEP_1) | instskip(SKIP_1) | instid1(VALU_DEP_1)
	v_mov_b32_e32 v135, v129
	v_pk_mul_f32 v[128:129], v[130:131], v[120:121] op_sel:[0,1]
	v_pk_fma_f32 v[132:133], v[130:131], v[118:119], v[128:129] op_sel:[0,0,1] op_sel_hi:[1,1,0] neg_lo:[0,0,1] neg_hi:[0,0,1]
	v_pk_fma_f32 v[128:129], v[130:131], v[118:119], v[128:129] op_sel:[0,0,1] op_sel_hi:[1,0,0]
	s_delay_alu instid0(VALU_DEP_1)
	v_mov_b32_e32 v133, v129
	ds_load_2addr_b64 v[128:131], v122 offset0:48 offset1:49
	v_pk_add_f32 v[44:45], v[44:45], v[134:135] neg_lo:[0,1] neg_hi:[0,1]
	v_pk_add_f32 v[6:7], v[6:7], v[132:133] neg_lo:[0,1] neg_hi:[0,1]
	s_wait_dscnt 0x0
	v_pk_mul_f32 v[132:133], v[128:129], v[120:121] op_sel:[0,1]
	s_delay_alu instid0(VALU_DEP_1) | instskip(SKIP_1) | instid1(VALU_DEP_1)
	v_pk_fma_f32 v[134:135], v[128:129], v[118:119], v[132:133] op_sel:[0,0,1] op_sel_hi:[1,1,0] neg_lo:[0,0,1] neg_hi:[0,0,1]
	v_pk_fma_f32 v[128:129], v[128:129], v[118:119], v[132:133] op_sel:[0,0,1] op_sel_hi:[1,0,0]
	v_mov_b32_e32 v135, v129
	v_pk_mul_f32 v[128:129], v[130:131], v[120:121] op_sel:[0,1]
	s_delay_alu instid0(VALU_DEP_1) | instskip(SKIP_1) | instid1(VALU_DEP_1)
	v_pk_fma_f32 v[132:133], v[130:131], v[118:119], v[128:129] op_sel:[0,0,1] op_sel_hi:[1,1,0] neg_lo:[0,0,1] neg_hi:[0,0,1]
	v_pk_fma_f32 v[128:129], v[130:131], v[118:119], v[128:129] op_sel:[0,0,1] op_sel_hi:[1,0,0]
	v_mov_b32_e32 v133, v129
	ds_load_2addr_b64 v[128:131], v122 offset0:50 offset1:51
	v_pk_add_f32 v[34:35], v[34:35], v[134:135] neg_lo:[0,1] neg_hi:[0,1]
	v_pk_add_f32 v[28:29], v[28:29], v[132:133] neg_lo:[0,1] neg_hi:[0,1]
	s_wait_dscnt 0x0
	v_dual_mul_f32 v132, v129, v121 :: v_dual_mul_f32 v134, v129, v118
	s_delay_alu instid0(VALU_DEP_1) | instskip(NEXT) | instid1(VALU_DEP_2)
	v_pk_fma_f32 v[132:133], v[128:129], v[16:17], v[132:133] op_sel_hi:[1,1,0] neg_lo:[0,0,1] neg_hi:[0,0,1]
	v_pk_fma_f32 v[128:129], v[128:129], v[16:17], v[134:135] op_sel:[1,0,0] op_sel_hi:[0,1,0]
	s_delay_alu instid0(VALU_DEP_1) | instskip(SKIP_1) | instid1(VALU_DEP_2)
	v_mov_b32_e32 v133, v129
	v_pk_mul_f32 v[128:129], v[130:131], v[120:121] op_sel:[0,1]
	v_pk_add_f32 v[32:33], v[32:33], v[132:133] neg_lo:[0,1] neg_hi:[0,1]
	s_delay_alu instid0(VALU_DEP_2) | instskip(SKIP_1) | instid1(VALU_DEP_1)
	v_pk_fma_f32 v[132:133], v[130:131], v[118:119], v[128:129] op_sel:[0,0,1] op_sel_hi:[1,1,0] neg_lo:[0,0,1] neg_hi:[0,0,1]
	v_pk_fma_f32 v[128:129], v[130:131], v[118:119], v[128:129] op_sel:[0,0,1] op_sel_hi:[1,0,0]
	v_mov_b32_e32 v133, v129
	ds_load_2addr_b64 v[128:131], v122 offset0:52 offset1:53
	v_pk_add_f32 v[8:9], v[8:9], v[132:133] neg_lo:[0,1] neg_hi:[0,1]
	s_wait_dscnt 0x0
	v_pk_mul_f32 v[132:133], v[128:129], v[120:121] op_sel:[0,1]
	s_delay_alu instid0(VALU_DEP_1) | instskip(SKIP_1) | instid1(VALU_DEP_1)
	v_pk_fma_f32 v[134:135], v[128:129], v[118:119], v[132:133] op_sel:[0,0,1] op_sel_hi:[1,1,0] neg_lo:[0,0,1] neg_hi:[0,0,1]
	v_pk_fma_f32 v[128:129], v[128:129], v[118:119], v[132:133] op_sel:[0,0,1] op_sel_hi:[1,0,0]
	v_mov_b32_e32 v135, v129
	v_pk_mul_f32 v[128:129], v[130:131], v[120:121] op_sel:[0,1]
	s_delay_alu instid0(VALU_DEP_2) | instskip(NEXT) | instid1(VALU_DEP_2)
	v_pk_add_f32 v[26:27], v[26:27], v[134:135] neg_lo:[0,1] neg_hi:[0,1]
	v_pk_fma_f32 v[132:133], v[130:131], v[118:119], v[128:129] op_sel:[0,0,1] op_sel_hi:[1,1,0] neg_lo:[0,0,1] neg_hi:[0,0,1]
	v_pk_fma_f32 v[128:129], v[130:131], v[118:119], v[128:129] op_sel:[0,0,1] op_sel_hi:[1,0,0]
	s_delay_alu instid0(VALU_DEP_1)
	v_mov_b32_e32 v133, v129
	ds_load_2addr_b64 v[128:131], v122 offset0:54 offset1:55
	v_pk_add_f32 v[22:23], v[22:23], v[132:133] neg_lo:[0,1] neg_hi:[0,1]
	s_wait_dscnt 0x0
	v_pk_mul_f32 v[132:133], v[128:129], v[120:121] op_sel:[0,1]
	v_mul_f32_e32 v120, v131, v121
	s_delay_alu instid0(VALU_DEP_2) | instskip(SKIP_2) | instid1(VALU_DEP_4)
	v_pk_fma_f32 v[134:135], v[128:129], v[118:119], v[132:133] op_sel:[0,0,1] op_sel_hi:[1,1,0] neg_lo:[0,0,1] neg_hi:[0,0,1]
	v_pk_fma_f32 v[128:129], v[128:129], v[118:119], v[132:133] op_sel:[0,0,1] op_sel_hi:[1,0,0]
	v_dual_mov_b32 v128, v131 :: v_dual_mul_f32 v118, v131, v118
	v_pk_fma_f32 v[120:121], v[130:131], v[16:17], v[120:121] op_sel_hi:[1,1,0] neg_lo:[0,0,1] neg_hi:[0,0,1]
	s_delay_alu instid0(VALU_DEP_3) | instskip(NEXT) | instid1(VALU_DEP_1)
	v_dual_mov_b32 v135, v129 :: v_dual_mov_b32 v129, v130
	v_pk_add_f32 v[20:21], v[20:21], v[134:135] neg_lo:[0,1] neg_hi:[0,1]
	s_delay_alu instid0(VALU_DEP_2) | instskip(NEXT) | instid1(VALU_DEP_1)
	v_pk_fma_f32 v[118:119], v[128:129], v[16:17], v[118:119] op_sel_hi:[1,1,0]
	v_mov_b32_e32 v121, v119
	s_delay_alu instid0(VALU_DEP_1)
	v_pk_add_f32 v[116:117], v[116:117], v[120:121] neg_lo:[0,1] neg_hi:[0,1]
.LBB110_671:
	s_or_b32 exec_lo, exec_lo, s0
	v_lshl_add_u32 v118, v126, 3, v122
	s_barrier_signal -1
	s_barrier_wait -1
	ds_store_b64 v118, v[64:65]
	s_wait_dscnt 0x0
	s_barrier_signal -1
	s_barrier_wait -1
	ds_load_b64 v[120:121], v122 offset:256
	v_mov_b32_e32 v118, 32
	s_cmp_lt_i32 s18, 34
	s_cbranch_scc1 .LBB110_674
; %bb.672:
	v_add3_u32 v119, v123, 0, 0x108
	v_mov_b32_e32 v118, 32
	s_mov_b32 s0, 33
.LBB110_673:                            ; =>This Inner Loop Header: Depth=1
	ds_load_b64 v[128:129], v119
	s_wait_dscnt 0x1
	v_cmp_gt_f32_e32 vcc_lo, 0, v120
	v_cndmask_b32_e64 v130, v120, -v120, vcc_lo
	v_cmp_gt_f32_e32 vcc_lo, 0, v121
	v_cndmask_b32_e64 v132, v121, -v121, vcc_lo
	s_wait_dscnt 0x0
	v_cmp_gt_f32_e32 vcc_lo, 0, v128
	v_cndmask_b32_e64 v131, v128, -v128, vcc_lo
	v_cmp_gt_f32_e32 vcc_lo, 0, v129
	v_cndmask_b32_e64 v133, v129, -v129, vcc_lo
	s_delay_alu instid0(VALU_DEP_1) | instskip(NEXT) | instid1(VALU_DEP_1)
	v_pk_add_f32 v[130:131], v[130:131], v[132:133]
	v_cmp_lt_f32_e32 vcc_lo, v130, v131
	v_dual_add_nc_u32 v119, 8, v119 :: v_dual_cndmask_b32 v121, v121, v129, vcc_lo
	v_cndmask_b32_e32 v120, v120, v128, vcc_lo
	v_cndmask_b32_e64 v118, v118, s0, vcc_lo
	s_add_co_i32 s0, s0, 1
	s_delay_alu instid0(SALU_CYCLE_1)
	s_cmp_lg_u32 s18, s0
	s_cbranch_scc1 .LBB110_673
.LBB110_674:
	s_wait_dscnt 0x0
	v_cmp_eq_f32_e32 vcc_lo, 0, v120
	v_cmp_eq_f32_e64 s0, 0, v121
	s_and_b32 s0, vcc_lo, s0
	s_delay_alu instid0(SALU_CYCLE_1) | instskip(NEXT) | instid1(SALU_CYCLE_1)
	s_and_saveexec_b32 s1, s0
	s_xor_b32 s0, exec_lo, s1
; %bb.675:
	v_cmp_ne_u32_e32 vcc_lo, 0, v124
	v_cndmask_b32_e32 v124, 33, v124, vcc_lo
; %bb.676:
	s_and_not1_saveexec_b32 s0, s0
	s_cbranch_execz .LBB110_682
; %bb.677:
	v_cmp_ngt_f32_e64 s1, |v120|, |v121|
	s_and_saveexec_b32 s12, s1
	s_delay_alu instid0(SALU_CYCLE_1)
	s_xor_b32 s1, exec_lo, s12
	s_cbranch_execz .LBB110_679
; %bb.678:
	v_div_scale_f32 v119, null, v121, v121, v120
	v_div_scale_f32 v129, vcc_lo, v120, v121, v120
	s_delay_alu instid0(VALU_DEP_2) | instskip(SKIP_1) | instid1(TRANS32_DEP_1)
	v_rcp_f32_e32 v127, v119
	v_nop
	v_fma_f32 v128, -v119, v127, 1.0
	s_delay_alu instid0(VALU_DEP_1) | instskip(NEXT) | instid1(VALU_DEP_1)
	v_fmac_f32_e32 v127, v128, v127
	v_mul_f32_e32 v128, v129, v127
	s_delay_alu instid0(VALU_DEP_1) | instskip(NEXT) | instid1(VALU_DEP_1)
	v_fma_f32 v130, -v119, v128, v129
	v_fmac_f32_e32 v128, v130, v127
	s_delay_alu instid0(VALU_DEP_1) | instskip(NEXT) | instid1(VALU_DEP_1)
	v_fma_f32 v119, -v119, v128, v129
	v_div_fmas_f32 v119, v119, v127, v128
	s_delay_alu instid0(VALU_DEP_1) | instskip(NEXT) | instid1(VALU_DEP_1)
	v_div_fixup_f32 v119, v119, v121, v120
	v_fmac_f32_e32 v121, v120, v119
	s_delay_alu instid0(VALU_DEP_1) | instskip(SKIP_1) | instid1(VALU_DEP_2)
	v_div_scale_f32 v120, null, v121, v121, 1.0
	v_div_scale_f32 v129, vcc_lo, 1.0, v121, 1.0
	v_rcp_f32_e32 v127, v120
	v_nop
	s_delay_alu instid0(TRANS32_DEP_1) | instskip(NEXT) | instid1(VALU_DEP_1)
	v_fma_f32 v128, -v120, v127, 1.0
	v_fmac_f32_e32 v127, v128, v127
	s_delay_alu instid0(VALU_DEP_1) | instskip(NEXT) | instid1(VALU_DEP_1)
	v_mul_f32_e32 v128, v129, v127
	v_fma_f32 v130, -v120, v128, v129
	s_delay_alu instid0(VALU_DEP_1) | instskip(NEXT) | instid1(VALU_DEP_1)
	v_fmac_f32_e32 v128, v130, v127
	v_fma_f32 v120, -v120, v128, v129
	s_delay_alu instid0(VALU_DEP_1) | instskip(NEXT) | instid1(VALU_DEP_1)
	v_div_fmas_f32 v120, v120, v127, v128
	v_div_fixup_f32 v121, v120, v121, 1.0
	s_delay_alu instid0(VALU_DEP_1)
	v_mul_f32_e32 v120, v119, v121
	v_xor_b32_e32 v121, 0x80000000, v121
.LBB110_679:
	s_and_not1_saveexec_b32 s1, s1
	s_cbranch_execz .LBB110_681
; %bb.680:
	s_delay_alu instid0(VALU_DEP_1) | instskip(SKIP_1) | instid1(VALU_DEP_2)
	v_div_scale_f32 v119, null, v120, v120, v121
	v_div_scale_f32 v129, vcc_lo, v121, v120, v121
	v_rcp_f32_e32 v127, v119
	v_nop
	s_delay_alu instid0(TRANS32_DEP_1) | instskip(NEXT) | instid1(VALU_DEP_1)
	v_fma_f32 v128, -v119, v127, 1.0
	v_fmac_f32_e32 v127, v128, v127
	s_delay_alu instid0(VALU_DEP_1) | instskip(NEXT) | instid1(VALU_DEP_1)
	v_mul_f32_e32 v128, v129, v127
	v_fma_f32 v130, -v119, v128, v129
	s_delay_alu instid0(VALU_DEP_1) | instskip(NEXT) | instid1(VALU_DEP_1)
	v_fmac_f32_e32 v128, v130, v127
	v_fma_f32 v119, -v119, v128, v129
	s_delay_alu instid0(VALU_DEP_1) | instskip(NEXT) | instid1(VALU_DEP_1)
	v_div_fmas_f32 v119, v119, v127, v128
	v_div_fixup_f32 v119, v119, v120, v121
	s_delay_alu instid0(VALU_DEP_1) | instskip(NEXT) | instid1(VALU_DEP_1)
	v_fmac_f32_e32 v120, v121, v119
	v_div_scale_f32 v121, null, v120, v120, 1.0
	s_delay_alu instid0(VALU_DEP_1) | instskip(SKIP_1) | instid1(TRANS32_DEP_1)
	v_rcp_f32_e32 v127, v121
	v_nop
	v_fma_f32 v128, -v121, v127, 1.0
	s_delay_alu instid0(VALU_DEP_1) | instskip(SKIP_1) | instid1(VALU_DEP_1)
	v_fmac_f32_e32 v127, v128, v127
	v_div_scale_f32 v128, vcc_lo, 1.0, v120, 1.0
	v_mul_f32_e32 v129, v128, v127
	s_delay_alu instid0(VALU_DEP_1) | instskip(NEXT) | instid1(VALU_DEP_1)
	v_fma_f32 v130, -v121, v129, v128
	v_fmac_f32_e32 v129, v130, v127
	s_delay_alu instid0(VALU_DEP_1) | instskip(NEXT) | instid1(VALU_DEP_1)
	v_fma_f32 v121, -v121, v129, v128
	v_div_fmas_f32 v121, v121, v127, v129
	s_delay_alu instid0(VALU_DEP_1) | instskip(NEXT) | instid1(VALU_DEP_1)
	v_div_fixup_f32 v120, v121, v120, 1.0
	v_mul_f32_e64 v121, v119, -v120
.LBB110_681:
	s_or_b32 exec_lo, exec_lo, s1
.LBB110_682:
	s_delay_alu instid0(SALU_CYCLE_1) | instskip(NEXT) | instid1(SALU_CYCLE_1)
	s_or_b32 exec_lo, exec_lo, s0
	s_mov_b32 s0, exec_lo
	v_cmpx_ne_u32_e64 v126, v118
	s_xor_b32 s0, exec_lo, s0
	s_cbranch_execz .LBB110_688
; %bb.683:
	s_mov_b32 s1, exec_lo
	v_cmpx_eq_u32_e32 32, v126
	s_cbranch_execz .LBB110_687
; %bb.684:
	v_cmp_ne_u32_e32 vcc_lo, 32, v118
	s_xor_b32 s12, s16, -1
	s_delay_alu instid0(SALU_CYCLE_1) | instskip(NEXT) | instid1(SALU_CYCLE_1)
	s_and_b32 s13, s12, vcc_lo
	s_and_saveexec_b32 s12, s13
	s_cbranch_execz .LBB110_686
; %bb.685:
	v_ashrrev_i32_e32 v119, 31, v118
	s_delay_alu instid0(VALU_DEP_1)
	v_lshl_add_u64 v[126:127], v[118:119], 2, v[4:5]
	s_clause 0x1
	global_load_b32 v119, v[126:127], off
	global_load_b32 v125, v[4:5], off offset:128
	s_wait_loadcnt 0x1
	global_store_b32 v[4:5], v119, off offset:128
	s_wait_loadcnt 0x0
	global_store_b32 v[126:127], v125, off
.LBB110_686:
	s_wait_xcnt 0x0
	s_or_b32 exec_lo, exec_lo, s12
	v_dual_mov_b32 v126, v118 :: v_dual_mov_b32 v125, v118
.LBB110_687:
	s_or_b32 exec_lo, exec_lo, s1
.LBB110_688:
	s_and_not1_saveexec_b32 s0, s0
	s_cbranch_execz .LBB110_690
; %bb.689:
	v_mov_b32_e32 v126, 32
	ds_store_2addr_b64 v122, v[60:61], v[62:63] offset0:33 offset1:34
	ds_store_2addr_b64 v122, v[14:15], v[58:59] offset0:35 offset1:36
	;; [unrolled: 1-line block ×11, first 2 shown]
	ds_store_b64 v122, v[116:117] offset:440
.LBB110_690:
	s_or_b32 exec_lo, exec_lo, s0
	s_delay_alu instid0(SALU_CYCLE_1)
	s_mov_b32 s0, exec_lo
	s_wait_storecnt_dscnt 0x0
	s_barrier_signal -1
	s_barrier_wait -1
	v_cmpx_lt_i32_e32 32, v126
	s_cbranch_execz .LBB110_692
; %bb.691:
	v_pk_mul_f32 v[128:129], v[120:121], v[64:65] op_sel:[1,1] op_sel_hi:[0,1]
	s_delay_alu instid0(VALU_DEP_1)
	v_pk_fma_f32 v[118:119], v[120:121], v[64:65], v[128:129] op_sel_hi:[1,0,1] neg_lo:[0,0,1] neg_hi:[0,0,1]
	v_pk_fma_f32 v[120:121], v[120:121], v[64:65], v[128:129] op_sel_hi:[1,0,1]
	ds_load_2addr_b64 v[128:131], v122 offset0:33 offset1:34
	v_dual_mov_b32 v64, v118 :: v_dual_mov_b32 v65, v121
	s_wait_dscnt 0x0
	v_pk_mul_f32 v[132:133], v[128:129], v[120:121] op_sel:[0,1]
	s_delay_alu instid0(VALU_DEP_1) | instskip(SKIP_1) | instid1(VALU_DEP_1)
	v_pk_fma_f32 v[134:135], v[128:129], v[118:119], v[132:133] op_sel:[0,0,1] op_sel_hi:[1,1,0] neg_lo:[0,0,1] neg_hi:[0,0,1]
	v_pk_fma_f32 v[128:129], v[128:129], v[118:119], v[132:133] op_sel:[0,0,1] op_sel_hi:[1,0,0]
	v_mov_b32_e32 v135, v129
	v_pk_mul_f32 v[128:129], v[130:131], v[120:121] op_sel:[0,1]
	s_delay_alu instid0(VALU_DEP_1) | instskip(SKIP_1) | instid1(VALU_DEP_1)
	v_pk_fma_f32 v[132:133], v[130:131], v[118:119], v[128:129] op_sel:[0,0,1] op_sel_hi:[1,1,0] neg_lo:[0,0,1] neg_hi:[0,0,1]
	v_pk_fma_f32 v[128:129], v[130:131], v[118:119], v[128:129] op_sel:[0,0,1] op_sel_hi:[1,0,0]
	v_mov_b32_e32 v133, v129
	ds_load_2addr_b64 v[128:131], v122 offset0:35 offset1:36
	v_pk_add_f32 v[60:61], v[60:61], v[134:135] neg_lo:[0,1] neg_hi:[0,1]
	v_pk_add_f32 v[62:63], v[62:63], v[132:133] neg_lo:[0,1] neg_hi:[0,1]
	s_wait_dscnt 0x0
	v_pk_mul_f32 v[132:133], v[128:129], v[120:121] op_sel:[0,1]
	s_delay_alu instid0(VALU_DEP_1) | instskip(SKIP_2) | instid1(VALU_DEP_2)
	v_pk_fma_f32 v[134:135], v[128:129], v[118:119], v[132:133] op_sel:[0,0,1] op_sel_hi:[1,1,0] neg_lo:[0,0,1] neg_hi:[0,0,1]
	v_pk_fma_f32 v[128:129], v[128:129], v[118:119], v[132:133] op_sel:[0,0,1] op_sel_hi:[1,0,0]
	v_dual_mul_f32 v132, v131, v121 :: v_dual_mov_b32 v128, v131
	v_dual_mov_b32 v135, v129 :: v_dual_mov_b32 v129, v130
	s_delay_alu instid0(VALU_DEP_2) | instskip(SKIP_1) | instid1(VALU_DEP_3)
	v_pk_fma_f32 v[132:133], v[130:131], v[64:65], v[132:133] op_sel_hi:[1,1,0] neg_lo:[0,0,1] neg_hi:[0,0,1]
	v_mul_f32_e32 v130, v131, v118
	v_pk_add_f32 v[14:15], v[14:15], v[134:135] neg_lo:[0,1] neg_hi:[0,1]
	s_delay_alu instid0(VALU_DEP_2) | instskip(NEXT) | instid1(VALU_DEP_1)
	v_pk_fma_f32 v[128:129], v[128:129], v[64:65], v[130:131] op_sel_hi:[1,1,0]
	v_mov_b32_e32 v133, v129
	ds_load_2addr_b64 v[128:131], v122 offset0:37 offset1:38
	v_pk_add_f32 v[58:59], v[58:59], v[132:133] neg_lo:[0,1] neg_hi:[0,1]
	s_wait_dscnt 0x0
	v_pk_mul_f32 v[132:133], v[128:129], v[120:121] op_sel:[0,1]
	s_delay_alu instid0(VALU_DEP_1) | instskip(SKIP_1) | instid1(VALU_DEP_1)
	v_pk_fma_f32 v[134:135], v[128:129], v[118:119], v[132:133] op_sel:[0,0,1] op_sel_hi:[1,1,0] neg_lo:[0,0,1] neg_hi:[0,0,1]
	v_pk_fma_f32 v[128:129], v[128:129], v[118:119], v[132:133] op_sel:[0,0,1] op_sel_hi:[1,0,0]
	v_mov_b32_e32 v135, v129
	v_pk_mul_f32 v[128:129], v[130:131], v[120:121] op_sel:[0,1]
	s_delay_alu instid0(VALU_DEP_1) | instskip(SKIP_1) | instid1(VALU_DEP_1)
	v_pk_fma_f32 v[132:133], v[130:131], v[118:119], v[128:129] op_sel:[0,0,1] op_sel_hi:[1,1,0] neg_lo:[0,0,1] neg_hi:[0,0,1]
	v_pk_fma_f32 v[128:129], v[130:131], v[118:119], v[128:129] op_sel:[0,0,1] op_sel_hi:[1,0,0]
	v_mov_b32_e32 v133, v129
	ds_load_2addr_b64 v[128:131], v122 offset0:39 offset1:40
	v_pk_add_f32 v[54:55], v[54:55], v[134:135] neg_lo:[0,1] neg_hi:[0,1]
	v_pk_add_f32 v[56:57], v[56:57], v[132:133] neg_lo:[0,1] neg_hi:[0,1]
	s_wait_dscnt 0x0
	v_pk_mul_f32 v[132:133], v[128:129], v[120:121] op_sel:[0,1]
	s_delay_alu instid0(VALU_DEP_1) | instskip(SKIP_1) | instid1(VALU_DEP_1)
	v_pk_fma_f32 v[134:135], v[128:129], v[118:119], v[132:133] op_sel:[0,0,1] op_sel_hi:[1,1,0] neg_lo:[0,0,1] neg_hi:[0,0,1]
	v_pk_fma_f32 v[128:129], v[128:129], v[118:119], v[132:133] op_sel:[0,0,1] op_sel_hi:[1,0,0]
	v_mov_b32_e32 v135, v129
	v_pk_mul_f32 v[128:129], v[130:131], v[120:121] op_sel:[0,1]
	s_delay_alu instid0(VALU_DEP_1) | instskip(SKIP_1) | instid1(VALU_DEP_1)
	v_pk_fma_f32 v[132:133], v[130:131], v[118:119], v[128:129] op_sel:[0,0,1] op_sel_hi:[1,1,0] neg_lo:[0,0,1] neg_hi:[0,0,1]
	v_pk_fma_f32 v[128:129], v[130:131], v[118:119], v[128:129] op_sel:[0,0,1] op_sel_hi:[1,0,0]
	v_mov_b32_e32 v133, v129
	ds_load_2addr_b64 v[128:131], v122 offset0:41 offset1:42
	v_pk_add_f32 v[12:13], v[12:13], v[134:135] neg_lo:[0,1] neg_hi:[0,1]
	v_pk_add_f32 v[52:53], v[52:53], v[132:133] neg_lo:[0,1] neg_hi:[0,1]
	s_wait_dscnt 0x0
	v_dual_mul_f32 v132, v129, v121 :: v_dual_mul_f32 v134, v129, v118
	s_delay_alu instid0(VALU_DEP_1) | instskip(NEXT) | instid1(VALU_DEP_2)
	v_pk_fma_f32 v[132:133], v[128:129], v[64:65], v[132:133] op_sel_hi:[1,1,0] neg_lo:[0,0,1] neg_hi:[0,0,1]
	v_pk_fma_f32 v[128:129], v[128:129], v[64:65], v[134:135] op_sel:[1,0,0] op_sel_hi:[0,1,0]
	s_delay_alu instid0(VALU_DEP_1) | instskip(SKIP_1) | instid1(VALU_DEP_2)
	v_mov_b32_e32 v133, v129
	v_pk_mul_f32 v[128:129], v[130:131], v[120:121] op_sel:[0,1]
	v_pk_add_f32 v[48:49], v[48:49], v[132:133] neg_lo:[0,1] neg_hi:[0,1]
	s_delay_alu instid0(VALU_DEP_2) | instskip(SKIP_1) | instid1(VALU_DEP_1)
	v_pk_fma_f32 v[132:133], v[130:131], v[118:119], v[128:129] op_sel:[0,0,1] op_sel_hi:[1,1,0] neg_lo:[0,0,1] neg_hi:[0,0,1]
	v_pk_fma_f32 v[128:129], v[130:131], v[118:119], v[128:129] op_sel:[0,0,1] op_sel_hi:[1,0,0]
	v_mov_b32_e32 v133, v129
	ds_load_2addr_b64 v[128:131], v122 offset0:43 offset1:44
	v_pk_add_f32 v[50:51], v[50:51], v[132:133] neg_lo:[0,1] neg_hi:[0,1]
	s_wait_dscnt 0x0
	v_pk_mul_f32 v[132:133], v[128:129], v[120:121] op_sel:[0,1]
	s_delay_alu instid0(VALU_DEP_1) | instskip(SKIP_1) | instid1(VALU_DEP_1)
	v_pk_fma_f32 v[134:135], v[128:129], v[118:119], v[132:133] op_sel:[0,0,1] op_sel_hi:[1,1,0] neg_lo:[0,0,1] neg_hi:[0,0,1]
	v_pk_fma_f32 v[128:129], v[128:129], v[118:119], v[132:133] op_sel:[0,0,1] op_sel_hi:[1,0,0]
	v_mov_b32_e32 v135, v129
	v_pk_mul_f32 v[128:129], v[130:131], v[120:121] op_sel:[0,1]
	s_delay_alu instid0(VALU_DEP_2) | instskip(NEXT) | instid1(VALU_DEP_2)
	v_pk_add_f32 v[10:11], v[10:11], v[134:135] neg_lo:[0,1] neg_hi:[0,1]
	v_pk_fma_f32 v[132:133], v[130:131], v[118:119], v[128:129] op_sel:[0,0,1] op_sel_hi:[1,1,0] neg_lo:[0,0,1] neg_hi:[0,0,1]
	v_pk_fma_f32 v[128:129], v[130:131], v[118:119], v[128:129] op_sel:[0,0,1] op_sel_hi:[1,0,0]
	s_delay_alu instid0(VALU_DEP_1) | instskip(SKIP_4) | instid1(VALU_DEP_1)
	v_mov_b32_e32 v133, v129
	ds_load_2addr_b64 v[128:131], v122 offset0:45 offset1:46
	v_pk_add_f32 v[46:47], v[46:47], v[132:133] neg_lo:[0,1] neg_hi:[0,1]
	s_wait_dscnt 0x0
	v_pk_mul_f32 v[132:133], v[128:129], v[120:121] op_sel:[0,1]
	v_pk_fma_f32 v[134:135], v[128:129], v[118:119], v[132:133] op_sel:[0,0,1] op_sel_hi:[1,1,0] neg_lo:[0,0,1] neg_hi:[0,0,1]
	v_pk_fma_f32 v[128:129], v[128:129], v[118:119], v[132:133] op_sel:[0,0,1] op_sel_hi:[1,0,0]
	v_dual_mul_f32 v132, v131, v121 :: v_dual_mov_b32 v128, v131
	s_delay_alu instid0(VALU_DEP_2) | instskip(NEXT) | instid1(VALU_DEP_2)
	v_dual_mov_b32 v135, v129 :: v_dual_mov_b32 v129, v130
	v_pk_fma_f32 v[132:133], v[130:131], v[64:65], v[132:133] op_sel_hi:[1,1,0] neg_lo:[0,0,1] neg_hi:[0,0,1]
	v_mul_f32_e32 v130, v131, v118
	s_delay_alu instid0(VALU_DEP_3) | instskip(NEXT) | instid1(VALU_DEP_2)
	v_pk_add_f32 v[42:43], v[42:43], v[134:135] neg_lo:[0,1] neg_hi:[0,1]
	v_pk_fma_f32 v[128:129], v[128:129], v[64:65], v[130:131] op_sel_hi:[1,1,0]
	s_delay_alu instid0(VALU_DEP_1) | instskip(SKIP_4) | instid1(VALU_DEP_1)
	v_mov_b32_e32 v133, v129
	ds_load_2addr_b64 v[128:131], v122 offset0:47 offset1:48
	v_pk_add_f32 v[44:45], v[44:45], v[132:133] neg_lo:[0,1] neg_hi:[0,1]
	s_wait_dscnt 0x0
	v_pk_mul_f32 v[132:133], v[128:129], v[120:121] op_sel:[0,1]
	v_pk_fma_f32 v[134:135], v[128:129], v[118:119], v[132:133] op_sel:[0,0,1] op_sel_hi:[1,1,0] neg_lo:[0,0,1] neg_hi:[0,0,1]
	v_pk_fma_f32 v[128:129], v[128:129], v[118:119], v[132:133] op_sel:[0,0,1] op_sel_hi:[1,0,0]
	s_delay_alu instid0(VALU_DEP_1) | instskip(SKIP_1) | instid1(VALU_DEP_1)
	v_mov_b32_e32 v135, v129
	v_pk_mul_f32 v[128:129], v[130:131], v[120:121] op_sel:[0,1]
	v_pk_fma_f32 v[132:133], v[130:131], v[118:119], v[128:129] op_sel:[0,0,1] op_sel_hi:[1,1,0] neg_lo:[0,0,1] neg_hi:[0,0,1]
	v_pk_fma_f32 v[128:129], v[130:131], v[118:119], v[128:129] op_sel:[0,0,1] op_sel_hi:[1,0,0]
	s_delay_alu instid0(VALU_DEP_1)
	v_mov_b32_e32 v133, v129
	ds_load_2addr_b64 v[128:131], v122 offset0:49 offset1:50
	v_pk_add_f32 v[6:7], v[6:7], v[134:135] neg_lo:[0,1] neg_hi:[0,1]
	v_pk_add_f32 v[34:35], v[34:35], v[132:133] neg_lo:[0,1] neg_hi:[0,1]
	s_wait_dscnt 0x0
	v_pk_mul_f32 v[132:133], v[128:129], v[120:121] op_sel:[0,1]
	s_delay_alu instid0(VALU_DEP_1) | instskip(SKIP_1) | instid1(VALU_DEP_1)
	v_pk_fma_f32 v[134:135], v[128:129], v[118:119], v[132:133] op_sel:[0,0,1] op_sel_hi:[1,1,0] neg_lo:[0,0,1] neg_hi:[0,0,1]
	v_pk_fma_f32 v[128:129], v[128:129], v[118:119], v[132:133] op_sel:[0,0,1] op_sel_hi:[1,0,0]
	v_mov_b32_e32 v135, v129
	v_pk_mul_f32 v[128:129], v[130:131], v[120:121] op_sel:[0,1]
	s_delay_alu instid0(VALU_DEP_1) | instskip(SKIP_1) | instid1(VALU_DEP_1)
	v_pk_fma_f32 v[132:133], v[130:131], v[118:119], v[128:129] op_sel:[0,0,1] op_sel_hi:[1,1,0] neg_lo:[0,0,1] neg_hi:[0,0,1]
	v_pk_fma_f32 v[128:129], v[130:131], v[118:119], v[128:129] op_sel:[0,0,1] op_sel_hi:[1,0,0]
	v_mov_b32_e32 v133, v129
	ds_load_2addr_b64 v[128:131], v122 offset0:51 offset1:52
	v_pk_add_f32 v[28:29], v[28:29], v[134:135] neg_lo:[0,1] neg_hi:[0,1]
	v_pk_add_f32 v[32:33], v[32:33], v[132:133] neg_lo:[0,1] neg_hi:[0,1]
	s_wait_dscnt 0x0
	v_dual_mul_f32 v132, v129, v121 :: v_dual_mul_f32 v134, v129, v118
	s_delay_alu instid0(VALU_DEP_1) | instskip(NEXT) | instid1(VALU_DEP_2)
	v_pk_fma_f32 v[132:133], v[128:129], v[64:65], v[132:133] op_sel_hi:[1,1,0] neg_lo:[0,0,1] neg_hi:[0,0,1]
	v_pk_fma_f32 v[128:129], v[128:129], v[64:65], v[134:135] op_sel:[1,0,0] op_sel_hi:[0,1,0]
	s_delay_alu instid0(VALU_DEP_1) | instskip(SKIP_1) | instid1(VALU_DEP_2)
	v_mov_b32_e32 v133, v129
	v_pk_mul_f32 v[128:129], v[130:131], v[120:121] op_sel:[0,1]
	v_pk_add_f32 v[8:9], v[8:9], v[132:133] neg_lo:[0,1] neg_hi:[0,1]
	s_delay_alu instid0(VALU_DEP_2) | instskip(SKIP_1) | instid1(VALU_DEP_1)
	v_pk_fma_f32 v[132:133], v[130:131], v[118:119], v[128:129] op_sel:[0,0,1] op_sel_hi:[1,1,0] neg_lo:[0,0,1] neg_hi:[0,0,1]
	v_pk_fma_f32 v[128:129], v[130:131], v[118:119], v[128:129] op_sel:[0,0,1] op_sel_hi:[1,0,0]
	v_mov_b32_e32 v133, v129
	ds_load_2addr_b64 v[128:131], v122 offset0:53 offset1:54
	v_pk_add_f32 v[26:27], v[26:27], v[132:133] neg_lo:[0,1] neg_hi:[0,1]
	s_wait_dscnt 0x0
	v_pk_mul_f32 v[132:133], v[128:129], v[120:121] op_sel:[0,1]
	s_delay_alu instid0(VALU_DEP_1) | instskip(SKIP_1) | instid1(VALU_DEP_1)
	v_pk_fma_f32 v[134:135], v[128:129], v[118:119], v[132:133] op_sel:[0,0,1] op_sel_hi:[1,1,0] neg_lo:[0,0,1] neg_hi:[0,0,1]
	v_pk_fma_f32 v[128:129], v[128:129], v[118:119], v[132:133] op_sel:[0,0,1] op_sel_hi:[1,0,0]
	v_mov_b32_e32 v135, v129
	v_pk_mul_f32 v[128:129], v[130:131], v[120:121] op_sel:[0,1]
	s_delay_alu instid0(VALU_DEP_2) | instskip(NEXT) | instid1(VALU_DEP_2)
	v_pk_add_f32 v[22:23], v[22:23], v[134:135] neg_lo:[0,1] neg_hi:[0,1]
	v_pk_fma_f32 v[132:133], v[130:131], v[118:119], v[128:129] op_sel:[0,0,1] op_sel_hi:[1,1,0] neg_lo:[0,0,1] neg_hi:[0,0,1]
	v_pk_fma_f32 v[128:129], v[130:131], v[118:119], v[128:129] op_sel:[0,0,1] op_sel_hi:[1,0,0]
	s_delay_alu instid0(VALU_DEP_1) | instskip(SKIP_4) | instid1(VALU_DEP_1)
	v_mov_b32_e32 v133, v129
	ds_load_b64 v[128:129], v122 offset:440
	v_pk_add_f32 v[20:21], v[20:21], v[132:133] neg_lo:[0,1] neg_hi:[0,1]
	s_wait_dscnt 0x0
	v_pk_mul_f32 v[120:121], v[128:129], v[120:121] op_sel:[0,1]
	v_pk_fma_f32 v[130:131], v[128:129], v[118:119], v[120:121] op_sel:[0,0,1] op_sel_hi:[1,1,0] neg_lo:[0,0,1] neg_hi:[0,0,1]
	v_pk_fma_f32 v[118:119], v[128:129], v[118:119], v[120:121] op_sel:[0,0,1] op_sel_hi:[1,0,0]
	s_delay_alu instid0(VALU_DEP_1) | instskip(NEXT) | instid1(VALU_DEP_1)
	v_mov_b32_e32 v131, v119
	v_pk_add_f32 v[116:117], v[116:117], v[130:131] neg_lo:[0,1] neg_hi:[0,1]
.LBB110_692:
	s_or_b32 exec_lo, exec_lo, s0
	v_lshl_add_u32 v118, v126, 3, v122
	s_barrier_signal -1
	s_barrier_wait -1
	ds_store_b64 v118, v[60:61]
	s_wait_dscnt 0x0
	s_barrier_signal -1
	s_barrier_wait -1
	ds_load_b64 v[120:121], v122 offset:264
	v_mov_b32_e32 v118, 33
	s_cmp_lt_i32 s18, 35
	s_cbranch_scc1 .LBB110_695
; %bb.693:
	v_add3_u32 v119, v123, 0, 0x110
	v_mov_b32_e32 v118, 33
	s_mov_b32 s0, 34
.LBB110_694:                            ; =>This Inner Loop Header: Depth=1
	ds_load_b64 v[128:129], v119
	s_wait_dscnt 0x1
	v_cmp_gt_f32_e32 vcc_lo, 0, v120
	v_cndmask_b32_e64 v130, v120, -v120, vcc_lo
	v_cmp_gt_f32_e32 vcc_lo, 0, v121
	v_cndmask_b32_e64 v132, v121, -v121, vcc_lo
	s_wait_dscnt 0x0
	v_cmp_gt_f32_e32 vcc_lo, 0, v128
	v_cndmask_b32_e64 v131, v128, -v128, vcc_lo
	v_cmp_gt_f32_e32 vcc_lo, 0, v129
	v_cndmask_b32_e64 v133, v129, -v129, vcc_lo
	s_delay_alu instid0(VALU_DEP_1) | instskip(NEXT) | instid1(VALU_DEP_1)
	v_pk_add_f32 v[130:131], v[130:131], v[132:133]
	v_cmp_lt_f32_e32 vcc_lo, v130, v131
	v_dual_add_nc_u32 v119, 8, v119 :: v_dual_cndmask_b32 v121, v121, v129, vcc_lo
	v_cndmask_b32_e32 v120, v120, v128, vcc_lo
	v_cndmask_b32_e64 v118, v118, s0, vcc_lo
	s_add_co_i32 s0, s0, 1
	s_delay_alu instid0(SALU_CYCLE_1)
	s_cmp_lg_u32 s18, s0
	s_cbranch_scc1 .LBB110_694
.LBB110_695:
	s_wait_dscnt 0x0
	v_cmp_eq_f32_e32 vcc_lo, 0, v120
	v_cmp_eq_f32_e64 s0, 0, v121
	s_and_b32 s0, vcc_lo, s0
	s_delay_alu instid0(SALU_CYCLE_1) | instskip(NEXT) | instid1(SALU_CYCLE_1)
	s_and_saveexec_b32 s1, s0
	s_xor_b32 s0, exec_lo, s1
; %bb.696:
	v_cmp_ne_u32_e32 vcc_lo, 0, v124
	v_cndmask_b32_e32 v124, 34, v124, vcc_lo
; %bb.697:
	s_and_not1_saveexec_b32 s0, s0
	s_cbranch_execz .LBB110_703
; %bb.698:
	v_cmp_ngt_f32_e64 s1, |v120|, |v121|
	s_and_saveexec_b32 s12, s1
	s_delay_alu instid0(SALU_CYCLE_1)
	s_xor_b32 s1, exec_lo, s12
	s_cbranch_execz .LBB110_700
; %bb.699:
	v_div_scale_f32 v119, null, v121, v121, v120
	v_div_scale_f32 v129, vcc_lo, v120, v121, v120
	s_delay_alu instid0(VALU_DEP_2) | instskip(SKIP_1) | instid1(TRANS32_DEP_1)
	v_rcp_f32_e32 v127, v119
	v_nop
	v_fma_f32 v128, -v119, v127, 1.0
	s_delay_alu instid0(VALU_DEP_1) | instskip(NEXT) | instid1(VALU_DEP_1)
	v_fmac_f32_e32 v127, v128, v127
	v_mul_f32_e32 v128, v129, v127
	s_delay_alu instid0(VALU_DEP_1) | instskip(NEXT) | instid1(VALU_DEP_1)
	v_fma_f32 v130, -v119, v128, v129
	v_fmac_f32_e32 v128, v130, v127
	s_delay_alu instid0(VALU_DEP_1) | instskip(NEXT) | instid1(VALU_DEP_1)
	v_fma_f32 v119, -v119, v128, v129
	v_div_fmas_f32 v119, v119, v127, v128
	s_delay_alu instid0(VALU_DEP_1) | instskip(NEXT) | instid1(VALU_DEP_1)
	v_div_fixup_f32 v119, v119, v121, v120
	v_fmac_f32_e32 v121, v120, v119
	s_delay_alu instid0(VALU_DEP_1) | instskip(SKIP_1) | instid1(VALU_DEP_2)
	v_div_scale_f32 v120, null, v121, v121, 1.0
	v_div_scale_f32 v129, vcc_lo, 1.0, v121, 1.0
	v_rcp_f32_e32 v127, v120
	v_nop
	s_delay_alu instid0(TRANS32_DEP_1) | instskip(NEXT) | instid1(VALU_DEP_1)
	v_fma_f32 v128, -v120, v127, 1.0
	v_fmac_f32_e32 v127, v128, v127
	s_delay_alu instid0(VALU_DEP_1) | instskip(NEXT) | instid1(VALU_DEP_1)
	v_mul_f32_e32 v128, v129, v127
	v_fma_f32 v130, -v120, v128, v129
	s_delay_alu instid0(VALU_DEP_1) | instskip(NEXT) | instid1(VALU_DEP_1)
	v_fmac_f32_e32 v128, v130, v127
	v_fma_f32 v120, -v120, v128, v129
	s_delay_alu instid0(VALU_DEP_1) | instskip(NEXT) | instid1(VALU_DEP_1)
	v_div_fmas_f32 v120, v120, v127, v128
	v_div_fixup_f32 v121, v120, v121, 1.0
	s_delay_alu instid0(VALU_DEP_1)
	v_mul_f32_e32 v120, v119, v121
	v_xor_b32_e32 v121, 0x80000000, v121
.LBB110_700:
	s_and_not1_saveexec_b32 s1, s1
	s_cbranch_execz .LBB110_702
; %bb.701:
	s_delay_alu instid0(VALU_DEP_1) | instskip(SKIP_1) | instid1(VALU_DEP_2)
	v_div_scale_f32 v119, null, v120, v120, v121
	v_div_scale_f32 v129, vcc_lo, v121, v120, v121
	v_rcp_f32_e32 v127, v119
	v_nop
	s_delay_alu instid0(TRANS32_DEP_1) | instskip(NEXT) | instid1(VALU_DEP_1)
	v_fma_f32 v128, -v119, v127, 1.0
	v_fmac_f32_e32 v127, v128, v127
	s_delay_alu instid0(VALU_DEP_1) | instskip(NEXT) | instid1(VALU_DEP_1)
	v_mul_f32_e32 v128, v129, v127
	v_fma_f32 v130, -v119, v128, v129
	s_delay_alu instid0(VALU_DEP_1) | instskip(NEXT) | instid1(VALU_DEP_1)
	v_fmac_f32_e32 v128, v130, v127
	v_fma_f32 v119, -v119, v128, v129
	s_delay_alu instid0(VALU_DEP_1) | instskip(NEXT) | instid1(VALU_DEP_1)
	v_div_fmas_f32 v119, v119, v127, v128
	v_div_fixup_f32 v119, v119, v120, v121
	s_delay_alu instid0(VALU_DEP_1) | instskip(NEXT) | instid1(VALU_DEP_1)
	v_fmac_f32_e32 v120, v121, v119
	v_div_scale_f32 v121, null, v120, v120, 1.0
	s_delay_alu instid0(VALU_DEP_1) | instskip(SKIP_1) | instid1(TRANS32_DEP_1)
	v_rcp_f32_e32 v127, v121
	v_nop
	v_fma_f32 v128, -v121, v127, 1.0
	s_delay_alu instid0(VALU_DEP_1) | instskip(SKIP_1) | instid1(VALU_DEP_1)
	v_fmac_f32_e32 v127, v128, v127
	v_div_scale_f32 v128, vcc_lo, 1.0, v120, 1.0
	v_mul_f32_e32 v129, v128, v127
	s_delay_alu instid0(VALU_DEP_1) | instskip(NEXT) | instid1(VALU_DEP_1)
	v_fma_f32 v130, -v121, v129, v128
	v_fmac_f32_e32 v129, v130, v127
	s_delay_alu instid0(VALU_DEP_1) | instskip(NEXT) | instid1(VALU_DEP_1)
	v_fma_f32 v121, -v121, v129, v128
	v_div_fmas_f32 v121, v121, v127, v129
	s_delay_alu instid0(VALU_DEP_1) | instskip(NEXT) | instid1(VALU_DEP_1)
	v_div_fixup_f32 v120, v121, v120, 1.0
	v_mul_f32_e64 v121, v119, -v120
.LBB110_702:
	s_or_b32 exec_lo, exec_lo, s1
.LBB110_703:
	s_delay_alu instid0(SALU_CYCLE_1) | instskip(NEXT) | instid1(SALU_CYCLE_1)
	s_or_b32 exec_lo, exec_lo, s0
	s_mov_b32 s0, exec_lo
	v_cmpx_ne_u32_e64 v126, v118
	s_xor_b32 s0, exec_lo, s0
	s_cbranch_execz .LBB110_709
; %bb.704:
	s_mov_b32 s1, exec_lo
	v_cmpx_eq_u32_e32 33, v126
	s_cbranch_execz .LBB110_708
; %bb.705:
	v_cmp_ne_u32_e32 vcc_lo, 33, v118
	s_xor_b32 s12, s16, -1
	s_delay_alu instid0(SALU_CYCLE_1) | instskip(NEXT) | instid1(SALU_CYCLE_1)
	s_and_b32 s13, s12, vcc_lo
	s_and_saveexec_b32 s12, s13
	s_cbranch_execz .LBB110_707
; %bb.706:
	v_ashrrev_i32_e32 v119, 31, v118
	s_delay_alu instid0(VALU_DEP_1)
	v_lshl_add_u64 v[126:127], v[118:119], 2, v[4:5]
	s_clause 0x1
	global_load_b32 v119, v[126:127], off
	global_load_b32 v125, v[4:5], off offset:132
	s_wait_loadcnt 0x1
	global_store_b32 v[4:5], v119, off offset:132
	s_wait_loadcnt 0x0
	global_store_b32 v[126:127], v125, off
.LBB110_707:
	s_wait_xcnt 0x0
	s_or_b32 exec_lo, exec_lo, s12
	v_dual_mov_b32 v126, v118 :: v_dual_mov_b32 v125, v118
.LBB110_708:
	s_or_b32 exec_lo, exec_lo, s1
.LBB110_709:
	s_and_not1_saveexec_b32 s0, s0
	s_cbranch_execz .LBB110_711
; %bb.710:
	v_dual_mov_b32 v118, v62 :: v_dual_mov_b32 v119, v63
	v_dual_mov_b32 v126, v14 :: v_dual_mov_b32 v127, v15
	ds_store_2addr_b64 v122, v[118:119], v[126:127] offset0:34 offset1:35
	v_dual_mov_b32 v118, v58 :: v_dual_mov_b32 v119, v59
	v_dual_mov_b32 v126, v54 :: v_dual_mov_b32 v127, v55
	ds_store_2addr_b64 v122, v[118:119], v[126:127] offset0:36 offset1:37
	;; [unrolled: 3-line block ×10, first 2 shown]
	v_dual_mov_b32 v118, v20 :: v_dual_mov_b32 v119, v21
	v_mov_b32_e32 v126, 33
	ds_store_2addr_b64 v122, v[118:119], v[116:117] offset0:54 offset1:55
.LBB110_711:
	s_or_b32 exec_lo, exec_lo, s0
	s_delay_alu instid0(SALU_CYCLE_1)
	s_mov_b32 s0, exec_lo
	s_wait_storecnt_dscnt 0x0
	s_barrier_signal -1
	s_barrier_wait -1
	v_cmpx_lt_i32_e32 33, v126
	s_cbranch_execz .LBB110_713
; %bb.712:
	v_pk_mul_f32 v[128:129], v[120:121], v[60:61] op_sel:[1,1] op_sel_hi:[0,1]
	s_delay_alu instid0(VALU_DEP_1)
	v_pk_fma_f32 v[118:119], v[120:121], v[60:61], v[128:129] op_sel_hi:[1,0,1] neg_lo:[0,0,1] neg_hi:[0,0,1]
	v_pk_fma_f32 v[120:121], v[120:121], v[60:61], v[128:129] op_sel_hi:[1,0,1]
	ds_load_2addr_b64 v[128:131], v122 offset0:34 offset1:35
	v_dual_mov_b32 v60, v118 :: v_dual_mov_b32 v61, v121
	s_wait_dscnt 0x0
	v_pk_mul_f32 v[132:133], v[128:129], v[120:121] op_sel:[0,1]
	s_delay_alu instid0(VALU_DEP_1) | instskip(SKIP_1) | instid1(VALU_DEP_1)
	v_pk_fma_f32 v[134:135], v[128:129], v[118:119], v[132:133] op_sel:[0,0,1] op_sel_hi:[1,1,0] neg_lo:[0,0,1] neg_hi:[0,0,1]
	v_pk_fma_f32 v[128:129], v[128:129], v[118:119], v[132:133] op_sel:[0,0,1] op_sel_hi:[1,0,0]
	v_mov_b32_e32 v135, v129
	v_pk_mul_f32 v[128:129], v[130:131], v[120:121] op_sel:[0,1]
	s_delay_alu instid0(VALU_DEP_1) | instskip(SKIP_1) | instid1(VALU_DEP_1)
	v_pk_fma_f32 v[132:133], v[130:131], v[118:119], v[128:129] op_sel:[0,0,1] op_sel_hi:[1,1,0] neg_lo:[0,0,1] neg_hi:[0,0,1]
	v_pk_fma_f32 v[128:129], v[130:131], v[118:119], v[128:129] op_sel:[0,0,1] op_sel_hi:[1,0,0]
	v_mov_b32_e32 v133, v129
	ds_load_2addr_b64 v[128:131], v122 offset0:36 offset1:37
	v_pk_add_f32 v[62:63], v[62:63], v[134:135] neg_lo:[0,1] neg_hi:[0,1]
	v_pk_add_f32 v[14:15], v[14:15], v[132:133] neg_lo:[0,1] neg_hi:[0,1]
	s_wait_dscnt 0x0
	v_pk_mul_f32 v[132:133], v[128:129], v[120:121] op_sel:[0,1]
	s_delay_alu instid0(VALU_DEP_1) | instskip(SKIP_2) | instid1(VALU_DEP_2)
	v_pk_fma_f32 v[134:135], v[128:129], v[118:119], v[132:133] op_sel:[0,0,1] op_sel_hi:[1,1,0] neg_lo:[0,0,1] neg_hi:[0,0,1]
	v_pk_fma_f32 v[128:129], v[128:129], v[118:119], v[132:133] op_sel:[0,0,1] op_sel_hi:[1,0,0]
	v_dual_mul_f32 v132, v131, v121 :: v_dual_mov_b32 v128, v131
	v_dual_mov_b32 v135, v129 :: v_dual_mov_b32 v129, v130
	s_delay_alu instid0(VALU_DEP_2) | instskip(SKIP_1) | instid1(VALU_DEP_3)
	v_pk_fma_f32 v[132:133], v[130:131], v[60:61], v[132:133] op_sel_hi:[1,1,0] neg_lo:[0,0,1] neg_hi:[0,0,1]
	v_mul_f32_e32 v130, v131, v118
	v_pk_add_f32 v[58:59], v[58:59], v[134:135] neg_lo:[0,1] neg_hi:[0,1]
	s_delay_alu instid0(VALU_DEP_2) | instskip(NEXT) | instid1(VALU_DEP_1)
	v_pk_fma_f32 v[128:129], v[128:129], v[60:61], v[130:131] op_sel_hi:[1,1,0]
	v_mov_b32_e32 v133, v129
	ds_load_2addr_b64 v[128:131], v122 offset0:38 offset1:39
	v_pk_add_f32 v[54:55], v[54:55], v[132:133] neg_lo:[0,1] neg_hi:[0,1]
	s_wait_dscnt 0x0
	v_pk_mul_f32 v[132:133], v[128:129], v[120:121] op_sel:[0,1]
	s_delay_alu instid0(VALU_DEP_1) | instskip(SKIP_1) | instid1(VALU_DEP_1)
	v_pk_fma_f32 v[134:135], v[128:129], v[118:119], v[132:133] op_sel:[0,0,1] op_sel_hi:[1,1,0] neg_lo:[0,0,1] neg_hi:[0,0,1]
	v_pk_fma_f32 v[128:129], v[128:129], v[118:119], v[132:133] op_sel:[0,0,1] op_sel_hi:[1,0,0]
	v_mov_b32_e32 v135, v129
	v_pk_mul_f32 v[128:129], v[130:131], v[120:121] op_sel:[0,1]
	s_delay_alu instid0(VALU_DEP_1) | instskip(SKIP_1) | instid1(VALU_DEP_1)
	v_pk_fma_f32 v[132:133], v[130:131], v[118:119], v[128:129] op_sel:[0,0,1] op_sel_hi:[1,1,0] neg_lo:[0,0,1] neg_hi:[0,0,1]
	v_pk_fma_f32 v[128:129], v[130:131], v[118:119], v[128:129] op_sel:[0,0,1] op_sel_hi:[1,0,0]
	v_mov_b32_e32 v133, v129
	ds_load_2addr_b64 v[128:131], v122 offset0:40 offset1:41
	v_pk_add_f32 v[56:57], v[56:57], v[134:135] neg_lo:[0,1] neg_hi:[0,1]
	v_pk_add_f32 v[12:13], v[12:13], v[132:133] neg_lo:[0,1] neg_hi:[0,1]
	s_wait_dscnt 0x0
	v_pk_mul_f32 v[132:133], v[128:129], v[120:121] op_sel:[0,1]
	s_delay_alu instid0(VALU_DEP_1) | instskip(SKIP_1) | instid1(VALU_DEP_1)
	v_pk_fma_f32 v[134:135], v[128:129], v[118:119], v[132:133] op_sel:[0,0,1] op_sel_hi:[1,1,0] neg_lo:[0,0,1] neg_hi:[0,0,1]
	v_pk_fma_f32 v[128:129], v[128:129], v[118:119], v[132:133] op_sel:[0,0,1] op_sel_hi:[1,0,0]
	v_mov_b32_e32 v135, v129
	v_pk_mul_f32 v[128:129], v[130:131], v[120:121] op_sel:[0,1]
	s_delay_alu instid0(VALU_DEP_1) | instskip(SKIP_1) | instid1(VALU_DEP_1)
	v_pk_fma_f32 v[132:133], v[130:131], v[118:119], v[128:129] op_sel:[0,0,1] op_sel_hi:[1,1,0] neg_lo:[0,0,1] neg_hi:[0,0,1]
	v_pk_fma_f32 v[128:129], v[130:131], v[118:119], v[128:129] op_sel:[0,0,1] op_sel_hi:[1,0,0]
	v_mov_b32_e32 v133, v129
	ds_load_2addr_b64 v[128:131], v122 offset0:42 offset1:43
	v_pk_add_f32 v[52:53], v[52:53], v[134:135] neg_lo:[0,1] neg_hi:[0,1]
	v_pk_add_f32 v[48:49], v[48:49], v[132:133] neg_lo:[0,1] neg_hi:[0,1]
	s_wait_dscnt 0x0
	v_dual_mul_f32 v132, v129, v121 :: v_dual_mul_f32 v134, v129, v118
	s_delay_alu instid0(VALU_DEP_1) | instskip(NEXT) | instid1(VALU_DEP_2)
	v_pk_fma_f32 v[132:133], v[128:129], v[60:61], v[132:133] op_sel_hi:[1,1,0] neg_lo:[0,0,1] neg_hi:[0,0,1]
	v_pk_fma_f32 v[128:129], v[128:129], v[60:61], v[134:135] op_sel:[1,0,0] op_sel_hi:[0,1,0]
	s_delay_alu instid0(VALU_DEP_1) | instskip(SKIP_1) | instid1(VALU_DEP_2)
	v_mov_b32_e32 v133, v129
	v_pk_mul_f32 v[128:129], v[130:131], v[120:121] op_sel:[0,1]
	v_pk_add_f32 v[50:51], v[50:51], v[132:133] neg_lo:[0,1] neg_hi:[0,1]
	s_delay_alu instid0(VALU_DEP_2) | instskip(SKIP_1) | instid1(VALU_DEP_1)
	v_pk_fma_f32 v[132:133], v[130:131], v[118:119], v[128:129] op_sel:[0,0,1] op_sel_hi:[1,1,0] neg_lo:[0,0,1] neg_hi:[0,0,1]
	v_pk_fma_f32 v[128:129], v[130:131], v[118:119], v[128:129] op_sel:[0,0,1] op_sel_hi:[1,0,0]
	v_mov_b32_e32 v133, v129
	ds_load_2addr_b64 v[128:131], v122 offset0:44 offset1:45
	v_pk_add_f32 v[10:11], v[10:11], v[132:133] neg_lo:[0,1] neg_hi:[0,1]
	s_wait_dscnt 0x0
	v_pk_mul_f32 v[132:133], v[128:129], v[120:121] op_sel:[0,1]
	s_delay_alu instid0(VALU_DEP_1) | instskip(SKIP_1) | instid1(VALU_DEP_1)
	v_pk_fma_f32 v[134:135], v[128:129], v[118:119], v[132:133] op_sel:[0,0,1] op_sel_hi:[1,1,0] neg_lo:[0,0,1] neg_hi:[0,0,1]
	v_pk_fma_f32 v[128:129], v[128:129], v[118:119], v[132:133] op_sel:[0,0,1] op_sel_hi:[1,0,0]
	v_mov_b32_e32 v135, v129
	v_pk_mul_f32 v[128:129], v[130:131], v[120:121] op_sel:[0,1]
	s_delay_alu instid0(VALU_DEP_2) | instskip(NEXT) | instid1(VALU_DEP_2)
	v_pk_add_f32 v[46:47], v[46:47], v[134:135] neg_lo:[0,1] neg_hi:[0,1]
	v_pk_fma_f32 v[132:133], v[130:131], v[118:119], v[128:129] op_sel:[0,0,1] op_sel_hi:[1,1,0] neg_lo:[0,0,1] neg_hi:[0,0,1]
	v_pk_fma_f32 v[128:129], v[130:131], v[118:119], v[128:129] op_sel:[0,0,1] op_sel_hi:[1,0,0]
	s_delay_alu instid0(VALU_DEP_1) | instskip(SKIP_4) | instid1(VALU_DEP_1)
	v_mov_b32_e32 v133, v129
	ds_load_2addr_b64 v[128:131], v122 offset0:46 offset1:47
	v_pk_add_f32 v[42:43], v[42:43], v[132:133] neg_lo:[0,1] neg_hi:[0,1]
	s_wait_dscnt 0x0
	v_pk_mul_f32 v[132:133], v[128:129], v[120:121] op_sel:[0,1]
	v_pk_fma_f32 v[134:135], v[128:129], v[118:119], v[132:133] op_sel:[0,0,1] op_sel_hi:[1,1,0] neg_lo:[0,0,1] neg_hi:[0,0,1]
	v_pk_fma_f32 v[128:129], v[128:129], v[118:119], v[132:133] op_sel:[0,0,1] op_sel_hi:[1,0,0]
	v_dual_mul_f32 v132, v131, v121 :: v_dual_mov_b32 v128, v131
	s_delay_alu instid0(VALU_DEP_2) | instskip(NEXT) | instid1(VALU_DEP_2)
	v_dual_mov_b32 v135, v129 :: v_dual_mov_b32 v129, v130
	v_pk_fma_f32 v[132:133], v[130:131], v[60:61], v[132:133] op_sel_hi:[1,1,0] neg_lo:[0,0,1] neg_hi:[0,0,1]
	v_mul_f32_e32 v130, v131, v118
	s_delay_alu instid0(VALU_DEP_3) | instskip(NEXT) | instid1(VALU_DEP_2)
	v_pk_add_f32 v[44:45], v[44:45], v[134:135] neg_lo:[0,1] neg_hi:[0,1]
	v_pk_fma_f32 v[128:129], v[128:129], v[60:61], v[130:131] op_sel_hi:[1,1,0]
	s_delay_alu instid0(VALU_DEP_1) | instskip(SKIP_4) | instid1(VALU_DEP_1)
	v_mov_b32_e32 v133, v129
	ds_load_2addr_b64 v[128:131], v122 offset0:48 offset1:49
	v_pk_add_f32 v[6:7], v[6:7], v[132:133] neg_lo:[0,1] neg_hi:[0,1]
	s_wait_dscnt 0x0
	v_pk_mul_f32 v[132:133], v[128:129], v[120:121] op_sel:[0,1]
	v_pk_fma_f32 v[134:135], v[128:129], v[118:119], v[132:133] op_sel:[0,0,1] op_sel_hi:[1,1,0] neg_lo:[0,0,1] neg_hi:[0,0,1]
	v_pk_fma_f32 v[128:129], v[128:129], v[118:119], v[132:133] op_sel:[0,0,1] op_sel_hi:[1,0,0]
	s_delay_alu instid0(VALU_DEP_1) | instskip(SKIP_1) | instid1(VALU_DEP_1)
	v_mov_b32_e32 v135, v129
	v_pk_mul_f32 v[128:129], v[130:131], v[120:121] op_sel:[0,1]
	v_pk_fma_f32 v[132:133], v[130:131], v[118:119], v[128:129] op_sel:[0,0,1] op_sel_hi:[1,1,0] neg_lo:[0,0,1] neg_hi:[0,0,1]
	v_pk_fma_f32 v[128:129], v[130:131], v[118:119], v[128:129] op_sel:[0,0,1] op_sel_hi:[1,0,0]
	s_delay_alu instid0(VALU_DEP_1)
	v_mov_b32_e32 v133, v129
	ds_load_2addr_b64 v[128:131], v122 offset0:50 offset1:51
	v_pk_add_f32 v[34:35], v[34:35], v[134:135] neg_lo:[0,1] neg_hi:[0,1]
	v_pk_add_f32 v[28:29], v[28:29], v[132:133] neg_lo:[0,1] neg_hi:[0,1]
	s_wait_dscnt 0x0
	v_pk_mul_f32 v[132:133], v[128:129], v[120:121] op_sel:[0,1]
	s_delay_alu instid0(VALU_DEP_1) | instskip(SKIP_1) | instid1(VALU_DEP_1)
	v_pk_fma_f32 v[134:135], v[128:129], v[118:119], v[132:133] op_sel:[0,0,1] op_sel_hi:[1,1,0] neg_lo:[0,0,1] neg_hi:[0,0,1]
	v_pk_fma_f32 v[128:129], v[128:129], v[118:119], v[132:133] op_sel:[0,0,1] op_sel_hi:[1,0,0]
	v_mov_b32_e32 v135, v129
	v_pk_mul_f32 v[128:129], v[130:131], v[120:121] op_sel:[0,1]
	s_delay_alu instid0(VALU_DEP_1) | instskip(SKIP_1) | instid1(VALU_DEP_1)
	v_pk_fma_f32 v[132:133], v[130:131], v[118:119], v[128:129] op_sel:[0,0,1] op_sel_hi:[1,1,0] neg_lo:[0,0,1] neg_hi:[0,0,1]
	v_pk_fma_f32 v[128:129], v[130:131], v[118:119], v[128:129] op_sel:[0,0,1] op_sel_hi:[1,0,0]
	v_mov_b32_e32 v133, v129
	ds_load_2addr_b64 v[128:131], v122 offset0:52 offset1:53
	v_pk_add_f32 v[32:33], v[32:33], v[134:135] neg_lo:[0,1] neg_hi:[0,1]
	v_pk_add_f32 v[8:9], v[8:9], v[132:133] neg_lo:[0,1] neg_hi:[0,1]
	s_wait_dscnt 0x0
	v_dual_mul_f32 v132, v129, v121 :: v_dual_mul_f32 v134, v129, v118
	s_delay_alu instid0(VALU_DEP_1) | instskip(NEXT) | instid1(VALU_DEP_2)
	v_pk_fma_f32 v[132:133], v[128:129], v[60:61], v[132:133] op_sel_hi:[1,1,0] neg_lo:[0,0,1] neg_hi:[0,0,1]
	v_pk_fma_f32 v[128:129], v[128:129], v[60:61], v[134:135] op_sel:[1,0,0] op_sel_hi:[0,1,0]
	s_delay_alu instid0(VALU_DEP_1) | instskip(SKIP_1) | instid1(VALU_DEP_2)
	v_mov_b32_e32 v133, v129
	v_pk_mul_f32 v[128:129], v[130:131], v[120:121] op_sel:[0,1]
	v_pk_add_f32 v[26:27], v[26:27], v[132:133] neg_lo:[0,1] neg_hi:[0,1]
	s_delay_alu instid0(VALU_DEP_2) | instskip(SKIP_1) | instid1(VALU_DEP_1)
	v_pk_fma_f32 v[132:133], v[130:131], v[118:119], v[128:129] op_sel:[0,0,1] op_sel_hi:[1,1,0] neg_lo:[0,0,1] neg_hi:[0,0,1]
	v_pk_fma_f32 v[128:129], v[130:131], v[118:119], v[128:129] op_sel:[0,0,1] op_sel_hi:[1,0,0]
	v_mov_b32_e32 v133, v129
	ds_load_2addr_b64 v[128:131], v122 offset0:54 offset1:55
	v_pk_add_f32 v[22:23], v[22:23], v[132:133] neg_lo:[0,1] neg_hi:[0,1]
	s_wait_dscnt 0x0
	v_pk_mul_f32 v[132:133], v[128:129], v[120:121] op_sel:[0,1]
	v_pk_mul_f32 v[120:121], v[130:131], v[120:121] op_sel:[0,1]
	s_delay_alu instid0(VALU_DEP_2) | instskip(SKIP_1) | instid1(VALU_DEP_1)
	v_pk_fma_f32 v[134:135], v[128:129], v[118:119], v[132:133] op_sel:[0,0,1] op_sel_hi:[1,1,0] neg_lo:[0,0,1] neg_hi:[0,0,1]
	v_pk_fma_f32 v[128:129], v[128:129], v[118:119], v[132:133] op_sel:[0,0,1] op_sel_hi:[1,0,0]
	v_mov_b32_e32 v135, v129
	s_delay_alu instid0(VALU_DEP_4) | instskip(SKIP_1) | instid1(VALU_DEP_3)
	v_pk_fma_f32 v[128:129], v[130:131], v[118:119], v[120:121] op_sel:[0,0,1] op_sel_hi:[1,1,0] neg_lo:[0,0,1] neg_hi:[0,0,1]
	v_pk_fma_f32 v[118:119], v[130:131], v[118:119], v[120:121] op_sel:[0,0,1] op_sel_hi:[1,0,0]
	v_pk_add_f32 v[20:21], v[20:21], v[134:135] neg_lo:[0,1] neg_hi:[0,1]
	s_delay_alu instid0(VALU_DEP_2) | instskip(NEXT) | instid1(VALU_DEP_1)
	v_mov_b32_e32 v129, v119
	v_pk_add_f32 v[116:117], v[116:117], v[128:129] neg_lo:[0,1] neg_hi:[0,1]
.LBB110_713:
	s_or_b32 exec_lo, exec_lo, s0
	v_lshl_add_u32 v118, v126, 3, v122
	s_barrier_signal -1
	s_barrier_wait -1
	ds_store_b64 v118, v[62:63]
	s_wait_dscnt 0x0
	s_barrier_signal -1
	s_barrier_wait -1
	ds_load_b64 v[120:121], v122 offset:272
	v_mov_b32_e32 v118, 34
	s_cmp_lt_i32 s18, 36
	s_cbranch_scc1 .LBB110_716
; %bb.714:
	v_add3_u32 v119, v123, 0, 0x118
	v_mov_b32_e32 v118, 34
	s_mov_b32 s0, 35
.LBB110_715:                            ; =>This Inner Loop Header: Depth=1
	ds_load_b64 v[128:129], v119
	s_wait_dscnt 0x1
	v_cmp_gt_f32_e32 vcc_lo, 0, v120
	v_cndmask_b32_e64 v130, v120, -v120, vcc_lo
	v_cmp_gt_f32_e32 vcc_lo, 0, v121
	v_cndmask_b32_e64 v132, v121, -v121, vcc_lo
	s_wait_dscnt 0x0
	v_cmp_gt_f32_e32 vcc_lo, 0, v128
	v_cndmask_b32_e64 v131, v128, -v128, vcc_lo
	v_cmp_gt_f32_e32 vcc_lo, 0, v129
	v_cndmask_b32_e64 v133, v129, -v129, vcc_lo
	s_delay_alu instid0(VALU_DEP_1) | instskip(NEXT) | instid1(VALU_DEP_1)
	v_pk_add_f32 v[130:131], v[130:131], v[132:133]
	v_cmp_lt_f32_e32 vcc_lo, v130, v131
	v_dual_add_nc_u32 v119, 8, v119 :: v_dual_cndmask_b32 v121, v121, v129, vcc_lo
	v_cndmask_b32_e32 v120, v120, v128, vcc_lo
	v_cndmask_b32_e64 v118, v118, s0, vcc_lo
	s_add_co_i32 s0, s0, 1
	s_delay_alu instid0(SALU_CYCLE_1)
	s_cmp_lg_u32 s18, s0
	s_cbranch_scc1 .LBB110_715
.LBB110_716:
	s_wait_dscnt 0x0
	v_cmp_eq_f32_e32 vcc_lo, 0, v120
	v_cmp_eq_f32_e64 s0, 0, v121
	s_and_b32 s0, vcc_lo, s0
	s_delay_alu instid0(SALU_CYCLE_1) | instskip(NEXT) | instid1(SALU_CYCLE_1)
	s_and_saveexec_b32 s1, s0
	s_xor_b32 s0, exec_lo, s1
; %bb.717:
	v_cmp_ne_u32_e32 vcc_lo, 0, v124
	v_cndmask_b32_e32 v124, 35, v124, vcc_lo
; %bb.718:
	s_and_not1_saveexec_b32 s0, s0
	s_cbranch_execz .LBB110_724
; %bb.719:
	v_cmp_ngt_f32_e64 s1, |v120|, |v121|
	s_and_saveexec_b32 s12, s1
	s_delay_alu instid0(SALU_CYCLE_1)
	s_xor_b32 s1, exec_lo, s12
	s_cbranch_execz .LBB110_721
; %bb.720:
	v_div_scale_f32 v119, null, v121, v121, v120
	v_div_scale_f32 v129, vcc_lo, v120, v121, v120
	s_delay_alu instid0(VALU_DEP_2) | instskip(SKIP_1) | instid1(TRANS32_DEP_1)
	v_rcp_f32_e32 v127, v119
	v_nop
	v_fma_f32 v128, -v119, v127, 1.0
	s_delay_alu instid0(VALU_DEP_1) | instskip(NEXT) | instid1(VALU_DEP_1)
	v_fmac_f32_e32 v127, v128, v127
	v_mul_f32_e32 v128, v129, v127
	s_delay_alu instid0(VALU_DEP_1) | instskip(NEXT) | instid1(VALU_DEP_1)
	v_fma_f32 v130, -v119, v128, v129
	v_fmac_f32_e32 v128, v130, v127
	s_delay_alu instid0(VALU_DEP_1) | instskip(NEXT) | instid1(VALU_DEP_1)
	v_fma_f32 v119, -v119, v128, v129
	v_div_fmas_f32 v119, v119, v127, v128
	s_delay_alu instid0(VALU_DEP_1) | instskip(NEXT) | instid1(VALU_DEP_1)
	v_div_fixup_f32 v119, v119, v121, v120
	v_fmac_f32_e32 v121, v120, v119
	s_delay_alu instid0(VALU_DEP_1) | instskip(SKIP_1) | instid1(VALU_DEP_2)
	v_div_scale_f32 v120, null, v121, v121, 1.0
	v_div_scale_f32 v129, vcc_lo, 1.0, v121, 1.0
	v_rcp_f32_e32 v127, v120
	v_nop
	s_delay_alu instid0(TRANS32_DEP_1) | instskip(NEXT) | instid1(VALU_DEP_1)
	v_fma_f32 v128, -v120, v127, 1.0
	v_fmac_f32_e32 v127, v128, v127
	s_delay_alu instid0(VALU_DEP_1) | instskip(NEXT) | instid1(VALU_DEP_1)
	v_mul_f32_e32 v128, v129, v127
	v_fma_f32 v130, -v120, v128, v129
	s_delay_alu instid0(VALU_DEP_1) | instskip(NEXT) | instid1(VALU_DEP_1)
	v_fmac_f32_e32 v128, v130, v127
	v_fma_f32 v120, -v120, v128, v129
	s_delay_alu instid0(VALU_DEP_1) | instskip(NEXT) | instid1(VALU_DEP_1)
	v_div_fmas_f32 v120, v120, v127, v128
	v_div_fixup_f32 v121, v120, v121, 1.0
	s_delay_alu instid0(VALU_DEP_1)
	v_mul_f32_e32 v120, v119, v121
	v_xor_b32_e32 v121, 0x80000000, v121
.LBB110_721:
	s_and_not1_saveexec_b32 s1, s1
	s_cbranch_execz .LBB110_723
; %bb.722:
	s_delay_alu instid0(VALU_DEP_1) | instskip(SKIP_1) | instid1(VALU_DEP_2)
	v_div_scale_f32 v119, null, v120, v120, v121
	v_div_scale_f32 v129, vcc_lo, v121, v120, v121
	v_rcp_f32_e32 v127, v119
	v_nop
	s_delay_alu instid0(TRANS32_DEP_1) | instskip(NEXT) | instid1(VALU_DEP_1)
	v_fma_f32 v128, -v119, v127, 1.0
	v_fmac_f32_e32 v127, v128, v127
	s_delay_alu instid0(VALU_DEP_1) | instskip(NEXT) | instid1(VALU_DEP_1)
	v_mul_f32_e32 v128, v129, v127
	v_fma_f32 v130, -v119, v128, v129
	s_delay_alu instid0(VALU_DEP_1) | instskip(NEXT) | instid1(VALU_DEP_1)
	v_fmac_f32_e32 v128, v130, v127
	v_fma_f32 v119, -v119, v128, v129
	s_delay_alu instid0(VALU_DEP_1) | instskip(NEXT) | instid1(VALU_DEP_1)
	v_div_fmas_f32 v119, v119, v127, v128
	v_div_fixup_f32 v119, v119, v120, v121
	s_delay_alu instid0(VALU_DEP_1) | instskip(NEXT) | instid1(VALU_DEP_1)
	v_fmac_f32_e32 v120, v121, v119
	v_div_scale_f32 v121, null, v120, v120, 1.0
	s_delay_alu instid0(VALU_DEP_1) | instskip(SKIP_1) | instid1(TRANS32_DEP_1)
	v_rcp_f32_e32 v127, v121
	v_nop
	v_fma_f32 v128, -v121, v127, 1.0
	s_delay_alu instid0(VALU_DEP_1) | instskip(SKIP_1) | instid1(VALU_DEP_1)
	v_fmac_f32_e32 v127, v128, v127
	v_div_scale_f32 v128, vcc_lo, 1.0, v120, 1.0
	v_mul_f32_e32 v129, v128, v127
	s_delay_alu instid0(VALU_DEP_1) | instskip(NEXT) | instid1(VALU_DEP_1)
	v_fma_f32 v130, -v121, v129, v128
	v_fmac_f32_e32 v129, v130, v127
	s_delay_alu instid0(VALU_DEP_1) | instskip(NEXT) | instid1(VALU_DEP_1)
	v_fma_f32 v121, -v121, v129, v128
	v_div_fmas_f32 v121, v121, v127, v129
	s_delay_alu instid0(VALU_DEP_1) | instskip(NEXT) | instid1(VALU_DEP_1)
	v_div_fixup_f32 v120, v121, v120, 1.0
	v_mul_f32_e64 v121, v119, -v120
.LBB110_723:
	s_or_b32 exec_lo, exec_lo, s1
.LBB110_724:
	s_delay_alu instid0(SALU_CYCLE_1) | instskip(NEXT) | instid1(SALU_CYCLE_1)
	s_or_b32 exec_lo, exec_lo, s0
	s_mov_b32 s0, exec_lo
	v_cmpx_ne_u32_e64 v126, v118
	s_xor_b32 s0, exec_lo, s0
	s_cbranch_execz .LBB110_730
; %bb.725:
	s_mov_b32 s1, exec_lo
	v_cmpx_eq_u32_e32 34, v126
	s_cbranch_execz .LBB110_729
; %bb.726:
	v_cmp_ne_u32_e32 vcc_lo, 34, v118
	s_xor_b32 s12, s16, -1
	s_delay_alu instid0(SALU_CYCLE_1) | instskip(NEXT) | instid1(SALU_CYCLE_1)
	s_and_b32 s13, s12, vcc_lo
	s_and_saveexec_b32 s12, s13
	s_cbranch_execz .LBB110_728
; %bb.727:
	v_ashrrev_i32_e32 v119, 31, v118
	s_delay_alu instid0(VALU_DEP_1)
	v_lshl_add_u64 v[126:127], v[118:119], 2, v[4:5]
	s_clause 0x1
	global_load_b32 v119, v[126:127], off
	global_load_b32 v125, v[4:5], off offset:136
	s_wait_loadcnt 0x1
	global_store_b32 v[4:5], v119, off offset:136
	s_wait_loadcnt 0x0
	global_store_b32 v[126:127], v125, off
.LBB110_728:
	s_wait_xcnt 0x0
	s_or_b32 exec_lo, exec_lo, s12
	v_dual_mov_b32 v126, v118 :: v_dual_mov_b32 v125, v118
.LBB110_729:
	s_or_b32 exec_lo, exec_lo, s1
.LBB110_730:
	s_and_not1_saveexec_b32 s0, s0
	s_cbranch_execz .LBB110_732
; %bb.731:
	v_mov_b32_e32 v126, 34
	ds_store_2addr_b64 v122, v[14:15], v[58:59] offset0:35 offset1:36
	ds_store_2addr_b64 v122, v[54:55], v[56:57] offset0:37 offset1:38
	ds_store_2addr_b64 v122, v[12:13], v[52:53] offset0:39 offset1:40
	ds_store_2addr_b64 v122, v[48:49], v[50:51] offset0:41 offset1:42
	ds_store_2addr_b64 v122, v[10:11], v[46:47] offset0:43 offset1:44
	ds_store_2addr_b64 v122, v[42:43], v[44:45] offset0:45 offset1:46
	ds_store_2addr_b64 v122, v[6:7], v[34:35] offset0:47 offset1:48
	ds_store_2addr_b64 v122, v[28:29], v[32:33] offset0:49 offset1:50
	ds_store_2addr_b64 v122, v[8:9], v[26:27] offset0:51 offset1:52
	ds_store_2addr_b64 v122, v[22:23], v[20:21] offset0:53 offset1:54
	ds_store_b64 v122, v[116:117] offset:440
.LBB110_732:
	s_or_b32 exec_lo, exec_lo, s0
	s_delay_alu instid0(SALU_CYCLE_1)
	s_mov_b32 s0, exec_lo
	s_wait_storecnt_dscnt 0x0
	s_barrier_signal -1
	s_barrier_wait -1
	v_cmpx_lt_i32_e32 34, v126
	s_cbranch_execz .LBB110_734
; %bb.733:
	v_pk_mul_f32 v[128:129], v[120:121], v[62:63] op_sel:[1,1] op_sel_hi:[0,1]
	s_delay_alu instid0(VALU_DEP_1)
	v_pk_fma_f32 v[118:119], v[120:121], v[62:63], v[128:129] op_sel_hi:[1,0,1] neg_lo:[0,0,1] neg_hi:[0,0,1]
	v_pk_fma_f32 v[120:121], v[120:121], v[62:63], v[128:129] op_sel_hi:[1,0,1]
	ds_load_2addr_b64 v[128:131], v122 offset0:35 offset1:36
	v_dual_mov_b32 v62, v118 :: v_dual_mov_b32 v63, v121
	s_wait_dscnt 0x0
	v_pk_mul_f32 v[132:133], v[128:129], v[120:121] op_sel:[0,1]
	s_delay_alu instid0(VALU_DEP_1) | instskip(SKIP_1) | instid1(VALU_DEP_1)
	v_pk_fma_f32 v[134:135], v[128:129], v[118:119], v[132:133] op_sel:[0,0,1] op_sel_hi:[1,1,0] neg_lo:[0,0,1] neg_hi:[0,0,1]
	v_pk_fma_f32 v[128:129], v[128:129], v[118:119], v[132:133] op_sel:[0,0,1] op_sel_hi:[1,0,0]
	v_mov_b32_e32 v135, v129
	v_pk_mul_f32 v[128:129], v[130:131], v[120:121] op_sel:[0,1]
	s_delay_alu instid0(VALU_DEP_1) | instskip(SKIP_1) | instid1(VALU_DEP_1)
	v_pk_fma_f32 v[132:133], v[130:131], v[118:119], v[128:129] op_sel:[0,0,1] op_sel_hi:[1,1,0] neg_lo:[0,0,1] neg_hi:[0,0,1]
	v_pk_fma_f32 v[128:129], v[130:131], v[118:119], v[128:129] op_sel:[0,0,1] op_sel_hi:[1,0,0]
	v_mov_b32_e32 v133, v129
	ds_load_2addr_b64 v[128:131], v122 offset0:37 offset1:38
	v_pk_add_f32 v[14:15], v[14:15], v[134:135] neg_lo:[0,1] neg_hi:[0,1]
	v_pk_add_f32 v[58:59], v[58:59], v[132:133] neg_lo:[0,1] neg_hi:[0,1]
	s_wait_dscnt 0x0
	v_pk_mul_f32 v[132:133], v[128:129], v[120:121] op_sel:[0,1]
	s_delay_alu instid0(VALU_DEP_1) | instskip(SKIP_2) | instid1(VALU_DEP_2)
	v_pk_fma_f32 v[134:135], v[128:129], v[118:119], v[132:133] op_sel:[0,0,1] op_sel_hi:[1,1,0] neg_lo:[0,0,1] neg_hi:[0,0,1]
	v_pk_fma_f32 v[128:129], v[128:129], v[118:119], v[132:133] op_sel:[0,0,1] op_sel_hi:[1,0,0]
	v_dual_mul_f32 v132, v131, v121 :: v_dual_mov_b32 v128, v131
	v_dual_mov_b32 v135, v129 :: v_dual_mov_b32 v129, v130
	s_delay_alu instid0(VALU_DEP_2) | instskip(SKIP_1) | instid1(VALU_DEP_3)
	v_pk_fma_f32 v[132:133], v[130:131], v[62:63], v[132:133] op_sel_hi:[1,1,0] neg_lo:[0,0,1] neg_hi:[0,0,1]
	v_mul_f32_e32 v130, v131, v118
	v_pk_add_f32 v[54:55], v[54:55], v[134:135] neg_lo:[0,1] neg_hi:[0,1]
	s_delay_alu instid0(VALU_DEP_2) | instskip(NEXT) | instid1(VALU_DEP_1)
	v_pk_fma_f32 v[128:129], v[128:129], v[62:63], v[130:131] op_sel_hi:[1,1,0]
	v_mov_b32_e32 v133, v129
	ds_load_2addr_b64 v[128:131], v122 offset0:39 offset1:40
	v_pk_add_f32 v[56:57], v[56:57], v[132:133] neg_lo:[0,1] neg_hi:[0,1]
	s_wait_dscnt 0x0
	v_pk_mul_f32 v[132:133], v[128:129], v[120:121] op_sel:[0,1]
	s_delay_alu instid0(VALU_DEP_1) | instskip(SKIP_1) | instid1(VALU_DEP_1)
	v_pk_fma_f32 v[134:135], v[128:129], v[118:119], v[132:133] op_sel:[0,0,1] op_sel_hi:[1,1,0] neg_lo:[0,0,1] neg_hi:[0,0,1]
	v_pk_fma_f32 v[128:129], v[128:129], v[118:119], v[132:133] op_sel:[0,0,1] op_sel_hi:[1,0,0]
	v_mov_b32_e32 v135, v129
	v_pk_mul_f32 v[128:129], v[130:131], v[120:121] op_sel:[0,1]
	s_delay_alu instid0(VALU_DEP_1) | instskip(SKIP_1) | instid1(VALU_DEP_1)
	v_pk_fma_f32 v[132:133], v[130:131], v[118:119], v[128:129] op_sel:[0,0,1] op_sel_hi:[1,1,0] neg_lo:[0,0,1] neg_hi:[0,0,1]
	v_pk_fma_f32 v[128:129], v[130:131], v[118:119], v[128:129] op_sel:[0,0,1] op_sel_hi:[1,0,0]
	v_mov_b32_e32 v133, v129
	ds_load_2addr_b64 v[128:131], v122 offset0:41 offset1:42
	v_pk_add_f32 v[12:13], v[12:13], v[134:135] neg_lo:[0,1] neg_hi:[0,1]
	v_pk_add_f32 v[52:53], v[52:53], v[132:133] neg_lo:[0,1] neg_hi:[0,1]
	s_wait_dscnt 0x0
	v_pk_mul_f32 v[132:133], v[128:129], v[120:121] op_sel:[0,1]
	s_delay_alu instid0(VALU_DEP_1) | instskip(SKIP_1) | instid1(VALU_DEP_1)
	v_pk_fma_f32 v[134:135], v[128:129], v[118:119], v[132:133] op_sel:[0,0,1] op_sel_hi:[1,1,0] neg_lo:[0,0,1] neg_hi:[0,0,1]
	v_pk_fma_f32 v[128:129], v[128:129], v[118:119], v[132:133] op_sel:[0,0,1] op_sel_hi:[1,0,0]
	v_mov_b32_e32 v135, v129
	v_pk_mul_f32 v[128:129], v[130:131], v[120:121] op_sel:[0,1]
	s_delay_alu instid0(VALU_DEP_1) | instskip(SKIP_1) | instid1(VALU_DEP_1)
	v_pk_fma_f32 v[132:133], v[130:131], v[118:119], v[128:129] op_sel:[0,0,1] op_sel_hi:[1,1,0] neg_lo:[0,0,1] neg_hi:[0,0,1]
	v_pk_fma_f32 v[128:129], v[130:131], v[118:119], v[128:129] op_sel:[0,0,1] op_sel_hi:[1,0,0]
	v_mov_b32_e32 v133, v129
	ds_load_2addr_b64 v[128:131], v122 offset0:43 offset1:44
	v_pk_add_f32 v[48:49], v[48:49], v[134:135] neg_lo:[0,1] neg_hi:[0,1]
	v_pk_add_f32 v[50:51], v[50:51], v[132:133] neg_lo:[0,1] neg_hi:[0,1]
	s_wait_dscnt 0x0
	v_dual_mul_f32 v132, v129, v121 :: v_dual_mul_f32 v134, v129, v118
	s_delay_alu instid0(VALU_DEP_1) | instskip(NEXT) | instid1(VALU_DEP_2)
	v_pk_fma_f32 v[132:133], v[128:129], v[62:63], v[132:133] op_sel_hi:[1,1,0] neg_lo:[0,0,1] neg_hi:[0,0,1]
	v_pk_fma_f32 v[128:129], v[128:129], v[62:63], v[134:135] op_sel:[1,0,0] op_sel_hi:[0,1,0]
	s_delay_alu instid0(VALU_DEP_1) | instskip(SKIP_1) | instid1(VALU_DEP_2)
	v_mov_b32_e32 v133, v129
	v_pk_mul_f32 v[128:129], v[130:131], v[120:121] op_sel:[0,1]
	v_pk_add_f32 v[10:11], v[10:11], v[132:133] neg_lo:[0,1] neg_hi:[0,1]
	s_delay_alu instid0(VALU_DEP_2) | instskip(SKIP_1) | instid1(VALU_DEP_1)
	v_pk_fma_f32 v[132:133], v[130:131], v[118:119], v[128:129] op_sel:[0,0,1] op_sel_hi:[1,1,0] neg_lo:[0,0,1] neg_hi:[0,0,1]
	v_pk_fma_f32 v[128:129], v[130:131], v[118:119], v[128:129] op_sel:[0,0,1] op_sel_hi:[1,0,0]
	v_mov_b32_e32 v133, v129
	ds_load_2addr_b64 v[128:131], v122 offset0:45 offset1:46
	v_pk_add_f32 v[46:47], v[46:47], v[132:133] neg_lo:[0,1] neg_hi:[0,1]
	s_wait_dscnt 0x0
	v_pk_mul_f32 v[132:133], v[128:129], v[120:121] op_sel:[0,1]
	s_delay_alu instid0(VALU_DEP_1) | instskip(SKIP_1) | instid1(VALU_DEP_1)
	v_pk_fma_f32 v[134:135], v[128:129], v[118:119], v[132:133] op_sel:[0,0,1] op_sel_hi:[1,1,0] neg_lo:[0,0,1] neg_hi:[0,0,1]
	v_pk_fma_f32 v[128:129], v[128:129], v[118:119], v[132:133] op_sel:[0,0,1] op_sel_hi:[1,0,0]
	v_mov_b32_e32 v135, v129
	v_pk_mul_f32 v[128:129], v[130:131], v[120:121] op_sel:[0,1]
	s_delay_alu instid0(VALU_DEP_2) | instskip(NEXT) | instid1(VALU_DEP_2)
	v_pk_add_f32 v[42:43], v[42:43], v[134:135] neg_lo:[0,1] neg_hi:[0,1]
	v_pk_fma_f32 v[132:133], v[130:131], v[118:119], v[128:129] op_sel:[0,0,1] op_sel_hi:[1,1,0] neg_lo:[0,0,1] neg_hi:[0,0,1]
	v_pk_fma_f32 v[128:129], v[130:131], v[118:119], v[128:129] op_sel:[0,0,1] op_sel_hi:[1,0,0]
	s_delay_alu instid0(VALU_DEP_1) | instskip(SKIP_4) | instid1(VALU_DEP_1)
	v_mov_b32_e32 v133, v129
	ds_load_2addr_b64 v[128:131], v122 offset0:47 offset1:48
	v_pk_add_f32 v[44:45], v[44:45], v[132:133] neg_lo:[0,1] neg_hi:[0,1]
	s_wait_dscnt 0x0
	v_pk_mul_f32 v[132:133], v[128:129], v[120:121] op_sel:[0,1]
	v_pk_fma_f32 v[134:135], v[128:129], v[118:119], v[132:133] op_sel:[0,0,1] op_sel_hi:[1,1,0] neg_lo:[0,0,1] neg_hi:[0,0,1]
	v_pk_fma_f32 v[128:129], v[128:129], v[118:119], v[132:133] op_sel:[0,0,1] op_sel_hi:[1,0,0]
	v_dual_mul_f32 v132, v131, v121 :: v_dual_mov_b32 v128, v131
	s_delay_alu instid0(VALU_DEP_2) | instskip(NEXT) | instid1(VALU_DEP_2)
	v_dual_mov_b32 v135, v129 :: v_dual_mov_b32 v129, v130
	v_pk_fma_f32 v[132:133], v[130:131], v[62:63], v[132:133] op_sel_hi:[1,1,0] neg_lo:[0,0,1] neg_hi:[0,0,1]
	v_mul_f32_e32 v130, v131, v118
	s_delay_alu instid0(VALU_DEP_3) | instskip(NEXT) | instid1(VALU_DEP_2)
	v_pk_add_f32 v[6:7], v[6:7], v[134:135] neg_lo:[0,1] neg_hi:[0,1]
	v_pk_fma_f32 v[128:129], v[128:129], v[62:63], v[130:131] op_sel_hi:[1,1,0]
	s_delay_alu instid0(VALU_DEP_1) | instskip(SKIP_4) | instid1(VALU_DEP_1)
	v_mov_b32_e32 v133, v129
	ds_load_2addr_b64 v[128:131], v122 offset0:49 offset1:50
	v_pk_add_f32 v[34:35], v[34:35], v[132:133] neg_lo:[0,1] neg_hi:[0,1]
	s_wait_dscnt 0x0
	v_pk_mul_f32 v[132:133], v[128:129], v[120:121] op_sel:[0,1]
	v_pk_fma_f32 v[134:135], v[128:129], v[118:119], v[132:133] op_sel:[0,0,1] op_sel_hi:[1,1,0] neg_lo:[0,0,1] neg_hi:[0,0,1]
	v_pk_fma_f32 v[128:129], v[128:129], v[118:119], v[132:133] op_sel:[0,0,1] op_sel_hi:[1,0,0]
	s_delay_alu instid0(VALU_DEP_1) | instskip(SKIP_1) | instid1(VALU_DEP_1)
	v_mov_b32_e32 v135, v129
	v_pk_mul_f32 v[128:129], v[130:131], v[120:121] op_sel:[0,1]
	v_pk_fma_f32 v[132:133], v[130:131], v[118:119], v[128:129] op_sel:[0,0,1] op_sel_hi:[1,1,0] neg_lo:[0,0,1] neg_hi:[0,0,1]
	v_pk_fma_f32 v[128:129], v[130:131], v[118:119], v[128:129] op_sel:[0,0,1] op_sel_hi:[1,0,0]
	s_delay_alu instid0(VALU_DEP_1)
	v_mov_b32_e32 v133, v129
	ds_load_2addr_b64 v[128:131], v122 offset0:51 offset1:52
	v_pk_add_f32 v[28:29], v[28:29], v[134:135] neg_lo:[0,1] neg_hi:[0,1]
	v_pk_add_f32 v[32:33], v[32:33], v[132:133] neg_lo:[0,1] neg_hi:[0,1]
	s_wait_dscnt 0x0
	v_pk_mul_f32 v[132:133], v[128:129], v[120:121] op_sel:[0,1]
	s_delay_alu instid0(VALU_DEP_1) | instskip(SKIP_1) | instid1(VALU_DEP_1)
	v_pk_fma_f32 v[134:135], v[128:129], v[118:119], v[132:133] op_sel:[0,0,1] op_sel_hi:[1,1,0] neg_lo:[0,0,1] neg_hi:[0,0,1]
	v_pk_fma_f32 v[128:129], v[128:129], v[118:119], v[132:133] op_sel:[0,0,1] op_sel_hi:[1,0,0]
	v_mov_b32_e32 v135, v129
	v_pk_mul_f32 v[128:129], v[130:131], v[120:121] op_sel:[0,1]
	s_delay_alu instid0(VALU_DEP_1) | instskip(SKIP_1) | instid1(VALU_DEP_1)
	v_pk_fma_f32 v[132:133], v[130:131], v[118:119], v[128:129] op_sel:[0,0,1] op_sel_hi:[1,1,0] neg_lo:[0,0,1] neg_hi:[0,0,1]
	v_pk_fma_f32 v[128:129], v[130:131], v[118:119], v[128:129] op_sel:[0,0,1] op_sel_hi:[1,0,0]
	v_mov_b32_e32 v133, v129
	ds_load_2addr_b64 v[128:131], v122 offset0:53 offset1:54
	v_pk_add_f32 v[8:9], v[8:9], v[134:135] neg_lo:[0,1] neg_hi:[0,1]
	v_pk_add_f32 v[26:27], v[26:27], v[132:133] neg_lo:[0,1] neg_hi:[0,1]
	s_wait_dscnt 0x0
	v_dual_mul_f32 v132, v129, v121 :: v_dual_mul_f32 v134, v129, v118
	s_delay_alu instid0(VALU_DEP_1) | instskip(NEXT) | instid1(VALU_DEP_2)
	v_pk_fma_f32 v[132:133], v[128:129], v[62:63], v[132:133] op_sel_hi:[1,1,0] neg_lo:[0,0,1] neg_hi:[0,0,1]
	v_pk_fma_f32 v[128:129], v[128:129], v[62:63], v[134:135] op_sel:[1,0,0] op_sel_hi:[0,1,0]
	s_delay_alu instid0(VALU_DEP_1) | instskip(SKIP_1) | instid1(VALU_DEP_2)
	v_mov_b32_e32 v133, v129
	v_pk_mul_f32 v[128:129], v[130:131], v[120:121] op_sel:[0,1]
	v_pk_add_f32 v[22:23], v[22:23], v[132:133] neg_lo:[0,1] neg_hi:[0,1]
	s_delay_alu instid0(VALU_DEP_2) | instskip(SKIP_1) | instid1(VALU_DEP_1)
	v_pk_fma_f32 v[132:133], v[130:131], v[118:119], v[128:129] op_sel:[0,0,1] op_sel_hi:[1,1,0] neg_lo:[0,0,1] neg_hi:[0,0,1]
	v_pk_fma_f32 v[128:129], v[130:131], v[118:119], v[128:129] op_sel:[0,0,1] op_sel_hi:[1,0,0]
	v_mov_b32_e32 v133, v129
	ds_load_b64 v[128:129], v122 offset:440
	v_pk_add_f32 v[20:21], v[20:21], v[132:133] neg_lo:[0,1] neg_hi:[0,1]
	s_wait_dscnt 0x0
	v_pk_mul_f32 v[120:121], v[128:129], v[120:121] op_sel:[0,1]
	s_delay_alu instid0(VALU_DEP_1) | instskip(SKIP_1) | instid1(VALU_DEP_1)
	v_pk_fma_f32 v[130:131], v[128:129], v[118:119], v[120:121] op_sel:[0,0,1] op_sel_hi:[1,1,0] neg_lo:[0,0,1] neg_hi:[0,0,1]
	v_pk_fma_f32 v[118:119], v[128:129], v[118:119], v[120:121] op_sel:[0,0,1] op_sel_hi:[1,0,0]
	v_mov_b32_e32 v131, v119
	s_delay_alu instid0(VALU_DEP_1)
	v_pk_add_f32 v[116:117], v[116:117], v[130:131] neg_lo:[0,1] neg_hi:[0,1]
.LBB110_734:
	s_or_b32 exec_lo, exec_lo, s0
	v_lshl_add_u32 v118, v126, 3, v122
	s_barrier_signal -1
	s_barrier_wait -1
	ds_store_b64 v118, v[14:15]
	s_wait_dscnt 0x0
	s_barrier_signal -1
	s_barrier_wait -1
	ds_load_b64 v[120:121], v122 offset:280
	v_mov_b32_e32 v118, 35
	s_cmp_lt_i32 s18, 37
	s_cbranch_scc1 .LBB110_737
; %bb.735:
	v_add3_u32 v119, v123, 0, 0x120
	v_mov_b32_e32 v118, 35
	s_mov_b32 s0, 36
.LBB110_736:                            ; =>This Inner Loop Header: Depth=1
	ds_load_b64 v[128:129], v119
	s_wait_dscnt 0x1
	v_cmp_gt_f32_e32 vcc_lo, 0, v120
	v_cndmask_b32_e64 v130, v120, -v120, vcc_lo
	v_cmp_gt_f32_e32 vcc_lo, 0, v121
	v_cndmask_b32_e64 v132, v121, -v121, vcc_lo
	s_wait_dscnt 0x0
	v_cmp_gt_f32_e32 vcc_lo, 0, v128
	v_cndmask_b32_e64 v131, v128, -v128, vcc_lo
	v_cmp_gt_f32_e32 vcc_lo, 0, v129
	v_cndmask_b32_e64 v133, v129, -v129, vcc_lo
	s_delay_alu instid0(VALU_DEP_1) | instskip(NEXT) | instid1(VALU_DEP_1)
	v_pk_add_f32 v[130:131], v[130:131], v[132:133]
	v_cmp_lt_f32_e32 vcc_lo, v130, v131
	v_dual_add_nc_u32 v119, 8, v119 :: v_dual_cndmask_b32 v121, v121, v129, vcc_lo
	v_cndmask_b32_e32 v120, v120, v128, vcc_lo
	v_cndmask_b32_e64 v118, v118, s0, vcc_lo
	s_add_co_i32 s0, s0, 1
	s_delay_alu instid0(SALU_CYCLE_1)
	s_cmp_lg_u32 s18, s0
	s_cbranch_scc1 .LBB110_736
.LBB110_737:
	s_wait_dscnt 0x0
	v_cmp_eq_f32_e32 vcc_lo, 0, v120
	v_cmp_eq_f32_e64 s0, 0, v121
	s_and_b32 s0, vcc_lo, s0
	s_delay_alu instid0(SALU_CYCLE_1) | instskip(NEXT) | instid1(SALU_CYCLE_1)
	s_and_saveexec_b32 s1, s0
	s_xor_b32 s0, exec_lo, s1
; %bb.738:
	v_cmp_ne_u32_e32 vcc_lo, 0, v124
	v_cndmask_b32_e32 v124, 36, v124, vcc_lo
; %bb.739:
	s_and_not1_saveexec_b32 s0, s0
	s_cbranch_execz .LBB110_745
; %bb.740:
	v_cmp_ngt_f32_e64 s1, |v120|, |v121|
	s_and_saveexec_b32 s12, s1
	s_delay_alu instid0(SALU_CYCLE_1)
	s_xor_b32 s1, exec_lo, s12
	s_cbranch_execz .LBB110_742
; %bb.741:
	v_div_scale_f32 v119, null, v121, v121, v120
	v_div_scale_f32 v129, vcc_lo, v120, v121, v120
	s_delay_alu instid0(VALU_DEP_2) | instskip(SKIP_1) | instid1(TRANS32_DEP_1)
	v_rcp_f32_e32 v127, v119
	v_nop
	v_fma_f32 v128, -v119, v127, 1.0
	s_delay_alu instid0(VALU_DEP_1) | instskip(NEXT) | instid1(VALU_DEP_1)
	v_fmac_f32_e32 v127, v128, v127
	v_mul_f32_e32 v128, v129, v127
	s_delay_alu instid0(VALU_DEP_1) | instskip(NEXT) | instid1(VALU_DEP_1)
	v_fma_f32 v130, -v119, v128, v129
	v_fmac_f32_e32 v128, v130, v127
	s_delay_alu instid0(VALU_DEP_1) | instskip(NEXT) | instid1(VALU_DEP_1)
	v_fma_f32 v119, -v119, v128, v129
	v_div_fmas_f32 v119, v119, v127, v128
	s_delay_alu instid0(VALU_DEP_1) | instskip(NEXT) | instid1(VALU_DEP_1)
	v_div_fixup_f32 v119, v119, v121, v120
	v_fmac_f32_e32 v121, v120, v119
	s_delay_alu instid0(VALU_DEP_1) | instskip(SKIP_1) | instid1(VALU_DEP_2)
	v_div_scale_f32 v120, null, v121, v121, 1.0
	v_div_scale_f32 v129, vcc_lo, 1.0, v121, 1.0
	v_rcp_f32_e32 v127, v120
	v_nop
	s_delay_alu instid0(TRANS32_DEP_1) | instskip(NEXT) | instid1(VALU_DEP_1)
	v_fma_f32 v128, -v120, v127, 1.0
	v_fmac_f32_e32 v127, v128, v127
	s_delay_alu instid0(VALU_DEP_1) | instskip(NEXT) | instid1(VALU_DEP_1)
	v_mul_f32_e32 v128, v129, v127
	v_fma_f32 v130, -v120, v128, v129
	s_delay_alu instid0(VALU_DEP_1) | instskip(NEXT) | instid1(VALU_DEP_1)
	v_fmac_f32_e32 v128, v130, v127
	v_fma_f32 v120, -v120, v128, v129
	s_delay_alu instid0(VALU_DEP_1) | instskip(NEXT) | instid1(VALU_DEP_1)
	v_div_fmas_f32 v120, v120, v127, v128
	v_div_fixup_f32 v121, v120, v121, 1.0
	s_delay_alu instid0(VALU_DEP_1)
	v_mul_f32_e32 v120, v119, v121
	v_xor_b32_e32 v121, 0x80000000, v121
.LBB110_742:
	s_and_not1_saveexec_b32 s1, s1
	s_cbranch_execz .LBB110_744
; %bb.743:
	s_delay_alu instid0(VALU_DEP_1) | instskip(SKIP_1) | instid1(VALU_DEP_2)
	v_div_scale_f32 v119, null, v120, v120, v121
	v_div_scale_f32 v129, vcc_lo, v121, v120, v121
	v_rcp_f32_e32 v127, v119
	v_nop
	s_delay_alu instid0(TRANS32_DEP_1) | instskip(NEXT) | instid1(VALU_DEP_1)
	v_fma_f32 v128, -v119, v127, 1.0
	v_fmac_f32_e32 v127, v128, v127
	s_delay_alu instid0(VALU_DEP_1) | instskip(NEXT) | instid1(VALU_DEP_1)
	v_mul_f32_e32 v128, v129, v127
	v_fma_f32 v130, -v119, v128, v129
	s_delay_alu instid0(VALU_DEP_1) | instskip(NEXT) | instid1(VALU_DEP_1)
	v_fmac_f32_e32 v128, v130, v127
	v_fma_f32 v119, -v119, v128, v129
	s_delay_alu instid0(VALU_DEP_1) | instskip(NEXT) | instid1(VALU_DEP_1)
	v_div_fmas_f32 v119, v119, v127, v128
	v_div_fixup_f32 v119, v119, v120, v121
	s_delay_alu instid0(VALU_DEP_1) | instskip(NEXT) | instid1(VALU_DEP_1)
	v_fmac_f32_e32 v120, v121, v119
	v_div_scale_f32 v121, null, v120, v120, 1.0
	s_delay_alu instid0(VALU_DEP_1) | instskip(SKIP_1) | instid1(TRANS32_DEP_1)
	v_rcp_f32_e32 v127, v121
	v_nop
	v_fma_f32 v128, -v121, v127, 1.0
	s_delay_alu instid0(VALU_DEP_1) | instskip(SKIP_1) | instid1(VALU_DEP_1)
	v_fmac_f32_e32 v127, v128, v127
	v_div_scale_f32 v128, vcc_lo, 1.0, v120, 1.0
	v_mul_f32_e32 v129, v128, v127
	s_delay_alu instid0(VALU_DEP_1) | instskip(NEXT) | instid1(VALU_DEP_1)
	v_fma_f32 v130, -v121, v129, v128
	v_fmac_f32_e32 v129, v130, v127
	s_delay_alu instid0(VALU_DEP_1) | instskip(NEXT) | instid1(VALU_DEP_1)
	v_fma_f32 v121, -v121, v129, v128
	v_div_fmas_f32 v121, v121, v127, v129
	s_delay_alu instid0(VALU_DEP_1) | instskip(NEXT) | instid1(VALU_DEP_1)
	v_div_fixup_f32 v120, v121, v120, 1.0
	v_mul_f32_e64 v121, v119, -v120
.LBB110_744:
	s_or_b32 exec_lo, exec_lo, s1
.LBB110_745:
	s_delay_alu instid0(SALU_CYCLE_1) | instskip(NEXT) | instid1(SALU_CYCLE_1)
	s_or_b32 exec_lo, exec_lo, s0
	s_mov_b32 s0, exec_lo
	v_cmpx_ne_u32_e64 v126, v118
	s_xor_b32 s0, exec_lo, s0
	s_cbranch_execz .LBB110_751
; %bb.746:
	s_mov_b32 s1, exec_lo
	v_cmpx_eq_u32_e32 35, v126
	s_cbranch_execz .LBB110_750
; %bb.747:
	v_cmp_ne_u32_e32 vcc_lo, 35, v118
	s_xor_b32 s12, s16, -1
	s_delay_alu instid0(SALU_CYCLE_1) | instskip(NEXT) | instid1(SALU_CYCLE_1)
	s_and_b32 s13, s12, vcc_lo
	s_and_saveexec_b32 s12, s13
	s_cbranch_execz .LBB110_749
; %bb.748:
	v_ashrrev_i32_e32 v119, 31, v118
	s_delay_alu instid0(VALU_DEP_1)
	v_lshl_add_u64 v[126:127], v[118:119], 2, v[4:5]
	s_clause 0x1
	global_load_b32 v119, v[126:127], off
	global_load_b32 v125, v[4:5], off offset:140
	s_wait_loadcnt 0x1
	global_store_b32 v[4:5], v119, off offset:140
	s_wait_loadcnt 0x0
	global_store_b32 v[126:127], v125, off
.LBB110_749:
	s_wait_xcnt 0x0
	s_or_b32 exec_lo, exec_lo, s12
	v_dual_mov_b32 v126, v118 :: v_dual_mov_b32 v125, v118
.LBB110_750:
	s_or_b32 exec_lo, exec_lo, s1
.LBB110_751:
	s_and_not1_saveexec_b32 s0, s0
	s_cbranch_execz .LBB110_753
; %bb.752:
	v_dual_mov_b32 v118, v58 :: v_dual_mov_b32 v119, v59
	v_dual_mov_b32 v126, v54 :: v_dual_mov_b32 v127, v55
	ds_store_2addr_b64 v122, v[118:119], v[126:127] offset0:36 offset1:37
	v_dual_mov_b32 v118, v56 :: v_dual_mov_b32 v119, v57
	v_dual_mov_b32 v126, v12 :: v_dual_mov_b32 v127, v13
	ds_store_2addr_b64 v122, v[118:119], v[126:127] offset0:38 offset1:39
	v_dual_mov_b32 v118, v52 :: v_dual_mov_b32 v119, v53
	v_dual_mov_b32 v126, v48 :: v_dual_mov_b32 v127, v49
	ds_store_2addr_b64 v122, v[118:119], v[126:127] offset0:40 offset1:41
	v_dual_mov_b32 v118, v50 :: v_dual_mov_b32 v119, v51
	v_dual_mov_b32 v126, v10 :: v_dual_mov_b32 v127, v11
	ds_store_2addr_b64 v122, v[118:119], v[126:127] offset0:42 offset1:43
	v_dual_mov_b32 v118, v46 :: v_dual_mov_b32 v119, v47
	v_dual_mov_b32 v126, v42 :: v_dual_mov_b32 v127, v43
	ds_store_2addr_b64 v122, v[118:119], v[126:127] offset0:44 offset1:45
	v_dual_mov_b32 v118, v44 :: v_dual_mov_b32 v119, v45
	v_dual_mov_b32 v126, v6 :: v_dual_mov_b32 v127, v7
	ds_store_2addr_b64 v122, v[118:119], v[126:127] offset0:46 offset1:47
	v_dual_mov_b32 v118, v34 :: v_dual_mov_b32 v119, v35
	v_dual_mov_b32 v126, v28 :: v_dual_mov_b32 v127, v29
	ds_store_2addr_b64 v122, v[118:119], v[126:127] offset0:48 offset1:49
	v_dual_mov_b32 v118, v32 :: v_dual_mov_b32 v119, v33
	v_dual_mov_b32 v126, v8 :: v_dual_mov_b32 v127, v9
	ds_store_2addr_b64 v122, v[118:119], v[126:127] offset0:50 offset1:51
	v_dual_mov_b32 v118, v26 :: v_dual_mov_b32 v119, v27
	v_dual_mov_b32 v126, v22 :: v_dual_mov_b32 v127, v23
	ds_store_2addr_b64 v122, v[118:119], v[126:127] offset0:52 offset1:53
	v_dual_mov_b32 v118, v20 :: v_dual_mov_b32 v119, v21
	v_mov_b32_e32 v126, 35
	ds_store_2addr_b64 v122, v[118:119], v[116:117] offset0:54 offset1:55
.LBB110_753:
	s_or_b32 exec_lo, exec_lo, s0
	s_delay_alu instid0(SALU_CYCLE_1)
	s_mov_b32 s0, exec_lo
	s_wait_storecnt_dscnt 0x0
	s_barrier_signal -1
	s_barrier_wait -1
	v_cmpx_lt_i32_e32 35, v126
	s_cbranch_execz .LBB110_755
; %bb.754:
	v_pk_mul_f32 v[128:129], v[120:121], v[14:15] op_sel:[1,1] op_sel_hi:[0,1]
	s_delay_alu instid0(VALU_DEP_1)
	v_pk_fma_f32 v[118:119], v[120:121], v[14:15], v[128:129] op_sel_hi:[1,0,1] neg_lo:[0,0,1] neg_hi:[0,0,1]
	v_pk_fma_f32 v[120:121], v[120:121], v[14:15], v[128:129] op_sel_hi:[1,0,1]
	ds_load_2addr_b64 v[128:131], v122 offset0:36 offset1:37
	v_dual_mov_b32 v14, v118 :: v_dual_mov_b32 v15, v121
	s_wait_dscnt 0x0
	v_pk_mul_f32 v[132:133], v[128:129], v[120:121] op_sel:[0,1]
	s_delay_alu instid0(VALU_DEP_1) | instskip(SKIP_1) | instid1(VALU_DEP_1)
	v_pk_fma_f32 v[134:135], v[128:129], v[118:119], v[132:133] op_sel:[0,0,1] op_sel_hi:[1,1,0] neg_lo:[0,0,1] neg_hi:[0,0,1]
	v_pk_fma_f32 v[128:129], v[128:129], v[118:119], v[132:133] op_sel:[0,0,1] op_sel_hi:[1,0,0]
	v_mov_b32_e32 v135, v129
	v_pk_mul_f32 v[128:129], v[130:131], v[120:121] op_sel:[0,1]
	s_delay_alu instid0(VALU_DEP_1) | instskip(SKIP_1) | instid1(VALU_DEP_1)
	v_pk_fma_f32 v[132:133], v[130:131], v[118:119], v[128:129] op_sel:[0,0,1] op_sel_hi:[1,1,0] neg_lo:[0,0,1] neg_hi:[0,0,1]
	v_pk_fma_f32 v[128:129], v[130:131], v[118:119], v[128:129] op_sel:[0,0,1] op_sel_hi:[1,0,0]
	v_mov_b32_e32 v133, v129
	ds_load_2addr_b64 v[128:131], v122 offset0:38 offset1:39
	v_pk_add_f32 v[58:59], v[58:59], v[134:135] neg_lo:[0,1] neg_hi:[0,1]
	v_pk_add_f32 v[54:55], v[54:55], v[132:133] neg_lo:[0,1] neg_hi:[0,1]
	s_wait_dscnt 0x0
	v_pk_mul_f32 v[132:133], v[128:129], v[120:121] op_sel:[0,1]
	s_delay_alu instid0(VALU_DEP_1) | instskip(SKIP_2) | instid1(VALU_DEP_2)
	v_pk_fma_f32 v[134:135], v[128:129], v[118:119], v[132:133] op_sel:[0,0,1] op_sel_hi:[1,1,0] neg_lo:[0,0,1] neg_hi:[0,0,1]
	v_pk_fma_f32 v[128:129], v[128:129], v[118:119], v[132:133] op_sel:[0,0,1] op_sel_hi:[1,0,0]
	v_dual_mul_f32 v132, v131, v121 :: v_dual_mov_b32 v128, v131
	v_dual_mov_b32 v135, v129 :: v_dual_mov_b32 v129, v130
	s_delay_alu instid0(VALU_DEP_2) | instskip(SKIP_1) | instid1(VALU_DEP_3)
	v_pk_fma_f32 v[132:133], v[130:131], v[14:15], v[132:133] op_sel_hi:[1,1,0] neg_lo:[0,0,1] neg_hi:[0,0,1]
	v_mul_f32_e32 v130, v131, v118
	v_pk_add_f32 v[56:57], v[56:57], v[134:135] neg_lo:[0,1] neg_hi:[0,1]
	s_delay_alu instid0(VALU_DEP_2) | instskip(NEXT) | instid1(VALU_DEP_1)
	v_pk_fma_f32 v[128:129], v[128:129], v[14:15], v[130:131] op_sel_hi:[1,1,0]
	v_mov_b32_e32 v133, v129
	ds_load_2addr_b64 v[128:131], v122 offset0:40 offset1:41
	v_pk_add_f32 v[12:13], v[12:13], v[132:133] neg_lo:[0,1] neg_hi:[0,1]
	s_wait_dscnt 0x0
	v_pk_mul_f32 v[132:133], v[128:129], v[120:121] op_sel:[0,1]
	s_delay_alu instid0(VALU_DEP_1) | instskip(SKIP_1) | instid1(VALU_DEP_1)
	v_pk_fma_f32 v[134:135], v[128:129], v[118:119], v[132:133] op_sel:[0,0,1] op_sel_hi:[1,1,0] neg_lo:[0,0,1] neg_hi:[0,0,1]
	v_pk_fma_f32 v[128:129], v[128:129], v[118:119], v[132:133] op_sel:[0,0,1] op_sel_hi:[1,0,0]
	v_mov_b32_e32 v135, v129
	v_pk_mul_f32 v[128:129], v[130:131], v[120:121] op_sel:[0,1]
	s_delay_alu instid0(VALU_DEP_1) | instskip(SKIP_1) | instid1(VALU_DEP_1)
	v_pk_fma_f32 v[132:133], v[130:131], v[118:119], v[128:129] op_sel:[0,0,1] op_sel_hi:[1,1,0] neg_lo:[0,0,1] neg_hi:[0,0,1]
	v_pk_fma_f32 v[128:129], v[130:131], v[118:119], v[128:129] op_sel:[0,0,1] op_sel_hi:[1,0,0]
	v_mov_b32_e32 v133, v129
	ds_load_2addr_b64 v[128:131], v122 offset0:42 offset1:43
	v_pk_add_f32 v[52:53], v[52:53], v[134:135] neg_lo:[0,1] neg_hi:[0,1]
	v_pk_add_f32 v[48:49], v[48:49], v[132:133] neg_lo:[0,1] neg_hi:[0,1]
	s_wait_dscnt 0x0
	v_pk_mul_f32 v[132:133], v[128:129], v[120:121] op_sel:[0,1]
	s_delay_alu instid0(VALU_DEP_1) | instskip(SKIP_1) | instid1(VALU_DEP_1)
	v_pk_fma_f32 v[134:135], v[128:129], v[118:119], v[132:133] op_sel:[0,0,1] op_sel_hi:[1,1,0] neg_lo:[0,0,1] neg_hi:[0,0,1]
	v_pk_fma_f32 v[128:129], v[128:129], v[118:119], v[132:133] op_sel:[0,0,1] op_sel_hi:[1,0,0]
	v_mov_b32_e32 v135, v129
	v_pk_mul_f32 v[128:129], v[130:131], v[120:121] op_sel:[0,1]
	s_delay_alu instid0(VALU_DEP_1) | instskip(SKIP_1) | instid1(VALU_DEP_1)
	v_pk_fma_f32 v[132:133], v[130:131], v[118:119], v[128:129] op_sel:[0,0,1] op_sel_hi:[1,1,0] neg_lo:[0,0,1] neg_hi:[0,0,1]
	v_pk_fma_f32 v[128:129], v[130:131], v[118:119], v[128:129] op_sel:[0,0,1] op_sel_hi:[1,0,0]
	v_mov_b32_e32 v133, v129
	ds_load_2addr_b64 v[128:131], v122 offset0:44 offset1:45
	v_pk_add_f32 v[50:51], v[50:51], v[134:135] neg_lo:[0,1] neg_hi:[0,1]
	v_pk_add_f32 v[10:11], v[10:11], v[132:133] neg_lo:[0,1] neg_hi:[0,1]
	s_wait_dscnt 0x0
	v_dual_mul_f32 v132, v129, v121 :: v_dual_mul_f32 v134, v129, v118
	s_delay_alu instid0(VALU_DEP_1) | instskip(NEXT) | instid1(VALU_DEP_2)
	v_pk_fma_f32 v[132:133], v[128:129], v[14:15], v[132:133] op_sel_hi:[1,1,0] neg_lo:[0,0,1] neg_hi:[0,0,1]
	v_pk_fma_f32 v[128:129], v[128:129], v[14:15], v[134:135] op_sel:[1,0,0] op_sel_hi:[0,1,0]
	s_delay_alu instid0(VALU_DEP_1) | instskip(SKIP_1) | instid1(VALU_DEP_2)
	v_mov_b32_e32 v133, v129
	v_pk_mul_f32 v[128:129], v[130:131], v[120:121] op_sel:[0,1]
	v_pk_add_f32 v[46:47], v[46:47], v[132:133] neg_lo:[0,1] neg_hi:[0,1]
	s_delay_alu instid0(VALU_DEP_2) | instskip(SKIP_1) | instid1(VALU_DEP_1)
	v_pk_fma_f32 v[132:133], v[130:131], v[118:119], v[128:129] op_sel:[0,0,1] op_sel_hi:[1,1,0] neg_lo:[0,0,1] neg_hi:[0,0,1]
	v_pk_fma_f32 v[128:129], v[130:131], v[118:119], v[128:129] op_sel:[0,0,1] op_sel_hi:[1,0,0]
	v_mov_b32_e32 v133, v129
	ds_load_2addr_b64 v[128:131], v122 offset0:46 offset1:47
	v_pk_add_f32 v[42:43], v[42:43], v[132:133] neg_lo:[0,1] neg_hi:[0,1]
	s_wait_dscnt 0x0
	v_pk_mul_f32 v[132:133], v[128:129], v[120:121] op_sel:[0,1]
	s_delay_alu instid0(VALU_DEP_1) | instskip(SKIP_1) | instid1(VALU_DEP_1)
	v_pk_fma_f32 v[134:135], v[128:129], v[118:119], v[132:133] op_sel:[0,0,1] op_sel_hi:[1,1,0] neg_lo:[0,0,1] neg_hi:[0,0,1]
	v_pk_fma_f32 v[128:129], v[128:129], v[118:119], v[132:133] op_sel:[0,0,1] op_sel_hi:[1,0,0]
	v_mov_b32_e32 v135, v129
	v_pk_mul_f32 v[128:129], v[130:131], v[120:121] op_sel:[0,1]
	s_delay_alu instid0(VALU_DEP_2) | instskip(NEXT) | instid1(VALU_DEP_2)
	v_pk_add_f32 v[44:45], v[44:45], v[134:135] neg_lo:[0,1] neg_hi:[0,1]
	v_pk_fma_f32 v[132:133], v[130:131], v[118:119], v[128:129] op_sel:[0,0,1] op_sel_hi:[1,1,0] neg_lo:[0,0,1] neg_hi:[0,0,1]
	v_pk_fma_f32 v[128:129], v[130:131], v[118:119], v[128:129] op_sel:[0,0,1] op_sel_hi:[1,0,0]
	s_delay_alu instid0(VALU_DEP_1) | instskip(SKIP_4) | instid1(VALU_DEP_1)
	v_mov_b32_e32 v133, v129
	ds_load_2addr_b64 v[128:131], v122 offset0:48 offset1:49
	v_pk_add_f32 v[6:7], v[6:7], v[132:133] neg_lo:[0,1] neg_hi:[0,1]
	s_wait_dscnt 0x0
	v_pk_mul_f32 v[132:133], v[128:129], v[120:121] op_sel:[0,1]
	v_pk_fma_f32 v[134:135], v[128:129], v[118:119], v[132:133] op_sel:[0,0,1] op_sel_hi:[1,1,0] neg_lo:[0,0,1] neg_hi:[0,0,1]
	v_pk_fma_f32 v[128:129], v[128:129], v[118:119], v[132:133] op_sel:[0,0,1] op_sel_hi:[1,0,0]
	v_dual_mul_f32 v132, v131, v121 :: v_dual_mov_b32 v128, v131
	s_delay_alu instid0(VALU_DEP_2) | instskip(NEXT) | instid1(VALU_DEP_2)
	v_dual_mov_b32 v135, v129 :: v_dual_mov_b32 v129, v130
	v_pk_fma_f32 v[132:133], v[130:131], v[14:15], v[132:133] op_sel_hi:[1,1,0] neg_lo:[0,0,1] neg_hi:[0,0,1]
	v_mul_f32_e32 v130, v131, v118
	s_delay_alu instid0(VALU_DEP_3) | instskip(NEXT) | instid1(VALU_DEP_2)
	v_pk_add_f32 v[34:35], v[34:35], v[134:135] neg_lo:[0,1] neg_hi:[0,1]
	v_pk_fma_f32 v[128:129], v[128:129], v[14:15], v[130:131] op_sel_hi:[1,1,0]
	s_delay_alu instid0(VALU_DEP_1) | instskip(SKIP_4) | instid1(VALU_DEP_1)
	v_mov_b32_e32 v133, v129
	ds_load_2addr_b64 v[128:131], v122 offset0:50 offset1:51
	v_pk_add_f32 v[28:29], v[28:29], v[132:133] neg_lo:[0,1] neg_hi:[0,1]
	s_wait_dscnt 0x0
	v_pk_mul_f32 v[132:133], v[128:129], v[120:121] op_sel:[0,1]
	v_pk_fma_f32 v[134:135], v[128:129], v[118:119], v[132:133] op_sel:[0,0,1] op_sel_hi:[1,1,0] neg_lo:[0,0,1] neg_hi:[0,0,1]
	v_pk_fma_f32 v[128:129], v[128:129], v[118:119], v[132:133] op_sel:[0,0,1] op_sel_hi:[1,0,0]
	s_delay_alu instid0(VALU_DEP_1) | instskip(SKIP_1) | instid1(VALU_DEP_1)
	v_mov_b32_e32 v135, v129
	v_pk_mul_f32 v[128:129], v[130:131], v[120:121] op_sel:[0,1]
	v_pk_fma_f32 v[132:133], v[130:131], v[118:119], v[128:129] op_sel:[0,0,1] op_sel_hi:[1,1,0] neg_lo:[0,0,1] neg_hi:[0,0,1]
	v_pk_fma_f32 v[128:129], v[130:131], v[118:119], v[128:129] op_sel:[0,0,1] op_sel_hi:[1,0,0]
	s_delay_alu instid0(VALU_DEP_1)
	v_mov_b32_e32 v133, v129
	ds_load_2addr_b64 v[128:131], v122 offset0:52 offset1:53
	v_pk_add_f32 v[32:33], v[32:33], v[134:135] neg_lo:[0,1] neg_hi:[0,1]
	v_pk_add_f32 v[8:9], v[8:9], v[132:133] neg_lo:[0,1] neg_hi:[0,1]
	s_wait_dscnt 0x0
	v_pk_mul_f32 v[132:133], v[128:129], v[120:121] op_sel:[0,1]
	s_delay_alu instid0(VALU_DEP_1) | instskip(SKIP_1) | instid1(VALU_DEP_1)
	v_pk_fma_f32 v[134:135], v[128:129], v[118:119], v[132:133] op_sel:[0,0,1] op_sel_hi:[1,1,0] neg_lo:[0,0,1] neg_hi:[0,0,1]
	v_pk_fma_f32 v[128:129], v[128:129], v[118:119], v[132:133] op_sel:[0,0,1] op_sel_hi:[1,0,0]
	v_mov_b32_e32 v135, v129
	v_pk_mul_f32 v[128:129], v[130:131], v[120:121] op_sel:[0,1]
	s_delay_alu instid0(VALU_DEP_1) | instskip(SKIP_1) | instid1(VALU_DEP_1)
	v_pk_fma_f32 v[132:133], v[130:131], v[118:119], v[128:129] op_sel:[0,0,1] op_sel_hi:[1,1,0] neg_lo:[0,0,1] neg_hi:[0,0,1]
	v_pk_fma_f32 v[128:129], v[130:131], v[118:119], v[128:129] op_sel:[0,0,1] op_sel_hi:[1,0,0]
	v_mov_b32_e32 v133, v129
	ds_load_2addr_b64 v[128:131], v122 offset0:54 offset1:55
	v_pk_add_f32 v[26:27], v[26:27], v[134:135] neg_lo:[0,1] neg_hi:[0,1]
	v_pk_add_f32 v[22:23], v[22:23], v[132:133] neg_lo:[0,1] neg_hi:[0,1]
	s_wait_dscnt 0x0
	v_dual_mul_f32 v132, v129, v121 :: v_dual_mul_f32 v134, v129, v118
	v_pk_mul_f32 v[120:121], v[130:131], v[120:121] op_sel:[0,1]
	s_delay_alu instid0(VALU_DEP_2) | instskip(NEXT) | instid1(VALU_DEP_3)
	v_pk_fma_f32 v[132:133], v[128:129], v[14:15], v[132:133] op_sel_hi:[1,1,0] neg_lo:[0,0,1] neg_hi:[0,0,1]
	v_pk_fma_f32 v[128:129], v[128:129], v[14:15], v[134:135] op_sel:[1,0,0] op_sel_hi:[0,1,0]
	s_delay_alu instid0(VALU_DEP_1) | instskip(NEXT) | instid1(VALU_DEP_4)
	v_mov_b32_e32 v133, v129
	v_pk_fma_f32 v[128:129], v[130:131], v[118:119], v[120:121] op_sel:[0,0,1] op_sel_hi:[1,1,0] neg_lo:[0,0,1] neg_hi:[0,0,1]
	v_pk_fma_f32 v[118:119], v[130:131], v[118:119], v[120:121] op_sel:[0,0,1] op_sel_hi:[1,0,0]
	s_delay_alu instid0(VALU_DEP_1) | instskip(NEXT) | instid1(VALU_DEP_4)
	v_mov_b32_e32 v129, v119
	v_pk_add_f32 v[20:21], v[20:21], v[132:133] neg_lo:[0,1] neg_hi:[0,1]
	s_delay_alu instid0(VALU_DEP_2)
	v_pk_add_f32 v[116:117], v[116:117], v[128:129] neg_lo:[0,1] neg_hi:[0,1]
.LBB110_755:
	s_or_b32 exec_lo, exec_lo, s0
	v_lshl_add_u32 v118, v126, 3, v122
	s_barrier_signal -1
	s_barrier_wait -1
	ds_store_b64 v118, v[58:59]
	s_wait_dscnt 0x0
	s_barrier_signal -1
	s_barrier_wait -1
	ds_load_b64 v[120:121], v122 offset:288
	v_mov_b32_e32 v118, 36
	s_cmp_lt_i32 s18, 38
	s_cbranch_scc1 .LBB110_758
; %bb.756:
	v_add3_u32 v119, v123, 0, 0x128
	v_mov_b32_e32 v118, 36
	s_mov_b32 s0, 37
.LBB110_757:                            ; =>This Inner Loop Header: Depth=1
	ds_load_b64 v[128:129], v119
	s_wait_dscnt 0x1
	v_cmp_gt_f32_e32 vcc_lo, 0, v120
	v_cndmask_b32_e64 v130, v120, -v120, vcc_lo
	v_cmp_gt_f32_e32 vcc_lo, 0, v121
	v_cndmask_b32_e64 v132, v121, -v121, vcc_lo
	s_wait_dscnt 0x0
	v_cmp_gt_f32_e32 vcc_lo, 0, v128
	v_cndmask_b32_e64 v131, v128, -v128, vcc_lo
	v_cmp_gt_f32_e32 vcc_lo, 0, v129
	v_cndmask_b32_e64 v133, v129, -v129, vcc_lo
	s_delay_alu instid0(VALU_DEP_1) | instskip(NEXT) | instid1(VALU_DEP_1)
	v_pk_add_f32 v[130:131], v[130:131], v[132:133]
	v_cmp_lt_f32_e32 vcc_lo, v130, v131
	v_dual_add_nc_u32 v119, 8, v119 :: v_dual_cndmask_b32 v121, v121, v129, vcc_lo
	v_cndmask_b32_e32 v120, v120, v128, vcc_lo
	v_cndmask_b32_e64 v118, v118, s0, vcc_lo
	s_add_co_i32 s0, s0, 1
	s_delay_alu instid0(SALU_CYCLE_1)
	s_cmp_lg_u32 s18, s0
	s_cbranch_scc1 .LBB110_757
.LBB110_758:
	s_wait_dscnt 0x0
	v_cmp_eq_f32_e32 vcc_lo, 0, v120
	v_cmp_eq_f32_e64 s0, 0, v121
	s_and_b32 s0, vcc_lo, s0
	s_delay_alu instid0(SALU_CYCLE_1) | instskip(NEXT) | instid1(SALU_CYCLE_1)
	s_and_saveexec_b32 s1, s0
	s_xor_b32 s0, exec_lo, s1
; %bb.759:
	v_cmp_ne_u32_e32 vcc_lo, 0, v124
	v_cndmask_b32_e32 v124, 37, v124, vcc_lo
; %bb.760:
	s_and_not1_saveexec_b32 s0, s0
	s_cbranch_execz .LBB110_766
; %bb.761:
	v_cmp_ngt_f32_e64 s1, |v120|, |v121|
	s_and_saveexec_b32 s12, s1
	s_delay_alu instid0(SALU_CYCLE_1)
	s_xor_b32 s1, exec_lo, s12
	s_cbranch_execz .LBB110_763
; %bb.762:
	v_div_scale_f32 v119, null, v121, v121, v120
	v_div_scale_f32 v129, vcc_lo, v120, v121, v120
	s_delay_alu instid0(VALU_DEP_2) | instskip(SKIP_1) | instid1(TRANS32_DEP_1)
	v_rcp_f32_e32 v127, v119
	v_nop
	v_fma_f32 v128, -v119, v127, 1.0
	s_delay_alu instid0(VALU_DEP_1) | instskip(NEXT) | instid1(VALU_DEP_1)
	v_fmac_f32_e32 v127, v128, v127
	v_mul_f32_e32 v128, v129, v127
	s_delay_alu instid0(VALU_DEP_1) | instskip(NEXT) | instid1(VALU_DEP_1)
	v_fma_f32 v130, -v119, v128, v129
	v_fmac_f32_e32 v128, v130, v127
	s_delay_alu instid0(VALU_DEP_1) | instskip(NEXT) | instid1(VALU_DEP_1)
	v_fma_f32 v119, -v119, v128, v129
	v_div_fmas_f32 v119, v119, v127, v128
	s_delay_alu instid0(VALU_DEP_1) | instskip(NEXT) | instid1(VALU_DEP_1)
	v_div_fixup_f32 v119, v119, v121, v120
	v_fmac_f32_e32 v121, v120, v119
	s_delay_alu instid0(VALU_DEP_1) | instskip(SKIP_1) | instid1(VALU_DEP_2)
	v_div_scale_f32 v120, null, v121, v121, 1.0
	v_div_scale_f32 v129, vcc_lo, 1.0, v121, 1.0
	v_rcp_f32_e32 v127, v120
	v_nop
	s_delay_alu instid0(TRANS32_DEP_1) | instskip(NEXT) | instid1(VALU_DEP_1)
	v_fma_f32 v128, -v120, v127, 1.0
	v_fmac_f32_e32 v127, v128, v127
	s_delay_alu instid0(VALU_DEP_1) | instskip(NEXT) | instid1(VALU_DEP_1)
	v_mul_f32_e32 v128, v129, v127
	v_fma_f32 v130, -v120, v128, v129
	s_delay_alu instid0(VALU_DEP_1) | instskip(NEXT) | instid1(VALU_DEP_1)
	v_fmac_f32_e32 v128, v130, v127
	v_fma_f32 v120, -v120, v128, v129
	s_delay_alu instid0(VALU_DEP_1) | instskip(NEXT) | instid1(VALU_DEP_1)
	v_div_fmas_f32 v120, v120, v127, v128
	v_div_fixup_f32 v121, v120, v121, 1.0
	s_delay_alu instid0(VALU_DEP_1)
	v_mul_f32_e32 v120, v119, v121
	v_xor_b32_e32 v121, 0x80000000, v121
.LBB110_763:
	s_and_not1_saveexec_b32 s1, s1
	s_cbranch_execz .LBB110_765
; %bb.764:
	s_delay_alu instid0(VALU_DEP_1) | instskip(SKIP_1) | instid1(VALU_DEP_2)
	v_div_scale_f32 v119, null, v120, v120, v121
	v_div_scale_f32 v129, vcc_lo, v121, v120, v121
	v_rcp_f32_e32 v127, v119
	v_nop
	s_delay_alu instid0(TRANS32_DEP_1) | instskip(NEXT) | instid1(VALU_DEP_1)
	v_fma_f32 v128, -v119, v127, 1.0
	v_fmac_f32_e32 v127, v128, v127
	s_delay_alu instid0(VALU_DEP_1) | instskip(NEXT) | instid1(VALU_DEP_1)
	v_mul_f32_e32 v128, v129, v127
	v_fma_f32 v130, -v119, v128, v129
	s_delay_alu instid0(VALU_DEP_1) | instskip(NEXT) | instid1(VALU_DEP_1)
	v_fmac_f32_e32 v128, v130, v127
	v_fma_f32 v119, -v119, v128, v129
	s_delay_alu instid0(VALU_DEP_1) | instskip(NEXT) | instid1(VALU_DEP_1)
	v_div_fmas_f32 v119, v119, v127, v128
	v_div_fixup_f32 v119, v119, v120, v121
	s_delay_alu instid0(VALU_DEP_1) | instskip(NEXT) | instid1(VALU_DEP_1)
	v_fmac_f32_e32 v120, v121, v119
	v_div_scale_f32 v121, null, v120, v120, 1.0
	s_delay_alu instid0(VALU_DEP_1) | instskip(SKIP_1) | instid1(TRANS32_DEP_1)
	v_rcp_f32_e32 v127, v121
	v_nop
	v_fma_f32 v128, -v121, v127, 1.0
	s_delay_alu instid0(VALU_DEP_1) | instskip(SKIP_1) | instid1(VALU_DEP_1)
	v_fmac_f32_e32 v127, v128, v127
	v_div_scale_f32 v128, vcc_lo, 1.0, v120, 1.0
	v_mul_f32_e32 v129, v128, v127
	s_delay_alu instid0(VALU_DEP_1) | instskip(NEXT) | instid1(VALU_DEP_1)
	v_fma_f32 v130, -v121, v129, v128
	v_fmac_f32_e32 v129, v130, v127
	s_delay_alu instid0(VALU_DEP_1) | instskip(NEXT) | instid1(VALU_DEP_1)
	v_fma_f32 v121, -v121, v129, v128
	v_div_fmas_f32 v121, v121, v127, v129
	s_delay_alu instid0(VALU_DEP_1) | instskip(NEXT) | instid1(VALU_DEP_1)
	v_div_fixup_f32 v120, v121, v120, 1.0
	v_mul_f32_e64 v121, v119, -v120
.LBB110_765:
	s_or_b32 exec_lo, exec_lo, s1
.LBB110_766:
	s_delay_alu instid0(SALU_CYCLE_1) | instskip(NEXT) | instid1(SALU_CYCLE_1)
	s_or_b32 exec_lo, exec_lo, s0
	s_mov_b32 s0, exec_lo
	v_cmpx_ne_u32_e64 v126, v118
	s_xor_b32 s0, exec_lo, s0
	s_cbranch_execz .LBB110_772
; %bb.767:
	s_mov_b32 s1, exec_lo
	v_cmpx_eq_u32_e32 36, v126
	s_cbranch_execz .LBB110_771
; %bb.768:
	v_cmp_ne_u32_e32 vcc_lo, 36, v118
	s_xor_b32 s12, s16, -1
	s_delay_alu instid0(SALU_CYCLE_1) | instskip(NEXT) | instid1(SALU_CYCLE_1)
	s_and_b32 s13, s12, vcc_lo
	s_and_saveexec_b32 s12, s13
	s_cbranch_execz .LBB110_770
; %bb.769:
	v_ashrrev_i32_e32 v119, 31, v118
	s_delay_alu instid0(VALU_DEP_1)
	v_lshl_add_u64 v[126:127], v[118:119], 2, v[4:5]
	s_clause 0x1
	global_load_b32 v119, v[126:127], off
	global_load_b32 v125, v[4:5], off offset:144
	s_wait_loadcnt 0x1
	global_store_b32 v[4:5], v119, off offset:144
	s_wait_loadcnt 0x0
	global_store_b32 v[126:127], v125, off
.LBB110_770:
	s_wait_xcnt 0x0
	s_or_b32 exec_lo, exec_lo, s12
	v_dual_mov_b32 v126, v118 :: v_dual_mov_b32 v125, v118
.LBB110_771:
	s_or_b32 exec_lo, exec_lo, s1
.LBB110_772:
	s_and_not1_saveexec_b32 s0, s0
	s_cbranch_execz .LBB110_774
; %bb.773:
	v_mov_b32_e32 v126, 36
	ds_store_2addr_b64 v122, v[54:55], v[56:57] offset0:37 offset1:38
	ds_store_2addr_b64 v122, v[12:13], v[52:53] offset0:39 offset1:40
	;; [unrolled: 1-line block ×9, first 2 shown]
	ds_store_b64 v122, v[116:117] offset:440
.LBB110_774:
	s_or_b32 exec_lo, exec_lo, s0
	s_delay_alu instid0(SALU_CYCLE_1)
	s_mov_b32 s0, exec_lo
	s_wait_storecnt_dscnt 0x0
	s_barrier_signal -1
	s_barrier_wait -1
	v_cmpx_lt_i32_e32 36, v126
	s_cbranch_execz .LBB110_776
; %bb.775:
	v_pk_mul_f32 v[128:129], v[120:121], v[58:59] op_sel:[1,1] op_sel_hi:[0,1]
	s_delay_alu instid0(VALU_DEP_1)
	v_pk_fma_f32 v[118:119], v[120:121], v[58:59], v[128:129] op_sel_hi:[1,0,1] neg_lo:[0,0,1] neg_hi:[0,0,1]
	v_pk_fma_f32 v[120:121], v[120:121], v[58:59], v[128:129] op_sel_hi:[1,0,1]
	ds_load_2addr_b64 v[128:131], v122 offset0:37 offset1:38
	v_dual_mov_b32 v58, v118 :: v_dual_mov_b32 v59, v121
	s_wait_dscnt 0x0
	v_pk_mul_f32 v[132:133], v[128:129], v[120:121] op_sel:[0,1]
	s_delay_alu instid0(VALU_DEP_1) | instskip(SKIP_1) | instid1(VALU_DEP_1)
	v_pk_fma_f32 v[134:135], v[128:129], v[118:119], v[132:133] op_sel:[0,0,1] op_sel_hi:[1,1,0] neg_lo:[0,0,1] neg_hi:[0,0,1]
	v_pk_fma_f32 v[128:129], v[128:129], v[118:119], v[132:133] op_sel:[0,0,1] op_sel_hi:[1,0,0]
	v_mov_b32_e32 v135, v129
	v_pk_mul_f32 v[128:129], v[130:131], v[120:121] op_sel:[0,1]
	s_delay_alu instid0(VALU_DEP_1) | instskip(SKIP_1) | instid1(VALU_DEP_1)
	v_pk_fma_f32 v[132:133], v[130:131], v[118:119], v[128:129] op_sel:[0,0,1] op_sel_hi:[1,1,0] neg_lo:[0,0,1] neg_hi:[0,0,1]
	v_pk_fma_f32 v[128:129], v[130:131], v[118:119], v[128:129] op_sel:[0,0,1] op_sel_hi:[1,0,0]
	v_mov_b32_e32 v133, v129
	ds_load_2addr_b64 v[128:131], v122 offset0:39 offset1:40
	v_pk_add_f32 v[54:55], v[54:55], v[134:135] neg_lo:[0,1] neg_hi:[0,1]
	v_pk_add_f32 v[56:57], v[56:57], v[132:133] neg_lo:[0,1] neg_hi:[0,1]
	s_wait_dscnt 0x0
	v_pk_mul_f32 v[132:133], v[128:129], v[120:121] op_sel:[0,1]
	s_delay_alu instid0(VALU_DEP_1) | instskip(SKIP_2) | instid1(VALU_DEP_2)
	v_pk_fma_f32 v[134:135], v[128:129], v[118:119], v[132:133] op_sel:[0,0,1] op_sel_hi:[1,1,0] neg_lo:[0,0,1] neg_hi:[0,0,1]
	v_pk_fma_f32 v[128:129], v[128:129], v[118:119], v[132:133] op_sel:[0,0,1] op_sel_hi:[1,0,0]
	v_dual_mul_f32 v132, v131, v121 :: v_dual_mov_b32 v128, v131
	v_dual_mov_b32 v135, v129 :: v_dual_mov_b32 v129, v130
	s_delay_alu instid0(VALU_DEP_2) | instskip(SKIP_1) | instid1(VALU_DEP_3)
	v_pk_fma_f32 v[132:133], v[130:131], v[58:59], v[132:133] op_sel_hi:[1,1,0] neg_lo:[0,0,1] neg_hi:[0,0,1]
	v_mul_f32_e32 v130, v131, v118
	v_pk_add_f32 v[12:13], v[12:13], v[134:135] neg_lo:[0,1] neg_hi:[0,1]
	s_delay_alu instid0(VALU_DEP_2) | instskip(NEXT) | instid1(VALU_DEP_1)
	v_pk_fma_f32 v[128:129], v[128:129], v[58:59], v[130:131] op_sel_hi:[1,1,0]
	v_mov_b32_e32 v133, v129
	ds_load_2addr_b64 v[128:131], v122 offset0:41 offset1:42
	v_pk_add_f32 v[52:53], v[52:53], v[132:133] neg_lo:[0,1] neg_hi:[0,1]
	s_wait_dscnt 0x0
	v_pk_mul_f32 v[132:133], v[128:129], v[120:121] op_sel:[0,1]
	s_delay_alu instid0(VALU_DEP_1) | instskip(SKIP_1) | instid1(VALU_DEP_1)
	v_pk_fma_f32 v[134:135], v[128:129], v[118:119], v[132:133] op_sel:[0,0,1] op_sel_hi:[1,1,0] neg_lo:[0,0,1] neg_hi:[0,0,1]
	v_pk_fma_f32 v[128:129], v[128:129], v[118:119], v[132:133] op_sel:[0,0,1] op_sel_hi:[1,0,0]
	v_mov_b32_e32 v135, v129
	v_pk_mul_f32 v[128:129], v[130:131], v[120:121] op_sel:[0,1]
	s_delay_alu instid0(VALU_DEP_1) | instskip(SKIP_1) | instid1(VALU_DEP_1)
	v_pk_fma_f32 v[132:133], v[130:131], v[118:119], v[128:129] op_sel:[0,0,1] op_sel_hi:[1,1,0] neg_lo:[0,0,1] neg_hi:[0,0,1]
	v_pk_fma_f32 v[128:129], v[130:131], v[118:119], v[128:129] op_sel:[0,0,1] op_sel_hi:[1,0,0]
	v_mov_b32_e32 v133, v129
	ds_load_2addr_b64 v[128:131], v122 offset0:43 offset1:44
	v_pk_add_f32 v[48:49], v[48:49], v[134:135] neg_lo:[0,1] neg_hi:[0,1]
	v_pk_add_f32 v[50:51], v[50:51], v[132:133] neg_lo:[0,1] neg_hi:[0,1]
	s_wait_dscnt 0x0
	v_pk_mul_f32 v[132:133], v[128:129], v[120:121] op_sel:[0,1]
	s_delay_alu instid0(VALU_DEP_1) | instskip(SKIP_1) | instid1(VALU_DEP_1)
	v_pk_fma_f32 v[134:135], v[128:129], v[118:119], v[132:133] op_sel:[0,0,1] op_sel_hi:[1,1,0] neg_lo:[0,0,1] neg_hi:[0,0,1]
	v_pk_fma_f32 v[128:129], v[128:129], v[118:119], v[132:133] op_sel:[0,0,1] op_sel_hi:[1,0,0]
	v_mov_b32_e32 v135, v129
	v_pk_mul_f32 v[128:129], v[130:131], v[120:121] op_sel:[0,1]
	s_delay_alu instid0(VALU_DEP_1) | instskip(SKIP_1) | instid1(VALU_DEP_1)
	v_pk_fma_f32 v[132:133], v[130:131], v[118:119], v[128:129] op_sel:[0,0,1] op_sel_hi:[1,1,0] neg_lo:[0,0,1] neg_hi:[0,0,1]
	v_pk_fma_f32 v[128:129], v[130:131], v[118:119], v[128:129] op_sel:[0,0,1] op_sel_hi:[1,0,0]
	v_mov_b32_e32 v133, v129
	ds_load_2addr_b64 v[128:131], v122 offset0:45 offset1:46
	v_pk_add_f32 v[10:11], v[10:11], v[134:135] neg_lo:[0,1] neg_hi:[0,1]
	v_pk_add_f32 v[46:47], v[46:47], v[132:133] neg_lo:[0,1] neg_hi:[0,1]
	s_wait_dscnt 0x0
	v_dual_mul_f32 v132, v129, v121 :: v_dual_mul_f32 v134, v129, v118
	s_delay_alu instid0(VALU_DEP_1) | instskip(NEXT) | instid1(VALU_DEP_2)
	v_pk_fma_f32 v[132:133], v[128:129], v[58:59], v[132:133] op_sel_hi:[1,1,0] neg_lo:[0,0,1] neg_hi:[0,0,1]
	v_pk_fma_f32 v[128:129], v[128:129], v[58:59], v[134:135] op_sel:[1,0,0] op_sel_hi:[0,1,0]
	s_delay_alu instid0(VALU_DEP_1) | instskip(SKIP_1) | instid1(VALU_DEP_2)
	v_mov_b32_e32 v133, v129
	v_pk_mul_f32 v[128:129], v[130:131], v[120:121] op_sel:[0,1]
	v_pk_add_f32 v[42:43], v[42:43], v[132:133] neg_lo:[0,1] neg_hi:[0,1]
	s_delay_alu instid0(VALU_DEP_2) | instskip(SKIP_1) | instid1(VALU_DEP_1)
	v_pk_fma_f32 v[132:133], v[130:131], v[118:119], v[128:129] op_sel:[0,0,1] op_sel_hi:[1,1,0] neg_lo:[0,0,1] neg_hi:[0,0,1]
	v_pk_fma_f32 v[128:129], v[130:131], v[118:119], v[128:129] op_sel:[0,0,1] op_sel_hi:[1,0,0]
	v_mov_b32_e32 v133, v129
	ds_load_2addr_b64 v[128:131], v122 offset0:47 offset1:48
	v_pk_add_f32 v[44:45], v[44:45], v[132:133] neg_lo:[0,1] neg_hi:[0,1]
	s_wait_dscnt 0x0
	v_pk_mul_f32 v[132:133], v[128:129], v[120:121] op_sel:[0,1]
	s_delay_alu instid0(VALU_DEP_1) | instskip(SKIP_1) | instid1(VALU_DEP_1)
	v_pk_fma_f32 v[134:135], v[128:129], v[118:119], v[132:133] op_sel:[0,0,1] op_sel_hi:[1,1,0] neg_lo:[0,0,1] neg_hi:[0,0,1]
	v_pk_fma_f32 v[128:129], v[128:129], v[118:119], v[132:133] op_sel:[0,0,1] op_sel_hi:[1,0,0]
	v_mov_b32_e32 v135, v129
	v_pk_mul_f32 v[128:129], v[130:131], v[120:121] op_sel:[0,1]
	s_delay_alu instid0(VALU_DEP_2) | instskip(NEXT) | instid1(VALU_DEP_2)
	v_pk_add_f32 v[6:7], v[6:7], v[134:135] neg_lo:[0,1] neg_hi:[0,1]
	v_pk_fma_f32 v[132:133], v[130:131], v[118:119], v[128:129] op_sel:[0,0,1] op_sel_hi:[1,1,0] neg_lo:[0,0,1] neg_hi:[0,0,1]
	v_pk_fma_f32 v[128:129], v[130:131], v[118:119], v[128:129] op_sel:[0,0,1] op_sel_hi:[1,0,0]
	s_delay_alu instid0(VALU_DEP_1) | instskip(SKIP_4) | instid1(VALU_DEP_1)
	v_mov_b32_e32 v133, v129
	ds_load_2addr_b64 v[128:131], v122 offset0:49 offset1:50
	v_pk_add_f32 v[34:35], v[34:35], v[132:133] neg_lo:[0,1] neg_hi:[0,1]
	s_wait_dscnt 0x0
	v_pk_mul_f32 v[132:133], v[128:129], v[120:121] op_sel:[0,1]
	v_pk_fma_f32 v[134:135], v[128:129], v[118:119], v[132:133] op_sel:[0,0,1] op_sel_hi:[1,1,0] neg_lo:[0,0,1] neg_hi:[0,0,1]
	v_pk_fma_f32 v[128:129], v[128:129], v[118:119], v[132:133] op_sel:[0,0,1] op_sel_hi:[1,0,0]
	v_dual_mul_f32 v132, v131, v121 :: v_dual_mov_b32 v128, v131
	s_delay_alu instid0(VALU_DEP_2) | instskip(NEXT) | instid1(VALU_DEP_2)
	v_dual_mov_b32 v135, v129 :: v_dual_mov_b32 v129, v130
	v_pk_fma_f32 v[132:133], v[130:131], v[58:59], v[132:133] op_sel_hi:[1,1,0] neg_lo:[0,0,1] neg_hi:[0,0,1]
	v_mul_f32_e32 v130, v131, v118
	s_delay_alu instid0(VALU_DEP_3) | instskip(NEXT) | instid1(VALU_DEP_2)
	v_pk_add_f32 v[28:29], v[28:29], v[134:135] neg_lo:[0,1] neg_hi:[0,1]
	v_pk_fma_f32 v[128:129], v[128:129], v[58:59], v[130:131] op_sel_hi:[1,1,0]
	s_delay_alu instid0(VALU_DEP_1) | instskip(SKIP_4) | instid1(VALU_DEP_1)
	v_mov_b32_e32 v133, v129
	ds_load_2addr_b64 v[128:131], v122 offset0:51 offset1:52
	v_pk_add_f32 v[32:33], v[32:33], v[132:133] neg_lo:[0,1] neg_hi:[0,1]
	s_wait_dscnt 0x0
	v_pk_mul_f32 v[132:133], v[128:129], v[120:121] op_sel:[0,1]
	v_pk_fma_f32 v[134:135], v[128:129], v[118:119], v[132:133] op_sel:[0,0,1] op_sel_hi:[1,1,0] neg_lo:[0,0,1] neg_hi:[0,0,1]
	v_pk_fma_f32 v[128:129], v[128:129], v[118:119], v[132:133] op_sel:[0,0,1] op_sel_hi:[1,0,0]
	s_delay_alu instid0(VALU_DEP_1) | instskip(SKIP_1) | instid1(VALU_DEP_1)
	v_mov_b32_e32 v135, v129
	v_pk_mul_f32 v[128:129], v[130:131], v[120:121] op_sel:[0,1]
	v_pk_fma_f32 v[132:133], v[130:131], v[118:119], v[128:129] op_sel:[0,0,1] op_sel_hi:[1,1,0] neg_lo:[0,0,1] neg_hi:[0,0,1]
	v_pk_fma_f32 v[128:129], v[130:131], v[118:119], v[128:129] op_sel:[0,0,1] op_sel_hi:[1,0,0]
	s_delay_alu instid0(VALU_DEP_1)
	v_mov_b32_e32 v133, v129
	ds_load_2addr_b64 v[128:131], v122 offset0:53 offset1:54
	v_pk_add_f32 v[8:9], v[8:9], v[134:135] neg_lo:[0,1] neg_hi:[0,1]
	v_pk_add_f32 v[26:27], v[26:27], v[132:133] neg_lo:[0,1] neg_hi:[0,1]
	s_wait_dscnt 0x0
	v_pk_mul_f32 v[132:133], v[128:129], v[120:121] op_sel:[0,1]
	s_delay_alu instid0(VALU_DEP_1) | instskip(SKIP_1) | instid1(VALU_DEP_1)
	v_pk_fma_f32 v[134:135], v[128:129], v[118:119], v[132:133] op_sel:[0,0,1] op_sel_hi:[1,1,0] neg_lo:[0,0,1] neg_hi:[0,0,1]
	v_pk_fma_f32 v[128:129], v[128:129], v[118:119], v[132:133] op_sel:[0,0,1] op_sel_hi:[1,0,0]
	v_mov_b32_e32 v135, v129
	v_pk_mul_f32 v[128:129], v[130:131], v[120:121] op_sel:[0,1]
	s_delay_alu instid0(VALU_DEP_1) | instskip(SKIP_1) | instid1(VALU_DEP_1)
	v_pk_fma_f32 v[132:133], v[130:131], v[118:119], v[128:129] op_sel:[0,0,1] op_sel_hi:[1,1,0] neg_lo:[0,0,1] neg_hi:[0,0,1]
	v_pk_fma_f32 v[128:129], v[130:131], v[118:119], v[128:129] op_sel:[0,0,1] op_sel_hi:[1,0,0]
	v_mov_b32_e32 v133, v129
	ds_load_b64 v[128:129], v122 offset:440
	v_pk_add_f32 v[22:23], v[22:23], v[134:135] neg_lo:[0,1] neg_hi:[0,1]
	v_pk_add_f32 v[20:21], v[20:21], v[132:133] neg_lo:[0,1] neg_hi:[0,1]
	s_wait_dscnt 0x0
	v_pk_mul_f32 v[120:121], v[128:129], v[120:121] op_sel:[0,1]
	s_delay_alu instid0(VALU_DEP_1) | instskip(SKIP_1) | instid1(VALU_DEP_1)
	v_pk_fma_f32 v[130:131], v[128:129], v[118:119], v[120:121] op_sel:[0,0,1] op_sel_hi:[1,1,0] neg_lo:[0,0,1] neg_hi:[0,0,1]
	v_pk_fma_f32 v[118:119], v[128:129], v[118:119], v[120:121] op_sel:[0,0,1] op_sel_hi:[1,0,0]
	v_mov_b32_e32 v131, v119
	s_delay_alu instid0(VALU_DEP_1)
	v_pk_add_f32 v[116:117], v[116:117], v[130:131] neg_lo:[0,1] neg_hi:[0,1]
.LBB110_776:
	s_or_b32 exec_lo, exec_lo, s0
	v_lshl_add_u32 v118, v126, 3, v122
	s_barrier_signal -1
	s_barrier_wait -1
	ds_store_b64 v118, v[54:55]
	s_wait_dscnt 0x0
	s_barrier_signal -1
	s_barrier_wait -1
	ds_load_b64 v[118:119], v122 offset:296
	v_mov_b32_e32 v120, 37
	s_cmp_lt_i32 s18, 39
	s_cbranch_scc1 .LBB110_779
; %bb.777:
	v_add3_u32 v121, v123, 0, 0x130
	v_mov_b32_e32 v120, 37
	s_mov_b32 s0, 38
.LBB110_778:                            ; =>This Inner Loop Header: Depth=1
	ds_load_b64 v[128:129], v121
	s_wait_dscnt 0x1
	v_cmp_gt_f32_e32 vcc_lo, 0, v118
	v_cndmask_b32_e64 v130, v118, -v118, vcc_lo
	v_cmp_gt_f32_e32 vcc_lo, 0, v119
	v_cndmask_b32_e64 v132, v119, -v119, vcc_lo
	s_wait_dscnt 0x0
	v_cmp_gt_f32_e32 vcc_lo, 0, v128
	v_cndmask_b32_e64 v131, v128, -v128, vcc_lo
	v_cmp_gt_f32_e32 vcc_lo, 0, v129
	v_cndmask_b32_e64 v133, v129, -v129, vcc_lo
	s_delay_alu instid0(VALU_DEP_1) | instskip(NEXT) | instid1(VALU_DEP_1)
	v_pk_add_f32 v[130:131], v[130:131], v[132:133]
	v_cmp_lt_f32_e32 vcc_lo, v130, v131
	v_dual_cndmask_b32 v118, v118, v128 :: v_dual_add_nc_u32 v121, 8, v121
	v_cndmask_b32_e32 v119, v119, v129, vcc_lo
	v_cndmask_b32_e64 v120, v120, s0, vcc_lo
	s_add_co_i32 s0, s0, 1
	s_delay_alu instid0(SALU_CYCLE_1)
	s_cmp_lg_u32 s18, s0
	s_cbranch_scc1 .LBB110_778
.LBB110_779:
	s_wait_dscnt 0x0
	v_cmp_eq_f32_e32 vcc_lo, 0, v118
	v_cmp_eq_f32_e64 s0, 0, v119
	s_and_b32 s0, vcc_lo, s0
	s_delay_alu instid0(SALU_CYCLE_1) | instskip(NEXT) | instid1(SALU_CYCLE_1)
	s_and_saveexec_b32 s1, s0
	s_xor_b32 s0, exec_lo, s1
; %bb.780:
	v_cmp_ne_u32_e32 vcc_lo, 0, v124
	v_cndmask_b32_e32 v124, 38, v124, vcc_lo
; %bb.781:
	s_and_not1_saveexec_b32 s0, s0
	s_cbranch_execz .LBB110_787
; %bb.782:
	v_cmp_ngt_f32_e64 s1, |v118|, |v119|
	s_and_saveexec_b32 s12, s1
	s_delay_alu instid0(SALU_CYCLE_1)
	s_xor_b32 s1, exec_lo, s12
	s_cbranch_execz .LBB110_784
; %bb.783:
	v_div_scale_f32 v121, null, v119, v119, v118
	v_div_scale_f32 v129, vcc_lo, v118, v119, v118
	s_delay_alu instid0(VALU_DEP_2) | instskip(SKIP_1) | instid1(TRANS32_DEP_1)
	v_rcp_f32_e32 v127, v121
	v_nop
	v_fma_f32 v128, -v121, v127, 1.0
	s_delay_alu instid0(VALU_DEP_1) | instskip(NEXT) | instid1(VALU_DEP_1)
	v_fmac_f32_e32 v127, v128, v127
	v_mul_f32_e32 v128, v129, v127
	s_delay_alu instid0(VALU_DEP_1) | instskip(NEXT) | instid1(VALU_DEP_1)
	v_fma_f32 v130, -v121, v128, v129
	v_fmac_f32_e32 v128, v130, v127
	s_delay_alu instid0(VALU_DEP_1) | instskip(NEXT) | instid1(VALU_DEP_1)
	v_fma_f32 v121, -v121, v128, v129
	v_div_fmas_f32 v121, v121, v127, v128
	s_delay_alu instid0(VALU_DEP_1) | instskip(NEXT) | instid1(VALU_DEP_1)
	v_div_fixup_f32 v121, v121, v119, v118
	v_fmac_f32_e32 v119, v118, v121
	s_delay_alu instid0(VALU_DEP_1) | instskip(SKIP_1) | instid1(VALU_DEP_2)
	v_div_scale_f32 v118, null, v119, v119, 1.0
	v_div_scale_f32 v129, vcc_lo, 1.0, v119, 1.0
	v_rcp_f32_e32 v127, v118
	v_nop
	s_delay_alu instid0(TRANS32_DEP_1) | instskip(NEXT) | instid1(VALU_DEP_1)
	v_fma_f32 v128, -v118, v127, 1.0
	v_fmac_f32_e32 v127, v128, v127
	s_delay_alu instid0(VALU_DEP_1) | instskip(NEXT) | instid1(VALU_DEP_1)
	v_mul_f32_e32 v128, v129, v127
	v_fma_f32 v130, -v118, v128, v129
	s_delay_alu instid0(VALU_DEP_1) | instskip(NEXT) | instid1(VALU_DEP_1)
	v_fmac_f32_e32 v128, v130, v127
	v_fma_f32 v118, -v118, v128, v129
	s_delay_alu instid0(VALU_DEP_1) | instskip(NEXT) | instid1(VALU_DEP_1)
	v_div_fmas_f32 v118, v118, v127, v128
	v_div_fixup_f32 v119, v118, v119, 1.0
	s_delay_alu instid0(VALU_DEP_1)
	v_mul_f32_e32 v118, v121, v119
	v_xor_b32_e32 v119, 0x80000000, v119
.LBB110_784:
	s_and_not1_saveexec_b32 s1, s1
	s_cbranch_execz .LBB110_786
; %bb.785:
	s_delay_alu instid0(VALU_DEP_1) | instskip(SKIP_1) | instid1(VALU_DEP_2)
	v_div_scale_f32 v121, null, v118, v118, v119
	v_div_scale_f32 v129, vcc_lo, v119, v118, v119
	v_rcp_f32_e32 v127, v121
	v_nop
	s_delay_alu instid0(TRANS32_DEP_1) | instskip(NEXT) | instid1(VALU_DEP_1)
	v_fma_f32 v128, -v121, v127, 1.0
	v_fmac_f32_e32 v127, v128, v127
	s_delay_alu instid0(VALU_DEP_1) | instskip(NEXT) | instid1(VALU_DEP_1)
	v_mul_f32_e32 v128, v129, v127
	v_fma_f32 v130, -v121, v128, v129
	s_delay_alu instid0(VALU_DEP_1) | instskip(NEXT) | instid1(VALU_DEP_1)
	v_fmac_f32_e32 v128, v130, v127
	v_fma_f32 v121, -v121, v128, v129
	s_delay_alu instid0(VALU_DEP_1) | instskip(NEXT) | instid1(VALU_DEP_1)
	v_div_fmas_f32 v121, v121, v127, v128
	v_div_fixup_f32 v121, v121, v118, v119
	s_delay_alu instid0(VALU_DEP_1) | instskip(NEXT) | instid1(VALU_DEP_1)
	v_fmac_f32_e32 v118, v119, v121
	v_div_scale_f32 v119, null, v118, v118, 1.0
	s_delay_alu instid0(VALU_DEP_1) | instskip(SKIP_1) | instid1(TRANS32_DEP_1)
	v_rcp_f32_e32 v127, v119
	v_nop
	v_fma_f32 v128, -v119, v127, 1.0
	s_delay_alu instid0(VALU_DEP_1) | instskip(SKIP_1) | instid1(VALU_DEP_1)
	v_fmac_f32_e32 v127, v128, v127
	v_div_scale_f32 v128, vcc_lo, 1.0, v118, 1.0
	v_mul_f32_e32 v129, v128, v127
	s_delay_alu instid0(VALU_DEP_1) | instskip(NEXT) | instid1(VALU_DEP_1)
	v_fma_f32 v130, -v119, v129, v128
	v_fmac_f32_e32 v129, v130, v127
	s_delay_alu instid0(VALU_DEP_1) | instskip(NEXT) | instid1(VALU_DEP_1)
	v_fma_f32 v119, -v119, v129, v128
	v_div_fmas_f32 v119, v119, v127, v129
	s_delay_alu instid0(VALU_DEP_1) | instskip(NEXT) | instid1(VALU_DEP_1)
	v_div_fixup_f32 v118, v119, v118, 1.0
	v_mul_f32_e64 v119, v121, -v118
.LBB110_786:
	s_or_b32 exec_lo, exec_lo, s1
.LBB110_787:
	s_delay_alu instid0(SALU_CYCLE_1) | instskip(NEXT) | instid1(SALU_CYCLE_1)
	s_or_b32 exec_lo, exec_lo, s0
	s_mov_b32 s0, exec_lo
	v_cmpx_ne_u32_e64 v126, v120
	s_xor_b32 s0, exec_lo, s0
	s_cbranch_execz .LBB110_793
; %bb.788:
	s_mov_b32 s1, exec_lo
	v_cmpx_eq_u32_e32 37, v126
	s_cbranch_execz .LBB110_792
; %bb.789:
	v_cmp_ne_u32_e32 vcc_lo, 37, v120
	s_xor_b32 s12, s16, -1
	s_delay_alu instid0(SALU_CYCLE_1) | instskip(NEXT) | instid1(SALU_CYCLE_1)
	s_and_b32 s13, s12, vcc_lo
	s_and_saveexec_b32 s12, s13
	s_cbranch_execz .LBB110_791
; %bb.790:
	v_ashrrev_i32_e32 v121, 31, v120
	s_delay_alu instid0(VALU_DEP_1)
	v_lshl_add_u64 v[126:127], v[120:121], 2, v[4:5]
	s_clause 0x1
	global_load_b32 v121, v[126:127], off
	global_load_b32 v125, v[4:5], off offset:148
	s_wait_loadcnt 0x1
	global_store_b32 v[4:5], v121, off offset:148
	s_wait_loadcnt 0x0
	global_store_b32 v[126:127], v125, off
.LBB110_791:
	s_wait_xcnt 0x0
	s_or_b32 exec_lo, exec_lo, s12
	v_dual_mov_b32 v126, v120 :: v_dual_mov_b32 v125, v120
.LBB110_792:
	s_or_b32 exec_lo, exec_lo, s1
.LBB110_793:
	s_and_not1_saveexec_b32 s0, s0
	s_cbranch_execz .LBB110_795
; %bb.794:
	v_dual_mov_b32 v120, v56 :: v_dual_mov_b32 v121, v57
	v_dual_mov_b32 v126, v12 :: v_dual_mov_b32 v127, v13
	;; [unrolled: 1-line block ×8, first 2 shown]
	ds_store_2addr_b64 v122, v[120:121], v[126:127] offset0:38 offset1:39
	ds_store_2addr_b64 v122, v[128:129], v[130:131] offset0:40 offset1:41
	;; [unrolled: 1-line block ×4, first 2 shown]
	v_dual_mov_b32 v120, v44 :: v_dual_mov_b32 v121, v45
	v_dual_mov_b32 v128, v6 :: v_dual_mov_b32 v129, v7
	;; [unrolled: 1-line block ×9, first 2 shown]
	v_mov_b32_e32 v143, v21
	ds_store_2addr_b64 v122, v[120:121], v[128:129] offset0:46 offset1:47
	ds_store_2addr_b64 v122, v[130:131], v[132:133] offset0:48 offset1:49
	;; [unrolled: 1-line block ×5, first 2 shown]
.LBB110_795:
	s_or_b32 exec_lo, exec_lo, s0
	s_delay_alu instid0(SALU_CYCLE_1)
	s_mov_b32 s0, exec_lo
	s_wait_storecnt_dscnt 0x0
	s_barrier_signal -1
	s_barrier_wait -1
	v_cmpx_lt_i32_e32 37, v126
	s_cbranch_execz .LBB110_797
; %bb.796:
	v_pk_mul_f32 v[128:129], v[118:119], v[54:55] op_sel:[1,1] op_sel_hi:[0,1]
	s_delay_alu instid0(VALU_DEP_1)
	v_pk_fma_f32 v[120:121], v[118:119], v[54:55], v[128:129] op_sel_hi:[1,0,1] neg_lo:[0,0,1] neg_hi:[0,0,1]
	v_pk_fma_f32 v[118:119], v[118:119], v[54:55], v[128:129] op_sel_hi:[1,0,1]
	ds_load_2addr_b64 v[128:131], v122 offset0:38 offset1:39
	v_dual_mov_b32 v54, v120 :: v_dual_mov_b32 v55, v119
	s_wait_dscnt 0x0
	v_pk_mul_f32 v[132:133], v[128:129], v[118:119] op_sel:[0,1]
	s_delay_alu instid0(VALU_DEP_1) | instskip(SKIP_1) | instid1(VALU_DEP_1)
	v_pk_fma_f32 v[134:135], v[128:129], v[120:121], v[132:133] op_sel:[0,0,1] op_sel_hi:[1,1,0] neg_lo:[0,0,1] neg_hi:[0,0,1]
	v_pk_fma_f32 v[128:129], v[128:129], v[120:121], v[132:133] op_sel:[0,0,1] op_sel_hi:[1,0,0]
	v_mov_b32_e32 v135, v129
	v_pk_mul_f32 v[128:129], v[130:131], v[118:119] op_sel:[0,1]
	s_delay_alu instid0(VALU_DEP_1) | instskip(SKIP_1) | instid1(VALU_DEP_1)
	v_pk_fma_f32 v[132:133], v[130:131], v[120:121], v[128:129] op_sel:[0,0,1] op_sel_hi:[1,1,0] neg_lo:[0,0,1] neg_hi:[0,0,1]
	v_pk_fma_f32 v[128:129], v[130:131], v[120:121], v[128:129] op_sel:[0,0,1] op_sel_hi:[1,0,0]
	v_mov_b32_e32 v133, v129
	ds_load_2addr_b64 v[128:131], v122 offset0:40 offset1:41
	v_pk_add_f32 v[56:57], v[56:57], v[134:135] neg_lo:[0,1] neg_hi:[0,1]
	v_pk_add_f32 v[12:13], v[12:13], v[132:133] neg_lo:[0,1] neg_hi:[0,1]
	s_wait_dscnt 0x0
	v_pk_mul_f32 v[132:133], v[128:129], v[118:119] op_sel:[0,1]
	s_delay_alu instid0(VALU_DEP_1) | instskip(SKIP_2) | instid1(VALU_DEP_2)
	v_pk_fma_f32 v[134:135], v[128:129], v[120:121], v[132:133] op_sel:[0,0,1] op_sel_hi:[1,1,0] neg_lo:[0,0,1] neg_hi:[0,0,1]
	v_pk_fma_f32 v[128:129], v[128:129], v[120:121], v[132:133] op_sel:[0,0,1] op_sel_hi:[1,0,0]
	v_dual_mul_f32 v132, v131, v119 :: v_dual_mov_b32 v128, v131
	v_dual_mov_b32 v135, v129 :: v_dual_mov_b32 v129, v130
	s_delay_alu instid0(VALU_DEP_2) | instskip(SKIP_1) | instid1(VALU_DEP_3)
	v_pk_fma_f32 v[132:133], v[130:131], v[54:55], v[132:133] op_sel_hi:[1,1,0] neg_lo:[0,0,1] neg_hi:[0,0,1]
	v_mul_f32_e32 v130, v131, v120
	v_pk_add_f32 v[52:53], v[52:53], v[134:135] neg_lo:[0,1] neg_hi:[0,1]
	s_delay_alu instid0(VALU_DEP_2) | instskip(NEXT) | instid1(VALU_DEP_1)
	v_pk_fma_f32 v[128:129], v[128:129], v[54:55], v[130:131] op_sel_hi:[1,1,0]
	v_mov_b32_e32 v133, v129
	ds_load_2addr_b64 v[128:131], v122 offset0:42 offset1:43
	v_pk_add_f32 v[48:49], v[48:49], v[132:133] neg_lo:[0,1] neg_hi:[0,1]
	s_wait_dscnt 0x0
	v_pk_mul_f32 v[132:133], v[128:129], v[118:119] op_sel:[0,1]
	s_delay_alu instid0(VALU_DEP_1) | instskip(SKIP_1) | instid1(VALU_DEP_1)
	v_pk_fma_f32 v[134:135], v[128:129], v[120:121], v[132:133] op_sel:[0,0,1] op_sel_hi:[1,1,0] neg_lo:[0,0,1] neg_hi:[0,0,1]
	v_pk_fma_f32 v[128:129], v[128:129], v[120:121], v[132:133] op_sel:[0,0,1] op_sel_hi:[1,0,0]
	v_mov_b32_e32 v135, v129
	v_pk_mul_f32 v[128:129], v[130:131], v[118:119] op_sel:[0,1]
	s_delay_alu instid0(VALU_DEP_1) | instskip(SKIP_1) | instid1(VALU_DEP_1)
	v_pk_fma_f32 v[132:133], v[130:131], v[120:121], v[128:129] op_sel:[0,0,1] op_sel_hi:[1,1,0] neg_lo:[0,0,1] neg_hi:[0,0,1]
	v_pk_fma_f32 v[128:129], v[130:131], v[120:121], v[128:129] op_sel:[0,0,1] op_sel_hi:[1,0,0]
	v_mov_b32_e32 v133, v129
	ds_load_2addr_b64 v[128:131], v122 offset0:44 offset1:45
	v_pk_add_f32 v[50:51], v[50:51], v[134:135] neg_lo:[0,1] neg_hi:[0,1]
	v_pk_add_f32 v[10:11], v[10:11], v[132:133] neg_lo:[0,1] neg_hi:[0,1]
	s_wait_dscnt 0x0
	v_pk_mul_f32 v[132:133], v[128:129], v[118:119] op_sel:[0,1]
	s_delay_alu instid0(VALU_DEP_1) | instskip(SKIP_1) | instid1(VALU_DEP_1)
	v_pk_fma_f32 v[134:135], v[128:129], v[120:121], v[132:133] op_sel:[0,0,1] op_sel_hi:[1,1,0] neg_lo:[0,0,1] neg_hi:[0,0,1]
	v_pk_fma_f32 v[128:129], v[128:129], v[120:121], v[132:133] op_sel:[0,0,1] op_sel_hi:[1,0,0]
	v_mov_b32_e32 v135, v129
	v_pk_mul_f32 v[128:129], v[130:131], v[118:119] op_sel:[0,1]
	s_delay_alu instid0(VALU_DEP_1) | instskip(SKIP_1) | instid1(VALU_DEP_1)
	v_pk_fma_f32 v[132:133], v[130:131], v[120:121], v[128:129] op_sel:[0,0,1] op_sel_hi:[1,1,0] neg_lo:[0,0,1] neg_hi:[0,0,1]
	v_pk_fma_f32 v[128:129], v[130:131], v[120:121], v[128:129] op_sel:[0,0,1] op_sel_hi:[1,0,0]
	v_mov_b32_e32 v133, v129
	ds_load_2addr_b64 v[128:131], v122 offset0:46 offset1:47
	v_pk_add_f32 v[46:47], v[46:47], v[134:135] neg_lo:[0,1] neg_hi:[0,1]
	v_pk_add_f32 v[42:43], v[42:43], v[132:133] neg_lo:[0,1] neg_hi:[0,1]
	s_wait_dscnt 0x0
	v_dual_mul_f32 v132, v129, v119 :: v_dual_mul_f32 v134, v129, v120
	s_delay_alu instid0(VALU_DEP_1) | instskip(NEXT) | instid1(VALU_DEP_2)
	v_pk_fma_f32 v[132:133], v[128:129], v[54:55], v[132:133] op_sel_hi:[1,1,0] neg_lo:[0,0,1] neg_hi:[0,0,1]
	v_pk_fma_f32 v[128:129], v[128:129], v[54:55], v[134:135] op_sel:[1,0,0] op_sel_hi:[0,1,0]
	s_delay_alu instid0(VALU_DEP_1) | instskip(SKIP_1) | instid1(VALU_DEP_2)
	v_mov_b32_e32 v133, v129
	v_pk_mul_f32 v[128:129], v[130:131], v[118:119] op_sel:[0,1]
	v_pk_add_f32 v[44:45], v[44:45], v[132:133] neg_lo:[0,1] neg_hi:[0,1]
	s_delay_alu instid0(VALU_DEP_2) | instskip(SKIP_1) | instid1(VALU_DEP_1)
	v_pk_fma_f32 v[132:133], v[130:131], v[120:121], v[128:129] op_sel:[0,0,1] op_sel_hi:[1,1,0] neg_lo:[0,0,1] neg_hi:[0,0,1]
	v_pk_fma_f32 v[128:129], v[130:131], v[120:121], v[128:129] op_sel:[0,0,1] op_sel_hi:[1,0,0]
	v_mov_b32_e32 v133, v129
	ds_load_2addr_b64 v[128:131], v122 offset0:48 offset1:49
	v_pk_add_f32 v[6:7], v[6:7], v[132:133] neg_lo:[0,1] neg_hi:[0,1]
	s_wait_dscnt 0x0
	v_pk_mul_f32 v[132:133], v[128:129], v[118:119] op_sel:[0,1]
	s_delay_alu instid0(VALU_DEP_1) | instskip(SKIP_1) | instid1(VALU_DEP_1)
	v_pk_fma_f32 v[134:135], v[128:129], v[120:121], v[132:133] op_sel:[0,0,1] op_sel_hi:[1,1,0] neg_lo:[0,0,1] neg_hi:[0,0,1]
	v_pk_fma_f32 v[128:129], v[128:129], v[120:121], v[132:133] op_sel:[0,0,1] op_sel_hi:[1,0,0]
	v_mov_b32_e32 v135, v129
	v_pk_mul_f32 v[128:129], v[130:131], v[118:119] op_sel:[0,1]
	s_delay_alu instid0(VALU_DEP_2) | instskip(NEXT) | instid1(VALU_DEP_2)
	v_pk_add_f32 v[34:35], v[34:35], v[134:135] neg_lo:[0,1] neg_hi:[0,1]
	v_pk_fma_f32 v[132:133], v[130:131], v[120:121], v[128:129] op_sel:[0,0,1] op_sel_hi:[1,1,0] neg_lo:[0,0,1] neg_hi:[0,0,1]
	v_pk_fma_f32 v[128:129], v[130:131], v[120:121], v[128:129] op_sel:[0,0,1] op_sel_hi:[1,0,0]
	s_delay_alu instid0(VALU_DEP_1) | instskip(SKIP_4) | instid1(VALU_DEP_1)
	v_mov_b32_e32 v133, v129
	ds_load_2addr_b64 v[128:131], v122 offset0:50 offset1:51
	v_pk_add_f32 v[28:29], v[28:29], v[132:133] neg_lo:[0,1] neg_hi:[0,1]
	s_wait_dscnt 0x0
	v_pk_mul_f32 v[132:133], v[128:129], v[118:119] op_sel:[0,1]
	v_pk_fma_f32 v[134:135], v[128:129], v[120:121], v[132:133] op_sel:[0,0,1] op_sel_hi:[1,1,0] neg_lo:[0,0,1] neg_hi:[0,0,1]
	v_pk_fma_f32 v[128:129], v[128:129], v[120:121], v[132:133] op_sel:[0,0,1] op_sel_hi:[1,0,0]
	v_dual_mul_f32 v132, v131, v119 :: v_dual_mov_b32 v128, v131
	s_delay_alu instid0(VALU_DEP_2) | instskip(NEXT) | instid1(VALU_DEP_2)
	v_dual_mov_b32 v135, v129 :: v_dual_mov_b32 v129, v130
	v_pk_fma_f32 v[132:133], v[130:131], v[54:55], v[132:133] op_sel_hi:[1,1,0] neg_lo:[0,0,1] neg_hi:[0,0,1]
	v_mul_f32_e32 v130, v131, v120
	s_delay_alu instid0(VALU_DEP_3) | instskip(NEXT) | instid1(VALU_DEP_2)
	v_pk_add_f32 v[32:33], v[32:33], v[134:135] neg_lo:[0,1] neg_hi:[0,1]
	v_pk_fma_f32 v[128:129], v[128:129], v[54:55], v[130:131] op_sel_hi:[1,1,0]
	s_delay_alu instid0(VALU_DEP_1) | instskip(SKIP_4) | instid1(VALU_DEP_1)
	v_mov_b32_e32 v133, v129
	ds_load_2addr_b64 v[128:131], v122 offset0:52 offset1:53
	v_pk_add_f32 v[8:9], v[8:9], v[132:133] neg_lo:[0,1] neg_hi:[0,1]
	s_wait_dscnt 0x0
	v_pk_mul_f32 v[132:133], v[128:129], v[118:119] op_sel:[0,1]
	v_pk_fma_f32 v[134:135], v[128:129], v[120:121], v[132:133] op_sel:[0,0,1] op_sel_hi:[1,1,0] neg_lo:[0,0,1] neg_hi:[0,0,1]
	v_pk_fma_f32 v[128:129], v[128:129], v[120:121], v[132:133] op_sel:[0,0,1] op_sel_hi:[1,0,0]
	s_delay_alu instid0(VALU_DEP_1) | instskip(SKIP_1) | instid1(VALU_DEP_1)
	v_mov_b32_e32 v135, v129
	v_pk_mul_f32 v[128:129], v[130:131], v[118:119] op_sel:[0,1]
	v_pk_fma_f32 v[132:133], v[130:131], v[120:121], v[128:129] op_sel:[0,0,1] op_sel_hi:[1,1,0] neg_lo:[0,0,1] neg_hi:[0,0,1]
	v_pk_fma_f32 v[128:129], v[130:131], v[120:121], v[128:129] op_sel:[0,0,1] op_sel_hi:[1,0,0]
	s_delay_alu instid0(VALU_DEP_1)
	v_mov_b32_e32 v133, v129
	ds_load_2addr_b64 v[128:131], v122 offset0:54 offset1:55
	v_pk_add_f32 v[26:27], v[26:27], v[134:135] neg_lo:[0,1] neg_hi:[0,1]
	v_pk_add_f32 v[22:23], v[22:23], v[132:133] neg_lo:[0,1] neg_hi:[0,1]
	s_wait_dscnt 0x0
	v_pk_mul_f32 v[132:133], v[128:129], v[118:119] op_sel:[0,1]
	v_mul_f32_e32 v118, v131, v119
	s_delay_alu instid0(VALU_DEP_2) | instskip(SKIP_2) | instid1(VALU_DEP_4)
	v_pk_fma_f32 v[134:135], v[128:129], v[120:121], v[132:133] op_sel:[0,0,1] op_sel_hi:[1,1,0] neg_lo:[0,0,1] neg_hi:[0,0,1]
	v_pk_fma_f32 v[128:129], v[128:129], v[120:121], v[132:133] op_sel:[0,0,1] op_sel_hi:[1,0,0]
	v_dual_mov_b32 v128, v131 :: v_dual_mul_f32 v120, v131, v120
	v_pk_fma_f32 v[118:119], v[130:131], v[54:55], v[118:119] op_sel_hi:[1,1,0] neg_lo:[0,0,1] neg_hi:[0,0,1]
	s_delay_alu instid0(VALU_DEP_3) | instskip(NEXT) | instid1(VALU_DEP_1)
	v_dual_mov_b32 v135, v129 :: v_dual_mov_b32 v129, v130
	v_pk_add_f32 v[20:21], v[20:21], v[134:135] neg_lo:[0,1] neg_hi:[0,1]
	s_delay_alu instid0(VALU_DEP_2) | instskip(NEXT) | instid1(VALU_DEP_1)
	v_pk_fma_f32 v[120:121], v[128:129], v[54:55], v[120:121] op_sel_hi:[1,1,0]
	v_mov_b32_e32 v119, v121
	s_delay_alu instid0(VALU_DEP_1)
	v_pk_add_f32 v[116:117], v[116:117], v[118:119] neg_lo:[0,1] neg_hi:[0,1]
.LBB110_797:
	s_or_b32 exec_lo, exec_lo, s0
	v_lshl_add_u32 v118, v126, 3, v122
	s_barrier_signal -1
	s_barrier_wait -1
	ds_store_b64 v118, v[56:57]
	s_wait_dscnt 0x0
	s_barrier_signal -1
	s_barrier_wait -1
	ds_load_b64 v[118:119], v122 offset:304
	v_mov_b32_e32 v120, 38
	s_cmp_lt_i32 s18, 40
	s_cbranch_scc1 .LBB110_800
; %bb.798:
	v_add3_u32 v121, v123, 0, 0x138
	v_mov_b32_e32 v120, 38
	s_mov_b32 s0, 39
.LBB110_799:                            ; =>This Inner Loop Header: Depth=1
	ds_load_b64 v[128:129], v121
	s_wait_dscnt 0x1
	v_cmp_gt_f32_e32 vcc_lo, 0, v118
	v_cndmask_b32_e64 v130, v118, -v118, vcc_lo
	v_cmp_gt_f32_e32 vcc_lo, 0, v119
	v_cndmask_b32_e64 v132, v119, -v119, vcc_lo
	s_wait_dscnt 0x0
	v_cmp_gt_f32_e32 vcc_lo, 0, v128
	v_cndmask_b32_e64 v131, v128, -v128, vcc_lo
	v_cmp_gt_f32_e32 vcc_lo, 0, v129
	v_cndmask_b32_e64 v133, v129, -v129, vcc_lo
	s_delay_alu instid0(VALU_DEP_1) | instskip(NEXT) | instid1(VALU_DEP_1)
	v_pk_add_f32 v[130:131], v[130:131], v[132:133]
	v_cmp_lt_f32_e32 vcc_lo, v130, v131
	v_dual_cndmask_b32 v118, v118, v128 :: v_dual_add_nc_u32 v121, 8, v121
	v_cndmask_b32_e32 v119, v119, v129, vcc_lo
	v_cndmask_b32_e64 v120, v120, s0, vcc_lo
	s_add_co_i32 s0, s0, 1
	s_delay_alu instid0(SALU_CYCLE_1)
	s_cmp_lg_u32 s18, s0
	s_cbranch_scc1 .LBB110_799
.LBB110_800:
	s_wait_dscnt 0x0
	v_cmp_eq_f32_e32 vcc_lo, 0, v118
	v_cmp_eq_f32_e64 s0, 0, v119
	s_and_b32 s0, vcc_lo, s0
	s_delay_alu instid0(SALU_CYCLE_1) | instskip(NEXT) | instid1(SALU_CYCLE_1)
	s_and_saveexec_b32 s1, s0
	s_xor_b32 s0, exec_lo, s1
; %bb.801:
	v_cmp_ne_u32_e32 vcc_lo, 0, v124
	v_cndmask_b32_e32 v124, 39, v124, vcc_lo
; %bb.802:
	s_and_not1_saveexec_b32 s0, s0
	s_cbranch_execz .LBB110_808
; %bb.803:
	v_cmp_ngt_f32_e64 s1, |v118|, |v119|
	s_and_saveexec_b32 s12, s1
	s_delay_alu instid0(SALU_CYCLE_1)
	s_xor_b32 s1, exec_lo, s12
	s_cbranch_execz .LBB110_805
; %bb.804:
	v_div_scale_f32 v121, null, v119, v119, v118
	v_div_scale_f32 v129, vcc_lo, v118, v119, v118
	s_delay_alu instid0(VALU_DEP_2) | instskip(SKIP_1) | instid1(TRANS32_DEP_1)
	v_rcp_f32_e32 v127, v121
	v_nop
	v_fma_f32 v128, -v121, v127, 1.0
	s_delay_alu instid0(VALU_DEP_1) | instskip(NEXT) | instid1(VALU_DEP_1)
	v_fmac_f32_e32 v127, v128, v127
	v_mul_f32_e32 v128, v129, v127
	s_delay_alu instid0(VALU_DEP_1) | instskip(NEXT) | instid1(VALU_DEP_1)
	v_fma_f32 v130, -v121, v128, v129
	v_fmac_f32_e32 v128, v130, v127
	s_delay_alu instid0(VALU_DEP_1) | instskip(NEXT) | instid1(VALU_DEP_1)
	v_fma_f32 v121, -v121, v128, v129
	v_div_fmas_f32 v121, v121, v127, v128
	s_delay_alu instid0(VALU_DEP_1) | instskip(NEXT) | instid1(VALU_DEP_1)
	v_div_fixup_f32 v121, v121, v119, v118
	v_fmac_f32_e32 v119, v118, v121
	s_delay_alu instid0(VALU_DEP_1) | instskip(SKIP_1) | instid1(VALU_DEP_2)
	v_div_scale_f32 v118, null, v119, v119, 1.0
	v_div_scale_f32 v129, vcc_lo, 1.0, v119, 1.0
	v_rcp_f32_e32 v127, v118
	v_nop
	s_delay_alu instid0(TRANS32_DEP_1) | instskip(NEXT) | instid1(VALU_DEP_1)
	v_fma_f32 v128, -v118, v127, 1.0
	v_fmac_f32_e32 v127, v128, v127
	s_delay_alu instid0(VALU_DEP_1) | instskip(NEXT) | instid1(VALU_DEP_1)
	v_mul_f32_e32 v128, v129, v127
	v_fma_f32 v130, -v118, v128, v129
	s_delay_alu instid0(VALU_DEP_1) | instskip(NEXT) | instid1(VALU_DEP_1)
	v_fmac_f32_e32 v128, v130, v127
	v_fma_f32 v118, -v118, v128, v129
	s_delay_alu instid0(VALU_DEP_1) | instskip(NEXT) | instid1(VALU_DEP_1)
	v_div_fmas_f32 v118, v118, v127, v128
	v_div_fixup_f32 v119, v118, v119, 1.0
	s_delay_alu instid0(VALU_DEP_1)
	v_mul_f32_e32 v118, v121, v119
	v_xor_b32_e32 v119, 0x80000000, v119
.LBB110_805:
	s_and_not1_saveexec_b32 s1, s1
	s_cbranch_execz .LBB110_807
; %bb.806:
	s_delay_alu instid0(VALU_DEP_1) | instskip(SKIP_1) | instid1(VALU_DEP_2)
	v_div_scale_f32 v121, null, v118, v118, v119
	v_div_scale_f32 v129, vcc_lo, v119, v118, v119
	v_rcp_f32_e32 v127, v121
	v_nop
	s_delay_alu instid0(TRANS32_DEP_1) | instskip(NEXT) | instid1(VALU_DEP_1)
	v_fma_f32 v128, -v121, v127, 1.0
	v_fmac_f32_e32 v127, v128, v127
	s_delay_alu instid0(VALU_DEP_1) | instskip(NEXT) | instid1(VALU_DEP_1)
	v_mul_f32_e32 v128, v129, v127
	v_fma_f32 v130, -v121, v128, v129
	s_delay_alu instid0(VALU_DEP_1) | instskip(NEXT) | instid1(VALU_DEP_1)
	v_fmac_f32_e32 v128, v130, v127
	v_fma_f32 v121, -v121, v128, v129
	s_delay_alu instid0(VALU_DEP_1) | instskip(NEXT) | instid1(VALU_DEP_1)
	v_div_fmas_f32 v121, v121, v127, v128
	v_div_fixup_f32 v121, v121, v118, v119
	s_delay_alu instid0(VALU_DEP_1) | instskip(NEXT) | instid1(VALU_DEP_1)
	v_fmac_f32_e32 v118, v119, v121
	v_div_scale_f32 v119, null, v118, v118, 1.0
	s_delay_alu instid0(VALU_DEP_1) | instskip(SKIP_1) | instid1(TRANS32_DEP_1)
	v_rcp_f32_e32 v127, v119
	v_nop
	v_fma_f32 v128, -v119, v127, 1.0
	s_delay_alu instid0(VALU_DEP_1) | instskip(SKIP_1) | instid1(VALU_DEP_1)
	v_fmac_f32_e32 v127, v128, v127
	v_div_scale_f32 v128, vcc_lo, 1.0, v118, 1.0
	v_mul_f32_e32 v129, v128, v127
	s_delay_alu instid0(VALU_DEP_1) | instskip(NEXT) | instid1(VALU_DEP_1)
	v_fma_f32 v130, -v119, v129, v128
	v_fmac_f32_e32 v129, v130, v127
	s_delay_alu instid0(VALU_DEP_1) | instskip(NEXT) | instid1(VALU_DEP_1)
	v_fma_f32 v119, -v119, v129, v128
	v_div_fmas_f32 v119, v119, v127, v129
	s_delay_alu instid0(VALU_DEP_1) | instskip(NEXT) | instid1(VALU_DEP_1)
	v_div_fixup_f32 v118, v119, v118, 1.0
	v_mul_f32_e64 v119, v121, -v118
.LBB110_807:
	s_or_b32 exec_lo, exec_lo, s1
.LBB110_808:
	s_delay_alu instid0(SALU_CYCLE_1) | instskip(NEXT) | instid1(SALU_CYCLE_1)
	s_or_b32 exec_lo, exec_lo, s0
	s_mov_b32 s0, exec_lo
	v_cmpx_ne_u32_e64 v126, v120
	s_xor_b32 s0, exec_lo, s0
	s_cbranch_execz .LBB110_814
; %bb.809:
	s_mov_b32 s1, exec_lo
	v_cmpx_eq_u32_e32 38, v126
	s_cbranch_execz .LBB110_813
; %bb.810:
	v_cmp_ne_u32_e32 vcc_lo, 38, v120
	s_xor_b32 s12, s16, -1
	s_delay_alu instid0(SALU_CYCLE_1) | instskip(NEXT) | instid1(SALU_CYCLE_1)
	s_and_b32 s13, s12, vcc_lo
	s_and_saveexec_b32 s12, s13
	s_cbranch_execz .LBB110_812
; %bb.811:
	v_ashrrev_i32_e32 v121, 31, v120
	s_delay_alu instid0(VALU_DEP_1)
	v_lshl_add_u64 v[126:127], v[120:121], 2, v[4:5]
	s_clause 0x1
	global_load_b32 v121, v[126:127], off
	global_load_b32 v125, v[4:5], off offset:152
	s_wait_loadcnt 0x1
	global_store_b32 v[4:5], v121, off offset:152
	s_wait_loadcnt 0x0
	global_store_b32 v[126:127], v125, off
.LBB110_812:
	s_wait_xcnt 0x0
	s_or_b32 exec_lo, exec_lo, s12
	v_dual_mov_b32 v126, v120 :: v_dual_mov_b32 v125, v120
.LBB110_813:
	s_or_b32 exec_lo, exec_lo, s1
.LBB110_814:
	s_and_not1_saveexec_b32 s0, s0
	s_cbranch_execz .LBB110_816
; %bb.815:
	v_mov_b32_e32 v126, 38
	ds_store_2addr_b64 v122, v[12:13], v[52:53] offset0:39 offset1:40
	ds_store_2addr_b64 v122, v[48:49], v[50:51] offset0:41 offset1:42
	;; [unrolled: 1-line block ×8, first 2 shown]
	ds_store_b64 v122, v[116:117] offset:440
.LBB110_816:
	s_or_b32 exec_lo, exec_lo, s0
	s_delay_alu instid0(SALU_CYCLE_1)
	s_mov_b32 s0, exec_lo
	s_wait_storecnt_dscnt 0x0
	s_barrier_signal -1
	s_barrier_wait -1
	v_cmpx_lt_i32_e32 38, v126
	s_cbranch_execz .LBB110_818
; %bb.817:
	v_pk_mul_f32 v[128:129], v[118:119], v[56:57] op_sel:[1,1] op_sel_hi:[0,1]
	s_delay_alu instid0(VALU_DEP_1)
	v_pk_fma_f32 v[120:121], v[118:119], v[56:57], v[128:129] op_sel_hi:[1,0,1] neg_lo:[0,0,1] neg_hi:[0,0,1]
	v_pk_fma_f32 v[118:119], v[118:119], v[56:57], v[128:129] op_sel_hi:[1,0,1]
	ds_load_2addr_b64 v[128:131], v122 offset0:39 offset1:40
	v_dual_mov_b32 v56, v120 :: v_dual_mov_b32 v57, v119
	s_wait_dscnt 0x0
	v_pk_mul_f32 v[132:133], v[128:129], v[118:119] op_sel:[0,1]
	s_delay_alu instid0(VALU_DEP_1) | instskip(SKIP_1) | instid1(VALU_DEP_1)
	v_pk_fma_f32 v[134:135], v[128:129], v[120:121], v[132:133] op_sel:[0,0,1] op_sel_hi:[1,1,0] neg_lo:[0,0,1] neg_hi:[0,0,1]
	v_pk_fma_f32 v[128:129], v[128:129], v[120:121], v[132:133] op_sel:[0,0,1] op_sel_hi:[1,0,0]
	v_mov_b32_e32 v135, v129
	v_pk_mul_f32 v[128:129], v[130:131], v[118:119] op_sel:[0,1]
	s_delay_alu instid0(VALU_DEP_1) | instskip(SKIP_1) | instid1(VALU_DEP_1)
	v_pk_fma_f32 v[132:133], v[130:131], v[120:121], v[128:129] op_sel:[0,0,1] op_sel_hi:[1,1,0] neg_lo:[0,0,1] neg_hi:[0,0,1]
	v_pk_fma_f32 v[128:129], v[130:131], v[120:121], v[128:129] op_sel:[0,0,1] op_sel_hi:[1,0,0]
	v_mov_b32_e32 v133, v129
	ds_load_2addr_b64 v[128:131], v122 offset0:41 offset1:42
	v_pk_add_f32 v[12:13], v[12:13], v[134:135] neg_lo:[0,1] neg_hi:[0,1]
	v_pk_add_f32 v[52:53], v[52:53], v[132:133] neg_lo:[0,1] neg_hi:[0,1]
	s_wait_dscnt 0x0
	v_pk_mul_f32 v[132:133], v[128:129], v[118:119] op_sel:[0,1]
	s_delay_alu instid0(VALU_DEP_1) | instskip(SKIP_2) | instid1(VALU_DEP_2)
	v_pk_fma_f32 v[134:135], v[128:129], v[120:121], v[132:133] op_sel:[0,0,1] op_sel_hi:[1,1,0] neg_lo:[0,0,1] neg_hi:[0,0,1]
	v_pk_fma_f32 v[128:129], v[128:129], v[120:121], v[132:133] op_sel:[0,0,1] op_sel_hi:[1,0,0]
	v_dual_mul_f32 v132, v131, v119 :: v_dual_mov_b32 v128, v131
	v_dual_mov_b32 v135, v129 :: v_dual_mov_b32 v129, v130
	s_delay_alu instid0(VALU_DEP_2) | instskip(SKIP_1) | instid1(VALU_DEP_3)
	v_pk_fma_f32 v[132:133], v[130:131], v[56:57], v[132:133] op_sel_hi:[1,1,0] neg_lo:[0,0,1] neg_hi:[0,0,1]
	v_mul_f32_e32 v130, v131, v120
	v_pk_add_f32 v[48:49], v[48:49], v[134:135] neg_lo:[0,1] neg_hi:[0,1]
	s_delay_alu instid0(VALU_DEP_2) | instskip(NEXT) | instid1(VALU_DEP_1)
	v_pk_fma_f32 v[128:129], v[128:129], v[56:57], v[130:131] op_sel_hi:[1,1,0]
	v_mov_b32_e32 v133, v129
	ds_load_2addr_b64 v[128:131], v122 offset0:43 offset1:44
	v_pk_add_f32 v[50:51], v[50:51], v[132:133] neg_lo:[0,1] neg_hi:[0,1]
	s_wait_dscnt 0x0
	v_pk_mul_f32 v[132:133], v[128:129], v[118:119] op_sel:[0,1]
	s_delay_alu instid0(VALU_DEP_1) | instskip(SKIP_1) | instid1(VALU_DEP_1)
	v_pk_fma_f32 v[134:135], v[128:129], v[120:121], v[132:133] op_sel:[0,0,1] op_sel_hi:[1,1,0] neg_lo:[0,0,1] neg_hi:[0,0,1]
	v_pk_fma_f32 v[128:129], v[128:129], v[120:121], v[132:133] op_sel:[0,0,1] op_sel_hi:[1,0,0]
	v_mov_b32_e32 v135, v129
	v_pk_mul_f32 v[128:129], v[130:131], v[118:119] op_sel:[0,1]
	s_delay_alu instid0(VALU_DEP_1) | instskip(SKIP_1) | instid1(VALU_DEP_1)
	v_pk_fma_f32 v[132:133], v[130:131], v[120:121], v[128:129] op_sel:[0,0,1] op_sel_hi:[1,1,0] neg_lo:[0,0,1] neg_hi:[0,0,1]
	v_pk_fma_f32 v[128:129], v[130:131], v[120:121], v[128:129] op_sel:[0,0,1] op_sel_hi:[1,0,0]
	v_mov_b32_e32 v133, v129
	ds_load_2addr_b64 v[128:131], v122 offset0:45 offset1:46
	v_pk_add_f32 v[10:11], v[10:11], v[134:135] neg_lo:[0,1] neg_hi:[0,1]
	v_pk_add_f32 v[46:47], v[46:47], v[132:133] neg_lo:[0,1] neg_hi:[0,1]
	s_wait_dscnt 0x0
	v_pk_mul_f32 v[132:133], v[128:129], v[118:119] op_sel:[0,1]
	s_delay_alu instid0(VALU_DEP_1) | instskip(SKIP_1) | instid1(VALU_DEP_1)
	v_pk_fma_f32 v[134:135], v[128:129], v[120:121], v[132:133] op_sel:[0,0,1] op_sel_hi:[1,1,0] neg_lo:[0,0,1] neg_hi:[0,0,1]
	v_pk_fma_f32 v[128:129], v[128:129], v[120:121], v[132:133] op_sel:[0,0,1] op_sel_hi:[1,0,0]
	v_mov_b32_e32 v135, v129
	v_pk_mul_f32 v[128:129], v[130:131], v[118:119] op_sel:[0,1]
	s_delay_alu instid0(VALU_DEP_1) | instskip(SKIP_1) | instid1(VALU_DEP_1)
	v_pk_fma_f32 v[132:133], v[130:131], v[120:121], v[128:129] op_sel:[0,0,1] op_sel_hi:[1,1,0] neg_lo:[0,0,1] neg_hi:[0,0,1]
	v_pk_fma_f32 v[128:129], v[130:131], v[120:121], v[128:129] op_sel:[0,0,1] op_sel_hi:[1,0,0]
	v_mov_b32_e32 v133, v129
	ds_load_2addr_b64 v[128:131], v122 offset0:47 offset1:48
	v_pk_add_f32 v[42:43], v[42:43], v[134:135] neg_lo:[0,1] neg_hi:[0,1]
	v_pk_add_f32 v[44:45], v[44:45], v[132:133] neg_lo:[0,1] neg_hi:[0,1]
	s_wait_dscnt 0x0
	v_dual_mul_f32 v132, v129, v119 :: v_dual_mul_f32 v134, v129, v120
	s_delay_alu instid0(VALU_DEP_1) | instskip(NEXT) | instid1(VALU_DEP_2)
	v_pk_fma_f32 v[132:133], v[128:129], v[56:57], v[132:133] op_sel_hi:[1,1,0] neg_lo:[0,0,1] neg_hi:[0,0,1]
	v_pk_fma_f32 v[128:129], v[128:129], v[56:57], v[134:135] op_sel:[1,0,0] op_sel_hi:[0,1,0]
	s_delay_alu instid0(VALU_DEP_1) | instskip(SKIP_1) | instid1(VALU_DEP_2)
	v_mov_b32_e32 v133, v129
	v_pk_mul_f32 v[128:129], v[130:131], v[118:119] op_sel:[0,1]
	v_pk_add_f32 v[6:7], v[6:7], v[132:133] neg_lo:[0,1] neg_hi:[0,1]
	s_delay_alu instid0(VALU_DEP_2) | instskip(SKIP_1) | instid1(VALU_DEP_1)
	v_pk_fma_f32 v[132:133], v[130:131], v[120:121], v[128:129] op_sel:[0,0,1] op_sel_hi:[1,1,0] neg_lo:[0,0,1] neg_hi:[0,0,1]
	v_pk_fma_f32 v[128:129], v[130:131], v[120:121], v[128:129] op_sel:[0,0,1] op_sel_hi:[1,0,0]
	v_mov_b32_e32 v133, v129
	ds_load_2addr_b64 v[128:131], v122 offset0:49 offset1:50
	v_pk_add_f32 v[34:35], v[34:35], v[132:133] neg_lo:[0,1] neg_hi:[0,1]
	s_wait_dscnt 0x0
	v_pk_mul_f32 v[132:133], v[128:129], v[118:119] op_sel:[0,1]
	s_delay_alu instid0(VALU_DEP_1) | instskip(SKIP_1) | instid1(VALU_DEP_1)
	v_pk_fma_f32 v[134:135], v[128:129], v[120:121], v[132:133] op_sel:[0,0,1] op_sel_hi:[1,1,0] neg_lo:[0,0,1] neg_hi:[0,0,1]
	v_pk_fma_f32 v[128:129], v[128:129], v[120:121], v[132:133] op_sel:[0,0,1] op_sel_hi:[1,0,0]
	v_mov_b32_e32 v135, v129
	v_pk_mul_f32 v[128:129], v[130:131], v[118:119] op_sel:[0,1]
	s_delay_alu instid0(VALU_DEP_2) | instskip(NEXT) | instid1(VALU_DEP_2)
	v_pk_add_f32 v[28:29], v[28:29], v[134:135] neg_lo:[0,1] neg_hi:[0,1]
	v_pk_fma_f32 v[132:133], v[130:131], v[120:121], v[128:129] op_sel:[0,0,1] op_sel_hi:[1,1,0] neg_lo:[0,0,1] neg_hi:[0,0,1]
	v_pk_fma_f32 v[128:129], v[130:131], v[120:121], v[128:129] op_sel:[0,0,1] op_sel_hi:[1,0,0]
	s_delay_alu instid0(VALU_DEP_1) | instskip(SKIP_4) | instid1(VALU_DEP_1)
	v_mov_b32_e32 v133, v129
	ds_load_2addr_b64 v[128:131], v122 offset0:51 offset1:52
	v_pk_add_f32 v[32:33], v[32:33], v[132:133] neg_lo:[0,1] neg_hi:[0,1]
	s_wait_dscnt 0x0
	v_pk_mul_f32 v[132:133], v[128:129], v[118:119] op_sel:[0,1]
	v_pk_fma_f32 v[134:135], v[128:129], v[120:121], v[132:133] op_sel:[0,0,1] op_sel_hi:[1,1,0] neg_lo:[0,0,1] neg_hi:[0,0,1]
	v_pk_fma_f32 v[128:129], v[128:129], v[120:121], v[132:133] op_sel:[0,0,1] op_sel_hi:[1,0,0]
	v_dual_mul_f32 v132, v131, v119 :: v_dual_mov_b32 v128, v131
	s_delay_alu instid0(VALU_DEP_2) | instskip(NEXT) | instid1(VALU_DEP_2)
	v_dual_mov_b32 v135, v129 :: v_dual_mov_b32 v129, v130
	v_pk_fma_f32 v[132:133], v[130:131], v[56:57], v[132:133] op_sel_hi:[1,1,0] neg_lo:[0,0,1] neg_hi:[0,0,1]
	v_mul_f32_e32 v130, v131, v120
	s_delay_alu instid0(VALU_DEP_3) | instskip(NEXT) | instid1(VALU_DEP_2)
	v_pk_add_f32 v[8:9], v[8:9], v[134:135] neg_lo:[0,1] neg_hi:[0,1]
	v_pk_fma_f32 v[128:129], v[128:129], v[56:57], v[130:131] op_sel_hi:[1,1,0]
	s_delay_alu instid0(VALU_DEP_1) | instskip(SKIP_4) | instid1(VALU_DEP_1)
	v_mov_b32_e32 v133, v129
	ds_load_2addr_b64 v[128:131], v122 offset0:53 offset1:54
	v_pk_add_f32 v[26:27], v[26:27], v[132:133] neg_lo:[0,1] neg_hi:[0,1]
	s_wait_dscnt 0x0
	v_pk_mul_f32 v[132:133], v[128:129], v[118:119] op_sel:[0,1]
	v_pk_fma_f32 v[134:135], v[128:129], v[120:121], v[132:133] op_sel:[0,0,1] op_sel_hi:[1,1,0] neg_lo:[0,0,1] neg_hi:[0,0,1]
	v_pk_fma_f32 v[128:129], v[128:129], v[120:121], v[132:133] op_sel:[0,0,1] op_sel_hi:[1,0,0]
	s_delay_alu instid0(VALU_DEP_1) | instskip(SKIP_1) | instid1(VALU_DEP_1)
	v_mov_b32_e32 v135, v129
	v_pk_mul_f32 v[128:129], v[130:131], v[118:119] op_sel:[0,1]
	v_pk_fma_f32 v[132:133], v[130:131], v[120:121], v[128:129] op_sel:[0,0,1] op_sel_hi:[1,1,0] neg_lo:[0,0,1] neg_hi:[0,0,1]
	v_pk_fma_f32 v[128:129], v[130:131], v[120:121], v[128:129] op_sel:[0,0,1] op_sel_hi:[1,0,0]
	s_delay_alu instid0(VALU_DEP_1)
	v_mov_b32_e32 v133, v129
	ds_load_b64 v[128:129], v122 offset:440
	v_pk_add_f32 v[22:23], v[22:23], v[134:135] neg_lo:[0,1] neg_hi:[0,1]
	v_pk_add_f32 v[20:21], v[20:21], v[132:133] neg_lo:[0,1] neg_hi:[0,1]
	s_wait_dscnt 0x0
	v_pk_mul_f32 v[118:119], v[128:129], v[118:119] op_sel:[0,1]
	s_delay_alu instid0(VALU_DEP_1) | instskip(SKIP_1) | instid1(VALU_DEP_1)
	v_pk_fma_f32 v[130:131], v[128:129], v[120:121], v[118:119] op_sel:[0,0,1] op_sel_hi:[1,1,0] neg_lo:[0,0,1] neg_hi:[0,0,1]
	v_pk_fma_f32 v[118:119], v[128:129], v[120:121], v[118:119] op_sel:[0,0,1] op_sel_hi:[1,0,0]
	v_mov_b32_e32 v131, v119
	s_delay_alu instid0(VALU_DEP_1)
	v_pk_add_f32 v[116:117], v[116:117], v[130:131] neg_lo:[0,1] neg_hi:[0,1]
.LBB110_818:
	s_or_b32 exec_lo, exec_lo, s0
	v_lshl_add_u32 v118, v126, 3, v122
	s_barrier_signal -1
	s_barrier_wait -1
	ds_store_b64 v118, v[12:13]
	s_wait_dscnt 0x0
	s_barrier_signal -1
	s_barrier_wait -1
	ds_load_b64 v[118:119], v122 offset:312
	v_mov_b32_e32 v120, 39
	s_cmp_lt_i32 s18, 41
	s_cbranch_scc1 .LBB110_821
; %bb.819:
	v_add3_u32 v121, v123, 0, 0x140
	v_mov_b32_e32 v120, 39
	s_mov_b32 s0, 40
.LBB110_820:                            ; =>This Inner Loop Header: Depth=1
	ds_load_b64 v[128:129], v121
	s_wait_dscnt 0x1
	v_cmp_gt_f32_e32 vcc_lo, 0, v118
	v_cndmask_b32_e64 v130, v118, -v118, vcc_lo
	v_cmp_gt_f32_e32 vcc_lo, 0, v119
	v_cndmask_b32_e64 v132, v119, -v119, vcc_lo
	s_wait_dscnt 0x0
	v_cmp_gt_f32_e32 vcc_lo, 0, v128
	v_cndmask_b32_e64 v131, v128, -v128, vcc_lo
	v_cmp_gt_f32_e32 vcc_lo, 0, v129
	v_cndmask_b32_e64 v133, v129, -v129, vcc_lo
	s_delay_alu instid0(VALU_DEP_1) | instskip(NEXT) | instid1(VALU_DEP_1)
	v_pk_add_f32 v[130:131], v[130:131], v[132:133]
	v_cmp_lt_f32_e32 vcc_lo, v130, v131
	v_dual_cndmask_b32 v118, v118, v128 :: v_dual_add_nc_u32 v121, 8, v121
	v_cndmask_b32_e32 v119, v119, v129, vcc_lo
	v_cndmask_b32_e64 v120, v120, s0, vcc_lo
	s_add_co_i32 s0, s0, 1
	s_delay_alu instid0(SALU_CYCLE_1)
	s_cmp_lg_u32 s18, s0
	s_cbranch_scc1 .LBB110_820
.LBB110_821:
	s_wait_dscnt 0x0
	v_cmp_eq_f32_e32 vcc_lo, 0, v118
	v_cmp_eq_f32_e64 s0, 0, v119
	s_and_b32 s0, vcc_lo, s0
	s_delay_alu instid0(SALU_CYCLE_1) | instskip(NEXT) | instid1(SALU_CYCLE_1)
	s_and_saveexec_b32 s1, s0
	s_xor_b32 s0, exec_lo, s1
; %bb.822:
	v_cmp_ne_u32_e32 vcc_lo, 0, v124
	v_cndmask_b32_e32 v124, 40, v124, vcc_lo
; %bb.823:
	s_and_not1_saveexec_b32 s0, s0
	s_cbranch_execz .LBB110_829
; %bb.824:
	v_cmp_ngt_f32_e64 s1, |v118|, |v119|
	s_and_saveexec_b32 s12, s1
	s_delay_alu instid0(SALU_CYCLE_1)
	s_xor_b32 s1, exec_lo, s12
	s_cbranch_execz .LBB110_826
; %bb.825:
	v_div_scale_f32 v121, null, v119, v119, v118
	v_div_scale_f32 v129, vcc_lo, v118, v119, v118
	s_delay_alu instid0(VALU_DEP_2) | instskip(SKIP_1) | instid1(TRANS32_DEP_1)
	v_rcp_f32_e32 v127, v121
	v_nop
	v_fma_f32 v128, -v121, v127, 1.0
	s_delay_alu instid0(VALU_DEP_1) | instskip(NEXT) | instid1(VALU_DEP_1)
	v_fmac_f32_e32 v127, v128, v127
	v_mul_f32_e32 v128, v129, v127
	s_delay_alu instid0(VALU_DEP_1) | instskip(NEXT) | instid1(VALU_DEP_1)
	v_fma_f32 v130, -v121, v128, v129
	v_fmac_f32_e32 v128, v130, v127
	s_delay_alu instid0(VALU_DEP_1) | instskip(NEXT) | instid1(VALU_DEP_1)
	v_fma_f32 v121, -v121, v128, v129
	v_div_fmas_f32 v121, v121, v127, v128
	s_delay_alu instid0(VALU_DEP_1) | instskip(NEXT) | instid1(VALU_DEP_1)
	v_div_fixup_f32 v121, v121, v119, v118
	v_fmac_f32_e32 v119, v118, v121
	s_delay_alu instid0(VALU_DEP_1) | instskip(SKIP_1) | instid1(VALU_DEP_2)
	v_div_scale_f32 v118, null, v119, v119, 1.0
	v_div_scale_f32 v129, vcc_lo, 1.0, v119, 1.0
	v_rcp_f32_e32 v127, v118
	v_nop
	s_delay_alu instid0(TRANS32_DEP_1) | instskip(NEXT) | instid1(VALU_DEP_1)
	v_fma_f32 v128, -v118, v127, 1.0
	v_fmac_f32_e32 v127, v128, v127
	s_delay_alu instid0(VALU_DEP_1) | instskip(NEXT) | instid1(VALU_DEP_1)
	v_mul_f32_e32 v128, v129, v127
	v_fma_f32 v130, -v118, v128, v129
	s_delay_alu instid0(VALU_DEP_1) | instskip(NEXT) | instid1(VALU_DEP_1)
	v_fmac_f32_e32 v128, v130, v127
	v_fma_f32 v118, -v118, v128, v129
	s_delay_alu instid0(VALU_DEP_1) | instskip(NEXT) | instid1(VALU_DEP_1)
	v_div_fmas_f32 v118, v118, v127, v128
	v_div_fixup_f32 v119, v118, v119, 1.0
	s_delay_alu instid0(VALU_DEP_1)
	v_mul_f32_e32 v118, v121, v119
	v_xor_b32_e32 v119, 0x80000000, v119
.LBB110_826:
	s_and_not1_saveexec_b32 s1, s1
	s_cbranch_execz .LBB110_828
; %bb.827:
	s_delay_alu instid0(VALU_DEP_1) | instskip(SKIP_1) | instid1(VALU_DEP_2)
	v_div_scale_f32 v121, null, v118, v118, v119
	v_div_scale_f32 v129, vcc_lo, v119, v118, v119
	v_rcp_f32_e32 v127, v121
	v_nop
	s_delay_alu instid0(TRANS32_DEP_1) | instskip(NEXT) | instid1(VALU_DEP_1)
	v_fma_f32 v128, -v121, v127, 1.0
	v_fmac_f32_e32 v127, v128, v127
	s_delay_alu instid0(VALU_DEP_1) | instskip(NEXT) | instid1(VALU_DEP_1)
	v_mul_f32_e32 v128, v129, v127
	v_fma_f32 v130, -v121, v128, v129
	s_delay_alu instid0(VALU_DEP_1) | instskip(NEXT) | instid1(VALU_DEP_1)
	v_fmac_f32_e32 v128, v130, v127
	v_fma_f32 v121, -v121, v128, v129
	s_delay_alu instid0(VALU_DEP_1) | instskip(NEXT) | instid1(VALU_DEP_1)
	v_div_fmas_f32 v121, v121, v127, v128
	v_div_fixup_f32 v121, v121, v118, v119
	s_delay_alu instid0(VALU_DEP_1) | instskip(NEXT) | instid1(VALU_DEP_1)
	v_fmac_f32_e32 v118, v119, v121
	v_div_scale_f32 v119, null, v118, v118, 1.0
	s_delay_alu instid0(VALU_DEP_1) | instskip(SKIP_1) | instid1(TRANS32_DEP_1)
	v_rcp_f32_e32 v127, v119
	v_nop
	v_fma_f32 v128, -v119, v127, 1.0
	s_delay_alu instid0(VALU_DEP_1) | instskip(SKIP_1) | instid1(VALU_DEP_1)
	v_fmac_f32_e32 v127, v128, v127
	v_div_scale_f32 v128, vcc_lo, 1.0, v118, 1.0
	v_mul_f32_e32 v129, v128, v127
	s_delay_alu instid0(VALU_DEP_1) | instskip(NEXT) | instid1(VALU_DEP_1)
	v_fma_f32 v130, -v119, v129, v128
	v_fmac_f32_e32 v129, v130, v127
	s_delay_alu instid0(VALU_DEP_1) | instskip(NEXT) | instid1(VALU_DEP_1)
	v_fma_f32 v119, -v119, v129, v128
	v_div_fmas_f32 v119, v119, v127, v129
	s_delay_alu instid0(VALU_DEP_1) | instskip(NEXT) | instid1(VALU_DEP_1)
	v_div_fixup_f32 v118, v119, v118, 1.0
	v_mul_f32_e64 v119, v121, -v118
.LBB110_828:
	s_or_b32 exec_lo, exec_lo, s1
.LBB110_829:
	s_delay_alu instid0(SALU_CYCLE_1) | instskip(NEXT) | instid1(SALU_CYCLE_1)
	s_or_b32 exec_lo, exec_lo, s0
	s_mov_b32 s0, exec_lo
	v_cmpx_ne_u32_e64 v126, v120
	s_xor_b32 s0, exec_lo, s0
	s_cbranch_execz .LBB110_835
; %bb.830:
	s_mov_b32 s1, exec_lo
	v_cmpx_eq_u32_e32 39, v126
	s_cbranch_execz .LBB110_834
; %bb.831:
	v_cmp_ne_u32_e32 vcc_lo, 39, v120
	s_xor_b32 s12, s16, -1
	s_delay_alu instid0(SALU_CYCLE_1) | instskip(NEXT) | instid1(SALU_CYCLE_1)
	s_and_b32 s13, s12, vcc_lo
	s_and_saveexec_b32 s12, s13
	s_cbranch_execz .LBB110_833
; %bb.832:
	v_ashrrev_i32_e32 v121, 31, v120
	s_delay_alu instid0(VALU_DEP_1)
	v_lshl_add_u64 v[126:127], v[120:121], 2, v[4:5]
	s_clause 0x1
	global_load_b32 v121, v[126:127], off
	global_load_b32 v125, v[4:5], off offset:156
	s_wait_loadcnt 0x1
	global_store_b32 v[4:5], v121, off offset:156
	s_wait_loadcnt 0x0
	global_store_b32 v[126:127], v125, off
.LBB110_833:
	s_wait_xcnt 0x0
	s_or_b32 exec_lo, exec_lo, s12
	v_dual_mov_b32 v126, v120 :: v_dual_mov_b32 v125, v120
.LBB110_834:
	s_or_b32 exec_lo, exec_lo, s1
.LBB110_835:
	s_and_not1_saveexec_b32 s0, s0
	s_cbranch_execz .LBB110_837
; %bb.836:
	v_dual_mov_b32 v120, v52 :: v_dual_mov_b32 v121, v53
	v_dual_mov_b32 v126, v48 :: v_dual_mov_b32 v127, v49
	;; [unrolled: 1-line block ×8, first 2 shown]
	ds_store_2addr_b64 v122, v[120:121], v[126:127] offset0:40 offset1:41
	ds_store_2addr_b64 v122, v[128:129], v[130:131] offset0:42 offset1:43
	;; [unrolled: 1-line block ×4, first 2 shown]
	v_dual_mov_b32 v120, v34 :: v_dual_mov_b32 v121, v35
	v_dual_mov_b32 v128, v28 :: v_dual_mov_b32 v129, v29
	;; [unrolled: 1-line block ×7, first 2 shown]
	v_mov_b32_e32 v139, v21
	ds_store_2addr_b64 v122, v[120:121], v[128:129] offset0:48 offset1:49
	ds_store_2addr_b64 v122, v[130:131], v[132:133] offset0:50 offset1:51
	;; [unrolled: 1-line block ×4, first 2 shown]
.LBB110_837:
	s_or_b32 exec_lo, exec_lo, s0
	s_delay_alu instid0(SALU_CYCLE_1)
	s_mov_b32 s0, exec_lo
	s_wait_storecnt_dscnt 0x0
	s_barrier_signal -1
	s_barrier_wait -1
	v_cmpx_lt_i32_e32 39, v126
	s_cbranch_execz .LBB110_839
; %bb.838:
	v_pk_mul_f32 v[128:129], v[118:119], v[12:13] op_sel:[1,1] op_sel_hi:[0,1]
	s_delay_alu instid0(VALU_DEP_1)
	v_pk_fma_f32 v[120:121], v[118:119], v[12:13], v[128:129] op_sel_hi:[1,0,1] neg_lo:[0,0,1] neg_hi:[0,0,1]
	v_pk_fma_f32 v[118:119], v[118:119], v[12:13], v[128:129] op_sel_hi:[1,0,1]
	ds_load_2addr_b64 v[128:131], v122 offset0:40 offset1:41
	v_dual_mov_b32 v12, v120 :: v_dual_mov_b32 v13, v119
	s_wait_dscnt 0x0
	v_pk_mul_f32 v[132:133], v[128:129], v[118:119] op_sel:[0,1]
	s_delay_alu instid0(VALU_DEP_1) | instskip(SKIP_1) | instid1(VALU_DEP_1)
	v_pk_fma_f32 v[134:135], v[128:129], v[120:121], v[132:133] op_sel:[0,0,1] op_sel_hi:[1,1,0] neg_lo:[0,0,1] neg_hi:[0,0,1]
	v_pk_fma_f32 v[128:129], v[128:129], v[120:121], v[132:133] op_sel:[0,0,1] op_sel_hi:[1,0,0]
	v_mov_b32_e32 v135, v129
	v_pk_mul_f32 v[128:129], v[130:131], v[118:119] op_sel:[0,1]
	s_delay_alu instid0(VALU_DEP_1) | instskip(SKIP_1) | instid1(VALU_DEP_1)
	v_pk_fma_f32 v[132:133], v[130:131], v[120:121], v[128:129] op_sel:[0,0,1] op_sel_hi:[1,1,0] neg_lo:[0,0,1] neg_hi:[0,0,1]
	v_pk_fma_f32 v[128:129], v[130:131], v[120:121], v[128:129] op_sel:[0,0,1] op_sel_hi:[1,0,0]
	v_mov_b32_e32 v133, v129
	ds_load_2addr_b64 v[128:131], v122 offset0:42 offset1:43
	v_pk_add_f32 v[52:53], v[52:53], v[134:135] neg_lo:[0,1] neg_hi:[0,1]
	v_pk_add_f32 v[48:49], v[48:49], v[132:133] neg_lo:[0,1] neg_hi:[0,1]
	s_wait_dscnt 0x0
	v_pk_mul_f32 v[132:133], v[128:129], v[118:119] op_sel:[0,1]
	s_delay_alu instid0(VALU_DEP_1) | instskip(SKIP_2) | instid1(VALU_DEP_2)
	v_pk_fma_f32 v[134:135], v[128:129], v[120:121], v[132:133] op_sel:[0,0,1] op_sel_hi:[1,1,0] neg_lo:[0,0,1] neg_hi:[0,0,1]
	v_pk_fma_f32 v[128:129], v[128:129], v[120:121], v[132:133] op_sel:[0,0,1] op_sel_hi:[1,0,0]
	v_dual_mul_f32 v132, v131, v119 :: v_dual_mov_b32 v128, v131
	v_dual_mov_b32 v135, v129 :: v_dual_mov_b32 v129, v130
	s_delay_alu instid0(VALU_DEP_2) | instskip(SKIP_1) | instid1(VALU_DEP_3)
	v_pk_fma_f32 v[132:133], v[130:131], v[12:13], v[132:133] op_sel_hi:[1,1,0] neg_lo:[0,0,1] neg_hi:[0,0,1]
	v_mul_f32_e32 v130, v131, v120
	v_pk_add_f32 v[50:51], v[50:51], v[134:135] neg_lo:[0,1] neg_hi:[0,1]
	s_delay_alu instid0(VALU_DEP_2) | instskip(NEXT) | instid1(VALU_DEP_1)
	v_pk_fma_f32 v[128:129], v[128:129], v[12:13], v[130:131] op_sel_hi:[1,1,0]
	v_mov_b32_e32 v133, v129
	ds_load_2addr_b64 v[128:131], v122 offset0:44 offset1:45
	v_pk_add_f32 v[10:11], v[10:11], v[132:133] neg_lo:[0,1] neg_hi:[0,1]
	s_wait_dscnt 0x0
	v_pk_mul_f32 v[132:133], v[128:129], v[118:119] op_sel:[0,1]
	s_delay_alu instid0(VALU_DEP_1) | instskip(SKIP_1) | instid1(VALU_DEP_1)
	v_pk_fma_f32 v[134:135], v[128:129], v[120:121], v[132:133] op_sel:[0,0,1] op_sel_hi:[1,1,0] neg_lo:[0,0,1] neg_hi:[0,0,1]
	v_pk_fma_f32 v[128:129], v[128:129], v[120:121], v[132:133] op_sel:[0,0,1] op_sel_hi:[1,0,0]
	v_mov_b32_e32 v135, v129
	v_pk_mul_f32 v[128:129], v[130:131], v[118:119] op_sel:[0,1]
	s_delay_alu instid0(VALU_DEP_1) | instskip(SKIP_1) | instid1(VALU_DEP_1)
	v_pk_fma_f32 v[132:133], v[130:131], v[120:121], v[128:129] op_sel:[0,0,1] op_sel_hi:[1,1,0] neg_lo:[0,0,1] neg_hi:[0,0,1]
	v_pk_fma_f32 v[128:129], v[130:131], v[120:121], v[128:129] op_sel:[0,0,1] op_sel_hi:[1,0,0]
	v_mov_b32_e32 v133, v129
	ds_load_2addr_b64 v[128:131], v122 offset0:46 offset1:47
	v_pk_add_f32 v[46:47], v[46:47], v[134:135] neg_lo:[0,1] neg_hi:[0,1]
	v_pk_add_f32 v[42:43], v[42:43], v[132:133] neg_lo:[0,1] neg_hi:[0,1]
	s_wait_dscnt 0x0
	v_pk_mul_f32 v[132:133], v[128:129], v[118:119] op_sel:[0,1]
	s_delay_alu instid0(VALU_DEP_1) | instskip(SKIP_1) | instid1(VALU_DEP_1)
	v_pk_fma_f32 v[134:135], v[128:129], v[120:121], v[132:133] op_sel:[0,0,1] op_sel_hi:[1,1,0] neg_lo:[0,0,1] neg_hi:[0,0,1]
	v_pk_fma_f32 v[128:129], v[128:129], v[120:121], v[132:133] op_sel:[0,0,1] op_sel_hi:[1,0,0]
	v_mov_b32_e32 v135, v129
	v_pk_mul_f32 v[128:129], v[130:131], v[118:119] op_sel:[0,1]
	s_delay_alu instid0(VALU_DEP_1) | instskip(SKIP_1) | instid1(VALU_DEP_1)
	v_pk_fma_f32 v[132:133], v[130:131], v[120:121], v[128:129] op_sel:[0,0,1] op_sel_hi:[1,1,0] neg_lo:[0,0,1] neg_hi:[0,0,1]
	v_pk_fma_f32 v[128:129], v[130:131], v[120:121], v[128:129] op_sel:[0,0,1] op_sel_hi:[1,0,0]
	v_mov_b32_e32 v133, v129
	ds_load_2addr_b64 v[128:131], v122 offset0:48 offset1:49
	v_pk_add_f32 v[44:45], v[44:45], v[134:135] neg_lo:[0,1] neg_hi:[0,1]
	v_pk_add_f32 v[6:7], v[6:7], v[132:133] neg_lo:[0,1] neg_hi:[0,1]
	s_wait_dscnt 0x0
	v_dual_mul_f32 v132, v129, v119 :: v_dual_mul_f32 v134, v129, v120
	s_delay_alu instid0(VALU_DEP_1) | instskip(NEXT) | instid1(VALU_DEP_2)
	v_pk_fma_f32 v[132:133], v[128:129], v[12:13], v[132:133] op_sel_hi:[1,1,0] neg_lo:[0,0,1] neg_hi:[0,0,1]
	v_pk_fma_f32 v[128:129], v[128:129], v[12:13], v[134:135] op_sel:[1,0,0] op_sel_hi:[0,1,0]
	s_delay_alu instid0(VALU_DEP_1) | instskip(SKIP_1) | instid1(VALU_DEP_2)
	v_mov_b32_e32 v133, v129
	v_pk_mul_f32 v[128:129], v[130:131], v[118:119] op_sel:[0,1]
	v_pk_add_f32 v[34:35], v[34:35], v[132:133] neg_lo:[0,1] neg_hi:[0,1]
	s_delay_alu instid0(VALU_DEP_2) | instskip(SKIP_1) | instid1(VALU_DEP_1)
	v_pk_fma_f32 v[132:133], v[130:131], v[120:121], v[128:129] op_sel:[0,0,1] op_sel_hi:[1,1,0] neg_lo:[0,0,1] neg_hi:[0,0,1]
	v_pk_fma_f32 v[128:129], v[130:131], v[120:121], v[128:129] op_sel:[0,0,1] op_sel_hi:[1,0,0]
	v_mov_b32_e32 v133, v129
	ds_load_2addr_b64 v[128:131], v122 offset0:50 offset1:51
	v_pk_add_f32 v[28:29], v[28:29], v[132:133] neg_lo:[0,1] neg_hi:[0,1]
	s_wait_dscnt 0x0
	v_pk_mul_f32 v[132:133], v[128:129], v[118:119] op_sel:[0,1]
	s_delay_alu instid0(VALU_DEP_1) | instskip(SKIP_1) | instid1(VALU_DEP_1)
	v_pk_fma_f32 v[134:135], v[128:129], v[120:121], v[132:133] op_sel:[0,0,1] op_sel_hi:[1,1,0] neg_lo:[0,0,1] neg_hi:[0,0,1]
	v_pk_fma_f32 v[128:129], v[128:129], v[120:121], v[132:133] op_sel:[0,0,1] op_sel_hi:[1,0,0]
	v_mov_b32_e32 v135, v129
	v_pk_mul_f32 v[128:129], v[130:131], v[118:119] op_sel:[0,1]
	s_delay_alu instid0(VALU_DEP_2) | instskip(NEXT) | instid1(VALU_DEP_2)
	v_pk_add_f32 v[32:33], v[32:33], v[134:135] neg_lo:[0,1] neg_hi:[0,1]
	v_pk_fma_f32 v[132:133], v[130:131], v[120:121], v[128:129] op_sel:[0,0,1] op_sel_hi:[1,1,0] neg_lo:[0,0,1] neg_hi:[0,0,1]
	v_pk_fma_f32 v[128:129], v[130:131], v[120:121], v[128:129] op_sel:[0,0,1] op_sel_hi:[1,0,0]
	s_delay_alu instid0(VALU_DEP_1) | instskip(SKIP_4) | instid1(VALU_DEP_1)
	v_mov_b32_e32 v133, v129
	ds_load_2addr_b64 v[128:131], v122 offset0:52 offset1:53
	v_pk_add_f32 v[8:9], v[8:9], v[132:133] neg_lo:[0,1] neg_hi:[0,1]
	s_wait_dscnt 0x0
	v_pk_mul_f32 v[132:133], v[128:129], v[118:119] op_sel:[0,1]
	v_pk_fma_f32 v[134:135], v[128:129], v[120:121], v[132:133] op_sel:[0,0,1] op_sel_hi:[1,1,0] neg_lo:[0,0,1] neg_hi:[0,0,1]
	v_pk_fma_f32 v[128:129], v[128:129], v[120:121], v[132:133] op_sel:[0,0,1] op_sel_hi:[1,0,0]
	v_dual_mul_f32 v132, v131, v119 :: v_dual_mov_b32 v128, v131
	s_delay_alu instid0(VALU_DEP_2) | instskip(NEXT) | instid1(VALU_DEP_2)
	v_dual_mov_b32 v135, v129 :: v_dual_mov_b32 v129, v130
	v_pk_fma_f32 v[132:133], v[130:131], v[12:13], v[132:133] op_sel_hi:[1,1,0] neg_lo:[0,0,1] neg_hi:[0,0,1]
	v_mul_f32_e32 v130, v131, v120
	s_delay_alu instid0(VALU_DEP_3) | instskip(NEXT) | instid1(VALU_DEP_2)
	v_pk_add_f32 v[26:27], v[26:27], v[134:135] neg_lo:[0,1] neg_hi:[0,1]
	v_pk_fma_f32 v[128:129], v[128:129], v[12:13], v[130:131] op_sel_hi:[1,1,0]
	s_delay_alu instid0(VALU_DEP_1)
	v_mov_b32_e32 v133, v129
	ds_load_2addr_b64 v[128:131], v122 offset0:54 offset1:55
	v_pk_add_f32 v[22:23], v[22:23], v[132:133] neg_lo:[0,1] neg_hi:[0,1]
	s_wait_dscnt 0x0
	v_pk_mul_f32 v[132:133], v[128:129], v[118:119] op_sel:[0,1]
	v_pk_mul_f32 v[118:119], v[130:131], v[118:119] op_sel:[0,1]
	s_delay_alu instid0(VALU_DEP_2) | instskip(SKIP_1) | instid1(VALU_DEP_1)
	v_pk_fma_f32 v[134:135], v[128:129], v[120:121], v[132:133] op_sel:[0,0,1] op_sel_hi:[1,1,0] neg_lo:[0,0,1] neg_hi:[0,0,1]
	v_pk_fma_f32 v[128:129], v[128:129], v[120:121], v[132:133] op_sel:[0,0,1] op_sel_hi:[1,0,0]
	v_mov_b32_e32 v135, v129
	s_delay_alu instid0(VALU_DEP_4) | instskip(SKIP_1) | instid1(VALU_DEP_1)
	v_pk_fma_f32 v[128:129], v[130:131], v[120:121], v[118:119] op_sel:[0,0,1] op_sel_hi:[1,1,0] neg_lo:[0,0,1] neg_hi:[0,0,1]
	v_pk_fma_f32 v[118:119], v[130:131], v[120:121], v[118:119] op_sel:[0,0,1] op_sel_hi:[1,0,0]
	v_mov_b32_e32 v129, v119
	s_delay_alu instid0(VALU_DEP_4) | instskip(NEXT) | instid1(VALU_DEP_2)
	v_pk_add_f32 v[20:21], v[20:21], v[134:135] neg_lo:[0,1] neg_hi:[0,1]
	v_pk_add_f32 v[116:117], v[116:117], v[128:129] neg_lo:[0,1] neg_hi:[0,1]
.LBB110_839:
	s_or_b32 exec_lo, exec_lo, s0
	v_lshl_add_u32 v118, v126, 3, v122
	s_barrier_signal -1
	s_barrier_wait -1
	ds_store_b64 v118, v[52:53]
	s_wait_dscnt 0x0
	s_barrier_signal -1
	s_barrier_wait -1
	ds_load_b64 v[118:119], v122 offset:320
	v_mov_b32_e32 v120, 40
	s_cmp_lt_i32 s18, 42
	s_cbranch_scc1 .LBB110_842
; %bb.840:
	v_add3_u32 v121, v123, 0, 0x148
	v_mov_b32_e32 v120, 40
	s_mov_b32 s0, 41
.LBB110_841:                            ; =>This Inner Loop Header: Depth=1
	ds_load_b64 v[128:129], v121
	s_wait_dscnt 0x1
	v_cmp_gt_f32_e32 vcc_lo, 0, v118
	v_cndmask_b32_e64 v130, v118, -v118, vcc_lo
	v_cmp_gt_f32_e32 vcc_lo, 0, v119
	v_cndmask_b32_e64 v132, v119, -v119, vcc_lo
	s_wait_dscnt 0x0
	v_cmp_gt_f32_e32 vcc_lo, 0, v128
	v_cndmask_b32_e64 v131, v128, -v128, vcc_lo
	v_cmp_gt_f32_e32 vcc_lo, 0, v129
	v_cndmask_b32_e64 v133, v129, -v129, vcc_lo
	s_delay_alu instid0(VALU_DEP_1) | instskip(NEXT) | instid1(VALU_DEP_1)
	v_pk_add_f32 v[130:131], v[130:131], v[132:133]
	v_cmp_lt_f32_e32 vcc_lo, v130, v131
	v_dual_cndmask_b32 v118, v118, v128 :: v_dual_add_nc_u32 v121, 8, v121
	v_cndmask_b32_e32 v119, v119, v129, vcc_lo
	v_cndmask_b32_e64 v120, v120, s0, vcc_lo
	s_add_co_i32 s0, s0, 1
	s_delay_alu instid0(SALU_CYCLE_1)
	s_cmp_lg_u32 s18, s0
	s_cbranch_scc1 .LBB110_841
.LBB110_842:
	s_wait_dscnt 0x0
	v_cmp_eq_f32_e32 vcc_lo, 0, v118
	v_cmp_eq_f32_e64 s0, 0, v119
	s_and_b32 s0, vcc_lo, s0
	s_delay_alu instid0(SALU_CYCLE_1) | instskip(NEXT) | instid1(SALU_CYCLE_1)
	s_and_saveexec_b32 s1, s0
	s_xor_b32 s0, exec_lo, s1
; %bb.843:
	v_cmp_ne_u32_e32 vcc_lo, 0, v124
	v_cndmask_b32_e32 v124, 41, v124, vcc_lo
; %bb.844:
	s_and_not1_saveexec_b32 s0, s0
	s_cbranch_execz .LBB110_850
; %bb.845:
	v_cmp_ngt_f32_e64 s1, |v118|, |v119|
	s_and_saveexec_b32 s12, s1
	s_delay_alu instid0(SALU_CYCLE_1)
	s_xor_b32 s1, exec_lo, s12
	s_cbranch_execz .LBB110_847
; %bb.846:
	v_div_scale_f32 v121, null, v119, v119, v118
	v_div_scale_f32 v129, vcc_lo, v118, v119, v118
	s_delay_alu instid0(VALU_DEP_2) | instskip(SKIP_1) | instid1(TRANS32_DEP_1)
	v_rcp_f32_e32 v127, v121
	v_nop
	v_fma_f32 v128, -v121, v127, 1.0
	s_delay_alu instid0(VALU_DEP_1) | instskip(NEXT) | instid1(VALU_DEP_1)
	v_fmac_f32_e32 v127, v128, v127
	v_mul_f32_e32 v128, v129, v127
	s_delay_alu instid0(VALU_DEP_1) | instskip(NEXT) | instid1(VALU_DEP_1)
	v_fma_f32 v130, -v121, v128, v129
	v_fmac_f32_e32 v128, v130, v127
	s_delay_alu instid0(VALU_DEP_1) | instskip(NEXT) | instid1(VALU_DEP_1)
	v_fma_f32 v121, -v121, v128, v129
	v_div_fmas_f32 v121, v121, v127, v128
	s_delay_alu instid0(VALU_DEP_1) | instskip(NEXT) | instid1(VALU_DEP_1)
	v_div_fixup_f32 v121, v121, v119, v118
	v_fmac_f32_e32 v119, v118, v121
	s_delay_alu instid0(VALU_DEP_1) | instskip(SKIP_1) | instid1(VALU_DEP_2)
	v_div_scale_f32 v118, null, v119, v119, 1.0
	v_div_scale_f32 v129, vcc_lo, 1.0, v119, 1.0
	v_rcp_f32_e32 v127, v118
	v_nop
	s_delay_alu instid0(TRANS32_DEP_1) | instskip(NEXT) | instid1(VALU_DEP_1)
	v_fma_f32 v128, -v118, v127, 1.0
	v_fmac_f32_e32 v127, v128, v127
	s_delay_alu instid0(VALU_DEP_1) | instskip(NEXT) | instid1(VALU_DEP_1)
	v_mul_f32_e32 v128, v129, v127
	v_fma_f32 v130, -v118, v128, v129
	s_delay_alu instid0(VALU_DEP_1) | instskip(NEXT) | instid1(VALU_DEP_1)
	v_fmac_f32_e32 v128, v130, v127
	v_fma_f32 v118, -v118, v128, v129
	s_delay_alu instid0(VALU_DEP_1) | instskip(NEXT) | instid1(VALU_DEP_1)
	v_div_fmas_f32 v118, v118, v127, v128
	v_div_fixup_f32 v119, v118, v119, 1.0
	s_delay_alu instid0(VALU_DEP_1)
	v_mul_f32_e32 v118, v121, v119
	v_xor_b32_e32 v119, 0x80000000, v119
.LBB110_847:
	s_and_not1_saveexec_b32 s1, s1
	s_cbranch_execz .LBB110_849
; %bb.848:
	s_delay_alu instid0(VALU_DEP_1) | instskip(SKIP_1) | instid1(VALU_DEP_2)
	v_div_scale_f32 v121, null, v118, v118, v119
	v_div_scale_f32 v129, vcc_lo, v119, v118, v119
	v_rcp_f32_e32 v127, v121
	v_nop
	s_delay_alu instid0(TRANS32_DEP_1) | instskip(NEXT) | instid1(VALU_DEP_1)
	v_fma_f32 v128, -v121, v127, 1.0
	v_fmac_f32_e32 v127, v128, v127
	s_delay_alu instid0(VALU_DEP_1) | instskip(NEXT) | instid1(VALU_DEP_1)
	v_mul_f32_e32 v128, v129, v127
	v_fma_f32 v130, -v121, v128, v129
	s_delay_alu instid0(VALU_DEP_1) | instskip(NEXT) | instid1(VALU_DEP_1)
	v_fmac_f32_e32 v128, v130, v127
	v_fma_f32 v121, -v121, v128, v129
	s_delay_alu instid0(VALU_DEP_1) | instskip(NEXT) | instid1(VALU_DEP_1)
	v_div_fmas_f32 v121, v121, v127, v128
	v_div_fixup_f32 v121, v121, v118, v119
	s_delay_alu instid0(VALU_DEP_1) | instskip(NEXT) | instid1(VALU_DEP_1)
	v_fmac_f32_e32 v118, v119, v121
	v_div_scale_f32 v119, null, v118, v118, 1.0
	s_delay_alu instid0(VALU_DEP_1) | instskip(SKIP_1) | instid1(TRANS32_DEP_1)
	v_rcp_f32_e32 v127, v119
	v_nop
	v_fma_f32 v128, -v119, v127, 1.0
	s_delay_alu instid0(VALU_DEP_1) | instskip(SKIP_1) | instid1(VALU_DEP_1)
	v_fmac_f32_e32 v127, v128, v127
	v_div_scale_f32 v128, vcc_lo, 1.0, v118, 1.0
	v_mul_f32_e32 v129, v128, v127
	s_delay_alu instid0(VALU_DEP_1) | instskip(NEXT) | instid1(VALU_DEP_1)
	v_fma_f32 v130, -v119, v129, v128
	v_fmac_f32_e32 v129, v130, v127
	s_delay_alu instid0(VALU_DEP_1) | instskip(NEXT) | instid1(VALU_DEP_1)
	v_fma_f32 v119, -v119, v129, v128
	v_div_fmas_f32 v119, v119, v127, v129
	s_delay_alu instid0(VALU_DEP_1) | instskip(NEXT) | instid1(VALU_DEP_1)
	v_div_fixup_f32 v118, v119, v118, 1.0
	v_mul_f32_e64 v119, v121, -v118
.LBB110_849:
	s_or_b32 exec_lo, exec_lo, s1
.LBB110_850:
	s_delay_alu instid0(SALU_CYCLE_1) | instskip(NEXT) | instid1(SALU_CYCLE_1)
	s_or_b32 exec_lo, exec_lo, s0
	s_mov_b32 s0, exec_lo
	v_cmpx_ne_u32_e64 v126, v120
	s_xor_b32 s0, exec_lo, s0
	s_cbranch_execz .LBB110_856
; %bb.851:
	s_mov_b32 s1, exec_lo
	v_cmpx_eq_u32_e32 40, v126
	s_cbranch_execz .LBB110_855
; %bb.852:
	v_cmp_ne_u32_e32 vcc_lo, 40, v120
	s_xor_b32 s12, s16, -1
	s_delay_alu instid0(SALU_CYCLE_1) | instskip(NEXT) | instid1(SALU_CYCLE_1)
	s_and_b32 s13, s12, vcc_lo
	s_and_saveexec_b32 s12, s13
	s_cbranch_execz .LBB110_854
; %bb.853:
	v_ashrrev_i32_e32 v121, 31, v120
	s_delay_alu instid0(VALU_DEP_1)
	v_lshl_add_u64 v[126:127], v[120:121], 2, v[4:5]
	s_clause 0x1
	global_load_b32 v121, v[126:127], off
	global_load_b32 v125, v[4:5], off offset:160
	s_wait_loadcnt 0x1
	global_store_b32 v[4:5], v121, off offset:160
	s_wait_loadcnt 0x0
	global_store_b32 v[126:127], v125, off
.LBB110_854:
	s_wait_xcnt 0x0
	s_or_b32 exec_lo, exec_lo, s12
	v_dual_mov_b32 v126, v120 :: v_dual_mov_b32 v125, v120
.LBB110_855:
	s_or_b32 exec_lo, exec_lo, s1
.LBB110_856:
	s_and_not1_saveexec_b32 s0, s0
	s_cbranch_execz .LBB110_858
; %bb.857:
	v_mov_b32_e32 v126, 40
	ds_store_2addr_b64 v122, v[48:49], v[50:51] offset0:41 offset1:42
	ds_store_2addr_b64 v122, v[10:11], v[46:47] offset0:43 offset1:44
	;; [unrolled: 1-line block ×7, first 2 shown]
	ds_store_b64 v122, v[116:117] offset:440
.LBB110_858:
	s_or_b32 exec_lo, exec_lo, s0
	s_delay_alu instid0(SALU_CYCLE_1)
	s_mov_b32 s0, exec_lo
	s_wait_storecnt_dscnt 0x0
	s_barrier_signal -1
	s_barrier_wait -1
	v_cmpx_lt_i32_e32 40, v126
	s_cbranch_execz .LBB110_860
; %bb.859:
	v_pk_mul_f32 v[128:129], v[118:119], v[52:53] op_sel:[1,1] op_sel_hi:[0,1]
	s_delay_alu instid0(VALU_DEP_1)
	v_pk_fma_f32 v[120:121], v[118:119], v[52:53], v[128:129] op_sel_hi:[1,0,1] neg_lo:[0,0,1] neg_hi:[0,0,1]
	v_pk_fma_f32 v[118:119], v[118:119], v[52:53], v[128:129] op_sel_hi:[1,0,1]
	ds_load_2addr_b64 v[128:131], v122 offset0:41 offset1:42
	v_dual_mov_b32 v52, v120 :: v_dual_mov_b32 v53, v119
	s_wait_dscnt 0x0
	v_pk_mul_f32 v[132:133], v[128:129], v[118:119] op_sel:[0,1]
	s_delay_alu instid0(VALU_DEP_1) | instskip(SKIP_1) | instid1(VALU_DEP_1)
	v_pk_fma_f32 v[134:135], v[128:129], v[120:121], v[132:133] op_sel:[0,0,1] op_sel_hi:[1,1,0] neg_lo:[0,0,1] neg_hi:[0,0,1]
	v_pk_fma_f32 v[128:129], v[128:129], v[120:121], v[132:133] op_sel:[0,0,1] op_sel_hi:[1,0,0]
	v_mov_b32_e32 v135, v129
	v_pk_mul_f32 v[128:129], v[130:131], v[118:119] op_sel:[0,1]
	s_delay_alu instid0(VALU_DEP_1) | instskip(SKIP_1) | instid1(VALU_DEP_1)
	v_pk_fma_f32 v[132:133], v[130:131], v[120:121], v[128:129] op_sel:[0,0,1] op_sel_hi:[1,1,0] neg_lo:[0,0,1] neg_hi:[0,0,1]
	v_pk_fma_f32 v[128:129], v[130:131], v[120:121], v[128:129] op_sel:[0,0,1] op_sel_hi:[1,0,0]
	v_mov_b32_e32 v133, v129
	ds_load_2addr_b64 v[128:131], v122 offset0:43 offset1:44
	v_pk_add_f32 v[48:49], v[48:49], v[134:135] neg_lo:[0,1] neg_hi:[0,1]
	v_pk_add_f32 v[50:51], v[50:51], v[132:133] neg_lo:[0,1] neg_hi:[0,1]
	s_wait_dscnt 0x0
	v_pk_mul_f32 v[132:133], v[128:129], v[118:119] op_sel:[0,1]
	s_delay_alu instid0(VALU_DEP_1) | instskip(SKIP_2) | instid1(VALU_DEP_2)
	v_pk_fma_f32 v[134:135], v[128:129], v[120:121], v[132:133] op_sel:[0,0,1] op_sel_hi:[1,1,0] neg_lo:[0,0,1] neg_hi:[0,0,1]
	v_pk_fma_f32 v[128:129], v[128:129], v[120:121], v[132:133] op_sel:[0,0,1] op_sel_hi:[1,0,0]
	v_dual_mul_f32 v132, v131, v119 :: v_dual_mov_b32 v128, v131
	v_dual_mov_b32 v135, v129 :: v_dual_mov_b32 v129, v130
	s_delay_alu instid0(VALU_DEP_2) | instskip(SKIP_1) | instid1(VALU_DEP_3)
	v_pk_fma_f32 v[132:133], v[130:131], v[52:53], v[132:133] op_sel_hi:[1,1,0] neg_lo:[0,0,1] neg_hi:[0,0,1]
	v_mul_f32_e32 v130, v131, v120
	v_pk_add_f32 v[10:11], v[10:11], v[134:135] neg_lo:[0,1] neg_hi:[0,1]
	s_delay_alu instid0(VALU_DEP_2) | instskip(NEXT) | instid1(VALU_DEP_1)
	v_pk_fma_f32 v[128:129], v[128:129], v[52:53], v[130:131] op_sel_hi:[1,1,0]
	v_mov_b32_e32 v133, v129
	ds_load_2addr_b64 v[128:131], v122 offset0:45 offset1:46
	v_pk_add_f32 v[46:47], v[46:47], v[132:133] neg_lo:[0,1] neg_hi:[0,1]
	s_wait_dscnt 0x0
	v_pk_mul_f32 v[132:133], v[128:129], v[118:119] op_sel:[0,1]
	s_delay_alu instid0(VALU_DEP_1) | instskip(SKIP_1) | instid1(VALU_DEP_1)
	v_pk_fma_f32 v[134:135], v[128:129], v[120:121], v[132:133] op_sel:[0,0,1] op_sel_hi:[1,1,0] neg_lo:[0,0,1] neg_hi:[0,0,1]
	v_pk_fma_f32 v[128:129], v[128:129], v[120:121], v[132:133] op_sel:[0,0,1] op_sel_hi:[1,0,0]
	v_mov_b32_e32 v135, v129
	v_pk_mul_f32 v[128:129], v[130:131], v[118:119] op_sel:[0,1]
	s_delay_alu instid0(VALU_DEP_1) | instskip(SKIP_1) | instid1(VALU_DEP_1)
	v_pk_fma_f32 v[132:133], v[130:131], v[120:121], v[128:129] op_sel:[0,0,1] op_sel_hi:[1,1,0] neg_lo:[0,0,1] neg_hi:[0,0,1]
	v_pk_fma_f32 v[128:129], v[130:131], v[120:121], v[128:129] op_sel:[0,0,1] op_sel_hi:[1,0,0]
	v_mov_b32_e32 v133, v129
	ds_load_2addr_b64 v[128:131], v122 offset0:47 offset1:48
	v_pk_add_f32 v[42:43], v[42:43], v[134:135] neg_lo:[0,1] neg_hi:[0,1]
	v_pk_add_f32 v[44:45], v[44:45], v[132:133] neg_lo:[0,1] neg_hi:[0,1]
	s_wait_dscnt 0x0
	v_pk_mul_f32 v[132:133], v[128:129], v[118:119] op_sel:[0,1]
	s_delay_alu instid0(VALU_DEP_1) | instskip(SKIP_1) | instid1(VALU_DEP_1)
	v_pk_fma_f32 v[134:135], v[128:129], v[120:121], v[132:133] op_sel:[0,0,1] op_sel_hi:[1,1,0] neg_lo:[0,0,1] neg_hi:[0,0,1]
	v_pk_fma_f32 v[128:129], v[128:129], v[120:121], v[132:133] op_sel:[0,0,1] op_sel_hi:[1,0,0]
	v_mov_b32_e32 v135, v129
	v_pk_mul_f32 v[128:129], v[130:131], v[118:119] op_sel:[0,1]
	s_delay_alu instid0(VALU_DEP_1) | instskip(SKIP_1) | instid1(VALU_DEP_1)
	v_pk_fma_f32 v[132:133], v[130:131], v[120:121], v[128:129] op_sel:[0,0,1] op_sel_hi:[1,1,0] neg_lo:[0,0,1] neg_hi:[0,0,1]
	v_pk_fma_f32 v[128:129], v[130:131], v[120:121], v[128:129] op_sel:[0,0,1] op_sel_hi:[1,0,0]
	v_mov_b32_e32 v133, v129
	ds_load_2addr_b64 v[128:131], v122 offset0:49 offset1:50
	v_pk_add_f32 v[6:7], v[6:7], v[134:135] neg_lo:[0,1] neg_hi:[0,1]
	v_pk_add_f32 v[34:35], v[34:35], v[132:133] neg_lo:[0,1] neg_hi:[0,1]
	s_wait_dscnt 0x0
	v_dual_mul_f32 v132, v129, v119 :: v_dual_mul_f32 v134, v129, v120
	s_delay_alu instid0(VALU_DEP_1) | instskip(NEXT) | instid1(VALU_DEP_2)
	v_pk_fma_f32 v[132:133], v[128:129], v[52:53], v[132:133] op_sel_hi:[1,1,0] neg_lo:[0,0,1] neg_hi:[0,0,1]
	v_pk_fma_f32 v[128:129], v[128:129], v[52:53], v[134:135] op_sel:[1,0,0] op_sel_hi:[0,1,0]
	s_delay_alu instid0(VALU_DEP_1) | instskip(SKIP_1) | instid1(VALU_DEP_2)
	v_mov_b32_e32 v133, v129
	v_pk_mul_f32 v[128:129], v[130:131], v[118:119] op_sel:[0,1]
	v_pk_add_f32 v[28:29], v[28:29], v[132:133] neg_lo:[0,1] neg_hi:[0,1]
	s_delay_alu instid0(VALU_DEP_2) | instskip(SKIP_1) | instid1(VALU_DEP_1)
	v_pk_fma_f32 v[132:133], v[130:131], v[120:121], v[128:129] op_sel:[0,0,1] op_sel_hi:[1,1,0] neg_lo:[0,0,1] neg_hi:[0,0,1]
	v_pk_fma_f32 v[128:129], v[130:131], v[120:121], v[128:129] op_sel:[0,0,1] op_sel_hi:[1,0,0]
	v_mov_b32_e32 v133, v129
	ds_load_2addr_b64 v[128:131], v122 offset0:51 offset1:52
	v_pk_add_f32 v[32:33], v[32:33], v[132:133] neg_lo:[0,1] neg_hi:[0,1]
	s_wait_dscnt 0x0
	v_pk_mul_f32 v[132:133], v[128:129], v[118:119] op_sel:[0,1]
	s_delay_alu instid0(VALU_DEP_1) | instskip(SKIP_1) | instid1(VALU_DEP_1)
	v_pk_fma_f32 v[134:135], v[128:129], v[120:121], v[132:133] op_sel:[0,0,1] op_sel_hi:[1,1,0] neg_lo:[0,0,1] neg_hi:[0,0,1]
	v_pk_fma_f32 v[128:129], v[128:129], v[120:121], v[132:133] op_sel:[0,0,1] op_sel_hi:[1,0,0]
	v_mov_b32_e32 v135, v129
	v_pk_mul_f32 v[128:129], v[130:131], v[118:119] op_sel:[0,1]
	s_delay_alu instid0(VALU_DEP_2) | instskip(NEXT) | instid1(VALU_DEP_2)
	v_pk_add_f32 v[8:9], v[8:9], v[134:135] neg_lo:[0,1] neg_hi:[0,1]
	v_pk_fma_f32 v[132:133], v[130:131], v[120:121], v[128:129] op_sel:[0,0,1] op_sel_hi:[1,1,0] neg_lo:[0,0,1] neg_hi:[0,0,1]
	v_pk_fma_f32 v[128:129], v[130:131], v[120:121], v[128:129] op_sel:[0,0,1] op_sel_hi:[1,0,0]
	s_delay_alu instid0(VALU_DEP_1) | instskip(SKIP_4) | instid1(VALU_DEP_1)
	v_mov_b32_e32 v133, v129
	ds_load_2addr_b64 v[128:131], v122 offset0:53 offset1:54
	v_pk_add_f32 v[26:27], v[26:27], v[132:133] neg_lo:[0,1] neg_hi:[0,1]
	s_wait_dscnt 0x0
	v_pk_mul_f32 v[132:133], v[128:129], v[118:119] op_sel:[0,1]
	v_pk_fma_f32 v[134:135], v[128:129], v[120:121], v[132:133] op_sel:[0,0,1] op_sel_hi:[1,1,0] neg_lo:[0,0,1] neg_hi:[0,0,1]
	v_pk_fma_f32 v[128:129], v[128:129], v[120:121], v[132:133] op_sel:[0,0,1] op_sel_hi:[1,0,0]
	v_dual_mul_f32 v132, v131, v119 :: v_dual_mov_b32 v128, v131
	s_delay_alu instid0(VALU_DEP_2) | instskip(NEXT) | instid1(VALU_DEP_2)
	v_dual_mov_b32 v135, v129 :: v_dual_mov_b32 v129, v130
	v_pk_fma_f32 v[132:133], v[130:131], v[52:53], v[132:133] op_sel_hi:[1,1,0] neg_lo:[0,0,1] neg_hi:[0,0,1]
	v_mul_f32_e32 v130, v131, v120
	s_delay_alu instid0(VALU_DEP_3) | instskip(NEXT) | instid1(VALU_DEP_2)
	v_pk_add_f32 v[22:23], v[22:23], v[134:135] neg_lo:[0,1] neg_hi:[0,1]
	v_pk_fma_f32 v[128:129], v[128:129], v[52:53], v[130:131] op_sel_hi:[1,1,0]
	s_delay_alu instid0(VALU_DEP_1) | instskip(SKIP_4) | instid1(VALU_DEP_1)
	v_mov_b32_e32 v133, v129
	ds_load_b64 v[128:129], v122 offset:440
	v_pk_add_f32 v[20:21], v[20:21], v[132:133] neg_lo:[0,1] neg_hi:[0,1]
	s_wait_dscnt 0x0
	v_pk_mul_f32 v[118:119], v[128:129], v[118:119] op_sel:[0,1]
	v_pk_fma_f32 v[130:131], v[128:129], v[120:121], v[118:119] op_sel:[0,0,1] op_sel_hi:[1,1,0] neg_lo:[0,0,1] neg_hi:[0,0,1]
	v_pk_fma_f32 v[118:119], v[128:129], v[120:121], v[118:119] op_sel:[0,0,1] op_sel_hi:[1,0,0]
	s_delay_alu instid0(VALU_DEP_1) | instskip(NEXT) | instid1(VALU_DEP_1)
	v_mov_b32_e32 v131, v119
	v_pk_add_f32 v[116:117], v[116:117], v[130:131] neg_lo:[0,1] neg_hi:[0,1]
.LBB110_860:
	s_or_b32 exec_lo, exec_lo, s0
	v_lshl_add_u32 v118, v126, 3, v122
	s_barrier_signal -1
	s_barrier_wait -1
	ds_store_b64 v118, v[48:49]
	s_wait_dscnt 0x0
	s_barrier_signal -1
	s_barrier_wait -1
	ds_load_b64 v[118:119], v122 offset:328
	v_mov_b32_e32 v120, 41
	s_cmp_lt_i32 s18, 43
	s_cbranch_scc1 .LBB110_863
; %bb.861:
	v_add3_u32 v121, v123, 0, 0x150
	v_mov_b32_e32 v120, 41
	s_mov_b32 s0, 42
.LBB110_862:                            ; =>This Inner Loop Header: Depth=1
	ds_load_b64 v[128:129], v121
	s_wait_dscnt 0x1
	v_cmp_gt_f32_e32 vcc_lo, 0, v118
	v_cndmask_b32_e64 v130, v118, -v118, vcc_lo
	v_cmp_gt_f32_e32 vcc_lo, 0, v119
	v_cndmask_b32_e64 v132, v119, -v119, vcc_lo
	s_wait_dscnt 0x0
	v_cmp_gt_f32_e32 vcc_lo, 0, v128
	v_cndmask_b32_e64 v131, v128, -v128, vcc_lo
	v_cmp_gt_f32_e32 vcc_lo, 0, v129
	v_cndmask_b32_e64 v133, v129, -v129, vcc_lo
	s_delay_alu instid0(VALU_DEP_1) | instskip(NEXT) | instid1(VALU_DEP_1)
	v_pk_add_f32 v[130:131], v[130:131], v[132:133]
	v_cmp_lt_f32_e32 vcc_lo, v130, v131
	v_dual_cndmask_b32 v118, v118, v128 :: v_dual_add_nc_u32 v121, 8, v121
	v_cndmask_b32_e32 v119, v119, v129, vcc_lo
	v_cndmask_b32_e64 v120, v120, s0, vcc_lo
	s_add_co_i32 s0, s0, 1
	s_delay_alu instid0(SALU_CYCLE_1)
	s_cmp_lg_u32 s18, s0
	s_cbranch_scc1 .LBB110_862
.LBB110_863:
	s_wait_dscnt 0x0
	v_cmp_eq_f32_e32 vcc_lo, 0, v118
	v_cmp_eq_f32_e64 s0, 0, v119
	s_and_b32 s0, vcc_lo, s0
	s_delay_alu instid0(SALU_CYCLE_1) | instskip(NEXT) | instid1(SALU_CYCLE_1)
	s_and_saveexec_b32 s1, s0
	s_xor_b32 s0, exec_lo, s1
; %bb.864:
	v_cmp_ne_u32_e32 vcc_lo, 0, v124
	v_cndmask_b32_e32 v124, 42, v124, vcc_lo
; %bb.865:
	s_and_not1_saveexec_b32 s0, s0
	s_cbranch_execz .LBB110_871
; %bb.866:
	v_cmp_ngt_f32_e64 s1, |v118|, |v119|
	s_and_saveexec_b32 s12, s1
	s_delay_alu instid0(SALU_CYCLE_1)
	s_xor_b32 s1, exec_lo, s12
	s_cbranch_execz .LBB110_868
; %bb.867:
	v_div_scale_f32 v121, null, v119, v119, v118
	v_div_scale_f32 v129, vcc_lo, v118, v119, v118
	s_delay_alu instid0(VALU_DEP_2) | instskip(SKIP_1) | instid1(TRANS32_DEP_1)
	v_rcp_f32_e32 v127, v121
	v_nop
	v_fma_f32 v128, -v121, v127, 1.0
	s_delay_alu instid0(VALU_DEP_1) | instskip(NEXT) | instid1(VALU_DEP_1)
	v_fmac_f32_e32 v127, v128, v127
	v_mul_f32_e32 v128, v129, v127
	s_delay_alu instid0(VALU_DEP_1) | instskip(NEXT) | instid1(VALU_DEP_1)
	v_fma_f32 v130, -v121, v128, v129
	v_fmac_f32_e32 v128, v130, v127
	s_delay_alu instid0(VALU_DEP_1) | instskip(NEXT) | instid1(VALU_DEP_1)
	v_fma_f32 v121, -v121, v128, v129
	v_div_fmas_f32 v121, v121, v127, v128
	s_delay_alu instid0(VALU_DEP_1) | instskip(NEXT) | instid1(VALU_DEP_1)
	v_div_fixup_f32 v121, v121, v119, v118
	v_fmac_f32_e32 v119, v118, v121
	s_delay_alu instid0(VALU_DEP_1) | instskip(SKIP_1) | instid1(VALU_DEP_2)
	v_div_scale_f32 v118, null, v119, v119, 1.0
	v_div_scale_f32 v129, vcc_lo, 1.0, v119, 1.0
	v_rcp_f32_e32 v127, v118
	v_nop
	s_delay_alu instid0(TRANS32_DEP_1) | instskip(NEXT) | instid1(VALU_DEP_1)
	v_fma_f32 v128, -v118, v127, 1.0
	v_fmac_f32_e32 v127, v128, v127
	s_delay_alu instid0(VALU_DEP_1) | instskip(NEXT) | instid1(VALU_DEP_1)
	v_mul_f32_e32 v128, v129, v127
	v_fma_f32 v130, -v118, v128, v129
	s_delay_alu instid0(VALU_DEP_1) | instskip(NEXT) | instid1(VALU_DEP_1)
	v_fmac_f32_e32 v128, v130, v127
	v_fma_f32 v118, -v118, v128, v129
	s_delay_alu instid0(VALU_DEP_1) | instskip(NEXT) | instid1(VALU_DEP_1)
	v_div_fmas_f32 v118, v118, v127, v128
	v_div_fixup_f32 v119, v118, v119, 1.0
	s_delay_alu instid0(VALU_DEP_1)
	v_mul_f32_e32 v118, v121, v119
	v_xor_b32_e32 v119, 0x80000000, v119
.LBB110_868:
	s_and_not1_saveexec_b32 s1, s1
	s_cbranch_execz .LBB110_870
; %bb.869:
	s_delay_alu instid0(VALU_DEP_1) | instskip(SKIP_1) | instid1(VALU_DEP_2)
	v_div_scale_f32 v121, null, v118, v118, v119
	v_div_scale_f32 v129, vcc_lo, v119, v118, v119
	v_rcp_f32_e32 v127, v121
	v_nop
	s_delay_alu instid0(TRANS32_DEP_1) | instskip(NEXT) | instid1(VALU_DEP_1)
	v_fma_f32 v128, -v121, v127, 1.0
	v_fmac_f32_e32 v127, v128, v127
	s_delay_alu instid0(VALU_DEP_1) | instskip(NEXT) | instid1(VALU_DEP_1)
	v_mul_f32_e32 v128, v129, v127
	v_fma_f32 v130, -v121, v128, v129
	s_delay_alu instid0(VALU_DEP_1) | instskip(NEXT) | instid1(VALU_DEP_1)
	v_fmac_f32_e32 v128, v130, v127
	v_fma_f32 v121, -v121, v128, v129
	s_delay_alu instid0(VALU_DEP_1) | instskip(NEXT) | instid1(VALU_DEP_1)
	v_div_fmas_f32 v121, v121, v127, v128
	v_div_fixup_f32 v121, v121, v118, v119
	s_delay_alu instid0(VALU_DEP_1) | instskip(NEXT) | instid1(VALU_DEP_1)
	v_fmac_f32_e32 v118, v119, v121
	v_div_scale_f32 v119, null, v118, v118, 1.0
	s_delay_alu instid0(VALU_DEP_1) | instskip(SKIP_1) | instid1(TRANS32_DEP_1)
	v_rcp_f32_e32 v127, v119
	v_nop
	v_fma_f32 v128, -v119, v127, 1.0
	s_delay_alu instid0(VALU_DEP_1) | instskip(SKIP_1) | instid1(VALU_DEP_1)
	v_fmac_f32_e32 v127, v128, v127
	v_div_scale_f32 v128, vcc_lo, 1.0, v118, 1.0
	v_mul_f32_e32 v129, v128, v127
	s_delay_alu instid0(VALU_DEP_1) | instskip(NEXT) | instid1(VALU_DEP_1)
	v_fma_f32 v130, -v119, v129, v128
	v_fmac_f32_e32 v129, v130, v127
	s_delay_alu instid0(VALU_DEP_1) | instskip(NEXT) | instid1(VALU_DEP_1)
	v_fma_f32 v119, -v119, v129, v128
	v_div_fmas_f32 v119, v119, v127, v129
	s_delay_alu instid0(VALU_DEP_1) | instskip(NEXT) | instid1(VALU_DEP_1)
	v_div_fixup_f32 v118, v119, v118, 1.0
	v_mul_f32_e64 v119, v121, -v118
.LBB110_870:
	s_or_b32 exec_lo, exec_lo, s1
.LBB110_871:
	s_delay_alu instid0(SALU_CYCLE_1) | instskip(NEXT) | instid1(SALU_CYCLE_1)
	s_or_b32 exec_lo, exec_lo, s0
	s_mov_b32 s0, exec_lo
	v_cmpx_ne_u32_e64 v126, v120
	s_xor_b32 s0, exec_lo, s0
	s_cbranch_execz .LBB110_877
; %bb.872:
	s_mov_b32 s1, exec_lo
	v_cmpx_eq_u32_e32 41, v126
	s_cbranch_execz .LBB110_876
; %bb.873:
	v_cmp_ne_u32_e32 vcc_lo, 41, v120
	s_xor_b32 s12, s16, -1
	s_delay_alu instid0(SALU_CYCLE_1) | instskip(NEXT) | instid1(SALU_CYCLE_1)
	s_and_b32 s13, s12, vcc_lo
	s_and_saveexec_b32 s12, s13
	s_cbranch_execz .LBB110_875
; %bb.874:
	v_ashrrev_i32_e32 v121, 31, v120
	s_delay_alu instid0(VALU_DEP_1)
	v_lshl_add_u64 v[126:127], v[120:121], 2, v[4:5]
	s_clause 0x1
	global_load_b32 v121, v[126:127], off
	global_load_b32 v125, v[4:5], off offset:164
	s_wait_loadcnt 0x1
	global_store_b32 v[4:5], v121, off offset:164
	s_wait_loadcnt 0x0
	global_store_b32 v[126:127], v125, off
.LBB110_875:
	s_wait_xcnt 0x0
	s_or_b32 exec_lo, exec_lo, s12
	v_dual_mov_b32 v126, v120 :: v_dual_mov_b32 v125, v120
.LBB110_876:
	s_or_b32 exec_lo, exec_lo, s1
.LBB110_877:
	s_and_not1_saveexec_b32 s0, s0
	s_cbranch_execz .LBB110_879
; %bb.878:
	v_dual_mov_b32 v120, v50 :: v_dual_mov_b32 v121, v51
	v_dual_mov_b32 v126, v10 :: v_dual_mov_b32 v127, v11
	;; [unrolled: 1-line block ×4, first 2 shown]
	ds_store_2addr_b64 v122, v[120:121], v[126:127] offset0:42 offset1:43
	ds_store_2addr_b64 v122, v[128:129], v[130:131] offset0:44 offset1:45
	v_dual_mov_b32 v120, v44 :: v_dual_mov_b32 v121, v45
	v_dual_mov_b32 v128, v6 :: v_dual_mov_b32 v129, v7
	;; [unrolled: 1-line block ×9, first 2 shown]
	v_mov_b32_e32 v143, v21
	ds_store_2addr_b64 v122, v[120:121], v[128:129] offset0:46 offset1:47
	ds_store_2addr_b64 v122, v[130:131], v[132:133] offset0:48 offset1:49
	;; [unrolled: 1-line block ×5, first 2 shown]
.LBB110_879:
	s_or_b32 exec_lo, exec_lo, s0
	s_delay_alu instid0(SALU_CYCLE_1)
	s_mov_b32 s0, exec_lo
	s_wait_storecnt_dscnt 0x0
	s_barrier_signal -1
	s_barrier_wait -1
	v_cmpx_lt_i32_e32 41, v126
	s_cbranch_execz .LBB110_881
; %bb.880:
	v_pk_mul_f32 v[120:121], v[118:119], v[48:49] op_sel:[1,1] op_sel_hi:[0,1]
	s_delay_alu instid0(VALU_DEP_1)
	v_pk_fma_f32 v[128:129], v[118:119], v[48:49], v[120:121] op_sel_hi:[1,0,1] neg_lo:[0,0,1] neg_hi:[0,0,1]
	v_pk_fma_f32 v[130:131], v[118:119], v[48:49], v[120:121] op_sel_hi:[1,0,1]
	ds_load_2addr_b64 v[118:121], v122 offset0:42 offset1:43
	v_dual_mov_b32 v48, v128 :: v_dual_mov_b32 v49, v131
	s_wait_dscnt 0x0
	v_pk_mul_f32 v[132:133], v[118:119], v[130:131] op_sel:[0,1]
	s_delay_alu instid0(VALU_DEP_1) | instskip(SKIP_1) | instid1(VALU_DEP_1)
	v_pk_fma_f32 v[134:135], v[118:119], v[128:129], v[132:133] op_sel:[0,0,1] op_sel_hi:[1,1,0] neg_lo:[0,0,1] neg_hi:[0,0,1]
	v_pk_fma_f32 v[118:119], v[118:119], v[128:129], v[132:133] op_sel:[0,0,1] op_sel_hi:[1,0,0]
	v_mov_b32_e32 v135, v119
	v_pk_mul_f32 v[118:119], v[120:121], v[130:131] op_sel:[0,1]
	s_delay_alu instid0(VALU_DEP_1) | instskip(SKIP_1) | instid1(VALU_DEP_1)
	v_pk_fma_f32 v[132:133], v[120:121], v[128:129], v[118:119] op_sel:[0,0,1] op_sel_hi:[1,1,0] neg_lo:[0,0,1] neg_hi:[0,0,1]
	v_pk_fma_f32 v[118:119], v[120:121], v[128:129], v[118:119] op_sel:[0,0,1] op_sel_hi:[1,0,0]
	v_mov_b32_e32 v133, v119
	ds_load_2addr_b64 v[118:121], v122 offset0:44 offset1:45
	v_pk_add_f32 v[50:51], v[50:51], v[134:135] neg_lo:[0,1] neg_hi:[0,1]
	v_pk_add_f32 v[10:11], v[10:11], v[132:133] neg_lo:[0,1] neg_hi:[0,1]
	s_wait_dscnt 0x0
	v_pk_mul_f32 v[132:133], v[118:119], v[130:131] op_sel:[0,1]
	s_delay_alu instid0(VALU_DEP_1) | instskip(SKIP_2) | instid1(VALU_DEP_2)
	v_pk_fma_f32 v[134:135], v[118:119], v[128:129], v[132:133] op_sel:[0,0,1] op_sel_hi:[1,1,0] neg_lo:[0,0,1] neg_hi:[0,0,1]
	v_pk_fma_f32 v[118:119], v[118:119], v[128:129], v[132:133] op_sel:[0,0,1] op_sel_hi:[1,0,0]
	v_dual_mul_f32 v132, v121, v131 :: v_dual_mov_b32 v118, v121
	v_dual_mov_b32 v135, v119 :: v_dual_mov_b32 v119, v120
	s_delay_alu instid0(VALU_DEP_2) | instskip(SKIP_1) | instid1(VALU_DEP_3)
	v_pk_fma_f32 v[132:133], v[120:121], v[48:49], v[132:133] op_sel_hi:[1,1,0] neg_lo:[0,0,1] neg_hi:[0,0,1]
	v_mul_f32_e32 v120, v121, v128
	v_pk_add_f32 v[46:47], v[46:47], v[134:135] neg_lo:[0,1] neg_hi:[0,1]
	s_delay_alu instid0(VALU_DEP_2) | instskip(NEXT) | instid1(VALU_DEP_1)
	v_pk_fma_f32 v[118:119], v[118:119], v[48:49], v[120:121] op_sel_hi:[1,1,0]
	v_mov_b32_e32 v133, v119
	ds_load_2addr_b64 v[118:121], v122 offset0:46 offset1:47
	v_pk_add_f32 v[42:43], v[42:43], v[132:133] neg_lo:[0,1] neg_hi:[0,1]
	s_wait_dscnt 0x0
	v_pk_mul_f32 v[132:133], v[118:119], v[130:131] op_sel:[0,1]
	s_delay_alu instid0(VALU_DEP_1) | instskip(SKIP_1) | instid1(VALU_DEP_1)
	v_pk_fma_f32 v[134:135], v[118:119], v[128:129], v[132:133] op_sel:[0,0,1] op_sel_hi:[1,1,0] neg_lo:[0,0,1] neg_hi:[0,0,1]
	v_pk_fma_f32 v[118:119], v[118:119], v[128:129], v[132:133] op_sel:[0,0,1] op_sel_hi:[1,0,0]
	v_mov_b32_e32 v135, v119
	v_pk_mul_f32 v[118:119], v[120:121], v[130:131] op_sel:[0,1]
	s_delay_alu instid0(VALU_DEP_1) | instskip(SKIP_1) | instid1(VALU_DEP_1)
	v_pk_fma_f32 v[132:133], v[120:121], v[128:129], v[118:119] op_sel:[0,0,1] op_sel_hi:[1,1,0] neg_lo:[0,0,1] neg_hi:[0,0,1]
	v_pk_fma_f32 v[118:119], v[120:121], v[128:129], v[118:119] op_sel:[0,0,1] op_sel_hi:[1,0,0]
	v_mov_b32_e32 v133, v119
	ds_load_2addr_b64 v[118:121], v122 offset0:48 offset1:49
	v_pk_add_f32 v[44:45], v[44:45], v[134:135] neg_lo:[0,1] neg_hi:[0,1]
	v_pk_add_f32 v[6:7], v[6:7], v[132:133] neg_lo:[0,1] neg_hi:[0,1]
	s_wait_dscnt 0x0
	v_pk_mul_f32 v[132:133], v[118:119], v[130:131] op_sel:[0,1]
	s_delay_alu instid0(VALU_DEP_1) | instskip(SKIP_1) | instid1(VALU_DEP_1)
	v_pk_fma_f32 v[134:135], v[118:119], v[128:129], v[132:133] op_sel:[0,0,1] op_sel_hi:[1,1,0] neg_lo:[0,0,1] neg_hi:[0,0,1]
	v_pk_fma_f32 v[118:119], v[118:119], v[128:129], v[132:133] op_sel:[0,0,1] op_sel_hi:[1,0,0]
	v_mov_b32_e32 v135, v119
	v_pk_mul_f32 v[118:119], v[120:121], v[130:131] op_sel:[0,1]
	s_delay_alu instid0(VALU_DEP_1) | instskip(SKIP_1) | instid1(VALU_DEP_1)
	v_pk_fma_f32 v[132:133], v[120:121], v[128:129], v[118:119] op_sel:[0,0,1] op_sel_hi:[1,1,0] neg_lo:[0,0,1] neg_hi:[0,0,1]
	v_pk_fma_f32 v[118:119], v[120:121], v[128:129], v[118:119] op_sel:[0,0,1] op_sel_hi:[1,0,0]
	v_mov_b32_e32 v133, v119
	ds_load_2addr_b64 v[118:121], v122 offset0:50 offset1:51
	v_pk_add_f32 v[34:35], v[34:35], v[134:135] neg_lo:[0,1] neg_hi:[0,1]
	v_pk_add_f32 v[28:29], v[28:29], v[132:133] neg_lo:[0,1] neg_hi:[0,1]
	s_wait_dscnt 0x0
	v_dual_mul_f32 v132, v119, v131 :: v_dual_mul_f32 v134, v119, v128
	s_delay_alu instid0(VALU_DEP_1) | instskip(NEXT) | instid1(VALU_DEP_2)
	v_pk_fma_f32 v[132:133], v[118:119], v[48:49], v[132:133] op_sel_hi:[1,1,0] neg_lo:[0,0,1] neg_hi:[0,0,1]
	v_pk_fma_f32 v[118:119], v[118:119], v[48:49], v[134:135] op_sel:[1,0,0] op_sel_hi:[0,1,0]
	s_delay_alu instid0(VALU_DEP_1) | instskip(SKIP_1) | instid1(VALU_DEP_2)
	v_mov_b32_e32 v133, v119
	v_pk_mul_f32 v[118:119], v[120:121], v[130:131] op_sel:[0,1]
	v_pk_add_f32 v[32:33], v[32:33], v[132:133] neg_lo:[0,1] neg_hi:[0,1]
	s_delay_alu instid0(VALU_DEP_2) | instskip(SKIP_1) | instid1(VALU_DEP_1)
	v_pk_fma_f32 v[132:133], v[120:121], v[128:129], v[118:119] op_sel:[0,0,1] op_sel_hi:[1,1,0] neg_lo:[0,0,1] neg_hi:[0,0,1]
	v_pk_fma_f32 v[118:119], v[120:121], v[128:129], v[118:119] op_sel:[0,0,1] op_sel_hi:[1,0,0]
	v_mov_b32_e32 v133, v119
	ds_load_2addr_b64 v[118:121], v122 offset0:52 offset1:53
	v_pk_add_f32 v[8:9], v[8:9], v[132:133] neg_lo:[0,1] neg_hi:[0,1]
	s_wait_dscnt 0x0
	v_pk_mul_f32 v[132:133], v[118:119], v[130:131] op_sel:[0,1]
	s_delay_alu instid0(VALU_DEP_1) | instskip(SKIP_1) | instid1(VALU_DEP_1)
	v_pk_fma_f32 v[134:135], v[118:119], v[128:129], v[132:133] op_sel:[0,0,1] op_sel_hi:[1,1,0] neg_lo:[0,0,1] neg_hi:[0,0,1]
	v_pk_fma_f32 v[118:119], v[118:119], v[128:129], v[132:133] op_sel:[0,0,1] op_sel_hi:[1,0,0]
	v_mov_b32_e32 v135, v119
	v_pk_mul_f32 v[118:119], v[120:121], v[130:131] op_sel:[0,1]
	s_delay_alu instid0(VALU_DEP_2) | instskip(NEXT) | instid1(VALU_DEP_2)
	v_pk_add_f32 v[26:27], v[26:27], v[134:135] neg_lo:[0,1] neg_hi:[0,1]
	v_pk_fma_f32 v[132:133], v[120:121], v[128:129], v[118:119] op_sel:[0,0,1] op_sel_hi:[1,1,0] neg_lo:[0,0,1] neg_hi:[0,0,1]
	v_pk_fma_f32 v[118:119], v[120:121], v[128:129], v[118:119] op_sel:[0,0,1] op_sel_hi:[1,0,0]
	s_delay_alu instid0(VALU_DEP_1) | instskip(SKIP_4) | instid1(VALU_DEP_1)
	v_mov_b32_e32 v133, v119
	ds_load_2addr_b64 v[118:121], v122 offset0:54 offset1:55
	v_pk_add_f32 v[22:23], v[22:23], v[132:133] neg_lo:[0,1] neg_hi:[0,1]
	s_wait_dscnt 0x0
	v_pk_mul_f32 v[132:133], v[118:119], v[130:131] op_sel:[0,1]
	v_pk_fma_f32 v[134:135], v[118:119], v[128:129], v[132:133] op_sel:[0,0,1] op_sel_hi:[1,1,0] neg_lo:[0,0,1] neg_hi:[0,0,1]
	v_pk_fma_f32 v[118:119], v[118:119], v[128:129], v[132:133] op_sel:[0,0,1] op_sel_hi:[1,0,0]
	s_delay_alu instid0(VALU_DEP_1) | instskip(SKIP_1) | instid1(VALU_DEP_2)
	v_mov_b32_e32 v135, v119
	v_pk_mul_f32 v[118:119], v[120:121], v[130:131] op_sel:[0,1]
	v_pk_add_f32 v[20:21], v[20:21], v[134:135] neg_lo:[0,1] neg_hi:[0,1]
	s_delay_alu instid0(VALU_DEP_2) | instskip(SKIP_1) | instid1(VALU_DEP_1)
	v_pk_fma_f32 v[130:131], v[120:121], v[128:129], v[118:119] op_sel:[0,0,1] op_sel_hi:[1,1,0] neg_lo:[0,0,1] neg_hi:[0,0,1]
	v_pk_fma_f32 v[118:119], v[120:121], v[128:129], v[118:119] op_sel:[0,0,1] op_sel_hi:[1,0,0]
	v_mov_b32_e32 v131, v119
	s_delay_alu instid0(VALU_DEP_1)
	v_pk_add_f32 v[116:117], v[116:117], v[130:131] neg_lo:[0,1] neg_hi:[0,1]
.LBB110_881:
	s_or_b32 exec_lo, exec_lo, s0
	v_lshl_add_u32 v118, v126, 3, v122
	s_barrier_signal -1
	s_barrier_wait -1
	ds_store_b64 v118, v[50:51]
	s_wait_dscnt 0x0
	s_barrier_signal -1
	s_barrier_wait -1
	ds_load_b64 v[118:119], v122 offset:336
	v_mov_b32_e32 v120, 42
	s_cmp_lt_i32 s18, 44
	s_cbranch_scc1 .LBB110_884
; %bb.882:
	v_add3_u32 v121, v123, 0, 0x158
	v_mov_b32_e32 v120, 42
	s_mov_b32 s0, 43
.LBB110_883:                            ; =>This Inner Loop Header: Depth=1
	ds_load_b64 v[128:129], v121
	s_wait_dscnt 0x1
	v_cmp_gt_f32_e32 vcc_lo, 0, v118
	v_cndmask_b32_e64 v130, v118, -v118, vcc_lo
	v_cmp_gt_f32_e32 vcc_lo, 0, v119
	v_cndmask_b32_e64 v132, v119, -v119, vcc_lo
	s_wait_dscnt 0x0
	v_cmp_gt_f32_e32 vcc_lo, 0, v128
	v_cndmask_b32_e64 v131, v128, -v128, vcc_lo
	v_cmp_gt_f32_e32 vcc_lo, 0, v129
	v_cndmask_b32_e64 v133, v129, -v129, vcc_lo
	s_delay_alu instid0(VALU_DEP_1) | instskip(NEXT) | instid1(VALU_DEP_1)
	v_pk_add_f32 v[130:131], v[130:131], v[132:133]
	v_cmp_lt_f32_e32 vcc_lo, v130, v131
	v_dual_cndmask_b32 v118, v118, v128 :: v_dual_add_nc_u32 v121, 8, v121
	v_cndmask_b32_e32 v119, v119, v129, vcc_lo
	v_cndmask_b32_e64 v120, v120, s0, vcc_lo
	s_add_co_i32 s0, s0, 1
	s_delay_alu instid0(SALU_CYCLE_1)
	s_cmp_lg_u32 s18, s0
	s_cbranch_scc1 .LBB110_883
.LBB110_884:
	s_wait_dscnt 0x0
	v_cmp_eq_f32_e32 vcc_lo, 0, v118
	v_cmp_eq_f32_e64 s0, 0, v119
	s_and_b32 s0, vcc_lo, s0
	s_delay_alu instid0(SALU_CYCLE_1) | instskip(NEXT) | instid1(SALU_CYCLE_1)
	s_and_saveexec_b32 s1, s0
	s_xor_b32 s0, exec_lo, s1
; %bb.885:
	v_cmp_ne_u32_e32 vcc_lo, 0, v124
	v_cndmask_b32_e32 v124, 43, v124, vcc_lo
; %bb.886:
	s_and_not1_saveexec_b32 s0, s0
	s_cbranch_execz .LBB110_892
; %bb.887:
	v_cmp_ngt_f32_e64 s1, |v118|, |v119|
	s_and_saveexec_b32 s12, s1
	s_delay_alu instid0(SALU_CYCLE_1)
	s_xor_b32 s1, exec_lo, s12
	s_cbranch_execz .LBB110_889
; %bb.888:
	v_div_scale_f32 v121, null, v119, v119, v118
	v_div_scale_f32 v129, vcc_lo, v118, v119, v118
	s_delay_alu instid0(VALU_DEP_2) | instskip(SKIP_1) | instid1(TRANS32_DEP_1)
	v_rcp_f32_e32 v127, v121
	v_nop
	v_fma_f32 v128, -v121, v127, 1.0
	s_delay_alu instid0(VALU_DEP_1) | instskip(NEXT) | instid1(VALU_DEP_1)
	v_fmac_f32_e32 v127, v128, v127
	v_mul_f32_e32 v128, v129, v127
	s_delay_alu instid0(VALU_DEP_1) | instskip(NEXT) | instid1(VALU_DEP_1)
	v_fma_f32 v130, -v121, v128, v129
	v_fmac_f32_e32 v128, v130, v127
	s_delay_alu instid0(VALU_DEP_1) | instskip(NEXT) | instid1(VALU_DEP_1)
	v_fma_f32 v121, -v121, v128, v129
	v_div_fmas_f32 v121, v121, v127, v128
	s_delay_alu instid0(VALU_DEP_1) | instskip(NEXT) | instid1(VALU_DEP_1)
	v_div_fixup_f32 v121, v121, v119, v118
	v_fmac_f32_e32 v119, v118, v121
	s_delay_alu instid0(VALU_DEP_1) | instskip(SKIP_1) | instid1(VALU_DEP_2)
	v_div_scale_f32 v118, null, v119, v119, 1.0
	v_div_scale_f32 v129, vcc_lo, 1.0, v119, 1.0
	v_rcp_f32_e32 v127, v118
	v_nop
	s_delay_alu instid0(TRANS32_DEP_1) | instskip(NEXT) | instid1(VALU_DEP_1)
	v_fma_f32 v128, -v118, v127, 1.0
	v_fmac_f32_e32 v127, v128, v127
	s_delay_alu instid0(VALU_DEP_1) | instskip(NEXT) | instid1(VALU_DEP_1)
	v_mul_f32_e32 v128, v129, v127
	v_fma_f32 v130, -v118, v128, v129
	s_delay_alu instid0(VALU_DEP_1) | instskip(NEXT) | instid1(VALU_DEP_1)
	v_fmac_f32_e32 v128, v130, v127
	v_fma_f32 v118, -v118, v128, v129
	s_delay_alu instid0(VALU_DEP_1) | instskip(NEXT) | instid1(VALU_DEP_1)
	v_div_fmas_f32 v118, v118, v127, v128
	v_div_fixup_f32 v119, v118, v119, 1.0
	s_delay_alu instid0(VALU_DEP_1)
	v_mul_f32_e32 v118, v121, v119
	v_xor_b32_e32 v119, 0x80000000, v119
.LBB110_889:
	s_and_not1_saveexec_b32 s1, s1
	s_cbranch_execz .LBB110_891
; %bb.890:
	s_delay_alu instid0(VALU_DEP_1) | instskip(SKIP_1) | instid1(VALU_DEP_2)
	v_div_scale_f32 v121, null, v118, v118, v119
	v_div_scale_f32 v129, vcc_lo, v119, v118, v119
	v_rcp_f32_e32 v127, v121
	v_nop
	s_delay_alu instid0(TRANS32_DEP_1) | instskip(NEXT) | instid1(VALU_DEP_1)
	v_fma_f32 v128, -v121, v127, 1.0
	v_fmac_f32_e32 v127, v128, v127
	s_delay_alu instid0(VALU_DEP_1) | instskip(NEXT) | instid1(VALU_DEP_1)
	v_mul_f32_e32 v128, v129, v127
	v_fma_f32 v130, -v121, v128, v129
	s_delay_alu instid0(VALU_DEP_1) | instskip(NEXT) | instid1(VALU_DEP_1)
	v_fmac_f32_e32 v128, v130, v127
	v_fma_f32 v121, -v121, v128, v129
	s_delay_alu instid0(VALU_DEP_1) | instskip(NEXT) | instid1(VALU_DEP_1)
	v_div_fmas_f32 v121, v121, v127, v128
	v_div_fixup_f32 v121, v121, v118, v119
	s_delay_alu instid0(VALU_DEP_1) | instskip(NEXT) | instid1(VALU_DEP_1)
	v_fmac_f32_e32 v118, v119, v121
	v_div_scale_f32 v119, null, v118, v118, 1.0
	s_delay_alu instid0(VALU_DEP_1) | instskip(SKIP_1) | instid1(TRANS32_DEP_1)
	v_rcp_f32_e32 v127, v119
	v_nop
	v_fma_f32 v128, -v119, v127, 1.0
	s_delay_alu instid0(VALU_DEP_1) | instskip(SKIP_1) | instid1(VALU_DEP_1)
	v_fmac_f32_e32 v127, v128, v127
	v_div_scale_f32 v128, vcc_lo, 1.0, v118, 1.0
	v_mul_f32_e32 v129, v128, v127
	s_delay_alu instid0(VALU_DEP_1) | instskip(NEXT) | instid1(VALU_DEP_1)
	v_fma_f32 v130, -v119, v129, v128
	v_fmac_f32_e32 v129, v130, v127
	s_delay_alu instid0(VALU_DEP_1) | instskip(NEXT) | instid1(VALU_DEP_1)
	v_fma_f32 v119, -v119, v129, v128
	v_div_fmas_f32 v119, v119, v127, v129
	s_delay_alu instid0(VALU_DEP_1) | instskip(NEXT) | instid1(VALU_DEP_1)
	v_div_fixup_f32 v118, v119, v118, 1.0
	v_mul_f32_e64 v119, v121, -v118
.LBB110_891:
	s_or_b32 exec_lo, exec_lo, s1
.LBB110_892:
	s_delay_alu instid0(SALU_CYCLE_1) | instskip(NEXT) | instid1(SALU_CYCLE_1)
	s_or_b32 exec_lo, exec_lo, s0
	s_mov_b32 s0, exec_lo
	v_cmpx_ne_u32_e64 v126, v120
	s_xor_b32 s0, exec_lo, s0
	s_cbranch_execz .LBB110_898
; %bb.893:
	s_mov_b32 s1, exec_lo
	v_cmpx_eq_u32_e32 42, v126
	s_cbranch_execz .LBB110_897
; %bb.894:
	v_cmp_ne_u32_e32 vcc_lo, 42, v120
	s_xor_b32 s12, s16, -1
	s_delay_alu instid0(SALU_CYCLE_1) | instskip(NEXT) | instid1(SALU_CYCLE_1)
	s_and_b32 s13, s12, vcc_lo
	s_and_saveexec_b32 s12, s13
	s_cbranch_execz .LBB110_896
; %bb.895:
	v_ashrrev_i32_e32 v121, 31, v120
	s_delay_alu instid0(VALU_DEP_1)
	v_lshl_add_u64 v[126:127], v[120:121], 2, v[4:5]
	s_clause 0x1
	global_load_b32 v121, v[126:127], off
	global_load_b32 v125, v[4:5], off offset:168
	s_wait_loadcnt 0x1
	global_store_b32 v[4:5], v121, off offset:168
	s_wait_loadcnt 0x0
	global_store_b32 v[126:127], v125, off
.LBB110_896:
	s_wait_xcnt 0x0
	s_or_b32 exec_lo, exec_lo, s12
	v_dual_mov_b32 v126, v120 :: v_dual_mov_b32 v125, v120
.LBB110_897:
	s_or_b32 exec_lo, exec_lo, s1
.LBB110_898:
	s_and_not1_saveexec_b32 s0, s0
	s_cbranch_execz .LBB110_900
; %bb.899:
	v_mov_b32_e32 v126, 42
	ds_store_2addr_b64 v122, v[10:11], v[46:47] offset0:43 offset1:44
	ds_store_2addr_b64 v122, v[42:43], v[44:45] offset0:45 offset1:46
	ds_store_2addr_b64 v122, v[6:7], v[34:35] offset0:47 offset1:48
	ds_store_2addr_b64 v122, v[28:29], v[32:33] offset0:49 offset1:50
	ds_store_2addr_b64 v122, v[8:9], v[26:27] offset0:51 offset1:52
	ds_store_2addr_b64 v122, v[22:23], v[20:21] offset0:53 offset1:54
	ds_store_b64 v122, v[116:117] offset:440
.LBB110_900:
	s_or_b32 exec_lo, exec_lo, s0
	s_delay_alu instid0(SALU_CYCLE_1)
	s_mov_b32 s0, exec_lo
	s_wait_storecnt_dscnt 0x0
	s_barrier_signal -1
	s_barrier_wait -1
	v_cmpx_lt_i32_e32 42, v126
	s_cbranch_execz .LBB110_902
; %bb.901:
	v_pk_mul_f32 v[120:121], v[118:119], v[50:51] op_sel:[1,1] op_sel_hi:[0,1]
	s_delay_alu instid0(VALU_DEP_1)
	v_pk_fma_f32 v[128:129], v[118:119], v[50:51], v[120:121] op_sel_hi:[1,0,1] neg_lo:[0,0,1] neg_hi:[0,0,1]
	v_pk_fma_f32 v[130:131], v[118:119], v[50:51], v[120:121] op_sel_hi:[1,0,1]
	ds_load_2addr_b64 v[118:121], v122 offset0:43 offset1:44
	v_dual_mov_b32 v50, v128 :: v_dual_mov_b32 v51, v131
	s_wait_dscnt 0x0
	v_pk_mul_f32 v[132:133], v[118:119], v[130:131] op_sel:[0,1]
	s_delay_alu instid0(VALU_DEP_1) | instskip(SKIP_1) | instid1(VALU_DEP_1)
	v_pk_fma_f32 v[134:135], v[118:119], v[128:129], v[132:133] op_sel:[0,0,1] op_sel_hi:[1,1,0] neg_lo:[0,0,1] neg_hi:[0,0,1]
	v_pk_fma_f32 v[118:119], v[118:119], v[128:129], v[132:133] op_sel:[0,0,1] op_sel_hi:[1,0,0]
	v_mov_b32_e32 v135, v119
	v_pk_mul_f32 v[118:119], v[120:121], v[130:131] op_sel:[0,1]
	s_delay_alu instid0(VALU_DEP_1) | instskip(SKIP_1) | instid1(VALU_DEP_1)
	v_pk_fma_f32 v[132:133], v[120:121], v[128:129], v[118:119] op_sel:[0,0,1] op_sel_hi:[1,1,0] neg_lo:[0,0,1] neg_hi:[0,0,1]
	v_pk_fma_f32 v[118:119], v[120:121], v[128:129], v[118:119] op_sel:[0,0,1] op_sel_hi:[1,0,0]
	v_mov_b32_e32 v133, v119
	ds_load_2addr_b64 v[118:121], v122 offset0:45 offset1:46
	v_pk_add_f32 v[10:11], v[10:11], v[134:135] neg_lo:[0,1] neg_hi:[0,1]
	v_pk_add_f32 v[46:47], v[46:47], v[132:133] neg_lo:[0,1] neg_hi:[0,1]
	s_wait_dscnt 0x0
	v_pk_mul_f32 v[132:133], v[118:119], v[130:131] op_sel:[0,1]
	s_delay_alu instid0(VALU_DEP_1) | instskip(SKIP_2) | instid1(VALU_DEP_2)
	v_pk_fma_f32 v[134:135], v[118:119], v[128:129], v[132:133] op_sel:[0,0,1] op_sel_hi:[1,1,0] neg_lo:[0,0,1] neg_hi:[0,0,1]
	v_pk_fma_f32 v[118:119], v[118:119], v[128:129], v[132:133] op_sel:[0,0,1] op_sel_hi:[1,0,0]
	v_dual_mul_f32 v132, v121, v131 :: v_dual_mov_b32 v118, v121
	v_dual_mov_b32 v135, v119 :: v_dual_mov_b32 v119, v120
	s_delay_alu instid0(VALU_DEP_2) | instskip(SKIP_1) | instid1(VALU_DEP_3)
	v_pk_fma_f32 v[132:133], v[120:121], v[50:51], v[132:133] op_sel_hi:[1,1,0] neg_lo:[0,0,1] neg_hi:[0,0,1]
	v_mul_f32_e32 v120, v121, v128
	v_pk_add_f32 v[42:43], v[42:43], v[134:135] neg_lo:[0,1] neg_hi:[0,1]
	s_delay_alu instid0(VALU_DEP_2) | instskip(NEXT) | instid1(VALU_DEP_1)
	v_pk_fma_f32 v[118:119], v[118:119], v[50:51], v[120:121] op_sel_hi:[1,1,0]
	v_mov_b32_e32 v133, v119
	ds_load_2addr_b64 v[118:121], v122 offset0:47 offset1:48
	v_pk_add_f32 v[44:45], v[44:45], v[132:133] neg_lo:[0,1] neg_hi:[0,1]
	s_wait_dscnt 0x0
	v_pk_mul_f32 v[132:133], v[118:119], v[130:131] op_sel:[0,1]
	s_delay_alu instid0(VALU_DEP_1) | instskip(SKIP_1) | instid1(VALU_DEP_1)
	v_pk_fma_f32 v[134:135], v[118:119], v[128:129], v[132:133] op_sel:[0,0,1] op_sel_hi:[1,1,0] neg_lo:[0,0,1] neg_hi:[0,0,1]
	v_pk_fma_f32 v[118:119], v[118:119], v[128:129], v[132:133] op_sel:[0,0,1] op_sel_hi:[1,0,0]
	v_mov_b32_e32 v135, v119
	v_pk_mul_f32 v[118:119], v[120:121], v[130:131] op_sel:[0,1]
	s_delay_alu instid0(VALU_DEP_1) | instskip(SKIP_1) | instid1(VALU_DEP_1)
	v_pk_fma_f32 v[132:133], v[120:121], v[128:129], v[118:119] op_sel:[0,0,1] op_sel_hi:[1,1,0] neg_lo:[0,0,1] neg_hi:[0,0,1]
	v_pk_fma_f32 v[118:119], v[120:121], v[128:129], v[118:119] op_sel:[0,0,1] op_sel_hi:[1,0,0]
	v_mov_b32_e32 v133, v119
	ds_load_2addr_b64 v[118:121], v122 offset0:49 offset1:50
	v_pk_add_f32 v[6:7], v[6:7], v[134:135] neg_lo:[0,1] neg_hi:[0,1]
	v_pk_add_f32 v[34:35], v[34:35], v[132:133] neg_lo:[0,1] neg_hi:[0,1]
	s_wait_dscnt 0x0
	v_pk_mul_f32 v[132:133], v[118:119], v[130:131] op_sel:[0,1]
	s_delay_alu instid0(VALU_DEP_1) | instskip(SKIP_1) | instid1(VALU_DEP_1)
	v_pk_fma_f32 v[134:135], v[118:119], v[128:129], v[132:133] op_sel:[0,0,1] op_sel_hi:[1,1,0] neg_lo:[0,0,1] neg_hi:[0,0,1]
	v_pk_fma_f32 v[118:119], v[118:119], v[128:129], v[132:133] op_sel:[0,0,1] op_sel_hi:[1,0,0]
	v_mov_b32_e32 v135, v119
	v_pk_mul_f32 v[118:119], v[120:121], v[130:131] op_sel:[0,1]
	s_delay_alu instid0(VALU_DEP_1) | instskip(SKIP_1) | instid1(VALU_DEP_1)
	v_pk_fma_f32 v[132:133], v[120:121], v[128:129], v[118:119] op_sel:[0,0,1] op_sel_hi:[1,1,0] neg_lo:[0,0,1] neg_hi:[0,0,1]
	v_pk_fma_f32 v[118:119], v[120:121], v[128:129], v[118:119] op_sel:[0,0,1] op_sel_hi:[1,0,0]
	v_mov_b32_e32 v133, v119
	ds_load_2addr_b64 v[118:121], v122 offset0:51 offset1:52
	v_pk_add_f32 v[28:29], v[28:29], v[134:135] neg_lo:[0,1] neg_hi:[0,1]
	v_pk_add_f32 v[32:33], v[32:33], v[132:133] neg_lo:[0,1] neg_hi:[0,1]
	s_wait_dscnt 0x0
	v_dual_mul_f32 v132, v119, v131 :: v_dual_mul_f32 v134, v119, v128
	s_delay_alu instid0(VALU_DEP_1) | instskip(NEXT) | instid1(VALU_DEP_2)
	v_pk_fma_f32 v[132:133], v[118:119], v[50:51], v[132:133] op_sel_hi:[1,1,0] neg_lo:[0,0,1] neg_hi:[0,0,1]
	v_pk_fma_f32 v[118:119], v[118:119], v[50:51], v[134:135] op_sel:[1,0,0] op_sel_hi:[0,1,0]
	s_delay_alu instid0(VALU_DEP_1) | instskip(SKIP_1) | instid1(VALU_DEP_2)
	v_mov_b32_e32 v133, v119
	v_pk_mul_f32 v[118:119], v[120:121], v[130:131] op_sel:[0,1]
	v_pk_add_f32 v[8:9], v[8:9], v[132:133] neg_lo:[0,1] neg_hi:[0,1]
	s_delay_alu instid0(VALU_DEP_2) | instskip(SKIP_1) | instid1(VALU_DEP_1)
	v_pk_fma_f32 v[132:133], v[120:121], v[128:129], v[118:119] op_sel:[0,0,1] op_sel_hi:[1,1,0] neg_lo:[0,0,1] neg_hi:[0,0,1]
	v_pk_fma_f32 v[118:119], v[120:121], v[128:129], v[118:119] op_sel:[0,0,1] op_sel_hi:[1,0,0]
	v_mov_b32_e32 v133, v119
	ds_load_2addr_b64 v[118:121], v122 offset0:53 offset1:54
	v_pk_add_f32 v[26:27], v[26:27], v[132:133] neg_lo:[0,1] neg_hi:[0,1]
	s_wait_dscnt 0x0
	v_pk_mul_f32 v[132:133], v[118:119], v[130:131] op_sel:[0,1]
	s_delay_alu instid0(VALU_DEP_1) | instskip(SKIP_1) | instid1(VALU_DEP_1)
	v_pk_fma_f32 v[134:135], v[118:119], v[128:129], v[132:133] op_sel:[0,0,1] op_sel_hi:[1,1,0] neg_lo:[0,0,1] neg_hi:[0,0,1]
	v_pk_fma_f32 v[118:119], v[118:119], v[128:129], v[132:133] op_sel:[0,0,1] op_sel_hi:[1,0,0]
	v_mov_b32_e32 v135, v119
	v_pk_mul_f32 v[118:119], v[120:121], v[130:131] op_sel:[0,1]
	s_delay_alu instid0(VALU_DEP_2) | instskip(NEXT) | instid1(VALU_DEP_2)
	v_pk_add_f32 v[22:23], v[22:23], v[134:135] neg_lo:[0,1] neg_hi:[0,1]
	v_pk_fma_f32 v[132:133], v[120:121], v[128:129], v[118:119] op_sel:[0,0,1] op_sel_hi:[1,1,0] neg_lo:[0,0,1] neg_hi:[0,0,1]
	v_pk_fma_f32 v[118:119], v[120:121], v[128:129], v[118:119] op_sel:[0,0,1] op_sel_hi:[1,0,0]
	s_delay_alu instid0(VALU_DEP_1) | instskip(SKIP_4) | instid1(VALU_DEP_1)
	v_mov_b32_e32 v133, v119
	ds_load_b64 v[118:119], v122 offset:440
	v_pk_add_f32 v[20:21], v[20:21], v[132:133] neg_lo:[0,1] neg_hi:[0,1]
	s_wait_dscnt 0x0
	v_pk_mul_f32 v[120:121], v[118:119], v[130:131] op_sel:[0,1]
	v_pk_fma_f32 v[130:131], v[118:119], v[128:129], v[120:121] op_sel:[0,0,1] op_sel_hi:[1,1,0] neg_lo:[0,0,1] neg_hi:[0,0,1]
	v_pk_fma_f32 v[118:119], v[118:119], v[128:129], v[120:121] op_sel:[0,0,1] op_sel_hi:[1,0,0]
	s_delay_alu instid0(VALU_DEP_1) | instskip(NEXT) | instid1(VALU_DEP_1)
	v_mov_b32_e32 v131, v119
	v_pk_add_f32 v[116:117], v[116:117], v[130:131] neg_lo:[0,1] neg_hi:[0,1]
.LBB110_902:
	s_or_b32 exec_lo, exec_lo, s0
	v_lshl_add_u32 v118, v126, 3, v122
	s_barrier_signal -1
	s_barrier_wait -1
	ds_store_b64 v118, v[10:11]
	s_wait_dscnt 0x0
	s_barrier_signal -1
	s_barrier_wait -1
	ds_load_b64 v[118:119], v122 offset:344
	v_mov_b32_e32 v120, 43
	s_cmp_lt_i32 s18, 45
	s_cbranch_scc1 .LBB110_905
; %bb.903:
	v_add3_u32 v121, v123, 0, 0x160
	v_mov_b32_e32 v120, 43
	s_mov_b32 s0, 44
.LBB110_904:                            ; =>This Inner Loop Header: Depth=1
	ds_load_b64 v[128:129], v121
	s_wait_dscnt 0x1
	v_cmp_gt_f32_e32 vcc_lo, 0, v118
	v_cndmask_b32_e64 v130, v118, -v118, vcc_lo
	v_cmp_gt_f32_e32 vcc_lo, 0, v119
	v_cndmask_b32_e64 v132, v119, -v119, vcc_lo
	s_wait_dscnt 0x0
	v_cmp_gt_f32_e32 vcc_lo, 0, v128
	v_cndmask_b32_e64 v131, v128, -v128, vcc_lo
	v_cmp_gt_f32_e32 vcc_lo, 0, v129
	v_cndmask_b32_e64 v133, v129, -v129, vcc_lo
	s_delay_alu instid0(VALU_DEP_1) | instskip(NEXT) | instid1(VALU_DEP_1)
	v_pk_add_f32 v[130:131], v[130:131], v[132:133]
	v_cmp_lt_f32_e32 vcc_lo, v130, v131
	v_dual_cndmask_b32 v118, v118, v128 :: v_dual_add_nc_u32 v121, 8, v121
	v_cndmask_b32_e32 v119, v119, v129, vcc_lo
	v_cndmask_b32_e64 v120, v120, s0, vcc_lo
	s_add_co_i32 s0, s0, 1
	s_delay_alu instid0(SALU_CYCLE_1)
	s_cmp_lg_u32 s18, s0
	s_cbranch_scc1 .LBB110_904
.LBB110_905:
	s_wait_dscnt 0x0
	v_cmp_eq_f32_e32 vcc_lo, 0, v118
	v_cmp_eq_f32_e64 s0, 0, v119
	s_and_b32 s0, vcc_lo, s0
	s_delay_alu instid0(SALU_CYCLE_1) | instskip(NEXT) | instid1(SALU_CYCLE_1)
	s_and_saveexec_b32 s1, s0
	s_xor_b32 s0, exec_lo, s1
; %bb.906:
	v_cmp_ne_u32_e32 vcc_lo, 0, v124
	v_cndmask_b32_e32 v124, 44, v124, vcc_lo
; %bb.907:
	s_and_not1_saveexec_b32 s0, s0
	s_cbranch_execz .LBB110_913
; %bb.908:
	v_cmp_ngt_f32_e64 s1, |v118|, |v119|
	s_and_saveexec_b32 s12, s1
	s_delay_alu instid0(SALU_CYCLE_1)
	s_xor_b32 s1, exec_lo, s12
	s_cbranch_execz .LBB110_910
; %bb.909:
	v_div_scale_f32 v121, null, v119, v119, v118
	v_div_scale_f32 v129, vcc_lo, v118, v119, v118
	s_delay_alu instid0(VALU_DEP_2) | instskip(SKIP_1) | instid1(TRANS32_DEP_1)
	v_rcp_f32_e32 v127, v121
	v_nop
	v_fma_f32 v128, -v121, v127, 1.0
	s_delay_alu instid0(VALU_DEP_1) | instskip(NEXT) | instid1(VALU_DEP_1)
	v_fmac_f32_e32 v127, v128, v127
	v_mul_f32_e32 v128, v129, v127
	s_delay_alu instid0(VALU_DEP_1) | instskip(NEXT) | instid1(VALU_DEP_1)
	v_fma_f32 v130, -v121, v128, v129
	v_fmac_f32_e32 v128, v130, v127
	s_delay_alu instid0(VALU_DEP_1) | instskip(NEXT) | instid1(VALU_DEP_1)
	v_fma_f32 v121, -v121, v128, v129
	v_div_fmas_f32 v121, v121, v127, v128
	s_delay_alu instid0(VALU_DEP_1) | instskip(NEXT) | instid1(VALU_DEP_1)
	v_div_fixup_f32 v121, v121, v119, v118
	v_fmac_f32_e32 v119, v118, v121
	s_delay_alu instid0(VALU_DEP_1) | instskip(SKIP_1) | instid1(VALU_DEP_2)
	v_div_scale_f32 v118, null, v119, v119, 1.0
	v_div_scale_f32 v129, vcc_lo, 1.0, v119, 1.0
	v_rcp_f32_e32 v127, v118
	v_nop
	s_delay_alu instid0(TRANS32_DEP_1) | instskip(NEXT) | instid1(VALU_DEP_1)
	v_fma_f32 v128, -v118, v127, 1.0
	v_fmac_f32_e32 v127, v128, v127
	s_delay_alu instid0(VALU_DEP_1) | instskip(NEXT) | instid1(VALU_DEP_1)
	v_mul_f32_e32 v128, v129, v127
	v_fma_f32 v130, -v118, v128, v129
	s_delay_alu instid0(VALU_DEP_1) | instskip(NEXT) | instid1(VALU_DEP_1)
	v_fmac_f32_e32 v128, v130, v127
	v_fma_f32 v118, -v118, v128, v129
	s_delay_alu instid0(VALU_DEP_1) | instskip(NEXT) | instid1(VALU_DEP_1)
	v_div_fmas_f32 v118, v118, v127, v128
	v_div_fixup_f32 v119, v118, v119, 1.0
	s_delay_alu instid0(VALU_DEP_1)
	v_mul_f32_e32 v118, v121, v119
	v_xor_b32_e32 v119, 0x80000000, v119
.LBB110_910:
	s_and_not1_saveexec_b32 s1, s1
	s_cbranch_execz .LBB110_912
; %bb.911:
	s_delay_alu instid0(VALU_DEP_1) | instskip(SKIP_1) | instid1(VALU_DEP_2)
	v_div_scale_f32 v121, null, v118, v118, v119
	v_div_scale_f32 v129, vcc_lo, v119, v118, v119
	v_rcp_f32_e32 v127, v121
	v_nop
	s_delay_alu instid0(TRANS32_DEP_1) | instskip(NEXT) | instid1(VALU_DEP_1)
	v_fma_f32 v128, -v121, v127, 1.0
	v_fmac_f32_e32 v127, v128, v127
	s_delay_alu instid0(VALU_DEP_1) | instskip(NEXT) | instid1(VALU_DEP_1)
	v_mul_f32_e32 v128, v129, v127
	v_fma_f32 v130, -v121, v128, v129
	s_delay_alu instid0(VALU_DEP_1) | instskip(NEXT) | instid1(VALU_DEP_1)
	v_fmac_f32_e32 v128, v130, v127
	v_fma_f32 v121, -v121, v128, v129
	s_delay_alu instid0(VALU_DEP_1) | instskip(NEXT) | instid1(VALU_DEP_1)
	v_div_fmas_f32 v121, v121, v127, v128
	v_div_fixup_f32 v121, v121, v118, v119
	s_delay_alu instid0(VALU_DEP_1) | instskip(NEXT) | instid1(VALU_DEP_1)
	v_fmac_f32_e32 v118, v119, v121
	v_div_scale_f32 v119, null, v118, v118, 1.0
	s_delay_alu instid0(VALU_DEP_1) | instskip(SKIP_1) | instid1(TRANS32_DEP_1)
	v_rcp_f32_e32 v127, v119
	v_nop
	v_fma_f32 v128, -v119, v127, 1.0
	s_delay_alu instid0(VALU_DEP_1) | instskip(SKIP_1) | instid1(VALU_DEP_1)
	v_fmac_f32_e32 v127, v128, v127
	v_div_scale_f32 v128, vcc_lo, 1.0, v118, 1.0
	v_mul_f32_e32 v129, v128, v127
	s_delay_alu instid0(VALU_DEP_1) | instskip(NEXT) | instid1(VALU_DEP_1)
	v_fma_f32 v130, -v119, v129, v128
	v_fmac_f32_e32 v129, v130, v127
	s_delay_alu instid0(VALU_DEP_1) | instskip(NEXT) | instid1(VALU_DEP_1)
	v_fma_f32 v119, -v119, v129, v128
	v_div_fmas_f32 v119, v119, v127, v129
	s_delay_alu instid0(VALU_DEP_1) | instskip(NEXT) | instid1(VALU_DEP_1)
	v_div_fixup_f32 v118, v119, v118, 1.0
	v_mul_f32_e64 v119, v121, -v118
.LBB110_912:
	s_or_b32 exec_lo, exec_lo, s1
.LBB110_913:
	s_delay_alu instid0(SALU_CYCLE_1) | instskip(NEXT) | instid1(SALU_CYCLE_1)
	s_or_b32 exec_lo, exec_lo, s0
	s_mov_b32 s0, exec_lo
	v_cmpx_ne_u32_e64 v126, v120
	s_xor_b32 s0, exec_lo, s0
	s_cbranch_execz .LBB110_919
; %bb.914:
	s_mov_b32 s1, exec_lo
	v_cmpx_eq_u32_e32 43, v126
	s_cbranch_execz .LBB110_918
; %bb.915:
	v_cmp_ne_u32_e32 vcc_lo, 43, v120
	s_xor_b32 s12, s16, -1
	s_delay_alu instid0(SALU_CYCLE_1) | instskip(NEXT) | instid1(SALU_CYCLE_1)
	s_and_b32 s13, s12, vcc_lo
	s_and_saveexec_b32 s12, s13
	s_cbranch_execz .LBB110_917
; %bb.916:
	v_ashrrev_i32_e32 v121, 31, v120
	s_delay_alu instid0(VALU_DEP_1)
	v_lshl_add_u64 v[126:127], v[120:121], 2, v[4:5]
	s_clause 0x1
	global_load_b32 v121, v[126:127], off
	global_load_b32 v125, v[4:5], off offset:172
	s_wait_loadcnt 0x1
	global_store_b32 v[4:5], v121, off offset:172
	s_wait_loadcnt 0x0
	global_store_b32 v[126:127], v125, off
.LBB110_917:
	s_wait_xcnt 0x0
	s_or_b32 exec_lo, exec_lo, s12
	v_dual_mov_b32 v126, v120 :: v_dual_mov_b32 v125, v120
.LBB110_918:
	s_or_b32 exec_lo, exec_lo, s1
.LBB110_919:
	s_and_not1_saveexec_b32 s0, s0
	s_cbranch_execz .LBB110_921
; %bb.920:
	v_dual_mov_b32 v120, v46 :: v_dual_mov_b32 v121, v47
	v_dual_mov_b32 v126, v42 :: v_dual_mov_b32 v127, v43
	;; [unrolled: 1-line block ×4, first 2 shown]
	ds_store_2addr_b64 v122, v[120:121], v[126:127] offset0:44 offset1:45
	ds_store_2addr_b64 v122, v[128:129], v[130:131] offset0:46 offset1:47
	v_dual_mov_b32 v120, v34 :: v_dual_mov_b32 v121, v35
	v_dual_mov_b32 v128, v28 :: v_dual_mov_b32 v129, v29
	;; [unrolled: 1-line block ×7, first 2 shown]
	v_mov_b32_e32 v139, v21
	ds_store_2addr_b64 v122, v[120:121], v[128:129] offset0:48 offset1:49
	ds_store_2addr_b64 v122, v[130:131], v[132:133] offset0:50 offset1:51
	;; [unrolled: 1-line block ×4, first 2 shown]
.LBB110_921:
	s_or_b32 exec_lo, exec_lo, s0
	s_delay_alu instid0(SALU_CYCLE_1)
	s_mov_b32 s0, exec_lo
	s_wait_storecnt_dscnt 0x0
	s_barrier_signal -1
	s_barrier_wait -1
	v_cmpx_lt_i32_e32 43, v126
	s_cbranch_execz .LBB110_923
; %bb.922:
	v_pk_mul_f32 v[120:121], v[118:119], v[10:11] op_sel:[1,1] op_sel_hi:[0,1]
	s_delay_alu instid0(VALU_DEP_1)
	v_pk_fma_f32 v[128:129], v[118:119], v[10:11], v[120:121] op_sel_hi:[1,0,1] neg_lo:[0,0,1] neg_hi:[0,0,1]
	v_pk_fma_f32 v[130:131], v[118:119], v[10:11], v[120:121] op_sel_hi:[1,0,1]
	ds_load_2addr_b64 v[118:121], v122 offset0:44 offset1:45
	v_dual_mov_b32 v10, v128 :: v_dual_mov_b32 v11, v131
	s_wait_dscnt 0x0
	v_pk_mul_f32 v[132:133], v[118:119], v[130:131] op_sel:[0,1]
	s_delay_alu instid0(VALU_DEP_1) | instskip(SKIP_1) | instid1(VALU_DEP_1)
	v_pk_fma_f32 v[134:135], v[118:119], v[128:129], v[132:133] op_sel:[0,0,1] op_sel_hi:[1,1,0] neg_lo:[0,0,1] neg_hi:[0,0,1]
	v_pk_fma_f32 v[118:119], v[118:119], v[128:129], v[132:133] op_sel:[0,0,1] op_sel_hi:[1,0,0]
	v_mov_b32_e32 v135, v119
	v_pk_mul_f32 v[118:119], v[120:121], v[130:131] op_sel:[0,1]
	s_delay_alu instid0(VALU_DEP_1) | instskip(SKIP_1) | instid1(VALU_DEP_1)
	v_pk_fma_f32 v[132:133], v[120:121], v[128:129], v[118:119] op_sel:[0,0,1] op_sel_hi:[1,1,0] neg_lo:[0,0,1] neg_hi:[0,0,1]
	v_pk_fma_f32 v[118:119], v[120:121], v[128:129], v[118:119] op_sel:[0,0,1] op_sel_hi:[1,0,0]
	v_mov_b32_e32 v133, v119
	ds_load_2addr_b64 v[118:121], v122 offset0:46 offset1:47
	v_pk_add_f32 v[46:47], v[46:47], v[134:135] neg_lo:[0,1] neg_hi:[0,1]
	v_pk_add_f32 v[42:43], v[42:43], v[132:133] neg_lo:[0,1] neg_hi:[0,1]
	s_wait_dscnt 0x0
	v_pk_mul_f32 v[132:133], v[118:119], v[130:131] op_sel:[0,1]
	s_delay_alu instid0(VALU_DEP_1) | instskip(SKIP_2) | instid1(VALU_DEP_2)
	v_pk_fma_f32 v[134:135], v[118:119], v[128:129], v[132:133] op_sel:[0,0,1] op_sel_hi:[1,1,0] neg_lo:[0,0,1] neg_hi:[0,0,1]
	v_pk_fma_f32 v[118:119], v[118:119], v[128:129], v[132:133] op_sel:[0,0,1] op_sel_hi:[1,0,0]
	v_dual_mul_f32 v132, v121, v131 :: v_dual_mov_b32 v118, v121
	v_dual_mov_b32 v135, v119 :: v_dual_mov_b32 v119, v120
	s_delay_alu instid0(VALU_DEP_2) | instskip(SKIP_1) | instid1(VALU_DEP_3)
	v_pk_fma_f32 v[132:133], v[120:121], v[10:11], v[132:133] op_sel_hi:[1,1,0] neg_lo:[0,0,1] neg_hi:[0,0,1]
	v_mul_f32_e32 v120, v121, v128
	v_pk_add_f32 v[44:45], v[44:45], v[134:135] neg_lo:[0,1] neg_hi:[0,1]
	s_delay_alu instid0(VALU_DEP_2) | instskip(NEXT) | instid1(VALU_DEP_1)
	v_pk_fma_f32 v[118:119], v[118:119], v[10:11], v[120:121] op_sel_hi:[1,1,0]
	v_mov_b32_e32 v133, v119
	ds_load_2addr_b64 v[118:121], v122 offset0:48 offset1:49
	v_pk_add_f32 v[6:7], v[6:7], v[132:133] neg_lo:[0,1] neg_hi:[0,1]
	s_wait_dscnt 0x0
	v_pk_mul_f32 v[132:133], v[118:119], v[130:131] op_sel:[0,1]
	s_delay_alu instid0(VALU_DEP_1) | instskip(SKIP_1) | instid1(VALU_DEP_1)
	v_pk_fma_f32 v[134:135], v[118:119], v[128:129], v[132:133] op_sel:[0,0,1] op_sel_hi:[1,1,0] neg_lo:[0,0,1] neg_hi:[0,0,1]
	v_pk_fma_f32 v[118:119], v[118:119], v[128:129], v[132:133] op_sel:[0,0,1] op_sel_hi:[1,0,0]
	v_mov_b32_e32 v135, v119
	v_pk_mul_f32 v[118:119], v[120:121], v[130:131] op_sel:[0,1]
	s_delay_alu instid0(VALU_DEP_1) | instskip(SKIP_1) | instid1(VALU_DEP_1)
	v_pk_fma_f32 v[132:133], v[120:121], v[128:129], v[118:119] op_sel:[0,0,1] op_sel_hi:[1,1,0] neg_lo:[0,0,1] neg_hi:[0,0,1]
	v_pk_fma_f32 v[118:119], v[120:121], v[128:129], v[118:119] op_sel:[0,0,1] op_sel_hi:[1,0,0]
	v_mov_b32_e32 v133, v119
	ds_load_2addr_b64 v[118:121], v122 offset0:50 offset1:51
	v_pk_add_f32 v[34:35], v[34:35], v[134:135] neg_lo:[0,1] neg_hi:[0,1]
	v_pk_add_f32 v[28:29], v[28:29], v[132:133] neg_lo:[0,1] neg_hi:[0,1]
	s_wait_dscnt 0x0
	v_pk_mul_f32 v[132:133], v[118:119], v[130:131] op_sel:[0,1]
	s_delay_alu instid0(VALU_DEP_1) | instskip(SKIP_1) | instid1(VALU_DEP_1)
	v_pk_fma_f32 v[134:135], v[118:119], v[128:129], v[132:133] op_sel:[0,0,1] op_sel_hi:[1,1,0] neg_lo:[0,0,1] neg_hi:[0,0,1]
	v_pk_fma_f32 v[118:119], v[118:119], v[128:129], v[132:133] op_sel:[0,0,1] op_sel_hi:[1,0,0]
	v_mov_b32_e32 v135, v119
	v_pk_mul_f32 v[118:119], v[120:121], v[130:131] op_sel:[0,1]
	s_delay_alu instid0(VALU_DEP_1) | instskip(SKIP_1) | instid1(VALU_DEP_1)
	v_pk_fma_f32 v[132:133], v[120:121], v[128:129], v[118:119] op_sel:[0,0,1] op_sel_hi:[1,1,0] neg_lo:[0,0,1] neg_hi:[0,0,1]
	v_pk_fma_f32 v[118:119], v[120:121], v[128:129], v[118:119] op_sel:[0,0,1] op_sel_hi:[1,0,0]
	v_mov_b32_e32 v133, v119
	ds_load_2addr_b64 v[118:121], v122 offset0:52 offset1:53
	v_pk_add_f32 v[32:33], v[32:33], v[134:135] neg_lo:[0,1] neg_hi:[0,1]
	v_pk_add_f32 v[8:9], v[8:9], v[132:133] neg_lo:[0,1] neg_hi:[0,1]
	s_wait_dscnt 0x0
	v_dual_mul_f32 v132, v119, v131 :: v_dual_mul_f32 v134, v119, v128
	s_delay_alu instid0(VALU_DEP_1) | instskip(NEXT) | instid1(VALU_DEP_2)
	v_pk_fma_f32 v[132:133], v[118:119], v[10:11], v[132:133] op_sel_hi:[1,1,0] neg_lo:[0,0,1] neg_hi:[0,0,1]
	v_pk_fma_f32 v[118:119], v[118:119], v[10:11], v[134:135] op_sel:[1,0,0] op_sel_hi:[0,1,0]
	s_delay_alu instid0(VALU_DEP_1) | instskip(SKIP_1) | instid1(VALU_DEP_2)
	v_mov_b32_e32 v133, v119
	v_pk_mul_f32 v[118:119], v[120:121], v[130:131] op_sel:[0,1]
	v_pk_add_f32 v[26:27], v[26:27], v[132:133] neg_lo:[0,1] neg_hi:[0,1]
	s_delay_alu instid0(VALU_DEP_2) | instskip(SKIP_1) | instid1(VALU_DEP_1)
	v_pk_fma_f32 v[132:133], v[120:121], v[128:129], v[118:119] op_sel:[0,0,1] op_sel_hi:[1,1,0] neg_lo:[0,0,1] neg_hi:[0,0,1]
	v_pk_fma_f32 v[118:119], v[120:121], v[128:129], v[118:119] op_sel:[0,0,1] op_sel_hi:[1,0,0]
	v_mov_b32_e32 v133, v119
	ds_load_2addr_b64 v[118:121], v122 offset0:54 offset1:55
	v_pk_add_f32 v[22:23], v[22:23], v[132:133] neg_lo:[0,1] neg_hi:[0,1]
	s_wait_dscnt 0x0
	v_pk_mul_f32 v[132:133], v[118:119], v[130:131] op_sel:[0,1]
	v_mul_f32_e32 v130, v121, v131
	s_delay_alu instid0(VALU_DEP_2) | instskip(SKIP_2) | instid1(VALU_DEP_4)
	v_pk_fma_f32 v[134:135], v[118:119], v[128:129], v[132:133] op_sel:[0,0,1] op_sel_hi:[1,1,0] neg_lo:[0,0,1] neg_hi:[0,0,1]
	v_pk_fma_f32 v[118:119], v[118:119], v[128:129], v[132:133] op_sel:[0,0,1] op_sel_hi:[1,0,0]
	v_mov_b32_e32 v118, v121
	v_pk_fma_f32 v[130:131], v[120:121], v[10:11], v[130:131] op_sel_hi:[1,1,0] neg_lo:[0,0,1] neg_hi:[0,0,1]
	s_delay_alu instid0(VALU_DEP_3) | instskip(SKIP_1) | instid1(VALU_DEP_2)
	v_dual_mov_b32 v135, v119 :: v_dual_mov_b32 v119, v120
	v_mul_f32_e32 v120, v121, v128
	v_pk_add_f32 v[20:21], v[20:21], v[134:135] neg_lo:[0,1] neg_hi:[0,1]
	s_delay_alu instid0(VALU_DEP_2) | instskip(NEXT) | instid1(VALU_DEP_1)
	v_pk_fma_f32 v[118:119], v[118:119], v[10:11], v[120:121] op_sel_hi:[1,1,0]
	v_mov_b32_e32 v131, v119
	s_delay_alu instid0(VALU_DEP_1)
	v_pk_add_f32 v[116:117], v[116:117], v[130:131] neg_lo:[0,1] neg_hi:[0,1]
.LBB110_923:
	s_or_b32 exec_lo, exec_lo, s0
	v_lshl_add_u32 v118, v126, 3, v122
	s_barrier_signal -1
	s_barrier_wait -1
	ds_store_b64 v118, v[46:47]
	s_wait_dscnt 0x0
	s_barrier_signal -1
	s_barrier_wait -1
	ds_load_b64 v[118:119], v122 offset:352
	v_mov_b32_e32 v120, 44
	s_cmp_lt_i32 s18, 46
	s_cbranch_scc1 .LBB110_926
; %bb.924:
	v_add3_u32 v121, v123, 0, 0x168
	v_mov_b32_e32 v120, 44
	s_mov_b32 s0, 45
.LBB110_925:                            ; =>This Inner Loop Header: Depth=1
	ds_load_b64 v[128:129], v121
	s_wait_dscnt 0x1
	v_cmp_gt_f32_e32 vcc_lo, 0, v118
	v_cndmask_b32_e64 v130, v118, -v118, vcc_lo
	v_cmp_gt_f32_e32 vcc_lo, 0, v119
	v_cndmask_b32_e64 v132, v119, -v119, vcc_lo
	s_wait_dscnt 0x0
	v_cmp_gt_f32_e32 vcc_lo, 0, v128
	v_cndmask_b32_e64 v131, v128, -v128, vcc_lo
	v_cmp_gt_f32_e32 vcc_lo, 0, v129
	v_cndmask_b32_e64 v133, v129, -v129, vcc_lo
	s_delay_alu instid0(VALU_DEP_1) | instskip(NEXT) | instid1(VALU_DEP_1)
	v_pk_add_f32 v[130:131], v[130:131], v[132:133]
	v_cmp_lt_f32_e32 vcc_lo, v130, v131
	v_dual_cndmask_b32 v118, v118, v128 :: v_dual_add_nc_u32 v121, 8, v121
	v_cndmask_b32_e32 v119, v119, v129, vcc_lo
	v_cndmask_b32_e64 v120, v120, s0, vcc_lo
	s_add_co_i32 s0, s0, 1
	s_delay_alu instid0(SALU_CYCLE_1)
	s_cmp_lg_u32 s18, s0
	s_cbranch_scc1 .LBB110_925
.LBB110_926:
	s_wait_dscnt 0x0
	v_cmp_eq_f32_e32 vcc_lo, 0, v118
	v_cmp_eq_f32_e64 s0, 0, v119
	s_and_b32 s0, vcc_lo, s0
	s_delay_alu instid0(SALU_CYCLE_1) | instskip(NEXT) | instid1(SALU_CYCLE_1)
	s_and_saveexec_b32 s1, s0
	s_xor_b32 s0, exec_lo, s1
; %bb.927:
	v_cmp_ne_u32_e32 vcc_lo, 0, v124
	v_cndmask_b32_e32 v124, 45, v124, vcc_lo
; %bb.928:
	s_and_not1_saveexec_b32 s0, s0
	s_cbranch_execz .LBB110_934
; %bb.929:
	v_cmp_ngt_f32_e64 s1, |v118|, |v119|
	s_and_saveexec_b32 s12, s1
	s_delay_alu instid0(SALU_CYCLE_1)
	s_xor_b32 s1, exec_lo, s12
	s_cbranch_execz .LBB110_931
; %bb.930:
	v_div_scale_f32 v121, null, v119, v119, v118
	v_div_scale_f32 v129, vcc_lo, v118, v119, v118
	s_delay_alu instid0(VALU_DEP_2) | instskip(SKIP_1) | instid1(TRANS32_DEP_1)
	v_rcp_f32_e32 v127, v121
	v_nop
	v_fma_f32 v128, -v121, v127, 1.0
	s_delay_alu instid0(VALU_DEP_1) | instskip(NEXT) | instid1(VALU_DEP_1)
	v_fmac_f32_e32 v127, v128, v127
	v_mul_f32_e32 v128, v129, v127
	s_delay_alu instid0(VALU_DEP_1) | instskip(NEXT) | instid1(VALU_DEP_1)
	v_fma_f32 v130, -v121, v128, v129
	v_fmac_f32_e32 v128, v130, v127
	s_delay_alu instid0(VALU_DEP_1) | instskip(NEXT) | instid1(VALU_DEP_1)
	v_fma_f32 v121, -v121, v128, v129
	v_div_fmas_f32 v121, v121, v127, v128
	s_delay_alu instid0(VALU_DEP_1) | instskip(NEXT) | instid1(VALU_DEP_1)
	v_div_fixup_f32 v121, v121, v119, v118
	v_fmac_f32_e32 v119, v118, v121
	s_delay_alu instid0(VALU_DEP_1) | instskip(SKIP_1) | instid1(VALU_DEP_2)
	v_div_scale_f32 v118, null, v119, v119, 1.0
	v_div_scale_f32 v129, vcc_lo, 1.0, v119, 1.0
	v_rcp_f32_e32 v127, v118
	v_nop
	s_delay_alu instid0(TRANS32_DEP_1) | instskip(NEXT) | instid1(VALU_DEP_1)
	v_fma_f32 v128, -v118, v127, 1.0
	v_fmac_f32_e32 v127, v128, v127
	s_delay_alu instid0(VALU_DEP_1) | instskip(NEXT) | instid1(VALU_DEP_1)
	v_mul_f32_e32 v128, v129, v127
	v_fma_f32 v130, -v118, v128, v129
	s_delay_alu instid0(VALU_DEP_1) | instskip(NEXT) | instid1(VALU_DEP_1)
	v_fmac_f32_e32 v128, v130, v127
	v_fma_f32 v118, -v118, v128, v129
	s_delay_alu instid0(VALU_DEP_1) | instskip(NEXT) | instid1(VALU_DEP_1)
	v_div_fmas_f32 v118, v118, v127, v128
	v_div_fixup_f32 v119, v118, v119, 1.0
	s_delay_alu instid0(VALU_DEP_1)
	v_mul_f32_e32 v118, v121, v119
	v_xor_b32_e32 v119, 0x80000000, v119
.LBB110_931:
	s_and_not1_saveexec_b32 s1, s1
	s_cbranch_execz .LBB110_933
; %bb.932:
	s_delay_alu instid0(VALU_DEP_1) | instskip(SKIP_1) | instid1(VALU_DEP_2)
	v_div_scale_f32 v121, null, v118, v118, v119
	v_div_scale_f32 v129, vcc_lo, v119, v118, v119
	v_rcp_f32_e32 v127, v121
	v_nop
	s_delay_alu instid0(TRANS32_DEP_1) | instskip(NEXT) | instid1(VALU_DEP_1)
	v_fma_f32 v128, -v121, v127, 1.0
	v_fmac_f32_e32 v127, v128, v127
	s_delay_alu instid0(VALU_DEP_1) | instskip(NEXT) | instid1(VALU_DEP_1)
	v_mul_f32_e32 v128, v129, v127
	v_fma_f32 v130, -v121, v128, v129
	s_delay_alu instid0(VALU_DEP_1) | instskip(NEXT) | instid1(VALU_DEP_1)
	v_fmac_f32_e32 v128, v130, v127
	v_fma_f32 v121, -v121, v128, v129
	s_delay_alu instid0(VALU_DEP_1) | instskip(NEXT) | instid1(VALU_DEP_1)
	v_div_fmas_f32 v121, v121, v127, v128
	v_div_fixup_f32 v121, v121, v118, v119
	s_delay_alu instid0(VALU_DEP_1) | instskip(NEXT) | instid1(VALU_DEP_1)
	v_fmac_f32_e32 v118, v119, v121
	v_div_scale_f32 v119, null, v118, v118, 1.0
	s_delay_alu instid0(VALU_DEP_1) | instskip(SKIP_1) | instid1(TRANS32_DEP_1)
	v_rcp_f32_e32 v127, v119
	v_nop
	v_fma_f32 v128, -v119, v127, 1.0
	s_delay_alu instid0(VALU_DEP_1) | instskip(SKIP_1) | instid1(VALU_DEP_1)
	v_fmac_f32_e32 v127, v128, v127
	v_div_scale_f32 v128, vcc_lo, 1.0, v118, 1.0
	v_mul_f32_e32 v129, v128, v127
	s_delay_alu instid0(VALU_DEP_1) | instskip(NEXT) | instid1(VALU_DEP_1)
	v_fma_f32 v130, -v119, v129, v128
	v_fmac_f32_e32 v129, v130, v127
	s_delay_alu instid0(VALU_DEP_1) | instskip(NEXT) | instid1(VALU_DEP_1)
	v_fma_f32 v119, -v119, v129, v128
	v_div_fmas_f32 v119, v119, v127, v129
	s_delay_alu instid0(VALU_DEP_1) | instskip(NEXT) | instid1(VALU_DEP_1)
	v_div_fixup_f32 v118, v119, v118, 1.0
	v_mul_f32_e64 v119, v121, -v118
.LBB110_933:
	s_or_b32 exec_lo, exec_lo, s1
.LBB110_934:
	s_delay_alu instid0(SALU_CYCLE_1) | instskip(NEXT) | instid1(SALU_CYCLE_1)
	s_or_b32 exec_lo, exec_lo, s0
	s_mov_b32 s0, exec_lo
	v_cmpx_ne_u32_e64 v126, v120
	s_xor_b32 s0, exec_lo, s0
	s_cbranch_execz .LBB110_940
; %bb.935:
	s_mov_b32 s1, exec_lo
	v_cmpx_eq_u32_e32 44, v126
	s_cbranch_execz .LBB110_939
; %bb.936:
	v_cmp_ne_u32_e32 vcc_lo, 44, v120
	s_xor_b32 s12, s16, -1
	s_delay_alu instid0(SALU_CYCLE_1) | instskip(NEXT) | instid1(SALU_CYCLE_1)
	s_and_b32 s13, s12, vcc_lo
	s_and_saveexec_b32 s12, s13
	s_cbranch_execz .LBB110_938
; %bb.937:
	v_ashrrev_i32_e32 v121, 31, v120
	s_delay_alu instid0(VALU_DEP_1)
	v_lshl_add_u64 v[126:127], v[120:121], 2, v[4:5]
	s_clause 0x1
	global_load_b32 v121, v[126:127], off
	global_load_b32 v125, v[4:5], off offset:176
	s_wait_loadcnt 0x1
	global_store_b32 v[4:5], v121, off offset:176
	s_wait_loadcnt 0x0
	global_store_b32 v[126:127], v125, off
.LBB110_938:
	s_wait_xcnt 0x0
	s_or_b32 exec_lo, exec_lo, s12
	v_dual_mov_b32 v126, v120 :: v_dual_mov_b32 v125, v120
.LBB110_939:
	s_or_b32 exec_lo, exec_lo, s1
.LBB110_940:
	s_and_not1_saveexec_b32 s0, s0
	s_cbranch_execz .LBB110_942
; %bb.941:
	v_mov_b32_e32 v126, 44
	ds_store_2addr_b64 v122, v[42:43], v[44:45] offset0:45 offset1:46
	ds_store_2addr_b64 v122, v[6:7], v[34:35] offset0:47 offset1:48
	;; [unrolled: 1-line block ×5, first 2 shown]
	ds_store_b64 v122, v[116:117] offset:440
.LBB110_942:
	s_or_b32 exec_lo, exec_lo, s0
	s_delay_alu instid0(SALU_CYCLE_1)
	s_mov_b32 s0, exec_lo
	s_wait_storecnt_dscnt 0x0
	s_barrier_signal -1
	s_barrier_wait -1
	v_cmpx_lt_i32_e32 44, v126
	s_cbranch_execz .LBB110_944
; %bb.943:
	v_pk_mul_f32 v[120:121], v[118:119], v[46:47] op_sel:[1,1] op_sel_hi:[0,1]
	s_delay_alu instid0(VALU_DEP_1)
	v_pk_fma_f32 v[128:129], v[118:119], v[46:47], v[120:121] op_sel_hi:[1,0,1] neg_lo:[0,0,1] neg_hi:[0,0,1]
	v_pk_fma_f32 v[130:131], v[118:119], v[46:47], v[120:121] op_sel_hi:[1,0,1]
	ds_load_2addr_b64 v[118:121], v122 offset0:45 offset1:46
	v_dual_mov_b32 v46, v128 :: v_dual_mov_b32 v47, v131
	s_wait_dscnt 0x0
	v_pk_mul_f32 v[132:133], v[118:119], v[130:131] op_sel:[0,1]
	s_delay_alu instid0(VALU_DEP_1) | instskip(SKIP_1) | instid1(VALU_DEP_1)
	v_pk_fma_f32 v[134:135], v[118:119], v[128:129], v[132:133] op_sel:[0,0,1] op_sel_hi:[1,1,0] neg_lo:[0,0,1] neg_hi:[0,0,1]
	v_pk_fma_f32 v[118:119], v[118:119], v[128:129], v[132:133] op_sel:[0,0,1] op_sel_hi:[1,0,0]
	v_mov_b32_e32 v135, v119
	v_pk_mul_f32 v[118:119], v[120:121], v[130:131] op_sel:[0,1]
	s_delay_alu instid0(VALU_DEP_1) | instskip(SKIP_1) | instid1(VALU_DEP_1)
	v_pk_fma_f32 v[132:133], v[120:121], v[128:129], v[118:119] op_sel:[0,0,1] op_sel_hi:[1,1,0] neg_lo:[0,0,1] neg_hi:[0,0,1]
	v_pk_fma_f32 v[118:119], v[120:121], v[128:129], v[118:119] op_sel:[0,0,1] op_sel_hi:[1,0,0]
	v_mov_b32_e32 v133, v119
	ds_load_2addr_b64 v[118:121], v122 offset0:47 offset1:48
	v_pk_add_f32 v[42:43], v[42:43], v[134:135] neg_lo:[0,1] neg_hi:[0,1]
	v_pk_add_f32 v[44:45], v[44:45], v[132:133] neg_lo:[0,1] neg_hi:[0,1]
	s_wait_dscnt 0x0
	v_pk_mul_f32 v[132:133], v[118:119], v[130:131] op_sel:[0,1]
	s_delay_alu instid0(VALU_DEP_1) | instskip(SKIP_2) | instid1(VALU_DEP_2)
	v_pk_fma_f32 v[134:135], v[118:119], v[128:129], v[132:133] op_sel:[0,0,1] op_sel_hi:[1,1,0] neg_lo:[0,0,1] neg_hi:[0,0,1]
	v_pk_fma_f32 v[118:119], v[118:119], v[128:129], v[132:133] op_sel:[0,0,1] op_sel_hi:[1,0,0]
	v_dual_mul_f32 v132, v121, v131 :: v_dual_mov_b32 v118, v121
	v_dual_mov_b32 v135, v119 :: v_dual_mov_b32 v119, v120
	s_delay_alu instid0(VALU_DEP_2) | instskip(SKIP_1) | instid1(VALU_DEP_3)
	v_pk_fma_f32 v[132:133], v[120:121], v[46:47], v[132:133] op_sel_hi:[1,1,0] neg_lo:[0,0,1] neg_hi:[0,0,1]
	v_mul_f32_e32 v120, v121, v128
	v_pk_add_f32 v[6:7], v[6:7], v[134:135] neg_lo:[0,1] neg_hi:[0,1]
	s_delay_alu instid0(VALU_DEP_2) | instskip(NEXT) | instid1(VALU_DEP_1)
	v_pk_fma_f32 v[118:119], v[118:119], v[46:47], v[120:121] op_sel_hi:[1,1,0]
	v_mov_b32_e32 v133, v119
	ds_load_2addr_b64 v[118:121], v122 offset0:49 offset1:50
	v_pk_add_f32 v[34:35], v[34:35], v[132:133] neg_lo:[0,1] neg_hi:[0,1]
	s_wait_dscnt 0x0
	v_pk_mul_f32 v[132:133], v[118:119], v[130:131] op_sel:[0,1]
	s_delay_alu instid0(VALU_DEP_1) | instskip(SKIP_1) | instid1(VALU_DEP_1)
	v_pk_fma_f32 v[134:135], v[118:119], v[128:129], v[132:133] op_sel:[0,0,1] op_sel_hi:[1,1,0] neg_lo:[0,0,1] neg_hi:[0,0,1]
	v_pk_fma_f32 v[118:119], v[118:119], v[128:129], v[132:133] op_sel:[0,0,1] op_sel_hi:[1,0,0]
	v_mov_b32_e32 v135, v119
	v_pk_mul_f32 v[118:119], v[120:121], v[130:131] op_sel:[0,1]
	s_delay_alu instid0(VALU_DEP_1) | instskip(SKIP_1) | instid1(VALU_DEP_1)
	v_pk_fma_f32 v[132:133], v[120:121], v[128:129], v[118:119] op_sel:[0,0,1] op_sel_hi:[1,1,0] neg_lo:[0,0,1] neg_hi:[0,0,1]
	v_pk_fma_f32 v[118:119], v[120:121], v[128:129], v[118:119] op_sel:[0,0,1] op_sel_hi:[1,0,0]
	v_mov_b32_e32 v133, v119
	ds_load_2addr_b64 v[118:121], v122 offset0:51 offset1:52
	v_pk_add_f32 v[28:29], v[28:29], v[134:135] neg_lo:[0,1] neg_hi:[0,1]
	v_pk_add_f32 v[32:33], v[32:33], v[132:133] neg_lo:[0,1] neg_hi:[0,1]
	s_wait_dscnt 0x0
	v_pk_mul_f32 v[132:133], v[118:119], v[130:131] op_sel:[0,1]
	s_delay_alu instid0(VALU_DEP_1) | instskip(SKIP_1) | instid1(VALU_DEP_1)
	v_pk_fma_f32 v[134:135], v[118:119], v[128:129], v[132:133] op_sel:[0,0,1] op_sel_hi:[1,1,0] neg_lo:[0,0,1] neg_hi:[0,0,1]
	v_pk_fma_f32 v[118:119], v[118:119], v[128:129], v[132:133] op_sel:[0,0,1] op_sel_hi:[1,0,0]
	v_mov_b32_e32 v135, v119
	v_pk_mul_f32 v[118:119], v[120:121], v[130:131] op_sel:[0,1]
	s_delay_alu instid0(VALU_DEP_1) | instskip(SKIP_1) | instid1(VALU_DEP_1)
	v_pk_fma_f32 v[132:133], v[120:121], v[128:129], v[118:119] op_sel:[0,0,1] op_sel_hi:[1,1,0] neg_lo:[0,0,1] neg_hi:[0,0,1]
	v_pk_fma_f32 v[118:119], v[120:121], v[128:129], v[118:119] op_sel:[0,0,1] op_sel_hi:[1,0,0]
	v_mov_b32_e32 v133, v119
	ds_load_2addr_b64 v[118:121], v122 offset0:53 offset1:54
	v_pk_add_f32 v[8:9], v[8:9], v[134:135] neg_lo:[0,1] neg_hi:[0,1]
	v_pk_add_f32 v[26:27], v[26:27], v[132:133] neg_lo:[0,1] neg_hi:[0,1]
	s_wait_dscnt 0x0
	v_dual_mul_f32 v132, v119, v131 :: v_dual_mul_f32 v134, v119, v128
	s_delay_alu instid0(VALU_DEP_1) | instskip(NEXT) | instid1(VALU_DEP_2)
	v_pk_fma_f32 v[132:133], v[118:119], v[46:47], v[132:133] op_sel_hi:[1,1,0] neg_lo:[0,0,1] neg_hi:[0,0,1]
	v_pk_fma_f32 v[118:119], v[118:119], v[46:47], v[134:135] op_sel:[1,0,0] op_sel_hi:[0,1,0]
	s_delay_alu instid0(VALU_DEP_1) | instskip(SKIP_1) | instid1(VALU_DEP_2)
	v_mov_b32_e32 v133, v119
	v_pk_mul_f32 v[118:119], v[120:121], v[130:131] op_sel:[0,1]
	v_pk_add_f32 v[22:23], v[22:23], v[132:133] neg_lo:[0,1] neg_hi:[0,1]
	s_delay_alu instid0(VALU_DEP_2) | instskip(SKIP_1) | instid1(VALU_DEP_1)
	v_pk_fma_f32 v[132:133], v[120:121], v[128:129], v[118:119] op_sel:[0,0,1] op_sel_hi:[1,1,0] neg_lo:[0,0,1] neg_hi:[0,0,1]
	v_pk_fma_f32 v[118:119], v[120:121], v[128:129], v[118:119] op_sel:[0,0,1] op_sel_hi:[1,0,0]
	v_mov_b32_e32 v133, v119
	ds_load_b64 v[118:119], v122 offset:440
	v_pk_add_f32 v[20:21], v[20:21], v[132:133] neg_lo:[0,1] neg_hi:[0,1]
	s_wait_dscnt 0x0
	v_pk_mul_f32 v[120:121], v[118:119], v[130:131] op_sel:[0,1]
	s_delay_alu instid0(VALU_DEP_1) | instskip(SKIP_1) | instid1(VALU_DEP_1)
	v_pk_fma_f32 v[130:131], v[118:119], v[128:129], v[120:121] op_sel:[0,0,1] op_sel_hi:[1,1,0] neg_lo:[0,0,1] neg_hi:[0,0,1]
	v_pk_fma_f32 v[118:119], v[118:119], v[128:129], v[120:121] op_sel:[0,0,1] op_sel_hi:[1,0,0]
	v_mov_b32_e32 v131, v119
	s_delay_alu instid0(VALU_DEP_1)
	v_pk_add_f32 v[116:117], v[116:117], v[130:131] neg_lo:[0,1] neg_hi:[0,1]
.LBB110_944:
	s_or_b32 exec_lo, exec_lo, s0
	v_lshl_add_u32 v118, v126, 3, v122
	s_barrier_signal -1
	s_barrier_wait -1
	ds_store_b64 v118, v[42:43]
	s_wait_dscnt 0x0
	s_barrier_signal -1
	s_barrier_wait -1
	ds_load_b64 v[118:119], v122 offset:360
	v_mov_b32_e32 v120, 45
	s_cmp_lt_i32 s18, 47
	s_cbranch_scc1 .LBB110_947
; %bb.945:
	v_add3_u32 v121, v123, 0, 0x170
	v_mov_b32_e32 v120, 45
	s_mov_b32 s0, 46
.LBB110_946:                            ; =>This Inner Loop Header: Depth=1
	ds_load_b64 v[128:129], v121
	s_wait_dscnt 0x1
	v_cmp_gt_f32_e32 vcc_lo, 0, v118
	v_cndmask_b32_e64 v130, v118, -v118, vcc_lo
	v_cmp_gt_f32_e32 vcc_lo, 0, v119
	v_cndmask_b32_e64 v132, v119, -v119, vcc_lo
	s_wait_dscnt 0x0
	v_cmp_gt_f32_e32 vcc_lo, 0, v128
	v_cndmask_b32_e64 v131, v128, -v128, vcc_lo
	v_cmp_gt_f32_e32 vcc_lo, 0, v129
	v_cndmask_b32_e64 v133, v129, -v129, vcc_lo
	s_delay_alu instid0(VALU_DEP_1) | instskip(NEXT) | instid1(VALU_DEP_1)
	v_pk_add_f32 v[130:131], v[130:131], v[132:133]
	v_cmp_lt_f32_e32 vcc_lo, v130, v131
	v_dual_cndmask_b32 v118, v118, v128 :: v_dual_add_nc_u32 v121, 8, v121
	v_cndmask_b32_e32 v119, v119, v129, vcc_lo
	v_cndmask_b32_e64 v120, v120, s0, vcc_lo
	s_add_co_i32 s0, s0, 1
	s_delay_alu instid0(SALU_CYCLE_1)
	s_cmp_lg_u32 s18, s0
	s_cbranch_scc1 .LBB110_946
.LBB110_947:
	s_wait_dscnt 0x0
	v_cmp_eq_f32_e32 vcc_lo, 0, v118
	v_cmp_eq_f32_e64 s0, 0, v119
	s_and_b32 s0, vcc_lo, s0
	s_delay_alu instid0(SALU_CYCLE_1) | instskip(NEXT) | instid1(SALU_CYCLE_1)
	s_and_saveexec_b32 s1, s0
	s_xor_b32 s0, exec_lo, s1
; %bb.948:
	v_cmp_ne_u32_e32 vcc_lo, 0, v124
	v_cndmask_b32_e32 v124, 46, v124, vcc_lo
; %bb.949:
	s_and_not1_saveexec_b32 s0, s0
	s_cbranch_execz .LBB110_955
; %bb.950:
	v_cmp_ngt_f32_e64 s1, |v118|, |v119|
	s_and_saveexec_b32 s12, s1
	s_delay_alu instid0(SALU_CYCLE_1)
	s_xor_b32 s1, exec_lo, s12
	s_cbranch_execz .LBB110_952
; %bb.951:
	v_div_scale_f32 v121, null, v119, v119, v118
	v_div_scale_f32 v129, vcc_lo, v118, v119, v118
	s_delay_alu instid0(VALU_DEP_2) | instskip(SKIP_1) | instid1(TRANS32_DEP_1)
	v_rcp_f32_e32 v127, v121
	v_nop
	v_fma_f32 v128, -v121, v127, 1.0
	s_delay_alu instid0(VALU_DEP_1) | instskip(NEXT) | instid1(VALU_DEP_1)
	v_fmac_f32_e32 v127, v128, v127
	v_mul_f32_e32 v128, v129, v127
	s_delay_alu instid0(VALU_DEP_1) | instskip(NEXT) | instid1(VALU_DEP_1)
	v_fma_f32 v130, -v121, v128, v129
	v_fmac_f32_e32 v128, v130, v127
	s_delay_alu instid0(VALU_DEP_1) | instskip(NEXT) | instid1(VALU_DEP_1)
	v_fma_f32 v121, -v121, v128, v129
	v_div_fmas_f32 v121, v121, v127, v128
	s_delay_alu instid0(VALU_DEP_1) | instskip(NEXT) | instid1(VALU_DEP_1)
	v_div_fixup_f32 v121, v121, v119, v118
	v_fmac_f32_e32 v119, v118, v121
	s_delay_alu instid0(VALU_DEP_1) | instskip(SKIP_1) | instid1(VALU_DEP_2)
	v_div_scale_f32 v118, null, v119, v119, 1.0
	v_div_scale_f32 v129, vcc_lo, 1.0, v119, 1.0
	v_rcp_f32_e32 v127, v118
	v_nop
	s_delay_alu instid0(TRANS32_DEP_1) | instskip(NEXT) | instid1(VALU_DEP_1)
	v_fma_f32 v128, -v118, v127, 1.0
	v_fmac_f32_e32 v127, v128, v127
	s_delay_alu instid0(VALU_DEP_1) | instskip(NEXT) | instid1(VALU_DEP_1)
	v_mul_f32_e32 v128, v129, v127
	v_fma_f32 v130, -v118, v128, v129
	s_delay_alu instid0(VALU_DEP_1) | instskip(NEXT) | instid1(VALU_DEP_1)
	v_fmac_f32_e32 v128, v130, v127
	v_fma_f32 v118, -v118, v128, v129
	s_delay_alu instid0(VALU_DEP_1) | instskip(NEXT) | instid1(VALU_DEP_1)
	v_div_fmas_f32 v118, v118, v127, v128
	v_div_fixup_f32 v119, v118, v119, 1.0
	s_delay_alu instid0(VALU_DEP_1)
	v_mul_f32_e32 v118, v121, v119
	v_xor_b32_e32 v119, 0x80000000, v119
.LBB110_952:
	s_and_not1_saveexec_b32 s1, s1
	s_cbranch_execz .LBB110_954
; %bb.953:
	s_delay_alu instid0(VALU_DEP_1) | instskip(SKIP_1) | instid1(VALU_DEP_2)
	v_div_scale_f32 v121, null, v118, v118, v119
	v_div_scale_f32 v129, vcc_lo, v119, v118, v119
	v_rcp_f32_e32 v127, v121
	v_nop
	s_delay_alu instid0(TRANS32_DEP_1) | instskip(NEXT) | instid1(VALU_DEP_1)
	v_fma_f32 v128, -v121, v127, 1.0
	v_fmac_f32_e32 v127, v128, v127
	s_delay_alu instid0(VALU_DEP_1) | instskip(NEXT) | instid1(VALU_DEP_1)
	v_mul_f32_e32 v128, v129, v127
	v_fma_f32 v130, -v121, v128, v129
	s_delay_alu instid0(VALU_DEP_1) | instskip(NEXT) | instid1(VALU_DEP_1)
	v_fmac_f32_e32 v128, v130, v127
	v_fma_f32 v121, -v121, v128, v129
	s_delay_alu instid0(VALU_DEP_1) | instskip(NEXT) | instid1(VALU_DEP_1)
	v_div_fmas_f32 v121, v121, v127, v128
	v_div_fixup_f32 v121, v121, v118, v119
	s_delay_alu instid0(VALU_DEP_1) | instskip(NEXT) | instid1(VALU_DEP_1)
	v_fmac_f32_e32 v118, v119, v121
	v_div_scale_f32 v119, null, v118, v118, 1.0
	s_delay_alu instid0(VALU_DEP_1) | instskip(SKIP_1) | instid1(TRANS32_DEP_1)
	v_rcp_f32_e32 v127, v119
	v_nop
	v_fma_f32 v128, -v119, v127, 1.0
	s_delay_alu instid0(VALU_DEP_1) | instskip(SKIP_1) | instid1(VALU_DEP_1)
	v_fmac_f32_e32 v127, v128, v127
	v_div_scale_f32 v128, vcc_lo, 1.0, v118, 1.0
	v_mul_f32_e32 v129, v128, v127
	s_delay_alu instid0(VALU_DEP_1) | instskip(NEXT) | instid1(VALU_DEP_1)
	v_fma_f32 v130, -v119, v129, v128
	v_fmac_f32_e32 v129, v130, v127
	s_delay_alu instid0(VALU_DEP_1) | instskip(NEXT) | instid1(VALU_DEP_1)
	v_fma_f32 v119, -v119, v129, v128
	v_div_fmas_f32 v119, v119, v127, v129
	s_delay_alu instid0(VALU_DEP_1) | instskip(NEXT) | instid1(VALU_DEP_1)
	v_div_fixup_f32 v118, v119, v118, 1.0
	v_mul_f32_e64 v119, v121, -v118
.LBB110_954:
	s_or_b32 exec_lo, exec_lo, s1
.LBB110_955:
	s_delay_alu instid0(SALU_CYCLE_1) | instskip(NEXT) | instid1(SALU_CYCLE_1)
	s_or_b32 exec_lo, exec_lo, s0
	s_mov_b32 s0, exec_lo
	v_cmpx_ne_u32_e64 v126, v120
	s_xor_b32 s0, exec_lo, s0
	s_cbranch_execz .LBB110_961
; %bb.956:
	s_mov_b32 s1, exec_lo
	v_cmpx_eq_u32_e32 45, v126
	s_cbranch_execz .LBB110_960
; %bb.957:
	v_cmp_ne_u32_e32 vcc_lo, 45, v120
	s_xor_b32 s12, s16, -1
	s_delay_alu instid0(SALU_CYCLE_1) | instskip(NEXT) | instid1(SALU_CYCLE_1)
	s_and_b32 s13, s12, vcc_lo
	s_and_saveexec_b32 s12, s13
	s_cbranch_execz .LBB110_959
; %bb.958:
	v_ashrrev_i32_e32 v121, 31, v120
	s_delay_alu instid0(VALU_DEP_1)
	v_lshl_add_u64 v[126:127], v[120:121], 2, v[4:5]
	s_clause 0x1
	global_load_b32 v121, v[126:127], off
	global_load_b32 v125, v[4:5], off offset:180
	s_wait_loadcnt 0x1
	global_store_b32 v[4:5], v121, off offset:180
	s_wait_loadcnt 0x0
	global_store_b32 v[126:127], v125, off
.LBB110_959:
	s_wait_xcnt 0x0
	s_or_b32 exec_lo, exec_lo, s12
	v_dual_mov_b32 v126, v120 :: v_dual_mov_b32 v125, v120
.LBB110_960:
	s_or_b32 exec_lo, exec_lo, s1
.LBB110_961:
	s_and_not1_saveexec_b32 s0, s0
	s_cbranch_execz .LBB110_963
; %bb.962:
	v_dual_mov_b32 v120, v44 :: v_dual_mov_b32 v121, v45
	v_dual_mov_b32 v128, v6 :: v_dual_mov_b32 v129, v7
	;; [unrolled: 1-line block ×9, first 2 shown]
	v_mov_b32_e32 v143, v21
	ds_store_2addr_b64 v122, v[120:121], v[128:129] offset0:46 offset1:47
	ds_store_2addr_b64 v122, v[130:131], v[132:133] offset0:48 offset1:49
	;; [unrolled: 1-line block ×5, first 2 shown]
.LBB110_963:
	s_or_b32 exec_lo, exec_lo, s0
	s_delay_alu instid0(SALU_CYCLE_1)
	s_mov_b32 s0, exec_lo
	s_wait_storecnt_dscnt 0x0
	s_barrier_signal -1
	s_barrier_wait -1
	v_cmpx_lt_i32_e32 45, v126
	s_cbranch_execz .LBB110_965
; %bb.964:
	v_pk_mul_f32 v[120:121], v[118:119], v[42:43] op_sel:[1,1] op_sel_hi:[0,1]
	s_delay_alu instid0(VALU_DEP_1)
	v_pk_fma_f32 v[128:129], v[118:119], v[42:43], v[120:121] op_sel_hi:[1,0,1] neg_lo:[0,0,1] neg_hi:[0,0,1]
	v_pk_fma_f32 v[130:131], v[118:119], v[42:43], v[120:121] op_sel_hi:[1,0,1]
	ds_load_2addr_b64 v[118:121], v122 offset0:46 offset1:47
	v_dual_mov_b32 v42, v128 :: v_dual_mov_b32 v43, v131
	s_wait_dscnt 0x0
	v_pk_mul_f32 v[132:133], v[118:119], v[130:131] op_sel:[0,1]
	s_delay_alu instid0(VALU_DEP_1) | instskip(SKIP_1) | instid1(VALU_DEP_1)
	v_pk_fma_f32 v[134:135], v[118:119], v[128:129], v[132:133] op_sel:[0,0,1] op_sel_hi:[1,1,0] neg_lo:[0,0,1] neg_hi:[0,0,1]
	v_pk_fma_f32 v[118:119], v[118:119], v[128:129], v[132:133] op_sel:[0,0,1] op_sel_hi:[1,0,0]
	v_mov_b32_e32 v135, v119
	v_pk_mul_f32 v[118:119], v[120:121], v[130:131] op_sel:[0,1]
	s_delay_alu instid0(VALU_DEP_1) | instskip(SKIP_1) | instid1(VALU_DEP_1)
	v_pk_fma_f32 v[132:133], v[120:121], v[128:129], v[118:119] op_sel:[0,0,1] op_sel_hi:[1,1,0] neg_lo:[0,0,1] neg_hi:[0,0,1]
	v_pk_fma_f32 v[118:119], v[120:121], v[128:129], v[118:119] op_sel:[0,0,1] op_sel_hi:[1,0,0]
	v_mov_b32_e32 v133, v119
	ds_load_2addr_b64 v[118:121], v122 offset0:48 offset1:49
	v_pk_add_f32 v[44:45], v[44:45], v[134:135] neg_lo:[0,1] neg_hi:[0,1]
	v_pk_add_f32 v[6:7], v[6:7], v[132:133] neg_lo:[0,1] neg_hi:[0,1]
	s_wait_dscnt 0x0
	v_pk_mul_f32 v[132:133], v[118:119], v[130:131] op_sel:[0,1]
	s_delay_alu instid0(VALU_DEP_1) | instskip(SKIP_2) | instid1(VALU_DEP_2)
	v_pk_fma_f32 v[134:135], v[118:119], v[128:129], v[132:133] op_sel:[0,0,1] op_sel_hi:[1,1,0] neg_lo:[0,0,1] neg_hi:[0,0,1]
	v_pk_fma_f32 v[118:119], v[118:119], v[128:129], v[132:133] op_sel:[0,0,1] op_sel_hi:[1,0,0]
	v_dual_mul_f32 v132, v121, v131 :: v_dual_mov_b32 v118, v121
	v_dual_mov_b32 v135, v119 :: v_dual_mov_b32 v119, v120
	s_delay_alu instid0(VALU_DEP_2) | instskip(SKIP_1) | instid1(VALU_DEP_3)
	v_pk_fma_f32 v[132:133], v[120:121], v[42:43], v[132:133] op_sel_hi:[1,1,0] neg_lo:[0,0,1] neg_hi:[0,0,1]
	v_mul_f32_e32 v120, v121, v128
	v_pk_add_f32 v[34:35], v[34:35], v[134:135] neg_lo:[0,1] neg_hi:[0,1]
	s_delay_alu instid0(VALU_DEP_2) | instskip(NEXT) | instid1(VALU_DEP_1)
	v_pk_fma_f32 v[118:119], v[118:119], v[42:43], v[120:121] op_sel_hi:[1,1,0]
	v_mov_b32_e32 v133, v119
	ds_load_2addr_b64 v[118:121], v122 offset0:50 offset1:51
	v_pk_add_f32 v[28:29], v[28:29], v[132:133] neg_lo:[0,1] neg_hi:[0,1]
	s_wait_dscnt 0x0
	v_pk_mul_f32 v[132:133], v[118:119], v[130:131] op_sel:[0,1]
	s_delay_alu instid0(VALU_DEP_1) | instskip(SKIP_1) | instid1(VALU_DEP_1)
	v_pk_fma_f32 v[134:135], v[118:119], v[128:129], v[132:133] op_sel:[0,0,1] op_sel_hi:[1,1,0] neg_lo:[0,0,1] neg_hi:[0,0,1]
	v_pk_fma_f32 v[118:119], v[118:119], v[128:129], v[132:133] op_sel:[0,0,1] op_sel_hi:[1,0,0]
	v_mov_b32_e32 v135, v119
	v_pk_mul_f32 v[118:119], v[120:121], v[130:131] op_sel:[0,1]
	s_delay_alu instid0(VALU_DEP_1) | instskip(SKIP_1) | instid1(VALU_DEP_1)
	v_pk_fma_f32 v[132:133], v[120:121], v[128:129], v[118:119] op_sel:[0,0,1] op_sel_hi:[1,1,0] neg_lo:[0,0,1] neg_hi:[0,0,1]
	v_pk_fma_f32 v[118:119], v[120:121], v[128:129], v[118:119] op_sel:[0,0,1] op_sel_hi:[1,0,0]
	v_mov_b32_e32 v133, v119
	ds_load_2addr_b64 v[118:121], v122 offset0:52 offset1:53
	v_pk_add_f32 v[32:33], v[32:33], v[134:135] neg_lo:[0,1] neg_hi:[0,1]
	v_pk_add_f32 v[8:9], v[8:9], v[132:133] neg_lo:[0,1] neg_hi:[0,1]
	s_wait_dscnt 0x0
	v_pk_mul_f32 v[132:133], v[118:119], v[130:131] op_sel:[0,1]
	s_delay_alu instid0(VALU_DEP_1) | instskip(SKIP_1) | instid1(VALU_DEP_1)
	v_pk_fma_f32 v[134:135], v[118:119], v[128:129], v[132:133] op_sel:[0,0,1] op_sel_hi:[1,1,0] neg_lo:[0,0,1] neg_hi:[0,0,1]
	v_pk_fma_f32 v[118:119], v[118:119], v[128:129], v[132:133] op_sel:[0,0,1] op_sel_hi:[1,0,0]
	v_mov_b32_e32 v135, v119
	v_pk_mul_f32 v[118:119], v[120:121], v[130:131] op_sel:[0,1]
	s_delay_alu instid0(VALU_DEP_1) | instskip(SKIP_1) | instid1(VALU_DEP_1)
	v_pk_fma_f32 v[132:133], v[120:121], v[128:129], v[118:119] op_sel:[0,0,1] op_sel_hi:[1,1,0] neg_lo:[0,0,1] neg_hi:[0,0,1]
	v_pk_fma_f32 v[118:119], v[120:121], v[128:129], v[118:119] op_sel:[0,0,1] op_sel_hi:[1,0,0]
	v_mov_b32_e32 v133, v119
	ds_load_2addr_b64 v[118:121], v122 offset0:54 offset1:55
	v_pk_add_f32 v[26:27], v[26:27], v[134:135] neg_lo:[0,1] neg_hi:[0,1]
	v_pk_add_f32 v[22:23], v[22:23], v[132:133] neg_lo:[0,1] neg_hi:[0,1]
	s_wait_dscnt 0x0
	v_dual_mul_f32 v132, v119, v131 :: v_dual_mul_f32 v134, v119, v128
	s_delay_alu instid0(VALU_DEP_1) | instskip(NEXT) | instid1(VALU_DEP_2)
	v_pk_fma_f32 v[132:133], v[118:119], v[42:43], v[132:133] op_sel_hi:[1,1,0] neg_lo:[0,0,1] neg_hi:[0,0,1]
	v_pk_fma_f32 v[118:119], v[118:119], v[42:43], v[134:135] op_sel:[1,0,0] op_sel_hi:[0,1,0]
	s_delay_alu instid0(VALU_DEP_1) | instskip(SKIP_1) | instid1(VALU_DEP_1)
	v_mov_b32_e32 v133, v119
	v_pk_mul_f32 v[118:119], v[120:121], v[130:131] op_sel:[0,1]
	v_pk_fma_f32 v[130:131], v[120:121], v[128:129], v[118:119] op_sel:[0,0,1] op_sel_hi:[1,1,0] neg_lo:[0,0,1] neg_hi:[0,0,1]
	v_pk_fma_f32 v[118:119], v[120:121], v[128:129], v[118:119] op_sel:[0,0,1] op_sel_hi:[1,0,0]
	s_delay_alu instid0(VALU_DEP_1) | instskip(SKIP_1) | instid1(VALU_DEP_2)
	v_mov_b32_e32 v131, v119
	v_pk_add_f32 v[20:21], v[20:21], v[132:133] neg_lo:[0,1] neg_hi:[0,1]
	v_pk_add_f32 v[116:117], v[116:117], v[130:131] neg_lo:[0,1] neg_hi:[0,1]
.LBB110_965:
	s_or_b32 exec_lo, exec_lo, s0
	v_lshl_add_u32 v118, v126, 3, v122
	s_barrier_signal -1
	s_barrier_wait -1
	ds_store_b64 v118, v[44:45]
	s_wait_dscnt 0x0
	s_barrier_signal -1
	s_barrier_wait -1
	ds_load_b64 v[118:119], v122 offset:368
	v_mov_b32_e32 v120, 46
	s_cmp_lt_i32 s18, 48
	s_cbranch_scc1 .LBB110_968
; %bb.966:
	v_add3_u32 v121, v123, 0, 0x178
	v_mov_b32_e32 v120, 46
	s_mov_b32 s0, 47
.LBB110_967:                            ; =>This Inner Loop Header: Depth=1
	ds_load_b64 v[128:129], v121
	s_wait_dscnt 0x1
	v_cmp_gt_f32_e32 vcc_lo, 0, v118
	v_cndmask_b32_e64 v130, v118, -v118, vcc_lo
	v_cmp_gt_f32_e32 vcc_lo, 0, v119
	v_cndmask_b32_e64 v132, v119, -v119, vcc_lo
	s_wait_dscnt 0x0
	v_cmp_gt_f32_e32 vcc_lo, 0, v128
	v_cndmask_b32_e64 v131, v128, -v128, vcc_lo
	v_cmp_gt_f32_e32 vcc_lo, 0, v129
	v_cndmask_b32_e64 v133, v129, -v129, vcc_lo
	s_delay_alu instid0(VALU_DEP_1) | instskip(NEXT) | instid1(VALU_DEP_1)
	v_pk_add_f32 v[130:131], v[130:131], v[132:133]
	v_cmp_lt_f32_e32 vcc_lo, v130, v131
	v_dual_cndmask_b32 v118, v118, v128 :: v_dual_add_nc_u32 v121, 8, v121
	v_cndmask_b32_e32 v119, v119, v129, vcc_lo
	v_cndmask_b32_e64 v120, v120, s0, vcc_lo
	s_add_co_i32 s0, s0, 1
	s_delay_alu instid0(SALU_CYCLE_1)
	s_cmp_lg_u32 s18, s0
	s_cbranch_scc1 .LBB110_967
.LBB110_968:
	s_wait_dscnt 0x0
	v_cmp_eq_f32_e32 vcc_lo, 0, v118
	v_cmp_eq_f32_e64 s0, 0, v119
	s_and_b32 s0, vcc_lo, s0
	s_delay_alu instid0(SALU_CYCLE_1) | instskip(NEXT) | instid1(SALU_CYCLE_1)
	s_and_saveexec_b32 s1, s0
	s_xor_b32 s0, exec_lo, s1
; %bb.969:
	v_cmp_ne_u32_e32 vcc_lo, 0, v124
	v_cndmask_b32_e32 v124, 47, v124, vcc_lo
; %bb.970:
	s_and_not1_saveexec_b32 s0, s0
	s_cbranch_execz .LBB110_976
; %bb.971:
	v_cmp_ngt_f32_e64 s1, |v118|, |v119|
	s_and_saveexec_b32 s12, s1
	s_delay_alu instid0(SALU_CYCLE_1)
	s_xor_b32 s1, exec_lo, s12
	s_cbranch_execz .LBB110_973
; %bb.972:
	v_div_scale_f32 v121, null, v119, v119, v118
	v_div_scale_f32 v129, vcc_lo, v118, v119, v118
	s_delay_alu instid0(VALU_DEP_2) | instskip(SKIP_1) | instid1(TRANS32_DEP_1)
	v_rcp_f32_e32 v127, v121
	v_nop
	v_fma_f32 v128, -v121, v127, 1.0
	s_delay_alu instid0(VALU_DEP_1) | instskip(NEXT) | instid1(VALU_DEP_1)
	v_fmac_f32_e32 v127, v128, v127
	v_mul_f32_e32 v128, v129, v127
	s_delay_alu instid0(VALU_DEP_1) | instskip(NEXT) | instid1(VALU_DEP_1)
	v_fma_f32 v130, -v121, v128, v129
	v_fmac_f32_e32 v128, v130, v127
	s_delay_alu instid0(VALU_DEP_1) | instskip(NEXT) | instid1(VALU_DEP_1)
	v_fma_f32 v121, -v121, v128, v129
	v_div_fmas_f32 v121, v121, v127, v128
	s_delay_alu instid0(VALU_DEP_1) | instskip(NEXT) | instid1(VALU_DEP_1)
	v_div_fixup_f32 v121, v121, v119, v118
	v_fmac_f32_e32 v119, v118, v121
	s_delay_alu instid0(VALU_DEP_1) | instskip(SKIP_1) | instid1(VALU_DEP_2)
	v_div_scale_f32 v118, null, v119, v119, 1.0
	v_div_scale_f32 v129, vcc_lo, 1.0, v119, 1.0
	v_rcp_f32_e32 v127, v118
	v_nop
	s_delay_alu instid0(TRANS32_DEP_1) | instskip(NEXT) | instid1(VALU_DEP_1)
	v_fma_f32 v128, -v118, v127, 1.0
	v_fmac_f32_e32 v127, v128, v127
	s_delay_alu instid0(VALU_DEP_1) | instskip(NEXT) | instid1(VALU_DEP_1)
	v_mul_f32_e32 v128, v129, v127
	v_fma_f32 v130, -v118, v128, v129
	s_delay_alu instid0(VALU_DEP_1) | instskip(NEXT) | instid1(VALU_DEP_1)
	v_fmac_f32_e32 v128, v130, v127
	v_fma_f32 v118, -v118, v128, v129
	s_delay_alu instid0(VALU_DEP_1) | instskip(NEXT) | instid1(VALU_DEP_1)
	v_div_fmas_f32 v118, v118, v127, v128
	v_div_fixup_f32 v119, v118, v119, 1.0
	s_delay_alu instid0(VALU_DEP_1)
	v_mul_f32_e32 v118, v121, v119
	v_xor_b32_e32 v119, 0x80000000, v119
.LBB110_973:
	s_and_not1_saveexec_b32 s1, s1
	s_cbranch_execz .LBB110_975
; %bb.974:
	s_delay_alu instid0(VALU_DEP_1) | instskip(SKIP_1) | instid1(VALU_DEP_2)
	v_div_scale_f32 v121, null, v118, v118, v119
	v_div_scale_f32 v129, vcc_lo, v119, v118, v119
	v_rcp_f32_e32 v127, v121
	v_nop
	s_delay_alu instid0(TRANS32_DEP_1) | instskip(NEXT) | instid1(VALU_DEP_1)
	v_fma_f32 v128, -v121, v127, 1.0
	v_fmac_f32_e32 v127, v128, v127
	s_delay_alu instid0(VALU_DEP_1) | instskip(NEXT) | instid1(VALU_DEP_1)
	v_mul_f32_e32 v128, v129, v127
	v_fma_f32 v130, -v121, v128, v129
	s_delay_alu instid0(VALU_DEP_1) | instskip(NEXT) | instid1(VALU_DEP_1)
	v_fmac_f32_e32 v128, v130, v127
	v_fma_f32 v121, -v121, v128, v129
	s_delay_alu instid0(VALU_DEP_1) | instskip(NEXT) | instid1(VALU_DEP_1)
	v_div_fmas_f32 v121, v121, v127, v128
	v_div_fixup_f32 v121, v121, v118, v119
	s_delay_alu instid0(VALU_DEP_1) | instskip(NEXT) | instid1(VALU_DEP_1)
	v_fmac_f32_e32 v118, v119, v121
	v_div_scale_f32 v119, null, v118, v118, 1.0
	s_delay_alu instid0(VALU_DEP_1) | instskip(SKIP_1) | instid1(TRANS32_DEP_1)
	v_rcp_f32_e32 v127, v119
	v_nop
	v_fma_f32 v128, -v119, v127, 1.0
	s_delay_alu instid0(VALU_DEP_1) | instskip(SKIP_1) | instid1(VALU_DEP_1)
	v_fmac_f32_e32 v127, v128, v127
	v_div_scale_f32 v128, vcc_lo, 1.0, v118, 1.0
	v_mul_f32_e32 v129, v128, v127
	s_delay_alu instid0(VALU_DEP_1) | instskip(NEXT) | instid1(VALU_DEP_1)
	v_fma_f32 v130, -v119, v129, v128
	v_fmac_f32_e32 v129, v130, v127
	s_delay_alu instid0(VALU_DEP_1) | instskip(NEXT) | instid1(VALU_DEP_1)
	v_fma_f32 v119, -v119, v129, v128
	v_div_fmas_f32 v119, v119, v127, v129
	s_delay_alu instid0(VALU_DEP_1) | instskip(NEXT) | instid1(VALU_DEP_1)
	v_div_fixup_f32 v118, v119, v118, 1.0
	v_mul_f32_e64 v119, v121, -v118
.LBB110_975:
	s_or_b32 exec_lo, exec_lo, s1
.LBB110_976:
	s_delay_alu instid0(SALU_CYCLE_1) | instskip(NEXT) | instid1(SALU_CYCLE_1)
	s_or_b32 exec_lo, exec_lo, s0
	s_mov_b32 s0, exec_lo
	v_cmpx_ne_u32_e64 v126, v120
	s_xor_b32 s0, exec_lo, s0
	s_cbranch_execz .LBB110_982
; %bb.977:
	s_mov_b32 s1, exec_lo
	v_cmpx_eq_u32_e32 46, v126
	s_cbranch_execz .LBB110_981
; %bb.978:
	v_cmp_ne_u32_e32 vcc_lo, 46, v120
	s_xor_b32 s12, s16, -1
	s_delay_alu instid0(SALU_CYCLE_1) | instskip(NEXT) | instid1(SALU_CYCLE_1)
	s_and_b32 s13, s12, vcc_lo
	s_and_saveexec_b32 s12, s13
	s_cbranch_execz .LBB110_980
; %bb.979:
	v_ashrrev_i32_e32 v121, 31, v120
	s_delay_alu instid0(VALU_DEP_1)
	v_lshl_add_u64 v[126:127], v[120:121], 2, v[4:5]
	s_clause 0x1
	global_load_b32 v121, v[126:127], off
	global_load_b32 v125, v[4:5], off offset:184
	s_wait_loadcnt 0x1
	global_store_b32 v[4:5], v121, off offset:184
	s_wait_loadcnt 0x0
	global_store_b32 v[126:127], v125, off
.LBB110_980:
	s_wait_xcnt 0x0
	s_or_b32 exec_lo, exec_lo, s12
	v_dual_mov_b32 v126, v120 :: v_dual_mov_b32 v125, v120
.LBB110_981:
	s_or_b32 exec_lo, exec_lo, s1
.LBB110_982:
	s_and_not1_saveexec_b32 s0, s0
	s_cbranch_execz .LBB110_984
; %bb.983:
	v_mov_b32_e32 v126, 46
	ds_store_2addr_b64 v122, v[6:7], v[34:35] offset0:47 offset1:48
	ds_store_2addr_b64 v122, v[28:29], v[32:33] offset0:49 offset1:50
	;; [unrolled: 1-line block ×4, first 2 shown]
	ds_store_b64 v122, v[116:117] offset:440
.LBB110_984:
	s_or_b32 exec_lo, exec_lo, s0
	s_delay_alu instid0(SALU_CYCLE_1)
	s_mov_b32 s0, exec_lo
	s_wait_storecnt_dscnt 0x0
	s_barrier_signal -1
	s_barrier_wait -1
	v_cmpx_lt_i32_e32 46, v126
	s_cbranch_execz .LBB110_986
; %bb.985:
	v_pk_mul_f32 v[120:121], v[118:119], v[44:45] op_sel:[1,1] op_sel_hi:[0,1]
	s_delay_alu instid0(VALU_DEP_1)
	v_pk_fma_f32 v[128:129], v[118:119], v[44:45], v[120:121] op_sel_hi:[1,0,1] neg_lo:[0,0,1] neg_hi:[0,0,1]
	v_pk_fma_f32 v[130:131], v[118:119], v[44:45], v[120:121] op_sel_hi:[1,0,1]
	ds_load_2addr_b64 v[118:121], v122 offset0:47 offset1:48
	v_dual_mov_b32 v44, v128 :: v_dual_mov_b32 v45, v131
	s_wait_dscnt 0x0
	v_pk_mul_f32 v[132:133], v[118:119], v[130:131] op_sel:[0,1]
	s_delay_alu instid0(VALU_DEP_1) | instskip(SKIP_1) | instid1(VALU_DEP_1)
	v_pk_fma_f32 v[134:135], v[118:119], v[128:129], v[132:133] op_sel:[0,0,1] op_sel_hi:[1,1,0] neg_lo:[0,0,1] neg_hi:[0,0,1]
	v_pk_fma_f32 v[118:119], v[118:119], v[128:129], v[132:133] op_sel:[0,0,1] op_sel_hi:[1,0,0]
	v_mov_b32_e32 v135, v119
	v_pk_mul_f32 v[118:119], v[120:121], v[130:131] op_sel:[0,1]
	s_delay_alu instid0(VALU_DEP_1) | instskip(SKIP_1) | instid1(VALU_DEP_1)
	v_pk_fma_f32 v[132:133], v[120:121], v[128:129], v[118:119] op_sel:[0,0,1] op_sel_hi:[1,1,0] neg_lo:[0,0,1] neg_hi:[0,0,1]
	v_pk_fma_f32 v[118:119], v[120:121], v[128:129], v[118:119] op_sel:[0,0,1] op_sel_hi:[1,0,0]
	v_mov_b32_e32 v133, v119
	ds_load_2addr_b64 v[118:121], v122 offset0:49 offset1:50
	v_pk_add_f32 v[6:7], v[6:7], v[134:135] neg_lo:[0,1] neg_hi:[0,1]
	v_pk_add_f32 v[34:35], v[34:35], v[132:133] neg_lo:[0,1] neg_hi:[0,1]
	s_wait_dscnt 0x0
	v_pk_mul_f32 v[132:133], v[118:119], v[130:131] op_sel:[0,1]
	s_delay_alu instid0(VALU_DEP_1) | instskip(SKIP_2) | instid1(VALU_DEP_2)
	v_pk_fma_f32 v[134:135], v[118:119], v[128:129], v[132:133] op_sel:[0,0,1] op_sel_hi:[1,1,0] neg_lo:[0,0,1] neg_hi:[0,0,1]
	v_pk_fma_f32 v[118:119], v[118:119], v[128:129], v[132:133] op_sel:[0,0,1] op_sel_hi:[1,0,0]
	v_dual_mul_f32 v132, v121, v131 :: v_dual_mov_b32 v118, v121
	v_dual_mov_b32 v135, v119 :: v_dual_mov_b32 v119, v120
	s_delay_alu instid0(VALU_DEP_2) | instskip(SKIP_1) | instid1(VALU_DEP_3)
	v_pk_fma_f32 v[132:133], v[120:121], v[44:45], v[132:133] op_sel_hi:[1,1,0] neg_lo:[0,0,1] neg_hi:[0,0,1]
	v_mul_f32_e32 v120, v121, v128
	v_pk_add_f32 v[28:29], v[28:29], v[134:135] neg_lo:[0,1] neg_hi:[0,1]
	s_delay_alu instid0(VALU_DEP_2) | instskip(NEXT) | instid1(VALU_DEP_1)
	v_pk_fma_f32 v[118:119], v[118:119], v[44:45], v[120:121] op_sel_hi:[1,1,0]
	v_mov_b32_e32 v133, v119
	ds_load_2addr_b64 v[118:121], v122 offset0:51 offset1:52
	v_pk_add_f32 v[32:33], v[32:33], v[132:133] neg_lo:[0,1] neg_hi:[0,1]
	s_wait_dscnt 0x0
	v_pk_mul_f32 v[132:133], v[118:119], v[130:131] op_sel:[0,1]
	s_delay_alu instid0(VALU_DEP_1) | instskip(SKIP_1) | instid1(VALU_DEP_1)
	v_pk_fma_f32 v[134:135], v[118:119], v[128:129], v[132:133] op_sel:[0,0,1] op_sel_hi:[1,1,0] neg_lo:[0,0,1] neg_hi:[0,0,1]
	v_pk_fma_f32 v[118:119], v[118:119], v[128:129], v[132:133] op_sel:[0,0,1] op_sel_hi:[1,0,0]
	v_mov_b32_e32 v135, v119
	v_pk_mul_f32 v[118:119], v[120:121], v[130:131] op_sel:[0,1]
	s_delay_alu instid0(VALU_DEP_1) | instskip(SKIP_1) | instid1(VALU_DEP_1)
	v_pk_fma_f32 v[132:133], v[120:121], v[128:129], v[118:119] op_sel:[0,0,1] op_sel_hi:[1,1,0] neg_lo:[0,0,1] neg_hi:[0,0,1]
	v_pk_fma_f32 v[118:119], v[120:121], v[128:129], v[118:119] op_sel:[0,0,1] op_sel_hi:[1,0,0]
	v_mov_b32_e32 v133, v119
	ds_load_2addr_b64 v[118:121], v122 offset0:53 offset1:54
	v_pk_add_f32 v[8:9], v[8:9], v[134:135] neg_lo:[0,1] neg_hi:[0,1]
	v_pk_add_f32 v[26:27], v[26:27], v[132:133] neg_lo:[0,1] neg_hi:[0,1]
	s_wait_dscnt 0x0
	v_pk_mul_f32 v[132:133], v[118:119], v[130:131] op_sel:[0,1]
	s_delay_alu instid0(VALU_DEP_1) | instskip(SKIP_1) | instid1(VALU_DEP_1)
	v_pk_fma_f32 v[134:135], v[118:119], v[128:129], v[132:133] op_sel:[0,0,1] op_sel_hi:[1,1,0] neg_lo:[0,0,1] neg_hi:[0,0,1]
	v_pk_fma_f32 v[118:119], v[118:119], v[128:129], v[132:133] op_sel:[0,0,1] op_sel_hi:[1,0,0]
	v_mov_b32_e32 v135, v119
	v_pk_mul_f32 v[118:119], v[120:121], v[130:131] op_sel:[0,1]
	s_delay_alu instid0(VALU_DEP_1) | instskip(SKIP_1) | instid1(VALU_DEP_1)
	v_pk_fma_f32 v[132:133], v[120:121], v[128:129], v[118:119] op_sel:[0,0,1] op_sel_hi:[1,1,0] neg_lo:[0,0,1] neg_hi:[0,0,1]
	v_pk_fma_f32 v[118:119], v[120:121], v[128:129], v[118:119] op_sel:[0,0,1] op_sel_hi:[1,0,0]
	v_mov_b32_e32 v133, v119
	ds_load_b64 v[118:119], v122 offset:440
	v_pk_add_f32 v[22:23], v[22:23], v[134:135] neg_lo:[0,1] neg_hi:[0,1]
	v_pk_add_f32 v[20:21], v[20:21], v[132:133] neg_lo:[0,1] neg_hi:[0,1]
	s_wait_dscnt 0x0
	v_pk_mul_f32 v[120:121], v[118:119], v[130:131] op_sel:[0,1]
	s_delay_alu instid0(VALU_DEP_1) | instskip(SKIP_1) | instid1(VALU_DEP_1)
	v_pk_fma_f32 v[130:131], v[118:119], v[128:129], v[120:121] op_sel:[0,0,1] op_sel_hi:[1,1,0] neg_lo:[0,0,1] neg_hi:[0,0,1]
	v_pk_fma_f32 v[118:119], v[118:119], v[128:129], v[120:121] op_sel:[0,0,1] op_sel_hi:[1,0,0]
	v_mov_b32_e32 v131, v119
	s_delay_alu instid0(VALU_DEP_1)
	v_pk_add_f32 v[116:117], v[116:117], v[130:131] neg_lo:[0,1] neg_hi:[0,1]
.LBB110_986:
	s_or_b32 exec_lo, exec_lo, s0
	v_lshl_add_u32 v118, v126, 3, v122
	s_barrier_signal -1
	s_barrier_wait -1
	ds_store_b64 v118, v[6:7]
	s_wait_dscnt 0x0
	s_barrier_signal -1
	s_barrier_wait -1
	ds_load_b64 v[118:119], v122 offset:376
	v_mov_b32_e32 v120, 47
	s_cmp_lt_i32 s18, 49
	s_cbranch_scc1 .LBB110_989
; %bb.987:
	v_add3_u32 v121, v123, 0, 0x180
	v_mov_b32_e32 v120, 47
	s_mov_b32 s0, 48
.LBB110_988:                            ; =>This Inner Loop Header: Depth=1
	ds_load_b64 v[128:129], v121
	s_wait_dscnt 0x1
	v_cmp_gt_f32_e32 vcc_lo, 0, v118
	v_cndmask_b32_e64 v130, v118, -v118, vcc_lo
	v_cmp_gt_f32_e32 vcc_lo, 0, v119
	v_cndmask_b32_e64 v132, v119, -v119, vcc_lo
	s_wait_dscnt 0x0
	v_cmp_gt_f32_e32 vcc_lo, 0, v128
	v_cndmask_b32_e64 v131, v128, -v128, vcc_lo
	v_cmp_gt_f32_e32 vcc_lo, 0, v129
	v_cndmask_b32_e64 v133, v129, -v129, vcc_lo
	s_delay_alu instid0(VALU_DEP_1) | instskip(NEXT) | instid1(VALU_DEP_1)
	v_pk_add_f32 v[130:131], v[130:131], v[132:133]
	v_cmp_lt_f32_e32 vcc_lo, v130, v131
	v_dual_cndmask_b32 v118, v118, v128 :: v_dual_add_nc_u32 v121, 8, v121
	v_cndmask_b32_e32 v119, v119, v129, vcc_lo
	v_cndmask_b32_e64 v120, v120, s0, vcc_lo
	s_add_co_i32 s0, s0, 1
	s_delay_alu instid0(SALU_CYCLE_1)
	s_cmp_lg_u32 s18, s0
	s_cbranch_scc1 .LBB110_988
.LBB110_989:
	s_wait_dscnt 0x0
	v_cmp_eq_f32_e32 vcc_lo, 0, v118
	v_cmp_eq_f32_e64 s0, 0, v119
	s_and_b32 s0, vcc_lo, s0
	s_delay_alu instid0(SALU_CYCLE_1) | instskip(NEXT) | instid1(SALU_CYCLE_1)
	s_and_saveexec_b32 s1, s0
	s_xor_b32 s0, exec_lo, s1
; %bb.990:
	v_cmp_ne_u32_e32 vcc_lo, 0, v124
	v_cndmask_b32_e32 v124, 48, v124, vcc_lo
; %bb.991:
	s_and_not1_saveexec_b32 s0, s0
	s_cbranch_execz .LBB110_997
; %bb.992:
	v_cmp_ngt_f32_e64 s1, |v118|, |v119|
	s_and_saveexec_b32 s12, s1
	s_delay_alu instid0(SALU_CYCLE_1)
	s_xor_b32 s1, exec_lo, s12
	s_cbranch_execz .LBB110_994
; %bb.993:
	v_div_scale_f32 v121, null, v119, v119, v118
	v_div_scale_f32 v129, vcc_lo, v118, v119, v118
	s_delay_alu instid0(VALU_DEP_2) | instskip(SKIP_1) | instid1(TRANS32_DEP_1)
	v_rcp_f32_e32 v127, v121
	v_nop
	v_fma_f32 v128, -v121, v127, 1.0
	s_delay_alu instid0(VALU_DEP_1) | instskip(NEXT) | instid1(VALU_DEP_1)
	v_fmac_f32_e32 v127, v128, v127
	v_mul_f32_e32 v128, v129, v127
	s_delay_alu instid0(VALU_DEP_1) | instskip(NEXT) | instid1(VALU_DEP_1)
	v_fma_f32 v130, -v121, v128, v129
	v_fmac_f32_e32 v128, v130, v127
	s_delay_alu instid0(VALU_DEP_1) | instskip(NEXT) | instid1(VALU_DEP_1)
	v_fma_f32 v121, -v121, v128, v129
	v_div_fmas_f32 v121, v121, v127, v128
	s_delay_alu instid0(VALU_DEP_1) | instskip(NEXT) | instid1(VALU_DEP_1)
	v_div_fixup_f32 v121, v121, v119, v118
	v_fmac_f32_e32 v119, v118, v121
	s_delay_alu instid0(VALU_DEP_1) | instskip(SKIP_1) | instid1(VALU_DEP_2)
	v_div_scale_f32 v118, null, v119, v119, 1.0
	v_div_scale_f32 v129, vcc_lo, 1.0, v119, 1.0
	v_rcp_f32_e32 v127, v118
	v_nop
	s_delay_alu instid0(TRANS32_DEP_1) | instskip(NEXT) | instid1(VALU_DEP_1)
	v_fma_f32 v128, -v118, v127, 1.0
	v_fmac_f32_e32 v127, v128, v127
	s_delay_alu instid0(VALU_DEP_1) | instskip(NEXT) | instid1(VALU_DEP_1)
	v_mul_f32_e32 v128, v129, v127
	v_fma_f32 v130, -v118, v128, v129
	s_delay_alu instid0(VALU_DEP_1) | instskip(NEXT) | instid1(VALU_DEP_1)
	v_fmac_f32_e32 v128, v130, v127
	v_fma_f32 v118, -v118, v128, v129
	s_delay_alu instid0(VALU_DEP_1) | instskip(NEXT) | instid1(VALU_DEP_1)
	v_div_fmas_f32 v118, v118, v127, v128
	v_div_fixup_f32 v119, v118, v119, 1.0
	s_delay_alu instid0(VALU_DEP_1)
	v_mul_f32_e32 v118, v121, v119
	v_xor_b32_e32 v119, 0x80000000, v119
.LBB110_994:
	s_and_not1_saveexec_b32 s1, s1
	s_cbranch_execz .LBB110_996
; %bb.995:
	s_delay_alu instid0(VALU_DEP_1) | instskip(SKIP_1) | instid1(VALU_DEP_2)
	v_div_scale_f32 v121, null, v118, v118, v119
	v_div_scale_f32 v129, vcc_lo, v119, v118, v119
	v_rcp_f32_e32 v127, v121
	v_nop
	s_delay_alu instid0(TRANS32_DEP_1) | instskip(NEXT) | instid1(VALU_DEP_1)
	v_fma_f32 v128, -v121, v127, 1.0
	v_fmac_f32_e32 v127, v128, v127
	s_delay_alu instid0(VALU_DEP_1) | instskip(NEXT) | instid1(VALU_DEP_1)
	v_mul_f32_e32 v128, v129, v127
	v_fma_f32 v130, -v121, v128, v129
	s_delay_alu instid0(VALU_DEP_1) | instskip(NEXT) | instid1(VALU_DEP_1)
	v_fmac_f32_e32 v128, v130, v127
	v_fma_f32 v121, -v121, v128, v129
	s_delay_alu instid0(VALU_DEP_1) | instskip(NEXT) | instid1(VALU_DEP_1)
	v_div_fmas_f32 v121, v121, v127, v128
	v_div_fixup_f32 v121, v121, v118, v119
	s_delay_alu instid0(VALU_DEP_1) | instskip(NEXT) | instid1(VALU_DEP_1)
	v_fmac_f32_e32 v118, v119, v121
	v_div_scale_f32 v119, null, v118, v118, 1.0
	s_delay_alu instid0(VALU_DEP_1) | instskip(SKIP_1) | instid1(TRANS32_DEP_1)
	v_rcp_f32_e32 v127, v119
	v_nop
	v_fma_f32 v128, -v119, v127, 1.0
	s_delay_alu instid0(VALU_DEP_1) | instskip(SKIP_1) | instid1(VALU_DEP_1)
	v_fmac_f32_e32 v127, v128, v127
	v_div_scale_f32 v128, vcc_lo, 1.0, v118, 1.0
	v_mul_f32_e32 v129, v128, v127
	s_delay_alu instid0(VALU_DEP_1) | instskip(NEXT) | instid1(VALU_DEP_1)
	v_fma_f32 v130, -v119, v129, v128
	v_fmac_f32_e32 v129, v130, v127
	s_delay_alu instid0(VALU_DEP_1) | instskip(NEXT) | instid1(VALU_DEP_1)
	v_fma_f32 v119, -v119, v129, v128
	v_div_fmas_f32 v119, v119, v127, v129
	s_delay_alu instid0(VALU_DEP_1) | instskip(NEXT) | instid1(VALU_DEP_1)
	v_div_fixup_f32 v118, v119, v118, 1.0
	v_mul_f32_e64 v119, v121, -v118
.LBB110_996:
	s_or_b32 exec_lo, exec_lo, s1
.LBB110_997:
	s_delay_alu instid0(SALU_CYCLE_1) | instskip(NEXT) | instid1(SALU_CYCLE_1)
	s_or_b32 exec_lo, exec_lo, s0
	s_mov_b32 s0, exec_lo
	v_cmpx_ne_u32_e64 v126, v120
	s_xor_b32 s0, exec_lo, s0
	s_cbranch_execz .LBB110_1003
; %bb.998:
	s_mov_b32 s1, exec_lo
	v_cmpx_eq_u32_e32 47, v126
	s_cbranch_execz .LBB110_1002
; %bb.999:
	v_cmp_ne_u32_e32 vcc_lo, 47, v120
	s_xor_b32 s12, s16, -1
	s_delay_alu instid0(SALU_CYCLE_1) | instskip(NEXT) | instid1(SALU_CYCLE_1)
	s_and_b32 s13, s12, vcc_lo
	s_and_saveexec_b32 s12, s13
	s_cbranch_execz .LBB110_1001
; %bb.1000:
	v_ashrrev_i32_e32 v121, 31, v120
	s_delay_alu instid0(VALU_DEP_1)
	v_lshl_add_u64 v[126:127], v[120:121], 2, v[4:5]
	s_clause 0x1
	global_load_b32 v121, v[126:127], off
	global_load_b32 v125, v[4:5], off offset:188
	s_wait_loadcnt 0x1
	global_store_b32 v[4:5], v121, off offset:188
	s_wait_loadcnt 0x0
	global_store_b32 v[126:127], v125, off
.LBB110_1001:
	s_wait_xcnt 0x0
	s_or_b32 exec_lo, exec_lo, s12
	v_dual_mov_b32 v126, v120 :: v_dual_mov_b32 v125, v120
.LBB110_1002:
	s_or_b32 exec_lo, exec_lo, s1
.LBB110_1003:
	s_and_not1_saveexec_b32 s0, s0
	s_cbranch_execz .LBB110_1005
; %bb.1004:
	v_dual_mov_b32 v120, v34 :: v_dual_mov_b32 v121, v35
	v_dual_mov_b32 v128, v28 :: v_dual_mov_b32 v129, v29
	;; [unrolled: 1-line block ×7, first 2 shown]
	v_mov_b32_e32 v139, v21
	ds_store_2addr_b64 v122, v[120:121], v[128:129] offset0:48 offset1:49
	ds_store_2addr_b64 v122, v[130:131], v[132:133] offset0:50 offset1:51
	;; [unrolled: 1-line block ×4, first 2 shown]
.LBB110_1005:
	s_or_b32 exec_lo, exec_lo, s0
	s_delay_alu instid0(SALU_CYCLE_1)
	s_mov_b32 s0, exec_lo
	s_wait_storecnt_dscnt 0x0
	s_barrier_signal -1
	s_barrier_wait -1
	v_cmpx_lt_i32_e32 47, v126
	s_cbranch_execz .LBB110_1007
; %bb.1006:
	v_pk_mul_f32 v[120:121], v[118:119], v[6:7] op_sel:[1,1] op_sel_hi:[0,1]
	s_delay_alu instid0(VALU_DEP_1)
	v_pk_fma_f32 v[128:129], v[118:119], v[6:7], v[120:121] op_sel_hi:[1,0,1] neg_lo:[0,0,1] neg_hi:[0,0,1]
	v_pk_fma_f32 v[130:131], v[118:119], v[6:7], v[120:121] op_sel_hi:[1,0,1]
	ds_load_2addr_b64 v[118:121], v122 offset0:48 offset1:49
	v_dual_mov_b32 v6, v128 :: v_dual_mov_b32 v7, v131
	s_wait_dscnt 0x0
	v_pk_mul_f32 v[132:133], v[118:119], v[130:131] op_sel:[0,1]
	s_delay_alu instid0(VALU_DEP_1) | instskip(SKIP_1) | instid1(VALU_DEP_1)
	v_pk_fma_f32 v[134:135], v[118:119], v[128:129], v[132:133] op_sel:[0,0,1] op_sel_hi:[1,1,0] neg_lo:[0,0,1] neg_hi:[0,0,1]
	v_pk_fma_f32 v[118:119], v[118:119], v[128:129], v[132:133] op_sel:[0,0,1] op_sel_hi:[1,0,0]
	v_mov_b32_e32 v135, v119
	v_pk_mul_f32 v[118:119], v[120:121], v[130:131] op_sel:[0,1]
	s_delay_alu instid0(VALU_DEP_1) | instskip(SKIP_1) | instid1(VALU_DEP_1)
	v_pk_fma_f32 v[132:133], v[120:121], v[128:129], v[118:119] op_sel:[0,0,1] op_sel_hi:[1,1,0] neg_lo:[0,0,1] neg_hi:[0,0,1]
	v_pk_fma_f32 v[118:119], v[120:121], v[128:129], v[118:119] op_sel:[0,0,1] op_sel_hi:[1,0,0]
	v_mov_b32_e32 v133, v119
	ds_load_2addr_b64 v[118:121], v122 offset0:50 offset1:51
	v_pk_add_f32 v[34:35], v[34:35], v[134:135] neg_lo:[0,1] neg_hi:[0,1]
	v_pk_add_f32 v[28:29], v[28:29], v[132:133] neg_lo:[0,1] neg_hi:[0,1]
	s_wait_dscnt 0x0
	v_pk_mul_f32 v[132:133], v[118:119], v[130:131] op_sel:[0,1]
	s_delay_alu instid0(VALU_DEP_1) | instskip(SKIP_2) | instid1(VALU_DEP_2)
	v_pk_fma_f32 v[134:135], v[118:119], v[128:129], v[132:133] op_sel:[0,0,1] op_sel_hi:[1,1,0] neg_lo:[0,0,1] neg_hi:[0,0,1]
	v_pk_fma_f32 v[118:119], v[118:119], v[128:129], v[132:133] op_sel:[0,0,1] op_sel_hi:[1,0,0]
	v_dual_mul_f32 v132, v121, v131 :: v_dual_mov_b32 v118, v121
	v_dual_mov_b32 v135, v119 :: v_dual_mov_b32 v119, v120
	s_delay_alu instid0(VALU_DEP_2) | instskip(SKIP_1) | instid1(VALU_DEP_3)
	v_pk_fma_f32 v[132:133], v[120:121], v[6:7], v[132:133] op_sel_hi:[1,1,0] neg_lo:[0,0,1] neg_hi:[0,0,1]
	v_mul_f32_e32 v120, v121, v128
	v_pk_add_f32 v[32:33], v[32:33], v[134:135] neg_lo:[0,1] neg_hi:[0,1]
	s_delay_alu instid0(VALU_DEP_2) | instskip(NEXT) | instid1(VALU_DEP_1)
	v_pk_fma_f32 v[118:119], v[118:119], v[6:7], v[120:121] op_sel_hi:[1,1,0]
	v_mov_b32_e32 v133, v119
	ds_load_2addr_b64 v[118:121], v122 offset0:52 offset1:53
	v_pk_add_f32 v[8:9], v[8:9], v[132:133] neg_lo:[0,1] neg_hi:[0,1]
	s_wait_dscnt 0x0
	v_pk_mul_f32 v[132:133], v[118:119], v[130:131] op_sel:[0,1]
	s_delay_alu instid0(VALU_DEP_1) | instskip(SKIP_1) | instid1(VALU_DEP_1)
	v_pk_fma_f32 v[134:135], v[118:119], v[128:129], v[132:133] op_sel:[0,0,1] op_sel_hi:[1,1,0] neg_lo:[0,0,1] neg_hi:[0,0,1]
	v_pk_fma_f32 v[118:119], v[118:119], v[128:129], v[132:133] op_sel:[0,0,1] op_sel_hi:[1,0,0]
	v_mov_b32_e32 v135, v119
	v_pk_mul_f32 v[118:119], v[120:121], v[130:131] op_sel:[0,1]
	s_delay_alu instid0(VALU_DEP_1) | instskip(SKIP_1) | instid1(VALU_DEP_1)
	v_pk_fma_f32 v[132:133], v[120:121], v[128:129], v[118:119] op_sel:[0,0,1] op_sel_hi:[1,1,0] neg_lo:[0,0,1] neg_hi:[0,0,1]
	v_pk_fma_f32 v[118:119], v[120:121], v[128:129], v[118:119] op_sel:[0,0,1] op_sel_hi:[1,0,0]
	v_mov_b32_e32 v133, v119
	ds_load_2addr_b64 v[118:121], v122 offset0:54 offset1:55
	v_pk_add_f32 v[26:27], v[26:27], v[134:135] neg_lo:[0,1] neg_hi:[0,1]
	v_pk_add_f32 v[22:23], v[22:23], v[132:133] neg_lo:[0,1] neg_hi:[0,1]
	s_wait_dscnt 0x0
	v_pk_mul_f32 v[132:133], v[118:119], v[130:131] op_sel:[0,1]
	s_delay_alu instid0(VALU_DEP_1) | instskip(SKIP_1) | instid1(VALU_DEP_1)
	v_pk_fma_f32 v[134:135], v[118:119], v[128:129], v[132:133] op_sel:[0,0,1] op_sel_hi:[1,1,0] neg_lo:[0,0,1] neg_hi:[0,0,1]
	v_pk_fma_f32 v[118:119], v[118:119], v[128:129], v[132:133] op_sel:[0,0,1] op_sel_hi:[1,0,0]
	v_mov_b32_e32 v135, v119
	v_pk_mul_f32 v[118:119], v[120:121], v[130:131] op_sel:[0,1]
	s_delay_alu instid0(VALU_DEP_1) | instskip(SKIP_1) | instid1(VALU_DEP_1)
	v_pk_fma_f32 v[130:131], v[120:121], v[128:129], v[118:119] op_sel:[0,0,1] op_sel_hi:[1,1,0] neg_lo:[0,0,1] neg_hi:[0,0,1]
	v_pk_fma_f32 v[118:119], v[120:121], v[128:129], v[118:119] op_sel:[0,0,1] op_sel_hi:[1,0,0]
	v_mov_b32_e32 v131, v119
	v_pk_add_f32 v[20:21], v[20:21], v[134:135] neg_lo:[0,1] neg_hi:[0,1]
	s_delay_alu instid0(VALU_DEP_2)
	v_pk_add_f32 v[116:117], v[116:117], v[130:131] neg_lo:[0,1] neg_hi:[0,1]
.LBB110_1007:
	s_or_b32 exec_lo, exec_lo, s0
	v_lshl_add_u32 v118, v126, 3, v122
	s_barrier_signal -1
	s_barrier_wait -1
	ds_store_b64 v118, v[34:35]
	s_wait_dscnt 0x0
	s_barrier_signal -1
	s_barrier_wait -1
	ds_load_b64 v[118:119], v122 offset:384
	v_mov_b32_e32 v120, 48
	s_cmp_lt_i32 s18, 50
	s_cbranch_scc1 .LBB110_1010
; %bb.1008:
	v_add3_u32 v121, v123, 0, 0x188
	v_mov_b32_e32 v120, 48
	s_mov_b32 s0, 49
.LBB110_1009:                           ; =>This Inner Loop Header: Depth=1
	ds_load_b64 v[128:129], v121
	s_wait_dscnt 0x1
	v_cmp_gt_f32_e32 vcc_lo, 0, v118
	v_cndmask_b32_e64 v130, v118, -v118, vcc_lo
	v_cmp_gt_f32_e32 vcc_lo, 0, v119
	v_cndmask_b32_e64 v132, v119, -v119, vcc_lo
	s_wait_dscnt 0x0
	v_cmp_gt_f32_e32 vcc_lo, 0, v128
	v_cndmask_b32_e64 v131, v128, -v128, vcc_lo
	v_cmp_gt_f32_e32 vcc_lo, 0, v129
	v_cndmask_b32_e64 v133, v129, -v129, vcc_lo
	s_delay_alu instid0(VALU_DEP_1) | instskip(NEXT) | instid1(VALU_DEP_1)
	v_pk_add_f32 v[130:131], v[130:131], v[132:133]
	v_cmp_lt_f32_e32 vcc_lo, v130, v131
	v_dual_cndmask_b32 v118, v118, v128 :: v_dual_add_nc_u32 v121, 8, v121
	v_cndmask_b32_e32 v119, v119, v129, vcc_lo
	v_cndmask_b32_e64 v120, v120, s0, vcc_lo
	s_add_co_i32 s0, s0, 1
	s_delay_alu instid0(SALU_CYCLE_1)
	s_cmp_lg_u32 s18, s0
	s_cbranch_scc1 .LBB110_1009
.LBB110_1010:
	s_wait_dscnt 0x0
	v_cmp_eq_f32_e32 vcc_lo, 0, v118
	v_cmp_eq_f32_e64 s0, 0, v119
	s_and_b32 s0, vcc_lo, s0
	s_delay_alu instid0(SALU_CYCLE_1) | instskip(NEXT) | instid1(SALU_CYCLE_1)
	s_and_saveexec_b32 s1, s0
	s_xor_b32 s0, exec_lo, s1
; %bb.1011:
	v_cmp_ne_u32_e32 vcc_lo, 0, v124
	v_cndmask_b32_e32 v124, 49, v124, vcc_lo
; %bb.1012:
	s_and_not1_saveexec_b32 s0, s0
	s_cbranch_execz .LBB110_1018
; %bb.1013:
	v_cmp_ngt_f32_e64 s1, |v118|, |v119|
	s_and_saveexec_b32 s12, s1
	s_delay_alu instid0(SALU_CYCLE_1)
	s_xor_b32 s1, exec_lo, s12
	s_cbranch_execz .LBB110_1015
; %bb.1014:
	v_div_scale_f32 v121, null, v119, v119, v118
	v_div_scale_f32 v129, vcc_lo, v118, v119, v118
	s_delay_alu instid0(VALU_DEP_2) | instskip(SKIP_1) | instid1(TRANS32_DEP_1)
	v_rcp_f32_e32 v127, v121
	v_nop
	v_fma_f32 v128, -v121, v127, 1.0
	s_delay_alu instid0(VALU_DEP_1) | instskip(NEXT) | instid1(VALU_DEP_1)
	v_fmac_f32_e32 v127, v128, v127
	v_mul_f32_e32 v128, v129, v127
	s_delay_alu instid0(VALU_DEP_1) | instskip(NEXT) | instid1(VALU_DEP_1)
	v_fma_f32 v130, -v121, v128, v129
	v_fmac_f32_e32 v128, v130, v127
	s_delay_alu instid0(VALU_DEP_1) | instskip(NEXT) | instid1(VALU_DEP_1)
	v_fma_f32 v121, -v121, v128, v129
	v_div_fmas_f32 v121, v121, v127, v128
	s_delay_alu instid0(VALU_DEP_1) | instskip(NEXT) | instid1(VALU_DEP_1)
	v_div_fixup_f32 v121, v121, v119, v118
	v_fmac_f32_e32 v119, v118, v121
	s_delay_alu instid0(VALU_DEP_1) | instskip(SKIP_1) | instid1(VALU_DEP_2)
	v_div_scale_f32 v118, null, v119, v119, 1.0
	v_div_scale_f32 v129, vcc_lo, 1.0, v119, 1.0
	v_rcp_f32_e32 v127, v118
	v_nop
	s_delay_alu instid0(TRANS32_DEP_1) | instskip(NEXT) | instid1(VALU_DEP_1)
	v_fma_f32 v128, -v118, v127, 1.0
	v_fmac_f32_e32 v127, v128, v127
	s_delay_alu instid0(VALU_DEP_1) | instskip(NEXT) | instid1(VALU_DEP_1)
	v_mul_f32_e32 v128, v129, v127
	v_fma_f32 v130, -v118, v128, v129
	s_delay_alu instid0(VALU_DEP_1) | instskip(NEXT) | instid1(VALU_DEP_1)
	v_fmac_f32_e32 v128, v130, v127
	v_fma_f32 v118, -v118, v128, v129
	s_delay_alu instid0(VALU_DEP_1) | instskip(NEXT) | instid1(VALU_DEP_1)
	v_div_fmas_f32 v118, v118, v127, v128
	v_div_fixup_f32 v119, v118, v119, 1.0
	s_delay_alu instid0(VALU_DEP_1)
	v_mul_f32_e32 v118, v121, v119
	v_xor_b32_e32 v119, 0x80000000, v119
.LBB110_1015:
	s_and_not1_saveexec_b32 s1, s1
	s_cbranch_execz .LBB110_1017
; %bb.1016:
	s_delay_alu instid0(VALU_DEP_1) | instskip(SKIP_1) | instid1(VALU_DEP_2)
	v_div_scale_f32 v121, null, v118, v118, v119
	v_div_scale_f32 v129, vcc_lo, v119, v118, v119
	v_rcp_f32_e32 v127, v121
	v_nop
	s_delay_alu instid0(TRANS32_DEP_1) | instskip(NEXT) | instid1(VALU_DEP_1)
	v_fma_f32 v128, -v121, v127, 1.0
	v_fmac_f32_e32 v127, v128, v127
	s_delay_alu instid0(VALU_DEP_1) | instskip(NEXT) | instid1(VALU_DEP_1)
	v_mul_f32_e32 v128, v129, v127
	v_fma_f32 v130, -v121, v128, v129
	s_delay_alu instid0(VALU_DEP_1) | instskip(NEXT) | instid1(VALU_DEP_1)
	v_fmac_f32_e32 v128, v130, v127
	v_fma_f32 v121, -v121, v128, v129
	s_delay_alu instid0(VALU_DEP_1) | instskip(NEXT) | instid1(VALU_DEP_1)
	v_div_fmas_f32 v121, v121, v127, v128
	v_div_fixup_f32 v121, v121, v118, v119
	s_delay_alu instid0(VALU_DEP_1) | instskip(NEXT) | instid1(VALU_DEP_1)
	v_fmac_f32_e32 v118, v119, v121
	v_div_scale_f32 v119, null, v118, v118, 1.0
	s_delay_alu instid0(VALU_DEP_1) | instskip(SKIP_1) | instid1(TRANS32_DEP_1)
	v_rcp_f32_e32 v127, v119
	v_nop
	v_fma_f32 v128, -v119, v127, 1.0
	s_delay_alu instid0(VALU_DEP_1) | instskip(SKIP_1) | instid1(VALU_DEP_1)
	v_fmac_f32_e32 v127, v128, v127
	v_div_scale_f32 v128, vcc_lo, 1.0, v118, 1.0
	v_mul_f32_e32 v129, v128, v127
	s_delay_alu instid0(VALU_DEP_1) | instskip(NEXT) | instid1(VALU_DEP_1)
	v_fma_f32 v130, -v119, v129, v128
	v_fmac_f32_e32 v129, v130, v127
	s_delay_alu instid0(VALU_DEP_1) | instskip(NEXT) | instid1(VALU_DEP_1)
	v_fma_f32 v119, -v119, v129, v128
	v_div_fmas_f32 v119, v119, v127, v129
	s_delay_alu instid0(VALU_DEP_1) | instskip(NEXT) | instid1(VALU_DEP_1)
	v_div_fixup_f32 v118, v119, v118, 1.0
	v_mul_f32_e64 v119, v121, -v118
.LBB110_1017:
	s_or_b32 exec_lo, exec_lo, s1
.LBB110_1018:
	s_delay_alu instid0(SALU_CYCLE_1) | instskip(NEXT) | instid1(SALU_CYCLE_1)
	s_or_b32 exec_lo, exec_lo, s0
	s_mov_b32 s0, exec_lo
	v_cmpx_ne_u32_e64 v126, v120
	s_xor_b32 s0, exec_lo, s0
	s_cbranch_execz .LBB110_1024
; %bb.1019:
	s_mov_b32 s1, exec_lo
	v_cmpx_eq_u32_e32 48, v126
	s_cbranch_execz .LBB110_1023
; %bb.1020:
	v_cmp_ne_u32_e32 vcc_lo, 48, v120
	s_xor_b32 s12, s16, -1
	s_delay_alu instid0(SALU_CYCLE_1) | instskip(NEXT) | instid1(SALU_CYCLE_1)
	s_and_b32 s13, s12, vcc_lo
	s_and_saveexec_b32 s12, s13
	s_cbranch_execz .LBB110_1022
; %bb.1021:
	v_ashrrev_i32_e32 v121, 31, v120
	s_delay_alu instid0(VALU_DEP_1)
	v_lshl_add_u64 v[126:127], v[120:121], 2, v[4:5]
	s_clause 0x1
	global_load_b32 v121, v[126:127], off
	global_load_b32 v125, v[4:5], off offset:192
	s_wait_loadcnt 0x1
	global_store_b32 v[4:5], v121, off offset:192
	s_wait_loadcnt 0x0
	global_store_b32 v[126:127], v125, off
.LBB110_1022:
	s_wait_xcnt 0x0
	s_or_b32 exec_lo, exec_lo, s12
	v_dual_mov_b32 v126, v120 :: v_dual_mov_b32 v125, v120
.LBB110_1023:
	s_or_b32 exec_lo, exec_lo, s1
.LBB110_1024:
	s_and_not1_saveexec_b32 s0, s0
	s_cbranch_execz .LBB110_1026
; %bb.1025:
	v_mov_b32_e32 v126, 48
	ds_store_2addr_b64 v122, v[28:29], v[32:33] offset0:49 offset1:50
	ds_store_2addr_b64 v122, v[8:9], v[26:27] offset0:51 offset1:52
	;; [unrolled: 1-line block ×3, first 2 shown]
	ds_store_b64 v122, v[116:117] offset:440
.LBB110_1026:
	s_or_b32 exec_lo, exec_lo, s0
	s_delay_alu instid0(SALU_CYCLE_1)
	s_mov_b32 s0, exec_lo
	s_wait_storecnt_dscnt 0x0
	s_barrier_signal -1
	s_barrier_wait -1
	v_cmpx_lt_i32_e32 48, v126
	s_cbranch_execz .LBB110_1028
; %bb.1027:
	v_pk_mul_f32 v[120:121], v[118:119], v[34:35] op_sel:[1,1] op_sel_hi:[0,1]
	s_delay_alu instid0(VALU_DEP_1)
	v_pk_fma_f32 v[128:129], v[118:119], v[34:35], v[120:121] op_sel_hi:[1,0,1] neg_lo:[0,0,1] neg_hi:[0,0,1]
	v_pk_fma_f32 v[130:131], v[118:119], v[34:35], v[120:121] op_sel_hi:[1,0,1]
	ds_load_2addr_b64 v[118:121], v122 offset0:49 offset1:50
	v_dual_mov_b32 v34, v128 :: v_dual_mov_b32 v35, v131
	s_wait_dscnt 0x0
	v_pk_mul_f32 v[132:133], v[118:119], v[130:131] op_sel:[0,1]
	s_delay_alu instid0(VALU_DEP_1) | instskip(SKIP_1) | instid1(VALU_DEP_1)
	v_pk_fma_f32 v[134:135], v[118:119], v[128:129], v[132:133] op_sel:[0,0,1] op_sel_hi:[1,1,0] neg_lo:[0,0,1] neg_hi:[0,0,1]
	v_pk_fma_f32 v[118:119], v[118:119], v[128:129], v[132:133] op_sel:[0,0,1] op_sel_hi:[1,0,0]
	v_mov_b32_e32 v135, v119
	v_pk_mul_f32 v[118:119], v[120:121], v[130:131] op_sel:[0,1]
	s_delay_alu instid0(VALU_DEP_1) | instskip(SKIP_1) | instid1(VALU_DEP_1)
	v_pk_fma_f32 v[132:133], v[120:121], v[128:129], v[118:119] op_sel:[0,0,1] op_sel_hi:[1,1,0] neg_lo:[0,0,1] neg_hi:[0,0,1]
	v_pk_fma_f32 v[118:119], v[120:121], v[128:129], v[118:119] op_sel:[0,0,1] op_sel_hi:[1,0,0]
	v_mov_b32_e32 v133, v119
	ds_load_2addr_b64 v[118:121], v122 offset0:51 offset1:52
	v_pk_add_f32 v[28:29], v[28:29], v[134:135] neg_lo:[0,1] neg_hi:[0,1]
	v_pk_add_f32 v[32:33], v[32:33], v[132:133] neg_lo:[0,1] neg_hi:[0,1]
	s_wait_dscnt 0x0
	v_pk_mul_f32 v[132:133], v[118:119], v[130:131] op_sel:[0,1]
	s_delay_alu instid0(VALU_DEP_1) | instskip(SKIP_2) | instid1(VALU_DEP_2)
	v_pk_fma_f32 v[134:135], v[118:119], v[128:129], v[132:133] op_sel:[0,0,1] op_sel_hi:[1,1,0] neg_lo:[0,0,1] neg_hi:[0,0,1]
	v_pk_fma_f32 v[118:119], v[118:119], v[128:129], v[132:133] op_sel:[0,0,1] op_sel_hi:[1,0,0]
	v_dual_mul_f32 v132, v121, v131 :: v_dual_mov_b32 v118, v121
	v_dual_mov_b32 v135, v119 :: v_dual_mov_b32 v119, v120
	s_delay_alu instid0(VALU_DEP_2) | instskip(SKIP_1) | instid1(VALU_DEP_3)
	v_pk_fma_f32 v[132:133], v[120:121], v[34:35], v[132:133] op_sel_hi:[1,1,0] neg_lo:[0,0,1] neg_hi:[0,0,1]
	v_mul_f32_e32 v120, v121, v128
	v_pk_add_f32 v[8:9], v[8:9], v[134:135] neg_lo:[0,1] neg_hi:[0,1]
	s_delay_alu instid0(VALU_DEP_2) | instskip(NEXT) | instid1(VALU_DEP_1)
	v_pk_fma_f32 v[118:119], v[118:119], v[34:35], v[120:121] op_sel_hi:[1,1,0]
	v_mov_b32_e32 v133, v119
	ds_load_2addr_b64 v[118:121], v122 offset0:53 offset1:54
	v_pk_add_f32 v[26:27], v[26:27], v[132:133] neg_lo:[0,1] neg_hi:[0,1]
	s_wait_dscnt 0x0
	v_pk_mul_f32 v[132:133], v[118:119], v[130:131] op_sel:[0,1]
	s_delay_alu instid0(VALU_DEP_1) | instskip(SKIP_1) | instid1(VALU_DEP_1)
	v_pk_fma_f32 v[134:135], v[118:119], v[128:129], v[132:133] op_sel:[0,0,1] op_sel_hi:[1,1,0] neg_lo:[0,0,1] neg_hi:[0,0,1]
	v_pk_fma_f32 v[118:119], v[118:119], v[128:129], v[132:133] op_sel:[0,0,1] op_sel_hi:[1,0,0]
	v_mov_b32_e32 v135, v119
	v_pk_mul_f32 v[118:119], v[120:121], v[130:131] op_sel:[0,1]
	s_delay_alu instid0(VALU_DEP_1) | instskip(SKIP_1) | instid1(VALU_DEP_1)
	v_pk_fma_f32 v[132:133], v[120:121], v[128:129], v[118:119] op_sel:[0,0,1] op_sel_hi:[1,1,0] neg_lo:[0,0,1] neg_hi:[0,0,1]
	v_pk_fma_f32 v[118:119], v[120:121], v[128:129], v[118:119] op_sel:[0,0,1] op_sel_hi:[1,0,0]
	v_mov_b32_e32 v133, v119
	ds_load_b64 v[118:119], v122 offset:440
	v_pk_add_f32 v[22:23], v[22:23], v[134:135] neg_lo:[0,1] neg_hi:[0,1]
	v_pk_add_f32 v[20:21], v[20:21], v[132:133] neg_lo:[0,1] neg_hi:[0,1]
	s_wait_dscnt 0x0
	v_pk_mul_f32 v[120:121], v[118:119], v[130:131] op_sel:[0,1]
	s_delay_alu instid0(VALU_DEP_1) | instskip(SKIP_1) | instid1(VALU_DEP_1)
	v_pk_fma_f32 v[130:131], v[118:119], v[128:129], v[120:121] op_sel:[0,0,1] op_sel_hi:[1,1,0] neg_lo:[0,0,1] neg_hi:[0,0,1]
	v_pk_fma_f32 v[118:119], v[118:119], v[128:129], v[120:121] op_sel:[0,0,1] op_sel_hi:[1,0,0]
	v_mov_b32_e32 v131, v119
	s_delay_alu instid0(VALU_DEP_1)
	v_pk_add_f32 v[116:117], v[116:117], v[130:131] neg_lo:[0,1] neg_hi:[0,1]
.LBB110_1028:
	s_or_b32 exec_lo, exec_lo, s0
	v_lshl_add_u32 v118, v126, 3, v122
	s_barrier_signal -1
	s_barrier_wait -1
	ds_store_b64 v118, v[28:29]
	s_wait_dscnt 0x0
	s_barrier_signal -1
	s_barrier_wait -1
	ds_load_b64 v[118:119], v122 offset:392
	v_mov_b32_e32 v120, 49
	s_cmp_lt_i32 s18, 51
	s_cbranch_scc1 .LBB110_1031
; %bb.1029:
	v_add3_u32 v121, v123, 0, 0x190
	v_mov_b32_e32 v120, 49
	s_mov_b32 s0, 50
.LBB110_1030:                           ; =>This Inner Loop Header: Depth=1
	ds_load_b64 v[128:129], v121
	s_wait_dscnt 0x1
	v_cmp_gt_f32_e32 vcc_lo, 0, v118
	v_cndmask_b32_e64 v130, v118, -v118, vcc_lo
	v_cmp_gt_f32_e32 vcc_lo, 0, v119
	v_cndmask_b32_e64 v132, v119, -v119, vcc_lo
	s_wait_dscnt 0x0
	v_cmp_gt_f32_e32 vcc_lo, 0, v128
	v_cndmask_b32_e64 v131, v128, -v128, vcc_lo
	v_cmp_gt_f32_e32 vcc_lo, 0, v129
	v_cndmask_b32_e64 v133, v129, -v129, vcc_lo
	s_delay_alu instid0(VALU_DEP_1) | instskip(NEXT) | instid1(VALU_DEP_1)
	v_pk_add_f32 v[130:131], v[130:131], v[132:133]
	v_cmp_lt_f32_e32 vcc_lo, v130, v131
	v_dual_cndmask_b32 v118, v118, v128 :: v_dual_add_nc_u32 v121, 8, v121
	v_cndmask_b32_e32 v119, v119, v129, vcc_lo
	v_cndmask_b32_e64 v120, v120, s0, vcc_lo
	s_add_co_i32 s0, s0, 1
	s_delay_alu instid0(SALU_CYCLE_1)
	s_cmp_lg_u32 s18, s0
	s_cbranch_scc1 .LBB110_1030
.LBB110_1031:
	s_wait_dscnt 0x0
	v_cmp_eq_f32_e32 vcc_lo, 0, v118
	v_cmp_eq_f32_e64 s0, 0, v119
	s_and_b32 s0, vcc_lo, s0
	s_delay_alu instid0(SALU_CYCLE_1) | instskip(NEXT) | instid1(SALU_CYCLE_1)
	s_and_saveexec_b32 s1, s0
	s_xor_b32 s0, exec_lo, s1
; %bb.1032:
	v_cmp_ne_u32_e32 vcc_lo, 0, v124
	v_cndmask_b32_e32 v124, 50, v124, vcc_lo
; %bb.1033:
	s_and_not1_saveexec_b32 s0, s0
	s_cbranch_execz .LBB110_1039
; %bb.1034:
	v_cmp_ngt_f32_e64 s1, |v118|, |v119|
	s_and_saveexec_b32 s12, s1
	s_delay_alu instid0(SALU_CYCLE_1)
	s_xor_b32 s1, exec_lo, s12
	s_cbranch_execz .LBB110_1036
; %bb.1035:
	v_div_scale_f32 v121, null, v119, v119, v118
	v_div_scale_f32 v129, vcc_lo, v118, v119, v118
	s_delay_alu instid0(VALU_DEP_2) | instskip(SKIP_1) | instid1(TRANS32_DEP_1)
	v_rcp_f32_e32 v127, v121
	v_nop
	v_fma_f32 v128, -v121, v127, 1.0
	s_delay_alu instid0(VALU_DEP_1) | instskip(NEXT) | instid1(VALU_DEP_1)
	v_fmac_f32_e32 v127, v128, v127
	v_mul_f32_e32 v128, v129, v127
	s_delay_alu instid0(VALU_DEP_1) | instskip(NEXT) | instid1(VALU_DEP_1)
	v_fma_f32 v130, -v121, v128, v129
	v_fmac_f32_e32 v128, v130, v127
	s_delay_alu instid0(VALU_DEP_1) | instskip(NEXT) | instid1(VALU_DEP_1)
	v_fma_f32 v121, -v121, v128, v129
	v_div_fmas_f32 v121, v121, v127, v128
	s_delay_alu instid0(VALU_DEP_1) | instskip(NEXT) | instid1(VALU_DEP_1)
	v_div_fixup_f32 v121, v121, v119, v118
	v_fmac_f32_e32 v119, v118, v121
	s_delay_alu instid0(VALU_DEP_1) | instskip(SKIP_1) | instid1(VALU_DEP_2)
	v_div_scale_f32 v118, null, v119, v119, 1.0
	v_div_scale_f32 v129, vcc_lo, 1.0, v119, 1.0
	v_rcp_f32_e32 v127, v118
	v_nop
	s_delay_alu instid0(TRANS32_DEP_1) | instskip(NEXT) | instid1(VALU_DEP_1)
	v_fma_f32 v128, -v118, v127, 1.0
	v_fmac_f32_e32 v127, v128, v127
	s_delay_alu instid0(VALU_DEP_1) | instskip(NEXT) | instid1(VALU_DEP_1)
	v_mul_f32_e32 v128, v129, v127
	v_fma_f32 v130, -v118, v128, v129
	s_delay_alu instid0(VALU_DEP_1) | instskip(NEXT) | instid1(VALU_DEP_1)
	v_fmac_f32_e32 v128, v130, v127
	v_fma_f32 v118, -v118, v128, v129
	s_delay_alu instid0(VALU_DEP_1) | instskip(NEXT) | instid1(VALU_DEP_1)
	v_div_fmas_f32 v118, v118, v127, v128
	v_div_fixup_f32 v119, v118, v119, 1.0
	s_delay_alu instid0(VALU_DEP_1)
	v_mul_f32_e32 v118, v121, v119
	v_xor_b32_e32 v119, 0x80000000, v119
.LBB110_1036:
	s_and_not1_saveexec_b32 s1, s1
	s_cbranch_execz .LBB110_1038
; %bb.1037:
	s_delay_alu instid0(VALU_DEP_1) | instskip(SKIP_1) | instid1(VALU_DEP_2)
	v_div_scale_f32 v121, null, v118, v118, v119
	v_div_scale_f32 v129, vcc_lo, v119, v118, v119
	v_rcp_f32_e32 v127, v121
	v_nop
	s_delay_alu instid0(TRANS32_DEP_1) | instskip(NEXT) | instid1(VALU_DEP_1)
	v_fma_f32 v128, -v121, v127, 1.0
	v_fmac_f32_e32 v127, v128, v127
	s_delay_alu instid0(VALU_DEP_1) | instskip(NEXT) | instid1(VALU_DEP_1)
	v_mul_f32_e32 v128, v129, v127
	v_fma_f32 v130, -v121, v128, v129
	s_delay_alu instid0(VALU_DEP_1) | instskip(NEXT) | instid1(VALU_DEP_1)
	v_fmac_f32_e32 v128, v130, v127
	v_fma_f32 v121, -v121, v128, v129
	s_delay_alu instid0(VALU_DEP_1) | instskip(NEXT) | instid1(VALU_DEP_1)
	v_div_fmas_f32 v121, v121, v127, v128
	v_div_fixup_f32 v121, v121, v118, v119
	s_delay_alu instid0(VALU_DEP_1) | instskip(NEXT) | instid1(VALU_DEP_1)
	v_fmac_f32_e32 v118, v119, v121
	v_div_scale_f32 v119, null, v118, v118, 1.0
	s_delay_alu instid0(VALU_DEP_1) | instskip(SKIP_1) | instid1(TRANS32_DEP_1)
	v_rcp_f32_e32 v127, v119
	v_nop
	v_fma_f32 v128, -v119, v127, 1.0
	s_delay_alu instid0(VALU_DEP_1) | instskip(SKIP_1) | instid1(VALU_DEP_1)
	v_fmac_f32_e32 v127, v128, v127
	v_div_scale_f32 v128, vcc_lo, 1.0, v118, 1.0
	v_mul_f32_e32 v129, v128, v127
	s_delay_alu instid0(VALU_DEP_1) | instskip(NEXT) | instid1(VALU_DEP_1)
	v_fma_f32 v130, -v119, v129, v128
	v_fmac_f32_e32 v129, v130, v127
	s_delay_alu instid0(VALU_DEP_1) | instskip(NEXT) | instid1(VALU_DEP_1)
	v_fma_f32 v119, -v119, v129, v128
	v_div_fmas_f32 v119, v119, v127, v129
	s_delay_alu instid0(VALU_DEP_1) | instskip(NEXT) | instid1(VALU_DEP_1)
	v_div_fixup_f32 v118, v119, v118, 1.0
	v_mul_f32_e64 v119, v121, -v118
.LBB110_1038:
	s_or_b32 exec_lo, exec_lo, s1
.LBB110_1039:
	s_delay_alu instid0(SALU_CYCLE_1) | instskip(NEXT) | instid1(SALU_CYCLE_1)
	s_or_b32 exec_lo, exec_lo, s0
	s_mov_b32 s0, exec_lo
	v_cmpx_ne_u32_e64 v126, v120
	s_xor_b32 s0, exec_lo, s0
	s_cbranch_execz .LBB110_1045
; %bb.1040:
	s_mov_b32 s1, exec_lo
	v_cmpx_eq_u32_e32 49, v126
	s_cbranch_execz .LBB110_1044
; %bb.1041:
	v_cmp_ne_u32_e32 vcc_lo, 49, v120
	s_xor_b32 s12, s16, -1
	s_delay_alu instid0(SALU_CYCLE_1) | instskip(NEXT) | instid1(SALU_CYCLE_1)
	s_and_b32 s13, s12, vcc_lo
	s_and_saveexec_b32 s12, s13
	s_cbranch_execz .LBB110_1043
; %bb.1042:
	v_ashrrev_i32_e32 v121, 31, v120
	s_delay_alu instid0(VALU_DEP_1)
	v_lshl_add_u64 v[126:127], v[120:121], 2, v[4:5]
	s_clause 0x1
	global_load_b32 v121, v[126:127], off
	global_load_b32 v125, v[4:5], off offset:196
	s_wait_loadcnt 0x1
	global_store_b32 v[4:5], v121, off offset:196
	s_wait_loadcnt 0x0
	global_store_b32 v[126:127], v125, off
.LBB110_1043:
	s_wait_xcnt 0x0
	s_or_b32 exec_lo, exec_lo, s12
	v_dual_mov_b32 v126, v120 :: v_dual_mov_b32 v125, v120
.LBB110_1044:
	s_or_b32 exec_lo, exec_lo, s1
.LBB110_1045:
	s_and_not1_saveexec_b32 s0, s0
	s_cbranch_execz .LBB110_1047
; %bb.1046:
	v_dual_mov_b32 v120, v32 :: v_dual_mov_b32 v121, v33
	v_dual_mov_b32 v128, v8 :: v_dual_mov_b32 v129, v9
	;; [unrolled: 1-line block ×5, first 2 shown]
	v_mov_b32_e32 v135, v21
	ds_store_2addr_b64 v122, v[120:121], v[128:129] offset0:50 offset1:51
	ds_store_2addr_b64 v122, v[130:131], v[132:133] offset0:52 offset1:53
	;; [unrolled: 1-line block ×3, first 2 shown]
.LBB110_1047:
	s_or_b32 exec_lo, exec_lo, s0
	s_delay_alu instid0(SALU_CYCLE_1)
	s_mov_b32 s0, exec_lo
	s_wait_storecnt_dscnt 0x0
	s_barrier_signal -1
	s_barrier_wait -1
	v_cmpx_lt_i32_e32 49, v126
	s_cbranch_execz .LBB110_1049
; %bb.1048:
	v_pk_mul_f32 v[120:121], v[118:119], v[28:29] op_sel:[1,1] op_sel_hi:[0,1]
	s_delay_alu instid0(VALU_DEP_1)
	v_pk_fma_f32 v[128:129], v[118:119], v[28:29], v[120:121] op_sel_hi:[1,0,1] neg_lo:[0,0,1] neg_hi:[0,0,1]
	v_pk_fma_f32 v[130:131], v[118:119], v[28:29], v[120:121] op_sel_hi:[1,0,1]
	ds_load_2addr_b64 v[118:121], v122 offset0:50 offset1:51
	v_dual_mov_b32 v28, v128 :: v_dual_mov_b32 v29, v131
	s_wait_dscnt 0x0
	v_pk_mul_f32 v[132:133], v[118:119], v[130:131] op_sel:[0,1]
	s_delay_alu instid0(VALU_DEP_1) | instskip(SKIP_1) | instid1(VALU_DEP_1)
	v_pk_fma_f32 v[134:135], v[118:119], v[128:129], v[132:133] op_sel:[0,0,1] op_sel_hi:[1,1,0] neg_lo:[0,0,1] neg_hi:[0,0,1]
	v_pk_fma_f32 v[118:119], v[118:119], v[128:129], v[132:133] op_sel:[0,0,1] op_sel_hi:[1,0,0]
	v_mov_b32_e32 v135, v119
	v_pk_mul_f32 v[118:119], v[120:121], v[130:131] op_sel:[0,1]
	s_delay_alu instid0(VALU_DEP_1) | instskip(SKIP_1) | instid1(VALU_DEP_1)
	v_pk_fma_f32 v[132:133], v[120:121], v[128:129], v[118:119] op_sel:[0,0,1] op_sel_hi:[1,1,0] neg_lo:[0,0,1] neg_hi:[0,0,1]
	v_pk_fma_f32 v[118:119], v[120:121], v[128:129], v[118:119] op_sel:[0,0,1] op_sel_hi:[1,0,0]
	v_mov_b32_e32 v133, v119
	ds_load_2addr_b64 v[118:121], v122 offset0:52 offset1:53
	v_pk_add_f32 v[32:33], v[32:33], v[134:135] neg_lo:[0,1] neg_hi:[0,1]
	v_pk_add_f32 v[8:9], v[8:9], v[132:133] neg_lo:[0,1] neg_hi:[0,1]
	s_wait_dscnt 0x0
	v_pk_mul_f32 v[132:133], v[118:119], v[130:131] op_sel:[0,1]
	s_delay_alu instid0(VALU_DEP_1) | instskip(SKIP_2) | instid1(VALU_DEP_2)
	v_pk_fma_f32 v[134:135], v[118:119], v[128:129], v[132:133] op_sel:[0,0,1] op_sel_hi:[1,1,0] neg_lo:[0,0,1] neg_hi:[0,0,1]
	v_pk_fma_f32 v[118:119], v[118:119], v[128:129], v[132:133] op_sel:[0,0,1] op_sel_hi:[1,0,0]
	v_dual_mul_f32 v132, v121, v131 :: v_dual_mov_b32 v118, v121
	v_dual_mov_b32 v135, v119 :: v_dual_mov_b32 v119, v120
	s_delay_alu instid0(VALU_DEP_2) | instskip(SKIP_1) | instid1(VALU_DEP_3)
	v_pk_fma_f32 v[132:133], v[120:121], v[28:29], v[132:133] op_sel_hi:[1,1,0] neg_lo:[0,0,1] neg_hi:[0,0,1]
	v_mul_f32_e32 v120, v121, v128
	v_pk_add_f32 v[26:27], v[26:27], v[134:135] neg_lo:[0,1] neg_hi:[0,1]
	s_delay_alu instid0(VALU_DEP_2) | instskip(NEXT) | instid1(VALU_DEP_1)
	v_pk_fma_f32 v[118:119], v[118:119], v[28:29], v[120:121] op_sel_hi:[1,1,0]
	v_mov_b32_e32 v133, v119
	ds_load_2addr_b64 v[118:121], v122 offset0:54 offset1:55
	v_pk_add_f32 v[22:23], v[22:23], v[132:133] neg_lo:[0,1] neg_hi:[0,1]
	s_wait_dscnt 0x0
	v_pk_mul_f32 v[132:133], v[118:119], v[130:131] op_sel:[0,1]
	v_mul_f32_e32 v130, v121, v131
	s_delay_alu instid0(VALU_DEP_2) | instskip(SKIP_2) | instid1(VALU_DEP_4)
	v_pk_fma_f32 v[134:135], v[118:119], v[128:129], v[132:133] op_sel:[0,0,1] op_sel_hi:[1,1,0] neg_lo:[0,0,1] neg_hi:[0,0,1]
	v_pk_fma_f32 v[118:119], v[118:119], v[128:129], v[132:133] op_sel:[0,0,1] op_sel_hi:[1,0,0]
	v_mov_b32_e32 v118, v121
	v_pk_fma_f32 v[130:131], v[120:121], v[28:29], v[130:131] op_sel_hi:[1,1,0] neg_lo:[0,0,1] neg_hi:[0,0,1]
	s_delay_alu instid0(VALU_DEP_3) | instskip(SKIP_1) | instid1(VALU_DEP_2)
	v_dual_mov_b32 v135, v119 :: v_dual_mov_b32 v119, v120
	v_mul_f32_e32 v120, v121, v128
	v_pk_add_f32 v[20:21], v[20:21], v[134:135] neg_lo:[0,1] neg_hi:[0,1]
	s_delay_alu instid0(VALU_DEP_2) | instskip(NEXT) | instid1(VALU_DEP_1)
	v_pk_fma_f32 v[118:119], v[118:119], v[28:29], v[120:121] op_sel_hi:[1,1,0]
	v_mov_b32_e32 v131, v119
	s_delay_alu instid0(VALU_DEP_1)
	v_pk_add_f32 v[116:117], v[116:117], v[130:131] neg_lo:[0,1] neg_hi:[0,1]
.LBB110_1049:
	s_or_b32 exec_lo, exec_lo, s0
	v_lshl_add_u32 v118, v126, 3, v122
	s_barrier_signal -1
	s_barrier_wait -1
	ds_store_b64 v118, v[32:33]
	s_wait_dscnt 0x0
	s_barrier_signal -1
	s_barrier_wait -1
	ds_load_b64 v[118:119], v122 offset:400
	v_mov_b32_e32 v120, 50
	s_cmp_lt_i32 s18, 52
	s_cbranch_scc1 .LBB110_1052
; %bb.1050:
	v_add3_u32 v121, v123, 0, 0x198
	v_mov_b32_e32 v120, 50
	s_mov_b32 s0, 51
.LBB110_1051:                           ; =>This Inner Loop Header: Depth=1
	ds_load_b64 v[128:129], v121
	s_wait_dscnt 0x1
	v_cmp_gt_f32_e32 vcc_lo, 0, v118
	v_cndmask_b32_e64 v130, v118, -v118, vcc_lo
	v_cmp_gt_f32_e32 vcc_lo, 0, v119
	v_cndmask_b32_e64 v132, v119, -v119, vcc_lo
	s_wait_dscnt 0x0
	v_cmp_gt_f32_e32 vcc_lo, 0, v128
	v_cndmask_b32_e64 v131, v128, -v128, vcc_lo
	v_cmp_gt_f32_e32 vcc_lo, 0, v129
	v_cndmask_b32_e64 v133, v129, -v129, vcc_lo
	s_delay_alu instid0(VALU_DEP_1) | instskip(NEXT) | instid1(VALU_DEP_1)
	v_pk_add_f32 v[130:131], v[130:131], v[132:133]
	v_cmp_lt_f32_e32 vcc_lo, v130, v131
	v_dual_cndmask_b32 v118, v118, v128 :: v_dual_add_nc_u32 v121, 8, v121
	v_cndmask_b32_e32 v119, v119, v129, vcc_lo
	v_cndmask_b32_e64 v120, v120, s0, vcc_lo
	s_add_co_i32 s0, s0, 1
	s_delay_alu instid0(SALU_CYCLE_1)
	s_cmp_lg_u32 s18, s0
	s_cbranch_scc1 .LBB110_1051
.LBB110_1052:
	s_wait_dscnt 0x0
	v_cmp_eq_f32_e32 vcc_lo, 0, v118
	v_cmp_eq_f32_e64 s0, 0, v119
	s_and_b32 s0, vcc_lo, s0
	s_delay_alu instid0(SALU_CYCLE_1) | instskip(NEXT) | instid1(SALU_CYCLE_1)
	s_and_saveexec_b32 s1, s0
	s_xor_b32 s0, exec_lo, s1
; %bb.1053:
	v_cmp_ne_u32_e32 vcc_lo, 0, v124
	v_cndmask_b32_e32 v124, 51, v124, vcc_lo
; %bb.1054:
	s_and_not1_saveexec_b32 s0, s0
	s_cbranch_execz .LBB110_1060
; %bb.1055:
	v_cmp_ngt_f32_e64 s1, |v118|, |v119|
	s_and_saveexec_b32 s12, s1
	s_delay_alu instid0(SALU_CYCLE_1)
	s_xor_b32 s1, exec_lo, s12
	s_cbranch_execz .LBB110_1057
; %bb.1056:
	v_div_scale_f32 v121, null, v119, v119, v118
	v_div_scale_f32 v129, vcc_lo, v118, v119, v118
	s_delay_alu instid0(VALU_DEP_2) | instskip(SKIP_1) | instid1(TRANS32_DEP_1)
	v_rcp_f32_e32 v127, v121
	v_nop
	v_fma_f32 v128, -v121, v127, 1.0
	s_delay_alu instid0(VALU_DEP_1) | instskip(NEXT) | instid1(VALU_DEP_1)
	v_fmac_f32_e32 v127, v128, v127
	v_mul_f32_e32 v128, v129, v127
	s_delay_alu instid0(VALU_DEP_1) | instskip(NEXT) | instid1(VALU_DEP_1)
	v_fma_f32 v130, -v121, v128, v129
	v_fmac_f32_e32 v128, v130, v127
	s_delay_alu instid0(VALU_DEP_1) | instskip(NEXT) | instid1(VALU_DEP_1)
	v_fma_f32 v121, -v121, v128, v129
	v_div_fmas_f32 v121, v121, v127, v128
	s_delay_alu instid0(VALU_DEP_1) | instskip(NEXT) | instid1(VALU_DEP_1)
	v_div_fixup_f32 v121, v121, v119, v118
	v_fmac_f32_e32 v119, v118, v121
	s_delay_alu instid0(VALU_DEP_1) | instskip(SKIP_1) | instid1(VALU_DEP_2)
	v_div_scale_f32 v118, null, v119, v119, 1.0
	v_div_scale_f32 v129, vcc_lo, 1.0, v119, 1.0
	v_rcp_f32_e32 v127, v118
	v_nop
	s_delay_alu instid0(TRANS32_DEP_1) | instskip(NEXT) | instid1(VALU_DEP_1)
	v_fma_f32 v128, -v118, v127, 1.0
	v_fmac_f32_e32 v127, v128, v127
	s_delay_alu instid0(VALU_DEP_1) | instskip(NEXT) | instid1(VALU_DEP_1)
	v_mul_f32_e32 v128, v129, v127
	v_fma_f32 v130, -v118, v128, v129
	s_delay_alu instid0(VALU_DEP_1) | instskip(NEXT) | instid1(VALU_DEP_1)
	v_fmac_f32_e32 v128, v130, v127
	v_fma_f32 v118, -v118, v128, v129
	s_delay_alu instid0(VALU_DEP_1) | instskip(NEXT) | instid1(VALU_DEP_1)
	v_div_fmas_f32 v118, v118, v127, v128
	v_div_fixup_f32 v119, v118, v119, 1.0
	s_delay_alu instid0(VALU_DEP_1)
	v_mul_f32_e32 v118, v121, v119
	v_xor_b32_e32 v119, 0x80000000, v119
.LBB110_1057:
	s_and_not1_saveexec_b32 s1, s1
	s_cbranch_execz .LBB110_1059
; %bb.1058:
	s_delay_alu instid0(VALU_DEP_1) | instskip(SKIP_1) | instid1(VALU_DEP_2)
	v_div_scale_f32 v121, null, v118, v118, v119
	v_div_scale_f32 v129, vcc_lo, v119, v118, v119
	v_rcp_f32_e32 v127, v121
	v_nop
	s_delay_alu instid0(TRANS32_DEP_1) | instskip(NEXT) | instid1(VALU_DEP_1)
	v_fma_f32 v128, -v121, v127, 1.0
	v_fmac_f32_e32 v127, v128, v127
	s_delay_alu instid0(VALU_DEP_1) | instskip(NEXT) | instid1(VALU_DEP_1)
	v_mul_f32_e32 v128, v129, v127
	v_fma_f32 v130, -v121, v128, v129
	s_delay_alu instid0(VALU_DEP_1) | instskip(NEXT) | instid1(VALU_DEP_1)
	v_fmac_f32_e32 v128, v130, v127
	v_fma_f32 v121, -v121, v128, v129
	s_delay_alu instid0(VALU_DEP_1) | instskip(NEXT) | instid1(VALU_DEP_1)
	v_div_fmas_f32 v121, v121, v127, v128
	v_div_fixup_f32 v121, v121, v118, v119
	s_delay_alu instid0(VALU_DEP_1) | instskip(NEXT) | instid1(VALU_DEP_1)
	v_fmac_f32_e32 v118, v119, v121
	v_div_scale_f32 v119, null, v118, v118, 1.0
	s_delay_alu instid0(VALU_DEP_1) | instskip(SKIP_1) | instid1(TRANS32_DEP_1)
	v_rcp_f32_e32 v127, v119
	v_nop
	v_fma_f32 v128, -v119, v127, 1.0
	s_delay_alu instid0(VALU_DEP_1) | instskip(SKIP_1) | instid1(VALU_DEP_1)
	v_fmac_f32_e32 v127, v128, v127
	v_div_scale_f32 v128, vcc_lo, 1.0, v118, 1.0
	v_mul_f32_e32 v129, v128, v127
	s_delay_alu instid0(VALU_DEP_1) | instskip(NEXT) | instid1(VALU_DEP_1)
	v_fma_f32 v130, -v119, v129, v128
	v_fmac_f32_e32 v129, v130, v127
	s_delay_alu instid0(VALU_DEP_1) | instskip(NEXT) | instid1(VALU_DEP_1)
	v_fma_f32 v119, -v119, v129, v128
	v_div_fmas_f32 v119, v119, v127, v129
	s_delay_alu instid0(VALU_DEP_1) | instskip(NEXT) | instid1(VALU_DEP_1)
	v_div_fixup_f32 v118, v119, v118, 1.0
	v_mul_f32_e64 v119, v121, -v118
.LBB110_1059:
	s_or_b32 exec_lo, exec_lo, s1
.LBB110_1060:
	s_delay_alu instid0(SALU_CYCLE_1) | instskip(NEXT) | instid1(SALU_CYCLE_1)
	s_or_b32 exec_lo, exec_lo, s0
	s_mov_b32 s0, exec_lo
	v_cmpx_ne_u32_e64 v126, v120
	s_xor_b32 s0, exec_lo, s0
	s_cbranch_execz .LBB110_1066
; %bb.1061:
	s_mov_b32 s1, exec_lo
	v_cmpx_eq_u32_e32 50, v126
	s_cbranch_execz .LBB110_1065
; %bb.1062:
	v_cmp_ne_u32_e32 vcc_lo, 50, v120
	s_xor_b32 s12, s16, -1
	s_delay_alu instid0(SALU_CYCLE_1) | instskip(NEXT) | instid1(SALU_CYCLE_1)
	s_and_b32 s13, s12, vcc_lo
	s_and_saveexec_b32 s12, s13
	s_cbranch_execz .LBB110_1064
; %bb.1063:
	v_ashrrev_i32_e32 v121, 31, v120
	s_delay_alu instid0(VALU_DEP_1)
	v_lshl_add_u64 v[126:127], v[120:121], 2, v[4:5]
	s_clause 0x1
	global_load_b32 v121, v[126:127], off
	global_load_b32 v125, v[4:5], off offset:200
	s_wait_loadcnt 0x1
	global_store_b32 v[4:5], v121, off offset:200
	s_wait_loadcnt 0x0
	global_store_b32 v[126:127], v125, off
.LBB110_1064:
	s_wait_xcnt 0x0
	s_or_b32 exec_lo, exec_lo, s12
	v_dual_mov_b32 v126, v120 :: v_dual_mov_b32 v125, v120
.LBB110_1065:
	s_or_b32 exec_lo, exec_lo, s1
.LBB110_1066:
	s_and_not1_saveexec_b32 s0, s0
	s_cbranch_execz .LBB110_1068
; %bb.1067:
	v_mov_b32_e32 v126, 50
	ds_store_2addr_b64 v122, v[8:9], v[26:27] offset0:51 offset1:52
	ds_store_2addr_b64 v122, v[22:23], v[20:21] offset0:53 offset1:54
	ds_store_b64 v122, v[116:117] offset:440
.LBB110_1068:
	s_or_b32 exec_lo, exec_lo, s0
	s_delay_alu instid0(SALU_CYCLE_1)
	s_mov_b32 s0, exec_lo
	s_wait_storecnt_dscnt 0x0
	s_barrier_signal -1
	s_barrier_wait -1
	v_cmpx_lt_i32_e32 50, v126
	s_cbranch_execz .LBB110_1070
; %bb.1069:
	v_pk_mul_f32 v[120:121], v[118:119], v[32:33] op_sel:[1,1] op_sel_hi:[0,1]
	s_delay_alu instid0(VALU_DEP_1)
	v_pk_fma_f32 v[128:129], v[118:119], v[32:33], v[120:121] op_sel_hi:[1,0,1] neg_lo:[0,0,1] neg_hi:[0,0,1]
	v_pk_fma_f32 v[130:131], v[118:119], v[32:33], v[120:121] op_sel_hi:[1,0,1]
	ds_load_2addr_b64 v[118:121], v122 offset0:51 offset1:52
	v_dual_mov_b32 v32, v128 :: v_dual_mov_b32 v33, v131
	s_wait_dscnt 0x0
	v_pk_mul_f32 v[132:133], v[118:119], v[130:131] op_sel:[0,1]
	s_delay_alu instid0(VALU_DEP_1) | instskip(SKIP_1) | instid1(VALU_DEP_1)
	v_pk_fma_f32 v[134:135], v[118:119], v[128:129], v[132:133] op_sel:[0,0,1] op_sel_hi:[1,1,0] neg_lo:[0,0,1] neg_hi:[0,0,1]
	v_pk_fma_f32 v[118:119], v[118:119], v[128:129], v[132:133] op_sel:[0,0,1] op_sel_hi:[1,0,0]
	v_mov_b32_e32 v135, v119
	v_pk_mul_f32 v[118:119], v[120:121], v[130:131] op_sel:[0,1]
	s_delay_alu instid0(VALU_DEP_1) | instskip(SKIP_1) | instid1(VALU_DEP_1)
	v_pk_fma_f32 v[132:133], v[120:121], v[128:129], v[118:119] op_sel:[0,0,1] op_sel_hi:[1,1,0] neg_lo:[0,0,1] neg_hi:[0,0,1]
	v_pk_fma_f32 v[118:119], v[120:121], v[128:129], v[118:119] op_sel:[0,0,1] op_sel_hi:[1,0,0]
	v_mov_b32_e32 v133, v119
	ds_load_2addr_b64 v[118:121], v122 offset0:53 offset1:54
	v_pk_add_f32 v[8:9], v[8:9], v[134:135] neg_lo:[0,1] neg_hi:[0,1]
	v_pk_add_f32 v[26:27], v[26:27], v[132:133] neg_lo:[0,1] neg_hi:[0,1]
	s_wait_dscnt 0x0
	v_pk_mul_f32 v[132:133], v[118:119], v[130:131] op_sel:[0,1]
	s_delay_alu instid0(VALU_DEP_1) | instskip(SKIP_2) | instid1(VALU_DEP_2)
	v_pk_fma_f32 v[134:135], v[118:119], v[128:129], v[132:133] op_sel:[0,0,1] op_sel_hi:[1,1,0] neg_lo:[0,0,1] neg_hi:[0,0,1]
	v_pk_fma_f32 v[118:119], v[118:119], v[128:129], v[132:133] op_sel:[0,0,1] op_sel_hi:[1,0,0]
	v_dual_mul_f32 v132, v121, v131 :: v_dual_mov_b32 v118, v121
	v_dual_mov_b32 v135, v119 :: v_dual_mov_b32 v119, v120
	s_delay_alu instid0(VALU_DEP_2) | instskip(SKIP_1) | instid1(VALU_DEP_3)
	v_pk_fma_f32 v[132:133], v[120:121], v[32:33], v[132:133] op_sel_hi:[1,1,0] neg_lo:[0,0,1] neg_hi:[0,0,1]
	v_mul_f32_e32 v120, v121, v128
	v_pk_add_f32 v[22:23], v[22:23], v[134:135] neg_lo:[0,1] neg_hi:[0,1]
	s_delay_alu instid0(VALU_DEP_2) | instskip(NEXT) | instid1(VALU_DEP_1)
	v_pk_fma_f32 v[118:119], v[118:119], v[32:33], v[120:121] op_sel_hi:[1,1,0]
	v_mov_b32_e32 v133, v119
	ds_load_b64 v[118:119], v122 offset:440
	v_pk_add_f32 v[20:21], v[20:21], v[132:133] neg_lo:[0,1] neg_hi:[0,1]
	s_wait_dscnt 0x0
	v_pk_mul_f32 v[120:121], v[118:119], v[130:131] op_sel:[0,1]
	s_delay_alu instid0(VALU_DEP_1) | instskip(SKIP_1) | instid1(VALU_DEP_1)
	v_pk_fma_f32 v[130:131], v[118:119], v[128:129], v[120:121] op_sel:[0,0,1] op_sel_hi:[1,1,0] neg_lo:[0,0,1] neg_hi:[0,0,1]
	v_pk_fma_f32 v[118:119], v[118:119], v[128:129], v[120:121] op_sel:[0,0,1] op_sel_hi:[1,0,0]
	v_mov_b32_e32 v131, v119
	s_delay_alu instid0(VALU_DEP_1)
	v_pk_add_f32 v[116:117], v[116:117], v[130:131] neg_lo:[0,1] neg_hi:[0,1]
.LBB110_1070:
	s_or_b32 exec_lo, exec_lo, s0
	v_lshl_add_u32 v118, v126, 3, v122
	s_barrier_signal -1
	s_barrier_wait -1
	ds_store_b64 v118, v[8:9]
	s_wait_dscnt 0x0
	s_barrier_signal -1
	s_barrier_wait -1
	ds_load_b64 v[118:119], v122 offset:408
	v_mov_b32_e32 v120, 51
	s_cmp_lt_i32 s18, 53
	s_cbranch_scc1 .LBB110_1073
; %bb.1071:
	v_add3_u32 v121, v123, 0, 0x1a0
	v_mov_b32_e32 v120, 51
	s_mov_b32 s0, 52
.LBB110_1072:                           ; =>This Inner Loop Header: Depth=1
	ds_load_b64 v[128:129], v121
	s_wait_dscnt 0x1
	v_cmp_gt_f32_e32 vcc_lo, 0, v118
	v_cndmask_b32_e64 v130, v118, -v118, vcc_lo
	v_cmp_gt_f32_e32 vcc_lo, 0, v119
	v_cndmask_b32_e64 v132, v119, -v119, vcc_lo
	s_wait_dscnt 0x0
	v_cmp_gt_f32_e32 vcc_lo, 0, v128
	v_cndmask_b32_e64 v131, v128, -v128, vcc_lo
	v_cmp_gt_f32_e32 vcc_lo, 0, v129
	v_cndmask_b32_e64 v133, v129, -v129, vcc_lo
	s_delay_alu instid0(VALU_DEP_1) | instskip(NEXT) | instid1(VALU_DEP_1)
	v_pk_add_f32 v[130:131], v[130:131], v[132:133]
	v_cmp_lt_f32_e32 vcc_lo, v130, v131
	v_dual_cndmask_b32 v118, v118, v128 :: v_dual_add_nc_u32 v121, 8, v121
	v_cndmask_b32_e32 v119, v119, v129, vcc_lo
	v_cndmask_b32_e64 v120, v120, s0, vcc_lo
	s_add_co_i32 s0, s0, 1
	s_delay_alu instid0(SALU_CYCLE_1)
	s_cmp_lg_u32 s18, s0
	s_cbranch_scc1 .LBB110_1072
.LBB110_1073:
	s_wait_dscnt 0x0
	v_cmp_eq_f32_e32 vcc_lo, 0, v118
	v_cmp_eq_f32_e64 s0, 0, v119
	s_and_b32 s0, vcc_lo, s0
	s_delay_alu instid0(SALU_CYCLE_1) | instskip(NEXT) | instid1(SALU_CYCLE_1)
	s_and_saveexec_b32 s1, s0
	s_xor_b32 s0, exec_lo, s1
; %bb.1074:
	v_cmp_ne_u32_e32 vcc_lo, 0, v124
	v_cndmask_b32_e32 v124, 52, v124, vcc_lo
; %bb.1075:
	s_and_not1_saveexec_b32 s0, s0
	s_cbranch_execz .LBB110_1081
; %bb.1076:
	v_cmp_ngt_f32_e64 s1, |v118|, |v119|
	s_and_saveexec_b32 s12, s1
	s_delay_alu instid0(SALU_CYCLE_1)
	s_xor_b32 s1, exec_lo, s12
	s_cbranch_execz .LBB110_1078
; %bb.1077:
	v_div_scale_f32 v121, null, v119, v119, v118
	v_div_scale_f32 v129, vcc_lo, v118, v119, v118
	s_delay_alu instid0(VALU_DEP_2) | instskip(SKIP_1) | instid1(TRANS32_DEP_1)
	v_rcp_f32_e32 v127, v121
	v_nop
	v_fma_f32 v128, -v121, v127, 1.0
	s_delay_alu instid0(VALU_DEP_1) | instskip(NEXT) | instid1(VALU_DEP_1)
	v_fmac_f32_e32 v127, v128, v127
	v_mul_f32_e32 v128, v129, v127
	s_delay_alu instid0(VALU_DEP_1) | instskip(NEXT) | instid1(VALU_DEP_1)
	v_fma_f32 v130, -v121, v128, v129
	v_fmac_f32_e32 v128, v130, v127
	s_delay_alu instid0(VALU_DEP_1) | instskip(NEXT) | instid1(VALU_DEP_1)
	v_fma_f32 v121, -v121, v128, v129
	v_div_fmas_f32 v121, v121, v127, v128
	s_delay_alu instid0(VALU_DEP_1) | instskip(NEXT) | instid1(VALU_DEP_1)
	v_div_fixup_f32 v121, v121, v119, v118
	v_fmac_f32_e32 v119, v118, v121
	s_delay_alu instid0(VALU_DEP_1) | instskip(SKIP_1) | instid1(VALU_DEP_2)
	v_div_scale_f32 v118, null, v119, v119, 1.0
	v_div_scale_f32 v129, vcc_lo, 1.0, v119, 1.0
	v_rcp_f32_e32 v127, v118
	v_nop
	s_delay_alu instid0(TRANS32_DEP_1) | instskip(NEXT) | instid1(VALU_DEP_1)
	v_fma_f32 v128, -v118, v127, 1.0
	v_fmac_f32_e32 v127, v128, v127
	s_delay_alu instid0(VALU_DEP_1) | instskip(NEXT) | instid1(VALU_DEP_1)
	v_mul_f32_e32 v128, v129, v127
	v_fma_f32 v130, -v118, v128, v129
	s_delay_alu instid0(VALU_DEP_1) | instskip(NEXT) | instid1(VALU_DEP_1)
	v_fmac_f32_e32 v128, v130, v127
	v_fma_f32 v118, -v118, v128, v129
	s_delay_alu instid0(VALU_DEP_1) | instskip(NEXT) | instid1(VALU_DEP_1)
	v_div_fmas_f32 v118, v118, v127, v128
	v_div_fixup_f32 v119, v118, v119, 1.0
	s_delay_alu instid0(VALU_DEP_1)
	v_mul_f32_e32 v118, v121, v119
	v_xor_b32_e32 v119, 0x80000000, v119
.LBB110_1078:
	s_and_not1_saveexec_b32 s1, s1
	s_cbranch_execz .LBB110_1080
; %bb.1079:
	s_delay_alu instid0(VALU_DEP_1) | instskip(SKIP_1) | instid1(VALU_DEP_2)
	v_div_scale_f32 v121, null, v118, v118, v119
	v_div_scale_f32 v129, vcc_lo, v119, v118, v119
	v_rcp_f32_e32 v127, v121
	v_nop
	s_delay_alu instid0(TRANS32_DEP_1) | instskip(NEXT) | instid1(VALU_DEP_1)
	v_fma_f32 v128, -v121, v127, 1.0
	v_fmac_f32_e32 v127, v128, v127
	s_delay_alu instid0(VALU_DEP_1) | instskip(NEXT) | instid1(VALU_DEP_1)
	v_mul_f32_e32 v128, v129, v127
	v_fma_f32 v130, -v121, v128, v129
	s_delay_alu instid0(VALU_DEP_1) | instskip(NEXT) | instid1(VALU_DEP_1)
	v_fmac_f32_e32 v128, v130, v127
	v_fma_f32 v121, -v121, v128, v129
	s_delay_alu instid0(VALU_DEP_1) | instskip(NEXT) | instid1(VALU_DEP_1)
	v_div_fmas_f32 v121, v121, v127, v128
	v_div_fixup_f32 v121, v121, v118, v119
	s_delay_alu instid0(VALU_DEP_1) | instskip(NEXT) | instid1(VALU_DEP_1)
	v_fmac_f32_e32 v118, v119, v121
	v_div_scale_f32 v119, null, v118, v118, 1.0
	s_delay_alu instid0(VALU_DEP_1) | instskip(SKIP_1) | instid1(TRANS32_DEP_1)
	v_rcp_f32_e32 v127, v119
	v_nop
	v_fma_f32 v128, -v119, v127, 1.0
	s_delay_alu instid0(VALU_DEP_1) | instskip(SKIP_1) | instid1(VALU_DEP_1)
	v_fmac_f32_e32 v127, v128, v127
	v_div_scale_f32 v128, vcc_lo, 1.0, v118, 1.0
	v_mul_f32_e32 v129, v128, v127
	s_delay_alu instid0(VALU_DEP_1) | instskip(NEXT) | instid1(VALU_DEP_1)
	v_fma_f32 v130, -v119, v129, v128
	v_fmac_f32_e32 v129, v130, v127
	s_delay_alu instid0(VALU_DEP_1) | instskip(NEXT) | instid1(VALU_DEP_1)
	v_fma_f32 v119, -v119, v129, v128
	v_div_fmas_f32 v119, v119, v127, v129
	s_delay_alu instid0(VALU_DEP_1) | instskip(NEXT) | instid1(VALU_DEP_1)
	v_div_fixup_f32 v118, v119, v118, 1.0
	v_mul_f32_e64 v119, v121, -v118
.LBB110_1080:
	s_or_b32 exec_lo, exec_lo, s1
.LBB110_1081:
	s_delay_alu instid0(SALU_CYCLE_1) | instskip(NEXT) | instid1(SALU_CYCLE_1)
	s_or_b32 exec_lo, exec_lo, s0
	s_mov_b32 s0, exec_lo
	v_cmpx_ne_u32_e64 v126, v120
	s_xor_b32 s0, exec_lo, s0
	s_cbranch_execz .LBB110_1087
; %bb.1082:
	s_mov_b32 s1, exec_lo
	v_cmpx_eq_u32_e32 51, v126
	s_cbranch_execz .LBB110_1086
; %bb.1083:
	v_cmp_ne_u32_e32 vcc_lo, 51, v120
	s_xor_b32 s12, s16, -1
	s_delay_alu instid0(SALU_CYCLE_1) | instskip(NEXT) | instid1(SALU_CYCLE_1)
	s_and_b32 s13, s12, vcc_lo
	s_and_saveexec_b32 s12, s13
	s_cbranch_execz .LBB110_1085
; %bb.1084:
	v_ashrrev_i32_e32 v121, 31, v120
	s_delay_alu instid0(VALU_DEP_1)
	v_lshl_add_u64 v[126:127], v[120:121], 2, v[4:5]
	s_clause 0x1
	global_load_b32 v121, v[126:127], off
	global_load_b32 v125, v[4:5], off offset:204
	s_wait_loadcnt 0x1
	global_store_b32 v[4:5], v121, off offset:204
	s_wait_loadcnt 0x0
	global_store_b32 v[126:127], v125, off
.LBB110_1085:
	s_wait_xcnt 0x0
	s_or_b32 exec_lo, exec_lo, s12
	v_dual_mov_b32 v126, v120 :: v_dual_mov_b32 v125, v120
.LBB110_1086:
	s_or_b32 exec_lo, exec_lo, s1
.LBB110_1087:
	s_and_not1_saveexec_b32 s0, s0
	s_cbranch_execz .LBB110_1089
; %bb.1088:
	v_dual_mov_b32 v120, v26 :: v_dual_mov_b32 v121, v27
	v_dual_mov_b32 v128, v22 :: v_dual_mov_b32 v129, v23
	;; [unrolled: 1-line block ×3, first 2 shown]
	v_mov_b32_e32 v131, v21
	ds_store_2addr_b64 v122, v[120:121], v[128:129] offset0:52 offset1:53
	ds_store_2addr_b64 v122, v[130:131], v[116:117] offset0:54 offset1:55
.LBB110_1089:
	s_or_b32 exec_lo, exec_lo, s0
	s_delay_alu instid0(SALU_CYCLE_1)
	s_mov_b32 s0, exec_lo
	s_wait_storecnt_dscnt 0x0
	s_barrier_signal -1
	s_barrier_wait -1
	v_cmpx_lt_i32_e32 51, v126
	s_cbranch_execz .LBB110_1091
; %bb.1090:
	v_pk_mul_f32 v[120:121], v[118:119], v[8:9] op_sel:[1,1] op_sel_hi:[0,1]
	s_delay_alu instid0(VALU_DEP_1)
	v_pk_fma_f32 v[128:129], v[118:119], v[8:9], v[120:121] op_sel_hi:[1,0,1] neg_lo:[0,0,1] neg_hi:[0,0,1]
	v_pk_fma_f32 v[130:131], v[118:119], v[8:9], v[120:121] op_sel_hi:[1,0,1]
	ds_load_2addr_b64 v[118:121], v122 offset0:52 offset1:53
	v_dual_mov_b32 v8, v128 :: v_dual_mov_b32 v9, v131
	s_wait_dscnt 0x0
	v_pk_mul_f32 v[132:133], v[118:119], v[130:131] op_sel:[0,1]
	s_delay_alu instid0(VALU_DEP_1) | instskip(SKIP_1) | instid1(VALU_DEP_1)
	v_pk_fma_f32 v[134:135], v[118:119], v[128:129], v[132:133] op_sel:[0,0,1] op_sel_hi:[1,1,0] neg_lo:[0,0,1] neg_hi:[0,0,1]
	v_pk_fma_f32 v[118:119], v[118:119], v[128:129], v[132:133] op_sel:[0,0,1] op_sel_hi:[1,0,0]
	v_mov_b32_e32 v135, v119
	v_pk_mul_f32 v[118:119], v[120:121], v[130:131] op_sel:[0,1]
	s_delay_alu instid0(VALU_DEP_1) | instskip(SKIP_1) | instid1(VALU_DEP_1)
	v_pk_fma_f32 v[132:133], v[120:121], v[128:129], v[118:119] op_sel:[0,0,1] op_sel_hi:[1,1,0] neg_lo:[0,0,1] neg_hi:[0,0,1]
	v_pk_fma_f32 v[118:119], v[120:121], v[128:129], v[118:119] op_sel:[0,0,1] op_sel_hi:[1,0,0]
	v_mov_b32_e32 v133, v119
	ds_load_2addr_b64 v[118:121], v122 offset0:54 offset1:55
	v_pk_add_f32 v[26:27], v[26:27], v[134:135] neg_lo:[0,1] neg_hi:[0,1]
	v_pk_add_f32 v[22:23], v[22:23], v[132:133] neg_lo:[0,1] neg_hi:[0,1]
	s_wait_dscnt 0x0
	v_pk_mul_f32 v[132:133], v[118:119], v[130:131] op_sel:[0,1]
	s_delay_alu instid0(VALU_DEP_1) | instskip(SKIP_1) | instid1(VALU_DEP_1)
	v_pk_fma_f32 v[134:135], v[118:119], v[128:129], v[132:133] op_sel:[0,0,1] op_sel_hi:[1,1,0] neg_lo:[0,0,1] neg_hi:[0,0,1]
	v_pk_fma_f32 v[118:119], v[118:119], v[128:129], v[132:133] op_sel:[0,0,1] op_sel_hi:[1,0,0]
	v_dual_mov_b32 v118, v121 :: v_dual_mov_b32 v135, v119
	v_mov_b32_e32 v119, v120
	s_delay_alu instid0(VALU_DEP_2) | instskip(NEXT) | instid1(VALU_DEP_2)
	v_pk_add_f32 v[20:21], v[20:21], v[134:135] neg_lo:[0,1] neg_hi:[0,1]
	v_pk_mul_f32 v[118:119], v[118:119], v[130:131] op_sel:[0,1]
	s_delay_alu instid0(VALU_DEP_1) | instskip(SKIP_1) | instid1(VALU_DEP_1)
	v_pk_fma_f32 v[130:131], v[120:121], v[128:129], v[118:119] neg_lo:[0,0,1] neg_hi:[0,0,1]
	v_pk_fma_f32 v[118:119], v[120:121], v[128:129], v[118:119] op_sel_hi:[1,0,1]
	v_mov_b32_e32 v131, v119
	s_delay_alu instid0(VALU_DEP_1)
	v_pk_add_f32 v[116:117], v[116:117], v[130:131] neg_lo:[0,1] neg_hi:[0,1]
.LBB110_1091:
	s_or_b32 exec_lo, exec_lo, s0
	v_lshl_add_u32 v118, v126, 3, v122
	s_barrier_signal -1
	s_barrier_wait -1
	ds_store_b64 v118, v[26:27]
	s_wait_dscnt 0x0
	s_barrier_signal -1
	s_barrier_wait -1
	ds_load_b64 v[118:119], v122 offset:416
	v_mov_b32_e32 v120, 52
	s_cmp_lt_i32 s18, 54
	s_cbranch_scc1 .LBB110_1094
; %bb.1092:
	v_add3_u32 v121, v123, 0, 0x1a8
	v_mov_b32_e32 v120, 52
	s_mov_b32 s0, 53
.LBB110_1093:                           ; =>This Inner Loop Header: Depth=1
	ds_load_b64 v[128:129], v121
	s_wait_dscnt 0x1
	v_cmp_gt_f32_e32 vcc_lo, 0, v118
	v_cndmask_b32_e64 v130, v118, -v118, vcc_lo
	v_cmp_gt_f32_e32 vcc_lo, 0, v119
	v_cndmask_b32_e64 v132, v119, -v119, vcc_lo
	s_wait_dscnt 0x0
	v_cmp_gt_f32_e32 vcc_lo, 0, v128
	v_cndmask_b32_e64 v131, v128, -v128, vcc_lo
	v_cmp_gt_f32_e32 vcc_lo, 0, v129
	v_cndmask_b32_e64 v133, v129, -v129, vcc_lo
	s_delay_alu instid0(VALU_DEP_1) | instskip(NEXT) | instid1(VALU_DEP_1)
	v_pk_add_f32 v[130:131], v[130:131], v[132:133]
	v_cmp_lt_f32_e32 vcc_lo, v130, v131
	v_dual_cndmask_b32 v118, v118, v128 :: v_dual_add_nc_u32 v121, 8, v121
	v_cndmask_b32_e32 v119, v119, v129, vcc_lo
	v_cndmask_b32_e64 v120, v120, s0, vcc_lo
	s_add_co_i32 s0, s0, 1
	s_delay_alu instid0(SALU_CYCLE_1)
	s_cmp_lg_u32 s18, s0
	s_cbranch_scc1 .LBB110_1093
.LBB110_1094:
	s_wait_dscnt 0x0
	v_cmp_eq_f32_e32 vcc_lo, 0, v118
	v_cmp_eq_f32_e64 s0, 0, v119
	s_and_b32 s0, vcc_lo, s0
	s_delay_alu instid0(SALU_CYCLE_1) | instskip(NEXT) | instid1(SALU_CYCLE_1)
	s_and_saveexec_b32 s1, s0
	s_xor_b32 s0, exec_lo, s1
; %bb.1095:
	v_cmp_ne_u32_e32 vcc_lo, 0, v124
	v_cndmask_b32_e32 v124, 53, v124, vcc_lo
; %bb.1096:
	s_and_not1_saveexec_b32 s0, s0
	s_cbranch_execz .LBB110_1102
; %bb.1097:
	v_cmp_ngt_f32_e64 s1, |v118|, |v119|
	s_and_saveexec_b32 s12, s1
	s_delay_alu instid0(SALU_CYCLE_1)
	s_xor_b32 s1, exec_lo, s12
	s_cbranch_execz .LBB110_1099
; %bb.1098:
	v_div_scale_f32 v121, null, v119, v119, v118
	v_div_scale_f32 v129, vcc_lo, v118, v119, v118
	s_delay_alu instid0(VALU_DEP_2) | instskip(SKIP_1) | instid1(TRANS32_DEP_1)
	v_rcp_f32_e32 v127, v121
	v_nop
	v_fma_f32 v128, -v121, v127, 1.0
	s_delay_alu instid0(VALU_DEP_1) | instskip(NEXT) | instid1(VALU_DEP_1)
	v_fmac_f32_e32 v127, v128, v127
	v_mul_f32_e32 v128, v129, v127
	s_delay_alu instid0(VALU_DEP_1) | instskip(NEXT) | instid1(VALU_DEP_1)
	v_fma_f32 v130, -v121, v128, v129
	v_fmac_f32_e32 v128, v130, v127
	s_delay_alu instid0(VALU_DEP_1) | instskip(NEXT) | instid1(VALU_DEP_1)
	v_fma_f32 v121, -v121, v128, v129
	v_div_fmas_f32 v121, v121, v127, v128
	s_delay_alu instid0(VALU_DEP_1) | instskip(NEXT) | instid1(VALU_DEP_1)
	v_div_fixup_f32 v121, v121, v119, v118
	v_fmac_f32_e32 v119, v118, v121
	s_delay_alu instid0(VALU_DEP_1) | instskip(SKIP_1) | instid1(VALU_DEP_2)
	v_div_scale_f32 v118, null, v119, v119, 1.0
	v_div_scale_f32 v129, vcc_lo, 1.0, v119, 1.0
	v_rcp_f32_e32 v127, v118
	v_nop
	s_delay_alu instid0(TRANS32_DEP_1) | instskip(NEXT) | instid1(VALU_DEP_1)
	v_fma_f32 v128, -v118, v127, 1.0
	v_fmac_f32_e32 v127, v128, v127
	s_delay_alu instid0(VALU_DEP_1) | instskip(NEXT) | instid1(VALU_DEP_1)
	v_mul_f32_e32 v128, v129, v127
	v_fma_f32 v130, -v118, v128, v129
	s_delay_alu instid0(VALU_DEP_1) | instskip(NEXT) | instid1(VALU_DEP_1)
	v_fmac_f32_e32 v128, v130, v127
	v_fma_f32 v118, -v118, v128, v129
	s_delay_alu instid0(VALU_DEP_1) | instskip(NEXT) | instid1(VALU_DEP_1)
	v_div_fmas_f32 v118, v118, v127, v128
	v_div_fixup_f32 v119, v118, v119, 1.0
	s_delay_alu instid0(VALU_DEP_1)
	v_mul_f32_e32 v118, v121, v119
	v_xor_b32_e32 v119, 0x80000000, v119
.LBB110_1099:
	s_and_not1_saveexec_b32 s1, s1
	s_cbranch_execz .LBB110_1101
; %bb.1100:
	s_delay_alu instid0(VALU_DEP_1) | instskip(SKIP_1) | instid1(VALU_DEP_2)
	v_div_scale_f32 v121, null, v118, v118, v119
	v_div_scale_f32 v129, vcc_lo, v119, v118, v119
	v_rcp_f32_e32 v127, v121
	v_nop
	s_delay_alu instid0(TRANS32_DEP_1) | instskip(NEXT) | instid1(VALU_DEP_1)
	v_fma_f32 v128, -v121, v127, 1.0
	v_fmac_f32_e32 v127, v128, v127
	s_delay_alu instid0(VALU_DEP_1) | instskip(NEXT) | instid1(VALU_DEP_1)
	v_mul_f32_e32 v128, v129, v127
	v_fma_f32 v130, -v121, v128, v129
	s_delay_alu instid0(VALU_DEP_1) | instskip(NEXT) | instid1(VALU_DEP_1)
	v_fmac_f32_e32 v128, v130, v127
	v_fma_f32 v121, -v121, v128, v129
	s_delay_alu instid0(VALU_DEP_1) | instskip(NEXT) | instid1(VALU_DEP_1)
	v_div_fmas_f32 v121, v121, v127, v128
	v_div_fixup_f32 v121, v121, v118, v119
	s_delay_alu instid0(VALU_DEP_1) | instskip(NEXT) | instid1(VALU_DEP_1)
	v_fmac_f32_e32 v118, v119, v121
	v_div_scale_f32 v119, null, v118, v118, 1.0
	s_delay_alu instid0(VALU_DEP_1) | instskip(SKIP_1) | instid1(TRANS32_DEP_1)
	v_rcp_f32_e32 v127, v119
	v_nop
	v_fma_f32 v128, -v119, v127, 1.0
	s_delay_alu instid0(VALU_DEP_1) | instskip(SKIP_1) | instid1(VALU_DEP_1)
	v_fmac_f32_e32 v127, v128, v127
	v_div_scale_f32 v128, vcc_lo, 1.0, v118, 1.0
	v_mul_f32_e32 v129, v128, v127
	s_delay_alu instid0(VALU_DEP_1) | instskip(NEXT) | instid1(VALU_DEP_1)
	v_fma_f32 v130, -v119, v129, v128
	v_fmac_f32_e32 v129, v130, v127
	s_delay_alu instid0(VALU_DEP_1) | instskip(NEXT) | instid1(VALU_DEP_1)
	v_fma_f32 v119, -v119, v129, v128
	v_div_fmas_f32 v119, v119, v127, v129
	s_delay_alu instid0(VALU_DEP_1) | instskip(NEXT) | instid1(VALU_DEP_1)
	v_div_fixup_f32 v118, v119, v118, 1.0
	v_mul_f32_e64 v119, v121, -v118
.LBB110_1101:
	s_or_b32 exec_lo, exec_lo, s1
.LBB110_1102:
	s_delay_alu instid0(SALU_CYCLE_1) | instskip(NEXT) | instid1(SALU_CYCLE_1)
	s_or_b32 exec_lo, exec_lo, s0
	s_mov_b32 s0, exec_lo
	v_cmpx_ne_u32_e64 v126, v120
	s_xor_b32 s0, exec_lo, s0
	s_cbranch_execz .LBB110_1108
; %bb.1103:
	s_mov_b32 s1, exec_lo
	v_cmpx_eq_u32_e32 52, v126
	s_cbranch_execz .LBB110_1107
; %bb.1104:
	v_cmp_ne_u32_e32 vcc_lo, 52, v120
	s_xor_b32 s12, s16, -1
	s_delay_alu instid0(SALU_CYCLE_1) | instskip(NEXT) | instid1(SALU_CYCLE_1)
	s_and_b32 s13, s12, vcc_lo
	s_and_saveexec_b32 s12, s13
	s_cbranch_execz .LBB110_1106
; %bb.1105:
	v_ashrrev_i32_e32 v121, 31, v120
	s_delay_alu instid0(VALU_DEP_1)
	v_lshl_add_u64 v[126:127], v[120:121], 2, v[4:5]
	s_clause 0x1
	global_load_b32 v121, v[126:127], off
	global_load_b32 v125, v[4:5], off offset:208
	s_wait_loadcnt 0x1
	global_store_b32 v[4:5], v121, off offset:208
	s_wait_loadcnt 0x0
	global_store_b32 v[126:127], v125, off
.LBB110_1106:
	s_wait_xcnt 0x0
	s_or_b32 exec_lo, exec_lo, s12
	v_dual_mov_b32 v126, v120 :: v_dual_mov_b32 v125, v120
.LBB110_1107:
	s_or_b32 exec_lo, exec_lo, s1
.LBB110_1108:
	s_and_not1_saveexec_b32 s0, s0
	s_cbranch_execz .LBB110_1110
; %bb.1109:
	v_mov_b32_e32 v126, 52
	ds_store_2addr_b64 v122, v[22:23], v[20:21] offset0:53 offset1:54
	ds_store_b64 v122, v[116:117] offset:440
.LBB110_1110:
	s_or_b32 exec_lo, exec_lo, s0
	s_delay_alu instid0(SALU_CYCLE_1)
	s_mov_b32 s0, exec_lo
	s_wait_storecnt_dscnt 0x0
	s_barrier_signal -1
	s_barrier_wait -1
	v_cmpx_lt_i32_e32 52, v126
	s_cbranch_execz .LBB110_1112
; %bb.1111:
	ds_load_2addr_b64 v[128:131], v122 offset0:53 offset1:54
	ds_load_b64 v[120:121], v122 offset:440
	v_pk_mul_f32 v[132:133], v[118:119], v[26:27] op_sel:[1,1] op_sel_hi:[0,1]
	s_delay_alu instid0(VALU_DEP_1) | instskip(SKIP_2) | instid1(VALU_DEP_2)
	v_pk_fma_f32 v[134:135], v[118:119], v[26:27], v[132:133] op_sel_hi:[1,0,1]
	v_pk_fma_f32 v[26:27], v[118:119], v[26:27], v[132:133] op_sel_hi:[1,0,1] neg_lo:[0,0,1] neg_hi:[0,0,1]
	s_wait_dscnt 0x1
	v_pk_mul_f32 v[118:119], v[128:129], v[134:135] op_sel:[0,1]
	v_pk_mul_f32 v[132:133], v[130:131], v[134:135] op_sel:[0,1]
	s_wait_dscnt 0x0
	v_pk_mul_f32 v[136:137], v[120:121], v[134:135] op_sel:[1,1] op_sel_hi:[0,1]
	s_delay_alu instid0(VALU_DEP_3) | instskip(SKIP_2) | instid1(VALU_DEP_4)
	v_pk_fma_f32 v[138:139], v[128:129], v[26:27], v[118:119] op_sel:[0,0,1] op_sel_hi:[1,1,0] neg_lo:[0,0,1] neg_hi:[0,0,1]
	v_pk_fma_f32 v[118:119], v[128:129], v[26:27], v[118:119] op_sel:[0,0,1] op_sel_hi:[1,0,0]
	v_pk_fma_f32 v[128:129], v[130:131], v[26:27], v[132:133] op_sel:[0,0,1] op_sel_hi:[1,0,0]
	v_pk_fma_f32 v[140:141], v[120:121], v[26:27], v[136:137] op_sel_hi:[1,0,1]
	v_pk_fma_f32 v[130:131], v[130:131], v[26:27], v[132:133] op_sel:[0,0,1] op_sel_hi:[1,1,0] neg_lo:[0,0,1] neg_hi:[0,0,1]
	v_pk_fma_f32 v[120:121], v[120:121], v[26:27], v[136:137] neg_lo:[0,0,1] neg_hi:[0,0,1]
	s_delay_alu instid0(VALU_DEP_4) | instskip(NEXT) | instid1(VALU_DEP_4)
	v_dual_mov_b32 v139, v119 :: v_dual_mov_b32 v131, v129
	v_dual_mov_b32 v121, v141 :: v_dual_mov_b32 v27, v135
	s_delay_alu instid0(VALU_DEP_2) | instskip(NEXT) | instid1(VALU_DEP_3)
	v_pk_add_f32 v[22:23], v[22:23], v[138:139] neg_lo:[0,1] neg_hi:[0,1]
	v_pk_add_f32 v[20:21], v[20:21], v[130:131] neg_lo:[0,1] neg_hi:[0,1]
	s_delay_alu instid0(VALU_DEP_3)
	v_pk_add_f32 v[116:117], v[116:117], v[120:121] neg_lo:[0,1] neg_hi:[0,1]
.LBB110_1112:
	s_or_b32 exec_lo, exec_lo, s0
	v_lshl_add_u32 v118, v126, 3, v122
	s_barrier_signal -1
	s_barrier_wait -1
	ds_store_b64 v118, v[22:23]
	s_wait_dscnt 0x0
	s_barrier_signal -1
	s_barrier_wait -1
	ds_load_b64 v[118:119], v122 offset:424
	v_mov_b32_e32 v120, 53
	s_cmp_lt_i32 s18, 55
	s_cbranch_scc1 .LBB110_1115
; %bb.1113:
	v_add3_u32 v121, v123, 0, 0x1b0
	v_mov_b32_e32 v120, 53
	s_mov_b32 s0, 54
.LBB110_1114:                           ; =>This Inner Loop Header: Depth=1
	ds_load_b64 v[128:129], v121
	s_wait_dscnt 0x1
	v_cmp_gt_f32_e32 vcc_lo, 0, v118
	v_cndmask_b32_e64 v130, v118, -v118, vcc_lo
	v_cmp_gt_f32_e32 vcc_lo, 0, v119
	v_cndmask_b32_e64 v132, v119, -v119, vcc_lo
	s_wait_dscnt 0x0
	v_cmp_gt_f32_e32 vcc_lo, 0, v128
	v_cndmask_b32_e64 v131, v128, -v128, vcc_lo
	v_cmp_gt_f32_e32 vcc_lo, 0, v129
	v_cndmask_b32_e64 v133, v129, -v129, vcc_lo
	s_delay_alu instid0(VALU_DEP_1) | instskip(NEXT) | instid1(VALU_DEP_1)
	v_pk_add_f32 v[130:131], v[130:131], v[132:133]
	v_cmp_lt_f32_e32 vcc_lo, v130, v131
	v_dual_cndmask_b32 v118, v118, v128 :: v_dual_add_nc_u32 v121, 8, v121
	v_cndmask_b32_e32 v119, v119, v129, vcc_lo
	v_cndmask_b32_e64 v120, v120, s0, vcc_lo
	s_add_co_i32 s0, s0, 1
	s_delay_alu instid0(SALU_CYCLE_1)
	s_cmp_lg_u32 s18, s0
	s_cbranch_scc1 .LBB110_1114
.LBB110_1115:
	s_wait_dscnt 0x0
	v_cmp_eq_f32_e32 vcc_lo, 0, v118
	v_cmp_eq_f32_e64 s0, 0, v119
	s_and_b32 s0, vcc_lo, s0
	s_delay_alu instid0(SALU_CYCLE_1) | instskip(NEXT) | instid1(SALU_CYCLE_1)
	s_and_saveexec_b32 s1, s0
	s_xor_b32 s0, exec_lo, s1
; %bb.1116:
	v_cmp_ne_u32_e32 vcc_lo, 0, v124
	v_cndmask_b32_e32 v124, 54, v124, vcc_lo
; %bb.1117:
	s_and_not1_saveexec_b32 s0, s0
	s_cbranch_execz .LBB110_1123
; %bb.1118:
	v_cmp_ngt_f32_e64 s1, |v118|, |v119|
	s_and_saveexec_b32 s12, s1
	s_delay_alu instid0(SALU_CYCLE_1)
	s_xor_b32 s1, exec_lo, s12
	s_cbranch_execz .LBB110_1120
; %bb.1119:
	v_div_scale_f32 v121, null, v119, v119, v118
	v_div_scale_f32 v129, vcc_lo, v118, v119, v118
	s_delay_alu instid0(VALU_DEP_2) | instskip(SKIP_1) | instid1(TRANS32_DEP_1)
	v_rcp_f32_e32 v127, v121
	v_nop
	v_fma_f32 v128, -v121, v127, 1.0
	s_delay_alu instid0(VALU_DEP_1) | instskip(NEXT) | instid1(VALU_DEP_1)
	v_fmac_f32_e32 v127, v128, v127
	v_mul_f32_e32 v128, v129, v127
	s_delay_alu instid0(VALU_DEP_1) | instskip(NEXT) | instid1(VALU_DEP_1)
	v_fma_f32 v130, -v121, v128, v129
	v_fmac_f32_e32 v128, v130, v127
	s_delay_alu instid0(VALU_DEP_1) | instskip(NEXT) | instid1(VALU_DEP_1)
	v_fma_f32 v121, -v121, v128, v129
	v_div_fmas_f32 v121, v121, v127, v128
	s_delay_alu instid0(VALU_DEP_1) | instskip(NEXT) | instid1(VALU_DEP_1)
	v_div_fixup_f32 v121, v121, v119, v118
	v_fmac_f32_e32 v119, v118, v121
	s_delay_alu instid0(VALU_DEP_1) | instskip(SKIP_1) | instid1(VALU_DEP_2)
	v_div_scale_f32 v118, null, v119, v119, 1.0
	v_div_scale_f32 v129, vcc_lo, 1.0, v119, 1.0
	v_rcp_f32_e32 v127, v118
	v_nop
	s_delay_alu instid0(TRANS32_DEP_1) | instskip(NEXT) | instid1(VALU_DEP_1)
	v_fma_f32 v128, -v118, v127, 1.0
	v_fmac_f32_e32 v127, v128, v127
	s_delay_alu instid0(VALU_DEP_1) | instskip(NEXT) | instid1(VALU_DEP_1)
	v_mul_f32_e32 v128, v129, v127
	v_fma_f32 v130, -v118, v128, v129
	s_delay_alu instid0(VALU_DEP_1) | instskip(NEXT) | instid1(VALU_DEP_1)
	v_fmac_f32_e32 v128, v130, v127
	v_fma_f32 v118, -v118, v128, v129
	s_delay_alu instid0(VALU_DEP_1) | instskip(NEXT) | instid1(VALU_DEP_1)
	v_div_fmas_f32 v118, v118, v127, v128
	v_div_fixup_f32 v119, v118, v119, 1.0
	s_delay_alu instid0(VALU_DEP_1)
	v_mul_f32_e32 v118, v121, v119
	v_xor_b32_e32 v119, 0x80000000, v119
.LBB110_1120:
	s_and_not1_saveexec_b32 s1, s1
	s_cbranch_execz .LBB110_1122
; %bb.1121:
	s_delay_alu instid0(VALU_DEP_1) | instskip(SKIP_1) | instid1(VALU_DEP_2)
	v_div_scale_f32 v121, null, v118, v118, v119
	v_div_scale_f32 v129, vcc_lo, v119, v118, v119
	v_rcp_f32_e32 v127, v121
	v_nop
	s_delay_alu instid0(TRANS32_DEP_1) | instskip(NEXT) | instid1(VALU_DEP_1)
	v_fma_f32 v128, -v121, v127, 1.0
	v_fmac_f32_e32 v127, v128, v127
	s_delay_alu instid0(VALU_DEP_1) | instskip(NEXT) | instid1(VALU_DEP_1)
	v_mul_f32_e32 v128, v129, v127
	v_fma_f32 v130, -v121, v128, v129
	s_delay_alu instid0(VALU_DEP_1) | instskip(NEXT) | instid1(VALU_DEP_1)
	v_fmac_f32_e32 v128, v130, v127
	v_fma_f32 v121, -v121, v128, v129
	s_delay_alu instid0(VALU_DEP_1) | instskip(NEXT) | instid1(VALU_DEP_1)
	v_div_fmas_f32 v121, v121, v127, v128
	v_div_fixup_f32 v121, v121, v118, v119
	s_delay_alu instid0(VALU_DEP_1) | instskip(NEXT) | instid1(VALU_DEP_1)
	v_fmac_f32_e32 v118, v119, v121
	v_div_scale_f32 v119, null, v118, v118, 1.0
	s_delay_alu instid0(VALU_DEP_1) | instskip(SKIP_1) | instid1(TRANS32_DEP_1)
	v_rcp_f32_e32 v127, v119
	v_nop
	v_fma_f32 v128, -v119, v127, 1.0
	s_delay_alu instid0(VALU_DEP_1) | instskip(SKIP_1) | instid1(VALU_DEP_1)
	v_fmac_f32_e32 v127, v128, v127
	v_div_scale_f32 v128, vcc_lo, 1.0, v118, 1.0
	v_mul_f32_e32 v129, v128, v127
	s_delay_alu instid0(VALU_DEP_1) | instskip(NEXT) | instid1(VALU_DEP_1)
	v_fma_f32 v130, -v119, v129, v128
	v_fmac_f32_e32 v129, v130, v127
	s_delay_alu instid0(VALU_DEP_1) | instskip(NEXT) | instid1(VALU_DEP_1)
	v_fma_f32 v119, -v119, v129, v128
	v_div_fmas_f32 v119, v119, v127, v129
	s_delay_alu instid0(VALU_DEP_1) | instskip(NEXT) | instid1(VALU_DEP_1)
	v_div_fixup_f32 v118, v119, v118, 1.0
	v_mul_f32_e64 v119, v121, -v118
.LBB110_1122:
	s_or_b32 exec_lo, exec_lo, s1
.LBB110_1123:
	s_delay_alu instid0(SALU_CYCLE_1) | instskip(NEXT) | instid1(SALU_CYCLE_1)
	s_or_b32 exec_lo, exec_lo, s0
	s_mov_b32 s0, exec_lo
	v_cmpx_ne_u32_e64 v126, v120
	s_xor_b32 s0, exec_lo, s0
	s_cbranch_execz .LBB110_1129
; %bb.1124:
	s_mov_b32 s1, exec_lo
	v_cmpx_eq_u32_e32 53, v126
	s_cbranch_execz .LBB110_1128
; %bb.1125:
	v_cmp_ne_u32_e32 vcc_lo, 53, v120
	s_xor_b32 s12, s16, -1
	s_delay_alu instid0(SALU_CYCLE_1) | instskip(NEXT) | instid1(SALU_CYCLE_1)
	s_and_b32 s13, s12, vcc_lo
	s_and_saveexec_b32 s12, s13
	s_cbranch_execz .LBB110_1127
; %bb.1126:
	v_ashrrev_i32_e32 v121, 31, v120
	s_delay_alu instid0(VALU_DEP_1)
	v_lshl_add_u64 v[126:127], v[120:121], 2, v[4:5]
	s_clause 0x1
	global_load_b32 v121, v[126:127], off
	global_load_b32 v125, v[4:5], off offset:212
	s_wait_loadcnt 0x1
	global_store_b32 v[4:5], v121, off offset:212
	s_wait_loadcnt 0x0
	global_store_b32 v[126:127], v125, off
.LBB110_1127:
	s_wait_xcnt 0x0
	s_or_b32 exec_lo, exec_lo, s12
	v_dual_mov_b32 v126, v120 :: v_dual_mov_b32 v125, v120
.LBB110_1128:
	s_or_b32 exec_lo, exec_lo, s1
.LBB110_1129:
	s_and_not1_saveexec_b32 s0, s0
; %bb.1130:
	v_dual_mov_b32 v120, v20 :: v_dual_mov_b32 v121, v21
	v_mov_b32_e32 v126, 53
	ds_store_2addr_b64 v122, v[120:121], v[116:117] offset0:54 offset1:55
; %bb.1131:
	s_or_b32 exec_lo, exec_lo, s0
	s_delay_alu instid0(SALU_CYCLE_1)
	s_mov_b32 s0, exec_lo
	s_wait_storecnt_dscnt 0x0
	s_barrier_signal -1
	s_barrier_wait -1
	v_cmpx_lt_i32_e32 53, v126
	s_cbranch_execz .LBB110_1133
; %bb.1132:
	ds_load_2addr_b64 v[128:131], v122 offset0:54 offset1:55
	v_pk_mul_f32 v[120:121], v[118:119], v[22:23] op_sel:[1,1] op_sel_hi:[0,1]
	s_delay_alu instid0(VALU_DEP_1) | instskip(SKIP_3) | instid1(VALU_DEP_3)
	v_pk_fma_f32 v[132:133], v[118:119], v[22:23], v[120:121] op_sel_hi:[1,0,1]
	v_pk_fma_f32 v[22:23], v[118:119], v[22:23], v[120:121] op_sel_hi:[1,0,1] neg_lo:[0,0,1] neg_hi:[0,0,1]
	s_wait_dscnt 0x0
	v_dual_mov_b32 v134, v131 :: v_dual_mov_b32 v135, v130
	v_pk_mul_f32 v[118:119], v[128:129], v[132:133] op_sel:[0,1]
	s_delay_alu instid0(VALU_DEP_2) | instskip(NEXT) | instid1(VALU_DEP_2)
	v_pk_mul_f32 v[120:121], v[134:135], v[132:133] op_sel:[0,1]
	v_pk_fma_f32 v[134:135], v[128:129], v[22:23], v[118:119] op_sel:[0,0,1] op_sel_hi:[1,0,0]
	v_pk_fma_f32 v[118:119], v[128:129], v[22:23], v[118:119] op_sel:[0,0,1] op_sel_hi:[1,1,0] neg_lo:[0,0,1] neg_hi:[0,0,1]
	s_delay_alu instid0(VALU_DEP_3) | instskip(SKIP_1) | instid1(VALU_DEP_4)
	v_pk_fma_f32 v[136:137], v[130:131], v[22:23], v[120:121] op_sel_hi:[1,0,1]
	v_pk_fma_f32 v[120:121], v[130:131], v[22:23], v[120:121] neg_lo:[0,0,1] neg_hi:[0,0,1]
	v_dual_mov_b32 v119, v135 :: v_dual_mov_b32 v23, v133
	s_delay_alu instid0(VALU_DEP_3) | instskip(NEXT) | instid1(VALU_DEP_2)
	v_mov_b32_e32 v121, v137
	v_pk_add_f32 v[20:21], v[20:21], v[118:119] neg_lo:[0,1] neg_hi:[0,1]
	s_delay_alu instid0(VALU_DEP_2)
	v_pk_add_f32 v[116:117], v[116:117], v[120:121] neg_lo:[0,1] neg_hi:[0,1]
.LBB110_1133:
	s_or_b32 exec_lo, exec_lo, s0
	v_lshl_add_u32 v118, v126, 3, v122
	s_barrier_signal -1
	s_barrier_wait -1
	ds_store_b64 v118, v[20:21]
	s_wait_dscnt 0x0
	s_barrier_signal -1
	s_barrier_wait -1
	ds_load_b64 v[118:119], v122 offset:432
	v_mov_b32_e32 v120, 54
	s_cmp_lt_i32 s18, 56
	s_cbranch_scc1 .LBB110_1136
; %bb.1134:
	v_add3_u32 v121, v123, 0, 0x1b8
	v_mov_b32_e32 v120, 54
	s_mov_b32 s0, 55
.LBB110_1135:                           ; =>This Inner Loop Header: Depth=1
	ds_load_b64 v[128:129], v121
	s_wait_dscnt 0x1
	v_cmp_gt_f32_e32 vcc_lo, 0, v118
	v_cndmask_b32_e64 v130, v118, -v118, vcc_lo
	v_cmp_gt_f32_e32 vcc_lo, 0, v119
	v_cndmask_b32_e64 v132, v119, -v119, vcc_lo
	s_wait_dscnt 0x0
	v_cmp_gt_f32_e32 vcc_lo, 0, v128
	v_cndmask_b32_e64 v131, v128, -v128, vcc_lo
	v_cmp_gt_f32_e32 vcc_lo, 0, v129
	v_cndmask_b32_e64 v133, v129, -v129, vcc_lo
	s_delay_alu instid0(VALU_DEP_1) | instskip(NEXT) | instid1(VALU_DEP_1)
	v_pk_add_f32 v[130:131], v[130:131], v[132:133]
	v_cmp_lt_f32_e32 vcc_lo, v130, v131
	v_dual_cndmask_b32 v118, v118, v128 :: v_dual_add_nc_u32 v121, 8, v121
	v_cndmask_b32_e32 v119, v119, v129, vcc_lo
	v_cndmask_b32_e64 v120, v120, s0, vcc_lo
	s_add_co_i32 s0, s0, 1
	s_delay_alu instid0(SALU_CYCLE_1)
	s_cmp_lg_u32 s18, s0
	s_cbranch_scc1 .LBB110_1135
.LBB110_1136:
	s_wait_dscnt 0x0
	v_cmp_eq_f32_e32 vcc_lo, 0, v118
	v_cmp_eq_f32_e64 s0, 0, v119
	s_and_b32 s0, vcc_lo, s0
	s_delay_alu instid0(SALU_CYCLE_1) | instskip(NEXT) | instid1(SALU_CYCLE_1)
	s_and_saveexec_b32 s1, s0
	s_xor_b32 s0, exec_lo, s1
; %bb.1137:
	v_cmp_ne_u32_e32 vcc_lo, 0, v124
	v_cndmask_b32_e32 v124, 55, v124, vcc_lo
; %bb.1138:
	s_and_not1_saveexec_b32 s0, s0
	s_cbranch_execz .LBB110_1144
; %bb.1139:
	v_cmp_ngt_f32_e64 s1, |v118|, |v119|
	s_and_saveexec_b32 s12, s1
	s_delay_alu instid0(SALU_CYCLE_1)
	s_xor_b32 s1, exec_lo, s12
	s_cbranch_execz .LBB110_1141
; %bb.1140:
	v_div_scale_f32 v121, null, v119, v119, v118
	v_div_scale_f32 v129, vcc_lo, v118, v119, v118
	s_delay_alu instid0(VALU_DEP_2) | instskip(SKIP_1) | instid1(TRANS32_DEP_1)
	v_rcp_f32_e32 v127, v121
	v_nop
	v_fma_f32 v128, -v121, v127, 1.0
	s_delay_alu instid0(VALU_DEP_1) | instskip(NEXT) | instid1(VALU_DEP_1)
	v_fmac_f32_e32 v127, v128, v127
	v_mul_f32_e32 v128, v129, v127
	s_delay_alu instid0(VALU_DEP_1) | instskip(NEXT) | instid1(VALU_DEP_1)
	v_fma_f32 v130, -v121, v128, v129
	v_fmac_f32_e32 v128, v130, v127
	s_delay_alu instid0(VALU_DEP_1) | instskip(NEXT) | instid1(VALU_DEP_1)
	v_fma_f32 v121, -v121, v128, v129
	v_div_fmas_f32 v121, v121, v127, v128
	s_delay_alu instid0(VALU_DEP_1) | instskip(NEXT) | instid1(VALU_DEP_1)
	v_div_fixup_f32 v121, v121, v119, v118
	v_fmac_f32_e32 v119, v118, v121
	s_delay_alu instid0(VALU_DEP_1) | instskip(SKIP_1) | instid1(VALU_DEP_2)
	v_div_scale_f32 v118, null, v119, v119, 1.0
	v_div_scale_f32 v129, vcc_lo, 1.0, v119, 1.0
	v_rcp_f32_e32 v127, v118
	v_nop
	s_delay_alu instid0(TRANS32_DEP_1) | instskip(NEXT) | instid1(VALU_DEP_1)
	v_fma_f32 v128, -v118, v127, 1.0
	v_fmac_f32_e32 v127, v128, v127
	s_delay_alu instid0(VALU_DEP_1) | instskip(NEXT) | instid1(VALU_DEP_1)
	v_mul_f32_e32 v128, v129, v127
	v_fma_f32 v130, -v118, v128, v129
	s_delay_alu instid0(VALU_DEP_1) | instskip(NEXT) | instid1(VALU_DEP_1)
	v_fmac_f32_e32 v128, v130, v127
	v_fma_f32 v118, -v118, v128, v129
	s_delay_alu instid0(VALU_DEP_1) | instskip(NEXT) | instid1(VALU_DEP_1)
	v_div_fmas_f32 v118, v118, v127, v128
	v_div_fixup_f32 v119, v118, v119, 1.0
	s_delay_alu instid0(VALU_DEP_1)
	v_mul_f32_e32 v118, v121, v119
	v_xor_b32_e32 v119, 0x80000000, v119
.LBB110_1141:
	s_and_not1_saveexec_b32 s1, s1
	s_cbranch_execz .LBB110_1143
; %bb.1142:
	s_delay_alu instid0(VALU_DEP_1) | instskip(SKIP_1) | instid1(VALU_DEP_2)
	v_div_scale_f32 v121, null, v118, v118, v119
	v_div_scale_f32 v129, vcc_lo, v119, v118, v119
	v_rcp_f32_e32 v127, v121
	v_nop
	s_delay_alu instid0(TRANS32_DEP_1) | instskip(NEXT) | instid1(VALU_DEP_1)
	v_fma_f32 v128, -v121, v127, 1.0
	v_fmac_f32_e32 v127, v128, v127
	s_delay_alu instid0(VALU_DEP_1) | instskip(NEXT) | instid1(VALU_DEP_1)
	v_mul_f32_e32 v128, v129, v127
	v_fma_f32 v130, -v121, v128, v129
	s_delay_alu instid0(VALU_DEP_1) | instskip(NEXT) | instid1(VALU_DEP_1)
	v_fmac_f32_e32 v128, v130, v127
	v_fma_f32 v121, -v121, v128, v129
	s_delay_alu instid0(VALU_DEP_1) | instskip(NEXT) | instid1(VALU_DEP_1)
	v_div_fmas_f32 v121, v121, v127, v128
	v_div_fixup_f32 v121, v121, v118, v119
	s_delay_alu instid0(VALU_DEP_1) | instskip(NEXT) | instid1(VALU_DEP_1)
	v_fmac_f32_e32 v118, v119, v121
	v_div_scale_f32 v119, null, v118, v118, 1.0
	s_delay_alu instid0(VALU_DEP_1) | instskip(SKIP_1) | instid1(TRANS32_DEP_1)
	v_rcp_f32_e32 v127, v119
	v_nop
	v_fma_f32 v128, -v119, v127, 1.0
	s_delay_alu instid0(VALU_DEP_1) | instskip(SKIP_1) | instid1(VALU_DEP_1)
	v_fmac_f32_e32 v127, v128, v127
	v_div_scale_f32 v128, vcc_lo, 1.0, v118, 1.0
	v_mul_f32_e32 v129, v128, v127
	s_delay_alu instid0(VALU_DEP_1) | instskip(NEXT) | instid1(VALU_DEP_1)
	v_fma_f32 v130, -v119, v129, v128
	v_fmac_f32_e32 v129, v130, v127
	s_delay_alu instid0(VALU_DEP_1) | instskip(NEXT) | instid1(VALU_DEP_1)
	v_fma_f32 v119, -v119, v129, v128
	v_div_fmas_f32 v119, v119, v127, v129
	s_delay_alu instid0(VALU_DEP_1) | instskip(NEXT) | instid1(VALU_DEP_1)
	v_div_fixup_f32 v118, v119, v118, 1.0
	v_mul_f32_e64 v119, v121, -v118
.LBB110_1143:
	s_or_b32 exec_lo, exec_lo, s1
.LBB110_1144:
	s_delay_alu instid0(SALU_CYCLE_1) | instskip(NEXT) | instid1(SALU_CYCLE_1)
	s_or_b32 exec_lo, exec_lo, s0
	s_mov_b32 s0, exec_lo
	v_cmpx_ne_u32_e64 v126, v120
	s_xor_b32 s0, exec_lo, s0
	s_cbranch_execz .LBB110_1150
; %bb.1145:
	s_mov_b32 s1, exec_lo
	v_cmpx_eq_u32_e32 54, v126
	s_cbranch_execz .LBB110_1149
; %bb.1146:
	v_cmp_ne_u32_e32 vcc_lo, 54, v120
	s_xor_b32 s12, s16, -1
	s_delay_alu instid0(SALU_CYCLE_1) | instskip(NEXT) | instid1(SALU_CYCLE_1)
	s_and_b32 s13, s12, vcc_lo
	s_and_saveexec_b32 s12, s13
	s_cbranch_execz .LBB110_1148
; %bb.1147:
	v_ashrrev_i32_e32 v121, 31, v120
	s_delay_alu instid0(VALU_DEP_1)
	v_lshl_add_u64 v[126:127], v[120:121], 2, v[4:5]
	s_clause 0x1
	global_load_b32 v121, v[126:127], off
	global_load_b32 v125, v[4:5], off offset:216
	s_wait_loadcnt 0x1
	global_store_b32 v[4:5], v121, off offset:216
	s_wait_loadcnt 0x0
	global_store_b32 v[126:127], v125, off
.LBB110_1148:
	s_wait_xcnt 0x0
	s_or_b32 exec_lo, exec_lo, s12
	v_dual_mov_b32 v126, v120 :: v_dual_mov_b32 v125, v120
.LBB110_1149:
	s_or_b32 exec_lo, exec_lo, s1
.LBB110_1150:
	s_and_not1_saveexec_b32 s0, s0
; %bb.1151:
	v_mov_b32_e32 v126, 54
	ds_store_b64 v122, v[116:117] offset:440
; %bb.1152:
	s_or_b32 exec_lo, exec_lo, s0
	s_delay_alu instid0(SALU_CYCLE_1)
	s_mov_b32 s0, exec_lo
	s_wait_storecnt_dscnt 0x0
	s_barrier_signal -1
	s_barrier_wait -1
	v_cmpx_lt_i32_e32 54, v126
	s_cbranch_execz .LBB110_1154
; %bb.1153:
	ds_load_b64 v[120:121], v122 offset:440
	v_pk_mul_f32 v[128:129], v[118:119], v[20:21] op_sel:[1,1] op_sel_hi:[0,1]
	s_delay_alu instid0(VALU_DEP_1) | instskip(SKIP_2) | instid1(VALU_DEP_2)
	v_pk_fma_f32 v[130:131], v[118:119], v[20:21], v[128:129] op_sel_hi:[1,0,1]
	v_pk_fma_f32 v[20:21], v[118:119], v[20:21], v[128:129] op_sel_hi:[1,0,1] neg_lo:[0,0,1] neg_hi:[0,0,1]
	s_wait_dscnt 0x0
	v_pk_mul_f32 v[118:119], v[120:121], v[130:131] op_sel:[1,1] op_sel_hi:[0,1]
	s_delay_alu instid0(VALU_DEP_1) | instskip(SKIP_1) | instid1(VALU_DEP_2)
	v_pk_fma_f32 v[128:129], v[120:121], v[20:21], v[118:119] op_sel_hi:[1,0,1]
	v_pk_fma_f32 v[118:119], v[120:121], v[20:21], v[118:119] neg_lo:[0,0,1] neg_hi:[0,0,1]
	v_dual_mov_b32 v21, v131 :: v_dual_mov_b32 v119, v129
	s_delay_alu instid0(VALU_DEP_1)
	v_pk_add_f32 v[116:117], v[116:117], v[118:119] neg_lo:[0,1] neg_hi:[0,1]
.LBB110_1154:
	s_or_b32 exec_lo, exec_lo, s0
	v_lshl_add_u32 v118, v126, 3, v122
	s_barrier_signal -1
	s_barrier_wait -1
	ds_store_b64 v118, v[116:117]
	s_wait_dscnt 0x0
	s_barrier_signal -1
	s_barrier_wait -1
	ds_load_b64 v[118:119], v122 offset:440
	v_mov_b32_e32 v120, 55
	s_cmp_lt_i32 s18, 57
	s_cbranch_scc1 .LBB110_1157
; %bb.1155:
	v_add3_u32 v121, v123, 0, 0x1c0
	v_mov_b32_e32 v120, 55
	s_mov_b32 s0, 56
.LBB110_1156:                           ; =>This Inner Loop Header: Depth=1
	ds_load_b64 v[122:123], v121
	s_wait_dscnt 0x1
	v_cmp_gt_f32_e32 vcc_lo, 0, v118
	v_cndmask_b32_e64 v128, v118, -v118, vcc_lo
	v_cmp_gt_f32_e32 vcc_lo, 0, v119
	v_cndmask_b32_e64 v130, v119, -v119, vcc_lo
	s_wait_dscnt 0x0
	v_cmp_gt_f32_e32 vcc_lo, 0, v122
	v_cndmask_b32_e64 v129, v122, -v122, vcc_lo
	v_cmp_gt_f32_e32 vcc_lo, 0, v123
	v_cndmask_b32_e64 v131, v123, -v123, vcc_lo
	s_delay_alu instid0(VALU_DEP_1) | instskip(NEXT) | instid1(VALU_DEP_1)
	v_pk_add_f32 v[128:129], v[128:129], v[130:131]
	v_cmp_lt_f32_e32 vcc_lo, v128, v129
	v_dual_add_nc_u32 v121, 8, v121 :: v_dual_cndmask_b32 v119, v119, v123, vcc_lo
	v_cndmask_b32_e32 v118, v118, v122, vcc_lo
	v_cndmask_b32_e64 v120, v120, s0, vcc_lo
	s_add_co_i32 s0, s0, 1
	s_delay_alu instid0(SALU_CYCLE_1)
	s_cmp_lg_u32 s18, s0
	s_cbranch_scc1 .LBB110_1156
.LBB110_1157:
	s_wait_dscnt 0x0
	v_cmp_eq_f32_e32 vcc_lo, 0, v118
	v_cmp_eq_f32_e64 s0, 0, v119
	s_and_b32 s0, vcc_lo, s0
	s_delay_alu instid0(SALU_CYCLE_1) | instskip(NEXT) | instid1(SALU_CYCLE_1)
	s_and_saveexec_b32 s1, s0
	s_xor_b32 s0, exec_lo, s1
; %bb.1158:
	v_cmp_ne_u32_e32 vcc_lo, 0, v124
	v_cndmask_b32_e32 v124, 56, v124, vcc_lo
; %bb.1159:
	s_and_not1_saveexec_b32 s0, s0
	s_cbranch_execz .LBB110_1165
; %bb.1160:
	v_cmp_ngt_f32_e64 s1, |v118|, |v119|
	s_and_saveexec_b32 s12, s1
	s_delay_alu instid0(SALU_CYCLE_1)
	s_xor_b32 s1, exec_lo, s12
	s_cbranch_execz .LBB110_1162
; %bb.1161:
	v_div_scale_f32 v121, null, v119, v119, v118
	v_div_scale_f32 v127, vcc_lo, v118, v119, v118
	s_delay_alu instid0(VALU_DEP_2) | instskip(SKIP_1) | instid1(TRANS32_DEP_1)
	v_rcp_f32_e32 v122, v121
	v_nop
	v_fma_f32 v123, -v121, v122, 1.0
	s_delay_alu instid0(VALU_DEP_1) | instskip(NEXT) | instid1(VALU_DEP_1)
	v_fmac_f32_e32 v122, v123, v122
	v_mul_f32_e32 v123, v127, v122
	s_delay_alu instid0(VALU_DEP_1) | instskip(NEXT) | instid1(VALU_DEP_1)
	v_fma_f32 v128, -v121, v123, v127
	v_fmac_f32_e32 v123, v128, v122
	s_delay_alu instid0(VALU_DEP_1) | instskip(NEXT) | instid1(VALU_DEP_1)
	v_fma_f32 v121, -v121, v123, v127
	v_div_fmas_f32 v121, v121, v122, v123
	s_delay_alu instid0(VALU_DEP_1) | instskip(NEXT) | instid1(VALU_DEP_1)
	v_div_fixup_f32 v121, v121, v119, v118
	v_fmac_f32_e32 v119, v118, v121
	s_delay_alu instid0(VALU_DEP_1) | instskip(SKIP_1) | instid1(VALU_DEP_2)
	v_div_scale_f32 v118, null, v119, v119, 1.0
	v_div_scale_f32 v127, vcc_lo, 1.0, v119, 1.0
	v_rcp_f32_e32 v122, v118
	v_nop
	s_delay_alu instid0(TRANS32_DEP_1) | instskip(NEXT) | instid1(VALU_DEP_1)
	v_fma_f32 v123, -v118, v122, 1.0
	v_fmac_f32_e32 v122, v123, v122
	s_delay_alu instid0(VALU_DEP_1) | instskip(NEXT) | instid1(VALU_DEP_1)
	v_mul_f32_e32 v123, v127, v122
	v_fma_f32 v128, -v118, v123, v127
	s_delay_alu instid0(VALU_DEP_1) | instskip(NEXT) | instid1(VALU_DEP_1)
	v_fmac_f32_e32 v123, v128, v122
	v_fma_f32 v118, -v118, v123, v127
	s_delay_alu instid0(VALU_DEP_1) | instskip(NEXT) | instid1(VALU_DEP_1)
	v_div_fmas_f32 v118, v118, v122, v123
	v_div_fixup_f32 v119, v118, v119, 1.0
	s_delay_alu instid0(VALU_DEP_1)
	v_mul_f32_e32 v118, v121, v119
	v_xor_b32_e32 v119, 0x80000000, v119
.LBB110_1162:
	s_and_not1_saveexec_b32 s1, s1
	s_cbranch_execz .LBB110_1164
; %bb.1163:
	s_delay_alu instid0(VALU_DEP_1) | instskip(SKIP_1) | instid1(VALU_DEP_2)
	v_div_scale_f32 v121, null, v118, v118, v119
	v_div_scale_f32 v127, vcc_lo, v119, v118, v119
	v_rcp_f32_e32 v122, v121
	v_nop
	s_delay_alu instid0(TRANS32_DEP_1) | instskip(NEXT) | instid1(VALU_DEP_1)
	v_fma_f32 v123, -v121, v122, 1.0
	v_fmac_f32_e32 v122, v123, v122
	s_delay_alu instid0(VALU_DEP_1) | instskip(NEXT) | instid1(VALU_DEP_1)
	v_mul_f32_e32 v123, v127, v122
	v_fma_f32 v128, -v121, v123, v127
	s_delay_alu instid0(VALU_DEP_1) | instskip(NEXT) | instid1(VALU_DEP_1)
	v_fmac_f32_e32 v123, v128, v122
	v_fma_f32 v121, -v121, v123, v127
	s_delay_alu instid0(VALU_DEP_1) | instskip(NEXT) | instid1(VALU_DEP_1)
	v_div_fmas_f32 v121, v121, v122, v123
	v_div_fixup_f32 v121, v121, v118, v119
	s_delay_alu instid0(VALU_DEP_1) | instskip(NEXT) | instid1(VALU_DEP_1)
	v_fmac_f32_e32 v118, v119, v121
	v_div_scale_f32 v119, null, v118, v118, 1.0
	s_delay_alu instid0(VALU_DEP_1) | instskip(SKIP_1) | instid1(TRANS32_DEP_1)
	v_rcp_f32_e32 v122, v119
	v_nop
	v_fma_f32 v123, -v119, v122, 1.0
	s_delay_alu instid0(VALU_DEP_1) | instskip(SKIP_1) | instid1(VALU_DEP_1)
	v_fmac_f32_e32 v122, v123, v122
	v_div_scale_f32 v123, vcc_lo, 1.0, v118, 1.0
	v_mul_f32_e32 v127, v123, v122
	s_delay_alu instid0(VALU_DEP_1) | instskip(NEXT) | instid1(VALU_DEP_1)
	v_fma_f32 v128, -v119, v127, v123
	v_fmac_f32_e32 v127, v128, v122
	s_delay_alu instid0(VALU_DEP_1) | instskip(NEXT) | instid1(VALU_DEP_1)
	v_fma_f32 v119, -v119, v127, v123
	v_div_fmas_f32 v119, v119, v122, v127
	s_delay_alu instid0(VALU_DEP_1) | instskip(NEXT) | instid1(VALU_DEP_1)
	v_div_fixup_f32 v118, v119, v118, 1.0
	v_mul_f32_e64 v119, v121, -v118
.LBB110_1164:
	s_or_b32 exec_lo, exec_lo, s1
.LBB110_1165:
	s_delay_alu instid0(SALU_CYCLE_1)
	s_or_b32 exec_lo, exec_lo, s0
	v_mov_b32_e32 v122, 55
	s_mov_b32 s0, exec_lo
	v_cmpx_ne_u32_e64 v126, v120
	s_cbranch_execz .LBB110_1171
; %bb.1166:
	s_mov_b32 s1, exec_lo
	v_cmpx_eq_u32_e32 55, v126
	s_cbranch_execz .LBB110_1170
; %bb.1167:
	v_cmp_ne_u32_e32 vcc_lo, 55, v120
	s_xor_b32 s12, s16, -1
	s_delay_alu instid0(SALU_CYCLE_1) | instskip(NEXT) | instid1(SALU_CYCLE_1)
	s_and_b32 s13, s12, vcc_lo
	s_and_saveexec_b32 s12, s13
	s_cbranch_execz .LBB110_1169
; %bb.1168:
	v_ashrrev_i32_e32 v121, 31, v120
	s_delay_alu instid0(VALU_DEP_1)
	v_lshl_add_u64 v[122:123], v[120:121], 2, v[4:5]
	s_clause 0x1
	global_load_b32 v121, v[122:123], off
	global_load_b32 v125, v[4:5], off offset:220
	s_wait_loadcnt 0x1
	global_store_b32 v[4:5], v121, off offset:220
	s_wait_loadcnt 0x0
	global_store_b32 v[122:123], v125, off
.LBB110_1169:
	s_wait_xcnt 0x0
	s_or_b32 exec_lo, exec_lo, s12
	v_dual_mov_b32 v126, v120 :: v_dual_mov_b32 v125, v120
.LBB110_1170:
	s_or_b32 exec_lo, exec_lo, s1
	s_delay_alu instid0(VALU_DEP_1)
	v_mov_b32_e32 v122, v126
.LBB110_1171:
	s_or_b32 exec_lo, exec_lo, s0
	s_delay_alu instid0(VALU_DEP_1)
	v_ashrrev_i32_e32 v123, 31, v122
	s_mov_b32 s0, exec_lo
	s_wait_storecnt 0x0
	s_barrier_signal -1
	s_barrier_wait -1
	s_barrier_signal -1
	s_barrier_wait -1
	v_cmpx_gt_i32_e32 56, v122
	s_cbranch_execz .LBB110_1173
; %bb.1172:
	v_mul_u64_e32 v[4:5], s[10:11], v[2:3]
	v_add3_u32 v120, v125, s17, 1
	s_delay_alu instid0(VALU_DEP_2) | instskip(NEXT) | instid1(VALU_DEP_1)
	v_lshl_add_u64 v[4:5], v[4:5], 2, s[6:7]
	v_lshl_add_u64 v[4:5], s[8:9], 2, v[4:5]
	s_delay_alu instid0(VALU_DEP_1)
	v_lshl_add_u64 v[4:5], v[122:123], 2, v[4:5]
	global_store_b32 v[4:5], v120, off
.LBB110_1173:
	s_wait_xcnt 0x0
	s_or_b32 exec_lo, exec_lo, s0
	s_delay_alu instid0(SALU_CYCLE_1)
	s_mov_b32 s1, exec_lo
	v_cmpx_eq_u32_e32 0, v122
	s_cbranch_execz .LBB110_1176
; %bb.1174:
	s_wait_kmcnt 0x0
	v_lshl_add_u64 v[2:3], v[2:3], 2, s[4:5]
	v_cmp_ne_u32_e64 s0, 0, v124
	global_load_b32 v4, v[2:3], off
	s_wait_loadcnt 0x0
	v_cmp_eq_u32_e32 vcc_lo, 0, v4
	s_and_b32 s0, vcc_lo, s0
	s_wait_xcnt 0x0
	s_and_b32 exec_lo, exec_lo, s0
	s_cbranch_execz .LBB110_1176
; %bb.1175:
	v_add_nc_u32_e32 v4, s17, v124
	global_store_b32 v[2:3], v4, off
.LBB110_1176:
	s_wait_xcnt 0x0
	s_or_b32 exec_lo, exec_lo, s1
	v_add3_u32 v4, s2, s2, v122
	v_pk_mul_f32 v[2:3], v[118:119], v[116:117] op_sel:[1,1] op_sel_hi:[0,1]
	v_cmp_lt_i32_e32 vcc_lo, 55, v122
	v_lshl_add_u64 v[122:123], v[122:123], 3, v[0:1]
	s_delay_alu instid0(VALU_DEP_4) | instskip(NEXT) | instid1(VALU_DEP_4)
	v_add_nc_u32_e32 v120, s2, v4
	v_pk_fma_f32 v[138:139], v[118:119], v[116:117], v[2:3] op_sel_hi:[1,0,1]
	v_pk_fma_f32 v[2:3], v[118:119], v[116:117], v[2:3] neg_lo:[0,0,1] neg_hi:[0,0,1]
	global_store_b64 v[122:123], v[114:115], off
	s_wait_xcnt 0x0
	v_lshl_add_u64 v[114:115], s[2:3], 3, v[122:123]
	v_dual_cndmask_b32 v3, v117, v139 :: v_dual_add_nc_u32 v124, s2, v120
	v_dual_cndmask_b32 v2, v116, v2 :: v_dual_ashrrev_i32 v5, 31, v4
	global_store_b64 v[114:115], v[112:113], off
	v_add_nc_u32_e32 v126, s2, v124
	v_lshl_add_u64 v[4:5], v[4:5], 3, v[0:1]
	s_delay_alu instid0(VALU_DEP_2) | instskip(SKIP_2) | instid1(VALU_DEP_1)
	v_add_nc_u32_e32 v128, s2, v126
	global_store_b64 v[4:5], v[110:111], off
	v_add_nc_u32_e32 v130, s2, v128
	v_dual_add_nc_u32 v132, s2, v130 :: v_dual_ashrrev_i32 v125, 31, v124
	s_delay_alu instid0(VALU_DEP_1) | instskip(SKIP_1) | instid1(VALU_DEP_2)
	v_dual_ashrrev_i32 v131, 31, v130 :: v_dual_add_nc_u32 v134, s2, v132
	v_ashrrev_i32_e32 v129, 31, v128
	v_dual_ashrrev_i32 v133, 31, v132 :: v_dual_add_nc_u32 v136, s2, v134
	v_ashrrev_i32_e32 v127, 31, v126
	s_delay_alu instid0(VALU_DEP_2) | instskip(NEXT) | instid1(VALU_DEP_1)
	v_dual_ashrrev_i32 v135, 31, v134 :: v_dual_add_nc_u32 v118, s2, v136
	v_add_nc_u32_e32 v116, s2, v118
	s_delay_alu instid0(VALU_DEP_1) | instskip(NEXT) | instid1(VALU_DEP_1)
	v_add_nc_u32_e32 v138, s2, v116
	v_dual_add_nc_u32 v122, s2, v138 :: v_dual_ashrrev_i32 v137, 31, v136
	v_dual_ashrrev_i32 v119, 31, v118 :: v_dual_ashrrev_i32 v117, 31, v116
	s_wait_xcnt 0x1
	s_delay_alu instid0(VALU_DEP_2) | instskip(NEXT) | instid1(VALU_DEP_1)
	v_dual_ashrrev_i32 v123, 31, v122 :: v_dual_add_nc_u32 v112, s2, v122
	v_dual_ashrrev_i32 v139, 31, v138 :: v_dual_add_nc_u32 v114, s2, v112
	s_wait_xcnt 0x0
	s_delay_alu instid0(VALU_DEP_1) | instskip(NEXT) | instid1(VALU_DEP_1)
	v_dual_ashrrev_i32 v121, 31, v120 :: v_dual_add_nc_u32 v4, s2, v114
	v_lshl_add_u64 v[110:111], v[120:121], 3, v[0:1]
	s_delay_alu instid0(VALU_DEP_2)
	v_dual_ashrrev_i32 v115, 31, v114 :: v_dual_add_nc_u32 v120, s2, v4
	global_store_b64 v[110:111], v[108:109], off
	s_wait_xcnt 0x0
	v_lshl_add_u64 v[110:111], v[124:125], 3, v[0:1]
	v_add_nc_u32_e32 v108, s2, v120
	global_store_b64 v[110:111], v[106:107], off
	s_wait_xcnt 0x0
	v_lshl_add_u64 v[106:107], v[126:127], 3, v[0:1]
	v_lshl_add_u64 v[110:111], v[128:129], 3, v[0:1]
	v_add_nc_u32_e32 v124, s2, v108
	s_clause 0x1
	global_store_b64 v[106:107], v[102:103], off
	global_store_b64 v[110:111], v[104:105], off
	s_wait_xcnt 0x1
	v_lshl_add_u64 v[106:107], v[130:131], 3, v[0:1]
	v_add_nc_u32_e32 v126, s2, v124
	s_wait_xcnt 0x0
	v_lshl_add_u64 v[110:111], v[132:133], 3, v[0:1]
	v_lshl_add_u64 v[128:129], v[134:135], 3, v[0:1]
	;; [unrolled: 1-line block ×3, first 2 shown]
	s_clause 0x3
	global_store_b64 v[106:107], v[40:41], off
	global_store_b64 v[110:111], v[100:101], off
	;; [unrolled: 1-line block ×4, first 2 shown]
	v_add_nc_u32_e32 v102, s2, v126
	s_wait_xcnt 0x0
	v_lshl_add_u64 v[98:99], v[118:119], 3, v[0:1]
	v_lshl_add_u64 v[100:101], v[116:117], 3, v[0:1]
	;; [unrolled: 1-line block ×4, first 2 shown]
	v_add_nc_u32_e32 v104, s2, v102
	s_clause 0x3
	global_store_b64 v[98:99], v[38:39], off
	global_store_b64 v[100:101], v[94:95], off
	;; [unrolled: 1-line block ×4, first 2 shown]
	v_dual_ashrrev_i32 v113, 31, v112 :: v_dual_ashrrev_i32 v127, 31, v126
	v_dual_ashrrev_i32 v5, 31, v4 :: v_dual_ashrrev_i32 v103, 31, v102
	v_add_nc_u32_e32 v132, s2, v104
	v_ashrrev_i32_e32 v121, 31, v120
	s_wait_xcnt 0x0
	v_lshl_add_u64 v[92:93], v[112:113], 3, v[0:1]
	v_lshl_add_u64 v[4:5], v[4:5], 3, v[0:1]
	v_ashrrev_i32_e32 v109, 31, v108
	v_add_nc_u32_e32 v40, s2, v132
	v_lshl_add_u64 v[98:99], v[120:121], 3, v[0:1]
	v_ashrrev_i32_e32 v125, 31, v124
	v_lshl_add_u64 v[94:95], v[114:115], 3, v[0:1]
	s_clause 0x3
	global_store_b64 v[92:93], v[36:37], off
	global_store_b64 v[94:95], v[88:89], off
	;; [unrolled: 1-line block ×4, first 2 shown]
	v_add_nc_u32_e32 v96, s2, v40
	s_wait_xcnt 0x1
	v_lshl_add_u64 v[84:85], v[108:109], 3, v[0:1]
	s_wait_xcnt 0x0
	v_lshl_add_u64 v[86:87], v[124:125], 3, v[0:1]
	v_lshl_add_u64 v[88:89], v[126:127], 3, v[0:1]
	;; [unrolled: 1-line block ×3, first 2 shown]
	v_add_nc_u32_e32 v116, s2, v96
	v_ashrrev_i32_e32 v41, 31, v40
	v_ashrrev_i32_e32 v97, 31, v96
	s_clause 0x3
	global_store_b64 v[84:85], v[30:31], off
	global_store_b64 v[86:87], v[82:83], off
	;; [unrolled: 1-line block ×4, first 2 shown]
	v_add_nc_u32_e32 v38, s2, v116
	v_lshl_add_u64 v[40:41], v[40:41], 3, v[0:1]
	s_wait_xcnt 0x3
	v_lshl_add_u64 v[84:85], v[96:97], 3, v[0:1]
	s_delay_alu instid0(VALU_DEP_3) | instskip(NEXT) | instid1(VALU_DEP_1)
	v_dual_add_nc_u32 v90, s2, v38 :: v_dual_ashrrev_i32 v117, 31, v116
	v_add_nc_u32_e32 v100, s2, v90
	v_ashrrev_i32_e32 v39, 31, v38
	s_delay_alu instid0(VALU_DEP_2) | instskip(NEXT) | instid1(VALU_DEP_2)
	v_dual_ashrrev_i32 v91, 31, v90 :: v_dual_add_nc_u32 v4, s2, v100
	v_lshl_add_u64 v[38:39], v[38:39], 3, v[0:1]
	s_delay_alu instid0(VALU_DEP_2) | instskip(NEXT) | instid1(VALU_DEP_1)
	v_add_nc_u32_e32 v36, s2, v4
	v_add_nc_u32_e32 v94, s2, v36
	s_delay_alu instid0(VALU_DEP_1) | instskip(SKIP_2) | instid1(VALU_DEP_2)
	v_dual_ashrrev_i32 v105, 31, v104 :: v_dual_ashrrev_i32 v95, 31, v94
	v_dual_add_nc_u32 v30, s2, v94 :: v_dual_ashrrev_i32 v133, 31, v132
	s_wait_xcnt 0x0
	v_lshl_add_u64 v[80:81], v[104:105], 3, v[0:1]
	s_delay_alu instid0(VALU_DEP_2) | instskip(NEXT) | instid1(VALU_DEP_3)
	v_dual_add_nc_u32 v78, s2, v30 :: v_dual_ashrrev_i32 v31, 31, v30
	v_lshl_add_u64 v[82:83], v[132:133], 3, v[0:1]
	s_clause 0x3
	global_store_b64 v[80:81], v[24:25], off
	global_store_b64 v[82:83], v[76:77], off
	;; [unrolled: 1-line block ×4, first 2 shown]
	v_dual_add_nc_u32 v86, s2, v78 :: v_dual_ashrrev_i32 v101, 31, v100
	v_ashrrev_i32_e32 v79, 31, v78
	s_wait_xcnt 0x1
	v_lshl_add_u64 v[72:73], v[116:117], 3, v[0:1]
	s_wait_xcnt 0x0
	v_lshl_add_u64 v[74:75], v[90:91], 3, v[0:1]
	v_dual_add_nc_u32 v24, s2, v86 :: v_dual_ashrrev_i32 v87, 31, v86
	v_lshl_add_u64 v[76:77], v[100:101], 3, v[0:1]
	s_clause 0x3
	global_store_b64 v[72:73], v[18:19], off
	global_store_b64 v[38:39], v[70:71], off
	;; [unrolled: 1-line block ×4, first 2 shown]
	v_add_nc_u32_e32 v40, s2, v24
	v_ashrrev_i32_e32 v5, 31, v4
	s_wait_xcnt 0x1
	v_lshl_add_u64 v[66:67], v[94:95], 3, v[0:1]
	v_lshl_add_u64 v[30:31], v[30:31], 3, v[0:1]
	v_ashrrev_i32_e32 v25, 31, v24
	v_add_nc_u32_e32 v80, s2, v40
	v_lshl_add_u64 v[4:5], v[4:5], 3, v[0:1]
	v_ashrrev_i32_e32 v41, 31, v40
	s_delay_alu instid0(VALU_DEP_4) | instskip(NEXT) | instid1(VALU_DEP_4)
	v_lshl_add_u64 v[24:25], v[24:25], 3, v[0:1]
	v_dual_add_nc_u32 v18, s2, v80 :: v_dual_ashrrev_i32 v81, 31, v80
	v_ashrrev_i32_e32 v37, 31, v36
	s_delay_alu instid0(VALU_DEP_4) | instskip(NEXT) | instid1(VALU_DEP_3)
	v_lshl_add_u64 v[40:41], v[40:41], 3, v[0:1]
	v_dual_add_nc_u32 v38, s2, v18 :: v_dual_ashrrev_i32 v19, 31, v18
	s_delay_alu instid0(VALU_DEP_3)
	v_lshl_add_u64 v[36:37], v[36:37], 3, v[0:1]
	s_clause 0x3
	global_store_b64 v[4:5], v[16:17], off
	global_store_b64 v[36:37], v[64:65], off
	;; [unrolled: 1-line block ×4, first 2 shown]
	s_wait_xcnt 0x4
	v_dual_add_nc_u32 v68, s2, v38 :: v_dual_ashrrev_i32 v39, 31, v38
	s_wait_xcnt 0x0
	v_lshl_add_u64 v[30:31], v[78:79], 3, v[0:1]
	v_lshl_add_u64 v[36:37], v[86:87], 3, v[0:1]
	s_clause 0x3
	global_store_b64 v[30:31], v[14:15], off
	global_store_b64 v[36:37], v[58:59], off
	;; [unrolled: 1-line block ×4, first 2 shown]
	v_add_nc_u32_e32 v4, s2, v68
	s_wait_xcnt 0x3
	v_lshl_add_u64 v[30:31], v[80:81], 3, v[0:1]
	v_lshl_add_u64 v[18:19], v[18:19], 3, v[0:1]
	s_wait_xcnt 0x2
	v_lshl_add_u64 v[36:37], v[38:39], 3, v[0:1]
	v_add_nc_u32_e32 v16, s2, v4
	s_delay_alu instid0(VALU_DEP_1) | instskip(NEXT) | instid1(VALU_DEP_1)
	v_dual_add_nc_u32 v60, s2, v16 :: v_dual_ashrrev_i32 v17, 31, v16
	v_dual_add_nc_u32 v14, s2, v60 :: v_dual_ashrrev_i32 v61, 31, v60
	v_ashrrev_i32_e32 v69, 31, v68
	s_delay_alu instid0(VALU_DEP_3) | instskip(SKIP_1) | instid1(VALU_DEP_3)
	v_lshl_add_u64 v[16:17], v[16:17], 3, v[0:1]
	s_wait_xcnt 0x1
	v_dual_add_nc_u32 v24, s2, v14 :: v_dual_ashrrev_i32 v15, 31, v14
	s_delay_alu instid0(VALU_DEP_3)
	v_lshl_add_u64 v[38:39], v[68:69], 3, v[0:1]
	s_clause 0x3
	global_store_b64 v[30:31], v[12:13], off
	global_store_b64 v[18:19], v[52:53], off
	;; [unrolled: 1-line block ×4, first 2 shown]
	s_wait_xcnt 0x4
	v_add_nc_u32_e32 v40, s2, v24
	s_wait_xcnt 0x3
	v_lshl_add_u64 v[30:31], v[60:61], 3, v[0:1]
	v_lshl_add_u64 v[14:15], v[14:15], 3, v[0:1]
	v_ashrrev_i32_e32 v25, 31, v24
	v_add_nc_u32_e32 v12, s2, v40
	s_wait_xcnt 0x2
	s_delay_alu instid0(VALU_DEP_1) | instskip(NEXT) | instid1(VALU_DEP_1)
	v_dual_add_nc_u32 v18, s2, v12 :: v_dual_ashrrev_i32 v13, 31, v12
	v_dual_ashrrev_i32 v5, 31, v4 :: v_dual_ashrrev_i32 v19, 31, v18
	s_wait_xcnt 0x1
	v_add_nc_u32_e32 v36, s2, v18
	s_delay_alu instid0(VALU_DEP_2)
	v_lshl_add_u64 v[4:5], v[4:5], 3, v[0:1]
	s_clause 0x3
	global_store_b64 v[4:5], v[10:11], off
	global_store_b64 v[16:17], v[46:47], off
	;; [unrolled: 1-line block ×4, first 2 shown]
	s_wait_xcnt 0x3
	v_add_nc_u32_e32 v4, s2, v36
	s_wait_xcnt 0x0
	v_lshl_add_u64 v[14:15], v[24:25], 3, v[0:1]
	v_lshl_add_u64 v[12:13], v[12:13], 3, v[0:1]
	;; [unrolled: 1-line block ×3, first 2 shown]
	v_add_nc_u32_e32 v10, s2, v4
	s_delay_alu instid0(VALU_DEP_1) | instskip(SKIP_1) | instid1(VALU_DEP_2)
	v_dual_add_nc_u32 v24, s2, v10 :: v_dual_ashrrev_i32 v5, 31, v4
	v_dual_ashrrev_i32 v41, 31, v40 :: v_dual_ashrrev_i32 v11, 31, v10
	v_ashrrev_i32_e32 v25, 31, v24
	s_delay_alu instid0(VALU_DEP_3) | instskip(NEXT) | instid1(VALU_DEP_3)
	v_lshl_add_u64 v[4:5], v[4:5], 3, v[0:1]
	v_lshl_add_u64 v[16:17], v[40:41], 3, v[0:1]
	s_clause 0x3
	global_store_b64 v[14:15], v[6:7], off
	global_store_b64 v[16:17], v[34:35], off
	;; [unrolled: 1-line block ×4, first 2 shown]
	s_wait_xcnt 0x3
	v_add_nc_u32_e32 v6, s2, v24
	v_ashrrev_i32_e32 v37, 31, v36
	v_lshl_add_u64 v[10:11], v[10:11], 3, v[0:1]
	v_lshl_add_u64 v[14:15], v[24:25], 3, v[0:1]
	s_delay_alu instid0(VALU_DEP_4) | instskip(SKIP_2) | instid1(VALU_DEP_2)
	v_ashrrev_i32_e32 v7, 31, v6
	s_wait_xcnt 0x1
	v_lshl_add_u64 v[12:13], v[36:37], 3, v[0:1]
	v_lshl_add_u64 v[0:1], v[6:7], 3, v[0:1]
	s_clause 0x4
	global_store_b64 v[12:13], v[8:9], off
	global_store_b64 v[4:5], v[26:27], off
	;; [unrolled: 1-line block ×5, first 2 shown]
.LBB110_1177:
	s_sendmsg sendmsg(MSG_DEALLOC_VGPRS)
	s_endpgm
	.section	.rodata,"a",@progbits
	.p2align	6, 0x0
	.amdhsa_kernel _ZN9rocsolver6v33100L18getf2_small_kernelILi56E19rocblas_complex_numIfEiiPS3_EEvT1_T3_lS5_lPS5_llPT2_S5_S5_S7_l
		.amdhsa_group_segment_fixed_size 0
		.amdhsa_private_segment_fixed_size 0
		.amdhsa_kernarg_size 352
		.amdhsa_user_sgpr_count 2
		.amdhsa_user_sgpr_dispatch_ptr 0
		.amdhsa_user_sgpr_queue_ptr 0
		.amdhsa_user_sgpr_kernarg_segment_ptr 1
		.amdhsa_user_sgpr_dispatch_id 0
		.amdhsa_user_sgpr_kernarg_preload_length 0
		.amdhsa_user_sgpr_kernarg_preload_offset 0
		.amdhsa_user_sgpr_private_segment_size 0
		.amdhsa_wavefront_size32 1
		.amdhsa_uses_dynamic_stack 0
		.amdhsa_enable_private_segment 0
		.amdhsa_system_sgpr_workgroup_id_x 1
		.amdhsa_system_sgpr_workgroup_id_y 1
		.amdhsa_system_sgpr_workgroup_id_z 0
		.amdhsa_system_sgpr_workgroup_info 0
		.amdhsa_system_vgpr_workitem_id 1
		.amdhsa_next_free_vgpr 144
		.amdhsa_next_free_sgpr 19
		.amdhsa_named_barrier_count 0
		.amdhsa_reserve_vcc 1
		.amdhsa_float_round_mode_32 0
		.amdhsa_float_round_mode_16_64 0
		.amdhsa_float_denorm_mode_32 3
		.amdhsa_float_denorm_mode_16_64 3
		.amdhsa_fp16_overflow 0
		.amdhsa_memory_ordered 1
		.amdhsa_forward_progress 1
		.amdhsa_inst_pref_size 255
		.amdhsa_round_robin_scheduling 0
		.amdhsa_exception_fp_ieee_invalid_op 0
		.amdhsa_exception_fp_denorm_src 0
		.amdhsa_exception_fp_ieee_div_zero 0
		.amdhsa_exception_fp_ieee_overflow 0
		.amdhsa_exception_fp_ieee_underflow 0
		.amdhsa_exception_fp_ieee_inexact 0
		.amdhsa_exception_int_div_zero 0
	.end_amdhsa_kernel
	.section	.text._ZN9rocsolver6v33100L18getf2_small_kernelILi56E19rocblas_complex_numIfEiiPS3_EEvT1_T3_lS5_lPS5_llPT2_S5_S5_S7_l,"axG",@progbits,_ZN9rocsolver6v33100L18getf2_small_kernelILi56E19rocblas_complex_numIfEiiPS3_EEvT1_T3_lS5_lPS5_llPT2_S5_S5_S7_l,comdat
.Lfunc_end110:
	.size	_ZN9rocsolver6v33100L18getf2_small_kernelILi56E19rocblas_complex_numIfEiiPS3_EEvT1_T3_lS5_lPS5_llPT2_S5_S5_S7_l, .Lfunc_end110-_ZN9rocsolver6v33100L18getf2_small_kernelILi56E19rocblas_complex_numIfEiiPS3_EEvT1_T3_lS5_lPS5_llPT2_S5_S5_S7_l
                                        ; -- End function
	.set _ZN9rocsolver6v33100L18getf2_small_kernelILi56E19rocblas_complex_numIfEiiPS3_EEvT1_T3_lS5_lPS5_llPT2_S5_S5_S7_l.num_vgpr, 144
	.set _ZN9rocsolver6v33100L18getf2_small_kernelILi56E19rocblas_complex_numIfEiiPS3_EEvT1_T3_lS5_lPS5_llPT2_S5_S5_S7_l.num_agpr, 0
	.set _ZN9rocsolver6v33100L18getf2_small_kernelILi56E19rocblas_complex_numIfEiiPS3_EEvT1_T3_lS5_lPS5_llPT2_S5_S5_S7_l.numbered_sgpr, 19
	.set _ZN9rocsolver6v33100L18getf2_small_kernelILi56E19rocblas_complex_numIfEiiPS3_EEvT1_T3_lS5_lPS5_llPT2_S5_S5_S7_l.num_named_barrier, 0
	.set _ZN9rocsolver6v33100L18getf2_small_kernelILi56E19rocblas_complex_numIfEiiPS3_EEvT1_T3_lS5_lPS5_llPT2_S5_S5_S7_l.private_seg_size, 0
	.set _ZN9rocsolver6v33100L18getf2_small_kernelILi56E19rocblas_complex_numIfEiiPS3_EEvT1_T3_lS5_lPS5_llPT2_S5_S5_S7_l.uses_vcc, 1
	.set _ZN9rocsolver6v33100L18getf2_small_kernelILi56E19rocblas_complex_numIfEiiPS3_EEvT1_T3_lS5_lPS5_llPT2_S5_S5_S7_l.uses_flat_scratch, 0
	.set _ZN9rocsolver6v33100L18getf2_small_kernelILi56E19rocblas_complex_numIfEiiPS3_EEvT1_T3_lS5_lPS5_llPT2_S5_S5_S7_l.has_dyn_sized_stack, 0
	.set _ZN9rocsolver6v33100L18getf2_small_kernelILi56E19rocblas_complex_numIfEiiPS3_EEvT1_T3_lS5_lPS5_llPT2_S5_S5_S7_l.has_recursion, 0
	.set _ZN9rocsolver6v33100L18getf2_small_kernelILi56E19rocblas_complex_numIfEiiPS3_EEvT1_T3_lS5_lPS5_llPT2_S5_S5_S7_l.has_indirect_call, 0
	.section	.AMDGPU.csdata,"",@progbits
; Kernel info:
; codeLenInByte = 145244
; TotalNumSgprs: 21
; NumVgprs: 144
; ScratchSize: 0
; MemoryBound: 0
; FloatMode: 240
; IeeeMode: 1
; LDSByteSize: 0 bytes/workgroup (compile time only)
; SGPRBlocks: 0
; VGPRBlocks: 8
; NumSGPRsForWavesPerEU: 21
; NumVGPRsForWavesPerEU: 144
; NamedBarCnt: 0
; Occupancy: 7
; WaveLimiterHint : 0
; COMPUTE_PGM_RSRC2:SCRATCH_EN: 0
; COMPUTE_PGM_RSRC2:USER_SGPR: 2
; COMPUTE_PGM_RSRC2:TRAP_HANDLER: 0
; COMPUTE_PGM_RSRC2:TGID_X_EN: 1
; COMPUTE_PGM_RSRC2:TGID_Y_EN: 1
; COMPUTE_PGM_RSRC2:TGID_Z_EN: 0
; COMPUTE_PGM_RSRC2:TIDIG_COMP_CNT: 1
	.section	.text._ZN9rocsolver6v33100L23getf2_npvt_small_kernelILi56E19rocblas_complex_numIfEiiPS3_EEvT1_T3_lS5_lPT2_S5_S5_,"axG",@progbits,_ZN9rocsolver6v33100L23getf2_npvt_small_kernelILi56E19rocblas_complex_numIfEiiPS3_EEvT1_T3_lS5_lPT2_S5_S5_,comdat
	.globl	_ZN9rocsolver6v33100L23getf2_npvt_small_kernelILi56E19rocblas_complex_numIfEiiPS3_EEvT1_T3_lS5_lPT2_S5_S5_ ; -- Begin function _ZN9rocsolver6v33100L23getf2_npvt_small_kernelILi56E19rocblas_complex_numIfEiiPS3_EEvT1_T3_lS5_lPT2_S5_S5_
	.p2align	8
	.type	_ZN9rocsolver6v33100L23getf2_npvt_small_kernelILi56E19rocblas_complex_numIfEiiPS3_EEvT1_T3_lS5_lPT2_S5_S5_,@function
_ZN9rocsolver6v33100L23getf2_npvt_small_kernelILi56E19rocblas_complex_numIfEiiPS3_EEvT1_T3_lS5_lPT2_S5_S5_: ; @_ZN9rocsolver6v33100L23getf2_npvt_small_kernelILi56E19rocblas_complex_numIfEiiPS3_EEvT1_T3_lS5_lPT2_S5_S5_
; %bb.0:
	s_clause 0x1
	s_load_u16 s14, s[0:1], 0x46
	s_load_b64 s[2:3], s[0:1], 0x30
	s_bfe_u32 s4, ttmp6, 0x40010
	s_bfe_u32 s5, ttmp6, 0x40004
	s_add_co_i32 s4, s4, 1
	s_getreg_b32 s6, hwreg(HW_REG_IB_STS2, 6, 4)
	s_mul_i32 s4, ttmp7, s4
	v_bfe_u32 v48, v0, 10, 10
	s_add_co_i32 s5, s5, s4
	s_cmp_eq_u32 s6, 0
	s_cselect_b32 s4, ttmp7, s5
	s_wait_kmcnt 0x0
	v_mad_u32 v90, s4, s14, v48
	s_delay_alu instid0(VALU_DEP_1)
	v_cmp_gt_i32_e32 vcc_lo, s2, v90
	s_and_saveexec_b32 s2, vcc_lo
	s_cbranch_execz .LBB111_507
; %bb.1:
	s_clause 0x1
	s_load_b32 s12, s[0:1], 0x18
	s_load_b128 s[8:11], s[0:1], 0x8
	v_and_b32_e32 v166, 0x3ff, v0
	s_load_b128 s[4:7], s[0:1], 0x20
	s_mulk_i32 s14, 0x1c0
	v_mad_u32_u24 v168, 0x1c0, v48, 0
	v_ashrrev_i32_e32 v91, 31, v90
	s_wait_xcnt 0x0
	v_cmp_ne_u32_e64 s1, 0, v166
	v_cmp_eq_u32_e64 s0, 0, v166
	v_mov_b32_e32 v35, 0
	s_wait_kmcnt 0x0
	v_add3_u32 v28, s12, s12, v166
	v_lshlrev_b32_e32 v34, 3, v166
	s_ashr_i32 s13, s12, 31
	v_mul_u64_e32 v[16:17], s[4:5], v[90:91]
	s_delay_alu instid0(VALU_DEP_3) | instskip(NEXT) | instid1(VALU_DEP_1)
	v_dual_add_nc_u32 v20, s12, v28 :: v_dual_ashrrev_i32 v29, 31, v28
	v_add_nc_u32_e32 v22, s12, v20
	s_delay_alu instid0(VALU_DEP_1) | instskip(NEXT) | instid1(VALU_DEP_1)
	v_dual_add_nc_u32 v24, s12, v22 :: v_dual_ashrrev_i32 v21, 31, v20
	v_dual_add_nc_u32 v26, s12, v24 :: v_dual_ashrrev_i32 v25, 31, v24
	s_delay_alu instid0(VALU_DEP_1) | instskip(SKIP_1) | instid1(VALU_DEP_2)
	v_add_nc_u32_e32 v14, s12, v26
	v_ashrrev_i32_e32 v23, 31, v22
	v_add_nc_u32_e32 v18, s12, v14
	s_delay_alu instid0(VALU_DEP_1) | instskip(SKIP_1) | instid1(VALU_DEP_2)
	v_add_nc_u32_e32 v12, s12, v18
	v_lshl_add_u64 v[16:17], v[16:17], 3, s[8:9]
	v_add_nc_u32_e32 v8, s12, v12
	s_delay_alu instid0(VALU_DEP_2) | instskip(NEXT) | instid1(VALU_DEP_2)
	v_lshl_add_u64 v[66:67], s[10:11], 3, v[16:17]
	v_add_nc_u32_e32 v0, s12, v8
	s_delay_alu instid0(VALU_DEP_2)
	v_lshl_add_u64 v[188:189], v[28:29], 3, v[66:67]
	v_add_nc_u64_e32 v[16:17], v[66:67], v[34:35]
	v_lshl_add_u64 v[204:205], v[22:23], 3, v[66:67]
	v_lshl_add_u64 v[184:185], v[24:25], 3, v[66:67]
	v_add_nc_u32_e32 v4, s12, v0
	v_ashrrev_i32_e32 v13, 31, v12
	v_lshl_add_u64 v[202:203], v[20:21], 3, v[66:67]
	v_lshl_add_u64 v[230:231], s[12:13], 3, v[16:17]
	s_delay_alu instid0(VALU_DEP_4) | instskip(NEXT) | instid1(VALU_DEP_4)
	v_add_nc_u32_e32 v2, s12, v4
	v_lshl_add_u64 v[206:207], v[12:13], 3, v[66:67]
	s_delay_alu instid0(VALU_DEP_2) | instskip(NEXT) | instid1(VALU_DEP_1)
	v_dual_add_nc_u32 v6, s12, v2 :: v_dual_ashrrev_i32 v5, 31, v4
	v_dual_ashrrev_i32 v7, 31, v6 :: v_dual_add_nc_u32 v10, s12, v6
	s_delay_alu instid0(VALU_DEP_2) | instskip(SKIP_1) | instid1(VALU_DEP_3)
	v_lshl_add_u64 v[228:229], v[4:5], 3, v[66:67]
	v_ashrrev_i32_e32 v3, 31, v2
	v_lshl_add_u64 v[234:235], v[6:7], 3, v[66:67]
	s_delay_alu instid0(VALU_DEP_4) | instskip(NEXT) | instid1(VALU_DEP_3)
	v_dual_add_nc_u32 v30, s12, v10 :: v_dual_ashrrev_i32 v11, 31, v10
	v_lshl_add_u64 v[232:233], v[2:3], 3, v[66:67]
	s_delay_alu instid0(VALU_DEP_2) | instskip(NEXT) | instid1(VALU_DEP_3)
	v_add_nc_u32_e32 v32, s12, v30
	v_lshl_add_u64 v[236:237], v[10:11], 3, v[66:67]
	s_delay_alu instid0(VALU_DEP_2) | instskip(NEXT) | instid1(VALU_DEP_1)
	v_dual_add_nc_u32 v42, s12, v32 :: v_dual_ashrrev_i32 v31, 31, v30
	v_add_nc_u32_e32 v50, s12, v42
	s_delay_alu instid0(VALU_DEP_2) | instskip(NEXT) | instid1(VALU_DEP_2)
	v_lshl_add_u64 v[238:239], v[30:31], 3, v[66:67]
	v_add_nc_u32_e32 v52, s12, v50
	v_ashrrev_i32_e32 v27, 31, v26
	s_delay_alu instid0(VALU_DEP_2) | instskip(SKIP_1) | instid1(VALU_DEP_2)
	v_dual_ashrrev_i32 v43, 31, v42 :: v_dual_ashrrev_i32 v53, 31, v52
	v_dual_add_nc_u32 v68, s12, v52 :: v_dual_ashrrev_i32 v15, 31, v14
	v_lshl_add_u64 v[242:243], v[42:43], 3, v[66:67]
	v_ashrrev_i32_e32 v51, 31, v50
	s_delay_alu instid0(VALU_DEP_4) | instskip(NEXT) | instid1(VALU_DEP_4)
	v_lshl_add_u64 v[246:247], v[52:53], 3, v[66:67]
	v_dual_add_nc_u32 v28, s12, v68 :: v_dual_ashrrev_i32 v19, 31, v18
	v_lshl_add_u64 v[190:191], v[14:15], 3, v[66:67]
	v_ashrrev_i32_e32 v69, 31, v68
	v_lshl_add_u64 v[244:245], v[50:51], 3, v[66:67]
	s_delay_alu instid0(VALU_DEP_4)
	v_add_nc_u32_e32 v70, s12, v28
	v_ashrrev_i32_e32 v9, 31, v8
	v_lshl_add_u64 v[200:201], v[18:19], 3, v[66:67]
	v_lshl_add_u64 v[248:249], v[68:69], 3, v[66:67]
	;; [unrolled: 1-line block ×3, first 2 shown]
	v_add_nc_u32_e32 v12, s12, v70
	v_lshl_add_u64 v[208:209], v[8:9], 3, v[66:67]
	s_clause 0x7
	global_load_b64 v[26:27], v[204:205], off
	global_load_b64 v[22:23], v[184:185], off
	;; [unrolled: 1-line block ×8, first 2 shown]
	v_ashrrev_i32_e32 v29, 31, v28
	v_add_nc_u32_e32 v14, s12, v12
	v_ashrrev_i32_e32 v1, 31, v0
	v_ashrrev_i32_e32 v13, 31, v12
	s_delay_alu instid0(VALU_DEP_4) | instskip(NEXT) | instid1(VALU_DEP_4)
	v_lshl_add_u64 v[250:251], v[28:29], 3, v[66:67]
	v_add_nc_u32_e32 v8, s12, v14
	s_delay_alu instid0(VALU_DEP_4)
	v_lshl_add_u64 v[226:227], v[0:1], 3, v[66:67]
	v_ashrrev_i32_e32 v15, 31, v14
	s_clause 0x7
	global_load_b64 v[40:41], v[200:201], off
	global_load_b64 v[36:37], v[206:207], off
	;; [unrolled: 1-line block ×8, first 2 shown]
	v_dual_add_nc_u32 v0, s12, v8 :: v_dual_ashrrev_i32 v9, 31, v8
	v_lshl_add_u64 v[50:51], v[14:15], 3, v[66:67]
	v_lshl_add_u64 v[254:255], v[12:13], 3, v[66:67]
	s_delay_alu instid0(VALU_DEP_3) | instskip(NEXT) | instid1(VALU_DEP_4)
	v_add_nc_u32_e32 v4, s12, v0
	v_lshl_add_u64 v[8:9], v[8:9], 3, v[66:67]
	v_ashrrev_i32_e32 v1, 31, v0
	s_delay_alu instid0(VALU_DEP_3) | instskip(SKIP_1) | instid1(VALU_DEP_3)
	v_add_nc_u32_e32 v2, s12, v4
	v_ashrrev_i32_e32 v33, 31, v32
	v_lshl_add_u64 v[52:53], v[0:1], 3, v[66:67]
	s_delay_alu instid0(VALU_DEP_3) | instskip(NEXT) | instid1(VALU_DEP_3)
	v_add_nc_u32_e32 v6, s12, v2
	v_lshl_add_u64 v[240:241], v[32:33], 3, v[66:67]
	s_clause 0x3
	global_load_b64 v[80:81], v[238:239], off
	global_load_b64 v[76:77], v[240:241], off
	;; [unrolled: 1-line block ×4, first 2 shown]
	v_dual_add_nc_u32 v10, s12, v6 :: v_dual_ashrrev_i32 v5, 31, v4
	v_ashrrev_i32_e32 v3, 31, v2
	v_ashrrev_i32_e32 v7, 31, v6
	s_delay_alu instid0(VALU_DEP_3) | instskip(NEXT) | instid1(VALU_DEP_4)
	v_add_nc_u32_e32 v18, s12, v10
	v_lshl_add_u64 v[68:69], v[4:5], 3, v[66:67]
	v_ashrrev_i32_e32 v11, 31, v10
	s_delay_alu instid0(VALU_DEP_3) | instskip(NEXT) | instid1(VALU_DEP_2)
	v_add_nc_u32_e32 v30, s12, v18
	v_lshl_add_u64 v[10:11], v[10:11], 3, v[66:67]
	s_delay_alu instid0(VALU_DEP_2) | instskip(NEXT) | instid1(VALU_DEP_1)
	v_add_nc_u32_e32 v32, s12, v30
	v_dual_ashrrev_i32 v71, 31, v70 :: v_dual_add_nc_u32 v42, s12, v32
	s_delay_alu instid0(VALU_DEP_1)
	v_lshl_add_u64 v[252:253], v[70:71], 3, v[66:67]
	s_clause 0x5
	global_load_b64 v[98:99], v[246:247], off
	global_load_b64 v[94:95], v[248:249], off
	;; [unrolled: 1-line block ×6, first 2 shown]
	v_add_nc_u32_e32 v12, s12, v42
	v_ashrrev_i32_e32 v31, 31, v30
	s_clause 0x3
	scratch_store_b64 off, v[50:51], off
	scratch_store_b64 off, v[8:9], off offset:8
	scratch_store_b64 off, v[52:53], off offset:16
	;; [unrolled: 1-line block ×3, first 2 shown]
	v_dual_add_nc_u32 v28, s12, v12 :: v_dual_ashrrev_i32 v19, 31, v18
	v_ashrrev_i32_e32 v33, 31, v32
	v_ashrrev_i32_e32 v13, 31, v12
	v_lshl_add_u64 v[30:31], v[30:31], 3, v[66:67]
	s_delay_alu instid0(VALU_DEP_4)
	v_add_nc_u32_e32 v14, s12, v28
	v_lshl_add_u64 v[18:19], v[18:19], 3, v[66:67]
	v_lshl_add_u64 v[32:33], v[32:33], 3, v[66:67]
	s_clause 0x1
	global_load_b64 v[110:111], v[50:51], off
	global_load_b64 v[108:109], v[52:53], off
	v_add_nc_u32_e32 v0, s12, v14
	s_clause 0x1
	global_load_b64 v[146:147], v[18:19], off
	global_load_b64 v[144:145], v[32:33], off
	v_ashrrev_i32_e32 v43, 31, v42
	s_wait_xcnt 0x6
	v_lshl_add_u64 v[8:9], v[2:3], 3, v[66:67]
	v_add_nc_u32_e32 v4, s12, v0
	scratch_store_b64 off, v[30:31], off offset:64 ; 8-byte Folded Spill
	s_clause 0x2
	global_load_b64 v[142:143], v[30:31], off
	global_load_b64 v[130:131], v[68:69], off
	;; [unrolled: 1-line block ×3, first 2 shown]
	v_dual_add_nc_u32 v2, s12, v4 :: v_dual_ashrrev_i32 v15, 31, v14
	v_ashrrev_i32_e32 v1, 31, v0
	v_ashrrev_i32_e32 v5, 31, v4
	v_lshl_add_u64 v[42:43], v[42:43], 3, v[66:67]
	scratch_store_b64 off, v[32:33], off offset:72 ; 8-byte Folded Spill
	v_lshl_add_u64 v[14:15], v[14:15], 3, v[66:67]
	s_wait_xcnt 0x0
	v_lshl_add_u64 v[32:33], v[0:1], 3, v[66:67]
	s_clause 0x1
	global_load_b64 v[126:127], v[8:9], off
	global_load_b64 v[140:141], v[42:43], off
	v_lshl_add_u64 v[50:51], v[6:7], 3, v[66:67]
	v_add_nc_u32_e32 v6, s12, v2
	s_clause 0x3
	scratch_store_b64 off, v[8:9], off offset:32
	scratch_store_b64 off, v[10:11], off offset:48
	;; [unrolled: 1-line block ×4, first 2 shown]
	v_ashrrev_i32_e32 v29, 31, v28
	s_clause 0x1
	global_load_b64 v[156:157], v[32:33], off
	global_load_b64 v[160:161], v[14:15], off
	s_wait_xcnt 0x5
	v_add_nc_u32_e32 v8, s12, v6
	global_load_b64 v[128:129], v[50:51], off
	v_lshl_add_u64 v[30:31], v[28:29], 3, v[66:67]
	scratch_store_b64 off, v[42:43], off offset:80 ; 8-byte Folded Spill
	s_wait_xcnt 0x0
	v_lshl_add_u64 v[42:43], v[4:5], 3, v[66:67]
	v_dual_add_nc_u32 v10, s12, v8 :: v_dual_ashrrev_i32 v7, 31, v6
	v_ashrrev_i32_e32 v9, 31, v8
	scratch_store_b64 off, v[30:31], off offset:96 ; 8-byte Folded Spill
	global_load_b64 v[178:179], v[42:43], off
	v_lshl_add_u64 v[50:51], v[12:13], 3, v[66:67]
	v_add_nc_u32_e32 v12, s12, v10
	s_clause 0x3
	scratch_store_b64 off, v[14:15], off offset:104
	scratch_store_b64 off, v[32:33], off offset:112
	scratch_store_b64 off, v[42:43], off offset:120
	scratch_store_b64 off, v[50:51], off offset:88
	v_add_nc_u32_e32 v18, s12, v12
	global_load_b64 v[158:159], v[30:31], off
	v_lshl_add_u64 v[8:9], v[8:9], 3, v[66:67]
	global_load_b64 v[162:163], v[50:51], off
	v_dual_add_nc_u32 v28, s12, v18 :: v_dual_ashrrev_i32 v19, 31, v18
	global_load_b64 v[172:173], v[8:9], off
	v_dual_add_nc_u32 v0, s12, v28 :: v_dual_ashrrev_i32 v3, 31, v2
	v_ashrrev_i32_e32 v29, 31, v28
	s_delay_alu instid0(VALU_DEP_2) | instskip(SKIP_1) | instid1(VALU_DEP_3)
	v_dual_add_nc_u32 v4, s12, v0 :: v_dual_ashrrev_i32 v11, 31, v10
	s_wait_xcnt 0x6
	v_lshl_add_u64 v[14:15], v[2:3], 3, v[66:67]
	v_ashrrev_i32_e32 v1, 31, v0
	s_delay_alu instid0(VALU_DEP_3)
	v_add_nc_u32_e32 v2, s12, v4
	v_ashrrev_i32_e32 v13, 31, v12
	global_load_b64 v[174:175], v[14:15], off
	s_wait_xcnt 0x3
	v_lshl_add_u64 v[30:31], v[6:7], 3, v[66:67]
	v_lshl_add_u64 v[32:33], v[10:11], 3, v[66:67]
	v_add_nc_u32_e32 v6, s12, v2
	v_lshl_add_u64 v[12:13], v[12:13], 3, v[66:67]
	s_clause 0x3
	scratch_store_b64 off, v[14:15], off offset:128
	scratch_store_b64 off, v[30:31], off offset:136
	;; [unrolled: 1-line block ×4, first 2 shown]
	global_load_b64 v[194:195], v[12:13], off
	s_wait_xcnt 0x2
	v_add_nc_u32_e32 v8, s12, v6
	v_lshl_add_u64 v[14:15], v[18:19], 3, v[66:67]
	v_lshl_add_u64 v[18:19], v[28:29], 3, v[66:67]
	;; [unrolled: 1-line block ×3, first 2 shown]
	s_delay_alu instid0(VALU_DEP_4)
	v_dual_ashrrev_i32 v3, 31, v2 :: v_dual_add_nc_u32 v10, s12, v8
	v_ashrrev_i32_e32 v5, 31, v4
	s_clause 0x3
	scratch_store_b64 off, v[12:13], off offset:160
	scratch_store_b64 off, v[14:15], off offset:168
	;; [unrolled: 1-line block ×4, first 2 shown]
	v_add_nc_u32_e32 v0, s12, v10
	s_wait_xcnt 0x3
	v_lshl_add_u64 v[12:13], v[2:3], 3, v[66:67]
	v_dual_ashrrev_i32 v7, 31, v6 :: v_dual_ashrrev_i32 v9, 31, v8
	s_delay_alu instid0(VALU_DEP_3)
	v_dual_ashrrev_i32 v11, 31, v10 :: v_dual_add_nc_u32 v2, s12, v0
	v_ashrrev_i32_e32 v1, 31, v0
	s_clause 0x2
	global_load_b64 v[196:197], v[14:15], off
	global_load_b64 v[192:193], v[18:19], off
	;; [unrolled: 1-line block ×3, first 2 shown]
	v_ashrrev_i32_e32 v3, 31, v2
	v_lshl_add_u64 v[4:5], v[4:5], 3, v[66:67]
	v_lshl_add_u64 v[6:7], v[6:7], 3, v[66:67]
	;; [unrolled: 1-line block ×4, first 2 shown]
	s_wait_xcnt 0x2
	v_lshl_add_u64 v[14:15], v[0:1], 3, v[66:67]
	v_lshl_add_u64 v[0:1], v[2:3], 3, v[66:67]
	s_clause 0x8
	global_load_b64 v[176:177], v[30:31], off
	global_load_b64 v[198:199], v[32:33], off
	;; [unrolled: 1-line block ×9, first 2 shown]
	s_clause 0x3
	scratch_store_b64 off, v[4:5], off offset:192
	scratch_store_b64 off, v[12:13], off offset:200
	;; [unrolled: 1-line block ×4, first 2 shown]
	s_wait_xcnt 0x0
	v_lshlrev_b32_e32 v0, 3, v48
	s_clause 0x2
	scratch_store_b64 off, v[8:9], off offset:224
	scratch_store_b64 off, v[10:11], off offset:232
	scratch_store_b64 off, v[14:15], off offset:240
	v_add3_u32 v167, 0, s14, v0
	s_wait_xcnt 0x0
	s_and_saveexec_b32 s4, s0
	s_cbranch_execz .LBB111_8
; %bb.2:
	s_wait_loadcnt 0x33
	ds_store_b64 v167, v[54:55]
	s_wait_loadcnt 0x31
	ds_store_2addr_b64 v168, v[56:57], v[46:47] offset0:1 offset1:2
	s_wait_loadcnt 0x30
	ds_store_2addr_b64 v168, v[44:45], v[26:27] offset0:3 offset1:4
	ds_store_2addr_b64 v168, v[22:23], v[24:25] offset0:5 offset1:6
	s_wait_loadcnt 0x2f
	ds_store_2addr_b64 v168, v[20:21], v[40:41] offset0:7 offset1:8
	s_wait_loadcnt 0x2d
	;; [unrolled: 2-line block ×9, first 2 shown]
	ds_store_2addr_b64 v168, v[92:93], v[114:115] offset0:23 offset1:24
	ds_store_2addr_b64 v168, v[110:111], v[112:113] offset0:25 offset1:26
	ds_store_2addr_b64 v168, v[108:109], v[130:131] offset0:27 offset1:28
	s_wait_loadcnt 0x12
	ds_store_2addr_b64 v168, v[126:127], v[128:129] offset0:29 offset1:30
	ds_store_2addr_b64 v168, v[124:125], v[146:147] offset0:31 offset1:32
	ds_store_2addr_b64 v168, v[142:143], v[144:145] offset0:33 offset1:34
	s_wait_loadcnt 0xf
	ds_store_2addr_b64 v168, v[140:141], v[162:163] offset0:35 offset1:36
	ds_store_2addr_b64 v168, v[158:159], v[160:161] offset0:37 offset1:38
	ds_store_2addr_b64 v168, v[156:157], v[178:179] offset0:39 offset1:40
	s_wait_loadcnt 0x8
	ds_store_2addr_b64 v168, v[174:175], v[176:177] offset0:41 offset1:42
	s_wait_loadcnt 0x7
	ds_store_2addr_b64 v168, v[172:173], v[198:199] offset0:43 offset1:44
	ds_store_2addr_b64 v168, v[194:195], v[196:197] offset0:45 offset1:46
	s_wait_loadcnt 0x6
	ds_store_2addr_b64 v168, v[192:193], v[220:221] offset0:47 offset1:48
	s_wait_loadcnt 0x4
	;; [unrolled: 2-line block ×4, first 2 shown]
	ds_store_2addr_b64 v168, v[210:211], v[222:223] offset0:53 offset1:54
	ds_store_b64 v168, v[224:225] offset:440
	ds_load_b64 v[0:1], v167
	s_wait_dscnt 0x0
	v_cmp_neq_f32_e32 vcc_lo, 0, v0
	v_cmp_neq_f32_e64 s2, 0, v1
	s_or_b32 s2, vcc_lo, s2
	s_delay_alu instid0(SALU_CYCLE_1)
	s_and_b32 exec_lo, exec_lo, s2
	s_cbranch_execz .LBB111_8
; %bb.3:
	v_cmp_ngt_f32_e64 s2, |v0|, |v1|
                                        ; implicit-def: $vgpr2_vgpr3
	s_and_saveexec_b32 s5, s2
	s_delay_alu instid0(SALU_CYCLE_1)
	s_xor_b32 s2, exec_lo, s5
	s_cbranch_execz .LBB111_5
; %bb.4:
	v_div_scale_f32 v2, null, v1, v1, v0
	v_div_scale_f32 v5, vcc_lo, v0, v1, v0
	s_delay_alu instid0(VALU_DEP_2) | instskip(SKIP_1) | instid1(TRANS32_DEP_1)
	v_rcp_f32_e32 v3, v2
	v_nop
	v_fma_f32 v4, -v2, v3, 1.0
	s_delay_alu instid0(VALU_DEP_1) | instskip(NEXT) | instid1(VALU_DEP_1)
	v_fmac_f32_e32 v3, v4, v3
	v_mul_f32_e32 v4, v5, v3
	s_delay_alu instid0(VALU_DEP_1) | instskip(NEXT) | instid1(VALU_DEP_1)
	v_fma_f32 v6, -v2, v4, v5
	v_fmac_f32_e32 v4, v6, v3
	s_delay_alu instid0(VALU_DEP_1) | instskip(NEXT) | instid1(VALU_DEP_1)
	v_fma_f32 v2, -v2, v4, v5
	v_div_fmas_f32 v2, v2, v3, v4
	s_delay_alu instid0(VALU_DEP_1) | instskip(NEXT) | instid1(VALU_DEP_1)
	v_div_fixup_f32 v2, v2, v1, v0
	v_fmac_f32_e32 v1, v0, v2
	s_delay_alu instid0(VALU_DEP_1) | instskip(SKIP_1) | instid1(VALU_DEP_2)
	v_div_scale_f32 v0, null, v1, v1, 1.0
	v_div_scale_f32 v5, vcc_lo, 1.0, v1, 1.0
	v_rcp_f32_e32 v3, v0
	v_nop
	s_delay_alu instid0(TRANS32_DEP_1) | instskip(NEXT) | instid1(VALU_DEP_1)
	v_fma_f32 v4, -v0, v3, 1.0
	v_fmac_f32_e32 v3, v4, v3
	s_delay_alu instid0(VALU_DEP_1) | instskip(NEXT) | instid1(VALU_DEP_1)
	v_mul_f32_e32 v4, v5, v3
	v_fma_f32 v6, -v0, v4, v5
	s_delay_alu instid0(VALU_DEP_1) | instskip(NEXT) | instid1(VALU_DEP_1)
	v_fmac_f32_e32 v4, v6, v3
	v_fma_f32 v0, -v0, v4, v5
	s_delay_alu instid0(VALU_DEP_1) | instskip(NEXT) | instid1(VALU_DEP_1)
	v_div_fmas_f32 v0, v0, v3, v4
	v_div_fixup_f32 v0, v0, v1, 1.0
	s_delay_alu instid0(VALU_DEP_1)
	v_mul_f32_e32 v2, v2, v0
	v_xor_b32_e32 v3, 0x80000000, v0
                                        ; implicit-def: $vgpr0_vgpr1
.LBB111_5:
	s_and_not1_saveexec_b32 s2, s2
	s_cbranch_execz .LBB111_7
; %bb.6:
	v_div_scale_f32 v2, null, v0, v0, v1
	v_div_scale_f32 v5, vcc_lo, v1, v0, v1
	s_delay_alu instid0(VALU_DEP_2) | instskip(SKIP_1) | instid1(TRANS32_DEP_1)
	v_rcp_f32_e32 v3, v2
	v_nop
	v_fma_f32 v4, -v2, v3, 1.0
	s_delay_alu instid0(VALU_DEP_1) | instskip(NEXT) | instid1(VALU_DEP_1)
	v_fmac_f32_e32 v3, v4, v3
	v_mul_f32_e32 v4, v5, v3
	s_delay_alu instid0(VALU_DEP_1) | instskip(NEXT) | instid1(VALU_DEP_1)
	v_fma_f32 v6, -v2, v4, v5
	v_fmac_f32_e32 v4, v6, v3
	s_delay_alu instid0(VALU_DEP_1) | instskip(NEXT) | instid1(VALU_DEP_1)
	v_fma_f32 v2, -v2, v4, v5
	v_div_fmas_f32 v2, v2, v3, v4
	s_delay_alu instid0(VALU_DEP_1) | instskip(NEXT) | instid1(VALU_DEP_1)
	v_div_fixup_f32 v3, v2, v0, v1
	v_fmac_f32_e32 v0, v1, v3
	s_delay_alu instid0(VALU_DEP_1) | instskip(NEXT) | instid1(VALU_DEP_1)
	v_div_scale_f32 v1, null, v0, v0, 1.0
	v_rcp_f32_e32 v2, v1
	v_nop
	s_delay_alu instid0(TRANS32_DEP_1) | instskip(NEXT) | instid1(VALU_DEP_1)
	v_fma_f32 v4, -v1, v2, 1.0
	v_fmac_f32_e32 v2, v4, v2
	v_div_scale_f32 v4, vcc_lo, 1.0, v0, 1.0
	s_delay_alu instid0(VALU_DEP_1) | instskip(NEXT) | instid1(VALU_DEP_1)
	v_mul_f32_e32 v5, v4, v2
	v_fma_f32 v6, -v1, v5, v4
	s_delay_alu instid0(VALU_DEP_1) | instskip(NEXT) | instid1(VALU_DEP_1)
	v_fmac_f32_e32 v5, v6, v2
	v_fma_f32 v1, -v1, v5, v4
	s_delay_alu instid0(VALU_DEP_1) | instskip(NEXT) | instid1(VALU_DEP_1)
	v_div_fmas_f32 v1, v1, v2, v5
	v_div_fixup_f32 v2, v1, v0, 1.0
	s_delay_alu instid0(VALU_DEP_1)
	v_mul_f32_e64 v3, v3, -v2
.LBB111_7:
	s_or_b32 exec_lo, exec_lo, s2
	ds_store_b64 v167, v[2:3]
.LBB111_8:
	s_or_b32 exec_lo, exec_lo, s4
	s_wait_storecnt 0x0
	s_wait_loadcnt_dscnt 0x0
	s_barrier_signal -1
	s_barrier_wait -1
	ds_load_b64 v[0:1], v167
	s_wait_dscnt 0x0
	scratch_store_b64 off, v[0:1], off offset:248 ; 8-byte Folded Spill
	s_wait_xcnt 0x0
	s_and_saveexec_b32 s2, s1
	s_cbranch_execz .LBB111_10
; %bb.9:
	scratch_load_b64 v[4:5], off, off offset:248 ; 8-byte Folded Reload
	s_wait_loadcnt 0x0
	v_pk_mul_f32 v[2:3], v[4:5], v[54:55] op_sel:[1,1] op_sel_hi:[0,1]
	s_delay_alu instid0(VALU_DEP_1)
	v_pk_fma_f32 v[0:1], v[4:5], v[54:55], v[2:3] op_sel_hi:[1,0,1] neg_lo:[0,0,1] neg_hi:[0,0,1]
	v_pk_fma_f32 v[2:3], v[4:5], v[54:55], v[2:3] op_sel_hi:[1,0,1]
	ds_load_2addr_b64 v[4:7], v168 offset0:1 offset1:2
	v_dual_mov_b32 v54, v0 :: v_dual_mov_b32 v55, v3
	s_wait_dscnt 0x0
	v_pk_mul_f32 v[8:9], v[4:5], v[2:3] op_sel:[0,1]
	s_delay_alu instid0(VALU_DEP_1) | instskip(SKIP_1) | instid1(VALU_DEP_1)
	v_pk_fma_f32 v[10:11], v[4:5], v[0:1], v[8:9] op_sel:[0,0,1] op_sel_hi:[1,1,0] neg_lo:[0,0,1] neg_hi:[0,0,1]
	v_pk_fma_f32 v[4:5], v[4:5], v[0:1], v[8:9] op_sel:[0,0,1] op_sel_hi:[1,0,0]
	v_mov_b32_e32 v11, v5
	v_pk_mul_f32 v[4:5], v[6:7], v[2:3] op_sel:[0,1]
	s_delay_alu instid0(VALU_DEP_1) | instskip(SKIP_1) | instid1(VALU_DEP_1)
	v_pk_fma_f32 v[8:9], v[6:7], v[0:1], v[4:5] op_sel:[0,0,1] op_sel_hi:[1,1,0] neg_lo:[0,0,1] neg_hi:[0,0,1]
	v_pk_fma_f32 v[4:5], v[6:7], v[0:1], v[4:5] op_sel:[0,0,1] op_sel_hi:[1,0,0]
	v_mov_b32_e32 v9, v5
	ds_load_2addr_b64 v[4:7], v168 offset0:3 offset1:4
	v_pk_add_f32 v[56:57], v[56:57], v[10:11] neg_lo:[0,1] neg_hi:[0,1]
	v_pk_add_f32 v[46:47], v[46:47], v[8:9] neg_lo:[0,1] neg_hi:[0,1]
	s_wait_dscnt 0x0
	v_pk_mul_f32 v[8:9], v[4:5], v[2:3] op_sel:[0,1]
	s_delay_alu instid0(VALU_DEP_1) | instskip(SKIP_2) | instid1(VALU_DEP_2)
	v_pk_fma_f32 v[10:11], v[4:5], v[0:1], v[8:9] op_sel:[0,0,1] op_sel_hi:[1,1,0] neg_lo:[0,0,1] neg_hi:[0,0,1]
	v_pk_fma_f32 v[4:5], v[4:5], v[0:1], v[8:9] op_sel:[0,0,1] op_sel_hi:[1,0,0]
	v_dual_mul_f32 v8, v7, v3 :: v_dual_mov_b32 v4, v7
	v_dual_mov_b32 v11, v5 :: v_dual_mov_b32 v5, v6
	s_delay_alu instid0(VALU_DEP_2) | instskip(SKIP_1) | instid1(VALU_DEP_3)
	v_pk_fma_f32 v[8:9], v[6:7], v[54:55], v[8:9] op_sel_hi:[1,1,0] neg_lo:[0,0,1] neg_hi:[0,0,1]
	v_mul_f32_e32 v6, v7, v0
	v_pk_add_f32 v[44:45], v[44:45], v[10:11] neg_lo:[0,1] neg_hi:[0,1]
	s_delay_alu instid0(VALU_DEP_2) | instskip(NEXT) | instid1(VALU_DEP_1)
	v_pk_fma_f32 v[4:5], v[4:5], v[54:55], v[6:7] op_sel_hi:[1,1,0]
	v_mov_b32_e32 v9, v5
	ds_load_2addr_b64 v[4:7], v168 offset0:5 offset1:6
	v_pk_add_f32 v[26:27], v[26:27], v[8:9] neg_lo:[0,1] neg_hi:[0,1]
	s_wait_dscnt 0x0
	v_pk_mul_f32 v[8:9], v[4:5], v[2:3] op_sel:[0,1]
	s_delay_alu instid0(VALU_DEP_1) | instskip(SKIP_1) | instid1(VALU_DEP_1)
	v_pk_fma_f32 v[10:11], v[4:5], v[0:1], v[8:9] op_sel:[0,0,1] op_sel_hi:[1,1,0] neg_lo:[0,0,1] neg_hi:[0,0,1]
	v_pk_fma_f32 v[4:5], v[4:5], v[0:1], v[8:9] op_sel:[0,0,1] op_sel_hi:[1,0,0]
	v_mov_b32_e32 v11, v5
	v_pk_mul_f32 v[4:5], v[6:7], v[2:3] op_sel:[0,1]
	s_delay_alu instid0(VALU_DEP_1) | instskip(SKIP_1) | instid1(VALU_DEP_1)
	v_pk_fma_f32 v[8:9], v[6:7], v[0:1], v[4:5] op_sel:[0,0,1] op_sel_hi:[1,1,0] neg_lo:[0,0,1] neg_hi:[0,0,1]
	v_pk_fma_f32 v[4:5], v[6:7], v[0:1], v[4:5] op_sel:[0,0,1] op_sel_hi:[1,0,0]
	v_mov_b32_e32 v9, v5
	ds_load_2addr_b64 v[4:7], v168 offset0:7 offset1:8
	v_pk_add_f32 v[22:23], v[22:23], v[10:11] neg_lo:[0,1] neg_hi:[0,1]
	v_pk_add_f32 v[24:25], v[24:25], v[8:9] neg_lo:[0,1] neg_hi:[0,1]
	s_wait_dscnt 0x0
	v_pk_mul_f32 v[8:9], v[4:5], v[2:3] op_sel:[0,1]
	s_delay_alu instid0(VALU_DEP_1) | instskip(SKIP_1) | instid1(VALU_DEP_1)
	v_pk_fma_f32 v[10:11], v[4:5], v[0:1], v[8:9] op_sel:[0,0,1] op_sel_hi:[1,1,0] neg_lo:[0,0,1] neg_hi:[0,0,1]
	v_pk_fma_f32 v[4:5], v[4:5], v[0:1], v[8:9] op_sel:[0,0,1] op_sel_hi:[1,0,0]
	v_mov_b32_e32 v11, v5
	v_pk_mul_f32 v[4:5], v[6:7], v[2:3] op_sel:[0,1]
	s_delay_alu instid0(VALU_DEP_1) | instskip(SKIP_1) | instid1(VALU_DEP_1)
	v_pk_fma_f32 v[8:9], v[6:7], v[0:1], v[4:5] op_sel:[0,0,1] op_sel_hi:[1,1,0] neg_lo:[0,0,1] neg_hi:[0,0,1]
	v_pk_fma_f32 v[4:5], v[6:7], v[0:1], v[4:5] op_sel:[0,0,1] op_sel_hi:[1,0,0]
	v_mov_b32_e32 v9, v5
	ds_load_2addr_b64 v[4:7], v168 offset0:9 offset1:10
	v_pk_add_f32 v[20:21], v[20:21], v[10:11] neg_lo:[0,1] neg_hi:[0,1]
	v_pk_add_f32 v[40:41], v[40:41], v[8:9] neg_lo:[0,1] neg_hi:[0,1]
	s_wait_dscnt 0x0
	v_dual_mul_f32 v8, v5, v3 :: v_dual_mul_f32 v10, v5, v0
	s_delay_alu instid0(VALU_DEP_1) | instskip(NEXT) | instid1(VALU_DEP_2)
	v_pk_fma_f32 v[8:9], v[4:5], v[54:55], v[8:9] op_sel_hi:[1,1,0] neg_lo:[0,0,1] neg_hi:[0,0,1]
	v_pk_fma_f32 v[4:5], v[4:5], v[54:55], v[10:11] op_sel:[1,0,0] op_sel_hi:[0,1,0]
	s_delay_alu instid0(VALU_DEP_1) | instskip(SKIP_1) | instid1(VALU_DEP_2)
	v_mov_b32_e32 v9, v5
	v_pk_mul_f32 v[4:5], v[6:7], v[2:3] op_sel:[0,1]
	v_pk_add_f32 v[36:37], v[36:37], v[8:9] neg_lo:[0,1] neg_hi:[0,1]
	s_delay_alu instid0(VALU_DEP_2) | instskip(SKIP_1) | instid1(VALU_DEP_1)
	v_pk_fma_f32 v[8:9], v[6:7], v[0:1], v[4:5] op_sel:[0,0,1] op_sel_hi:[1,1,0] neg_lo:[0,0,1] neg_hi:[0,0,1]
	v_pk_fma_f32 v[4:5], v[6:7], v[0:1], v[4:5] op_sel:[0,0,1] op_sel_hi:[1,0,0]
	v_mov_b32_e32 v9, v5
	ds_load_2addr_b64 v[4:7], v168 offset0:11 offset1:12
	v_pk_add_f32 v[38:39], v[38:39], v[8:9] neg_lo:[0,1] neg_hi:[0,1]
	s_wait_dscnt 0x0
	v_pk_mul_f32 v[8:9], v[4:5], v[2:3] op_sel:[0,1]
	s_delay_alu instid0(VALU_DEP_1) | instskip(SKIP_1) | instid1(VALU_DEP_1)
	v_pk_fma_f32 v[10:11], v[4:5], v[0:1], v[8:9] op_sel:[0,0,1] op_sel_hi:[1,1,0] neg_lo:[0,0,1] neg_hi:[0,0,1]
	v_pk_fma_f32 v[4:5], v[4:5], v[0:1], v[8:9] op_sel:[0,0,1] op_sel_hi:[1,0,0]
	v_mov_b32_e32 v11, v5
	v_pk_mul_f32 v[4:5], v[6:7], v[2:3] op_sel:[0,1]
	s_delay_alu instid0(VALU_DEP_2) | instskip(NEXT) | instid1(VALU_DEP_2)
	v_pk_add_f32 v[34:35], v[34:35], v[10:11] neg_lo:[0,1] neg_hi:[0,1]
	v_pk_fma_f32 v[8:9], v[6:7], v[0:1], v[4:5] op_sel:[0,0,1] op_sel_hi:[1,1,0] neg_lo:[0,0,1] neg_hi:[0,0,1]
	v_pk_fma_f32 v[4:5], v[6:7], v[0:1], v[4:5] op_sel:[0,0,1] op_sel_hi:[1,0,0]
	s_delay_alu instid0(VALU_DEP_1) | instskip(SKIP_4) | instid1(VALU_DEP_1)
	v_mov_b32_e32 v9, v5
	ds_load_2addr_b64 v[4:7], v168 offset0:13 offset1:14
	v_pk_add_f32 v[64:65], v[64:65], v[8:9] neg_lo:[0,1] neg_hi:[0,1]
	s_wait_dscnt 0x0
	v_pk_mul_f32 v[8:9], v[4:5], v[2:3] op_sel:[0,1]
	v_pk_fma_f32 v[10:11], v[4:5], v[0:1], v[8:9] op_sel:[0,0,1] op_sel_hi:[1,1,0] neg_lo:[0,0,1] neg_hi:[0,0,1]
	v_pk_fma_f32 v[4:5], v[4:5], v[0:1], v[8:9] op_sel:[0,0,1] op_sel_hi:[1,0,0]
	v_dual_mul_f32 v8, v7, v3 :: v_dual_mov_b32 v4, v7
	s_delay_alu instid0(VALU_DEP_2) | instskip(NEXT) | instid1(VALU_DEP_2)
	v_dual_mov_b32 v11, v5 :: v_dual_mov_b32 v5, v6
	v_pk_fma_f32 v[8:9], v[6:7], v[54:55], v[8:9] op_sel_hi:[1,1,0] neg_lo:[0,0,1] neg_hi:[0,0,1]
	v_mul_f32_e32 v6, v7, v0
	s_delay_alu instid0(VALU_DEP_3) | instskip(NEXT) | instid1(VALU_DEP_2)
	v_pk_add_f32 v[60:61], v[60:61], v[10:11] neg_lo:[0,1] neg_hi:[0,1]
	v_pk_fma_f32 v[4:5], v[4:5], v[54:55], v[6:7] op_sel_hi:[1,1,0]
	s_delay_alu instid0(VALU_DEP_1) | instskip(SKIP_4) | instid1(VALU_DEP_1)
	v_mov_b32_e32 v9, v5
	ds_load_2addr_b64 v[4:7], v168 offset0:15 offset1:16
	v_pk_add_f32 v[62:63], v[62:63], v[8:9] neg_lo:[0,1] neg_hi:[0,1]
	s_wait_dscnt 0x0
	v_pk_mul_f32 v[8:9], v[4:5], v[2:3] op_sel:[0,1]
	v_pk_fma_f32 v[10:11], v[4:5], v[0:1], v[8:9] op_sel:[0,0,1] op_sel_hi:[1,1,0] neg_lo:[0,0,1] neg_hi:[0,0,1]
	v_pk_fma_f32 v[4:5], v[4:5], v[0:1], v[8:9] op_sel:[0,0,1] op_sel_hi:[1,0,0]
	s_delay_alu instid0(VALU_DEP_1) | instskip(SKIP_1) | instid1(VALU_DEP_1)
	v_mov_b32_e32 v11, v5
	v_pk_mul_f32 v[4:5], v[6:7], v[2:3] op_sel:[0,1]
	v_pk_fma_f32 v[8:9], v[6:7], v[0:1], v[4:5] op_sel:[0,0,1] op_sel_hi:[1,1,0] neg_lo:[0,0,1] neg_hi:[0,0,1]
	v_pk_fma_f32 v[4:5], v[6:7], v[0:1], v[4:5] op_sel:[0,0,1] op_sel_hi:[1,0,0]
	s_delay_alu instid0(VALU_DEP_1)
	v_mov_b32_e32 v9, v5
	ds_load_2addr_b64 v[4:7], v168 offset0:17 offset1:18
	v_pk_add_f32 v[58:59], v[58:59], v[10:11] neg_lo:[0,1] neg_hi:[0,1]
	v_pk_add_f32 v[80:81], v[80:81], v[8:9] neg_lo:[0,1] neg_hi:[0,1]
	s_wait_dscnt 0x0
	v_pk_mul_f32 v[8:9], v[4:5], v[2:3] op_sel:[0,1]
	s_delay_alu instid0(VALU_DEP_1) | instskip(SKIP_1) | instid1(VALU_DEP_1)
	v_pk_fma_f32 v[10:11], v[4:5], v[0:1], v[8:9] op_sel:[0,0,1] op_sel_hi:[1,1,0] neg_lo:[0,0,1] neg_hi:[0,0,1]
	v_pk_fma_f32 v[4:5], v[4:5], v[0:1], v[8:9] op_sel:[0,0,1] op_sel_hi:[1,0,0]
	v_mov_b32_e32 v11, v5
	v_pk_mul_f32 v[4:5], v[6:7], v[2:3] op_sel:[0,1]
	s_delay_alu instid0(VALU_DEP_1) | instskip(SKIP_1) | instid1(VALU_DEP_1)
	v_pk_fma_f32 v[8:9], v[6:7], v[0:1], v[4:5] op_sel:[0,0,1] op_sel_hi:[1,1,0] neg_lo:[0,0,1] neg_hi:[0,0,1]
	v_pk_fma_f32 v[4:5], v[6:7], v[0:1], v[4:5] op_sel:[0,0,1] op_sel_hi:[1,0,0]
	v_mov_b32_e32 v9, v5
	ds_load_2addr_b64 v[4:7], v168 offset0:19 offset1:20
	v_pk_add_f32 v[76:77], v[76:77], v[10:11] neg_lo:[0,1] neg_hi:[0,1]
	v_pk_add_f32 v[78:79], v[78:79], v[8:9] neg_lo:[0,1] neg_hi:[0,1]
	s_wait_dscnt 0x0
	v_dual_mul_f32 v8, v5, v3 :: v_dual_mul_f32 v10, v5, v0
	s_delay_alu instid0(VALU_DEP_1) | instskip(NEXT) | instid1(VALU_DEP_2)
	v_pk_fma_f32 v[8:9], v[4:5], v[54:55], v[8:9] op_sel_hi:[1,1,0] neg_lo:[0,0,1] neg_hi:[0,0,1]
	v_pk_fma_f32 v[4:5], v[4:5], v[54:55], v[10:11] op_sel:[1,0,0] op_sel_hi:[0,1,0]
	s_delay_alu instid0(VALU_DEP_1) | instskip(SKIP_1) | instid1(VALU_DEP_2)
	v_mov_b32_e32 v9, v5
	v_pk_mul_f32 v[4:5], v[6:7], v[2:3] op_sel:[0,1]
	v_pk_add_f32 v[74:75], v[74:75], v[8:9] neg_lo:[0,1] neg_hi:[0,1]
	s_delay_alu instid0(VALU_DEP_2) | instskip(SKIP_1) | instid1(VALU_DEP_1)
	v_pk_fma_f32 v[8:9], v[6:7], v[0:1], v[4:5] op_sel:[0,0,1] op_sel_hi:[1,1,0] neg_lo:[0,0,1] neg_hi:[0,0,1]
	v_pk_fma_f32 v[4:5], v[6:7], v[0:1], v[4:5] op_sel:[0,0,1] op_sel_hi:[1,0,0]
	v_mov_b32_e32 v9, v5
	ds_load_2addr_b64 v[4:7], v168 offset0:21 offset1:22
	v_pk_add_f32 v[98:99], v[98:99], v[8:9] neg_lo:[0,1] neg_hi:[0,1]
	s_wait_dscnt 0x0
	v_pk_mul_f32 v[8:9], v[4:5], v[2:3] op_sel:[0,1]
	s_delay_alu instid0(VALU_DEP_1) | instskip(SKIP_1) | instid1(VALU_DEP_1)
	v_pk_fma_f32 v[10:11], v[4:5], v[0:1], v[8:9] op_sel:[0,0,1] op_sel_hi:[1,1,0] neg_lo:[0,0,1] neg_hi:[0,0,1]
	v_pk_fma_f32 v[4:5], v[4:5], v[0:1], v[8:9] op_sel:[0,0,1] op_sel_hi:[1,0,0]
	v_mov_b32_e32 v11, v5
	v_pk_mul_f32 v[4:5], v[6:7], v[2:3] op_sel:[0,1]
	s_delay_alu instid0(VALU_DEP_2) | instskip(NEXT) | instid1(VALU_DEP_2)
	v_pk_add_f32 v[94:95], v[94:95], v[10:11] neg_lo:[0,1] neg_hi:[0,1]
	v_pk_fma_f32 v[8:9], v[6:7], v[0:1], v[4:5] op_sel:[0,0,1] op_sel_hi:[1,1,0] neg_lo:[0,0,1] neg_hi:[0,0,1]
	v_pk_fma_f32 v[4:5], v[6:7], v[0:1], v[4:5] op_sel:[0,0,1] op_sel_hi:[1,0,0]
	s_delay_alu instid0(VALU_DEP_1) | instskip(SKIP_4) | instid1(VALU_DEP_1)
	v_mov_b32_e32 v9, v5
	ds_load_2addr_b64 v[4:7], v168 offset0:23 offset1:24
	v_pk_add_f32 v[96:97], v[96:97], v[8:9] neg_lo:[0,1] neg_hi:[0,1]
	s_wait_dscnt 0x0
	v_pk_mul_f32 v[8:9], v[4:5], v[2:3] op_sel:[0,1]
	v_pk_fma_f32 v[10:11], v[4:5], v[0:1], v[8:9] op_sel:[0,0,1] op_sel_hi:[1,1,0] neg_lo:[0,0,1] neg_hi:[0,0,1]
	v_pk_fma_f32 v[4:5], v[4:5], v[0:1], v[8:9] op_sel:[0,0,1] op_sel_hi:[1,0,0]
	v_dual_mul_f32 v8, v7, v3 :: v_dual_mov_b32 v4, v7
	s_delay_alu instid0(VALU_DEP_2) | instskip(NEXT) | instid1(VALU_DEP_2)
	v_dual_mov_b32 v11, v5 :: v_dual_mov_b32 v5, v6
	v_pk_fma_f32 v[8:9], v[6:7], v[54:55], v[8:9] op_sel_hi:[1,1,0] neg_lo:[0,0,1] neg_hi:[0,0,1]
	v_mul_f32_e32 v6, v7, v0
	s_delay_alu instid0(VALU_DEP_3) | instskip(NEXT) | instid1(VALU_DEP_2)
	v_pk_add_f32 v[92:93], v[92:93], v[10:11] neg_lo:[0,1] neg_hi:[0,1]
	v_pk_fma_f32 v[4:5], v[4:5], v[54:55], v[6:7] op_sel_hi:[1,1,0]
	s_delay_alu instid0(VALU_DEP_1) | instskip(SKIP_4) | instid1(VALU_DEP_1)
	v_mov_b32_e32 v9, v5
	ds_load_2addr_b64 v[4:7], v168 offset0:25 offset1:26
	v_pk_add_f32 v[114:115], v[114:115], v[8:9] neg_lo:[0,1] neg_hi:[0,1]
	s_wait_dscnt 0x0
	v_pk_mul_f32 v[8:9], v[4:5], v[2:3] op_sel:[0,1]
	v_pk_fma_f32 v[10:11], v[4:5], v[0:1], v[8:9] op_sel:[0,0,1] op_sel_hi:[1,1,0] neg_lo:[0,0,1] neg_hi:[0,0,1]
	v_pk_fma_f32 v[4:5], v[4:5], v[0:1], v[8:9] op_sel:[0,0,1] op_sel_hi:[1,0,0]
	s_delay_alu instid0(VALU_DEP_1) | instskip(SKIP_1) | instid1(VALU_DEP_1)
	v_mov_b32_e32 v11, v5
	v_pk_mul_f32 v[4:5], v[6:7], v[2:3] op_sel:[0,1]
	v_pk_fma_f32 v[8:9], v[6:7], v[0:1], v[4:5] op_sel:[0,0,1] op_sel_hi:[1,1,0] neg_lo:[0,0,1] neg_hi:[0,0,1]
	v_pk_fma_f32 v[4:5], v[6:7], v[0:1], v[4:5] op_sel:[0,0,1] op_sel_hi:[1,0,0]
	s_delay_alu instid0(VALU_DEP_1)
	v_mov_b32_e32 v9, v5
	ds_load_2addr_b64 v[4:7], v168 offset0:27 offset1:28
	v_pk_add_f32 v[110:111], v[110:111], v[10:11] neg_lo:[0,1] neg_hi:[0,1]
	v_pk_add_f32 v[112:113], v[112:113], v[8:9] neg_lo:[0,1] neg_hi:[0,1]
	s_wait_dscnt 0x0
	v_pk_mul_f32 v[8:9], v[4:5], v[2:3] op_sel:[0,1]
	s_delay_alu instid0(VALU_DEP_1) | instskip(SKIP_1) | instid1(VALU_DEP_1)
	v_pk_fma_f32 v[10:11], v[4:5], v[0:1], v[8:9] op_sel:[0,0,1] op_sel_hi:[1,1,0] neg_lo:[0,0,1] neg_hi:[0,0,1]
	v_pk_fma_f32 v[4:5], v[4:5], v[0:1], v[8:9] op_sel:[0,0,1] op_sel_hi:[1,0,0]
	v_mov_b32_e32 v11, v5
	v_pk_mul_f32 v[4:5], v[6:7], v[2:3] op_sel:[0,1]
	s_delay_alu instid0(VALU_DEP_1) | instskip(SKIP_1) | instid1(VALU_DEP_1)
	v_pk_fma_f32 v[8:9], v[6:7], v[0:1], v[4:5] op_sel:[0,0,1] op_sel_hi:[1,1,0] neg_lo:[0,0,1] neg_hi:[0,0,1]
	v_pk_fma_f32 v[4:5], v[6:7], v[0:1], v[4:5] op_sel:[0,0,1] op_sel_hi:[1,0,0]
	v_mov_b32_e32 v9, v5
	ds_load_2addr_b64 v[4:7], v168 offset0:29 offset1:30
	v_pk_add_f32 v[108:109], v[108:109], v[10:11] neg_lo:[0,1] neg_hi:[0,1]
	v_pk_add_f32 v[130:131], v[130:131], v[8:9] neg_lo:[0,1] neg_hi:[0,1]
	s_wait_dscnt 0x0
	v_dual_mul_f32 v8, v5, v3 :: v_dual_mul_f32 v10, v5, v0
	s_delay_alu instid0(VALU_DEP_1) | instskip(NEXT) | instid1(VALU_DEP_2)
	v_pk_fma_f32 v[8:9], v[4:5], v[54:55], v[8:9] op_sel_hi:[1,1,0] neg_lo:[0,0,1] neg_hi:[0,0,1]
	v_pk_fma_f32 v[4:5], v[4:5], v[54:55], v[10:11] op_sel:[1,0,0] op_sel_hi:[0,1,0]
	s_delay_alu instid0(VALU_DEP_1) | instskip(SKIP_1) | instid1(VALU_DEP_2)
	v_mov_b32_e32 v9, v5
	v_pk_mul_f32 v[4:5], v[6:7], v[2:3] op_sel:[0,1]
	v_pk_add_f32 v[126:127], v[126:127], v[8:9] neg_lo:[0,1] neg_hi:[0,1]
	s_delay_alu instid0(VALU_DEP_2) | instskip(SKIP_1) | instid1(VALU_DEP_1)
	v_pk_fma_f32 v[8:9], v[6:7], v[0:1], v[4:5] op_sel:[0,0,1] op_sel_hi:[1,1,0] neg_lo:[0,0,1] neg_hi:[0,0,1]
	v_pk_fma_f32 v[4:5], v[6:7], v[0:1], v[4:5] op_sel:[0,0,1] op_sel_hi:[1,0,0]
	v_mov_b32_e32 v9, v5
	ds_load_2addr_b64 v[4:7], v168 offset0:31 offset1:32
	v_pk_add_f32 v[128:129], v[128:129], v[8:9] neg_lo:[0,1] neg_hi:[0,1]
	s_wait_dscnt 0x0
	v_pk_mul_f32 v[8:9], v[4:5], v[2:3] op_sel:[0,1]
	s_delay_alu instid0(VALU_DEP_1) | instskip(SKIP_1) | instid1(VALU_DEP_1)
	v_pk_fma_f32 v[10:11], v[4:5], v[0:1], v[8:9] op_sel:[0,0,1] op_sel_hi:[1,1,0] neg_lo:[0,0,1] neg_hi:[0,0,1]
	v_pk_fma_f32 v[4:5], v[4:5], v[0:1], v[8:9] op_sel:[0,0,1] op_sel_hi:[1,0,0]
	v_mov_b32_e32 v11, v5
	v_pk_mul_f32 v[4:5], v[6:7], v[2:3] op_sel:[0,1]
	s_delay_alu instid0(VALU_DEP_2) | instskip(NEXT) | instid1(VALU_DEP_2)
	v_pk_add_f32 v[124:125], v[124:125], v[10:11] neg_lo:[0,1] neg_hi:[0,1]
	v_pk_fma_f32 v[8:9], v[6:7], v[0:1], v[4:5] op_sel:[0,0,1] op_sel_hi:[1,1,0] neg_lo:[0,0,1] neg_hi:[0,0,1]
	v_pk_fma_f32 v[4:5], v[6:7], v[0:1], v[4:5] op_sel:[0,0,1] op_sel_hi:[1,0,0]
	s_delay_alu instid0(VALU_DEP_1) | instskip(SKIP_4) | instid1(VALU_DEP_1)
	v_mov_b32_e32 v9, v5
	ds_load_2addr_b64 v[4:7], v168 offset0:33 offset1:34
	v_pk_add_f32 v[146:147], v[146:147], v[8:9] neg_lo:[0,1] neg_hi:[0,1]
	s_wait_dscnt 0x0
	v_pk_mul_f32 v[8:9], v[4:5], v[2:3] op_sel:[0,1]
	v_pk_fma_f32 v[10:11], v[4:5], v[0:1], v[8:9] op_sel:[0,0,1] op_sel_hi:[1,1,0] neg_lo:[0,0,1] neg_hi:[0,0,1]
	v_pk_fma_f32 v[4:5], v[4:5], v[0:1], v[8:9] op_sel:[0,0,1] op_sel_hi:[1,0,0]
	v_dual_mul_f32 v8, v7, v3 :: v_dual_mov_b32 v4, v7
	s_delay_alu instid0(VALU_DEP_2) | instskip(NEXT) | instid1(VALU_DEP_2)
	v_dual_mov_b32 v11, v5 :: v_dual_mov_b32 v5, v6
	v_pk_fma_f32 v[8:9], v[6:7], v[54:55], v[8:9] op_sel_hi:[1,1,0] neg_lo:[0,0,1] neg_hi:[0,0,1]
	v_mul_f32_e32 v6, v7, v0
	s_delay_alu instid0(VALU_DEP_3) | instskip(NEXT) | instid1(VALU_DEP_2)
	v_pk_add_f32 v[142:143], v[142:143], v[10:11] neg_lo:[0,1] neg_hi:[0,1]
	v_pk_fma_f32 v[4:5], v[4:5], v[54:55], v[6:7] op_sel_hi:[1,1,0]
	s_delay_alu instid0(VALU_DEP_1) | instskip(SKIP_4) | instid1(VALU_DEP_1)
	v_mov_b32_e32 v9, v5
	ds_load_2addr_b64 v[4:7], v168 offset0:35 offset1:36
	v_pk_add_f32 v[144:145], v[144:145], v[8:9] neg_lo:[0,1] neg_hi:[0,1]
	s_wait_dscnt 0x0
	v_pk_mul_f32 v[8:9], v[4:5], v[2:3] op_sel:[0,1]
	v_pk_fma_f32 v[10:11], v[4:5], v[0:1], v[8:9] op_sel:[0,0,1] op_sel_hi:[1,1,0] neg_lo:[0,0,1] neg_hi:[0,0,1]
	v_pk_fma_f32 v[4:5], v[4:5], v[0:1], v[8:9] op_sel:[0,0,1] op_sel_hi:[1,0,0]
	s_delay_alu instid0(VALU_DEP_1) | instskip(SKIP_1) | instid1(VALU_DEP_1)
	v_mov_b32_e32 v11, v5
	v_pk_mul_f32 v[4:5], v[6:7], v[2:3] op_sel:[0,1]
	v_pk_fma_f32 v[8:9], v[6:7], v[0:1], v[4:5] op_sel:[0,0,1] op_sel_hi:[1,1,0] neg_lo:[0,0,1] neg_hi:[0,0,1]
	v_pk_fma_f32 v[4:5], v[6:7], v[0:1], v[4:5] op_sel:[0,0,1] op_sel_hi:[1,0,0]
	s_delay_alu instid0(VALU_DEP_1)
	v_mov_b32_e32 v9, v5
	ds_load_2addr_b64 v[4:7], v168 offset0:37 offset1:38
	v_pk_add_f32 v[140:141], v[140:141], v[10:11] neg_lo:[0,1] neg_hi:[0,1]
	v_pk_add_f32 v[162:163], v[162:163], v[8:9] neg_lo:[0,1] neg_hi:[0,1]
	s_wait_dscnt 0x0
	v_pk_mul_f32 v[8:9], v[4:5], v[2:3] op_sel:[0,1]
	s_delay_alu instid0(VALU_DEP_1) | instskip(SKIP_1) | instid1(VALU_DEP_1)
	v_pk_fma_f32 v[10:11], v[4:5], v[0:1], v[8:9] op_sel:[0,0,1] op_sel_hi:[1,1,0] neg_lo:[0,0,1] neg_hi:[0,0,1]
	v_pk_fma_f32 v[4:5], v[4:5], v[0:1], v[8:9] op_sel:[0,0,1] op_sel_hi:[1,0,0]
	v_mov_b32_e32 v11, v5
	v_pk_mul_f32 v[4:5], v[6:7], v[2:3] op_sel:[0,1]
	s_delay_alu instid0(VALU_DEP_1) | instskip(SKIP_1) | instid1(VALU_DEP_1)
	v_pk_fma_f32 v[8:9], v[6:7], v[0:1], v[4:5] op_sel:[0,0,1] op_sel_hi:[1,1,0] neg_lo:[0,0,1] neg_hi:[0,0,1]
	v_pk_fma_f32 v[4:5], v[6:7], v[0:1], v[4:5] op_sel:[0,0,1] op_sel_hi:[1,0,0]
	v_mov_b32_e32 v9, v5
	ds_load_2addr_b64 v[4:7], v168 offset0:39 offset1:40
	v_pk_add_f32 v[158:159], v[158:159], v[10:11] neg_lo:[0,1] neg_hi:[0,1]
	v_pk_add_f32 v[160:161], v[160:161], v[8:9] neg_lo:[0,1] neg_hi:[0,1]
	s_wait_dscnt 0x0
	v_dual_mul_f32 v8, v5, v3 :: v_dual_mul_f32 v10, v5, v0
	s_delay_alu instid0(VALU_DEP_1) | instskip(NEXT) | instid1(VALU_DEP_2)
	v_pk_fma_f32 v[8:9], v[4:5], v[54:55], v[8:9] op_sel_hi:[1,1,0] neg_lo:[0,0,1] neg_hi:[0,0,1]
	v_pk_fma_f32 v[4:5], v[4:5], v[54:55], v[10:11] op_sel:[1,0,0] op_sel_hi:[0,1,0]
	s_delay_alu instid0(VALU_DEP_1) | instskip(SKIP_1) | instid1(VALU_DEP_2)
	v_mov_b32_e32 v9, v5
	v_pk_mul_f32 v[4:5], v[6:7], v[2:3] op_sel:[0,1]
	v_pk_add_f32 v[156:157], v[156:157], v[8:9] neg_lo:[0,1] neg_hi:[0,1]
	s_delay_alu instid0(VALU_DEP_2) | instskip(SKIP_1) | instid1(VALU_DEP_1)
	v_pk_fma_f32 v[8:9], v[6:7], v[0:1], v[4:5] op_sel:[0,0,1] op_sel_hi:[1,1,0] neg_lo:[0,0,1] neg_hi:[0,0,1]
	v_pk_fma_f32 v[4:5], v[6:7], v[0:1], v[4:5] op_sel:[0,0,1] op_sel_hi:[1,0,0]
	v_mov_b32_e32 v9, v5
	ds_load_2addr_b64 v[4:7], v168 offset0:41 offset1:42
	v_pk_add_f32 v[178:179], v[178:179], v[8:9] neg_lo:[0,1] neg_hi:[0,1]
	s_wait_dscnt 0x0
	v_pk_mul_f32 v[8:9], v[4:5], v[2:3] op_sel:[0,1]
	s_delay_alu instid0(VALU_DEP_1) | instskip(SKIP_1) | instid1(VALU_DEP_1)
	v_pk_fma_f32 v[10:11], v[4:5], v[0:1], v[8:9] op_sel:[0,0,1] op_sel_hi:[1,1,0] neg_lo:[0,0,1] neg_hi:[0,0,1]
	v_pk_fma_f32 v[4:5], v[4:5], v[0:1], v[8:9] op_sel:[0,0,1] op_sel_hi:[1,0,0]
	v_mov_b32_e32 v11, v5
	v_pk_mul_f32 v[4:5], v[6:7], v[2:3] op_sel:[0,1]
	s_delay_alu instid0(VALU_DEP_2) | instskip(NEXT) | instid1(VALU_DEP_2)
	v_pk_add_f32 v[174:175], v[174:175], v[10:11] neg_lo:[0,1] neg_hi:[0,1]
	v_pk_fma_f32 v[8:9], v[6:7], v[0:1], v[4:5] op_sel:[0,0,1] op_sel_hi:[1,1,0] neg_lo:[0,0,1] neg_hi:[0,0,1]
	v_pk_fma_f32 v[4:5], v[6:7], v[0:1], v[4:5] op_sel:[0,0,1] op_sel_hi:[1,0,0]
	s_delay_alu instid0(VALU_DEP_1) | instskip(SKIP_4) | instid1(VALU_DEP_1)
	v_mov_b32_e32 v9, v5
	ds_load_2addr_b64 v[4:7], v168 offset0:43 offset1:44
	v_pk_add_f32 v[176:177], v[176:177], v[8:9] neg_lo:[0,1] neg_hi:[0,1]
	s_wait_dscnt 0x0
	v_pk_mul_f32 v[8:9], v[4:5], v[2:3] op_sel:[0,1]
	v_pk_fma_f32 v[10:11], v[4:5], v[0:1], v[8:9] op_sel:[0,0,1] op_sel_hi:[1,1,0] neg_lo:[0,0,1] neg_hi:[0,0,1]
	v_pk_fma_f32 v[4:5], v[4:5], v[0:1], v[8:9] op_sel:[0,0,1] op_sel_hi:[1,0,0]
	v_dual_mul_f32 v8, v7, v3 :: v_dual_mov_b32 v4, v7
	s_delay_alu instid0(VALU_DEP_2) | instskip(NEXT) | instid1(VALU_DEP_2)
	v_dual_mov_b32 v11, v5 :: v_dual_mov_b32 v5, v6
	v_pk_fma_f32 v[8:9], v[6:7], v[54:55], v[8:9] op_sel_hi:[1,1,0] neg_lo:[0,0,1] neg_hi:[0,0,1]
	v_mul_f32_e32 v6, v7, v0
	s_delay_alu instid0(VALU_DEP_3) | instskip(NEXT) | instid1(VALU_DEP_2)
	v_pk_add_f32 v[172:173], v[172:173], v[10:11] neg_lo:[0,1] neg_hi:[0,1]
	v_pk_fma_f32 v[4:5], v[4:5], v[54:55], v[6:7] op_sel_hi:[1,1,0]
	s_delay_alu instid0(VALU_DEP_1) | instskip(SKIP_4) | instid1(VALU_DEP_1)
	v_mov_b32_e32 v9, v5
	ds_load_2addr_b64 v[4:7], v168 offset0:45 offset1:46
	v_pk_add_f32 v[198:199], v[198:199], v[8:9] neg_lo:[0,1] neg_hi:[0,1]
	s_wait_dscnt 0x0
	v_pk_mul_f32 v[8:9], v[4:5], v[2:3] op_sel:[0,1]
	v_pk_fma_f32 v[10:11], v[4:5], v[0:1], v[8:9] op_sel:[0,0,1] op_sel_hi:[1,1,0] neg_lo:[0,0,1] neg_hi:[0,0,1]
	v_pk_fma_f32 v[4:5], v[4:5], v[0:1], v[8:9] op_sel:[0,0,1] op_sel_hi:[1,0,0]
	s_delay_alu instid0(VALU_DEP_1) | instskip(SKIP_1) | instid1(VALU_DEP_1)
	v_mov_b32_e32 v11, v5
	v_pk_mul_f32 v[4:5], v[6:7], v[2:3] op_sel:[0,1]
	v_pk_fma_f32 v[8:9], v[6:7], v[0:1], v[4:5] op_sel:[0,0,1] op_sel_hi:[1,1,0] neg_lo:[0,0,1] neg_hi:[0,0,1]
	v_pk_fma_f32 v[4:5], v[6:7], v[0:1], v[4:5] op_sel:[0,0,1] op_sel_hi:[1,0,0]
	s_delay_alu instid0(VALU_DEP_1)
	v_mov_b32_e32 v9, v5
	ds_load_2addr_b64 v[4:7], v168 offset0:47 offset1:48
	v_pk_add_f32 v[194:195], v[194:195], v[10:11] neg_lo:[0,1] neg_hi:[0,1]
	v_pk_add_f32 v[196:197], v[196:197], v[8:9] neg_lo:[0,1] neg_hi:[0,1]
	s_wait_dscnt 0x0
	v_pk_mul_f32 v[8:9], v[4:5], v[2:3] op_sel:[0,1]
	s_delay_alu instid0(VALU_DEP_1) | instskip(SKIP_1) | instid1(VALU_DEP_1)
	v_pk_fma_f32 v[10:11], v[4:5], v[0:1], v[8:9] op_sel:[0,0,1] op_sel_hi:[1,1,0] neg_lo:[0,0,1] neg_hi:[0,0,1]
	v_pk_fma_f32 v[4:5], v[4:5], v[0:1], v[8:9] op_sel:[0,0,1] op_sel_hi:[1,0,0]
	v_mov_b32_e32 v11, v5
	v_pk_mul_f32 v[4:5], v[6:7], v[2:3] op_sel:[0,1]
	s_delay_alu instid0(VALU_DEP_1) | instskip(SKIP_1) | instid1(VALU_DEP_1)
	v_pk_fma_f32 v[8:9], v[6:7], v[0:1], v[4:5] op_sel:[0,0,1] op_sel_hi:[1,1,0] neg_lo:[0,0,1] neg_hi:[0,0,1]
	v_pk_fma_f32 v[4:5], v[6:7], v[0:1], v[4:5] op_sel:[0,0,1] op_sel_hi:[1,0,0]
	v_mov_b32_e32 v9, v5
	ds_load_2addr_b64 v[4:7], v168 offset0:49 offset1:50
	v_pk_add_f32 v[192:193], v[192:193], v[10:11] neg_lo:[0,1] neg_hi:[0,1]
	v_pk_add_f32 v[220:221], v[220:221], v[8:9] neg_lo:[0,1] neg_hi:[0,1]
	s_wait_dscnt 0x0
	v_dual_mul_f32 v8, v5, v3 :: v_dual_mul_f32 v10, v5, v0
	s_delay_alu instid0(VALU_DEP_1) | instskip(NEXT) | instid1(VALU_DEP_2)
	v_pk_fma_f32 v[8:9], v[4:5], v[54:55], v[8:9] op_sel_hi:[1,1,0] neg_lo:[0,0,1] neg_hi:[0,0,1]
	v_pk_fma_f32 v[4:5], v[4:5], v[54:55], v[10:11] op_sel:[1,0,0] op_sel_hi:[0,1,0]
	s_delay_alu instid0(VALU_DEP_1) | instskip(SKIP_1) | instid1(VALU_DEP_2)
	v_mov_b32_e32 v9, v5
	v_pk_mul_f32 v[4:5], v[6:7], v[2:3] op_sel:[0,1]
	v_pk_add_f32 v[214:215], v[214:215], v[8:9] neg_lo:[0,1] neg_hi:[0,1]
	s_delay_alu instid0(VALU_DEP_2) | instskip(SKIP_1) | instid1(VALU_DEP_1)
	v_pk_fma_f32 v[8:9], v[6:7], v[0:1], v[4:5] op_sel:[0,0,1] op_sel_hi:[1,1,0] neg_lo:[0,0,1] neg_hi:[0,0,1]
	v_pk_fma_f32 v[4:5], v[6:7], v[0:1], v[4:5] op_sel:[0,0,1] op_sel_hi:[1,0,0]
	v_mov_b32_e32 v9, v5
	ds_load_2addr_b64 v[4:7], v168 offset0:51 offset1:52
	v_pk_add_f32 v[218:219], v[218:219], v[8:9] neg_lo:[0,1] neg_hi:[0,1]
	s_wait_dscnt 0x0
	v_pk_mul_f32 v[8:9], v[4:5], v[2:3] op_sel:[0,1]
	s_delay_alu instid0(VALU_DEP_1) | instskip(SKIP_1) | instid1(VALU_DEP_1)
	v_pk_fma_f32 v[10:11], v[4:5], v[0:1], v[8:9] op_sel:[0,0,1] op_sel_hi:[1,1,0] neg_lo:[0,0,1] neg_hi:[0,0,1]
	v_pk_fma_f32 v[4:5], v[4:5], v[0:1], v[8:9] op_sel:[0,0,1] op_sel_hi:[1,0,0]
	v_mov_b32_e32 v11, v5
	v_pk_mul_f32 v[4:5], v[6:7], v[2:3] op_sel:[0,1]
	s_delay_alu instid0(VALU_DEP_2) | instskip(NEXT) | instid1(VALU_DEP_2)
	v_pk_add_f32 v[212:213], v[212:213], v[10:11] neg_lo:[0,1] neg_hi:[0,1]
	v_pk_fma_f32 v[8:9], v[6:7], v[0:1], v[4:5] op_sel:[0,0,1] op_sel_hi:[1,1,0] neg_lo:[0,0,1] neg_hi:[0,0,1]
	v_pk_fma_f32 v[4:5], v[6:7], v[0:1], v[4:5] op_sel:[0,0,1] op_sel_hi:[1,0,0]
	s_delay_alu instid0(VALU_DEP_1) | instskip(SKIP_4) | instid1(VALU_DEP_1)
	v_mov_b32_e32 v9, v5
	ds_load_2addr_b64 v[4:7], v168 offset0:53 offset1:54
	v_pk_add_f32 v[216:217], v[216:217], v[8:9] neg_lo:[0,1] neg_hi:[0,1]
	s_wait_dscnt 0x0
	v_pk_mul_f32 v[8:9], v[4:5], v[2:3] op_sel:[0,1]
	v_pk_fma_f32 v[10:11], v[4:5], v[0:1], v[8:9] op_sel:[0,0,1] op_sel_hi:[1,1,0] neg_lo:[0,0,1] neg_hi:[0,0,1]
	v_pk_fma_f32 v[4:5], v[4:5], v[0:1], v[8:9] op_sel:[0,0,1] op_sel_hi:[1,0,0]
	v_dual_mul_f32 v8, v7, v3 :: v_dual_mov_b32 v4, v7
	s_delay_alu instid0(VALU_DEP_2) | instskip(NEXT) | instid1(VALU_DEP_2)
	v_dual_mov_b32 v11, v5 :: v_dual_mov_b32 v5, v6
	v_pk_fma_f32 v[8:9], v[6:7], v[54:55], v[8:9] op_sel_hi:[1,1,0] neg_lo:[0,0,1] neg_hi:[0,0,1]
	v_mul_f32_e32 v6, v7, v0
	s_delay_alu instid0(VALU_DEP_3) | instskip(NEXT) | instid1(VALU_DEP_2)
	v_pk_add_f32 v[210:211], v[210:211], v[10:11] neg_lo:[0,1] neg_hi:[0,1]
	v_pk_fma_f32 v[4:5], v[4:5], v[54:55], v[6:7] op_sel_hi:[1,1,0]
	s_delay_alu instid0(VALU_DEP_1) | instskip(SKIP_4) | instid1(VALU_DEP_1)
	v_mov_b32_e32 v9, v5
	ds_load_b64 v[4:5], v168 offset:440
	v_pk_add_f32 v[222:223], v[222:223], v[8:9] neg_lo:[0,1] neg_hi:[0,1]
	s_wait_dscnt 0x0
	v_pk_mul_f32 v[2:3], v[4:5], v[2:3] op_sel:[0,1]
	v_pk_fma_f32 v[6:7], v[4:5], v[0:1], v[2:3] op_sel:[0,0,1] op_sel_hi:[1,1,0] neg_lo:[0,0,1] neg_hi:[0,0,1]
	v_pk_fma_f32 v[0:1], v[4:5], v[0:1], v[2:3] op_sel:[0,0,1] op_sel_hi:[1,0,0]
	s_delay_alu instid0(VALU_DEP_1) | instskip(NEXT) | instid1(VALU_DEP_1)
	v_mov_b32_e32 v7, v1
	v_pk_add_f32 v[224:225], v[224:225], v[6:7] neg_lo:[0,1] neg_hi:[0,1]
.LBB111_10:
	s_wait_xcnt 0x0
	s_or_b32 exec_lo, exec_lo, s2
	s_delay_alu instid0(SALU_CYCLE_1)
	s_mov_b32 s2, exec_lo
	s_wait_storecnt 0x0
	s_barrier_signal -1
	s_barrier_wait -1
	v_cmpx_eq_u32_e32 1, v166
	s_cbranch_execz .LBB111_17
; %bb.11:
	v_dual_mov_b32 v0, v46 :: v_dual_mov_b32 v1, v47
	v_dual_mov_b32 v2, v44 :: v_dual_mov_b32 v3, v45
	;; [unrolled: 1-line block ×8, first 2 shown]
	ds_store_b64 v167, v[56:57]
	ds_store_2addr_b64 v168, v[0:1], v[2:3] offset0:2 offset1:3
	ds_store_2addr_b64 v168, v[4:5], v[6:7] offset0:4 offset1:5
	ds_store_2addr_b64 v168, v[8:9], v[10:11] offset0:6 offset1:7
	ds_store_2addr_b64 v168, v[12:13], v[14:15] offset0:8 offset1:9
	v_dual_mov_b32 v0, v38 :: v_dual_mov_b32 v1, v39
	v_dual_mov_b32 v2, v34 :: v_dual_mov_b32 v3, v35
	v_dual_mov_b32 v4, v64 :: v_dual_mov_b32 v5, v65
	v_dual_mov_b32 v6, v60 :: v_dual_mov_b32 v7, v61
	v_dual_mov_b32 v8, v62 :: v_dual_mov_b32 v9, v63
	v_dual_mov_b32 v10, v58 :: v_dual_mov_b32 v11, v59
	v_dual_mov_b32 v12, v80 :: v_dual_mov_b32 v13, v81
	v_dual_mov_b32 v14, v76 :: v_dual_mov_b32 v15, v77
	v_dual_mov_b32 v18, v78 :: v_dual_mov_b32 v19, v79
	v_dual_mov_b32 v28, v74 :: v_dual_mov_b32 v29, v75
	v_dual_mov_b32 v30, v98 :: v_dual_mov_b32 v31, v99
	v_dual_mov_b32 v32, v94 :: v_dual_mov_b32 v33, v95
	ds_store_2addr_b64 v168, v[0:1], v[2:3] offset0:10 offset1:11
	ds_store_2addr_b64 v168, v[4:5], v[6:7] offset0:12 offset1:13
	ds_store_2addr_b64 v168, v[8:9], v[10:11] offset0:14 offset1:15
	ds_store_2addr_b64 v168, v[12:13], v[14:15] offset0:16 offset1:17
	ds_store_2addr_b64 v168, v[18:19], v[28:29] offset0:18 offset1:19
	ds_store_2addr_b64 v168, v[30:31], v[32:33] offset0:20 offset1:21
	v_dual_mov_b32 v0, v96 :: v_dual_mov_b32 v1, v97
	v_dual_mov_b32 v2, v92 :: v_dual_mov_b32 v3, v93
	v_dual_mov_b32 v4, v114 :: v_dual_mov_b32 v5, v115
	v_dual_mov_b32 v6, v110 :: v_dual_mov_b32 v7, v111
	v_dual_mov_b32 v8, v112 :: v_dual_mov_b32 v9, v113
	v_dual_mov_b32 v10, v108 :: v_dual_mov_b32 v11, v109
	v_dual_mov_b32 v12, v130 :: v_dual_mov_b32 v13, v131
	v_dual_mov_b32 v14, v126 :: v_dual_mov_b32 v15, v127
	v_dual_mov_b32 v18, v128 :: v_dual_mov_b32 v19, v129
	v_dual_mov_b32 v28, v124 :: v_dual_mov_b32 v29, v125
	v_dual_mov_b32 v30, v146 :: v_dual_mov_b32 v31, v147
	v_dual_mov_b32 v32, v142 :: v_dual_mov_b32 v33, v143
	ds_store_2addr_b64 v168, v[0:1], v[2:3] offset0:22 offset1:23
	ds_store_2addr_b64 v168, v[4:5], v[6:7] offset0:24 offset1:25
	;; [unrolled: 18-line block ×3, first 2 shown]
	ds_store_2addr_b64 v168, v[8:9], v[10:11] offset0:38 offset1:39
	ds_store_2addr_b64 v168, v[12:13], v[14:15] offset0:40 offset1:41
	;; [unrolled: 1-line block ×4, first 2 shown]
	v_dual_mov_b32 v0, v196 :: v_dual_mov_b32 v1, v197
	v_dual_mov_b32 v2, v192 :: v_dual_mov_b32 v3, v193
	;; [unrolled: 1-line block ×9, first 2 shown]
	ds_store_2addr_b64 v168, v[0:1], v[2:3] offset0:46 offset1:47
	ds_store_2addr_b64 v168, v[4:5], v[6:7] offset0:48 offset1:49
	;; [unrolled: 1-line block ×5, first 2 shown]
	ds_load_b64 v[0:1], v167
	s_wait_dscnt 0x0
	v_cmp_neq_f32_e32 vcc_lo, 0, v0
	v_cmp_neq_f32_e64 s1, 0, v1
	s_or_b32 s1, vcc_lo, s1
	s_delay_alu instid0(SALU_CYCLE_1)
	s_and_b32 exec_lo, exec_lo, s1
	s_cbranch_execz .LBB111_17
; %bb.12:
	v_cmp_ngt_f32_e64 s1, |v0|, |v1|
                                        ; implicit-def: $vgpr2_vgpr3
	s_and_saveexec_b32 s4, s1
	s_delay_alu instid0(SALU_CYCLE_1)
	s_xor_b32 s1, exec_lo, s4
	s_cbranch_execz .LBB111_14
; %bb.13:
	v_div_scale_f32 v2, null, v1, v1, v0
	v_div_scale_f32 v5, vcc_lo, v0, v1, v0
	s_delay_alu instid0(VALU_DEP_2) | instskip(SKIP_1) | instid1(TRANS32_DEP_1)
	v_rcp_f32_e32 v3, v2
	v_nop
	v_fma_f32 v4, -v2, v3, 1.0
	s_delay_alu instid0(VALU_DEP_1) | instskip(NEXT) | instid1(VALU_DEP_1)
	v_fmac_f32_e32 v3, v4, v3
	v_mul_f32_e32 v4, v5, v3
	s_delay_alu instid0(VALU_DEP_1) | instskip(NEXT) | instid1(VALU_DEP_1)
	v_fma_f32 v6, -v2, v4, v5
	v_fmac_f32_e32 v4, v6, v3
	s_delay_alu instid0(VALU_DEP_1) | instskip(NEXT) | instid1(VALU_DEP_1)
	v_fma_f32 v2, -v2, v4, v5
	v_div_fmas_f32 v2, v2, v3, v4
	s_delay_alu instid0(VALU_DEP_1) | instskip(NEXT) | instid1(VALU_DEP_1)
	v_div_fixup_f32 v2, v2, v1, v0
	v_fmac_f32_e32 v1, v0, v2
	s_delay_alu instid0(VALU_DEP_1) | instskip(SKIP_1) | instid1(VALU_DEP_2)
	v_div_scale_f32 v0, null, v1, v1, 1.0
	v_div_scale_f32 v5, vcc_lo, 1.0, v1, 1.0
	v_rcp_f32_e32 v3, v0
	v_nop
	s_delay_alu instid0(TRANS32_DEP_1) | instskip(NEXT) | instid1(VALU_DEP_1)
	v_fma_f32 v4, -v0, v3, 1.0
	v_fmac_f32_e32 v3, v4, v3
	s_delay_alu instid0(VALU_DEP_1) | instskip(NEXT) | instid1(VALU_DEP_1)
	v_mul_f32_e32 v4, v5, v3
	v_fma_f32 v6, -v0, v4, v5
	s_delay_alu instid0(VALU_DEP_1) | instskip(NEXT) | instid1(VALU_DEP_1)
	v_fmac_f32_e32 v4, v6, v3
	v_fma_f32 v0, -v0, v4, v5
	s_delay_alu instid0(VALU_DEP_1) | instskip(NEXT) | instid1(VALU_DEP_1)
	v_div_fmas_f32 v0, v0, v3, v4
	v_div_fixup_f32 v0, v0, v1, 1.0
	s_delay_alu instid0(VALU_DEP_1)
	v_mul_f32_e32 v2, v2, v0
	v_xor_b32_e32 v3, 0x80000000, v0
                                        ; implicit-def: $vgpr0_vgpr1
.LBB111_14:
	s_and_not1_saveexec_b32 s1, s1
	s_cbranch_execz .LBB111_16
; %bb.15:
	v_div_scale_f32 v2, null, v0, v0, v1
	v_div_scale_f32 v5, vcc_lo, v1, v0, v1
	s_delay_alu instid0(VALU_DEP_2) | instskip(SKIP_1) | instid1(TRANS32_DEP_1)
	v_rcp_f32_e32 v3, v2
	v_nop
	v_fma_f32 v4, -v2, v3, 1.0
	s_delay_alu instid0(VALU_DEP_1) | instskip(NEXT) | instid1(VALU_DEP_1)
	v_fmac_f32_e32 v3, v4, v3
	v_mul_f32_e32 v4, v5, v3
	s_delay_alu instid0(VALU_DEP_1) | instskip(NEXT) | instid1(VALU_DEP_1)
	v_fma_f32 v6, -v2, v4, v5
	v_fmac_f32_e32 v4, v6, v3
	s_delay_alu instid0(VALU_DEP_1) | instskip(NEXT) | instid1(VALU_DEP_1)
	v_fma_f32 v2, -v2, v4, v5
	v_div_fmas_f32 v2, v2, v3, v4
	s_delay_alu instid0(VALU_DEP_1) | instskip(NEXT) | instid1(VALU_DEP_1)
	v_div_fixup_f32 v3, v2, v0, v1
	v_fmac_f32_e32 v0, v1, v3
	s_delay_alu instid0(VALU_DEP_1) | instskip(NEXT) | instid1(VALU_DEP_1)
	v_div_scale_f32 v1, null, v0, v0, 1.0
	v_rcp_f32_e32 v2, v1
	v_nop
	s_delay_alu instid0(TRANS32_DEP_1) | instskip(NEXT) | instid1(VALU_DEP_1)
	v_fma_f32 v4, -v1, v2, 1.0
	v_fmac_f32_e32 v2, v4, v2
	v_div_scale_f32 v4, vcc_lo, 1.0, v0, 1.0
	s_delay_alu instid0(VALU_DEP_1) | instskip(NEXT) | instid1(VALU_DEP_1)
	v_mul_f32_e32 v5, v4, v2
	v_fma_f32 v6, -v1, v5, v4
	s_delay_alu instid0(VALU_DEP_1) | instskip(NEXT) | instid1(VALU_DEP_1)
	v_fmac_f32_e32 v5, v6, v2
	v_fma_f32 v1, -v1, v5, v4
	s_delay_alu instid0(VALU_DEP_1) | instskip(NEXT) | instid1(VALU_DEP_1)
	v_div_fmas_f32 v1, v1, v2, v5
	v_div_fixup_f32 v2, v1, v0, 1.0
	s_delay_alu instid0(VALU_DEP_1)
	v_mul_f32_e64 v3, v3, -v2
.LBB111_16:
	s_or_b32 exec_lo, exec_lo, s1
	ds_store_b64 v167, v[2:3]
.LBB111_17:
	s_or_b32 exec_lo, exec_lo, s2
	s_wait_dscnt 0x0
	s_barrier_signal -1
	s_barrier_wait -1
	ds_load_b64 v[0:1], v167
	s_mov_b32 s1, exec_lo
	s_wait_dscnt 0x0
	scratch_store_b64 off, v[0:1], off offset:256 ; 8-byte Folded Spill
	s_wait_xcnt 0x0
	v_cmpx_lt_u32_e32 1, v166
	s_cbranch_execz .LBB111_19
; %bb.18:
	scratch_load_b64 v[4:5], off, off offset:256 ; 8-byte Folded Reload
	s_wait_loadcnt 0x0
	v_pk_mul_f32 v[2:3], v[4:5], v[56:57] op_sel:[1,1] op_sel_hi:[0,1]
	s_delay_alu instid0(VALU_DEP_1)
	v_pk_fma_f32 v[0:1], v[4:5], v[56:57], v[2:3] op_sel_hi:[1,0,1] neg_lo:[0,0,1] neg_hi:[0,0,1]
	v_pk_fma_f32 v[2:3], v[4:5], v[56:57], v[2:3] op_sel_hi:[1,0,1]
	ds_load_2addr_b64 v[4:7], v168 offset0:2 offset1:3
	v_dual_mov_b32 v56, v0 :: v_dual_mov_b32 v57, v3
	s_wait_dscnt 0x0
	v_pk_mul_f32 v[8:9], v[4:5], v[2:3] op_sel:[0,1]
	s_delay_alu instid0(VALU_DEP_1) | instskip(SKIP_1) | instid1(VALU_DEP_1)
	v_pk_fma_f32 v[10:11], v[4:5], v[0:1], v[8:9] op_sel:[0,0,1] op_sel_hi:[1,1,0] neg_lo:[0,0,1] neg_hi:[0,0,1]
	v_pk_fma_f32 v[4:5], v[4:5], v[0:1], v[8:9] op_sel:[0,0,1] op_sel_hi:[1,0,0]
	v_mov_b32_e32 v11, v5
	v_pk_mul_f32 v[4:5], v[6:7], v[2:3] op_sel:[0,1]
	s_delay_alu instid0(VALU_DEP_1) | instskip(SKIP_1) | instid1(VALU_DEP_1)
	v_pk_fma_f32 v[8:9], v[6:7], v[0:1], v[4:5] op_sel:[0,0,1] op_sel_hi:[1,1,0] neg_lo:[0,0,1] neg_hi:[0,0,1]
	v_pk_fma_f32 v[4:5], v[6:7], v[0:1], v[4:5] op_sel:[0,0,1] op_sel_hi:[1,0,0]
	v_mov_b32_e32 v9, v5
	ds_load_2addr_b64 v[4:7], v168 offset0:4 offset1:5
	v_pk_add_f32 v[46:47], v[46:47], v[10:11] neg_lo:[0,1] neg_hi:[0,1]
	v_pk_add_f32 v[44:45], v[44:45], v[8:9] neg_lo:[0,1] neg_hi:[0,1]
	s_wait_dscnt 0x0
	v_pk_mul_f32 v[8:9], v[4:5], v[2:3] op_sel:[0,1]
	s_delay_alu instid0(VALU_DEP_1) | instskip(SKIP_2) | instid1(VALU_DEP_2)
	v_pk_fma_f32 v[10:11], v[4:5], v[0:1], v[8:9] op_sel:[0,0,1] op_sel_hi:[1,1,0] neg_lo:[0,0,1] neg_hi:[0,0,1]
	v_pk_fma_f32 v[4:5], v[4:5], v[0:1], v[8:9] op_sel:[0,0,1] op_sel_hi:[1,0,0]
	v_dual_mul_f32 v8, v7, v3 :: v_dual_mov_b32 v4, v7
	v_dual_mov_b32 v11, v5 :: v_dual_mov_b32 v5, v6
	s_delay_alu instid0(VALU_DEP_2) | instskip(SKIP_1) | instid1(VALU_DEP_3)
	v_pk_fma_f32 v[8:9], v[6:7], v[56:57], v[8:9] op_sel_hi:[1,1,0] neg_lo:[0,0,1] neg_hi:[0,0,1]
	v_mul_f32_e32 v6, v7, v0
	v_pk_add_f32 v[26:27], v[26:27], v[10:11] neg_lo:[0,1] neg_hi:[0,1]
	s_delay_alu instid0(VALU_DEP_2) | instskip(NEXT) | instid1(VALU_DEP_1)
	v_pk_fma_f32 v[4:5], v[4:5], v[56:57], v[6:7] op_sel_hi:[1,1,0]
	v_mov_b32_e32 v9, v5
	ds_load_2addr_b64 v[4:7], v168 offset0:6 offset1:7
	v_pk_add_f32 v[22:23], v[22:23], v[8:9] neg_lo:[0,1] neg_hi:[0,1]
	s_wait_dscnt 0x0
	v_pk_mul_f32 v[8:9], v[4:5], v[2:3] op_sel:[0,1]
	s_delay_alu instid0(VALU_DEP_1) | instskip(SKIP_1) | instid1(VALU_DEP_1)
	v_pk_fma_f32 v[10:11], v[4:5], v[0:1], v[8:9] op_sel:[0,0,1] op_sel_hi:[1,1,0] neg_lo:[0,0,1] neg_hi:[0,0,1]
	v_pk_fma_f32 v[4:5], v[4:5], v[0:1], v[8:9] op_sel:[0,0,1] op_sel_hi:[1,0,0]
	v_mov_b32_e32 v11, v5
	v_pk_mul_f32 v[4:5], v[6:7], v[2:3] op_sel:[0,1]
	s_delay_alu instid0(VALU_DEP_1) | instskip(SKIP_1) | instid1(VALU_DEP_1)
	v_pk_fma_f32 v[8:9], v[6:7], v[0:1], v[4:5] op_sel:[0,0,1] op_sel_hi:[1,1,0] neg_lo:[0,0,1] neg_hi:[0,0,1]
	v_pk_fma_f32 v[4:5], v[6:7], v[0:1], v[4:5] op_sel:[0,0,1] op_sel_hi:[1,0,0]
	v_mov_b32_e32 v9, v5
	ds_load_2addr_b64 v[4:7], v168 offset0:8 offset1:9
	v_pk_add_f32 v[24:25], v[24:25], v[10:11] neg_lo:[0,1] neg_hi:[0,1]
	v_pk_add_f32 v[20:21], v[20:21], v[8:9] neg_lo:[0,1] neg_hi:[0,1]
	s_wait_dscnt 0x0
	v_pk_mul_f32 v[8:9], v[4:5], v[2:3] op_sel:[0,1]
	s_delay_alu instid0(VALU_DEP_1) | instskip(SKIP_1) | instid1(VALU_DEP_1)
	v_pk_fma_f32 v[10:11], v[4:5], v[0:1], v[8:9] op_sel:[0,0,1] op_sel_hi:[1,1,0] neg_lo:[0,0,1] neg_hi:[0,0,1]
	v_pk_fma_f32 v[4:5], v[4:5], v[0:1], v[8:9] op_sel:[0,0,1] op_sel_hi:[1,0,0]
	v_mov_b32_e32 v11, v5
	v_pk_mul_f32 v[4:5], v[6:7], v[2:3] op_sel:[0,1]
	s_delay_alu instid0(VALU_DEP_1) | instskip(SKIP_1) | instid1(VALU_DEP_1)
	v_pk_fma_f32 v[8:9], v[6:7], v[0:1], v[4:5] op_sel:[0,0,1] op_sel_hi:[1,1,0] neg_lo:[0,0,1] neg_hi:[0,0,1]
	v_pk_fma_f32 v[4:5], v[6:7], v[0:1], v[4:5] op_sel:[0,0,1] op_sel_hi:[1,0,0]
	v_mov_b32_e32 v9, v5
	ds_load_2addr_b64 v[4:7], v168 offset0:10 offset1:11
	v_pk_add_f32 v[40:41], v[40:41], v[10:11] neg_lo:[0,1] neg_hi:[0,1]
	v_pk_add_f32 v[36:37], v[36:37], v[8:9] neg_lo:[0,1] neg_hi:[0,1]
	s_wait_dscnt 0x0
	v_dual_mul_f32 v8, v5, v3 :: v_dual_mul_f32 v10, v5, v0
	s_delay_alu instid0(VALU_DEP_1) | instskip(NEXT) | instid1(VALU_DEP_2)
	v_pk_fma_f32 v[8:9], v[4:5], v[56:57], v[8:9] op_sel_hi:[1,1,0] neg_lo:[0,0,1] neg_hi:[0,0,1]
	v_pk_fma_f32 v[4:5], v[4:5], v[56:57], v[10:11] op_sel:[1,0,0] op_sel_hi:[0,1,0]
	s_delay_alu instid0(VALU_DEP_1) | instskip(SKIP_1) | instid1(VALU_DEP_2)
	v_mov_b32_e32 v9, v5
	v_pk_mul_f32 v[4:5], v[6:7], v[2:3] op_sel:[0,1]
	v_pk_add_f32 v[38:39], v[38:39], v[8:9] neg_lo:[0,1] neg_hi:[0,1]
	s_delay_alu instid0(VALU_DEP_2) | instskip(SKIP_1) | instid1(VALU_DEP_1)
	v_pk_fma_f32 v[8:9], v[6:7], v[0:1], v[4:5] op_sel:[0,0,1] op_sel_hi:[1,1,0] neg_lo:[0,0,1] neg_hi:[0,0,1]
	v_pk_fma_f32 v[4:5], v[6:7], v[0:1], v[4:5] op_sel:[0,0,1] op_sel_hi:[1,0,0]
	v_mov_b32_e32 v9, v5
	ds_load_2addr_b64 v[4:7], v168 offset0:12 offset1:13
	v_pk_add_f32 v[34:35], v[34:35], v[8:9] neg_lo:[0,1] neg_hi:[0,1]
	s_wait_dscnt 0x0
	v_pk_mul_f32 v[8:9], v[4:5], v[2:3] op_sel:[0,1]
	s_delay_alu instid0(VALU_DEP_1) | instskip(SKIP_1) | instid1(VALU_DEP_1)
	v_pk_fma_f32 v[10:11], v[4:5], v[0:1], v[8:9] op_sel:[0,0,1] op_sel_hi:[1,1,0] neg_lo:[0,0,1] neg_hi:[0,0,1]
	v_pk_fma_f32 v[4:5], v[4:5], v[0:1], v[8:9] op_sel:[0,0,1] op_sel_hi:[1,0,0]
	v_mov_b32_e32 v11, v5
	v_pk_mul_f32 v[4:5], v[6:7], v[2:3] op_sel:[0,1]
	s_delay_alu instid0(VALU_DEP_2) | instskip(NEXT) | instid1(VALU_DEP_2)
	v_pk_add_f32 v[64:65], v[64:65], v[10:11] neg_lo:[0,1] neg_hi:[0,1]
	v_pk_fma_f32 v[8:9], v[6:7], v[0:1], v[4:5] op_sel:[0,0,1] op_sel_hi:[1,1,0] neg_lo:[0,0,1] neg_hi:[0,0,1]
	v_pk_fma_f32 v[4:5], v[6:7], v[0:1], v[4:5] op_sel:[0,0,1] op_sel_hi:[1,0,0]
	s_delay_alu instid0(VALU_DEP_1) | instskip(SKIP_4) | instid1(VALU_DEP_1)
	v_mov_b32_e32 v9, v5
	ds_load_2addr_b64 v[4:7], v168 offset0:14 offset1:15
	v_pk_add_f32 v[60:61], v[60:61], v[8:9] neg_lo:[0,1] neg_hi:[0,1]
	s_wait_dscnt 0x0
	v_pk_mul_f32 v[8:9], v[4:5], v[2:3] op_sel:[0,1]
	v_pk_fma_f32 v[10:11], v[4:5], v[0:1], v[8:9] op_sel:[0,0,1] op_sel_hi:[1,1,0] neg_lo:[0,0,1] neg_hi:[0,0,1]
	v_pk_fma_f32 v[4:5], v[4:5], v[0:1], v[8:9] op_sel:[0,0,1] op_sel_hi:[1,0,0]
	v_dual_mul_f32 v8, v7, v3 :: v_dual_mov_b32 v4, v7
	s_delay_alu instid0(VALU_DEP_2) | instskip(NEXT) | instid1(VALU_DEP_2)
	v_dual_mov_b32 v11, v5 :: v_dual_mov_b32 v5, v6
	v_pk_fma_f32 v[8:9], v[6:7], v[56:57], v[8:9] op_sel_hi:[1,1,0] neg_lo:[0,0,1] neg_hi:[0,0,1]
	v_mul_f32_e32 v6, v7, v0
	s_delay_alu instid0(VALU_DEP_3) | instskip(NEXT) | instid1(VALU_DEP_2)
	v_pk_add_f32 v[62:63], v[62:63], v[10:11] neg_lo:[0,1] neg_hi:[0,1]
	v_pk_fma_f32 v[4:5], v[4:5], v[56:57], v[6:7] op_sel_hi:[1,1,0]
	s_delay_alu instid0(VALU_DEP_1) | instskip(SKIP_4) | instid1(VALU_DEP_1)
	v_mov_b32_e32 v9, v5
	ds_load_2addr_b64 v[4:7], v168 offset0:16 offset1:17
	v_pk_add_f32 v[58:59], v[58:59], v[8:9] neg_lo:[0,1] neg_hi:[0,1]
	s_wait_dscnt 0x0
	v_pk_mul_f32 v[8:9], v[4:5], v[2:3] op_sel:[0,1]
	v_pk_fma_f32 v[10:11], v[4:5], v[0:1], v[8:9] op_sel:[0,0,1] op_sel_hi:[1,1,0] neg_lo:[0,0,1] neg_hi:[0,0,1]
	v_pk_fma_f32 v[4:5], v[4:5], v[0:1], v[8:9] op_sel:[0,0,1] op_sel_hi:[1,0,0]
	s_delay_alu instid0(VALU_DEP_1) | instskip(SKIP_1) | instid1(VALU_DEP_1)
	v_mov_b32_e32 v11, v5
	v_pk_mul_f32 v[4:5], v[6:7], v[2:3] op_sel:[0,1]
	v_pk_fma_f32 v[8:9], v[6:7], v[0:1], v[4:5] op_sel:[0,0,1] op_sel_hi:[1,1,0] neg_lo:[0,0,1] neg_hi:[0,0,1]
	v_pk_fma_f32 v[4:5], v[6:7], v[0:1], v[4:5] op_sel:[0,0,1] op_sel_hi:[1,0,0]
	s_delay_alu instid0(VALU_DEP_1)
	v_mov_b32_e32 v9, v5
	ds_load_2addr_b64 v[4:7], v168 offset0:18 offset1:19
	v_pk_add_f32 v[80:81], v[80:81], v[10:11] neg_lo:[0,1] neg_hi:[0,1]
	v_pk_add_f32 v[76:77], v[76:77], v[8:9] neg_lo:[0,1] neg_hi:[0,1]
	s_wait_dscnt 0x0
	v_pk_mul_f32 v[8:9], v[4:5], v[2:3] op_sel:[0,1]
	s_delay_alu instid0(VALU_DEP_1) | instskip(SKIP_1) | instid1(VALU_DEP_1)
	v_pk_fma_f32 v[10:11], v[4:5], v[0:1], v[8:9] op_sel:[0,0,1] op_sel_hi:[1,1,0] neg_lo:[0,0,1] neg_hi:[0,0,1]
	v_pk_fma_f32 v[4:5], v[4:5], v[0:1], v[8:9] op_sel:[0,0,1] op_sel_hi:[1,0,0]
	v_mov_b32_e32 v11, v5
	v_pk_mul_f32 v[4:5], v[6:7], v[2:3] op_sel:[0,1]
	s_delay_alu instid0(VALU_DEP_1) | instskip(SKIP_1) | instid1(VALU_DEP_1)
	v_pk_fma_f32 v[8:9], v[6:7], v[0:1], v[4:5] op_sel:[0,0,1] op_sel_hi:[1,1,0] neg_lo:[0,0,1] neg_hi:[0,0,1]
	v_pk_fma_f32 v[4:5], v[6:7], v[0:1], v[4:5] op_sel:[0,0,1] op_sel_hi:[1,0,0]
	v_mov_b32_e32 v9, v5
	ds_load_2addr_b64 v[4:7], v168 offset0:20 offset1:21
	v_pk_add_f32 v[78:79], v[78:79], v[10:11] neg_lo:[0,1] neg_hi:[0,1]
	v_pk_add_f32 v[74:75], v[74:75], v[8:9] neg_lo:[0,1] neg_hi:[0,1]
	s_wait_dscnt 0x0
	v_dual_mul_f32 v8, v5, v3 :: v_dual_mul_f32 v10, v5, v0
	s_delay_alu instid0(VALU_DEP_1) | instskip(NEXT) | instid1(VALU_DEP_2)
	v_pk_fma_f32 v[8:9], v[4:5], v[56:57], v[8:9] op_sel_hi:[1,1,0] neg_lo:[0,0,1] neg_hi:[0,0,1]
	v_pk_fma_f32 v[4:5], v[4:5], v[56:57], v[10:11] op_sel:[1,0,0] op_sel_hi:[0,1,0]
	s_delay_alu instid0(VALU_DEP_1) | instskip(SKIP_1) | instid1(VALU_DEP_2)
	v_mov_b32_e32 v9, v5
	v_pk_mul_f32 v[4:5], v[6:7], v[2:3] op_sel:[0,1]
	v_pk_add_f32 v[98:99], v[98:99], v[8:9] neg_lo:[0,1] neg_hi:[0,1]
	s_delay_alu instid0(VALU_DEP_2) | instskip(SKIP_1) | instid1(VALU_DEP_1)
	v_pk_fma_f32 v[8:9], v[6:7], v[0:1], v[4:5] op_sel:[0,0,1] op_sel_hi:[1,1,0] neg_lo:[0,0,1] neg_hi:[0,0,1]
	v_pk_fma_f32 v[4:5], v[6:7], v[0:1], v[4:5] op_sel:[0,0,1] op_sel_hi:[1,0,0]
	v_mov_b32_e32 v9, v5
	ds_load_2addr_b64 v[4:7], v168 offset0:22 offset1:23
	v_pk_add_f32 v[94:95], v[94:95], v[8:9] neg_lo:[0,1] neg_hi:[0,1]
	s_wait_dscnt 0x0
	v_pk_mul_f32 v[8:9], v[4:5], v[2:3] op_sel:[0,1]
	s_delay_alu instid0(VALU_DEP_1) | instskip(SKIP_1) | instid1(VALU_DEP_1)
	v_pk_fma_f32 v[10:11], v[4:5], v[0:1], v[8:9] op_sel:[0,0,1] op_sel_hi:[1,1,0] neg_lo:[0,0,1] neg_hi:[0,0,1]
	v_pk_fma_f32 v[4:5], v[4:5], v[0:1], v[8:9] op_sel:[0,0,1] op_sel_hi:[1,0,0]
	v_mov_b32_e32 v11, v5
	v_pk_mul_f32 v[4:5], v[6:7], v[2:3] op_sel:[0,1]
	s_delay_alu instid0(VALU_DEP_2) | instskip(NEXT) | instid1(VALU_DEP_2)
	v_pk_add_f32 v[96:97], v[96:97], v[10:11] neg_lo:[0,1] neg_hi:[0,1]
	v_pk_fma_f32 v[8:9], v[6:7], v[0:1], v[4:5] op_sel:[0,0,1] op_sel_hi:[1,1,0] neg_lo:[0,0,1] neg_hi:[0,0,1]
	v_pk_fma_f32 v[4:5], v[6:7], v[0:1], v[4:5] op_sel:[0,0,1] op_sel_hi:[1,0,0]
	s_delay_alu instid0(VALU_DEP_1) | instskip(SKIP_4) | instid1(VALU_DEP_1)
	v_mov_b32_e32 v9, v5
	ds_load_2addr_b64 v[4:7], v168 offset0:24 offset1:25
	v_pk_add_f32 v[92:93], v[92:93], v[8:9] neg_lo:[0,1] neg_hi:[0,1]
	s_wait_dscnt 0x0
	v_pk_mul_f32 v[8:9], v[4:5], v[2:3] op_sel:[0,1]
	v_pk_fma_f32 v[10:11], v[4:5], v[0:1], v[8:9] op_sel:[0,0,1] op_sel_hi:[1,1,0] neg_lo:[0,0,1] neg_hi:[0,0,1]
	v_pk_fma_f32 v[4:5], v[4:5], v[0:1], v[8:9] op_sel:[0,0,1] op_sel_hi:[1,0,0]
	v_dual_mul_f32 v8, v7, v3 :: v_dual_mov_b32 v4, v7
	s_delay_alu instid0(VALU_DEP_2) | instskip(NEXT) | instid1(VALU_DEP_2)
	v_dual_mov_b32 v11, v5 :: v_dual_mov_b32 v5, v6
	v_pk_fma_f32 v[8:9], v[6:7], v[56:57], v[8:9] op_sel_hi:[1,1,0] neg_lo:[0,0,1] neg_hi:[0,0,1]
	v_mul_f32_e32 v6, v7, v0
	s_delay_alu instid0(VALU_DEP_3) | instskip(NEXT) | instid1(VALU_DEP_2)
	v_pk_add_f32 v[114:115], v[114:115], v[10:11] neg_lo:[0,1] neg_hi:[0,1]
	v_pk_fma_f32 v[4:5], v[4:5], v[56:57], v[6:7] op_sel_hi:[1,1,0]
	s_delay_alu instid0(VALU_DEP_1) | instskip(SKIP_4) | instid1(VALU_DEP_1)
	v_mov_b32_e32 v9, v5
	ds_load_2addr_b64 v[4:7], v168 offset0:26 offset1:27
	v_pk_add_f32 v[110:111], v[110:111], v[8:9] neg_lo:[0,1] neg_hi:[0,1]
	s_wait_dscnt 0x0
	v_pk_mul_f32 v[8:9], v[4:5], v[2:3] op_sel:[0,1]
	v_pk_fma_f32 v[10:11], v[4:5], v[0:1], v[8:9] op_sel:[0,0,1] op_sel_hi:[1,1,0] neg_lo:[0,0,1] neg_hi:[0,0,1]
	v_pk_fma_f32 v[4:5], v[4:5], v[0:1], v[8:9] op_sel:[0,0,1] op_sel_hi:[1,0,0]
	s_delay_alu instid0(VALU_DEP_1) | instskip(SKIP_1) | instid1(VALU_DEP_1)
	v_mov_b32_e32 v11, v5
	v_pk_mul_f32 v[4:5], v[6:7], v[2:3] op_sel:[0,1]
	v_pk_fma_f32 v[8:9], v[6:7], v[0:1], v[4:5] op_sel:[0,0,1] op_sel_hi:[1,1,0] neg_lo:[0,0,1] neg_hi:[0,0,1]
	v_pk_fma_f32 v[4:5], v[6:7], v[0:1], v[4:5] op_sel:[0,0,1] op_sel_hi:[1,0,0]
	s_delay_alu instid0(VALU_DEP_1)
	v_mov_b32_e32 v9, v5
	ds_load_2addr_b64 v[4:7], v168 offset0:28 offset1:29
	v_pk_add_f32 v[112:113], v[112:113], v[10:11] neg_lo:[0,1] neg_hi:[0,1]
	v_pk_add_f32 v[108:109], v[108:109], v[8:9] neg_lo:[0,1] neg_hi:[0,1]
	s_wait_dscnt 0x0
	v_pk_mul_f32 v[8:9], v[4:5], v[2:3] op_sel:[0,1]
	s_delay_alu instid0(VALU_DEP_1) | instskip(SKIP_1) | instid1(VALU_DEP_1)
	v_pk_fma_f32 v[10:11], v[4:5], v[0:1], v[8:9] op_sel:[0,0,1] op_sel_hi:[1,1,0] neg_lo:[0,0,1] neg_hi:[0,0,1]
	v_pk_fma_f32 v[4:5], v[4:5], v[0:1], v[8:9] op_sel:[0,0,1] op_sel_hi:[1,0,0]
	v_mov_b32_e32 v11, v5
	v_pk_mul_f32 v[4:5], v[6:7], v[2:3] op_sel:[0,1]
	s_delay_alu instid0(VALU_DEP_1) | instskip(SKIP_1) | instid1(VALU_DEP_1)
	v_pk_fma_f32 v[8:9], v[6:7], v[0:1], v[4:5] op_sel:[0,0,1] op_sel_hi:[1,1,0] neg_lo:[0,0,1] neg_hi:[0,0,1]
	v_pk_fma_f32 v[4:5], v[6:7], v[0:1], v[4:5] op_sel:[0,0,1] op_sel_hi:[1,0,0]
	v_mov_b32_e32 v9, v5
	ds_load_2addr_b64 v[4:7], v168 offset0:30 offset1:31
	v_pk_add_f32 v[130:131], v[130:131], v[10:11] neg_lo:[0,1] neg_hi:[0,1]
	v_pk_add_f32 v[126:127], v[126:127], v[8:9] neg_lo:[0,1] neg_hi:[0,1]
	s_wait_dscnt 0x0
	v_dual_mul_f32 v8, v5, v3 :: v_dual_mul_f32 v10, v5, v0
	s_delay_alu instid0(VALU_DEP_1) | instskip(NEXT) | instid1(VALU_DEP_2)
	v_pk_fma_f32 v[8:9], v[4:5], v[56:57], v[8:9] op_sel_hi:[1,1,0] neg_lo:[0,0,1] neg_hi:[0,0,1]
	v_pk_fma_f32 v[4:5], v[4:5], v[56:57], v[10:11] op_sel:[1,0,0] op_sel_hi:[0,1,0]
	s_delay_alu instid0(VALU_DEP_1) | instskip(SKIP_1) | instid1(VALU_DEP_2)
	v_mov_b32_e32 v9, v5
	v_pk_mul_f32 v[4:5], v[6:7], v[2:3] op_sel:[0,1]
	v_pk_add_f32 v[128:129], v[128:129], v[8:9] neg_lo:[0,1] neg_hi:[0,1]
	s_delay_alu instid0(VALU_DEP_2) | instskip(SKIP_1) | instid1(VALU_DEP_1)
	v_pk_fma_f32 v[8:9], v[6:7], v[0:1], v[4:5] op_sel:[0,0,1] op_sel_hi:[1,1,0] neg_lo:[0,0,1] neg_hi:[0,0,1]
	v_pk_fma_f32 v[4:5], v[6:7], v[0:1], v[4:5] op_sel:[0,0,1] op_sel_hi:[1,0,0]
	v_mov_b32_e32 v9, v5
	ds_load_2addr_b64 v[4:7], v168 offset0:32 offset1:33
	v_pk_add_f32 v[124:125], v[124:125], v[8:9] neg_lo:[0,1] neg_hi:[0,1]
	s_wait_dscnt 0x0
	v_pk_mul_f32 v[8:9], v[4:5], v[2:3] op_sel:[0,1]
	s_delay_alu instid0(VALU_DEP_1) | instskip(SKIP_1) | instid1(VALU_DEP_1)
	v_pk_fma_f32 v[10:11], v[4:5], v[0:1], v[8:9] op_sel:[0,0,1] op_sel_hi:[1,1,0] neg_lo:[0,0,1] neg_hi:[0,0,1]
	v_pk_fma_f32 v[4:5], v[4:5], v[0:1], v[8:9] op_sel:[0,0,1] op_sel_hi:[1,0,0]
	v_mov_b32_e32 v11, v5
	v_pk_mul_f32 v[4:5], v[6:7], v[2:3] op_sel:[0,1]
	s_delay_alu instid0(VALU_DEP_2) | instskip(NEXT) | instid1(VALU_DEP_2)
	v_pk_add_f32 v[146:147], v[146:147], v[10:11] neg_lo:[0,1] neg_hi:[0,1]
	v_pk_fma_f32 v[8:9], v[6:7], v[0:1], v[4:5] op_sel:[0,0,1] op_sel_hi:[1,1,0] neg_lo:[0,0,1] neg_hi:[0,0,1]
	v_pk_fma_f32 v[4:5], v[6:7], v[0:1], v[4:5] op_sel:[0,0,1] op_sel_hi:[1,0,0]
	s_delay_alu instid0(VALU_DEP_1) | instskip(SKIP_4) | instid1(VALU_DEP_1)
	v_mov_b32_e32 v9, v5
	ds_load_2addr_b64 v[4:7], v168 offset0:34 offset1:35
	v_pk_add_f32 v[142:143], v[142:143], v[8:9] neg_lo:[0,1] neg_hi:[0,1]
	s_wait_dscnt 0x0
	v_pk_mul_f32 v[8:9], v[4:5], v[2:3] op_sel:[0,1]
	v_pk_fma_f32 v[10:11], v[4:5], v[0:1], v[8:9] op_sel:[0,0,1] op_sel_hi:[1,1,0] neg_lo:[0,0,1] neg_hi:[0,0,1]
	v_pk_fma_f32 v[4:5], v[4:5], v[0:1], v[8:9] op_sel:[0,0,1] op_sel_hi:[1,0,0]
	v_dual_mul_f32 v8, v7, v3 :: v_dual_mov_b32 v4, v7
	s_delay_alu instid0(VALU_DEP_2) | instskip(NEXT) | instid1(VALU_DEP_2)
	v_dual_mov_b32 v11, v5 :: v_dual_mov_b32 v5, v6
	v_pk_fma_f32 v[8:9], v[6:7], v[56:57], v[8:9] op_sel_hi:[1,1,0] neg_lo:[0,0,1] neg_hi:[0,0,1]
	v_mul_f32_e32 v6, v7, v0
	s_delay_alu instid0(VALU_DEP_3) | instskip(NEXT) | instid1(VALU_DEP_2)
	v_pk_add_f32 v[144:145], v[144:145], v[10:11] neg_lo:[0,1] neg_hi:[0,1]
	v_pk_fma_f32 v[4:5], v[4:5], v[56:57], v[6:7] op_sel_hi:[1,1,0]
	s_delay_alu instid0(VALU_DEP_1) | instskip(SKIP_4) | instid1(VALU_DEP_1)
	v_mov_b32_e32 v9, v5
	ds_load_2addr_b64 v[4:7], v168 offset0:36 offset1:37
	v_pk_add_f32 v[140:141], v[140:141], v[8:9] neg_lo:[0,1] neg_hi:[0,1]
	s_wait_dscnt 0x0
	v_pk_mul_f32 v[8:9], v[4:5], v[2:3] op_sel:[0,1]
	v_pk_fma_f32 v[10:11], v[4:5], v[0:1], v[8:9] op_sel:[0,0,1] op_sel_hi:[1,1,0] neg_lo:[0,0,1] neg_hi:[0,0,1]
	v_pk_fma_f32 v[4:5], v[4:5], v[0:1], v[8:9] op_sel:[0,0,1] op_sel_hi:[1,0,0]
	s_delay_alu instid0(VALU_DEP_1) | instskip(SKIP_1) | instid1(VALU_DEP_1)
	v_mov_b32_e32 v11, v5
	v_pk_mul_f32 v[4:5], v[6:7], v[2:3] op_sel:[0,1]
	v_pk_fma_f32 v[8:9], v[6:7], v[0:1], v[4:5] op_sel:[0,0,1] op_sel_hi:[1,1,0] neg_lo:[0,0,1] neg_hi:[0,0,1]
	v_pk_fma_f32 v[4:5], v[6:7], v[0:1], v[4:5] op_sel:[0,0,1] op_sel_hi:[1,0,0]
	s_delay_alu instid0(VALU_DEP_1)
	v_mov_b32_e32 v9, v5
	ds_load_2addr_b64 v[4:7], v168 offset0:38 offset1:39
	v_pk_add_f32 v[162:163], v[162:163], v[10:11] neg_lo:[0,1] neg_hi:[0,1]
	v_pk_add_f32 v[158:159], v[158:159], v[8:9] neg_lo:[0,1] neg_hi:[0,1]
	s_wait_dscnt 0x0
	v_pk_mul_f32 v[8:9], v[4:5], v[2:3] op_sel:[0,1]
	s_delay_alu instid0(VALU_DEP_1) | instskip(SKIP_1) | instid1(VALU_DEP_1)
	v_pk_fma_f32 v[10:11], v[4:5], v[0:1], v[8:9] op_sel:[0,0,1] op_sel_hi:[1,1,0] neg_lo:[0,0,1] neg_hi:[0,0,1]
	v_pk_fma_f32 v[4:5], v[4:5], v[0:1], v[8:9] op_sel:[0,0,1] op_sel_hi:[1,0,0]
	v_mov_b32_e32 v11, v5
	v_pk_mul_f32 v[4:5], v[6:7], v[2:3] op_sel:[0,1]
	s_delay_alu instid0(VALU_DEP_1) | instskip(SKIP_1) | instid1(VALU_DEP_1)
	v_pk_fma_f32 v[8:9], v[6:7], v[0:1], v[4:5] op_sel:[0,0,1] op_sel_hi:[1,1,0] neg_lo:[0,0,1] neg_hi:[0,0,1]
	v_pk_fma_f32 v[4:5], v[6:7], v[0:1], v[4:5] op_sel:[0,0,1] op_sel_hi:[1,0,0]
	v_mov_b32_e32 v9, v5
	ds_load_2addr_b64 v[4:7], v168 offset0:40 offset1:41
	v_pk_add_f32 v[160:161], v[160:161], v[10:11] neg_lo:[0,1] neg_hi:[0,1]
	v_pk_add_f32 v[156:157], v[156:157], v[8:9] neg_lo:[0,1] neg_hi:[0,1]
	s_wait_dscnt 0x0
	v_dual_mul_f32 v8, v5, v3 :: v_dual_mul_f32 v10, v5, v0
	s_delay_alu instid0(VALU_DEP_1) | instskip(NEXT) | instid1(VALU_DEP_2)
	v_pk_fma_f32 v[8:9], v[4:5], v[56:57], v[8:9] op_sel_hi:[1,1,0] neg_lo:[0,0,1] neg_hi:[0,0,1]
	v_pk_fma_f32 v[4:5], v[4:5], v[56:57], v[10:11] op_sel:[1,0,0] op_sel_hi:[0,1,0]
	s_delay_alu instid0(VALU_DEP_1) | instskip(SKIP_1) | instid1(VALU_DEP_2)
	v_mov_b32_e32 v9, v5
	v_pk_mul_f32 v[4:5], v[6:7], v[2:3] op_sel:[0,1]
	v_pk_add_f32 v[178:179], v[178:179], v[8:9] neg_lo:[0,1] neg_hi:[0,1]
	s_delay_alu instid0(VALU_DEP_2) | instskip(SKIP_1) | instid1(VALU_DEP_1)
	v_pk_fma_f32 v[8:9], v[6:7], v[0:1], v[4:5] op_sel:[0,0,1] op_sel_hi:[1,1,0] neg_lo:[0,0,1] neg_hi:[0,0,1]
	v_pk_fma_f32 v[4:5], v[6:7], v[0:1], v[4:5] op_sel:[0,0,1] op_sel_hi:[1,0,0]
	v_mov_b32_e32 v9, v5
	ds_load_2addr_b64 v[4:7], v168 offset0:42 offset1:43
	v_pk_add_f32 v[174:175], v[174:175], v[8:9] neg_lo:[0,1] neg_hi:[0,1]
	s_wait_dscnt 0x0
	v_pk_mul_f32 v[8:9], v[4:5], v[2:3] op_sel:[0,1]
	s_delay_alu instid0(VALU_DEP_1) | instskip(SKIP_1) | instid1(VALU_DEP_1)
	v_pk_fma_f32 v[10:11], v[4:5], v[0:1], v[8:9] op_sel:[0,0,1] op_sel_hi:[1,1,0] neg_lo:[0,0,1] neg_hi:[0,0,1]
	v_pk_fma_f32 v[4:5], v[4:5], v[0:1], v[8:9] op_sel:[0,0,1] op_sel_hi:[1,0,0]
	v_mov_b32_e32 v11, v5
	v_pk_mul_f32 v[4:5], v[6:7], v[2:3] op_sel:[0,1]
	s_delay_alu instid0(VALU_DEP_2) | instskip(NEXT) | instid1(VALU_DEP_2)
	v_pk_add_f32 v[176:177], v[176:177], v[10:11] neg_lo:[0,1] neg_hi:[0,1]
	v_pk_fma_f32 v[8:9], v[6:7], v[0:1], v[4:5] op_sel:[0,0,1] op_sel_hi:[1,1,0] neg_lo:[0,0,1] neg_hi:[0,0,1]
	v_pk_fma_f32 v[4:5], v[6:7], v[0:1], v[4:5] op_sel:[0,0,1] op_sel_hi:[1,0,0]
	s_delay_alu instid0(VALU_DEP_1) | instskip(SKIP_4) | instid1(VALU_DEP_1)
	v_mov_b32_e32 v9, v5
	ds_load_2addr_b64 v[4:7], v168 offset0:44 offset1:45
	v_pk_add_f32 v[172:173], v[172:173], v[8:9] neg_lo:[0,1] neg_hi:[0,1]
	s_wait_dscnt 0x0
	v_pk_mul_f32 v[8:9], v[4:5], v[2:3] op_sel:[0,1]
	v_pk_fma_f32 v[10:11], v[4:5], v[0:1], v[8:9] op_sel:[0,0,1] op_sel_hi:[1,1,0] neg_lo:[0,0,1] neg_hi:[0,0,1]
	v_pk_fma_f32 v[4:5], v[4:5], v[0:1], v[8:9] op_sel:[0,0,1] op_sel_hi:[1,0,0]
	v_dual_mul_f32 v8, v7, v3 :: v_dual_mov_b32 v4, v7
	s_delay_alu instid0(VALU_DEP_2) | instskip(NEXT) | instid1(VALU_DEP_2)
	v_dual_mov_b32 v11, v5 :: v_dual_mov_b32 v5, v6
	v_pk_fma_f32 v[8:9], v[6:7], v[56:57], v[8:9] op_sel_hi:[1,1,0] neg_lo:[0,0,1] neg_hi:[0,0,1]
	v_mul_f32_e32 v6, v7, v0
	s_delay_alu instid0(VALU_DEP_3) | instskip(NEXT) | instid1(VALU_DEP_2)
	v_pk_add_f32 v[198:199], v[198:199], v[10:11] neg_lo:[0,1] neg_hi:[0,1]
	v_pk_fma_f32 v[4:5], v[4:5], v[56:57], v[6:7] op_sel_hi:[1,1,0]
	s_delay_alu instid0(VALU_DEP_1) | instskip(SKIP_4) | instid1(VALU_DEP_1)
	v_mov_b32_e32 v9, v5
	ds_load_2addr_b64 v[4:7], v168 offset0:46 offset1:47
	v_pk_add_f32 v[194:195], v[194:195], v[8:9] neg_lo:[0,1] neg_hi:[0,1]
	s_wait_dscnt 0x0
	v_pk_mul_f32 v[8:9], v[4:5], v[2:3] op_sel:[0,1]
	v_pk_fma_f32 v[10:11], v[4:5], v[0:1], v[8:9] op_sel:[0,0,1] op_sel_hi:[1,1,0] neg_lo:[0,0,1] neg_hi:[0,0,1]
	v_pk_fma_f32 v[4:5], v[4:5], v[0:1], v[8:9] op_sel:[0,0,1] op_sel_hi:[1,0,0]
	s_delay_alu instid0(VALU_DEP_1) | instskip(SKIP_1) | instid1(VALU_DEP_1)
	v_mov_b32_e32 v11, v5
	v_pk_mul_f32 v[4:5], v[6:7], v[2:3] op_sel:[0,1]
	v_pk_fma_f32 v[8:9], v[6:7], v[0:1], v[4:5] op_sel:[0,0,1] op_sel_hi:[1,1,0] neg_lo:[0,0,1] neg_hi:[0,0,1]
	v_pk_fma_f32 v[4:5], v[6:7], v[0:1], v[4:5] op_sel:[0,0,1] op_sel_hi:[1,0,0]
	s_delay_alu instid0(VALU_DEP_1)
	v_mov_b32_e32 v9, v5
	ds_load_2addr_b64 v[4:7], v168 offset0:48 offset1:49
	v_pk_add_f32 v[196:197], v[196:197], v[10:11] neg_lo:[0,1] neg_hi:[0,1]
	v_pk_add_f32 v[192:193], v[192:193], v[8:9] neg_lo:[0,1] neg_hi:[0,1]
	s_wait_dscnt 0x0
	v_pk_mul_f32 v[8:9], v[4:5], v[2:3] op_sel:[0,1]
	s_delay_alu instid0(VALU_DEP_1) | instskip(SKIP_1) | instid1(VALU_DEP_1)
	v_pk_fma_f32 v[10:11], v[4:5], v[0:1], v[8:9] op_sel:[0,0,1] op_sel_hi:[1,1,0] neg_lo:[0,0,1] neg_hi:[0,0,1]
	v_pk_fma_f32 v[4:5], v[4:5], v[0:1], v[8:9] op_sel:[0,0,1] op_sel_hi:[1,0,0]
	v_mov_b32_e32 v11, v5
	v_pk_mul_f32 v[4:5], v[6:7], v[2:3] op_sel:[0,1]
	s_delay_alu instid0(VALU_DEP_1) | instskip(SKIP_1) | instid1(VALU_DEP_1)
	v_pk_fma_f32 v[8:9], v[6:7], v[0:1], v[4:5] op_sel:[0,0,1] op_sel_hi:[1,1,0] neg_lo:[0,0,1] neg_hi:[0,0,1]
	v_pk_fma_f32 v[4:5], v[6:7], v[0:1], v[4:5] op_sel:[0,0,1] op_sel_hi:[1,0,0]
	v_mov_b32_e32 v9, v5
	ds_load_2addr_b64 v[4:7], v168 offset0:50 offset1:51
	v_pk_add_f32 v[220:221], v[220:221], v[10:11] neg_lo:[0,1] neg_hi:[0,1]
	v_pk_add_f32 v[214:215], v[214:215], v[8:9] neg_lo:[0,1] neg_hi:[0,1]
	s_wait_dscnt 0x0
	v_dual_mul_f32 v8, v5, v3 :: v_dual_mul_f32 v10, v5, v0
	s_delay_alu instid0(VALU_DEP_1) | instskip(NEXT) | instid1(VALU_DEP_2)
	v_pk_fma_f32 v[8:9], v[4:5], v[56:57], v[8:9] op_sel_hi:[1,1,0] neg_lo:[0,0,1] neg_hi:[0,0,1]
	v_pk_fma_f32 v[4:5], v[4:5], v[56:57], v[10:11] op_sel:[1,0,0] op_sel_hi:[0,1,0]
	s_delay_alu instid0(VALU_DEP_1) | instskip(SKIP_1) | instid1(VALU_DEP_2)
	v_mov_b32_e32 v9, v5
	v_pk_mul_f32 v[4:5], v[6:7], v[2:3] op_sel:[0,1]
	v_pk_add_f32 v[218:219], v[218:219], v[8:9] neg_lo:[0,1] neg_hi:[0,1]
	s_delay_alu instid0(VALU_DEP_2) | instskip(SKIP_1) | instid1(VALU_DEP_1)
	v_pk_fma_f32 v[8:9], v[6:7], v[0:1], v[4:5] op_sel:[0,0,1] op_sel_hi:[1,1,0] neg_lo:[0,0,1] neg_hi:[0,0,1]
	v_pk_fma_f32 v[4:5], v[6:7], v[0:1], v[4:5] op_sel:[0,0,1] op_sel_hi:[1,0,0]
	v_mov_b32_e32 v9, v5
	ds_load_2addr_b64 v[4:7], v168 offset0:52 offset1:53
	v_pk_add_f32 v[212:213], v[212:213], v[8:9] neg_lo:[0,1] neg_hi:[0,1]
	s_wait_dscnt 0x0
	v_pk_mul_f32 v[8:9], v[4:5], v[2:3] op_sel:[0,1]
	s_delay_alu instid0(VALU_DEP_1) | instskip(SKIP_1) | instid1(VALU_DEP_1)
	v_pk_fma_f32 v[10:11], v[4:5], v[0:1], v[8:9] op_sel:[0,0,1] op_sel_hi:[1,1,0] neg_lo:[0,0,1] neg_hi:[0,0,1]
	v_pk_fma_f32 v[4:5], v[4:5], v[0:1], v[8:9] op_sel:[0,0,1] op_sel_hi:[1,0,0]
	v_mov_b32_e32 v11, v5
	v_pk_mul_f32 v[4:5], v[6:7], v[2:3] op_sel:[0,1]
	s_delay_alu instid0(VALU_DEP_2) | instskip(NEXT) | instid1(VALU_DEP_2)
	v_pk_add_f32 v[216:217], v[216:217], v[10:11] neg_lo:[0,1] neg_hi:[0,1]
	v_pk_fma_f32 v[8:9], v[6:7], v[0:1], v[4:5] op_sel:[0,0,1] op_sel_hi:[1,1,0] neg_lo:[0,0,1] neg_hi:[0,0,1]
	v_pk_fma_f32 v[4:5], v[6:7], v[0:1], v[4:5] op_sel:[0,0,1] op_sel_hi:[1,0,0]
	s_delay_alu instid0(VALU_DEP_1)
	v_mov_b32_e32 v9, v5
	ds_load_2addr_b64 v[4:7], v168 offset0:54 offset1:55
	v_pk_add_f32 v[210:211], v[210:211], v[8:9] neg_lo:[0,1] neg_hi:[0,1]
	s_wait_dscnt 0x0
	v_pk_mul_f32 v[8:9], v[4:5], v[2:3] op_sel:[0,1]
	v_mul_f32_e32 v2, v7, v3
	s_delay_alu instid0(VALU_DEP_2) | instskip(SKIP_2) | instid1(VALU_DEP_4)
	v_pk_fma_f32 v[10:11], v[4:5], v[0:1], v[8:9] op_sel:[0,0,1] op_sel_hi:[1,1,0] neg_lo:[0,0,1] neg_hi:[0,0,1]
	v_pk_fma_f32 v[4:5], v[4:5], v[0:1], v[8:9] op_sel:[0,0,1] op_sel_hi:[1,0,0]
	v_dual_mov_b32 v4, v7 :: v_dual_mul_f32 v0, v7, v0
	v_pk_fma_f32 v[2:3], v[6:7], v[56:57], v[2:3] op_sel_hi:[1,1,0] neg_lo:[0,0,1] neg_hi:[0,0,1]
	s_delay_alu instid0(VALU_DEP_3) | instskip(NEXT) | instid1(VALU_DEP_1)
	v_dual_mov_b32 v11, v5 :: v_dual_mov_b32 v5, v6
	v_pk_add_f32 v[222:223], v[222:223], v[10:11] neg_lo:[0,1] neg_hi:[0,1]
	s_delay_alu instid0(VALU_DEP_2) | instskip(NEXT) | instid1(VALU_DEP_1)
	v_pk_fma_f32 v[0:1], v[4:5], v[56:57], v[0:1] op_sel_hi:[1,1,0]
	v_mov_b32_e32 v3, v1
	s_delay_alu instid0(VALU_DEP_1)
	v_pk_add_f32 v[224:225], v[224:225], v[2:3] neg_lo:[0,1] neg_hi:[0,1]
.LBB111_19:
	s_wait_xcnt 0x0
	s_or_b32 exec_lo, exec_lo, s1
	s_delay_alu instid0(SALU_CYCLE_1)
	s_mov_b32 s2, exec_lo
	s_wait_storecnt 0x0
	s_barrier_signal -1
	s_barrier_wait -1
	v_cmpx_eq_u32_e32 2, v166
	s_cbranch_execz .LBB111_26
; %bb.20:
	ds_store_b64 v167, v[46:47]
	ds_store_2addr_b64 v168, v[44:45], v[26:27] offset0:3 offset1:4
	ds_store_2addr_b64 v168, v[22:23], v[24:25] offset0:5 offset1:6
	;; [unrolled: 1-line block ×26, first 2 shown]
	ds_store_b64 v168, v[224:225] offset:440
	ds_load_b64 v[0:1], v167
	s_wait_dscnt 0x0
	v_cmp_neq_f32_e32 vcc_lo, 0, v0
	v_cmp_neq_f32_e64 s1, 0, v1
	s_or_b32 s1, vcc_lo, s1
	s_delay_alu instid0(SALU_CYCLE_1)
	s_and_b32 exec_lo, exec_lo, s1
	s_cbranch_execz .LBB111_26
; %bb.21:
	v_cmp_ngt_f32_e64 s1, |v0|, |v1|
                                        ; implicit-def: $vgpr2_vgpr3
	s_and_saveexec_b32 s4, s1
	s_delay_alu instid0(SALU_CYCLE_1)
	s_xor_b32 s1, exec_lo, s4
	s_cbranch_execz .LBB111_23
; %bb.22:
	v_div_scale_f32 v2, null, v1, v1, v0
	v_div_scale_f32 v5, vcc_lo, v0, v1, v0
	s_delay_alu instid0(VALU_DEP_2) | instskip(SKIP_1) | instid1(TRANS32_DEP_1)
	v_rcp_f32_e32 v3, v2
	v_nop
	v_fma_f32 v4, -v2, v3, 1.0
	s_delay_alu instid0(VALU_DEP_1) | instskip(NEXT) | instid1(VALU_DEP_1)
	v_fmac_f32_e32 v3, v4, v3
	v_mul_f32_e32 v4, v5, v3
	s_delay_alu instid0(VALU_DEP_1) | instskip(NEXT) | instid1(VALU_DEP_1)
	v_fma_f32 v6, -v2, v4, v5
	v_fmac_f32_e32 v4, v6, v3
	s_delay_alu instid0(VALU_DEP_1) | instskip(NEXT) | instid1(VALU_DEP_1)
	v_fma_f32 v2, -v2, v4, v5
	v_div_fmas_f32 v2, v2, v3, v4
	s_delay_alu instid0(VALU_DEP_1) | instskip(NEXT) | instid1(VALU_DEP_1)
	v_div_fixup_f32 v2, v2, v1, v0
	v_fmac_f32_e32 v1, v0, v2
	s_delay_alu instid0(VALU_DEP_1) | instskip(SKIP_1) | instid1(VALU_DEP_2)
	v_div_scale_f32 v0, null, v1, v1, 1.0
	v_div_scale_f32 v5, vcc_lo, 1.0, v1, 1.0
	v_rcp_f32_e32 v3, v0
	v_nop
	s_delay_alu instid0(TRANS32_DEP_1) | instskip(NEXT) | instid1(VALU_DEP_1)
	v_fma_f32 v4, -v0, v3, 1.0
	v_fmac_f32_e32 v3, v4, v3
	s_delay_alu instid0(VALU_DEP_1) | instskip(NEXT) | instid1(VALU_DEP_1)
	v_mul_f32_e32 v4, v5, v3
	v_fma_f32 v6, -v0, v4, v5
	s_delay_alu instid0(VALU_DEP_1) | instskip(NEXT) | instid1(VALU_DEP_1)
	v_fmac_f32_e32 v4, v6, v3
	v_fma_f32 v0, -v0, v4, v5
	s_delay_alu instid0(VALU_DEP_1) | instskip(NEXT) | instid1(VALU_DEP_1)
	v_div_fmas_f32 v0, v0, v3, v4
	v_div_fixup_f32 v0, v0, v1, 1.0
	s_delay_alu instid0(VALU_DEP_1)
	v_mul_f32_e32 v2, v2, v0
	v_xor_b32_e32 v3, 0x80000000, v0
                                        ; implicit-def: $vgpr0_vgpr1
.LBB111_23:
	s_and_not1_saveexec_b32 s1, s1
	s_cbranch_execz .LBB111_25
; %bb.24:
	v_div_scale_f32 v2, null, v0, v0, v1
	v_div_scale_f32 v5, vcc_lo, v1, v0, v1
	s_delay_alu instid0(VALU_DEP_2) | instskip(SKIP_1) | instid1(TRANS32_DEP_1)
	v_rcp_f32_e32 v3, v2
	v_nop
	v_fma_f32 v4, -v2, v3, 1.0
	s_delay_alu instid0(VALU_DEP_1) | instskip(NEXT) | instid1(VALU_DEP_1)
	v_fmac_f32_e32 v3, v4, v3
	v_mul_f32_e32 v4, v5, v3
	s_delay_alu instid0(VALU_DEP_1) | instskip(NEXT) | instid1(VALU_DEP_1)
	v_fma_f32 v6, -v2, v4, v5
	v_fmac_f32_e32 v4, v6, v3
	s_delay_alu instid0(VALU_DEP_1) | instskip(NEXT) | instid1(VALU_DEP_1)
	v_fma_f32 v2, -v2, v4, v5
	v_div_fmas_f32 v2, v2, v3, v4
	s_delay_alu instid0(VALU_DEP_1) | instskip(NEXT) | instid1(VALU_DEP_1)
	v_div_fixup_f32 v3, v2, v0, v1
	v_fmac_f32_e32 v0, v1, v3
	s_delay_alu instid0(VALU_DEP_1) | instskip(NEXT) | instid1(VALU_DEP_1)
	v_div_scale_f32 v1, null, v0, v0, 1.0
	v_rcp_f32_e32 v2, v1
	v_nop
	s_delay_alu instid0(TRANS32_DEP_1) | instskip(NEXT) | instid1(VALU_DEP_1)
	v_fma_f32 v4, -v1, v2, 1.0
	v_fmac_f32_e32 v2, v4, v2
	v_div_scale_f32 v4, vcc_lo, 1.0, v0, 1.0
	s_delay_alu instid0(VALU_DEP_1) | instskip(NEXT) | instid1(VALU_DEP_1)
	v_mul_f32_e32 v5, v4, v2
	v_fma_f32 v6, -v1, v5, v4
	s_delay_alu instid0(VALU_DEP_1) | instskip(NEXT) | instid1(VALU_DEP_1)
	v_fmac_f32_e32 v5, v6, v2
	v_fma_f32 v1, -v1, v5, v4
	s_delay_alu instid0(VALU_DEP_1) | instskip(NEXT) | instid1(VALU_DEP_1)
	v_div_fmas_f32 v1, v1, v2, v5
	v_div_fixup_f32 v2, v1, v0, 1.0
	s_delay_alu instid0(VALU_DEP_1)
	v_mul_f32_e64 v3, v3, -v2
.LBB111_25:
	s_or_b32 exec_lo, exec_lo, s1
	ds_store_b64 v167, v[2:3]
.LBB111_26:
	s_or_b32 exec_lo, exec_lo, s2
	s_wait_dscnt 0x0
	s_barrier_signal -1
	s_barrier_wait -1
	ds_load_b64 v[0:1], v167
	s_mov_b32 s1, exec_lo
	s_wait_dscnt 0x0
	scratch_store_b64 off, v[0:1], off offset:264 ; 8-byte Folded Spill
	s_wait_xcnt 0x0
	v_cmpx_lt_u32_e32 2, v166
	s_cbranch_execz .LBB111_28
; %bb.27:
	scratch_load_b64 v[4:5], off, off offset:264 ; 8-byte Folded Reload
	s_wait_loadcnt 0x0
	v_pk_mul_f32 v[2:3], v[4:5], v[46:47] op_sel:[1,1] op_sel_hi:[0,1]
	s_delay_alu instid0(VALU_DEP_1)
	v_pk_fma_f32 v[0:1], v[4:5], v[46:47], v[2:3] op_sel_hi:[1,0,1] neg_lo:[0,0,1] neg_hi:[0,0,1]
	v_pk_fma_f32 v[2:3], v[4:5], v[46:47], v[2:3] op_sel_hi:[1,0,1]
	ds_load_2addr_b64 v[4:7], v168 offset0:3 offset1:4
	v_dual_mov_b32 v46, v0 :: v_dual_mov_b32 v47, v3
	s_wait_dscnt 0x0
	v_pk_mul_f32 v[8:9], v[4:5], v[2:3] op_sel:[0,1]
	s_delay_alu instid0(VALU_DEP_1) | instskip(SKIP_1) | instid1(VALU_DEP_1)
	v_pk_fma_f32 v[10:11], v[4:5], v[0:1], v[8:9] op_sel:[0,0,1] op_sel_hi:[1,1,0] neg_lo:[0,0,1] neg_hi:[0,0,1]
	v_pk_fma_f32 v[4:5], v[4:5], v[0:1], v[8:9] op_sel:[0,0,1] op_sel_hi:[1,0,0]
	v_mov_b32_e32 v11, v5
	v_pk_mul_f32 v[4:5], v[6:7], v[2:3] op_sel:[0,1]
	s_delay_alu instid0(VALU_DEP_1) | instskip(SKIP_1) | instid1(VALU_DEP_1)
	v_pk_fma_f32 v[8:9], v[6:7], v[0:1], v[4:5] op_sel:[0,0,1] op_sel_hi:[1,1,0] neg_lo:[0,0,1] neg_hi:[0,0,1]
	v_pk_fma_f32 v[4:5], v[6:7], v[0:1], v[4:5] op_sel:[0,0,1] op_sel_hi:[1,0,0]
	v_mov_b32_e32 v9, v5
	ds_load_2addr_b64 v[4:7], v168 offset0:5 offset1:6
	v_pk_add_f32 v[44:45], v[44:45], v[10:11] neg_lo:[0,1] neg_hi:[0,1]
	v_pk_add_f32 v[26:27], v[26:27], v[8:9] neg_lo:[0,1] neg_hi:[0,1]
	s_wait_dscnt 0x0
	v_pk_mul_f32 v[8:9], v[4:5], v[2:3] op_sel:[0,1]
	s_delay_alu instid0(VALU_DEP_1) | instskip(SKIP_2) | instid1(VALU_DEP_2)
	v_pk_fma_f32 v[10:11], v[4:5], v[0:1], v[8:9] op_sel:[0,0,1] op_sel_hi:[1,1,0] neg_lo:[0,0,1] neg_hi:[0,0,1]
	v_pk_fma_f32 v[4:5], v[4:5], v[0:1], v[8:9] op_sel:[0,0,1] op_sel_hi:[1,0,0]
	v_dual_mul_f32 v8, v7, v3 :: v_dual_mov_b32 v4, v7
	v_dual_mov_b32 v11, v5 :: v_dual_mov_b32 v5, v6
	s_delay_alu instid0(VALU_DEP_2) | instskip(SKIP_1) | instid1(VALU_DEP_3)
	v_pk_fma_f32 v[8:9], v[6:7], v[46:47], v[8:9] op_sel_hi:[1,1,0] neg_lo:[0,0,1] neg_hi:[0,0,1]
	v_mul_f32_e32 v6, v7, v0
	v_pk_add_f32 v[22:23], v[22:23], v[10:11] neg_lo:[0,1] neg_hi:[0,1]
	s_delay_alu instid0(VALU_DEP_2) | instskip(NEXT) | instid1(VALU_DEP_1)
	v_pk_fma_f32 v[4:5], v[4:5], v[46:47], v[6:7] op_sel_hi:[1,1,0]
	v_mov_b32_e32 v9, v5
	ds_load_2addr_b64 v[4:7], v168 offset0:7 offset1:8
	v_pk_add_f32 v[24:25], v[24:25], v[8:9] neg_lo:[0,1] neg_hi:[0,1]
	s_wait_dscnt 0x0
	v_pk_mul_f32 v[8:9], v[4:5], v[2:3] op_sel:[0,1]
	s_delay_alu instid0(VALU_DEP_1) | instskip(SKIP_1) | instid1(VALU_DEP_1)
	v_pk_fma_f32 v[10:11], v[4:5], v[0:1], v[8:9] op_sel:[0,0,1] op_sel_hi:[1,1,0] neg_lo:[0,0,1] neg_hi:[0,0,1]
	v_pk_fma_f32 v[4:5], v[4:5], v[0:1], v[8:9] op_sel:[0,0,1] op_sel_hi:[1,0,0]
	v_mov_b32_e32 v11, v5
	v_pk_mul_f32 v[4:5], v[6:7], v[2:3] op_sel:[0,1]
	s_delay_alu instid0(VALU_DEP_1) | instskip(SKIP_1) | instid1(VALU_DEP_1)
	v_pk_fma_f32 v[8:9], v[6:7], v[0:1], v[4:5] op_sel:[0,0,1] op_sel_hi:[1,1,0] neg_lo:[0,0,1] neg_hi:[0,0,1]
	v_pk_fma_f32 v[4:5], v[6:7], v[0:1], v[4:5] op_sel:[0,0,1] op_sel_hi:[1,0,0]
	v_mov_b32_e32 v9, v5
	ds_load_2addr_b64 v[4:7], v168 offset0:9 offset1:10
	v_pk_add_f32 v[20:21], v[20:21], v[10:11] neg_lo:[0,1] neg_hi:[0,1]
	v_pk_add_f32 v[40:41], v[40:41], v[8:9] neg_lo:[0,1] neg_hi:[0,1]
	s_wait_dscnt 0x0
	v_pk_mul_f32 v[8:9], v[4:5], v[2:3] op_sel:[0,1]
	s_delay_alu instid0(VALU_DEP_1) | instskip(SKIP_1) | instid1(VALU_DEP_1)
	v_pk_fma_f32 v[10:11], v[4:5], v[0:1], v[8:9] op_sel:[0,0,1] op_sel_hi:[1,1,0] neg_lo:[0,0,1] neg_hi:[0,0,1]
	v_pk_fma_f32 v[4:5], v[4:5], v[0:1], v[8:9] op_sel:[0,0,1] op_sel_hi:[1,0,0]
	v_mov_b32_e32 v11, v5
	v_pk_mul_f32 v[4:5], v[6:7], v[2:3] op_sel:[0,1]
	s_delay_alu instid0(VALU_DEP_1) | instskip(SKIP_1) | instid1(VALU_DEP_1)
	v_pk_fma_f32 v[8:9], v[6:7], v[0:1], v[4:5] op_sel:[0,0,1] op_sel_hi:[1,1,0] neg_lo:[0,0,1] neg_hi:[0,0,1]
	v_pk_fma_f32 v[4:5], v[6:7], v[0:1], v[4:5] op_sel:[0,0,1] op_sel_hi:[1,0,0]
	v_mov_b32_e32 v9, v5
	ds_load_2addr_b64 v[4:7], v168 offset0:11 offset1:12
	v_pk_add_f32 v[36:37], v[36:37], v[10:11] neg_lo:[0,1] neg_hi:[0,1]
	v_pk_add_f32 v[38:39], v[38:39], v[8:9] neg_lo:[0,1] neg_hi:[0,1]
	s_wait_dscnt 0x0
	v_dual_mul_f32 v8, v5, v3 :: v_dual_mul_f32 v10, v5, v0
	s_delay_alu instid0(VALU_DEP_1) | instskip(NEXT) | instid1(VALU_DEP_2)
	v_pk_fma_f32 v[8:9], v[4:5], v[46:47], v[8:9] op_sel_hi:[1,1,0] neg_lo:[0,0,1] neg_hi:[0,0,1]
	v_pk_fma_f32 v[4:5], v[4:5], v[46:47], v[10:11] op_sel:[1,0,0] op_sel_hi:[0,1,0]
	s_delay_alu instid0(VALU_DEP_1) | instskip(SKIP_1) | instid1(VALU_DEP_2)
	v_mov_b32_e32 v9, v5
	v_pk_mul_f32 v[4:5], v[6:7], v[2:3] op_sel:[0,1]
	v_pk_add_f32 v[34:35], v[34:35], v[8:9] neg_lo:[0,1] neg_hi:[0,1]
	s_delay_alu instid0(VALU_DEP_2) | instskip(SKIP_1) | instid1(VALU_DEP_1)
	v_pk_fma_f32 v[8:9], v[6:7], v[0:1], v[4:5] op_sel:[0,0,1] op_sel_hi:[1,1,0] neg_lo:[0,0,1] neg_hi:[0,0,1]
	v_pk_fma_f32 v[4:5], v[6:7], v[0:1], v[4:5] op_sel:[0,0,1] op_sel_hi:[1,0,0]
	v_mov_b32_e32 v9, v5
	ds_load_2addr_b64 v[4:7], v168 offset0:13 offset1:14
	v_pk_add_f32 v[64:65], v[64:65], v[8:9] neg_lo:[0,1] neg_hi:[0,1]
	s_wait_dscnt 0x0
	v_pk_mul_f32 v[8:9], v[4:5], v[2:3] op_sel:[0,1]
	s_delay_alu instid0(VALU_DEP_1) | instskip(SKIP_1) | instid1(VALU_DEP_1)
	v_pk_fma_f32 v[10:11], v[4:5], v[0:1], v[8:9] op_sel:[0,0,1] op_sel_hi:[1,1,0] neg_lo:[0,0,1] neg_hi:[0,0,1]
	v_pk_fma_f32 v[4:5], v[4:5], v[0:1], v[8:9] op_sel:[0,0,1] op_sel_hi:[1,0,0]
	v_mov_b32_e32 v11, v5
	v_pk_mul_f32 v[4:5], v[6:7], v[2:3] op_sel:[0,1]
	s_delay_alu instid0(VALU_DEP_2) | instskip(NEXT) | instid1(VALU_DEP_2)
	v_pk_add_f32 v[60:61], v[60:61], v[10:11] neg_lo:[0,1] neg_hi:[0,1]
	v_pk_fma_f32 v[8:9], v[6:7], v[0:1], v[4:5] op_sel:[0,0,1] op_sel_hi:[1,1,0] neg_lo:[0,0,1] neg_hi:[0,0,1]
	v_pk_fma_f32 v[4:5], v[6:7], v[0:1], v[4:5] op_sel:[0,0,1] op_sel_hi:[1,0,0]
	s_delay_alu instid0(VALU_DEP_1) | instskip(SKIP_4) | instid1(VALU_DEP_1)
	v_mov_b32_e32 v9, v5
	ds_load_2addr_b64 v[4:7], v168 offset0:15 offset1:16
	v_pk_add_f32 v[62:63], v[62:63], v[8:9] neg_lo:[0,1] neg_hi:[0,1]
	s_wait_dscnt 0x0
	v_pk_mul_f32 v[8:9], v[4:5], v[2:3] op_sel:[0,1]
	v_pk_fma_f32 v[10:11], v[4:5], v[0:1], v[8:9] op_sel:[0,0,1] op_sel_hi:[1,1,0] neg_lo:[0,0,1] neg_hi:[0,0,1]
	v_pk_fma_f32 v[4:5], v[4:5], v[0:1], v[8:9] op_sel:[0,0,1] op_sel_hi:[1,0,0]
	v_dual_mul_f32 v8, v7, v3 :: v_dual_mov_b32 v4, v7
	s_delay_alu instid0(VALU_DEP_2) | instskip(NEXT) | instid1(VALU_DEP_2)
	v_dual_mov_b32 v11, v5 :: v_dual_mov_b32 v5, v6
	v_pk_fma_f32 v[8:9], v[6:7], v[46:47], v[8:9] op_sel_hi:[1,1,0] neg_lo:[0,0,1] neg_hi:[0,0,1]
	v_mul_f32_e32 v6, v7, v0
	s_delay_alu instid0(VALU_DEP_3) | instskip(NEXT) | instid1(VALU_DEP_2)
	v_pk_add_f32 v[58:59], v[58:59], v[10:11] neg_lo:[0,1] neg_hi:[0,1]
	v_pk_fma_f32 v[4:5], v[4:5], v[46:47], v[6:7] op_sel_hi:[1,1,0]
	s_delay_alu instid0(VALU_DEP_1) | instskip(SKIP_4) | instid1(VALU_DEP_1)
	v_mov_b32_e32 v9, v5
	ds_load_2addr_b64 v[4:7], v168 offset0:17 offset1:18
	v_pk_add_f32 v[80:81], v[80:81], v[8:9] neg_lo:[0,1] neg_hi:[0,1]
	s_wait_dscnt 0x0
	v_pk_mul_f32 v[8:9], v[4:5], v[2:3] op_sel:[0,1]
	v_pk_fma_f32 v[10:11], v[4:5], v[0:1], v[8:9] op_sel:[0,0,1] op_sel_hi:[1,1,0] neg_lo:[0,0,1] neg_hi:[0,0,1]
	v_pk_fma_f32 v[4:5], v[4:5], v[0:1], v[8:9] op_sel:[0,0,1] op_sel_hi:[1,0,0]
	s_delay_alu instid0(VALU_DEP_1) | instskip(SKIP_1) | instid1(VALU_DEP_1)
	v_mov_b32_e32 v11, v5
	v_pk_mul_f32 v[4:5], v[6:7], v[2:3] op_sel:[0,1]
	v_pk_fma_f32 v[8:9], v[6:7], v[0:1], v[4:5] op_sel:[0,0,1] op_sel_hi:[1,1,0] neg_lo:[0,0,1] neg_hi:[0,0,1]
	v_pk_fma_f32 v[4:5], v[6:7], v[0:1], v[4:5] op_sel:[0,0,1] op_sel_hi:[1,0,0]
	s_delay_alu instid0(VALU_DEP_1)
	v_mov_b32_e32 v9, v5
	ds_load_2addr_b64 v[4:7], v168 offset0:19 offset1:20
	v_pk_add_f32 v[76:77], v[76:77], v[10:11] neg_lo:[0,1] neg_hi:[0,1]
	v_pk_add_f32 v[78:79], v[78:79], v[8:9] neg_lo:[0,1] neg_hi:[0,1]
	s_wait_dscnt 0x0
	v_pk_mul_f32 v[8:9], v[4:5], v[2:3] op_sel:[0,1]
	s_delay_alu instid0(VALU_DEP_1) | instskip(SKIP_1) | instid1(VALU_DEP_1)
	v_pk_fma_f32 v[10:11], v[4:5], v[0:1], v[8:9] op_sel:[0,0,1] op_sel_hi:[1,1,0] neg_lo:[0,0,1] neg_hi:[0,0,1]
	v_pk_fma_f32 v[4:5], v[4:5], v[0:1], v[8:9] op_sel:[0,0,1] op_sel_hi:[1,0,0]
	v_mov_b32_e32 v11, v5
	v_pk_mul_f32 v[4:5], v[6:7], v[2:3] op_sel:[0,1]
	s_delay_alu instid0(VALU_DEP_1) | instskip(SKIP_1) | instid1(VALU_DEP_1)
	v_pk_fma_f32 v[8:9], v[6:7], v[0:1], v[4:5] op_sel:[0,0,1] op_sel_hi:[1,1,0] neg_lo:[0,0,1] neg_hi:[0,0,1]
	v_pk_fma_f32 v[4:5], v[6:7], v[0:1], v[4:5] op_sel:[0,0,1] op_sel_hi:[1,0,0]
	v_mov_b32_e32 v9, v5
	ds_load_2addr_b64 v[4:7], v168 offset0:21 offset1:22
	v_pk_add_f32 v[74:75], v[74:75], v[10:11] neg_lo:[0,1] neg_hi:[0,1]
	v_pk_add_f32 v[98:99], v[98:99], v[8:9] neg_lo:[0,1] neg_hi:[0,1]
	s_wait_dscnt 0x0
	v_dual_mul_f32 v8, v5, v3 :: v_dual_mul_f32 v10, v5, v0
	s_delay_alu instid0(VALU_DEP_1) | instskip(NEXT) | instid1(VALU_DEP_2)
	v_pk_fma_f32 v[8:9], v[4:5], v[46:47], v[8:9] op_sel_hi:[1,1,0] neg_lo:[0,0,1] neg_hi:[0,0,1]
	v_pk_fma_f32 v[4:5], v[4:5], v[46:47], v[10:11] op_sel:[1,0,0] op_sel_hi:[0,1,0]
	s_delay_alu instid0(VALU_DEP_1) | instskip(SKIP_1) | instid1(VALU_DEP_2)
	v_mov_b32_e32 v9, v5
	v_pk_mul_f32 v[4:5], v[6:7], v[2:3] op_sel:[0,1]
	v_pk_add_f32 v[94:95], v[94:95], v[8:9] neg_lo:[0,1] neg_hi:[0,1]
	s_delay_alu instid0(VALU_DEP_2) | instskip(SKIP_1) | instid1(VALU_DEP_1)
	v_pk_fma_f32 v[8:9], v[6:7], v[0:1], v[4:5] op_sel:[0,0,1] op_sel_hi:[1,1,0] neg_lo:[0,0,1] neg_hi:[0,0,1]
	v_pk_fma_f32 v[4:5], v[6:7], v[0:1], v[4:5] op_sel:[0,0,1] op_sel_hi:[1,0,0]
	v_mov_b32_e32 v9, v5
	ds_load_2addr_b64 v[4:7], v168 offset0:23 offset1:24
	v_pk_add_f32 v[96:97], v[96:97], v[8:9] neg_lo:[0,1] neg_hi:[0,1]
	s_wait_dscnt 0x0
	v_pk_mul_f32 v[8:9], v[4:5], v[2:3] op_sel:[0,1]
	s_delay_alu instid0(VALU_DEP_1) | instskip(SKIP_1) | instid1(VALU_DEP_1)
	v_pk_fma_f32 v[10:11], v[4:5], v[0:1], v[8:9] op_sel:[0,0,1] op_sel_hi:[1,1,0] neg_lo:[0,0,1] neg_hi:[0,0,1]
	v_pk_fma_f32 v[4:5], v[4:5], v[0:1], v[8:9] op_sel:[0,0,1] op_sel_hi:[1,0,0]
	v_mov_b32_e32 v11, v5
	v_pk_mul_f32 v[4:5], v[6:7], v[2:3] op_sel:[0,1]
	s_delay_alu instid0(VALU_DEP_2) | instskip(NEXT) | instid1(VALU_DEP_2)
	v_pk_add_f32 v[92:93], v[92:93], v[10:11] neg_lo:[0,1] neg_hi:[0,1]
	v_pk_fma_f32 v[8:9], v[6:7], v[0:1], v[4:5] op_sel:[0,0,1] op_sel_hi:[1,1,0] neg_lo:[0,0,1] neg_hi:[0,0,1]
	v_pk_fma_f32 v[4:5], v[6:7], v[0:1], v[4:5] op_sel:[0,0,1] op_sel_hi:[1,0,0]
	s_delay_alu instid0(VALU_DEP_1) | instskip(SKIP_4) | instid1(VALU_DEP_1)
	v_mov_b32_e32 v9, v5
	ds_load_2addr_b64 v[4:7], v168 offset0:25 offset1:26
	v_pk_add_f32 v[114:115], v[114:115], v[8:9] neg_lo:[0,1] neg_hi:[0,1]
	s_wait_dscnt 0x0
	v_pk_mul_f32 v[8:9], v[4:5], v[2:3] op_sel:[0,1]
	v_pk_fma_f32 v[10:11], v[4:5], v[0:1], v[8:9] op_sel:[0,0,1] op_sel_hi:[1,1,0] neg_lo:[0,0,1] neg_hi:[0,0,1]
	v_pk_fma_f32 v[4:5], v[4:5], v[0:1], v[8:9] op_sel:[0,0,1] op_sel_hi:[1,0,0]
	v_dual_mul_f32 v8, v7, v3 :: v_dual_mov_b32 v4, v7
	s_delay_alu instid0(VALU_DEP_2) | instskip(NEXT) | instid1(VALU_DEP_2)
	v_dual_mov_b32 v11, v5 :: v_dual_mov_b32 v5, v6
	v_pk_fma_f32 v[8:9], v[6:7], v[46:47], v[8:9] op_sel_hi:[1,1,0] neg_lo:[0,0,1] neg_hi:[0,0,1]
	v_mul_f32_e32 v6, v7, v0
	s_delay_alu instid0(VALU_DEP_3) | instskip(NEXT) | instid1(VALU_DEP_2)
	v_pk_add_f32 v[110:111], v[110:111], v[10:11] neg_lo:[0,1] neg_hi:[0,1]
	v_pk_fma_f32 v[4:5], v[4:5], v[46:47], v[6:7] op_sel_hi:[1,1,0]
	s_delay_alu instid0(VALU_DEP_1) | instskip(SKIP_4) | instid1(VALU_DEP_1)
	v_mov_b32_e32 v9, v5
	ds_load_2addr_b64 v[4:7], v168 offset0:27 offset1:28
	v_pk_add_f32 v[112:113], v[112:113], v[8:9] neg_lo:[0,1] neg_hi:[0,1]
	s_wait_dscnt 0x0
	v_pk_mul_f32 v[8:9], v[4:5], v[2:3] op_sel:[0,1]
	v_pk_fma_f32 v[10:11], v[4:5], v[0:1], v[8:9] op_sel:[0,0,1] op_sel_hi:[1,1,0] neg_lo:[0,0,1] neg_hi:[0,0,1]
	v_pk_fma_f32 v[4:5], v[4:5], v[0:1], v[8:9] op_sel:[0,0,1] op_sel_hi:[1,0,0]
	s_delay_alu instid0(VALU_DEP_1) | instskip(SKIP_1) | instid1(VALU_DEP_1)
	v_mov_b32_e32 v11, v5
	v_pk_mul_f32 v[4:5], v[6:7], v[2:3] op_sel:[0,1]
	v_pk_fma_f32 v[8:9], v[6:7], v[0:1], v[4:5] op_sel:[0,0,1] op_sel_hi:[1,1,0] neg_lo:[0,0,1] neg_hi:[0,0,1]
	v_pk_fma_f32 v[4:5], v[6:7], v[0:1], v[4:5] op_sel:[0,0,1] op_sel_hi:[1,0,0]
	s_delay_alu instid0(VALU_DEP_1)
	v_mov_b32_e32 v9, v5
	ds_load_2addr_b64 v[4:7], v168 offset0:29 offset1:30
	v_pk_add_f32 v[108:109], v[108:109], v[10:11] neg_lo:[0,1] neg_hi:[0,1]
	v_pk_add_f32 v[130:131], v[130:131], v[8:9] neg_lo:[0,1] neg_hi:[0,1]
	s_wait_dscnt 0x0
	v_pk_mul_f32 v[8:9], v[4:5], v[2:3] op_sel:[0,1]
	s_delay_alu instid0(VALU_DEP_1) | instskip(SKIP_1) | instid1(VALU_DEP_1)
	v_pk_fma_f32 v[10:11], v[4:5], v[0:1], v[8:9] op_sel:[0,0,1] op_sel_hi:[1,1,0] neg_lo:[0,0,1] neg_hi:[0,0,1]
	v_pk_fma_f32 v[4:5], v[4:5], v[0:1], v[8:9] op_sel:[0,0,1] op_sel_hi:[1,0,0]
	v_mov_b32_e32 v11, v5
	v_pk_mul_f32 v[4:5], v[6:7], v[2:3] op_sel:[0,1]
	s_delay_alu instid0(VALU_DEP_1) | instskip(SKIP_1) | instid1(VALU_DEP_1)
	v_pk_fma_f32 v[8:9], v[6:7], v[0:1], v[4:5] op_sel:[0,0,1] op_sel_hi:[1,1,0] neg_lo:[0,0,1] neg_hi:[0,0,1]
	v_pk_fma_f32 v[4:5], v[6:7], v[0:1], v[4:5] op_sel:[0,0,1] op_sel_hi:[1,0,0]
	v_mov_b32_e32 v9, v5
	ds_load_2addr_b64 v[4:7], v168 offset0:31 offset1:32
	v_pk_add_f32 v[126:127], v[126:127], v[10:11] neg_lo:[0,1] neg_hi:[0,1]
	v_pk_add_f32 v[128:129], v[128:129], v[8:9] neg_lo:[0,1] neg_hi:[0,1]
	s_wait_dscnt 0x0
	v_dual_mul_f32 v8, v5, v3 :: v_dual_mul_f32 v10, v5, v0
	s_delay_alu instid0(VALU_DEP_1) | instskip(NEXT) | instid1(VALU_DEP_2)
	v_pk_fma_f32 v[8:9], v[4:5], v[46:47], v[8:9] op_sel_hi:[1,1,0] neg_lo:[0,0,1] neg_hi:[0,0,1]
	v_pk_fma_f32 v[4:5], v[4:5], v[46:47], v[10:11] op_sel:[1,0,0] op_sel_hi:[0,1,0]
	s_delay_alu instid0(VALU_DEP_1) | instskip(SKIP_1) | instid1(VALU_DEP_2)
	v_mov_b32_e32 v9, v5
	v_pk_mul_f32 v[4:5], v[6:7], v[2:3] op_sel:[0,1]
	v_pk_add_f32 v[124:125], v[124:125], v[8:9] neg_lo:[0,1] neg_hi:[0,1]
	s_delay_alu instid0(VALU_DEP_2) | instskip(SKIP_1) | instid1(VALU_DEP_1)
	v_pk_fma_f32 v[8:9], v[6:7], v[0:1], v[4:5] op_sel:[0,0,1] op_sel_hi:[1,1,0] neg_lo:[0,0,1] neg_hi:[0,0,1]
	v_pk_fma_f32 v[4:5], v[6:7], v[0:1], v[4:5] op_sel:[0,0,1] op_sel_hi:[1,0,0]
	v_mov_b32_e32 v9, v5
	ds_load_2addr_b64 v[4:7], v168 offset0:33 offset1:34
	v_pk_add_f32 v[146:147], v[146:147], v[8:9] neg_lo:[0,1] neg_hi:[0,1]
	s_wait_dscnt 0x0
	v_pk_mul_f32 v[8:9], v[4:5], v[2:3] op_sel:[0,1]
	s_delay_alu instid0(VALU_DEP_1) | instskip(SKIP_1) | instid1(VALU_DEP_1)
	v_pk_fma_f32 v[10:11], v[4:5], v[0:1], v[8:9] op_sel:[0,0,1] op_sel_hi:[1,1,0] neg_lo:[0,0,1] neg_hi:[0,0,1]
	v_pk_fma_f32 v[4:5], v[4:5], v[0:1], v[8:9] op_sel:[0,0,1] op_sel_hi:[1,0,0]
	v_mov_b32_e32 v11, v5
	v_pk_mul_f32 v[4:5], v[6:7], v[2:3] op_sel:[0,1]
	s_delay_alu instid0(VALU_DEP_2) | instskip(NEXT) | instid1(VALU_DEP_2)
	v_pk_add_f32 v[142:143], v[142:143], v[10:11] neg_lo:[0,1] neg_hi:[0,1]
	v_pk_fma_f32 v[8:9], v[6:7], v[0:1], v[4:5] op_sel:[0,0,1] op_sel_hi:[1,1,0] neg_lo:[0,0,1] neg_hi:[0,0,1]
	v_pk_fma_f32 v[4:5], v[6:7], v[0:1], v[4:5] op_sel:[0,0,1] op_sel_hi:[1,0,0]
	s_delay_alu instid0(VALU_DEP_1) | instskip(SKIP_4) | instid1(VALU_DEP_1)
	v_mov_b32_e32 v9, v5
	ds_load_2addr_b64 v[4:7], v168 offset0:35 offset1:36
	v_pk_add_f32 v[144:145], v[144:145], v[8:9] neg_lo:[0,1] neg_hi:[0,1]
	s_wait_dscnt 0x0
	v_pk_mul_f32 v[8:9], v[4:5], v[2:3] op_sel:[0,1]
	v_pk_fma_f32 v[10:11], v[4:5], v[0:1], v[8:9] op_sel:[0,0,1] op_sel_hi:[1,1,0] neg_lo:[0,0,1] neg_hi:[0,0,1]
	v_pk_fma_f32 v[4:5], v[4:5], v[0:1], v[8:9] op_sel:[0,0,1] op_sel_hi:[1,0,0]
	v_dual_mul_f32 v8, v7, v3 :: v_dual_mov_b32 v4, v7
	s_delay_alu instid0(VALU_DEP_2) | instskip(NEXT) | instid1(VALU_DEP_2)
	v_dual_mov_b32 v11, v5 :: v_dual_mov_b32 v5, v6
	v_pk_fma_f32 v[8:9], v[6:7], v[46:47], v[8:9] op_sel_hi:[1,1,0] neg_lo:[0,0,1] neg_hi:[0,0,1]
	v_mul_f32_e32 v6, v7, v0
	s_delay_alu instid0(VALU_DEP_3) | instskip(NEXT) | instid1(VALU_DEP_2)
	v_pk_add_f32 v[140:141], v[140:141], v[10:11] neg_lo:[0,1] neg_hi:[0,1]
	v_pk_fma_f32 v[4:5], v[4:5], v[46:47], v[6:7] op_sel_hi:[1,1,0]
	s_delay_alu instid0(VALU_DEP_1) | instskip(SKIP_4) | instid1(VALU_DEP_1)
	v_mov_b32_e32 v9, v5
	ds_load_2addr_b64 v[4:7], v168 offset0:37 offset1:38
	v_pk_add_f32 v[162:163], v[162:163], v[8:9] neg_lo:[0,1] neg_hi:[0,1]
	s_wait_dscnt 0x0
	v_pk_mul_f32 v[8:9], v[4:5], v[2:3] op_sel:[0,1]
	v_pk_fma_f32 v[10:11], v[4:5], v[0:1], v[8:9] op_sel:[0,0,1] op_sel_hi:[1,1,0] neg_lo:[0,0,1] neg_hi:[0,0,1]
	v_pk_fma_f32 v[4:5], v[4:5], v[0:1], v[8:9] op_sel:[0,0,1] op_sel_hi:[1,0,0]
	s_delay_alu instid0(VALU_DEP_1) | instskip(SKIP_1) | instid1(VALU_DEP_1)
	v_mov_b32_e32 v11, v5
	v_pk_mul_f32 v[4:5], v[6:7], v[2:3] op_sel:[0,1]
	v_pk_fma_f32 v[8:9], v[6:7], v[0:1], v[4:5] op_sel:[0,0,1] op_sel_hi:[1,1,0] neg_lo:[0,0,1] neg_hi:[0,0,1]
	v_pk_fma_f32 v[4:5], v[6:7], v[0:1], v[4:5] op_sel:[0,0,1] op_sel_hi:[1,0,0]
	s_delay_alu instid0(VALU_DEP_1)
	v_mov_b32_e32 v9, v5
	ds_load_2addr_b64 v[4:7], v168 offset0:39 offset1:40
	v_pk_add_f32 v[158:159], v[158:159], v[10:11] neg_lo:[0,1] neg_hi:[0,1]
	v_pk_add_f32 v[160:161], v[160:161], v[8:9] neg_lo:[0,1] neg_hi:[0,1]
	s_wait_dscnt 0x0
	v_pk_mul_f32 v[8:9], v[4:5], v[2:3] op_sel:[0,1]
	s_delay_alu instid0(VALU_DEP_1) | instskip(SKIP_1) | instid1(VALU_DEP_1)
	v_pk_fma_f32 v[10:11], v[4:5], v[0:1], v[8:9] op_sel:[0,0,1] op_sel_hi:[1,1,0] neg_lo:[0,0,1] neg_hi:[0,0,1]
	v_pk_fma_f32 v[4:5], v[4:5], v[0:1], v[8:9] op_sel:[0,0,1] op_sel_hi:[1,0,0]
	v_mov_b32_e32 v11, v5
	v_pk_mul_f32 v[4:5], v[6:7], v[2:3] op_sel:[0,1]
	s_delay_alu instid0(VALU_DEP_1) | instskip(SKIP_1) | instid1(VALU_DEP_1)
	v_pk_fma_f32 v[8:9], v[6:7], v[0:1], v[4:5] op_sel:[0,0,1] op_sel_hi:[1,1,0] neg_lo:[0,0,1] neg_hi:[0,0,1]
	v_pk_fma_f32 v[4:5], v[6:7], v[0:1], v[4:5] op_sel:[0,0,1] op_sel_hi:[1,0,0]
	v_mov_b32_e32 v9, v5
	ds_load_2addr_b64 v[4:7], v168 offset0:41 offset1:42
	v_pk_add_f32 v[156:157], v[156:157], v[10:11] neg_lo:[0,1] neg_hi:[0,1]
	v_pk_add_f32 v[178:179], v[178:179], v[8:9] neg_lo:[0,1] neg_hi:[0,1]
	s_wait_dscnt 0x0
	v_dual_mul_f32 v8, v5, v3 :: v_dual_mul_f32 v10, v5, v0
	s_delay_alu instid0(VALU_DEP_1) | instskip(NEXT) | instid1(VALU_DEP_2)
	v_pk_fma_f32 v[8:9], v[4:5], v[46:47], v[8:9] op_sel_hi:[1,1,0] neg_lo:[0,0,1] neg_hi:[0,0,1]
	v_pk_fma_f32 v[4:5], v[4:5], v[46:47], v[10:11] op_sel:[1,0,0] op_sel_hi:[0,1,0]
	s_delay_alu instid0(VALU_DEP_1) | instskip(SKIP_1) | instid1(VALU_DEP_2)
	v_mov_b32_e32 v9, v5
	v_pk_mul_f32 v[4:5], v[6:7], v[2:3] op_sel:[0,1]
	v_pk_add_f32 v[174:175], v[174:175], v[8:9] neg_lo:[0,1] neg_hi:[0,1]
	s_delay_alu instid0(VALU_DEP_2) | instskip(SKIP_1) | instid1(VALU_DEP_1)
	v_pk_fma_f32 v[8:9], v[6:7], v[0:1], v[4:5] op_sel:[0,0,1] op_sel_hi:[1,1,0] neg_lo:[0,0,1] neg_hi:[0,0,1]
	v_pk_fma_f32 v[4:5], v[6:7], v[0:1], v[4:5] op_sel:[0,0,1] op_sel_hi:[1,0,0]
	v_mov_b32_e32 v9, v5
	ds_load_2addr_b64 v[4:7], v168 offset0:43 offset1:44
	v_pk_add_f32 v[176:177], v[176:177], v[8:9] neg_lo:[0,1] neg_hi:[0,1]
	s_wait_dscnt 0x0
	v_pk_mul_f32 v[8:9], v[4:5], v[2:3] op_sel:[0,1]
	s_delay_alu instid0(VALU_DEP_1) | instskip(SKIP_1) | instid1(VALU_DEP_1)
	v_pk_fma_f32 v[10:11], v[4:5], v[0:1], v[8:9] op_sel:[0,0,1] op_sel_hi:[1,1,0] neg_lo:[0,0,1] neg_hi:[0,0,1]
	v_pk_fma_f32 v[4:5], v[4:5], v[0:1], v[8:9] op_sel:[0,0,1] op_sel_hi:[1,0,0]
	v_mov_b32_e32 v11, v5
	v_pk_mul_f32 v[4:5], v[6:7], v[2:3] op_sel:[0,1]
	s_delay_alu instid0(VALU_DEP_2) | instskip(NEXT) | instid1(VALU_DEP_2)
	v_pk_add_f32 v[172:173], v[172:173], v[10:11] neg_lo:[0,1] neg_hi:[0,1]
	v_pk_fma_f32 v[8:9], v[6:7], v[0:1], v[4:5] op_sel:[0,0,1] op_sel_hi:[1,1,0] neg_lo:[0,0,1] neg_hi:[0,0,1]
	v_pk_fma_f32 v[4:5], v[6:7], v[0:1], v[4:5] op_sel:[0,0,1] op_sel_hi:[1,0,0]
	s_delay_alu instid0(VALU_DEP_1) | instskip(SKIP_4) | instid1(VALU_DEP_1)
	v_mov_b32_e32 v9, v5
	ds_load_2addr_b64 v[4:7], v168 offset0:45 offset1:46
	v_pk_add_f32 v[198:199], v[198:199], v[8:9] neg_lo:[0,1] neg_hi:[0,1]
	s_wait_dscnt 0x0
	v_pk_mul_f32 v[8:9], v[4:5], v[2:3] op_sel:[0,1]
	v_pk_fma_f32 v[10:11], v[4:5], v[0:1], v[8:9] op_sel:[0,0,1] op_sel_hi:[1,1,0] neg_lo:[0,0,1] neg_hi:[0,0,1]
	v_pk_fma_f32 v[4:5], v[4:5], v[0:1], v[8:9] op_sel:[0,0,1] op_sel_hi:[1,0,0]
	v_dual_mul_f32 v8, v7, v3 :: v_dual_mov_b32 v4, v7
	s_delay_alu instid0(VALU_DEP_2) | instskip(NEXT) | instid1(VALU_DEP_2)
	v_dual_mov_b32 v11, v5 :: v_dual_mov_b32 v5, v6
	v_pk_fma_f32 v[8:9], v[6:7], v[46:47], v[8:9] op_sel_hi:[1,1,0] neg_lo:[0,0,1] neg_hi:[0,0,1]
	v_mul_f32_e32 v6, v7, v0
	s_delay_alu instid0(VALU_DEP_3) | instskip(NEXT) | instid1(VALU_DEP_2)
	v_pk_add_f32 v[194:195], v[194:195], v[10:11] neg_lo:[0,1] neg_hi:[0,1]
	v_pk_fma_f32 v[4:5], v[4:5], v[46:47], v[6:7] op_sel_hi:[1,1,0]
	s_delay_alu instid0(VALU_DEP_1) | instskip(SKIP_4) | instid1(VALU_DEP_1)
	v_mov_b32_e32 v9, v5
	ds_load_2addr_b64 v[4:7], v168 offset0:47 offset1:48
	v_pk_add_f32 v[196:197], v[196:197], v[8:9] neg_lo:[0,1] neg_hi:[0,1]
	s_wait_dscnt 0x0
	v_pk_mul_f32 v[8:9], v[4:5], v[2:3] op_sel:[0,1]
	v_pk_fma_f32 v[10:11], v[4:5], v[0:1], v[8:9] op_sel:[0,0,1] op_sel_hi:[1,1,0] neg_lo:[0,0,1] neg_hi:[0,0,1]
	v_pk_fma_f32 v[4:5], v[4:5], v[0:1], v[8:9] op_sel:[0,0,1] op_sel_hi:[1,0,0]
	s_delay_alu instid0(VALU_DEP_1) | instskip(SKIP_1) | instid1(VALU_DEP_1)
	v_mov_b32_e32 v11, v5
	v_pk_mul_f32 v[4:5], v[6:7], v[2:3] op_sel:[0,1]
	v_pk_fma_f32 v[8:9], v[6:7], v[0:1], v[4:5] op_sel:[0,0,1] op_sel_hi:[1,1,0] neg_lo:[0,0,1] neg_hi:[0,0,1]
	v_pk_fma_f32 v[4:5], v[6:7], v[0:1], v[4:5] op_sel:[0,0,1] op_sel_hi:[1,0,0]
	s_delay_alu instid0(VALU_DEP_1)
	v_mov_b32_e32 v9, v5
	ds_load_2addr_b64 v[4:7], v168 offset0:49 offset1:50
	v_pk_add_f32 v[192:193], v[192:193], v[10:11] neg_lo:[0,1] neg_hi:[0,1]
	v_pk_add_f32 v[220:221], v[220:221], v[8:9] neg_lo:[0,1] neg_hi:[0,1]
	s_wait_dscnt 0x0
	v_pk_mul_f32 v[8:9], v[4:5], v[2:3] op_sel:[0,1]
	s_delay_alu instid0(VALU_DEP_1) | instskip(SKIP_1) | instid1(VALU_DEP_1)
	v_pk_fma_f32 v[10:11], v[4:5], v[0:1], v[8:9] op_sel:[0,0,1] op_sel_hi:[1,1,0] neg_lo:[0,0,1] neg_hi:[0,0,1]
	v_pk_fma_f32 v[4:5], v[4:5], v[0:1], v[8:9] op_sel:[0,0,1] op_sel_hi:[1,0,0]
	v_mov_b32_e32 v11, v5
	v_pk_mul_f32 v[4:5], v[6:7], v[2:3] op_sel:[0,1]
	s_delay_alu instid0(VALU_DEP_1) | instskip(SKIP_1) | instid1(VALU_DEP_1)
	v_pk_fma_f32 v[8:9], v[6:7], v[0:1], v[4:5] op_sel:[0,0,1] op_sel_hi:[1,1,0] neg_lo:[0,0,1] neg_hi:[0,0,1]
	v_pk_fma_f32 v[4:5], v[6:7], v[0:1], v[4:5] op_sel:[0,0,1] op_sel_hi:[1,0,0]
	v_mov_b32_e32 v9, v5
	ds_load_2addr_b64 v[4:7], v168 offset0:51 offset1:52
	v_pk_add_f32 v[214:215], v[214:215], v[10:11] neg_lo:[0,1] neg_hi:[0,1]
	v_pk_add_f32 v[218:219], v[218:219], v[8:9] neg_lo:[0,1] neg_hi:[0,1]
	s_wait_dscnt 0x0
	v_dual_mul_f32 v8, v5, v3 :: v_dual_mul_f32 v10, v5, v0
	s_delay_alu instid0(VALU_DEP_1) | instskip(NEXT) | instid1(VALU_DEP_2)
	v_pk_fma_f32 v[8:9], v[4:5], v[46:47], v[8:9] op_sel_hi:[1,1,0] neg_lo:[0,0,1] neg_hi:[0,0,1]
	v_pk_fma_f32 v[4:5], v[4:5], v[46:47], v[10:11] op_sel:[1,0,0] op_sel_hi:[0,1,0]
	s_delay_alu instid0(VALU_DEP_1) | instskip(SKIP_1) | instid1(VALU_DEP_2)
	v_mov_b32_e32 v9, v5
	v_pk_mul_f32 v[4:5], v[6:7], v[2:3] op_sel:[0,1]
	v_pk_add_f32 v[212:213], v[212:213], v[8:9] neg_lo:[0,1] neg_hi:[0,1]
	s_delay_alu instid0(VALU_DEP_2) | instskip(SKIP_1) | instid1(VALU_DEP_1)
	v_pk_fma_f32 v[8:9], v[6:7], v[0:1], v[4:5] op_sel:[0,0,1] op_sel_hi:[1,1,0] neg_lo:[0,0,1] neg_hi:[0,0,1]
	v_pk_fma_f32 v[4:5], v[6:7], v[0:1], v[4:5] op_sel:[0,0,1] op_sel_hi:[1,0,0]
	v_mov_b32_e32 v9, v5
	ds_load_2addr_b64 v[4:7], v168 offset0:53 offset1:54
	v_pk_add_f32 v[216:217], v[216:217], v[8:9] neg_lo:[0,1] neg_hi:[0,1]
	s_wait_dscnt 0x0
	v_pk_mul_f32 v[8:9], v[4:5], v[2:3] op_sel:[0,1]
	s_delay_alu instid0(VALU_DEP_1) | instskip(SKIP_1) | instid1(VALU_DEP_1)
	v_pk_fma_f32 v[10:11], v[4:5], v[0:1], v[8:9] op_sel:[0,0,1] op_sel_hi:[1,1,0] neg_lo:[0,0,1] neg_hi:[0,0,1]
	v_pk_fma_f32 v[4:5], v[4:5], v[0:1], v[8:9] op_sel:[0,0,1] op_sel_hi:[1,0,0]
	v_mov_b32_e32 v11, v5
	v_pk_mul_f32 v[4:5], v[6:7], v[2:3] op_sel:[0,1]
	s_delay_alu instid0(VALU_DEP_2) | instskip(NEXT) | instid1(VALU_DEP_2)
	v_pk_add_f32 v[210:211], v[210:211], v[10:11] neg_lo:[0,1] neg_hi:[0,1]
	v_pk_fma_f32 v[8:9], v[6:7], v[0:1], v[4:5] op_sel:[0,0,1] op_sel_hi:[1,1,0] neg_lo:[0,0,1] neg_hi:[0,0,1]
	v_pk_fma_f32 v[4:5], v[6:7], v[0:1], v[4:5] op_sel:[0,0,1] op_sel_hi:[1,0,0]
	s_delay_alu instid0(VALU_DEP_1) | instskip(SKIP_4) | instid1(VALU_DEP_1)
	v_mov_b32_e32 v9, v5
	ds_load_b64 v[4:5], v168 offset:440
	v_pk_add_f32 v[222:223], v[222:223], v[8:9] neg_lo:[0,1] neg_hi:[0,1]
	s_wait_dscnt 0x0
	v_pk_mul_f32 v[2:3], v[4:5], v[2:3] op_sel:[0,1]
	v_pk_fma_f32 v[6:7], v[4:5], v[0:1], v[2:3] op_sel:[0,0,1] op_sel_hi:[1,1,0] neg_lo:[0,0,1] neg_hi:[0,0,1]
	v_pk_fma_f32 v[0:1], v[4:5], v[0:1], v[2:3] op_sel:[0,0,1] op_sel_hi:[1,0,0]
	s_delay_alu instid0(VALU_DEP_1) | instskip(NEXT) | instid1(VALU_DEP_1)
	v_mov_b32_e32 v7, v1
	v_pk_add_f32 v[224:225], v[224:225], v[6:7] neg_lo:[0,1] neg_hi:[0,1]
.LBB111_28:
	s_wait_xcnt 0x0
	s_or_b32 exec_lo, exec_lo, s1
	s_delay_alu instid0(SALU_CYCLE_1)
	s_mov_b32 s2, exec_lo
	s_wait_storecnt 0x0
	s_barrier_signal -1
	s_barrier_wait -1
	v_cmpx_eq_u32_e32 3, v166
	s_cbranch_execz .LBB111_35
; %bb.29:
	v_dual_mov_b32 v0, v26 :: v_dual_mov_b32 v1, v27
	v_dual_mov_b32 v2, v22 :: v_dual_mov_b32 v3, v23
	ds_store_b64 v167, v[44:45]
	ds_store_2addr_b64 v168, v[0:1], v[2:3] offset0:4 offset1:5
	v_dual_mov_b32 v0, v24 :: v_dual_mov_b32 v1, v25
	v_dual_mov_b32 v2, v20 :: v_dual_mov_b32 v3, v21
	ds_store_2addr_b64 v168, v[0:1], v[2:3] offset0:6 offset1:7
	v_dual_mov_b32 v0, v40 :: v_dual_mov_b32 v1, v41
	v_dual_mov_b32 v2, v36 :: v_dual_mov_b32 v3, v37
	;; [unrolled: 3-line block ×24, first 2 shown]
	ds_store_2addr_b64 v168, v[0:1], v[2:3] offset0:52 offset1:53
	v_dual_mov_b32 v0, v222 :: v_dual_mov_b32 v1, v223
	ds_store_2addr_b64 v168, v[0:1], v[224:225] offset0:54 offset1:55
	ds_load_b64 v[0:1], v167
	s_wait_dscnt 0x0
	v_cmp_neq_f32_e32 vcc_lo, 0, v0
	v_cmp_neq_f32_e64 s1, 0, v1
	s_or_b32 s1, vcc_lo, s1
	s_delay_alu instid0(SALU_CYCLE_1)
	s_and_b32 exec_lo, exec_lo, s1
	s_cbranch_execz .LBB111_35
; %bb.30:
	v_cmp_ngt_f32_e64 s1, |v0|, |v1|
                                        ; implicit-def: $vgpr2_vgpr3
	s_and_saveexec_b32 s4, s1
	s_delay_alu instid0(SALU_CYCLE_1)
	s_xor_b32 s1, exec_lo, s4
	s_cbranch_execz .LBB111_32
; %bb.31:
	v_div_scale_f32 v2, null, v1, v1, v0
	v_div_scale_f32 v5, vcc_lo, v0, v1, v0
	s_delay_alu instid0(VALU_DEP_2) | instskip(SKIP_1) | instid1(TRANS32_DEP_1)
	v_rcp_f32_e32 v3, v2
	v_nop
	v_fma_f32 v4, -v2, v3, 1.0
	s_delay_alu instid0(VALU_DEP_1) | instskip(NEXT) | instid1(VALU_DEP_1)
	v_fmac_f32_e32 v3, v4, v3
	v_mul_f32_e32 v4, v5, v3
	s_delay_alu instid0(VALU_DEP_1) | instskip(NEXT) | instid1(VALU_DEP_1)
	v_fma_f32 v6, -v2, v4, v5
	v_fmac_f32_e32 v4, v6, v3
	s_delay_alu instid0(VALU_DEP_1) | instskip(NEXT) | instid1(VALU_DEP_1)
	v_fma_f32 v2, -v2, v4, v5
	v_div_fmas_f32 v2, v2, v3, v4
	s_delay_alu instid0(VALU_DEP_1) | instskip(NEXT) | instid1(VALU_DEP_1)
	v_div_fixup_f32 v2, v2, v1, v0
	v_fmac_f32_e32 v1, v0, v2
	s_delay_alu instid0(VALU_DEP_1) | instskip(SKIP_1) | instid1(VALU_DEP_2)
	v_div_scale_f32 v0, null, v1, v1, 1.0
	v_div_scale_f32 v5, vcc_lo, 1.0, v1, 1.0
	v_rcp_f32_e32 v3, v0
	v_nop
	s_delay_alu instid0(TRANS32_DEP_1) | instskip(NEXT) | instid1(VALU_DEP_1)
	v_fma_f32 v4, -v0, v3, 1.0
	v_fmac_f32_e32 v3, v4, v3
	s_delay_alu instid0(VALU_DEP_1) | instskip(NEXT) | instid1(VALU_DEP_1)
	v_mul_f32_e32 v4, v5, v3
	v_fma_f32 v6, -v0, v4, v5
	s_delay_alu instid0(VALU_DEP_1) | instskip(NEXT) | instid1(VALU_DEP_1)
	v_fmac_f32_e32 v4, v6, v3
	v_fma_f32 v0, -v0, v4, v5
	s_delay_alu instid0(VALU_DEP_1) | instskip(NEXT) | instid1(VALU_DEP_1)
	v_div_fmas_f32 v0, v0, v3, v4
	v_div_fixup_f32 v0, v0, v1, 1.0
	s_delay_alu instid0(VALU_DEP_1)
	v_mul_f32_e32 v2, v2, v0
	v_xor_b32_e32 v3, 0x80000000, v0
                                        ; implicit-def: $vgpr0_vgpr1
.LBB111_32:
	s_and_not1_saveexec_b32 s1, s1
	s_cbranch_execz .LBB111_34
; %bb.33:
	v_div_scale_f32 v2, null, v0, v0, v1
	v_div_scale_f32 v5, vcc_lo, v1, v0, v1
	s_delay_alu instid0(VALU_DEP_2) | instskip(SKIP_1) | instid1(TRANS32_DEP_1)
	v_rcp_f32_e32 v3, v2
	v_nop
	v_fma_f32 v4, -v2, v3, 1.0
	s_delay_alu instid0(VALU_DEP_1) | instskip(NEXT) | instid1(VALU_DEP_1)
	v_fmac_f32_e32 v3, v4, v3
	v_mul_f32_e32 v4, v5, v3
	s_delay_alu instid0(VALU_DEP_1) | instskip(NEXT) | instid1(VALU_DEP_1)
	v_fma_f32 v6, -v2, v4, v5
	v_fmac_f32_e32 v4, v6, v3
	s_delay_alu instid0(VALU_DEP_1) | instskip(NEXT) | instid1(VALU_DEP_1)
	v_fma_f32 v2, -v2, v4, v5
	v_div_fmas_f32 v2, v2, v3, v4
	s_delay_alu instid0(VALU_DEP_1) | instskip(NEXT) | instid1(VALU_DEP_1)
	v_div_fixup_f32 v3, v2, v0, v1
	v_fmac_f32_e32 v0, v1, v3
	s_delay_alu instid0(VALU_DEP_1) | instskip(NEXT) | instid1(VALU_DEP_1)
	v_div_scale_f32 v1, null, v0, v0, 1.0
	v_rcp_f32_e32 v2, v1
	v_nop
	s_delay_alu instid0(TRANS32_DEP_1) | instskip(NEXT) | instid1(VALU_DEP_1)
	v_fma_f32 v4, -v1, v2, 1.0
	v_fmac_f32_e32 v2, v4, v2
	v_div_scale_f32 v4, vcc_lo, 1.0, v0, 1.0
	s_delay_alu instid0(VALU_DEP_1) | instskip(NEXT) | instid1(VALU_DEP_1)
	v_mul_f32_e32 v5, v4, v2
	v_fma_f32 v6, -v1, v5, v4
	s_delay_alu instid0(VALU_DEP_1) | instskip(NEXT) | instid1(VALU_DEP_1)
	v_fmac_f32_e32 v5, v6, v2
	v_fma_f32 v1, -v1, v5, v4
	s_delay_alu instid0(VALU_DEP_1) | instskip(NEXT) | instid1(VALU_DEP_1)
	v_div_fmas_f32 v1, v1, v2, v5
	v_div_fixup_f32 v2, v1, v0, 1.0
	s_delay_alu instid0(VALU_DEP_1)
	v_mul_f32_e64 v3, v3, -v2
.LBB111_34:
	s_or_b32 exec_lo, exec_lo, s1
	ds_store_b64 v167, v[2:3]
.LBB111_35:
	s_or_b32 exec_lo, exec_lo, s2
	s_wait_dscnt 0x0
	s_barrier_signal -1
	s_barrier_wait -1
	ds_load_b64 v[0:1], v167
	s_mov_b32 s1, exec_lo
	s_wait_dscnt 0x0
	scratch_store_b64 off, v[0:1], off offset:272 ; 8-byte Folded Spill
	s_wait_xcnt 0x0
	v_cmpx_lt_u32_e32 3, v166
	s_cbranch_execz .LBB111_37
; %bb.36:
	scratch_load_b64 v[4:5], off, off offset:272 ; 8-byte Folded Reload
	s_wait_loadcnt 0x0
	v_pk_mul_f32 v[2:3], v[4:5], v[44:45] op_sel:[1,1] op_sel_hi:[0,1]
	s_delay_alu instid0(VALU_DEP_1)
	v_pk_fma_f32 v[0:1], v[4:5], v[44:45], v[2:3] op_sel_hi:[1,0,1] neg_lo:[0,0,1] neg_hi:[0,0,1]
	v_pk_fma_f32 v[2:3], v[4:5], v[44:45], v[2:3] op_sel_hi:[1,0,1]
	ds_load_2addr_b64 v[4:7], v168 offset0:4 offset1:5
	v_dual_mov_b32 v44, v0 :: v_dual_mov_b32 v45, v3
	s_wait_dscnt 0x0
	v_pk_mul_f32 v[8:9], v[4:5], v[2:3] op_sel:[0,1]
	s_delay_alu instid0(VALU_DEP_1) | instskip(SKIP_1) | instid1(VALU_DEP_1)
	v_pk_fma_f32 v[10:11], v[4:5], v[0:1], v[8:9] op_sel:[0,0,1] op_sel_hi:[1,1,0] neg_lo:[0,0,1] neg_hi:[0,0,1]
	v_pk_fma_f32 v[4:5], v[4:5], v[0:1], v[8:9] op_sel:[0,0,1] op_sel_hi:[1,0,0]
	v_mov_b32_e32 v11, v5
	v_pk_mul_f32 v[4:5], v[6:7], v[2:3] op_sel:[0,1]
	s_delay_alu instid0(VALU_DEP_1) | instskip(SKIP_1) | instid1(VALU_DEP_1)
	v_pk_fma_f32 v[8:9], v[6:7], v[0:1], v[4:5] op_sel:[0,0,1] op_sel_hi:[1,1,0] neg_lo:[0,0,1] neg_hi:[0,0,1]
	v_pk_fma_f32 v[4:5], v[6:7], v[0:1], v[4:5] op_sel:[0,0,1] op_sel_hi:[1,0,0]
	v_mov_b32_e32 v9, v5
	ds_load_2addr_b64 v[4:7], v168 offset0:6 offset1:7
	v_pk_add_f32 v[26:27], v[26:27], v[10:11] neg_lo:[0,1] neg_hi:[0,1]
	v_pk_add_f32 v[22:23], v[22:23], v[8:9] neg_lo:[0,1] neg_hi:[0,1]
	s_wait_dscnt 0x0
	v_pk_mul_f32 v[8:9], v[4:5], v[2:3] op_sel:[0,1]
	s_delay_alu instid0(VALU_DEP_1) | instskip(SKIP_2) | instid1(VALU_DEP_2)
	v_pk_fma_f32 v[10:11], v[4:5], v[0:1], v[8:9] op_sel:[0,0,1] op_sel_hi:[1,1,0] neg_lo:[0,0,1] neg_hi:[0,0,1]
	v_pk_fma_f32 v[4:5], v[4:5], v[0:1], v[8:9] op_sel:[0,0,1] op_sel_hi:[1,0,0]
	v_dual_mul_f32 v8, v7, v3 :: v_dual_mov_b32 v4, v7
	v_dual_mov_b32 v11, v5 :: v_dual_mov_b32 v5, v6
	s_delay_alu instid0(VALU_DEP_2) | instskip(SKIP_1) | instid1(VALU_DEP_3)
	v_pk_fma_f32 v[8:9], v[6:7], v[44:45], v[8:9] op_sel_hi:[1,1,0] neg_lo:[0,0,1] neg_hi:[0,0,1]
	v_mul_f32_e32 v6, v7, v0
	v_pk_add_f32 v[24:25], v[24:25], v[10:11] neg_lo:[0,1] neg_hi:[0,1]
	s_delay_alu instid0(VALU_DEP_2) | instskip(NEXT) | instid1(VALU_DEP_1)
	v_pk_fma_f32 v[4:5], v[4:5], v[44:45], v[6:7] op_sel_hi:[1,1,0]
	v_mov_b32_e32 v9, v5
	ds_load_2addr_b64 v[4:7], v168 offset0:8 offset1:9
	v_pk_add_f32 v[20:21], v[20:21], v[8:9] neg_lo:[0,1] neg_hi:[0,1]
	s_wait_dscnt 0x0
	v_pk_mul_f32 v[8:9], v[4:5], v[2:3] op_sel:[0,1]
	s_delay_alu instid0(VALU_DEP_1) | instskip(SKIP_1) | instid1(VALU_DEP_1)
	v_pk_fma_f32 v[10:11], v[4:5], v[0:1], v[8:9] op_sel:[0,0,1] op_sel_hi:[1,1,0] neg_lo:[0,0,1] neg_hi:[0,0,1]
	v_pk_fma_f32 v[4:5], v[4:5], v[0:1], v[8:9] op_sel:[0,0,1] op_sel_hi:[1,0,0]
	v_mov_b32_e32 v11, v5
	v_pk_mul_f32 v[4:5], v[6:7], v[2:3] op_sel:[0,1]
	s_delay_alu instid0(VALU_DEP_1) | instskip(SKIP_1) | instid1(VALU_DEP_1)
	v_pk_fma_f32 v[8:9], v[6:7], v[0:1], v[4:5] op_sel:[0,0,1] op_sel_hi:[1,1,0] neg_lo:[0,0,1] neg_hi:[0,0,1]
	v_pk_fma_f32 v[4:5], v[6:7], v[0:1], v[4:5] op_sel:[0,0,1] op_sel_hi:[1,0,0]
	v_mov_b32_e32 v9, v5
	ds_load_2addr_b64 v[4:7], v168 offset0:10 offset1:11
	v_pk_add_f32 v[40:41], v[40:41], v[10:11] neg_lo:[0,1] neg_hi:[0,1]
	v_pk_add_f32 v[36:37], v[36:37], v[8:9] neg_lo:[0,1] neg_hi:[0,1]
	s_wait_dscnt 0x0
	v_pk_mul_f32 v[8:9], v[4:5], v[2:3] op_sel:[0,1]
	s_delay_alu instid0(VALU_DEP_1) | instskip(SKIP_1) | instid1(VALU_DEP_1)
	v_pk_fma_f32 v[10:11], v[4:5], v[0:1], v[8:9] op_sel:[0,0,1] op_sel_hi:[1,1,0] neg_lo:[0,0,1] neg_hi:[0,0,1]
	v_pk_fma_f32 v[4:5], v[4:5], v[0:1], v[8:9] op_sel:[0,0,1] op_sel_hi:[1,0,0]
	v_mov_b32_e32 v11, v5
	v_pk_mul_f32 v[4:5], v[6:7], v[2:3] op_sel:[0,1]
	s_delay_alu instid0(VALU_DEP_1) | instskip(SKIP_1) | instid1(VALU_DEP_1)
	v_pk_fma_f32 v[8:9], v[6:7], v[0:1], v[4:5] op_sel:[0,0,1] op_sel_hi:[1,1,0] neg_lo:[0,0,1] neg_hi:[0,0,1]
	v_pk_fma_f32 v[4:5], v[6:7], v[0:1], v[4:5] op_sel:[0,0,1] op_sel_hi:[1,0,0]
	v_mov_b32_e32 v9, v5
	ds_load_2addr_b64 v[4:7], v168 offset0:12 offset1:13
	v_pk_add_f32 v[38:39], v[38:39], v[10:11] neg_lo:[0,1] neg_hi:[0,1]
	v_pk_add_f32 v[34:35], v[34:35], v[8:9] neg_lo:[0,1] neg_hi:[0,1]
	s_wait_dscnt 0x0
	v_dual_mul_f32 v8, v5, v3 :: v_dual_mul_f32 v10, v5, v0
	s_delay_alu instid0(VALU_DEP_1) | instskip(NEXT) | instid1(VALU_DEP_2)
	v_pk_fma_f32 v[8:9], v[4:5], v[44:45], v[8:9] op_sel_hi:[1,1,0] neg_lo:[0,0,1] neg_hi:[0,0,1]
	v_pk_fma_f32 v[4:5], v[4:5], v[44:45], v[10:11] op_sel:[1,0,0] op_sel_hi:[0,1,0]
	s_delay_alu instid0(VALU_DEP_1) | instskip(SKIP_1) | instid1(VALU_DEP_2)
	v_mov_b32_e32 v9, v5
	v_pk_mul_f32 v[4:5], v[6:7], v[2:3] op_sel:[0,1]
	v_pk_add_f32 v[64:65], v[64:65], v[8:9] neg_lo:[0,1] neg_hi:[0,1]
	s_delay_alu instid0(VALU_DEP_2) | instskip(SKIP_1) | instid1(VALU_DEP_1)
	v_pk_fma_f32 v[8:9], v[6:7], v[0:1], v[4:5] op_sel:[0,0,1] op_sel_hi:[1,1,0] neg_lo:[0,0,1] neg_hi:[0,0,1]
	v_pk_fma_f32 v[4:5], v[6:7], v[0:1], v[4:5] op_sel:[0,0,1] op_sel_hi:[1,0,0]
	v_mov_b32_e32 v9, v5
	ds_load_2addr_b64 v[4:7], v168 offset0:14 offset1:15
	v_pk_add_f32 v[60:61], v[60:61], v[8:9] neg_lo:[0,1] neg_hi:[0,1]
	s_wait_dscnt 0x0
	v_pk_mul_f32 v[8:9], v[4:5], v[2:3] op_sel:[0,1]
	s_delay_alu instid0(VALU_DEP_1) | instskip(SKIP_1) | instid1(VALU_DEP_1)
	v_pk_fma_f32 v[10:11], v[4:5], v[0:1], v[8:9] op_sel:[0,0,1] op_sel_hi:[1,1,0] neg_lo:[0,0,1] neg_hi:[0,0,1]
	v_pk_fma_f32 v[4:5], v[4:5], v[0:1], v[8:9] op_sel:[0,0,1] op_sel_hi:[1,0,0]
	v_mov_b32_e32 v11, v5
	v_pk_mul_f32 v[4:5], v[6:7], v[2:3] op_sel:[0,1]
	s_delay_alu instid0(VALU_DEP_2) | instskip(NEXT) | instid1(VALU_DEP_2)
	v_pk_add_f32 v[62:63], v[62:63], v[10:11] neg_lo:[0,1] neg_hi:[0,1]
	v_pk_fma_f32 v[8:9], v[6:7], v[0:1], v[4:5] op_sel:[0,0,1] op_sel_hi:[1,1,0] neg_lo:[0,0,1] neg_hi:[0,0,1]
	v_pk_fma_f32 v[4:5], v[6:7], v[0:1], v[4:5] op_sel:[0,0,1] op_sel_hi:[1,0,0]
	s_delay_alu instid0(VALU_DEP_1) | instskip(SKIP_4) | instid1(VALU_DEP_1)
	v_mov_b32_e32 v9, v5
	ds_load_2addr_b64 v[4:7], v168 offset0:16 offset1:17
	v_pk_add_f32 v[58:59], v[58:59], v[8:9] neg_lo:[0,1] neg_hi:[0,1]
	s_wait_dscnt 0x0
	v_pk_mul_f32 v[8:9], v[4:5], v[2:3] op_sel:[0,1]
	v_pk_fma_f32 v[10:11], v[4:5], v[0:1], v[8:9] op_sel:[0,0,1] op_sel_hi:[1,1,0] neg_lo:[0,0,1] neg_hi:[0,0,1]
	v_pk_fma_f32 v[4:5], v[4:5], v[0:1], v[8:9] op_sel:[0,0,1] op_sel_hi:[1,0,0]
	v_dual_mul_f32 v8, v7, v3 :: v_dual_mov_b32 v4, v7
	s_delay_alu instid0(VALU_DEP_2) | instskip(NEXT) | instid1(VALU_DEP_2)
	v_dual_mov_b32 v11, v5 :: v_dual_mov_b32 v5, v6
	v_pk_fma_f32 v[8:9], v[6:7], v[44:45], v[8:9] op_sel_hi:[1,1,0] neg_lo:[0,0,1] neg_hi:[0,0,1]
	v_mul_f32_e32 v6, v7, v0
	s_delay_alu instid0(VALU_DEP_3) | instskip(NEXT) | instid1(VALU_DEP_2)
	v_pk_add_f32 v[80:81], v[80:81], v[10:11] neg_lo:[0,1] neg_hi:[0,1]
	v_pk_fma_f32 v[4:5], v[4:5], v[44:45], v[6:7] op_sel_hi:[1,1,0]
	s_delay_alu instid0(VALU_DEP_1) | instskip(SKIP_4) | instid1(VALU_DEP_1)
	v_mov_b32_e32 v9, v5
	ds_load_2addr_b64 v[4:7], v168 offset0:18 offset1:19
	v_pk_add_f32 v[76:77], v[76:77], v[8:9] neg_lo:[0,1] neg_hi:[0,1]
	s_wait_dscnt 0x0
	v_pk_mul_f32 v[8:9], v[4:5], v[2:3] op_sel:[0,1]
	v_pk_fma_f32 v[10:11], v[4:5], v[0:1], v[8:9] op_sel:[0,0,1] op_sel_hi:[1,1,0] neg_lo:[0,0,1] neg_hi:[0,0,1]
	v_pk_fma_f32 v[4:5], v[4:5], v[0:1], v[8:9] op_sel:[0,0,1] op_sel_hi:[1,0,0]
	s_delay_alu instid0(VALU_DEP_1) | instskip(SKIP_1) | instid1(VALU_DEP_1)
	v_mov_b32_e32 v11, v5
	v_pk_mul_f32 v[4:5], v[6:7], v[2:3] op_sel:[0,1]
	v_pk_fma_f32 v[8:9], v[6:7], v[0:1], v[4:5] op_sel:[0,0,1] op_sel_hi:[1,1,0] neg_lo:[0,0,1] neg_hi:[0,0,1]
	v_pk_fma_f32 v[4:5], v[6:7], v[0:1], v[4:5] op_sel:[0,0,1] op_sel_hi:[1,0,0]
	s_delay_alu instid0(VALU_DEP_1)
	v_mov_b32_e32 v9, v5
	ds_load_2addr_b64 v[4:7], v168 offset0:20 offset1:21
	v_pk_add_f32 v[78:79], v[78:79], v[10:11] neg_lo:[0,1] neg_hi:[0,1]
	v_pk_add_f32 v[74:75], v[74:75], v[8:9] neg_lo:[0,1] neg_hi:[0,1]
	s_wait_dscnt 0x0
	v_pk_mul_f32 v[8:9], v[4:5], v[2:3] op_sel:[0,1]
	s_delay_alu instid0(VALU_DEP_1) | instskip(SKIP_1) | instid1(VALU_DEP_1)
	v_pk_fma_f32 v[10:11], v[4:5], v[0:1], v[8:9] op_sel:[0,0,1] op_sel_hi:[1,1,0] neg_lo:[0,0,1] neg_hi:[0,0,1]
	v_pk_fma_f32 v[4:5], v[4:5], v[0:1], v[8:9] op_sel:[0,0,1] op_sel_hi:[1,0,0]
	v_mov_b32_e32 v11, v5
	v_pk_mul_f32 v[4:5], v[6:7], v[2:3] op_sel:[0,1]
	s_delay_alu instid0(VALU_DEP_1) | instskip(SKIP_1) | instid1(VALU_DEP_1)
	v_pk_fma_f32 v[8:9], v[6:7], v[0:1], v[4:5] op_sel:[0,0,1] op_sel_hi:[1,1,0] neg_lo:[0,0,1] neg_hi:[0,0,1]
	v_pk_fma_f32 v[4:5], v[6:7], v[0:1], v[4:5] op_sel:[0,0,1] op_sel_hi:[1,0,0]
	v_mov_b32_e32 v9, v5
	ds_load_2addr_b64 v[4:7], v168 offset0:22 offset1:23
	v_pk_add_f32 v[98:99], v[98:99], v[10:11] neg_lo:[0,1] neg_hi:[0,1]
	v_pk_add_f32 v[94:95], v[94:95], v[8:9] neg_lo:[0,1] neg_hi:[0,1]
	s_wait_dscnt 0x0
	v_dual_mul_f32 v8, v5, v3 :: v_dual_mul_f32 v10, v5, v0
	s_delay_alu instid0(VALU_DEP_1) | instskip(NEXT) | instid1(VALU_DEP_2)
	v_pk_fma_f32 v[8:9], v[4:5], v[44:45], v[8:9] op_sel_hi:[1,1,0] neg_lo:[0,0,1] neg_hi:[0,0,1]
	v_pk_fma_f32 v[4:5], v[4:5], v[44:45], v[10:11] op_sel:[1,0,0] op_sel_hi:[0,1,0]
	s_delay_alu instid0(VALU_DEP_1) | instskip(SKIP_1) | instid1(VALU_DEP_2)
	v_mov_b32_e32 v9, v5
	v_pk_mul_f32 v[4:5], v[6:7], v[2:3] op_sel:[0,1]
	v_pk_add_f32 v[96:97], v[96:97], v[8:9] neg_lo:[0,1] neg_hi:[0,1]
	s_delay_alu instid0(VALU_DEP_2) | instskip(SKIP_1) | instid1(VALU_DEP_1)
	v_pk_fma_f32 v[8:9], v[6:7], v[0:1], v[4:5] op_sel:[0,0,1] op_sel_hi:[1,1,0] neg_lo:[0,0,1] neg_hi:[0,0,1]
	v_pk_fma_f32 v[4:5], v[6:7], v[0:1], v[4:5] op_sel:[0,0,1] op_sel_hi:[1,0,0]
	v_mov_b32_e32 v9, v5
	ds_load_2addr_b64 v[4:7], v168 offset0:24 offset1:25
	v_pk_add_f32 v[92:93], v[92:93], v[8:9] neg_lo:[0,1] neg_hi:[0,1]
	s_wait_dscnt 0x0
	v_pk_mul_f32 v[8:9], v[4:5], v[2:3] op_sel:[0,1]
	s_delay_alu instid0(VALU_DEP_1) | instskip(SKIP_1) | instid1(VALU_DEP_1)
	v_pk_fma_f32 v[10:11], v[4:5], v[0:1], v[8:9] op_sel:[0,0,1] op_sel_hi:[1,1,0] neg_lo:[0,0,1] neg_hi:[0,0,1]
	v_pk_fma_f32 v[4:5], v[4:5], v[0:1], v[8:9] op_sel:[0,0,1] op_sel_hi:[1,0,0]
	v_mov_b32_e32 v11, v5
	v_pk_mul_f32 v[4:5], v[6:7], v[2:3] op_sel:[0,1]
	s_delay_alu instid0(VALU_DEP_2) | instskip(NEXT) | instid1(VALU_DEP_2)
	v_pk_add_f32 v[114:115], v[114:115], v[10:11] neg_lo:[0,1] neg_hi:[0,1]
	v_pk_fma_f32 v[8:9], v[6:7], v[0:1], v[4:5] op_sel:[0,0,1] op_sel_hi:[1,1,0] neg_lo:[0,0,1] neg_hi:[0,0,1]
	v_pk_fma_f32 v[4:5], v[6:7], v[0:1], v[4:5] op_sel:[0,0,1] op_sel_hi:[1,0,0]
	s_delay_alu instid0(VALU_DEP_1) | instskip(SKIP_4) | instid1(VALU_DEP_1)
	v_mov_b32_e32 v9, v5
	ds_load_2addr_b64 v[4:7], v168 offset0:26 offset1:27
	v_pk_add_f32 v[110:111], v[110:111], v[8:9] neg_lo:[0,1] neg_hi:[0,1]
	s_wait_dscnt 0x0
	v_pk_mul_f32 v[8:9], v[4:5], v[2:3] op_sel:[0,1]
	v_pk_fma_f32 v[10:11], v[4:5], v[0:1], v[8:9] op_sel:[0,0,1] op_sel_hi:[1,1,0] neg_lo:[0,0,1] neg_hi:[0,0,1]
	v_pk_fma_f32 v[4:5], v[4:5], v[0:1], v[8:9] op_sel:[0,0,1] op_sel_hi:[1,0,0]
	v_dual_mul_f32 v8, v7, v3 :: v_dual_mov_b32 v4, v7
	s_delay_alu instid0(VALU_DEP_2) | instskip(NEXT) | instid1(VALU_DEP_2)
	v_dual_mov_b32 v11, v5 :: v_dual_mov_b32 v5, v6
	v_pk_fma_f32 v[8:9], v[6:7], v[44:45], v[8:9] op_sel_hi:[1,1,0] neg_lo:[0,0,1] neg_hi:[0,0,1]
	v_mul_f32_e32 v6, v7, v0
	s_delay_alu instid0(VALU_DEP_3) | instskip(NEXT) | instid1(VALU_DEP_2)
	v_pk_add_f32 v[112:113], v[112:113], v[10:11] neg_lo:[0,1] neg_hi:[0,1]
	v_pk_fma_f32 v[4:5], v[4:5], v[44:45], v[6:7] op_sel_hi:[1,1,0]
	s_delay_alu instid0(VALU_DEP_1) | instskip(SKIP_4) | instid1(VALU_DEP_1)
	v_mov_b32_e32 v9, v5
	ds_load_2addr_b64 v[4:7], v168 offset0:28 offset1:29
	v_pk_add_f32 v[108:109], v[108:109], v[8:9] neg_lo:[0,1] neg_hi:[0,1]
	s_wait_dscnt 0x0
	v_pk_mul_f32 v[8:9], v[4:5], v[2:3] op_sel:[0,1]
	v_pk_fma_f32 v[10:11], v[4:5], v[0:1], v[8:9] op_sel:[0,0,1] op_sel_hi:[1,1,0] neg_lo:[0,0,1] neg_hi:[0,0,1]
	v_pk_fma_f32 v[4:5], v[4:5], v[0:1], v[8:9] op_sel:[0,0,1] op_sel_hi:[1,0,0]
	s_delay_alu instid0(VALU_DEP_1) | instskip(SKIP_1) | instid1(VALU_DEP_1)
	v_mov_b32_e32 v11, v5
	v_pk_mul_f32 v[4:5], v[6:7], v[2:3] op_sel:[0,1]
	v_pk_fma_f32 v[8:9], v[6:7], v[0:1], v[4:5] op_sel:[0,0,1] op_sel_hi:[1,1,0] neg_lo:[0,0,1] neg_hi:[0,0,1]
	v_pk_fma_f32 v[4:5], v[6:7], v[0:1], v[4:5] op_sel:[0,0,1] op_sel_hi:[1,0,0]
	s_delay_alu instid0(VALU_DEP_1)
	v_mov_b32_e32 v9, v5
	ds_load_2addr_b64 v[4:7], v168 offset0:30 offset1:31
	v_pk_add_f32 v[130:131], v[130:131], v[10:11] neg_lo:[0,1] neg_hi:[0,1]
	v_pk_add_f32 v[126:127], v[126:127], v[8:9] neg_lo:[0,1] neg_hi:[0,1]
	s_wait_dscnt 0x0
	v_pk_mul_f32 v[8:9], v[4:5], v[2:3] op_sel:[0,1]
	s_delay_alu instid0(VALU_DEP_1) | instskip(SKIP_1) | instid1(VALU_DEP_1)
	v_pk_fma_f32 v[10:11], v[4:5], v[0:1], v[8:9] op_sel:[0,0,1] op_sel_hi:[1,1,0] neg_lo:[0,0,1] neg_hi:[0,0,1]
	v_pk_fma_f32 v[4:5], v[4:5], v[0:1], v[8:9] op_sel:[0,0,1] op_sel_hi:[1,0,0]
	v_mov_b32_e32 v11, v5
	v_pk_mul_f32 v[4:5], v[6:7], v[2:3] op_sel:[0,1]
	s_delay_alu instid0(VALU_DEP_1) | instskip(SKIP_1) | instid1(VALU_DEP_1)
	v_pk_fma_f32 v[8:9], v[6:7], v[0:1], v[4:5] op_sel:[0,0,1] op_sel_hi:[1,1,0] neg_lo:[0,0,1] neg_hi:[0,0,1]
	v_pk_fma_f32 v[4:5], v[6:7], v[0:1], v[4:5] op_sel:[0,0,1] op_sel_hi:[1,0,0]
	v_mov_b32_e32 v9, v5
	ds_load_2addr_b64 v[4:7], v168 offset0:32 offset1:33
	v_pk_add_f32 v[128:129], v[128:129], v[10:11] neg_lo:[0,1] neg_hi:[0,1]
	v_pk_add_f32 v[124:125], v[124:125], v[8:9] neg_lo:[0,1] neg_hi:[0,1]
	s_wait_dscnt 0x0
	v_dual_mul_f32 v8, v5, v3 :: v_dual_mul_f32 v10, v5, v0
	s_delay_alu instid0(VALU_DEP_1) | instskip(NEXT) | instid1(VALU_DEP_2)
	v_pk_fma_f32 v[8:9], v[4:5], v[44:45], v[8:9] op_sel_hi:[1,1,0] neg_lo:[0,0,1] neg_hi:[0,0,1]
	v_pk_fma_f32 v[4:5], v[4:5], v[44:45], v[10:11] op_sel:[1,0,0] op_sel_hi:[0,1,0]
	s_delay_alu instid0(VALU_DEP_1) | instskip(SKIP_1) | instid1(VALU_DEP_2)
	v_mov_b32_e32 v9, v5
	v_pk_mul_f32 v[4:5], v[6:7], v[2:3] op_sel:[0,1]
	v_pk_add_f32 v[146:147], v[146:147], v[8:9] neg_lo:[0,1] neg_hi:[0,1]
	s_delay_alu instid0(VALU_DEP_2) | instskip(SKIP_1) | instid1(VALU_DEP_1)
	v_pk_fma_f32 v[8:9], v[6:7], v[0:1], v[4:5] op_sel:[0,0,1] op_sel_hi:[1,1,0] neg_lo:[0,0,1] neg_hi:[0,0,1]
	v_pk_fma_f32 v[4:5], v[6:7], v[0:1], v[4:5] op_sel:[0,0,1] op_sel_hi:[1,0,0]
	v_mov_b32_e32 v9, v5
	ds_load_2addr_b64 v[4:7], v168 offset0:34 offset1:35
	v_pk_add_f32 v[142:143], v[142:143], v[8:9] neg_lo:[0,1] neg_hi:[0,1]
	s_wait_dscnt 0x0
	v_pk_mul_f32 v[8:9], v[4:5], v[2:3] op_sel:[0,1]
	s_delay_alu instid0(VALU_DEP_1) | instskip(SKIP_1) | instid1(VALU_DEP_1)
	v_pk_fma_f32 v[10:11], v[4:5], v[0:1], v[8:9] op_sel:[0,0,1] op_sel_hi:[1,1,0] neg_lo:[0,0,1] neg_hi:[0,0,1]
	v_pk_fma_f32 v[4:5], v[4:5], v[0:1], v[8:9] op_sel:[0,0,1] op_sel_hi:[1,0,0]
	v_mov_b32_e32 v11, v5
	v_pk_mul_f32 v[4:5], v[6:7], v[2:3] op_sel:[0,1]
	s_delay_alu instid0(VALU_DEP_2) | instskip(NEXT) | instid1(VALU_DEP_2)
	v_pk_add_f32 v[144:145], v[144:145], v[10:11] neg_lo:[0,1] neg_hi:[0,1]
	v_pk_fma_f32 v[8:9], v[6:7], v[0:1], v[4:5] op_sel:[0,0,1] op_sel_hi:[1,1,0] neg_lo:[0,0,1] neg_hi:[0,0,1]
	v_pk_fma_f32 v[4:5], v[6:7], v[0:1], v[4:5] op_sel:[0,0,1] op_sel_hi:[1,0,0]
	s_delay_alu instid0(VALU_DEP_1) | instskip(SKIP_4) | instid1(VALU_DEP_1)
	v_mov_b32_e32 v9, v5
	ds_load_2addr_b64 v[4:7], v168 offset0:36 offset1:37
	v_pk_add_f32 v[140:141], v[140:141], v[8:9] neg_lo:[0,1] neg_hi:[0,1]
	s_wait_dscnt 0x0
	v_pk_mul_f32 v[8:9], v[4:5], v[2:3] op_sel:[0,1]
	v_pk_fma_f32 v[10:11], v[4:5], v[0:1], v[8:9] op_sel:[0,0,1] op_sel_hi:[1,1,0] neg_lo:[0,0,1] neg_hi:[0,0,1]
	v_pk_fma_f32 v[4:5], v[4:5], v[0:1], v[8:9] op_sel:[0,0,1] op_sel_hi:[1,0,0]
	v_dual_mul_f32 v8, v7, v3 :: v_dual_mov_b32 v4, v7
	s_delay_alu instid0(VALU_DEP_2) | instskip(NEXT) | instid1(VALU_DEP_2)
	v_dual_mov_b32 v11, v5 :: v_dual_mov_b32 v5, v6
	v_pk_fma_f32 v[8:9], v[6:7], v[44:45], v[8:9] op_sel_hi:[1,1,0] neg_lo:[0,0,1] neg_hi:[0,0,1]
	v_mul_f32_e32 v6, v7, v0
	s_delay_alu instid0(VALU_DEP_3) | instskip(NEXT) | instid1(VALU_DEP_2)
	v_pk_add_f32 v[162:163], v[162:163], v[10:11] neg_lo:[0,1] neg_hi:[0,1]
	v_pk_fma_f32 v[4:5], v[4:5], v[44:45], v[6:7] op_sel_hi:[1,1,0]
	s_delay_alu instid0(VALU_DEP_1) | instskip(SKIP_4) | instid1(VALU_DEP_1)
	v_mov_b32_e32 v9, v5
	ds_load_2addr_b64 v[4:7], v168 offset0:38 offset1:39
	v_pk_add_f32 v[158:159], v[158:159], v[8:9] neg_lo:[0,1] neg_hi:[0,1]
	s_wait_dscnt 0x0
	v_pk_mul_f32 v[8:9], v[4:5], v[2:3] op_sel:[0,1]
	v_pk_fma_f32 v[10:11], v[4:5], v[0:1], v[8:9] op_sel:[0,0,1] op_sel_hi:[1,1,0] neg_lo:[0,0,1] neg_hi:[0,0,1]
	v_pk_fma_f32 v[4:5], v[4:5], v[0:1], v[8:9] op_sel:[0,0,1] op_sel_hi:[1,0,0]
	s_delay_alu instid0(VALU_DEP_1) | instskip(SKIP_1) | instid1(VALU_DEP_1)
	v_mov_b32_e32 v11, v5
	v_pk_mul_f32 v[4:5], v[6:7], v[2:3] op_sel:[0,1]
	v_pk_fma_f32 v[8:9], v[6:7], v[0:1], v[4:5] op_sel:[0,0,1] op_sel_hi:[1,1,0] neg_lo:[0,0,1] neg_hi:[0,0,1]
	v_pk_fma_f32 v[4:5], v[6:7], v[0:1], v[4:5] op_sel:[0,0,1] op_sel_hi:[1,0,0]
	s_delay_alu instid0(VALU_DEP_1)
	v_mov_b32_e32 v9, v5
	ds_load_2addr_b64 v[4:7], v168 offset0:40 offset1:41
	v_pk_add_f32 v[160:161], v[160:161], v[10:11] neg_lo:[0,1] neg_hi:[0,1]
	v_pk_add_f32 v[156:157], v[156:157], v[8:9] neg_lo:[0,1] neg_hi:[0,1]
	s_wait_dscnt 0x0
	v_pk_mul_f32 v[8:9], v[4:5], v[2:3] op_sel:[0,1]
	s_delay_alu instid0(VALU_DEP_1) | instskip(SKIP_1) | instid1(VALU_DEP_1)
	v_pk_fma_f32 v[10:11], v[4:5], v[0:1], v[8:9] op_sel:[0,0,1] op_sel_hi:[1,1,0] neg_lo:[0,0,1] neg_hi:[0,0,1]
	v_pk_fma_f32 v[4:5], v[4:5], v[0:1], v[8:9] op_sel:[0,0,1] op_sel_hi:[1,0,0]
	v_mov_b32_e32 v11, v5
	v_pk_mul_f32 v[4:5], v[6:7], v[2:3] op_sel:[0,1]
	s_delay_alu instid0(VALU_DEP_1) | instskip(SKIP_1) | instid1(VALU_DEP_1)
	v_pk_fma_f32 v[8:9], v[6:7], v[0:1], v[4:5] op_sel:[0,0,1] op_sel_hi:[1,1,0] neg_lo:[0,0,1] neg_hi:[0,0,1]
	v_pk_fma_f32 v[4:5], v[6:7], v[0:1], v[4:5] op_sel:[0,0,1] op_sel_hi:[1,0,0]
	v_mov_b32_e32 v9, v5
	ds_load_2addr_b64 v[4:7], v168 offset0:42 offset1:43
	v_pk_add_f32 v[178:179], v[178:179], v[10:11] neg_lo:[0,1] neg_hi:[0,1]
	v_pk_add_f32 v[174:175], v[174:175], v[8:9] neg_lo:[0,1] neg_hi:[0,1]
	s_wait_dscnt 0x0
	v_dual_mul_f32 v8, v5, v3 :: v_dual_mul_f32 v10, v5, v0
	s_delay_alu instid0(VALU_DEP_1) | instskip(NEXT) | instid1(VALU_DEP_2)
	v_pk_fma_f32 v[8:9], v[4:5], v[44:45], v[8:9] op_sel_hi:[1,1,0] neg_lo:[0,0,1] neg_hi:[0,0,1]
	v_pk_fma_f32 v[4:5], v[4:5], v[44:45], v[10:11] op_sel:[1,0,0] op_sel_hi:[0,1,0]
	s_delay_alu instid0(VALU_DEP_1) | instskip(SKIP_1) | instid1(VALU_DEP_2)
	v_mov_b32_e32 v9, v5
	v_pk_mul_f32 v[4:5], v[6:7], v[2:3] op_sel:[0,1]
	v_pk_add_f32 v[176:177], v[176:177], v[8:9] neg_lo:[0,1] neg_hi:[0,1]
	s_delay_alu instid0(VALU_DEP_2) | instskip(SKIP_1) | instid1(VALU_DEP_1)
	v_pk_fma_f32 v[8:9], v[6:7], v[0:1], v[4:5] op_sel:[0,0,1] op_sel_hi:[1,1,0] neg_lo:[0,0,1] neg_hi:[0,0,1]
	v_pk_fma_f32 v[4:5], v[6:7], v[0:1], v[4:5] op_sel:[0,0,1] op_sel_hi:[1,0,0]
	v_mov_b32_e32 v9, v5
	ds_load_2addr_b64 v[4:7], v168 offset0:44 offset1:45
	v_pk_add_f32 v[172:173], v[172:173], v[8:9] neg_lo:[0,1] neg_hi:[0,1]
	s_wait_dscnt 0x0
	v_pk_mul_f32 v[8:9], v[4:5], v[2:3] op_sel:[0,1]
	s_delay_alu instid0(VALU_DEP_1) | instskip(SKIP_1) | instid1(VALU_DEP_1)
	v_pk_fma_f32 v[10:11], v[4:5], v[0:1], v[8:9] op_sel:[0,0,1] op_sel_hi:[1,1,0] neg_lo:[0,0,1] neg_hi:[0,0,1]
	v_pk_fma_f32 v[4:5], v[4:5], v[0:1], v[8:9] op_sel:[0,0,1] op_sel_hi:[1,0,0]
	v_mov_b32_e32 v11, v5
	v_pk_mul_f32 v[4:5], v[6:7], v[2:3] op_sel:[0,1]
	s_delay_alu instid0(VALU_DEP_2) | instskip(NEXT) | instid1(VALU_DEP_2)
	v_pk_add_f32 v[198:199], v[198:199], v[10:11] neg_lo:[0,1] neg_hi:[0,1]
	v_pk_fma_f32 v[8:9], v[6:7], v[0:1], v[4:5] op_sel:[0,0,1] op_sel_hi:[1,1,0] neg_lo:[0,0,1] neg_hi:[0,0,1]
	v_pk_fma_f32 v[4:5], v[6:7], v[0:1], v[4:5] op_sel:[0,0,1] op_sel_hi:[1,0,0]
	s_delay_alu instid0(VALU_DEP_1) | instskip(SKIP_4) | instid1(VALU_DEP_1)
	v_mov_b32_e32 v9, v5
	ds_load_2addr_b64 v[4:7], v168 offset0:46 offset1:47
	v_pk_add_f32 v[194:195], v[194:195], v[8:9] neg_lo:[0,1] neg_hi:[0,1]
	s_wait_dscnt 0x0
	v_pk_mul_f32 v[8:9], v[4:5], v[2:3] op_sel:[0,1]
	v_pk_fma_f32 v[10:11], v[4:5], v[0:1], v[8:9] op_sel:[0,0,1] op_sel_hi:[1,1,0] neg_lo:[0,0,1] neg_hi:[0,0,1]
	v_pk_fma_f32 v[4:5], v[4:5], v[0:1], v[8:9] op_sel:[0,0,1] op_sel_hi:[1,0,0]
	v_dual_mul_f32 v8, v7, v3 :: v_dual_mov_b32 v4, v7
	s_delay_alu instid0(VALU_DEP_2) | instskip(NEXT) | instid1(VALU_DEP_2)
	v_dual_mov_b32 v11, v5 :: v_dual_mov_b32 v5, v6
	v_pk_fma_f32 v[8:9], v[6:7], v[44:45], v[8:9] op_sel_hi:[1,1,0] neg_lo:[0,0,1] neg_hi:[0,0,1]
	v_mul_f32_e32 v6, v7, v0
	s_delay_alu instid0(VALU_DEP_3) | instskip(NEXT) | instid1(VALU_DEP_2)
	v_pk_add_f32 v[196:197], v[196:197], v[10:11] neg_lo:[0,1] neg_hi:[0,1]
	v_pk_fma_f32 v[4:5], v[4:5], v[44:45], v[6:7] op_sel_hi:[1,1,0]
	s_delay_alu instid0(VALU_DEP_1) | instskip(SKIP_4) | instid1(VALU_DEP_1)
	v_mov_b32_e32 v9, v5
	ds_load_2addr_b64 v[4:7], v168 offset0:48 offset1:49
	v_pk_add_f32 v[192:193], v[192:193], v[8:9] neg_lo:[0,1] neg_hi:[0,1]
	s_wait_dscnt 0x0
	v_pk_mul_f32 v[8:9], v[4:5], v[2:3] op_sel:[0,1]
	v_pk_fma_f32 v[10:11], v[4:5], v[0:1], v[8:9] op_sel:[0,0,1] op_sel_hi:[1,1,0] neg_lo:[0,0,1] neg_hi:[0,0,1]
	v_pk_fma_f32 v[4:5], v[4:5], v[0:1], v[8:9] op_sel:[0,0,1] op_sel_hi:[1,0,0]
	s_delay_alu instid0(VALU_DEP_1) | instskip(SKIP_1) | instid1(VALU_DEP_1)
	v_mov_b32_e32 v11, v5
	v_pk_mul_f32 v[4:5], v[6:7], v[2:3] op_sel:[0,1]
	v_pk_fma_f32 v[8:9], v[6:7], v[0:1], v[4:5] op_sel:[0,0,1] op_sel_hi:[1,1,0] neg_lo:[0,0,1] neg_hi:[0,0,1]
	v_pk_fma_f32 v[4:5], v[6:7], v[0:1], v[4:5] op_sel:[0,0,1] op_sel_hi:[1,0,0]
	s_delay_alu instid0(VALU_DEP_1)
	v_mov_b32_e32 v9, v5
	ds_load_2addr_b64 v[4:7], v168 offset0:50 offset1:51
	v_pk_add_f32 v[220:221], v[220:221], v[10:11] neg_lo:[0,1] neg_hi:[0,1]
	v_pk_add_f32 v[214:215], v[214:215], v[8:9] neg_lo:[0,1] neg_hi:[0,1]
	s_wait_dscnt 0x0
	v_pk_mul_f32 v[8:9], v[4:5], v[2:3] op_sel:[0,1]
	s_delay_alu instid0(VALU_DEP_1) | instskip(SKIP_1) | instid1(VALU_DEP_1)
	v_pk_fma_f32 v[10:11], v[4:5], v[0:1], v[8:9] op_sel:[0,0,1] op_sel_hi:[1,1,0] neg_lo:[0,0,1] neg_hi:[0,0,1]
	v_pk_fma_f32 v[4:5], v[4:5], v[0:1], v[8:9] op_sel:[0,0,1] op_sel_hi:[1,0,0]
	v_mov_b32_e32 v11, v5
	v_pk_mul_f32 v[4:5], v[6:7], v[2:3] op_sel:[0,1]
	s_delay_alu instid0(VALU_DEP_1) | instskip(SKIP_1) | instid1(VALU_DEP_1)
	v_pk_fma_f32 v[8:9], v[6:7], v[0:1], v[4:5] op_sel:[0,0,1] op_sel_hi:[1,1,0] neg_lo:[0,0,1] neg_hi:[0,0,1]
	v_pk_fma_f32 v[4:5], v[6:7], v[0:1], v[4:5] op_sel:[0,0,1] op_sel_hi:[1,0,0]
	v_mov_b32_e32 v9, v5
	ds_load_2addr_b64 v[4:7], v168 offset0:52 offset1:53
	v_pk_add_f32 v[218:219], v[218:219], v[10:11] neg_lo:[0,1] neg_hi:[0,1]
	v_pk_add_f32 v[212:213], v[212:213], v[8:9] neg_lo:[0,1] neg_hi:[0,1]
	s_wait_dscnt 0x0
	v_dual_mul_f32 v8, v5, v3 :: v_dual_mul_f32 v10, v5, v0
	s_delay_alu instid0(VALU_DEP_1) | instskip(NEXT) | instid1(VALU_DEP_2)
	v_pk_fma_f32 v[8:9], v[4:5], v[44:45], v[8:9] op_sel_hi:[1,1,0] neg_lo:[0,0,1] neg_hi:[0,0,1]
	v_pk_fma_f32 v[4:5], v[4:5], v[44:45], v[10:11] op_sel:[1,0,0] op_sel_hi:[0,1,0]
	s_delay_alu instid0(VALU_DEP_1) | instskip(SKIP_1) | instid1(VALU_DEP_2)
	v_mov_b32_e32 v9, v5
	v_pk_mul_f32 v[4:5], v[6:7], v[2:3] op_sel:[0,1]
	v_pk_add_f32 v[216:217], v[216:217], v[8:9] neg_lo:[0,1] neg_hi:[0,1]
	s_delay_alu instid0(VALU_DEP_2) | instskip(SKIP_1) | instid1(VALU_DEP_1)
	v_pk_fma_f32 v[8:9], v[6:7], v[0:1], v[4:5] op_sel:[0,0,1] op_sel_hi:[1,1,0] neg_lo:[0,0,1] neg_hi:[0,0,1]
	v_pk_fma_f32 v[4:5], v[6:7], v[0:1], v[4:5] op_sel:[0,0,1] op_sel_hi:[1,0,0]
	v_mov_b32_e32 v9, v5
	ds_load_2addr_b64 v[4:7], v168 offset0:54 offset1:55
	v_pk_add_f32 v[210:211], v[210:211], v[8:9] neg_lo:[0,1] neg_hi:[0,1]
	s_wait_dscnt 0x0
	v_pk_mul_f32 v[8:9], v[4:5], v[2:3] op_sel:[0,1]
	v_pk_mul_f32 v[2:3], v[6:7], v[2:3] op_sel:[0,1]
	s_delay_alu instid0(VALU_DEP_2) | instskip(SKIP_1) | instid1(VALU_DEP_1)
	v_pk_fma_f32 v[10:11], v[4:5], v[0:1], v[8:9] op_sel:[0,0,1] op_sel_hi:[1,1,0] neg_lo:[0,0,1] neg_hi:[0,0,1]
	v_pk_fma_f32 v[4:5], v[4:5], v[0:1], v[8:9] op_sel:[0,0,1] op_sel_hi:[1,0,0]
	v_mov_b32_e32 v11, v5
	s_delay_alu instid0(VALU_DEP_4) | instskip(SKIP_1) | instid1(VALU_DEP_3)
	v_pk_fma_f32 v[4:5], v[6:7], v[0:1], v[2:3] op_sel:[0,0,1] op_sel_hi:[1,1,0] neg_lo:[0,0,1] neg_hi:[0,0,1]
	v_pk_fma_f32 v[0:1], v[6:7], v[0:1], v[2:3] op_sel:[0,0,1] op_sel_hi:[1,0,0]
	v_pk_add_f32 v[222:223], v[222:223], v[10:11] neg_lo:[0,1] neg_hi:[0,1]
	s_delay_alu instid0(VALU_DEP_2) | instskip(NEXT) | instid1(VALU_DEP_1)
	v_mov_b32_e32 v5, v1
	v_pk_add_f32 v[224:225], v[224:225], v[4:5] neg_lo:[0,1] neg_hi:[0,1]
.LBB111_37:
	s_wait_xcnt 0x0
	s_or_b32 exec_lo, exec_lo, s1
	s_delay_alu instid0(SALU_CYCLE_1)
	s_mov_b32 s2, exec_lo
	s_wait_storecnt 0x0
	s_barrier_signal -1
	s_barrier_wait -1
	v_cmpx_eq_u32_e32 4, v166
	s_cbranch_execz .LBB111_44
; %bb.38:
	ds_store_b64 v167, v[26:27]
	ds_store_2addr_b64 v168, v[22:23], v[24:25] offset0:5 offset1:6
	ds_store_2addr_b64 v168, v[20:21], v[40:41] offset0:7 offset1:8
	ds_store_2addr_b64 v168, v[36:37], v[38:39] offset0:9 offset1:10
	ds_store_2addr_b64 v168, v[34:35], v[64:65] offset0:11 offset1:12
	ds_store_2addr_b64 v168, v[60:61], v[62:63] offset0:13 offset1:14
	ds_store_2addr_b64 v168, v[58:59], v[80:81] offset0:15 offset1:16
	ds_store_2addr_b64 v168, v[76:77], v[78:79] offset0:17 offset1:18
	ds_store_2addr_b64 v168, v[74:75], v[98:99] offset0:19 offset1:20
	ds_store_2addr_b64 v168, v[94:95], v[96:97] offset0:21 offset1:22
	ds_store_2addr_b64 v168, v[92:93], v[114:115] offset0:23 offset1:24
	ds_store_2addr_b64 v168, v[110:111], v[112:113] offset0:25 offset1:26
	ds_store_2addr_b64 v168, v[108:109], v[130:131] offset0:27 offset1:28
	ds_store_2addr_b64 v168, v[126:127], v[128:129] offset0:29 offset1:30
	ds_store_2addr_b64 v168, v[124:125], v[146:147] offset0:31 offset1:32
	ds_store_2addr_b64 v168, v[142:143], v[144:145] offset0:33 offset1:34
	ds_store_2addr_b64 v168, v[140:141], v[162:163] offset0:35 offset1:36
	ds_store_2addr_b64 v168, v[158:159], v[160:161] offset0:37 offset1:38
	ds_store_2addr_b64 v168, v[156:157], v[178:179] offset0:39 offset1:40
	ds_store_2addr_b64 v168, v[174:175], v[176:177] offset0:41 offset1:42
	ds_store_2addr_b64 v168, v[172:173], v[198:199] offset0:43 offset1:44
	ds_store_2addr_b64 v168, v[194:195], v[196:197] offset0:45 offset1:46
	ds_store_2addr_b64 v168, v[192:193], v[220:221] offset0:47 offset1:48
	ds_store_2addr_b64 v168, v[214:215], v[218:219] offset0:49 offset1:50
	ds_store_2addr_b64 v168, v[212:213], v[216:217] offset0:51 offset1:52
	ds_store_2addr_b64 v168, v[210:211], v[222:223] offset0:53 offset1:54
	ds_store_b64 v168, v[224:225] offset:440
	ds_load_b64 v[0:1], v167
	s_wait_dscnt 0x0
	v_cmp_neq_f32_e32 vcc_lo, 0, v0
	v_cmp_neq_f32_e64 s1, 0, v1
	s_or_b32 s1, vcc_lo, s1
	s_delay_alu instid0(SALU_CYCLE_1)
	s_and_b32 exec_lo, exec_lo, s1
	s_cbranch_execz .LBB111_44
; %bb.39:
	v_cmp_ngt_f32_e64 s1, |v0|, |v1|
                                        ; implicit-def: $vgpr2_vgpr3
	s_and_saveexec_b32 s4, s1
	s_delay_alu instid0(SALU_CYCLE_1)
	s_xor_b32 s1, exec_lo, s4
	s_cbranch_execz .LBB111_41
; %bb.40:
	v_div_scale_f32 v2, null, v1, v1, v0
	v_div_scale_f32 v5, vcc_lo, v0, v1, v0
	s_delay_alu instid0(VALU_DEP_2) | instskip(SKIP_1) | instid1(TRANS32_DEP_1)
	v_rcp_f32_e32 v3, v2
	v_nop
	v_fma_f32 v4, -v2, v3, 1.0
	s_delay_alu instid0(VALU_DEP_1) | instskip(NEXT) | instid1(VALU_DEP_1)
	v_fmac_f32_e32 v3, v4, v3
	v_mul_f32_e32 v4, v5, v3
	s_delay_alu instid0(VALU_DEP_1) | instskip(NEXT) | instid1(VALU_DEP_1)
	v_fma_f32 v6, -v2, v4, v5
	v_fmac_f32_e32 v4, v6, v3
	s_delay_alu instid0(VALU_DEP_1) | instskip(NEXT) | instid1(VALU_DEP_1)
	v_fma_f32 v2, -v2, v4, v5
	v_div_fmas_f32 v2, v2, v3, v4
	s_delay_alu instid0(VALU_DEP_1) | instskip(NEXT) | instid1(VALU_DEP_1)
	v_div_fixup_f32 v2, v2, v1, v0
	v_fmac_f32_e32 v1, v0, v2
	s_delay_alu instid0(VALU_DEP_1) | instskip(SKIP_1) | instid1(VALU_DEP_2)
	v_div_scale_f32 v0, null, v1, v1, 1.0
	v_div_scale_f32 v5, vcc_lo, 1.0, v1, 1.0
	v_rcp_f32_e32 v3, v0
	v_nop
	s_delay_alu instid0(TRANS32_DEP_1) | instskip(NEXT) | instid1(VALU_DEP_1)
	v_fma_f32 v4, -v0, v3, 1.0
	v_fmac_f32_e32 v3, v4, v3
	s_delay_alu instid0(VALU_DEP_1) | instskip(NEXT) | instid1(VALU_DEP_1)
	v_mul_f32_e32 v4, v5, v3
	v_fma_f32 v6, -v0, v4, v5
	s_delay_alu instid0(VALU_DEP_1) | instskip(NEXT) | instid1(VALU_DEP_1)
	v_fmac_f32_e32 v4, v6, v3
	v_fma_f32 v0, -v0, v4, v5
	s_delay_alu instid0(VALU_DEP_1) | instskip(NEXT) | instid1(VALU_DEP_1)
	v_div_fmas_f32 v0, v0, v3, v4
	v_div_fixup_f32 v0, v0, v1, 1.0
	s_delay_alu instid0(VALU_DEP_1)
	v_mul_f32_e32 v2, v2, v0
	v_xor_b32_e32 v3, 0x80000000, v0
                                        ; implicit-def: $vgpr0_vgpr1
.LBB111_41:
	s_and_not1_saveexec_b32 s1, s1
	s_cbranch_execz .LBB111_43
; %bb.42:
	v_div_scale_f32 v2, null, v0, v0, v1
	v_div_scale_f32 v5, vcc_lo, v1, v0, v1
	s_delay_alu instid0(VALU_DEP_2) | instskip(SKIP_1) | instid1(TRANS32_DEP_1)
	v_rcp_f32_e32 v3, v2
	v_nop
	v_fma_f32 v4, -v2, v3, 1.0
	s_delay_alu instid0(VALU_DEP_1) | instskip(NEXT) | instid1(VALU_DEP_1)
	v_fmac_f32_e32 v3, v4, v3
	v_mul_f32_e32 v4, v5, v3
	s_delay_alu instid0(VALU_DEP_1) | instskip(NEXT) | instid1(VALU_DEP_1)
	v_fma_f32 v6, -v2, v4, v5
	v_fmac_f32_e32 v4, v6, v3
	s_delay_alu instid0(VALU_DEP_1) | instskip(NEXT) | instid1(VALU_DEP_1)
	v_fma_f32 v2, -v2, v4, v5
	v_div_fmas_f32 v2, v2, v3, v4
	s_delay_alu instid0(VALU_DEP_1) | instskip(NEXT) | instid1(VALU_DEP_1)
	v_div_fixup_f32 v3, v2, v0, v1
	v_fmac_f32_e32 v0, v1, v3
	s_delay_alu instid0(VALU_DEP_1) | instskip(NEXT) | instid1(VALU_DEP_1)
	v_div_scale_f32 v1, null, v0, v0, 1.0
	v_rcp_f32_e32 v2, v1
	v_nop
	s_delay_alu instid0(TRANS32_DEP_1) | instskip(NEXT) | instid1(VALU_DEP_1)
	v_fma_f32 v4, -v1, v2, 1.0
	v_fmac_f32_e32 v2, v4, v2
	v_div_scale_f32 v4, vcc_lo, 1.0, v0, 1.0
	s_delay_alu instid0(VALU_DEP_1) | instskip(NEXT) | instid1(VALU_DEP_1)
	v_mul_f32_e32 v5, v4, v2
	v_fma_f32 v6, -v1, v5, v4
	s_delay_alu instid0(VALU_DEP_1) | instskip(NEXT) | instid1(VALU_DEP_1)
	v_fmac_f32_e32 v5, v6, v2
	v_fma_f32 v1, -v1, v5, v4
	s_delay_alu instid0(VALU_DEP_1) | instskip(NEXT) | instid1(VALU_DEP_1)
	v_div_fmas_f32 v1, v1, v2, v5
	v_div_fixup_f32 v2, v1, v0, 1.0
	s_delay_alu instid0(VALU_DEP_1)
	v_mul_f32_e64 v3, v3, -v2
.LBB111_43:
	s_or_b32 exec_lo, exec_lo, s1
	ds_store_b64 v167, v[2:3]
.LBB111_44:
	s_or_b32 exec_lo, exec_lo, s2
	s_wait_dscnt 0x0
	s_barrier_signal -1
	s_barrier_wait -1
	ds_load_b64 v[0:1], v167
	s_mov_b32 s1, exec_lo
	s_wait_dscnt 0x0
	scratch_store_b64 off, v[0:1], off offset:280 ; 8-byte Folded Spill
	s_wait_xcnt 0x0
	v_cmpx_lt_u32_e32 4, v166
	s_cbranch_execz .LBB111_46
; %bb.45:
	scratch_load_b64 v[4:5], off, off offset:280 ; 8-byte Folded Reload
	s_wait_loadcnt 0x0
	v_pk_mul_f32 v[2:3], v[4:5], v[26:27] op_sel:[1,1] op_sel_hi:[0,1]
	s_delay_alu instid0(VALU_DEP_1)
	v_pk_fma_f32 v[0:1], v[4:5], v[26:27], v[2:3] op_sel_hi:[1,0,1] neg_lo:[0,0,1] neg_hi:[0,0,1]
	v_pk_fma_f32 v[2:3], v[4:5], v[26:27], v[2:3] op_sel_hi:[1,0,1]
	ds_load_2addr_b64 v[4:7], v168 offset0:5 offset1:6
	v_dual_mov_b32 v26, v0 :: v_dual_mov_b32 v27, v3
	s_wait_dscnt 0x0
	v_pk_mul_f32 v[8:9], v[4:5], v[2:3] op_sel:[0,1]
	s_delay_alu instid0(VALU_DEP_1) | instskip(SKIP_1) | instid1(VALU_DEP_1)
	v_pk_fma_f32 v[10:11], v[4:5], v[0:1], v[8:9] op_sel:[0,0,1] op_sel_hi:[1,1,0] neg_lo:[0,0,1] neg_hi:[0,0,1]
	v_pk_fma_f32 v[4:5], v[4:5], v[0:1], v[8:9] op_sel:[0,0,1] op_sel_hi:[1,0,0]
	v_mov_b32_e32 v11, v5
	v_pk_mul_f32 v[4:5], v[6:7], v[2:3] op_sel:[0,1]
	s_delay_alu instid0(VALU_DEP_1) | instskip(SKIP_1) | instid1(VALU_DEP_1)
	v_pk_fma_f32 v[8:9], v[6:7], v[0:1], v[4:5] op_sel:[0,0,1] op_sel_hi:[1,1,0] neg_lo:[0,0,1] neg_hi:[0,0,1]
	v_pk_fma_f32 v[4:5], v[6:7], v[0:1], v[4:5] op_sel:[0,0,1] op_sel_hi:[1,0,0]
	v_mov_b32_e32 v9, v5
	ds_load_2addr_b64 v[4:7], v168 offset0:7 offset1:8
	v_pk_add_f32 v[22:23], v[22:23], v[10:11] neg_lo:[0,1] neg_hi:[0,1]
	v_pk_add_f32 v[24:25], v[24:25], v[8:9] neg_lo:[0,1] neg_hi:[0,1]
	s_wait_dscnt 0x0
	v_pk_mul_f32 v[8:9], v[4:5], v[2:3] op_sel:[0,1]
	s_delay_alu instid0(VALU_DEP_1) | instskip(SKIP_2) | instid1(VALU_DEP_2)
	v_pk_fma_f32 v[10:11], v[4:5], v[0:1], v[8:9] op_sel:[0,0,1] op_sel_hi:[1,1,0] neg_lo:[0,0,1] neg_hi:[0,0,1]
	v_pk_fma_f32 v[4:5], v[4:5], v[0:1], v[8:9] op_sel:[0,0,1] op_sel_hi:[1,0,0]
	v_dual_mul_f32 v8, v7, v3 :: v_dual_mov_b32 v4, v7
	v_dual_mov_b32 v11, v5 :: v_dual_mov_b32 v5, v6
	s_delay_alu instid0(VALU_DEP_2) | instskip(SKIP_1) | instid1(VALU_DEP_3)
	v_pk_fma_f32 v[8:9], v[6:7], v[26:27], v[8:9] op_sel_hi:[1,1,0] neg_lo:[0,0,1] neg_hi:[0,0,1]
	v_mul_f32_e32 v6, v7, v0
	v_pk_add_f32 v[20:21], v[20:21], v[10:11] neg_lo:[0,1] neg_hi:[0,1]
	s_delay_alu instid0(VALU_DEP_2) | instskip(NEXT) | instid1(VALU_DEP_1)
	v_pk_fma_f32 v[4:5], v[4:5], v[26:27], v[6:7] op_sel_hi:[1,1,0]
	v_mov_b32_e32 v9, v5
	ds_load_2addr_b64 v[4:7], v168 offset0:9 offset1:10
	v_pk_add_f32 v[40:41], v[40:41], v[8:9] neg_lo:[0,1] neg_hi:[0,1]
	s_wait_dscnt 0x0
	v_pk_mul_f32 v[8:9], v[4:5], v[2:3] op_sel:[0,1]
	s_delay_alu instid0(VALU_DEP_1) | instskip(SKIP_1) | instid1(VALU_DEP_1)
	v_pk_fma_f32 v[10:11], v[4:5], v[0:1], v[8:9] op_sel:[0,0,1] op_sel_hi:[1,1,0] neg_lo:[0,0,1] neg_hi:[0,0,1]
	v_pk_fma_f32 v[4:5], v[4:5], v[0:1], v[8:9] op_sel:[0,0,1] op_sel_hi:[1,0,0]
	v_mov_b32_e32 v11, v5
	v_pk_mul_f32 v[4:5], v[6:7], v[2:3] op_sel:[0,1]
	s_delay_alu instid0(VALU_DEP_1) | instskip(SKIP_1) | instid1(VALU_DEP_1)
	v_pk_fma_f32 v[8:9], v[6:7], v[0:1], v[4:5] op_sel:[0,0,1] op_sel_hi:[1,1,0] neg_lo:[0,0,1] neg_hi:[0,0,1]
	v_pk_fma_f32 v[4:5], v[6:7], v[0:1], v[4:5] op_sel:[0,0,1] op_sel_hi:[1,0,0]
	v_mov_b32_e32 v9, v5
	ds_load_2addr_b64 v[4:7], v168 offset0:11 offset1:12
	v_pk_add_f32 v[36:37], v[36:37], v[10:11] neg_lo:[0,1] neg_hi:[0,1]
	v_pk_add_f32 v[38:39], v[38:39], v[8:9] neg_lo:[0,1] neg_hi:[0,1]
	s_wait_dscnt 0x0
	v_pk_mul_f32 v[8:9], v[4:5], v[2:3] op_sel:[0,1]
	s_delay_alu instid0(VALU_DEP_1) | instskip(SKIP_1) | instid1(VALU_DEP_1)
	v_pk_fma_f32 v[10:11], v[4:5], v[0:1], v[8:9] op_sel:[0,0,1] op_sel_hi:[1,1,0] neg_lo:[0,0,1] neg_hi:[0,0,1]
	v_pk_fma_f32 v[4:5], v[4:5], v[0:1], v[8:9] op_sel:[0,0,1] op_sel_hi:[1,0,0]
	v_mov_b32_e32 v11, v5
	v_pk_mul_f32 v[4:5], v[6:7], v[2:3] op_sel:[0,1]
	s_delay_alu instid0(VALU_DEP_1) | instskip(SKIP_1) | instid1(VALU_DEP_1)
	v_pk_fma_f32 v[8:9], v[6:7], v[0:1], v[4:5] op_sel:[0,0,1] op_sel_hi:[1,1,0] neg_lo:[0,0,1] neg_hi:[0,0,1]
	v_pk_fma_f32 v[4:5], v[6:7], v[0:1], v[4:5] op_sel:[0,0,1] op_sel_hi:[1,0,0]
	v_mov_b32_e32 v9, v5
	ds_load_2addr_b64 v[4:7], v168 offset0:13 offset1:14
	v_pk_add_f32 v[34:35], v[34:35], v[10:11] neg_lo:[0,1] neg_hi:[0,1]
	v_pk_add_f32 v[64:65], v[64:65], v[8:9] neg_lo:[0,1] neg_hi:[0,1]
	s_wait_dscnt 0x0
	v_dual_mul_f32 v8, v5, v3 :: v_dual_mul_f32 v10, v5, v0
	s_delay_alu instid0(VALU_DEP_1) | instskip(NEXT) | instid1(VALU_DEP_2)
	v_pk_fma_f32 v[8:9], v[4:5], v[26:27], v[8:9] op_sel_hi:[1,1,0] neg_lo:[0,0,1] neg_hi:[0,0,1]
	v_pk_fma_f32 v[4:5], v[4:5], v[26:27], v[10:11] op_sel:[1,0,0] op_sel_hi:[0,1,0]
	s_delay_alu instid0(VALU_DEP_1) | instskip(SKIP_1) | instid1(VALU_DEP_2)
	v_mov_b32_e32 v9, v5
	v_pk_mul_f32 v[4:5], v[6:7], v[2:3] op_sel:[0,1]
	v_pk_add_f32 v[60:61], v[60:61], v[8:9] neg_lo:[0,1] neg_hi:[0,1]
	s_delay_alu instid0(VALU_DEP_2) | instskip(SKIP_1) | instid1(VALU_DEP_1)
	v_pk_fma_f32 v[8:9], v[6:7], v[0:1], v[4:5] op_sel:[0,0,1] op_sel_hi:[1,1,0] neg_lo:[0,0,1] neg_hi:[0,0,1]
	v_pk_fma_f32 v[4:5], v[6:7], v[0:1], v[4:5] op_sel:[0,0,1] op_sel_hi:[1,0,0]
	v_mov_b32_e32 v9, v5
	ds_load_2addr_b64 v[4:7], v168 offset0:15 offset1:16
	v_pk_add_f32 v[62:63], v[62:63], v[8:9] neg_lo:[0,1] neg_hi:[0,1]
	s_wait_dscnt 0x0
	v_pk_mul_f32 v[8:9], v[4:5], v[2:3] op_sel:[0,1]
	s_delay_alu instid0(VALU_DEP_1) | instskip(SKIP_1) | instid1(VALU_DEP_1)
	v_pk_fma_f32 v[10:11], v[4:5], v[0:1], v[8:9] op_sel:[0,0,1] op_sel_hi:[1,1,0] neg_lo:[0,0,1] neg_hi:[0,0,1]
	v_pk_fma_f32 v[4:5], v[4:5], v[0:1], v[8:9] op_sel:[0,0,1] op_sel_hi:[1,0,0]
	v_mov_b32_e32 v11, v5
	v_pk_mul_f32 v[4:5], v[6:7], v[2:3] op_sel:[0,1]
	s_delay_alu instid0(VALU_DEP_2) | instskip(NEXT) | instid1(VALU_DEP_2)
	v_pk_add_f32 v[58:59], v[58:59], v[10:11] neg_lo:[0,1] neg_hi:[0,1]
	v_pk_fma_f32 v[8:9], v[6:7], v[0:1], v[4:5] op_sel:[0,0,1] op_sel_hi:[1,1,0] neg_lo:[0,0,1] neg_hi:[0,0,1]
	v_pk_fma_f32 v[4:5], v[6:7], v[0:1], v[4:5] op_sel:[0,0,1] op_sel_hi:[1,0,0]
	s_delay_alu instid0(VALU_DEP_1) | instskip(SKIP_4) | instid1(VALU_DEP_1)
	v_mov_b32_e32 v9, v5
	ds_load_2addr_b64 v[4:7], v168 offset0:17 offset1:18
	v_pk_add_f32 v[80:81], v[80:81], v[8:9] neg_lo:[0,1] neg_hi:[0,1]
	s_wait_dscnt 0x0
	v_pk_mul_f32 v[8:9], v[4:5], v[2:3] op_sel:[0,1]
	v_pk_fma_f32 v[10:11], v[4:5], v[0:1], v[8:9] op_sel:[0,0,1] op_sel_hi:[1,1,0] neg_lo:[0,0,1] neg_hi:[0,0,1]
	v_pk_fma_f32 v[4:5], v[4:5], v[0:1], v[8:9] op_sel:[0,0,1] op_sel_hi:[1,0,0]
	v_dual_mul_f32 v8, v7, v3 :: v_dual_mov_b32 v4, v7
	s_delay_alu instid0(VALU_DEP_2) | instskip(NEXT) | instid1(VALU_DEP_2)
	v_dual_mov_b32 v11, v5 :: v_dual_mov_b32 v5, v6
	v_pk_fma_f32 v[8:9], v[6:7], v[26:27], v[8:9] op_sel_hi:[1,1,0] neg_lo:[0,0,1] neg_hi:[0,0,1]
	v_mul_f32_e32 v6, v7, v0
	s_delay_alu instid0(VALU_DEP_3) | instskip(NEXT) | instid1(VALU_DEP_2)
	v_pk_add_f32 v[76:77], v[76:77], v[10:11] neg_lo:[0,1] neg_hi:[0,1]
	v_pk_fma_f32 v[4:5], v[4:5], v[26:27], v[6:7] op_sel_hi:[1,1,0]
	s_delay_alu instid0(VALU_DEP_1) | instskip(SKIP_4) | instid1(VALU_DEP_1)
	v_mov_b32_e32 v9, v5
	ds_load_2addr_b64 v[4:7], v168 offset0:19 offset1:20
	v_pk_add_f32 v[78:79], v[78:79], v[8:9] neg_lo:[0,1] neg_hi:[0,1]
	s_wait_dscnt 0x0
	v_pk_mul_f32 v[8:9], v[4:5], v[2:3] op_sel:[0,1]
	v_pk_fma_f32 v[10:11], v[4:5], v[0:1], v[8:9] op_sel:[0,0,1] op_sel_hi:[1,1,0] neg_lo:[0,0,1] neg_hi:[0,0,1]
	v_pk_fma_f32 v[4:5], v[4:5], v[0:1], v[8:9] op_sel:[0,0,1] op_sel_hi:[1,0,0]
	s_delay_alu instid0(VALU_DEP_1) | instskip(SKIP_1) | instid1(VALU_DEP_1)
	v_mov_b32_e32 v11, v5
	v_pk_mul_f32 v[4:5], v[6:7], v[2:3] op_sel:[0,1]
	v_pk_fma_f32 v[8:9], v[6:7], v[0:1], v[4:5] op_sel:[0,0,1] op_sel_hi:[1,1,0] neg_lo:[0,0,1] neg_hi:[0,0,1]
	v_pk_fma_f32 v[4:5], v[6:7], v[0:1], v[4:5] op_sel:[0,0,1] op_sel_hi:[1,0,0]
	s_delay_alu instid0(VALU_DEP_1)
	v_mov_b32_e32 v9, v5
	ds_load_2addr_b64 v[4:7], v168 offset0:21 offset1:22
	v_pk_add_f32 v[74:75], v[74:75], v[10:11] neg_lo:[0,1] neg_hi:[0,1]
	v_pk_add_f32 v[98:99], v[98:99], v[8:9] neg_lo:[0,1] neg_hi:[0,1]
	s_wait_dscnt 0x0
	v_pk_mul_f32 v[8:9], v[4:5], v[2:3] op_sel:[0,1]
	s_delay_alu instid0(VALU_DEP_1) | instskip(SKIP_1) | instid1(VALU_DEP_1)
	v_pk_fma_f32 v[10:11], v[4:5], v[0:1], v[8:9] op_sel:[0,0,1] op_sel_hi:[1,1,0] neg_lo:[0,0,1] neg_hi:[0,0,1]
	v_pk_fma_f32 v[4:5], v[4:5], v[0:1], v[8:9] op_sel:[0,0,1] op_sel_hi:[1,0,0]
	v_mov_b32_e32 v11, v5
	v_pk_mul_f32 v[4:5], v[6:7], v[2:3] op_sel:[0,1]
	s_delay_alu instid0(VALU_DEP_1) | instskip(SKIP_1) | instid1(VALU_DEP_1)
	v_pk_fma_f32 v[8:9], v[6:7], v[0:1], v[4:5] op_sel:[0,0,1] op_sel_hi:[1,1,0] neg_lo:[0,0,1] neg_hi:[0,0,1]
	v_pk_fma_f32 v[4:5], v[6:7], v[0:1], v[4:5] op_sel:[0,0,1] op_sel_hi:[1,0,0]
	v_mov_b32_e32 v9, v5
	ds_load_2addr_b64 v[4:7], v168 offset0:23 offset1:24
	v_pk_add_f32 v[94:95], v[94:95], v[10:11] neg_lo:[0,1] neg_hi:[0,1]
	v_pk_add_f32 v[96:97], v[96:97], v[8:9] neg_lo:[0,1] neg_hi:[0,1]
	s_wait_dscnt 0x0
	v_dual_mul_f32 v8, v5, v3 :: v_dual_mul_f32 v10, v5, v0
	s_delay_alu instid0(VALU_DEP_1) | instskip(NEXT) | instid1(VALU_DEP_2)
	v_pk_fma_f32 v[8:9], v[4:5], v[26:27], v[8:9] op_sel_hi:[1,1,0] neg_lo:[0,0,1] neg_hi:[0,0,1]
	v_pk_fma_f32 v[4:5], v[4:5], v[26:27], v[10:11] op_sel:[1,0,0] op_sel_hi:[0,1,0]
	s_delay_alu instid0(VALU_DEP_1) | instskip(SKIP_1) | instid1(VALU_DEP_2)
	v_mov_b32_e32 v9, v5
	v_pk_mul_f32 v[4:5], v[6:7], v[2:3] op_sel:[0,1]
	v_pk_add_f32 v[92:93], v[92:93], v[8:9] neg_lo:[0,1] neg_hi:[0,1]
	s_delay_alu instid0(VALU_DEP_2) | instskip(SKIP_1) | instid1(VALU_DEP_1)
	v_pk_fma_f32 v[8:9], v[6:7], v[0:1], v[4:5] op_sel:[0,0,1] op_sel_hi:[1,1,0] neg_lo:[0,0,1] neg_hi:[0,0,1]
	v_pk_fma_f32 v[4:5], v[6:7], v[0:1], v[4:5] op_sel:[0,0,1] op_sel_hi:[1,0,0]
	v_mov_b32_e32 v9, v5
	ds_load_2addr_b64 v[4:7], v168 offset0:25 offset1:26
	v_pk_add_f32 v[114:115], v[114:115], v[8:9] neg_lo:[0,1] neg_hi:[0,1]
	s_wait_dscnt 0x0
	v_pk_mul_f32 v[8:9], v[4:5], v[2:3] op_sel:[0,1]
	s_delay_alu instid0(VALU_DEP_1) | instskip(SKIP_1) | instid1(VALU_DEP_1)
	v_pk_fma_f32 v[10:11], v[4:5], v[0:1], v[8:9] op_sel:[0,0,1] op_sel_hi:[1,1,0] neg_lo:[0,0,1] neg_hi:[0,0,1]
	v_pk_fma_f32 v[4:5], v[4:5], v[0:1], v[8:9] op_sel:[0,0,1] op_sel_hi:[1,0,0]
	v_mov_b32_e32 v11, v5
	v_pk_mul_f32 v[4:5], v[6:7], v[2:3] op_sel:[0,1]
	s_delay_alu instid0(VALU_DEP_2) | instskip(NEXT) | instid1(VALU_DEP_2)
	v_pk_add_f32 v[110:111], v[110:111], v[10:11] neg_lo:[0,1] neg_hi:[0,1]
	v_pk_fma_f32 v[8:9], v[6:7], v[0:1], v[4:5] op_sel:[0,0,1] op_sel_hi:[1,1,0] neg_lo:[0,0,1] neg_hi:[0,0,1]
	v_pk_fma_f32 v[4:5], v[6:7], v[0:1], v[4:5] op_sel:[0,0,1] op_sel_hi:[1,0,0]
	s_delay_alu instid0(VALU_DEP_1) | instskip(SKIP_4) | instid1(VALU_DEP_1)
	v_mov_b32_e32 v9, v5
	ds_load_2addr_b64 v[4:7], v168 offset0:27 offset1:28
	v_pk_add_f32 v[112:113], v[112:113], v[8:9] neg_lo:[0,1] neg_hi:[0,1]
	s_wait_dscnt 0x0
	v_pk_mul_f32 v[8:9], v[4:5], v[2:3] op_sel:[0,1]
	v_pk_fma_f32 v[10:11], v[4:5], v[0:1], v[8:9] op_sel:[0,0,1] op_sel_hi:[1,1,0] neg_lo:[0,0,1] neg_hi:[0,0,1]
	v_pk_fma_f32 v[4:5], v[4:5], v[0:1], v[8:9] op_sel:[0,0,1] op_sel_hi:[1,0,0]
	v_dual_mul_f32 v8, v7, v3 :: v_dual_mov_b32 v4, v7
	s_delay_alu instid0(VALU_DEP_2) | instskip(NEXT) | instid1(VALU_DEP_2)
	v_dual_mov_b32 v11, v5 :: v_dual_mov_b32 v5, v6
	v_pk_fma_f32 v[8:9], v[6:7], v[26:27], v[8:9] op_sel_hi:[1,1,0] neg_lo:[0,0,1] neg_hi:[0,0,1]
	v_mul_f32_e32 v6, v7, v0
	s_delay_alu instid0(VALU_DEP_3) | instskip(NEXT) | instid1(VALU_DEP_2)
	v_pk_add_f32 v[108:109], v[108:109], v[10:11] neg_lo:[0,1] neg_hi:[0,1]
	v_pk_fma_f32 v[4:5], v[4:5], v[26:27], v[6:7] op_sel_hi:[1,1,0]
	s_delay_alu instid0(VALU_DEP_1) | instskip(SKIP_4) | instid1(VALU_DEP_1)
	v_mov_b32_e32 v9, v5
	ds_load_2addr_b64 v[4:7], v168 offset0:29 offset1:30
	v_pk_add_f32 v[130:131], v[130:131], v[8:9] neg_lo:[0,1] neg_hi:[0,1]
	s_wait_dscnt 0x0
	v_pk_mul_f32 v[8:9], v[4:5], v[2:3] op_sel:[0,1]
	v_pk_fma_f32 v[10:11], v[4:5], v[0:1], v[8:9] op_sel:[0,0,1] op_sel_hi:[1,1,0] neg_lo:[0,0,1] neg_hi:[0,0,1]
	v_pk_fma_f32 v[4:5], v[4:5], v[0:1], v[8:9] op_sel:[0,0,1] op_sel_hi:[1,0,0]
	s_delay_alu instid0(VALU_DEP_1) | instskip(SKIP_1) | instid1(VALU_DEP_1)
	v_mov_b32_e32 v11, v5
	v_pk_mul_f32 v[4:5], v[6:7], v[2:3] op_sel:[0,1]
	v_pk_fma_f32 v[8:9], v[6:7], v[0:1], v[4:5] op_sel:[0,0,1] op_sel_hi:[1,1,0] neg_lo:[0,0,1] neg_hi:[0,0,1]
	v_pk_fma_f32 v[4:5], v[6:7], v[0:1], v[4:5] op_sel:[0,0,1] op_sel_hi:[1,0,0]
	s_delay_alu instid0(VALU_DEP_1)
	v_mov_b32_e32 v9, v5
	ds_load_2addr_b64 v[4:7], v168 offset0:31 offset1:32
	v_pk_add_f32 v[126:127], v[126:127], v[10:11] neg_lo:[0,1] neg_hi:[0,1]
	v_pk_add_f32 v[128:129], v[128:129], v[8:9] neg_lo:[0,1] neg_hi:[0,1]
	s_wait_dscnt 0x0
	v_pk_mul_f32 v[8:9], v[4:5], v[2:3] op_sel:[0,1]
	s_delay_alu instid0(VALU_DEP_1) | instskip(SKIP_1) | instid1(VALU_DEP_1)
	v_pk_fma_f32 v[10:11], v[4:5], v[0:1], v[8:9] op_sel:[0,0,1] op_sel_hi:[1,1,0] neg_lo:[0,0,1] neg_hi:[0,0,1]
	v_pk_fma_f32 v[4:5], v[4:5], v[0:1], v[8:9] op_sel:[0,0,1] op_sel_hi:[1,0,0]
	v_mov_b32_e32 v11, v5
	v_pk_mul_f32 v[4:5], v[6:7], v[2:3] op_sel:[0,1]
	s_delay_alu instid0(VALU_DEP_1) | instskip(SKIP_1) | instid1(VALU_DEP_1)
	v_pk_fma_f32 v[8:9], v[6:7], v[0:1], v[4:5] op_sel:[0,0,1] op_sel_hi:[1,1,0] neg_lo:[0,0,1] neg_hi:[0,0,1]
	v_pk_fma_f32 v[4:5], v[6:7], v[0:1], v[4:5] op_sel:[0,0,1] op_sel_hi:[1,0,0]
	v_mov_b32_e32 v9, v5
	ds_load_2addr_b64 v[4:7], v168 offset0:33 offset1:34
	v_pk_add_f32 v[124:125], v[124:125], v[10:11] neg_lo:[0,1] neg_hi:[0,1]
	v_pk_add_f32 v[146:147], v[146:147], v[8:9] neg_lo:[0,1] neg_hi:[0,1]
	s_wait_dscnt 0x0
	v_dual_mul_f32 v8, v5, v3 :: v_dual_mul_f32 v10, v5, v0
	s_delay_alu instid0(VALU_DEP_1) | instskip(NEXT) | instid1(VALU_DEP_2)
	v_pk_fma_f32 v[8:9], v[4:5], v[26:27], v[8:9] op_sel_hi:[1,1,0] neg_lo:[0,0,1] neg_hi:[0,0,1]
	v_pk_fma_f32 v[4:5], v[4:5], v[26:27], v[10:11] op_sel:[1,0,0] op_sel_hi:[0,1,0]
	s_delay_alu instid0(VALU_DEP_1) | instskip(SKIP_1) | instid1(VALU_DEP_2)
	v_mov_b32_e32 v9, v5
	v_pk_mul_f32 v[4:5], v[6:7], v[2:3] op_sel:[0,1]
	v_pk_add_f32 v[142:143], v[142:143], v[8:9] neg_lo:[0,1] neg_hi:[0,1]
	s_delay_alu instid0(VALU_DEP_2) | instskip(SKIP_1) | instid1(VALU_DEP_1)
	v_pk_fma_f32 v[8:9], v[6:7], v[0:1], v[4:5] op_sel:[0,0,1] op_sel_hi:[1,1,0] neg_lo:[0,0,1] neg_hi:[0,0,1]
	v_pk_fma_f32 v[4:5], v[6:7], v[0:1], v[4:5] op_sel:[0,0,1] op_sel_hi:[1,0,0]
	v_mov_b32_e32 v9, v5
	ds_load_2addr_b64 v[4:7], v168 offset0:35 offset1:36
	v_pk_add_f32 v[144:145], v[144:145], v[8:9] neg_lo:[0,1] neg_hi:[0,1]
	s_wait_dscnt 0x0
	v_pk_mul_f32 v[8:9], v[4:5], v[2:3] op_sel:[0,1]
	s_delay_alu instid0(VALU_DEP_1) | instskip(SKIP_1) | instid1(VALU_DEP_1)
	v_pk_fma_f32 v[10:11], v[4:5], v[0:1], v[8:9] op_sel:[0,0,1] op_sel_hi:[1,1,0] neg_lo:[0,0,1] neg_hi:[0,0,1]
	v_pk_fma_f32 v[4:5], v[4:5], v[0:1], v[8:9] op_sel:[0,0,1] op_sel_hi:[1,0,0]
	v_mov_b32_e32 v11, v5
	v_pk_mul_f32 v[4:5], v[6:7], v[2:3] op_sel:[0,1]
	s_delay_alu instid0(VALU_DEP_2) | instskip(NEXT) | instid1(VALU_DEP_2)
	v_pk_add_f32 v[140:141], v[140:141], v[10:11] neg_lo:[0,1] neg_hi:[0,1]
	v_pk_fma_f32 v[8:9], v[6:7], v[0:1], v[4:5] op_sel:[0,0,1] op_sel_hi:[1,1,0] neg_lo:[0,0,1] neg_hi:[0,0,1]
	v_pk_fma_f32 v[4:5], v[6:7], v[0:1], v[4:5] op_sel:[0,0,1] op_sel_hi:[1,0,0]
	s_delay_alu instid0(VALU_DEP_1) | instskip(SKIP_4) | instid1(VALU_DEP_1)
	v_mov_b32_e32 v9, v5
	ds_load_2addr_b64 v[4:7], v168 offset0:37 offset1:38
	v_pk_add_f32 v[162:163], v[162:163], v[8:9] neg_lo:[0,1] neg_hi:[0,1]
	s_wait_dscnt 0x0
	v_pk_mul_f32 v[8:9], v[4:5], v[2:3] op_sel:[0,1]
	v_pk_fma_f32 v[10:11], v[4:5], v[0:1], v[8:9] op_sel:[0,0,1] op_sel_hi:[1,1,0] neg_lo:[0,0,1] neg_hi:[0,0,1]
	v_pk_fma_f32 v[4:5], v[4:5], v[0:1], v[8:9] op_sel:[0,0,1] op_sel_hi:[1,0,0]
	v_dual_mul_f32 v8, v7, v3 :: v_dual_mov_b32 v4, v7
	s_delay_alu instid0(VALU_DEP_2) | instskip(NEXT) | instid1(VALU_DEP_2)
	v_dual_mov_b32 v11, v5 :: v_dual_mov_b32 v5, v6
	v_pk_fma_f32 v[8:9], v[6:7], v[26:27], v[8:9] op_sel_hi:[1,1,0] neg_lo:[0,0,1] neg_hi:[0,0,1]
	v_mul_f32_e32 v6, v7, v0
	s_delay_alu instid0(VALU_DEP_3) | instskip(NEXT) | instid1(VALU_DEP_2)
	v_pk_add_f32 v[158:159], v[158:159], v[10:11] neg_lo:[0,1] neg_hi:[0,1]
	v_pk_fma_f32 v[4:5], v[4:5], v[26:27], v[6:7] op_sel_hi:[1,1,0]
	s_delay_alu instid0(VALU_DEP_1) | instskip(SKIP_4) | instid1(VALU_DEP_1)
	v_mov_b32_e32 v9, v5
	ds_load_2addr_b64 v[4:7], v168 offset0:39 offset1:40
	v_pk_add_f32 v[160:161], v[160:161], v[8:9] neg_lo:[0,1] neg_hi:[0,1]
	s_wait_dscnt 0x0
	v_pk_mul_f32 v[8:9], v[4:5], v[2:3] op_sel:[0,1]
	v_pk_fma_f32 v[10:11], v[4:5], v[0:1], v[8:9] op_sel:[0,0,1] op_sel_hi:[1,1,0] neg_lo:[0,0,1] neg_hi:[0,0,1]
	v_pk_fma_f32 v[4:5], v[4:5], v[0:1], v[8:9] op_sel:[0,0,1] op_sel_hi:[1,0,0]
	s_delay_alu instid0(VALU_DEP_1) | instskip(SKIP_1) | instid1(VALU_DEP_1)
	v_mov_b32_e32 v11, v5
	v_pk_mul_f32 v[4:5], v[6:7], v[2:3] op_sel:[0,1]
	v_pk_fma_f32 v[8:9], v[6:7], v[0:1], v[4:5] op_sel:[0,0,1] op_sel_hi:[1,1,0] neg_lo:[0,0,1] neg_hi:[0,0,1]
	v_pk_fma_f32 v[4:5], v[6:7], v[0:1], v[4:5] op_sel:[0,0,1] op_sel_hi:[1,0,0]
	s_delay_alu instid0(VALU_DEP_1)
	v_mov_b32_e32 v9, v5
	ds_load_2addr_b64 v[4:7], v168 offset0:41 offset1:42
	v_pk_add_f32 v[156:157], v[156:157], v[10:11] neg_lo:[0,1] neg_hi:[0,1]
	v_pk_add_f32 v[178:179], v[178:179], v[8:9] neg_lo:[0,1] neg_hi:[0,1]
	s_wait_dscnt 0x0
	v_pk_mul_f32 v[8:9], v[4:5], v[2:3] op_sel:[0,1]
	s_delay_alu instid0(VALU_DEP_1) | instskip(SKIP_1) | instid1(VALU_DEP_1)
	v_pk_fma_f32 v[10:11], v[4:5], v[0:1], v[8:9] op_sel:[0,0,1] op_sel_hi:[1,1,0] neg_lo:[0,0,1] neg_hi:[0,0,1]
	v_pk_fma_f32 v[4:5], v[4:5], v[0:1], v[8:9] op_sel:[0,0,1] op_sel_hi:[1,0,0]
	v_mov_b32_e32 v11, v5
	v_pk_mul_f32 v[4:5], v[6:7], v[2:3] op_sel:[0,1]
	s_delay_alu instid0(VALU_DEP_1) | instskip(SKIP_1) | instid1(VALU_DEP_1)
	v_pk_fma_f32 v[8:9], v[6:7], v[0:1], v[4:5] op_sel:[0,0,1] op_sel_hi:[1,1,0] neg_lo:[0,0,1] neg_hi:[0,0,1]
	v_pk_fma_f32 v[4:5], v[6:7], v[0:1], v[4:5] op_sel:[0,0,1] op_sel_hi:[1,0,0]
	v_mov_b32_e32 v9, v5
	ds_load_2addr_b64 v[4:7], v168 offset0:43 offset1:44
	v_pk_add_f32 v[174:175], v[174:175], v[10:11] neg_lo:[0,1] neg_hi:[0,1]
	v_pk_add_f32 v[176:177], v[176:177], v[8:9] neg_lo:[0,1] neg_hi:[0,1]
	s_wait_dscnt 0x0
	v_dual_mul_f32 v8, v5, v3 :: v_dual_mul_f32 v10, v5, v0
	s_delay_alu instid0(VALU_DEP_1) | instskip(NEXT) | instid1(VALU_DEP_2)
	v_pk_fma_f32 v[8:9], v[4:5], v[26:27], v[8:9] op_sel_hi:[1,1,0] neg_lo:[0,0,1] neg_hi:[0,0,1]
	v_pk_fma_f32 v[4:5], v[4:5], v[26:27], v[10:11] op_sel:[1,0,0] op_sel_hi:[0,1,0]
	s_delay_alu instid0(VALU_DEP_1) | instskip(SKIP_1) | instid1(VALU_DEP_2)
	v_mov_b32_e32 v9, v5
	v_pk_mul_f32 v[4:5], v[6:7], v[2:3] op_sel:[0,1]
	v_pk_add_f32 v[172:173], v[172:173], v[8:9] neg_lo:[0,1] neg_hi:[0,1]
	s_delay_alu instid0(VALU_DEP_2) | instskip(SKIP_1) | instid1(VALU_DEP_1)
	v_pk_fma_f32 v[8:9], v[6:7], v[0:1], v[4:5] op_sel:[0,0,1] op_sel_hi:[1,1,0] neg_lo:[0,0,1] neg_hi:[0,0,1]
	v_pk_fma_f32 v[4:5], v[6:7], v[0:1], v[4:5] op_sel:[0,0,1] op_sel_hi:[1,0,0]
	v_mov_b32_e32 v9, v5
	ds_load_2addr_b64 v[4:7], v168 offset0:45 offset1:46
	v_pk_add_f32 v[198:199], v[198:199], v[8:9] neg_lo:[0,1] neg_hi:[0,1]
	s_wait_dscnt 0x0
	v_pk_mul_f32 v[8:9], v[4:5], v[2:3] op_sel:[0,1]
	s_delay_alu instid0(VALU_DEP_1) | instskip(SKIP_1) | instid1(VALU_DEP_1)
	v_pk_fma_f32 v[10:11], v[4:5], v[0:1], v[8:9] op_sel:[0,0,1] op_sel_hi:[1,1,0] neg_lo:[0,0,1] neg_hi:[0,0,1]
	v_pk_fma_f32 v[4:5], v[4:5], v[0:1], v[8:9] op_sel:[0,0,1] op_sel_hi:[1,0,0]
	v_mov_b32_e32 v11, v5
	v_pk_mul_f32 v[4:5], v[6:7], v[2:3] op_sel:[0,1]
	s_delay_alu instid0(VALU_DEP_2) | instskip(NEXT) | instid1(VALU_DEP_2)
	v_pk_add_f32 v[194:195], v[194:195], v[10:11] neg_lo:[0,1] neg_hi:[0,1]
	v_pk_fma_f32 v[8:9], v[6:7], v[0:1], v[4:5] op_sel:[0,0,1] op_sel_hi:[1,1,0] neg_lo:[0,0,1] neg_hi:[0,0,1]
	v_pk_fma_f32 v[4:5], v[6:7], v[0:1], v[4:5] op_sel:[0,0,1] op_sel_hi:[1,0,0]
	s_delay_alu instid0(VALU_DEP_1) | instskip(SKIP_4) | instid1(VALU_DEP_1)
	v_mov_b32_e32 v9, v5
	ds_load_2addr_b64 v[4:7], v168 offset0:47 offset1:48
	v_pk_add_f32 v[196:197], v[196:197], v[8:9] neg_lo:[0,1] neg_hi:[0,1]
	s_wait_dscnt 0x0
	v_pk_mul_f32 v[8:9], v[4:5], v[2:3] op_sel:[0,1]
	v_pk_fma_f32 v[10:11], v[4:5], v[0:1], v[8:9] op_sel:[0,0,1] op_sel_hi:[1,1,0] neg_lo:[0,0,1] neg_hi:[0,0,1]
	v_pk_fma_f32 v[4:5], v[4:5], v[0:1], v[8:9] op_sel:[0,0,1] op_sel_hi:[1,0,0]
	v_dual_mul_f32 v8, v7, v3 :: v_dual_mov_b32 v4, v7
	s_delay_alu instid0(VALU_DEP_2) | instskip(NEXT) | instid1(VALU_DEP_2)
	v_dual_mov_b32 v11, v5 :: v_dual_mov_b32 v5, v6
	v_pk_fma_f32 v[8:9], v[6:7], v[26:27], v[8:9] op_sel_hi:[1,1,0] neg_lo:[0,0,1] neg_hi:[0,0,1]
	v_mul_f32_e32 v6, v7, v0
	s_delay_alu instid0(VALU_DEP_3) | instskip(NEXT) | instid1(VALU_DEP_2)
	v_pk_add_f32 v[192:193], v[192:193], v[10:11] neg_lo:[0,1] neg_hi:[0,1]
	v_pk_fma_f32 v[4:5], v[4:5], v[26:27], v[6:7] op_sel_hi:[1,1,0]
	s_delay_alu instid0(VALU_DEP_1) | instskip(SKIP_4) | instid1(VALU_DEP_1)
	v_mov_b32_e32 v9, v5
	ds_load_2addr_b64 v[4:7], v168 offset0:49 offset1:50
	v_pk_add_f32 v[220:221], v[220:221], v[8:9] neg_lo:[0,1] neg_hi:[0,1]
	s_wait_dscnt 0x0
	v_pk_mul_f32 v[8:9], v[4:5], v[2:3] op_sel:[0,1]
	v_pk_fma_f32 v[10:11], v[4:5], v[0:1], v[8:9] op_sel:[0,0,1] op_sel_hi:[1,1,0] neg_lo:[0,0,1] neg_hi:[0,0,1]
	v_pk_fma_f32 v[4:5], v[4:5], v[0:1], v[8:9] op_sel:[0,0,1] op_sel_hi:[1,0,0]
	s_delay_alu instid0(VALU_DEP_1) | instskip(SKIP_1) | instid1(VALU_DEP_1)
	v_mov_b32_e32 v11, v5
	v_pk_mul_f32 v[4:5], v[6:7], v[2:3] op_sel:[0,1]
	v_pk_fma_f32 v[8:9], v[6:7], v[0:1], v[4:5] op_sel:[0,0,1] op_sel_hi:[1,1,0] neg_lo:[0,0,1] neg_hi:[0,0,1]
	v_pk_fma_f32 v[4:5], v[6:7], v[0:1], v[4:5] op_sel:[0,0,1] op_sel_hi:[1,0,0]
	s_delay_alu instid0(VALU_DEP_1)
	v_mov_b32_e32 v9, v5
	ds_load_2addr_b64 v[4:7], v168 offset0:51 offset1:52
	v_pk_add_f32 v[214:215], v[214:215], v[10:11] neg_lo:[0,1] neg_hi:[0,1]
	v_pk_add_f32 v[218:219], v[218:219], v[8:9] neg_lo:[0,1] neg_hi:[0,1]
	s_wait_dscnt 0x0
	v_pk_mul_f32 v[8:9], v[4:5], v[2:3] op_sel:[0,1]
	s_delay_alu instid0(VALU_DEP_1) | instskip(SKIP_1) | instid1(VALU_DEP_1)
	v_pk_fma_f32 v[10:11], v[4:5], v[0:1], v[8:9] op_sel:[0,0,1] op_sel_hi:[1,1,0] neg_lo:[0,0,1] neg_hi:[0,0,1]
	v_pk_fma_f32 v[4:5], v[4:5], v[0:1], v[8:9] op_sel:[0,0,1] op_sel_hi:[1,0,0]
	v_mov_b32_e32 v11, v5
	v_pk_mul_f32 v[4:5], v[6:7], v[2:3] op_sel:[0,1]
	s_delay_alu instid0(VALU_DEP_1) | instskip(SKIP_1) | instid1(VALU_DEP_1)
	v_pk_fma_f32 v[8:9], v[6:7], v[0:1], v[4:5] op_sel:[0,0,1] op_sel_hi:[1,1,0] neg_lo:[0,0,1] neg_hi:[0,0,1]
	v_pk_fma_f32 v[4:5], v[6:7], v[0:1], v[4:5] op_sel:[0,0,1] op_sel_hi:[1,0,0]
	v_mov_b32_e32 v9, v5
	ds_load_2addr_b64 v[4:7], v168 offset0:53 offset1:54
	v_pk_add_f32 v[212:213], v[212:213], v[10:11] neg_lo:[0,1] neg_hi:[0,1]
	v_pk_add_f32 v[216:217], v[216:217], v[8:9] neg_lo:[0,1] neg_hi:[0,1]
	s_wait_dscnt 0x0
	v_dual_mul_f32 v8, v5, v3 :: v_dual_mul_f32 v10, v5, v0
	s_delay_alu instid0(VALU_DEP_1) | instskip(NEXT) | instid1(VALU_DEP_2)
	v_pk_fma_f32 v[8:9], v[4:5], v[26:27], v[8:9] op_sel_hi:[1,1,0] neg_lo:[0,0,1] neg_hi:[0,0,1]
	v_pk_fma_f32 v[4:5], v[4:5], v[26:27], v[10:11] op_sel:[1,0,0] op_sel_hi:[0,1,0]
	s_delay_alu instid0(VALU_DEP_1) | instskip(SKIP_1) | instid1(VALU_DEP_2)
	v_mov_b32_e32 v9, v5
	v_pk_mul_f32 v[4:5], v[6:7], v[2:3] op_sel:[0,1]
	v_pk_add_f32 v[210:211], v[210:211], v[8:9] neg_lo:[0,1] neg_hi:[0,1]
	s_delay_alu instid0(VALU_DEP_2) | instskip(SKIP_1) | instid1(VALU_DEP_1)
	v_pk_fma_f32 v[8:9], v[6:7], v[0:1], v[4:5] op_sel:[0,0,1] op_sel_hi:[1,1,0] neg_lo:[0,0,1] neg_hi:[0,0,1]
	v_pk_fma_f32 v[4:5], v[6:7], v[0:1], v[4:5] op_sel:[0,0,1] op_sel_hi:[1,0,0]
	v_mov_b32_e32 v9, v5
	ds_load_b64 v[4:5], v168 offset:440
	v_pk_add_f32 v[222:223], v[222:223], v[8:9] neg_lo:[0,1] neg_hi:[0,1]
	s_wait_dscnt 0x0
	v_pk_mul_f32 v[2:3], v[4:5], v[2:3] op_sel:[0,1]
	s_delay_alu instid0(VALU_DEP_1) | instskip(SKIP_1) | instid1(VALU_DEP_1)
	v_pk_fma_f32 v[6:7], v[4:5], v[0:1], v[2:3] op_sel:[0,0,1] op_sel_hi:[1,1,0] neg_lo:[0,0,1] neg_hi:[0,0,1]
	v_pk_fma_f32 v[0:1], v[4:5], v[0:1], v[2:3] op_sel:[0,0,1] op_sel_hi:[1,0,0]
	v_mov_b32_e32 v7, v1
	s_delay_alu instid0(VALU_DEP_1)
	v_pk_add_f32 v[224:225], v[224:225], v[6:7] neg_lo:[0,1] neg_hi:[0,1]
.LBB111_46:
	s_wait_xcnt 0x0
	s_or_b32 exec_lo, exec_lo, s1
	s_delay_alu instid0(SALU_CYCLE_1)
	s_mov_b32 s2, exec_lo
	s_wait_storecnt 0x0
	s_barrier_signal -1
	s_barrier_wait -1
	v_cmpx_eq_u32_e32 5, v166
	s_cbranch_execz .LBB111_53
; %bb.47:
	v_dual_mov_b32 v0, v24 :: v_dual_mov_b32 v1, v25
	v_dual_mov_b32 v2, v20 :: v_dual_mov_b32 v3, v21
	ds_store_b64 v167, v[22:23]
	ds_store_2addr_b64 v168, v[0:1], v[2:3] offset0:6 offset1:7
	v_dual_mov_b32 v0, v40 :: v_dual_mov_b32 v1, v41
	v_dual_mov_b32 v2, v36 :: v_dual_mov_b32 v3, v37
	ds_store_2addr_b64 v168, v[0:1], v[2:3] offset0:8 offset1:9
	v_dual_mov_b32 v0, v38 :: v_dual_mov_b32 v1, v39
	v_dual_mov_b32 v2, v34 :: v_dual_mov_b32 v3, v35
	ds_store_2addr_b64 v168, v[0:1], v[2:3] offset0:10 offset1:11
	v_dual_mov_b32 v0, v64 :: v_dual_mov_b32 v1, v65
	v_dual_mov_b32 v2, v60 :: v_dual_mov_b32 v3, v61
	ds_store_2addr_b64 v168, v[0:1], v[2:3] offset0:12 offset1:13
	v_dual_mov_b32 v0, v62 :: v_dual_mov_b32 v1, v63
	v_dual_mov_b32 v2, v58 :: v_dual_mov_b32 v3, v59
	ds_store_2addr_b64 v168, v[0:1], v[2:3] offset0:14 offset1:15
	v_dual_mov_b32 v0, v80 :: v_dual_mov_b32 v1, v81
	v_dual_mov_b32 v2, v76 :: v_dual_mov_b32 v3, v77
	ds_store_2addr_b64 v168, v[0:1], v[2:3] offset0:16 offset1:17
	v_dual_mov_b32 v0, v78 :: v_dual_mov_b32 v1, v79
	v_dual_mov_b32 v2, v74 :: v_dual_mov_b32 v3, v75
	ds_store_2addr_b64 v168, v[0:1], v[2:3] offset0:18 offset1:19
	v_dual_mov_b32 v0, v98 :: v_dual_mov_b32 v1, v99
	v_dual_mov_b32 v2, v94 :: v_dual_mov_b32 v3, v95
	ds_store_2addr_b64 v168, v[0:1], v[2:3] offset0:20 offset1:21
	v_dual_mov_b32 v0, v96 :: v_dual_mov_b32 v1, v97
	v_dual_mov_b32 v2, v92 :: v_dual_mov_b32 v3, v93
	ds_store_2addr_b64 v168, v[0:1], v[2:3] offset0:22 offset1:23
	v_dual_mov_b32 v0, v114 :: v_dual_mov_b32 v1, v115
	v_dual_mov_b32 v2, v110 :: v_dual_mov_b32 v3, v111
	ds_store_2addr_b64 v168, v[0:1], v[2:3] offset0:24 offset1:25
	v_dual_mov_b32 v0, v112 :: v_dual_mov_b32 v1, v113
	v_dual_mov_b32 v2, v108 :: v_dual_mov_b32 v3, v109
	ds_store_2addr_b64 v168, v[0:1], v[2:3] offset0:26 offset1:27
	v_dual_mov_b32 v0, v130 :: v_dual_mov_b32 v1, v131
	v_dual_mov_b32 v2, v126 :: v_dual_mov_b32 v3, v127
	ds_store_2addr_b64 v168, v[0:1], v[2:3] offset0:28 offset1:29
	v_dual_mov_b32 v0, v128 :: v_dual_mov_b32 v1, v129
	v_dual_mov_b32 v2, v124 :: v_dual_mov_b32 v3, v125
	ds_store_2addr_b64 v168, v[0:1], v[2:3] offset0:30 offset1:31
	v_dual_mov_b32 v0, v146 :: v_dual_mov_b32 v1, v147
	v_dual_mov_b32 v2, v142 :: v_dual_mov_b32 v3, v143
	ds_store_2addr_b64 v168, v[0:1], v[2:3] offset0:32 offset1:33
	v_dual_mov_b32 v0, v144 :: v_dual_mov_b32 v1, v145
	v_dual_mov_b32 v2, v140 :: v_dual_mov_b32 v3, v141
	ds_store_2addr_b64 v168, v[0:1], v[2:3] offset0:34 offset1:35
	v_dual_mov_b32 v0, v162 :: v_dual_mov_b32 v1, v163
	v_dual_mov_b32 v2, v158 :: v_dual_mov_b32 v3, v159
	ds_store_2addr_b64 v168, v[0:1], v[2:3] offset0:36 offset1:37
	v_dual_mov_b32 v0, v160 :: v_dual_mov_b32 v1, v161
	v_dual_mov_b32 v2, v156 :: v_dual_mov_b32 v3, v157
	ds_store_2addr_b64 v168, v[0:1], v[2:3] offset0:38 offset1:39
	v_dual_mov_b32 v0, v178 :: v_dual_mov_b32 v1, v179
	v_dual_mov_b32 v2, v174 :: v_dual_mov_b32 v3, v175
	ds_store_2addr_b64 v168, v[0:1], v[2:3] offset0:40 offset1:41
	v_dual_mov_b32 v0, v176 :: v_dual_mov_b32 v1, v177
	v_dual_mov_b32 v2, v172 :: v_dual_mov_b32 v3, v173
	ds_store_2addr_b64 v168, v[0:1], v[2:3] offset0:42 offset1:43
	v_dual_mov_b32 v0, v198 :: v_dual_mov_b32 v1, v199
	v_dual_mov_b32 v2, v194 :: v_dual_mov_b32 v3, v195
	ds_store_2addr_b64 v168, v[0:1], v[2:3] offset0:44 offset1:45
	v_dual_mov_b32 v0, v196 :: v_dual_mov_b32 v1, v197
	v_dual_mov_b32 v2, v192 :: v_dual_mov_b32 v3, v193
	ds_store_2addr_b64 v168, v[0:1], v[2:3] offset0:46 offset1:47
	v_dual_mov_b32 v0, v220 :: v_dual_mov_b32 v1, v221
	v_dual_mov_b32 v2, v214 :: v_dual_mov_b32 v3, v215
	ds_store_2addr_b64 v168, v[0:1], v[2:3] offset0:48 offset1:49
	v_dual_mov_b32 v0, v218 :: v_dual_mov_b32 v1, v219
	v_dual_mov_b32 v2, v212 :: v_dual_mov_b32 v3, v213
	ds_store_2addr_b64 v168, v[0:1], v[2:3] offset0:50 offset1:51
	v_dual_mov_b32 v0, v216 :: v_dual_mov_b32 v1, v217
	v_dual_mov_b32 v2, v210 :: v_dual_mov_b32 v3, v211
	ds_store_2addr_b64 v168, v[0:1], v[2:3] offset0:52 offset1:53
	v_dual_mov_b32 v0, v222 :: v_dual_mov_b32 v1, v223
	ds_store_2addr_b64 v168, v[0:1], v[224:225] offset0:54 offset1:55
	ds_load_b64 v[0:1], v167
	s_wait_dscnt 0x0
	v_cmp_neq_f32_e32 vcc_lo, 0, v0
	v_cmp_neq_f32_e64 s1, 0, v1
	s_or_b32 s1, vcc_lo, s1
	s_delay_alu instid0(SALU_CYCLE_1)
	s_and_b32 exec_lo, exec_lo, s1
	s_cbranch_execz .LBB111_53
; %bb.48:
	v_cmp_ngt_f32_e64 s1, |v0|, |v1|
                                        ; implicit-def: $vgpr2_vgpr3
	s_and_saveexec_b32 s4, s1
	s_delay_alu instid0(SALU_CYCLE_1)
	s_xor_b32 s1, exec_lo, s4
	s_cbranch_execz .LBB111_50
; %bb.49:
	v_div_scale_f32 v2, null, v1, v1, v0
	v_div_scale_f32 v5, vcc_lo, v0, v1, v0
	s_delay_alu instid0(VALU_DEP_2) | instskip(SKIP_1) | instid1(TRANS32_DEP_1)
	v_rcp_f32_e32 v3, v2
	v_nop
	v_fma_f32 v4, -v2, v3, 1.0
	s_delay_alu instid0(VALU_DEP_1) | instskip(NEXT) | instid1(VALU_DEP_1)
	v_fmac_f32_e32 v3, v4, v3
	v_mul_f32_e32 v4, v5, v3
	s_delay_alu instid0(VALU_DEP_1) | instskip(NEXT) | instid1(VALU_DEP_1)
	v_fma_f32 v6, -v2, v4, v5
	v_fmac_f32_e32 v4, v6, v3
	s_delay_alu instid0(VALU_DEP_1) | instskip(NEXT) | instid1(VALU_DEP_1)
	v_fma_f32 v2, -v2, v4, v5
	v_div_fmas_f32 v2, v2, v3, v4
	s_delay_alu instid0(VALU_DEP_1) | instskip(NEXT) | instid1(VALU_DEP_1)
	v_div_fixup_f32 v2, v2, v1, v0
	v_fmac_f32_e32 v1, v0, v2
	s_delay_alu instid0(VALU_DEP_1) | instskip(SKIP_1) | instid1(VALU_DEP_2)
	v_div_scale_f32 v0, null, v1, v1, 1.0
	v_div_scale_f32 v5, vcc_lo, 1.0, v1, 1.0
	v_rcp_f32_e32 v3, v0
	v_nop
	s_delay_alu instid0(TRANS32_DEP_1) | instskip(NEXT) | instid1(VALU_DEP_1)
	v_fma_f32 v4, -v0, v3, 1.0
	v_fmac_f32_e32 v3, v4, v3
	s_delay_alu instid0(VALU_DEP_1) | instskip(NEXT) | instid1(VALU_DEP_1)
	v_mul_f32_e32 v4, v5, v3
	v_fma_f32 v6, -v0, v4, v5
	s_delay_alu instid0(VALU_DEP_1) | instskip(NEXT) | instid1(VALU_DEP_1)
	v_fmac_f32_e32 v4, v6, v3
	v_fma_f32 v0, -v0, v4, v5
	s_delay_alu instid0(VALU_DEP_1) | instskip(NEXT) | instid1(VALU_DEP_1)
	v_div_fmas_f32 v0, v0, v3, v4
	v_div_fixup_f32 v0, v0, v1, 1.0
	s_delay_alu instid0(VALU_DEP_1)
	v_mul_f32_e32 v2, v2, v0
	v_xor_b32_e32 v3, 0x80000000, v0
                                        ; implicit-def: $vgpr0_vgpr1
.LBB111_50:
	s_and_not1_saveexec_b32 s1, s1
	s_cbranch_execz .LBB111_52
; %bb.51:
	v_div_scale_f32 v2, null, v0, v0, v1
	v_div_scale_f32 v5, vcc_lo, v1, v0, v1
	s_delay_alu instid0(VALU_DEP_2) | instskip(SKIP_1) | instid1(TRANS32_DEP_1)
	v_rcp_f32_e32 v3, v2
	v_nop
	v_fma_f32 v4, -v2, v3, 1.0
	s_delay_alu instid0(VALU_DEP_1) | instskip(NEXT) | instid1(VALU_DEP_1)
	v_fmac_f32_e32 v3, v4, v3
	v_mul_f32_e32 v4, v5, v3
	s_delay_alu instid0(VALU_DEP_1) | instskip(NEXT) | instid1(VALU_DEP_1)
	v_fma_f32 v6, -v2, v4, v5
	v_fmac_f32_e32 v4, v6, v3
	s_delay_alu instid0(VALU_DEP_1) | instskip(NEXT) | instid1(VALU_DEP_1)
	v_fma_f32 v2, -v2, v4, v5
	v_div_fmas_f32 v2, v2, v3, v4
	s_delay_alu instid0(VALU_DEP_1) | instskip(NEXT) | instid1(VALU_DEP_1)
	v_div_fixup_f32 v3, v2, v0, v1
	v_fmac_f32_e32 v0, v1, v3
	s_delay_alu instid0(VALU_DEP_1) | instskip(NEXT) | instid1(VALU_DEP_1)
	v_div_scale_f32 v1, null, v0, v0, 1.0
	v_rcp_f32_e32 v2, v1
	v_nop
	s_delay_alu instid0(TRANS32_DEP_1) | instskip(NEXT) | instid1(VALU_DEP_1)
	v_fma_f32 v4, -v1, v2, 1.0
	v_fmac_f32_e32 v2, v4, v2
	v_div_scale_f32 v4, vcc_lo, 1.0, v0, 1.0
	s_delay_alu instid0(VALU_DEP_1) | instskip(NEXT) | instid1(VALU_DEP_1)
	v_mul_f32_e32 v5, v4, v2
	v_fma_f32 v6, -v1, v5, v4
	s_delay_alu instid0(VALU_DEP_1) | instskip(NEXT) | instid1(VALU_DEP_1)
	v_fmac_f32_e32 v5, v6, v2
	v_fma_f32 v1, -v1, v5, v4
	s_delay_alu instid0(VALU_DEP_1) | instskip(NEXT) | instid1(VALU_DEP_1)
	v_div_fmas_f32 v1, v1, v2, v5
	v_div_fixup_f32 v2, v1, v0, 1.0
	s_delay_alu instid0(VALU_DEP_1)
	v_mul_f32_e64 v3, v3, -v2
.LBB111_52:
	s_or_b32 exec_lo, exec_lo, s1
	ds_store_b64 v167, v[2:3]
.LBB111_53:
	s_or_b32 exec_lo, exec_lo, s2
	s_wait_dscnt 0x0
	s_barrier_signal -1
	s_barrier_wait -1
	ds_load_b64 v[0:1], v167
	s_mov_b32 s1, exec_lo
	s_wait_dscnt 0x0
	scratch_store_b64 off, v[0:1], off offset:288 ; 8-byte Folded Spill
	s_wait_xcnt 0x0
	v_cmpx_lt_u32_e32 5, v166
	s_cbranch_execz .LBB111_55
; %bb.54:
	scratch_load_b64 v[4:5], off, off offset:288 ; 8-byte Folded Reload
	s_wait_loadcnt 0x0
	v_pk_mul_f32 v[2:3], v[4:5], v[22:23] op_sel:[1,1] op_sel_hi:[0,1]
	s_delay_alu instid0(VALU_DEP_1)
	v_pk_fma_f32 v[0:1], v[4:5], v[22:23], v[2:3] op_sel_hi:[1,0,1] neg_lo:[0,0,1] neg_hi:[0,0,1]
	v_pk_fma_f32 v[2:3], v[4:5], v[22:23], v[2:3] op_sel_hi:[1,0,1]
	ds_load_2addr_b64 v[4:7], v168 offset0:6 offset1:7
	v_dual_mov_b32 v22, v0 :: v_dual_mov_b32 v23, v3
	s_wait_dscnt 0x0
	v_pk_mul_f32 v[8:9], v[4:5], v[2:3] op_sel:[0,1]
	s_delay_alu instid0(VALU_DEP_1) | instskip(SKIP_1) | instid1(VALU_DEP_1)
	v_pk_fma_f32 v[10:11], v[4:5], v[0:1], v[8:9] op_sel:[0,0,1] op_sel_hi:[1,1,0] neg_lo:[0,0,1] neg_hi:[0,0,1]
	v_pk_fma_f32 v[4:5], v[4:5], v[0:1], v[8:9] op_sel:[0,0,1] op_sel_hi:[1,0,0]
	v_mov_b32_e32 v11, v5
	v_pk_mul_f32 v[4:5], v[6:7], v[2:3] op_sel:[0,1]
	s_delay_alu instid0(VALU_DEP_1) | instskip(SKIP_1) | instid1(VALU_DEP_1)
	v_pk_fma_f32 v[8:9], v[6:7], v[0:1], v[4:5] op_sel:[0,0,1] op_sel_hi:[1,1,0] neg_lo:[0,0,1] neg_hi:[0,0,1]
	v_pk_fma_f32 v[4:5], v[6:7], v[0:1], v[4:5] op_sel:[0,0,1] op_sel_hi:[1,0,0]
	v_mov_b32_e32 v9, v5
	ds_load_2addr_b64 v[4:7], v168 offset0:8 offset1:9
	v_pk_add_f32 v[24:25], v[24:25], v[10:11] neg_lo:[0,1] neg_hi:[0,1]
	v_pk_add_f32 v[20:21], v[20:21], v[8:9] neg_lo:[0,1] neg_hi:[0,1]
	s_wait_dscnt 0x0
	v_pk_mul_f32 v[8:9], v[4:5], v[2:3] op_sel:[0,1]
	s_delay_alu instid0(VALU_DEP_1) | instskip(SKIP_2) | instid1(VALU_DEP_2)
	v_pk_fma_f32 v[10:11], v[4:5], v[0:1], v[8:9] op_sel:[0,0,1] op_sel_hi:[1,1,0] neg_lo:[0,0,1] neg_hi:[0,0,1]
	v_pk_fma_f32 v[4:5], v[4:5], v[0:1], v[8:9] op_sel:[0,0,1] op_sel_hi:[1,0,0]
	v_dual_mul_f32 v8, v7, v3 :: v_dual_mov_b32 v4, v7
	v_dual_mov_b32 v11, v5 :: v_dual_mov_b32 v5, v6
	s_delay_alu instid0(VALU_DEP_2) | instskip(SKIP_1) | instid1(VALU_DEP_3)
	v_pk_fma_f32 v[8:9], v[6:7], v[22:23], v[8:9] op_sel_hi:[1,1,0] neg_lo:[0,0,1] neg_hi:[0,0,1]
	v_mul_f32_e32 v6, v7, v0
	v_pk_add_f32 v[40:41], v[40:41], v[10:11] neg_lo:[0,1] neg_hi:[0,1]
	s_delay_alu instid0(VALU_DEP_2) | instskip(NEXT) | instid1(VALU_DEP_1)
	v_pk_fma_f32 v[4:5], v[4:5], v[22:23], v[6:7] op_sel_hi:[1,1,0]
	v_mov_b32_e32 v9, v5
	ds_load_2addr_b64 v[4:7], v168 offset0:10 offset1:11
	v_pk_add_f32 v[36:37], v[36:37], v[8:9] neg_lo:[0,1] neg_hi:[0,1]
	s_wait_dscnt 0x0
	v_pk_mul_f32 v[8:9], v[4:5], v[2:3] op_sel:[0,1]
	s_delay_alu instid0(VALU_DEP_1) | instskip(SKIP_1) | instid1(VALU_DEP_1)
	v_pk_fma_f32 v[10:11], v[4:5], v[0:1], v[8:9] op_sel:[0,0,1] op_sel_hi:[1,1,0] neg_lo:[0,0,1] neg_hi:[0,0,1]
	v_pk_fma_f32 v[4:5], v[4:5], v[0:1], v[8:9] op_sel:[0,0,1] op_sel_hi:[1,0,0]
	v_mov_b32_e32 v11, v5
	v_pk_mul_f32 v[4:5], v[6:7], v[2:3] op_sel:[0,1]
	s_delay_alu instid0(VALU_DEP_1) | instskip(SKIP_1) | instid1(VALU_DEP_1)
	v_pk_fma_f32 v[8:9], v[6:7], v[0:1], v[4:5] op_sel:[0,0,1] op_sel_hi:[1,1,0] neg_lo:[0,0,1] neg_hi:[0,0,1]
	v_pk_fma_f32 v[4:5], v[6:7], v[0:1], v[4:5] op_sel:[0,0,1] op_sel_hi:[1,0,0]
	v_mov_b32_e32 v9, v5
	ds_load_2addr_b64 v[4:7], v168 offset0:12 offset1:13
	v_pk_add_f32 v[38:39], v[38:39], v[10:11] neg_lo:[0,1] neg_hi:[0,1]
	v_pk_add_f32 v[34:35], v[34:35], v[8:9] neg_lo:[0,1] neg_hi:[0,1]
	s_wait_dscnt 0x0
	v_pk_mul_f32 v[8:9], v[4:5], v[2:3] op_sel:[0,1]
	s_delay_alu instid0(VALU_DEP_1) | instskip(SKIP_1) | instid1(VALU_DEP_1)
	v_pk_fma_f32 v[10:11], v[4:5], v[0:1], v[8:9] op_sel:[0,0,1] op_sel_hi:[1,1,0] neg_lo:[0,0,1] neg_hi:[0,0,1]
	v_pk_fma_f32 v[4:5], v[4:5], v[0:1], v[8:9] op_sel:[0,0,1] op_sel_hi:[1,0,0]
	v_mov_b32_e32 v11, v5
	v_pk_mul_f32 v[4:5], v[6:7], v[2:3] op_sel:[0,1]
	s_delay_alu instid0(VALU_DEP_1) | instskip(SKIP_1) | instid1(VALU_DEP_1)
	v_pk_fma_f32 v[8:9], v[6:7], v[0:1], v[4:5] op_sel:[0,0,1] op_sel_hi:[1,1,0] neg_lo:[0,0,1] neg_hi:[0,0,1]
	v_pk_fma_f32 v[4:5], v[6:7], v[0:1], v[4:5] op_sel:[0,0,1] op_sel_hi:[1,0,0]
	v_mov_b32_e32 v9, v5
	ds_load_2addr_b64 v[4:7], v168 offset0:14 offset1:15
	v_pk_add_f32 v[64:65], v[64:65], v[10:11] neg_lo:[0,1] neg_hi:[0,1]
	v_pk_add_f32 v[60:61], v[60:61], v[8:9] neg_lo:[0,1] neg_hi:[0,1]
	s_wait_dscnt 0x0
	v_dual_mul_f32 v8, v5, v3 :: v_dual_mul_f32 v10, v5, v0
	s_delay_alu instid0(VALU_DEP_1) | instskip(NEXT) | instid1(VALU_DEP_2)
	v_pk_fma_f32 v[8:9], v[4:5], v[22:23], v[8:9] op_sel_hi:[1,1,0] neg_lo:[0,0,1] neg_hi:[0,0,1]
	v_pk_fma_f32 v[4:5], v[4:5], v[22:23], v[10:11] op_sel:[1,0,0] op_sel_hi:[0,1,0]
	s_delay_alu instid0(VALU_DEP_1) | instskip(SKIP_1) | instid1(VALU_DEP_2)
	v_mov_b32_e32 v9, v5
	v_pk_mul_f32 v[4:5], v[6:7], v[2:3] op_sel:[0,1]
	v_pk_add_f32 v[62:63], v[62:63], v[8:9] neg_lo:[0,1] neg_hi:[0,1]
	s_delay_alu instid0(VALU_DEP_2) | instskip(SKIP_1) | instid1(VALU_DEP_1)
	v_pk_fma_f32 v[8:9], v[6:7], v[0:1], v[4:5] op_sel:[0,0,1] op_sel_hi:[1,1,0] neg_lo:[0,0,1] neg_hi:[0,0,1]
	v_pk_fma_f32 v[4:5], v[6:7], v[0:1], v[4:5] op_sel:[0,0,1] op_sel_hi:[1,0,0]
	v_mov_b32_e32 v9, v5
	ds_load_2addr_b64 v[4:7], v168 offset0:16 offset1:17
	v_pk_add_f32 v[58:59], v[58:59], v[8:9] neg_lo:[0,1] neg_hi:[0,1]
	s_wait_dscnt 0x0
	v_pk_mul_f32 v[8:9], v[4:5], v[2:3] op_sel:[0,1]
	s_delay_alu instid0(VALU_DEP_1) | instskip(SKIP_1) | instid1(VALU_DEP_1)
	v_pk_fma_f32 v[10:11], v[4:5], v[0:1], v[8:9] op_sel:[0,0,1] op_sel_hi:[1,1,0] neg_lo:[0,0,1] neg_hi:[0,0,1]
	v_pk_fma_f32 v[4:5], v[4:5], v[0:1], v[8:9] op_sel:[0,0,1] op_sel_hi:[1,0,0]
	v_mov_b32_e32 v11, v5
	v_pk_mul_f32 v[4:5], v[6:7], v[2:3] op_sel:[0,1]
	s_delay_alu instid0(VALU_DEP_2) | instskip(NEXT) | instid1(VALU_DEP_2)
	v_pk_add_f32 v[80:81], v[80:81], v[10:11] neg_lo:[0,1] neg_hi:[0,1]
	v_pk_fma_f32 v[8:9], v[6:7], v[0:1], v[4:5] op_sel:[0,0,1] op_sel_hi:[1,1,0] neg_lo:[0,0,1] neg_hi:[0,0,1]
	v_pk_fma_f32 v[4:5], v[6:7], v[0:1], v[4:5] op_sel:[0,0,1] op_sel_hi:[1,0,0]
	s_delay_alu instid0(VALU_DEP_1) | instskip(SKIP_4) | instid1(VALU_DEP_1)
	v_mov_b32_e32 v9, v5
	ds_load_2addr_b64 v[4:7], v168 offset0:18 offset1:19
	v_pk_add_f32 v[76:77], v[76:77], v[8:9] neg_lo:[0,1] neg_hi:[0,1]
	s_wait_dscnt 0x0
	v_pk_mul_f32 v[8:9], v[4:5], v[2:3] op_sel:[0,1]
	v_pk_fma_f32 v[10:11], v[4:5], v[0:1], v[8:9] op_sel:[0,0,1] op_sel_hi:[1,1,0] neg_lo:[0,0,1] neg_hi:[0,0,1]
	v_pk_fma_f32 v[4:5], v[4:5], v[0:1], v[8:9] op_sel:[0,0,1] op_sel_hi:[1,0,0]
	v_dual_mul_f32 v8, v7, v3 :: v_dual_mov_b32 v4, v7
	s_delay_alu instid0(VALU_DEP_2) | instskip(NEXT) | instid1(VALU_DEP_2)
	v_dual_mov_b32 v11, v5 :: v_dual_mov_b32 v5, v6
	v_pk_fma_f32 v[8:9], v[6:7], v[22:23], v[8:9] op_sel_hi:[1,1,0] neg_lo:[0,0,1] neg_hi:[0,0,1]
	v_mul_f32_e32 v6, v7, v0
	s_delay_alu instid0(VALU_DEP_3) | instskip(NEXT) | instid1(VALU_DEP_2)
	v_pk_add_f32 v[78:79], v[78:79], v[10:11] neg_lo:[0,1] neg_hi:[0,1]
	v_pk_fma_f32 v[4:5], v[4:5], v[22:23], v[6:7] op_sel_hi:[1,1,0]
	s_delay_alu instid0(VALU_DEP_1) | instskip(SKIP_4) | instid1(VALU_DEP_1)
	v_mov_b32_e32 v9, v5
	ds_load_2addr_b64 v[4:7], v168 offset0:20 offset1:21
	v_pk_add_f32 v[74:75], v[74:75], v[8:9] neg_lo:[0,1] neg_hi:[0,1]
	s_wait_dscnt 0x0
	v_pk_mul_f32 v[8:9], v[4:5], v[2:3] op_sel:[0,1]
	v_pk_fma_f32 v[10:11], v[4:5], v[0:1], v[8:9] op_sel:[0,0,1] op_sel_hi:[1,1,0] neg_lo:[0,0,1] neg_hi:[0,0,1]
	v_pk_fma_f32 v[4:5], v[4:5], v[0:1], v[8:9] op_sel:[0,0,1] op_sel_hi:[1,0,0]
	s_delay_alu instid0(VALU_DEP_1) | instskip(SKIP_1) | instid1(VALU_DEP_1)
	v_mov_b32_e32 v11, v5
	v_pk_mul_f32 v[4:5], v[6:7], v[2:3] op_sel:[0,1]
	v_pk_fma_f32 v[8:9], v[6:7], v[0:1], v[4:5] op_sel:[0,0,1] op_sel_hi:[1,1,0] neg_lo:[0,0,1] neg_hi:[0,0,1]
	v_pk_fma_f32 v[4:5], v[6:7], v[0:1], v[4:5] op_sel:[0,0,1] op_sel_hi:[1,0,0]
	s_delay_alu instid0(VALU_DEP_1)
	v_mov_b32_e32 v9, v5
	ds_load_2addr_b64 v[4:7], v168 offset0:22 offset1:23
	v_pk_add_f32 v[98:99], v[98:99], v[10:11] neg_lo:[0,1] neg_hi:[0,1]
	v_pk_add_f32 v[94:95], v[94:95], v[8:9] neg_lo:[0,1] neg_hi:[0,1]
	s_wait_dscnt 0x0
	v_pk_mul_f32 v[8:9], v[4:5], v[2:3] op_sel:[0,1]
	s_delay_alu instid0(VALU_DEP_1) | instskip(SKIP_1) | instid1(VALU_DEP_1)
	v_pk_fma_f32 v[10:11], v[4:5], v[0:1], v[8:9] op_sel:[0,0,1] op_sel_hi:[1,1,0] neg_lo:[0,0,1] neg_hi:[0,0,1]
	v_pk_fma_f32 v[4:5], v[4:5], v[0:1], v[8:9] op_sel:[0,0,1] op_sel_hi:[1,0,0]
	v_mov_b32_e32 v11, v5
	v_pk_mul_f32 v[4:5], v[6:7], v[2:3] op_sel:[0,1]
	s_delay_alu instid0(VALU_DEP_1) | instskip(SKIP_1) | instid1(VALU_DEP_1)
	v_pk_fma_f32 v[8:9], v[6:7], v[0:1], v[4:5] op_sel:[0,0,1] op_sel_hi:[1,1,0] neg_lo:[0,0,1] neg_hi:[0,0,1]
	v_pk_fma_f32 v[4:5], v[6:7], v[0:1], v[4:5] op_sel:[0,0,1] op_sel_hi:[1,0,0]
	v_mov_b32_e32 v9, v5
	ds_load_2addr_b64 v[4:7], v168 offset0:24 offset1:25
	v_pk_add_f32 v[96:97], v[96:97], v[10:11] neg_lo:[0,1] neg_hi:[0,1]
	v_pk_add_f32 v[92:93], v[92:93], v[8:9] neg_lo:[0,1] neg_hi:[0,1]
	s_wait_dscnt 0x0
	v_dual_mul_f32 v8, v5, v3 :: v_dual_mul_f32 v10, v5, v0
	s_delay_alu instid0(VALU_DEP_1) | instskip(NEXT) | instid1(VALU_DEP_2)
	v_pk_fma_f32 v[8:9], v[4:5], v[22:23], v[8:9] op_sel_hi:[1,1,0] neg_lo:[0,0,1] neg_hi:[0,0,1]
	v_pk_fma_f32 v[4:5], v[4:5], v[22:23], v[10:11] op_sel:[1,0,0] op_sel_hi:[0,1,0]
	s_delay_alu instid0(VALU_DEP_1) | instskip(SKIP_1) | instid1(VALU_DEP_2)
	v_mov_b32_e32 v9, v5
	v_pk_mul_f32 v[4:5], v[6:7], v[2:3] op_sel:[0,1]
	v_pk_add_f32 v[114:115], v[114:115], v[8:9] neg_lo:[0,1] neg_hi:[0,1]
	s_delay_alu instid0(VALU_DEP_2) | instskip(SKIP_1) | instid1(VALU_DEP_1)
	v_pk_fma_f32 v[8:9], v[6:7], v[0:1], v[4:5] op_sel:[0,0,1] op_sel_hi:[1,1,0] neg_lo:[0,0,1] neg_hi:[0,0,1]
	v_pk_fma_f32 v[4:5], v[6:7], v[0:1], v[4:5] op_sel:[0,0,1] op_sel_hi:[1,0,0]
	v_mov_b32_e32 v9, v5
	ds_load_2addr_b64 v[4:7], v168 offset0:26 offset1:27
	v_pk_add_f32 v[110:111], v[110:111], v[8:9] neg_lo:[0,1] neg_hi:[0,1]
	s_wait_dscnt 0x0
	v_pk_mul_f32 v[8:9], v[4:5], v[2:3] op_sel:[0,1]
	s_delay_alu instid0(VALU_DEP_1) | instskip(SKIP_1) | instid1(VALU_DEP_1)
	v_pk_fma_f32 v[10:11], v[4:5], v[0:1], v[8:9] op_sel:[0,0,1] op_sel_hi:[1,1,0] neg_lo:[0,0,1] neg_hi:[0,0,1]
	v_pk_fma_f32 v[4:5], v[4:5], v[0:1], v[8:9] op_sel:[0,0,1] op_sel_hi:[1,0,0]
	v_mov_b32_e32 v11, v5
	v_pk_mul_f32 v[4:5], v[6:7], v[2:3] op_sel:[0,1]
	s_delay_alu instid0(VALU_DEP_2) | instskip(NEXT) | instid1(VALU_DEP_2)
	v_pk_add_f32 v[112:113], v[112:113], v[10:11] neg_lo:[0,1] neg_hi:[0,1]
	v_pk_fma_f32 v[8:9], v[6:7], v[0:1], v[4:5] op_sel:[0,0,1] op_sel_hi:[1,1,0] neg_lo:[0,0,1] neg_hi:[0,0,1]
	v_pk_fma_f32 v[4:5], v[6:7], v[0:1], v[4:5] op_sel:[0,0,1] op_sel_hi:[1,0,0]
	s_delay_alu instid0(VALU_DEP_1) | instskip(SKIP_4) | instid1(VALU_DEP_1)
	v_mov_b32_e32 v9, v5
	ds_load_2addr_b64 v[4:7], v168 offset0:28 offset1:29
	v_pk_add_f32 v[108:109], v[108:109], v[8:9] neg_lo:[0,1] neg_hi:[0,1]
	s_wait_dscnt 0x0
	v_pk_mul_f32 v[8:9], v[4:5], v[2:3] op_sel:[0,1]
	v_pk_fma_f32 v[10:11], v[4:5], v[0:1], v[8:9] op_sel:[0,0,1] op_sel_hi:[1,1,0] neg_lo:[0,0,1] neg_hi:[0,0,1]
	v_pk_fma_f32 v[4:5], v[4:5], v[0:1], v[8:9] op_sel:[0,0,1] op_sel_hi:[1,0,0]
	v_dual_mul_f32 v8, v7, v3 :: v_dual_mov_b32 v4, v7
	s_delay_alu instid0(VALU_DEP_2) | instskip(NEXT) | instid1(VALU_DEP_2)
	v_dual_mov_b32 v11, v5 :: v_dual_mov_b32 v5, v6
	v_pk_fma_f32 v[8:9], v[6:7], v[22:23], v[8:9] op_sel_hi:[1,1,0] neg_lo:[0,0,1] neg_hi:[0,0,1]
	v_mul_f32_e32 v6, v7, v0
	s_delay_alu instid0(VALU_DEP_3) | instskip(NEXT) | instid1(VALU_DEP_2)
	v_pk_add_f32 v[130:131], v[130:131], v[10:11] neg_lo:[0,1] neg_hi:[0,1]
	v_pk_fma_f32 v[4:5], v[4:5], v[22:23], v[6:7] op_sel_hi:[1,1,0]
	s_delay_alu instid0(VALU_DEP_1) | instskip(SKIP_4) | instid1(VALU_DEP_1)
	v_mov_b32_e32 v9, v5
	ds_load_2addr_b64 v[4:7], v168 offset0:30 offset1:31
	v_pk_add_f32 v[126:127], v[126:127], v[8:9] neg_lo:[0,1] neg_hi:[0,1]
	s_wait_dscnt 0x0
	v_pk_mul_f32 v[8:9], v[4:5], v[2:3] op_sel:[0,1]
	v_pk_fma_f32 v[10:11], v[4:5], v[0:1], v[8:9] op_sel:[0,0,1] op_sel_hi:[1,1,0] neg_lo:[0,0,1] neg_hi:[0,0,1]
	v_pk_fma_f32 v[4:5], v[4:5], v[0:1], v[8:9] op_sel:[0,0,1] op_sel_hi:[1,0,0]
	s_delay_alu instid0(VALU_DEP_1) | instskip(SKIP_1) | instid1(VALU_DEP_1)
	v_mov_b32_e32 v11, v5
	v_pk_mul_f32 v[4:5], v[6:7], v[2:3] op_sel:[0,1]
	v_pk_fma_f32 v[8:9], v[6:7], v[0:1], v[4:5] op_sel:[0,0,1] op_sel_hi:[1,1,0] neg_lo:[0,0,1] neg_hi:[0,0,1]
	v_pk_fma_f32 v[4:5], v[6:7], v[0:1], v[4:5] op_sel:[0,0,1] op_sel_hi:[1,0,0]
	s_delay_alu instid0(VALU_DEP_1)
	v_mov_b32_e32 v9, v5
	ds_load_2addr_b64 v[4:7], v168 offset0:32 offset1:33
	v_pk_add_f32 v[128:129], v[128:129], v[10:11] neg_lo:[0,1] neg_hi:[0,1]
	v_pk_add_f32 v[124:125], v[124:125], v[8:9] neg_lo:[0,1] neg_hi:[0,1]
	s_wait_dscnt 0x0
	v_pk_mul_f32 v[8:9], v[4:5], v[2:3] op_sel:[0,1]
	s_delay_alu instid0(VALU_DEP_1) | instskip(SKIP_1) | instid1(VALU_DEP_1)
	v_pk_fma_f32 v[10:11], v[4:5], v[0:1], v[8:9] op_sel:[0,0,1] op_sel_hi:[1,1,0] neg_lo:[0,0,1] neg_hi:[0,0,1]
	v_pk_fma_f32 v[4:5], v[4:5], v[0:1], v[8:9] op_sel:[0,0,1] op_sel_hi:[1,0,0]
	v_mov_b32_e32 v11, v5
	v_pk_mul_f32 v[4:5], v[6:7], v[2:3] op_sel:[0,1]
	s_delay_alu instid0(VALU_DEP_1) | instskip(SKIP_1) | instid1(VALU_DEP_1)
	v_pk_fma_f32 v[8:9], v[6:7], v[0:1], v[4:5] op_sel:[0,0,1] op_sel_hi:[1,1,0] neg_lo:[0,0,1] neg_hi:[0,0,1]
	v_pk_fma_f32 v[4:5], v[6:7], v[0:1], v[4:5] op_sel:[0,0,1] op_sel_hi:[1,0,0]
	v_mov_b32_e32 v9, v5
	ds_load_2addr_b64 v[4:7], v168 offset0:34 offset1:35
	v_pk_add_f32 v[146:147], v[146:147], v[10:11] neg_lo:[0,1] neg_hi:[0,1]
	v_pk_add_f32 v[142:143], v[142:143], v[8:9] neg_lo:[0,1] neg_hi:[0,1]
	s_wait_dscnt 0x0
	v_dual_mul_f32 v8, v5, v3 :: v_dual_mul_f32 v10, v5, v0
	s_delay_alu instid0(VALU_DEP_1) | instskip(NEXT) | instid1(VALU_DEP_2)
	v_pk_fma_f32 v[8:9], v[4:5], v[22:23], v[8:9] op_sel_hi:[1,1,0] neg_lo:[0,0,1] neg_hi:[0,0,1]
	v_pk_fma_f32 v[4:5], v[4:5], v[22:23], v[10:11] op_sel:[1,0,0] op_sel_hi:[0,1,0]
	s_delay_alu instid0(VALU_DEP_1) | instskip(SKIP_1) | instid1(VALU_DEP_2)
	v_mov_b32_e32 v9, v5
	v_pk_mul_f32 v[4:5], v[6:7], v[2:3] op_sel:[0,1]
	v_pk_add_f32 v[144:145], v[144:145], v[8:9] neg_lo:[0,1] neg_hi:[0,1]
	s_delay_alu instid0(VALU_DEP_2) | instskip(SKIP_1) | instid1(VALU_DEP_1)
	v_pk_fma_f32 v[8:9], v[6:7], v[0:1], v[4:5] op_sel:[0,0,1] op_sel_hi:[1,1,0] neg_lo:[0,0,1] neg_hi:[0,0,1]
	v_pk_fma_f32 v[4:5], v[6:7], v[0:1], v[4:5] op_sel:[0,0,1] op_sel_hi:[1,0,0]
	v_mov_b32_e32 v9, v5
	ds_load_2addr_b64 v[4:7], v168 offset0:36 offset1:37
	v_pk_add_f32 v[140:141], v[140:141], v[8:9] neg_lo:[0,1] neg_hi:[0,1]
	s_wait_dscnt 0x0
	v_pk_mul_f32 v[8:9], v[4:5], v[2:3] op_sel:[0,1]
	s_delay_alu instid0(VALU_DEP_1) | instskip(SKIP_1) | instid1(VALU_DEP_1)
	v_pk_fma_f32 v[10:11], v[4:5], v[0:1], v[8:9] op_sel:[0,0,1] op_sel_hi:[1,1,0] neg_lo:[0,0,1] neg_hi:[0,0,1]
	v_pk_fma_f32 v[4:5], v[4:5], v[0:1], v[8:9] op_sel:[0,0,1] op_sel_hi:[1,0,0]
	v_mov_b32_e32 v11, v5
	v_pk_mul_f32 v[4:5], v[6:7], v[2:3] op_sel:[0,1]
	s_delay_alu instid0(VALU_DEP_2) | instskip(NEXT) | instid1(VALU_DEP_2)
	v_pk_add_f32 v[162:163], v[162:163], v[10:11] neg_lo:[0,1] neg_hi:[0,1]
	v_pk_fma_f32 v[8:9], v[6:7], v[0:1], v[4:5] op_sel:[0,0,1] op_sel_hi:[1,1,0] neg_lo:[0,0,1] neg_hi:[0,0,1]
	v_pk_fma_f32 v[4:5], v[6:7], v[0:1], v[4:5] op_sel:[0,0,1] op_sel_hi:[1,0,0]
	s_delay_alu instid0(VALU_DEP_1) | instskip(SKIP_4) | instid1(VALU_DEP_1)
	v_mov_b32_e32 v9, v5
	ds_load_2addr_b64 v[4:7], v168 offset0:38 offset1:39
	v_pk_add_f32 v[158:159], v[158:159], v[8:9] neg_lo:[0,1] neg_hi:[0,1]
	s_wait_dscnt 0x0
	v_pk_mul_f32 v[8:9], v[4:5], v[2:3] op_sel:[0,1]
	v_pk_fma_f32 v[10:11], v[4:5], v[0:1], v[8:9] op_sel:[0,0,1] op_sel_hi:[1,1,0] neg_lo:[0,0,1] neg_hi:[0,0,1]
	v_pk_fma_f32 v[4:5], v[4:5], v[0:1], v[8:9] op_sel:[0,0,1] op_sel_hi:[1,0,0]
	v_dual_mul_f32 v8, v7, v3 :: v_dual_mov_b32 v4, v7
	s_delay_alu instid0(VALU_DEP_2) | instskip(NEXT) | instid1(VALU_DEP_2)
	v_dual_mov_b32 v11, v5 :: v_dual_mov_b32 v5, v6
	v_pk_fma_f32 v[8:9], v[6:7], v[22:23], v[8:9] op_sel_hi:[1,1,0] neg_lo:[0,0,1] neg_hi:[0,0,1]
	v_mul_f32_e32 v6, v7, v0
	s_delay_alu instid0(VALU_DEP_3) | instskip(NEXT) | instid1(VALU_DEP_2)
	v_pk_add_f32 v[160:161], v[160:161], v[10:11] neg_lo:[0,1] neg_hi:[0,1]
	v_pk_fma_f32 v[4:5], v[4:5], v[22:23], v[6:7] op_sel_hi:[1,1,0]
	s_delay_alu instid0(VALU_DEP_1) | instskip(SKIP_4) | instid1(VALU_DEP_1)
	v_mov_b32_e32 v9, v5
	ds_load_2addr_b64 v[4:7], v168 offset0:40 offset1:41
	v_pk_add_f32 v[156:157], v[156:157], v[8:9] neg_lo:[0,1] neg_hi:[0,1]
	s_wait_dscnt 0x0
	v_pk_mul_f32 v[8:9], v[4:5], v[2:3] op_sel:[0,1]
	v_pk_fma_f32 v[10:11], v[4:5], v[0:1], v[8:9] op_sel:[0,0,1] op_sel_hi:[1,1,0] neg_lo:[0,0,1] neg_hi:[0,0,1]
	v_pk_fma_f32 v[4:5], v[4:5], v[0:1], v[8:9] op_sel:[0,0,1] op_sel_hi:[1,0,0]
	s_delay_alu instid0(VALU_DEP_1) | instskip(SKIP_1) | instid1(VALU_DEP_1)
	v_mov_b32_e32 v11, v5
	v_pk_mul_f32 v[4:5], v[6:7], v[2:3] op_sel:[0,1]
	v_pk_fma_f32 v[8:9], v[6:7], v[0:1], v[4:5] op_sel:[0,0,1] op_sel_hi:[1,1,0] neg_lo:[0,0,1] neg_hi:[0,0,1]
	v_pk_fma_f32 v[4:5], v[6:7], v[0:1], v[4:5] op_sel:[0,0,1] op_sel_hi:[1,0,0]
	s_delay_alu instid0(VALU_DEP_1)
	v_mov_b32_e32 v9, v5
	ds_load_2addr_b64 v[4:7], v168 offset0:42 offset1:43
	v_pk_add_f32 v[178:179], v[178:179], v[10:11] neg_lo:[0,1] neg_hi:[0,1]
	v_pk_add_f32 v[174:175], v[174:175], v[8:9] neg_lo:[0,1] neg_hi:[0,1]
	s_wait_dscnt 0x0
	v_pk_mul_f32 v[8:9], v[4:5], v[2:3] op_sel:[0,1]
	s_delay_alu instid0(VALU_DEP_1) | instskip(SKIP_1) | instid1(VALU_DEP_1)
	v_pk_fma_f32 v[10:11], v[4:5], v[0:1], v[8:9] op_sel:[0,0,1] op_sel_hi:[1,1,0] neg_lo:[0,0,1] neg_hi:[0,0,1]
	v_pk_fma_f32 v[4:5], v[4:5], v[0:1], v[8:9] op_sel:[0,0,1] op_sel_hi:[1,0,0]
	v_mov_b32_e32 v11, v5
	v_pk_mul_f32 v[4:5], v[6:7], v[2:3] op_sel:[0,1]
	s_delay_alu instid0(VALU_DEP_1) | instskip(SKIP_1) | instid1(VALU_DEP_1)
	v_pk_fma_f32 v[8:9], v[6:7], v[0:1], v[4:5] op_sel:[0,0,1] op_sel_hi:[1,1,0] neg_lo:[0,0,1] neg_hi:[0,0,1]
	v_pk_fma_f32 v[4:5], v[6:7], v[0:1], v[4:5] op_sel:[0,0,1] op_sel_hi:[1,0,0]
	v_mov_b32_e32 v9, v5
	ds_load_2addr_b64 v[4:7], v168 offset0:44 offset1:45
	v_pk_add_f32 v[176:177], v[176:177], v[10:11] neg_lo:[0,1] neg_hi:[0,1]
	v_pk_add_f32 v[172:173], v[172:173], v[8:9] neg_lo:[0,1] neg_hi:[0,1]
	s_wait_dscnt 0x0
	v_dual_mul_f32 v8, v5, v3 :: v_dual_mul_f32 v10, v5, v0
	s_delay_alu instid0(VALU_DEP_1) | instskip(NEXT) | instid1(VALU_DEP_2)
	v_pk_fma_f32 v[8:9], v[4:5], v[22:23], v[8:9] op_sel_hi:[1,1,0] neg_lo:[0,0,1] neg_hi:[0,0,1]
	v_pk_fma_f32 v[4:5], v[4:5], v[22:23], v[10:11] op_sel:[1,0,0] op_sel_hi:[0,1,0]
	s_delay_alu instid0(VALU_DEP_1) | instskip(SKIP_1) | instid1(VALU_DEP_2)
	v_mov_b32_e32 v9, v5
	v_pk_mul_f32 v[4:5], v[6:7], v[2:3] op_sel:[0,1]
	v_pk_add_f32 v[198:199], v[198:199], v[8:9] neg_lo:[0,1] neg_hi:[0,1]
	s_delay_alu instid0(VALU_DEP_2) | instskip(SKIP_1) | instid1(VALU_DEP_1)
	v_pk_fma_f32 v[8:9], v[6:7], v[0:1], v[4:5] op_sel:[0,0,1] op_sel_hi:[1,1,0] neg_lo:[0,0,1] neg_hi:[0,0,1]
	v_pk_fma_f32 v[4:5], v[6:7], v[0:1], v[4:5] op_sel:[0,0,1] op_sel_hi:[1,0,0]
	v_mov_b32_e32 v9, v5
	ds_load_2addr_b64 v[4:7], v168 offset0:46 offset1:47
	v_pk_add_f32 v[194:195], v[194:195], v[8:9] neg_lo:[0,1] neg_hi:[0,1]
	s_wait_dscnt 0x0
	v_pk_mul_f32 v[8:9], v[4:5], v[2:3] op_sel:[0,1]
	s_delay_alu instid0(VALU_DEP_1) | instskip(SKIP_1) | instid1(VALU_DEP_1)
	v_pk_fma_f32 v[10:11], v[4:5], v[0:1], v[8:9] op_sel:[0,0,1] op_sel_hi:[1,1,0] neg_lo:[0,0,1] neg_hi:[0,0,1]
	v_pk_fma_f32 v[4:5], v[4:5], v[0:1], v[8:9] op_sel:[0,0,1] op_sel_hi:[1,0,0]
	v_mov_b32_e32 v11, v5
	v_pk_mul_f32 v[4:5], v[6:7], v[2:3] op_sel:[0,1]
	s_delay_alu instid0(VALU_DEP_2) | instskip(NEXT) | instid1(VALU_DEP_2)
	v_pk_add_f32 v[196:197], v[196:197], v[10:11] neg_lo:[0,1] neg_hi:[0,1]
	v_pk_fma_f32 v[8:9], v[6:7], v[0:1], v[4:5] op_sel:[0,0,1] op_sel_hi:[1,1,0] neg_lo:[0,0,1] neg_hi:[0,0,1]
	v_pk_fma_f32 v[4:5], v[6:7], v[0:1], v[4:5] op_sel:[0,0,1] op_sel_hi:[1,0,0]
	s_delay_alu instid0(VALU_DEP_1) | instskip(SKIP_4) | instid1(VALU_DEP_1)
	v_mov_b32_e32 v9, v5
	ds_load_2addr_b64 v[4:7], v168 offset0:48 offset1:49
	v_pk_add_f32 v[192:193], v[192:193], v[8:9] neg_lo:[0,1] neg_hi:[0,1]
	s_wait_dscnt 0x0
	v_pk_mul_f32 v[8:9], v[4:5], v[2:3] op_sel:[0,1]
	v_pk_fma_f32 v[10:11], v[4:5], v[0:1], v[8:9] op_sel:[0,0,1] op_sel_hi:[1,1,0] neg_lo:[0,0,1] neg_hi:[0,0,1]
	v_pk_fma_f32 v[4:5], v[4:5], v[0:1], v[8:9] op_sel:[0,0,1] op_sel_hi:[1,0,0]
	v_dual_mul_f32 v8, v7, v3 :: v_dual_mov_b32 v4, v7
	s_delay_alu instid0(VALU_DEP_2) | instskip(NEXT) | instid1(VALU_DEP_2)
	v_dual_mov_b32 v11, v5 :: v_dual_mov_b32 v5, v6
	v_pk_fma_f32 v[8:9], v[6:7], v[22:23], v[8:9] op_sel_hi:[1,1,0] neg_lo:[0,0,1] neg_hi:[0,0,1]
	v_mul_f32_e32 v6, v7, v0
	s_delay_alu instid0(VALU_DEP_3) | instskip(NEXT) | instid1(VALU_DEP_2)
	v_pk_add_f32 v[220:221], v[220:221], v[10:11] neg_lo:[0,1] neg_hi:[0,1]
	v_pk_fma_f32 v[4:5], v[4:5], v[22:23], v[6:7] op_sel_hi:[1,1,0]
	s_delay_alu instid0(VALU_DEP_1) | instskip(SKIP_4) | instid1(VALU_DEP_1)
	v_mov_b32_e32 v9, v5
	ds_load_2addr_b64 v[4:7], v168 offset0:50 offset1:51
	v_pk_add_f32 v[214:215], v[214:215], v[8:9] neg_lo:[0,1] neg_hi:[0,1]
	s_wait_dscnt 0x0
	v_pk_mul_f32 v[8:9], v[4:5], v[2:3] op_sel:[0,1]
	v_pk_fma_f32 v[10:11], v[4:5], v[0:1], v[8:9] op_sel:[0,0,1] op_sel_hi:[1,1,0] neg_lo:[0,0,1] neg_hi:[0,0,1]
	v_pk_fma_f32 v[4:5], v[4:5], v[0:1], v[8:9] op_sel:[0,0,1] op_sel_hi:[1,0,0]
	s_delay_alu instid0(VALU_DEP_1) | instskip(SKIP_1) | instid1(VALU_DEP_1)
	v_mov_b32_e32 v11, v5
	v_pk_mul_f32 v[4:5], v[6:7], v[2:3] op_sel:[0,1]
	v_pk_fma_f32 v[8:9], v[6:7], v[0:1], v[4:5] op_sel:[0,0,1] op_sel_hi:[1,1,0] neg_lo:[0,0,1] neg_hi:[0,0,1]
	v_pk_fma_f32 v[4:5], v[6:7], v[0:1], v[4:5] op_sel:[0,0,1] op_sel_hi:[1,0,0]
	s_delay_alu instid0(VALU_DEP_1)
	v_mov_b32_e32 v9, v5
	ds_load_2addr_b64 v[4:7], v168 offset0:52 offset1:53
	v_pk_add_f32 v[218:219], v[218:219], v[10:11] neg_lo:[0,1] neg_hi:[0,1]
	v_pk_add_f32 v[212:213], v[212:213], v[8:9] neg_lo:[0,1] neg_hi:[0,1]
	s_wait_dscnt 0x0
	v_pk_mul_f32 v[8:9], v[4:5], v[2:3] op_sel:[0,1]
	s_delay_alu instid0(VALU_DEP_1) | instskip(SKIP_1) | instid1(VALU_DEP_1)
	v_pk_fma_f32 v[10:11], v[4:5], v[0:1], v[8:9] op_sel:[0,0,1] op_sel_hi:[1,1,0] neg_lo:[0,0,1] neg_hi:[0,0,1]
	v_pk_fma_f32 v[4:5], v[4:5], v[0:1], v[8:9] op_sel:[0,0,1] op_sel_hi:[1,0,0]
	v_mov_b32_e32 v11, v5
	v_pk_mul_f32 v[4:5], v[6:7], v[2:3] op_sel:[0,1]
	s_delay_alu instid0(VALU_DEP_1) | instskip(SKIP_1) | instid1(VALU_DEP_1)
	v_pk_fma_f32 v[8:9], v[6:7], v[0:1], v[4:5] op_sel:[0,0,1] op_sel_hi:[1,1,0] neg_lo:[0,0,1] neg_hi:[0,0,1]
	v_pk_fma_f32 v[4:5], v[6:7], v[0:1], v[4:5] op_sel:[0,0,1] op_sel_hi:[1,0,0]
	v_mov_b32_e32 v9, v5
	ds_load_2addr_b64 v[4:7], v168 offset0:54 offset1:55
	v_pk_add_f32 v[216:217], v[216:217], v[10:11] neg_lo:[0,1] neg_hi:[0,1]
	v_pk_add_f32 v[210:211], v[210:211], v[8:9] neg_lo:[0,1] neg_hi:[0,1]
	s_wait_dscnt 0x0
	v_dual_mul_f32 v8, v5, v3 :: v_dual_mul_f32 v10, v5, v0
	v_pk_mul_f32 v[2:3], v[6:7], v[2:3] op_sel:[0,1]
	s_delay_alu instid0(VALU_DEP_2) | instskip(NEXT) | instid1(VALU_DEP_3)
	v_pk_fma_f32 v[8:9], v[4:5], v[22:23], v[8:9] op_sel_hi:[1,1,0] neg_lo:[0,0,1] neg_hi:[0,0,1]
	v_pk_fma_f32 v[4:5], v[4:5], v[22:23], v[10:11] op_sel:[1,0,0] op_sel_hi:[0,1,0]
	s_delay_alu instid0(VALU_DEP_1) | instskip(NEXT) | instid1(VALU_DEP_4)
	v_mov_b32_e32 v9, v5
	v_pk_fma_f32 v[4:5], v[6:7], v[0:1], v[2:3] op_sel:[0,0,1] op_sel_hi:[1,1,0] neg_lo:[0,0,1] neg_hi:[0,0,1]
	v_pk_fma_f32 v[0:1], v[6:7], v[0:1], v[2:3] op_sel:[0,0,1] op_sel_hi:[1,0,0]
	s_delay_alu instid0(VALU_DEP_1) | instskip(NEXT) | instid1(VALU_DEP_4)
	v_mov_b32_e32 v5, v1
	v_pk_add_f32 v[222:223], v[222:223], v[8:9] neg_lo:[0,1] neg_hi:[0,1]
	s_delay_alu instid0(VALU_DEP_2)
	v_pk_add_f32 v[224:225], v[224:225], v[4:5] neg_lo:[0,1] neg_hi:[0,1]
.LBB111_55:
	s_wait_xcnt 0x0
	s_or_b32 exec_lo, exec_lo, s1
	s_delay_alu instid0(SALU_CYCLE_1)
	s_mov_b32 s2, exec_lo
	s_wait_storecnt 0x0
	s_barrier_signal -1
	s_barrier_wait -1
	v_cmpx_eq_u32_e32 6, v166
	s_cbranch_execz .LBB111_62
; %bb.56:
	ds_store_b64 v167, v[24:25]
	ds_store_2addr_b64 v168, v[20:21], v[40:41] offset0:7 offset1:8
	ds_store_2addr_b64 v168, v[36:37], v[38:39] offset0:9 offset1:10
	ds_store_2addr_b64 v168, v[34:35], v[64:65] offset0:11 offset1:12
	ds_store_2addr_b64 v168, v[60:61], v[62:63] offset0:13 offset1:14
	ds_store_2addr_b64 v168, v[58:59], v[80:81] offset0:15 offset1:16
	ds_store_2addr_b64 v168, v[76:77], v[78:79] offset0:17 offset1:18
	ds_store_2addr_b64 v168, v[74:75], v[98:99] offset0:19 offset1:20
	ds_store_2addr_b64 v168, v[94:95], v[96:97] offset0:21 offset1:22
	ds_store_2addr_b64 v168, v[92:93], v[114:115] offset0:23 offset1:24
	ds_store_2addr_b64 v168, v[110:111], v[112:113] offset0:25 offset1:26
	ds_store_2addr_b64 v168, v[108:109], v[130:131] offset0:27 offset1:28
	ds_store_2addr_b64 v168, v[126:127], v[128:129] offset0:29 offset1:30
	ds_store_2addr_b64 v168, v[124:125], v[146:147] offset0:31 offset1:32
	ds_store_2addr_b64 v168, v[142:143], v[144:145] offset0:33 offset1:34
	ds_store_2addr_b64 v168, v[140:141], v[162:163] offset0:35 offset1:36
	ds_store_2addr_b64 v168, v[158:159], v[160:161] offset0:37 offset1:38
	ds_store_2addr_b64 v168, v[156:157], v[178:179] offset0:39 offset1:40
	ds_store_2addr_b64 v168, v[174:175], v[176:177] offset0:41 offset1:42
	ds_store_2addr_b64 v168, v[172:173], v[198:199] offset0:43 offset1:44
	ds_store_2addr_b64 v168, v[194:195], v[196:197] offset0:45 offset1:46
	ds_store_2addr_b64 v168, v[192:193], v[220:221] offset0:47 offset1:48
	ds_store_2addr_b64 v168, v[214:215], v[218:219] offset0:49 offset1:50
	ds_store_2addr_b64 v168, v[212:213], v[216:217] offset0:51 offset1:52
	ds_store_2addr_b64 v168, v[210:211], v[222:223] offset0:53 offset1:54
	ds_store_b64 v168, v[224:225] offset:440
	ds_load_b64 v[0:1], v167
	s_wait_dscnt 0x0
	v_cmp_neq_f32_e32 vcc_lo, 0, v0
	v_cmp_neq_f32_e64 s1, 0, v1
	s_or_b32 s1, vcc_lo, s1
	s_delay_alu instid0(SALU_CYCLE_1)
	s_and_b32 exec_lo, exec_lo, s1
	s_cbranch_execz .LBB111_62
; %bb.57:
	v_cmp_ngt_f32_e64 s1, |v0|, |v1|
                                        ; implicit-def: $vgpr2_vgpr3
	s_and_saveexec_b32 s4, s1
	s_delay_alu instid0(SALU_CYCLE_1)
	s_xor_b32 s1, exec_lo, s4
	s_cbranch_execz .LBB111_59
; %bb.58:
	v_div_scale_f32 v2, null, v1, v1, v0
	v_div_scale_f32 v5, vcc_lo, v0, v1, v0
	s_delay_alu instid0(VALU_DEP_2) | instskip(SKIP_1) | instid1(TRANS32_DEP_1)
	v_rcp_f32_e32 v3, v2
	v_nop
	v_fma_f32 v4, -v2, v3, 1.0
	s_delay_alu instid0(VALU_DEP_1) | instskip(NEXT) | instid1(VALU_DEP_1)
	v_fmac_f32_e32 v3, v4, v3
	v_mul_f32_e32 v4, v5, v3
	s_delay_alu instid0(VALU_DEP_1) | instskip(NEXT) | instid1(VALU_DEP_1)
	v_fma_f32 v6, -v2, v4, v5
	v_fmac_f32_e32 v4, v6, v3
	s_delay_alu instid0(VALU_DEP_1) | instskip(NEXT) | instid1(VALU_DEP_1)
	v_fma_f32 v2, -v2, v4, v5
	v_div_fmas_f32 v2, v2, v3, v4
	s_delay_alu instid0(VALU_DEP_1) | instskip(NEXT) | instid1(VALU_DEP_1)
	v_div_fixup_f32 v2, v2, v1, v0
	v_fmac_f32_e32 v1, v0, v2
	s_delay_alu instid0(VALU_DEP_1) | instskip(SKIP_1) | instid1(VALU_DEP_2)
	v_div_scale_f32 v0, null, v1, v1, 1.0
	v_div_scale_f32 v5, vcc_lo, 1.0, v1, 1.0
	v_rcp_f32_e32 v3, v0
	v_nop
	s_delay_alu instid0(TRANS32_DEP_1) | instskip(NEXT) | instid1(VALU_DEP_1)
	v_fma_f32 v4, -v0, v3, 1.0
	v_fmac_f32_e32 v3, v4, v3
	s_delay_alu instid0(VALU_DEP_1) | instskip(NEXT) | instid1(VALU_DEP_1)
	v_mul_f32_e32 v4, v5, v3
	v_fma_f32 v6, -v0, v4, v5
	s_delay_alu instid0(VALU_DEP_1) | instskip(NEXT) | instid1(VALU_DEP_1)
	v_fmac_f32_e32 v4, v6, v3
	v_fma_f32 v0, -v0, v4, v5
	s_delay_alu instid0(VALU_DEP_1) | instskip(NEXT) | instid1(VALU_DEP_1)
	v_div_fmas_f32 v0, v0, v3, v4
	v_div_fixup_f32 v0, v0, v1, 1.0
	s_delay_alu instid0(VALU_DEP_1)
	v_mul_f32_e32 v2, v2, v0
	v_xor_b32_e32 v3, 0x80000000, v0
                                        ; implicit-def: $vgpr0_vgpr1
.LBB111_59:
	s_and_not1_saveexec_b32 s1, s1
	s_cbranch_execz .LBB111_61
; %bb.60:
	v_div_scale_f32 v2, null, v0, v0, v1
	v_div_scale_f32 v5, vcc_lo, v1, v0, v1
	s_delay_alu instid0(VALU_DEP_2) | instskip(SKIP_1) | instid1(TRANS32_DEP_1)
	v_rcp_f32_e32 v3, v2
	v_nop
	v_fma_f32 v4, -v2, v3, 1.0
	s_delay_alu instid0(VALU_DEP_1) | instskip(NEXT) | instid1(VALU_DEP_1)
	v_fmac_f32_e32 v3, v4, v3
	v_mul_f32_e32 v4, v5, v3
	s_delay_alu instid0(VALU_DEP_1) | instskip(NEXT) | instid1(VALU_DEP_1)
	v_fma_f32 v6, -v2, v4, v5
	v_fmac_f32_e32 v4, v6, v3
	s_delay_alu instid0(VALU_DEP_1) | instskip(NEXT) | instid1(VALU_DEP_1)
	v_fma_f32 v2, -v2, v4, v5
	v_div_fmas_f32 v2, v2, v3, v4
	s_delay_alu instid0(VALU_DEP_1) | instskip(NEXT) | instid1(VALU_DEP_1)
	v_div_fixup_f32 v3, v2, v0, v1
	v_fmac_f32_e32 v0, v1, v3
	s_delay_alu instid0(VALU_DEP_1) | instskip(NEXT) | instid1(VALU_DEP_1)
	v_div_scale_f32 v1, null, v0, v0, 1.0
	v_rcp_f32_e32 v2, v1
	v_nop
	s_delay_alu instid0(TRANS32_DEP_1) | instskip(NEXT) | instid1(VALU_DEP_1)
	v_fma_f32 v4, -v1, v2, 1.0
	v_fmac_f32_e32 v2, v4, v2
	v_div_scale_f32 v4, vcc_lo, 1.0, v0, 1.0
	s_delay_alu instid0(VALU_DEP_1) | instskip(NEXT) | instid1(VALU_DEP_1)
	v_mul_f32_e32 v5, v4, v2
	v_fma_f32 v6, -v1, v5, v4
	s_delay_alu instid0(VALU_DEP_1) | instskip(NEXT) | instid1(VALU_DEP_1)
	v_fmac_f32_e32 v5, v6, v2
	v_fma_f32 v1, -v1, v5, v4
	s_delay_alu instid0(VALU_DEP_1) | instskip(NEXT) | instid1(VALU_DEP_1)
	v_div_fmas_f32 v1, v1, v2, v5
	v_div_fixup_f32 v2, v1, v0, 1.0
	s_delay_alu instid0(VALU_DEP_1)
	v_mul_f32_e64 v3, v3, -v2
.LBB111_61:
	s_or_b32 exec_lo, exec_lo, s1
	ds_store_b64 v167, v[2:3]
.LBB111_62:
	s_or_b32 exec_lo, exec_lo, s2
	s_wait_dscnt 0x0
	s_barrier_signal -1
	s_barrier_wait -1
	ds_load_b64 v[0:1], v167
	s_mov_b32 s1, exec_lo
	s_wait_dscnt 0x0
	scratch_store_b64 off, v[0:1], off offset:296 ; 8-byte Folded Spill
	s_wait_xcnt 0x0
	v_cmpx_lt_u32_e32 6, v166
	s_cbranch_execz .LBB111_64
; %bb.63:
	scratch_load_b64 v[4:5], off, off offset:296 ; 8-byte Folded Reload
	s_wait_loadcnt 0x0
	v_pk_mul_f32 v[2:3], v[4:5], v[24:25] op_sel:[1,1] op_sel_hi:[0,1]
	s_delay_alu instid0(VALU_DEP_1)
	v_pk_fma_f32 v[0:1], v[4:5], v[24:25], v[2:3] op_sel_hi:[1,0,1] neg_lo:[0,0,1] neg_hi:[0,0,1]
	v_pk_fma_f32 v[2:3], v[4:5], v[24:25], v[2:3] op_sel_hi:[1,0,1]
	ds_load_2addr_b64 v[4:7], v168 offset0:7 offset1:8
	v_dual_mov_b32 v24, v0 :: v_dual_mov_b32 v25, v3
	s_wait_dscnt 0x0
	v_pk_mul_f32 v[8:9], v[4:5], v[2:3] op_sel:[0,1]
	s_delay_alu instid0(VALU_DEP_1) | instskip(SKIP_1) | instid1(VALU_DEP_1)
	v_pk_fma_f32 v[10:11], v[4:5], v[0:1], v[8:9] op_sel:[0,0,1] op_sel_hi:[1,1,0] neg_lo:[0,0,1] neg_hi:[0,0,1]
	v_pk_fma_f32 v[4:5], v[4:5], v[0:1], v[8:9] op_sel:[0,0,1] op_sel_hi:[1,0,0]
	v_mov_b32_e32 v11, v5
	v_pk_mul_f32 v[4:5], v[6:7], v[2:3] op_sel:[0,1]
	s_delay_alu instid0(VALU_DEP_1) | instskip(SKIP_1) | instid1(VALU_DEP_1)
	v_pk_fma_f32 v[8:9], v[6:7], v[0:1], v[4:5] op_sel:[0,0,1] op_sel_hi:[1,1,0] neg_lo:[0,0,1] neg_hi:[0,0,1]
	v_pk_fma_f32 v[4:5], v[6:7], v[0:1], v[4:5] op_sel:[0,0,1] op_sel_hi:[1,0,0]
	v_mov_b32_e32 v9, v5
	ds_load_2addr_b64 v[4:7], v168 offset0:9 offset1:10
	v_pk_add_f32 v[20:21], v[20:21], v[10:11] neg_lo:[0,1] neg_hi:[0,1]
	v_pk_add_f32 v[40:41], v[40:41], v[8:9] neg_lo:[0,1] neg_hi:[0,1]
	s_wait_dscnt 0x0
	v_pk_mul_f32 v[8:9], v[4:5], v[2:3] op_sel:[0,1]
	s_delay_alu instid0(VALU_DEP_1) | instskip(SKIP_2) | instid1(VALU_DEP_2)
	v_pk_fma_f32 v[10:11], v[4:5], v[0:1], v[8:9] op_sel:[0,0,1] op_sel_hi:[1,1,0] neg_lo:[0,0,1] neg_hi:[0,0,1]
	v_pk_fma_f32 v[4:5], v[4:5], v[0:1], v[8:9] op_sel:[0,0,1] op_sel_hi:[1,0,0]
	v_dual_mul_f32 v8, v7, v3 :: v_dual_mov_b32 v4, v7
	v_dual_mov_b32 v11, v5 :: v_dual_mov_b32 v5, v6
	s_delay_alu instid0(VALU_DEP_2) | instskip(SKIP_1) | instid1(VALU_DEP_3)
	v_pk_fma_f32 v[8:9], v[6:7], v[24:25], v[8:9] op_sel_hi:[1,1,0] neg_lo:[0,0,1] neg_hi:[0,0,1]
	v_mul_f32_e32 v6, v7, v0
	v_pk_add_f32 v[36:37], v[36:37], v[10:11] neg_lo:[0,1] neg_hi:[0,1]
	s_delay_alu instid0(VALU_DEP_2) | instskip(NEXT) | instid1(VALU_DEP_1)
	v_pk_fma_f32 v[4:5], v[4:5], v[24:25], v[6:7] op_sel_hi:[1,1,0]
	v_mov_b32_e32 v9, v5
	ds_load_2addr_b64 v[4:7], v168 offset0:11 offset1:12
	v_pk_add_f32 v[38:39], v[38:39], v[8:9] neg_lo:[0,1] neg_hi:[0,1]
	s_wait_dscnt 0x0
	v_pk_mul_f32 v[8:9], v[4:5], v[2:3] op_sel:[0,1]
	s_delay_alu instid0(VALU_DEP_1) | instskip(SKIP_1) | instid1(VALU_DEP_1)
	v_pk_fma_f32 v[10:11], v[4:5], v[0:1], v[8:9] op_sel:[0,0,1] op_sel_hi:[1,1,0] neg_lo:[0,0,1] neg_hi:[0,0,1]
	v_pk_fma_f32 v[4:5], v[4:5], v[0:1], v[8:9] op_sel:[0,0,1] op_sel_hi:[1,0,0]
	v_mov_b32_e32 v11, v5
	v_pk_mul_f32 v[4:5], v[6:7], v[2:3] op_sel:[0,1]
	s_delay_alu instid0(VALU_DEP_1) | instskip(SKIP_1) | instid1(VALU_DEP_1)
	v_pk_fma_f32 v[8:9], v[6:7], v[0:1], v[4:5] op_sel:[0,0,1] op_sel_hi:[1,1,0] neg_lo:[0,0,1] neg_hi:[0,0,1]
	v_pk_fma_f32 v[4:5], v[6:7], v[0:1], v[4:5] op_sel:[0,0,1] op_sel_hi:[1,0,0]
	v_mov_b32_e32 v9, v5
	ds_load_2addr_b64 v[4:7], v168 offset0:13 offset1:14
	v_pk_add_f32 v[34:35], v[34:35], v[10:11] neg_lo:[0,1] neg_hi:[0,1]
	v_pk_add_f32 v[64:65], v[64:65], v[8:9] neg_lo:[0,1] neg_hi:[0,1]
	s_wait_dscnt 0x0
	v_pk_mul_f32 v[8:9], v[4:5], v[2:3] op_sel:[0,1]
	s_delay_alu instid0(VALU_DEP_1) | instskip(SKIP_1) | instid1(VALU_DEP_1)
	v_pk_fma_f32 v[10:11], v[4:5], v[0:1], v[8:9] op_sel:[0,0,1] op_sel_hi:[1,1,0] neg_lo:[0,0,1] neg_hi:[0,0,1]
	v_pk_fma_f32 v[4:5], v[4:5], v[0:1], v[8:9] op_sel:[0,0,1] op_sel_hi:[1,0,0]
	v_mov_b32_e32 v11, v5
	v_pk_mul_f32 v[4:5], v[6:7], v[2:3] op_sel:[0,1]
	s_delay_alu instid0(VALU_DEP_1) | instskip(SKIP_1) | instid1(VALU_DEP_1)
	v_pk_fma_f32 v[8:9], v[6:7], v[0:1], v[4:5] op_sel:[0,0,1] op_sel_hi:[1,1,0] neg_lo:[0,0,1] neg_hi:[0,0,1]
	v_pk_fma_f32 v[4:5], v[6:7], v[0:1], v[4:5] op_sel:[0,0,1] op_sel_hi:[1,0,0]
	v_mov_b32_e32 v9, v5
	ds_load_2addr_b64 v[4:7], v168 offset0:15 offset1:16
	v_pk_add_f32 v[60:61], v[60:61], v[10:11] neg_lo:[0,1] neg_hi:[0,1]
	v_pk_add_f32 v[62:63], v[62:63], v[8:9] neg_lo:[0,1] neg_hi:[0,1]
	s_wait_dscnt 0x0
	v_dual_mul_f32 v8, v5, v3 :: v_dual_mul_f32 v10, v5, v0
	s_delay_alu instid0(VALU_DEP_1) | instskip(NEXT) | instid1(VALU_DEP_2)
	v_pk_fma_f32 v[8:9], v[4:5], v[24:25], v[8:9] op_sel_hi:[1,1,0] neg_lo:[0,0,1] neg_hi:[0,0,1]
	v_pk_fma_f32 v[4:5], v[4:5], v[24:25], v[10:11] op_sel:[1,0,0] op_sel_hi:[0,1,0]
	s_delay_alu instid0(VALU_DEP_1) | instskip(SKIP_1) | instid1(VALU_DEP_2)
	v_mov_b32_e32 v9, v5
	v_pk_mul_f32 v[4:5], v[6:7], v[2:3] op_sel:[0,1]
	v_pk_add_f32 v[58:59], v[58:59], v[8:9] neg_lo:[0,1] neg_hi:[0,1]
	s_delay_alu instid0(VALU_DEP_2) | instskip(SKIP_1) | instid1(VALU_DEP_1)
	v_pk_fma_f32 v[8:9], v[6:7], v[0:1], v[4:5] op_sel:[0,0,1] op_sel_hi:[1,1,0] neg_lo:[0,0,1] neg_hi:[0,0,1]
	v_pk_fma_f32 v[4:5], v[6:7], v[0:1], v[4:5] op_sel:[0,0,1] op_sel_hi:[1,0,0]
	v_mov_b32_e32 v9, v5
	ds_load_2addr_b64 v[4:7], v168 offset0:17 offset1:18
	v_pk_add_f32 v[80:81], v[80:81], v[8:9] neg_lo:[0,1] neg_hi:[0,1]
	s_wait_dscnt 0x0
	v_pk_mul_f32 v[8:9], v[4:5], v[2:3] op_sel:[0,1]
	s_delay_alu instid0(VALU_DEP_1) | instskip(SKIP_1) | instid1(VALU_DEP_1)
	v_pk_fma_f32 v[10:11], v[4:5], v[0:1], v[8:9] op_sel:[0,0,1] op_sel_hi:[1,1,0] neg_lo:[0,0,1] neg_hi:[0,0,1]
	v_pk_fma_f32 v[4:5], v[4:5], v[0:1], v[8:9] op_sel:[0,0,1] op_sel_hi:[1,0,0]
	v_mov_b32_e32 v11, v5
	v_pk_mul_f32 v[4:5], v[6:7], v[2:3] op_sel:[0,1]
	s_delay_alu instid0(VALU_DEP_2) | instskip(NEXT) | instid1(VALU_DEP_2)
	v_pk_add_f32 v[76:77], v[76:77], v[10:11] neg_lo:[0,1] neg_hi:[0,1]
	v_pk_fma_f32 v[8:9], v[6:7], v[0:1], v[4:5] op_sel:[0,0,1] op_sel_hi:[1,1,0] neg_lo:[0,0,1] neg_hi:[0,0,1]
	v_pk_fma_f32 v[4:5], v[6:7], v[0:1], v[4:5] op_sel:[0,0,1] op_sel_hi:[1,0,0]
	s_delay_alu instid0(VALU_DEP_1) | instskip(SKIP_4) | instid1(VALU_DEP_1)
	v_mov_b32_e32 v9, v5
	ds_load_2addr_b64 v[4:7], v168 offset0:19 offset1:20
	v_pk_add_f32 v[78:79], v[78:79], v[8:9] neg_lo:[0,1] neg_hi:[0,1]
	s_wait_dscnt 0x0
	v_pk_mul_f32 v[8:9], v[4:5], v[2:3] op_sel:[0,1]
	v_pk_fma_f32 v[10:11], v[4:5], v[0:1], v[8:9] op_sel:[0,0,1] op_sel_hi:[1,1,0] neg_lo:[0,0,1] neg_hi:[0,0,1]
	v_pk_fma_f32 v[4:5], v[4:5], v[0:1], v[8:9] op_sel:[0,0,1] op_sel_hi:[1,0,0]
	v_dual_mul_f32 v8, v7, v3 :: v_dual_mov_b32 v4, v7
	s_delay_alu instid0(VALU_DEP_2) | instskip(NEXT) | instid1(VALU_DEP_2)
	v_dual_mov_b32 v11, v5 :: v_dual_mov_b32 v5, v6
	v_pk_fma_f32 v[8:9], v[6:7], v[24:25], v[8:9] op_sel_hi:[1,1,0] neg_lo:[0,0,1] neg_hi:[0,0,1]
	v_mul_f32_e32 v6, v7, v0
	s_delay_alu instid0(VALU_DEP_3) | instskip(NEXT) | instid1(VALU_DEP_2)
	v_pk_add_f32 v[74:75], v[74:75], v[10:11] neg_lo:[0,1] neg_hi:[0,1]
	v_pk_fma_f32 v[4:5], v[4:5], v[24:25], v[6:7] op_sel_hi:[1,1,0]
	s_delay_alu instid0(VALU_DEP_1) | instskip(SKIP_4) | instid1(VALU_DEP_1)
	v_mov_b32_e32 v9, v5
	ds_load_2addr_b64 v[4:7], v168 offset0:21 offset1:22
	v_pk_add_f32 v[98:99], v[98:99], v[8:9] neg_lo:[0,1] neg_hi:[0,1]
	s_wait_dscnt 0x0
	v_pk_mul_f32 v[8:9], v[4:5], v[2:3] op_sel:[0,1]
	v_pk_fma_f32 v[10:11], v[4:5], v[0:1], v[8:9] op_sel:[0,0,1] op_sel_hi:[1,1,0] neg_lo:[0,0,1] neg_hi:[0,0,1]
	v_pk_fma_f32 v[4:5], v[4:5], v[0:1], v[8:9] op_sel:[0,0,1] op_sel_hi:[1,0,0]
	s_delay_alu instid0(VALU_DEP_1) | instskip(SKIP_1) | instid1(VALU_DEP_1)
	v_mov_b32_e32 v11, v5
	v_pk_mul_f32 v[4:5], v[6:7], v[2:3] op_sel:[0,1]
	v_pk_fma_f32 v[8:9], v[6:7], v[0:1], v[4:5] op_sel:[0,0,1] op_sel_hi:[1,1,0] neg_lo:[0,0,1] neg_hi:[0,0,1]
	v_pk_fma_f32 v[4:5], v[6:7], v[0:1], v[4:5] op_sel:[0,0,1] op_sel_hi:[1,0,0]
	s_delay_alu instid0(VALU_DEP_1)
	v_mov_b32_e32 v9, v5
	ds_load_2addr_b64 v[4:7], v168 offset0:23 offset1:24
	v_pk_add_f32 v[94:95], v[94:95], v[10:11] neg_lo:[0,1] neg_hi:[0,1]
	v_pk_add_f32 v[96:97], v[96:97], v[8:9] neg_lo:[0,1] neg_hi:[0,1]
	s_wait_dscnt 0x0
	v_pk_mul_f32 v[8:9], v[4:5], v[2:3] op_sel:[0,1]
	s_delay_alu instid0(VALU_DEP_1) | instskip(SKIP_1) | instid1(VALU_DEP_1)
	v_pk_fma_f32 v[10:11], v[4:5], v[0:1], v[8:9] op_sel:[0,0,1] op_sel_hi:[1,1,0] neg_lo:[0,0,1] neg_hi:[0,0,1]
	v_pk_fma_f32 v[4:5], v[4:5], v[0:1], v[8:9] op_sel:[0,0,1] op_sel_hi:[1,0,0]
	v_mov_b32_e32 v11, v5
	v_pk_mul_f32 v[4:5], v[6:7], v[2:3] op_sel:[0,1]
	s_delay_alu instid0(VALU_DEP_1) | instskip(SKIP_1) | instid1(VALU_DEP_1)
	v_pk_fma_f32 v[8:9], v[6:7], v[0:1], v[4:5] op_sel:[0,0,1] op_sel_hi:[1,1,0] neg_lo:[0,0,1] neg_hi:[0,0,1]
	v_pk_fma_f32 v[4:5], v[6:7], v[0:1], v[4:5] op_sel:[0,0,1] op_sel_hi:[1,0,0]
	v_mov_b32_e32 v9, v5
	ds_load_2addr_b64 v[4:7], v168 offset0:25 offset1:26
	v_pk_add_f32 v[92:93], v[92:93], v[10:11] neg_lo:[0,1] neg_hi:[0,1]
	v_pk_add_f32 v[114:115], v[114:115], v[8:9] neg_lo:[0,1] neg_hi:[0,1]
	s_wait_dscnt 0x0
	v_dual_mul_f32 v8, v5, v3 :: v_dual_mul_f32 v10, v5, v0
	s_delay_alu instid0(VALU_DEP_1) | instskip(NEXT) | instid1(VALU_DEP_2)
	v_pk_fma_f32 v[8:9], v[4:5], v[24:25], v[8:9] op_sel_hi:[1,1,0] neg_lo:[0,0,1] neg_hi:[0,0,1]
	v_pk_fma_f32 v[4:5], v[4:5], v[24:25], v[10:11] op_sel:[1,0,0] op_sel_hi:[0,1,0]
	s_delay_alu instid0(VALU_DEP_1) | instskip(SKIP_1) | instid1(VALU_DEP_2)
	v_mov_b32_e32 v9, v5
	v_pk_mul_f32 v[4:5], v[6:7], v[2:3] op_sel:[0,1]
	v_pk_add_f32 v[110:111], v[110:111], v[8:9] neg_lo:[0,1] neg_hi:[0,1]
	s_delay_alu instid0(VALU_DEP_2) | instskip(SKIP_1) | instid1(VALU_DEP_1)
	v_pk_fma_f32 v[8:9], v[6:7], v[0:1], v[4:5] op_sel:[0,0,1] op_sel_hi:[1,1,0] neg_lo:[0,0,1] neg_hi:[0,0,1]
	v_pk_fma_f32 v[4:5], v[6:7], v[0:1], v[4:5] op_sel:[0,0,1] op_sel_hi:[1,0,0]
	v_mov_b32_e32 v9, v5
	ds_load_2addr_b64 v[4:7], v168 offset0:27 offset1:28
	v_pk_add_f32 v[112:113], v[112:113], v[8:9] neg_lo:[0,1] neg_hi:[0,1]
	s_wait_dscnt 0x0
	v_pk_mul_f32 v[8:9], v[4:5], v[2:3] op_sel:[0,1]
	s_delay_alu instid0(VALU_DEP_1) | instskip(SKIP_1) | instid1(VALU_DEP_1)
	v_pk_fma_f32 v[10:11], v[4:5], v[0:1], v[8:9] op_sel:[0,0,1] op_sel_hi:[1,1,0] neg_lo:[0,0,1] neg_hi:[0,0,1]
	v_pk_fma_f32 v[4:5], v[4:5], v[0:1], v[8:9] op_sel:[0,0,1] op_sel_hi:[1,0,0]
	v_mov_b32_e32 v11, v5
	v_pk_mul_f32 v[4:5], v[6:7], v[2:3] op_sel:[0,1]
	s_delay_alu instid0(VALU_DEP_2) | instskip(NEXT) | instid1(VALU_DEP_2)
	v_pk_add_f32 v[108:109], v[108:109], v[10:11] neg_lo:[0,1] neg_hi:[0,1]
	v_pk_fma_f32 v[8:9], v[6:7], v[0:1], v[4:5] op_sel:[0,0,1] op_sel_hi:[1,1,0] neg_lo:[0,0,1] neg_hi:[0,0,1]
	v_pk_fma_f32 v[4:5], v[6:7], v[0:1], v[4:5] op_sel:[0,0,1] op_sel_hi:[1,0,0]
	s_delay_alu instid0(VALU_DEP_1) | instskip(SKIP_4) | instid1(VALU_DEP_1)
	v_mov_b32_e32 v9, v5
	ds_load_2addr_b64 v[4:7], v168 offset0:29 offset1:30
	v_pk_add_f32 v[130:131], v[130:131], v[8:9] neg_lo:[0,1] neg_hi:[0,1]
	s_wait_dscnt 0x0
	v_pk_mul_f32 v[8:9], v[4:5], v[2:3] op_sel:[0,1]
	v_pk_fma_f32 v[10:11], v[4:5], v[0:1], v[8:9] op_sel:[0,0,1] op_sel_hi:[1,1,0] neg_lo:[0,0,1] neg_hi:[0,0,1]
	v_pk_fma_f32 v[4:5], v[4:5], v[0:1], v[8:9] op_sel:[0,0,1] op_sel_hi:[1,0,0]
	v_dual_mul_f32 v8, v7, v3 :: v_dual_mov_b32 v4, v7
	s_delay_alu instid0(VALU_DEP_2) | instskip(NEXT) | instid1(VALU_DEP_2)
	v_dual_mov_b32 v11, v5 :: v_dual_mov_b32 v5, v6
	v_pk_fma_f32 v[8:9], v[6:7], v[24:25], v[8:9] op_sel_hi:[1,1,0] neg_lo:[0,0,1] neg_hi:[0,0,1]
	v_mul_f32_e32 v6, v7, v0
	s_delay_alu instid0(VALU_DEP_3) | instskip(NEXT) | instid1(VALU_DEP_2)
	v_pk_add_f32 v[126:127], v[126:127], v[10:11] neg_lo:[0,1] neg_hi:[0,1]
	v_pk_fma_f32 v[4:5], v[4:5], v[24:25], v[6:7] op_sel_hi:[1,1,0]
	s_delay_alu instid0(VALU_DEP_1) | instskip(SKIP_4) | instid1(VALU_DEP_1)
	v_mov_b32_e32 v9, v5
	ds_load_2addr_b64 v[4:7], v168 offset0:31 offset1:32
	v_pk_add_f32 v[128:129], v[128:129], v[8:9] neg_lo:[0,1] neg_hi:[0,1]
	s_wait_dscnt 0x0
	v_pk_mul_f32 v[8:9], v[4:5], v[2:3] op_sel:[0,1]
	v_pk_fma_f32 v[10:11], v[4:5], v[0:1], v[8:9] op_sel:[0,0,1] op_sel_hi:[1,1,0] neg_lo:[0,0,1] neg_hi:[0,0,1]
	v_pk_fma_f32 v[4:5], v[4:5], v[0:1], v[8:9] op_sel:[0,0,1] op_sel_hi:[1,0,0]
	s_delay_alu instid0(VALU_DEP_1) | instskip(SKIP_1) | instid1(VALU_DEP_1)
	v_mov_b32_e32 v11, v5
	v_pk_mul_f32 v[4:5], v[6:7], v[2:3] op_sel:[0,1]
	v_pk_fma_f32 v[8:9], v[6:7], v[0:1], v[4:5] op_sel:[0,0,1] op_sel_hi:[1,1,0] neg_lo:[0,0,1] neg_hi:[0,0,1]
	v_pk_fma_f32 v[4:5], v[6:7], v[0:1], v[4:5] op_sel:[0,0,1] op_sel_hi:[1,0,0]
	s_delay_alu instid0(VALU_DEP_1)
	v_mov_b32_e32 v9, v5
	ds_load_2addr_b64 v[4:7], v168 offset0:33 offset1:34
	v_pk_add_f32 v[124:125], v[124:125], v[10:11] neg_lo:[0,1] neg_hi:[0,1]
	v_pk_add_f32 v[146:147], v[146:147], v[8:9] neg_lo:[0,1] neg_hi:[0,1]
	s_wait_dscnt 0x0
	v_pk_mul_f32 v[8:9], v[4:5], v[2:3] op_sel:[0,1]
	s_delay_alu instid0(VALU_DEP_1) | instskip(SKIP_1) | instid1(VALU_DEP_1)
	v_pk_fma_f32 v[10:11], v[4:5], v[0:1], v[8:9] op_sel:[0,0,1] op_sel_hi:[1,1,0] neg_lo:[0,0,1] neg_hi:[0,0,1]
	v_pk_fma_f32 v[4:5], v[4:5], v[0:1], v[8:9] op_sel:[0,0,1] op_sel_hi:[1,0,0]
	v_mov_b32_e32 v11, v5
	v_pk_mul_f32 v[4:5], v[6:7], v[2:3] op_sel:[0,1]
	s_delay_alu instid0(VALU_DEP_1) | instskip(SKIP_1) | instid1(VALU_DEP_1)
	v_pk_fma_f32 v[8:9], v[6:7], v[0:1], v[4:5] op_sel:[0,0,1] op_sel_hi:[1,1,0] neg_lo:[0,0,1] neg_hi:[0,0,1]
	v_pk_fma_f32 v[4:5], v[6:7], v[0:1], v[4:5] op_sel:[0,0,1] op_sel_hi:[1,0,0]
	v_mov_b32_e32 v9, v5
	ds_load_2addr_b64 v[4:7], v168 offset0:35 offset1:36
	v_pk_add_f32 v[142:143], v[142:143], v[10:11] neg_lo:[0,1] neg_hi:[0,1]
	v_pk_add_f32 v[144:145], v[144:145], v[8:9] neg_lo:[0,1] neg_hi:[0,1]
	s_wait_dscnt 0x0
	v_dual_mul_f32 v8, v5, v3 :: v_dual_mul_f32 v10, v5, v0
	s_delay_alu instid0(VALU_DEP_1) | instskip(NEXT) | instid1(VALU_DEP_2)
	v_pk_fma_f32 v[8:9], v[4:5], v[24:25], v[8:9] op_sel_hi:[1,1,0] neg_lo:[0,0,1] neg_hi:[0,0,1]
	v_pk_fma_f32 v[4:5], v[4:5], v[24:25], v[10:11] op_sel:[1,0,0] op_sel_hi:[0,1,0]
	s_delay_alu instid0(VALU_DEP_1) | instskip(SKIP_1) | instid1(VALU_DEP_2)
	v_mov_b32_e32 v9, v5
	v_pk_mul_f32 v[4:5], v[6:7], v[2:3] op_sel:[0,1]
	v_pk_add_f32 v[140:141], v[140:141], v[8:9] neg_lo:[0,1] neg_hi:[0,1]
	s_delay_alu instid0(VALU_DEP_2) | instskip(SKIP_1) | instid1(VALU_DEP_1)
	v_pk_fma_f32 v[8:9], v[6:7], v[0:1], v[4:5] op_sel:[0,0,1] op_sel_hi:[1,1,0] neg_lo:[0,0,1] neg_hi:[0,0,1]
	v_pk_fma_f32 v[4:5], v[6:7], v[0:1], v[4:5] op_sel:[0,0,1] op_sel_hi:[1,0,0]
	v_mov_b32_e32 v9, v5
	ds_load_2addr_b64 v[4:7], v168 offset0:37 offset1:38
	v_pk_add_f32 v[162:163], v[162:163], v[8:9] neg_lo:[0,1] neg_hi:[0,1]
	s_wait_dscnt 0x0
	v_pk_mul_f32 v[8:9], v[4:5], v[2:3] op_sel:[0,1]
	s_delay_alu instid0(VALU_DEP_1) | instskip(SKIP_1) | instid1(VALU_DEP_1)
	v_pk_fma_f32 v[10:11], v[4:5], v[0:1], v[8:9] op_sel:[0,0,1] op_sel_hi:[1,1,0] neg_lo:[0,0,1] neg_hi:[0,0,1]
	v_pk_fma_f32 v[4:5], v[4:5], v[0:1], v[8:9] op_sel:[0,0,1] op_sel_hi:[1,0,0]
	v_mov_b32_e32 v11, v5
	v_pk_mul_f32 v[4:5], v[6:7], v[2:3] op_sel:[0,1]
	s_delay_alu instid0(VALU_DEP_2) | instskip(NEXT) | instid1(VALU_DEP_2)
	v_pk_add_f32 v[158:159], v[158:159], v[10:11] neg_lo:[0,1] neg_hi:[0,1]
	v_pk_fma_f32 v[8:9], v[6:7], v[0:1], v[4:5] op_sel:[0,0,1] op_sel_hi:[1,1,0] neg_lo:[0,0,1] neg_hi:[0,0,1]
	v_pk_fma_f32 v[4:5], v[6:7], v[0:1], v[4:5] op_sel:[0,0,1] op_sel_hi:[1,0,0]
	s_delay_alu instid0(VALU_DEP_1) | instskip(SKIP_4) | instid1(VALU_DEP_1)
	v_mov_b32_e32 v9, v5
	ds_load_2addr_b64 v[4:7], v168 offset0:39 offset1:40
	v_pk_add_f32 v[160:161], v[160:161], v[8:9] neg_lo:[0,1] neg_hi:[0,1]
	s_wait_dscnt 0x0
	v_pk_mul_f32 v[8:9], v[4:5], v[2:3] op_sel:[0,1]
	v_pk_fma_f32 v[10:11], v[4:5], v[0:1], v[8:9] op_sel:[0,0,1] op_sel_hi:[1,1,0] neg_lo:[0,0,1] neg_hi:[0,0,1]
	v_pk_fma_f32 v[4:5], v[4:5], v[0:1], v[8:9] op_sel:[0,0,1] op_sel_hi:[1,0,0]
	v_dual_mul_f32 v8, v7, v3 :: v_dual_mov_b32 v4, v7
	s_delay_alu instid0(VALU_DEP_2) | instskip(NEXT) | instid1(VALU_DEP_2)
	v_dual_mov_b32 v11, v5 :: v_dual_mov_b32 v5, v6
	v_pk_fma_f32 v[8:9], v[6:7], v[24:25], v[8:9] op_sel_hi:[1,1,0] neg_lo:[0,0,1] neg_hi:[0,0,1]
	v_mul_f32_e32 v6, v7, v0
	s_delay_alu instid0(VALU_DEP_3) | instskip(NEXT) | instid1(VALU_DEP_2)
	v_pk_add_f32 v[156:157], v[156:157], v[10:11] neg_lo:[0,1] neg_hi:[0,1]
	v_pk_fma_f32 v[4:5], v[4:5], v[24:25], v[6:7] op_sel_hi:[1,1,0]
	s_delay_alu instid0(VALU_DEP_1) | instskip(SKIP_4) | instid1(VALU_DEP_1)
	v_mov_b32_e32 v9, v5
	ds_load_2addr_b64 v[4:7], v168 offset0:41 offset1:42
	v_pk_add_f32 v[178:179], v[178:179], v[8:9] neg_lo:[0,1] neg_hi:[0,1]
	s_wait_dscnt 0x0
	v_pk_mul_f32 v[8:9], v[4:5], v[2:3] op_sel:[0,1]
	v_pk_fma_f32 v[10:11], v[4:5], v[0:1], v[8:9] op_sel:[0,0,1] op_sel_hi:[1,1,0] neg_lo:[0,0,1] neg_hi:[0,0,1]
	v_pk_fma_f32 v[4:5], v[4:5], v[0:1], v[8:9] op_sel:[0,0,1] op_sel_hi:[1,0,0]
	s_delay_alu instid0(VALU_DEP_1) | instskip(SKIP_1) | instid1(VALU_DEP_1)
	v_mov_b32_e32 v11, v5
	v_pk_mul_f32 v[4:5], v[6:7], v[2:3] op_sel:[0,1]
	v_pk_fma_f32 v[8:9], v[6:7], v[0:1], v[4:5] op_sel:[0,0,1] op_sel_hi:[1,1,0] neg_lo:[0,0,1] neg_hi:[0,0,1]
	v_pk_fma_f32 v[4:5], v[6:7], v[0:1], v[4:5] op_sel:[0,0,1] op_sel_hi:[1,0,0]
	s_delay_alu instid0(VALU_DEP_1)
	v_mov_b32_e32 v9, v5
	ds_load_2addr_b64 v[4:7], v168 offset0:43 offset1:44
	v_pk_add_f32 v[174:175], v[174:175], v[10:11] neg_lo:[0,1] neg_hi:[0,1]
	v_pk_add_f32 v[176:177], v[176:177], v[8:9] neg_lo:[0,1] neg_hi:[0,1]
	s_wait_dscnt 0x0
	v_pk_mul_f32 v[8:9], v[4:5], v[2:3] op_sel:[0,1]
	s_delay_alu instid0(VALU_DEP_1) | instskip(SKIP_1) | instid1(VALU_DEP_1)
	v_pk_fma_f32 v[10:11], v[4:5], v[0:1], v[8:9] op_sel:[0,0,1] op_sel_hi:[1,1,0] neg_lo:[0,0,1] neg_hi:[0,0,1]
	v_pk_fma_f32 v[4:5], v[4:5], v[0:1], v[8:9] op_sel:[0,0,1] op_sel_hi:[1,0,0]
	v_mov_b32_e32 v11, v5
	v_pk_mul_f32 v[4:5], v[6:7], v[2:3] op_sel:[0,1]
	s_delay_alu instid0(VALU_DEP_1) | instskip(SKIP_1) | instid1(VALU_DEP_1)
	v_pk_fma_f32 v[8:9], v[6:7], v[0:1], v[4:5] op_sel:[0,0,1] op_sel_hi:[1,1,0] neg_lo:[0,0,1] neg_hi:[0,0,1]
	v_pk_fma_f32 v[4:5], v[6:7], v[0:1], v[4:5] op_sel:[0,0,1] op_sel_hi:[1,0,0]
	v_mov_b32_e32 v9, v5
	ds_load_2addr_b64 v[4:7], v168 offset0:45 offset1:46
	v_pk_add_f32 v[172:173], v[172:173], v[10:11] neg_lo:[0,1] neg_hi:[0,1]
	v_pk_add_f32 v[198:199], v[198:199], v[8:9] neg_lo:[0,1] neg_hi:[0,1]
	s_wait_dscnt 0x0
	v_dual_mul_f32 v8, v5, v3 :: v_dual_mul_f32 v10, v5, v0
	s_delay_alu instid0(VALU_DEP_1) | instskip(NEXT) | instid1(VALU_DEP_2)
	v_pk_fma_f32 v[8:9], v[4:5], v[24:25], v[8:9] op_sel_hi:[1,1,0] neg_lo:[0,0,1] neg_hi:[0,0,1]
	v_pk_fma_f32 v[4:5], v[4:5], v[24:25], v[10:11] op_sel:[1,0,0] op_sel_hi:[0,1,0]
	s_delay_alu instid0(VALU_DEP_1) | instskip(SKIP_1) | instid1(VALU_DEP_2)
	v_mov_b32_e32 v9, v5
	v_pk_mul_f32 v[4:5], v[6:7], v[2:3] op_sel:[0,1]
	v_pk_add_f32 v[194:195], v[194:195], v[8:9] neg_lo:[0,1] neg_hi:[0,1]
	s_delay_alu instid0(VALU_DEP_2) | instskip(SKIP_1) | instid1(VALU_DEP_1)
	v_pk_fma_f32 v[8:9], v[6:7], v[0:1], v[4:5] op_sel:[0,0,1] op_sel_hi:[1,1,0] neg_lo:[0,0,1] neg_hi:[0,0,1]
	v_pk_fma_f32 v[4:5], v[6:7], v[0:1], v[4:5] op_sel:[0,0,1] op_sel_hi:[1,0,0]
	v_mov_b32_e32 v9, v5
	ds_load_2addr_b64 v[4:7], v168 offset0:47 offset1:48
	v_pk_add_f32 v[196:197], v[196:197], v[8:9] neg_lo:[0,1] neg_hi:[0,1]
	s_wait_dscnt 0x0
	v_pk_mul_f32 v[8:9], v[4:5], v[2:3] op_sel:[0,1]
	s_delay_alu instid0(VALU_DEP_1) | instskip(SKIP_1) | instid1(VALU_DEP_1)
	v_pk_fma_f32 v[10:11], v[4:5], v[0:1], v[8:9] op_sel:[0,0,1] op_sel_hi:[1,1,0] neg_lo:[0,0,1] neg_hi:[0,0,1]
	v_pk_fma_f32 v[4:5], v[4:5], v[0:1], v[8:9] op_sel:[0,0,1] op_sel_hi:[1,0,0]
	v_mov_b32_e32 v11, v5
	v_pk_mul_f32 v[4:5], v[6:7], v[2:3] op_sel:[0,1]
	s_delay_alu instid0(VALU_DEP_2) | instskip(NEXT) | instid1(VALU_DEP_2)
	v_pk_add_f32 v[192:193], v[192:193], v[10:11] neg_lo:[0,1] neg_hi:[0,1]
	v_pk_fma_f32 v[8:9], v[6:7], v[0:1], v[4:5] op_sel:[0,0,1] op_sel_hi:[1,1,0] neg_lo:[0,0,1] neg_hi:[0,0,1]
	v_pk_fma_f32 v[4:5], v[6:7], v[0:1], v[4:5] op_sel:[0,0,1] op_sel_hi:[1,0,0]
	s_delay_alu instid0(VALU_DEP_1) | instskip(SKIP_4) | instid1(VALU_DEP_1)
	v_mov_b32_e32 v9, v5
	ds_load_2addr_b64 v[4:7], v168 offset0:49 offset1:50
	v_pk_add_f32 v[220:221], v[220:221], v[8:9] neg_lo:[0,1] neg_hi:[0,1]
	s_wait_dscnt 0x0
	v_pk_mul_f32 v[8:9], v[4:5], v[2:3] op_sel:[0,1]
	v_pk_fma_f32 v[10:11], v[4:5], v[0:1], v[8:9] op_sel:[0,0,1] op_sel_hi:[1,1,0] neg_lo:[0,0,1] neg_hi:[0,0,1]
	v_pk_fma_f32 v[4:5], v[4:5], v[0:1], v[8:9] op_sel:[0,0,1] op_sel_hi:[1,0,0]
	v_dual_mul_f32 v8, v7, v3 :: v_dual_mov_b32 v4, v7
	s_delay_alu instid0(VALU_DEP_2) | instskip(NEXT) | instid1(VALU_DEP_2)
	v_dual_mov_b32 v11, v5 :: v_dual_mov_b32 v5, v6
	v_pk_fma_f32 v[8:9], v[6:7], v[24:25], v[8:9] op_sel_hi:[1,1,0] neg_lo:[0,0,1] neg_hi:[0,0,1]
	v_mul_f32_e32 v6, v7, v0
	s_delay_alu instid0(VALU_DEP_3) | instskip(NEXT) | instid1(VALU_DEP_2)
	v_pk_add_f32 v[214:215], v[214:215], v[10:11] neg_lo:[0,1] neg_hi:[0,1]
	v_pk_fma_f32 v[4:5], v[4:5], v[24:25], v[6:7] op_sel_hi:[1,1,0]
	s_delay_alu instid0(VALU_DEP_1) | instskip(SKIP_4) | instid1(VALU_DEP_1)
	v_mov_b32_e32 v9, v5
	ds_load_2addr_b64 v[4:7], v168 offset0:51 offset1:52
	v_pk_add_f32 v[218:219], v[218:219], v[8:9] neg_lo:[0,1] neg_hi:[0,1]
	s_wait_dscnt 0x0
	v_pk_mul_f32 v[8:9], v[4:5], v[2:3] op_sel:[0,1]
	v_pk_fma_f32 v[10:11], v[4:5], v[0:1], v[8:9] op_sel:[0,0,1] op_sel_hi:[1,1,0] neg_lo:[0,0,1] neg_hi:[0,0,1]
	v_pk_fma_f32 v[4:5], v[4:5], v[0:1], v[8:9] op_sel:[0,0,1] op_sel_hi:[1,0,0]
	s_delay_alu instid0(VALU_DEP_1) | instskip(SKIP_1) | instid1(VALU_DEP_1)
	v_mov_b32_e32 v11, v5
	v_pk_mul_f32 v[4:5], v[6:7], v[2:3] op_sel:[0,1]
	v_pk_fma_f32 v[8:9], v[6:7], v[0:1], v[4:5] op_sel:[0,0,1] op_sel_hi:[1,1,0] neg_lo:[0,0,1] neg_hi:[0,0,1]
	v_pk_fma_f32 v[4:5], v[6:7], v[0:1], v[4:5] op_sel:[0,0,1] op_sel_hi:[1,0,0]
	s_delay_alu instid0(VALU_DEP_1)
	v_mov_b32_e32 v9, v5
	ds_load_2addr_b64 v[4:7], v168 offset0:53 offset1:54
	v_pk_add_f32 v[212:213], v[212:213], v[10:11] neg_lo:[0,1] neg_hi:[0,1]
	v_pk_add_f32 v[216:217], v[216:217], v[8:9] neg_lo:[0,1] neg_hi:[0,1]
	s_wait_dscnt 0x0
	v_pk_mul_f32 v[8:9], v[4:5], v[2:3] op_sel:[0,1]
	s_delay_alu instid0(VALU_DEP_1) | instskip(SKIP_1) | instid1(VALU_DEP_1)
	v_pk_fma_f32 v[10:11], v[4:5], v[0:1], v[8:9] op_sel:[0,0,1] op_sel_hi:[1,1,0] neg_lo:[0,0,1] neg_hi:[0,0,1]
	v_pk_fma_f32 v[4:5], v[4:5], v[0:1], v[8:9] op_sel:[0,0,1] op_sel_hi:[1,0,0]
	v_mov_b32_e32 v11, v5
	v_pk_mul_f32 v[4:5], v[6:7], v[2:3] op_sel:[0,1]
	s_delay_alu instid0(VALU_DEP_1) | instskip(SKIP_1) | instid1(VALU_DEP_1)
	v_pk_fma_f32 v[8:9], v[6:7], v[0:1], v[4:5] op_sel:[0,0,1] op_sel_hi:[1,1,0] neg_lo:[0,0,1] neg_hi:[0,0,1]
	v_pk_fma_f32 v[4:5], v[6:7], v[0:1], v[4:5] op_sel:[0,0,1] op_sel_hi:[1,0,0]
	v_mov_b32_e32 v9, v5
	ds_load_b64 v[4:5], v168 offset:440
	v_pk_add_f32 v[210:211], v[210:211], v[10:11] neg_lo:[0,1] neg_hi:[0,1]
	v_pk_add_f32 v[222:223], v[222:223], v[8:9] neg_lo:[0,1] neg_hi:[0,1]
	s_wait_dscnt 0x0
	v_pk_mul_f32 v[2:3], v[4:5], v[2:3] op_sel:[0,1]
	s_delay_alu instid0(VALU_DEP_1) | instskip(SKIP_1) | instid1(VALU_DEP_1)
	v_pk_fma_f32 v[6:7], v[4:5], v[0:1], v[2:3] op_sel:[0,0,1] op_sel_hi:[1,1,0] neg_lo:[0,0,1] neg_hi:[0,0,1]
	v_pk_fma_f32 v[0:1], v[4:5], v[0:1], v[2:3] op_sel:[0,0,1] op_sel_hi:[1,0,0]
	v_mov_b32_e32 v7, v1
	s_delay_alu instid0(VALU_DEP_1)
	v_pk_add_f32 v[224:225], v[224:225], v[6:7] neg_lo:[0,1] neg_hi:[0,1]
.LBB111_64:
	s_wait_xcnt 0x0
	s_or_b32 exec_lo, exec_lo, s1
	s_delay_alu instid0(SALU_CYCLE_1)
	s_mov_b32 s2, exec_lo
	s_wait_storecnt 0x0
	s_barrier_signal -1
	s_barrier_wait -1
	v_cmpx_eq_u32_e32 7, v166
	s_cbranch_execz .LBB111_71
; %bb.65:
	v_dual_mov_b32 v0, v40 :: v_dual_mov_b32 v1, v41
	v_dual_mov_b32 v2, v36 :: v_dual_mov_b32 v3, v37
	ds_store_b64 v167, v[20:21]
	ds_store_2addr_b64 v168, v[0:1], v[2:3] offset0:8 offset1:9
	v_dual_mov_b32 v0, v38 :: v_dual_mov_b32 v1, v39
	v_dual_mov_b32 v2, v34 :: v_dual_mov_b32 v3, v35
	ds_store_2addr_b64 v168, v[0:1], v[2:3] offset0:10 offset1:11
	v_dual_mov_b32 v0, v64 :: v_dual_mov_b32 v1, v65
	v_dual_mov_b32 v2, v60 :: v_dual_mov_b32 v3, v61
	;; [unrolled: 3-line block ×22, first 2 shown]
	ds_store_2addr_b64 v168, v[0:1], v[2:3] offset0:52 offset1:53
	v_dual_mov_b32 v0, v222 :: v_dual_mov_b32 v1, v223
	ds_store_2addr_b64 v168, v[0:1], v[224:225] offset0:54 offset1:55
	ds_load_b64 v[0:1], v167
	s_wait_dscnt 0x0
	v_cmp_neq_f32_e32 vcc_lo, 0, v0
	v_cmp_neq_f32_e64 s1, 0, v1
	s_or_b32 s1, vcc_lo, s1
	s_delay_alu instid0(SALU_CYCLE_1)
	s_and_b32 exec_lo, exec_lo, s1
	s_cbranch_execz .LBB111_71
; %bb.66:
	v_cmp_ngt_f32_e64 s1, |v0|, |v1|
                                        ; implicit-def: $vgpr2_vgpr3
	s_and_saveexec_b32 s4, s1
	s_delay_alu instid0(SALU_CYCLE_1)
	s_xor_b32 s1, exec_lo, s4
	s_cbranch_execz .LBB111_68
; %bb.67:
	v_div_scale_f32 v2, null, v1, v1, v0
	v_div_scale_f32 v5, vcc_lo, v0, v1, v0
	s_delay_alu instid0(VALU_DEP_2) | instskip(SKIP_1) | instid1(TRANS32_DEP_1)
	v_rcp_f32_e32 v3, v2
	v_nop
	v_fma_f32 v4, -v2, v3, 1.0
	s_delay_alu instid0(VALU_DEP_1) | instskip(NEXT) | instid1(VALU_DEP_1)
	v_fmac_f32_e32 v3, v4, v3
	v_mul_f32_e32 v4, v5, v3
	s_delay_alu instid0(VALU_DEP_1) | instskip(NEXT) | instid1(VALU_DEP_1)
	v_fma_f32 v6, -v2, v4, v5
	v_fmac_f32_e32 v4, v6, v3
	s_delay_alu instid0(VALU_DEP_1) | instskip(NEXT) | instid1(VALU_DEP_1)
	v_fma_f32 v2, -v2, v4, v5
	v_div_fmas_f32 v2, v2, v3, v4
	s_delay_alu instid0(VALU_DEP_1) | instskip(NEXT) | instid1(VALU_DEP_1)
	v_div_fixup_f32 v2, v2, v1, v0
	v_fmac_f32_e32 v1, v0, v2
	s_delay_alu instid0(VALU_DEP_1) | instskip(SKIP_1) | instid1(VALU_DEP_2)
	v_div_scale_f32 v0, null, v1, v1, 1.0
	v_div_scale_f32 v5, vcc_lo, 1.0, v1, 1.0
	v_rcp_f32_e32 v3, v0
	v_nop
	s_delay_alu instid0(TRANS32_DEP_1) | instskip(NEXT) | instid1(VALU_DEP_1)
	v_fma_f32 v4, -v0, v3, 1.0
	v_fmac_f32_e32 v3, v4, v3
	s_delay_alu instid0(VALU_DEP_1) | instskip(NEXT) | instid1(VALU_DEP_1)
	v_mul_f32_e32 v4, v5, v3
	v_fma_f32 v6, -v0, v4, v5
	s_delay_alu instid0(VALU_DEP_1) | instskip(NEXT) | instid1(VALU_DEP_1)
	v_fmac_f32_e32 v4, v6, v3
	v_fma_f32 v0, -v0, v4, v5
	s_delay_alu instid0(VALU_DEP_1) | instskip(NEXT) | instid1(VALU_DEP_1)
	v_div_fmas_f32 v0, v0, v3, v4
	v_div_fixup_f32 v0, v0, v1, 1.0
	s_delay_alu instid0(VALU_DEP_1)
	v_mul_f32_e32 v2, v2, v0
	v_xor_b32_e32 v3, 0x80000000, v0
                                        ; implicit-def: $vgpr0_vgpr1
.LBB111_68:
	s_and_not1_saveexec_b32 s1, s1
	s_cbranch_execz .LBB111_70
; %bb.69:
	v_div_scale_f32 v2, null, v0, v0, v1
	v_div_scale_f32 v5, vcc_lo, v1, v0, v1
	s_delay_alu instid0(VALU_DEP_2) | instskip(SKIP_1) | instid1(TRANS32_DEP_1)
	v_rcp_f32_e32 v3, v2
	v_nop
	v_fma_f32 v4, -v2, v3, 1.0
	s_delay_alu instid0(VALU_DEP_1) | instskip(NEXT) | instid1(VALU_DEP_1)
	v_fmac_f32_e32 v3, v4, v3
	v_mul_f32_e32 v4, v5, v3
	s_delay_alu instid0(VALU_DEP_1) | instskip(NEXT) | instid1(VALU_DEP_1)
	v_fma_f32 v6, -v2, v4, v5
	v_fmac_f32_e32 v4, v6, v3
	s_delay_alu instid0(VALU_DEP_1) | instskip(NEXT) | instid1(VALU_DEP_1)
	v_fma_f32 v2, -v2, v4, v5
	v_div_fmas_f32 v2, v2, v3, v4
	s_delay_alu instid0(VALU_DEP_1) | instskip(NEXT) | instid1(VALU_DEP_1)
	v_div_fixup_f32 v3, v2, v0, v1
	v_fmac_f32_e32 v0, v1, v3
	s_delay_alu instid0(VALU_DEP_1) | instskip(NEXT) | instid1(VALU_DEP_1)
	v_div_scale_f32 v1, null, v0, v0, 1.0
	v_rcp_f32_e32 v2, v1
	v_nop
	s_delay_alu instid0(TRANS32_DEP_1) | instskip(NEXT) | instid1(VALU_DEP_1)
	v_fma_f32 v4, -v1, v2, 1.0
	v_fmac_f32_e32 v2, v4, v2
	v_div_scale_f32 v4, vcc_lo, 1.0, v0, 1.0
	s_delay_alu instid0(VALU_DEP_1) | instskip(NEXT) | instid1(VALU_DEP_1)
	v_mul_f32_e32 v5, v4, v2
	v_fma_f32 v6, -v1, v5, v4
	s_delay_alu instid0(VALU_DEP_1) | instskip(NEXT) | instid1(VALU_DEP_1)
	v_fmac_f32_e32 v5, v6, v2
	v_fma_f32 v1, -v1, v5, v4
	s_delay_alu instid0(VALU_DEP_1) | instskip(NEXT) | instid1(VALU_DEP_1)
	v_div_fmas_f32 v1, v1, v2, v5
	v_div_fixup_f32 v2, v1, v0, 1.0
	s_delay_alu instid0(VALU_DEP_1)
	v_mul_f32_e64 v3, v3, -v2
.LBB111_70:
	s_or_b32 exec_lo, exec_lo, s1
	ds_store_b64 v167, v[2:3]
.LBB111_71:
	s_or_b32 exec_lo, exec_lo, s2
	s_wait_dscnt 0x0
	s_barrier_signal -1
	s_barrier_wait -1
	ds_load_b64 v[0:1], v167
	s_mov_b32 s1, exec_lo
	s_wait_dscnt 0x0
	scratch_store_b64 off, v[0:1], off offset:304 ; 8-byte Folded Spill
	s_wait_xcnt 0x0
	v_cmpx_lt_u32_e32 7, v166
	s_cbranch_execz .LBB111_73
; %bb.72:
	scratch_load_b64 v[4:5], off, off offset:304 ; 8-byte Folded Reload
	s_wait_loadcnt 0x0
	v_pk_mul_f32 v[2:3], v[4:5], v[20:21] op_sel:[1,1] op_sel_hi:[0,1]
	s_delay_alu instid0(VALU_DEP_1)
	v_pk_fma_f32 v[0:1], v[4:5], v[20:21], v[2:3] op_sel_hi:[1,0,1] neg_lo:[0,0,1] neg_hi:[0,0,1]
	v_pk_fma_f32 v[2:3], v[4:5], v[20:21], v[2:3] op_sel_hi:[1,0,1]
	ds_load_2addr_b64 v[4:7], v168 offset0:8 offset1:9
	v_dual_mov_b32 v20, v0 :: v_dual_mov_b32 v21, v3
	s_wait_dscnt 0x0
	v_pk_mul_f32 v[8:9], v[4:5], v[2:3] op_sel:[0,1]
	s_delay_alu instid0(VALU_DEP_1) | instskip(SKIP_1) | instid1(VALU_DEP_1)
	v_pk_fma_f32 v[10:11], v[4:5], v[0:1], v[8:9] op_sel:[0,0,1] op_sel_hi:[1,1,0] neg_lo:[0,0,1] neg_hi:[0,0,1]
	v_pk_fma_f32 v[4:5], v[4:5], v[0:1], v[8:9] op_sel:[0,0,1] op_sel_hi:[1,0,0]
	v_mov_b32_e32 v11, v5
	v_pk_mul_f32 v[4:5], v[6:7], v[2:3] op_sel:[0,1]
	s_delay_alu instid0(VALU_DEP_1) | instskip(SKIP_1) | instid1(VALU_DEP_1)
	v_pk_fma_f32 v[8:9], v[6:7], v[0:1], v[4:5] op_sel:[0,0,1] op_sel_hi:[1,1,0] neg_lo:[0,0,1] neg_hi:[0,0,1]
	v_pk_fma_f32 v[4:5], v[6:7], v[0:1], v[4:5] op_sel:[0,0,1] op_sel_hi:[1,0,0]
	v_mov_b32_e32 v9, v5
	ds_load_2addr_b64 v[4:7], v168 offset0:10 offset1:11
	v_pk_add_f32 v[40:41], v[40:41], v[10:11] neg_lo:[0,1] neg_hi:[0,1]
	v_pk_add_f32 v[36:37], v[36:37], v[8:9] neg_lo:[0,1] neg_hi:[0,1]
	s_wait_dscnt 0x0
	v_pk_mul_f32 v[8:9], v[4:5], v[2:3] op_sel:[0,1]
	s_delay_alu instid0(VALU_DEP_1) | instskip(SKIP_2) | instid1(VALU_DEP_2)
	v_pk_fma_f32 v[10:11], v[4:5], v[0:1], v[8:9] op_sel:[0,0,1] op_sel_hi:[1,1,0] neg_lo:[0,0,1] neg_hi:[0,0,1]
	v_pk_fma_f32 v[4:5], v[4:5], v[0:1], v[8:9] op_sel:[0,0,1] op_sel_hi:[1,0,0]
	v_dual_mul_f32 v8, v7, v3 :: v_dual_mov_b32 v4, v7
	v_dual_mov_b32 v11, v5 :: v_dual_mov_b32 v5, v6
	s_delay_alu instid0(VALU_DEP_2) | instskip(SKIP_1) | instid1(VALU_DEP_3)
	v_pk_fma_f32 v[8:9], v[6:7], v[20:21], v[8:9] op_sel_hi:[1,1,0] neg_lo:[0,0,1] neg_hi:[0,0,1]
	v_mul_f32_e32 v6, v7, v0
	v_pk_add_f32 v[38:39], v[38:39], v[10:11] neg_lo:[0,1] neg_hi:[0,1]
	s_delay_alu instid0(VALU_DEP_2) | instskip(NEXT) | instid1(VALU_DEP_1)
	v_pk_fma_f32 v[4:5], v[4:5], v[20:21], v[6:7] op_sel_hi:[1,1,0]
	v_mov_b32_e32 v9, v5
	ds_load_2addr_b64 v[4:7], v168 offset0:12 offset1:13
	v_pk_add_f32 v[34:35], v[34:35], v[8:9] neg_lo:[0,1] neg_hi:[0,1]
	s_wait_dscnt 0x0
	v_pk_mul_f32 v[8:9], v[4:5], v[2:3] op_sel:[0,1]
	s_delay_alu instid0(VALU_DEP_1) | instskip(SKIP_1) | instid1(VALU_DEP_1)
	v_pk_fma_f32 v[10:11], v[4:5], v[0:1], v[8:9] op_sel:[0,0,1] op_sel_hi:[1,1,0] neg_lo:[0,0,1] neg_hi:[0,0,1]
	v_pk_fma_f32 v[4:5], v[4:5], v[0:1], v[8:9] op_sel:[0,0,1] op_sel_hi:[1,0,0]
	v_mov_b32_e32 v11, v5
	v_pk_mul_f32 v[4:5], v[6:7], v[2:3] op_sel:[0,1]
	s_delay_alu instid0(VALU_DEP_1) | instskip(SKIP_1) | instid1(VALU_DEP_1)
	v_pk_fma_f32 v[8:9], v[6:7], v[0:1], v[4:5] op_sel:[0,0,1] op_sel_hi:[1,1,0] neg_lo:[0,0,1] neg_hi:[0,0,1]
	v_pk_fma_f32 v[4:5], v[6:7], v[0:1], v[4:5] op_sel:[0,0,1] op_sel_hi:[1,0,0]
	v_mov_b32_e32 v9, v5
	ds_load_2addr_b64 v[4:7], v168 offset0:14 offset1:15
	v_pk_add_f32 v[64:65], v[64:65], v[10:11] neg_lo:[0,1] neg_hi:[0,1]
	v_pk_add_f32 v[60:61], v[60:61], v[8:9] neg_lo:[0,1] neg_hi:[0,1]
	s_wait_dscnt 0x0
	v_pk_mul_f32 v[8:9], v[4:5], v[2:3] op_sel:[0,1]
	s_delay_alu instid0(VALU_DEP_1) | instskip(SKIP_1) | instid1(VALU_DEP_1)
	v_pk_fma_f32 v[10:11], v[4:5], v[0:1], v[8:9] op_sel:[0,0,1] op_sel_hi:[1,1,0] neg_lo:[0,0,1] neg_hi:[0,0,1]
	v_pk_fma_f32 v[4:5], v[4:5], v[0:1], v[8:9] op_sel:[0,0,1] op_sel_hi:[1,0,0]
	v_mov_b32_e32 v11, v5
	v_pk_mul_f32 v[4:5], v[6:7], v[2:3] op_sel:[0,1]
	s_delay_alu instid0(VALU_DEP_1) | instskip(SKIP_1) | instid1(VALU_DEP_1)
	v_pk_fma_f32 v[8:9], v[6:7], v[0:1], v[4:5] op_sel:[0,0,1] op_sel_hi:[1,1,0] neg_lo:[0,0,1] neg_hi:[0,0,1]
	v_pk_fma_f32 v[4:5], v[6:7], v[0:1], v[4:5] op_sel:[0,0,1] op_sel_hi:[1,0,0]
	v_mov_b32_e32 v9, v5
	ds_load_2addr_b64 v[4:7], v168 offset0:16 offset1:17
	v_pk_add_f32 v[62:63], v[62:63], v[10:11] neg_lo:[0,1] neg_hi:[0,1]
	v_pk_add_f32 v[58:59], v[58:59], v[8:9] neg_lo:[0,1] neg_hi:[0,1]
	s_wait_dscnt 0x0
	v_dual_mul_f32 v8, v5, v3 :: v_dual_mul_f32 v10, v5, v0
	s_delay_alu instid0(VALU_DEP_1) | instskip(NEXT) | instid1(VALU_DEP_2)
	v_pk_fma_f32 v[8:9], v[4:5], v[20:21], v[8:9] op_sel_hi:[1,1,0] neg_lo:[0,0,1] neg_hi:[0,0,1]
	v_pk_fma_f32 v[4:5], v[4:5], v[20:21], v[10:11] op_sel:[1,0,0] op_sel_hi:[0,1,0]
	s_delay_alu instid0(VALU_DEP_1) | instskip(SKIP_1) | instid1(VALU_DEP_2)
	v_mov_b32_e32 v9, v5
	v_pk_mul_f32 v[4:5], v[6:7], v[2:3] op_sel:[0,1]
	v_pk_add_f32 v[80:81], v[80:81], v[8:9] neg_lo:[0,1] neg_hi:[0,1]
	s_delay_alu instid0(VALU_DEP_2) | instskip(SKIP_1) | instid1(VALU_DEP_1)
	v_pk_fma_f32 v[8:9], v[6:7], v[0:1], v[4:5] op_sel:[0,0,1] op_sel_hi:[1,1,0] neg_lo:[0,0,1] neg_hi:[0,0,1]
	v_pk_fma_f32 v[4:5], v[6:7], v[0:1], v[4:5] op_sel:[0,0,1] op_sel_hi:[1,0,0]
	v_mov_b32_e32 v9, v5
	ds_load_2addr_b64 v[4:7], v168 offset0:18 offset1:19
	v_pk_add_f32 v[76:77], v[76:77], v[8:9] neg_lo:[0,1] neg_hi:[0,1]
	s_wait_dscnt 0x0
	v_pk_mul_f32 v[8:9], v[4:5], v[2:3] op_sel:[0,1]
	s_delay_alu instid0(VALU_DEP_1) | instskip(SKIP_1) | instid1(VALU_DEP_1)
	v_pk_fma_f32 v[10:11], v[4:5], v[0:1], v[8:9] op_sel:[0,0,1] op_sel_hi:[1,1,0] neg_lo:[0,0,1] neg_hi:[0,0,1]
	v_pk_fma_f32 v[4:5], v[4:5], v[0:1], v[8:9] op_sel:[0,0,1] op_sel_hi:[1,0,0]
	v_mov_b32_e32 v11, v5
	v_pk_mul_f32 v[4:5], v[6:7], v[2:3] op_sel:[0,1]
	s_delay_alu instid0(VALU_DEP_2) | instskip(NEXT) | instid1(VALU_DEP_2)
	v_pk_add_f32 v[78:79], v[78:79], v[10:11] neg_lo:[0,1] neg_hi:[0,1]
	v_pk_fma_f32 v[8:9], v[6:7], v[0:1], v[4:5] op_sel:[0,0,1] op_sel_hi:[1,1,0] neg_lo:[0,0,1] neg_hi:[0,0,1]
	v_pk_fma_f32 v[4:5], v[6:7], v[0:1], v[4:5] op_sel:[0,0,1] op_sel_hi:[1,0,0]
	s_delay_alu instid0(VALU_DEP_1) | instskip(SKIP_4) | instid1(VALU_DEP_1)
	v_mov_b32_e32 v9, v5
	ds_load_2addr_b64 v[4:7], v168 offset0:20 offset1:21
	v_pk_add_f32 v[74:75], v[74:75], v[8:9] neg_lo:[0,1] neg_hi:[0,1]
	s_wait_dscnt 0x0
	v_pk_mul_f32 v[8:9], v[4:5], v[2:3] op_sel:[0,1]
	v_pk_fma_f32 v[10:11], v[4:5], v[0:1], v[8:9] op_sel:[0,0,1] op_sel_hi:[1,1,0] neg_lo:[0,0,1] neg_hi:[0,0,1]
	v_pk_fma_f32 v[4:5], v[4:5], v[0:1], v[8:9] op_sel:[0,0,1] op_sel_hi:[1,0,0]
	v_dual_mul_f32 v8, v7, v3 :: v_dual_mov_b32 v4, v7
	s_delay_alu instid0(VALU_DEP_2) | instskip(NEXT) | instid1(VALU_DEP_2)
	v_dual_mov_b32 v11, v5 :: v_dual_mov_b32 v5, v6
	v_pk_fma_f32 v[8:9], v[6:7], v[20:21], v[8:9] op_sel_hi:[1,1,0] neg_lo:[0,0,1] neg_hi:[0,0,1]
	v_mul_f32_e32 v6, v7, v0
	s_delay_alu instid0(VALU_DEP_3) | instskip(NEXT) | instid1(VALU_DEP_2)
	v_pk_add_f32 v[98:99], v[98:99], v[10:11] neg_lo:[0,1] neg_hi:[0,1]
	v_pk_fma_f32 v[4:5], v[4:5], v[20:21], v[6:7] op_sel_hi:[1,1,0]
	s_delay_alu instid0(VALU_DEP_1) | instskip(SKIP_4) | instid1(VALU_DEP_1)
	v_mov_b32_e32 v9, v5
	ds_load_2addr_b64 v[4:7], v168 offset0:22 offset1:23
	v_pk_add_f32 v[94:95], v[94:95], v[8:9] neg_lo:[0,1] neg_hi:[0,1]
	s_wait_dscnt 0x0
	v_pk_mul_f32 v[8:9], v[4:5], v[2:3] op_sel:[0,1]
	v_pk_fma_f32 v[10:11], v[4:5], v[0:1], v[8:9] op_sel:[0,0,1] op_sel_hi:[1,1,0] neg_lo:[0,0,1] neg_hi:[0,0,1]
	v_pk_fma_f32 v[4:5], v[4:5], v[0:1], v[8:9] op_sel:[0,0,1] op_sel_hi:[1,0,0]
	s_delay_alu instid0(VALU_DEP_1) | instskip(SKIP_1) | instid1(VALU_DEP_1)
	v_mov_b32_e32 v11, v5
	v_pk_mul_f32 v[4:5], v[6:7], v[2:3] op_sel:[0,1]
	v_pk_fma_f32 v[8:9], v[6:7], v[0:1], v[4:5] op_sel:[0,0,1] op_sel_hi:[1,1,0] neg_lo:[0,0,1] neg_hi:[0,0,1]
	v_pk_fma_f32 v[4:5], v[6:7], v[0:1], v[4:5] op_sel:[0,0,1] op_sel_hi:[1,0,0]
	s_delay_alu instid0(VALU_DEP_1)
	v_mov_b32_e32 v9, v5
	ds_load_2addr_b64 v[4:7], v168 offset0:24 offset1:25
	v_pk_add_f32 v[96:97], v[96:97], v[10:11] neg_lo:[0,1] neg_hi:[0,1]
	v_pk_add_f32 v[92:93], v[92:93], v[8:9] neg_lo:[0,1] neg_hi:[0,1]
	s_wait_dscnt 0x0
	v_pk_mul_f32 v[8:9], v[4:5], v[2:3] op_sel:[0,1]
	s_delay_alu instid0(VALU_DEP_1) | instskip(SKIP_1) | instid1(VALU_DEP_1)
	v_pk_fma_f32 v[10:11], v[4:5], v[0:1], v[8:9] op_sel:[0,0,1] op_sel_hi:[1,1,0] neg_lo:[0,0,1] neg_hi:[0,0,1]
	v_pk_fma_f32 v[4:5], v[4:5], v[0:1], v[8:9] op_sel:[0,0,1] op_sel_hi:[1,0,0]
	v_mov_b32_e32 v11, v5
	v_pk_mul_f32 v[4:5], v[6:7], v[2:3] op_sel:[0,1]
	s_delay_alu instid0(VALU_DEP_1) | instskip(SKIP_1) | instid1(VALU_DEP_1)
	v_pk_fma_f32 v[8:9], v[6:7], v[0:1], v[4:5] op_sel:[0,0,1] op_sel_hi:[1,1,0] neg_lo:[0,0,1] neg_hi:[0,0,1]
	v_pk_fma_f32 v[4:5], v[6:7], v[0:1], v[4:5] op_sel:[0,0,1] op_sel_hi:[1,0,0]
	v_mov_b32_e32 v9, v5
	ds_load_2addr_b64 v[4:7], v168 offset0:26 offset1:27
	v_pk_add_f32 v[114:115], v[114:115], v[10:11] neg_lo:[0,1] neg_hi:[0,1]
	v_pk_add_f32 v[110:111], v[110:111], v[8:9] neg_lo:[0,1] neg_hi:[0,1]
	s_wait_dscnt 0x0
	v_dual_mul_f32 v8, v5, v3 :: v_dual_mul_f32 v10, v5, v0
	s_delay_alu instid0(VALU_DEP_1) | instskip(NEXT) | instid1(VALU_DEP_2)
	v_pk_fma_f32 v[8:9], v[4:5], v[20:21], v[8:9] op_sel_hi:[1,1,0] neg_lo:[0,0,1] neg_hi:[0,0,1]
	v_pk_fma_f32 v[4:5], v[4:5], v[20:21], v[10:11] op_sel:[1,0,0] op_sel_hi:[0,1,0]
	s_delay_alu instid0(VALU_DEP_1) | instskip(SKIP_1) | instid1(VALU_DEP_2)
	v_mov_b32_e32 v9, v5
	v_pk_mul_f32 v[4:5], v[6:7], v[2:3] op_sel:[0,1]
	v_pk_add_f32 v[112:113], v[112:113], v[8:9] neg_lo:[0,1] neg_hi:[0,1]
	s_delay_alu instid0(VALU_DEP_2) | instskip(SKIP_1) | instid1(VALU_DEP_1)
	v_pk_fma_f32 v[8:9], v[6:7], v[0:1], v[4:5] op_sel:[0,0,1] op_sel_hi:[1,1,0] neg_lo:[0,0,1] neg_hi:[0,0,1]
	v_pk_fma_f32 v[4:5], v[6:7], v[0:1], v[4:5] op_sel:[0,0,1] op_sel_hi:[1,0,0]
	v_mov_b32_e32 v9, v5
	ds_load_2addr_b64 v[4:7], v168 offset0:28 offset1:29
	v_pk_add_f32 v[108:109], v[108:109], v[8:9] neg_lo:[0,1] neg_hi:[0,1]
	s_wait_dscnt 0x0
	v_pk_mul_f32 v[8:9], v[4:5], v[2:3] op_sel:[0,1]
	s_delay_alu instid0(VALU_DEP_1) | instskip(SKIP_1) | instid1(VALU_DEP_1)
	v_pk_fma_f32 v[10:11], v[4:5], v[0:1], v[8:9] op_sel:[0,0,1] op_sel_hi:[1,1,0] neg_lo:[0,0,1] neg_hi:[0,0,1]
	v_pk_fma_f32 v[4:5], v[4:5], v[0:1], v[8:9] op_sel:[0,0,1] op_sel_hi:[1,0,0]
	v_mov_b32_e32 v11, v5
	v_pk_mul_f32 v[4:5], v[6:7], v[2:3] op_sel:[0,1]
	s_delay_alu instid0(VALU_DEP_2) | instskip(NEXT) | instid1(VALU_DEP_2)
	v_pk_add_f32 v[130:131], v[130:131], v[10:11] neg_lo:[0,1] neg_hi:[0,1]
	v_pk_fma_f32 v[8:9], v[6:7], v[0:1], v[4:5] op_sel:[0,0,1] op_sel_hi:[1,1,0] neg_lo:[0,0,1] neg_hi:[0,0,1]
	v_pk_fma_f32 v[4:5], v[6:7], v[0:1], v[4:5] op_sel:[0,0,1] op_sel_hi:[1,0,0]
	s_delay_alu instid0(VALU_DEP_1) | instskip(SKIP_4) | instid1(VALU_DEP_1)
	v_mov_b32_e32 v9, v5
	ds_load_2addr_b64 v[4:7], v168 offset0:30 offset1:31
	v_pk_add_f32 v[126:127], v[126:127], v[8:9] neg_lo:[0,1] neg_hi:[0,1]
	s_wait_dscnt 0x0
	v_pk_mul_f32 v[8:9], v[4:5], v[2:3] op_sel:[0,1]
	v_pk_fma_f32 v[10:11], v[4:5], v[0:1], v[8:9] op_sel:[0,0,1] op_sel_hi:[1,1,0] neg_lo:[0,0,1] neg_hi:[0,0,1]
	v_pk_fma_f32 v[4:5], v[4:5], v[0:1], v[8:9] op_sel:[0,0,1] op_sel_hi:[1,0,0]
	v_dual_mul_f32 v8, v7, v3 :: v_dual_mov_b32 v4, v7
	s_delay_alu instid0(VALU_DEP_2) | instskip(NEXT) | instid1(VALU_DEP_2)
	v_dual_mov_b32 v11, v5 :: v_dual_mov_b32 v5, v6
	v_pk_fma_f32 v[8:9], v[6:7], v[20:21], v[8:9] op_sel_hi:[1,1,0] neg_lo:[0,0,1] neg_hi:[0,0,1]
	v_mul_f32_e32 v6, v7, v0
	s_delay_alu instid0(VALU_DEP_3) | instskip(NEXT) | instid1(VALU_DEP_2)
	v_pk_add_f32 v[128:129], v[128:129], v[10:11] neg_lo:[0,1] neg_hi:[0,1]
	v_pk_fma_f32 v[4:5], v[4:5], v[20:21], v[6:7] op_sel_hi:[1,1,0]
	s_delay_alu instid0(VALU_DEP_1) | instskip(SKIP_4) | instid1(VALU_DEP_1)
	v_mov_b32_e32 v9, v5
	ds_load_2addr_b64 v[4:7], v168 offset0:32 offset1:33
	v_pk_add_f32 v[124:125], v[124:125], v[8:9] neg_lo:[0,1] neg_hi:[0,1]
	s_wait_dscnt 0x0
	v_pk_mul_f32 v[8:9], v[4:5], v[2:3] op_sel:[0,1]
	v_pk_fma_f32 v[10:11], v[4:5], v[0:1], v[8:9] op_sel:[0,0,1] op_sel_hi:[1,1,0] neg_lo:[0,0,1] neg_hi:[0,0,1]
	v_pk_fma_f32 v[4:5], v[4:5], v[0:1], v[8:9] op_sel:[0,0,1] op_sel_hi:[1,0,0]
	s_delay_alu instid0(VALU_DEP_1) | instskip(SKIP_1) | instid1(VALU_DEP_1)
	v_mov_b32_e32 v11, v5
	v_pk_mul_f32 v[4:5], v[6:7], v[2:3] op_sel:[0,1]
	v_pk_fma_f32 v[8:9], v[6:7], v[0:1], v[4:5] op_sel:[0,0,1] op_sel_hi:[1,1,0] neg_lo:[0,0,1] neg_hi:[0,0,1]
	v_pk_fma_f32 v[4:5], v[6:7], v[0:1], v[4:5] op_sel:[0,0,1] op_sel_hi:[1,0,0]
	s_delay_alu instid0(VALU_DEP_1)
	v_mov_b32_e32 v9, v5
	ds_load_2addr_b64 v[4:7], v168 offset0:34 offset1:35
	v_pk_add_f32 v[146:147], v[146:147], v[10:11] neg_lo:[0,1] neg_hi:[0,1]
	v_pk_add_f32 v[142:143], v[142:143], v[8:9] neg_lo:[0,1] neg_hi:[0,1]
	s_wait_dscnt 0x0
	v_pk_mul_f32 v[8:9], v[4:5], v[2:3] op_sel:[0,1]
	s_delay_alu instid0(VALU_DEP_1) | instskip(SKIP_1) | instid1(VALU_DEP_1)
	v_pk_fma_f32 v[10:11], v[4:5], v[0:1], v[8:9] op_sel:[0,0,1] op_sel_hi:[1,1,0] neg_lo:[0,0,1] neg_hi:[0,0,1]
	v_pk_fma_f32 v[4:5], v[4:5], v[0:1], v[8:9] op_sel:[0,0,1] op_sel_hi:[1,0,0]
	v_mov_b32_e32 v11, v5
	v_pk_mul_f32 v[4:5], v[6:7], v[2:3] op_sel:[0,1]
	s_delay_alu instid0(VALU_DEP_1) | instskip(SKIP_1) | instid1(VALU_DEP_1)
	v_pk_fma_f32 v[8:9], v[6:7], v[0:1], v[4:5] op_sel:[0,0,1] op_sel_hi:[1,1,0] neg_lo:[0,0,1] neg_hi:[0,0,1]
	v_pk_fma_f32 v[4:5], v[6:7], v[0:1], v[4:5] op_sel:[0,0,1] op_sel_hi:[1,0,0]
	v_mov_b32_e32 v9, v5
	ds_load_2addr_b64 v[4:7], v168 offset0:36 offset1:37
	v_pk_add_f32 v[144:145], v[144:145], v[10:11] neg_lo:[0,1] neg_hi:[0,1]
	v_pk_add_f32 v[140:141], v[140:141], v[8:9] neg_lo:[0,1] neg_hi:[0,1]
	s_wait_dscnt 0x0
	v_dual_mul_f32 v8, v5, v3 :: v_dual_mul_f32 v10, v5, v0
	s_delay_alu instid0(VALU_DEP_1) | instskip(NEXT) | instid1(VALU_DEP_2)
	v_pk_fma_f32 v[8:9], v[4:5], v[20:21], v[8:9] op_sel_hi:[1,1,0] neg_lo:[0,0,1] neg_hi:[0,0,1]
	v_pk_fma_f32 v[4:5], v[4:5], v[20:21], v[10:11] op_sel:[1,0,0] op_sel_hi:[0,1,0]
	s_delay_alu instid0(VALU_DEP_1) | instskip(SKIP_1) | instid1(VALU_DEP_2)
	v_mov_b32_e32 v9, v5
	v_pk_mul_f32 v[4:5], v[6:7], v[2:3] op_sel:[0,1]
	v_pk_add_f32 v[162:163], v[162:163], v[8:9] neg_lo:[0,1] neg_hi:[0,1]
	s_delay_alu instid0(VALU_DEP_2) | instskip(SKIP_1) | instid1(VALU_DEP_1)
	v_pk_fma_f32 v[8:9], v[6:7], v[0:1], v[4:5] op_sel:[0,0,1] op_sel_hi:[1,1,0] neg_lo:[0,0,1] neg_hi:[0,0,1]
	v_pk_fma_f32 v[4:5], v[6:7], v[0:1], v[4:5] op_sel:[0,0,1] op_sel_hi:[1,0,0]
	v_mov_b32_e32 v9, v5
	ds_load_2addr_b64 v[4:7], v168 offset0:38 offset1:39
	v_pk_add_f32 v[158:159], v[158:159], v[8:9] neg_lo:[0,1] neg_hi:[0,1]
	s_wait_dscnt 0x0
	v_pk_mul_f32 v[8:9], v[4:5], v[2:3] op_sel:[0,1]
	s_delay_alu instid0(VALU_DEP_1) | instskip(SKIP_1) | instid1(VALU_DEP_1)
	v_pk_fma_f32 v[10:11], v[4:5], v[0:1], v[8:9] op_sel:[0,0,1] op_sel_hi:[1,1,0] neg_lo:[0,0,1] neg_hi:[0,0,1]
	v_pk_fma_f32 v[4:5], v[4:5], v[0:1], v[8:9] op_sel:[0,0,1] op_sel_hi:[1,0,0]
	v_mov_b32_e32 v11, v5
	v_pk_mul_f32 v[4:5], v[6:7], v[2:3] op_sel:[0,1]
	s_delay_alu instid0(VALU_DEP_2) | instskip(NEXT) | instid1(VALU_DEP_2)
	v_pk_add_f32 v[160:161], v[160:161], v[10:11] neg_lo:[0,1] neg_hi:[0,1]
	v_pk_fma_f32 v[8:9], v[6:7], v[0:1], v[4:5] op_sel:[0,0,1] op_sel_hi:[1,1,0] neg_lo:[0,0,1] neg_hi:[0,0,1]
	v_pk_fma_f32 v[4:5], v[6:7], v[0:1], v[4:5] op_sel:[0,0,1] op_sel_hi:[1,0,0]
	s_delay_alu instid0(VALU_DEP_1) | instskip(SKIP_4) | instid1(VALU_DEP_1)
	v_mov_b32_e32 v9, v5
	ds_load_2addr_b64 v[4:7], v168 offset0:40 offset1:41
	v_pk_add_f32 v[156:157], v[156:157], v[8:9] neg_lo:[0,1] neg_hi:[0,1]
	s_wait_dscnt 0x0
	v_pk_mul_f32 v[8:9], v[4:5], v[2:3] op_sel:[0,1]
	v_pk_fma_f32 v[10:11], v[4:5], v[0:1], v[8:9] op_sel:[0,0,1] op_sel_hi:[1,1,0] neg_lo:[0,0,1] neg_hi:[0,0,1]
	v_pk_fma_f32 v[4:5], v[4:5], v[0:1], v[8:9] op_sel:[0,0,1] op_sel_hi:[1,0,0]
	v_dual_mul_f32 v8, v7, v3 :: v_dual_mov_b32 v4, v7
	s_delay_alu instid0(VALU_DEP_2) | instskip(NEXT) | instid1(VALU_DEP_2)
	v_dual_mov_b32 v11, v5 :: v_dual_mov_b32 v5, v6
	v_pk_fma_f32 v[8:9], v[6:7], v[20:21], v[8:9] op_sel_hi:[1,1,0] neg_lo:[0,0,1] neg_hi:[0,0,1]
	v_mul_f32_e32 v6, v7, v0
	s_delay_alu instid0(VALU_DEP_3) | instskip(NEXT) | instid1(VALU_DEP_2)
	v_pk_add_f32 v[178:179], v[178:179], v[10:11] neg_lo:[0,1] neg_hi:[0,1]
	v_pk_fma_f32 v[4:5], v[4:5], v[20:21], v[6:7] op_sel_hi:[1,1,0]
	s_delay_alu instid0(VALU_DEP_1) | instskip(SKIP_4) | instid1(VALU_DEP_1)
	v_mov_b32_e32 v9, v5
	ds_load_2addr_b64 v[4:7], v168 offset0:42 offset1:43
	v_pk_add_f32 v[174:175], v[174:175], v[8:9] neg_lo:[0,1] neg_hi:[0,1]
	s_wait_dscnt 0x0
	v_pk_mul_f32 v[8:9], v[4:5], v[2:3] op_sel:[0,1]
	v_pk_fma_f32 v[10:11], v[4:5], v[0:1], v[8:9] op_sel:[0,0,1] op_sel_hi:[1,1,0] neg_lo:[0,0,1] neg_hi:[0,0,1]
	v_pk_fma_f32 v[4:5], v[4:5], v[0:1], v[8:9] op_sel:[0,0,1] op_sel_hi:[1,0,0]
	s_delay_alu instid0(VALU_DEP_1) | instskip(SKIP_1) | instid1(VALU_DEP_1)
	v_mov_b32_e32 v11, v5
	v_pk_mul_f32 v[4:5], v[6:7], v[2:3] op_sel:[0,1]
	v_pk_fma_f32 v[8:9], v[6:7], v[0:1], v[4:5] op_sel:[0,0,1] op_sel_hi:[1,1,0] neg_lo:[0,0,1] neg_hi:[0,0,1]
	v_pk_fma_f32 v[4:5], v[6:7], v[0:1], v[4:5] op_sel:[0,0,1] op_sel_hi:[1,0,0]
	s_delay_alu instid0(VALU_DEP_1)
	v_mov_b32_e32 v9, v5
	ds_load_2addr_b64 v[4:7], v168 offset0:44 offset1:45
	v_pk_add_f32 v[176:177], v[176:177], v[10:11] neg_lo:[0,1] neg_hi:[0,1]
	v_pk_add_f32 v[172:173], v[172:173], v[8:9] neg_lo:[0,1] neg_hi:[0,1]
	s_wait_dscnt 0x0
	v_pk_mul_f32 v[8:9], v[4:5], v[2:3] op_sel:[0,1]
	s_delay_alu instid0(VALU_DEP_1) | instskip(SKIP_1) | instid1(VALU_DEP_1)
	v_pk_fma_f32 v[10:11], v[4:5], v[0:1], v[8:9] op_sel:[0,0,1] op_sel_hi:[1,1,0] neg_lo:[0,0,1] neg_hi:[0,0,1]
	v_pk_fma_f32 v[4:5], v[4:5], v[0:1], v[8:9] op_sel:[0,0,1] op_sel_hi:[1,0,0]
	v_mov_b32_e32 v11, v5
	v_pk_mul_f32 v[4:5], v[6:7], v[2:3] op_sel:[0,1]
	s_delay_alu instid0(VALU_DEP_1) | instskip(SKIP_1) | instid1(VALU_DEP_1)
	v_pk_fma_f32 v[8:9], v[6:7], v[0:1], v[4:5] op_sel:[0,0,1] op_sel_hi:[1,1,0] neg_lo:[0,0,1] neg_hi:[0,0,1]
	v_pk_fma_f32 v[4:5], v[6:7], v[0:1], v[4:5] op_sel:[0,0,1] op_sel_hi:[1,0,0]
	v_mov_b32_e32 v9, v5
	ds_load_2addr_b64 v[4:7], v168 offset0:46 offset1:47
	v_pk_add_f32 v[198:199], v[198:199], v[10:11] neg_lo:[0,1] neg_hi:[0,1]
	v_pk_add_f32 v[194:195], v[194:195], v[8:9] neg_lo:[0,1] neg_hi:[0,1]
	s_wait_dscnt 0x0
	v_dual_mul_f32 v8, v5, v3 :: v_dual_mul_f32 v10, v5, v0
	s_delay_alu instid0(VALU_DEP_1) | instskip(NEXT) | instid1(VALU_DEP_2)
	v_pk_fma_f32 v[8:9], v[4:5], v[20:21], v[8:9] op_sel_hi:[1,1,0] neg_lo:[0,0,1] neg_hi:[0,0,1]
	v_pk_fma_f32 v[4:5], v[4:5], v[20:21], v[10:11] op_sel:[1,0,0] op_sel_hi:[0,1,0]
	s_delay_alu instid0(VALU_DEP_1) | instskip(SKIP_1) | instid1(VALU_DEP_2)
	v_mov_b32_e32 v9, v5
	v_pk_mul_f32 v[4:5], v[6:7], v[2:3] op_sel:[0,1]
	v_pk_add_f32 v[196:197], v[196:197], v[8:9] neg_lo:[0,1] neg_hi:[0,1]
	s_delay_alu instid0(VALU_DEP_2) | instskip(SKIP_1) | instid1(VALU_DEP_1)
	v_pk_fma_f32 v[8:9], v[6:7], v[0:1], v[4:5] op_sel:[0,0,1] op_sel_hi:[1,1,0] neg_lo:[0,0,1] neg_hi:[0,0,1]
	v_pk_fma_f32 v[4:5], v[6:7], v[0:1], v[4:5] op_sel:[0,0,1] op_sel_hi:[1,0,0]
	v_mov_b32_e32 v9, v5
	ds_load_2addr_b64 v[4:7], v168 offset0:48 offset1:49
	v_pk_add_f32 v[192:193], v[192:193], v[8:9] neg_lo:[0,1] neg_hi:[0,1]
	s_wait_dscnt 0x0
	v_pk_mul_f32 v[8:9], v[4:5], v[2:3] op_sel:[0,1]
	s_delay_alu instid0(VALU_DEP_1) | instskip(SKIP_1) | instid1(VALU_DEP_1)
	v_pk_fma_f32 v[10:11], v[4:5], v[0:1], v[8:9] op_sel:[0,0,1] op_sel_hi:[1,1,0] neg_lo:[0,0,1] neg_hi:[0,0,1]
	v_pk_fma_f32 v[4:5], v[4:5], v[0:1], v[8:9] op_sel:[0,0,1] op_sel_hi:[1,0,0]
	v_mov_b32_e32 v11, v5
	v_pk_mul_f32 v[4:5], v[6:7], v[2:3] op_sel:[0,1]
	s_delay_alu instid0(VALU_DEP_2) | instskip(NEXT) | instid1(VALU_DEP_2)
	v_pk_add_f32 v[220:221], v[220:221], v[10:11] neg_lo:[0,1] neg_hi:[0,1]
	v_pk_fma_f32 v[8:9], v[6:7], v[0:1], v[4:5] op_sel:[0,0,1] op_sel_hi:[1,1,0] neg_lo:[0,0,1] neg_hi:[0,0,1]
	v_pk_fma_f32 v[4:5], v[6:7], v[0:1], v[4:5] op_sel:[0,0,1] op_sel_hi:[1,0,0]
	s_delay_alu instid0(VALU_DEP_1) | instskip(SKIP_4) | instid1(VALU_DEP_1)
	v_mov_b32_e32 v9, v5
	ds_load_2addr_b64 v[4:7], v168 offset0:50 offset1:51
	v_pk_add_f32 v[214:215], v[214:215], v[8:9] neg_lo:[0,1] neg_hi:[0,1]
	s_wait_dscnt 0x0
	v_pk_mul_f32 v[8:9], v[4:5], v[2:3] op_sel:[0,1]
	v_pk_fma_f32 v[10:11], v[4:5], v[0:1], v[8:9] op_sel:[0,0,1] op_sel_hi:[1,1,0] neg_lo:[0,0,1] neg_hi:[0,0,1]
	v_pk_fma_f32 v[4:5], v[4:5], v[0:1], v[8:9] op_sel:[0,0,1] op_sel_hi:[1,0,0]
	v_dual_mul_f32 v8, v7, v3 :: v_dual_mov_b32 v4, v7
	s_delay_alu instid0(VALU_DEP_2) | instskip(NEXT) | instid1(VALU_DEP_2)
	v_dual_mov_b32 v11, v5 :: v_dual_mov_b32 v5, v6
	v_pk_fma_f32 v[8:9], v[6:7], v[20:21], v[8:9] op_sel_hi:[1,1,0] neg_lo:[0,0,1] neg_hi:[0,0,1]
	v_mul_f32_e32 v6, v7, v0
	s_delay_alu instid0(VALU_DEP_3) | instskip(NEXT) | instid1(VALU_DEP_2)
	v_pk_add_f32 v[218:219], v[218:219], v[10:11] neg_lo:[0,1] neg_hi:[0,1]
	v_pk_fma_f32 v[4:5], v[4:5], v[20:21], v[6:7] op_sel_hi:[1,1,0]
	s_delay_alu instid0(VALU_DEP_1) | instskip(SKIP_4) | instid1(VALU_DEP_1)
	v_mov_b32_e32 v9, v5
	ds_load_2addr_b64 v[4:7], v168 offset0:52 offset1:53
	v_pk_add_f32 v[212:213], v[212:213], v[8:9] neg_lo:[0,1] neg_hi:[0,1]
	s_wait_dscnt 0x0
	v_pk_mul_f32 v[8:9], v[4:5], v[2:3] op_sel:[0,1]
	v_pk_fma_f32 v[10:11], v[4:5], v[0:1], v[8:9] op_sel:[0,0,1] op_sel_hi:[1,1,0] neg_lo:[0,0,1] neg_hi:[0,0,1]
	v_pk_fma_f32 v[4:5], v[4:5], v[0:1], v[8:9] op_sel:[0,0,1] op_sel_hi:[1,0,0]
	s_delay_alu instid0(VALU_DEP_1) | instskip(SKIP_1) | instid1(VALU_DEP_1)
	v_mov_b32_e32 v11, v5
	v_pk_mul_f32 v[4:5], v[6:7], v[2:3] op_sel:[0,1]
	v_pk_fma_f32 v[8:9], v[6:7], v[0:1], v[4:5] op_sel:[0,0,1] op_sel_hi:[1,1,0] neg_lo:[0,0,1] neg_hi:[0,0,1]
	v_pk_fma_f32 v[4:5], v[6:7], v[0:1], v[4:5] op_sel:[0,0,1] op_sel_hi:[1,0,0]
	s_delay_alu instid0(VALU_DEP_1)
	v_mov_b32_e32 v9, v5
	ds_load_2addr_b64 v[4:7], v168 offset0:54 offset1:55
	v_pk_add_f32 v[216:217], v[216:217], v[10:11] neg_lo:[0,1] neg_hi:[0,1]
	v_pk_add_f32 v[210:211], v[210:211], v[8:9] neg_lo:[0,1] neg_hi:[0,1]
	s_wait_dscnt 0x0
	v_pk_mul_f32 v[8:9], v[4:5], v[2:3] op_sel:[0,1]
	v_mul_f32_e32 v2, v7, v3
	s_delay_alu instid0(VALU_DEP_2) | instskip(SKIP_2) | instid1(VALU_DEP_4)
	v_pk_fma_f32 v[10:11], v[4:5], v[0:1], v[8:9] op_sel:[0,0,1] op_sel_hi:[1,1,0] neg_lo:[0,0,1] neg_hi:[0,0,1]
	v_pk_fma_f32 v[4:5], v[4:5], v[0:1], v[8:9] op_sel:[0,0,1] op_sel_hi:[1,0,0]
	v_dual_mov_b32 v4, v7 :: v_dual_mul_f32 v0, v7, v0
	v_pk_fma_f32 v[2:3], v[6:7], v[20:21], v[2:3] op_sel_hi:[1,1,0] neg_lo:[0,0,1] neg_hi:[0,0,1]
	s_delay_alu instid0(VALU_DEP_3) | instskip(NEXT) | instid1(VALU_DEP_1)
	v_dual_mov_b32 v11, v5 :: v_dual_mov_b32 v5, v6
	v_pk_add_f32 v[222:223], v[222:223], v[10:11] neg_lo:[0,1] neg_hi:[0,1]
	s_delay_alu instid0(VALU_DEP_2) | instskip(NEXT) | instid1(VALU_DEP_1)
	v_pk_fma_f32 v[0:1], v[4:5], v[20:21], v[0:1] op_sel_hi:[1,1,0]
	v_mov_b32_e32 v3, v1
	s_delay_alu instid0(VALU_DEP_1)
	v_pk_add_f32 v[224:225], v[224:225], v[2:3] neg_lo:[0,1] neg_hi:[0,1]
.LBB111_73:
	s_wait_xcnt 0x0
	s_or_b32 exec_lo, exec_lo, s1
	s_delay_alu instid0(SALU_CYCLE_1)
	s_mov_b32 s2, exec_lo
	s_wait_storecnt 0x0
	s_barrier_signal -1
	s_barrier_wait -1
	v_cmpx_eq_u32_e32 8, v166
	s_cbranch_execz .LBB111_80
; %bb.74:
	ds_store_b64 v167, v[40:41]
	ds_store_2addr_b64 v168, v[36:37], v[38:39] offset0:9 offset1:10
	ds_store_2addr_b64 v168, v[34:35], v[64:65] offset0:11 offset1:12
	;; [unrolled: 1-line block ×23, first 2 shown]
	ds_store_b64 v168, v[224:225] offset:440
	ds_load_b64 v[0:1], v167
	s_wait_dscnt 0x0
	v_cmp_neq_f32_e32 vcc_lo, 0, v0
	v_cmp_neq_f32_e64 s1, 0, v1
	s_or_b32 s1, vcc_lo, s1
	s_delay_alu instid0(SALU_CYCLE_1)
	s_and_b32 exec_lo, exec_lo, s1
	s_cbranch_execz .LBB111_80
; %bb.75:
	v_cmp_ngt_f32_e64 s1, |v0|, |v1|
                                        ; implicit-def: $vgpr2_vgpr3
	s_and_saveexec_b32 s4, s1
	s_delay_alu instid0(SALU_CYCLE_1)
	s_xor_b32 s1, exec_lo, s4
	s_cbranch_execz .LBB111_77
; %bb.76:
	v_div_scale_f32 v2, null, v1, v1, v0
	v_div_scale_f32 v5, vcc_lo, v0, v1, v0
	s_delay_alu instid0(VALU_DEP_2) | instskip(SKIP_1) | instid1(TRANS32_DEP_1)
	v_rcp_f32_e32 v3, v2
	v_nop
	v_fma_f32 v4, -v2, v3, 1.0
	s_delay_alu instid0(VALU_DEP_1) | instskip(NEXT) | instid1(VALU_DEP_1)
	v_fmac_f32_e32 v3, v4, v3
	v_mul_f32_e32 v4, v5, v3
	s_delay_alu instid0(VALU_DEP_1) | instskip(NEXT) | instid1(VALU_DEP_1)
	v_fma_f32 v6, -v2, v4, v5
	v_fmac_f32_e32 v4, v6, v3
	s_delay_alu instid0(VALU_DEP_1) | instskip(NEXT) | instid1(VALU_DEP_1)
	v_fma_f32 v2, -v2, v4, v5
	v_div_fmas_f32 v2, v2, v3, v4
	s_delay_alu instid0(VALU_DEP_1) | instskip(NEXT) | instid1(VALU_DEP_1)
	v_div_fixup_f32 v2, v2, v1, v0
	v_fmac_f32_e32 v1, v0, v2
	s_delay_alu instid0(VALU_DEP_1) | instskip(SKIP_1) | instid1(VALU_DEP_2)
	v_div_scale_f32 v0, null, v1, v1, 1.0
	v_div_scale_f32 v5, vcc_lo, 1.0, v1, 1.0
	v_rcp_f32_e32 v3, v0
	v_nop
	s_delay_alu instid0(TRANS32_DEP_1) | instskip(NEXT) | instid1(VALU_DEP_1)
	v_fma_f32 v4, -v0, v3, 1.0
	v_fmac_f32_e32 v3, v4, v3
	s_delay_alu instid0(VALU_DEP_1) | instskip(NEXT) | instid1(VALU_DEP_1)
	v_mul_f32_e32 v4, v5, v3
	v_fma_f32 v6, -v0, v4, v5
	s_delay_alu instid0(VALU_DEP_1) | instskip(NEXT) | instid1(VALU_DEP_1)
	v_fmac_f32_e32 v4, v6, v3
	v_fma_f32 v0, -v0, v4, v5
	s_delay_alu instid0(VALU_DEP_1) | instskip(NEXT) | instid1(VALU_DEP_1)
	v_div_fmas_f32 v0, v0, v3, v4
	v_div_fixup_f32 v0, v0, v1, 1.0
	s_delay_alu instid0(VALU_DEP_1)
	v_mul_f32_e32 v2, v2, v0
	v_xor_b32_e32 v3, 0x80000000, v0
                                        ; implicit-def: $vgpr0_vgpr1
.LBB111_77:
	s_and_not1_saveexec_b32 s1, s1
	s_cbranch_execz .LBB111_79
; %bb.78:
	v_div_scale_f32 v2, null, v0, v0, v1
	v_div_scale_f32 v5, vcc_lo, v1, v0, v1
	s_delay_alu instid0(VALU_DEP_2) | instskip(SKIP_1) | instid1(TRANS32_DEP_1)
	v_rcp_f32_e32 v3, v2
	v_nop
	v_fma_f32 v4, -v2, v3, 1.0
	s_delay_alu instid0(VALU_DEP_1) | instskip(NEXT) | instid1(VALU_DEP_1)
	v_fmac_f32_e32 v3, v4, v3
	v_mul_f32_e32 v4, v5, v3
	s_delay_alu instid0(VALU_DEP_1) | instskip(NEXT) | instid1(VALU_DEP_1)
	v_fma_f32 v6, -v2, v4, v5
	v_fmac_f32_e32 v4, v6, v3
	s_delay_alu instid0(VALU_DEP_1) | instskip(NEXT) | instid1(VALU_DEP_1)
	v_fma_f32 v2, -v2, v4, v5
	v_div_fmas_f32 v2, v2, v3, v4
	s_delay_alu instid0(VALU_DEP_1) | instskip(NEXT) | instid1(VALU_DEP_1)
	v_div_fixup_f32 v3, v2, v0, v1
	v_fmac_f32_e32 v0, v1, v3
	s_delay_alu instid0(VALU_DEP_1) | instskip(NEXT) | instid1(VALU_DEP_1)
	v_div_scale_f32 v1, null, v0, v0, 1.0
	v_rcp_f32_e32 v2, v1
	v_nop
	s_delay_alu instid0(TRANS32_DEP_1) | instskip(NEXT) | instid1(VALU_DEP_1)
	v_fma_f32 v4, -v1, v2, 1.0
	v_fmac_f32_e32 v2, v4, v2
	v_div_scale_f32 v4, vcc_lo, 1.0, v0, 1.0
	s_delay_alu instid0(VALU_DEP_1) | instskip(NEXT) | instid1(VALU_DEP_1)
	v_mul_f32_e32 v5, v4, v2
	v_fma_f32 v6, -v1, v5, v4
	s_delay_alu instid0(VALU_DEP_1) | instskip(NEXT) | instid1(VALU_DEP_1)
	v_fmac_f32_e32 v5, v6, v2
	v_fma_f32 v1, -v1, v5, v4
	s_delay_alu instid0(VALU_DEP_1) | instskip(NEXT) | instid1(VALU_DEP_1)
	v_div_fmas_f32 v1, v1, v2, v5
	v_div_fixup_f32 v2, v1, v0, 1.0
	s_delay_alu instid0(VALU_DEP_1)
	v_mul_f32_e64 v3, v3, -v2
.LBB111_79:
	s_or_b32 exec_lo, exec_lo, s1
	ds_store_b64 v167, v[2:3]
.LBB111_80:
	s_or_b32 exec_lo, exec_lo, s2
	s_wait_dscnt 0x0
	s_barrier_signal -1
	s_barrier_wait -1
	ds_load_b64 v[0:1], v167
	s_mov_b32 s1, exec_lo
	s_wait_dscnt 0x0
	scratch_store_b64 off, v[0:1], off offset:312 ; 8-byte Folded Spill
	s_wait_xcnt 0x0
	v_cmpx_lt_u32_e32 8, v166
	s_cbranch_execz .LBB111_82
; %bb.81:
	scratch_load_b64 v[4:5], off, off offset:312 ; 8-byte Folded Reload
	s_wait_loadcnt 0x0
	v_pk_mul_f32 v[2:3], v[4:5], v[40:41] op_sel:[1,1] op_sel_hi:[0,1]
	s_delay_alu instid0(VALU_DEP_1)
	v_pk_fma_f32 v[0:1], v[4:5], v[40:41], v[2:3] op_sel_hi:[1,0,1] neg_lo:[0,0,1] neg_hi:[0,0,1]
	v_pk_fma_f32 v[2:3], v[4:5], v[40:41], v[2:3] op_sel_hi:[1,0,1]
	ds_load_2addr_b64 v[4:7], v168 offset0:9 offset1:10
	v_dual_mov_b32 v40, v0 :: v_dual_mov_b32 v41, v3
	s_wait_dscnt 0x0
	v_pk_mul_f32 v[8:9], v[4:5], v[2:3] op_sel:[0,1]
	s_delay_alu instid0(VALU_DEP_1) | instskip(SKIP_1) | instid1(VALU_DEP_1)
	v_pk_fma_f32 v[10:11], v[4:5], v[0:1], v[8:9] op_sel:[0,0,1] op_sel_hi:[1,1,0] neg_lo:[0,0,1] neg_hi:[0,0,1]
	v_pk_fma_f32 v[4:5], v[4:5], v[0:1], v[8:9] op_sel:[0,0,1] op_sel_hi:[1,0,0]
	v_mov_b32_e32 v11, v5
	v_pk_mul_f32 v[4:5], v[6:7], v[2:3] op_sel:[0,1]
	s_delay_alu instid0(VALU_DEP_1) | instskip(SKIP_1) | instid1(VALU_DEP_1)
	v_pk_fma_f32 v[8:9], v[6:7], v[0:1], v[4:5] op_sel:[0,0,1] op_sel_hi:[1,1,0] neg_lo:[0,0,1] neg_hi:[0,0,1]
	v_pk_fma_f32 v[4:5], v[6:7], v[0:1], v[4:5] op_sel:[0,0,1] op_sel_hi:[1,0,0]
	v_mov_b32_e32 v9, v5
	ds_load_2addr_b64 v[4:7], v168 offset0:11 offset1:12
	v_pk_add_f32 v[36:37], v[36:37], v[10:11] neg_lo:[0,1] neg_hi:[0,1]
	v_pk_add_f32 v[38:39], v[38:39], v[8:9] neg_lo:[0,1] neg_hi:[0,1]
	s_wait_dscnt 0x0
	v_pk_mul_f32 v[8:9], v[4:5], v[2:3] op_sel:[0,1]
	s_delay_alu instid0(VALU_DEP_1) | instskip(SKIP_2) | instid1(VALU_DEP_2)
	v_pk_fma_f32 v[10:11], v[4:5], v[0:1], v[8:9] op_sel:[0,0,1] op_sel_hi:[1,1,0] neg_lo:[0,0,1] neg_hi:[0,0,1]
	v_pk_fma_f32 v[4:5], v[4:5], v[0:1], v[8:9] op_sel:[0,0,1] op_sel_hi:[1,0,0]
	v_dual_mul_f32 v8, v7, v3 :: v_dual_mov_b32 v4, v7
	v_dual_mov_b32 v11, v5 :: v_dual_mov_b32 v5, v6
	s_delay_alu instid0(VALU_DEP_2) | instskip(SKIP_1) | instid1(VALU_DEP_3)
	v_pk_fma_f32 v[8:9], v[6:7], v[40:41], v[8:9] op_sel_hi:[1,1,0] neg_lo:[0,0,1] neg_hi:[0,0,1]
	v_mul_f32_e32 v6, v7, v0
	v_pk_add_f32 v[34:35], v[34:35], v[10:11] neg_lo:[0,1] neg_hi:[0,1]
	s_delay_alu instid0(VALU_DEP_2) | instskip(NEXT) | instid1(VALU_DEP_1)
	v_pk_fma_f32 v[4:5], v[4:5], v[40:41], v[6:7] op_sel_hi:[1,1,0]
	v_mov_b32_e32 v9, v5
	ds_load_2addr_b64 v[4:7], v168 offset0:13 offset1:14
	v_pk_add_f32 v[64:65], v[64:65], v[8:9] neg_lo:[0,1] neg_hi:[0,1]
	s_wait_dscnt 0x0
	v_pk_mul_f32 v[8:9], v[4:5], v[2:3] op_sel:[0,1]
	s_delay_alu instid0(VALU_DEP_1) | instskip(SKIP_1) | instid1(VALU_DEP_1)
	v_pk_fma_f32 v[10:11], v[4:5], v[0:1], v[8:9] op_sel:[0,0,1] op_sel_hi:[1,1,0] neg_lo:[0,0,1] neg_hi:[0,0,1]
	v_pk_fma_f32 v[4:5], v[4:5], v[0:1], v[8:9] op_sel:[0,0,1] op_sel_hi:[1,0,0]
	v_mov_b32_e32 v11, v5
	v_pk_mul_f32 v[4:5], v[6:7], v[2:3] op_sel:[0,1]
	s_delay_alu instid0(VALU_DEP_1) | instskip(SKIP_1) | instid1(VALU_DEP_1)
	v_pk_fma_f32 v[8:9], v[6:7], v[0:1], v[4:5] op_sel:[0,0,1] op_sel_hi:[1,1,0] neg_lo:[0,0,1] neg_hi:[0,0,1]
	v_pk_fma_f32 v[4:5], v[6:7], v[0:1], v[4:5] op_sel:[0,0,1] op_sel_hi:[1,0,0]
	v_mov_b32_e32 v9, v5
	ds_load_2addr_b64 v[4:7], v168 offset0:15 offset1:16
	v_pk_add_f32 v[60:61], v[60:61], v[10:11] neg_lo:[0,1] neg_hi:[0,1]
	v_pk_add_f32 v[62:63], v[62:63], v[8:9] neg_lo:[0,1] neg_hi:[0,1]
	s_wait_dscnt 0x0
	v_pk_mul_f32 v[8:9], v[4:5], v[2:3] op_sel:[0,1]
	s_delay_alu instid0(VALU_DEP_1) | instskip(SKIP_1) | instid1(VALU_DEP_1)
	v_pk_fma_f32 v[10:11], v[4:5], v[0:1], v[8:9] op_sel:[0,0,1] op_sel_hi:[1,1,0] neg_lo:[0,0,1] neg_hi:[0,0,1]
	v_pk_fma_f32 v[4:5], v[4:5], v[0:1], v[8:9] op_sel:[0,0,1] op_sel_hi:[1,0,0]
	v_mov_b32_e32 v11, v5
	v_pk_mul_f32 v[4:5], v[6:7], v[2:3] op_sel:[0,1]
	s_delay_alu instid0(VALU_DEP_1) | instskip(SKIP_1) | instid1(VALU_DEP_1)
	v_pk_fma_f32 v[8:9], v[6:7], v[0:1], v[4:5] op_sel:[0,0,1] op_sel_hi:[1,1,0] neg_lo:[0,0,1] neg_hi:[0,0,1]
	v_pk_fma_f32 v[4:5], v[6:7], v[0:1], v[4:5] op_sel:[0,0,1] op_sel_hi:[1,0,0]
	v_mov_b32_e32 v9, v5
	ds_load_2addr_b64 v[4:7], v168 offset0:17 offset1:18
	v_pk_add_f32 v[58:59], v[58:59], v[10:11] neg_lo:[0,1] neg_hi:[0,1]
	v_pk_add_f32 v[80:81], v[80:81], v[8:9] neg_lo:[0,1] neg_hi:[0,1]
	s_wait_dscnt 0x0
	v_dual_mul_f32 v8, v5, v3 :: v_dual_mul_f32 v10, v5, v0
	s_delay_alu instid0(VALU_DEP_1) | instskip(NEXT) | instid1(VALU_DEP_2)
	v_pk_fma_f32 v[8:9], v[4:5], v[40:41], v[8:9] op_sel_hi:[1,1,0] neg_lo:[0,0,1] neg_hi:[0,0,1]
	v_pk_fma_f32 v[4:5], v[4:5], v[40:41], v[10:11] op_sel:[1,0,0] op_sel_hi:[0,1,0]
	s_delay_alu instid0(VALU_DEP_1) | instskip(SKIP_1) | instid1(VALU_DEP_2)
	v_mov_b32_e32 v9, v5
	v_pk_mul_f32 v[4:5], v[6:7], v[2:3] op_sel:[0,1]
	v_pk_add_f32 v[76:77], v[76:77], v[8:9] neg_lo:[0,1] neg_hi:[0,1]
	s_delay_alu instid0(VALU_DEP_2) | instskip(SKIP_1) | instid1(VALU_DEP_1)
	v_pk_fma_f32 v[8:9], v[6:7], v[0:1], v[4:5] op_sel:[0,0,1] op_sel_hi:[1,1,0] neg_lo:[0,0,1] neg_hi:[0,0,1]
	v_pk_fma_f32 v[4:5], v[6:7], v[0:1], v[4:5] op_sel:[0,0,1] op_sel_hi:[1,0,0]
	v_mov_b32_e32 v9, v5
	ds_load_2addr_b64 v[4:7], v168 offset0:19 offset1:20
	v_pk_add_f32 v[78:79], v[78:79], v[8:9] neg_lo:[0,1] neg_hi:[0,1]
	s_wait_dscnt 0x0
	v_pk_mul_f32 v[8:9], v[4:5], v[2:3] op_sel:[0,1]
	s_delay_alu instid0(VALU_DEP_1) | instskip(SKIP_1) | instid1(VALU_DEP_1)
	v_pk_fma_f32 v[10:11], v[4:5], v[0:1], v[8:9] op_sel:[0,0,1] op_sel_hi:[1,1,0] neg_lo:[0,0,1] neg_hi:[0,0,1]
	v_pk_fma_f32 v[4:5], v[4:5], v[0:1], v[8:9] op_sel:[0,0,1] op_sel_hi:[1,0,0]
	v_mov_b32_e32 v11, v5
	v_pk_mul_f32 v[4:5], v[6:7], v[2:3] op_sel:[0,1]
	s_delay_alu instid0(VALU_DEP_2) | instskip(NEXT) | instid1(VALU_DEP_2)
	v_pk_add_f32 v[74:75], v[74:75], v[10:11] neg_lo:[0,1] neg_hi:[0,1]
	v_pk_fma_f32 v[8:9], v[6:7], v[0:1], v[4:5] op_sel:[0,0,1] op_sel_hi:[1,1,0] neg_lo:[0,0,1] neg_hi:[0,0,1]
	v_pk_fma_f32 v[4:5], v[6:7], v[0:1], v[4:5] op_sel:[0,0,1] op_sel_hi:[1,0,0]
	s_delay_alu instid0(VALU_DEP_1) | instskip(SKIP_4) | instid1(VALU_DEP_1)
	v_mov_b32_e32 v9, v5
	ds_load_2addr_b64 v[4:7], v168 offset0:21 offset1:22
	v_pk_add_f32 v[98:99], v[98:99], v[8:9] neg_lo:[0,1] neg_hi:[0,1]
	s_wait_dscnt 0x0
	v_pk_mul_f32 v[8:9], v[4:5], v[2:3] op_sel:[0,1]
	v_pk_fma_f32 v[10:11], v[4:5], v[0:1], v[8:9] op_sel:[0,0,1] op_sel_hi:[1,1,0] neg_lo:[0,0,1] neg_hi:[0,0,1]
	v_pk_fma_f32 v[4:5], v[4:5], v[0:1], v[8:9] op_sel:[0,0,1] op_sel_hi:[1,0,0]
	v_dual_mul_f32 v8, v7, v3 :: v_dual_mov_b32 v4, v7
	s_delay_alu instid0(VALU_DEP_2) | instskip(NEXT) | instid1(VALU_DEP_2)
	v_dual_mov_b32 v11, v5 :: v_dual_mov_b32 v5, v6
	v_pk_fma_f32 v[8:9], v[6:7], v[40:41], v[8:9] op_sel_hi:[1,1,0] neg_lo:[0,0,1] neg_hi:[0,0,1]
	v_mul_f32_e32 v6, v7, v0
	s_delay_alu instid0(VALU_DEP_3) | instskip(NEXT) | instid1(VALU_DEP_2)
	v_pk_add_f32 v[94:95], v[94:95], v[10:11] neg_lo:[0,1] neg_hi:[0,1]
	v_pk_fma_f32 v[4:5], v[4:5], v[40:41], v[6:7] op_sel_hi:[1,1,0]
	s_delay_alu instid0(VALU_DEP_1) | instskip(SKIP_4) | instid1(VALU_DEP_1)
	v_mov_b32_e32 v9, v5
	ds_load_2addr_b64 v[4:7], v168 offset0:23 offset1:24
	v_pk_add_f32 v[96:97], v[96:97], v[8:9] neg_lo:[0,1] neg_hi:[0,1]
	s_wait_dscnt 0x0
	v_pk_mul_f32 v[8:9], v[4:5], v[2:3] op_sel:[0,1]
	v_pk_fma_f32 v[10:11], v[4:5], v[0:1], v[8:9] op_sel:[0,0,1] op_sel_hi:[1,1,0] neg_lo:[0,0,1] neg_hi:[0,0,1]
	v_pk_fma_f32 v[4:5], v[4:5], v[0:1], v[8:9] op_sel:[0,0,1] op_sel_hi:[1,0,0]
	s_delay_alu instid0(VALU_DEP_1) | instskip(SKIP_1) | instid1(VALU_DEP_1)
	v_mov_b32_e32 v11, v5
	v_pk_mul_f32 v[4:5], v[6:7], v[2:3] op_sel:[0,1]
	v_pk_fma_f32 v[8:9], v[6:7], v[0:1], v[4:5] op_sel:[0,0,1] op_sel_hi:[1,1,0] neg_lo:[0,0,1] neg_hi:[0,0,1]
	v_pk_fma_f32 v[4:5], v[6:7], v[0:1], v[4:5] op_sel:[0,0,1] op_sel_hi:[1,0,0]
	s_delay_alu instid0(VALU_DEP_1)
	v_mov_b32_e32 v9, v5
	ds_load_2addr_b64 v[4:7], v168 offset0:25 offset1:26
	v_pk_add_f32 v[92:93], v[92:93], v[10:11] neg_lo:[0,1] neg_hi:[0,1]
	v_pk_add_f32 v[114:115], v[114:115], v[8:9] neg_lo:[0,1] neg_hi:[0,1]
	s_wait_dscnt 0x0
	v_pk_mul_f32 v[8:9], v[4:5], v[2:3] op_sel:[0,1]
	s_delay_alu instid0(VALU_DEP_1) | instskip(SKIP_1) | instid1(VALU_DEP_1)
	v_pk_fma_f32 v[10:11], v[4:5], v[0:1], v[8:9] op_sel:[0,0,1] op_sel_hi:[1,1,0] neg_lo:[0,0,1] neg_hi:[0,0,1]
	v_pk_fma_f32 v[4:5], v[4:5], v[0:1], v[8:9] op_sel:[0,0,1] op_sel_hi:[1,0,0]
	v_mov_b32_e32 v11, v5
	v_pk_mul_f32 v[4:5], v[6:7], v[2:3] op_sel:[0,1]
	s_delay_alu instid0(VALU_DEP_1) | instskip(SKIP_1) | instid1(VALU_DEP_1)
	v_pk_fma_f32 v[8:9], v[6:7], v[0:1], v[4:5] op_sel:[0,0,1] op_sel_hi:[1,1,0] neg_lo:[0,0,1] neg_hi:[0,0,1]
	v_pk_fma_f32 v[4:5], v[6:7], v[0:1], v[4:5] op_sel:[0,0,1] op_sel_hi:[1,0,0]
	v_mov_b32_e32 v9, v5
	ds_load_2addr_b64 v[4:7], v168 offset0:27 offset1:28
	v_pk_add_f32 v[110:111], v[110:111], v[10:11] neg_lo:[0,1] neg_hi:[0,1]
	v_pk_add_f32 v[112:113], v[112:113], v[8:9] neg_lo:[0,1] neg_hi:[0,1]
	s_wait_dscnt 0x0
	v_dual_mul_f32 v8, v5, v3 :: v_dual_mul_f32 v10, v5, v0
	s_delay_alu instid0(VALU_DEP_1) | instskip(NEXT) | instid1(VALU_DEP_2)
	v_pk_fma_f32 v[8:9], v[4:5], v[40:41], v[8:9] op_sel_hi:[1,1,0] neg_lo:[0,0,1] neg_hi:[0,0,1]
	v_pk_fma_f32 v[4:5], v[4:5], v[40:41], v[10:11] op_sel:[1,0,0] op_sel_hi:[0,1,0]
	s_delay_alu instid0(VALU_DEP_1) | instskip(SKIP_1) | instid1(VALU_DEP_2)
	v_mov_b32_e32 v9, v5
	v_pk_mul_f32 v[4:5], v[6:7], v[2:3] op_sel:[0,1]
	v_pk_add_f32 v[108:109], v[108:109], v[8:9] neg_lo:[0,1] neg_hi:[0,1]
	s_delay_alu instid0(VALU_DEP_2) | instskip(SKIP_1) | instid1(VALU_DEP_1)
	v_pk_fma_f32 v[8:9], v[6:7], v[0:1], v[4:5] op_sel:[0,0,1] op_sel_hi:[1,1,0] neg_lo:[0,0,1] neg_hi:[0,0,1]
	v_pk_fma_f32 v[4:5], v[6:7], v[0:1], v[4:5] op_sel:[0,0,1] op_sel_hi:[1,0,0]
	v_mov_b32_e32 v9, v5
	ds_load_2addr_b64 v[4:7], v168 offset0:29 offset1:30
	v_pk_add_f32 v[130:131], v[130:131], v[8:9] neg_lo:[0,1] neg_hi:[0,1]
	s_wait_dscnt 0x0
	v_pk_mul_f32 v[8:9], v[4:5], v[2:3] op_sel:[0,1]
	s_delay_alu instid0(VALU_DEP_1) | instskip(SKIP_1) | instid1(VALU_DEP_1)
	v_pk_fma_f32 v[10:11], v[4:5], v[0:1], v[8:9] op_sel:[0,0,1] op_sel_hi:[1,1,0] neg_lo:[0,0,1] neg_hi:[0,0,1]
	v_pk_fma_f32 v[4:5], v[4:5], v[0:1], v[8:9] op_sel:[0,0,1] op_sel_hi:[1,0,0]
	v_mov_b32_e32 v11, v5
	v_pk_mul_f32 v[4:5], v[6:7], v[2:3] op_sel:[0,1]
	s_delay_alu instid0(VALU_DEP_2) | instskip(NEXT) | instid1(VALU_DEP_2)
	v_pk_add_f32 v[126:127], v[126:127], v[10:11] neg_lo:[0,1] neg_hi:[0,1]
	v_pk_fma_f32 v[8:9], v[6:7], v[0:1], v[4:5] op_sel:[0,0,1] op_sel_hi:[1,1,0] neg_lo:[0,0,1] neg_hi:[0,0,1]
	v_pk_fma_f32 v[4:5], v[6:7], v[0:1], v[4:5] op_sel:[0,0,1] op_sel_hi:[1,0,0]
	s_delay_alu instid0(VALU_DEP_1) | instskip(SKIP_4) | instid1(VALU_DEP_1)
	v_mov_b32_e32 v9, v5
	ds_load_2addr_b64 v[4:7], v168 offset0:31 offset1:32
	v_pk_add_f32 v[128:129], v[128:129], v[8:9] neg_lo:[0,1] neg_hi:[0,1]
	s_wait_dscnt 0x0
	v_pk_mul_f32 v[8:9], v[4:5], v[2:3] op_sel:[0,1]
	v_pk_fma_f32 v[10:11], v[4:5], v[0:1], v[8:9] op_sel:[0,0,1] op_sel_hi:[1,1,0] neg_lo:[0,0,1] neg_hi:[0,0,1]
	v_pk_fma_f32 v[4:5], v[4:5], v[0:1], v[8:9] op_sel:[0,0,1] op_sel_hi:[1,0,0]
	v_dual_mul_f32 v8, v7, v3 :: v_dual_mov_b32 v4, v7
	s_delay_alu instid0(VALU_DEP_2) | instskip(NEXT) | instid1(VALU_DEP_2)
	v_dual_mov_b32 v11, v5 :: v_dual_mov_b32 v5, v6
	v_pk_fma_f32 v[8:9], v[6:7], v[40:41], v[8:9] op_sel_hi:[1,1,0] neg_lo:[0,0,1] neg_hi:[0,0,1]
	v_mul_f32_e32 v6, v7, v0
	s_delay_alu instid0(VALU_DEP_3) | instskip(NEXT) | instid1(VALU_DEP_2)
	v_pk_add_f32 v[124:125], v[124:125], v[10:11] neg_lo:[0,1] neg_hi:[0,1]
	v_pk_fma_f32 v[4:5], v[4:5], v[40:41], v[6:7] op_sel_hi:[1,1,0]
	s_delay_alu instid0(VALU_DEP_1) | instskip(SKIP_4) | instid1(VALU_DEP_1)
	v_mov_b32_e32 v9, v5
	ds_load_2addr_b64 v[4:7], v168 offset0:33 offset1:34
	v_pk_add_f32 v[146:147], v[146:147], v[8:9] neg_lo:[0,1] neg_hi:[0,1]
	s_wait_dscnt 0x0
	v_pk_mul_f32 v[8:9], v[4:5], v[2:3] op_sel:[0,1]
	v_pk_fma_f32 v[10:11], v[4:5], v[0:1], v[8:9] op_sel:[0,0,1] op_sel_hi:[1,1,0] neg_lo:[0,0,1] neg_hi:[0,0,1]
	v_pk_fma_f32 v[4:5], v[4:5], v[0:1], v[8:9] op_sel:[0,0,1] op_sel_hi:[1,0,0]
	s_delay_alu instid0(VALU_DEP_1) | instskip(SKIP_1) | instid1(VALU_DEP_1)
	v_mov_b32_e32 v11, v5
	v_pk_mul_f32 v[4:5], v[6:7], v[2:3] op_sel:[0,1]
	v_pk_fma_f32 v[8:9], v[6:7], v[0:1], v[4:5] op_sel:[0,0,1] op_sel_hi:[1,1,0] neg_lo:[0,0,1] neg_hi:[0,0,1]
	v_pk_fma_f32 v[4:5], v[6:7], v[0:1], v[4:5] op_sel:[0,0,1] op_sel_hi:[1,0,0]
	s_delay_alu instid0(VALU_DEP_1)
	v_mov_b32_e32 v9, v5
	ds_load_2addr_b64 v[4:7], v168 offset0:35 offset1:36
	v_pk_add_f32 v[142:143], v[142:143], v[10:11] neg_lo:[0,1] neg_hi:[0,1]
	v_pk_add_f32 v[144:145], v[144:145], v[8:9] neg_lo:[0,1] neg_hi:[0,1]
	s_wait_dscnt 0x0
	v_pk_mul_f32 v[8:9], v[4:5], v[2:3] op_sel:[0,1]
	s_delay_alu instid0(VALU_DEP_1) | instskip(SKIP_1) | instid1(VALU_DEP_1)
	v_pk_fma_f32 v[10:11], v[4:5], v[0:1], v[8:9] op_sel:[0,0,1] op_sel_hi:[1,1,0] neg_lo:[0,0,1] neg_hi:[0,0,1]
	v_pk_fma_f32 v[4:5], v[4:5], v[0:1], v[8:9] op_sel:[0,0,1] op_sel_hi:[1,0,0]
	v_mov_b32_e32 v11, v5
	v_pk_mul_f32 v[4:5], v[6:7], v[2:3] op_sel:[0,1]
	s_delay_alu instid0(VALU_DEP_1) | instskip(SKIP_1) | instid1(VALU_DEP_1)
	v_pk_fma_f32 v[8:9], v[6:7], v[0:1], v[4:5] op_sel:[0,0,1] op_sel_hi:[1,1,0] neg_lo:[0,0,1] neg_hi:[0,0,1]
	v_pk_fma_f32 v[4:5], v[6:7], v[0:1], v[4:5] op_sel:[0,0,1] op_sel_hi:[1,0,0]
	v_mov_b32_e32 v9, v5
	ds_load_2addr_b64 v[4:7], v168 offset0:37 offset1:38
	v_pk_add_f32 v[140:141], v[140:141], v[10:11] neg_lo:[0,1] neg_hi:[0,1]
	v_pk_add_f32 v[162:163], v[162:163], v[8:9] neg_lo:[0,1] neg_hi:[0,1]
	s_wait_dscnt 0x0
	v_dual_mul_f32 v8, v5, v3 :: v_dual_mul_f32 v10, v5, v0
	s_delay_alu instid0(VALU_DEP_1) | instskip(NEXT) | instid1(VALU_DEP_2)
	v_pk_fma_f32 v[8:9], v[4:5], v[40:41], v[8:9] op_sel_hi:[1,1,0] neg_lo:[0,0,1] neg_hi:[0,0,1]
	v_pk_fma_f32 v[4:5], v[4:5], v[40:41], v[10:11] op_sel:[1,0,0] op_sel_hi:[0,1,0]
	s_delay_alu instid0(VALU_DEP_1) | instskip(SKIP_1) | instid1(VALU_DEP_2)
	v_mov_b32_e32 v9, v5
	v_pk_mul_f32 v[4:5], v[6:7], v[2:3] op_sel:[0,1]
	v_pk_add_f32 v[158:159], v[158:159], v[8:9] neg_lo:[0,1] neg_hi:[0,1]
	s_delay_alu instid0(VALU_DEP_2) | instskip(SKIP_1) | instid1(VALU_DEP_1)
	v_pk_fma_f32 v[8:9], v[6:7], v[0:1], v[4:5] op_sel:[0,0,1] op_sel_hi:[1,1,0] neg_lo:[0,0,1] neg_hi:[0,0,1]
	v_pk_fma_f32 v[4:5], v[6:7], v[0:1], v[4:5] op_sel:[0,0,1] op_sel_hi:[1,0,0]
	v_mov_b32_e32 v9, v5
	ds_load_2addr_b64 v[4:7], v168 offset0:39 offset1:40
	v_pk_add_f32 v[160:161], v[160:161], v[8:9] neg_lo:[0,1] neg_hi:[0,1]
	s_wait_dscnt 0x0
	v_pk_mul_f32 v[8:9], v[4:5], v[2:3] op_sel:[0,1]
	s_delay_alu instid0(VALU_DEP_1) | instskip(SKIP_1) | instid1(VALU_DEP_1)
	v_pk_fma_f32 v[10:11], v[4:5], v[0:1], v[8:9] op_sel:[0,0,1] op_sel_hi:[1,1,0] neg_lo:[0,0,1] neg_hi:[0,0,1]
	v_pk_fma_f32 v[4:5], v[4:5], v[0:1], v[8:9] op_sel:[0,0,1] op_sel_hi:[1,0,0]
	v_mov_b32_e32 v11, v5
	v_pk_mul_f32 v[4:5], v[6:7], v[2:3] op_sel:[0,1]
	s_delay_alu instid0(VALU_DEP_2) | instskip(NEXT) | instid1(VALU_DEP_2)
	v_pk_add_f32 v[156:157], v[156:157], v[10:11] neg_lo:[0,1] neg_hi:[0,1]
	v_pk_fma_f32 v[8:9], v[6:7], v[0:1], v[4:5] op_sel:[0,0,1] op_sel_hi:[1,1,0] neg_lo:[0,0,1] neg_hi:[0,0,1]
	v_pk_fma_f32 v[4:5], v[6:7], v[0:1], v[4:5] op_sel:[0,0,1] op_sel_hi:[1,0,0]
	s_delay_alu instid0(VALU_DEP_1) | instskip(SKIP_4) | instid1(VALU_DEP_1)
	v_mov_b32_e32 v9, v5
	ds_load_2addr_b64 v[4:7], v168 offset0:41 offset1:42
	v_pk_add_f32 v[178:179], v[178:179], v[8:9] neg_lo:[0,1] neg_hi:[0,1]
	s_wait_dscnt 0x0
	v_pk_mul_f32 v[8:9], v[4:5], v[2:3] op_sel:[0,1]
	v_pk_fma_f32 v[10:11], v[4:5], v[0:1], v[8:9] op_sel:[0,0,1] op_sel_hi:[1,1,0] neg_lo:[0,0,1] neg_hi:[0,0,1]
	v_pk_fma_f32 v[4:5], v[4:5], v[0:1], v[8:9] op_sel:[0,0,1] op_sel_hi:[1,0,0]
	v_dual_mul_f32 v8, v7, v3 :: v_dual_mov_b32 v4, v7
	s_delay_alu instid0(VALU_DEP_2) | instskip(NEXT) | instid1(VALU_DEP_2)
	v_dual_mov_b32 v11, v5 :: v_dual_mov_b32 v5, v6
	v_pk_fma_f32 v[8:9], v[6:7], v[40:41], v[8:9] op_sel_hi:[1,1,0] neg_lo:[0,0,1] neg_hi:[0,0,1]
	v_mul_f32_e32 v6, v7, v0
	s_delay_alu instid0(VALU_DEP_3) | instskip(NEXT) | instid1(VALU_DEP_2)
	v_pk_add_f32 v[174:175], v[174:175], v[10:11] neg_lo:[0,1] neg_hi:[0,1]
	v_pk_fma_f32 v[4:5], v[4:5], v[40:41], v[6:7] op_sel_hi:[1,1,0]
	s_delay_alu instid0(VALU_DEP_1) | instskip(SKIP_4) | instid1(VALU_DEP_1)
	v_mov_b32_e32 v9, v5
	ds_load_2addr_b64 v[4:7], v168 offset0:43 offset1:44
	v_pk_add_f32 v[176:177], v[176:177], v[8:9] neg_lo:[0,1] neg_hi:[0,1]
	s_wait_dscnt 0x0
	v_pk_mul_f32 v[8:9], v[4:5], v[2:3] op_sel:[0,1]
	v_pk_fma_f32 v[10:11], v[4:5], v[0:1], v[8:9] op_sel:[0,0,1] op_sel_hi:[1,1,0] neg_lo:[0,0,1] neg_hi:[0,0,1]
	v_pk_fma_f32 v[4:5], v[4:5], v[0:1], v[8:9] op_sel:[0,0,1] op_sel_hi:[1,0,0]
	s_delay_alu instid0(VALU_DEP_1) | instskip(SKIP_1) | instid1(VALU_DEP_1)
	v_mov_b32_e32 v11, v5
	v_pk_mul_f32 v[4:5], v[6:7], v[2:3] op_sel:[0,1]
	v_pk_fma_f32 v[8:9], v[6:7], v[0:1], v[4:5] op_sel:[0,0,1] op_sel_hi:[1,1,0] neg_lo:[0,0,1] neg_hi:[0,0,1]
	v_pk_fma_f32 v[4:5], v[6:7], v[0:1], v[4:5] op_sel:[0,0,1] op_sel_hi:[1,0,0]
	s_delay_alu instid0(VALU_DEP_1)
	v_mov_b32_e32 v9, v5
	ds_load_2addr_b64 v[4:7], v168 offset0:45 offset1:46
	v_pk_add_f32 v[172:173], v[172:173], v[10:11] neg_lo:[0,1] neg_hi:[0,1]
	v_pk_add_f32 v[198:199], v[198:199], v[8:9] neg_lo:[0,1] neg_hi:[0,1]
	s_wait_dscnt 0x0
	v_pk_mul_f32 v[8:9], v[4:5], v[2:3] op_sel:[0,1]
	s_delay_alu instid0(VALU_DEP_1) | instskip(SKIP_1) | instid1(VALU_DEP_1)
	v_pk_fma_f32 v[10:11], v[4:5], v[0:1], v[8:9] op_sel:[0,0,1] op_sel_hi:[1,1,0] neg_lo:[0,0,1] neg_hi:[0,0,1]
	v_pk_fma_f32 v[4:5], v[4:5], v[0:1], v[8:9] op_sel:[0,0,1] op_sel_hi:[1,0,0]
	v_mov_b32_e32 v11, v5
	v_pk_mul_f32 v[4:5], v[6:7], v[2:3] op_sel:[0,1]
	s_delay_alu instid0(VALU_DEP_1) | instskip(SKIP_1) | instid1(VALU_DEP_1)
	v_pk_fma_f32 v[8:9], v[6:7], v[0:1], v[4:5] op_sel:[0,0,1] op_sel_hi:[1,1,0] neg_lo:[0,0,1] neg_hi:[0,0,1]
	v_pk_fma_f32 v[4:5], v[6:7], v[0:1], v[4:5] op_sel:[0,0,1] op_sel_hi:[1,0,0]
	v_mov_b32_e32 v9, v5
	ds_load_2addr_b64 v[4:7], v168 offset0:47 offset1:48
	v_pk_add_f32 v[194:195], v[194:195], v[10:11] neg_lo:[0,1] neg_hi:[0,1]
	v_pk_add_f32 v[196:197], v[196:197], v[8:9] neg_lo:[0,1] neg_hi:[0,1]
	s_wait_dscnt 0x0
	v_dual_mul_f32 v8, v5, v3 :: v_dual_mul_f32 v10, v5, v0
	s_delay_alu instid0(VALU_DEP_1) | instskip(NEXT) | instid1(VALU_DEP_2)
	v_pk_fma_f32 v[8:9], v[4:5], v[40:41], v[8:9] op_sel_hi:[1,1,0] neg_lo:[0,0,1] neg_hi:[0,0,1]
	v_pk_fma_f32 v[4:5], v[4:5], v[40:41], v[10:11] op_sel:[1,0,0] op_sel_hi:[0,1,0]
	s_delay_alu instid0(VALU_DEP_1) | instskip(SKIP_1) | instid1(VALU_DEP_2)
	v_mov_b32_e32 v9, v5
	v_pk_mul_f32 v[4:5], v[6:7], v[2:3] op_sel:[0,1]
	v_pk_add_f32 v[192:193], v[192:193], v[8:9] neg_lo:[0,1] neg_hi:[0,1]
	s_delay_alu instid0(VALU_DEP_2) | instskip(SKIP_1) | instid1(VALU_DEP_1)
	v_pk_fma_f32 v[8:9], v[6:7], v[0:1], v[4:5] op_sel:[0,0,1] op_sel_hi:[1,1,0] neg_lo:[0,0,1] neg_hi:[0,0,1]
	v_pk_fma_f32 v[4:5], v[6:7], v[0:1], v[4:5] op_sel:[0,0,1] op_sel_hi:[1,0,0]
	v_mov_b32_e32 v9, v5
	ds_load_2addr_b64 v[4:7], v168 offset0:49 offset1:50
	v_pk_add_f32 v[220:221], v[220:221], v[8:9] neg_lo:[0,1] neg_hi:[0,1]
	s_wait_dscnt 0x0
	v_pk_mul_f32 v[8:9], v[4:5], v[2:3] op_sel:[0,1]
	s_delay_alu instid0(VALU_DEP_1) | instskip(SKIP_1) | instid1(VALU_DEP_1)
	v_pk_fma_f32 v[10:11], v[4:5], v[0:1], v[8:9] op_sel:[0,0,1] op_sel_hi:[1,1,0] neg_lo:[0,0,1] neg_hi:[0,0,1]
	v_pk_fma_f32 v[4:5], v[4:5], v[0:1], v[8:9] op_sel:[0,0,1] op_sel_hi:[1,0,0]
	v_mov_b32_e32 v11, v5
	v_pk_mul_f32 v[4:5], v[6:7], v[2:3] op_sel:[0,1]
	s_delay_alu instid0(VALU_DEP_2) | instskip(NEXT) | instid1(VALU_DEP_2)
	v_pk_add_f32 v[214:215], v[214:215], v[10:11] neg_lo:[0,1] neg_hi:[0,1]
	v_pk_fma_f32 v[8:9], v[6:7], v[0:1], v[4:5] op_sel:[0,0,1] op_sel_hi:[1,1,0] neg_lo:[0,0,1] neg_hi:[0,0,1]
	v_pk_fma_f32 v[4:5], v[6:7], v[0:1], v[4:5] op_sel:[0,0,1] op_sel_hi:[1,0,0]
	s_delay_alu instid0(VALU_DEP_1) | instskip(SKIP_4) | instid1(VALU_DEP_1)
	v_mov_b32_e32 v9, v5
	ds_load_2addr_b64 v[4:7], v168 offset0:51 offset1:52
	v_pk_add_f32 v[218:219], v[218:219], v[8:9] neg_lo:[0,1] neg_hi:[0,1]
	s_wait_dscnt 0x0
	v_pk_mul_f32 v[8:9], v[4:5], v[2:3] op_sel:[0,1]
	v_pk_fma_f32 v[10:11], v[4:5], v[0:1], v[8:9] op_sel:[0,0,1] op_sel_hi:[1,1,0] neg_lo:[0,0,1] neg_hi:[0,0,1]
	v_pk_fma_f32 v[4:5], v[4:5], v[0:1], v[8:9] op_sel:[0,0,1] op_sel_hi:[1,0,0]
	v_dual_mul_f32 v8, v7, v3 :: v_dual_mov_b32 v4, v7
	s_delay_alu instid0(VALU_DEP_2) | instskip(NEXT) | instid1(VALU_DEP_2)
	v_dual_mov_b32 v11, v5 :: v_dual_mov_b32 v5, v6
	v_pk_fma_f32 v[8:9], v[6:7], v[40:41], v[8:9] op_sel_hi:[1,1,0] neg_lo:[0,0,1] neg_hi:[0,0,1]
	v_mul_f32_e32 v6, v7, v0
	s_delay_alu instid0(VALU_DEP_3) | instskip(NEXT) | instid1(VALU_DEP_2)
	v_pk_add_f32 v[212:213], v[212:213], v[10:11] neg_lo:[0,1] neg_hi:[0,1]
	v_pk_fma_f32 v[4:5], v[4:5], v[40:41], v[6:7] op_sel_hi:[1,1,0]
	s_delay_alu instid0(VALU_DEP_1) | instskip(SKIP_4) | instid1(VALU_DEP_1)
	v_mov_b32_e32 v9, v5
	ds_load_2addr_b64 v[4:7], v168 offset0:53 offset1:54
	v_pk_add_f32 v[216:217], v[216:217], v[8:9] neg_lo:[0,1] neg_hi:[0,1]
	s_wait_dscnt 0x0
	v_pk_mul_f32 v[8:9], v[4:5], v[2:3] op_sel:[0,1]
	v_pk_fma_f32 v[10:11], v[4:5], v[0:1], v[8:9] op_sel:[0,0,1] op_sel_hi:[1,1,0] neg_lo:[0,0,1] neg_hi:[0,0,1]
	v_pk_fma_f32 v[4:5], v[4:5], v[0:1], v[8:9] op_sel:[0,0,1] op_sel_hi:[1,0,0]
	s_delay_alu instid0(VALU_DEP_1) | instskip(SKIP_1) | instid1(VALU_DEP_1)
	v_mov_b32_e32 v11, v5
	v_pk_mul_f32 v[4:5], v[6:7], v[2:3] op_sel:[0,1]
	v_pk_fma_f32 v[8:9], v[6:7], v[0:1], v[4:5] op_sel:[0,0,1] op_sel_hi:[1,1,0] neg_lo:[0,0,1] neg_hi:[0,0,1]
	v_pk_fma_f32 v[4:5], v[6:7], v[0:1], v[4:5] op_sel:[0,0,1] op_sel_hi:[1,0,0]
	s_delay_alu instid0(VALU_DEP_1)
	v_mov_b32_e32 v9, v5
	ds_load_b64 v[4:5], v168 offset:440
	v_pk_add_f32 v[210:211], v[210:211], v[10:11] neg_lo:[0,1] neg_hi:[0,1]
	v_pk_add_f32 v[222:223], v[222:223], v[8:9] neg_lo:[0,1] neg_hi:[0,1]
	s_wait_dscnt 0x0
	v_pk_mul_f32 v[2:3], v[4:5], v[2:3] op_sel:[0,1]
	s_delay_alu instid0(VALU_DEP_1) | instskip(SKIP_1) | instid1(VALU_DEP_1)
	v_pk_fma_f32 v[6:7], v[4:5], v[0:1], v[2:3] op_sel:[0,0,1] op_sel_hi:[1,1,0] neg_lo:[0,0,1] neg_hi:[0,0,1]
	v_pk_fma_f32 v[0:1], v[4:5], v[0:1], v[2:3] op_sel:[0,0,1] op_sel_hi:[1,0,0]
	v_mov_b32_e32 v7, v1
	s_delay_alu instid0(VALU_DEP_1)
	v_pk_add_f32 v[224:225], v[224:225], v[6:7] neg_lo:[0,1] neg_hi:[0,1]
.LBB111_82:
	s_wait_xcnt 0x0
	s_or_b32 exec_lo, exec_lo, s1
	s_delay_alu instid0(SALU_CYCLE_1)
	s_mov_b32 s2, exec_lo
	s_wait_storecnt 0x0
	s_barrier_signal -1
	s_barrier_wait -1
	v_cmpx_eq_u32_e32 9, v166
	s_cbranch_execz .LBB111_89
; %bb.83:
	v_dual_mov_b32 v0, v38 :: v_dual_mov_b32 v1, v39
	v_dual_mov_b32 v2, v34 :: v_dual_mov_b32 v3, v35
	ds_store_b64 v167, v[36:37]
	ds_store_2addr_b64 v168, v[0:1], v[2:3] offset0:10 offset1:11
	v_dual_mov_b32 v0, v64 :: v_dual_mov_b32 v1, v65
	v_dual_mov_b32 v2, v60 :: v_dual_mov_b32 v3, v61
	ds_store_2addr_b64 v168, v[0:1], v[2:3] offset0:12 offset1:13
	v_dual_mov_b32 v0, v62 :: v_dual_mov_b32 v1, v63
	v_dual_mov_b32 v2, v58 :: v_dual_mov_b32 v3, v59
	;; [unrolled: 3-line block ×21, first 2 shown]
	ds_store_2addr_b64 v168, v[0:1], v[2:3] offset0:52 offset1:53
	v_dual_mov_b32 v0, v222 :: v_dual_mov_b32 v1, v223
	ds_store_2addr_b64 v168, v[0:1], v[224:225] offset0:54 offset1:55
	ds_load_b64 v[0:1], v167
	s_wait_dscnt 0x0
	v_cmp_neq_f32_e32 vcc_lo, 0, v0
	v_cmp_neq_f32_e64 s1, 0, v1
	s_or_b32 s1, vcc_lo, s1
	s_delay_alu instid0(SALU_CYCLE_1)
	s_and_b32 exec_lo, exec_lo, s1
	s_cbranch_execz .LBB111_89
; %bb.84:
	v_cmp_ngt_f32_e64 s1, |v0|, |v1|
                                        ; implicit-def: $vgpr2_vgpr3
	s_and_saveexec_b32 s4, s1
	s_delay_alu instid0(SALU_CYCLE_1)
	s_xor_b32 s1, exec_lo, s4
	s_cbranch_execz .LBB111_86
; %bb.85:
	v_div_scale_f32 v2, null, v1, v1, v0
	v_div_scale_f32 v5, vcc_lo, v0, v1, v0
	s_delay_alu instid0(VALU_DEP_2) | instskip(SKIP_1) | instid1(TRANS32_DEP_1)
	v_rcp_f32_e32 v3, v2
	v_nop
	v_fma_f32 v4, -v2, v3, 1.0
	s_delay_alu instid0(VALU_DEP_1) | instskip(NEXT) | instid1(VALU_DEP_1)
	v_fmac_f32_e32 v3, v4, v3
	v_mul_f32_e32 v4, v5, v3
	s_delay_alu instid0(VALU_DEP_1) | instskip(NEXT) | instid1(VALU_DEP_1)
	v_fma_f32 v6, -v2, v4, v5
	v_fmac_f32_e32 v4, v6, v3
	s_delay_alu instid0(VALU_DEP_1) | instskip(NEXT) | instid1(VALU_DEP_1)
	v_fma_f32 v2, -v2, v4, v5
	v_div_fmas_f32 v2, v2, v3, v4
	s_delay_alu instid0(VALU_DEP_1) | instskip(NEXT) | instid1(VALU_DEP_1)
	v_div_fixup_f32 v2, v2, v1, v0
	v_fmac_f32_e32 v1, v0, v2
	s_delay_alu instid0(VALU_DEP_1) | instskip(SKIP_1) | instid1(VALU_DEP_2)
	v_div_scale_f32 v0, null, v1, v1, 1.0
	v_div_scale_f32 v5, vcc_lo, 1.0, v1, 1.0
	v_rcp_f32_e32 v3, v0
	v_nop
	s_delay_alu instid0(TRANS32_DEP_1) | instskip(NEXT) | instid1(VALU_DEP_1)
	v_fma_f32 v4, -v0, v3, 1.0
	v_fmac_f32_e32 v3, v4, v3
	s_delay_alu instid0(VALU_DEP_1) | instskip(NEXT) | instid1(VALU_DEP_1)
	v_mul_f32_e32 v4, v5, v3
	v_fma_f32 v6, -v0, v4, v5
	s_delay_alu instid0(VALU_DEP_1) | instskip(NEXT) | instid1(VALU_DEP_1)
	v_fmac_f32_e32 v4, v6, v3
	v_fma_f32 v0, -v0, v4, v5
	s_delay_alu instid0(VALU_DEP_1) | instskip(NEXT) | instid1(VALU_DEP_1)
	v_div_fmas_f32 v0, v0, v3, v4
	v_div_fixup_f32 v0, v0, v1, 1.0
	s_delay_alu instid0(VALU_DEP_1)
	v_mul_f32_e32 v2, v2, v0
	v_xor_b32_e32 v3, 0x80000000, v0
                                        ; implicit-def: $vgpr0_vgpr1
.LBB111_86:
	s_and_not1_saveexec_b32 s1, s1
	s_cbranch_execz .LBB111_88
; %bb.87:
	v_div_scale_f32 v2, null, v0, v0, v1
	v_div_scale_f32 v5, vcc_lo, v1, v0, v1
	s_delay_alu instid0(VALU_DEP_2) | instskip(SKIP_1) | instid1(TRANS32_DEP_1)
	v_rcp_f32_e32 v3, v2
	v_nop
	v_fma_f32 v4, -v2, v3, 1.0
	s_delay_alu instid0(VALU_DEP_1) | instskip(NEXT) | instid1(VALU_DEP_1)
	v_fmac_f32_e32 v3, v4, v3
	v_mul_f32_e32 v4, v5, v3
	s_delay_alu instid0(VALU_DEP_1) | instskip(NEXT) | instid1(VALU_DEP_1)
	v_fma_f32 v6, -v2, v4, v5
	v_fmac_f32_e32 v4, v6, v3
	s_delay_alu instid0(VALU_DEP_1) | instskip(NEXT) | instid1(VALU_DEP_1)
	v_fma_f32 v2, -v2, v4, v5
	v_div_fmas_f32 v2, v2, v3, v4
	s_delay_alu instid0(VALU_DEP_1) | instskip(NEXT) | instid1(VALU_DEP_1)
	v_div_fixup_f32 v3, v2, v0, v1
	v_fmac_f32_e32 v0, v1, v3
	s_delay_alu instid0(VALU_DEP_1) | instskip(NEXT) | instid1(VALU_DEP_1)
	v_div_scale_f32 v1, null, v0, v0, 1.0
	v_rcp_f32_e32 v2, v1
	v_nop
	s_delay_alu instid0(TRANS32_DEP_1) | instskip(NEXT) | instid1(VALU_DEP_1)
	v_fma_f32 v4, -v1, v2, 1.0
	v_fmac_f32_e32 v2, v4, v2
	v_div_scale_f32 v4, vcc_lo, 1.0, v0, 1.0
	s_delay_alu instid0(VALU_DEP_1) | instskip(NEXT) | instid1(VALU_DEP_1)
	v_mul_f32_e32 v5, v4, v2
	v_fma_f32 v6, -v1, v5, v4
	s_delay_alu instid0(VALU_DEP_1) | instskip(NEXT) | instid1(VALU_DEP_1)
	v_fmac_f32_e32 v5, v6, v2
	v_fma_f32 v1, -v1, v5, v4
	s_delay_alu instid0(VALU_DEP_1) | instskip(NEXT) | instid1(VALU_DEP_1)
	v_div_fmas_f32 v1, v1, v2, v5
	v_div_fixup_f32 v2, v1, v0, 1.0
	s_delay_alu instid0(VALU_DEP_1)
	v_mul_f32_e64 v3, v3, -v2
.LBB111_88:
	s_or_b32 exec_lo, exec_lo, s1
	ds_store_b64 v167, v[2:3]
.LBB111_89:
	s_or_b32 exec_lo, exec_lo, s2
	s_wait_dscnt 0x0
	s_barrier_signal -1
	s_barrier_wait -1
	ds_load_b64 v[0:1], v167
	s_mov_b32 s1, exec_lo
	s_wait_dscnt 0x0
	scratch_store_b64 off, v[0:1], off offset:320 ; 8-byte Folded Spill
	s_wait_xcnt 0x0
	v_cmpx_lt_u32_e32 9, v166
	s_cbranch_execz .LBB111_91
; %bb.90:
	scratch_load_b64 v[4:5], off, off offset:320 ; 8-byte Folded Reload
	s_wait_loadcnt 0x0
	v_pk_mul_f32 v[2:3], v[4:5], v[36:37] op_sel:[1,1] op_sel_hi:[0,1]
	s_delay_alu instid0(VALU_DEP_1)
	v_pk_fma_f32 v[0:1], v[4:5], v[36:37], v[2:3] op_sel_hi:[1,0,1] neg_lo:[0,0,1] neg_hi:[0,0,1]
	v_pk_fma_f32 v[2:3], v[4:5], v[36:37], v[2:3] op_sel_hi:[1,0,1]
	ds_load_2addr_b64 v[4:7], v168 offset0:10 offset1:11
	v_dual_mov_b32 v36, v0 :: v_dual_mov_b32 v37, v3
	s_wait_dscnt 0x0
	v_pk_mul_f32 v[8:9], v[4:5], v[2:3] op_sel:[0,1]
	s_delay_alu instid0(VALU_DEP_1) | instskip(SKIP_1) | instid1(VALU_DEP_1)
	v_pk_fma_f32 v[10:11], v[4:5], v[0:1], v[8:9] op_sel:[0,0,1] op_sel_hi:[1,1,0] neg_lo:[0,0,1] neg_hi:[0,0,1]
	v_pk_fma_f32 v[4:5], v[4:5], v[0:1], v[8:9] op_sel:[0,0,1] op_sel_hi:[1,0,0]
	v_mov_b32_e32 v11, v5
	v_pk_mul_f32 v[4:5], v[6:7], v[2:3] op_sel:[0,1]
	s_delay_alu instid0(VALU_DEP_1) | instskip(SKIP_1) | instid1(VALU_DEP_1)
	v_pk_fma_f32 v[8:9], v[6:7], v[0:1], v[4:5] op_sel:[0,0,1] op_sel_hi:[1,1,0] neg_lo:[0,0,1] neg_hi:[0,0,1]
	v_pk_fma_f32 v[4:5], v[6:7], v[0:1], v[4:5] op_sel:[0,0,1] op_sel_hi:[1,0,0]
	v_mov_b32_e32 v9, v5
	ds_load_2addr_b64 v[4:7], v168 offset0:12 offset1:13
	v_pk_add_f32 v[38:39], v[38:39], v[10:11] neg_lo:[0,1] neg_hi:[0,1]
	v_pk_add_f32 v[34:35], v[34:35], v[8:9] neg_lo:[0,1] neg_hi:[0,1]
	s_wait_dscnt 0x0
	v_pk_mul_f32 v[8:9], v[4:5], v[2:3] op_sel:[0,1]
	s_delay_alu instid0(VALU_DEP_1) | instskip(SKIP_2) | instid1(VALU_DEP_2)
	v_pk_fma_f32 v[10:11], v[4:5], v[0:1], v[8:9] op_sel:[0,0,1] op_sel_hi:[1,1,0] neg_lo:[0,0,1] neg_hi:[0,0,1]
	v_pk_fma_f32 v[4:5], v[4:5], v[0:1], v[8:9] op_sel:[0,0,1] op_sel_hi:[1,0,0]
	v_dual_mul_f32 v8, v7, v3 :: v_dual_mov_b32 v4, v7
	v_dual_mov_b32 v11, v5 :: v_dual_mov_b32 v5, v6
	s_delay_alu instid0(VALU_DEP_2) | instskip(SKIP_1) | instid1(VALU_DEP_3)
	v_pk_fma_f32 v[8:9], v[6:7], v[36:37], v[8:9] op_sel_hi:[1,1,0] neg_lo:[0,0,1] neg_hi:[0,0,1]
	v_mul_f32_e32 v6, v7, v0
	v_pk_add_f32 v[64:65], v[64:65], v[10:11] neg_lo:[0,1] neg_hi:[0,1]
	s_delay_alu instid0(VALU_DEP_2) | instskip(NEXT) | instid1(VALU_DEP_1)
	v_pk_fma_f32 v[4:5], v[4:5], v[36:37], v[6:7] op_sel_hi:[1,1,0]
	v_mov_b32_e32 v9, v5
	ds_load_2addr_b64 v[4:7], v168 offset0:14 offset1:15
	v_pk_add_f32 v[60:61], v[60:61], v[8:9] neg_lo:[0,1] neg_hi:[0,1]
	s_wait_dscnt 0x0
	v_pk_mul_f32 v[8:9], v[4:5], v[2:3] op_sel:[0,1]
	s_delay_alu instid0(VALU_DEP_1) | instskip(SKIP_1) | instid1(VALU_DEP_1)
	v_pk_fma_f32 v[10:11], v[4:5], v[0:1], v[8:9] op_sel:[0,0,1] op_sel_hi:[1,1,0] neg_lo:[0,0,1] neg_hi:[0,0,1]
	v_pk_fma_f32 v[4:5], v[4:5], v[0:1], v[8:9] op_sel:[0,0,1] op_sel_hi:[1,0,0]
	v_mov_b32_e32 v11, v5
	v_pk_mul_f32 v[4:5], v[6:7], v[2:3] op_sel:[0,1]
	s_delay_alu instid0(VALU_DEP_1) | instskip(SKIP_1) | instid1(VALU_DEP_1)
	v_pk_fma_f32 v[8:9], v[6:7], v[0:1], v[4:5] op_sel:[0,0,1] op_sel_hi:[1,1,0] neg_lo:[0,0,1] neg_hi:[0,0,1]
	v_pk_fma_f32 v[4:5], v[6:7], v[0:1], v[4:5] op_sel:[0,0,1] op_sel_hi:[1,0,0]
	v_mov_b32_e32 v9, v5
	ds_load_2addr_b64 v[4:7], v168 offset0:16 offset1:17
	v_pk_add_f32 v[62:63], v[62:63], v[10:11] neg_lo:[0,1] neg_hi:[0,1]
	v_pk_add_f32 v[58:59], v[58:59], v[8:9] neg_lo:[0,1] neg_hi:[0,1]
	s_wait_dscnt 0x0
	v_pk_mul_f32 v[8:9], v[4:5], v[2:3] op_sel:[0,1]
	s_delay_alu instid0(VALU_DEP_1) | instskip(SKIP_1) | instid1(VALU_DEP_1)
	v_pk_fma_f32 v[10:11], v[4:5], v[0:1], v[8:9] op_sel:[0,0,1] op_sel_hi:[1,1,0] neg_lo:[0,0,1] neg_hi:[0,0,1]
	v_pk_fma_f32 v[4:5], v[4:5], v[0:1], v[8:9] op_sel:[0,0,1] op_sel_hi:[1,0,0]
	v_mov_b32_e32 v11, v5
	v_pk_mul_f32 v[4:5], v[6:7], v[2:3] op_sel:[0,1]
	s_delay_alu instid0(VALU_DEP_1) | instskip(SKIP_1) | instid1(VALU_DEP_1)
	v_pk_fma_f32 v[8:9], v[6:7], v[0:1], v[4:5] op_sel:[0,0,1] op_sel_hi:[1,1,0] neg_lo:[0,0,1] neg_hi:[0,0,1]
	v_pk_fma_f32 v[4:5], v[6:7], v[0:1], v[4:5] op_sel:[0,0,1] op_sel_hi:[1,0,0]
	v_mov_b32_e32 v9, v5
	ds_load_2addr_b64 v[4:7], v168 offset0:18 offset1:19
	v_pk_add_f32 v[80:81], v[80:81], v[10:11] neg_lo:[0,1] neg_hi:[0,1]
	v_pk_add_f32 v[76:77], v[76:77], v[8:9] neg_lo:[0,1] neg_hi:[0,1]
	s_wait_dscnt 0x0
	v_dual_mul_f32 v8, v5, v3 :: v_dual_mul_f32 v10, v5, v0
	s_delay_alu instid0(VALU_DEP_1) | instskip(NEXT) | instid1(VALU_DEP_2)
	v_pk_fma_f32 v[8:9], v[4:5], v[36:37], v[8:9] op_sel_hi:[1,1,0] neg_lo:[0,0,1] neg_hi:[0,0,1]
	v_pk_fma_f32 v[4:5], v[4:5], v[36:37], v[10:11] op_sel:[1,0,0] op_sel_hi:[0,1,0]
	s_delay_alu instid0(VALU_DEP_1) | instskip(SKIP_1) | instid1(VALU_DEP_2)
	v_mov_b32_e32 v9, v5
	v_pk_mul_f32 v[4:5], v[6:7], v[2:3] op_sel:[0,1]
	v_pk_add_f32 v[78:79], v[78:79], v[8:9] neg_lo:[0,1] neg_hi:[0,1]
	s_delay_alu instid0(VALU_DEP_2) | instskip(SKIP_1) | instid1(VALU_DEP_1)
	v_pk_fma_f32 v[8:9], v[6:7], v[0:1], v[4:5] op_sel:[0,0,1] op_sel_hi:[1,1,0] neg_lo:[0,0,1] neg_hi:[0,0,1]
	v_pk_fma_f32 v[4:5], v[6:7], v[0:1], v[4:5] op_sel:[0,0,1] op_sel_hi:[1,0,0]
	v_mov_b32_e32 v9, v5
	ds_load_2addr_b64 v[4:7], v168 offset0:20 offset1:21
	v_pk_add_f32 v[74:75], v[74:75], v[8:9] neg_lo:[0,1] neg_hi:[0,1]
	s_wait_dscnt 0x0
	v_pk_mul_f32 v[8:9], v[4:5], v[2:3] op_sel:[0,1]
	s_delay_alu instid0(VALU_DEP_1) | instskip(SKIP_1) | instid1(VALU_DEP_1)
	v_pk_fma_f32 v[10:11], v[4:5], v[0:1], v[8:9] op_sel:[0,0,1] op_sel_hi:[1,1,0] neg_lo:[0,0,1] neg_hi:[0,0,1]
	v_pk_fma_f32 v[4:5], v[4:5], v[0:1], v[8:9] op_sel:[0,0,1] op_sel_hi:[1,0,0]
	v_mov_b32_e32 v11, v5
	v_pk_mul_f32 v[4:5], v[6:7], v[2:3] op_sel:[0,1]
	s_delay_alu instid0(VALU_DEP_2) | instskip(NEXT) | instid1(VALU_DEP_2)
	v_pk_add_f32 v[98:99], v[98:99], v[10:11] neg_lo:[0,1] neg_hi:[0,1]
	v_pk_fma_f32 v[8:9], v[6:7], v[0:1], v[4:5] op_sel:[0,0,1] op_sel_hi:[1,1,0] neg_lo:[0,0,1] neg_hi:[0,0,1]
	v_pk_fma_f32 v[4:5], v[6:7], v[0:1], v[4:5] op_sel:[0,0,1] op_sel_hi:[1,0,0]
	s_delay_alu instid0(VALU_DEP_1) | instskip(SKIP_4) | instid1(VALU_DEP_1)
	v_mov_b32_e32 v9, v5
	ds_load_2addr_b64 v[4:7], v168 offset0:22 offset1:23
	v_pk_add_f32 v[94:95], v[94:95], v[8:9] neg_lo:[0,1] neg_hi:[0,1]
	s_wait_dscnt 0x0
	v_pk_mul_f32 v[8:9], v[4:5], v[2:3] op_sel:[0,1]
	v_pk_fma_f32 v[10:11], v[4:5], v[0:1], v[8:9] op_sel:[0,0,1] op_sel_hi:[1,1,0] neg_lo:[0,0,1] neg_hi:[0,0,1]
	v_pk_fma_f32 v[4:5], v[4:5], v[0:1], v[8:9] op_sel:[0,0,1] op_sel_hi:[1,0,0]
	v_dual_mul_f32 v8, v7, v3 :: v_dual_mov_b32 v4, v7
	s_delay_alu instid0(VALU_DEP_2) | instskip(NEXT) | instid1(VALU_DEP_2)
	v_dual_mov_b32 v11, v5 :: v_dual_mov_b32 v5, v6
	v_pk_fma_f32 v[8:9], v[6:7], v[36:37], v[8:9] op_sel_hi:[1,1,0] neg_lo:[0,0,1] neg_hi:[0,0,1]
	v_mul_f32_e32 v6, v7, v0
	s_delay_alu instid0(VALU_DEP_3) | instskip(NEXT) | instid1(VALU_DEP_2)
	v_pk_add_f32 v[96:97], v[96:97], v[10:11] neg_lo:[0,1] neg_hi:[0,1]
	v_pk_fma_f32 v[4:5], v[4:5], v[36:37], v[6:7] op_sel_hi:[1,1,0]
	s_delay_alu instid0(VALU_DEP_1) | instskip(SKIP_4) | instid1(VALU_DEP_1)
	v_mov_b32_e32 v9, v5
	ds_load_2addr_b64 v[4:7], v168 offset0:24 offset1:25
	v_pk_add_f32 v[92:93], v[92:93], v[8:9] neg_lo:[0,1] neg_hi:[0,1]
	s_wait_dscnt 0x0
	v_pk_mul_f32 v[8:9], v[4:5], v[2:3] op_sel:[0,1]
	v_pk_fma_f32 v[10:11], v[4:5], v[0:1], v[8:9] op_sel:[0,0,1] op_sel_hi:[1,1,0] neg_lo:[0,0,1] neg_hi:[0,0,1]
	v_pk_fma_f32 v[4:5], v[4:5], v[0:1], v[8:9] op_sel:[0,0,1] op_sel_hi:[1,0,0]
	s_delay_alu instid0(VALU_DEP_1) | instskip(SKIP_1) | instid1(VALU_DEP_1)
	v_mov_b32_e32 v11, v5
	v_pk_mul_f32 v[4:5], v[6:7], v[2:3] op_sel:[0,1]
	v_pk_fma_f32 v[8:9], v[6:7], v[0:1], v[4:5] op_sel:[0,0,1] op_sel_hi:[1,1,0] neg_lo:[0,0,1] neg_hi:[0,0,1]
	v_pk_fma_f32 v[4:5], v[6:7], v[0:1], v[4:5] op_sel:[0,0,1] op_sel_hi:[1,0,0]
	s_delay_alu instid0(VALU_DEP_1)
	v_mov_b32_e32 v9, v5
	ds_load_2addr_b64 v[4:7], v168 offset0:26 offset1:27
	v_pk_add_f32 v[114:115], v[114:115], v[10:11] neg_lo:[0,1] neg_hi:[0,1]
	v_pk_add_f32 v[110:111], v[110:111], v[8:9] neg_lo:[0,1] neg_hi:[0,1]
	s_wait_dscnt 0x0
	v_pk_mul_f32 v[8:9], v[4:5], v[2:3] op_sel:[0,1]
	s_delay_alu instid0(VALU_DEP_1) | instskip(SKIP_1) | instid1(VALU_DEP_1)
	v_pk_fma_f32 v[10:11], v[4:5], v[0:1], v[8:9] op_sel:[0,0,1] op_sel_hi:[1,1,0] neg_lo:[0,0,1] neg_hi:[0,0,1]
	v_pk_fma_f32 v[4:5], v[4:5], v[0:1], v[8:9] op_sel:[0,0,1] op_sel_hi:[1,0,0]
	v_mov_b32_e32 v11, v5
	v_pk_mul_f32 v[4:5], v[6:7], v[2:3] op_sel:[0,1]
	s_delay_alu instid0(VALU_DEP_1) | instskip(SKIP_1) | instid1(VALU_DEP_1)
	v_pk_fma_f32 v[8:9], v[6:7], v[0:1], v[4:5] op_sel:[0,0,1] op_sel_hi:[1,1,0] neg_lo:[0,0,1] neg_hi:[0,0,1]
	v_pk_fma_f32 v[4:5], v[6:7], v[0:1], v[4:5] op_sel:[0,0,1] op_sel_hi:[1,0,0]
	v_mov_b32_e32 v9, v5
	ds_load_2addr_b64 v[4:7], v168 offset0:28 offset1:29
	v_pk_add_f32 v[112:113], v[112:113], v[10:11] neg_lo:[0,1] neg_hi:[0,1]
	v_pk_add_f32 v[108:109], v[108:109], v[8:9] neg_lo:[0,1] neg_hi:[0,1]
	s_wait_dscnt 0x0
	v_dual_mul_f32 v8, v5, v3 :: v_dual_mul_f32 v10, v5, v0
	s_delay_alu instid0(VALU_DEP_1) | instskip(NEXT) | instid1(VALU_DEP_2)
	v_pk_fma_f32 v[8:9], v[4:5], v[36:37], v[8:9] op_sel_hi:[1,1,0] neg_lo:[0,0,1] neg_hi:[0,0,1]
	v_pk_fma_f32 v[4:5], v[4:5], v[36:37], v[10:11] op_sel:[1,0,0] op_sel_hi:[0,1,0]
	s_delay_alu instid0(VALU_DEP_1) | instskip(SKIP_1) | instid1(VALU_DEP_2)
	v_mov_b32_e32 v9, v5
	v_pk_mul_f32 v[4:5], v[6:7], v[2:3] op_sel:[0,1]
	v_pk_add_f32 v[130:131], v[130:131], v[8:9] neg_lo:[0,1] neg_hi:[0,1]
	s_delay_alu instid0(VALU_DEP_2) | instskip(SKIP_1) | instid1(VALU_DEP_1)
	v_pk_fma_f32 v[8:9], v[6:7], v[0:1], v[4:5] op_sel:[0,0,1] op_sel_hi:[1,1,0] neg_lo:[0,0,1] neg_hi:[0,0,1]
	v_pk_fma_f32 v[4:5], v[6:7], v[0:1], v[4:5] op_sel:[0,0,1] op_sel_hi:[1,0,0]
	v_mov_b32_e32 v9, v5
	ds_load_2addr_b64 v[4:7], v168 offset0:30 offset1:31
	v_pk_add_f32 v[126:127], v[126:127], v[8:9] neg_lo:[0,1] neg_hi:[0,1]
	s_wait_dscnt 0x0
	v_pk_mul_f32 v[8:9], v[4:5], v[2:3] op_sel:[0,1]
	s_delay_alu instid0(VALU_DEP_1) | instskip(SKIP_1) | instid1(VALU_DEP_1)
	v_pk_fma_f32 v[10:11], v[4:5], v[0:1], v[8:9] op_sel:[0,0,1] op_sel_hi:[1,1,0] neg_lo:[0,0,1] neg_hi:[0,0,1]
	v_pk_fma_f32 v[4:5], v[4:5], v[0:1], v[8:9] op_sel:[0,0,1] op_sel_hi:[1,0,0]
	v_mov_b32_e32 v11, v5
	v_pk_mul_f32 v[4:5], v[6:7], v[2:3] op_sel:[0,1]
	s_delay_alu instid0(VALU_DEP_2) | instskip(NEXT) | instid1(VALU_DEP_2)
	v_pk_add_f32 v[128:129], v[128:129], v[10:11] neg_lo:[0,1] neg_hi:[0,1]
	v_pk_fma_f32 v[8:9], v[6:7], v[0:1], v[4:5] op_sel:[0,0,1] op_sel_hi:[1,1,0] neg_lo:[0,0,1] neg_hi:[0,0,1]
	v_pk_fma_f32 v[4:5], v[6:7], v[0:1], v[4:5] op_sel:[0,0,1] op_sel_hi:[1,0,0]
	s_delay_alu instid0(VALU_DEP_1) | instskip(SKIP_4) | instid1(VALU_DEP_1)
	v_mov_b32_e32 v9, v5
	ds_load_2addr_b64 v[4:7], v168 offset0:32 offset1:33
	v_pk_add_f32 v[124:125], v[124:125], v[8:9] neg_lo:[0,1] neg_hi:[0,1]
	s_wait_dscnt 0x0
	v_pk_mul_f32 v[8:9], v[4:5], v[2:3] op_sel:[0,1]
	v_pk_fma_f32 v[10:11], v[4:5], v[0:1], v[8:9] op_sel:[0,0,1] op_sel_hi:[1,1,0] neg_lo:[0,0,1] neg_hi:[0,0,1]
	v_pk_fma_f32 v[4:5], v[4:5], v[0:1], v[8:9] op_sel:[0,0,1] op_sel_hi:[1,0,0]
	v_dual_mul_f32 v8, v7, v3 :: v_dual_mov_b32 v4, v7
	s_delay_alu instid0(VALU_DEP_2) | instskip(NEXT) | instid1(VALU_DEP_2)
	v_dual_mov_b32 v11, v5 :: v_dual_mov_b32 v5, v6
	v_pk_fma_f32 v[8:9], v[6:7], v[36:37], v[8:9] op_sel_hi:[1,1,0] neg_lo:[0,0,1] neg_hi:[0,0,1]
	v_mul_f32_e32 v6, v7, v0
	s_delay_alu instid0(VALU_DEP_3) | instskip(NEXT) | instid1(VALU_DEP_2)
	v_pk_add_f32 v[146:147], v[146:147], v[10:11] neg_lo:[0,1] neg_hi:[0,1]
	v_pk_fma_f32 v[4:5], v[4:5], v[36:37], v[6:7] op_sel_hi:[1,1,0]
	s_delay_alu instid0(VALU_DEP_1) | instskip(SKIP_4) | instid1(VALU_DEP_1)
	v_mov_b32_e32 v9, v5
	ds_load_2addr_b64 v[4:7], v168 offset0:34 offset1:35
	v_pk_add_f32 v[142:143], v[142:143], v[8:9] neg_lo:[0,1] neg_hi:[0,1]
	s_wait_dscnt 0x0
	v_pk_mul_f32 v[8:9], v[4:5], v[2:3] op_sel:[0,1]
	v_pk_fma_f32 v[10:11], v[4:5], v[0:1], v[8:9] op_sel:[0,0,1] op_sel_hi:[1,1,0] neg_lo:[0,0,1] neg_hi:[0,0,1]
	v_pk_fma_f32 v[4:5], v[4:5], v[0:1], v[8:9] op_sel:[0,0,1] op_sel_hi:[1,0,0]
	s_delay_alu instid0(VALU_DEP_1) | instskip(SKIP_1) | instid1(VALU_DEP_1)
	v_mov_b32_e32 v11, v5
	v_pk_mul_f32 v[4:5], v[6:7], v[2:3] op_sel:[0,1]
	v_pk_fma_f32 v[8:9], v[6:7], v[0:1], v[4:5] op_sel:[0,0,1] op_sel_hi:[1,1,0] neg_lo:[0,0,1] neg_hi:[0,0,1]
	v_pk_fma_f32 v[4:5], v[6:7], v[0:1], v[4:5] op_sel:[0,0,1] op_sel_hi:[1,0,0]
	s_delay_alu instid0(VALU_DEP_1)
	v_mov_b32_e32 v9, v5
	ds_load_2addr_b64 v[4:7], v168 offset0:36 offset1:37
	v_pk_add_f32 v[144:145], v[144:145], v[10:11] neg_lo:[0,1] neg_hi:[0,1]
	v_pk_add_f32 v[140:141], v[140:141], v[8:9] neg_lo:[0,1] neg_hi:[0,1]
	s_wait_dscnt 0x0
	v_pk_mul_f32 v[8:9], v[4:5], v[2:3] op_sel:[0,1]
	s_delay_alu instid0(VALU_DEP_1) | instskip(SKIP_1) | instid1(VALU_DEP_1)
	v_pk_fma_f32 v[10:11], v[4:5], v[0:1], v[8:9] op_sel:[0,0,1] op_sel_hi:[1,1,0] neg_lo:[0,0,1] neg_hi:[0,0,1]
	v_pk_fma_f32 v[4:5], v[4:5], v[0:1], v[8:9] op_sel:[0,0,1] op_sel_hi:[1,0,0]
	v_mov_b32_e32 v11, v5
	v_pk_mul_f32 v[4:5], v[6:7], v[2:3] op_sel:[0,1]
	s_delay_alu instid0(VALU_DEP_1) | instskip(SKIP_1) | instid1(VALU_DEP_1)
	v_pk_fma_f32 v[8:9], v[6:7], v[0:1], v[4:5] op_sel:[0,0,1] op_sel_hi:[1,1,0] neg_lo:[0,0,1] neg_hi:[0,0,1]
	v_pk_fma_f32 v[4:5], v[6:7], v[0:1], v[4:5] op_sel:[0,0,1] op_sel_hi:[1,0,0]
	v_mov_b32_e32 v9, v5
	ds_load_2addr_b64 v[4:7], v168 offset0:38 offset1:39
	v_pk_add_f32 v[162:163], v[162:163], v[10:11] neg_lo:[0,1] neg_hi:[0,1]
	v_pk_add_f32 v[158:159], v[158:159], v[8:9] neg_lo:[0,1] neg_hi:[0,1]
	s_wait_dscnt 0x0
	v_dual_mul_f32 v8, v5, v3 :: v_dual_mul_f32 v10, v5, v0
	s_delay_alu instid0(VALU_DEP_1) | instskip(NEXT) | instid1(VALU_DEP_2)
	v_pk_fma_f32 v[8:9], v[4:5], v[36:37], v[8:9] op_sel_hi:[1,1,0] neg_lo:[0,0,1] neg_hi:[0,0,1]
	v_pk_fma_f32 v[4:5], v[4:5], v[36:37], v[10:11] op_sel:[1,0,0] op_sel_hi:[0,1,0]
	s_delay_alu instid0(VALU_DEP_1) | instskip(SKIP_1) | instid1(VALU_DEP_2)
	v_mov_b32_e32 v9, v5
	v_pk_mul_f32 v[4:5], v[6:7], v[2:3] op_sel:[0,1]
	v_pk_add_f32 v[160:161], v[160:161], v[8:9] neg_lo:[0,1] neg_hi:[0,1]
	s_delay_alu instid0(VALU_DEP_2) | instskip(SKIP_1) | instid1(VALU_DEP_1)
	v_pk_fma_f32 v[8:9], v[6:7], v[0:1], v[4:5] op_sel:[0,0,1] op_sel_hi:[1,1,0] neg_lo:[0,0,1] neg_hi:[0,0,1]
	v_pk_fma_f32 v[4:5], v[6:7], v[0:1], v[4:5] op_sel:[0,0,1] op_sel_hi:[1,0,0]
	v_mov_b32_e32 v9, v5
	ds_load_2addr_b64 v[4:7], v168 offset0:40 offset1:41
	v_pk_add_f32 v[156:157], v[156:157], v[8:9] neg_lo:[0,1] neg_hi:[0,1]
	s_wait_dscnt 0x0
	v_pk_mul_f32 v[8:9], v[4:5], v[2:3] op_sel:[0,1]
	s_delay_alu instid0(VALU_DEP_1) | instskip(SKIP_1) | instid1(VALU_DEP_1)
	v_pk_fma_f32 v[10:11], v[4:5], v[0:1], v[8:9] op_sel:[0,0,1] op_sel_hi:[1,1,0] neg_lo:[0,0,1] neg_hi:[0,0,1]
	v_pk_fma_f32 v[4:5], v[4:5], v[0:1], v[8:9] op_sel:[0,0,1] op_sel_hi:[1,0,0]
	v_mov_b32_e32 v11, v5
	v_pk_mul_f32 v[4:5], v[6:7], v[2:3] op_sel:[0,1]
	s_delay_alu instid0(VALU_DEP_2) | instskip(NEXT) | instid1(VALU_DEP_2)
	v_pk_add_f32 v[178:179], v[178:179], v[10:11] neg_lo:[0,1] neg_hi:[0,1]
	v_pk_fma_f32 v[8:9], v[6:7], v[0:1], v[4:5] op_sel:[0,0,1] op_sel_hi:[1,1,0] neg_lo:[0,0,1] neg_hi:[0,0,1]
	v_pk_fma_f32 v[4:5], v[6:7], v[0:1], v[4:5] op_sel:[0,0,1] op_sel_hi:[1,0,0]
	s_delay_alu instid0(VALU_DEP_1) | instskip(SKIP_4) | instid1(VALU_DEP_1)
	v_mov_b32_e32 v9, v5
	ds_load_2addr_b64 v[4:7], v168 offset0:42 offset1:43
	v_pk_add_f32 v[174:175], v[174:175], v[8:9] neg_lo:[0,1] neg_hi:[0,1]
	s_wait_dscnt 0x0
	v_pk_mul_f32 v[8:9], v[4:5], v[2:3] op_sel:[0,1]
	v_pk_fma_f32 v[10:11], v[4:5], v[0:1], v[8:9] op_sel:[0,0,1] op_sel_hi:[1,1,0] neg_lo:[0,0,1] neg_hi:[0,0,1]
	v_pk_fma_f32 v[4:5], v[4:5], v[0:1], v[8:9] op_sel:[0,0,1] op_sel_hi:[1,0,0]
	v_dual_mul_f32 v8, v7, v3 :: v_dual_mov_b32 v4, v7
	s_delay_alu instid0(VALU_DEP_2) | instskip(NEXT) | instid1(VALU_DEP_2)
	v_dual_mov_b32 v11, v5 :: v_dual_mov_b32 v5, v6
	v_pk_fma_f32 v[8:9], v[6:7], v[36:37], v[8:9] op_sel_hi:[1,1,0] neg_lo:[0,0,1] neg_hi:[0,0,1]
	v_mul_f32_e32 v6, v7, v0
	s_delay_alu instid0(VALU_DEP_3) | instskip(NEXT) | instid1(VALU_DEP_2)
	v_pk_add_f32 v[176:177], v[176:177], v[10:11] neg_lo:[0,1] neg_hi:[0,1]
	v_pk_fma_f32 v[4:5], v[4:5], v[36:37], v[6:7] op_sel_hi:[1,1,0]
	s_delay_alu instid0(VALU_DEP_1) | instskip(SKIP_4) | instid1(VALU_DEP_1)
	v_mov_b32_e32 v9, v5
	ds_load_2addr_b64 v[4:7], v168 offset0:44 offset1:45
	v_pk_add_f32 v[172:173], v[172:173], v[8:9] neg_lo:[0,1] neg_hi:[0,1]
	s_wait_dscnt 0x0
	v_pk_mul_f32 v[8:9], v[4:5], v[2:3] op_sel:[0,1]
	v_pk_fma_f32 v[10:11], v[4:5], v[0:1], v[8:9] op_sel:[0,0,1] op_sel_hi:[1,1,0] neg_lo:[0,0,1] neg_hi:[0,0,1]
	v_pk_fma_f32 v[4:5], v[4:5], v[0:1], v[8:9] op_sel:[0,0,1] op_sel_hi:[1,0,0]
	s_delay_alu instid0(VALU_DEP_1) | instskip(SKIP_1) | instid1(VALU_DEP_1)
	v_mov_b32_e32 v11, v5
	v_pk_mul_f32 v[4:5], v[6:7], v[2:3] op_sel:[0,1]
	v_pk_fma_f32 v[8:9], v[6:7], v[0:1], v[4:5] op_sel:[0,0,1] op_sel_hi:[1,1,0] neg_lo:[0,0,1] neg_hi:[0,0,1]
	v_pk_fma_f32 v[4:5], v[6:7], v[0:1], v[4:5] op_sel:[0,0,1] op_sel_hi:[1,0,0]
	s_delay_alu instid0(VALU_DEP_1)
	v_mov_b32_e32 v9, v5
	ds_load_2addr_b64 v[4:7], v168 offset0:46 offset1:47
	v_pk_add_f32 v[198:199], v[198:199], v[10:11] neg_lo:[0,1] neg_hi:[0,1]
	v_pk_add_f32 v[194:195], v[194:195], v[8:9] neg_lo:[0,1] neg_hi:[0,1]
	s_wait_dscnt 0x0
	v_pk_mul_f32 v[8:9], v[4:5], v[2:3] op_sel:[0,1]
	s_delay_alu instid0(VALU_DEP_1) | instskip(SKIP_1) | instid1(VALU_DEP_1)
	v_pk_fma_f32 v[10:11], v[4:5], v[0:1], v[8:9] op_sel:[0,0,1] op_sel_hi:[1,1,0] neg_lo:[0,0,1] neg_hi:[0,0,1]
	v_pk_fma_f32 v[4:5], v[4:5], v[0:1], v[8:9] op_sel:[0,0,1] op_sel_hi:[1,0,0]
	v_mov_b32_e32 v11, v5
	v_pk_mul_f32 v[4:5], v[6:7], v[2:3] op_sel:[0,1]
	s_delay_alu instid0(VALU_DEP_1) | instskip(SKIP_1) | instid1(VALU_DEP_1)
	v_pk_fma_f32 v[8:9], v[6:7], v[0:1], v[4:5] op_sel:[0,0,1] op_sel_hi:[1,1,0] neg_lo:[0,0,1] neg_hi:[0,0,1]
	v_pk_fma_f32 v[4:5], v[6:7], v[0:1], v[4:5] op_sel:[0,0,1] op_sel_hi:[1,0,0]
	v_mov_b32_e32 v9, v5
	ds_load_2addr_b64 v[4:7], v168 offset0:48 offset1:49
	v_pk_add_f32 v[196:197], v[196:197], v[10:11] neg_lo:[0,1] neg_hi:[0,1]
	v_pk_add_f32 v[192:193], v[192:193], v[8:9] neg_lo:[0,1] neg_hi:[0,1]
	s_wait_dscnt 0x0
	v_dual_mul_f32 v8, v5, v3 :: v_dual_mul_f32 v10, v5, v0
	s_delay_alu instid0(VALU_DEP_1) | instskip(NEXT) | instid1(VALU_DEP_2)
	v_pk_fma_f32 v[8:9], v[4:5], v[36:37], v[8:9] op_sel_hi:[1,1,0] neg_lo:[0,0,1] neg_hi:[0,0,1]
	v_pk_fma_f32 v[4:5], v[4:5], v[36:37], v[10:11] op_sel:[1,0,0] op_sel_hi:[0,1,0]
	s_delay_alu instid0(VALU_DEP_1) | instskip(SKIP_1) | instid1(VALU_DEP_2)
	v_mov_b32_e32 v9, v5
	v_pk_mul_f32 v[4:5], v[6:7], v[2:3] op_sel:[0,1]
	v_pk_add_f32 v[220:221], v[220:221], v[8:9] neg_lo:[0,1] neg_hi:[0,1]
	s_delay_alu instid0(VALU_DEP_2) | instskip(SKIP_1) | instid1(VALU_DEP_1)
	v_pk_fma_f32 v[8:9], v[6:7], v[0:1], v[4:5] op_sel:[0,0,1] op_sel_hi:[1,1,0] neg_lo:[0,0,1] neg_hi:[0,0,1]
	v_pk_fma_f32 v[4:5], v[6:7], v[0:1], v[4:5] op_sel:[0,0,1] op_sel_hi:[1,0,0]
	v_mov_b32_e32 v9, v5
	ds_load_2addr_b64 v[4:7], v168 offset0:50 offset1:51
	v_pk_add_f32 v[214:215], v[214:215], v[8:9] neg_lo:[0,1] neg_hi:[0,1]
	s_wait_dscnt 0x0
	v_pk_mul_f32 v[8:9], v[4:5], v[2:3] op_sel:[0,1]
	s_delay_alu instid0(VALU_DEP_1) | instskip(SKIP_1) | instid1(VALU_DEP_1)
	v_pk_fma_f32 v[10:11], v[4:5], v[0:1], v[8:9] op_sel:[0,0,1] op_sel_hi:[1,1,0] neg_lo:[0,0,1] neg_hi:[0,0,1]
	v_pk_fma_f32 v[4:5], v[4:5], v[0:1], v[8:9] op_sel:[0,0,1] op_sel_hi:[1,0,0]
	v_mov_b32_e32 v11, v5
	v_pk_mul_f32 v[4:5], v[6:7], v[2:3] op_sel:[0,1]
	s_delay_alu instid0(VALU_DEP_2) | instskip(NEXT) | instid1(VALU_DEP_2)
	v_pk_add_f32 v[218:219], v[218:219], v[10:11] neg_lo:[0,1] neg_hi:[0,1]
	v_pk_fma_f32 v[8:9], v[6:7], v[0:1], v[4:5] op_sel:[0,0,1] op_sel_hi:[1,1,0] neg_lo:[0,0,1] neg_hi:[0,0,1]
	v_pk_fma_f32 v[4:5], v[6:7], v[0:1], v[4:5] op_sel:[0,0,1] op_sel_hi:[1,0,0]
	s_delay_alu instid0(VALU_DEP_1) | instskip(SKIP_4) | instid1(VALU_DEP_1)
	v_mov_b32_e32 v9, v5
	ds_load_2addr_b64 v[4:7], v168 offset0:52 offset1:53
	v_pk_add_f32 v[212:213], v[212:213], v[8:9] neg_lo:[0,1] neg_hi:[0,1]
	s_wait_dscnt 0x0
	v_pk_mul_f32 v[8:9], v[4:5], v[2:3] op_sel:[0,1]
	v_pk_fma_f32 v[10:11], v[4:5], v[0:1], v[8:9] op_sel:[0,0,1] op_sel_hi:[1,1,0] neg_lo:[0,0,1] neg_hi:[0,0,1]
	v_pk_fma_f32 v[4:5], v[4:5], v[0:1], v[8:9] op_sel:[0,0,1] op_sel_hi:[1,0,0]
	v_dual_mul_f32 v8, v7, v3 :: v_dual_mov_b32 v4, v7
	s_delay_alu instid0(VALU_DEP_2) | instskip(NEXT) | instid1(VALU_DEP_2)
	v_dual_mov_b32 v11, v5 :: v_dual_mov_b32 v5, v6
	v_pk_fma_f32 v[8:9], v[6:7], v[36:37], v[8:9] op_sel_hi:[1,1,0] neg_lo:[0,0,1] neg_hi:[0,0,1]
	v_mul_f32_e32 v6, v7, v0
	s_delay_alu instid0(VALU_DEP_3) | instskip(NEXT) | instid1(VALU_DEP_2)
	v_pk_add_f32 v[216:217], v[216:217], v[10:11] neg_lo:[0,1] neg_hi:[0,1]
	v_pk_fma_f32 v[4:5], v[4:5], v[36:37], v[6:7] op_sel_hi:[1,1,0]
	s_delay_alu instid0(VALU_DEP_1)
	v_mov_b32_e32 v9, v5
	ds_load_2addr_b64 v[4:7], v168 offset0:54 offset1:55
	v_pk_add_f32 v[210:211], v[210:211], v[8:9] neg_lo:[0,1] neg_hi:[0,1]
	s_wait_dscnt 0x0
	v_pk_mul_f32 v[8:9], v[4:5], v[2:3] op_sel:[0,1]
	v_pk_mul_f32 v[2:3], v[6:7], v[2:3] op_sel:[0,1]
	s_delay_alu instid0(VALU_DEP_2) | instskip(SKIP_1) | instid1(VALU_DEP_1)
	v_pk_fma_f32 v[10:11], v[4:5], v[0:1], v[8:9] op_sel:[0,0,1] op_sel_hi:[1,1,0] neg_lo:[0,0,1] neg_hi:[0,0,1]
	v_pk_fma_f32 v[4:5], v[4:5], v[0:1], v[8:9] op_sel:[0,0,1] op_sel_hi:[1,0,0]
	v_mov_b32_e32 v11, v5
	s_delay_alu instid0(VALU_DEP_4) | instskip(SKIP_1) | instid1(VALU_DEP_1)
	v_pk_fma_f32 v[4:5], v[6:7], v[0:1], v[2:3] op_sel:[0,0,1] op_sel_hi:[1,1,0] neg_lo:[0,0,1] neg_hi:[0,0,1]
	v_pk_fma_f32 v[0:1], v[6:7], v[0:1], v[2:3] op_sel:[0,0,1] op_sel_hi:[1,0,0]
	v_mov_b32_e32 v5, v1
	s_delay_alu instid0(VALU_DEP_4) | instskip(NEXT) | instid1(VALU_DEP_2)
	v_pk_add_f32 v[222:223], v[222:223], v[10:11] neg_lo:[0,1] neg_hi:[0,1]
	v_pk_add_f32 v[224:225], v[224:225], v[4:5] neg_lo:[0,1] neg_hi:[0,1]
.LBB111_91:
	s_wait_xcnt 0x0
	s_or_b32 exec_lo, exec_lo, s1
	s_delay_alu instid0(SALU_CYCLE_1)
	s_mov_b32 s2, exec_lo
	s_wait_storecnt 0x0
	s_barrier_signal -1
	s_barrier_wait -1
	v_cmpx_eq_u32_e32 10, v166
	s_cbranch_execz .LBB111_98
; %bb.92:
	ds_store_b64 v167, v[38:39]
	ds_store_2addr_b64 v168, v[34:35], v[64:65] offset0:11 offset1:12
	ds_store_2addr_b64 v168, v[60:61], v[62:63] offset0:13 offset1:14
	;; [unrolled: 1-line block ×22, first 2 shown]
	ds_store_b64 v168, v[224:225] offset:440
	ds_load_b64 v[0:1], v167
	s_wait_dscnt 0x0
	v_cmp_neq_f32_e32 vcc_lo, 0, v0
	v_cmp_neq_f32_e64 s1, 0, v1
	s_or_b32 s1, vcc_lo, s1
	s_delay_alu instid0(SALU_CYCLE_1)
	s_and_b32 exec_lo, exec_lo, s1
	s_cbranch_execz .LBB111_98
; %bb.93:
	v_cmp_ngt_f32_e64 s1, |v0|, |v1|
                                        ; implicit-def: $vgpr2_vgpr3
	s_and_saveexec_b32 s4, s1
	s_delay_alu instid0(SALU_CYCLE_1)
	s_xor_b32 s1, exec_lo, s4
	s_cbranch_execz .LBB111_95
; %bb.94:
	v_div_scale_f32 v2, null, v1, v1, v0
	v_div_scale_f32 v5, vcc_lo, v0, v1, v0
	s_delay_alu instid0(VALU_DEP_2) | instskip(SKIP_1) | instid1(TRANS32_DEP_1)
	v_rcp_f32_e32 v3, v2
	v_nop
	v_fma_f32 v4, -v2, v3, 1.0
	s_delay_alu instid0(VALU_DEP_1) | instskip(NEXT) | instid1(VALU_DEP_1)
	v_fmac_f32_e32 v3, v4, v3
	v_mul_f32_e32 v4, v5, v3
	s_delay_alu instid0(VALU_DEP_1) | instskip(NEXT) | instid1(VALU_DEP_1)
	v_fma_f32 v6, -v2, v4, v5
	v_fmac_f32_e32 v4, v6, v3
	s_delay_alu instid0(VALU_DEP_1) | instskip(NEXT) | instid1(VALU_DEP_1)
	v_fma_f32 v2, -v2, v4, v5
	v_div_fmas_f32 v2, v2, v3, v4
	s_delay_alu instid0(VALU_DEP_1) | instskip(NEXT) | instid1(VALU_DEP_1)
	v_div_fixup_f32 v2, v2, v1, v0
	v_fmac_f32_e32 v1, v0, v2
	s_delay_alu instid0(VALU_DEP_1) | instskip(SKIP_1) | instid1(VALU_DEP_2)
	v_div_scale_f32 v0, null, v1, v1, 1.0
	v_div_scale_f32 v5, vcc_lo, 1.0, v1, 1.0
	v_rcp_f32_e32 v3, v0
	v_nop
	s_delay_alu instid0(TRANS32_DEP_1) | instskip(NEXT) | instid1(VALU_DEP_1)
	v_fma_f32 v4, -v0, v3, 1.0
	v_fmac_f32_e32 v3, v4, v3
	s_delay_alu instid0(VALU_DEP_1) | instskip(NEXT) | instid1(VALU_DEP_1)
	v_mul_f32_e32 v4, v5, v3
	v_fma_f32 v6, -v0, v4, v5
	s_delay_alu instid0(VALU_DEP_1) | instskip(NEXT) | instid1(VALU_DEP_1)
	v_fmac_f32_e32 v4, v6, v3
	v_fma_f32 v0, -v0, v4, v5
	s_delay_alu instid0(VALU_DEP_1) | instskip(NEXT) | instid1(VALU_DEP_1)
	v_div_fmas_f32 v0, v0, v3, v4
	v_div_fixup_f32 v0, v0, v1, 1.0
	s_delay_alu instid0(VALU_DEP_1)
	v_mul_f32_e32 v2, v2, v0
	v_xor_b32_e32 v3, 0x80000000, v0
                                        ; implicit-def: $vgpr0_vgpr1
.LBB111_95:
	s_and_not1_saveexec_b32 s1, s1
	s_cbranch_execz .LBB111_97
; %bb.96:
	v_div_scale_f32 v2, null, v0, v0, v1
	v_div_scale_f32 v5, vcc_lo, v1, v0, v1
	s_delay_alu instid0(VALU_DEP_2) | instskip(SKIP_1) | instid1(TRANS32_DEP_1)
	v_rcp_f32_e32 v3, v2
	v_nop
	v_fma_f32 v4, -v2, v3, 1.0
	s_delay_alu instid0(VALU_DEP_1) | instskip(NEXT) | instid1(VALU_DEP_1)
	v_fmac_f32_e32 v3, v4, v3
	v_mul_f32_e32 v4, v5, v3
	s_delay_alu instid0(VALU_DEP_1) | instskip(NEXT) | instid1(VALU_DEP_1)
	v_fma_f32 v6, -v2, v4, v5
	v_fmac_f32_e32 v4, v6, v3
	s_delay_alu instid0(VALU_DEP_1) | instskip(NEXT) | instid1(VALU_DEP_1)
	v_fma_f32 v2, -v2, v4, v5
	v_div_fmas_f32 v2, v2, v3, v4
	s_delay_alu instid0(VALU_DEP_1) | instskip(NEXT) | instid1(VALU_DEP_1)
	v_div_fixup_f32 v3, v2, v0, v1
	v_fmac_f32_e32 v0, v1, v3
	s_delay_alu instid0(VALU_DEP_1) | instskip(NEXT) | instid1(VALU_DEP_1)
	v_div_scale_f32 v1, null, v0, v0, 1.0
	v_rcp_f32_e32 v2, v1
	v_nop
	s_delay_alu instid0(TRANS32_DEP_1) | instskip(NEXT) | instid1(VALU_DEP_1)
	v_fma_f32 v4, -v1, v2, 1.0
	v_fmac_f32_e32 v2, v4, v2
	v_div_scale_f32 v4, vcc_lo, 1.0, v0, 1.0
	s_delay_alu instid0(VALU_DEP_1) | instskip(NEXT) | instid1(VALU_DEP_1)
	v_mul_f32_e32 v5, v4, v2
	v_fma_f32 v6, -v1, v5, v4
	s_delay_alu instid0(VALU_DEP_1) | instskip(NEXT) | instid1(VALU_DEP_1)
	v_fmac_f32_e32 v5, v6, v2
	v_fma_f32 v1, -v1, v5, v4
	s_delay_alu instid0(VALU_DEP_1) | instskip(NEXT) | instid1(VALU_DEP_1)
	v_div_fmas_f32 v1, v1, v2, v5
	v_div_fixup_f32 v2, v1, v0, 1.0
	s_delay_alu instid0(VALU_DEP_1)
	v_mul_f32_e64 v3, v3, -v2
.LBB111_97:
	s_or_b32 exec_lo, exec_lo, s1
	ds_store_b64 v167, v[2:3]
.LBB111_98:
	s_or_b32 exec_lo, exec_lo, s2
	s_wait_dscnt 0x0
	s_barrier_signal -1
	s_barrier_wait -1
	ds_load_b64 v[0:1], v167
	s_mov_b32 s1, exec_lo
	s_wait_dscnt 0x0
	scratch_store_b64 off, v[0:1], off offset:328 ; 8-byte Folded Spill
	s_wait_xcnt 0x0
	v_cmpx_lt_u32_e32 10, v166
	s_cbranch_execz .LBB111_100
; %bb.99:
	scratch_load_b64 v[4:5], off, off offset:328 ; 8-byte Folded Reload
	s_wait_loadcnt 0x0
	v_pk_mul_f32 v[2:3], v[4:5], v[38:39] op_sel:[1,1] op_sel_hi:[0,1]
	s_delay_alu instid0(VALU_DEP_1)
	v_pk_fma_f32 v[0:1], v[4:5], v[38:39], v[2:3] op_sel_hi:[1,0,1] neg_lo:[0,0,1] neg_hi:[0,0,1]
	v_pk_fma_f32 v[2:3], v[4:5], v[38:39], v[2:3] op_sel_hi:[1,0,1]
	ds_load_2addr_b64 v[4:7], v168 offset0:11 offset1:12
	v_dual_mov_b32 v38, v0 :: v_dual_mov_b32 v39, v3
	s_wait_dscnt 0x0
	v_pk_mul_f32 v[8:9], v[4:5], v[2:3] op_sel:[0,1]
	s_delay_alu instid0(VALU_DEP_1) | instskip(SKIP_1) | instid1(VALU_DEP_1)
	v_pk_fma_f32 v[10:11], v[4:5], v[0:1], v[8:9] op_sel:[0,0,1] op_sel_hi:[1,1,0] neg_lo:[0,0,1] neg_hi:[0,0,1]
	v_pk_fma_f32 v[4:5], v[4:5], v[0:1], v[8:9] op_sel:[0,0,1] op_sel_hi:[1,0,0]
	v_mov_b32_e32 v11, v5
	v_pk_mul_f32 v[4:5], v[6:7], v[2:3] op_sel:[0,1]
	s_delay_alu instid0(VALU_DEP_1) | instskip(SKIP_1) | instid1(VALU_DEP_1)
	v_pk_fma_f32 v[8:9], v[6:7], v[0:1], v[4:5] op_sel:[0,0,1] op_sel_hi:[1,1,0] neg_lo:[0,0,1] neg_hi:[0,0,1]
	v_pk_fma_f32 v[4:5], v[6:7], v[0:1], v[4:5] op_sel:[0,0,1] op_sel_hi:[1,0,0]
	v_mov_b32_e32 v9, v5
	ds_load_2addr_b64 v[4:7], v168 offset0:13 offset1:14
	v_pk_add_f32 v[34:35], v[34:35], v[10:11] neg_lo:[0,1] neg_hi:[0,1]
	v_pk_add_f32 v[64:65], v[64:65], v[8:9] neg_lo:[0,1] neg_hi:[0,1]
	s_wait_dscnt 0x0
	v_pk_mul_f32 v[8:9], v[4:5], v[2:3] op_sel:[0,1]
	s_delay_alu instid0(VALU_DEP_1) | instskip(SKIP_2) | instid1(VALU_DEP_2)
	v_pk_fma_f32 v[10:11], v[4:5], v[0:1], v[8:9] op_sel:[0,0,1] op_sel_hi:[1,1,0] neg_lo:[0,0,1] neg_hi:[0,0,1]
	v_pk_fma_f32 v[4:5], v[4:5], v[0:1], v[8:9] op_sel:[0,0,1] op_sel_hi:[1,0,0]
	v_dual_mul_f32 v8, v7, v3 :: v_dual_mov_b32 v4, v7
	v_dual_mov_b32 v11, v5 :: v_dual_mov_b32 v5, v6
	s_delay_alu instid0(VALU_DEP_2) | instskip(SKIP_1) | instid1(VALU_DEP_3)
	v_pk_fma_f32 v[8:9], v[6:7], v[38:39], v[8:9] op_sel_hi:[1,1,0] neg_lo:[0,0,1] neg_hi:[0,0,1]
	v_mul_f32_e32 v6, v7, v0
	v_pk_add_f32 v[60:61], v[60:61], v[10:11] neg_lo:[0,1] neg_hi:[0,1]
	s_delay_alu instid0(VALU_DEP_2) | instskip(NEXT) | instid1(VALU_DEP_1)
	v_pk_fma_f32 v[4:5], v[4:5], v[38:39], v[6:7] op_sel_hi:[1,1,0]
	v_mov_b32_e32 v9, v5
	ds_load_2addr_b64 v[4:7], v168 offset0:15 offset1:16
	v_pk_add_f32 v[62:63], v[62:63], v[8:9] neg_lo:[0,1] neg_hi:[0,1]
	s_wait_dscnt 0x0
	v_pk_mul_f32 v[8:9], v[4:5], v[2:3] op_sel:[0,1]
	s_delay_alu instid0(VALU_DEP_1) | instskip(SKIP_1) | instid1(VALU_DEP_1)
	v_pk_fma_f32 v[10:11], v[4:5], v[0:1], v[8:9] op_sel:[0,0,1] op_sel_hi:[1,1,0] neg_lo:[0,0,1] neg_hi:[0,0,1]
	v_pk_fma_f32 v[4:5], v[4:5], v[0:1], v[8:9] op_sel:[0,0,1] op_sel_hi:[1,0,0]
	v_mov_b32_e32 v11, v5
	v_pk_mul_f32 v[4:5], v[6:7], v[2:3] op_sel:[0,1]
	s_delay_alu instid0(VALU_DEP_1) | instskip(SKIP_1) | instid1(VALU_DEP_1)
	v_pk_fma_f32 v[8:9], v[6:7], v[0:1], v[4:5] op_sel:[0,0,1] op_sel_hi:[1,1,0] neg_lo:[0,0,1] neg_hi:[0,0,1]
	v_pk_fma_f32 v[4:5], v[6:7], v[0:1], v[4:5] op_sel:[0,0,1] op_sel_hi:[1,0,0]
	v_mov_b32_e32 v9, v5
	ds_load_2addr_b64 v[4:7], v168 offset0:17 offset1:18
	v_pk_add_f32 v[58:59], v[58:59], v[10:11] neg_lo:[0,1] neg_hi:[0,1]
	v_pk_add_f32 v[80:81], v[80:81], v[8:9] neg_lo:[0,1] neg_hi:[0,1]
	s_wait_dscnt 0x0
	v_pk_mul_f32 v[8:9], v[4:5], v[2:3] op_sel:[0,1]
	s_delay_alu instid0(VALU_DEP_1) | instskip(SKIP_1) | instid1(VALU_DEP_1)
	v_pk_fma_f32 v[10:11], v[4:5], v[0:1], v[8:9] op_sel:[0,0,1] op_sel_hi:[1,1,0] neg_lo:[0,0,1] neg_hi:[0,0,1]
	v_pk_fma_f32 v[4:5], v[4:5], v[0:1], v[8:9] op_sel:[0,0,1] op_sel_hi:[1,0,0]
	v_mov_b32_e32 v11, v5
	v_pk_mul_f32 v[4:5], v[6:7], v[2:3] op_sel:[0,1]
	s_delay_alu instid0(VALU_DEP_1) | instskip(SKIP_1) | instid1(VALU_DEP_1)
	v_pk_fma_f32 v[8:9], v[6:7], v[0:1], v[4:5] op_sel:[0,0,1] op_sel_hi:[1,1,0] neg_lo:[0,0,1] neg_hi:[0,0,1]
	v_pk_fma_f32 v[4:5], v[6:7], v[0:1], v[4:5] op_sel:[0,0,1] op_sel_hi:[1,0,0]
	v_mov_b32_e32 v9, v5
	ds_load_2addr_b64 v[4:7], v168 offset0:19 offset1:20
	v_pk_add_f32 v[76:77], v[76:77], v[10:11] neg_lo:[0,1] neg_hi:[0,1]
	v_pk_add_f32 v[78:79], v[78:79], v[8:9] neg_lo:[0,1] neg_hi:[0,1]
	s_wait_dscnt 0x0
	v_dual_mul_f32 v8, v5, v3 :: v_dual_mul_f32 v10, v5, v0
	s_delay_alu instid0(VALU_DEP_1) | instskip(NEXT) | instid1(VALU_DEP_2)
	v_pk_fma_f32 v[8:9], v[4:5], v[38:39], v[8:9] op_sel_hi:[1,1,0] neg_lo:[0,0,1] neg_hi:[0,0,1]
	v_pk_fma_f32 v[4:5], v[4:5], v[38:39], v[10:11] op_sel:[1,0,0] op_sel_hi:[0,1,0]
	s_delay_alu instid0(VALU_DEP_1) | instskip(SKIP_1) | instid1(VALU_DEP_2)
	v_mov_b32_e32 v9, v5
	v_pk_mul_f32 v[4:5], v[6:7], v[2:3] op_sel:[0,1]
	v_pk_add_f32 v[74:75], v[74:75], v[8:9] neg_lo:[0,1] neg_hi:[0,1]
	s_delay_alu instid0(VALU_DEP_2) | instskip(SKIP_1) | instid1(VALU_DEP_1)
	v_pk_fma_f32 v[8:9], v[6:7], v[0:1], v[4:5] op_sel:[0,0,1] op_sel_hi:[1,1,0] neg_lo:[0,0,1] neg_hi:[0,0,1]
	v_pk_fma_f32 v[4:5], v[6:7], v[0:1], v[4:5] op_sel:[0,0,1] op_sel_hi:[1,0,0]
	v_mov_b32_e32 v9, v5
	ds_load_2addr_b64 v[4:7], v168 offset0:21 offset1:22
	v_pk_add_f32 v[98:99], v[98:99], v[8:9] neg_lo:[0,1] neg_hi:[0,1]
	s_wait_dscnt 0x0
	v_pk_mul_f32 v[8:9], v[4:5], v[2:3] op_sel:[0,1]
	s_delay_alu instid0(VALU_DEP_1) | instskip(SKIP_1) | instid1(VALU_DEP_1)
	v_pk_fma_f32 v[10:11], v[4:5], v[0:1], v[8:9] op_sel:[0,0,1] op_sel_hi:[1,1,0] neg_lo:[0,0,1] neg_hi:[0,0,1]
	v_pk_fma_f32 v[4:5], v[4:5], v[0:1], v[8:9] op_sel:[0,0,1] op_sel_hi:[1,0,0]
	v_mov_b32_e32 v11, v5
	v_pk_mul_f32 v[4:5], v[6:7], v[2:3] op_sel:[0,1]
	s_delay_alu instid0(VALU_DEP_2) | instskip(NEXT) | instid1(VALU_DEP_2)
	v_pk_add_f32 v[94:95], v[94:95], v[10:11] neg_lo:[0,1] neg_hi:[0,1]
	v_pk_fma_f32 v[8:9], v[6:7], v[0:1], v[4:5] op_sel:[0,0,1] op_sel_hi:[1,1,0] neg_lo:[0,0,1] neg_hi:[0,0,1]
	v_pk_fma_f32 v[4:5], v[6:7], v[0:1], v[4:5] op_sel:[0,0,1] op_sel_hi:[1,0,0]
	s_delay_alu instid0(VALU_DEP_1) | instskip(SKIP_4) | instid1(VALU_DEP_1)
	v_mov_b32_e32 v9, v5
	ds_load_2addr_b64 v[4:7], v168 offset0:23 offset1:24
	v_pk_add_f32 v[96:97], v[96:97], v[8:9] neg_lo:[0,1] neg_hi:[0,1]
	s_wait_dscnt 0x0
	v_pk_mul_f32 v[8:9], v[4:5], v[2:3] op_sel:[0,1]
	v_pk_fma_f32 v[10:11], v[4:5], v[0:1], v[8:9] op_sel:[0,0,1] op_sel_hi:[1,1,0] neg_lo:[0,0,1] neg_hi:[0,0,1]
	v_pk_fma_f32 v[4:5], v[4:5], v[0:1], v[8:9] op_sel:[0,0,1] op_sel_hi:[1,0,0]
	v_dual_mul_f32 v8, v7, v3 :: v_dual_mov_b32 v4, v7
	s_delay_alu instid0(VALU_DEP_2) | instskip(NEXT) | instid1(VALU_DEP_2)
	v_dual_mov_b32 v11, v5 :: v_dual_mov_b32 v5, v6
	v_pk_fma_f32 v[8:9], v[6:7], v[38:39], v[8:9] op_sel_hi:[1,1,0] neg_lo:[0,0,1] neg_hi:[0,0,1]
	v_mul_f32_e32 v6, v7, v0
	s_delay_alu instid0(VALU_DEP_3) | instskip(NEXT) | instid1(VALU_DEP_2)
	v_pk_add_f32 v[92:93], v[92:93], v[10:11] neg_lo:[0,1] neg_hi:[0,1]
	v_pk_fma_f32 v[4:5], v[4:5], v[38:39], v[6:7] op_sel_hi:[1,1,0]
	s_delay_alu instid0(VALU_DEP_1) | instskip(SKIP_4) | instid1(VALU_DEP_1)
	v_mov_b32_e32 v9, v5
	ds_load_2addr_b64 v[4:7], v168 offset0:25 offset1:26
	v_pk_add_f32 v[114:115], v[114:115], v[8:9] neg_lo:[0,1] neg_hi:[0,1]
	s_wait_dscnt 0x0
	v_pk_mul_f32 v[8:9], v[4:5], v[2:3] op_sel:[0,1]
	v_pk_fma_f32 v[10:11], v[4:5], v[0:1], v[8:9] op_sel:[0,0,1] op_sel_hi:[1,1,0] neg_lo:[0,0,1] neg_hi:[0,0,1]
	v_pk_fma_f32 v[4:5], v[4:5], v[0:1], v[8:9] op_sel:[0,0,1] op_sel_hi:[1,0,0]
	s_delay_alu instid0(VALU_DEP_1) | instskip(SKIP_1) | instid1(VALU_DEP_1)
	v_mov_b32_e32 v11, v5
	v_pk_mul_f32 v[4:5], v[6:7], v[2:3] op_sel:[0,1]
	v_pk_fma_f32 v[8:9], v[6:7], v[0:1], v[4:5] op_sel:[0,0,1] op_sel_hi:[1,1,0] neg_lo:[0,0,1] neg_hi:[0,0,1]
	v_pk_fma_f32 v[4:5], v[6:7], v[0:1], v[4:5] op_sel:[0,0,1] op_sel_hi:[1,0,0]
	s_delay_alu instid0(VALU_DEP_1)
	v_mov_b32_e32 v9, v5
	ds_load_2addr_b64 v[4:7], v168 offset0:27 offset1:28
	v_pk_add_f32 v[110:111], v[110:111], v[10:11] neg_lo:[0,1] neg_hi:[0,1]
	v_pk_add_f32 v[112:113], v[112:113], v[8:9] neg_lo:[0,1] neg_hi:[0,1]
	s_wait_dscnt 0x0
	v_pk_mul_f32 v[8:9], v[4:5], v[2:3] op_sel:[0,1]
	s_delay_alu instid0(VALU_DEP_1) | instskip(SKIP_1) | instid1(VALU_DEP_1)
	v_pk_fma_f32 v[10:11], v[4:5], v[0:1], v[8:9] op_sel:[0,0,1] op_sel_hi:[1,1,0] neg_lo:[0,0,1] neg_hi:[0,0,1]
	v_pk_fma_f32 v[4:5], v[4:5], v[0:1], v[8:9] op_sel:[0,0,1] op_sel_hi:[1,0,0]
	v_mov_b32_e32 v11, v5
	v_pk_mul_f32 v[4:5], v[6:7], v[2:3] op_sel:[0,1]
	s_delay_alu instid0(VALU_DEP_1) | instskip(SKIP_1) | instid1(VALU_DEP_1)
	v_pk_fma_f32 v[8:9], v[6:7], v[0:1], v[4:5] op_sel:[0,0,1] op_sel_hi:[1,1,0] neg_lo:[0,0,1] neg_hi:[0,0,1]
	v_pk_fma_f32 v[4:5], v[6:7], v[0:1], v[4:5] op_sel:[0,0,1] op_sel_hi:[1,0,0]
	v_mov_b32_e32 v9, v5
	ds_load_2addr_b64 v[4:7], v168 offset0:29 offset1:30
	v_pk_add_f32 v[108:109], v[108:109], v[10:11] neg_lo:[0,1] neg_hi:[0,1]
	v_pk_add_f32 v[130:131], v[130:131], v[8:9] neg_lo:[0,1] neg_hi:[0,1]
	s_wait_dscnt 0x0
	v_dual_mul_f32 v8, v5, v3 :: v_dual_mul_f32 v10, v5, v0
	s_delay_alu instid0(VALU_DEP_1) | instskip(NEXT) | instid1(VALU_DEP_2)
	v_pk_fma_f32 v[8:9], v[4:5], v[38:39], v[8:9] op_sel_hi:[1,1,0] neg_lo:[0,0,1] neg_hi:[0,0,1]
	v_pk_fma_f32 v[4:5], v[4:5], v[38:39], v[10:11] op_sel:[1,0,0] op_sel_hi:[0,1,0]
	s_delay_alu instid0(VALU_DEP_1) | instskip(SKIP_1) | instid1(VALU_DEP_2)
	v_mov_b32_e32 v9, v5
	v_pk_mul_f32 v[4:5], v[6:7], v[2:3] op_sel:[0,1]
	v_pk_add_f32 v[126:127], v[126:127], v[8:9] neg_lo:[0,1] neg_hi:[0,1]
	s_delay_alu instid0(VALU_DEP_2) | instskip(SKIP_1) | instid1(VALU_DEP_1)
	v_pk_fma_f32 v[8:9], v[6:7], v[0:1], v[4:5] op_sel:[0,0,1] op_sel_hi:[1,1,0] neg_lo:[0,0,1] neg_hi:[0,0,1]
	v_pk_fma_f32 v[4:5], v[6:7], v[0:1], v[4:5] op_sel:[0,0,1] op_sel_hi:[1,0,0]
	v_mov_b32_e32 v9, v5
	ds_load_2addr_b64 v[4:7], v168 offset0:31 offset1:32
	v_pk_add_f32 v[128:129], v[128:129], v[8:9] neg_lo:[0,1] neg_hi:[0,1]
	s_wait_dscnt 0x0
	v_pk_mul_f32 v[8:9], v[4:5], v[2:3] op_sel:[0,1]
	s_delay_alu instid0(VALU_DEP_1) | instskip(SKIP_1) | instid1(VALU_DEP_1)
	v_pk_fma_f32 v[10:11], v[4:5], v[0:1], v[8:9] op_sel:[0,0,1] op_sel_hi:[1,1,0] neg_lo:[0,0,1] neg_hi:[0,0,1]
	v_pk_fma_f32 v[4:5], v[4:5], v[0:1], v[8:9] op_sel:[0,0,1] op_sel_hi:[1,0,0]
	v_mov_b32_e32 v11, v5
	v_pk_mul_f32 v[4:5], v[6:7], v[2:3] op_sel:[0,1]
	s_delay_alu instid0(VALU_DEP_2) | instskip(NEXT) | instid1(VALU_DEP_2)
	v_pk_add_f32 v[124:125], v[124:125], v[10:11] neg_lo:[0,1] neg_hi:[0,1]
	v_pk_fma_f32 v[8:9], v[6:7], v[0:1], v[4:5] op_sel:[0,0,1] op_sel_hi:[1,1,0] neg_lo:[0,0,1] neg_hi:[0,0,1]
	v_pk_fma_f32 v[4:5], v[6:7], v[0:1], v[4:5] op_sel:[0,0,1] op_sel_hi:[1,0,0]
	s_delay_alu instid0(VALU_DEP_1) | instskip(SKIP_4) | instid1(VALU_DEP_1)
	v_mov_b32_e32 v9, v5
	ds_load_2addr_b64 v[4:7], v168 offset0:33 offset1:34
	v_pk_add_f32 v[146:147], v[146:147], v[8:9] neg_lo:[0,1] neg_hi:[0,1]
	s_wait_dscnt 0x0
	v_pk_mul_f32 v[8:9], v[4:5], v[2:3] op_sel:[0,1]
	v_pk_fma_f32 v[10:11], v[4:5], v[0:1], v[8:9] op_sel:[0,0,1] op_sel_hi:[1,1,0] neg_lo:[0,0,1] neg_hi:[0,0,1]
	v_pk_fma_f32 v[4:5], v[4:5], v[0:1], v[8:9] op_sel:[0,0,1] op_sel_hi:[1,0,0]
	v_dual_mul_f32 v8, v7, v3 :: v_dual_mov_b32 v4, v7
	s_delay_alu instid0(VALU_DEP_2) | instskip(NEXT) | instid1(VALU_DEP_2)
	v_dual_mov_b32 v11, v5 :: v_dual_mov_b32 v5, v6
	v_pk_fma_f32 v[8:9], v[6:7], v[38:39], v[8:9] op_sel_hi:[1,1,0] neg_lo:[0,0,1] neg_hi:[0,0,1]
	v_mul_f32_e32 v6, v7, v0
	s_delay_alu instid0(VALU_DEP_3) | instskip(NEXT) | instid1(VALU_DEP_2)
	v_pk_add_f32 v[142:143], v[142:143], v[10:11] neg_lo:[0,1] neg_hi:[0,1]
	v_pk_fma_f32 v[4:5], v[4:5], v[38:39], v[6:7] op_sel_hi:[1,1,0]
	s_delay_alu instid0(VALU_DEP_1) | instskip(SKIP_4) | instid1(VALU_DEP_1)
	v_mov_b32_e32 v9, v5
	ds_load_2addr_b64 v[4:7], v168 offset0:35 offset1:36
	v_pk_add_f32 v[144:145], v[144:145], v[8:9] neg_lo:[0,1] neg_hi:[0,1]
	s_wait_dscnt 0x0
	v_pk_mul_f32 v[8:9], v[4:5], v[2:3] op_sel:[0,1]
	v_pk_fma_f32 v[10:11], v[4:5], v[0:1], v[8:9] op_sel:[0,0,1] op_sel_hi:[1,1,0] neg_lo:[0,0,1] neg_hi:[0,0,1]
	v_pk_fma_f32 v[4:5], v[4:5], v[0:1], v[8:9] op_sel:[0,0,1] op_sel_hi:[1,0,0]
	s_delay_alu instid0(VALU_DEP_1) | instskip(SKIP_1) | instid1(VALU_DEP_1)
	v_mov_b32_e32 v11, v5
	v_pk_mul_f32 v[4:5], v[6:7], v[2:3] op_sel:[0,1]
	v_pk_fma_f32 v[8:9], v[6:7], v[0:1], v[4:5] op_sel:[0,0,1] op_sel_hi:[1,1,0] neg_lo:[0,0,1] neg_hi:[0,0,1]
	v_pk_fma_f32 v[4:5], v[6:7], v[0:1], v[4:5] op_sel:[0,0,1] op_sel_hi:[1,0,0]
	s_delay_alu instid0(VALU_DEP_1)
	v_mov_b32_e32 v9, v5
	ds_load_2addr_b64 v[4:7], v168 offset0:37 offset1:38
	v_pk_add_f32 v[140:141], v[140:141], v[10:11] neg_lo:[0,1] neg_hi:[0,1]
	v_pk_add_f32 v[162:163], v[162:163], v[8:9] neg_lo:[0,1] neg_hi:[0,1]
	s_wait_dscnt 0x0
	v_pk_mul_f32 v[8:9], v[4:5], v[2:3] op_sel:[0,1]
	s_delay_alu instid0(VALU_DEP_1) | instskip(SKIP_1) | instid1(VALU_DEP_1)
	v_pk_fma_f32 v[10:11], v[4:5], v[0:1], v[8:9] op_sel:[0,0,1] op_sel_hi:[1,1,0] neg_lo:[0,0,1] neg_hi:[0,0,1]
	v_pk_fma_f32 v[4:5], v[4:5], v[0:1], v[8:9] op_sel:[0,0,1] op_sel_hi:[1,0,0]
	v_mov_b32_e32 v11, v5
	v_pk_mul_f32 v[4:5], v[6:7], v[2:3] op_sel:[0,1]
	s_delay_alu instid0(VALU_DEP_1) | instskip(SKIP_1) | instid1(VALU_DEP_1)
	v_pk_fma_f32 v[8:9], v[6:7], v[0:1], v[4:5] op_sel:[0,0,1] op_sel_hi:[1,1,0] neg_lo:[0,0,1] neg_hi:[0,0,1]
	v_pk_fma_f32 v[4:5], v[6:7], v[0:1], v[4:5] op_sel:[0,0,1] op_sel_hi:[1,0,0]
	v_mov_b32_e32 v9, v5
	ds_load_2addr_b64 v[4:7], v168 offset0:39 offset1:40
	v_pk_add_f32 v[158:159], v[158:159], v[10:11] neg_lo:[0,1] neg_hi:[0,1]
	v_pk_add_f32 v[160:161], v[160:161], v[8:9] neg_lo:[0,1] neg_hi:[0,1]
	s_wait_dscnt 0x0
	v_dual_mul_f32 v8, v5, v3 :: v_dual_mul_f32 v10, v5, v0
	s_delay_alu instid0(VALU_DEP_1) | instskip(NEXT) | instid1(VALU_DEP_2)
	v_pk_fma_f32 v[8:9], v[4:5], v[38:39], v[8:9] op_sel_hi:[1,1,0] neg_lo:[0,0,1] neg_hi:[0,0,1]
	v_pk_fma_f32 v[4:5], v[4:5], v[38:39], v[10:11] op_sel:[1,0,0] op_sel_hi:[0,1,0]
	s_delay_alu instid0(VALU_DEP_1) | instskip(SKIP_1) | instid1(VALU_DEP_2)
	v_mov_b32_e32 v9, v5
	v_pk_mul_f32 v[4:5], v[6:7], v[2:3] op_sel:[0,1]
	v_pk_add_f32 v[156:157], v[156:157], v[8:9] neg_lo:[0,1] neg_hi:[0,1]
	s_delay_alu instid0(VALU_DEP_2) | instskip(SKIP_1) | instid1(VALU_DEP_1)
	v_pk_fma_f32 v[8:9], v[6:7], v[0:1], v[4:5] op_sel:[0,0,1] op_sel_hi:[1,1,0] neg_lo:[0,0,1] neg_hi:[0,0,1]
	v_pk_fma_f32 v[4:5], v[6:7], v[0:1], v[4:5] op_sel:[0,0,1] op_sel_hi:[1,0,0]
	v_mov_b32_e32 v9, v5
	ds_load_2addr_b64 v[4:7], v168 offset0:41 offset1:42
	v_pk_add_f32 v[178:179], v[178:179], v[8:9] neg_lo:[0,1] neg_hi:[0,1]
	s_wait_dscnt 0x0
	v_pk_mul_f32 v[8:9], v[4:5], v[2:3] op_sel:[0,1]
	s_delay_alu instid0(VALU_DEP_1) | instskip(SKIP_1) | instid1(VALU_DEP_1)
	v_pk_fma_f32 v[10:11], v[4:5], v[0:1], v[8:9] op_sel:[0,0,1] op_sel_hi:[1,1,0] neg_lo:[0,0,1] neg_hi:[0,0,1]
	v_pk_fma_f32 v[4:5], v[4:5], v[0:1], v[8:9] op_sel:[0,0,1] op_sel_hi:[1,0,0]
	v_mov_b32_e32 v11, v5
	v_pk_mul_f32 v[4:5], v[6:7], v[2:3] op_sel:[0,1]
	s_delay_alu instid0(VALU_DEP_2) | instskip(NEXT) | instid1(VALU_DEP_2)
	v_pk_add_f32 v[174:175], v[174:175], v[10:11] neg_lo:[0,1] neg_hi:[0,1]
	v_pk_fma_f32 v[8:9], v[6:7], v[0:1], v[4:5] op_sel:[0,0,1] op_sel_hi:[1,1,0] neg_lo:[0,0,1] neg_hi:[0,0,1]
	v_pk_fma_f32 v[4:5], v[6:7], v[0:1], v[4:5] op_sel:[0,0,1] op_sel_hi:[1,0,0]
	s_delay_alu instid0(VALU_DEP_1) | instskip(SKIP_4) | instid1(VALU_DEP_1)
	v_mov_b32_e32 v9, v5
	ds_load_2addr_b64 v[4:7], v168 offset0:43 offset1:44
	v_pk_add_f32 v[176:177], v[176:177], v[8:9] neg_lo:[0,1] neg_hi:[0,1]
	s_wait_dscnt 0x0
	v_pk_mul_f32 v[8:9], v[4:5], v[2:3] op_sel:[0,1]
	v_pk_fma_f32 v[10:11], v[4:5], v[0:1], v[8:9] op_sel:[0,0,1] op_sel_hi:[1,1,0] neg_lo:[0,0,1] neg_hi:[0,0,1]
	v_pk_fma_f32 v[4:5], v[4:5], v[0:1], v[8:9] op_sel:[0,0,1] op_sel_hi:[1,0,0]
	v_dual_mul_f32 v8, v7, v3 :: v_dual_mov_b32 v4, v7
	s_delay_alu instid0(VALU_DEP_2) | instskip(NEXT) | instid1(VALU_DEP_2)
	v_dual_mov_b32 v11, v5 :: v_dual_mov_b32 v5, v6
	v_pk_fma_f32 v[8:9], v[6:7], v[38:39], v[8:9] op_sel_hi:[1,1,0] neg_lo:[0,0,1] neg_hi:[0,0,1]
	v_mul_f32_e32 v6, v7, v0
	s_delay_alu instid0(VALU_DEP_3) | instskip(NEXT) | instid1(VALU_DEP_2)
	v_pk_add_f32 v[172:173], v[172:173], v[10:11] neg_lo:[0,1] neg_hi:[0,1]
	v_pk_fma_f32 v[4:5], v[4:5], v[38:39], v[6:7] op_sel_hi:[1,1,0]
	s_delay_alu instid0(VALU_DEP_1) | instskip(SKIP_4) | instid1(VALU_DEP_1)
	v_mov_b32_e32 v9, v5
	ds_load_2addr_b64 v[4:7], v168 offset0:45 offset1:46
	v_pk_add_f32 v[198:199], v[198:199], v[8:9] neg_lo:[0,1] neg_hi:[0,1]
	s_wait_dscnt 0x0
	v_pk_mul_f32 v[8:9], v[4:5], v[2:3] op_sel:[0,1]
	v_pk_fma_f32 v[10:11], v[4:5], v[0:1], v[8:9] op_sel:[0,0,1] op_sel_hi:[1,1,0] neg_lo:[0,0,1] neg_hi:[0,0,1]
	v_pk_fma_f32 v[4:5], v[4:5], v[0:1], v[8:9] op_sel:[0,0,1] op_sel_hi:[1,0,0]
	s_delay_alu instid0(VALU_DEP_1) | instskip(SKIP_1) | instid1(VALU_DEP_1)
	v_mov_b32_e32 v11, v5
	v_pk_mul_f32 v[4:5], v[6:7], v[2:3] op_sel:[0,1]
	v_pk_fma_f32 v[8:9], v[6:7], v[0:1], v[4:5] op_sel:[0,0,1] op_sel_hi:[1,1,0] neg_lo:[0,0,1] neg_hi:[0,0,1]
	v_pk_fma_f32 v[4:5], v[6:7], v[0:1], v[4:5] op_sel:[0,0,1] op_sel_hi:[1,0,0]
	s_delay_alu instid0(VALU_DEP_1)
	v_mov_b32_e32 v9, v5
	ds_load_2addr_b64 v[4:7], v168 offset0:47 offset1:48
	v_pk_add_f32 v[194:195], v[194:195], v[10:11] neg_lo:[0,1] neg_hi:[0,1]
	v_pk_add_f32 v[196:197], v[196:197], v[8:9] neg_lo:[0,1] neg_hi:[0,1]
	s_wait_dscnt 0x0
	v_pk_mul_f32 v[8:9], v[4:5], v[2:3] op_sel:[0,1]
	s_delay_alu instid0(VALU_DEP_1) | instskip(SKIP_1) | instid1(VALU_DEP_1)
	v_pk_fma_f32 v[10:11], v[4:5], v[0:1], v[8:9] op_sel:[0,0,1] op_sel_hi:[1,1,0] neg_lo:[0,0,1] neg_hi:[0,0,1]
	v_pk_fma_f32 v[4:5], v[4:5], v[0:1], v[8:9] op_sel:[0,0,1] op_sel_hi:[1,0,0]
	v_mov_b32_e32 v11, v5
	v_pk_mul_f32 v[4:5], v[6:7], v[2:3] op_sel:[0,1]
	s_delay_alu instid0(VALU_DEP_1) | instskip(SKIP_1) | instid1(VALU_DEP_1)
	v_pk_fma_f32 v[8:9], v[6:7], v[0:1], v[4:5] op_sel:[0,0,1] op_sel_hi:[1,1,0] neg_lo:[0,0,1] neg_hi:[0,0,1]
	v_pk_fma_f32 v[4:5], v[6:7], v[0:1], v[4:5] op_sel:[0,0,1] op_sel_hi:[1,0,0]
	v_mov_b32_e32 v9, v5
	ds_load_2addr_b64 v[4:7], v168 offset0:49 offset1:50
	v_pk_add_f32 v[192:193], v[192:193], v[10:11] neg_lo:[0,1] neg_hi:[0,1]
	v_pk_add_f32 v[220:221], v[220:221], v[8:9] neg_lo:[0,1] neg_hi:[0,1]
	s_wait_dscnt 0x0
	v_dual_mul_f32 v8, v5, v3 :: v_dual_mul_f32 v10, v5, v0
	s_delay_alu instid0(VALU_DEP_1) | instskip(NEXT) | instid1(VALU_DEP_2)
	v_pk_fma_f32 v[8:9], v[4:5], v[38:39], v[8:9] op_sel_hi:[1,1,0] neg_lo:[0,0,1] neg_hi:[0,0,1]
	v_pk_fma_f32 v[4:5], v[4:5], v[38:39], v[10:11] op_sel:[1,0,0] op_sel_hi:[0,1,0]
	s_delay_alu instid0(VALU_DEP_1) | instskip(SKIP_1) | instid1(VALU_DEP_2)
	v_mov_b32_e32 v9, v5
	v_pk_mul_f32 v[4:5], v[6:7], v[2:3] op_sel:[0,1]
	v_pk_add_f32 v[214:215], v[214:215], v[8:9] neg_lo:[0,1] neg_hi:[0,1]
	s_delay_alu instid0(VALU_DEP_2) | instskip(SKIP_1) | instid1(VALU_DEP_1)
	v_pk_fma_f32 v[8:9], v[6:7], v[0:1], v[4:5] op_sel:[0,0,1] op_sel_hi:[1,1,0] neg_lo:[0,0,1] neg_hi:[0,0,1]
	v_pk_fma_f32 v[4:5], v[6:7], v[0:1], v[4:5] op_sel:[0,0,1] op_sel_hi:[1,0,0]
	v_mov_b32_e32 v9, v5
	ds_load_2addr_b64 v[4:7], v168 offset0:51 offset1:52
	v_pk_add_f32 v[218:219], v[218:219], v[8:9] neg_lo:[0,1] neg_hi:[0,1]
	s_wait_dscnt 0x0
	v_pk_mul_f32 v[8:9], v[4:5], v[2:3] op_sel:[0,1]
	s_delay_alu instid0(VALU_DEP_1) | instskip(SKIP_1) | instid1(VALU_DEP_1)
	v_pk_fma_f32 v[10:11], v[4:5], v[0:1], v[8:9] op_sel:[0,0,1] op_sel_hi:[1,1,0] neg_lo:[0,0,1] neg_hi:[0,0,1]
	v_pk_fma_f32 v[4:5], v[4:5], v[0:1], v[8:9] op_sel:[0,0,1] op_sel_hi:[1,0,0]
	v_mov_b32_e32 v11, v5
	v_pk_mul_f32 v[4:5], v[6:7], v[2:3] op_sel:[0,1]
	s_delay_alu instid0(VALU_DEP_2) | instskip(NEXT) | instid1(VALU_DEP_2)
	v_pk_add_f32 v[212:213], v[212:213], v[10:11] neg_lo:[0,1] neg_hi:[0,1]
	v_pk_fma_f32 v[8:9], v[6:7], v[0:1], v[4:5] op_sel:[0,0,1] op_sel_hi:[1,1,0] neg_lo:[0,0,1] neg_hi:[0,0,1]
	v_pk_fma_f32 v[4:5], v[6:7], v[0:1], v[4:5] op_sel:[0,0,1] op_sel_hi:[1,0,0]
	s_delay_alu instid0(VALU_DEP_1) | instskip(SKIP_4) | instid1(VALU_DEP_1)
	v_mov_b32_e32 v9, v5
	ds_load_2addr_b64 v[4:7], v168 offset0:53 offset1:54
	v_pk_add_f32 v[216:217], v[216:217], v[8:9] neg_lo:[0,1] neg_hi:[0,1]
	s_wait_dscnt 0x0
	v_pk_mul_f32 v[8:9], v[4:5], v[2:3] op_sel:[0,1]
	v_pk_fma_f32 v[10:11], v[4:5], v[0:1], v[8:9] op_sel:[0,0,1] op_sel_hi:[1,1,0] neg_lo:[0,0,1] neg_hi:[0,0,1]
	v_pk_fma_f32 v[4:5], v[4:5], v[0:1], v[8:9] op_sel:[0,0,1] op_sel_hi:[1,0,0]
	v_dual_mul_f32 v8, v7, v3 :: v_dual_mov_b32 v4, v7
	s_delay_alu instid0(VALU_DEP_2) | instskip(NEXT) | instid1(VALU_DEP_2)
	v_dual_mov_b32 v11, v5 :: v_dual_mov_b32 v5, v6
	v_pk_fma_f32 v[8:9], v[6:7], v[38:39], v[8:9] op_sel_hi:[1,1,0] neg_lo:[0,0,1] neg_hi:[0,0,1]
	v_mul_f32_e32 v6, v7, v0
	s_delay_alu instid0(VALU_DEP_3) | instskip(NEXT) | instid1(VALU_DEP_2)
	v_pk_add_f32 v[210:211], v[210:211], v[10:11] neg_lo:[0,1] neg_hi:[0,1]
	v_pk_fma_f32 v[4:5], v[4:5], v[38:39], v[6:7] op_sel_hi:[1,1,0]
	s_delay_alu instid0(VALU_DEP_1) | instskip(SKIP_4) | instid1(VALU_DEP_1)
	v_mov_b32_e32 v9, v5
	ds_load_b64 v[4:5], v168 offset:440
	v_pk_add_f32 v[222:223], v[222:223], v[8:9] neg_lo:[0,1] neg_hi:[0,1]
	s_wait_dscnt 0x0
	v_pk_mul_f32 v[2:3], v[4:5], v[2:3] op_sel:[0,1]
	v_pk_fma_f32 v[6:7], v[4:5], v[0:1], v[2:3] op_sel:[0,0,1] op_sel_hi:[1,1,0] neg_lo:[0,0,1] neg_hi:[0,0,1]
	v_pk_fma_f32 v[0:1], v[4:5], v[0:1], v[2:3] op_sel:[0,0,1] op_sel_hi:[1,0,0]
	s_delay_alu instid0(VALU_DEP_1) | instskip(NEXT) | instid1(VALU_DEP_1)
	v_mov_b32_e32 v7, v1
	v_pk_add_f32 v[224:225], v[224:225], v[6:7] neg_lo:[0,1] neg_hi:[0,1]
.LBB111_100:
	s_wait_xcnt 0x0
	s_or_b32 exec_lo, exec_lo, s1
	s_delay_alu instid0(SALU_CYCLE_1)
	s_mov_b32 s2, exec_lo
	s_wait_storecnt 0x0
	s_barrier_signal -1
	s_barrier_wait -1
	v_cmpx_eq_u32_e32 11, v166
	s_cbranch_execz .LBB111_107
; %bb.101:
	v_dual_mov_b32 v0, v64 :: v_dual_mov_b32 v1, v65
	v_dual_mov_b32 v2, v60 :: v_dual_mov_b32 v3, v61
	ds_store_b64 v167, v[34:35]
	ds_store_2addr_b64 v168, v[0:1], v[2:3] offset0:12 offset1:13
	v_dual_mov_b32 v0, v62 :: v_dual_mov_b32 v1, v63
	v_dual_mov_b32 v2, v58 :: v_dual_mov_b32 v3, v59
	ds_store_2addr_b64 v168, v[0:1], v[2:3] offset0:14 offset1:15
	v_dual_mov_b32 v0, v80 :: v_dual_mov_b32 v1, v81
	v_dual_mov_b32 v2, v76 :: v_dual_mov_b32 v3, v77
	;; [unrolled: 3-line block ×20, first 2 shown]
	ds_store_2addr_b64 v168, v[0:1], v[2:3] offset0:52 offset1:53
	v_dual_mov_b32 v0, v222 :: v_dual_mov_b32 v1, v223
	ds_store_2addr_b64 v168, v[0:1], v[224:225] offset0:54 offset1:55
	ds_load_b64 v[0:1], v167
	s_wait_dscnt 0x0
	v_cmp_neq_f32_e32 vcc_lo, 0, v0
	v_cmp_neq_f32_e64 s1, 0, v1
	s_or_b32 s1, vcc_lo, s1
	s_delay_alu instid0(SALU_CYCLE_1)
	s_and_b32 exec_lo, exec_lo, s1
	s_cbranch_execz .LBB111_107
; %bb.102:
	v_cmp_ngt_f32_e64 s1, |v0|, |v1|
                                        ; implicit-def: $vgpr2_vgpr3
	s_and_saveexec_b32 s4, s1
	s_delay_alu instid0(SALU_CYCLE_1)
	s_xor_b32 s1, exec_lo, s4
	s_cbranch_execz .LBB111_104
; %bb.103:
	v_div_scale_f32 v2, null, v1, v1, v0
	v_div_scale_f32 v5, vcc_lo, v0, v1, v0
	s_delay_alu instid0(VALU_DEP_2) | instskip(SKIP_1) | instid1(TRANS32_DEP_1)
	v_rcp_f32_e32 v3, v2
	v_nop
	v_fma_f32 v4, -v2, v3, 1.0
	s_delay_alu instid0(VALU_DEP_1) | instskip(NEXT) | instid1(VALU_DEP_1)
	v_fmac_f32_e32 v3, v4, v3
	v_mul_f32_e32 v4, v5, v3
	s_delay_alu instid0(VALU_DEP_1) | instskip(NEXT) | instid1(VALU_DEP_1)
	v_fma_f32 v6, -v2, v4, v5
	v_fmac_f32_e32 v4, v6, v3
	s_delay_alu instid0(VALU_DEP_1) | instskip(NEXT) | instid1(VALU_DEP_1)
	v_fma_f32 v2, -v2, v4, v5
	v_div_fmas_f32 v2, v2, v3, v4
	s_delay_alu instid0(VALU_DEP_1) | instskip(NEXT) | instid1(VALU_DEP_1)
	v_div_fixup_f32 v2, v2, v1, v0
	v_fmac_f32_e32 v1, v0, v2
	s_delay_alu instid0(VALU_DEP_1) | instskip(SKIP_1) | instid1(VALU_DEP_2)
	v_div_scale_f32 v0, null, v1, v1, 1.0
	v_div_scale_f32 v5, vcc_lo, 1.0, v1, 1.0
	v_rcp_f32_e32 v3, v0
	v_nop
	s_delay_alu instid0(TRANS32_DEP_1) | instskip(NEXT) | instid1(VALU_DEP_1)
	v_fma_f32 v4, -v0, v3, 1.0
	v_fmac_f32_e32 v3, v4, v3
	s_delay_alu instid0(VALU_DEP_1) | instskip(NEXT) | instid1(VALU_DEP_1)
	v_mul_f32_e32 v4, v5, v3
	v_fma_f32 v6, -v0, v4, v5
	s_delay_alu instid0(VALU_DEP_1) | instskip(NEXT) | instid1(VALU_DEP_1)
	v_fmac_f32_e32 v4, v6, v3
	v_fma_f32 v0, -v0, v4, v5
	s_delay_alu instid0(VALU_DEP_1) | instskip(NEXT) | instid1(VALU_DEP_1)
	v_div_fmas_f32 v0, v0, v3, v4
	v_div_fixup_f32 v0, v0, v1, 1.0
	s_delay_alu instid0(VALU_DEP_1)
	v_mul_f32_e32 v2, v2, v0
	v_xor_b32_e32 v3, 0x80000000, v0
                                        ; implicit-def: $vgpr0_vgpr1
.LBB111_104:
	s_and_not1_saveexec_b32 s1, s1
	s_cbranch_execz .LBB111_106
; %bb.105:
	v_div_scale_f32 v2, null, v0, v0, v1
	v_div_scale_f32 v5, vcc_lo, v1, v0, v1
	s_delay_alu instid0(VALU_DEP_2) | instskip(SKIP_1) | instid1(TRANS32_DEP_1)
	v_rcp_f32_e32 v3, v2
	v_nop
	v_fma_f32 v4, -v2, v3, 1.0
	s_delay_alu instid0(VALU_DEP_1) | instskip(NEXT) | instid1(VALU_DEP_1)
	v_fmac_f32_e32 v3, v4, v3
	v_mul_f32_e32 v4, v5, v3
	s_delay_alu instid0(VALU_DEP_1) | instskip(NEXT) | instid1(VALU_DEP_1)
	v_fma_f32 v6, -v2, v4, v5
	v_fmac_f32_e32 v4, v6, v3
	s_delay_alu instid0(VALU_DEP_1) | instskip(NEXT) | instid1(VALU_DEP_1)
	v_fma_f32 v2, -v2, v4, v5
	v_div_fmas_f32 v2, v2, v3, v4
	s_delay_alu instid0(VALU_DEP_1) | instskip(NEXT) | instid1(VALU_DEP_1)
	v_div_fixup_f32 v3, v2, v0, v1
	v_fmac_f32_e32 v0, v1, v3
	s_delay_alu instid0(VALU_DEP_1) | instskip(NEXT) | instid1(VALU_DEP_1)
	v_div_scale_f32 v1, null, v0, v0, 1.0
	v_rcp_f32_e32 v2, v1
	v_nop
	s_delay_alu instid0(TRANS32_DEP_1) | instskip(NEXT) | instid1(VALU_DEP_1)
	v_fma_f32 v4, -v1, v2, 1.0
	v_fmac_f32_e32 v2, v4, v2
	v_div_scale_f32 v4, vcc_lo, 1.0, v0, 1.0
	s_delay_alu instid0(VALU_DEP_1) | instskip(NEXT) | instid1(VALU_DEP_1)
	v_mul_f32_e32 v5, v4, v2
	v_fma_f32 v6, -v1, v5, v4
	s_delay_alu instid0(VALU_DEP_1) | instskip(NEXT) | instid1(VALU_DEP_1)
	v_fmac_f32_e32 v5, v6, v2
	v_fma_f32 v1, -v1, v5, v4
	s_delay_alu instid0(VALU_DEP_1) | instskip(NEXT) | instid1(VALU_DEP_1)
	v_div_fmas_f32 v1, v1, v2, v5
	v_div_fixup_f32 v2, v1, v0, 1.0
	s_delay_alu instid0(VALU_DEP_1)
	v_mul_f32_e64 v3, v3, -v2
.LBB111_106:
	s_or_b32 exec_lo, exec_lo, s1
	ds_store_b64 v167, v[2:3]
.LBB111_107:
	s_or_b32 exec_lo, exec_lo, s2
	s_wait_dscnt 0x0
	s_barrier_signal -1
	s_barrier_wait -1
	ds_load_b64 v[0:1], v167
	s_mov_b32 s1, exec_lo
	s_wait_dscnt 0x0
	scratch_store_b64 off, v[0:1], off offset:336 ; 8-byte Folded Spill
	s_wait_xcnt 0x0
	v_cmpx_lt_u32_e32 11, v166
	s_cbranch_execz .LBB111_109
; %bb.108:
	scratch_load_b64 v[4:5], off, off offset:336 ; 8-byte Folded Reload
	s_wait_loadcnt 0x0
	v_pk_mul_f32 v[2:3], v[4:5], v[34:35] op_sel:[1,1] op_sel_hi:[0,1]
	s_delay_alu instid0(VALU_DEP_1)
	v_pk_fma_f32 v[0:1], v[4:5], v[34:35], v[2:3] op_sel_hi:[1,0,1] neg_lo:[0,0,1] neg_hi:[0,0,1]
	v_pk_fma_f32 v[2:3], v[4:5], v[34:35], v[2:3] op_sel_hi:[1,0,1]
	ds_load_2addr_b64 v[4:7], v168 offset0:12 offset1:13
	v_dual_mov_b32 v34, v0 :: v_dual_mov_b32 v35, v3
	s_wait_dscnt 0x0
	v_pk_mul_f32 v[8:9], v[4:5], v[2:3] op_sel:[0,1]
	s_delay_alu instid0(VALU_DEP_1) | instskip(SKIP_1) | instid1(VALU_DEP_1)
	v_pk_fma_f32 v[10:11], v[4:5], v[0:1], v[8:9] op_sel:[0,0,1] op_sel_hi:[1,1,0] neg_lo:[0,0,1] neg_hi:[0,0,1]
	v_pk_fma_f32 v[4:5], v[4:5], v[0:1], v[8:9] op_sel:[0,0,1] op_sel_hi:[1,0,0]
	v_mov_b32_e32 v11, v5
	v_pk_mul_f32 v[4:5], v[6:7], v[2:3] op_sel:[0,1]
	s_delay_alu instid0(VALU_DEP_1) | instskip(SKIP_1) | instid1(VALU_DEP_1)
	v_pk_fma_f32 v[8:9], v[6:7], v[0:1], v[4:5] op_sel:[0,0,1] op_sel_hi:[1,1,0] neg_lo:[0,0,1] neg_hi:[0,0,1]
	v_pk_fma_f32 v[4:5], v[6:7], v[0:1], v[4:5] op_sel:[0,0,1] op_sel_hi:[1,0,0]
	v_mov_b32_e32 v9, v5
	ds_load_2addr_b64 v[4:7], v168 offset0:14 offset1:15
	v_pk_add_f32 v[64:65], v[64:65], v[10:11] neg_lo:[0,1] neg_hi:[0,1]
	v_pk_add_f32 v[60:61], v[60:61], v[8:9] neg_lo:[0,1] neg_hi:[0,1]
	s_wait_dscnt 0x0
	v_pk_mul_f32 v[8:9], v[4:5], v[2:3] op_sel:[0,1]
	s_delay_alu instid0(VALU_DEP_1) | instskip(SKIP_2) | instid1(VALU_DEP_2)
	v_pk_fma_f32 v[10:11], v[4:5], v[0:1], v[8:9] op_sel:[0,0,1] op_sel_hi:[1,1,0] neg_lo:[0,0,1] neg_hi:[0,0,1]
	v_pk_fma_f32 v[4:5], v[4:5], v[0:1], v[8:9] op_sel:[0,0,1] op_sel_hi:[1,0,0]
	v_dual_mul_f32 v8, v7, v3 :: v_dual_mov_b32 v4, v7
	v_dual_mov_b32 v11, v5 :: v_dual_mov_b32 v5, v6
	s_delay_alu instid0(VALU_DEP_2) | instskip(SKIP_1) | instid1(VALU_DEP_3)
	v_pk_fma_f32 v[8:9], v[6:7], v[34:35], v[8:9] op_sel_hi:[1,1,0] neg_lo:[0,0,1] neg_hi:[0,0,1]
	v_mul_f32_e32 v6, v7, v0
	v_pk_add_f32 v[62:63], v[62:63], v[10:11] neg_lo:[0,1] neg_hi:[0,1]
	s_delay_alu instid0(VALU_DEP_2) | instskip(NEXT) | instid1(VALU_DEP_1)
	v_pk_fma_f32 v[4:5], v[4:5], v[34:35], v[6:7] op_sel_hi:[1,1,0]
	v_mov_b32_e32 v9, v5
	ds_load_2addr_b64 v[4:7], v168 offset0:16 offset1:17
	v_pk_add_f32 v[58:59], v[58:59], v[8:9] neg_lo:[0,1] neg_hi:[0,1]
	s_wait_dscnt 0x0
	v_pk_mul_f32 v[8:9], v[4:5], v[2:3] op_sel:[0,1]
	s_delay_alu instid0(VALU_DEP_1) | instskip(SKIP_1) | instid1(VALU_DEP_1)
	v_pk_fma_f32 v[10:11], v[4:5], v[0:1], v[8:9] op_sel:[0,0,1] op_sel_hi:[1,1,0] neg_lo:[0,0,1] neg_hi:[0,0,1]
	v_pk_fma_f32 v[4:5], v[4:5], v[0:1], v[8:9] op_sel:[0,0,1] op_sel_hi:[1,0,0]
	v_mov_b32_e32 v11, v5
	v_pk_mul_f32 v[4:5], v[6:7], v[2:3] op_sel:[0,1]
	s_delay_alu instid0(VALU_DEP_1) | instskip(SKIP_1) | instid1(VALU_DEP_1)
	v_pk_fma_f32 v[8:9], v[6:7], v[0:1], v[4:5] op_sel:[0,0,1] op_sel_hi:[1,1,0] neg_lo:[0,0,1] neg_hi:[0,0,1]
	v_pk_fma_f32 v[4:5], v[6:7], v[0:1], v[4:5] op_sel:[0,0,1] op_sel_hi:[1,0,0]
	v_mov_b32_e32 v9, v5
	ds_load_2addr_b64 v[4:7], v168 offset0:18 offset1:19
	v_pk_add_f32 v[80:81], v[80:81], v[10:11] neg_lo:[0,1] neg_hi:[0,1]
	v_pk_add_f32 v[76:77], v[76:77], v[8:9] neg_lo:[0,1] neg_hi:[0,1]
	s_wait_dscnt 0x0
	v_pk_mul_f32 v[8:9], v[4:5], v[2:3] op_sel:[0,1]
	s_delay_alu instid0(VALU_DEP_1) | instskip(SKIP_1) | instid1(VALU_DEP_1)
	v_pk_fma_f32 v[10:11], v[4:5], v[0:1], v[8:9] op_sel:[0,0,1] op_sel_hi:[1,1,0] neg_lo:[0,0,1] neg_hi:[0,0,1]
	v_pk_fma_f32 v[4:5], v[4:5], v[0:1], v[8:9] op_sel:[0,0,1] op_sel_hi:[1,0,0]
	v_mov_b32_e32 v11, v5
	v_pk_mul_f32 v[4:5], v[6:7], v[2:3] op_sel:[0,1]
	s_delay_alu instid0(VALU_DEP_1) | instskip(SKIP_1) | instid1(VALU_DEP_1)
	v_pk_fma_f32 v[8:9], v[6:7], v[0:1], v[4:5] op_sel:[0,0,1] op_sel_hi:[1,1,0] neg_lo:[0,0,1] neg_hi:[0,0,1]
	v_pk_fma_f32 v[4:5], v[6:7], v[0:1], v[4:5] op_sel:[0,0,1] op_sel_hi:[1,0,0]
	v_mov_b32_e32 v9, v5
	ds_load_2addr_b64 v[4:7], v168 offset0:20 offset1:21
	v_pk_add_f32 v[78:79], v[78:79], v[10:11] neg_lo:[0,1] neg_hi:[0,1]
	v_pk_add_f32 v[74:75], v[74:75], v[8:9] neg_lo:[0,1] neg_hi:[0,1]
	s_wait_dscnt 0x0
	v_dual_mul_f32 v8, v5, v3 :: v_dual_mul_f32 v10, v5, v0
	s_delay_alu instid0(VALU_DEP_1) | instskip(NEXT) | instid1(VALU_DEP_2)
	v_pk_fma_f32 v[8:9], v[4:5], v[34:35], v[8:9] op_sel_hi:[1,1,0] neg_lo:[0,0,1] neg_hi:[0,0,1]
	v_pk_fma_f32 v[4:5], v[4:5], v[34:35], v[10:11] op_sel:[1,0,0] op_sel_hi:[0,1,0]
	s_delay_alu instid0(VALU_DEP_1) | instskip(SKIP_1) | instid1(VALU_DEP_2)
	v_mov_b32_e32 v9, v5
	v_pk_mul_f32 v[4:5], v[6:7], v[2:3] op_sel:[0,1]
	v_pk_add_f32 v[98:99], v[98:99], v[8:9] neg_lo:[0,1] neg_hi:[0,1]
	s_delay_alu instid0(VALU_DEP_2) | instskip(SKIP_1) | instid1(VALU_DEP_1)
	v_pk_fma_f32 v[8:9], v[6:7], v[0:1], v[4:5] op_sel:[0,0,1] op_sel_hi:[1,1,0] neg_lo:[0,0,1] neg_hi:[0,0,1]
	v_pk_fma_f32 v[4:5], v[6:7], v[0:1], v[4:5] op_sel:[0,0,1] op_sel_hi:[1,0,0]
	v_mov_b32_e32 v9, v5
	ds_load_2addr_b64 v[4:7], v168 offset0:22 offset1:23
	v_pk_add_f32 v[94:95], v[94:95], v[8:9] neg_lo:[0,1] neg_hi:[0,1]
	s_wait_dscnt 0x0
	v_pk_mul_f32 v[8:9], v[4:5], v[2:3] op_sel:[0,1]
	s_delay_alu instid0(VALU_DEP_1) | instskip(SKIP_1) | instid1(VALU_DEP_1)
	v_pk_fma_f32 v[10:11], v[4:5], v[0:1], v[8:9] op_sel:[0,0,1] op_sel_hi:[1,1,0] neg_lo:[0,0,1] neg_hi:[0,0,1]
	v_pk_fma_f32 v[4:5], v[4:5], v[0:1], v[8:9] op_sel:[0,0,1] op_sel_hi:[1,0,0]
	v_mov_b32_e32 v11, v5
	v_pk_mul_f32 v[4:5], v[6:7], v[2:3] op_sel:[0,1]
	s_delay_alu instid0(VALU_DEP_2) | instskip(NEXT) | instid1(VALU_DEP_2)
	v_pk_add_f32 v[96:97], v[96:97], v[10:11] neg_lo:[0,1] neg_hi:[0,1]
	v_pk_fma_f32 v[8:9], v[6:7], v[0:1], v[4:5] op_sel:[0,0,1] op_sel_hi:[1,1,0] neg_lo:[0,0,1] neg_hi:[0,0,1]
	v_pk_fma_f32 v[4:5], v[6:7], v[0:1], v[4:5] op_sel:[0,0,1] op_sel_hi:[1,0,0]
	s_delay_alu instid0(VALU_DEP_1) | instskip(SKIP_4) | instid1(VALU_DEP_1)
	v_mov_b32_e32 v9, v5
	ds_load_2addr_b64 v[4:7], v168 offset0:24 offset1:25
	v_pk_add_f32 v[92:93], v[92:93], v[8:9] neg_lo:[0,1] neg_hi:[0,1]
	s_wait_dscnt 0x0
	v_pk_mul_f32 v[8:9], v[4:5], v[2:3] op_sel:[0,1]
	v_pk_fma_f32 v[10:11], v[4:5], v[0:1], v[8:9] op_sel:[0,0,1] op_sel_hi:[1,1,0] neg_lo:[0,0,1] neg_hi:[0,0,1]
	v_pk_fma_f32 v[4:5], v[4:5], v[0:1], v[8:9] op_sel:[0,0,1] op_sel_hi:[1,0,0]
	v_dual_mul_f32 v8, v7, v3 :: v_dual_mov_b32 v4, v7
	s_delay_alu instid0(VALU_DEP_2) | instskip(NEXT) | instid1(VALU_DEP_2)
	v_dual_mov_b32 v11, v5 :: v_dual_mov_b32 v5, v6
	v_pk_fma_f32 v[8:9], v[6:7], v[34:35], v[8:9] op_sel_hi:[1,1,0] neg_lo:[0,0,1] neg_hi:[0,0,1]
	v_mul_f32_e32 v6, v7, v0
	s_delay_alu instid0(VALU_DEP_3) | instskip(NEXT) | instid1(VALU_DEP_2)
	v_pk_add_f32 v[114:115], v[114:115], v[10:11] neg_lo:[0,1] neg_hi:[0,1]
	v_pk_fma_f32 v[4:5], v[4:5], v[34:35], v[6:7] op_sel_hi:[1,1,0]
	s_delay_alu instid0(VALU_DEP_1) | instskip(SKIP_4) | instid1(VALU_DEP_1)
	v_mov_b32_e32 v9, v5
	ds_load_2addr_b64 v[4:7], v168 offset0:26 offset1:27
	v_pk_add_f32 v[110:111], v[110:111], v[8:9] neg_lo:[0,1] neg_hi:[0,1]
	s_wait_dscnt 0x0
	v_pk_mul_f32 v[8:9], v[4:5], v[2:3] op_sel:[0,1]
	v_pk_fma_f32 v[10:11], v[4:5], v[0:1], v[8:9] op_sel:[0,0,1] op_sel_hi:[1,1,0] neg_lo:[0,0,1] neg_hi:[0,0,1]
	v_pk_fma_f32 v[4:5], v[4:5], v[0:1], v[8:9] op_sel:[0,0,1] op_sel_hi:[1,0,0]
	s_delay_alu instid0(VALU_DEP_1) | instskip(SKIP_1) | instid1(VALU_DEP_1)
	v_mov_b32_e32 v11, v5
	v_pk_mul_f32 v[4:5], v[6:7], v[2:3] op_sel:[0,1]
	v_pk_fma_f32 v[8:9], v[6:7], v[0:1], v[4:5] op_sel:[0,0,1] op_sel_hi:[1,1,0] neg_lo:[0,0,1] neg_hi:[0,0,1]
	v_pk_fma_f32 v[4:5], v[6:7], v[0:1], v[4:5] op_sel:[0,0,1] op_sel_hi:[1,0,0]
	s_delay_alu instid0(VALU_DEP_1)
	v_mov_b32_e32 v9, v5
	ds_load_2addr_b64 v[4:7], v168 offset0:28 offset1:29
	v_pk_add_f32 v[112:113], v[112:113], v[10:11] neg_lo:[0,1] neg_hi:[0,1]
	v_pk_add_f32 v[108:109], v[108:109], v[8:9] neg_lo:[0,1] neg_hi:[0,1]
	s_wait_dscnt 0x0
	v_pk_mul_f32 v[8:9], v[4:5], v[2:3] op_sel:[0,1]
	s_delay_alu instid0(VALU_DEP_1) | instskip(SKIP_1) | instid1(VALU_DEP_1)
	v_pk_fma_f32 v[10:11], v[4:5], v[0:1], v[8:9] op_sel:[0,0,1] op_sel_hi:[1,1,0] neg_lo:[0,0,1] neg_hi:[0,0,1]
	v_pk_fma_f32 v[4:5], v[4:5], v[0:1], v[8:9] op_sel:[0,0,1] op_sel_hi:[1,0,0]
	v_mov_b32_e32 v11, v5
	v_pk_mul_f32 v[4:5], v[6:7], v[2:3] op_sel:[0,1]
	s_delay_alu instid0(VALU_DEP_1) | instskip(SKIP_1) | instid1(VALU_DEP_1)
	v_pk_fma_f32 v[8:9], v[6:7], v[0:1], v[4:5] op_sel:[0,0,1] op_sel_hi:[1,1,0] neg_lo:[0,0,1] neg_hi:[0,0,1]
	v_pk_fma_f32 v[4:5], v[6:7], v[0:1], v[4:5] op_sel:[0,0,1] op_sel_hi:[1,0,0]
	v_mov_b32_e32 v9, v5
	ds_load_2addr_b64 v[4:7], v168 offset0:30 offset1:31
	v_pk_add_f32 v[130:131], v[130:131], v[10:11] neg_lo:[0,1] neg_hi:[0,1]
	v_pk_add_f32 v[126:127], v[126:127], v[8:9] neg_lo:[0,1] neg_hi:[0,1]
	s_wait_dscnt 0x0
	v_dual_mul_f32 v8, v5, v3 :: v_dual_mul_f32 v10, v5, v0
	s_delay_alu instid0(VALU_DEP_1) | instskip(NEXT) | instid1(VALU_DEP_2)
	v_pk_fma_f32 v[8:9], v[4:5], v[34:35], v[8:9] op_sel_hi:[1,1,0] neg_lo:[0,0,1] neg_hi:[0,0,1]
	v_pk_fma_f32 v[4:5], v[4:5], v[34:35], v[10:11] op_sel:[1,0,0] op_sel_hi:[0,1,0]
	s_delay_alu instid0(VALU_DEP_1) | instskip(SKIP_1) | instid1(VALU_DEP_2)
	v_mov_b32_e32 v9, v5
	v_pk_mul_f32 v[4:5], v[6:7], v[2:3] op_sel:[0,1]
	v_pk_add_f32 v[128:129], v[128:129], v[8:9] neg_lo:[0,1] neg_hi:[0,1]
	s_delay_alu instid0(VALU_DEP_2) | instskip(SKIP_1) | instid1(VALU_DEP_1)
	v_pk_fma_f32 v[8:9], v[6:7], v[0:1], v[4:5] op_sel:[0,0,1] op_sel_hi:[1,1,0] neg_lo:[0,0,1] neg_hi:[0,0,1]
	v_pk_fma_f32 v[4:5], v[6:7], v[0:1], v[4:5] op_sel:[0,0,1] op_sel_hi:[1,0,0]
	v_mov_b32_e32 v9, v5
	ds_load_2addr_b64 v[4:7], v168 offset0:32 offset1:33
	v_pk_add_f32 v[124:125], v[124:125], v[8:9] neg_lo:[0,1] neg_hi:[0,1]
	s_wait_dscnt 0x0
	v_pk_mul_f32 v[8:9], v[4:5], v[2:3] op_sel:[0,1]
	s_delay_alu instid0(VALU_DEP_1) | instskip(SKIP_1) | instid1(VALU_DEP_1)
	v_pk_fma_f32 v[10:11], v[4:5], v[0:1], v[8:9] op_sel:[0,0,1] op_sel_hi:[1,1,0] neg_lo:[0,0,1] neg_hi:[0,0,1]
	v_pk_fma_f32 v[4:5], v[4:5], v[0:1], v[8:9] op_sel:[0,0,1] op_sel_hi:[1,0,0]
	v_mov_b32_e32 v11, v5
	v_pk_mul_f32 v[4:5], v[6:7], v[2:3] op_sel:[0,1]
	s_delay_alu instid0(VALU_DEP_2) | instskip(NEXT) | instid1(VALU_DEP_2)
	v_pk_add_f32 v[146:147], v[146:147], v[10:11] neg_lo:[0,1] neg_hi:[0,1]
	v_pk_fma_f32 v[8:9], v[6:7], v[0:1], v[4:5] op_sel:[0,0,1] op_sel_hi:[1,1,0] neg_lo:[0,0,1] neg_hi:[0,0,1]
	v_pk_fma_f32 v[4:5], v[6:7], v[0:1], v[4:5] op_sel:[0,0,1] op_sel_hi:[1,0,0]
	s_delay_alu instid0(VALU_DEP_1) | instskip(SKIP_4) | instid1(VALU_DEP_1)
	v_mov_b32_e32 v9, v5
	ds_load_2addr_b64 v[4:7], v168 offset0:34 offset1:35
	v_pk_add_f32 v[142:143], v[142:143], v[8:9] neg_lo:[0,1] neg_hi:[0,1]
	s_wait_dscnt 0x0
	v_pk_mul_f32 v[8:9], v[4:5], v[2:3] op_sel:[0,1]
	v_pk_fma_f32 v[10:11], v[4:5], v[0:1], v[8:9] op_sel:[0,0,1] op_sel_hi:[1,1,0] neg_lo:[0,0,1] neg_hi:[0,0,1]
	v_pk_fma_f32 v[4:5], v[4:5], v[0:1], v[8:9] op_sel:[0,0,1] op_sel_hi:[1,0,0]
	v_dual_mul_f32 v8, v7, v3 :: v_dual_mov_b32 v4, v7
	s_delay_alu instid0(VALU_DEP_2) | instskip(NEXT) | instid1(VALU_DEP_2)
	v_dual_mov_b32 v11, v5 :: v_dual_mov_b32 v5, v6
	v_pk_fma_f32 v[8:9], v[6:7], v[34:35], v[8:9] op_sel_hi:[1,1,0] neg_lo:[0,0,1] neg_hi:[0,0,1]
	v_mul_f32_e32 v6, v7, v0
	s_delay_alu instid0(VALU_DEP_3) | instskip(NEXT) | instid1(VALU_DEP_2)
	v_pk_add_f32 v[144:145], v[144:145], v[10:11] neg_lo:[0,1] neg_hi:[0,1]
	v_pk_fma_f32 v[4:5], v[4:5], v[34:35], v[6:7] op_sel_hi:[1,1,0]
	s_delay_alu instid0(VALU_DEP_1) | instskip(SKIP_4) | instid1(VALU_DEP_1)
	v_mov_b32_e32 v9, v5
	ds_load_2addr_b64 v[4:7], v168 offset0:36 offset1:37
	v_pk_add_f32 v[140:141], v[140:141], v[8:9] neg_lo:[0,1] neg_hi:[0,1]
	s_wait_dscnt 0x0
	v_pk_mul_f32 v[8:9], v[4:5], v[2:3] op_sel:[0,1]
	v_pk_fma_f32 v[10:11], v[4:5], v[0:1], v[8:9] op_sel:[0,0,1] op_sel_hi:[1,1,0] neg_lo:[0,0,1] neg_hi:[0,0,1]
	v_pk_fma_f32 v[4:5], v[4:5], v[0:1], v[8:9] op_sel:[0,0,1] op_sel_hi:[1,0,0]
	s_delay_alu instid0(VALU_DEP_1) | instskip(SKIP_1) | instid1(VALU_DEP_1)
	v_mov_b32_e32 v11, v5
	v_pk_mul_f32 v[4:5], v[6:7], v[2:3] op_sel:[0,1]
	v_pk_fma_f32 v[8:9], v[6:7], v[0:1], v[4:5] op_sel:[0,0,1] op_sel_hi:[1,1,0] neg_lo:[0,0,1] neg_hi:[0,0,1]
	v_pk_fma_f32 v[4:5], v[6:7], v[0:1], v[4:5] op_sel:[0,0,1] op_sel_hi:[1,0,0]
	s_delay_alu instid0(VALU_DEP_1)
	v_mov_b32_e32 v9, v5
	ds_load_2addr_b64 v[4:7], v168 offset0:38 offset1:39
	v_pk_add_f32 v[162:163], v[162:163], v[10:11] neg_lo:[0,1] neg_hi:[0,1]
	v_pk_add_f32 v[158:159], v[158:159], v[8:9] neg_lo:[0,1] neg_hi:[0,1]
	s_wait_dscnt 0x0
	v_pk_mul_f32 v[8:9], v[4:5], v[2:3] op_sel:[0,1]
	s_delay_alu instid0(VALU_DEP_1) | instskip(SKIP_1) | instid1(VALU_DEP_1)
	v_pk_fma_f32 v[10:11], v[4:5], v[0:1], v[8:9] op_sel:[0,0,1] op_sel_hi:[1,1,0] neg_lo:[0,0,1] neg_hi:[0,0,1]
	v_pk_fma_f32 v[4:5], v[4:5], v[0:1], v[8:9] op_sel:[0,0,1] op_sel_hi:[1,0,0]
	v_mov_b32_e32 v11, v5
	v_pk_mul_f32 v[4:5], v[6:7], v[2:3] op_sel:[0,1]
	s_delay_alu instid0(VALU_DEP_1) | instskip(SKIP_1) | instid1(VALU_DEP_1)
	v_pk_fma_f32 v[8:9], v[6:7], v[0:1], v[4:5] op_sel:[0,0,1] op_sel_hi:[1,1,0] neg_lo:[0,0,1] neg_hi:[0,0,1]
	v_pk_fma_f32 v[4:5], v[6:7], v[0:1], v[4:5] op_sel:[0,0,1] op_sel_hi:[1,0,0]
	v_mov_b32_e32 v9, v5
	ds_load_2addr_b64 v[4:7], v168 offset0:40 offset1:41
	v_pk_add_f32 v[160:161], v[160:161], v[10:11] neg_lo:[0,1] neg_hi:[0,1]
	v_pk_add_f32 v[156:157], v[156:157], v[8:9] neg_lo:[0,1] neg_hi:[0,1]
	s_wait_dscnt 0x0
	v_dual_mul_f32 v8, v5, v3 :: v_dual_mul_f32 v10, v5, v0
	s_delay_alu instid0(VALU_DEP_1) | instskip(NEXT) | instid1(VALU_DEP_2)
	v_pk_fma_f32 v[8:9], v[4:5], v[34:35], v[8:9] op_sel_hi:[1,1,0] neg_lo:[0,0,1] neg_hi:[0,0,1]
	v_pk_fma_f32 v[4:5], v[4:5], v[34:35], v[10:11] op_sel:[1,0,0] op_sel_hi:[0,1,0]
	s_delay_alu instid0(VALU_DEP_1) | instskip(SKIP_1) | instid1(VALU_DEP_2)
	v_mov_b32_e32 v9, v5
	v_pk_mul_f32 v[4:5], v[6:7], v[2:3] op_sel:[0,1]
	v_pk_add_f32 v[178:179], v[178:179], v[8:9] neg_lo:[0,1] neg_hi:[0,1]
	s_delay_alu instid0(VALU_DEP_2) | instskip(SKIP_1) | instid1(VALU_DEP_1)
	v_pk_fma_f32 v[8:9], v[6:7], v[0:1], v[4:5] op_sel:[0,0,1] op_sel_hi:[1,1,0] neg_lo:[0,0,1] neg_hi:[0,0,1]
	v_pk_fma_f32 v[4:5], v[6:7], v[0:1], v[4:5] op_sel:[0,0,1] op_sel_hi:[1,0,0]
	v_mov_b32_e32 v9, v5
	ds_load_2addr_b64 v[4:7], v168 offset0:42 offset1:43
	v_pk_add_f32 v[174:175], v[174:175], v[8:9] neg_lo:[0,1] neg_hi:[0,1]
	s_wait_dscnt 0x0
	v_pk_mul_f32 v[8:9], v[4:5], v[2:3] op_sel:[0,1]
	s_delay_alu instid0(VALU_DEP_1) | instskip(SKIP_1) | instid1(VALU_DEP_1)
	v_pk_fma_f32 v[10:11], v[4:5], v[0:1], v[8:9] op_sel:[0,0,1] op_sel_hi:[1,1,0] neg_lo:[0,0,1] neg_hi:[0,0,1]
	v_pk_fma_f32 v[4:5], v[4:5], v[0:1], v[8:9] op_sel:[0,0,1] op_sel_hi:[1,0,0]
	v_mov_b32_e32 v11, v5
	v_pk_mul_f32 v[4:5], v[6:7], v[2:3] op_sel:[0,1]
	s_delay_alu instid0(VALU_DEP_2) | instskip(NEXT) | instid1(VALU_DEP_2)
	v_pk_add_f32 v[176:177], v[176:177], v[10:11] neg_lo:[0,1] neg_hi:[0,1]
	v_pk_fma_f32 v[8:9], v[6:7], v[0:1], v[4:5] op_sel:[0,0,1] op_sel_hi:[1,1,0] neg_lo:[0,0,1] neg_hi:[0,0,1]
	v_pk_fma_f32 v[4:5], v[6:7], v[0:1], v[4:5] op_sel:[0,0,1] op_sel_hi:[1,0,0]
	s_delay_alu instid0(VALU_DEP_1) | instskip(SKIP_4) | instid1(VALU_DEP_1)
	v_mov_b32_e32 v9, v5
	ds_load_2addr_b64 v[4:7], v168 offset0:44 offset1:45
	v_pk_add_f32 v[172:173], v[172:173], v[8:9] neg_lo:[0,1] neg_hi:[0,1]
	s_wait_dscnt 0x0
	v_pk_mul_f32 v[8:9], v[4:5], v[2:3] op_sel:[0,1]
	v_pk_fma_f32 v[10:11], v[4:5], v[0:1], v[8:9] op_sel:[0,0,1] op_sel_hi:[1,1,0] neg_lo:[0,0,1] neg_hi:[0,0,1]
	v_pk_fma_f32 v[4:5], v[4:5], v[0:1], v[8:9] op_sel:[0,0,1] op_sel_hi:[1,0,0]
	v_dual_mul_f32 v8, v7, v3 :: v_dual_mov_b32 v4, v7
	s_delay_alu instid0(VALU_DEP_2) | instskip(NEXT) | instid1(VALU_DEP_2)
	v_dual_mov_b32 v11, v5 :: v_dual_mov_b32 v5, v6
	v_pk_fma_f32 v[8:9], v[6:7], v[34:35], v[8:9] op_sel_hi:[1,1,0] neg_lo:[0,0,1] neg_hi:[0,0,1]
	v_mul_f32_e32 v6, v7, v0
	s_delay_alu instid0(VALU_DEP_3) | instskip(NEXT) | instid1(VALU_DEP_2)
	v_pk_add_f32 v[198:199], v[198:199], v[10:11] neg_lo:[0,1] neg_hi:[0,1]
	v_pk_fma_f32 v[4:5], v[4:5], v[34:35], v[6:7] op_sel_hi:[1,1,0]
	s_delay_alu instid0(VALU_DEP_1) | instskip(SKIP_4) | instid1(VALU_DEP_1)
	v_mov_b32_e32 v9, v5
	ds_load_2addr_b64 v[4:7], v168 offset0:46 offset1:47
	v_pk_add_f32 v[194:195], v[194:195], v[8:9] neg_lo:[0,1] neg_hi:[0,1]
	s_wait_dscnt 0x0
	v_pk_mul_f32 v[8:9], v[4:5], v[2:3] op_sel:[0,1]
	v_pk_fma_f32 v[10:11], v[4:5], v[0:1], v[8:9] op_sel:[0,0,1] op_sel_hi:[1,1,0] neg_lo:[0,0,1] neg_hi:[0,0,1]
	v_pk_fma_f32 v[4:5], v[4:5], v[0:1], v[8:9] op_sel:[0,0,1] op_sel_hi:[1,0,0]
	s_delay_alu instid0(VALU_DEP_1) | instskip(SKIP_1) | instid1(VALU_DEP_1)
	v_mov_b32_e32 v11, v5
	v_pk_mul_f32 v[4:5], v[6:7], v[2:3] op_sel:[0,1]
	v_pk_fma_f32 v[8:9], v[6:7], v[0:1], v[4:5] op_sel:[0,0,1] op_sel_hi:[1,1,0] neg_lo:[0,0,1] neg_hi:[0,0,1]
	v_pk_fma_f32 v[4:5], v[6:7], v[0:1], v[4:5] op_sel:[0,0,1] op_sel_hi:[1,0,0]
	s_delay_alu instid0(VALU_DEP_1)
	v_mov_b32_e32 v9, v5
	ds_load_2addr_b64 v[4:7], v168 offset0:48 offset1:49
	v_pk_add_f32 v[196:197], v[196:197], v[10:11] neg_lo:[0,1] neg_hi:[0,1]
	v_pk_add_f32 v[192:193], v[192:193], v[8:9] neg_lo:[0,1] neg_hi:[0,1]
	s_wait_dscnt 0x0
	v_pk_mul_f32 v[8:9], v[4:5], v[2:3] op_sel:[0,1]
	s_delay_alu instid0(VALU_DEP_1) | instskip(SKIP_1) | instid1(VALU_DEP_1)
	v_pk_fma_f32 v[10:11], v[4:5], v[0:1], v[8:9] op_sel:[0,0,1] op_sel_hi:[1,1,0] neg_lo:[0,0,1] neg_hi:[0,0,1]
	v_pk_fma_f32 v[4:5], v[4:5], v[0:1], v[8:9] op_sel:[0,0,1] op_sel_hi:[1,0,0]
	v_mov_b32_e32 v11, v5
	v_pk_mul_f32 v[4:5], v[6:7], v[2:3] op_sel:[0,1]
	s_delay_alu instid0(VALU_DEP_1) | instskip(SKIP_1) | instid1(VALU_DEP_1)
	v_pk_fma_f32 v[8:9], v[6:7], v[0:1], v[4:5] op_sel:[0,0,1] op_sel_hi:[1,1,0] neg_lo:[0,0,1] neg_hi:[0,0,1]
	v_pk_fma_f32 v[4:5], v[6:7], v[0:1], v[4:5] op_sel:[0,0,1] op_sel_hi:[1,0,0]
	v_mov_b32_e32 v9, v5
	ds_load_2addr_b64 v[4:7], v168 offset0:50 offset1:51
	v_pk_add_f32 v[220:221], v[220:221], v[10:11] neg_lo:[0,1] neg_hi:[0,1]
	v_pk_add_f32 v[214:215], v[214:215], v[8:9] neg_lo:[0,1] neg_hi:[0,1]
	s_wait_dscnt 0x0
	v_dual_mul_f32 v8, v5, v3 :: v_dual_mul_f32 v10, v5, v0
	s_delay_alu instid0(VALU_DEP_1) | instskip(NEXT) | instid1(VALU_DEP_2)
	v_pk_fma_f32 v[8:9], v[4:5], v[34:35], v[8:9] op_sel_hi:[1,1,0] neg_lo:[0,0,1] neg_hi:[0,0,1]
	v_pk_fma_f32 v[4:5], v[4:5], v[34:35], v[10:11] op_sel:[1,0,0] op_sel_hi:[0,1,0]
	s_delay_alu instid0(VALU_DEP_1) | instskip(SKIP_1) | instid1(VALU_DEP_2)
	v_mov_b32_e32 v9, v5
	v_pk_mul_f32 v[4:5], v[6:7], v[2:3] op_sel:[0,1]
	v_pk_add_f32 v[218:219], v[218:219], v[8:9] neg_lo:[0,1] neg_hi:[0,1]
	s_delay_alu instid0(VALU_DEP_2) | instskip(SKIP_1) | instid1(VALU_DEP_1)
	v_pk_fma_f32 v[8:9], v[6:7], v[0:1], v[4:5] op_sel:[0,0,1] op_sel_hi:[1,1,0] neg_lo:[0,0,1] neg_hi:[0,0,1]
	v_pk_fma_f32 v[4:5], v[6:7], v[0:1], v[4:5] op_sel:[0,0,1] op_sel_hi:[1,0,0]
	v_mov_b32_e32 v9, v5
	ds_load_2addr_b64 v[4:7], v168 offset0:52 offset1:53
	v_pk_add_f32 v[212:213], v[212:213], v[8:9] neg_lo:[0,1] neg_hi:[0,1]
	s_wait_dscnt 0x0
	v_pk_mul_f32 v[8:9], v[4:5], v[2:3] op_sel:[0,1]
	s_delay_alu instid0(VALU_DEP_1) | instskip(SKIP_1) | instid1(VALU_DEP_1)
	v_pk_fma_f32 v[10:11], v[4:5], v[0:1], v[8:9] op_sel:[0,0,1] op_sel_hi:[1,1,0] neg_lo:[0,0,1] neg_hi:[0,0,1]
	v_pk_fma_f32 v[4:5], v[4:5], v[0:1], v[8:9] op_sel:[0,0,1] op_sel_hi:[1,0,0]
	v_mov_b32_e32 v11, v5
	v_pk_mul_f32 v[4:5], v[6:7], v[2:3] op_sel:[0,1]
	s_delay_alu instid0(VALU_DEP_2) | instskip(NEXT) | instid1(VALU_DEP_2)
	v_pk_add_f32 v[216:217], v[216:217], v[10:11] neg_lo:[0,1] neg_hi:[0,1]
	v_pk_fma_f32 v[8:9], v[6:7], v[0:1], v[4:5] op_sel:[0,0,1] op_sel_hi:[1,1,0] neg_lo:[0,0,1] neg_hi:[0,0,1]
	v_pk_fma_f32 v[4:5], v[6:7], v[0:1], v[4:5] op_sel:[0,0,1] op_sel_hi:[1,0,0]
	s_delay_alu instid0(VALU_DEP_1)
	v_mov_b32_e32 v9, v5
	ds_load_2addr_b64 v[4:7], v168 offset0:54 offset1:55
	v_pk_add_f32 v[210:211], v[210:211], v[8:9] neg_lo:[0,1] neg_hi:[0,1]
	s_wait_dscnt 0x0
	v_pk_mul_f32 v[8:9], v[4:5], v[2:3] op_sel:[0,1]
	v_pk_mul_f32 v[2:3], v[6:7], v[2:3] op_sel:[0,1]
	s_delay_alu instid0(VALU_DEP_2) | instskip(SKIP_1) | instid1(VALU_DEP_1)
	v_pk_fma_f32 v[10:11], v[4:5], v[0:1], v[8:9] op_sel:[0,0,1] op_sel_hi:[1,1,0] neg_lo:[0,0,1] neg_hi:[0,0,1]
	v_pk_fma_f32 v[4:5], v[4:5], v[0:1], v[8:9] op_sel:[0,0,1] op_sel_hi:[1,0,0]
	v_mov_b32_e32 v11, v5
	s_delay_alu instid0(VALU_DEP_4) | instskip(SKIP_1) | instid1(VALU_DEP_3)
	v_pk_fma_f32 v[4:5], v[6:7], v[0:1], v[2:3] op_sel:[0,0,1] op_sel_hi:[1,1,0] neg_lo:[0,0,1] neg_hi:[0,0,1]
	v_pk_fma_f32 v[0:1], v[6:7], v[0:1], v[2:3] op_sel:[0,0,1] op_sel_hi:[1,0,0]
	v_pk_add_f32 v[222:223], v[222:223], v[10:11] neg_lo:[0,1] neg_hi:[0,1]
	s_delay_alu instid0(VALU_DEP_2) | instskip(NEXT) | instid1(VALU_DEP_1)
	v_mov_b32_e32 v5, v1
	v_pk_add_f32 v[224:225], v[224:225], v[4:5] neg_lo:[0,1] neg_hi:[0,1]
.LBB111_109:
	s_wait_xcnt 0x0
	s_or_b32 exec_lo, exec_lo, s1
	s_delay_alu instid0(SALU_CYCLE_1)
	s_mov_b32 s2, exec_lo
	s_wait_storecnt 0x0
	s_barrier_signal -1
	s_barrier_wait -1
	v_cmpx_eq_u32_e32 12, v166
	s_cbranch_execz .LBB111_116
; %bb.110:
	ds_store_b64 v167, v[64:65]
	ds_store_2addr_b64 v168, v[60:61], v[62:63] offset0:13 offset1:14
	ds_store_2addr_b64 v168, v[58:59], v[80:81] offset0:15 offset1:16
	ds_store_2addr_b64 v168, v[76:77], v[78:79] offset0:17 offset1:18
	ds_store_2addr_b64 v168, v[74:75], v[98:99] offset0:19 offset1:20
	ds_store_2addr_b64 v168, v[94:95], v[96:97] offset0:21 offset1:22
	ds_store_2addr_b64 v168, v[92:93], v[114:115] offset0:23 offset1:24
	ds_store_2addr_b64 v168, v[110:111], v[112:113] offset0:25 offset1:26
	ds_store_2addr_b64 v168, v[108:109], v[130:131] offset0:27 offset1:28
	ds_store_2addr_b64 v168, v[126:127], v[128:129] offset0:29 offset1:30
	ds_store_2addr_b64 v168, v[124:125], v[146:147] offset0:31 offset1:32
	ds_store_2addr_b64 v168, v[142:143], v[144:145] offset0:33 offset1:34
	ds_store_2addr_b64 v168, v[140:141], v[162:163] offset0:35 offset1:36
	ds_store_2addr_b64 v168, v[158:159], v[160:161] offset0:37 offset1:38
	ds_store_2addr_b64 v168, v[156:157], v[178:179] offset0:39 offset1:40
	ds_store_2addr_b64 v168, v[174:175], v[176:177] offset0:41 offset1:42
	ds_store_2addr_b64 v168, v[172:173], v[198:199] offset0:43 offset1:44
	ds_store_2addr_b64 v168, v[194:195], v[196:197] offset0:45 offset1:46
	ds_store_2addr_b64 v168, v[192:193], v[220:221] offset0:47 offset1:48
	ds_store_2addr_b64 v168, v[214:215], v[218:219] offset0:49 offset1:50
	ds_store_2addr_b64 v168, v[212:213], v[216:217] offset0:51 offset1:52
	ds_store_2addr_b64 v168, v[210:211], v[222:223] offset0:53 offset1:54
	ds_store_b64 v168, v[224:225] offset:440
	ds_load_b64 v[0:1], v167
	s_wait_dscnt 0x0
	v_cmp_neq_f32_e32 vcc_lo, 0, v0
	v_cmp_neq_f32_e64 s1, 0, v1
	s_or_b32 s1, vcc_lo, s1
	s_delay_alu instid0(SALU_CYCLE_1)
	s_and_b32 exec_lo, exec_lo, s1
	s_cbranch_execz .LBB111_116
; %bb.111:
	v_cmp_ngt_f32_e64 s1, |v0|, |v1|
                                        ; implicit-def: $vgpr2_vgpr3
	s_and_saveexec_b32 s4, s1
	s_delay_alu instid0(SALU_CYCLE_1)
	s_xor_b32 s1, exec_lo, s4
	s_cbranch_execz .LBB111_113
; %bb.112:
	v_div_scale_f32 v2, null, v1, v1, v0
	v_div_scale_f32 v5, vcc_lo, v0, v1, v0
	s_delay_alu instid0(VALU_DEP_2) | instskip(SKIP_1) | instid1(TRANS32_DEP_1)
	v_rcp_f32_e32 v3, v2
	v_nop
	v_fma_f32 v4, -v2, v3, 1.0
	s_delay_alu instid0(VALU_DEP_1) | instskip(NEXT) | instid1(VALU_DEP_1)
	v_fmac_f32_e32 v3, v4, v3
	v_mul_f32_e32 v4, v5, v3
	s_delay_alu instid0(VALU_DEP_1) | instskip(NEXT) | instid1(VALU_DEP_1)
	v_fma_f32 v6, -v2, v4, v5
	v_fmac_f32_e32 v4, v6, v3
	s_delay_alu instid0(VALU_DEP_1) | instskip(NEXT) | instid1(VALU_DEP_1)
	v_fma_f32 v2, -v2, v4, v5
	v_div_fmas_f32 v2, v2, v3, v4
	s_delay_alu instid0(VALU_DEP_1) | instskip(NEXT) | instid1(VALU_DEP_1)
	v_div_fixup_f32 v2, v2, v1, v0
	v_fmac_f32_e32 v1, v0, v2
	s_delay_alu instid0(VALU_DEP_1) | instskip(SKIP_1) | instid1(VALU_DEP_2)
	v_div_scale_f32 v0, null, v1, v1, 1.0
	v_div_scale_f32 v5, vcc_lo, 1.0, v1, 1.0
	v_rcp_f32_e32 v3, v0
	v_nop
	s_delay_alu instid0(TRANS32_DEP_1) | instskip(NEXT) | instid1(VALU_DEP_1)
	v_fma_f32 v4, -v0, v3, 1.0
	v_fmac_f32_e32 v3, v4, v3
	s_delay_alu instid0(VALU_DEP_1) | instskip(NEXT) | instid1(VALU_DEP_1)
	v_mul_f32_e32 v4, v5, v3
	v_fma_f32 v6, -v0, v4, v5
	s_delay_alu instid0(VALU_DEP_1) | instskip(NEXT) | instid1(VALU_DEP_1)
	v_fmac_f32_e32 v4, v6, v3
	v_fma_f32 v0, -v0, v4, v5
	s_delay_alu instid0(VALU_DEP_1) | instskip(NEXT) | instid1(VALU_DEP_1)
	v_div_fmas_f32 v0, v0, v3, v4
	v_div_fixup_f32 v0, v0, v1, 1.0
	s_delay_alu instid0(VALU_DEP_1)
	v_mul_f32_e32 v2, v2, v0
	v_xor_b32_e32 v3, 0x80000000, v0
                                        ; implicit-def: $vgpr0_vgpr1
.LBB111_113:
	s_and_not1_saveexec_b32 s1, s1
	s_cbranch_execz .LBB111_115
; %bb.114:
	v_div_scale_f32 v2, null, v0, v0, v1
	v_div_scale_f32 v5, vcc_lo, v1, v0, v1
	s_delay_alu instid0(VALU_DEP_2) | instskip(SKIP_1) | instid1(TRANS32_DEP_1)
	v_rcp_f32_e32 v3, v2
	v_nop
	v_fma_f32 v4, -v2, v3, 1.0
	s_delay_alu instid0(VALU_DEP_1) | instskip(NEXT) | instid1(VALU_DEP_1)
	v_fmac_f32_e32 v3, v4, v3
	v_mul_f32_e32 v4, v5, v3
	s_delay_alu instid0(VALU_DEP_1) | instskip(NEXT) | instid1(VALU_DEP_1)
	v_fma_f32 v6, -v2, v4, v5
	v_fmac_f32_e32 v4, v6, v3
	s_delay_alu instid0(VALU_DEP_1) | instskip(NEXT) | instid1(VALU_DEP_1)
	v_fma_f32 v2, -v2, v4, v5
	v_div_fmas_f32 v2, v2, v3, v4
	s_delay_alu instid0(VALU_DEP_1) | instskip(NEXT) | instid1(VALU_DEP_1)
	v_div_fixup_f32 v3, v2, v0, v1
	v_fmac_f32_e32 v0, v1, v3
	s_delay_alu instid0(VALU_DEP_1) | instskip(NEXT) | instid1(VALU_DEP_1)
	v_div_scale_f32 v1, null, v0, v0, 1.0
	v_rcp_f32_e32 v2, v1
	v_nop
	s_delay_alu instid0(TRANS32_DEP_1) | instskip(NEXT) | instid1(VALU_DEP_1)
	v_fma_f32 v4, -v1, v2, 1.0
	v_fmac_f32_e32 v2, v4, v2
	v_div_scale_f32 v4, vcc_lo, 1.0, v0, 1.0
	s_delay_alu instid0(VALU_DEP_1) | instskip(NEXT) | instid1(VALU_DEP_1)
	v_mul_f32_e32 v5, v4, v2
	v_fma_f32 v6, -v1, v5, v4
	s_delay_alu instid0(VALU_DEP_1) | instskip(NEXT) | instid1(VALU_DEP_1)
	v_fmac_f32_e32 v5, v6, v2
	v_fma_f32 v1, -v1, v5, v4
	s_delay_alu instid0(VALU_DEP_1) | instskip(NEXT) | instid1(VALU_DEP_1)
	v_div_fmas_f32 v1, v1, v2, v5
	v_div_fixup_f32 v2, v1, v0, 1.0
	s_delay_alu instid0(VALU_DEP_1)
	v_mul_f32_e64 v3, v3, -v2
.LBB111_115:
	s_or_b32 exec_lo, exec_lo, s1
	ds_store_b64 v167, v[2:3]
.LBB111_116:
	s_or_b32 exec_lo, exec_lo, s2
	s_wait_dscnt 0x0
	s_barrier_signal -1
	s_barrier_wait -1
	ds_load_b64 v[0:1], v167
	s_mov_b32 s1, exec_lo
	s_wait_dscnt 0x0
	scratch_store_b64 off, v[0:1], off offset:344 ; 8-byte Folded Spill
	s_wait_xcnt 0x0
	v_cmpx_lt_u32_e32 12, v166
	s_cbranch_execz .LBB111_118
; %bb.117:
	scratch_load_b64 v[4:5], off, off offset:344 ; 8-byte Folded Reload
	s_wait_loadcnt 0x0
	v_pk_mul_f32 v[2:3], v[4:5], v[64:65] op_sel:[1,1] op_sel_hi:[0,1]
	s_delay_alu instid0(VALU_DEP_1)
	v_pk_fma_f32 v[0:1], v[4:5], v[64:65], v[2:3] op_sel_hi:[1,0,1] neg_lo:[0,0,1] neg_hi:[0,0,1]
	v_pk_fma_f32 v[2:3], v[4:5], v[64:65], v[2:3] op_sel_hi:[1,0,1]
	ds_load_2addr_b64 v[4:7], v168 offset0:13 offset1:14
	v_dual_mov_b32 v64, v0 :: v_dual_mov_b32 v65, v3
	s_wait_dscnt 0x0
	v_pk_mul_f32 v[8:9], v[4:5], v[2:3] op_sel:[0,1]
	s_delay_alu instid0(VALU_DEP_1) | instskip(SKIP_1) | instid1(VALU_DEP_1)
	v_pk_fma_f32 v[10:11], v[4:5], v[0:1], v[8:9] op_sel:[0,0,1] op_sel_hi:[1,1,0] neg_lo:[0,0,1] neg_hi:[0,0,1]
	v_pk_fma_f32 v[4:5], v[4:5], v[0:1], v[8:9] op_sel:[0,0,1] op_sel_hi:[1,0,0]
	v_mov_b32_e32 v11, v5
	v_pk_mul_f32 v[4:5], v[6:7], v[2:3] op_sel:[0,1]
	s_delay_alu instid0(VALU_DEP_1) | instskip(SKIP_1) | instid1(VALU_DEP_1)
	v_pk_fma_f32 v[8:9], v[6:7], v[0:1], v[4:5] op_sel:[0,0,1] op_sel_hi:[1,1,0] neg_lo:[0,0,1] neg_hi:[0,0,1]
	v_pk_fma_f32 v[4:5], v[6:7], v[0:1], v[4:5] op_sel:[0,0,1] op_sel_hi:[1,0,0]
	v_mov_b32_e32 v9, v5
	ds_load_2addr_b64 v[4:7], v168 offset0:15 offset1:16
	v_pk_add_f32 v[60:61], v[60:61], v[10:11] neg_lo:[0,1] neg_hi:[0,1]
	v_pk_add_f32 v[62:63], v[62:63], v[8:9] neg_lo:[0,1] neg_hi:[0,1]
	s_wait_dscnt 0x0
	v_pk_mul_f32 v[8:9], v[4:5], v[2:3] op_sel:[0,1]
	s_delay_alu instid0(VALU_DEP_1) | instskip(SKIP_2) | instid1(VALU_DEP_2)
	v_pk_fma_f32 v[10:11], v[4:5], v[0:1], v[8:9] op_sel:[0,0,1] op_sel_hi:[1,1,0] neg_lo:[0,0,1] neg_hi:[0,0,1]
	v_pk_fma_f32 v[4:5], v[4:5], v[0:1], v[8:9] op_sel:[0,0,1] op_sel_hi:[1,0,0]
	v_dual_mul_f32 v8, v7, v3 :: v_dual_mov_b32 v4, v7
	v_dual_mov_b32 v11, v5 :: v_dual_mov_b32 v5, v6
	s_delay_alu instid0(VALU_DEP_2) | instskip(SKIP_1) | instid1(VALU_DEP_3)
	v_pk_fma_f32 v[8:9], v[6:7], v[64:65], v[8:9] op_sel_hi:[1,1,0] neg_lo:[0,0,1] neg_hi:[0,0,1]
	v_mul_f32_e32 v6, v7, v0
	v_pk_add_f32 v[58:59], v[58:59], v[10:11] neg_lo:[0,1] neg_hi:[0,1]
	s_delay_alu instid0(VALU_DEP_2) | instskip(NEXT) | instid1(VALU_DEP_1)
	v_pk_fma_f32 v[4:5], v[4:5], v[64:65], v[6:7] op_sel_hi:[1,1,0]
	v_mov_b32_e32 v9, v5
	ds_load_2addr_b64 v[4:7], v168 offset0:17 offset1:18
	v_pk_add_f32 v[80:81], v[80:81], v[8:9] neg_lo:[0,1] neg_hi:[0,1]
	s_wait_dscnt 0x0
	v_pk_mul_f32 v[8:9], v[4:5], v[2:3] op_sel:[0,1]
	s_delay_alu instid0(VALU_DEP_1) | instskip(SKIP_1) | instid1(VALU_DEP_1)
	v_pk_fma_f32 v[10:11], v[4:5], v[0:1], v[8:9] op_sel:[0,0,1] op_sel_hi:[1,1,0] neg_lo:[0,0,1] neg_hi:[0,0,1]
	v_pk_fma_f32 v[4:5], v[4:5], v[0:1], v[8:9] op_sel:[0,0,1] op_sel_hi:[1,0,0]
	v_mov_b32_e32 v11, v5
	v_pk_mul_f32 v[4:5], v[6:7], v[2:3] op_sel:[0,1]
	s_delay_alu instid0(VALU_DEP_1) | instskip(SKIP_1) | instid1(VALU_DEP_1)
	v_pk_fma_f32 v[8:9], v[6:7], v[0:1], v[4:5] op_sel:[0,0,1] op_sel_hi:[1,1,0] neg_lo:[0,0,1] neg_hi:[0,0,1]
	v_pk_fma_f32 v[4:5], v[6:7], v[0:1], v[4:5] op_sel:[0,0,1] op_sel_hi:[1,0,0]
	v_mov_b32_e32 v9, v5
	ds_load_2addr_b64 v[4:7], v168 offset0:19 offset1:20
	v_pk_add_f32 v[76:77], v[76:77], v[10:11] neg_lo:[0,1] neg_hi:[0,1]
	v_pk_add_f32 v[78:79], v[78:79], v[8:9] neg_lo:[0,1] neg_hi:[0,1]
	s_wait_dscnt 0x0
	v_pk_mul_f32 v[8:9], v[4:5], v[2:3] op_sel:[0,1]
	s_delay_alu instid0(VALU_DEP_1) | instskip(SKIP_1) | instid1(VALU_DEP_1)
	v_pk_fma_f32 v[10:11], v[4:5], v[0:1], v[8:9] op_sel:[0,0,1] op_sel_hi:[1,1,0] neg_lo:[0,0,1] neg_hi:[0,0,1]
	v_pk_fma_f32 v[4:5], v[4:5], v[0:1], v[8:9] op_sel:[0,0,1] op_sel_hi:[1,0,0]
	v_mov_b32_e32 v11, v5
	v_pk_mul_f32 v[4:5], v[6:7], v[2:3] op_sel:[0,1]
	s_delay_alu instid0(VALU_DEP_1) | instskip(SKIP_1) | instid1(VALU_DEP_1)
	v_pk_fma_f32 v[8:9], v[6:7], v[0:1], v[4:5] op_sel:[0,0,1] op_sel_hi:[1,1,0] neg_lo:[0,0,1] neg_hi:[0,0,1]
	v_pk_fma_f32 v[4:5], v[6:7], v[0:1], v[4:5] op_sel:[0,0,1] op_sel_hi:[1,0,0]
	v_mov_b32_e32 v9, v5
	ds_load_2addr_b64 v[4:7], v168 offset0:21 offset1:22
	v_pk_add_f32 v[74:75], v[74:75], v[10:11] neg_lo:[0,1] neg_hi:[0,1]
	v_pk_add_f32 v[98:99], v[98:99], v[8:9] neg_lo:[0,1] neg_hi:[0,1]
	s_wait_dscnt 0x0
	v_dual_mul_f32 v8, v5, v3 :: v_dual_mul_f32 v10, v5, v0
	s_delay_alu instid0(VALU_DEP_1) | instskip(NEXT) | instid1(VALU_DEP_2)
	v_pk_fma_f32 v[8:9], v[4:5], v[64:65], v[8:9] op_sel_hi:[1,1,0] neg_lo:[0,0,1] neg_hi:[0,0,1]
	v_pk_fma_f32 v[4:5], v[4:5], v[64:65], v[10:11] op_sel:[1,0,0] op_sel_hi:[0,1,0]
	s_delay_alu instid0(VALU_DEP_1) | instskip(SKIP_1) | instid1(VALU_DEP_2)
	v_mov_b32_e32 v9, v5
	v_pk_mul_f32 v[4:5], v[6:7], v[2:3] op_sel:[0,1]
	v_pk_add_f32 v[94:95], v[94:95], v[8:9] neg_lo:[0,1] neg_hi:[0,1]
	s_delay_alu instid0(VALU_DEP_2) | instskip(SKIP_1) | instid1(VALU_DEP_1)
	v_pk_fma_f32 v[8:9], v[6:7], v[0:1], v[4:5] op_sel:[0,0,1] op_sel_hi:[1,1,0] neg_lo:[0,0,1] neg_hi:[0,0,1]
	v_pk_fma_f32 v[4:5], v[6:7], v[0:1], v[4:5] op_sel:[0,0,1] op_sel_hi:[1,0,0]
	v_mov_b32_e32 v9, v5
	ds_load_2addr_b64 v[4:7], v168 offset0:23 offset1:24
	v_pk_add_f32 v[96:97], v[96:97], v[8:9] neg_lo:[0,1] neg_hi:[0,1]
	s_wait_dscnt 0x0
	v_pk_mul_f32 v[8:9], v[4:5], v[2:3] op_sel:[0,1]
	s_delay_alu instid0(VALU_DEP_1) | instskip(SKIP_1) | instid1(VALU_DEP_1)
	v_pk_fma_f32 v[10:11], v[4:5], v[0:1], v[8:9] op_sel:[0,0,1] op_sel_hi:[1,1,0] neg_lo:[0,0,1] neg_hi:[0,0,1]
	v_pk_fma_f32 v[4:5], v[4:5], v[0:1], v[8:9] op_sel:[0,0,1] op_sel_hi:[1,0,0]
	v_mov_b32_e32 v11, v5
	v_pk_mul_f32 v[4:5], v[6:7], v[2:3] op_sel:[0,1]
	s_delay_alu instid0(VALU_DEP_2) | instskip(NEXT) | instid1(VALU_DEP_2)
	v_pk_add_f32 v[92:93], v[92:93], v[10:11] neg_lo:[0,1] neg_hi:[0,1]
	v_pk_fma_f32 v[8:9], v[6:7], v[0:1], v[4:5] op_sel:[0,0,1] op_sel_hi:[1,1,0] neg_lo:[0,0,1] neg_hi:[0,0,1]
	v_pk_fma_f32 v[4:5], v[6:7], v[0:1], v[4:5] op_sel:[0,0,1] op_sel_hi:[1,0,0]
	s_delay_alu instid0(VALU_DEP_1) | instskip(SKIP_4) | instid1(VALU_DEP_1)
	v_mov_b32_e32 v9, v5
	ds_load_2addr_b64 v[4:7], v168 offset0:25 offset1:26
	v_pk_add_f32 v[114:115], v[114:115], v[8:9] neg_lo:[0,1] neg_hi:[0,1]
	s_wait_dscnt 0x0
	v_pk_mul_f32 v[8:9], v[4:5], v[2:3] op_sel:[0,1]
	v_pk_fma_f32 v[10:11], v[4:5], v[0:1], v[8:9] op_sel:[0,0,1] op_sel_hi:[1,1,0] neg_lo:[0,0,1] neg_hi:[0,0,1]
	v_pk_fma_f32 v[4:5], v[4:5], v[0:1], v[8:9] op_sel:[0,0,1] op_sel_hi:[1,0,0]
	v_dual_mul_f32 v8, v7, v3 :: v_dual_mov_b32 v4, v7
	s_delay_alu instid0(VALU_DEP_2) | instskip(NEXT) | instid1(VALU_DEP_2)
	v_dual_mov_b32 v11, v5 :: v_dual_mov_b32 v5, v6
	v_pk_fma_f32 v[8:9], v[6:7], v[64:65], v[8:9] op_sel_hi:[1,1,0] neg_lo:[0,0,1] neg_hi:[0,0,1]
	v_mul_f32_e32 v6, v7, v0
	s_delay_alu instid0(VALU_DEP_3) | instskip(NEXT) | instid1(VALU_DEP_2)
	v_pk_add_f32 v[110:111], v[110:111], v[10:11] neg_lo:[0,1] neg_hi:[0,1]
	v_pk_fma_f32 v[4:5], v[4:5], v[64:65], v[6:7] op_sel_hi:[1,1,0]
	s_delay_alu instid0(VALU_DEP_1) | instskip(SKIP_4) | instid1(VALU_DEP_1)
	v_mov_b32_e32 v9, v5
	ds_load_2addr_b64 v[4:7], v168 offset0:27 offset1:28
	v_pk_add_f32 v[112:113], v[112:113], v[8:9] neg_lo:[0,1] neg_hi:[0,1]
	s_wait_dscnt 0x0
	v_pk_mul_f32 v[8:9], v[4:5], v[2:3] op_sel:[0,1]
	v_pk_fma_f32 v[10:11], v[4:5], v[0:1], v[8:9] op_sel:[0,0,1] op_sel_hi:[1,1,0] neg_lo:[0,0,1] neg_hi:[0,0,1]
	v_pk_fma_f32 v[4:5], v[4:5], v[0:1], v[8:9] op_sel:[0,0,1] op_sel_hi:[1,0,0]
	s_delay_alu instid0(VALU_DEP_1) | instskip(SKIP_1) | instid1(VALU_DEP_1)
	v_mov_b32_e32 v11, v5
	v_pk_mul_f32 v[4:5], v[6:7], v[2:3] op_sel:[0,1]
	v_pk_fma_f32 v[8:9], v[6:7], v[0:1], v[4:5] op_sel:[0,0,1] op_sel_hi:[1,1,0] neg_lo:[0,0,1] neg_hi:[0,0,1]
	v_pk_fma_f32 v[4:5], v[6:7], v[0:1], v[4:5] op_sel:[0,0,1] op_sel_hi:[1,0,0]
	s_delay_alu instid0(VALU_DEP_1)
	v_mov_b32_e32 v9, v5
	ds_load_2addr_b64 v[4:7], v168 offset0:29 offset1:30
	v_pk_add_f32 v[108:109], v[108:109], v[10:11] neg_lo:[0,1] neg_hi:[0,1]
	v_pk_add_f32 v[130:131], v[130:131], v[8:9] neg_lo:[0,1] neg_hi:[0,1]
	s_wait_dscnt 0x0
	v_pk_mul_f32 v[8:9], v[4:5], v[2:3] op_sel:[0,1]
	s_delay_alu instid0(VALU_DEP_1) | instskip(SKIP_1) | instid1(VALU_DEP_1)
	v_pk_fma_f32 v[10:11], v[4:5], v[0:1], v[8:9] op_sel:[0,0,1] op_sel_hi:[1,1,0] neg_lo:[0,0,1] neg_hi:[0,0,1]
	v_pk_fma_f32 v[4:5], v[4:5], v[0:1], v[8:9] op_sel:[0,0,1] op_sel_hi:[1,0,0]
	v_mov_b32_e32 v11, v5
	v_pk_mul_f32 v[4:5], v[6:7], v[2:3] op_sel:[0,1]
	s_delay_alu instid0(VALU_DEP_1) | instskip(SKIP_1) | instid1(VALU_DEP_1)
	v_pk_fma_f32 v[8:9], v[6:7], v[0:1], v[4:5] op_sel:[0,0,1] op_sel_hi:[1,1,0] neg_lo:[0,0,1] neg_hi:[0,0,1]
	v_pk_fma_f32 v[4:5], v[6:7], v[0:1], v[4:5] op_sel:[0,0,1] op_sel_hi:[1,0,0]
	v_mov_b32_e32 v9, v5
	ds_load_2addr_b64 v[4:7], v168 offset0:31 offset1:32
	v_pk_add_f32 v[126:127], v[126:127], v[10:11] neg_lo:[0,1] neg_hi:[0,1]
	v_pk_add_f32 v[128:129], v[128:129], v[8:9] neg_lo:[0,1] neg_hi:[0,1]
	s_wait_dscnt 0x0
	v_dual_mul_f32 v8, v5, v3 :: v_dual_mul_f32 v10, v5, v0
	s_delay_alu instid0(VALU_DEP_1) | instskip(NEXT) | instid1(VALU_DEP_2)
	v_pk_fma_f32 v[8:9], v[4:5], v[64:65], v[8:9] op_sel_hi:[1,1,0] neg_lo:[0,0,1] neg_hi:[0,0,1]
	v_pk_fma_f32 v[4:5], v[4:5], v[64:65], v[10:11] op_sel:[1,0,0] op_sel_hi:[0,1,0]
	s_delay_alu instid0(VALU_DEP_1) | instskip(SKIP_1) | instid1(VALU_DEP_2)
	v_mov_b32_e32 v9, v5
	v_pk_mul_f32 v[4:5], v[6:7], v[2:3] op_sel:[0,1]
	v_pk_add_f32 v[124:125], v[124:125], v[8:9] neg_lo:[0,1] neg_hi:[0,1]
	s_delay_alu instid0(VALU_DEP_2) | instskip(SKIP_1) | instid1(VALU_DEP_1)
	v_pk_fma_f32 v[8:9], v[6:7], v[0:1], v[4:5] op_sel:[0,0,1] op_sel_hi:[1,1,0] neg_lo:[0,0,1] neg_hi:[0,0,1]
	v_pk_fma_f32 v[4:5], v[6:7], v[0:1], v[4:5] op_sel:[0,0,1] op_sel_hi:[1,0,0]
	v_mov_b32_e32 v9, v5
	ds_load_2addr_b64 v[4:7], v168 offset0:33 offset1:34
	v_pk_add_f32 v[146:147], v[146:147], v[8:9] neg_lo:[0,1] neg_hi:[0,1]
	s_wait_dscnt 0x0
	v_pk_mul_f32 v[8:9], v[4:5], v[2:3] op_sel:[0,1]
	s_delay_alu instid0(VALU_DEP_1) | instskip(SKIP_1) | instid1(VALU_DEP_1)
	v_pk_fma_f32 v[10:11], v[4:5], v[0:1], v[8:9] op_sel:[0,0,1] op_sel_hi:[1,1,0] neg_lo:[0,0,1] neg_hi:[0,0,1]
	v_pk_fma_f32 v[4:5], v[4:5], v[0:1], v[8:9] op_sel:[0,0,1] op_sel_hi:[1,0,0]
	v_mov_b32_e32 v11, v5
	v_pk_mul_f32 v[4:5], v[6:7], v[2:3] op_sel:[0,1]
	s_delay_alu instid0(VALU_DEP_2) | instskip(NEXT) | instid1(VALU_DEP_2)
	v_pk_add_f32 v[142:143], v[142:143], v[10:11] neg_lo:[0,1] neg_hi:[0,1]
	v_pk_fma_f32 v[8:9], v[6:7], v[0:1], v[4:5] op_sel:[0,0,1] op_sel_hi:[1,1,0] neg_lo:[0,0,1] neg_hi:[0,0,1]
	v_pk_fma_f32 v[4:5], v[6:7], v[0:1], v[4:5] op_sel:[0,0,1] op_sel_hi:[1,0,0]
	s_delay_alu instid0(VALU_DEP_1) | instskip(SKIP_4) | instid1(VALU_DEP_1)
	v_mov_b32_e32 v9, v5
	ds_load_2addr_b64 v[4:7], v168 offset0:35 offset1:36
	v_pk_add_f32 v[144:145], v[144:145], v[8:9] neg_lo:[0,1] neg_hi:[0,1]
	s_wait_dscnt 0x0
	v_pk_mul_f32 v[8:9], v[4:5], v[2:3] op_sel:[0,1]
	v_pk_fma_f32 v[10:11], v[4:5], v[0:1], v[8:9] op_sel:[0,0,1] op_sel_hi:[1,1,0] neg_lo:[0,0,1] neg_hi:[0,0,1]
	v_pk_fma_f32 v[4:5], v[4:5], v[0:1], v[8:9] op_sel:[0,0,1] op_sel_hi:[1,0,0]
	v_dual_mul_f32 v8, v7, v3 :: v_dual_mov_b32 v4, v7
	s_delay_alu instid0(VALU_DEP_2) | instskip(NEXT) | instid1(VALU_DEP_2)
	v_dual_mov_b32 v11, v5 :: v_dual_mov_b32 v5, v6
	v_pk_fma_f32 v[8:9], v[6:7], v[64:65], v[8:9] op_sel_hi:[1,1,0] neg_lo:[0,0,1] neg_hi:[0,0,1]
	v_mul_f32_e32 v6, v7, v0
	s_delay_alu instid0(VALU_DEP_3) | instskip(NEXT) | instid1(VALU_DEP_2)
	v_pk_add_f32 v[140:141], v[140:141], v[10:11] neg_lo:[0,1] neg_hi:[0,1]
	v_pk_fma_f32 v[4:5], v[4:5], v[64:65], v[6:7] op_sel_hi:[1,1,0]
	s_delay_alu instid0(VALU_DEP_1) | instskip(SKIP_4) | instid1(VALU_DEP_1)
	v_mov_b32_e32 v9, v5
	ds_load_2addr_b64 v[4:7], v168 offset0:37 offset1:38
	v_pk_add_f32 v[162:163], v[162:163], v[8:9] neg_lo:[0,1] neg_hi:[0,1]
	s_wait_dscnt 0x0
	v_pk_mul_f32 v[8:9], v[4:5], v[2:3] op_sel:[0,1]
	v_pk_fma_f32 v[10:11], v[4:5], v[0:1], v[8:9] op_sel:[0,0,1] op_sel_hi:[1,1,0] neg_lo:[0,0,1] neg_hi:[0,0,1]
	v_pk_fma_f32 v[4:5], v[4:5], v[0:1], v[8:9] op_sel:[0,0,1] op_sel_hi:[1,0,0]
	s_delay_alu instid0(VALU_DEP_1) | instskip(SKIP_1) | instid1(VALU_DEP_1)
	v_mov_b32_e32 v11, v5
	v_pk_mul_f32 v[4:5], v[6:7], v[2:3] op_sel:[0,1]
	v_pk_fma_f32 v[8:9], v[6:7], v[0:1], v[4:5] op_sel:[0,0,1] op_sel_hi:[1,1,0] neg_lo:[0,0,1] neg_hi:[0,0,1]
	v_pk_fma_f32 v[4:5], v[6:7], v[0:1], v[4:5] op_sel:[0,0,1] op_sel_hi:[1,0,0]
	s_delay_alu instid0(VALU_DEP_1)
	v_mov_b32_e32 v9, v5
	ds_load_2addr_b64 v[4:7], v168 offset0:39 offset1:40
	v_pk_add_f32 v[158:159], v[158:159], v[10:11] neg_lo:[0,1] neg_hi:[0,1]
	v_pk_add_f32 v[160:161], v[160:161], v[8:9] neg_lo:[0,1] neg_hi:[0,1]
	s_wait_dscnt 0x0
	v_pk_mul_f32 v[8:9], v[4:5], v[2:3] op_sel:[0,1]
	s_delay_alu instid0(VALU_DEP_1) | instskip(SKIP_1) | instid1(VALU_DEP_1)
	v_pk_fma_f32 v[10:11], v[4:5], v[0:1], v[8:9] op_sel:[0,0,1] op_sel_hi:[1,1,0] neg_lo:[0,0,1] neg_hi:[0,0,1]
	v_pk_fma_f32 v[4:5], v[4:5], v[0:1], v[8:9] op_sel:[0,0,1] op_sel_hi:[1,0,0]
	v_mov_b32_e32 v11, v5
	v_pk_mul_f32 v[4:5], v[6:7], v[2:3] op_sel:[0,1]
	s_delay_alu instid0(VALU_DEP_1) | instskip(SKIP_1) | instid1(VALU_DEP_1)
	v_pk_fma_f32 v[8:9], v[6:7], v[0:1], v[4:5] op_sel:[0,0,1] op_sel_hi:[1,1,0] neg_lo:[0,0,1] neg_hi:[0,0,1]
	v_pk_fma_f32 v[4:5], v[6:7], v[0:1], v[4:5] op_sel:[0,0,1] op_sel_hi:[1,0,0]
	v_mov_b32_e32 v9, v5
	ds_load_2addr_b64 v[4:7], v168 offset0:41 offset1:42
	v_pk_add_f32 v[156:157], v[156:157], v[10:11] neg_lo:[0,1] neg_hi:[0,1]
	v_pk_add_f32 v[178:179], v[178:179], v[8:9] neg_lo:[0,1] neg_hi:[0,1]
	s_wait_dscnt 0x0
	v_dual_mul_f32 v8, v5, v3 :: v_dual_mul_f32 v10, v5, v0
	s_delay_alu instid0(VALU_DEP_1) | instskip(NEXT) | instid1(VALU_DEP_2)
	v_pk_fma_f32 v[8:9], v[4:5], v[64:65], v[8:9] op_sel_hi:[1,1,0] neg_lo:[0,0,1] neg_hi:[0,0,1]
	v_pk_fma_f32 v[4:5], v[4:5], v[64:65], v[10:11] op_sel:[1,0,0] op_sel_hi:[0,1,0]
	s_delay_alu instid0(VALU_DEP_1) | instskip(SKIP_1) | instid1(VALU_DEP_2)
	v_mov_b32_e32 v9, v5
	v_pk_mul_f32 v[4:5], v[6:7], v[2:3] op_sel:[0,1]
	v_pk_add_f32 v[174:175], v[174:175], v[8:9] neg_lo:[0,1] neg_hi:[0,1]
	s_delay_alu instid0(VALU_DEP_2) | instskip(SKIP_1) | instid1(VALU_DEP_1)
	v_pk_fma_f32 v[8:9], v[6:7], v[0:1], v[4:5] op_sel:[0,0,1] op_sel_hi:[1,1,0] neg_lo:[0,0,1] neg_hi:[0,0,1]
	v_pk_fma_f32 v[4:5], v[6:7], v[0:1], v[4:5] op_sel:[0,0,1] op_sel_hi:[1,0,0]
	v_mov_b32_e32 v9, v5
	ds_load_2addr_b64 v[4:7], v168 offset0:43 offset1:44
	v_pk_add_f32 v[176:177], v[176:177], v[8:9] neg_lo:[0,1] neg_hi:[0,1]
	s_wait_dscnt 0x0
	v_pk_mul_f32 v[8:9], v[4:5], v[2:3] op_sel:[0,1]
	s_delay_alu instid0(VALU_DEP_1) | instskip(SKIP_1) | instid1(VALU_DEP_1)
	v_pk_fma_f32 v[10:11], v[4:5], v[0:1], v[8:9] op_sel:[0,0,1] op_sel_hi:[1,1,0] neg_lo:[0,0,1] neg_hi:[0,0,1]
	v_pk_fma_f32 v[4:5], v[4:5], v[0:1], v[8:9] op_sel:[0,0,1] op_sel_hi:[1,0,0]
	v_mov_b32_e32 v11, v5
	v_pk_mul_f32 v[4:5], v[6:7], v[2:3] op_sel:[0,1]
	s_delay_alu instid0(VALU_DEP_2) | instskip(NEXT) | instid1(VALU_DEP_2)
	v_pk_add_f32 v[172:173], v[172:173], v[10:11] neg_lo:[0,1] neg_hi:[0,1]
	v_pk_fma_f32 v[8:9], v[6:7], v[0:1], v[4:5] op_sel:[0,0,1] op_sel_hi:[1,1,0] neg_lo:[0,0,1] neg_hi:[0,0,1]
	v_pk_fma_f32 v[4:5], v[6:7], v[0:1], v[4:5] op_sel:[0,0,1] op_sel_hi:[1,0,0]
	s_delay_alu instid0(VALU_DEP_1) | instskip(SKIP_4) | instid1(VALU_DEP_1)
	v_mov_b32_e32 v9, v5
	ds_load_2addr_b64 v[4:7], v168 offset0:45 offset1:46
	v_pk_add_f32 v[198:199], v[198:199], v[8:9] neg_lo:[0,1] neg_hi:[0,1]
	s_wait_dscnt 0x0
	v_pk_mul_f32 v[8:9], v[4:5], v[2:3] op_sel:[0,1]
	v_pk_fma_f32 v[10:11], v[4:5], v[0:1], v[8:9] op_sel:[0,0,1] op_sel_hi:[1,1,0] neg_lo:[0,0,1] neg_hi:[0,0,1]
	v_pk_fma_f32 v[4:5], v[4:5], v[0:1], v[8:9] op_sel:[0,0,1] op_sel_hi:[1,0,0]
	v_dual_mul_f32 v8, v7, v3 :: v_dual_mov_b32 v4, v7
	s_delay_alu instid0(VALU_DEP_2) | instskip(NEXT) | instid1(VALU_DEP_2)
	v_dual_mov_b32 v11, v5 :: v_dual_mov_b32 v5, v6
	v_pk_fma_f32 v[8:9], v[6:7], v[64:65], v[8:9] op_sel_hi:[1,1,0] neg_lo:[0,0,1] neg_hi:[0,0,1]
	v_mul_f32_e32 v6, v7, v0
	s_delay_alu instid0(VALU_DEP_3) | instskip(NEXT) | instid1(VALU_DEP_2)
	v_pk_add_f32 v[194:195], v[194:195], v[10:11] neg_lo:[0,1] neg_hi:[0,1]
	v_pk_fma_f32 v[4:5], v[4:5], v[64:65], v[6:7] op_sel_hi:[1,1,0]
	s_delay_alu instid0(VALU_DEP_1) | instskip(SKIP_4) | instid1(VALU_DEP_1)
	v_mov_b32_e32 v9, v5
	ds_load_2addr_b64 v[4:7], v168 offset0:47 offset1:48
	v_pk_add_f32 v[196:197], v[196:197], v[8:9] neg_lo:[0,1] neg_hi:[0,1]
	s_wait_dscnt 0x0
	v_pk_mul_f32 v[8:9], v[4:5], v[2:3] op_sel:[0,1]
	v_pk_fma_f32 v[10:11], v[4:5], v[0:1], v[8:9] op_sel:[0,0,1] op_sel_hi:[1,1,0] neg_lo:[0,0,1] neg_hi:[0,0,1]
	v_pk_fma_f32 v[4:5], v[4:5], v[0:1], v[8:9] op_sel:[0,0,1] op_sel_hi:[1,0,0]
	s_delay_alu instid0(VALU_DEP_1) | instskip(SKIP_1) | instid1(VALU_DEP_1)
	v_mov_b32_e32 v11, v5
	v_pk_mul_f32 v[4:5], v[6:7], v[2:3] op_sel:[0,1]
	v_pk_fma_f32 v[8:9], v[6:7], v[0:1], v[4:5] op_sel:[0,0,1] op_sel_hi:[1,1,0] neg_lo:[0,0,1] neg_hi:[0,0,1]
	v_pk_fma_f32 v[4:5], v[6:7], v[0:1], v[4:5] op_sel:[0,0,1] op_sel_hi:[1,0,0]
	s_delay_alu instid0(VALU_DEP_1)
	v_mov_b32_e32 v9, v5
	ds_load_2addr_b64 v[4:7], v168 offset0:49 offset1:50
	v_pk_add_f32 v[192:193], v[192:193], v[10:11] neg_lo:[0,1] neg_hi:[0,1]
	v_pk_add_f32 v[220:221], v[220:221], v[8:9] neg_lo:[0,1] neg_hi:[0,1]
	s_wait_dscnt 0x0
	v_pk_mul_f32 v[8:9], v[4:5], v[2:3] op_sel:[0,1]
	s_delay_alu instid0(VALU_DEP_1) | instskip(SKIP_1) | instid1(VALU_DEP_1)
	v_pk_fma_f32 v[10:11], v[4:5], v[0:1], v[8:9] op_sel:[0,0,1] op_sel_hi:[1,1,0] neg_lo:[0,0,1] neg_hi:[0,0,1]
	v_pk_fma_f32 v[4:5], v[4:5], v[0:1], v[8:9] op_sel:[0,0,1] op_sel_hi:[1,0,0]
	v_mov_b32_e32 v11, v5
	v_pk_mul_f32 v[4:5], v[6:7], v[2:3] op_sel:[0,1]
	s_delay_alu instid0(VALU_DEP_1) | instskip(SKIP_1) | instid1(VALU_DEP_1)
	v_pk_fma_f32 v[8:9], v[6:7], v[0:1], v[4:5] op_sel:[0,0,1] op_sel_hi:[1,1,0] neg_lo:[0,0,1] neg_hi:[0,0,1]
	v_pk_fma_f32 v[4:5], v[6:7], v[0:1], v[4:5] op_sel:[0,0,1] op_sel_hi:[1,0,0]
	v_mov_b32_e32 v9, v5
	ds_load_2addr_b64 v[4:7], v168 offset0:51 offset1:52
	v_pk_add_f32 v[214:215], v[214:215], v[10:11] neg_lo:[0,1] neg_hi:[0,1]
	v_pk_add_f32 v[218:219], v[218:219], v[8:9] neg_lo:[0,1] neg_hi:[0,1]
	s_wait_dscnt 0x0
	v_dual_mul_f32 v8, v5, v3 :: v_dual_mul_f32 v10, v5, v0
	s_delay_alu instid0(VALU_DEP_1) | instskip(NEXT) | instid1(VALU_DEP_2)
	v_pk_fma_f32 v[8:9], v[4:5], v[64:65], v[8:9] op_sel_hi:[1,1,0] neg_lo:[0,0,1] neg_hi:[0,0,1]
	v_pk_fma_f32 v[4:5], v[4:5], v[64:65], v[10:11] op_sel:[1,0,0] op_sel_hi:[0,1,0]
	s_delay_alu instid0(VALU_DEP_1) | instskip(SKIP_1) | instid1(VALU_DEP_2)
	v_mov_b32_e32 v9, v5
	v_pk_mul_f32 v[4:5], v[6:7], v[2:3] op_sel:[0,1]
	v_pk_add_f32 v[212:213], v[212:213], v[8:9] neg_lo:[0,1] neg_hi:[0,1]
	s_delay_alu instid0(VALU_DEP_2) | instskip(SKIP_1) | instid1(VALU_DEP_1)
	v_pk_fma_f32 v[8:9], v[6:7], v[0:1], v[4:5] op_sel:[0,0,1] op_sel_hi:[1,1,0] neg_lo:[0,0,1] neg_hi:[0,0,1]
	v_pk_fma_f32 v[4:5], v[6:7], v[0:1], v[4:5] op_sel:[0,0,1] op_sel_hi:[1,0,0]
	v_mov_b32_e32 v9, v5
	ds_load_2addr_b64 v[4:7], v168 offset0:53 offset1:54
	v_pk_add_f32 v[216:217], v[216:217], v[8:9] neg_lo:[0,1] neg_hi:[0,1]
	s_wait_dscnt 0x0
	v_pk_mul_f32 v[8:9], v[4:5], v[2:3] op_sel:[0,1]
	s_delay_alu instid0(VALU_DEP_1) | instskip(SKIP_1) | instid1(VALU_DEP_1)
	v_pk_fma_f32 v[10:11], v[4:5], v[0:1], v[8:9] op_sel:[0,0,1] op_sel_hi:[1,1,0] neg_lo:[0,0,1] neg_hi:[0,0,1]
	v_pk_fma_f32 v[4:5], v[4:5], v[0:1], v[8:9] op_sel:[0,0,1] op_sel_hi:[1,0,0]
	v_mov_b32_e32 v11, v5
	v_pk_mul_f32 v[4:5], v[6:7], v[2:3] op_sel:[0,1]
	s_delay_alu instid0(VALU_DEP_2) | instskip(NEXT) | instid1(VALU_DEP_2)
	v_pk_add_f32 v[210:211], v[210:211], v[10:11] neg_lo:[0,1] neg_hi:[0,1]
	v_pk_fma_f32 v[8:9], v[6:7], v[0:1], v[4:5] op_sel:[0,0,1] op_sel_hi:[1,1,0] neg_lo:[0,0,1] neg_hi:[0,0,1]
	v_pk_fma_f32 v[4:5], v[6:7], v[0:1], v[4:5] op_sel:[0,0,1] op_sel_hi:[1,0,0]
	s_delay_alu instid0(VALU_DEP_1) | instskip(SKIP_4) | instid1(VALU_DEP_1)
	v_mov_b32_e32 v9, v5
	ds_load_b64 v[4:5], v168 offset:440
	v_pk_add_f32 v[222:223], v[222:223], v[8:9] neg_lo:[0,1] neg_hi:[0,1]
	s_wait_dscnt 0x0
	v_pk_mul_f32 v[2:3], v[4:5], v[2:3] op_sel:[0,1]
	v_pk_fma_f32 v[6:7], v[4:5], v[0:1], v[2:3] op_sel:[0,0,1] op_sel_hi:[1,1,0] neg_lo:[0,0,1] neg_hi:[0,0,1]
	v_pk_fma_f32 v[0:1], v[4:5], v[0:1], v[2:3] op_sel:[0,0,1] op_sel_hi:[1,0,0]
	s_delay_alu instid0(VALU_DEP_1) | instskip(NEXT) | instid1(VALU_DEP_1)
	v_mov_b32_e32 v7, v1
	v_pk_add_f32 v[224:225], v[224:225], v[6:7] neg_lo:[0,1] neg_hi:[0,1]
.LBB111_118:
	s_wait_xcnt 0x0
	s_or_b32 exec_lo, exec_lo, s1
	s_delay_alu instid0(SALU_CYCLE_1)
	s_mov_b32 s2, exec_lo
	s_wait_storecnt 0x0
	s_barrier_signal -1
	s_barrier_wait -1
	v_cmpx_eq_u32_e32 13, v166
	s_cbranch_execz .LBB111_125
; %bb.119:
	v_dual_mov_b32 v0, v62 :: v_dual_mov_b32 v1, v63
	v_dual_mov_b32 v2, v58 :: v_dual_mov_b32 v3, v59
	ds_store_b64 v167, v[60:61]
	ds_store_2addr_b64 v168, v[0:1], v[2:3] offset0:14 offset1:15
	v_dual_mov_b32 v0, v80 :: v_dual_mov_b32 v1, v81
	v_dual_mov_b32 v2, v76 :: v_dual_mov_b32 v3, v77
	ds_store_2addr_b64 v168, v[0:1], v[2:3] offset0:16 offset1:17
	v_dual_mov_b32 v0, v78 :: v_dual_mov_b32 v1, v79
	v_dual_mov_b32 v2, v74 :: v_dual_mov_b32 v3, v75
	;; [unrolled: 3-line block ×19, first 2 shown]
	ds_store_2addr_b64 v168, v[0:1], v[2:3] offset0:52 offset1:53
	v_dual_mov_b32 v0, v222 :: v_dual_mov_b32 v1, v223
	ds_store_2addr_b64 v168, v[0:1], v[224:225] offset0:54 offset1:55
	ds_load_b64 v[0:1], v167
	s_wait_dscnt 0x0
	v_cmp_neq_f32_e32 vcc_lo, 0, v0
	v_cmp_neq_f32_e64 s1, 0, v1
	s_or_b32 s1, vcc_lo, s1
	s_delay_alu instid0(SALU_CYCLE_1)
	s_and_b32 exec_lo, exec_lo, s1
	s_cbranch_execz .LBB111_125
; %bb.120:
	v_cmp_ngt_f32_e64 s1, |v0|, |v1|
                                        ; implicit-def: $vgpr2_vgpr3
	s_and_saveexec_b32 s4, s1
	s_delay_alu instid0(SALU_CYCLE_1)
	s_xor_b32 s1, exec_lo, s4
	s_cbranch_execz .LBB111_122
; %bb.121:
	v_div_scale_f32 v2, null, v1, v1, v0
	v_div_scale_f32 v5, vcc_lo, v0, v1, v0
	s_delay_alu instid0(VALU_DEP_2) | instskip(SKIP_1) | instid1(TRANS32_DEP_1)
	v_rcp_f32_e32 v3, v2
	v_nop
	v_fma_f32 v4, -v2, v3, 1.0
	s_delay_alu instid0(VALU_DEP_1) | instskip(NEXT) | instid1(VALU_DEP_1)
	v_fmac_f32_e32 v3, v4, v3
	v_mul_f32_e32 v4, v5, v3
	s_delay_alu instid0(VALU_DEP_1) | instskip(NEXT) | instid1(VALU_DEP_1)
	v_fma_f32 v6, -v2, v4, v5
	v_fmac_f32_e32 v4, v6, v3
	s_delay_alu instid0(VALU_DEP_1) | instskip(NEXT) | instid1(VALU_DEP_1)
	v_fma_f32 v2, -v2, v4, v5
	v_div_fmas_f32 v2, v2, v3, v4
	s_delay_alu instid0(VALU_DEP_1) | instskip(NEXT) | instid1(VALU_DEP_1)
	v_div_fixup_f32 v2, v2, v1, v0
	v_fmac_f32_e32 v1, v0, v2
	s_delay_alu instid0(VALU_DEP_1) | instskip(SKIP_1) | instid1(VALU_DEP_2)
	v_div_scale_f32 v0, null, v1, v1, 1.0
	v_div_scale_f32 v5, vcc_lo, 1.0, v1, 1.0
	v_rcp_f32_e32 v3, v0
	v_nop
	s_delay_alu instid0(TRANS32_DEP_1) | instskip(NEXT) | instid1(VALU_DEP_1)
	v_fma_f32 v4, -v0, v3, 1.0
	v_fmac_f32_e32 v3, v4, v3
	s_delay_alu instid0(VALU_DEP_1) | instskip(NEXT) | instid1(VALU_DEP_1)
	v_mul_f32_e32 v4, v5, v3
	v_fma_f32 v6, -v0, v4, v5
	s_delay_alu instid0(VALU_DEP_1) | instskip(NEXT) | instid1(VALU_DEP_1)
	v_fmac_f32_e32 v4, v6, v3
	v_fma_f32 v0, -v0, v4, v5
	s_delay_alu instid0(VALU_DEP_1) | instskip(NEXT) | instid1(VALU_DEP_1)
	v_div_fmas_f32 v0, v0, v3, v4
	v_div_fixup_f32 v0, v0, v1, 1.0
	s_delay_alu instid0(VALU_DEP_1)
	v_mul_f32_e32 v2, v2, v0
	v_xor_b32_e32 v3, 0x80000000, v0
                                        ; implicit-def: $vgpr0_vgpr1
.LBB111_122:
	s_and_not1_saveexec_b32 s1, s1
	s_cbranch_execz .LBB111_124
; %bb.123:
	v_div_scale_f32 v2, null, v0, v0, v1
	v_div_scale_f32 v5, vcc_lo, v1, v0, v1
	s_delay_alu instid0(VALU_DEP_2) | instskip(SKIP_1) | instid1(TRANS32_DEP_1)
	v_rcp_f32_e32 v3, v2
	v_nop
	v_fma_f32 v4, -v2, v3, 1.0
	s_delay_alu instid0(VALU_DEP_1) | instskip(NEXT) | instid1(VALU_DEP_1)
	v_fmac_f32_e32 v3, v4, v3
	v_mul_f32_e32 v4, v5, v3
	s_delay_alu instid0(VALU_DEP_1) | instskip(NEXT) | instid1(VALU_DEP_1)
	v_fma_f32 v6, -v2, v4, v5
	v_fmac_f32_e32 v4, v6, v3
	s_delay_alu instid0(VALU_DEP_1) | instskip(NEXT) | instid1(VALU_DEP_1)
	v_fma_f32 v2, -v2, v4, v5
	v_div_fmas_f32 v2, v2, v3, v4
	s_delay_alu instid0(VALU_DEP_1) | instskip(NEXT) | instid1(VALU_DEP_1)
	v_div_fixup_f32 v3, v2, v0, v1
	v_fmac_f32_e32 v0, v1, v3
	s_delay_alu instid0(VALU_DEP_1) | instskip(NEXT) | instid1(VALU_DEP_1)
	v_div_scale_f32 v1, null, v0, v0, 1.0
	v_rcp_f32_e32 v2, v1
	v_nop
	s_delay_alu instid0(TRANS32_DEP_1) | instskip(NEXT) | instid1(VALU_DEP_1)
	v_fma_f32 v4, -v1, v2, 1.0
	v_fmac_f32_e32 v2, v4, v2
	v_div_scale_f32 v4, vcc_lo, 1.0, v0, 1.0
	s_delay_alu instid0(VALU_DEP_1) | instskip(NEXT) | instid1(VALU_DEP_1)
	v_mul_f32_e32 v5, v4, v2
	v_fma_f32 v6, -v1, v5, v4
	s_delay_alu instid0(VALU_DEP_1) | instskip(NEXT) | instid1(VALU_DEP_1)
	v_fmac_f32_e32 v5, v6, v2
	v_fma_f32 v1, -v1, v5, v4
	s_delay_alu instid0(VALU_DEP_1) | instskip(NEXT) | instid1(VALU_DEP_1)
	v_div_fmas_f32 v1, v1, v2, v5
	v_div_fixup_f32 v2, v1, v0, 1.0
	s_delay_alu instid0(VALU_DEP_1)
	v_mul_f32_e64 v3, v3, -v2
.LBB111_124:
	s_or_b32 exec_lo, exec_lo, s1
	ds_store_b64 v167, v[2:3]
.LBB111_125:
	s_or_b32 exec_lo, exec_lo, s2
	s_wait_dscnt 0x0
	s_barrier_signal -1
	s_barrier_wait -1
	ds_load_b64 v[0:1], v167
	s_mov_b32 s1, exec_lo
	s_wait_dscnt 0x0
	scratch_store_b64 off, v[0:1], off offset:352 ; 8-byte Folded Spill
	s_wait_xcnt 0x0
	v_cmpx_lt_u32_e32 13, v166
	s_cbranch_execz .LBB111_127
; %bb.126:
	scratch_load_b64 v[4:5], off, off offset:352 ; 8-byte Folded Reload
	s_wait_loadcnt 0x0
	v_pk_mul_f32 v[2:3], v[4:5], v[60:61] op_sel:[1,1] op_sel_hi:[0,1]
	s_delay_alu instid0(VALU_DEP_1)
	v_pk_fma_f32 v[0:1], v[4:5], v[60:61], v[2:3] op_sel_hi:[1,0,1] neg_lo:[0,0,1] neg_hi:[0,0,1]
	v_pk_fma_f32 v[2:3], v[4:5], v[60:61], v[2:3] op_sel_hi:[1,0,1]
	ds_load_2addr_b64 v[4:7], v168 offset0:14 offset1:15
	v_dual_mov_b32 v60, v0 :: v_dual_mov_b32 v61, v3
	s_wait_dscnt 0x0
	v_pk_mul_f32 v[8:9], v[4:5], v[2:3] op_sel:[0,1]
	s_delay_alu instid0(VALU_DEP_1) | instskip(SKIP_1) | instid1(VALU_DEP_1)
	v_pk_fma_f32 v[10:11], v[4:5], v[0:1], v[8:9] op_sel:[0,0,1] op_sel_hi:[1,1,0] neg_lo:[0,0,1] neg_hi:[0,0,1]
	v_pk_fma_f32 v[4:5], v[4:5], v[0:1], v[8:9] op_sel:[0,0,1] op_sel_hi:[1,0,0]
	v_mov_b32_e32 v11, v5
	v_pk_mul_f32 v[4:5], v[6:7], v[2:3] op_sel:[0,1]
	s_delay_alu instid0(VALU_DEP_1) | instskip(SKIP_1) | instid1(VALU_DEP_1)
	v_pk_fma_f32 v[8:9], v[6:7], v[0:1], v[4:5] op_sel:[0,0,1] op_sel_hi:[1,1,0] neg_lo:[0,0,1] neg_hi:[0,0,1]
	v_pk_fma_f32 v[4:5], v[6:7], v[0:1], v[4:5] op_sel:[0,0,1] op_sel_hi:[1,0,0]
	v_mov_b32_e32 v9, v5
	ds_load_2addr_b64 v[4:7], v168 offset0:16 offset1:17
	v_pk_add_f32 v[62:63], v[62:63], v[10:11] neg_lo:[0,1] neg_hi:[0,1]
	v_pk_add_f32 v[58:59], v[58:59], v[8:9] neg_lo:[0,1] neg_hi:[0,1]
	s_wait_dscnt 0x0
	v_pk_mul_f32 v[8:9], v[4:5], v[2:3] op_sel:[0,1]
	s_delay_alu instid0(VALU_DEP_1) | instskip(SKIP_2) | instid1(VALU_DEP_2)
	v_pk_fma_f32 v[10:11], v[4:5], v[0:1], v[8:9] op_sel:[0,0,1] op_sel_hi:[1,1,0] neg_lo:[0,0,1] neg_hi:[0,0,1]
	v_pk_fma_f32 v[4:5], v[4:5], v[0:1], v[8:9] op_sel:[0,0,1] op_sel_hi:[1,0,0]
	v_dual_mul_f32 v8, v7, v3 :: v_dual_mov_b32 v4, v7
	v_dual_mov_b32 v11, v5 :: v_dual_mov_b32 v5, v6
	s_delay_alu instid0(VALU_DEP_2) | instskip(SKIP_1) | instid1(VALU_DEP_3)
	v_pk_fma_f32 v[8:9], v[6:7], v[60:61], v[8:9] op_sel_hi:[1,1,0] neg_lo:[0,0,1] neg_hi:[0,0,1]
	v_mul_f32_e32 v6, v7, v0
	v_pk_add_f32 v[80:81], v[80:81], v[10:11] neg_lo:[0,1] neg_hi:[0,1]
	s_delay_alu instid0(VALU_DEP_2) | instskip(NEXT) | instid1(VALU_DEP_1)
	v_pk_fma_f32 v[4:5], v[4:5], v[60:61], v[6:7] op_sel_hi:[1,1,0]
	v_mov_b32_e32 v9, v5
	ds_load_2addr_b64 v[4:7], v168 offset0:18 offset1:19
	v_pk_add_f32 v[76:77], v[76:77], v[8:9] neg_lo:[0,1] neg_hi:[0,1]
	s_wait_dscnt 0x0
	v_pk_mul_f32 v[8:9], v[4:5], v[2:3] op_sel:[0,1]
	s_delay_alu instid0(VALU_DEP_1) | instskip(SKIP_1) | instid1(VALU_DEP_1)
	v_pk_fma_f32 v[10:11], v[4:5], v[0:1], v[8:9] op_sel:[0,0,1] op_sel_hi:[1,1,0] neg_lo:[0,0,1] neg_hi:[0,0,1]
	v_pk_fma_f32 v[4:5], v[4:5], v[0:1], v[8:9] op_sel:[0,0,1] op_sel_hi:[1,0,0]
	v_mov_b32_e32 v11, v5
	v_pk_mul_f32 v[4:5], v[6:7], v[2:3] op_sel:[0,1]
	s_delay_alu instid0(VALU_DEP_1) | instskip(SKIP_1) | instid1(VALU_DEP_1)
	v_pk_fma_f32 v[8:9], v[6:7], v[0:1], v[4:5] op_sel:[0,0,1] op_sel_hi:[1,1,0] neg_lo:[0,0,1] neg_hi:[0,0,1]
	v_pk_fma_f32 v[4:5], v[6:7], v[0:1], v[4:5] op_sel:[0,0,1] op_sel_hi:[1,0,0]
	v_mov_b32_e32 v9, v5
	ds_load_2addr_b64 v[4:7], v168 offset0:20 offset1:21
	v_pk_add_f32 v[78:79], v[78:79], v[10:11] neg_lo:[0,1] neg_hi:[0,1]
	v_pk_add_f32 v[74:75], v[74:75], v[8:9] neg_lo:[0,1] neg_hi:[0,1]
	s_wait_dscnt 0x0
	v_pk_mul_f32 v[8:9], v[4:5], v[2:3] op_sel:[0,1]
	s_delay_alu instid0(VALU_DEP_1) | instskip(SKIP_1) | instid1(VALU_DEP_1)
	v_pk_fma_f32 v[10:11], v[4:5], v[0:1], v[8:9] op_sel:[0,0,1] op_sel_hi:[1,1,0] neg_lo:[0,0,1] neg_hi:[0,0,1]
	v_pk_fma_f32 v[4:5], v[4:5], v[0:1], v[8:9] op_sel:[0,0,1] op_sel_hi:[1,0,0]
	v_mov_b32_e32 v11, v5
	v_pk_mul_f32 v[4:5], v[6:7], v[2:3] op_sel:[0,1]
	s_delay_alu instid0(VALU_DEP_1) | instskip(SKIP_1) | instid1(VALU_DEP_1)
	v_pk_fma_f32 v[8:9], v[6:7], v[0:1], v[4:5] op_sel:[0,0,1] op_sel_hi:[1,1,0] neg_lo:[0,0,1] neg_hi:[0,0,1]
	v_pk_fma_f32 v[4:5], v[6:7], v[0:1], v[4:5] op_sel:[0,0,1] op_sel_hi:[1,0,0]
	v_mov_b32_e32 v9, v5
	ds_load_2addr_b64 v[4:7], v168 offset0:22 offset1:23
	v_pk_add_f32 v[98:99], v[98:99], v[10:11] neg_lo:[0,1] neg_hi:[0,1]
	v_pk_add_f32 v[94:95], v[94:95], v[8:9] neg_lo:[0,1] neg_hi:[0,1]
	s_wait_dscnt 0x0
	v_dual_mul_f32 v8, v5, v3 :: v_dual_mul_f32 v10, v5, v0
	s_delay_alu instid0(VALU_DEP_1) | instskip(NEXT) | instid1(VALU_DEP_2)
	v_pk_fma_f32 v[8:9], v[4:5], v[60:61], v[8:9] op_sel_hi:[1,1,0] neg_lo:[0,0,1] neg_hi:[0,0,1]
	v_pk_fma_f32 v[4:5], v[4:5], v[60:61], v[10:11] op_sel:[1,0,0] op_sel_hi:[0,1,0]
	s_delay_alu instid0(VALU_DEP_1) | instskip(SKIP_1) | instid1(VALU_DEP_2)
	v_mov_b32_e32 v9, v5
	v_pk_mul_f32 v[4:5], v[6:7], v[2:3] op_sel:[0,1]
	v_pk_add_f32 v[96:97], v[96:97], v[8:9] neg_lo:[0,1] neg_hi:[0,1]
	s_delay_alu instid0(VALU_DEP_2) | instskip(SKIP_1) | instid1(VALU_DEP_1)
	v_pk_fma_f32 v[8:9], v[6:7], v[0:1], v[4:5] op_sel:[0,0,1] op_sel_hi:[1,1,0] neg_lo:[0,0,1] neg_hi:[0,0,1]
	v_pk_fma_f32 v[4:5], v[6:7], v[0:1], v[4:5] op_sel:[0,0,1] op_sel_hi:[1,0,0]
	v_mov_b32_e32 v9, v5
	ds_load_2addr_b64 v[4:7], v168 offset0:24 offset1:25
	v_pk_add_f32 v[92:93], v[92:93], v[8:9] neg_lo:[0,1] neg_hi:[0,1]
	s_wait_dscnt 0x0
	v_pk_mul_f32 v[8:9], v[4:5], v[2:3] op_sel:[0,1]
	s_delay_alu instid0(VALU_DEP_1) | instskip(SKIP_1) | instid1(VALU_DEP_1)
	v_pk_fma_f32 v[10:11], v[4:5], v[0:1], v[8:9] op_sel:[0,0,1] op_sel_hi:[1,1,0] neg_lo:[0,0,1] neg_hi:[0,0,1]
	v_pk_fma_f32 v[4:5], v[4:5], v[0:1], v[8:9] op_sel:[0,0,1] op_sel_hi:[1,0,0]
	v_mov_b32_e32 v11, v5
	v_pk_mul_f32 v[4:5], v[6:7], v[2:3] op_sel:[0,1]
	s_delay_alu instid0(VALU_DEP_2) | instskip(NEXT) | instid1(VALU_DEP_2)
	v_pk_add_f32 v[114:115], v[114:115], v[10:11] neg_lo:[0,1] neg_hi:[0,1]
	v_pk_fma_f32 v[8:9], v[6:7], v[0:1], v[4:5] op_sel:[0,0,1] op_sel_hi:[1,1,0] neg_lo:[0,0,1] neg_hi:[0,0,1]
	v_pk_fma_f32 v[4:5], v[6:7], v[0:1], v[4:5] op_sel:[0,0,1] op_sel_hi:[1,0,0]
	s_delay_alu instid0(VALU_DEP_1) | instskip(SKIP_4) | instid1(VALU_DEP_1)
	v_mov_b32_e32 v9, v5
	ds_load_2addr_b64 v[4:7], v168 offset0:26 offset1:27
	v_pk_add_f32 v[110:111], v[110:111], v[8:9] neg_lo:[0,1] neg_hi:[0,1]
	s_wait_dscnt 0x0
	v_pk_mul_f32 v[8:9], v[4:5], v[2:3] op_sel:[0,1]
	v_pk_fma_f32 v[10:11], v[4:5], v[0:1], v[8:9] op_sel:[0,0,1] op_sel_hi:[1,1,0] neg_lo:[0,0,1] neg_hi:[0,0,1]
	v_pk_fma_f32 v[4:5], v[4:5], v[0:1], v[8:9] op_sel:[0,0,1] op_sel_hi:[1,0,0]
	v_dual_mul_f32 v8, v7, v3 :: v_dual_mov_b32 v4, v7
	s_delay_alu instid0(VALU_DEP_2) | instskip(NEXT) | instid1(VALU_DEP_2)
	v_dual_mov_b32 v11, v5 :: v_dual_mov_b32 v5, v6
	v_pk_fma_f32 v[8:9], v[6:7], v[60:61], v[8:9] op_sel_hi:[1,1,0] neg_lo:[0,0,1] neg_hi:[0,0,1]
	v_mul_f32_e32 v6, v7, v0
	s_delay_alu instid0(VALU_DEP_3) | instskip(NEXT) | instid1(VALU_DEP_2)
	v_pk_add_f32 v[112:113], v[112:113], v[10:11] neg_lo:[0,1] neg_hi:[0,1]
	v_pk_fma_f32 v[4:5], v[4:5], v[60:61], v[6:7] op_sel_hi:[1,1,0]
	s_delay_alu instid0(VALU_DEP_1) | instskip(SKIP_4) | instid1(VALU_DEP_1)
	v_mov_b32_e32 v9, v5
	ds_load_2addr_b64 v[4:7], v168 offset0:28 offset1:29
	v_pk_add_f32 v[108:109], v[108:109], v[8:9] neg_lo:[0,1] neg_hi:[0,1]
	s_wait_dscnt 0x0
	v_pk_mul_f32 v[8:9], v[4:5], v[2:3] op_sel:[0,1]
	v_pk_fma_f32 v[10:11], v[4:5], v[0:1], v[8:9] op_sel:[0,0,1] op_sel_hi:[1,1,0] neg_lo:[0,0,1] neg_hi:[0,0,1]
	v_pk_fma_f32 v[4:5], v[4:5], v[0:1], v[8:9] op_sel:[0,0,1] op_sel_hi:[1,0,0]
	s_delay_alu instid0(VALU_DEP_1) | instskip(SKIP_1) | instid1(VALU_DEP_1)
	v_mov_b32_e32 v11, v5
	v_pk_mul_f32 v[4:5], v[6:7], v[2:3] op_sel:[0,1]
	v_pk_fma_f32 v[8:9], v[6:7], v[0:1], v[4:5] op_sel:[0,0,1] op_sel_hi:[1,1,0] neg_lo:[0,0,1] neg_hi:[0,0,1]
	v_pk_fma_f32 v[4:5], v[6:7], v[0:1], v[4:5] op_sel:[0,0,1] op_sel_hi:[1,0,0]
	s_delay_alu instid0(VALU_DEP_1)
	v_mov_b32_e32 v9, v5
	ds_load_2addr_b64 v[4:7], v168 offset0:30 offset1:31
	v_pk_add_f32 v[130:131], v[130:131], v[10:11] neg_lo:[0,1] neg_hi:[0,1]
	v_pk_add_f32 v[126:127], v[126:127], v[8:9] neg_lo:[0,1] neg_hi:[0,1]
	s_wait_dscnt 0x0
	v_pk_mul_f32 v[8:9], v[4:5], v[2:3] op_sel:[0,1]
	s_delay_alu instid0(VALU_DEP_1) | instskip(SKIP_1) | instid1(VALU_DEP_1)
	v_pk_fma_f32 v[10:11], v[4:5], v[0:1], v[8:9] op_sel:[0,0,1] op_sel_hi:[1,1,0] neg_lo:[0,0,1] neg_hi:[0,0,1]
	v_pk_fma_f32 v[4:5], v[4:5], v[0:1], v[8:9] op_sel:[0,0,1] op_sel_hi:[1,0,0]
	v_mov_b32_e32 v11, v5
	v_pk_mul_f32 v[4:5], v[6:7], v[2:3] op_sel:[0,1]
	s_delay_alu instid0(VALU_DEP_1) | instskip(SKIP_1) | instid1(VALU_DEP_1)
	v_pk_fma_f32 v[8:9], v[6:7], v[0:1], v[4:5] op_sel:[0,0,1] op_sel_hi:[1,1,0] neg_lo:[0,0,1] neg_hi:[0,0,1]
	v_pk_fma_f32 v[4:5], v[6:7], v[0:1], v[4:5] op_sel:[0,0,1] op_sel_hi:[1,0,0]
	v_mov_b32_e32 v9, v5
	ds_load_2addr_b64 v[4:7], v168 offset0:32 offset1:33
	v_pk_add_f32 v[128:129], v[128:129], v[10:11] neg_lo:[0,1] neg_hi:[0,1]
	v_pk_add_f32 v[124:125], v[124:125], v[8:9] neg_lo:[0,1] neg_hi:[0,1]
	s_wait_dscnt 0x0
	v_dual_mul_f32 v8, v5, v3 :: v_dual_mul_f32 v10, v5, v0
	s_delay_alu instid0(VALU_DEP_1) | instskip(NEXT) | instid1(VALU_DEP_2)
	v_pk_fma_f32 v[8:9], v[4:5], v[60:61], v[8:9] op_sel_hi:[1,1,0] neg_lo:[0,0,1] neg_hi:[0,0,1]
	v_pk_fma_f32 v[4:5], v[4:5], v[60:61], v[10:11] op_sel:[1,0,0] op_sel_hi:[0,1,0]
	s_delay_alu instid0(VALU_DEP_1) | instskip(SKIP_1) | instid1(VALU_DEP_2)
	v_mov_b32_e32 v9, v5
	v_pk_mul_f32 v[4:5], v[6:7], v[2:3] op_sel:[0,1]
	v_pk_add_f32 v[146:147], v[146:147], v[8:9] neg_lo:[0,1] neg_hi:[0,1]
	s_delay_alu instid0(VALU_DEP_2) | instskip(SKIP_1) | instid1(VALU_DEP_1)
	v_pk_fma_f32 v[8:9], v[6:7], v[0:1], v[4:5] op_sel:[0,0,1] op_sel_hi:[1,1,0] neg_lo:[0,0,1] neg_hi:[0,0,1]
	v_pk_fma_f32 v[4:5], v[6:7], v[0:1], v[4:5] op_sel:[0,0,1] op_sel_hi:[1,0,0]
	v_mov_b32_e32 v9, v5
	ds_load_2addr_b64 v[4:7], v168 offset0:34 offset1:35
	v_pk_add_f32 v[142:143], v[142:143], v[8:9] neg_lo:[0,1] neg_hi:[0,1]
	s_wait_dscnt 0x0
	v_pk_mul_f32 v[8:9], v[4:5], v[2:3] op_sel:[0,1]
	s_delay_alu instid0(VALU_DEP_1) | instskip(SKIP_1) | instid1(VALU_DEP_1)
	v_pk_fma_f32 v[10:11], v[4:5], v[0:1], v[8:9] op_sel:[0,0,1] op_sel_hi:[1,1,0] neg_lo:[0,0,1] neg_hi:[0,0,1]
	v_pk_fma_f32 v[4:5], v[4:5], v[0:1], v[8:9] op_sel:[0,0,1] op_sel_hi:[1,0,0]
	v_mov_b32_e32 v11, v5
	v_pk_mul_f32 v[4:5], v[6:7], v[2:3] op_sel:[0,1]
	s_delay_alu instid0(VALU_DEP_2) | instskip(NEXT) | instid1(VALU_DEP_2)
	v_pk_add_f32 v[144:145], v[144:145], v[10:11] neg_lo:[0,1] neg_hi:[0,1]
	v_pk_fma_f32 v[8:9], v[6:7], v[0:1], v[4:5] op_sel:[0,0,1] op_sel_hi:[1,1,0] neg_lo:[0,0,1] neg_hi:[0,0,1]
	v_pk_fma_f32 v[4:5], v[6:7], v[0:1], v[4:5] op_sel:[0,0,1] op_sel_hi:[1,0,0]
	s_delay_alu instid0(VALU_DEP_1) | instskip(SKIP_4) | instid1(VALU_DEP_1)
	v_mov_b32_e32 v9, v5
	ds_load_2addr_b64 v[4:7], v168 offset0:36 offset1:37
	v_pk_add_f32 v[140:141], v[140:141], v[8:9] neg_lo:[0,1] neg_hi:[0,1]
	s_wait_dscnt 0x0
	v_pk_mul_f32 v[8:9], v[4:5], v[2:3] op_sel:[0,1]
	v_pk_fma_f32 v[10:11], v[4:5], v[0:1], v[8:9] op_sel:[0,0,1] op_sel_hi:[1,1,0] neg_lo:[0,0,1] neg_hi:[0,0,1]
	v_pk_fma_f32 v[4:5], v[4:5], v[0:1], v[8:9] op_sel:[0,0,1] op_sel_hi:[1,0,0]
	v_dual_mul_f32 v8, v7, v3 :: v_dual_mov_b32 v4, v7
	s_delay_alu instid0(VALU_DEP_2) | instskip(NEXT) | instid1(VALU_DEP_2)
	v_dual_mov_b32 v11, v5 :: v_dual_mov_b32 v5, v6
	v_pk_fma_f32 v[8:9], v[6:7], v[60:61], v[8:9] op_sel_hi:[1,1,0] neg_lo:[0,0,1] neg_hi:[0,0,1]
	v_mul_f32_e32 v6, v7, v0
	s_delay_alu instid0(VALU_DEP_3) | instskip(NEXT) | instid1(VALU_DEP_2)
	v_pk_add_f32 v[162:163], v[162:163], v[10:11] neg_lo:[0,1] neg_hi:[0,1]
	v_pk_fma_f32 v[4:5], v[4:5], v[60:61], v[6:7] op_sel_hi:[1,1,0]
	s_delay_alu instid0(VALU_DEP_1) | instskip(SKIP_4) | instid1(VALU_DEP_1)
	v_mov_b32_e32 v9, v5
	ds_load_2addr_b64 v[4:7], v168 offset0:38 offset1:39
	v_pk_add_f32 v[158:159], v[158:159], v[8:9] neg_lo:[0,1] neg_hi:[0,1]
	s_wait_dscnt 0x0
	v_pk_mul_f32 v[8:9], v[4:5], v[2:3] op_sel:[0,1]
	v_pk_fma_f32 v[10:11], v[4:5], v[0:1], v[8:9] op_sel:[0,0,1] op_sel_hi:[1,1,0] neg_lo:[0,0,1] neg_hi:[0,0,1]
	v_pk_fma_f32 v[4:5], v[4:5], v[0:1], v[8:9] op_sel:[0,0,1] op_sel_hi:[1,0,0]
	s_delay_alu instid0(VALU_DEP_1) | instskip(SKIP_1) | instid1(VALU_DEP_1)
	v_mov_b32_e32 v11, v5
	v_pk_mul_f32 v[4:5], v[6:7], v[2:3] op_sel:[0,1]
	v_pk_fma_f32 v[8:9], v[6:7], v[0:1], v[4:5] op_sel:[0,0,1] op_sel_hi:[1,1,0] neg_lo:[0,0,1] neg_hi:[0,0,1]
	v_pk_fma_f32 v[4:5], v[6:7], v[0:1], v[4:5] op_sel:[0,0,1] op_sel_hi:[1,0,0]
	s_delay_alu instid0(VALU_DEP_1)
	v_mov_b32_e32 v9, v5
	ds_load_2addr_b64 v[4:7], v168 offset0:40 offset1:41
	v_pk_add_f32 v[160:161], v[160:161], v[10:11] neg_lo:[0,1] neg_hi:[0,1]
	v_pk_add_f32 v[156:157], v[156:157], v[8:9] neg_lo:[0,1] neg_hi:[0,1]
	s_wait_dscnt 0x0
	v_pk_mul_f32 v[8:9], v[4:5], v[2:3] op_sel:[0,1]
	s_delay_alu instid0(VALU_DEP_1) | instskip(SKIP_1) | instid1(VALU_DEP_1)
	v_pk_fma_f32 v[10:11], v[4:5], v[0:1], v[8:9] op_sel:[0,0,1] op_sel_hi:[1,1,0] neg_lo:[0,0,1] neg_hi:[0,0,1]
	v_pk_fma_f32 v[4:5], v[4:5], v[0:1], v[8:9] op_sel:[0,0,1] op_sel_hi:[1,0,0]
	v_mov_b32_e32 v11, v5
	v_pk_mul_f32 v[4:5], v[6:7], v[2:3] op_sel:[0,1]
	s_delay_alu instid0(VALU_DEP_1) | instskip(SKIP_1) | instid1(VALU_DEP_1)
	v_pk_fma_f32 v[8:9], v[6:7], v[0:1], v[4:5] op_sel:[0,0,1] op_sel_hi:[1,1,0] neg_lo:[0,0,1] neg_hi:[0,0,1]
	v_pk_fma_f32 v[4:5], v[6:7], v[0:1], v[4:5] op_sel:[0,0,1] op_sel_hi:[1,0,0]
	v_mov_b32_e32 v9, v5
	ds_load_2addr_b64 v[4:7], v168 offset0:42 offset1:43
	v_pk_add_f32 v[178:179], v[178:179], v[10:11] neg_lo:[0,1] neg_hi:[0,1]
	v_pk_add_f32 v[174:175], v[174:175], v[8:9] neg_lo:[0,1] neg_hi:[0,1]
	s_wait_dscnt 0x0
	v_dual_mul_f32 v8, v5, v3 :: v_dual_mul_f32 v10, v5, v0
	s_delay_alu instid0(VALU_DEP_1) | instskip(NEXT) | instid1(VALU_DEP_2)
	v_pk_fma_f32 v[8:9], v[4:5], v[60:61], v[8:9] op_sel_hi:[1,1,0] neg_lo:[0,0,1] neg_hi:[0,0,1]
	v_pk_fma_f32 v[4:5], v[4:5], v[60:61], v[10:11] op_sel:[1,0,0] op_sel_hi:[0,1,0]
	s_delay_alu instid0(VALU_DEP_1) | instskip(SKIP_1) | instid1(VALU_DEP_2)
	v_mov_b32_e32 v9, v5
	v_pk_mul_f32 v[4:5], v[6:7], v[2:3] op_sel:[0,1]
	v_pk_add_f32 v[176:177], v[176:177], v[8:9] neg_lo:[0,1] neg_hi:[0,1]
	s_delay_alu instid0(VALU_DEP_2) | instskip(SKIP_1) | instid1(VALU_DEP_1)
	v_pk_fma_f32 v[8:9], v[6:7], v[0:1], v[4:5] op_sel:[0,0,1] op_sel_hi:[1,1,0] neg_lo:[0,0,1] neg_hi:[0,0,1]
	v_pk_fma_f32 v[4:5], v[6:7], v[0:1], v[4:5] op_sel:[0,0,1] op_sel_hi:[1,0,0]
	v_mov_b32_e32 v9, v5
	ds_load_2addr_b64 v[4:7], v168 offset0:44 offset1:45
	v_pk_add_f32 v[172:173], v[172:173], v[8:9] neg_lo:[0,1] neg_hi:[0,1]
	s_wait_dscnt 0x0
	v_pk_mul_f32 v[8:9], v[4:5], v[2:3] op_sel:[0,1]
	s_delay_alu instid0(VALU_DEP_1) | instskip(SKIP_1) | instid1(VALU_DEP_1)
	v_pk_fma_f32 v[10:11], v[4:5], v[0:1], v[8:9] op_sel:[0,0,1] op_sel_hi:[1,1,0] neg_lo:[0,0,1] neg_hi:[0,0,1]
	v_pk_fma_f32 v[4:5], v[4:5], v[0:1], v[8:9] op_sel:[0,0,1] op_sel_hi:[1,0,0]
	v_mov_b32_e32 v11, v5
	v_pk_mul_f32 v[4:5], v[6:7], v[2:3] op_sel:[0,1]
	s_delay_alu instid0(VALU_DEP_2) | instskip(NEXT) | instid1(VALU_DEP_2)
	v_pk_add_f32 v[198:199], v[198:199], v[10:11] neg_lo:[0,1] neg_hi:[0,1]
	v_pk_fma_f32 v[8:9], v[6:7], v[0:1], v[4:5] op_sel:[0,0,1] op_sel_hi:[1,1,0] neg_lo:[0,0,1] neg_hi:[0,0,1]
	v_pk_fma_f32 v[4:5], v[6:7], v[0:1], v[4:5] op_sel:[0,0,1] op_sel_hi:[1,0,0]
	s_delay_alu instid0(VALU_DEP_1) | instskip(SKIP_4) | instid1(VALU_DEP_1)
	v_mov_b32_e32 v9, v5
	ds_load_2addr_b64 v[4:7], v168 offset0:46 offset1:47
	v_pk_add_f32 v[194:195], v[194:195], v[8:9] neg_lo:[0,1] neg_hi:[0,1]
	s_wait_dscnt 0x0
	v_pk_mul_f32 v[8:9], v[4:5], v[2:3] op_sel:[0,1]
	v_pk_fma_f32 v[10:11], v[4:5], v[0:1], v[8:9] op_sel:[0,0,1] op_sel_hi:[1,1,0] neg_lo:[0,0,1] neg_hi:[0,0,1]
	v_pk_fma_f32 v[4:5], v[4:5], v[0:1], v[8:9] op_sel:[0,0,1] op_sel_hi:[1,0,0]
	v_dual_mul_f32 v8, v7, v3 :: v_dual_mov_b32 v4, v7
	s_delay_alu instid0(VALU_DEP_2) | instskip(NEXT) | instid1(VALU_DEP_2)
	v_dual_mov_b32 v11, v5 :: v_dual_mov_b32 v5, v6
	v_pk_fma_f32 v[8:9], v[6:7], v[60:61], v[8:9] op_sel_hi:[1,1,0] neg_lo:[0,0,1] neg_hi:[0,0,1]
	v_mul_f32_e32 v6, v7, v0
	s_delay_alu instid0(VALU_DEP_3) | instskip(NEXT) | instid1(VALU_DEP_2)
	v_pk_add_f32 v[196:197], v[196:197], v[10:11] neg_lo:[0,1] neg_hi:[0,1]
	v_pk_fma_f32 v[4:5], v[4:5], v[60:61], v[6:7] op_sel_hi:[1,1,0]
	s_delay_alu instid0(VALU_DEP_1) | instskip(SKIP_4) | instid1(VALU_DEP_1)
	v_mov_b32_e32 v9, v5
	ds_load_2addr_b64 v[4:7], v168 offset0:48 offset1:49
	v_pk_add_f32 v[192:193], v[192:193], v[8:9] neg_lo:[0,1] neg_hi:[0,1]
	s_wait_dscnt 0x0
	v_pk_mul_f32 v[8:9], v[4:5], v[2:3] op_sel:[0,1]
	v_pk_fma_f32 v[10:11], v[4:5], v[0:1], v[8:9] op_sel:[0,0,1] op_sel_hi:[1,1,0] neg_lo:[0,0,1] neg_hi:[0,0,1]
	v_pk_fma_f32 v[4:5], v[4:5], v[0:1], v[8:9] op_sel:[0,0,1] op_sel_hi:[1,0,0]
	s_delay_alu instid0(VALU_DEP_1) | instskip(SKIP_1) | instid1(VALU_DEP_1)
	v_mov_b32_e32 v11, v5
	v_pk_mul_f32 v[4:5], v[6:7], v[2:3] op_sel:[0,1]
	v_pk_fma_f32 v[8:9], v[6:7], v[0:1], v[4:5] op_sel:[0,0,1] op_sel_hi:[1,1,0] neg_lo:[0,0,1] neg_hi:[0,0,1]
	v_pk_fma_f32 v[4:5], v[6:7], v[0:1], v[4:5] op_sel:[0,0,1] op_sel_hi:[1,0,0]
	s_delay_alu instid0(VALU_DEP_1)
	v_mov_b32_e32 v9, v5
	ds_load_2addr_b64 v[4:7], v168 offset0:50 offset1:51
	v_pk_add_f32 v[220:221], v[220:221], v[10:11] neg_lo:[0,1] neg_hi:[0,1]
	v_pk_add_f32 v[214:215], v[214:215], v[8:9] neg_lo:[0,1] neg_hi:[0,1]
	s_wait_dscnt 0x0
	v_pk_mul_f32 v[8:9], v[4:5], v[2:3] op_sel:[0,1]
	s_delay_alu instid0(VALU_DEP_1) | instskip(SKIP_1) | instid1(VALU_DEP_1)
	v_pk_fma_f32 v[10:11], v[4:5], v[0:1], v[8:9] op_sel:[0,0,1] op_sel_hi:[1,1,0] neg_lo:[0,0,1] neg_hi:[0,0,1]
	v_pk_fma_f32 v[4:5], v[4:5], v[0:1], v[8:9] op_sel:[0,0,1] op_sel_hi:[1,0,0]
	v_mov_b32_e32 v11, v5
	v_pk_mul_f32 v[4:5], v[6:7], v[2:3] op_sel:[0,1]
	s_delay_alu instid0(VALU_DEP_1) | instskip(SKIP_1) | instid1(VALU_DEP_1)
	v_pk_fma_f32 v[8:9], v[6:7], v[0:1], v[4:5] op_sel:[0,0,1] op_sel_hi:[1,1,0] neg_lo:[0,0,1] neg_hi:[0,0,1]
	v_pk_fma_f32 v[4:5], v[6:7], v[0:1], v[4:5] op_sel:[0,0,1] op_sel_hi:[1,0,0]
	v_mov_b32_e32 v9, v5
	ds_load_2addr_b64 v[4:7], v168 offset0:52 offset1:53
	v_pk_add_f32 v[218:219], v[218:219], v[10:11] neg_lo:[0,1] neg_hi:[0,1]
	v_pk_add_f32 v[212:213], v[212:213], v[8:9] neg_lo:[0,1] neg_hi:[0,1]
	s_wait_dscnt 0x0
	v_dual_mul_f32 v8, v5, v3 :: v_dual_mul_f32 v10, v5, v0
	s_delay_alu instid0(VALU_DEP_1) | instskip(NEXT) | instid1(VALU_DEP_2)
	v_pk_fma_f32 v[8:9], v[4:5], v[60:61], v[8:9] op_sel_hi:[1,1,0] neg_lo:[0,0,1] neg_hi:[0,0,1]
	v_pk_fma_f32 v[4:5], v[4:5], v[60:61], v[10:11] op_sel:[1,0,0] op_sel_hi:[0,1,0]
	s_delay_alu instid0(VALU_DEP_1) | instskip(SKIP_1) | instid1(VALU_DEP_2)
	v_mov_b32_e32 v9, v5
	v_pk_mul_f32 v[4:5], v[6:7], v[2:3] op_sel:[0,1]
	v_pk_add_f32 v[216:217], v[216:217], v[8:9] neg_lo:[0,1] neg_hi:[0,1]
	s_delay_alu instid0(VALU_DEP_2) | instskip(SKIP_1) | instid1(VALU_DEP_1)
	v_pk_fma_f32 v[8:9], v[6:7], v[0:1], v[4:5] op_sel:[0,0,1] op_sel_hi:[1,1,0] neg_lo:[0,0,1] neg_hi:[0,0,1]
	v_pk_fma_f32 v[4:5], v[6:7], v[0:1], v[4:5] op_sel:[0,0,1] op_sel_hi:[1,0,0]
	v_mov_b32_e32 v9, v5
	ds_load_2addr_b64 v[4:7], v168 offset0:54 offset1:55
	v_pk_add_f32 v[210:211], v[210:211], v[8:9] neg_lo:[0,1] neg_hi:[0,1]
	s_wait_dscnt 0x0
	v_pk_mul_f32 v[8:9], v[4:5], v[2:3] op_sel:[0,1]
	v_mul_f32_e32 v2, v7, v3
	s_delay_alu instid0(VALU_DEP_2) | instskip(SKIP_2) | instid1(VALU_DEP_4)
	v_pk_fma_f32 v[10:11], v[4:5], v[0:1], v[8:9] op_sel:[0,0,1] op_sel_hi:[1,1,0] neg_lo:[0,0,1] neg_hi:[0,0,1]
	v_pk_fma_f32 v[4:5], v[4:5], v[0:1], v[8:9] op_sel:[0,0,1] op_sel_hi:[1,0,0]
	v_dual_mov_b32 v4, v7 :: v_dual_mul_f32 v0, v7, v0
	v_pk_fma_f32 v[2:3], v[6:7], v[60:61], v[2:3] op_sel_hi:[1,1,0] neg_lo:[0,0,1] neg_hi:[0,0,1]
	s_delay_alu instid0(VALU_DEP_3) | instskip(NEXT) | instid1(VALU_DEP_1)
	v_dual_mov_b32 v11, v5 :: v_dual_mov_b32 v5, v6
	v_pk_add_f32 v[222:223], v[222:223], v[10:11] neg_lo:[0,1] neg_hi:[0,1]
	s_delay_alu instid0(VALU_DEP_2) | instskip(NEXT) | instid1(VALU_DEP_1)
	v_pk_fma_f32 v[0:1], v[4:5], v[60:61], v[0:1] op_sel_hi:[1,1,0]
	v_mov_b32_e32 v3, v1
	s_delay_alu instid0(VALU_DEP_1)
	v_pk_add_f32 v[224:225], v[224:225], v[2:3] neg_lo:[0,1] neg_hi:[0,1]
.LBB111_127:
	s_wait_xcnt 0x0
	s_or_b32 exec_lo, exec_lo, s1
	s_delay_alu instid0(SALU_CYCLE_1)
	s_mov_b32 s2, exec_lo
	s_wait_storecnt 0x0
	s_barrier_signal -1
	s_barrier_wait -1
	v_cmpx_eq_u32_e32 14, v166
	s_cbranch_execz .LBB111_134
; %bb.128:
	ds_store_b64 v167, v[62:63]
	ds_store_2addr_b64 v168, v[58:59], v[80:81] offset0:15 offset1:16
	ds_store_2addr_b64 v168, v[76:77], v[78:79] offset0:17 offset1:18
	;; [unrolled: 1-line block ×20, first 2 shown]
	ds_store_b64 v168, v[224:225] offset:440
	ds_load_b64 v[0:1], v167
	s_wait_dscnt 0x0
	v_cmp_neq_f32_e32 vcc_lo, 0, v0
	v_cmp_neq_f32_e64 s1, 0, v1
	s_or_b32 s1, vcc_lo, s1
	s_delay_alu instid0(SALU_CYCLE_1)
	s_and_b32 exec_lo, exec_lo, s1
	s_cbranch_execz .LBB111_134
; %bb.129:
	v_cmp_ngt_f32_e64 s1, |v0|, |v1|
                                        ; implicit-def: $vgpr2_vgpr3
	s_and_saveexec_b32 s4, s1
	s_delay_alu instid0(SALU_CYCLE_1)
	s_xor_b32 s1, exec_lo, s4
	s_cbranch_execz .LBB111_131
; %bb.130:
	v_div_scale_f32 v2, null, v1, v1, v0
	v_div_scale_f32 v5, vcc_lo, v0, v1, v0
	s_delay_alu instid0(VALU_DEP_2) | instskip(SKIP_1) | instid1(TRANS32_DEP_1)
	v_rcp_f32_e32 v3, v2
	v_nop
	v_fma_f32 v4, -v2, v3, 1.0
	s_delay_alu instid0(VALU_DEP_1) | instskip(NEXT) | instid1(VALU_DEP_1)
	v_fmac_f32_e32 v3, v4, v3
	v_mul_f32_e32 v4, v5, v3
	s_delay_alu instid0(VALU_DEP_1) | instskip(NEXT) | instid1(VALU_DEP_1)
	v_fma_f32 v6, -v2, v4, v5
	v_fmac_f32_e32 v4, v6, v3
	s_delay_alu instid0(VALU_DEP_1) | instskip(NEXT) | instid1(VALU_DEP_1)
	v_fma_f32 v2, -v2, v4, v5
	v_div_fmas_f32 v2, v2, v3, v4
	s_delay_alu instid0(VALU_DEP_1) | instskip(NEXT) | instid1(VALU_DEP_1)
	v_div_fixup_f32 v2, v2, v1, v0
	v_fmac_f32_e32 v1, v0, v2
	s_delay_alu instid0(VALU_DEP_1) | instskip(SKIP_1) | instid1(VALU_DEP_2)
	v_div_scale_f32 v0, null, v1, v1, 1.0
	v_div_scale_f32 v5, vcc_lo, 1.0, v1, 1.0
	v_rcp_f32_e32 v3, v0
	v_nop
	s_delay_alu instid0(TRANS32_DEP_1) | instskip(NEXT) | instid1(VALU_DEP_1)
	v_fma_f32 v4, -v0, v3, 1.0
	v_fmac_f32_e32 v3, v4, v3
	s_delay_alu instid0(VALU_DEP_1) | instskip(NEXT) | instid1(VALU_DEP_1)
	v_mul_f32_e32 v4, v5, v3
	v_fma_f32 v6, -v0, v4, v5
	s_delay_alu instid0(VALU_DEP_1) | instskip(NEXT) | instid1(VALU_DEP_1)
	v_fmac_f32_e32 v4, v6, v3
	v_fma_f32 v0, -v0, v4, v5
	s_delay_alu instid0(VALU_DEP_1) | instskip(NEXT) | instid1(VALU_DEP_1)
	v_div_fmas_f32 v0, v0, v3, v4
	v_div_fixup_f32 v0, v0, v1, 1.0
	s_delay_alu instid0(VALU_DEP_1)
	v_mul_f32_e32 v2, v2, v0
	v_xor_b32_e32 v3, 0x80000000, v0
                                        ; implicit-def: $vgpr0_vgpr1
.LBB111_131:
	s_and_not1_saveexec_b32 s1, s1
	s_cbranch_execz .LBB111_133
; %bb.132:
	v_div_scale_f32 v2, null, v0, v0, v1
	v_div_scale_f32 v5, vcc_lo, v1, v0, v1
	s_delay_alu instid0(VALU_DEP_2) | instskip(SKIP_1) | instid1(TRANS32_DEP_1)
	v_rcp_f32_e32 v3, v2
	v_nop
	v_fma_f32 v4, -v2, v3, 1.0
	s_delay_alu instid0(VALU_DEP_1) | instskip(NEXT) | instid1(VALU_DEP_1)
	v_fmac_f32_e32 v3, v4, v3
	v_mul_f32_e32 v4, v5, v3
	s_delay_alu instid0(VALU_DEP_1) | instskip(NEXT) | instid1(VALU_DEP_1)
	v_fma_f32 v6, -v2, v4, v5
	v_fmac_f32_e32 v4, v6, v3
	s_delay_alu instid0(VALU_DEP_1) | instskip(NEXT) | instid1(VALU_DEP_1)
	v_fma_f32 v2, -v2, v4, v5
	v_div_fmas_f32 v2, v2, v3, v4
	s_delay_alu instid0(VALU_DEP_1) | instskip(NEXT) | instid1(VALU_DEP_1)
	v_div_fixup_f32 v3, v2, v0, v1
	v_fmac_f32_e32 v0, v1, v3
	s_delay_alu instid0(VALU_DEP_1) | instskip(NEXT) | instid1(VALU_DEP_1)
	v_div_scale_f32 v1, null, v0, v0, 1.0
	v_rcp_f32_e32 v2, v1
	v_nop
	s_delay_alu instid0(TRANS32_DEP_1) | instskip(NEXT) | instid1(VALU_DEP_1)
	v_fma_f32 v4, -v1, v2, 1.0
	v_fmac_f32_e32 v2, v4, v2
	v_div_scale_f32 v4, vcc_lo, 1.0, v0, 1.0
	s_delay_alu instid0(VALU_DEP_1) | instskip(NEXT) | instid1(VALU_DEP_1)
	v_mul_f32_e32 v5, v4, v2
	v_fma_f32 v6, -v1, v5, v4
	s_delay_alu instid0(VALU_DEP_1) | instskip(NEXT) | instid1(VALU_DEP_1)
	v_fmac_f32_e32 v5, v6, v2
	v_fma_f32 v1, -v1, v5, v4
	s_delay_alu instid0(VALU_DEP_1) | instskip(NEXT) | instid1(VALU_DEP_1)
	v_div_fmas_f32 v1, v1, v2, v5
	v_div_fixup_f32 v2, v1, v0, 1.0
	s_delay_alu instid0(VALU_DEP_1)
	v_mul_f32_e64 v3, v3, -v2
.LBB111_133:
	s_or_b32 exec_lo, exec_lo, s1
	ds_store_b64 v167, v[2:3]
.LBB111_134:
	s_or_b32 exec_lo, exec_lo, s2
	s_wait_dscnt 0x0
	s_barrier_signal -1
	s_barrier_wait -1
	ds_load_b64 v[0:1], v167
	s_mov_b32 s1, exec_lo
	s_wait_dscnt 0x0
	scratch_store_b64 off, v[0:1], off offset:360 ; 8-byte Folded Spill
	s_wait_xcnt 0x0
	v_cmpx_lt_u32_e32 14, v166
	s_cbranch_execz .LBB111_136
; %bb.135:
	scratch_load_b64 v[4:5], off, off offset:360 ; 8-byte Folded Reload
	s_wait_loadcnt 0x0
	v_pk_mul_f32 v[2:3], v[4:5], v[62:63] op_sel:[1,1] op_sel_hi:[0,1]
	s_delay_alu instid0(VALU_DEP_1)
	v_pk_fma_f32 v[0:1], v[4:5], v[62:63], v[2:3] op_sel_hi:[1,0,1] neg_lo:[0,0,1] neg_hi:[0,0,1]
	v_pk_fma_f32 v[2:3], v[4:5], v[62:63], v[2:3] op_sel_hi:[1,0,1]
	ds_load_2addr_b64 v[4:7], v168 offset0:15 offset1:16
	v_dual_mov_b32 v62, v0 :: v_dual_mov_b32 v63, v3
	s_wait_dscnt 0x0
	v_pk_mul_f32 v[8:9], v[4:5], v[2:3] op_sel:[0,1]
	s_delay_alu instid0(VALU_DEP_1) | instskip(SKIP_1) | instid1(VALU_DEP_1)
	v_pk_fma_f32 v[10:11], v[4:5], v[0:1], v[8:9] op_sel:[0,0,1] op_sel_hi:[1,1,0] neg_lo:[0,0,1] neg_hi:[0,0,1]
	v_pk_fma_f32 v[4:5], v[4:5], v[0:1], v[8:9] op_sel:[0,0,1] op_sel_hi:[1,0,0]
	v_mov_b32_e32 v11, v5
	v_pk_mul_f32 v[4:5], v[6:7], v[2:3] op_sel:[0,1]
	s_delay_alu instid0(VALU_DEP_1) | instskip(SKIP_1) | instid1(VALU_DEP_1)
	v_pk_fma_f32 v[8:9], v[6:7], v[0:1], v[4:5] op_sel:[0,0,1] op_sel_hi:[1,1,0] neg_lo:[0,0,1] neg_hi:[0,0,1]
	v_pk_fma_f32 v[4:5], v[6:7], v[0:1], v[4:5] op_sel:[0,0,1] op_sel_hi:[1,0,0]
	v_mov_b32_e32 v9, v5
	ds_load_2addr_b64 v[4:7], v168 offset0:17 offset1:18
	v_pk_add_f32 v[58:59], v[58:59], v[10:11] neg_lo:[0,1] neg_hi:[0,1]
	v_pk_add_f32 v[80:81], v[80:81], v[8:9] neg_lo:[0,1] neg_hi:[0,1]
	s_wait_dscnt 0x0
	v_pk_mul_f32 v[8:9], v[4:5], v[2:3] op_sel:[0,1]
	s_delay_alu instid0(VALU_DEP_1) | instskip(SKIP_2) | instid1(VALU_DEP_2)
	v_pk_fma_f32 v[10:11], v[4:5], v[0:1], v[8:9] op_sel:[0,0,1] op_sel_hi:[1,1,0] neg_lo:[0,0,1] neg_hi:[0,0,1]
	v_pk_fma_f32 v[4:5], v[4:5], v[0:1], v[8:9] op_sel:[0,0,1] op_sel_hi:[1,0,0]
	v_dual_mul_f32 v8, v7, v3 :: v_dual_mov_b32 v4, v7
	v_dual_mov_b32 v11, v5 :: v_dual_mov_b32 v5, v6
	s_delay_alu instid0(VALU_DEP_2) | instskip(SKIP_1) | instid1(VALU_DEP_3)
	v_pk_fma_f32 v[8:9], v[6:7], v[62:63], v[8:9] op_sel_hi:[1,1,0] neg_lo:[0,0,1] neg_hi:[0,0,1]
	v_mul_f32_e32 v6, v7, v0
	v_pk_add_f32 v[76:77], v[76:77], v[10:11] neg_lo:[0,1] neg_hi:[0,1]
	s_delay_alu instid0(VALU_DEP_2) | instskip(NEXT) | instid1(VALU_DEP_1)
	v_pk_fma_f32 v[4:5], v[4:5], v[62:63], v[6:7] op_sel_hi:[1,1,0]
	v_mov_b32_e32 v9, v5
	ds_load_2addr_b64 v[4:7], v168 offset0:19 offset1:20
	v_pk_add_f32 v[78:79], v[78:79], v[8:9] neg_lo:[0,1] neg_hi:[0,1]
	s_wait_dscnt 0x0
	v_pk_mul_f32 v[8:9], v[4:5], v[2:3] op_sel:[0,1]
	s_delay_alu instid0(VALU_DEP_1) | instskip(SKIP_1) | instid1(VALU_DEP_1)
	v_pk_fma_f32 v[10:11], v[4:5], v[0:1], v[8:9] op_sel:[0,0,1] op_sel_hi:[1,1,0] neg_lo:[0,0,1] neg_hi:[0,0,1]
	v_pk_fma_f32 v[4:5], v[4:5], v[0:1], v[8:9] op_sel:[0,0,1] op_sel_hi:[1,0,0]
	v_mov_b32_e32 v11, v5
	v_pk_mul_f32 v[4:5], v[6:7], v[2:3] op_sel:[0,1]
	s_delay_alu instid0(VALU_DEP_1) | instskip(SKIP_1) | instid1(VALU_DEP_1)
	v_pk_fma_f32 v[8:9], v[6:7], v[0:1], v[4:5] op_sel:[0,0,1] op_sel_hi:[1,1,0] neg_lo:[0,0,1] neg_hi:[0,0,1]
	v_pk_fma_f32 v[4:5], v[6:7], v[0:1], v[4:5] op_sel:[0,0,1] op_sel_hi:[1,0,0]
	v_mov_b32_e32 v9, v5
	ds_load_2addr_b64 v[4:7], v168 offset0:21 offset1:22
	v_pk_add_f32 v[74:75], v[74:75], v[10:11] neg_lo:[0,1] neg_hi:[0,1]
	v_pk_add_f32 v[98:99], v[98:99], v[8:9] neg_lo:[0,1] neg_hi:[0,1]
	s_wait_dscnt 0x0
	v_pk_mul_f32 v[8:9], v[4:5], v[2:3] op_sel:[0,1]
	s_delay_alu instid0(VALU_DEP_1) | instskip(SKIP_1) | instid1(VALU_DEP_1)
	v_pk_fma_f32 v[10:11], v[4:5], v[0:1], v[8:9] op_sel:[0,0,1] op_sel_hi:[1,1,0] neg_lo:[0,0,1] neg_hi:[0,0,1]
	v_pk_fma_f32 v[4:5], v[4:5], v[0:1], v[8:9] op_sel:[0,0,1] op_sel_hi:[1,0,0]
	v_mov_b32_e32 v11, v5
	v_pk_mul_f32 v[4:5], v[6:7], v[2:3] op_sel:[0,1]
	s_delay_alu instid0(VALU_DEP_1) | instskip(SKIP_1) | instid1(VALU_DEP_1)
	v_pk_fma_f32 v[8:9], v[6:7], v[0:1], v[4:5] op_sel:[0,0,1] op_sel_hi:[1,1,0] neg_lo:[0,0,1] neg_hi:[0,0,1]
	v_pk_fma_f32 v[4:5], v[6:7], v[0:1], v[4:5] op_sel:[0,0,1] op_sel_hi:[1,0,0]
	v_mov_b32_e32 v9, v5
	ds_load_2addr_b64 v[4:7], v168 offset0:23 offset1:24
	v_pk_add_f32 v[94:95], v[94:95], v[10:11] neg_lo:[0,1] neg_hi:[0,1]
	v_pk_add_f32 v[96:97], v[96:97], v[8:9] neg_lo:[0,1] neg_hi:[0,1]
	s_wait_dscnt 0x0
	v_dual_mul_f32 v8, v5, v3 :: v_dual_mul_f32 v10, v5, v0
	s_delay_alu instid0(VALU_DEP_1) | instskip(NEXT) | instid1(VALU_DEP_2)
	v_pk_fma_f32 v[8:9], v[4:5], v[62:63], v[8:9] op_sel_hi:[1,1,0] neg_lo:[0,0,1] neg_hi:[0,0,1]
	v_pk_fma_f32 v[4:5], v[4:5], v[62:63], v[10:11] op_sel:[1,0,0] op_sel_hi:[0,1,0]
	s_delay_alu instid0(VALU_DEP_1) | instskip(SKIP_1) | instid1(VALU_DEP_2)
	v_mov_b32_e32 v9, v5
	v_pk_mul_f32 v[4:5], v[6:7], v[2:3] op_sel:[0,1]
	v_pk_add_f32 v[92:93], v[92:93], v[8:9] neg_lo:[0,1] neg_hi:[0,1]
	s_delay_alu instid0(VALU_DEP_2) | instskip(SKIP_1) | instid1(VALU_DEP_1)
	v_pk_fma_f32 v[8:9], v[6:7], v[0:1], v[4:5] op_sel:[0,0,1] op_sel_hi:[1,1,0] neg_lo:[0,0,1] neg_hi:[0,0,1]
	v_pk_fma_f32 v[4:5], v[6:7], v[0:1], v[4:5] op_sel:[0,0,1] op_sel_hi:[1,0,0]
	v_mov_b32_e32 v9, v5
	ds_load_2addr_b64 v[4:7], v168 offset0:25 offset1:26
	v_pk_add_f32 v[114:115], v[114:115], v[8:9] neg_lo:[0,1] neg_hi:[0,1]
	s_wait_dscnt 0x0
	v_pk_mul_f32 v[8:9], v[4:5], v[2:3] op_sel:[0,1]
	s_delay_alu instid0(VALU_DEP_1) | instskip(SKIP_1) | instid1(VALU_DEP_1)
	v_pk_fma_f32 v[10:11], v[4:5], v[0:1], v[8:9] op_sel:[0,0,1] op_sel_hi:[1,1,0] neg_lo:[0,0,1] neg_hi:[0,0,1]
	v_pk_fma_f32 v[4:5], v[4:5], v[0:1], v[8:9] op_sel:[0,0,1] op_sel_hi:[1,0,0]
	v_mov_b32_e32 v11, v5
	v_pk_mul_f32 v[4:5], v[6:7], v[2:3] op_sel:[0,1]
	s_delay_alu instid0(VALU_DEP_2) | instskip(NEXT) | instid1(VALU_DEP_2)
	v_pk_add_f32 v[110:111], v[110:111], v[10:11] neg_lo:[0,1] neg_hi:[0,1]
	v_pk_fma_f32 v[8:9], v[6:7], v[0:1], v[4:5] op_sel:[0,0,1] op_sel_hi:[1,1,0] neg_lo:[0,0,1] neg_hi:[0,0,1]
	v_pk_fma_f32 v[4:5], v[6:7], v[0:1], v[4:5] op_sel:[0,0,1] op_sel_hi:[1,0,0]
	s_delay_alu instid0(VALU_DEP_1) | instskip(SKIP_4) | instid1(VALU_DEP_1)
	v_mov_b32_e32 v9, v5
	ds_load_2addr_b64 v[4:7], v168 offset0:27 offset1:28
	v_pk_add_f32 v[112:113], v[112:113], v[8:9] neg_lo:[0,1] neg_hi:[0,1]
	s_wait_dscnt 0x0
	v_pk_mul_f32 v[8:9], v[4:5], v[2:3] op_sel:[0,1]
	v_pk_fma_f32 v[10:11], v[4:5], v[0:1], v[8:9] op_sel:[0,0,1] op_sel_hi:[1,1,0] neg_lo:[0,0,1] neg_hi:[0,0,1]
	v_pk_fma_f32 v[4:5], v[4:5], v[0:1], v[8:9] op_sel:[0,0,1] op_sel_hi:[1,0,0]
	v_dual_mul_f32 v8, v7, v3 :: v_dual_mov_b32 v4, v7
	s_delay_alu instid0(VALU_DEP_2) | instskip(NEXT) | instid1(VALU_DEP_2)
	v_dual_mov_b32 v11, v5 :: v_dual_mov_b32 v5, v6
	v_pk_fma_f32 v[8:9], v[6:7], v[62:63], v[8:9] op_sel_hi:[1,1,0] neg_lo:[0,0,1] neg_hi:[0,0,1]
	v_mul_f32_e32 v6, v7, v0
	s_delay_alu instid0(VALU_DEP_3) | instskip(NEXT) | instid1(VALU_DEP_2)
	v_pk_add_f32 v[108:109], v[108:109], v[10:11] neg_lo:[0,1] neg_hi:[0,1]
	v_pk_fma_f32 v[4:5], v[4:5], v[62:63], v[6:7] op_sel_hi:[1,1,0]
	s_delay_alu instid0(VALU_DEP_1) | instskip(SKIP_4) | instid1(VALU_DEP_1)
	v_mov_b32_e32 v9, v5
	ds_load_2addr_b64 v[4:7], v168 offset0:29 offset1:30
	v_pk_add_f32 v[130:131], v[130:131], v[8:9] neg_lo:[0,1] neg_hi:[0,1]
	s_wait_dscnt 0x0
	v_pk_mul_f32 v[8:9], v[4:5], v[2:3] op_sel:[0,1]
	v_pk_fma_f32 v[10:11], v[4:5], v[0:1], v[8:9] op_sel:[0,0,1] op_sel_hi:[1,1,0] neg_lo:[0,0,1] neg_hi:[0,0,1]
	v_pk_fma_f32 v[4:5], v[4:5], v[0:1], v[8:9] op_sel:[0,0,1] op_sel_hi:[1,0,0]
	s_delay_alu instid0(VALU_DEP_1) | instskip(SKIP_1) | instid1(VALU_DEP_1)
	v_mov_b32_e32 v11, v5
	v_pk_mul_f32 v[4:5], v[6:7], v[2:3] op_sel:[0,1]
	v_pk_fma_f32 v[8:9], v[6:7], v[0:1], v[4:5] op_sel:[0,0,1] op_sel_hi:[1,1,0] neg_lo:[0,0,1] neg_hi:[0,0,1]
	v_pk_fma_f32 v[4:5], v[6:7], v[0:1], v[4:5] op_sel:[0,0,1] op_sel_hi:[1,0,0]
	s_delay_alu instid0(VALU_DEP_1)
	v_mov_b32_e32 v9, v5
	ds_load_2addr_b64 v[4:7], v168 offset0:31 offset1:32
	v_pk_add_f32 v[126:127], v[126:127], v[10:11] neg_lo:[0,1] neg_hi:[0,1]
	v_pk_add_f32 v[128:129], v[128:129], v[8:9] neg_lo:[0,1] neg_hi:[0,1]
	s_wait_dscnt 0x0
	v_pk_mul_f32 v[8:9], v[4:5], v[2:3] op_sel:[0,1]
	s_delay_alu instid0(VALU_DEP_1) | instskip(SKIP_1) | instid1(VALU_DEP_1)
	v_pk_fma_f32 v[10:11], v[4:5], v[0:1], v[8:9] op_sel:[0,0,1] op_sel_hi:[1,1,0] neg_lo:[0,0,1] neg_hi:[0,0,1]
	v_pk_fma_f32 v[4:5], v[4:5], v[0:1], v[8:9] op_sel:[0,0,1] op_sel_hi:[1,0,0]
	v_mov_b32_e32 v11, v5
	v_pk_mul_f32 v[4:5], v[6:7], v[2:3] op_sel:[0,1]
	s_delay_alu instid0(VALU_DEP_1) | instskip(SKIP_1) | instid1(VALU_DEP_1)
	v_pk_fma_f32 v[8:9], v[6:7], v[0:1], v[4:5] op_sel:[0,0,1] op_sel_hi:[1,1,0] neg_lo:[0,0,1] neg_hi:[0,0,1]
	v_pk_fma_f32 v[4:5], v[6:7], v[0:1], v[4:5] op_sel:[0,0,1] op_sel_hi:[1,0,0]
	v_mov_b32_e32 v9, v5
	ds_load_2addr_b64 v[4:7], v168 offset0:33 offset1:34
	v_pk_add_f32 v[124:125], v[124:125], v[10:11] neg_lo:[0,1] neg_hi:[0,1]
	v_pk_add_f32 v[146:147], v[146:147], v[8:9] neg_lo:[0,1] neg_hi:[0,1]
	s_wait_dscnt 0x0
	v_dual_mul_f32 v8, v5, v3 :: v_dual_mul_f32 v10, v5, v0
	s_delay_alu instid0(VALU_DEP_1) | instskip(NEXT) | instid1(VALU_DEP_2)
	v_pk_fma_f32 v[8:9], v[4:5], v[62:63], v[8:9] op_sel_hi:[1,1,0] neg_lo:[0,0,1] neg_hi:[0,0,1]
	v_pk_fma_f32 v[4:5], v[4:5], v[62:63], v[10:11] op_sel:[1,0,0] op_sel_hi:[0,1,0]
	s_delay_alu instid0(VALU_DEP_1) | instskip(SKIP_1) | instid1(VALU_DEP_2)
	v_mov_b32_e32 v9, v5
	v_pk_mul_f32 v[4:5], v[6:7], v[2:3] op_sel:[0,1]
	v_pk_add_f32 v[142:143], v[142:143], v[8:9] neg_lo:[0,1] neg_hi:[0,1]
	s_delay_alu instid0(VALU_DEP_2) | instskip(SKIP_1) | instid1(VALU_DEP_1)
	v_pk_fma_f32 v[8:9], v[6:7], v[0:1], v[4:5] op_sel:[0,0,1] op_sel_hi:[1,1,0] neg_lo:[0,0,1] neg_hi:[0,0,1]
	v_pk_fma_f32 v[4:5], v[6:7], v[0:1], v[4:5] op_sel:[0,0,1] op_sel_hi:[1,0,0]
	v_mov_b32_e32 v9, v5
	ds_load_2addr_b64 v[4:7], v168 offset0:35 offset1:36
	v_pk_add_f32 v[144:145], v[144:145], v[8:9] neg_lo:[0,1] neg_hi:[0,1]
	s_wait_dscnt 0x0
	v_pk_mul_f32 v[8:9], v[4:5], v[2:3] op_sel:[0,1]
	s_delay_alu instid0(VALU_DEP_1) | instskip(SKIP_1) | instid1(VALU_DEP_1)
	v_pk_fma_f32 v[10:11], v[4:5], v[0:1], v[8:9] op_sel:[0,0,1] op_sel_hi:[1,1,0] neg_lo:[0,0,1] neg_hi:[0,0,1]
	v_pk_fma_f32 v[4:5], v[4:5], v[0:1], v[8:9] op_sel:[0,0,1] op_sel_hi:[1,0,0]
	v_mov_b32_e32 v11, v5
	v_pk_mul_f32 v[4:5], v[6:7], v[2:3] op_sel:[0,1]
	s_delay_alu instid0(VALU_DEP_2) | instskip(NEXT) | instid1(VALU_DEP_2)
	v_pk_add_f32 v[140:141], v[140:141], v[10:11] neg_lo:[0,1] neg_hi:[0,1]
	v_pk_fma_f32 v[8:9], v[6:7], v[0:1], v[4:5] op_sel:[0,0,1] op_sel_hi:[1,1,0] neg_lo:[0,0,1] neg_hi:[0,0,1]
	v_pk_fma_f32 v[4:5], v[6:7], v[0:1], v[4:5] op_sel:[0,0,1] op_sel_hi:[1,0,0]
	s_delay_alu instid0(VALU_DEP_1) | instskip(SKIP_4) | instid1(VALU_DEP_1)
	v_mov_b32_e32 v9, v5
	ds_load_2addr_b64 v[4:7], v168 offset0:37 offset1:38
	v_pk_add_f32 v[162:163], v[162:163], v[8:9] neg_lo:[0,1] neg_hi:[0,1]
	s_wait_dscnt 0x0
	v_pk_mul_f32 v[8:9], v[4:5], v[2:3] op_sel:[0,1]
	v_pk_fma_f32 v[10:11], v[4:5], v[0:1], v[8:9] op_sel:[0,0,1] op_sel_hi:[1,1,0] neg_lo:[0,0,1] neg_hi:[0,0,1]
	v_pk_fma_f32 v[4:5], v[4:5], v[0:1], v[8:9] op_sel:[0,0,1] op_sel_hi:[1,0,0]
	v_dual_mul_f32 v8, v7, v3 :: v_dual_mov_b32 v4, v7
	s_delay_alu instid0(VALU_DEP_2) | instskip(NEXT) | instid1(VALU_DEP_2)
	v_dual_mov_b32 v11, v5 :: v_dual_mov_b32 v5, v6
	v_pk_fma_f32 v[8:9], v[6:7], v[62:63], v[8:9] op_sel_hi:[1,1,0] neg_lo:[0,0,1] neg_hi:[0,0,1]
	v_mul_f32_e32 v6, v7, v0
	s_delay_alu instid0(VALU_DEP_3) | instskip(NEXT) | instid1(VALU_DEP_2)
	v_pk_add_f32 v[158:159], v[158:159], v[10:11] neg_lo:[0,1] neg_hi:[0,1]
	v_pk_fma_f32 v[4:5], v[4:5], v[62:63], v[6:7] op_sel_hi:[1,1,0]
	s_delay_alu instid0(VALU_DEP_1) | instskip(SKIP_4) | instid1(VALU_DEP_1)
	v_mov_b32_e32 v9, v5
	ds_load_2addr_b64 v[4:7], v168 offset0:39 offset1:40
	v_pk_add_f32 v[160:161], v[160:161], v[8:9] neg_lo:[0,1] neg_hi:[0,1]
	s_wait_dscnt 0x0
	v_pk_mul_f32 v[8:9], v[4:5], v[2:3] op_sel:[0,1]
	v_pk_fma_f32 v[10:11], v[4:5], v[0:1], v[8:9] op_sel:[0,0,1] op_sel_hi:[1,1,0] neg_lo:[0,0,1] neg_hi:[0,0,1]
	v_pk_fma_f32 v[4:5], v[4:5], v[0:1], v[8:9] op_sel:[0,0,1] op_sel_hi:[1,0,0]
	s_delay_alu instid0(VALU_DEP_1) | instskip(SKIP_1) | instid1(VALU_DEP_1)
	v_mov_b32_e32 v11, v5
	v_pk_mul_f32 v[4:5], v[6:7], v[2:3] op_sel:[0,1]
	v_pk_fma_f32 v[8:9], v[6:7], v[0:1], v[4:5] op_sel:[0,0,1] op_sel_hi:[1,1,0] neg_lo:[0,0,1] neg_hi:[0,0,1]
	v_pk_fma_f32 v[4:5], v[6:7], v[0:1], v[4:5] op_sel:[0,0,1] op_sel_hi:[1,0,0]
	s_delay_alu instid0(VALU_DEP_1)
	v_mov_b32_e32 v9, v5
	ds_load_2addr_b64 v[4:7], v168 offset0:41 offset1:42
	v_pk_add_f32 v[156:157], v[156:157], v[10:11] neg_lo:[0,1] neg_hi:[0,1]
	v_pk_add_f32 v[178:179], v[178:179], v[8:9] neg_lo:[0,1] neg_hi:[0,1]
	s_wait_dscnt 0x0
	v_pk_mul_f32 v[8:9], v[4:5], v[2:3] op_sel:[0,1]
	s_delay_alu instid0(VALU_DEP_1) | instskip(SKIP_1) | instid1(VALU_DEP_1)
	v_pk_fma_f32 v[10:11], v[4:5], v[0:1], v[8:9] op_sel:[0,0,1] op_sel_hi:[1,1,0] neg_lo:[0,0,1] neg_hi:[0,0,1]
	v_pk_fma_f32 v[4:5], v[4:5], v[0:1], v[8:9] op_sel:[0,0,1] op_sel_hi:[1,0,0]
	v_mov_b32_e32 v11, v5
	v_pk_mul_f32 v[4:5], v[6:7], v[2:3] op_sel:[0,1]
	s_delay_alu instid0(VALU_DEP_1) | instskip(SKIP_1) | instid1(VALU_DEP_1)
	v_pk_fma_f32 v[8:9], v[6:7], v[0:1], v[4:5] op_sel:[0,0,1] op_sel_hi:[1,1,0] neg_lo:[0,0,1] neg_hi:[0,0,1]
	v_pk_fma_f32 v[4:5], v[6:7], v[0:1], v[4:5] op_sel:[0,0,1] op_sel_hi:[1,0,0]
	v_mov_b32_e32 v9, v5
	ds_load_2addr_b64 v[4:7], v168 offset0:43 offset1:44
	v_pk_add_f32 v[174:175], v[174:175], v[10:11] neg_lo:[0,1] neg_hi:[0,1]
	v_pk_add_f32 v[176:177], v[176:177], v[8:9] neg_lo:[0,1] neg_hi:[0,1]
	s_wait_dscnt 0x0
	v_dual_mul_f32 v8, v5, v3 :: v_dual_mul_f32 v10, v5, v0
	s_delay_alu instid0(VALU_DEP_1) | instskip(NEXT) | instid1(VALU_DEP_2)
	v_pk_fma_f32 v[8:9], v[4:5], v[62:63], v[8:9] op_sel_hi:[1,1,0] neg_lo:[0,0,1] neg_hi:[0,0,1]
	v_pk_fma_f32 v[4:5], v[4:5], v[62:63], v[10:11] op_sel:[1,0,0] op_sel_hi:[0,1,0]
	s_delay_alu instid0(VALU_DEP_1) | instskip(SKIP_1) | instid1(VALU_DEP_2)
	v_mov_b32_e32 v9, v5
	v_pk_mul_f32 v[4:5], v[6:7], v[2:3] op_sel:[0,1]
	v_pk_add_f32 v[172:173], v[172:173], v[8:9] neg_lo:[0,1] neg_hi:[0,1]
	s_delay_alu instid0(VALU_DEP_2) | instskip(SKIP_1) | instid1(VALU_DEP_1)
	v_pk_fma_f32 v[8:9], v[6:7], v[0:1], v[4:5] op_sel:[0,0,1] op_sel_hi:[1,1,0] neg_lo:[0,0,1] neg_hi:[0,0,1]
	v_pk_fma_f32 v[4:5], v[6:7], v[0:1], v[4:5] op_sel:[0,0,1] op_sel_hi:[1,0,0]
	v_mov_b32_e32 v9, v5
	ds_load_2addr_b64 v[4:7], v168 offset0:45 offset1:46
	v_pk_add_f32 v[198:199], v[198:199], v[8:9] neg_lo:[0,1] neg_hi:[0,1]
	s_wait_dscnt 0x0
	v_pk_mul_f32 v[8:9], v[4:5], v[2:3] op_sel:[0,1]
	s_delay_alu instid0(VALU_DEP_1) | instskip(SKIP_1) | instid1(VALU_DEP_1)
	v_pk_fma_f32 v[10:11], v[4:5], v[0:1], v[8:9] op_sel:[0,0,1] op_sel_hi:[1,1,0] neg_lo:[0,0,1] neg_hi:[0,0,1]
	v_pk_fma_f32 v[4:5], v[4:5], v[0:1], v[8:9] op_sel:[0,0,1] op_sel_hi:[1,0,0]
	v_mov_b32_e32 v11, v5
	v_pk_mul_f32 v[4:5], v[6:7], v[2:3] op_sel:[0,1]
	s_delay_alu instid0(VALU_DEP_2) | instskip(NEXT) | instid1(VALU_DEP_2)
	v_pk_add_f32 v[194:195], v[194:195], v[10:11] neg_lo:[0,1] neg_hi:[0,1]
	v_pk_fma_f32 v[8:9], v[6:7], v[0:1], v[4:5] op_sel:[0,0,1] op_sel_hi:[1,1,0] neg_lo:[0,0,1] neg_hi:[0,0,1]
	v_pk_fma_f32 v[4:5], v[6:7], v[0:1], v[4:5] op_sel:[0,0,1] op_sel_hi:[1,0,0]
	s_delay_alu instid0(VALU_DEP_1) | instskip(SKIP_4) | instid1(VALU_DEP_1)
	v_mov_b32_e32 v9, v5
	ds_load_2addr_b64 v[4:7], v168 offset0:47 offset1:48
	v_pk_add_f32 v[196:197], v[196:197], v[8:9] neg_lo:[0,1] neg_hi:[0,1]
	s_wait_dscnt 0x0
	v_pk_mul_f32 v[8:9], v[4:5], v[2:3] op_sel:[0,1]
	v_pk_fma_f32 v[10:11], v[4:5], v[0:1], v[8:9] op_sel:[0,0,1] op_sel_hi:[1,1,0] neg_lo:[0,0,1] neg_hi:[0,0,1]
	v_pk_fma_f32 v[4:5], v[4:5], v[0:1], v[8:9] op_sel:[0,0,1] op_sel_hi:[1,0,0]
	v_dual_mul_f32 v8, v7, v3 :: v_dual_mov_b32 v4, v7
	s_delay_alu instid0(VALU_DEP_2) | instskip(NEXT) | instid1(VALU_DEP_2)
	v_dual_mov_b32 v11, v5 :: v_dual_mov_b32 v5, v6
	v_pk_fma_f32 v[8:9], v[6:7], v[62:63], v[8:9] op_sel_hi:[1,1,0] neg_lo:[0,0,1] neg_hi:[0,0,1]
	v_mul_f32_e32 v6, v7, v0
	s_delay_alu instid0(VALU_DEP_3) | instskip(NEXT) | instid1(VALU_DEP_2)
	v_pk_add_f32 v[192:193], v[192:193], v[10:11] neg_lo:[0,1] neg_hi:[0,1]
	v_pk_fma_f32 v[4:5], v[4:5], v[62:63], v[6:7] op_sel_hi:[1,1,0]
	s_delay_alu instid0(VALU_DEP_1) | instskip(SKIP_4) | instid1(VALU_DEP_1)
	v_mov_b32_e32 v9, v5
	ds_load_2addr_b64 v[4:7], v168 offset0:49 offset1:50
	v_pk_add_f32 v[220:221], v[220:221], v[8:9] neg_lo:[0,1] neg_hi:[0,1]
	s_wait_dscnt 0x0
	v_pk_mul_f32 v[8:9], v[4:5], v[2:3] op_sel:[0,1]
	v_pk_fma_f32 v[10:11], v[4:5], v[0:1], v[8:9] op_sel:[0,0,1] op_sel_hi:[1,1,0] neg_lo:[0,0,1] neg_hi:[0,0,1]
	v_pk_fma_f32 v[4:5], v[4:5], v[0:1], v[8:9] op_sel:[0,0,1] op_sel_hi:[1,0,0]
	s_delay_alu instid0(VALU_DEP_1) | instskip(SKIP_1) | instid1(VALU_DEP_1)
	v_mov_b32_e32 v11, v5
	v_pk_mul_f32 v[4:5], v[6:7], v[2:3] op_sel:[0,1]
	v_pk_fma_f32 v[8:9], v[6:7], v[0:1], v[4:5] op_sel:[0,0,1] op_sel_hi:[1,1,0] neg_lo:[0,0,1] neg_hi:[0,0,1]
	v_pk_fma_f32 v[4:5], v[6:7], v[0:1], v[4:5] op_sel:[0,0,1] op_sel_hi:[1,0,0]
	s_delay_alu instid0(VALU_DEP_1)
	v_mov_b32_e32 v9, v5
	ds_load_2addr_b64 v[4:7], v168 offset0:51 offset1:52
	v_pk_add_f32 v[214:215], v[214:215], v[10:11] neg_lo:[0,1] neg_hi:[0,1]
	v_pk_add_f32 v[218:219], v[218:219], v[8:9] neg_lo:[0,1] neg_hi:[0,1]
	s_wait_dscnt 0x0
	v_pk_mul_f32 v[8:9], v[4:5], v[2:3] op_sel:[0,1]
	s_delay_alu instid0(VALU_DEP_1) | instskip(SKIP_1) | instid1(VALU_DEP_1)
	v_pk_fma_f32 v[10:11], v[4:5], v[0:1], v[8:9] op_sel:[0,0,1] op_sel_hi:[1,1,0] neg_lo:[0,0,1] neg_hi:[0,0,1]
	v_pk_fma_f32 v[4:5], v[4:5], v[0:1], v[8:9] op_sel:[0,0,1] op_sel_hi:[1,0,0]
	v_mov_b32_e32 v11, v5
	v_pk_mul_f32 v[4:5], v[6:7], v[2:3] op_sel:[0,1]
	s_delay_alu instid0(VALU_DEP_1) | instskip(SKIP_1) | instid1(VALU_DEP_1)
	v_pk_fma_f32 v[8:9], v[6:7], v[0:1], v[4:5] op_sel:[0,0,1] op_sel_hi:[1,1,0] neg_lo:[0,0,1] neg_hi:[0,0,1]
	v_pk_fma_f32 v[4:5], v[6:7], v[0:1], v[4:5] op_sel:[0,0,1] op_sel_hi:[1,0,0]
	v_mov_b32_e32 v9, v5
	ds_load_2addr_b64 v[4:7], v168 offset0:53 offset1:54
	v_pk_add_f32 v[212:213], v[212:213], v[10:11] neg_lo:[0,1] neg_hi:[0,1]
	v_pk_add_f32 v[216:217], v[216:217], v[8:9] neg_lo:[0,1] neg_hi:[0,1]
	s_wait_dscnt 0x0
	v_dual_mul_f32 v8, v5, v3 :: v_dual_mul_f32 v10, v5, v0
	s_delay_alu instid0(VALU_DEP_1) | instskip(NEXT) | instid1(VALU_DEP_2)
	v_pk_fma_f32 v[8:9], v[4:5], v[62:63], v[8:9] op_sel_hi:[1,1,0] neg_lo:[0,0,1] neg_hi:[0,0,1]
	v_pk_fma_f32 v[4:5], v[4:5], v[62:63], v[10:11] op_sel:[1,0,0] op_sel_hi:[0,1,0]
	s_delay_alu instid0(VALU_DEP_1) | instskip(SKIP_1) | instid1(VALU_DEP_2)
	v_mov_b32_e32 v9, v5
	v_pk_mul_f32 v[4:5], v[6:7], v[2:3] op_sel:[0,1]
	v_pk_add_f32 v[210:211], v[210:211], v[8:9] neg_lo:[0,1] neg_hi:[0,1]
	s_delay_alu instid0(VALU_DEP_2) | instskip(SKIP_1) | instid1(VALU_DEP_1)
	v_pk_fma_f32 v[8:9], v[6:7], v[0:1], v[4:5] op_sel:[0,0,1] op_sel_hi:[1,1,0] neg_lo:[0,0,1] neg_hi:[0,0,1]
	v_pk_fma_f32 v[4:5], v[6:7], v[0:1], v[4:5] op_sel:[0,0,1] op_sel_hi:[1,0,0]
	v_mov_b32_e32 v9, v5
	ds_load_b64 v[4:5], v168 offset:440
	v_pk_add_f32 v[222:223], v[222:223], v[8:9] neg_lo:[0,1] neg_hi:[0,1]
	s_wait_dscnt 0x0
	v_pk_mul_f32 v[2:3], v[4:5], v[2:3] op_sel:[0,1]
	s_delay_alu instid0(VALU_DEP_1) | instskip(SKIP_1) | instid1(VALU_DEP_1)
	v_pk_fma_f32 v[6:7], v[4:5], v[0:1], v[2:3] op_sel:[0,0,1] op_sel_hi:[1,1,0] neg_lo:[0,0,1] neg_hi:[0,0,1]
	v_pk_fma_f32 v[0:1], v[4:5], v[0:1], v[2:3] op_sel:[0,0,1] op_sel_hi:[1,0,0]
	v_mov_b32_e32 v7, v1
	s_delay_alu instid0(VALU_DEP_1)
	v_pk_add_f32 v[224:225], v[224:225], v[6:7] neg_lo:[0,1] neg_hi:[0,1]
.LBB111_136:
	s_wait_xcnt 0x0
	s_or_b32 exec_lo, exec_lo, s1
	s_delay_alu instid0(SALU_CYCLE_1)
	s_mov_b32 s2, exec_lo
	s_wait_storecnt 0x0
	s_barrier_signal -1
	s_barrier_wait -1
	v_cmpx_eq_u32_e32 15, v166
	s_cbranch_execz .LBB111_143
; %bb.137:
	v_dual_mov_b32 v0, v80 :: v_dual_mov_b32 v1, v81
	v_dual_mov_b32 v2, v76 :: v_dual_mov_b32 v3, v77
	ds_store_b64 v167, v[58:59]
	ds_store_2addr_b64 v168, v[0:1], v[2:3] offset0:16 offset1:17
	v_dual_mov_b32 v0, v78 :: v_dual_mov_b32 v1, v79
	v_dual_mov_b32 v2, v74 :: v_dual_mov_b32 v3, v75
	ds_store_2addr_b64 v168, v[0:1], v[2:3] offset0:18 offset1:19
	v_dual_mov_b32 v0, v98 :: v_dual_mov_b32 v1, v99
	v_dual_mov_b32 v2, v94 :: v_dual_mov_b32 v3, v95
	;; [unrolled: 3-line block ×18, first 2 shown]
	ds_store_2addr_b64 v168, v[0:1], v[2:3] offset0:52 offset1:53
	v_dual_mov_b32 v0, v222 :: v_dual_mov_b32 v1, v223
	ds_store_2addr_b64 v168, v[0:1], v[224:225] offset0:54 offset1:55
	ds_load_b64 v[0:1], v167
	s_wait_dscnt 0x0
	v_cmp_neq_f32_e32 vcc_lo, 0, v0
	v_cmp_neq_f32_e64 s1, 0, v1
	s_or_b32 s1, vcc_lo, s1
	s_delay_alu instid0(SALU_CYCLE_1)
	s_and_b32 exec_lo, exec_lo, s1
	s_cbranch_execz .LBB111_143
; %bb.138:
	v_cmp_ngt_f32_e64 s1, |v0|, |v1|
                                        ; implicit-def: $vgpr2_vgpr3
	s_and_saveexec_b32 s4, s1
	s_delay_alu instid0(SALU_CYCLE_1)
	s_xor_b32 s1, exec_lo, s4
	s_cbranch_execz .LBB111_140
; %bb.139:
	v_div_scale_f32 v2, null, v1, v1, v0
	v_div_scale_f32 v5, vcc_lo, v0, v1, v0
	s_delay_alu instid0(VALU_DEP_2) | instskip(SKIP_1) | instid1(TRANS32_DEP_1)
	v_rcp_f32_e32 v3, v2
	v_nop
	v_fma_f32 v4, -v2, v3, 1.0
	s_delay_alu instid0(VALU_DEP_1) | instskip(NEXT) | instid1(VALU_DEP_1)
	v_fmac_f32_e32 v3, v4, v3
	v_mul_f32_e32 v4, v5, v3
	s_delay_alu instid0(VALU_DEP_1) | instskip(NEXT) | instid1(VALU_DEP_1)
	v_fma_f32 v6, -v2, v4, v5
	v_fmac_f32_e32 v4, v6, v3
	s_delay_alu instid0(VALU_DEP_1) | instskip(NEXT) | instid1(VALU_DEP_1)
	v_fma_f32 v2, -v2, v4, v5
	v_div_fmas_f32 v2, v2, v3, v4
	s_delay_alu instid0(VALU_DEP_1) | instskip(NEXT) | instid1(VALU_DEP_1)
	v_div_fixup_f32 v2, v2, v1, v0
	v_fmac_f32_e32 v1, v0, v2
	s_delay_alu instid0(VALU_DEP_1) | instskip(SKIP_1) | instid1(VALU_DEP_2)
	v_div_scale_f32 v0, null, v1, v1, 1.0
	v_div_scale_f32 v5, vcc_lo, 1.0, v1, 1.0
	v_rcp_f32_e32 v3, v0
	v_nop
	s_delay_alu instid0(TRANS32_DEP_1) | instskip(NEXT) | instid1(VALU_DEP_1)
	v_fma_f32 v4, -v0, v3, 1.0
	v_fmac_f32_e32 v3, v4, v3
	s_delay_alu instid0(VALU_DEP_1) | instskip(NEXT) | instid1(VALU_DEP_1)
	v_mul_f32_e32 v4, v5, v3
	v_fma_f32 v6, -v0, v4, v5
	s_delay_alu instid0(VALU_DEP_1) | instskip(NEXT) | instid1(VALU_DEP_1)
	v_fmac_f32_e32 v4, v6, v3
	v_fma_f32 v0, -v0, v4, v5
	s_delay_alu instid0(VALU_DEP_1) | instskip(NEXT) | instid1(VALU_DEP_1)
	v_div_fmas_f32 v0, v0, v3, v4
	v_div_fixup_f32 v0, v0, v1, 1.0
	s_delay_alu instid0(VALU_DEP_1)
	v_mul_f32_e32 v2, v2, v0
	v_xor_b32_e32 v3, 0x80000000, v0
                                        ; implicit-def: $vgpr0_vgpr1
.LBB111_140:
	s_and_not1_saveexec_b32 s1, s1
	s_cbranch_execz .LBB111_142
; %bb.141:
	v_div_scale_f32 v2, null, v0, v0, v1
	v_div_scale_f32 v5, vcc_lo, v1, v0, v1
	s_delay_alu instid0(VALU_DEP_2) | instskip(SKIP_1) | instid1(TRANS32_DEP_1)
	v_rcp_f32_e32 v3, v2
	v_nop
	v_fma_f32 v4, -v2, v3, 1.0
	s_delay_alu instid0(VALU_DEP_1) | instskip(NEXT) | instid1(VALU_DEP_1)
	v_fmac_f32_e32 v3, v4, v3
	v_mul_f32_e32 v4, v5, v3
	s_delay_alu instid0(VALU_DEP_1) | instskip(NEXT) | instid1(VALU_DEP_1)
	v_fma_f32 v6, -v2, v4, v5
	v_fmac_f32_e32 v4, v6, v3
	s_delay_alu instid0(VALU_DEP_1) | instskip(NEXT) | instid1(VALU_DEP_1)
	v_fma_f32 v2, -v2, v4, v5
	v_div_fmas_f32 v2, v2, v3, v4
	s_delay_alu instid0(VALU_DEP_1) | instskip(NEXT) | instid1(VALU_DEP_1)
	v_div_fixup_f32 v3, v2, v0, v1
	v_fmac_f32_e32 v0, v1, v3
	s_delay_alu instid0(VALU_DEP_1) | instskip(NEXT) | instid1(VALU_DEP_1)
	v_div_scale_f32 v1, null, v0, v0, 1.0
	v_rcp_f32_e32 v2, v1
	v_nop
	s_delay_alu instid0(TRANS32_DEP_1) | instskip(NEXT) | instid1(VALU_DEP_1)
	v_fma_f32 v4, -v1, v2, 1.0
	v_fmac_f32_e32 v2, v4, v2
	v_div_scale_f32 v4, vcc_lo, 1.0, v0, 1.0
	s_delay_alu instid0(VALU_DEP_1) | instskip(NEXT) | instid1(VALU_DEP_1)
	v_mul_f32_e32 v5, v4, v2
	v_fma_f32 v6, -v1, v5, v4
	s_delay_alu instid0(VALU_DEP_1) | instskip(NEXT) | instid1(VALU_DEP_1)
	v_fmac_f32_e32 v5, v6, v2
	v_fma_f32 v1, -v1, v5, v4
	s_delay_alu instid0(VALU_DEP_1) | instskip(NEXT) | instid1(VALU_DEP_1)
	v_div_fmas_f32 v1, v1, v2, v5
	v_div_fixup_f32 v2, v1, v0, 1.0
	s_delay_alu instid0(VALU_DEP_1)
	v_mul_f32_e64 v3, v3, -v2
.LBB111_142:
	s_or_b32 exec_lo, exec_lo, s1
	ds_store_b64 v167, v[2:3]
.LBB111_143:
	s_or_b32 exec_lo, exec_lo, s2
	s_wait_dscnt 0x0
	s_barrier_signal -1
	s_barrier_wait -1
	ds_load_b64 v[0:1], v167
	s_mov_b32 s1, exec_lo
	s_wait_dscnt 0x0
	scratch_store_b64 off, v[0:1], off offset:368 ; 8-byte Folded Spill
	s_wait_xcnt 0x0
	v_cmpx_lt_u32_e32 15, v166
	s_cbranch_execz .LBB111_145
; %bb.144:
	scratch_load_b64 v[0:1], off, off offset:368 ; 8-byte Folded Reload
	ds_load_2addr_b64 v[6:9], v168 offset0:16 offset1:17
	s_wait_loadcnt 0x0
	v_pk_mul_f32 v[4:5], v[0:1], v[58:59] op_sel:[1,1] op_sel_hi:[0,1]
	s_delay_alu instid0(VALU_DEP_1) | instskip(SKIP_1) | instid1(VALU_DEP_1)
	v_pk_fma_f32 v[2:3], v[0:1], v[58:59], v[4:5] op_sel_hi:[1,0,1] neg_lo:[0,0,1] neg_hi:[0,0,1]
	v_pk_fma_f32 v[4:5], v[0:1], v[58:59], v[4:5] op_sel_hi:[1,0,1]
	v_dual_mov_b32 v58, v2 :: v_dual_mov_b32 v59, v5
	s_wait_dscnt 0x0
	s_delay_alu instid0(VALU_DEP_2) | instskip(NEXT) | instid1(VALU_DEP_1)
	v_pk_mul_f32 v[10:11], v[6:7], v[4:5] op_sel:[0,1]
	v_pk_fma_f32 v[12:13], v[6:7], v[2:3], v[10:11] op_sel:[0,0,1] op_sel_hi:[1,1,0] neg_lo:[0,0,1] neg_hi:[0,0,1]
	v_pk_fma_f32 v[6:7], v[6:7], v[2:3], v[10:11] op_sel:[0,0,1] op_sel_hi:[1,0,0]
	s_delay_alu instid0(VALU_DEP_1) | instskip(SKIP_1) | instid1(VALU_DEP_1)
	v_mov_b32_e32 v13, v7
	v_pk_mul_f32 v[6:7], v[8:9], v[4:5] op_sel:[0,1]
	v_pk_fma_f32 v[10:11], v[8:9], v[2:3], v[6:7] op_sel:[0,0,1] op_sel_hi:[1,1,0] neg_lo:[0,0,1] neg_hi:[0,0,1]
	v_pk_fma_f32 v[6:7], v[8:9], v[2:3], v[6:7] op_sel:[0,0,1] op_sel_hi:[1,0,0]
	s_delay_alu instid0(VALU_DEP_1)
	v_mov_b32_e32 v11, v7
	ds_load_2addr_b64 v[6:9], v168 offset0:18 offset1:19
	v_pk_add_f32 v[80:81], v[80:81], v[12:13] neg_lo:[0,1] neg_hi:[0,1]
	v_pk_add_f32 v[76:77], v[76:77], v[10:11] neg_lo:[0,1] neg_hi:[0,1]
	s_wait_dscnt 0x0
	v_pk_mul_f32 v[10:11], v[6:7], v[4:5] op_sel:[0,1]
	s_delay_alu instid0(VALU_DEP_1) | instskip(SKIP_2) | instid1(VALU_DEP_2)
	v_pk_fma_f32 v[12:13], v[6:7], v[2:3], v[10:11] op_sel:[0,0,1] op_sel_hi:[1,1,0] neg_lo:[0,0,1] neg_hi:[0,0,1]
	v_pk_fma_f32 v[6:7], v[6:7], v[2:3], v[10:11] op_sel:[0,0,1] op_sel_hi:[1,0,0]
	v_dual_mul_f32 v10, v9, v5 :: v_dual_mov_b32 v6, v9
	v_dual_mov_b32 v13, v7 :: v_dual_mov_b32 v7, v8
	s_delay_alu instid0(VALU_DEP_2) | instskip(SKIP_1) | instid1(VALU_DEP_3)
	v_pk_fma_f32 v[10:11], v[8:9], v[58:59], v[10:11] op_sel_hi:[1,1,0] neg_lo:[0,0,1] neg_hi:[0,0,1]
	v_mul_f32_e32 v8, v9, v2
	v_pk_add_f32 v[78:79], v[78:79], v[12:13] neg_lo:[0,1] neg_hi:[0,1]
	s_delay_alu instid0(VALU_DEP_2) | instskip(NEXT) | instid1(VALU_DEP_1)
	v_pk_fma_f32 v[6:7], v[6:7], v[58:59], v[8:9] op_sel_hi:[1,1,0]
	v_mov_b32_e32 v11, v7
	ds_load_2addr_b64 v[6:9], v168 offset0:20 offset1:21
	v_pk_add_f32 v[74:75], v[74:75], v[10:11] neg_lo:[0,1] neg_hi:[0,1]
	s_wait_dscnt 0x0
	v_pk_mul_f32 v[10:11], v[6:7], v[4:5] op_sel:[0,1]
	s_delay_alu instid0(VALU_DEP_1) | instskip(SKIP_1) | instid1(VALU_DEP_1)
	v_pk_fma_f32 v[12:13], v[6:7], v[2:3], v[10:11] op_sel:[0,0,1] op_sel_hi:[1,1,0] neg_lo:[0,0,1] neg_hi:[0,0,1]
	v_pk_fma_f32 v[6:7], v[6:7], v[2:3], v[10:11] op_sel:[0,0,1] op_sel_hi:[1,0,0]
	v_mov_b32_e32 v13, v7
	v_pk_mul_f32 v[6:7], v[8:9], v[4:5] op_sel:[0,1]
	s_delay_alu instid0(VALU_DEP_1) | instskip(SKIP_1) | instid1(VALU_DEP_1)
	v_pk_fma_f32 v[10:11], v[8:9], v[2:3], v[6:7] op_sel:[0,0,1] op_sel_hi:[1,1,0] neg_lo:[0,0,1] neg_hi:[0,0,1]
	v_pk_fma_f32 v[6:7], v[8:9], v[2:3], v[6:7] op_sel:[0,0,1] op_sel_hi:[1,0,0]
	v_mov_b32_e32 v11, v7
	ds_load_2addr_b64 v[6:9], v168 offset0:22 offset1:23
	v_pk_add_f32 v[98:99], v[98:99], v[12:13] neg_lo:[0,1] neg_hi:[0,1]
	v_pk_add_f32 v[94:95], v[94:95], v[10:11] neg_lo:[0,1] neg_hi:[0,1]
	s_wait_dscnt 0x0
	v_pk_mul_f32 v[10:11], v[6:7], v[4:5] op_sel:[0,1]
	s_delay_alu instid0(VALU_DEP_1) | instskip(SKIP_1) | instid1(VALU_DEP_1)
	v_pk_fma_f32 v[12:13], v[6:7], v[2:3], v[10:11] op_sel:[0,0,1] op_sel_hi:[1,1,0] neg_lo:[0,0,1] neg_hi:[0,0,1]
	v_pk_fma_f32 v[6:7], v[6:7], v[2:3], v[10:11] op_sel:[0,0,1] op_sel_hi:[1,0,0]
	v_mov_b32_e32 v13, v7
	v_pk_mul_f32 v[6:7], v[8:9], v[4:5] op_sel:[0,1]
	s_delay_alu instid0(VALU_DEP_1) | instskip(SKIP_1) | instid1(VALU_DEP_1)
	v_pk_fma_f32 v[10:11], v[8:9], v[2:3], v[6:7] op_sel:[0,0,1] op_sel_hi:[1,1,0] neg_lo:[0,0,1] neg_hi:[0,0,1]
	v_pk_fma_f32 v[6:7], v[8:9], v[2:3], v[6:7] op_sel:[0,0,1] op_sel_hi:[1,0,0]
	v_mov_b32_e32 v11, v7
	ds_load_2addr_b64 v[6:9], v168 offset0:24 offset1:25
	v_pk_add_f32 v[96:97], v[96:97], v[12:13] neg_lo:[0,1] neg_hi:[0,1]
	v_pk_add_f32 v[92:93], v[92:93], v[10:11] neg_lo:[0,1] neg_hi:[0,1]
	s_wait_dscnt 0x0
	v_dual_mul_f32 v10, v7, v5 :: v_dual_mul_f32 v12, v7, v2
	s_delay_alu instid0(VALU_DEP_1) | instskip(NEXT) | instid1(VALU_DEP_2)
	v_pk_fma_f32 v[10:11], v[6:7], v[58:59], v[10:11] op_sel_hi:[1,1,0] neg_lo:[0,0,1] neg_hi:[0,0,1]
	v_pk_fma_f32 v[6:7], v[6:7], v[58:59], v[12:13] op_sel:[1,0,0] op_sel_hi:[0,1,0]
	s_delay_alu instid0(VALU_DEP_1) | instskip(SKIP_1) | instid1(VALU_DEP_2)
	v_mov_b32_e32 v11, v7
	v_pk_mul_f32 v[6:7], v[8:9], v[4:5] op_sel:[0,1]
	v_pk_add_f32 v[114:115], v[114:115], v[10:11] neg_lo:[0,1] neg_hi:[0,1]
	s_delay_alu instid0(VALU_DEP_2) | instskip(SKIP_1) | instid1(VALU_DEP_1)
	v_pk_fma_f32 v[10:11], v[8:9], v[2:3], v[6:7] op_sel:[0,0,1] op_sel_hi:[1,1,0] neg_lo:[0,0,1] neg_hi:[0,0,1]
	v_pk_fma_f32 v[6:7], v[8:9], v[2:3], v[6:7] op_sel:[0,0,1] op_sel_hi:[1,0,0]
	v_mov_b32_e32 v11, v7
	ds_load_2addr_b64 v[6:9], v168 offset0:26 offset1:27
	v_pk_add_f32 v[110:111], v[110:111], v[10:11] neg_lo:[0,1] neg_hi:[0,1]
	s_wait_dscnt 0x0
	v_pk_mul_f32 v[10:11], v[6:7], v[4:5] op_sel:[0,1]
	s_delay_alu instid0(VALU_DEP_1) | instskip(SKIP_1) | instid1(VALU_DEP_1)
	v_pk_fma_f32 v[12:13], v[6:7], v[2:3], v[10:11] op_sel:[0,0,1] op_sel_hi:[1,1,0] neg_lo:[0,0,1] neg_hi:[0,0,1]
	v_pk_fma_f32 v[6:7], v[6:7], v[2:3], v[10:11] op_sel:[0,0,1] op_sel_hi:[1,0,0]
	v_mov_b32_e32 v13, v7
	v_pk_mul_f32 v[6:7], v[8:9], v[4:5] op_sel:[0,1]
	s_delay_alu instid0(VALU_DEP_2) | instskip(NEXT) | instid1(VALU_DEP_2)
	v_pk_add_f32 v[112:113], v[112:113], v[12:13] neg_lo:[0,1] neg_hi:[0,1]
	v_pk_fma_f32 v[10:11], v[8:9], v[2:3], v[6:7] op_sel:[0,0,1] op_sel_hi:[1,1,0] neg_lo:[0,0,1] neg_hi:[0,0,1]
	v_pk_fma_f32 v[6:7], v[8:9], v[2:3], v[6:7] op_sel:[0,0,1] op_sel_hi:[1,0,0]
	s_delay_alu instid0(VALU_DEP_1) | instskip(SKIP_4) | instid1(VALU_DEP_1)
	v_mov_b32_e32 v11, v7
	ds_load_2addr_b64 v[6:9], v168 offset0:28 offset1:29
	v_pk_add_f32 v[108:109], v[108:109], v[10:11] neg_lo:[0,1] neg_hi:[0,1]
	s_wait_dscnt 0x0
	v_pk_mul_f32 v[10:11], v[6:7], v[4:5] op_sel:[0,1]
	v_pk_fma_f32 v[12:13], v[6:7], v[2:3], v[10:11] op_sel:[0,0,1] op_sel_hi:[1,1,0] neg_lo:[0,0,1] neg_hi:[0,0,1]
	v_pk_fma_f32 v[6:7], v[6:7], v[2:3], v[10:11] op_sel:[0,0,1] op_sel_hi:[1,0,0]
	v_dual_mul_f32 v10, v9, v5 :: v_dual_mov_b32 v6, v9
	s_delay_alu instid0(VALU_DEP_2) | instskip(NEXT) | instid1(VALU_DEP_2)
	v_dual_mov_b32 v13, v7 :: v_dual_mov_b32 v7, v8
	v_pk_fma_f32 v[10:11], v[8:9], v[58:59], v[10:11] op_sel_hi:[1,1,0] neg_lo:[0,0,1] neg_hi:[0,0,1]
	v_mul_f32_e32 v8, v9, v2
	s_delay_alu instid0(VALU_DEP_3) | instskip(NEXT) | instid1(VALU_DEP_2)
	v_pk_add_f32 v[130:131], v[130:131], v[12:13] neg_lo:[0,1] neg_hi:[0,1]
	v_pk_fma_f32 v[6:7], v[6:7], v[58:59], v[8:9] op_sel_hi:[1,1,0]
	s_delay_alu instid0(VALU_DEP_1) | instskip(SKIP_4) | instid1(VALU_DEP_1)
	v_mov_b32_e32 v11, v7
	ds_load_2addr_b64 v[6:9], v168 offset0:30 offset1:31
	v_pk_add_f32 v[126:127], v[126:127], v[10:11] neg_lo:[0,1] neg_hi:[0,1]
	s_wait_dscnt 0x0
	v_pk_mul_f32 v[10:11], v[6:7], v[4:5] op_sel:[0,1]
	v_pk_fma_f32 v[12:13], v[6:7], v[2:3], v[10:11] op_sel:[0,0,1] op_sel_hi:[1,1,0] neg_lo:[0,0,1] neg_hi:[0,0,1]
	v_pk_fma_f32 v[6:7], v[6:7], v[2:3], v[10:11] op_sel:[0,0,1] op_sel_hi:[1,0,0]
	s_delay_alu instid0(VALU_DEP_1) | instskip(SKIP_1) | instid1(VALU_DEP_1)
	v_mov_b32_e32 v13, v7
	v_pk_mul_f32 v[6:7], v[8:9], v[4:5] op_sel:[0,1]
	v_pk_fma_f32 v[10:11], v[8:9], v[2:3], v[6:7] op_sel:[0,0,1] op_sel_hi:[1,1,0] neg_lo:[0,0,1] neg_hi:[0,0,1]
	v_pk_fma_f32 v[6:7], v[8:9], v[2:3], v[6:7] op_sel:[0,0,1] op_sel_hi:[1,0,0]
	s_delay_alu instid0(VALU_DEP_1)
	v_mov_b32_e32 v11, v7
	ds_load_2addr_b64 v[6:9], v168 offset0:32 offset1:33
	v_pk_add_f32 v[128:129], v[128:129], v[12:13] neg_lo:[0,1] neg_hi:[0,1]
	v_pk_add_f32 v[124:125], v[124:125], v[10:11] neg_lo:[0,1] neg_hi:[0,1]
	s_wait_dscnt 0x0
	v_pk_mul_f32 v[10:11], v[6:7], v[4:5] op_sel:[0,1]
	s_delay_alu instid0(VALU_DEP_1) | instskip(SKIP_1) | instid1(VALU_DEP_1)
	v_pk_fma_f32 v[12:13], v[6:7], v[2:3], v[10:11] op_sel:[0,0,1] op_sel_hi:[1,1,0] neg_lo:[0,0,1] neg_hi:[0,0,1]
	v_pk_fma_f32 v[6:7], v[6:7], v[2:3], v[10:11] op_sel:[0,0,1] op_sel_hi:[1,0,0]
	v_mov_b32_e32 v13, v7
	v_pk_mul_f32 v[6:7], v[8:9], v[4:5] op_sel:[0,1]
	s_delay_alu instid0(VALU_DEP_1) | instskip(SKIP_1) | instid1(VALU_DEP_1)
	v_pk_fma_f32 v[10:11], v[8:9], v[2:3], v[6:7] op_sel:[0,0,1] op_sel_hi:[1,1,0] neg_lo:[0,0,1] neg_hi:[0,0,1]
	v_pk_fma_f32 v[6:7], v[8:9], v[2:3], v[6:7] op_sel:[0,0,1] op_sel_hi:[1,0,0]
	v_mov_b32_e32 v11, v7
	ds_load_2addr_b64 v[6:9], v168 offset0:34 offset1:35
	v_pk_add_f32 v[146:147], v[146:147], v[12:13] neg_lo:[0,1] neg_hi:[0,1]
	v_pk_add_f32 v[142:143], v[142:143], v[10:11] neg_lo:[0,1] neg_hi:[0,1]
	s_wait_dscnt 0x0
	v_dual_mul_f32 v10, v7, v5 :: v_dual_mul_f32 v12, v7, v2
	s_delay_alu instid0(VALU_DEP_1) | instskip(NEXT) | instid1(VALU_DEP_2)
	v_pk_fma_f32 v[10:11], v[6:7], v[58:59], v[10:11] op_sel_hi:[1,1,0] neg_lo:[0,0,1] neg_hi:[0,0,1]
	v_pk_fma_f32 v[6:7], v[6:7], v[58:59], v[12:13] op_sel:[1,0,0] op_sel_hi:[0,1,0]
	s_delay_alu instid0(VALU_DEP_1) | instskip(SKIP_1) | instid1(VALU_DEP_2)
	v_mov_b32_e32 v11, v7
	v_pk_mul_f32 v[6:7], v[8:9], v[4:5] op_sel:[0,1]
	v_pk_add_f32 v[144:145], v[144:145], v[10:11] neg_lo:[0,1] neg_hi:[0,1]
	s_delay_alu instid0(VALU_DEP_2) | instskip(SKIP_1) | instid1(VALU_DEP_1)
	v_pk_fma_f32 v[10:11], v[8:9], v[2:3], v[6:7] op_sel:[0,0,1] op_sel_hi:[1,1,0] neg_lo:[0,0,1] neg_hi:[0,0,1]
	v_pk_fma_f32 v[6:7], v[8:9], v[2:3], v[6:7] op_sel:[0,0,1] op_sel_hi:[1,0,0]
	v_mov_b32_e32 v11, v7
	ds_load_2addr_b64 v[6:9], v168 offset0:36 offset1:37
	v_pk_add_f32 v[140:141], v[140:141], v[10:11] neg_lo:[0,1] neg_hi:[0,1]
	s_wait_dscnt 0x0
	v_pk_mul_f32 v[10:11], v[6:7], v[4:5] op_sel:[0,1]
	s_delay_alu instid0(VALU_DEP_1) | instskip(SKIP_1) | instid1(VALU_DEP_1)
	v_pk_fma_f32 v[12:13], v[6:7], v[2:3], v[10:11] op_sel:[0,0,1] op_sel_hi:[1,1,0] neg_lo:[0,0,1] neg_hi:[0,0,1]
	v_pk_fma_f32 v[6:7], v[6:7], v[2:3], v[10:11] op_sel:[0,0,1] op_sel_hi:[1,0,0]
	v_mov_b32_e32 v13, v7
	v_pk_mul_f32 v[6:7], v[8:9], v[4:5] op_sel:[0,1]
	s_delay_alu instid0(VALU_DEP_2) | instskip(NEXT) | instid1(VALU_DEP_2)
	v_pk_add_f32 v[162:163], v[162:163], v[12:13] neg_lo:[0,1] neg_hi:[0,1]
	v_pk_fma_f32 v[10:11], v[8:9], v[2:3], v[6:7] op_sel:[0,0,1] op_sel_hi:[1,1,0] neg_lo:[0,0,1] neg_hi:[0,0,1]
	v_pk_fma_f32 v[6:7], v[8:9], v[2:3], v[6:7] op_sel:[0,0,1] op_sel_hi:[1,0,0]
	s_delay_alu instid0(VALU_DEP_1) | instskip(SKIP_4) | instid1(VALU_DEP_1)
	v_mov_b32_e32 v11, v7
	ds_load_2addr_b64 v[6:9], v168 offset0:38 offset1:39
	v_pk_add_f32 v[158:159], v[158:159], v[10:11] neg_lo:[0,1] neg_hi:[0,1]
	s_wait_dscnt 0x0
	v_pk_mul_f32 v[10:11], v[6:7], v[4:5] op_sel:[0,1]
	v_pk_fma_f32 v[12:13], v[6:7], v[2:3], v[10:11] op_sel:[0,0,1] op_sel_hi:[1,1,0] neg_lo:[0,0,1] neg_hi:[0,0,1]
	v_pk_fma_f32 v[6:7], v[6:7], v[2:3], v[10:11] op_sel:[0,0,1] op_sel_hi:[1,0,0]
	v_dual_mul_f32 v10, v9, v5 :: v_dual_mov_b32 v6, v9
	s_delay_alu instid0(VALU_DEP_2) | instskip(NEXT) | instid1(VALU_DEP_2)
	v_dual_mov_b32 v13, v7 :: v_dual_mov_b32 v7, v8
	v_pk_fma_f32 v[10:11], v[8:9], v[58:59], v[10:11] op_sel_hi:[1,1,0] neg_lo:[0,0,1] neg_hi:[0,0,1]
	v_mul_f32_e32 v8, v9, v2
	s_delay_alu instid0(VALU_DEP_3) | instskip(NEXT) | instid1(VALU_DEP_2)
	v_pk_add_f32 v[160:161], v[160:161], v[12:13] neg_lo:[0,1] neg_hi:[0,1]
	v_pk_fma_f32 v[6:7], v[6:7], v[58:59], v[8:9] op_sel_hi:[1,1,0]
	s_delay_alu instid0(VALU_DEP_1) | instskip(SKIP_4) | instid1(VALU_DEP_1)
	v_mov_b32_e32 v11, v7
	ds_load_2addr_b64 v[6:9], v168 offset0:40 offset1:41
	v_pk_add_f32 v[156:157], v[156:157], v[10:11] neg_lo:[0,1] neg_hi:[0,1]
	s_wait_dscnt 0x0
	v_pk_mul_f32 v[10:11], v[6:7], v[4:5] op_sel:[0,1]
	v_pk_fma_f32 v[12:13], v[6:7], v[2:3], v[10:11] op_sel:[0,0,1] op_sel_hi:[1,1,0] neg_lo:[0,0,1] neg_hi:[0,0,1]
	v_pk_fma_f32 v[6:7], v[6:7], v[2:3], v[10:11] op_sel:[0,0,1] op_sel_hi:[1,0,0]
	s_delay_alu instid0(VALU_DEP_1) | instskip(SKIP_1) | instid1(VALU_DEP_1)
	v_mov_b32_e32 v13, v7
	v_pk_mul_f32 v[6:7], v[8:9], v[4:5] op_sel:[0,1]
	v_pk_fma_f32 v[10:11], v[8:9], v[2:3], v[6:7] op_sel:[0,0,1] op_sel_hi:[1,1,0] neg_lo:[0,0,1] neg_hi:[0,0,1]
	v_pk_fma_f32 v[6:7], v[8:9], v[2:3], v[6:7] op_sel:[0,0,1] op_sel_hi:[1,0,0]
	s_delay_alu instid0(VALU_DEP_1)
	v_mov_b32_e32 v11, v7
	ds_load_2addr_b64 v[6:9], v168 offset0:42 offset1:43
	v_pk_add_f32 v[178:179], v[178:179], v[12:13] neg_lo:[0,1] neg_hi:[0,1]
	v_pk_add_f32 v[174:175], v[174:175], v[10:11] neg_lo:[0,1] neg_hi:[0,1]
	s_wait_dscnt 0x0
	v_pk_mul_f32 v[10:11], v[6:7], v[4:5] op_sel:[0,1]
	s_delay_alu instid0(VALU_DEP_1) | instskip(SKIP_1) | instid1(VALU_DEP_1)
	v_pk_fma_f32 v[12:13], v[6:7], v[2:3], v[10:11] op_sel:[0,0,1] op_sel_hi:[1,1,0] neg_lo:[0,0,1] neg_hi:[0,0,1]
	v_pk_fma_f32 v[6:7], v[6:7], v[2:3], v[10:11] op_sel:[0,0,1] op_sel_hi:[1,0,0]
	v_mov_b32_e32 v13, v7
	v_pk_mul_f32 v[6:7], v[8:9], v[4:5] op_sel:[0,1]
	s_delay_alu instid0(VALU_DEP_1) | instskip(SKIP_1) | instid1(VALU_DEP_1)
	v_pk_fma_f32 v[10:11], v[8:9], v[2:3], v[6:7] op_sel:[0,0,1] op_sel_hi:[1,1,0] neg_lo:[0,0,1] neg_hi:[0,0,1]
	v_pk_fma_f32 v[6:7], v[8:9], v[2:3], v[6:7] op_sel:[0,0,1] op_sel_hi:[1,0,0]
	v_mov_b32_e32 v11, v7
	ds_load_2addr_b64 v[6:9], v168 offset0:44 offset1:45
	v_pk_add_f32 v[176:177], v[176:177], v[12:13] neg_lo:[0,1] neg_hi:[0,1]
	v_pk_add_f32 v[172:173], v[172:173], v[10:11] neg_lo:[0,1] neg_hi:[0,1]
	s_wait_dscnt 0x0
	v_dual_mul_f32 v10, v7, v5 :: v_dual_mul_f32 v12, v7, v2
	s_delay_alu instid0(VALU_DEP_1) | instskip(NEXT) | instid1(VALU_DEP_2)
	v_pk_fma_f32 v[10:11], v[6:7], v[58:59], v[10:11] op_sel_hi:[1,1,0] neg_lo:[0,0,1] neg_hi:[0,0,1]
	v_pk_fma_f32 v[6:7], v[6:7], v[58:59], v[12:13] op_sel:[1,0,0] op_sel_hi:[0,1,0]
	s_delay_alu instid0(VALU_DEP_1) | instskip(SKIP_1) | instid1(VALU_DEP_2)
	v_mov_b32_e32 v11, v7
	v_pk_mul_f32 v[6:7], v[8:9], v[4:5] op_sel:[0,1]
	v_pk_add_f32 v[198:199], v[198:199], v[10:11] neg_lo:[0,1] neg_hi:[0,1]
	s_delay_alu instid0(VALU_DEP_2) | instskip(SKIP_1) | instid1(VALU_DEP_1)
	v_pk_fma_f32 v[10:11], v[8:9], v[2:3], v[6:7] op_sel:[0,0,1] op_sel_hi:[1,1,0] neg_lo:[0,0,1] neg_hi:[0,0,1]
	v_pk_fma_f32 v[6:7], v[8:9], v[2:3], v[6:7] op_sel:[0,0,1] op_sel_hi:[1,0,0]
	v_mov_b32_e32 v11, v7
	ds_load_2addr_b64 v[6:9], v168 offset0:46 offset1:47
	v_pk_add_f32 v[194:195], v[194:195], v[10:11] neg_lo:[0,1] neg_hi:[0,1]
	s_wait_dscnt 0x0
	v_pk_mul_f32 v[10:11], v[6:7], v[4:5] op_sel:[0,1]
	s_delay_alu instid0(VALU_DEP_1) | instskip(SKIP_1) | instid1(VALU_DEP_1)
	v_pk_fma_f32 v[12:13], v[6:7], v[2:3], v[10:11] op_sel:[0,0,1] op_sel_hi:[1,1,0] neg_lo:[0,0,1] neg_hi:[0,0,1]
	v_pk_fma_f32 v[6:7], v[6:7], v[2:3], v[10:11] op_sel:[0,0,1] op_sel_hi:[1,0,0]
	v_mov_b32_e32 v13, v7
	v_pk_mul_f32 v[6:7], v[8:9], v[4:5] op_sel:[0,1]
	s_delay_alu instid0(VALU_DEP_2) | instskip(NEXT) | instid1(VALU_DEP_2)
	v_pk_add_f32 v[196:197], v[196:197], v[12:13] neg_lo:[0,1] neg_hi:[0,1]
	v_pk_fma_f32 v[10:11], v[8:9], v[2:3], v[6:7] op_sel:[0,0,1] op_sel_hi:[1,1,0] neg_lo:[0,0,1] neg_hi:[0,0,1]
	v_pk_fma_f32 v[6:7], v[8:9], v[2:3], v[6:7] op_sel:[0,0,1] op_sel_hi:[1,0,0]
	s_delay_alu instid0(VALU_DEP_1) | instskip(SKIP_4) | instid1(VALU_DEP_1)
	v_mov_b32_e32 v11, v7
	ds_load_2addr_b64 v[6:9], v168 offset0:48 offset1:49
	v_pk_add_f32 v[192:193], v[192:193], v[10:11] neg_lo:[0,1] neg_hi:[0,1]
	s_wait_dscnt 0x0
	v_pk_mul_f32 v[10:11], v[6:7], v[4:5] op_sel:[0,1]
	v_pk_fma_f32 v[12:13], v[6:7], v[2:3], v[10:11] op_sel:[0,0,1] op_sel_hi:[1,1,0] neg_lo:[0,0,1] neg_hi:[0,0,1]
	v_pk_fma_f32 v[6:7], v[6:7], v[2:3], v[10:11] op_sel:[0,0,1] op_sel_hi:[1,0,0]
	v_dual_mul_f32 v10, v9, v5 :: v_dual_mov_b32 v6, v9
	s_delay_alu instid0(VALU_DEP_2) | instskip(NEXT) | instid1(VALU_DEP_2)
	v_dual_mov_b32 v13, v7 :: v_dual_mov_b32 v7, v8
	v_pk_fma_f32 v[10:11], v[8:9], v[58:59], v[10:11] op_sel_hi:[1,1,0] neg_lo:[0,0,1] neg_hi:[0,0,1]
	v_mul_f32_e32 v8, v9, v2
	s_delay_alu instid0(VALU_DEP_3) | instskip(NEXT) | instid1(VALU_DEP_2)
	v_pk_add_f32 v[220:221], v[220:221], v[12:13] neg_lo:[0,1] neg_hi:[0,1]
	v_pk_fma_f32 v[6:7], v[6:7], v[58:59], v[8:9] op_sel_hi:[1,1,0]
	s_delay_alu instid0(VALU_DEP_1) | instskip(SKIP_4) | instid1(VALU_DEP_1)
	v_mov_b32_e32 v11, v7
	ds_load_2addr_b64 v[6:9], v168 offset0:50 offset1:51
	v_pk_add_f32 v[214:215], v[214:215], v[10:11] neg_lo:[0,1] neg_hi:[0,1]
	s_wait_dscnt 0x0
	v_pk_mul_f32 v[10:11], v[6:7], v[4:5] op_sel:[0,1]
	v_pk_fma_f32 v[12:13], v[6:7], v[2:3], v[10:11] op_sel:[0,0,1] op_sel_hi:[1,1,0] neg_lo:[0,0,1] neg_hi:[0,0,1]
	v_pk_fma_f32 v[6:7], v[6:7], v[2:3], v[10:11] op_sel:[0,0,1] op_sel_hi:[1,0,0]
	s_delay_alu instid0(VALU_DEP_1) | instskip(SKIP_1) | instid1(VALU_DEP_1)
	v_mov_b32_e32 v13, v7
	v_pk_mul_f32 v[6:7], v[8:9], v[4:5] op_sel:[0,1]
	v_pk_fma_f32 v[10:11], v[8:9], v[2:3], v[6:7] op_sel:[0,0,1] op_sel_hi:[1,1,0] neg_lo:[0,0,1] neg_hi:[0,0,1]
	v_pk_fma_f32 v[6:7], v[8:9], v[2:3], v[6:7] op_sel:[0,0,1] op_sel_hi:[1,0,0]
	s_delay_alu instid0(VALU_DEP_1)
	v_mov_b32_e32 v11, v7
	ds_load_2addr_b64 v[6:9], v168 offset0:52 offset1:53
	v_pk_add_f32 v[218:219], v[218:219], v[12:13] neg_lo:[0,1] neg_hi:[0,1]
	v_pk_add_f32 v[212:213], v[212:213], v[10:11] neg_lo:[0,1] neg_hi:[0,1]
	s_wait_dscnt 0x0
	v_pk_mul_f32 v[10:11], v[6:7], v[4:5] op_sel:[0,1]
	s_delay_alu instid0(VALU_DEP_1) | instskip(SKIP_1) | instid1(VALU_DEP_1)
	v_pk_fma_f32 v[12:13], v[6:7], v[2:3], v[10:11] op_sel:[0,0,1] op_sel_hi:[1,1,0] neg_lo:[0,0,1] neg_hi:[0,0,1]
	v_pk_fma_f32 v[6:7], v[6:7], v[2:3], v[10:11] op_sel:[0,0,1] op_sel_hi:[1,0,0]
	v_mov_b32_e32 v13, v7
	v_pk_mul_f32 v[6:7], v[8:9], v[4:5] op_sel:[0,1]
	s_delay_alu instid0(VALU_DEP_1) | instskip(SKIP_1) | instid1(VALU_DEP_1)
	v_pk_fma_f32 v[10:11], v[8:9], v[2:3], v[6:7] op_sel:[0,0,1] op_sel_hi:[1,1,0] neg_lo:[0,0,1] neg_hi:[0,0,1]
	v_pk_fma_f32 v[6:7], v[8:9], v[2:3], v[6:7] op_sel:[0,0,1] op_sel_hi:[1,0,0]
	v_mov_b32_e32 v11, v7
	ds_load_2addr_b64 v[6:9], v168 offset0:54 offset1:55
	v_pk_add_f32 v[216:217], v[216:217], v[12:13] neg_lo:[0,1] neg_hi:[0,1]
	v_pk_add_f32 v[210:211], v[210:211], v[10:11] neg_lo:[0,1] neg_hi:[0,1]
	s_wait_dscnt 0x0
	v_dual_mul_f32 v10, v7, v5 :: v_dual_mul_f32 v12, v7, v2
	v_pk_mul_f32 v[4:5], v[8:9], v[4:5] op_sel:[0,1]
	s_delay_alu instid0(VALU_DEP_2) | instskip(NEXT) | instid1(VALU_DEP_3)
	v_pk_fma_f32 v[10:11], v[6:7], v[58:59], v[10:11] op_sel_hi:[1,1,0] neg_lo:[0,0,1] neg_hi:[0,0,1]
	v_pk_fma_f32 v[6:7], v[6:7], v[58:59], v[12:13] op_sel:[1,0,0] op_sel_hi:[0,1,0]
	s_delay_alu instid0(VALU_DEP_1) | instskip(NEXT) | instid1(VALU_DEP_4)
	v_mov_b32_e32 v11, v7
	v_pk_fma_f32 v[6:7], v[8:9], v[2:3], v[4:5] op_sel:[0,0,1] op_sel_hi:[1,1,0] neg_lo:[0,0,1] neg_hi:[0,0,1]
	v_pk_fma_f32 v[2:3], v[8:9], v[2:3], v[4:5] op_sel:[0,0,1] op_sel_hi:[1,0,0]
	s_delay_alu instid0(VALU_DEP_1) | instskip(NEXT) | instid1(VALU_DEP_4)
	v_mov_b32_e32 v7, v3
	v_pk_add_f32 v[222:223], v[222:223], v[10:11] neg_lo:[0,1] neg_hi:[0,1]
	s_delay_alu instid0(VALU_DEP_2)
	v_pk_add_f32 v[224:225], v[224:225], v[6:7] neg_lo:[0,1] neg_hi:[0,1]
.LBB111_145:
	s_wait_xcnt 0x0
	s_or_b32 exec_lo, exec_lo, s1
	s_delay_alu instid0(SALU_CYCLE_1)
	s_mov_b32 s2, exec_lo
	s_wait_storecnt 0x0
	s_barrier_signal -1
	s_barrier_wait -1
	v_cmpx_eq_u32_e32 16, v166
	s_cbranch_execz .LBB111_152
; %bb.146:
	ds_store_b64 v167, v[80:81]
	ds_store_2addr_b64 v168, v[76:77], v[78:79] offset0:17 offset1:18
	ds_store_2addr_b64 v168, v[74:75], v[98:99] offset0:19 offset1:20
	;; [unrolled: 1-line block ×19, first 2 shown]
	ds_store_b64 v168, v[224:225] offset:440
	ds_load_b64 v[2:3], v167
	s_wait_dscnt 0x0
	v_cmp_neq_f32_e32 vcc_lo, 0, v2
	v_cmp_neq_f32_e64 s1, 0, v3
	s_or_b32 s1, vcc_lo, s1
	s_delay_alu instid0(SALU_CYCLE_1)
	s_and_b32 exec_lo, exec_lo, s1
	s_cbranch_execz .LBB111_152
; %bb.147:
	v_cmp_ngt_f32_e64 s1, |v2|, |v3|
                                        ; implicit-def: $vgpr4_vgpr5
	s_and_saveexec_b32 s4, s1
	s_delay_alu instid0(SALU_CYCLE_1)
	s_xor_b32 s1, exec_lo, s4
	s_cbranch_execz .LBB111_149
; %bb.148:
	v_div_scale_f32 v4, null, v3, v3, v2
	v_div_scale_f32 v7, vcc_lo, v2, v3, v2
	s_delay_alu instid0(VALU_DEP_2) | instskip(SKIP_1) | instid1(TRANS32_DEP_1)
	v_rcp_f32_e32 v5, v4
	v_nop
	v_fma_f32 v6, -v4, v5, 1.0
	s_delay_alu instid0(VALU_DEP_1) | instskip(NEXT) | instid1(VALU_DEP_1)
	v_fmac_f32_e32 v5, v6, v5
	v_mul_f32_e32 v6, v7, v5
	s_delay_alu instid0(VALU_DEP_1) | instskip(NEXT) | instid1(VALU_DEP_1)
	v_fma_f32 v8, -v4, v6, v7
	v_fmac_f32_e32 v6, v8, v5
	s_delay_alu instid0(VALU_DEP_1) | instskip(NEXT) | instid1(VALU_DEP_1)
	v_fma_f32 v4, -v4, v6, v7
	v_div_fmas_f32 v4, v4, v5, v6
	s_delay_alu instid0(VALU_DEP_1) | instskip(NEXT) | instid1(VALU_DEP_1)
	v_div_fixup_f32 v4, v4, v3, v2
	v_fmac_f32_e32 v3, v2, v4
	s_delay_alu instid0(VALU_DEP_1) | instskip(SKIP_1) | instid1(VALU_DEP_2)
	v_div_scale_f32 v2, null, v3, v3, 1.0
	v_div_scale_f32 v7, vcc_lo, 1.0, v3, 1.0
	v_rcp_f32_e32 v5, v2
	v_nop
	s_delay_alu instid0(TRANS32_DEP_1) | instskip(NEXT) | instid1(VALU_DEP_1)
	v_fma_f32 v6, -v2, v5, 1.0
	v_fmac_f32_e32 v5, v6, v5
	s_delay_alu instid0(VALU_DEP_1) | instskip(NEXT) | instid1(VALU_DEP_1)
	v_mul_f32_e32 v6, v7, v5
	v_fma_f32 v8, -v2, v6, v7
	s_delay_alu instid0(VALU_DEP_1) | instskip(NEXT) | instid1(VALU_DEP_1)
	v_fmac_f32_e32 v6, v8, v5
	v_fma_f32 v2, -v2, v6, v7
	s_delay_alu instid0(VALU_DEP_1) | instskip(NEXT) | instid1(VALU_DEP_1)
	v_div_fmas_f32 v2, v2, v5, v6
	v_div_fixup_f32 v2, v2, v3, 1.0
	s_delay_alu instid0(VALU_DEP_1)
	v_mul_f32_e32 v4, v4, v2
	v_xor_b32_e32 v5, 0x80000000, v2
                                        ; implicit-def: $vgpr2_vgpr3
.LBB111_149:
	s_and_not1_saveexec_b32 s1, s1
	s_cbranch_execz .LBB111_151
; %bb.150:
	v_div_scale_f32 v4, null, v2, v2, v3
	v_div_scale_f32 v7, vcc_lo, v3, v2, v3
	s_delay_alu instid0(VALU_DEP_2) | instskip(SKIP_1) | instid1(TRANS32_DEP_1)
	v_rcp_f32_e32 v5, v4
	v_nop
	v_fma_f32 v6, -v4, v5, 1.0
	s_delay_alu instid0(VALU_DEP_1) | instskip(NEXT) | instid1(VALU_DEP_1)
	v_fmac_f32_e32 v5, v6, v5
	v_mul_f32_e32 v6, v7, v5
	s_delay_alu instid0(VALU_DEP_1) | instskip(NEXT) | instid1(VALU_DEP_1)
	v_fma_f32 v8, -v4, v6, v7
	v_fmac_f32_e32 v6, v8, v5
	s_delay_alu instid0(VALU_DEP_1) | instskip(NEXT) | instid1(VALU_DEP_1)
	v_fma_f32 v4, -v4, v6, v7
	v_div_fmas_f32 v4, v4, v5, v6
	s_delay_alu instid0(VALU_DEP_1) | instskip(NEXT) | instid1(VALU_DEP_1)
	v_div_fixup_f32 v5, v4, v2, v3
	v_fmac_f32_e32 v2, v3, v5
	s_delay_alu instid0(VALU_DEP_1) | instskip(NEXT) | instid1(VALU_DEP_1)
	v_div_scale_f32 v3, null, v2, v2, 1.0
	v_rcp_f32_e32 v4, v3
	v_nop
	s_delay_alu instid0(TRANS32_DEP_1) | instskip(NEXT) | instid1(VALU_DEP_1)
	v_fma_f32 v6, -v3, v4, 1.0
	v_fmac_f32_e32 v4, v6, v4
	v_div_scale_f32 v6, vcc_lo, 1.0, v2, 1.0
	s_delay_alu instid0(VALU_DEP_1) | instskip(NEXT) | instid1(VALU_DEP_1)
	v_mul_f32_e32 v7, v6, v4
	v_fma_f32 v8, -v3, v7, v6
	s_delay_alu instid0(VALU_DEP_1) | instskip(NEXT) | instid1(VALU_DEP_1)
	v_fmac_f32_e32 v7, v8, v4
	v_fma_f32 v3, -v3, v7, v6
	s_delay_alu instid0(VALU_DEP_1) | instskip(NEXT) | instid1(VALU_DEP_1)
	v_div_fmas_f32 v3, v3, v4, v7
	v_div_fixup_f32 v4, v3, v2, 1.0
	s_delay_alu instid0(VALU_DEP_1)
	v_mul_f32_e64 v5, v5, -v4
.LBB111_151:
	s_or_b32 exec_lo, exec_lo, s1
	ds_store_b64 v167, v[4:5]
.LBB111_152:
	s_or_b32 exec_lo, exec_lo, s2
	s_wait_dscnt 0x0
	s_barrier_signal -1
	s_barrier_wait -1
	ds_load_b64 v[2:3], v167
	s_mov_b32 s1, exec_lo
	v_cmpx_lt_u32_e32 16, v166
	s_cbranch_execz .LBB111_154
; %bb.153:
	ds_load_2addr_b64 v[8:11], v168 offset0:17 offset1:18
	s_wait_dscnt 0x1
	v_pk_mul_f32 v[6:7], v[2:3], v[80:81] op_sel:[1,1] op_sel_hi:[0,1]
	s_delay_alu instid0(VALU_DEP_1) | instskip(SKIP_1) | instid1(VALU_DEP_1)
	v_pk_fma_f32 v[4:5], v[2:3], v[80:81], v[6:7] op_sel_hi:[1,0,1] neg_lo:[0,0,1] neg_hi:[0,0,1]
	v_pk_fma_f32 v[6:7], v[2:3], v[80:81], v[6:7] op_sel_hi:[1,0,1]
	v_dual_mov_b32 v80, v4 :: v_dual_mov_b32 v81, v7
	s_wait_dscnt 0x0
	s_delay_alu instid0(VALU_DEP_2) | instskip(NEXT) | instid1(VALU_DEP_1)
	v_pk_mul_f32 v[12:13], v[8:9], v[6:7] op_sel:[0,1]
	v_pk_fma_f32 v[14:15], v[8:9], v[4:5], v[12:13] op_sel:[0,0,1] op_sel_hi:[1,1,0] neg_lo:[0,0,1] neg_hi:[0,0,1]
	v_pk_fma_f32 v[8:9], v[8:9], v[4:5], v[12:13] op_sel:[0,0,1] op_sel_hi:[1,0,0]
	s_delay_alu instid0(VALU_DEP_1) | instskip(SKIP_1) | instid1(VALU_DEP_1)
	v_mov_b32_e32 v15, v9
	v_pk_mul_f32 v[8:9], v[10:11], v[6:7] op_sel:[0,1]
	v_pk_fma_f32 v[12:13], v[10:11], v[4:5], v[8:9] op_sel:[0,0,1] op_sel_hi:[1,1,0] neg_lo:[0,0,1] neg_hi:[0,0,1]
	v_pk_fma_f32 v[8:9], v[10:11], v[4:5], v[8:9] op_sel:[0,0,1] op_sel_hi:[1,0,0]
	s_delay_alu instid0(VALU_DEP_1)
	v_mov_b32_e32 v13, v9
	ds_load_2addr_b64 v[8:11], v168 offset0:19 offset1:20
	v_pk_add_f32 v[76:77], v[76:77], v[14:15] neg_lo:[0,1] neg_hi:[0,1]
	v_pk_add_f32 v[78:79], v[78:79], v[12:13] neg_lo:[0,1] neg_hi:[0,1]
	s_wait_dscnt 0x0
	v_pk_mul_f32 v[12:13], v[8:9], v[6:7] op_sel:[0,1]
	s_delay_alu instid0(VALU_DEP_1) | instskip(SKIP_2) | instid1(VALU_DEP_2)
	v_pk_fma_f32 v[14:15], v[8:9], v[4:5], v[12:13] op_sel:[0,0,1] op_sel_hi:[1,1,0] neg_lo:[0,0,1] neg_hi:[0,0,1]
	v_pk_fma_f32 v[8:9], v[8:9], v[4:5], v[12:13] op_sel:[0,0,1] op_sel_hi:[1,0,0]
	v_dual_mul_f32 v12, v11, v7 :: v_dual_mov_b32 v8, v11
	v_dual_mov_b32 v15, v9 :: v_dual_mov_b32 v9, v10
	s_delay_alu instid0(VALU_DEP_2) | instskip(SKIP_1) | instid1(VALU_DEP_3)
	v_pk_fma_f32 v[12:13], v[10:11], v[80:81], v[12:13] op_sel_hi:[1,1,0] neg_lo:[0,0,1] neg_hi:[0,0,1]
	v_mul_f32_e32 v10, v11, v4
	v_pk_add_f32 v[74:75], v[74:75], v[14:15] neg_lo:[0,1] neg_hi:[0,1]
	s_delay_alu instid0(VALU_DEP_2) | instskip(NEXT) | instid1(VALU_DEP_1)
	v_pk_fma_f32 v[8:9], v[8:9], v[80:81], v[10:11] op_sel_hi:[1,1,0]
	v_mov_b32_e32 v13, v9
	ds_load_2addr_b64 v[8:11], v168 offset0:21 offset1:22
	v_pk_add_f32 v[98:99], v[98:99], v[12:13] neg_lo:[0,1] neg_hi:[0,1]
	s_wait_dscnt 0x0
	v_pk_mul_f32 v[12:13], v[8:9], v[6:7] op_sel:[0,1]
	s_delay_alu instid0(VALU_DEP_1) | instskip(SKIP_1) | instid1(VALU_DEP_1)
	v_pk_fma_f32 v[14:15], v[8:9], v[4:5], v[12:13] op_sel:[0,0,1] op_sel_hi:[1,1,0] neg_lo:[0,0,1] neg_hi:[0,0,1]
	v_pk_fma_f32 v[8:9], v[8:9], v[4:5], v[12:13] op_sel:[0,0,1] op_sel_hi:[1,0,0]
	v_mov_b32_e32 v15, v9
	v_pk_mul_f32 v[8:9], v[10:11], v[6:7] op_sel:[0,1]
	s_delay_alu instid0(VALU_DEP_1) | instskip(SKIP_1) | instid1(VALU_DEP_1)
	v_pk_fma_f32 v[12:13], v[10:11], v[4:5], v[8:9] op_sel:[0,0,1] op_sel_hi:[1,1,0] neg_lo:[0,0,1] neg_hi:[0,0,1]
	v_pk_fma_f32 v[8:9], v[10:11], v[4:5], v[8:9] op_sel:[0,0,1] op_sel_hi:[1,0,0]
	v_mov_b32_e32 v13, v9
	ds_load_2addr_b64 v[8:11], v168 offset0:23 offset1:24
	v_pk_add_f32 v[94:95], v[94:95], v[14:15] neg_lo:[0,1] neg_hi:[0,1]
	v_pk_add_f32 v[96:97], v[96:97], v[12:13] neg_lo:[0,1] neg_hi:[0,1]
	s_wait_dscnt 0x0
	v_pk_mul_f32 v[12:13], v[8:9], v[6:7] op_sel:[0,1]
	s_delay_alu instid0(VALU_DEP_1) | instskip(SKIP_1) | instid1(VALU_DEP_1)
	v_pk_fma_f32 v[14:15], v[8:9], v[4:5], v[12:13] op_sel:[0,0,1] op_sel_hi:[1,1,0] neg_lo:[0,0,1] neg_hi:[0,0,1]
	v_pk_fma_f32 v[8:9], v[8:9], v[4:5], v[12:13] op_sel:[0,0,1] op_sel_hi:[1,0,0]
	v_mov_b32_e32 v15, v9
	v_pk_mul_f32 v[8:9], v[10:11], v[6:7] op_sel:[0,1]
	s_delay_alu instid0(VALU_DEP_1) | instskip(SKIP_1) | instid1(VALU_DEP_1)
	v_pk_fma_f32 v[12:13], v[10:11], v[4:5], v[8:9] op_sel:[0,0,1] op_sel_hi:[1,1,0] neg_lo:[0,0,1] neg_hi:[0,0,1]
	v_pk_fma_f32 v[8:9], v[10:11], v[4:5], v[8:9] op_sel:[0,0,1] op_sel_hi:[1,0,0]
	v_mov_b32_e32 v13, v9
	ds_load_2addr_b64 v[8:11], v168 offset0:25 offset1:26
	v_pk_add_f32 v[92:93], v[92:93], v[14:15] neg_lo:[0,1] neg_hi:[0,1]
	v_pk_add_f32 v[114:115], v[114:115], v[12:13] neg_lo:[0,1] neg_hi:[0,1]
	s_wait_dscnt 0x0
	v_dual_mul_f32 v12, v9, v7 :: v_dual_mul_f32 v14, v9, v4
	s_delay_alu instid0(VALU_DEP_1) | instskip(NEXT) | instid1(VALU_DEP_2)
	v_pk_fma_f32 v[12:13], v[8:9], v[80:81], v[12:13] op_sel_hi:[1,1,0] neg_lo:[0,0,1] neg_hi:[0,0,1]
	v_pk_fma_f32 v[8:9], v[8:9], v[80:81], v[14:15] op_sel:[1,0,0] op_sel_hi:[0,1,0]
	s_delay_alu instid0(VALU_DEP_1) | instskip(SKIP_1) | instid1(VALU_DEP_2)
	v_mov_b32_e32 v13, v9
	v_pk_mul_f32 v[8:9], v[10:11], v[6:7] op_sel:[0,1]
	v_pk_add_f32 v[110:111], v[110:111], v[12:13] neg_lo:[0,1] neg_hi:[0,1]
	s_delay_alu instid0(VALU_DEP_2) | instskip(SKIP_1) | instid1(VALU_DEP_1)
	v_pk_fma_f32 v[12:13], v[10:11], v[4:5], v[8:9] op_sel:[0,0,1] op_sel_hi:[1,1,0] neg_lo:[0,0,1] neg_hi:[0,0,1]
	v_pk_fma_f32 v[8:9], v[10:11], v[4:5], v[8:9] op_sel:[0,0,1] op_sel_hi:[1,0,0]
	v_mov_b32_e32 v13, v9
	ds_load_2addr_b64 v[8:11], v168 offset0:27 offset1:28
	v_pk_add_f32 v[112:113], v[112:113], v[12:13] neg_lo:[0,1] neg_hi:[0,1]
	s_wait_dscnt 0x0
	v_pk_mul_f32 v[12:13], v[8:9], v[6:7] op_sel:[0,1]
	s_delay_alu instid0(VALU_DEP_1) | instskip(SKIP_1) | instid1(VALU_DEP_1)
	v_pk_fma_f32 v[14:15], v[8:9], v[4:5], v[12:13] op_sel:[0,0,1] op_sel_hi:[1,1,0] neg_lo:[0,0,1] neg_hi:[0,0,1]
	v_pk_fma_f32 v[8:9], v[8:9], v[4:5], v[12:13] op_sel:[0,0,1] op_sel_hi:[1,0,0]
	v_mov_b32_e32 v15, v9
	v_pk_mul_f32 v[8:9], v[10:11], v[6:7] op_sel:[0,1]
	s_delay_alu instid0(VALU_DEP_2) | instskip(NEXT) | instid1(VALU_DEP_2)
	v_pk_add_f32 v[108:109], v[108:109], v[14:15] neg_lo:[0,1] neg_hi:[0,1]
	v_pk_fma_f32 v[12:13], v[10:11], v[4:5], v[8:9] op_sel:[0,0,1] op_sel_hi:[1,1,0] neg_lo:[0,0,1] neg_hi:[0,0,1]
	v_pk_fma_f32 v[8:9], v[10:11], v[4:5], v[8:9] op_sel:[0,0,1] op_sel_hi:[1,0,0]
	s_delay_alu instid0(VALU_DEP_1) | instskip(SKIP_4) | instid1(VALU_DEP_1)
	v_mov_b32_e32 v13, v9
	ds_load_2addr_b64 v[8:11], v168 offset0:29 offset1:30
	v_pk_add_f32 v[130:131], v[130:131], v[12:13] neg_lo:[0,1] neg_hi:[0,1]
	s_wait_dscnt 0x0
	v_pk_mul_f32 v[12:13], v[8:9], v[6:7] op_sel:[0,1]
	v_pk_fma_f32 v[14:15], v[8:9], v[4:5], v[12:13] op_sel:[0,0,1] op_sel_hi:[1,1,0] neg_lo:[0,0,1] neg_hi:[0,0,1]
	v_pk_fma_f32 v[8:9], v[8:9], v[4:5], v[12:13] op_sel:[0,0,1] op_sel_hi:[1,0,0]
	v_dual_mul_f32 v12, v11, v7 :: v_dual_mov_b32 v8, v11
	s_delay_alu instid0(VALU_DEP_2) | instskip(NEXT) | instid1(VALU_DEP_2)
	v_dual_mov_b32 v15, v9 :: v_dual_mov_b32 v9, v10
	v_pk_fma_f32 v[12:13], v[10:11], v[80:81], v[12:13] op_sel_hi:[1,1,0] neg_lo:[0,0,1] neg_hi:[0,0,1]
	v_mul_f32_e32 v10, v11, v4
	s_delay_alu instid0(VALU_DEP_3) | instskip(NEXT) | instid1(VALU_DEP_2)
	v_pk_add_f32 v[126:127], v[126:127], v[14:15] neg_lo:[0,1] neg_hi:[0,1]
	v_pk_fma_f32 v[8:9], v[8:9], v[80:81], v[10:11] op_sel_hi:[1,1,0]
	s_delay_alu instid0(VALU_DEP_1) | instskip(SKIP_4) | instid1(VALU_DEP_1)
	v_mov_b32_e32 v13, v9
	ds_load_2addr_b64 v[8:11], v168 offset0:31 offset1:32
	v_pk_add_f32 v[128:129], v[128:129], v[12:13] neg_lo:[0,1] neg_hi:[0,1]
	s_wait_dscnt 0x0
	v_pk_mul_f32 v[12:13], v[8:9], v[6:7] op_sel:[0,1]
	v_pk_fma_f32 v[14:15], v[8:9], v[4:5], v[12:13] op_sel:[0,0,1] op_sel_hi:[1,1,0] neg_lo:[0,0,1] neg_hi:[0,0,1]
	v_pk_fma_f32 v[8:9], v[8:9], v[4:5], v[12:13] op_sel:[0,0,1] op_sel_hi:[1,0,0]
	s_delay_alu instid0(VALU_DEP_1) | instskip(SKIP_1) | instid1(VALU_DEP_1)
	v_mov_b32_e32 v15, v9
	v_pk_mul_f32 v[8:9], v[10:11], v[6:7] op_sel:[0,1]
	v_pk_fma_f32 v[12:13], v[10:11], v[4:5], v[8:9] op_sel:[0,0,1] op_sel_hi:[1,1,0] neg_lo:[0,0,1] neg_hi:[0,0,1]
	v_pk_fma_f32 v[8:9], v[10:11], v[4:5], v[8:9] op_sel:[0,0,1] op_sel_hi:[1,0,0]
	s_delay_alu instid0(VALU_DEP_1)
	v_mov_b32_e32 v13, v9
	ds_load_2addr_b64 v[8:11], v168 offset0:33 offset1:34
	v_pk_add_f32 v[124:125], v[124:125], v[14:15] neg_lo:[0,1] neg_hi:[0,1]
	v_pk_add_f32 v[146:147], v[146:147], v[12:13] neg_lo:[0,1] neg_hi:[0,1]
	s_wait_dscnt 0x0
	v_pk_mul_f32 v[12:13], v[8:9], v[6:7] op_sel:[0,1]
	s_delay_alu instid0(VALU_DEP_1) | instskip(SKIP_1) | instid1(VALU_DEP_1)
	v_pk_fma_f32 v[14:15], v[8:9], v[4:5], v[12:13] op_sel:[0,0,1] op_sel_hi:[1,1,0] neg_lo:[0,0,1] neg_hi:[0,0,1]
	v_pk_fma_f32 v[8:9], v[8:9], v[4:5], v[12:13] op_sel:[0,0,1] op_sel_hi:[1,0,0]
	v_mov_b32_e32 v15, v9
	v_pk_mul_f32 v[8:9], v[10:11], v[6:7] op_sel:[0,1]
	s_delay_alu instid0(VALU_DEP_1) | instskip(SKIP_1) | instid1(VALU_DEP_1)
	v_pk_fma_f32 v[12:13], v[10:11], v[4:5], v[8:9] op_sel:[0,0,1] op_sel_hi:[1,1,0] neg_lo:[0,0,1] neg_hi:[0,0,1]
	v_pk_fma_f32 v[8:9], v[10:11], v[4:5], v[8:9] op_sel:[0,0,1] op_sel_hi:[1,0,0]
	v_mov_b32_e32 v13, v9
	ds_load_2addr_b64 v[8:11], v168 offset0:35 offset1:36
	v_pk_add_f32 v[142:143], v[142:143], v[14:15] neg_lo:[0,1] neg_hi:[0,1]
	v_pk_add_f32 v[144:145], v[144:145], v[12:13] neg_lo:[0,1] neg_hi:[0,1]
	s_wait_dscnt 0x0
	v_dual_mul_f32 v12, v9, v7 :: v_dual_mul_f32 v14, v9, v4
	s_delay_alu instid0(VALU_DEP_1) | instskip(NEXT) | instid1(VALU_DEP_2)
	v_pk_fma_f32 v[12:13], v[8:9], v[80:81], v[12:13] op_sel_hi:[1,1,0] neg_lo:[0,0,1] neg_hi:[0,0,1]
	v_pk_fma_f32 v[8:9], v[8:9], v[80:81], v[14:15] op_sel:[1,0,0] op_sel_hi:[0,1,0]
	s_delay_alu instid0(VALU_DEP_1) | instskip(SKIP_1) | instid1(VALU_DEP_2)
	v_mov_b32_e32 v13, v9
	v_pk_mul_f32 v[8:9], v[10:11], v[6:7] op_sel:[0,1]
	v_pk_add_f32 v[140:141], v[140:141], v[12:13] neg_lo:[0,1] neg_hi:[0,1]
	s_delay_alu instid0(VALU_DEP_2) | instskip(SKIP_1) | instid1(VALU_DEP_1)
	v_pk_fma_f32 v[12:13], v[10:11], v[4:5], v[8:9] op_sel:[0,0,1] op_sel_hi:[1,1,0] neg_lo:[0,0,1] neg_hi:[0,0,1]
	v_pk_fma_f32 v[8:9], v[10:11], v[4:5], v[8:9] op_sel:[0,0,1] op_sel_hi:[1,0,0]
	v_mov_b32_e32 v13, v9
	ds_load_2addr_b64 v[8:11], v168 offset0:37 offset1:38
	v_pk_add_f32 v[162:163], v[162:163], v[12:13] neg_lo:[0,1] neg_hi:[0,1]
	s_wait_dscnt 0x0
	v_pk_mul_f32 v[12:13], v[8:9], v[6:7] op_sel:[0,1]
	s_delay_alu instid0(VALU_DEP_1) | instskip(SKIP_1) | instid1(VALU_DEP_1)
	v_pk_fma_f32 v[14:15], v[8:9], v[4:5], v[12:13] op_sel:[0,0,1] op_sel_hi:[1,1,0] neg_lo:[0,0,1] neg_hi:[0,0,1]
	v_pk_fma_f32 v[8:9], v[8:9], v[4:5], v[12:13] op_sel:[0,0,1] op_sel_hi:[1,0,0]
	v_mov_b32_e32 v15, v9
	v_pk_mul_f32 v[8:9], v[10:11], v[6:7] op_sel:[0,1]
	s_delay_alu instid0(VALU_DEP_2) | instskip(NEXT) | instid1(VALU_DEP_2)
	v_pk_add_f32 v[158:159], v[158:159], v[14:15] neg_lo:[0,1] neg_hi:[0,1]
	v_pk_fma_f32 v[12:13], v[10:11], v[4:5], v[8:9] op_sel:[0,0,1] op_sel_hi:[1,1,0] neg_lo:[0,0,1] neg_hi:[0,0,1]
	v_pk_fma_f32 v[8:9], v[10:11], v[4:5], v[8:9] op_sel:[0,0,1] op_sel_hi:[1,0,0]
	s_delay_alu instid0(VALU_DEP_1) | instskip(SKIP_4) | instid1(VALU_DEP_1)
	v_mov_b32_e32 v13, v9
	ds_load_2addr_b64 v[8:11], v168 offset0:39 offset1:40
	v_pk_add_f32 v[160:161], v[160:161], v[12:13] neg_lo:[0,1] neg_hi:[0,1]
	s_wait_dscnt 0x0
	v_pk_mul_f32 v[12:13], v[8:9], v[6:7] op_sel:[0,1]
	v_pk_fma_f32 v[14:15], v[8:9], v[4:5], v[12:13] op_sel:[0,0,1] op_sel_hi:[1,1,0] neg_lo:[0,0,1] neg_hi:[0,0,1]
	v_pk_fma_f32 v[8:9], v[8:9], v[4:5], v[12:13] op_sel:[0,0,1] op_sel_hi:[1,0,0]
	v_dual_mul_f32 v12, v11, v7 :: v_dual_mov_b32 v8, v11
	s_delay_alu instid0(VALU_DEP_2) | instskip(NEXT) | instid1(VALU_DEP_2)
	v_dual_mov_b32 v15, v9 :: v_dual_mov_b32 v9, v10
	v_pk_fma_f32 v[12:13], v[10:11], v[80:81], v[12:13] op_sel_hi:[1,1,0] neg_lo:[0,0,1] neg_hi:[0,0,1]
	v_mul_f32_e32 v10, v11, v4
	s_delay_alu instid0(VALU_DEP_3) | instskip(NEXT) | instid1(VALU_DEP_2)
	v_pk_add_f32 v[156:157], v[156:157], v[14:15] neg_lo:[0,1] neg_hi:[0,1]
	v_pk_fma_f32 v[8:9], v[8:9], v[80:81], v[10:11] op_sel_hi:[1,1,0]
	s_delay_alu instid0(VALU_DEP_1) | instskip(SKIP_4) | instid1(VALU_DEP_1)
	v_mov_b32_e32 v13, v9
	ds_load_2addr_b64 v[8:11], v168 offset0:41 offset1:42
	v_pk_add_f32 v[178:179], v[178:179], v[12:13] neg_lo:[0,1] neg_hi:[0,1]
	s_wait_dscnt 0x0
	v_pk_mul_f32 v[12:13], v[8:9], v[6:7] op_sel:[0,1]
	v_pk_fma_f32 v[14:15], v[8:9], v[4:5], v[12:13] op_sel:[0,0,1] op_sel_hi:[1,1,0] neg_lo:[0,0,1] neg_hi:[0,0,1]
	v_pk_fma_f32 v[8:9], v[8:9], v[4:5], v[12:13] op_sel:[0,0,1] op_sel_hi:[1,0,0]
	s_delay_alu instid0(VALU_DEP_1) | instskip(SKIP_1) | instid1(VALU_DEP_1)
	v_mov_b32_e32 v15, v9
	v_pk_mul_f32 v[8:9], v[10:11], v[6:7] op_sel:[0,1]
	v_pk_fma_f32 v[12:13], v[10:11], v[4:5], v[8:9] op_sel:[0,0,1] op_sel_hi:[1,1,0] neg_lo:[0,0,1] neg_hi:[0,0,1]
	v_pk_fma_f32 v[8:9], v[10:11], v[4:5], v[8:9] op_sel:[0,0,1] op_sel_hi:[1,0,0]
	s_delay_alu instid0(VALU_DEP_1)
	v_mov_b32_e32 v13, v9
	ds_load_2addr_b64 v[8:11], v168 offset0:43 offset1:44
	v_pk_add_f32 v[174:175], v[174:175], v[14:15] neg_lo:[0,1] neg_hi:[0,1]
	v_pk_add_f32 v[176:177], v[176:177], v[12:13] neg_lo:[0,1] neg_hi:[0,1]
	s_wait_dscnt 0x0
	v_pk_mul_f32 v[12:13], v[8:9], v[6:7] op_sel:[0,1]
	s_delay_alu instid0(VALU_DEP_1) | instskip(SKIP_1) | instid1(VALU_DEP_1)
	v_pk_fma_f32 v[14:15], v[8:9], v[4:5], v[12:13] op_sel:[0,0,1] op_sel_hi:[1,1,0] neg_lo:[0,0,1] neg_hi:[0,0,1]
	v_pk_fma_f32 v[8:9], v[8:9], v[4:5], v[12:13] op_sel:[0,0,1] op_sel_hi:[1,0,0]
	v_mov_b32_e32 v15, v9
	v_pk_mul_f32 v[8:9], v[10:11], v[6:7] op_sel:[0,1]
	s_delay_alu instid0(VALU_DEP_1) | instskip(SKIP_1) | instid1(VALU_DEP_1)
	v_pk_fma_f32 v[12:13], v[10:11], v[4:5], v[8:9] op_sel:[0,0,1] op_sel_hi:[1,1,0] neg_lo:[0,0,1] neg_hi:[0,0,1]
	v_pk_fma_f32 v[8:9], v[10:11], v[4:5], v[8:9] op_sel:[0,0,1] op_sel_hi:[1,0,0]
	v_mov_b32_e32 v13, v9
	ds_load_2addr_b64 v[8:11], v168 offset0:45 offset1:46
	v_pk_add_f32 v[172:173], v[172:173], v[14:15] neg_lo:[0,1] neg_hi:[0,1]
	v_pk_add_f32 v[198:199], v[198:199], v[12:13] neg_lo:[0,1] neg_hi:[0,1]
	s_wait_dscnt 0x0
	v_dual_mul_f32 v12, v9, v7 :: v_dual_mul_f32 v14, v9, v4
	s_delay_alu instid0(VALU_DEP_1) | instskip(NEXT) | instid1(VALU_DEP_2)
	v_pk_fma_f32 v[12:13], v[8:9], v[80:81], v[12:13] op_sel_hi:[1,1,0] neg_lo:[0,0,1] neg_hi:[0,0,1]
	v_pk_fma_f32 v[8:9], v[8:9], v[80:81], v[14:15] op_sel:[1,0,0] op_sel_hi:[0,1,0]
	s_delay_alu instid0(VALU_DEP_1) | instskip(SKIP_1) | instid1(VALU_DEP_2)
	v_mov_b32_e32 v13, v9
	v_pk_mul_f32 v[8:9], v[10:11], v[6:7] op_sel:[0,1]
	v_pk_add_f32 v[194:195], v[194:195], v[12:13] neg_lo:[0,1] neg_hi:[0,1]
	s_delay_alu instid0(VALU_DEP_2) | instskip(SKIP_1) | instid1(VALU_DEP_1)
	v_pk_fma_f32 v[12:13], v[10:11], v[4:5], v[8:9] op_sel:[0,0,1] op_sel_hi:[1,1,0] neg_lo:[0,0,1] neg_hi:[0,0,1]
	v_pk_fma_f32 v[8:9], v[10:11], v[4:5], v[8:9] op_sel:[0,0,1] op_sel_hi:[1,0,0]
	v_mov_b32_e32 v13, v9
	ds_load_2addr_b64 v[8:11], v168 offset0:47 offset1:48
	v_pk_add_f32 v[196:197], v[196:197], v[12:13] neg_lo:[0,1] neg_hi:[0,1]
	s_wait_dscnt 0x0
	v_pk_mul_f32 v[12:13], v[8:9], v[6:7] op_sel:[0,1]
	s_delay_alu instid0(VALU_DEP_1) | instskip(SKIP_1) | instid1(VALU_DEP_1)
	v_pk_fma_f32 v[14:15], v[8:9], v[4:5], v[12:13] op_sel:[0,0,1] op_sel_hi:[1,1,0] neg_lo:[0,0,1] neg_hi:[0,0,1]
	v_pk_fma_f32 v[8:9], v[8:9], v[4:5], v[12:13] op_sel:[0,0,1] op_sel_hi:[1,0,0]
	v_mov_b32_e32 v15, v9
	v_pk_mul_f32 v[8:9], v[10:11], v[6:7] op_sel:[0,1]
	s_delay_alu instid0(VALU_DEP_2) | instskip(NEXT) | instid1(VALU_DEP_2)
	v_pk_add_f32 v[192:193], v[192:193], v[14:15] neg_lo:[0,1] neg_hi:[0,1]
	v_pk_fma_f32 v[12:13], v[10:11], v[4:5], v[8:9] op_sel:[0,0,1] op_sel_hi:[1,1,0] neg_lo:[0,0,1] neg_hi:[0,0,1]
	v_pk_fma_f32 v[8:9], v[10:11], v[4:5], v[8:9] op_sel:[0,0,1] op_sel_hi:[1,0,0]
	s_delay_alu instid0(VALU_DEP_1) | instskip(SKIP_4) | instid1(VALU_DEP_1)
	v_mov_b32_e32 v13, v9
	ds_load_2addr_b64 v[8:11], v168 offset0:49 offset1:50
	v_pk_add_f32 v[220:221], v[220:221], v[12:13] neg_lo:[0,1] neg_hi:[0,1]
	s_wait_dscnt 0x0
	v_pk_mul_f32 v[12:13], v[8:9], v[6:7] op_sel:[0,1]
	v_pk_fma_f32 v[14:15], v[8:9], v[4:5], v[12:13] op_sel:[0,0,1] op_sel_hi:[1,1,0] neg_lo:[0,0,1] neg_hi:[0,0,1]
	v_pk_fma_f32 v[8:9], v[8:9], v[4:5], v[12:13] op_sel:[0,0,1] op_sel_hi:[1,0,0]
	v_dual_mul_f32 v12, v11, v7 :: v_dual_mov_b32 v8, v11
	s_delay_alu instid0(VALU_DEP_2) | instskip(NEXT) | instid1(VALU_DEP_2)
	v_dual_mov_b32 v15, v9 :: v_dual_mov_b32 v9, v10
	v_pk_fma_f32 v[12:13], v[10:11], v[80:81], v[12:13] op_sel_hi:[1,1,0] neg_lo:[0,0,1] neg_hi:[0,0,1]
	v_mul_f32_e32 v10, v11, v4
	s_delay_alu instid0(VALU_DEP_3) | instskip(NEXT) | instid1(VALU_DEP_2)
	v_pk_add_f32 v[214:215], v[214:215], v[14:15] neg_lo:[0,1] neg_hi:[0,1]
	v_pk_fma_f32 v[8:9], v[8:9], v[80:81], v[10:11] op_sel_hi:[1,1,0]
	s_delay_alu instid0(VALU_DEP_1) | instskip(SKIP_4) | instid1(VALU_DEP_1)
	v_mov_b32_e32 v13, v9
	ds_load_2addr_b64 v[8:11], v168 offset0:51 offset1:52
	v_pk_add_f32 v[218:219], v[218:219], v[12:13] neg_lo:[0,1] neg_hi:[0,1]
	s_wait_dscnt 0x0
	v_pk_mul_f32 v[12:13], v[8:9], v[6:7] op_sel:[0,1]
	v_pk_fma_f32 v[14:15], v[8:9], v[4:5], v[12:13] op_sel:[0,0,1] op_sel_hi:[1,1,0] neg_lo:[0,0,1] neg_hi:[0,0,1]
	v_pk_fma_f32 v[8:9], v[8:9], v[4:5], v[12:13] op_sel:[0,0,1] op_sel_hi:[1,0,0]
	s_delay_alu instid0(VALU_DEP_1) | instskip(SKIP_1) | instid1(VALU_DEP_1)
	v_mov_b32_e32 v15, v9
	v_pk_mul_f32 v[8:9], v[10:11], v[6:7] op_sel:[0,1]
	v_pk_fma_f32 v[12:13], v[10:11], v[4:5], v[8:9] op_sel:[0,0,1] op_sel_hi:[1,1,0] neg_lo:[0,0,1] neg_hi:[0,0,1]
	v_pk_fma_f32 v[8:9], v[10:11], v[4:5], v[8:9] op_sel:[0,0,1] op_sel_hi:[1,0,0]
	s_delay_alu instid0(VALU_DEP_1)
	v_mov_b32_e32 v13, v9
	ds_load_2addr_b64 v[8:11], v168 offset0:53 offset1:54
	v_pk_add_f32 v[212:213], v[212:213], v[14:15] neg_lo:[0,1] neg_hi:[0,1]
	v_pk_add_f32 v[216:217], v[216:217], v[12:13] neg_lo:[0,1] neg_hi:[0,1]
	s_wait_dscnt 0x0
	v_pk_mul_f32 v[12:13], v[8:9], v[6:7] op_sel:[0,1]
	s_delay_alu instid0(VALU_DEP_1) | instskip(SKIP_1) | instid1(VALU_DEP_1)
	v_pk_fma_f32 v[14:15], v[8:9], v[4:5], v[12:13] op_sel:[0,0,1] op_sel_hi:[1,1,0] neg_lo:[0,0,1] neg_hi:[0,0,1]
	v_pk_fma_f32 v[8:9], v[8:9], v[4:5], v[12:13] op_sel:[0,0,1] op_sel_hi:[1,0,0]
	v_mov_b32_e32 v15, v9
	v_pk_mul_f32 v[8:9], v[10:11], v[6:7] op_sel:[0,1]
	s_delay_alu instid0(VALU_DEP_1) | instskip(SKIP_1) | instid1(VALU_DEP_1)
	v_pk_fma_f32 v[12:13], v[10:11], v[4:5], v[8:9] op_sel:[0,0,1] op_sel_hi:[1,1,0] neg_lo:[0,0,1] neg_hi:[0,0,1]
	v_pk_fma_f32 v[8:9], v[10:11], v[4:5], v[8:9] op_sel:[0,0,1] op_sel_hi:[1,0,0]
	v_mov_b32_e32 v13, v9
	ds_load_b64 v[8:9], v168 offset:440
	v_pk_add_f32 v[210:211], v[210:211], v[14:15] neg_lo:[0,1] neg_hi:[0,1]
	v_pk_add_f32 v[222:223], v[222:223], v[12:13] neg_lo:[0,1] neg_hi:[0,1]
	s_wait_dscnt 0x0
	v_pk_mul_f32 v[6:7], v[8:9], v[6:7] op_sel:[0,1]
	s_delay_alu instid0(VALU_DEP_1) | instskip(SKIP_1) | instid1(VALU_DEP_1)
	v_pk_fma_f32 v[10:11], v[8:9], v[4:5], v[6:7] op_sel:[0,0,1] op_sel_hi:[1,1,0] neg_lo:[0,0,1] neg_hi:[0,0,1]
	v_pk_fma_f32 v[4:5], v[8:9], v[4:5], v[6:7] op_sel:[0,0,1] op_sel_hi:[1,0,0]
	v_mov_b32_e32 v11, v5
	s_delay_alu instid0(VALU_DEP_1)
	v_pk_add_f32 v[224:225], v[224:225], v[10:11] neg_lo:[0,1] neg_hi:[0,1]
.LBB111_154:
	s_or_b32 exec_lo, exec_lo, s1
	s_delay_alu instid0(SALU_CYCLE_1)
	s_mov_b32 s2, exec_lo
	s_wait_dscnt 0x0
	s_barrier_signal -1
	s_barrier_wait -1
	v_cmpx_eq_u32_e32 17, v166
	s_cbranch_execz .LBB111_161
; %bb.155:
	v_dual_mov_b32 v4, v78 :: v_dual_mov_b32 v5, v79
	v_dual_mov_b32 v6, v74 :: v_dual_mov_b32 v7, v75
	ds_store_b64 v167, v[76:77]
	ds_store_2addr_b64 v168, v[4:5], v[6:7] offset0:18 offset1:19
	v_dual_mov_b32 v4, v98 :: v_dual_mov_b32 v5, v99
	v_dual_mov_b32 v6, v94 :: v_dual_mov_b32 v7, v95
	ds_store_2addr_b64 v168, v[4:5], v[6:7] offset0:20 offset1:21
	v_dual_mov_b32 v4, v96 :: v_dual_mov_b32 v5, v97
	v_dual_mov_b32 v6, v92 :: v_dual_mov_b32 v7, v93
	;; [unrolled: 3-line block ×17, first 2 shown]
	ds_store_2addr_b64 v168, v[4:5], v[6:7] offset0:52 offset1:53
	v_dual_mov_b32 v4, v222 :: v_dual_mov_b32 v5, v223
	ds_store_2addr_b64 v168, v[4:5], v[224:225] offset0:54 offset1:55
	ds_load_b64 v[4:5], v167
	s_wait_dscnt 0x0
	v_cmp_neq_f32_e32 vcc_lo, 0, v4
	v_cmp_neq_f32_e64 s1, 0, v5
	s_or_b32 s1, vcc_lo, s1
	s_delay_alu instid0(SALU_CYCLE_1)
	s_and_b32 exec_lo, exec_lo, s1
	s_cbranch_execz .LBB111_161
; %bb.156:
	v_cmp_ngt_f32_e64 s1, |v4|, |v5|
                                        ; implicit-def: $vgpr6_vgpr7
	s_and_saveexec_b32 s4, s1
	s_delay_alu instid0(SALU_CYCLE_1)
	s_xor_b32 s1, exec_lo, s4
	s_cbranch_execz .LBB111_158
; %bb.157:
	v_div_scale_f32 v6, null, v5, v5, v4
	v_div_scale_f32 v9, vcc_lo, v4, v5, v4
	s_delay_alu instid0(VALU_DEP_2) | instskip(SKIP_1) | instid1(TRANS32_DEP_1)
	v_rcp_f32_e32 v7, v6
	v_nop
	v_fma_f32 v8, -v6, v7, 1.0
	s_delay_alu instid0(VALU_DEP_1) | instskip(NEXT) | instid1(VALU_DEP_1)
	v_fmac_f32_e32 v7, v8, v7
	v_mul_f32_e32 v8, v9, v7
	s_delay_alu instid0(VALU_DEP_1) | instskip(NEXT) | instid1(VALU_DEP_1)
	v_fma_f32 v10, -v6, v8, v9
	v_fmac_f32_e32 v8, v10, v7
	s_delay_alu instid0(VALU_DEP_1) | instskip(NEXT) | instid1(VALU_DEP_1)
	v_fma_f32 v6, -v6, v8, v9
	v_div_fmas_f32 v6, v6, v7, v8
	s_delay_alu instid0(VALU_DEP_1) | instskip(NEXT) | instid1(VALU_DEP_1)
	v_div_fixup_f32 v6, v6, v5, v4
	v_fmac_f32_e32 v5, v4, v6
	s_delay_alu instid0(VALU_DEP_1) | instskip(SKIP_1) | instid1(VALU_DEP_2)
	v_div_scale_f32 v4, null, v5, v5, 1.0
	v_div_scale_f32 v9, vcc_lo, 1.0, v5, 1.0
	v_rcp_f32_e32 v7, v4
	v_nop
	s_delay_alu instid0(TRANS32_DEP_1) | instskip(NEXT) | instid1(VALU_DEP_1)
	v_fma_f32 v8, -v4, v7, 1.0
	v_fmac_f32_e32 v7, v8, v7
	s_delay_alu instid0(VALU_DEP_1) | instskip(NEXT) | instid1(VALU_DEP_1)
	v_mul_f32_e32 v8, v9, v7
	v_fma_f32 v10, -v4, v8, v9
	s_delay_alu instid0(VALU_DEP_1) | instskip(NEXT) | instid1(VALU_DEP_1)
	v_fmac_f32_e32 v8, v10, v7
	v_fma_f32 v4, -v4, v8, v9
	s_delay_alu instid0(VALU_DEP_1) | instskip(NEXT) | instid1(VALU_DEP_1)
	v_div_fmas_f32 v4, v4, v7, v8
	v_div_fixup_f32 v4, v4, v5, 1.0
	s_delay_alu instid0(VALU_DEP_1)
	v_mul_f32_e32 v6, v6, v4
	v_xor_b32_e32 v7, 0x80000000, v4
                                        ; implicit-def: $vgpr4_vgpr5
.LBB111_158:
	s_and_not1_saveexec_b32 s1, s1
	s_cbranch_execz .LBB111_160
; %bb.159:
	v_div_scale_f32 v6, null, v4, v4, v5
	v_div_scale_f32 v9, vcc_lo, v5, v4, v5
	s_delay_alu instid0(VALU_DEP_2) | instskip(SKIP_1) | instid1(TRANS32_DEP_1)
	v_rcp_f32_e32 v7, v6
	v_nop
	v_fma_f32 v8, -v6, v7, 1.0
	s_delay_alu instid0(VALU_DEP_1) | instskip(NEXT) | instid1(VALU_DEP_1)
	v_fmac_f32_e32 v7, v8, v7
	v_mul_f32_e32 v8, v9, v7
	s_delay_alu instid0(VALU_DEP_1) | instskip(NEXT) | instid1(VALU_DEP_1)
	v_fma_f32 v10, -v6, v8, v9
	v_fmac_f32_e32 v8, v10, v7
	s_delay_alu instid0(VALU_DEP_1) | instskip(NEXT) | instid1(VALU_DEP_1)
	v_fma_f32 v6, -v6, v8, v9
	v_div_fmas_f32 v6, v6, v7, v8
	s_delay_alu instid0(VALU_DEP_1) | instskip(NEXT) | instid1(VALU_DEP_1)
	v_div_fixup_f32 v7, v6, v4, v5
	v_fmac_f32_e32 v4, v5, v7
	s_delay_alu instid0(VALU_DEP_1) | instskip(NEXT) | instid1(VALU_DEP_1)
	v_div_scale_f32 v5, null, v4, v4, 1.0
	v_rcp_f32_e32 v6, v5
	v_nop
	s_delay_alu instid0(TRANS32_DEP_1) | instskip(NEXT) | instid1(VALU_DEP_1)
	v_fma_f32 v8, -v5, v6, 1.0
	v_fmac_f32_e32 v6, v8, v6
	v_div_scale_f32 v8, vcc_lo, 1.0, v4, 1.0
	s_delay_alu instid0(VALU_DEP_1) | instskip(NEXT) | instid1(VALU_DEP_1)
	v_mul_f32_e32 v9, v8, v6
	v_fma_f32 v10, -v5, v9, v8
	s_delay_alu instid0(VALU_DEP_1) | instskip(NEXT) | instid1(VALU_DEP_1)
	v_fmac_f32_e32 v9, v10, v6
	v_fma_f32 v5, -v5, v9, v8
	s_delay_alu instid0(VALU_DEP_1) | instskip(NEXT) | instid1(VALU_DEP_1)
	v_div_fmas_f32 v5, v5, v6, v9
	v_div_fixup_f32 v6, v5, v4, 1.0
	s_delay_alu instid0(VALU_DEP_1)
	v_mul_f32_e64 v7, v7, -v6
.LBB111_160:
	s_or_b32 exec_lo, exec_lo, s1
	ds_store_b64 v167, v[6:7]
.LBB111_161:
	s_or_b32 exec_lo, exec_lo, s2
	s_wait_dscnt 0x0
	s_barrier_signal -1
	s_barrier_wait -1
	ds_load_b64 v[4:5], v167
	s_mov_b32 s1, exec_lo
	v_cmpx_lt_u32_e32 17, v166
	s_cbranch_execz .LBB111_163
; %bb.162:
	ds_load_2addr_b64 v[10:13], v168 offset0:18 offset1:19
	s_wait_dscnt 0x1
	v_pk_mul_f32 v[8:9], v[4:5], v[76:77] op_sel:[1,1] op_sel_hi:[0,1]
	s_delay_alu instid0(VALU_DEP_1) | instskip(SKIP_1) | instid1(VALU_DEP_1)
	v_pk_fma_f32 v[6:7], v[4:5], v[76:77], v[8:9] op_sel_hi:[1,0,1] neg_lo:[0,0,1] neg_hi:[0,0,1]
	v_pk_fma_f32 v[8:9], v[4:5], v[76:77], v[8:9] op_sel_hi:[1,0,1]
	v_dual_mov_b32 v76, v6 :: v_dual_mov_b32 v77, v9
	s_wait_dscnt 0x0
	s_delay_alu instid0(VALU_DEP_2) | instskip(NEXT) | instid1(VALU_DEP_1)
	v_pk_mul_f32 v[14:15], v[10:11], v[8:9] op_sel:[0,1]
	v_pk_fma_f32 v[18:19], v[10:11], v[6:7], v[14:15] op_sel:[0,0,1] op_sel_hi:[1,1,0] neg_lo:[0,0,1] neg_hi:[0,0,1]
	v_pk_fma_f32 v[10:11], v[10:11], v[6:7], v[14:15] op_sel:[0,0,1] op_sel_hi:[1,0,0]
	s_delay_alu instid0(VALU_DEP_1) | instskip(SKIP_1) | instid1(VALU_DEP_1)
	v_mov_b32_e32 v19, v11
	v_pk_mul_f32 v[10:11], v[12:13], v[8:9] op_sel:[0,1]
	v_pk_fma_f32 v[14:15], v[12:13], v[6:7], v[10:11] op_sel:[0,0,1] op_sel_hi:[1,1,0] neg_lo:[0,0,1] neg_hi:[0,0,1]
	v_pk_fma_f32 v[10:11], v[12:13], v[6:7], v[10:11] op_sel:[0,0,1] op_sel_hi:[1,0,0]
	s_delay_alu instid0(VALU_DEP_1)
	v_mov_b32_e32 v15, v11
	ds_load_2addr_b64 v[10:13], v168 offset0:20 offset1:21
	v_pk_add_f32 v[78:79], v[78:79], v[18:19] neg_lo:[0,1] neg_hi:[0,1]
	v_pk_add_f32 v[74:75], v[74:75], v[14:15] neg_lo:[0,1] neg_hi:[0,1]
	s_wait_dscnt 0x0
	v_pk_mul_f32 v[14:15], v[10:11], v[8:9] op_sel:[0,1]
	s_delay_alu instid0(VALU_DEP_1) | instskip(SKIP_2) | instid1(VALU_DEP_2)
	v_pk_fma_f32 v[18:19], v[10:11], v[6:7], v[14:15] op_sel:[0,0,1] op_sel_hi:[1,1,0] neg_lo:[0,0,1] neg_hi:[0,0,1]
	v_pk_fma_f32 v[10:11], v[10:11], v[6:7], v[14:15] op_sel:[0,0,1] op_sel_hi:[1,0,0]
	v_dual_mul_f32 v14, v13, v9 :: v_dual_mov_b32 v10, v13
	v_dual_mov_b32 v19, v11 :: v_dual_mov_b32 v11, v12
	s_delay_alu instid0(VALU_DEP_2) | instskip(SKIP_1) | instid1(VALU_DEP_3)
	v_pk_fma_f32 v[14:15], v[12:13], v[76:77], v[14:15] op_sel_hi:[1,1,0] neg_lo:[0,0,1] neg_hi:[0,0,1]
	v_mul_f32_e32 v12, v13, v6
	v_pk_add_f32 v[98:99], v[98:99], v[18:19] neg_lo:[0,1] neg_hi:[0,1]
	s_delay_alu instid0(VALU_DEP_2) | instskip(NEXT) | instid1(VALU_DEP_1)
	v_pk_fma_f32 v[10:11], v[10:11], v[76:77], v[12:13] op_sel_hi:[1,1,0]
	v_mov_b32_e32 v15, v11
	ds_load_2addr_b64 v[10:13], v168 offset0:22 offset1:23
	v_pk_add_f32 v[94:95], v[94:95], v[14:15] neg_lo:[0,1] neg_hi:[0,1]
	s_wait_dscnt 0x0
	v_pk_mul_f32 v[14:15], v[10:11], v[8:9] op_sel:[0,1]
	s_delay_alu instid0(VALU_DEP_1) | instskip(SKIP_1) | instid1(VALU_DEP_1)
	v_pk_fma_f32 v[18:19], v[10:11], v[6:7], v[14:15] op_sel:[0,0,1] op_sel_hi:[1,1,0] neg_lo:[0,0,1] neg_hi:[0,0,1]
	v_pk_fma_f32 v[10:11], v[10:11], v[6:7], v[14:15] op_sel:[0,0,1] op_sel_hi:[1,0,0]
	v_mov_b32_e32 v19, v11
	v_pk_mul_f32 v[10:11], v[12:13], v[8:9] op_sel:[0,1]
	s_delay_alu instid0(VALU_DEP_1) | instskip(SKIP_1) | instid1(VALU_DEP_1)
	v_pk_fma_f32 v[14:15], v[12:13], v[6:7], v[10:11] op_sel:[0,0,1] op_sel_hi:[1,1,0] neg_lo:[0,0,1] neg_hi:[0,0,1]
	v_pk_fma_f32 v[10:11], v[12:13], v[6:7], v[10:11] op_sel:[0,0,1] op_sel_hi:[1,0,0]
	v_mov_b32_e32 v15, v11
	ds_load_2addr_b64 v[10:13], v168 offset0:24 offset1:25
	v_pk_add_f32 v[96:97], v[96:97], v[18:19] neg_lo:[0,1] neg_hi:[0,1]
	v_pk_add_f32 v[92:93], v[92:93], v[14:15] neg_lo:[0,1] neg_hi:[0,1]
	s_wait_dscnt 0x0
	v_pk_mul_f32 v[14:15], v[10:11], v[8:9] op_sel:[0,1]
	s_delay_alu instid0(VALU_DEP_1) | instskip(SKIP_1) | instid1(VALU_DEP_1)
	v_pk_fma_f32 v[18:19], v[10:11], v[6:7], v[14:15] op_sel:[0,0,1] op_sel_hi:[1,1,0] neg_lo:[0,0,1] neg_hi:[0,0,1]
	v_pk_fma_f32 v[10:11], v[10:11], v[6:7], v[14:15] op_sel:[0,0,1] op_sel_hi:[1,0,0]
	v_mov_b32_e32 v19, v11
	v_pk_mul_f32 v[10:11], v[12:13], v[8:9] op_sel:[0,1]
	s_delay_alu instid0(VALU_DEP_1) | instskip(SKIP_1) | instid1(VALU_DEP_1)
	v_pk_fma_f32 v[14:15], v[12:13], v[6:7], v[10:11] op_sel:[0,0,1] op_sel_hi:[1,1,0] neg_lo:[0,0,1] neg_hi:[0,0,1]
	v_pk_fma_f32 v[10:11], v[12:13], v[6:7], v[10:11] op_sel:[0,0,1] op_sel_hi:[1,0,0]
	v_mov_b32_e32 v15, v11
	ds_load_2addr_b64 v[10:13], v168 offset0:26 offset1:27
	v_pk_add_f32 v[114:115], v[114:115], v[18:19] neg_lo:[0,1] neg_hi:[0,1]
	v_pk_add_f32 v[110:111], v[110:111], v[14:15] neg_lo:[0,1] neg_hi:[0,1]
	s_wait_dscnt 0x0
	v_dual_mul_f32 v14, v11, v9 :: v_dual_mul_f32 v18, v11, v6
	s_delay_alu instid0(VALU_DEP_1) | instskip(NEXT) | instid1(VALU_DEP_2)
	v_pk_fma_f32 v[14:15], v[10:11], v[76:77], v[14:15] op_sel_hi:[1,1,0] neg_lo:[0,0,1] neg_hi:[0,0,1]
	v_pk_fma_f32 v[10:11], v[10:11], v[76:77], v[18:19] op_sel:[1,0,0] op_sel_hi:[0,1,0]
	s_delay_alu instid0(VALU_DEP_1) | instskip(SKIP_1) | instid1(VALU_DEP_2)
	v_mov_b32_e32 v15, v11
	v_pk_mul_f32 v[10:11], v[12:13], v[8:9] op_sel:[0,1]
	v_pk_add_f32 v[112:113], v[112:113], v[14:15] neg_lo:[0,1] neg_hi:[0,1]
	s_delay_alu instid0(VALU_DEP_2) | instskip(SKIP_1) | instid1(VALU_DEP_1)
	v_pk_fma_f32 v[14:15], v[12:13], v[6:7], v[10:11] op_sel:[0,0,1] op_sel_hi:[1,1,0] neg_lo:[0,0,1] neg_hi:[0,0,1]
	v_pk_fma_f32 v[10:11], v[12:13], v[6:7], v[10:11] op_sel:[0,0,1] op_sel_hi:[1,0,0]
	v_mov_b32_e32 v15, v11
	ds_load_2addr_b64 v[10:13], v168 offset0:28 offset1:29
	v_pk_add_f32 v[108:109], v[108:109], v[14:15] neg_lo:[0,1] neg_hi:[0,1]
	s_wait_dscnt 0x0
	v_pk_mul_f32 v[14:15], v[10:11], v[8:9] op_sel:[0,1]
	s_delay_alu instid0(VALU_DEP_1) | instskip(SKIP_1) | instid1(VALU_DEP_1)
	v_pk_fma_f32 v[18:19], v[10:11], v[6:7], v[14:15] op_sel:[0,0,1] op_sel_hi:[1,1,0] neg_lo:[0,0,1] neg_hi:[0,0,1]
	v_pk_fma_f32 v[10:11], v[10:11], v[6:7], v[14:15] op_sel:[0,0,1] op_sel_hi:[1,0,0]
	v_mov_b32_e32 v19, v11
	v_pk_mul_f32 v[10:11], v[12:13], v[8:9] op_sel:[0,1]
	s_delay_alu instid0(VALU_DEP_2) | instskip(NEXT) | instid1(VALU_DEP_2)
	v_pk_add_f32 v[130:131], v[130:131], v[18:19] neg_lo:[0,1] neg_hi:[0,1]
	v_pk_fma_f32 v[14:15], v[12:13], v[6:7], v[10:11] op_sel:[0,0,1] op_sel_hi:[1,1,0] neg_lo:[0,0,1] neg_hi:[0,0,1]
	v_pk_fma_f32 v[10:11], v[12:13], v[6:7], v[10:11] op_sel:[0,0,1] op_sel_hi:[1,0,0]
	s_delay_alu instid0(VALU_DEP_1) | instskip(SKIP_4) | instid1(VALU_DEP_1)
	v_mov_b32_e32 v15, v11
	ds_load_2addr_b64 v[10:13], v168 offset0:30 offset1:31
	v_pk_add_f32 v[126:127], v[126:127], v[14:15] neg_lo:[0,1] neg_hi:[0,1]
	s_wait_dscnt 0x0
	v_pk_mul_f32 v[14:15], v[10:11], v[8:9] op_sel:[0,1]
	v_pk_fma_f32 v[18:19], v[10:11], v[6:7], v[14:15] op_sel:[0,0,1] op_sel_hi:[1,1,0] neg_lo:[0,0,1] neg_hi:[0,0,1]
	v_pk_fma_f32 v[10:11], v[10:11], v[6:7], v[14:15] op_sel:[0,0,1] op_sel_hi:[1,0,0]
	v_dual_mul_f32 v14, v13, v9 :: v_dual_mov_b32 v10, v13
	s_delay_alu instid0(VALU_DEP_2) | instskip(NEXT) | instid1(VALU_DEP_2)
	v_dual_mov_b32 v19, v11 :: v_dual_mov_b32 v11, v12
	v_pk_fma_f32 v[14:15], v[12:13], v[76:77], v[14:15] op_sel_hi:[1,1,0] neg_lo:[0,0,1] neg_hi:[0,0,1]
	v_mul_f32_e32 v12, v13, v6
	s_delay_alu instid0(VALU_DEP_3) | instskip(NEXT) | instid1(VALU_DEP_2)
	v_pk_add_f32 v[128:129], v[128:129], v[18:19] neg_lo:[0,1] neg_hi:[0,1]
	v_pk_fma_f32 v[10:11], v[10:11], v[76:77], v[12:13] op_sel_hi:[1,1,0]
	s_delay_alu instid0(VALU_DEP_1) | instskip(SKIP_4) | instid1(VALU_DEP_1)
	v_mov_b32_e32 v15, v11
	ds_load_2addr_b64 v[10:13], v168 offset0:32 offset1:33
	v_pk_add_f32 v[124:125], v[124:125], v[14:15] neg_lo:[0,1] neg_hi:[0,1]
	s_wait_dscnt 0x0
	v_pk_mul_f32 v[14:15], v[10:11], v[8:9] op_sel:[0,1]
	v_pk_fma_f32 v[18:19], v[10:11], v[6:7], v[14:15] op_sel:[0,0,1] op_sel_hi:[1,1,0] neg_lo:[0,0,1] neg_hi:[0,0,1]
	v_pk_fma_f32 v[10:11], v[10:11], v[6:7], v[14:15] op_sel:[0,0,1] op_sel_hi:[1,0,0]
	s_delay_alu instid0(VALU_DEP_1) | instskip(SKIP_1) | instid1(VALU_DEP_1)
	v_mov_b32_e32 v19, v11
	v_pk_mul_f32 v[10:11], v[12:13], v[8:9] op_sel:[0,1]
	v_pk_fma_f32 v[14:15], v[12:13], v[6:7], v[10:11] op_sel:[0,0,1] op_sel_hi:[1,1,0] neg_lo:[0,0,1] neg_hi:[0,0,1]
	v_pk_fma_f32 v[10:11], v[12:13], v[6:7], v[10:11] op_sel:[0,0,1] op_sel_hi:[1,0,0]
	s_delay_alu instid0(VALU_DEP_1)
	v_mov_b32_e32 v15, v11
	ds_load_2addr_b64 v[10:13], v168 offset0:34 offset1:35
	v_pk_add_f32 v[146:147], v[146:147], v[18:19] neg_lo:[0,1] neg_hi:[0,1]
	v_pk_add_f32 v[142:143], v[142:143], v[14:15] neg_lo:[0,1] neg_hi:[0,1]
	s_wait_dscnt 0x0
	v_pk_mul_f32 v[14:15], v[10:11], v[8:9] op_sel:[0,1]
	s_delay_alu instid0(VALU_DEP_1) | instskip(SKIP_1) | instid1(VALU_DEP_1)
	v_pk_fma_f32 v[18:19], v[10:11], v[6:7], v[14:15] op_sel:[0,0,1] op_sel_hi:[1,1,0] neg_lo:[0,0,1] neg_hi:[0,0,1]
	v_pk_fma_f32 v[10:11], v[10:11], v[6:7], v[14:15] op_sel:[0,0,1] op_sel_hi:[1,0,0]
	v_mov_b32_e32 v19, v11
	v_pk_mul_f32 v[10:11], v[12:13], v[8:9] op_sel:[0,1]
	s_delay_alu instid0(VALU_DEP_1) | instskip(SKIP_1) | instid1(VALU_DEP_1)
	v_pk_fma_f32 v[14:15], v[12:13], v[6:7], v[10:11] op_sel:[0,0,1] op_sel_hi:[1,1,0] neg_lo:[0,0,1] neg_hi:[0,0,1]
	v_pk_fma_f32 v[10:11], v[12:13], v[6:7], v[10:11] op_sel:[0,0,1] op_sel_hi:[1,0,0]
	v_mov_b32_e32 v15, v11
	ds_load_2addr_b64 v[10:13], v168 offset0:36 offset1:37
	v_pk_add_f32 v[144:145], v[144:145], v[18:19] neg_lo:[0,1] neg_hi:[0,1]
	v_pk_add_f32 v[140:141], v[140:141], v[14:15] neg_lo:[0,1] neg_hi:[0,1]
	s_wait_dscnt 0x0
	v_dual_mul_f32 v14, v11, v9 :: v_dual_mul_f32 v18, v11, v6
	s_delay_alu instid0(VALU_DEP_1) | instskip(NEXT) | instid1(VALU_DEP_2)
	v_pk_fma_f32 v[14:15], v[10:11], v[76:77], v[14:15] op_sel_hi:[1,1,0] neg_lo:[0,0,1] neg_hi:[0,0,1]
	v_pk_fma_f32 v[10:11], v[10:11], v[76:77], v[18:19] op_sel:[1,0,0] op_sel_hi:[0,1,0]
	s_delay_alu instid0(VALU_DEP_1) | instskip(SKIP_1) | instid1(VALU_DEP_2)
	v_mov_b32_e32 v15, v11
	v_pk_mul_f32 v[10:11], v[12:13], v[8:9] op_sel:[0,1]
	v_pk_add_f32 v[162:163], v[162:163], v[14:15] neg_lo:[0,1] neg_hi:[0,1]
	s_delay_alu instid0(VALU_DEP_2) | instskip(SKIP_1) | instid1(VALU_DEP_1)
	v_pk_fma_f32 v[14:15], v[12:13], v[6:7], v[10:11] op_sel:[0,0,1] op_sel_hi:[1,1,0] neg_lo:[0,0,1] neg_hi:[0,0,1]
	v_pk_fma_f32 v[10:11], v[12:13], v[6:7], v[10:11] op_sel:[0,0,1] op_sel_hi:[1,0,0]
	v_mov_b32_e32 v15, v11
	ds_load_2addr_b64 v[10:13], v168 offset0:38 offset1:39
	v_pk_add_f32 v[158:159], v[158:159], v[14:15] neg_lo:[0,1] neg_hi:[0,1]
	s_wait_dscnt 0x0
	v_pk_mul_f32 v[14:15], v[10:11], v[8:9] op_sel:[0,1]
	s_delay_alu instid0(VALU_DEP_1) | instskip(SKIP_1) | instid1(VALU_DEP_1)
	v_pk_fma_f32 v[18:19], v[10:11], v[6:7], v[14:15] op_sel:[0,0,1] op_sel_hi:[1,1,0] neg_lo:[0,0,1] neg_hi:[0,0,1]
	v_pk_fma_f32 v[10:11], v[10:11], v[6:7], v[14:15] op_sel:[0,0,1] op_sel_hi:[1,0,0]
	v_mov_b32_e32 v19, v11
	v_pk_mul_f32 v[10:11], v[12:13], v[8:9] op_sel:[0,1]
	s_delay_alu instid0(VALU_DEP_2) | instskip(NEXT) | instid1(VALU_DEP_2)
	v_pk_add_f32 v[160:161], v[160:161], v[18:19] neg_lo:[0,1] neg_hi:[0,1]
	v_pk_fma_f32 v[14:15], v[12:13], v[6:7], v[10:11] op_sel:[0,0,1] op_sel_hi:[1,1,0] neg_lo:[0,0,1] neg_hi:[0,0,1]
	v_pk_fma_f32 v[10:11], v[12:13], v[6:7], v[10:11] op_sel:[0,0,1] op_sel_hi:[1,0,0]
	s_delay_alu instid0(VALU_DEP_1) | instskip(SKIP_4) | instid1(VALU_DEP_1)
	v_mov_b32_e32 v15, v11
	ds_load_2addr_b64 v[10:13], v168 offset0:40 offset1:41
	v_pk_add_f32 v[156:157], v[156:157], v[14:15] neg_lo:[0,1] neg_hi:[0,1]
	s_wait_dscnt 0x0
	v_pk_mul_f32 v[14:15], v[10:11], v[8:9] op_sel:[0,1]
	v_pk_fma_f32 v[18:19], v[10:11], v[6:7], v[14:15] op_sel:[0,0,1] op_sel_hi:[1,1,0] neg_lo:[0,0,1] neg_hi:[0,0,1]
	v_pk_fma_f32 v[10:11], v[10:11], v[6:7], v[14:15] op_sel:[0,0,1] op_sel_hi:[1,0,0]
	v_dual_mul_f32 v14, v13, v9 :: v_dual_mov_b32 v10, v13
	s_delay_alu instid0(VALU_DEP_2) | instskip(NEXT) | instid1(VALU_DEP_2)
	v_dual_mov_b32 v19, v11 :: v_dual_mov_b32 v11, v12
	v_pk_fma_f32 v[14:15], v[12:13], v[76:77], v[14:15] op_sel_hi:[1,1,0] neg_lo:[0,0,1] neg_hi:[0,0,1]
	v_mul_f32_e32 v12, v13, v6
	s_delay_alu instid0(VALU_DEP_3) | instskip(NEXT) | instid1(VALU_DEP_2)
	v_pk_add_f32 v[178:179], v[178:179], v[18:19] neg_lo:[0,1] neg_hi:[0,1]
	v_pk_fma_f32 v[10:11], v[10:11], v[76:77], v[12:13] op_sel_hi:[1,1,0]
	s_delay_alu instid0(VALU_DEP_1) | instskip(SKIP_4) | instid1(VALU_DEP_1)
	v_mov_b32_e32 v15, v11
	ds_load_2addr_b64 v[10:13], v168 offset0:42 offset1:43
	v_pk_add_f32 v[174:175], v[174:175], v[14:15] neg_lo:[0,1] neg_hi:[0,1]
	s_wait_dscnt 0x0
	v_pk_mul_f32 v[14:15], v[10:11], v[8:9] op_sel:[0,1]
	v_pk_fma_f32 v[18:19], v[10:11], v[6:7], v[14:15] op_sel:[0,0,1] op_sel_hi:[1,1,0] neg_lo:[0,0,1] neg_hi:[0,0,1]
	v_pk_fma_f32 v[10:11], v[10:11], v[6:7], v[14:15] op_sel:[0,0,1] op_sel_hi:[1,0,0]
	s_delay_alu instid0(VALU_DEP_1) | instskip(SKIP_1) | instid1(VALU_DEP_1)
	v_mov_b32_e32 v19, v11
	v_pk_mul_f32 v[10:11], v[12:13], v[8:9] op_sel:[0,1]
	v_pk_fma_f32 v[14:15], v[12:13], v[6:7], v[10:11] op_sel:[0,0,1] op_sel_hi:[1,1,0] neg_lo:[0,0,1] neg_hi:[0,0,1]
	v_pk_fma_f32 v[10:11], v[12:13], v[6:7], v[10:11] op_sel:[0,0,1] op_sel_hi:[1,0,0]
	s_delay_alu instid0(VALU_DEP_1)
	v_mov_b32_e32 v15, v11
	ds_load_2addr_b64 v[10:13], v168 offset0:44 offset1:45
	v_pk_add_f32 v[176:177], v[176:177], v[18:19] neg_lo:[0,1] neg_hi:[0,1]
	v_pk_add_f32 v[172:173], v[172:173], v[14:15] neg_lo:[0,1] neg_hi:[0,1]
	s_wait_dscnt 0x0
	v_pk_mul_f32 v[14:15], v[10:11], v[8:9] op_sel:[0,1]
	s_delay_alu instid0(VALU_DEP_1) | instskip(SKIP_1) | instid1(VALU_DEP_1)
	v_pk_fma_f32 v[18:19], v[10:11], v[6:7], v[14:15] op_sel:[0,0,1] op_sel_hi:[1,1,0] neg_lo:[0,0,1] neg_hi:[0,0,1]
	v_pk_fma_f32 v[10:11], v[10:11], v[6:7], v[14:15] op_sel:[0,0,1] op_sel_hi:[1,0,0]
	v_mov_b32_e32 v19, v11
	v_pk_mul_f32 v[10:11], v[12:13], v[8:9] op_sel:[0,1]
	s_delay_alu instid0(VALU_DEP_1) | instskip(SKIP_1) | instid1(VALU_DEP_1)
	v_pk_fma_f32 v[14:15], v[12:13], v[6:7], v[10:11] op_sel:[0,0,1] op_sel_hi:[1,1,0] neg_lo:[0,0,1] neg_hi:[0,0,1]
	v_pk_fma_f32 v[10:11], v[12:13], v[6:7], v[10:11] op_sel:[0,0,1] op_sel_hi:[1,0,0]
	v_mov_b32_e32 v15, v11
	ds_load_2addr_b64 v[10:13], v168 offset0:46 offset1:47
	v_pk_add_f32 v[198:199], v[198:199], v[18:19] neg_lo:[0,1] neg_hi:[0,1]
	v_pk_add_f32 v[194:195], v[194:195], v[14:15] neg_lo:[0,1] neg_hi:[0,1]
	s_wait_dscnt 0x0
	v_dual_mul_f32 v14, v11, v9 :: v_dual_mul_f32 v18, v11, v6
	s_delay_alu instid0(VALU_DEP_1) | instskip(NEXT) | instid1(VALU_DEP_2)
	v_pk_fma_f32 v[14:15], v[10:11], v[76:77], v[14:15] op_sel_hi:[1,1,0] neg_lo:[0,0,1] neg_hi:[0,0,1]
	v_pk_fma_f32 v[10:11], v[10:11], v[76:77], v[18:19] op_sel:[1,0,0] op_sel_hi:[0,1,0]
	s_delay_alu instid0(VALU_DEP_1) | instskip(SKIP_1) | instid1(VALU_DEP_2)
	v_mov_b32_e32 v15, v11
	v_pk_mul_f32 v[10:11], v[12:13], v[8:9] op_sel:[0,1]
	v_pk_add_f32 v[196:197], v[196:197], v[14:15] neg_lo:[0,1] neg_hi:[0,1]
	s_delay_alu instid0(VALU_DEP_2) | instskip(SKIP_1) | instid1(VALU_DEP_1)
	v_pk_fma_f32 v[14:15], v[12:13], v[6:7], v[10:11] op_sel:[0,0,1] op_sel_hi:[1,1,0] neg_lo:[0,0,1] neg_hi:[0,0,1]
	v_pk_fma_f32 v[10:11], v[12:13], v[6:7], v[10:11] op_sel:[0,0,1] op_sel_hi:[1,0,0]
	v_mov_b32_e32 v15, v11
	ds_load_2addr_b64 v[10:13], v168 offset0:48 offset1:49
	v_pk_add_f32 v[192:193], v[192:193], v[14:15] neg_lo:[0,1] neg_hi:[0,1]
	s_wait_dscnt 0x0
	v_pk_mul_f32 v[14:15], v[10:11], v[8:9] op_sel:[0,1]
	s_delay_alu instid0(VALU_DEP_1) | instskip(SKIP_1) | instid1(VALU_DEP_1)
	v_pk_fma_f32 v[18:19], v[10:11], v[6:7], v[14:15] op_sel:[0,0,1] op_sel_hi:[1,1,0] neg_lo:[0,0,1] neg_hi:[0,0,1]
	v_pk_fma_f32 v[10:11], v[10:11], v[6:7], v[14:15] op_sel:[0,0,1] op_sel_hi:[1,0,0]
	v_mov_b32_e32 v19, v11
	v_pk_mul_f32 v[10:11], v[12:13], v[8:9] op_sel:[0,1]
	s_delay_alu instid0(VALU_DEP_2) | instskip(NEXT) | instid1(VALU_DEP_2)
	v_pk_add_f32 v[220:221], v[220:221], v[18:19] neg_lo:[0,1] neg_hi:[0,1]
	v_pk_fma_f32 v[14:15], v[12:13], v[6:7], v[10:11] op_sel:[0,0,1] op_sel_hi:[1,1,0] neg_lo:[0,0,1] neg_hi:[0,0,1]
	v_pk_fma_f32 v[10:11], v[12:13], v[6:7], v[10:11] op_sel:[0,0,1] op_sel_hi:[1,0,0]
	s_delay_alu instid0(VALU_DEP_1) | instskip(SKIP_4) | instid1(VALU_DEP_1)
	v_mov_b32_e32 v15, v11
	ds_load_2addr_b64 v[10:13], v168 offset0:50 offset1:51
	v_pk_add_f32 v[214:215], v[214:215], v[14:15] neg_lo:[0,1] neg_hi:[0,1]
	s_wait_dscnt 0x0
	v_pk_mul_f32 v[14:15], v[10:11], v[8:9] op_sel:[0,1]
	v_pk_fma_f32 v[18:19], v[10:11], v[6:7], v[14:15] op_sel:[0,0,1] op_sel_hi:[1,1,0] neg_lo:[0,0,1] neg_hi:[0,0,1]
	v_pk_fma_f32 v[10:11], v[10:11], v[6:7], v[14:15] op_sel:[0,0,1] op_sel_hi:[1,0,0]
	v_dual_mul_f32 v14, v13, v9 :: v_dual_mov_b32 v10, v13
	s_delay_alu instid0(VALU_DEP_2) | instskip(NEXT) | instid1(VALU_DEP_2)
	v_dual_mov_b32 v19, v11 :: v_dual_mov_b32 v11, v12
	v_pk_fma_f32 v[14:15], v[12:13], v[76:77], v[14:15] op_sel_hi:[1,1,0] neg_lo:[0,0,1] neg_hi:[0,0,1]
	v_mul_f32_e32 v12, v13, v6
	s_delay_alu instid0(VALU_DEP_3) | instskip(NEXT) | instid1(VALU_DEP_2)
	v_pk_add_f32 v[218:219], v[218:219], v[18:19] neg_lo:[0,1] neg_hi:[0,1]
	v_pk_fma_f32 v[10:11], v[10:11], v[76:77], v[12:13] op_sel_hi:[1,1,0]
	s_delay_alu instid0(VALU_DEP_1) | instskip(SKIP_4) | instid1(VALU_DEP_1)
	v_mov_b32_e32 v15, v11
	ds_load_2addr_b64 v[10:13], v168 offset0:52 offset1:53
	v_pk_add_f32 v[212:213], v[212:213], v[14:15] neg_lo:[0,1] neg_hi:[0,1]
	s_wait_dscnt 0x0
	v_pk_mul_f32 v[14:15], v[10:11], v[8:9] op_sel:[0,1]
	v_pk_fma_f32 v[18:19], v[10:11], v[6:7], v[14:15] op_sel:[0,0,1] op_sel_hi:[1,1,0] neg_lo:[0,0,1] neg_hi:[0,0,1]
	v_pk_fma_f32 v[10:11], v[10:11], v[6:7], v[14:15] op_sel:[0,0,1] op_sel_hi:[1,0,0]
	s_delay_alu instid0(VALU_DEP_1) | instskip(SKIP_1) | instid1(VALU_DEP_1)
	v_mov_b32_e32 v19, v11
	v_pk_mul_f32 v[10:11], v[12:13], v[8:9] op_sel:[0,1]
	v_pk_fma_f32 v[14:15], v[12:13], v[6:7], v[10:11] op_sel:[0,0,1] op_sel_hi:[1,1,0] neg_lo:[0,0,1] neg_hi:[0,0,1]
	v_pk_fma_f32 v[10:11], v[12:13], v[6:7], v[10:11] op_sel:[0,0,1] op_sel_hi:[1,0,0]
	s_delay_alu instid0(VALU_DEP_1)
	v_mov_b32_e32 v15, v11
	ds_load_2addr_b64 v[10:13], v168 offset0:54 offset1:55
	v_pk_add_f32 v[216:217], v[216:217], v[18:19] neg_lo:[0,1] neg_hi:[0,1]
	v_pk_add_f32 v[210:211], v[210:211], v[14:15] neg_lo:[0,1] neg_hi:[0,1]
	s_wait_dscnt 0x0
	v_pk_mul_f32 v[14:15], v[10:11], v[8:9] op_sel:[0,1]
	v_pk_mul_f32 v[8:9], v[12:13], v[8:9] op_sel:[0,1]
	s_delay_alu instid0(VALU_DEP_2) | instskip(SKIP_1) | instid1(VALU_DEP_1)
	v_pk_fma_f32 v[18:19], v[10:11], v[6:7], v[14:15] op_sel:[0,0,1] op_sel_hi:[1,1,0] neg_lo:[0,0,1] neg_hi:[0,0,1]
	v_pk_fma_f32 v[10:11], v[10:11], v[6:7], v[14:15] op_sel:[0,0,1] op_sel_hi:[1,0,0]
	v_mov_b32_e32 v19, v11
	s_delay_alu instid0(VALU_DEP_4) | instskip(SKIP_1) | instid1(VALU_DEP_1)
	v_pk_fma_f32 v[10:11], v[12:13], v[6:7], v[8:9] op_sel:[0,0,1] op_sel_hi:[1,1,0] neg_lo:[0,0,1] neg_hi:[0,0,1]
	v_pk_fma_f32 v[6:7], v[12:13], v[6:7], v[8:9] op_sel:[0,0,1] op_sel_hi:[1,0,0]
	v_mov_b32_e32 v11, v7
	s_delay_alu instid0(VALU_DEP_4) | instskip(NEXT) | instid1(VALU_DEP_2)
	v_pk_add_f32 v[222:223], v[222:223], v[18:19] neg_lo:[0,1] neg_hi:[0,1]
	v_pk_add_f32 v[224:225], v[224:225], v[10:11] neg_lo:[0,1] neg_hi:[0,1]
.LBB111_163:
	s_or_b32 exec_lo, exec_lo, s1
	s_delay_alu instid0(SALU_CYCLE_1)
	s_mov_b32 s2, exec_lo
	s_wait_dscnt 0x0
	s_barrier_signal -1
	s_barrier_wait -1
	v_cmpx_eq_u32_e32 18, v166
	s_cbranch_execz .LBB111_170
; %bb.164:
	ds_store_b64 v167, v[78:79]
	ds_store_2addr_b64 v168, v[74:75], v[98:99] offset0:19 offset1:20
	ds_store_2addr_b64 v168, v[94:95], v[96:97] offset0:21 offset1:22
	;; [unrolled: 1-line block ×18, first 2 shown]
	ds_store_b64 v168, v[224:225] offset:440
	ds_load_b64 v[6:7], v167
	s_wait_dscnt 0x0
	v_cmp_neq_f32_e32 vcc_lo, 0, v6
	v_cmp_neq_f32_e64 s1, 0, v7
	s_or_b32 s1, vcc_lo, s1
	s_delay_alu instid0(SALU_CYCLE_1)
	s_and_b32 exec_lo, exec_lo, s1
	s_cbranch_execz .LBB111_170
; %bb.165:
	v_cmp_ngt_f32_e64 s1, |v6|, |v7|
                                        ; implicit-def: $vgpr8_vgpr9
	s_and_saveexec_b32 s4, s1
	s_delay_alu instid0(SALU_CYCLE_1)
	s_xor_b32 s1, exec_lo, s4
	s_cbranch_execz .LBB111_167
; %bb.166:
	v_div_scale_f32 v8, null, v7, v7, v6
	v_div_scale_f32 v11, vcc_lo, v6, v7, v6
	s_delay_alu instid0(VALU_DEP_2) | instskip(SKIP_1) | instid1(TRANS32_DEP_1)
	v_rcp_f32_e32 v9, v8
	v_nop
	v_fma_f32 v10, -v8, v9, 1.0
	s_delay_alu instid0(VALU_DEP_1) | instskip(NEXT) | instid1(VALU_DEP_1)
	v_fmac_f32_e32 v9, v10, v9
	v_mul_f32_e32 v10, v11, v9
	s_delay_alu instid0(VALU_DEP_1) | instskip(NEXT) | instid1(VALU_DEP_1)
	v_fma_f32 v12, -v8, v10, v11
	v_fmac_f32_e32 v10, v12, v9
	s_delay_alu instid0(VALU_DEP_1) | instskip(NEXT) | instid1(VALU_DEP_1)
	v_fma_f32 v8, -v8, v10, v11
	v_div_fmas_f32 v8, v8, v9, v10
	s_delay_alu instid0(VALU_DEP_1) | instskip(NEXT) | instid1(VALU_DEP_1)
	v_div_fixup_f32 v8, v8, v7, v6
	v_fmac_f32_e32 v7, v6, v8
	s_delay_alu instid0(VALU_DEP_1) | instskip(SKIP_1) | instid1(VALU_DEP_2)
	v_div_scale_f32 v6, null, v7, v7, 1.0
	v_div_scale_f32 v11, vcc_lo, 1.0, v7, 1.0
	v_rcp_f32_e32 v9, v6
	v_nop
	s_delay_alu instid0(TRANS32_DEP_1) | instskip(NEXT) | instid1(VALU_DEP_1)
	v_fma_f32 v10, -v6, v9, 1.0
	v_fmac_f32_e32 v9, v10, v9
	s_delay_alu instid0(VALU_DEP_1) | instskip(NEXT) | instid1(VALU_DEP_1)
	v_mul_f32_e32 v10, v11, v9
	v_fma_f32 v12, -v6, v10, v11
	s_delay_alu instid0(VALU_DEP_1) | instskip(NEXT) | instid1(VALU_DEP_1)
	v_fmac_f32_e32 v10, v12, v9
	v_fma_f32 v6, -v6, v10, v11
	s_delay_alu instid0(VALU_DEP_1) | instskip(NEXT) | instid1(VALU_DEP_1)
	v_div_fmas_f32 v6, v6, v9, v10
	v_div_fixup_f32 v6, v6, v7, 1.0
	s_delay_alu instid0(VALU_DEP_1)
	v_mul_f32_e32 v8, v8, v6
	v_xor_b32_e32 v9, 0x80000000, v6
                                        ; implicit-def: $vgpr6_vgpr7
.LBB111_167:
	s_and_not1_saveexec_b32 s1, s1
	s_cbranch_execz .LBB111_169
; %bb.168:
	v_div_scale_f32 v8, null, v6, v6, v7
	v_div_scale_f32 v11, vcc_lo, v7, v6, v7
	s_delay_alu instid0(VALU_DEP_2) | instskip(SKIP_1) | instid1(TRANS32_DEP_1)
	v_rcp_f32_e32 v9, v8
	v_nop
	v_fma_f32 v10, -v8, v9, 1.0
	s_delay_alu instid0(VALU_DEP_1) | instskip(NEXT) | instid1(VALU_DEP_1)
	v_fmac_f32_e32 v9, v10, v9
	v_mul_f32_e32 v10, v11, v9
	s_delay_alu instid0(VALU_DEP_1) | instskip(NEXT) | instid1(VALU_DEP_1)
	v_fma_f32 v12, -v8, v10, v11
	v_fmac_f32_e32 v10, v12, v9
	s_delay_alu instid0(VALU_DEP_1) | instskip(NEXT) | instid1(VALU_DEP_1)
	v_fma_f32 v8, -v8, v10, v11
	v_div_fmas_f32 v8, v8, v9, v10
	s_delay_alu instid0(VALU_DEP_1) | instskip(NEXT) | instid1(VALU_DEP_1)
	v_div_fixup_f32 v9, v8, v6, v7
	v_fmac_f32_e32 v6, v7, v9
	s_delay_alu instid0(VALU_DEP_1) | instskip(NEXT) | instid1(VALU_DEP_1)
	v_div_scale_f32 v7, null, v6, v6, 1.0
	v_rcp_f32_e32 v8, v7
	v_nop
	s_delay_alu instid0(TRANS32_DEP_1) | instskip(NEXT) | instid1(VALU_DEP_1)
	v_fma_f32 v10, -v7, v8, 1.0
	v_fmac_f32_e32 v8, v10, v8
	v_div_scale_f32 v10, vcc_lo, 1.0, v6, 1.0
	s_delay_alu instid0(VALU_DEP_1) | instskip(NEXT) | instid1(VALU_DEP_1)
	v_mul_f32_e32 v11, v10, v8
	v_fma_f32 v12, -v7, v11, v10
	s_delay_alu instid0(VALU_DEP_1) | instskip(NEXT) | instid1(VALU_DEP_1)
	v_fmac_f32_e32 v11, v12, v8
	v_fma_f32 v7, -v7, v11, v10
	s_delay_alu instid0(VALU_DEP_1) | instskip(NEXT) | instid1(VALU_DEP_1)
	v_div_fmas_f32 v7, v7, v8, v11
	v_div_fixup_f32 v8, v7, v6, 1.0
	s_delay_alu instid0(VALU_DEP_1)
	v_mul_f32_e64 v9, v9, -v8
.LBB111_169:
	s_or_b32 exec_lo, exec_lo, s1
	ds_store_b64 v167, v[8:9]
.LBB111_170:
	s_or_b32 exec_lo, exec_lo, s2
	s_wait_dscnt 0x0
	s_barrier_signal -1
	s_barrier_wait -1
	ds_load_b64 v[6:7], v167
	s_mov_b32 s1, exec_lo
	v_cmpx_lt_u32_e32 18, v166
	s_cbranch_execz .LBB111_172
; %bb.171:
	ds_load_2addr_b64 v[12:15], v168 offset0:19 offset1:20
	s_wait_dscnt 0x1
	v_pk_mul_f32 v[10:11], v[6:7], v[78:79] op_sel:[1,1] op_sel_hi:[0,1]
	s_delay_alu instid0(VALU_DEP_1) | instskip(SKIP_1) | instid1(VALU_DEP_1)
	v_pk_fma_f32 v[8:9], v[6:7], v[78:79], v[10:11] op_sel_hi:[1,0,1] neg_lo:[0,0,1] neg_hi:[0,0,1]
	v_pk_fma_f32 v[10:11], v[6:7], v[78:79], v[10:11] op_sel_hi:[1,0,1]
	v_dual_mov_b32 v78, v8 :: v_dual_mov_b32 v79, v11
	s_wait_dscnt 0x0
	s_delay_alu instid0(VALU_DEP_2) | instskip(NEXT) | instid1(VALU_DEP_1)
	v_pk_mul_f32 v[18:19], v[12:13], v[10:11] op_sel:[0,1]
	v_pk_fma_f32 v[28:29], v[12:13], v[8:9], v[18:19] op_sel:[0,0,1] op_sel_hi:[1,1,0] neg_lo:[0,0,1] neg_hi:[0,0,1]
	v_pk_fma_f32 v[12:13], v[12:13], v[8:9], v[18:19] op_sel:[0,0,1] op_sel_hi:[1,0,0]
	s_delay_alu instid0(VALU_DEP_1) | instskip(SKIP_1) | instid1(VALU_DEP_1)
	v_mov_b32_e32 v29, v13
	v_pk_mul_f32 v[12:13], v[14:15], v[10:11] op_sel:[0,1]
	v_pk_fma_f32 v[18:19], v[14:15], v[8:9], v[12:13] op_sel:[0,0,1] op_sel_hi:[1,1,0] neg_lo:[0,0,1] neg_hi:[0,0,1]
	v_pk_fma_f32 v[12:13], v[14:15], v[8:9], v[12:13] op_sel:[0,0,1] op_sel_hi:[1,0,0]
	s_delay_alu instid0(VALU_DEP_1)
	v_mov_b32_e32 v19, v13
	ds_load_2addr_b64 v[12:15], v168 offset0:21 offset1:22
	v_pk_add_f32 v[74:75], v[74:75], v[28:29] neg_lo:[0,1] neg_hi:[0,1]
	v_pk_add_f32 v[98:99], v[98:99], v[18:19] neg_lo:[0,1] neg_hi:[0,1]
	s_wait_dscnt 0x0
	v_pk_mul_f32 v[18:19], v[12:13], v[10:11] op_sel:[0,1]
	s_delay_alu instid0(VALU_DEP_1) | instskip(SKIP_2) | instid1(VALU_DEP_2)
	v_pk_fma_f32 v[28:29], v[12:13], v[8:9], v[18:19] op_sel:[0,0,1] op_sel_hi:[1,1,0] neg_lo:[0,0,1] neg_hi:[0,0,1]
	v_pk_fma_f32 v[12:13], v[12:13], v[8:9], v[18:19] op_sel:[0,0,1] op_sel_hi:[1,0,0]
	v_dual_mul_f32 v18, v15, v11 :: v_dual_mov_b32 v12, v15
	v_dual_mov_b32 v29, v13 :: v_dual_mov_b32 v13, v14
	s_delay_alu instid0(VALU_DEP_2) | instskip(SKIP_1) | instid1(VALU_DEP_3)
	v_pk_fma_f32 v[18:19], v[14:15], v[78:79], v[18:19] op_sel_hi:[1,1,0] neg_lo:[0,0,1] neg_hi:[0,0,1]
	v_mul_f32_e32 v14, v15, v8
	v_pk_add_f32 v[94:95], v[94:95], v[28:29] neg_lo:[0,1] neg_hi:[0,1]
	s_delay_alu instid0(VALU_DEP_2) | instskip(NEXT) | instid1(VALU_DEP_1)
	v_pk_fma_f32 v[12:13], v[12:13], v[78:79], v[14:15] op_sel_hi:[1,1,0]
	v_mov_b32_e32 v19, v13
	ds_load_2addr_b64 v[12:15], v168 offset0:23 offset1:24
	v_pk_add_f32 v[96:97], v[96:97], v[18:19] neg_lo:[0,1] neg_hi:[0,1]
	s_wait_dscnt 0x0
	v_pk_mul_f32 v[18:19], v[12:13], v[10:11] op_sel:[0,1]
	s_delay_alu instid0(VALU_DEP_1) | instskip(SKIP_1) | instid1(VALU_DEP_1)
	v_pk_fma_f32 v[28:29], v[12:13], v[8:9], v[18:19] op_sel:[0,0,1] op_sel_hi:[1,1,0] neg_lo:[0,0,1] neg_hi:[0,0,1]
	v_pk_fma_f32 v[12:13], v[12:13], v[8:9], v[18:19] op_sel:[0,0,1] op_sel_hi:[1,0,0]
	v_mov_b32_e32 v29, v13
	v_pk_mul_f32 v[12:13], v[14:15], v[10:11] op_sel:[0,1]
	s_delay_alu instid0(VALU_DEP_1) | instskip(SKIP_1) | instid1(VALU_DEP_1)
	v_pk_fma_f32 v[18:19], v[14:15], v[8:9], v[12:13] op_sel:[0,0,1] op_sel_hi:[1,1,0] neg_lo:[0,0,1] neg_hi:[0,0,1]
	v_pk_fma_f32 v[12:13], v[14:15], v[8:9], v[12:13] op_sel:[0,0,1] op_sel_hi:[1,0,0]
	v_mov_b32_e32 v19, v13
	ds_load_2addr_b64 v[12:15], v168 offset0:25 offset1:26
	v_pk_add_f32 v[92:93], v[92:93], v[28:29] neg_lo:[0,1] neg_hi:[0,1]
	v_pk_add_f32 v[114:115], v[114:115], v[18:19] neg_lo:[0,1] neg_hi:[0,1]
	s_wait_dscnt 0x0
	v_pk_mul_f32 v[18:19], v[12:13], v[10:11] op_sel:[0,1]
	s_delay_alu instid0(VALU_DEP_1) | instskip(SKIP_1) | instid1(VALU_DEP_1)
	v_pk_fma_f32 v[28:29], v[12:13], v[8:9], v[18:19] op_sel:[0,0,1] op_sel_hi:[1,1,0] neg_lo:[0,0,1] neg_hi:[0,0,1]
	v_pk_fma_f32 v[12:13], v[12:13], v[8:9], v[18:19] op_sel:[0,0,1] op_sel_hi:[1,0,0]
	v_mov_b32_e32 v29, v13
	v_pk_mul_f32 v[12:13], v[14:15], v[10:11] op_sel:[0,1]
	s_delay_alu instid0(VALU_DEP_1) | instskip(SKIP_1) | instid1(VALU_DEP_1)
	v_pk_fma_f32 v[18:19], v[14:15], v[8:9], v[12:13] op_sel:[0,0,1] op_sel_hi:[1,1,0] neg_lo:[0,0,1] neg_hi:[0,0,1]
	v_pk_fma_f32 v[12:13], v[14:15], v[8:9], v[12:13] op_sel:[0,0,1] op_sel_hi:[1,0,0]
	v_mov_b32_e32 v19, v13
	ds_load_2addr_b64 v[12:15], v168 offset0:27 offset1:28
	v_pk_add_f32 v[110:111], v[110:111], v[28:29] neg_lo:[0,1] neg_hi:[0,1]
	v_pk_add_f32 v[112:113], v[112:113], v[18:19] neg_lo:[0,1] neg_hi:[0,1]
	s_wait_dscnt 0x0
	v_dual_mul_f32 v18, v13, v11 :: v_dual_mul_f32 v28, v13, v8
	s_delay_alu instid0(VALU_DEP_1) | instskip(NEXT) | instid1(VALU_DEP_2)
	v_pk_fma_f32 v[18:19], v[12:13], v[78:79], v[18:19] op_sel_hi:[1,1,0] neg_lo:[0,0,1] neg_hi:[0,0,1]
	v_pk_fma_f32 v[12:13], v[12:13], v[78:79], v[28:29] op_sel:[1,0,0] op_sel_hi:[0,1,0]
	s_delay_alu instid0(VALU_DEP_1) | instskip(SKIP_1) | instid1(VALU_DEP_2)
	v_mov_b32_e32 v19, v13
	v_pk_mul_f32 v[12:13], v[14:15], v[10:11] op_sel:[0,1]
	v_pk_add_f32 v[108:109], v[108:109], v[18:19] neg_lo:[0,1] neg_hi:[0,1]
	s_delay_alu instid0(VALU_DEP_2) | instskip(SKIP_1) | instid1(VALU_DEP_1)
	v_pk_fma_f32 v[18:19], v[14:15], v[8:9], v[12:13] op_sel:[0,0,1] op_sel_hi:[1,1,0] neg_lo:[0,0,1] neg_hi:[0,0,1]
	v_pk_fma_f32 v[12:13], v[14:15], v[8:9], v[12:13] op_sel:[0,0,1] op_sel_hi:[1,0,0]
	v_mov_b32_e32 v19, v13
	ds_load_2addr_b64 v[12:15], v168 offset0:29 offset1:30
	v_pk_add_f32 v[130:131], v[130:131], v[18:19] neg_lo:[0,1] neg_hi:[0,1]
	s_wait_dscnt 0x0
	v_pk_mul_f32 v[18:19], v[12:13], v[10:11] op_sel:[0,1]
	s_delay_alu instid0(VALU_DEP_1) | instskip(SKIP_1) | instid1(VALU_DEP_1)
	v_pk_fma_f32 v[28:29], v[12:13], v[8:9], v[18:19] op_sel:[0,0,1] op_sel_hi:[1,1,0] neg_lo:[0,0,1] neg_hi:[0,0,1]
	v_pk_fma_f32 v[12:13], v[12:13], v[8:9], v[18:19] op_sel:[0,0,1] op_sel_hi:[1,0,0]
	v_mov_b32_e32 v29, v13
	v_pk_mul_f32 v[12:13], v[14:15], v[10:11] op_sel:[0,1]
	s_delay_alu instid0(VALU_DEP_2) | instskip(NEXT) | instid1(VALU_DEP_2)
	v_pk_add_f32 v[126:127], v[126:127], v[28:29] neg_lo:[0,1] neg_hi:[0,1]
	v_pk_fma_f32 v[18:19], v[14:15], v[8:9], v[12:13] op_sel:[0,0,1] op_sel_hi:[1,1,0] neg_lo:[0,0,1] neg_hi:[0,0,1]
	v_pk_fma_f32 v[12:13], v[14:15], v[8:9], v[12:13] op_sel:[0,0,1] op_sel_hi:[1,0,0]
	s_delay_alu instid0(VALU_DEP_1) | instskip(SKIP_4) | instid1(VALU_DEP_1)
	v_mov_b32_e32 v19, v13
	ds_load_2addr_b64 v[12:15], v168 offset0:31 offset1:32
	v_pk_add_f32 v[128:129], v[128:129], v[18:19] neg_lo:[0,1] neg_hi:[0,1]
	s_wait_dscnt 0x0
	v_pk_mul_f32 v[18:19], v[12:13], v[10:11] op_sel:[0,1]
	v_pk_fma_f32 v[28:29], v[12:13], v[8:9], v[18:19] op_sel:[0,0,1] op_sel_hi:[1,1,0] neg_lo:[0,0,1] neg_hi:[0,0,1]
	v_pk_fma_f32 v[12:13], v[12:13], v[8:9], v[18:19] op_sel:[0,0,1] op_sel_hi:[1,0,0]
	v_dual_mul_f32 v18, v15, v11 :: v_dual_mov_b32 v12, v15
	s_delay_alu instid0(VALU_DEP_2) | instskip(NEXT) | instid1(VALU_DEP_2)
	v_dual_mov_b32 v29, v13 :: v_dual_mov_b32 v13, v14
	v_pk_fma_f32 v[18:19], v[14:15], v[78:79], v[18:19] op_sel_hi:[1,1,0] neg_lo:[0,0,1] neg_hi:[0,0,1]
	v_mul_f32_e32 v14, v15, v8
	s_delay_alu instid0(VALU_DEP_3) | instskip(NEXT) | instid1(VALU_DEP_2)
	v_pk_add_f32 v[124:125], v[124:125], v[28:29] neg_lo:[0,1] neg_hi:[0,1]
	v_pk_fma_f32 v[12:13], v[12:13], v[78:79], v[14:15] op_sel_hi:[1,1,0]
	s_delay_alu instid0(VALU_DEP_1) | instskip(SKIP_4) | instid1(VALU_DEP_1)
	v_mov_b32_e32 v19, v13
	ds_load_2addr_b64 v[12:15], v168 offset0:33 offset1:34
	v_pk_add_f32 v[146:147], v[146:147], v[18:19] neg_lo:[0,1] neg_hi:[0,1]
	s_wait_dscnt 0x0
	v_pk_mul_f32 v[18:19], v[12:13], v[10:11] op_sel:[0,1]
	v_pk_fma_f32 v[28:29], v[12:13], v[8:9], v[18:19] op_sel:[0,0,1] op_sel_hi:[1,1,0] neg_lo:[0,0,1] neg_hi:[0,0,1]
	v_pk_fma_f32 v[12:13], v[12:13], v[8:9], v[18:19] op_sel:[0,0,1] op_sel_hi:[1,0,0]
	s_delay_alu instid0(VALU_DEP_1) | instskip(SKIP_1) | instid1(VALU_DEP_1)
	v_mov_b32_e32 v29, v13
	v_pk_mul_f32 v[12:13], v[14:15], v[10:11] op_sel:[0,1]
	v_pk_fma_f32 v[18:19], v[14:15], v[8:9], v[12:13] op_sel:[0,0,1] op_sel_hi:[1,1,0] neg_lo:[0,0,1] neg_hi:[0,0,1]
	v_pk_fma_f32 v[12:13], v[14:15], v[8:9], v[12:13] op_sel:[0,0,1] op_sel_hi:[1,0,0]
	s_delay_alu instid0(VALU_DEP_1)
	v_mov_b32_e32 v19, v13
	ds_load_2addr_b64 v[12:15], v168 offset0:35 offset1:36
	v_pk_add_f32 v[142:143], v[142:143], v[28:29] neg_lo:[0,1] neg_hi:[0,1]
	v_pk_add_f32 v[144:145], v[144:145], v[18:19] neg_lo:[0,1] neg_hi:[0,1]
	s_wait_dscnt 0x0
	v_pk_mul_f32 v[18:19], v[12:13], v[10:11] op_sel:[0,1]
	s_delay_alu instid0(VALU_DEP_1) | instskip(SKIP_1) | instid1(VALU_DEP_1)
	v_pk_fma_f32 v[28:29], v[12:13], v[8:9], v[18:19] op_sel:[0,0,1] op_sel_hi:[1,1,0] neg_lo:[0,0,1] neg_hi:[0,0,1]
	v_pk_fma_f32 v[12:13], v[12:13], v[8:9], v[18:19] op_sel:[0,0,1] op_sel_hi:[1,0,0]
	v_mov_b32_e32 v29, v13
	v_pk_mul_f32 v[12:13], v[14:15], v[10:11] op_sel:[0,1]
	s_delay_alu instid0(VALU_DEP_1) | instskip(SKIP_1) | instid1(VALU_DEP_1)
	v_pk_fma_f32 v[18:19], v[14:15], v[8:9], v[12:13] op_sel:[0,0,1] op_sel_hi:[1,1,0] neg_lo:[0,0,1] neg_hi:[0,0,1]
	v_pk_fma_f32 v[12:13], v[14:15], v[8:9], v[12:13] op_sel:[0,0,1] op_sel_hi:[1,0,0]
	v_mov_b32_e32 v19, v13
	ds_load_2addr_b64 v[12:15], v168 offset0:37 offset1:38
	v_pk_add_f32 v[140:141], v[140:141], v[28:29] neg_lo:[0,1] neg_hi:[0,1]
	v_pk_add_f32 v[162:163], v[162:163], v[18:19] neg_lo:[0,1] neg_hi:[0,1]
	s_wait_dscnt 0x0
	v_dual_mul_f32 v18, v13, v11 :: v_dual_mul_f32 v28, v13, v8
	s_delay_alu instid0(VALU_DEP_1) | instskip(NEXT) | instid1(VALU_DEP_2)
	v_pk_fma_f32 v[18:19], v[12:13], v[78:79], v[18:19] op_sel_hi:[1,1,0] neg_lo:[0,0,1] neg_hi:[0,0,1]
	v_pk_fma_f32 v[12:13], v[12:13], v[78:79], v[28:29] op_sel:[1,0,0] op_sel_hi:[0,1,0]
	s_delay_alu instid0(VALU_DEP_1) | instskip(SKIP_1) | instid1(VALU_DEP_2)
	v_mov_b32_e32 v19, v13
	v_pk_mul_f32 v[12:13], v[14:15], v[10:11] op_sel:[0,1]
	v_pk_add_f32 v[158:159], v[158:159], v[18:19] neg_lo:[0,1] neg_hi:[0,1]
	s_delay_alu instid0(VALU_DEP_2) | instskip(SKIP_1) | instid1(VALU_DEP_1)
	v_pk_fma_f32 v[18:19], v[14:15], v[8:9], v[12:13] op_sel:[0,0,1] op_sel_hi:[1,1,0] neg_lo:[0,0,1] neg_hi:[0,0,1]
	v_pk_fma_f32 v[12:13], v[14:15], v[8:9], v[12:13] op_sel:[0,0,1] op_sel_hi:[1,0,0]
	v_mov_b32_e32 v19, v13
	ds_load_2addr_b64 v[12:15], v168 offset0:39 offset1:40
	v_pk_add_f32 v[160:161], v[160:161], v[18:19] neg_lo:[0,1] neg_hi:[0,1]
	s_wait_dscnt 0x0
	v_pk_mul_f32 v[18:19], v[12:13], v[10:11] op_sel:[0,1]
	s_delay_alu instid0(VALU_DEP_1) | instskip(SKIP_1) | instid1(VALU_DEP_1)
	v_pk_fma_f32 v[28:29], v[12:13], v[8:9], v[18:19] op_sel:[0,0,1] op_sel_hi:[1,1,0] neg_lo:[0,0,1] neg_hi:[0,0,1]
	v_pk_fma_f32 v[12:13], v[12:13], v[8:9], v[18:19] op_sel:[0,0,1] op_sel_hi:[1,0,0]
	v_mov_b32_e32 v29, v13
	v_pk_mul_f32 v[12:13], v[14:15], v[10:11] op_sel:[0,1]
	s_delay_alu instid0(VALU_DEP_2) | instskip(NEXT) | instid1(VALU_DEP_2)
	v_pk_add_f32 v[156:157], v[156:157], v[28:29] neg_lo:[0,1] neg_hi:[0,1]
	v_pk_fma_f32 v[18:19], v[14:15], v[8:9], v[12:13] op_sel:[0,0,1] op_sel_hi:[1,1,0] neg_lo:[0,0,1] neg_hi:[0,0,1]
	v_pk_fma_f32 v[12:13], v[14:15], v[8:9], v[12:13] op_sel:[0,0,1] op_sel_hi:[1,0,0]
	s_delay_alu instid0(VALU_DEP_1) | instskip(SKIP_4) | instid1(VALU_DEP_1)
	v_mov_b32_e32 v19, v13
	ds_load_2addr_b64 v[12:15], v168 offset0:41 offset1:42
	v_pk_add_f32 v[178:179], v[178:179], v[18:19] neg_lo:[0,1] neg_hi:[0,1]
	s_wait_dscnt 0x0
	v_pk_mul_f32 v[18:19], v[12:13], v[10:11] op_sel:[0,1]
	v_pk_fma_f32 v[28:29], v[12:13], v[8:9], v[18:19] op_sel:[0,0,1] op_sel_hi:[1,1,0] neg_lo:[0,0,1] neg_hi:[0,0,1]
	v_pk_fma_f32 v[12:13], v[12:13], v[8:9], v[18:19] op_sel:[0,0,1] op_sel_hi:[1,0,0]
	v_dual_mul_f32 v18, v15, v11 :: v_dual_mov_b32 v12, v15
	s_delay_alu instid0(VALU_DEP_2) | instskip(NEXT) | instid1(VALU_DEP_2)
	v_dual_mov_b32 v29, v13 :: v_dual_mov_b32 v13, v14
	v_pk_fma_f32 v[18:19], v[14:15], v[78:79], v[18:19] op_sel_hi:[1,1,0] neg_lo:[0,0,1] neg_hi:[0,0,1]
	v_mul_f32_e32 v14, v15, v8
	s_delay_alu instid0(VALU_DEP_3) | instskip(NEXT) | instid1(VALU_DEP_2)
	v_pk_add_f32 v[174:175], v[174:175], v[28:29] neg_lo:[0,1] neg_hi:[0,1]
	v_pk_fma_f32 v[12:13], v[12:13], v[78:79], v[14:15] op_sel_hi:[1,1,0]
	s_delay_alu instid0(VALU_DEP_1) | instskip(SKIP_4) | instid1(VALU_DEP_1)
	v_mov_b32_e32 v19, v13
	ds_load_2addr_b64 v[12:15], v168 offset0:43 offset1:44
	v_pk_add_f32 v[176:177], v[176:177], v[18:19] neg_lo:[0,1] neg_hi:[0,1]
	s_wait_dscnt 0x0
	v_pk_mul_f32 v[18:19], v[12:13], v[10:11] op_sel:[0,1]
	v_pk_fma_f32 v[28:29], v[12:13], v[8:9], v[18:19] op_sel:[0,0,1] op_sel_hi:[1,1,0] neg_lo:[0,0,1] neg_hi:[0,0,1]
	v_pk_fma_f32 v[12:13], v[12:13], v[8:9], v[18:19] op_sel:[0,0,1] op_sel_hi:[1,0,0]
	s_delay_alu instid0(VALU_DEP_1) | instskip(SKIP_1) | instid1(VALU_DEP_1)
	v_mov_b32_e32 v29, v13
	v_pk_mul_f32 v[12:13], v[14:15], v[10:11] op_sel:[0,1]
	v_pk_fma_f32 v[18:19], v[14:15], v[8:9], v[12:13] op_sel:[0,0,1] op_sel_hi:[1,1,0] neg_lo:[0,0,1] neg_hi:[0,0,1]
	v_pk_fma_f32 v[12:13], v[14:15], v[8:9], v[12:13] op_sel:[0,0,1] op_sel_hi:[1,0,0]
	s_delay_alu instid0(VALU_DEP_1)
	v_mov_b32_e32 v19, v13
	ds_load_2addr_b64 v[12:15], v168 offset0:45 offset1:46
	v_pk_add_f32 v[172:173], v[172:173], v[28:29] neg_lo:[0,1] neg_hi:[0,1]
	v_pk_add_f32 v[198:199], v[198:199], v[18:19] neg_lo:[0,1] neg_hi:[0,1]
	s_wait_dscnt 0x0
	v_pk_mul_f32 v[18:19], v[12:13], v[10:11] op_sel:[0,1]
	s_delay_alu instid0(VALU_DEP_1) | instskip(SKIP_1) | instid1(VALU_DEP_1)
	v_pk_fma_f32 v[28:29], v[12:13], v[8:9], v[18:19] op_sel:[0,0,1] op_sel_hi:[1,1,0] neg_lo:[0,0,1] neg_hi:[0,0,1]
	v_pk_fma_f32 v[12:13], v[12:13], v[8:9], v[18:19] op_sel:[0,0,1] op_sel_hi:[1,0,0]
	v_mov_b32_e32 v29, v13
	v_pk_mul_f32 v[12:13], v[14:15], v[10:11] op_sel:[0,1]
	s_delay_alu instid0(VALU_DEP_1) | instskip(SKIP_1) | instid1(VALU_DEP_1)
	v_pk_fma_f32 v[18:19], v[14:15], v[8:9], v[12:13] op_sel:[0,0,1] op_sel_hi:[1,1,0] neg_lo:[0,0,1] neg_hi:[0,0,1]
	v_pk_fma_f32 v[12:13], v[14:15], v[8:9], v[12:13] op_sel:[0,0,1] op_sel_hi:[1,0,0]
	v_mov_b32_e32 v19, v13
	ds_load_2addr_b64 v[12:15], v168 offset0:47 offset1:48
	v_pk_add_f32 v[194:195], v[194:195], v[28:29] neg_lo:[0,1] neg_hi:[0,1]
	v_pk_add_f32 v[196:197], v[196:197], v[18:19] neg_lo:[0,1] neg_hi:[0,1]
	s_wait_dscnt 0x0
	v_dual_mul_f32 v18, v13, v11 :: v_dual_mul_f32 v28, v13, v8
	s_delay_alu instid0(VALU_DEP_1) | instskip(NEXT) | instid1(VALU_DEP_2)
	v_pk_fma_f32 v[18:19], v[12:13], v[78:79], v[18:19] op_sel_hi:[1,1,0] neg_lo:[0,0,1] neg_hi:[0,0,1]
	v_pk_fma_f32 v[12:13], v[12:13], v[78:79], v[28:29] op_sel:[1,0,0] op_sel_hi:[0,1,0]
	s_delay_alu instid0(VALU_DEP_1) | instskip(SKIP_1) | instid1(VALU_DEP_2)
	v_mov_b32_e32 v19, v13
	v_pk_mul_f32 v[12:13], v[14:15], v[10:11] op_sel:[0,1]
	v_pk_add_f32 v[192:193], v[192:193], v[18:19] neg_lo:[0,1] neg_hi:[0,1]
	s_delay_alu instid0(VALU_DEP_2) | instskip(SKIP_1) | instid1(VALU_DEP_1)
	v_pk_fma_f32 v[18:19], v[14:15], v[8:9], v[12:13] op_sel:[0,0,1] op_sel_hi:[1,1,0] neg_lo:[0,0,1] neg_hi:[0,0,1]
	v_pk_fma_f32 v[12:13], v[14:15], v[8:9], v[12:13] op_sel:[0,0,1] op_sel_hi:[1,0,0]
	v_mov_b32_e32 v19, v13
	ds_load_2addr_b64 v[12:15], v168 offset0:49 offset1:50
	v_pk_add_f32 v[220:221], v[220:221], v[18:19] neg_lo:[0,1] neg_hi:[0,1]
	s_wait_dscnt 0x0
	v_pk_mul_f32 v[18:19], v[12:13], v[10:11] op_sel:[0,1]
	s_delay_alu instid0(VALU_DEP_1) | instskip(SKIP_1) | instid1(VALU_DEP_1)
	v_pk_fma_f32 v[28:29], v[12:13], v[8:9], v[18:19] op_sel:[0,0,1] op_sel_hi:[1,1,0] neg_lo:[0,0,1] neg_hi:[0,0,1]
	v_pk_fma_f32 v[12:13], v[12:13], v[8:9], v[18:19] op_sel:[0,0,1] op_sel_hi:[1,0,0]
	v_mov_b32_e32 v29, v13
	v_pk_mul_f32 v[12:13], v[14:15], v[10:11] op_sel:[0,1]
	s_delay_alu instid0(VALU_DEP_2) | instskip(NEXT) | instid1(VALU_DEP_2)
	v_pk_add_f32 v[214:215], v[214:215], v[28:29] neg_lo:[0,1] neg_hi:[0,1]
	v_pk_fma_f32 v[18:19], v[14:15], v[8:9], v[12:13] op_sel:[0,0,1] op_sel_hi:[1,1,0] neg_lo:[0,0,1] neg_hi:[0,0,1]
	v_pk_fma_f32 v[12:13], v[14:15], v[8:9], v[12:13] op_sel:[0,0,1] op_sel_hi:[1,0,0]
	s_delay_alu instid0(VALU_DEP_1) | instskip(SKIP_4) | instid1(VALU_DEP_1)
	v_mov_b32_e32 v19, v13
	ds_load_2addr_b64 v[12:15], v168 offset0:51 offset1:52
	v_pk_add_f32 v[218:219], v[218:219], v[18:19] neg_lo:[0,1] neg_hi:[0,1]
	s_wait_dscnt 0x0
	v_pk_mul_f32 v[18:19], v[12:13], v[10:11] op_sel:[0,1]
	v_pk_fma_f32 v[28:29], v[12:13], v[8:9], v[18:19] op_sel:[0,0,1] op_sel_hi:[1,1,0] neg_lo:[0,0,1] neg_hi:[0,0,1]
	v_pk_fma_f32 v[12:13], v[12:13], v[8:9], v[18:19] op_sel:[0,0,1] op_sel_hi:[1,0,0]
	v_dual_mul_f32 v18, v15, v11 :: v_dual_mov_b32 v12, v15
	s_delay_alu instid0(VALU_DEP_2) | instskip(NEXT) | instid1(VALU_DEP_2)
	v_dual_mov_b32 v29, v13 :: v_dual_mov_b32 v13, v14
	v_pk_fma_f32 v[18:19], v[14:15], v[78:79], v[18:19] op_sel_hi:[1,1,0] neg_lo:[0,0,1] neg_hi:[0,0,1]
	v_mul_f32_e32 v14, v15, v8
	s_delay_alu instid0(VALU_DEP_3) | instskip(NEXT) | instid1(VALU_DEP_2)
	v_pk_add_f32 v[212:213], v[212:213], v[28:29] neg_lo:[0,1] neg_hi:[0,1]
	v_pk_fma_f32 v[12:13], v[12:13], v[78:79], v[14:15] op_sel_hi:[1,1,0]
	s_delay_alu instid0(VALU_DEP_1) | instskip(SKIP_4) | instid1(VALU_DEP_1)
	v_mov_b32_e32 v19, v13
	ds_load_2addr_b64 v[12:15], v168 offset0:53 offset1:54
	v_pk_add_f32 v[216:217], v[216:217], v[18:19] neg_lo:[0,1] neg_hi:[0,1]
	s_wait_dscnt 0x0
	v_pk_mul_f32 v[18:19], v[12:13], v[10:11] op_sel:[0,1]
	v_pk_fma_f32 v[28:29], v[12:13], v[8:9], v[18:19] op_sel:[0,0,1] op_sel_hi:[1,1,0] neg_lo:[0,0,1] neg_hi:[0,0,1]
	v_pk_fma_f32 v[12:13], v[12:13], v[8:9], v[18:19] op_sel:[0,0,1] op_sel_hi:[1,0,0]
	s_delay_alu instid0(VALU_DEP_1) | instskip(SKIP_1) | instid1(VALU_DEP_1)
	v_mov_b32_e32 v29, v13
	v_pk_mul_f32 v[12:13], v[14:15], v[10:11] op_sel:[0,1]
	v_pk_fma_f32 v[18:19], v[14:15], v[8:9], v[12:13] op_sel:[0,0,1] op_sel_hi:[1,1,0] neg_lo:[0,0,1] neg_hi:[0,0,1]
	v_pk_fma_f32 v[12:13], v[14:15], v[8:9], v[12:13] op_sel:[0,0,1] op_sel_hi:[1,0,0]
	s_delay_alu instid0(VALU_DEP_1)
	v_mov_b32_e32 v19, v13
	ds_load_b64 v[12:13], v168 offset:440
	v_pk_add_f32 v[210:211], v[210:211], v[28:29] neg_lo:[0,1] neg_hi:[0,1]
	v_pk_add_f32 v[222:223], v[222:223], v[18:19] neg_lo:[0,1] neg_hi:[0,1]
	s_wait_dscnt 0x0
	v_pk_mul_f32 v[10:11], v[12:13], v[10:11] op_sel:[0,1]
	s_delay_alu instid0(VALU_DEP_1) | instskip(SKIP_1) | instid1(VALU_DEP_1)
	v_pk_fma_f32 v[14:15], v[12:13], v[8:9], v[10:11] op_sel:[0,0,1] op_sel_hi:[1,1,0] neg_lo:[0,0,1] neg_hi:[0,0,1]
	v_pk_fma_f32 v[8:9], v[12:13], v[8:9], v[10:11] op_sel:[0,0,1] op_sel_hi:[1,0,0]
	v_mov_b32_e32 v15, v9
	s_delay_alu instid0(VALU_DEP_1)
	v_pk_add_f32 v[224:225], v[224:225], v[14:15] neg_lo:[0,1] neg_hi:[0,1]
.LBB111_172:
	s_or_b32 exec_lo, exec_lo, s1
	s_delay_alu instid0(SALU_CYCLE_1)
	s_mov_b32 s2, exec_lo
	s_wait_dscnt 0x0
	s_barrier_signal -1
	s_barrier_wait -1
	v_cmpx_eq_u32_e32 19, v166
	s_cbranch_execz .LBB111_179
; %bb.173:
	v_dual_mov_b32 v8, v98 :: v_dual_mov_b32 v9, v99
	v_dual_mov_b32 v10, v94 :: v_dual_mov_b32 v11, v95
	ds_store_b64 v167, v[74:75]
	ds_store_2addr_b64 v168, v[8:9], v[10:11] offset0:20 offset1:21
	v_dual_mov_b32 v8, v96 :: v_dual_mov_b32 v9, v97
	v_dual_mov_b32 v10, v92 :: v_dual_mov_b32 v11, v93
	ds_store_2addr_b64 v168, v[8:9], v[10:11] offset0:22 offset1:23
	v_dual_mov_b32 v8, v114 :: v_dual_mov_b32 v9, v115
	v_dual_mov_b32 v10, v110 :: v_dual_mov_b32 v11, v111
	;; [unrolled: 3-line block ×16, first 2 shown]
	ds_store_2addr_b64 v168, v[8:9], v[10:11] offset0:52 offset1:53
	v_dual_mov_b32 v8, v222 :: v_dual_mov_b32 v9, v223
	ds_store_2addr_b64 v168, v[8:9], v[224:225] offset0:54 offset1:55
	ds_load_b64 v[8:9], v167
	s_wait_dscnt 0x0
	v_cmp_neq_f32_e32 vcc_lo, 0, v8
	v_cmp_neq_f32_e64 s1, 0, v9
	s_or_b32 s1, vcc_lo, s1
	s_delay_alu instid0(SALU_CYCLE_1)
	s_and_b32 exec_lo, exec_lo, s1
	s_cbranch_execz .LBB111_179
; %bb.174:
	v_cmp_ngt_f32_e64 s1, |v8|, |v9|
                                        ; implicit-def: $vgpr10_vgpr11
	s_and_saveexec_b32 s4, s1
	s_delay_alu instid0(SALU_CYCLE_1)
	s_xor_b32 s1, exec_lo, s4
	s_cbranch_execz .LBB111_176
; %bb.175:
	v_div_scale_f32 v10, null, v9, v9, v8
	v_div_scale_f32 v13, vcc_lo, v8, v9, v8
	s_delay_alu instid0(VALU_DEP_2) | instskip(SKIP_1) | instid1(TRANS32_DEP_1)
	v_rcp_f32_e32 v11, v10
	v_nop
	v_fma_f32 v12, -v10, v11, 1.0
	s_delay_alu instid0(VALU_DEP_1) | instskip(NEXT) | instid1(VALU_DEP_1)
	v_fmac_f32_e32 v11, v12, v11
	v_mul_f32_e32 v12, v13, v11
	s_delay_alu instid0(VALU_DEP_1) | instskip(NEXT) | instid1(VALU_DEP_1)
	v_fma_f32 v14, -v10, v12, v13
	v_fmac_f32_e32 v12, v14, v11
	s_delay_alu instid0(VALU_DEP_1) | instskip(NEXT) | instid1(VALU_DEP_1)
	v_fma_f32 v10, -v10, v12, v13
	v_div_fmas_f32 v10, v10, v11, v12
	s_delay_alu instid0(VALU_DEP_1) | instskip(NEXT) | instid1(VALU_DEP_1)
	v_div_fixup_f32 v10, v10, v9, v8
	v_fmac_f32_e32 v9, v8, v10
	s_delay_alu instid0(VALU_DEP_1) | instskip(SKIP_1) | instid1(VALU_DEP_2)
	v_div_scale_f32 v8, null, v9, v9, 1.0
	v_div_scale_f32 v13, vcc_lo, 1.0, v9, 1.0
	v_rcp_f32_e32 v11, v8
	v_nop
	s_delay_alu instid0(TRANS32_DEP_1) | instskip(NEXT) | instid1(VALU_DEP_1)
	v_fma_f32 v12, -v8, v11, 1.0
	v_fmac_f32_e32 v11, v12, v11
	s_delay_alu instid0(VALU_DEP_1) | instskip(NEXT) | instid1(VALU_DEP_1)
	v_mul_f32_e32 v12, v13, v11
	v_fma_f32 v14, -v8, v12, v13
	s_delay_alu instid0(VALU_DEP_1) | instskip(NEXT) | instid1(VALU_DEP_1)
	v_fmac_f32_e32 v12, v14, v11
	v_fma_f32 v8, -v8, v12, v13
	s_delay_alu instid0(VALU_DEP_1) | instskip(NEXT) | instid1(VALU_DEP_1)
	v_div_fmas_f32 v8, v8, v11, v12
	v_div_fixup_f32 v8, v8, v9, 1.0
	s_delay_alu instid0(VALU_DEP_1)
	v_mul_f32_e32 v10, v10, v8
	v_xor_b32_e32 v11, 0x80000000, v8
                                        ; implicit-def: $vgpr8_vgpr9
.LBB111_176:
	s_and_not1_saveexec_b32 s1, s1
	s_cbranch_execz .LBB111_178
; %bb.177:
	v_div_scale_f32 v10, null, v8, v8, v9
	v_div_scale_f32 v13, vcc_lo, v9, v8, v9
	s_delay_alu instid0(VALU_DEP_2) | instskip(SKIP_1) | instid1(TRANS32_DEP_1)
	v_rcp_f32_e32 v11, v10
	v_nop
	v_fma_f32 v12, -v10, v11, 1.0
	s_delay_alu instid0(VALU_DEP_1) | instskip(NEXT) | instid1(VALU_DEP_1)
	v_fmac_f32_e32 v11, v12, v11
	v_mul_f32_e32 v12, v13, v11
	s_delay_alu instid0(VALU_DEP_1) | instskip(NEXT) | instid1(VALU_DEP_1)
	v_fma_f32 v14, -v10, v12, v13
	v_fmac_f32_e32 v12, v14, v11
	s_delay_alu instid0(VALU_DEP_1) | instskip(NEXT) | instid1(VALU_DEP_1)
	v_fma_f32 v10, -v10, v12, v13
	v_div_fmas_f32 v10, v10, v11, v12
	s_delay_alu instid0(VALU_DEP_1) | instskip(NEXT) | instid1(VALU_DEP_1)
	v_div_fixup_f32 v11, v10, v8, v9
	v_fmac_f32_e32 v8, v9, v11
	s_delay_alu instid0(VALU_DEP_1) | instskip(NEXT) | instid1(VALU_DEP_1)
	v_div_scale_f32 v9, null, v8, v8, 1.0
	v_rcp_f32_e32 v10, v9
	v_nop
	s_delay_alu instid0(TRANS32_DEP_1) | instskip(NEXT) | instid1(VALU_DEP_1)
	v_fma_f32 v12, -v9, v10, 1.0
	v_fmac_f32_e32 v10, v12, v10
	v_div_scale_f32 v12, vcc_lo, 1.0, v8, 1.0
	s_delay_alu instid0(VALU_DEP_1) | instskip(NEXT) | instid1(VALU_DEP_1)
	v_mul_f32_e32 v13, v12, v10
	v_fma_f32 v14, -v9, v13, v12
	s_delay_alu instid0(VALU_DEP_1) | instskip(NEXT) | instid1(VALU_DEP_1)
	v_fmac_f32_e32 v13, v14, v10
	v_fma_f32 v9, -v9, v13, v12
	s_delay_alu instid0(VALU_DEP_1) | instskip(NEXT) | instid1(VALU_DEP_1)
	v_div_fmas_f32 v9, v9, v10, v13
	v_div_fixup_f32 v10, v9, v8, 1.0
	s_delay_alu instid0(VALU_DEP_1)
	v_mul_f32_e64 v11, v11, -v10
.LBB111_178:
	s_or_b32 exec_lo, exec_lo, s1
	ds_store_b64 v167, v[10:11]
.LBB111_179:
	s_or_b32 exec_lo, exec_lo, s2
	s_wait_dscnt 0x0
	s_barrier_signal -1
	s_barrier_wait -1
	ds_load_b64 v[8:9], v167
	s_mov_b32 s1, exec_lo
	v_cmpx_lt_u32_e32 19, v166
	s_cbranch_execz .LBB111_181
; %bb.180:
	ds_load_2addr_b64 v[28:31], v168 offset0:20 offset1:21
	s_wait_dscnt 0x1
	v_pk_mul_f32 v[12:13], v[8:9], v[74:75] op_sel:[1,1] op_sel_hi:[0,1]
	s_delay_alu instid0(VALU_DEP_1) | instskip(SKIP_1) | instid1(VALU_DEP_1)
	v_pk_fma_f32 v[10:11], v[8:9], v[74:75], v[12:13] op_sel_hi:[1,0,1] neg_lo:[0,0,1] neg_hi:[0,0,1]
	v_pk_fma_f32 v[12:13], v[8:9], v[74:75], v[12:13] op_sel_hi:[1,0,1]
	v_dual_mov_b32 v74, v10 :: v_dual_mov_b32 v75, v13
	s_wait_dscnt 0x0
	s_delay_alu instid0(VALU_DEP_2) | instskip(NEXT) | instid1(VALU_DEP_1)
	v_pk_mul_f32 v[14:15], v[28:29], v[12:13] op_sel:[0,1]
	v_pk_fma_f32 v[18:19], v[28:29], v[10:11], v[14:15] op_sel:[0,0,1] op_sel_hi:[1,1,0] neg_lo:[0,0,1] neg_hi:[0,0,1]
	v_pk_fma_f32 v[14:15], v[28:29], v[10:11], v[14:15] op_sel:[0,0,1] op_sel_hi:[1,0,0]
	s_delay_alu instid0(VALU_DEP_1) | instskip(SKIP_1) | instid1(VALU_DEP_2)
	v_mov_b32_e32 v19, v15
	v_pk_mul_f32 v[14:15], v[30:31], v[12:13] op_sel:[0,1]
	v_pk_add_f32 v[98:99], v[98:99], v[18:19] neg_lo:[0,1] neg_hi:[0,1]
	s_delay_alu instid0(VALU_DEP_2) | instskip(SKIP_3) | instid1(VALU_DEP_1)
	v_pk_fma_f32 v[18:19], v[30:31], v[10:11], v[14:15] op_sel:[0,0,1] op_sel_hi:[1,1,0] neg_lo:[0,0,1] neg_hi:[0,0,1]
	v_pk_fma_f32 v[14:15], v[30:31], v[10:11], v[14:15] op_sel:[0,0,1] op_sel_hi:[1,0,0]
	ds_load_2addr_b64 v[28:31], v168 offset0:22 offset1:23
	v_mov_b32_e32 v19, v15
	v_pk_add_f32 v[94:95], v[94:95], v[18:19] neg_lo:[0,1] neg_hi:[0,1]
	s_wait_dscnt 0x0
	v_pk_mul_f32 v[14:15], v[28:29], v[12:13] op_sel:[0,1]
	s_delay_alu instid0(VALU_DEP_1) | instskip(SKIP_2) | instid1(VALU_DEP_2)
	v_pk_fma_f32 v[18:19], v[28:29], v[10:11], v[14:15] op_sel:[0,0,1] op_sel_hi:[1,1,0] neg_lo:[0,0,1] neg_hi:[0,0,1]
	v_pk_fma_f32 v[14:15], v[28:29], v[10:11], v[14:15] op_sel:[0,0,1] op_sel_hi:[1,0,0]
	v_dual_mov_b32 v14, v31 :: v_dual_mul_f32 v28, v31, v10
	v_dual_mov_b32 v19, v15 :: v_dual_mov_b32 v15, v30
	s_delay_alu instid0(VALU_DEP_1) | instskip(SKIP_1) | instid1(VALU_DEP_3)
	v_pk_add_f32 v[96:97], v[96:97], v[18:19] neg_lo:[0,1] neg_hi:[0,1]
	v_mul_f32_e32 v18, v31, v13
	v_pk_fma_f32 v[14:15], v[14:15], v[74:75], v[28:29] op_sel_hi:[1,1,0]
	s_delay_alu instid0(VALU_DEP_2) | instskip(SKIP_2) | instid1(VALU_DEP_1)
	v_pk_fma_f32 v[18:19], v[30:31], v[74:75], v[18:19] op_sel_hi:[1,1,0] neg_lo:[0,0,1] neg_hi:[0,0,1]
	ds_load_2addr_b64 v[28:31], v168 offset0:24 offset1:25
	v_mov_b32_e32 v19, v15
	v_pk_add_f32 v[92:93], v[92:93], v[18:19] neg_lo:[0,1] neg_hi:[0,1]
	s_wait_dscnt 0x0
	v_pk_mul_f32 v[14:15], v[28:29], v[12:13] op_sel:[0,1]
	s_delay_alu instid0(VALU_DEP_1) | instskip(SKIP_1) | instid1(VALU_DEP_1)
	v_pk_fma_f32 v[18:19], v[28:29], v[10:11], v[14:15] op_sel:[0,0,1] op_sel_hi:[1,1,0] neg_lo:[0,0,1] neg_hi:[0,0,1]
	v_pk_fma_f32 v[14:15], v[28:29], v[10:11], v[14:15] op_sel:[0,0,1] op_sel_hi:[1,0,0]
	v_mov_b32_e32 v19, v15
	v_pk_mul_f32 v[14:15], v[30:31], v[12:13] op_sel:[0,1]
	s_delay_alu instid0(VALU_DEP_2) | instskip(NEXT) | instid1(VALU_DEP_2)
	v_pk_add_f32 v[114:115], v[114:115], v[18:19] neg_lo:[0,1] neg_hi:[0,1]
	v_pk_fma_f32 v[18:19], v[30:31], v[10:11], v[14:15] op_sel:[0,0,1] op_sel_hi:[1,1,0] neg_lo:[0,0,1] neg_hi:[0,0,1]
	v_pk_fma_f32 v[14:15], v[30:31], v[10:11], v[14:15] op_sel:[0,0,1] op_sel_hi:[1,0,0]
	ds_load_2addr_b64 v[28:31], v168 offset0:26 offset1:27
	v_mov_b32_e32 v19, v15
	s_delay_alu instid0(VALU_DEP_1) | instskip(SKIP_2) | instid1(VALU_DEP_1)
	v_pk_add_f32 v[110:111], v[110:111], v[18:19] neg_lo:[0,1] neg_hi:[0,1]
	s_wait_dscnt 0x0
	v_pk_mul_f32 v[14:15], v[28:29], v[12:13] op_sel:[0,1]
	v_pk_fma_f32 v[18:19], v[28:29], v[10:11], v[14:15] op_sel:[0,0,1] op_sel_hi:[1,1,0] neg_lo:[0,0,1] neg_hi:[0,0,1]
	v_pk_fma_f32 v[14:15], v[28:29], v[10:11], v[14:15] op_sel:[0,0,1] op_sel_hi:[1,0,0]
	s_delay_alu instid0(VALU_DEP_1) | instskip(SKIP_1) | instid1(VALU_DEP_2)
	v_mov_b32_e32 v19, v15
	v_pk_mul_f32 v[14:15], v[30:31], v[12:13] op_sel:[0,1]
	v_pk_add_f32 v[112:113], v[112:113], v[18:19] neg_lo:[0,1] neg_hi:[0,1]
	s_delay_alu instid0(VALU_DEP_2) | instskip(SKIP_3) | instid1(VALU_DEP_1)
	v_pk_fma_f32 v[18:19], v[30:31], v[10:11], v[14:15] op_sel:[0,0,1] op_sel_hi:[1,1,0] neg_lo:[0,0,1] neg_hi:[0,0,1]
	v_pk_fma_f32 v[14:15], v[30:31], v[10:11], v[14:15] op_sel:[0,0,1] op_sel_hi:[1,0,0]
	ds_load_2addr_b64 v[28:31], v168 offset0:28 offset1:29
	v_mov_b32_e32 v19, v15
	v_pk_add_f32 v[108:109], v[108:109], v[18:19] neg_lo:[0,1] neg_hi:[0,1]
	s_wait_dscnt 0x0
	v_dual_mul_f32 v18, v29, v10 :: v_dual_mul_f32 v14, v29, v13
	s_delay_alu instid0(VALU_DEP_1) | instskip(NEXT) | instid1(VALU_DEP_2)
	v_pk_fma_f32 v[18:19], v[28:29], v[74:75], v[18:19] op_sel:[1,0,0] op_sel_hi:[0,1,0]
	v_pk_fma_f32 v[14:15], v[28:29], v[74:75], v[14:15] op_sel_hi:[1,1,0] neg_lo:[0,0,1] neg_hi:[0,0,1]
	s_delay_alu instid0(VALU_DEP_2) | instskip(NEXT) | instid1(VALU_DEP_1)
	v_mov_b32_e32 v15, v19
	v_pk_add_f32 v[130:131], v[130:131], v[14:15] neg_lo:[0,1] neg_hi:[0,1]
	v_pk_mul_f32 v[14:15], v[30:31], v[12:13] op_sel:[0,1]
	s_delay_alu instid0(VALU_DEP_1) | instskip(SKIP_3) | instid1(VALU_DEP_1)
	v_pk_fma_f32 v[18:19], v[30:31], v[10:11], v[14:15] op_sel:[0,0,1] op_sel_hi:[1,1,0] neg_lo:[0,0,1] neg_hi:[0,0,1]
	v_pk_fma_f32 v[14:15], v[30:31], v[10:11], v[14:15] op_sel:[0,0,1] op_sel_hi:[1,0,0]
	ds_load_2addr_b64 v[28:31], v168 offset0:30 offset1:31
	v_mov_b32_e32 v19, v15
	v_pk_add_f32 v[126:127], v[126:127], v[18:19] neg_lo:[0,1] neg_hi:[0,1]
	s_wait_dscnt 0x0
	v_pk_mul_f32 v[14:15], v[28:29], v[12:13] op_sel:[0,1]
	s_delay_alu instid0(VALU_DEP_1) | instskip(SKIP_1) | instid1(VALU_DEP_1)
	v_pk_fma_f32 v[18:19], v[28:29], v[10:11], v[14:15] op_sel:[0,0,1] op_sel_hi:[1,1,0] neg_lo:[0,0,1] neg_hi:[0,0,1]
	v_pk_fma_f32 v[14:15], v[28:29], v[10:11], v[14:15] op_sel:[0,0,1] op_sel_hi:[1,0,0]
	v_mov_b32_e32 v19, v15
	v_pk_mul_f32 v[14:15], v[30:31], v[12:13] op_sel:[0,1]
	s_delay_alu instid0(VALU_DEP_2) | instskip(NEXT) | instid1(VALU_DEP_2)
	v_pk_add_f32 v[128:129], v[128:129], v[18:19] neg_lo:[0,1] neg_hi:[0,1]
	v_pk_fma_f32 v[18:19], v[30:31], v[10:11], v[14:15] op_sel:[0,0,1] op_sel_hi:[1,1,0] neg_lo:[0,0,1] neg_hi:[0,0,1]
	v_pk_fma_f32 v[14:15], v[30:31], v[10:11], v[14:15] op_sel:[0,0,1] op_sel_hi:[1,0,0]
	ds_load_2addr_b64 v[28:31], v168 offset0:32 offset1:33
	v_mov_b32_e32 v19, v15
	s_delay_alu instid0(VALU_DEP_1) | instskip(SKIP_2) | instid1(VALU_DEP_1)
	v_pk_add_f32 v[124:125], v[124:125], v[18:19] neg_lo:[0,1] neg_hi:[0,1]
	s_wait_dscnt 0x0
	v_pk_mul_f32 v[14:15], v[28:29], v[12:13] op_sel:[0,1]
	v_pk_fma_f32 v[18:19], v[28:29], v[10:11], v[14:15] op_sel:[0,0,1] op_sel_hi:[1,1,0] neg_lo:[0,0,1] neg_hi:[0,0,1]
	v_pk_fma_f32 v[14:15], v[28:29], v[10:11], v[14:15] op_sel:[0,0,1] op_sel_hi:[1,0,0]
	v_dual_mov_b32 v14, v31 :: v_dual_mul_f32 v28, v31, v10
	s_delay_alu instid0(VALU_DEP_2) | instskip(NEXT) | instid1(VALU_DEP_1)
	v_dual_mov_b32 v19, v15 :: v_dual_mov_b32 v15, v30
	v_pk_add_f32 v[146:147], v[146:147], v[18:19] neg_lo:[0,1] neg_hi:[0,1]
	v_mul_f32_e32 v18, v31, v13
	s_delay_alu instid0(VALU_DEP_3) | instskip(NEXT) | instid1(VALU_DEP_2)
	v_pk_fma_f32 v[14:15], v[14:15], v[74:75], v[28:29] op_sel_hi:[1,1,0]
	v_pk_fma_f32 v[18:19], v[30:31], v[74:75], v[18:19] op_sel_hi:[1,1,0] neg_lo:[0,0,1] neg_hi:[0,0,1]
	ds_load_2addr_b64 v[28:31], v168 offset0:34 offset1:35
	v_mov_b32_e32 v19, v15
	s_delay_alu instid0(VALU_DEP_1) | instskip(SKIP_2) | instid1(VALU_DEP_1)
	v_pk_add_f32 v[142:143], v[142:143], v[18:19] neg_lo:[0,1] neg_hi:[0,1]
	s_wait_dscnt 0x0
	v_pk_mul_f32 v[14:15], v[28:29], v[12:13] op_sel:[0,1]
	v_pk_fma_f32 v[18:19], v[28:29], v[10:11], v[14:15] op_sel:[0,0,1] op_sel_hi:[1,1,0] neg_lo:[0,0,1] neg_hi:[0,0,1]
	v_pk_fma_f32 v[14:15], v[28:29], v[10:11], v[14:15] op_sel:[0,0,1] op_sel_hi:[1,0,0]
	s_delay_alu instid0(VALU_DEP_1) | instskip(SKIP_1) | instid1(VALU_DEP_2)
	v_mov_b32_e32 v19, v15
	v_pk_mul_f32 v[14:15], v[30:31], v[12:13] op_sel:[0,1]
	v_pk_add_f32 v[144:145], v[144:145], v[18:19] neg_lo:[0,1] neg_hi:[0,1]
	s_delay_alu instid0(VALU_DEP_2) | instskip(SKIP_3) | instid1(VALU_DEP_1)
	v_pk_fma_f32 v[18:19], v[30:31], v[10:11], v[14:15] op_sel:[0,0,1] op_sel_hi:[1,1,0] neg_lo:[0,0,1] neg_hi:[0,0,1]
	v_pk_fma_f32 v[14:15], v[30:31], v[10:11], v[14:15] op_sel:[0,0,1] op_sel_hi:[1,0,0]
	ds_load_2addr_b64 v[28:31], v168 offset0:36 offset1:37
	v_mov_b32_e32 v19, v15
	v_pk_add_f32 v[140:141], v[140:141], v[18:19] neg_lo:[0,1] neg_hi:[0,1]
	s_wait_dscnt 0x0
	v_pk_mul_f32 v[14:15], v[28:29], v[12:13] op_sel:[0,1]
	s_delay_alu instid0(VALU_DEP_1) | instskip(SKIP_1) | instid1(VALU_DEP_1)
	v_pk_fma_f32 v[18:19], v[28:29], v[10:11], v[14:15] op_sel:[0,0,1] op_sel_hi:[1,1,0] neg_lo:[0,0,1] neg_hi:[0,0,1]
	v_pk_fma_f32 v[14:15], v[28:29], v[10:11], v[14:15] op_sel:[0,0,1] op_sel_hi:[1,0,0]
	v_mov_b32_e32 v19, v15
	v_pk_mul_f32 v[14:15], v[30:31], v[12:13] op_sel:[0,1]
	s_delay_alu instid0(VALU_DEP_2) | instskip(NEXT) | instid1(VALU_DEP_2)
	v_pk_add_f32 v[162:163], v[162:163], v[18:19] neg_lo:[0,1] neg_hi:[0,1]
	v_pk_fma_f32 v[18:19], v[30:31], v[10:11], v[14:15] op_sel:[0,0,1] op_sel_hi:[1,1,0] neg_lo:[0,0,1] neg_hi:[0,0,1]
	v_pk_fma_f32 v[14:15], v[30:31], v[10:11], v[14:15] op_sel:[0,0,1] op_sel_hi:[1,0,0]
	ds_load_2addr_b64 v[28:31], v168 offset0:38 offset1:39
	v_mov_b32_e32 v19, v15
	s_delay_alu instid0(VALU_DEP_1) | instskip(SKIP_2) | instid1(VALU_DEP_1)
	v_pk_add_f32 v[158:159], v[158:159], v[18:19] neg_lo:[0,1] neg_hi:[0,1]
	s_wait_dscnt 0x0
	v_dual_mul_f32 v18, v29, v10 :: v_dual_mul_f32 v14, v29, v13
	v_pk_fma_f32 v[18:19], v[28:29], v[74:75], v[18:19] op_sel:[1,0,0] op_sel_hi:[0,1,0]
	s_delay_alu instid0(VALU_DEP_2) | instskip(NEXT) | instid1(VALU_DEP_2)
	v_pk_fma_f32 v[14:15], v[28:29], v[74:75], v[14:15] op_sel_hi:[1,1,0] neg_lo:[0,0,1] neg_hi:[0,0,1]
	v_mov_b32_e32 v15, v19
	s_delay_alu instid0(VALU_DEP_1) | instskip(SKIP_1) | instid1(VALU_DEP_1)
	v_pk_add_f32 v[160:161], v[160:161], v[14:15] neg_lo:[0,1] neg_hi:[0,1]
	v_pk_mul_f32 v[14:15], v[30:31], v[12:13] op_sel:[0,1]
	v_pk_fma_f32 v[18:19], v[30:31], v[10:11], v[14:15] op_sel:[0,0,1] op_sel_hi:[1,1,0] neg_lo:[0,0,1] neg_hi:[0,0,1]
	v_pk_fma_f32 v[14:15], v[30:31], v[10:11], v[14:15] op_sel:[0,0,1] op_sel_hi:[1,0,0]
	ds_load_2addr_b64 v[28:31], v168 offset0:40 offset1:41
	v_mov_b32_e32 v19, v15
	s_delay_alu instid0(VALU_DEP_1) | instskip(SKIP_2) | instid1(VALU_DEP_1)
	v_pk_add_f32 v[156:157], v[156:157], v[18:19] neg_lo:[0,1] neg_hi:[0,1]
	s_wait_dscnt 0x0
	v_pk_mul_f32 v[14:15], v[28:29], v[12:13] op_sel:[0,1]
	v_pk_fma_f32 v[18:19], v[28:29], v[10:11], v[14:15] op_sel:[0,0,1] op_sel_hi:[1,1,0] neg_lo:[0,0,1] neg_hi:[0,0,1]
	v_pk_fma_f32 v[14:15], v[28:29], v[10:11], v[14:15] op_sel:[0,0,1] op_sel_hi:[1,0,0]
	s_delay_alu instid0(VALU_DEP_1) | instskip(SKIP_1) | instid1(VALU_DEP_2)
	v_mov_b32_e32 v19, v15
	v_pk_mul_f32 v[14:15], v[30:31], v[12:13] op_sel:[0,1]
	v_pk_add_f32 v[178:179], v[178:179], v[18:19] neg_lo:[0,1] neg_hi:[0,1]
	s_delay_alu instid0(VALU_DEP_2) | instskip(SKIP_3) | instid1(VALU_DEP_1)
	v_pk_fma_f32 v[18:19], v[30:31], v[10:11], v[14:15] op_sel:[0,0,1] op_sel_hi:[1,1,0] neg_lo:[0,0,1] neg_hi:[0,0,1]
	v_pk_fma_f32 v[14:15], v[30:31], v[10:11], v[14:15] op_sel:[0,0,1] op_sel_hi:[1,0,0]
	ds_load_2addr_b64 v[28:31], v168 offset0:42 offset1:43
	v_mov_b32_e32 v19, v15
	v_pk_add_f32 v[174:175], v[174:175], v[18:19] neg_lo:[0,1] neg_hi:[0,1]
	s_wait_dscnt 0x0
	v_pk_mul_f32 v[14:15], v[28:29], v[12:13] op_sel:[0,1]
	s_delay_alu instid0(VALU_DEP_1) | instskip(SKIP_2) | instid1(VALU_DEP_2)
	v_pk_fma_f32 v[18:19], v[28:29], v[10:11], v[14:15] op_sel:[0,0,1] op_sel_hi:[1,1,0] neg_lo:[0,0,1] neg_hi:[0,0,1]
	v_pk_fma_f32 v[14:15], v[28:29], v[10:11], v[14:15] op_sel:[0,0,1] op_sel_hi:[1,0,0]
	v_dual_mov_b32 v14, v31 :: v_dual_mul_f32 v28, v31, v10
	v_dual_mov_b32 v19, v15 :: v_dual_mov_b32 v15, v30
	s_delay_alu instid0(VALU_DEP_1) | instskip(SKIP_1) | instid1(VALU_DEP_3)
	v_pk_add_f32 v[176:177], v[176:177], v[18:19] neg_lo:[0,1] neg_hi:[0,1]
	v_mul_f32_e32 v18, v31, v13
	v_pk_fma_f32 v[14:15], v[14:15], v[74:75], v[28:29] op_sel_hi:[1,1,0]
	s_delay_alu instid0(VALU_DEP_2) | instskip(SKIP_2) | instid1(VALU_DEP_1)
	v_pk_fma_f32 v[18:19], v[30:31], v[74:75], v[18:19] op_sel_hi:[1,1,0] neg_lo:[0,0,1] neg_hi:[0,0,1]
	ds_load_2addr_b64 v[28:31], v168 offset0:44 offset1:45
	v_mov_b32_e32 v19, v15
	v_pk_add_f32 v[172:173], v[172:173], v[18:19] neg_lo:[0,1] neg_hi:[0,1]
	s_wait_dscnt 0x0
	v_pk_mul_f32 v[14:15], v[28:29], v[12:13] op_sel:[0,1]
	s_delay_alu instid0(VALU_DEP_1) | instskip(SKIP_1) | instid1(VALU_DEP_1)
	v_pk_fma_f32 v[18:19], v[28:29], v[10:11], v[14:15] op_sel:[0,0,1] op_sel_hi:[1,1,0] neg_lo:[0,0,1] neg_hi:[0,0,1]
	v_pk_fma_f32 v[14:15], v[28:29], v[10:11], v[14:15] op_sel:[0,0,1] op_sel_hi:[1,0,0]
	v_mov_b32_e32 v19, v15
	v_pk_mul_f32 v[14:15], v[30:31], v[12:13] op_sel:[0,1]
	s_delay_alu instid0(VALU_DEP_2) | instskip(NEXT) | instid1(VALU_DEP_2)
	v_pk_add_f32 v[198:199], v[198:199], v[18:19] neg_lo:[0,1] neg_hi:[0,1]
	v_pk_fma_f32 v[18:19], v[30:31], v[10:11], v[14:15] op_sel:[0,0,1] op_sel_hi:[1,1,0] neg_lo:[0,0,1] neg_hi:[0,0,1]
	v_pk_fma_f32 v[14:15], v[30:31], v[10:11], v[14:15] op_sel:[0,0,1] op_sel_hi:[1,0,0]
	ds_load_2addr_b64 v[28:31], v168 offset0:46 offset1:47
	v_mov_b32_e32 v19, v15
	s_delay_alu instid0(VALU_DEP_1) | instskip(SKIP_2) | instid1(VALU_DEP_1)
	v_pk_add_f32 v[194:195], v[194:195], v[18:19] neg_lo:[0,1] neg_hi:[0,1]
	s_wait_dscnt 0x0
	v_pk_mul_f32 v[14:15], v[28:29], v[12:13] op_sel:[0,1]
	v_pk_fma_f32 v[18:19], v[28:29], v[10:11], v[14:15] op_sel:[0,0,1] op_sel_hi:[1,1,0] neg_lo:[0,0,1] neg_hi:[0,0,1]
	v_pk_fma_f32 v[14:15], v[28:29], v[10:11], v[14:15] op_sel:[0,0,1] op_sel_hi:[1,0,0]
	s_delay_alu instid0(VALU_DEP_1) | instskip(SKIP_1) | instid1(VALU_DEP_2)
	v_mov_b32_e32 v19, v15
	v_pk_mul_f32 v[14:15], v[30:31], v[12:13] op_sel:[0,1]
	v_pk_add_f32 v[196:197], v[196:197], v[18:19] neg_lo:[0,1] neg_hi:[0,1]
	s_delay_alu instid0(VALU_DEP_2) | instskip(SKIP_3) | instid1(VALU_DEP_1)
	v_pk_fma_f32 v[18:19], v[30:31], v[10:11], v[14:15] op_sel:[0,0,1] op_sel_hi:[1,1,0] neg_lo:[0,0,1] neg_hi:[0,0,1]
	v_pk_fma_f32 v[14:15], v[30:31], v[10:11], v[14:15] op_sel:[0,0,1] op_sel_hi:[1,0,0]
	ds_load_2addr_b64 v[28:31], v168 offset0:48 offset1:49
	v_mov_b32_e32 v19, v15
	v_pk_add_f32 v[192:193], v[192:193], v[18:19] neg_lo:[0,1] neg_hi:[0,1]
	s_wait_dscnt 0x0
	v_dual_mul_f32 v18, v29, v10 :: v_dual_mul_f32 v14, v29, v13
	s_delay_alu instid0(VALU_DEP_1) | instskip(NEXT) | instid1(VALU_DEP_2)
	v_pk_fma_f32 v[18:19], v[28:29], v[74:75], v[18:19] op_sel:[1,0,0] op_sel_hi:[0,1,0]
	v_pk_fma_f32 v[14:15], v[28:29], v[74:75], v[14:15] op_sel_hi:[1,1,0] neg_lo:[0,0,1] neg_hi:[0,0,1]
	s_delay_alu instid0(VALU_DEP_2) | instskip(NEXT) | instid1(VALU_DEP_1)
	v_mov_b32_e32 v15, v19
	v_pk_add_f32 v[220:221], v[220:221], v[14:15] neg_lo:[0,1] neg_hi:[0,1]
	v_pk_mul_f32 v[14:15], v[30:31], v[12:13] op_sel:[0,1]
	s_delay_alu instid0(VALU_DEP_1) | instskip(SKIP_3) | instid1(VALU_DEP_1)
	v_pk_fma_f32 v[18:19], v[30:31], v[10:11], v[14:15] op_sel:[0,0,1] op_sel_hi:[1,1,0] neg_lo:[0,0,1] neg_hi:[0,0,1]
	v_pk_fma_f32 v[14:15], v[30:31], v[10:11], v[14:15] op_sel:[0,0,1] op_sel_hi:[1,0,0]
	ds_load_2addr_b64 v[28:31], v168 offset0:50 offset1:51
	v_mov_b32_e32 v19, v15
	v_pk_add_f32 v[214:215], v[214:215], v[18:19] neg_lo:[0,1] neg_hi:[0,1]
	s_wait_dscnt 0x0
	v_pk_mul_f32 v[14:15], v[28:29], v[12:13] op_sel:[0,1]
	s_delay_alu instid0(VALU_DEP_1) | instskip(SKIP_1) | instid1(VALU_DEP_1)
	v_pk_fma_f32 v[18:19], v[28:29], v[10:11], v[14:15] op_sel:[0,0,1] op_sel_hi:[1,1,0] neg_lo:[0,0,1] neg_hi:[0,0,1]
	v_pk_fma_f32 v[14:15], v[28:29], v[10:11], v[14:15] op_sel:[0,0,1] op_sel_hi:[1,0,0]
	v_mov_b32_e32 v19, v15
	v_pk_mul_f32 v[14:15], v[30:31], v[12:13] op_sel:[0,1]
	s_delay_alu instid0(VALU_DEP_2) | instskip(NEXT) | instid1(VALU_DEP_2)
	v_pk_add_f32 v[218:219], v[218:219], v[18:19] neg_lo:[0,1] neg_hi:[0,1]
	v_pk_fma_f32 v[18:19], v[30:31], v[10:11], v[14:15] op_sel:[0,0,1] op_sel_hi:[1,1,0] neg_lo:[0,0,1] neg_hi:[0,0,1]
	v_pk_fma_f32 v[14:15], v[30:31], v[10:11], v[14:15] op_sel:[0,0,1] op_sel_hi:[1,0,0]
	ds_load_2addr_b64 v[28:31], v168 offset0:52 offset1:53
	v_mov_b32_e32 v19, v15
	s_delay_alu instid0(VALU_DEP_1) | instskip(SKIP_2) | instid1(VALU_DEP_1)
	v_pk_add_f32 v[212:213], v[212:213], v[18:19] neg_lo:[0,1] neg_hi:[0,1]
	s_wait_dscnt 0x0
	v_pk_mul_f32 v[14:15], v[28:29], v[12:13] op_sel:[0,1]
	v_pk_fma_f32 v[18:19], v[28:29], v[10:11], v[14:15] op_sel:[0,0,1] op_sel_hi:[1,1,0] neg_lo:[0,0,1] neg_hi:[0,0,1]
	v_pk_fma_f32 v[14:15], v[28:29], v[10:11], v[14:15] op_sel:[0,0,1] op_sel_hi:[1,0,0]
	v_dual_mov_b32 v14, v31 :: v_dual_mul_f32 v28, v31, v10
	s_delay_alu instid0(VALU_DEP_2) | instskip(NEXT) | instid1(VALU_DEP_1)
	v_dual_mov_b32 v19, v15 :: v_dual_mov_b32 v15, v30
	v_pk_add_f32 v[216:217], v[216:217], v[18:19] neg_lo:[0,1] neg_hi:[0,1]
	v_mul_f32_e32 v18, v31, v13
	s_delay_alu instid0(VALU_DEP_3) | instskip(NEXT) | instid1(VALU_DEP_2)
	v_pk_fma_f32 v[14:15], v[14:15], v[74:75], v[28:29] op_sel_hi:[1,1,0]
	v_pk_fma_f32 v[18:19], v[30:31], v[74:75], v[18:19] op_sel_hi:[1,1,0] neg_lo:[0,0,1] neg_hi:[0,0,1]
	ds_load_2addr_b64 v[28:31], v168 offset0:54 offset1:55
	v_mov_b32_e32 v19, v15
	s_delay_alu instid0(VALU_DEP_1) | instskip(SKIP_3) | instid1(VALU_DEP_2)
	v_pk_add_f32 v[210:211], v[210:211], v[18:19] neg_lo:[0,1] neg_hi:[0,1]
	s_wait_dscnt 0x0
	v_pk_mul_f32 v[14:15], v[28:29], v[12:13] op_sel:[0,1]
	v_mul_f32_e32 v12, v31, v13
	v_pk_fma_f32 v[18:19], v[28:29], v[10:11], v[14:15] op_sel:[0,0,1] op_sel_hi:[1,1,0] neg_lo:[0,0,1] neg_hi:[0,0,1]
	v_pk_fma_f32 v[14:15], v[28:29], v[10:11], v[14:15] op_sel:[0,0,1] op_sel_hi:[1,0,0]
	v_dual_mov_b32 v14, v31 :: v_dual_mul_f32 v10, v31, v10
	s_delay_alu instid0(VALU_DEP_4) | instskip(NEXT) | instid1(VALU_DEP_3)
	v_pk_fma_f32 v[12:13], v[30:31], v[74:75], v[12:13] op_sel_hi:[1,1,0] neg_lo:[0,0,1] neg_hi:[0,0,1]
	v_dual_mov_b32 v19, v15 :: v_dual_mov_b32 v15, v30
	s_delay_alu instid0(VALU_DEP_1) | instskip(NEXT) | instid1(VALU_DEP_2)
	v_pk_add_f32 v[222:223], v[222:223], v[18:19] neg_lo:[0,1] neg_hi:[0,1]
	v_pk_fma_f32 v[10:11], v[14:15], v[74:75], v[10:11] op_sel_hi:[1,1,0]
	s_delay_alu instid0(VALU_DEP_1) | instskip(NEXT) | instid1(VALU_DEP_1)
	v_mov_b32_e32 v13, v11
	v_pk_add_f32 v[224:225], v[224:225], v[12:13] neg_lo:[0,1] neg_hi:[0,1]
.LBB111_181:
	s_or_b32 exec_lo, exec_lo, s1
	s_delay_alu instid0(SALU_CYCLE_1)
	s_mov_b32 s2, exec_lo
	s_wait_dscnt 0x0
	s_barrier_signal -1
	s_barrier_wait -1
	v_cmpx_eq_u32_e32 20, v166
	s_cbranch_execz .LBB111_188
; %bb.182:
	ds_store_b64 v167, v[98:99]
	ds_store_2addr_b64 v168, v[94:95], v[96:97] offset0:21 offset1:22
	ds_store_2addr_b64 v168, v[92:93], v[114:115] offset0:23 offset1:24
	;; [unrolled: 1-line block ×17, first 2 shown]
	ds_store_b64 v168, v[224:225] offset:440
	ds_load_b64 v[10:11], v167
	s_wait_dscnt 0x0
	v_cmp_neq_f32_e32 vcc_lo, 0, v10
	v_cmp_neq_f32_e64 s1, 0, v11
	s_or_b32 s1, vcc_lo, s1
	s_delay_alu instid0(SALU_CYCLE_1)
	s_and_b32 exec_lo, exec_lo, s1
	s_cbranch_execz .LBB111_188
; %bb.183:
	v_cmp_ngt_f32_e64 s1, |v10|, |v11|
                                        ; implicit-def: $vgpr12_vgpr13
	s_and_saveexec_b32 s4, s1
	s_delay_alu instid0(SALU_CYCLE_1)
	s_xor_b32 s1, exec_lo, s4
	s_cbranch_execz .LBB111_185
; %bb.184:
	v_div_scale_f32 v12, null, v11, v11, v10
	v_div_scale_f32 v15, vcc_lo, v10, v11, v10
	s_delay_alu instid0(VALU_DEP_2) | instskip(SKIP_1) | instid1(TRANS32_DEP_1)
	v_rcp_f32_e32 v13, v12
	v_nop
	v_fma_f32 v14, -v12, v13, 1.0
	s_delay_alu instid0(VALU_DEP_1) | instskip(NEXT) | instid1(VALU_DEP_1)
	v_fmac_f32_e32 v13, v14, v13
	v_mul_f32_e32 v14, v15, v13
	s_delay_alu instid0(VALU_DEP_1) | instskip(NEXT) | instid1(VALU_DEP_1)
	v_fma_f32 v18, -v12, v14, v15
	v_fmac_f32_e32 v14, v18, v13
	s_delay_alu instid0(VALU_DEP_1) | instskip(NEXT) | instid1(VALU_DEP_1)
	v_fma_f32 v12, -v12, v14, v15
	v_div_fmas_f32 v12, v12, v13, v14
	s_delay_alu instid0(VALU_DEP_1) | instskip(NEXT) | instid1(VALU_DEP_1)
	v_div_fixup_f32 v12, v12, v11, v10
	v_fmac_f32_e32 v11, v10, v12
	s_delay_alu instid0(VALU_DEP_1) | instskip(SKIP_1) | instid1(VALU_DEP_2)
	v_div_scale_f32 v10, null, v11, v11, 1.0
	v_div_scale_f32 v15, vcc_lo, 1.0, v11, 1.0
	v_rcp_f32_e32 v13, v10
	v_nop
	s_delay_alu instid0(TRANS32_DEP_1) | instskip(NEXT) | instid1(VALU_DEP_1)
	v_fma_f32 v14, -v10, v13, 1.0
	v_fmac_f32_e32 v13, v14, v13
	s_delay_alu instid0(VALU_DEP_1) | instskip(NEXT) | instid1(VALU_DEP_1)
	v_mul_f32_e32 v14, v15, v13
	v_fma_f32 v18, -v10, v14, v15
	s_delay_alu instid0(VALU_DEP_1) | instskip(NEXT) | instid1(VALU_DEP_1)
	v_fmac_f32_e32 v14, v18, v13
	v_fma_f32 v10, -v10, v14, v15
	s_delay_alu instid0(VALU_DEP_1) | instskip(NEXT) | instid1(VALU_DEP_1)
	v_div_fmas_f32 v10, v10, v13, v14
	v_div_fixup_f32 v10, v10, v11, 1.0
	s_delay_alu instid0(VALU_DEP_1)
	v_mul_f32_e32 v12, v12, v10
	v_xor_b32_e32 v13, 0x80000000, v10
                                        ; implicit-def: $vgpr10_vgpr11
.LBB111_185:
	s_and_not1_saveexec_b32 s1, s1
	s_cbranch_execz .LBB111_187
; %bb.186:
	v_div_scale_f32 v12, null, v10, v10, v11
	v_div_scale_f32 v15, vcc_lo, v11, v10, v11
	s_delay_alu instid0(VALU_DEP_2) | instskip(SKIP_1) | instid1(TRANS32_DEP_1)
	v_rcp_f32_e32 v13, v12
	v_nop
	v_fma_f32 v14, -v12, v13, 1.0
	s_delay_alu instid0(VALU_DEP_1) | instskip(NEXT) | instid1(VALU_DEP_1)
	v_fmac_f32_e32 v13, v14, v13
	v_mul_f32_e32 v14, v15, v13
	s_delay_alu instid0(VALU_DEP_1) | instskip(NEXT) | instid1(VALU_DEP_1)
	v_fma_f32 v18, -v12, v14, v15
	v_fmac_f32_e32 v14, v18, v13
	s_delay_alu instid0(VALU_DEP_1) | instskip(NEXT) | instid1(VALU_DEP_1)
	v_fma_f32 v12, -v12, v14, v15
	v_div_fmas_f32 v12, v12, v13, v14
	s_delay_alu instid0(VALU_DEP_1) | instskip(NEXT) | instid1(VALU_DEP_1)
	v_div_fixup_f32 v13, v12, v10, v11
	v_fmac_f32_e32 v10, v11, v13
	s_delay_alu instid0(VALU_DEP_1) | instskip(NEXT) | instid1(VALU_DEP_1)
	v_div_scale_f32 v11, null, v10, v10, 1.0
	v_rcp_f32_e32 v12, v11
	v_nop
	s_delay_alu instid0(TRANS32_DEP_1) | instskip(NEXT) | instid1(VALU_DEP_1)
	v_fma_f32 v14, -v11, v12, 1.0
	v_fmac_f32_e32 v12, v14, v12
	v_div_scale_f32 v14, vcc_lo, 1.0, v10, 1.0
	s_delay_alu instid0(VALU_DEP_1) | instskip(NEXT) | instid1(VALU_DEP_1)
	v_mul_f32_e32 v15, v14, v12
	v_fma_f32 v18, -v11, v15, v14
	s_delay_alu instid0(VALU_DEP_1) | instskip(NEXT) | instid1(VALU_DEP_1)
	v_fmac_f32_e32 v15, v18, v12
	v_fma_f32 v11, -v11, v15, v14
	s_delay_alu instid0(VALU_DEP_1) | instskip(NEXT) | instid1(VALU_DEP_1)
	v_div_fmas_f32 v11, v11, v12, v15
	v_div_fixup_f32 v12, v11, v10, 1.0
	s_delay_alu instid0(VALU_DEP_1)
	v_mul_f32_e64 v13, v13, -v12
.LBB111_187:
	s_or_b32 exec_lo, exec_lo, s1
	ds_store_b64 v167, v[12:13]
.LBB111_188:
	s_or_b32 exec_lo, exec_lo, s2
	s_wait_dscnt 0x0
	s_barrier_signal -1
	s_barrier_wait -1
	ds_load_b64 v[10:11], v167
	s_mov_b32 s1, exec_lo
	v_cmpx_lt_u32_e32 20, v166
	s_cbranch_execz .LBB111_190
; %bb.189:
	ds_load_2addr_b64 v[28:31], v168 offset0:21 offset1:22
	s_wait_dscnt 0x1
	v_pk_mul_f32 v[14:15], v[10:11], v[98:99] op_sel:[1,1] op_sel_hi:[0,1]
	s_delay_alu instid0(VALU_DEP_1) | instskip(SKIP_1) | instid1(VALU_DEP_1)
	v_pk_fma_f32 v[12:13], v[10:11], v[98:99], v[14:15] op_sel_hi:[1,0,1] neg_lo:[0,0,1] neg_hi:[0,0,1]
	v_pk_fma_f32 v[14:15], v[10:11], v[98:99], v[14:15] op_sel_hi:[1,0,1]
	v_dual_mov_b32 v98, v12 :: v_dual_mov_b32 v99, v15
	s_wait_dscnt 0x0
	s_delay_alu instid0(VALU_DEP_2) | instskip(NEXT) | instid1(VALU_DEP_1)
	v_pk_mul_f32 v[18:19], v[28:29], v[14:15] op_sel:[0,1]
	v_pk_fma_f32 v[32:33], v[28:29], v[12:13], v[18:19] op_sel:[0,0,1] op_sel_hi:[1,1,0] neg_lo:[0,0,1] neg_hi:[0,0,1]
	v_pk_fma_f32 v[18:19], v[28:29], v[12:13], v[18:19] op_sel:[0,0,1] op_sel_hi:[1,0,0]
	s_delay_alu instid0(VALU_DEP_1) | instskip(SKIP_1) | instid1(VALU_DEP_1)
	v_mov_b32_e32 v33, v19
	v_pk_mul_f32 v[18:19], v[30:31], v[14:15] op_sel:[0,1]
	v_pk_fma_f32 v[28:29], v[30:31], v[12:13], v[18:19] op_sel:[0,0,1] op_sel_hi:[1,1,0] neg_lo:[0,0,1] neg_hi:[0,0,1]
	v_pk_fma_f32 v[18:19], v[30:31], v[12:13], v[18:19] op_sel:[0,0,1] op_sel_hi:[1,0,0]
	s_delay_alu instid0(VALU_DEP_1) | instskip(SKIP_1) | instid1(VALU_DEP_2)
	v_mov_b32_e32 v29, v19
	v_pk_add_f32 v[94:95], v[94:95], v[32:33] neg_lo:[0,1] neg_hi:[0,1]
	v_pk_add_f32 v[96:97], v[96:97], v[28:29] neg_lo:[0,1] neg_hi:[0,1]
	ds_load_2addr_b64 v[28:31], v168 offset0:23 offset1:24
	s_wait_dscnt 0x0
	v_pk_mul_f32 v[18:19], v[28:29], v[14:15] op_sel:[0,1]
	s_delay_alu instid0(VALU_DEP_1) | instskip(SKIP_2) | instid1(VALU_DEP_2)
	v_pk_fma_f32 v[32:33], v[28:29], v[12:13], v[18:19] op_sel:[0,0,1] op_sel_hi:[1,1,0] neg_lo:[0,0,1] neg_hi:[0,0,1]
	v_pk_fma_f32 v[18:19], v[28:29], v[12:13], v[18:19] op_sel:[0,0,1] op_sel_hi:[1,0,0]
	v_dual_mul_f32 v28, v31, v15 :: v_dual_mov_b32 v18, v31
	v_dual_mov_b32 v33, v19 :: v_dual_mov_b32 v19, v30
	s_delay_alu instid0(VALU_DEP_2) | instskip(SKIP_1) | instid1(VALU_DEP_3)
	v_pk_fma_f32 v[28:29], v[30:31], v[98:99], v[28:29] op_sel_hi:[1,1,0] neg_lo:[0,0,1] neg_hi:[0,0,1]
	v_mul_f32_e32 v30, v31, v12
	v_pk_add_f32 v[92:93], v[92:93], v[32:33] neg_lo:[0,1] neg_hi:[0,1]
	s_delay_alu instid0(VALU_DEP_2) | instskip(NEXT) | instid1(VALU_DEP_1)
	v_pk_fma_f32 v[18:19], v[18:19], v[98:99], v[30:31] op_sel_hi:[1,1,0]
	v_mov_b32_e32 v29, v19
	s_delay_alu instid0(VALU_DEP_1) | instskip(SKIP_3) | instid1(VALU_DEP_1)
	v_pk_add_f32 v[114:115], v[114:115], v[28:29] neg_lo:[0,1] neg_hi:[0,1]
	ds_load_2addr_b64 v[28:31], v168 offset0:25 offset1:26
	s_wait_dscnt 0x0
	v_pk_mul_f32 v[18:19], v[28:29], v[14:15] op_sel:[0,1]
	v_pk_fma_f32 v[32:33], v[28:29], v[12:13], v[18:19] op_sel:[0,0,1] op_sel_hi:[1,1,0] neg_lo:[0,0,1] neg_hi:[0,0,1]
	v_pk_fma_f32 v[18:19], v[28:29], v[12:13], v[18:19] op_sel:[0,0,1] op_sel_hi:[1,0,0]
	s_delay_alu instid0(VALU_DEP_1) | instskip(SKIP_1) | instid1(VALU_DEP_2)
	v_mov_b32_e32 v33, v19
	v_pk_mul_f32 v[18:19], v[30:31], v[14:15] op_sel:[0,1]
	v_pk_add_f32 v[110:111], v[110:111], v[32:33] neg_lo:[0,1] neg_hi:[0,1]
	s_delay_alu instid0(VALU_DEP_2) | instskip(SKIP_1) | instid1(VALU_DEP_1)
	v_pk_fma_f32 v[28:29], v[30:31], v[12:13], v[18:19] op_sel:[0,0,1] op_sel_hi:[1,1,0] neg_lo:[0,0,1] neg_hi:[0,0,1]
	v_pk_fma_f32 v[18:19], v[30:31], v[12:13], v[18:19] op_sel:[0,0,1] op_sel_hi:[1,0,0]
	v_mov_b32_e32 v29, v19
	s_delay_alu instid0(VALU_DEP_1) | instskip(SKIP_3) | instid1(VALU_DEP_1)
	v_pk_add_f32 v[112:113], v[112:113], v[28:29] neg_lo:[0,1] neg_hi:[0,1]
	ds_load_2addr_b64 v[28:31], v168 offset0:27 offset1:28
	s_wait_dscnt 0x0
	v_pk_mul_f32 v[18:19], v[28:29], v[14:15] op_sel:[0,1]
	v_pk_fma_f32 v[32:33], v[28:29], v[12:13], v[18:19] op_sel:[0,0,1] op_sel_hi:[1,1,0] neg_lo:[0,0,1] neg_hi:[0,0,1]
	v_pk_fma_f32 v[18:19], v[28:29], v[12:13], v[18:19] op_sel:[0,0,1] op_sel_hi:[1,0,0]
	s_delay_alu instid0(VALU_DEP_1) | instskip(SKIP_1) | instid1(VALU_DEP_2)
	v_mov_b32_e32 v33, v19
	v_pk_mul_f32 v[18:19], v[30:31], v[14:15] op_sel:[0,1]
	v_pk_add_f32 v[108:109], v[108:109], v[32:33] neg_lo:[0,1] neg_hi:[0,1]
	s_delay_alu instid0(VALU_DEP_2) | instskip(SKIP_1) | instid1(VALU_DEP_1)
	v_pk_fma_f32 v[28:29], v[30:31], v[12:13], v[18:19] op_sel:[0,0,1] op_sel_hi:[1,1,0] neg_lo:[0,0,1] neg_hi:[0,0,1]
	v_pk_fma_f32 v[18:19], v[30:31], v[12:13], v[18:19] op_sel:[0,0,1] op_sel_hi:[1,0,0]
	v_mov_b32_e32 v29, v19
	s_delay_alu instid0(VALU_DEP_1) | instskip(SKIP_3) | instid1(VALU_DEP_1)
	v_pk_add_f32 v[130:131], v[130:131], v[28:29] neg_lo:[0,1] neg_hi:[0,1]
	ds_load_2addr_b64 v[28:31], v168 offset0:29 offset1:30
	s_wait_dscnt 0x0
	v_dual_mul_f32 v18, v29, v15 :: v_dual_mul_f32 v32, v29, v12
	v_pk_fma_f32 v[18:19], v[28:29], v[98:99], v[18:19] op_sel_hi:[1,1,0] neg_lo:[0,0,1] neg_hi:[0,0,1]
	s_delay_alu instid0(VALU_DEP_2) | instskip(NEXT) | instid1(VALU_DEP_1)
	v_pk_fma_f32 v[28:29], v[28:29], v[98:99], v[32:33] op_sel:[1,0,0] op_sel_hi:[0,1,0]
	v_mov_b32_e32 v19, v29
	s_delay_alu instid0(VALU_DEP_1) | instskip(SKIP_1) | instid1(VALU_DEP_1)
	v_pk_add_f32 v[126:127], v[126:127], v[18:19] neg_lo:[0,1] neg_hi:[0,1]
	v_pk_mul_f32 v[18:19], v[30:31], v[14:15] op_sel:[0,1]
	v_pk_fma_f32 v[28:29], v[30:31], v[12:13], v[18:19] op_sel:[0,0,1] op_sel_hi:[1,1,0] neg_lo:[0,0,1] neg_hi:[0,0,1]
	v_pk_fma_f32 v[18:19], v[30:31], v[12:13], v[18:19] op_sel:[0,0,1] op_sel_hi:[1,0,0]
	s_delay_alu instid0(VALU_DEP_1) | instskip(NEXT) | instid1(VALU_DEP_1)
	v_mov_b32_e32 v29, v19
	v_pk_add_f32 v[128:129], v[128:129], v[28:29] neg_lo:[0,1] neg_hi:[0,1]
	ds_load_2addr_b64 v[28:31], v168 offset0:31 offset1:32
	s_wait_dscnt 0x0
	v_pk_mul_f32 v[18:19], v[28:29], v[14:15] op_sel:[0,1]
	s_delay_alu instid0(VALU_DEP_1) | instskip(SKIP_1) | instid1(VALU_DEP_1)
	v_pk_fma_f32 v[32:33], v[28:29], v[12:13], v[18:19] op_sel:[0,0,1] op_sel_hi:[1,1,0] neg_lo:[0,0,1] neg_hi:[0,0,1]
	v_pk_fma_f32 v[18:19], v[28:29], v[12:13], v[18:19] op_sel:[0,0,1] op_sel_hi:[1,0,0]
	v_mov_b32_e32 v33, v19
	v_pk_mul_f32 v[18:19], v[30:31], v[14:15] op_sel:[0,1]
	s_delay_alu instid0(VALU_DEP_2) | instskip(NEXT) | instid1(VALU_DEP_2)
	v_pk_add_f32 v[124:125], v[124:125], v[32:33] neg_lo:[0,1] neg_hi:[0,1]
	v_pk_fma_f32 v[28:29], v[30:31], v[12:13], v[18:19] op_sel:[0,0,1] op_sel_hi:[1,1,0] neg_lo:[0,0,1] neg_hi:[0,0,1]
	v_pk_fma_f32 v[18:19], v[30:31], v[12:13], v[18:19] op_sel:[0,0,1] op_sel_hi:[1,0,0]
	s_delay_alu instid0(VALU_DEP_1) | instskip(NEXT) | instid1(VALU_DEP_1)
	v_mov_b32_e32 v29, v19
	v_pk_add_f32 v[146:147], v[146:147], v[28:29] neg_lo:[0,1] neg_hi:[0,1]
	ds_load_2addr_b64 v[28:31], v168 offset0:33 offset1:34
	s_wait_dscnt 0x0
	v_pk_mul_f32 v[18:19], v[28:29], v[14:15] op_sel:[0,1]
	s_delay_alu instid0(VALU_DEP_1) | instskip(SKIP_2) | instid1(VALU_DEP_2)
	v_pk_fma_f32 v[32:33], v[28:29], v[12:13], v[18:19] op_sel:[0,0,1] op_sel_hi:[1,1,0] neg_lo:[0,0,1] neg_hi:[0,0,1]
	v_pk_fma_f32 v[18:19], v[28:29], v[12:13], v[18:19] op_sel:[0,0,1] op_sel_hi:[1,0,0]
	v_dual_mul_f32 v28, v31, v15 :: v_dual_mov_b32 v18, v31
	v_dual_mov_b32 v33, v19 :: v_dual_mov_b32 v19, v30
	s_delay_alu instid0(VALU_DEP_2) | instskip(SKIP_1) | instid1(VALU_DEP_3)
	v_pk_fma_f32 v[28:29], v[30:31], v[98:99], v[28:29] op_sel_hi:[1,1,0] neg_lo:[0,0,1] neg_hi:[0,0,1]
	v_mul_f32_e32 v30, v31, v12
	v_pk_add_f32 v[142:143], v[142:143], v[32:33] neg_lo:[0,1] neg_hi:[0,1]
	s_delay_alu instid0(VALU_DEP_2) | instskip(NEXT) | instid1(VALU_DEP_1)
	v_pk_fma_f32 v[18:19], v[18:19], v[98:99], v[30:31] op_sel_hi:[1,1,0]
	v_mov_b32_e32 v29, v19
	s_delay_alu instid0(VALU_DEP_1) | instskip(SKIP_3) | instid1(VALU_DEP_1)
	v_pk_add_f32 v[144:145], v[144:145], v[28:29] neg_lo:[0,1] neg_hi:[0,1]
	ds_load_2addr_b64 v[28:31], v168 offset0:35 offset1:36
	s_wait_dscnt 0x0
	v_pk_mul_f32 v[18:19], v[28:29], v[14:15] op_sel:[0,1]
	v_pk_fma_f32 v[32:33], v[28:29], v[12:13], v[18:19] op_sel:[0,0,1] op_sel_hi:[1,1,0] neg_lo:[0,0,1] neg_hi:[0,0,1]
	v_pk_fma_f32 v[18:19], v[28:29], v[12:13], v[18:19] op_sel:[0,0,1] op_sel_hi:[1,0,0]
	s_delay_alu instid0(VALU_DEP_1) | instskip(SKIP_1) | instid1(VALU_DEP_2)
	v_mov_b32_e32 v33, v19
	v_pk_mul_f32 v[18:19], v[30:31], v[14:15] op_sel:[0,1]
	v_pk_add_f32 v[140:141], v[140:141], v[32:33] neg_lo:[0,1] neg_hi:[0,1]
	s_delay_alu instid0(VALU_DEP_2) | instskip(SKIP_1) | instid1(VALU_DEP_1)
	v_pk_fma_f32 v[28:29], v[30:31], v[12:13], v[18:19] op_sel:[0,0,1] op_sel_hi:[1,1,0] neg_lo:[0,0,1] neg_hi:[0,0,1]
	v_pk_fma_f32 v[18:19], v[30:31], v[12:13], v[18:19] op_sel:[0,0,1] op_sel_hi:[1,0,0]
	v_mov_b32_e32 v29, v19
	s_delay_alu instid0(VALU_DEP_1) | instskip(SKIP_3) | instid1(VALU_DEP_1)
	v_pk_add_f32 v[162:163], v[162:163], v[28:29] neg_lo:[0,1] neg_hi:[0,1]
	ds_load_2addr_b64 v[28:31], v168 offset0:37 offset1:38
	s_wait_dscnt 0x0
	v_pk_mul_f32 v[18:19], v[28:29], v[14:15] op_sel:[0,1]
	v_pk_fma_f32 v[32:33], v[28:29], v[12:13], v[18:19] op_sel:[0,0,1] op_sel_hi:[1,1,0] neg_lo:[0,0,1] neg_hi:[0,0,1]
	v_pk_fma_f32 v[18:19], v[28:29], v[12:13], v[18:19] op_sel:[0,0,1] op_sel_hi:[1,0,0]
	s_delay_alu instid0(VALU_DEP_1) | instskip(SKIP_1) | instid1(VALU_DEP_2)
	v_mov_b32_e32 v33, v19
	v_pk_mul_f32 v[18:19], v[30:31], v[14:15] op_sel:[0,1]
	v_pk_add_f32 v[158:159], v[158:159], v[32:33] neg_lo:[0,1] neg_hi:[0,1]
	s_delay_alu instid0(VALU_DEP_2) | instskip(SKIP_1) | instid1(VALU_DEP_1)
	v_pk_fma_f32 v[28:29], v[30:31], v[12:13], v[18:19] op_sel:[0,0,1] op_sel_hi:[1,1,0] neg_lo:[0,0,1] neg_hi:[0,0,1]
	v_pk_fma_f32 v[18:19], v[30:31], v[12:13], v[18:19] op_sel:[0,0,1] op_sel_hi:[1,0,0]
	v_mov_b32_e32 v29, v19
	s_delay_alu instid0(VALU_DEP_1) | instskip(SKIP_3) | instid1(VALU_DEP_1)
	v_pk_add_f32 v[160:161], v[160:161], v[28:29] neg_lo:[0,1] neg_hi:[0,1]
	ds_load_2addr_b64 v[28:31], v168 offset0:39 offset1:40
	s_wait_dscnt 0x0
	v_dual_mul_f32 v18, v29, v15 :: v_dual_mul_f32 v32, v29, v12
	v_pk_fma_f32 v[18:19], v[28:29], v[98:99], v[18:19] op_sel_hi:[1,1,0] neg_lo:[0,0,1] neg_hi:[0,0,1]
	s_delay_alu instid0(VALU_DEP_2) | instskip(NEXT) | instid1(VALU_DEP_1)
	v_pk_fma_f32 v[28:29], v[28:29], v[98:99], v[32:33] op_sel:[1,0,0] op_sel_hi:[0,1,0]
	v_mov_b32_e32 v19, v29
	s_delay_alu instid0(VALU_DEP_1) | instskip(SKIP_1) | instid1(VALU_DEP_1)
	v_pk_add_f32 v[156:157], v[156:157], v[18:19] neg_lo:[0,1] neg_hi:[0,1]
	v_pk_mul_f32 v[18:19], v[30:31], v[14:15] op_sel:[0,1]
	v_pk_fma_f32 v[28:29], v[30:31], v[12:13], v[18:19] op_sel:[0,0,1] op_sel_hi:[1,1,0] neg_lo:[0,0,1] neg_hi:[0,0,1]
	v_pk_fma_f32 v[18:19], v[30:31], v[12:13], v[18:19] op_sel:[0,0,1] op_sel_hi:[1,0,0]
	s_delay_alu instid0(VALU_DEP_1) | instskip(NEXT) | instid1(VALU_DEP_1)
	v_mov_b32_e32 v29, v19
	v_pk_add_f32 v[178:179], v[178:179], v[28:29] neg_lo:[0,1] neg_hi:[0,1]
	ds_load_2addr_b64 v[28:31], v168 offset0:41 offset1:42
	s_wait_dscnt 0x0
	v_pk_mul_f32 v[18:19], v[28:29], v[14:15] op_sel:[0,1]
	s_delay_alu instid0(VALU_DEP_1) | instskip(SKIP_1) | instid1(VALU_DEP_1)
	v_pk_fma_f32 v[32:33], v[28:29], v[12:13], v[18:19] op_sel:[0,0,1] op_sel_hi:[1,1,0] neg_lo:[0,0,1] neg_hi:[0,0,1]
	v_pk_fma_f32 v[18:19], v[28:29], v[12:13], v[18:19] op_sel:[0,0,1] op_sel_hi:[1,0,0]
	v_mov_b32_e32 v33, v19
	v_pk_mul_f32 v[18:19], v[30:31], v[14:15] op_sel:[0,1]
	s_delay_alu instid0(VALU_DEP_2) | instskip(NEXT) | instid1(VALU_DEP_2)
	v_pk_add_f32 v[174:175], v[174:175], v[32:33] neg_lo:[0,1] neg_hi:[0,1]
	v_pk_fma_f32 v[28:29], v[30:31], v[12:13], v[18:19] op_sel:[0,0,1] op_sel_hi:[1,1,0] neg_lo:[0,0,1] neg_hi:[0,0,1]
	v_pk_fma_f32 v[18:19], v[30:31], v[12:13], v[18:19] op_sel:[0,0,1] op_sel_hi:[1,0,0]
	s_delay_alu instid0(VALU_DEP_1) | instskip(NEXT) | instid1(VALU_DEP_1)
	v_mov_b32_e32 v29, v19
	v_pk_add_f32 v[176:177], v[176:177], v[28:29] neg_lo:[0,1] neg_hi:[0,1]
	ds_load_2addr_b64 v[28:31], v168 offset0:43 offset1:44
	s_wait_dscnt 0x0
	v_pk_mul_f32 v[18:19], v[28:29], v[14:15] op_sel:[0,1]
	s_delay_alu instid0(VALU_DEP_1) | instskip(SKIP_2) | instid1(VALU_DEP_2)
	v_pk_fma_f32 v[32:33], v[28:29], v[12:13], v[18:19] op_sel:[0,0,1] op_sel_hi:[1,1,0] neg_lo:[0,0,1] neg_hi:[0,0,1]
	v_pk_fma_f32 v[18:19], v[28:29], v[12:13], v[18:19] op_sel:[0,0,1] op_sel_hi:[1,0,0]
	v_dual_mul_f32 v28, v31, v15 :: v_dual_mov_b32 v18, v31
	v_dual_mov_b32 v33, v19 :: v_dual_mov_b32 v19, v30
	s_delay_alu instid0(VALU_DEP_2) | instskip(SKIP_1) | instid1(VALU_DEP_3)
	v_pk_fma_f32 v[28:29], v[30:31], v[98:99], v[28:29] op_sel_hi:[1,1,0] neg_lo:[0,0,1] neg_hi:[0,0,1]
	v_mul_f32_e32 v30, v31, v12
	v_pk_add_f32 v[172:173], v[172:173], v[32:33] neg_lo:[0,1] neg_hi:[0,1]
	s_delay_alu instid0(VALU_DEP_2) | instskip(NEXT) | instid1(VALU_DEP_1)
	v_pk_fma_f32 v[18:19], v[18:19], v[98:99], v[30:31] op_sel_hi:[1,1,0]
	v_mov_b32_e32 v29, v19
	s_delay_alu instid0(VALU_DEP_1) | instskip(SKIP_3) | instid1(VALU_DEP_1)
	v_pk_add_f32 v[198:199], v[198:199], v[28:29] neg_lo:[0,1] neg_hi:[0,1]
	ds_load_2addr_b64 v[28:31], v168 offset0:45 offset1:46
	s_wait_dscnt 0x0
	v_pk_mul_f32 v[18:19], v[28:29], v[14:15] op_sel:[0,1]
	v_pk_fma_f32 v[32:33], v[28:29], v[12:13], v[18:19] op_sel:[0,0,1] op_sel_hi:[1,1,0] neg_lo:[0,0,1] neg_hi:[0,0,1]
	v_pk_fma_f32 v[18:19], v[28:29], v[12:13], v[18:19] op_sel:[0,0,1] op_sel_hi:[1,0,0]
	s_delay_alu instid0(VALU_DEP_1) | instskip(SKIP_1) | instid1(VALU_DEP_2)
	v_mov_b32_e32 v33, v19
	v_pk_mul_f32 v[18:19], v[30:31], v[14:15] op_sel:[0,1]
	v_pk_add_f32 v[194:195], v[194:195], v[32:33] neg_lo:[0,1] neg_hi:[0,1]
	s_delay_alu instid0(VALU_DEP_2) | instskip(SKIP_1) | instid1(VALU_DEP_1)
	v_pk_fma_f32 v[28:29], v[30:31], v[12:13], v[18:19] op_sel:[0,0,1] op_sel_hi:[1,1,0] neg_lo:[0,0,1] neg_hi:[0,0,1]
	v_pk_fma_f32 v[18:19], v[30:31], v[12:13], v[18:19] op_sel:[0,0,1] op_sel_hi:[1,0,0]
	v_mov_b32_e32 v29, v19
	s_delay_alu instid0(VALU_DEP_1) | instskip(SKIP_3) | instid1(VALU_DEP_1)
	v_pk_add_f32 v[196:197], v[196:197], v[28:29] neg_lo:[0,1] neg_hi:[0,1]
	ds_load_2addr_b64 v[28:31], v168 offset0:47 offset1:48
	s_wait_dscnt 0x0
	v_pk_mul_f32 v[18:19], v[28:29], v[14:15] op_sel:[0,1]
	v_pk_fma_f32 v[32:33], v[28:29], v[12:13], v[18:19] op_sel:[0,0,1] op_sel_hi:[1,1,0] neg_lo:[0,0,1] neg_hi:[0,0,1]
	v_pk_fma_f32 v[18:19], v[28:29], v[12:13], v[18:19] op_sel:[0,0,1] op_sel_hi:[1,0,0]
	s_delay_alu instid0(VALU_DEP_1) | instskip(SKIP_1) | instid1(VALU_DEP_2)
	v_mov_b32_e32 v33, v19
	v_pk_mul_f32 v[18:19], v[30:31], v[14:15] op_sel:[0,1]
	v_pk_add_f32 v[192:193], v[192:193], v[32:33] neg_lo:[0,1] neg_hi:[0,1]
	s_delay_alu instid0(VALU_DEP_2) | instskip(SKIP_1) | instid1(VALU_DEP_1)
	v_pk_fma_f32 v[28:29], v[30:31], v[12:13], v[18:19] op_sel:[0,0,1] op_sel_hi:[1,1,0] neg_lo:[0,0,1] neg_hi:[0,0,1]
	v_pk_fma_f32 v[18:19], v[30:31], v[12:13], v[18:19] op_sel:[0,0,1] op_sel_hi:[1,0,0]
	v_mov_b32_e32 v29, v19
	s_delay_alu instid0(VALU_DEP_1) | instskip(SKIP_3) | instid1(VALU_DEP_1)
	v_pk_add_f32 v[220:221], v[220:221], v[28:29] neg_lo:[0,1] neg_hi:[0,1]
	ds_load_2addr_b64 v[28:31], v168 offset0:49 offset1:50
	s_wait_dscnt 0x0
	v_dual_mul_f32 v18, v29, v15 :: v_dual_mul_f32 v32, v29, v12
	v_pk_fma_f32 v[18:19], v[28:29], v[98:99], v[18:19] op_sel_hi:[1,1,0] neg_lo:[0,0,1] neg_hi:[0,0,1]
	s_delay_alu instid0(VALU_DEP_2) | instskip(NEXT) | instid1(VALU_DEP_1)
	v_pk_fma_f32 v[28:29], v[28:29], v[98:99], v[32:33] op_sel:[1,0,0] op_sel_hi:[0,1,0]
	v_mov_b32_e32 v19, v29
	s_delay_alu instid0(VALU_DEP_1) | instskip(SKIP_1) | instid1(VALU_DEP_1)
	v_pk_add_f32 v[214:215], v[214:215], v[18:19] neg_lo:[0,1] neg_hi:[0,1]
	v_pk_mul_f32 v[18:19], v[30:31], v[14:15] op_sel:[0,1]
	v_pk_fma_f32 v[28:29], v[30:31], v[12:13], v[18:19] op_sel:[0,0,1] op_sel_hi:[1,1,0] neg_lo:[0,0,1] neg_hi:[0,0,1]
	v_pk_fma_f32 v[18:19], v[30:31], v[12:13], v[18:19] op_sel:[0,0,1] op_sel_hi:[1,0,0]
	s_delay_alu instid0(VALU_DEP_1) | instskip(NEXT) | instid1(VALU_DEP_1)
	v_mov_b32_e32 v29, v19
	v_pk_add_f32 v[218:219], v[218:219], v[28:29] neg_lo:[0,1] neg_hi:[0,1]
	ds_load_2addr_b64 v[28:31], v168 offset0:51 offset1:52
	s_wait_dscnt 0x0
	v_pk_mul_f32 v[18:19], v[28:29], v[14:15] op_sel:[0,1]
	s_delay_alu instid0(VALU_DEP_1) | instskip(SKIP_1) | instid1(VALU_DEP_1)
	v_pk_fma_f32 v[32:33], v[28:29], v[12:13], v[18:19] op_sel:[0,0,1] op_sel_hi:[1,1,0] neg_lo:[0,0,1] neg_hi:[0,0,1]
	v_pk_fma_f32 v[18:19], v[28:29], v[12:13], v[18:19] op_sel:[0,0,1] op_sel_hi:[1,0,0]
	v_mov_b32_e32 v33, v19
	v_pk_mul_f32 v[18:19], v[30:31], v[14:15] op_sel:[0,1]
	s_delay_alu instid0(VALU_DEP_2) | instskip(NEXT) | instid1(VALU_DEP_2)
	v_pk_add_f32 v[212:213], v[212:213], v[32:33] neg_lo:[0,1] neg_hi:[0,1]
	v_pk_fma_f32 v[28:29], v[30:31], v[12:13], v[18:19] op_sel:[0,0,1] op_sel_hi:[1,1,0] neg_lo:[0,0,1] neg_hi:[0,0,1]
	v_pk_fma_f32 v[18:19], v[30:31], v[12:13], v[18:19] op_sel:[0,0,1] op_sel_hi:[1,0,0]
	s_delay_alu instid0(VALU_DEP_1) | instskip(NEXT) | instid1(VALU_DEP_1)
	v_mov_b32_e32 v29, v19
	v_pk_add_f32 v[216:217], v[216:217], v[28:29] neg_lo:[0,1] neg_hi:[0,1]
	ds_load_2addr_b64 v[28:31], v168 offset0:53 offset1:54
	s_wait_dscnt 0x0
	v_pk_mul_f32 v[18:19], v[28:29], v[14:15] op_sel:[0,1]
	s_delay_alu instid0(VALU_DEP_1) | instskip(SKIP_2) | instid1(VALU_DEP_2)
	v_pk_fma_f32 v[32:33], v[28:29], v[12:13], v[18:19] op_sel:[0,0,1] op_sel_hi:[1,1,0] neg_lo:[0,0,1] neg_hi:[0,0,1]
	v_pk_fma_f32 v[18:19], v[28:29], v[12:13], v[18:19] op_sel:[0,0,1] op_sel_hi:[1,0,0]
	v_dual_mul_f32 v28, v31, v15 :: v_dual_mov_b32 v18, v31
	v_dual_mov_b32 v33, v19 :: v_dual_mov_b32 v19, v30
	s_delay_alu instid0(VALU_DEP_2) | instskip(SKIP_1) | instid1(VALU_DEP_3)
	v_pk_fma_f32 v[28:29], v[30:31], v[98:99], v[28:29] op_sel_hi:[1,1,0] neg_lo:[0,0,1] neg_hi:[0,0,1]
	v_mul_f32_e32 v30, v31, v12
	v_pk_add_f32 v[210:211], v[210:211], v[32:33] neg_lo:[0,1] neg_hi:[0,1]
	s_delay_alu instid0(VALU_DEP_2) | instskip(NEXT) | instid1(VALU_DEP_1)
	v_pk_fma_f32 v[18:19], v[18:19], v[98:99], v[30:31] op_sel_hi:[1,1,0]
	v_mov_b32_e32 v29, v19
	ds_load_b64 v[18:19], v168 offset:440
	v_pk_add_f32 v[222:223], v[222:223], v[28:29] neg_lo:[0,1] neg_hi:[0,1]
	s_wait_dscnt 0x0
	v_pk_mul_f32 v[14:15], v[18:19], v[14:15] op_sel:[0,1]
	s_delay_alu instid0(VALU_DEP_1) | instskip(SKIP_1) | instid1(VALU_DEP_1)
	v_pk_fma_f32 v[28:29], v[18:19], v[12:13], v[14:15] op_sel:[0,0,1] op_sel_hi:[1,1,0] neg_lo:[0,0,1] neg_hi:[0,0,1]
	v_pk_fma_f32 v[12:13], v[18:19], v[12:13], v[14:15] op_sel:[0,0,1] op_sel_hi:[1,0,0]
	v_mov_b32_e32 v29, v13
	s_delay_alu instid0(VALU_DEP_1)
	v_pk_add_f32 v[224:225], v[224:225], v[28:29] neg_lo:[0,1] neg_hi:[0,1]
.LBB111_190:
	s_or_b32 exec_lo, exec_lo, s1
	s_delay_alu instid0(SALU_CYCLE_1)
	s_mov_b32 s2, exec_lo
	s_wait_dscnt 0x0
	s_barrier_signal -1
	s_barrier_wait -1
	v_cmpx_eq_u32_e32 21, v166
	s_cbranch_execz .LBB111_197
; %bb.191:
	v_dual_mov_b32 v12, v96 :: v_dual_mov_b32 v13, v97
	v_dual_mov_b32 v14, v92 :: v_dual_mov_b32 v15, v93
	ds_store_b64 v167, v[94:95]
	ds_store_2addr_b64 v168, v[12:13], v[14:15] offset0:22 offset1:23
	v_dual_mov_b32 v12, v114 :: v_dual_mov_b32 v13, v115
	v_dual_mov_b32 v14, v110 :: v_dual_mov_b32 v15, v111
	ds_store_2addr_b64 v168, v[12:13], v[14:15] offset0:24 offset1:25
	v_dual_mov_b32 v12, v112 :: v_dual_mov_b32 v13, v113
	v_dual_mov_b32 v14, v108 :: v_dual_mov_b32 v15, v109
	;; [unrolled: 3-line block ×15, first 2 shown]
	ds_store_2addr_b64 v168, v[12:13], v[14:15] offset0:52 offset1:53
	v_dual_mov_b32 v12, v222 :: v_dual_mov_b32 v13, v223
	ds_store_2addr_b64 v168, v[12:13], v[224:225] offset0:54 offset1:55
	ds_load_b64 v[12:13], v167
	s_wait_dscnt 0x0
	v_cmp_neq_f32_e32 vcc_lo, 0, v12
	v_cmp_neq_f32_e64 s1, 0, v13
	s_or_b32 s1, vcc_lo, s1
	s_delay_alu instid0(SALU_CYCLE_1)
	s_and_b32 exec_lo, exec_lo, s1
	s_cbranch_execz .LBB111_197
; %bb.192:
	v_cmp_ngt_f32_e64 s1, |v12|, |v13|
                                        ; implicit-def: $vgpr14_vgpr15
	s_and_saveexec_b32 s4, s1
	s_delay_alu instid0(SALU_CYCLE_1)
	s_xor_b32 s1, exec_lo, s4
	s_cbranch_execz .LBB111_194
; %bb.193:
	v_div_scale_f32 v14, null, v13, v13, v12
	v_div_scale_f32 v19, vcc_lo, v12, v13, v12
	s_delay_alu instid0(VALU_DEP_2) | instskip(SKIP_1) | instid1(TRANS32_DEP_1)
	v_rcp_f32_e32 v15, v14
	v_nop
	v_fma_f32 v18, -v14, v15, 1.0
	s_delay_alu instid0(VALU_DEP_1) | instskip(NEXT) | instid1(VALU_DEP_1)
	v_fmac_f32_e32 v15, v18, v15
	v_mul_f32_e32 v18, v19, v15
	s_delay_alu instid0(VALU_DEP_1) | instskip(NEXT) | instid1(VALU_DEP_1)
	v_fma_f32 v28, -v14, v18, v19
	v_fmac_f32_e32 v18, v28, v15
	s_delay_alu instid0(VALU_DEP_1) | instskip(NEXT) | instid1(VALU_DEP_1)
	v_fma_f32 v14, -v14, v18, v19
	v_div_fmas_f32 v14, v14, v15, v18
	s_delay_alu instid0(VALU_DEP_1) | instskip(NEXT) | instid1(VALU_DEP_1)
	v_div_fixup_f32 v14, v14, v13, v12
	v_fmac_f32_e32 v13, v12, v14
	s_delay_alu instid0(VALU_DEP_1) | instskip(SKIP_1) | instid1(VALU_DEP_2)
	v_div_scale_f32 v12, null, v13, v13, 1.0
	v_div_scale_f32 v19, vcc_lo, 1.0, v13, 1.0
	v_rcp_f32_e32 v15, v12
	v_nop
	s_delay_alu instid0(TRANS32_DEP_1) | instskip(NEXT) | instid1(VALU_DEP_1)
	v_fma_f32 v18, -v12, v15, 1.0
	v_fmac_f32_e32 v15, v18, v15
	s_delay_alu instid0(VALU_DEP_1) | instskip(NEXT) | instid1(VALU_DEP_1)
	v_mul_f32_e32 v18, v19, v15
	v_fma_f32 v28, -v12, v18, v19
	s_delay_alu instid0(VALU_DEP_1) | instskip(NEXT) | instid1(VALU_DEP_1)
	v_fmac_f32_e32 v18, v28, v15
	v_fma_f32 v12, -v12, v18, v19
	s_delay_alu instid0(VALU_DEP_1) | instskip(NEXT) | instid1(VALU_DEP_1)
	v_div_fmas_f32 v12, v12, v15, v18
	v_div_fixup_f32 v12, v12, v13, 1.0
	s_delay_alu instid0(VALU_DEP_1)
	v_mul_f32_e32 v14, v14, v12
	v_xor_b32_e32 v15, 0x80000000, v12
                                        ; implicit-def: $vgpr12_vgpr13
.LBB111_194:
	s_and_not1_saveexec_b32 s1, s1
	s_cbranch_execz .LBB111_196
; %bb.195:
	v_div_scale_f32 v14, null, v12, v12, v13
	v_div_scale_f32 v19, vcc_lo, v13, v12, v13
	s_delay_alu instid0(VALU_DEP_2) | instskip(SKIP_1) | instid1(TRANS32_DEP_1)
	v_rcp_f32_e32 v15, v14
	v_nop
	v_fma_f32 v18, -v14, v15, 1.0
	s_delay_alu instid0(VALU_DEP_1) | instskip(NEXT) | instid1(VALU_DEP_1)
	v_fmac_f32_e32 v15, v18, v15
	v_mul_f32_e32 v18, v19, v15
	s_delay_alu instid0(VALU_DEP_1) | instskip(NEXT) | instid1(VALU_DEP_1)
	v_fma_f32 v28, -v14, v18, v19
	v_fmac_f32_e32 v18, v28, v15
	s_delay_alu instid0(VALU_DEP_1) | instskip(NEXT) | instid1(VALU_DEP_1)
	v_fma_f32 v14, -v14, v18, v19
	v_div_fmas_f32 v14, v14, v15, v18
	s_delay_alu instid0(VALU_DEP_1) | instskip(NEXT) | instid1(VALU_DEP_1)
	v_div_fixup_f32 v15, v14, v12, v13
	v_fmac_f32_e32 v12, v13, v15
	s_delay_alu instid0(VALU_DEP_1) | instskip(NEXT) | instid1(VALU_DEP_1)
	v_div_scale_f32 v13, null, v12, v12, 1.0
	v_rcp_f32_e32 v14, v13
	v_nop
	s_delay_alu instid0(TRANS32_DEP_1) | instskip(NEXT) | instid1(VALU_DEP_1)
	v_fma_f32 v18, -v13, v14, 1.0
	v_fmac_f32_e32 v14, v18, v14
	v_div_scale_f32 v18, vcc_lo, 1.0, v12, 1.0
	s_delay_alu instid0(VALU_DEP_1) | instskip(NEXT) | instid1(VALU_DEP_1)
	v_mul_f32_e32 v19, v18, v14
	v_fma_f32 v28, -v13, v19, v18
	s_delay_alu instid0(VALU_DEP_1) | instskip(NEXT) | instid1(VALU_DEP_1)
	v_fmac_f32_e32 v19, v28, v14
	v_fma_f32 v13, -v13, v19, v18
	s_delay_alu instid0(VALU_DEP_1) | instskip(NEXT) | instid1(VALU_DEP_1)
	v_div_fmas_f32 v13, v13, v14, v19
	v_div_fixup_f32 v14, v13, v12, 1.0
	s_delay_alu instid0(VALU_DEP_1)
	v_mul_f32_e64 v15, v15, -v14
.LBB111_196:
	s_or_b32 exec_lo, exec_lo, s1
	ds_store_b64 v167, v[14:15]
.LBB111_197:
	s_or_b32 exec_lo, exec_lo, s2
	s_wait_dscnt 0x0
	s_barrier_signal -1
	s_barrier_wait -1
	ds_load_b64 v[12:13], v167
	s_mov_b32 s1, exec_lo
	v_cmpx_lt_u32_e32 21, v166
	s_cbranch_execz .LBB111_199
; %bb.198:
	ds_load_2addr_b64 v[28:31], v168 offset0:22 offset1:23
	s_wait_dscnt 0x1
	v_pk_mul_f32 v[18:19], v[12:13], v[94:95] op_sel:[1,1] op_sel_hi:[0,1]
	s_delay_alu instid0(VALU_DEP_1) | instskip(SKIP_1) | instid1(VALU_DEP_1)
	v_pk_fma_f32 v[14:15], v[12:13], v[94:95], v[18:19] op_sel_hi:[1,0,1] neg_lo:[0,0,1] neg_hi:[0,0,1]
	v_pk_fma_f32 v[18:19], v[12:13], v[94:95], v[18:19] op_sel_hi:[1,0,1]
	v_dual_mov_b32 v94, v14 :: v_dual_mov_b32 v95, v19
	s_wait_dscnt 0x0
	s_delay_alu instid0(VALU_DEP_2) | instskip(NEXT) | instid1(VALU_DEP_1)
	v_pk_mul_f32 v[32:33], v[28:29], v[18:19] op_sel:[0,1]
	v_pk_fma_f32 v[42:43], v[28:29], v[14:15], v[32:33] op_sel:[0,0,1] op_sel_hi:[1,1,0] neg_lo:[0,0,1] neg_hi:[0,0,1]
	v_pk_fma_f32 v[28:29], v[28:29], v[14:15], v[32:33] op_sel:[0,0,1] op_sel_hi:[1,0,0]
	s_delay_alu instid0(VALU_DEP_1) | instskip(SKIP_1) | instid1(VALU_DEP_1)
	v_mov_b32_e32 v43, v29
	v_pk_mul_f32 v[28:29], v[30:31], v[18:19] op_sel:[0,1]
	v_pk_fma_f32 v[32:33], v[30:31], v[14:15], v[28:29] op_sel:[0,0,1] op_sel_hi:[1,1,0] neg_lo:[0,0,1] neg_hi:[0,0,1]
	v_pk_fma_f32 v[28:29], v[30:31], v[14:15], v[28:29] op_sel:[0,0,1] op_sel_hi:[1,0,0]
	s_delay_alu instid0(VALU_DEP_1)
	v_mov_b32_e32 v33, v29
	ds_load_2addr_b64 v[28:31], v168 offset0:24 offset1:25
	v_pk_add_f32 v[96:97], v[96:97], v[42:43] neg_lo:[0,1] neg_hi:[0,1]
	v_pk_add_f32 v[92:93], v[92:93], v[32:33] neg_lo:[0,1] neg_hi:[0,1]
	s_wait_dscnt 0x0
	v_pk_mul_f32 v[32:33], v[28:29], v[18:19] op_sel:[0,1]
	s_delay_alu instid0(VALU_DEP_1) | instskip(SKIP_2) | instid1(VALU_DEP_2)
	v_pk_fma_f32 v[42:43], v[28:29], v[14:15], v[32:33] op_sel:[0,0,1] op_sel_hi:[1,1,0] neg_lo:[0,0,1] neg_hi:[0,0,1]
	v_pk_fma_f32 v[28:29], v[28:29], v[14:15], v[32:33] op_sel:[0,0,1] op_sel_hi:[1,0,0]
	v_dual_mul_f32 v32, v31, v19 :: v_dual_mov_b32 v28, v31
	v_dual_mov_b32 v43, v29 :: v_dual_mov_b32 v29, v30
	s_delay_alu instid0(VALU_DEP_2) | instskip(SKIP_1) | instid1(VALU_DEP_3)
	v_pk_fma_f32 v[32:33], v[30:31], v[94:95], v[32:33] op_sel_hi:[1,1,0] neg_lo:[0,0,1] neg_hi:[0,0,1]
	v_mul_f32_e32 v30, v31, v14
	v_pk_add_f32 v[114:115], v[114:115], v[42:43] neg_lo:[0,1] neg_hi:[0,1]
	s_delay_alu instid0(VALU_DEP_2) | instskip(NEXT) | instid1(VALU_DEP_1)
	v_pk_fma_f32 v[28:29], v[28:29], v[94:95], v[30:31] op_sel_hi:[1,1,0]
	v_mov_b32_e32 v33, v29
	ds_load_2addr_b64 v[28:31], v168 offset0:26 offset1:27
	v_pk_add_f32 v[110:111], v[110:111], v[32:33] neg_lo:[0,1] neg_hi:[0,1]
	s_wait_dscnt 0x0
	v_pk_mul_f32 v[32:33], v[28:29], v[18:19] op_sel:[0,1]
	s_delay_alu instid0(VALU_DEP_1) | instskip(SKIP_1) | instid1(VALU_DEP_1)
	v_pk_fma_f32 v[42:43], v[28:29], v[14:15], v[32:33] op_sel:[0,0,1] op_sel_hi:[1,1,0] neg_lo:[0,0,1] neg_hi:[0,0,1]
	v_pk_fma_f32 v[28:29], v[28:29], v[14:15], v[32:33] op_sel:[0,0,1] op_sel_hi:[1,0,0]
	v_mov_b32_e32 v43, v29
	v_pk_mul_f32 v[28:29], v[30:31], v[18:19] op_sel:[0,1]
	s_delay_alu instid0(VALU_DEP_1) | instskip(SKIP_1) | instid1(VALU_DEP_1)
	v_pk_fma_f32 v[32:33], v[30:31], v[14:15], v[28:29] op_sel:[0,0,1] op_sel_hi:[1,1,0] neg_lo:[0,0,1] neg_hi:[0,0,1]
	v_pk_fma_f32 v[28:29], v[30:31], v[14:15], v[28:29] op_sel:[0,0,1] op_sel_hi:[1,0,0]
	v_mov_b32_e32 v33, v29
	ds_load_2addr_b64 v[28:31], v168 offset0:28 offset1:29
	v_pk_add_f32 v[112:113], v[112:113], v[42:43] neg_lo:[0,1] neg_hi:[0,1]
	v_pk_add_f32 v[108:109], v[108:109], v[32:33] neg_lo:[0,1] neg_hi:[0,1]
	s_wait_dscnt 0x0
	v_pk_mul_f32 v[32:33], v[28:29], v[18:19] op_sel:[0,1]
	s_delay_alu instid0(VALU_DEP_1) | instskip(SKIP_1) | instid1(VALU_DEP_1)
	v_pk_fma_f32 v[42:43], v[28:29], v[14:15], v[32:33] op_sel:[0,0,1] op_sel_hi:[1,1,0] neg_lo:[0,0,1] neg_hi:[0,0,1]
	v_pk_fma_f32 v[28:29], v[28:29], v[14:15], v[32:33] op_sel:[0,0,1] op_sel_hi:[1,0,0]
	v_mov_b32_e32 v43, v29
	v_pk_mul_f32 v[28:29], v[30:31], v[18:19] op_sel:[0,1]
	s_delay_alu instid0(VALU_DEP_1) | instskip(SKIP_1) | instid1(VALU_DEP_1)
	v_pk_fma_f32 v[32:33], v[30:31], v[14:15], v[28:29] op_sel:[0,0,1] op_sel_hi:[1,1,0] neg_lo:[0,0,1] neg_hi:[0,0,1]
	v_pk_fma_f32 v[28:29], v[30:31], v[14:15], v[28:29] op_sel:[0,0,1] op_sel_hi:[1,0,0]
	v_mov_b32_e32 v33, v29
	ds_load_2addr_b64 v[28:31], v168 offset0:30 offset1:31
	v_pk_add_f32 v[130:131], v[130:131], v[42:43] neg_lo:[0,1] neg_hi:[0,1]
	v_pk_add_f32 v[126:127], v[126:127], v[32:33] neg_lo:[0,1] neg_hi:[0,1]
	s_wait_dscnt 0x0
	v_dual_mul_f32 v32, v29, v19 :: v_dual_mul_f32 v42, v29, v14
	s_delay_alu instid0(VALU_DEP_1) | instskip(NEXT) | instid1(VALU_DEP_2)
	v_pk_fma_f32 v[32:33], v[28:29], v[94:95], v[32:33] op_sel_hi:[1,1,0] neg_lo:[0,0,1] neg_hi:[0,0,1]
	v_pk_fma_f32 v[28:29], v[28:29], v[94:95], v[42:43] op_sel:[1,0,0] op_sel_hi:[0,1,0]
	s_delay_alu instid0(VALU_DEP_1) | instskip(SKIP_1) | instid1(VALU_DEP_2)
	v_mov_b32_e32 v33, v29
	v_pk_mul_f32 v[28:29], v[30:31], v[18:19] op_sel:[0,1]
	v_pk_add_f32 v[128:129], v[128:129], v[32:33] neg_lo:[0,1] neg_hi:[0,1]
	s_delay_alu instid0(VALU_DEP_2) | instskip(SKIP_1) | instid1(VALU_DEP_1)
	v_pk_fma_f32 v[32:33], v[30:31], v[14:15], v[28:29] op_sel:[0,0,1] op_sel_hi:[1,1,0] neg_lo:[0,0,1] neg_hi:[0,0,1]
	v_pk_fma_f32 v[28:29], v[30:31], v[14:15], v[28:29] op_sel:[0,0,1] op_sel_hi:[1,0,0]
	v_mov_b32_e32 v33, v29
	ds_load_2addr_b64 v[28:31], v168 offset0:32 offset1:33
	v_pk_add_f32 v[124:125], v[124:125], v[32:33] neg_lo:[0,1] neg_hi:[0,1]
	s_wait_dscnt 0x0
	v_pk_mul_f32 v[32:33], v[28:29], v[18:19] op_sel:[0,1]
	s_delay_alu instid0(VALU_DEP_1) | instskip(SKIP_1) | instid1(VALU_DEP_1)
	v_pk_fma_f32 v[42:43], v[28:29], v[14:15], v[32:33] op_sel:[0,0,1] op_sel_hi:[1,1,0] neg_lo:[0,0,1] neg_hi:[0,0,1]
	v_pk_fma_f32 v[28:29], v[28:29], v[14:15], v[32:33] op_sel:[0,0,1] op_sel_hi:[1,0,0]
	v_mov_b32_e32 v43, v29
	v_pk_mul_f32 v[28:29], v[30:31], v[18:19] op_sel:[0,1]
	s_delay_alu instid0(VALU_DEP_2) | instskip(NEXT) | instid1(VALU_DEP_2)
	v_pk_add_f32 v[146:147], v[146:147], v[42:43] neg_lo:[0,1] neg_hi:[0,1]
	v_pk_fma_f32 v[32:33], v[30:31], v[14:15], v[28:29] op_sel:[0,0,1] op_sel_hi:[1,1,0] neg_lo:[0,0,1] neg_hi:[0,0,1]
	v_pk_fma_f32 v[28:29], v[30:31], v[14:15], v[28:29] op_sel:[0,0,1] op_sel_hi:[1,0,0]
	s_delay_alu instid0(VALU_DEP_1) | instskip(SKIP_4) | instid1(VALU_DEP_1)
	v_mov_b32_e32 v33, v29
	ds_load_2addr_b64 v[28:31], v168 offset0:34 offset1:35
	v_pk_add_f32 v[142:143], v[142:143], v[32:33] neg_lo:[0,1] neg_hi:[0,1]
	s_wait_dscnt 0x0
	v_pk_mul_f32 v[32:33], v[28:29], v[18:19] op_sel:[0,1]
	v_pk_fma_f32 v[42:43], v[28:29], v[14:15], v[32:33] op_sel:[0,0,1] op_sel_hi:[1,1,0] neg_lo:[0,0,1] neg_hi:[0,0,1]
	v_pk_fma_f32 v[28:29], v[28:29], v[14:15], v[32:33] op_sel:[0,0,1] op_sel_hi:[1,0,0]
	v_dual_mul_f32 v32, v31, v19 :: v_dual_mov_b32 v28, v31
	s_delay_alu instid0(VALU_DEP_2) | instskip(NEXT) | instid1(VALU_DEP_2)
	v_dual_mov_b32 v43, v29 :: v_dual_mov_b32 v29, v30
	v_pk_fma_f32 v[32:33], v[30:31], v[94:95], v[32:33] op_sel_hi:[1,1,0] neg_lo:[0,0,1] neg_hi:[0,0,1]
	v_mul_f32_e32 v30, v31, v14
	s_delay_alu instid0(VALU_DEP_3) | instskip(NEXT) | instid1(VALU_DEP_2)
	v_pk_add_f32 v[144:145], v[144:145], v[42:43] neg_lo:[0,1] neg_hi:[0,1]
	v_pk_fma_f32 v[28:29], v[28:29], v[94:95], v[30:31] op_sel_hi:[1,1,0]
	s_delay_alu instid0(VALU_DEP_1) | instskip(SKIP_4) | instid1(VALU_DEP_1)
	v_mov_b32_e32 v33, v29
	ds_load_2addr_b64 v[28:31], v168 offset0:36 offset1:37
	v_pk_add_f32 v[140:141], v[140:141], v[32:33] neg_lo:[0,1] neg_hi:[0,1]
	s_wait_dscnt 0x0
	v_pk_mul_f32 v[32:33], v[28:29], v[18:19] op_sel:[0,1]
	v_pk_fma_f32 v[42:43], v[28:29], v[14:15], v[32:33] op_sel:[0,0,1] op_sel_hi:[1,1,0] neg_lo:[0,0,1] neg_hi:[0,0,1]
	v_pk_fma_f32 v[28:29], v[28:29], v[14:15], v[32:33] op_sel:[0,0,1] op_sel_hi:[1,0,0]
	s_delay_alu instid0(VALU_DEP_1) | instskip(SKIP_1) | instid1(VALU_DEP_1)
	v_mov_b32_e32 v43, v29
	v_pk_mul_f32 v[28:29], v[30:31], v[18:19] op_sel:[0,1]
	v_pk_fma_f32 v[32:33], v[30:31], v[14:15], v[28:29] op_sel:[0,0,1] op_sel_hi:[1,1,0] neg_lo:[0,0,1] neg_hi:[0,0,1]
	v_pk_fma_f32 v[28:29], v[30:31], v[14:15], v[28:29] op_sel:[0,0,1] op_sel_hi:[1,0,0]
	s_delay_alu instid0(VALU_DEP_1)
	v_mov_b32_e32 v33, v29
	ds_load_2addr_b64 v[28:31], v168 offset0:38 offset1:39
	v_pk_add_f32 v[162:163], v[162:163], v[42:43] neg_lo:[0,1] neg_hi:[0,1]
	v_pk_add_f32 v[158:159], v[158:159], v[32:33] neg_lo:[0,1] neg_hi:[0,1]
	s_wait_dscnt 0x0
	v_pk_mul_f32 v[32:33], v[28:29], v[18:19] op_sel:[0,1]
	s_delay_alu instid0(VALU_DEP_1) | instskip(SKIP_1) | instid1(VALU_DEP_1)
	v_pk_fma_f32 v[42:43], v[28:29], v[14:15], v[32:33] op_sel:[0,0,1] op_sel_hi:[1,1,0] neg_lo:[0,0,1] neg_hi:[0,0,1]
	v_pk_fma_f32 v[28:29], v[28:29], v[14:15], v[32:33] op_sel:[0,0,1] op_sel_hi:[1,0,0]
	v_mov_b32_e32 v43, v29
	v_pk_mul_f32 v[28:29], v[30:31], v[18:19] op_sel:[0,1]
	s_delay_alu instid0(VALU_DEP_1) | instskip(SKIP_1) | instid1(VALU_DEP_1)
	v_pk_fma_f32 v[32:33], v[30:31], v[14:15], v[28:29] op_sel:[0,0,1] op_sel_hi:[1,1,0] neg_lo:[0,0,1] neg_hi:[0,0,1]
	v_pk_fma_f32 v[28:29], v[30:31], v[14:15], v[28:29] op_sel:[0,0,1] op_sel_hi:[1,0,0]
	v_mov_b32_e32 v33, v29
	ds_load_2addr_b64 v[28:31], v168 offset0:40 offset1:41
	v_pk_add_f32 v[160:161], v[160:161], v[42:43] neg_lo:[0,1] neg_hi:[0,1]
	v_pk_add_f32 v[156:157], v[156:157], v[32:33] neg_lo:[0,1] neg_hi:[0,1]
	s_wait_dscnt 0x0
	v_dual_mul_f32 v32, v29, v19 :: v_dual_mul_f32 v42, v29, v14
	s_delay_alu instid0(VALU_DEP_1) | instskip(NEXT) | instid1(VALU_DEP_2)
	v_pk_fma_f32 v[32:33], v[28:29], v[94:95], v[32:33] op_sel_hi:[1,1,0] neg_lo:[0,0,1] neg_hi:[0,0,1]
	v_pk_fma_f32 v[28:29], v[28:29], v[94:95], v[42:43] op_sel:[1,0,0] op_sel_hi:[0,1,0]
	s_delay_alu instid0(VALU_DEP_1) | instskip(SKIP_1) | instid1(VALU_DEP_2)
	v_mov_b32_e32 v33, v29
	v_pk_mul_f32 v[28:29], v[30:31], v[18:19] op_sel:[0,1]
	v_pk_add_f32 v[178:179], v[178:179], v[32:33] neg_lo:[0,1] neg_hi:[0,1]
	s_delay_alu instid0(VALU_DEP_2) | instskip(SKIP_1) | instid1(VALU_DEP_1)
	v_pk_fma_f32 v[32:33], v[30:31], v[14:15], v[28:29] op_sel:[0,0,1] op_sel_hi:[1,1,0] neg_lo:[0,0,1] neg_hi:[0,0,1]
	v_pk_fma_f32 v[28:29], v[30:31], v[14:15], v[28:29] op_sel:[0,0,1] op_sel_hi:[1,0,0]
	v_mov_b32_e32 v33, v29
	ds_load_2addr_b64 v[28:31], v168 offset0:42 offset1:43
	v_pk_add_f32 v[174:175], v[174:175], v[32:33] neg_lo:[0,1] neg_hi:[0,1]
	s_wait_dscnt 0x0
	v_pk_mul_f32 v[32:33], v[28:29], v[18:19] op_sel:[0,1]
	s_delay_alu instid0(VALU_DEP_1) | instskip(SKIP_1) | instid1(VALU_DEP_1)
	v_pk_fma_f32 v[42:43], v[28:29], v[14:15], v[32:33] op_sel:[0,0,1] op_sel_hi:[1,1,0] neg_lo:[0,0,1] neg_hi:[0,0,1]
	v_pk_fma_f32 v[28:29], v[28:29], v[14:15], v[32:33] op_sel:[0,0,1] op_sel_hi:[1,0,0]
	v_mov_b32_e32 v43, v29
	v_pk_mul_f32 v[28:29], v[30:31], v[18:19] op_sel:[0,1]
	s_delay_alu instid0(VALU_DEP_2) | instskip(NEXT) | instid1(VALU_DEP_2)
	v_pk_add_f32 v[176:177], v[176:177], v[42:43] neg_lo:[0,1] neg_hi:[0,1]
	v_pk_fma_f32 v[32:33], v[30:31], v[14:15], v[28:29] op_sel:[0,0,1] op_sel_hi:[1,1,0] neg_lo:[0,0,1] neg_hi:[0,0,1]
	v_pk_fma_f32 v[28:29], v[30:31], v[14:15], v[28:29] op_sel:[0,0,1] op_sel_hi:[1,0,0]
	s_delay_alu instid0(VALU_DEP_1) | instskip(SKIP_4) | instid1(VALU_DEP_1)
	v_mov_b32_e32 v33, v29
	ds_load_2addr_b64 v[28:31], v168 offset0:44 offset1:45
	v_pk_add_f32 v[172:173], v[172:173], v[32:33] neg_lo:[0,1] neg_hi:[0,1]
	s_wait_dscnt 0x0
	v_pk_mul_f32 v[32:33], v[28:29], v[18:19] op_sel:[0,1]
	v_pk_fma_f32 v[42:43], v[28:29], v[14:15], v[32:33] op_sel:[0,0,1] op_sel_hi:[1,1,0] neg_lo:[0,0,1] neg_hi:[0,0,1]
	v_pk_fma_f32 v[28:29], v[28:29], v[14:15], v[32:33] op_sel:[0,0,1] op_sel_hi:[1,0,0]
	v_dual_mul_f32 v32, v31, v19 :: v_dual_mov_b32 v28, v31
	s_delay_alu instid0(VALU_DEP_2) | instskip(NEXT) | instid1(VALU_DEP_2)
	v_dual_mov_b32 v43, v29 :: v_dual_mov_b32 v29, v30
	v_pk_fma_f32 v[32:33], v[30:31], v[94:95], v[32:33] op_sel_hi:[1,1,0] neg_lo:[0,0,1] neg_hi:[0,0,1]
	v_mul_f32_e32 v30, v31, v14
	s_delay_alu instid0(VALU_DEP_3) | instskip(NEXT) | instid1(VALU_DEP_2)
	v_pk_add_f32 v[198:199], v[198:199], v[42:43] neg_lo:[0,1] neg_hi:[0,1]
	v_pk_fma_f32 v[28:29], v[28:29], v[94:95], v[30:31] op_sel_hi:[1,1,0]
	s_delay_alu instid0(VALU_DEP_1) | instskip(SKIP_4) | instid1(VALU_DEP_1)
	v_mov_b32_e32 v33, v29
	ds_load_2addr_b64 v[28:31], v168 offset0:46 offset1:47
	v_pk_add_f32 v[194:195], v[194:195], v[32:33] neg_lo:[0,1] neg_hi:[0,1]
	s_wait_dscnt 0x0
	v_pk_mul_f32 v[32:33], v[28:29], v[18:19] op_sel:[0,1]
	v_pk_fma_f32 v[42:43], v[28:29], v[14:15], v[32:33] op_sel:[0,0,1] op_sel_hi:[1,1,0] neg_lo:[0,0,1] neg_hi:[0,0,1]
	v_pk_fma_f32 v[28:29], v[28:29], v[14:15], v[32:33] op_sel:[0,0,1] op_sel_hi:[1,0,0]
	s_delay_alu instid0(VALU_DEP_1) | instskip(SKIP_1) | instid1(VALU_DEP_1)
	v_mov_b32_e32 v43, v29
	v_pk_mul_f32 v[28:29], v[30:31], v[18:19] op_sel:[0,1]
	v_pk_fma_f32 v[32:33], v[30:31], v[14:15], v[28:29] op_sel:[0,0,1] op_sel_hi:[1,1,0] neg_lo:[0,0,1] neg_hi:[0,0,1]
	v_pk_fma_f32 v[28:29], v[30:31], v[14:15], v[28:29] op_sel:[0,0,1] op_sel_hi:[1,0,0]
	s_delay_alu instid0(VALU_DEP_1)
	v_mov_b32_e32 v33, v29
	ds_load_2addr_b64 v[28:31], v168 offset0:48 offset1:49
	v_pk_add_f32 v[196:197], v[196:197], v[42:43] neg_lo:[0,1] neg_hi:[0,1]
	v_pk_add_f32 v[192:193], v[192:193], v[32:33] neg_lo:[0,1] neg_hi:[0,1]
	s_wait_dscnt 0x0
	v_pk_mul_f32 v[32:33], v[28:29], v[18:19] op_sel:[0,1]
	s_delay_alu instid0(VALU_DEP_1) | instskip(SKIP_1) | instid1(VALU_DEP_1)
	v_pk_fma_f32 v[42:43], v[28:29], v[14:15], v[32:33] op_sel:[0,0,1] op_sel_hi:[1,1,0] neg_lo:[0,0,1] neg_hi:[0,0,1]
	v_pk_fma_f32 v[28:29], v[28:29], v[14:15], v[32:33] op_sel:[0,0,1] op_sel_hi:[1,0,0]
	v_mov_b32_e32 v43, v29
	v_pk_mul_f32 v[28:29], v[30:31], v[18:19] op_sel:[0,1]
	s_delay_alu instid0(VALU_DEP_1) | instskip(SKIP_1) | instid1(VALU_DEP_1)
	v_pk_fma_f32 v[32:33], v[30:31], v[14:15], v[28:29] op_sel:[0,0,1] op_sel_hi:[1,1,0] neg_lo:[0,0,1] neg_hi:[0,0,1]
	v_pk_fma_f32 v[28:29], v[30:31], v[14:15], v[28:29] op_sel:[0,0,1] op_sel_hi:[1,0,0]
	v_mov_b32_e32 v33, v29
	ds_load_2addr_b64 v[28:31], v168 offset0:50 offset1:51
	v_pk_add_f32 v[220:221], v[220:221], v[42:43] neg_lo:[0,1] neg_hi:[0,1]
	v_pk_add_f32 v[214:215], v[214:215], v[32:33] neg_lo:[0,1] neg_hi:[0,1]
	s_wait_dscnt 0x0
	v_dual_mul_f32 v32, v29, v19 :: v_dual_mul_f32 v42, v29, v14
	s_delay_alu instid0(VALU_DEP_1) | instskip(NEXT) | instid1(VALU_DEP_2)
	v_pk_fma_f32 v[32:33], v[28:29], v[94:95], v[32:33] op_sel_hi:[1,1,0] neg_lo:[0,0,1] neg_hi:[0,0,1]
	v_pk_fma_f32 v[28:29], v[28:29], v[94:95], v[42:43] op_sel:[1,0,0] op_sel_hi:[0,1,0]
	s_delay_alu instid0(VALU_DEP_1) | instskip(SKIP_1) | instid1(VALU_DEP_2)
	v_mov_b32_e32 v33, v29
	v_pk_mul_f32 v[28:29], v[30:31], v[18:19] op_sel:[0,1]
	v_pk_add_f32 v[218:219], v[218:219], v[32:33] neg_lo:[0,1] neg_hi:[0,1]
	s_delay_alu instid0(VALU_DEP_2) | instskip(SKIP_1) | instid1(VALU_DEP_1)
	v_pk_fma_f32 v[32:33], v[30:31], v[14:15], v[28:29] op_sel:[0,0,1] op_sel_hi:[1,1,0] neg_lo:[0,0,1] neg_hi:[0,0,1]
	v_pk_fma_f32 v[28:29], v[30:31], v[14:15], v[28:29] op_sel:[0,0,1] op_sel_hi:[1,0,0]
	v_mov_b32_e32 v33, v29
	ds_load_2addr_b64 v[28:31], v168 offset0:52 offset1:53
	v_pk_add_f32 v[212:213], v[212:213], v[32:33] neg_lo:[0,1] neg_hi:[0,1]
	s_wait_dscnt 0x0
	v_pk_mul_f32 v[32:33], v[28:29], v[18:19] op_sel:[0,1]
	s_delay_alu instid0(VALU_DEP_1) | instskip(SKIP_1) | instid1(VALU_DEP_1)
	v_pk_fma_f32 v[42:43], v[28:29], v[14:15], v[32:33] op_sel:[0,0,1] op_sel_hi:[1,1,0] neg_lo:[0,0,1] neg_hi:[0,0,1]
	v_pk_fma_f32 v[28:29], v[28:29], v[14:15], v[32:33] op_sel:[0,0,1] op_sel_hi:[1,0,0]
	v_mov_b32_e32 v43, v29
	v_pk_mul_f32 v[28:29], v[30:31], v[18:19] op_sel:[0,1]
	s_delay_alu instid0(VALU_DEP_2) | instskip(NEXT) | instid1(VALU_DEP_2)
	v_pk_add_f32 v[216:217], v[216:217], v[42:43] neg_lo:[0,1] neg_hi:[0,1]
	v_pk_fma_f32 v[32:33], v[30:31], v[14:15], v[28:29] op_sel:[0,0,1] op_sel_hi:[1,1,0] neg_lo:[0,0,1] neg_hi:[0,0,1]
	v_pk_fma_f32 v[28:29], v[30:31], v[14:15], v[28:29] op_sel:[0,0,1] op_sel_hi:[1,0,0]
	s_delay_alu instid0(VALU_DEP_1)
	v_mov_b32_e32 v33, v29
	ds_load_2addr_b64 v[28:31], v168 offset0:54 offset1:55
	v_pk_add_f32 v[210:211], v[210:211], v[32:33] neg_lo:[0,1] neg_hi:[0,1]
	s_wait_dscnt 0x0
	v_pk_mul_f32 v[32:33], v[28:29], v[18:19] op_sel:[0,1]
	v_pk_mul_f32 v[18:19], v[30:31], v[18:19] op_sel:[0,1]
	s_delay_alu instid0(VALU_DEP_2) | instskip(SKIP_1) | instid1(VALU_DEP_1)
	v_pk_fma_f32 v[42:43], v[28:29], v[14:15], v[32:33] op_sel:[0,0,1] op_sel_hi:[1,1,0] neg_lo:[0,0,1] neg_hi:[0,0,1]
	v_pk_fma_f32 v[28:29], v[28:29], v[14:15], v[32:33] op_sel:[0,0,1] op_sel_hi:[1,0,0]
	v_mov_b32_e32 v43, v29
	s_delay_alu instid0(VALU_DEP_4) | instskip(SKIP_1) | instid1(VALU_DEP_3)
	v_pk_fma_f32 v[28:29], v[30:31], v[14:15], v[18:19] op_sel:[0,0,1] op_sel_hi:[1,1,0] neg_lo:[0,0,1] neg_hi:[0,0,1]
	v_pk_fma_f32 v[14:15], v[30:31], v[14:15], v[18:19] op_sel:[0,0,1] op_sel_hi:[1,0,0]
	v_pk_add_f32 v[222:223], v[222:223], v[42:43] neg_lo:[0,1] neg_hi:[0,1]
	s_delay_alu instid0(VALU_DEP_2) | instskip(NEXT) | instid1(VALU_DEP_1)
	v_mov_b32_e32 v29, v15
	v_pk_add_f32 v[224:225], v[224:225], v[28:29] neg_lo:[0,1] neg_hi:[0,1]
.LBB111_199:
	s_or_b32 exec_lo, exec_lo, s1
	s_delay_alu instid0(SALU_CYCLE_1)
	s_mov_b32 s2, exec_lo
	s_wait_dscnt 0x0
	s_barrier_signal -1
	s_barrier_wait -1
	v_cmpx_eq_u32_e32 22, v166
	s_cbranch_execz .LBB111_206
; %bb.200:
	ds_store_b64 v167, v[96:97]
	ds_store_2addr_b64 v168, v[92:93], v[114:115] offset0:23 offset1:24
	ds_store_2addr_b64 v168, v[110:111], v[112:113] offset0:25 offset1:26
	;; [unrolled: 1-line block ×16, first 2 shown]
	ds_store_b64 v168, v[224:225] offset:440
	ds_load_b64 v[14:15], v167
	s_wait_dscnt 0x0
	v_cmp_neq_f32_e32 vcc_lo, 0, v14
	v_cmp_neq_f32_e64 s1, 0, v15
	s_or_b32 s1, vcc_lo, s1
	s_delay_alu instid0(SALU_CYCLE_1)
	s_and_b32 exec_lo, exec_lo, s1
	s_cbranch_execz .LBB111_206
; %bb.201:
	v_cmp_ngt_f32_e64 s1, |v14|, |v15|
                                        ; implicit-def: $vgpr18_vgpr19
	s_and_saveexec_b32 s4, s1
	s_delay_alu instid0(SALU_CYCLE_1)
	s_xor_b32 s1, exec_lo, s4
	s_cbranch_execz .LBB111_203
; %bb.202:
	v_div_scale_f32 v18, null, v15, v15, v14
	v_div_scale_f32 v29, vcc_lo, v14, v15, v14
	s_delay_alu instid0(VALU_DEP_2) | instskip(SKIP_1) | instid1(TRANS32_DEP_1)
	v_rcp_f32_e32 v19, v18
	v_nop
	v_fma_f32 v28, -v18, v19, 1.0
	s_delay_alu instid0(VALU_DEP_1) | instskip(NEXT) | instid1(VALU_DEP_1)
	v_fmac_f32_e32 v19, v28, v19
	v_mul_f32_e32 v28, v29, v19
	s_delay_alu instid0(VALU_DEP_1) | instskip(NEXT) | instid1(VALU_DEP_1)
	v_fma_f32 v30, -v18, v28, v29
	v_fmac_f32_e32 v28, v30, v19
	s_delay_alu instid0(VALU_DEP_1) | instskip(NEXT) | instid1(VALU_DEP_1)
	v_fma_f32 v18, -v18, v28, v29
	v_div_fmas_f32 v18, v18, v19, v28
	s_delay_alu instid0(VALU_DEP_1) | instskip(NEXT) | instid1(VALU_DEP_1)
	v_div_fixup_f32 v18, v18, v15, v14
	v_fmac_f32_e32 v15, v14, v18
	s_delay_alu instid0(VALU_DEP_1) | instskip(SKIP_1) | instid1(VALU_DEP_2)
	v_div_scale_f32 v14, null, v15, v15, 1.0
	v_div_scale_f32 v29, vcc_lo, 1.0, v15, 1.0
	v_rcp_f32_e32 v19, v14
	v_nop
	s_delay_alu instid0(TRANS32_DEP_1) | instskip(NEXT) | instid1(VALU_DEP_1)
	v_fma_f32 v28, -v14, v19, 1.0
	v_fmac_f32_e32 v19, v28, v19
	s_delay_alu instid0(VALU_DEP_1) | instskip(NEXT) | instid1(VALU_DEP_1)
	v_mul_f32_e32 v28, v29, v19
	v_fma_f32 v30, -v14, v28, v29
	s_delay_alu instid0(VALU_DEP_1) | instskip(NEXT) | instid1(VALU_DEP_1)
	v_fmac_f32_e32 v28, v30, v19
	v_fma_f32 v14, -v14, v28, v29
	s_delay_alu instid0(VALU_DEP_1) | instskip(NEXT) | instid1(VALU_DEP_1)
	v_div_fmas_f32 v14, v14, v19, v28
	v_div_fixup_f32 v14, v14, v15, 1.0
	s_delay_alu instid0(VALU_DEP_1)
	v_mul_f32_e32 v18, v18, v14
	v_xor_b32_e32 v19, 0x80000000, v14
                                        ; implicit-def: $vgpr14_vgpr15
.LBB111_203:
	s_and_not1_saveexec_b32 s1, s1
	s_cbranch_execz .LBB111_205
; %bb.204:
	v_div_scale_f32 v18, null, v14, v14, v15
	v_div_scale_f32 v29, vcc_lo, v15, v14, v15
	s_delay_alu instid0(VALU_DEP_2) | instskip(SKIP_1) | instid1(TRANS32_DEP_1)
	v_rcp_f32_e32 v19, v18
	v_nop
	v_fma_f32 v28, -v18, v19, 1.0
	s_delay_alu instid0(VALU_DEP_1) | instskip(NEXT) | instid1(VALU_DEP_1)
	v_fmac_f32_e32 v19, v28, v19
	v_mul_f32_e32 v28, v29, v19
	s_delay_alu instid0(VALU_DEP_1) | instskip(NEXT) | instid1(VALU_DEP_1)
	v_fma_f32 v30, -v18, v28, v29
	v_fmac_f32_e32 v28, v30, v19
	s_delay_alu instid0(VALU_DEP_1) | instskip(NEXT) | instid1(VALU_DEP_1)
	v_fma_f32 v18, -v18, v28, v29
	v_div_fmas_f32 v18, v18, v19, v28
	s_delay_alu instid0(VALU_DEP_1) | instskip(NEXT) | instid1(VALU_DEP_1)
	v_div_fixup_f32 v19, v18, v14, v15
	v_fmac_f32_e32 v14, v15, v19
	s_delay_alu instid0(VALU_DEP_1) | instskip(NEXT) | instid1(VALU_DEP_1)
	v_div_scale_f32 v15, null, v14, v14, 1.0
	v_rcp_f32_e32 v18, v15
	v_nop
	s_delay_alu instid0(TRANS32_DEP_1) | instskip(NEXT) | instid1(VALU_DEP_1)
	v_fma_f32 v28, -v15, v18, 1.0
	v_fmac_f32_e32 v18, v28, v18
	v_div_scale_f32 v28, vcc_lo, 1.0, v14, 1.0
	s_delay_alu instid0(VALU_DEP_1) | instskip(NEXT) | instid1(VALU_DEP_1)
	v_mul_f32_e32 v29, v28, v18
	v_fma_f32 v30, -v15, v29, v28
	s_delay_alu instid0(VALU_DEP_1) | instskip(NEXT) | instid1(VALU_DEP_1)
	v_fmac_f32_e32 v29, v30, v18
	v_fma_f32 v15, -v15, v29, v28
	s_delay_alu instid0(VALU_DEP_1) | instskip(NEXT) | instid1(VALU_DEP_1)
	v_div_fmas_f32 v15, v15, v18, v29
	v_div_fixup_f32 v18, v15, v14, 1.0
	s_delay_alu instid0(VALU_DEP_1)
	v_mul_f32_e64 v19, v19, -v18
.LBB111_205:
	s_or_b32 exec_lo, exec_lo, s1
	ds_store_b64 v167, v[18:19]
.LBB111_206:
	s_or_b32 exec_lo, exec_lo, s2
	s_wait_dscnt 0x0
	s_barrier_signal -1
	s_barrier_wait -1
	ds_load_b64 v[14:15], v167
	s_mov_b32 s1, exec_lo
	v_cmpx_lt_u32_e32 22, v166
	s_cbranch_execz .LBB111_208
; %bb.207:
	ds_load_2addr_b64 v[30:33], v168 offset0:23 offset1:24
	s_wait_dscnt 0x1
	v_pk_mul_f32 v[28:29], v[14:15], v[96:97] op_sel:[1,1] op_sel_hi:[0,1]
	s_delay_alu instid0(VALU_DEP_1) | instskip(SKIP_1) | instid1(VALU_DEP_1)
	v_pk_fma_f32 v[18:19], v[14:15], v[96:97], v[28:29] op_sel_hi:[1,0,1] neg_lo:[0,0,1] neg_hi:[0,0,1]
	v_pk_fma_f32 v[28:29], v[14:15], v[96:97], v[28:29] op_sel_hi:[1,0,1]
	v_dual_mov_b32 v96, v18 :: v_dual_mov_b32 v97, v29
	s_wait_dscnt 0x0
	s_delay_alu instid0(VALU_DEP_2) | instskip(NEXT) | instid1(VALU_DEP_1)
	v_pk_mul_f32 v[42:43], v[30:31], v[28:29] op_sel:[0,1]
	v_pk_fma_f32 v[48:49], v[30:31], v[18:19], v[42:43] op_sel:[0,0,1] op_sel_hi:[1,1,0] neg_lo:[0,0,1] neg_hi:[0,0,1]
	v_pk_fma_f32 v[30:31], v[30:31], v[18:19], v[42:43] op_sel:[0,0,1] op_sel_hi:[1,0,0]
	s_delay_alu instid0(VALU_DEP_1) | instskip(SKIP_1) | instid1(VALU_DEP_1)
	v_mov_b32_e32 v49, v31
	v_pk_mul_f32 v[30:31], v[32:33], v[28:29] op_sel:[0,1]
	v_pk_fma_f32 v[42:43], v[32:33], v[18:19], v[30:31] op_sel:[0,0,1] op_sel_hi:[1,1,0] neg_lo:[0,0,1] neg_hi:[0,0,1]
	v_pk_fma_f32 v[30:31], v[32:33], v[18:19], v[30:31] op_sel:[0,0,1] op_sel_hi:[1,0,0]
	s_delay_alu instid0(VALU_DEP_1)
	v_mov_b32_e32 v43, v31
	ds_load_2addr_b64 v[30:33], v168 offset0:25 offset1:26
	v_pk_add_f32 v[92:93], v[92:93], v[48:49] neg_lo:[0,1] neg_hi:[0,1]
	v_pk_add_f32 v[114:115], v[114:115], v[42:43] neg_lo:[0,1] neg_hi:[0,1]
	s_wait_dscnt 0x0
	v_pk_mul_f32 v[42:43], v[30:31], v[28:29] op_sel:[0,1]
	s_delay_alu instid0(VALU_DEP_1) | instskip(SKIP_2) | instid1(VALU_DEP_2)
	v_pk_fma_f32 v[48:49], v[30:31], v[18:19], v[42:43] op_sel:[0,0,1] op_sel_hi:[1,1,0] neg_lo:[0,0,1] neg_hi:[0,0,1]
	v_pk_fma_f32 v[30:31], v[30:31], v[18:19], v[42:43] op_sel:[0,0,1] op_sel_hi:[1,0,0]
	v_dual_mul_f32 v42, v33, v29 :: v_dual_mov_b32 v30, v33
	v_dual_mov_b32 v49, v31 :: v_dual_mov_b32 v31, v32
	s_delay_alu instid0(VALU_DEP_2) | instskip(SKIP_1) | instid1(VALU_DEP_3)
	v_pk_fma_f32 v[42:43], v[32:33], v[96:97], v[42:43] op_sel_hi:[1,1,0] neg_lo:[0,0,1] neg_hi:[0,0,1]
	v_mul_f32_e32 v32, v33, v18
	v_pk_add_f32 v[110:111], v[110:111], v[48:49] neg_lo:[0,1] neg_hi:[0,1]
	s_delay_alu instid0(VALU_DEP_2) | instskip(NEXT) | instid1(VALU_DEP_1)
	v_pk_fma_f32 v[30:31], v[30:31], v[96:97], v[32:33] op_sel_hi:[1,1,0]
	v_mov_b32_e32 v43, v31
	ds_load_2addr_b64 v[30:33], v168 offset0:27 offset1:28
	v_pk_add_f32 v[112:113], v[112:113], v[42:43] neg_lo:[0,1] neg_hi:[0,1]
	s_wait_dscnt 0x0
	v_pk_mul_f32 v[42:43], v[30:31], v[28:29] op_sel:[0,1]
	s_delay_alu instid0(VALU_DEP_1) | instskip(SKIP_1) | instid1(VALU_DEP_1)
	v_pk_fma_f32 v[48:49], v[30:31], v[18:19], v[42:43] op_sel:[0,0,1] op_sel_hi:[1,1,0] neg_lo:[0,0,1] neg_hi:[0,0,1]
	v_pk_fma_f32 v[30:31], v[30:31], v[18:19], v[42:43] op_sel:[0,0,1] op_sel_hi:[1,0,0]
	v_mov_b32_e32 v49, v31
	v_pk_mul_f32 v[30:31], v[32:33], v[28:29] op_sel:[0,1]
	s_delay_alu instid0(VALU_DEP_1) | instskip(SKIP_1) | instid1(VALU_DEP_1)
	v_pk_fma_f32 v[42:43], v[32:33], v[18:19], v[30:31] op_sel:[0,0,1] op_sel_hi:[1,1,0] neg_lo:[0,0,1] neg_hi:[0,0,1]
	v_pk_fma_f32 v[30:31], v[32:33], v[18:19], v[30:31] op_sel:[0,0,1] op_sel_hi:[1,0,0]
	v_mov_b32_e32 v43, v31
	ds_load_2addr_b64 v[30:33], v168 offset0:29 offset1:30
	v_pk_add_f32 v[108:109], v[108:109], v[48:49] neg_lo:[0,1] neg_hi:[0,1]
	v_pk_add_f32 v[130:131], v[130:131], v[42:43] neg_lo:[0,1] neg_hi:[0,1]
	s_wait_dscnt 0x0
	v_pk_mul_f32 v[42:43], v[30:31], v[28:29] op_sel:[0,1]
	s_delay_alu instid0(VALU_DEP_1) | instskip(SKIP_1) | instid1(VALU_DEP_1)
	v_pk_fma_f32 v[48:49], v[30:31], v[18:19], v[42:43] op_sel:[0,0,1] op_sel_hi:[1,1,0] neg_lo:[0,0,1] neg_hi:[0,0,1]
	v_pk_fma_f32 v[30:31], v[30:31], v[18:19], v[42:43] op_sel:[0,0,1] op_sel_hi:[1,0,0]
	v_mov_b32_e32 v49, v31
	v_pk_mul_f32 v[30:31], v[32:33], v[28:29] op_sel:[0,1]
	s_delay_alu instid0(VALU_DEP_1) | instskip(SKIP_1) | instid1(VALU_DEP_1)
	v_pk_fma_f32 v[42:43], v[32:33], v[18:19], v[30:31] op_sel:[0,0,1] op_sel_hi:[1,1,0] neg_lo:[0,0,1] neg_hi:[0,0,1]
	v_pk_fma_f32 v[30:31], v[32:33], v[18:19], v[30:31] op_sel:[0,0,1] op_sel_hi:[1,0,0]
	v_mov_b32_e32 v43, v31
	ds_load_2addr_b64 v[30:33], v168 offset0:31 offset1:32
	v_pk_add_f32 v[126:127], v[126:127], v[48:49] neg_lo:[0,1] neg_hi:[0,1]
	v_pk_add_f32 v[128:129], v[128:129], v[42:43] neg_lo:[0,1] neg_hi:[0,1]
	s_wait_dscnt 0x0
	v_dual_mul_f32 v42, v31, v29 :: v_dual_mul_f32 v48, v31, v18
	s_delay_alu instid0(VALU_DEP_1) | instskip(NEXT) | instid1(VALU_DEP_2)
	v_pk_fma_f32 v[42:43], v[30:31], v[96:97], v[42:43] op_sel_hi:[1,1,0] neg_lo:[0,0,1] neg_hi:[0,0,1]
	v_pk_fma_f32 v[30:31], v[30:31], v[96:97], v[48:49] op_sel:[1,0,0] op_sel_hi:[0,1,0]
	s_delay_alu instid0(VALU_DEP_1) | instskip(SKIP_1) | instid1(VALU_DEP_2)
	v_mov_b32_e32 v43, v31
	v_pk_mul_f32 v[30:31], v[32:33], v[28:29] op_sel:[0,1]
	v_pk_add_f32 v[124:125], v[124:125], v[42:43] neg_lo:[0,1] neg_hi:[0,1]
	s_delay_alu instid0(VALU_DEP_2) | instskip(SKIP_1) | instid1(VALU_DEP_1)
	v_pk_fma_f32 v[42:43], v[32:33], v[18:19], v[30:31] op_sel:[0,0,1] op_sel_hi:[1,1,0] neg_lo:[0,0,1] neg_hi:[0,0,1]
	v_pk_fma_f32 v[30:31], v[32:33], v[18:19], v[30:31] op_sel:[0,0,1] op_sel_hi:[1,0,0]
	v_mov_b32_e32 v43, v31
	ds_load_2addr_b64 v[30:33], v168 offset0:33 offset1:34
	v_pk_add_f32 v[146:147], v[146:147], v[42:43] neg_lo:[0,1] neg_hi:[0,1]
	s_wait_dscnt 0x0
	v_pk_mul_f32 v[42:43], v[30:31], v[28:29] op_sel:[0,1]
	s_delay_alu instid0(VALU_DEP_1) | instskip(SKIP_1) | instid1(VALU_DEP_1)
	v_pk_fma_f32 v[48:49], v[30:31], v[18:19], v[42:43] op_sel:[0,0,1] op_sel_hi:[1,1,0] neg_lo:[0,0,1] neg_hi:[0,0,1]
	v_pk_fma_f32 v[30:31], v[30:31], v[18:19], v[42:43] op_sel:[0,0,1] op_sel_hi:[1,0,0]
	v_mov_b32_e32 v49, v31
	v_pk_mul_f32 v[30:31], v[32:33], v[28:29] op_sel:[0,1]
	s_delay_alu instid0(VALU_DEP_2) | instskip(NEXT) | instid1(VALU_DEP_2)
	v_pk_add_f32 v[142:143], v[142:143], v[48:49] neg_lo:[0,1] neg_hi:[0,1]
	v_pk_fma_f32 v[42:43], v[32:33], v[18:19], v[30:31] op_sel:[0,0,1] op_sel_hi:[1,1,0] neg_lo:[0,0,1] neg_hi:[0,0,1]
	v_pk_fma_f32 v[30:31], v[32:33], v[18:19], v[30:31] op_sel:[0,0,1] op_sel_hi:[1,0,0]
	s_delay_alu instid0(VALU_DEP_1) | instskip(SKIP_4) | instid1(VALU_DEP_1)
	v_mov_b32_e32 v43, v31
	ds_load_2addr_b64 v[30:33], v168 offset0:35 offset1:36
	v_pk_add_f32 v[144:145], v[144:145], v[42:43] neg_lo:[0,1] neg_hi:[0,1]
	s_wait_dscnt 0x0
	v_pk_mul_f32 v[42:43], v[30:31], v[28:29] op_sel:[0,1]
	v_pk_fma_f32 v[48:49], v[30:31], v[18:19], v[42:43] op_sel:[0,0,1] op_sel_hi:[1,1,0] neg_lo:[0,0,1] neg_hi:[0,0,1]
	v_pk_fma_f32 v[30:31], v[30:31], v[18:19], v[42:43] op_sel:[0,0,1] op_sel_hi:[1,0,0]
	v_dual_mul_f32 v42, v33, v29 :: v_dual_mov_b32 v30, v33
	s_delay_alu instid0(VALU_DEP_2) | instskip(NEXT) | instid1(VALU_DEP_2)
	v_dual_mov_b32 v49, v31 :: v_dual_mov_b32 v31, v32
	v_pk_fma_f32 v[42:43], v[32:33], v[96:97], v[42:43] op_sel_hi:[1,1,0] neg_lo:[0,0,1] neg_hi:[0,0,1]
	v_mul_f32_e32 v32, v33, v18
	s_delay_alu instid0(VALU_DEP_3) | instskip(NEXT) | instid1(VALU_DEP_2)
	v_pk_add_f32 v[140:141], v[140:141], v[48:49] neg_lo:[0,1] neg_hi:[0,1]
	v_pk_fma_f32 v[30:31], v[30:31], v[96:97], v[32:33] op_sel_hi:[1,1,0]
	s_delay_alu instid0(VALU_DEP_1) | instskip(SKIP_4) | instid1(VALU_DEP_1)
	v_mov_b32_e32 v43, v31
	ds_load_2addr_b64 v[30:33], v168 offset0:37 offset1:38
	v_pk_add_f32 v[162:163], v[162:163], v[42:43] neg_lo:[0,1] neg_hi:[0,1]
	s_wait_dscnt 0x0
	v_pk_mul_f32 v[42:43], v[30:31], v[28:29] op_sel:[0,1]
	v_pk_fma_f32 v[48:49], v[30:31], v[18:19], v[42:43] op_sel:[0,0,1] op_sel_hi:[1,1,0] neg_lo:[0,0,1] neg_hi:[0,0,1]
	v_pk_fma_f32 v[30:31], v[30:31], v[18:19], v[42:43] op_sel:[0,0,1] op_sel_hi:[1,0,0]
	s_delay_alu instid0(VALU_DEP_1) | instskip(SKIP_1) | instid1(VALU_DEP_1)
	v_mov_b32_e32 v49, v31
	v_pk_mul_f32 v[30:31], v[32:33], v[28:29] op_sel:[0,1]
	v_pk_fma_f32 v[42:43], v[32:33], v[18:19], v[30:31] op_sel:[0,0,1] op_sel_hi:[1,1,0] neg_lo:[0,0,1] neg_hi:[0,0,1]
	v_pk_fma_f32 v[30:31], v[32:33], v[18:19], v[30:31] op_sel:[0,0,1] op_sel_hi:[1,0,0]
	s_delay_alu instid0(VALU_DEP_1)
	v_mov_b32_e32 v43, v31
	ds_load_2addr_b64 v[30:33], v168 offset0:39 offset1:40
	v_pk_add_f32 v[158:159], v[158:159], v[48:49] neg_lo:[0,1] neg_hi:[0,1]
	v_pk_add_f32 v[160:161], v[160:161], v[42:43] neg_lo:[0,1] neg_hi:[0,1]
	s_wait_dscnt 0x0
	v_pk_mul_f32 v[42:43], v[30:31], v[28:29] op_sel:[0,1]
	s_delay_alu instid0(VALU_DEP_1) | instskip(SKIP_1) | instid1(VALU_DEP_1)
	v_pk_fma_f32 v[48:49], v[30:31], v[18:19], v[42:43] op_sel:[0,0,1] op_sel_hi:[1,1,0] neg_lo:[0,0,1] neg_hi:[0,0,1]
	v_pk_fma_f32 v[30:31], v[30:31], v[18:19], v[42:43] op_sel:[0,0,1] op_sel_hi:[1,0,0]
	v_mov_b32_e32 v49, v31
	v_pk_mul_f32 v[30:31], v[32:33], v[28:29] op_sel:[0,1]
	s_delay_alu instid0(VALU_DEP_1) | instskip(SKIP_1) | instid1(VALU_DEP_1)
	v_pk_fma_f32 v[42:43], v[32:33], v[18:19], v[30:31] op_sel:[0,0,1] op_sel_hi:[1,1,0] neg_lo:[0,0,1] neg_hi:[0,0,1]
	v_pk_fma_f32 v[30:31], v[32:33], v[18:19], v[30:31] op_sel:[0,0,1] op_sel_hi:[1,0,0]
	v_mov_b32_e32 v43, v31
	ds_load_2addr_b64 v[30:33], v168 offset0:41 offset1:42
	v_pk_add_f32 v[156:157], v[156:157], v[48:49] neg_lo:[0,1] neg_hi:[0,1]
	v_pk_add_f32 v[178:179], v[178:179], v[42:43] neg_lo:[0,1] neg_hi:[0,1]
	s_wait_dscnt 0x0
	v_dual_mul_f32 v42, v31, v29 :: v_dual_mul_f32 v48, v31, v18
	s_delay_alu instid0(VALU_DEP_1) | instskip(NEXT) | instid1(VALU_DEP_2)
	v_pk_fma_f32 v[42:43], v[30:31], v[96:97], v[42:43] op_sel_hi:[1,1,0] neg_lo:[0,0,1] neg_hi:[0,0,1]
	v_pk_fma_f32 v[30:31], v[30:31], v[96:97], v[48:49] op_sel:[1,0,0] op_sel_hi:[0,1,0]
	s_delay_alu instid0(VALU_DEP_1) | instskip(SKIP_1) | instid1(VALU_DEP_2)
	v_mov_b32_e32 v43, v31
	v_pk_mul_f32 v[30:31], v[32:33], v[28:29] op_sel:[0,1]
	v_pk_add_f32 v[174:175], v[174:175], v[42:43] neg_lo:[0,1] neg_hi:[0,1]
	s_delay_alu instid0(VALU_DEP_2) | instskip(SKIP_1) | instid1(VALU_DEP_1)
	v_pk_fma_f32 v[42:43], v[32:33], v[18:19], v[30:31] op_sel:[0,0,1] op_sel_hi:[1,1,0] neg_lo:[0,0,1] neg_hi:[0,0,1]
	v_pk_fma_f32 v[30:31], v[32:33], v[18:19], v[30:31] op_sel:[0,0,1] op_sel_hi:[1,0,0]
	v_mov_b32_e32 v43, v31
	ds_load_2addr_b64 v[30:33], v168 offset0:43 offset1:44
	v_pk_add_f32 v[176:177], v[176:177], v[42:43] neg_lo:[0,1] neg_hi:[0,1]
	s_wait_dscnt 0x0
	v_pk_mul_f32 v[42:43], v[30:31], v[28:29] op_sel:[0,1]
	s_delay_alu instid0(VALU_DEP_1) | instskip(SKIP_1) | instid1(VALU_DEP_1)
	v_pk_fma_f32 v[48:49], v[30:31], v[18:19], v[42:43] op_sel:[0,0,1] op_sel_hi:[1,1,0] neg_lo:[0,0,1] neg_hi:[0,0,1]
	v_pk_fma_f32 v[30:31], v[30:31], v[18:19], v[42:43] op_sel:[0,0,1] op_sel_hi:[1,0,0]
	v_mov_b32_e32 v49, v31
	v_pk_mul_f32 v[30:31], v[32:33], v[28:29] op_sel:[0,1]
	s_delay_alu instid0(VALU_DEP_2) | instskip(NEXT) | instid1(VALU_DEP_2)
	v_pk_add_f32 v[172:173], v[172:173], v[48:49] neg_lo:[0,1] neg_hi:[0,1]
	v_pk_fma_f32 v[42:43], v[32:33], v[18:19], v[30:31] op_sel:[0,0,1] op_sel_hi:[1,1,0] neg_lo:[0,0,1] neg_hi:[0,0,1]
	v_pk_fma_f32 v[30:31], v[32:33], v[18:19], v[30:31] op_sel:[0,0,1] op_sel_hi:[1,0,0]
	s_delay_alu instid0(VALU_DEP_1) | instskip(SKIP_4) | instid1(VALU_DEP_1)
	v_mov_b32_e32 v43, v31
	ds_load_2addr_b64 v[30:33], v168 offset0:45 offset1:46
	v_pk_add_f32 v[198:199], v[198:199], v[42:43] neg_lo:[0,1] neg_hi:[0,1]
	s_wait_dscnt 0x0
	v_pk_mul_f32 v[42:43], v[30:31], v[28:29] op_sel:[0,1]
	v_pk_fma_f32 v[48:49], v[30:31], v[18:19], v[42:43] op_sel:[0,0,1] op_sel_hi:[1,1,0] neg_lo:[0,0,1] neg_hi:[0,0,1]
	v_pk_fma_f32 v[30:31], v[30:31], v[18:19], v[42:43] op_sel:[0,0,1] op_sel_hi:[1,0,0]
	v_dual_mul_f32 v42, v33, v29 :: v_dual_mov_b32 v30, v33
	s_delay_alu instid0(VALU_DEP_2) | instskip(NEXT) | instid1(VALU_DEP_2)
	v_dual_mov_b32 v49, v31 :: v_dual_mov_b32 v31, v32
	v_pk_fma_f32 v[42:43], v[32:33], v[96:97], v[42:43] op_sel_hi:[1,1,0] neg_lo:[0,0,1] neg_hi:[0,0,1]
	v_mul_f32_e32 v32, v33, v18
	s_delay_alu instid0(VALU_DEP_3) | instskip(NEXT) | instid1(VALU_DEP_2)
	v_pk_add_f32 v[194:195], v[194:195], v[48:49] neg_lo:[0,1] neg_hi:[0,1]
	v_pk_fma_f32 v[30:31], v[30:31], v[96:97], v[32:33] op_sel_hi:[1,1,0]
	s_delay_alu instid0(VALU_DEP_1) | instskip(SKIP_4) | instid1(VALU_DEP_1)
	v_mov_b32_e32 v43, v31
	ds_load_2addr_b64 v[30:33], v168 offset0:47 offset1:48
	v_pk_add_f32 v[196:197], v[196:197], v[42:43] neg_lo:[0,1] neg_hi:[0,1]
	s_wait_dscnt 0x0
	v_pk_mul_f32 v[42:43], v[30:31], v[28:29] op_sel:[0,1]
	v_pk_fma_f32 v[48:49], v[30:31], v[18:19], v[42:43] op_sel:[0,0,1] op_sel_hi:[1,1,0] neg_lo:[0,0,1] neg_hi:[0,0,1]
	v_pk_fma_f32 v[30:31], v[30:31], v[18:19], v[42:43] op_sel:[0,0,1] op_sel_hi:[1,0,0]
	s_delay_alu instid0(VALU_DEP_1) | instskip(SKIP_1) | instid1(VALU_DEP_1)
	v_mov_b32_e32 v49, v31
	v_pk_mul_f32 v[30:31], v[32:33], v[28:29] op_sel:[0,1]
	v_pk_fma_f32 v[42:43], v[32:33], v[18:19], v[30:31] op_sel:[0,0,1] op_sel_hi:[1,1,0] neg_lo:[0,0,1] neg_hi:[0,0,1]
	v_pk_fma_f32 v[30:31], v[32:33], v[18:19], v[30:31] op_sel:[0,0,1] op_sel_hi:[1,0,0]
	s_delay_alu instid0(VALU_DEP_1)
	v_mov_b32_e32 v43, v31
	ds_load_2addr_b64 v[30:33], v168 offset0:49 offset1:50
	v_pk_add_f32 v[192:193], v[192:193], v[48:49] neg_lo:[0,1] neg_hi:[0,1]
	v_pk_add_f32 v[220:221], v[220:221], v[42:43] neg_lo:[0,1] neg_hi:[0,1]
	s_wait_dscnt 0x0
	v_pk_mul_f32 v[42:43], v[30:31], v[28:29] op_sel:[0,1]
	s_delay_alu instid0(VALU_DEP_1) | instskip(SKIP_1) | instid1(VALU_DEP_1)
	v_pk_fma_f32 v[48:49], v[30:31], v[18:19], v[42:43] op_sel:[0,0,1] op_sel_hi:[1,1,0] neg_lo:[0,0,1] neg_hi:[0,0,1]
	v_pk_fma_f32 v[30:31], v[30:31], v[18:19], v[42:43] op_sel:[0,0,1] op_sel_hi:[1,0,0]
	v_mov_b32_e32 v49, v31
	v_pk_mul_f32 v[30:31], v[32:33], v[28:29] op_sel:[0,1]
	s_delay_alu instid0(VALU_DEP_1) | instskip(SKIP_1) | instid1(VALU_DEP_1)
	v_pk_fma_f32 v[42:43], v[32:33], v[18:19], v[30:31] op_sel:[0,0,1] op_sel_hi:[1,1,0] neg_lo:[0,0,1] neg_hi:[0,0,1]
	v_pk_fma_f32 v[30:31], v[32:33], v[18:19], v[30:31] op_sel:[0,0,1] op_sel_hi:[1,0,0]
	v_mov_b32_e32 v43, v31
	ds_load_2addr_b64 v[30:33], v168 offset0:51 offset1:52
	v_pk_add_f32 v[214:215], v[214:215], v[48:49] neg_lo:[0,1] neg_hi:[0,1]
	v_pk_add_f32 v[218:219], v[218:219], v[42:43] neg_lo:[0,1] neg_hi:[0,1]
	s_wait_dscnt 0x0
	v_dual_mul_f32 v42, v31, v29 :: v_dual_mul_f32 v48, v31, v18
	s_delay_alu instid0(VALU_DEP_1) | instskip(NEXT) | instid1(VALU_DEP_2)
	v_pk_fma_f32 v[42:43], v[30:31], v[96:97], v[42:43] op_sel_hi:[1,1,0] neg_lo:[0,0,1] neg_hi:[0,0,1]
	v_pk_fma_f32 v[30:31], v[30:31], v[96:97], v[48:49] op_sel:[1,0,0] op_sel_hi:[0,1,0]
	s_delay_alu instid0(VALU_DEP_1) | instskip(SKIP_1) | instid1(VALU_DEP_2)
	v_mov_b32_e32 v43, v31
	v_pk_mul_f32 v[30:31], v[32:33], v[28:29] op_sel:[0,1]
	v_pk_add_f32 v[212:213], v[212:213], v[42:43] neg_lo:[0,1] neg_hi:[0,1]
	s_delay_alu instid0(VALU_DEP_2) | instskip(SKIP_1) | instid1(VALU_DEP_1)
	v_pk_fma_f32 v[42:43], v[32:33], v[18:19], v[30:31] op_sel:[0,0,1] op_sel_hi:[1,1,0] neg_lo:[0,0,1] neg_hi:[0,0,1]
	v_pk_fma_f32 v[30:31], v[32:33], v[18:19], v[30:31] op_sel:[0,0,1] op_sel_hi:[1,0,0]
	v_mov_b32_e32 v43, v31
	ds_load_2addr_b64 v[30:33], v168 offset0:53 offset1:54
	v_pk_add_f32 v[216:217], v[216:217], v[42:43] neg_lo:[0,1] neg_hi:[0,1]
	s_wait_dscnt 0x0
	v_pk_mul_f32 v[42:43], v[30:31], v[28:29] op_sel:[0,1]
	s_delay_alu instid0(VALU_DEP_1) | instskip(SKIP_1) | instid1(VALU_DEP_1)
	v_pk_fma_f32 v[48:49], v[30:31], v[18:19], v[42:43] op_sel:[0,0,1] op_sel_hi:[1,1,0] neg_lo:[0,0,1] neg_hi:[0,0,1]
	v_pk_fma_f32 v[30:31], v[30:31], v[18:19], v[42:43] op_sel:[0,0,1] op_sel_hi:[1,0,0]
	v_mov_b32_e32 v49, v31
	v_pk_mul_f32 v[30:31], v[32:33], v[28:29] op_sel:[0,1]
	s_delay_alu instid0(VALU_DEP_2) | instskip(NEXT) | instid1(VALU_DEP_2)
	v_pk_add_f32 v[210:211], v[210:211], v[48:49] neg_lo:[0,1] neg_hi:[0,1]
	v_pk_fma_f32 v[42:43], v[32:33], v[18:19], v[30:31] op_sel:[0,0,1] op_sel_hi:[1,1,0] neg_lo:[0,0,1] neg_hi:[0,0,1]
	v_pk_fma_f32 v[30:31], v[32:33], v[18:19], v[30:31] op_sel:[0,0,1] op_sel_hi:[1,0,0]
	s_delay_alu instid0(VALU_DEP_1) | instskip(SKIP_4) | instid1(VALU_DEP_1)
	v_mov_b32_e32 v43, v31
	ds_load_b64 v[30:31], v168 offset:440
	v_pk_add_f32 v[222:223], v[222:223], v[42:43] neg_lo:[0,1] neg_hi:[0,1]
	s_wait_dscnt 0x0
	v_pk_mul_f32 v[28:29], v[30:31], v[28:29] op_sel:[0,1]
	v_pk_fma_f32 v[32:33], v[30:31], v[18:19], v[28:29] op_sel:[0,0,1] op_sel_hi:[1,1,0] neg_lo:[0,0,1] neg_hi:[0,0,1]
	v_pk_fma_f32 v[18:19], v[30:31], v[18:19], v[28:29] op_sel:[0,0,1] op_sel_hi:[1,0,0]
	s_delay_alu instid0(VALU_DEP_1) | instskip(NEXT) | instid1(VALU_DEP_1)
	v_mov_b32_e32 v33, v19
	v_pk_add_f32 v[224:225], v[224:225], v[32:33] neg_lo:[0,1] neg_hi:[0,1]
.LBB111_208:
	s_or_b32 exec_lo, exec_lo, s1
	s_delay_alu instid0(SALU_CYCLE_1)
	s_mov_b32 s2, exec_lo
	s_wait_dscnt 0x0
	s_barrier_signal -1
	s_barrier_wait -1
	v_cmpx_eq_u32_e32 23, v166
	s_cbranch_execz .LBB111_215
; %bb.209:
	v_dual_mov_b32 v18, v114 :: v_dual_mov_b32 v19, v115
	v_dual_mov_b32 v28, v110 :: v_dual_mov_b32 v29, v111
	ds_store_b64 v167, v[92:93]
	ds_store_2addr_b64 v168, v[18:19], v[28:29] offset0:24 offset1:25
	v_dual_mov_b32 v18, v112 :: v_dual_mov_b32 v19, v113
	v_dual_mov_b32 v28, v108 :: v_dual_mov_b32 v29, v109
	ds_store_2addr_b64 v168, v[18:19], v[28:29] offset0:26 offset1:27
	v_dual_mov_b32 v18, v130 :: v_dual_mov_b32 v19, v131
	v_dual_mov_b32 v28, v126 :: v_dual_mov_b32 v29, v127
	;; [unrolled: 3-line block ×14, first 2 shown]
	ds_store_2addr_b64 v168, v[18:19], v[28:29] offset0:52 offset1:53
	v_dual_mov_b32 v18, v222 :: v_dual_mov_b32 v19, v223
	ds_store_2addr_b64 v168, v[18:19], v[224:225] offset0:54 offset1:55
	ds_load_b64 v[18:19], v167
	s_wait_dscnt 0x0
	v_cmp_neq_f32_e32 vcc_lo, 0, v18
	v_cmp_neq_f32_e64 s1, 0, v19
	s_or_b32 s1, vcc_lo, s1
	s_delay_alu instid0(SALU_CYCLE_1)
	s_and_b32 exec_lo, exec_lo, s1
	s_cbranch_execz .LBB111_215
; %bb.210:
	v_cmp_ngt_f32_e64 s1, |v18|, |v19|
                                        ; implicit-def: $vgpr28_vgpr29
	s_and_saveexec_b32 s4, s1
	s_delay_alu instid0(SALU_CYCLE_1)
	s_xor_b32 s1, exec_lo, s4
	s_cbranch_execz .LBB111_212
; %bb.211:
	v_div_scale_f32 v28, null, v19, v19, v18
	v_div_scale_f32 v31, vcc_lo, v18, v19, v18
	s_delay_alu instid0(VALU_DEP_2) | instskip(SKIP_1) | instid1(TRANS32_DEP_1)
	v_rcp_f32_e32 v29, v28
	v_nop
	v_fma_f32 v30, -v28, v29, 1.0
	s_delay_alu instid0(VALU_DEP_1) | instskip(NEXT) | instid1(VALU_DEP_1)
	v_fmac_f32_e32 v29, v30, v29
	v_mul_f32_e32 v30, v31, v29
	s_delay_alu instid0(VALU_DEP_1) | instskip(NEXT) | instid1(VALU_DEP_1)
	v_fma_f32 v32, -v28, v30, v31
	v_fmac_f32_e32 v30, v32, v29
	s_delay_alu instid0(VALU_DEP_1) | instskip(NEXT) | instid1(VALU_DEP_1)
	v_fma_f32 v28, -v28, v30, v31
	v_div_fmas_f32 v28, v28, v29, v30
	s_delay_alu instid0(VALU_DEP_1) | instskip(NEXT) | instid1(VALU_DEP_1)
	v_div_fixup_f32 v28, v28, v19, v18
	v_fmac_f32_e32 v19, v18, v28
	s_delay_alu instid0(VALU_DEP_1) | instskip(SKIP_1) | instid1(VALU_DEP_2)
	v_div_scale_f32 v18, null, v19, v19, 1.0
	v_div_scale_f32 v31, vcc_lo, 1.0, v19, 1.0
	v_rcp_f32_e32 v29, v18
	v_nop
	s_delay_alu instid0(TRANS32_DEP_1) | instskip(NEXT) | instid1(VALU_DEP_1)
	v_fma_f32 v30, -v18, v29, 1.0
	v_fmac_f32_e32 v29, v30, v29
	s_delay_alu instid0(VALU_DEP_1) | instskip(NEXT) | instid1(VALU_DEP_1)
	v_mul_f32_e32 v30, v31, v29
	v_fma_f32 v32, -v18, v30, v31
	s_delay_alu instid0(VALU_DEP_1) | instskip(NEXT) | instid1(VALU_DEP_1)
	v_fmac_f32_e32 v30, v32, v29
	v_fma_f32 v18, -v18, v30, v31
	s_delay_alu instid0(VALU_DEP_1) | instskip(NEXT) | instid1(VALU_DEP_1)
	v_div_fmas_f32 v18, v18, v29, v30
	v_div_fixup_f32 v18, v18, v19, 1.0
	s_delay_alu instid0(VALU_DEP_1)
	v_mul_f32_e32 v28, v28, v18
	v_xor_b32_e32 v29, 0x80000000, v18
                                        ; implicit-def: $vgpr18_vgpr19
.LBB111_212:
	s_and_not1_saveexec_b32 s1, s1
	s_cbranch_execz .LBB111_214
; %bb.213:
	v_div_scale_f32 v28, null, v18, v18, v19
	v_div_scale_f32 v31, vcc_lo, v19, v18, v19
	s_delay_alu instid0(VALU_DEP_2) | instskip(SKIP_1) | instid1(TRANS32_DEP_1)
	v_rcp_f32_e32 v29, v28
	v_nop
	v_fma_f32 v30, -v28, v29, 1.0
	s_delay_alu instid0(VALU_DEP_1) | instskip(NEXT) | instid1(VALU_DEP_1)
	v_fmac_f32_e32 v29, v30, v29
	v_mul_f32_e32 v30, v31, v29
	s_delay_alu instid0(VALU_DEP_1) | instskip(NEXT) | instid1(VALU_DEP_1)
	v_fma_f32 v32, -v28, v30, v31
	v_fmac_f32_e32 v30, v32, v29
	s_delay_alu instid0(VALU_DEP_1) | instskip(NEXT) | instid1(VALU_DEP_1)
	v_fma_f32 v28, -v28, v30, v31
	v_div_fmas_f32 v28, v28, v29, v30
	s_delay_alu instid0(VALU_DEP_1) | instskip(NEXT) | instid1(VALU_DEP_1)
	v_div_fixup_f32 v29, v28, v18, v19
	v_fmac_f32_e32 v18, v19, v29
	s_delay_alu instid0(VALU_DEP_1) | instskip(NEXT) | instid1(VALU_DEP_1)
	v_div_scale_f32 v19, null, v18, v18, 1.0
	v_rcp_f32_e32 v28, v19
	v_nop
	s_delay_alu instid0(TRANS32_DEP_1) | instskip(NEXT) | instid1(VALU_DEP_1)
	v_fma_f32 v30, -v19, v28, 1.0
	v_fmac_f32_e32 v28, v30, v28
	v_div_scale_f32 v30, vcc_lo, 1.0, v18, 1.0
	s_delay_alu instid0(VALU_DEP_1) | instskip(NEXT) | instid1(VALU_DEP_1)
	v_mul_f32_e32 v31, v30, v28
	v_fma_f32 v32, -v19, v31, v30
	s_delay_alu instid0(VALU_DEP_1) | instskip(NEXT) | instid1(VALU_DEP_1)
	v_fmac_f32_e32 v31, v32, v28
	v_fma_f32 v19, -v19, v31, v30
	s_delay_alu instid0(VALU_DEP_1) | instskip(NEXT) | instid1(VALU_DEP_1)
	v_div_fmas_f32 v19, v19, v28, v31
	v_div_fixup_f32 v28, v19, v18, 1.0
	s_delay_alu instid0(VALU_DEP_1)
	v_mul_f32_e64 v29, v29, -v28
.LBB111_214:
	s_or_b32 exec_lo, exec_lo, s1
	ds_store_b64 v167, v[28:29]
.LBB111_215:
	s_or_b32 exec_lo, exec_lo, s2
	s_wait_dscnt 0x0
	s_barrier_signal -1
	s_barrier_wait -1
	ds_load_b64 v[18:19], v167
	s_mov_b32 s1, exec_lo
	v_cmpx_lt_u32_e32 23, v166
	s_cbranch_execz .LBB111_217
; %bb.216:
	ds_load_2addr_b64 v[48:51], v168 offset0:24 offset1:25
	s_wait_dscnt 0x1
	v_pk_mul_f32 v[30:31], v[18:19], v[92:93] op_sel:[1,1] op_sel_hi:[0,1]
	s_delay_alu instid0(VALU_DEP_1) | instskip(SKIP_1) | instid1(VALU_DEP_1)
	v_pk_fma_f32 v[28:29], v[18:19], v[92:93], v[30:31] op_sel_hi:[1,0,1] neg_lo:[0,0,1] neg_hi:[0,0,1]
	v_pk_fma_f32 v[30:31], v[18:19], v[92:93], v[30:31] op_sel_hi:[1,0,1]
	v_dual_mov_b32 v92, v28 :: v_dual_mov_b32 v93, v31
	s_wait_dscnt 0x0
	s_delay_alu instid0(VALU_DEP_2) | instskip(NEXT) | instid1(VALU_DEP_1)
	v_pk_mul_f32 v[32:33], v[48:49], v[30:31] op_sel:[0,1]
	v_pk_fma_f32 v[42:43], v[48:49], v[28:29], v[32:33] op_sel:[0,0,1] op_sel_hi:[1,1,0] neg_lo:[0,0,1] neg_hi:[0,0,1]
	v_pk_fma_f32 v[32:33], v[48:49], v[28:29], v[32:33] op_sel:[0,0,1] op_sel_hi:[1,0,0]
	s_delay_alu instid0(VALU_DEP_1) | instskip(SKIP_1) | instid1(VALU_DEP_2)
	v_mov_b32_e32 v43, v33
	v_pk_mul_f32 v[32:33], v[50:51], v[30:31] op_sel:[0,1]
	v_pk_add_f32 v[114:115], v[114:115], v[42:43] neg_lo:[0,1] neg_hi:[0,1]
	s_delay_alu instid0(VALU_DEP_2) | instskip(SKIP_3) | instid1(VALU_DEP_1)
	v_pk_fma_f32 v[42:43], v[50:51], v[28:29], v[32:33] op_sel:[0,0,1] op_sel_hi:[1,1,0] neg_lo:[0,0,1] neg_hi:[0,0,1]
	v_pk_fma_f32 v[32:33], v[50:51], v[28:29], v[32:33] op_sel:[0,0,1] op_sel_hi:[1,0,0]
	ds_load_2addr_b64 v[48:51], v168 offset0:26 offset1:27
	v_mov_b32_e32 v43, v33
	v_pk_add_f32 v[110:111], v[110:111], v[42:43] neg_lo:[0,1] neg_hi:[0,1]
	s_wait_dscnt 0x0
	v_pk_mul_f32 v[32:33], v[48:49], v[30:31] op_sel:[0,1]
	s_delay_alu instid0(VALU_DEP_1) | instskip(SKIP_2) | instid1(VALU_DEP_2)
	v_pk_fma_f32 v[42:43], v[48:49], v[28:29], v[32:33] op_sel:[0,0,1] op_sel_hi:[1,1,0] neg_lo:[0,0,1] neg_hi:[0,0,1]
	v_pk_fma_f32 v[32:33], v[48:49], v[28:29], v[32:33] op_sel:[0,0,1] op_sel_hi:[1,0,0]
	v_dual_mov_b32 v32, v51 :: v_dual_mul_f32 v48, v51, v28
	v_dual_mov_b32 v43, v33 :: v_dual_mov_b32 v33, v50
	s_delay_alu instid0(VALU_DEP_1) | instskip(SKIP_1) | instid1(VALU_DEP_3)
	v_pk_add_f32 v[112:113], v[112:113], v[42:43] neg_lo:[0,1] neg_hi:[0,1]
	v_mul_f32_e32 v42, v51, v31
	v_pk_fma_f32 v[32:33], v[32:33], v[92:93], v[48:49] op_sel_hi:[1,1,0]
	s_delay_alu instid0(VALU_DEP_2) | instskip(SKIP_2) | instid1(VALU_DEP_1)
	v_pk_fma_f32 v[42:43], v[50:51], v[92:93], v[42:43] op_sel_hi:[1,1,0] neg_lo:[0,0,1] neg_hi:[0,0,1]
	ds_load_2addr_b64 v[48:51], v168 offset0:28 offset1:29
	v_mov_b32_e32 v43, v33
	v_pk_add_f32 v[108:109], v[108:109], v[42:43] neg_lo:[0,1] neg_hi:[0,1]
	s_wait_dscnt 0x0
	v_pk_mul_f32 v[32:33], v[48:49], v[30:31] op_sel:[0,1]
	s_delay_alu instid0(VALU_DEP_1) | instskip(SKIP_1) | instid1(VALU_DEP_1)
	v_pk_fma_f32 v[42:43], v[48:49], v[28:29], v[32:33] op_sel:[0,0,1] op_sel_hi:[1,1,0] neg_lo:[0,0,1] neg_hi:[0,0,1]
	v_pk_fma_f32 v[32:33], v[48:49], v[28:29], v[32:33] op_sel:[0,0,1] op_sel_hi:[1,0,0]
	v_mov_b32_e32 v43, v33
	v_pk_mul_f32 v[32:33], v[50:51], v[30:31] op_sel:[0,1]
	s_delay_alu instid0(VALU_DEP_2) | instskip(NEXT) | instid1(VALU_DEP_2)
	v_pk_add_f32 v[130:131], v[130:131], v[42:43] neg_lo:[0,1] neg_hi:[0,1]
	v_pk_fma_f32 v[42:43], v[50:51], v[28:29], v[32:33] op_sel:[0,0,1] op_sel_hi:[1,1,0] neg_lo:[0,0,1] neg_hi:[0,0,1]
	v_pk_fma_f32 v[32:33], v[50:51], v[28:29], v[32:33] op_sel:[0,0,1] op_sel_hi:[1,0,0]
	ds_load_2addr_b64 v[48:51], v168 offset0:30 offset1:31
	v_mov_b32_e32 v43, v33
	s_delay_alu instid0(VALU_DEP_1) | instskip(SKIP_2) | instid1(VALU_DEP_1)
	v_pk_add_f32 v[126:127], v[126:127], v[42:43] neg_lo:[0,1] neg_hi:[0,1]
	s_wait_dscnt 0x0
	v_pk_mul_f32 v[32:33], v[48:49], v[30:31] op_sel:[0,1]
	v_pk_fma_f32 v[42:43], v[48:49], v[28:29], v[32:33] op_sel:[0,0,1] op_sel_hi:[1,1,0] neg_lo:[0,0,1] neg_hi:[0,0,1]
	v_pk_fma_f32 v[32:33], v[48:49], v[28:29], v[32:33] op_sel:[0,0,1] op_sel_hi:[1,0,0]
	s_delay_alu instid0(VALU_DEP_1) | instskip(SKIP_1) | instid1(VALU_DEP_2)
	v_mov_b32_e32 v43, v33
	v_pk_mul_f32 v[32:33], v[50:51], v[30:31] op_sel:[0,1]
	v_pk_add_f32 v[128:129], v[128:129], v[42:43] neg_lo:[0,1] neg_hi:[0,1]
	s_delay_alu instid0(VALU_DEP_2) | instskip(SKIP_3) | instid1(VALU_DEP_1)
	v_pk_fma_f32 v[42:43], v[50:51], v[28:29], v[32:33] op_sel:[0,0,1] op_sel_hi:[1,1,0] neg_lo:[0,0,1] neg_hi:[0,0,1]
	v_pk_fma_f32 v[32:33], v[50:51], v[28:29], v[32:33] op_sel:[0,0,1] op_sel_hi:[1,0,0]
	ds_load_2addr_b64 v[48:51], v168 offset0:32 offset1:33
	v_mov_b32_e32 v43, v33
	v_pk_add_f32 v[124:125], v[124:125], v[42:43] neg_lo:[0,1] neg_hi:[0,1]
	s_wait_dscnt 0x0
	v_dual_mul_f32 v32, v49, v31 :: v_dual_mul_f32 v42, v49, v28
	s_delay_alu instid0(VALU_DEP_1) | instskip(NEXT) | instid1(VALU_DEP_2)
	v_pk_fma_f32 v[32:33], v[48:49], v[92:93], v[32:33] op_sel_hi:[1,1,0] neg_lo:[0,0,1] neg_hi:[0,0,1]
	v_pk_fma_f32 v[42:43], v[48:49], v[92:93], v[42:43] op_sel:[1,0,0] op_sel_hi:[0,1,0]
	s_delay_alu instid0(VALU_DEP_1) | instskip(NEXT) | instid1(VALU_DEP_1)
	v_mov_b32_e32 v33, v43
	v_pk_add_f32 v[146:147], v[146:147], v[32:33] neg_lo:[0,1] neg_hi:[0,1]
	v_pk_mul_f32 v[32:33], v[50:51], v[30:31] op_sel:[0,1]
	s_delay_alu instid0(VALU_DEP_1) | instskip(SKIP_3) | instid1(VALU_DEP_1)
	v_pk_fma_f32 v[42:43], v[50:51], v[28:29], v[32:33] op_sel:[0,0,1] op_sel_hi:[1,1,0] neg_lo:[0,0,1] neg_hi:[0,0,1]
	v_pk_fma_f32 v[32:33], v[50:51], v[28:29], v[32:33] op_sel:[0,0,1] op_sel_hi:[1,0,0]
	ds_load_2addr_b64 v[48:51], v168 offset0:34 offset1:35
	v_mov_b32_e32 v43, v33
	v_pk_add_f32 v[142:143], v[142:143], v[42:43] neg_lo:[0,1] neg_hi:[0,1]
	s_wait_dscnt 0x0
	v_pk_mul_f32 v[32:33], v[48:49], v[30:31] op_sel:[0,1]
	s_delay_alu instid0(VALU_DEP_1) | instskip(SKIP_1) | instid1(VALU_DEP_1)
	v_pk_fma_f32 v[42:43], v[48:49], v[28:29], v[32:33] op_sel:[0,0,1] op_sel_hi:[1,1,0] neg_lo:[0,0,1] neg_hi:[0,0,1]
	v_pk_fma_f32 v[32:33], v[48:49], v[28:29], v[32:33] op_sel:[0,0,1] op_sel_hi:[1,0,0]
	v_mov_b32_e32 v43, v33
	v_pk_mul_f32 v[32:33], v[50:51], v[30:31] op_sel:[0,1]
	s_delay_alu instid0(VALU_DEP_2) | instskip(NEXT) | instid1(VALU_DEP_2)
	v_pk_add_f32 v[144:145], v[144:145], v[42:43] neg_lo:[0,1] neg_hi:[0,1]
	v_pk_fma_f32 v[42:43], v[50:51], v[28:29], v[32:33] op_sel:[0,0,1] op_sel_hi:[1,1,0] neg_lo:[0,0,1] neg_hi:[0,0,1]
	v_pk_fma_f32 v[32:33], v[50:51], v[28:29], v[32:33] op_sel:[0,0,1] op_sel_hi:[1,0,0]
	ds_load_2addr_b64 v[48:51], v168 offset0:36 offset1:37
	v_mov_b32_e32 v43, v33
	s_delay_alu instid0(VALU_DEP_1) | instskip(SKIP_2) | instid1(VALU_DEP_1)
	v_pk_add_f32 v[140:141], v[140:141], v[42:43] neg_lo:[0,1] neg_hi:[0,1]
	s_wait_dscnt 0x0
	v_pk_mul_f32 v[32:33], v[48:49], v[30:31] op_sel:[0,1]
	v_pk_fma_f32 v[42:43], v[48:49], v[28:29], v[32:33] op_sel:[0,0,1] op_sel_hi:[1,1,0] neg_lo:[0,0,1] neg_hi:[0,0,1]
	v_pk_fma_f32 v[32:33], v[48:49], v[28:29], v[32:33] op_sel:[0,0,1] op_sel_hi:[1,0,0]
	v_dual_mov_b32 v32, v51 :: v_dual_mul_f32 v48, v51, v28
	s_delay_alu instid0(VALU_DEP_2) | instskip(NEXT) | instid1(VALU_DEP_1)
	v_dual_mov_b32 v43, v33 :: v_dual_mov_b32 v33, v50
	v_pk_add_f32 v[162:163], v[162:163], v[42:43] neg_lo:[0,1] neg_hi:[0,1]
	v_mul_f32_e32 v42, v51, v31
	s_delay_alu instid0(VALU_DEP_3) | instskip(NEXT) | instid1(VALU_DEP_2)
	v_pk_fma_f32 v[32:33], v[32:33], v[92:93], v[48:49] op_sel_hi:[1,1,0]
	v_pk_fma_f32 v[42:43], v[50:51], v[92:93], v[42:43] op_sel_hi:[1,1,0] neg_lo:[0,0,1] neg_hi:[0,0,1]
	ds_load_2addr_b64 v[48:51], v168 offset0:38 offset1:39
	v_mov_b32_e32 v43, v33
	s_delay_alu instid0(VALU_DEP_1) | instskip(SKIP_2) | instid1(VALU_DEP_1)
	v_pk_add_f32 v[158:159], v[158:159], v[42:43] neg_lo:[0,1] neg_hi:[0,1]
	s_wait_dscnt 0x0
	v_pk_mul_f32 v[32:33], v[48:49], v[30:31] op_sel:[0,1]
	v_pk_fma_f32 v[42:43], v[48:49], v[28:29], v[32:33] op_sel:[0,0,1] op_sel_hi:[1,1,0] neg_lo:[0,0,1] neg_hi:[0,0,1]
	v_pk_fma_f32 v[32:33], v[48:49], v[28:29], v[32:33] op_sel:[0,0,1] op_sel_hi:[1,0,0]
	s_delay_alu instid0(VALU_DEP_1) | instskip(SKIP_1) | instid1(VALU_DEP_2)
	v_mov_b32_e32 v43, v33
	v_pk_mul_f32 v[32:33], v[50:51], v[30:31] op_sel:[0,1]
	v_pk_add_f32 v[160:161], v[160:161], v[42:43] neg_lo:[0,1] neg_hi:[0,1]
	s_delay_alu instid0(VALU_DEP_2) | instskip(SKIP_3) | instid1(VALU_DEP_1)
	v_pk_fma_f32 v[42:43], v[50:51], v[28:29], v[32:33] op_sel:[0,0,1] op_sel_hi:[1,1,0] neg_lo:[0,0,1] neg_hi:[0,0,1]
	v_pk_fma_f32 v[32:33], v[50:51], v[28:29], v[32:33] op_sel:[0,0,1] op_sel_hi:[1,0,0]
	ds_load_2addr_b64 v[48:51], v168 offset0:40 offset1:41
	v_mov_b32_e32 v43, v33
	v_pk_add_f32 v[156:157], v[156:157], v[42:43] neg_lo:[0,1] neg_hi:[0,1]
	s_wait_dscnt 0x0
	v_pk_mul_f32 v[32:33], v[48:49], v[30:31] op_sel:[0,1]
	s_delay_alu instid0(VALU_DEP_1) | instskip(SKIP_1) | instid1(VALU_DEP_1)
	v_pk_fma_f32 v[42:43], v[48:49], v[28:29], v[32:33] op_sel:[0,0,1] op_sel_hi:[1,1,0] neg_lo:[0,0,1] neg_hi:[0,0,1]
	v_pk_fma_f32 v[32:33], v[48:49], v[28:29], v[32:33] op_sel:[0,0,1] op_sel_hi:[1,0,0]
	v_mov_b32_e32 v43, v33
	v_pk_mul_f32 v[32:33], v[50:51], v[30:31] op_sel:[0,1]
	s_delay_alu instid0(VALU_DEP_2) | instskip(NEXT) | instid1(VALU_DEP_2)
	v_pk_add_f32 v[178:179], v[178:179], v[42:43] neg_lo:[0,1] neg_hi:[0,1]
	v_pk_fma_f32 v[42:43], v[50:51], v[28:29], v[32:33] op_sel:[0,0,1] op_sel_hi:[1,1,0] neg_lo:[0,0,1] neg_hi:[0,0,1]
	v_pk_fma_f32 v[32:33], v[50:51], v[28:29], v[32:33] op_sel:[0,0,1] op_sel_hi:[1,0,0]
	ds_load_2addr_b64 v[48:51], v168 offset0:42 offset1:43
	v_mov_b32_e32 v43, v33
	s_delay_alu instid0(VALU_DEP_1) | instskip(SKIP_2) | instid1(VALU_DEP_1)
	v_pk_add_f32 v[174:175], v[174:175], v[42:43] neg_lo:[0,1] neg_hi:[0,1]
	s_wait_dscnt 0x0
	v_dual_mul_f32 v42, v49, v28 :: v_dual_mul_f32 v32, v49, v31
	v_pk_fma_f32 v[42:43], v[48:49], v[92:93], v[42:43] op_sel:[1,0,0] op_sel_hi:[0,1,0]
	s_delay_alu instid0(VALU_DEP_2) | instskip(NEXT) | instid1(VALU_DEP_2)
	v_pk_fma_f32 v[32:33], v[48:49], v[92:93], v[32:33] op_sel_hi:[1,1,0] neg_lo:[0,0,1] neg_hi:[0,0,1]
	v_mov_b32_e32 v33, v43
	s_delay_alu instid0(VALU_DEP_1) | instskip(SKIP_1) | instid1(VALU_DEP_1)
	v_pk_add_f32 v[176:177], v[176:177], v[32:33] neg_lo:[0,1] neg_hi:[0,1]
	v_pk_mul_f32 v[32:33], v[50:51], v[30:31] op_sel:[0,1]
	v_pk_fma_f32 v[42:43], v[50:51], v[28:29], v[32:33] op_sel:[0,0,1] op_sel_hi:[1,1,0] neg_lo:[0,0,1] neg_hi:[0,0,1]
	v_pk_fma_f32 v[32:33], v[50:51], v[28:29], v[32:33] op_sel:[0,0,1] op_sel_hi:[1,0,0]
	ds_load_2addr_b64 v[48:51], v168 offset0:44 offset1:45
	v_mov_b32_e32 v43, v33
	s_delay_alu instid0(VALU_DEP_1) | instskip(SKIP_2) | instid1(VALU_DEP_1)
	v_pk_add_f32 v[172:173], v[172:173], v[42:43] neg_lo:[0,1] neg_hi:[0,1]
	s_wait_dscnt 0x0
	v_pk_mul_f32 v[32:33], v[48:49], v[30:31] op_sel:[0,1]
	v_pk_fma_f32 v[42:43], v[48:49], v[28:29], v[32:33] op_sel:[0,0,1] op_sel_hi:[1,1,0] neg_lo:[0,0,1] neg_hi:[0,0,1]
	v_pk_fma_f32 v[32:33], v[48:49], v[28:29], v[32:33] op_sel:[0,0,1] op_sel_hi:[1,0,0]
	s_delay_alu instid0(VALU_DEP_1) | instskip(SKIP_1) | instid1(VALU_DEP_2)
	v_mov_b32_e32 v43, v33
	v_pk_mul_f32 v[32:33], v[50:51], v[30:31] op_sel:[0,1]
	v_pk_add_f32 v[198:199], v[198:199], v[42:43] neg_lo:[0,1] neg_hi:[0,1]
	s_delay_alu instid0(VALU_DEP_2) | instskip(SKIP_3) | instid1(VALU_DEP_1)
	v_pk_fma_f32 v[42:43], v[50:51], v[28:29], v[32:33] op_sel:[0,0,1] op_sel_hi:[1,1,0] neg_lo:[0,0,1] neg_hi:[0,0,1]
	v_pk_fma_f32 v[32:33], v[50:51], v[28:29], v[32:33] op_sel:[0,0,1] op_sel_hi:[1,0,0]
	ds_load_2addr_b64 v[48:51], v168 offset0:46 offset1:47
	v_mov_b32_e32 v43, v33
	v_pk_add_f32 v[194:195], v[194:195], v[42:43] neg_lo:[0,1] neg_hi:[0,1]
	s_wait_dscnt 0x0
	v_pk_mul_f32 v[32:33], v[48:49], v[30:31] op_sel:[0,1]
	s_delay_alu instid0(VALU_DEP_1) | instskip(SKIP_2) | instid1(VALU_DEP_2)
	v_pk_fma_f32 v[42:43], v[48:49], v[28:29], v[32:33] op_sel:[0,0,1] op_sel_hi:[1,1,0] neg_lo:[0,0,1] neg_hi:[0,0,1]
	v_pk_fma_f32 v[32:33], v[48:49], v[28:29], v[32:33] op_sel:[0,0,1] op_sel_hi:[1,0,0]
	v_dual_mov_b32 v32, v51 :: v_dual_mul_f32 v48, v51, v28
	v_dual_mov_b32 v43, v33 :: v_dual_mov_b32 v33, v50
	s_delay_alu instid0(VALU_DEP_1) | instskip(SKIP_1) | instid1(VALU_DEP_3)
	v_pk_add_f32 v[196:197], v[196:197], v[42:43] neg_lo:[0,1] neg_hi:[0,1]
	v_mul_f32_e32 v42, v51, v31
	v_pk_fma_f32 v[32:33], v[32:33], v[92:93], v[48:49] op_sel_hi:[1,1,0]
	s_delay_alu instid0(VALU_DEP_2) | instskip(SKIP_2) | instid1(VALU_DEP_1)
	v_pk_fma_f32 v[42:43], v[50:51], v[92:93], v[42:43] op_sel_hi:[1,1,0] neg_lo:[0,0,1] neg_hi:[0,0,1]
	ds_load_2addr_b64 v[48:51], v168 offset0:48 offset1:49
	v_mov_b32_e32 v43, v33
	v_pk_add_f32 v[192:193], v[192:193], v[42:43] neg_lo:[0,1] neg_hi:[0,1]
	s_wait_dscnt 0x0
	v_pk_mul_f32 v[32:33], v[48:49], v[30:31] op_sel:[0,1]
	s_delay_alu instid0(VALU_DEP_1) | instskip(SKIP_1) | instid1(VALU_DEP_1)
	v_pk_fma_f32 v[42:43], v[48:49], v[28:29], v[32:33] op_sel:[0,0,1] op_sel_hi:[1,1,0] neg_lo:[0,0,1] neg_hi:[0,0,1]
	v_pk_fma_f32 v[32:33], v[48:49], v[28:29], v[32:33] op_sel:[0,0,1] op_sel_hi:[1,0,0]
	v_mov_b32_e32 v43, v33
	v_pk_mul_f32 v[32:33], v[50:51], v[30:31] op_sel:[0,1]
	s_delay_alu instid0(VALU_DEP_2) | instskip(NEXT) | instid1(VALU_DEP_2)
	v_pk_add_f32 v[220:221], v[220:221], v[42:43] neg_lo:[0,1] neg_hi:[0,1]
	v_pk_fma_f32 v[42:43], v[50:51], v[28:29], v[32:33] op_sel:[0,0,1] op_sel_hi:[1,1,0] neg_lo:[0,0,1] neg_hi:[0,0,1]
	v_pk_fma_f32 v[32:33], v[50:51], v[28:29], v[32:33] op_sel:[0,0,1] op_sel_hi:[1,0,0]
	ds_load_2addr_b64 v[48:51], v168 offset0:50 offset1:51
	v_mov_b32_e32 v43, v33
	s_delay_alu instid0(VALU_DEP_1) | instskip(SKIP_2) | instid1(VALU_DEP_1)
	v_pk_add_f32 v[214:215], v[214:215], v[42:43] neg_lo:[0,1] neg_hi:[0,1]
	s_wait_dscnt 0x0
	v_pk_mul_f32 v[32:33], v[48:49], v[30:31] op_sel:[0,1]
	v_pk_fma_f32 v[42:43], v[48:49], v[28:29], v[32:33] op_sel:[0,0,1] op_sel_hi:[1,1,0] neg_lo:[0,0,1] neg_hi:[0,0,1]
	v_pk_fma_f32 v[32:33], v[48:49], v[28:29], v[32:33] op_sel:[0,0,1] op_sel_hi:[1,0,0]
	s_delay_alu instid0(VALU_DEP_1) | instskip(SKIP_1) | instid1(VALU_DEP_2)
	v_mov_b32_e32 v43, v33
	v_pk_mul_f32 v[32:33], v[50:51], v[30:31] op_sel:[0,1]
	v_pk_add_f32 v[218:219], v[218:219], v[42:43] neg_lo:[0,1] neg_hi:[0,1]
	s_delay_alu instid0(VALU_DEP_2) | instskip(SKIP_3) | instid1(VALU_DEP_1)
	v_pk_fma_f32 v[42:43], v[50:51], v[28:29], v[32:33] op_sel:[0,0,1] op_sel_hi:[1,1,0] neg_lo:[0,0,1] neg_hi:[0,0,1]
	v_pk_fma_f32 v[32:33], v[50:51], v[28:29], v[32:33] op_sel:[0,0,1] op_sel_hi:[1,0,0]
	ds_load_2addr_b64 v[48:51], v168 offset0:52 offset1:53
	v_mov_b32_e32 v43, v33
	v_pk_add_f32 v[212:213], v[212:213], v[42:43] neg_lo:[0,1] neg_hi:[0,1]
	s_wait_dscnt 0x0
	v_dual_mul_f32 v32, v49, v31 :: v_dual_mul_f32 v42, v49, v28
	s_delay_alu instid0(VALU_DEP_1) | instskip(NEXT) | instid1(VALU_DEP_2)
	v_pk_fma_f32 v[32:33], v[48:49], v[92:93], v[32:33] op_sel_hi:[1,1,0] neg_lo:[0,0,1] neg_hi:[0,0,1]
	v_pk_fma_f32 v[42:43], v[48:49], v[92:93], v[42:43] op_sel:[1,0,0] op_sel_hi:[0,1,0]
	s_delay_alu instid0(VALU_DEP_1) | instskip(NEXT) | instid1(VALU_DEP_1)
	v_mov_b32_e32 v33, v43
	v_pk_add_f32 v[216:217], v[216:217], v[32:33] neg_lo:[0,1] neg_hi:[0,1]
	v_pk_mul_f32 v[32:33], v[50:51], v[30:31] op_sel:[0,1]
	s_delay_alu instid0(VALU_DEP_1) | instskip(SKIP_3) | instid1(VALU_DEP_1)
	v_pk_fma_f32 v[42:43], v[50:51], v[28:29], v[32:33] op_sel:[0,0,1] op_sel_hi:[1,1,0] neg_lo:[0,0,1] neg_hi:[0,0,1]
	v_pk_fma_f32 v[32:33], v[50:51], v[28:29], v[32:33] op_sel:[0,0,1] op_sel_hi:[1,0,0]
	ds_load_2addr_b64 v[48:51], v168 offset0:54 offset1:55
	v_mov_b32_e32 v43, v33
	v_pk_add_f32 v[210:211], v[210:211], v[42:43] neg_lo:[0,1] neg_hi:[0,1]
	s_wait_dscnt 0x0
	v_pk_mul_f32 v[32:33], v[48:49], v[30:31] op_sel:[0,1]
	v_pk_mul_f32 v[30:31], v[50:51], v[30:31] op_sel:[0,1]
	s_delay_alu instid0(VALU_DEP_2) | instskip(SKIP_1) | instid1(VALU_DEP_1)
	v_pk_fma_f32 v[42:43], v[48:49], v[28:29], v[32:33] op_sel:[0,0,1] op_sel_hi:[1,1,0] neg_lo:[0,0,1] neg_hi:[0,0,1]
	v_pk_fma_f32 v[32:33], v[48:49], v[28:29], v[32:33] op_sel:[0,0,1] op_sel_hi:[1,0,0]
	v_mov_b32_e32 v43, v33
	s_delay_alu instid0(VALU_DEP_4) | instskip(SKIP_1) | instid1(VALU_DEP_3)
	v_pk_fma_f32 v[32:33], v[50:51], v[28:29], v[30:31] op_sel:[0,0,1] op_sel_hi:[1,1,0] neg_lo:[0,0,1] neg_hi:[0,0,1]
	v_pk_fma_f32 v[28:29], v[50:51], v[28:29], v[30:31] op_sel:[0,0,1] op_sel_hi:[1,0,0]
	v_pk_add_f32 v[222:223], v[222:223], v[42:43] neg_lo:[0,1] neg_hi:[0,1]
	s_delay_alu instid0(VALU_DEP_2) | instskip(NEXT) | instid1(VALU_DEP_1)
	v_mov_b32_e32 v33, v29
	v_pk_add_f32 v[224:225], v[224:225], v[32:33] neg_lo:[0,1] neg_hi:[0,1]
.LBB111_217:
	s_or_b32 exec_lo, exec_lo, s1
	s_delay_alu instid0(SALU_CYCLE_1)
	s_mov_b32 s2, exec_lo
	s_wait_dscnt 0x0
	s_barrier_signal -1
	s_barrier_wait -1
	v_cmpx_eq_u32_e32 24, v166
	s_cbranch_execz .LBB111_224
; %bb.218:
	ds_store_b64 v167, v[114:115]
	ds_store_2addr_b64 v168, v[110:111], v[112:113] offset0:25 offset1:26
	ds_store_2addr_b64 v168, v[108:109], v[130:131] offset0:27 offset1:28
	;; [unrolled: 1-line block ×15, first 2 shown]
	ds_store_b64 v168, v[224:225] offset:440
	ds_load_b64 v[28:29], v167
	s_wait_dscnt 0x0
	v_cmp_neq_f32_e32 vcc_lo, 0, v28
	v_cmp_neq_f32_e64 s1, 0, v29
	s_or_b32 s1, vcc_lo, s1
	s_delay_alu instid0(SALU_CYCLE_1)
	s_and_b32 exec_lo, exec_lo, s1
	s_cbranch_execz .LBB111_224
; %bb.219:
	v_cmp_ngt_f32_e64 s1, |v28|, |v29|
                                        ; implicit-def: $vgpr30_vgpr31
	s_and_saveexec_b32 s4, s1
	s_delay_alu instid0(SALU_CYCLE_1)
	s_xor_b32 s1, exec_lo, s4
	s_cbranch_execz .LBB111_221
; %bb.220:
	v_div_scale_f32 v30, null, v29, v29, v28
	v_div_scale_f32 v33, vcc_lo, v28, v29, v28
	s_delay_alu instid0(VALU_DEP_2) | instskip(SKIP_1) | instid1(TRANS32_DEP_1)
	v_rcp_f32_e32 v31, v30
	v_nop
	v_fma_f32 v32, -v30, v31, 1.0
	s_delay_alu instid0(VALU_DEP_1) | instskip(NEXT) | instid1(VALU_DEP_1)
	v_fmac_f32_e32 v31, v32, v31
	v_mul_f32_e32 v32, v33, v31
	s_delay_alu instid0(VALU_DEP_1) | instskip(NEXT) | instid1(VALU_DEP_1)
	v_fma_f32 v42, -v30, v32, v33
	v_fmac_f32_e32 v32, v42, v31
	s_delay_alu instid0(VALU_DEP_1) | instskip(NEXT) | instid1(VALU_DEP_1)
	v_fma_f32 v30, -v30, v32, v33
	v_div_fmas_f32 v30, v30, v31, v32
	s_delay_alu instid0(VALU_DEP_1) | instskip(NEXT) | instid1(VALU_DEP_1)
	v_div_fixup_f32 v30, v30, v29, v28
	v_fmac_f32_e32 v29, v28, v30
	s_delay_alu instid0(VALU_DEP_1) | instskip(SKIP_1) | instid1(VALU_DEP_2)
	v_div_scale_f32 v28, null, v29, v29, 1.0
	v_div_scale_f32 v33, vcc_lo, 1.0, v29, 1.0
	v_rcp_f32_e32 v31, v28
	v_nop
	s_delay_alu instid0(TRANS32_DEP_1) | instskip(NEXT) | instid1(VALU_DEP_1)
	v_fma_f32 v32, -v28, v31, 1.0
	v_fmac_f32_e32 v31, v32, v31
	s_delay_alu instid0(VALU_DEP_1) | instskip(NEXT) | instid1(VALU_DEP_1)
	v_mul_f32_e32 v32, v33, v31
	v_fma_f32 v42, -v28, v32, v33
	s_delay_alu instid0(VALU_DEP_1) | instskip(NEXT) | instid1(VALU_DEP_1)
	v_fmac_f32_e32 v32, v42, v31
	v_fma_f32 v28, -v28, v32, v33
	s_delay_alu instid0(VALU_DEP_1) | instskip(NEXT) | instid1(VALU_DEP_1)
	v_div_fmas_f32 v28, v28, v31, v32
	v_div_fixup_f32 v28, v28, v29, 1.0
	s_delay_alu instid0(VALU_DEP_1)
	v_mul_f32_e32 v30, v30, v28
	v_xor_b32_e32 v31, 0x80000000, v28
                                        ; implicit-def: $vgpr28_vgpr29
.LBB111_221:
	s_and_not1_saveexec_b32 s1, s1
	s_cbranch_execz .LBB111_223
; %bb.222:
	v_div_scale_f32 v30, null, v28, v28, v29
	v_div_scale_f32 v33, vcc_lo, v29, v28, v29
	s_delay_alu instid0(VALU_DEP_2) | instskip(SKIP_1) | instid1(TRANS32_DEP_1)
	v_rcp_f32_e32 v31, v30
	v_nop
	v_fma_f32 v32, -v30, v31, 1.0
	s_delay_alu instid0(VALU_DEP_1) | instskip(NEXT) | instid1(VALU_DEP_1)
	v_fmac_f32_e32 v31, v32, v31
	v_mul_f32_e32 v32, v33, v31
	s_delay_alu instid0(VALU_DEP_1) | instskip(NEXT) | instid1(VALU_DEP_1)
	v_fma_f32 v42, -v30, v32, v33
	v_fmac_f32_e32 v32, v42, v31
	s_delay_alu instid0(VALU_DEP_1) | instskip(NEXT) | instid1(VALU_DEP_1)
	v_fma_f32 v30, -v30, v32, v33
	v_div_fmas_f32 v30, v30, v31, v32
	s_delay_alu instid0(VALU_DEP_1) | instskip(NEXT) | instid1(VALU_DEP_1)
	v_div_fixup_f32 v31, v30, v28, v29
	v_fmac_f32_e32 v28, v29, v31
	s_delay_alu instid0(VALU_DEP_1) | instskip(NEXT) | instid1(VALU_DEP_1)
	v_div_scale_f32 v29, null, v28, v28, 1.0
	v_rcp_f32_e32 v30, v29
	v_nop
	s_delay_alu instid0(TRANS32_DEP_1) | instskip(NEXT) | instid1(VALU_DEP_1)
	v_fma_f32 v32, -v29, v30, 1.0
	v_fmac_f32_e32 v30, v32, v30
	v_div_scale_f32 v32, vcc_lo, 1.0, v28, 1.0
	s_delay_alu instid0(VALU_DEP_1) | instskip(NEXT) | instid1(VALU_DEP_1)
	v_mul_f32_e32 v33, v32, v30
	v_fma_f32 v42, -v29, v33, v32
	s_delay_alu instid0(VALU_DEP_1) | instskip(NEXT) | instid1(VALU_DEP_1)
	v_fmac_f32_e32 v33, v42, v30
	v_fma_f32 v29, -v29, v33, v32
	s_delay_alu instid0(VALU_DEP_1) | instskip(NEXT) | instid1(VALU_DEP_1)
	v_div_fmas_f32 v29, v29, v30, v33
	v_div_fixup_f32 v30, v29, v28, 1.0
	s_delay_alu instid0(VALU_DEP_1)
	v_mul_f32_e64 v31, v31, -v30
.LBB111_223:
	s_or_b32 exec_lo, exec_lo, s1
	ds_store_b64 v167, v[30:31]
.LBB111_224:
	s_or_b32 exec_lo, exec_lo, s2
	s_wait_dscnt 0x0
	s_barrier_signal -1
	s_barrier_wait -1
	ds_load_b64 v[28:29], v167
	s_mov_b32 s1, exec_lo
	v_cmpx_lt_u32_e32 24, v166
	s_cbranch_execz .LBB111_226
; %bb.225:
	ds_load_2addr_b64 v[48:51], v168 offset0:25 offset1:26
	s_wait_dscnt 0x1
	v_pk_mul_f32 v[32:33], v[28:29], v[114:115] op_sel:[1,1] op_sel_hi:[0,1]
	s_delay_alu instid0(VALU_DEP_1) | instskip(SKIP_1) | instid1(VALU_DEP_1)
	v_pk_fma_f32 v[30:31], v[28:29], v[114:115], v[32:33] op_sel_hi:[1,0,1] neg_lo:[0,0,1] neg_hi:[0,0,1]
	v_pk_fma_f32 v[32:33], v[28:29], v[114:115], v[32:33] op_sel_hi:[1,0,1]
	v_dual_mov_b32 v114, v30 :: v_dual_mov_b32 v115, v33
	s_wait_dscnt 0x0
	s_delay_alu instid0(VALU_DEP_2) | instskip(NEXT) | instid1(VALU_DEP_1)
	v_pk_mul_f32 v[42:43], v[48:49], v[32:33] op_sel:[0,1]
	v_pk_fma_f32 v[52:53], v[48:49], v[30:31], v[42:43] op_sel:[0,0,1] op_sel_hi:[1,1,0] neg_lo:[0,0,1] neg_hi:[0,0,1]
	v_pk_fma_f32 v[42:43], v[48:49], v[30:31], v[42:43] op_sel:[0,0,1] op_sel_hi:[1,0,0]
	s_delay_alu instid0(VALU_DEP_1) | instskip(SKIP_1) | instid1(VALU_DEP_1)
	v_mov_b32_e32 v53, v43
	v_pk_mul_f32 v[42:43], v[50:51], v[32:33] op_sel:[0,1]
	v_pk_fma_f32 v[48:49], v[50:51], v[30:31], v[42:43] op_sel:[0,0,1] op_sel_hi:[1,1,0] neg_lo:[0,0,1] neg_hi:[0,0,1]
	v_pk_fma_f32 v[42:43], v[50:51], v[30:31], v[42:43] op_sel:[0,0,1] op_sel_hi:[1,0,0]
	s_delay_alu instid0(VALU_DEP_1) | instskip(SKIP_1) | instid1(VALU_DEP_2)
	v_mov_b32_e32 v49, v43
	v_pk_add_f32 v[110:111], v[110:111], v[52:53] neg_lo:[0,1] neg_hi:[0,1]
	v_pk_add_f32 v[112:113], v[112:113], v[48:49] neg_lo:[0,1] neg_hi:[0,1]
	ds_load_2addr_b64 v[48:51], v168 offset0:27 offset1:28
	s_wait_dscnt 0x0
	v_pk_mul_f32 v[42:43], v[48:49], v[32:33] op_sel:[0,1]
	s_delay_alu instid0(VALU_DEP_1) | instskip(SKIP_2) | instid1(VALU_DEP_2)
	v_pk_fma_f32 v[52:53], v[48:49], v[30:31], v[42:43] op_sel:[0,0,1] op_sel_hi:[1,1,0] neg_lo:[0,0,1] neg_hi:[0,0,1]
	v_pk_fma_f32 v[42:43], v[48:49], v[30:31], v[42:43] op_sel:[0,0,1] op_sel_hi:[1,0,0]
	v_dual_mul_f32 v48, v51, v33 :: v_dual_mov_b32 v42, v51
	v_dual_mov_b32 v53, v43 :: v_dual_mov_b32 v43, v50
	s_delay_alu instid0(VALU_DEP_2) | instskip(SKIP_1) | instid1(VALU_DEP_3)
	v_pk_fma_f32 v[48:49], v[50:51], v[114:115], v[48:49] op_sel_hi:[1,1,0] neg_lo:[0,0,1] neg_hi:[0,0,1]
	v_mul_f32_e32 v50, v51, v30
	v_pk_add_f32 v[108:109], v[108:109], v[52:53] neg_lo:[0,1] neg_hi:[0,1]
	s_delay_alu instid0(VALU_DEP_2) | instskip(NEXT) | instid1(VALU_DEP_1)
	v_pk_fma_f32 v[42:43], v[42:43], v[114:115], v[50:51] op_sel_hi:[1,1,0]
	v_mov_b32_e32 v49, v43
	s_delay_alu instid0(VALU_DEP_1) | instskip(SKIP_3) | instid1(VALU_DEP_1)
	v_pk_add_f32 v[130:131], v[130:131], v[48:49] neg_lo:[0,1] neg_hi:[0,1]
	ds_load_2addr_b64 v[48:51], v168 offset0:29 offset1:30
	s_wait_dscnt 0x0
	v_pk_mul_f32 v[42:43], v[48:49], v[32:33] op_sel:[0,1]
	v_pk_fma_f32 v[52:53], v[48:49], v[30:31], v[42:43] op_sel:[0,0,1] op_sel_hi:[1,1,0] neg_lo:[0,0,1] neg_hi:[0,0,1]
	v_pk_fma_f32 v[42:43], v[48:49], v[30:31], v[42:43] op_sel:[0,0,1] op_sel_hi:[1,0,0]
	s_delay_alu instid0(VALU_DEP_1) | instskip(SKIP_1) | instid1(VALU_DEP_2)
	v_mov_b32_e32 v53, v43
	v_pk_mul_f32 v[42:43], v[50:51], v[32:33] op_sel:[0,1]
	v_pk_add_f32 v[126:127], v[126:127], v[52:53] neg_lo:[0,1] neg_hi:[0,1]
	s_delay_alu instid0(VALU_DEP_2) | instskip(SKIP_1) | instid1(VALU_DEP_1)
	v_pk_fma_f32 v[48:49], v[50:51], v[30:31], v[42:43] op_sel:[0,0,1] op_sel_hi:[1,1,0] neg_lo:[0,0,1] neg_hi:[0,0,1]
	v_pk_fma_f32 v[42:43], v[50:51], v[30:31], v[42:43] op_sel:[0,0,1] op_sel_hi:[1,0,0]
	v_mov_b32_e32 v49, v43
	s_delay_alu instid0(VALU_DEP_1) | instskip(SKIP_3) | instid1(VALU_DEP_1)
	v_pk_add_f32 v[128:129], v[128:129], v[48:49] neg_lo:[0,1] neg_hi:[0,1]
	ds_load_2addr_b64 v[48:51], v168 offset0:31 offset1:32
	s_wait_dscnt 0x0
	v_pk_mul_f32 v[42:43], v[48:49], v[32:33] op_sel:[0,1]
	v_pk_fma_f32 v[52:53], v[48:49], v[30:31], v[42:43] op_sel:[0,0,1] op_sel_hi:[1,1,0] neg_lo:[0,0,1] neg_hi:[0,0,1]
	v_pk_fma_f32 v[42:43], v[48:49], v[30:31], v[42:43] op_sel:[0,0,1] op_sel_hi:[1,0,0]
	s_delay_alu instid0(VALU_DEP_1) | instskip(SKIP_1) | instid1(VALU_DEP_2)
	v_mov_b32_e32 v53, v43
	v_pk_mul_f32 v[42:43], v[50:51], v[32:33] op_sel:[0,1]
	v_pk_add_f32 v[124:125], v[124:125], v[52:53] neg_lo:[0,1] neg_hi:[0,1]
	s_delay_alu instid0(VALU_DEP_2) | instskip(SKIP_1) | instid1(VALU_DEP_1)
	v_pk_fma_f32 v[48:49], v[50:51], v[30:31], v[42:43] op_sel:[0,0,1] op_sel_hi:[1,1,0] neg_lo:[0,0,1] neg_hi:[0,0,1]
	v_pk_fma_f32 v[42:43], v[50:51], v[30:31], v[42:43] op_sel:[0,0,1] op_sel_hi:[1,0,0]
	v_mov_b32_e32 v49, v43
	s_delay_alu instid0(VALU_DEP_1) | instskip(SKIP_3) | instid1(VALU_DEP_1)
	v_pk_add_f32 v[146:147], v[146:147], v[48:49] neg_lo:[0,1] neg_hi:[0,1]
	ds_load_2addr_b64 v[48:51], v168 offset0:33 offset1:34
	s_wait_dscnt 0x0
	v_dual_mul_f32 v42, v49, v33 :: v_dual_mul_f32 v52, v49, v30
	v_pk_fma_f32 v[42:43], v[48:49], v[114:115], v[42:43] op_sel_hi:[1,1,0] neg_lo:[0,0,1] neg_hi:[0,0,1]
	s_delay_alu instid0(VALU_DEP_2) | instskip(NEXT) | instid1(VALU_DEP_1)
	v_pk_fma_f32 v[48:49], v[48:49], v[114:115], v[52:53] op_sel:[1,0,0] op_sel_hi:[0,1,0]
	v_mov_b32_e32 v43, v49
	s_delay_alu instid0(VALU_DEP_1) | instskip(SKIP_1) | instid1(VALU_DEP_1)
	v_pk_add_f32 v[142:143], v[142:143], v[42:43] neg_lo:[0,1] neg_hi:[0,1]
	v_pk_mul_f32 v[42:43], v[50:51], v[32:33] op_sel:[0,1]
	v_pk_fma_f32 v[48:49], v[50:51], v[30:31], v[42:43] op_sel:[0,0,1] op_sel_hi:[1,1,0] neg_lo:[0,0,1] neg_hi:[0,0,1]
	v_pk_fma_f32 v[42:43], v[50:51], v[30:31], v[42:43] op_sel:[0,0,1] op_sel_hi:[1,0,0]
	s_delay_alu instid0(VALU_DEP_1) | instskip(NEXT) | instid1(VALU_DEP_1)
	v_mov_b32_e32 v49, v43
	v_pk_add_f32 v[144:145], v[144:145], v[48:49] neg_lo:[0,1] neg_hi:[0,1]
	ds_load_2addr_b64 v[48:51], v168 offset0:35 offset1:36
	s_wait_dscnt 0x0
	v_pk_mul_f32 v[42:43], v[48:49], v[32:33] op_sel:[0,1]
	s_delay_alu instid0(VALU_DEP_1) | instskip(SKIP_1) | instid1(VALU_DEP_1)
	v_pk_fma_f32 v[52:53], v[48:49], v[30:31], v[42:43] op_sel:[0,0,1] op_sel_hi:[1,1,0] neg_lo:[0,0,1] neg_hi:[0,0,1]
	v_pk_fma_f32 v[42:43], v[48:49], v[30:31], v[42:43] op_sel:[0,0,1] op_sel_hi:[1,0,0]
	v_mov_b32_e32 v53, v43
	v_pk_mul_f32 v[42:43], v[50:51], v[32:33] op_sel:[0,1]
	s_delay_alu instid0(VALU_DEP_2) | instskip(NEXT) | instid1(VALU_DEP_2)
	v_pk_add_f32 v[140:141], v[140:141], v[52:53] neg_lo:[0,1] neg_hi:[0,1]
	v_pk_fma_f32 v[48:49], v[50:51], v[30:31], v[42:43] op_sel:[0,0,1] op_sel_hi:[1,1,0] neg_lo:[0,0,1] neg_hi:[0,0,1]
	v_pk_fma_f32 v[42:43], v[50:51], v[30:31], v[42:43] op_sel:[0,0,1] op_sel_hi:[1,0,0]
	s_delay_alu instid0(VALU_DEP_1) | instskip(NEXT) | instid1(VALU_DEP_1)
	v_mov_b32_e32 v49, v43
	v_pk_add_f32 v[162:163], v[162:163], v[48:49] neg_lo:[0,1] neg_hi:[0,1]
	ds_load_2addr_b64 v[48:51], v168 offset0:37 offset1:38
	s_wait_dscnt 0x0
	v_pk_mul_f32 v[42:43], v[48:49], v[32:33] op_sel:[0,1]
	s_delay_alu instid0(VALU_DEP_1) | instskip(SKIP_2) | instid1(VALU_DEP_2)
	v_pk_fma_f32 v[52:53], v[48:49], v[30:31], v[42:43] op_sel:[0,0,1] op_sel_hi:[1,1,0] neg_lo:[0,0,1] neg_hi:[0,0,1]
	v_pk_fma_f32 v[42:43], v[48:49], v[30:31], v[42:43] op_sel:[0,0,1] op_sel_hi:[1,0,0]
	v_dual_mul_f32 v48, v51, v33 :: v_dual_mov_b32 v42, v51
	v_dual_mov_b32 v53, v43 :: v_dual_mov_b32 v43, v50
	s_delay_alu instid0(VALU_DEP_2) | instskip(SKIP_1) | instid1(VALU_DEP_3)
	v_pk_fma_f32 v[48:49], v[50:51], v[114:115], v[48:49] op_sel_hi:[1,1,0] neg_lo:[0,0,1] neg_hi:[0,0,1]
	v_mul_f32_e32 v50, v51, v30
	v_pk_add_f32 v[158:159], v[158:159], v[52:53] neg_lo:[0,1] neg_hi:[0,1]
	s_delay_alu instid0(VALU_DEP_2) | instskip(NEXT) | instid1(VALU_DEP_1)
	v_pk_fma_f32 v[42:43], v[42:43], v[114:115], v[50:51] op_sel_hi:[1,1,0]
	v_mov_b32_e32 v49, v43
	s_delay_alu instid0(VALU_DEP_1) | instskip(SKIP_3) | instid1(VALU_DEP_1)
	v_pk_add_f32 v[160:161], v[160:161], v[48:49] neg_lo:[0,1] neg_hi:[0,1]
	ds_load_2addr_b64 v[48:51], v168 offset0:39 offset1:40
	s_wait_dscnt 0x0
	v_pk_mul_f32 v[42:43], v[48:49], v[32:33] op_sel:[0,1]
	v_pk_fma_f32 v[52:53], v[48:49], v[30:31], v[42:43] op_sel:[0,0,1] op_sel_hi:[1,1,0] neg_lo:[0,0,1] neg_hi:[0,0,1]
	v_pk_fma_f32 v[42:43], v[48:49], v[30:31], v[42:43] op_sel:[0,0,1] op_sel_hi:[1,0,0]
	s_delay_alu instid0(VALU_DEP_1) | instskip(SKIP_1) | instid1(VALU_DEP_2)
	v_mov_b32_e32 v53, v43
	v_pk_mul_f32 v[42:43], v[50:51], v[32:33] op_sel:[0,1]
	v_pk_add_f32 v[156:157], v[156:157], v[52:53] neg_lo:[0,1] neg_hi:[0,1]
	s_delay_alu instid0(VALU_DEP_2) | instskip(SKIP_1) | instid1(VALU_DEP_1)
	v_pk_fma_f32 v[48:49], v[50:51], v[30:31], v[42:43] op_sel:[0,0,1] op_sel_hi:[1,1,0] neg_lo:[0,0,1] neg_hi:[0,0,1]
	v_pk_fma_f32 v[42:43], v[50:51], v[30:31], v[42:43] op_sel:[0,0,1] op_sel_hi:[1,0,0]
	v_mov_b32_e32 v49, v43
	s_delay_alu instid0(VALU_DEP_1) | instskip(SKIP_3) | instid1(VALU_DEP_1)
	v_pk_add_f32 v[178:179], v[178:179], v[48:49] neg_lo:[0,1] neg_hi:[0,1]
	ds_load_2addr_b64 v[48:51], v168 offset0:41 offset1:42
	s_wait_dscnt 0x0
	v_pk_mul_f32 v[42:43], v[48:49], v[32:33] op_sel:[0,1]
	v_pk_fma_f32 v[52:53], v[48:49], v[30:31], v[42:43] op_sel:[0,0,1] op_sel_hi:[1,1,0] neg_lo:[0,0,1] neg_hi:[0,0,1]
	v_pk_fma_f32 v[42:43], v[48:49], v[30:31], v[42:43] op_sel:[0,0,1] op_sel_hi:[1,0,0]
	s_delay_alu instid0(VALU_DEP_1) | instskip(SKIP_1) | instid1(VALU_DEP_2)
	v_mov_b32_e32 v53, v43
	v_pk_mul_f32 v[42:43], v[50:51], v[32:33] op_sel:[0,1]
	v_pk_add_f32 v[174:175], v[174:175], v[52:53] neg_lo:[0,1] neg_hi:[0,1]
	s_delay_alu instid0(VALU_DEP_2) | instskip(SKIP_1) | instid1(VALU_DEP_1)
	v_pk_fma_f32 v[48:49], v[50:51], v[30:31], v[42:43] op_sel:[0,0,1] op_sel_hi:[1,1,0] neg_lo:[0,0,1] neg_hi:[0,0,1]
	v_pk_fma_f32 v[42:43], v[50:51], v[30:31], v[42:43] op_sel:[0,0,1] op_sel_hi:[1,0,0]
	v_mov_b32_e32 v49, v43
	s_delay_alu instid0(VALU_DEP_1) | instskip(SKIP_3) | instid1(VALU_DEP_1)
	v_pk_add_f32 v[176:177], v[176:177], v[48:49] neg_lo:[0,1] neg_hi:[0,1]
	ds_load_2addr_b64 v[48:51], v168 offset0:43 offset1:44
	s_wait_dscnt 0x0
	v_dual_mul_f32 v42, v49, v33 :: v_dual_mul_f32 v52, v49, v30
	v_pk_fma_f32 v[42:43], v[48:49], v[114:115], v[42:43] op_sel_hi:[1,1,0] neg_lo:[0,0,1] neg_hi:[0,0,1]
	s_delay_alu instid0(VALU_DEP_2) | instskip(NEXT) | instid1(VALU_DEP_1)
	v_pk_fma_f32 v[48:49], v[48:49], v[114:115], v[52:53] op_sel:[1,0,0] op_sel_hi:[0,1,0]
	v_mov_b32_e32 v43, v49
	s_delay_alu instid0(VALU_DEP_1) | instskip(SKIP_1) | instid1(VALU_DEP_1)
	v_pk_add_f32 v[172:173], v[172:173], v[42:43] neg_lo:[0,1] neg_hi:[0,1]
	v_pk_mul_f32 v[42:43], v[50:51], v[32:33] op_sel:[0,1]
	v_pk_fma_f32 v[48:49], v[50:51], v[30:31], v[42:43] op_sel:[0,0,1] op_sel_hi:[1,1,0] neg_lo:[0,0,1] neg_hi:[0,0,1]
	v_pk_fma_f32 v[42:43], v[50:51], v[30:31], v[42:43] op_sel:[0,0,1] op_sel_hi:[1,0,0]
	s_delay_alu instid0(VALU_DEP_1) | instskip(NEXT) | instid1(VALU_DEP_1)
	v_mov_b32_e32 v49, v43
	v_pk_add_f32 v[198:199], v[198:199], v[48:49] neg_lo:[0,1] neg_hi:[0,1]
	ds_load_2addr_b64 v[48:51], v168 offset0:45 offset1:46
	s_wait_dscnt 0x0
	v_pk_mul_f32 v[42:43], v[48:49], v[32:33] op_sel:[0,1]
	s_delay_alu instid0(VALU_DEP_1) | instskip(SKIP_1) | instid1(VALU_DEP_1)
	v_pk_fma_f32 v[52:53], v[48:49], v[30:31], v[42:43] op_sel:[0,0,1] op_sel_hi:[1,1,0] neg_lo:[0,0,1] neg_hi:[0,0,1]
	v_pk_fma_f32 v[42:43], v[48:49], v[30:31], v[42:43] op_sel:[0,0,1] op_sel_hi:[1,0,0]
	v_mov_b32_e32 v53, v43
	v_pk_mul_f32 v[42:43], v[50:51], v[32:33] op_sel:[0,1]
	s_delay_alu instid0(VALU_DEP_2) | instskip(NEXT) | instid1(VALU_DEP_2)
	v_pk_add_f32 v[194:195], v[194:195], v[52:53] neg_lo:[0,1] neg_hi:[0,1]
	v_pk_fma_f32 v[48:49], v[50:51], v[30:31], v[42:43] op_sel:[0,0,1] op_sel_hi:[1,1,0] neg_lo:[0,0,1] neg_hi:[0,0,1]
	v_pk_fma_f32 v[42:43], v[50:51], v[30:31], v[42:43] op_sel:[0,0,1] op_sel_hi:[1,0,0]
	s_delay_alu instid0(VALU_DEP_1) | instskip(NEXT) | instid1(VALU_DEP_1)
	v_mov_b32_e32 v49, v43
	v_pk_add_f32 v[196:197], v[196:197], v[48:49] neg_lo:[0,1] neg_hi:[0,1]
	ds_load_2addr_b64 v[48:51], v168 offset0:47 offset1:48
	s_wait_dscnt 0x0
	v_pk_mul_f32 v[42:43], v[48:49], v[32:33] op_sel:[0,1]
	s_delay_alu instid0(VALU_DEP_1) | instskip(SKIP_2) | instid1(VALU_DEP_2)
	v_pk_fma_f32 v[52:53], v[48:49], v[30:31], v[42:43] op_sel:[0,0,1] op_sel_hi:[1,1,0] neg_lo:[0,0,1] neg_hi:[0,0,1]
	v_pk_fma_f32 v[42:43], v[48:49], v[30:31], v[42:43] op_sel:[0,0,1] op_sel_hi:[1,0,0]
	v_dual_mul_f32 v48, v51, v33 :: v_dual_mov_b32 v42, v51
	v_dual_mov_b32 v53, v43 :: v_dual_mov_b32 v43, v50
	s_delay_alu instid0(VALU_DEP_2) | instskip(SKIP_1) | instid1(VALU_DEP_3)
	v_pk_fma_f32 v[48:49], v[50:51], v[114:115], v[48:49] op_sel_hi:[1,1,0] neg_lo:[0,0,1] neg_hi:[0,0,1]
	v_mul_f32_e32 v50, v51, v30
	v_pk_add_f32 v[192:193], v[192:193], v[52:53] neg_lo:[0,1] neg_hi:[0,1]
	s_delay_alu instid0(VALU_DEP_2) | instskip(NEXT) | instid1(VALU_DEP_1)
	v_pk_fma_f32 v[42:43], v[42:43], v[114:115], v[50:51] op_sel_hi:[1,1,0]
	v_mov_b32_e32 v49, v43
	s_delay_alu instid0(VALU_DEP_1) | instskip(SKIP_3) | instid1(VALU_DEP_1)
	v_pk_add_f32 v[220:221], v[220:221], v[48:49] neg_lo:[0,1] neg_hi:[0,1]
	ds_load_2addr_b64 v[48:51], v168 offset0:49 offset1:50
	s_wait_dscnt 0x0
	v_pk_mul_f32 v[42:43], v[48:49], v[32:33] op_sel:[0,1]
	v_pk_fma_f32 v[52:53], v[48:49], v[30:31], v[42:43] op_sel:[0,0,1] op_sel_hi:[1,1,0] neg_lo:[0,0,1] neg_hi:[0,0,1]
	v_pk_fma_f32 v[42:43], v[48:49], v[30:31], v[42:43] op_sel:[0,0,1] op_sel_hi:[1,0,0]
	s_delay_alu instid0(VALU_DEP_1) | instskip(SKIP_1) | instid1(VALU_DEP_2)
	v_mov_b32_e32 v53, v43
	v_pk_mul_f32 v[42:43], v[50:51], v[32:33] op_sel:[0,1]
	v_pk_add_f32 v[214:215], v[214:215], v[52:53] neg_lo:[0,1] neg_hi:[0,1]
	s_delay_alu instid0(VALU_DEP_2) | instskip(SKIP_1) | instid1(VALU_DEP_1)
	v_pk_fma_f32 v[48:49], v[50:51], v[30:31], v[42:43] op_sel:[0,0,1] op_sel_hi:[1,1,0] neg_lo:[0,0,1] neg_hi:[0,0,1]
	v_pk_fma_f32 v[42:43], v[50:51], v[30:31], v[42:43] op_sel:[0,0,1] op_sel_hi:[1,0,0]
	v_mov_b32_e32 v49, v43
	s_delay_alu instid0(VALU_DEP_1) | instskip(SKIP_3) | instid1(VALU_DEP_1)
	v_pk_add_f32 v[218:219], v[218:219], v[48:49] neg_lo:[0,1] neg_hi:[0,1]
	ds_load_2addr_b64 v[48:51], v168 offset0:51 offset1:52
	s_wait_dscnt 0x0
	v_pk_mul_f32 v[42:43], v[48:49], v[32:33] op_sel:[0,1]
	v_pk_fma_f32 v[52:53], v[48:49], v[30:31], v[42:43] op_sel:[0,0,1] op_sel_hi:[1,1,0] neg_lo:[0,0,1] neg_hi:[0,0,1]
	v_pk_fma_f32 v[42:43], v[48:49], v[30:31], v[42:43] op_sel:[0,0,1] op_sel_hi:[1,0,0]
	s_delay_alu instid0(VALU_DEP_1) | instskip(SKIP_1) | instid1(VALU_DEP_2)
	v_mov_b32_e32 v53, v43
	v_pk_mul_f32 v[42:43], v[50:51], v[32:33] op_sel:[0,1]
	v_pk_add_f32 v[212:213], v[212:213], v[52:53] neg_lo:[0,1] neg_hi:[0,1]
	s_delay_alu instid0(VALU_DEP_2) | instskip(SKIP_1) | instid1(VALU_DEP_1)
	v_pk_fma_f32 v[48:49], v[50:51], v[30:31], v[42:43] op_sel:[0,0,1] op_sel_hi:[1,1,0] neg_lo:[0,0,1] neg_hi:[0,0,1]
	v_pk_fma_f32 v[42:43], v[50:51], v[30:31], v[42:43] op_sel:[0,0,1] op_sel_hi:[1,0,0]
	v_mov_b32_e32 v49, v43
	s_delay_alu instid0(VALU_DEP_1) | instskip(SKIP_3) | instid1(VALU_DEP_1)
	v_pk_add_f32 v[216:217], v[216:217], v[48:49] neg_lo:[0,1] neg_hi:[0,1]
	ds_load_2addr_b64 v[48:51], v168 offset0:53 offset1:54
	s_wait_dscnt 0x0
	v_dual_mul_f32 v42, v49, v33 :: v_dual_mul_f32 v52, v49, v30
	v_pk_fma_f32 v[42:43], v[48:49], v[114:115], v[42:43] op_sel_hi:[1,1,0] neg_lo:[0,0,1] neg_hi:[0,0,1]
	s_delay_alu instid0(VALU_DEP_2) | instskip(NEXT) | instid1(VALU_DEP_1)
	v_pk_fma_f32 v[48:49], v[48:49], v[114:115], v[52:53] op_sel:[1,0,0] op_sel_hi:[0,1,0]
	v_mov_b32_e32 v43, v49
	s_delay_alu instid0(VALU_DEP_1) | instskip(SKIP_1) | instid1(VALU_DEP_1)
	v_pk_add_f32 v[210:211], v[210:211], v[42:43] neg_lo:[0,1] neg_hi:[0,1]
	v_pk_mul_f32 v[42:43], v[50:51], v[32:33] op_sel:[0,1]
	v_pk_fma_f32 v[48:49], v[50:51], v[30:31], v[42:43] op_sel:[0,0,1] op_sel_hi:[1,1,0] neg_lo:[0,0,1] neg_hi:[0,0,1]
	v_pk_fma_f32 v[42:43], v[50:51], v[30:31], v[42:43] op_sel:[0,0,1] op_sel_hi:[1,0,0]
	s_delay_alu instid0(VALU_DEP_1) | instskip(SKIP_4) | instid1(VALU_DEP_1)
	v_mov_b32_e32 v49, v43
	ds_load_b64 v[42:43], v168 offset:440
	v_pk_add_f32 v[222:223], v[222:223], v[48:49] neg_lo:[0,1] neg_hi:[0,1]
	s_wait_dscnt 0x0
	v_pk_mul_f32 v[32:33], v[42:43], v[32:33] op_sel:[0,1]
	v_pk_fma_f32 v[48:49], v[42:43], v[30:31], v[32:33] op_sel:[0,0,1] op_sel_hi:[1,1,0] neg_lo:[0,0,1] neg_hi:[0,0,1]
	v_pk_fma_f32 v[30:31], v[42:43], v[30:31], v[32:33] op_sel:[0,0,1] op_sel_hi:[1,0,0]
	s_delay_alu instid0(VALU_DEP_1) | instskip(NEXT) | instid1(VALU_DEP_1)
	v_mov_b32_e32 v49, v31
	v_pk_add_f32 v[224:225], v[224:225], v[48:49] neg_lo:[0,1] neg_hi:[0,1]
.LBB111_226:
	s_or_b32 exec_lo, exec_lo, s1
	s_delay_alu instid0(SALU_CYCLE_1)
	s_mov_b32 s2, exec_lo
	s_wait_dscnt 0x0
	s_barrier_signal -1
	s_barrier_wait -1
	v_cmpx_eq_u32_e32 25, v166
	s_cbranch_execz .LBB111_233
; %bb.227:
	v_dual_mov_b32 v30, v112 :: v_dual_mov_b32 v31, v113
	v_dual_mov_b32 v32, v108 :: v_dual_mov_b32 v33, v109
	ds_store_b64 v167, v[110:111]
	ds_store_2addr_b64 v168, v[30:31], v[32:33] offset0:26 offset1:27
	v_dual_mov_b32 v30, v130 :: v_dual_mov_b32 v31, v131
	v_dual_mov_b32 v32, v126 :: v_dual_mov_b32 v33, v127
	ds_store_2addr_b64 v168, v[30:31], v[32:33] offset0:28 offset1:29
	v_dual_mov_b32 v30, v128 :: v_dual_mov_b32 v31, v129
	v_dual_mov_b32 v32, v124 :: v_dual_mov_b32 v33, v125
	;; [unrolled: 3-line block ×13, first 2 shown]
	ds_store_2addr_b64 v168, v[30:31], v[32:33] offset0:52 offset1:53
	v_dual_mov_b32 v30, v222 :: v_dual_mov_b32 v31, v223
	ds_store_2addr_b64 v168, v[30:31], v[224:225] offset0:54 offset1:55
	ds_load_b64 v[30:31], v167
	s_wait_dscnt 0x0
	v_cmp_neq_f32_e32 vcc_lo, 0, v30
	v_cmp_neq_f32_e64 s1, 0, v31
	s_or_b32 s1, vcc_lo, s1
	s_delay_alu instid0(SALU_CYCLE_1)
	s_and_b32 exec_lo, exec_lo, s1
	s_cbranch_execz .LBB111_233
; %bb.228:
	v_cmp_ngt_f32_e64 s1, |v30|, |v31|
                                        ; implicit-def: $vgpr32_vgpr33
	s_and_saveexec_b32 s4, s1
	s_delay_alu instid0(SALU_CYCLE_1)
	s_xor_b32 s1, exec_lo, s4
	s_cbranch_execz .LBB111_230
; %bb.229:
	v_div_scale_f32 v32, null, v31, v31, v30
	v_div_scale_f32 v43, vcc_lo, v30, v31, v30
	s_delay_alu instid0(VALU_DEP_2) | instskip(SKIP_1) | instid1(TRANS32_DEP_1)
	v_rcp_f32_e32 v33, v32
	v_nop
	v_fma_f32 v42, -v32, v33, 1.0
	s_delay_alu instid0(VALU_DEP_1) | instskip(NEXT) | instid1(VALU_DEP_1)
	v_fmac_f32_e32 v33, v42, v33
	v_mul_f32_e32 v42, v43, v33
	s_delay_alu instid0(VALU_DEP_1) | instskip(NEXT) | instid1(VALU_DEP_1)
	v_fma_f32 v48, -v32, v42, v43
	v_fmac_f32_e32 v42, v48, v33
	s_delay_alu instid0(VALU_DEP_1) | instskip(NEXT) | instid1(VALU_DEP_1)
	v_fma_f32 v32, -v32, v42, v43
	v_div_fmas_f32 v32, v32, v33, v42
	s_delay_alu instid0(VALU_DEP_1) | instskip(NEXT) | instid1(VALU_DEP_1)
	v_div_fixup_f32 v32, v32, v31, v30
	v_fmac_f32_e32 v31, v30, v32
	s_delay_alu instid0(VALU_DEP_1) | instskip(SKIP_1) | instid1(VALU_DEP_2)
	v_div_scale_f32 v30, null, v31, v31, 1.0
	v_div_scale_f32 v43, vcc_lo, 1.0, v31, 1.0
	v_rcp_f32_e32 v33, v30
	v_nop
	s_delay_alu instid0(TRANS32_DEP_1) | instskip(NEXT) | instid1(VALU_DEP_1)
	v_fma_f32 v42, -v30, v33, 1.0
	v_fmac_f32_e32 v33, v42, v33
	s_delay_alu instid0(VALU_DEP_1) | instskip(NEXT) | instid1(VALU_DEP_1)
	v_mul_f32_e32 v42, v43, v33
	v_fma_f32 v48, -v30, v42, v43
	s_delay_alu instid0(VALU_DEP_1) | instskip(NEXT) | instid1(VALU_DEP_1)
	v_fmac_f32_e32 v42, v48, v33
	v_fma_f32 v30, -v30, v42, v43
	s_delay_alu instid0(VALU_DEP_1) | instskip(NEXT) | instid1(VALU_DEP_1)
	v_div_fmas_f32 v30, v30, v33, v42
	v_div_fixup_f32 v30, v30, v31, 1.0
	s_delay_alu instid0(VALU_DEP_1)
	v_mul_f32_e32 v32, v32, v30
	v_xor_b32_e32 v33, 0x80000000, v30
                                        ; implicit-def: $vgpr30_vgpr31
.LBB111_230:
	s_and_not1_saveexec_b32 s1, s1
	s_cbranch_execz .LBB111_232
; %bb.231:
	v_div_scale_f32 v32, null, v30, v30, v31
	v_div_scale_f32 v43, vcc_lo, v31, v30, v31
	s_delay_alu instid0(VALU_DEP_2) | instskip(SKIP_1) | instid1(TRANS32_DEP_1)
	v_rcp_f32_e32 v33, v32
	v_nop
	v_fma_f32 v42, -v32, v33, 1.0
	s_delay_alu instid0(VALU_DEP_1) | instskip(NEXT) | instid1(VALU_DEP_1)
	v_fmac_f32_e32 v33, v42, v33
	v_mul_f32_e32 v42, v43, v33
	s_delay_alu instid0(VALU_DEP_1) | instskip(NEXT) | instid1(VALU_DEP_1)
	v_fma_f32 v48, -v32, v42, v43
	v_fmac_f32_e32 v42, v48, v33
	s_delay_alu instid0(VALU_DEP_1) | instskip(NEXT) | instid1(VALU_DEP_1)
	v_fma_f32 v32, -v32, v42, v43
	v_div_fmas_f32 v32, v32, v33, v42
	s_delay_alu instid0(VALU_DEP_1) | instskip(NEXT) | instid1(VALU_DEP_1)
	v_div_fixup_f32 v33, v32, v30, v31
	v_fmac_f32_e32 v30, v31, v33
	s_delay_alu instid0(VALU_DEP_1) | instskip(NEXT) | instid1(VALU_DEP_1)
	v_div_scale_f32 v31, null, v30, v30, 1.0
	v_rcp_f32_e32 v32, v31
	v_nop
	s_delay_alu instid0(TRANS32_DEP_1) | instskip(NEXT) | instid1(VALU_DEP_1)
	v_fma_f32 v42, -v31, v32, 1.0
	v_fmac_f32_e32 v32, v42, v32
	v_div_scale_f32 v42, vcc_lo, 1.0, v30, 1.0
	s_delay_alu instid0(VALU_DEP_1) | instskip(NEXT) | instid1(VALU_DEP_1)
	v_mul_f32_e32 v43, v42, v32
	v_fma_f32 v48, -v31, v43, v42
	s_delay_alu instid0(VALU_DEP_1) | instskip(NEXT) | instid1(VALU_DEP_1)
	v_fmac_f32_e32 v43, v48, v32
	v_fma_f32 v31, -v31, v43, v42
	s_delay_alu instid0(VALU_DEP_1) | instskip(NEXT) | instid1(VALU_DEP_1)
	v_div_fmas_f32 v31, v31, v32, v43
	v_div_fixup_f32 v32, v31, v30, 1.0
	s_delay_alu instid0(VALU_DEP_1)
	v_mul_f32_e64 v33, v33, -v32
.LBB111_232:
	s_or_b32 exec_lo, exec_lo, s1
	ds_store_b64 v167, v[32:33]
.LBB111_233:
	s_or_b32 exec_lo, exec_lo, s2
	s_wait_dscnt 0x0
	s_barrier_signal -1
	s_barrier_wait -1
	ds_load_b64 v[30:31], v167
	s_mov_b32 s1, exec_lo
	v_cmpx_lt_u32_e32 25, v166
	s_cbranch_execz .LBB111_235
; %bb.234:
	ds_load_2addr_b64 v[48:51], v168 offset0:26 offset1:27
	s_wait_dscnt 0x1
	v_pk_mul_f32 v[42:43], v[30:31], v[110:111] op_sel:[1,1] op_sel_hi:[0,1]
	s_delay_alu instid0(VALU_DEP_1) | instskip(SKIP_1) | instid1(VALU_DEP_1)
	v_pk_fma_f32 v[32:33], v[30:31], v[110:111], v[42:43] op_sel_hi:[1,0,1] neg_lo:[0,0,1] neg_hi:[0,0,1]
	v_pk_fma_f32 v[42:43], v[30:31], v[110:111], v[42:43] op_sel_hi:[1,0,1]
	v_dual_mov_b32 v110, v32 :: v_dual_mov_b32 v111, v43
	s_wait_dscnt 0x0
	s_delay_alu instid0(VALU_DEP_2) | instskip(NEXT) | instid1(VALU_DEP_1)
	v_pk_mul_f32 v[52:53], v[48:49], v[42:43] op_sel:[0,1]
	v_pk_fma_f32 v[66:67], v[48:49], v[32:33], v[52:53] op_sel:[0,0,1] op_sel_hi:[1,1,0] neg_lo:[0,0,1] neg_hi:[0,0,1]
	v_pk_fma_f32 v[48:49], v[48:49], v[32:33], v[52:53] op_sel:[0,0,1] op_sel_hi:[1,0,0]
	s_delay_alu instid0(VALU_DEP_1) | instskip(SKIP_1) | instid1(VALU_DEP_1)
	v_mov_b32_e32 v67, v49
	v_pk_mul_f32 v[48:49], v[50:51], v[42:43] op_sel:[0,1]
	v_pk_fma_f32 v[52:53], v[50:51], v[32:33], v[48:49] op_sel:[0,0,1] op_sel_hi:[1,1,0] neg_lo:[0,0,1] neg_hi:[0,0,1]
	v_pk_fma_f32 v[48:49], v[50:51], v[32:33], v[48:49] op_sel:[0,0,1] op_sel_hi:[1,0,0]
	s_delay_alu instid0(VALU_DEP_1)
	v_mov_b32_e32 v53, v49
	ds_load_2addr_b64 v[48:51], v168 offset0:28 offset1:29
	v_pk_add_f32 v[112:113], v[112:113], v[66:67] neg_lo:[0,1] neg_hi:[0,1]
	v_pk_add_f32 v[108:109], v[108:109], v[52:53] neg_lo:[0,1] neg_hi:[0,1]
	s_wait_dscnt 0x0
	v_pk_mul_f32 v[52:53], v[48:49], v[42:43] op_sel:[0,1]
	s_delay_alu instid0(VALU_DEP_1) | instskip(SKIP_2) | instid1(VALU_DEP_2)
	v_pk_fma_f32 v[66:67], v[48:49], v[32:33], v[52:53] op_sel:[0,0,1] op_sel_hi:[1,1,0] neg_lo:[0,0,1] neg_hi:[0,0,1]
	v_pk_fma_f32 v[48:49], v[48:49], v[32:33], v[52:53] op_sel:[0,0,1] op_sel_hi:[1,0,0]
	v_dual_mul_f32 v52, v51, v43 :: v_dual_mov_b32 v48, v51
	v_dual_mov_b32 v67, v49 :: v_dual_mov_b32 v49, v50
	s_delay_alu instid0(VALU_DEP_2) | instskip(SKIP_1) | instid1(VALU_DEP_3)
	v_pk_fma_f32 v[52:53], v[50:51], v[110:111], v[52:53] op_sel_hi:[1,1,0] neg_lo:[0,0,1] neg_hi:[0,0,1]
	v_mul_f32_e32 v50, v51, v32
	v_pk_add_f32 v[130:131], v[130:131], v[66:67] neg_lo:[0,1] neg_hi:[0,1]
	s_delay_alu instid0(VALU_DEP_2) | instskip(NEXT) | instid1(VALU_DEP_1)
	v_pk_fma_f32 v[48:49], v[48:49], v[110:111], v[50:51] op_sel_hi:[1,1,0]
	v_mov_b32_e32 v53, v49
	ds_load_2addr_b64 v[48:51], v168 offset0:30 offset1:31
	v_pk_add_f32 v[126:127], v[126:127], v[52:53] neg_lo:[0,1] neg_hi:[0,1]
	s_wait_dscnt 0x0
	v_pk_mul_f32 v[52:53], v[48:49], v[42:43] op_sel:[0,1]
	s_delay_alu instid0(VALU_DEP_1) | instskip(SKIP_1) | instid1(VALU_DEP_1)
	v_pk_fma_f32 v[66:67], v[48:49], v[32:33], v[52:53] op_sel:[0,0,1] op_sel_hi:[1,1,0] neg_lo:[0,0,1] neg_hi:[0,0,1]
	v_pk_fma_f32 v[48:49], v[48:49], v[32:33], v[52:53] op_sel:[0,0,1] op_sel_hi:[1,0,0]
	v_mov_b32_e32 v67, v49
	v_pk_mul_f32 v[48:49], v[50:51], v[42:43] op_sel:[0,1]
	s_delay_alu instid0(VALU_DEP_1) | instskip(SKIP_1) | instid1(VALU_DEP_1)
	v_pk_fma_f32 v[52:53], v[50:51], v[32:33], v[48:49] op_sel:[0,0,1] op_sel_hi:[1,1,0] neg_lo:[0,0,1] neg_hi:[0,0,1]
	v_pk_fma_f32 v[48:49], v[50:51], v[32:33], v[48:49] op_sel:[0,0,1] op_sel_hi:[1,0,0]
	v_mov_b32_e32 v53, v49
	ds_load_2addr_b64 v[48:51], v168 offset0:32 offset1:33
	v_pk_add_f32 v[128:129], v[128:129], v[66:67] neg_lo:[0,1] neg_hi:[0,1]
	v_pk_add_f32 v[124:125], v[124:125], v[52:53] neg_lo:[0,1] neg_hi:[0,1]
	s_wait_dscnt 0x0
	v_pk_mul_f32 v[52:53], v[48:49], v[42:43] op_sel:[0,1]
	s_delay_alu instid0(VALU_DEP_1) | instskip(SKIP_1) | instid1(VALU_DEP_1)
	v_pk_fma_f32 v[66:67], v[48:49], v[32:33], v[52:53] op_sel:[0,0,1] op_sel_hi:[1,1,0] neg_lo:[0,0,1] neg_hi:[0,0,1]
	v_pk_fma_f32 v[48:49], v[48:49], v[32:33], v[52:53] op_sel:[0,0,1] op_sel_hi:[1,0,0]
	v_mov_b32_e32 v67, v49
	v_pk_mul_f32 v[48:49], v[50:51], v[42:43] op_sel:[0,1]
	s_delay_alu instid0(VALU_DEP_1) | instskip(SKIP_1) | instid1(VALU_DEP_1)
	v_pk_fma_f32 v[52:53], v[50:51], v[32:33], v[48:49] op_sel:[0,0,1] op_sel_hi:[1,1,0] neg_lo:[0,0,1] neg_hi:[0,0,1]
	v_pk_fma_f32 v[48:49], v[50:51], v[32:33], v[48:49] op_sel:[0,0,1] op_sel_hi:[1,0,0]
	v_mov_b32_e32 v53, v49
	ds_load_2addr_b64 v[48:51], v168 offset0:34 offset1:35
	v_pk_add_f32 v[146:147], v[146:147], v[66:67] neg_lo:[0,1] neg_hi:[0,1]
	v_pk_add_f32 v[142:143], v[142:143], v[52:53] neg_lo:[0,1] neg_hi:[0,1]
	s_wait_dscnt 0x0
	v_dual_mul_f32 v52, v49, v43 :: v_dual_mul_f32 v66, v49, v32
	s_delay_alu instid0(VALU_DEP_1) | instskip(NEXT) | instid1(VALU_DEP_2)
	v_pk_fma_f32 v[52:53], v[48:49], v[110:111], v[52:53] op_sel_hi:[1,1,0] neg_lo:[0,0,1] neg_hi:[0,0,1]
	v_pk_fma_f32 v[48:49], v[48:49], v[110:111], v[66:67] op_sel:[1,0,0] op_sel_hi:[0,1,0]
	s_delay_alu instid0(VALU_DEP_1) | instskip(SKIP_1) | instid1(VALU_DEP_2)
	v_mov_b32_e32 v53, v49
	v_pk_mul_f32 v[48:49], v[50:51], v[42:43] op_sel:[0,1]
	v_pk_add_f32 v[144:145], v[144:145], v[52:53] neg_lo:[0,1] neg_hi:[0,1]
	s_delay_alu instid0(VALU_DEP_2) | instskip(SKIP_1) | instid1(VALU_DEP_1)
	v_pk_fma_f32 v[52:53], v[50:51], v[32:33], v[48:49] op_sel:[0,0,1] op_sel_hi:[1,1,0] neg_lo:[0,0,1] neg_hi:[0,0,1]
	v_pk_fma_f32 v[48:49], v[50:51], v[32:33], v[48:49] op_sel:[0,0,1] op_sel_hi:[1,0,0]
	v_mov_b32_e32 v53, v49
	ds_load_2addr_b64 v[48:51], v168 offset0:36 offset1:37
	v_pk_add_f32 v[140:141], v[140:141], v[52:53] neg_lo:[0,1] neg_hi:[0,1]
	s_wait_dscnt 0x0
	v_pk_mul_f32 v[52:53], v[48:49], v[42:43] op_sel:[0,1]
	s_delay_alu instid0(VALU_DEP_1) | instskip(SKIP_1) | instid1(VALU_DEP_1)
	v_pk_fma_f32 v[66:67], v[48:49], v[32:33], v[52:53] op_sel:[0,0,1] op_sel_hi:[1,1,0] neg_lo:[0,0,1] neg_hi:[0,0,1]
	v_pk_fma_f32 v[48:49], v[48:49], v[32:33], v[52:53] op_sel:[0,0,1] op_sel_hi:[1,0,0]
	v_mov_b32_e32 v67, v49
	v_pk_mul_f32 v[48:49], v[50:51], v[42:43] op_sel:[0,1]
	s_delay_alu instid0(VALU_DEP_2) | instskip(NEXT) | instid1(VALU_DEP_2)
	v_pk_add_f32 v[162:163], v[162:163], v[66:67] neg_lo:[0,1] neg_hi:[0,1]
	v_pk_fma_f32 v[52:53], v[50:51], v[32:33], v[48:49] op_sel:[0,0,1] op_sel_hi:[1,1,0] neg_lo:[0,0,1] neg_hi:[0,0,1]
	v_pk_fma_f32 v[48:49], v[50:51], v[32:33], v[48:49] op_sel:[0,0,1] op_sel_hi:[1,0,0]
	s_delay_alu instid0(VALU_DEP_1) | instskip(SKIP_4) | instid1(VALU_DEP_1)
	v_mov_b32_e32 v53, v49
	ds_load_2addr_b64 v[48:51], v168 offset0:38 offset1:39
	v_pk_add_f32 v[158:159], v[158:159], v[52:53] neg_lo:[0,1] neg_hi:[0,1]
	s_wait_dscnt 0x0
	v_pk_mul_f32 v[52:53], v[48:49], v[42:43] op_sel:[0,1]
	v_pk_fma_f32 v[66:67], v[48:49], v[32:33], v[52:53] op_sel:[0,0,1] op_sel_hi:[1,1,0] neg_lo:[0,0,1] neg_hi:[0,0,1]
	v_pk_fma_f32 v[48:49], v[48:49], v[32:33], v[52:53] op_sel:[0,0,1] op_sel_hi:[1,0,0]
	v_dual_mul_f32 v52, v51, v43 :: v_dual_mov_b32 v48, v51
	s_delay_alu instid0(VALU_DEP_2) | instskip(NEXT) | instid1(VALU_DEP_2)
	v_dual_mov_b32 v67, v49 :: v_dual_mov_b32 v49, v50
	v_pk_fma_f32 v[52:53], v[50:51], v[110:111], v[52:53] op_sel_hi:[1,1,0] neg_lo:[0,0,1] neg_hi:[0,0,1]
	v_mul_f32_e32 v50, v51, v32
	s_delay_alu instid0(VALU_DEP_3) | instskip(NEXT) | instid1(VALU_DEP_2)
	v_pk_add_f32 v[160:161], v[160:161], v[66:67] neg_lo:[0,1] neg_hi:[0,1]
	v_pk_fma_f32 v[48:49], v[48:49], v[110:111], v[50:51] op_sel_hi:[1,1,0]
	s_delay_alu instid0(VALU_DEP_1) | instskip(SKIP_4) | instid1(VALU_DEP_1)
	v_mov_b32_e32 v53, v49
	ds_load_2addr_b64 v[48:51], v168 offset0:40 offset1:41
	v_pk_add_f32 v[156:157], v[156:157], v[52:53] neg_lo:[0,1] neg_hi:[0,1]
	s_wait_dscnt 0x0
	v_pk_mul_f32 v[52:53], v[48:49], v[42:43] op_sel:[0,1]
	v_pk_fma_f32 v[66:67], v[48:49], v[32:33], v[52:53] op_sel:[0,0,1] op_sel_hi:[1,1,0] neg_lo:[0,0,1] neg_hi:[0,0,1]
	v_pk_fma_f32 v[48:49], v[48:49], v[32:33], v[52:53] op_sel:[0,0,1] op_sel_hi:[1,0,0]
	s_delay_alu instid0(VALU_DEP_1) | instskip(SKIP_1) | instid1(VALU_DEP_1)
	v_mov_b32_e32 v67, v49
	v_pk_mul_f32 v[48:49], v[50:51], v[42:43] op_sel:[0,1]
	v_pk_fma_f32 v[52:53], v[50:51], v[32:33], v[48:49] op_sel:[0,0,1] op_sel_hi:[1,1,0] neg_lo:[0,0,1] neg_hi:[0,0,1]
	v_pk_fma_f32 v[48:49], v[50:51], v[32:33], v[48:49] op_sel:[0,0,1] op_sel_hi:[1,0,0]
	s_delay_alu instid0(VALU_DEP_1)
	v_mov_b32_e32 v53, v49
	ds_load_2addr_b64 v[48:51], v168 offset0:42 offset1:43
	v_pk_add_f32 v[178:179], v[178:179], v[66:67] neg_lo:[0,1] neg_hi:[0,1]
	v_pk_add_f32 v[174:175], v[174:175], v[52:53] neg_lo:[0,1] neg_hi:[0,1]
	s_wait_dscnt 0x0
	v_pk_mul_f32 v[52:53], v[48:49], v[42:43] op_sel:[0,1]
	s_delay_alu instid0(VALU_DEP_1) | instskip(SKIP_1) | instid1(VALU_DEP_1)
	v_pk_fma_f32 v[66:67], v[48:49], v[32:33], v[52:53] op_sel:[0,0,1] op_sel_hi:[1,1,0] neg_lo:[0,0,1] neg_hi:[0,0,1]
	v_pk_fma_f32 v[48:49], v[48:49], v[32:33], v[52:53] op_sel:[0,0,1] op_sel_hi:[1,0,0]
	v_mov_b32_e32 v67, v49
	v_pk_mul_f32 v[48:49], v[50:51], v[42:43] op_sel:[0,1]
	s_delay_alu instid0(VALU_DEP_1) | instskip(SKIP_1) | instid1(VALU_DEP_1)
	v_pk_fma_f32 v[52:53], v[50:51], v[32:33], v[48:49] op_sel:[0,0,1] op_sel_hi:[1,1,0] neg_lo:[0,0,1] neg_hi:[0,0,1]
	v_pk_fma_f32 v[48:49], v[50:51], v[32:33], v[48:49] op_sel:[0,0,1] op_sel_hi:[1,0,0]
	v_mov_b32_e32 v53, v49
	ds_load_2addr_b64 v[48:51], v168 offset0:44 offset1:45
	v_pk_add_f32 v[176:177], v[176:177], v[66:67] neg_lo:[0,1] neg_hi:[0,1]
	v_pk_add_f32 v[172:173], v[172:173], v[52:53] neg_lo:[0,1] neg_hi:[0,1]
	s_wait_dscnt 0x0
	v_dual_mul_f32 v52, v49, v43 :: v_dual_mul_f32 v66, v49, v32
	s_delay_alu instid0(VALU_DEP_1) | instskip(NEXT) | instid1(VALU_DEP_2)
	v_pk_fma_f32 v[52:53], v[48:49], v[110:111], v[52:53] op_sel_hi:[1,1,0] neg_lo:[0,0,1] neg_hi:[0,0,1]
	v_pk_fma_f32 v[48:49], v[48:49], v[110:111], v[66:67] op_sel:[1,0,0] op_sel_hi:[0,1,0]
	s_delay_alu instid0(VALU_DEP_1) | instskip(SKIP_1) | instid1(VALU_DEP_2)
	v_mov_b32_e32 v53, v49
	v_pk_mul_f32 v[48:49], v[50:51], v[42:43] op_sel:[0,1]
	v_pk_add_f32 v[198:199], v[198:199], v[52:53] neg_lo:[0,1] neg_hi:[0,1]
	s_delay_alu instid0(VALU_DEP_2) | instskip(SKIP_1) | instid1(VALU_DEP_1)
	v_pk_fma_f32 v[52:53], v[50:51], v[32:33], v[48:49] op_sel:[0,0,1] op_sel_hi:[1,1,0] neg_lo:[0,0,1] neg_hi:[0,0,1]
	v_pk_fma_f32 v[48:49], v[50:51], v[32:33], v[48:49] op_sel:[0,0,1] op_sel_hi:[1,0,0]
	v_mov_b32_e32 v53, v49
	ds_load_2addr_b64 v[48:51], v168 offset0:46 offset1:47
	v_pk_add_f32 v[194:195], v[194:195], v[52:53] neg_lo:[0,1] neg_hi:[0,1]
	s_wait_dscnt 0x0
	v_pk_mul_f32 v[52:53], v[48:49], v[42:43] op_sel:[0,1]
	s_delay_alu instid0(VALU_DEP_1) | instskip(SKIP_1) | instid1(VALU_DEP_1)
	v_pk_fma_f32 v[66:67], v[48:49], v[32:33], v[52:53] op_sel:[0,0,1] op_sel_hi:[1,1,0] neg_lo:[0,0,1] neg_hi:[0,0,1]
	v_pk_fma_f32 v[48:49], v[48:49], v[32:33], v[52:53] op_sel:[0,0,1] op_sel_hi:[1,0,0]
	v_mov_b32_e32 v67, v49
	v_pk_mul_f32 v[48:49], v[50:51], v[42:43] op_sel:[0,1]
	s_delay_alu instid0(VALU_DEP_2) | instskip(NEXT) | instid1(VALU_DEP_2)
	v_pk_add_f32 v[196:197], v[196:197], v[66:67] neg_lo:[0,1] neg_hi:[0,1]
	v_pk_fma_f32 v[52:53], v[50:51], v[32:33], v[48:49] op_sel:[0,0,1] op_sel_hi:[1,1,0] neg_lo:[0,0,1] neg_hi:[0,0,1]
	v_pk_fma_f32 v[48:49], v[50:51], v[32:33], v[48:49] op_sel:[0,0,1] op_sel_hi:[1,0,0]
	s_delay_alu instid0(VALU_DEP_1) | instskip(SKIP_4) | instid1(VALU_DEP_1)
	v_mov_b32_e32 v53, v49
	ds_load_2addr_b64 v[48:51], v168 offset0:48 offset1:49
	v_pk_add_f32 v[192:193], v[192:193], v[52:53] neg_lo:[0,1] neg_hi:[0,1]
	s_wait_dscnt 0x0
	v_pk_mul_f32 v[52:53], v[48:49], v[42:43] op_sel:[0,1]
	v_pk_fma_f32 v[66:67], v[48:49], v[32:33], v[52:53] op_sel:[0,0,1] op_sel_hi:[1,1,0] neg_lo:[0,0,1] neg_hi:[0,0,1]
	v_pk_fma_f32 v[48:49], v[48:49], v[32:33], v[52:53] op_sel:[0,0,1] op_sel_hi:[1,0,0]
	v_dual_mul_f32 v52, v51, v43 :: v_dual_mov_b32 v48, v51
	s_delay_alu instid0(VALU_DEP_2) | instskip(NEXT) | instid1(VALU_DEP_2)
	v_dual_mov_b32 v67, v49 :: v_dual_mov_b32 v49, v50
	v_pk_fma_f32 v[52:53], v[50:51], v[110:111], v[52:53] op_sel_hi:[1,1,0] neg_lo:[0,0,1] neg_hi:[0,0,1]
	v_mul_f32_e32 v50, v51, v32
	s_delay_alu instid0(VALU_DEP_3) | instskip(NEXT) | instid1(VALU_DEP_2)
	v_pk_add_f32 v[220:221], v[220:221], v[66:67] neg_lo:[0,1] neg_hi:[0,1]
	v_pk_fma_f32 v[48:49], v[48:49], v[110:111], v[50:51] op_sel_hi:[1,1,0]
	s_delay_alu instid0(VALU_DEP_1) | instskip(SKIP_4) | instid1(VALU_DEP_1)
	v_mov_b32_e32 v53, v49
	ds_load_2addr_b64 v[48:51], v168 offset0:50 offset1:51
	v_pk_add_f32 v[214:215], v[214:215], v[52:53] neg_lo:[0,1] neg_hi:[0,1]
	s_wait_dscnt 0x0
	v_pk_mul_f32 v[52:53], v[48:49], v[42:43] op_sel:[0,1]
	v_pk_fma_f32 v[66:67], v[48:49], v[32:33], v[52:53] op_sel:[0,0,1] op_sel_hi:[1,1,0] neg_lo:[0,0,1] neg_hi:[0,0,1]
	v_pk_fma_f32 v[48:49], v[48:49], v[32:33], v[52:53] op_sel:[0,0,1] op_sel_hi:[1,0,0]
	s_delay_alu instid0(VALU_DEP_1) | instskip(SKIP_1) | instid1(VALU_DEP_1)
	v_mov_b32_e32 v67, v49
	v_pk_mul_f32 v[48:49], v[50:51], v[42:43] op_sel:[0,1]
	v_pk_fma_f32 v[52:53], v[50:51], v[32:33], v[48:49] op_sel:[0,0,1] op_sel_hi:[1,1,0] neg_lo:[0,0,1] neg_hi:[0,0,1]
	v_pk_fma_f32 v[48:49], v[50:51], v[32:33], v[48:49] op_sel:[0,0,1] op_sel_hi:[1,0,0]
	s_delay_alu instid0(VALU_DEP_1)
	v_mov_b32_e32 v53, v49
	ds_load_2addr_b64 v[48:51], v168 offset0:52 offset1:53
	v_pk_add_f32 v[218:219], v[218:219], v[66:67] neg_lo:[0,1] neg_hi:[0,1]
	v_pk_add_f32 v[212:213], v[212:213], v[52:53] neg_lo:[0,1] neg_hi:[0,1]
	s_wait_dscnt 0x0
	v_pk_mul_f32 v[52:53], v[48:49], v[42:43] op_sel:[0,1]
	s_delay_alu instid0(VALU_DEP_1) | instskip(SKIP_1) | instid1(VALU_DEP_1)
	v_pk_fma_f32 v[66:67], v[48:49], v[32:33], v[52:53] op_sel:[0,0,1] op_sel_hi:[1,1,0] neg_lo:[0,0,1] neg_hi:[0,0,1]
	v_pk_fma_f32 v[48:49], v[48:49], v[32:33], v[52:53] op_sel:[0,0,1] op_sel_hi:[1,0,0]
	v_mov_b32_e32 v67, v49
	v_pk_mul_f32 v[48:49], v[50:51], v[42:43] op_sel:[0,1]
	s_delay_alu instid0(VALU_DEP_1) | instskip(SKIP_1) | instid1(VALU_DEP_1)
	v_pk_fma_f32 v[52:53], v[50:51], v[32:33], v[48:49] op_sel:[0,0,1] op_sel_hi:[1,1,0] neg_lo:[0,0,1] neg_hi:[0,0,1]
	v_pk_fma_f32 v[48:49], v[50:51], v[32:33], v[48:49] op_sel:[0,0,1] op_sel_hi:[1,0,0]
	v_mov_b32_e32 v53, v49
	ds_load_2addr_b64 v[48:51], v168 offset0:54 offset1:55
	v_pk_add_f32 v[216:217], v[216:217], v[66:67] neg_lo:[0,1] neg_hi:[0,1]
	v_pk_add_f32 v[210:211], v[210:211], v[52:53] neg_lo:[0,1] neg_hi:[0,1]
	s_wait_dscnt 0x0
	v_mul_f32_e32 v42, v49, v43
	s_delay_alu instid0(VALU_DEP_1) | instskip(SKIP_1) | instid1(VALU_DEP_1)
	v_pk_fma_f32 v[52:53], v[48:49], v[110:111], v[42:43] op_sel_hi:[1,1,0] neg_lo:[0,0,1] neg_hi:[0,0,1]
	v_dual_mul_f32 v42, v49, v32 :: v_dual_mul_f32 v32, v51, v32
	v_pk_fma_f32 v[48:49], v[48:49], v[110:111], v[42:43] op_sel:[1,0,0] op_sel_hi:[0,1,0]
	v_dual_mov_b32 v48, v51 :: v_dual_mul_f32 v42, v51, v43
	s_delay_alu instid0(VALU_DEP_2) | instskip(NEXT) | instid1(VALU_DEP_2)
	v_dual_mov_b32 v53, v49 :: v_dual_mov_b32 v49, v50
	v_pk_fma_f32 v[42:43], v[50:51], v[110:111], v[42:43] op_sel_hi:[1,1,0] neg_lo:[0,0,1] neg_hi:[0,0,1]
	s_delay_alu instid0(VALU_DEP_2) | instskip(NEXT) | instid1(VALU_DEP_3)
	v_pk_add_f32 v[222:223], v[222:223], v[52:53] neg_lo:[0,1] neg_hi:[0,1]
	v_pk_fma_f32 v[32:33], v[48:49], v[110:111], v[32:33] op_sel_hi:[1,1,0]
	s_delay_alu instid0(VALU_DEP_1) | instskip(NEXT) | instid1(VALU_DEP_1)
	v_mov_b32_e32 v43, v33
	v_pk_add_f32 v[224:225], v[224:225], v[42:43] neg_lo:[0,1] neg_hi:[0,1]
.LBB111_235:
	s_or_b32 exec_lo, exec_lo, s1
	s_delay_alu instid0(SALU_CYCLE_1)
	s_mov_b32 s2, exec_lo
	s_wait_dscnt 0x0
	s_barrier_signal -1
	s_barrier_wait -1
	v_cmpx_eq_u32_e32 26, v166
	s_cbranch_execz .LBB111_242
; %bb.236:
	ds_store_b64 v167, v[112:113]
	ds_store_2addr_b64 v168, v[108:109], v[130:131] offset0:27 offset1:28
	ds_store_2addr_b64 v168, v[126:127], v[128:129] offset0:29 offset1:30
	;; [unrolled: 1-line block ×14, first 2 shown]
	ds_store_b64 v168, v[224:225] offset:440
	ds_load_b64 v[32:33], v167
	s_wait_dscnt 0x0
	v_cmp_neq_f32_e32 vcc_lo, 0, v32
	v_cmp_neq_f32_e64 s1, 0, v33
	s_or_b32 s1, vcc_lo, s1
	s_delay_alu instid0(SALU_CYCLE_1)
	s_and_b32 exec_lo, exec_lo, s1
	s_cbranch_execz .LBB111_242
; %bb.237:
	v_cmp_ngt_f32_e64 s1, |v32|, |v33|
                                        ; implicit-def: $vgpr42_vgpr43
	s_and_saveexec_b32 s4, s1
	s_delay_alu instid0(SALU_CYCLE_1)
	s_xor_b32 s1, exec_lo, s4
	s_cbranch_execz .LBB111_239
; %bb.238:
	v_div_scale_f32 v42, null, v33, v33, v32
	v_div_scale_f32 v49, vcc_lo, v32, v33, v32
	s_delay_alu instid0(VALU_DEP_2) | instskip(SKIP_1) | instid1(TRANS32_DEP_1)
	v_rcp_f32_e32 v43, v42
	v_nop
	v_fma_f32 v48, -v42, v43, 1.0
	s_delay_alu instid0(VALU_DEP_1) | instskip(NEXT) | instid1(VALU_DEP_1)
	v_fmac_f32_e32 v43, v48, v43
	v_mul_f32_e32 v48, v49, v43
	s_delay_alu instid0(VALU_DEP_1) | instskip(NEXT) | instid1(VALU_DEP_1)
	v_fma_f32 v50, -v42, v48, v49
	v_fmac_f32_e32 v48, v50, v43
	s_delay_alu instid0(VALU_DEP_1) | instskip(NEXT) | instid1(VALU_DEP_1)
	v_fma_f32 v42, -v42, v48, v49
	v_div_fmas_f32 v42, v42, v43, v48
	s_delay_alu instid0(VALU_DEP_1) | instskip(NEXT) | instid1(VALU_DEP_1)
	v_div_fixup_f32 v42, v42, v33, v32
	v_fmac_f32_e32 v33, v32, v42
	s_delay_alu instid0(VALU_DEP_1) | instskip(SKIP_1) | instid1(VALU_DEP_2)
	v_div_scale_f32 v32, null, v33, v33, 1.0
	v_div_scale_f32 v49, vcc_lo, 1.0, v33, 1.0
	v_rcp_f32_e32 v43, v32
	v_nop
	s_delay_alu instid0(TRANS32_DEP_1) | instskip(NEXT) | instid1(VALU_DEP_1)
	v_fma_f32 v48, -v32, v43, 1.0
	v_fmac_f32_e32 v43, v48, v43
	s_delay_alu instid0(VALU_DEP_1) | instskip(NEXT) | instid1(VALU_DEP_1)
	v_mul_f32_e32 v48, v49, v43
	v_fma_f32 v50, -v32, v48, v49
	s_delay_alu instid0(VALU_DEP_1) | instskip(NEXT) | instid1(VALU_DEP_1)
	v_fmac_f32_e32 v48, v50, v43
	v_fma_f32 v32, -v32, v48, v49
	s_delay_alu instid0(VALU_DEP_1) | instskip(NEXT) | instid1(VALU_DEP_1)
	v_div_fmas_f32 v32, v32, v43, v48
	v_div_fixup_f32 v32, v32, v33, 1.0
	s_delay_alu instid0(VALU_DEP_1)
	v_mul_f32_e32 v42, v42, v32
	v_xor_b32_e32 v43, 0x80000000, v32
                                        ; implicit-def: $vgpr32_vgpr33
.LBB111_239:
	s_and_not1_saveexec_b32 s1, s1
	s_cbranch_execz .LBB111_241
; %bb.240:
	v_div_scale_f32 v42, null, v32, v32, v33
	v_div_scale_f32 v49, vcc_lo, v33, v32, v33
	s_delay_alu instid0(VALU_DEP_2) | instskip(SKIP_1) | instid1(TRANS32_DEP_1)
	v_rcp_f32_e32 v43, v42
	v_nop
	v_fma_f32 v48, -v42, v43, 1.0
	s_delay_alu instid0(VALU_DEP_1) | instskip(NEXT) | instid1(VALU_DEP_1)
	v_fmac_f32_e32 v43, v48, v43
	v_mul_f32_e32 v48, v49, v43
	s_delay_alu instid0(VALU_DEP_1) | instskip(NEXT) | instid1(VALU_DEP_1)
	v_fma_f32 v50, -v42, v48, v49
	v_fmac_f32_e32 v48, v50, v43
	s_delay_alu instid0(VALU_DEP_1) | instskip(NEXT) | instid1(VALU_DEP_1)
	v_fma_f32 v42, -v42, v48, v49
	v_div_fmas_f32 v42, v42, v43, v48
	s_delay_alu instid0(VALU_DEP_1) | instskip(NEXT) | instid1(VALU_DEP_1)
	v_div_fixup_f32 v43, v42, v32, v33
	v_fmac_f32_e32 v32, v33, v43
	s_delay_alu instid0(VALU_DEP_1) | instskip(NEXT) | instid1(VALU_DEP_1)
	v_div_scale_f32 v33, null, v32, v32, 1.0
	v_rcp_f32_e32 v42, v33
	v_nop
	s_delay_alu instid0(TRANS32_DEP_1) | instskip(NEXT) | instid1(VALU_DEP_1)
	v_fma_f32 v48, -v33, v42, 1.0
	v_fmac_f32_e32 v42, v48, v42
	v_div_scale_f32 v48, vcc_lo, 1.0, v32, 1.0
	s_delay_alu instid0(VALU_DEP_1) | instskip(NEXT) | instid1(VALU_DEP_1)
	v_mul_f32_e32 v49, v48, v42
	v_fma_f32 v50, -v33, v49, v48
	s_delay_alu instid0(VALU_DEP_1) | instskip(NEXT) | instid1(VALU_DEP_1)
	v_fmac_f32_e32 v49, v50, v42
	v_fma_f32 v33, -v33, v49, v48
	s_delay_alu instid0(VALU_DEP_1) | instskip(NEXT) | instid1(VALU_DEP_1)
	v_div_fmas_f32 v33, v33, v42, v49
	v_div_fixup_f32 v42, v33, v32, 1.0
	s_delay_alu instid0(VALU_DEP_1)
	v_mul_f32_e64 v43, v43, -v42
.LBB111_241:
	s_or_b32 exec_lo, exec_lo, s1
	ds_store_b64 v167, v[42:43]
.LBB111_242:
	s_or_b32 exec_lo, exec_lo, s2
	s_wait_dscnt 0x0
	s_barrier_signal -1
	s_barrier_wait -1
	ds_load_b64 v[32:33], v167
	s_mov_b32 s1, exec_lo
	v_cmpx_lt_u32_e32 26, v166
	s_cbranch_execz .LBB111_244
; %bb.243:
	ds_load_2addr_b64 v[50:53], v168 offset0:27 offset1:28
	s_wait_dscnt 0x1
	v_pk_mul_f32 v[48:49], v[32:33], v[112:113] op_sel:[1,1] op_sel_hi:[0,1]
	s_delay_alu instid0(VALU_DEP_1) | instskip(SKIP_1) | instid1(VALU_DEP_1)
	v_pk_fma_f32 v[42:43], v[32:33], v[112:113], v[48:49] op_sel_hi:[1,0,1] neg_lo:[0,0,1] neg_hi:[0,0,1]
	v_pk_fma_f32 v[48:49], v[32:33], v[112:113], v[48:49] op_sel_hi:[1,0,1]
	v_dual_mov_b32 v112, v42 :: v_dual_mov_b32 v113, v49
	s_wait_dscnt 0x0
	s_delay_alu instid0(VALU_DEP_2) | instskip(NEXT) | instid1(VALU_DEP_1)
	v_pk_mul_f32 v[66:67], v[50:51], v[48:49] op_sel:[0,1]
	v_pk_fma_f32 v[68:69], v[50:51], v[42:43], v[66:67] op_sel:[0,0,1] op_sel_hi:[1,1,0] neg_lo:[0,0,1] neg_hi:[0,0,1]
	v_pk_fma_f32 v[50:51], v[50:51], v[42:43], v[66:67] op_sel:[0,0,1] op_sel_hi:[1,0,0]
	s_delay_alu instid0(VALU_DEP_1) | instskip(SKIP_1) | instid1(VALU_DEP_1)
	v_mov_b32_e32 v69, v51
	v_pk_mul_f32 v[50:51], v[52:53], v[48:49] op_sel:[0,1]
	v_pk_fma_f32 v[66:67], v[52:53], v[42:43], v[50:51] op_sel:[0,0,1] op_sel_hi:[1,1,0] neg_lo:[0,0,1] neg_hi:[0,0,1]
	v_pk_fma_f32 v[50:51], v[52:53], v[42:43], v[50:51] op_sel:[0,0,1] op_sel_hi:[1,0,0]
	s_delay_alu instid0(VALU_DEP_1)
	v_mov_b32_e32 v67, v51
	ds_load_2addr_b64 v[50:53], v168 offset0:29 offset1:30
	v_pk_add_f32 v[108:109], v[108:109], v[68:69] neg_lo:[0,1] neg_hi:[0,1]
	v_pk_add_f32 v[130:131], v[130:131], v[66:67] neg_lo:[0,1] neg_hi:[0,1]
	s_wait_dscnt 0x0
	v_pk_mul_f32 v[66:67], v[50:51], v[48:49] op_sel:[0,1]
	s_delay_alu instid0(VALU_DEP_1) | instskip(SKIP_2) | instid1(VALU_DEP_2)
	v_pk_fma_f32 v[68:69], v[50:51], v[42:43], v[66:67] op_sel:[0,0,1] op_sel_hi:[1,1,0] neg_lo:[0,0,1] neg_hi:[0,0,1]
	v_pk_fma_f32 v[50:51], v[50:51], v[42:43], v[66:67] op_sel:[0,0,1] op_sel_hi:[1,0,0]
	v_dual_mul_f32 v66, v53, v49 :: v_dual_mov_b32 v50, v53
	v_dual_mov_b32 v69, v51 :: v_dual_mov_b32 v51, v52
	s_delay_alu instid0(VALU_DEP_2) | instskip(SKIP_1) | instid1(VALU_DEP_3)
	v_pk_fma_f32 v[66:67], v[52:53], v[112:113], v[66:67] op_sel_hi:[1,1,0] neg_lo:[0,0,1] neg_hi:[0,0,1]
	v_mul_f32_e32 v52, v53, v42
	v_pk_add_f32 v[126:127], v[126:127], v[68:69] neg_lo:[0,1] neg_hi:[0,1]
	s_delay_alu instid0(VALU_DEP_2) | instskip(NEXT) | instid1(VALU_DEP_1)
	v_pk_fma_f32 v[50:51], v[50:51], v[112:113], v[52:53] op_sel_hi:[1,1,0]
	v_mov_b32_e32 v67, v51
	ds_load_2addr_b64 v[50:53], v168 offset0:31 offset1:32
	v_pk_add_f32 v[128:129], v[128:129], v[66:67] neg_lo:[0,1] neg_hi:[0,1]
	s_wait_dscnt 0x0
	v_pk_mul_f32 v[66:67], v[50:51], v[48:49] op_sel:[0,1]
	s_delay_alu instid0(VALU_DEP_1) | instskip(SKIP_1) | instid1(VALU_DEP_1)
	v_pk_fma_f32 v[68:69], v[50:51], v[42:43], v[66:67] op_sel:[0,0,1] op_sel_hi:[1,1,0] neg_lo:[0,0,1] neg_hi:[0,0,1]
	v_pk_fma_f32 v[50:51], v[50:51], v[42:43], v[66:67] op_sel:[0,0,1] op_sel_hi:[1,0,0]
	v_mov_b32_e32 v69, v51
	v_pk_mul_f32 v[50:51], v[52:53], v[48:49] op_sel:[0,1]
	s_delay_alu instid0(VALU_DEP_1) | instskip(SKIP_1) | instid1(VALU_DEP_1)
	v_pk_fma_f32 v[66:67], v[52:53], v[42:43], v[50:51] op_sel:[0,0,1] op_sel_hi:[1,1,0] neg_lo:[0,0,1] neg_hi:[0,0,1]
	v_pk_fma_f32 v[50:51], v[52:53], v[42:43], v[50:51] op_sel:[0,0,1] op_sel_hi:[1,0,0]
	v_mov_b32_e32 v67, v51
	ds_load_2addr_b64 v[50:53], v168 offset0:33 offset1:34
	v_pk_add_f32 v[124:125], v[124:125], v[68:69] neg_lo:[0,1] neg_hi:[0,1]
	v_pk_add_f32 v[146:147], v[146:147], v[66:67] neg_lo:[0,1] neg_hi:[0,1]
	s_wait_dscnt 0x0
	v_pk_mul_f32 v[66:67], v[50:51], v[48:49] op_sel:[0,1]
	s_delay_alu instid0(VALU_DEP_1) | instskip(SKIP_1) | instid1(VALU_DEP_1)
	v_pk_fma_f32 v[68:69], v[50:51], v[42:43], v[66:67] op_sel:[0,0,1] op_sel_hi:[1,1,0] neg_lo:[0,0,1] neg_hi:[0,0,1]
	v_pk_fma_f32 v[50:51], v[50:51], v[42:43], v[66:67] op_sel:[0,0,1] op_sel_hi:[1,0,0]
	v_mov_b32_e32 v69, v51
	v_pk_mul_f32 v[50:51], v[52:53], v[48:49] op_sel:[0,1]
	s_delay_alu instid0(VALU_DEP_1) | instskip(SKIP_1) | instid1(VALU_DEP_1)
	v_pk_fma_f32 v[66:67], v[52:53], v[42:43], v[50:51] op_sel:[0,0,1] op_sel_hi:[1,1,0] neg_lo:[0,0,1] neg_hi:[0,0,1]
	v_pk_fma_f32 v[50:51], v[52:53], v[42:43], v[50:51] op_sel:[0,0,1] op_sel_hi:[1,0,0]
	v_mov_b32_e32 v67, v51
	ds_load_2addr_b64 v[50:53], v168 offset0:35 offset1:36
	v_pk_add_f32 v[142:143], v[142:143], v[68:69] neg_lo:[0,1] neg_hi:[0,1]
	v_pk_add_f32 v[144:145], v[144:145], v[66:67] neg_lo:[0,1] neg_hi:[0,1]
	s_wait_dscnt 0x0
	v_dual_mul_f32 v66, v51, v49 :: v_dual_mul_f32 v68, v51, v42
	s_delay_alu instid0(VALU_DEP_1) | instskip(NEXT) | instid1(VALU_DEP_2)
	v_pk_fma_f32 v[66:67], v[50:51], v[112:113], v[66:67] op_sel_hi:[1,1,0] neg_lo:[0,0,1] neg_hi:[0,0,1]
	v_pk_fma_f32 v[50:51], v[50:51], v[112:113], v[68:69] op_sel:[1,0,0] op_sel_hi:[0,1,0]
	s_delay_alu instid0(VALU_DEP_1) | instskip(SKIP_1) | instid1(VALU_DEP_2)
	v_mov_b32_e32 v67, v51
	v_pk_mul_f32 v[50:51], v[52:53], v[48:49] op_sel:[0,1]
	v_pk_add_f32 v[140:141], v[140:141], v[66:67] neg_lo:[0,1] neg_hi:[0,1]
	s_delay_alu instid0(VALU_DEP_2) | instskip(SKIP_1) | instid1(VALU_DEP_1)
	v_pk_fma_f32 v[66:67], v[52:53], v[42:43], v[50:51] op_sel:[0,0,1] op_sel_hi:[1,1,0] neg_lo:[0,0,1] neg_hi:[0,0,1]
	v_pk_fma_f32 v[50:51], v[52:53], v[42:43], v[50:51] op_sel:[0,0,1] op_sel_hi:[1,0,0]
	v_mov_b32_e32 v67, v51
	ds_load_2addr_b64 v[50:53], v168 offset0:37 offset1:38
	v_pk_add_f32 v[162:163], v[162:163], v[66:67] neg_lo:[0,1] neg_hi:[0,1]
	s_wait_dscnt 0x0
	v_pk_mul_f32 v[66:67], v[50:51], v[48:49] op_sel:[0,1]
	s_delay_alu instid0(VALU_DEP_1) | instskip(SKIP_1) | instid1(VALU_DEP_1)
	v_pk_fma_f32 v[68:69], v[50:51], v[42:43], v[66:67] op_sel:[0,0,1] op_sel_hi:[1,1,0] neg_lo:[0,0,1] neg_hi:[0,0,1]
	v_pk_fma_f32 v[50:51], v[50:51], v[42:43], v[66:67] op_sel:[0,0,1] op_sel_hi:[1,0,0]
	v_mov_b32_e32 v69, v51
	v_pk_mul_f32 v[50:51], v[52:53], v[48:49] op_sel:[0,1]
	s_delay_alu instid0(VALU_DEP_2) | instskip(NEXT) | instid1(VALU_DEP_2)
	v_pk_add_f32 v[158:159], v[158:159], v[68:69] neg_lo:[0,1] neg_hi:[0,1]
	v_pk_fma_f32 v[66:67], v[52:53], v[42:43], v[50:51] op_sel:[0,0,1] op_sel_hi:[1,1,0] neg_lo:[0,0,1] neg_hi:[0,0,1]
	v_pk_fma_f32 v[50:51], v[52:53], v[42:43], v[50:51] op_sel:[0,0,1] op_sel_hi:[1,0,0]
	s_delay_alu instid0(VALU_DEP_1) | instskip(SKIP_4) | instid1(VALU_DEP_1)
	v_mov_b32_e32 v67, v51
	ds_load_2addr_b64 v[50:53], v168 offset0:39 offset1:40
	v_pk_add_f32 v[160:161], v[160:161], v[66:67] neg_lo:[0,1] neg_hi:[0,1]
	s_wait_dscnt 0x0
	v_pk_mul_f32 v[66:67], v[50:51], v[48:49] op_sel:[0,1]
	v_pk_fma_f32 v[68:69], v[50:51], v[42:43], v[66:67] op_sel:[0,0,1] op_sel_hi:[1,1,0] neg_lo:[0,0,1] neg_hi:[0,0,1]
	v_pk_fma_f32 v[50:51], v[50:51], v[42:43], v[66:67] op_sel:[0,0,1] op_sel_hi:[1,0,0]
	v_dual_mul_f32 v66, v53, v49 :: v_dual_mov_b32 v50, v53
	s_delay_alu instid0(VALU_DEP_2) | instskip(NEXT) | instid1(VALU_DEP_2)
	v_dual_mov_b32 v69, v51 :: v_dual_mov_b32 v51, v52
	v_pk_fma_f32 v[66:67], v[52:53], v[112:113], v[66:67] op_sel_hi:[1,1,0] neg_lo:[0,0,1] neg_hi:[0,0,1]
	v_mul_f32_e32 v52, v53, v42
	s_delay_alu instid0(VALU_DEP_3) | instskip(NEXT) | instid1(VALU_DEP_2)
	v_pk_add_f32 v[156:157], v[156:157], v[68:69] neg_lo:[0,1] neg_hi:[0,1]
	v_pk_fma_f32 v[50:51], v[50:51], v[112:113], v[52:53] op_sel_hi:[1,1,0]
	s_delay_alu instid0(VALU_DEP_1) | instskip(SKIP_4) | instid1(VALU_DEP_1)
	v_mov_b32_e32 v67, v51
	ds_load_2addr_b64 v[50:53], v168 offset0:41 offset1:42
	v_pk_add_f32 v[178:179], v[178:179], v[66:67] neg_lo:[0,1] neg_hi:[0,1]
	s_wait_dscnt 0x0
	v_pk_mul_f32 v[66:67], v[50:51], v[48:49] op_sel:[0,1]
	v_pk_fma_f32 v[68:69], v[50:51], v[42:43], v[66:67] op_sel:[0,0,1] op_sel_hi:[1,1,0] neg_lo:[0,0,1] neg_hi:[0,0,1]
	v_pk_fma_f32 v[50:51], v[50:51], v[42:43], v[66:67] op_sel:[0,0,1] op_sel_hi:[1,0,0]
	s_delay_alu instid0(VALU_DEP_1) | instskip(SKIP_1) | instid1(VALU_DEP_1)
	v_mov_b32_e32 v69, v51
	v_pk_mul_f32 v[50:51], v[52:53], v[48:49] op_sel:[0,1]
	v_pk_fma_f32 v[66:67], v[52:53], v[42:43], v[50:51] op_sel:[0,0,1] op_sel_hi:[1,1,0] neg_lo:[0,0,1] neg_hi:[0,0,1]
	v_pk_fma_f32 v[50:51], v[52:53], v[42:43], v[50:51] op_sel:[0,0,1] op_sel_hi:[1,0,0]
	s_delay_alu instid0(VALU_DEP_1)
	v_mov_b32_e32 v67, v51
	ds_load_2addr_b64 v[50:53], v168 offset0:43 offset1:44
	v_pk_add_f32 v[174:175], v[174:175], v[68:69] neg_lo:[0,1] neg_hi:[0,1]
	v_pk_add_f32 v[176:177], v[176:177], v[66:67] neg_lo:[0,1] neg_hi:[0,1]
	s_wait_dscnt 0x0
	v_pk_mul_f32 v[66:67], v[50:51], v[48:49] op_sel:[0,1]
	s_delay_alu instid0(VALU_DEP_1) | instskip(SKIP_1) | instid1(VALU_DEP_1)
	v_pk_fma_f32 v[68:69], v[50:51], v[42:43], v[66:67] op_sel:[0,0,1] op_sel_hi:[1,1,0] neg_lo:[0,0,1] neg_hi:[0,0,1]
	v_pk_fma_f32 v[50:51], v[50:51], v[42:43], v[66:67] op_sel:[0,0,1] op_sel_hi:[1,0,0]
	v_mov_b32_e32 v69, v51
	v_pk_mul_f32 v[50:51], v[52:53], v[48:49] op_sel:[0,1]
	s_delay_alu instid0(VALU_DEP_1) | instskip(SKIP_1) | instid1(VALU_DEP_1)
	v_pk_fma_f32 v[66:67], v[52:53], v[42:43], v[50:51] op_sel:[0,0,1] op_sel_hi:[1,1,0] neg_lo:[0,0,1] neg_hi:[0,0,1]
	v_pk_fma_f32 v[50:51], v[52:53], v[42:43], v[50:51] op_sel:[0,0,1] op_sel_hi:[1,0,0]
	v_mov_b32_e32 v67, v51
	ds_load_2addr_b64 v[50:53], v168 offset0:45 offset1:46
	v_pk_add_f32 v[172:173], v[172:173], v[68:69] neg_lo:[0,1] neg_hi:[0,1]
	v_pk_add_f32 v[198:199], v[198:199], v[66:67] neg_lo:[0,1] neg_hi:[0,1]
	s_wait_dscnt 0x0
	v_dual_mul_f32 v66, v51, v49 :: v_dual_mul_f32 v68, v51, v42
	s_delay_alu instid0(VALU_DEP_1) | instskip(NEXT) | instid1(VALU_DEP_2)
	v_pk_fma_f32 v[66:67], v[50:51], v[112:113], v[66:67] op_sel_hi:[1,1,0] neg_lo:[0,0,1] neg_hi:[0,0,1]
	v_pk_fma_f32 v[50:51], v[50:51], v[112:113], v[68:69] op_sel:[1,0,0] op_sel_hi:[0,1,0]
	s_delay_alu instid0(VALU_DEP_1) | instskip(SKIP_1) | instid1(VALU_DEP_2)
	v_mov_b32_e32 v67, v51
	v_pk_mul_f32 v[50:51], v[52:53], v[48:49] op_sel:[0,1]
	v_pk_add_f32 v[194:195], v[194:195], v[66:67] neg_lo:[0,1] neg_hi:[0,1]
	s_delay_alu instid0(VALU_DEP_2) | instskip(SKIP_1) | instid1(VALU_DEP_1)
	v_pk_fma_f32 v[66:67], v[52:53], v[42:43], v[50:51] op_sel:[0,0,1] op_sel_hi:[1,1,0] neg_lo:[0,0,1] neg_hi:[0,0,1]
	v_pk_fma_f32 v[50:51], v[52:53], v[42:43], v[50:51] op_sel:[0,0,1] op_sel_hi:[1,0,0]
	v_mov_b32_e32 v67, v51
	ds_load_2addr_b64 v[50:53], v168 offset0:47 offset1:48
	v_pk_add_f32 v[196:197], v[196:197], v[66:67] neg_lo:[0,1] neg_hi:[0,1]
	s_wait_dscnt 0x0
	v_pk_mul_f32 v[66:67], v[50:51], v[48:49] op_sel:[0,1]
	s_delay_alu instid0(VALU_DEP_1) | instskip(SKIP_1) | instid1(VALU_DEP_1)
	v_pk_fma_f32 v[68:69], v[50:51], v[42:43], v[66:67] op_sel:[0,0,1] op_sel_hi:[1,1,0] neg_lo:[0,0,1] neg_hi:[0,0,1]
	v_pk_fma_f32 v[50:51], v[50:51], v[42:43], v[66:67] op_sel:[0,0,1] op_sel_hi:[1,0,0]
	v_mov_b32_e32 v69, v51
	v_pk_mul_f32 v[50:51], v[52:53], v[48:49] op_sel:[0,1]
	s_delay_alu instid0(VALU_DEP_2) | instskip(NEXT) | instid1(VALU_DEP_2)
	v_pk_add_f32 v[192:193], v[192:193], v[68:69] neg_lo:[0,1] neg_hi:[0,1]
	v_pk_fma_f32 v[66:67], v[52:53], v[42:43], v[50:51] op_sel:[0,0,1] op_sel_hi:[1,1,0] neg_lo:[0,0,1] neg_hi:[0,0,1]
	v_pk_fma_f32 v[50:51], v[52:53], v[42:43], v[50:51] op_sel:[0,0,1] op_sel_hi:[1,0,0]
	s_delay_alu instid0(VALU_DEP_1) | instskip(SKIP_4) | instid1(VALU_DEP_1)
	v_mov_b32_e32 v67, v51
	ds_load_2addr_b64 v[50:53], v168 offset0:49 offset1:50
	v_pk_add_f32 v[220:221], v[220:221], v[66:67] neg_lo:[0,1] neg_hi:[0,1]
	s_wait_dscnt 0x0
	v_pk_mul_f32 v[66:67], v[50:51], v[48:49] op_sel:[0,1]
	v_pk_fma_f32 v[68:69], v[50:51], v[42:43], v[66:67] op_sel:[0,0,1] op_sel_hi:[1,1,0] neg_lo:[0,0,1] neg_hi:[0,0,1]
	v_pk_fma_f32 v[50:51], v[50:51], v[42:43], v[66:67] op_sel:[0,0,1] op_sel_hi:[1,0,0]
	v_dual_mul_f32 v66, v53, v49 :: v_dual_mov_b32 v50, v53
	s_delay_alu instid0(VALU_DEP_2) | instskip(NEXT) | instid1(VALU_DEP_2)
	v_dual_mov_b32 v69, v51 :: v_dual_mov_b32 v51, v52
	v_pk_fma_f32 v[66:67], v[52:53], v[112:113], v[66:67] op_sel_hi:[1,1,0] neg_lo:[0,0,1] neg_hi:[0,0,1]
	v_mul_f32_e32 v52, v53, v42
	s_delay_alu instid0(VALU_DEP_3) | instskip(NEXT) | instid1(VALU_DEP_2)
	v_pk_add_f32 v[214:215], v[214:215], v[68:69] neg_lo:[0,1] neg_hi:[0,1]
	v_pk_fma_f32 v[50:51], v[50:51], v[112:113], v[52:53] op_sel_hi:[1,1,0]
	s_delay_alu instid0(VALU_DEP_1) | instskip(SKIP_4) | instid1(VALU_DEP_1)
	v_mov_b32_e32 v67, v51
	ds_load_2addr_b64 v[50:53], v168 offset0:51 offset1:52
	v_pk_add_f32 v[218:219], v[218:219], v[66:67] neg_lo:[0,1] neg_hi:[0,1]
	s_wait_dscnt 0x0
	v_pk_mul_f32 v[66:67], v[50:51], v[48:49] op_sel:[0,1]
	v_pk_fma_f32 v[68:69], v[50:51], v[42:43], v[66:67] op_sel:[0,0,1] op_sel_hi:[1,1,0] neg_lo:[0,0,1] neg_hi:[0,0,1]
	v_pk_fma_f32 v[50:51], v[50:51], v[42:43], v[66:67] op_sel:[0,0,1] op_sel_hi:[1,0,0]
	s_delay_alu instid0(VALU_DEP_1) | instskip(SKIP_1) | instid1(VALU_DEP_1)
	v_mov_b32_e32 v69, v51
	v_pk_mul_f32 v[50:51], v[52:53], v[48:49] op_sel:[0,1]
	v_pk_fma_f32 v[66:67], v[52:53], v[42:43], v[50:51] op_sel:[0,0,1] op_sel_hi:[1,1,0] neg_lo:[0,0,1] neg_hi:[0,0,1]
	v_pk_fma_f32 v[50:51], v[52:53], v[42:43], v[50:51] op_sel:[0,0,1] op_sel_hi:[1,0,0]
	s_delay_alu instid0(VALU_DEP_1)
	v_mov_b32_e32 v67, v51
	ds_load_2addr_b64 v[50:53], v168 offset0:53 offset1:54
	v_pk_add_f32 v[212:213], v[212:213], v[68:69] neg_lo:[0,1] neg_hi:[0,1]
	v_pk_add_f32 v[216:217], v[216:217], v[66:67] neg_lo:[0,1] neg_hi:[0,1]
	s_wait_dscnt 0x0
	v_pk_mul_f32 v[66:67], v[50:51], v[48:49] op_sel:[0,1]
	s_delay_alu instid0(VALU_DEP_1) | instskip(SKIP_1) | instid1(VALU_DEP_1)
	v_pk_fma_f32 v[68:69], v[50:51], v[42:43], v[66:67] op_sel:[0,0,1] op_sel_hi:[1,1,0] neg_lo:[0,0,1] neg_hi:[0,0,1]
	v_pk_fma_f32 v[50:51], v[50:51], v[42:43], v[66:67] op_sel:[0,0,1] op_sel_hi:[1,0,0]
	v_mov_b32_e32 v69, v51
	v_pk_mul_f32 v[50:51], v[52:53], v[48:49] op_sel:[0,1]
	s_delay_alu instid0(VALU_DEP_1) | instskip(SKIP_1) | instid1(VALU_DEP_1)
	v_pk_fma_f32 v[66:67], v[52:53], v[42:43], v[50:51] op_sel:[0,0,1] op_sel_hi:[1,1,0] neg_lo:[0,0,1] neg_hi:[0,0,1]
	v_pk_fma_f32 v[50:51], v[52:53], v[42:43], v[50:51] op_sel:[0,0,1] op_sel_hi:[1,0,0]
	v_mov_b32_e32 v67, v51
	ds_load_b64 v[50:51], v168 offset:440
	v_pk_add_f32 v[210:211], v[210:211], v[68:69] neg_lo:[0,1] neg_hi:[0,1]
	v_pk_add_f32 v[222:223], v[222:223], v[66:67] neg_lo:[0,1] neg_hi:[0,1]
	s_wait_dscnt 0x0
	v_pk_mul_f32 v[48:49], v[50:51], v[48:49] op_sel:[0,1]
	s_delay_alu instid0(VALU_DEP_1) | instskip(SKIP_1) | instid1(VALU_DEP_1)
	v_pk_fma_f32 v[52:53], v[50:51], v[42:43], v[48:49] op_sel:[0,0,1] op_sel_hi:[1,1,0] neg_lo:[0,0,1] neg_hi:[0,0,1]
	v_pk_fma_f32 v[42:43], v[50:51], v[42:43], v[48:49] op_sel:[0,0,1] op_sel_hi:[1,0,0]
	v_mov_b32_e32 v53, v43
	s_delay_alu instid0(VALU_DEP_1)
	v_pk_add_f32 v[224:225], v[224:225], v[52:53] neg_lo:[0,1] neg_hi:[0,1]
.LBB111_244:
	s_or_b32 exec_lo, exec_lo, s1
	s_delay_alu instid0(SALU_CYCLE_1)
	s_mov_b32 s2, exec_lo
	s_wait_dscnt 0x0
	s_barrier_signal -1
	s_barrier_wait -1
	v_cmpx_eq_u32_e32 27, v166
	s_cbranch_execz .LBB111_251
; %bb.245:
	v_dual_mov_b32 v42, v130 :: v_dual_mov_b32 v43, v131
	v_dual_mov_b32 v48, v126 :: v_dual_mov_b32 v49, v127
	ds_store_b64 v167, v[108:109]
	ds_store_2addr_b64 v168, v[42:43], v[48:49] offset0:28 offset1:29
	v_dual_mov_b32 v42, v128 :: v_dual_mov_b32 v43, v129
	v_dual_mov_b32 v48, v124 :: v_dual_mov_b32 v49, v125
	ds_store_2addr_b64 v168, v[42:43], v[48:49] offset0:30 offset1:31
	v_dual_mov_b32 v42, v146 :: v_dual_mov_b32 v43, v147
	v_dual_mov_b32 v48, v142 :: v_dual_mov_b32 v49, v143
	ds_store_2addr_b64 v168, v[42:43], v[48:49] offset0:32 offset1:33
	v_dual_mov_b32 v42, v144 :: v_dual_mov_b32 v43, v145
	v_dual_mov_b32 v48, v140 :: v_dual_mov_b32 v49, v141
	ds_store_2addr_b64 v168, v[42:43], v[48:49] offset0:34 offset1:35
	v_dual_mov_b32 v42, v162 :: v_dual_mov_b32 v43, v163
	v_dual_mov_b32 v48, v158 :: v_dual_mov_b32 v49, v159
	ds_store_2addr_b64 v168, v[42:43], v[48:49] offset0:36 offset1:37
	v_dual_mov_b32 v42, v160 :: v_dual_mov_b32 v43, v161
	v_dual_mov_b32 v48, v156 :: v_dual_mov_b32 v49, v157
	ds_store_2addr_b64 v168, v[42:43], v[48:49] offset0:38 offset1:39
	v_dual_mov_b32 v42, v178 :: v_dual_mov_b32 v43, v179
	v_dual_mov_b32 v48, v174 :: v_dual_mov_b32 v49, v175
	ds_store_2addr_b64 v168, v[42:43], v[48:49] offset0:40 offset1:41
	v_dual_mov_b32 v42, v176 :: v_dual_mov_b32 v43, v177
	v_dual_mov_b32 v48, v172 :: v_dual_mov_b32 v49, v173
	ds_store_2addr_b64 v168, v[42:43], v[48:49] offset0:42 offset1:43
	v_dual_mov_b32 v42, v198 :: v_dual_mov_b32 v43, v199
	v_dual_mov_b32 v48, v194 :: v_dual_mov_b32 v49, v195
	ds_store_2addr_b64 v168, v[42:43], v[48:49] offset0:44 offset1:45
	v_dual_mov_b32 v42, v196 :: v_dual_mov_b32 v43, v197
	v_dual_mov_b32 v48, v192 :: v_dual_mov_b32 v49, v193
	ds_store_2addr_b64 v168, v[42:43], v[48:49] offset0:46 offset1:47
	v_dual_mov_b32 v42, v220 :: v_dual_mov_b32 v43, v221
	v_dual_mov_b32 v48, v214 :: v_dual_mov_b32 v49, v215
	ds_store_2addr_b64 v168, v[42:43], v[48:49] offset0:48 offset1:49
	v_dual_mov_b32 v42, v218 :: v_dual_mov_b32 v43, v219
	v_dual_mov_b32 v48, v212 :: v_dual_mov_b32 v49, v213
	ds_store_2addr_b64 v168, v[42:43], v[48:49] offset0:50 offset1:51
	v_dual_mov_b32 v42, v216 :: v_dual_mov_b32 v43, v217
	v_dual_mov_b32 v48, v210 :: v_dual_mov_b32 v49, v211
	ds_store_2addr_b64 v168, v[42:43], v[48:49] offset0:52 offset1:53
	v_dual_mov_b32 v42, v222 :: v_dual_mov_b32 v43, v223
	ds_store_2addr_b64 v168, v[42:43], v[224:225] offset0:54 offset1:55
	ds_load_b64 v[42:43], v167
	s_wait_dscnt 0x0
	v_cmp_neq_f32_e32 vcc_lo, 0, v42
	v_cmp_neq_f32_e64 s1, 0, v43
	s_or_b32 s1, vcc_lo, s1
	s_delay_alu instid0(SALU_CYCLE_1)
	s_and_b32 exec_lo, exec_lo, s1
	s_cbranch_execz .LBB111_251
; %bb.246:
	v_cmp_ngt_f32_e64 s1, |v42|, |v43|
                                        ; implicit-def: $vgpr48_vgpr49
	s_and_saveexec_b32 s4, s1
	s_delay_alu instid0(SALU_CYCLE_1)
	s_xor_b32 s1, exec_lo, s4
	s_cbranch_execz .LBB111_248
; %bb.247:
	v_div_scale_f32 v48, null, v43, v43, v42
	v_div_scale_f32 v51, vcc_lo, v42, v43, v42
	s_delay_alu instid0(VALU_DEP_2) | instskip(SKIP_1) | instid1(TRANS32_DEP_1)
	v_rcp_f32_e32 v49, v48
	v_nop
	v_fma_f32 v50, -v48, v49, 1.0
	s_delay_alu instid0(VALU_DEP_1) | instskip(NEXT) | instid1(VALU_DEP_1)
	v_fmac_f32_e32 v49, v50, v49
	v_mul_f32_e32 v50, v51, v49
	s_delay_alu instid0(VALU_DEP_1) | instskip(NEXT) | instid1(VALU_DEP_1)
	v_fma_f32 v52, -v48, v50, v51
	v_fmac_f32_e32 v50, v52, v49
	s_delay_alu instid0(VALU_DEP_1) | instskip(NEXT) | instid1(VALU_DEP_1)
	v_fma_f32 v48, -v48, v50, v51
	v_div_fmas_f32 v48, v48, v49, v50
	s_delay_alu instid0(VALU_DEP_1) | instskip(NEXT) | instid1(VALU_DEP_1)
	v_div_fixup_f32 v48, v48, v43, v42
	v_fmac_f32_e32 v43, v42, v48
	s_delay_alu instid0(VALU_DEP_1) | instskip(SKIP_1) | instid1(VALU_DEP_2)
	v_div_scale_f32 v42, null, v43, v43, 1.0
	v_div_scale_f32 v51, vcc_lo, 1.0, v43, 1.0
	v_rcp_f32_e32 v49, v42
	v_nop
	s_delay_alu instid0(TRANS32_DEP_1) | instskip(NEXT) | instid1(VALU_DEP_1)
	v_fma_f32 v50, -v42, v49, 1.0
	v_fmac_f32_e32 v49, v50, v49
	s_delay_alu instid0(VALU_DEP_1) | instskip(NEXT) | instid1(VALU_DEP_1)
	v_mul_f32_e32 v50, v51, v49
	v_fma_f32 v52, -v42, v50, v51
	s_delay_alu instid0(VALU_DEP_1) | instskip(NEXT) | instid1(VALU_DEP_1)
	v_fmac_f32_e32 v50, v52, v49
	v_fma_f32 v42, -v42, v50, v51
	s_delay_alu instid0(VALU_DEP_1) | instskip(NEXT) | instid1(VALU_DEP_1)
	v_div_fmas_f32 v42, v42, v49, v50
	v_div_fixup_f32 v42, v42, v43, 1.0
	s_delay_alu instid0(VALU_DEP_1)
	v_mul_f32_e32 v48, v48, v42
	v_xor_b32_e32 v49, 0x80000000, v42
                                        ; implicit-def: $vgpr42_vgpr43
.LBB111_248:
	s_and_not1_saveexec_b32 s1, s1
	s_cbranch_execz .LBB111_250
; %bb.249:
	v_div_scale_f32 v48, null, v42, v42, v43
	v_div_scale_f32 v51, vcc_lo, v43, v42, v43
	s_delay_alu instid0(VALU_DEP_2) | instskip(SKIP_1) | instid1(TRANS32_DEP_1)
	v_rcp_f32_e32 v49, v48
	v_nop
	v_fma_f32 v50, -v48, v49, 1.0
	s_delay_alu instid0(VALU_DEP_1) | instskip(NEXT) | instid1(VALU_DEP_1)
	v_fmac_f32_e32 v49, v50, v49
	v_mul_f32_e32 v50, v51, v49
	s_delay_alu instid0(VALU_DEP_1) | instskip(NEXT) | instid1(VALU_DEP_1)
	v_fma_f32 v52, -v48, v50, v51
	v_fmac_f32_e32 v50, v52, v49
	s_delay_alu instid0(VALU_DEP_1) | instskip(NEXT) | instid1(VALU_DEP_1)
	v_fma_f32 v48, -v48, v50, v51
	v_div_fmas_f32 v48, v48, v49, v50
	s_delay_alu instid0(VALU_DEP_1) | instskip(NEXT) | instid1(VALU_DEP_1)
	v_div_fixup_f32 v49, v48, v42, v43
	v_fmac_f32_e32 v42, v43, v49
	s_delay_alu instid0(VALU_DEP_1) | instskip(NEXT) | instid1(VALU_DEP_1)
	v_div_scale_f32 v43, null, v42, v42, 1.0
	v_rcp_f32_e32 v48, v43
	v_nop
	s_delay_alu instid0(TRANS32_DEP_1) | instskip(NEXT) | instid1(VALU_DEP_1)
	v_fma_f32 v50, -v43, v48, 1.0
	v_fmac_f32_e32 v48, v50, v48
	v_div_scale_f32 v50, vcc_lo, 1.0, v42, 1.0
	s_delay_alu instid0(VALU_DEP_1) | instskip(NEXT) | instid1(VALU_DEP_1)
	v_mul_f32_e32 v51, v50, v48
	v_fma_f32 v52, -v43, v51, v50
	s_delay_alu instid0(VALU_DEP_1) | instskip(NEXT) | instid1(VALU_DEP_1)
	v_fmac_f32_e32 v51, v52, v48
	v_fma_f32 v43, -v43, v51, v50
	s_delay_alu instid0(VALU_DEP_1) | instskip(NEXT) | instid1(VALU_DEP_1)
	v_div_fmas_f32 v43, v43, v48, v51
	v_div_fixup_f32 v48, v43, v42, 1.0
	s_delay_alu instid0(VALU_DEP_1)
	v_mul_f32_e64 v49, v49, -v48
.LBB111_250:
	s_or_b32 exec_lo, exec_lo, s1
	ds_store_b64 v167, v[48:49]
.LBB111_251:
	s_or_b32 exec_lo, exec_lo, s2
	s_wait_dscnt 0x0
	s_barrier_signal -1
	s_barrier_wait -1
	ds_load_b64 v[42:43], v167
	s_mov_b32 s1, exec_lo
	v_cmpx_lt_u32_e32 27, v166
	s_cbranch_execz .LBB111_253
; %bb.252:
	ds_load_2addr_b64 v[66:69], v168 offset0:28 offset1:29
	s_wait_dscnt 0x1
	v_pk_mul_f32 v[50:51], v[42:43], v[108:109] op_sel:[1,1] op_sel_hi:[0,1]
	s_delay_alu instid0(VALU_DEP_1) | instskip(SKIP_1) | instid1(VALU_DEP_1)
	v_pk_fma_f32 v[48:49], v[42:43], v[108:109], v[50:51] op_sel_hi:[1,0,1] neg_lo:[0,0,1] neg_hi:[0,0,1]
	v_pk_fma_f32 v[50:51], v[42:43], v[108:109], v[50:51] op_sel_hi:[1,0,1]
	v_dual_mov_b32 v108, v48 :: v_dual_mov_b32 v109, v51
	s_wait_dscnt 0x0
	s_delay_alu instid0(VALU_DEP_2) | instskip(NEXT) | instid1(VALU_DEP_1)
	v_pk_mul_f32 v[52:53], v[66:67], v[50:51] op_sel:[0,1]
	v_pk_fma_f32 v[70:71], v[66:67], v[48:49], v[52:53] op_sel:[0,0,1] op_sel_hi:[1,1,0] neg_lo:[0,0,1] neg_hi:[0,0,1]
	v_pk_fma_f32 v[52:53], v[66:67], v[48:49], v[52:53] op_sel:[0,0,1] op_sel_hi:[1,0,0]
	s_delay_alu instid0(VALU_DEP_1) | instskip(SKIP_1) | instid1(VALU_DEP_1)
	v_mov_b32_e32 v71, v53
	v_pk_mul_f32 v[52:53], v[68:69], v[50:51] op_sel:[0,1]
	v_pk_fma_f32 v[66:67], v[68:69], v[48:49], v[52:53] op_sel:[0,0,1] op_sel_hi:[1,1,0] neg_lo:[0,0,1] neg_hi:[0,0,1]
	v_pk_fma_f32 v[52:53], v[68:69], v[48:49], v[52:53] op_sel:[0,0,1] op_sel_hi:[1,0,0]
	s_delay_alu instid0(VALU_DEP_1) | instskip(SKIP_1) | instid1(VALU_DEP_2)
	v_mov_b32_e32 v67, v53
	v_pk_add_f32 v[130:131], v[130:131], v[70:71] neg_lo:[0,1] neg_hi:[0,1]
	v_pk_add_f32 v[126:127], v[126:127], v[66:67] neg_lo:[0,1] neg_hi:[0,1]
	ds_load_2addr_b64 v[66:69], v168 offset0:30 offset1:31
	s_wait_dscnt 0x0
	v_pk_mul_f32 v[52:53], v[66:67], v[50:51] op_sel:[0,1]
	s_delay_alu instid0(VALU_DEP_1) | instskip(SKIP_2) | instid1(VALU_DEP_2)
	v_pk_fma_f32 v[70:71], v[66:67], v[48:49], v[52:53] op_sel:[0,0,1] op_sel_hi:[1,1,0] neg_lo:[0,0,1] neg_hi:[0,0,1]
	v_pk_fma_f32 v[52:53], v[66:67], v[48:49], v[52:53] op_sel:[0,0,1] op_sel_hi:[1,0,0]
	v_dual_mul_f32 v66, v69, v51 :: v_dual_mov_b32 v52, v69
	v_dual_mov_b32 v71, v53 :: v_dual_mov_b32 v53, v68
	s_delay_alu instid0(VALU_DEP_2) | instskip(SKIP_1) | instid1(VALU_DEP_3)
	v_pk_fma_f32 v[66:67], v[68:69], v[108:109], v[66:67] op_sel_hi:[1,1,0] neg_lo:[0,0,1] neg_hi:[0,0,1]
	v_mul_f32_e32 v68, v69, v48
	v_pk_add_f32 v[128:129], v[128:129], v[70:71] neg_lo:[0,1] neg_hi:[0,1]
	s_delay_alu instid0(VALU_DEP_2) | instskip(NEXT) | instid1(VALU_DEP_1)
	v_pk_fma_f32 v[52:53], v[52:53], v[108:109], v[68:69] op_sel_hi:[1,1,0]
	v_mov_b32_e32 v67, v53
	s_delay_alu instid0(VALU_DEP_1) | instskip(SKIP_3) | instid1(VALU_DEP_1)
	v_pk_add_f32 v[124:125], v[124:125], v[66:67] neg_lo:[0,1] neg_hi:[0,1]
	ds_load_2addr_b64 v[66:69], v168 offset0:32 offset1:33
	s_wait_dscnt 0x0
	v_pk_mul_f32 v[52:53], v[66:67], v[50:51] op_sel:[0,1]
	v_pk_fma_f32 v[70:71], v[66:67], v[48:49], v[52:53] op_sel:[0,0,1] op_sel_hi:[1,1,0] neg_lo:[0,0,1] neg_hi:[0,0,1]
	v_pk_fma_f32 v[52:53], v[66:67], v[48:49], v[52:53] op_sel:[0,0,1] op_sel_hi:[1,0,0]
	s_delay_alu instid0(VALU_DEP_1) | instskip(SKIP_1) | instid1(VALU_DEP_2)
	v_mov_b32_e32 v71, v53
	v_pk_mul_f32 v[52:53], v[68:69], v[50:51] op_sel:[0,1]
	v_pk_add_f32 v[146:147], v[146:147], v[70:71] neg_lo:[0,1] neg_hi:[0,1]
	s_delay_alu instid0(VALU_DEP_2) | instskip(SKIP_1) | instid1(VALU_DEP_1)
	v_pk_fma_f32 v[66:67], v[68:69], v[48:49], v[52:53] op_sel:[0,0,1] op_sel_hi:[1,1,0] neg_lo:[0,0,1] neg_hi:[0,0,1]
	v_pk_fma_f32 v[52:53], v[68:69], v[48:49], v[52:53] op_sel:[0,0,1] op_sel_hi:[1,0,0]
	v_mov_b32_e32 v67, v53
	s_delay_alu instid0(VALU_DEP_1) | instskip(SKIP_3) | instid1(VALU_DEP_1)
	v_pk_add_f32 v[142:143], v[142:143], v[66:67] neg_lo:[0,1] neg_hi:[0,1]
	ds_load_2addr_b64 v[66:69], v168 offset0:34 offset1:35
	s_wait_dscnt 0x0
	v_pk_mul_f32 v[52:53], v[66:67], v[50:51] op_sel:[0,1]
	v_pk_fma_f32 v[70:71], v[66:67], v[48:49], v[52:53] op_sel:[0,0,1] op_sel_hi:[1,1,0] neg_lo:[0,0,1] neg_hi:[0,0,1]
	v_pk_fma_f32 v[52:53], v[66:67], v[48:49], v[52:53] op_sel:[0,0,1] op_sel_hi:[1,0,0]
	s_delay_alu instid0(VALU_DEP_1) | instskip(SKIP_1) | instid1(VALU_DEP_2)
	v_mov_b32_e32 v71, v53
	v_pk_mul_f32 v[52:53], v[68:69], v[50:51] op_sel:[0,1]
	v_pk_add_f32 v[144:145], v[144:145], v[70:71] neg_lo:[0,1] neg_hi:[0,1]
	s_delay_alu instid0(VALU_DEP_2) | instskip(SKIP_1) | instid1(VALU_DEP_1)
	v_pk_fma_f32 v[66:67], v[68:69], v[48:49], v[52:53] op_sel:[0,0,1] op_sel_hi:[1,1,0] neg_lo:[0,0,1] neg_hi:[0,0,1]
	v_pk_fma_f32 v[52:53], v[68:69], v[48:49], v[52:53] op_sel:[0,0,1] op_sel_hi:[1,0,0]
	v_mov_b32_e32 v67, v53
	s_delay_alu instid0(VALU_DEP_1) | instskip(SKIP_3) | instid1(VALU_DEP_1)
	v_pk_add_f32 v[140:141], v[140:141], v[66:67] neg_lo:[0,1] neg_hi:[0,1]
	ds_load_2addr_b64 v[66:69], v168 offset0:36 offset1:37
	s_wait_dscnt 0x0
	v_dual_mul_f32 v52, v67, v51 :: v_dual_mul_f32 v70, v67, v48
	v_pk_fma_f32 v[52:53], v[66:67], v[108:109], v[52:53] op_sel_hi:[1,1,0] neg_lo:[0,0,1] neg_hi:[0,0,1]
	s_delay_alu instid0(VALU_DEP_2) | instskip(NEXT) | instid1(VALU_DEP_1)
	v_pk_fma_f32 v[66:67], v[66:67], v[108:109], v[70:71] op_sel:[1,0,0] op_sel_hi:[0,1,0]
	v_mov_b32_e32 v53, v67
	s_delay_alu instid0(VALU_DEP_1) | instskip(SKIP_1) | instid1(VALU_DEP_1)
	v_pk_add_f32 v[162:163], v[162:163], v[52:53] neg_lo:[0,1] neg_hi:[0,1]
	v_pk_mul_f32 v[52:53], v[68:69], v[50:51] op_sel:[0,1]
	v_pk_fma_f32 v[66:67], v[68:69], v[48:49], v[52:53] op_sel:[0,0,1] op_sel_hi:[1,1,0] neg_lo:[0,0,1] neg_hi:[0,0,1]
	v_pk_fma_f32 v[52:53], v[68:69], v[48:49], v[52:53] op_sel:[0,0,1] op_sel_hi:[1,0,0]
	s_delay_alu instid0(VALU_DEP_1) | instskip(NEXT) | instid1(VALU_DEP_1)
	v_mov_b32_e32 v67, v53
	v_pk_add_f32 v[158:159], v[158:159], v[66:67] neg_lo:[0,1] neg_hi:[0,1]
	ds_load_2addr_b64 v[66:69], v168 offset0:38 offset1:39
	s_wait_dscnt 0x0
	v_pk_mul_f32 v[52:53], v[66:67], v[50:51] op_sel:[0,1]
	s_delay_alu instid0(VALU_DEP_1) | instskip(SKIP_1) | instid1(VALU_DEP_1)
	v_pk_fma_f32 v[70:71], v[66:67], v[48:49], v[52:53] op_sel:[0,0,1] op_sel_hi:[1,1,0] neg_lo:[0,0,1] neg_hi:[0,0,1]
	v_pk_fma_f32 v[52:53], v[66:67], v[48:49], v[52:53] op_sel:[0,0,1] op_sel_hi:[1,0,0]
	v_mov_b32_e32 v71, v53
	v_pk_mul_f32 v[52:53], v[68:69], v[50:51] op_sel:[0,1]
	s_delay_alu instid0(VALU_DEP_2) | instskip(NEXT) | instid1(VALU_DEP_2)
	v_pk_add_f32 v[160:161], v[160:161], v[70:71] neg_lo:[0,1] neg_hi:[0,1]
	v_pk_fma_f32 v[66:67], v[68:69], v[48:49], v[52:53] op_sel:[0,0,1] op_sel_hi:[1,1,0] neg_lo:[0,0,1] neg_hi:[0,0,1]
	v_pk_fma_f32 v[52:53], v[68:69], v[48:49], v[52:53] op_sel:[0,0,1] op_sel_hi:[1,0,0]
	s_delay_alu instid0(VALU_DEP_1) | instskip(NEXT) | instid1(VALU_DEP_1)
	v_mov_b32_e32 v67, v53
	v_pk_add_f32 v[156:157], v[156:157], v[66:67] neg_lo:[0,1] neg_hi:[0,1]
	ds_load_2addr_b64 v[66:69], v168 offset0:40 offset1:41
	s_wait_dscnt 0x0
	v_pk_mul_f32 v[52:53], v[66:67], v[50:51] op_sel:[0,1]
	s_delay_alu instid0(VALU_DEP_1) | instskip(SKIP_2) | instid1(VALU_DEP_2)
	v_pk_fma_f32 v[70:71], v[66:67], v[48:49], v[52:53] op_sel:[0,0,1] op_sel_hi:[1,1,0] neg_lo:[0,0,1] neg_hi:[0,0,1]
	v_pk_fma_f32 v[52:53], v[66:67], v[48:49], v[52:53] op_sel:[0,0,1] op_sel_hi:[1,0,0]
	v_dual_mul_f32 v66, v69, v51 :: v_dual_mov_b32 v52, v69
	v_dual_mov_b32 v71, v53 :: v_dual_mov_b32 v53, v68
	s_delay_alu instid0(VALU_DEP_2) | instskip(SKIP_1) | instid1(VALU_DEP_3)
	v_pk_fma_f32 v[66:67], v[68:69], v[108:109], v[66:67] op_sel_hi:[1,1,0] neg_lo:[0,0,1] neg_hi:[0,0,1]
	v_mul_f32_e32 v68, v69, v48
	v_pk_add_f32 v[178:179], v[178:179], v[70:71] neg_lo:[0,1] neg_hi:[0,1]
	s_delay_alu instid0(VALU_DEP_2) | instskip(NEXT) | instid1(VALU_DEP_1)
	v_pk_fma_f32 v[52:53], v[52:53], v[108:109], v[68:69] op_sel_hi:[1,1,0]
	v_mov_b32_e32 v67, v53
	s_delay_alu instid0(VALU_DEP_1) | instskip(SKIP_3) | instid1(VALU_DEP_1)
	v_pk_add_f32 v[174:175], v[174:175], v[66:67] neg_lo:[0,1] neg_hi:[0,1]
	ds_load_2addr_b64 v[66:69], v168 offset0:42 offset1:43
	s_wait_dscnt 0x0
	v_pk_mul_f32 v[52:53], v[66:67], v[50:51] op_sel:[0,1]
	v_pk_fma_f32 v[70:71], v[66:67], v[48:49], v[52:53] op_sel:[0,0,1] op_sel_hi:[1,1,0] neg_lo:[0,0,1] neg_hi:[0,0,1]
	v_pk_fma_f32 v[52:53], v[66:67], v[48:49], v[52:53] op_sel:[0,0,1] op_sel_hi:[1,0,0]
	s_delay_alu instid0(VALU_DEP_1) | instskip(SKIP_1) | instid1(VALU_DEP_2)
	v_mov_b32_e32 v71, v53
	v_pk_mul_f32 v[52:53], v[68:69], v[50:51] op_sel:[0,1]
	v_pk_add_f32 v[176:177], v[176:177], v[70:71] neg_lo:[0,1] neg_hi:[0,1]
	s_delay_alu instid0(VALU_DEP_2) | instskip(SKIP_1) | instid1(VALU_DEP_1)
	v_pk_fma_f32 v[66:67], v[68:69], v[48:49], v[52:53] op_sel:[0,0,1] op_sel_hi:[1,1,0] neg_lo:[0,0,1] neg_hi:[0,0,1]
	v_pk_fma_f32 v[52:53], v[68:69], v[48:49], v[52:53] op_sel:[0,0,1] op_sel_hi:[1,0,0]
	v_mov_b32_e32 v67, v53
	s_delay_alu instid0(VALU_DEP_1) | instskip(SKIP_3) | instid1(VALU_DEP_1)
	v_pk_add_f32 v[172:173], v[172:173], v[66:67] neg_lo:[0,1] neg_hi:[0,1]
	ds_load_2addr_b64 v[66:69], v168 offset0:44 offset1:45
	s_wait_dscnt 0x0
	v_pk_mul_f32 v[52:53], v[66:67], v[50:51] op_sel:[0,1]
	v_pk_fma_f32 v[70:71], v[66:67], v[48:49], v[52:53] op_sel:[0,0,1] op_sel_hi:[1,1,0] neg_lo:[0,0,1] neg_hi:[0,0,1]
	v_pk_fma_f32 v[52:53], v[66:67], v[48:49], v[52:53] op_sel:[0,0,1] op_sel_hi:[1,0,0]
	s_delay_alu instid0(VALU_DEP_1) | instskip(SKIP_1) | instid1(VALU_DEP_2)
	v_mov_b32_e32 v71, v53
	v_pk_mul_f32 v[52:53], v[68:69], v[50:51] op_sel:[0,1]
	v_pk_add_f32 v[198:199], v[198:199], v[70:71] neg_lo:[0,1] neg_hi:[0,1]
	s_delay_alu instid0(VALU_DEP_2) | instskip(SKIP_1) | instid1(VALU_DEP_1)
	v_pk_fma_f32 v[66:67], v[68:69], v[48:49], v[52:53] op_sel:[0,0,1] op_sel_hi:[1,1,0] neg_lo:[0,0,1] neg_hi:[0,0,1]
	v_pk_fma_f32 v[52:53], v[68:69], v[48:49], v[52:53] op_sel:[0,0,1] op_sel_hi:[1,0,0]
	v_mov_b32_e32 v67, v53
	s_delay_alu instid0(VALU_DEP_1) | instskip(SKIP_3) | instid1(VALU_DEP_1)
	v_pk_add_f32 v[194:195], v[194:195], v[66:67] neg_lo:[0,1] neg_hi:[0,1]
	ds_load_2addr_b64 v[66:69], v168 offset0:46 offset1:47
	s_wait_dscnt 0x0
	v_dual_mul_f32 v52, v67, v51 :: v_dual_mul_f32 v70, v67, v48
	v_pk_fma_f32 v[52:53], v[66:67], v[108:109], v[52:53] op_sel_hi:[1,1,0] neg_lo:[0,0,1] neg_hi:[0,0,1]
	s_delay_alu instid0(VALU_DEP_2) | instskip(NEXT) | instid1(VALU_DEP_1)
	v_pk_fma_f32 v[66:67], v[66:67], v[108:109], v[70:71] op_sel:[1,0,0] op_sel_hi:[0,1,0]
	v_mov_b32_e32 v53, v67
	s_delay_alu instid0(VALU_DEP_1) | instskip(SKIP_1) | instid1(VALU_DEP_1)
	v_pk_add_f32 v[196:197], v[196:197], v[52:53] neg_lo:[0,1] neg_hi:[0,1]
	v_pk_mul_f32 v[52:53], v[68:69], v[50:51] op_sel:[0,1]
	v_pk_fma_f32 v[66:67], v[68:69], v[48:49], v[52:53] op_sel:[0,0,1] op_sel_hi:[1,1,0] neg_lo:[0,0,1] neg_hi:[0,0,1]
	v_pk_fma_f32 v[52:53], v[68:69], v[48:49], v[52:53] op_sel:[0,0,1] op_sel_hi:[1,0,0]
	s_delay_alu instid0(VALU_DEP_1) | instskip(NEXT) | instid1(VALU_DEP_1)
	v_mov_b32_e32 v67, v53
	v_pk_add_f32 v[192:193], v[192:193], v[66:67] neg_lo:[0,1] neg_hi:[0,1]
	ds_load_2addr_b64 v[66:69], v168 offset0:48 offset1:49
	s_wait_dscnt 0x0
	v_pk_mul_f32 v[52:53], v[66:67], v[50:51] op_sel:[0,1]
	s_delay_alu instid0(VALU_DEP_1) | instskip(SKIP_1) | instid1(VALU_DEP_1)
	v_pk_fma_f32 v[70:71], v[66:67], v[48:49], v[52:53] op_sel:[0,0,1] op_sel_hi:[1,1,0] neg_lo:[0,0,1] neg_hi:[0,0,1]
	v_pk_fma_f32 v[52:53], v[66:67], v[48:49], v[52:53] op_sel:[0,0,1] op_sel_hi:[1,0,0]
	v_mov_b32_e32 v71, v53
	v_pk_mul_f32 v[52:53], v[68:69], v[50:51] op_sel:[0,1]
	s_delay_alu instid0(VALU_DEP_2) | instskip(NEXT) | instid1(VALU_DEP_2)
	v_pk_add_f32 v[220:221], v[220:221], v[70:71] neg_lo:[0,1] neg_hi:[0,1]
	v_pk_fma_f32 v[66:67], v[68:69], v[48:49], v[52:53] op_sel:[0,0,1] op_sel_hi:[1,1,0] neg_lo:[0,0,1] neg_hi:[0,0,1]
	v_pk_fma_f32 v[52:53], v[68:69], v[48:49], v[52:53] op_sel:[0,0,1] op_sel_hi:[1,0,0]
	s_delay_alu instid0(VALU_DEP_1) | instskip(NEXT) | instid1(VALU_DEP_1)
	v_mov_b32_e32 v67, v53
	v_pk_add_f32 v[214:215], v[214:215], v[66:67] neg_lo:[0,1] neg_hi:[0,1]
	ds_load_2addr_b64 v[66:69], v168 offset0:50 offset1:51
	s_wait_dscnt 0x0
	v_pk_mul_f32 v[52:53], v[66:67], v[50:51] op_sel:[0,1]
	s_delay_alu instid0(VALU_DEP_1) | instskip(SKIP_2) | instid1(VALU_DEP_2)
	v_pk_fma_f32 v[70:71], v[66:67], v[48:49], v[52:53] op_sel:[0,0,1] op_sel_hi:[1,1,0] neg_lo:[0,0,1] neg_hi:[0,0,1]
	v_pk_fma_f32 v[52:53], v[66:67], v[48:49], v[52:53] op_sel:[0,0,1] op_sel_hi:[1,0,0]
	v_dual_mul_f32 v66, v69, v51 :: v_dual_mov_b32 v52, v69
	v_dual_mov_b32 v71, v53 :: v_dual_mov_b32 v53, v68
	s_delay_alu instid0(VALU_DEP_2) | instskip(SKIP_1) | instid1(VALU_DEP_3)
	v_pk_fma_f32 v[66:67], v[68:69], v[108:109], v[66:67] op_sel_hi:[1,1,0] neg_lo:[0,0,1] neg_hi:[0,0,1]
	v_mul_f32_e32 v68, v69, v48
	v_pk_add_f32 v[218:219], v[218:219], v[70:71] neg_lo:[0,1] neg_hi:[0,1]
	s_delay_alu instid0(VALU_DEP_2) | instskip(NEXT) | instid1(VALU_DEP_1)
	v_pk_fma_f32 v[52:53], v[52:53], v[108:109], v[68:69] op_sel_hi:[1,1,0]
	v_mov_b32_e32 v67, v53
	s_delay_alu instid0(VALU_DEP_1) | instskip(SKIP_3) | instid1(VALU_DEP_1)
	v_pk_add_f32 v[212:213], v[212:213], v[66:67] neg_lo:[0,1] neg_hi:[0,1]
	ds_load_2addr_b64 v[66:69], v168 offset0:52 offset1:53
	s_wait_dscnt 0x0
	v_pk_mul_f32 v[52:53], v[66:67], v[50:51] op_sel:[0,1]
	v_pk_fma_f32 v[70:71], v[66:67], v[48:49], v[52:53] op_sel:[0,0,1] op_sel_hi:[1,1,0] neg_lo:[0,0,1] neg_hi:[0,0,1]
	v_pk_fma_f32 v[52:53], v[66:67], v[48:49], v[52:53] op_sel:[0,0,1] op_sel_hi:[1,0,0]
	s_delay_alu instid0(VALU_DEP_1) | instskip(SKIP_1) | instid1(VALU_DEP_2)
	v_mov_b32_e32 v71, v53
	v_pk_mul_f32 v[52:53], v[68:69], v[50:51] op_sel:[0,1]
	v_pk_add_f32 v[216:217], v[216:217], v[70:71] neg_lo:[0,1] neg_hi:[0,1]
	s_delay_alu instid0(VALU_DEP_2) | instskip(SKIP_1) | instid1(VALU_DEP_1)
	v_pk_fma_f32 v[66:67], v[68:69], v[48:49], v[52:53] op_sel:[0,0,1] op_sel_hi:[1,1,0] neg_lo:[0,0,1] neg_hi:[0,0,1]
	v_pk_fma_f32 v[52:53], v[68:69], v[48:49], v[52:53] op_sel:[0,0,1] op_sel_hi:[1,0,0]
	v_mov_b32_e32 v67, v53
	s_delay_alu instid0(VALU_DEP_1) | instskip(SKIP_4) | instid1(VALU_DEP_2)
	v_pk_add_f32 v[210:211], v[210:211], v[66:67] neg_lo:[0,1] neg_hi:[0,1]
	ds_load_2addr_b64 v[66:69], v168 offset0:54 offset1:55
	s_wait_dscnt 0x0
	v_pk_mul_f32 v[52:53], v[66:67], v[50:51] op_sel:[0,1]
	v_pk_mul_f32 v[50:51], v[68:69], v[50:51] op_sel:[0,1]
	v_pk_fma_f32 v[70:71], v[66:67], v[48:49], v[52:53] op_sel:[0,0,1] op_sel_hi:[1,1,0] neg_lo:[0,0,1] neg_hi:[0,0,1]
	v_pk_fma_f32 v[52:53], v[66:67], v[48:49], v[52:53] op_sel:[0,0,1] op_sel_hi:[1,0,0]
	s_delay_alu instid0(VALU_DEP_1) | instskip(NEXT) | instid1(VALU_DEP_4)
	v_mov_b32_e32 v71, v53
	v_pk_fma_f32 v[52:53], v[68:69], v[48:49], v[50:51] op_sel:[0,0,1] op_sel_hi:[1,1,0] neg_lo:[0,0,1] neg_hi:[0,0,1]
	v_pk_fma_f32 v[48:49], v[68:69], v[48:49], v[50:51] op_sel:[0,0,1] op_sel_hi:[1,0,0]
	s_delay_alu instid0(VALU_DEP_3) | instskip(NEXT) | instid1(VALU_DEP_2)
	v_pk_add_f32 v[222:223], v[222:223], v[70:71] neg_lo:[0,1] neg_hi:[0,1]
	v_mov_b32_e32 v53, v49
	s_delay_alu instid0(VALU_DEP_1)
	v_pk_add_f32 v[224:225], v[224:225], v[52:53] neg_lo:[0,1] neg_hi:[0,1]
.LBB111_253:
	s_or_b32 exec_lo, exec_lo, s1
	s_delay_alu instid0(SALU_CYCLE_1)
	s_mov_b32 s2, exec_lo
	s_wait_dscnt 0x0
	s_barrier_signal -1
	s_barrier_wait -1
	v_cmpx_eq_u32_e32 28, v166
	s_cbranch_execz .LBB111_260
; %bb.254:
	ds_store_b64 v167, v[130:131]
	ds_store_2addr_b64 v168, v[126:127], v[128:129] offset0:29 offset1:30
	ds_store_2addr_b64 v168, v[124:125], v[146:147] offset0:31 offset1:32
	;; [unrolled: 1-line block ×13, first 2 shown]
	ds_store_b64 v168, v[224:225] offset:440
	ds_load_b64 v[48:49], v167
	s_wait_dscnt 0x0
	v_cmp_neq_f32_e32 vcc_lo, 0, v48
	v_cmp_neq_f32_e64 s1, 0, v49
	s_or_b32 s1, vcc_lo, s1
	s_delay_alu instid0(SALU_CYCLE_1)
	s_and_b32 exec_lo, exec_lo, s1
	s_cbranch_execz .LBB111_260
; %bb.255:
	v_cmp_ngt_f32_e64 s1, |v48|, |v49|
                                        ; implicit-def: $vgpr50_vgpr51
	s_and_saveexec_b32 s4, s1
	s_delay_alu instid0(SALU_CYCLE_1)
	s_xor_b32 s1, exec_lo, s4
	s_cbranch_execz .LBB111_257
; %bb.256:
	v_div_scale_f32 v50, null, v49, v49, v48
	v_div_scale_f32 v53, vcc_lo, v48, v49, v48
	s_delay_alu instid0(VALU_DEP_2) | instskip(SKIP_1) | instid1(TRANS32_DEP_1)
	v_rcp_f32_e32 v51, v50
	v_nop
	v_fma_f32 v52, -v50, v51, 1.0
	s_delay_alu instid0(VALU_DEP_1) | instskip(NEXT) | instid1(VALU_DEP_1)
	v_fmac_f32_e32 v51, v52, v51
	v_mul_f32_e32 v52, v53, v51
	s_delay_alu instid0(VALU_DEP_1) | instskip(NEXT) | instid1(VALU_DEP_1)
	v_fma_f32 v66, -v50, v52, v53
	v_fmac_f32_e32 v52, v66, v51
	s_delay_alu instid0(VALU_DEP_1) | instskip(NEXT) | instid1(VALU_DEP_1)
	v_fma_f32 v50, -v50, v52, v53
	v_div_fmas_f32 v50, v50, v51, v52
	s_delay_alu instid0(VALU_DEP_1) | instskip(NEXT) | instid1(VALU_DEP_1)
	v_div_fixup_f32 v50, v50, v49, v48
	v_fmac_f32_e32 v49, v48, v50
	s_delay_alu instid0(VALU_DEP_1) | instskip(SKIP_1) | instid1(VALU_DEP_2)
	v_div_scale_f32 v48, null, v49, v49, 1.0
	v_div_scale_f32 v53, vcc_lo, 1.0, v49, 1.0
	v_rcp_f32_e32 v51, v48
	v_nop
	s_delay_alu instid0(TRANS32_DEP_1) | instskip(NEXT) | instid1(VALU_DEP_1)
	v_fma_f32 v52, -v48, v51, 1.0
	v_fmac_f32_e32 v51, v52, v51
	s_delay_alu instid0(VALU_DEP_1) | instskip(NEXT) | instid1(VALU_DEP_1)
	v_mul_f32_e32 v52, v53, v51
	v_fma_f32 v66, -v48, v52, v53
	s_delay_alu instid0(VALU_DEP_1) | instskip(NEXT) | instid1(VALU_DEP_1)
	v_fmac_f32_e32 v52, v66, v51
	v_fma_f32 v48, -v48, v52, v53
	s_delay_alu instid0(VALU_DEP_1) | instskip(NEXT) | instid1(VALU_DEP_1)
	v_div_fmas_f32 v48, v48, v51, v52
	v_div_fixup_f32 v48, v48, v49, 1.0
	s_delay_alu instid0(VALU_DEP_1)
	v_mul_f32_e32 v50, v50, v48
	v_xor_b32_e32 v51, 0x80000000, v48
                                        ; implicit-def: $vgpr48_vgpr49
.LBB111_257:
	s_and_not1_saveexec_b32 s1, s1
	s_cbranch_execz .LBB111_259
; %bb.258:
	v_div_scale_f32 v50, null, v48, v48, v49
	v_div_scale_f32 v53, vcc_lo, v49, v48, v49
	s_delay_alu instid0(VALU_DEP_2) | instskip(SKIP_1) | instid1(TRANS32_DEP_1)
	v_rcp_f32_e32 v51, v50
	v_nop
	v_fma_f32 v52, -v50, v51, 1.0
	s_delay_alu instid0(VALU_DEP_1) | instskip(NEXT) | instid1(VALU_DEP_1)
	v_fmac_f32_e32 v51, v52, v51
	v_mul_f32_e32 v52, v53, v51
	s_delay_alu instid0(VALU_DEP_1) | instskip(NEXT) | instid1(VALU_DEP_1)
	v_fma_f32 v66, -v50, v52, v53
	v_fmac_f32_e32 v52, v66, v51
	s_delay_alu instid0(VALU_DEP_1) | instskip(NEXT) | instid1(VALU_DEP_1)
	v_fma_f32 v50, -v50, v52, v53
	v_div_fmas_f32 v50, v50, v51, v52
	s_delay_alu instid0(VALU_DEP_1) | instskip(NEXT) | instid1(VALU_DEP_1)
	v_div_fixup_f32 v51, v50, v48, v49
	v_fmac_f32_e32 v48, v49, v51
	s_delay_alu instid0(VALU_DEP_1) | instskip(NEXT) | instid1(VALU_DEP_1)
	v_div_scale_f32 v49, null, v48, v48, 1.0
	v_rcp_f32_e32 v50, v49
	v_nop
	s_delay_alu instid0(TRANS32_DEP_1) | instskip(NEXT) | instid1(VALU_DEP_1)
	v_fma_f32 v52, -v49, v50, 1.0
	v_fmac_f32_e32 v50, v52, v50
	v_div_scale_f32 v52, vcc_lo, 1.0, v48, 1.0
	s_delay_alu instid0(VALU_DEP_1) | instskip(NEXT) | instid1(VALU_DEP_1)
	v_mul_f32_e32 v53, v52, v50
	v_fma_f32 v66, -v49, v53, v52
	s_delay_alu instid0(VALU_DEP_1) | instskip(NEXT) | instid1(VALU_DEP_1)
	v_fmac_f32_e32 v53, v66, v50
	v_fma_f32 v49, -v49, v53, v52
	s_delay_alu instid0(VALU_DEP_1) | instskip(NEXT) | instid1(VALU_DEP_1)
	v_div_fmas_f32 v49, v49, v50, v53
	v_div_fixup_f32 v50, v49, v48, 1.0
	s_delay_alu instid0(VALU_DEP_1)
	v_mul_f32_e64 v51, v51, -v50
.LBB111_259:
	s_or_b32 exec_lo, exec_lo, s1
	ds_store_b64 v167, v[50:51]
.LBB111_260:
	s_or_b32 exec_lo, exec_lo, s2
	s_wait_dscnt 0x0
	s_barrier_signal -1
	s_barrier_wait -1
	ds_load_b64 v[48:49], v167
	s_mov_b32 s1, exec_lo
	v_cmpx_lt_u32_e32 28, v166
	s_cbranch_execz .LBB111_262
; %bb.261:
	ds_load_2addr_b64 v[66:69], v168 offset0:29 offset1:30
	s_wait_dscnt 0x1
	v_pk_mul_f32 v[52:53], v[48:49], v[130:131] op_sel:[1,1] op_sel_hi:[0,1]
	s_delay_alu instid0(VALU_DEP_1) | instskip(SKIP_1) | instid1(VALU_DEP_1)
	v_pk_fma_f32 v[50:51], v[48:49], v[130:131], v[52:53] op_sel_hi:[1,0,1] neg_lo:[0,0,1] neg_hi:[0,0,1]
	v_pk_fma_f32 v[52:53], v[48:49], v[130:131], v[52:53] op_sel_hi:[1,0,1]
	v_dual_mov_b32 v130, v50 :: v_dual_mov_b32 v131, v53
	s_wait_dscnt 0x0
	s_delay_alu instid0(VALU_DEP_2) | instskip(NEXT) | instid1(VALU_DEP_1)
	v_pk_mul_f32 v[70:71], v[66:67], v[52:53] op_sel:[0,1]
	v_pk_fma_f32 v[72:73], v[66:67], v[50:51], v[70:71] op_sel:[0,0,1] op_sel_hi:[1,1,0] neg_lo:[0,0,1] neg_hi:[0,0,1]
	v_pk_fma_f32 v[66:67], v[66:67], v[50:51], v[70:71] op_sel:[0,0,1] op_sel_hi:[1,0,0]
	s_delay_alu instid0(VALU_DEP_1) | instskip(SKIP_1) | instid1(VALU_DEP_1)
	v_mov_b32_e32 v73, v67
	v_pk_mul_f32 v[66:67], v[68:69], v[52:53] op_sel:[0,1]
	v_pk_fma_f32 v[70:71], v[68:69], v[50:51], v[66:67] op_sel:[0,0,1] op_sel_hi:[1,1,0] neg_lo:[0,0,1] neg_hi:[0,0,1]
	v_pk_fma_f32 v[66:67], v[68:69], v[50:51], v[66:67] op_sel:[0,0,1] op_sel_hi:[1,0,0]
	s_delay_alu instid0(VALU_DEP_1)
	v_mov_b32_e32 v71, v67
	ds_load_2addr_b64 v[66:69], v168 offset0:31 offset1:32
	v_pk_add_f32 v[126:127], v[126:127], v[72:73] neg_lo:[0,1] neg_hi:[0,1]
	v_pk_add_f32 v[128:129], v[128:129], v[70:71] neg_lo:[0,1] neg_hi:[0,1]
	s_wait_dscnt 0x0
	v_pk_mul_f32 v[70:71], v[66:67], v[52:53] op_sel:[0,1]
	s_delay_alu instid0(VALU_DEP_1) | instskip(SKIP_2) | instid1(VALU_DEP_2)
	v_pk_fma_f32 v[72:73], v[66:67], v[50:51], v[70:71] op_sel:[0,0,1] op_sel_hi:[1,1,0] neg_lo:[0,0,1] neg_hi:[0,0,1]
	v_pk_fma_f32 v[66:67], v[66:67], v[50:51], v[70:71] op_sel:[0,0,1] op_sel_hi:[1,0,0]
	v_dual_mul_f32 v70, v69, v53 :: v_dual_mov_b32 v66, v69
	v_dual_mov_b32 v73, v67 :: v_dual_mov_b32 v67, v68
	s_delay_alu instid0(VALU_DEP_2) | instskip(SKIP_1) | instid1(VALU_DEP_3)
	v_pk_fma_f32 v[70:71], v[68:69], v[130:131], v[70:71] op_sel_hi:[1,1,0] neg_lo:[0,0,1] neg_hi:[0,0,1]
	v_mul_f32_e32 v68, v69, v50
	v_pk_add_f32 v[124:125], v[124:125], v[72:73] neg_lo:[0,1] neg_hi:[0,1]
	s_delay_alu instid0(VALU_DEP_2) | instskip(NEXT) | instid1(VALU_DEP_1)
	v_pk_fma_f32 v[66:67], v[66:67], v[130:131], v[68:69] op_sel_hi:[1,1,0]
	v_mov_b32_e32 v71, v67
	ds_load_2addr_b64 v[66:69], v168 offset0:33 offset1:34
	v_pk_add_f32 v[146:147], v[146:147], v[70:71] neg_lo:[0,1] neg_hi:[0,1]
	s_wait_dscnt 0x0
	v_pk_mul_f32 v[70:71], v[66:67], v[52:53] op_sel:[0,1]
	s_delay_alu instid0(VALU_DEP_1) | instskip(SKIP_1) | instid1(VALU_DEP_1)
	v_pk_fma_f32 v[72:73], v[66:67], v[50:51], v[70:71] op_sel:[0,0,1] op_sel_hi:[1,1,0] neg_lo:[0,0,1] neg_hi:[0,0,1]
	v_pk_fma_f32 v[66:67], v[66:67], v[50:51], v[70:71] op_sel:[0,0,1] op_sel_hi:[1,0,0]
	v_mov_b32_e32 v73, v67
	v_pk_mul_f32 v[66:67], v[68:69], v[52:53] op_sel:[0,1]
	s_delay_alu instid0(VALU_DEP_1) | instskip(SKIP_1) | instid1(VALU_DEP_1)
	v_pk_fma_f32 v[70:71], v[68:69], v[50:51], v[66:67] op_sel:[0,0,1] op_sel_hi:[1,1,0] neg_lo:[0,0,1] neg_hi:[0,0,1]
	v_pk_fma_f32 v[66:67], v[68:69], v[50:51], v[66:67] op_sel:[0,0,1] op_sel_hi:[1,0,0]
	v_mov_b32_e32 v71, v67
	ds_load_2addr_b64 v[66:69], v168 offset0:35 offset1:36
	v_pk_add_f32 v[142:143], v[142:143], v[72:73] neg_lo:[0,1] neg_hi:[0,1]
	v_pk_add_f32 v[144:145], v[144:145], v[70:71] neg_lo:[0,1] neg_hi:[0,1]
	s_wait_dscnt 0x0
	v_pk_mul_f32 v[70:71], v[66:67], v[52:53] op_sel:[0,1]
	s_delay_alu instid0(VALU_DEP_1) | instskip(SKIP_1) | instid1(VALU_DEP_1)
	v_pk_fma_f32 v[72:73], v[66:67], v[50:51], v[70:71] op_sel:[0,0,1] op_sel_hi:[1,1,0] neg_lo:[0,0,1] neg_hi:[0,0,1]
	v_pk_fma_f32 v[66:67], v[66:67], v[50:51], v[70:71] op_sel:[0,0,1] op_sel_hi:[1,0,0]
	v_mov_b32_e32 v73, v67
	v_pk_mul_f32 v[66:67], v[68:69], v[52:53] op_sel:[0,1]
	s_delay_alu instid0(VALU_DEP_1) | instskip(SKIP_1) | instid1(VALU_DEP_1)
	v_pk_fma_f32 v[70:71], v[68:69], v[50:51], v[66:67] op_sel:[0,0,1] op_sel_hi:[1,1,0] neg_lo:[0,0,1] neg_hi:[0,0,1]
	v_pk_fma_f32 v[66:67], v[68:69], v[50:51], v[66:67] op_sel:[0,0,1] op_sel_hi:[1,0,0]
	v_mov_b32_e32 v71, v67
	ds_load_2addr_b64 v[66:69], v168 offset0:37 offset1:38
	v_pk_add_f32 v[140:141], v[140:141], v[72:73] neg_lo:[0,1] neg_hi:[0,1]
	v_pk_add_f32 v[162:163], v[162:163], v[70:71] neg_lo:[0,1] neg_hi:[0,1]
	s_wait_dscnt 0x0
	v_dual_mul_f32 v70, v67, v53 :: v_dual_mul_f32 v72, v67, v50
	s_delay_alu instid0(VALU_DEP_1) | instskip(NEXT) | instid1(VALU_DEP_2)
	v_pk_fma_f32 v[70:71], v[66:67], v[130:131], v[70:71] op_sel_hi:[1,1,0] neg_lo:[0,0,1] neg_hi:[0,0,1]
	v_pk_fma_f32 v[66:67], v[66:67], v[130:131], v[72:73] op_sel:[1,0,0] op_sel_hi:[0,1,0]
	s_delay_alu instid0(VALU_DEP_1) | instskip(SKIP_1) | instid1(VALU_DEP_2)
	v_mov_b32_e32 v71, v67
	v_pk_mul_f32 v[66:67], v[68:69], v[52:53] op_sel:[0,1]
	v_pk_add_f32 v[158:159], v[158:159], v[70:71] neg_lo:[0,1] neg_hi:[0,1]
	s_delay_alu instid0(VALU_DEP_2) | instskip(SKIP_1) | instid1(VALU_DEP_1)
	v_pk_fma_f32 v[70:71], v[68:69], v[50:51], v[66:67] op_sel:[0,0,1] op_sel_hi:[1,1,0] neg_lo:[0,0,1] neg_hi:[0,0,1]
	v_pk_fma_f32 v[66:67], v[68:69], v[50:51], v[66:67] op_sel:[0,0,1] op_sel_hi:[1,0,0]
	v_mov_b32_e32 v71, v67
	ds_load_2addr_b64 v[66:69], v168 offset0:39 offset1:40
	v_pk_add_f32 v[160:161], v[160:161], v[70:71] neg_lo:[0,1] neg_hi:[0,1]
	s_wait_dscnt 0x0
	v_pk_mul_f32 v[70:71], v[66:67], v[52:53] op_sel:[0,1]
	s_delay_alu instid0(VALU_DEP_1) | instskip(SKIP_1) | instid1(VALU_DEP_1)
	v_pk_fma_f32 v[72:73], v[66:67], v[50:51], v[70:71] op_sel:[0,0,1] op_sel_hi:[1,1,0] neg_lo:[0,0,1] neg_hi:[0,0,1]
	v_pk_fma_f32 v[66:67], v[66:67], v[50:51], v[70:71] op_sel:[0,0,1] op_sel_hi:[1,0,0]
	v_mov_b32_e32 v73, v67
	v_pk_mul_f32 v[66:67], v[68:69], v[52:53] op_sel:[0,1]
	s_delay_alu instid0(VALU_DEP_2) | instskip(NEXT) | instid1(VALU_DEP_2)
	v_pk_add_f32 v[156:157], v[156:157], v[72:73] neg_lo:[0,1] neg_hi:[0,1]
	v_pk_fma_f32 v[70:71], v[68:69], v[50:51], v[66:67] op_sel:[0,0,1] op_sel_hi:[1,1,0] neg_lo:[0,0,1] neg_hi:[0,0,1]
	v_pk_fma_f32 v[66:67], v[68:69], v[50:51], v[66:67] op_sel:[0,0,1] op_sel_hi:[1,0,0]
	s_delay_alu instid0(VALU_DEP_1) | instskip(SKIP_4) | instid1(VALU_DEP_1)
	v_mov_b32_e32 v71, v67
	ds_load_2addr_b64 v[66:69], v168 offset0:41 offset1:42
	v_pk_add_f32 v[178:179], v[178:179], v[70:71] neg_lo:[0,1] neg_hi:[0,1]
	s_wait_dscnt 0x0
	v_pk_mul_f32 v[70:71], v[66:67], v[52:53] op_sel:[0,1]
	v_pk_fma_f32 v[72:73], v[66:67], v[50:51], v[70:71] op_sel:[0,0,1] op_sel_hi:[1,1,0] neg_lo:[0,0,1] neg_hi:[0,0,1]
	v_pk_fma_f32 v[66:67], v[66:67], v[50:51], v[70:71] op_sel:[0,0,1] op_sel_hi:[1,0,0]
	v_dual_mul_f32 v70, v69, v53 :: v_dual_mov_b32 v66, v69
	s_delay_alu instid0(VALU_DEP_2) | instskip(NEXT) | instid1(VALU_DEP_2)
	v_dual_mov_b32 v73, v67 :: v_dual_mov_b32 v67, v68
	v_pk_fma_f32 v[70:71], v[68:69], v[130:131], v[70:71] op_sel_hi:[1,1,0] neg_lo:[0,0,1] neg_hi:[0,0,1]
	v_mul_f32_e32 v68, v69, v50
	s_delay_alu instid0(VALU_DEP_3) | instskip(NEXT) | instid1(VALU_DEP_2)
	v_pk_add_f32 v[174:175], v[174:175], v[72:73] neg_lo:[0,1] neg_hi:[0,1]
	v_pk_fma_f32 v[66:67], v[66:67], v[130:131], v[68:69] op_sel_hi:[1,1,0]
	s_delay_alu instid0(VALU_DEP_1) | instskip(SKIP_4) | instid1(VALU_DEP_1)
	v_mov_b32_e32 v71, v67
	ds_load_2addr_b64 v[66:69], v168 offset0:43 offset1:44
	v_pk_add_f32 v[176:177], v[176:177], v[70:71] neg_lo:[0,1] neg_hi:[0,1]
	s_wait_dscnt 0x0
	v_pk_mul_f32 v[70:71], v[66:67], v[52:53] op_sel:[0,1]
	v_pk_fma_f32 v[72:73], v[66:67], v[50:51], v[70:71] op_sel:[0,0,1] op_sel_hi:[1,1,0] neg_lo:[0,0,1] neg_hi:[0,0,1]
	v_pk_fma_f32 v[66:67], v[66:67], v[50:51], v[70:71] op_sel:[0,0,1] op_sel_hi:[1,0,0]
	s_delay_alu instid0(VALU_DEP_1) | instskip(SKIP_1) | instid1(VALU_DEP_1)
	v_mov_b32_e32 v73, v67
	v_pk_mul_f32 v[66:67], v[68:69], v[52:53] op_sel:[0,1]
	v_pk_fma_f32 v[70:71], v[68:69], v[50:51], v[66:67] op_sel:[0,0,1] op_sel_hi:[1,1,0] neg_lo:[0,0,1] neg_hi:[0,0,1]
	v_pk_fma_f32 v[66:67], v[68:69], v[50:51], v[66:67] op_sel:[0,0,1] op_sel_hi:[1,0,0]
	s_delay_alu instid0(VALU_DEP_1)
	v_mov_b32_e32 v71, v67
	ds_load_2addr_b64 v[66:69], v168 offset0:45 offset1:46
	v_pk_add_f32 v[172:173], v[172:173], v[72:73] neg_lo:[0,1] neg_hi:[0,1]
	v_pk_add_f32 v[198:199], v[198:199], v[70:71] neg_lo:[0,1] neg_hi:[0,1]
	s_wait_dscnt 0x0
	v_pk_mul_f32 v[70:71], v[66:67], v[52:53] op_sel:[0,1]
	s_delay_alu instid0(VALU_DEP_1) | instskip(SKIP_1) | instid1(VALU_DEP_1)
	v_pk_fma_f32 v[72:73], v[66:67], v[50:51], v[70:71] op_sel:[0,0,1] op_sel_hi:[1,1,0] neg_lo:[0,0,1] neg_hi:[0,0,1]
	v_pk_fma_f32 v[66:67], v[66:67], v[50:51], v[70:71] op_sel:[0,0,1] op_sel_hi:[1,0,0]
	v_mov_b32_e32 v73, v67
	v_pk_mul_f32 v[66:67], v[68:69], v[52:53] op_sel:[0,1]
	s_delay_alu instid0(VALU_DEP_1) | instskip(SKIP_1) | instid1(VALU_DEP_1)
	v_pk_fma_f32 v[70:71], v[68:69], v[50:51], v[66:67] op_sel:[0,0,1] op_sel_hi:[1,1,0] neg_lo:[0,0,1] neg_hi:[0,0,1]
	v_pk_fma_f32 v[66:67], v[68:69], v[50:51], v[66:67] op_sel:[0,0,1] op_sel_hi:[1,0,0]
	v_mov_b32_e32 v71, v67
	ds_load_2addr_b64 v[66:69], v168 offset0:47 offset1:48
	v_pk_add_f32 v[194:195], v[194:195], v[72:73] neg_lo:[0,1] neg_hi:[0,1]
	v_pk_add_f32 v[196:197], v[196:197], v[70:71] neg_lo:[0,1] neg_hi:[0,1]
	s_wait_dscnt 0x0
	v_dual_mul_f32 v70, v67, v53 :: v_dual_mul_f32 v72, v67, v50
	s_delay_alu instid0(VALU_DEP_1) | instskip(NEXT) | instid1(VALU_DEP_2)
	v_pk_fma_f32 v[70:71], v[66:67], v[130:131], v[70:71] op_sel_hi:[1,1,0] neg_lo:[0,0,1] neg_hi:[0,0,1]
	v_pk_fma_f32 v[66:67], v[66:67], v[130:131], v[72:73] op_sel:[1,0,0] op_sel_hi:[0,1,0]
	s_delay_alu instid0(VALU_DEP_1) | instskip(SKIP_1) | instid1(VALU_DEP_2)
	v_mov_b32_e32 v71, v67
	v_pk_mul_f32 v[66:67], v[68:69], v[52:53] op_sel:[0,1]
	v_pk_add_f32 v[192:193], v[192:193], v[70:71] neg_lo:[0,1] neg_hi:[0,1]
	s_delay_alu instid0(VALU_DEP_2) | instskip(SKIP_1) | instid1(VALU_DEP_1)
	v_pk_fma_f32 v[70:71], v[68:69], v[50:51], v[66:67] op_sel:[0,0,1] op_sel_hi:[1,1,0] neg_lo:[0,0,1] neg_hi:[0,0,1]
	v_pk_fma_f32 v[66:67], v[68:69], v[50:51], v[66:67] op_sel:[0,0,1] op_sel_hi:[1,0,0]
	v_mov_b32_e32 v71, v67
	ds_load_2addr_b64 v[66:69], v168 offset0:49 offset1:50
	v_pk_add_f32 v[220:221], v[220:221], v[70:71] neg_lo:[0,1] neg_hi:[0,1]
	s_wait_dscnt 0x0
	v_pk_mul_f32 v[70:71], v[66:67], v[52:53] op_sel:[0,1]
	s_delay_alu instid0(VALU_DEP_1) | instskip(SKIP_1) | instid1(VALU_DEP_1)
	v_pk_fma_f32 v[72:73], v[66:67], v[50:51], v[70:71] op_sel:[0,0,1] op_sel_hi:[1,1,0] neg_lo:[0,0,1] neg_hi:[0,0,1]
	v_pk_fma_f32 v[66:67], v[66:67], v[50:51], v[70:71] op_sel:[0,0,1] op_sel_hi:[1,0,0]
	v_mov_b32_e32 v73, v67
	v_pk_mul_f32 v[66:67], v[68:69], v[52:53] op_sel:[0,1]
	s_delay_alu instid0(VALU_DEP_2) | instskip(NEXT) | instid1(VALU_DEP_2)
	v_pk_add_f32 v[214:215], v[214:215], v[72:73] neg_lo:[0,1] neg_hi:[0,1]
	v_pk_fma_f32 v[70:71], v[68:69], v[50:51], v[66:67] op_sel:[0,0,1] op_sel_hi:[1,1,0] neg_lo:[0,0,1] neg_hi:[0,0,1]
	v_pk_fma_f32 v[66:67], v[68:69], v[50:51], v[66:67] op_sel:[0,0,1] op_sel_hi:[1,0,0]
	s_delay_alu instid0(VALU_DEP_1) | instskip(SKIP_4) | instid1(VALU_DEP_1)
	v_mov_b32_e32 v71, v67
	ds_load_2addr_b64 v[66:69], v168 offset0:51 offset1:52
	v_pk_add_f32 v[218:219], v[218:219], v[70:71] neg_lo:[0,1] neg_hi:[0,1]
	s_wait_dscnt 0x0
	v_pk_mul_f32 v[70:71], v[66:67], v[52:53] op_sel:[0,1]
	v_pk_fma_f32 v[72:73], v[66:67], v[50:51], v[70:71] op_sel:[0,0,1] op_sel_hi:[1,1,0] neg_lo:[0,0,1] neg_hi:[0,0,1]
	v_pk_fma_f32 v[66:67], v[66:67], v[50:51], v[70:71] op_sel:[0,0,1] op_sel_hi:[1,0,0]
	v_dual_mul_f32 v70, v69, v53 :: v_dual_mov_b32 v66, v69
	s_delay_alu instid0(VALU_DEP_2) | instskip(NEXT) | instid1(VALU_DEP_2)
	v_dual_mov_b32 v73, v67 :: v_dual_mov_b32 v67, v68
	v_pk_fma_f32 v[70:71], v[68:69], v[130:131], v[70:71] op_sel_hi:[1,1,0] neg_lo:[0,0,1] neg_hi:[0,0,1]
	v_mul_f32_e32 v68, v69, v50
	s_delay_alu instid0(VALU_DEP_3) | instskip(NEXT) | instid1(VALU_DEP_2)
	v_pk_add_f32 v[212:213], v[212:213], v[72:73] neg_lo:[0,1] neg_hi:[0,1]
	v_pk_fma_f32 v[66:67], v[66:67], v[130:131], v[68:69] op_sel_hi:[1,1,0]
	s_delay_alu instid0(VALU_DEP_1) | instskip(SKIP_4) | instid1(VALU_DEP_1)
	v_mov_b32_e32 v71, v67
	ds_load_2addr_b64 v[66:69], v168 offset0:53 offset1:54
	v_pk_add_f32 v[216:217], v[216:217], v[70:71] neg_lo:[0,1] neg_hi:[0,1]
	s_wait_dscnt 0x0
	v_pk_mul_f32 v[70:71], v[66:67], v[52:53] op_sel:[0,1]
	v_pk_fma_f32 v[72:73], v[66:67], v[50:51], v[70:71] op_sel:[0,0,1] op_sel_hi:[1,1,0] neg_lo:[0,0,1] neg_hi:[0,0,1]
	v_pk_fma_f32 v[66:67], v[66:67], v[50:51], v[70:71] op_sel:[0,0,1] op_sel_hi:[1,0,0]
	s_delay_alu instid0(VALU_DEP_1) | instskip(SKIP_1) | instid1(VALU_DEP_1)
	v_mov_b32_e32 v73, v67
	v_pk_mul_f32 v[66:67], v[68:69], v[52:53] op_sel:[0,1]
	v_pk_fma_f32 v[70:71], v[68:69], v[50:51], v[66:67] op_sel:[0,0,1] op_sel_hi:[1,1,0] neg_lo:[0,0,1] neg_hi:[0,0,1]
	v_pk_fma_f32 v[66:67], v[68:69], v[50:51], v[66:67] op_sel:[0,0,1] op_sel_hi:[1,0,0]
	s_delay_alu instid0(VALU_DEP_1)
	v_mov_b32_e32 v71, v67
	ds_load_b64 v[66:67], v168 offset:440
	v_pk_add_f32 v[210:211], v[210:211], v[72:73] neg_lo:[0,1] neg_hi:[0,1]
	v_pk_add_f32 v[222:223], v[222:223], v[70:71] neg_lo:[0,1] neg_hi:[0,1]
	s_wait_dscnt 0x0
	v_pk_mul_f32 v[52:53], v[66:67], v[52:53] op_sel:[0,1]
	s_delay_alu instid0(VALU_DEP_1) | instskip(SKIP_1) | instid1(VALU_DEP_1)
	v_pk_fma_f32 v[68:69], v[66:67], v[50:51], v[52:53] op_sel:[0,0,1] op_sel_hi:[1,1,0] neg_lo:[0,0,1] neg_hi:[0,0,1]
	v_pk_fma_f32 v[50:51], v[66:67], v[50:51], v[52:53] op_sel:[0,0,1] op_sel_hi:[1,0,0]
	v_mov_b32_e32 v69, v51
	s_delay_alu instid0(VALU_DEP_1)
	v_pk_add_f32 v[224:225], v[224:225], v[68:69] neg_lo:[0,1] neg_hi:[0,1]
.LBB111_262:
	s_or_b32 exec_lo, exec_lo, s1
	s_delay_alu instid0(SALU_CYCLE_1)
	s_mov_b32 s2, exec_lo
	s_wait_dscnt 0x0
	s_barrier_signal -1
	s_barrier_wait -1
	v_cmpx_eq_u32_e32 29, v166
	s_cbranch_execz .LBB111_269
; %bb.263:
	v_dual_mov_b32 v50, v128 :: v_dual_mov_b32 v51, v129
	v_dual_mov_b32 v52, v124 :: v_dual_mov_b32 v53, v125
	ds_store_b64 v167, v[126:127]
	ds_store_2addr_b64 v168, v[50:51], v[52:53] offset0:30 offset1:31
	v_dual_mov_b32 v50, v146 :: v_dual_mov_b32 v51, v147
	v_dual_mov_b32 v52, v142 :: v_dual_mov_b32 v53, v143
	ds_store_2addr_b64 v168, v[50:51], v[52:53] offset0:32 offset1:33
	v_dual_mov_b32 v50, v144 :: v_dual_mov_b32 v51, v145
	v_dual_mov_b32 v52, v140 :: v_dual_mov_b32 v53, v141
	;; [unrolled: 3-line block ×11, first 2 shown]
	ds_store_2addr_b64 v168, v[50:51], v[52:53] offset0:52 offset1:53
	v_dual_mov_b32 v50, v222 :: v_dual_mov_b32 v51, v223
	ds_store_2addr_b64 v168, v[50:51], v[224:225] offset0:54 offset1:55
	ds_load_b64 v[50:51], v167
	s_wait_dscnt 0x0
	v_cmp_neq_f32_e32 vcc_lo, 0, v50
	v_cmp_neq_f32_e64 s1, 0, v51
	s_or_b32 s1, vcc_lo, s1
	s_delay_alu instid0(SALU_CYCLE_1)
	s_and_b32 exec_lo, exec_lo, s1
	s_cbranch_execz .LBB111_269
; %bb.264:
	v_cmp_ngt_f32_e64 s1, |v50|, |v51|
                                        ; implicit-def: $vgpr52_vgpr53
	s_and_saveexec_b32 s4, s1
	s_delay_alu instid0(SALU_CYCLE_1)
	s_xor_b32 s1, exec_lo, s4
	s_cbranch_execz .LBB111_266
; %bb.265:
	v_div_scale_f32 v52, null, v51, v51, v50
	v_div_scale_f32 v67, vcc_lo, v50, v51, v50
	s_delay_alu instid0(VALU_DEP_2) | instskip(SKIP_1) | instid1(TRANS32_DEP_1)
	v_rcp_f32_e32 v53, v52
	v_nop
	v_fma_f32 v66, -v52, v53, 1.0
	s_delay_alu instid0(VALU_DEP_1) | instskip(NEXT) | instid1(VALU_DEP_1)
	v_fmac_f32_e32 v53, v66, v53
	v_mul_f32_e32 v66, v67, v53
	s_delay_alu instid0(VALU_DEP_1) | instskip(NEXT) | instid1(VALU_DEP_1)
	v_fma_f32 v68, -v52, v66, v67
	v_fmac_f32_e32 v66, v68, v53
	s_delay_alu instid0(VALU_DEP_1) | instskip(NEXT) | instid1(VALU_DEP_1)
	v_fma_f32 v52, -v52, v66, v67
	v_div_fmas_f32 v52, v52, v53, v66
	s_delay_alu instid0(VALU_DEP_1) | instskip(NEXT) | instid1(VALU_DEP_1)
	v_div_fixup_f32 v52, v52, v51, v50
	v_fmac_f32_e32 v51, v50, v52
	s_delay_alu instid0(VALU_DEP_1) | instskip(SKIP_1) | instid1(VALU_DEP_2)
	v_div_scale_f32 v50, null, v51, v51, 1.0
	v_div_scale_f32 v67, vcc_lo, 1.0, v51, 1.0
	v_rcp_f32_e32 v53, v50
	v_nop
	s_delay_alu instid0(TRANS32_DEP_1) | instskip(NEXT) | instid1(VALU_DEP_1)
	v_fma_f32 v66, -v50, v53, 1.0
	v_fmac_f32_e32 v53, v66, v53
	s_delay_alu instid0(VALU_DEP_1) | instskip(NEXT) | instid1(VALU_DEP_1)
	v_mul_f32_e32 v66, v67, v53
	v_fma_f32 v68, -v50, v66, v67
	s_delay_alu instid0(VALU_DEP_1) | instskip(NEXT) | instid1(VALU_DEP_1)
	v_fmac_f32_e32 v66, v68, v53
	v_fma_f32 v50, -v50, v66, v67
	s_delay_alu instid0(VALU_DEP_1) | instskip(NEXT) | instid1(VALU_DEP_1)
	v_div_fmas_f32 v50, v50, v53, v66
	v_div_fixup_f32 v50, v50, v51, 1.0
	s_delay_alu instid0(VALU_DEP_1)
	v_mul_f32_e32 v52, v52, v50
	v_xor_b32_e32 v53, 0x80000000, v50
                                        ; implicit-def: $vgpr50_vgpr51
.LBB111_266:
	s_and_not1_saveexec_b32 s1, s1
	s_cbranch_execz .LBB111_268
; %bb.267:
	v_div_scale_f32 v52, null, v50, v50, v51
	v_div_scale_f32 v67, vcc_lo, v51, v50, v51
	s_delay_alu instid0(VALU_DEP_2) | instskip(SKIP_1) | instid1(TRANS32_DEP_1)
	v_rcp_f32_e32 v53, v52
	v_nop
	v_fma_f32 v66, -v52, v53, 1.0
	s_delay_alu instid0(VALU_DEP_1) | instskip(NEXT) | instid1(VALU_DEP_1)
	v_fmac_f32_e32 v53, v66, v53
	v_mul_f32_e32 v66, v67, v53
	s_delay_alu instid0(VALU_DEP_1) | instskip(NEXT) | instid1(VALU_DEP_1)
	v_fma_f32 v68, -v52, v66, v67
	v_fmac_f32_e32 v66, v68, v53
	s_delay_alu instid0(VALU_DEP_1) | instskip(NEXT) | instid1(VALU_DEP_1)
	v_fma_f32 v52, -v52, v66, v67
	v_div_fmas_f32 v52, v52, v53, v66
	s_delay_alu instid0(VALU_DEP_1) | instskip(NEXT) | instid1(VALU_DEP_1)
	v_div_fixup_f32 v53, v52, v50, v51
	v_fmac_f32_e32 v50, v51, v53
	s_delay_alu instid0(VALU_DEP_1) | instskip(NEXT) | instid1(VALU_DEP_1)
	v_div_scale_f32 v51, null, v50, v50, 1.0
	v_rcp_f32_e32 v52, v51
	v_nop
	s_delay_alu instid0(TRANS32_DEP_1) | instskip(NEXT) | instid1(VALU_DEP_1)
	v_fma_f32 v66, -v51, v52, 1.0
	v_fmac_f32_e32 v52, v66, v52
	v_div_scale_f32 v66, vcc_lo, 1.0, v50, 1.0
	s_delay_alu instid0(VALU_DEP_1) | instskip(NEXT) | instid1(VALU_DEP_1)
	v_mul_f32_e32 v67, v66, v52
	v_fma_f32 v68, -v51, v67, v66
	s_delay_alu instid0(VALU_DEP_1) | instskip(NEXT) | instid1(VALU_DEP_1)
	v_fmac_f32_e32 v67, v68, v52
	v_fma_f32 v51, -v51, v67, v66
	s_delay_alu instid0(VALU_DEP_1) | instskip(NEXT) | instid1(VALU_DEP_1)
	v_div_fmas_f32 v51, v51, v52, v67
	v_div_fixup_f32 v52, v51, v50, 1.0
	s_delay_alu instid0(VALU_DEP_1)
	v_mul_f32_e64 v53, v53, -v52
.LBB111_268:
	s_or_b32 exec_lo, exec_lo, s1
	ds_store_b64 v167, v[52:53]
.LBB111_269:
	s_or_b32 exec_lo, exec_lo, s2
	s_wait_dscnt 0x0
	s_barrier_signal -1
	s_barrier_wait -1
	ds_load_b64 v[50:51], v167
	s_mov_b32 s1, exec_lo
	v_cmpx_lt_u32_e32 29, v166
	s_cbranch_execz .LBB111_271
; %bb.270:
	ds_load_2addr_b64 v[68:71], v168 offset0:30 offset1:31
	s_wait_dscnt 0x1
	v_pk_mul_f32 v[66:67], v[50:51], v[126:127] op_sel:[1,1] op_sel_hi:[0,1]
	s_delay_alu instid0(VALU_DEP_1) | instskip(SKIP_1) | instid1(VALU_DEP_1)
	v_pk_fma_f32 v[52:53], v[50:51], v[126:127], v[66:67] op_sel_hi:[1,0,1] neg_lo:[0,0,1] neg_hi:[0,0,1]
	v_pk_fma_f32 v[66:67], v[50:51], v[126:127], v[66:67] op_sel_hi:[1,0,1]
	v_dual_mov_b32 v126, v52 :: v_dual_mov_b32 v127, v67
	s_wait_dscnt 0x0
	s_delay_alu instid0(VALU_DEP_2) | instskip(NEXT) | instid1(VALU_DEP_1)
	v_pk_mul_f32 v[72:73], v[68:69], v[66:67] op_sel:[0,1]
	v_pk_fma_f32 v[82:83], v[68:69], v[52:53], v[72:73] op_sel:[0,0,1] op_sel_hi:[1,1,0] neg_lo:[0,0,1] neg_hi:[0,0,1]
	v_pk_fma_f32 v[68:69], v[68:69], v[52:53], v[72:73] op_sel:[0,0,1] op_sel_hi:[1,0,0]
	s_delay_alu instid0(VALU_DEP_1) | instskip(SKIP_1) | instid1(VALU_DEP_1)
	v_mov_b32_e32 v83, v69
	v_pk_mul_f32 v[68:69], v[70:71], v[66:67] op_sel:[0,1]
	v_pk_fma_f32 v[72:73], v[70:71], v[52:53], v[68:69] op_sel:[0,0,1] op_sel_hi:[1,1,0] neg_lo:[0,0,1] neg_hi:[0,0,1]
	v_pk_fma_f32 v[68:69], v[70:71], v[52:53], v[68:69] op_sel:[0,0,1] op_sel_hi:[1,0,0]
	s_delay_alu instid0(VALU_DEP_1)
	v_mov_b32_e32 v73, v69
	ds_load_2addr_b64 v[68:71], v168 offset0:32 offset1:33
	v_pk_add_f32 v[128:129], v[128:129], v[82:83] neg_lo:[0,1] neg_hi:[0,1]
	v_pk_add_f32 v[124:125], v[124:125], v[72:73] neg_lo:[0,1] neg_hi:[0,1]
	s_wait_dscnt 0x0
	v_pk_mul_f32 v[72:73], v[68:69], v[66:67] op_sel:[0,1]
	s_delay_alu instid0(VALU_DEP_1) | instskip(SKIP_2) | instid1(VALU_DEP_2)
	v_pk_fma_f32 v[82:83], v[68:69], v[52:53], v[72:73] op_sel:[0,0,1] op_sel_hi:[1,1,0] neg_lo:[0,0,1] neg_hi:[0,0,1]
	v_pk_fma_f32 v[68:69], v[68:69], v[52:53], v[72:73] op_sel:[0,0,1] op_sel_hi:[1,0,0]
	v_dual_mul_f32 v72, v71, v67 :: v_dual_mov_b32 v68, v71
	v_dual_mov_b32 v83, v69 :: v_dual_mov_b32 v69, v70
	s_delay_alu instid0(VALU_DEP_2) | instskip(SKIP_1) | instid1(VALU_DEP_3)
	v_pk_fma_f32 v[72:73], v[70:71], v[126:127], v[72:73] op_sel_hi:[1,1,0] neg_lo:[0,0,1] neg_hi:[0,0,1]
	v_mul_f32_e32 v70, v71, v52
	v_pk_add_f32 v[146:147], v[146:147], v[82:83] neg_lo:[0,1] neg_hi:[0,1]
	s_delay_alu instid0(VALU_DEP_2) | instskip(NEXT) | instid1(VALU_DEP_1)
	v_pk_fma_f32 v[68:69], v[68:69], v[126:127], v[70:71] op_sel_hi:[1,1,0]
	v_mov_b32_e32 v73, v69
	ds_load_2addr_b64 v[68:71], v168 offset0:34 offset1:35
	v_pk_add_f32 v[142:143], v[142:143], v[72:73] neg_lo:[0,1] neg_hi:[0,1]
	s_wait_dscnt 0x0
	v_pk_mul_f32 v[72:73], v[68:69], v[66:67] op_sel:[0,1]
	s_delay_alu instid0(VALU_DEP_1) | instskip(SKIP_1) | instid1(VALU_DEP_1)
	v_pk_fma_f32 v[82:83], v[68:69], v[52:53], v[72:73] op_sel:[0,0,1] op_sel_hi:[1,1,0] neg_lo:[0,0,1] neg_hi:[0,0,1]
	v_pk_fma_f32 v[68:69], v[68:69], v[52:53], v[72:73] op_sel:[0,0,1] op_sel_hi:[1,0,0]
	v_mov_b32_e32 v83, v69
	v_pk_mul_f32 v[68:69], v[70:71], v[66:67] op_sel:[0,1]
	s_delay_alu instid0(VALU_DEP_1) | instskip(SKIP_1) | instid1(VALU_DEP_1)
	v_pk_fma_f32 v[72:73], v[70:71], v[52:53], v[68:69] op_sel:[0,0,1] op_sel_hi:[1,1,0] neg_lo:[0,0,1] neg_hi:[0,0,1]
	v_pk_fma_f32 v[68:69], v[70:71], v[52:53], v[68:69] op_sel:[0,0,1] op_sel_hi:[1,0,0]
	v_mov_b32_e32 v73, v69
	ds_load_2addr_b64 v[68:71], v168 offset0:36 offset1:37
	v_pk_add_f32 v[144:145], v[144:145], v[82:83] neg_lo:[0,1] neg_hi:[0,1]
	v_pk_add_f32 v[140:141], v[140:141], v[72:73] neg_lo:[0,1] neg_hi:[0,1]
	s_wait_dscnt 0x0
	v_pk_mul_f32 v[72:73], v[68:69], v[66:67] op_sel:[0,1]
	s_delay_alu instid0(VALU_DEP_1) | instskip(SKIP_1) | instid1(VALU_DEP_1)
	v_pk_fma_f32 v[82:83], v[68:69], v[52:53], v[72:73] op_sel:[0,0,1] op_sel_hi:[1,1,0] neg_lo:[0,0,1] neg_hi:[0,0,1]
	v_pk_fma_f32 v[68:69], v[68:69], v[52:53], v[72:73] op_sel:[0,0,1] op_sel_hi:[1,0,0]
	v_mov_b32_e32 v83, v69
	v_pk_mul_f32 v[68:69], v[70:71], v[66:67] op_sel:[0,1]
	s_delay_alu instid0(VALU_DEP_1) | instskip(SKIP_1) | instid1(VALU_DEP_1)
	v_pk_fma_f32 v[72:73], v[70:71], v[52:53], v[68:69] op_sel:[0,0,1] op_sel_hi:[1,1,0] neg_lo:[0,0,1] neg_hi:[0,0,1]
	v_pk_fma_f32 v[68:69], v[70:71], v[52:53], v[68:69] op_sel:[0,0,1] op_sel_hi:[1,0,0]
	v_mov_b32_e32 v73, v69
	ds_load_2addr_b64 v[68:71], v168 offset0:38 offset1:39
	v_pk_add_f32 v[162:163], v[162:163], v[82:83] neg_lo:[0,1] neg_hi:[0,1]
	v_pk_add_f32 v[158:159], v[158:159], v[72:73] neg_lo:[0,1] neg_hi:[0,1]
	s_wait_dscnt 0x0
	v_dual_mul_f32 v72, v69, v67 :: v_dual_mul_f32 v82, v69, v52
	s_delay_alu instid0(VALU_DEP_1) | instskip(NEXT) | instid1(VALU_DEP_2)
	v_pk_fma_f32 v[72:73], v[68:69], v[126:127], v[72:73] op_sel_hi:[1,1,0] neg_lo:[0,0,1] neg_hi:[0,0,1]
	v_pk_fma_f32 v[68:69], v[68:69], v[126:127], v[82:83] op_sel:[1,0,0] op_sel_hi:[0,1,0]
	s_delay_alu instid0(VALU_DEP_1) | instskip(SKIP_1) | instid1(VALU_DEP_2)
	v_mov_b32_e32 v73, v69
	v_pk_mul_f32 v[68:69], v[70:71], v[66:67] op_sel:[0,1]
	v_pk_add_f32 v[160:161], v[160:161], v[72:73] neg_lo:[0,1] neg_hi:[0,1]
	s_delay_alu instid0(VALU_DEP_2) | instskip(SKIP_1) | instid1(VALU_DEP_1)
	v_pk_fma_f32 v[72:73], v[70:71], v[52:53], v[68:69] op_sel:[0,0,1] op_sel_hi:[1,1,0] neg_lo:[0,0,1] neg_hi:[0,0,1]
	v_pk_fma_f32 v[68:69], v[70:71], v[52:53], v[68:69] op_sel:[0,0,1] op_sel_hi:[1,0,0]
	v_mov_b32_e32 v73, v69
	ds_load_2addr_b64 v[68:71], v168 offset0:40 offset1:41
	v_pk_add_f32 v[156:157], v[156:157], v[72:73] neg_lo:[0,1] neg_hi:[0,1]
	s_wait_dscnt 0x0
	v_pk_mul_f32 v[72:73], v[68:69], v[66:67] op_sel:[0,1]
	s_delay_alu instid0(VALU_DEP_1) | instskip(SKIP_1) | instid1(VALU_DEP_1)
	v_pk_fma_f32 v[82:83], v[68:69], v[52:53], v[72:73] op_sel:[0,0,1] op_sel_hi:[1,1,0] neg_lo:[0,0,1] neg_hi:[0,0,1]
	v_pk_fma_f32 v[68:69], v[68:69], v[52:53], v[72:73] op_sel:[0,0,1] op_sel_hi:[1,0,0]
	v_mov_b32_e32 v83, v69
	v_pk_mul_f32 v[68:69], v[70:71], v[66:67] op_sel:[0,1]
	s_delay_alu instid0(VALU_DEP_2) | instskip(NEXT) | instid1(VALU_DEP_2)
	v_pk_add_f32 v[178:179], v[178:179], v[82:83] neg_lo:[0,1] neg_hi:[0,1]
	v_pk_fma_f32 v[72:73], v[70:71], v[52:53], v[68:69] op_sel:[0,0,1] op_sel_hi:[1,1,0] neg_lo:[0,0,1] neg_hi:[0,0,1]
	v_pk_fma_f32 v[68:69], v[70:71], v[52:53], v[68:69] op_sel:[0,0,1] op_sel_hi:[1,0,0]
	s_delay_alu instid0(VALU_DEP_1) | instskip(SKIP_4) | instid1(VALU_DEP_1)
	v_mov_b32_e32 v73, v69
	ds_load_2addr_b64 v[68:71], v168 offset0:42 offset1:43
	v_pk_add_f32 v[174:175], v[174:175], v[72:73] neg_lo:[0,1] neg_hi:[0,1]
	s_wait_dscnt 0x0
	v_pk_mul_f32 v[72:73], v[68:69], v[66:67] op_sel:[0,1]
	v_pk_fma_f32 v[82:83], v[68:69], v[52:53], v[72:73] op_sel:[0,0,1] op_sel_hi:[1,1,0] neg_lo:[0,0,1] neg_hi:[0,0,1]
	v_pk_fma_f32 v[68:69], v[68:69], v[52:53], v[72:73] op_sel:[0,0,1] op_sel_hi:[1,0,0]
	v_dual_mul_f32 v72, v71, v67 :: v_dual_mov_b32 v68, v71
	s_delay_alu instid0(VALU_DEP_2) | instskip(NEXT) | instid1(VALU_DEP_2)
	v_dual_mov_b32 v83, v69 :: v_dual_mov_b32 v69, v70
	v_pk_fma_f32 v[72:73], v[70:71], v[126:127], v[72:73] op_sel_hi:[1,1,0] neg_lo:[0,0,1] neg_hi:[0,0,1]
	v_mul_f32_e32 v70, v71, v52
	s_delay_alu instid0(VALU_DEP_3) | instskip(NEXT) | instid1(VALU_DEP_2)
	v_pk_add_f32 v[176:177], v[176:177], v[82:83] neg_lo:[0,1] neg_hi:[0,1]
	v_pk_fma_f32 v[68:69], v[68:69], v[126:127], v[70:71] op_sel_hi:[1,1,0]
	s_delay_alu instid0(VALU_DEP_1) | instskip(SKIP_4) | instid1(VALU_DEP_1)
	v_mov_b32_e32 v73, v69
	ds_load_2addr_b64 v[68:71], v168 offset0:44 offset1:45
	v_pk_add_f32 v[172:173], v[172:173], v[72:73] neg_lo:[0,1] neg_hi:[0,1]
	s_wait_dscnt 0x0
	v_pk_mul_f32 v[72:73], v[68:69], v[66:67] op_sel:[0,1]
	v_pk_fma_f32 v[82:83], v[68:69], v[52:53], v[72:73] op_sel:[0,0,1] op_sel_hi:[1,1,0] neg_lo:[0,0,1] neg_hi:[0,0,1]
	v_pk_fma_f32 v[68:69], v[68:69], v[52:53], v[72:73] op_sel:[0,0,1] op_sel_hi:[1,0,0]
	s_delay_alu instid0(VALU_DEP_1) | instskip(SKIP_1) | instid1(VALU_DEP_1)
	v_mov_b32_e32 v83, v69
	v_pk_mul_f32 v[68:69], v[70:71], v[66:67] op_sel:[0,1]
	v_pk_fma_f32 v[72:73], v[70:71], v[52:53], v[68:69] op_sel:[0,0,1] op_sel_hi:[1,1,0] neg_lo:[0,0,1] neg_hi:[0,0,1]
	v_pk_fma_f32 v[68:69], v[70:71], v[52:53], v[68:69] op_sel:[0,0,1] op_sel_hi:[1,0,0]
	s_delay_alu instid0(VALU_DEP_1)
	v_mov_b32_e32 v73, v69
	ds_load_2addr_b64 v[68:71], v168 offset0:46 offset1:47
	v_pk_add_f32 v[198:199], v[198:199], v[82:83] neg_lo:[0,1] neg_hi:[0,1]
	v_pk_add_f32 v[194:195], v[194:195], v[72:73] neg_lo:[0,1] neg_hi:[0,1]
	s_wait_dscnt 0x0
	v_pk_mul_f32 v[72:73], v[68:69], v[66:67] op_sel:[0,1]
	s_delay_alu instid0(VALU_DEP_1) | instskip(SKIP_1) | instid1(VALU_DEP_1)
	v_pk_fma_f32 v[82:83], v[68:69], v[52:53], v[72:73] op_sel:[0,0,1] op_sel_hi:[1,1,0] neg_lo:[0,0,1] neg_hi:[0,0,1]
	v_pk_fma_f32 v[68:69], v[68:69], v[52:53], v[72:73] op_sel:[0,0,1] op_sel_hi:[1,0,0]
	v_mov_b32_e32 v83, v69
	v_pk_mul_f32 v[68:69], v[70:71], v[66:67] op_sel:[0,1]
	s_delay_alu instid0(VALU_DEP_1) | instskip(SKIP_1) | instid1(VALU_DEP_1)
	v_pk_fma_f32 v[72:73], v[70:71], v[52:53], v[68:69] op_sel:[0,0,1] op_sel_hi:[1,1,0] neg_lo:[0,0,1] neg_hi:[0,0,1]
	v_pk_fma_f32 v[68:69], v[70:71], v[52:53], v[68:69] op_sel:[0,0,1] op_sel_hi:[1,0,0]
	v_mov_b32_e32 v73, v69
	ds_load_2addr_b64 v[68:71], v168 offset0:48 offset1:49
	v_pk_add_f32 v[196:197], v[196:197], v[82:83] neg_lo:[0,1] neg_hi:[0,1]
	v_pk_add_f32 v[192:193], v[192:193], v[72:73] neg_lo:[0,1] neg_hi:[0,1]
	s_wait_dscnt 0x0
	v_dual_mul_f32 v72, v69, v67 :: v_dual_mul_f32 v82, v69, v52
	s_delay_alu instid0(VALU_DEP_1) | instskip(NEXT) | instid1(VALU_DEP_2)
	v_pk_fma_f32 v[72:73], v[68:69], v[126:127], v[72:73] op_sel_hi:[1,1,0] neg_lo:[0,0,1] neg_hi:[0,0,1]
	v_pk_fma_f32 v[68:69], v[68:69], v[126:127], v[82:83] op_sel:[1,0,0] op_sel_hi:[0,1,0]
	s_delay_alu instid0(VALU_DEP_1) | instskip(SKIP_1) | instid1(VALU_DEP_2)
	v_mov_b32_e32 v73, v69
	v_pk_mul_f32 v[68:69], v[70:71], v[66:67] op_sel:[0,1]
	v_pk_add_f32 v[220:221], v[220:221], v[72:73] neg_lo:[0,1] neg_hi:[0,1]
	s_delay_alu instid0(VALU_DEP_2) | instskip(SKIP_1) | instid1(VALU_DEP_1)
	v_pk_fma_f32 v[72:73], v[70:71], v[52:53], v[68:69] op_sel:[0,0,1] op_sel_hi:[1,1,0] neg_lo:[0,0,1] neg_hi:[0,0,1]
	v_pk_fma_f32 v[68:69], v[70:71], v[52:53], v[68:69] op_sel:[0,0,1] op_sel_hi:[1,0,0]
	v_mov_b32_e32 v73, v69
	ds_load_2addr_b64 v[68:71], v168 offset0:50 offset1:51
	v_pk_add_f32 v[214:215], v[214:215], v[72:73] neg_lo:[0,1] neg_hi:[0,1]
	s_wait_dscnt 0x0
	v_pk_mul_f32 v[72:73], v[68:69], v[66:67] op_sel:[0,1]
	s_delay_alu instid0(VALU_DEP_1) | instskip(SKIP_1) | instid1(VALU_DEP_1)
	v_pk_fma_f32 v[82:83], v[68:69], v[52:53], v[72:73] op_sel:[0,0,1] op_sel_hi:[1,1,0] neg_lo:[0,0,1] neg_hi:[0,0,1]
	v_pk_fma_f32 v[68:69], v[68:69], v[52:53], v[72:73] op_sel:[0,0,1] op_sel_hi:[1,0,0]
	v_mov_b32_e32 v83, v69
	v_pk_mul_f32 v[68:69], v[70:71], v[66:67] op_sel:[0,1]
	s_delay_alu instid0(VALU_DEP_2) | instskip(NEXT) | instid1(VALU_DEP_2)
	v_pk_add_f32 v[218:219], v[218:219], v[82:83] neg_lo:[0,1] neg_hi:[0,1]
	v_pk_fma_f32 v[72:73], v[70:71], v[52:53], v[68:69] op_sel:[0,0,1] op_sel_hi:[1,1,0] neg_lo:[0,0,1] neg_hi:[0,0,1]
	v_pk_fma_f32 v[68:69], v[70:71], v[52:53], v[68:69] op_sel:[0,0,1] op_sel_hi:[1,0,0]
	s_delay_alu instid0(VALU_DEP_1) | instskip(SKIP_4) | instid1(VALU_DEP_1)
	v_mov_b32_e32 v73, v69
	ds_load_2addr_b64 v[68:71], v168 offset0:52 offset1:53
	v_pk_add_f32 v[212:213], v[212:213], v[72:73] neg_lo:[0,1] neg_hi:[0,1]
	s_wait_dscnt 0x0
	v_pk_mul_f32 v[72:73], v[68:69], v[66:67] op_sel:[0,1]
	v_pk_fma_f32 v[82:83], v[68:69], v[52:53], v[72:73] op_sel:[0,0,1] op_sel_hi:[1,1,0] neg_lo:[0,0,1] neg_hi:[0,0,1]
	v_pk_fma_f32 v[68:69], v[68:69], v[52:53], v[72:73] op_sel:[0,0,1] op_sel_hi:[1,0,0]
	v_dual_mul_f32 v72, v71, v67 :: v_dual_mov_b32 v68, v71
	s_delay_alu instid0(VALU_DEP_2) | instskip(NEXT) | instid1(VALU_DEP_2)
	v_dual_mov_b32 v83, v69 :: v_dual_mov_b32 v69, v70
	v_pk_fma_f32 v[72:73], v[70:71], v[126:127], v[72:73] op_sel_hi:[1,1,0] neg_lo:[0,0,1] neg_hi:[0,0,1]
	v_mul_f32_e32 v70, v71, v52
	s_delay_alu instid0(VALU_DEP_3) | instskip(NEXT) | instid1(VALU_DEP_2)
	v_pk_add_f32 v[216:217], v[216:217], v[82:83] neg_lo:[0,1] neg_hi:[0,1]
	v_pk_fma_f32 v[68:69], v[68:69], v[126:127], v[70:71] op_sel_hi:[1,1,0]
	s_delay_alu instid0(VALU_DEP_1)
	v_mov_b32_e32 v73, v69
	ds_load_2addr_b64 v[68:71], v168 offset0:54 offset1:55
	v_pk_add_f32 v[210:211], v[210:211], v[72:73] neg_lo:[0,1] neg_hi:[0,1]
	s_wait_dscnt 0x0
	v_pk_mul_f32 v[72:73], v[68:69], v[66:67] op_sel:[0,1]
	v_pk_mul_f32 v[66:67], v[70:71], v[66:67] op_sel:[0,1]
	s_delay_alu instid0(VALU_DEP_2) | instskip(SKIP_1) | instid1(VALU_DEP_1)
	v_pk_fma_f32 v[82:83], v[68:69], v[52:53], v[72:73] op_sel:[0,0,1] op_sel_hi:[1,1,0] neg_lo:[0,0,1] neg_hi:[0,0,1]
	v_pk_fma_f32 v[68:69], v[68:69], v[52:53], v[72:73] op_sel:[0,0,1] op_sel_hi:[1,0,0]
	v_mov_b32_e32 v83, v69
	s_delay_alu instid0(VALU_DEP_4) | instskip(SKIP_1) | instid1(VALU_DEP_1)
	v_pk_fma_f32 v[68:69], v[70:71], v[52:53], v[66:67] op_sel:[0,0,1] op_sel_hi:[1,1,0] neg_lo:[0,0,1] neg_hi:[0,0,1]
	v_pk_fma_f32 v[52:53], v[70:71], v[52:53], v[66:67] op_sel:[0,0,1] op_sel_hi:[1,0,0]
	v_mov_b32_e32 v69, v53
	s_delay_alu instid0(VALU_DEP_4) | instskip(NEXT) | instid1(VALU_DEP_2)
	v_pk_add_f32 v[222:223], v[222:223], v[82:83] neg_lo:[0,1] neg_hi:[0,1]
	v_pk_add_f32 v[224:225], v[224:225], v[68:69] neg_lo:[0,1] neg_hi:[0,1]
.LBB111_271:
	s_or_b32 exec_lo, exec_lo, s1
	s_delay_alu instid0(SALU_CYCLE_1)
	s_mov_b32 s2, exec_lo
	s_wait_dscnt 0x0
	s_barrier_signal -1
	s_barrier_wait -1
	v_cmpx_eq_u32_e32 30, v166
	s_cbranch_execz .LBB111_278
; %bb.272:
	ds_store_b64 v167, v[128:129]
	ds_store_2addr_b64 v168, v[124:125], v[146:147] offset0:31 offset1:32
	ds_store_2addr_b64 v168, v[142:143], v[144:145] offset0:33 offset1:34
	;; [unrolled: 1-line block ×12, first 2 shown]
	ds_store_b64 v168, v[224:225] offset:440
	ds_load_b64 v[52:53], v167
	s_wait_dscnt 0x0
	v_cmp_neq_f32_e32 vcc_lo, 0, v52
	v_cmp_neq_f32_e64 s1, 0, v53
	s_or_b32 s1, vcc_lo, s1
	s_delay_alu instid0(SALU_CYCLE_1)
	s_and_b32 exec_lo, exec_lo, s1
	s_cbranch_execz .LBB111_278
; %bb.273:
	v_cmp_ngt_f32_e64 s1, |v52|, |v53|
                                        ; implicit-def: $vgpr66_vgpr67
	s_and_saveexec_b32 s4, s1
	s_delay_alu instid0(SALU_CYCLE_1)
	s_xor_b32 s1, exec_lo, s4
	s_cbranch_execz .LBB111_275
; %bb.274:
	v_div_scale_f32 v66, null, v53, v53, v52
	v_div_scale_f32 v69, vcc_lo, v52, v53, v52
	s_delay_alu instid0(VALU_DEP_2) | instskip(SKIP_1) | instid1(TRANS32_DEP_1)
	v_rcp_f32_e32 v67, v66
	v_nop
	v_fma_f32 v68, -v66, v67, 1.0
	s_delay_alu instid0(VALU_DEP_1) | instskip(NEXT) | instid1(VALU_DEP_1)
	v_fmac_f32_e32 v67, v68, v67
	v_mul_f32_e32 v68, v69, v67
	s_delay_alu instid0(VALU_DEP_1) | instskip(NEXT) | instid1(VALU_DEP_1)
	v_fma_f32 v70, -v66, v68, v69
	v_fmac_f32_e32 v68, v70, v67
	s_delay_alu instid0(VALU_DEP_1) | instskip(NEXT) | instid1(VALU_DEP_1)
	v_fma_f32 v66, -v66, v68, v69
	v_div_fmas_f32 v66, v66, v67, v68
	s_delay_alu instid0(VALU_DEP_1) | instskip(NEXT) | instid1(VALU_DEP_1)
	v_div_fixup_f32 v66, v66, v53, v52
	v_fmac_f32_e32 v53, v52, v66
	s_delay_alu instid0(VALU_DEP_1) | instskip(SKIP_1) | instid1(VALU_DEP_2)
	v_div_scale_f32 v52, null, v53, v53, 1.0
	v_div_scale_f32 v69, vcc_lo, 1.0, v53, 1.0
	v_rcp_f32_e32 v67, v52
	v_nop
	s_delay_alu instid0(TRANS32_DEP_1) | instskip(NEXT) | instid1(VALU_DEP_1)
	v_fma_f32 v68, -v52, v67, 1.0
	v_fmac_f32_e32 v67, v68, v67
	s_delay_alu instid0(VALU_DEP_1) | instskip(NEXT) | instid1(VALU_DEP_1)
	v_mul_f32_e32 v68, v69, v67
	v_fma_f32 v70, -v52, v68, v69
	s_delay_alu instid0(VALU_DEP_1) | instskip(NEXT) | instid1(VALU_DEP_1)
	v_fmac_f32_e32 v68, v70, v67
	v_fma_f32 v52, -v52, v68, v69
	s_delay_alu instid0(VALU_DEP_1) | instskip(NEXT) | instid1(VALU_DEP_1)
	v_div_fmas_f32 v52, v52, v67, v68
	v_div_fixup_f32 v52, v52, v53, 1.0
	s_delay_alu instid0(VALU_DEP_1)
	v_mul_f32_e32 v66, v66, v52
	v_xor_b32_e32 v67, 0x80000000, v52
                                        ; implicit-def: $vgpr52_vgpr53
.LBB111_275:
	s_and_not1_saveexec_b32 s1, s1
	s_cbranch_execz .LBB111_277
; %bb.276:
	v_div_scale_f32 v66, null, v52, v52, v53
	v_div_scale_f32 v69, vcc_lo, v53, v52, v53
	s_delay_alu instid0(VALU_DEP_2) | instskip(SKIP_1) | instid1(TRANS32_DEP_1)
	v_rcp_f32_e32 v67, v66
	v_nop
	v_fma_f32 v68, -v66, v67, 1.0
	s_delay_alu instid0(VALU_DEP_1) | instskip(NEXT) | instid1(VALU_DEP_1)
	v_fmac_f32_e32 v67, v68, v67
	v_mul_f32_e32 v68, v69, v67
	s_delay_alu instid0(VALU_DEP_1) | instskip(NEXT) | instid1(VALU_DEP_1)
	v_fma_f32 v70, -v66, v68, v69
	v_fmac_f32_e32 v68, v70, v67
	s_delay_alu instid0(VALU_DEP_1) | instskip(NEXT) | instid1(VALU_DEP_1)
	v_fma_f32 v66, -v66, v68, v69
	v_div_fmas_f32 v66, v66, v67, v68
	s_delay_alu instid0(VALU_DEP_1) | instskip(NEXT) | instid1(VALU_DEP_1)
	v_div_fixup_f32 v67, v66, v52, v53
	v_fmac_f32_e32 v52, v53, v67
	s_delay_alu instid0(VALU_DEP_1) | instskip(NEXT) | instid1(VALU_DEP_1)
	v_div_scale_f32 v53, null, v52, v52, 1.0
	v_rcp_f32_e32 v66, v53
	v_nop
	s_delay_alu instid0(TRANS32_DEP_1) | instskip(NEXT) | instid1(VALU_DEP_1)
	v_fma_f32 v68, -v53, v66, 1.0
	v_fmac_f32_e32 v66, v68, v66
	v_div_scale_f32 v68, vcc_lo, 1.0, v52, 1.0
	s_delay_alu instid0(VALU_DEP_1) | instskip(NEXT) | instid1(VALU_DEP_1)
	v_mul_f32_e32 v69, v68, v66
	v_fma_f32 v70, -v53, v69, v68
	s_delay_alu instid0(VALU_DEP_1) | instskip(NEXT) | instid1(VALU_DEP_1)
	v_fmac_f32_e32 v69, v70, v66
	v_fma_f32 v53, -v53, v69, v68
	s_delay_alu instid0(VALU_DEP_1) | instskip(NEXT) | instid1(VALU_DEP_1)
	v_div_fmas_f32 v53, v53, v66, v69
	v_div_fixup_f32 v66, v53, v52, 1.0
	s_delay_alu instid0(VALU_DEP_1)
	v_mul_f32_e64 v67, v67, -v66
.LBB111_277:
	s_or_b32 exec_lo, exec_lo, s1
	ds_store_b64 v167, v[66:67]
.LBB111_278:
	s_or_b32 exec_lo, exec_lo, s2
	s_wait_dscnt 0x0
	s_barrier_signal -1
	s_barrier_wait -1
	ds_load_b64 v[52:53], v167
	s_mov_b32 s1, exec_lo
	v_cmpx_lt_u32_e32 30, v166
	s_cbranch_execz .LBB111_280
; %bb.279:
	ds_load_2addr_b64 v[70:73], v168 offset0:31 offset1:32
	s_wait_dscnt 0x1
	v_pk_mul_f32 v[68:69], v[52:53], v[128:129] op_sel:[1,1] op_sel_hi:[0,1]
	s_delay_alu instid0(VALU_DEP_1) | instskip(SKIP_1) | instid1(VALU_DEP_1)
	v_pk_fma_f32 v[66:67], v[52:53], v[128:129], v[68:69] op_sel_hi:[1,0,1] neg_lo:[0,0,1] neg_hi:[0,0,1]
	v_pk_fma_f32 v[68:69], v[52:53], v[128:129], v[68:69] op_sel_hi:[1,0,1]
	v_dual_mov_b32 v128, v66 :: v_dual_mov_b32 v129, v69
	s_wait_dscnt 0x0
	s_delay_alu instid0(VALU_DEP_2) | instskip(NEXT) | instid1(VALU_DEP_1)
	v_pk_mul_f32 v[82:83], v[70:71], v[68:69] op_sel:[0,1]
	v_pk_fma_f32 v[84:85], v[70:71], v[66:67], v[82:83] op_sel:[0,0,1] op_sel_hi:[1,1,0] neg_lo:[0,0,1] neg_hi:[0,0,1]
	v_pk_fma_f32 v[70:71], v[70:71], v[66:67], v[82:83] op_sel:[0,0,1] op_sel_hi:[1,0,0]
	s_delay_alu instid0(VALU_DEP_1) | instskip(SKIP_1) | instid1(VALU_DEP_1)
	v_mov_b32_e32 v85, v71
	v_pk_mul_f32 v[70:71], v[72:73], v[68:69] op_sel:[0,1]
	v_pk_fma_f32 v[82:83], v[72:73], v[66:67], v[70:71] op_sel:[0,0,1] op_sel_hi:[1,1,0] neg_lo:[0,0,1] neg_hi:[0,0,1]
	v_pk_fma_f32 v[70:71], v[72:73], v[66:67], v[70:71] op_sel:[0,0,1] op_sel_hi:[1,0,0]
	s_delay_alu instid0(VALU_DEP_1)
	v_mov_b32_e32 v83, v71
	ds_load_2addr_b64 v[70:73], v168 offset0:33 offset1:34
	v_pk_add_f32 v[124:125], v[124:125], v[84:85] neg_lo:[0,1] neg_hi:[0,1]
	v_pk_add_f32 v[146:147], v[146:147], v[82:83] neg_lo:[0,1] neg_hi:[0,1]
	s_wait_dscnt 0x0
	v_pk_mul_f32 v[82:83], v[70:71], v[68:69] op_sel:[0,1]
	s_delay_alu instid0(VALU_DEP_1) | instskip(SKIP_2) | instid1(VALU_DEP_2)
	v_pk_fma_f32 v[84:85], v[70:71], v[66:67], v[82:83] op_sel:[0,0,1] op_sel_hi:[1,1,0] neg_lo:[0,0,1] neg_hi:[0,0,1]
	v_pk_fma_f32 v[70:71], v[70:71], v[66:67], v[82:83] op_sel:[0,0,1] op_sel_hi:[1,0,0]
	v_dual_mul_f32 v82, v73, v69 :: v_dual_mov_b32 v70, v73
	v_dual_mov_b32 v85, v71 :: v_dual_mov_b32 v71, v72
	s_delay_alu instid0(VALU_DEP_2) | instskip(SKIP_1) | instid1(VALU_DEP_3)
	v_pk_fma_f32 v[82:83], v[72:73], v[128:129], v[82:83] op_sel_hi:[1,1,0] neg_lo:[0,0,1] neg_hi:[0,0,1]
	v_mul_f32_e32 v72, v73, v66
	v_pk_add_f32 v[142:143], v[142:143], v[84:85] neg_lo:[0,1] neg_hi:[0,1]
	s_delay_alu instid0(VALU_DEP_2) | instskip(NEXT) | instid1(VALU_DEP_1)
	v_pk_fma_f32 v[70:71], v[70:71], v[128:129], v[72:73] op_sel_hi:[1,1,0]
	v_mov_b32_e32 v83, v71
	ds_load_2addr_b64 v[70:73], v168 offset0:35 offset1:36
	v_pk_add_f32 v[144:145], v[144:145], v[82:83] neg_lo:[0,1] neg_hi:[0,1]
	s_wait_dscnt 0x0
	v_pk_mul_f32 v[82:83], v[70:71], v[68:69] op_sel:[0,1]
	s_delay_alu instid0(VALU_DEP_1) | instskip(SKIP_1) | instid1(VALU_DEP_1)
	v_pk_fma_f32 v[84:85], v[70:71], v[66:67], v[82:83] op_sel:[0,0,1] op_sel_hi:[1,1,0] neg_lo:[0,0,1] neg_hi:[0,0,1]
	v_pk_fma_f32 v[70:71], v[70:71], v[66:67], v[82:83] op_sel:[0,0,1] op_sel_hi:[1,0,0]
	v_mov_b32_e32 v85, v71
	v_pk_mul_f32 v[70:71], v[72:73], v[68:69] op_sel:[0,1]
	s_delay_alu instid0(VALU_DEP_1) | instskip(SKIP_1) | instid1(VALU_DEP_1)
	v_pk_fma_f32 v[82:83], v[72:73], v[66:67], v[70:71] op_sel:[0,0,1] op_sel_hi:[1,1,0] neg_lo:[0,0,1] neg_hi:[0,0,1]
	v_pk_fma_f32 v[70:71], v[72:73], v[66:67], v[70:71] op_sel:[0,0,1] op_sel_hi:[1,0,0]
	v_mov_b32_e32 v83, v71
	ds_load_2addr_b64 v[70:73], v168 offset0:37 offset1:38
	v_pk_add_f32 v[140:141], v[140:141], v[84:85] neg_lo:[0,1] neg_hi:[0,1]
	v_pk_add_f32 v[162:163], v[162:163], v[82:83] neg_lo:[0,1] neg_hi:[0,1]
	s_wait_dscnt 0x0
	v_pk_mul_f32 v[82:83], v[70:71], v[68:69] op_sel:[0,1]
	s_delay_alu instid0(VALU_DEP_1) | instskip(SKIP_1) | instid1(VALU_DEP_1)
	v_pk_fma_f32 v[84:85], v[70:71], v[66:67], v[82:83] op_sel:[0,0,1] op_sel_hi:[1,1,0] neg_lo:[0,0,1] neg_hi:[0,0,1]
	v_pk_fma_f32 v[70:71], v[70:71], v[66:67], v[82:83] op_sel:[0,0,1] op_sel_hi:[1,0,0]
	v_mov_b32_e32 v85, v71
	v_pk_mul_f32 v[70:71], v[72:73], v[68:69] op_sel:[0,1]
	s_delay_alu instid0(VALU_DEP_1) | instskip(SKIP_1) | instid1(VALU_DEP_1)
	v_pk_fma_f32 v[82:83], v[72:73], v[66:67], v[70:71] op_sel:[0,0,1] op_sel_hi:[1,1,0] neg_lo:[0,0,1] neg_hi:[0,0,1]
	v_pk_fma_f32 v[70:71], v[72:73], v[66:67], v[70:71] op_sel:[0,0,1] op_sel_hi:[1,0,0]
	v_mov_b32_e32 v83, v71
	ds_load_2addr_b64 v[70:73], v168 offset0:39 offset1:40
	v_pk_add_f32 v[158:159], v[158:159], v[84:85] neg_lo:[0,1] neg_hi:[0,1]
	v_pk_add_f32 v[160:161], v[160:161], v[82:83] neg_lo:[0,1] neg_hi:[0,1]
	s_wait_dscnt 0x0
	v_dual_mul_f32 v82, v71, v69 :: v_dual_mul_f32 v84, v71, v66
	s_delay_alu instid0(VALU_DEP_1) | instskip(NEXT) | instid1(VALU_DEP_2)
	v_pk_fma_f32 v[82:83], v[70:71], v[128:129], v[82:83] op_sel_hi:[1,1,0] neg_lo:[0,0,1] neg_hi:[0,0,1]
	v_pk_fma_f32 v[70:71], v[70:71], v[128:129], v[84:85] op_sel:[1,0,0] op_sel_hi:[0,1,0]
	s_delay_alu instid0(VALU_DEP_1) | instskip(SKIP_1) | instid1(VALU_DEP_2)
	v_mov_b32_e32 v83, v71
	v_pk_mul_f32 v[70:71], v[72:73], v[68:69] op_sel:[0,1]
	v_pk_add_f32 v[156:157], v[156:157], v[82:83] neg_lo:[0,1] neg_hi:[0,1]
	s_delay_alu instid0(VALU_DEP_2) | instskip(SKIP_1) | instid1(VALU_DEP_1)
	v_pk_fma_f32 v[82:83], v[72:73], v[66:67], v[70:71] op_sel:[0,0,1] op_sel_hi:[1,1,0] neg_lo:[0,0,1] neg_hi:[0,0,1]
	v_pk_fma_f32 v[70:71], v[72:73], v[66:67], v[70:71] op_sel:[0,0,1] op_sel_hi:[1,0,0]
	v_mov_b32_e32 v83, v71
	ds_load_2addr_b64 v[70:73], v168 offset0:41 offset1:42
	v_pk_add_f32 v[178:179], v[178:179], v[82:83] neg_lo:[0,1] neg_hi:[0,1]
	s_wait_dscnt 0x0
	v_pk_mul_f32 v[82:83], v[70:71], v[68:69] op_sel:[0,1]
	s_delay_alu instid0(VALU_DEP_1) | instskip(SKIP_1) | instid1(VALU_DEP_1)
	v_pk_fma_f32 v[84:85], v[70:71], v[66:67], v[82:83] op_sel:[0,0,1] op_sel_hi:[1,1,0] neg_lo:[0,0,1] neg_hi:[0,0,1]
	v_pk_fma_f32 v[70:71], v[70:71], v[66:67], v[82:83] op_sel:[0,0,1] op_sel_hi:[1,0,0]
	v_mov_b32_e32 v85, v71
	v_pk_mul_f32 v[70:71], v[72:73], v[68:69] op_sel:[0,1]
	s_delay_alu instid0(VALU_DEP_2) | instskip(NEXT) | instid1(VALU_DEP_2)
	v_pk_add_f32 v[174:175], v[174:175], v[84:85] neg_lo:[0,1] neg_hi:[0,1]
	v_pk_fma_f32 v[82:83], v[72:73], v[66:67], v[70:71] op_sel:[0,0,1] op_sel_hi:[1,1,0] neg_lo:[0,0,1] neg_hi:[0,0,1]
	v_pk_fma_f32 v[70:71], v[72:73], v[66:67], v[70:71] op_sel:[0,0,1] op_sel_hi:[1,0,0]
	s_delay_alu instid0(VALU_DEP_1) | instskip(SKIP_4) | instid1(VALU_DEP_1)
	v_mov_b32_e32 v83, v71
	ds_load_2addr_b64 v[70:73], v168 offset0:43 offset1:44
	v_pk_add_f32 v[176:177], v[176:177], v[82:83] neg_lo:[0,1] neg_hi:[0,1]
	s_wait_dscnt 0x0
	v_pk_mul_f32 v[82:83], v[70:71], v[68:69] op_sel:[0,1]
	v_pk_fma_f32 v[84:85], v[70:71], v[66:67], v[82:83] op_sel:[0,0,1] op_sel_hi:[1,1,0] neg_lo:[0,0,1] neg_hi:[0,0,1]
	v_pk_fma_f32 v[70:71], v[70:71], v[66:67], v[82:83] op_sel:[0,0,1] op_sel_hi:[1,0,0]
	v_dual_mul_f32 v82, v73, v69 :: v_dual_mov_b32 v70, v73
	s_delay_alu instid0(VALU_DEP_2) | instskip(NEXT) | instid1(VALU_DEP_2)
	v_dual_mov_b32 v85, v71 :: v_dual_mov_b32 v71, v72
	v_pk_fma_f32 v[82:83], v[72:73], v[128:129], v[82:83] op_sel_hi:[1,1,0] neg_lo:[0,0,1] neg_hi:[0,0,1]
	v_mul_f32_e32 v72, v73, v66
	s_delay_alu instid0(VALU_DEP_3) | instskip(NEXT) | instid1(VALU_DEP_2)
	v_pk_add_f32 v[172:173], v[172:173], v[84:85] neg_lo:[0,1] neg_hi:[0,1]
	v_pk_fma_f32 v[70:71], v[70:71], v[128:129], v[72:73] op_sel_hi:[1,1,0]
	s_delay_alu instid0(VALU_DEP_1) | instskip(SKIP_4) | instid1(VALU_DEP_1)
	v_mov_b32_e32 v83, v71
	ds_load_2addr_b64 v[70:73], v168 offset0:45 offset1:46
	v_pk_add_f32 v[198:199], v[198:199], v[82:83] neg_lo:[0,1] neg_hi:[0,1]
	s_wait_dscnt 0x0
	v_pk_mul_f32 v[82:83], v[70:71], v[68:69] op_sel:[0,1]
	v_pk_fma_f32 v[84:85], v[70:71], v[66:67], v[82:83] op_sel:[0,0,1] op_sel_hi:[1,1,0] neg_lo:[0,0,1] neg_hi:[0,0,1]
	v_pk_fma_f32 v[70:71], v[70:71], v[66:67], v[82:83] op_sel:[0,0,1] op_sel_hi:[1,0,0]
	s_delay_alu instid0(VALU_DEP_1) | instskip(SKIP_1) | instid1(VALU_DEP_1)
	v_mov_b32_e32 v85, v71
	v_pk_mul_f32 v[70:71], v[72:73], v[68:69] op_sel:[0,1]
	v_pk_fma_f32 v[82:83], v[72:73], v[66:67], v[70:71] op_sel:[0,0,1] op_sel_hi:[1,1,0] neg_lo:[0,0,1] neg_hi:[0,0,1]
	v_pk_fma_f32 v[70:71], v[72:73], v[66:67], v[70:71] op_sel:[0,0,1] op_sel_hi:[1,0,0]
	s_delay_alu instid0(VALU_DEP_1)
	v_mov_b32_e32 v83, v71
	ds_load_2addr_b64 v[70:73], v168 offset0:47 offset1:48
	v_pk_add_f32 v[194:195], v[194:195], v[84:85] neg_lo:[0,1] neg_hi:[0,1]
	v_pk_add_f32 v[196:197], v[196:197], v[82:83] neg_lo:[0,1] neg_hi:[0,1]
	s_wait_dscnt 0x0
	v_pk_mul_f32 v[82:83], v[70:71], v[68:69] op_sel:[0,1]
	s_delay_alu instid0(VALU_DEP_1) | instskip(SKIP_1) | instid1(VALU_DEP_1)
	v_pk_fma_f32 v[84:85], v[70:71], v[66:67], v[82:83] op_sel:[0,0,1] op_sel_hi:[1,1,0] neg_lo:[0,0,1] neg_hi:[0,0,1]
	v_pk_fma_f32 v[70:71], v[70:71], v[66:67], v[82:83] op_sel:[0,0,1] op_sel_hi:[1,0,0]
	v_mov_b32_e32 v85, v71
	v_pk_mul_f32 v[70:71], v[72:73], v[68:69] op_sel:[0,1]
	s_delay_alu instid0(VALU_DEP_1) | instskip(SKIP_1) | instid1(VALU_DEP_1)
	v_pk_fma_f32 v[82:83], v[72:73], v[66:67], v[70:71] op_sel:[0,0,1] op_sel_hi:[1,1,0] neg_lo:[0,0,1] neg_hi:[0,0,1]
	v_pk_fma_f32 v[70:71], v[72:73], v[66:67], v[70:71] op_sel:[0,0,1] op_sel_hi:[1,0,0]
	v_mov_b32_e32 v83, v71
	ds_load_2addr_b64 v[70:73], v168 offset0:49 offset1:50
	v_pk_add_f32 v[192:193], v[192:193], v[84:85] neg_lo:[0,1] neg_hi:[0,1]
	v_pk_add_f32 v[220:221], v[220:221], v[82:83] neg_lo:[0,1] neg_hi:[0,1]
	s_wait_dscnt 0x0
	v_dual_mul_f32 v82, v71, v69 :: v_dual_mul_f32 v84, v71, v66
	s_delay_alu instid0(VALU_DEP_1) | instskip(NEXT) | instid1(VALU_DEP_2)
	v_pk_fma_f32 v[82:83], v[70:71], v[128:129], v[82:83] op_sel_hi:[1,1,0] neg_lo:[0,0,1] neg_hi:[0,0,1]
	v_pk_fma_f32 v[70:71], v[70:71], v[128:129], v[84:85] op_sel:[1,0,0] op_sel_hi:[0,1,0]
	s_delay_alu instid0(VALU_DEP_1) | instskip(SKIP_1) | instid1(VALU_DEP_2)
	v_mov_b32_e32 v83, v71
	v_pk_mul_f32 v[70:71], v[72:73], v[68:69] op_sel:[0,1]
	v_pk_add_f32 v[214:215], v[214:215], v[82:83] neg_lo:[0,1] neg_hi:[0,1]
	s_delay_alu instid0(VALU_DEP_2) | instskip(SKIP_1) | instid1(VALU_DEP_1)
	v_pk_fma_f32 v[82:83], v[72:73], v[66:67], v[70:71] op_sel:[0,0,1] op_sel_hi:[1,1,0] neg_lo:[0,0,1] neg_hi:[0,0,1]
	v_pk_fma_f32 v[70:71], v[72:73], v[66:67], v[70:71] op_sel:[0,0,1] op_sel_hi:[1,0,0]
	v_mov_b32_e32 v83, v71
	ds_load_2addr_b64 v[70:73], v168 offset0:51 offset1:52
	v_pk_add_f32 v[218:219], v[218:219], v[82:83] neg_lo:[0,1] neg_hi:[0,1]
	s_wait_dscnt 0x0
	v_pk_mul_f32 v[82:83], v[70:71], v[68:69] op_sel:[0,1]
	s_delay_alu instid0(VALU_DEP_1) | instskip(SKIP_1) | instid1(VALU_DEP_1)
	v_pk_fma_f32 v[84:85], v[70:71], v[66:67], v[82:83] op_sel:[0,0,1] op_sel_hi:[1,1,0] neg_lo:[0,0,1] neg_hi:[0,0,1]
	v_pk_fma_f32 v[70:71], v[70:71], v[66:67], v[82:83] op_sel:[0,0,1] op_sel_hi:[1,0,0]
	v_mov_b32_e32 v85, v71
	v_pk_mul_f32 v[70:71], v[72:73], v[68:69] op_sel:[0,1]
	s_delay_alu instid0(VALU_DEP_2) | instskip(NEXT) | instid1(VALU_DEP_2)
	v_pk_add_f32 v[212:213], v[212:213], v[84:85] neg_lo:[0,1] neg_hi:[0,1]
	v_pk_fma_f32 v[82:83], v[72:73], v[66:67], v[70:71] op_sel:[0,0,1] op_sel_hi:[1,1,0] neg_lo:[0,0,1] neg_hi:[0,0,1]
	v_pk_fma_f32 v[70:71], v[72:73], v[66:67], v[70:71] op_sel:[0,0,1] op_sel_hi:[1,0,0]
	s_delay_alu instid0(VALU_DEP_1) | instskip(SKIP_4) | instid1(VALU_DEP_1)
	v_mov_b32_e32 v83, v71
	ds_load_2addr_b64 v[70:73], v168 offset0:53 offset1:54
	v_pk_add_f32 v[216:217], v[216:217], v[82:83] neg_lo:[0,1] neg_hi:[0,1]
	s_wait_dscnt 0x0
	v_pk_mul_f32 v[82:83], v[70:71], v[68:69] op_sel:[0,1]
	v_pk_fma_f32 v[84:85], v[70:71], v[66:67], v[82:83] op_sel:[0,0,1] op_sel_hi:[1,1,0] neg_lo:[0,0,1] neg_hi:[0,0,1]
	v_pk_fma_f32 v[70:71], v[70:71], v[66:67], v[82:83] op_sel:[0,0,1] op_sel_hi:[1,0,0]
	v_dual_mul_f32 v82, v73, v69 :: v_dual_mov_b32 v70, v73
	s_delay_alu instid0(VALU_DEP_2) | instskip(NEXT) | instid1(VALU_DEP_2)
	v_dual_mov_b32 v85, v71 :: v_dual_mov_b32 v71, v72
	v_pk_fma_f32 v[82:83], v[72:73], v[128:129], v[82:83] op_sel_hi:[1,1,0] neg_lo:[0,0,1] neg_hi:[0,0,1]
	v_mul_f32_e32 v72, v73, v66
	s_delay_alu instid0(VALU_DEP_3) | instskip(NEXT) | instid1(VALU_DEP_2)
	v_pk_add_f32 v[210:211], v[210:211], v[84:85] neg_lo:[0,1] neg_hi:[0,1]
	v_pk_fma_f32 v[70:71], v[70:71], v[128:129], v[72:73] op_sel_hi:[1,1,0]
	s_delay_alu instid0(VALU_DEP_1) | instskip(SKIP_4) | instid1(VALU_DEP_1)
	v_mov_b32_e32 v83, v71
	ds_load_b64 v[70:71], v168 offset:440
	v_pk_add_f32 v[222:223], v[222:223], v[82:83] neg_lo:[0,1] neg_hi:[0,1]
	s_wait_dscnt 0x0
	v_pk_mul_f32 v[68:69], v[70:71], v[68:69] op_sel:[0,1]
	v_pk_fma_f32 v[72:73], v[70:71], v[66:67], v[68:69] op_sel:[0,0,1] op_sel_hi:[1,1,0] neg_lo:[0,0,1] neg_hi:[0,0,1]
	v_pk_fma_f32 v[66:67], v[70:71], v[66:67], v[68:69] op_sel:[0,0,1] op_sel_hi:[1,0,0]
	s_delay_alu instid0(VALU_DEP_1) | instskip(NEXT) | instid1(VALU_DEP_1)
	v_mov_b32_e32 v73, v67
	v_pk_add_f32 v[224:225], v[224:225], v[72:73] neg_lo:[0,1] neg_hi:[0,1]
.LBB111_280:
	s_or_b32 exec_lo, exec_lo, s1
	s_delay_alu instid0(SALU_CYCLE_1)
	s_mov_b32 s2, exec_lo
	s_wait_dscnt 0x0
	s_barrier_signal -1
	s_barrier_wait -1
	v_cmpx_eq_u32_e32 31, v166
	s_cbranch_execz .LBB111_287
; %bb.281:
	v_dual_mov_b32 v66, v146 :: v_dual_mov_b32 v67, v147
	v_dual_mov_b32 v68, v142 :: v_dual_mov_b32 v69, v143
	ds_store_b64 v167, v[124:125]
	ds_store_2addr_b64 v168, v[66:67], v[68:69] offset0:32 offset1:33
	v_dual_mov_b32 v66, v144 :: v_dual_mov_b32 v67, v145
	v_dual_mov_b32 v68, v140 :: v_dual_mov_b32 v69, v141
	ds_store_2addr_b64 v168, v[66:67], v[68:69] offset0:34 offset1:35
	v_dual_mov_b32 v66, v162 :: v_dual_mov_b32 v67, v163
	v_dual_mov_b32 v68, v158 :: v_dual_mov_b32 v69, v159
	;; [unrolled: 3-line block ×10, first 2 shown]
	ds_store_2addr_b64 v168, v[66:67], v[68:69] offset0:52 offset1:53
	v_dual_mov_b32 v66, v222 :: v_dual_mov_b32 v67, v223
	ds_store_2addr_b64 v168, v[66:67], v[224:225] offset0:54 offset1:55
	ds_load_b64 v[66:67], v167
	s_wait_dscnt 0x0
	v_cmp_neq_f32_e32 vcc_lo, 0, v66
	v_cmp_neq_f32_e64 s1, 0, v67
	s_or_b32 s1, vcc_lo, s1
	s_delay_alu instid0(SALU_CYCLE_1)
	s_and_b32 exec_lo, exec_lo, s1
	s_cbranch_execz .LBB111_287
; %bb.282:
	v_cmp_ngt_f32_e64 s1, |v66|, |v67|
                                        ; implicit-def: $vgpr68_vgpr69
	s_and_saveexec_b32 s4, s1
	s_delay_alu instid0(SALU_CYCLE_1)
	s_xor_b32 s1, exec_lo, s4
	s_cbranch_execz .LBB111_284
; %bb.283:
	v_div_scale_f32 v68, null, v67, v67, v66
	v_div_scale_f32 v71, vcc_lo, v66, v67, v66
	s_delay_alu instid0(VALU_DEP_2) | instskip(SKIP_1) | instid1(TRANS32_DEP_1)
	v_rcp_f32_e32 v69, v68
	v_nop
	v_fma_f32 v70, -v68, v69, 1.0
	s_delay_alu instid0(VALU_DEP_1) | instskip(NEXT) | instid1(VALU_DEP_1)
	v_fmac_f32_e32 v69, v70, v69
	v_mul_f32_e32 v70, v71, v69
	s_delay_alu instid0(VALU_DEP_1) | instskip(NEXT) | instid1(VALU_DEP_1)
	v_fma_f32 v72, -v68, v70, v71
	v_fmac_f32_e32 v70, v72, v69
	s_delay_alu instid0(VALU_DEP_1) | instskip(NEXT) | instid1(VALU_DEP_1)
	v_fma_f32 v68, -v68, v70, v71
	v_div_fmas_f32 v68, v68, v69, v70
	s_delay_alu instid0(VALU_DEP_1) | instskip(NEXT) | instid1(VALU_DEP_1)
	v_div_fixup_f32 v68, v68, v67, v66
	v_fmac_f32_e32 v67, v66, v68
	s_delay_alu instid0(VALU_DEP_1) | instskip(SKIP_1) | instid1(VALU_DEP_2)
	v_div_scale_f32 v66, null, v67, v67, 1.0
	v_div_scale_f32 v71, vcc_lo, 1.0, v67, 1.0
	v_rcp_f32_e32 v69, v66
	v_nop
	s_delay_alu instid0(TRANS32_DEP_1) | instskip(NEXT) | instid1(VALU_DEP_1)
	v_fma_f32 v70, -v66, v69, 1.0
	v_fmac_f32_e32 v69, v70, v69
	s_delay_alu instid0(VALU_DEP_1) | instskip(NEXT) | instid1(VALU_DEP_1)
	v_mul_f32_e32 v70, v71, v69
	v_fma_f32 v72, -v66, v70, v71
	s_delay_alu instid0(VALU_DEP_1) | instskip(NEXT) | instid1(VALU_DEP_1)
	v_fmac_f32_e32 v70, v72, v69
	v_fma_f32 v66, -v66, v70, v71
	s_delay_alu instid0(VALU_DEP_1) | instskip(NEXT) | instid1(VALU_DEP_1)
	v_div_fmas_f32 v66, v66, v69, v70
	v_div_fixup_f32 v66, v66, v67, 1.0
	s_delay_alu instid0(VALU_DEP_1)
	v_mul_f32_e32 v68, v68, v66
	v_xor_b32_e32 v69, 0x80000000, v66
                                        ; implicit-def: $vgpr66_vgpr67
.LBB111_284:
	s_and_not1_saveexec_b32 s1, s1
	s_cbranch_execz .LBB111_286
; %bb.285:
	v_div_scale_f32 v68, null, v66, v66, v67
	v_div_scale_f32 v71, vcc_lo, v67, v66, v67
	s_delay_alu instid0(VALU_DEP_2) | instskip(SKIP_1) | instid1(TRANS32_DEP_1)
	v_rcp_f32_e32 v69, v68
	v_nop
	v_fma_f32 v70, -v68, v69, 1.0
	s_delay_alu instid0(VALU_DEP_1) | instskip(NEXT) | instid1(VALU_DEP_1)
	v_fmac_f32_e32 v69, v70, v69
	v_mul_f32_e32 v70, v71, v69
	s_delay_alu instid0(VALU_DEP_1) | instskip(NEXT) | instid1(VALU_DEP_1)
	v_fma_f32 v72, -v68, v70, v71
	v_fmac_f32_e32 v70, v72, v69
	s_delay_alu instid0(VALU_DEP_1) | instskip(NEXT) | instid1(VALU_DEP_1)
	v_fma_f32 v68, -v68, v70, v71
	v_div_fmas_f32 v68, v68, v69, v70
	s_delay_alu instid0(VALU_DEP_1) | instskip(NEXT) | instid1(VALU_DEP_1)
	v_div_fixup_f32 v69, v68, v66, v67
	v_fmac_f32_e32 v66, v67, v69
	s_delay_alu instid0(VALU_DEP_1) | instskip(NEXT) | instid1(VALU_DEP_1)
	v_div_scale_f32 v67, null, v66, v66, 1.0
	v_rcp_f32_e32 v68, v67
	v_nop
	s_delay_alu instid0(TRANS32_DEP_1) | instskip(NEXT) | instid1(VALU_DEP_1)
	v_fma_f32 v70, -v67, v68, 1.0
	v_fmac_f32_e32 v68, v70, v68
	v_div_scale_f32 v70, vcc_lo, 1.0, v66, 1.0
	s_delay_alu instid0(VALU_DEP_1) | instskip(NEXT) | instid1(VALU_DEP_1)
	v_mul_f32_e32 v71, v70, v68
	v_fma_f32 v72, -v67, v71, v70
	s_delay_alu instid0(VALU_DEP_1) | instskip(NEXT) | instid1(VALU_DEP_1)
	v_fmac_f32_e32 v71, v72, v68
	v_fma_f32 v67, -v67, v71, v70
	s_delay_alu instid0(VALU_DEP_1) | instskip(NEXT) | instid1(VALU_DEP_1)
	v_div_fmas_f32 v67, v67, v68, v71
	v_div_fixup_f32 v68, v67, v66, 1.0
	s_delay_alu instid0(VALU_DEP_1)
	v_mul_f32_e64 v69, v69, -v68
.LBB111_286:
	s_or_b32 exec_lo, exec_lo, s1
	ds_store_b64 v167, v[68:69]
.LBB111_287:
	s_or_b32 exec_lo, exec_lo, s2
	s_wait_dscnt 0x0
	s_barrier_signal -1
	s_barrier_wait -1
	ds_load_b64 v[66:67], v167
	s_mov_b32 s1, exec_lo
	v_cmpx_lt_u32_e32 31, v166
	s_cbranch_execz .LBB111_289
; %bb.288:
	ds_load_2addr_b64 v[82:85], v168 offset0:32 offset1:33
	s_wait_dscnt 0x1
	v_pk_mul_f32 v[70:71], v[66:67], v[124:125] op_sel:[1,1] op_sel_hi:[0,1]
	s_delay_alu instid0(VALU_DEP_1) | instskip(SKIP_1) | instid1(VALU_DEP_1)
	v_pk_fma_f32 v[68:69], v[66:67], v[124:125], v[70:71] op_sel_hi:[1,0,1] neg_lo:[0,0,1] neg_hi:[0,0,1]
	v_pk_fma_f32 v[70:71], v[66:67], v[124:125], v[70:71] op_sel_hi:[1,0,1]
	v_dual_mov_b32 v124, v68 :: v_dual_mov_b32 v125, v71
	s_wait_dscnt 0x0
	s_delay_alu instid0(VALU_DEP_2) | instskip(NEXT) | instid1(VALU_DEP_1)
	v_pk_mul_f32 v[72:73], v[82:83], v[70:71] op_sel:[0,1]
	v_pk_fma_f32 v[86:87], v[82:83], v[68:69], v[72:73] op_sel:[0,0,1] op_sel_hi:[1,1,0] neg_lo:[0,0,1] neg_hi:[0,0,1]
	v_pk_fma_f32 v[72:73], v[82:83], v[68:69], v[72:73] op_sel:[0,0,1] op_sel_hi:[1,0,0]
	s_delay_alu instid0(VALU_DEP_1) | instskip(SKIP_1) | instid1(VALU_DEP_1)
	v_mov_b32_e32 v87, v73
	v_pk_mul_f32 v[72:73], v[84:85], v[70:71] op_sel:[0,1]
	v_pk_fma_f32 v[82:83], v[84:85], v[68:69], v[72:73] op_sel:[0,0,1] op_sel_hi:[1,1,0] neg_lo:[0,0,1] neg_hi:[0,0,1]
	v_pk_fma_f32 v[72:73], v[84:85], v[68:69], v[72:73] op_sel:[0,0,1] op_sel_hi:[1,0,0]
	s_delay_alu instid0(VALU_DEP_1) | instskip(SKIP_1) | instid1(VALU_DEP_2)
	v_mov_b32_e32 v83, v73
	v_pk_add_f32 v[146:147], v[146:147], v[86:87] neg_lo:[0,1] neg_hi:[0,1]
	v_pk_add_f32 v[142:143], v[142:143], v[82:83] neg_lo:[0,1] neg_hi:[0,1]
	ds_load_2addr_b64 v[82:85], v168 offset0:34 offset1:35
	s_wait_dscnt 0x0
	v_pk_mul_f32 v[72:73], v[82:83], v[70:71] op_sel:[0,1]
	s_delay_alu instid0(VALU_DEP_1) | instskip(SKIP_2) | instid1(VALU_DEP_2)
	v_pk_fma_f32 v[86:87], v[82:83], v[68:69], v[72:73] op_sel:[0,0,1] op_sel_hi:[1,1,0] neg_lo:[0,0,1] neg_hi:[0,0,1]
	v_pk_fma_f32 v[72:73], v[82:83], v[68:69], v[72:73] op_sel:[0,0,1] op_sel_hi:[1,0,0]
	v_dual_mul_f32 v82, v85, v71 :: v_dual_mov_b32 v72, v85
	v_dual_mov_b32 v87, v73 :: v_dual_mov_b32 v73, v84
	s_delay_alu instid0(VALU_DEP_2) | instskip(SKIP_1) | instid1(VALU_DEP_3)
	v_pk_fma_f32 v[82:83], v[84:85], v[124:125], v[82:83] op_sel_hi:[1,1,0] neg_lo:[0,0,1] neg_hi:[0,0,1]
	v_mul_f32_e32 v84, v85, v68
	v_pk_add_f32 v[144:145], v[144:145], v[86:87] neg_lo:[0,1] neg_hi:[0,1]
	s_delay_alu instid0(VALU_DEP_2) | instskip(NEXT) | instid1(VALU_DEP_1)
	v_pk_fma_f32 v[72:73], v[72:73], v[124:125], v[84:85] op_sel_hi:[1,1,0]
	v_mov_b32_e32 v83, v73
	s_delay_alu instid0(VALU_DEP_1) | instskip(SKIP_3) | instid1(VALU_DEP_1)
	v_pk_add_f32 v[140:141], v[140:141], v[82:83] neg_lo:[0,1] neg_hi:[0,1]
	ds_load_2addr_b64 v[82:85], v168 offset0:36 offset1:37
	s_wait_dscnt 0x0
	v_pk_mul_f32 v[72:73], v[82:83], v[70:71] op_sel:[0,1]
	v_pk_fma_f32 v[86:87], v[82:83], v[68:69], v[72:73] op_sel:[0,0,1] op_sel_hi:[1,1,0] neg_lo:[0,0,1] neg_hi:[0,0,1]
	v_pk_fma_f32 v[72:73], v[82:83], v[68:69], v[72:73] op_sel:[0,0,1] op_sel_hi:[1,0,0]
	s_delay_alu instid0(VALU_DEP_1) | instskip(SKIP_1) | instid1(VALU_DEP_2)
	v_mov_b32_e32 v87, v73
	v_pk_mul_f32 v[72:73], v[84:85], v[70:71] op_sel:[0,1]
	v_pk_add_f32 v[162:163], v[162:163], v[86:87] neg_lo:[0,1] neg_hi:[0,1]
	s_delay_alu instid0(VALU_DEP_2) | instskip(SKIP_1) | instid1(VALU_DEP_1)
	v_pk_fma_f32 v[82:83], v[84:85], v[68:69], v[72:73] op_sel:[0,0,1] op_sel_hi:[1,1,0] neg_lo:[0,0,1] neg_hi:[0,0,1]
	v_pk_fma_f32 v[72:73], v[84:85], v[68:69], v[72:73] op_sel:[0,0,1] op_sel_hi:[1,0,0]
	v_mov_b32_e32 v83, v73
	s_delay_alu instid0(VALU_DEP_1) | instskip(SKIP_3) | instid1(VALU_DEP_1)
	v_pk_add_f32 v[158:159], v[158:159], v[82:83] neg_lo:[0,1] neg_hi:[0,1]
	ds_load_2addr_b64 v[82:85], v168 offset0:38 offset1:39
	s_wait_dscnt 0x0
	v_pk_mul_f32 v[72:73], v[82:83], v[70:71] op_sel:[0,1]
	v_pk_fma_f32 v[86:87], v[82:83], v[68:69], v[72:73] op_sel:[0,0,1] op_sel_hi:[1,1,0] neg_lo:[0,0,1] neg_hi:[0,0,1]
	v_pk_fma_f32 v[72:73], v[82:83], v[68:69], v[72:73] op_sel:[0,0,1] op_sel_hi:[1,0,0]
	s_delay_alu instid0(VALU_DEP_1) | instskip(SKIP_1) | instid1(VALU_DEP_2)
	v_mov_b32_e32 v87, v73
	v_pk_mul_f32 v[72:73], v[84:85], v[70:71] op_sel:[0,1]
	v_pk_add_f32 v[160:161], v[160:161], v[86:87] neg_lo:[0,1] neg_hi:[0,1]
	s_delay_alu instid0(VALU_DEP_2) | instskip(SKIP_1) | instid1(VALU_DEP_1)
	v_pk_fma_f32 v[82:83], v[84:85], v[68:69], v[72:73] op_sel:[0,0,1] op_sel_hi:[1,1,0] neg_lo:[0,0,1] neg_hi:[0,0,1]
	v_pk_fma_f32 v[72:73], v[84:85], v[68:69], v[72:73] op_sel:[0,0,1] op_sel_hi:[1,0,0]
	v_mov_b32_e32 v83, v73
	s_delay_alu instid0(VALU_DEP_1) | instskip(SKIP_3) | instid1(VALU_DEP_1)
	v_pk_add_f32 v[156:157], v[156:157], v[82:83] neg_lo:[0,1] neg_hi:[0,1]
	ds_load_2addr_b64 v[82:85], v168 offset0:40 offset1:41
	s_wait_dscnt 0x0
	v_dual_mul_f32 v72, v83, v71 :: v_dual_mul_f32 v86, v83, v68
	v_pk_fma_f32 v[72:73], v[82:83], v[124:125], v[72:73] op_sel_hi:[1,1,0] neg_lo:[0,0,1] neg_hi:[0,0,1]
	s_delay_alu instid0(VALU_DEP_2) | instskip(NEXT) | instid1(VALU_DEP_1)
	v_pk_fma_f32 v[82:83], v[82:83], v[124:125], v[86:87] op_sel:[1,0,0] op_sel_hi:[0,1,0]
	v_mov_b32_e32 v73, v83
	s_delay_alu instid0(VALU_DEP_1) | instskip(SKIP_1) | instid1(VALU_DEP_1)
	v_pk_add_f32 v[178:179], v[178:179], v[72:73] neg_lo:[0,1] neg_hi:[0,1]
	v_pk_mul_f32 v[72:73], v[84:85], v[70:71] op_sel:[0,1]
	v_pk_fma_f32 v[82:83], v[84:85], v[68:69], v[72:73] op_sel:[0,0,1] op_sel_hi:[1,1,0] neg_lo:[0,0,1] neg_hi:[0,0,1]
	v_pk_fma_f32 v[72:73], v[84:85], v[68:69], v[72:73] op_sel:[0,0,1] op_sel_hi:[1,0,0]
	s_delay_alu instid0(VALU_DEP_1) | instskip(NEXT) | instid1(VALU_DEP_1)
	v_mov_b32_e32 v83, v73
	v_pk_add_f32 v[174:175], v[174:175], v[82:83] neg_lo:[0,1] neg_hi:[0,1]
	ds_load_2addr_b64 v[82:85], v168 offset0:42 offset1:43
	s_wait_dscnt 0x0
	v_pk_mul_f32 v[72:73], v[82:83], v[70:71] op_sel:[0,1]
	s_delay_alu instid0(VALU_DEP_1) | instskip(SKIP_1) | instid1(VALU_DEP_1)
	v_pk_fma_f32 v[86:87], v[82:83], v[68:69], v[72:73] op_sel:[0,0,1] op_sel_hi:[1,1,0] neg_lo:[0,0,1] neg_hi:[0,0,1]
	v_pk_fma_f32 v[72:73], v[82:83], v[68:69], v[72:73] op_sel:[0,0,1] op_sel_hi:[1,0,0]
	v_mov_b32_e32 v87, v73
	v_pk_mul_f32 v[72:73], v[84:85], v[70:71] op_sel:[0,1]
	s_delay_alu instid0(VALU_DEP_2) | instskip(NEXT) | instid1(VALU_DEP_2)
	v_pk_add_f32 v[176:177], v[176:177], v[86:87] neg_lo:[0,1] neg_hi:[0,1]
	v_pk_fma_f32 v[82:83], v[84:85], v[68:69], v[72:73] op_sel:[0,0,1] op_sel_hi:[1,1,0] neg_lo:[0,0,1] neg_hi:[0,0,1]
	v_pk_fma_f32 v[72:73], v[84:85], v[68:69], v[72:73] op_sel:[0,0,1] op_sel_hi:[1,0,0]
	s_delay_alu instid0(VALU_DEP_1) | instskip(NEXT) | instid1(VALU_DEP_1)
	v_mov_b32_e32 v83, v73
	v_pk_add_f32 v[172:173], v[172:173], v[82:83] neg_lo:[0,1] neg_hi:[0,1]
	ds_load_2addr_b64 v[82:85], v168 offset0:44 offset1:45
	s_wait_dscnt 0x0
	v_pk_mul_f32 v[72:73], v[82:83], v[70:71] op_sel:[0,1]
	s_delay_alu instid0(VALU_DEP_1) | instskip(SKIP_2) | instid1(VALU_DEP_2)
	v_pk_fma_f32 v[86:87], v[82:83], v[68:69], v[72:73] op_sel:[0,0,1] op_sel_hi:[1,1,0] neg_lo:[0,0,1] neg_hi:[0,0,1]
	v_pk_fma_f32 v[72:73], v[82:83], v[68:69], v[72:73] op_sel:[0,0,1] op_sel_hi:[1,0,0]
	v_dual_mul_f32 v82, v85, v71 :: v_dual_mov_b32 v72, v85
	v_dual_mov_b32 v87, v73 :: v_dual_mov_b32 v73, v84
	s_delay_alu instid0(VALU_DEP_2) | instskip(SKIP_1) | instid1(VALU_DEP_3)
	v_pk_fma_f32 v[82:83], v[84:85], v[124:125], v[82:83] op_sel_hi:[1,1,0] neg_lo:[0,0,1] neg_hi:[0,0,1]
	v_mul_f32_e32 v84, v85, v68
	v_pk_add_f32 v[198:199], v[198:199], v[86:87] neg_lo:[0,1] neg_hi:[0,1]
	s_delay_alu instid0(VALU_DEP_2) | instskip(NEXT) | instid1(VALU_DEP_1)
	v_pk_fma_f32 v[72:73], v[72:73], v[124:125], v[84:85] op_sel_hi:[1,1,0]
	v_mov_b32_e32 v83, v73
	s_delay_alu instid0(VALU_DEP_1) | instskip(SKIP_3) | instid1(VALU_DEP_1)
	v_pk_add_f32 v[194:195], v[194:195], v[82:83] neg_lo:[0,1] neg_hi:[0,1]
	ds_load_2addr_b64 v[82:85], v168 offset0:46 offset1:47
	s_wait_dscnt 0x0
	v_pk_mul_f32 v[72:73], v[82:83], v[70:71] op_sel:[0,1]
	v_pk_fma_f32 v[86:87], v[82:83], v[68:69], v[72:73] op_sel:[0,0,1] op_sel_hi:[1,1,0] neg_lo:[0,0,1] neg_hi:[0,0,1]
	v_pk_fma_f32 v[72:73], v[82:83], v[68:69], v[72:73] op_sel:[0,0,1] op_sel_hi:[1,0,0]
	s_delay_alu instid0(VALU_DEP_1) | instskip(SKIP_1) | instid1(VALU_DEP_2)
	v_mov_b32_e32 v87, v73
	v_pk_mul_f32 v[72:73], v[84:85], v[70:71] op_sel:[0,1]
	v_pk_add_f32 v[196:197], v[196:197], v[86:87] neg_lo:[0,1] neg_hi:[0,1]
	s_delay_alu instid0(VALU_DEP_2) | instskip(SKIP_1) | instid1(VALU_DEP_1)
	v_pk_fma_f32 v[82:83], v[84:85], v[68:69], v[72:73] op_sel:[0,0,1] op_sel_hi:[1,1,0] neg_lo:[0,0,1] neg_hi:[0,0,1]
	v_pk_fma_f32 v[72:73], v[84:85], v[68:69], v[72:73] op_sel:[0,0,1] op_sel_hi:[1,0,0]
	v_mov_b32_e32 v83, v73
	s_delay_alu instid0(VALU_DEP_1) | instskip(SKIP_3) | instid1(VALU_DEP_1)
	v_pk_add_f32 v[192:193], v[192:193], v[82:83] neg_lo:[0,1] neg_hi:[0,1]
	ds_load_2addr_b64 v[82:85], v168 offset0:48 offset1:49
	s_wait_dscnt 0x0
	v_pk_mul_f32 v[72:73], v[82:83], v[70:71] op_sel:[0,1]
	v_pk_fma_f32 v[86:87], v[82:83], v[68:69], v[72:73] op_sel:[0,0,1] op_sel_hi:[1,1,0] neg_lo:[0,0,1] neg_hi:[0,0,1]
	v_pk_fma_f32 v[72:73], v[82:83], v[68:69], v[72:73] op_sel:[0,0,1] op_sel_hi:[1,0,0]
	s_delay_alu instid0(VALU_DEP_1) | instskip(SKIP_1) | instid1(VALU_DEP_2)
	v_mov_b32_e32 v87, v73
	v_pk_mul_f32 v[72:73], v[84:85], v[70:71] op_sel:[0,1]
	v_pk_add_f32 v[220:221], v[220:221], v[86:87] neg_lo:[0,1] neg_hi:[0,1]
	s_delay_alu instid0(VALU_DEP_2) | instskip(SKIP_1) | instid1(VALU_DEP_1)
	v_pk_fma_f32 v[82:83], v[84:85], v[68:69], v[72:73] op_sel:[0,0,1] op_sel_hi:[1,1,0] neg_lo:[0,0,1] neg_hi:[0,0,1]
	v_pk_fma_f32 v[72:73], v[84:85], v[68:69], v[72:73] op_sel:[0,0,1] op_sel_hi:[1,0,0]
	v_mov_b32_e32 v83, v73
	s_delay_alu instid0(VALU_DEP_1) | instskip(SKIP_3) | instid1(VALU_DEP_1)
	v_pk_add_f32 v[214:215], v[214:215], v[82:83] neg_lo:[0,1] neg_hi:[0,1]
	ds_load_2addr_b64 v[82:85], v168 offset0:50 offset1:51
	s_wait_dscnt 0x0
	v_dual_mul_f32 v72, v83, v71 :: v_dual_mul_f32 v86, v83, v68
	v_pk_fma_f32 v[72:73], v[82:83], v[124:125], v[72:73] op_sel_hi:[1,1,0] neg_lo:[0,0,1] neg_hi:[0,0,1]
	s_delay_alu instid0(VALU_DEP_2) | instskip(NEXT) | instid1(VALU_DEP_1)
	v_pk_fma_f32 v[82:83], v[82:83], v[124:125], v[86:87] op_sel:[1,0,0] op_sel_hi:[0,1,0]
	v_mov_b32_e32 v73, v83
	s_delay_alu instid0(VALU_DEP_1) | instskip(SKIP_1) | instid1(VALU_DEP_1)
	v_pk_add_f32 v[218:219], v[218:219], v[72:73] neg_lo:[0,1] neg_hi:[0,1]
	v_pk_mul_f32 v[72:73], v[84:85], v[70:71] op_sel:[0,1]
	v_pk_fma_f32 v[82:83], v[84:85], v[68:69], v[72:73] op_sel:[0,0,1] op_sel_hi:[1,1,0] neg_lo:[0,0,1] neg_hi:[0,0,1]
	v_pk_fma_f32 v[72:73], v[84:85], v[68:69], v[72:73] op_sel:[0,0,1] op_sel_hi:[1,0,0]
	s_delay_alu instid0(VALU_DEP_1) | instskip(NEXT) | instid1(VALU_DEP_1)
	v_mov_b32_e32 v83, v73
	v_pk_add_f32 v[212:213], v[212:213], v[82:83] neg_lo:[0,1] neg_hi:[0,1]
	ds_load_2addr_b64 v[82:85], v168 offset0:52 offset1:53
	s_wait_dscnt 0x0
	v_pk_mul_f32 v[72:73], v[82:83], v[70:71] op_sel:[0,1]
	s_delay_alu instid0(VALU_DEP_1) | instskip(SKIP_1) | instid1(VALU_DEP_1)
	v_pk_fma_f32 v[86:87], v[82:83], v[68:69], v[72:73] op_sel:[0,0,1] op_sel_hi:[1,1,0] neg_lo:[0,0,1] neg_hi:[0,0,1]
	v_pk_fma_f32 v[72:73], v[82:83], v[68:69], v[72:73] op_sel:[0,0,1] op_sel_hi:[1,0,0]
	v_mov_b32_e32 v87, v73
	v_pk_mul_f32 v[72:73], v[84:85], v[70:71] op_sel:[0,1]
	s_delay_alu instid0(VALU_DEP_2) | instskip(NEXT) | instid1(VALU_DEP_2)
	v_pk_add_f32 v[216:217], v[216:217], v[86:87] neg_lo:[0,1] neg_hi:[0,1]
	v_pk_fma_f32 v[82:83], v[84:85], v[68:69], v[72:73] op_sel:[0,0,1] op_sel_hi:[1,1,0] neg_lo:[0,0,1] neg_hi:[0,0,1]
	v_pk_fma_f32 v[72:73], v[84:85], v[68:69], v[72:73] op_sel:[0,0,1] op_sel_hi:[1,0,0]
	s_delay_alu instid0(VALU_DEP_1) | instskip(NEXT) | instid1(VALU_DEP_1)
	v_mov_b32_e32 v83, v73
	v_pk_add_f32 v[210:211], v[210:211], v[82:83] neg_lo:[0,1] neg_hi:[0,1]
	ds_load_2addr_b64 v[82:85], v168 offset0:54 offset1:55
	s_wait_dscnt 0x0
	v_pk_mul_f32 v[72:73], v[82:83], v[70:71] op_sel:[0,1]
	v_mul_f32_e32 v70, v85, v71
	s_delay_alu instid0(VALU_DEP_2) | instskip(SKIP_2) | instid1(VALU_DEP_4)
	v_pk_fma_f32 v[86:87], v[82:83], v[68:69], v[72:73] op_sel:[0,0,1] op_sel_hi:[1,1,0] neg_lo:[0,0,1] neg_hi:[0,0,1]
	v_pk_fma_f32 v[72:73], v[82:83], v[68:69], v[72:73] op_sel:[0,0,1] op_sel_hi:[1,0,0]
	v_dual_mov_b32 v72, v85 :: v_dual_mul_f32 v68, v85, v68
	v_pk_fma_f32 v[70:71], v[84:85], v[124:125], v[70:71] op_sel_hi:[1,1,0] neg_lo:[0,0,1] neg_hi:[0,0,1]
	s_delay_alu instid0(VALU_DEP_3) | instskip(NEXT) | instid1(VALU_DEP_1)
	v_dual_mov_b32 v87, v73 :: v_dual_mov_b32 v73, v84
	v_pk_add_f32 v[222:223], v[222:223], v[86:87] neg_lo:[0,1] neg_hi:[0,1]
	s_delay_alu instid0(VALU_DEP_2) | instskip(NEXT) | instid1(VALU_DEP_1)
	v_pk_fma_f32 v[68:69], v[72:73], v[124:125], v[68:69] op_sel_hi:[1,1,0]
	v_mov_b32_e32 v71, v69
	s_delay_alu instid0(VALU_DEP_1)
	v_pk_add_f32 v[224:225], v[224:225], v[70:71] neg_lo:[0,1] neg_hi:[0,1]
.LBB111_289:
	s_or_b32 exec_lo, exec_lo, s1
	s_delay_alu instid0(SALU_CYCLE_1)
	s_mov_b32 s2, exec_lo
	s_wait_dscnt 0x0
	s_barrier_signal -1
	s_barrier_wait -1
	v_cmpx_eq_u32_e32 32, v166
	s_cbranch_execz .LBB111_296
; %bb.290:
	ds_store_b64 v167, v[146:147]
	ds_store_2addr_b64 v168, v[142:143], v[144:145] offset0:33 offset1:34
	ds_store_2addr_b64 v168, v[140:141], v[162:163] offset0:35 offset1:36
	;; [unrolled: 1-line block ×11, first 2 shown]
	ds_store_b64 v168, v[224:225] offset:440
	ds_load_b64 v[68:69], v167
	s_wait_dscnt 0x0
	v_cmp_neq_f32_e32 vcc_lo, 0, v68
	v_cmp_neq_f32_e64 s1, 0, v69
	s_or_b32 s1, vcc_lo, s1
	s_delay_alu instid0(SALU_CYCLE_1)
	s_and_b32 exec_lo, exec_lo, s1
	s_cbranch_execz .LBB111_296
; %bb.291:
	v_cmp_ngt_f32_e64 s1, |v68|, |v69|
                                        ; implicit-def: $vgpr70_vgpr71
	s_and_saveexec_b32 s4, s1
	s_delay_alu instid0(SALU_CYCLE_1)
	s_xor_b32 s1, exec_lo, s4
	s_cbranch_execz .LBB111_293
; %bb.292:
	v_div_scale_f32 v70, null, v69, v69, v68
	v_div_scale_f32 v73, vcc_lo, v68, v69, v68
	s_delay_alu instid0(VALU_DEP_2) | instskip(SKIP_1) | instid1(TRANS32_DEP_1)
	v_rcp_f32_e32 v71, v70
	v_nop
	v_fma_f32 v72, -v70, v71, 1.0
	s_delay_alu instid0(VALU_DEP_1) | instskip(NEXT) | instid1(VALU_DEP_1)
	v_fmac_f32_e32 v71, v72, v71
	v_mul_f32_e32 v72, v73, v71
	s_delay_alu instid0(VALU_DEP_1) | instskip(NEXT) | instid1(VALU_DEP_1)
	v_fma_f32 v82, -v70, v72, v73
	v_fmac_f32_e32 v72, v82, v71
	s_delay_alu instid0(VALU_DEP_1) | instskip(NEXT) | instid1(VALU_DEP_1)
	v_fma_f32 v70, -v70, v72, v73
	v_div_fmas_f32 v70, v70, v71, v72
	s_delay_alu instid0(VALU_DEP_1) | instskip(NEXT) | instid1(VALU_DEP_1)
	v_div_fixup_f32 v70, v70, v69, v68
	v_fmac_f32_e32 v69, v68, v70
	s_delay_alu instid0(VALU_DEP_1) | instskip(SKIP_1) | instid1(VALU_DEP_2)
	v_div_scale_f32 v68, null, v69, v69, 1.0
	v_div_scale_f32 v73, vcc_lo, 1.0, v69, 1.0
	v_rcp_f32_e32 v71, v68
	v_nop
	s_delay_alu instid0(TRANS32_DEP_1) | instskip(NEXT) | instid1(VALU_DEP_1)
	v_fma_f32 v72, -v68, v71, 1.0
	v_fmac_f32_e32 v71, v72, v71
	s_delay_alu instid0(VALU_DEP_1) | instskip(NEXT) | instid1(VALU_DEP_1)
	v_mul_f32_e32 v72, v73, v71
	v_fma_f32 v82, -v68, v72, v73
	s_delay_alu instid0(VALU_DEP_1) | instskip(NEXT) | instid1(VALU_DEP_1)
	v_fmac_f32_e32 v72, v82, v71
	v_fma_f32 v68, -v68, v72, v73
	s_delay_alu instid0(VALU_DEP_1) | instskip(NEXT) | instid1(VALU_DEP_1)
	v_div_fmas_f32 v68, v68, v71, v72
	v_div_fixup_f32 v68, v68, v69, 1.0
	s_delay_alu instid0(VALU_DEP_1)
	v_mul_f32_e32 v70, v70, v68
	v_xor_b32_e32 v71, 0x80000000, v68
                                        ; implicit-def: $vgpr68_vgpr69
.LBB111_293:
	s_and_not1_saveexec_b32 s1, s1
	s_cbranch_execz .LBB111_295
; %bb.294:
	v_div_scale_f32 v70, null, v68, v68, v69
	v_div_scale_f32 v73, vcc_lo, v69, v68, v69
	s_delay_alu instid0(VALU_DEP_2) | instskip(SKIP_1) | instid1(TRANS32_DEP_1)
	v_rcp_f32_e32 v71, v70
	v_nop
	v_fma_f32 v72, -v70, v71, 1.0
	s_delay_alu instid0(VALU_DEP_1) | instskip(NEXT) | instid1(VALU_DEP_1)
	v_fmac_f32_e32 v71, v72, v71
	v_mul_f32_e32 v72, v73, v71
	s_delay_alu instid0(VALU_DEP_1) | instskip(NEXT) | instid1(VALU_DEP_1)
	v_fma_f32 v82, -v70, v72, v73
	v_fmac_f32_e32 v72, v82, v71
	s_delay_alu instid0(VALU_DEP_1) | instskip(NEXT) | instid1(VALU_DEP_1)
	v_fma_f32 v70, -v70, v72, v73
	v_div_fmas_f32 v70, v70, v71, v72
	s_delay_alu instid0(VALU_DEP_1) | instskip(NEXT) | instid1(VALU_DEP_1)
	v_div_fixup_f32 v71, v70, v68, v69
	v_fmac_f32_e32 v68, v69, v71
	s_delay_alu instid0(VALU_DEP_1) | instskip(NEXT) | instid1(VALU_DEP_1)
	v_div_scale_f32 v69, null, v68, v68, 1.0
	v_rcp_f32_e32 v70, v69
	v_nop
	s_delay_alu instid0(TRANS32_DEP_1) | instskip(NEXT) | instid1(VALU_DEP_1)
	v_fma_f32 v72, -v69, v70, 1.0
	v_fmac_f32_e32 v70, v72, v70
	v_div_scale_f32 v72, vcc_lo, 1.0, v68, 1.0
	s_delay_alu instid0(VALU_DEP_1) | instskip(NEXT) | instid1(VALU_DEP_1)
	v_mul_f32_e32 v73, v72, v70
	v_fma_f32 v82, -v69, v73, v72
	s_delay_alu instid0(VALU_DEP_1) | instskip(NEXT) | instid1(VALU_DEP_1)
	v_fmac_f32_e32 v73, v82, v70
	v_fma_f32 v69, -v69, v73, v72
	s_delay_alu instid0(VALU_DEP_1) | instskip(NEXT) | instid1(VALU_DEP_1)
	v_div_fmas_f32 v69, v69, v70, v73
	v_div_fixup_f32 v70, v69, v68, 1.0
	s_delay_alu instid0(VALU_DEP_1)
	v_mul_f32_e64 v71, v71, -v70
.LBB111_295:
	s_or_b32 exec_lo, exec_lo, s1
	ds_store_b64 v167, v[70:71]
.LBB111_296:
	s_or_b32 exec_lo, exec_lo, s2
	s_wait_dscnt 0x0
	s_barrier_signal -1
	s_barrier_wait -1
	ds_load_b64 v[68:69], v167
	s_mov_b32 s1, exec_lo
	v_cmpx_lt_u32_e32 32, v166
	s_cbranch_execz .LBB111_298
; %bb.297:
	ds_load_2addr_b64 v[82:85], v168 offset0:33 offset1:34
	s_wait_dscnt 0x1
	v_pk_mul_f32 v[72:73], v[68:69], v[146:147] op_sel:[1,1] op_sel_hi:[0,1]
	s_delay_alu instid0(VALU_DEP_1) | instskip(SKIP_1) | instid1(VALU_DEP_1)
	v_pk_fma_f32 v[70:71], v[68:69], v[146:147], v[72:73] op_sel_hi:[1,0,1] neg_lo:[0,0,1] neg_hi:[0,0,1]
	v_pk_fma_f32 v[72:73], v[68:69], v[146:147], v[72:73] op_sel_hi:[1,0,1]
	v_dual_mov_b32 v146, v70 :: v_dual_mov_b32 v147, v73
	s_wait_dscnt 0x0
	s_delay_alu instid0(VALU_DEP_2) | instskip(NEXT) | instid1(VALU_DEP_1)
	v_pk_mul_f32 v[86:87], v[82:83], v[72:73] op_sel:[0,1]
	v_pk_fma_f32 v[88:89], v[82:83], v[70:71], v[86:87] op_sel:[0,0,1] op_sel_hi:[1,1,0] neg_lo:[0,0,1] neg_hi:[0,0,1]
	v_pk_fma_f32 v[82:83], v[82:83], v[70:71], v[86:87] op_sel:[0,0,1] op_sel_hi:[1,0,0]
	s_delay_alu instid0(VALU_DEP_1) | instskip(SKIP_1) | instid1(VALU_DEP_1)
	v_mov_b32_e32 v89, v83
	v_pk_mul_f32 v[82:83], v[84:85], v[72:73] op_sel:[0,1]
	v_pk_fma_f32 v[86:87], v[84:85], v[70:71], v[82:83] op_sel:[0,0,1] op_sel_hi:[1,1,0] neg_lo:[0,0,1] neg_hi:[0,0,1]
	v_pk_fma_f32 v[82:83], v[84:85], v[70:71], v[82:83] op_sel:[0,0,1] op_sel_hi:[1,0,0]
	s_delay_alu instid0(VALU_DEP_1)
	v_mov_b32_e32 v87, v83
	ds_load_2addr_b64 v[82:85], v168 offset0:35 offset1:36
	v_pk_add_f32 v[142:143], v[142:143], v[88:89] neg_lo:[0,1] neg_hi:[0,1]
	v_pk_add_f32 v[144:145], v[144:145], v[86:87] neg_lo:[0,1] neg_hi:[0,1]
	s_wait_dscnt 0x0
	v_pk_mul_f32 v[86:87], v[82:83], v[72:73] op_sel:[0,1]
	s_delay_alu instid0(VALU_DEP_1) | instskip(SKIP_2) | instid1(VALU_DEP_2)
	v_pk_fma_f32 v[88:89], v[82:83], v[70:71], v[86:87] op_sel:[0,0,1] op_sel_hi:[1,1,0] neg_lo:[0,0,1] neg_hi:[0,0,1]
	v_pk_fma_f32 v[82:83], v[82:83], v[70:71], v[86:87] op_sel:[0,0,1] op_sel_hi:[1,0,0]
	v_dual_mul_f32 v86, v85, v73 :: v_dual_mov_b32 v82, v85
	v_dual_mov_b32 v89, v83 :: v_dual_mov_b32 v83, v84
	s_delay_alu instid0(VALU_DEP_2) | instskip(SKIP_1) | instid1(VALU_DEP_3)
	v_pk_fma_f32 v[86:87], v[84:85], v[146:147], v[86:87] op_sel_hi:[1,1,0] neg_lo:[0,0,1] neg_hi:[0,0,1]
	v_mul_f32_e32 v84, v85, v70
	v_pk_add_f32 v[140:141], v[140:141], v[88:89] neg_lo:[0,1] neg_hi:[0,1]
	s_delay_alu instid0(VALU_DEP_2) | instskip(NEXT) | instid1(VALU_DEP_1)
	v_pk_fma_f32 v[82:83], v[82:83], v[146:147], v[84:85] op_sel_hi:[1,1,0]
	v_mov_b32_e32 v87, v83
	ds_load_2addr_b64 v[82:85], v168 offset0:37 offset1:38
	v_pk_add_f32 v[162:163], v[162:163], v[86:87] neg_lo:[0,1] neg_hi:[0,1]
	s_wait_dscnt 0x0
	v_pk_mul_f32 v[86:87], v[82:83], v[72:73] op_sel:[0,1]
	s_delay_alu instid0(VALU_DEP_1) | instskip(SKIP_1) | instid1(VALU_DEP_1)
	v_pk_fma_f32 v[88:89], v[82:83], v[70:71], v[86:87] op_sel:[0,0,1] op_sel_hi:[1,1,0] neg_lo:[0,0,1] neg_hi:[0,0,1]
	v_pk_fma_f32 v[82:83], v[82:83], v[70:71], v[86:87] op_sel:[0,0,1] op_sel_hi:[1,0,0]
	v_mov_b32_e32 v89, v83
	v_pk_mul_f32 v[82:83], v[84:85], v[72:73] op_sel:[0,1]
	s_delay_alu instid0(VALU_DEP_1) | instskip(SKIP_1) | instid1(VALU_DEP_1)
	v_pk_fma_f32 v[86:87], v[84:85], v[70:71], v[82:83] op_sel:[0,0,1] op_sel_hi:[1,1,0] neg_lo:[0,0,1] neg_hi:[0,0,1]
	v_pk_fma_f32 v[82:83], v[84:85], v[70:71], v[82:83] op_sel:[0,0,1] op_sel_hi:[1,0,0]
	v_mov_b32_e32 v87, v83
	ds_load_2addr_b64 v[82:85], v168 offset0:39 offset1:40
	v_pk_add_f32 v[158:159], v[158:159], v[88:89] neg_lo:[0,1] neg_hi:[0,1]
	v_pk_add_f32 v[160:161], v[160:161], v[86:87] neg_lo:[0,1] neg_hi:[0,1]
	s_wait_dscnt 0x0
	v_pk_mul_f32 v[86:87], v[82:83], v[72:73] op_sel:[0,1]
	s_delay_alu instid0(VALU_DEP_1) | instskip(SKIP_1) | instid1(VALU_DEP_1)
	v_pk_fma_f32 v[88:89], v[82:83], v[70:71], v[86:87] op_sel:[0,0,1] op_sel_hi:[1,1,0] neg_lo:[0,0,1] neg_hi:[0,0,1]
	v_pk_fma_f32 v[82:83], v[82:83], v[70:71], v[86:87] op_sel:[0,0,1] op_sel_hi:[1,0,0]
	v_mov_b32_e32 v89, v83
	v_pk_mul_f32 v[82:83], v[84:85], v[72:73] op_sel:[0,1]
	s_delay_alu instid0(VALU_DEP_1) | instskip(SKIP_1) | instid1(VALU_DEP_1)
	v_pk_fma_f32 v[86:87], v[84:85], v[70:71], v[82:83] op_sel:[0,0,1] op_sel_hi:[1,1,0] neg_lo:[0,0,1] neg_hi:[0,0,1]
	v_pk_fma_f32 v[82:83], v[84:85], v[70:71], v[82:83] op_sel:[0,0,1] op_sel_hi:[1,0,0]
	v_mov_b32_e32 v87, v83
	ds_load_2addr_b64 v[82:85], v168 offset0:41 offset1:42
	v_pk_add_f32 v[156:157], v[156:157], v[88:89] neg_lo:[0,1] neg_hi:[0,1]
	v_pk_add_f32 v[178:179], v[178:179], v[86:87] neg_lo:[0,1] neg_hi:[0,1]
	s_wait_dscnt 0x0
	v_dual_mul_f32 v86, v83, v73 :: v_dual_mul_f32 v88, v83, v70
	s_delay_alu instid0(VALU_DEP_1) | instskip(NEXT) | instid1(VALU_DEP_2)
	v_pk_fma_f32 v[86:87], v[82:83], v[146:147], v[86:87] op_sel_hi:[1,1,0] neg_lo:[0,0,1] neg_hi:[0,0,1]
	v_pk_fma_f32 v[82:83], v[82:83], v[146:147], v[88:89] op_sel:[1,0,0] op_sel_hi:[0,1,0]
	s_delay_alu instid0(VALU_DEP_1) | instskip(SKIP_1) | instid1(VALU_DEP_2)
	v_mov_b32_e32 v87, v83
	v_pk_mul_f32 v[82:83], v[84:85], v[72:73] op_sel:[0,1]
	v_pk_add_f32 v[174:175], v[174:175], v[86:87] neg_lo:[0,1] neg_hi:[0,1]
	s_delay_alu instid0(VALU_DEP_2) | instskip(SKIP_1) | instid1(VALU_DEP_1)
	v_pk_fma_f32 v[86:87], v[84:85], v[70:71], v[82:83] op_sel:[0,0,1] op_sel_hi:[1,1,0] neg_lo:[0,0,1] neg_hi:[0,0,1]
	v_pk_fma_f32 v[82:83], v[84:85], v[70:71], v[82:83] op_sel:[0,0,1] op_sel_hi:[1,0,0]
	v_mov_b32_e32 v87, v83
	ds_load_2addr_b64 v[82:85], v168 offset0:43 offset1:44
	v_pk_add_f32 v[176:177], v[176:177], v[86:87] neg_lo:[0,1] neg_hi:[0,1]
	s_wait_dscnt 0x0
	v_pk_mul_f32 v[86:87], v[82:83], v[72:73] op_sel:[0,1]
	s_delay_alu instid0(VALU_DEP_1) | instskip(SKIP_1) | instid1(VALU_DEP_1)
	v_pk_fma_f32 v[88:89], v[82:83], v[70:71], v[86:87] op_sel:[0,0,1] op_sel_hi:[1,1,0] neg_lo:[0,0,1] neg_hi:[0,0,1]
	v_pk_fma_f32 v[82:83], v[82:83], v[70:71], v[86:87] op_sel:[0,0,1] op_sel_hi:[1,0,0]
	v_mov_b32_e32 v89, v83
	v_pk_mul_f32 v[82:83], v[84:85], v[72:73] op_sel:[0,1]
	s_delay_alu instid0(VALU_DEP_2) | instskip(NEXT) | instid1(VALU_DEP_2)
	v_pk_add_f32 v[172:173], v[172:173], v[88:89] neg_lo:[0,1] neg_hi:[0,1]
	v_pk_fma_f32 v[86:87], v[84:85], v[70:71], v[82:83] op_sel:[0,0,1] op_sel_hi:[1,1,0] neg_lo:[0,0,1] neg_hi:[0,0,1]
	v_pk_fma_f32 v[82:83], v[84:85], v[70:71], v[82:83] op_sel:[0,0,1] op_sel_hi:[1,0,0]
	s_delay_alu instid0(VALU_DEP_1) | instskip(SKIP_4) | instid1(VALU_DEP_1)
	v_mov_b32_e32 v87, v83
	ds_load_2addr_b64 v[82:85], v168 offset0:45 offset1:46
	v_pk_add_f32 v[198:199], v[198:199], v[86:87] neg_lo:[0,1] neg_hi:[0,1]
	s_wait_dscnt 0x0
	v_pk_mul_f32 v[86:87], v[82:83], v[72:73] op_sel:[0,1]
	v_pk_fma_f32 v[88:89], v[82:83], v[70:71], v[86:87] op_sel:[0,0,1] op_sel_hi:[1,1,0] neg_lo:[0,0,1] neg_hi:[0,0,1]
	v_pk_fma_f32 v[82:83], v[82:83], v[70:71], v[86:87] op_sel:[0,0,1] op_sel_hi:[1,0,0]
	v_dual_mul_f32 v86, v85, v73 :: v_dual_mov_b32 v82, v85
	s_delay_alu instid0(VALU_DEP_2) | instskip(NEXT) | instid1(VALU_DEP_2)
	v_dual_mov_b32 v89, v83 :: v_dual_mov_b32 v83, v84
	v_pk_fma_f32 v[86:87], v[84:85], v[146:147], v[86:87] op_sel_hi:[1,1,0] neg_lo:[0,0,1] neg_hi:[0,0,1]
	v_mul_f32_e32 v84, v85, v70
	s_delay_alu instid0(VALU_DEP_3) | instskip(NEXT) | instid1(VALU_DEP_2)
	v_pk_add_f32 v[194:195], v[194:195], v[88:89] neg_lo:[0,1] neg_hi:[0,1]
	v_pk_fma_f32 v[82:83], v[82:83], v[146:147], v[84:85] op_sel_hi:[1,1,0]
	s_delay_alu instid0(VALU_DEP_1) | instskip(SKIP_4) | instid1(VALU_DEP_1)
	v_mov_b32_e32 v87, v83
	ds_load_2addr_b64 v[82:85], v168 offset0:47 offset1:48
	v_pk_add_f32 v[196:197], v[196:197], v[86:87] neg_lo:[0,1] neg_hi:[0,1]
	s_wait_dscnt 0x0
	v_pk_mul_f32 v[86:87], v[82:83], v[72:73] op_sel:[0,1]
	v_pk_fma_f32 v[88:89], v[82:83], v[70:71], v[86:87] op_sel:[0,0,1] op_sel_hi:[1,1,0] neg_lo:[0,0,1] neg_hi:[0,0,1]
	v_pk_fma_f32 v[82:83], v[82:83], v[70:71], v[86:87] op_sel:[0,0,1] op_sel_hi:[1,0,0]
	s_delay_alu instid0(VALU_DEP_1) | instskip(SKIP_1) | instid1(VALU_DEP_1)
	v_mov_b32_e32 v89, v83
	v_pk_mul_f32 v[82:83], v[84:85], v[72:73] op_sel:[0,1]
	v_pk_fma_f32 v[86:87], v[84:85], v[70:71], v[82:83] op_sel:[0,0,1] op_sel_hi:[1,1,0] neg_lo:[0,0,1] neg_hi:[0,0,1]
	v_pk_fma_f32 v[82:83], v[84:85], v[70:71], v[82:83] op_sel:[0,0,1] op_sel_hi:[1,0,0]
	s_delay_alu instid0(VALU_DEP_1)
	v_mov_b32_e32 v87, v83
	ds_load_2addr_b64 v[82:85], v168 offset0:49 offset1:50
	v_pk_add_f32 v[192:193], v[192:193], v[88:89] neg_lo:[0,1] neg_hi:[0,1]
	v_pk_add_f32 v[220:221], v[220:221], v[86:87] neg_lo:[0,1] neg_hi:[0,1]
	s_wait_dscnt 0x0
	v_pk_mul_f32 v[86:87], v[82:83], v[72:73] op_sel:[0,1]
	s_delay_alu instid0(VALU_DEP_1) | instskip(SKIP_1) | instid1(VALU_DEP_1)
	v_pk_fma_f32 v[88:89], v[82:83], v[70:71], v[86:87] op_sel:[0,0,1] op_sel_hi:[1,1,0] neg_lo:[0,0,1] neg_hi:[0,0,1]
	v_pk_fma_f32 v[82:83], v[82:83], v[70:71], v[86:87] op_sel:[0,0,1] op_sel_hi:[1,0,0]
	v_mov_b32_e32 v89, v83
	v_pk_mul_f32 v[82:83], v[84:85], v[72:73] op_sel:[0,1]
	s_delay_alu instid0(VALU_DEP_1) | instskip(SKIP_1) | instid1(VALU_DEP_1)
	v_pk_fma_f32 v[86:87], v[84:85], v[70:71], v[82:83] op_sel:[0,0,1] op_sel_hi:[1,1,0] neg_lo:[0,0,1] neg_hi:[0,0,1]
	v_pk_fma_f32 v[82:83], v[84:85], v[70:71], v[82:83] op_sel:[0,0,1] op_sel_hi:[1,0,0]
	v_mov_b32_e32 v87, v83
	ds_load_2addr_b64 v[82:85], v168 offset0:51 offset1:52
	v_pk_add_f32 v[214:215], v[214:215], v[88:89] neg_lo:[0,1] neg_hi:[0,1]
	v_pk_add_f32 v[218:219], v[218:219], v[86:87] neg_lo:[0,1] neg_hi:[0,1]
	s_wait_dscnt 0x0
	v_dual_mul_f32 v86, v83, v73 :: v_dual_mul_f32 v88, v83, v70
	s_delay_alu instid0(VALU_DEP_1) | instskip(NEXT) | instid1(VALU_DEP_2)
	v_pk_fma_f32 v[86:87], v[82:83], v[146:147], v[86:87] op_sel_hi:[1,1,0] neg_lo:[0,0,1] neg_hi:[0,0,1]
	v_pk_fma_f32 v[82:83], v[82:83], v[146:147], v[88:89] op_sel:[1,0,0] op_sel_hi:[0,1,0]
	s_delay_alu instid0(VALU_DEP_1) | instskip(SKIP_1) | instid1(VALU_DEP_2)
	v_mov_b32_e32 v87, v83
	v_pk_mul_f32 v[82:83], v[84:85], v[72:73] op_sel:[0,1]
	v_pk_add_f32 v[212:213], v[212:213], v[86:87] neg_lo:[0,1] neg_hi:[0,1]
	s_delay_alu instid0(VALU_DEP_2) | instskip(SKIP_1) | instid1(VALU_DEP_1)
	v_pk_fma_f32 v[86:87], v[84:85], v[70:71], v[82:83] op_sel:[0,0,1] op_sel_hi:[1,1,0] neg_lo:[0,0,1] neg_hi:[0,0,1]
	v_pk_fma_f32 v[82:83], v[84:85], v[70:71], v[82:83] op_sel:[0,0,1] op_sel_hi:[1,0,0]
	v_mov_b32_e32 v87, v83
	ds_load_2addr_b64 v[82:85], v168 offset0:53 offset1:54
	v_pk_add_f32 v[216:217], v[216:217], v[86:87] neg_lo:[0,1] neg_hi:[0,1]
	s_wait_dscnt 0x0
	v_pk_mul_f32 v[86:87], v[82:83], v[72:73] op_sel:[0,1]
	s_delay_alu instid0(VALU_DEP_1) | instskip(SKIP_1) | instid1(VALU_DEP_1)
	v_pk_fma_f32 v[88:89], v[82:83], v[70:71], v[86:87] op_sel:[0,0,1] op_sel_hi:[1,1,0] neg_lo:[0,0,1] neg_hi:[0,0,1]
	v_pk_fma_f32 v[82:83], v[82:83], v[70:71], v[86:87] op_sel:[0,0,1] op_sel_hi:[1,0,0]
	v_mov_b32_e32 v89, v83
	v_pk_mul_f32 v[82:83], v[84:85], v[72:73] op_sel:[0,1]
	s_delay_alu instid0(VALU_DEP_2) | instskip(NEXT) | instid1(VALU_DEP_2)
	v_pk_add_f32 v[210:211], v[210:211], v[88:89] neg_lo:[0,1] neg_hi:[0,1]
	v_pk_fma_f32 v[86:87], v[84:85], v[70:71], v[82:83] op_sel:[0,0,1] op_sel_hi:[1,1,0] neg_lo:[0,0,1] neg_hi:[0,0,1]
	v_pk_fma_f32 v[82:83], v[84:85], v[70:71], v[82:83] op_sel:[0,0,1] op_sel_hi:[1,0,0]
	s_delay_alu instid0(VALU_DEP_1) | instskip(SKIP_4) | instid1(VALU_DEP_1)
	v_mov_b32_e32 v87, v83
	ds_load_b64 v[82:83], v168 offset:440
	v_pk_add_f32 v[222:223], v[222:223], v[86:87] neg_lo:[0,1] neg_hi:[0,1]
	s_wait_dscnt 0x0
	v_pk_mul_f32 v[72:73], v[82:83], v[72:73] op_sel:[0,1]
	v_pk_fma_f32 v[84:85], v[82:83], v[70:71], v[72:73] op_sel:[0,0,1] op_sel_hi:[1,1,0] neg_lo:[0,0,1] neg_hi:[0,0,1]
	v_pk_fma_f32 v[70:71], v[82:83], v[70:71], v[72:73] op_sel:[0,0,1] op_sel_hi:[1,0,0]
	s_delay_alu instid0(VALU_DEP_1) | instskip(NEXT) | instid1(VALU_DEP_1)
	v_mov_b32_e32 v85, v71
	v_pk_add_f32 v[224:225], v[224:225], v[84:85] neg_lo:[0,1] neg_hi:[0,1]
.LBB111_298:
	s_or_b32 exec_lo, exec_lo, s1
	s_delay_alu instid0(SALU_CYCLE_1)
	s_mov_b32 s2, exec_lo
	s_wait_dscnt 0x0
	s_barrier_signal -1
	s_barrier_wait -1
	v_cmpx_eq_u32_e32 33, v166
	s_cbranch_execz .LBB111_305
; %bb.299:
	v_dual_mov_b32 v70, v144 :: v_dual_mov_b32 v71, v145
	v_dual_mov_b32 v72, v140 :: v_dual_mov_b32 v73, v141
	ds_store_b64 v167, v[142:143]
	ds_store_2addr_b64 v168, v[70:71], v[72:73] offset0:34 offset1:35
	v_dual_mov_b32 v70, v162 :: v_dual_mov_b32 v71, v163
	v_dual_mov_b32 v72, v158 :: v_dual_mov_b32 v73, v159
	ds_store_2addr_b64 v168, v[70:71], v[72:73] offset0:36 offset1:37
	v_dual_mov_b32 v70, v160 :: v_dual_mov_b32 v71, v161
	v_dual_mov_b32 v72, v156 :: v_dual_mov_b32 v73, v157
	;; [unrolled: 3-line block ×9, first 2 shown]
	ds_store_2addr_b64 v168, v[70:71], v[72:73] offset0:52 offset1:53
	v_dual_mov_b32 v70, v222 :: v_dual_mov_b32 v71, v223
	ds_store_2addr_b64 v168, v[70:71], v[224:225] offset0:54 offset1:55
	ds_load_b64 v[70:71], v167
	s_wait_dscnt 0x0
	v_cmp_neq_f32_e32 vcc_lo, 0, v70
	v_cmp_neq_f32_e64 s1, 0, v71
	s_or_b32 s1, vcc_lo, s1
	s_delay_alu instid0(SALU_CYCLE_1)
	s_and_b32 exec_lo, exec_lo, s1
	s_cbranch_execz .LBB111_305
; %bb.300:
	v_cmp_ngt_f32_e64 s1, |v70|, |v71|
                                        ; implicit-def: $vgpr72_vgpr73
	s_and_saveexec_b32 s4, s1
	s_delay_alu instid0(SALU_CYCLE_1)
	s_xor_b32 s1, exec_lo, s4
	s_cbranch_execz .LBB111_302
; %bb.301:
	v_div_scale_f32 v72, null, v71, v71, v70
	v_div_scale_f32 v83, vcc_lo, v70, v71, v70
	s_delay_alu instid0(VALU_DEP_2) | instskip(SKIP_1) | instid1(TRANS32_DEP_1)
	v_rcp_f32_e32 v73, v72
	v_nop
	v_fma_f32 v82, -v72, v73, 1.0
	s_delay_alu instid0(VALU_DEP_1) | instskip(NEXT) | instid1(VALU_DEP_1)
	v_fmac_f32_e32 v73, v82, v73
	v_mul_f32_e32 v82, v83, v73
	s_delay_alu instid0(VALU_DEP_1) | instskip(NEXT) | instid1(VALU_DEP_1)
	v_fma_f32 v84, -v72, v82, v83
	v_fmac_f32_e32 v82, v84, v73
	s_delay_alu instid0(VALU_DEP_1) | instskip(NEXT) | instid1(VALU_DEP_1)
	v_fma_f32 v72, -v72, v82, v83
	v_div_fmas_f32 v72, v72, v73, v82
	s_delay_alu instid0(VALU_DEP_1) | instskip(NEXT) | instid1(VALU_DEP_1)
	v_div_fixup_f32 v72, v72, v71, v70
	v_fmac_f32_e32 v71, v70, v72
	s_delay_alu instid0(VALU_DEP_1) | instskip(SKIP_1) | instid1(VALU_DEP_2)
	v_div_scale_f32 v70, null, v71, v71, 1.0
	v_div_scale_f32 v83, vcc_lo, 1.0, v71, 1.0
	v_rcp_f32_e32 v73, v70
	v_nop
	s_delay_alu instid0(TRANS32_DEP_1) | instskip(NEXT) | instid1(VALU_DEP_1)
	v_fma_f32 v82, -v70, v73, 1.0
	v_fmac_f32_e32 v73, v82, v73
	s_delay_alu instid0(VALU_DEP_1) | instskip(NEXT) | instid1(VALU_DEP_1)
	v_mul_f32_e32 v82, v83, v73
	v_fma_f32 v84, -v70, v82, v83
	s_delay_alu instid0(VALU_DEP_1) | instskip(NEXT) | instid1(VALU_DEP_1)
	v_fmac_f32_e32 v82, v84, v73
	v_fma_f32 v70, -v70, v82, v83
	s_delay_alu instid0(VALU_DEP_1) | instskip(NEXT) | instid1(VALU_DEP_1)
	v_div_fmas_f32 v70, v70, v73, v82
	v_div_fixup_f32 v70, v70, v71, 1.0
	s_delay_alu instid0(VALU_DEP_1)
	v_mul_f32_e32 v72, v72, v70
	v_xor_b32_e32 v73, 0x80000000, v70
                                        ; implicit-def: $vgpr70_vgpr71
.LBB111_302:
	s_and_not1_saveexec_b32 s1, s1
	s_cbranch_execz .LBB111_304
; %bb.303:
	v_div_scale_f32 v72, null, v70, v70, v71
	v_div_scale_f32 v83, vcc_lo, v71, v70, v71
	s_delay_alu instid0(VALU_DEP_2) | instskip(SKIP_1) | instid1(TRANS32_DEP_1)
	v_rcp_f32_e32 v73, v72
	v_nop
	v_fma_f32 v82, -v72, v73, 1.0
	s_delay_alu instid0(VALU_DEP_1) | instskip(NEXT) | instid1(VALU_DEP_1)
	v_fmac_f32_e32 v73, v82, v73
	v_mul_f32_e32 v82, v83, v73
	s_delay_alu instid0(VALU_DEP_1) | instskip(NEXT) | instid1(VALU_DEP_1)
	v_fma_f32 v84, -v72, v82, v83
	v_fmac_f32_e32 v82, v84, v73
	s_delay_alu instid0(VALU_DEP_1) | instskip(NEXT) | instid1(VALU_DEP_1)
	v_fma_f32 v72, -v72, v82, v83
	v_div_fmas_f32 v72, v72, v73, v82
	s_delay_alu instid0(VALU_DEP_1) | instskip(NEXT) | instid1(VALU_DEP_1)
	v_div_fixup_f32 v73, v72, v70, v71
	v_fmac_f32_e32 v70, v71, v73
	s_delay_alu instid0(VALU_DEP_1) | instskip(NEXT) | instid1(VALU_DEP_1)
	v_div_scale_f32 v71, null, v70, v70, 1.0
	v_rcp_f32_e32 v72, v71
	v_nop
	s_delay_alu instid0(TRANS32_DEP_1) | instskip(NEXT) | instid1(VALU_DEP_1)
	v_fma_f32 v82, -v71, v72, 1.0
	v_fmac_f32_e32 v72, v82, v72
	v_div_scale_f32 v82, vcc_lo, 1.0, v70, 1.0
	s_delay_alu instid0(VALU_DEP_1) | instskip(NEXT) | instid1(VALU_DEP_1)
	v_mul_f32_e32 v83, v82, v72
	v_fma_f32 v84, -v71, v83, v82
	s_delay_alu instid0(VALU_DEP_1) | instskip(NEXT) | instid1(VALU_DEP_1)
	v_fmac_f32_e32 v83, v84, v72
	v_fma_f32 v71, -v71, v83, v82
	s_delay_alu instid0(VALU_DEP_1) | instskip(NEXT) | instid1(VALU_DEP_1)
	v_div_fmas_f32 v71, v71, v72, v83
	v_div_fixup_f32 v72, v71, v70, 1.0
	s_delay_alu instid0(VALU_DEP_1)
	v_mul_f32_e64 v73, v73, -v72
.LBB111_304:
	s_or_b32 exec_lo, exec_lo, s1
	ds_store_b64 v167, v[72:73]
.LBB111_305:
	s_or_b32 exec_lo, exec_lo, s2
	s_wait_dscnt 0x0
	s_barrier_signal -1
	s_barrier_wait -1
	ds_load_b64 v[70:71], v167
	s_mov_b32 s1, exec_lo
	v_cmpx_lt_u32_e32 33, v166
	s_cbranch_execz .LBB111_307
; %bb.306:
	ds_load_2addr_b64 v[84:87], v168 offset0:34 offset1:35
	s_wait_dscnt 0x1
	v_pk_mul_f32 v[82:83], v[70:71], v[142:143] op_sel:[1,1] op_sel_hi:[0,1]
	s_delay_alu instid0(VALU_DEP_1) | instskip(SKIP_1) | instid1(VALU_DEP_1)
	v_pk_fma_f32 v[72:73], v[70:71], v[142:143], v[82:83] op_sel_hi:[1,0,1] neg_lo:[0,0,1] neg_hi:[0,0,1]
	v_pk_fma_f32 v[82:83], v[70:71], v[142:143], v[82:83] op_sel_hi:[1,0,1]
	v_dual_mov_b32 v142, v72 :: v_dual_mov_b32 v143, v83
	s_wait_dscnt 0x0
	s_delay_alu instid0(VALU_DEP_2) | instskip(NEXT) | instid1(VALU_DEP_1)
	v_pk_mul_f32 v[88:89], v[84:85], v[82:83] op_sel:[0,1]
	v_pk_fma_f32 v[100:101], v[84:85], v[72:73], v[88:89] op_sel:[0,0,1] op_sel_hi:[1,1,0] neg_lo:[0,0,1] neg_hi:[0,0,1]
	v_pk_fma_f32 v[84:85], v[84:85], v[72:73], v[88:89] op_sel:[0,0,1] op_sel_hi:[1,0,0]
	s_delay_alu instid0(VALU_DEP_1) | instskip(SKIP_1) | instid1(VALU_DEP_1)
	v_mov_b32_e32 v101, v85
	v_pk_mul_f32 v[84:85], v[86:87], v[82:83] op_sel:[0,1]
	v_pk_fma_f32 v[88:89], v[86:87], v[72:73], v[84:85] op_sel:[0,0,1] op_sel_hi:[1,1,0] neg_lo:[0,0,1] neg_hi:[0,0,1]
	v_pk_fma_f32 v[84:85], v[86:87], v[72:73], v[84:85] op_sel:[0,0,1] op_sel_hi:[1,0,0]
	s_delay_alu instid0(VALU_DEP_1)
	v_mov_b32_e32 v89, v85
	ds_load_2addr_b64 v[84:87], v168 offset0:36 offset1:37
	v_pk_add_f32 v[144:145], v[144:145], v[100:101] neg_lo:[0,1] neg_hi:[0,1]
	v_pk_add_f32 v[140:141], v[140:141], v[88:89] neg_lo:[0,1] neg_hi:[0,1]
	s_wait_dscnt 0x0
	v_pk_mul_f32 v[88:89], v[84:85], v[82:83] op_sel:[0,1]
	s_delay_alu instid0(VALU_DEP_1) | instskip(SKIP_2) | instid1(VALU_DEP_2)
	v_pk_fma_f32 v[100:101], v[84:85], v[72:73], v[88:89] op_sel:[0,0,1] op_sel_hi:[1,1,0] neg_lo:[0,0,1] neg_hi:[0,0,1]
	v_pk_fma_f32 v[84:85], v[84:85], v[72:73], v[88:89] op_sel:[0,0,1] op_sel_hi:[1,0,0]
	v_dual_mul_f32 v88, v87, v83 :: v_dual_mov_b32 v84, v87
	v_dual_mov_b32 v101, v85 :: v_dual_mov_b32 v85, v86
	s_delay_alu instid0(VALU_DEP_2) | instskip(SKIP_1) | instid1(VALU_DEP_3)
	v_pk_fma_f32 v[88:89], v[86:87], v[142:143], v[88:89] op_sel_hi:[1,1,0] neg_lo:[0,0,1] neg_hi:[0,0,1]
	v_mul_f32_e32 v86, v87, v72
	v_pk_add_f32 v[162:163], v[162:163], v[100:101] neg_lo:[0,1] neg_hi:[0,1]
	s_delay_alu instid0(VALU_DEP_2) | instskip(NEXT) | instid1(VALU_DEP_1)
	v_pk_fma_f32 v[84:85], v[84:85], v[142:143], v[86:87] op_sel_hi:[1,1,0]
	v_mov_b32_e32 v89, v85
	ds_load_2addr_b64 v[84:87], v168 offset0:38 offset1:39
	v_pk_add_f32 v[158:159], v[158:159], v[88:89] neg_lo:[0,1] neg_hi:[0,1]
	s_wait_dscnt 0x0
	v_pk_mul_f32 v[88:89], v[84:85], v[82:83] op_sel:[0,1]
	s_delay_alu instid0(VALU_DEP_1) | instskip(SKIP_1) | instid1(VALU_DEP_1)
	v_pk_fma_f32 v[100:101], v[84:85], v[72:73], v[88:89] op_sel:[0,0,1] op_sel_hi:[1,1,0] neg_lo:[0,0,1] neg_hi:[0,0,1]
	v_pk_fma_f32 v[84:85], v[84:85], v[72:73], v[88:89] op_sel:[0,0,1] op_sel_hi:[1,0,0]
	v_mov_b32_e32 v101, v85
	v_pk_mul_f32 v[84:85], v[86:87], v[82:83] op_sel:[0,1]
	s_delay_alu instid0(VALU_DEP_1) | instskip(SKIP_1) | instid1(VALU_DEP_1)
	v_pk_fma_f32 v[88:89], v[86:87], v[72:73], v[84:85] op_sel:[0,0,1] op_sel_hi:[1,1,0] neg_lo:[0,0,1] neg_hi:[0,0,1]
	v_pk_fma_f32 v[84:85], v[86:87], v[72:73], v[84:85] op_sel:[0,0,1] op_sel_hi:[1,0,0]
	v_mov_b32_e32 v89, v85
	ds_load_2addr_b64 v[84:87], v168 offset0:40 offset1:41
	v_pk_add_f32 v[160:161], v[160:161], v[100:101] neg_lo:[0,1] neg_hi:[0,1]
	v_pk_add_f32 v[156:157], v[156:157], v[88:89] neg_lo:[0,1] neg_hi:[0,1]
	s_wait_dscnt 0x0
	v_pk_mul_f32 v[88:89], v[84:85], v[82:83] op_sel:[0,1]
	s_delay_alu instid0(VALU_DEP_1) | instskip(SKIP_1) | instid1(VALU_DEP_1)
	v_pk_fma_f32 v[100:101], v[84:85], v[72:73], v[88:89] op_sel:[0,0,1] op_sel_hi:[1,1,0] neg_lo:[0,0,1] neg_hi:[0,0,1]
	v_pk_fma_f32 v[84:85], v[84:85], v[72:73], v[88:89] op_sel:[0,0,1] op_sel_hi:[1,0,0]
	v_mov_b32_e32 v101, v85
	v_pk_mul_f32 v[84:85], v[86:87], v[82:83] op_sel:[0,1]
	s_delay_alu instid0(VALU_DEP_1) | instskip(SKIP_1) | instid1(VALU_DEP_1)
	v_pk_fma_f32 v[88:89], v[86:87], v[72:73], v[84:85] op_sel:[0,0,1] op_sel_hi:[1,1,0] neg_lo:[0,0,1] neg_hi:[0,0,1]
	v_pk_fma_f32 v[84:85], v[86:87], v[72:73], v[84:85] op_sel:[0,0,1] op_sel_hi:[1,0,0]
	v_mov_b32_e32 v89, v85
	ds_load_2addr_b64 v[84:87], v168 offset0:42 offset1:43
	v_pk_add_f32 v[178:179], v[178:179], v[100:101] neg_lo:[0,1] neg_hi:[0,1]
	v_pk_add_f32 v[174:175], v[174:175], v[88:89] neg_lo:[0,1] neg_hi:[0,1]
	s_wait_dscnt 0x0
	v_dual_mul_f32 v88, v85, v83 :: v_dual_mul_f32 v100, v85, v72
	s_delay_alu instid0(VALU_DEP_1) | instskip(NEXT) | instid1(VALU_DEP_2)
	v_pk_fma_f32 v[88:89], v[84:85], v[142:143], v[88:89] op_sel_hi:[1,1,0] neg_lo:[0,0,1] neg_hi:[0,0,1]
	v_pk_fma_f32 v[84:85], v[84:85], v[142:143], v[100:101] op_sel:[1,0,0] op_sel_hi:[0,1,0]
	s_delay_alu instid0(VALU_DEP_1) | instskip(SKIP_1) | instid1(VALU_DEP_2)
	v_mov_b32_e32 v89, v85
	v_pk_mul_f32 v[84:85], v[86:87], v[82:83] op_sel:[0,1]
	v_pk_add_f32 v[176:177], v[176:177], v[88:89] neg_lo:[0,1] neg_hi:[0,1]
	s_delay_alu instid0(VALU_DEP_2) | instskip(SKIP_1) | instid1(VALU_DEP_1)
	v_pk_fma_f32 v[88:89], v[86:87], v[72:73], v[84:85] op_sel:[0,0,1] op_sel_hi:[1,1,0] neg_lo:[0,0,1] neg_hi:[0,0,1]
	v_pk_fma_f32 v[84:85], v[86:87], v[72:73], v[84:85] op_sel:[0,0,1] op_sel_hi:[1,0,0]
	v_mov_b32_e32 v89, v85
	ds_load_2addr_b64 v[84:87], v168 offset0:44 offset1:45
	v_pk_add_f32 v[172:173], v[172:173], v[88:89] neg_lo:[0,1] neg_hi:[0,1]
	s_wait_dscnt 0x0
	v_pk_mul_f32 v[88:89], v[84:85], v[82:83] op_sel:[0,1]
	s_delay_alu instid0(VALU_DEP_1) | instskip(SKIP_1) | instid1(VALU_DEP_1)
	v_pk_fma_f32 v[100:101], v[84:85], v[72:73], v[88:89] op_sel:[0,0,1] op_sel_hi:[1,1,0] neg_lo:[0,0,1] neg_hi:[0,0,1]
	v_pk_fma_f32 v[84:85], v[84:85], v[72:73], v[88:89] op_sel:[0,0,1] op_sel_hi:[1,0,0]
	v_mov_b32_e32 v101, v85
	v_pk_mul_f32 v[84:85], v[86:87], v[82:83] op_sel:[0,1]
	s_delay_alu instid0(VALU_DEP_2) | instskip(NEXT) | instid1(VALU_DEP_2)
	v_pk_add_f32 v[198:199], v[198:199], v[100:101] neg_lo:[0,1] neg_hi:[0,1]
	v_pk_fma_f32 v[88:89], v[86:87], v[72:73], v[84:85] op_sel:[0,0,1] op_sel_hi:[1,1,0] neg_lo:[0,0,1] neg_hi:[0,0,1]
	v_pk_fma_f32 v[84:85], v[86:87], v[72:73], v[84:85] op_sel:[0,0,1] op_sel_hi:[1,0,0]
	s_delay_alu instid0(VALU_DEP_1) | instskip(SKIP_4) | instid1(VALU_DEP_1)
	v_mov_b32_e32 v89, v85
	ds_load_2addr_b64 v[84:87], v168 offset0:46 offset1:47
	v_pk_add_f32 v[194:195], v[194:195], v[88:89] neg_lo:[0,1] neg_hi:[0,1]
	s_wait_dscnt 0x0
	v_pk_mul_f32 v[88:89], v[84:85], v[82:83] op_sel:[0,1]
	v_pk_fma_f32 v[100:101], v[84:85], v[72:73], v[88:89] op_sel:[0,0,1] op_sel_hi:[1,1,0] neg_lo:[0,0,1] neg_hi:[0,0,1]
	v_pk_fma_f32 v[84:85], v[84:85], v[72:73], v[88:89] op_sel:[0,0,1] op_sel_hi:[1,0,0]
	v_dual_mul_f32 v88, v87, v83 :: v_dual_mov_b32 v84, v87
	s_delay_alu instid0(VALU_DEP_2) | instskip(NEXT) | instid1(VALU_DEP_2)
	v_dual_mov_b32 v101, v85 :: v_dual_mov_b32 v85, v86
	v_pk_fma_f32 v[88:89], v[86:87], v[142:143], v[88:89] op_sel_hi:[1,1,0] neg_lo:[0,0,1] neg_hi:[0,0,1]
	v_mul_f32_e32 v86, v87, v72
	s_delay_alu instid0(VALU_DEP_3) | instskip(NEXT) | instid1(VALU_DEP_2)
	v_pk_add_f32 v[196:197], v[196:197], v[100:101] neg_lo:[0,1] neg_hi:[0,1]
	v_pk_fma_f32 v[84:85], v[84:85], v[142:143], v[86:87] op_sel_hi:[1,1,0]
	s_delay_alu instid0(VALU_DEP_1) | instskip(SKIP_4) | instid1(VALU_DEP_1)
	v_mov_b32_e32 v89, v85
	ds_load_2addr_b64 v[84:87], v168 offset0:48 offset1:49
	v_pk_add_f32 v[192:193], v[192:193], v[88:89] neg_lo:[0,1] neg_hi:[0,1]
	s_wait_dscnt 0x0
	v_pk_mul_f32 v[88:89], v[84:85], v[82:83] op_sel:[0,1]
	v_pk_fma_f32 v[100:101], v[84:85], v[72:73], v[88:89] op_sel:[0,0,1] op_sel_hi:[1,1,0] neg_lo:[0,0,1] neg_hi:[0,0,1]
	v_pk_fma_f32 v[84:85], v[84:85], v[72:73], v[88:89] op_sel:[0,0,1] op_sel_hi:[1,0,0]
	s_delay_alu instid0(VALU_DEP_1) | instskip(SKIP_1) | instid1(VALU_DEP_1)
	v_mov_b32_e32 v101, v85
	v_pk_mul_f32 v[84:85], v[86:87], v[82:83] op_sel:[0,1]
	v_pk_fma_f32 v[88:89], v[86:87], v[72:73], v[84:85] op_sel:[0,0,1] op_sel_hi:[1,1,0] neg_lo:[0,0,1] neg_hi:[0,0,1]
	v_pk_fma_f32 v[84:85], v[86:87], v[72:73], v[84:85] op_sel:[0,0,1] op_sel_hi:[1,0,0]
	s_delay_alu instid0(VALU_DEP_1)
	v_mov_b32_e32 v89, v85
	ds_load_2addr_b64 v[84:87], v168 offset0:50 offset1:51
	v_pk_add_f32 v[220:221], v[220:221], v[100:101] neg_lo:[0,1] neg_hi:[0,1]
	v_pk_add_f32 v[214:215], v[214:215], v[88:89] neg_lo:[0,1] neg_hi:[0,1]
	s_wait_dscnt 0x0
	v_pk_mul_f32 v[88:89], v[84:85], v[82:83] op_sel:[0,1]
	s_delay_alu instid0(VALU_DEP_1) | instskip(SKIP_1) | instid1(VALU_DEP_1)
	v_pk_fma_f32 v[100:101], v[84:85], v[72:73], v[88:89] op_sel:[0,0,1] op_sel_hi:[1,1,0] neg_lo:[0,0,1] neg_hi:[0,0,1]
	v_pk_fma_f32 v[84:85], v[84:85], v[72:73], v[88:89] op_sel:[0,0,1] op_sel_hi:[1,0,0]
	v_mov_b32_e32 v101, v85
	v_pk_mul_f32 v[84:85], v[86:87], v[82:83] op_sel:[0,1]
	s_delay_alu instid0(VALU_DEP_1) | instskip(SKIP_1) | instid1(VALU_DEP_1)
	v_pk_fma_f32 v[88:89], v[86:87], v[72:73], v[84:85] op_sel:[0,0,1] op_sel_hi:[1,1,0] neg_lo:[0,0,1] neg_hi:[0,0,1]
	v_pk_fma_f32 v[84:85], v[86:87], v[72:73], v[84:85] op_sel:[0,0,1] op_sel_hi:[1,0,0]
	v_mov_b32_e32 v89, v85
	ds_load_2addr_b64 v[84:87], v168 offset0:52 offset1:53
	v_pk_add_f32 v[218:219], v[218:219], v[100:101] neg_lo:[0,1] neg_hi:[0,1]
	v_pk_add_f32 v[212:213], v[212:213], v[88:89] neg_lo:[0,1] neg_hi:[0,1]
	s_wait_dscnt 0x0
	v_dual_mul_f32 v88, v85, v83 :: v_dual_mul_f32 v100, v85, v72
	s_delay_alu instid0(VALU_DEP_1) | instskip(NEXT) | instid1(VALU_DEP_2)
	v_pk_fma_f32 v[88:89], v[84:85], v[142:143], v[88:89] op_sel_hi:[1,1,0] neg_lo:[0,0,1] neg_hi:[0,0,1]
	v_pk_fma_f32 v[84:85], v[84:85], v[142:143], v[100:101] op_sel:[1,0,0] op_sel_hi:[0,1,0]
	s_delay_alu instid0(VALU_DEP_1) | instskip(SKIP_1) | instid1(VALU_DEP_2)
	v_mov_b32_e32 v89, v85
	v_pk_mul_f32 v[84:85], v[86:87], v[82:83] op_sel:[0,1]
	v_pk_add_f32 v[216:217], v[216:217], v[88:89] neg_lo:[0,1] neg_hi:[0,1]
	s_delay_alu instid0(VALU_DEP_2) | instskip(SKIP_1) | instid1(VALU_DEP_1)
	v_pk_fma_f32 v[88:89], v[86:87], v[72:73], v[84:85] op_sel:[0,0,1] op_sel_hi:[1,1,0] neg_lo:[0,0,1] neg_hi:[0,0,1]
	v_pk_fma_f32 v[84:85], v[86:87], v[72:73], v[84:85] op_sel:[0,0,1] op_sel_hi:[1,0,0]
	v_mov_b32_e32 v89, v85
	ds_load_2addr_b64 v[84:87], v168 offset0:54 offset1:55
	v_pk_add_f32 v[210:211], v[210:211], v[88:89] neg_lo:[0,1] neg_hi:[0,1]
	s_wait_dscnt 0x0
	v_pk_mul_f32 v[88:89], v[84:85], v[82:83] op_sel:[0,1]
	v_pk_mul_f32 v[82:83], v[86:87], v[82:83] op_sel:[0,1]
	s_delay_alu instid0(VALU_DEP_2) | instskip(SKIP_1) | instid1(VALU_DEP_1)
	v_pk_fma_f32 v[100:101], v[84:85], v[72:73], v[88:89] op_sel:[0,0,1] op_sel_hi:[1,1,0] neg_lo:[0,0,1] neg_hi:[0,0,1]
	v_pk_fma_f32 v[84:85], v[84:85], v[72:73], v[88:89] op_sel:[0,0,1] op_sel_hi:[1,0,0]
	v_mov_b32_e32 v101, v85
	s_delay_alu instid0(VALU_DEP_4) | instskip(SKIP_1) | instid1(VALU_DEP_3)
	v_pk_fma_f32 v[84:85], v[86:87], v[72:73], v[82:83] op_sel:[0,0,1] op_sel_hi:[1,1,0] neg_lo:[0,0,1] neg_hi:[0,0,1]
	v_pk_fma_f32 v[72:73], v[86:87], v[72:73], v[82:83] op_sel:[0,0,1] op_sel_hi:[1,0,0]
	v_pk_add_f32 v[222:223], v[222:223], v[100:101] neg_lo:[0,1] neg_hi:[0,1]
	s_delay_alu instid0(VALU_DEP_2) | instskip(NEXT) | instid1(VALU_DEP_1)
	v_mov_b32_e32 v85, v73
	v_pk_add_f32 v[224:225], v[224:225], v[84:85] neg_lo:[0,1] neg_hi:[0,1]
.LBB111_307:
	s_or_b32 exec_lo, exec_lo, s1
	s_delay_alu instid0(SALU_CYCLE_1)
	s_mov_b32 s2, exec_lo
	s_wait_dscnt 0x0
	s_barrier_signal -1
	s_barrier_wait -1
	v_cmpx_eq_u32_e32 34, v166
	s_cbranch_execz .LBB111_314
; %bb.308:
	ds_store_b64 v167, v[144:145]
	ds_store_2addr_b64 v168, v[140:141], v[162:163] offset0:35 offset1:36
	ds_store_2addr_b64 v168, v[158:159], v[160:161] offset0:37 offset1:38
	;; [unrolled: 1-line block ×10, first 2 shown]
	ds_store_b64 v168, v[224:225] offset:440
	ds_load_b64 v[72:73], v167
	s_wait_dscnt 0x0
	v_cmp_neq_f32_e32 vcc_lo, 0, v72
	v_cmp_neq_f32_e64 s1, 0, v73
	s_or_b32 s1, vcc_lo, s1
	s_delay_alu instid0(SALU_CYCLE_1)
	s_and_b32 exec_lo, exec_lo, s1
	s_cbranch_execz .LBB111_314
; %bb.309:
	v_cmp_ngt_f32_e64 s1, |v72|, |v73|
                                        ; implicit-def: $vgpr82_vgpr83
	s_and_saveexec_b32 s4, s1
	s_delay_alu instid0(SALU_CYCLE_1)
	s_xor_b32 s1, exec_lo, s4
	s_cbranch_execz .LBB111_311
; %bb.310:
	v_div_scale_f32 v82, null, v73, v73, v72
	v_div_scale_f32 v85, vcc_lo, v72, v73, v72
	s_delay_alu instid0(VALU_DEP_2) | instskip(SKIP_1) | instid1(TRANS32_DEP_1)
	v_rcp_f32_e32 v83, v82
	v_nop
	v_fma_f32 v84, -v82, v83, 1.0
	s_delay_alu instid0(VALU_DEP_1) | instskip(NEXT) | instid1(VALU_DEP_1)
	v_fmac_f32_e32 v83, v84, v83
	v_mul_f32_e32 v84, v85, v83
	s_delay_alu instid0(VALU_DEP_1) | instskip(NEXT) | instid1(VALU_DEP_1)
	v_fma_f32 v86, -v82, v84, v85
	v_fmac_f32_e32 v84, v86, v83
	s_delay_alu instid0(VALU_DEP_1) | instskip(NEXT) | instid1(VALU_DEP_1)
	v_fma_f32 v82, -v82, v84, v85
	v_div_fmas_f32 v82, v82, v83, v84
	s_delay_alu instid0(VALU_DEP_1) | instskip(NEXT) | instid1(VALU_DEP_1)
	v_div_fixup_f32 v82, v82, v73, v72
	v_fmac_f32_e32 v73, v72, v82
	s_delay_alu instid0(VALU_DEP_1) | instskip(SKIP_1) | instid1(VALU_DEP_2)
	v_div_scale_f32 v72, null, v73, v73, 1.0
	v_div_scale_f32 v85, vcc_lo, 1.0, v73, 1.0
	v_rcp_f32_e32 v83, v72
	v_nop
	s_delay_alu instid0(TRANS32_DEP_1) | instskip(NEXT) | instid1(VALU_DEP_1)
	v_fma_f32 v84, -v72, v83, 1.0
	v_fmac_f32_e32 v83, v84, v83
	s_delay_alu instid0(VALU_DEP_1) | instskip(NEXT) | instid1(VALU_DEP_1)
	v_mul_f32_e32 v84, v85, v83
	v_fma_f32 v86, -v72, v84, v85
	s_delay_alu instid0(VALU_DEP_1) | instskip(NEXT) | instid1(VALU_DEP_1)
	v_fmac_f32_e32 v84, v86, v83
	v_fma_f32 v72, -v72, v84, v85
	s_delay_alu instid0(VALU_DEP_1) | instskip(NEXT) | instid1(VALU_DEP_1)
	v_div_fmas_f32 v72, v72, v83, v84
	v_div_fixup_f32 v72, v72, v73, 1.0
	s_delay_alu instid0(VALU_DEP_1)
	v_mul_f32_e32 v82, v82, v72
	v_xor_b32_e32 v83, 0x80000000, v72
                                        ; implicit-def: $vgpr72_vgpr73
.LBB111_311:
	s_and_not1_saveexec_b32 s1, s1
	s_cbranch_execz .LBB111_313
; %bb.312:
	v_div_scale_f32 v82, null, v72, v72, v73
	v_div_scale_f32 v85, vcc_lo, v73, v72, v73
	s_delay_alu instid0(VALU_DEP_2) | instskip(SKIP_1) | instid1(TRANS32_DEP_1)
	v_rcp_f32_e32 v83, v82
	v_nop
	v_fma_f32 v84, -v82, v83, 1.0
	s_delay_alu instid0(VALU_DEP_1) | instskip(NEXT) | instid1(VALU_DEP_1)
	v_fmac_f32_e32 v83, v84, v83
	v_mul_f32_e32 v84, v85, v83
	s_delay_alu instid0(VALU_DEP_1) | instskip(NEXT) | instid1(VALU_DEP_1)
	v_fma_f32 v86, -v82, v84, v85
	v_fmac_f32_e32 v84, v86, v83
	s_delay_alu instid0(VALU_DEP_1) | instskip(NEXT) | instid1(VALU_DEP_1)
	v_fma_f32 v82, -v82, v84, v85
	v_div_fmas_f32 v82, v82, v83, v84
	s_delay_alu instid0(VALU_DEP_1) | instskip(NEXT) | instid1(VALU_DEP_1)
	v_div_fixup_f32 v83, v82, v72, v73
	v_fmac_f32_e32 v72, v73, v83
	s_delay_alu instid0(VALU_DEP_1) | instskip(NEXT) | instid1(VALU_DEP_1)
	v_div_scale_f32 v73, null, v72, v72, 1.0
	v_rcp_f32_e32 v82, v73
	v_nop
	s_delay_alu instid0(TRANS32_DEP_1) | instskip(NEXT) | instid1(VALU_DEP_1)
	v_fma_f32 v84, -v73, v82, 1.0
	v_fmac_f32_e32 v82, v84, v82
	v_div_scale_f32 v84, vcc_lo, 1.0, v72, 1.0
	s_delay_alu instid0(VALU_DEP_1) | instskip(NEXT) | instid1(VALU_DEP_1)
	v_mul_f32_e32 v85, v84, v82
	v_fma_f32 v86, -v73, v85, v84
	s_delay_alu instid0(VALU_DEP_1) | instskip(NEXT) | instid1(VALU_DEP_1)
	v_fmac_f32_e32 v85, v86, v82
	v_fma_f32 v73, -v73, v85, v84
	s_delay_alu instid0(VALU_DEP_1) | instskip(NEXT) | instid1(VALU_DEP_1)
	v_div_fmas_f32 v73, v73, v82, v85
	v_div_fixup_f32 v82, v73, v72, 1.0
	s_delay_alu instid0(VALU_DEP_1)
	v_mul_f32_e64 v83, v83, -v82
.LBB111_313:
	s_or_b32 exec_lo, exec_lo, s1
	ds_store_b64 v167, v[82:83]
.LBB111_314:
	s_or_b32 exec_lo, exec_lo, s2
	s_wait_dscnt 0x0
	s_barrier_signal -1
	s_barrier_wait -1
	ds_load_b64 v[72:73], v167
	s_mov_b32 s1, exec_lo
	v_cmpx_lt_u32_e32 34, v166
	s_cbranch_execz .LBB111_316
; %bb.315:
	ds_load_2addr_b64 v[86:89], v168 offset0:35 offset1:36
	s_wait_dscnt 0x1
	v_pk_mul_f32 v[84:85], v[72:73], v[144:145] op_sel:[1,1] op_sel_hi:[0,1]
	s_delay_alu instid0(VALU_DEP_1) | instskip(SKIP_1) | instid1(VALU_DEP_1)
	v_pk_fma_f32 v[82:83], v[72:73], v[144:145], v[84:85] op_sel_hi:[1,0,1] neg_lo:[0,0,1] neg_hi:[0,0,1]
	v_pk_fma_f32 v[84:85], v[72:73], v[144:145], v[84:85] op_sel_hi:[1,0,1]
	v_dual_mov_b32 v144, v82 :: v_dual_mov_b32 v145, v85
	s_wait_dscnt 0x0
	s_delay_alu instid0(VALU_DEP_2) | instskip(NEXT) | instid1(VALU_DEP_1)
	v_pk_mul_f32 v[100:101], v[86:87], v[84:85] op_sel:[0,1]
	v_pk_fma_f32 v[102:103], v[86:87], v[82:83], v[100:101] op_sel:[0,0,1] op_sel_hi:[1,1,0] neg_lo:[0,0,1] neg_hi:[0,0,1]
	v_pk_fma_f32 v[86:87], v[86:87], v[82:83], v[100:101] op_sel:[0,0,1] op_sel_hi:[1,0,0]
	s_delay_alu instid0(VALU_DEP_1) | instskip(SKIP_1) | instid1(VALU_DEP_1)
	v_mov_b32_e32 v103, v87
	v_pk_mul_f32 v[86:87], v[88:89], v[84:85] op_sel:[0,1]
	v_pk_fma_f32 v[100:101], v[88:89], v[82:83], v[86:87] op_sel:[0,0,1] op_sel_hi:[1,1,0] neg_lo:[0,0,1] neg_hi:[0,0,1]
	v_pk_fma_f32 v[86:87], v[88:89], v[82:83], v[86:87] op_sel:[0,0,1] op_sel_hi:[1,0,0]
	s_delay_alu instid0(VALU_DEP_1)
	v_mov_b32_e32 v101, v87
	ds_load_2addr_b64 v[86:89], v168 offset0:37 offset1:38
	v_pk_add_f32 v[140:141], v[140:141], v[102:103] neg_lo:[0,1] neg_hi:[0,1]
	v_pk_add_f32 v[162:163], v[162:163], v[100:101] neg_lo:[0,1] neg_hi:[0,1]
	s_wait_dscnt 0x0
	v_pk_mul_f32 v[100:101], v[86:87], v[84:85] op_sel:[0,1]
	s_delay_alu instid0(VALU_DEP_1) | instskip(SKIP_2) | instid1(VALU_DEP_2)
	v_pk_fma_f32 v[102:103], v[86:87], v[82:83], v[100:101] op_sel:[0,0,1] op_sel_hi:[1,1,0] neg_lo:[0,0,1] neg_hi:[0,0,1]
	v_pk_fma_f32 v[86:87], v[86:87], v[82:83], v[100:101] op_sel:[0,0,1] op_sel_hi:[1,0,0]
	v_dual_mul_f32 v100, v89, v85 :: v_dual_mov_b32 v86, v89
	v_dual_mov_b32 v103, v87 :: v_dual_mov_b32 v87, v88
	s_delay_alu instid0(VALU_DEP_2) | instskip(SKIP_1) | instid1(VALU_DEP_3)
	v_pk_fma_f32 v[100:101], v[88:89], v[144:145], v[100:101] op_sel_hi:[1,1,0] neg_lo:[0,0,1] neg_hi:[0,0,1]
	v_mul_f32_e32 v88, v89, v82
	v_pk_add_f32 v[158:159], v[158:159], v[102:103] neg_lo:[0,1] neg_hi:[0,1]
	s_delay_alu instid0(VALU_DEP_2) | instskip(NEXT) | instid1(VALU_DEP_1)
	v_pk_fma_f32 v[86:87], v[86:87], v[144:145], v[88:89] op_sel_hi:[1,1,0]
	v_mov_b32_e32 v101, v87
	ds_load_2addr_b64 v[86:89], v168 offset0:39 offset1:40
	v_pk_add_f32 v[160:161], v[160:161], v[100:101] neg_lo:[0,1] neg_hi:[0,1]
	s_wait_dscnt 0x0
	v_pk_mul_f32 v[100:101], v[86:87], v[84:85] op_sel:[0,1]
	s_delay_alu instid0(VALU_DEP_1) | instskip(SKIP_1) | instid1(VALU_DEP_1)
	v_pk_fma_f32 v[102:103], v[86:87], v[82:83], v[100:101] op_sel:[0,0,1] op_sel_hi:[1,1,0] neg_lo:[0,0,1] neg_hi:[0,0,1]
	v_pk_fma_f32 v[86:87], v[86:87], v[82:83], v[100:101] op_sel:[0,0,1] op_sel_hi:[1,0,0]
	v_mov_b32_e32 v103, v87
	v_pk_mul_f32 v[86:87], v[88:89], v[84:85] op_sel:[0,1]
	s_delay_alu instid0(VALU_DEP_1) | instskip(SKIP_1) | instid1(VALU_DEP_1)
	v_pk_fma_f32 v[100:101], v[88:89], v[82:83], v[86:87] op_sel:[0,0,1] op_sel_hi:[1,1,0] neg_lo:[0,0,1] neg_hi:[0,0,1]
	v_pk_fma_f32 v[86:87], v[88:89], v[82:83], v[86:87] op_sel:[0,0,1] op_sel_hi:[1,0,0]
	v_mov_b32_e32 v101, v87
	ds_load_2addr_b64 v[86:89], v168 offset0:41 offset1:42
	v_pk_add_f32 v[156:157], v[156:157], v[102:103] neg_lo:[0,1] neg_hi:[0,1]
	v_pk_add_f32 v[178:179], v[178:179], v[100:101] neg_lo:[0,1] neg_hi:[0,1]
	s_wait_dscnt 0x0
	v_pk_mul_f32 v[100:101], v[86:87], v[84:85] op_sel:[0,1]
	s_delay_alu instid0(VALU_DEP_1) | instskip(SKIP_1) | instid1(VALU_DEP_1)
	v_pk_fma_f32 v[102:103], v[86:87], v[82:83], v[100:101] op_sel:[0,0,1] op_sel_hi:[1,1,0] neg_lo:[0,0,1] neg_hi:[0,0,1]
	v_pk_fma_f32 v[86:87], v[86:87], v[82:83], v[100:101] op_sel:[0,0,1] op_sel_hi:[1,0,0]
	v_mov_b32_e32 v103, v87
	v_pk_mul_f32 v[86:87], v[88:89], v[84:85] op_sel:[0,1]
	s_delay_alu instid0(VALU_DEP_1) | instskip(SKIP_1) | instid1(VALU_DEP_1)
	v_pk_fma_f32 v[100:101], v[88:89], v[82:83], v[86:87] op_sel:[0,0,1] op_sel_hi:[1,1,0] neg_lo:[0,0,1] neg_hi:[0,0,1]
	v_pk_fma_f32 v[86:87], v[88:89], v[82:83], v[86:87] op_sel:[0,0,1] op_sel_hi:[1,0,0]
	v_mov_b32_e32 v101, v87
	ds_load_2addr_b64 v[86:89], v168 offset0:43 offset1:44
	v_pk_add_f32 v[174:175], v[174:175], v[102:103] neg_lo:[0,1] neg_hi:[0,1]
	v_pk_add_f32 v[176:177], v[176:177], v[100:101] neg_lo:[0,1] neg_hi:[0,1]
	s_wait_dscnt 0x0
	v_dual_mul_f32 v100, v87, v85 :: v_dual_mul_f32 v102, v87, v82
	s_delay_alu instid0(VALU_DEP_1) | instskip(NEXT) | instid1(VALU_DEP_2)
	v_pk_fma_f32 v[100:101], v[86:87], v[144:145], v[100:101] op_sel_hi:[1,1,0] neg_lo:[0,0,1] neg_hi:[0,0,1]
	v_pk_fma_f32 v[86:87], v[86:87], v[144:145], v[102:103] op_sel:[1,0,0] op_sel_hi:[0,1,0]
	s_delay_alu instid0(VALU_DEP_1) | instskip(SKIP_1) | instid1(VALU_DEP_2)
	v_mov_b32_e32 v101, v87
	v_pk_mul_f32 v[86:87], v[88:89], v[84:85] op_sel:[0,1]
	v_pk_add_f32 v[172:173], v[172:173], v[100:101] neg_lo:[0,1] neg_hi:[0,1]
	s_delay_alu instid0(VALU_DEP_2) | instskip(SKIP_1) | instid1(VALU_DEP_1)
	v_pk_fma_f32 v[100:101], v[88:89], v[82:83], v[86:87] op_sel:[0,0,1] op_sel_hi:[1,1,0] neg_lo:[0,0,1] neg_hi:[0,0,1]
	v_pk_fma_f32 v[86:87], v[88:89], v[82:83], v[86:87] op_sel:[0,0,1] op_sel_hi:[1,0,0]
	v_mov_b32_e32 v101, v87
	ds_load_2addr_b64 v[86:89], v168 offset0:45 offset1:46
	v_pk_add_f32 v[198:199], v[198:199], v[100:101] neg_lo:[0,1] neg_hi:[0,1]
	s_wait_dscnt 0x0
	v_pk_mul_f32 v[100:101], v[86:87], v[84:85] op_sel:[0,1]
	s_delay_alu instid0(VALU_DEP_1) | instskip(SKIP_1) | instid1(VALU_DEP_1)
	v_pk_fma_f32 v[102:103], v[86:87], v[82:83], v[100:101] op_sel:[0,0,1] op_sel_hi:[1,1,0] neg_lo:[0,0,1] neg_hi:[0,0,1]
	v_pk_fma_f32 v[86:87], v[86:87], v[82:83], v[100:101] op_sel:[0,0,1] op_sel_hi:[1,0,0]
	v_mov_b32_e32 v103, v87
	v_pk_mul_f32 v[86:87], v[88:89], v[84:85] op_sel:[0,1]
	s_delay_alu instid0(VALU_DEP_2) | instskip(NEXT) | instid1(VALU_DEP_2)
	v_pk_add_f32 v[194:195], v[194:195], v[102:103] neg_lo:[0,1] neg_hi:[0,1]
	v_pk_fma_f32 v[100:101], v[88:89], v[82:83], v[86:87] op_sel:[0,0,1] op_sel_hi:[1,1,0] neg_lo:[0,0,1] neg_hi:[0,0,1]
	v_pk_fma_f32 v[86:87], v[88:89], v[82:83], v[86:87] op_sel:[0,0,1] op_sel_hi:[1,0,0]
	s_delay_alu instid0(VALU_DEP_1) | instskip(SKIP_4) | instid1(VALU_DEP_1)
	v_mov_b32_e32 v101, v87
	ds_load_2addr_b64 v[86:89], v168 offset0:47 offset1:48
	v_pk_add_f32 v[196:197], v[196:197], v[100:101] neg_lo:[0,1] neg_hi:[0,1]
	s_wait_dscnt 0x0
	v_pk_mul_f32 v[100:101], v[86:87], v[84:85] op_sel:[0,1]
	v_pk_fma_f32 v[102:103], v[86:87], v[82:83], v[100:101] op_sel:[0,0,1] op_sel_hi:[1,1,0] neg_lo:[0,0,1] neg_hi:[0,0,1]
	v_pk_fma_f32 v[86:87], v[86:87], v[82:83], v[100:101] op_sel:[0,0,1] op_sel_hi:[1,0,0]
	v_dual_mul_f32 v100, v89, v85 :: v_dual_mov_b32 v86, v89
	s_delay_alu instid0(VALU_DEP_2) | instskip(NEXT) | instid1(VALU_DEP_2)
	v_dual_mov_b32 v103, v87 :: v_dual_mov_b32 v87, v88
	v_pk_fma_f32 v[100:101], v[88:89], v[144:145], v[100:101] op_sel_hi:[1,1,0] neg_lo:[0,0,1] neg_hi:[0,0,1]
	v_mul_f32_e32 v88, v89, v82
	s_delay_alu instid0(VALU_DEP_3) | instskip(NEXT) | instid1(VALU_DEP_2)
	v_pk_add_f32 v[192:193], v[192:193], v[102:103] neg_lo:[0,1] neg_hi:[0,1]
	v_pk_fma_f32 v[86:87], v[86:87], v[144:145], v[88:89] op_sel_hi:[1,1,0]
	s_delay_alu instid0(VALU_DEP_1) | instskip(SKIP_4) | instid1(VALU_DEP_1)
	v_mov_b32_e32 v101, v87
	ds_load_2addr_b64 v[86:89], v168 offset0:49 offset1:50
	v_pk_add_f32 v[220:221], v[220:221], v[100:101] neg_lo:[0,1] neg_hi:[0,1]
	s_wait_dscnt 0x0
	v_pk_mul_f32 v[100:101], v[86:87], v[84:85] op_sel:[0,1]
	v_pk_fma_f32 v[102:103], v[86:87], v[82:83], v[100:101] op_sel:[0,0,1] op_sel_hi:[1,1,0] neg_lo:[0,0,1] neg_hi:[0,0,1]
	v_pk_fma_f32 v[86:87], v[86:87], v[82:83], v[100:101] op_sel:[0,0,1] op_sel_hi:[1,0,0]
	s_delay_alu instid0(VALU_DEP_1) | instskip(SKIP_1) | instid1(VALU_DEP_1)
	v_mov_b32_e32 v103, v87
	v_pk_mul_f32 v[86:87], v[88:89], v[84:85] op_sel:[0,1]
	v_pk_fma_f32 v[100:101], v[88:89], v[82:83], v[86:87] op_sel:[0,0,1] op_sel_hi:[1,1,0] neg_lo:[0,0,1] neg_hi:[0,0,1]
	v_pk_fma_f32 v[86:87], v[88:89], v[82:83], v[86:87] op_sel:[0,0,1] op_sel_hi:[1,0,0]
	s_delay_alu instid0(VALU_DEP_1)
	v_mov_b32_e32 v101, v87
	ds_load_2addr_b64 v[86:89], v168 offset0:51 offset1:52
	v_pk_add_f32 v[214:215], v[214:215], v[102:103] neg_lo:[0,1] neg_hi:[0,1]
	v_pk_add_f32 v[218:219], v[218:219], v[100:101] neg_lo:[0,1] neg_hi:[0,1]
	s_wait_dscnt 0x0
	v_pk_mul_f32 v[100:101], v[86:87], v[84:85] op_sel:[0,1]
	s_delay_alu instid0(VALU_DEP_1) | instskip(SKIP_1) | instid1(VALU_DEP_1)
	v_pk_fma_f32 v[102:103], v[86:87], v[82:83], v[100:101] op_sel:[0,0,1] op_sel_hi:[1,1,0] neg_lo:[0,0,1] neg_hi:[0,0,1]
	v_pk_fma_f32 v[86:87], v[86:87], v[82:83], v[100:101] op_sel:[0,0,1] op_sel_hi:[1,0,0]
	v_mov_b32_e32 v103, v87
	v_pk_mul_f32 v[86:87], v[88:89], v[84:85] op_sel:[0,1]
	s_delay_alu instid0(VALU_DEP_1) | instskip(SKIP_1) | instid1(VALU_DEP_1)
	v_pk_fma_f32 v[100:101], v[88:89], v[82:83], v[86:87] op_sel:[0,0,1] op_sel_hi:[1,1,0] neg_lo:[0,0,1] neg_hi:[0,0,1]
	v_pk_fma_f32 v[86:87], v[88:89], v[82:83], v[86:87] op_sel:[0,0,1] op_sel_hi:[1,0,0]
	v_mov_b32_e32 v101, v87
	ds_load_2addr_b64 v[86:89], v168 offset0:53 offset1:54
	v_pk_add_f32 v[212:213], v[212:213], v[102:103] neg_lo:[0,1] neg_hi:[0,1]
	v_pk_add_f32 v[216:217], v[216:217], v[100:101] neg_lo:[0,1] neg_hi:[0,1]
	s_wait_dscnt 0x0
	v_dual_mul_f32 v100, v87, v85 :: v_dual_mul_f32 v102, v87, v82
	s_delay_alu instid0(VALU_DEP_1) | instskip(NEXT) | instid1(VALU_DEP_2)
	v_pk_fma_f32 v[100:101], v[86:87], v[144:145], v[100:101] op_sel_hi:[1,1,0] neg_lo:[0,0,1] neg_hi:[0,0,1]
	v_pk_fma_f32 v[86:87], v[86:87], v[144:145], v[102:103] op_sel:[1,0,0] op_sel_hi:[0,1,0]
	s_delay_alu instid0(VALU_DEP_1) | instskip(SKIP_1) | instid1(VALU_DEP_2)
	v_mov_b32_e32 v101, v87
	v_pk_mul_f32 v[86:87], v[88:89], v[84:85] op_sel:[0,1]
	v_pk_add_f32 v[210:211], v[210:211], v[100:101] neg_lo:[0,1] neg_hi:[0,1]
	s_delay_alu instid0(VALU_DEP_2) | instskip(SKIP_1) | instid1(VALU_DEP_1)
	v_pk_fma_f32 v[100:101], v[88:89], v[82:83], v[86:87] op_sel:[0,0,1] op_sel_hi:[1,1,0] neg_lo:[0,0,1] neg_hi:[0,0,1]
	v_pk_fma_f32 v[86:87], v[88:89], v[82:83], v[86:87] op_sel:[0,0,1] op_sel_hi:[1,0,0]
	v_mov_b32_e32 v101, v87
	ds_load_b64 v[86:87], v168 offset:440
	v_pk_add_f32 v[222:223], v[222:223], v[100:101] neg_lo:[0,1] neg_hi:[0,1]
	s_wait_dscnt 0x0
	v_pk_mul_f32 v[84:85], v[86:87], v[84:85] op_sel:[0,1]
	s_delay_alu instid0(VALU_DEP_1) | instskip(SKIP_1) | instid1(VALU_DEP_1)
	v_pk_fma_f32 v[88:89], v[86:87], v[82:83], v[84:85] op_sel:[0,0,1] op_sel_hi:[1,1,0] neg_lo:[0,0,1] neg_hi:[0,0,1]
	v_pk_fma_f32 v[82:83], v[86:87], v[82:83], v[84:85] op_sel:[0,0,1] op_sel_hi:[1,0,0]
	v_mov_b32_e32 v89, v83
	s_delay_alu instid0(VALU_DEP_1)
	v_pk_add_f32 v[224:225], v[224:225], v[88:89] neg_lo:[0,1] neg_hi:[0,1]
.LBB111_316:
	s_or_b32 exec_lo, exec_lo, s1
	s_delay_alu instid0(SALU_CYCLE_1)
	s_mov_b32 s2, exec_lo
	s_wait_dscnt 0x0
	s_barrier_signal -1
	s_barrier_wait -1
	v_cmpx_eq_u32_e32 35, v166
	s_cbranch_execz .LBB111_323
; %bb.317:
	v_dual_mov_b32 v82, v162 :: v_dual_mov_b32 v83, v163
	v_dual_mov_b32 v84, v158 :: v_dual_mov_b32 v85, v159
	ds_store_b64 v167, v[140:141]
	ds_store_2addr_b64 v168, v[82:83], v[84:85] offset0:36 offset1:37
	v_dual_mov_b32 v82, v160 :: v_dual_mov_b32 v83, v161
	v_dual_mov_b32 v84, v156 :: v_dual_mov_b32 v85, v157
	ds_store_2addr_b64 v168, v[82:83], v[84:85] offset0:38 offset1:39
	v_dual_mov_b32 v82, v178 :: v_dual_mov_b32 v83, v179
	v_dual_mov_b32 v84, v174 :: v_dual_mov_b32 v85, v175
	ds_store_2addr_b64 v168, v[82:83], v[84:85] offset0:40 offset1:41
	v_dual_mov_b32 v82, v176 :: v_dual_mov_b32 v83, v177
	v_dual_mov_b32 v84, v172 :: v_dual_mov_b32 v85, v173
	ds_store_2addr_b64 v168, v[82:83], v[84:85] offset0:42 offset1:43
	v_dual_mov_b32 v82, v198 :: v_dual_mov_b32 v83, v199
	v_dual_mov_b32 v84, v194 :: v_dual_mov_b32 v85, v195
	ds_store_2addr_b64 v168, v[82:83], v[84:85] offset0:44 offset1:45
	v_dual_mov_b32 v82, v196 :: v_dual_mov_b32 v83, v197
	v_dual_mov_b32 v84, v192 :: v_dual_mov_b32 v85, v193
	ds_store_2addr_b64 v168, v[82:83], v[84:85] offset0:46 offset1:47
	v_dual_mov_b32 v82, v220 :: v_dual_mov_b32 v83, v221
	v_dual_mov_b32 v84, v214 :: v_dual_mov_b32 v85, v215
	ds_store_2addr_b64 v168, v[82:83], v[84:85] offset0:48 offset1:49
	v_dual_mov_b32 v82, v218 :: v_dual_mov_b32 v83, v219
	v_dual_mov_b32 v84, v212 :: v_dual_mov_b32 v85, v213
	ds_store_2addr_b64 v168, v[82:83], v[84:85] offset0:50 offset1:51
	v_dual_mov_b32 v82, v216 :: v_dual_mov_b32 v83, v217
	v_dual_mov_b32 v84, v210 :: v_dual_mov_b32 v85, v211
	ds_store_2addr_b64 v168, v[82:83], v[84:85] offset0:52 offset1:53
	v_dual_mov_b32 v82, v222 :: v_dual_mov_b32 v83, v223
	ds_store_2addr_b64 v168, v[82:83], v[224:225] offset0:54 offset1:55
	ds_load_b64 v[82:83], v167
	s_wait_dscnt 0x0
	v_cmp_neq_f32_e32 vcc_lo, 0, v82
	v_cmp_neq_f32_e64 s1, 0, v83
	s_or_b32 s1, vcc_lo, s1
	s_delay_alu instid0(SALU_CYCLE_1)
	s_and_b32 exec_lo, exec_lo, s1
	s_cbranch_execz .LBB111_323
; %bb.318:
	v_cmp_ngt_f32_e64 s1, |v82|, |v83|
                                        ; implicit-def: $vgpr84_vgpr85
	s_and_saveexec_b32 s4, s1
	s_delay_alu instid0(SALU_CYCLE_1)
	s_xor_b32 s1, exec_lo, s4
	s_cbranch_execz .LBB111_320
; %bb.319:
	v_div_scale_f32 v84, null, v83, v83, v82
	v_div_scale_f32 v87, vcc_lo, v82, v83, v82
	s_delay_alu instid0(VALU_DEP_2) | instskip(SKIP_1) | instid1(TRANS32_DEP_1)
	v_rcp_f32_e32 v85, v84
	v_nop
	v_fma_f32 v86, -v84, v85, 1.0
	s_delay_alu instid0(VALU_DEP_1) | instskip(NEXT) | instid1(VALU_DEP_1)
	v_fmac_f32_e32 v85, v86, v85
	v_mul_f32_e32 v86, v87, v85
	s_delay_alu instid0(VALU_DEP_1) | instskip(NEXT) | instid1(VALU_DEP_1)
	v_fma_f32 v88, -v84, v86, v87
	v_fmac_f32_e32 v86, v88, v85
	s_delay_alu instid0(VALU_DEP_1) | instskip(NEXT) | instid1(VALU_DEP_1)
	v_fma_f32 v84, -v84, v86, v87
	v_div_fmas_f32 v84, v84, v85, v86
	s_delay_alu instid0(VALU_DEP_1) | instskip(NEXT) | instid1(VALU_DEP_1)
	v_div_fixup_f32 v84, v84, v83, v82
	v_fmac_f32_e32 v83, v82, v84
	s_delay_alu instid0(VALU_DEP_1) | instskip(SKIP_1) | instid1(VALU_DEP_2)
	v_div_scale_f32 v82, null, v83, v83, 1.0
	v_div_scale_f32 v87, vcc_lo, 1.0, v83, 1.0
	v_rcp_f32_e32 v85, v82
	v_nop
	s_delay_alu instid0(TRANS32_DEP_1) | instskip(NEXT) | instid1(VALU_DEP_1)
	v_fma_f32 v86, -v82, v85, 1.0
	v_fmac_f32_e32 v85, v86, v85
	s_delay_alu instid0(VALU_DEP_1) | instskip(NEXT) | instid1(VALU_DEP_1)
	v_mul_f32_e32 v86, v87, v85
	v_fma_f32 v88, -v82, v86, v87
	s_delay_alu instid0(VALU_DEP_1) | instskip(NEXT) | instid1(VALU_DEP_1)
	v_fmac_f32_e32 v86, v88, v85
	v_fma_f32 v82, -v82, v86, v87
	s_delay_alu instid0(VALU_DEP_1) | instskip(NEXT) | instid1(VALU_DEP_1)
	v_div_fmas_f32 v82, v82, v85, v86
	v_div_fixup_f32 v82, v82, v83, 1.0
	s_delay_alu instid0(VALU_DEP_1)
	v_mul_f32_e32 v84, v84, v82
	v_xor_b32_e32 v85, 0x80000000, v82
                                        ; implicit-def: $vgpr82_vgpr83
.LBB111_320:
	s_and_not1_saveexec_b32 s1, s1
	s_cbranch_execz .LBB111_322
; %bb.321:
	v_div_scale_f32 v84, null, v82, v82, v83
	v_div_scale_f32 v87, vcc_lo, v83, v82, v83
	s_delay_alu instid0(VALU_DEP_2) | instskip(SKIP_1) | instid1(TRANS32_DEP_1)
	v_rcp_f32_e32 v85, v84
	v_nop
	v_fma_f32 v86, -v84, v85, 1.0
	s_delay_alu instid0(VALU_DEP_1) | instskip(NEXT) | instid1(VALU_DEP_1)
	v_fmac_f32_e32 v85, v86, v85
	v_mul_f32_e32 v86, v87, v85
	s_delay_alu instid0(VALU_DEP_1) | instskip(NEXT) | instid1(VALU_DEP_1)
	v_fma_f32 v88, -v84, v86, v87
	v_fmac_f32_e32 v86, v88, v85
	s_delay_alu instid0(VALU_DEP_1) | instskip(NEXT) | instid1(VALU_DEP_1)
	v_fma_f32 v84, -v84, v86, v87
	v_div_fmas_f32 v84, v84, v85, v86
	s_delay_alu instid0(VALU_DEP_1) | instskip(NEXT) | instid1(VALU_DEP_1)
	v_div_fixup_f32 v85, v84, v82, v83
	v_fmac_f32_e32 v82, v83, v85
	s_delay_alu instid0(VALU_DEP_1) | instskip(NEXT) | instid1(VALU_DEP_1)
	v_div_scale_f32 v83, null, v82, v82, 1.0
	v_rcp_f32_e32 v84, v83
	v_nop
	s_delay_alu instid0(TRANS32_DEP_1) | instskip(NEXT) | instid1(VALU_DEP_1)
	v_fma_f32 v86, -v83, v84, 1.0
	v_fmac_f32_e32 v84, v86, v84
	v_div_scale_f32 v86, vcc_lo, 1.0, v82, 1.0
	s_delay_alu instid0(VALU_DEP_1) | instskip(NEXT) | instid1(VALU_DEP_1)
	v_mul_f32_e32 v87, v86, v84
	v_fma_f32 v88, -v83, v87, v86
	s_delay_alu instid0(VALU_DEP_1) | instskip(NEXT) | instid1(VALU_DEP_1)
	v_fmac_f32_e32 v87, v88, v84
	v_fma_f32 v83, -v83, v87, v86
	s_delay_alu instid0(VALU_DEP_1) | instskip(NEXT) | instid1(VALU_DEP_1)
	v_div_fmas_f32 v83, v83, v84, v87
	v_div_fixup_f32 v84, v83, v82, 1.0
	s_delay_alu instid0(VALU_DEP_1)
	v_mul_f32_e64 v85, v85, -v84
.LBB111_322:
	s_or_b32 exec_lo, exec_lo, s1
	ds_store_b64 v167, v[84:85]
.LBB111_323:
	s_or_b32 exec_lo, exec_lo, s2
	s_wait_dscnt 0x0
	s_barrier_signal -1
	s_barrier_wait -1
	ds_load_b64 v[82:83], v167
	s_mov_b32 s1, exec_lo
	v_cmpx_lt_u32_e32 35, v166
	s_cbranch_execz .LBB111_325
; %bb.324:
	ds_load_2addr_b64 v[100:103], v168 offset0:36 offset1:37
	s_wait_dscnt 0x1
	v_pk_mul_f32 v[86:87], v[82:83], v[140:141] op_sel:[1,1] op_sel_hi:[0,1]
	s_delay_alu instid0(VALU_DEP_1) | instskip(SKIP_1) | instid1(VALU_DEP_1)
	v_pk_fma_f32 v[84:85], v[82:83], v[140:141], v[86:87] op_sel_hi:[1,0,1] neg_lo:[0,0,1] neg_hi:[0,0,1]
	v_pk_fma_f32 v[86:87], v[82:83], v[140:141], v[86:87] op_sel_hi:[1,0,1]
	v_dual_mov_b32 v140, v84 :: v_dual_mov_b32 v141, v87
	s_wait_dscnt 0x0
	s_delay_alu instid0(VALU_DEP_2) | instskip(NEXT) | instid1(VALU_DEP_1)
	v_pk_mul_f32 v[88:89], v[100:101], v[86:87] op_sel:[0,1]
	v_pk_fma_f32 v[104:105], v[100:101], v[84:85], v[88:89] op_sel:[0,0,1] op_sel_hi:[1,1,0] neg_lo:[0,0,1] neg_hi:[0,0,1]
	v_pk_fma_f32 v[88:89], v[100:101], v[84:85], v[88:89] op_sel:[0,0,1] op_sel_hi:[1,0,0]
	s_delay_alu instid0(VALU_DEP_1) | instskip(SKIP_1) | instid1(VALU_DEP_1)
	v_mov_b32_e32 v105, v89
	v_pk_mul_f32 v[88:89], v[102:103], v[86:87] op_sel:[0,1]
	v_pk_fma_f32 v[100:101], v[102:103], v[84:85], v[88:89] op_sel:[0,0,1] op_sel_hi:[1,1,0] neg_lo:[0,0,1] neg_hi:[0,0,1]
	v_pk_fma_f32 v[88:89], v[102:103], v[84:85], v[88:89] op_sel:[0,0,1] op_sel_hi:[1,0,0]
	s_delay_alu instid0(VALU_DEP_1) | instskip(SKIP_1) | instid1(VALU_DEP_2)
	v_mov_b32_e32 v101, v89
	v_pk_add_f32 v[162:163], v[162:163], v[104:105] neg_lo:[0,1] neg_hi:[0,1]
	v_pk_add_f32 v[158:159], v[158:159], v[100:101] neg_lo:[0,1] neg_hi:[0,1]
	ds_load_2addr_b64 v[100:103], v168 offset0:38 offset1:39
	s_wait_dscnt 0x0
	v_pk_mul_f32 v[88:89], v[100:101], v[86:87] op_sel:[0,1]
	s_delay_alu instid0(VALU_DEP_1) | instskip(SKIP_2) | instid1(VALU_DEP_2)
	v_pk_fma_f32 v[104:105], v[100:101], v[84:85], v[88:89] op_sel:[0,0,1] op_sel_hi:[1,1,0] neg_lo:[0,0,1] neg_hi:[0,0,1]
	v_pk_fma_f32 v[88:89], v[100:101], v[84:85], v[88:89] op_sel:[0,0,1] op_sel_hi:[1,0,0]
	v_dual_mul_f32 v100, v103, v87 :: v_dual_mov_b32 v88, v103
	v_dual_mov_b32 v105, v89 :: v_dual_mov_b32 v89, v102
	s_delay_alu instid0(VALU_DEP_2) | instskip(SKIP_1) | instid1(VALU_DEP_3)
	v_pk_fma_f32 v[100:101], v[102:103], v[140:141], v[100:101] op_sel_hi:[1,1,0] neg_lo:[0,0,1] neg_hi:[0,0,1]
	v_mul_f32_e32 v102, v103, v84
	v_pk_add_f32 v[160:161], v[160:161], v[104:105] neg_lo:[0,1] neg_hi:[0,1]
	s_delay_alu instid0(VALU_DEP_2) | instskip(NEXT) | instid1(VALU_DEP_1)
	v_pk_fma_f32 v[88:89], v[88:89], v[140:141], v[102:103] op_sel_hi:[1,1,0]
	v_mov_b32_e32 v101, v89
	s_delay_alu instid0(VALU_DEP_1) | instskip(SKIP_3) | instid1(VALU_DEP_1)
	v_pk_add_f32 v[156:157], v[156:157], v[100:101] neg_lo:[0,1] neg_hi:[0,1]
	ds_load_2addr_b64 v[100:103], v168 offset0:40 offset1:41
	s_wait_dscnt 0x0
	v_pk_mul_f32 v[88:89], v[100:101], v[86:87] op_sel:[0,1]
	v_pk_fma_f32 v[104:105], v[100:101], v[84:85], v[88:89] op_sel:[0,0,1] op_sel_hi:[1,1,0] neg_lo:[0,0,1] neg_hi:[0,0,1]
	v_pk_fma_f32 v[88:89], v[100:101], v[84:85], v[88:89] op_sel:[0,0,1] op_sel_hi:[1,0,0]
	s_delay_alu instid0(VALU_DEP_1) | instskip(SKIP_1) | instid1(VALU_DEP_1)
	v_mov_b32_e32 v105, v89
	v_pk_mul_f32 v[88:89], v[102:103], v[86:87] op_sel:[0,1]
	v_pk_fma_f32 v[100:101], v[102:103], v[84:85], v[88:89] op_sel:[0,0,1] op_sel_hi:[1,1,0] neg_lo:[0,0,1] neg_hi:[0,0,1]
	v_pk_fma_f32 v[88:89], v[102:103], v[84:85], v[88:89] op_sel:[0,0,1] op_sel_hi:[1,0,0]
	s_delay_alu instid0(VALU_DEP_1) | instskip(SKIP_1) | instid1(VALU_DEP_2)
	v_mov_b32_e32 v101, v89
	v_pk_add_f32 v[178:179], v[178:179], v[104:105] neg_lo:[0,1] neg_hi:[0,1]
	v_pk_add_f32 v[174:175], v[174:175], v[100:101] neg_lo:[0,1] neg_hi:[0,1]
	ds_load_2addr_b64 v[100:103], v168 offset0:42 offset1:43
	s_wait_dscnt 0x0
	v_pk_mul_f32 v[88:89], v[100:101], v[86:87] op_sel:[0,1]
	s_delay_alu instid0(VALU_DEP_1) | instskip(SKIP_1) | instid1(VALU_DEP_1)
	v_pk_fma_f32 v[104:105], v[100:101], v[84:85], v[88:89] op_sel:[0,0,1] op_sel_hi:[1,1,0] neg_lo:[0,0,1] neg_hi:[0,0,1]
	v_pk_fma_f32 v[88:89], v[100:101], v[84:85], v[88:89] op_sel:[0,0,1] op_sel_hi:[1,0,0]
	v_mov_b32_e32 v105, v89
	v_pk_mul_f32 v[88:89], v[102:103], v[86:87] op_sel:[0,1]
	s_delay_alu instid0(VALU_DEP_1) | instskip(SKIP_1) | instid1(VALU_DEP_1)
	v_pk_fma_f32 v[100:101], v[102:103], v[84:85], v[88:89] op_sel:[0,0,1] op_sel_hi:[1,1,0] neg_lo:[0,0,1] neg_hi:[0,0,1]
	v_pk_fma_f32 v[88:89], v[102:103], v[84:85], v[88:89] op_sel:[0,0,1] op_sel_hi:[1,0,0]
	v_mov_b32_e32 v101, v89
	v_pk_add_f32 v[176:177], v[176:177], v[104:105] neg_lo:[0,1] neg_hi:[0,1]
	s_delay_alu instid0(VALU_DEP_2) | instskip(SKIP_3) | instid1(VALU_DEP_1)
	v_pk_add_f32 v[172:173], v[172:173], v[100:101] neg_lo:[0,1] neg_hi:[0,1]
	ds_load_2addr_b64 v[100:103], v168 offset0:44 offset1:45
	s_wait_dscnt 0x0
	v_dual_mul_f32 v88, v101, v87 :: v_dual_mul_f32 v104, v101, v84
	v_pk_fma_f32 v[88:89], v[100:101], v[140:141], v[88:89] op_sel_hi:[1,1,0] neg_lo:[0,0,1] neg_hi:[0,0,1]
	s_delay_alu instid0(VALU_DEP_2) | instskip(NEXT) | instid1(VALU_DEP_1)
	v_pk_fma_f32 v[100:101], v[100:101], v[140:141], v[104:105] op_sel:[1,0,0] op_sel_hi:[0,1,0]
	v_mov_b32_e32 v89, v101
	s_delay_alu instid0(VALU_DEP_1) | instskip(SKIP_1) | instid1(VALU_DEP_1)
	v_pk_add_f32 v[198:199], v[198:199], v[88:89] neg_lo:[0,1] neg_hi:[0,1]
	v_pk_mul_f32 v[88:89], v[102:103], v[86:87] op_sel:[0,1]
	v_pk_fma_f32 v[100:101], v[102:103], v[84:85], v[88:89] op_sel:[0,0,1] op_sel_hi:[1,1,0] neg_lo:[0,0,1] neg_hi:[0,0,1]
	v_pk_fma_f32 v[88:89], v[102:103], v[84:85], v[88:89] op_sel:[0,0,1] op_sel_hi:[1,0,0]
	s_delay_alu instid0(VALU_DEP_1) | instskip(NEXT) | instid1(VALU_DEP_1)
	v_mov_b32_e32 v101, v89
	v_pk_add_f32 v[194:195], v[194:195], v[100:101] neg_lo:[0,1] neg_hi:[0,1]
	ds_load_2addr_b64 v[100:103], v168 offset0:46 offset1:47
	s_wait_dscnt 0x0
	v_pk_mul_f32 v[88:89], v[100:101], v[86:87] op_sel:[0,1]
	s_delay_alu instid0(VALU_DEP_1) | instskip(SKIP_1) | instid1(VALU_DEP_1)
	v_pk_fma_f32 v[104:105], v[100:101], v[84:85], v[88:89] op_sel:[0,0,1] op_sel_hi:[1,1,0] neg_lo:[0,0,1] neg_hi:[0,0,1]
	v_pk_fma_f32 v[88:89], v[100:101], v[84:85], v[88:89] op_sel:[0,0,1] op_sel_hi:[1,0,0]
	v_mov_b32_e32 v105, v89
	v_pk_mul_f32 v[88:89], v[102:103], v[86:87] op_sel:[0,1]
	s_delay_alu instid0(VALU_DEP_2) | instskip(NEXT) | instid1(VALU_DEP_2)
	v_pk_add_f32 v[196:197], v[196:197], v[104:105] neg_lo:[0,1] neg_hi:[0,1]
	v_pk_fma_f32 v[100:101], v[102:103], v[84:85], v[88:89] op_sel:[0,0,1] op_sel_hi:[1,1,0] neg_lo:[0,0,1] neg_hi:[0,0,1]
	v_pk_fma_f32 v[88:89], v[102:103], v[84:85], v[88:89] op_sel:[0,0,1] op_sel_hi:[1,0,0]
	s_delay_alu instid0(VALU_DEP_1) | instskip(NEXT) | instid1(VALU_DEP_1)
	v_mov_b32_e32 v101, v89
	v_pk_add_f32 v[192:193], v[192:193], v[100:101] neg_lo:[0,1] neg_hi:[0,1]
	ds_load_2addr_b64 v[100:103], v168 offset0:48 offset1:49
	s_wait_dscnt 0x0
	v_pk_mul_f32 v[88:89], v[100:101], v[86:87] op_sel:[0,1]
	s_delay_alu instid0(VALU_DEP_1) | instskip(SKIP_2) | instid1(VALU_DEP_2)
	v_pk_fma_f32 v[104:105], v[100:101], v[84:85], v[88:89] op_sel:[0,0,1] op_sel_hi:[1,1,0] neg_lo:[0,0,1] neg_hi:[0,0,1]
	v_pk_fma_f32 v[88:89], v[100:101], v[84:85], v[88:89] op_sel:[0,0,1] op_sel_hi:[1,0,0]
	v_dual_mul_f32 v100, v103, v87 :: v_dual_mov_b32 v88, v103
	v_dual_mov_b32 v105, v89 :: v_dual_mov_b32 v89, v102
	s_delay_alu instid0(VALU_DEP_2) | instskip(SKIP_1) | instid1(VALU_DEP_3)
	v_pk_fma_f32 v[100:101], v[102:103], v[140:141], v[100:101] op_sel_hi:[1,1,0] neg_lo:[0,0,1] neg_hi:[0,0,1]
	v_mul_f32_e32 v102, v103, v84
	v_pk_add_f32 v[220:221], v[220:221], v[104:105] neg_lo:[0,1] neg_hi:[0,1]
	s_delay_alu instid0(VALU_DEP_2) | instskip(NEXT) | instid1(VALU_DEP_1)
	v_pk_fma_f32 v[88:89], v[88:89], v[140:141], v[102:103] op_sel_hi:[1,1,0]
	v_mov_b32_e32 v101, v89
	s_delay_alu instid0(VALU_DEP_1) | instskip(SKIP_3) | instid1(VALU_DEP_1)
	v_pk_add_f32 v[214:215], v[214:215], v[100:101] neg_lo:[0,1] neg_hi:[0,1]
	ds_load_2addr_b64 v[100:103], v168 offset0:50 offset1:51
	s_wait_dscnt 0x0
	v_pk_mul_f32 v[88:89], v[100:101], v[86:87] op_sel:[0,1]
	v_pk_fma_f32 v[104:105], v[100:101], v[84:85], v[88:89] op_sel:[0,0,1] op_sel_hi:[1,1,0] neg_lo:[0,0,1] neg_hi:[0,0,1]
	v_pk_fma_f32 v[88:89], v[100:101], v[84:85], v[88:89] op_sel:[0,0,1] op_sel_hi:[1,0,0]
	s_delay_alu instid0(VALU_DEP_1) | instskip(SKIP_1) | instid1(VALU_DEP_1)
	v_mov_b32_e32 v105, v89
	v_pk_mul_f32 v[88:89], v[102:103], v[86:87] op_sel:[0,1]
	v_pk_fma_f32 v[100:101], v[102:103], v[84:85], v[88:89] op_sel:[0,0,1] op_sel_hi:[1,1,0] neg_lo:[0,0,1] neg_hi:[0,0,1]
	v_pk_fma_f32 v[88:89], v[102:103], v[84:85], v[88:89] op_sel:[0,0,1] op_sel_hi:[1,0,0]
	s_delay_alu instid0(VALU_DEP_1) | instskip(SKIP_1) | instid1(VALU_DEP_2)
	v_mov_b32_e32 v101, v89
	v_pk_add_f32 v[218:219], v[218:219], v[104:105] neg_lo:[0,1] neg_hi:[0,1]
	v_pk_add_f32 v[212:213], v[212:213], v[100:101] neg_lo:[0,1] neg_hi:[0,1]
	ds_load_2addr_b64 v[100:103], v168 offset0:52 offset1:53
	s_wait_dscnt 0x0
	v_pk_mul_f32 v[88:89], v[100:101], v[86:87] op_sel:[0,1]
	s_delay_alu instid0(VALU_DEP_1) | instskip(SKIP_1) | instid1(VALU_DEP_1)
	v_pk_fma_f32 v[104:105], v[100:101], v[84:85], v[88:89] op_sel:[0,0,1] op_sel_hi:[1,1,0] neg_lo:[0,0,1] neg_hi:[0,0,1]
	v_pk_fma_f32 v[88:89], v[100:101], v[84:85], v[88:89] op_sel:[0,0,1] op_sel_hi:[1,0,0]
	v_mov_b32_e32 v105, v89
	v_pk_mul_f32 v[88:89], v[102:103], v[86:87] op_sel:[0,1]
	s_delay_alu instid0(VALU_DEP_1) | instskip(SKIP_1) | instid1(VALU_DEP_1)
	v_pk_fma_f32 v[100:101], v[102:103], v[84:85], v[88:89] op_sel:[0,0,1] op_sel_hi:[1,1,0] neg_lo:[0,0,1] neg_hi:[0,0,1]
	v_pk_fma_f32 v[88:89], v[102:103], v[84:85], v[88:89] op_sel:[0,0,1] op_sel_hi:[1,0,0]
	v_mov_b32_e32 v101, v89
	v_pk_add_f32 v[216:217], v[216:217], v[104:105] neg_lo:[0,1] neg_hi:[0,1]
	s_delay_alu instid0(VALU_DEP_2) | instskip(SKIP_4) | instid1(VALU_DEP_2)
	v_pk_add_f32 v[210:211], v[210:211], v[100:101] neg_lo:[0,1] neg_hi:[0,1]
	ds_load_2addr_b64 v[100:103], v168 offset0:54 offset1:55
	s_wait_dscnt 0x0
	v_dual_mul_f32 v88, v101, v87 :: v_dual_mul_f32 v104, v101, v84
	v_pk_mul_f32 v[86:87], v[102:103], v[86:87] op_sel:[0,1]
	v_pk_fma_f32 v[88:89], v[100:101], v[140:141], v[88:89] op_sel_hi:[1,1,0] neg_lo:[0,0,1] neg_hi:[0,0,1]
	s_delay_alu instid0(VALU_DEP_3) | instskip(NEXT) | instid1(VALU_DEP_1)
	v_pk_fma_f32 v[100:101], v[100:101], v[140:141], v[104:105] op_sel:[1,0,0] op_sel_hi:[0,1,0]
	v_mov_b32_e32 v89, v101
	s_delay_alu instid0(VALU_DEP_1) | instskip(SKIP_2) | instid1(VALU_DEP_1)
	v_pk_add_f32 v[222:223], v[222:223], v[88:89] neg_lo:[0,1] neg_hi:[0,1]
	v_pk_fma_f32 v[88:89], v[102:103], v[84:85], v[86:87] op_sel:[0,0,1] op_sel_hi:[1,1,0] neg_lo:[0,0,1] neg_hi:[0,0,1]
	v_pk_fma_f32 v[84:85], v[102:103], v[84:85], v[86:87] op_sel:[0,0,1] op_sel_hi:[1,0,0]
	v_mov_b32_e32 v89, v85
	s_delay_alu instid0(VALU_DEP_1)
	v_pk_add_f32 v[224:225], v[224:225], v[88:89] neg_lo:[0,1] neg_hi:[0,1]
.LBB111_325:
	s_or_b32 exec_lo, exec_lo, s1
	s_delay_alu instid0(SALU_CYCLE_1)
	s_mov_b32 s2, exec_lo
	s_wait_dscnt 0x0
	s_barrier_signal -1
	s_barrier_wait -1
	v_cmpx_eq_u32_e32 36, v166
	s_cbranch_execz .LBB111_332
; %bb.326:
	ds_store_b64 v167, v[162:163]
	ds_store_2addr_b64 v168, v[158:159], v[160:161] offset0:37 offset1:38
	ds_store_2addr_b64 v168, v[156:157], v[178:179] offset0:39 offset1:40
	;; [unrolled: 1-line block ×9, first 2 shown]
	ds_store_b64 v168, v[224:225] offset:440
	ds_load_b64 v[84:85], v167
	s_wait_dscnt 0x0
	v_cmp_neq_f32_e32 vcc_lo, 0, v84
	v_cmp_neq_f32_e64 s1, 0, v85
	s_or_b32 s1, vcc_lo, s1
	s_delay_alu instid0(SALU_CYCLE_1)
	s_and_b32 exec_lo, exec_lo, s1
	s_cbranch_execz .LBB111_332
; %bb.327:
	v_cmp_ngt_f32_e64 s1, |v84|, |v85|
                                        ; implicit-def: $vgpr86_vgpr87
	s_and_saveexec_b32 s4, s1
	s_delay_alu instid0(SALU_CYCLE_1)
	s_xor_b32 s1, exec_lo, s4
	s_cbranch_execz .LBB111_329
; %bb.328:
	v_div_scale_f32 v86, null, v85, v85, v84
	v_div_scale_f32 v89, vcc_lo, v84, v85, v84
	s_delay_alu instid0(VALU_DEP_2) | instskip(SKIP_1) | instid1(TRANS32_DEP_1)
	v_rcp_f32_e32 v87, v86
	v_nop
	v_fma_f32 v88, -v86, v87, 1.0
	s_delay_alu instid0(VALU_DEP_1) | instskip(NEXT) | instid1(VALU_DEP_1)
	v_fmac_f32_e32 v87, v88, v87
	v_mul_f32_e32 v88, v89, v87
	s_delay_alu instid0(VALU_DEP_1) | instskip(NEXT) | instid1(VALU_DEP_1)
	v_fma_f32 v100, -v86, v88, v89
	v_fmac_f32_e32 v88, v100, v87
	s_delay_alu instid0(VALU_DEP_1) | instskip(NEXT) | instid1(VALU_DEP_1)
	v_fma_f32 v86, -v86, v88, v89
	v_div_fmas_f32 v86, v86, v87, v88
	s_delay_alu instid0(VALU_DEP_1) | instskip(NEXT) | instid1(VALU_DEP_1)
	v_div_fixup_f32 v86, v86, v85, v84
	v_fmac_f32_e32 v85, v84, v86
	s_delay_alu instid0(VALU_DEP_1) | instskip(SKIP_1) | instid1(VALU_DEP_2)
	v_div_scale_f32 v84, null, v85, v85, 1.0
	v_div_scale_f32 v89, vcc_lo, 1.0, v85, 1.0
	v_rcp_f32_e32 v87, v84
	v_nop
	s_delay_alu instid0(TRANS32_DEP_1) | instskip(NEXT) | instid1(VALU_DEP_1)
	v_fma_f32 v88, -v84, v87, 1.0
	v_fmac_f32_e32 v87, v88, v87
	s_delay_alu instid0(VALU_DEP_1) | instskip(NEXT) | instid1(VALU_DEP_1)
	v_mul_f32_e32 v88, v89, v87
	v_fma_f32 v100, -v84, v88, v89
	s_delay_alu instid0(VALU_DEP_1) | instskip(NEXT) | instid1(VALU_DEP_1)
	v_fmac_f32_e32 v88, v100, v87
	v_fma_f32 v84, -v84, v88, v89
	s_delay_alu instid0(VALU_DEP_1) | instskip(NEXT) | instid1(VALU_DEP_1)
	v_div_fmas_f32 v84, v84, v87, v88
	v_div_fixup_f32 v84, v84, v85, 1.0
	s_delay_alu instid0(VALU_DEP_1)
	v_mul_f32_e32 v86, v86, v84
	v_xor_b32_e32 v87, 0x80000000, v84
                                        ; implicit-def: $vgpr84_vgpr85
.LBB111_329:
	s_and_not1_saveexec_b32 s1, s1
	s_cbranch_execz .LBB111_331
; %bb.330:
	v_div_scale_f32 v86, null, v84, v84, v85
	v_div_scale_f32 v89, vcc_lo, v85, v84, v85
	s_delay_alu instid0(VALU_DEP_2) | instskip(SKIP_1) | instid1(TRANS32_DEP_1)
	v_rcp_f32_e32 v87, v86
	v_nop
	v_fma_f32 v88, -v86, v87, 1.0
	s_delay_alu instid0(VALU_DEP_1) | instskip(NEXT) | instid1(VALU_DEP_1)
	v_fmac_f32_e32 v87, v88, v87
	v_mul_f32_e32 v88, v89, v87
	s_delay_alu instid0(VALU_DEP_1) | instskip(NEXT) | instid1(VALU_DEP_1)
	v_fma_f32 v100, -v86, v88, v89
	v_fmac_f32_e32 v88, v100, v87
	s_delay_alu instid0(VALU_DEP_1) | instskip(NEXT) | instid1(VALU_DEP_1)
	v_fma_f32 v86, -v86, v88, v89
	v_div_fmas_f32 v86, v86, v87, v88
	s_delay_alu instid0(VALU_DEP_1) | instskip(NEXT) | instid1(VALU_DEP_1)
	v_div_fixup_f32 v87, v86, v84, v85
	v_fmac_f32_e32 v84, v85, v87
	s_delay_alu instid0(VALU_DEP_1) | instskip(NEXT) | instid1(VALU_DEP_1)
	v_div_scale_f32 v85, null, v84, v84, 1.0
	v_rcp_f32_e32 v86, v85
	v_nop
	s_delay_alu instid0(TRANS32_DEP_1) | instskip(NEXT) | instid1(VALU_DEP_1)
	v_fma_f32 v88, -v85, v86, 1.0
	v_fmac_f32_e32 v86, v88, v86
	v_div_scale_f32 v88, vcc_lo, 1.0, v84, 1.0
	s_delay_alu instid0(VALU_DEP_1) | instskip(NEXT) | instid1(VALU_DEP_1)
	v_mul_f32_e32 v89, v88, v86
	v_fma_f32 v100, -v85, v89, v88
	s_delay_alu instid0(VALU_DEP_1) | instskip(NEXT) | instid1(VALU_DEP_1)
	v_fmac_f32_e32 v89, v100, v86
	v_fma_f32 v85, -v85, v89, v88
	s_delay_alu instid0(VALU_DEP_1) | instskip(NEXT) | instid1(VALU_DEP_1)
	v_div_fmas_f32 v85, v85, v86, v89
	v_div_fixup_f32 v86, v85, v84, 1.0
	s_delay_alu instid0(VALU_DEP_1)
	v_mul_f32_e64 v87, v87, -v86
.LBB111_331:
	s_or_b32 exec_lo, exec_lo, s1
	ds_store_b64 v167, v[86:87]
.LBB111_332:
	s_or_b32 exec_lo, exec_lo, s2
	s_wait_dscnt 0x0
	s_barrier_signal -1
	s_barrier_wait -1
	ds_load_b64 v[84:85], v167
	s_mov_b32 s1, exec_lo
	v_cmpx_lt_u32_e32 36, v166
	s_cbranch_execz .LBB111_334
; %bb.333:
	ds_load_2addr_b64 v[100:103], v168 offset0:37 offset1:38
	s_wait_dscnt 0x1
	v_pk_mul_f32 v[88:89], v[84:85], v[162:163] op_sel:[1,1] op_sel_hi:[0,1]
	s_delay_alu instid0(VALU_DEP_1) | instskip(SKIP_1) | instid1(VALU_DEP_1)
	v_pk_fma_f32 v[86:87], v[84:85], v[162:163], v[88:89] op_sel_hi:[1,0,1] neg_lo:[0,0,1] neg_hi:[0,0,1]
	v_pk_fma_f32 v[88:89], v[84:85], v[162:163], v[88:89] op_sel_hi:[1,0,1]
	v_dual_mov_b32 v162, v86 :: v_dual_mov_b32 v163, v89
	s_wait_dscnt 0x0
	s_delay_alu instid0(VALU_DEP_2) | instskip(NEXT) | instid1(VALU_DEP_1)
	v_pk_mul_f32 v[104:105], v[100:101], v[88:89] op_sel:[0,1]
	v_pk_fma_f32 v[106:107], v[100:101], v[86:87], v[104:105] op_sel:[0,0,1] op_sel_hi:[1,1,0] neg_lo:[0,0,1] neg_hi:[0,0,1]
	v_pk_fma_f32 v[100:101], v[100:101], v[86:87], v[104:105] op_sel:[0,0,1] op_sel_hi:[1,0,0]
	s_delay_alu instid0(VALU_DEP_1) | instskip(SKIP_1) | instid1(VALU_DEP_1)
	v_mov_b32_e32 v107, v101
	v_pk_mul_f32 v[100:101], v[102:103], v[88:89] op_sel:[0,1]
	v_pk_fma_f32 v[104:105], v[102:103], v[86:87], v[100:101] op_sel:[0,0,1] op_sel_hi:[1,1,0] neg_lo:[0,0,1] neg_hi:[0,0,1]
	v_pk_fma_f32 v[100:101], v[102:103], v[86:87], v[100:101] op_sel:[0,0,1] op_sel_hi:[1,0,0]
	s_delay_alu instid0(VALU_DEP_1)
	v_mov_b32_e32 v105, v101
	ds_load_2addr_b64 v[100:103], v168 offset0:39 offset1:40
	v_pk_add_f32 v[158:159], v[158:159], v[106:107] neg_lo:[0,1] neg_hi:[0,1]
	v_pk_add_f32 v[160:161], v[160:161], v[104:105] neg_lo:[0,1] neg_hi:[0,1]
	s_wait_dscnt 0x0
	v_pk_mul_f32 v[104:105], v[100:101], v[88:89] op_sel:[0,1]
	s_delay_alu instid0(VALU_DEP_1) | instskip(SKIP_2) | instid1(VALU_DEP_2)
	v_pk_fma_f32 v[106:107], v[100:101], v[86:87], v[104:105] op_sel:[0,0,1] op_sel_hi:[1,1,0] neg_lo:[0,0,1] neg_hi:[0,0,1]
	v_pk_fma_f32 v[100:101], v[100:101], v[86:87], v[104:105] op_sel:[0,0,1] op_sel_hi:[1,0,0]
	v_dual_mul_f32 v104, v103, v89 :: v_dual_mov_b32 v100, v103
	v_dual_mov_b32 v107, v101 :: v_dual_mov_b32 v101, v102
	s_delay_alu instid0(VALU_DEP_2) | instskip(SKIP_1) | instid1(VALU_DEP_3)
	v_pk_fma_f32 v[104:105], v[102:103], v[162:163], v[104:105] op_sel_hi:[1,1,0] neg_lo:[0,0,1] neg_hi:[0,0,1]
	v_mul_f32_e32 v102, v103, v86
	v_pk_add_f32 v[156:157], v[156:157], v[106:107] neg_lo:[0,1] neg_hi:[0,1]
	s_delay_alu instid0(VALU_DEP_2) | instskip(NEXT) | instid1(VALU_DEP_1)
	v_pk_fma_f32 v[100:101], v[100:101], v[162:163], v[102:103] op_sel_hi:[1,1,0]
	v_mov_b32_e32 v105, v101
	ds_load_2addr_b64 v[100:103], v168 offset0:41 offset1:42
	v_pk_add_f32 v[178:179], v[178:179], v[104:105] neg_lo:[0,1] neg_hi:[0,1]
	s_wait_dscnt 0x0
	v_pk_mul_f32 v[104:105], v[100:101], v[88:89] op_sel:[0,1]
	s_delay_alu instid0(VALU_DEP_1) | instskip(SKIP_1) | instid1(VALU_DEP_1)
	v_pk_fma_f32 v[106:107], v[100:101], v[86:87], v[104:105] op_sel:[0,0,1] op_sel_hi:[1,1,0] neg_lo:[0,0,1] neg_hi:[0,0,1]
	v_pk_fma_f32 v[100:101], v[100:101], v[86:87], v[104:105] op_sel:[0,0,1] op_sel_hi:[1,0,0]
	v_mov_b32_e32 v107, v101
	v_pk_mul_f32 v[100:101], v[102:103], v[88:89] op_sel:[0,1]
	s_delay_alu instid0(VALU_DEP_1) | instskip(SKIP_1) | instid1(VALU_DEP_1)
	v_pk_fma_f32 v[104:105], v[102:103], v[86:87], v[100:101] op_sel:[0,0,1] op_sel_hi:[1,1,0] neg_lo:[0,0,1] neg_hi:[0,0,1]
	v_pk_fma_f32 v[100:101], v[102:103], v[86:87], v[100:101] op_sel:[0,0,1] op_sel_hi:[1,0,0]
	v_mov_b32_e32 v105, v101
	ds_load_2addr_b64 v[100:103], v168 offset0:43 offset1:44
	v_pk_add_f32 v[174:175], v[174:175], v[106:107] neg_lo:[0,1] neg_hi:[0,1]
	v_pk_add_f32 v[176:177], v[176:177], v[104:105] neg_lo:[0,1] neg_hi:[0,1]
	s_wait_dscnt 0x0
	v_pk_mul_f32 v[104:105], v[100:101], v[88:89] op_sel:[0,1]
	s_delay_alu instid0(VALU_DEP_1) | instskip(SKIP_1) | instid1(VALU_DEP_1)
	v_pk_fma_f32 v[106:107], v[100:101], v[86:87], v[104:105] op_sel:[0,0,1] op_sel_hi:[1,1,0] neg_lo:[0,0,1] neg_hi:[0,0,1]
	v_pk_fma_f32 v[100:101], v[100:101], v[86:87], v[104:105] op_sel:[0,0,1] op_sel_hi:[1,0,0]
	v_mov_b32_e32 v107, v101
	v_pk_mul_f32 v[100:101], v[102:103], v[88:89] op_sel:[0,1]
	s_delay_alu instid0(VALU_DEP_1) | instskip(SKIP_1) | instid1(VALU_DEP_1)
	v_pk_fma_f32 v[104:105], v[102:103], v[86:87], v[100:101] op_sel:[0,0,1] op_sel_hi:[1,1,0] neg_lo:[0,0,1] neg_hi:[0,0,1]
	v_pk_fma_f32 v[100:101], v[102:103], v[86:87], v[100:101] op_sel:[0,0,1] op_sel_hi:[1,0,0]
	v_mov_b32_e32 v105, v101
	ds_load_2addr_b64 v[100:103], v168 offset0:45 offset1:46
	v_pk_add_f32 v[172:173], v[172:173], v[106:107] neg_lo:[0,1] neg_hi:[0,1]
	v_pk_add_f32 v[198:199], v[198:199], v[104:105] neg_lo:[0,1] neg_hi:[0,1]
	s_wait_dscnt 0x0
	v_dual_mul_f32 v104, v101, v89 :: v_dual_mul_f32 v106, v101, v86
	s_delay_alu instid0(VALU_DEP_1) | instskip(NEXT) | instid1(VALU_DEP_2)
	v_pk_fma_f32 v[104:105], v[100:101], v[162:163], v[104:105] op_sel_hi:[1,1,0] neg_lo:[0,0,1] neg_hi:[0,0,1]
	v_pk_fma_f32 v[100:101], v[100:101], v[162:163], v[106:107] op_sel:[1,0,0] op_sel_hi:[0,1,0]
	s_delay_alu instid0(VALU_DEP_1) | instskip(SKIP_1) | instid1(VALU_DEP_2)
	v_mov_b32_e32 v105, v101
	v_pk_mul_f32 v[100:101], v[102:103], v[88:89] op_sel:[0,1]
	v_pk_add_f32 v[194:195], v[194:195], v[104:105] neg_lo:[0,1] neg_hi:[0,1]
	s_delay_alu instid0(VALU_DEP_2) | instskip(SKIP_1) | instid1(VALU_DEP_1)
	v_pk_fma_f32 v[104:105], v[102:103], v[86:87], v[100:101] op_sel:[0,0,1] op_sel_hi:[1,1,0] neg_lo:[0,0,1] neg_hi:[0,0,1]
	v_pk_fma_f32 v[100:101], v[102:103], v[86:87], v[100:101] op_sel:[0,0,1] op_sel_hi:[1,0,0]
	v_mov_b32_e32 v105, v101
	ds_load_2addr_b64 v[100:103], v168 offset0:47 offset1:48
	v_pk_add_f32 v[196:197], v[196:197], v[104:105] neg_lo:[0,1] neg_hi:[0,1]
	s_wait_dscnt 0x0
	v_pk_mul_f32 v[104:105], v[100:101], v[88:89] op_sel:[0,1]
	s_delay_alu instid0(VALU_DEP_1) | instskip(SKIP_1) | instid1(VALU_DEP_1)
	v_pk_fma_f32 v[106:107], v[100:101], v[86:87], v[104:105] op_sel:[0,0,1] op_sel_hi:[1,1,0] neg_lo:[0,0,1] neg_hi:[0,0,1]
	v_pk_fma_f32 v[100:101], v[100:101], v[86:87], v[104:105] op_sel:[0,0,1] op_sel_hi:[1,0,0]
	v_mov_b32_e32 v107, v101
	v_pk_mul_f32 v[100:101], v[102:103], v[88:89] op_sel:[0,1]
	s_delay_alu instid0(VALU_DEP_2) | instskip(NEXT) | instid1(VALU_DEP_2)
	v_pk_add_f32 v[192:193], v[192:193], v[106:107] neg_lo:[0,1] neg_hi:[0,1]
	v_pk_fma_f32 v[104:105], v[102:103], v[86:87], v[100:101] op_sel:[0,0,1] op_sel_hi:[1,1,0] neg_lo:[0,0,1] neg_hi:[0,0,1]
	v_pk_fma_f32 v[100:101], v[102:103], v[86:87], v[100:101] op_sel:[0,0,1] op_sel_hi:[1,0,0]
	s_delay_alu instid0(VALU_DEP_1) | instskip(SKIP_4) | instid1(VALU_DEP_1)
	v_mov_b32_e32 v105, v101
	ds_load_2addr_b64 v[100:103], v168 offset0:49 offset1:50
	v_pk_add_f32 v[220:221], v[220:221], v[104:105] neg_lo:[0,1] neg_hi:[0,1]
	s_wait_dscnt 0x0
	v_pk_mul_f32 v[104:105], v[100:101], v[88:89] op_sel:[0,1]
	v_pk_fma_f32 v[106:107], v[100:101], v[86:87], v[104:105] op_sel:[0,0,1] op_sel_hi:[1,1,0] neg_lo:[0,0,1] neg_hi:[0,0,1]
	v_pk_fma_f32 v[100:101], v[100:101], v[86:87], v[104:105] op_sel:[0,0,1] op_sel_hi:[1,0,0]
	v_dual_mul_f32 v104, v103, v89 :: v_dual_mov_b32 v100, v103
	s_delay_alu instid0(VALU_DEP_2) | instskip(NEXT) | instid1(VALU_DEP_2)
	v_dual_mov_b32 v107, v101 :: v_dual_mov_b32 v101, v102
	v_pk_fma_f32 v[104:105], v[102:103], v[162:163], v[104:105] op_sel_hi:[1,1,0] neg_lo:[0,0,1] neg_hi:[0,0,1]
	v_mul_f32_e32 v102, v103, v86
	s_delay_alu instid0(VALU_DEP_3) | instskip(NEXT) | instid1(VALU_DEP_2)
	v_pk_add_f32 v[214:215], v[214:215], v[106:107] neg_lo:[0,1] neg_hi:[0,1]
	v_pk_fma_f32 v[100:101], v[100:101], v[162:163], v[102:103] op_sel_hi:[1,1,0]
	s_delay_alu instid0(VALU_DEP_1) | instskip(SKIP_4) | instid1(VALU_DEP_1)
	v_mov_b32_e32 v105, v101
	ds_load_2addr_b64 v[100:103], v168 offset0:51 offset1:52
	v_pk_add_f32 v[218:219], v[218:219], v[104:105] neg_lo:[0,1] neg_hi:[0,1]
	s_wait_dscnt 0x0
	v_pk_mul_f32 v[104:105], v[100:101], v[88:89] op_sel:[0,1]
	v_pk_fma_f32 v[106:107], v[100:101], v[86:87], v[104:105] op_sel:[0,0,1] op_sel_hi:[1,1,0] neg_lo:[0,0,1] neg_hi:[0,0,1]
	v_pk_fma_f32 v[100:101], v[100:101], v[86:87], v[104:105] op_sel:[0,0,1] op_sel_hi:[1,0,0]
	s_delay_alu instid0(VALU_DEP_1) | instskip(SKIP_1) | instid1(VALU_DEP_1)
	v_mov_b32_e32 v107, v101
	v_pk_mul_f32 v[100:101], v[102:103], v[88:89] op_sel:[0,1]
	v_pk_fma_f32 v[104:105], v[102:103], v[86:87], v[100:101] op_sel:[0,0,1] op_sel_hi:[1,1,0] neg_lo:[0,0,1] neg_hi:[0,0,1]
	v_pk_fma_f32 v[100:101], v[102:103], v[86:87], v[100:101] op_sel:[0,0,1] op_sel_hi:[1,0,0]
	s_delay_alu instid0(VALU_DEP_1)
	v_mov_b32_e32 v105, v101
	ds_load_2addr_b64 v[100:103], v168 offset0:53 offset1:54
	v_pk_add_f32 v[212:213], v[212:213], v[106:107] neg_lo:[0,1] neg_hi:[0,1]
	v_pk_add_f32 v[216:217], v[216:217], v[104:105] neg_lo:[0,1] neg_hi:[0,1]
	s_wait_dscnt 0x0
	v_pk_mul_f32 v[104:105], v[100:101], v[88:89] op_sel:[0,1]
	s_delay_alu instid0(VALU_DEP_1) | instskip(SKIP_1) | instid1(VALU_DEP_1)
	v_pk_fma_f32 v[106:107], v[100:101], v[86:87], v[104:105] op_sel:[0,0,1] op_sel_hi:[1,1,0] neg_lo:[0,0,1] neg_hi:[0,0,1]
	v_pk_fma_f32 v[100:101], v[100:101], v[86:87], v[104:105] op_sel:[0,0,1] op_sel_hi:[1,0,0]
	v_mov_b32_e32 v107, v101
	v_pk_mul_f32 v[100:101], v[102:103], v[88:89] op_sel:[0,1]
	s_delay_alu instid0(VALU_DEP_1) | instskip(SKIP_1) | instid1(VALU_DEP_1)
	v_pk_fma_f32 v[104:105], v[102:103], v[86:87], v[100:101] op_sel:[0,0,1] op_sel_hi:[1,1,0] neg_lo:[0,0,1] neg_hi:[0,0,1]
	v_pk_fma_f32 v[100:101], v[102:103], v[86:87], v[100:101] op_sel:[0,0,1] op_sel_hi:[1,0,0]
	v_mov_b32_e32 v105, v101
	ds_load_b64 v[100:101], v168 offset:440
	v_pk_add_f32 v[210:211], v[210:211], v[106:107] neg_lo:[0,1] neg_hi:[0,1]
	v_pk_add_f32 v[222:223], v[222:223], v[104:105] neg_lo:[0,1] neg_hi:[0,1]
	s_wait_dscnt 0x0
	v_pk_mul_f32 v[88:89], v[100:101], v[88:89] op_sel:[0,1]
	s_delay_alu instid0(VALU_DEP_1) | instskip(SKIP_1) | instid1(VALU_DEP_1)
	v_pk_fma_f32 v[102:103], v[100:101], v[86:87], v[88:89] op_sel:[0,0,1] op_sel_hi:[1,1,0] neg_lo:[0,0,1] neg_hi:[0,0,1]
	v_pk_fma_f32 v[86:87], v[100:101], v[86:87], v[88:89] op_sel:[0,0,1] op_sel_hi:[1,0,0]
	v_mov_b32_e32 v103, v87
	s_delay_alu instid0(VALU_DEP_1)
	v_pk_add_f32 v[224:225], v[224:225], v[102:103] neg_lo:[0,1] neg_hi:[0,1]
.LBB111_334:
	s_or_b32 exec_lo, exec_lo, s1
	s_delay_alu instid0(SALU_CYCLE_1)
	s_mov_b32 s2, exec_lo
	s_wait_dscnt 0x0
	s_barrier_signal -1
	s_barrier_wait -1
	v_cmpx_eq_u32_e32 37, v166
	s_cbranch_execz .LBB111_341
; %bb.335:
	v_dual_mov_b32 v86, v160 :: v_dual_mov_b32 v87, v161
	v_dual_mov_b32 v88, v156 :: v_dual_mov_b32 v89, v157
	ds_store_b64 v167, v[158:159]
	ds_store_2addr_b64 v168, v[86:87], v[88:89] offset0:38 offset1:39
	v_dual_mov_b32 v86, v178 :: v_dual_mov_b32 v87, v179
	v_dual_mov_b32 v88, v174 :: v_dual_mov_b32 v89, v175
	ds_store_2addr_b64 v168, v[86:87], v[88:89] offset0:40 offset1:41
	v_dual_mov_b32 v86, v176 :: v_dual_mov_b32 v87, v177
	v_dual_mov_b32 v88, v172 :: v_dual_mov_b32 v89, v173
	;; [unrolled: 3-line block ×7, first 2 shown]
	ds_store_2addr_b64 v168, v[86:87], v[88:89] offset0:52 offset1:53
	v_dual_mov_b32 v86, v222 :: v_dual_mov_b32 v87, v223
	ds_store_2addr_b64 v168, v[86:87], v[224:225] offset0:54 offset1:55
	ds_load_b64 v[86:87], v167
	s_wait_dscnt 0x0
	v_cmp_neq_f32_e32 vcc_lo, 0, v86
	v_cmp_neq_f32_e64 s1, 0, v87
	s_or_b32 s1, vcc_lo, s1
	s_delay_alu instid0(SALU_CYCLE_1)
	s_and_b32 exec_lo, exec_lo, s1
	s_cbranch_execz .LBB111_341
; %bb.336:
	v_cmp_ngt_f32_e64 s1, |v86|, |v87|
                                        ; implicit-def: $vgpr88_vgpr89
	s_and_saveexec_b32 s4, s1
	s_delay_alu instid0(SALU_CYCLE_1)
	s_xor_b32 s1, exec_lo, s4
	s_cbranch_execz .LBB111_338
; %bb.337:
	v_div_scale_f32 v88, null, v87, v87, v86
	v_div_scale_f32 v101, vcc_lo, v86, v87, v86
	s_delay_alu instid0(VALU_DEP_2) | instskip(SKIP_1) | instid1(TRANS32_DEP_1)
	v_rcp_f32_e32 v89, v88
	v_nop
	v_fma_f32 v100, -v88, v89, 1.0
	s_delay_alu instid0(VALU_DEP_1) | instskip(NEXT) | instid1(VALU_DEP_1)
	v_fmac_f32_e32 v89, v100, v89
	v_mul_f32_e32 v100, v101, v89
	s_delay_alu instid0(VALU_DEP_1) | instskip(NEXT) | instid1(VALU_DEP_1)
	v_fma_f32 v102, -v88, v100, v101
	v_fmac_f32_e32 v100, v102, v89
	s_delay_alu instid0(VALU_DEP_1) | instskip(NEXT) | instid1(VALU_DEP_1)
	v_fma_f32 v88, -v88, v100, v101
	v_div_fmas_f32 v88, v88, v89, v100
	s_delay_alu instid0(VALU_DEP_1) | instskip(NEXT) | instid1(VALU_DEP_1)
	v_div_fixup_f32 v88, v88, v87, v86
	v_fmac_f32_e32 v87, v86, v88
	s_delay_alu instid0(VALU_DEP_1) | instskip(SKIP_1) | instid1(VALU_DEP_2)
	v_div_scale_f32 v86, null, v87, v87, 1.0
	v_div_scale_f32 v101, vcc_lo, 1.0, v87, 1.0
	v_rcp_f32_e32 v89, v86
	v_nop
	s_delay_alu instid0(TRANS32_DEP_1) | instskip(NEXT) | instid1(VALU_DEP_1)
	v_fma_f32 v100, -v86, v89, 1.0
	v_fmac_f32_e32 v89, v100, v89
	s_delay_alu instid0(VALU_DEP_1) | instskip(NEXT) | instid1(VALU_DEP_1)
	v_mul_f32_e32 v100, v101, v89
	v_fma_f32 v102, -v86, v100, v101
	s_delay_alu instid0(VALU_DEP_1) | instskip(NEXT) | instid1(VALU_DEP_1)
	v_fmac_f32_e32 v100, v102, v89
	v_fma_f32 v86, -v86, v100, v101
	s_delay_alu instid0(VALU_DEP_1) | instskip(NEXT) | instid1(VALU_DEP_1)
	v_div_fmas_f32 v86, v86, v89, v100
	v_div_fixup_f32 v86, v86, v87, 1.0
	s_delay_alu instid0(VALU_DEP_1)
	v_mul_f32_e32 v88, v88, v86
	v_xor_b32_e32 v89, 0x80000000, v86
                                        ; implicit-def: $vgpr86_vgpr87
.LBB111_338:
	s_and_not1_saveexec_b32 s1, s1
	s_cbranch_execz .LBB111_340
; %bb.339:
	v_div_scale_f32 v88, null, v86, v86, v87
	v_div_scale_f32 v101, vcc_lo, v87, v86, v87
	s_delay_alu instid0(VALU_DEP_2) | instskip(SKIP_1) | instid1(TRANS32_DEP_1)
	v_rcp_f32_e32 v89, v88
	v_nop
	v_fma_f32 v100, -v88, v89, 1.0
	s_delay_alu instid0(VALU_DEP_1) | instskip(NEXT) | instid1(VALU_DEP_1)
	v_fmac_f32_e32 v89, v100, v89
	v_mul_f32_e32 v100, v101, v89
	s_delay_alu instid0(VALU_DEP_1) | instskip(NEXT) | instid1(VALU_DEP_1)
	v_fma_f32 v102, -v88, v100, v101
	v_fmac_f32_e32 v100, v102, v89
	s_delay_alu instid0(VALU_DEP_1) | instskip(NEXT) | instid1(VALU_DEP_1)
	v_fma_f32 v88, -v88, v100, v101
	v_div_fmas_f32 v88, v88, v89, v100
	s_delay_alu instid0(VALU_DEP_1) | instskip(NEXT) | instid1(VALU_DEP_1)
	v_div_fixup_f32 v89, v88, v86, v87
	v_fmac_f32_e32 v86, v87, v89
	s_delay_alu instid0(VALU_DEP_1) | instskip(NEXT) | instid1(VALU_DEP_1)
	v_div_scale_f32 v87, null, v86, v86, 1.0
	v_rcp_f32_e32 v88, v87
	v_nop
	s_delay_alu instid0(TRANS32_DEP_1) | instskip(NEXT) | instid1(VALU_DEP_1)
	v_fma_f32 v100, -v87, v88, 1.0
	v_fmac_f32_e32 v88, v100, v88
	v_div_scale_f32 v100, vcc_lo, 1.0, v86, 1.0
	s_delay_alu instid0(VALU_DEP_1) | instskip(NEXT) | instid1(VALU_DEP_1)
	v_mul_f32_e32 v101, v100, v88
	v_fma_f32 v102, -v87, v101, v100
	s_delay_alu instid0(VALU_DEP_1) | instskip(NEXT) | instid1(VALU_DEP_1)
	v_fmac_f32_e32 v101, v102, v88
	v_fma_f32 v87, -v87, v101, v100
	s_delay_alu instid0(VALU_DEP_1) | instskip(NEXT) | instid1(VALU_DEP_1)
	v_div_fmas_f32 v87, v87, v88, v101
	v_div_fixup_f32 v88, v87, v86, 1.0
	s_delay_alu instid0(VALU_DEP_1)
	v_mul_f32_e64 v89, v89, -v88
.LBB111_340:
	s_or_b32 exec_lo, exec_lo, s1
	ds_store_b64 v167, v[88:89]
.LBB111_341:
	s_or_b32 exec_lo, exec_lo, s2
	s_wait_dscnt 0x0
	s_barrier_signal -1
	s_barrier_wait -1
	ds_load_b64 v[86:87], v167
	s_mov_b32 s1, exec_lo
	v_cmpx_lt_u32_e32 37, v166
	s_cbranch_execz .LBB111_343
; %bb.342:
	ds_load_2addr_b64 v[102:105], v168 offset0:38 offset1:39
	s_wait_dscnt 0x1
	v_pk_mul_f32 v[100:101], v[86:87], v[158:159] op_sel:[1,1] op_sel_hi:[0,1]
	s_delay_alu instid0(VALU_DEP_1) | instskip(SKIP_1) | instid1(VALU_DEP_1)
	v_pk_fma_f32 v[88:89], v[86:87], v[158:159], v[100:101] op_sel_hi:[1,0,1] neg_lo:[0,0,1] neg_hi:[0,0,1]
	v_pk_fma_f32 v[100:101], v[86:87], v[158:159], v[100:101] op_sel_hi:[1,0,1]
	v_dual_mov_b32 v158, v88 :: v_dual_mov_b32 v159, v101
	s_wait_dscnt 0x0
	s_delay_alu instid0(VALU_DEP_2) | instskip(NEXT) | instid1(VALU_DEP_1)
	v_pk_mul_f32 v[106:107], v[102:103], v[100:101] op_sel:[0,1]
	v_pk_fma_f32 v[116:117], v[102:103], v[88:89], v[106:107] op_sel:[0,0,1] op_sel_hi:[1,1,0] neg_lo:[0,0,1] neg_hi:[0,0,1]
	v_pk_fma_f32 v[102:103], v[102:103], v[88:89], v[106:107] op_sel:[0,0,1] op_sel_hi:[1,0,0]
	s_delay_alu instid0(VALU_DEP_1) | instskip(SKIP_1) | instid1(VALU_DEP_1)
	v_mov_b32_e32 v117, v103
	v_pk_mul_f32 v[102:103], v[104:105], v[100:101] op_sel:[0,1]
	v_pk_fma_f32 v[106:107], v[104:105], v[88:89], v[102:103] op_sel:[0,0,1] op_sel_hi:[1,1,0] neg_lo:[0,0,1] neg_hi:[0,0,1]
	v_pk_fma_f32 v[102:103], v[104:105], v[88:89], v[102:103] op_sel:[0,0,1] op_sel_hi:[1,0,0]
	s_delay_alu instid0(VALU_DEP_1)
	v_mov_b32_e32 v107, v103
	ds_load_2addr_b64 v[102:105], v168 offset0:40 offset1:41
	v_pk_add_f32 v[160:161], v[160:161], v[116:117] neg_lo:[0,1] neg_hi:[0,1]
	v_pk_add_f32 v[156:157], v[156:157], v[106:107] neg_lo:[0,1] neg_hi:[0,1]
	s_wait_dscnt 0x0
	v_pk_mul_f32 v[106:107], v[102:103], v[100:101] op_sel:[0,1]
	s_delay_alu instid0(VALU_DEP_1) | instskip(SKIP_2) | instid1(VALU_DEP_2)
	v_pk_fma_f32 v[116:117], v[102:103], v[88:89], v[106:107] op_sel:[0,0,1] op_sel_hi:[1,1,0] neg_lo:[0,0,1] neg_hi:[0,0,1]
	v_pk_fma_f32 v[102:103], v[102:103], v[88:89], v[106:107] op_sel:[0,0,1] op_sel_hi:[1,0,0]
	v_dual_mul_f32 v106, v105, v101 :: v_dual_mov_b32 v102, v105
	v_dual_mov_b32 v117, v103 :: v_dual_mov_b32 v103, v104
	s_delay_alu instid0(VALU_DEP_2) | instskip(SKIP_1) | instid1(VALU_DEP_3)
	v_pk_fma_f32 v[106:107], v[104:105], v[158:159], v[106:107] op_sel_hi:[1,1,0] neg_lo:[0,0,1] neg_hi:[0,0,1]
	v_mul_f32_e32 v104, v105, v88
	v_pk_add_f32 v[178:179], v[178:179], v[116:117] neg_lo:[0,1] neg_hi:[0,1]
	s_delay_alu instid0(VALU_DEP_2) | instskip(NEXT) | instid1(VALU_DEP_1)
	v_pk_fma_f32 v[102:103], v[102:103], v[158:159], v[104:105] op_sel_hi:[1,1,0]
	v_mov_b32_e32 v107, v103
	ds_load_2addr_b64 v[102:105], v168 offset0:42 offset1:43
	v_pk_add_f32 v[174:175], v[174:175], v[106:107] neg_lo:[0,1] neg_hi:[0,1]
	s_wait_dscnt 0x0
	v_pk_mul_f32 v[106:107], v[102:103], v[100:101] op_sel:[0,1]
	s_delay_alu instid0(VALU_DEP_1) | instskip(SKIP_1) | instid1(VALU_DEP_1)
	v_pk_fma_f32 v[116:117], v[102:103], v[88:89], v[106:107] op_sel:[0,0,1] op_sel_hi:[1,1,0] neg_lo:[0,0,1] neg_hi:[0,0,1]
	v_pk_fma_f32 v[102:103], v[102:103], v[88:89], v[106:107] op_sel:[0,0,1] op_sel_hi:[1,0,0]
	v_mov_b32_e32 v117, v103
	v_pk_mul_f32 v[102:103], v[104:105], v[100:101] op_sel:[0,1]
	s_delay_alu instid0(VALU_DEP_1) | instskip(SKIP_1) | instid1(VALU_DEP_1)
	v_pk_fma_f32 v[106:107], v[104:105], v[88:89], v[102:103] op_sel:[0,0,1] op_sel_hi:[1,1,0] neg_lo:[0,0,1] neg_hi:[0,0,1]
	v_pk_fma_f32 v[102:103], v[104:105], v[88:89], v[102:103] op_sel:[0,0,1] op_sel_hi:[1,0,0]
	v_mov_b32_e32 v107, v103
	ds_load_2addr_b64 v[102:105], v168 offset0:44 offset1:45
	v_pk_add_f32 v[176:177], v[176:177], v[116:117] neg_lo:[0,1] neg_hi:[0,1]
	v_pk_add_f32 v[172:173], v[172:173], v[106:107] neg_lo:[0,1] neg_hi:[0,1]
	s_wait_dscnt 0x0
	v_pk_mul_f32 v[106:107], v[102:103], v[100:101] op_sel:[0,1]
	s_delay_alu instid0(VALU_DEP_1) | instskip(SKIP_1) | instid1(VALU_DEP_1)
	v_pk_fma_f32 v[116:117], v[102:103], v[88:89], v[106:107] op_sel:[0,0,1] op_sel_hi:[1,1,0] neg_lo:[0,0,1] neg_hi:[0,0,1]
	v_pk_fma_f32 v[102:103], v[102:103], v[88:89], v[106:107] op_sel:[0,0,1] op_sel_hi:[1,0,0]
	v_mov_b32_e32 v117, v103
	v_pk_mul_f32 v[102:103], v[104:105], v[100:101] op_sel:[0,1]
	s_delay_alu instid0(VALU_DEP_1) | instskip(SKIP_1) | instid1(VALU_DEP_1)
	v_pk_fma_f32 v[106:107], v[104:105], v[88:89], v[102:103] op_sel:[0,0,1] op_sel_hi:[1,1,0] neg_lo:[0,0,1] neg_hi:[0,0,1]
	v_pk_fma_f32 v[102:103], v[104:105], v[88:89], v[102:103] op_sel:[0,0,1] op_sel_hi:[1,0,0]
	v_mov_b32_e32 v107, v103
	ds_load_2addr_b64 v[102:105], v168 offset0:46 offset1:47
	v_pk_add_f32 v[198:199], v[198:199], v[116:117] neg_lo:[0,1] neg_hi:[0,1]
	v_pk_add_f32 v[194:195], v[194:195], v[106:107] neg_lo:[0,1] neg_hi:[0,1]
	s_wait_dscnt 0x0
	v_dual_mul_f32 v106, v103, v101 :: v_dual_mul_f32 v116, v103, v88
	s_delay_alu instid0(VALU_DEP_1) | instskip(NEXT) | instid1(VALU_DEP_2)
	v_pk_fma_f32 v[106:107], v[102:103], v[158:159], v[106:107] op_sel_hi:[1,1,0] neg_lo:[0,0,1] neg_hi:[0,0,1]
	v_pk_fma_f32 v[102:103], v[102:103], v[158:159], v[116:117] op_sel:[1,0,0] op_sel_hi:[0,1,0]
	s_delay_alu instid0(VALU_DEP_1) | instskip(SKIP_1) | instid1(VALU_DEP_2)
	v_mov_b32_e32 v107, v103
	v_pk_mul_f32 v[102:103], v[104:105], v[100:101] op_sel:[0,1]
	v_pk_add_f32 v[196:197], v[196:197], v[106:107] neg_lo:[0,1] neg_hi:[0,1]
	s_delay_alu instid0(VALU_DEP_2) | instskip(SKIP_1) | instid1(VALU_DEP_1)
	v_pk_fma_f32 v[106:107], v[104:105], v[88:89], v[102:103] op_sel:[0,0,1] op_sel_hi:[1,1,0] neg_lo:[0,0,1] neg_hi:[0,0,1]
	v_pk_fma_f32 v[102:103], v[104:105], v[88:89], v[102:103] op_sel:[0,0,1] op_sel_hi:[1,0,0]
	v_mov_b32_e32 v107, v103
	ds_load_2addr_b64 v[102:105], v168 offset0:48 offset1:49
	v_pk_add_f32 v[192:193], v[192:193], v[106:107] neg_lo:[0,1] neg_hi:[0,1]
	s_wait_dscnt 0x0
	v_pk_mul_f32 v[106:107], v[102:103], v[100:101] op_sel:[0,1]
	s_delay_alu instid0(VALU_DEP_1) | instskip(SKIP_1) | instid1(VALU_DEP_1)
	v_pk_fma_f32 v[116:117], v[102:103], v[88:89], v[106:107] op_sel:[0,0,1] op_sel_hi:[1,1,0] neg_lo:[0,0,1] neg_hi:[0,0,1]
	v_pk_fma_f32 v[102:103], v[102:103], v[88:89], v[106:107] op_sel:[0,0,1] op_sel_hi:[1,0,0]
	v_mov_b32_e32 v117, v103
	v_pk_mul_f32 v[102:103], v[104:105], v[100:101] op_sel:[0,1]
	s_delay_alu instid0(VALU_DEP_2) | instskip(NEXT) | instid1(VALU_DEP_2)
	v_pk_add_f32 v[220:221], v[220:221], v[116:117] neg_lo:[0,1] neg_hi:[0,1]
	v_pk_fma_f32 v[106:107], v[104:105], v[88:89], v[102:103] op_sel:[0,0,1] op_sel_hi:[1,1,0] neg_lo:[0,0,1] neg_hi:[0,0,1]
	v_pk_fma_f32 v[102:103], v[104:105], v[88:89], v[102:103] op_sel:[0,0,1] op_sel_hi:[1,0,0]
	s_delay_alu instid0(VALU_DEP_1) | instskip(SKIP_4) | instid1(VALU_DEP_1)
	v_mov_b32_e32 v107, v103
	ds_load_2addr_b64 v[102:105], v168 offset0:50 offset1:51
	v_pk_add_f32 v[214:215], v[214:215], v[106:107] neg_lo:[0,1] neg_hi:[0,1]
	s_wait_dscnt 0x0
	v_pk_mul_f32 v[106:107], v[102:103], v[100:101] op_sel:[0,1]
	v_pk_fma_f32 v[116:117], v[102:103], v[88:89], v[106:107] op_sel:[0,0,1] op_sel_hi:[1,1,0] neg_lo:[0,0,1] neg_hi:[0,0,1]
	v_pk_fma_f32 v[102:103], v[102:103], v[88:89], v[106:107] op_sel:[0,0,1] op_sel_hi:[1,0,0]
	v_dual_mul_f32 v106, v105, v101 :: v_dual_mov_b32 v102, v105
	s_delay_alu instid0(VALU_DEP_2) | instskip(NEXT) | instid1(VALU_DEP_2)
	v_dual_mov_b32 v117, v103 :: v_dual_mov_b32 v103, v104
	v_pk_fma_f32 v[106:107], v[104:105], v[158:159], v[106:107] op_sel_hi:[1,1,0] neg_lo:[0,0,1] neg_hi:[0,0,1]
	v_mul_f32_e32 v104, v105, v88
	s_delay_alu instid0(VALU_DEP_3) | instskip(NEXT) | instid1(VALU_DEP_2)
	v_pk_add_f32 v[218:219], v[218:219], v[116:117] neg_lo:[0,1] neg_hi:[0,1]
	v_pk_fma_f32 v[102:103], v[102:103], v[158:159], v[104:105] op_sel_hi:[1,1,0]
	s_delay_alu instid0(VALU_DEP_1) | instskip(SKIP_4) | instid1(VALU_DEP_1)
	v_mov_b32_e32 v107, v103
	ds_load_2addr_b64 v[102:105], v168 offset0:52 offset1:53
	v_pk_add_f32 v[212:213], v[212:213], v[106:107] neg_lo:[0,1] neg_hi:[0,1]
	s_wait_dscnt 0x0
	v_pk_mul_f32 v[106:107], v[102:103], v[100:101] op_sel:[0,1]
	v_pk_fma_f32 v[116:117], v[102:103], v[88:89], v[106:107] op_sel:[0,0,1] op_sel_hi:[1,1,0] neg_lo:[0,0,1] neg_hi:[0,0,1]
	v_pk_fma_f32 v[102:103], v[102:103], v[88:89], v[106:107] op_sel:[0,0,1] op_sel_hi:[1,0,0]
	s_delay_alu instid0(VALU_DEP_1) | instskip(SKIP_1) | instid1(VALU_DEP_1)
	v_mov_b32_e32 v117, v103
	v_pk_mul_f32 v[102:103], v[104:105], v[100:101] op_sel:[0,1]
	v_pk_fma_f32 v[106:107], v[104:105], v[88:89], v[102:103] op_sel:[0,0,1] op_sel_hi:[1,1,0] neg_lo:[0,0,1] neg_hi:[0,0,1]
	v_pk_fma_f32 v[102:103], v[104:105], v[88:89], v[102:103] op_sel:[0,0,1] op_sel_hi:[1,0,0]
	s_delay_alu instid0(VALU_DEP_1)
	v_mov_b32_e32 v107, v103
	ds_load_2addr_b64 v[102:105], v168 offset0:54 offset1:55
	v_pk_add_f32 v[216:217], v[216:217], v[116:117] neg_lo:[0,1] neg_hi:[0,1]
	v_pk_add_f32 v[210:211], v[210:211], v[106:107] neg_lo:[0,1] neg_hi:[0,1]
	s_wait_dscnt 0x0
	v_pk_mul_f32 v[106:107], v[102:103], v[100:101] op_sel:[0,1]
	v_mul_f32_e32 v100, v105, v101
	s_delay_alu instid0(VALU_DEP_2) | instskip(SKIP_2) | instid1(VALU_DEP_4)
	v_pk_fma_f32 v[116:117], v[102:103], v[88:89], v[106:107] op_sel:[0,0,1] op_sel_hi:[1,1,0] neg_lo:[0,0,1] neg_hi:[0,0,1]
	v_pk_fma_f32 v[102:103], v[102:103], v[88:89], v[106:107] op_sel:[0,0,1] op_sel_hi:[1,0,0]
	v_dual_mov_b32 v102, v105 :: v_dual_mul_f32 v88, v105, v88
	v_pk_fma_f32 v[100:101], v[104:105], v[158:159], v[100:101] op_sel_hi:[1,1,0] neg_lo:[0,0,1] neg_hi:[0,0,1]
	s_delay_alu instid0(VALU_DEP_3) | instskip(NEXT) | instid1(VALU_DEP_1)
	v_dual_mov_b32 v117, v103 :: v_dual_mov_b32 v103, v104
	v_pk_add_f32 v[222:223], v[222:223], v[116:117] neg_lo:[0,1] neg_hi:[0,1]
	s_delay_alu instid0(VALU_DEP_2) | instskip(NEXT) | instid1(VALU_DEP_1)
	v_pk_fma_f32 v[88:89], v[102:103], v[158:159], v[88:89] op_sel_hi:[1,1,0]
	v_mov_b32_e32 v101, v89
	s_delay_alu instid0(VALU_DEP_1)
	v_pk_add_f32 v[224:225], v[224:225], v[100:101] neg_lo:[0,1] neg_hi:[0,1]
.LBB111_343:
	s_or_b32 exec_lo, exec_lo, s1
	s_delay_alu instid0(SALU_CYCLE_1)
	s_mov_b32 s2, exec_lo
	s_wait_dscnt 0x0
	s_barrier_signal -1
	s_barrier_wait -1
	v_cmpx_eq_u32_e32 38, v166
	s_cbranch_execz .LBB111_350
; %bb.344:
	ds_store_b64 v167, v[160:161]
	ds_store_2addr_b64 v168, v[156:157], v[178:179] offset0:39 offset1:40
	ds_store_2addr_b64 v168, v[174:175], v[176:177] offset0:41 offset1:42
	ds_store_2addr_b64 v168, v[172:173], v[198:199] offset0:43 offset1:44
	ds_store_2addr_b64 v168, v[194:195], v[196:197] offset0:45 offset1:46
	ds_store_2addr_b64 v168, v[192:193], v[220:221] offset0:47 offset1:48
	ds_store_2addr_b64 v168, v[214:215], v[218:219] offset0:49 offset1:50
	ds_store_2addr_b64 v168, v[212:213], v[216:217] offset0:51 offset1:52
	ds_store_2addr_b64 v168, v[210:211], v[222:223] offset0:53 offset1:54
	ds_store_b64 v168, v[224:225] offset:440
	ds_load_b64 v[88:89], v167
	s_wait_dscnt 0x0
	v_cmp_neq_f32_e32 vcc_lo, 0, v88
	v_cmp_neq_f32_e64 s1, 0, v89
	s_or_b32 s1, vcc_lo, s1
	s_delay_alu instid0(SALU_CYCLE_1)
	s_and_b32 exec_lo, exec_lo, s1
	s_cbranch_execz .LBB111_350
; %bb.345:
	v_cmp_ngt_f32_e64 s1, |v88|, |v89|
                                        ; implicit-def: $vgpr100_vgpr101
	s_and_saveexec_b32 s4, s1
	s_delay_alu instid0(SALU_CYCLE_1)
	s_xor_b32 s1, exec_lo, s4
	s_cbranch_execz .LBB111_347
; %bb.346:
	v_div_scale_f32 v100, null, v89, v89, v88
	v_div_scale_f32 v103, vcc_lo, v88, v89, v88
	s_delay_alu instid0(VALU_DEP_2) | instskip(SKIP_1) | instid1(TRANS32_DEP_1)
	v_rcp_f32_e32 v101, v100
	v_nop
	v_fma_f32 v102, -v100, v101, 1.0
	s_delay_alu instid0(VALU_DEP_1) | instskip(NEXT) | instid1(VALU_DEP_1)
	v_fmac_f32_e32 v101, v102, v101
	v_mul_f32_e32 v102, v103, v101
	s_delay_alu instid0(VALU_DEP_1) | instskip(NEXT) | instid1(VALU_DEP_1)
	v_fma_f32 v104, -v100, v102, v103
	v_fmac_f32_e32 v102, v104, v101
	s_delay_alu instid0(VALU_DEP_1) | instskip(NEXT) | instid1(VALU_DEP_1)
	v_fma_f32 v100, -v100, v102, v103
	v_div_fmas_f32 v100, v100, v101, v102
	s_delay_alu instid0(VALU_DEP_1) | instskip(NEXT) | instid1(VALU_DEP_1)
	v_div_fixup_f32 v100, v100, v89, v88
	v_fmac_f32_e32 v89, v88, v100
	s_delay_alu instid0(VALU_DEP_1) | instskip(SKIP_1) | instid1(VALU_DEP_2)
	v_div_scale_f32 v88, null, v89, v89, 1.0
	v_div_scale_f32 v103, vcc_lo, 1.0, v89, 1.0
	v_rcp_f32_e32 v101, v88
	v_nop
	s_delay_alu instid0(TRANS32_DEP_1) | instskip(NEXT) | instid1(VALU_DEP_1)
	v_fma_f32 v102, -v88, v101, 1.0
	v_fmac_f32_e32 v101, v102, v101
	s_delay_alu instid0(VALU_DEP_1) | instskip(NEXT) | instid1(VALU_DEP_1)
	v_mul_f32_e32 v102, v103, v101
	v_fma_f32 v104, -v88, v102, v103
	s_delay_alu instid0(VALU_DEP_1) | instskip(NEXT) | instid1(VALU_DEP_1)
	v_fmac_f32_e32 v102, v104, v101
	v_fma_f32 v88, -v88, v102, v103
	s_delay_alu instid0(VALU_DEP_1) | instskip(NEXT) | instid1(VALU_DEP_1)
	v_div_fmas_f32 v88, v88, v101, v102
	v_div_fixup_f32 v88, v88, v89, 1.0
	s_delay_alu instid0(VALU_DEP_1)
	v_mul_f32_e32 v100, v100, v88
	v_xor_b32_e32 v101, 0x80000000, v88
                                        ; implicit-def: $vgpr88_vgpr89
.LBB111_347:
	s_and_not1_saveexec_b32 s1, s1
	s_cbranch_execz .LBB111_349
; %bb.348:
	v_div_scale_f32 v100, null, v88, v88, v89
	v_div_scale_f32 v103, vcc_lo, v89, v88, v89
	s_delay_alu instid0(VALU_DEP_2) | instskip(SKIP_1) | instid1(TRANS32_DEP_1)
	v_rcp_f32_e32 v101, v100
	v_nop
	v_fma_f32 v102, -v100, v101, 1.0
	s_delay_alu instid0(VALU_DEP_1) | instskip(NEXT) | instid1(VALU_DEP_1)
	v_fmac_f32_e32 v101, v102, v101
	v_mul_f32_e32 v102, v103, v101
	s_delay_alu instid0(VALU_DEP_1) | instskip(NEXT) | instid1(VALU_DEP_1)
	v_fma_f32 v104, -v100, v102, v103
	v_fmac_f32_e32 v102, v104, v101
	s_delay_alu instid0(VALU_DEP_1) | instskip(NEXT) | instid1(VALU_DEP_1)
	v_fma_f32 v100, -v100, v102, v103
	v_div_fmas_f32 v100, v100, v101, v102
	s_delay_alu instid0(VALU_DEP_1) | instskip(NEXT) | instid1(VALU_DEP_1)
	v_div_fixup_f32 v101, v100, v88, v89
	v_fmac_f32_e32 v88, v89, v101
	s_delay_alu instid0(VALU_DEP_1) | instskip(NEXT) | instid1(VALU_DEP_1)
	v_div_scale_f32 v89, null, v88, v88, 1.0
	v_rcp_f32_e32 v100, v89
	v_nop
	s_delay_alu instid0(TRANS32_DEP_1) | instskip(NEXT) | instid1(VALU_DEP_1)
	v_fma_f32 v102, -v89, v100, 1.0
	v_fmac_f32_e32 v100, v102, v100
	v_div_scale_f32 v102, vcc_lo, 1.0, v88, 1.0
	s_delay_alu instid0(VALU_DEP_1) | instskip(NEXT) | instid1(VALU_DEP_1)
	v_mul_f32_e32 v103, v102, v100
	v_fma_f32 v104, -v89, v103, v102
	s_delay_alu instid0(VALU_DEP_1) | instskip(NEXT) | instid1(VALU_DEP_1)
	v_fmac_f32_e32 v103, v104, v100
	v_fma_f32 v89, -v89, v103, v102
	s_delay_alu instid0(VALU_DEP_1) | instskip(NEXT) | instid1(VALU_DEP_1)
	v_div_fmas_f32 v89, v89, v100, v103
	v_div_fixup_f32 v100, v89, v88, 1.0
	s_delay_alu instid0(VALU_DEP_1)
	v_mul_f32_e64 v101, v101, -v100
.LBB111_349:
	s_or_b32 exec_lo, exec_lo, s1
	ds_store_b64 v167, v[100:101]
.LBB111_350:
	s_or_b32 exec_lo, exec_lo, s2
	s_wait_dscnt 0x0
	s_barrier_signal -1
	s_barrier_wait -1
	ds_load_b64 v[88:89], v167
	s_mov_b32 s1, exec_lo
	v_cmpx_lt_u32_e32 38, v166
	s_cbranch_execz .LBB111_352
; %bb.351:
	ds_load_2addr_b64 v[104:107], v168 offset0:39 offset1:40
	s_wait_dscnt 0x1
	v_pk_mul_f32 v[102:103], v[88:89], v[160:161] op_sel:[1,1] op_sel_hi:[0,1]
	s_delay_alu instid0(VALU_DEP_1) | instskip(SKIP_1) | instid1(VALU_DEP_1)
	v_pk_fma_f32 v[100:101], v[88:89], v[160:161], v[102:103] op_sel_hi:[1,0,1] neg_lo:[0,0,1] neg_hi:[0,0,1]
	v_pk_fma_f32 v[102:103], v[88:89], v[160:161], v[102:103] op_sel_hi:[1,0,1]
	v_dual_mov_b32 v160, v100 :: v_dual_mov_b32 v161, v103
	s_wait_dscnt 0x0
	s_delay_alu instid0(VALU_DEP_2) | instskip(NEXT) | instid1(VALU_DEP_1)
	v_pk_mul_f32 v[116:117], v[104:105], v[102:103] op_sel:[0,1]
	v_pk_fma_f32 v[118:119], v[104:105], v[100:101], v[116:117] op_sel:[0,0,1] op_sel_hi:[1,1,0] neg_lo:[0,0,1] neg_hi:[0,0,1]
	v_pk_fma_f32 v[104:105], v[104:105], v[100:101], v[116:117] op_sel:[0,0,1] op_sel_hi:[1,0,0]
	s_delay_alu instid0(VALU_DEP_1) | instskip(SKIP_1) | instid1(VALU_DEP_1)
	v_mov_b32_e32 v119, v105
	v_pk_mul_f32 v[104:105], v[106:107], v[102:103] op_sel:[0,1]
	v_pk_fma_f32 v[116:117], v[106:107], v[100:101], v[104:105] op_sel:[0,0,1] op_sel_hi:[1,1,0] neg_lo:[0,0,1] neg_hi:[0,0,1]
	v_pk_fma_f32 v[104:105], v[106:107], v[100:101], v[104:105] op_sel:[0,0,1] op_sel_hi:[1,0,0]
	s_delay_alu instid0(VALU_DEP_1)
	v_mov_b32_e32 v117, v105
	ds_load_2addr_b64 v[104:107], v168 offset0:41 offset1:42
	v_pk_add_f32 v[156:157], v[156:157], v[118:119] neg_lo:[0,1] neg_hi:[0,1]
	v_pk_add_f32 v[178:179], v[178:179], v[116:117] neg_lo:[0,1] neg_hi:[0,1]
	s_wait_dscnt 0x0
	v_pk_mul_f32 v[116:117], v[104:105], v[102:103] op_sel:[0,1]
	s_delay_alu instid0(VALU_DEP_1) | instskip(SKIP_2) | instid1(VALU_DEP_2)
	v_pk_fma_f32 v[118:119], v[104:105], v[100:101], v[116:117] op_sel:[0,0,1] op_sel_hi:[1,1,0] neg_lo:[0,0,1] neg_hi:[0,0,1]
	v_pk_fma_f32 v[104:105], v[104:105], v[100:101], v[116:117] op_sel:[0,0,1] op_sel_hi:[1,0,0]
	v_dual_mul_f32 v116, v107, v103 :: v_dual_mov_b32 v104, v107
	v_dual_mov_b32 v119, v105 :: v_dual_mov_b32 v105, v106
	s_delay_alu instid0(VALU_DEP_2) | instskip(SKIP_1) | instid1(VALU_DEP_3)
	v_pk_fma_f32 v[116:117], v[106:107], v[160:161], v[116:117] op_sel_hi:[1,1,0] neg_lo:[0,0,1] neg_hi:[0,0,1]
	v_mul_f32_e32 v106, v107, v100
	v_pk_add_f32 v[174:175], v[174:175], v[118:119] neg_lo:[0,1] neg_hi:[0,1]
	s_delay_alu instid0(VALU_DEP_2) | instskip(NEXT) | instid1(VALU_DEP_1)
	v_pk_fma_f32 v[104:105], v[104:105], v[160:161], v[106:107] op_sel_hi:[1,1,0]
	v_mov_b32_e32 v117, v105
	ds_load_2addr_b64 v[104:107], v168 offset0:43 offset1:44
	v_pk_add_f32 v[176:177], v[176:177], v[116:117] neg_lo:[0,1] neg_hi:[0,1]
	s_wait_dscnt 0x0
	v_pk_mul_f32 v[116:117], v[104:105], v[102:103] op_sel:[0,1]
	s_delay_alu instid0(VALU_DEP_1) | instskip(SKIP_1) | instid1(VALU_DEP_1)
	v_pk_fma_f32 v[118:119], v[104:105], v[100:101], v[116:117] op_sel:[0,0,1] op_sel_hi:[1,1,0] neg_lo:[0,0,1] neg_hi:[0,0,1]
	v_pk_fma_f32 v[104:105], v[104:105], v[100:101], v[116:117] op_sel:[0,0,1] op_sel_hi:[1,0,0]
	v_mov_b32_e32 v119, v105
	v_pk_mul_f32 v[104:105], v[106:107], v[102:103] op_sel:[0,1]
	s_delay_alu instid0(VALU_DEP_1) | instskip(SKIP_1) | instid1(VALU_DEP_1)
	v_pk_fma_f32 v[116:117], v[106:107], v[100:101], v[104:105] op_sel:[0,0,1] op_sel_hi:[1,1,0] neg_lo:[0,0,1] neg_hi:[0,0,1]
	v_pk_fma_f32 v[104:105], v[106:107], v[100:101], v[104:105] op_sel:[0,0,1] op_sel_hi:[1,0,0]
	v_mov_b32_e32 v117, v105
	ds_load_2addr_b64 v[104:107], v168 offset0:45 offset1:46
	v_pk_add_f32 v[172:173], v[172:173], v[118:119] neg_lo:[0,1] neg_hi:[0,1]
	v_pk_add_f32 v[198:199], v[198:199], v[116:117] neg_lo:[0,1] neg_hi:[0,1]
	s_wait_dscnt 0x0
	v_pk_mul_f32 v[116:117], v[104:105], v[102:103] op_sel:[0,1]
	s_delay_alu instid0(VALU_DEP_1) | instskip(SKIP_1) | instid1(VALU_DEP_1)
	v_pk_fma_f32 v[118:119], v[104:105], v[100:101], v[116:117] op_sel:[0,0,1] op_sel_hi:[1,1,0] neg_lo:[0,0,1] neg_hi:[0,0,1]
	v_pk_fma_f32 v[104:105], v[104:105], v[100:101], v[116:117] op_sel:[0,0,1] op_sel_hi:[1,0,0]
	v_mov_b32_e32 v119, v105
	v_pk_mul_f32 v[104:105], v[106:107], v[102:103] op_sel:[0,1]
	s_delay_alu instid0(VALU_DEP_1) | instskip(SKIP_1) | instid1(VALU_DEP_1)
	v_pk_fma_f32 v[116:117], v[106:107], v[100:101], v[104:105] op_sel:[0,0,1] op_sel_hi:[1,1,0] neg_lo:[0,0,1] neg_hi:[0,0,1]
	v_pk_fma_f32 v[104:105], v[106:107], v[100:101], v[104:105] op_sel:[0,0,1] op_sel_hi:[1,0,0]
	v_mov_b32_e32 v117, v105
	ds_load_2addr_b64 v[104:107], v168 offset0:47 offset1:48
	v_pk_add_f32 v[194:195], v[194:195], v[118:119] neg_lo:[0,1] neg_hi:[0,1]
	v_pk_add_f32 v[196:197], v[196:197], v[116:117] neg_lo:[0,1] neg_hi:[0,1]
	s_wait_dscnt 0x0
	v_dual_mul_f32 v116, v105, v103 :: v_dual_mul_f32 v118, v105, v100
	s_delay_alu instid0(VALU_DEP_1) | instskip(NEXT) | instid1(VALU_DEP_2)
	v_pk_fma_f32 v[116:117], v[104:105], v[160:161], v[116:117] op_sel_hi:[1,1,0] neg_lo:[0,0,1] neg_hi:[0,0,1]
	v_pk_fma_f32 v[104:105], v[104:105], v[160:161], v[118:119] op_sel:[1,0,0] op_sel_hi:[0,1,0]
	s_delay_alu instid0(VALU_DEP_1) | instskip(SKIP_1) | instid1(VALU_DEP_2)
	v_mov_b32_e32 v117, v105
	v_pk_mul_f32 v[104:105], v[106:107], v[102:103] op_sel:[0,1]
	v_pk_add_f32 v[192:193], v[192:193], v[116:117] neg_lo:[0,1] neg_hi:[0,1]
	s_delay_alu instid0(VALU_DEP_2) | instskip(SKIP_1) | instid1(VALU_DEP_1)
	v_pk_fma_f32 v[116:117], v[106:107], v[100:101], v[104:105] op_sel:[0,0,1] op_sel_hi:[1,1,0] neg_lo:[0,0,1] neg_hi:[0,0,1]
	v_pk_fma_f32 v[104:105], v[106:107], v[100:101], v[104:105] op_sel:[0,0,1] op_sel_hi:[1,0,0]
	v_mov_b32_e32 v117, v105
	ds_load_2addr_b64 v[104:107], v168 offset0:49 offset1:50
	v_pk_add_f32 v[220:221], v[220:221], v[116:117] neg_lo:[0,1] neg_hi:[0,1]
	s_wait_dscnt 0x0
	v_pk_mul_f32 v[116:117], v[104:105], v[102:103] op_sel:[0,1]
	s_delay_alu instid0(VALU_DEP_1) | instskip(SKIP_1) | instid1(VALU_DEP_1)
	v_pk_fma_f32 v[118:119], v[104:105], v[100:101], v[116:117] op_sel:[0,0,1] op_sel_hi:[1,1,0] neg_lo:[0,0,1] neg_hi:[0,0,1]
	v_pk_fma_f32 v[104:105], v[104:105], v[100:101], v[116:117] op_sel:[0,0,1] op_sel_hi:[1,0,0]
	v_mov_b32_e32 v119, v105
	v_pk_mul_f32 v[104:105], v[106:107], v[102:103] op_sel:[0,1]
	s_delay_alu instid0(VALU_DEP_2) | instskip(NEXT) | instid1(VALU_DEP_2)
	v_pk_add_f32 v[214:215], v[214:215], v[118:119] neg_lo:[0,1] neg_hi:[0,1]
	v_pk_fma_f32 v[116:117], v[106:107], v[100:101], v[104:105] op_sel:[0,0,1] op_sel_hi:[1,1,0] neg_lo:[0,0,1] neg_hi:[0,0,1]
	v_pk_fma_f32 v[104:105], v[106:107], v[100:101], v[104:105] op_sel:[0,0,1] op_sel_hi:[1,0,0]
	s_delay_alu instid0(VALU_DEP_1) | instskip(SKIP_4) | instid1(VALU_DEP_1)
	v_mov_b32_e32 v117, v105
	ds_load_2addr_b64 v[104:107], v168 offset0:51 offset1:52
	v_pk_add_f32 v[218:219], v[218:219], v[116:117] neg_lo:[0,1] neg_hi:[0,1]
	s_wait_dscnt 0x0
	v_pk_mul_f32 v[116:117], v[104:105], v[102:103] op_sel:[0,1]
	v_pk_fma_f32 v[118:119], v[104:105], v[100:101], v[116:117] op_sel:[0,0,1] op_sel_hi:[1,1,0] neg_lo:[0,0,1] neg_hi:[0,0,1]
	v_pk_fma_f32 v[104:105], v[104:105], v[100:101], v[116:117] op_sel:[0,0,1] op_sel_hi:[1,0,0]
	v_dual_mul_f32 v116, v107, v103 :: v_dual_mov_b32 v104, v107
	s_delay_alu instid0(VALU_DEP_2) | instskip(NEXT) | instid1(VALU_DEP_2)
	v_dual_mov_b32 v119, v105 :: v_dual_mov_b32 v105, v106
	v_pk_fma_f32 v[116:117], v[106:107], v[160:161], v[116:117] op_sel_hi:[1,1,0] neg_lo:[0,0,1] neg_hi:[0,0,1]
	v_mul_f32_e32 v106, v107, v100
	s_delay_alu instid0(VALU_DEP_3) | instskip(NEXT) | instid1(VALU_DEP_2)
	v_pk_add_f32 v[212:213], v[212:213], v[118:119] neg_lo:[0,1] neg_hi:[0,1]
	v_pk_fma_f32 v[104:105], v[104:105], v[160:161], v[106:107] op_sel_hi:[1,1,0]
	s_delay_alu instid0(VALU_DEP_1) | instskip(SKIP_4) | instid1(VALU_DEP_1)
	v_mov_b32_e32 v117, v105
	ds_load_2addr_b64 v[104:107], v168 offset0:53 offset1:54
	v_pk_add_f32 v[216:217], v[216:217], v[116:117] neg_lo:[0,1] neg_hi:[0,1]
	s_wait_dscnt 0x0
	v_pk_mul_f32 v[116:117], v[104:105], v[102:103] op_sel:[0,1]
	v_pk_fma_f32 v[118:119], v[104:105], v[100:101], v[116:117] op_sel:[0,0,1] op_sel_hi:[1,1,0] neg_lo:[0,0,1] neg_hi:[0,0,1]
	v_pk_fma_f32 v[104:105], v[104:105], v[100:101], v[116:117] op_sel:[0,0,1] op_sel_hi:[1,0,0]
	s_delay_alu instid0(VALU_DEP_1) | instskip(SKIP_1) | instid1(VALU_DEP_1)
	v_mov_b32_e32 v119, v105
	v_pk_mul_f32 v[104:105], v[106:107], v[102:103] op_sel:[0,1]
	v_pk_fma_f32 v[116:117], v[106:107], v[100:101], v[104:105] op_sel:[0,0,1] op_sel_hi:[1,1,0] neg_lo:[0,0,1] neg_hi:[0,0,1]
	v_pk_fma_f32 v[104:105], v[106:107], v[100:101], v[104:105] op_sel:[0,0,1] op_sel_hi:[1,0,0]
	s_delay_alu instid0(VALU_DEP_1)
	v_mov_b32_e32 v117, v105
	ds_load_b64 v[104:105], v168 offset:440
	v_pk_add_f32 v[210:211], v[210:211], v[118:119] neg_lo:[0,1] neg_hi:[0,1]
	v_pk_add_f32 v[222:223], v[222:223], v[116:117] neg_lo:[0,1] neg_hi:[0,1]
	s_wait_dscnt 0x0
	v_pk_mul_f32 v[102:103], v[104:105], v[102:103] op_sel:[0,1]
	s_delay_alu instid0(VALU_DEP_1) | instskip(SKIP_1) | instid1(VALU_DEP_1)
	v_pk_fma_f32 v[106:107], v[104:105], v[100:101], v[102:103] op_sel:[0,0,1] op_sel_hi:[1,1,0] neg_lo:[0,0,1] neg_hi:[0,0,1]
	v_pk_fma_f32 v[100:101], v[104:105], v[100:101], v[102:103] op_sel:[0,0,1] op_sel_hi:[1,0,0]
	v_mov_b32_e32 v107, v101
	s_delay_alu instid0(VALU_DEP_1)
	v_pk_add_f32 v[224:225], v[224:225], v[106:107] neg_lo:[0,1] neg_hi:[0,1]
.LBB111_352:
	s_or_b32 exec_lo, exec_lo, s1
	s_delay_alu instid0(SALU_CYCLE_1)
	s_mov_b32 s2, exec_lo
	s_wait_dscnt 0x0
	s_barrier_signal -1
	s_barrier_wait -1
	v_cmpx_eq_u32_e32 39, v166
	s_cbranch_execz .LBB111_359
; %bb.353:
	v_dual_mov_b32 v100, v178 :: v_dual_mov_b32 v101, v179
	v_dual_mov_b32 v102, v174 :: v_dual_mov_b32 v103, v175
	ds_store_b64 v167, v[156:157]
	ds_store_2addr_b64 v168, v[100:101], v[102:103] offset0:40 offset1:41
	v_dual_mov_b32 v100, v176 :: v_dual_mov_b32 v101, v177
	v_dual_mov_b32 v102, v172 :: v_dual_mov_b32 v103, v173
	ds_store_2addr_b64 v168, v[100:101], v[102:103] offset0:42 offset1:43
	v_dual_mov_b32 v100, v198 :: v_dual_mov_b32 v101, v199
	v_dual_mov_b32 v102, v194 :: v_dual_mov_b32 v103, v195
	ds_store_2addr_b64 v168, v[100:101], v[102:103] offset0:44 offset1:45
	v_dual_mov_b32 v100, v196 :: v_dual_mov_b32 v101, v197
	v_dual_mov_b32 v102, v192 :: v_dual_mov_b32 v103, v193
	ds_store_2addr_b64 v168, v[100:101], v[102:103] offset0:46 offset1:47
	v_dual_mov_b32 v100, v220 :: v_dual_mov_b32 v101, v221
	v_dual_mov_b32 v102, v214 :: v_dual_mov_b32 v103, v215
	ds_store_2addr_b64 v168, v[100:101], v[102:103] offset0:48 offset1:49
	v_dual_mov_b32 v100, v218 :: v_dual_mov_b32 v101, v219
	v_dual_mov_b32 v102, v212 :: v_dual_mov_b32 v103, v213
	ds_store_2addr_b64 v168, v[100:101], v[102:103] offset0:50 offset1:51
	v_dual_mov_b32 v100, v216 :: v_dual_mov_b32 v101, v217
	v_dual_mov_b32 v102, v210 :: v_dual_mov_b32 v103, v211
	ds_store_2addr_b64 v168, v[100:101], v[102:103] offset0:52 offset1:53
	v_dual_mov_b32 v100, v222 :: v_dual_mov_b32 v101, v223
	ds_store_2addr_b64 v168, v[100:101], v[224:225] offset0:54 offset1:55
	ds_load_b64 v[100:101], v167
	s_wait_dscnt 0x0
	v_cmp_neq_f32_e32 vcc_lo, 0, v100
	v_cmp_neq_f32_e64 s1, 0, v101
	s_or_b32 s1, vcc_lo, s1
	s_delay_alu instid0(SALU_CYCLE_1)
	s_and_b32 exec_lo, exec_lo, s1
	s_cbranch_execz .LBB111_359
; %bb.354:
	v_cmp_ngt_f32_e64 s1, |v100|, |v101|
                                        ; implicit-def: $vgpr102_vgpr103
	s_and_saveexec_b32 s4, s1
	s_delay_alu instid0(SALU_CYCLE_1)
	s_xor_b32 s1, exec_lo, s4
	s_cbranch_execz .LBB111_356
; %bb.355:
	v_div_scale_f32 v102, null, v101, v101, v100
	v_div_scale_f32 v105, vcc_lo, v100, v101, v100
	s_delay_alu instid0(VALU_DEP_2) | instskip(SKIP_1) | instid1(TRANS32_DEP_1)
	v_rcp_f32_e32 v103, v102
	v_nop
	v_fma_f32 v104, -v102, v103, 1.0
	s_delay_alu instid0(VALU_DEP_1) | instskip(NEXT) | instid1(VALU_DEP_1)
	v_fmac_f32_e32 v103, v104, v103
	v_mul_f32_e32 v104, v105, v103
	s_delay_alu instid0(VALU_DEP_1) | instskip(NEXT) | instid1(VALU_DEP_1)
	v_fma_f32 v106, -v102, v104, v105
	v_fmac_f32_e32 v104, v106, v103
	s_delay_alu instid0(VALU_DEP_1) | instskip(NEXT) | instid1(VALU_DEP_1)
	v_fma_f32 v102, -v102, v104, v105
	v_div_fmas_f32 v102, v102, v103, v104
	s_delay_alu instid0(VALU_DEP_1) | instskip(NEXT) | instid1(VALU_DEP_1)
	v_div_fixup_f32 v102, v102, v101, v100
	v_fmac_f32_e32 v101, v100, v102
	s_delay_alu instid0(VALU_DEP_1) | instskip(SKIP_1) | instid1(VALU_DEP_2)
	v_div_scale_f32 v100, null, v101, v101, 1.0
	v_div_scale_f32 v105, vcc_lo, 1.0, v101, 1.0
	v_rcp_f32_e32 v103, v100
	v_nop
	s_delay_alu instid0(TRANS32_DEP_1) | instskip(NEXT) | instid1(VALU_DEP_1)
	v_fma_f32 v104, -v100, v103, 1.0
	v_fmac_f32_e32 v103, v104, v103
	s_delay_alu instid0(VALU_DEP_1) | instskip(NEXT) | instid1(VALU_DEP_1)
	v_mul_f32_e32 v104, v105, v103
	v_fma_f32 v106, -v100, v104, v105
	s_delay_alu instid0(VALU_DEP_1) | instskip(NEXT) | instid1(VALU_DEP_1)
	v_fmac_f32_e32 v104, v106, v103
	v_fma_f32 v100, -v100, v104, v105
	s_delay_alu instid0(VALU_DEP_1) | instskip(NEXT) | instid1(VALU_DEP_1)
	v_div_fmas_f32 v100, v100, v103, v104
	v_div_fixup_f32 v100, v100, v101, 1.0
	s_delay_alu instid0(VALU_DEP_1)
	v_mul_f32_e32 v102, v102, v100
	v_xor_b32_e32 v103, 0x80000000, v100
                                        ; implicit-def: $vgpr100_vgpr101
.LBB111_356:
	s_and_not1_saveexec_b32 s1, s1
	s_cbranch_execz .LBB111_358
; %bb.357:
	v_div_scale_f32 v102, null, v100, v100, v101
	v_div_scale_f32 v105, vcc_lo, v101, v100, v101
	s_delay_alu instid0(VALU_DEP_2) | instskip(SKIP_1) | instid1(TRANS32_DEP_1)
	v_rcp_f32_e32 v103, v102
	v_nop
	v_fma_f32 v104, -v102, v103, 1.0
	s_delay_alu instid0(VALU_DEP_1) | instskip(NEXT) | instid1(VALU_DEP_1)
	v_fmac_f32_e32 v103, v104, v103
	v_mul_f32_e32 v104, v105, v103
	s_delay_alu instid0(VALU_DEP_1) | instskip(NEXT) | instid1(VALU_DEP_1)
	v_fma_f32 v106, -v102, v104, v105
	v_fmac_f32_e32 v104, v106, v103
	s_delay_alu instid0(VALU_DEP_1) | instskip(NEXT) | instid1(VALU_DEP_1)
	v_fma_f32 v102, -v102, v104, v105
	v_div_fmas_f32 v102, v102, v103, v104
	s_delay_alu instid0(VALU_DEP_1) | instskip(NEXT) | instid1(VALU_DEP_1)
	v_div_fixup_f32 v103, v102, v100, v101
	v_fmac_f32_e32 v100, v101, v103
	s_delay_alu instid0(VALU_DEP_1) | instskip(NEXT) | instid1(VALU_DEP_1)
	v_div_scale_f32 v101, null, v100, v100, 1.0
	v_rcp_f32_e32 v102, v101
	v_nop
	s_delay_alu instid0(TRANS32_DEP_1) | instskip(NEXT) | instid1(VALU_DEP_1)
	v_fma_f32 v104, -v101, v102, 1.0
	v_fmac_f32_e32 v102, v104, v102
	v_div_scale_f32 v104, vcc_lo, 1.0, v100, 1.0
	s_delay_alu instid0(VALU_DEP_1) | instskip(NEXT) | instid1(VALU_DEP_1)
	v_mul_f32_e32 v105, v104, v102
	v_fma_f32 v106, -v101, v105, v104
	s_delay_alu instid0(VALU_DEP_1) | instskip(NEXT) | instid1(VALU_DEP_1)
	v_fmac_f32_e32 v105, v106, v102
	v_fma_f32 v101, -v101, v105, v104
	s_delay_alu instid0(VALU_DEP_1) | instskip(NEXT) | instid1(VALU_DEP_1)
	v_div_fmas_f32 v101, v101, v102, v105
	v_div_fixup_f32 v102, v101, v100, 1.0
	s_delay_alu instid0(VALU_DEP_1)
	v_mul_f32_e64 v103, v103, -v102
.LBB111_358:
	s_or_b32 exec_lo, exec_lo, s1
	ds_store_b64 v167, v[102:103]
.LBB111_359:
	s_or_b32 exec_lo, exec_lo, s2
	s_wait_dscnt 0x0
	s_barrier_signal -1
	s_barrier_wait -1
	ds_load_b64 v[100:101], v167
	s_mov_b32 s1, exec_lo
	v_cmpx_lt_u32_e32 39, v166
	s_cbranch_execz .LBB111_361
; %bb.360:
	ds_load_2addr_b64 v[116:119], v168 offset0:40 offset1:41
	s_wait_dscnt 0x1
	v_pk_mul_f32 v[104:105], v[100:101], v[156:157] op_sel:[1,1] op_sel_hi:[0,1]
	s_delay_alu instid0(VALU_DEP_1) | instskip(SKIP_1) | instid1(VALU_DEP_1)
	v_pk_fma_f32 v[102:103], v[100:101], v[156:157], v[104:105] op_sel_hi:[1,0,1] neg_lo:[0,0,1] neg_hi:[0,0,1]
	v_pk_fma_f32 v[104:105], v[100:101], v[156:157], v[104:105] op_sel_hi:[1,0,1]
	v_dual_mov_b32 v156, v102 :: v_dual_mov_b32 v157, v105
	s_wait_dscnt 0x0
	s_delay_alu instid0(VALU_DEP_2) | instskip(NEXT) | instid1(VALU_DEP_1)
	v_pk_mul_f32 v[106:107], v[116:117], v[104:105] op_sel:[0,1]
	v_pk_fma_f32 v[120:121], v[116:117], v[102:103], v[106:107] op_sel:[0,0,1] op_sel_hi:[1,1,0] neg_lo:[0,0,1] neg_hi:[0,0,1]
	v_pk_fma_f32 v[106:107], v[116:117], v[102:103], v[106:107] op_sel:[0,0,1] op_sel_hi:[1,0,0]
	s_delay_alu instid0(VALU_DEP_1) | instskip(SKIP_1) | instid1(VALU_DEP_1)
	v_mov_b32_e32 v121, v107
	v_pk_mul_f32 v[106:107], v[118:119], v[104:105] op_sel:[0,1]
	v_pk_fma_f32 v[116:117], v[118:119], v[102:103], v[106:107] op_sel:[0,0,1] op_sel_hi:[1,1,0] neg_lo:[0,0,1] neg_hi:[0,0,1]
	v_pk_fma_f32 v[106:107], v[118:119], v[102:103], v[106:107] op_sel:[0,0,1] op_sel_hi:[1,0,0]
	s_delay_alu instid0(VALU_DEP_1) | instskip(SKIP_1) | instid1(VALU_DEP_2)
	v_mov_b32_e32 v117, v107
	v_pk_add_f32 v[178:179], v[178:179], v[120:121] neg_lo:[0,1] neg_hi:[0,1]
	v_pk_add_f32 v[174:175], v[174:175], v[116:117] neg_lo:[0,1] neg_hi:[0,1]
	ds_load_2addr_b64 v[116:119], v168 offset0:42 offset1:43
	s_wait_dscnt 0x0
	v_pk_mul_f32 v[106:107], v[116:117], v[104:105] op_sel:[0,1]
	s_delay_alu instid0(VALU_DEP_1) | instskip(SKIP_2) | instid1(VALU_DEP_2)
	v_pk_fma_f32 v[120:121], v[116:117], v[102:103], v[106:107] op_sel:[0,0,1] op_sel_hi:[1,1,0] neg_lo:[0,0,1] neg_hi:[0,0,1]
	v_pk_fma_f32 v[106:107], v[116:117], v[102:103], v[106:107] op_sel:[0,0,1] op_sel_hi:[1,0,0]
	v_dual_mul_f32 v116, v119, v105 :: v_dual_mov_b32 v106, v119
	v_dual_mov_b32 v121, v107 :: v_dual_mov_b32 v107, v118
	s_delay_alu instid0(VALU_DEP_2) | instskip(SKIP_1) | instid1(VALU_DEP_3)
	v_pk_fma_f32 v[116:117], v[118:119], v[156:157], v[116:117] op_sel_hi:[1,1,0] neg_lo:[0,0,1] neg_hi:[0,0,1]
	v_mul_f32_e32 v118, v119, v102
	v_pk_add_f32 v[176:177], v[176:177], v[120:121] neg_lo:[0,1] neg_hi:[0,1]
	s_delay_alu instid0(VALU_DEP_2) | instskip(NEXT) | instid1(VALU_DEP_1)
	v_pk_fma_f32 v[106:107], v[106:107], v[156:157], v[118:119] op_sel_hi:[1,1,0]
	v_mov_b32_e32 v117, v107
	s_delay_alu instid0(VALU_DEP_1) | instskip(SKIP_3) | instid1(VALU_DEP_1)
	v_pk_add_f32 v[172:173], v[172:173], v[116:117] neg_lo:[0,1] neg_hi:[0,1]
	ds_load_2addr_b64 v[116:119], v168 offset0:44 offset1:45
	s_wait_dscnt 0x0
	v_pk_mul_f32 v[106:107], v[116:117], v[104:105] op_sel:[0,1]
	v_pk_fma_f32 v[120:121], v[116:117], v[102:103], v[106:107] op_sel:[0,0,1] op_sel_hi:[1,1,0] neg_lo:[0,0,1] neg_hi:[0,0,1]
	v_pk_fma_f32 v[106:107], v[116:117], v[102:103], v[106:107] op_sel:[0,0,1] op_sel_hi:[1,0,0]
	s_delay_alu instid0(VALU_DEP_1) | instskip(SKIP_1) | instid1(VALU_DEP_2)
	v_mov_b32_e32 v121, v107
	v_pk_mul_f32 v[106:107], v[118:119], v[104:105] op_sel:[0,1]
	v_pk_add_f32 v[198:199], v[198:199], v[120:121] neg_lo:[0,1] neg_hi:[0,1]
	s_delay_alu instid0(VALU_DEP_2) | instskip(SKIP_1) | instid1(VALU_DEP_1)
	v_pk_fma_f32 v[116:117], v[118:119], v[102:103], v[106:107] op_sel:[0,0,1] op_sel_hi:[1,1,0] neg_lo:[0,0,1] neg_hi:[0,0,1]
	v_pk_fma_f32 v[106:107], v[118:119], v[102:103], v[106:107] op_sel:[0,0,1] op_sel_hi:[1,0,0]
	v_mov_b32_e32 v117, v107
	s_delay_alu instid0(VALU_DEP_1) | instskip(SKIP_3) | instid1(VALU_DEP_1)
	v_pk_add_f32 v[194:195], v[194:195], v[116:117] neg_lo:[0,1] neg_hi:[0,1]
	ds_load_2addr_b64 v[116:119], v168 offset0:46 offset1:47
	s_wait_dscnt 0x0
	v_pk_mul_f32 v[106:107], v[116:117], v[104:105] op_sel:[0,1]
	v_pk_fma_f32 v[120:121], v[116:117], v[102:103], v[106:107] op_sel:[0,0,1] op_sel_hi:[1,1,0] neg_lo:[0,0,1] neg_hi:[0,0,1]
	v_pk_fma_f32 v[106:107], v[116:117], v[102:103], v[106:107] op_sel:[0,0,1] op_sel_hi:[1,0,0]
	s_delay_alu instid0(VALU_DEP_1) | instskip(SKIP_1) | instid1(VALU_DEP_2)
	v_mov_b32_e32 v121, v107
	v_pk_mul_f32 v[106:107], v[118:119], v[104:105] op_sel:[0,1]
	v_pk_add_f32 v[196:197], v[196:197], v[120:121] neg_lo:[0,1] neg_hi:[0,1]
	s_delay_alu instid0(VALU_DEP_2) | instskip(SKIP_1) | instid1(VALU_DEP_1)
	v_pk_fma_f32 v[116:117], v[118:119], v[102:103], v[106:107] op_sel:[0,0,1] op_sel_hi:[1,1,0] neg_lo:[0,0,1] neg_hi:[0,0,1]
	v_pk_fma_f32 v[106:107], v[118:119], v[102:103], v[106:107] op_sel:[0,0,1] op_sel_hi:[1,0,0]
	v_mov_b32_e32 v117, v107
	s_delay_alu instid0(VALU_DEP_1) | instskip(SKIP_3) | instid1(VALU_DEP_1)
	v_pk_add_f32 v[192:193], v[192:193], v[116:117] neg_lo:[0,1] neg_hi:[0,1]
	ds_load_2addr_b64 v[116:119], v168 offset0:48 offset1:49
	s_wait_dscnt 0x0
	v_dual_mul_f32 v106, v117, v105 :: v_dual_mul_f32 v120, v117, v102
	v_pk_fma_f32 v[106:107], v[116:117], v[156:157], v[106:107] op_sel_hi:[1,1,0] neg_lo:[0,0,1] neg_hi:[0,0,1]
	s_delay_alu instid0(VALU_DEP_2) | instskip(NEXT) | instid1(VALU_DEP_1)
	v_pk_fma_f32 v[116:117], v[116:117], v[156:157], v[120:121] op_sel:[1,0,0] op_sel_hi:[0,1,0]
	v_mov_b32_e32 v107, v117
	s_delay_alu instid0(VALU_DEP_1) | instskip(SKIP_1) | instid1(VALU_DEP_1)
	v_pk_add_f32 v[220:221], v[220:221], v[106:107] neg_lo:[0,1] neg_hi:[0,1]
	v_pk_mul_f32 v[106:107], v[118:119], v[104:105] op_sel:[0,1]
	v_pk_fma_f32 v[116:117], v[118:119], v[102:103], v[106:107] op_sel:[0,0,1] op_sel_hi:[1,1,0] neg_lo:[0,0,1] neg_hi:[0,0,1]
	v_pk_fma_f32 v[106:107], v[118:119], v[102:103], v[106:107] op_sel:[0,0,1] op_sel_hi:[1,0,0]
	s_delay_alu instid0(VALU_DEP_1) | instskip(NEXT) | instid1(VALU_DEP_1)
	v_mov_b32_e32 v117, v107
	v_pk_add_f32 v[214:215], v[214:215], v[116:117] neg_lo:[0,1] neg_hi:[0,1]
	ds_load_2addr_b64 v[116:119], v168 offset0:50 offset1:51
	s_wait_dscnt 0x0
	v_pk_mul_f32 v[106:107], v[116:117], v[104:105] op_sel:[0,1]
	s_delay_alu instid0(VALU_DEP_1) | instskip(SKIP_1) | instid1(VALU_DEP_1)
	v_pk_fma_f32 v[120:121], v[116:117], v[102:103], v[106:107] op_sel:[0,0,1] op_sel_hi:[1,1,0] neg_lo:[0,0,1] neg_hi:[0,0,1]
	v_pk_fma_f32 v[106:107], v[116:117], v[102:103], v[106:107] op_sel:[0,0,1] op_sel_hi:[1,0,0]
	v_mov_b32_e32 v121, v107
	v_pk_mul_f32 v[106:107], v[118:119], v[104:105] op_sel:[0,1]
	s_delay_alu instid0(VALU_DEP_2) | instskip(NEXT) | instid1(VALU_DEP_2)
	v_pk_add_f32 v[218:219], v[218:219], v[120:121] neg_lo:[0,1] neg_hi:[0,1]
	v_pk_fma_f32 v[116:117], v[118:119], v[102:103], v[106:107] op_sel:[0,0,1] op_sel_hi:[1,1,0] neg_lo:[0,0,1] neg_hi:[0,0,1]
	v_pk_fma_f32 v[106:107], v[118:119], v[102:103], v[106:107] op_sel:[0,0,1] op_sel_hi:[1,0,0]
	s_delay_alu instid0(VALU_DEP_1) | instskip(NEXT) | instid1(VALU_DEP_1)
	v_mov_b32_e32 v117, v107
	v_pk_add_f32 v[212:213], v[212:213], v[116:117] neg_lo:[0,1] neg_hi:[0,1]
	ds_load_2addr_b64 v[116:119], v168 offset0:52 offset1:53
	s_wait_dscnt 0x0
	v_pk_mul_f32 v[106:107], v[116:117], v[104:105] op_sel:[0,1]
	s_delay_alu instid0(VALU_DEP_1) | instskip(SKIP_2) | instid1(VALU_DEP_2)
	v_pk_fma_f32 v[120:121], v[116:117], v[102:103], v[106:107] op_sel:[0,0,1] op_sel_hi:[1,1,0] neg_lo:[0,0,1] neg_hi:[0,0,1]
	v_pk_fma_f32 v[106:107], v[116:117], v[102:103], v[106:107] op_sel:[0,0,1] op_sel_hi:[1,0,0]
	v_dual_mul_f32 v116, v119, v105 :: v_dual_mov_b32 v106, v119
	v_dual_mov_b32 v121, v107 :: v_dual_mov_b32 v107, v118
	s_delay_alu instid0(VALU_DEP_2) | instskip(SKIP_1) | instid1(VALU_DEP_3)
	v_pk_fma_f32 v[116:117], v[118:119], v[156:157], v[116:117] op_sel_hi:[1,1,0] neg_lo:[0,0,1] neg_hi:[0,0,1]
	v_mul_f32_e32 v118, v119, v102
	v_pk_add_f32 v[216:217], v[216:217], v[120:121] neg_lo:[0,1] neg_hi:[0,1]
	s_delay_alu instid0(VALU_DEP_2) | instskip(NEXT) | instid1(VALU_DEP_1)
	v_pk_fma_f32 v[106:107], v[106:107], v[156:157], v[118:119] op_sel_hi:[1,1,0]
	v_mov_b32_e32 v117, v107
	s_delay_alu instid0(VALU_DEP_1) | instskip(SKIP_4) | instid1(VALU_DEP_2)
	v_pk_add_f32 v[210:211], v[210:211], v[116:117] neg_lo:[0,1] neg_hi:[0,1]
	ds_load_2addr_b64 v[116:119], v168 offset0:54 offset1:55
	s_wait_dscnt 0x0
	v_pk_mul_f32 v[106:107], v[116:117], v[104:105] op_sel:[0,1]
	v_pk_mul_f32 v[104:105], v[118:119], v[104:105] op_sel:[0,1]
	v_pk_fma_f32 v[120:121], v[116:117], v[102:103], v[106:107] op_sel:[0,0,1] op_sel_hi:[1,1,0] neg_lo:[0,0,1] neg_hi:[0,0,1]
	v_pk_fma_f32 v[106:107], v[116:117], v[102:103], v[106:107] op_sel:[0,0,1] op_sel_hi:[1,0,0]
	s_delay_alu instid0(VALU_DEP_1) | instskip(NEXT) | instid1(VALU_DEP_4)
	v_mov_b32_e32 v121, v107
	v_pk_fma_f32 v[106:107], v[118:119], v[102:103], v[104:105] op_sel:[0,0,1] op_sel_hi:[1,1,0] neg_lo:[0,0,1] neg_hi:[0,0,1]
	v_pk_fma_f32 v[102:103], v[118:119], v[102:103], v[104:105] op_sel:[0,0,1] op_sel_hi:[1,0,0]
	s_delay_alu instid0(VALU_DEP_3) | instskip(NEXT) | instid1(VALU_DEP_2)
	v_pk_add_f32 v[222:223], v[222:223], v[120:121] neg_lo:[0,1] neg_hi:[0,1]
	v_mov_b32_e32 v107, v103
	s_delay_alu instid0(VALU_DEP_1)
	v_pk_add_f32 v[224:225], v[224:225], v[106:107] neg_lo:[0,1] neg_hi:[0,1]
.LBB111_361:
	s_or_b32 exec_lo, exec_lo, s1
	s_delay_alu instid0(SALU_CYCLE_1)
	s_mov_b32 s2, exec_lo
	s_wait_dscnt 0x0
	s_barrier_signal -1
	s_barrier_wait -1
	v_cmpx_eq_u32_e32 40, v166
	s_cbranch_execz .LBB111_368
; %bb.362:
	ds_store_b64 v167, v[178:179]
	ds_store_2addr_b64 v168, v[174:175], v[176:177] offset0:41 offset1:42
	ds_store_2addr_b64 v168, v[172:173], v[198:199] offset0:43 offset1:44
	;; [unrolled: 1-line block ×7, first 2 shown]
	ds_store_b64 v168, v[224:225] offset:440
	ds_load_b64 v[102:103], v167
	s_wait_dscnt 0x0
	v_cmp_neq_f32_e32 vcc_lo, 0, v102
	v_cmp_neq_f32_e64 s1, 0, v103
	s_or_b32 s1, vcc_lo, s1
	s_delay_alu instid0(SALU_CYCLE_1)
	s_and_b32 exec_lo, exec_lo, s1
	s_cbranch_execz .LBB111_368
; %bb.363:
	v_cmp_ngt_f32_e64 s1, |v102|, |v103|
                                        ; implicit-def: $vgpr104_vgpr105
	s_and_saveexec_b32 s4, s1
	s_delay_alu instid0(SALU_CYCLE_1)
	s_xor_b32 s1, exec_lo, s4
	s_cbranch_execz .LBB111_365
; %bb.364:
	v_div_scale_f32 v104, null, v103, v103, v102
	v_div_scale_f32 v107, vcc_lo, v102, v103, v102
	s_delay_alu instid0(VALU_DEP_2) | instskip(SKIP_1) | instid1(TRANS32_DEP_1)
	v_rcp_f32_e32 v105, v104
	v_nop
	v_fma_f32 v106, -v104, v105, 1.0
	s_delay_alu instid0(VALU_DEP_1) | instskip(NEXT) | instid1(VALU_DEP_1)
	v_fmac_f32_e32 v105, v106, v105
	v_mul_f32_e32 v106, v107, v105
	s_delay_alu instid0(VALU_DEP_1) | instskip(NEXT) | instid1(VALU_DEP_1)
	v_fma_f32 v116, -v104, v106, v107
	v_fmac_f32_e32 v106, v116, v105
	s_delay_alu instid0(VALU_DEP_1) | instskip(NEXT) | instid1(VALU_DEP_1)
	v_fma_f32 v104, -v104, v106, v107
	v_div_fmas_f32 v104, v104, v105, v106
	s_delay_alu instid0(VALU_DEP_1) | instskip(NEXT) | instid1(VALU_DEP_1)
	v_div_fixup_f32 v104, v104, v103, v102
	v_fmac_f32_e32 v103, v102, v104
	s_delay_alu instid0(VALU_DEP_1) | instskip(SKIP_1) | instid1(VALU_DEP_2)
	v_div_scale_f32 v102, null, v103, v103, 1.0
	v_div_scale_f32 v107, vcc_lo, 1.0, v103, 1.0
	v_rcp_f32_e32 v105, v102
	v_nop
	s_delay_alu instid0(TRANS32_DEP_1) | instskip(NEXT) | instid1(VALU_DEP_1)
	v_fma_f32 v106, -v102, v105, 1.0
	v_fmac_f32_e32 v105, v106, v105
	s_delay_alu instid0(VALU_DEP_1) | instskip(NEXT) | instid1(VALU_DEP_1)
	v_mul_f32_e32 v106, v107, v105
	v_fma_f32 v116, -v102, v106, v107
	s_delay_alu instid0(VALU_DEP_1) | instskip(NEXT) | instid1(VALU_DEP_1)
	v_fmac_f32_e32 v106, v116, v105
	v_fma_f32 v102, -v102, v106, v107
	s_delay_alu instid0(VALU_DEP_1) | instskip(NEXT) | instid1(VALU_DEP_1)
	v_div_fmas_f32 v102, v102, v105, v106
	v_div_fixup_f32 v102, v102, v103, 1.0
	s_delay_alu instid0(VALU_DEP_1)
	v_mul_f32_e32 v104, v104, v102
	v_xor_b32_e32 v105, 0x80000000, v102
                                        ; implicit-def: $vgpr102_vgpr103
.LBB111_365:
	s_and_not1_saveexec_b32 s1, s1
	s_cbranch_execz .LBB111_367
; %bb.366:
	v_div_scale_f32 v104, null, v102, v102, v103
	v_div_scale_f32 v107, vcc_lo, v103, v102, v103
	s_delay_alu instid0(VALU_DEP_2) | instskip(SKIP_1) | instid1(TRANS32_DEP_1)
	v_rcp_f32_e32 v105, v104
	v_nop
	v_fma_f32 v106, -v104, v105, 1.0
	s_delay_alu instid0(VALU_DEP_1) | instskip(NEXT) | instid1(VALU_DEP_1)
	v_fmac_f32_e32 v105, v106, v105
	v_mul_f32_e32 v106, v107, v105
	s_delay_alu instid0(VALU_DEP_1) | instskip(NEXT) | instid1(VALU_DEP_1)
	v_fma_f32 v116, -v104, v106, v107
	v_fmac_f32_e32 v106, v116, v105
	s_delay_alu instid0(VALU_DEP_1) | instskip(NEXT) | instid1(VALU_DEP_1)
	v_fma_f32 v104, -v104, v106, v107
	v_div_fmas_f32 v104, v104, v105, v106
	s_delay_alu instid0(VALU_DEP_1) | instskip(NEXT) | instid1(VALU_DEP_1)
	v_div_fixup_f32 v105, v104, v102, v103
	v_fmac_f32_e32 v102, v103, v105
	s_delay_alu instid0(VALU_DEP_1) | instskip(NEXT) | instid1(VALU_DEP_1)
	v_div_scale_f32 v103, null, v102, v102, 1.0
	v_rcp_f32_e32 v104, v103
	v_nop
	s_delay_alu instid0(TRANS32_DEP_1) | instskip(NEXT) | instid1(VALU_DEP_1)
	v_fma_f32 v106, -v103, v104, 1.0
	v_fmac_f32_e32 v104, v106, v104
	v_div_scale_f32 v106, vcc_lo, 1.0, v102, 1.0
	s_delay_alu instid0(VALU_DEP_1) | instskip(NEXT) | instid1(VALU_DEP_1)
	v_mul_f32_e32 v107, v106, v104
	v_fma_f32 v116, -v103, v107, v106
	s_delay_alu instid0(VALU_DEP_1) | instskip(NEXT) | instid1(VALU_DEP_1)
	v_fmac_f32_e32 v107, v116, v104
	v_fma_f32 v103, -v103, v107, v106
	s_delay_alu instid0(VALU_DEP_1) | instskip(NEXT) | instid1(VALU_DEP_1)
	v_div_fmas_f32 v103, v103, v104, v107
	v_div_fixup_f32 v104, v103, v102, 1.0
	s_delay_alu instid0(VALU_DEP_1)
	v_mul_f32_e64 v105, v105, -v104
.LBB111_367:
	s_or_b32 exec_lo, exec_lo, s1
	ds_store_b64 v167, v[104:105]
.LBB111_368:
	s_or_b32 exec_lo, exec_lo, s2
	s_wait_dscnt 0x0
	s_barrier_signal -1
	s_barrier_wait -1
	ds_load_b64 v[102:103], v167
	s_mov_b32 s1, exec_lo
	v_cmpx_lt_u32_e32 40, v166
	s_cbranch_execz .LBB111_370
; %bb.369:
	ds_load_2addr_b64 v[116:119], v168 offset0:41 offset1:42
	s_wait_dscnt 0x1
	v_pk_mul_f32 v[106:107], v[102:103], v[178:179] op_sel:[1,1] op_sel_hi:[0,1]
	s_delay_alu instid0(VALU_DEP_1) | instskip(SKIP_1) | instid1(VALU_DEP_1)
	v_pk_fma_f32 v[104:105], v[102:103], v[178:179], v[106:107] op_sel_hi:[1,0,1] neg_lo:[0,0,1] neg_hi:[0,0,1]
	v_pk_fma_f32 v[106:107], v[102:103], v[178:179], v[106:107] op_sel_hi:[1,0,1]
	v_dual_mov_b32 v178, v104 :: v_dual_mov_b32 v179, v107
	s_wait_dscnt 0x0
	s_delay_alu instid0(VALU_DEP_2) | instskip(NEXT) | instid1(VALU_DEP_1)
	v_pk_mul_f32 v[120:121], v[116:117], v[106:107] op_sel:[0,1]
	v_pk_fma_f32 v[122:123], v[116:117], v[104:105], v[120:121] op_sel:[0,0,1] op_sel_hi:[1,1,0] neg_lo:[0,0,1] neg_hi:[0,0,1]
	v_pk_fma_f32 v[116:117], v[116:117], v[104:105], v[120:121] op_sel:[0,0,1] op_sel_hi:[1,0,0]
	s_delay_alu instid0(VALU_DEP_1) | instskip(SKIP_1) | instid1(VALU_DEP_1)
	v_mov_b32_e32 v123, v117
	v_pk_mul_f32 v[116:117], v[118:119], v[106:107] op_sel:[0,1]
	v_pk_fma_f32 v[120:121], v[118:119], v[104:105], v[116:117] op_sel:[0,0,1] op_sel_hi:[1,1,0] neg_lo:[0,0,1] neg_hi:[0,0,1]
	v_pk_fma_f32 v[116:117], v[118:119], v[104:105], v[116:117] op_sel:[0,0,1] op_sel_hi:[1,0,0]
	s_delay_alu instid0(VALU_DEP_1)
	v_mov_b32_e32 v121, v117
	ds_load_2addr_b64 v[116:119], v168 offset0:43 offset1:44
	v_pk_add_f32 v[174:175], v[174:175], v[122:123] neg_lo:[0,1] neg_hi:[0,1]
	v_pk_add_f32 v[176:177], v[176:177], v[120:121] neg_lo:[0,1] neg_hi:[0,1]
	s_wait_dscnt 0x0
	v_pk_mul_f32 v[120:121], v[116:117], v[106:107] op_sel:[0,1]
	s_delay_alu instid0(VALU_DEP_1) | instskip(SKIP_2) | instid1(VALU_DEP_2)
	v_pk_fma_f32 v[122:123], v[116:117], v[104:105], v[120:121] op_sel:[0,0,1] op_sel_hi:[1,1,0] neg_lo:[0,0,1] neg_hi:[0,0,1]
	v_pk_fma_f32 v[116:117], v[116:117], v[104:105], v[120:121] op_sel:[0,0,1] op_sel_hi:[1,0,0]
	v_dual_mul_f32 v120, v119, v107 :: v_dual_mov_b32 v116, v119
	v_dual_mov_b32 v123, v117 :: v_dual_mov_b32 v117, v118
	s_delay_alu instid0(VALU_DEP_2) | instskip(SKIP_1) | instid1(VALU_DEP_3)
	v_pk_fma_f32 v[120:121], v[118:119], v[178:179], v[120:121] op_sel_hi:[1,1,0] neg_lo:[0,0,1] neg_hi:[0,0,1]
	v_mul_f32_e32 v118, v119, v104
	v_pk_add_f32 v[172:173], v[172:173], v[122:123] neg_lo:[0,1] neg_hi:[0,1]
	s_delay_alu instid0(VALU_DEP_2) | instskip(NEXT) | instid1(VALU_DEP_1)
	v_pk_fma_f32 v[116:117], v[116:117], v[178:179], v[118:119] op_sel_hi:[1,1,0]
	v_mov_b32_e32 v121, v117
	ds_load_2addr_b64 v[116:119], v168 offset0:45 offset1:46
	v_pk_add_f32 v[198:199], v[198:199], v[120:121] neg_lo:[0,1] neg_hi:[0,1]
	s_wait_dscnt 0x0
	v_pk_mul_f32 v[120:121], v[116:117], v[106:107] op_sel:[0,1]
	s_delay_alu instid0(VALU_DEP_1) | instskip(SKIP_1) | instid1(VALU_DEP_1)
	v_pk_fma_f32 v[122:123], v[116:117], v[104:105], v[120:121] op_sel:[0,0,1] op_sel_hi:[1,1,0] neg_lo:[0,0,1] neg_hi:[0,0,1]
	v_pk_fma_f32 v[116:117], v[116:117], v[104:105], v[120:121] op_sel:[0,0,1] op_sel_hi:[1,0,0]
	v_mov_b32_e32 v123, v117
	v_pk_mul_f32 v[116:117], v[118:119], v[106:107] op_sel:[0,1]
	s_delay_alu instid0(VALU_DEP_1) | instskip(SKIP_1) | instid1(VALU_DEP_1)
	v_pk_fma_f32 v[120:121], v[118:119], v[104:105], v[116:117] op_sel:[0,0,1] op_sel_hi:[1,1,0] neg_lo:[0,0,1] neg_hi:[0,0,1]
	v_pk_fma_f32 v[116:117], v[118:119], v[104:105], v[116:117] op_sel:[0,0,1] op_sel_hi:[1,0,0]
	v_mov_b32_e32 v121, v117
	ds_load_2addr_b64 v[116:119], v168 offset0:47 offset1:48
	v_pk_add_f32 v[194:195], v[194:195], v[122:123] neg_lo:[0,1] neg_hi:[0,1]
	v_pk_add_f32 v[196:197], v[196:197], v[120:121] neg_lo:[0,1] neg_hi:[0,1]
	s_wait_dscnt 0x0
	v_pk_mul_f32 v[120:121], v[116:117], v[106:107] op_sel:[0,1]
	s_delay_alu instid0(VALU_DEP_1) | instskip(SKIP_1) | instid1(VALU_DEP_1)
	v_pk_fma_f32 v[122:123], v[116:117], v[104:105], v[120:121] op_sel:[0,0,1] op_sel_hi:[1,1,0] neg_lo:[0,0,1] neg_hi:[0,0,1]
	v_pk_fma_f32 v[116:117], v[116:117], v[104:105], v[120:121] op_sel:[0,0,1] op_sel_hi:[1,0,0]
	v_mov_b32_e32 v123, v117
	v_pk_mul_f32 v[116:117], v[118:119], v[106:107] op_sel:[0,1]
	s_delay_alu instid0(VALU_DEP_1) | instskip(SKIP_1) | instid1(VALU_DEP_1)
	v_pk_fma_f32 v[120:121], v[118:119], v[104:105], v[116:117] op_sel:[0,0,1] op_sel_hi:[1,1,0] neg_lo:[0,0,1] neg_hi:[0,0,1]
	v_pk_fma_f32 v[116:117], v[118:119], v[104:105], v[116:117] op_sel:[0,0,1] op_sel_hi:[1,0,0]
	v_mov_b32_e32 v121, v117
	ds_load_2addr_b64 v[116:119], v168 offset0:49 offset1:50
	v_pk_add_f32 v[192:193], v[192:193], v[122:123] neg_lo:[0,1] neg_hi:[0,1]
	v_pk_add_f32 v[220:221], v[220:221], v[120:121] neg_lo:[0,1] neg_hi:[0,1]
	s_wait_dscnt 0x0
	v_dual_mul_f32 v120, v117, v107 :: v_dual_mul_f32 v122, v117, v104
	s_delay_alu instid0(VALU_DEP_1) | instskip(NEXT) | instid1(VALU_DEP_2)
	v_pk_fma_f32 v[120:121], v[116:117], v[178:179], v[120:121] op_sel_hi:[1,1,0] neg_lo:[0,0,1] neg_hi:[0,0,1]
	v_pk_fma_f32 v[116:117], v[116:117], v[178:179], v[122:123] op_sel:[1,0,0] op_sel_hi:[0,1,0]
	s_delay_alu instid0(VALU_DEP_1) | instskip(SKIP_1) | instid1(VALU_DEP_2)
	v_mov_b32_e32 v121, v117
	v_pk_mul_f32 v[116:117], v[118:119], v[106:107] op_sel:[0,1]
	v_pk_add_f32 v[214:215], v[214:215], v[120:121] neg_lo:[0,1] neg_hi:[0,1]
	s_delay_alu instid0(VALU_DEP_2) | instskip(SKIP_1) | instid1(VALU_DEP_1)
	v_pk_fma_f32 v[120:121], v[118:119], v[104:105], v[116:117] op_sel:[0,0,1] op_sel_hi:[1,1,0] neg_lo:[0,0,1] neg_hi:[0,0,1]
	v_pk_fma_f32 v[116:117], v[118:119], v[104:105], v[116:117] op_sel:[0,0,1] op_sel_hi:[1,0,0]
	v_mov_b32_e32 v121, v117
	ds_load_2addr_b64 v[116:119], v168 offset0:51 offset1:52
	v_pk_add_f32 v[218:219], v[218:219], v[120:121] neg_lo:[0,1] neg_hi:[0,1]
	s_wait_dscnt 0x0
	v_pk_mul_f32 v[120:121], v[116:117], v[106:107] op_sel:[0,1]
	s_delay_alu instid0(VALU_DEP_1) | instskip(SKIP_1) | instid1(VALU_DEP_1)
	v_pk_fma_f32 v[122:123], v[116:117], v[104:105], v[120:121] op_sel:[0,0,1] op_sel_hi:[1,1,0] neg_lo:[0,0,1] neg_hi:[0,0,1]
	v_pk_fma_f32 v[116:117], v[116:117], v[104:105], v[120:121] op_sel:[0,0,1] op_sel_hi:[1,0,0]
	v_mov_b32_e32 v123, v117
	v_pk_mul_f32 v[116:117], v[118:119], v[106:107] op_sel:[0,1]
	s_delay_alu instid0(VALU_DEP_2) | instskip(NEXT) | instid1(VALU_DEP_2)
	v_pk_add_f32 v[212:213], v[212:213], v[122:123] neg_lo:[0,1] neg_hi:[0,1]
	v_pk_fma_f32 v[120:121], v[118:119], v[104:105], v[116:117] op_sel:[0,0,1] op_sel_hi:[1,1,0] neg_lo:[0,0,1] neg_hi:[0,0,1]
	v_pk_fma_f32 v[116:117], v[118:119], v[104:105], v[116:117] op_sel:[0,0,1] op_sel_hi:[1,0,0]
	s_delay_alu instid0(VALU_DEP_1) | instskip(SKIP_4) | instid1(VALU_DEP_1)
	v_mov_b32_e32 v121, v117
	ds_load_2addr_b64 v[116:119], v168 offset0:53 offset1:54
	v_pk_add_f32 v[216:217], v[216:217], v[120:121] neg_lo:[0,1] neg_hi:[0,1]
	s_wait_dscnt 0x0
	v_pk_mul_f32 v[120:121], v[116:117], v[106:107] op_sel:[0,1]
	v_pk_fma_f32 v[122:123], v[116:117], v[104:105], v[120:121] op_sel:[0,0,1] op_sel_hi:[1,1,0] neg_lo:[0,0,1] neg_hi:[0,0,1]
	v_pk_fma_f32 v[116:117], v[116:117], v[104:105], v[120:121] op_sel:[0,0,1] op_sel_hi:[1,0,0]
	v_dual_mul_f32 v120, v119, v107 :: v_dual_mov_b32 v116, v119
	s_delay_alu instid0(VALU_DEP_2) | instskip(NEXT) | instid1(VALU_DEP_2)
	v_dual_mov_b32 v123, v117 :: v_dual_mov_b32 v117, v118
	v_pk_fma_f32 v[120:121], v[118:119], v[178:179], v[120:121] op_sel_hi:[1,1,0] neg_lo:[0,0,1] neg_hi:[0,0,1]
	v_mul_f32_e32 v118, v119, v104
	s_delay_alu instid0(VALU_DEP_3) | instskip(NEXT) | instid1(VALU_DEP_2)
	v_pk_add_f32 v[210:211], v[210:211], v[122:123] neg_lo:[0,1] neg_hi:[0,1]
	v_pk_fma_f32 v[116:117], v[116:117], v[178:179], v[118:119] op_sel_hi:[1,1,0]
	s_delay_alu instid0(VALU_DEP_1) | instskip(SKIP_4) | instid1(VALU_DEP_1)
	v_mov_b32_e32 v121, v117
	ds_load_b64 v[116:117], v168 offset:440
	v_pk_add_f32 v[222:223], v[222:223], v[120:121] neg_lo:[0,1] neg_hi:[0,1]
	s_wait_dscnt 0x0
	v_pk_mul_f32 v[106:107], v[116:117], v[106:107] op_sel:[0,1]
	v_pk_fma_f32 v[118:119], v[116:117], v[104:105], v[106:107] op_sel:[0,0,1] op_sel_hi:[1,1,0] neg_lo:[0,0,1] neg_hi:[0,0,1]
	v_pk_fma_f32 v[104:105], v[116:117], v[104:105], v[106:107] op_sel:[0,0,1] op_sel_hi:[1,0,0]
	s_delay_alu instid0(VALU_DEP_1) | instskip(NEXT) | instid1(VALU_DEP_1)
	v_mov_b32_e32 v119, v105
	v_pk_add_f32 v[224:225], v[224:225], v[118:119] neg_lo:[0,1] neg_hi:[0,1]
.LBB111_370:
	s_or_b32 exec_lo, exec_lo, s1
	s_delay_alu instid0(SALU_CYCLE_1)
	s_mov_b32 s2, exec_lo
	s_wait_dscnt 0x0
	s_barrier_signal -1
	s_barrier_wait -1
	v_cmpx_eq_u32_e32 41, v166
	s_cbranch_execz .LBB111_377
; %bb.371:
	v_dual_mov_b32 v104, v176 :: v_dual_mov_b32 v105, v177
	v_dual_mov_b32 v106, v172 :: v_dual_mov_b32 v107, v173
	ds_store_b64 v167, v[174:175]
	ds_store_2addr_b64 v168, v[104:105], v[106:107] offset0:42 offset1:43
	v_dual_mov_b32 v104, v198 :: v_dual_mov_b32 v105, v199
	v_dual_mov_b32 v106, v194 :: v_dual_mov_b32 v107, v195
	ds_store_2addr_b64 v168, v[104:105], v[106:107] offset0:44 offset1:45
	v_dual_mov_b32 v104, v196 :: v_dual_mov_b32 v105, v197
	v_dual_mov_b32 v106, v192 :: v_dual_mov_b32 v107, v193
	;; [unrolled: 3-line block ×5, first 2 shown]
	ds_store_2addr_b64 v168, v[104:105], v[106:107] offset0:52 offset1:53
	v_dual_mov_b32 v104, v222 :: v_dual_mov_b32 v105, v223
	ds_store_2addr_b64 v168, v[104:105], v[224:225] offset0:54 offset1:55
	ds_load_b64 v[104:105], v167
	s_wait_dscnt 0x0
	v_cmp_neq_f32_e32 vcc_lo, 0, v104
	v_cmp_neq_f32_e64 s1, 0, v105
	s_or_b32 s1, vcc_lo, s1
	s_delay_alu instid0(SALU_CYCLE_1)
	s_and_b32 exec_lo, exec_lo, s1
	s_cbranch_execz .LBB111_377
; %bb.372:
	v_cmp_ngt_f32_e64 s1, |v104|, |v105|
                                        ; implicit-def: $vgpr106_vgpr107
	s_and_saveexec_b32 s4, s1
	s_delay_alu instid0(SALU_CYCLE_1)
	s_xor_b32 s1, exec_lo, s4
	s_cbranch_execz .LBB111_374
; %bb.373:
	v_div_scale_f32 v106, null, v105, v105, v104
	v_div_scale_f32 v117, vcc_lo, v104, v105, v104
	s_delay_alu instid0(VALU_DEP_2) | instskip(SKIP_1) | instid1(TRANS32_DEP_1)
	v_rcp_f32_e32 v107, v106
	v_nop
	v_fma_f32 v116, -v106, v107, 1.0
	s_delay_alu instid0(VALU_DEP_1) | instskip(NEXT) | instid1(VALU_DEP_1)
	v_fmac_f32_e32 v107, v116, v107
	v_mul_f32_e32 v116, v117, v107
	s_delay_alu instid0(VALU_DEP_1) | instskip(NEXT) | instid1(VALU_DEP_1)
	v_fma_f32 v118, -v106, v116, v117
	v_fmac_f32_e32 v116, v118, v107
	s_delay_alu instid0(VALU_DEP_1) | instskip(NEXT) | instid1(VALU_DEP_1)
	v_fma_f32 v106, -v106, v116, v117
	v_div_fmas_f32 v106, v106, v107, v116
	s_delay_alu instid0(VALU_DEP_1) | instskip(NEXT) | instid1(VALU_DEP_1)
	v_div_fixup_f32 v106, v106, v105, v104
	v_fmac_f32_e32 v105, v104, v106
	s_delay_alu instid0(VALU_DEP_1) | instskip(SKIP_1) | instid1(VALU_DEP_2)
	v_div_scale_f32 v104, null, v105, v105, 1.0
	v_div_scale_f32 v117, vcc_lo, 1.0, v105, 1.0
	v_rcp_f32_e32 v107, v104
	v_nop
	s_delay_alu instid0(TRANS32_DEP_1) | instskip(NEXT) | instid1(VALU_DEP_1)
	v_fma_f32 v116, -v104, v107, 1.0
	v_fmac_f32_e32 v107, v116, v107
	s_delay_alu instid0(VALU_DEP_1) | instskip(NEXT) | instid1(VALU_DEP_1)
	v_mul_f32_e32 v116, v117, v107
	v_fma_f32 v118, -v104, v116, v117
	s_delay_alu instid0(VALU_DEP_1) | instskip(NEXT) | instid1(VALU_DEP_1)
	v_fmac_f32_e32 v116, v118, v107
	v_fma_f32 v104, -v104, v116, v117
	s_delay_alu instid0(VALU_DEP_1) | instskip(NEXT) | instid1(VALU_DEP_1)
	v_div_fmas_f32 v104, v104, v107, v116
	v_div_fixup_f32 v104, v104, v105, 1.0
	s_delay_alu instid0(VALU_DEP_1)
	v_mul_f32_e32 v106, v106, v104
	v_xor_b32_e32 v107, 0x80000000, v104
                                        ; implicit-def: $vgpr104_vgpr105
.LBB111_374:
	s_and_not1_saveexec_b32 s1, s1
	s_cbranch_execz .LBB111_376
; %bb.375:
	v_div_scale_f32 v106, null, v104, v104, v105
	v_div_scale_f32 v117, vcc_lo, v105, v104, v105
	s_delay_alu instid0(VALU_DEP_2) | instskip(SKIP_1) | instid1(TRANS32_DEP_1)
	v_rcp_f32_e32 v107, v106
	v_nop
	v_fma_f32 v116, -v106, v107, 1.0
	s_delay_alu instid0(VALU_DEP_1) | instskip(NEXT) | instid1(VALU_DEP_1)
	v_fmac_f32_e32 v107, v116, v107
	v_mul_f32_e32 v116, v117, v107
	s_delay_alu instid0(VALU_DEP_1) | instskip(NEXT) | instid1(VALU_DEP_1)
	v_fma_f32 v118, -v106, v116, v117
	v_fmac_f32_e32 v116, v118, v107
	s_delay_alu instid0(VALU_DEP_1) | instskip(NEXT) | instid1(VALU_DEP_1)
	v_fma_f32 v106, -v106, v116, v117
	v_div_fmas_f32 v106, v106, v107, v116
	s_delay_alu instid0(VALU_DEP_1) | instskip(NEXT) | instid1(VALU_DEP_1)
	v_div_fixup_f32 v107, v106, v104, v105
	v_fmac_f32_e32 v104, v105, v107
	s_delay_alu instid0(VALU_DEP_1) | instskip(NEXT) | instid1(VALU_DEP_1)
	v_div_scale_f32 v105, null, v104, v104, 1.0
	v_rcp_f32_e32 v106, v105
	v_nop
	s_delay_alu instid0(TRANS32_DEP_1) | instskip(NEXT) | instid1(VALU_DEP_1)
	v_fma_f32 v116, -v105, v106, 1.0
	v_fmac_f32_e32 v106, v116, v106
	v_div_scale_f32 v116, vcc_lo, 1.0, v104, 1.0
	s_delay_alu instid0(VALU_DEP_1) | instskip(NEXT) | instid1(VALU_DEP_1)
	v_mul_f32_e32 v117, v116, v106
	v_fma_f32 v118, -v105, v117, v116
	s_delay_alu instid0(VALU_DEP_1) | instskip(NEXT) | instid1(VALU_DEP_1)
	v_fmac_f32_e32 v117, v118, v106
	v_fma_f32 v105, -v105, v117, v116
	s_delay_alu instid0(VALU_DEP_1) | instskip(NEXT) | instid1(VALU_DEP_1)
	v_div_fmas_f32 v105, v105, v106, v117
	v_div_fixup_f32 v106, v105, v104, 1.0
	s_delay_alu instid0(VALU_DEP_1)
	v_mul_f32_e64 v107, v107, -v106
.LBB111_376:
	s_or_b32 exec_lo, exec_lo, s1
	ds_store_b64 v167, v[106:107]
.LBB111_377:
	s_or_b32 exec_lo, exec_lo, s2
	s_wait_dscnt 0x0
	s_barrier_signal -1
	s_barrier_wait -1
	ds_load_b64 v[104:105], v167
	s_mov_b32 s1, exec_lo
	v_cmpx_lt_u32_e32 41, v166
	s_cbranch_execz .LBB111_379
; %bb.378:
	ds_load_2addr_b64 v[118:121], v168 offset0:42 offset1:43
	s_wait_dscnt 0x1
	v_pk_mul_f32 v[116:117], v[104:105], v[174:175] op_sel:[1,1] op_sel_hi:[0,1]
	s_delay_alu instid0(VALU_DEP_1) | instskip(SKIP_1) | instid1(VALU_DEP_1)
	v_pk_fma_f32 v[106:107], v[104:105], v[174:175], v[116:117] op_sel_hi:[1,0,1] neg_lo:[0,0,1] neg_hi:[0,0,1]
	v_pk_fma_f32 v[116:117], v[104:105], v[174:175], v[116:117] op_sel_hi:[1,0,1]
	v_dual_mov_b32 v174, v106 :: v_dual_mov_b32 v175, v117
	s_wait_dscnt 0x0
	s_delay_alu instid0(VALU_DEP_2) | instskip(NEXT) | instid1(VALU_DEP_1)
	v_pk_mul_f32 v[122:123], v[118:119], v[116:117] op_sel:[0,1]
	v_pk_fma_f32 v[132:133], v[118:119], v[106:107], v[122:123] op_sel:[0,0,1] op_sel_hi:[1,1,0] neg_lo:[0,0,1] neg_hi:[0,0,1]
	v_pk_fma_f32 v[118:119], v[118:119], v[106:107], v[122:123] op_sel:[0,0,1] op_sel_hi:[1,0,0]
	s_delay_alu instid0(VALU_DEP_1) | instskip(SKIP_1) | instid1(VALU_DEP_1)
	v_mov_b32_e32 v133, v119
	v_pk_mul_f32 v[118:119], v[120:121], v[116:117] op_sel:[0,1]
	v_pk_fma_f32 v[122:123], v[120:121], v[106:107], v[118:119] op_sel:[0,0,1] op_sel_hi:[1,1,0] neg_lo:[0,0,1] neg_hi:[0,0,1]
	v_pk_fma_f32 v[118:119], v[120:121], v[106:107], v[118:119] op_sel:[0,0,1] op_sel_hi:[1,0,0]
	s_delay_alu instid0(VALU_DEP_1)
	v_mov_b32_e32 v123, v119
	ds_load_2addr_b64 v[118:121], v168 offset0:44 offset1:45
	v_pk_add_f32 v[176:177], v[176:177], v[132:133] neg_lo:[0,1] neg_hi:[0,1]
	v_pk_add_f32 v[172:173], v[172:173], v[122:123] neg_lo:[0,1] neg_hi:[0,1]
	s_wait_dscnt 0x0
	v_pk_mul_f32 v[122:123], v[118:119], v[116:117] op_sel:[0,1]
	s_delay_alu instid0(VALU_DEP_1) | instskip(SKIP_2) | instid1(VALU_DEP_2)
	v_pk_fma_f32 v[132:133], v[118:119], v[106:107], v[122:123] op_sel:[0,0,1] op_sel_hi:[1,1,0] neg_lo:[0,0,1] neg_hi:[0,0,1]
	v_pk_fma_f32 v[118:119], v[118:119], v[106:107], v[122:123] op_sel:[0,0,1] op_sel_hi:[1,0,0]
	v_dual_mul_f32 v122, v121, v117 :: v_dual_mov_b32 v118, v121
	v_dual_mov_b32 v133, v119 :: v_dual_mov_b32 v119, v120
	s_delay_alu instid0(VALU_DEP_2) | instskip(SKIP_1) | instid1(VALU_DEP_3)
	v_pk_fma_f32 v[122:123], v[120:121], v[174:175], v[122:123] op_sel_hi:[1,1,0] neg_lo:[0,0,1] neg_hi:[0,0,1]
	v_mul_f32_e32 v120, v121, v106
	v_pk_add_f32 v[198:199], v[198:199], v[132:133] neg_lo:[0,1] neg_hi:[0,1]
	s_delay_alu instid0(VALU_DEP_2) | instskip(NEXT) | instid1(VALU_DEP_1)
	v_pk_fma_f32 v[118:119], v[118:119], v[174:175], v[120:121] op_sel_hi:[1,1,0]
	v_mov_b32_e32 v123, v119
	ds_load_2addr_b64 v[118:121], v168 offset0:46 offset1:47
	v_pk_add_f32 v[194:195], v[194:195], v[122:123] neg_lo:[0,1] neg_hi:[0,1]
	s_wait_dscnt 0x0
	v_pk_mul_f32 v[122:123], v[118:119], v[116:117] op_sel:[0,1]
	s_delay_alu instid0(VALU_DEP_1) | instskip(SKIP_1) | instid1(VALU_DEP_1)
	v_pk_fma_f32 v[132:133], v[118:119], v[106:107], v[122:123] op_sel:[0,0,1] op_sel_hi:[1,1,0] neg_lo:[0,0,1] neg_hi:[0,0,1]
	v_pk_fma_f32 v[118:119], v[118:119], v[106:107], v[122:123] op_sel:[0,0,1] op_sel_hi:[1,0,0]
	v_mov_b32_e32 v133, v119
	v_pk_mul_f32 v[118:119], v[120:121], v[116:117] op_sel:[0,1]
	s_delay_alu instid0(VALU_DEP_1) | instskip(SKIP_1) | instid1(VALU_DEP_1)
	v_pk_fma_f32 v[122:123], v[120:121], v[106:107], v[118:119] op_sel:[0,0,1] op_sel_hi:[1,1,0] neg_lo:[0,0,1] neg_hi:[0,0,1]
	v_pk_fma_f32 v[118:119], v[120:121], v[106:107], v[118:119] op_sel:[0,0,1] op_sel_hi:[1,0,0]
	v_mov_b32_e32 v123, v119
	ds_load_2addr_b64 v[118:121], v168 offset0:48 offset1:49
	v_pk_add_f32 v[196:197], v[196:197], v[132:133] neg_lo:[0,1] neg_hi:[0,1]
	v_pk_add_f32 v[192:193], v[192:193], v[122:123] neg_lo:[0,1] neg_hi:[0,1]
	s_wait_dscnt 0x0
	v_pk_mul_f32 v[122:123], v[118:119], v[116:117] op_sel:[0,1]
	s_delay_alu instid0(VALU_DEP_1) | instskip(SKIP_1) | instid1(VALU_DEP_1)
	v_pk_fma_f32 v[132:133], v[118:119], v[106:107], v[122:123] op_sel:[0,0,1] op_sel_hi:[1,1,0] neg_lo:[0,0,1] neg_hi:[0,0,1]
	v_pk_fma_f32 v[118:119], v[118:119], v[106:107], v[122:123] op_sel:[0,0,1] op_sel_hi:[1,0,0]
	v_mov_b32_e32 v133, v119
	v_pk_mul_f32 v[118:119], v[120:121], v[116:117] op_sel:[0,1]
	s_delay_alu instid0(VALU_DEP_1) | instskip(SKIP_1) | instid1(VALU_DEP_1)
	v_pk_fma_f32 v[122:123], v[120:121], v[106:107], v[118:119] op_sel:[0,0,1] op_sel_hi:[1,1,0] neg_lo:[0,0,1] neg_hi:[0,0,1]
	v_pk_fma_f32 v[118:119], v[120:121], v[106:107], v[118:119] op_sel:[0,0,1] op_sel_hi:[1,0,0]
	v_mov_b32_e32 v123, v119
	ds_load_2addr_b64 v[118:121], v168 offset0:50 offset1:51
	v_pk_add_f32 v[220:221], v[220:221], v[132:133] neg_lo:[0,1] neg_hi:[0,1]
	v_pk_add_f32 v[214:215], v[214:215], v[122:123] neg_lo:[0,1] neg_hi:[0,1]
	s_wait_dscnt 0x0
	v_dual_mul_f32 v122, v119, v117 :: v_dual_mul_f32 v132, v119, v106
	s_delay_alu instid0(VALU_DEP_1) | instskip(NEXT) | instid1(VALU_DEP_2)
	v_pk_fma_f32 v[122:123], v[118:119], v[174:175], v[122:123] op_sel_hi:[1,1,0] neg_lo:[0,0,1] neg_hi:[0,0,1]
	v_pk_fma_f32 v[118:119], v[118:119], v[174:175], v[132:133] op_sel:[1,0,0] op_sel_hi:[0,1,0]
	s_delay_alu instid0(VALU_DEP_1) | instskip(SKIP_1) | instid1(VALU_DEP_2)
	v_mov_b32_e32 v123, v119
	v_pk_mul_f32 v[118:119], v[120:121], v[116:117] op_sel:[0,1]
	v_pk_add_f32 v[218:219], v[218:219], v[122:123] neg_lo:[0,1] neg_hi:[0,1]
	s_delay_alu instid0(VALU_DEP_2) | instskip(SKIP_1) | instid1(VALU_DEP_1)
	v_pk_fma_f32 v[122:123], v[120:121], v[106:107], v[118:119] op_sel:[0,0,1] op_sel_hi:[1,1,0] neg_lo:[0,0,1] neg_hi:[0,0,1]
	v_pk_fma_f32 v[118:119], v[120:121], v[106:107], v[118:119] op_sel:[0,0,1] op_sel_hi:[1,0,0]
	v_mov_b32_e32 v123, v119
	ds_load_2addr_b64 v[118:121], v168 offset0:52 offset1:53
	v_pk_add_f32 v[212:213], v[212:213], v[122:123] neg_lo:[0,1] neg_hi:[0,1]
	s_wait_dscnt 0x0
	v_pk_mul_f32 v[122:123], v[118:119], v[116:117] op_sel:[0,1]
	s_delay_alu instid0(VALU_DEP_1) | instskip(SKIP_1) | instid1(VALU_DEP_1)
	v_pk_fma_f32 v[132:133], v[118:119], v[106:107], v[122:123] op_sel:[0,0,1] op_sel_hi:[1,1,0] neg_lo:[0,0,1] neg_hi:[0,0,1]
	v_pk_fma_f32 v[118:119], v[118:119], v[106:107], v[122:123] op_sel:[0,0,1] op_sel_hi:[1,0,0]
	v_mov_b32_e32 v133, v119
	v_pk_mul_f32 v[118:119], v[120:121], v[116:117] op_sel:[0,1]
	s_delay_alu instid0(VALU_DEP_2) | instskip(NEXT) | instid1(VALU_DEP_2)
	v_pk_add_f32 v[216:217], v[216:217], v[132:133] neg_lo:[0,1] neg_hi:[0,1]
	v_pk_fma_f32 v[122:123], v[120:121], v[106:107], v[118:119] op_sel:[0,0,1] op_sel_hi:[1,1,0] neg_lo:[0,0,1] neg_hi:[0,0,1]
	v_pk_fma_f32 v[118:119], v[120:121], v[106:107], v[118:119] op_sel:[0,0,1] op_sel_hi:[1,0,0]
	s_delay_alu instid0(VALU_DEP_1)
	v_mov_b32_e32 v123, v119
	ds_load_2addr_b64 v[118:121], v168 offset0:54 offset1:55
	v_pk_add_f32 v[210:211], v[210:211], v[122:123] neg_lo:[0,1] neg_hi:[0,1]
	s_wait_dscnt 0x0
	v_pk_mul_f32 v[122:123], v[118:119], v[116:117] op_sel:[0,1]
	v_pk_mul_f32 v[116:117], v[120:121], v[116:117] op_sel:[0,1]
	s_delay_alu instid0(VALU_DEP_2) | instskip(SKIP_1) | instid1(VALU_DEP_1)
	v_pk_fma_f32 v[132:133], v[118:119], v[106:107], v[122:123] op_sel:[0,0,1] op_sel_hi:[1,1,0] neg_lo:[0,0,1] neg_hi:[0,0,1]
	v_pk_fma_f32 v[118:119], v[118:119], v[106:107], v[122:123] op_sel:[0,0,1] op_sel_hi:[1,0,0]
	v_mov_b32_e32 v133, v119
	s_delay_alu instid0(VALU_DEP_4) | instskip(SKIP_1) | instid1(VALU_DEP_3)
	v_pk_fma_f32 v[118:119], v[120:121], v[106:107], v[116:117] op_sel:[0,0,1] op_sel_hi:[1,1,0] neg_lo:[0,0,1] neg_hi:[0,0,1]
	v_pk_fma_f32 v[106:107], v[120:121], v[106:107], v[116:117] op_sel:[0,0,1] op_sel_hi:[1,0,0]
	v_pk_add_f32 v[222:223], v[222:223], v[132:133] neg_lo:[0,1] neg_hi:[0,1]
	s_delay_alu instid0(VALU_DEP_2) | instskip(NEXT) | instid1(VALU_DEP_1)
	v_mov_b32_e32 v119, v107
	v_pk_add_f32 v[224:225], v[224:225], v[118:119] neg_lo:[0,1] neg_hi:[0,1]
.LBB111_379:
	s_or_b32 exec_lo, exec_lo, s1
	s_delay_alu instid0(SALU_CYCLE_1)
	s_mov_b32 s2, exec_lo
	s_wait_dscnt 0x0
	s_barrier_signal -1
	s_barrier_wait -1
	v_cmpx_eq_u32_e32 42, v166
	s_cbranch_execz .LBB111_386
; %bb.380:
	ds_store_b64 v167, v[176:177]
	ds_store_2addr_b64 v168, v[172:173], v[198:199] offset0:43 offset1:44
	ds_store_2addr_b64 v168, v[194:195], v[196:197] offset0:45 offset1:46
	;; [unrolled: 1-line block ×6, first 2 shown]
	ds_store_b64 v168, v[224:225] offset:440
	ds_load_b64 v[106:107], v167
	s_wait_dscnt 0x0
	v_cmp_neq_f32_e32 vcc_lo, 0, v106
	v_cmp_neq_f32_e64 s1, 0, v107
	s_or_b32 s1, vcc_lo, s1
	s_delay_alu instid0(SALU_CYCLE_1)
	s_and_b32 exec_lo, exec_lo, s1
	s_cbranch_execz .LBB111_386
; %bb.381:
	v_cmp_ngt_f32_e64 s1, |v106|, |v107|
                                        ; implicit-def: $vgpr116_vgpr117
	s_and_saveexec_b32 s4, s1
	s_delay_alu instid0(SALU_CYCLE_1)
	s_xor_b32 s1, exec_lo, s4
	s_cbranch_execz .LBB111_383
; %bb.382:
	v_div_scale_f32 v116, null, v107, v107, v106
	v_div_scale_f32 v119, vcc_lo, v106, v107, v106
	s_delay_alu instid0(VALU_DEP_2) | instskip(SKIP_1) | instid1(TRANS32_DEP_1)
	v_rcp_f32_e32 v117, v116
	v_nop
	v_fma_f32 v118, -v116, v117, 1.0
	s_delay_alu instid0(VALU_DEP_1) | instskip(NEXT) | instid1(VALU_DEP_1)
	v_fmac_f32_e32 v117, v118, v117
	v_mul_f32_e32 v118, v119, v117
	s_delay_alu instid0(VALU_DEP_1) | instskip(NEXT) | instid1(VALU_DEP_1)
	v_fma_f32 v120, -v116, v118, v119
	v_fmac_f32_e32 v118, v120, v117
	s_delay_alu instid0(VALU_DEP_1) | instskip(NEXT) | instid1(VALU_DEP_1)
	v_fma_f32 v116, -v116, v118, v119
	v_div_fmas_f32 v116, v116, v117, v118
	s_delay_alu instid0(VALU_DEP_1) | instskip(NEXT) | instid1(VALU_DEP_1)
	v_div_fixup_f32 v116, v116, v107, v106
	v_fmac_f32_e32 v107, v106, v116
	s_delay_alu instid0(VALU_DEP_1) | instskip(SKIP_1) | instid1(VALU_DEP_2)
	v_div_scale_f32 v106, null, v107, v107, 1.0
	v_div_scale_f32 v119, vcc_lo, 1.0, v107, 1.0
	v_rcp_f32_e32 v117, v106
	v_nop
	s_delay_alu instid0(TRANS32_DEP_1) | instskip(NEXT) | instid1(VALU_DEP_1)
	v_fma_f32 v118, -v106, v117, 1.0
	v_fmac_f32_e32 v117, v118, v117
	s_delay_alu instid0(VALU_DEP_1) | instskip(NEXT) | instid1(VALU_DEP_1)
	v_mul_f32_e32 v118, v119, v117
	v_fma_f32 v120, -v106, v118, v119
	s_delay_alu instid0(VALU_DEP_1) | instskip(NEXT) | instid1(VALU_DEP_1)
	v_fmac_f32_e32 v118, v120, v117
	v_fma_f32 v106, -v106, v118, v119
	s_delay_alu instid0(VALU_DEP_1) | instskip(NEXT) | instid1(VALU_DEP_1)
	v_div_fmas_f32 v106, v106, v117, v118
	v_div_fixup_f32 v106, v106, v107, 1.0
	s_delay_alu instid0(VALU_DEP_1)
	v_mul_f32_e32 v116, v116, v106
	v_xor_b32_e32 v117, 0x80000000, v106
                                        ; implicit-def: $vgpr106_vgpr107
.LBB111_383:
	s_and_not1_saveexec_b32 s1, s1
	s_cbranch_execz .LBB111_385
; %bb.384:
	v_div_scale_f32 v116, null, v106, v106, v107
	v_div_scale_f32 v119, vcc_lo, v107, v106, v107
	s_delay_alu instid0(VALU_DEP_2) | instskip(SKIP_1) | instid1(TRANS32_DEP_1)
	v_rcp_f32_e32 v117, v116
	v_nop
	v_fma_f32 v118, -v116, v117, 1.0
	s_delay_alu instid0(VALU_DEP_1) | instskip(NEXT) | instid1(VALU_DEP_1)
	v_fmac_f32_e32 v117, v118, v117
	v_mul_f32_e32 v118, v119, v117
	s_delay_alu instid0(VALU_DEP_1) | instskip(NEXT) | instid1(VALU_DEP_1)
	v_fma_f32 v120, -v116, v118, v119
	v_fmac_f32_e32 v118, v120, v117
	s_delay_alu instid0(VALU_DEP_1) | instskip(NEXT) | instid1(VALU_DEP_1)
	v_fma_f32 v116, -v116, v118, v119
	v_div_fmas_f32 v116, v116, v117, v118
	s_delay_alu instid0(VALU_DEP_1) | instskip(NEXT) | instid1(VALU_DEP_1)
	v_div_fixup_f32 v117, v116, v106, v107
	v_fmac_f32_e32 v106, v107, v117
	s_delay_alu instid0(VALU_DEP_1) | instskip(NEXT) | instid1(VALU_DEP_1)
	v_div_scale_f32 v107, null, v106, v106, 1.0
	v_rcp_f32_e32 v116, v107
	v_nop
	s_delay_alu instid0(TRANS32_DEP_1) | instskip(NEXT) | instid1(VALU_DEP_1)
	v_fma_f32 v118, -v107, v116, 1.0
	v_fmac_f32_e32 v116, v118, v116
	v_div_scale_f32 v118, vcc_lo, 1.0, v106, 1.0
	s_delay_alu instid0(VALU_DEP_1) | instskip(NEXT) | instid1(VALU_DEP_1)
	v_mul_f32_e32 v119, v118, v116
	v_fma_f32 v120, -v107, v119, v118
	s_delay_alu instid0(VALU_DEP_1) | instskip(NEXT) | instid1(VALU_DEP_1)
	v_fmac_f32_e32 v119, v120, v116
	v_fma_f32 v107, -v107, v119, v118
	s_delay_alu instid0(VALU_DEP_1) | instskip(NEXT) | instid1(VALU_DEP_1)
	v_div_fmas_f32 v107, v107, v116, v119
	v_div_fixup_f32 v116, v107, v106, 1.0
	s_delay_alu instid0(VALU_DEP_1)
	v_mul_f32_e64 v117, v117, -v116
.LBB111_385:
	s_or_b32 exec_lo, exec_lo, s1
	ds_store_b64 v167, v[116:117]
.LBB111_386:
	s_or_b32 exec_lo, exec_lo, s2
	s_wait_dscnt 0x0
	s_barrier_signal -1
	s_barrier_wait -1
	ds_load_b64 v[106:107], v167
	s_mov_b32 s1, exec_lo
	v_cmpx_lt_u32_e32 42, v166
	s_cbranch_execz .LBB111_388
; %bb.387:
	ds_load_2addr_b64 v[120:123], v168 offset0:43 offset1:44
	s_wait_dscnt 0x1
	v_pk_mul_f32 v[118:119], v[106:107], v[176:177] op_sel:[1,1] op_sel_hi:[0,1]
	s_delay_alu instid0(VALU_DEP_1) | instskip(SKIP_1) | instid1(VALU_DEP_1)
	v_pk_fma_f32 v[116:117], v[106:107], v[176:177], v[118:119] op_sel_hi:[1,0,1] neg_lo:[0,0,1] neg_hi:[0,0,1]
	v_pk_fma_f32 v[118:119], v[106:107], v[176:177], v[118:119] op_sel_hi:[1,0,1]
	v_dual_mov_b32 v176, v116 :: v_dual_mov_b32 v177, v119
	s_wait_dscnt 0x0
	s_delay_alu instid0(VALU_DEP_2) | instskip(NEXT) | instid1(VALU_DEP_1)
	v_pk_mul_f32 v[132:133], v[120:121], v[118:119] op_sel:[0,1]
	v_pk_fma_f32 v[134:135], v[120:121], v[116:117], v[132:133] op_sel:[0,0,1] op_sel_hi:[1,1,0] neg_lo:[0,0,1] neg_hi:[0,0,1]
	v_pk_fma_f32 v[120:121], v[120:121], v[116:117], v[132:133] op_sel:[0,0,1] op_sel_hi:[1,0,0]
	s_delay_alu instid0(VALU_DEP_1) | instskip(SKIP_1) | instid1(VALU_DEP_1)
	v_mov_b32_e32 v135, v121
	v_pk_mul_f32 v[120:121], v[122:123], v[118:119] op_sel:[0,1]
	v_pk_fma_f32 v[132:133], v[122:123], v[116:117], v[120:121] op_sel:[0,0,1] op_sel_hi:[1,1,0] neg_lo:[0,0,1] neg_hi:[0,0,1]
	v_pk_fma_f32 v[120:121], v[122:123], v[116:117], v[120:121] op_sel:[0,0,1] op_sel_hi:[1,0,0]
	s_delay_alu instid0(VALU_DEP_1)
	v_mov_b32_e32 v133, v121
	ds_load_2addr_b64 v[120:123], v168 offset0:45 offset1:46
	v_pk_add_f32 v[172:173], v[172:173], v[134:135] neg_lo:[0,1] neg_hi:[0,1]
	v_pk_add_f32 v[198:199], v[198:199], v[132:133] neg_lo:[0,1] neg_hi:[0,1]
	s_wait_dscnt 0x0
	v_pk_mul_f32 v[132:133], v[120:121], v[118:119] op_sel:[0,1]
	s_delay_alu instid0(VALU_DEP_1) | instskip(SKIP_2) | instid1(VALU_DEP_2)
	v_pk_fma_f32 v[134:135], v[120:121], v[116:117], v[132:133] op_sel:[0,0,1] op_sel_hi:[1,1,0] neg_lo:[0,0,1] neg_hi:[0,0,1]
	v_pk_fma_f32 v[120:121], v[120:121], v[116:117], v[132:133] op_sel:[0,0,1] op_sel_hi:[1,0,0]
	v_dual_mul_f32 v132, v123, v119 :: v_dual_mov_b32 v120, v123
	v_dual_mov_b32 v135, v121 :: v_dual_mov_b32 v121, v122
	s_delay_alu instid0(VALU_DEP_2) | instskip(SKIP_1) | instid1(VALU_DEP_3)
	v_pk_fma_f32 v[132:133], v[122:123], v[176:177], v[132:133] op_sel_hi:[1,1,0] neg_lo:[0,0,1] neg_hi:[0,0,1]
	v_mul_f32_e32 v122, v123, v116
	v_pk_add_f32 v[194:195], v[194:195], v[134:135] neg_lo:[0,1] neg_hi:[0,1]
	s_delay_alu instid0(VALU_DEP_2) | instskip(NEXT) | instid1(VALU_DEP_1)
	v_pk_fma_f32 v[120:121], v[120:121], v[176:177], v[122:123] op_sel_hi:[1,1,0]
	v_mov_b32_e32 v133, v121
	ds_load_2addr_b64 v[120:123], v168 offset0:47 offset1:48
	v_pk_add_f32 v[196:197], v[196:197], v[132:133] neg_lo:[0,1] neg_hi:[0,1]
	s_wait_dscnt 0x0
	v_pk_mul_f32 v[132:133], v[120:121], v[118:119] op_sel:[0,1]
	s_delay_alu instid0(VALU_DEP_1) | instskip(SKIP_1) | instid1(VALU_DEP_1)
	v_pk_fma_f32 v[134:135], v[120:121], v[116:117], v[132:133] op_sel:[0,0,1] op_sel_hi:[1,1,0] neg_lo:[0,0,1] neg_hi:[0,0,1]
	v_pk_fma_f32 v[120:121], v[120:121], v[116:117], v[132:133] op_sel:[0,0,1] op_sel_hi:[1,0,0]
	v_mov_b32_e32 v135, v121
	v_pk_mul_f32 v[120:121], v[122:123], v[118:119] op_sel:[0,1]
	s_delay_alu instid0(VALU_DEP_1) | instskip(SKIP_1) | instid1(VALU_DEP_1)
	v_pk_fma_f32 v[132:133], v[122:123], v[116:117], v[120:121] op_sel:[0,0,1] op_sel_hi:[1,1,0] neg_lo:[0,0,1] neg_hi:[0,0,1]
	v_pk_fma_f32 v[120:121], v[122:123], v[116:117], v[120:121] op_sel:[0,0,1] op_sel_hi:[1,0,0]
	v_mov_b32_e32 v133, v121
	ds_load_2addr_b64 v[120:123], v168 offset0:49 offset1:50
	v_pk_add_f32 v[192:193], v[192:193], v[134:135] neg_lo:[0,1] neg_hi:[0,1]
	v_pk_add_f32 v[220:221], v[220:221], v[132:133] neg_lo:[0,1] neg_hi:[0,1]
	s_wait_dscnt 0x0
	v_pk_mul_f32 v[132:133], v[120:121], v[118:119] op_sel:[0,1]
	s_delay_alu instid0(VALU_DEP_1) | instskip(SKIP_1) | instid1(VALU_DEP_1)
	v_pk_fma_f32 v[134:135], v[120:121], v[116:117], v[132:133] op_sel:[0,0,1] op_sel_hi:[1,1,0] neg_lo:[0,0,1] neg_hi:[0,0,1]
	v_pk_fma_f32 v[120:121], v[120:121], v[116:117], v[132:133] op_sel:[0,0,1] op_sel_hi:[1,0,0]
	v_mov_b32_e32 v135, v121
	v_pk_mul_f32 v[120:121], v[122:123], v[118:119] op_sel:[0,1]
	s_delay_alu instid0(VALU_DEP_1) | instskip(SKIP_1) | instid1(VALU_DEP_1)
	v_pk_fma_f32 v[132:133], v[122:123], v[116:117], v[120:121] op_sel:[0,0,1] op_sel_hi:[1,1,0] neg_lo:[0,0,1] neg_hi:[0,0,1]
	v_pk_fma_f32 v[120:121], v[122:123], v[116:117], v[120:121] op_sel:[0,0,1] op_sel_hi:[1,0,0]
	v_mov_b32_e32 v133, v121
	ds_load_2addr_b64 v[120:123], v168 offset0:51 offset1:52
	v_pk_add_f32 v[214:215], v[214:215], v[134:135] neg_lo:[0,1] neg_hi:[0,1]
	v_pk_add_f32 v[218:219], v[218:219], v[132:133] neg_lo:[0,1] neg_hi:[0,1]
	s_wait_dscnt 0x0
	v_dual_mul_f32 v132, v121, v119 :: v_dual_mul_f32 v134, v121, v116
	s_delay_alu instid0(VALU_DEP_1) | instskip(NEXT) | instid1(VALU_DEP_2)
	v_pk_fma_f32 v[132:133], v[120:121], v[176:177], v[132:133] op_sel_hi:[1,1,0] neg_lo:[0,0,1] neg_hi:[0,0,1]
	v_pk_fma_f32 v[120:121], v[120:121], v[176:177], v[134:135] op_sel:[1,0,0] op_sel_hi:[0,1,0]
	s_delay_alu instid0(VALU_DEP_1) | instskip(SKIP_1) | instid1(VALU_DEP_2)
	v_mov_b32_e32 v133, v121
	v_pk_mul_f32 v[120:121], v[122:123], v[118:119] op_sel:[0,1]
	v_pk_add_f32 v[212:213], v[212:213], v[132:133] neg_lo:[0,1] neg_hi:[0,1]
	s_delay_alu instid0(VALU_DEP_2) | instskip(SKIP_1) | instid1(VALU_DEP_1)
	v_pk_fma_f32 v[132:133], v[122:123], v[116:117], v[120:121] op_sel:[0,0,1] op_sel_hi:[1,1,0] neg_lo:[0,0,1] neg_hi:[0,0,1]
	v_pk_fma_f32 v[120:121], v[122:123], v[116:117], v[120:121] op_sel:[0,0,1] op_sel_hi:[1,0,0]
	v_mov_b32_e32 v133, v121
	ds_load_2addr_b64 v[120:123], v168 offset0:53 offset1:54
	v_pk_add_f32 v[216:217], v[216:217], v[132:133] neg_lo:[0,1] neg_hi:[0,1]
	s_wait_dscnt 0x0
	v_pk_mul_f32 v[132:133], v[120:121], v[118:119] op_sel:[0,1]
	s_delay_alu instid0(VALU_DEP_1) | instskip(SKIP_1) | instid1(VALU_DEP_1)
	v_pk_fma_f32 v[134:135], v[120:121], v[116:117], v[132:133] op_sel:[0,0,1] op_sel_hi:[1,1,0] neg_lo:[0,0,1] neg_hi:[0,0,1]
	v_pk_fma_f32 v[120:121], v[120:121], v[116:117], v[132:133] op_sel:[0,0,1] op_sel_hi:[1,0,0]
	v_mov_b32_e32 v135, v121
	v_pk_mul_f32 v[120:121], v[122:123], v[118:119] op_sel:[0,1]
	s_delay_alu instid0(VALU_DEP_2) | instskip(NEXT) | instid1(VALU_DEP_2)
	v_pk_add_f32 v[210:211], v[210:211], v[134:135] neg_lo:[0,1] neg_hi:[0,1]
	v_pk_fma_f32 v[132:133], v[122:123], v[116:117], v[120:121] op_sel:[0,0,1] op_sel_hi:[1,1,0] neg_lo:[0,0,1] neg_hi:[0,0,1]
	v_pk_fma_f32 v[120:121], v[122:123], v[116:117], v[120:121] op_sel:[0,0,1] op_sel_hi:[1,0,0]
	s_delay_alu instid0(VALU_DEP_1) | instskip(SKIP_4) | instid1(VALU_DEP_1)
	v_mov_b32_e32 v133, v121
	ds_load_b64 v[120:121], v168 offset:440
	v_pk_add_f32 v[222:223], v[222:223], v[132:133] neg_lo:[0,1] neg_hi:[0,1]
	s_wait_dscnt 0x0
	v_pk_mul_f32 v[118:119], v[120:121], v[118:119] op_sel:[0,1]
	v_pk_fma_f32 v[122:123], v[120:121], v[116:117], v[118:119] op_sel:[0,0,1] op_sel_hi:[1,1,0] neg_lo:[0,0,1] neg_hi:[0,0,1]
	v_pk_fma_f32 v[116:117], v[120:121], v[116:117], v[118:119] op_sel:[0,0,1] op_sel_hi:[1,0,0]
	s_delay_alu instid0(VALU_DEP_1) | instskip(NEXT) | instid1(VALU_DEP_1)
	v_mov_b32_e32 v123, v117
	v_pk_add_f32 v[224:225], v[224:225], v[122:123] neg_lo:[0,1] neg_hi:[0,1]
.LBB111_388:
	s_or_b32 exec_lo, exec_lo, s1
	s_delay_alu instid0(SALU_CYCLE_1)
	s_mov_b32 s2, exec_lo
	s_wait_dscnt 0x0
	s_barrier_signal -1
	s_barrier_wait -1
	v_cmpx_eq_u32_e32 43, v166
	s_cbranch_execz .LBB111_395
; %bb.389:
	v_dual_mov_b32 v116, v198 :: v_dual_mov_b32 v117, v199
	v_dual_mov_b32 v118, v194 :: v_dual_mov_b32 v119, v195
	ds_store_b64 v167, v[172:173]
	ds_store_2addr_b64 v168, v[116:117], v[118:119] offset0:44 offset1:45
	v_dual_mov_b32 v116, v196 :: v_dual_mov_b32 v117, v197
	v_dual_mov_b32 v118, v192 :: v_dual_mov_b32 v119, v193
	ds_store_2addr_b64 v168, v[116:117], v[118:119] offset0:46 offset1:47
	v_dual_mov_b32 v116, v220 :: v_dual_mov_b32 v117, v221
	v_dual_mov_b32 v118, v214 :: v_dual_mov_b32 v119, v215
	;; [unrolled: 3-line block ×4, first 2 shown]
	ds_store_2addr_b64 v168, v[116:117], v[118:119] offset0:52 offset1:53
	v_dual_mov_b32 v116, v222 :: v_dual_mov_b32 v117, v223
	ds_store_2addr_b64 v168, v[116:117], v[224:225] offset0:54 offset1:55
	ds_load_b64 v[116:117], v167
	s_wait_dscnt 0x0
	v_cmp_neq_f32_e32 vcc_lo, 0, v116
	v_cmp_neq_f32_e64 s1, 0, v117
	s_or_b32 s1, vcc_lo, s1
	s_delay_alu instid0(SALU_CYCLE_1)
	s_and_b32 exec_lo, exec_lo, s1
	s_cbranch_execz .LBB111_395
; %bb.390:
	v_cmp_ngt_f32_e64 s1, |v116|, |v117|
                                        ; implicit-def: $vgpr118_vgpr119
	s_and_saveexec_b32 s4, s1
	s_delay_alu instid0(SALU_CYCLE_1)
	s_xor_b32 s1, exec_lo, s4
	s_cbranch_execz .LBB111_392
; %bb.391:
	v_div_scale_f32 v118, null, v117, v117, v116
	v_div_scale_f32 v121, vcc_lo, v116, v117, v116
	s_delay_alu instid0(VALU_DEP_2) | instskip(SKIP_1) | instid1(TRANS32_DEP_1)
	v_rcp_f32_e32 v119, v118
	v_nop
	v_fma_f32 v120, -v118, v119, 1.0
	s_delay_alu instid0(VALU_DEP_1) | instskip(NEXT) | instid1(VALU_DEP_1)
	v_fmac_f32_e32 v119, v120, v119
	v_mul_f32_e32 v120, v121, v119
	s_delay_alu instid0(VALU_DEP_1) | instskip(NEXT) | instid1(VALU_DEP_1)
	v_fma_f32 v122, -v118, v120, v121
	v_fmac_f32_e32 v120, v122, v119
	s_delay_alu instid0(VALU_DEP_1) | instskip(NEXT) | instid1(VALU_DEP_1)
	v_fma_f32 v118, -v118, v120, v121
	v_div_fmas_f32 v118, v118, v119, v120
	s_delay_alu instid0(VALU_DEP_1) | instskip(NEXT) | instid1(VALU_DEP_1)
	v_div_fixup_f32 v118, v118, v117, v116
	v_fmac_f32_e32 v117, v116, v118
	s_delay_alu instid0(VALU_DEP_1) | instskip(SKIP_1) | instid1(VALU_DEP_2)
	v_div_scale_f32 v116, null, v117, v117, 1.0
	v_div_scale_f32 v121, vcc_lo, 1.0, v117, 1.0
	v_rcp_f32_e32 v119, v116
	v_nop
	s_delay_alu instid0(TRANS32_DEP_1) | instskip(NEXT) | instid1(VALU_DEP_1)
	v_fma_f32 v120, -v116, v119, 1.0
	v_fmac_f32_e32 v119, v120, v119
	s_delay_alu instid0(VALU_DEP_1) | instskip(NEXT) | instid1(VALU_DEP_1)
	v_mul_f32_e32 v120, v121, v119
	v_fma_f32 v122, -v116, v120, v121
	s_delay_alu instid0(VALU_DEP_1) | instskip(NEXT) | instid1(VALU_DEP_1)
	v_fmac_f32_e32 v120, v122, v119
	v_fma_f32 v116, -v116, v120, v121
	s_delay_alu instid0(VALU_DEP_1) | instskip(NEXT) | instid1(VALU_DEP_1)
	v_div_fmas_f32 v116, v116, v119, v120
	v_div_fixup_f32 v116, v116, v117, 1.0
	s_delay_alu instid0(VALU_DEP_1)
	v_mul_f32_e32 v118, v118, v116
	v_xor_b32_e32 v119, 0x80000000, v116
                                        ; implicit-def: $vgpr116_vgpr117
.LBB111_392:
	s_and_not1_saveexec_b32 s1, s1
	s_cbranch_execz .LBB111_394
; %bb.393:
	v_div_scale_f32 v118, null, v116, v116, v117
	v_div_scale_f32 v121, vcc_lo, v117, v116, v117
	s_delay_alu instid0(VALU_DEP_2) | instskip(SKIP_1) | instid1(TRANS32_DEP_1)
	v_rcp_f32_e32 v119, v118
	v_nop
	v_fma_f32 v120, -v118, v119, 1.0
	s_delay_alu instid0(VALU_DEP_1) | instskip(NEXT) | instid1(VALU_DEP_1)
	v_fmac_f32_e32 v119, v120, v119
	v_mul_f32_e32 v120, v121, v119
	s_delay_alu instid0(VALU_DEP_1) | instskip(NEXT) | instid1(VALU_DEP_1)
	v_fma_f32 v122, -v118, v120, v121
	v_fmac_f32_e32 v120, v122, v119
	s_delay_alu instid0(VALU_DEP_1) | instskip(NEXT) | instid1(VALU_DEP_1)
	v_fma_f32 v118, -v118, v120, v121
	v_div_fmas_f32 v118, v118, v119, v120
	s_delay_alu instid0(VALU_DEP_1) | instskip(NEXT) | instid1(VALU_DEP_1)
	v_div_fixup_f32 v119, v118, v116, v117
	v_fmac_f32_e32 v116, v117, v119
	s_delay_alu instid0(VALU_DEP_1) | instskip(NEXT) | instid1(VALU_DEP_1)
	v_div_scale_f32 v117, null, v116, v116, 1.0
	v_rcp_f32_e32 v118, v117
	v_nop
	s_delay_alu instid0(TRANS32_DEP_1) | instskip(NEXT) | instid1(VALU_DEP_1)
	v_fma_f32 v120, -v117, v118, 1.0
	v_fmac_f32_e32 v118, v120, v118
	v_div_scale_f32 v120, vcc_lo, 1.0, v116, 1.0
	s_delay_alu instid0(VALU_DEP_1) | instskip(NEXT) | instid1(VALU_DEP_1)
	v_mul_f32_e32 v121, v120, v118
	v_fma_f32 v122, -v117, v121, v120
	s_delay_alu instid0(VALU_DEP_1) | instskip(NEXT) | instid1(VALU_DEP_1)
	v_fmac_f32_e32 v121, v122, v118
	v_fma_f32 v117, -v117, v121, v120
	s_delay_alu instid0(VALU_DEP_1) | instskip(NEXT) | instid1(VALU_DEP_1)
	v_div_fmas_f32 v117, v117, v118, v121
	v_div_fixup_f32 v118, v117, v116, 1.0
	s_delay_alu instid0(VALU_DEP_1)
	v_mul_f32_e64 v119, v119, -v118
.LBB111_394:
	s_or_b32 exec_lo, exec_lo, s1
	ds_store_b64 v167, v[118:119]
.LBB111_395:
	s_or_b32 exec_lo, exec_lo, s2
	s_wait_dscnt 0x0
	s_barrier_signal -1
	s_barrier_wait -1
	ds_load_b64 v[116:117], v167
	s_mov_b32 s1, exec_lo
	v_cmpx_lt_u32_e32 43, v166
	s_cbranch_execz .LBB111_397
; %bb.396:
	ds_load_2addr_b64 v[132:135], v168 offset0:44 offset1:45
	s_wait_dscnt 0x1
	v_pk_mul_f32 v[120:121], v[116:117], v[172:173] op_sel:[1,1] op_sel_hi:[0,1]
	s_delay_alu instid0(VALU_DEP_1) | instskip(SKIP_1) | instid1(VALU_DEP_1)
	v_pk_fma_f32 v[118:119], v[116:117], v[172:173], v[120:121] op_sel_hi:[1,0,1] neg_lo:[0,0,1] neg_hi:[0,0,1]
	v_pk_fma_f32 v[120:121], v[116:117], v[172:173], v[120:121] op_sel_hi:[1,0,1]
	v_dual_mov_b32 v172, v118 :: v_dual_mov_b32 v173, v121
	s_wait_dscnt 0x0
	s_delay_alu instid0(VALU_DEP_2) | instskip(NEXT) | instid1(VALU_DEP_1)
	v_pk_mul_f32 v[122:123], v[132:133], v[120:121] op_sel:[0,1]
	v_pk_fma_f32 v[136:137], v[132:133], v[118:119], v[122:123] op_sel:[0,0,1] op_sel_hi:[1,1,0] neg_lo:[0,0,1] neg_hi:[0,0,1]
	v_pk_fma_f32 v[122:123], v[132:133], v[118:119], v[122:123] op_sel:[0,0,1] op_sel_hi:[1,0,0]
	s_delay_alu instid0(VALU_DEP_1) | instskip(SKIP_1) | instid1(VALU_DEP_1)
	v_mov_b32_e32 v137, v123
	v_pk_mul_f32 v[122:123], v[134:135], v[120:121] op_sel:[0,1]
	v_pk_fma_f32 v[132:133], v[134:135], v[118:119], v[122:123] op_sel:[0,0,1] op_sel_hi:[1,1,0] neg_lo:[0,0,1] neg_hi:[0,0,1]
	v_pk_fma_f32 v[122:123], v[134:135], v[118:119], v[122:123] op_sel:[0,0,1] op_sel_hi:[1,0,0]
	s_delay_alu instid0(VALU_DEP_1) | instskip(SKIP_1) | instid1(VALU_DEP_2)
	v_mov_b32_e32 v133, v123
	v_pk_add_f32 v[198:199], v[198:199], v[136:137] neg_lo:[0,1] neg_hi:[0,1]
	v_pk_add_f32 v[194:195], v[194:195], v[132:133] neg_lo:[0,1] neg_hi:[0,1]
	ds_load_2addr_b64 v[132:135], v168 offset0:46 offset1:47
	s_wait_dscnt 0x0
	v_pk_mul_f32 v[122:123], v[132:133], v[120:121] op_sel:[0,1]
	s_delay_alu instid0(VALU_DEP_1) | instskip(SKIP_2) | instid1(VALU_DEP_2)
	v_pk_fma_f32 v[136:137], v[132:133], v[118:119], v[122:123] op_sel:[0,0,1] op_sel_hi:[1,1,0] neg_lo:[0,0,1] neg_hi:[0,0,1]
	v_pk_fma_f32 v[122:123], v[132:133], v[118:119], v[122:123] op_sel:[0,0,1] op_sel_hi:[1,0,0]
	v_dual_mul_f32 v132, v135, v121 :: v_dual_mov_b32 v122, v135
	v_dual_mov_b32 v137, v123 :: v_dual_mov_b32 v123, v134
	s_delay_alu instid0(VALU_DEP_2) | instskip(SKIP_1) | instid1(VALU_DEP_3)
	v_pk_fma_f32 v[132:133], v[134:135], v[172:173], v[132:133] op_sel_hi:[1,1,0] neg_lo:[0,0,1] neg_hi:[0,0,1]
	v_mul_f32_e32 v134, v135, v118
	v_pk_add_f32 v[196:197], v[196:197], v[136:137] neg_lo:[0,1] neg_hi:[0,1]
	s_delay_alu instid0(VALU_DEP_2) | instskip(NEXT) | instid1(VALU_DEP_1)
	v_pk_fma_f32 v[122:123], v[122:123], v[172:173], v[134:135] op_sel_hi:[1,1,0]
	v_mov_b32_e32 v133, v123
	s_delay_alu instid0(VALU_DEP_1) | instskip(SKIP_3) | instid1(VALU_DEP_1)
	v_pk_add_f32 v[192:193], v[192:193], v[132:133] neg_lo:[0,1] neg_hi:[0,1]
	ds_load_2addr_b64 v[132:135], v168 offset0:48 offset1:49
	s_wait_dscnt 0x0
	v_pk_mul_f32 v[122:123], v[132:133], v[120:121] op_sel:[0,1]
	v_pk_fma_f32 v[136:137], v[132:133], v[118:119], v[122:123] op_sel:[0,0,1] op_sel_hi:[1,1,0] neg_lo:[0,0,1] neg_hi:[0,0,1]
	v_pk_fma_f32 v[122:123], v[132:133], v[118:119], v[122:123] op_sel:[0,0,1] op_sel_hi:[1,0,0]
	s_delay_alu instid0(VALU_DEP_1) | instskip(SKIP_1) | instid1(VALU_DEP_2)
	v_mov_b32_e32 v137, v123
	v_pk_mul_f32 v[122:123], v[134:135], v[120:121] op_sel:[0,1]
	v_pk_add_f32 v[220:221], v[220:221], v[136:137] neg_lo:[0,1] neg_hi:[0,1]
	s_delay_alu instid0(VALU_DEP_2) | instskip(SKIP_1) | instid1(VALU_DEP_1)
	v_pk_fma_f32 v[132:133], v[134:135], v[118:119], v[122:123] op_sel:[0,0,1] op_sel_hi:[1,1,0] neg_lo:[0,0,1] neg_hi:[0,0,1]
	v_pk_fma_f32 v[122:123], v[134:135], v[118:119], v[122:123] op_sel:[0,0,1] op_sel_hi:[1,0,0]
	v_mov_b32_e32 v133, v123
	s_delay_alu instid0(VALU_DEP_1) | instskip(SKIP_3) | instid1(VALU_DEP_1)
	v_pk_add_f32 v[214:215], v[214:215], v[132:133] neg_lo:[0,1] neg_hi:[0,1]
	ds_load_2addr_b64 v[132:135], v168 offset0:50 offset1:51
	s_wait_dscnt 0x0
	v_pk_mul_f32 v[122:123], v[132:133], v[120:121] op_sel:[0,1]
	v_pk_fma_f32 v[136:137], v[132:133], v[118:119], v[122:123] op_sel:[0,0,1] op_sel_hi:[1,1,0] neg_lo:[0,0,1] neg_hi:[0,0,1]
	v_pk_fma_f32 v[122:123], v[132:133], v[118:119], v[122:123] op_sel:[0,0,1] op_sel_hi:[1,0,0]
	s_delay_alu instid0(VALU_DEP_1) | instskip(SKIP_1) | instid1(VALU_DEP_2)
	v_mov_b32_e32 v137, v123
	v_pk_mul_f32 v[122:123], v[134:135], v[120:121] op_sel:[0,1]
	v_pk_add_f32 v[218:219], v[218:219], v[136:137] neg_lo:[0,1] neg_hi:[0,1]
	s_delay_alu instid0(VALU_DEP_2) | instskip(SKIP_1) | instid1(VALU_DEP_1)
	v_pk_fma_f32 v[132:133], v[134:135], v[118:119], v[122:123] op_sel:[0,0,1] op_sel_hi:[1,1,0] neg_lo:[0,0,1] neg_hi:[0,0,1]
	v_pk_fma_f32 v[122:123], v[134:135], v[118:119], v[122:123] op_sel:[0,0,1] op_sel_hi:[1,0,0]
	v_mov_b32_e32 v133, v123
	s_delay_alu instid0(VALU_DEP_1) | instskip(SKIP_3) | instid1(VALU_DEP_1)
	v_pk_add_f32 v[212:213], v[212:213], v[132:133] neg_lo:[0,1] neg_hi:[0,1]
	ds_load_2addr_b64 v[132:135], v168 offset0:52 offset1:53
	s_wait_dscnt 0x0
	v_dual_mul_f32 v122, v133, v121 :: v_dual_mul_f32 v136, v133, v118
	v_pk_fma_f32 v[122:123], v[132:133], v[172:173], v[122:123] op_sel_hi:[1,1,0] neg_lo:[0,0,1] neg_hi:[0,0,1]
	s_delay_alu instid0(VALU_DEP_2) | instskip(NEXT) | instid1(VALU_DEP_1)
	v_pk_fma_f32 v[132:133], v[132:133], v[172:173], v[136:137] op_sel:[1,0,0] op_sel_hi:[0,1,0]
	v_mov_b32_e32 v123, v133
	s_delay_alu instid0(VALU_DEP_1) | instskip(SKIP_1) | instid1(VALU_DEP_1)
	v_pk_add_f32 v[216:217], v[216:217], v[122:123] neg_lo:[0,1] neg_hi:[0,1]
	v_pk_mul_f32 v[122:123], v[134:135], v[120:121] op_sel:[0,1]
	v_pk_fma_f32 v[132:133], v[134:135], v[118:119], v[122:123] op_sel:[0,0,1] op_sel_hi:[1,1,0] neg_lo:[0,0,1] neg_hi:[0,0,1]
	v_pk_fma_f32 v[122:123], v[134:135], v[118:119], v[122:123] op_sel:[0,0,1] op_sel_hi:[1,0,0]
	s_delay_alu instid0(VALU_DEP_1) | instskip(NEXT) | instid1(VALU_DEP_1)
	v_mov_b32_e32 v133, v123
	v_pk_add_f32 v[210:211], v[210:211], v[132:133] neg_lo:[0,1] neg_hi:[0,1]
	ds_load_2addr_b64 v[132:135], v168 offset0:54 offset1:55
	s_wait_dscnt 0x0
	v_pk_mul_f32 v[122:123], v[132:133], v[120:121] op_sel:[0,1]
	v_mul_f32_e32 v120, v135, v121
	s_delay_alu instid0(VALU_DEP_2) | instskip(SKIP_2) | instid1(VALU_DEP_4)
	v_pk_fma_f32 v[136:137], v[132:133], v[118:119], v[122:123] op_sel:[0,0,1] op_sel_hi:[1,1,0] neg_lo:[0,0,1] neg_hi:[0,0,1]
	v_pk_fma_f32 v[122:123], v[132:133], v[118:119], v[122:123] op_sel:[0,0,1] op_sel_hi:[1,0,0]
	v_dual_mov_b32 v122, v135 :: v_dual_mul_f32 v118, v135, v118
	v_pk_fma_f32 v[120:121], v[134:135], v[172:173], v[120:121] op_sel_hi:[1,1,0] neg_lo:[0,0,1] neg_hi:[0,0,1]
	s_delay_alu instid0(VALU_DEP_3) | instskip(NEXT) | instid1(VALU_DEP_1)
	v_dual_mov_b32 v137, v123 :: v_dual_mov_b32 v123, v134
	v_pk_add_f32 v[222:223], v[222:223], v[136:137] neg_lo:[0,1] neg_hi:[0,1]
	s_delay_alu instid0(VALU_DEP_2) | instskip(NEXT) | instid1(VALU_DEP_1)
	v_pk_fma_f32 v[118:119], v[122:123], v[172:173], v[118:119] op_sel_hi:[1,1,0]
	v_mov_b32_e32 v121, v119
	s_delay_alu instid0(VALU_DEP_1)
	v_pk_add_f32 v[224:225], v[224:225], v[120:121] neg_lo:[0,1] neg_hi:[0,1]
.LBB111_397:
	s_or_b32 exec_lo, exec_lo, s1
	s_delay_alu instid0(SALU_CYCLE_1)
	s_mov_b32 s2, exec_lo
	s_wait_dscnt 0x0
	s_barrier_signal -1
	s_barrier_wait -1
	v_cmpx_eq_u32_e32 44, v166
	s_cbranch_execz .LBB111_404
; %bb.398:
	ds_store_b64 v167, v[198:199]
	ds_store_2addr_b64 v168, v[194:195], v[196:197] offset0:45 offset1:46
	ds_store_2addr_b64 v168, v[192:193], v[220:221] offset0:47 offset1:48
	;; [unrolled: 1-line block ×5, first 2 shown]
	ds_store_b64 v168, v[224:225] offset:440
	ds_load_b64 v[118:119], v167
	s_wait_dscnt 0x0
	v_cmp_neq_f32_e32 vcc_lo, 0, v118
	v_cmp_neq_f32_e64 s1, 0, v119
	s_or_b32 s1, vcc_lo, s1
	s_delay_alu instid0(SALU_CYCLE_1)
	s_and_b32 exec_lo, exec_lo, s1
	s_cbranch_execz .LBB111_404
; %bb.399:
	v_cmp_ngt_f32_e64 s1, |v118|, |v119|
                                        ; implicit-def: $vgpr120_vgpr121
	s_and_saveexec_b32 s4, s1
	s_delay_alu instid0(SALU_CYCLE_1)
	s_xor_b32 s1, exec_lo, s4
	s_cbranch_execz .LBB111_401
; %bb.400:
	v_div_scale_f32 v120, null, v119, v119, v118
	v_div_scale_f32 v123, vcc_lo, v118, v119, v118
	s_delay_alu instid0(VALU_DEP_2) | instskip(SKIP_1) | instid1(TRANS32_DEP_1)
	v_rcp_f32_e32 v121, v120
	v_nop
	v_fma_f32 v122, -v120, v121, 1.0
	s_delay_alu instid0(VALU_DEP_1) | instskip(NEXT) | instid1(VALU_DEP_1)
	v_fmac_f32_e32 v121, v122, v121
	v_mul_f32_e32 v122, v123, v121
	s_delay_alu instid0(VALU_DEP_1) | instskip(NEXT) | instid1(VALU_DEP_1)
	v_fma_f32 v132, -v120, v122, v123
	v_fmac_f32_e32 v122, v132, v121
	s_delay_alu instid0(VALU_DEP_1) | instskip(NEXT) | instid1(VALU_DEP_1)
	v_fma_f32 v120, -v120, v122, v123
	v_div_fmas_f32 v120, v120, v121, v122
	s_delay_alu instid0(VALU_DEP_1) | instskip(NEXT) | instid1(VALU_DEP_1)
	v_div_fixup_f32 v120, v120, v119, v118
	v_fmac_f32_e32 v119, v118, v120
	s_delay_alu instid0(VALU_DEP_1) | instskip(SKIP_1) | instid1(VALU_DEP_2)
	v_div_scale_f32 v118, null, v119, v119, 1.0
	v_div_scale_f32 v123, vcc_lo, 1.0, v119, 1.0
	v_rcp_f32_e32 v121, v118
	v_nop
	s_delay_alu instid0(TRANS32_DEP_1) | instskip(NEXT) | instid1(VALU_DEP_1)
	v_fma_f32 v122, -v118, v121, 1.0
	v_fmac_f32_e32 v121, v122, v121
	s_delay_alu instid0(VALU_DEP_1) | instskip(NEXT) | instid1(VALU_DEP_1)
	v_mul_f32_e32 v122, v123, v121
	v_fma_f32 v132, -v118, v122, v123
	s_delay_alu instid0(VALU_DEP_1) | instskip(NEXT) | instid1(VALU_DEP_1)
	v_fmac_f32_e32 v122, v132, v121
	v_fma_f32 v118, -v118, v122, v123
	s_delay_alu instid0(VALU_DEP_1) | instskip(NEXT) | instid1(VALU_DEP_1)
	v_div_fmas_f32 v118, v118, v121, v122
	v_div_fixup_f32 v118, v118, v119, 1.0
	s_delay_alu instid0(VALU_DEP_1)
	v_mul_f32_e32 v120, v120, v118
	v_xor_b32_e32 v121, 0x80000000, v118
                                        ; implicit-def: $vgpr118_vgpr119
.LBB111_401:
	s_and_not1_saveexec_b32 s1, s1
	s_cbranch_execz .LBB111_403
; %bb.402:
	v_div_scale_f32 v120, null, v118, v118, v119
	v_div_scale_f32 v123, vcc_lo, v119, v118, v119
	s_delay_alu instid0(VALU_DEP_2) | instskip(SKIP_1) | instid1(TRANS32_DEP_1)
	v_rcp_f32_e32 v121, v120
	v_nop
	v_fma_f32 v122, -v120, v121, 1.0
	s_delay_alu instid0(VALU_DEP_1) | instskip(NEXT) | instid1(VALU_DEP_1)
	v_fmac_f32_e32 v121, v122, v121
	v_mul_f32_e32 v122, v123, v121
	s_delay_alu instid0(VALU_DEP_1) | instskip(NEXT) | instid1(VALU_DEP_1)
	v_fma_f32 v132, -v120, v122, v123
	v_fmac_f32_e32 v122, v132, v121
	s_delay_alu instid0(VALU_DEP_1) | instskip(NEXT) | instid1(VALU_DEP_1)
	v_fma_f32 v120, -v120, v122, v123
	v_div_fmas_f32 v120, v120, v121, v122
	s_delay_alu instid0(VALU_DEP_1) | instskip(NEXT) | instid1(VALU_DEP_1)
	v_div_fixup_f32 v121, v120, v118, v119
	v_fmac_f32_e32 v118, v119, v121
	s_delay_alu instid0(VALU_DEP_1) | instskip(NEXT) | instid1(VALU_DEP_1)
	v_div_scale_f32 v119, null, v118, v118, 1.0
	v_rcp_f32_e32 v120, v119
	v_nop
	s_delay_alu instid0(TRANS32_DEP_1) | instskip(NEXT) | instid1(VALU_DEP_1)
	v_fma_f32 v122, -v119, v120, 1.0
	v_fmac_f32_e32 v120, v122, v120
	v_div_scale_f32 v122, vcc_lo, 1.0, v118, 1.0
	s_delay_alu instid0(VALU_DEP_1) | instskip(NEXT) | instid1(VALU_DEP_1)
	v_mul_f32_e32 v123, v122, v120
	v_fma_f32 v132, -v119, v123, v122
	s_delay_alu instid0(VALU_DEP_1) | instskip(NEXT) | instid1(VALU_DEP_1)
	v_fmac_f32_e32 v123, v132, v120
	v_fma_f32 v119, -v119, v123, v122
	s_delay_alu instid0(VALU_DEP_1) | instskip(NEXT) | instid1(VALU_DEP_1)
	v_div_fmas_f32 v119, v119, v120, v123
	v_div_fixup_f32 v120, v119, v118, 1.0
	s_delay_alu instid0(VALU_DEP_1)
	v_mul_f32_e64 v121, v121, -v120
.LBB111_403:
	s_or_b32 exec_lo, exec_lo, s1
	ds_store_b64 v167, v[120:121]
.LBB111_404:
	s_or_b32 exec_lo, exec_lo, s2
	s_wait_dscnt 0x0
	s_barrier_signal -1
	s_barrier_wait -1
	ds_load_b64 v[118:119], v167
	s_mov_b32 s1, exec_lo
	v_cmpx_lt_u32_e32 44, v166
	s_cbranch_execz .LBB111_406
; %bb.405:
	ds_load_2addr_b64 v[132:135], v168 offset0:45 offset1:46
	s_wait_dscnt 0x1
	v_pk_mul_f32 v[122:123], v[118:119], v[198:199] op_sel:[1,1] op_sel_hi:[0,1]
	s_delay_alu instid0(VALU_DEP_1) | instskip(SKIP_1) | instid1(VALU_DEP_1)
	v_pk_fma_f32 v[120:121], v[118:119], v[198:199], v[122:123] op_sel_hi:[1,0,1] neg_lo:[0,0,1] neg_hi:[0,0,1]
	v_pk_fma_f32 v[122:123], v[118:119], v[198:199], v[122:123] op_sel_hi:[1,0,1]
	v_dual_mov_b32 v198, v120 :: v_dual_mov_b32 v199, v123
	s_wait_dscnt 0x0
	s_delay_alu instid0(VALU_DEP_2) | instskip(NEXT) | instid1(VALU_DEP_1)
	v_pk_mul_f32 v[136:137], v[132:133], v[122:123] op_sel:[0,1]
	v_pk_fma_f32 v[138:139], v[132:133], v[120:121], v[136:137] op_sel:[0,0,1] op_sel_hi:[1,1,0] neg_lo:[0,0,1] neg_hi:[0,0,1]
	v_pk_fma_f32 v[132:133], v[132:133], v[120:121], v[136:137] op_sel:[0,0,1] op_sel_hi:[1,0,0]
	s_delay_alu instid0(VALU_DEP_1) | instskip(SKIP_1) | instid1(VALU_DEP_1)
	v_mov_b32_e32 v139, v133
	v_pk_mul_f32 v[132:133], v[134:135], v[122:123] op_sel:[0,1]
	v_pk_fma_f32 v[136:137], v[134:135], v[120:121], v[132:133] op_sel:[0,0,1] op_sel_hi:[1,1,0] neg_lo:[0,0,1] neg_hi:[0,0,1]
	v_pk_fma_f32 v[132:133], v[134:135], v[120:121], v[132:133] op_sel:[0,0,1] op_sel_hi:[1,0,0]
	s_delay_alu instid0(VALU_DEP_1)
	v_mov_b32_e32 v137, v133
	ds_load_2addr_b64 v[132:135], v168 offset0:47 offset1:48
	v_pk_add_f32 v[194:195], v[194:195], v[138:139] neg_lo:[0,1] neg_hi:[0,1]
	v_pk_add_f32 v[196:197], v[196:197], v[136:137] neg_lo:[0,1] neg_hi:[0,1]
	s_wait_dscnt 0x0
	v_pk_mul_f32 v[136:137], v[132:133], v[122:123] op_sel:[0,1]
	s_delay_alu instid0(VALU_DEP_1) | instskip(SKIP_2) | instid1(VALU_DEP_2)
	v_pk_fma_f32 v[138:139], v[132:133], v[120:121], v[136:137] op_sel:[0,0,1] op_sel_hi:[1,1,0] neg_lo:[0,0,1] neg_hi:[0,0,1]
	v_pk_fma_f32 v[132:133], v[132:133], v[120:121], v[136:137] op_sel:[0,0,1] op_sel_hi:[1,0,0]
	v_dual_mul_f32 v136, v135, v123 :: v_dual_mov_b32 v132, v135
	v_dual_mov_b32 v139, v133 :: v_dual_mov_b32 v133, v134
	s_delay_alu instid0(VALU_DEP_2) | instskip(SKIP_1) | instid1(VALU_DEP_3)
	v_pk_fma_f32 v[136:137], v[134:135], v[198:199], v[136:137] op_sel_hi:[1,1,0] neg_lo:[0,0,1] neg_hi:[0,0,1]
	v_mul_f32_e32 v134, v135, v120
	v_pk_add_f32 v[192:193], v[192:193], v[138:139] neg_lo:[0,1] neg_hi:[0,1]
	s_delay_alu instid0(VALU_DEP_2) | instskip(NEXT) | instid1(VALU_DEP_1)
	v_pk_fma_f32 v[132:133], v[132:133], v[198:199], v[134:135] op_sel_hi:[1,1,0]
	v_mov_b32_e32 v137, v133
	ds_load_2addr_b64 v[132:135], v168 offset0:49 offset1:50
	v_pk_add_f32 v[220:221], v[220:221], v[136:137] neg_lo:[0,1] neg_hi:[0,1]
	s_wait_dscnt 0x0
	v_pk_mul_f32 v[136:137], v[132:133], v[122:123] op_sel:[0,1]
	s_delay_alu instid0(VALU_DEP_1) | instskip(SKIP_1) | instid1(VALU_DEP_1)
	v_pk_fma_f32 v[138:139], v[132:133], v[120:121], v[136:137] op_sel:[0,0,1] op_sel_hi:[1,1,0] neg_lo:[0,0,1] neg_hi:[0,0,1]
	v_pk_fma_f32 v[132:133], v[132:133], v[120:121], v[136:137] op_sel:[0,0,1] op_sel_hi:[1,0,0]
	v_mov_b32_e32 v139, v133
	v_pk_mul_f32 v[132:133], v[134:135], v[122:123] op_sel:[0,1]
	s_delay_alu instid0(VALU_DEP_1) | instskip(SKIP_1) | instid1(VALU_DEP_1)
	v_pk_fma_f32 v[136:137], v[134:135], v[120:121], v[132:133] op_sel:[0,0,1] op_sel_hi:[1,1,0] neg_lo:[0,0,1] neg_hi:[0,0,1]
	v_pk_fma_f32 v[132:133], v[134:135], v[120:121], v[132:133] op_sel:[0,0,1] op_sel_hi:[1,0,0]
	v_mov_b32_e32 v137, v133
	ds_load_2addr_b64 v[132:135], v168 offset0:51 offset1:52
	v_pk_add_f32 v[214:215], v[214:215], v[138:139] neg_lo:[0,1] neg_hi:[0,1]
	v_pk_add_f32 v[218:219], v[218:219], v[136:137] neg_lo:[0,1] neg_hi:[0,1]
	s_wait_dscnt 0x0
	v_pk_mul_f32 v[136:137], v[132:133], v[122:123] op_sel:[0,1]
	s_delay_alu instid0(VALU_DEP_1) | instskip(SKIP_1) | instid1(VALU_DEP_1)
	v_pk_fma_f32 v[138:139], v[132:133], v[120:121], v[136:137] op_sel:[0,0,1] op_sel_hi:[1,1,0] neg_lo:[0,0,1] neg_hi:[0,0,1]
	v_pk_fma_f32 v[132:133], v[132:133], v[120:121], v[136:137] op_sel:[0,0,1] op_sel_hi:[1,0,0]
	v_mov_b32_e32 v139, v133
	v_pk_mul_f32 v[132:133], v[134:135], v[122:123] op_sel:[0,1]
	s_delay_alu instid0(VALU_DEP_1) | instskip(SKIP_1) | instid1(VALU_DEP_1)
	v_pk_fma_f32 v[136:137], v[134:135], v[120:121], v[132:133] op_sel:[0,0,1] op_sel_hi:[1,1,0] neg_lo:[0,0,1] neg_hi:[0,0,1]
	v_pk_fma_f32 v[132:133], v[134:135], v[120:121], v[132:133] op_sel:[0,0,1] op_sel_hi:[1,0,0]
	v_mov_b32_e32 v137, v133
	ds_load_2addr_b64 v[132:135], v168 offset0:53 offset1:54
	v_pk_add_f32 v[212:213], v[212:213], v[138:139] neg_lo:[0,1] neg_hi:[0,1]
	v_pk_add_f32 v[216:217], v[216:217], v[136:137] neg_lo:[0,1] neg_hi:[0,1]
	s_wait_dscnt 0x0
	v_dual_mul_f32 v136, v133, v123 :: v_dual_mul_f32 v138, v133, v120
	s_delay_alu instid0(VALU_DEP_1) | instskip(NEXT) | instid1(VALU_DEP_2)
	v_pk_fma_f32 v[136:137], v[132:133], v[198:199], v[136:137] op_sel_hi:[1,1,0] neg_lo:[0,0,1] neg_hi:[0,0,1]
	v_pk_fma_f32 v[132:133], v[132:133], v[198:199], v[138:139] op_sel:[1,0,0] op_sel_hi:[0,1,0]
	s_delay_alu instid0(VALU_DEP_1) | instskip(SKIP_1) | instid1(VALU_DEP_2)
	v_mov_b32_e32 v137, v133
	v_pk_mul_f32 v[132:133], v[134:135], v[122:123] op_sel:[0,1]
	v_pk_add_f32 v[210:211], v[210:211], v[136:137] neg_lo:[0,1] neg_hi:[0,1]
	s_delay_alu instid0(VALU_DEP_2) | instskip(SKIP_1) | instid1(VALU_DEP_1)
	v_pk_fma_f32 v[136:137], v[134:135], v[120:121], v[132:133] op_sel:[0,0,1] op_sel_hi:[1,1,0] neg_lo:[0,0,1] neg_hi:[0,0,1]
	v_pk_fma_f32 v[132:133], v[134:135], v[120:121], v[132:133] op_sel:[0,0,1] op_sel_hi:[1,0,0]
	v_mov_b32_e32 v137, v133
	ds_load_b64 v[132:133], v168 offset:440
	v_pk_add_f32 v[222:223], v[222:223], v[136:137] neg_lo:[0,1] neg_hi:[0,1]
	s_wait_dscnt 0x0
	v_pk_mul_f32 v[122:123], v[132:133], v[122:123] op_sel:[0,1]
	s_delay_alu instid0(VALU_DEP_1) | instskip(SKIP_1) | instid1(VALU_DEP_1)
	v_pk_fma_f32 v[134:135], v[132:133], v[120:121], v[122:123] op_sel:[0,0,1] op_sel_hi:[1,1,0] neg_lo:[0,0,1] neg_hi:[0,0,1]
	v_pk_fma_f32 v[120:121], v[132:133], v[120:121], v[122:123] op_sel:[0,0,1] op_sel_hi:[1,0,0]
	v_mov_b32_e32 v135, v121
	s_delay_alu instid0(VALU_DEP_1)
	v_pk_add_f32 v[224:225], v[224:225], v[134:135] neg_lo:[0,1] neg_hi:[0,1]
.LBB111_406:
	s_or_b32 exec_lo, exec_lo, s1
	s_delay_alu instid0(SALU_CYCLE_1)
	s_mov_b32 s2, exec_lo
	s_wait_dscnt 0x0
	s_barrier_signal -1
	s_barrier_wait -1
	v_cmpx_eq_u32_e32 45, v166
	s_cbranch_execz .LBB111_413
; %bb.407:
	v_dual_mov_b32 v120, v196 :: v_dual_mov_b32 v121, v197
	v_dual_mov_b32 v122, v192 :: v_dual_mov_b32 v123, v193
	ds_store_b64 v167, v[194:195]
	ds_store_2addr_b64 v168, v[120:121], v[122:123] offset0:46 offset1:47
	v_dual_mov_b32 v120, v220 :: v_dual_mov_b32 v121, v221
	v_dual_mov_b32 v122, v214 :: v_dual_mov_b32 v123, v215
	ds_store_2addr_b64 v168, v[120:121], v[122:123] offset0:48 offset1:49
	v_dual_mov_b32 v120, v218 :: v_dual_mov_b32 v121, v219
	v_dual_mov_b32 v122, v212 :: v_dual_mov_b32 v123, v213
	;; [unrolled: 3-line block ×3, first 2 shown]
	ds_store_2addr_b64 v168, v[120:121], v[122:123] offset0:52 offset1:53
	v_dual_mov_b32 v120, v222 :: v_dual_mov_b32 v121, v223
	ds_store_2addr_b64 v168, v[120:121], v[224:225] offset0:54 offset1:55
	ds_load_b64 v[120:121], v167
	s_wait_dscnt 0x0
	v_cmp_neq_f32_e32 vcc_lo, 0, v120
	v_cmp_neq_f32_e64 s1, 0, v121
	s_or_b32 s1, vcc_lo, s1
	s_delay_alu instid0(SALU_CYCLE_1)
	s_and_b32 exec_lo, exec_lo, s1
	s_cbranch_execz .LBB111_413
; %bb.408:
	v_cmp_ngt_f32_e64 s1, |v120|, |v121|
                                        ; implicit-def: $vgpr122_vgpr123
	s_and_saveexec_b32 s4, s1
	s_delay_alu instid0(SALU_CYCLE_1)
	s_xor_b32 s1, exec_lo, s4
	s_cbranch_execz .LBB111_410
; %bb.409:
	v_div_scale_f32 v122, null, v121, v121, v120
	v_div_scale_f32 v133, vcc_lo, v120, v121, v120
	s_delay_alu instid0(VALU_DEP_2) | instskip(SKIP_1) | instid1(TRANS32_DEP_1)
	v_rcp_f32_e32 v123, v122
	v_nop
	v_fma_f32 v132, -v122, v123, 1.0
	s_delay_alu instid0(VALU_DEP_1) | instskip(NEXT) | instid1(VALU_DEP_1)
	v_fmac_f32_e32 v123, v132, v123
	v_mul_f32_e32 v132, v133, v123
	s_delay_alu instid0(VALU_DEP_1) | instskip(NEXT) | instid1(VALU_DEP_1)
	v_fma_f32 v134, -v122, v132, v133
	v_fmac_f32_e32 v132, v134, v123
	s_delay_alu instid0(VALU_DEP_1) | instskip(NEXT) | instid1(VALU_DEP_1)
	v_fma_f32 v122, -v122, v132, v133
	v_div_fmas_f32 v122, v122, v123, v132
	s_delay_alu instid0(VALU_DEP_1) | instskip(NEXT) | instid1(VALU_DEP_1)
	v_div_fixup_f32 v122, v122, v121, v120
	v_fmac_f32_e32 v121, v120, v122
	s_delay_alu instid0(VALU_DEP_1) | instskip(SKIP_1) | instid1(VALU_DEP_2)
	v_div_scale_f32 v120, null, v121, v121, 1.0
	v_div_scale_f32 v133, vcc_lo, 1.0, v121, 1.0
	v_rcp_f32_e32 v123, v120
	v_nop
	s_delay_alu instid0(TRANS32_DEP_1) | instskip(NEXT) | instid1(VALU_DEP_1)
	v_fma_f32 v132, -v120, v123, 1.0
	v_fmac_f32_e32 v123, v132, v123
	s_delay_alu instid0(VALU_DEP_1) | instskip(NEXT) | instid1(VALU_DEP_1)
	v_mul_f32_e32 v132, v133, v123
	v_fma_f32 v134, -v120, v132, v133
	s_delay_alu instid0(VALU_DEP_1) | instskip(NEXT) | instid1(VALU_DEP_1)
	v_fmac_f32_e32 v132, v134, v123
	v_fma_f32 v120, -v120, v132, v133
	s_delay_alu instid0(VALU_DEP_1) | instskip(NEXT) | instid1(VALU_DEP_1)
	v_div_fmas_f32 v120, v120, v123, v132
	v_div_fixup_f32 v120, v120, v121, 1.0
	s_delay_alu instid0(VALU_DEP_1)
	v_mul_f32_e32 v122, v122, v120
	v_xor_b32_e32 v123, 0x80000000, v120
                                        ; implicit-def: $vgpr120_vgpr121
.LBB111_410:
	s_and_not1_saveexec_b32 s1, s1
	s_cbranch_execz .LBB111_412
; %bb.411:
	v_div_scale_f32 v122, null, v120, v120, v121
	v_div_scale_f32 v133, vcc_lo, v121, v120, v121
	s_delay_alu instid0(VALU_DEP_2) | instskip(SKIP_1) | instid1(TRANS32_DEP_1)
	v_rcp_f32_e32 v123, v122
	v_nop
	v_fma_f32 v132, -v122, v123, 1.0
	s_delay_alu instid0(VALU_DEP_1) | instskip(NEXT) | instid1(VALU_DEP_1)
	v_fmac_f32_e32 v123, v132, v123
	v_mul_f32_e32 v132, v133, v123
	s_delay_alu instid0(VALU_DEP_1) | instskip(NEXT) | instid1(VALU_DEP_1)
	v_fma_f32 v134, -v122, v132, v133
	v_fmac_f32_e32 v132, v134, v123
	s_delay_alu instid0(VALU_DEP_1) | instskip(NEXT) | instid1(VALU_DEP_1)
	v_fma_f32 v122, -v122, v132, v133
	v_div_fmas_f32 v122, v122, v123, v132
	s_delay_alu instid0(VALU_DEP_1) | instskip(NEXT) | instid1(VALU_DEP_1)
	v_div_fixup_f32 v123, v122, v120, v121
	v_fmac_f32_e32 v120, v121, v123
	s_delay_alu instid0(VALU_DEP_1) | instskip(NEXT) | instid1(VALU_DEP_1)
	v_div_scale_f32 v121, null, v120, v120, 1.0
	v_rcp_f32_e32 v122, v121
	v_nop
	s_delay_alu instid0(TRANS32_DEP_1) | instskip(NEXT) | instid1(VALU_DEP_1)
	v_fma_f32 v132, -v121, v122, 1.0
	v_fmac_f32_e32 v122, v132, v122
	v_div_scale_f32 v132, vcc_lo, 1.0, v120, 1.0
	s_delay_alu instid0(VALU_DEP_1) | instskip(NEXT) | instid1(VALU_DEP_1)
	v_mul_f32_e32 v133, v132, v122
	v_fma_f32 v134, -v121, v133, v132
	s_delay_alu instid0(VALU_DEP_1) | instskip(NEXT) | instid1(VALU_DEP_1)
	v_fmac_f32_e32 v133, v134, v122
	v_fma_f32 v121, -v121, v133, v132
	s_delay_alu instid0(VALU_DEP_1) | instskip(NEXT) | instid1(VALU_DEP_1)
	v_div_fmas_f32 v121, v121, v122, v133
	v_div_fixup_f32 v122, v121, v120, 1.0
	s_delay_alu instid0(VALU_DEP_1)
	v_mul_f32_e64 v123, v123, -v122
.LBB111_412:
	s_or_b32 exec_lo, exec_lo, s1
	ds_store_b64 v167, v[122:123]
.LBB111_413:
	s_or_b32 exec_lo, exec_lo, s2
	s_wait_dscnt 0x0
	s_barrier_signal -1
	s_barrier_wait -1
	ds_load_b64 v[120:121], v167
	s_mov_b32 s1, exec_lo
	v_cmpx_lt_u32_e32 45, v166
	s_cbranch_execz .LBB111_415
; %bb.414:
	ds_load_2addr_b64 v[134:137], v168 offset0:46 offset1:47
	s_wait_dscnt 0x1
	v_pk_mul_f32 v[132:133], v[120:121], v[194:195] op_sel:[1,1] op_sel_hi:[0,1]
	s_delay_alu instid0(VALU_DEP_1) | instskip(SKIP_1) | instid1(VALU_DEP_1)
	v_pk_fma_f32 v[122:123], v[120:121], v[194:195], v[132:133] op_sel_hi:[1,0,1] neg_lo:[0,0,1] neg_hi:[0,0,1]
	v_pk_fma_f32 v[132:133], v[120:121], v[194:195], v[132:133] op_sel_hi:[1,0,1]
	v_dual_mov_b32 v194, v122 :: v_dual_mov_b32 v195, v133
	s_wait_dscnt 0x0
	s_delay_alu instid0(VALU_DEP_2) | instskip(NEXT) | instid1(VALU_DEP_1)
	v_pk_mul_f32 v[138:139], v[134:135], v[132:133] op_sel:[0,1]
	v_pk_fma_f32 v[148:149], v[134:135], v[122:123], v[138:139] op_sel:[0,0,1] op_sel_hi:[1,1,0] neg_lo:[0,0,1] neg_hi:[0,0,1]
	v_pk_fma_f32 v[134:135], v[134:135], v[122:123], v[138:139] op_sel:[0,0,1] op_sel_hi:[1,0,0]
	s_delay_alu instid0(VALU_DEP_1) | instskip(SKIP_1) | instid1(VALU_DEP_1)
	v_mov_b32_e32 v149, v135
	v_pk_mul_f32 v[134:135], v[136:137], v[132:133] op_sel:[0,1]
	v_pk_fma_f32 v[138:139], v[136:137], v[122:123], v[134:135] op_sel:[0,0,1] op_sel_hi:[1,1,0] neg_lo:[0,0,1] neg_hi:[0,0,1]
	v_pk_fma_f32 v[134:135], v[136:137], v[122:123], v[134:135] op_sel:[0,0,1] op_sel_hi:[1,0,0]
	s_delay_alu instid0(VALU_DEP_1)
	v_mov_b32_e32 v139, v135
	ds_load_2addr_b64 v[134:137], v168 offset0:48 offset1:49
	v_pk_add_f32 v[196:197], v[196:197], v[148:149] neg_lo:[0,1] neg_hi:[0,1]
	v_pk_add_f32 v[192:193], v[192:193], v[138:139] neg_lo:[0,1] neg_hi:[0,1]
	s_wait_dscnt 0x0
	v_pk_mul_f32 v[138:139], v[134:135], v[132:133] op_sel:[0,1]
	s_delay_alu instid0(VALU_DEP_1) | instskip(SKIP_2) | instid1(VALU_DEP_2)
	v_pk_fma_f32 v[148:149], v[134:135], v[122:123], v[138:139] op_sel:[0,0,1] op_sel_hi:[1,1,0] neg_lo:[0,0,1] neg_hi:[0,0,1]
	v_pk_fma_f32 v[134:135], v[134:135], v[122:123], v[138:139] op_sel:[0,0,1] op_sel_hi:[1,0,0]
	v_dual_mul_f32 v138, v137, v133 :: v_dual_mov_b32 v134, v137
	v_dual_mov_b32 v149, v135 :: v_dual_mov_b32 v135, v136
	s_delay_alu instid0(VALU_DEP_2) | instskip(SKIP_1) | instid1(VALU_DEP_3)
	v_pk_fma_f32 v[138:139], v[136:137], v[194:195], v[138:139] op_sel_hi:[1,1,0] neg_lo:[0,0,1] neg_hi:[0,0,1]
	v_mul_f32_e32 v136, v137, v122
	v_pk_add_f32 v[220:221], v[220:221], v[148:149] neg_lo:[0,1] neg_hi:[0,1]
	s_delay_alu instid0(VALU_DEP_2) | instskip(NEXT) | instid1(VALU_DEP_1)
	v_pk_fma_f32 v[134:135], v[134:135], v[194:195], v[136:137] op_sel_hi:[1,1,0]
	v_mov_b32_e32 v139, v135
	ds_load_2addr_b64 v[134:137], v168 offset0:50 offset1:51
	v_pk_add_f32 v[214:215], v[214:215], v[138:139] neg_lo:[0,1] neg_hi:[0,1]
	s_wait_dscnt 0x0
	v_pk_mul_f32 v[138:139], v[134:135], v[132:133] op_sel:[0,1]
	s_delay_alu instid0(VALU_DEP_1) | instskip(SKIP_1) | instid1(VALU_DEP_1)
	v_pk_fma_f32 v[148:149], v[134:135], v[122:123], v[138:139] op_sel:[0,0,1] op_sel_hi:[1,1,0] neg_lo:[0,0,1] neg_hi:[0,0,1]
	v_pk_fma_f32 v[134:135], v[134:135], v[122:123], v[138:139] op_sel:[0,0,1] op_sel_hi:[1,0,0]
	v_mov_b32_e32 v149, v135
	v_pk_mul_f32 v[134:135], v[136:137], v[132:133] op_sel:[0,1]
	s_delay_alu instid0(VALU_DEP_1) | instskip(SKIP_1) | instid1(VALU_DEP_1)
	v_pk_fma_f32 v[138:139], v[136:137], v[122:123], v[134:135] op_sel:[0,0,1] op_sel_hi:[1,1,0] neg_lo:[0,0,1] neg_hi:[0,0,1]
	v_pk_fma_f32 v[134:135], v[136:137], v[122:123], v[134:135] op_sel:[0,0,1] op_sel_hi:[1,0,0]
	v_mov_b32_e32 v139, v135
	ds_load_2addr_b64 v[134:137], v168 offset0:52 offset1:53
	v_pk_add_f32 v[218:219], v[218:219], v[148:149] neg_lo:[0,1] neg_hi:[0,1]
	v_pk_add_f32 v[212:213], v[212:213], v[138:139] neg_lo:[0,1] neg_hi:[0,1]
	s_wait_dscnt 0x0
	v_pk_mul_f32 v[138:139], v[134:135], v[132:133] op_sel:[0,1]
	s_delay_alu instid0(VALU_DEP_1) | instskip(SKIP_1) | instid1(VALU_DEP_1)
	v_pk_fma_f32 v[148:149], v[134:135], v[122:123], v[138:139] op_sel:[0,0,1] op_sel_hi:[1,1,0] neg_lo:[0,0,1] neg_hi:[0,0,1]
	v_pk_fma_f32 v[134:135], v[134:135], v[122:123], v[138:139] op_sel:[0,0,1] op_sel_hi:[1,0,0]
	v_mov_b32_e32 v149, v135
	v_pk_mul_f32 v[134:135], v[136:137], v[132:133] op_sel:[0,1]
	s_delay_alu instid0(VALU_DEP_1) | instskip(SKIP_1) | instid1(VALU_DEP_1)
	v_pk_fma_f32 v[138:139], v[136:137], v[122:123], v[134:135] op_sel:[0,0,1] op_sel_hi:[1,1,0] neg_lo:[0,0,1] neg_hi:[0,0,1]
	v_pk_fma_f32 v[134:135], v[136:137], v[122:123], v[134:135] op_sel:[0,0,1] op_sel_hi:[1,0,0]
	v_mov_b32_e32 v139, v135
	ds_load_2addr_b64 v[134:137], v168 offset0:54 offset1:55
	v_pk_add_f32 v[216:217], v[216:217], v[148:149] neg_lo:[0,1] neg_hi:[0,1]
	v_pk_add_f32 v[210:211], v[210:211], v[138:139] neg_lo:[0,1] neg_hi:[0,1]
	s_wait_dscnt 0x0
	v_dual_mul_f32 v138, v135, v133 :: v_dual_mul_f32 v148, v135, v122
	v_pk_mul_f32 v[132:133], v[136:137], v[132:133] op_sel:[0,1]
	s_delay_alu instid0(VALU_DEP_2) | instskip(NEXT) | instid1(VALU_DEP_3)
	v_pk_fma_f32 v[138:139], v[134:135], v[194:195], v[138:139] op_sel_hi:[1,1,0] neg_lo:[0,0,1] neg_hi:[0,0,1]
	v_pk_fma_f32 v[134:135], v[134:135], v[194:195], v[148:149] op_sel:[1,0,0] op_sel_hi:[0,1,0]
	s_delay_alu instid0(VALU_DEP_1) | instskip(NEXT) | instid1(VALU_DEP_4)
	v_mov_b32_e32 v139, v135
	v_pk_fma_f32 v[134:135], v[136:137], v[122:123], v[132:133] op_sel:[0,0,1] op_sel_hi:[1,1,0] neg_lo:[0,0,1] neg_hi:[0,0,1]
	v_pk_fma_f32 v[122:123], v[136:137], v[122:123], v[132:133] op_sel:[0,0,1] op_sel_hi:[1,0,0]
	s_delay_alu instid0(VALU_DEP_1) | instskip(NEXT) | instid1(VALU_DEP_4)
	v_mov_b32_e32 v135, v123
	v_pk_add_f32 v[222:223], v[222:223], v[138:139] neg_lo:[0,1] neg_hi:[0,1]
	s_delay_alu instid0(VALU_DEP_2)
	v_pk_add_f32 v[224:225], v[224:225], v[134:135] neg_lo:[0,1] neg_hi:[0,1]
.LBB111_415:
	s_or_b32 exec_lo, exec_lo, s1
	s_delay_alu instid0(SALU_CYCLE_1)
	s_mov_b32 s2, exec_lo
	s_wait_dscnt 0x0
	s_barrier_signal -1
	s_barrier_wait -1
	v_cmpx_eq_u32_e32 46, v166
	s_cbranch_execz .LBB111_422
; %bb.416:
	ds_store_b64 v167, v[196:197]
	ds_store_2addr_b64 v168, v[192:193], v[220:221] offset0:47 offset1:48
	ds_store_2addr_b64 v168, v[214:215], v[218:219] offset0:49 offset1:50
	;; [unrolled: 1-line block ×4, first 2 shown]
	ds_store_b64 v168, v[224:225] offset:440
	ds_load_b64 v[122:123], v167
	s_wait_dscnt 0x0
	v_cmp_neq_f32_e32 vcc_lo, 0, v122
	v_cmp_neq_f32_e64 s1, 0, v123
	s_or_b32 s1, vcc_lo, s1
	s_delay_alu instid0(SALU_CYCLE_1)
	s_and_b32 exec_lo, exec_lo, s1
	s_cbranch_execz .LBB111_422
; %bb.417:
	v_cmp_ngt_f32_e64 s1, |v122|, |v123|
                                        ; implicit-def: $vgpr132_vgpr133
	s_and_saveexec_b32 s4, s1
	s_delay_alu instid0(SALU_CYCLE_1)
	s_xor_b32 s1, exec_lo, s4
	s_cbranch_execz .LBB111_419
; %bb.418:
	v_div_scale_f32 v132, null, v123, v123, v122
	v_div_scale_f32 v135, vcc_lo, v122, v123, v122
	s_delay_alu instid0(VALU_DEP_2) | instskip(SKIP_1) | instid1(TRANS32_DEP_1)
	v_rcp_f32_e32 v133, v132
	v_nop
	v_fma_f32 v134, -v132, v133, 1.0
	s_delay_alu instid0(VALU_DEP_1) | instskip(NEXT) | instid1(VALU_DEP_1)
	v_fmac_f32_e32 v133, v134, v133
	v_mul_f32_e32 v134, v135, v133
	s_delay_alu instid0(VALU_DEP_1) | instskip(NEXT) | instid1(VALU_DEP_1)
	v_fma_f32 v136, -v132, v134, v135
	v_fmac_f32_e32 v134, v136, v133
	s_delay_alu instid0(VALU_DEP_1) | instskip(NEXT) | instid1(VALU_DEP_1)
	v_fma_f32 v132, -v132, v134, v135
	v_div_fmas_f32 v132, v132, v133, v134
	s_delay_alu instid0(VALU_DEP_1) | instskip(NEXT) | instid1(VALU_DEP_1)
	v_div_fixup_f32 v132, v132, v123, v122
	v_fmac_f32_e32 v123, v122, v132
	s_delay_alu instid0(VALU_DEP_1) | instskip(SKIP_1) | instid1(VALU_DEP_2)
	v_div_scale_f32 v122, null, v123, v123, 1.0
	v_div_scale_f32 v135, vcc_lo, 1.0, v123, 1.0
	v_rcp_f32_e32 v133, v122
	v_nop
	s_delay_alu instid0(TRANS32_DEP_1) | instskip(NEXT) | instid1(VALU_DEP_1)
	v_fma_f32 v134, -v122, v133, 1.0
	v_fmac_f32_e32 v133, v134, v133
	s_delay_alu instid0(VALU_DEP_1) | instskip(NEXT) | instid1(VALU_DEP_1)
	v_mul_f32_e32 v134, v135, v133
	v_fma_f32 v136, -v122, v134, v135
	s_delay_alu instid0(VALU_DEP_1) | instskip(NEXT) | instid1(VALU_DEP_1)
	v_fmac_f32_e32 v134, v136, v133
	v_fma_f32 v122, -v122, v134, v135
	s_delay_alu instid0(VALU_DEP_1) | instskip(NEXT) | instid1(VALU_DEP_1)
	v_div_fmas_f32 v122, v122, v133, v134
	v_div_fixup_f32 v122, v122, v123, 1.0
	s_delay_alu instid0(VALU_DEP_1)
	v_mul_f32_e32 v132, v132, v122
	v_xor_b32_e32 v133, 0x80000000, v122
                                        ; implicit-def: $vgpr122_vgpr123
.LBB111_419:
	s_and_not1_saveexec_b32 s1, s1
	s_cbranch_execz .LBB111_421
; %bb.420:
	v_div_scale_f32 v132, null, v122, v122, v123
	v_div_scale_f32 v135, vcc_lo, v123, v122, v123
	s_delay_alu instid0(VALU_DEP_2) | instskip(SKIP_1) | instid1(TRANS32_DEP_1)
	v_rcp_f32_e32 v133, v132
	v_nop
	v_fma_f32 v134, -v132, v133, 1.0
	s_delay_alu instid0(VALU_DEP_1) | instskip(NEXT) | instid1(VALU_DEP_1)
	v_fmac_f32_e32 v133, v134, v133
	v_mul_f32_e32 v134, v135, v133
	s_delay_alu instid0(VALU_DEP_1) | instskip(NEXT) | instid1(VALU_DEP_1)
	v_fma_f32 v136, -v132, v134, v135
	v_fmac_f32_e32 v134, v136, v133
	s_delay_alu instid0(VALU_DEP_1) | instskip(NEXT) | instid1(VALU_DEP_1)
	v_fma_f32 v132, -v132, v134, v135
	v_div_fmas_f32 v132, v132, v133, v134
	s_delay_alu instid0(VALU_DEP_1) | instskip(NEXT) | instid1(VALU_DEP_1)
	v_div_fixup_f32 v133, v132, v122, v123
	v_fmac_f32_e32 v122, v123, v133
	s_delay_alu instid0(VALU_DEP_1) | instskip(NEXT) | instid1(VALU_DEP_1)
	v_div_scale_f32 v123, null, v122, v122, 1.0
	v_rcp_f32_e32 v132, v123
	v_nop
	s_delay_alu instid0(TRANS32_DEP_1) | instskip(NEXT) | instid1(VALU_DEP_1)
	v_fma_f32 v134, -v123, v132, 1.0
	v_fmac_f32_e32 v132, v134, v132
	v_div_scale_f32 v134, vcc_lo, 1.0, v122, 1.0
	s_delay_alu instid0(VALU_DEP_1) | instskip(NEXT) | instid1(VALU_DEP_1)
	v_mul_f32_e32 v135, v134, v132
	v_fma_f32 v136, -v123, v135, v134
	s_delay_alu instid0(VALU_DEP_1) | instskip(NEXT) | instid1(VALU_DEP_1)
	v_fmac_f32_e32 v135, v136, v132
	v_fma_f32 v123, -v123, v135, v134
	s_delay_alu instid0(VALU_DEP_1) | instskip(NEXT) | instid1(VALU_DEP_1)
	v_div_fmas_f32 v123, v123, v132, v135
	v_div_fixup_f32 v132, v123, v122, 1.0
	s_delay_alu instid0(VALU_DEP_1)
	v_mul_f32_e64 v133, v133, -v132
.LBB111_421:
	s_or_b32 exec_lo, exec_lo, s1
	ds_store_b64 v167, v[132:133]
.LBB111_422:
	s_or_b32 exec_lo, exec_lo, s2
	s_wait_dscnt 0x0
	s_barrier_signal -1
	s_barrier_wait -1
	ds_load_b64 v[122:123], v167
	s_mov_b32 s1, exec_lo
	v_cmpx_lt_u32_e32 46, v166
	s_cbranch_execz .LBB111_424
; %bb.423:
	ds_load_2addr_b64 v[136:139], v168 offset0:47 offset1:48
	s_wait_dscnt 0x1
	v_pk_mul_f32 v[134:135], v[122:123], v[196:197] op_sel:[1,1] op_sel_hi:[0,1]
	s_delay_alu instid0(VALU_DEP_1) | instskip(SKIP_1) | instid1(VALU_DEP_1)
	v_pk_fma_f32 v[132:133], v[122:123], v[196:197], v[134:135] op_sel_hi:[1,0,1] neg_lo:[0,0,1] neg_hi:[0,0,1]
	v_pk_fma_f32 v[134:135], v[122:123], v[196:197], v[134:135] op_sel_hi:[1,0,1]
	v_dual_mov_b32 v196, v132 :: v_dual_mov_b32 v197, v135
	s_wait_dscnt 0x0
	s_delay_alu instid0(VALU_DEP_2) | instskip(NEXT) | instid1(VALU_DEP_1)
	v_pk_mul_f32 v[148:149], v[136:137], v[134:135] op_sel:[0,1]
	v_pk_fma_f32 v[150:151], v[136:137], v[132:133], v[148:149] op_sel:[0,0,1] op_sel_hi:[1,1,0] neg_lo:[0,0,1] neg_hi:[0,0,1]
	v_pk_fma_f32 v[136:137], v[136:137], v[132:133], v[148:149] op_sel:[0,0,1] op_sel_hi:[1,0,0]
	s_delay_alu instid0(VALU_DEP_1) | instskip(SKIP_1) | instid1(VALU_DEP_1)
	v_mov_b32_e32 v151, v137
	v_pk_mul_f32 v[136:137], v[138:139], v[134:135] op_sel:[0,1]
	v_pk_fma_f32 v[148:149], v[138:139], v[132:133], v[136:137] op_sel:[0,0,1] op_sel_hi:[1,1,0] neg_lo:[0,0,1] neg_hi:[0,0,1]
	v_pk_fma_f32 v[136:137], v[138:139], v[132:133], v[136:137] op_sel:[0,0,1] op_sel_hi:[1,0,0]
	s_delay_alu instid0(VALU_DEP_1)
	v_mov_b32_e32 v149, v137
	ds_load_2addr_b64 v[136:139], v168 offset0:49 offset1:50
	v_pk_add_f32 v[192:193], v[192:193], v[150:151] neg_lo:[0,1] neg_hi:[0,1]
	v_pk_add_f32 v[220:221], v[220:221], v[148:149] neg_lo:[0,1] neg_hi:[0,1]
	s_wait_dscnt 0x0
	v_pk_mul_f32 v[148:149], v[136:137], v[134:135] op_sel:[0,1]
	s_delay_alu instid0(VALU_DEP_1) | instskip(SKIP_2) | instid1(VALU_DEP_2)
	v_pk_fma_f32 v[150:151], v[136:137], v[132:133], v[148:149] op_sel:[0,0,1] op_sel_hi:[1,1,0] neg_lo:[0,0,1] neg_hi:[0,0,1]
	v_pk_fma_f32 v[136:137], v[136:137], v[132:133], v[148:149] op_sel:[0,0,1] op_sel_hi:[1,0,0]
	v_dual_mul_f32 v148, v139, v135 :: v_dual_mov_b32 v136, v139
	v_dual_mov_b32 v151, v137 :: v_dual_mov_b32 v137, v138
	s_delay_alu instid0(VALU_DEP_2) | instskip(SKIP_1) | instid1(VALU_DEP_3)
	v_pk_fma_f32 v[148:149], v[138:139], v[196:197], v[148:149] op_sel_hi:[1,1,0] neg_lo:[0,0,1] neg_hi:[0,0,1]
	v_mul_f32_e32 v138, v139, v132
	v_pk_add_f32 v[214:215], v[214:215], v[150:151] neg_lo:[0,1] neg_hi:[0,1]
	s_delay_alu instid0(VALU_DEP_2) | instskip(NEXT) | instid1(VALU_DEP_1)
	v_pk_fma_f32 v[136:137], v[136:137], v[196:197], v[138:139] op_sel_hi:[1,1,0]
	v_mov_b32_e32 v149, v137
	ds_load_2addr_b64 v[136:139], v168 offset0:51 offset1:52
	v_pk_add_f32 v[218:219], v[218:219], v[148:149] neg_lo:[0,1] neg_hi:[0,1]
	s_wait_dscnt 0x0
	v_pk_mul_f32 v[148:149], v[136:137], v[134:135] op_sel:[0,1]
	s_delay_alu instid0(VALU_DEP_1) | instskip(SKIP_1) | instid1(VALU_DEP_1)
	v_pk_fma_f32 v[150:151], v[136:137], v[132:133], v[148:149] op_sel:[0,0,1] op_sel_hi:[1,1,0] neg_lo:[0,0,1] neg_hi:[0,0,1]
	v_pk_fma_f32 v[136:137], v[136:137], v[132:133], v[148:149] op_sel:[0,0,1] op_sel_hi:[1,0,0]
	v_mov_b32_e32 v151, v137
	v_pk_mul_f32 v[136:137], v[138:139], v[134:135] op_sel:[0,1]
	s_delay_alu instid0(VALU_DEP_1) | instskip(SKIP_1) | instid1(VALU_DEP_1)
	v_pk_fma_f32 v[148:149], v[138:139], v[132:133], v[136:137] op_sel:[0,0,1] op_sel_hi:[1,1,0] neg_lo:[0,0,1] neg_hi:[0,0,1]
	v_pk_fma_f32 v[136:137], v[138:139], v[132:133], v[136:137] op_sel:[0,0,1] op_sel_hi:[1,0,0]
	v_mov_b32_e32 v149, v137
	ds_load_2addr_b64 v[136:139], v168 offset0:53 offset1:54
	v_pk_add_f32 v[212:213], v[212:213], v[150:151] neg_lo:[0,1] neg_hi:[0,1]
	v_pk_add_f32 v[216:217], v[216:217], v[148:149] neg_lo:[0,1] neg_hi:[0,1]
	s_wait_dscnt 0x0
	v_pk_mul_f32 v[148:149], v[136:137], v[134:135] op_sel:[0,1]
	s_delay_alu instid0(VALU_DEP_1) | instskip(SKIP_1) | instid1(VALU_DEP_1)
	v_pk_fma_f32 v[150:151], v[136:137], v[132:133], v[148:149] op_sel:[0,0,1] op_sel_hi:[1,1,0] neg_lo:[0,0,1] neg_hi:[0,0,1]
	v_pk_fma_f32 v[136:137], v[136:137], v[132:133], v[148:149] op_sel:[0,0,1] op_sel_hi:[1,0,0]
	v_mov_b32_e32 v151, v137
	v_pk_mul_f32 v[136:137], v[138:139], v[134:135] op_sel:[0,1]
	s_delay_alu instid0(VALU_DEP_1) | instskip(SKIP_1) | instid1(VALU_DEP_1)
	v_pk_fma_f32 v[148:149], v[138:139], v[132:133], v[136:137] op_sel:[0,0,1] op_sel_hi:[1,1,0] neg_lo:[0,0,1] neg_hi:[0,0,1]
	v_pk_fma_f32 v[136:137], v[138:139], v[132:133], v[136:137] op_sel:[0,0,1] op_sel_hi:[1,0,0]
	v_mov_b32_e32 v149, v137
	ds_load_b64 v[136:137], v168 offset:440
	v_pk_add_f32 v[210:211], v[210:211], v[150:151] neg_lo:[0,1] neg_hi:[0,1]
	v_pk_add_f32 v[222:223], v[222:223], v[148:149] neg_lo:[0,1] neg_hi:[0,1]
	s_wait_dscnt 0x0
	v_pk_mul_f32 v[134:135], v[136:137], v[134:135] op_sel:[0,1]
	s_delay_alu instid0(VALU_DEP_1) | instskip(SKIP_1) | instid1(VALU_DEP_1)
	v_pk_fma_f32 v[138:139], v[136:137], v[132:133], v[134:135] op_sel:[0,0,1] op_sel_hi:[1,1,0] neg_lo:[0,0,1] neg_hi:[0,0,1]
	v_pk_fma_f32 v[132:133], v[136:137], v[132:133], v[134:135] op_sel:[0,0,1] op_sel_hi:[1,0,0]
	v_mov_b32_e32 v139, v133
	s_delay_alu instid0(VALU_DEP_1)
	v_pk_add_f32 v[224:225], v[224:225], v[138:139] neg_lo:[0,1] neg_hi:[0,1]
.LBB111_424:
	s_or_b32 exec_lo, exec_lo, s1
	s_delay_alu instid0(SALU_CYCLE_1)
	s_mov_b32 s2, exec_lo
	s_wait_dscnt 0x0
	s_barrier_signal -1
	s_barrier_wait -1
	v_cmpx_eq_u32_e32 47, v166
	s_cbranch_execz .LBB111_431
; %bb.425:
	v_dual_mov_b32 v132, v220 :: v_dual_mov_b32 v133, v221
	v_dual_mov_b32 v134, v214 :: v_dual_mov_b32 v135, v215
	ds_store_b64 v167, v[192:193]
	ds_store_2addr_b64 v168, v[132:133], v[134:135] offset0:48 offset1:49
	v_dual_mov_b32 v132, v218 :: v_dual_mov_b32 v133, v219
	v_dual_mov_b32 v134, v212 :: v_dual_mov_b32 v135, v213
	ds_store_2addr_b64 v168, v[132:133], v[134:135] offset0:50 offset1:51
	v_dual_mov_b32 v132, v216 :: v_dual_mov_b32 v133, v217
	v_dual_mov_b32 v134, v210 :: v_dual_mov_b32 v135, v211
	ds_store_2addr_b64 v168, v[132:133], v[134:135] offset0:52 offset1:53
	v_dual_mov_b32 v132, v222 :: v_dual_mov_b32 v133, v223
	ds_store_2addr_b64 v168, v[132:133], v[224:225] offset0:54 offset1:55
	ds_load_b64 v[132:133], v167
	s_wait_dscnt 0x0
	v_cmp_neq_f32_e32 vcc_lo, 0, v132
	v_cmp_neq_f32_e64 s1, 0, v133
	s_or_b32 s1, vcc_lo, s1
	s_delay_alu instid0(SALU_CYCLE_1)
	s_and_b32 exec_lo, exec_lo, s1
	s_cbranch_execz .LBB111_431
; %bb.426:
	v_cmp_ngt_f32_e64 s1, |v132|, |v133|
                                        ; implicit-def: $vgpr134_vgpr135
	s_and_saveexec_b32 s4, s1
	s_delay_alu instid0(SALU_CYCLE_1)
	s_xor_b32 s1, exec_lo, s4
	s_cbranch_execz .LBB111_428
; %bb.427:
	v_div_scale_f32 v134, null, v133, v133, v132
	v_div_scale_f32 v137, vcc_lo, v132, v133, v132
	s_delay_alu instid0(VALU_DEP_2) | instskip(SKIP_1) | instid1(TRANS32_DEP_1)
	v_rcp_f32_e32 v135, v134
	v_nop
	v_fma_f32 v136, -v134, v135, 1.0
	s_delay_alu instid0(VALU_DEP_1) | instskip(NEXT) | instid1(VALU_DEP_1)
	v_fmac_f32_e32 v135, v136, v135
	v_mul_f32_e32 v136, v137, v135
	s_delay_alu instid0(VALU_DEP_1) | instskip(NEXT) | instid1(VALU_DEP_1)
	v_fma_f32 v138, -v134, v136, v137
	v_fmac_f32_e32 v136, v138, v135
	s_delay_alu instid0(VALU_DEP_1) | instskip(NEXT) | instid1(VALU_DEP_1)
	v_fma_f32 v134, -v134, v136, v137
	v_div_fmas_f32 v134, v134, v135, v136
	s_delay_alu instid0(VALU_DEP_1) | instskip(NEXT) | instid1(VALU_DEP_1)
	v_div_fixup_f32 v134, v134, v133, v132
	v_fmac_f32_e32 v133, v132, v134
	s_delay_alu instid0(VALU_DEP_1) | instskip(SKIP_1) | instid1(VALU_DEP_2)
	v_div_scale_f32 v132, null, v133, v133, 1.0
	v_div_scale_f32 v137, vcc_lo, 1.0, v133, 1.0
	v_rcp_f32_e32 v135, v132
	v_nop
	s_delay_alu instid0(TRANS32_DEP_1) | instskip(NEXT) | instid1(VALU_DEP_1)
	v_fma_f32 v136, -v132, v135, 1.0
	v_fmac_f32_e32 v135, v136, v135
	s_delay_alu instid0(VALU_DEP_1) | instskip(NEXT) | instid1(VALU_DEP_1)
	v_mul_f32_e32 v136, v137, v135
	v_fma_f32 v138, -v132, v136, v137
	s_delay_alu instid0(VALU_DEP_1) | instskip(NEXT) | instid1(VALU_DEP_1)
	v_fmac_f32_e32 v136, v138, v135
	v_fma_f32 v132, -v132, v136, v137
	s_delay_alu instid0(VALU_DEP_1) | instskip(NEXT) | instid1(VALU_DEP_1)
	v_div_fmas_f32 v132, v132, v135, v136
	v_div_fixup_f32 v132, v132, v133, 1.0
	s_delay_alu instid0(VALU_DEP_1)
	v_mul_f32_e32 v134, v134, v132
	v_xor_b32_e32 v135, 0x80000000, v132
                                        ; implicit-def: $vgpr132_vgpr133
.LBB111_428:
	s_and_not1_saveexec_b32 s1, s1
	s_cbranch_execz .LBB111_430
; %bb.429:
	v_div_scale_f32 v134, null, v132, v132, v133
	v_div_scale_f32 v137, vcc_lo, v133, v132, v133
	s_delay_alu instid0(VALU_DEP_2) | instskip(SKIP_1) | instid1(TRANS32_DEP_1)
	v_rcp_f32_e32 v135, v134
	v_nop
	v_fma_f32 v136, -v134, v135, 1.0
	s_delay_alu instid0(VALU_DEP_1) | instskip(NEXT) | instid1(VALU_DEP_1)
	v_fmac_f32_e32 v135, v136, v135
	v_mul_f32_e32 v136, v137, v135
	s_delay_alu instid0(VALU_DEP_1) | instskip(NEXT) | instid1(VALU_DEP_1)
	v_fma_f32 v138, -v134, v136, v137
	v_fmac_f32_e32 v136, v138, v135
	s_delay_alu instid0(VALU_DEP_1) | instskip(NEXT) | instid1(VALU_DEP_1)
	v_fma_f32 v134, -v134, v136, v137
	v_div_fmas_f32 v134, v134, v135, v136
	s_delay_alu instid0(VALU_DEP_1) | instskip(NEXT) | instid1(VALU_DEP_1)
	v_div_fixup_f32 v135, v134, v132, v133
	v_fmac_f32_e32 v132, v133, v135
	s_delay_alu instid0(VALU_DEP_1) | instskip(NEXT) | instid1(VALU_DEP_1)
	v_div_scale_f32 v133, null, v132, v132, 1.0
	v_rcp_f32_e32 v134, v133
	v_nop
	s_delay_alu instid0(TRANS32_DEP_1) | instskip(NEXT) | instid1(VALU_DEP_1)
	v_fma_f32 v136, -v133, v134, 1.0
	v_fmac_f32_e32 v134, v136, v134
	v_div_scale_f32 v136, vcc_lo, 1.0, v132, 1.0
	s_delay_alu instid0(VALU_DEP_1) | instskip(NEXT) | instid1(VALU_DEP_1)
	v_mul_f32_e32 v137, v136, v134
	v_fma_f32 v138, -v133, v137, v136
	s_delay_alu instid0(VALU_DEP_1) | instskip(NEXT) | instid1(VALU_DEP_1)
	v_fmac_f32_e32 v137, v138, v134
	v_fma_f32 v133, -v133, v137, v136
	s_delay_alu instid0(VALU_DEP_1) | instskip(NEXT) | instid1(VALU_DEP_1)
	v_div_fmas_f32 v133, v133, v134, v137
	v_div_fixup_f32 v134, v133, v132, 1.0
	s_delay_alu instid0(VALU_DEP_1)
	v_mul_f32_e64 v135, v135, -v134
.LBB111_430:
	s_or_b32 exec_lo, exec_lo, s1
	ds_store_b64 v167, v[134:135]
.LBB111_431:
	s_or_b32 exec_lo, exec_lo, s2
	s_wait_dscnt 0x0
	s_barrier_signal -1
	s_barrier_wait -1
	ds_load_b64 v[132:133], v167
	s_mov_b32 s1, exec_lo
	v_cmpx_lt_u32_e32 47, v166
	s_cbranch_execz .LBB111_433
; %bb.432:
	ds_load_2addr_b64 v[148:151], v168 offset0:48 offset1:49
	s_wait_dscnt 0x1
	v_pk_mul_f32 v[136:137], v[132:133], v[192:193] op_sel:[1,1] op_sel_hi:[0,1]
	s_delay_alu instid0(VALU_DEP_1) | instskip(SKIP_1) | instid1(VALU_DEP_1)
	v_pk_fma_f32 v[134:135], v[132:133], v[192:193], v[136:137] op_sel_hi:[1,0,1] neg_lo:[0,0,1] neg_hi:[0,0,1]
	v_pk_fma_f32 v[136:137], v[132:133], v[192:193], v[136:137] op_sel_hi:[1,0,1]
	v_dual_mov_b32 v192, v134 :: v_dual_mov_b32 v193, v137
	s_wait_dscnt 0x0
	s_delay_alu instid0(VALU_DEP_2) | instskip(NEXT) | instid1(VALU_DEP_1)
	v_pk_mul_f32 v[138:139], v[148:149], v[136:137] op_sel:[0,1]
	v_pk_fma_f32 v[152:153], v[148:149], v[134:135], v[138:139] op_sel:[0,0,1] op_sel_hi:[1,1,0] neg_lo:[0,0,1] neg_hi:[0,0,1]
	v_pk_fma_f32 v[138:139], v[148:149], v[134:135], v[138:139] op_sel:[0,0,1] op_sel_hi:[1,0,0]
	s_delay_alu instid0(VALU_DEP_1) | instskip(SKIP_1) | instid1(VALU_DEP_1)
	v_mov_b32_e32 v153, v139
	v_pk_mul_f32 v[138:139], v[150:151], v[136:137] op_sel:[0,1]
	v_pk_fma_f32 v[148:149], v[150:151], v[134:135], v[138:139] op_sel:[0,0,1] op_sel_hi:[1,1,0] neg_lo:[0,0,1] neg_hi:[0,0,1]
	v_pk_fma_f32 v[138:139], v[150:151], v[134:135], v[138:139] op_sel:[0,0,1] op_sel_hi:[1,0,0]
	s_delay_alu instid0(VALU_DEP_1) | instskip(SKIP_1) | instid1(VALU_DEP_2)
	v_mov_b32_e32 v149, v139
	v_pk_add_f32 v[220:221], v[220:221], v[152:153] neg_lo:[0,1] neg_hi:[0,1]
	v_pk_add_f32 v[214:215], v[214:215], v[148:149] neg_lo:[0,1] neg_hi:[0,1]
	ds_load_2addr_b64 v[148:151], v168 offset0:50 offset1:51
	s_wait_dscnt 0x0
	v_pk_mul_f32 v[138:139], v[148:149], v[136:137] op_sel:[0,1]
	s_delay_alu instid0(VALU_DEP_1) | instskip(SKIP_2) | instid1(VALU_DEP_2)
	v_pk_fma_f32 v[152:153], v[148:149], v[134:135], v[138:139] op_sel:[0,0,1] op_sel_hi:[1,1,0] neg_lo:[0,0,1] neg_hi:[0,0,1]
	v_pk_fma_f32 v[138:139], v[148:149], v[134:135], v[138:139] op_sel:[0,0,1] op_sel_hi:[1,0,0]
	v_dual_mul_f32 v148, v151, v137 :: v_dual_mov_b32 v138, v151
	v_dual_mov_b32 v153, v139 :: v_dual_mov_b32 v139, v150
	s_delay_alu instid0(VALU_DEP_2) | instskip(SKIP_1) | instid1(VALU_DEP_3)
	v_pk_fma_f32 v[148:149], v[150:151], v[192:193], v[148:149] op_sel_hi:[1,1,0] neg_lo:[0,0,1] neg_hi:[0,0,1]
	v_mul_f32_e32 v150, v151, v134
	v_pk_add_f32 v[218:219], v[218:219], v[152:153] neg_lo:[0,1] neg_hi:[0,1]
	s_delay_alu instid0(VALU_DEP_2) | instskip(NEXT) | instid1(VALU_DEP_1)
	v_pk_fma_f32 v[138:139], v[138:139], v[192:193], v[150:151] op_sel_hi:[1,1,0]
	v_mov_b32_e32 v149, v139
	s_delay_alu instid0(VALU_DEP_1) | instskip(SKIP_3) | instid1(VALU_DEP_1)
	v_pk_add_f32 v[212:213], v[212:213], v[148:149] neg_lo:[0,1] neg_hi:[0,1]
	ds_load_2addr_b64 v[148:151], v168 offset0:52 offset1:53
	s_wait_dscnt 0x0
	v_pk_mul_f32 v[138:139], v[148:149], v[136:137] op_sel:[0,1]
	v_pk_fma_f32 v[152:153], v[148:149], v[134:135], v[138:139] op_sel:[0,0,1] op_sel_hi:[1,1,0] neg_lo:[0,0,1] neg_hi:[0,0,1]
	v_pk_fma_f32 v[138:139], v[148:149], v[134:135], v[138:139] op_sel:[0,0,1] op_sel_hi:[1,0,0]
	s_delay_alu instid0(VALU_DEP_1) | instskip(SKIP_1) | instid1(VALU_DEP_2)
	v_mov_b32_e32 v153, v139
	v_pk_mul_f32 v[138:139], v[150:151], v[136:137] op_sel:[0,1]
	v_pk_add_f32 v[216:217], v[216:217], v[152:153] neg_lo:[0,1] neg_hi:[0,1]
	s_delay_alu instid0(VALU_DEP_2) | instskip(SKIP_1) | instid1(VALU_DEP_1)
	v_pk_fma_f32 v[148:149], v[150:151], v[134:135], v[138:139] op_sel:[0,0,1] op_sel_hi:[1,1,0] neg_lo:[0,0,1] neg_hi:[0,0,1]
	v_pk_fma_f32 v[138:139], v[150:151], v[134:135], v[138:139] op_sel:[0,0,1] op_sel_hi:[1,0,0]
	v_mov_b32_e32 v149, v139
	s_delay_alu instid0(VALU_DEP_1) | instskip(SKIP_4) | instid1(VALU_DEP_2)
	v_pk_add_f32 v[210:211], v[210:211], v[148:149] neg_lo:[0,1] neg_hi:[0,1]
	ds_load_2addr_b64 v[148:151], v168 offset0:54 offset1:55
	s_wait_dscnt 0x0
	v_pk_mul_f32 v[138:139], v[148:149], v[136:137] op_sel:[0,1]
	v_pk_mul_f32 v[136:137], v[150:151], v[136:137] op_sel:[0,1]
	v_pk_fma_f32 v[152:153], v[148:149], v[134:135], v[138:139] op_sel:[0,0,1] op_sel_hi:[1,1,0] neg_lo:[0,0,1] neg_hi:[0,0,1]
	v_pk_fma_f32 v[138:139], v[148:149], v[134:135], v[138:139] op_sel:[0,0,1] op_sel_hi:[1,0,0]
	s_delay_alu instid0(VALU_DEP_1) | instskip(NEXT) | instid1(VALU_DEP_4)
	v_mov_b32_e32 v153, v139
	v_pk_fma_f32 v[138:139], v[150:151], v[134:135], v[136:137] op_sel:[0,0,1] op_sel_hi:[1,1,0] neg_lo:[0,0,1] neg_hi:[0,0,1]
	v_pk_fma_f32 v[134:135], v[150:151], v[134:135], v[136:137] op_sel:[0,0,1] op_sel_hi:[1,0,0]
	s_delay_alu instid0(VALU_DEP_3) | instskip(NEXT) | instid1(VALU_DEP_2)
	v_pk_add_f32 v[222:223], v[222:223], v[152:153] neg_lo:[0,1] neg_hi:[0,1]
	v_mov_b32_e32 v139, v135
	s_delay_alu instid0(VALU_DEP_1)
	v_pk_add_f32 v[224:225], v[224:225], v[138:139] neg_lo:[0,1] neg_hi:[0,1]
.LBB111_433:
	s_or_b32 exec_lo, exec_lo, s1
	s_delay_alu instid0(SALU_CYCLE_1)
	s_mov_b32 s2, exec_lo
	s_wait_dscnt 0x0
	s_barrier_signal -1
	s_barrier_wait -1
	v_cmpx_eq_u32_e32 48, v166
	s_cbranch_execz .LBB111_440
; %bb.434:
	ds_store_b64 v167, v[220:221]
	ds_store_2addr_b64 v168, v[214:215], v[218:219] offset0:49 offset1:50
	ds_store_2addr_b64 v168, v[212:213], v[216:217] offset0:51 offset1:52
	;; [unrolled: 1-line block ×3, first 2 shown]
	ds_store_b64 v168, v[224:225] offset:440
	ds_load_b64 v[134:135], v167
	s_wait_dscnt 0x0
	v_cmp_neq_f32_e32 vcc_lo, 0, v134
	v_cmp_neq_f32_e64 s1, 0, v135
	s_or_b32 s1, vcc_lo, s1
	s_delay_alu instid0(SALU_CYCLE_1)
	s_and_b32 exec_lo, exec_lo, s1
	s_cbranch_execz .LBB111_440
; %bb.435:
	v_cmp_ngt_f32_e64 s1, |v134|, |v135|
                                        ; implicit-def: $vgpr136_vgpr137
	s_and_saveexec_b32 s4, s1
	s_delay_alu instid0(SALU_CYCLE_1)
	s_xor_b32 s1, exec_lo, s4
	s_cbranch_execz .LBB111_437
; %bb.436:
	v_div_scale_f32 v136, null, v135, v135, v134
	v_div_scale_f32 v139, vcc_lo, v134, v135, v134
	s_delay_alu instid0(VALU_DEP_2) | instskip(SKIP_1) | instid1(TRANS32_DEP_1)
	v_rcp_f32_e32 v137, v136
	v_nop
	v_fma_f32 v138, -v136, v137, 1.0
	s_delay_alu instid0(VALU_DEP_1) | instskip(NEXT) | instid1(VALU_DEP_1)
	v_fmac_f32_e32 v137, v138, v137
	v_mul_f32_e32 v138, v139, v137
	s_delay_alu instid0(VALU_DEP_1) | instskip(NEXT) | instid1(VALU_DEP_1)
	v_fma_f32 v148, -v136, v138, v139
	v_fmac_f32_e32 v138, v148, v137
	s_delay_alu instid0(VALU_DEP_1) | instskip(NEXT) | instid1(VALU_DEP_1)
	v_fma_f32 v136, -v136, v138, v139
	v_div_fmas_f32 v136, v136, v137, v138
	s_delay_alu instid0(VALU_DEP_1) | instskip(NEXT) | instid1(VALU_DEP_1)
	v_div_fixup_f32 v136, v136, v135, v134
	v_fmac_f32_e32 v135, v134, v136
	s_delay_alu instid0(VALU_DEP_1) | instskip(SKIP_1) | instid1(VALU_DEP_2)
	v_div_scale_f32 v134, null, v135, v135, 1.0
	v_div_scale_f32 v139, vcc_lo, 1.0, v135, 1.0
	v_rcp_f32_e32 v137, v134
	v_nop
	s_delay_alu instid0(TRANS32_DEP_1) | instskip(NEXT) | instid1(VALU_DEP_1)
	v_fma_f32 v138, -v134, v137, 1.0
	v_fmac_f32_e32 v137, v138, v137
	s_delay_alu instid0(VALU_DEP_1) | instskip(NEXT) | instid1(VALU_DEP_1)
	v_mul_f32_e32 v138, v139, v137
	v_fma_f32 v148, -v134, v138, v139
	s_delay_alu instid0(VALU_DEP_1) | instskip(NEXT) | instid1(VALU_DEP_1)
	v_fmac_f32_e32 v138, v148, v137
	v_fma_f32 v134, -v134, v138, v139
	s_delay_alu instid0(VALU_DEP_1) | instskip(NEXT) | instid1(VALU_DEP_1)
	v_div_fmas_f32 v134, v134, v137, v138
	v_div_fixup_f32 v134, v134, v135, 1.0
	s_delay_alu instid0(VALU_DEP_1)
	v_mul_f32_e32 v136, v136, v134
	v_xor_b32_e32 v137, 0x80000000, v134
                                        ; implicit-def: $vgpr134_vgpr135
.LBB111_437:
	s_and_not1_saveexec_b32 s1, s1
	s_cbranch_execz .LBB111_439
; %bb.438:
	v_div_scale_f32 v136, null, v134, v134, v135
	v_div_scale_f32 v139, vcc_lo, v135, v134, v135
	s_delay_alu instid0(VALU_DEP_2) | instskip(SKIP_1) | instid1(TRANS32_DEP_1)
	v_rcp_f32_e32 v137, v136
	v_nop
	v_fma_f32 v138, -v136, v137, 1.0
	s_delay_alu instid0(VALU_DEP_1) | instskip(NEXT) | instid1(VALU_DEP_1)
	v_fmac_f32_e32 v137, v138, v137
	v_mul_f32_e32 v138, v139, v137
	s_delay_alu instid0(VALU_DEP_1) | instskip(NEXT) | instid1(VALU_DEP_1)
	v_fma_f32 v148, -v136, v138, v139
	v_fmac_f32_e32 v138, v148, v137
	s_delay_alu instid0(VALU_DEP_1) | instskip(NEXT) | instid1(VALU_DEP_1)
	v_fma_f32 v136, -v136, v138, v139
	v_div_fmas_f32 v136, v136, v137, v138
	s_delay_alu instid0(VALU_DEP_1) | instskip(NEXT) | instid1(VALU_DEP_1)
	v_div_fixup_f32 v137, v136, v134, v135
	v_fmac_f32_e32 v134, v135, v137
	s_delay_alu instid0(VALU_DEP_1) | instskip(NEXT) | instid1(VALU_DEP_1)
	v_div_scale_f32 v135, null, v134, v134, 1.0
	v_rcp_f32_e32 v136, v135
	v_nop
	s_delay_alu instid0(TRANS32_DEP_1) | instskip(NEXT) | instid1(VALU_DEP_1)
	v_fma_f32 v138, -v135, v136, 1.0
	v_fmac_f32_e32 v136, v138, v136
	v_div_scale_f32 v138, vcc_lo, 1.0, v134, 1.0
	s_delay_alu instid0(VALU_DEP_1) | instskip(NEXT) | instid1(VALU_DEP_1)
	v_mul_f32_e32 v139, v138, v136
	v_fma_f32 v148, -v135, v139, v138
	s_delay_alu instid0(VALU_DEP_1) | instskip(NEXT) | instid1(VALU_DEP_1)
	v_fmac_f32_e32 v139, v148, v136
	v_fma_f32 v135, -v135, v139, v138
	s_delay_alu instid0(VALU_DEP_1) | instskip(NEXT) | instid1(VALU_DEP_1)
	v_div_fmas_f32 v135, v135, v136, v139
	v_div_fixup_f32 v136, v135, v134, 1.0
	s_delay_alu instid0(VALU_DEP_1)
	v_mul_f32_e64 v137, v137, -v136
.LBB111_439:
	s_or_b32 exec_lo, exec_lo, s1
	ds_store_b64 v167, v[136:137]
.LBB111_440:
	s_or_b32 exec_lo, exec_lo, s2
	s_wait_dscnt 0x0
	s_barrier_signal -1
	s_barrier_wait -1
	ds_load_b64 v[134:135], v167
	s_mov_b32 s1, exec_lo
	v_cmpx_lt_u32_e32 48, v166
	s_cbranch_execz .LBB111_442
; %bb.441:
	ds_load_2addr_b64 v[148:151], v168 offset0:49 offset1:50
	s_wait_dscnt 0x1
	v_pk_mul_f32 v[138:139], v[134:135], v[220:221] op_sel:[1,1] op_sel_hi:[0,1]
	s_delay_alu instid0(VALU_DEP_1) | instskip(SKIP_1) | instid1(VALU_DEP_1)
	v_pk_fma_f32 v[136:137], v[134:135], v[220:221], v[138:139] op_sel_hi:[1,0,1] neg_lo:[0,0,1] neg_hi:[0,0,1]
	v_pk_fma_f32 v[138:139], v[134:135], v[220:221], v[138:139] op_sel_hi:[1,0,1]
	v_dual_mov_b32 v220, v136 :: v_dual_mov_b32 v221, v139
	s_wait_dscnt 0x0
	s_delay_alu instid0(VALU_DEP_2) | instskip(NEXT) | instid1(VALU_DEP_1)
	v_pk_mul_f32 v[152:153], v[148:149], v[138:139] op_sel:[0,1]
	v_pk_fma_f32 v[154:155], v[148:149], v[136:137], v[152:153] op_sel:[0,0,1] op_sel_hi:[1,1,0] neg_lo:[0,0,1] neg_hi:[0,0,1]
	v_pk_fma_f32 v[148:149], v[148:149], v[136:137], v[152:153] op_sel:[0,0,1] op_sel_hi:[1,0,0]
	s_delay_alu instid0(VALU_DEP_1) | instskip(SKIP_1) | instid1(VALU_DEP_1)
	v_mov_b32_e32 v155, v149
	v_pk_mul_f32 v[148:149], v[150:151], v[138:139] op_sel:[0,1]
	v_pk_fma_f32 v[152:153], v[150:151], v[136:137], v[148:149] op_sel:[0,0,1] op_sel_hi:[1,1,0] neg_lo:[0,0,1] neg_hi:[0,0,1]
	v_pk_fma_f32 v[148:149], v[150:151], v[136:137], v[148:149] op_sel:[0,0,1] op_sel_hi:[1,0,0]
	s_delay_alu instid0(VALU_DEP_1)
	v_mov_b32_e32 v153, v149
	ds_load_2addr_b64 v[148:151], v168 offset0:51 offset1:52
	v_pk_add_f32 v[214:215], v[214:215], v[154:155] neg_lo:[0,1] neg_hi:[0,1]
	v_pk_add_f32 v[218:219], v[218:219], v[152:153] neg_lo:[0,1] neg_hi:[0,1]
	s_wait_dscnt 0x0
	v_pk_mul_f32 v[152:153], v[148:149], v[138:139] op_sel:[0,1]
	s_delay_alu instid0(VALU_DEP_1) | instskip(SKIP_2) | instid1(VALU_DEP_2)
	v_pk_fma_f32 v[154:155], v[148:149], v[136:137], v[152:153] op_sel:[0,0,1] op_sel_hi:[1,1,0] neg_lo:[0,0,1] neg_hi:[0,0,1]
	v_pk_fma_f32 v[148:149], v[148:149], v[136:137], v[152:153] op_sel:[0,0,1] op_sel_hi:[1,0,0]
	v_dual_mul_f32 v152, v151, v139 :: v_dual_mov_b32 v148, v151
	v_dual_mov_b32 v155, v149 :: v_dual_mov_b32 v149, v150
	s_delay_alu instid0(VALU_DEP_2) | instskip(SKIP_1) | instid1(VALU_DEP_3)
	v_pk_fma_f32 v[152:153], v[150:151], v[220:221], v[152:153] op_sel_hi:[1,1,0] neg_lo:[0,0,1] neg_hi:[0,0,1]
	v_mul_f32_e32 v150, v151, v136
	v_pk_add_f32 v[212:213], v[212:213], v[154:155] neg_lo:[0,1] neg_hi:[0,1]
	s_delay_alu instid0(VALU_DEP_2) | instskip(NEXT) | instid1(VALU_DEP_1)
	v_pk_fma_f32 v[148:149], v[148:149], v[220:221], v[150:151] op_sel_hi:[1,1,0]
	v_mov_b32_e32 v153, v149
	ds_load_2addr_b64 v[148:151], v168 offset0:53 offset1:54
	v_pk_add_f32 v[216:217], v[216:217], v[152:153] neg_lo:[0,1] neg_hi:[0,1]
	s_wait_dscnt 0x0
	v_pk_mul_f32 v[152:153], v[148:149], v[138:139] op_sel:[0,1]
	s_delay_alu instid0(VALU_DEP_1) | instskip(SKIP_1) | instid1(VALU_DEP_1)
	v_pk_fma_f32 v[154:155], v[148:149], v[136:137], v[152:153] op_sel:[0,0,1] op_sel_hi:[1,1,0] neg_lo:[0,0,1] neg_hi:[0,0,1]
	v_pk_fma_f32 v[148:149], v[148:149], v[136:137], v[152:153] op_sel:[0,0,1] op_sel_hi:[1,0,0]
	v_mov_b32_e32 v155, v149
	v_pk_mul_f32 v[148:149], v[150:151], v[138:139] op_sel:[0,1]
	s_delay_alu instid0(VALU_DEP_1) | instskip(SKIP_1) | instid1(VALU_DEP_1)
	v_pk_fma_f32 v[152:153], v[150:151], v[136:137], v[148:149] op_sel:[0,0,1] op_sel_hi:[1,1,0] neg_lo:[0,0,1] neg_hi:[0,0,1]
	v_pk_fma_f32 v[148:149], v[150:151], v[136:137], v[148:149] op_sel:[0,0,1] op_sel_hi:[1,0,0]
	v_mov_b32_e32 v153, v149
	ds_load_b64 v[148:149], v168 offset:440
	v_pk_add_f32 v[210:211], v[210:211], v[154:155] neg_lo:[0,1] neg_hi:[0,1]
	v_pk_add_f32 v[222:223], v[222:223], v[152:153] neg_lo:[0,1] neg_hi:[0,1]
	s_wait_dscnt 0x0
	v_pk_mul_f32 v[138:139], v[148:149], v[138:139] op_sel:[0,1]
	s_delay_alu instid0(VALU_DEP_1) | instskip(SKIP_1) | instid1(VALU_DEP_1)
	v_pk_fma_f32 v[150:151], v[148:149], v[136:137], v[138:139] op_sel:[0,0,1] op_sel_hi:[1,1,0] neg_lo:[0,0,1] neg_hi:[0,0,1]
	v_pk_fma_f32 v[136:137], v[148:149], v[136:137], v[138:139] op_sel:[0,0,1] op_sel_hi:[1,0,0]
	v_mov_b32_e32 v151, v137
	s_delay_alu instid0(VALU_DEP_1)
	v_pk_add_f32 v[224:225], v[224:225], v[150:151] neg_lo:[0,1] neg_hi:[0,1]
.LBB111_442:
	s_or_b32 exec_lo, exec_lo, s1
	s_delay_alu instid0(SALU_CYCLE_1)
	s_mov_b32 s2, exec_lo
	s_wait_dscnt 0x0
	s_barrier_signal -1
	s_barrier_wait -1
	v_cmpx_eq_u32_e32 49, v166
	s_cbranch_execz .LBB111_449
; %bb.443:
	v_dual_mov_b32 v136, v218 :: v_dual_mov_b32 v137, v219
	v_dual_mov_b32 v138, v212 :: v_dual_mov_b32 v139, v213
	ds_store_b64 v167, v[214:215]
	ds_store_2addr_b64 v168, v[136:137], v[138:139] offset0:50 offset1:51
	v_dual_mov_b32 v136, v216 :: v_dual_mov_b32 v137, v217
	v_dual_mov_b32 v138, v210 :: v_dual_mov_b32 v139, v211
	ds_store_2addr_b64 v168, v[136:137], v[138:139] offset0:52 offset1:53
	v_dual_mov_b32 v136, v222 :: v_dual_mov_b32 v137, v223
	ds_store_2addr_b64 v168, v[136:137], v[224:225] offset0:54 offset1:55
	ds_load_b64 v[136:137], v167
	s_wait_dscnt 0x0
	v_cmp_neq_f32_e32 vcc_lo, 0, v136
	v_cmp_neq_f32_e64 s1, 0, v137
	s_or_b32 s1, vcc_lo, s1
	s_delay_alu instid0(SALU_CYCLE_1)
	s_and_b32 exec_lo, exec_lo, s1
	s_cbranch_execz .LBB111_449
; %bb.444:
	v_cmp_ngt_f32_e64 s1, |v136|, |v137|
                                        ; implicit-def: $vgpr138_vgpr139
	s_and_saveexec_b32 s4, s1
	s_delay_alu instid0(SALU_CYCLE_1)
	s_xor_b32 s1, exec_lo, s4
	s_cbranch_execz .LBB111_446
; %bb.445:
	v_div_scale_f32 v138, null, v137, v137, v136
	v_div_scale_f32 v149, vcc_lo, v136, v137, v136
	s_delay_alu instid0(VALU_DEP_2) | instskip(SKIP_1) | instid1(TRANS32_DEP_1)
	v_rcp_f32_e32 v139, v138
	v_nop
	v_fma_f32 v148, -v138, v139, 1.0
	s_delay_alu instid0(VALU_DEP_1) | instskip(NEXT) | instid1(VALU_DEP_1)
	v_fmac_f32_e32 v139, v148, v139
	v_mul_f32_e32 v148, v149, v139
	s_delay_alu instid0(VALU_DEP_1) | instskip(NEXT) | instid1(VALU_DEP_1)
	v_fma_f32 v150, -v138, v148, v149
	v_fmac_f32_e32 v148, v150, v139
	s_delay_alu instid0(VALU_DEP_1) | instskip(NEXT) | instid1(VALU_DEP_1)
	v_fma_f32 v138, -v138, v148, v149
	v_div_fmas_f32 v138, v138, v139, v148
	s_delay_alu instid0(VALU_DEP_1) | instskip(NEXT) | instid1(VALU_DEP_1)
	v_div_fixup_f32 v138, v138, v137, v136
	v_fmac_f32_e32 v137, v136, v138
	s_delay_alu instid0(VALU_DEP_1) | instskip(SKIP_1) | instid1(VALU_DEP_2)
	v_div_scale_f32 v136, null, v137, v137, 1.0
	v_div_scale_f32 v149, vcc_lo, 1.0, v137, 1.0
	v_rcp_f32_e32 v139, v136
	v_nop
	s_delay_alu instid0(TRANS32_DEP_1) | instskip(NEXT) | instid1(VALU_DEP_1)
	v_fma_f32 v148, -v136, v139, 1.0
	v_fmac_f32_e32 v139, v148, v139
	s_delay_alu instid0(VALU_DEP_1) | instskip(NEXT) | instid1(VALU_DEP_1)
	v_mul_f32_e32 v148, v149, v139
	v_fma_f32 v150, -v136, v148, v149
	s_delay_alu instid0(VALU_DEP_1) | instskip(NEXT) | instid1(VALU_DEP_1)
	v_fmac_f32_e32 v148, v150, v139
	v_fma_f32 v136, -v136, v148, v149
	s_delay_alu instid0(VALU_DEP_1) | instskip(NEXT) | instid1(VALU_DEP_1)
	v_div_fmas_f32 v136, v136, v139, v148
	v_div_fixup_f32 v136, v136, v137, 1.0
	s_delay_alu instid0(VALU_DEP_1)
	v_mul_f32_e32 v138, v138, v136
	v_xor_b32_e32 v139, 0x80000000, v136
                                        ; implicit-def: $vgpr136_vgpr137
.LBB111_446:
	s_and_not1_saveexec_b32 s1, s1
	s_cbranch_execz .LBB111_448
; %bb.447:
	v_div_scale_f32 v138, null, v136, v136, v137
	v_div_scale_f32 v149, vcc_lo, v137, v136, v137
	s_delay_alu instid0(VALU_DEP_2) | instskip(SKIP_1) | instid1(TRANS32_DEP_1)
	v_rcp_f32_e32 v139, v138
	v_nop
	v_fma_f32 v148, -v138, v139, 1.0
	s_delay_alu instid0(VALU_DEP_1) | instskip(NEXT) | instid1(VALU_DEP_1)
	v_fmac_f32_e32 v139, v148, v139
	v_mul_f32_e32 v148, v149, v139
	s_delay_alu instid0(VALU_DEP_1) | instskip(NEXT) | instid1(VALU_DEP_1)
	v_fma_f32 v150, -v138, v148, v149
	v_fmac_f32_e32 v148, v150, v139
	s_delay_alu instid0(VALU_DEP_1) | instskip(NEXT) | instid1(VALU_DEP_1)
	v_fma_f32 v138, -v138, v148, v149
	v_div_fmas_f32 v138, v138, v139, v148
	s_delay_alu instid0(VALU_DEP_1) | instskip(NEXT) | instid1(VALU_DEP_1)
	v_div_fixup_f32 v139, v138, v136, v137
	v_fmac_f32_e32 v136, v137, v139
	s_delay_alu instid0(VALU_DEP_1) | instskip(NEXT) | instid1(VALU_DEP_1)
	v_div_scale_f32 v137, null, v136, v136, 1.0
	v_rcp_f32_e32 v138, v137
	v_nop
	s_delay_alu instid0(TRANS32_DEP_1) | instskip(NEXT) | instid1(VALU_DEP_1)
	v_fma_f32 v148, -v137, v138, 1.0
	v_fmac_f32_e32 v138, v148, v138
	v_div_scale_f32 v148, vcc_lo, 1.0, v136, 1.0
	s_delay_alu instid0(VALU_DEP_1) | instskip(NEXT) | instid1(VALU_DEP_1)
	v_mul_f32_e32 v149, v148, v138
	v_fma_f32 v150, -v137, v149, v148
	s_delay_alu instid0(VALU_DEP_1) | instskip(NEXT) | instid1(VALU_DEP_1)
	v_fmac_f32_e32 v149, v150, v138
	v_fma_f32 v137, -v137, v149, v148
	s_delay_alu instid0(VALU_DEP_1) | instskip(NEXT) | instid1(VALU_DEP_1)
	v_div_fmas_f32 v137, v137, v138, v149
	v_div_fixup_f32 v138, v137, v136, 1.0
	s_delay_alu instid0(VALU_DEP_1)
	v_mul_f32_e64 v139, v139, -v138
.LBB111_448:
	s_or_b32 exec_lo, exec_lo, s1
	ds_store_b64 v167, v[138:139]
.LBB111_449:
	s_or_b32 exec_lo, exec_lo, s2
	s_wait_dscnt 0x0
	s_barrier_signal -1
	s_barrier_wait -1
	ds_load_b64 v[136:137], v167
	s_mov_b32 s1, exec_lo
	v_cmpx_lt_u32_e32 49, v166
	s_cbranch_execz .LBB111_451
; %bb.450:
	ds_load_2addr_b64 v[148:151], v168 offset0:50 offset1:51
	s_wait_dscnt 0x1
	v_pk_mul_f32 v[138:139], v[136:137], v[214:215] op_sel:[1,1] op_sel_hi:[0,1]
	s_delay_alu instid0(VALU_DEP_1) | instskip(SKIP_1) | instid1(VALU_DEP_1)
	v_pk_fma_f32 v[152:153], v[136:137], v[214:215], v[138:139] op_sel_hi:[1,0,1] neg_lo:[0,0,1] neg_hi:[0,0,1]
	v_pk_fma_f32 v[138:139], v[136:137], v[214:215], v[138:139] op_sel_hi:[1,0,1]
	v_dual_mov_b32 v214, v152 :: v_dual_mov_b32 v215, v139
	s_wait_dscnt 0x0
	s_delay_alu instid0(VALU_DEP_2) | instskip(NEXT) | instid1(VALU_DEP_1)
	v_pk_mul_f32 v[154:155], v[148:149], v[138:139] op_sel:[0,1]
	v_pk_fma_f32 v[164:165], v[148:149], v[152:153], v[154:155] op_sel:[0,0,1] op_sel_hi:[1,1,0] neg_lo:[0,0,1] neg_hi:[0,0,1]
	v_pk_fma_f32 v[148:149], v[148:149], v[152:153], v[154:155] op_sel:[0,0,1] op_sel_hi:[1,0,0]
	s_delay_alu instid0(VALU_DEP_1) | instskip(SKIP_1) | instid1(VALU_DEP_1)
	v_mov_b32_e32 v165, v149
	v_pk_mul_f32 v[148:149], v[150:151], v[138:139] op_sel:[0,1]
	v_pk_fma_f32 v[154:155], v[150:151], v[152:153], v[148:149] op_sel:[0,0,1] op_sel_hi:[1,1,0] neg_lo:[0,0,1] neg_hi:[0,0,1]
	v_pk_fma_f32 v[148:149], v[150:151], v[152:153], v[148:149] op_sel:[0,0,1] op_sel_hi:[1,0,0]
	s_delay_alu instid0(VALU_DEP_1)
	v_mov_b32_e32 v155, v149
	ds_load_2addr_b64 v[148:151], v168 offset0:52 offset1:53
	v_pk_add_f32 v[218:219], v[218:219], v[164:165] neg_lo:[0,1] neg_hi:[0,1]
	v_pk_add_f32 v[212:213], v[212:213], v[154:155] neg_lo:[0,1] neg_hi:[0,1]
	s_wait_dscnt 0x0
	v_pk_mul_f32 v[154:155], v[148:149], v[138:139] op_sel:[0,1]
	s_delay_alu instid0(VALU_DEP_1) | instskip(SKIP_2) | instid1(VALU_DEP_2)
	v_pk_fma_f32 v[164:165], v[148:149], v[152:153], v[154:155] op_sel:[0,0,1] op_sel_hi:[1,1,0] neg_lo:[0,0,1] neg_hi:[0,0,1]
	v_pk_fma_f32 v[148:149], v[148:149], v[152:153], v[154:155] op_sel:[0,0,1] op_sel_hi:[1,0,0]
	v_dual_mul_f32 v154, v151, v139 :: v_dual_mov_b32 v148, v151
	v_dual_mov_b32 v165, v149 :: v_dual_mov_b32 v149, v150
	s_delay_alu instid0(VALU_DEP_2) | instskip(SKIP_1) | instid1(VALU_DEP_3)
	v_pk_fma_f32 v[154:155], v[150:151], v[214:215], v[154:155] op_sel_hi:[1,1,0] neg_lo:[0,0,1] neg_hi:[0,0,1]
	v_mul_f32_e32 v150, v151, v152
	v_pk_add_f32 v[216:217], v[216:217], v[164:165] neg_lo:[0,1] neg_hi:[0,1]
	s_delay_alu instid0(VALU_DEP_2) | instskip(NEXT) | instid1(VALU_DEP_1)
	v_pk_fma_f32 v[148:149], v[148:149], v[214:215], v[150:151] op_sel_hi:[1,1,0]
	v_mov_b32_e32 v155, v149
	ds_load_2addr_b64 v[148:151], v168 offset0:54 offset1:55
	v_pk_add_f32 v[210:211], v[210:211], v[154:155] neg_lo:[0,1] neg_hi:[0,1]
	s_wait_dscnt 0x0
	v_pk_mul_f32 v[154:155], v[148:149], v[138:139] op_sel:[0,1]
	v_mul_f32_e32 v138, v151, v139
	s_delay_alu instid0(VALU_DEP_2) | instskip(SKIP_2) | instid1(VALU_DEP_4)
	v_pk_fma_f32 v[164:165], v[148:149], v[152:153], v[154:155] op_sel:[0,0,1] op_sel_hi:[1,1,0] neg_lo:[0,0,1] neg_hi:[0,0,1]
	v_pk_fma_f32 v[148:149], v[148:149], v[152:153], v[154:155] op_sel:[0,0,1] op_sel_hi:[1,0,0]
	v_mov_b32_e32 v148, v151
	v_pk_fma_f32 v[138:139], v[150:151], v[214:215], v[138:139] op_sel_hi:[1,1,0] neg_lo:[0,0,1] neg_hi:[0,0,1]
	s_delay_alu instid0(VALU_DEP_3) | instskip(SKIP_1) | instid1(VALU_DEP_2)
	v_dual_mov_b32 v165, v149 :: v_dual_mov_b32 v149, v150
	v_mul_f32_e32 v150, v151, v152
	v_pk_add_f32 v[222:223], v[222:223], v[164:165] neg_lo:[0,1] neg_hi:[0,1]
	s_delay_alu instid0(VALU_DEP_2) | instskip(NEXT) | instid1(VALU_DEP_1)
	v_pk_fma_f32 v[148:149], v[148:149], v[214:215], v[150:151] op_sel_hi:[1,1,0]
	v_mov_b32_e32 v139, v149
	s_delay_alu instid0(VALU_DEP_1)
	v_pk_add_f32 v[224:225], v[224:225], v[138:139] neg_lo:[0,1] neg_hi:[0,1]
.LBB111_451:
	s_or_b32 exec_lo, exec_lo, s1
	s_delay_alu instid0(SALU_CYCLE_1)
	s_mov_b32 s2, exec_lo
	s_wait_dscnt 0x0
	s_barrier_signal -1
	s_barrier_wait -1
	v_cmpx_eq_u32_e32 50, v166
	s_cbranch_execz .LBB111_458
; %bb.452:
	ds_store_b64 v167, v[218:219]
	ds_store_2addr_b64 v168, v[212:213], v[216:217] offset0:51 offset1:52
	ds_store_2addr_b64 v168, v[210:211], v[222:223] offset0:53 offset1:54
	ds_store_b64 v168, v[224:225] offset:440
	ds_load_b64 v[138:139], v167
	s_wait_dscnt 0x0
	v_cmp_neq_f32_e32 vcc_lo, 0, v138
	v_cmp_neq_f32_e64 s1, 0, v139
	s_or_b32 s1, vcc_lo, s1
	s_delay_alu instid0(SALU_CYCLE_1)
	s_and_b32 exec_lo, exec_lo, s1
	s_cbranch_execz .LBB111_458
; %bb.453:
	v_cmp_ngt_f32_e64 s1, |v138|, |v139|
                                        ; implicit-def: $vgpr148_vgpr149
	s_and_saveexec_b32 s4, s1
	s_delay_alu instid0(SALU_CYCLE_1)
	s_xor_b32 s1, exec_lo, s4
	s_cbranch_execz .LBB111_455
; %bb.454:
	v_div_scale_f32 v148, null, v139, v139, v138
	v_div_scale_f32 v151, vcc_lo, v138, v139, v138
	s_delay_alu instid0(VALU_DEP_2) | instskip(SKIP_1) | instid1(TRANS32_DEP_1)
	v_rcp_f32_e32 v149, v148
	v_nop
	v_fma_f32 v150, -v148, v149, 1.0
	s_delay_alu instid0(VALU_DEP_1) | instskip(NEXT) | instid1(VALU_DEP_1)
	v_fmac_f32_e32 v149, v150, v149
	v_mul_f32_e32 v150, v151, v149
	s_delay_alu instid0(VALU_DEP_1) | instskip(NEXT) | instid1(VALU_DEP_1)
	v_fma_f32 v152, -v148, v150, v151
	v_fmac_f32_e32 v150, v152, v149
	s_delay_alu instid0(VALU_DEP_1) | instskip(NEXT) | instid1(VALU_DEP_1)
	v_fma_f32 v148, -v148, v150, v151
	v_div_fmas_f32 v148, v148, v149, v150
	s_delay_alu instid0(VALU_DEP_1) | instskip(NEXT) | instid1(VALU_DEP_1)
	v_div_fixup_f32 v148, v148, v139, v138
	v_fmac_f32_e32 v139, v138, v148
	s_delay_alu instid0(VALU_DEP_1) | instskip(SKIP_1) | instid1(VALU_DEP_2)
	v_div_scale_f32 v138, null, v139, v139, 1.0
	v_div_scale_f32 v151, vcc_lo, 1.0, v139, 1.0
	v_rcp_f32_e32 v149, v138
	v_nop
	s_delay_alu instid0(TRANS32_DEP_1) | instskip(NEXT) | instid1(VALU_DEP_1)
	v_fma_f32 v150, -v138, v149, 1.0
	v_fmac_f32_e32 v149, v150, v149
	s_delay_alu instid0(VALU_DEP_1) | instskip(NEXT) | instid1(VALU_DEP_1)
	v_mul_f32_e32 v150, v151, v149
	v_fma_f32 v152, -v138, v150, v151
	s_delay_alu instid0(VALU_DEP_1) | instskip(NEXT) | instid1(VALU_DEP_1)
	v_fmac_f32_e32 v150, v152, v149
	v_fma_f32 v138, -v138, v150, v151
	s_delay_alu instid0(VALU_DEP_1) | instskip(NEXT) | instid1(VALU_DEP_1)
	v_div_fmas_f32 v138, v138, v149, v150
	v_div_fixup_f32 v138, v138, v139, 1.0
	s_delay_alu instid0(VALU_DEP_1)
	v_mul_f32_e32 v148, v148, v138
	v_xor_b32_e32 v149, 0x80000000, v138
                                        ; implicit-def: $vgpr138_vgpr139
.LBB111_455:
	s_and_not1_saveexec_b32 s1, s1
	s_cbranch_execz .LBB111_457
; %bb.456:
	v_div_scale_f32 v148, null, v138, v138, v139
	v_div_scale_f32 v151, vcc_lo, v139, v138, v139
	s_delay_alu instid0(VALU_DEP_2) | instskip(SKIP_1) | instid1(TRANS32_DEP_1)
	v_rcp_f32_e32 v149, v148
	v_nop
	v_fma_f32 v150, -v148, v149, 1.0
	s_delay_alu instid0(VALU_DEP_1) | instskip(NEXT) | instid1(VALU_DEP_1)
	v_fmac_f32_e32 v149, v150, v149
	v_mul_f32_e32 v150, v151, v149
	s_delay_alu instid0(VALU_DEP_1) | instskip(NEXT) | instid1(VALU_DEP_1)
	v_fma_f32 v152, -v148, v150, v151
	v_fmac_f32_e32 v150, v152, v149
	s_delay_alu instid0(VALU_DEP_1) | instskip(NEXT) | instid1(VALU_DEP_1)
	v_fma_f32 v148, -v148, v150, v151
	v_div_fmas_f32 v148, v148, v149, v150
	s_delay_alu instid0(VALU_DEP_1) | instskip(NEXT) | instid1(VALU_DEP_1)
	v_div_fixup_f32 v149, v148, v138, v139
	v_fmac_f32_e32 v138, v139, v149
	s_delay_alu instid0(VALU_DEP_1) | instskip(NEXT) | instid1(VALU_DEP_1)
	v_div_scale_f32 v139, null, v138, v138, 1.0
	v_rcp_f32_e32 v148, v139
	v_nop
	s_delay_alu instid0(TRANS32_DEP_1) | instskip(NEXT) | instid1(VALU_DEP_1)
	v_fma_f32 v150, -v139, v148, 1.0
	v_fmac_f32_e32 v148, v150, v148
	v_div_scale_f32 v150, vcc_lo, 1.0, v138, 1.0
	s_delay_alu instid0(VALU_DEP_1) | instskip(NEXT) | instid1(VALU_DEP_1)
	v_mul_f32_e32 v151, v150, v148
	v_fma_f32 v152, -v139, v151, v150
	s_delay_alu instid0(VALU_DEP_1) | instskip(NEXT) | instid1(VALU_DEP_1)
	v_fmac_f32_e32 v151, v152, v148
	v_fma_f32 v139, -v139, v151, v150
	s_delay_alu instid0(VALU_DEP_1) | instskip(NEXT) | instid1(VALU_DEP_1)
	v_div_fmas_f32 v139, v139, v148, v151
	v_div_fixup_f32 v148, v139, v138, 1.0
	s_delay_alu instid0(VALU_DEP_1)
	v_mul_f32_e64 v149, v149, -v148
.LBB111_457:
	s_or_b32 exec_lo, exec_lo, s1
	ds_store_b64 v167, v[148:149]
.LBB111_458:
	s_or_b32 exec_lo, exec_lo, s2
	s_wait_dscnt 0x0
	s_barrier_signal -1
	s_barrier_wait -1
	ds_load_b64 v[138:139], v167
	s_mov_b32 s1, exec_lo
	v_cmpx_lt_u32_e32 50, v166
	s_cbranch_execz .LBB111_460
; %bb.459:
	s_wait_dscnt 0x0
	v_pk_mul_f32 v[148:149], v[138:139], v[218:219] op_sel:[1,1] op_sel_hi:[0,1]
	s_delay_alu instid0(VALU_DEP_1)
	v_pk_fma_f32 v[152:153], v[138:139], v[218:219], v[148:149] op_sel_hi:[1,0,1] neg_lo:[0,0,1] neg_hi:[0,0,1]
	v_pk_fma_f32 v[154:155], v[138:139], v[218:219], v[148:149] op_sel_hi:[1,0,1]
	ds_load_2addr_b64 v[148:151], v168 offset0:51 offset1:52
	v_dual_mov_b32 v218, v152 :: v_dual_mov_b32 v219, v155
	s_wait_dscnt 0x0
	v_pk_mul_f32 v[164:165], v[148:149], v[154:155] op_sel:[0,1]
	s_delay_alu instid0(VALU_DEP_1) | instskip(SKIP_1) | instid1(VALU_DEP_1)
	v_pk_fma_f32 v[180:181], v[148:149], v[152:153], v[164:165] op_sel:[0,0,1] op_sel_hi:[1,1,0] neg_lo:[0,0,1] neg_hi:[0,0,1]
	v_pk_fma_f32 v[148:149], v[148:149], v[152:153], v[164:165] op_sel:[0,0,1] op_sel_hi:[1,0,0]
	v_mov_b32_e32 v181, v149
	v_pk_mul_f32 v[148:149], v[150:151], v[154:155] op_sel:[0,1]
	s_delay_alu instid0(VALU_DEP_1) | instskip(SKIP_1) | instid1(VALU_DEP_1)
	v_pk_fma_f32 v[164:165], v[150:151], v[152:153], v[148:149] op_sel:[0,0,1] op_sel_hi:[1,1,0] neg_lo:[0,0,1] neg_hi:[0,0,1]
	v_pk_fma_f32 v[148:149], v[150:151], v[152:153], v[148:149] op_sel:[0,0,1] op_sel_hi:[1,0,0]
	v_mov_b32_e32 v165, v149
	ds_load_2addr_b64 v[148:151], v168 offset0:53 offset1:54
	v_pk_add_f32 v[212:213], v[212:213], v[180:181] neg_lo:[0,1] neg_hi:[0,1]
	v_pk_add_f32 v[216:217], v[216:217], v[164:165] neg_lo:[0,1] neg_hi:[0,1]
	s_wait_dscnt 0x0
	v_pk_mul_f32 v[164:165], v[148:149], v[154:155] op_sel:[0,1]
	s_delay_alu instid0(VALU_DEP_1) | instskip(SKIP_2) | instid1(VALU_DEP_2)
	v_pk_fma_f32 v[180:181], v[148:149], v[152:153], v[164:165] op_sel:[0,0,1] op_sel_hi:[1,1,0] neg_lo:[0,0,1] neg_hi:[0,0,1]
	v_pk_fma_f32 v[148:149], v[148:149], v[152:153], v[164:165] op_sel:[0,0,1] op_sel_hi:[1,0,0]
	v_dual_mul_f32 v164, v151, v155 :: v_dual_mov_b32 v148, v151
	v_dual_mov_b32 v181, v149 :: v_dual_mov_b32 v149, v150
	s_delay_alu instid0(VALU_DEP_2) | instskip(SKIP_1) | instid1(VALU_DEP_3)
	v_pk_fma_f32 v[164:165], v[150:151], v[218:219], v[164:165] op_sel_hi:[1,1,0] neg_lo:[0,0,1] neg_hi:[0,0,1]
	v_mul_f32_e32 v150, v151, v152
	v_pk_add_f32 v[210:211], v[210:211], v[180:181] neg_lo:[0,1] neg_hi:[0,1]
	s_delay_alu instid0(VALU_DEP_2) | instskip(NEXT) | instid1(VALU_DEP_1)
	v_pk_fma_f32 v[148:149], v[148:149], v[218:219], v[150:151] op_sel_hi:[1,1,0]
	v_mov_b32_e32 v165, v149
	ds_load_b64 v[148:149], v168 offset:440
	v_pk_add_f32 v[222:223], v[222:223], v[164:165] neg_lo:[0,1] neg_hi:[0,1]
	s_wait_dscnt 0x0
	v_pk_mul_f32 v[150:151], v[148:149], v[154:155] op_sel:[0,1]
	s_delay_alu instid0(VALU_DEP_1) | instskip(SKIP_1) | instid1(VALU_DEP_1)
	v_pk_fma_f32 v[154:155], v[148:149], v[152:153], v[150:151] op_sel:[0,0,1] op_sel_hi:[1,1,0] neg_lo:[0,0,1] neg_hi:[0,0,1]
	v_pk_fma_f32 v[148:149], v[148:149], v[152:153], v[150:151] op_sel:[0,0,1] op_sel_hi:[1,0,0]
	v_mov_b32_e32 v155, v149
	s_delay_alu instid0(VALU_DEP_1)
	v_pk_add_f32 v[224:225], v[224:225], v[154:155] neg_lo:[0,1] neg_hi:[0,1]
.LBB111_460:
	s_or_b32 exec_lo, exec_lo, s1
	s_delay_alu instid0(SALU_CYCLE_1)
	s_mov_b32 s2, exec_lo
	s_wait_dscnt 0x0
	s_barrier_signal -1
	s_barrier_wait -1
	v_cmpx_eq_u32_e32 51, v166
	s_cbranch_execz .LBB111_467
; %bb.461:
	v_dual_mov_b32 v148, v216 :: v_dual_mov_b32 v149, v217
	v_dual_mov_b32 v150, v210 :: v_dual_mov_b32 v151, v211
	ds_store_b64 v167, v[212:213]
	ds_store_2addr_b64 v168, v[148:149], v[150:151] offset0:52 offset1:53
	v_dual_mov_b32 v148, v222 :: v_dual_mov_b32 v149, v223
	ds_store_2addr_b64 v168, v[148:149], v[224:225] offset0:54 offset1:55
	ds_load_b64 v[148:149], v167
	s_wait_dscnt 0x0
	v_cmp_neq_f32_e32 vcc_lo, 0, v148
	v_cmp_neq_f32_e64 s1, 0, v149
	s_or_b32 s1, vcc_lo, s1
	s_delay_alu instid0(SALU_CYCLE_1)
	s_and_b32 exec_lo, exec_lo, s1
	s_cbranch_execz .LBB111_467
; %bb.462:
	v_cmp_ngt_f32_e64 s1, |v148|, |v149|
                                        ; implicit-def: $vgpr150_vgpr151
	s_and_saveexec_b32 s4, s1
	s_delay_alu instid0(SALU_CYCLE_1)
	s_xor_b32 s1, exec_lo, s4
	s_cbranch_execz .LBB111_464
; %bb.463:
	v_div_scale_f32 v150, null, v149, v149, v148
	v_div_scale_f32 v153, vcc_lo, v148, v149, v148
	s_delay_alu instid0(VALU_DEP_2) | instskip(SKIP_1) | instid1(TRANS32_DEP_1)
	v_rcp_f32_e32 v151, v150
	v_nop
	v_fma_f32 v152, -v150, v151, 1.0
	s_delay_alu instid0(VALU_DEP_1) | instskip(NEXT) | instid1(VALU_DEP_1)
	v_fmac_f32_e32 v151, v152, v151
	v_mul_f32_e32 v152, v153, v151
	s_delay_alu instid0(VALU_DEP_1) | instskip(NEXT) | instid1(VALU_DEP_1)
	v_fma_f32 v154, -v150, v152, v153
	v_fmac_f32_e32 v152, v154, v151
	s_delay_alu instid0(VALU_DEP_1) | instskip(NEXT) | instid1(VALU_DEP_1)
	v_fma_f32 v150, -v150, v152, v153
	v_div_fmas_f32 v150, v150, v151, v152
	s_delay_alu instid0(VALU_DEP_1) | instskip(NEXT) | instid1(VALU_DEP_1)
	v_div_fixup_f32 v150, v150, v149, v148
	v_fmac_f32_e32 v149, v148, v150
	s_delay_alu instid0(VALU_DEP_1) | instskip(SKIP_1) | instid1(VALU_DEP_2)
	v_div_scale_f32 v148, null, v149, v149, 1.0
	v_div_scale_f32 v153, vcc_lo, 1.0, v149, 1.0
	v_rcp_f32_e32 v151, v148
	v_nop
	s_delay_alu instid0(TRANS32_DEP_1) | instskip(NEXT) | instid1(VALU_DEP_1)
	v_fma_f32 v152, -v148, v151, 1.0
	v_fmac_f32_e32 v151, v152, v151
	s_delay_alu instid0(VALU_DEP_1) | instskip(NEXT) | instid1(VALU_DEP_1)
	v_mul_f32_e32 v152, v153, v151
	v_fma_f32 v154, -v148, v152, v153
	s_delay_alu instid0(VALU_DEP_1) | instskip(NEXT) | instid1(VALU_DEP_1)
	v_fmac_f32_e32 v152, v154, v151
	v_fma_f32 v148, -v148, v152, v153
	s_delay_alu instid0(VALU_DEP_1) | instskip(NEXT) | instid1(VALU_DEP_1)
	v_div_fmas_f32 v148, v148, v151, v152
	v_div_fixup_f32 v148, v148, v149, 1.0
	s_delay_alu instid0(VALU_DEP_1)
	v_mul_f32_e32 v150, v150, v148
	v_xor_b32_e32 v151, 0x80000000, v148
                                        ; implicit-def: $vgpr148_vgpr149
.LBB111_464:
	s_and_not1_saveexec_b32 s1, s1
	s_cbranch_execz .LBB111_466
; %bb.465:
	v_div_scale_f32 v150, null, v148, v148, v149
	v_div_scale_f32 v153, vcc_lo, v149, v148, v149
	s_delay_alu instid0(VALU_DEP_2) | instskip(SKIP_1) | instid1(TRANS32_DEP_1)
	v_rcp_f32_e32 v151, v150
	v_nop
	v_fma_f32 v152, -v150, v151, 1.0
	s_delay_alu instid0(VALU_DEP_1) | instskip(NEXT) | instid1(VALU_DEP_1)
	v_fmac_f32_e32 v151, v152, v151
	v_mul_f32_e32 v152, v153, v151
	s_delay_alu instid0(VALU_DEP_1) | instskip(NEXT) | instid1(VALU_DEP_1)
	v_fma_f32 v154, -v150, v152, v153
	v_fmac_f32_e32 v152, v154, v151
	s_delay_alu instid0(VALU_DEP_1) | instskip(NEXT) | instid1(VALU_DEP_1)
	v_fma_f32 v150, -v150, v152, v153
	v_div_fmas_f32 v150, v150, v151, v152
	s_delay_alu instid0(VALU_DEP_1) | instskip(NEXT) | instid1(VALU_DEP_1)
	v_div_fixup_f32 v151, v150, v148, v149
	v_fmac_f32_e32 v148, v149, v151
	s_delay_alu instid0(VALU_DEP_1) | instskip(NEXT) | instid1(VALU_DEP_1)
	v_div_scale_f32 v149, null, v148, v148, 1.0
	v_rcp_f32_e32 v150, v149
	v_nop
	s_delay_alu instid0(TRANS32_DEP_1) | instskip(NEXT) | instid1(VALU_DEP_1)
	v_fma_f32 v152, -v149, v150, 1.0
	v_fmac_f32_e32 v150, v152, v150
	v_div_scale_f32 v152, vcc_lo, 1.0, v148, 1.0
	s_delay_alu instid0(VALU_DEP_1) | instskip(NEXT) | instid1(VALU_DEP_1)
	v_mul_f32_e32 v153, v152, v150
	v_fma_f32 v154, -v149, v153, v152
	s_delay_alu instid0(VALU_DEP_1) | instskip(NEXT) | instid1(VALU_DEP_1)
	v_fmac_f32_e32 v153, v154, v150
	v_fma_f32 v149, -v149, v153, v152
	s_delay_alu instid0(VALU_DEP_1) | instskip(NEXT) | instid1(VALU_DEP_1)
	v_div_fmas_f32 v149, v149, v150, v153
	v_div_fixup_f32 v150, v149, v148, 1.0
	s_delay_alu instid0(VALU_DEP_1)
	v_mul_f32_e64 v151, v151, -v150
.LBB111_466:
	s_or_b32 exec_lo, exec_lo, s1
	ds_store_b64 v167, v[150:151]
.LBB111_467:
	s_or_b32 exec_lo, exec_lo, s2
	s_wait_dscnt 0x0
	s_barrier_signal -1
	s_barrier_wait -1
	ds_load_b64 v[150:151], v167
	s_mov_b32 s1, exec_lo
	v_cmpx_lt_u32_e32 51, v166
	s_cbranch_execz .LBB111_469
; %bb.468:
	ds_load_2addr_b64 v[152:155], v168 offset0:52 offset1:53
	s_wait_dscnt 0x1
	v_pk_mul_f32 v[148:149], v[150:151], v[212:213] op_sel:[1,1] op_sel_hi:[0,1]
	s_delay_alu instid0(VALU_DEP_1) | instskip(SKIP_1) | instid1(VALU_DEP_1)
	v_pk_fma_f32 v[164:165], v[150:151], v[212:213], v[148:149] op_sel_hi:[1,0,1] neg_lo:[0,0,1] neg_hi:[0,0,1]
	v_pk_fma_f32 v[148:149], v[150:151], v[212:213], v[148:149] op_sel_hi:[1,0,1]
	v_dual_mov_b32 v212, v164 :: v_dual_mov_b32 v213, v149
	s_wait_dscnt 0x0
	s_delay_alu instid0(VALU_DEP_2) | instskip(NEXT) | instid1(VALU_DEP_1)
	v_pk_mul_f32 v[180:181], v[152:153], v[148:149] op_sel:[0,1]
	v_pk_fma_f32 v[182:183], v[152:153], v[164:165], v[180:181] op_sel:[0,0,1] op_sel_hi:[1,1,0] neg_lo:[0,0,1] neg_hi:[0,0,1]
	v_pk_fma_f32 v[152:153], v[152:153], v[164:165], v[180:181] op_sel:[0,0,1] op_sel_hi:[1,0,0]
	s_delay_alu instid0(VALU_DEP_1) | instskip(SKIP_1) | instid1(VALU_DEP_1)
	v_mov_b32_e32 v183, v153
	v_pk_mul_f32 v[152:153], v[154:155], v[148:149] op_sel:[0,1]
	v_pk_fma_f32 v[180:181], v[154:155], v[164:165], v[152:153] op_sel:[0,0,1] op_sel_hi:[1,1,0] neg_lo:[0,0,1] neg_hi:[0,0,1]
	v_pk_fma_f32 v[152:153], v[154:155], v[164:165], v[152:153] op_sel:[0,0,1] op_sel_hi:[1,0,0]
	s_delay_alu instid0(VALU_DEP_1)
	v_mov_b32_e32 v181, v153
	ds_load_2addr_b64 v[152:155], v168 offset0:54 offset1:55
	v_pk_add_f32 v[216:217], v[216:217], v[182:183] neg_lo:[0,1] neg_hi:[0,1]
	v_pk_add_f32 v[210:211], v[210:211], v[180:181] neg_lo:[0,1] neg_hi:[0,1]
	s_wait_dscnt 0x0
	v_pk_mul_f32 v[180:181], v[152:153], v[148:149] op_sel:[0,1]
	s_delay_alu instid0(VALU_DEP_1) | instskip(SKIP_1) | instid1(VALU_DEP_1)
	v_pk_fma_f32 v[182:183], v[152:153], v[164:165], v[180:181] op_sel:[0,0,1] op_sel_hi:[1,1,0] neg_lo:[0,0,1] neg_hi:[0,0,1]
	v_pk_fma_f32 v[152:153], v[152:153], v[164:165], v[180:181] op_sel:[0,0,1] op_sel_hi:[1,0,0]
	v_dual_mov_b32 v152, v155 :: v_dual_mov_b32 v183, v153
	v_mov_b32_e32 v153, v154
	s_delay_alu instid0(VALU_DEP_2) | instskip(NEXT) | instid1(VALU_DEP_2)
	v_pk_add_f32 v[222:223], v[222:223], v[182:183] neg_lo:[0,1] neg_hi:[0,1]
	v_pk_mul_f32 v[148:149], v[152:153], v[148:149] op_sel:[0,1]
	s_delay_alu instid0(VALU_DEP_1) | instskip(SKIP_1) | instid1(VALU_DEP_1)
	v_pk_fma_f32 v[152:153], v[154:155], v[164:165], v[148:149] neg_lo:[0,0,1] neg_hi:[0,0,1]
	v_pk_fma_f32 v[148:149], v[154:155], v[164:165], v[148:149] op_sel_hi:[1,0,1]
	v_mov_b32_e32 v153, v149
	s_delay_alu instid0(VALU_DEP_1)
	v_pk_add_f32 v[224:225], v[224:225], v[152:153] neg_lo:[0,1] neg_hi:[0,1]
.LBB111_469:
	s_or_b32 exec_lo, exec_lo, s1
	s_delay_alu instid0(SALU_CYCLE_1)
	s_mov_b32 s2, exec_lo
	s_wait_dscnt 0x0
	s_barrier_signal -1
	s_barrier_wait -1
	v_cmpx_eq_u32_e32 52, v166
	s_cbranch_execz .LBB111_476
; %bb.470:
	ds_store_b64 v167, v[216:217]
	ds_store_2addr_b64 v168, v[210:211], v[222:223] offset0:53 offset1:54
	ds_store_b64 v168, v[224:225] offset:440
	ds_load_b64 v[148:149], v167
	s_wait_dscnt 0x0
	v_cmp_neq_f32_e32 vcc_lo, 0, v148
	v_cmp_neq_f32_e64 s1, 0, v149
	s_or_b32 s1, vcc_lo, s1
	s_delay_alu instid0(SALU_CYCLE_1)
	s_and_b32 exec_lo, exec_lo, s1
	s_cbranch_execz .LBB111_476
; %bb.471:
	v_cmp_ngt_f32_e64 s1, |v148|, |v149|
                                        ; implicit-def: $vgpr152_vgpr153
	s_and_saveexec_b32 s4, s1
	s_delay_alu instid0(SALU_CYCLE_1)
	s_xor_b32 s1, exec_lo, s4
	s_cbranch_execz .LBB111_473
; %bb.472:
	v_div_scale_f32 v152, null, v149, v149, v148
	v_div_scale_f32 v155, vcc_lo, v148, v149, v148
	s_delay_alu instid0(VALU_DEP_2) | instskip(SKIP_1) | instid1(TRANS32_DEP_1)
	v_rcp_f32_e32 v153, v152
	v_nop
	v_fma_f32 v154, -v152, v153, 1.0
	s_delay_alu instid0(VALU_DEP_1) | instskip(NEXT) | instid1(VALU_DEP_1)
	v_fmac_f32_e32 v153, v154, v153
	v_mul_f32_e32 v154, v155, v153
	s_delay_alu instid0(VALU_DEP_1) | instskip(NEXT) | instid1(VALU_DEP_1)
	v_fma_f32 v164, -v152, v154, v155
	v_fmac_f32_e32 v154, v164, v153
	s_delay_alu instid0(VALU_DEP_1) | instskip(NEXT) | instid1(VALU_DEP_1)
	v_fma_f32 v152, -v152, v154, v155
	v_div_fmas_f32 v152, v152, v153, v154
	s_delay_alu instid0(VALU_DEP_1) | instskip(NEXT) | instid1(VALU_DEP_1)
	v_div_fixup_f32 v152, v152, v149, v148
	v_fmac_f32_e32 v149, v148, v152
	s_delay_alu instid0(VALU_DEP_1) | instskip(SKIP_1) | instid1(VALU_DEP_2)
	v_div_scale_f32 v148, null, v149, v149, 1.0
	v_div_scale_f32 v155, vcc_lo, 1.0, v149, 1.0
	v_rcp_f32_e32 v153, v148
	v_nop
	s_delay_alu instid0(TRANS32_DEP_1) | instskip(NEXT) | instid1(VALU_DEP_1)
	v_fma_f32 v154, -v148, v153, 1.0
	v_fmac_f32_e32 v153, v154, v153
	s_delay_alu instid0(VALU_DEP_1) | instskip(NEXT) | instid1(VALU_DEP_1)
	v_mul_f32_e32 v154, v155, v153
	v_fma_f32 v164, -v148, v154, v155
	s_delay_alu instid0(VALU_DEP_1) | instskip(NEXT) | instid1(VALU_DEP_1)
	v_fmac_f32_e32 v154, v164, v153
	v_fma_f32 v148, -v148, v154, v155
	s_delay_alu instid0(VALU_DEP_1) | instskip(NEXT) | instid1(VALU_DEP_1)
	v_div_fmas_f32 v148, v148, v153, v154
	v_div_fixup_f32 v148, v148, v149, 1.0
	s_delay_alu instid0(VALU_DEP_1)
	v_mul_f32_e32 v152, v152, v148
	v_xor_b32_e32 v153, 0x80000000, v148
                                        ; implicit-def: $vgpr148_vgpr149
.LBB111_473:
	s_and_not1_saveexec_b32 s1, s1
	s_cbranch_execz .LBB111_475
; %bb.474:
	v_div_scale_f32 v152, null, v148, v148, v149
	v_div_scale_f32 v155, vcc_lo, v149, v148, v149
	s_delay_alu instid0(VALU_DEP_2) | instskip(SKIP_1) | instid1(TRANS32_DEP_1)
	v_rcp_f32_e32 v153, v152
	v_nop
	v_fma_f32 v154, -v152, v153, 1.0
	s_delay_alu instid0(VALU_DEP_1) | instskip(NEXT) | instid1(VALU_DEP_1)
	v_fmac_f32_e32 v153, v154, v153
	v_mul_f32_e32 v154, v155, v153
	s_delay_alu instid0(VALU_DEP_1) | instskip(NEXT) | instid1(VALU_DEP_1)
	v_fma_f32 v164, -v152, v154, v155
	v_fmac_f32_e32 v154, v164, v153
	s_delay_alu instid0(VALU_DEP_1) | instskip(NEXT) | instid1(VALU_DEP_1)
	v_fma_f32 v152, -v152, v154, v155
	v_div_fmas_f32 v152, v152, v153, v154
	s_delay_alu instid0(VALU_DEP_1) | instskip(NEXT) | instid1(VALU_DEP_1)
	v_div_fixup_f32 v153, v152, v148, v149
	v_fmac_f32_e32 v148, v149, v153
	s_delay_alu instid0(VALU_DEP_1) | instskip(NEXT) | instid1(VALU_DEP_1)
	v_div_scale_f32 v149, null, v148, v148, 1.0
	v_rcp_f32_e32 v152, v149
	v_nop
	s_delay_alu instid0(TRANS32_DEP_1) | instskip(NEXT) | instid1(VALU_DEP_1)
	v_fma_f32 v154, -v149, v152, 1.0
	v_fmac_f32_e32 v152, v154, v152
	v_div_scale_f32 v154, vcc_lo, 1.0, v148, 1.0
	s_delay_alu instid0(VALU_DEP_1) | instskip(NEXT) | instid1(VALU_DEP_1)
	v_mul_f32_e32 v155, v154, v152
	v_fma_f32 v164, -v149, v155, v154
	s_delay_alu instid0(VALU_DEP_1) | instskip(NEXT) | instid1(VALU_DEP_1)
	v_fmac_f32_e32 v155, v164, v152
	v_fma_f32 v149, -v149, v155, v154
	s_delay_alu instid0(VALU_DEP_1) | instskip(NEXT) | instid1(VALU_DEP_1)
	v_div_fmas_f32 v149, v149, v152, v155
	v_div_fixup_f32 v152, v149, v148, 1.0
	s_delay_alu instid0(VALU_DEP_1)
	v_mul_f32_e64 v153, v153, -v152
.LBB111_475:
	s_or_b32 exec_lo, exec_lo, s1
	ds_store_b64 v167, v[152:153]
.LBB111_476:
	s_or_b32 exec_lo, exec_lo, s2
	s_wait_dscnt 0x0
	s_barrier_signal -1
	s_barrier_wait -1
	ds_load_b64 v[152:153], v167
	s_mov_b32 s1, exec_lo
	v_cmpx_lt_u32_e32 52, v166
	s_cbranch_execz .LBB111_478
; %bb.477:
	ds_load_2addr_b64 v[180:183], v168 offset0:53 offset1:54
	s_wait_dscnt 0x1
	v_pk_mul_f32 v[148:149], v[152:153], v[216:217] op_sel:[1,1] op_sel_hi:[0,1]
	s_delay_alu instid0(VALU_DEP_1) | instskip(SKIP_1) | instid1(VALU_DEP_1)
	v_pk_fma_f32 v[154:155], v[152:153], v[216:217], v[148:149] op_sel_hi:[1,0,1] neg_lo:[0,0,1] neg_hi:[0,0,1]
	v_pk_fma_f32 v[148:149], v[152:153], v[216:217], v[148:149] op_sel_hi:[1,0,1]
	v_dual_mov_b32 v216, v154 :: v_dual_mov_b32 v217, v149
	s_wait_dscnt 0x0
	s_delay_alu instid0(VALU_DEP_2) | instskip(NEXT) | instid1(VALU_DEP_1)
	v_pk_mul_f32 v[164:165], v[180:181], v[148:149] op_sel:[0,1]
	v_pk_fma_f32 v[170:171], v[180:181], v[154:155], v[164:165] op_sel:[0,0,1] op_sel_hi:[1,1,0] neg_lo:[0,0,1] neg_hi:[0,0,1]
	v_pk_fma_f32 v[164:165], v[180:181], v[154:155], v[164:165] op_sel:[0,0,1] op_sel_hi:[1,0,0]
	s_delay_alu instid0(VALU_DEP_1) | instskip(SKIP_1) | instid1(VALU_DEP_2)
	v_mov_b32_e32 v171, v165
	v_pk_mul_f32 v[164:165], v[182:183], v[148:149] op_sel:[0,1]
	v_pk_add_f32 v[210:211], v[210:211], v[170:171] neg_lo:[0,1] neg_hi:[0,1]
	s_delay_alu instid0(VALU_DEP_2) | instskip(SKIP_1) | instid1(VALU_DEP_1)
	v_pk_fma_f32 v[170:171], v[182:183], v[154:155], v[164:165] op_sel:[0,0,1] op_sel_hi:[1,1,0] neg_lo:[0,0,1] neg_hi:[0,0,1]
	v_pk_fma_f32 v[164:165], v[182:183], v[154:155], v[164:165] op_sel:[0,0,1] op_sel_hi:[1,0,0]
	v_mov_b32_e32 v171, v165
	ds_load_b64 v[164:165], v168 offset:440
	v_pk_add_f32 v[222:223], v[222:223], v[170:171] neg_lo:[0,1] neg_hi:[0,1]
	s_wait_dscnt 0x0
	v_pk_mul_f32 v[148:149], v[164:165], v[148:149] op_sel:[1,1] op_sel_hi:[0,1]
	s_delay_alu instid0(VALU_DEP_1) | instskip(SKIP_1) | instid1(VALU_DEP_1)
	v_pk_fma_f32 v[170:171], v[164:165], v[154:155], v[148:149] neg_lo:[0,0,1] neg_hi:[0,0,1]
	v_pk_fma_f32 v[148:149], v[164:165], v[154:155], v[148:149] op_sel_hi:[1,0,1]
	v_mov_b32_e32 v171, v149
	s_delay_alu instid0(VALU_DEP_1)
	v_pk_add_f32 v[224:225], v[224:225], v[170:171] neg_lo:[0,1] neg_hi:[0,1]
.LBB111_478:
	s_or_b32 exec_lo, exec_lo, s1
	s_delay_alu instid0(SALU_CYCLE_1)
	s_mov_b32 s2, exec_lo
	s_wait_dscnt 0x0
	s_barrier_signal -1
	s_barrier_wait -1
	v_cmpx_eq_u32_e32 53, v166
	s_cbranch_execz .LBB111_485
; %bb.479:
	v_dual_mov_b32 v148, v222 :: v_dual_mov_b32 v149, v223
	ds_store_b64 v167, v[210:211]
	ds_store_2addr_b64 v168, v[148:149], v[224:225] offset0:54 offset1:55
	ds_load_b64 v[148:149], v167
	s_wait_dscnt 0x0
	v_cmp_neq_f32_e32 vcc_lo, 0, v148
	v_cmp_neq_f32_e64 s1, 0, v149
	s_or_b32 s1, vcc_lo, s1
	s_delay_alu instid0(SALU_CYCLE_1)
	s_and_b32 exec_lo, exec_lo, s1
	s_cbranch_execz .LBB111_485
; %bb.480:
	v_cmp_ngt_f32_e64 s1, |v148|, |v149|
                                        ; implicit-def: $vgpr154_vgpr155
	s_and_saveexec_b32 s4, s1
	s_delay_alu instid0(SALU_CYCLE_1)
	s_xor_b32 s1, exec_lo, s4
	s_cbranch_execz .LBB111_482
; %bb.481:
	v_div_scale_f32 v154, null, v149, v149, v148
	v_div_scale_f32 v165, vcc_lo, v148, v149, v148
	s_delay_alu instid0(VALU_DEP_2) | instskip(SKIP_1) | instid1(TRANS32_DEP_1)
	v_rcp_f32_e32 v155, v154
	v_nop
	v_fma_f32 v164, -v154, v155, 1.0
	s_delay_alu instid0(VALU_DEP_1) | instskip(NEXT) | instid1(VALU_DEP_1)
	v_fmac_f32_e32 v155, v164, v155
	v_mul_f32_e32 v164, v165, v155
	s_delay_alu instid0(VALU_DEP_1) | instskip(NEXT) | instid1(VALU_DEP_1)
	v_fma_f32 v169, -v154, v164, v165
	v_fmac_f32_e32 v164, v169, v155
	s_delay_alu instid0(VALU_DEP_1) | instskip(NEXT) | instid1(VALU_DEP_1)
	v_fma_f32 v154, -v154, v164, v165
	v_div_fmas_f32 v154, v154, v155, v164
	s_delay_alu instid0(VALU_DEP_1) | instskip(NEXT) | instid1(VALU_DEP_1)
	v_div_fixup_f32 v154, v154, v149, v148
	v_fmac_f32_e32 v149, v148, v154
	s_delay_alu instid0(VALU_DEP_1) | instskip(SKIP_1) | instid1(VALU_DEP_2)
	v_div_scale_f32 v148, null, v149, v149, 1.0
	v_div_scale_f32 v165, vcc_lo, 1.0, v149, 1.0
	v_rcp_f32_e32 v155, v148
	v_nop
	s_delay_alu instid0(TRANS32_DEP_1) | instskip(NEXT) | instid1(VALU_DEP_1)
	v_fma_f32 v164, -v148, v155, 1.0
	v_fmac_f32_e32 v155, v164, v155
	s_delay_alu instid0(VALU_DEP_1) | instskip(NEXT) | instid1(VALU_DEP_1)
	v_mul_f32_e32 v164, v165, v155
	v_fma_f32 v169, -v148, v164, v165
	s_delay_alu instid0(VALU_DEP_1) | instskip(NEXT) | instid1(VALU_DEP_1)
	v_fmac_f32_e32 v164, v169, v155
	v_fma_f32 v148, -v148, v164, v165
	s_delay_alu instid0(VALU_DEP_1) | instskip(NEXT) | instid1(VALU_DEP_1)
	v_div_fmas_f32 v148, v148, v155, v164
	v_div_fixup_f32 v148, v148, v149, 1.0
	s_delay_alu instid0(VALU_DEP_1)
	v_mul_f32_e32 v154, v154, v148
	v_xor_b32_e32 v155, 0x80000000, v148
                                        ; implicit-def: $vgpr148_vgpr149
.LBB111_482:
	s_and_not1_saveexec_b32 s1, s1
	s_cbranch_execz .LBB111_484
; %bb.483:
	v_div_scale_f32 v154, null, v148, v148, v149
	v_div_scale_f32 v165, vcc_lo, v149, v148, v149
	s_delay_alu instid0(VALU_DEP_2) | instskip(SKIP_1) | instid1(TRANS32_DEP_1)
	v_rcp_f32_e32 v155, v154
	v_nop
	v_fma_f32 v164, -v154, v155, 1.0
	s_delay_alu instid0(VALU_DEP_1) | instskip(NEXT) | instid1(VALU_DEP_1)
	v_fmac_f32_e32 v155, v164, v155
	v_mul_f32_e32 v164, v165, v155
	s_delay_alu instid0(VALU_DEP_1) | instskip(NEXT) | instid1(VALU_DEP_1)
	v_fma_f32 v169, -v154, v164, v165
	v_fmac_f32_e32 v164, v169, v155
	s_delay_alu instid0(VALU_DEP_1) | instskip(NEXT) | instid1(VALU_DEP_1)
	v_fma_f32 v154, -v154, v164, v165
	v_div_fmas_f32 v154, v154, v155, v164
	s_delay_alu instid0(VALU_DEP_1) | instskip(NEXT) | instid1(VALU_DEP_1)
	v_div_fixup_f32 v155, v154, v148, v149
	v_fmac_f32_e32 v148, v149, v155
	s_delay_alu instid0(VALU_DEP_1) | instskip(NEXT) | instid1(VALU_DEP_1)
	v_div_scale_f32 v149, null, v148, v148, 1.0
	v_rcp_f32_e32 v154, v149
	v_nop
	s_delay_alu instid0(TRANS32_DEP_1) | instskip(NEXT) | instid1(VALU_DEP_1)
	v_fma_f32 v164, -v149, v154, 1.0
	v_fmac_f32_e32 v154, v164, v154
	v_div_scale_f32 v164, vcc_lo, 1.0, v148, 1.0
	s_delay_alu instid0(VALU_DEP_1) | instskip(NEXT) | instid1(VALU_DEP_1)
	v_mul_f32_e32 v165, v164, v154
	v_fma_f32 v169, -v149, v165, v164
	s_delay_alu instid0(VALU_DEP_1) | instskip(NEXT) | instid1(VALU_DEP_1)
	v_fmac_f32_e32 v165, v169, v154
	v_fma_f32 v149, -v149, v165, v164
	s_delay_alu instid0(VALU_DEP_1) | instskip(NEXT) | instid1(VALU_DEP_1)
	v_div_fmas_f32 v149, v149, v154, v165
	v_div_fixup_f32 v154, v149, v148, 1.0
	s_delay_alu instid0(VALU_DEP_1)
	v_mul_f32_e64 v155, v155, -v154
.LBB111_484:
	s_or_b32 exec_lo, exec_lo, s1
	ds_store_b64 v167, v[154:155]
.LBB111_485:
	s_or_b32 exec_lo, exec_lo, s2
	s_wait_dscnt 0x0
	s_barrier_signal -1
	s_barrier_wait -1
	ds_load_b64 v[154:155], v167
	s_mov_b32 s1, exec_lo
	v_cmpx_lt_u32_e32 53, v166
	s_cbranch_execz .LBB111_487
; %bb.486:
	ds_load_2addr_b64 v[180:183], v168 offset0:54 offset1:55
	s_wait_dscnt 0x1
	v_pk_mul_f32 v[148:149], v[154:155], v[210:211] op_sel:[1,1] op_sel_hi:[0,1]
	v_mov_b64_e32 v[0:1], v[254:255]
	v_mov_b64_e32 v[254:255], v[252:253]
	v_mov_b64_e32 v[252:253], v[250:251]
	v_mov_b64_e32 v[250:251], v[248:249]
	v_pk_fma_f32 v[164:165], v[154:155], v[210:211], v[148:149] op_sel_hi:[1,0,1] neg_lo:[0,0,1] neg_hi:[0,0,1]
	v_pk_fma_f32 v[148:149], v[154:155], v[210:211], v[148:149] op_sel_hi:[1,0,1]
	v_mov_b64_e32 v[248:249], v[246:247]
	v_mov_b64_e32 v[246:247], v[244:245]
	;; [unrolled: 1-line block ×12, first 2 shown]
	s_wait_dscnt 0x0
	v_pk_mul_f32 v[170:171], v[180:181], v[148:149] op_sel:[0,1]
	v_mov_b64_e32 v[226:227], v[208:209]
	v_mov_b64_e32 v[208:209], v[206:207]
	;; [unrolled: 1-line block ×9, first 2 shown]
	v_pk_fma_f32 v[184:185], v[180:181], v[164:165], v[170:171] op_sel:[0,0,1] op_sel_hi:[1,1,0] neg_lo:[0,0,1] neg_hi:[0,0,1]
	v_pk_fma_f32 v[170:171], v[180:181], v[164:165], v[170:171] op_sel:[0,0,1] op_sel_hi:[1,0,0]
	v_dual_mov_b32 v170, v183 :: v_dual_mov_b32 v210, v164
	s_delay_alu instid0(VALU_DEP_2) | instskip(SKIP_1) | instid1(VALU_DEP_2)
	v_dual_mov_b32 v211, v149 :: v_dual_mov_b32 v185, v171
	v_mov_b32_e32 v171, v182
	v_pk_add_f32 v[222:223], v[222:223], v[184:185] neg_lo:[0,1] neg_hi:[0,1]
	s_delay_alu instid0(VALU_DEP_2)
	v_pk_mul_f32 v[148:149], v[170:171], v[148:149] op_sel:[0,1]
	v_mov_b64_e32 v[184:185], v[186:187]
	v_mov_b64_e32 v[186:187], v[188:189]
	;; [unrolled: 1-line block ×4, first 2 shown]
	v_pk_fma_f32 v[170:171], v[182:183], v[164:165], v[148:149] neg_lo:[0,0,1] neg_hi:[0,0,1]
	v_pk_fma_f32 v[148:149], v[182:183], v[164:165], v[148:149] op_sel_hi:[1,0,1]
	v_mov_b64_e32 v[200:201], v[202:203]
	v_mov_b64_e32 v[202:203], v[204:205]
	;; [unrolled: 1-line block ×4, first 2 shown]
	v_mov_b32_e32 v171, v149
	v_mov_b64_e32 v[208:209], v[226:227]
	v_mov_b64_e32 v[226:227], v[228:229]
	;; [unrolled: 1-line block ×17, first 2 shown]
	v_pk_add_f32 v[224:225], v[224:225], v[170:171] neg_lo:[0,1] neg_hi:[0,1]
.LBB111_487:
	s_or_b32 exec_lo, exec_lo, s1
	s_delay_alu instid0(SALU_CYCLE_1)
	s_mov_b32 s2, exec_lo
	s_wait_dscnt 0x0
	s_barrier_signal -1
	s_barrier_wait -1
	v_cmpx_eq_u32_e32 54, v166
	s_cbranch_execz .LBB111_494
; %bb.488:
	ds_store_b64 v167, v[222:223]
	ds_store_b64 v168, v[224:225] offset:440
	ds_load_b64 v[148:149], v167
	s_wait_dscnt 0x0
	v_cmp_neq_f32_e32 vcc_lo, 0, v148
	v_cmp_neq_f32_e64 s1, 0, v149
	s_or_b32 s1, vcc_lo, s1
	s_delay_alu instid0(SALU_CYCLE_1)
	s_and_b32 exec_lo, exec_lo, s1
	s_cbranch_execz .LBB111_494
; %bb.489:
	v_cmp_ngt_f32_e64 s1, |v148|, |v149|
                                        ; implicit-def: $vgpr164_vgpr165
	s_and_saveexec_b32 s4, s1
	s_delay_alu instid0(SALU_CYCLE_1)
	s_xor_b32 s1, exec_lo, s4
	s_cbranch_execz .LBB111_491
; %bb.490:
	v_div_scale_f32 v164, null, v149, v149, v148
	v_div_scale_f32 v170, vcc_lo, v148, v149, v148
	s_delay_alu instid0(VALU_DEP_2) | instskip(SKIP_1) | instid1(TRANS32_DEP_1)
	v_rcp_f32_e32 v165, v164
	v_nop
	v_fma_f32 v169, -v164, v165, 1.0
	s_delay_alu instid0(VALU_DEP_1) | instskip(NEXT) | instid1(VALU_DEP_1)
	v_fmac_f32_e32 v165, v169, v165
	v_mul_f32_e32 v169, v170, v165
	s_delay_alu instid0(VALU_DEP_1) | instskip(NEXT) | instid1(VALU_DEP_1)
	v_fma_f32 v171, -v164, v169, v170
	v_fmac_f32_e32 v169, v171, v165
	s_delay_alu instid0(VALU_DEP_1) | instskip(NEXT) | instid1(VALU_DEP_1)
	v_fma_f32 v164, -v164, v169, v170
	v_div_fmas_f32 v164, v164, v165, v169
	s_delay_alu instid0(VALU_DEP_1) | instskip(NEXT) | instid1(VALU_DEP_1)
	v_div_fixup_f32 v164, v164, v149, v148
	v_fmac_f32_e32 v149, v148, v164
	s_delay_alu instid0(VALU_DEP_1) | instskip(SKIP_1) | instid1(VALU_DEP_2)
	v_div_scale_f32 v148, null, v149, v149, 1.0
	v_div_scale_f32 v170, vcc_lo, 1.0, v149, 1.0
	v_rcp_f32_e32 v165, v148
	v_nop
	s_delay_alu instid0(TRANS32_DEP_1) | instskip(NEXT) | instid1(VALU_DEP_1)
	v_fma_f32 v169, -v148, v165, 1.0
	v_fmac_f32_e32 v165, v169, v165
	s_delay_alu instid0(VALU_DEP_1) | instskip(NEXT) | instid1(VALU_DEP_1)
	v_mul_f32_e32 v169, v170, v165
	v_fma_f32 v171, -v148, v169, v170
	s_delay_alu instid0(VALU_DEP_1) | instskip(NEXT) | instid1(VALU_DEP_1)
	v_fmac_f32_e32 v169, v171, v165
	v_fma_f32 v148, -v148, v169, v170
	s_delay_alu instid0(VALU_DEP_1) | instskip(NEXT) | instid1(VALU_DEP_1)
	v_div_fmas_f32 v148, v148, v165, v169
	v_div_fixup_f32 v148, v148, v149, 1.0
	s_delay_alu instid0(VALU_DEP_1)
	v_mul_f32_e32 v164, v164, v148
	v_xor_b32_e32 v165, 0x80000000, v148
                                        ; implicit-def: $vgpr148_vgpr149
.LBB111_491:
	s_and_not1_saveexec_b32 s1, s1
	s_cbranch_execz .LBB111_493
; %bb.492:
	v_div_scale_f32 v164, null, v148, v148, v149
	v_div_scale_f32 v170, vcc_lo, v149, v148, v149
	s_delay_alu instid0(VALU_DEP_2) | instskip(SKIP_1) | instid1(TRANS32_DEP_1)
	v_rcp_f32_e32 v165, v164
	v_nop
	v_fma_f32 v169, -v164, v165, 1.0
	s_delay_alu instid0(VALU_DEP_1) | instskip(NEXT) | instid1(VALU_DEP_1)
	v_fmac_f32_e32 v165, v169, v165
	v_mul_f32_e32 v169, v170, v165
	s_delay_alu instid0(VALU_DEP_1) | instskip(NEXT) | instid1(VALU_DEP_1)
	v_fma_f32 v171, -v164, v169, v170
	v_fmac_f32_e32 v169, v171, v165
	s_delay_alu instid0(VALU_DEP_1) | instskip(NEXT) | instid1(VALU_DEP_1)
	v_fma_f32 v164, -v164, v169, v170
	v_div_fmas_f32 v164, v164, v165, v169
	s_delay_alu instid0(VALU_DEP_1) | instskip(NEXT) | instid1(VALU_DEP_1)
	v_div_fixup_f32 v165, v164, v148, v149
	v_fmac_f32_e32 v148, v149, v165
	s_delay_alu instid0(VALU_DEP_1) | instskip(NEXT) | instid1(VALU_DEP_1)
	v_div_scale_f32 v149, null, v148, v148, 1.0
	v_rcp_f32_e32 v164, v149
	v_nop
	s_delay_alu instid0(TRANS32_DEP_1) | instskip(NEXT) | instid1(VALU_DEP_1)
	v_fma_f32 v169, -v149, v164, 1.0
	v_fmac_f32_e32 v164, v169, v164
	v_div_scale_f32 v169, vcc_lo, 1.0, v148, 1.0
	s_delay_alu instid0(VALU_DEP_1) | instskip(NEXT) | instid1(VALU_DEP_1)
	v_mul_f32_e32 v170, v169, v164
	v_fma_f32 v171, -v149, v170, v169
	s_delay_alu instid0(VALU_DEP_1) | instskip(NEXT) | instid1(VALU_DEP_1)
	v_fmac_f32_e32 v170, v171, v164
	v_fma_f32 v149, -v149, v170, v169
	s_delay_alu instid0(VALU_DEP_1) | instskip(NEXT) | instid1(VALU_DEP_1)
	v_div_fmas_f32 v149, v149, v164, v170
	v_div_fixup_f32 v164, v149, v148, 1.0
	s_delay_alu instid0(VALU_DEP_1)
	v_mul_f32_e64 v165, v165, -v164
.LBB111_493:
	s_or_b32 exec_lo, exec_lo, s1
	ds_store_b64 v167, v[164:165]
.LBB111_494:
	s_or_b32 exec_lo, exec_lo, s2
	s_wait_dscnt 0x0
	s_barrier_signal -1
	s_barrier_wait -1
	ds_load_b64 v[164:165], v167
	s_mov_b32 s1, exec_lo
	v_cmpx_lt_u32_e32 54, v166
	s_cbranch_execz .LBB111_496
; %bb.495:
	ds_load_b64 v[148:149], v168 offset:440
	s_wait_dscnt 0x1
	v_pk_mul_f32 v[168:169], v[164:165], v[222:223] op_sel:[1,1] op_sel_hi:[0,1]
	s_delay_alu instid0(VALU_DEP_1) | instskip(SKIP_2) | instid1(VALU_DEP_2)
	v_pk_fma_f32 v[170:171], v[164:165], v[222:223], v[168:169] op_sel_hi:[1,0,1]
	v_pk_fma_f32 v[222:223], v[164:165], v[222:223], v[168:169] op_sel_hi:[1,0,1] neg_lo:[0,0,1] neg_hi:[0,0,1]
	s_wait_dscnt 0x0
	v_pk_mul_f32 v[168:169], v[148:149], v[170:171] op_sel:[1,1] op_sel_hi:[0,1]
	s_delay_alu instid0(VALU_DEP_1) | instskip(SKIP_1) | instid1(VALU_DEP_2)
	v_pk_fma_f32 v[180:181], v[148:149], v[222:223], v[168:169] op_sel_hi:[1,0,1]
	v_pk_fma_f32 v[148:149], v[148:149], v[222:223], v[168:169] neg_lo:[0,0,1] neg_hi:[0,0,1]
	v_dual_mov_b32 v223, v171 :: v_dual_mov_b32 v149, v181
	s_delay_alu instid0(VALU_DEP_1)
	v_pk_add_f32 v[224:225], v[224:225], v[148:149] neg_lo:[0,1] neg_hi:[0,1]
.LBB111_496:
	s_or_b32 exec_lo, exec_lo, s1
	s_delay_alu instid0(SALU_CYCLE_1)
	s_mov_b32 s2, exec_lo
	s_wait_dscnt 0x0
	s_barrier_signal -1
	s_barrier_wait -1
	v_cmpx_eq_u32_e32 55, v166
	s_cbranch_execz .LBB111_503
; %bb.497:
	v_cmp_neq_f32_e32 vcc_lo, 0, v224
	v_cmp_neq_f32_e64 s1, 0, v225
	ds_store_b64 v167, v[224:225]
	s_or_b32 s1, vcc_lo, s1
	s_delay_alu instid0(SALU_CYCLE_1)
	s_and_b32 exec_lo, exec_lo, s1
	s_cbranch_execz .LBB111_503
; %bb.498:
	v_cmp_ngt_f32_e64 s1, |v224|, |v225|
                                        ; implicit-def: $vgpr148_vgpr149
	s_and_saveexec_b32 s4, s1
	s_delay_alu instid0(SALU_CYCLE_1)
	s_xor_b32 s1, exec_lo, s4
	s_cbranch_execz .LBB111_500
; %bb.499:
	v_div_scale_f32 v148, null, v225, v225, v224
	v_div_scale_f32 v169, vcc_lo, v224, v225, v224
	s_delay_alu instid0(VALU_DEP_2) | instskip(SKIP_1) | instid1(TRANS32_DEP_1)
	v_rcp_f32_e32 v149, v148
	v_nop
	v_fma_f32 v168, -v148, v149, 1.0
	s_delay_alu instid0(VALU_DEP_1) | instskip(NEXT) | instid1(VALU_DEP_1)
	v_fmac_f32_e32 v149, v168, v149
	v_mul_f32_e32 v168, v169, v149
	s_delay_alu instid0(VALU_DEP_1) | instskip(NEXT) | instid1(VALU_DEP_1)
	v_fma_f32 v170, -v148, v168, v169
	v_fmac_f32_e32 v168, v170, v149
	s_delay_alu instid0(VALU_DEP_1) | instskip(NEXT) | instid1(VALU_DEP_1)
	v_fma_f32 v148, -v148, v168, v169
	v_div_fmas_f32 v148, v148, v149, v168
	s_delay_alu instid0(VALU_DEP_1) | instskip(NEXT) | instid1(VALU_DEP_1)
	v_div_fixup_f32 v148, v148, v225, v224
	v_fma_f32 v149, v224, v148, v225
	s_delay_alu instid0(VALU_DEP_1) | instskip(SKIP_1) | instid1(VALU_DEP_2)
	v_div_scale_f32 v168, null, v149, v149, 1.0
	v_div_scale_f32 v171, vcc_lo, 1.0, v149, 1.0
	v_rcp_f32_e32 v169, v168
	v_nop
	s_delay_alu instid0(TRANS32_DEP_1) | instskip(NEXT) | instid1(VALU_DEP_1)
	v_fma_f32 v170, -v168, v169, 1.0
	v_fmac_f32_e32 v169, v170, v169
	s_delay_alu instid0(VALU_DEP_1) | instskip(NEXT) | instid1(VALU_DEP_1)
	v_mul_f32_e32 v170, v171, v169
	v_fma_f32 v180, -v168, v170, v171
	s_delay_alu instid0(VALU_DEP_1) | instskip(NEXT) | instid1(VALU_DEP_1)
	v_fmac_f32_e32 v170, v180, v169
	v_fma_f32 v168, -v168, v170, v171
	s_delay_alu instid0(VALU_DEP_1) | instskip(NEXT) | instid1(VALU_DEP_1)
	v_div_fmas_f32 v168, v168, v169, v170
	v_div_fixup_f32 v149, v168, v149, 1.0
	s_delay_alu instid0(VALU_DEP_1)
	v_mul_f32_e32 v148, v148, v149
	v_xor_b32_e32 v149, 0x80000000, v149
.LBB111_500:
	s_and_not1_saveexec_b32 s1, s1
	s_cbranch_execz .LBB111_502
; %bb.501:
	v_div_scale_f32 v148, null, v224, v224, v225
	v_div_scale_f32 v169, vcc_lo, v225, v224, v225
	s_delay_alu instid0(VALU_DEP_2) | instskip(SKIP_1) | instid1(TRANS32_DEP_1)
	v_rcp_f32_e32 v149, v148
	v_nop
	v_fma_f32 v168, -v148, v149, 1.0
	s_delay_alu instid0(VALU_DEP_1) | instskip(NEXT) | instid1(VALU_DEP_1)
	v_fmac_f32_e32 v149, v168, v149
	v_mul_f32_e32 v168, v169, v149
	s_delay_alu instid0(VALU_DEP_1) | instskip(NEXT) | instid1(VALU_DEP_1)
	v_fma_f32 v170, -v148, v168, v169
	v_fmac_f32_e32 v168, v170, v149
	s_delay_alu instid0(VALU_DEP_1) | instskip(NEXT) | instid1(VALU_DEP_1)
	v_fma_f32 v148, -v148, v168, v169
	v_div_fmas_f32 v148, v148, v149, v168
	s_delay_alu instid0(VALU_DEP_1) | instskip(NEXT) | instid1(VALU_DEP_1)
	v_div_fixup_f32 v149, v148, v224, v225
	v_fma_f32 v148, v225, v149, v224
	s_delay_alu instid0(VALU_DEP_1) | instskip(NEXT) | instid1(VALU_DEP_1)
	v_div_scale_f32 v168, null, v148, v148, 1.0
	v_rcp_f32_e32 v169, v168
	v_nop
	s_delay_alu instid0(TRANS32_DEP_1) | instskip(NEXT) | instid1(VALU_DEP_1)
	v_fma_f32 v170, -v168, v169, 1.0
	v_fmac_f32_e32 v169, v170, v169
	v_div_scale_f32 v170, vcc_lo, 1.0, v148, 1.0
	s_delay_alu instid0(VALU_DEP_1) | instskip(NEXT) | instid1(VALU_DEP_1)
	v_mul_f32_e32 v171, v170, v169
	v_fma_f32 v180, -v168, v171, v170
	s_delay_alu instid0(VALU_DEP_1) | instskip(NEXT) | instid1(VALU_DEP_1)
	v_fmac_f32_e32 v171, v180, v169
	v_fma_f32 v168, -v168, v171, v170
	s_delay_alu instid0(VALU_DEP_1) | instskip(NEXT) | instid1(VALU_DEP_1)
	v_div_fmas_f32 v168, v168, v169, v171
	v_div_fixup_f32 v148, v168, v148, 1.0
	s_delay_alu instid0(VALU_DEP_1)
	v_mul_f32_e64 v149, v149, -v148
.LBB111_502:
	s_or_b32 exec_lo, exec_lo, s1
	ds_store_b64 v167, v[148:149]
.LBB111_503:
	s_or_b32 exec_lo, exec_lo, s2
	s_wait_dscnt 0x0
	s_barrier_signal -1
	s_barrier_wait -1
	ds_load_b64 v[148:149], v167
	s_wait_dscnt 0x0
	s_barrier_signal -1
	s_barrier_wait -1
	s_and_saveexec_b32 s2, s0
	s_cbranch_execz .LBB111_506
; %bb.504:
	scratch_load_b64 v[0:1], off, off offset:248 th:TH_LOAD_LU ; 8-byte Folded Reload
	s_wait_loadcnt 0x0
	v_cmp_eq_f32_e32 vcc_lo, 0, v0
	v_cmp_eq_f32_e64 s0, 0, v1
	scratch_load_b64 v[0:1], off, off offset:256 th:TH_LOAD_LU ; 8-byte Folded Reload
	s_and_b32 s1, vcc_lo, s0
	s_delay_alu instid0(SALU_CYCLE_1)
	v_cndmask_b32_e64 v167, 0, 1, s1
	s_wait_loadcnt 0x0
	v_cmp_neq_f32_e32 vcc_lo, 0, v0
	v_cmp_neq_f32_e64 s0, 0, v1
	scratch_load_b64 v[0:1], off, off offset:264 th:TH_LOAD_LU ; 8-byte Folded Reload
	s_or_b32 s0, vcc_lo, s0
	s_delay_alu instid0(SALU_CYCLE_1)
	s_or_b32 vcc_lo, s0, s1
	v_cmp_eq_f32_e64 s1, 0, v149
	v_cndmask_b32_e32 v167, 2, v167, vcc_lo
	s_wait_loadcnt 0x0
	v_cmp_eq_f32_e32 vcc_lo, 0, v0
	v_cmp_eq_f32_e64 s0, 0, v1
	scratch_load_b64 v[0:1], off, off offset:272 th:TH_LOAD_LU ; 8-byte Folded Reload
	s_and_b32 s0, vcc_lo, s0
	v_cmp_eq_u32_e32 vcc_lo, 0, v167
	s_and_b32 s0, s0, vcc_lo
	s_delay_alu instid0(SALU_CYCLE_1)
	v_cndmask_b32_e64 v167, v167, 3, s0
	s_wait_loadcnt 0x0
	v_cmp_eq_f32_e32 vcc_lo, 0, v0
	v_cmp_eq_f32_e64 s0, 0, v1
	scratch_load_b64 v[0:1], off, off offset:280 th:TH_LOAD_LU ; 8-byte Folded Reload
	s_and_b32 s0, vcc_lo, s0
	v_cmp_eq_u32_e32 vcc_lo, 0, v167
	s_and_b32 s0, s0, vcc_lo
	s_delay_alu instid0(SALU_CYCLE_1)
	v_cndmask_b32_e64 v167, v167, 4, s0
	;; [unrolled: 9-line block ×13, first 2 shown]
	s_wait_loadcnt 0x0
	v_cmp_eq_f32_e32 vcc_lo, 0, v0
	v_cmp_eq_f32_e64 s0, 0, v1
	s_and_b32 s0, vcc_lo, s0
	v_cmp_eq_u32_e32 vcc_lo, 0, v167
	s_and_b32 s0, s0, vcc_lo
	v_cmp_eq_f32_e32 vcc_lo, 0, v2
	v_cndmask_b32_e64 v0, v167, 16, s0
	v_cmp_eq_f32_e64 s0, 0, v3
	s_and_b32 s0, vcc_lo, s0
	v_cmp_eq_u32_e32 vcc_lo, 0, v0
	s_and_b32 s0, s0, vcc_lo
	v_cmp_eq_f32_e32 vcc_lo, 0, v4
	v_cndmask_b32_e64 v0, v0, 17, s0
	;; [unrolled: 6-line block ×39, first 2 shown]
	v_cmp_eq_f32_e64 s0, 0, v165
	s_and_b32 s0, vcc_lo, s0
	v_cmp_eq_u32_e32 vcc_lo, 0, v0
	s_and_b32 s0, s0, vcc_lo
	s_delay_alu instid0(SALU_CYCLE_1) | instskip(SKIP_1) | instid1(VALU_DEP_2)
	v_cndmask_b32_e64 v0, v0, 55, s0
	v_cmp_eq_f32_e64 s0, 0, v148
	v_cmp_eq_u32_e32 vcc_lo, 0, v0
	s_and_b32 s0, s0, s1
	s_delay_alu instid0(SALU_CYCLE_1) | instskip(NEXT) | instid1(SALU_CYCLE_1)
	s_and_b32 s0, s0, vcc_lo
	v_cndmask_b32_e64 v2, v0, 56, s0
	v_lshl_add_u64 v[0:1], v[90:91], 2, s[6:7]
	s_delay_alu instid0(VALU_DEP_2) | instskip(SKIP_4) | instid1(SALU_CYCLE_1)
	v_cmp_ne_u32_e64 s0, 0, v2
	global_load_b32 v3, v[0:1], off
	s_wait_loadcnt 0x0
	v_cmp_eq_u32_e32 vcc_lo, 0, v3
	s_and_b32 s0, vcc_lo, s0
	s_and_b32 exec_lo, exec_lo, s0
	s_cbranch_execz .LBB111_506
; %bb.505:
	v_add_nc_u32_e32 v2, s3, v2
	global_store_b32 v[0:1], v2, off
.LBB111_506:
	s_wait_xcnt 0x0
	s_or_b32 exec_lo, exec_lo, s2
	v_pk_mul_f32 v[0:1], v[148:149], v[224:225] op_sel:[1,1] op_sel_hi:[0,1]
	v_cmp_lt_u32_e32 vcc_lo, 55, v166
	s_clause 0x18
	global_store_b64 v[16:17], v[54:55], off
	global_store_b64 v[230:231], v[56:57], off
	;; [unrolled: 1-line block ×25, first 2 shown]
	v_pk_fma_f32 v[2:3], v[148:149], v[224:225], v[0:1] op_sel_hi:[1,0,1]
	v_pk_fma_f32 v[0:1], v[148:149], v[224:225], v[0:1] neg_lo:[0,0,1] neg_hi:[0,0,1]
	s_delay_alu instid0(VALU_DEP_1)
	v_dual_cndmask_b32 v1, v225, v3 :: v_dual_cndmask_b32 v0, v224, v0
	scratch_load_b64 v[2:3], off, off th:TH_LOAD_LU ; 8-byte Folded Reload
	s_wait_loadcnt 0x0
	global_store_b64 v[2:3], v[110:111], off
	scratch_load_b64 v[2:3], off, off offset:8 th:TH_LOAD_LU ; 8-byte Folded Reload
	s_wait_loadcnt 0x0
	global_store_b64 v[2:3], v[112:113], off
	scratch_load_b64 v[2:3], off, off offset:16 th:TH_LOAD_LU ; 8-byte Folded Reload
	s_wait_loadcnt 0x0
	global_store_b64 v[2:3], v[108:109], off
	scratch_load_b64 v[2:3], off, off offset:24 th:TH_LOAD_LU ; 8-byte Folded Reload
	s_wait_loadcnt 0x0
	global_store_b64 v[2:3], v[130:131], off
	scratch_load_b64 v[2:3], off, off offset:32 th:TH_LOAD_LU ; 8-byte Folded Reload
	s_wait_loadcnt 0x0
	global_store_b64 v[2:3], v[126:127], off
	scratch_load_b64 v[2:3], off, off offset:40 th:TH_LOAD_LU ; 8-byte Folded Reload
	s_wait_loadcnt 0x0
	global_store_b64 v[2:3], v[128:129], off
	scratch_load_b64 v[2:3], off, off offset:48 th:TH_LOAD_LU ; 8-byte Folded Reload
	s_wait_loadcnt 0x0
	global_store_b64 v[2:3], v[124:125], off
	scratch_load_b64 v[2:3], off, off offset:56 th:TH_LOAD_LU ; 8-byte Folded Reload
	s_wait_loadcnt 0x0
	global_store_b64 v[2:3], v[146:147], off
	scratch_load_b64 v[2:3], off, off offset:64 th:TH_LOAD_LU ; 8-byte Folded Reload
	s_wait_loadcnt 0x0
	global_store_b64 v[2:3], v[142:143], off
	scratch_load_b64 v[2:3], off, off offset:72 th:TH_LOAD_LU ; 8-byte Folded Reload
	s_wait_loadcnt 0x0
	global_store_b64 v[2:3], v[144:145], off
	scratch_load_b64 v[2:3], off, off offset:80 th:TH_LOAD_LU ; 8-byte Folded Reload
	s_wait_loadcnt 0x0
	global_store_b64 v[2:3], v[140:141], off
	scratch_load_b64 v[2:3], off, off offset:88 th:TH_LOAD_LU ; 8-byte Folded Reload
	s_wait_loadcnt 0x0
	global_store_b64 v[2:3], v[162:163], off
	scratch_load_b64 v[2:3], off, off offset:96 th:TH_LOAD_LU ; 8-byte Folded Reload
	s_wait_loadcnt 0x0
	global_store_b64 v[2:3], v[158:159], off
	scratch_load_b64 v[2:3], off, off offset:104 th:TH_LOAD_LU ; 8-byte Folded Reload
	s_wait_loadcnt 0x0
	global_store_b64 v[2:3], v[160:161], off
	scratch_load_b64 v[2:3], off, off offset:112 th:TH_LOAD_LU ; 8-byte Folded Reload
	s_wait_loadcnt 0x0
	global_store_b64 v[2:3], v[156:157], off
	scratch_load_b64 v[2:3], off, off offset:120 th:TH_LOAD_LU ; 8-byte Folded Reload
	s_wait_loadcnt 0x0
	global_store_b64 v[2:3], v[178:179], off
	scratch_load_b64 v[2:3], off, off offset:128 th:TH_LOAD_LU ; 8-byte Folded Reload
	s_wait_loadcnt 0x0
	global_store_b64 v[2:3], v[174:175], off
	scratch_load_b64 v[2:3], off, off offset:136 th:TH_LOAD_LU ; 8-byte Folded Reload
	s_wait_loadcnt 0x0
	global_store_b64 v[2:3], v[176:177], off
	scratch_load_b64 v[2:3], off, off offset:144 th:TH_LOAD_LU ; 8-byte Folded Reload
	s_wait_loadcnt 0x0
	global_store_b64 v[2:3], v[172:173], off
	scratch_load_b64 v[2:3], off, off offset:152 th:TH_LOAD_LU ; 8-byte Folded Reload
	s_wait_loadcnt 0x0
	global_store_b64 v[2:3], v[198:199], off
	scratch_load_b64 v[2:3], off, off offset:160 th:TH_LOAD_LU ; 8-byte Folded Reload
	s_wait_loadcnt 0x0
	global_store_b64 v[2:3], v[194:195], off
	scratch_load_b64 v[2:3], off, off offset:168 th:TH_LOAD_LU ; 8-byte Folded Reload
	s_wait_loadcnt 0x0
	global_store_b64 v[2:3], v[196:197], off
	scratch_load_b64 v[2:3], off, off offset:176 th:TH_LOAD_LU ; 8-byte Folded Reload
	s_wait_loadcnt 0x0
	global_store_b64 v[2:3], v[192:193], off
	scratch_load_b64 v[2:3], off, off offset:184 th:TH_LOAD_LU ; 8-byte Folded Reload
	s_wait_loadcnt 0x0
	global_store_b64 v[2:3], v[220:221], off
	scratch_load_b64 v[2:3], off, off offset:192 th:TH_LOAD_LU ; 8-byte Folded Reload
	s_wait_loadcnt 0x0
	global_store_b64 v[2:3], v[214:215], off
	scratch_load_b64 v[2:3], off, off offset:200 th:TH_LOAD_LU ; 8-byte Folded Reload
	s_wait_loadcnt 0x0
	global_store_b64 v[2:3], v[218:219], off
	scratch_load_b64 v[2:3], off, off offset:216 th:TH_LOAD_LU ; 8-byte Folded Reload
	s_wait_loadcnt 0x0
	global_store_b64 v[2:3], v[212:213], off
	scratch_load_b64 v[2:3], off, off offset:224 th:TH_LOAD_LU ; 8-byte Folded Reload
	s_wait_loadcnt 0x0
	global_store_b64 v[2:3], v[216:217], off
	scratch_load_b64 v[2:3], off, off offset:232 th:TH_LOAD_LU ; 8-byte Folded Reload
	s_wait_loadcnt 0x0
	global_store_b64 v[2:3], v[210:211], off
	scratch_load_b64 v[2:3], off, off offset:240 th:TH_LOAD_LU ; 8-byte Folded Reload
	s_wait_loadcnt 0x0
	global_store_b64 v[2:3], v[222:223], off
	scratch_load_b64 v[2:3], off, off offset:208 th:TH_LOAD_LU ; 8-byte Folded Reload
	s_wait_loadcnt 0x0
	global_store_b64 v[2:3], v[0:1], off
.LBB111_507:
	s_sendmsg sendmsg(MSG_DEALLOC_VGPRS)
	s_endpgm
	.section	.rodata,"a",@progbits
	.p2align	6, 0x0
	.amdhsa_kernel _ZN9rocsolver6v33100L23getf2_npvt_small_kernelILi56E19rocblas_complex_numIfEiiPS3_EEvT1_T3_lS5_lPT2_S5_S5_
		.amdhsa_group_segment_fixed_size 0
		.amdhsa_private_segment_fixed_size 380
		.amdhsa_kernarg_size 312
		.amdhsa_user_sgpr_count 2
		.amdhsa_user_sgpr_dispatch_ptr 0
		.amdhsa_user_sgpr_queue_ptr 0
		.amdhsa_user_sgpr_kernarg_segment_ptr 1
		.amdhsa_user_sgpr_dispatch_id 0
		.amdhsa_user_sgpr_kernarg_preload_length 0
		.amdhsa_user_sgpr_kernarg_preload_offset 0
		.amdhsa_user_sgpr_private_segment_size 0
		.amdhsa_wavefront_size32 1
		.amdhsa_uses_dynamic_stack 0
		.amdhsa_enable_private_segment 1
		.amdhsa_system_sgpr_workgroup_id_x 1
		.amdhsa_system_sgpr_workgroup_id_y 1
		.amdhsa_system_sgpr_workgroup_id_z 0
		.amdhsa_system_sgpr_workgroup_info 0
		.amdhsa_system_vgpr_workitem_id 1
		.amdhsa_next_free_vgpr 256
		.amdhsa_next_free_sgpr 15
		.amdhsa_named_barrier_count 0
		.amdhsa_reserve_vcc 1
		.amdhsa_float_round_mode_32 0
		.amdhsa_float_round_mode_16_64 0
		.amdhsa_float_denorm_mode_32 3
		.amdhsa_float_denorm_mode_16_64 3
		.amdhsa_fp16_overflow 0
		.amdhsa_memory_ordered 1
		.amdhsa_forward_progress 1
		.amdhsa_inst_pref_size 255
		.amdhsa_round_robin_scheduling 0
		.amdhsa_exception_fp_ieee_invalid_op 0
		.amdhsa_exception_fp_denorm_src 0
		.amdhsa_exception_fp_ieee_div_zero 0
		.amdhsa_exception_fp_ieee_overflow 0
		.amdhsa_exception_fp_ieee_underflow 0
		.amdhsa_exception_fp_ieee_inexact 0
		.amdhsa_exception_int_div_zero 0
	.end_amdhsa_kernel
	.section	.text._ZN9rocsolver6v33100L23getf2_npvt_small_kernelILi56E19rocblas_complex_numIfEiiPS3_EEvT1_T3_lS5_lPT2_S5_S5_,"axG",@progbits,_ZN9rocsolver6v33100L23getf2_npvt_small_kernelILi56E19rocblas_complex_numIfEiiPS3_EEvT1_T3_lS5_lPT2_S5_S5_,comdat
.Lfunc_end111:
	.size	_ZN9rocsolver6v33100L23getf2_npvt_small_kernelILi56E19rocblas_complex_numIfEiiPS3_EEvT1_T3_lS5_lPT2_S5_S5_, .Lfunc_end111-_ZN9rocsolver6v33100L23getf2_npvt_small_kernelILi56E19rocblas_complex_numIfEiiPS3_EEvT1_T3_lS5_lPT2_S5_S5_
                                        ; -- End function
	.set _ZN9rocsolver6v33100L23getf2_npvt_small_kernelILi56E19rocblas_complex_numIfEiiPS3_EEvT1_T3_lS5_lPT2_S5_S5_.num_vgpr, 256
	.set _ZN9rocsolver6v33100L23getf2_npvt_small_kernelILi56E19rocblas_complex_numIfEiiPS3_EEvT1_T3_lS5_lPT2_S5_S5_.num_agpr, 0
	.set _ZN9rocsolver6v33100L23getf2_npvt_small_kernelILi56E19rocblas_complex_numIfEiiPS3_EEvT1_T3_lS5_lPT2_S5_S5_.numbered_sgpr, 15
	.set _ZN9rocsolver6v33100L23getf2_npvt_small_kernelILi56E19rocblas_complex_numIfEiiPS3_EEvT1_T3_lS5_lPT2_S5_S5_.num_named_barrier, 0
	.set _ZN9rocsolver6v33100L23getf2_npvt_small_kernelILi56E19rocblas_complex_numIfEiiPS3_EEvT1_T3_lS5_lPT2_S5_S5_.private_seg_size, 380
	.set _ZN9rocsolver6v33100L23getf2_npvt_small_kernelILi56E19rocblas_complex_numIfEiiPS3_EEvT1_T3_lS5_lPT2_S5_S5_.uses_vcc, 1
	.set _ZN9rocsolver6v33100L23getf2_npvt_small_kernelILi56E19rocblas_complex_numIfEiiPS3_EEvT1_T3_lS5_lPT2_S5_S5_.uses_flat_scratch, 1
	.set _ZN9rocsolver6v33100L23getf2_npvt_small_kernelILi56E19rocblas_complex_numIfEiiPS3_EEvT1_T3_lS5_lPT2_S5_S5_.has_dyn_sized_stack, 0
	.set _ZN9rocsolver6v33100L23getf2_npvt_small_kernelILi56E19rocblas_complex_numIfEiiPS3_EEvT1_T3_lS5_lPT2_S5_S5_.has_recursion, 0
	.set _ZN9rocsolver6v33100L23getf2_npvt_small_kernelILi56E19rocblas_complex_numIfEiiPS3_EEvT1_T3_lS5_lPT2_S5_S5_.has_indirect_call, 0
	.section	.AMDGPU.csdata,"",@progbits
; Kernel info:
; codeLenInByte = 129824
; TotalNumSgprs: 17
; NumVgprs: 256
; ScratchSize: 380
; MemoryBound: 0
; FloatMode: 240
; IeeeMode: 1
; LDSByteSize: 0 bytes/workgroup (compile time only)
; SGPRBlocks: 0
; VGPRBlocks: 15
; NumSGPRsForWavesPerEU: 17
; NumVGPRsForWavesPerEU: 256
; NamedBarCnt: 0
; Occupancy: 4
; WaveLimiterHint : 0
; COMPUTE_PGM_RSRC2:SCRATCH_EN: 1
; COMPUTE_PGM_RSRC2:USER_SGPR: 2
; COMPUTE_PGM_RSRC2:TRAP_HANDLER: 0
; COMPUTE_PGM_RSRC2:TGID_X_EN: 1
; COMPUTE_PGM_RSRC2:TGID_Y_EN: 1
; COMPUTE_PGM_RSRC2:TGID_Z_EN: 0
; COMPUTE_PGM_RSRC2:TIDIG_COMP_CNT: 1
	.section	.text._ZN9rocsolver6v33100L18getf2_small_kernelILi57E19rocblas_complex_numIfEiiPS3_EEvT1_T3_lS5_lPS5_llPT2_S5_S5_S7_l,"axG",@progbits,_ZN9rocsolver6v33100L18getf2_small_kernelILi57E19rocblas_complex_numIfEiiPS3_EEvT1_T3_lS5_lPS5_llPT2_S5_S5_S7_l,comdat
	.globl	_ZN9rocsolver6v33100L18getf2_small_kernelILi57E19rocblas_complex_numIfEiiPS3_EEvT1_T3_lS5_lPS5_llPT2_S5_S5_S7_l ; -- Begin function _ZN9rocsolver6v33100L18getf2_small_kernelILi57E19rocblas_complex_numIfEiiPS3_EEvT1_T3_lS5_lPS5_llPT2_S5_S5_S7_l
	.p2align	8
	.type	_ZN9rocsolver6v33100L18getf2_small_kernelILi57E19rocblas_complex_numIfEiiPS3_EEvT1_T3_lS5_lPS5_llPT2_S5_S5_S7_l,@function
_ZN9rocsolver6v33100L18getf2_small_kernelILi57E19rocblas_complex_numIfEiiPS3_EEvT1_T3_lS5_lPS5_llPT2_S5_S5_S7_l: ; @_ZN9rocsolver6v33100L18getf2_small_kernelILi57E19rocblas_complex_numIfEiiPS3_EEvT1_T3_lS5_lPS5_llPT2_S5_S5_S7_l
; %bb.0:
	s_clause 0x1
	s_load_u16 s2, s[0:1], 0x6e
	s_load_b64 s[16:17], s[0:1], 0x48
	s_bfe_u32 s3, ttmp6, 0x40010
	s_bfe_u32 s4, ttmp6, 0x40004
	s_add_co_i32 s3, s3, 1
	s_getreg_b32 s5, hwreg(HW_REG_IB_STS2, 6, 4)
	s_mul_i32 s3, ttmp7, s3
	v_bfe_u32 v122, v0, 10, 10
	s_add_co_i32 s4, s4, s3
	s_cmp_eq_u32 s5, 0
	s_cselect_b32 s3, ttmp7, s4
	s_wait_kmcnt 0x0
	v_mad_u32 v2, s3, s2, v122
	s_mov_b32 s2, exec_lo
	s_delay_alu instid0(VALU_DEP_1)
	v_cmpx_gt_i32_e64 s16, v2
	s_cbranch_execnz .LBB112_1
; %bb.1199:
	s_add_pc_i64 .LBB112_1198-.Lpost_addpc4
.Lpost_addpc4:
.LBB112_1:
	s_load_b128 s[4:7], s[0:1], 0x50
	v_mov_b64_e32 v[4:5], 0
	v_ashrrev_i32_e32 v3, 31, v2
	s_wait_kmcnt 0x0
	s_cmp_eq_u64 s[4:5], 0
	s_cselect_b32 s16, -1, 0
	s_delay_alu instid0(SALU_CYCLE_1)
	s_and_b32 vcc_lo, exec_lo, s16
	s_cbranch_vccnz .LBB112_3
; %bb.2:
	v_mul_u64_e32 v[4:5], s[6:7], v[2:3]
	s_delay_alu instid0(VALU_DEP_1)
	v_lshl_add_u64 v[4:5], v[4:5], 2, s[4:5]
.LBB112_3:
	s_clause 0x2
	s_load_b32 s2, s[0:1], 0x18
	s_load_b128 s[12:15], s[0:1], 0x8
	s_load_b32 s18, s[0:1], 0x0
	v_and_b32_e32 v127, 0x3ff, v0
	s_load_b256 s[4:11], s[0:1], 0x20
	s_delay_alu instid0(VALU_DEP_1) | instskip(SKIP_4) | instid1(VALU_DEP_2)
	v_dual_mov_b32 v121, 0 :: v_dual_lshlrev_b32 v120, 3, v127
	s_wait_kmcnt 0x0
	v_add3_u32 v6, s2, s2, v127
	s_ashr_i32 s3, s2, 31
	v_mul_u64_e32 v[0:1], s[4:5], v[2:3]
	v_add_nc_u32_e32 v8, s2, v6
	s_max_i32 s4, s18, 57
	s_cmp_lt_i32 s18, 2
	s_delay_alu instid0(VALU_DEP_1) | instskip(NEXT) | instid1(VALU_DEP_1)
	v_add_nc_u32_e32 v10, s2, v8
	v_add_nc_u32_e32 v12, s2, v10
	s_delay_alu instid0(VALU_DEP_1) | instskip(NEXT) | instid1(VALU_DEP_1)
	v_add_nc_u32_e32 v14, s2, v12
	v_dual_ashrrev_i32 v9, 31, v8 :: v_dual_add_nc_u32 v16, s2, v14
	s_delay_alu instid0(VALU_DEP_1) | instskip(SKIP_1) | instid1(VALU_DEP_1)
	v_dual_ashrrev_i32 v15, 31, v14 :: v_dual_ashrrev_i32 v17, 31, v16
	v_dual_add_nc_u32 v18, s2, v16 :: v_dual_ashrrev_i32 v11, 31, v10
	v_dual_ashrrev_i32 v13, 31, v12 :: v_dual_add_nc_u32 v20, s2, v18
	v_lshl_add_u64 v[0:1], v[0:1], 3, s[12:13]
	s_delay_alu instid0(VALU_DEP_2) | instskip(NEXT) | instid1(VALU_DEP_2)
	v_add_nc_u32_e32 v22, s2, v20
	v_lshl_add_u64 v[0:1], s[14:15], 3, v[0:1]
	s_delay_alu instid0(VALU_DEP_2) | instskip(NEXT) | instid1(VALU_DEP_2)
	v_add_nc_u32_e32 v24, s2, v22
	v_lshl_add_u64 v[10:11], v[10:11], 3, v[0:1]
	v_add_nc_u64_e32 v[46:47], v[0:1], v[120:121]
	v_lshl_add_u64 v[12:13], v[12:13], 3, v[0:1]
	v_lshl_add_u64 v[14:15], v[14:15], 3, v[0:1]
	v_add_nc_u32_e32 v26, s2, v24
	v_lshl_add_u64 v[16:17], v[16:17], 3, v[0:1]
	s_clause 0x3
	global_load_b64 v[108:109], v[10:11], off
	global_load_b64 v[106:107], v[12:13], off
	;; [unrolled: 1-line block ×4, first 2 shown]
	s_wait_xcnt 0x3
	v_lshl_add_u64 v[10:11], s[2:3], 3, v[46:47]
	v_add_nc_u32_e32 v28, s2, v26
	v_lshl_add_u64 v[8:9], v[8:9], 3, v[0:1]
	v_dual_ashrrev_i32 v21, 31, v20 :: v_dual_ashrrev_i32 v23, 31, v22
	s_delay_alu instid0(VALU_DEP_3) | instskip(SKIP_1) | instid1(VALU_DEP_3)
	v_dual_ashrrev_i32 v27, 31, v26 :: v_dual_add_nc_u32 v30, s2, v28
	v_ashrrev_i32_e32 v25, 31, v24
	v_lshl_add_u64 v[20:21], v[20:21], 3, v[0:1]
	s_wait_xcnt 0x2
	v_lshl_add_u64 v[12:13], v[22:23], 3, v[0:1]
	v_dual_ashrrev_i32 v29, 31, v28 :: v_dual_add_nc_u32 v32, s2, v30
	v_ashrrev_i32_e32 v31, 31, v30
	s_wait_xcnt 0x0
	s_delay_alu instid0(VALU_DEP_2) | instskip(NEXT) | instid1(VALU_DEP_3)
	v_lshl_add_u64 v[16:17], v[28:29], 3, v[0:1]
	v_add_nc_u32_e32 v34, s2, v32
	s_delay_alu instid0(VALU_DEP_1) | instskip(NEXT) | instid1(VALU_DEP_1)
	v_add_nc_u32_e32 v36, s2, v34
	v_dual_add_nc_u32 v38, s2, v36 :: v_dual_ashrrev_i32 v37, 31, v36
	s_delay_alu instid0(VALU_DEP_1) | instskip(SKIP_1) | instid1(VALU_DEP_2)
	v_add_nc_u32_e32 v40, s2, v38
	v_ashrrev_i32_e32 v7, 31, v6
	v_dual_ashrrev_i32 v39, 31, v38 :: v_dual_ashrrev_i32 v41, 31, v40
	v_add_nc_u32_e32 v42, s2, v40
	s_delay_alu instid0(VALU_DEP_3)
	v_lshl_add_u64 v[6:7], v[6:7], 3, v[0:1]
	s_clause 0x3
	global_load_b64 v[112:113], v[6:7], off
	global_load_b64 v[110:111], v[8:9], off
	;; [unrolled: 1-line block ×4, first 2 shown]
	v_add_nc_u32_e32 v44, s2, v42
	v_ashrrev_i32_e32 v19, 31, v18
	s_wait_xcnt 0x3
	v_lshl_add_u64 v[6:7], v[24:25], 3, v[0:1]
	s_wait_xcnt 0x0
	v_lshl_add_u64 v[10:11], v[26:27], 3, v[0:1]
	v_lshl_add_u64 v[24:25], v[38:39], 3, v[0:1]
	v_add_nc_u32_e32 v48, s2, v44
	v_lshl_add_u64 v[18:19], v[18:19], 3, v[0:1]
	s_clause 0x3
	global_load_b64 v[104:105], v[18:19], off
	global_load_b64 v[100:101], v[20:21], off
	;; [unrolled: 1-line block ×4, first 2 shown]
	v_add_nc_u32_e32 v50, s2, v48
	s_wait_xcnt 0x3
	v_lshl_add_u64 v[18:19], v[30:31], 3, v[0:1]
	v_lshl_add_u64 v[26:27], v[40:41], 3, v[0:1]
	v_dual_ashrrev_i32 v43, 31, v42 :: v_dual_ashrrev_i32 v45, 31, v44
	v_dual_add_nc_u32 v52, s2, v50 :: v_dual_ashrrev_i32 v49, 31, v48
	s_delay_alu instid0(VALU_DEP_1) | instskip(NEXT) | instid1(VALU_DEP_2)
	v_add_nc_u32_e32 v14, s2, v52
	v_lshl_add_u64 v[30:31], v[48:49], 3, v[0:1]
	s_delay_alu instid0(VALU_DEP_2) | instskip(SKIP_1) | instid1(VALU_DEP_1)
	v_dual_add_nc_u32 v8, s2, v14 :: v_dual_ashrrev_i32 v15, 31, v14
	s_wait_xcnt 0x0
	v_add_nc_u32_e32 v6, s2, v8
	v_ashrrev_i32_e32 v33, 31, v32
	v_ashrrev_i32_e32 v9, 31, v8
	v_lshl_add_u64 v[14:15], v[14:15], 3, v[0:1]
	s_delay_alu instid0(VALU_DEP_4)
	v_add_nc_u32_e32 v12, s2, v6
	v_ashrrev_i32_e32 v35, 31, v34
	v_lshl_add_u64 v[20:21], v[32:33], 3, v[0:1]
	s_clause 0x3
	global_load_b64 v[96:97], v[10:11], off
	global_load_b64 v[92:93], v[16:17], off
	global_load_b64 v[94:95], v[18:19], off
	global_load_b64 v[90:91], v[20:21], off
	v_add_nc_u32_e32 v22, s2, v12
	s_wait_xcnt 0x2
	v_lshl_add_u64 v[16:17], v[34:35], 3, v[0:1]
	s_wait_xcnt 0x0
	v_lshl_add_u64 v[20:21], v[36:37], 3, v[0:1]
	s_clause 0x3
	global_load_b64 v[84:85], v[16:17], off
	global_load_b64 v[80:81], v[20:21], off
	;; [unrolled: 1-line block ×4, first 2 shown]
	v_add_nc_u32_e32 v10, s2, v22
	s_wait_xcnt 0x2
	v_lshl_add_u64 v[20:21], v[42:43], 3, v[0:1]
	s_wait_xcnt 0x0
	v_lshl_add_u64 v[26:27], v[44:45], 3, v[0:1]
	v_ashrrev_i32_e32 v7, 31, v6
	v_lshl_add_u64 v[8:9], v[8:9], 3, v[0:1]
	v_add_nc_u32_e32 v18, s2, v10
	v_ashrrev_i32_e32 v23, 31, v22
	v_ashrrev_i32_e32 v11, 31, v10
	v_lshl_add_u64 v[6:7], v[6:7], 3, v[0:1]
	s_delay_alu instid0(VALU_DEP_4) | instskip(NEXT) | instid1(VALU_DEP_3)
	v_add_nc_u32_e32 v28, s2, v18
	v_lshl_add_u64 v[10:11], v[10:11], 3, v[0:1]
	s_delay_alu instid0(VALU_DEP_2) | instskip(SKIP_1) | instid1(VALU_DEP_2)
	v_dual_add_nc_u32 v16, s2, v28 :: v_dual_ashrrev_i32 v51, 31, v50
	v_dual_ashrrev_i32 v19, 31, v18 :: v_dual_ashrrev_i32 v29, 31, v28
	v_add_nc_u32_e32 v24, s2, v16
	s_delay_alu instid0(VALU_DEP_3)
	v_lshl_add_u64 v[32:33], v[50:51], 3, v[0:1]
	s_clause 0x3
	global_load_b64 v[76:77], v[20:21], off
	global_load_b64 v[72:73], v[26:27], off
	;; [unrolled: 1-line block ×4, first 2 shown]
	v_ashrrev_i32_e32 v17, 31, v16
	v_add_nc_u32_e32 v34, s2, v24
	v_ashrrev_i32_e32 v53, 31, v52
	v_lshl_add_u64 v[18:19], v[18:19], 3, v[0:1]
	v_ashrrev_i32_e32 v25, 31, v24
	v_lshl_add_u64 v[16:17], v[16:17], 3, v[0:1]
	s_wait_xcnt 0x3
	v_add_nc_u32_e32 v20, s2, v34
	s_wait_xcnt 0x2
	v_lshl_add_u64 v[26:27], v[52:53], 3, v[0:1]
	s_clause 0x3
	global_load_b64 v[68:69], v[26:27], off
	global_load_b64 v[64:65], v[14:15], off
	;; [unrolled: 1-line block ×4, first 2 shown]
	s_wait_xcnt 0x5
	v_add_nc_u32_e32 v30, s2, v20
	v_ashrrev_i32_e32 v13, 31, v12
	s_wait_xcnt 0x2
	v_lshl_add_u64 v[14:15], v[22:23], 3, v[0:1]
	v_ashrrev_i32_e32 v35, 31, v34
	v_add_nc_u32_e32 v32, s2, v30
	s_wait_xcnt 0x1
	v_lshl_add_u64 v[8:9], v[12:13], 3, v[0:1]
	s_clause 0x3
	global_load_b64 v[60:61], v[8:9], off
	global_load_b64 v[56:57], v[14:15], off
	global_load_b64 v[58:59], v[10:11], off
	global_load_b64 v[54:55], v[18:19], off
	s_wait_xcnt 0x4
	v_add_nc_u32_e32 v6, s2, v32
	s_wait_xcnt 0x1
	v_lshl_add_u64 v[10:11], v[28:29], 3, v[0:1]
	v_dual_ashrrev_i32 v31, 31, v30 :: v_dual_ashrrev_i32 v33, 31, v32
	s_wait_xcnt 0x0
	v_lshl_add_u64 v[18:19], v[24:25], 3, v[0:1]
	v_add_nc_u32_e32 v12, s2, v6
	v_lshl_add_u64 v[24:25], v[34:35], 3, v[0:1]
	v_ashrrev_i32_e32 v7, 31, v6
	s_clause 0x3
	global_load_b64 v[52:53], v[10:11], off
	global_load_b64 v[48:49], v[16:17], off
	;; [unrolled: 1-line block ×4, first 2 shown]
	s_wait_xcnt 0x0
	v_lshl_add_u64 v[24:25], v[32:33], 3, v[0:1]
	v_dual_add_nc_u32 v22, s2, v12 :: v_dual_ashrrev_i32 v13, 31, v12
	v_lshl_add_u64 v[6:7], v[6:7], 3, v[0:1]
	s_delay_alu instid0(VALU_DEP_2) | instskip(NEXT) | instid1(VALU_DEP_3)
	v_add_nc_u32_e32 v8, s2, v22
	v_lshl_add_u64 v[12:13], v[12:13], 3, v[0:1]
	s_delay_alu instid0(VALU_DEP_2) | instskip(SKIP_1) | instid1(VALU_DEP_2)
	v_add_nc_u32_e32 v14, s2, v8
	v_ashrrev_i32_e32 v21, 31, v20
	v_dual_ashrrev_i32 v9, 31, v8 :: v_dual_add_nc_u32 v26, s2, v14
	s_delay_alu instid0(VALU_DEP_2)
	v_lshl_add_u64 v[16:17], v[20:21], 3, v[0:1]
	v_lshl_add_u64 v[20:21], v[30:31], 3, v[0:1]
	s_clause 0x3
	global_load_b64 v[44:45], v[16:17], off
	global_load_b64 v[40:41], v[20:21], off
	;; [unrolled: 1-line block ×4, first 2 shown]
	v_add_nc_u32_e32 v10, s2, v26
	v_lshl_add_u64 v[8:9], v[8:9], 3, v[0:1]
	s_delay_alu instid0(VALU_DEP_2) | instskip(NEXT) | instid1(VALU_DEP_1)
	v_add_nc_u32_e32 v18, s2, v10
	v_add_nc_u32_e32 v28, s2, v18
	s_delay_alu instid0(VALU_DEP_1) | instskip(SKIP_2) | instid1(VALU_DEP_2)
	v_dual_ashrrev_i32 v15, 31, v14 :: v_dual_ashrrev_i32 v29, 31, v28
	s_wait_xcnt 0x0
	v_add_nc_u32_e32 v6, s2, v28
	v_lshl_add_u64 v[14:15], v[14:15], 3, v[0:1]
	s_delay_alu instid0(VALU_DEP_2) | instskip(NEXT) | instid1(VALU_DEP_1)
	v_add_nc_u32_e32 v16, s2, v6
	v_dual_ashrrev_i32 v23, 31, v22 :: v_dual_add_nc_u32 v118, s2, v16
	s_delay_alu instid0(VALU_DEP_1)
	v_lshl_add_u64 v[20:21], v[22:23], 3, v[0:1]
	s_clause 0x3
	global_load_b64 v[36:37], v[12:13], off
	global_load_b64 v[32:33], v[20:21], off
	;; [unrolled: 1-line block ×4, first 2 shown]
	s_wait_xcnt 0x1
	v_add_nc_u32_e32 v8, s2, v118
	s_delay_alu instid0(VALU_DEP_1) | instskip(SKIP_3) | instid1(VALU_DEP_3)
	v_dual_ashrrev_i32 v19, 31, v18 :: v_dual_add_nc_u32 v124, s2, v8
	v_ashrrev_i32_e32 v27, 31, v26
	v_dual_ashrrev_i32 v11, 31, v10 :: v_dual_ashrrev_i32 v17, 31, v16
	s_wait_xcnt 0x0
	v_lshl_add_u64 v[14:15], v[18:19], 3, v[0:1]
	v_lshl_add_u64 v[18:19], v[28:29], 3, v[0:1]
	v_add_nc_u32_e32 v28, s2, v124
	v_lshl_add_u64 v[12:13], v[26:27], 3, v[0:1]
	v_lshl_add_u64 v[10:11], v[10:11], 3, v[0:1]
	s_clause 0x3
	global_load_b64 v[26:27], v[12:13], off
	global_load_b64 v[22:23], v[10:11], off
	;; [unrolled: 1-line block ×4, first 2 shown]
	s_wait_xcnt 0x0
	v_dual_add_nc_u32 v18, s2, v28 :: v_dual_ashrrev_i32 v7, 31, v6
	v_ashrrev_i32_e32 v125, 31, v124
	v_ashrrev_i32_e32 v29, 31, v28
	s_delay_alu instid0(VALU_DEP_3) | instskip(SKIP_3) | instid1(VALU_DEP_4)
	v_dual_ashrrev_i32 v9, 31, v8 :: v_dual_add_nc_u32 v128, s2, v18
	v_ashrrev_i32_e32 v119, 31, v118
	v_lshl_add_u64 v[6:7], v[6:7], 3, v[0:1]
	v_lshl_add_u64 v[16:17], v[16:17], 3, v[0:1]
	;; [unrolled: 1-line block ×3, first 2 shown]
	v_add_nc_u32_e32 v132, s2, v128
	v_lshl_add_u64 v[118:119], v[118:119], 3, v[0:1]
	v_dual_ashrrev_i32 v19, 31, v18 :: v_dual_ashrrev_i32 v129, 31, v128
	s_clause 0x3
	global_load_b64 v[14:15], v[6:7], off
	global_load_b64 v[10:11], v[16:17], off
	;; [unrolled: 1-line block ×4, first 2 shown]
	v_ashrrev_i32_e32 v133, 31, v132
	s_wait_xcnt 0x2
	v_lshl_add_u64 v[16:17], v[124:125], 3, v[0:1]
	s_wait_xcnt 0x1
	v_lshl_add_u64 v[118:119], v[28:29], 3, v[0:1]
	v_lshl_add_u64 v[124:125], v[18:19], 3, v[0:1]
	v_lshl_add_u64 v[128:129], v[128:129], 3, v[0:1]
	s_wait_xcnt 0x0
	v_lshl_add_u64 v[130:131], v[132:133], 3, v[0:1]
	s_clause 0x4
	global_load_b64 v[6:7], v[16:17], off
	global_load_b64 v[28:29], v[118:119], off
	; meta instruction
	; meta instruction
	global_load_b64 v[18:19], v[124:125], off
	global_load_b64 v[16:17], v[128:129], off
	; meta instruction
	; meta instruction
	global_load_b64 v[118:119], v[130:131], off
	s_wait_xcnt 0x2
	v_mul_lo_u32 v125, s4, v122
	s_load_b64 s[4:5], s[0:1], 0x40
	s_delay_alu instid0(VALU_DEP_1) | instskip(NEXT) | instid1(VALU_DEP_1)
	v_lshl_add_u32 v124, v125, 3, 0
	v_dual_lshlrev_b32 v125, 3, v125 :: v_dual_add_nc_u32 v120, v124, v120
	s_wait_loadcnt 0x32
	ds_store_b64 v120, v[116:117]
	s_wait_loadcnt_dscnt 0x0
	s_barrier_signal -1
	s_barrier_wait -1
	ds_load_b64 v[122:123], v124
	s_cbranch_scc1 .LBB112_6
; %bb.4:
	v_add3_u32 v120, v125, 0, 8
	v_mov_b32_e32 v121, 0
	s_wait_xcnt 0x0
	s_mov_b32 s1, 1
.LBB112_5:                              ; =>This Inner Loop Header: Depth=1
	ds_load_b64 v[128:129], v120
	s_wait_dscnt 0x1
	v_cmp_gt_f32_e32 vcc_lo, 0, v122
	v_cmp_gt_f32_e64 s0, 0, v123
	s_delay_alu instid0(VALU_DEP_1) | instskip(SKIP_3) | instid1(VALU_DEP_1)
	v_dual_cndmask_b32 v130, v122, -v122, vcc_lo :: v_dual_cndmask_b32 v132, v123, -v123, s0
	s_wait_dscnt 0x0
	v_cmp_gt_f32_e32 vcc_lo, 0, v128
	v_cmp_gt_f32_e64 s0, 0, v129
	v_dual_cndmask_b32 v131, v128, -v128, vcc_lo :: v_dual_cndmask_b32 v133, v129, -v129, s0
	s_delay_alu instid0(VALU_DEP_1) | instskip(NEXT) | instid1(VALU_DEP_1)
	v_pk_add_f32 v[130:131], v[130:131], v[132:133]
	v_cmp_lt_f32_e32 vcc_lo, v130, v131
	v_dual_cndmask_b32 v123, v123, v129 :: v_dual_add_nc_u32 v120, 8, v120
	v_cndmask_b32_e32 v122, v122, v128, vcc_lo
	v_cndmask_b32_e64 v121, v121, s1, vcc_lo
	s_add_co_i32 s1, s1, 1
	s_delay_alu instid0(SALU_CYCLE_1)
	s_cmp_eq_u32 s18, s1
	s_cbranch_scc0 .LBB112_5
.LBB112_6:
	s_wait_dscnt 0x0
	v_cmp_neq_f32_e32 vcc_lo, 0, v122
	s_wait_xcnt 0x0
	v_cmp_neq_f32_e64 s0, 0, v123
	v_dual_mov_b32 v126, 1 :: v_dual_mov_b32 v129, 1
	s_or_b32 s1, vcc_lo, s0
	s_delay_alu instid0(SALU_CYCLE_1)
	s_and_saveexec_b32 s0, s1
	s_cbranch_execz .LBB112_12
; %bb.7:
	v_cmp_ngt_f32_e64 s1, |v122|, |v123|
	s_and_saveexec_b32 s12, s1
	s_delay_alu instid0(SALU_CYCLE_1)
	s_xor_b32 s1, exec_lo, s12
	s_cbranch_execz .LBB112_9
; %bb.8:
	v_div_scale_f32 v120, null, v123, v123, v122
	v_div_scale_f32 v129, vcc_lo, v122, v123, v122
	s_delay_alu instid0(VALU_DEP_2) | instskip(SKIP_1) | instid1(TRANS32_DEP_1)
	v_rcp_f32_e32 v126, v120
	v_nop
	v_fma_f32 v128, -v120, v126, 1.0
	s_delay_alu instid0(VALU_DEP_1) | instskip(NEXT) | instid1(VALU_DEP_1)
	v_fmac_f32_e32 v126, v128, v126
	v_mul_f32_e32 v128, v129, v126
	s_delay_alu instid0(VALU_DEP_1) | instskip(NEXT) | instid1(VALU_DEP_1)
	v_fma_f32 v130, -v120, v128, v129
	v_fmac_f32_e32 v128, v130, v126
	s_delay_alu instid0(VALU_DEP_1) | instskip(NEXT) | instid1(VALU_DEP_1)
	v_fma_f32 v120, -v120, v128, v129
	v_div_fmas_f32 v120, v120, v126, v128
	s_delay_alu instid0(VALU_DEP_1) | instskip(NEXT) | instid1(VALU_DEP_1)
	v_div_fixup_f32 v120, v120, v123, v122
	v_fmac_f32_e32 v123, v122, v120
	s_delay_alu instid0(VALU_DEP_1) | instskip(SKIP_1) | instid1(VALU_DEP_2)
	v_div_scale_f32 v122, null, v123, v123, 1.0
	v_div_scale_f32 v129, vcc_lo, 1.0, v123, 1.0
	v_rcp_f32_e32 v126, v122
	v_nop
	s_delay_alu instid0(TRANS32_DEP_1) | instskip(NEXT) | instid1(VALU_DEP_1)
	v_fma_f32 v128, -v122, v126, 1.0
	v_fmac_f32_e32 v126, v128, v126
	s_delay_alu instid0(VALU_DEP_1) | instskip(NEXT) | instid1(VALU_DEP_1)
	v_mul_f32_e32 v128, v129, v126
	v_fma_f32 v130, -v122, v128, v129
	s_delay_alu instid0(VALU_DEP_1) | instskip(NEXT) | instid1(VALU_DEP_1)
	v_fmac_f32_e32 v128, v130, v126
	v_fma_f32 v122, -v122, v128, v129
	s_delay_alu instid0(VALU_DEP_1) | instskip(NEXT) | instid1(VALU_DEP_1)
	v_div_fmas_f32 v122, v122, v126, v128
	v_div_fixup_f32 v123, v122, v123, 1.0
	s_delay_alu instid0(VALU_DEP_1)
	v_mul_f32_e32 v122, v120, v123
	v_xor_b32_e32 v123, 0x80000000, v123
.LBB112_9:
	s_and_not1_saveexec_b32 s1, s1
	s_cbranch_execz .LBB112_11
; %bb.10:
	s_delay_alu instid0(VALU_DEP_1) | instskip(SKIP_1) | instid1(VALU_DEP_2)
	v_div_scale_f32 v120, null, v122, v122, v123
	v_div_scale_f32 v129, vcc_lo, v123, v122, v123
	v_rcp_f32_e32 v126, v120
	v_nop
	s_delay_alu instid0(TRANS32_DEP_1) | instskip(NEXT) | instid1(VALU_DEP_1)
	v_fma_f32 v128, -v120, v126, 1.0
	v_fmac_f32_e32 v126, v128, v126
	s_delay_alu instid0(VALU_DEP_1) | instskip(NEXT) | instid1(VALU_DEP_1)
	v_mul_f32_e32 v128, v129, v126
	v_fma_f32 v130, -v120, v128, v129
	s_delay_alu instid0(VALU_DEP_1) | instskip(NEXT) | instid1(VALU_DEP_1)
	v_fmac_f32_e32 v128, v130, v126
	v_fma_f32 v120, -v120, v128, v129
	s_delay_alu instid0(VALU_DEP_1) | instskip(NEXT) | instid1(VALU_DEP_1)
	v_div_fmas_f32 v120, v120, v126, v128
	v_div_fixup_f32 v120, v120, v122, v123
	s_delay_alu instid0(VALU_DEP_1) | instskip(NEXT) | instid1(VALU_DEP_1)
	v_fmac_f32_e32 v122, v123, v120
	v_div_scale_f32 v123, null, v122, v122, 1.0
	s_delay_alu instid0(VALU_DEP_1) | instskip(SKIP_1) | instid1(TRANS32_DEP_1)
	v_rcp_f32_e32 v126, v123
	v_nop
	v_fma_f32 v128, -v123, v126, 1.0
	s_delay_alu instid0(VALU_DEP_1) | instskip(SKIP_1) | instid1(VALU_DEP_1)
	v_fmac_f32_e32 v126, v128, v126
	v_div_scale_f32 v128, vcc_lo, 1.0, v122, 1.0
	v_mul_f32_e32 v129, v128, v126
	s_delay_alu instid0(VALU_DEP_1) | instskip(NEXT) | instid1(VALU_DEP_1)
	v_fma_f32 v130, -v123, v129, v128
	v_fmac_f32_e32 v129, v130, v126
	s_delay_alu instid0(VALU_DEP_1) | instskip(NEXT) | instid1(VALU_DEP_1)
	v_fma_f32 v123, -v123, v129, v128
	v_div_fmas_f32 v123, v123, v126, v129
	s_delay_alu instid0(VALU_DEP_1) | instskip(NEXT) | instid1(VALU_DEP_1)
	v_div_fixup_f32 v122, v123, v122, 1.0
	v_mul_f32_e64 v123, v120, -v122
.LBB112_11:
	s_or_b32 exec_lo, exec_lo, s1
	v_dual_mov_b32 v129, 0 :: v_dual_mov_b32 v126, 2
.LBB112_12:
	s_or_b32 exec_lo, exec_lo, s0
	s_delay_alu instid0(SALU_CYCLE_1)
	s_mov_b32 s0, exec_lo
	v_cmpx_ne_u32_e64 v127, v121
	s_xor_b32 s0, exec_lo, s0
	s_cbranch_execz .LBB112_18
; %bb.13:
	s_mov_b32 s1, exec_lo
	v_cmpx_eq_u32_e32 0, v127
	s_cbranch_execz .LBB112_17
; %bb.14:
	v_cmp_ne_u32_e32 vcc_lo, 0, v121
	s_xor_b32 s12, s16, -1
	s_delay_alu instid0(SALU_CYCLE_1) | instskip(NEXT) | instid1(SALU_CYCLE_1)
	s_and_b32 s13, s12, vcc_lo
	s_and_saveexec_b32 s12, s13
	s_cbranch_execz .LBB112_16
; %bb.15:
	v_dual_mov_b32 v130, v121 :: v_dual_ashrrev_i32 v131, 31, v121
	s_delay_alu instid0(VALU_DEP_1)
	v_lshl_add_u64 v[130:131], v[130:131], 2, v[4:5]
	s_clause 0x1
	global_load_b32 v120, v[130:131], off
	global_load_b32 v127, v[4:5], off
	s_wait_loadcnt 0x1
	global_store_b32 v[4:5], v120, off
	s_wait_loadcnt 0x0
	global_store_b32 v[130:131], v127, off
.LBB112_16:
	s_wait_xcnt 0x0
	s_or_b32 exec_lo, exec_lo, s12
	v_mov_b32_e32 v127, v121
.LBB112_17:
	s_or_b32 exec_lo, exec_lo, s1
.LBB112_18:
	s_or_saveexec_b32 s0, s0
	s_delay_alu instid0(VALU_DEP_1)
	v_mov_b32_e32 v128, v127
	s_xor_b32 exec_lo, exec_lo, s0
	s_cbranch_execz .LBB112_20
; %bb.19:
	v_mov_b32_e32 v128, 0
	ds_store_2addr_b64 v124, v[114:115], v[112:113] offset0:1 offset1:2
	ds_store_2addr_b64 v124, v[110:111], v[108:109] offset0:3 offset1:4
	ds_store_2addr_b64 v124, v[106:107], v[88:89] offset0:5 offset1:6
	ds_store_2addr_b64 v124, v[86:87], v[104:105] offset0:7 offset1:8
	ds_store_2addr_b64 v124, v[100:101], v[102:103] offset0:9 offset1:10
	ds_store_2addr_b64 v124, v[98:99], v[96:97] offset0:11 offset1:12
	ds_store_2addr_b64 v124, v[92:93], v[94:95] offset0:13 offset1:14
	ds_store_2addr_b64 v124, v[90:91], v[84:85] offset0:15 offset1:16
	ds_store_2addr_b64 v124, v[80:81], v[82:83] offset0:17 offset1:18
	ds_store_2addr_b64 v124, v[78:79], v[76:77] offset0:19 offset1:20
	ds_store_2addr_b64 v124, v[72:73], v[74:75] offset0:21 offset1:22
	ds_store_2addr_b64 v124, v[70:71], v[68:69] offset0:23 offset1:24
	ds_store_2addr_b64 v124, v[64:65], v[66:67] offset0:25 offset1:26
	ds_store_2addr_b64 v124, v[62:63], v[60:61] offset0:27 offset1:28
	ds_store_2addr_b64 v124, v[56:57], v[58:59] offset0:29 offset1:30
	ds_store_2addr_b64 v124, v[54:55], v[52:53] offset0:31 offset1:32
	ds_store_2addr_b64 v124, v[48:49], v[50:51] offset0:33 offset1:34
	ds_store_2addr_b64 v124, v[46:47], v[44:45] offset0:35 offset1:36
	ds_store_2addr_b64 v124, v[40:41], v[42:43] offset0:37 offset1:38
	ds_store_2addr_b64 v124, v[38:39], v[36:37] offset0:39 offset1:40
	ds_store_2addr_b64 v124, v[32:33], v[34:35] offset0:41 offset1:42
	ds_store_2addr_b64 v124, v[30:31], v[26:27] offset0:43 offset1:44
	ds_store_2addr_b64 v124, v[22:23], v[24:25] offset0:45 offset1:46
	ds_store_2addr_b64 v124, v[20:21], v[14:15] offset0:47 offset1:48
	ds_store_2addr_b64 v124, v[10:11], v[12:13] offset0:49 offset1:50
	ds_store_2addr_b64 v124, v[8:9], v[6:7] offset0:51 offset1:52
	ds_store_2addr_b64 v124, v[28:29], v[18:19] offset0:53 offset1:54
	ds_store_2addr_b64 v124, v[16:17], v[118:119] offset0:55 offset1:56
.LBB112_20:
	s_or_b32 exec_lo, exec_lo, s0
	s_delay_alu instid0(SALU_CYCLE_1)
	s_mov_b32 s0, exec_lo
	s_wait_storecnt_dscnt 0x0
	s_barrier_signal -1
	s_barrier_wait -1
	v_cmpx_lt_i32_e32 0, v128
	s_cbranch_execz .LBB112_22
; %bb.21:
	v_pk_mul_f32 v[130:131], v[122:123], v[116:117] op_sel:[1,1] op_sel_hi:[0,1]
	s_delay_alu instid0(VALU_DEP_1)
	v_pk_fma_f32 v[120:121], v[122:123], v[116:117], v[130:131] op_sel_hi:[1,0,1] neg_lo:[0,0,1] neg_hi:[0,0,1]
	v_pk_fma_f32 v[122:123], v[122:123], v[116:117], v[130:131] op_sel_hi:[1,0,1]
	ds_load_2addr_b64 v[130:133], v124 offset0:1 offset1:2
	v_dual_mov_b32 v116, v120 :: v_dual_mov_b32 v117, v123
	s_wait_dscnt 0x0
	v_pk_mul_f32 v[134:135], v[130:131], v[122:123] op_sel:[0,1]
	s_delay_alu instid0(VALU_DEP_1) | instskip(SKIP_1) | instid1(VALU_DEP_1)
	v_pk_fma_f32 v[136:137], v[130:131], v[120:121], v[134:135] op_sel:[0,0,1] op_sel_hi:[1,1,0] neg_lo:[0,0,1] neg_hi:[0,0,1]
	v_pk_fma_f32 v[130:131], v[130:131], v[120:121], v[134:135] op_sel:[0,0,1] op_sel_hi:[1,0,0]
	v_mov_b32_e32 v137, v131
	v_pk_mul_f32 v[130:131], v[132:133], v[122:123] op_sel:[0,1]
	s_delay_alu instid0(VALU_DEP_1) | instskip(SKIP_1) | instid1(VALU_DEP_1)
	v_pk_fma_f32 v[134:135], v[132:133], v[120:121], v[130:131] op_sel:[0,0,1] op_sel_hi:[1,1,0] neg_lo:[0,0,1] neg_hi:[0,0,1]
	v_pk_fma_f32 v[130:131], v[132:133], v[120:121], v[130:131] op_sel:[0,0,1] op_sel_hi:[1,0,0]
	v_mov_b32_e32 v135, v131
	ds_load_2addr_b64 v[130:133], v124 offset0:3 offset1:4
	v_pk_add_f32 v[114:115], v[114:115], v[136:137] neg_lo:[0,1] neg_hi:[0,1]
	v_pk_add_f32 v[112:113], v[112:113], v[134:135] neg_lo:[0,1] neg_hi:[0,1]
	s_wait_dscnt 0x0
	v_pk_mul_f32 v[134:135], v[130:131], v[122:123] op_sel:[0,1]
	s_delay_alu instid0(VALU_DEP_1) | instskip(SKIP_2) | instid1(VALU_DEP_2)
	v_pk_fma_f32 v[136:137], v[130:131], v[120:121], v[134:135] op_sel:[0,0,1] op_sel_hi:[1,1,0] neg_lo:[0,0,1] neg_hi:[0,0,1]
	v_pk_fma_f32 v[130:131], v[130:131], v[120:121], v[134:135] op_sel:[0,0,1] op_sel_hi:[1,0,0]
	v_dual_mul_f32 v134, v133, v123 :: v_dual_mov_b32 v130, v133
	v_dual_mov_b32 v137, v131 :: v_dual_mov_b32 v131, v132
	s_delay_alu instid0(VALU_DEP_2) | instskip(SKIP_1) | instid1(VALU_DEP_3)
	v_pk_fma_f32 v[134:135], v[132:133], v[116:117], v[134:135] op_sel_hi:[1,1,0] neg_lo:[0,0,1] neg_hi:[0,0,1]
	v_mul_f32_e32 v132, v133, v120
	v_pk_add_f32 v[110:111], v[110:111], v[136:137] neg_lo:[0,1] neg_hi:[0,1]
	s_delay_alu instid0(VALU_DEP_2) | instskip(NEXT) | instid1(VALU_DEP_1)
	v_pk_fma_f32 v[130:131], v[130:131], v[116:117], v[132:133] op_sel_hi:[1,1,0]
	v_mov_b32_e32 v135, v131
	ds_load_2addr_b64 v[130:133], v124 offset0:5 offset1:6
	v_pk_add_f32 v[108:109], v[108:109], v[134:135] neg_lo:[0,1] neg_hi:[0,1]
	s_wait_dscnt 0x0
	v_pk_mul_f32 v[134:135], v[130:131], v[122:123] op_sel:[0,1]
	s_delay_alu instid0(VALU_DEP_1) | instskip(SKIP_1) | instid1(VALU_DEP_1)
	v_pk_fma_f32 v[136:137], v[130:131], v[120:121], v[134:135] op_sel:[0,0,1] op_sel_hi:[1,1,0] neg_lo:[0,0,1] neg_hi:[0,0,1]
	v_pk_fma_f32 v[130:131], v[130:131], v[120:121], v[134:135] op_sel:[0,0,1] op_sel_hi:[1,0,0]
	v_mov_b32_e32 v137, v131
	v_pk_mul_f32 v[130:131], v[132:133], v[122:123] op_sel:[0,1]
	s_delay_alu instid0(VALU_DEP_1) | instskip(SKIP_1) | instid1(VALU_DEP_1)
	v_pk_fma_f32 v[134:135], v[132:133], v[120:121], v[130:131] op_sel:[0,0,1] op_sel_hi:[1,1,0] neg_lo:[0,0,1] neg_hi:[0,0,1]
	v_pk_fma_f32 v[130:131], v[132:133], v[120:121], v[130:131] op_sel:[0,0,1] op_sel_hi:[1,0,0]
	v_mov_b32_e32 v135, v131
	ds_load_2addr_b64 v[130:133], v124 offset0:7 offset1:8
	v_pk_add_f32 v[106:107], v[106:107], v[136:137] neg_lo:[0,1] neg_hi:[0,1]
	v_pk_add_f32 v[88:89], v[88:89], v[134:135] neg_lo:[0,1] neg_hi:[0,1]
	s_wait_dscnt 0x0
	v_pk_mul_f32 v[134:135], v[130:131], v[122:123] op_sel:[0,1]
	s_delay_alu instid0(VALU_DEP_1) | instskip(SKIP_1) | instid1(VALU_DEP_1)
	v_pk_fma_f32 v[136:137], v[130:131], v[120:121], v[134:135] op_sel:[0,0,1] op_sel_hi:[1,1,0] neg_lo:[0,0,1] neg_hi:[0,0,1]
	v_pk_fma_f32 v[130:131], v[130:131], v[120:121], v[134:135] op_sel:[0,0,1] op_sel_hi:[1,0,0]
	v_mov_b32_e32 v137, v131
	v_pk_mul_f32 v[130:131], v[132:133], v[122:123] op_sel:[0,1]
	s_delay_alu instid0(VALU_DEP_1) | instskip(SKIP_1) | instid1(VALU_DEP_1)
	v_pk_fma_f32 v[134:135], v[132:133], v[120:121], v[130:131] op_sel:[0,0,1] op_sel_hi:[1,1,0] neg_lo:[0,0,1] neg_hi:[0,0,1]
	v_pk_fma_f32 v[130:131], v[132:133], v[120:121], v[130:131] op_sel:[0,0,1] op_sel_hi:[1,0,0]
	v_mov_b32_e32 v135, v131
	ds_load_2addr_b64 v[130:133], v124 offset0:9 offset1:10
	v_pk_add_f32 v[86:87], v[86:87], v[136:137] neg_lo:[0,1] neg_hi:[0,1]
	v_pk_add_f32 v[104:105], v[104:105], v[134:135] neg_lo:[0,1] neg_hi:[0,1]
	s_wait_dscnt 0x0
	v_dual_mul_f32 v134, v131, v123 :: v_dual_mul_f32 v136, v131, v120
	s_delay_alu instid0(VALU_DEP_1) | instskip(NEXT) | instid1(VALU_DEP_2)
	v_pk_fma_f32 v[134:135], v[130:131], v[116:117], v[134:135] op_sel_hi:[1,1,0] neg_lo:[0,0,1] neg_hi:[0,0,1]
	v_pk_fma_f32 v[130:131], v[130:131], v[116:117], v[136:137] op_sel:[1,0,0] op_sel_hi:[0,1,0]
	s_delay_alu instid0(VALU_DEP_1) | instskip(SKIP_1) | instid1(VALU_DEP_2)
	v_mov_b32_e32 v135, v131
	v_pk_mul_f32 v[130:131], v[132:133], v[122:123] op_sel:[0,1]
	v_pk_add_f32 v[100:101], v[100:101], v[134:135] neg_lo:[0,1] neg_hi:[0,1]
	s_delay_alu instid0(VALU_DEP_2) | instskip(SKIP_1) | instid1(VALU_DEP_1)
	v_pk_fma_f32 v[134:135], v[132:133], v[120:121], v[130:131] op_sel:[0,0,1] op_sel_hi:[1,1,0] neg_lo:[0,0,1] neg_hi:[0,0,1]
	v_pk_fma_f32 v[130:131], v[132:133], v[120:121], v[130:131] op_sel:[0,0,1] op_sel_hi:[1,0,0]
	v_mov_b32_e32 v135, v131
	ds_load_2addr_b64 v[130:133], v124 offset0:11 offset1:12
	v_pk_add_f32 v[102:103], v[102:103], v[134:135] neg_lo:[0,1] neg_hi:[0,1]
	s_wait_dscnt 0x0
	v_pk_mul_f32 v[134:135], v[130:131], v[122:123] op_sel:[0,1]
	s_delay_alu instid0(VALU_DEP_1) | instskip(SKIP_1) | instid1(VALU_DEP_1)
	v_pk_fma_f32 v[136:137], v[130:131], v[120:121], v[134:135] op_sel:[0,0,1] op_sel_hi:[1,1,0] neg_lo:[0,0,1] neg_hi:[0,0,1]
	v_pk_fma_f32 v[130:131], v[130:131], v[120:121], v[134:135] op_sel:[0,0,1] op_sel_hi:[1,0,0]
	v_mov_b32_e32 v137, v131
	v_pk_mul_f32 v[130:131], v[132:133], v[122:123] op_sel:[0,1]
	s_delay_alu instid0(VALU_DEP_2) | instskip(NEXT) | instid1(VALU_DEP_2)
	v_pk_add_f32 v[98:99], v[98:99], v[136:137] neg_lo:[0,1] neg_hi:[0,1]
	v_pk_fma_f32 v[134:135], v[132:133], v[120:121], v[130:131] op_sel:[0,0,1] op_sel_hi:[1,1,0] neg_lo:[0,0,1] neg_hi:[0,0,1]
	v_pk_fma_f32 v[130:131], v[132:133], v[120:121], v[130:131] op_sel:[0,0,1] op_sel_hi:[1,0,0]
	s_delay_alu instid0(VALU_DEP_1) | instskip(SKIP_4) | instid1(VALU_DEP_1)
	v_mov_b32_e32 v135, v131
	ds_load_2addr_b64 v[130:133], v124 offset0:13 offset1:14
	v_pk_add_f32 v[96:97], v[96:97], v[134:135] neg_lo:[0,1] neg_hi:[0,1]
	s_wait_dscnt 0x0
	v_pk_mul_f32 v[134:135], v[130:131], v[122:123] op_sel:[0,1]
	v_pk_fma_f32 v[136:137], v[130:131], v[120:121], v[134:135] op_sel:[0,0,1] op_sel_hi:[1,1,0] neg_lo:[0,0,1] neg_hi:[0,0,1]
	v_pk_fma_f32 v[130:131], v[130:131], v[120:121], v[134:135] op_sel:[0,0,1] op_sel_hi:[1,0,0]
	v_dual_mul_f32 v134, v133, v123 :: v_dual_mov_b32 v130, v133
	s_delay_alu instid0(VALU_DEP_2) | instskip(NEXT) | instid1(VALU_DEP_2)
	v_dual_mov_b32 v137, v131 :: v_dual_mov_b32 v131, v132
	v_pk_fma_f32 v[134:135], v[132:133], v[116:117], v[134:135] op_sel_hi:[1,1,0] neg_lo:[0,0,1] neg_hi:[0,0,1]
	v_mul_f32_e32 v132, v133, v120
	s_delay_alu instid0(VALU_DEP_3) | instskip(NEXT) | instid1(VALU_DEP_2)
	v_pk_add_f32 v[92:93], v[92:93], v[136:137] neg_lo:[0,1] neg_hi:[0,1]
	v_pk_fma_f32 v[130:131], v[130:131], v[116:117], v[132:133] op_sel_hi:[1,1,0]
	s_delay_alu instid0(VALU_DEP_1) | instskip(SKIP_4) | instid1(VALU_DEP_1)
	v_mov_b32_e32 v135, v131
	ds_load_2addr_b64 v[130:133], v124 offset0:15 offset1:16
	v_pk_add_f32 v[94:95], v[94:95], v[134:135] neg_lo:[0,1] neg_hi:[0,1]
	s_wait_dscnt 0x0
	v_pk_mul_f32 v[134:135], v[130:131], v[122:123] op_sel:[0,1]
	v_pk_fma_f32 v[136:137], v[130:131], v[120:121], v[134:135] op_sel:[0,0,1] op_sel_hi:[1,1,0] neg_lo:[0,0,1] neg_hi:[0,0,1]
	v_pk_fma_f32 v[130:131], v[130:131], v[120:121], v[134:135] op_sel:[0,0,1] op_sel_hi:[1,0,0]
	s_delay_alu instid0(VALU_DEP_1) | instskip(SKIP_1) | instid1(VALU_DEP_1)
	v_mov_b32_e32 v137, v131
	v_pk_mul_f32 v[130:131], v[132:133], v[122:123] op_sel:[0,1]
	v_pk_fma_f32 v[134:135], v[132:133], v[120:121], v[130:131] op_sel:[0,0,1] op_sel_hi:[1,1,0] neg_lo:[0,0,1] neg_hi:[0,0,1]
	v_pk_fma_f32 v[130:131], v[132:133], v[120:121], v[130:131] op_sel:[0,0,1] op_sel_hi:[1,0,0]
	s_delay_alu instid0(VALU_DEP_1)
	v_mov_b32_e32 v135, v131
	ds_load_2addr_b64 v[130:133], v124 offset0:17 offset1:18
	v_pk_add_f32 v[90:91], v[90:91], v[136:137] neg_lo:[0,1] neg_hi:[0,1]
	v_pk_add_f32 v[84:85], v[84:85], v[134:135] neg_lo:[0,1] neg_hi:[0,1]
	s_wait_dscnt 0x0
	v_pk_mul_f32 v[134:135], v[130:131], v[122:123] op_sel:[0,1]
	s_delay_alu instid0(VALU_DEP_1) | instskip(SKIP_1) | instid1(VALU_DEP_1)
	v_pk_fma_f32 v[136:137], v[130:131], v[120:121], v[134:135] op_sel:[0,0,1] op_sel_hi:[1,1,0] neg_lo:[0,0,1] neg_hi:[0,0,1]
	v_pk_fma_f32 v[130:131], v[130:131], v[120:121], v[134:135] op_sel:[0,0,1] op_sel_hi:[1,0,0]
	v_mov_b32_e32 v137, v131
	v_pk_mul_f32 v[130:131], v[132:133], v[122:123] op_sel:[0,1]
	s_delay_alu instid0(VALU_DEP_1) | instskip(SKIP_1) | instid1(VALU_DEP_1)
	v_pk_fma_f32 v[134:135], v[132:133], v[120:121], v[130:131] op_sel:[0,0,1] op_sel_hi:[1,1,0] neg_lo:[0,0,1] neg_hi:[0,0,1]
	v_pk_fma_f32 v[130:131], v[132:133], v[120:121], v[130:131] op_sel:[0,0,1] op_sel_hi:[1,0,0]
	v_mov_b32_e32 v135, v131
	ds_load_2addr_b64 v[130:133], v124 offset0:19 offset1:20
	v_pk_add_f32 v[80:81], v[80:81], v[136:137] neg_lo:[0,1] neg_hi:[0,1]
	v_pk_add_f32 v[82:83], v[82:83], v[134:135] neg_lo:[0,1] neg_hi:[0,1]
	s_wait_dscnt 0x0
	v_dual_mul_f32 v134, v131, v123 :: v_dual_mul_f32 v136, v131, v120
	s_delay_alu instid0(VALU_DEP_1) | instskip(NEXT) | instid1(VALU_DEP_2)
	v_pk_fma_f32 v[134:135], v[130:131], v[116:117], v[134:135] op_sel_hi:[1,1,0] neg_lo:[0,0,1] neg_hi:[0,0,1]
	v_pk_fma_f32 v[130:131], v[130:131], v[116:117], v[136:137] op_sel:[1,0,0] op_sel_hi:[0,1,0]
	s_delay_alu instid0(VALU_DEP_1) | instskip(SKIP_1) | instid1(VALU_DEP_2)
	v_mov_b32_e32 v135, v131
	v_pk_mul_f32 v[130:131], v[132:133], v[122:123] op_sel:[0,1]
	v_pk_add_f32 v[78:79], v[78:79], v[134:135] neg_lo:[0,1] neg_hi:[0,1]
	s_delay_alu instid0(VALU_DEP_2) | instskip(SKIP_1) | instid1(VALU_DEP_1)
	v_pk_fma_f32 v[134:135], v[132:133], v[120:121], v[130:131] op_sel:[0,0,1] op_sel_hi:[1,1,0] neg_lo:[0,0,1] neg_hi:[0,0,1]
	v_pk_fma_f32 v[130:131], v[132:133], v[120:121], v[130:131] op_sel:[0,0,1] op_sel_hi:[1,0,0]
	v_mov_b32_e32 v135, v131
	ds_load_2addr_b64 v[130:133], v124 offset0:21 offset1:22
	v_pk_add_f32 v[76:77], v[76:77], v[134:135] neg_lo:[0,1] neg_hi:[0,1]
	s_wait_dscnt 0x0
	v_pk_mul_f32 v[134:135], v[130:131], v[122:123] op_sel:[0,1]
	s_delay_alu instid0(VALU_DEP_1) | instskip(SKIP_1) | instid1(VALU_DEP_1)
	v_pk_fma_f32 v[136:137], v[130:131], v[120:121], v[134:135] op_sel:[0,0,1] op_sel_hi:[1,1,0] neg_lo:[0,0,1] neg_hi:[0,0,1]
	v_pk_fma_f32 v[130:131], v[130:131], v[120:121], v[134:135] op_sel:[0,0,1] op_sel_hi:[1,0,0]
	v_mov_b32_e32 v137, v131
	v_pk_mul_f32 v[130:131], v[132:133], v[122:123] op_sel:[0,1]
	s_delay_alu instid0(VALU_DEP_2) | instskip(NEXT) | instid1(VALU_DEP_2)
	v_pk_add_f32 v[72:73], v[72:73], v[136:137] neg_lo:[0,1] neg_hi:[0,1]
	v_pk_fma_f32 v[134:135], v[132:133], v[120:121], v[130:131] op_sel:[0,0,1] op_sel_hi:[1,1,0] neg_lo:[0,0,1] neg_hi:[0,0,1]
	v_pk_fma_f32 v[130:131], v[132:133], v[120:121], v[130:131] op_sel:[0,0,1] op_sel_hi:[1,0,0]
	s_delay_alu instid0(VALU_DEP_1) | instskip(SKIP_4) | instid1(VALU_DEP_1)
	v_mov_b32_e32 v135, v131
	ds_load_2addr_b64 v[130:133], v124 offset0:23 offset1:24
	v_pk_add_f32 v[74:75], v[74:75], v[134:135] neg_lo:[0,1] neg_hi:[0,1]
	s_wait_dscnt 0x0
	v_pk_mul_f32 v[134:135], v[130:131], v[122:123] op_sel:[0,1]
	v_pk_fma_f32 v[136:137], v[130:131], v[120:121], v[134:135] op_sel:[0,0,1] op_sel_hi:[1,1,0] neg_lo:[0,0,1] neg_hi:[0,0,1]
	v_pk_fma_f32 v[130:131], v[130:131], v[120:121], v[134:135] op_sel:[0,0,1] op_sel_hi:[1,0,0]
	v_dual_mul_f32 v134, v133, v123 :: v_dual_mov_b32 v130, v133
	s_delay_alu instid0(VALU_DEP_2) | instskip(NEXT) | instid1(VALU_DEP_2)
	v_dual_mov_b32 v137, v131 :: v_dual_mov_b32 v131, v132
	v_pk_fma_f32 v[134:135], v[132:133], v[116:117], v[134:135] op_sel_hi:[1,1,0] neg_lo:[0,0,1] neg_hi:[0,0,1]
	v_mul_f32_e32 v132, v133, v120
	s_delay_alu instid0(VALU_DEP_3) | instskip(NEXT) | instid1(VALU_DEP_2)
	v_pk_add_f32 v[70:71], v[70:71], v[136:137] neg_lo:[0,1] neg_hi:[0,1]
	v_pk_fma_f32 v[130:131], v[130:131], v[116:117], v[132:133] op_sel_hi:[1,1,0]
	s_delay_alu instid0(VALU_DEP_1) | instskip(SKIP_4) | instid1(VALU_DEP_1)
	v_mov_b32_e32 v135, v131
	ds_load_2addr_b64 v[130:133], v124 offset0:25 offset1:26
	v_pk_add_f32 v[68:69], v[68:69], v[134:135] neg_lo:[0,1] neg_hi:[0,1]
	s_wait_dscnt 0x0
	v_pk_mul_f32 v[134:135], v[130:131], v[122:123] op_sel:[0,1]
	v_pk_fma_f32 v[136:137], v[130:131], v[120:121], v[134:135] op_sel:[0,0,1] op_sel_hi:[1,1,0] neg_lo:[0,0,1] neg_hi:[0,0,1]
	v_pk_fma_f32 v[130:131], v[130:131], v[120:121], v[134:135] op_sel:[0,0,1] op_sel_hi:[1,0,0]
	s_delay_alu instid0(VALU_DEP_1) | instskip(SKIP_1) | instid1(VALU_DEP_1)
	v_mov_b32_e32 v137, v131
	v_pk_mul_f32 v[130:131], v[132:133], v[122:123] op_sel:[0,1]
	v_pk_fma_f32 v[134:135], v[132:133], v[120:121], v[130:131] op_sel:[0,0,1] op_sel_hi:[1,1,0] neg_lo:[0,0,1] neg_hi:[0,0,1]
	v_pk_fma_f32 v[130:131], v[132:133], v[120:121], v[130:131] op_sel:[0,0,1] op_sel_hi:[1,0,0]
	s_delay_alu instid0(VALU_DEP_1)
	v_mov_b32_e32 v135, v131
	ds_load_2addr_b64 v[130:133], v124 offset0:27 offset1:28
	v_pk_add_f32 v[64:65], v[64:65], v[136:137] neg_lo:[0,1] neg_hi:[0,1]
	v_pk_add_f32 v[66:67], v[66:67], v[134:135] neg_lo:[0,1] neg_hi:[0,1]
	s_wait_dscnt 0x0
	v_pk_mul_f32 v[134:135], v[130:131], v[122:123] op_sel:[0,1]
	s_delay_alu instid0(VALU_DEP_1) | instskip(SKIP_1) | instid1(VALU_DEP_1)
	v_pk_fma_f32 v[136:137], v[130:131], v[120:121], v[134:135] op_sel:[0,0,1] op_sel_hi:[1,1,0] neg_lo:[0,0,1] neg_hi:[0,0,1]
	v_pk_fma_f32 v[130:131], v[130:131], v[120:121], v[134:135] op_sel:[0,0,1] op_sel_hi:[1,0,0]
	v_mov_b32_e32 v137, v131
	v_pk_mul_f32 v[130:131], v[132:133], v[122:123] op_sel:[0,1]
	s_delay_alu instid0(VALU_DEP_1) | instskip(SKIP_1) | instid1(VALU_DEP_1)
	v_pk_fma_f32 v[134:135], v[132:133], v[120:121], v[130:131] op_sel:[0,0,1] op_sel_hi:[1,1,0] neg_lo:[0,0,1] neg_hi:[0,0,1]
	v_pk_fma_f32 v[130:131], v[132:133], v[120:121], v[130:131] op_sel:[0,0,1] op_sel_hi:[1,0,0]
	v_mov_b32_e32 v135, v131
	ds_load_2addr_b64 v[130:133], v124 offset0:29 offset1:30
	v_pk_add_f32 v[62:63], v[62:63], v[136:137] neg_lo:[0,1] neg_hi:[0,1]
	v_pk_add_f32 v[60:61], v[60:61], v[134:135] neg_lo:[0,1] neg_hi:[0,1]
	s_wait_dscnt 0x0
	v_dual_mul_f32 v134, v131, v123 :: v_dual_mul_f32 v136, v131, v120
	s_delay_alu instid0(VALU_DEP_1) | instskip(NEXT) | instid1(VALU_DEP_2)
	v_pk_fma_f32 v[134:135], v[130:131], v[116:117], v[134:135] op_sel_hi:[1,1,0] neg_lo:[0,0,1] neg_hi:[0,0,1]
	v_pk_fma_f32 v[130:131], v[130:131], v[116:117], v[136:137] op_sel:[1,0,0] op_sel_hi:[0,1,0]
	s_delay_alu instid0(VALU_DEP_1) | instskip(SKIP_1) | instid1(VALU_DEP_2)
	v_mov_b32_e32 v135, v131
	v_pk_mul_f32 v[130:131], v[132:133], v[122:123] op_sel:[0,1]
	v_pk_add_f32 v[56:57], v[56:57], v[134:135] neg_lo:[0,1] neg_hi:[0,1]
	s_delay_alu instid0(VALU_DEP_2) | instskip(SKIP_1) | instid1(VALU_DEP_1)
	v_pk_fma_f32 v[134:135], v[132:133], v[120:121], v[130:131] op_sel:[0,0,1] op_sel_hi:[1,1,0] neg_lo:[0,0,1] neg_hi:[0,0,1]
	v_pk_fma_f32 v[130:131], v[132:133], v[120:121], v[130:131] op_sel:[0,0,1] op_sel_hi:[1,0,0]
	v_mov_b32_e32 v135, v131
	ds_load_2addr_b64 v[130:133], v124 offset0:31 offset1:32
	v_pk_add_f32 v[58:59], v[58:59], v[134:135] neg_lo:[0,1] neg_hi:[0,1]
	s_wait_dscnt 0x0
	v_pk_mul_f32 v[134:135], v[130:131], v[122:123] op_sel:[0,1]
	s_delay_alu instid0(VALU_DEP_1) | instskip(SKIP_1) | instid1(VALU_DEP_1)
	v_pk_fma_f32 v[136:137], v[130:131], v[120:121], v[134:135] op_sel:[0,0,1] op_sel_hi:[1,1,0] neg_lo:[0,0,1] neg_hi:[0,0,1]
	v_pk_fma_f32 v[130:131], v[130:131], v[120:121], v[134:135] op_sel:[0,0,1] op_sel_hi:[1,0,0]
	v_mov_b32_e32 v137, v131
	v_pk_mul_f32 v[130:131], v[132:133], v[122:123] op_sel:[0,1]
	s_delay_alu instid0(VALU_DEP_2) | instskip(NEXT) | instid1(VALU_DEP_2)
	v_pk_add_f32 v[54:55], v[54:55], v[136:137] neg_lo:[0,1] neg_hi:[0,1]
	v_pk_fma_f32 v[134:135], v[132:133], v[120:121], v[130:131] op_sel:[0,0,1] op_sel_hi:[1,1,0] neg_lo:[0,0,1] neg_hi:[0,0,1]
	v_pk_fma_f32 v[130:131], v[132:133], v[120:121], v[130:131] op_sel:[0,0,1] op_sel_hi:[1,0,0]
	s_delay_alu instid0(VALU_DEP_1) | instskip(SKIP_4) | instid1(VALU_DEP_1)
	v_mov_b32_e32 v135, v131
	ds_load_2addr_b64 v[130:133], v124 offset0:33 offset1:34
	v_pk_add_f32 v[52:53], v[52:53], v[134:135] neg_lo:[0,1] neg_hi:[0,1]
	s_wait_dscnt 0x0
	v_pk_mul_f32 v[134:135], v[130:131], v[122:123] op_sel:[0,1]
	v_pk_fma_f32 v[136:137], v[130:131], v[120:121], v[134:135] op_sel:[0,0,1] op_sel_hi:[1,1,0] neg_lo:[0,0,1] neg_hi:[0,0,1]
	v_pk_fma_f32 v[130:131], v[130:131], v[120:121], v[134:135] op_sel:[0,0,1] op_sel_hi:[1,0,0]
	v_dual_mul_f32 v134, v133, v123 :: v_dual_mov_b32 v130, v133
	s_delay_alu instid0(VALU_DEP_2) | instskip(NEXT) | instid1(VALU_DEP_2)
	v_dual_mov_b32 v137, v131 :: v_dual_mov_b32 v131, v132
	v_pk_fma_f32 v[134:135], v[132:133], v[116:117], v[134:135] op_sel_hi:[1,1,0] neg_lo:[0,0,1] neg_hi:[0,0,1]
	v_mul_f32_e32 v132, v133, v120
	s_delay_alu instid0(VALU_DEP_3) | instskip(NEXT) | instid1(VALU_DEP_2)
	v_pk_add_f32 v[48:49], v[48:49], v[136:137] neg_lo:[0,1] neg_hi:[0,1]
	v_pk_fma_f32 v[130:131], v[130:131], v[116:117], v[132:133] op_sel_hi:[1,1,0]
	s_delay_alu instid0(VALU_DEP_1) | instskip(SKIP_4) | instid1(VALU_DEP_1)
	v_mov_b32_e32 v135, v131
	ds_load_2addr_b64 v[130:133], v124 offset0:35 offset1:36
	v_pk_add_f32 v[50:51], v[50:51], v[134:135] neg_lo:[0,1] neg_hi:[0,1]
	s_wait_dscnt 0x0
	v_pk_mul_f32 v[134:135], v[130:131], v[122:123] op_sel:[0,1]
	v_pk_fma_f32 v[136:137], v[130:131], v[120:121], v[134:135] op_sel:[0,0,1] op_sel_hi:[1,1,0] neg_lo:[0,0,1] neg_hi:[0,0,1]
	v_pk_fma_f32 v[130:131], v[130:131], v[120:121], v[134:135] op_sel:[0,0,1] op_sel_hi:[1,0,0]
	s_delay_alu instid0(VALU_DEP_1) | instskip(SKIP_1) | instid1(VALU_DEP_1)
	v_mov_b32_e32 v137, v131
	v_pk_mul_f32 v[130:131], v[132:133], v[122:123] op_sel:[0,1]
	v_pk_fma_f32 v[134:135], v[132:133], v[120:121], v[130:131] op_sel:[0,0,1] op_sel_hi:[1,1,0] neg_lo:[0,0,1] neg_hi:[0,0,1]
	v_pk_fma_f32 v[130:131], v[132:133], v[120:121], v[130:131] op_sel:[0,0,1] op_sel_hi:[1,0,0]
	s_delay_alu instid0(VALU_DEP_1)
	v_mov_b32_e32 v135, v131
	ds_load_2addr_b64 v[130:133], v124 offset0:37 offset1:38
	v_pk_add_f32 v[46:47], v[46:47], v[136:137] neg_lo:[0,1] neg_hi:[0,1]
	v_pk_add_f32 v[44:45], v[44:45], v[134:135] neg_lo:[0,1] neg_hi:[0,1]
	s_wait_dscnt 0x0
	v_pk_mul_f32 v[134:135], v[130:131], v[122:123] op_sel:[0,1]
	s_delay_alu instid0(VALU_DEP_1) | instskip(SKIP_1) | instid1(VALU_DEP_1)
	v_pk_fma_f32 v[136:137], v[130:131], v[120:121], v[134:135] op_sel:[0,0,1] op_sel_hi:[1,1,0] neg_lo:[0,0,1] neg_hi:[0,0,1]
	v_pk_fma_f32 v[130:131], v[130:131], v[120:121], v[134:135] op_sel:[0,0,1] op_sel_hi:[1,0,0]
	v_mov_b32_e32 v137, v131
	v_pk_mul_f32 v[130:131], v[132:133], v[122:123] op_sel:[0,1]
	s_delay_alu instid0(VALU_DEP_1) | instskip(SKIP_1) | instid1(VALU_DEP_1)
	v_pk_fma_f32 v[134:135], v[132:133], v[120:121], v[130:131] op_sel:[0,0,1] op_sel_hi:[1,1,0] neg_lo:[0,0,1] neg_hi:[0,0,1]
	v_pk_fma_f32 v[130:131], v[132:133], v[120:121], v[130:131] op_sel:[0,0,1] op_sel_hi:[1,0,0]
	v_mov_b32_e32 v135, v131
	ds_load_2addr_b64 v[130:133], v124 offset0:39 offset1:40
	v_pk_add_f32 v[40:41], v[40:41], v[136:137] neg_lo:[0,1] neg_hi:[0,1]
	v_pk_add_f32 v[42:43], v[42:43], v[134:135] neg_lo:[0,1] neg_hi:[0,1]
	s_wait_dscnt 0x0
	v_dual_mul_f32 v134, v131, v123 :: v_dual_mul_f32 v136, v131, v120
	s_delay_alu instid0(VALU_DEP_1) | instskip(NEXT) | instid1(VALU_DEP_2)
	v_pk_fma_f32 v[134:135], v[130:131], v[116:117], v[134:135] op_sel_hi:[1,1,0] neg_lo:[0,0,1] neg_hi:[0,0,1]
	v_pk_fma_f32 v[130:131], v[130:131], v[116:117], v[136:137] op_sel:[1,0,0] op_sel_hi:[0,1,0]
	s_delay_alu instid0(VALU_DEP_1) | instskip(SKIP_1) | instid1(VALU_DEP_2)
	v_mov_b32_e32 v135, v131
	v_pk_mul_f32 v[130:131], v[132:133], v[122:123] op_sel:[0,1]
	v_pk_add_f32 v[38:39], v[38:39], v[134:135] neg_lo:[0,1] neg_hi:[0,1]
	s_delay_alu instid0(VALU_DEP_2) | instskip(SKIP_1) | instid1(VALU_DEP_1)
	v_pk_fma_f32 v[134:135], v[132:133], v[120:121], v[130:131] op_sel:[0,0,1] op_sel_hi:[1,1,0] neg_lo:[0,0,1] neg_hi:[0,0,1]
	v_pk_fma_f32 v[130:131], v[132:133], v[120:121], v[130:131] op_sel:[0,0,1] op_sel_hi:[1,0,0]
	v_mov_b32_e32 v135, v131
	ds_load_2addr_b64 v[130:133], v124 offset0:41 offset1:42
	v_pk_add_f32 v[36:37], v[36:37], v[134:135] neg_lo:[0,1] neg_hi:[0,1]
	s_wait_dscnt 0x0
	v_pk_mul_f32 v[134:135], v[130:131], v[122:123] op_sel:[0,1]
	s_delay_alu instid0(VALU_DEP_1) | instskip(SKIP_1) | instid1(VALU_DEP_1)
	v_pk_fma_f32 v[136:137], v[130:131], v[120:121], v[134:135] op_sel:[0,0,1] op_sel_hi:[1,1,0] neg_lo:[0,0,1] neg_hi:[0,0,1]
	v_pk_fma_f32 v[130:131], v[130:131], v[120:121], v[134:135] op_sel:[0,0,1] op_sel_hi:[1,0,0]
	v_mov_b32_e32 v137, v131
	v_pk_mul_f32 v[130:131], v[132:133], v[122:123] op_sel:[0,1]
	s_delay_alu instid0(VALU_DEP_2) | instskip(NEXT) | instid1(VALU_DEP_2)
	v_pk_add_f32 v[32:33], v[32:33], v[136:137] neg_lo:[0,1] neg_hi:[0,1]
	v_pk_fma_f32 v[134:135], v[132:133], v[120:121], v[130:131] op_sel:[0,0,1] op_sel_hi:[1,1,0] neg_lo:[0,0,1] neg_hi:[0,0,1]
	v_pk_fma_f32 v[130:131], v[132:133], v[120:121], v[130:131] op_sel:[0,0,1] op_sel_hi:[1,0,0]
	s_delay_alu instid0(VALU_DEP_1) | instskip(SKIP_4) | instid1(VALU_DEP_1)
	v_mov_b32_e32 v135, v131
	ds_load_2addr_b64 v[130:133], v124 offset0:43 offset1:44
	v_pk_add_f32 v[34:35], v[34:35], v[134:135] neg_lo:[0,1] neg_hi:[0,1]
	s_wait_dscnt 0x0
	v_pk_mul_f32 v[134:135], v[130:131], v[122:123] op_sel:[0,1]
	v_pk_fma_f32 v[136:137], v[130:131], v[120:121], v[134:135] op_sel:[0,0,1] op_sel_hi:[1,1,0] neg_lo:[0,0,1] neg_hi:[0,0,1]
	v_pk_fma_f32 v[130:131], v[130:131], v[120:121], v[134:135] op_sel:[0,0,1] op_sel_hi:[1,0,0]
	v_dual_mul_f32 v134, v133, v123 :: v_dual_mov_b32 v130, v133
	s_delay_alu instid0(VALU_DEP_2) | instskip(NEXT) | instid1(VALU_DEP_2)
	v_dual_mov_b32 v137, v131 :: v_dual_mov_b32 v131, v132
	v_pk_fma_f32 v[134:135], v[132:133], v[116:117], v[134:135] op_sel_hi:[1,1,0] neg_lo:[0,0,1] neg_hi:[0,0,1]
	v_mul_f32_e32 v132, v133, v120
	s_delay_alu instid0(VALU_DEP_3) | instskip(NEXT) | instid1(VALU_DEP_2)
	v_pk_add_f32 v[30:31], v[30:31], v[136:137] neg_lo:[0,1] neg_hi:[0,1]
	v_pk_fma_f32 v[130:131], v[130:131], v[116:117], v[132:133] op_sel_hi:[1,1,0]
	s_delay_alu instid0(VALU_DEP_1) | instskip(SKIP_4) | instid1(VALU_DEP_1)
	v_mov_b32_e32 v135, v131
	ds_load_2addr_b64 v[130:133], v124 offset0:45 offset1:46
	v_pk_add_f32 v[26:27], v[26:27], v[134:135] neg_lo:[0,1] neg_hi:[0,1]
	s_wait_dscnt 0x0
	v_pk_mul_f32 v[134:135], v[130:131], v[122:123] op_sel:[0,1]
	v_pk_fma_f32 v[136:137], v[130:131], v[120:121], v[134:135] op_sel:[0,0,1] op_sel_hi:[1,1,0] neg_lo:[0,0,1] neg_hi:[0,0,1]
	v_pk_fma_f32 v[130:131], v[130:131], v[120:121], v[134:135] op_sel:[0,0,1] op_sel_hi:[1,0,0]
	s_delay_alu instid0(VALU_DEP_1) | instskip(SKIP_1) | instid1(VALU_DEP_1)
	v_mov_b32_e32 v137, v131
	v_pk_mul_f32 v[130:131], v[132:133], v[122:123] op_sel:[0,1]
	v_pk_fma_f32 v[134:135], v[132:133], v[120:121], v[130:131] op_sel:[0,0,1] op_sel_hi:[1,1,0] neg_lo:[0,0,1] neg_hi:[0,0,1]
	v_pk_fma_f32 v[130:131], v[132:133], v[120:121], v[130:131] op_sel:[0,0,1] op_sel_hi:[1,0,0]
	s_delay_alu instid0(VALU_DEP_1)
	v_mov_b32_e32 v135, v131
	ds_load_2addr_b64 v[130:133], v124 offset0:47 offset1:48
	v_pk_add_f32 v[22:23], v[22:23], v[136:137] neg_lo:[0,1] neg_hi:[0,1]
	v_pk_add_f32 v[24:25], v[24:25], v[134:135] neg_lo:[0,1] neg_hi:[0,1]
	s_wait_dscnt 0x0
	v_pk_mul_f32 v[134:135], v[130:131], v[122:123] op_sel:[0,1]
	s_delay_alu instid0(VALU_DEP_1) | instskip(SKIP_1) | instid1(VALU_DEP_1)
	v_pk_fma_f32 v[136:137], v[130:131], v[120:121], v[134:135] op_sel:[0,0,1] op_sel_hi:[1,1,0] neg_lo:[0,0,1] neg_hi:[0,0,1]
	v_pk_fma_f32 v[130:131], v[130:131], v[120:121], v[134:135] op_sel:[0,0,1] op_sel_hi:[1,0,0]
	v_mov_b32_e32 v137, v131
	v_pk_mul_f32 v[130:131], v[132:133], v[122:123] op_sel:[0,1]
	s_delay_alu instid0(VALU_DEP_1) | instskip(SKIP_1) | instid1(VALU_DEP_1)
	v_pk_fma_f32 v[134:135], v[132:133], v[120:121], v[130:131] op_sel:[0,0,1] op_sel_hi:[1,1,0] neg_lo:[0,0,1] neg_hi:[0,0,1]
	v_pk_fma_f32 v[130:131], v[132:133], v[120:121], v[130:131] op_sel:[0,0,1] op_sel_hi:[1,0,0]
	v_mov_b32_e32 v135, v131
	ds_load_2addr_b64 v[130:133], v124 offset0:49 offset1:50
	v_pk_add_f32 v[20:21], v[20:21], v[136:137] neg_lo:[0,1] neg_hi:[0,1]
	v_pk_add_f32 v[14:15], v[14:15], v[134:135] neg_lo:[0,1] neg_hi:[0,1]
	s_wait_dscnt 0x0
	v_dual_mul_f32 v134, v131, v123 :: v_dual_mul_f32 v136, v131, v120
	s_delay_alu instid0(VALU_DEP_1) | instskip(NEXT) | instid1(VALU_DEP_2)
	v_pk_fma_f32 v[134:135], v[130:131], v[116:117], v[134:135] op_sel_hi:[1,1,0] neg_lo:[0,0,1] neg_hi:[0,0,1]
	v_pk_fma_f32 v[130:131], v[130:131], v[116:117], v[136:137] op_sel:[1,0,0] op_sel_hi:[0,1,0]
	s_delay_alu instid0(VALU_DEP_1) | instskip(SKIP_1) | instid1(VALU_DEP_2)
	v_mov_b32_e32 v135, v131
	v_pk_mul_f32 v[130:131], v[132:133], v[122:123] op_sel:[0,1]
	v_pk_add_f32 v[10:11], v[10:11], v[134:135] neg_lo:[0,1] neg_hi:[0,1]
	s_delay_alu instid0(VALU_DEP_2) | instskip(SKIP_1) | instid1(VALU_DEP_1)
	v_pk_fma_f32 v[134:135], v[132:133], v[120:121], v[130:131] op_sel:[0,0,1] op_sel_hi:[1,1,0] neg_lo:[0,0,1] neg_hi:[0,0,1]
	v_pk_fma_f32 v[130:131], v[132:133], v[120:121], v[130:131] op_sel:[0,0,1] op_sel_hi:[1,0,0]
	v_mov_b32_e32 v135, v131
	ds_load_2addr_b64 v[130:133], v124 offset0:51 offset1:52
	v_pk_add_f32 v[12:13], v[12:13], v[134:135] neg_lo:[0,1] neg_hi:[0,1]
	s_wait_dscnt 0x0
	v_pk_mul_f32 v[134:135], v[130:131], v[122:123] op_sel:[0,1]
	s_delay_alu instid0(VALU_DEP_1) | instskip(SKIP_1) | instid1(VALU_DEP_1)
	v_pk_fma_f32 v[136:137], v[130:131], v[120:121], v[134:135] op_sel:[0,0,1] op_sel_hi:[1,1,0] neg_lo:[0,0,1] neg_hi:[0,0,1]
	v_pk_fma_f32 v[130:131], v[130:131], v[120:121], v[134:135] op_sel:[0,0,1] op_sel_hi:[1,0,0]
	v_mov_b32_e32 v137, v131
	v_pk_mul_f32 v[130:131], v[132:133], v[122:123] op_sel:[0,1]
	s_delay_alu instid0(VALU_DEP_2) | instskip(NEXT) | instid1(VALU_DEP_2)
	v_pk_add_f32 v[8:9], v[8:9], v[136:137] neg_lo:[0,1] neg_hi:[0,1]
	v_pk_fma_f32 v[134:135], v[132:133], v[120:121], v[130:131] op_sel:[0,0,1] op_sel_hi:[1,1,0] neg_lo:[0,0,1] neg_hi:[0,0,1]
	v_pk_fma_f32 v[130:131], v[132:133], v[120:121], v[130:131] op_sel:[0,0,1] op_sel_hi:[1,0,0]
	s_delay_alu instid0(VALU_DEP_1) | instskip(SKIP_4) | instid1(VALU_DEP_1)
	v_mov_b32_e32 v135, v131
	ds_load_2addr_b64 v[130:133], v124 offset0:53 offset1:54
	v_pk_add_f32 v[6:7], v[6:7], v[134:135] neg_lo:[0,1] neg_hi:[0,1]
	s_wait_dscnt 0x0
	v_pk_mul_f32 v[134:135], v[130:131], v[122:123] op_sel:[0,1]
	v_pk_fma_f32 v[136:137], v[130:131], v[120:121], v[134:135] op_sel:[0,0,1] op_sel_hi:[1,1,0] neg_lo:[0,0,1] neg_hi:[0,0,1]
	v_pk_fma_f32 v[130:131], v[130:131], v[120:121], v[134:135] op_sel:[0,0,1] op_sel_hi:[1,0,0]
	v_dual_mul_f32 v134, v133, v123 :: v_dual_mov_b32 v130, v133
	s_delay_alu instid0(VALU_DEP_2) | instskip(NEXT) | instid1(VALU_DEP_2)
	v_dual_mov_b32 v137, v131 :: v_dual_mov_b32 v131, v132
	v_pk_fma_f32 v[134:135], v[132:133], v[116:117], v[134:135] op_sel_hi:[1,1,0] neg_lo:[0,0,1] neg_hi:[0,0,1]
	v_mul_f32_e32 v132, v133, v120
	s_delay_alu instid0(VALU_DEP_3) | instskip(NEXT) | instid1(VALU_DEP_2)
	v_pk_add_f32 v[28:29], v[28:29], v[136:137] neg_lo:[0,1] neg_hi:[0,1]
	v_pk_fma_f32 v[130:131], v[130:131], v[116:117], v[132:133] op_sel_hi:[1,1,0]
	s_delay_alu instid0(VALU_DEP_1)
	v_mov_b32_e32 v135, v131
	ds_load_2addr_b64 v[130:133], v124 offset0:55 offset1:56
	v_pk_add_f32 v[18:19], v[18:19], v[134:135] neg_lo:[0,1] neg_hi:[0,1]
	s_wait_dscnt 0x0
	v_pk_mul_f32 v[134:135], v[130:131], v[122:123] op_sel:[0,1]
	v_pk_mul_f32 v[122:123], v[132:133], v[122:123] op_sel:[0,1]
	s_delay_alu instid0(VALU_DEP_2) | instskip(SKIP_1) | instid1(VALU_DEP_1)
	v_pk_fma_f32 v[136:137], v[130:131], v[120:121], v[134:135] op_sel:[0,0,1] op_sel_hi:[1,1,0] neg_lo:[0,0,1] neg_hi:[0,0,1]
	v_pk_fma_f32 v[130:131], v[130:131], v[120:121], v[134:135] op_sel:[0,0,1] op_sel_hi:[1,0,0]
	v_mov_b32_e32 v137, v131
	s_delay_alu instid0(VALU_DEP_4) | instskip(SKIP_1) | instid1(VALU_DEP_1)
	v_pk_fma_f32 v[130:131], v[132:133], v[120:121], v[122:123] op_sel:[0,0,1] op_sel_hi:[1,1,0] neg_lo:[0,0,1] neg_hi:[0,0,1]
	v_pk_fma_f32 v[120:121], v[132:133], v[120:121], v[122:123] op_sel:[0,0,1] op_sel_hi:[1,0,0]
	v_mov_b32_e32 v131, v121
	s_delay_alu instid0(VALU_DEP_4) | instskip(NEXT) | instid1(VALU_DEP_2)
	v_pk_add_f32 v[16:17], v[16:17], v[136:137] neg_lo:[0,1] neg_hi:[0,1]
	v_pk_add_f32 v[118:119], v[118:119], v[130:131] neg_lo:[0,1] neg_hi:[0,1]
.LBB112_22:
	s_or_b32 exec_lo, exec_lo, s0
	v_lshl_add_u32 v120, v128, 3, v124
	s_barrier_signal -1
	s_barrier_wait -1
	ds_store_b64 v120, v[114:115]
	s_wait_dscnt 0x0
	s_barrier_signal -1
	s_barrier_wait -1
	ds_load_b64 v[122:123], v124 offset:8
	v_mov_b32_e32 v120, 1
	s_cmp_lt_i32 s18, 3
	s_cbranch_scc1 .LBB112_25
; %bb.23:
	v_add3_u32 v121, v125, 0, 16
	v_mov_b32_e32 v120, 1
	s_mov_b32 s0, 2
.LBB112_24:                             ; =>This Inner Loop Header: Depth=1
	ds_load_b64 v[130:131], v121
	s_wait_dscnt 0x1
	v_cmp_gt_f32_e32 vcc_lo, 0, v122
	v_cndmask_b32_e64 v132, v122, -v122, vcc_lo
	v_cmp_gt_f32_e32 vcc_lo, 0, v123
	v_cndmask_b32_e64 v134, v123, -v123, vcc_lo
	s_wait_dscnt 0x0
	v_cmp_gt_f32_e32 vcc_lo, 0, v130
	v_cndmask_b32_e64 v133, v130, -v130, vcc_lo
	v_cmp_gt_f32_e32 vcc_lo, 0, v131
	v_cndmask_b32_e64 v135, v131, -v131, vcc_lo
	s_delay_alu instid0(VALU_DEP_1) | instskip(NEXT) | instid1(VALU_DEP_1)
	v_pk_add_f32 v[132:133], v[132:133], v[134:135]
	v_cmp_lt_f32_e32 vcc_lo, v132, v133
	v_dual_add_nc_u32 v121, 8, v121 :: v_dual_cndmask_b32 v123, v123, v131, vcc_lo
	v_cndmask_b32_e32 v122, v122, v130, vcc_lo
	v_cndmask_b32_e64 v120, v120, s0, vcc_lo
	s_add_co_i32 s0, s0, 1
	s_delay_alu instid0(SALU_CYCLE_1)
	s_cmp_lg_u32 s18, s0
	s_cbranch_scc1 .LBB112_24
.LBB112_25:
	s_wait_dscnt 0x0
	v_cmp_neq_f32_e32 vcc_lo, 0, v122
	v_cmp_neq_f32_e64 s0, 0, v123
	s_or_b32 s1, vcc_lo, s0
	s_delay_alu instid0(SALU_CYCLE_1)
	s_and_saveexec_b32 s0, s1
	s_cbranch_execz .LBB112_31
; %bb.26:
	v_cmp_ngt_f32_e64 s1, |v122|, |v123|
	s_and_saveexec_b32 s12, s1
	s_delay_alu instid0(SALU_CYCLE_1)
	s_xor_b32 s1, exec_lo, s12
	s_cbranch_execz .LBB112_28
; %bb.27:
	v_div_scale_f32 v121, null, v123, v123, v122
	v_div_scale_f32 v131, vcc_lo, v122, v123, v122
	s_delay_alu instid0(VALU_DEP_2) | instskip(SKIP_1) | instid1(TRANS32_DEP_1)
	v_rcp_f32_e32 v126, v121
	v_nop
	v_fma_f32 v130, -v121, v126, 1.0
	s_delay_alu instid0(VALU_DEP_1) | instskip(NEXT) | instid1(VALU_DEP_1)
	v_fmac_f32_e32 v126, v130, v126
	v_mul_f32_e32 v130, v131, v126
	s_delay_alu instid0(VALU_DEP_1) | instskip(NEXT) | instid1(VALU_DEP_1)
	v_fma_f32 v132, -v121, v130, v131
	v_fmac_f32_e32 v130, v132, v126
	s_delay_alu instid0(VALU_DEP_1) | instskip(NEXT) | instid1(VALU_DEP_1)
	v_fma_f32 v121, -v121, v130, v131
	v_div_fmas_f32 v121, v121, v126, v130
	s_delay_alu instid0(VALU_DEP_1) | instskip(NEXT) | instid1(VALU_DEP_1)
	v_div_fixup_f32 v121, v121, v123, v122
	v_fmac_f32_e32 v123, v122, v121
	s_delay_alu instid0(VALU_DEP_1) | instskip(SKIP_1) | instid1(VALU_DEP_2)
	v_div_scale_f32 v122, null, v123, v123, 1.0
	v_div_scale_f32 v131, vcc_lo, 1.0, v123, 1.0
	v_rcp_f32_e32 v126, v122
	v_nop
	s_delay_alu instid0(TRANS32_DEP_1) | instskip(NEXT) | instid1(VALU_DEP_1)
	v_fma_f32 v130, -v122, v126, 1.0
	v_fmac_f32_e32 v126, v130, v126
	s_delay_alu instid0(VALU_DEP_1) | instskip(NEXT) | instid1(VALU_DEP_1)
	v_mul_f32_e32 v130, v131, v126
	v_fma_f32 v132, -v122, v130, v131
	s_delay_alu instid0(VALU_DEP_1) | instskip(NEXT) | instid1(VALU_DEP_1)
	v_fmac_f32_e32 v130, v132, v126
	v_fma_f32 v122, -v122, v130, v131
	s_delay_alu instid0(VALU_DEP_1) | instskip(NEXT) | instid1(VALU_DEP_1)
	v_div_fmas_f32 v122, v122, v126, v130
	v_div_fixup_f32 v123, v122, v123, 1.0
	s_delay_alu instid0(VALU_DEP_1)
	v_mul_f32_e32 v122, v121, v123
	v_xor_b32_e32 v123, 0x80000000, v123
.LBB112_28:
	s_and_not1_saveexec_b32 s1, s1
	s_cbranch_execz .LBB112_30
; %bb.29:
	s_delay_alu instid0(VALU_DEP_1) | instskip(SKIP_1) | instid1(VALU_DEP_2)
	v_div_scale_f32 v121, null, v122, v122, v123
	v_div_scale_f32 v131, vcc_lo, v123, v122, v123
	v_rcp_f32_e32 v126, v121
	v_nop
	s_delay_alu instid0(TRANS32_DEP_1) | instskip(NEXT) | instid1(VALU_DEP_1)
	v_fma_f32 v130, -v121, v126, 1.0
	v_fmac_f32_e32 v126, v130, v126
	s_delay_alu instid0(VALU_DEP_1) | instskip(NEXT) | instid1(VALU_DEP_1)
	v_mul_f32_e32 v130, v131, v126
	v_fma_f32 v132, -v121, v130, v131
	s_delay_alu instid0(VALU_DEP_1) | instskip(NEXT) | instid1(VALU_DEP_1)
	v_fmac_f32_e32 v130, v132, v126
	v_fma_f32 v121, -v121, v130, v131
	s_delay_alu instid0(VALU_DEP_1) | instskip(NEXT) | instid1(VALU_DEP_1)
	v_div_fmas_f32 v121, v121, v126, v130
	v_div_fixup_f32 v121, v121, v122, v123
	s_delay_alu instid0(VALU_DEP_1) | instskip(NEXT) | instid1(VALU_DEP_1)
	v_fmac_f32_e32 v122, v123, v121
	v_div_scale_f32 v123, null, v122, v122, 1.0
	s_delay_alu instid0(VALU_DEP_1) | instskip(SKIP_1) | instid1(TRANS32_DEP_1)
	v_rcp_f32_e32 v126, v123
	v_nop
	v_fma_f32 v130, -v123, v126, 1.0
	s_delay_alu instid0(VALU_DEP_1) | instskip(SKIP_1) | instid1(VALU_DEP_1)
	v_fmac_f32_e32 v126, v130, v126
	v_div_scale_f32 v130, vcc_lo, 1.0, v122, 1.0
	v_mul_f32_e32 v131, v130, v126
	s_delay_alu instid0(VALU_DEP_1) | instskip(NEXT) | instid1(VALU_DEP_1)
	v_fma_f32 v132, -v123, v131, v130
	v_fmac_f32_e32 v131, v132, v126
	s_delay_alu instid0(VALU_DEP_1) | instskip(NEXT) | instid1(VALU_DEP_1)
	v_fma_f32 v123, -v123, v131, v130
	v_div_fmas_f32 v123, v123, v126, v131
	s_delay_alu instid0(VALU_DEP_1) | instskip(NEXT) | instid1(VALU_DEP_1)
	v_div_fixup_f32 v122, v123, v122, 1.0
	v_mul_f32_e64 v123, v121, -v122
.LBB112_30:
	s_or_b32 exec_lo, exec_lo, s1
	v_mov_b32_e32 v126, v129
.LBB112_31:
	s_or_b32 exec_lo, exec_lo, s0
	s_delay_alu instid0(SALU_CYCLE_1)
	s_mov_b32 s0, exec_lo
	v_cmpx_ne_u32_e64 v128, v120
	s_xor_b32 s0, exec_lo, s0
	s_cbranch_execz .LBB112_37
; %bb.32:
	s_mov_b32 s1, exec_lo
	v_cmpx_eq_u32_e32 1, v128
	s_cbranch_execz .LBB112_36
; %bb.33:
	v_cmp_ne_u32_e32 vcc_lo, 1, v120
	s_xor_b32 s12, s16, -1
	s_delay_alu instid0(SALU_CYCLE_1) | instskip(NEXT) | instid1(SALU_CYCLE_1)
	s_and_b32 s13, s12, vcc_lo
	s_and_saveexec_b32 s12, s13
	s_cbranch_execz .LBB112_35
; %bb.34:
	v_ashrrev_i32_e32 v121, 31, v120
	s_delay_alu instid0(VALU_DEP_1)
	v_lshl_add_u64 v[128:129], v[120:121], 2, v[4:5]
	s_clause 0x1
	global_load_b32 v121, v[128:129], off
	global_load_b32 v127, v[4:5], off offset:4
	s_wait_loadcnt 0x1
	global_store_b32 v[4:5], v121, off offset:4
	s_wait_loadcnt 0x0
	global_store_b32 v[128:129], v127, off
.LBB112_35:
	s_wait_xcnt 0x0
	s_or_b32 exec_lo, exec_lo, s12
	v_dual_mov_b32 v128, v120 :: v_dual_mov_b32 v127, v120
.LBB112_36:
	s_or_b32 exec_lo, exec_lo, s1
.LBB112_37:
	s_and_not1_saveexec_b32 s0, s0
	s_cbranch_execz .LBB112_39
; %bb.38:
	v_dual_mov_b32 v120, v112 :: v_dual_mov_b32 v121, v113
	v_dual_mov_b32 v128, v110 :: v_dual_mov_b32 v129, v111
	ds_store_2addr_b64 v124, v[120:121], v[128:129] offset0:2 offset1:3
	v_dual_mov_b32 v120, v108 :: v_dual_mov_b32 v121, v109
	v_dual_mov_b32 v128, v106 :: v_dual_mov_b32 v129, v107
	ds_store_2addr_b64 v124, v[120:121], v[128:129] offset0:4 offset1:5
	;; [unrolled: 3-line block ×27, first 2 shown]
	ds_store_b64 v124, v[118:119] offset:448
	v_mov_b32_e32 v128, 1
.LBB112_39:
	s_or_b32 exec_lo, exec_lo, s0
	s_delay_alu instid0(SALU_CYCLE_1)
	s_mov_b32 s0, exec_lo
	s_wait_storecnt_dscnt 0x0
	s_barrier_signal -1
	s_barrier_wait -1
	v_cmpx_lt_i32_e32 1, v128
	s_cbranch_execz .LBB112_41
; %bb.40:
	v_pk_mul_f32 v[130:131], v[122:123], v[114:115] op_sel:[1,1] op_sel_hi:[0,1]
	s_delay_alu instid0(VALU_DEP_1)
	v_pk_fma_f32 v[120:121], v[122:123], v[114:115], v[130:131] op_sel_hi:[1,0,1] neg_lo:[0,0,1] neg_hi:[0,0,1]
	v_pk_fma_f32 v[122:123], v[122:123], v[114:115], v[130:131] op_sel_hi:[1,0,1]
	ds_load_2addr_b64 v[130:133], v124 offset0:2 offset1:3
	v_dual_mov_b32 v114, v120 :: v_dual_mov_b32 v115, v123
	s_wait_dscnt 0x0
	v_pk_mul_f32 v[134:135], v[130:131], v[122:123] op_sel:[0,1]
	s_delay_alu instid0(VALU_DEP_1) | instskip(SKIP_1) | instid1(VALU_DEP_1)
	v_pk_fma_f32 v[136:137], v[130:131], v[120:121], v[134:135] op_sel:[0,0,1] op_sel_hi:[1,1,0] neg_lo:[0,0,1] neg_hi:[0,0,1]
	v_pk_fma_f32 v[130:131], v[130:131], v[120:121], v[134:135] op_sel:[0,0,1] op_sel_hi:[1,0,0]
	v_mov_b32_e32 v137, v131
	v_pk_mul_f32 v[130:131], v[132:133], v[122:123] op_sel:[0,1]
	s_delay_alu instid0(VALU_DEP_1) | instskip(SKIP_1) | instid1(VALU_DEP_1)
	v_pk_fma_f32 v[134:135], v[132:133], v[120:121], v[130:131] op_sel:[0,0,1] op_sel_hi:[1,1,0] neg_lo:[0,0,1] neg_hi:[0,0,1]
	v_pk_fma_f32 v[130:131], v[132:133], v[120:121], v[130:131] op_sel:[0,0,1] op_sel_hi:[1,0,0]
	v_mov_b32_e32 v135, v131
	ds_load_2addr_b64 v[130:133], v124 offset0:4 offset1:5
	v_pk_add_f32 v[112:113], v[112:113], v[136:137] neg_lo:[0,1] neg_hi:[0,1]
	v_pk_add_f32 v[110:111], v[110:111], v[134:135] neg_lo:[0,1] neg_hi:[0,1]
	s_wait_dscnt 0x0
	v_pk_mul_f32 v[134:135], v[130:131], v[122:123] op_sel:[0,1]
	s_delay_alu instid0(VALU_DEP_1) | instskip(SKIP_2) | instid1(VALU_DEP_2)
	v_pk_fma_f32 v[136:137], v[130:131], v[120:121], v[134:135] op_sel:[0,0,1] op_sel_hi:[1,1,0] neg_lo:[0,0,1] neg_hi:[0,0,1]
	v_pk_fma_f32 v[130:131], v[130:131], v[120:121], v[134:135] op_sel:[0,0,1] op_sel_hi:[1,0,0]
	v_dual_mul_f32 v134, v133, v123 :: v_dual_mov_b32 v130, v133
	v_dual_mov_b32 v137, v131 :: v_dual_mov_b32 v131, v132
	s_delay_alu instid0(VALU_DEP_2) | instskip(SKIP_1) | instid1(VALU_DEP_3)
	v_pk_fma_f32 v[134:135], v[132:133], v[114:115], v[134:135] op_sel_hi:[1,1,0] neg_lo:[0,0,1] neg_hi:[0,0,1]
	v_mul_f32_e32 v132, v133, v120
	v_pk_add_f32 v[108:109], v[108:109], v[136:137] neg_lo:[0,1] neg_hi:[0,1]
	s_delay_alu instid0(VALU_DEP_2) | instskip(NEXT) | instid1(VALU_DEP_1)
	v_pk_fma_f32 v[130:131], v[130:131], v[114:115], v[132:133] op_sel_hi:[1,1,0]
	v_mov_b32_e32 v135, v131
	ds_load_2addr_b64 v[130:133], v124 offset0:6 offset1:7
	v_pk_add_f32 v[106:107], v[106:107], v[134:135] neg_lo:[0,1] neg_hi:[0,1]
	s_wait_dscnt 0x0
	v_pk_mul_f32 v[134:135], v[130:131], v[122:123] op_sel:[0,1]
	s_delay_alu instid0(VALU_DEP_1) | instskip(SKIP_1) | instid1(VALU_DEP_1)
	v_pk_fma_f32 v[136:137], v[130:131], v[120:121], v[134:135] op_sel:[0,0,1] op_sel_hi:[1,1,0] neg_lo:[0,0,1] neg_hi:[0,0,1]
	v_pk_fma_f32 v[130:131], v[130:131], v[120:121], v[134:135] op_sel:[0,0,1] op_sel_hi:[1,0,0]
	v_mov_b32_e32 v137, v131
	v_pk_mul_f32 v[130:131], v[132:133], v[122:123] op_sel:[0,1]
	s_delay_alu instid0(VALU_DEP_1) | instskip(SKIP_1) | instid1(VALU_DEP_1)
	v_pk_fma_f32 v[134:135], v[132:133], v[120:121], v[130:131] op_sel:[0,0,1] op_sel_hi:[1,1,0] neg_lo:[0,0,1] neg_hi:[0,0,1]
	v_pk_fma_f32 v[130:131], v[132:133], v[120:121], v[130:131] op_sel:[0,0,1] op_sel_hi:[1,0,0]
	v_mov_b32_e32 v135, v131
	ds_load_2addr_b64 v[130:133], v124 offset0:8 offset1:9
	v_pk_add_f32 v[88:89], v[88:89], v[136:137] neg_lo:[0,1] neg_hi:[0,1]
	v_pk_add_f32 v[86:87], v[86:87], v[134:135] neg_lo:[0,1] neg_hi:[0,1]
	s_wait_dscnt 0x0
	v_pk_mul_f32 v[134:135], v[130:131], v[122:123] op_sel:[0,1]
	s_delay_alu instid0(VALU_DEP_1) | instskip(SKIP_1) | instid1(VALU_DEP_1)
	v_pk_fma_f32 v[136:137], v[130:131], v[120:121], v[134:135] op_sel:[0,0,1] op_sel_hi:[1,1,0] neg_lo:[0,0,1] neg_hi:[0,0,1]
	v_pk_fma_f32 v[130:131], v[130:131], v[120:121], v[134:135] op_sel:[0,0,1] op_sel_hi:[1,0,0]
	v_mov_b32_e32 v137, v131
	v_pk_mul_f32 v[130:131], v[132:133], v[122:123] op_sel:[0,1]
	s_delay_alu instid0(VALU_DEP_1) | instskip(SKIP_1) | instid1(VALU_DEP_1)
	v_pk_fma_f32 v[134:135], v[132:133], v[120:121], v[130:131] op_sel:[0,0,1] op_sel_hi:[1,1,0] neg_lo:[0,0,1] neg_hi:[0,0,1]
	v_pk_fma_f32 v[130:131], v[132:133], v[120:121], v[130:131] op_sel:[0,0,1] op_sel_hi:[1,0,0]
	v_mov_b32_e32 v135, v131
	ds_load_2addr_b64 v[130:133], v124 offset0:10 offset1:11
	v_pk_add_f32 v[104:105], v[104:105], v[136:137] neg_lo:[0,1] neg_hi:[0,1]
	v_pk_add_f32 v[100:101], v[100:101], v[134:135] neg_lo:[0,1] neg_hi:[0,1]
	s_wait_dscnt 0x0
	v_dual_mul_f32 v134, v131, v123 :: v_dual_mul_f32 v136, v131, v120
	s_delay_alu instid0(VALU_DEP_1) | instskip(NEXT) | instid1(VALU_DEP_2)
	v_pk_fma_f32 v[134:135], v[130:131], v[114:115], v[134:135] op_sel_hi:[1,1,0] neg_lo:[0,0,1] neg_hi:[0,0,1]
	v_pk_fma_f32 v[130:131], v[130:131], v[114:115], v[136:137] op_sel:[1,0,0] op_sel_hi:[0,1,0]
	s_delay_alu instid0(VALU_DEP_1) | instskip(SKIP_1) | instid1(VALU_DEP_2)
	v_mov_b32_e32 v135, v131
	v_pk_mul_f32 v[130:131], v[132:133], v[122:123] op_sel:[0,1]
	v_pk_add_f32 v[102:103], v[102:103], v[134:135] neg_lo:[0,1] neg_hi:[0,1]
	s_delay_alu instid0(VALU_DEP_2) | instskip(SKIP_1) | instid1(VALU_DEP_1)
	v_pk_fma_f32 v[134:135], v[132:133], v[120:121], v[130:131] op_sel:[0,0,1] op_sel_hi:[1,1,0] neg_lo:[0,0,1] neg_hi:[0,0,1]
	v_pk_fma_f32 v[130:131], v[132:133], v[120:121], v[130:131] op_sel:[0,0,1] op_sel_hi:[1,0,0]
	v_mov_b32_e32 v135, v131
	ds_load_2addr_b64 v[130:133], v124 offset0:12 offset1:13
	v_pk_add_f32 v[98:99], v[98:99], v[134:135] neg_lo:[0,1] neg_hi:[0,1]
	s_wait_dscnt 0x0
	v_pk_mul_f32 v[134:135], v[130:131], v[122:123] op_sel:[0,1]
	s_delay_alu instid0(VALU_DEP_1) | instskip(SKIP_1) | instid1(VALU_DEP_1)
	v_pk_fma_f32 v[136:137], v[130:131], v[120:121], v[134:135] op_sel:[0,0,1] op_sel_hi:[1,1,0] neg_lo:[0,0,1] neg_hi:[0,0,1]
	v_pk_fma_f32 v[130:131], v[130:131], v[120:121], v[134:135] op_sel:[0,0,1] op_sel_hi:[1,0,0]
	v_mov_b32_e32 v137, v131
	v_pk_mul_f32 v[130:131], v[132:133], v[122:123] op_sel:[0,1]
	s_delay_alu instid0(VALU_DEP_2) | instskip(NEXT) | instid1(VALU_DEP_2)
	v_pk_add_f32 v[96:97], v[96:97], v[136:137] neg_lo:[0,1] neg_hi:[0,1]
	v_pk_fma_f32 v[134:135], v[132:133], v[120:121], v[130:131] op_sel:[0,0,1] op_sel_hi:[1,1,0] neg_lo:[0,0,1] neg_hi:[0,0,1]
	v_pk_fma_f32 v[130:131], v[132:133], v[120:121], v[130:131] op_sel:[0,0,1] op_sel_hi:[1,0,0]
	s_delay_alu instid0(VALU_DEP_1) | instskip(SKIP_4) | instid1(VALU_DEP_1)
	v_mov_b32_e32 v135, v131
	ds_load_2addr_b64 v[130:133], v124 offset0:14 offset1:15
	v_pk_add_f32 v[92:93], v[92:93], v[134:135] neg_lo:[0,1] neg_hi:[0,1]
	s_wait_dscnt 0x0
	v_pk_mul_f32 v[134:135], v[130:131], v[122:123] op_sel:[0,1]
	v_pk_fma_f32 v[136:137], v[130:131], v[120:121], v[134:135] op_sel:[0,0,1] op_sel_hi:[1,1,0] neg_lo:[0,0,1] neg_hi:[0,0,1]
	v_pk_fma_f32 v[130:131], v[130:131], v[120:121], v[134:135] op_sel:[0,0,1] op_sel_hi:[1,0,0]
	v_dual_mul_f32 v134, v133, v123 :: v_dual_mov_b32 v130, v133
	s_delay_alu instid0(VALU_DEP_2) | instskip(NEXT) | instid1(VALU_DEP_2)
	v_dual_mov_b32 v137, v131 :: v_dual_mov_b32 v131, v132
	v_pk_fma_f32 v[134:135], v[132:133], v[114:115], v[134:135] op_sel_hi:[1,1,0] neg_lo:[0,0,1] neg_hi:[0,0,1]
	v_mul_f32_e32 v132, v133, v120
	s_delay_alu instid0(VALU_DEP_3) | instskip(NEXT) | instid1(VALU_DEP_2)
	v_pk_add_f32 v[94:95], v[94:95], v[136:137] neg_lo:[0,1] neg_hi:[0,1]
	v_pk_fma_f32 v[130:131], v[130:131], v[114:115], v[132:133] op_sel_hi:[1,1,0]
	s_delay_alu instid0(VALU_DEP_1) | instskip(SKIP_4) | instid1(VALU_DEP_1)
	v_mov_b32_e32 v135, v131
	ds_load_2addr_b64 v[130:133], v124 offset0:16 offset1:17
	v_pk_add_f32 v[90:91], v[90:91], v[134:135] neg_lo:[0,1] neg_hi:[0,1]
	s_wait_dscnt 0x0
	v_pk_mul_f32 v[134:135], v[130:131], v[122:123] op_sel:[0,1]
	v_pk_fma_f32 v[136:137], v[130:131], v[120:121], v[134:135] op_sel:[0,0,1] op_sel_hi:[1,1,0] neg_lo:[0,0,1] neg_hi:[0,0,1]
	v_pk_fma_f32 v[130:131], v[130:131], v[120:121], v[134:135] op_sel:[0,0,1] op_sel_hi:[1,0,0]
	s_delay_alu instid0(VALU_DEP_1) | instskip(SKIP_1) | instid1(VALU_DEP_1)
	v_mov_b32_e32 v137, v131
	v_pk_mul_f32 v[130:131], v[132:133], v[122:123] op_sel:[0,1]
	v_pk_fma_f32 v[134:135], v[132:133], v[120:121], v[130:131] op_sel:[0,0,1] op_sel_hi:[1,1,0] neg_lo:[0,0,1] neg_hi:[0,0,1]
	v_pk_fma_f32 v[130:131], v[132:133], v[120:121], v[130:131] op_sel:[0,0,1] op_sel_hi:[1,0,0]
	s_delay_alu instid0(VALU_DEP_1)
	v_mov_b32_e32 v135, v131
	ds_load_2addr_b64 v[130:133], v124 offset0:18 offset1:19
	v_pk_add_f32 v[84:85], v[84:85], v[136:137] neg_lo:[0,1] neg_hi:[0,1]
	v_pk_add_f32 v[80:81], v[80:81], v[134:135] neg_lo:[0,1] neg_hi:[0,1]
	s_wait_dscnt 0x0
	v_pk_mul_f32 v[134:135], v[130:131], v[122:123] op_sel:[0,1]
	s_delay_alu instid0(VALU_DEP_1) | instskip(SKIP_1) | instid1(VALU_DEP_1)
	v_pk_fma_f32 v[136:137], v[130:131], v[120:121], v[134:135] op_sel:[0,0,1] op_sel_hi:[1,1,0] neg_lo:[0,0,1] neg_hi:[0,0,1]
	v_pk_fma_f32 v[130:131], v[130:131], v[120:121], v[134:135] op_sel:[0,0,1] op_sel_hi:[1,0,0]
	v_mov_b32_e32 v137, v131
	v_pk_mul_f32 v[130:131], v[132:133], v[122:123] op_sel:[0,1]
	s_delay_alu instid0(VALU_DEP_1) | instskip(SKIP_1) | instid1(VALU_DEP_1)
	v_pk_fma_f32 v[134:135], v[132:133], v[120:121], v[130:131] op_sel:[0,0,1] op_sel_hi:[1,1,0] neg_lo:[0,0,1] neg_hi:[0,0,1]
	v_pk_fma_f32 v[130:131], v[132:133], v[120:121], v[130:131] op_sel:[0,0,1] op_sel_hi:[1,0,0]
	v_mov_b32_e32 v135, v131
	ds_load_2addr_b64 v[130:133], v124 offset0:20 offset1:21
	v_pk_add_f32 v[82:83], v[82:83], v[136:137] neg_lo:[0,1] neg_hi:[0,1]
	v_pk_add_f32 v[78:79], v[78:79], v[134:135] neg_lo:[0,1] neg_hi:[0,1]
	s_wait_dscnt 0x0
	v_dual_mul_f32 v134, v131, v123 :: v_dual_mul_f32 v136, v131, v120
	s_delay_alu instid0(VALU_DEP_1) | instskip(NEXT) | instid1(VALU_DEP_2)
	v_pk_fma_f32 v[134:135], v[130:131], v[114:115], v[134:135] op_sel_hi:[1,1,0] neg_lo:[0,0,1] neg_hi:[0,0,1]
	v_pk_fma_f32 v[130:131], v[130:131], v[114:115], v[136:137] op_sel:[1,0,0] op_sel_hi:[0,1,0]
	s_delay_alu instid0(VALU_DEP_1) | instskip(SKIP_1) | instid1(VALU_DEP_2)
	v_mov_b32_e32 v135, v131
	v_pk_mul_f32 v[130:131], v[132:133], v[122:123] op_sel:[0,1]
	v_pk_add_f32 v[76:77], v[76:77], v[134:135] neg_lo:[0,1] neg_hi:[0,1]
	s_delay_alu instid0(VALU_DEP_2) | instskip(SKIP_1) | instid1(VALU_DEP_1)
	v_pk_fma_f32 v[134:135], v[132:133], v[120:121], v[130:131] op_sel:[0,0,1] op_sel_hi:[1,1,0] neg_lo:[0,0,1] neg_hi:[0,0,1]
	v_pk_fma_f32 v[130:131], v[132:133], v[120:121], v[130:131] op_sel:[0,0,1] op_sel_hi:[1,0,0]
	v_mov_b32_e32 v135, v131
	ds_load_2addr_b64 v[130:133], v124 offset0:22 offset1:23
	v_pk_add_f32 v[72:73], v[72:73], v[134:135] neg_lo:[0,1] neg_hi:[0,1]
	s_wait_dscnt 0x0
	v_pk_mul_f32 v[134:135], v[130:131], v[122:123] op_sel:[0,1]
	s_delay_alu instid0(VALU_DEP_1) | instskip(SKIP_1) | instid1(VALU_DEP_1)
	v_pk_fma_f32 v[136:137], v[130:131], v[120:121], v[134:135] op_sel:[0,0,1] op_sel_hi:[1,1,0] neg_lo:[0,0,1] neg_hi:[0,0,1]
	v_pk_fma_f32 v[130:131], v[130:131], v[120:121], v[134:135] op_sel:[0,0,1] op_sel_hi:[1,0,0]
	v_mov_b32_e32 v137, v131
	v_pk_mul_f32 v[130:131], v[132:133], v[122:123] op_sel:[0,1]
	s_delay_alu instid0(VALU_DEP_2) | instskip(NEXT) | instid1(VALU_DEP_2)
	v_pk_add_f32 v[74:75], v[74:75], v[136:137] neg_lo:[0,1] neg_hi:[0,1]
	v_pk_fma_f32 v[134:135], v[132:133], v[120:121], v[130:131] op_sel:[0,0,1] op_sel_hi:[1,1,0] neg_lo:[0,0,1] neg_hi:[0,0,1]
	v_pk_fma_f32 v[130:131], v[132:133], v[120:121], v[130:131] op_sel:[0,0,1] op_sel_hi:[1,0,0]
	s_delay_alu instid0(VALU_DEP_1) | instskip(SKIP_4) | instid1(VALU_DEP_1)
	v_mov_b32_e32 v135, v131
	ds_load_2addr_b64 v[130:133], v124 offset0:24 offset1:25
	v_pk_add_f32 v[70:71], v[70:71], v[134:135] neg_lo:[0,1] neg_hi:[0,1]
	s_wait_dscnt 0x0
	v_pk_mul_f32 v[134:135], v[130:131], v[122:123] op_sel:[0,1]
	v_pk_fma_f32 v[136:137], v[130:131], v[120:121], v[134:135] op_sel:[0,0,1] op_sel_hi:[1,1,0] neg_lo:[0,0,1] neg_hi:[0,0,1]
	v_pk_fma_f32 v[130:131], v[130:131], v[120:121], v[134:135] op_sel:[0,0,1] op_sel_hi:[1,0,0]
	v_dual_mul_f32 v134, v133, v123 :: v_dual_mov_b32 v130, v133
	s_delay_alu instid0(VALU_DEP_2) | instskip(NEXT) | instid1(VALU_DEP_2)
	v_dual_mov_b32 v137, v131 :: v_dual_mov_b32 v131, v132
	v_pk_fma_f32 v[134:135], v[132:133], v[114:115], v[134:135] op_sel_hi:[1,1,0] neg_lo:[0,0,1] neg_hi:[0,0,1]
	v_mul_f32_e32 v132, v133, v120
	s_delay_alu instid0(VALU_DEP_3) | instskip(NEXT) | instid1(VALU_DEP_2)
	v_pk_add_f32 v[68:69], v[68:69], v[136:137] neg_lo:[0,1] neg_hi:[0,1]
	v_pk_fma_f32 v[130:131], v[130:131], v[114:115], v[132:133] op_sel_hi:[1,1,0]
	s_delay_alu instid0(VALU_DEP_1) | instskip(SKIP_4) | instid1(VALU_DEP_1)
	v_mov_b32_e32 v135, v131
	ds_load_2addr_b64 v[130:133], v124 offset0:26 offset1:27
	v_pk_add_f32 v[64:65], v[64:65], v[134:135] neg_lo:[0,1] neg_hi:[0,1]
	s_wait_dscnt 0x0
	v_pk_mul_f32 v[134:135], v[130:131], v[122:123] op_sel:[0,1]
	v_pk_fma_f32 v[136:137], v[130:131], v[120:121], v[134:135] op_sel:[0,0,1] op_sel_hi:[1,1,0] neg_lo:[0,0,1] neg_hi:[0,0,1]
	v_pk_fma_f32 v[130:131], v[130:131], v[120:121], v[134:135] op_sel:[0,0,1] op_sel_hi:[1,0,0]
	s_delay_alu instid0(VALU_DEP_1) | instskip(SKIP_1) | instid1(VALU_DEP_1)
	v_mov_b32_e32 v137, v131
	v_pk_mul_f32 v[130:131], v[132:133], v[122:123] op_sel:[0,1]
	v_pk_fma_f32 v[134:135], v[132:133], v[120:121], v[130:131] op_sel:[0,0,1] op_sel_hi:[1,1,0] neg_lo:[0,0,1] neg_hi:[0,0,1]
	v_pk_fma_f32 v[130:131], v[132:133], v[120:121], v[130:131] op_sel:[0,0,1] op_sel_hi:[1,0,0]
	s_delay_alu instid0(VALU_DEP_1)
	v_mov_b32_e32 v135, v131
	ds_load_2addr_b64 v[130:133], v124 offset0:28 offset1:29
	v_pk_add_f32 v[66:67], v[66:67], v[136:137] neg_lo:[0,1] neg_hi:[0,1]
	v_pk_add_f32 v[62:63], v[62:63], v[134:135] neg_lo:[0,1] neg_hi:[0,1]
	s_wait_dscnt 0x0
	v_pk_mul_f32 v[134:135], v[130:131], v[122:123] op_sel:[0,1]
	s_delay_alu instid0(VALU_DEP_1) | instskip(SKIP_1) | instid1(VALU_DEP_1)
	v_pk_fma_f32 v[136:137], v[130:131], v[120:121], v[134:135] op_sel:[0,0,1] op_sel_hi:[1,1,0] neg_lo:[0,0,1] neg_hi:[0,0,1]
	v_pk_fma_f32 v[130:131], v[130:131], v[120:121], v[134:135] op_sel:[0,0,1] op_sel_hi:[1,0,0]
	v_mov_b32_e32 v137, v131
	v_pk_mul_f32 v[130:131], v[132:133], v[122:123] op_sel:[0,1]
	s_delay_alu instid0(VALU_DEP_1) | instskip(SKIP_1) | instid1(VALU_DEP_1)
	v_pk_fma_f32 v[134:135], v[132:133], v[120:121], v[130:131] op_sel:[0,0,1] op_sel_hi:[1,1,0] neg_lo:[0,0,1] neg_hi:[0,0,1]
	v_pk_fma_f32 v[130:131], v[132:133], v[120:121], v[130:131] op_sel:[0,0,1] op_sel_hi:[1,0,0]
	v_mov_b32_e32 v135, v131
	ds_load_2addr_b64 v[130:133], v124 offset0:30 offset1:31
	v_pk_add_f32 v[60:61], v[60:61], v[136:137] neg_lo:[0,1] neg_hi:[0,1]
	v_pk_add_f32 v[56:57], v[56:57], v[134:135] neg_lo:[0,1] neg_hi:[0,1]
	s_wait_dscnt 0x0
	v_dual_mul_f32 v134, v131, v123 :: v_dual_mul_f32 v136, v131, v120
	s_delay_alu instid0(VALU_DEP_1) | instskip(NEXT) | instid1(VALU_DEP_2)
	v_pk_fma_f32 v[134:135], v[130:131], v[114:115], v[134:135] op_sel_hi:[1,1,0] neg_lo:[0,0,1] neg_hi:[0,0,1]
	v_pk_fma_f32 v[130:131], v[130:131], v[114:115], v[136:137] op_sel:[1,0,0] op_sel_hi:[0,1,0]
	s_delay_alu instid0(VALU_DEP_1) | instskip(SKIP_1) | instid1(VALU_DEP_2)
	v_mov_b32_e32 v135, v131
	v_pk_mul_f32 v[130:131], v[132:133], v[122:123] op_sel:[0,1]
	v_pk_add_f32 v[58:59], v[58:59], v[134:135] neg_lo:[0,1] neg_hi:[0,1]
	s_delay_alu instid0(VALU_DEP_2) | instskip(SKIP_1) | instid1(VALU_DEP_1)
	v_pk_fma_f32 v[134:135], v[132:133], v[120:121], v[130:131] op_sel:[0,0,1] op_sel_hi:[1,1,0] neg_lo:[0,0,1] neg_hi:[0,0,1]
	v_pk_fma_f32 v[130:131], v[132:133], v[120:121], v[130:131] op_sel:[0,0,1] op_sel_hi:[1,0,0]
	v_mov_b32_e32 v135, v131
	ds_load_2addr_b64 v[130:133], v124 offset0:32 offset1:33
	v_pk_add_f32 v[54:55], v[54:55], v[134:135] neg_lo:[0,1] neg_hi:[0,1]
	s_wait_dscnt 0x0
	v_pk_mul_f32 v[134:135], v[130:131], v[122:123] op_sel:[0,1]
	s_delay_alu instid0(VALU_DEP_1) | instskip(SKIP_1) | instid1(VALU_DEP_1)
	v_pk_fma_f32 v[136:137], v[130:131], v[120:121], v[134:135] op_sel:[0,0,1] op_sel_hi:[1,1,0] neg_lo:[0,0,1] neg_hi:[0,0,1]
	v_pk_fma_f32 v[130:131], v[130:131], v[120:121], v[134:135] op_sel:[0,0,1] op_sel_hi:[1,0,0]
	v_mov_b32_e32 v137, v131
	v_pk_mul_f32 v[130:131], v[132:133], v[122:123] op_sel:[0,1]
	s_delay_alu instid0(VALU_DEP_2) | instskip(NEXT) | instid1(VALU_DEP_2)
	v_pk_add_f32 v[52:53], v[52:53], v[136:137] neg_lo:[0,1] neg_hi:[0,1]
	v_pk_fma_f32 v[134:135], v[132:133], v[120:121], v[130:131] op_sel:[0,0,1] op_sel_hi:[1,1,0] neg_lo:[0,0,1] neg_hi:[0,0,1]
	v_pk_fma_f32 v[130:131], v[132:133], v[120:121], v[130:131] op_sel:[0,0,1] op_sel_hi:[1,0,0]
	s_delay_alu instid0(VALU_DEP_1) | instskip(SKIP_4) | instid1(VALU_DEP_1)
	v_mov_b32_e32 v135, v131
	ds_load_2addr_b64 v[130:133], v124 offset0:34 offset1:35
	v_pk_add_f32 v[48:49], v[48:49], v[134:135] neg_lo:[0,1] neg_hi:[0,1]
	s_wait_dscnt 0x0
	v_pk_mul_f32 v[134:135], v[130:131], v[122:123] op_sel:[0,1]
	v_pk_fma_f32 v[136:137], v[130:131], v[120:121], v[134:135] op_sel:[0,0,1] op_sel_hi:[1,1,0] neg_lo:[0,0,1] neg_hi:[0,0,1]
	v_pk_fma_f32 v[130:131], v[130:131], v[120:121], v[134:135] op_sel:[0,0,1] op_sel_hi:[1,0,0]
	v_dual_mul_f32 v134, v133, v123 :: v_dual_mov_b32 v130, v133
	s_delay_alu instid0(VALU_DEP_2) | instskip(NEXT) | instid1(VALU_DEP_2)
	v_dual_mov_b32 v137, v131 :: v_dual_mov_b32 v131, v132
	v_pk_fma_f32 v[134:135], v[132:133], v[114:115], v[134:135] op_sel_hi:[1,1,0] neg_lo:[0,0,1] neg_hi:[0,0,1]
	v_mul_f32_e32 v132, v133, v120
	s_delay_alu instid0(VALU_DEP_3) | instskip(NEXT) | instid1(VALU_DEP_2)
	v_pk_add_f32 v[50:51], v[50:51], v[136:137] neg_lo:[0,1] neg_hi:[0,1]
	v_pk_fma_f32 v[130:131], v[130:131], v[114:115], v[132:133] op_sel_hi:[1,1,0]
	s_delay_alu instid0(VALU_DEP_1) | instskip(SKIP_4) | instid1(VALU_DEP_1)
	v_mov_b32_e32 v135, v131
	ds_load_2addr_b64 v[130:133], v124 offset0:36 offset1:37
	v_pk_add_f32 v[46:47], v[46:47], v[134:135] neg_lo:[0,1] neg_hi:[0,1]
	s_wait_dscnt 0x0
	v_pk_mul_f32 v[134:135], v[130:131], v[122:123] op_sel:[0,1]
	v_pk_fma_f32 v[136:137], v[130:131], v[120:121], v[134:135] op_sel:[0,0,1] op_sel_hi:[1,1,0] neg_lo:[0,0,1] neg_hi:[0,0,1]
	v_pk_fma_f32 v[130:131], v[130:131], v[120:121], v[134:135] op_sel:[0,0,1] op_sel_hi:[1,0,0]
	s_delay_alu instid0(VALU_DEP_1) | instskip(SKIP_1) | instid1(VALU_DEP_1)
	v_mov_b32_e32 v137, v131
	v_pk_mul_f32 v[130:131], v[132:133], v[122:123] op_sel:[0,1]
	v_pk_fma_f32 v[134:135], v[132:133], v[120:121], v[130:131] op_sel:[0,0,1] op_sel_hi:[1,1,0] neg_lo:[0,0,1] neg_hi:[0,0,1]
	v_pk_fma_f32 v[130:131], v[132:133], v[120:121], v[130:131] op_sel:[0,0,1] op_sel_hi:[1,0,0]
	s_delay_alu instid0(VALU_DEP_1)
	v_mov_b32_e32 v135, v131
	ds_load_2addr_b64 v[130:133], v124 offset0:38 offset1:39
	v_pk_add_f32 v[44:45], v[44:45], v[136:137] neg_lo:[0,1] neg_hi:[0,1]
	v_pk_add_f32 v[40:41], v[40:41], v[134:135] neg_lo:[0,1] neg_hi:[0,1]
	s_wait_dscnt 0x0
	v_pk_mul_f32 v[134:135], v[130:131], v[122:123] op_sel:[0,1]
	s_delay_alu instid0(VALU_DEP_1) | instskip(SKIP_1) | instid1(VALU_DEP_1)
	v_pk_fma_f32 v[136:137], v[130:131], v[120:121], v[134:135] op_sel:[0,0,1] op_sel_hi:[1,1,0] neg_lo:[0,0,1] neg_hi:[0,0,1]
	v_pk_fma_f32 v[130:131], v[130:131], v[120:121], v[134:135] op_sel:[0,0,1] op_sel_hi:[1,0,0]
	v_mov_b32_e32 v137, v131
	v_pk_mul_f32 v[130:131], v[132:133], v[122:123] op_sel:[0,1]
	s_delay_alu instid0(VALU_DEP_1) | instskip(SKIP_1) | instid1(VALU_DEP_1)
	v_pk_fma_f32 v[134:135], v[132:133], v[120:121], v[130:131] op_sel:[0,0,1] op_sel_hi:[1,1,0] neg_lo:[0,0,1] neg_hi:[0,0,1]
	v_pk_fma_f32 v[130:131], v[132:133], v[120:121], v[130:131] op_sel:[0,0,1] op_sel_hi:[1,0,0]
	v_mov_b32_e32 v135, v131
	ds_load_2addr_b64 v[130:133], v124 offset0:40 offset1:41
	v_pk_add_f32 v[42:43], v[42:43], v[136:137] neg_lo:[0,1] neg_hi:[0,1]
	v_pk_add_f32 v[38:39], v[38:39], v[134:135] neg_lo:[0,1] neg_hi:[0,1]
	s_wait_dscnt 0x0
	v_dual_mul_f32 v134, v131, v123 :: v_dual_mul_f32 v136, v131, v120
	s_delay_alu instid0(VALU_DEP_1) | instskip(NEXT) | instid1(VALU_DEP_2)
	v_pk_fma_f32 v[134:135], v[130:131], v[114:115], v[134:135] op_sel_hi:[1,1,0] neg_lo:[0,0,1] neg_hi:[0,0,1]
	v_pk_fma_f32 v[130:131], v[130:131], v[114:115], v[136:137] op_sel:[1,0,0] op_sel_hi:[0,1,0]
	s_delay_alu instid0(VALU_DEP_1) | instskip(SKIP_1) | instid1(VALU_DEP_2)
	v_mov_b32_e32 v135, v131
	v_pk_mul_f32 v[130:131], v[132:133], v[122:123] op_sel:[0,1]
	v_pk_add_f32 v[36:37], v[36:37], v[134:135] neg_lo:[0,1] neg_hi:[0,1]
	s_delay_alu instid0(VALU_DEP_2) | instskip(SKIP_1) | instid1(VALU_DEP_1)
	v_pk_fma_f32 v[134:135], v[132:133], v[120:121], v[130:131] op_sel:[0,0,1] op_sel_hi:[1,1,0] neg_lo:[0,0,1] neg_hi:[0,0,1]
	v_pk_fma_f32 v[130:131], v[132:133], v[120:121], v[130:131] op_sel:[0,0,1] op_sel_hi:[1,0,0]
	v_mov_b32_e32 v135, v131
	ds_load_2addr_b64 v[130:133], v124 offset0:42 offset1:43
	v_pk_add_f32 v[32:33], v[32:33], v[134:135] neg_lo:[0,1] neg_hi:[0,1]
	s_wait_dscnt 0x0
	v_pk_mul_f32 v[134:135], v[130:131], v[122:123] op_sel:[0,1]
	s_delay_alu instid0(VALU_DEP_1) | instskip(SKIP_1) | instid1(VALU_DEP_1)
	v_pk_fma_f32 v[136:137], v[130:131], v[120:121], v[134:135] op_sel:[0,0,1] op_sel_hi:[1,1,0] neg_lo:[0,0,1] neg_hi:[0,0,1]
	v_pk_fma_f32 v[130:131], v[130:131], v[120:121], v[134:135] op_sel:[0,0,1] op_sel_hi:[1,0,0]
	v_mov_b32_e32 v137, v131
	v_pk_mul_f32 v[130:131], v[132:133], v[122:123] op_sel:[0,1]
	s_delay_alu instid0(VALU_DEP_2) | instskip(NEXT) | instid1(VALU_DEP_2)
	v_pk_add_f32 v[34:35], v[34:35], v[136:137] neg_lo:[0,1] neg_hi:[0,1]
	v_pk_fma_f32 v[134:135], v[132:133], v[120:121], v[130:131] op_sel:[0,0,1] op_sel_hi:[1,1,0] neg_lo:[0,0,1] neg_hi:[0,0,1]
	v_pk_fma_f32 v[130:131], v[132:133], v[120:121], v[130:131] op_sel:[0,0,1] op_sel_hi:[1,0,0]
	s_delay_alu instid0(VALU_DEP_1) | instskip(SKIP_4) | instid1(VALU_DEP_1)
	v_mov_b32_e32 v135, v131
	ds_load_2addr_b64 v[130:133], v124 offset0:44 offset1:45
	v_pk_add_f32 v[30:31], v[30:31], v[134:135] neg_lo:[0,1] neg_hi:[0,1]
	s_wait_dscnt 0x0
	v_pk_mul_f32 v[134:135], v[130:131], v[122:123] op_sel:[0,1]
	v_pk_fma_f32 v[136:137], v[130:131], v[120:121], v[134:135] op_sel:[0,0,1] op_sel_hi:[1,1,0] neg_lo:[0,0,1] neg_hi:[0,0,1]
	v_pk_fma_f32 v[130:131], v[130:131], v[120:121], v[134:135] op_sel:[0,0,1] op_sel_hi:[1,0,0]
	v_dual_mul_f32 v134, v133, v123 :: v_dual_mov_b32 v130, v133
	s_delay_alu instid0(VALU_DEP_2) | instskip(NEXT) | instid1(VALU_DEP_2)
	v_dual_mov_b32 v137, v131 :: v_dual_mov_b32 v131, v132
	v_pk_fma_f32 v[134:135], v[132:133], v[114:115], v[134:135] op_sel_hi:[1,1,0] neg_lo:[0,0,1] neg_hi:[0,0,1]
	v_mul_f32_e32 v132, v133, v120
	s_delay_alu instid0(VALU_DEP_3) | instskip(NEXT) | instid1(VALU_DEP_2)
	v_pk_add_f32 v[26:27], v[26:27], v[136:137] neg_lo:[0,1] neg_hi:[0,1]
	v_pk_fma_f32 v[130:131], v[130:131], v[114:115], v[132:133] op_sel_hi:[1,1,0]
	s_delay_alu instid0(VALU_DEP_1) | instskip(SKIP_4) | instid1(VALU_DEP_1)
	v_mov_b32_e32 v135, v131
	ds_load_2addr_b64 v[130:133], v124 offset0:46 offset1:47
	v_pk_add_f32 v[22:23], v[22:23], v[134:135] neg_lo:[0,1] neg_hi:[0,1]
	s_wait_dscnt 0x0
	v_pk_mul_f32 v[134:135], v[130:131], v[122:123] op_sel:[0,1]
	v_pk_fma_f32 v[136:137], v[130:131], v[120:121], v[134:135] op_sel:[0,0,1] op_sel_hi:[1,1,0] neg_lo:[0,0,1] neg_hi:[0,0,1]
	v_pk_fma_f32 v[130:131], v[130:131], v[120:121], v[134:135] op_sel:[0,0,1] op_sel_hi:[1,0,0]
	s_delay_alu instid0(VALU_DEP_1) | instskip(SKIP_1) | instid1(VALU_DEP_1)
	v_mov_b32_e32 v137, v131
	v_pk_mul_f32 v[130:131], v[132:133], v[122:123] op_sel:[0,1]
	v_pk_fma_f32 v[134:135], v[132:133], v[120:121], v[130:131] op_sel:[0,0,1] op_sel_hi:[1,1,0] neg_lo:[0,0,1] neg_hi:[0,0,1]
	v_pk_fma_f32 v[130:131], v[132:133], v[120:121], v[130:131] op_sel:[0,0,1] op_sel_hi:[1,0,0]
	s_delay_alu instid0(VALU_DEP_1)
	v_mov_b32_e32 v135, v131
	ds_load_2addr_b64 v[130:133], v124 offset0:48 offset1:49
	v_pk_add_f32 v[24:25], v[24:25], v[136:137] neg_lo:[0,1] neg_hi:[0,1]
	v_pk_add_f32 v[20:21], v[20:21], v[134:135] neg_lo:[0,1] neg_hi:[0,1]
	s_wait_dscnt 0x0
	v_pk_mul_f32 v[134:135], v[130:131], v[122:123] op_sel:[0,1]
	s_delay_alu instid0(VALU_DEP_1) | instskip(SKIP_1) | instid1(VALU_DEP_1)
	v_pk_fma_f32 v[136:137], v[130:131], v[120:121], v[134:135] op_sel:[0,0,1] op_sel_hi:[1,1,0] neg_lo:[0,0,1] neg_hi:[0,0,1]
	v_pk_fma_f32 v[130:131], v[130:131], v[120:121], v[134:135] op_sel:[0,0,1] op_sel_hi:[1,0,0]
	v_mov_b32_e32 v137, v131
	v_pk_mul_f32 v[130:131], v[132:133], v[122:123] op_sel:[0,1]
	s_delay_alu instid0(VALU_DEP_1) | instskip(SKIP_1) | instid1(VALU_DEP_1)
	v_pk_fma_f32 v[134:135], v[132:133], v[120:121], v[130:131] op_sel:[0,0,1] op_sel_hi:[1,1,0] neg_lo:[0,0,1] neg_hi:[0,0,1]
	v_pk_fma_f32 v[130:131], v[132:133], v[120:121], v[130:131] op_sel:[0,0,1] op_sel_hi:[1,0,0]
	v_mov_b32_e32 v135, v131
	ds_load_2addr_b64 v[130:133], v124 offset0:50 offset1:51
	v_pk_add_f32 v[14:15], v[14:15], v[136:137] neg_lo:[0,1] neg_hi:[0,1]
	v_pk_add_f32 v[10:11], v[10:11], v[134:135] neg_lo:[0,1] neg_hi:[0,1]
	s_wait_dscnt 0x0
	v_dual_mul_f32 v134, v131, v123 :: v_dual_mul_f32 v136, v131, v120
	s_delay_alu instid0(VALU_DEP_1) | instskip(NEXT) | instid1(VALU_DEP_2)
	v_pk_fma_f32 v[134:135], v[130:131], v[114:115], v[134:135] op_sel_hi:[1,1,0] neg_lo:[0,0,1] neg_hi:[0,0,1]
	v_pk_fma_f32 v[130:131], v[130:131], v[114:115], v[136:137] op_sel:[1,0,0] op_sel_hi:[0,1,0]
	s_delay_alu instid0(VALU_DEP_1) | instskip(SKIP_1) | instid1(VALU_DEP_2)
	v_mov_b32_e32 v135, v131
	v_pk_mul_f32 v[130:131], v[132:133], v[122:123] op_sel:[0,1]
	v_pk_add_f32 v[12:13], v[12:13], v[134:135] neg_lo:[0,1] neg_hi:[0,1]
	s_delay_alu instid0(VALU_DEP_2) | instskip(SKIP_1) | instid1(VALU_DEP_1)
	v_pk_fma_f32 v[134:135], v[132:133], v[120:121], v[130:131] op_sel:[0,0,1] op_sel_hi:[1,1,0] neg_lo:[0,0,1] neg_hi:[0,0,1]
	v_pk_fma_f32 v[130:131], v[132:133], v[120:121], v[130:131] op_sel:[0,0,1] op_sel_hi:[1,0,0]
	v_mov_b32_e32 v135, v131
	ds_load_2addr_b64 v[130:133], v124 offset0:52 offset1:53
	v_pk_add_f32 v[8:9], v[8:9], v[134:135] neg_lo:[0,1] neg_hi:[0,1]
	s_wait_dscnt 0x0
	v_pk_mul_f32 v[134:135], v[130:131], v[122:123] op_sel:[0,1]
	s_delay_alu instid0(VALU_DEP_1) | instskip(SKIP_1) | instid1(VALU_DEP_1)
	v_pk_fma_f32 v[136:137], v[130:131], v[120:121], v[134:135] op_sel:[0,0,1] op_sel_hi:[1,1,0] neg_lo:[0,0,1] neg_hi:[0,0,1]
	v_pk_fma_f32 v[130:131], v[130:131], v[120:121], v[134:135] op_sel:[0,0,1] op_sel_hi:[1,0,0]
	v_mov_b32_e32 v137, v131
	v_pk_mul_f32 v[130:131], v[132:133], v[122:123] op_sel:[0,1]
	s_delay_alu instid0(VALU_DEP_2) | instskip(NEXT) | instid1(VALU_DEP_2)
	v_pk_add_f32 v[6:7], v[6:7], v[136:137] neg_lo:[0,1] neg_hi:[0,1]
	v_pk_fma_f32 v[134:135], v[132:133], v[120:121], v[130:131] op_sel:[0,0,1] op_sel_hi:[1,1,0] neg_lo:[0,0,1] neg_hi:[0,0,1]
	v_pk_fma_f32 v[130:131], v[132:133], v[120:121], v[130:131] op_sel:[0,0,1] op_sel_hi:[1,0,0]
	s_delay_alu instid0(VALU_DEP_1) | instskip(SKIP_4) | instid1(VALU_DEP_1)
	v_mov_b32_e32 v135, v131
	ds_load_2addr_b64 v[130:133], v124 offset0:54 offset1:55
	v_pk_add_f32 v[28:29], v[28:29], v[134:135] neg_lo:[0,1] neg_hi:[0,1]
	s_wait_dscnt 0x0
	v_pk_mul_f32 v[134:135], v[130:131], v[122:123] op_sel:[0,1]
	v_pk_fma_f32 v[136:137], v[130:131], v[120:121], v[134:135] op_sel:[0,0,1] op_sel_hi:[1,1,0] neg_lo:[0,0,1] neg_hi:[0,0,1]
	v_pk_fma_f32 v[130:131], v[130:131], v[120:121], v[134:135] op_sel:[0,0,1] op_sel_hi:[1,0,0]
	v_dual_mul_f32 v134, v133, v123 :: v_dual_mov_b32 v130, v133
	s_delay_alu instid0(VALU_DEP_2) | instskip(NEXT) | instid1(VALU_DEP_2)
	v_dual_mov_b32 v137, v131 :: v_dual_mov_b32 v131, v132
	v_pk_fma_f32 v[134:135], v[132:133], v[114:115], v[134:135] op_sel_hi:[1,1,0] neg_lo:[0,0,1] neg_hi:[0,0,1]
	v_mul_f32_e32 v132, v133, v120
	s_delay_alu instid0(VALU_DEP_3) | instskip(NEXT) | instid1(VALU_DEP_2)
	v_pk_add_f32 v[18:19], v[18:19], v[136:137] neg_lo:[0,1] neg_hi:[0,1]
	v_pk_fma_f32 v[130:131], v[130:131], v[114:115], v[132:133] op_sel_hi:[1,1,0]
	s_delay_alu instid0(VALU_DEP_1) | instskip(SKIP_4) | instid1(VALU_DEP_1)
	v_mov_b32_e32 v135, v131
	ds_load_b64 v[130:131], v124 offset:448
	v_pk_add_f32 v[16:17], v[16:17], v[134:135] neg_lo:[0,1] neg_hi:[0,1]
	s_wait_dscnt 0x0
	v_pk_mul_f32 v[122:123], v[130:131], v[122:123] op_sel:[0,1]
	v_pk_fma_f32 v[132:133], v[130:131], v[120:121], v[122:123] op_sel:[0,0,1] op_sel_hi:[1,1,0] neg_lo:[0,0,1] neg_hi:[0,0,1]
	v_pk_fma_f32 v[120:121], v[130:131], v[120:121], v[122:123] op_sel:[0,0,1] op_sel_hi:[1,0,0]
	s_delay_alu instid0(VALU_DEP_1) | instskip(NEXT) | instid1(VALU_DEP_1)
	v_mov_b32_e32 v133, v121
	v_pk_add_f32 v[118:119], v[118:119], v[132:133] neg_lo:[0,1] neg_hi:[0,1]
.LBB112_41:
	s_or_b32 exec_lo, exec_lo, s0
	v_lshl_add_u32 v120, v128, 3, v124
	s_barrier_signal -1
	s_barrier_wait -1
	ds_store_b64 v120, v[112:113]
	s_wait_dscnt 0x0
	s_barrier_signal -1
	s_barrier_wait -1
	ds_load_b64 v[122:123], v124 offset:16
	v_mov_b32_e32 v120, 2
	s_cmp_lt_i32 s18, 4
	s_mov_b32 s0, 3
	s_cbranch_scc1 .LBB112_44
; %bb.42:
	v_add3_u32 v121, v125, 0, 24
	v_mov_b32_e32 v120, 2
.LBB112_43:                             ; =>This Inner Loop Header: Depth=1
	ds_load_b64 v[130:131], v121
	s_wait_dscnt 0x1
	v_cmp_gt_f32_e32 vcc_lo, 0, v122
	v_cndmask_b32_e64 v132, v122, -v122, vcc_lo
	v_cmp_gt_f32_e32 vcc_lo, 0, v123
	v_cndmask_b32_e64 v134, v123, -v123, vcc_lo
	s_wait_dscnt 0x0
	v_cmp_gt_f32_e32 vcc_lo, 0, v130
	v_cndmask_b32_e64 v133, v130, -v130, vcc_lo
	v_cmp_gt_f32_e32 vcc_lo, 0, v131
	v_cndmask_b32_e64 v135, v131, -v131, vcc_lo
	s_delay_alu instid0(VALU_DEP_1) | instskip(NEXT) | instid1(VALU_DEP_1)
	v_pk_add_f32 v[132:133], v[132:133], v[134:135]
	v_cmp_lt_f32_e32 vcc_lo, v132, v133
	v_dual_add_nc_u32 v121, 8, v121 :: v_dual_cndmask_b32 v123, v123, v131, vcc_lo
	v_cndmask_b32_e32 v122, v122, v130, vcc_lo
	v_cndmask_b32_e64 v120, v120, s0, vcc_lo
	s_add_co_i32 s0, s0, 1
	s_delay_alu instid0(SALU_CYCLE_1)
	s_cmp_lg_u32 s18, s0
	s_cbranch_scc1 .LBB112_43
.LBB112_44:
	s_wait_dscnt 0x0
	v_cmp_eq_f32_e32 vcc_lo, 0, v122
	v_cmp_eq_f32_e64 s0, 0, v123
	s_and_b32 s0, vcc_lo, s0
	s_delay_alu instid0(SALU_CYCLE_1) | instskip(NEXT) | instid1(SALU_CYCLE_1)
	s_and_saveexec_b32 s1, s0
	s_xor_b32 s0, exec_lo, s1
; %bb.45:
	v_cmp_ne_u32_e32 vcc_lo, 0, v126
	v_cndmask_b32_e32 v126, 3, v126, vcc_lo
; %bb.46:
	s_and_not1_saveexec_b32 s0, s0
	s_cbranch_execz .LBB112_52
; %bb.47:
	v_cmp_ngt_f32_e64 s1, |v122|, |v123|
	s_and_saveexec_b32 s12, s1
	s_delay_alu instid0(SALU_CYCLE_1)
	s_xor_b32 s1, exec_lo, s12
	s_cbranch_execz .LBB112_49
; %bb.48:
	v_div_scale_f32 v121, null, v123, v123, v122
	v_div_scale_f32 v131, vcc_lo, v122, v123, v122
	s_delay_alu instid0(VALU_DEP_2) | instskip(SKIP_1) | instid1(TRANS32_DEP_1)
	v_rcp_f32_e32 v129, v121
	v_nop
	v_fma_f32 v130, -v121, v129, 1.0
	s_delay_alu instid0(VALU_DEP_1) | instskip(NEXT) | instid1(VALU_DEP_1)
	v_fmac_f32_e32 v129, v130, v129
	v_mul_f32_e32 v130, v131, v129
	s_delay_alu instid0(VALU_DEP_1) | instskip(NEXT) | instid1(VALU_DEP_1)
	v_fma_f32 v132, -v121, v130, v131
	v_fmac_f32_e32 v130, v132, v129
	s_delay_alu instid0(VALU_DEP_1) | instskip(NEXT) | instid1(VALU_DEP_1)
	v_fma_f32 v121, -v121, v130, v131
	v_div_fmas_f32 v121, v121, v129, v130
	s_delay_alu instid0(VALU_DEP_1) | instskip(NEXT) | instid1(VALU_DEP_1)
	v_div_fixup_f32 v121, v121, v123, v122
	v_fmac_f32_e32 v123, v122, v121
	s_delay_alu instid0(VALU_DEP_1) | instskip(SKIP_1) | instid1(VALU_DEP_2)
	v_div_scale_f32 v122, null, v123, v123, 1.0
	v_div_scale_f32 v131, vcc_lo, 1.0, v123, 1.0
	v_rcp_f32_e32 v129, v122
	v_nop
	s_delay_alu instid0(TRANS32_DEP_1) | instskip(NEXT) | instid1(VALU_DEP_1)
	v_fma_f32 v130, -v122, v129, 1.0
	v_fmac_f32_e32 v129, v130, v129
	s_delay_alu instid0(VALU_DEP_1) | instskip(NEXT) | instid1(VALU_DEP_1)
	v_mul_f32_e32 v130, v131, v129
	v_fma_f32 v132, -v122, v130, v131
	s_delay_alu instid0(VALU_DEP_1) | instskip(NEXT) | instid1(VALU_DEP_1)
	v_fmac_f32_e32 v130, v132, v129
	v_fma_f32 v122, -v122, v130, v131
	s_delay_alu instid0(VALU_DEP_1) | instskip(NEXT) | instid1(VALU_DEP_1)
	v_div_fmas_f32 v122, v122, v129, v130
	v_div_fixup_f32 v123, v122, v123, 1.0
	s_delay_alu instid0(VALU_DEP_1)
	v_mul_f32_e32 v122, v121, v123
	v_xor_b32_e32 v123, 0x80000000, v123
.LBB112_49:
	s_and_not1_saveexec_b32 s1, s1
	s_cbranch_execz .LBB112_51
; %bb.50:
	s_delay_alu instid0(VALU_DEP_1) | instskip(SKIP_1) | instid1(VALU_DEP_2)
	v_div_scale_f32 v121, null, v122, v122, v123
	v_div_scale_f32 v131, vcc_lo, v123, v122, v123
	v_rcp_f32_e32 v129, v121
	v_nop
	s_delay_alu instid0(TRANS32_DEP_1) | instskip(NEXT) | instid1(VALU_DEP_1)
	v_fma_f32 v130, -v121, v129, 1.0
	v_fmac_f32_e32 v129, v130, v129
	s_delay_alu instid0(VALU_DEP_1) | instskip(NEXT) | instid1(VALU_DEP_1)
	v_mul_f32_e32 v130, v131, v129
	v_fma_f32 v132, -v121, v130, v131
	s_delay_alu instid0(VALU_DEP_1) | instskip(NEXT) | instid1(VALU_DEP_1)
	v_fmac_f32_e32 v130, v132, v129
	v_fma_f32 v121, -v121, v130, v131
	s_delay_alu instid0(VALU_DEP_1) | instskip(NEXT) | instid1(VALU_DEP_1)
	v_div_fmas_f32 v121, v121, v129, v130
	v_div_fixup_f32 v121, v121, v122, v123
	s_delay_alu instid0(VALU_DEP_1) | instskip(NEXT) | instid1(VALU_DEP_1)
	v_fmac_f32_e32 v122, v123, v121
	v_div_scale_f32 v123, null, v122, v122, 1.0
	s_delay_alu instid0(VALU_DEP_1) | instskip(SKIP_1) | instid1(TRANS32_DEP_1)
	v_rcp_f32_e32 v129, v123
	v_nop
	v_fma_f32 v130, -v123, v129, 1.0
	s_delay_alu instid0(VALU_DEP_1) | instskip(SKIP_1) | instid1(VALU_DEP_1)
	v_fmac_f32_e32 v129, v130, v129
	v_div_scale_f32 v130, vcc_lo, 1.0, v122, 1.0
	v_mul_f32_e32 v131, v130, v129
	s_delay_alu instid0(VALU_DEP_1) | instskip(NEXT) | instid1(VALU_DEP_1)
	v_fma_f32 v132, -v123, v131, v130
	v_fmac_f32_e32 v131, v132, v129
	s_delay_alu instid0(VALU_DEP_1) | instskip(NEXT) | instid1(VALU_DEP_1)
	v_fma_f32 v123, -v123, v131, v130
	v_div_fmas_f32 v123, v123, v129, v131
	s_delay_alu instid0(VALU_DEP_1) | instskip(NEXT) | instid1(VALU_DEP_1)
	v_div_fixup_f32 v122, v123, v122, 1.0
	v_mul_f32_e64 v123, v121, -v122
.LBB112_51:
	s_or_b32 exec_lo, exec_lo, s1
.LBB112_52:
	s_delay_alu instid0(SALU_CYCLE_1) | instskip(NEXT) | instid1(SALU_CYCLE_1)
	s_or_b32 exec_lo, exec_lo, s0
	s_mov_b32 s0, exec_lo
	v_cmpx_ne_u32_e64 v128, v120
	s_xor_b32 s0, exec_lo, s0
	s_cbranch_execz .LBB112_58
; %bb.53:
	s_mov_b32 s1, exec_lo
	v_cmpx_eq_u32_e32 2, v128
	s_cbranch_execz .LBB112_57
; %bb.54:
	v_cmp_ne_u32_e32 vcc_lo, 2, v120
	s_xor_b32 s12, s16, -1
	s_delay_alu instid0(SALU_CYCLE_1) | instskip(NEXT) | instid1(SALU_CYCLE_1)
	s_and_b32 s13, s12, vcc_lo
	s_and_saveexec_b32 s12, s13
	s_cbranch_execz .LBB112_56
; %bb.55:
	v_ashrrev_i32_e32 v121, 31, v120
	s_delay_alu instid0(VALU_DEP_1)
	v_lshl_add_u64 v[128:129], v[120:121], 2, v[4:5]
	s_clause 0x1
	global_load_b32 v121, v[128:129], off
	global_load_b32 v127, v[4:5], off offset:8
	s_wait_loadcnt 0x1
	global_store_b32 v[4:5], v121, off offset:8
	s_wait_loadcnt 0x0
	global_store_b32 v[128:129], v127, off
.LBB112_56:
	s_wait_xcnt 0x0
	s_or_b32 exec_lo, exec_lo, s12
	v_dual_mov_b32 v128, v120 :: v_dual_mov_b32 v127, v120
.LBB112_57:
	s_or_b32 exec_lo, exec_lo, s1
.LBB112_58:
	s_and_not1_saveexec_b32 s0, s0
	s_cbranch_execz .LBB112_60
; %bb.59:
	v_mov_b32_e32 v128, 2
	ds_store_2addr_b64 v124, v[110:111], v[108:109] offset0:3 offset1:4
	ds_store_2addr_b64 v124, v[106:107], v[88:89] offset0:5 offset1:6
	;; [unrolled: 1-line block ×27, first 2 shown]
.LBB112_60:
	s_or_b32 exec_lo, exec_lo, s0
	s_delay_alu instid0(SALU_CYCLE_1)
	s_mov_b32 s0, exec_lo
	s_wait_storecnt_dscnt 0x0
	s_barrier_signal -1
	s_barrier_wait -1
	v_cmpx_lt_i32_e32 2, v128
	s_cbranch_execz .LBB112_62
; %bb.61:
	v_pk_mul_f32 v[130:131], v[122:123], v[112:113] op_sel:[1,1] op_sel_hi:[0,1]
	s_delay_alu instid0(VALU_DEP_1)
	v_pk_fma_f32 v[120:121], v[122:123], v[112:113], v[130:131] op_sel_hi:[1,0,1] neg_lo:[0,0,1] neg_hi:[0,0,1]
	v_pk_fma_f32 v[122:123], v[122:123], v[112:113], v[130:131] op_sel_hi:[1,0,1]
	ds_load_2addr_b64 v[130:133], v124 offset0:3 offset1:4
	v_dual_mov_b32 v112, v120 :: v_dual_mov_b32 v113, v123
	s_wait_dscnt 0x0
	v_pk_mul_f32 v[134:135], v[130:131], v[122:123] op_sel:[0,1]
	s_delay_alu instid0(VALU_DEP_1) | instskip(SKIP_1) | instid1(VALU_DEP_1)
	v_pk_fma_f32 v[136:137], v[130:131], v[120:121], v[134:135] op_sel:[0,0,1] op_sel_hi:[1,1,0] neg_lo:[0,0,1] neg_hi:[0,0,1]
	v_pk_fma_f32 v[130:131], v[130:131], v[120:121], v[134:135] op_sel:[0,0,1] op_sel_hi:[1,0,0]
	v_mov_b32_e32 v137, v131
	v_pk_mul_f32 v[130:131], v[132:133], v[122:123] op_sel:[0,1]
	s_delay_alu instid0(VALU_DEP_1) | instskip(SKIP_1) | instid1(VALU_DEP_1)
	v_pk_fma_f32 v[134:135], v[132:133], v[120:121], v[130:131] op_sel:[0,0,1] op_sel_hi:[1,1,0] neg_lo:[0,0,1] neg_hi:[0,0,1]
	v_pk_fma_f32 v[130:131], v[132:133], v[120:121], v[130:131] op_sel:[0,0,1] op_sel_hi:[1,0,0]
	v_mov_b32_e32 v135, v131
	ds_load_2addr_b64 v[130:133], v124 offset0:5 offset1:6
	v_pk_add_f32 v[110:111], v[110:111], v[136:137] neg_lo:[0,1] neg_hi:[0,1]
	v_pk_add_f32 v[108:109], v[108:109], v[134:135] neg_lo:[0,1] neg_hi:[0,1]
	s_wait_dscnt 0x0
	v_pk_mul_f32 v[134:135], v[130:131], v[122:123] op_sel:[0,1]
	s_delay_alu instid0(VALU_DEP_1) | instskip(SKIP_2) | instid1(VALU_DEP_2)
	v_pk_fma_f32 v[136:137], v[130:131], v[120:121], v[134:135] op_sel:[0,0,1] op_sel_hi:[1,1,0] neg_lo:[0,0,1] neg_hi:[0,0,1]
	v_pk_fma_f32 v[130:131], v[130:131], v[120:121], v[134:135] op_sel:[0,0,1] op_sel_hi:[1,0,0]
	v_dual_mul_f32 v134, v133, v123 :: v_dual_mov_b32 v130, v133
	v_dual_mov_b32 v137, v131 :: v_dual_mov_b32 v131, v132
	s_delay_alu instid0(VALU_DEP_2) | instskip(SKIP_1) | instid1(VALU_DEP_3)
	v_pk_fma_f32 v[134:135], v[132:133], v[112:113], v[134:135] op_sel_hi:[1,1,0] neg_lo:[0,0,1] neg_hi:[0,0,1]
	v_mul_f32_e32 v132, v133, v120
	v_pk_add_f32 v[106:107], v[106:107], v[136:137] neg_lo:[0,1] neg_hi:[0,1]
	s_delay_alu instid0(VALU_DEP_2) | instskip(NEXT) | instid1(VALU_DEP_1)
	v_pk_fma_f32 v[130:131], v[130:131], v[112:113], v[132:133] op_sel_hi:[1,1,0]
	v_mov_b32_e32 v135, v131
	ds_load_2addr_b64 v[130:133], v124 offset0:7 offset1:8
	v_pk_add_f32 v[88:89], v[88:89], v[134:135] neg_lo:[0,1] neg_hi:[0,1]
	s_wait_dscnt 0x0
	v_pk_mul_f32 v[134:135], v[130:131], v[122:123] op_sel:[0,1]
	s_delay_alu instid0(VALU_DEP_1) | instskip(SKIP_1) | instid1(VALU_DEP_1)
	v_pk_fma_f32 v[136:137], v[130:131], v[120:121], v[134:135] op_sel:[0,0,1] op_sel_hi:[1,1,0] neg_lo:[0,0,1] neg_hi:[0,0,1]
	v_pk_fma_f32 v[130:131], v[130:131], v[120:121], v[134:135] op_sel:[0,0,1] op_sel_hi:[1,0,0]
	v_mov_b32_e32 v137, v131
	v_pk_mul_f32 v[130:131], v[132:133], v[122:123] op_sel:[0,1]
	s_delay_alu instid0(VALU_DEP_1) | instskip(SKIP_1) | instid1(VALU_DEP_1)
	v_pk_fma_f32 v[134:135], v[132:133], v[120:121], v[130:131] op_sel:[0,0,1] op_sel_hi:[1,1,0] neg_lo:[0,0,1] neg_hi:[0,0,1]
	v_pk_fma_f32 v[130:131], v[132:133], v[120:121], v[130:131] op_sel:[0,0,1] op_sel_hi:[1,0,0]
	v_mov_b32_e32 v135, v131
	ds_load_2addr_b64 v[130:133], v124 offset0:9 offset1:10
	v_pk_add_f32 v[86:87], v[86:87], v[136:137] neg_lo:[0,1] neg_hi:[0,1]
	v_pk_add_f32 v[104:105], v[104:105], v[134:135] neg_lo:[0,1] neg_hi:[0,1]
	s_wait_dscnt 0x0
	v_pk_mul_f32 v[134:135], v[130:131], v[122:123] op_sel:[0,1]
	s_delay_alu instid0(VALU_DEP_1) | instskip(SKIP_1) | instid1(VALU_DEP_1)
	v_pk_fma_f32 v[136:137], v[130:131], v[120:121], v[134:135] op_sel:[0,0,1] op_sel_hi:[1,1,0] neg_lo:[0,0,1] neg_hi:[0,0,1]
	v_pk_fma_f32 v[130:131], v[130:131], v[120:121], v[134:135] op_sel:[0,0,1] op_sel_hi:[1,0,0]
	v_mov_b32_e32 v137, v131
	v_pk_mul_f32 v[130:131], v[132:133], v[122:123] op_sel:[0,1]
	s_delay_alu instid0(VALU_DEP_1) | instskip(SKIP_1) | instid1(VALU_DEP_1)
	v_pk_fma_f32 v[134:135], v[132:133], v[120:121], v[130:131] op_sel:[0,0,1] op_sel_hi:[1,1,0] neg_lo:[0,0,1] neg_hi:[0,0,1]
	v_pk_fma_f32 v[130:131], v[132:133], v[120:121], v[130:131] op_sel:[0,0,1] op_sel_hi:[1,0,0]
	v_mov_b32_e32 v135, v131
	ds_load_2addr_b64 v[130:133], v124 offset0:11 offset1:12
	v_pk_add_f32 v[100:101], v[100:101], v[136:137] neg_lo:[0,1] neg_hi:[0,1]
	v_pk_add_f32 v[102:103], v[102:103], v[134:135] neg_lo:[0,1] neg_hi:[0,1]
	s_wait_dscnt 0x0
	v_dual_mul_f32 v134, v131, v123 :: v_dual_mul_f32 v136, v131, v120
	s_delay_alu instid0(VALU_DEP_1) | instskip(NEXT) | instid1(VALU_DEP_2)
	v_pk_fma_f32 v[134:135], v[130:131], v[112:113], v[134:135] op_sel_hi:[1,1,0] neg_lo:[0,0,1] neg_hi:[0,0,1]
	v_pk_fma_f32 v[130:131], v[130:131], v[112:113], v[136:137] op_sel:[1,0,0] op_sel_hi:[0,1,0]
	s_delay_alu instid0(VALU_DEP_1) | instskip(SKIP_1) | instid1(VALU_DEP_2)
	v_mov_b32_e32 v135, v131
	v_pk_mul_f32 v[130:131], v[132:133], v[122:123] op_sel:[0,1]
	v_pk_add_f32 v[98:99], v[98:99], v[134:135] neg_lo:[0,1] neg_hi:[0,1]
	s_delay_alu instid0(VALU_DEP_2) | instskip(SKIP_1) | instid1(VALU_DEP_1)
	v_pk_fma_f32 v[134:135], v[132:133], v[120:121], v[130:131] op_sel:[0,0,1] op_sel_hi:[1,1,0] neg_lo:[0,0,1] neg_hi:[0,0,1]
	v_pk_fma_f32 v[130:131], v[132:133], v[120:121], v[130:131] op_sel:[0,0,1] op_sel_hi:[1,0,0]
	v_mov_b32_e32 v135, v131
	ds_load_2addr_b64 v[130:133], v124 offset0:13 offset1:14
	v_pk_add_f32 v[96:97], v[96:97], v[134:135] neg_lo:[0,1] neg_hi:[0,1]
	s_wait_dscnt 0x0
	v_pk_mul_f32 v[134:135], v[130:131], v[122:123] op_sel:[0,1]
	s_delay_alu instid0(VALU_DEP_1) | instskip(SKIP_1) | instid1(VALU_DEP_1)
	v_pk_fma_f32 v[136:137], v[130:131], v[120:121], v[134:135] op_sel:[0,0,1] op_sel_hi:[1,1,0] neg_lo:[0,0,1] neg_hi:[0,0,1]
	v_pk_fma_f32 v[130:131], v[130:131], v[120:121], v[134:135] op_sel:[0,0,1] op_sel_hi:[1,0,0]
	v_mov_b32_e32 v137, v131
	v_pk_mul_f32 v[130:131], v[132:133], v[122:123] op_sel:[0,1]
	s_delay_alu instid0(VALU_DEP_2) | instskip(NEXT) | instid1(VALU_DEP_2)
	v_pk_add_f32 v[92:93], v[92:93], v[136:137] neg_lo:[0,1] neg_hi:[0,1]
	v_pk_fma_f32 v[134:135], v[132:133], v[120:121], v[130:131] op_sel:[0,0,1] op_sel_hi:[1,1,0] neg_lo:[0,0,1] neg_hi:[0,0,1]
	v_pk_fma_f32 v[130:131], v[132:133], v[120:121], v[130:131] op_sel:[0,0,1] op_sel_hi:[1,0,0]
	s_delay_alu instid0(VALU_DEP_1) | instskip(SKIP_4) | instid1(VALU_DEP_1)
	v_mov_b32_e32 v135, v131
	ds_load_2addr_b64 v[130:133], v124 offset0:15 offset1:16
	v_pk_add_f32 v[94:95], v[94:95], v[134:135] neg_lo:[0,1] neg_hi:[0,1]
	s_wait_dscnt 0x0
	v_pk_mul_f32 v[134:135], v[130:131], v[122:123] op_sel:[0,1]
	v_pk_fma_f32 v[136:137], v[130:131], v[120:121], v[134:135] op_sel:[0,0,1] op_sel_hi:[1,1,0] neg_lo:[0,0,1] neg_hi:[0,0,1]
	v_pk_fma_f32 v[130:131], v[130:131], v[120:121], v[134:135] op_sel:[0,0,1] op_sel_hi:[1,0,0]
	v_dual_mul_f32 v134, v133, v123 :: v_dual_mov_b32 v130, v133
	s_delay_alu instid0(VALU_DEP_2) | instskip(NEXT) | instid1(VALU_DEP_2)
	v_dual_mov_b32 v137, v131 :: v_dual_mov_b32 v131, v132
	v_pk_fma_f32 v[134:135], v[132:133], v[112:113], v[134:135] op_sel_hi:[1,1,0] neg_lo:[0,0,1] neg_hi:[0,0,1]
	v_mul_f32_e32 v132, v133, v120
	s_delay_alu instid0(VALU_DEP_3) | instskip(NEXT) | instid1(VALU_DEP_2)
	v_pk_add_f32 v[90:91], v[90:91], v[136:137] neg_lo:[0,1] neg_hi:[0,1]
	v_pk_fma_f32 v[130:131], v[130:131], v[112:113], v[132:133] op_sel_hi:[1,1,0]
	s_delay_alu instid0(VALU_DEP_1) | instskip(SKIP_4) | instid1(VALU_DEP_1)
	v_mov_b32_e32 v135, v131
	ds_load_2addr_b64 v[130:133], v124 offset0:17 offset1:18
	v_pk_add_f32 v[84:85], v[84:85], v[134:135] neg_lo:[0,1] neg_hi:[0,1]
	s_wait_dscnt 0x0
	v_pk_mul_f32 v[134:135], v[130:131], v[122:123] op_sel:[0,1]
	v_pk_fma_f32 v[136:137], v[130:131], v[120:121], v[134:135] op_sel:[0,0,1] op_sel_hi:[1,1,0] neg_lo:[0,0,1] neg_hi:[0,0,1]
	v_pk_fma_f32 v[130:131], v[130:131], v[120:121], v[134:135] op_sel:[0,0,1] op_sel_hi:[1,0,0]
	s_delay_alu instid0(VALU_DEP_1) | instskip(SKIP_1) | instid1(VALU_DEP_1)
	v_mov_b32_e32 v137, v131
	v_pk_mul_f32 v[130:131], v[132:133], v[122:123] op_sel:[0,1]
	v_pk_fma_f32 v[134:135], v[132:133], v[120:121], v[130:131] op_sel:[0,0,1] op_sel_hi:[1,1,0] neg_lo:[0,0,1] neg_hi:[0,0,1]
	v_pk_fma_f32 v[130:131], v[132:133], v[120:121], v[130:131] op_sel:[0,0,1] op_sel_hi:[1,0,0]
	s_delay_alu instid0(VALU_DEP_1)
	v_mov_b32_e32 v135, v131
	ds_load_2addr_b64 v[130:133], v124 offset0:19 offset1:20
	v_pk_add_f32 v[80:81], v[80:81], v[136:137] neg_lo:[0,1] neg_hi:[0,1]
	v_pk_add_f32 v[82:83], v[82:83], v[134:135] neg_lo:[0,1] neg_hi:[0,1]
	s_wait_dscnt 0x0
	v_pk_mul_f32 v[134:135], v[130:131], v[122:123] op_sel:[0,1]
	s_delay_alu instid0(VALU_DEP_1) | instskip(SKIP_1) | instid1(VALU_DEP_1)
	v_pk_fma_f32 v[136:137], v[130:131], v[120:121], v[134:135] op_sel:[0,0,1] op_sel_hi:[1,1,0] neg_lo:[0,0,1] neg_hi:[0,0,1]
	v_pk_fma_f32 v[130:131], v[130:131], v[120:121], v[134:135] op_sel:[0,0,1] op_sel_hi:[1,0,0]
	v_mov_b32_e32 v137, v131
	v_pk_mul_f32 v[130:131], v[132:133], v[122:123] op_sel:[0,1]
	s_delay_alu instid0(VALU_DEP_1) | instskip(SKIP_1) | instid1(VALU_DEP_1)
	v_pk_fma_f32 v[134:135], v[132:133], v[120:121], v[130:131] op_sel:[0,0,1] op_sel_hi:[1,1,0] neg_lo:[0,0,1] neg_hi:[0,0,1]
	v_pk_fma_f32 v[130:131], v[132:133], v[120:121], v[130:131] op_sel:[0,0,1] op_sel_hi:[1,0,0]
	v_mov_b32_e32 v135, v131
	ds_load_2addr_b64 v[130:133], v124 offset0:21 offset1:22
	v_pk_add_f32 v[78:79], v[78:79], v[136:137] neg_lo:[0,1] neg_hi:[0,1]
	v_pk_add_f32 v[76:77], v[76:77], v[134:135] neg_lo:[0,1] neg_hi:[0,1]
	s_wait_dscnt 0x0
	v_dual_mul_f32 v134, v131, v123 :: v_dual_mul_f32 v136, v131, v120
	s_delay_alu instid0(VALU_DEP_1) | instskip(NEXT) | instid1(VALU_DEP_2)
	v_pk_fma_f32 v[134:135], v[130:131], v[112:113], v[134:135] op_sel_hi:[1,1,0] neg_lo:[0,0,1] neg_hi:[0,0,1]
	v_pk_fma_f32 v[130:131], v[130:131], v[112:113], v[136:137] op_sel:[1,0,0] op_sel_hi:[0,1,0]
	s_delay_alu instid0(VALU_DEP_1) | instskip(SKIP_1) | instid1(VALU_DEP_2)
	v_mov_b32_e32 v135, v131
	v_pk_mul_f32 v[130:131], v[132:133], v[122:123] op_sel:[0,1]
	v_pk_add_f32 v[72:73], v[72:73], v[134:135] neg_lo:[0,1] neg_hi:[0,1]
	s_delay_alu instid0(VALU_DEP_2) | instskip(SKIP_1) | instid1(VALU_DEP_1)
	v_pk_fma_f32 v[134:135], v[132:133], v[120:121], v[130:131] op_sel:[0,0,1] op_sel_hi:[1,1,0] neg_lo:[0,0,1] neg_hi:[0,0,1]
	v_pk_fma_f32 v[130:131], v[132:133], v[120:121], v[130:131] op_sel:[0,0,1] op_sel_hi:[1,0,0]
	v_mov_b32_e32 v135, v131
	ds_load_2addr_b64 v[130:133], v124 offset0:23 offset1:24
	v_pk_add_f32 v[74:75], v[74:75], v[134:135] neg_lo:[0,1] neg_hi:[0,1]
	s_wait_dscnt 0x0
	v_pk_mul_f32 v[134:135], v[130:131], v[122:123] op_sel:[0,1]
	s_delay_alu instid0(VALU_DEP_1) | instskip(SKIP_1) | instid1(VALU_DEP_1)
	v_pk_fma_f32 v[136:137], v[130:131], v[120:121], v[134:135] op_sel:[0,0,1] op_sel_hi:[1,1,0] neg_lo:[0,0,1] neg_hi:[0,0,1]
	v_pk_fma_f32 v[130:131], v[130:131], v[120:121], v[134:135] op_sel:[0,0,1] op_sel_hi:[1,0,0]
	v_mov_b32_e32 v137, v131
	v_pk_mul_f32 v[130:131], v[132:133], v[122:123] op_sel:[0,1]
	s_delay_alu instid0(VALU_DEP_2) | instskip(NEXT) | instid1(VALU_DEP_2)
	v_pk_add_f32 v[70:71], v[70:71], v[136:137] neg_lo:[0,1] neg_hi:[0,1]
	v_pk_fma_f32 v[134:135], v[132:133], v[120:121], v[130:131] op_sel:[0,0,1] op_sel_hi:[1,1,0] neg_lo:[0,0,1] neg_hi:[0,0,1]
	v_pk_fma_f32 v[130:131], v[132:133], v[120:121], v[130:131] op_sel:[0,0,1] op_sel_hi:[1,0,0]
	s_delay_alu instid0(VALU_DEP_1) | instskip(SKIP_4) | instid1(VALU_DEP_1)
	v_mov_b32_e32 v135, v131
	ds_load_2addr_b64 v[130:133], v124 offset0:25 offset1:26
	v_pk_add_f32 v[68:69], v[68:69], v[134:135] neg_lo:[0,1] neg_hi:[0,1]
	s_wait_dscnt 0x0
	v_pk_mul_f32 v[134:135], v[130:131], v[122:123] op_sel:[0,1]
	v_pk_fma_f32 v[136:137], v[130:131], v[120:121], v[134:135] op_sel:[0,0,1] op_sel_hi:[1,1,0] neg_lo:[0,0,1] neg_hi:[0,0,1]
	v_pk_fma_f32 v[130:131], v[130:131], v[120:121], v[134:135] op_sel:[0,0,1] op_sel_hi:[1,0,0]
	v_dual_mul_f32 v134, v133, v123 :: v_dual_mov_b32 v130, v133
	s_delay_alu instid0(VALU_DEP_2) | instskip(NEXT) | instid1(VALU_DEP_2)
	v_dual_mov_b32 v137, v131 :: v_dual_mov_b32 v131, v132
	v_pk_fma_f32 v[134:135], v[132:133], v[112:113], v[134:135] op_sel_hi:[1,1,0] neg_lo:[0,0,1] neg_hi:[0,0,1]
	v_mul_f32_e32 v132, v133, v120
	s_delay_alu instid0(VALU_DEP_3) | instskip(NEXT) | instid1(VALU_DEP_2)
	v_pk_add_f32 v[64:65], v[64:65], v[136:137] neg_lo:[0,1] neg_hi:[0,1]
	v_pk_fma_f32 v[130:131], v[130:131], v[112:113], v[132:133] op_sel_hi:[1,1,0]
	s_delay_alu instid0(VALU_DEP_1) | instskip(SKIP_4) | instid1(VALU_DEP_1)
	v_mov_b32_e32 v135, v131
	ds_load_2addr_b64 v[130:133], v124 offset0:27 offset1:28
	v_pk_add_f32 v[66:67], v[66:67], v[134:135] neg_lo:[0,1] neg_hi:[0,1]
	s_wait_dscnt 0x0
	v_pk_mul_f32 v[134:135], v[130:131], v[122:123] op_sel:[0,1]
	v_pk_fma_f32 v[136:137], v[130:131], v[120:121], v[134:135] op_sel:[0,0,1] op_sel_hi:[1,1,0] neg_lo:[0,0,1] neg_hi:[0,0,1]
	v_pk_fma_f32 v[130:131], v[130:131], v[120:121], v[134:135] op_sel:[0,0,1] op_sel_hi:[1,0,0]
	s_delay_alu instid0(VALU_DEP_1) | instskip(SKIP_1) | instid1(VALU_DEP_1)
	v_mov_b32_e32 v137, v131
	v_pk_mul_f32 v[130:131], v[132:133], v[122:123] op_sel:[0,1]
	v_pk_fma_f32 v[134:135], v[132:133], v[120:121], v[130:131] op_sel:[0,0,1] op_sel_hi:[1,1,0] neg_lo:[0,0,1] neg_hi:[0,0,1]
	v_pk_fma_f32 v[130:131], v[132:133], v[120:121], v[130:131] op_sel:[0,0,1] op_sel_hi:[1,0,0]
	s_delay_alu instid0(VALU_DEP_1)
	v_mov_b32_e32 v135, v131
	ds_load_2addr_b64 v[130:133], v124 offset0:29 offset1:30
	v_pk_add_f32 v[62:63], v[62:63], v[136:137] neg_lo:[0,1] neg_hi:[0,1]
	v_pk_add_f32 v[60:61], v[60:61], v[134:135] neg_lo:[0,1] neg_hi:[0,1]
	s_wait_dscnt 0x0
	v_pk_mul_f32 v[134:135], v[130:131], v[122:123] op_sel:[0,1]
	s_delay_alu instid0(VALU_DEP_1) | instskip(SKIP_1) | instid1(VALU_DEP_1)
	v_pk_fma_f32 v[136:137], v[130:131], v[120:121], v[134:135] op_sel:[0,0,1] op_sel_hi:[1,1,0] neg_lo:[0,0,1] neg_hi:[0,0,1]
	v_pk_fma_f32 v[130:131], v[130:131], v[120:121], v[134:135] op_sel:[0,0,1] op_sel_hi:[1,0,0]
	v_mov_b32_e32 v137, v131
	v_pk_mul_f32 v[130:131], v[132:133], v[122:123] op_sel:[0,1]
	s_delay_alu instid0(VALU_DEP_1) | instskip(SKIP_1) | instid1(VALU_DEP_1)
	v_pk_fma_f32 v[134:135], v[132:133], v[120:121], v[130:131] op_sel:[0,0,1] op_sel_hi:[1,1,0] neg_lo:[0,0,1] neg_hi:[0,0,1]
	v_pk_fma_f32 v[130:131], v[132:133], v[120:121], v[130:131] op_sel:[0,0,1] op_sel_hi:[1,0,0]
	v_mov_b32_e32 v135, v131
	ds_load_2addr_b64 v[130:133], v124 offset0:31 offset1:32
	v_pk_add_f32 v[56:57], v[56:57], v[136:137] neg_lo:[0,1] neg_hi:[0,1]
	v_pk_add_f32 v[58:59], v[58:59], v[134:135] neg_lo:[0,1] neg_hi:[0,1]
	s_wait_dscnt 0x0
	v_dual_mul_f32 v134, v131, v123 :: v_dual_mul_f32 v136, v131, v120
	s_delay_alu instid0(VALU_DEP_1) | instskip(NEXT) | instid1(VALU_DEP_2)
	v_pk_fma_f32 v[134:135], v[130:131], v[112:113], v[134:135] op_sel_hi:[1,1,0] neg_lo:[0,0,1] neg_hi:[0,0,1]
	v_pk_fma_f32 v[130:131], v[130:131], v[112:113], v[136:137] op_sel:[1,0,0] op_sel_hi:[0,1,0]
	s_delay_alu instid0(VALU_DEP_1) | instskip(SKIP_1) | instid1(VALU_DEP_2)
	v_mov_b32_e32 v135, v131
	v_pk_mul_f32 v[130:131], v[132:133], v[122:123] op_sel:[0,1]
	v_pk_add_f32 v[54:55], v[54:55], v[134:135] neg_lo:[0,1] neg_hi:[0,1]
	s_delay_alu instid0(VALU_DEP_2) | instskip(SKIP_1) | instid1(VALU_DEP_1)
	v_pk_fma_f32 v[134:135], v[132:133], v[120:121], v[130:131] op_sel:[0,0,1] op_sel_hi:[1,1,0] neg_lo:[0,0,1] neg_hi:[0,0,1]
	v_pk_fma_f32 v[130:131], v[132:133], v[120:121], v[130:131] op_sel:[0,0,1] op_sel_hi:[1,0,0]
	v_mov_b32_e32 v135, v131
	ds_load_2addr_b64 v[130:133], v124 offset0:33 offset1:34
	v_pk_add_f32 v[52:53], v[52:53], v[134:135] neg_lo:[0,1] neg_hi:[0,1]
	s_wait_dscnt 0x0
	v_pk_mul_f32 v[134:135], v[130:131], v[122:123] op_sel:[0,1]
	s_delay_alu instid0(VALU_DEP_1) | instskip(SKIP_1) | instid1(VALU_DEP_1)
	v_pk_fma_f32 v[136:137], v[130:131], v[120:121], v[134:135] op_sel:[0,0,1] op_sel_hi:[1,1,0] neg_lo:[0,0,1] neg_hi:[0,0,1]
	v_pk_fma_f32 v[130:131], v[130:131], v[120:121], v[134:135] op_sel:[0,0,1] op_sel_hi:[1,0,0]
	v_mov_b32_e32 v137, v131
	v_pk_mul_f32 v[130:131], v[132:133], v[122:123] op_sel:[0,1]
	s_delay_alu instid0(VALU_DEP_2) | instskip(NEXT) | instid1(VALU_DEP_2)
	v_pk_add_f32 v[48:49], v[48:49], v[136:137] neg_lo:[0,1] neg_hi:[0,1]
	v_pk_fma_f32 v[134:135], v[132:133], v[120:121], v[130:131] op_sel:[0,0,1] op_sel_hi:[1,1,0] neg_lo:[0,0,1] neg_hi:[0,0,1]
	v_pk_fma_f32 v[130:131], v[132:133], v[120:121], v[130:131] op_sel:[0,0,1] op_sel_hi:[1,0,0]
	s_delay_alu instid0(VALU_DEP_1) | instskip(SKIP_4) | instid1(VALU_DEP_1)
	v_mov_b32_e32 v135, v131
	ds_load_2addr_b64 v[130:133], v124 offset0:35 offset1:36
	v_pk_add_f32 v[50:51], v[50:51], v[134:135] neg_lo:[0,1] neg_hi:[0,1]
	s_wait_dscnt 0x0
	v_pk_mul_f32 v[134:135], v[130:131], v[122:123] op_sel:[0,1]
	v_pk_fma_f32 v[136:137], v[130:131], v[120:121], v[134:135] op_sel:[0,0,1] op_sel_hi:[1,1,0] neg_lo:[0,0,1] neg_hi:[0,0,1]
	v_pk_fma_f32 v[130:131], v[130:131], v[120:121], v[134:135] op_sel:[0,0,1] op_sel_hi:[1,0,0]
	v_dual_mul_f32 v134, v133, v123 :: v_dual_mov_b32 v130, v133
	s_delay_alu instid0(VALU_DEP_2) | instskip(NEXT) | instid1(VALU_DEP_2)
	v_dual_mov_b32 v137, v131 :: v_dual_mov_b32 v131, v132
	v_pk_fma_f32 v[134:135], v[132:133], v[112:113], v[134:135] op_sel_hi:[1,1,0] neg_lo:[0,0,1] neg_hi:[0,0,1]
	v_mul_f32_e32 v132, v133, v120
	s_delay_alu instid0(VALU_DEP_3) | instskip(NEXT) | instid1(VALU_DEP_2)
	v_pk_add_f32 v[46:47], v[46:47], v[136:137] neg_lo:[0,1] neg_hi:[0,1]
	v_pk_fma_f32 v[130:131], v[130:131], v[112:113], v[132:133] op_sel_hi:[1,1,0]
	s_delay_alu instid0(VALU_DEP_1) | instskip(SKIP_4) | instid1(VALU_DEP_1)
	v_mov_b32_e32 v135, v131
	ds_load_2addr_b64 v[130:133], v124 offset0:37 offset1:38
	v_pk_add_f32 v[44:45], v[44:45], v[134:135] neg_lo:[0,1] neg_hi:[0,1]
	s_wait_dscnt 0x0
	v_pk_mul_f32 v[134:135], v[130:131], v[122:123] op_sel:[0,1]
	v_pk_fma_f32 v[136:137], v[130:131], v[120:121], v[134:135] op_sel:[0,0,1] op_sel_hi:[1,1,0] neg_lo:[0,0,1] neg_hi:[0,0,1]
	v_pk_fma_f32 v[130:131], v[130:131], v[120:121], v[134:135] op_sel:[0,0,1] op_sel_hi:[1,0,0]
	s_delay_alu instid0(VALU_DEP_1) | instskip(SKIP_1) | instid1(VALU_DEP_1)
	v_mov_b32_e32 v137, v131
	v_pk_mul_f32 v[130:131], v[132:133], v[122:123] op_sel:[0,1]
	v_pk_fma_f32 v[134:135], v[132:133], v[120:121], v[130:131] op_sel:[0,0,1] op_sel_hi:[1,1,0] neg_lo:[0,0,1] neg_hi:[0,0,1]
	v_pk_fma_f32 v[130:131], v[132:133], v[120:121], v[130:131] op_sel:[0,0,1] op_sel_hi:[1,0,0]
	s_delay_alu instid0(VALU_DEP_1)
	v_mov_b32_e32 v135, v131
	ds_load_2addr_b64 v[130:133], v124 offset0:39 offset1:40
	v_pk_add_f32 v[40:41], v[40:41], v[136:137] neg_lo:[0,1] neg_hi:[0,1]
	v_pk_add_f32 v[42:43], v[42:43], v[134:135] neg_lo:[0,1] neg_hi:[0,1]
	s_wait_dscnt 0x0
	v_pk_mul_f32 v[134:135], v[130:131], v[122:123] op_sel:[0,1]
	s_delay_alu instid0(VALU_DEP_1) | instskip(SKIP_1) | instid1(VALU_DEP_1)
	v_pk_fma_f32 v[136:137], v[130:131], v[120:121], v[134:135] op_sel:[0,0,1] op_sel_hi:[1,1,0] neg_lo:[0,0,1] neg_hi:[0,0,1]
	v_pk_fma_f32 v[130:131], v[130:131], v[120:121], v[134:135] op_sel:[0,0,1] op_sel_hi:[1,0,0]
	v_mov_b32_e32 v137, v131
	v_pk_mul_f32 v[130:131], v[132:133], v[122:123] op_sel:[0,1]
	s_delay_alu instid0(VALU_DEP_1) | instskip(SKIP_1) | instid1(VALU_DEP_1)
	v_pk_fma_f32 v[134:135], v[132:133], v[120:121], v[130:131] op_sel:[0,0,1] op_sel_hi:[1,1,0] neg_lo:[0,0,1] neg_hi:[0,0,1]
	v_pk_fma_f32 v[130:131], v[132:133], v[120:121], v[130:131] op_sel:[0,0,1] op_sel_hi:[1,0,0]
	v_mov_b32_e32 v135, v131
	ds_load_2addr_b64 v[130:133], v124 offset0:41 offset1:42
	v_pk_add_f32 v[38:39], v[38:39], v[136:137] neg_lo:[0,1] neg_hi:[0,1]
	v_pk_add_f32 v[36:37], v[36:37], v[134:135] neg_lo:[0,1] neg_hi:[0,1]
	s_wait_dscnt 0x0
	v_dual_mul_f32 v134, v131, v123 :: v_dual_mul_f32 v136, v131, v120
	s_delay_alu instid0(VALU_DEP_1) | instskip(NEXT) | instid1(VALU_DEP_2)
	v_pk_fma_f32 v[134:135], v[130:131], v[112:113], v[134:135] op_sel_hi:[1,1,0] neg_lo:[0,0,1] neg_hi:[0,0,1]
	v_pk_fma_f32 v[130:131], v[130:131], v[112:113], v[136:137] op_sel:[1,0,0] op_sel_hi:[0,1,0]
	s_delay_alu instid0(VALU_DEP_1) | instskip(SKIP_1) | instid1(VALU_DEP_2)
	v_mov_b32_e32 v135, v131
	v_pk_mul_f32 v[130:131], v[132:133], v[122:123] op_sel:[0,1]
	v_pk_add_f32 v[32:33], v[32:33], v[134:135] neg_lo:[0,1] neg_hi:[0,1]
	s_delay_alu instid0(VALU_DEP_2) | instskip(SKIP_1) | instid1(VALU_DEP_1)
	v_pk_fma_f32 v[134:135], v[132:133], v[120:121], v[130:131] op_sel:[0,0,1] op_sel_hi:[1,1,0] neg_lo:[0,0,1] neg_hi:[0,0,1]
	v_pk_fma_f32 v[130:131], v[132:133], v[120:121], v[130:131] op_sel:[0,0,1] op_sel_hi:[1,0,0]
	v_mov_b32_e32 v135, v131
	ds_load_2addr_b64 v[130:133], v124 offset0:43 offset1:44
	v_pk_add_f32 v[34:35], v[34:35], v[134:135] neg_lo:[0,1] neg_hi:[0,1]
	s_wait_dscnt 0x0
	v_pk_mul_f32 v[134:135], v[130:131], v[122:123] op_sel:[0,1]
	s_delay_alu instid0(VALU_DEP_1) | instskip(SKIP_1) | instid1(VALU_DEP_1)
	v_pk_fma_f32 v[136:137], v[130:131], v[120:121], v[134:135] op_sel:[0,0,1] op_sel_hi:[1,1,0] neg_lo:[0,0,1] neg_hi:[0,0,1]
	v_pk_fma_f32 v[130:131], v[130:131], v[120:121], v[134:135] op_sel:[0,0,1] op_sel_hi:[1,0,0]
	v_mov_b32_e32 v137, v131
	v_pk_mul_f32 v[130:131], v[132:133], v[122:123] op_sel:[0,1]
	s_delay_alu instid0(VALU_DEP_2) | instskip(NEXT) | instid1(VALU_DEP_2)
	v_pk_add_f32 v[30:31], v[30:31], v[136:137] neg_lo:[0,1] neg_hi:[0,1]
	v_pk_fma_f32 v[134:135], v[132:133], v[120:121], v[130:131] op_sel:[0,0,1] op_sel_hi:[1,1,0] neg_lo:[0,0,1] neg_hi:[0,0,1]
	v_pk_fma_f32 v[130:131], v[132:133], v[120:121], v[130:131] op_sel:[0,0,1] op_sel_hi:[1,0,0]
	s_delay_alu instid0(VALU_DEP_1) | instskip(SKIP_4) | instid1(VALU_DEP_1)
	v_mov_b32_e32 v135, v131
	ds_load_2addr_b64 v[130:133], v124 offset0:45 offset1:46
	v_pk_add_f32 v[26:27], v[26:27], v[134:135] neg_lo:[0,1] neg_hi:[0,1]
	s_wait_dscnt 0x0
	v_pk_mul_f32 v[134:135], v[130:131], v[122:123] op_sel:[0,1]
	v_pk_fma_f32 v[136:137], v[130:131], v[120:121], v[134:135] op_sel:[0,0,1] op_sel_hi:[1,1,0] neg_lo:[0,0,1] neg_hi:[0,0,1]
	v_pk_fma_f32 v[130:131], v[130:131], v[120:121], v[134:135] op_sel:[0,0,1] op_sel_hi:[1,0,0]
	v_dual_mul_f32 v134, v133, v123 :: v_dual_mov_b32 v130, v133
	s_delay_alu instid0(VALU_DEP_2) | instskip(NEXT) | instid1(VALU_DEP_2)
	v_dual_mov_b32 v137, v131 :: v_dual_mov_b32 v131, v132
	v_pk_fma_f32 v[134:135], v[132:133], v[112:113], v[134:135] op_sel_hi:[1,1,0] neg_lo:[0,0,1] neg_hi:[0,0,1]
	v_mul_f32_e32 v132, v133, v120
	s_delay_alu instid0(VALU_DEP_3) | instskip(NEXT) | instid1(VALU_DEP_2)
	v_pk_add_f32 v[22:23], v[22:23], v[136:137] neg_lo:[0,1] neg_hi:[0,1]
	v_pk_fma_f32 v[130:131], v[130:131], v[112:113], v[132:133] op_sel_hi:[1,1,0]
	s_delay_alu instid0(VALU_DEP_1) | instskip(SKIP_4) | instid1(VALU_DEP_1)
	v_mov_b32_e32 v135, v131
	ds_load_2addr_b64 v[130:133], v124 offset0:47 offset1:48
	v_pk_add_f32 v[24:25], v[24:25], v[134:135] neg_lo:[0,1] neg_hi:[0,1]
	s_wait_dscnt 0x0
	v_pk_mul_f32 v[134:135], v[130:131], v[122:123] op_sel:[0,1]
	v_pk_fma_f32 v[136:137], v[130:131], v[120:121], v[134:135] op_sel:[0,0,1] op_sel_hi:[1,1,0] neg_lo:[0,0,1] neg_hi:[0,0,1]
	v_pk_fma_f32 v[130:131], v[130:131], v[120:121], v[134:135] op_sel:[0,0,1] op_sel_hi:[1,0,0]
	s_delay_alu instid0(VALU_DEP_1) | instskip(SKIP_1) | instid1(VALU_DEP_1)
	v_mov_b32_e32 v137, v131
	v_pk_mul_f32 v[130:131], v[132:133], v[122:123] op_sel:[0,1]
	v_pk_fma_f32 v[134:135], v[132:133], v[120:121], v[130:131] op_sel:[0,0,1] op_sel_hi:[1,1,0] neg_lo:[0,0,1] neg_hi:[0,0,1]
	v_pk_fma_f32 v[130:131], v[132:133], v[120:121], v[130:131] op_sel:[0,0,1] op_sel_hi:[1,0,0]
	s_delay_alu instid0(VALU_DEP_1)
	v_mov_b32_e32 v135, v131
	ds_load_2addr_b64 v[130:133], v124 offset0:49 offset1:50
	v_pk_add_f32 v[20:21], v[20:21], v[136:137] neg_lo:[0,1] neg_hi:[0,1]
	v_pk_add_f32 v[14:15], v[14:15], v[134:135] neg_lo:[0,1] neg_hi:[0,1]
	s_wait_dscnt 0x0
	v_pk_mul_f32 v[134:135], v[130:131], v[122:123] op_sel:[0,1]
	s_delay_alu instid0(VALU_DEP_1) | instskip(SKIP_1) | instid1(VALU_DEP_1)
	v_pk_fma_f32 v[136:137], v[130:131], v[120:121], v[134:135] op_sel:[0,0,1] op_sel_hi:[1,1,0] neg_lo:[0,0,1] neg_hi:[0,0,1]
	v_pk_fma_f32 v[130:131], v[130:131], v[120:121], v[134:135] op_sel:[0,0,1] op_sel_hi:[1,0,0]
	v_mov_b32_e32 v137, v131
	v_pk_mul_f32 v[130:131], v[132:133], v[122:123] op_sel:[0,1]
	s_delay_alu instid0(VALU_DEP_1) | instskip(SKIP_1) | instid1(VALU_DEP_1)
	v_pk_fma_f32 v[134:135], v[132:133], v[120:121], v[130:131] op_sel:[0,0,1] op_sel_hi:[1,1,0] neg_lo:[0,0,1] neg_hi:[0,0,1]
	v_pk_fma_f32 v[130:131], v[132:133], v[120:121], v[130:131] op_sel:[0,0,1] op_sel_hi:[1,0,0]
	v_mov_b32_e32 v135, v131
	ds_load_2addr_b64 v[130:133], v124 offset0:51 offset1:52
	v_pk_add_f32 v[10:11], v[10:11], v[136:137] neg_lo:[0,1] neg_hi:[0,1]
	v_pk_add_f32 v[12:13], v[12:13], v[134:135] neg_lo:[0,1] neg_hi:[0,1]
	s_wait_dscnt 0x0
	v_dual_mul_f32 v134, v131, v123 :: v_dual_mul_f32 v136, v131, v120
	s_delay_alu instid0(VALU_DEP_1) | instskip(NEXT) | instid1(VALU_DEP_2)
	v_pk_fma_f32 v[134:135], v[130:131], v[112:113], v[134:135] op_sel_hi:[1,1,0] neg_lo:[0,0,1] neg_hi:[0,0,1]
	v_pk_fma_f32 v[130:131], v[130:131], v[112:113], v[136:137] op_sel:[1,0,0] op_sel_hi:[0,1,0]
	s_delay_alu instid0(VALU_DEP_1) | instskip(SKIP_1) | instid1(VALU_DEP_2)
	v_mov_b32_e32 v135, v131
	v_pk_mul_f32 v[130:131], v[132:133], v[122:123] op_sel:[0,1]
	v_pk_add_f32 v[8:9], v[8:9], v[134:135] neg_lo:[0,1] neg_hi:[0,1]
	s_delay_alu instid0(VALU_DEP_2) | instskip(SKIP_1) | instid1(VALU_DEP_1)
	v_pk_fma_f32 v[134:135], v[132:133], v[120:121], v[130:131] op_sel:[0,0,1] op_sel_hi:[1,1,0] neg_lo:[0,0,1] neg_hi:[0,0,1]
	v_pk_fma_f32 v[130:131], v[132:133], v[120:121], v[130:131] op_sel:[0,0,1] op_sel_hi:[1,0,0]
	v_mov_b32_e32 v135, v131
	ds_load_2addr_b64 v[130:133], v124 offset0:53 offset1:54
	v_pk_add_f32 v[6:7], v[6:7], v[134:135] neg_lo:[0,1] neg_hi:[0,1]
	s_wait_dscnt 0x0
	v_pk_mul_f32 v[134:135], v[130:131], v[122:123] op_sel:[0,1]
	s_delay_alu instid0(VALU_DEP_1) | instskip(SKIP_1) | instid1(VALU_DEP_1)
	v_pk_fma_f32 v[136:137], v[130:131], v[120:121], v[134:135] op_sel:[0,0,1] op_sel_hi:[1,1,0] neg_lo:[0,0,1] neg_hi:[0,0,1]
	v_pk_fma_f32 v[130:131], v[130:131], v[120:121], v[134:135] op_sel:[0,0,1] op_sel_hi:[1,0,0]
	v_mov_b32_e32 v137, v131
	v_pk_mul_f32 v[130:131], v[132:133], v[122:123] op_sel:[0,1]
	s_delay_alu instid0(VALU_DEP_2) | instskip(NEXT) | instid1(VALU_DEP_2)
	v_pk_add_f32 v[28:29], v[28:29], v[136:137] neg_lo:[0,1] neg_hi:[0,1]
	v_pk_fma_f32 v[134:135], v[132:133], v[120:121], v[130:131] op_sel:[0,0,1] op_sel_hi:[1,1,0] neg_lo:[0,0,1] neg_hi:[0,0,1]
	v_pk_fma_f32 v[130:131], v[132:133], v[120:121], v[130:131] op_sel:[0,0,1] op_sel_hi:[1,0,0]
	s_delay_alu instid0(VALU_DEP_1)
	v_mov_b32_e32 v135, v131
	ds_load_2addr_b64 v[130:133], v124 offset0:55 offset1:56
	v_pk_add_f32 v[18:19], v[18:19], v[134:135] neg_lo:[0,1] neg_hi:[0,1]
	s_wait_dscnt 0x0
	v_pk_mul_f32 v[134:135], v[130:131], v[122:123] op_sel:[0,1]
	v_mul_f32_e32 v122, v133, v123
	s_delay_alu instid0(VALU_DEP_2) | instskip(SKIP_2) | instid1(VALU_DEP_4)
	v_pk_fma_f32 v[136:137], v[130:131], v[120:121], v[134:135] op_sel:[0,0,1] op_sel_hi:[1,1,0] neg_lo:[0,0,1] neg_hi:[0,0,1]
	v_pk_fma_f32 v[130:131], v[130:131], v[120:121], v[134:135] op_sel:[0,0,1] op_sel_hi:[1,0,0]
	v_dual_mov_b32 v130, v133 :: v_dual_mul_f32 v120, v133, v120
	v_pk_fma_f32 v[122:123], v[132:133], v[112:113], v[122:123] op_sel_hi:[1,1,0] neg_lo:[0,0,1] neg_hi:[0,0,1]
	s_delay_alu instid0(VALU_DEP_3) | instskip(NEXT) | instid1(VALU_DEP_1)
	v_dual_mov_b32 v137, v131 :: v_dual_mov_b32 v131, v132
	v_pk_add_f32 v[16:17], v[16:17], v[136:137] neg_lo:[0,1] neg_hi:[0,1]
	s_delay_alu instid0(VALU_DEP_2) | instskip(NEXT) | instid1(VALU_DEP_1)
	v_pk_fma_f32 v[120:121], v[130:131], v[112:113], v[120:121] op_sel_hi:[1,1,0]
	v_mov_b32_e32 v123, v121
	s_delay_alu instid0(VALU_DEP_1)
	v_pk_add_f32 v[118:119], v[118:119], v[122:123] neg_lo:[0,1] neg_hi:[0,1]
.LBB112_62:
	s_or_b32 exec_lo, exec_lo, s0
	v_lshl_add_u32 v120, v128, 3, v124
	s_barrier_signal -1
	s_barrier_wait -1
	ds_store_b64 v120, v[110:111]
	s_wait_dscnt 0x0
	s_barrier_signal -1
	s_barrier_wait -1
	ds_load_b64 v[122:123], v124 offset:24
	v_mov_b32_e32 v120, 3
	s_cmp_lt_i32 s18, 5
	s_cbranch_scc1 .LBB112_65
; %bb.63:
	v_mov_b32_e32 v120, 3
	v_add3_u32 v121, v125, 0, 32
	s_mov_b32 s0, 4
.LBB112_64:                             ; =>This Inner Loop Header: Depth=1
	ds_load_b64 v[130:131], v121
	s_wait_dscnt 0x1
	v_cmp_gt_f32_e32 vcc_lo, 0, v122
	v_cndmask_b32_e64 v132, v122, -v122, vcc_lo
	v_cmp_gt_f32_e32 vcc_lo, 0, v123
	v_cndmask_b32_e64 v134, v123, -v123, vcc_lo
	s_wait_dscnt 0x0
	v_cmp_gt_f32_e32 vcc_lo, 0, v130
	v_cndmask_b32_e64 v133, v130, -v130, vcc_lo
	v_cmp_gt_f32_e32 vcc_lo, 0, v131
	v_cndmask_b32_e64 v135, v131, -v131, vcc_lo
	s_delay_alu instid0(VALU_DEP_1) | instskip(NEXT) | instid1(VALU_DEP_1)
	v_pk_add_f32 v[132:133], v[132:133], v[134:135]
	v_cmp_lt_f32_e32 vcc_lo, v132, v133
	v_dual_add_nc_u32 v121, 8, v121 :: v_dual_cndmask_b32 v123, v123, v131, vcc_lo
	v_cndmask_b32_e32 v122, v122, v130, vcc_lo
	v_cndmask_b32_e64 v120, v120, s0, vcc_lo
	s_add_co_i32 s0, s0, 1
	s_delay_alu instid0(SALU_CYCLE_1)
	s_cmp_lg_u32 s18, s0
	s_cbranch_scc1 .LBB112_64
.LBB112_65:
	s_wait_dscnt 0x0
	v_cmp_eq_f32_e32 vcc_lo, 0, v122
	v_cmp_eq_f32_e64 s0, 0, v123
	s_and_b32 s0, vcc_lo, s0
	s_delay_alu instid0(SALU_CYCLE_1) | instskip(NEXT) | instid1(SALU_CYCLE_1)
	s_and_saveexec_b32 s1, s0
	s_xor_b32 s0, exec_lo, s1
; %bb.66:
	v_cmp_ne_u32_e32 vcc_lo, 0, v126
	v_cndmask_b32_e32 v126, 4, v126, vcc_lo
; %bb.67:
	s_and_not1_saveexec_b32 s0, s0
	s_cbranch_execz .LBB112_73
; %bb.68:
	v_cmp_ngt_f32_e64 s1, |v122|, |v123|
	s_and_saveexec_b32 s12, s1
	s_delay_alu instid0(SALU_CYCLE_1)
	s_xor_b32 s1, exec_lo, s12
	s_cbranch_execz .LBB112_70
; %bb.69:
	v_div_scale_f32 v121, null, v123, v123, v122
	v_div_scale_f32 v131, vcc_lo, v122, v123, v122
	s_delay_alu instid0(VALU_DEP_2) | instskip(SKIP_1) | instid1(TRANS32_DEP_1)
	v_rcp_f32_e32 v129, v121
	v_nop
	v_fma_f32 v130, -v121, v129, 1.0
	s_delay_alu instid0(VALU_DEP_1) | instskip(NEXT) | instid1(VALU_DEP_1)
	v_fmac_f32_e32 v129, v130, v129
	v_mul_f32_e32 v130, v131, v129
	s_delay_alu instid0(VALU_DEP_1) | instskip(NEXT) | instid1(VALU_DEP_1)
	v_fma_f32 v132, -v121, v130, v131
	v_fmac_f32_e32 v130, v132, v129
	s_delay_alu instid0(VALU_DEP_1) | instskip(NEXT) | instid1(VALU_DEP_1)
	v_fma_f32 v121, -v121, v130, v131
	v_div_fmas_f32 v121, v121, v129, v130
	s_delay_alu instid0(VALU_DEP_1) | instskip(NEXT) | instid1(VALU_DEP_1)
	v_div_fixup_f32 v121, v121, v123, v122
	v_fmac_f32_e32 v123, v122, v121
	s_delay_alu instid0(VALU_DEP_1) | instskip(SKIP_1) | instid1(VALU_DEP_2)
	v_div_scale_f32 v122, null, v123, v123, 1.0
	v_div_scale_f32 v131, vcc_lo, 1.0, v123, 1.0
	v_rcp_f32_e32 v129, v122
	v_nop
	s_delay_alu instid0(TRANS32_DEP_1) | instskip(NEXT) | instid1(VALU_DEP_1)
	v_fma_f32 v130, -v122, v129, 1.0
	v_fmac_f32_e32 v129, v130, v129
	s_delay_alu instid0(VALU_DEP_1) | instskip(NEXT) | instid1(VALU_DEP_1)
	v_mul_f32_e32 v130, v131, v129
	v_fma_f32 v132, -v122, v130, v131
	s_delay_alu instid0(VALU_DEP_1) | instskip(NEXT) | instid1(VALU_DEP_1)
	v_fmac_f32_e32 v130, v132, v129
	v_fma_f32 v122, -v122, v130, v131
	s_delay_alu instid0(VALU_DEP_1) | instskip(NEXT) | instid1(VALU_DEP_1)
	v_div_fmas_f32 v122, v122, v129, v130
	v_div_fixup_f32 v123, v122, v123, 1.0
	s_delay_alu instid0(VALU_DEP_1)
	v_mul_f32_e32 v122, v121, v123
	v_xor_b32_e32 v123, 0x80000000, v123
.LBB112_70:
	s_and_not1_saveexec_b32 s1, s1
	s_cbranch_execz .LBB112_72
; %bb.71:
	s_delay_alu instid0(VALU_DEP_1) | instskip(SKIP_1) | instid1(VALU_DEP_2)
	v_div_scale_f32 v121, null, v122, v122, v123
	v_div_scale_f32 v131, vcc_lo, v123, v122, v123
	v_rcp_f32_e32 v129, v121
	v_nop
	s_delay_alu instid0(TRANS32_DEP_1) | instskip(NEXT) | instid1(VALU_DEP_1)
	v_fma_f32 v130, -v121, v129, 1.0
	v_fmac_f32_e32 v129, v130, v129
	s_delay_alu instid0(VALU_DEP_1) | instskip(NEXT) | instid1(VALU_DEP_1)
	v_mul_f32_e32 v130, v131, v129
	v_fma_f32 v132, -v121, v130, v131
	s_delay_alu instid0(VALU_DEP_1) | instskip(NEXT) | instid1(VALU_DEP_1)
	v_fmac_f32_e32 v130, v132, v129
	v_fma_f32 v121, -v121, v130, v131
	s_delay_alu instid0(VALU_DEP_1) | instskip(NEXT) | instid1(VALU_DEP_1)
	v_div_fmas_f32 v121, v121, v129, v130
	v_div_fixup_f32 v121, v121, v122, v123
	s_delay_alu instid0(VALU_DEP_1) | instskip(NEXT) | instid1(VALU_DEP_1)
	v_fmac_f32_e32 v122, v123, v121
	v_div_scale_f32 v123, null, v122, v122, 1.0
	s_delay_alu instid0(VALU_DEP_1) | instskip(SKIP_1) | instid1(TRANS32_DEP_1)
	v_rcp_f32_e32 v129, v123
	v_nop
	v_fma_f32 v130, -v123, v129, 1.0
	s_delay_alu instid0(VALU_DEP_1) | instskip(SKIP_1) | instid1(VALU_DEP_1)
	v_fmac_f32_e32 v129, v130, v129
	v_div_scale_f32 v130, vcc_lo, 1.0, v122, 1.0
	v_mul_f32_e32 v131, v130, v129
	s_delay_alu instid0(VALU_DEP_1) | instskip(NEXT) | instid1(VALU_DEP_1)
	v_fma_f32 v132, -v123, v131, v130
	v_fmac_f32_e32 v131, v132, v129
	s_delay_alu instid0(VALU_DEP_1) | instskip(NEXT) | instid1(VALU_DEP_1)
	v_fma_f32 v123, -v123, v131, v130
	v_div_fmas_f32 v123, v123, v129, v131
	s_delay_alu instid0(VALU_DEP_1) | instskip(NEXT) | instid1(VALU_DEP_1)
	v_div_fixup_f32 v122, v123, v122, 1.0
	v_mul_f32_e64 v123, v121, -v122
.LBB112_72:
	s_or_b32 exec_lo, exec_lo, s1
.LBB112_73:
	s_delay_alu instid0(SALU_CYCLE_1) | instskip(NEXT) | instid1(SALU_CYCLE_1)
	s_or_b32 exec_lo, exec_lo, s0
	s_mov_b32 s0, exec_lo
	v_cmpx_ne_u32_e64 v128, v120
	s_xor_b32 s0, exec_lo, s0
	s_cbranch_execz .LBB112_79
; %bb.74:
	s_mov_b32 s1, exec_lo
	v_cmpx_eq_u32_e32 3, v128
	s_cbranch_execz .LBB112_78
; %bb.75:
	v_cmp_ne_u32_e32 vcc_lo, 3, v120
	s_xor_b32 s12, s16, -1
	s_delay_alu instid0(SALU_CYCLE_1) | instskip(NEXT) | instid1(SALU_CYCLE_1)
	s_and_b32 s13, s12, vcc_lo
	s_and_saveexec_b32 s12, s13
	s_cbranch_execz .LBB112_77
; %bb.76:
	v_ashrrev_i32_e32 v121, 31, v120
	s_delay_alu instid0(VALU_DEP_1)
	v_lshl_add_u64 v[128:129], v[120:121], 2, v[4:5]
	s_clause 0x1
	global_load_b32 v121, v[128:129], off
	global_load_b32 v127, v[4:5], off offset:12
	s_wait_loadcnt 0x1
	global_store_b32 v[4:5], v121, off offset:12
	s_wait_loadcnt 0x0
	global_store_b32 v[128:129], v127, off
.LBB112_77:
	s_wait_xcnt 0x0
	s_or_b32 exec_lo, exec_lo, s12
	v_dual_mov_b32 v128, v120 :: v_dual_mov_b32 v127, v120
.LBB112_78:
	s_or_b32 exec_lo, exec_lo, s1
.LBB112_79:
	s_and_not1_saveexec_b32 s0, s0
	s_cbranch_execz .LBB112_81
; %bb.80:
	v_dual_mov_b32 v120, v108 :: v_dual_mov_b32 v121, v109
	v_dual_mov_b32 v128, v106 :: v_dual_mov_b32 v129, v107
	ds_store_2addr_b64 v124, v[120:121], v[128:129] offset0:4 offset1:5
	v_dual_mov_b32 v120, v88 :: v_dual_mov_b32 v121, v89
	v_dual_mov_b32 v128, v86 :: v_dual_mov_b32 v129, v87
	ds_store_2addr_b64 v124, v[120:121], v[128:129] offset0:6 offset1:7
	;; [unrolled: 3-line block ×26, first 2 shown]
	ds_store_b64 v124, v[118:119] offset:448
	v_mov_b32_e32 v128, 3
.LBB112_81:
	s_or_b32 exec_lo, exec_lo, s0
	s_delay_alu instid0(SALU_CYCLE_1)
	s_mov_b32 s0, exec_lo
	s_wait_storecnt_dscnt 0x0
	s_barrier_signal -1
	s_barrier_wait -1
	v_cmpx_lt_i32_e32 3, v128
	s_cbranch_execz .LBB112_83
; %bb.82:
	v_pk_mul_f32 v[130:131], v[122:123], v[110:111] op_sel:[1,1] op_sel_hi:[0,1]
	s_delay_alu instid0(VALU_DEP_1)
	v_pk_fma_f32 v[120:121], v[122:123], v[110:111], v[130:131] op_sel_hi:[1,0,1] neg_lo:[0,0,1] neg_hi:[0,0,1]
	v_pk_fma_f32 v[122:123], v[122:123], v[110:111], v[130:131] op_sel_hi:[1,0,1]
	ds_load_2addr_b64 v[130:133], v124 offset0:4 offset1:5
	v_dual_mov_b32 v110, v120 :: v_dual_mov_b32 v111, v123
	s_wait_dscnt 0x0
	v_pk_mul_f32 v[134:135], v[130:131], v[122:123] op_sel:[0,1]
	s_delay_alu instid0(VALU_DEP_1) | instskip(SKIP_1) | instid1(VALU_DEP_1)
	v_pk_fma_f32 v[136:137], v[130:131], v[120:121], v[134:135] op_sel:[0,0,1] op_sel_hi:[1,1,0] neg_lo:[0,0,1] neg_hi:[0,0,1]
	v_pk_fma_f32 v[130:131], v[130:131], v[120:121], v[134:135] op_sel:[0,0,1] op_sel_hi:[1,0,0]
	v_mov_b32_e32 v137, v131
	v_pk_mul_f32 v[130:131], v[132:133], v[122:123] op_sel:[0,1]
	s_delay_alu instid0(VALU_DEP_1) | instskip(SKIP_1) | instid1(VALU_DEP_1)
	v_pk_fma_f32 v[134:135], v[132:133], v[120:121], v[130:131] op_sel:[0,0,1] op_sel_hi:[1,1,0] neg_lo:[0,0,1] neg_hi:[0,0,1]
	v_pk_fma_f32 v[130:131], v[132:133], v[120:121], v[130:131] op_sel:[0,0,1] op_sel_hi:[1,0,0]
	v_mov_b32_e32 v135, v131
	ds_load_2addr_b64 v[130:133], v124 offset0:6 offset1:7
	v_pk_add_f32 v[108:109], v[108:109], v[136:137] neg_lo:[0,1] neg_hi:[0,1]
	v_pk_add_f32 v[106:107], v[106:107], v[134:135] neg_lo:[0,1] neg_hi:[0,1]
	s_wait_dscnt 0x0
	v_pk_mul_f32 v[134:135], v[130:131], v[122:123] op_sel:[0,1]
	s_delay_alu instid0(VALU_DEP_1) | instskip(SKIP_2) | instid1(VALU_DEP_2)
	v_pk_fma_f32 v[136:137], v[130:131], v[120:121], v[134:135] op_sel:[0,0,1] op_sel_hi:[1,1,0] neg_lo:[0,0,1] neg_hi:[0,0,1]
	v_pk_fma_f32 v[130:131], v[130:131], v[120:121], v[134:135] op_sel:[0,0,1] op_sel_hi:[1,0,0]
	v_dual_mul_f32 v134, v133, v123 :: v_dual_mov_b32 v130, v133
	v_dual_mov_b32 v137, v131 :: v_dual_mov_b32 v131, v132
	s_delay_alu instid0(VALU_DEP_2) | instskip(SKIP_1) | instid1(VALU_DEP_3)
	v_pk_fma_f32 v[134:135], v[132:133], v[110:111], v[134:135] op_sel_hi:[1,1,0] neg_lo:[0,0,1] neg_hi:[0,0,1]
	v_mul_f32_e32 v132, v133, v120
	v_pk_add_f32 v[88:89], v[88:89], v[136:137] neg_lo:[0,1] neg_hi:[0,1]
	s_delay_alu instid0(VALU_DEP_2) | instskip(NEXT) | instid1(VALU_DEP_1)
	v_pk_fma_f32 v[130:131], v[130:131], v[110:111], v[132:133] op_sel_hi:[1,1,0]
	v_mov_b32_e32 v135, v131
	ds_load_2addr_b64 v[130:133], v124 offset0:8 offset1:9
	v_pk_add_f32 v[86:87], v[86:87], v[134:135] neg_lo:[0,1] neg_hi:[0,1]
	s_wait_dscnt 0x0
	v_pk_mul_f32 v[134:135], v[130:131], v[122:123] op_sel:[0,1]
	s_delay_alu instid0(VALU_DEP_1) | instskip(SKIP_1) | instid1(VALU_DEP_1)
	v_pk_fma_f32 v[136:137], v[130:131], v[120:121], v[134:135] op_sel:[0,0,1] op_sel_hi:[1,1,0] neg_lo:[0,0,1] neg_hi:[0,0,1]
	v_pk_fma_f32 v[130:131], v[130:131], v[120:121], v[134:135] op_sel:[0,0,1] op_sel_hi:[1,0,0]
	v_mov_b32_e32 v137, v131
	v_pk_mul_f32 v[130:131], v[132:133], v[122:123] op_sel:[0,1]
	s_delay_alu instid0(VALU_DEP_1) | instskip(SKIP_1) | instid1(VALU_DEP_1)
	v_pk_fma_f32 v[134:135], v[132:133], v[120:121], v[130:131] op_sel:[0,0,1] op_sel_hi:[1,1,0] neg_lo:[0,0,1] neg_hi:[0,0,1]
	v_pk_fma_f32 v[130:131], v[132:133], v[120:121], v[130:131] op_sel:[0,0,1] op_sel_hi:[1,0,0]
	v_mov_b32_e32 v135, v131
	ds_load_2addr_b64 v[130:133], v124 offset0:10 offset1:11
	v_pk_add_f32 v[104:105], v[104:105], v[136:137] neg_lo:[0,1] neg_hi:[0,1]
	v_pk_add_f32 v[100:101], v[100:101], v[134:135] neg_lo:[0,1] neg_hi:[0,1]
	s_wait_dscnt 0x0
	v_pk_mul_f32 v[134:135], v[130:131], v[122:123] op_sel:[0,1]
	s_delay_alu instid0(VALU_DEP_1) | instskip(SKIP_1) | instid1(VALU_DEP_1)
	v_pk_fma_f32 v[136:137], v[130:131], v[120:121], v[134:135] op_sel:[0,0,1] op_sel_hi:[1,1,0] neg_lo:[0,0,1] neg_hi:[0,0,1]
	v_pk_fma_f32 v[130:131], v[130:131], v[120:121], v[134:135] op_sel:[0,0,1] op_sel_hi:[1,0,0]
	v_mov_b32_e32 v137, v131
	v_pk_mul_f32 v[130:131], v[132:133], v[122:123] op_sel:[0,1]
	s_delay_alu instid0(VALU_DEP_1) | instskip(SKIP_1) | instid1(VALU_DEP_1)
	v_pk_fma_f32 v[134:135], v[132:133], v[120:121], v[130:131] op_sel:[0,0,1] op_sel_hi:[1,1,0] neg_lo:[0,0,1] neg_hi:[0,0,1]
	v_pk_fma_f32 v[130:131], v[132:133], v[120:121], v[130:131] op_sel:[0,0,1] op_sel_hi:[1,0,0]
	v_mov_b32_e32 v135, v131
	ds_load_2addr_b64 v[130:133], v124 offset0:12 offset1:13
	v_pk_add_f32 v[102:103], v[102:103], v[136:137] neg_lo:[0,1] neg_hi:[0,1]
	v_pk_add_f32 v[98:99], v[98:99], v[134:135] neg_lo:[0,1] neg_hi:[0,1]
	s_wait_dscnt 0x0
	v_dual_mul_f32 v134, v131, v123 :: v_dual_mul_f32 v136, v131, v120
	s_delay_alu instid0(VALU_DEP_1) | instskip(NEXT) | instid1(VALU_DEP_2)
	v_pk_fma_f32 v[134:135], v[130:131], v[110:111], v[134:135] op_sel_hi:[1,1,0] neg_lo:[0,0,1] neg_hi:[0,0,1]
	v_pk_fma_f32 v[130:131], v[130:131], v[110:111], v[136:137] op_sel:[1,0,0] op_sel_hi:[0,1,0]
	s_delay_alu instid0(VALU_DEP_1) | instskip(SKIP_1) | instid1(VALU_DEP_2)
	v_mov_b32_e32 v135, v131
	v_pk_mul_f32 v[130:131], v[132:133], v[122:123] op_sel:[0,1]
	v_pk_add_f32 v[96:97], v[96:97], v[134:135] neg_lo:[0,1] neg_hi:[0,1]
	s_delay_alu instid0(VALU_DEP_2) | instskip(SKIP_1) | instid1(VALU_DEP_1)
	v_pk_fma_f32 v[134:135], v[132:133], v[120:121], v[130:131] op_sel:[0,0,1] op_sel_hi:[1,1,0] neg_lo:[0,0,1] neg_hi:[0,0,1]
	v_pk_fma_f32 v[130:131], v[132:133], v[120:121], v[130:131] op_sel:[0,0,1] op_sel_hi:[1,0,0]
	v_mov_b32_e32 v135, v131
	ds_load_2addr_b64 v[130:133], v124 offset0:14 offset1:15
	v_pk_add_f32 v[92:93], v[92:93], v[134:135] neg_lo:[0,1] neg_hi:[0,1]
	s_wait_dscnt 0x0
	v_pk_mul_f32 v[134:135], v[130:131], v[122:123] op_sel:[0,1]
	s_delay_alu instid0(VALU_DEP_1) | instskip(SKIP_1) | instid1(VALU_DEP_1)
	v_pk_fma_f32 v[136:137], v[130:131], v[120:121], v[134:135] op_sel:[0,0,1] op_sel_hi:[1,1,0] neg_lo:[0,0,1] neg_hi:[0,0,1]
	v_pk_fma_f32 v[130:131], v[130:131], v[120:121], v[134:135] op_sel:[0,0,1] op_sel_hi:[1,0,0]
	v_mov_b32_e32 v137, v131
	v_pk_mul_f32 v[130:131], v[132:133], v[122:123] op_sel:[0,1]
	s_delay_alu instid0(VALU_DEP_2) | instskip(NEXT) | instid1(VALU_DEP_2)
	v_pk_add_f32 v[94:95], v[94:95], v[136:137] neg_lo:[0,1] neg_hi:[0,1]
	v_pk_fma_f32 v[134:135], v[132:133], v[120:121], v[130:131] op_sel:[0,0,1] op_sel_hi:[1,1,0] neg_lo:[0,0,1] neg_hi:[0,0,1]
	v_pk_fma_f32 v[130:131], v[132:133], v[120:121], v[130:131] op_sel:[0,0,1] op_sel_hi:[1,0,0]
	s_delay_alu instid0(VALU_DEP_1) | instskip(SKIP_4) | instid1(VALU_DEP_1)
	v_mov_b32_e32 v135, v131
	ds_load_2addr_b64 v[130:133], v124 offset0:16 offset1:17
	v_pk_add_f32 v[90:91], v[90:91], v[134:135] neg_lo:[0,1] neg_hi:[0,1]
	s_wait_dscnt 0x0
	v_pk_mul_f32 v[134:135], v[130:131], v[122:123] op_sel:[0,1]
	v_pk_fma_f32 v[136:137], v[130:131], v[120:121], v[134:135] op_sel:[0,0,1] op_sel_hi:[1,1,0] neg_lo:[0,0,1] neg_hi:[0,0,1]
	v_pk_fma_f32 v[130:131], v[130:131], v[120:121], v[134:135] op_sel:[0,0,1] op_sel_hi:[1,0,0]
	v_dual_mul_f32 v134, v133, v123 :: v_dual_mov_b32 v130, v133
	s_delay_alu instid0(VALU_DEP_2) | instskip(NEXT) | instid1(VALU_DEP_2)
	v_dual_mov_b32 v137, v131 :: v_dual_mov_b32 v131, v132
	v_pk_fma_f32 v[134:135], v[132:133], v[110:111], v[134:135] op_sel_hi:[1,1,0] neg_lo:[0,0,1] neg_hi:[0,0,1]
	v_mul_f32_e32 v132, v133, v120
	s_delay_alu instid0(VALU_DEP_3) | instskip(NEXT) | instid1(VALU_DEP_2)
	v_pk_add_f32 v[84:85], v[84:85], v[136:137] neg_lo:[0,1] neg_hi:[0,1]
	v_pk_fma_f32 v[130:131], v[130:131], v[110:111], v[132:133] op_sel_hi:[1,1,0]
	s_delay_alu instid0(VALU_DEP_1) | instskip(SKIP_4) | instid1(VALU_DEP_1)
	v_mov_b32_e32 v135, v131
	ds_load_2addr_b64 v[130:133], v124 offset0:18 offset1:19
	v_pk_add_f32 v[80:81], v[80:81], v[134:135] neg_lo:[0,1] neg_hi:[0,1]
	s_wait_dscnt 0x0
	v_pk_mul_f32 v[134:135], v[130:131], v[122:123] op_sel:[0,1]
	v_pk_fma_f32 v[136:137], v[130:131], v[120:121], v[134:135] op_sel:[0,0,1] op_sel_hi:[1,1,0] neg_lo:[0,0,1] neg_hi:[0,0,1]
	v_pk_fma_f32 v[130:131], v[130:131], v[120:121], v[134:135] op_sel:[0,0,1] op_sel_hi:[1,0,0]
	s_delay_alu instid0(VALU_DEP_1) | instskip(SKIP_1) | instid1(VALU_DEP_1)
	v_mov_b32_e32 v137, v131
	v_pk_mul_f32 v[130:131], v[132:133], v[122:123] op_sel:[0,1]
	v_pk_fma_f32 v[134:135], v[132:133], v[120:121], v[130:131] op_sel:[0,0,1] op_sel_hi:[1,1,0] neg_lo:[0,0,1] neg_hi:[0,0,1]
	v_pk_fma_f32 v[130:131], v[132:133], v[120:121], v[130:131] op_sel:[0,0,1] op_sel_hi:[1,0,0]
	s_delay_alu instid0(VALU_DEP_1)
	v_mov_b32_e32 v135, v131
	ds_load_2addr_b64 v[130:133], v124 offset0:20 offset1:21
	v_pk_add_f32 v[82:83], v[82:83], v[136:137] neg_lo:[0,1] neg_hi:[0,1]
	v_pk_add_f32 v[78:79], v[78:79], v[134:135] neg_lo:[0,1] neg_hi:[0,1]
	s_wait_dscnt 0x0
	v_pk_mul_f32 v[134:135], v[130:131], v[122:123] op_sel:[0,1]
	s_delay_alu instid0(VALU_DEP_1) | instskip(SKIP_1) | instid1(VALU_DEP_1)
	v_pk_fma_f32 v[136:137], v[130:131], v[120:121], v[134:135] op_sel:[0,0,1] op_sel_hi:[1,1,0] neg_lo:[0,0,1] neg_hi:[0,0,1]
	v_pk_fma_f32 v[130:131], v[130:131], v[120:121], v[134:135] op_sel:[0,0,1] op_sel_hi:[1,0,0]
	v_mov_b32_e32 v137, v131
	v_pk_mul_f32 v[130:131], v[132:133], v[122:123] op_sel:[0,1]
	s_delay_alu instid0(VALU_DEP_1) | instskip(SKIP_1) | instid1(VALU_DEP_1)
	v_pk_fma_f32 v[134:135], v[132:133], v[120:121], v[130:131] op_sel:[0,0,1] op_sel_hi:[1,1,0] neg_lo:[0,0,1] neg_hi:[0,0,1]
	v_pk_fma_f32 v[130:131], v[132:133], v[120:121], v[130:131] op_sel:[0,0,1] op_sel_hi:[1,0,0]
	v_mov_b32_e32 v135, v131
	ds_load_2addr_b64 v[130:133], v124 offset0:22 offset1:23
	v_pk_add_f32 v[76:77], v[76:77], v[136:137] neg_lo:[0,1] neg_hi:[0,1]
	v_pk_add_f32 v[72:73], v[72:73], v[134:135] neg_lo:[0,1] neg_hi:[0,1]
	s_wait_dscnt 0x0
	v_dual_mul_f32 v134, v131, v123 :: v_dual_mul_f32 v136, v131, v120
	s_delay_alu instid0(VALU_DEP_1) | instskip(NEXT) | instid1(VALU_DEP_2)
	v_pk_fma_f32 v[134:135], v[130:131], v[110:111], v[134:135] op_sel_hi:[1,1,0] neg_lo:[0,0,1] neg_hi:[0,0,1]
	v_pk_fma_f32 v[130:131], v[130:131], v[110:111], v[136:137] op_sel:[1,0,0] op_sel_hi:[0,1,0]
	s_delay_alu instid0(VALU_DEP_1) | instskip(SKIP_1) | instid1(VALU_DEP_2)
	v_mov_b32_e32 v135, v131
	v_pk_mul_f32 v[130:131], v[132:133], v[122:123] op_sel:[0,1]
	v_pk_add_f32 v[74:75], v[74:75], v[134:135] neg_lo:[0,1] neg_hi:[0,1]
	s_delay_alu instid0(VALU_DEP_2) | instskip(SKIP_1) | instid1(VALU_DEP_1)
	v_pk_fma_f32 v[134:135], v[132:133], v[120:121], v[130:131] op_sel:[0,0,1] op_sel_hi:[1,1,0] neg_lo:[0,0,1] neg_hi:[0,0,1]
	v_pk_fma_f32 v[130:131], v[132:133], v[120:121], v[130:131] op_sel:[0,0,1] op_sel_hi:[1,0,0]
	v_mov_b32_e32 v135, v131
	ds_load_2addr_b64 v[130:133], v124 offset0:24 offset1:25
	v_pk_add_f32 v[70:71], v[70:71], v[134:135] neg_lo:[0,1] neg_hi:[0,1]
	s_wait_dscnt 0x0
	v_pk_mul_f32 v[134:135], v[130:131], v[122:123] op_sel:[0,1]
	s_delay_alu instid0(VALU_DEP_1) | instskip(SKIP_1) | instid1(VALU_DEP_1)
	v_pk_fma_f32 v[136:137], v[130:131], v[120:121], v[134:135] op_sel:[0,0,1] op_sel_hi:[1,1,0] neg_lo:[0,0,1] neg_hi:[0,0,1]
	v_pk_fma_f32 v[130:131], v[130:131], v[120:121], v[134:135] op_sel:[0,0,1] op_sel_hi:[1,0,0]
	v_mov_b32_e32 v137, v131
	v_pk_mul_f32 v[130:131], v[132:133], v[122:123] op_sel:[0,1]
	s_delay_alu instid0(VALU_DEP_2) | instskip(NEXT) | instid1(VALU_DEP_2)
	v_pk_add_f32 v[68:69], v[68:69], v[136:137] neg_lo:[0,1] neg_hi:[0,1]
	v_pk_fma_f32 v[134:135], v[132:133], v[120:121], v[130:131] op_sel:[0,0,1] op_sel_hi:[1,1,0] neg_lo:[0,0,1] neg_hi:[0,0,1]
	v_pk_fma_f32 v[130:131], v[132:133], v[120:121], v[130:131] op_sel:[0,0,1] op_sel_hi:[1,0,0]
	s_delay_alu instid0(VALU_DEP_1) | instskip(SKIP_4) | instid1(VALU_DEP_1)
	v_mov_b32_e32 v135, v131
	ds_load_2addr_b64 v[130:133], v124 offset0:26 offset1:27
	v_pk_add_f32 v[64:65], v[64:65], v[134:135] neg_lo:[0,1] neg_hi:[0,1]
	s_wait_dscnt 0x0
	v_pk_mul_f32 v[134:135], v[130:131], v[122:123] op_sel:[0,1]
	v_pk_fma_f32 v[136:137], v[130:131], v[120:121], v[134:135] op_sel:[0,0,1] op_sel_hi:[1,1,0] neg_lo:[0,0,1] neg_hi:[0,0,1]
	v_pk_fma_f32 v[130:131], v[130:131], v[120:121], v[134:135] op_sel:[0,0,1] op_sel_hi:[1,0,0]
	v_dual_mul_f32 v134, v133, v123 :: v_dual_mov_b32 v130, v133
	s_delay_alu instid0(VALU_DEP_2) | instskip(NEXT) | instid1(VALU_DEP_2)
	v_dual_mov_b32 v137, v131 :: v_dual_mov_b32 v131, v132
	v_pk_fma_f32 v[134:135], v[132:133], v[110:111], v[134:135] op_sel_hi:[1,1,0] neg_lo:[0,0,1] neg_hi:[0,0,1]
	v_mul_f32_e32 v132, v133, v120
	s_delay_alu instid0(VALU_DEP_3) | instskip(NEXT) | instid1(VALU_DEP_2)
	v_pk_add_f32 v[66:67], v[66:67], v[136:137] neg_lo:[0,1] neg_hi:[0,1]
	v_pk_fma_f32 v[130:131], v[130:131], v[110:111], v[132:133] op_sel_hi:[1,1,0]
	s_delay_alu instid0(VALU_DEP_1) | instskip(SKIP_4) | instid1(VALU_DEP_1)
	v_mov_b32_e32 v135, v131
	ds_load_2addr_b64 v[130:133], v124 offset0:28 offset1:29
	v_pk_add_f32 v[62:63], v[62:63], v[134:135] neg_lo:[0,1] neg_hi:[0,1]
	s_wait_dscnt 0x0
	v_pk_mul_f32 v[134:135], v[130:131], v[122:123] op_sel:[0,1]
	v_pk_fma_f32 v[136:137], v[130:131], v[120:121], v[134:135] op_sel:[0,0,1] op_sel_hi:[1,1,0] neg_lo:[0,0,1] neg_hi:[0,0,1]
	v_pk_fma_f32 v[130:131], v[130:131], v[120:121], v[134:135] op_sel:[0,0,1] op_sel_hi:[1,0,0]
	s_delay_alu instid0(VALU_DEP_1) | instskip(SKIP_1) | instid1(VALU_DEP_1)
	v_mov_b32_e32 v137, v131
	v_pk_mul_f32 v[130:131], v[132:133], v[122:123] op_sel:[0,1]
	v_pk_fma_f32 v[134:135], v[132:133], v[120:121], v[130:131] op_sel:[0,0,1] op_sel_hi:[1,1,0] neg_lo:[0,0,1] neg_hi:[0,0,1]
	v_pk_fma_f32 v[130:131], v[132:133], v[120:121], v[130:131] op_sel:[0,0,1] op_sel_hi:[1,0,0]
	s_delay_alu instid0(VALU_DEP_1)
	v_mov_b32_e32 v135, v131
	ds_load_2addr_b64 v[130:133], v124 offset0:30 offset1:31
	v_pk_add_f32 v[60:61], v[60:61], v[136:137] neg_lo:[0,1] neg_hi:[0,1]
	v_pk_add_f32 v[56:57], v[56:57], v[134:135] neg_lo:[0,1] neg_hi:[0,1]
	s_wait_dscnt 0x0
	v_pk_mul_f32 v[134:135], v[130:131], v[122:123] op_sel:[0,1]
	s_delay_alu instid0(VALU_DEP_1) | instskip(SKIP_1) | instid1(VALU_DEP_1)
	v_pk_fma_f32 v[136:137], v[130:131], v[120:121], v[134:135] op_sel:[0,0,1] op_sel_hi:[1,1,0] neg_lo:[0,0,1] neg_hi:[0,0,1]
	v_pk_fma_f32 v[130:131], v[130:131], v[120:121], v[134:135] op_sel:[0,0,1] op_sel_hi:[1,0,0]
	v_mov_b32_e32 v137, v131
	v_pk_mul_f32 v[130:131], v[132:133], v[122:123] op_sel:[0,1]
	s_delay_alu instid0(VALU_DEP_1) | instskip(SKIP_1) | instid1(VALU_DEP_1)
	v_pk_fma_f32 v[134:135], v[132:133], v[120:121], v[130:131] op_sel:[0,0,1] op_sel_hi:[1,1,0] neg_lo:[0,0,1] neg_hi:[0,0,1]
	v_pk_fma_f32 v[130:131], v[132:133], v[120:121], v[130:131] op_sel:[0,0,1] op_sel_hi:[1,0,0]
	v_mov_b32_e32 v135, v131
	ds_load_2addr_b64 v[130:133], v124 offset0:32 offset1:33
	v_pk_add_f32 v[58:59], v[58:59], v[136:137] neg_lo:[0,1] neg_hi:[0,1]
	v_pk_add_f32 v[54:55], v[54:55], v[134:135] neg_lo:[0,1] neg_hi:[0,1]
	s_wait_dscnt 0x0
	v_dual_mul_f32 v134, v131, v123 :: v_dual_mul_f32 v136, v131, v120
	s_delay_alu instid0(VALU_DEP_1) | instskip(NEXT) | instid1(VALU_DEP_2)
	v_pk_fma_f32 v[134:135], v[130:131], v[110:111], v[134:135] op_sel_hi:[1,1,0] neg_lo:[0,0,1] neg_hi:[0,0,1]
	v_pk_fma_f32 v[130:131], v[130:131], v[110:111], v[136:137] op_sel:[1,0,0] op_sel_hi:[0,1,0]
	s_delay_alu instid0(VALU_DEP_1) | instskip(SKIP_1) | instid1(VALU_DEP_2)
	v_mov_b32_e32 v135, v131
	v_pk_mul_f32 v[130:131], v[132:133], v[122:123] op_sel:[0,1]
	v_pk_add_f32 v[52:53], v[52:53], v[134:135] neg_lo:[0,1] neg_hi:[0,1]
	s_delay_alu instid0(VALU_DEP_2) | instskip(SKIP_1) | instid1(VALU_DEP_1)
	v_pk_fma_f32 v[134:135], v[132:133], v[120:121], v[130:131] op_sel:[0,0,1] op_sel_hi:[1,1,0] neg_lo:[0,0,1] neg_hi:[0,0,1]
	v_pk_fma_f32 v[130:131], v[132:133], v[120:121], v[130:131] op_sel:[0,0,1] op_sel_hi:[1,0,0]
	v_mov_b32_e32 v135, v131
	ds_load_2addr_b64 v[130:133], v124 offset0:34 offset1:35
	v_pk_add_f32 v[48:49], v[48:49], v[134:135] neg_lo:[0,1] neg_hi:[0,1]
	s_wait_dscnt 0x0
	v_pk_mul_f32 v[134:135], v[130:131], v[122:123] op_sel:[0,1]
	s_delay_alu instid0(VALU_DEP_1) | instskip(SKIP_1) | instid1(VALU_DEP_1)
	v_pk_fma_f32 v[136:137], v[130:131], v[120:121], v[134:135] op_sel:[0,0,1] op_sel_hi:[1,1,0] neg_lo:[0,0,1] neg_hi:[0,0,1]
	v_pk_fma_f32 v[130:131], v[130:131], v[120:121], v[134:135] op_sel:[0,0,1] op_sel_hi:[1,0,0]
	v_mov_b32_e32 v137, v131
	v_pk_mul_f32 v[130:131], v[132:133], v[122:123] op_sel:[0,1]
	s_delay_alu instid0(VALU_DEP_2) | instskip(NEXT) | instid1(VALU_DEP_2)
	v_pk_add_f32 v[50:51], v[50:51], v[136:137] neg_lo:[0,1] neg_hi:[0,1]
	v_pk_fma_f32 v[134:135], v[132:133], v[120:121], v[130:131] op_sel:[0,0,1] op_sel_hi:[1,1,0] neg_lo:[0,0,1] neg_hi:[0,0,1]
	v_pk_fma_f32 v[130:131], v[132:133], v[120:121], v[130:131] op_sel:[0,0,1] op_sel_hi:[1,0,0]
	s_delay_alu instid0(VALU_DEP_1) | instskip(SKIP_4) | instid1(VALU_DEP_1)
	v_mov_b32_e32 v135, v131
	ds_load_2addr_b64 v[130:133], v124 offset0:36 offset1:37
	v_pk_add_f32 v[46:47], v[46:47], v[134:135] neg_lo:[0,1] neg_hi:[0,1]
	s_wait_dscnt 0x0
	v_pk_mul_f32 v[134:135], v[130:131], v[122:123] op_sel:[0,1]
	v_pk_fma_f32 v[136:137], v[130:131], v[120:121], v[134:135] op_sel:[0,0,1] op_sel_hi:[1,1,0] neg_lo:[0,0,1] neg_hi:[0,0,1]
	v_pk_fma_f32 v[130:131], v[130:131], v[120:121], v[134:135] op_sel:[0,0,1] op_sel_hi:[1,0,0]
	v_dual_mul_f32 v134, v133, v123 :: v_dual_mov_b32 v130, v133
	s_delay_alu instid0(VALU_DEP_2) | instskip(NEXT) | instid1(VALU_DEP_2)
	v_dual_mov_b32 v137, v131 :: v_dual_mov_b32 v131, v132
	v_pk_fma_f32 v[134:135], v[132:133], v[110:111], v[134:135] op_sel_hi:[1,1,0] neg_lo:[0,0,1] neg_hi:[0,0,1]
	v_mul_f32_e32 v132, v133, v120
	s_delay_alu instid0(VALU_DEP_3) | instskip(NEXT) | instid1(VALU_DEP_2)
	v_pk_add_f32 v[44:45], v[44:45], v[136:137] neg_lo:[0,1] neg_hi:[0,1]
	v_pk_fma_f32 v[130:131], v[130:131], v[110:111], v[132:133] op_sel_hi:[1,1,0]
	s_delay_alu instid0(VALU_DEP_1) | instskip(SKIP_4) | instid1(VALU_DEP_1)
	v_mov_b32_e32 v135, v131
	ds_load_2addr_b64 v[130:133], v124 offset0:38 offset1:39
	v_pk_add_f32 v[40:41], v[40:41], v[134:135] neg_lo:[0,1] neg_hi:[0,1]
	s_wait_dscnt 0x0
	v_pk_mul_f32 v[134:135], v[130:131], v[122:123] op_sel:[0,1]
	v_pk_fma_f32 v[136:137], v[130:131], v[120:121], v[134:135] op_sel:[0,0,1] op_sel_hi:[1,1,0] neg_lo:[0,0,1] neg_hi:[0,0,1]
	v_pk_fma_f32 v[130:131], v[130:131], v[120:121], v[134:135] op_sel:[0,0,1] op_sel_hi:[1,0,0]
	s_delay_alu instid0(VALU_DEP_1) | instskip(SKIP_1) | instid1(VALU_DEP_1)
	v_mov_b32_e32 v137, v131
	v_pk_mul_f32 v[130:131], v[132:133], v[122:123] op_sel:[0,1]
	v_pk_fma_f32 v[134:135], v[132:133], v[120:121], v[130:131] op_sel:[0,0,1] op_sel_hi:[1,1,0] neg_lo:[0,0,1] neg_hi:[0,0,1]
	v_pk_fma_f32 v[130:131], v[132:133], v[120:121], v[130:131] op_sel:[0,0,1] op_sel_hi:[1,0,0]
	s_delay_alu instid0(VALU_DEP_1)
	v_mov_b32_e32 v135, v131
	ds_load_2addr_b64 v[130:133], v124 offset0:40 offset1:41
	v_pk_add_f32 v[42:43], v[42:43], v[136:137] neg_lo:[0,1] neg_hi:[0,1]
	v_pk_add_f32 v[38:39], v[38:39], v[134:135] neg_lo:[0,1] neg_hi:[0,1]
	s_wait_dscnt 0x0
	v_pk_mul_f32 v[134:135], v[130:131], v[122:123] op_sel:[0,1]
	s_delay_alu instid0(VALU_DEP_1) | instskip(SKIP_1) | instid1(VALU_DEP_1)
	v_pk_fma_f32 v[136:137], v[130:131], v[120:121], v[134:135] op_sel:[0,0,1] op_sel_hi:[1,1,0] neg_lo:[0,0,1] neg_hi:[0,0,1]
	v_pk_fma_f32 v[130:131], v[130:131], v[120:121], v[134:135] op_sel:[0,0,1] op_sel_hi:[1,0,0]
	v_mov_b32_e32 v137, v131
	v_pk_mul_f32 v[130:131], v[132:133], v[122:123] op_sel:[0,1]
	s_delay_alu instid0(VALU_DEP_1) | instskip(SKIP_1) | instid1(VALU_DEP_1)
	v_pk_fma_f32 v[134:135], v[132:133], v[120:121], v[130:131] op_sel:[0,0,1] op_sel_hi:[1,1,0] neg_lo:[0,0,1] neg_hi:[0,0,1]
	v_pk_fma_f32 v[130:131], v[132:133], v[120:121], v[130:131] op_sel:[0,0,1] op_sel_hi:[1,0,0]
	v_mov_b32_e32 v135, v131
	ds_load_2addr_b64 v[130:133], v124 offset0:42 offset1:43
	v_pk_add_f32 v[36:37], v[36:37], v[136:137] neg_lo:[0,1] neg_hi:[0,1]
	v_pk_add_f32 v[32:33], v[32:33], v[134:135] neg_lo:[0,1] neg_hi:[0,1]
	s_wait_dscnt 0x0
	v_dual_mul_f32 v134, v131, v123 :: v_dual_mul_f32 v136, v131, v120
	s_delay_alu instid0(VALU_DEP_1) | instskip(NEXT) | instid1(VALU_DEP_2)
	v_pk_fma_f32 v[134:135], v[130:131], v[110:111], v[134:135] op_sel_hi:[1,1,0] neg_lo:[0,0,1] neg_hi:[0,0,1]
	v_pk_fma_f32 v[130:131], v[130:131], v[110:111], v[136:137] op_sel:[1,0,0] op_sel_hi:[0,1,0]
	s_delay_alu instid0(VALU_DEP_1) | instskip(SKIP_1) | instid1(VALU_DEP_2)
	v_mov_b32_e32 v135, v131
	v_pk_mul_f32 v[130:131], v[132:133], v[122:123] op_sel:[0,1]
	v_pk_add_f32 v[34:35], v[34:35], v[134:135] neg_lo:[0,1] neg_hi:[0,1]
	s_delay_alu instid0(VALU_DEP_2) | instskip(SKIP_1) | instid1(VALU_DEP_1)
	v_pk_fma_f32 v[134:135], v[132:133], v[120:121], v[130:131] op_sel:[0,0,1] op_sel_hi:[1,1,0] neg_lo:[0,0,1] neg_hi:[0,0,1]
	v_pk_fma_f32 v[130:131], v[132:133], v[120:121], v[130:131] op_sel:[0,0,1] op_sel_hi:[1,0,0]
	v_mov_b32_e32 v135, v131
	ds_load_2addr_b64 v[130:133], v124 offset0:44 offset1:45
	v_pk_add_f32 v[30:31], v[30:31], v[134:135] neg_lo:[0,1] neg_hi:[0,1]
	s_wait_dscnt 0x0
	v_pk_mul_f32 v[134:135], v[130:131], v[122:123] op_sel:[0,1]
	s_delay_alu instid0(VALU_DEP_1) | instskip(SKIP_1) | instid1(VALU_DEP_1)
	v_pk_fma_f32 v[136:137], v[130:131], v[120:121], v[134:135] op_sel:[0,0,1] op_sel_hi:[1,1,0] neg_lo:[0,0,1] neg_hi:[0,0,1]
	v_pk_fma_f32 v[130:131], v[130:131], v[120:121], v[134:135] op_sel:[0,0,1] op_sel_hi:[1,0,0]
	v_mov_b32_e32 v137, v131
	v_pk_mul_f32 v[130:131], v[132:133], v[122:123] op_sel:[0,1]
	s_delay_alu instid0(VALU_DEP_2) | instskip(NEXT) | instid1(VALU_DEP_2)
	v_pk_add_f32 v[26:27], v[26:27], v[136:137] neg_lo:[0,1] neg_hi:[0,1]
	v_pk_fma_f32 v[134:135], v[132:133], v[120:121], v[130:131] op_sel:[0,0,1] op_sel_hi:[1,1,0] neg_lo:[0,0,1] neg_hi:[0,0,1]
	v_pk_fma_f32 v[130:131], v[132:133], v[120:121], v[130:131] op_sel:[0,0,1] op_sel_hi:[1,0,0]
	s_delay_alu instid0(VALU_DEP_1) | instskip(SKIP_4) | instid1(VALU_DEP_1)
	v_mov_b32_e32 v135, v131
	ds_load_2addr_b64 v[130:133], v124 offset0:46 offset1:47
	v_pk_add_f32 v[22:23], v[22:23], v[134:135] neg_lo:[0,1] neg_hi:[0,1]
	s_wait_dscnt 0x0
	v_pk_mul_f32 v[134:135], v[130:131], v[122:123] op_sel:[0,1]
	v_pk_fma_f32 v[136:137], v[130:131], v[120:121], v[134:135] op_sel:[0,0,1] op_sel_hi:[1,1,0] neg_lo:[0,0,1] neg_hi:[0,0,1]
	v_pk_fma_f32 v[130:131], v[130:131], v[120:121], v[134:135] op_sel:[0,0,1] op_sel_hi:[1,0,0]
	v_dual_mul_f32 v134, v133, v123 :: v_dual_mov_b32 v130, v133
	s_delay_alu instid0(VALU_DEP_2) | instskip(NEXT) | instid1(VALU_DEP_2)
	v_dual_mov_b32 v137, v131 :: v_dual_mov_b32 v131, v132
	v_pk_fma_f32 v[134:135], v[132:133], v[110:111], v[134:135] op_sel_hi:[1,1,0] neg_lo:[0,0,1] neg_hi:[0,0,1]
	v_mul_f32_e32 v132, v133, v120
	s_delay_alu instid0(VALU_DEP_3) | instskip(NEXT) | instid1(VALU_DEP_2)
	v_pk_add_f32 v[24:25], v[24:25], v[136:137] neg_lo:[0,1] neg_hi:[0,1]
	v_pk_fma_f32 v[130:131], v[130:131], v[110:111], v[132:133] op_sel_hi:[1,1,0]
	s_delay_alu instid0(VALU_DEP_1) | instskip(SKIP_4) | instid1(VALU_DEP_1)
	v_mov_b32_e32 v135, v131
	ds_load_2addr_b64 v[130:133], v124 offset0:48 offset1:49
	v_pk_add_f32 v[20:21], v[20:21], v[134:135] neg_lo:[0,1] neg_hi:[0,1]
	s_wait_dscnt 0x0
	v_pk_mul_f32 v[134:135], v[130:131], v[122:123] op_sel:[0,1]
	v_pk_fma_f32 v[136:137], v[130:131], v[120:121], v[134:135] op_sel:[0,0,1] op_sel_hi:[1,1,0] neg_lo:[0,0,1] neg_hi:[0,0,1]
	v_pk_fma_f32 v[130:131], v[130:131], v[120:121], v[134:135] op_sel:[0,0,1] op_sel_hi:[1,0,0]
	s_delay_alu instid0(VALU_DEP_1) | instskip(SKIP_1) | instid1(VALU_DEP_1)
	v_mov_b32_e32 v137, v131
	v_pk_mul_f32 v[130:131], v[132:133], v[122:123] op_sel:[0,1]
	v_pk_fma_f32 v[134:135], v[132:133], v[120:121], v[130:131] op_sel:[0,0,1] op_sel_hi:[1,1,0] neg_lo:[0,0,1] neg_hi:[0,0,1]
	v_pk_fma_f32 v[130:131], v[132:133], v[120:121], v[130:131] op_sel:[0,0,1] op_sel_hi:[1,0,0]
	s_delay_alu instid0(VALU_DEP_1)
	v_mov_b32_e32 v135, v131
	ds_load_2addr_b64 v[130:133], v124 offset0:50 offset1:51
	v_pk_add_f32 v[14:15], v[14:15], v[136:137] neg_lo:[0,1] neg_hi:[0,1]
	v_pk_add_f32 v[10:11], v[10:11], v[134:135] neg_lo:[0,1] neg_hi:[0,1]
	s_wait_dscnt 0x0
	v_pk_mul_f32 v[134:135], v[130:131], v[122:123] op_sel:[0,1]
	s_delay_alu instid0(VALU_DEP_1) | instskip(SKIP_1) | instid1(VALU_DEP_1)
	v_pk_fma_f32 v[136:137], v[130:131], v[120:121], v[134:135] op_sel:[0,0,1] op_sel_hi:[1,1,0] neg_lo:[0,0,1] neg_hi:[0,0,1]
	v_pk_fma_f32 v[130:131], v[130:131], v[120:121], v[134:135] op_sel:[0,0,1] op_sel_hi:[1,0,0]
	v_mov_b32_e32 v137, v131
	v_pk_mul_f32 v[130:131], v[132:133], v[122:123] op_sel:[0,1]
	s_delay_alu instid0(VALU_DEP_1) | instskip(SKIP_1) | instid1(VALU_DEP_1)
	v_pk_fma_f32 v[134:135], v[132:133], v[120:121], v[130:131] op_sel:[0,0,1] op_sel_hi:[1,1,0] neg_lo:[0,0,1] neg_hi:[0,0,1]
	v_pk_fma_f32 v[130:131], v[132:133], v[120:121], v[130:131] op_sel:[0,0,1] op_sel_hi:[1,0,0]
	v_mov_b32_e32 v135, v131
	ds_load_2addr_b64 v[130:133], v124 offset0:52 offset1:53
	v_pk_add_f32 v[12:13], v[12:13], v[136:137] neg_lo:[0,1] neg_hi:[0,1]
	v_pk_add_f32 v[8:9], v[8:9], v[134:135] neg_lo:[0,1] neg_hi:[0,1]
	s_wait_dscnt 0x0
	v_dual_mul_f32 v134, v131, v123 :: v_dual_mul_f32 v136, v131, v120
	s_delay_alu instid0(VALU_DEP_1) | instskip(NEXT) | instid1(VALU_DEP_2)
	v_pk_fma_f32 v[134:135], v[130:131], v[110:111], v[134:135] op_sel_hi:[1,1,0] neg_lo:[0,0,1] neg_hi:[0,0,1]
	v_pk_fma_f32 v[130:131], v[130:131], v[110:111], v[136:137] op_sel:[1,0,0] op_sel_hi:[0,1,0]
	s_delay_alu instid0(VALU_DEP_1) | instskip(SKIP_1) | instid1(VALU_DEP_2)
	v_mov_b32_e32 v135, v131
	v_pk_mul_f32 v[130:131], v[132:133], v[122:123] op_sel:[0,1]
	v_pk_add_f32 v[6:7], v[6:7], v[134:135] neg_lo:[0,1] neg_hi:[0,1]
	s_delay_alu instid0(VALU_DEP_2) | instskip(SKIP_1) | instid1(VALU_DEP_1)
	v_pk_fma_f32 v[134:135], v[132:133], v[120:121], v[130:131] op_sel:[0,0,1] op_sel_hi:[1,1,0] neg_lo:[0,0,1] neg_hi:[0,0,1]
	v_pk_fma_f32 v[130:131], v[132:133], v[120:121], v[130:131] op_sel:[0,0,1] op_sel_hi:[1,0,0]
	v_mov_b32_e32 v135, v131
	ds_load_2addr_b64 v[130:133], v124 offset0:54 offset1:55
	v_pk_add_f32 v[28:29], v[28:29], v[134:135] neg_lo:[0,1] neg_hi:[0,1]
	s_wait_dscnt 0x0
	v_pk_mul_f32 v[134:135], v[130:131], v[122:123] op_sel:[0,1]
	s_delay_alu instid0(VALU_DEP_1) | instskip(SKIP_1) | instid1(VALU_DEP_1)
	v_pk_fma_f32 v[136:137], v[130:131], v[120:121], v[134:135] op_sel:[0,0,1] op_sel_hi:[1,1,0] neg_lo:[0,0,1] neg_hi:[0,0,1]
	v_pk_fma_f32 v[130:131], v[130:131], v[120:121], v[134:135] op_sel:[0,0,1] op_sel_hi:[1,0,0]
	v_mov_b32_e32 v137, v131
	v_pk_mul_f32 v[130:131], v[132:133], v[122:123] op_sel:[0,1]
	s_delay_alu instid0(VALU_DEP_2) | instskip(NEXT) | instid1(VALU_DEP_2)
	v_pk_add_f32 v[18:19], v[18:19], v[136:137] neg_lo:[0,1] neg_hi:[0,1]
	v_pk_fma_f32 v[134:135], v[132:133], v[120:121], v[130:131] op_sel:[0,0,1] op_sel_hi:[1,1,0] neg_lo:[0,0,1] neg_hi:[0,0,1]
	v_pk_fma_f32 v[130:131], v[132:133], v[120:121], v[130:131] op_sel:[0,0,1] op_sel_hi:[1,0,0]
	s_delay_alu instid0(VALU_DEP_1) | instskip(SKIP_4) | instid1(VALU_DEP_1)
	v_mov_b32_e32 v135, v131
	ds_load_b64 v[130:131], v124 offset:448
	v_pk_add_f32 v[16:17], v[16:17], v[134:135] neg_lo:[0,1] neg_hi:[0,1]
	s_wait_dscnt 0x0
	v_pk_mul_f32 v[122:123], v[130:131], v[122:123] op_sel:[0,1]
	v_pk_fma_f32 v[132:133], v[130:131], v[120:121], v[122:123] op_sel:[0,0,1] op_sel_hi:[1,1,0] neg_lo:[0,0,1] neg_hi:[0,0,1]
	v_pk_fma_f32 v[120:121], v[130:131], v[120:121], v[122:123] op_sel:[0,0,1] op_sel_hi:[1,0,0]
	s_delay_alu instid0(VALU_DEP_1) | instskip(NEXT) | instid1(VALU_DEP_1)
	v_mov_b32_e32 v133, v121
	v_pk_add_f32 v[118:119], v[118:119], v[132:133] neg_lo:[0,1] neg_hi:[0,1]
.LBB112_83:
	s_or_b32 exec_lo, exec_lo, s0
	v_lshl_add_u32 v120, v128, 3, v124
	s_barrier_signal -1
	s_barrier_wait -1
	ds_store_b64 v120, v[108:109]
	s_wait_dscnt 0x0
	s_barrier_signal -1
	s_barrier_wait -1
	ds_load_b64 v[122:123], v124 offset:32
	v_mov_b32_e32 v120, 4
	s_cmp_lt_i32 s18, 6
	s_cbranch_scc1 .LBB112_86
; %bb.84:
	v_add3_u32 v121, v125, 0, 40
	v_mov_b32_e32 v120, 4
	s_mov_b32 s0, 5
.LBB112_85:                             ; =>This Inner Loop Header: Depth=1
	ds_load_b64 v[130:131], v121
	s_wait_dscnt 0x1
	v_cmp_gt_f32_e32 vcc_lo, 0, v122
	v_cndmask_b32_e64 v132, v122, -v122, vcc_lo
	v_cmp_gt_f32_e32 vcc_lo, 0, v123
	v_cndmask_b32_e64 v134, v123, -v123, vcc_lo
	s_wait_dscnt 0x0
	v_cmp_gt_f32_e32 vcc_lo, 0, v130
	v_cndmask_b32_e64 v133, v130, -v130, vcc_lo
	v_cmp_gt_f32_e32 vcc_lo, 0, v131
	v_cndmask_b32_e64 v135, v131, -v131, vcc_lo
	s_delay_alu instid0(VALU_DEP_1) | instskip(NEXT) | instid1(VALU_DEP_1)
	v_pk_add_f32 v[132:133], v[132:133], v[134:135]
	v_cmp_lt_f32_e32 vcc_lo, v132, v133
	v_dual_add_nc_u32 v121, 8, v121 :: v_dual_cndmask_b32 v123, v123, v131, vcc_lo
	v_cndmask_b32_e32 v122, v122, v130, vcc_lo
	v_cndmask_b32_e64 v120, v120, s0, vcc_lo
	s_add_co_i32 s0, s0, 1
	s_delay_alu instid0(SALU_CYCLE_1)
	s_cmp_lg_u32 s18, s0
	s_cbranch_scc1 .LBB112_85
.LBB112_86:
	s_wait_dscnt 0x0
	v_cmp_eq_f32_e32 vcc_lo, 0, v122
	v_cmp_eq_f32_e64 s0, 0, v123
	s_and_b32 s0, vcc_lo, s0
	s_delay_alu instid0(SALU_CYCLE_1) | instskip(NEXT) | instid1(SALU_CYCLE_1)
	s_and_saveexec_b32 s1, s0
	s_xor_b32 s0, exec_lo, s1
; %bb.87:
	v_cmp_ne_u32_e32 vcc_lo, 0, v126
	v_cndmask_b32_e32 v126, 5, v126, vcc_lo
; %bb.88:
	s_and_not1_saveexec_b32 s0, s0
	s_cbranch_execz .LBB112_94
; %bb.89:
	v_cmp_ngt_f32_e64 s1, |v122|, |v123|
	s_and_saveexec_b32 s12, s1
	s_delay_alu instid0(SALU_CYCLE_1)
	s_xor_b32 s1, exec_lo, s12
	s_cbranch_execz .LBB112_91
; %bb.90:
	v_div_scale_f32 v121, null, v123, v123, v122
	v_div_scale_f32 v131, vcc_lo, v122, v123, v122
	s_delay_alu instid0(VALU_DEP_2) | instskip(SKIP_1) | instid1(TRANS32_DEP_1)
	v_rcp_f32_e32 v129, v121
	v_nop
	v_fma_f32 v130, -v121, v129, 1.0
	s_delay_alu instid0(VALU_DEP_1) | instskip(NEXT) | instid1(VALU_DEP_1)
	v_fmac_f32_e32 v129, v130, v129
	v_mul_f32_e32 v130, v131, v129
	s_delay_alu instid0(VALU_DEP_1) | instskip(NEXT) | instid1(VALU_DEP_1)
	v_fma_f32 v132, -v121, v130, v131
	v_fmac_f32_e32 v130, v132, v129
	s_delay_alu instid0(VALU_DEP_1) | instskip(NEXT) | instid1(VALU_DEP_1)
	v_fma_f32 v121, -v121, v130, v131
	v_div_fmas_f32 v121, v121, v129, v130
	s_delay_alu instid0(VALU_DEP_1) | instskip(NEXT) | instid1(VALU_DEP_1)
	v_div_fixup_f32 v121, v121, v123, v122
	v_fmac_f32_e32 v123, v122, v121
	s_delay_alu instid0(VALU_DEP_1) | instskip(SKIP_1) | instid1(VALU_DEP_2)
	v_div_scale_f32 v122, null, v123, v123, 1.0
	v_div_scale_f32 v131, vcc_lo, 1.0, v123, 1.0
	v_rcp_f32_e32 v129, v122
	v_nop
	s_delay_alu instid0(TRANS32_DEP_1) | instskip(NEXT) | instid1(VALU_DEP_1)
	v_fma_f32 v130, -v122, v129, 1.0
	v_fmac_f32_e32 v129, v130, v129
	s_delay_alu instid0(VALU_DEP_1) | instskip(NEXT) | instid1(VALU_DEP_1)
	v_mul_f32_e32 v130, v131, v129
	v_fma_f32 v132, -v122, v130, v131
	s_delay_alu instid0(VALU_DEP_1) | instskip(NEXT) | instid1(VALU_DEP_1)
	v_fmac_f32_e32 v130, v132, v129
	v_fma_f32 v122, -v122, v130, v131
	s_delay_alu instid0(VALU_DEP_1) | instskip(NEXT) | instid1(VALU_DEP_1)
	v_div_fmas_f32 v122, v122, v129, v130
	v_div_fixup_f32 v123, v122, v123, 1.0
	s_delay_alu instid0(VALU_DEP_1)
	v_mul_f32_e32 v122, v121, v123
	v_xor_b32_e32 v123, 0x80000000, v123
.LBB112_91:
	s_and_not1_saveexec_b32 s1, s1
	s_cbranch_execz .LBB112_93
; %bb.92:
	s_delay_alu instid0(VALU_DEP_1) | instskip(SKIP_1) | instid1(VALU_DEP_2)
	v_div_scale_f32 v121, null, v122, v122, v123
	v_div_scale_f32 v131, vcc_lo, v123, v122, v123
	v_rcp_f32_e32 v129, v121
	v_nop
	s_delay_alu instid0(TRANS32_DEP_1) | instskip(NEXT) | instid1(VALU_DEP_1)
	v_fma_f32 v130, -v121, v129, 1.0
	v_fmac_f32_e32 v129, v130, v129
	s_delay_alu instid0(VALU_DEP_1) | instskip(NEXT) | instid1(VALU_DEP_1)
	v_mul_f32_e32 v130, v131, v129
	v_fma_f32 v132, -v121, v130, v131
	s_delay_alu instid0(VALU_DEP_1) | instskip(NEXT) | instid1(VALU_DEP_1)
	v_fmac_f32_e32 v130, v132, v129
	v_fma_f32 v121, -v121, v130, v131
	s_delay_alu instid0(VALU_DEP_1) | instskip(NEXT) | instid1(VALU_DEP_1)
	v_div_fmas_f32 v121, v121, v129, v130
	v_div_fixup_f32 v121, v121, v122, v123
	s_delay_alu instid0(VALU_DEP_1) | instskip(NEXT) | instid1(VALU_DEP_1)
	v_fmac_f32_e32 v122, v123, v121
	v_div_scale_f32 v123, null, v122, v122, 1.0
	s_delay_alu instid0(VALU_DEP_1) | instskip(SKIP_1) | instid1(TRANS32_DEP_1)
	v_rcp_f32_e32 v129, v123
	v_nop
	v_fma_f32 v130, -v123, v129, 1.0
	s_delay_alu instid0(VALU_DEP_1) | instskip(SKIP_1) | instid1(VALU_DEP_1)
	v_fmac_f32_e32 v129, v130, v129
	v_div_scale_f32 v130, vcc_lo, 1.0, v122, 1.0
	v_mul_f32_e32 v131, v130, v129
	s_delay_alu instid0(VALU_DEP_1) | instskip(NEXT) | instid1(VALU_DEP_1)
	v_fma_f32 v132, -v123, v131, v130
	v_fmac_f32_e32 v131, v132, v129
	s_delay_alu instid0(VALU_DEP_1) | instskip(NEXT) | instid1(VALU_DEP_1)
	v_fma_f32 v123, -v123, v131, v130
	v_div_fmas_f32 v123, v123, v129, v131
	s_delay_alu instid0(VALU_DEP_1) | instskip(NEXT) | instid1(VALU_DEP_1)
	v_div_fixup_f32 v122, v123, v122, 1.0
	v_mul_f32_e64 v123, v121, -v122
.LBB112_93:
	s_or_b32 exec_lo, exec_lo, s1
.LBB112_94:
	s_delay_alu instid0(SALU_CYCLE_1) | instskip(NEXT) | instid1(SALU_CYCLE_1)
	s_or_b32 exec_lo, exec_lo, s0
	s_mov_b32 s0, exec_lo
	v_cmpx_ne_u32_e64 v128, v120
	s_xor_b32 s0, exec_lo, s0
	s_cbranch_execz .LBB112_100
; %bb.95:
	s_mov_b32 s1, exec_lo
	v_cmpx_eq_u32_e32 4, v128
	s_cbranch_execz .LBB112_99
; %bb.96:
	v_cmp_ne_u32_e32 vcc_lo, 4, v120
	s_xor_b32 s12, s16, -1
	s_delay_alu instid0(SALU_CYCLE_1) | instskip(NEXT) | instid1(SALU_CYCLE_1)
	s_and_b32 s13, s12, vcc_lo
	s_and_saveexec_b32 s12, s13
	s_cbranch_execz .LBB112_98
; %bb.97:
	v_ashrrev_i32_e32 v121, 31, v120
	s_delay_alu instid0(VALU_DEP_1)
	v_lshl_add_u64 v[128:129], v[120:121], 2, v[4:5]
	s_clause 0x1
	global_load_b32 v121, v[128:129], off
	global_load_b32 v127, v[4:5], off offset:16
	s_wait_loadcnt 0x1
	global_store_b32 v[4:5], v121, off offset:16
	s_wait_loadcnt 0x0
	global_store_b32 v[128:129], v127, off
.LBB112_98:
	s_wait_xcnt 0x0
	s_or_b32 exec_lo, exec_lo, s12
	v_dual_mov_b32 v128, v120 :: v_dual_mov_b32 v127, v120
.LBB112_99:
	s_or_b32 exec_lo, exec_lo, s1
.LBB112_100:
	s_and_not1_saveexec_b32 s0, s0
	s_cbranch_execz .LBB112_102
; %bb.101:
	v_mov_b32_e32 v128, 4
	ds_store_2addr_b64 v124, v[106:107], v[88:89] offset0:5 offset1:6
	ds_store_2addr_b64 v124, v[86:87], v[104:105] offset0:7 offset1:8
	;; [unrolled: 1-line block ×26, first 2 shown]
.LBB112_102:
	s_or_b32 exec_lo, exec_lo, s0
	s_delay_alu instid0(SALU_CYCLE_1)
	s_mov_b32 s0, exec_lo
	s_wait_storecnt_dscnt 0x0
	s_barrier_signal -1
	s_barrier_wait -1
	v_cmpx_lt_i32_e32 4, v128
	s_cbranch_execz .LBB112_104
; %bb.103:
	v_pk_mul_f32 v[130:131], v[122:123], v[108:109] op_sel:[1,1] op_sel_hi:[0,1]
	s_delay_alu instid0(VALU_DEP_1)
	v_pk_fma_f32 v[120:121], v[122:123], v[108:109], v[130:131] op_sel_hi:[1,0,1] neg_lo:[0,0,1] neg_hi:[0,0,1]
	v_pk_fma_f32 v[122:123], v[122:123], v[108:109], v[130:131] op_sel_hi:[1,0,1]
	ds_load_2addr_b64 v[130:133], v124 offset0:5 offset1:6
	v_dual_mov_b32 v108, v120 :: v_dual_mov_b32 v109, v123
	s_wait_dscnt 0x0
	v_pk_mul_f32 v[134:135], v[130:131], v[122:123] op_sel:[0,1]
	s_delay_alu instid0(VALU_DEP_1) | instskip(SKIP_1) | instid1(VALU_DEP_1)
	v_pk_fma_f32 v[136:137], v[130:131], v[120:121], v[134:135] op_sel:[0,0,1] op_sel_hi:[1,1,0] neg_lo:[0,0,1] neg_hi:[0,0,1]
	v_pk_fma_f32 v[130:131], v[130:131], v[120:121], v[134:135] op_sel:[0,0,1] op_sel_hi:[1,0,0]
	v_mov_b32_e32 v137, v131
	v_pk_mul_f32 v[130:131], v[132:133], v[122:123] op_sel:[0,1]
	s_delay_alu instid0(VALU_DEP_1) | instskip(SKIP_1) | instid1(VALU_DEP_1)
	v_pk_fma_f32 v[134:135], v[132:133], v[120:121], v[130:131] op_sel:[0,0,1] op_sel_hi:[1,1,0] neg_lo:[0,0,1] neg_hi:[0,0,1]
	v_pk_fma_f32 v[130:131], v[132:133], v[120:121], v[130:131] op_sel:[0,0,1] op_sel_hi:[1,0,0]
	v_mov_b32_e32 v135, v131
	ds_load_2addr_b64 v[130:133], v124 offset0:7 offset1:8
	v_pk_add_f32 v[106:107], v[106:107], v[136:137] neg_lo:[0,1] neg_hi:[0,1]
	v_pk_add_f32 v[88:89], v[88:89], v[134:135] neg_lo:[0,1] neg_hi:[0,1]
	s_wait_dscnt 0x0
	v_pk_mul_f32 v[134:135], v[130:131], v[122:123] op_sel:[0,1]
	s_delay_alu instid0(VALU_DEP_1) | instskip(SKIP_2) | instid1(VALU_DEP_2)
	v_pk_fma_f32 v[136:137], v[130:131], v[120:121], v[134:135] op_sel:[0,0,1] op_sel_hi:[1,1,0] neg_lo:[0,0,1] neg_hi:[0,0,1]
	v_pk_fma_f32 v[130:131], v[130:131], v[120:121], v[134:135] op_sel:[0,0,1] op_sel_hi:[1,0,0]
	v_dual_mul_f32 v134, v133, v123 :: v_dual_mov_b32 v130, v133
	v_dual_mov_b32 v137, v131 :: v_dual_mov_b32 v131, v132
	s_delay_alu instid0(VALU_DEP_2) | instskip(SKIP_1) | instid1(VALU_DEP_3)
	v_pk_fma_f32 v[134:135], v[132:133], v[108:109], v[134:135] op_sel_hi:[1,1,0] neg_lo:[0,0,1] neg_hi:[0,0,1]
	v_mul_f32_e32 v132, v133, v120
	v_pk_add_f32 v[86:87], v[86:87], v[136:137] neg_lo:[0,1] neg_hi:[0,1]
	s_delay_alu instid0(VALU_DEP_2) | instskip(NEXT) | instid1(VALU_DEP_1)
	v_pk_fma_f32 v[130:131], v[130:131], v[108:109], v[132:133] op_sel_hi:[1,1,0]
	v_mov_b32_e32 v135, v131
	ds_load_2addr_b64 v[130:133], v124 offset0:9 offset1:10
	v_pk_add_f32 v[104:105], v[104:105], v[134:135] neg_lo:[0,1] neg_hi:[0,1]
	s_wait_dscnt 0x0
	v_pk_mul_f32 v[134:135], v[130:131], v[122:123] op_sel:[0,1]
	s_delay_alu instid0(VALU_DEP_1) | instskip(SKIP_1) | instid1(VALU_DEP_1)
	v_pk_fma_f32 v[136:137], v[130:131], v[120:121], v[134:135] op_sel:[0,0,1] op_sel_hi:[1,1,0] neg_lo:[0,0,1] neg_hi:[0,0,1]
	v_pk_fma_f32 v[130:131], v[130:131], v[120:121], v[134:135] op_sel:[0,0,1] op_sel_hi:[1,0,0]
	v_mov_b32_e32 v137, v131
	v_pk_mul_f32 v[130:131], v[132:133], v[122:123] op_sel:[0,1]
	s_delay_alu instid0(VALU_DEP_1) | instskip(SKIP_1) | instid1(VALU_DEP_1)
	v_pk_fma_f32 v[134:135], v[132:133], v[120:121], v[130:131] op_sel:[0,0,1] op_sel_hi:[1,1,0] neg_lo:[0,0,1] neg_hi:[0,0,1]
	v_pk_fma_f32 v[130:131], v[132:133], v[120:121], v[130:131] op_sel:[0,0,1] op_sel_hi:[1,0,0]
	v_mov_b32_e32 v135, v131
	ds_load_2addr_b64 v[130:133], v124 offset0:11 offset1:12
	v_pk_add_f32 v[100:101], v[100:101], v[136:137] neg_lo:[0,1] neg_hi:[0,1]
	v_pk_add_f32 v[102:103], v[102:103], v[134:135] neg_lo:[0,1] neg_hi:[0,1]
	s_wait_dscnt 0x0
	v_pk_mul_f32 v[134:135], v[130:131], v[122:123] op_sel:[0,1]
	s_delay_alu instid0(VALU_DEP_1) | instskip(SKIP_1) | instid1(VALU_DEP_1)
	v_pk_fma_f32 v[136:137], v[130:131], v[120:121], v[134:135] op_sel:[0,0,1] op_sel_hi:[1,1,0] neg_lo:[0,0,1] neg_hi:[0,0,1]
	v_pk_fma_f32 v[130:131], v[130:131], v[120:121], v[134:135] op_sel:[0,0,1] op_sel_hi:[1,0,0]
	v_mov_b32_e32 v137, v131
	v_pk_mul_f32 v[130:131], v[132:133], v[122:123] op_sel:[0,1]
	s_delay_alu instid0(VALU_DEP_1) | instskip(SKIP_1) | instid1(VALU_DEP_1)
	v_pk_fma_f32 v[134:135], v[132:133], v[120:121], v[130:131] op_sel:[0,0,1] op_sel_hi:[1,1,0] neg_lo:[0,0,1] neg_hi:[0,0,1]
	v_pk_fma_f32 v[130:131], v[132:133], v[120:121], v[130:131] op_sel:[0,0,1] op_sel_hi:[1,0,0]
	v_mov_b32_e32 v135, v131
	ds_load_2addr_b64 v[130:133], v124 offset0:13 offset1:14
	v_pk_add_f32 v[98:99], v[98:99], v[136:137] neg_lo:[0,1] neg_hi:[0,1]
	v_pk_add_f32 v[96:97], v[96:97], v[134:135] neg_lo:[0,1] neg_hi:[0,1]
	s_wait_dscnt 0x0
	v_dual_mul_f32 v134, v131, v123 :: v_dual_mul_f32 v136, v131, v120
	s_delay_alu instid0(VALU_DEP_1) | instskip(NEXT) | instid1(VALU_DEP_2)
	v_pk_fma_f32 v[134:135], v[130:131], v[108:109], v[134:135] op_sel_hi:[1,1,0] neg_lo:[0,0,1] neg_hi:[0,0,1]
	v_pk_fma_f32 v[130:131], v[130:131], v[108:109], v[136:137] op_sel:[1,0,0] op_sel_hi:[0,1,0]
	s_delay_alu instid0(VALU_DEP_1) | instskip(SKIP_1) | instid1(VALU_DEP_2)
	v_mov_b32_e32 v135, v131
	v_pk_mul_f32 v[130:131], v[132:133], v[122:123] op_sel:[0,1]
	v_pk_add_f32 v[92:93], v[92:93], v[134:135] neg_lo:[0,1] neg_hi:[0,1]
	s_delay_alu instid0(VALU_DEP_2) | instskip(SKIP_1) | instid1(VALU_DEP_1)
	v_pk_fma_f32 v[134:135], v[132:133], v[120:121], v[130:131] op_sel:[0,0,1] op_sel_hi:[1,1,0] neg_lo:[0,0,1] neg_hi:[0,0,1]
	v_pk_fma_f32 v[130:131], v[132:133], v[120:121], v[130:131] op_sel:[0,0,1] op_sel_hi:[1,0,0]
	v_mov_b32_e32 v135, v131
	ds_load_2addr_b64 v[130:133], v124 offset0:15 offset1:16
	v_pk_add_f32 v[94:95], v[94:95], v[134:135] neg_lo:[0,1] neg_hi:[0,1]
	s_wait_dscnt 0x0
	v_pk_mul_f32 v[134:135], v[130:131], v[122:123] op_sel:[0,1]
	s_delay_alu instid0(VALU_DEP_1) | instskip(SKIP_1) | instid1(VALU_DEP_1)
	v_pk_fma_f32 v[136:137], v[130:131], v[120:121], v[134:135] op_sel:[0,0,1] op_sel_hi:[1,1,0] neg_lo:[0,0,1] neg_hi:[0,0,1]
	v_pk_fma_f32 v[130:131], v[130:131], v[120:121], v[134:135] op_sel:[0,0,1] op_sel_hi:[1,0,0]
	v_mov_b32_e32 v137, v131
	v_pk_mul_f32 v[130:131], v[132:133], v[122:123] op_sel:[0,1]
	s_delay_alu instid0(VALU_DEP_2) | instskip(NEXT) | instid1(VALU_DEP_2)
	v_pk_add_f32 v[90:91], v[90:91], v[136:137] neg_lo:[0,1] neg_hi:[0,1]
	v_pk_fma_f32 v[134:135], v[132:133], v[120:121], v[130:131] op_sel:[0,0,1] op_sel_hi:[1,1,0] neg_lo:[0,0,1] neg_hi:[0,0,1]
	v_pk_fma_f32 v[130:131], v[132:133], v[120:121], v[130:131] op_sel:[0,0,1] op_sel_hi:[1,0,0]
	s_delay_alu instid0(VALU_DEP_1) | instskip(SKIP_4) | instid1(VALU_DEP_1)
	v_mov_b32_e32 v135, v131
	ds_load_2addr_b64 v[130:133], v124 offset0:17 offset1:18
	v_pk_add_f32 v[84:85], v[84:85], v[134:135] neg_lo:[0,1] neg_hi:[0,1]
	s_wait_dscnt 0x0
	v_pk_mul_f32 v[134:135], v[130:131], v[122:123] op_sel:[0,1]
	v_pk_fma_f32 v[136:137], v[130:131], v[120:121], v[134:135] op_sel:[0,0,1] op_sel_hi:[1,1,0] neg_lo:[0,0,1] neg_hi:[0,0,1]
	v_pk_fma_f32 v[130:131], v[130:131], v[120:121], v[134:135] op_sel:[0,0,1] op_sel_hi:[1,0,0]
	v_dual_mul_f32 v134, v133, v123 :: v_dual_mov_b32 v130, v133
	s_delay_alu instid0(VALU_DEP_2) | instskip(NEXT) | instid1(VALU_DEP_2)
	v_dual_mov_b32 v137, v131 :: v_dual_mov_b32 v131, v132
	v_pk_fma_f32 v[134:135], v[132:133], v[108:109], v[134:135] op_sel_hi:[1,1,0] neg_lo:[0,0,1] neg_hi:[0,0,1]
	v_mul_f32_e32 v132, v133, v120
	s_delay_alu instid0(VALU_DEP_3) | instskip(NEXT) | instid1(VALU_DEP_2)
	v_pk_add_f32 v[80:81], v[80:81], v[136:137] neg_lo:[0,1] neg_hi:[0,1]
	v_pk_fma_f32 v[130:131], v[130:131], v[108:109], v[132:133] op_sel_hi:[1,1,0]
	s_delay_alu instid0(VALU_DEP_1) | instskip(SKIP_4) | instid1(VALU_DEP_1)
	v_mov_b32_e32 v135, v131
	ds_load_2addr_b64 v[130:133], v124 offset0:19 offset1:20
	v_pk_add_f32 v[82:83], v[82:83], v[134:135] neg_lo:[0,1] neg_hi:[0,1]
	s_wait_dscnt 0x0
	v_pk_mul_f32 v[134:135], v[130:131], v[122:123] op_sel:[0,1]
	v_pk_fma_f32 v[136:137], v[130:131], v[120:121], v[134:135] op_sel:[0,0,1] op_sel_hi:[1,1,0] neg_lo:[0,0,1] neg_hi:[0,0,1]
	v_pk_fma_f32 v[130:131], v[130:131], v[120:121], v[134:135] op_sel:[0,0,1] op_sel_hi:[1,0,0]
	s_delay_alu instid0(VALU_DEP_1) | instskip(SKIP_1) | instid1(VALU_DEP_1)
	v_mov_b32_e32 v137, v131
	v_pk_mul_f32 v[130:131], v[132:133], v[122:123] op_sel:[0,1]
	v_pk_fma_f32 v[134:135], v[132:133], v[120:121], v[130:131] op_sel:[0,0,1] op_sel_hi:[1,1,0] neg_lo:[0,0,1] neg_hi:[0,0,1]
	v_pk_fma_f32 v[130:131], v[132:133], v[120:121], v[130:131] op_sel:[0,0,1] op_sel_hi:[1,0,0]
	s_delay_alu instid0(VALU_DEP_1)
	v_mov_b32_e32 v135, v131
	ds_load_2addr_b64 v[130:133], v124 offset0:21 offset1:22
	v_pk_add_f32 v[78:79], v[78:79], v[136:137] neg_lo:[0,1] neg_hi:[0,1]
	v_pk_add_f32 v[76:77], v[76:77], v[134:135] neg_lo:[0,1] neg_hi:[0,1]
	s_wait_dscnt 0x0
	v_pk_mul_f32 v[134:135], v[130:131], v[122:123] op_sel:[0,1]
	s_delay_alu instid0(VALU_DEP_1) | instskip(SKIP_1) | instid1(VALU_DEP_1)
	v_pk_fma_f32 v[136:137], v[130:131], v[120:121], v[134:135] op_sel:[0,0,1] op_sel_hi:[1,1,0] neg_lo:[0,0,1] neg_hi:[0,0,1]
	v_pk_fma_f32 v[130:131], v[130:131], v[120:121], v[134:135] op_sel:[0,0,1] op_sel_hi:[1,0,0]
	v_mov_b32_e32 v137, v131
	v_pk_mul_f32 v[130:131], v[132:133], v[122:123] op_sel:[0,1]
	s_delay_alu instid0(VALU_DEP_1) | instskip(SKIP_1) | instid1(VALU_DEP_1)
	v_pk_fma_f32 v[134:135], v[132:133], v[120:121], v[130:131] op_sel:[0,0,1] op_sel_hi:[1,1,0] neg_lo:[0,0,1] neg_hi:[0,0,1]
	v_pk_fma_f32 v[130:131], v[132:133], v[120:121], v[130:131] op_sel:[0,0,1] op_sel_hi:[1,0,0]
	v_mov_b32_e32 v135, v131
	ds_load_2addr_b64 v[130:133], v124 offset0:23 offset1:24
	v_pk_add_f32 v[72:73], v[72:73], v[136:137] neg_lo:[0,1] neg_hi:[0,1]
	v_pk_add_f32 v[74:75], v[74:75], v[134:135] neg_lo:[0,1] neg_hi:[0,1]
	s_wait_dscnt 0x0
	v_dual_mul_f32 v134, v131, v123 :: v_dual_mul_f32 v136, v131, v120
	s_delay_alu instid0(VALU_DEP_1) | instskip(NEXT) | instid1(VALU_DEP_2)
	v_pk_fma_f32 v[134:135], v[130:131], v[108:109], v[134:135] op_sel_hi:[1,1,0] neg_lo:[0,0,1] neg_hi:[0,0,1]
	v_pk_fma_f32 v[130:131], v[130:131], v[108:109], v[136:137] op_sel:[1,0,0] op_sel_hi:[0,1,0]
	s_delay_alu instid0(VALU_DEP_1) | instskip(SKIP_1) | instid1(VALU_DEP_2)
	v_mov_b32_e32 v135, v131
	v_pk_mul_f32 v[130:131], v[132:133], v[122:123] op_sel:[0,1]
	v_pk_add_f32 v[70:71], v[70:71], v[134:135] neg_lo:[0,1] neg_hi:[0,1]
	s_delay_alu instid0(VALU_DEP_2) | instskip(SKIP_1) | instid1(VALU_DEP_1)
	v_pk_fma_f32 v[134:135], v[132:133], v[120:121], v[130:131] op_sel:[0,0,1] op_sel_hi:[1,1,0] neg_lo:[0,0,1] neg_hi:[0,0,1]
	v_pk_fma_f32 v[130:131], v[132:133], v[120:121], v[130:131] op_sel:[0,0,1] op_sel_hi:[1,0,0]
	v_mov_b32_e32 v135, v131
	ds_load_2addr_b64 v[130:133], v124 offset0:25 offset1:26
	v_pk_add_f32 v[68:69], v[68:69], v[134:135] neg_lo:[0,1] neg_hi:[0,1]
	s_wait_dscnt 0x0
	v_pk_mul_f32 v[134:135], v[130:131], v[122:123] op_sel:[0,1]
	s_delay_alu instid0(VALU_DEP_1) | instskip(SKIP_1) | instid1(VALU_DEP_1)
	v_pk_fma_f32 v[136:137], v[130:131], v[120:121], v[134:135] op_sel:[0,0,1] op_sel_hi:[1,1,0] neg_lo:[0,0,1] neg_hi:[0,0,1]
	v_pk_fma_f32 v[130:131], v[130:131], v[120:121], v[134:135] op_sel:[0,0,1] op_sel_hi:[1,0,0]
	v_mov_b32_e32 v137, v131
	v_pk_mul_f32 v[130:131], v[132:133], v[122:123] op_sel:[0,1]
	s_delay_alu instid0(VALU_DEP_2) | instskip(NEXT) | instid1(VALU_DEP_2)
	v_pk_add_f32 v[64:65], v[64:65], v[136:137] neg_lo:[0,1] neg_hi:[0,1]
	v_pk_fma_f32 v[134:135], v[132:133], v[120:121], v[130:131] op_sel:[0,0,1] op_sel_hi:[1,1,0] neg_lo:[0,0,1] neg_hi:[0,0,1]
	v_pk_fma_f32 v[130:131], v[132:133], v[120:121], v[130:131] op_sel:[0,0,1] op_sel_hi:[1,0,0]
	s_delay_alu instid0(VALU_DEP_1) | instskip(SKIP_4) | instid1(VALU_DEP_1)
	v_mov_b32_e32 v135, v131
	ds_load_2addr_b64 v[130:133], v124 offset0:27 offset1:28
	v_pk_add_f32 v[66:67], v[66:67], v[134:135] neg_lo:[0,1] neg_hi:[0,1]
	s_wait_dscnt 0x0
	v_pk_mul_f32 v[134:135], v[130:131], v[122:123] op_sel:[0,1]
	v_pk_fma_f32 v[136:137], v[130:131], v[120:121], v[134:135] op_sel:[0,0,1] op_sel_hi:[1,1,0] neg_lo:[0,0,1] neg_hi:[0,0,1]
	v_pk_fma_f32 v[130:131], v[130:131], v[120:121], v[134:135] op_sel:[0,0,1] op_sel_hi:[1,0,0]
	v_dual_mul_f32 v134, v133, v123 :: v_dual_mov_b32 v130, v133
	s_delay_alu instid0(VALU_DEP_2) | instskip(NEXT) | instid1(VALU_DEP_2)
	v_dual_mov_b32 v137, v131 :: v_dual_mov_b32 v131, v132
	v_pk_fma_f32 v[134:135], v[132:133], v[108:109], v[134:135] op_sel_hi:[1,1,0] neg_lo:[0,0,1] neg_hi:[0,0,1]
	v_mul_f32_e32 v132, v133, v120
	s_delay_alu instid0(VALU_DEP_3) | instskip(NEXT) | instid1(VALU_DEP_2)
	v_pk_add_f32 v[62:63], v[62:63], v[136:137] neg_lo:[0,1] neg_hi:[0,1]
	v_pk_fma_f32 v[130:131], v[130:131], v[108:109], v[132:133] op_sel_hi:[1,1,0]
	s_delay_alu instid0(VALU_DEP_1) | instskip(SKIP_4) | instid1(VALU_DEP_1)
	v_mov_b32_e32 v135, v131
	ds_load_2addr_b64 v[130:133], v124 offset0:29 offset1:30
	v_pk_add_f32 v[60:61], v[60:61], v[134:135] neg_lo:[0,1] neg_hi:[0,1]
	s_wait_dscnt 0x0
	v_pk_mul_f32 v[134:135], v[130:131], v[122:123] op_sel:[0,1]
	v_pk_fma_f32 v[136:137], v[130:131], v[120:121], v[134:135] op_sel:[0,0,1] op_sel_hi:[1,1,0] neg_lo:[0,0,1] neg_hi:[0,0,1]
	v_pk_fma_f32 v[130:131], v[130:131], v[120:121], v[134:135] op_sel:[0,0,1] op_sel_hi:[1,0,0]
	s_delay_alu instid0(VALU_DEP_1) | instskip(SKIP_1) | instid1(VALU_DEP_1)
	v_mov_b32_e32 v137, v131
	v_pk_mul_f32 v[130:131], v[132:133], v[122:123] op_sel:[0,1]
	v_pk_fma_f32 v[134:135], v[132:133], v[120:121], v[130:131] op_sel:[0,0,1] op_sel_hi:[1,1,0] neg_lo:[0,0,1] neg_hi:[0,0,1]
	v_pk_fma_f32 v[130:131], v[132:133], v[120:121], v[130:131] op_sel:[0,0,1] op_sel_hi:[1,0,0]
	s_delay_alu instid0(VALU_DEP_1)
	v_mov_b32_e32 v135, v131
	ds_load_2addr_b64 v[130:133], v124 offset0:31 offset1:32
	v_pk_add_f32 v[56:57], v[56:57], v[136:137] neg_lo:[0,1] neg_hi:[0,1]
	v_pk_add_f32 v[58:59], v[58:59], v[134:135] neg_lo:[0,1] neg_hi:[0,1]
	s_wait_dscnt 0x0
	v_pk_mul_f32 v[134:135], v[130:131], v[122:123] op_sel:[0,1]
	s_delay_alu instid0(VALU_DEP_1) | instskip(SKIP_1) | instid1(VALU_DEP_1)
	v_pk_fma_f32 v[136:137], v[130:131], v[120:121], v[134:135] op_sel:[0,0,1] op_sel_hi:[1,1,0] neg_lo:[0,0,1] neg_hi:[0,0,1]
	v_pk_fma_f32 v[130:131], v[130:131], v[120:121], v[134:135] op_sel:[0,0,1] op_sel_hi:[1,0,0]
	v_mov_b32_e32 v137, v131
	v_pk_mul_f32 v[130:131], v[132:133], v[122:123] op_sel:[0,1]
	s_delay_alu instid0(VALU_DEP_1) | instskip(SKIP_1) | instid1(VALU_DEP_1)
	v_pk_fma_f32 v[134:135], v[132:133], v[120:121], v[130:131] op_sel:[0,0,1] op_sel_hi:[1,1,0] neg_lo:[0,0,1] neg_hi:[0,0,1]
	v_pk_fma_f32 v[130:131], v[132:133], v[120:121], v[130:131] op_sel:[0,0,1] op_sel_hi:[1,0,0]
	v_mov_b32_e32 v135, v131
	ds_load_2addr_b64 v[130:133], v124 offset0:33 offset1:34
	v_pk_add_f32 v[54:55], v[54:55], v[136:137] neg_lo:[0,1] neg_hi:[0,1]
	v_pk_add_f32 v[52:53], v[52:53], v[134:135] neg_lo:[0,1] neg_hi:[0,1]
	s_wait_dscnt 0x0
	v_dual_mul_f32 v134, v131, v123 :: v_dual_mul_f32 v136, v131, v120
	s_delay_alu instid0(VALU_DEP_1) | instskip(NEXT) | instid1(VALU_DEP_2)
	v_pk_fma_f32 v[134:135], v[130:131], v[108:109], v[134:135] op_sel_hi:[1,1,0] neg_lo:[0,0,1] neg_hi:[0,0,1]
	v_pk_fma_f32 v[130:131], v[130:131], v[108:109], v[136:137] op_sel:[1,0,0] op_sel_hi:[0,1,0]
	s_delay_alu instid0(VALU_DEP_1) | instskip(SKIP_1) | instid1(VALU_DEP_2)
	v_mov_b32_e32 v135, v131
	v_pk_mul_f32 v[130:131], v[132:133], v[122:123] op_sel:[0,1]
	v_pk_add_f32 v[48:49], v[48:49], v[134:135] neg_lo:[0,1] neg_hi:[0,1]
	s_delay_alu instid0(VALU_DEP_2) | instskip(SKIP_1) | instid1(VALU_DEP_1)
	v_pk_fma_f32 v[134:135], v[132:133], v[120:121], v[130:131] op_sel:[0,0,1] op_sel_hi:[1,1,0] neg_lo:[0,0,1] neg_hi:[0,0,1]
	v_pk_fma_f32 v[130:131], v[132:133], v[120:121], v[130:131] op_sel:[0,0,1] op_sel_hi:[1,0,0]
	v_mov_b32_e32 v135, v131
	ds_load_2addr_b64 v[130:133], v124 offset0:35 offset1:36
	v_pk_add_f32 v[50:51], v[50:51], v[134:135] neg_lo:[0,1] neg_hi:[0,1]
	s_wait_dscnt 0x0
	v_pk_mul_f32 v[134:135], v[130:131], v[122:123] op_sel:[0,1]
	s_delay_alu instid0(VALU_DEP_1) | instskip(SKIP_1) | instid1(VALU_DEP_1)
	v_pk_fma_f32 v[136:137], v[130:131], v[120:121], v[134:135] op_sel:[0,0,1] op_sel_hi:[1,1,0] neg_lo:[0,0,1] neg_hi:[0,0,1]
	v_pk_fma_f32 v[130:131], v[130:131], v[120:121], v[134:135] op_sel:[0,0,1] op_sel_hi:[1,0,0]
	v_mov_b32_e32 v137, v131
	v_pk_mul_f32 v[130:131], v[132:133], v[122:123] op_sel:[0,1]
	s_delay_alu instid0(VALU_DEP_2) | instskip(NEXT) | instid1(VALU_DEP_2)
	v_pk_add_f32 v[46:47], v[46:47], v[136:137] neg_lo:[0,1] neg_hi:[0,1]
	v_pk_fma_f32 v[134:135], v[132:133], v[120:121], v[130:131] op_sel:[0,0,1] op_sel_hi:[1,1,0] neg_lo:[0,0,1] neg_hi:[0,0,1]
	v_pk_fma_f32 v[130:131], v[132:133], v[120:121], v[130:131] op_sel:[0,0,1] op_sel_hi:[1,0,0]
	s_delay_alu instid0(VALU_DEP_1) | instskip(SKIP_4) | instid1(VALU_DEP_1)
	v_mov_b32_e32 v135, v131
	ds_load_2addr_b64 v[130:133], v124 offset0:37 offset1:38
	v_pk_add_f32 v[44:45], v[44:45], v[134:135] neg_lo:[0,1] neg_hi:[0,1]
	s_wait_dscnt 0x0
	v_pk_mul_f32 v[134:135], v[130:131], v[122:123] op_sel:[0,1]
	v_pk_fma_f32 v[136:137], v[130:131], v[120:121], v[134:135] op_sel:[0,0,1] op_sel_hi:[1,1,0] neg_lo:[0,0,1] neg_hi:[0,0,1]
	v_pk_fma_f32 v[130:131], v[130:131], v[120:121], v[134:135] op_sel:[0,0,1] op_sel_hi:[1,0,0]
	v_dual_mul_f32 v134, v133, v123 :: v_dual_mov_b32 v130, v133
	s_delay_alu instid0(VALU_DEP_2) | instskip(NEXT) | instid1(VALU_DEP_2)
	v_dual_mov_b32 v137, v131 :: v_dual_mov_b32 v131, v132
	v_pk_fma_f32 v[134:135], v[132:133], v[108:109], v[134:135] op_sel_hi:[1,1,0] neg_lo:[0,0,1] neg_hi:[0,0,1]
	v_mul_f32_e32 v132, v133, v120
	s_delay_alu instid0(VALU_DEP_3) | instskip(NEXT) | instid1(VALU_DEP_2)
	v_pk_add_f32 v[40:41], v[40:41], v[136:137] neg_lo:[0,1] neg_hi:[0,1]
	v_pk_fma_f32 v[130:131], v[130:131], v[108:109], v[132:133] op_sel_hi:[1,1,0]
	s_delay_alu instid0(VALU_DEP_1) | instskip(SKIP_4) | instid1(VALU_DEP_1)
	v_mov_b32_e32 v135, v131
	ds_load_2addr_b64 v[130:133], v124 offset0:39 offset1:40
	v_pk_add_f32 v[42:43], v[42:43], v[134:135] neg_lo:[0,1] neg_hi:[0,1]
	s_wait_dscnt 0x0
	v_pk_mul_f32 v[134:135], v[130:131], v[122:123] op_sel:[0,1]
	v_pk_fma_f32 v[136:137], v[130:131], v[120:121], v[134:135] op_sel:[0,0,1] op_sel_hi:[1,1,0] neg_lo:[0,0,1] neg_hi:[0,0,1]
	v_pk_fma_f32 v[130:131], v[130:131], v[120:121], v[134:135] op_sel:[0,0,1] op_sel_hi:[1,0,0]
	s_delay_alu instid0(VALU_DEP_1) | instskip(SKIP_1) | instid1(VALU_DEP_1)
	v_mov_b32_e32 v137, v131
	v_pk_mul_f32 v[130:131], v[132:133], v[122:123] op_sel:[0,1]
	v_pk_fma_f32 v[134:135], v[132:133], v[120:121], v[130:131] op_sel:[0,0,1] op_sel_hi:[1,1,0] neg_lo:[0,0,1] neg_hi:[0,0,1]
	v_pk_fma_f32 v[130:131], v[132:133], v[120:121], v[130:131] op_sel:[0,0,1] op_sel_hi:[1,0,0]
	s_delay_alu instid0(VALU_DEP_1)
	v_mov_b32_e32 v135, v131
	ds_load_2addr_b64 v[130:133], v124 offset0:41 offset1:42
	v_pk_add_f32 v[38:39], v[38:39], v[136:137] neg_lo:[0,1] neg_hi:[0,1]
	v_pk_add_f32 v[36:37], v[36:37], v[134:135] neg_lo:[0,1] neg_hi:[0,1]
	s_wait_dscnt 0x0
	v_pk_mul_f32 v[134:135], v[130:131], v[122:123] op_sel:[0,1]
	s_delay_alu instid0(VALU_DEP_1) | instskip(SKIP_1) | instid1(VALU_DEP_1)
	v_pk_fma_f32 v[136:137], v[130:131], v[120:121], v[134:135] op_sel:[0,0,1] op_sel_hi:[1,1,0] neg_lo:[0,0,1] neg_hi:[0,0,1]
	v_pk_fma_f32 v[130:131], v[130:131], v[120:121], v[134:135] op_sel:[0,0,1] op_sel_hi:[1,0,0]
	v_mov_b32_e32 v137, v131
	v_pk_mul_f32 v[130:131], v[132:133], v[122:123] op_sel:[0,1]
	s_delay_alu instid0(VALU_DEP_1) | instskip(SKIP_1) | instid1(VALU_DEP_1)
	v_pk_fma_f32 v[134:135], v[132:133], v[120:121], v[130:131] op_sel:[0,0,1] op_sel_hi:[1,1,0] neg_lo:[0,0,1] neg_hi:[0,0,1]
	v_pk_fma_f32 v[130:131], v[132:133], v[120:121], v[130:131] op_sel:[0,0,1] op_sel_hi:[1,0,0]
	v_mov_b32_e32 v135, v131
	ds_load_2addr_b64 v[130:133], v124 offset0:43 offset1:44
	v_pk_add_f32 v[32:33], v[32:33], v[136:137] neg_lo:[0,1] neg_hi:[0,1]
	v_pk_add_f32 v[34:35], v[34:35], v[134:135] neg_lo:[0,1] neg_hi:[0,1]
	s_wait_dscnt 0x0
	v_dual_mul_f32 v134, v131, v123 :: v_dual_mul_f32 v136, v131, v120
	s_delay_alu instid0(VALU_DEP_1) | instskip(NEXT) | instid1(VALU_DEP_2)
	v_pk_fma_f32 v[134:135], v[130:131], v[108:109], v[134:135] op_sel_hi:[1,1,0] neg_lo:[0,0,1] neg_hi:[0,0,1]
	v_pk_fma_f32 v[130:131], v[130:131], v[108:109], v[136:137] op_sel:[1,0,0] op_sel_hi:[0,1,0]
	s_delay_alu instid0(VALU_DEP_1) | instskip(SKIP_1) | instid1(VALU_DEP_2)
	v_mov_b32_e32 v135, v131
	v_pk_mul_f32 v[130:131], v[132:133], v[122:123] op_sel:[0,1]
	v_pk_add_f32 v[30:31], v[30:31], v[134:135] neg_lo:[0,1] neg_hi:[0,1]
	s_delay_alu instid0(VALU_DEP_2) | instskip(SKIP_1) | instid1(VALU_DEP_1)
	v_pk_fma_f32 v[134:135], v[132:133], v[120:121], v[130:131] op_sel:[0,0,1] op_sel_hi:[1,1,0] neg_lo:[0,0,1] neg_hi:[0,0,1]
	v_pk_fma_f32 v[130:131], v[132:133], v[120:121], v[130:131] op_sel:[0,0,1] op_sel_hi:[1,0,0]
	v_mov_b32_e32 v135, v131
	ds_load_2addr_b64 v[130:133], v124 offset0:45 offset1:46
	v_pk_add_f32 v[26:27], v[26:27], v[134:135] neg_lo:[0,1] neg_hi:[0,1]
	s_wait_dscnt 0x0
	v_pk_mul_f32 v[134:135], v[130:131], v[122:123] op_sel:[0,1]
	s_delay_alu instid0(VALU_DEP_1) | instskip(SKIP_1) | instid1(VALU_DEP_1)
	v_pk_fma_f32 v[136:137], v[130:131], v[120:121], v[134:135] op_sel:[0,0,1] op_sel_hi:[1,1,0] neg_lo:[0,0,1] neg_hi:[0,0,1]
	v_pk_fma_f32 v[130:131], v[130:131], v[120:121], v[134:135] op_sel:[0,0,1] op_sel_hi:[1,0,0]
	v_mov_b32_e32 v137, v131
	v_pk_mul_f32 v[130:131], v[132:133], v[122:123] op_sel:[0,1]
	s_delay_alu instid0(VALU_DEP_2) | instskip(NEXT) | instid1(VALU_DEP_2)
	v_pk_add_f32 v[22:23], v[22:23], v[136:137] neg_lo:[0,1] neg_hi:[0,1]
	v_pk_fma_f32 v[134:135], v[132:133], v[120:121], v[130:131] op_sel:[0,0,1] op_sel_hi:[1,1,0] neg_lo:[0,0,1] neg_hi:[0,0,1]
	v_pk_fma_f32 v[130:131], v[132:133], v[120:121], v[130:131] op_sel:[0,0,1] op_sel_hi:[1,0,0]
	s_delay_alu instid0(VALU_DEP_1) | instskip(SKIP_4) | instid1(VALU_DEP_1)
	v_mov_b32_e32 v135, v131
	ds_load_2addr_b64 v[130:133], v124 offset0:47 offset1:48
	v_pk_add_f32 v[24:25], v[24:25], v[134:135] neg_lo:[0,1] neg_hi:[0,1]
	s_wait_dscnt 0x0
	v_pk_mul_f32 v[134:135], v[130:131], v[122:123] op_sel:[0,1]
	v_pk_fma_f32 v[136:137], v[130:131], v[120:121], v[134:135] op_sel:[0,0,1] op_sel_hi:[1,1,0] neg_lo:[0,0,1] neg_hi:[0,0,1]
	v_pk_fma_f32 v[130:131], v[130:131], v[120:121], v[134:135] op_sel:[0,0,1] op_sel_hi:[1,0,0]
	v_dual_mul_f32 v134, v133, v123 :: v_dual_mov_b32 v130, v133
	s_delay_alu instid0(VALU_DEP_2) | instskip(NEXT) | instid1(VALU_DEP_2)
	v_dual_mov_b32 v137, v131 :: v_dual_mov_b32 v131, v132
	v_pk_fma_f32 v[134:135], v[132:133], v[108:109], v[134:135] op_sel_hi:[1,1,0] neg_lo:[0,0,1] neg_hi:[0,0,1]
	v_mul_f32_e32 v132, v133, v120
	s_delay_alu instid0(VALU_DEP_3) | instskip(NEXT) | instid1(VALU_DEP_2)
	v_pk_add_f32 v[20:21], v[20:21], v[136:137] neg_lo:[0,1] neg_hi:[0,1]
	v_pk_fma_f32 v[130:131], v[130:131], v[108:109], v[132:133] op_sel_hi:[1,1,0]
	s_delay_alu instid0(VALU_DEP_1) | instskip(SKIP_4) | instid1(VALU_DEP_1)
	v_mov_b32_e32 v135, v131
	ds_load_2addr_b64 v[130:133], v124 offset0:49 offset1:50
	v_pk_add_f32 v[14:15], v[14:15], v[134:135] neg_lo:[0,1] neg_hi:[0,1]
	s_wait_dscnt 0x0
	v_pk_mul_f32 v[134:135], v[130:131], v[122:123] op_sel:[0,1]
	v_pk_fma_f32 v[136:137], v[130:131], v[120:121], v[134:135] op_sel:[0,0,1] op_sel_hi:[1,1,0] neg_lo:[0,0,1] neg_hi:[0,0,1]
	v_pk_fma_f32 v[130:131], v[130:131], v[120:121], v[134:135] op_sel:[0,0,1] op_sel_hi:[1,0,0]
	s_delay_alu instid0(VALU_DEP_1) | instskip(SKIP_1) | instid1(VALU_DEP_1)
	v_mov_b32_e32 v137, v131
	v_pk_mul_f32 v[130:131], v[132:133], v[122:123] op_sel:[0,1]
	v_pk_fma_f32 v[134:135], v[132:133], v[120:121], v[130:131] op_sel:[0,0,1] op_sel_hi:[1,1,0] neg_lo:[0,0,1] neg_hi:[0,0,1]
	v_pk_fma_f32 v[130:131], v[132:133], v[120:121], v[130:131] op_sel:[0,0,1] op_sel_hi:[1,0,0]
	s_delay_alu instid0(VALU_DEP_1)
	v_mov_b32_e32 v135, v131
	ds_load_2addr_b64 v[130:133], v124 offset0:51 offset1:52
	v_pk_add_f32 v[10:11], v[10:11], v[136:137] neg_lo:[0,1] neg_hi:[0,1]
	v_pk_add_f32 v[12:13], v[12:13], v[134:135] neg_lo:[0,1] neg_hi:[0,1]
	s_wait_dscnt 0x0
	v_pk_mul_f32 v[134:135], v[130:131], v[122:123] op_sel:[0,1]
	s_delay_alu instid0(VALU_DEP_1) | instskip(SKIP_1) | instid1(VALU_DEP_1)
	v_pk_fma_f32 v[136:137], v[130:131], v[120:121], v[134:135] op_sel:[0,0,1] op_sel_hi:[1,1,0] neg_lo:[0,0,1] neg_hi:[0,0,1]
	v_pk_fma_f32 v[130:131], v[130:131], v[120:121], v[134:135] op_sel:[0,0,1] op_sel_hi:[1,0,0]
	v_mov_b32_e32 v137, v131
	v_pk_mul_f32 v[130:131], v[132:133], v[122:123] op_sel:[0,1]
	s_delay_alu instid0(VALU_DEP_1) | instskip(SKIP_1) | instid1(VALU_DEP_1)
	v_pk_fma_f32 v[134:135], v[132:133], v[120:121], v[130:131] op_sel:[0,0,1] op_sel_hi:[1,1,0] neg_lo:[0,0,1] neg_hi:[0,0,1]
	v_pk_fma_f32 v[130:131], v[132:133], v[120:121], v[130:131] op_sel:[0,0,1] op_sel_hi:[1,0,0]
	v_mov_b32_e32 v135, v131
	ds_load_2addr_b64 v[130:133], v124 offset0:53 offset1:54
	v_pk_add_f32 v[8:9], v[8:9], v[136:137] neg_lo:[0,1] neg_hi:[0,1]
	v_pk_add_f32 v[6:7], v[6:7], v[134:135] neg_lo:[0,1] neg_hi:[0,1]
	s_wait_dscnt 0x0
	v_dual_mul_f32 v134, v131, v123 :: v_dual_mul_f32 v136, v131, v120
	s_delay_alu instid0(VALU_DEP_1) | instskip(NEXT) | instid1(VALU_DEP_2)
	v_pk_fma_f32 v[134:135], v[130:131], v[108:109], v[134:135] op_sel_hi:[1,1,0] neg_lo:[0,0,1] neg_hi:[0,0,1]
	v_pk_fma_f32 v[130:131], v[130:131], v[108:109], v[136:137] op_sel:[1,0,0] op_sel_hi:[0,1,0]
	s_delay_alu instid0(VALU_DEP_1) | instskip(SKIP_1) | instid1(VALU_DEP_2)
	v_mov_b32_e32 v135, v131
	v_pk_mul_f32 v[130:131], v[132:133], v[122:123] op_sel:[0,1]
	v_pk_add_f32 v[28:29], v[28:29], v[134:135] neg_lo:[0,1] neg_hi:[0,1]
	s_delay_alu instid0(VALU_DEP_2) | instskip(SKIP_1) | instid1(VALU_DEP_1)
	v_pk_fma_f32 v[134:135], v[132:133], v[120:121], v[130:131] op_sel:[0,0,1] op_sel_hi:[1,1,0] neg_lo:[0,0,1] neg_hi:[0,0,1]
	v_pk_fma_f32 v[130:131], v[132:133], v[120:121], v[130:131] op_sel:[0,0,1] op_sel_hi:[1,0,0]
	v_mov_b32_e32 v135, v131
	ds_load_2addr_b64 v[130:133], v124 offset0:55 offset1:56
	v_pk_add_f32 v[18:19], v[18:19], v[134:135] neg_lo:[0,1] neg_hi:[0,1]
	s_wait_dscnt 0x0
	v_pk_mul_f32 v[134:135], v[130:131], v[122:123] op_sel:[0,1]
	v_pk_mul_f32 v[122:123], v[132:133], v[122:123] op_sel:[0,1]
	s_delay_alu instid0(VALU_DEP_2) | instskip(SKIP_1) | instid1(VALU_DEP_1)
	v_pk_fma_f32 v[136:137], v[130:131], v[120:121], v[134:135] op_sel:[0,0,1] op_sel_hi:[1,1,0] neg_lo:[0,0,1] neg_hi:[0,0,1]
	v_pk_fma_f32 v[130:131], v[130:131], v[120:121], v[134:135] op_sel:[0,0,1] op_sel_hi:[1,0,0]
	v_mov_b32_e32 v137, v131
	s_delay_alu instid0(VALU_DEP_4) | instskip(SKIP_1) | instid1(VALU_DEP_3)
	v_pk_fma_f32 v[130:131], v[132:133], v[120:121], v[122:123] op_sel:[0,0,1] op_sel_hi:[1,1,0] neg_lo:[0,0,1] neg_hi:[0,0,1]
	v_pk_fma_f32 v[120:121], v[132:133], v[120:121], v[122:123] op_sel:[0,0,1] op_sel_hi:[1,0,0]
	v_pk_add_f32 v[16:17], v[16:17], v[136:137] neg_lo:[0,1] neg_hi:[0,1]
	s_delay_alu instid0(VALU_DEP_2) | instskip(NEXT) | instid1(VALU_DEP_1)
	v_mov_b32_e32 v131, v121
	v_pk_add_f32 v[118:119], v[118:119], v[130:131] neg_lo:[0,1] neg_hi:[0,1]
.LBB112_104:
	s_or_b32 exec_lo, exec_lo, s0
	v_lshl_add_u32 v120, v128, 3, v124
	s_barrier_signal -1
	s_barrier_wait -1
	ds_store_b64 v120, v[106:107]
	s_wait_dscnt 0x0
	s_barrier_signal -1
	s_barrier_wait -1
	ds_load_b64 v[122:123], v124 offset:40
	v_mov_b32_e32 v120, 5
	s_cmp_lt_i32 s18, 7
	s_cbranch_scc1 .LBB112_107
; %bb.105:
	v_add3_u32 v121, v125, 0, 48
	v_mov_b32_e32 v120, 5
	s_mov_b32 s0, 6
.LBB112_106:                            ; =>This Inner Loop Header: Depth=1
	ds_load_b64 v[130:131], v121
	s_wait_dscnt 0x1
	v_cmp_gt_f32_e32 vcc_lo, 0, v122
	v_cndmask_b32_e64 v132, v122, -v122, vcc_lo
	v_cmp_gt_f32_e32 vcc_lo, 0, v123
	v_cndmask_b32_e64 v134, v123, -v123, vcc_lo
	s_wait_dscnt 0x0
	v_cmp_gt_f32_e32 vcc_lo, 0, v130
	v_cndmask_b32_e64 v133, v130, -v130, vcc_lo
	v_cmp_gt_f32_e32 vcc_lo, 0, v131
	v_cndmask_b32_e64 v135, v131, -v131, vcc_lo
	s_delay_alu instid0(VALU_DEP_1) | instskip(NEXT) | instid1(VALU_DEP_1)
	v_pk_add_f32 v[132:133], v[132:133], v[134:135]
	v_cmp_lt_f32_e32 vcc_lo, v132, v133
	v_dual_add_nc_u32 v121, 8, v121 :: v_dual_cndmask_b32 v123, v123, v131, vcc_lo
	v_cndmask_b32_e32 v122, v122, v130, vcc_lo
	v_cndmask_b32_e64 v120, v120, s0, vcc_lo
	s_add_co_i32 s0, s0, 1
	s_delay_alu instid0(SALU_CYCLE_1)
	s_cmp_lg_u32 s18, s0
	s_cbranch_scc1 .LBB112_106
.LBB112_107:
	s_wait_dscnt 0x0
	v_cmp_eq_f32_e32 vcc_lo, 0, v122
	v_cmp_eq_f32_e64 s0, 0, v123
	s_and_b32 s0, vcc_lo, s0
	s_delay_alu instid0(SALU_CYCLE_1) | instskip(NEXT) | instid1(SALU_CYCLE_1)
	s_and_saveexec_b32 s1, s0
	s_xor_b32 s0, exec_lo, s1
; %bb.108:
	v_cmp_ne_u32_e32 vcc_lo, 0, v126
	v_cndmask_b32_e32 v126, 6, v126, vcc_lo
; %bb.109:
	s_and_not1_saveexec_b32 s0, s0
	s_cbranch_execz .LBB112_115
; %bb.110:
	v_cmp_ngt_f32_e64 s1, |v122|, |v123|
	s_and_saveexec_b32 s12, s1
	s_delay_alu instid0(SALU_CYCLE_1)
	s_xor_b32 s1, exec_lo, s12
	s_cbranch_execz .LBB112_112
; %bb.111:
	v_div_scale_f32 v121, null, v123, v123, v122
	v_div_scale_f32 v131, vcc_lo, v122, v123, v122
	s_delay_alu instid0(VALU_DEP_2) | instskip(SKIP_1) | instid1(TRANS32_DEP_1)
	v_rcp_f32_e32 v129, v121
	v_nop
	v_fma_f32 v130, -v121, v129, 1.0
	s_delay_alu instid0(VALU_DEP_1) | instskip(NEXT) | instid1(VALU_DEP_1)
	v_fmac_f32_e32 v129, v130, v129
	v_mul_f32_e32 v130, v131, v129
	s_delay_alu instid0(VALU_DEP_1) | instskip(NEXT) | instid1(VALU_DEP_1)
	v_fma_f32 v132, -v121, v130, v131
	v_fmac_f32_e32 v130, v132, v129
	s_delay_alu instid0(VALU_DEP_1) | instskip(NEXT) | instid1(VALU_DEP_1)
	v_fma_f32 v121, -v121, v130, v131
	v_div_fmas_f32 v121, v121, v129, v130
	s_delay_alu instid0(VALU_DEP_1) | instskip(NEXT) | instid1(VALU_DEP_1)
	v_div_fixup_f32 v121, v121, v123, v122
	v_fmac_f32_e32 v123, v122, v121
	s_delay_alu instid0(VALU_DEP_1) | instskip(SKIP_1) | instid1(VALU_DEP_2)
	v_div_scale_f32 v122, null, v123, v123, 1.0
	v_div_scale_f32 v131, vcc_lo, 1.0, v123, 1.0
	v_rcp_f32_e32 v129, v122
	v_nop
	s_delay_alu instid0(TRANS32_DEP_1) | instskip(NEXT) | instid1(VALU_DEP_1)
	v_fma_f32 v130, -v122, v129, 1.0
	v_fmac_f32_e32 v129, v130, v129
	s_delay_alu instid0(VALU_DEP_1) | instskip(NEXT) | instid1(VALU_DEP_1)
	v_mul_f32_e32 v130, v131, v129
	v_fma_f32 v132, -v122, v130, v131
	s_delay_alu instid0(VALU_DEP_1) | instskip(NEXT) | instid1(VALU_DEP_1)
	v_fmac_f32_e32 v130, v132, v129
	v_fma_f32 v122, -v122, v130, v131
	s_delay_alu instid0(VALU_DEP_1) | instskip(NEXT) | instid1(VALU_DEP_1)
	v_div_fmas_f32 v122, v122, v129, v130
	v_div_fixup_f32 v123, v122, v123, 1.0
	s_delay_alu instid0(VALU_DEP_1)
	v_mul_f32_e32 v122, v121, v123
	v_xor_b32_e32 v123, 0x80000000, v123
.LBB112_112:
	s_and_not1_saveexec_b32 s1, s1
	s_cbranch_execz .LBB112_114
; %bb.113:
	s_delay_alu instid0(VALU_DEP_1) | instskip(SKIP_1) | instid1(VALU_DEP_2)
	v_div_scale_f32 v121, null, v122, v122, v123
	v_div_scale_f32 v131, vcc_lo, v123, v122, v123
	v_rcp_f32_e32 v129, v121
	v_nop
	s_delay_alu instid0(TRANS32_DEP_1) | instskip(NEXT) | instid1(VALU_DEP_1)
	v_fma_f32 v130, -v121, v129, 1.0
	v_fmac_f32_e32 v129, v130, v129
	s_delay_alu instid0(VALU_DEP_1) | instskip(NEXT) | instid1(VALU_DEP_1)
	v_mul_f32_e32 v130, v131, v129
	v_fma_f32 v132, -v121, v130, v131
	s_delay_alu instid0(VALU_DEP_1) | instskip(NEXT) | instid1(VALU_DEP_1)
	v_fmac_f32_e32 v130, v132, v129
	v_fma_f32 v121, -v121, v130, v131
	s_delay_alu instid0(VALU_DEP_1) | instskip(NEXT) | instid1(VALU_DEP_1)
	v_div_fmas_f32 v121, v121, v129, v130
	v_div_fixup_f32 v121, v121, v122, v123
	s_delay_alu instid0(VALU_DEP_1) | instskip(NEXT) | instid1(VALU_DEP_1)
	v_fmac_f32_e32 v122, v123, v121
	v_div_scale_f32 v123, null, v122, v122, 1.0
	s_delay_alu instid0(VALU_DEP_1) | instskip(SKIP_1) | instid1(TRANS32_DEP_1)
	v_rcp_f32_e32 v129, v123
	v_nop
	v_fma_f32 v130, -v123, v129, 1.0
	s_delay_alu instid0(VALU_DEP_1) | instskip(SKIP_1) | instid1(VALU_DEP_1)
	v_fmac_f32_e32 v129, v130, v129
	v_div_scale_f32 v130, vcc_lo, 1.0, v122, 1.0
	v_mul_f32_e32 v131, v130, v129
	s_delay_alu instid0(VALU_DEP_1) | instskip(NEXT) | instid1(VALU_DEP_1)
	v_fma_f32 v132, -v123, v131, v130
	v_fmac_f32_e32 v131, v132, v129
	s_delay_alu instid0(VALU_DEP_1) | instskip(NEXT) | instid1(VALU_DEP_1)
	v_fma_f32 v123, -v123, v131, v130
	v_div_fmas_f32 v123, v123, v129, v131
	s_delay_alu instid0(VALU_DEP_1) | instskip(NEXT) | instid1(VALU_DEP_1)
	v_div_fixup_f32 v122, v123, v122, 1.0
	v_mul_f32_e64 v123, v121, -v122
.LBB112_114:
	s_or_b32 exec_lo, exec_lo, s1
.LBB112_115:
	s_delay_alu instid0(SALU_CYCLE_1) | instskip(NEXT) | instid1(SALU_CYCLE_1)
	s_or_b32 exec_lo, exec_lo, s0
	s_mov_b32 s0, exec_lo
	v_cmpx_ne_u32_e64 v128, v120
	s_xor_b32 s0, exec_lo, s0
	s_cbranch_execz .LBB112_121
; %bb.116:
	s_mov_b32 s1, exec_lo
	v_cmpx_eq_u32_e32 5, v128
	s_cbranch_execz .LBB112_120
; %bb.117:
	v_cmp_ne_u32_e32 vcc_lo, 5, v120
	s_xor_b32 s12, s16, -1
	s_delay_alu instid0(SALU_CYCLE_1) | instskip(NEXT) | instid1(SALU_CYCLE_1)
	s_and_b32 s13, s12, vcc_lo
	s_and_saveexec_b32 s12, s13
	s_cbranch_execz .LBB112_119
; %bb.118:
	v_ashrrev_i32_e32 v121, 31, v120
	s_delay_alu instid0(VALU_DEP_1)
	v_lshl_add_u64 v[128:129], v[120:121], 2, v[4:5]
	s_clause 0x1
	global_load_b32 v121, v[128:129], off
	global_load_b32 v127, v[4:5], off offset:20
	s_wait_loadcnt 0x1
	global_store_b32 v[4:5], v121, off offset:20
	s_wait_loadcnt 0x0
	global_store_b32 v[128:129], v127, off
.LBB112_119:
	s_wait_xcnt 0x0
	s_or_b32 exec_lo, exec_lo, s12
	v_dual_mov_b32 v128, v120 :: v_dual_mov_b32 v127, v120
.LBB112_120:
	s_or_b32 exec_lo, exec_lo, s1
.LBB112_121:
	s_and_not1_saveexec_b32 s0, s0
	s_cbranch_execz .LBB112_123
; %bb.122:
	v_dual_mov_b32 v120, v88 :: v_dual_mov_b32 v121, v89
	v_dual_mov_b32 v128, v86 :: v_dual_mov_b32 v129, v87
	ds_store_2addr_b64 v124, v[120:121], v[128:129] offset0:6 offset1:7
	v_dual_mov_b32 v120, v104 :: v_dual_mov_b32 v121, v105
	v_dual_mov_b32 v128, v100 :: v_dual_mov_b32 v129, v101
	ds_store_2addr_b64 v124, v[120:121], v[128:129] offset0:8 offset1:9
	v_dual_mov_b32 v120, v102 :: v_dual_mov_b32 v121, v103
	v_dual_mov_b32 v128, v98 :: v_dual_mov_b32 v129, v99
	ds_store_2addr_b64 v124, v[120:121], v[128:129] offset0:10 offset1:11
	v_dual_mov_b32 v120, v96 :: v_dual_mov_b32 v121, v97
	v_dual_mov_b32 v128, v92 :: v_dual_mov_b32 v129, v93
	ds_store_2addr_b64 v124, v[120:121], v[128:129] offset0:12 offset1:13
	v_dual_mov_b32 v120, v94 :: v_dual_mov_b32 v121, v95
	v_dual_mov_b32 v128, v90 :: v_dual_mov_b32 v129, v91
	ds_store_2addr_b64 v124, v[120:121], v[128:129] offset0:14 offset1:15
	v_dual_mov_b32 v120, v84 :: v_dual_mov_b32 v121, v85
	v_dual_mov_b32 v128, v80 :: v_dual_mov_b32 v129, v81
	ds_store_2addr_b64 v124, v[120:121], v[128:129] offset0:16 offset1:17
	v_dual_mov_b32 v120, v82 :: v_dual_mov_b32 v121, v83
	v_dual_mov_b32 v128, v78 :: v_dual_mov_b32 v129, v79
	ds_store_2addr_b64 v124, v[120:121], v[128:129] offset0:18 offset1:19
	v_dual_mov_b32 v120, v76 :: v_dual_mov_b32 v121, v77
	v_dual_mov_b32 v128, v72 :: v_dual_mov_b32 v129, v73
	ds_store_2addr_b64 v124, v[120:121], v[128:129] offset0:20 offset1:21
	v_dual_mov_b32 v120, v74 :: v_dual_mov_b32 v121, v75
	v_dual_mov_b32 v128, v70 :: v_dual_mov_b32 v129, v71
	ds_store_2addr_b64 v124, v[120:121], v[128:129] offset0:22 offset1:23
	v_dual_mov_b32 v120, v68 :: v_dual_mov_b32 v121, v69
	v_dual_mov_b32 v128, v64 :: v_dual_mov_b32 v129, v65
	ds_store_2addr_b64 v124, v[120:121], v[128:129] offset0:24 offset1:25
	v_dual_mov_b32 v120, v66 :: v_dual_mov_b32 v121, v67
	v_dual_mov_b32 v128, v62 :: v_dual_mov_b32 v129, v63
	ds_store_2addr_b64 v124, v[120:121], v[128:129] offset0:26 offset1:27
	v_dual_mov_b32 v120, v60 :: v_dual_mov_b32 v121, v61
	v_dual_mov_b32 v128, v56 :: v_dual_mov_b32 v129, v57
	ds_store_2addr_b64 v124, v[120:121], v[128:129] offset0:28 offset1:29
	v_dual_mov_b32 v120, v58 :: v_dual_mov_b32 v121, v59
	v_dual_mov_b32 v128, v54 :: v_dual_mov_b32 v129, v55
	ds_store_2addr_b64 v124, v[120:121], v[128:129] offset0:30 offset1:31
	v_dual_mov_b32 v120, v52 :: v_dual_mov_b32 v121, v53
	v_dual_mov_b32 v128, v48 :: v_dual_mov_b32 v129, v49
	ds_store_2addr_b64 v124, v[120:121], v[128:129] offset0:32 offset1:33
	v_dual_mov_b32 v120, v50 :: v_dual_mov_b32 v121, v51
	v_dual_mov_b32 v128, v46 :: v_dual_mov_b32 v129, v47
	ds_store_2addr_b64 v124, v[120:121], v[128:129] offset0:34 offset1:35
	v_dual_mov_b32 v120, v44 :: v_dual_mov_b32 v121, v45
	v_dual_mov_b32 v128, v40 :: v_dual_mov_b32 v129, v41
	ds_store_2addr_b64 v124, v[120:121], v[128:129] offset0:36 offset1:37
	v_dual_mov_b32 v120, v42 :: v_dual_mov_b32 v121, v43
	v_dual_mov_b32 v128, v38 :: v_dual_mov_b32 v129, v39
	ds_store_2addr_b64 v124, v[120:121], v[128:129] offset0:38 offset1:39
	v_dual_mov_b32 v120, v36 :: v_dual_mov_b32 v121, v37
	v_dual_mov_b32 v128, v32 :: v_dual_mov_b32 v129, v33
	ds_store_2addr_b64 v124, v[120:121], v[128:129] offset0:40 offset1:41
	v_dual_mov_b32 v120, v34 :: v_dual_mov_b32 v121, v35
	v_dual_mov_b32 v128, v30 :: v_dual_mov_b32 v129, v31
	ds_store_2addr_b64 v124, v[120:121], v[128:129] offset0:42 offset1:43
	v_dual_mov_b32 v120, v26 :: v_dual_mov_b32 v121, v27
	v_dual_mov_b32 v128, v22 :: v_dual_mov_b32 v129, v23
	ds_store_2addr_b64 v124, v[120:121], v[128:129] offset0:44 offset1:45
	v_dual_mov_b32 v120, v24 :: v_dual_mov_b32 v121, v25
	v_dual_mov_b32 v128, v20 :: v_dual_mov_b32 v129, v21
	ds_store_2addr_b64 v124, v[120:121], v[128:129] offset0:46 offset1:47
	v_dual_mov_b32 v120, v14 :: v_dual_mov_b32 v121, v15
	v_dual_mov_b32 v128, v10 :: v_dual_mov_b32 v129, v11
	ds_store_2addr_b64 v124, v[120:121], v[128:129] offset0:48 offset1:49
	v_dual_mov_b32 v120, v12 :: v_dual_mov_b32 v121, v13
	v_dual_mov_b32 v128, v8 :: v_dual_mov_b32 v129, v9
	ds_store_2addr_b64 v124, v[120:121], v[128:129] offset0:50 offset1:51
	v_dual_mov_b32 v120, v6 :: v_dual_mov_b32 v121, v7
	v_dual_mov_b32 v128, v28 :: v_dual_mov_b32 v129, v29
	ds_store_2addr_b64 v124, v[120:121], v[128:129] offset0:52 offset1:53
	v_dual_mov_b32 v120, v18 :: v_dual_mov_b32 v121, v19
	v_dual_mov_b32 v128, v16 :: v_dual_mov_b32 v129, v17
	ds_store_2addr_b64 v124, v[120:121], v[128:129] offset0:54 offset1:55
	ds_store_b64 v124, v[118:119] offset:448
	v_mov_b32_e32 v128, 5
.LBB112_123:
	s_or_b32 exec_lo, exec_lo, s0
	s_delay_alu instid0(SALU_CYCLE_1)
	s_mov_b32 s0, exec_lo
	s_wait_storecnt_dscnt 0x0
	s_barrier_signal -1
	s_barrier_wait -1
	v_cmpx_lt_i32_e32 5, v128
	s_cbranch_execz .LBB112_125
; %bb.124:
	v_pk_mul_f32 v[130:131], v[122:123], v[106:107] op_sel:[1,1] op_sel_hi:[0,1]
	s_delay_alu instid0(VALU_DEP_1)
	v_pk_fma_f32 v[120:121], v[122:123], v[106:107], v[130:131] op_sel_hi:[1,0,1] neg_lo:[0,0,1] neg_hi:[0,0,1]
	v_pk_fma_f32 v[122:123], v[122:123], v[106:107], v[130:131] op_sel_hi:[1,0,1]
	ds_load_2addr_b64 v[130:133], v124 offset0:6 offset1:7
	v_dual_mov_b32 v106, v120 :: v_dual_mov_b32 v107, v123
	s_wait_dscnt 0x0
	v_pk_mul_f32 v[134:135], v[130:131], v[122:123] op_sel:[0,1]
	s_delay_alu instid0(VALU_DEP_1) | instskip(SKIP_1) | instid1(VALU_DEP_1)
	v_pk_fma_f32 v[136:137], v[130:131], v[120:121], v[134:135] op_sel:[0,0,1] op_sel_hi:[1,1,0] neg_lo:[0,0,1] neg_hi:[0,0,1]
	v_pk_fma_f32 v[130:131], v[130:131], v[120:121], v[134:135] op_sel:[0,0,1] op_sel_hi:[1,0,0]
	v_mov_b32_e32 v137, v131
	v_pk_mul_f32 v[130:131], v[132:133], v[122:123] op_sel:[0,1]
	s_delay_alu instid0(VALU_DEP_1) | instskip(SKIP_1) | instid1(VALU_DEP_1)
	v_pk_fma_f32 v[134:135], v[132:133], v[120:121], v[130:131] op_sel:[0,0,1] op_sel_hi:[1,1,0] neg_lo:[0,0,1] neg_hi:[0,0,1]
	v_pk_fma_f32 v[130:131], v[132:133], v[120:121], v[130:131] op_sel:[0,0,1] op_sel_hi:[1,0,0]
	v_mov_b32_e32 v135, v131
	ds_load_2addr_b64 v[130:133], v124 offset0:8 offset1:9
	v_pk_add_f32 v[88:89], v[88:89], v[136:137] neg_lo:[0,1] neg_hi:[0,1]
	v_pk_add_f32 v[86:87], v[86:87], v[134:135] neg_lo:[0,1] neg_hi:[0,1]
	s_wait_dscnt 0x0
	v_pk_mul_f32 v[134:135], v[130:131], v[122:123] op_sel:[0,1]
	s_delay_alu instid0(VALU_DEP_1) | instskip(SKIP_2) | instid1(VALU_DEP_2)
	v_pk_fma_f32 v[136:137], v[130:131], v[120:121], v[134:135] op_sel:[0,0,1] op_sel_hi:[1,1,0] neg_lo:[0,0,1] neg_hi:[0,0,1]
	v_pk_fma_f32 v[130:131], v[130:131], v[120:121], v[134:135] op_sel:[0,0,1] op_sel_hi:[1,0,0]
	v_dual_mul_f32 v134, v133, v123 :: v_dual_mov_b32 v130, v133
	v_dual_mov_b32 v137, v131 :: v_dual_mov_b32 v131, v132
	s_delay_alu instid0(VALU_DEP_2) | instskip(SKIP_1) | instid1(VALU_DEP_3)
	v_pk_fma_f32 v[134:135], v[132:133], v[106:107], v[134:135] op_sel_hi:[1,1,0] neg_lo:[0,0,1] neg_hi:[0,0,1]
	v_mul_f32_e32 v132, v133, v120
	v_pk_add_f32 v[104:105], v[104:105], v[136:137] neg_lo:[0,1] neg_hi:[0,1]
	s_delay_alu instid0(VALU_DEP_2) | instskip(NEXT) | instid1(VALU_DEP_1)
	v_pk_fma_f32 v[130:131], v[130:131], v[106:107], v[132:133] op_sel_hi:[1,1,0]
	v_mov_b32_e32 v135, v131
	ds_load_2addr_b64 v[130:133], v124 offset0:10 offset1:11
	v_pk_add_f32 v[100:101], v[100:101], v[134:135] neg_lo:[0,1] neg_hi:[0,1]
	s_wait_dscnt 0x0
	v_pk_mul_f32 v[134:135], v[130:131], v[122:123] op_sel:[0,1]
	s_delay_alu instid0(VALU_DEP_1) | instskip(SKIP_1) | instid1(VALU_DEP_1)
	v_pk_fma_f32 v[136:137], v[130:131], v[120:121], v[134:135] op_sel:[0,0,1] op_sel_hi:[1,1,0] neg_lo:[0,0,1] neg_hi:[0,0,1]
	v_pk_fma_f32 v[130:131], v[130:131], v[120:121], v[134:135] op_sel:[0,0,1] op_sel_hi:[1,0,0]
	v_mov_b32_e32 v137, v131
	v_pk_mul_f32 v[130:131], v[132:133], v[122:123] op_sel:[0,1]
	s_delay_alu instid0(VALU_DEP_1) | instskip(SKIP_1) | instid1(VALU_DEP_1)
	v_pk_fma_f32 v[134:135], v[132:133], v[120:121], v[130:131] op_sel:[0,0,1] op_sel_hi:[1,1,0] neg_lo:[0,0,1] neg_hi:[0,0,1]
	v_pk_fma_f32 v[130:131], v[132:133], v[120:121], v[130:131] op_sel:[0,0,1] op_sel_hi:[1,0,0]
	v_mov_b32_e32 v135, v131
	ds_load_2addr_b64 v[130:133], v124 offset0:12 offset1:13
	v_pk_add_f32 v[102:103], v[102:103], v[136:137] neg_lo:[0,1] neg_hi:[0,1]
	v_pk_add_f32 v[98:99], v[98:99], v[134:135] neg_lo:[0,1] neg_hi:[0,1]
	s_wait_dscnt 0x0
	v_pk_mul_f32 v[134:135], v[130:131], v[122:123] op_sel:[0,1]
	s_delay_alu instid0(VALU_DEP_1) | instskip(SKIP_1) | instid1(VALU_DEP_1)
	v_pk_fma_f32 v[136:137], v[130:131], v[120:121], v[134:135] op_sel:[0,0,1] op_sel_hi:[1,1,0] neg_lo:[0,0,1] neg_hi:[0,0,1]
	v_pk_fma_f32 v[130:131], v[130:131], v[120:121], v[134:135] op_sel:[0,0,1] op_sel_hi:[1,0,0]
	v_mov_b32_e32 v137, v131
	v_pk_mul_f32 v[130:131], v[132:133], v[122:123] op_sel:[0,1]
	s_delay_alu instid0(VALU_DEP_1) | instskip(SKIP_1) | instid1(VALU_DEP_1)
	v_pk_fma_f32 v[134:135], v[132:133], v[120:121], v[130:131] op_sel:[0,0,1] op_sel_hi:[1,1,0] neg_lo:[0,0,1] neg_hi:[0,0,1]
	v_pk_fma_f32 v[130:131], v[132:133], v[120:121], v[130:131] op_sel:[0,0,1] op_sel_hi:[1,0,0]
	v_mov_b32_e32 v135, v131
	ds_load_2addr_b64 v[130:133], v124 offset0:14 offset1:15
	v_pk_add_f32 v[96:97], v[96:97], v[136:137] neg_lo:[0,1] neg_hi:[0,1]
	v_pk_add_f32 v[92:93], v[92:93], v[134:135] neg_lo:[0,1] neg_hi:[0,1]
	s_wait_dscnt 0x0
	v_dual_mul_f32 v134, v131, v123 :: v_dual_mul_f32 v136, v131, v120
	s_delay_alu instid0(VALU_DEP_1) | instskip(NEXT) | instid1(VALU_DEP_2)
	v_pk_fma_f32 v[134:135], v[130:131], v[106:107], v[134:135] op_sel_hi:[1,1,0] neg_lo:[0,0,1] neg_hi:[0,0,1]
	v_pk_fma_f32 v[130:131], v[130:131], v[106:107], v[136:137] op_sel:[1,0,0] op_sel_hi:[0,1,0]
	s_delay_alu instid0(VALU_DEP_1) | instskip(SKIP_1) | instid1(VALU_DEP_2)
	v_mov_b32_e32 v135, v131
	v_pk_mul_f32 v[130:131], v[132:133], v[122:123] op_sel:[0,1]
	v_pk_add_f32 v[94:95], v[94:95], v[134:135] neg_lo:[0,1] neg_hi:[0,1]
	s_delay_alu instid0(VALU_DEP_2) | instskip(SKIP_1) | instid1(VALU_DEP_1)
	v_pk_fma_f32 v[134:135], v[132:133], v[120:121], v[130:131] op_sel:[0,0,1] op_sel_hi:[1,1,0] neg_lo:[0,0,1] neg_hi:[0,0,1]
	v_pk_fma_f32 v[130:131], v[132:133], v[120:121], v[130:131] op_sel:[0,0,1] op_sel_hi:[1,0,0]
	v_mov_b32_e32 v135, v131
	ds_load_2addr_b64 v[130:133], v124 offset0:16 offset1:17
	v_pk_add_f32 v[90:91], v[90:91], v[134:135] neg_lo:[0,1] neg_hi:[0,1]
	s_wait_dscnt 0x0
	v_pk_mul_f32 v[134:135], v[130:131], v[122:123] op_sel:[0,1]
	s_delay_alu instid0(VALU_DEP_1) | instskip(SKIP_1) | instid1(VALU_DEP_1)
	v_pk_fma_f32 v[136:137], v[130:131], v[120:121], v[134:135] op_sel:[0,0,1] op_sel_hi:[1,1,0] neg_lo:[0,0,1] neg_hi:[0,0,1]
	v_pk_fma_f32 v[130:131], v[130:131], v[120:121], v[134:135] op_sel:[0,0,1] op_sel_hi:[1,0,0]
	v_mov_b32_e32 v137, v131
	v_pk_mul_f32 v[130:131], v[132:133], v[122:123] op_sel:[0,1]
	s_delay_alu instid0(VALU_DEP_2) | instskip(NEXT) | instid1(VALU_DEP_2)
	v_pk_add_f32 v[84:85], v[84:85], v[136:137] neg_lo:[0,1] neg_hi:[0,1]
	v_pk_fma_f32 v[134:135], v[132:133], v[120:121], v[130:131] op_sel:[0,0,1] op_sel_hi:[1,1,0] neg_lo:[0,0,1] neg_hi:[0,0,1]
	v_pk_fma_f32 v[130:131], v[132:133], v[120:121], v[130:131] op_sel:[0,0,1] op_sel_hi:[1,0,0]
	s_delay_alu instid0(VALU_DEP_1) | instskip(SKIP_4) | instid1(VALU_DEP_1)
	v_mov_b32_e32 v135, v131
	ds_load_2addr_b64 v[130:133], v124 offset0:18 offset1:19
	v_pk_add_f32 v[80:81], v[80:81], v[134:135] neg_lo:[0,1] neg_hi:[0,1]
	s_wait_dscnt 0x0
	v_pk_mul_f32 v[134:135], v[130:131], v[122:123] op_sel:[0,1]
	v_pk_fma_f32 v[136:137], v[130:131], v[120:121], v[134:135] op_sel:[0,0,1] op_sel_hi:[1,1,0] neg_lo:[0,0,1] neg_hi:[0,0,1]
	v_pk_fma_f32 v[130:131], v[130:131], v[120:121], v[134:135] op_sel:[0,0,1] op_sel_hi:[1,0,0]
	v_dual_mul_f32 v134, v133, v123 :: v_dual_mov_b32 v130, v133
	s_delay_alu instid0(VALU_DEP_2) | instskip(NEXT) | instid1(VALU_DEP_2)
	v_dual_mov_b32 v137, v131 :: v_dual_mov_b32 v131, v132
	v_pk_fma_f32 v[134:135], v[132:133], v[106:107], v[134:135] op_sel_hi:[1,1,0] neg_lo:[0,0,1] neg_hi:[0,0,1]
	v_mul_f32_e32 v132, v133, v120
	s_delay_alu instid0(VALU_DEP_3) | instskip(NEXT) | instid1(VALU_DEP_2)
	v_pk_add_f32 v[82:83], v[82:83], v[136:137] neg_lo:[0,1] neg_hi:[0,1]
	v_pk_fma_f32 v[130:131], v[130:131], v[106:107], v[132:133] op_sel_hi:[1,1,0]
	s_delay_alu instid0(VALU_DEP_1) | instskip(SKIP_4) | instid1(VALU_DEP_1)
	v_mov_b32_e32 v135, v131
	ds_load_2addr_b64 v[130:133], v124 offset0:20 offset1:21
	v_pk_add_f32 v[78:79], v[78:79], v[134:135] neg_lo:[0,1] neg_hi:[0,1]
	s_wait_dscnt 0x0
	v_pk_mul_f32 v[134:135], v[130:131], v[122:123] op_sel:[0,1]
	v_pk_fma_f32 v[136:137], v[130:131], v[120:121], v[134:135] op_sel:[0,0,1] op_sel_hi:[1,1,0] neg_lo:[0,0,1] neg_hi:[0,0,1]
	v_pk_fma_f32 v[130:131], v[130:131], v[120:121], v[134:135] op_sel:[0,0,1] op_sel_hi:[1,0,0]
	s_delay_alu instid0(VALU_DEP_1) | instskip(SKIP_1) | instid1(VALU_DEP_1)
	v_mov_b32_e32 v137, v131
	v_pk_mul_f32 v[130:131], v[132:133], v[122:123] op_sel:[0,1]
	v_pk_fma_f32 v[134:135], v[132:133], v[120:121], v[130:131] op_sel:[0,0,1] op_sel_hi:[1,1,0] neg_lo:[0,0,1] neg_hi:[0,0,1]
	v_pk_fma_f32 v[130:131], v[132:133], v[120:121], v[130:131] op_sel:[0,0,1] op_sel_hi:[1,0,0]
	s_delay_alu instid0(VALU_DEP_1)
	v_mov_b32_e32 v135, v131
	ds_load_2addr_b64 v[130:133], v124 offset0:22 offset1:23
	v_pk_add_f32 v[76:77], v[76:77], v[136:137] neg_lo:[0,1] neg_hi:[0,1]
	v_pk_add_f32 v[72:73], v[72:73], v[134:135] neg_lo:[0,1] neg_hi:[0,1]
	s_wait_dscnt 0x0
	v_pk_mul_f32 v[134:135], v[130:131], v[122:123] op_sel:[0,1]
	s_delay_alu instid0(VALU_DEP_1) | instskip(SKIP_1) | instid1(VALU_DEP_1)
	v_pk_fma_f32 v[136:137], v[130:131], v[120:121], v[134:135] op_sel:[0,0,1] op_sel_hi:[1,1,0] neg_lo:[0,0,1] neg_hi:[0,0,1]
	v_pk_fma_f32 v[130:131], v[130:131], v[120:121], v[134:135] op_sel:[0,0,1] op_sel_hi:[1,0,0]
	v_mov_b32_e32 v137, v131
	v_pk_mul_f32 v[130:131], v[132:133], v[122:123] op_sel:[0,1]
	s_delay_alu instid0(VALU_DEP_1) | instskip(SKIP_1) | instid1(VALU_DEP_1)
	v_pk_fma_f32 v[134:135], v[132:133], v[120:121], v[130:131] op_sel:[0,0,1] op_sel_hi:[1,1,0] neg_lo:[0,0,1] neg_hi:[0,0,1]
	v_pk_fma_f32 v[130:131], v[132:133], v[120:121], v[130:131] op_sel:[0,0,1] op_sel_hi:[1,0,0]
	v_mov_b32_e32 v135, v131
	ds_load_2addr_b64 v[130:133], v124 offset0:24 offset1:25
	v_pk_add_f32 v[74:75], v[74:75], v[136:137] neg_lo:[0,1] neg_hi:[0,1]
	v_pk_add_f32 v[70:71], v[70:71], v[134:135] neg_lo:[0,1] neg_hi:[0,1]
	s_wait_dscnt 0x0
	v_dual_mul_f32 v134, v131, v123 :: v_dual_mul_f32 v136, v131, v120
	s_delay_alu instid0(VALU_DEP_1) | instskip(NEXT) | instid1(VALU_DEP_2)
	v_pk_fma_f32 v[134:135], v[130:131], v[106:107], v[134:135] op_sel_hi:[1,1,0] neg_lo:[0,0,1] neg_hi:[0,0,1]
	v_pk_fma_f32 v[130:131], v[130:131], v[106:107], v[136:137] op_sel:[1,0,0] op_sel_hi:[0,1,0]
	s_delay_alu instid0(VALU_DEP_1) | instskip(SKIP_1) | instid1(VALU_DEP_2)
	v_mov_b32_e32 v135, v131
	v_pk_mul_f32 v[130:131], v[132:133], v[122:123] op_sel:[0,1]
	v_pk_add_f32 v[68:69], v[68:69], v[134:135] neg_lo:[0,1] neg_hi:[0,1]
	s_delay_alu instid0(VALU_DEP_2) | instskip(SKIP_1) | instid1(VALU_DEP_1)
	v_pk_fma_f32 v[134:135], v[132:133], v[120:121], v[130:131] op_sel:[0,0,1] op_sel_hi:[1,1,0] neg_lo:[0,0,1] neg_hi:[0,0,1]
	v_pk_fma_f32 v[130:131], v[132:133], v[120:121], v[130:131] op_sel:[0,0,1] op_sel_hi:[1,0,0]
	v_mov_b32_e32 v135, v131
	ds_load_2addr_b64 v[130:133], v124 offset0:26 offset1:27
	v_pk_add_f32 v[64:65], v[64:65], v[134:135] neg_lo:[0,1] neg_hi:[0,1]
	s_wait_dscnt 0x0
	v_pk_mul_f32 v[134:135], v[130:131], v[122:123] op_sel:[0,1]
	s_delay_alu instid0(VALU_DEP_1) | instskip(SKIP_1) | instid1(VALU_DEP_1)
	v_pk_fma_f32 v[136:137], v[130:131], v[120:121], v[134:135] op_sel:[0,0,1] op_sel_hi:[1,1,0] neg_lo:[0,0,1] neg_hi:[0,0,1]
	v_pk_fma_f32 v[130:131], v[130:131], v[120:121], v[134:135] op_sel:[0,0,1] op_sel_hi:[1,0,0]
	v_mov_b32_e32 v137, v131
	v_pk_mul_f32 v[130:131], v[132:133], v[122:123] op_sel:[0,1]
	s_delay_alu instid0(VALU_DEP_2) | instskip(NEXT) | instid1(VALU_DEP_2)
	v_pk_add_f32 v[66:67], v[66:67], v[136:137] neg_lo:[0,1] neg_hi:[0,1]
	v_pk_fma_f32 v[134:135], v[132:133], v[120:121], v[130:131] op_sel:[0,0,1] op_sel_hi:[1,1,0] neg_lo:[0,0,1] neg_hi:[0,0,1]
	v_pk_fma_f32 v[130:131], v[132:133], v[120:121], v[130:131] op_sel:[0,0,1] op_sel_hi:[1,0,0]
	s_delay_alu instid0(VALU_DEP_1) | instskip(SKIP_4) | instid1(VALU_DEP_1)
	v_mov_b32_e32 v135, v131
	ds_load_2addr_b64 v[130:133], v124 offset0:28 offset1:29
	v_pk_add_f32 v[62:63], v[62:63], v[134:135] neg_lo:[0,1] neg_hi:[0,1]
	s_wait_dscnt 0x0
	v_pk_mul_f32 v[134:135], v[130:131], v[122:123] op_sel:[0,1]
	v_pk_fma_f32 v[136:137], v[130:131], v[120:121], v[134:135] op_sel:[0,0,1] op_sel_hi:[1,1,0] neg_lo:[0,0,1] neg_hi:[0,0,1]
	v_pk_fma_f32 v[130:131], v[130:131], v[120:121], v[134:135] op_sel:[0,0,1] op_sel_hi:[1,0,0]
	v_dual_mul_f32 v134, v133, v123 :: v_dual_mov_b32 v130, v133
	s_delay_alu instid0(VALU_DEP_2) | instskip(NEXT) | instid1(VALU_DEP_2)
	v_dual_mov_b32 v137, v131 :: v_dual_mov_b32 v131, v132
	v_pk_fma_f32 v[134:135], v[132:133], v[106:107], v[134:135] op_sel_hi:[1,1,0] neg_lo:[0,0,1] neg_hi:[0,0,1]
	v_mul_f32_e32 v132, v133, v120
	s_delay_alu instid0(VALU_DEP_3) | instskip(NEXT) | instid1(VALU_DEP_2)
	v_pk_add_f32 v[60:61], v[60:61], v[136:137] neg_lo:[0,1] neg_hi:[0,1]
	v_pk_fma_f32 v[130:131], v[130:131], v[106:107], v[132:133] op_sel_hi:[1,1,0]
	s_delay_alu instid0(VALU_DEP_1) | instskip(SKIP_4) | instid1(VALU_DEP_1)
	v_mov_b32_e32 v135, v131
	ds_load_2addr_b64 v[130:133], v124 offset0:30 offset1:31
	v_pk_add_f32 v[56:57], v[56:57], v[134:135] neg_lo:[0,1] neg_hi:[0,1]
	s_wait_dscnt 0x0
	v_pk_mul_f32 v[134:135], v[130:131], v[122:123] op_sel:[0,1]
	v_pk_fma_f32 v[136:137], v[130:131], v[120:121], v[134:135] op_sel:[0,0,1] op_sel_hi:[1,1,0] neg_lo:[0,0,1] neg_hi:[0,0,1]
	v_pk_fma_f32 v[130:131], v[130:131], v[120:121], v[134:135] op_sel:[0,0,1] op_sel_hi:[1,0,0]
	s_delay_alu instid0(VALU_DEP_1) | instskip(SKIP_1) | instid1(VALU_DEP_1)
	v_mov_b32_e32 v137, v131
	v_pk_mul_f32 v[130:131], v[132:133], v[122:123] op_sel:[0,1]
	v_pk_fma_f32 v[134:135], v[132:133], v[120:121], v[130:131] op_sel:[0,0,1] op_sel_hi:[1,1,0] neg_lo:[0,0,1] neg_hi:[0,0,1]
	v_pk_fma_f32 v[130:131], v[132:133], v[120:121], v[130:131] op_sel:[0,0,1] op_sel_hi:[1,0,0]
	s_delay_alu instid0(VALU_DEP_1)
	v_mov_b32_e32 v135, v131
	ds_load_2addr_b64 v[130:133], v124 offset0:32 offset1:33
	v_pk_add_f32 v[58:59], v[58:59], v[136:137] neg_lo:[0,1] neg_hi:[0,1]
	v_pk_add_f32 v[54:55], v[54:55], v[134:135] neg_lo:[0,1] neg_hi:[0,1]
	s_wait_dscnt 0x0
	v_pk_mul_f32 v[134:135], v[130:131], v[122:123] op_sel:[0,1]
	s_delay_alu instid0(VALU_DEP_1) | instskip(SKIP_1) | instid1(VALU_DEP_1)
	v_pk_fma_f32 v[136:137], v[130:131], v[120:121], v[134:135] op_sel:[0,0,1] op_sel_hi:[1,1,0] neg_lo:[0,0,1] neg_hi:[0,0,1]
	v_pk_fma_f32 v[130:131], v[130:131], v[120:121], v[134:135] op_sel:[0,0,1] op_sel_hi:[1,0,0]
	v_mov_b32_e32 v137, v131
	v_pk_mul_f32 v[130:131], v[132:133], v[122:123] op_sel:[0,1]
	s_delay_alu instid0(VALU_DEP_1) | instskip(SKIP_1) | instid1(VALU_DEP_1)
	v_pk_fma_f32 v[134:135], v[132:133], v[120:121], v[130:131] op_sel:[0,0,1] op_sel_hi:[1,1,0] neg_lo:[0,0,1] neg_hi:[0,0,1]
	v_pk_fma_f32 v[130:131], v[132:133], v[120:121], v[130:131] op_sel:[0,0,1] op_sel_hi:[1,0,0]
	v_mov_b32_e32 v135, v131
	ds_load_2addr_b64 v[130:133], v124 offset0:34 offset1:35
	v_pk_add_f32 v[52:53], v[52:53], v[136:137] neg_lo:[0,1] neg_hi:[0,1]
	v_pk_add_f32 v[48:49], v[48:49], v[134:135] neg_lo:[0,1] neg_hi:[0,1]
	s_wait_dscnt 0x0
	v_dual_mul_f32 v134, v131, v123 :: v_dual_mul_f32 v136, v131, v120
	s_delay_alu instid0(VALU_DEP_1) | instskip(NEXT) | instid1(VALU_DEP_2)
	v_pk_fma_f32 v[134:135], v[130:131], v[106:107], v[134:135] op_sel_hi:[1,1,0] neg_lo:[0,0,1] neg_hi:[0,0,1]
	v_pk_fma_f32 v[130:131], v[130:131], v[106:107], v[136:137] op_sel:[1,0,0] op_sel_hi:[0,1,0]
	s_delay_alu instid0(VALU_DEP_1) | instskip(SKIP_1) | instid1(VALU_DEP_2)
	v_mov_b32_e32 v135, v131
	v_pk_mul_f32 v[130:131], v[132:133], v[122:123] op_sel:[0,1]
	v_pk_add_f32 v[50:51], v[50:51], v[134:135] neg_lo:[0,1] neg_hi:[0,1]
	s_delay_alu instid0(VALU_DEP_2) | instskip(SKIP_1) | instid1(VALU_DEP_1)
	v_pk_fma_f32 v[134:135], v[132:133], v[120:121], v[130:131] op_sel:[0,0,1] op_sel_hi:[1,1,0] neg_lo:[0,0,1] neg_hi:[0,0,1]
	v_pk_fma_f32 v[130:131], v[132:133], v[120:121], v[130:131] op_sel:[0,0,1] op_sel_hi:[1,0,0]
	v_mov_b32_e32 v135, v131
	ds_load_2addr_b64 v[130:133], v124 offset0:36 offset1:37
	v_pk_add_f32 v[46:47], v[46:47], v[134:135] neg_lo:[0,1] neg_hi:[0,1]
	s_wait_dscnt 0x0
	v_pk_mul_f32 v[134:135], v[130:131], v[122:123] op_sel:[0,1]
	s_delay_alu instid0(VALU_DEP_1) | instskip(SKIP_1) | instid1(VALU_DEP_1)
	v_pk_fma_f32 v[136:137], v[130:131], v[120:121], v[134:135] op_sel:[0,0,1] op_sel_hi:[1,1,0] neg_lo:[0,0,1] neg_hi:[0,0,1]
	v_pk_fma_f32 v[130:131], v[130:131], v[120:121], v[134:135] op_sel:[0,0,1] op_sel_hi:[1,0,0]
	v_mov_b32_e32 v137, v131
	v_pk_mul_f32 v[130:131], v[132:133], v[122:123] op_sel:[0,1]
	s_delay_alu instid0(VALU_DEP_2) | instskip(NEXT) | instid1(VALU_DEP_2)
	v_pk_add_f32 v[44:45], v[44:45], v[136:137] neg_lo:[0,1] neg_hi:[0,1]
	v_pk_fma_f32 v[134:135], v[132:133], v[120:121], v[130:131] op_sel:[0,0,1] op_sel_hi:[1,1,0] neg_lo:[0,0,1] neg_hi:[0,0,1]
	v_pk_fma_f32 v[130:131], v[132:133], v[120:121], v[130:131] op_sel:[0,0,1] op_sel_hi:[1,0,0]
	s_delay_alu instid0(VALU_DEP_1) | instskip(SKIP_4) | instid1(VALU_DEP_1)
	v_mov_b32_e32 v135, v131
	ds_load_2addr_b64 v[130:133], v124 offset0:38 offset1:39
	v_pk_add_f32 v[40:41], v[40:41], v[134:135] neg_lo:[0,1] neg_hi:[0,1]
	s_wait_dscnt 0x0
	v_pk_mul_f32 v[134:135], v[130:131], v[122:123] op_sel:[0,1]
	v_pk_fma_f32 v[136:137], v[130:131], v[120:121], v[134:135] op_sel:[0,0,1] op_sel_hi:[1,1,0] neg_lo:[0,0,1] neg_hi:[0,0,1]
	v_pk_fma_f32 v[130:131], v[130:131], v[120:121], v[134:135] op_sel:[0,0,1] op_sel_hi:[1,0,0]
	v_dual_mul_f32 v134, v133, v123 :: v_dual_mov_b32 v130, v133
	s_delay_alu instid0(VALU_DEP_2) | instskip(NEXT) | instid1(VALU_DEP_2)
	v_dual_mov_b32 v137, v131 :: v_dual_mov_b32 v131, v132
	v_pk_fma_f32 v[134:135], v[132:133], v[106:107], v[134:135] op_sel_hi:[1,1,0] neg_lo:[0,0,1] neg_hi:[0,0,1]
	v_mul_f32_e32 v132, v133, v120
	s_delay_alu instid0(VALU_DEP_3) | instskip(NEXT) | instid1(VALU_DEP_2)
	v_pk_add_f32 v[42:43], v[42:43], v[136:137] neg_lo:[0,1] neg_hi:[0,1]
	v_pk_fma_f32 v[130:131], v[130:131], v[106:107], v[132:133] op_sel_hi:[1,1,0]
	s_delay_alu instid0(VALU_DEP_1) | instskip(SKIP_4) | instid1(VALU_DEP_1)
	v_mov_b32_e32 v135, v131
	ds_load_2addr_b64 v[130:133], v124 offset0:40 offset1:41
	v_pk_add_f32 v[38:39], v[38:39], v[134:135] neg_lo:[0,1] neg_hi:[0,1]
	s_wait_dscnt 0x0
	v_pk_mul_f32 v[134:135], v[130:131], v[122:123] op_sel:[0,1]
	v_pk_fma_f32 v[136:137], v[130:131], v[120:121], v[134:135] op_sel:[0,0,1] op_sel_hi:[1,1,0] neg_lo:[0,0,1] neg_hi:[0,0,1]
	v_pk_fma_f32 v[130:131], v[130:131], v[120:121], v[134:135] op_sel:[0,0,1] op_sel_hi:[1,0,0]
	s_delay_alu instid0(VALU_DEP_1) | instskip(SKIP_1) | instid1(VALU_DEP_1)
	v_mov_b32_e32 v137, v131
	v_pk_mul_f32 v[130:131], v[132:133], v[122:123] op_sel:[0,1]
	v_pk_fma_f32 v[134:135], v[132:133], v[120:121], v[130:131] op_sel:[0,0,1] op_sel_hi:[1,1,0] neg_lo:[0,0,1] neg_hi:[0,0,1]
	v_pk_fma_f32 v[130:131], v[132:133], v[120:121], v[130:131] op_sel:[0,0,1] op_sel_hi:[1,0,0]
	s_delay_alu instid0(VALU_DEP_1)
	v_mov_b32_e32 v135, v131
	ds_load_2addr_b64 v[130:133], v124 offset0:42 offset1:43
	v_pk_add_f32 v[36:37], v[36:37], v[136:137] neg_lo:[0,1] neg_hi:[0,1]
	v_pk_add_f32 v[32:33], v[32:33], v[134:135] neg_lo:[0,1] neg_hi:[0,1]
	s_wait_dscnt 0x0
	v_pk_mul_f32 v[134:135], v[130:131], v[122:123] op_sel:[0,1]
	s_delay_alu instid0(VALU_DEP_1) | instskip(SKIP_1) | instid1(VALU_DEP_1)
	v_pk_fma_f32 v[136:137], v[130:131], v[120:121], v[134:135] op_sel:[0,0,1] op_sel_hi:[1,1,0] neg_lo:[0,0,1] neg_hi:[0,0,1]
	v_pk_fma_f32 v[130:131], v[130:131], v[120:121], v[134:135] op_sel:[0,0,1] op_sel_hi:[1,0,0]
	v_mov_b32_e32 v137, v131
	v_pk_mul_f32 v[130:131], v[132:133], v[122:123] op_sel:[0,1]
	s_delay_alu instid0(VALU_DEP_1) | instskip(SKIP_1) | instid1(VALU_DEP_1)
	v_pk_fma_f32 v[134:135], v[132:133], v[120:121], v[130:131] op_sel:[0,0,1] op_sel_hi:[1,1,0] neg_lo:[0,0,1] neg_hi:[0,0,1]
	v_pk_fma_f32 v[130:131], v[132:133], v[120:121], v[130:131] op_sel:[0,0,1] op_sel_hi:[1,0,0]
	v_mov_b32_e32 v135, v131
	ds_load_2addr_b64 v[130:133], v124 offset0:44 offset1:45
	v_pk_add_f32 v[34:35], v[34:35], v[136:137] neg_lo:[0,1] neg_hi:[0,1]
	v_pk_add_f32 v[30:31], v[30:31], v[134:135] neg_lo:[0,1] neg_hi:[0,1]
	s_wait_dscnt 0x0
	v_dual_mul_f32 v134, v131, v123 :: v_dual_mul_f32 v136, v131, v120
	s_delay_alu instid0(VALU_DEP_1) | instskip(NEXT) | instid1(VALU_DEP_2)
	v_pk_fma_f32 v[134:135], v[130:131], v[106:107], v[134:135] op_sel_hi:[1,1,0] neg_lo:[0,0,1] neg_hi:[0,0,1]
	v_pk_fma_f32 v[130:131], v[130:131], v[106:107], v[136:137] op_sel:[1,0,0] op_sel_hi:[0,1,0]
	s_delay_alu instid0(VALU_DEP_1) | instskip(SKIP_1) | instid1(VALU_DEP_2)
	v_mov_b32_e32 v135, v131
	v_pk_mul_f32 v[130:131], v[132:133], v[122:123] op_sel:[0,1]
	v_pk_add_f32 v[26:27], v[26:27], v[134:135] neg_lo:[0,1] neg_hi:[0,1]
	s_delay_alu instid0(VALU_DEP_2) | instskip(SKIP_1) | instid1(VALU_DEP_1)
	v_pk_fma_f32 v[134:135], v[132:133], v[120:121], v[130:131] op_sel:[0,0,1] op_sel_hi:[1,1,0] neg_lo:[0,0,1] neg_hi:[0,0,1]
	v_pk_fma_f32 v[130:131], v[132:133], v[120:121], v[130:131] op_sel:[0,0,1] op_sel_hi:[1,0,0]
	v_mov_b32_e32 v135, v131
	ds_load_2addr_b64 v[130:133], v124 offset0:46 offset1:47
	v_pk_add_f32 v[22:23], v[22:23], v[134:135] neg_lo:[0,1] neg_hi:[0,1]
	s_wait_dscnt 0x0
	v_pk_mul_f32 v[134:135], v[130:131], v[122:123] op_sel:[0,1]
	s_delay_alu instid0(VALU_DEP_1) | instskip(SKIP_1) | instid1(VALU_DEP_1)
	v_pk_fma_f32 v[136:137], v[130:131], v[120:121], v[134:135] op_sel:[0,0,1] op_sel_hi:[1,1,0] neg_lo:[0,0,1] neg_hi:[0,0,1]
	v_pk_fma_f32 v[130:131], v[130:131], v[120:121], v[134:135] op_sel:[0,0,1] op_sel_hi:[1,0,0]
	v_mov_b32_e32 v137, v131
	v_pk_mul_f32 v[130:131], v[132:133], v[122:123] op_sel:[0,1]
	s_delay_alu instid0(VALU_DEP_2) | instskip(NEXT) | instid1(VALU_DEP_2)
	v_pk_add_f32 v[24:25], v[24:25], v[136:137] neg_lo:[0,1] neg_hi:[0,1]
	v_pk_fma_f32 v[134:135], v[132:133], v[120:121], v[130:131] op_sel:[0,0,1] op_sel_hi:[1,1,0] neg_lo:[0,0,1] neg_hi:[0,0,1]
	v_pk_fma_f32 v[130:131], v[132:133], v[120:121], v[130:131] op_sel:[0,0,1] op_sel_hi:[1,0,0]
	s_delay_alu instid0(VALU_DEP_1) | instskip(SKIP_4) | instid1(VALU_DEP_1)
	v_mov_b32_e32 v135, v131
	ds_load_2addr_b64 v[130:133], v124 offset0:48 offset1:49
	v_pk_add_f32 v[20:21], v[20:21], v[134:135] neg_lo:[0,1] neg_hi:[0,1]
	s_wait_dscnt 0x0
	v_pk_mul_f32 v[134:135], v[130:131], v[122:123] op_sel:[0,1]
	v_pk_fma_f32 v[136:137], v[130:131], v[120:121], v[134:135] op_sel:[0,0,1] op_sel_hi:[1,1,0] neg_lo:[0,0,1] neg_hi:[0,0,1]
	v_pk_fma_f32 v[130:131], v[130:131], v[120:121], v[134:135] op_sel:[0,0,1] op_sel_hi:[1,0,0]
	v_dual_mul_f32 v134, v133, v123 :: v_dual_mov_b32 v130, v133
	s_delay_alu instid0(VALU_DEP_2) | instskip(NEXT) | instid1(VALU_DEP_2)
	v_dual_mov_b32 v137, v131 :: v_dual_mov_b32 v131, v132
	v_pk_fma_f32 v[134:135], v[132:133], v[106:107], v[134:135] op_sel_hi:[1,1,0] neg_lo:[0,0,1] neg_hi:[0,0,1]
	v_mul_f32_e32 v132, v133, v120
	s_delay_alu instid0(VALU_DEP_3) | instskip(NEXT) | instid1(VALU_DEP_2)
	v_pk_add_f32 v[14:15], v[14:15], v[136:137] neg_lo:[0,1] neg_hi:[0,1]
	v_pk_fma_f32 v[130:131], v[130:131], v[106:107], v[132:133] op_sel_hi:[1,1,0]
	s_delay_alu instid0(VALU_DEP_1) | instskip(SKIP_4) | instid1(VALU_DEP_1)
	v_mov_b32_e32 v135, v131
	ds_load_2addr_b64 v[130:133], v124 offset0:50 offset1:51
	v_pk_add_f32 v[10:11], v[10:11], v[134:135] neg_lo:[0,1] neg_hi:[0,1]
	s_wait_dscnt 0x0
	v_pk_mul_f32 v[134:135], v[130:131], v[122:123] op_sel:[0,1]
	v_pk_fma_f32 v[136:137], v[130:131], v[120:121], v[134:135] op_sel:[0,0,1] op_sel_hi:[1,1,0] neg_lo:[0,0,1] neg_hi:[0,0,1]
	v_pk_fma_f32 v[130:131], v[130:131], v[120:121], v[134:135] op_sel:[0,0,1] op_sel_hi:[1,0,0]
	s_delay_alu instid0(VALU_DEP_1) | instskip(SKIP_1) | instid1(VALU_DEP_1)
	v_mov_b32_e32 v137, v131
	v_pk_mul_f32 v[130:131], v[132:133], v[122:123] op_sel:[0,1]
	v_pk_fma_f32 v[134:135], v[132:133], v[120:121], v[130:131] op_sel:[0,0,1] op_sel_hi:[1,1,0] neg_lo:[0,0,1] neg_hi:[0,0,1]
	v_pk_fma_f32 v[130:131], v[132:133], v[120:121], v[130:131] op_sel:[0,0,1] op_sel_hi:[1,0,0]
	s_delay_alu instid0(VALU_DEP_1)
	v_mov_b32_e32 v135, v131
	ds_load_2addr_b64 v[130:133], v124 offset0:52 offset1:53
	v_pk_add_f32 v[12:13], v[12:13], v[136:137] neg_lo:[0,1] neg_hi:[0,1]
	v_pk_add_f32 v[8:9], v[8:9], v[134:135] neg_lo:[0,1] neg_hi:[0,1]
	s_wait_dscnt 0x0
	v_pk_mul_f32 v[134:135], v[130:131], v[122:123] op_sel:[0,1]
	s_delay_alu instid0(VALU_DEP_1) | instskip(SKIP_1) | instid1(VALU_DEP_1)
	v_pk_fma_f32 v[136:137], v[130:131], v[120:121], v[134:135] op_sel:[0,0,1] op_sel_hi:[1,1,0] neg_lo:[0,0,1] neg_hi:[0,0,1]
	v_pk_fma_f32 v[130:131], v[130:131], v[120:121], v[134:135] op_sel:[0,0,1] op_sel_hi:[1,0,0]
	v_mov_b32_e32 v137, v131
	v_pk_mul_f32 v[130:131], v[132:133], v[122:123] op_sel:[0,1]
	s_delay_alu instid0(VALU_DEP_1) | instskip(SKIP_1) | instid1(VALU_DEP_1)
	v_pk_fma_f32 v[134:135], v[132:133], v[120:121], v[130:131] op_sel:[0,0,1] op_sel_hi:[1,1,0] neg_lo:[0,0,1] neg_hi:[0,0,1]
	v_pk_fma_f32 v[130:131], v[132:133], v[120:121], v[130:131] op_sel:[0,0,1] op_sel_hi:[1,0,0]
	v_mov_b32_e32 v135, v131
	ds_load_2addr_b64 v[130:133], v124 offset0:54 offset1:55
	v_pk_add_f32 v[6:7], v[6:7], v[136:137] neg_lo:[0,1] neg_hi:[0,1]
	v_pk_add_f32 v[28:29], v[28:29], v[134:135] neg_lo:[0,1] neg_hi:[0,1]
	s_wait_dscnt 0x0
	v_dual_mul_f32 v134, v131, v123 :: v_dual_mul_f32 v136, v131, v120
	s_delay_alu instid0(VALU_DEP_1) | instskip(NEXT) | instid1(VALU_DEP_2)
	v_pk_fma_f32 v[134:135], v[130:131], v[106:107], v[134:135] op_sel_hi:[1,1,0] neg_lo:[0,0,1] neg_hi:[0,0,1]
	v_pk_fma_f32 v[130:131], v[130:131], v[106:107], v[136:137] op_sel:[1,0,0] op_sel_hi:[0,1,0]
	s_delay_alu instid0(VALU_DEP_1) | instskip(SKIP_1) | instid1(VALU_DEP_2)
	v_mov_b32_e32 v135, v131
	v_pk_mul_f32 v[130:131], v[132:133], v[122:123] op_sel:[0,1]
	v_pk_add_f32 v[18:19], v[18:19], v[134:135] neg_lo:[0,1] neg_hi:[0,1]
	s_delay_alu instid0(VALU_DEP_2) | instskip(SKIP_1) | instid1(VALU_DEP_1)
	v_pk_fma_f32 v[134:135], v[132:133], v[120:121], v[130:131] op_sel:[0,0,1] op_sel_hi:[1,1,0] neg_lo:[0,0,1] neg_hi:[0,0,1]
	v_pk_fma_f32 v[130:131], v[132:133], v[120:121], v[130:131] op_sel:[0,0,1] op_sel_hi:[1,0,0]
	v_mov_b32_e32 v135, v131
	ds_load_b64 v[130:131], v124 offset:448
	v_pk_add_f32 v[16:17], v[16:17], v[134:135] neg_lo:[0,1] neg_hi:[0,1]
	s_wait_dscnt 0x0
	v_pk_mul_f32 v[122:123], v[130:131], v[122:123] op_sel:[0,1]
	s_delay_alu instid0(VALU_DEP_1) | instskip(SKIP_1) | instid1(VALU_DEP_1)
	v_pk_fma_f32 v[132:133], v[130:131], v[120:121], v[122:123] op_sel:[0,0,1] op_sel_hi:[1,1,0] neg_lo:[0,0,1] neg_hi:[0,0,1]
	v_pk_fma_f32 v[120:121], v[130:131], v[120:121], v[122:123] op_sel:[0,0,1] op_sel_hi:[1,0,0]
	v_mov_b32_e32 v133, v121
	s_delay_alu instid0(VALU_DEP_1)
	v_pk_add_f32 v[118:119], v[118:119], v[132:133] neg_lo:[0,1] neg_hi:[0,1]
.LBB112_125:
	s_or_b32 exec_lo, exec_lo, s0
	v_lshl_add_u32 v120, v128, 3, v124
	s_barrier_signal -1
	s_barrier_wait -1
	ds_store_b64 v120, v[88:89]
	s_wait_dscnt 0x0
	s_barrier_signal -1
	s_barrier_wait -1
	ds_load_b64 v[122:123], v124 offset:48
	v_mov_b32_e32 v120, 6
	s_cmp_lt_i32 s18, 8
	s_cbranch_scc1 .LBB112_128
; %bb.126:
	v_add3_u32 v121, v125, 0, 56
	v_mov_b32_e32 v120, 6
	s_mov_b32 s0, 7
.LBB112_127:                            ; =>This Inner Loop Header: Depth=1
	ds_load_b64 v[130:131], v121
	s_wait_dscnt 0x1
	v_cmp_gt_f32_e32 vcc_lo, 0, v122
	v_cndmask_b32_e64 v132, v122, -v122, vcc_lo
	v_cmp_gt_f32_e32 vcc_lo, 0, v123
	v_cndmask_b32_e64 v134, v123, -v123, vcc_lo
	s_wait_dscnt 0x0
	v_cmp_gt_f32_e32 vcc_lo, 0, v130
	v_cndmask_b32_e64 v133, v130, -v130, vcc_lo
	v_cmp_gt_f32_e32 vcc_lo, 0, v131
	v_cndmask_b32_e64 v135, v131, -v131, vcc_lo
	s_delay_alu instid0(VALU_DEP_1) | instskip(NEXT) | instid1(VALU_DEP_1)
	v_pk_add_f32 v[132:133], v[132:133], v[134:135]
	v_cmp_lt_f32_e32 vcc_lo, v132, v133
	v_dual_add_nc_u32 v121, 8, v121 :: v_dual_cndmask_b32 v123, v123, v131, vcc_lo
	v_cndmask_b32_e32 v122, v122, v130, vcc_lo
	v_cndmask_b32_e64 v120, v120, s0, vcc_lo
	s_add_co_i32 s0, s0, 1
	s_delay_alu instid0(SALU_CYCLE_1)
	s_cmp_lg_u32 s18, s0
	s_cbranch_scc1 .LBB112_127
.LBB112_128:
	s_wait_dscnt 0x0
	v_cmp_eq_f32_e32 vcc_lo, 0, v122
	v_cmp_eq_f32_e64 s0, 0, v123
	s_and_b32 s0, vcc_lo, s0
	s_delay_alu instid0(SALU_CYCLE_1) | instskip(NEXT) | instid1(SALU_CYCLE_1)
	s_and_saveexec_b32 s1, s0
	s_xor_b32 s0, exec_lo, s1
; %bb.129:
	v_cmp_ne_u32_e32 vcc_lo, 0, v126
	v_cndmask_b32_e32 v126, 7, v126, vcc_lo
; %bb.130:
	s_and_not1_saveexec_b32 s0, s0
	s_cbranch_execz .LBB112_136
; %bb.131:
	v_cmp_ngt_f32_e64 s1, |v122|, |v123|
	s_and_saveexec_b32 s12, s1
	s_delay_alu instid0(SALU_CYCLE_1)
	s_xor_b32 s1, exec_lo, s12
	s_cbranch_execz .LBB112_133
; %bb.132:
	v_div_scale_f32 v121, null, v123, v123, v122
	v_div_scale_f32 v131, vcc_lo, v122, v123, v122
	s_delay_alu instid0(VALU_DEP_2) | instskip(SKIP_1) | instid1(TRANS32_DEP_1)
	v_rcp_f32_e32 v129, v121
	v_nop
	v_fma_f32 v130, -v121, v129, 1.0
	s_delay_alu instid0(VALU_DEP_1) | instskip(NEXT) | instid1(VALU_DEP_1)
	v_fmac_f32_e32 v129, v130, v129
	v_mul_f32_e32 v130, v131, v129
	s_delay_alu instid0(VALU_DEP_1) | instskip(NEXT) | instid1(VALU_DEP_1)
	v_fma_f32 v132, -v121, v130, v131
	v_fmac_f32_e32 v130, v132, v129
	s_delay_alu instid0(VALU_DEP_1) | instskip(NEXT) | instid1(VALU_DEP_1)
	v_fma_f32 v121, -v121, v130, v131
	v_div_fmas_f32 v121, v121, v129, v130
	s_delay_alu instid0(VALU_DEP_1) | instskip(NEXT) | instid1(VALU_DEP_1)
	v_div_fixup_f32 v121, v121, v123, v122
	v_fmac_f32_e32 v123, v122, v121
	s_delay_alu instid0(VALU_DEP_1) | instskip(SKIP_1) | instid1(VALU_DEP_2)
	v_div_scale_f32 v122, null, v123, v123, 1.0
	v_div_scale_f32 v131, vcc_lo, 1.0, v123, 1.0
	v_rcp_f32_e32 v129, v122
	v_nop
	s_delay_alu instid0(TRANS32_DEP_1) | instskip(NEXT) | instid1(VALU_DEP_1)
	v_fma_f32 v130, -v122, v129, 1.0
	v_fmac_f32_e32 v129, v130, v129
	s_delay_alu instid0(VALU_DEP_1) | instskip(NEXT) | instid1(VALU_DEP_1)
	v_mul_f32_e32 v130, v131, v129
	v_fma_f32 v132, -v122, v130, v131
	s_delay_alu instid0(VALU_DEP_1) | instskip(NEXT) | instid1(VALU_DEP_1)
	v_fmac_f32_e32 v130, v132, v129
	v_fma_f32 v122, -v122, v130, v131
	s_delay_alu instid0(VALU_DEP_1) | instskip(NEXT) | instid1(VALU_DEP_1)
	v_div_fmas_f32 v122, v122, v129, v130
	v_div_fixup_f32 v123, v122, v123, 1.0
	s_delay_alu instid0(VALU_DEP_1)
	v_mul_f32_e32 v122, v121, v123
	v_xor_b32_e32 v123, 0x80000000, v123
.LBB112_133:
	s_and_not1_saveexec_b32 s1, s1
	s_cbranch_execz .LBB112_135
; %bb.134:
	s_delay_alu instid0(VALU_DEP_1) | instskip(SKIP_1) | instid1(VALU_DEP_2)
	v_div_scale_f32 v121, null, v122, v122, v123
	v_div_scale_f32 v131, vcc_lo, v123, v122, v123
	v_rcp_f32_e32 v129, v121
	v_nop
	s_delay_alu instid0(TRANS32_DEP_1) | instskip(NEXT) | instid1(VALU_DEP_1)
	v_fma_f32 v130, -v121, v129, 1.0
	v_fmac_f32_e32 v129, v130, v129
	s_delay_alu instid0(VALU_DEP_1) | instskip(NEXT) | instid1(VALU_DEP_1)
	v_mul_f32_e32 v130, v131, v129
	v_fma_f32 v132, -v121, v130, v131
	s_delay_alu instid0(VALU_DEP_1) | instskip(NEXT) | instid1(VALU_DEP_1)
	v_fmac_f32_e32 v130, v132, v129
	v_fma_f32 v121, -v121, v130, v131
	s_delay_alu instid0(VALU_DEP_1) | instskip(NEXT) | instid1(VALU_DEP_1)
	v_div_fmas_f32 v121, v121, v129, v130
	v_div_fixup_f32 v121, v121, v122, v123
	s_delay_alu instid0(VALU_DEP_1) | instskip(NEXT) | instid1(VALU_DEP_1)
	v_fmac_f32_e32 v122, v123, v121
	v_div_scale_f32 v123, null, v122, v122, 1.0
	s_delay_alu instid0(VALU_DEP_1) | instskip(SKIP_1) | instid1(TRANS32_DEP_1)
	v_rcp_f32_e32 v129, v123
	v_nop
	v_fma_f32 v130, -v123, v129, 1.0
	s_delay_alu instid0(VALU_DEP_1) | instskip(SKIP_1) | instid1(VALU_DEP_1)
	v_fmac_f32_e32 v129, v130, v129
	v_div_scale_f32 v130, vcc_lo, 1.0, v122, 1.0
	v_mul_f32_e32 v131, v130, v129
	s_delay_alu instid0(VALU_DEP_1) | instskip(NEXT) | instid1(VALU_DEP_1)
	v_fma_f32 v132, -v123, v131, v130
	v_fmac_f32_e32 v131, v132, v129
	s_delay_alu instid0(VALU_DEP_1) | instskip(NEXT) | instid1(VALU_DEP_1)
	v_fma_f32 v123, -v123, v131, v130
	v_div_fmas_f32 v123, v123, v129, v131
	s_delay_alu instid0(VALU_DEP_1) | instskip(NEXT) | instid1(VALU_DEP_1)
	v_div_fixup_f32 v122, v123, v122, 1.0
	v_mul_f32_e64 v123, v121, -v122
.LBB112_135:
	s_or_b32 exec_lo, exec_lo, s1
.LBB112_136:
	s_delay_alu instid0(SALU_CYCLE_1) | instskip(NEXT) | instid1(SALU_CYCLE_1)
	s_or_b32 exec_lo, exec_lo, s0
	s_mov_b32 s0, exec_lo
	v_cmpx_ne_u32_e64 v128, v120
	s_xor_b32 s0, exec_lo, s0
	s_cbranch_execz .LBB112_142
; %bb.137:
	s_mov_b32 s1, exec_lo
	v_cmpx_eq_u32_e32 6, v128
	s_cbranch_execz .LBB112_141
; %bb.138:
	v_cmp_ne_u32_e32 vcc_lo, 6, v120
	s_xor_b32 s12, s16, -1
	s_delay_alu instid0(SALU_CYCLE_1) | instskip(NEXT) | instid1(SALU_CYCLE_1)
	s_and_b32 s13, s12, vcc_lo
	s_and_saveexec_b32 s12, s13
	s_cbranch_execz .LBB112_140
; %bb.139:
	v_ashrrev_i32_e32 v121, 31, v120
	s_delay_alu instid0(VALU_DEP_1)
	v_lshl_add_u64 v[128:129], v[120:121], 2, v[4:5]
	s_clause 0x1
	global_load_b32 v121, v[128:129], off
	global_load_b32 v127, v[4:5], off offset:24
	s_wait_loadcnt 0x1
	global_store_b32 v[4:5], v121, off offset:24
	s_wait_loadcnt 0x0
	global_store_b32 v[128:129], v127, off
.LBB112_140:
	s_wait_xcnt 0x0
	s_or_b32 exec_lo, exec_lo, s12
	v_dual_mov_b32 v128, v120 :: v_dual_mov_b32 v127, v120
.LBB112_141:
	s_or_b32 exec_lo, exec_lo, s1
.LBB112_142:
	s_and_not1_saveexec_b32 s0, s0
	s_cbranch_execz .LBB112_144
; %bb.143:
	v_mov_b32_e32 v128, 6
	ds_store_2addr_b64 v124, v[86:87], v[104:105] offset0:7 offset1:8
	ds_store_2addr_b64 v124, v[100:101], v[102:103] offset0:9 offset1:10
	;; [unrolled: 1-line block ×25, first 2 shown]
.LBB112_144:
	s_or_b32 exec_lo, exec_lo, s0
	s_delay_alu instid0(SALU_CYCLE_1)
	s_mov_b32 s0, exec_lo
	s_wait_storecnt_dscnt 0x0
	s_barrier_signal -1
	s_barrier_wait -1
	v_cmpx_lt_i32_e32 6, v128
	s_cbranch_execz .LBB112_146
; %bb.145:
	v_pk_mul_f32 v[130:131], v[122:123], v[88:89] op_sel:[1,1] op_sel_hi:[0,1]
	s_delay_alu instid0(VALU_DEP_1)
	v_pk_fma_f32 v[120:121], v[122:123], v[88:89], v[130:131] op_sel_hi:[1,0,1] neg_lo:[0,0,1] neg_hi:[0,0,1]
	v_pk_fma_f32 v[122:123], v[122:123], v[88:89], v[130:131] op_sel_hi:[1,0,1]
	ds_load_2addr_b64 v[130:133], v124 offset0:7 offset1:8
	v_dual_mov_b32 v88, v120 :: v_dual_mov_b32 v89, v123
	s_wait_dscnt 0x0
	v_pk_mul_f32 v[134:135], v[130:131], v[122:123] op_sel:[0,1]
	s_delay_alu instid0(VALU_DEP_1) | instskip(SKIP_1) | instid1(VALU_DEP_1)
	v_pk_fma_f32 v[136:137], v[130:131], v[120:121], v[134:135] op_sel:[0,0,1] op_sel_hi:[1,1,0] neg_lo:[0,0,1] neg_hi:[0,0,1]
	v_pk_fma_f32 v[130:131], v[130:131], v[120:121], v[134:135] op_sel:[0,0,1] op_sel_hi:[1,0,0]
	v_mov_b32_e32 v137, v131
	v_pk_mul_f32 v[130:131], v[132:133], v[122:123] op_sel:[0,1]
	s_delay_alu instid0(VALU_DEP_1) | instskip(SKIP_1) | instid1(VALU_DEP_1)
	v_pk_fma_f32 v[134:135], v[132:133], v[120:121], v[130:131] op_sel:[0,0,1] op_sel_hi:[1,1,0] neg_lo:[0,0,1] neg_hi:[0,0,1]
	v_pk_fma_f32 v[130:131], v[132:133], v[120:121], v[130:131] op_sel:[0,0,1] op_sel_hi:[1,0,0]
	v_mov_b32_e32 v135, v131
	ds_load_2addr_b64 v[130:133], v124 offset0:9 offset1:10
	v_pk_add_f32 v[86:87], v[86:87], v[136:137] neg_lo:[0,1] neg_hi:[0,1]
	v_pk_add_f32 v[104:105], v[104:105], v[134:135] neg_lo:[0,1] neg_hi:[0,1]
	s_wait_dscnt 0x0
	v_pk_mul_f32 v[134:135], v[130:131], v[122:123] op_sel:[0,1]
	s_delay_alu instid0(VALU_DEP_1) | instskip(SKIP_2) | instid1(VALU_DEP_2)
	v_pk_fma_f32 v[136:137], v[130:131], v[120:121], v[134:135] op_sel:[0,0,1] op_sel_hi:[1,1,0] neg_lo:[0,0,1] neg_hi:[0,0,1]
	v_pk_fma_f32 v[130:131], v[130:131], v[120:121], v[134:135] op_sel:[0,0,1] op_sel_hi:[1,0,0]
	v_dual_mul_f32 v134, v133, v123 :: v_dual_mov_b32 v130, v133
	v_dual_mov_b32 v137, v131 :: v_dual_mov_b32 v131, v132
	s_delay_alu instid0(VALU_DEP_2) | instskip(SKIP_1) | instid1(VALU_DEP_3)
	v_pk_fma_f32 v[134:135], v[132:133], v[88:89], v[134:135] op_sel_hi:[1,1,0] neg_lo:[0,0,1] neg_hi:[0,0,1]
	v_mul_f32_e32 v132, v133, v120
	v_pk_add_f32 v[100:101], v[100:101], v[136:137] neg_lo:[0,1] neg_hi:[0,1]
	s_delay_alu instid0(VALU_DEP_2) | instskip(NEXT) | instid1(VALU_DEP_1)
	v_pk_fma_f32 v[130:131], v[130:131], v[88:89], v[132:133] op_sel_hi:[1,1,0]
	v_mov_b32_e32 v135, v131
	ds_load_2addr_b64 v[130:133], v124 offset0:11 offset1:12
	v_pk_add_f32 v[102:103], v[102:103], v[134:135] neg_lo:[0,1] neg_hi:[0,1]
	s_wait_dscnt 0x0
	v_pk_mul_f32 v[134:135], v[130:131], v[122:123] op_sel:[0,1]
	s_delay_alu instid0(VALU_DEP_1) | instskip(SKIP_1) | instid1(VALU_DEP_1)
	v_pk_fma_f32 v[136:137], v[130:131], v[120:121], v[134:135] op_sel:[0,0,1] op_sel_hi:[1,1,0] neg_lo:[0,0,1] neg_hi:[0,0,1]
	v_pk_fma_f32 v[130:131], v[130:131], v[120:121], v[134:135] op_sel:[0,0,1] op_sel_hi:[1,0,0]
	v_mov_b32_e32 v137, v131
	v_pk_mul_f32 v[130:131], v[132:133], v[122:123] op_sel:[0,1]
	s_delay_alu instid0(VALU_DEP_1) | instskip(SKIP_1) | instid1(VALU_DEP_1)
	v_pk_fma_f32 v[134:135], v[132:133], v[120:121], v[130:131] op_sel:[0,0,1] op_sel_hi:[1,1,0] neg_lo:[0,0,1] neg_hi:[0,0,1]
	v_pk_fma_f32 v[130:131], v[132:133], v[120:121], v[130:131] op_sel:[0,0,1] op_sel_hi:[1,0,0]
	v_mov_b32_e32 v135, v131
	ds_load_2addr_b64 v[130:133], v124 offset0:13 offset1:14
	v_pk_add_f32 v[98:99], v[98:99], v[136:137] neg_lo:[0,1] neg_hi:[0,1]
	v_pk_add_f32 v[96:97], v[96:97], v[134:135] neg_lo:[0,1] neg_hi:[0,1]
	s_wait_dscnt 0x0
	v_pk_mul_f32 v[134:135], v[130:131], v[122:123] op_sel:[0,1]
	s_delay_alu instid0(VALU_DEP_1) | instskip(SKIP_1) | instid1(VALU_DEP_1)
	v_pk_fma_f32 v[136:137], v[130:131], v[120:121], v[134:135] op_sel:[0,0,1] op_sel_hi:[1,1,0] neg_lo:[0,0,1] neg_hi:[0,0,1]
	v_pk_fma_f32 v[130:131], v[130:131], v[120:121], v[134:135] op_sel:[0,0,1] op_sel_hi:[1,0,0]
	v_mov_b32_e32 v137, v131
	v_pk_mul_f32 v[130:131], v[132:133], v[122:123] op_sel:[0,1]
	s_delay_alu instid0(VALU_DEP_1) | instskip(SKIP_1) | instid1(VALU_DEP_1)
	v_pk_fma_f32 v[134:135], v[132:133], v[120:121], v[130:131] op_sel:[0,0,1] op_sel_hi:[1,1,0] neg_lo:[0,0,1] neg_hi:[0,0,1]
	v_pk_fma_f32 v[130:131], v[132:133], v[120:121], v[130:131] op_sel:[0,0,1] op_sel_hi:[1,0,0]
	v_mov_b32_e32 v135, v131
	ds_load_2addr_b64 v[130:133], v124 offset0:15 offset1:16
	v_pk_add_f32 v[92:93], v[92:93], v[136:137] neg_lo:[0,1] neg_hi:[0,1]
	v_pk_add_f32 v[94:95], v[94:95], v[134:135] neg_lo:[0,1] neg_hi:[0,1]
	s_wait_dscnt 0x0
	v_dual_mul_f32 v134, v131, v123 :: v_dual_mul_f32 v136, v131, v120
	s_delay_alu instid0(VALU_DEP_1) | instskip(NEXT) | instid1(VALU_DEP_2)
	v_pk_fma_f32 v[134:135], v[130:131], v[88:89], v[134:135] op_sel_hi:[1,1,0] neg_lo:[0,0,1] neg_hi:[0,0,1]
	v_pk_fma_f32 v[130:131], v[130:131], v[88:89], v[136:137] op_sel:[1,0,0] op_sel_hi:[0,1,0]
	s_delay_alu instid0(VALU_DEP_1) | instskip(SKIP_1) | instid1(VALU_DEP_2)
	v_mov_b32_e32 v135, v131
	v_pk_mul_f32 v[130:131], v[132:133], v[122:123] op_sel:[0,1]
	v_pk_add_f32 v[90:91], v[90:91], v[134:135] neg_lo:[0,1] neg_hi:[0,1]
	s_delay_alu instid0(VALU_DEP_2) | instskip(SKIP_1) | instid1(VALU_DEP_1)
	v_pk_fma_f32 v[134:135], v[132:133], v[120:121], v[130:131] op_sel:[0,0,1] op_sel_hi:[1,1,0] neg_lo:[0,0,1] neg_hi:[0,0,1]
	v_pk_fma_f32 v[130:131], v[132:133], v[120:121], v[130:131] op_sel:[0,0,1] op_sel_hi:[1,0,0]
	v_mov_b32_e32 v135, v131
	ds_load_2addr_b64 v[130:133], v124 offset0:17 offset1:18
	v_pk_add_f32 v[84:85], v[84:85], v[134:135] neg_lo:[0,1] neg_hi:[0,1]
	s_wait_dscnt 0x0
	v_pk_mul_f32 v[134:135], v[130:131], v[122:123] op_sel:[0,1]
	s_delay_alu instid0(VALU_DEP_1) | instskip(SKIP_1) | instid1(VALU_DEP_1)
	v_pk_fma_f32 v[136:137], v[130:131], v[120:121], v[134:135] op_sel:[0,0,1] op_sel_hi:[1,1,0] neg_lo:[0,0,1] neg_hi:[0,0,1]
	v_pk_fma_f32 v[130:131], v[130:131], v[120:121], v[134:135] op_sel:[0,0,1] op_sel_hi:[1,0,0]
	v_mov_b32_e32 v137, v131
	v_pk_mul_f32 v[130:131], v[132:133], v[122:123] op_sel:[0,1]
	s_delay_alu instid0(VALU_DEP_2) | instskip(NEXT) | instid1(VALU_DEP_2)
	v_pk_add_f32 v[80:81], v[80:81], v[136:137] neg_lo:[0,1] neg_hi:[0,1]
	v_pk_fma_f32 v[134:135], v[132:133], v[120:121], v[130:131] op_sel:[0,0,1] op_sel_hi:[1,1,0] neg_lo:[0,0,1] neg_hi:[0,0,1]
	v_pk_fma_f32 v[130:131], v[132:133], v[120:121], v[130:131] op_sel:[0,0,1] op_sel_hi:[1,0,0]
	s_delay_alu instid0(VALU_DEP_1) | instskip(SKIP_4) | instid1(VALU_DEP_1)
	v_mov_b32_e32 v135, v131
	ds_load_2addr_b64 v[130:133], v124 offset0:19 offset1:20
	v_pk_add_f32 v[82:83], v[82:83], v[134:135] neg_lo:[0,1] neg_hi:[0,1]
	s_wait_dscnt 0x0
	v_pk_mul_f32 v[134:135], v[130:131], v[122:123] op_sel:[0,1]
	v_pk_fma_f32 v[136:137], v[130:131], v[120:121], v[134:135] op_sel:[0,0,1] op_sel_hi:[1,1,0] neg_lo:[0,0,1] neg_hi:[0,0,1]
	v_pk_fma_f32 v[130:131], v[130:131], v[120:121], v[134:135] op_sel:[0,0,1] op_sel_hi:[1,0,0]
	v_dual_mul_f32 v134, v133, v123 :: v_dual_mov_b32 v130, v133
	s_delay_alu instid0(VALU_DEP_2) | instskip(NEXT) | instid1(VALU_DEP_2)
	v_dual_mov_b32 v137, v131 :: v_dual_mov_b32 v131, v132
	v_pk_fma_f32 v[134:135], v[132:133], v[88:89], v[134:135] op_sel_hi:[1,1,0] neg_lo:[0,0,1] neg_hi:[0,0,1]
	v_mul_f32_e32 v132, v133, v120
	s_delay_alu instid0(VALU_DEP_3) | instskip(NEXT) | instid1(VALU_DEP_2)
	v_pk_add_f32 v[78:79], v[78:79], v[136:137] neg_lo:[0,1] neg_hi:[0,1]
	v_pk_fma_f32 v[130:131], v[130:131], v[88:89], v[132:133] op_sel_hi:[1,1,0]
	s_delay_alu instid0(VALU_DEP_1) | instskip(SKIP_4) | instid1(VALU_DEP_1)
	v_mov_b32_e32 v135, v131
	ds_load_2addr_b64 v[130:133], v124 offset0:21 offset1:22
	v_pk_add_f32 v[76:77], v[76:77], v[134:135] neg_lo:[0,1] neg_hi:[0,1]
	s_wait_dscnt 0x0
	v_pk_mul_f32 v[134:135], v[130:131], v[122:123] op_sel:[0,1]
	v_pk_fma_f32 v[136:137], v[130:131], v[120:121], v[134:135] op_sel:[0,0,1] op_sel_hi:[1,1,0] neg_lo:[0,0,1] neg_hi:[0,0,1]
	v_pk_fma_f32 v[130:131], v[130:131], v[120:121], v[134:135] op_sel:[0,0,1] op_sel_hi:[1,0,0]
	s_delay_alu instid0(VALU_DEP_1) | instskip(SKIP_1) | instid1(VALU_DEP_1)
	v_mov_b32_e32 v137, v131
	v_pk_mul_f32 v[130:131], v[132:133], v[122:123] op_sel:[0,1]
	v_pk_fma_f32 v[134:135], v[132:133], v[120:121], v[130:131] op_sel:[0,0,1] op_sel_hi:[1,1,0] neg_lo:[0,0,1] neg_hi:[0,0,1]
	v_pk_fma_f32 v[130:131], v[132:133], v[120:121], v[130:131] op_sel:[0,0,1] op_sel_hi:[1,0,0]
	s_delay_alu instid0(VALU_DEP_1)
	v_mov_b32_e32 v135, v131
	ds_load_2addr_b64 v[130:133], v124 offset0:23 offset1:24
	v_pk_add_f32 v[72:73], v[72:73], v[136:137] neg_lo:[0,1] neg_hi:[0,1]
	v_pk_add_f32 v[74:75], v[74:75], v[134:135] neg_lo:[0,1] neg_hi:[0,1]
	s_wait_dscnt 0x0
	v_pk_mul_f32 v[134:135], v[130:131], v[122:123] op_sel:[0,1]
	s_delay_alu instid0(VALU_DEP_1) | instskip(SKIP_1) | instid1(VALU_DEP_1)
	v_pk_fma_f32 v[136:137], v[130:131], v[120:121], v[134:135] op_sel:[0,0,1] op_sel_hi:[1,1,0] neg_lo:[0,0,1] neg_hi:[0,0,1]
	v_pk_fma_f32 v[130:131], v[130:131], v[120:121], v[134:135] op_sel:[0,0,1] op_sel_hi:[1,0,0]
	v_mov_b32_e32 v137, v131
	v_pk_mul_f32 v[130:131], v[132:133], v[122:123] op_sel:[0,1]
	s_delay_alu instid0(VALU_DEP_1) | instskip(SKIP_1) | instid1(VALU_DEP_1)
	v_pk_fma_f32 v[134:135], v[132:133], v[120:121], v[130:131] op_sel:[0,0,1] op_sel_hi:[1,1,0] neg_lo:[0,0,1] neg_hi:[0,0,1]
	v_pk_fma_f32 v[130:131], v[132:133], v[120:121], v[130:131] op_sel:[0,0,1] op_sel_hi:[1,0,0]
	v_mov_b32_e32 v135, v131
	ds_load_2addr_b64 v[130:133], v124 offset0:25 offset1:26
	v_pk_add_f32 v[70:71], v[70:71], v[136:137] neg_lo:[0,1] neg_hi:[0,1]
	v_pk_add_f32 v[68:69], v[68:69], v[134:135] neg_lo:[0,1] neg_hi:[0,1]
	s_wait_dscnt 0x0
	v_dual_mul_f32 v134, v131, v123 :: v_dual_mul_f32 v136, v131, v120
	s_delay_alu instid0(VALU_DEP_1) | instskip(NEXT) | instid1(VALU_DEP_2)
	v_pk_fma_f32 v[134:135], v[130:131], v[88:89], v[134:135] op_sel_hi:[1,1,0] neg_lo:[0,0,1] neg_hi:[0,0,1]
	v_pk_fma_f32 v[130:131], v[130:131], v[88:89], v[136:137] op_sel:[1,0,0] op_sel_hi:[0,1,0]
	s_delay_alu instid0(VALU_DEP_1) | instskip(SKIP_1) | instid1(VALU_DEP_2)
	v_mov_b32_e32 v135, v131
	v_pk_mul_f32 v[130:131], v[132:133], v[122:123] op_sel:[0,1]
	v_pk_add_f32 v[64:65], v[64:65], v[134:135] neg_lo:[0,1] neg_hi:[0,1]
	s_delay_alu instid0(VALU_DEP_2) | instskip(SKIP_1) | instid1(VALU_DEP_1)
	v_pk_fma_f32 v[134:135], v[132:133], v[120:121], v[130:131] op_sel:[0,0,1] op_sel_hi:[1,1,0] neg_lo:[0,0,1] neg_hi:[0,0,1]
	v_pk_fma_f32 v[130:131], v[132:133], v[120:121], v[130:131] op_sel:[0,0,1] op_sel_hi:[1,0,0]
	v_mov_b32_e32 v135, v131
	ds_load_2addr_b64 v[130:133], v124 offset0:27 offset1:28
	v_pk_add_f32 v[66:67], v[66:67], v[134:135] neg_lo:[0,1] neg_hi:[0,1]
	s_wait_dscnt 0x0
	v_pk_mul_f32 v[134:135], v[130:131], v[122:123] op_sel:[0,1]
	s_delay_alu instid0(VALU_DEP_1) | instskip(SKIP_1) | instid1(VALU_DEP_1)
	v_pk_fma_f32 v[136:137], v[130:131], v[120:121], v[134:135] op_sel:[0,0,1] op_sel_hi:[1,1,0] neg_lo:[0,0,1] neg_hi:[0,0,1]
	v_pk_fma_f32 v[130:131], v[130:131], v[120:121], v[134:135] op_sel:[0,0,1] op_sel_hi:[1,0,0]
	v_mov_b32_e32 v137, v131
	v_pk_mul_f32 v[130:131], v[132:133], v[122:123] op_sel:[0,1]
	s_delay_alu instid0(VALU_DEP_2) | instskip(NEXT) | instid1(VALU_DEP_2)
	v_pk_add_f32 v[62:63], v[62:63], v[136:137] neg_lo:[0,1] neg_hi:[0,1]
	v_pk_fma_f32 v[134:135], v[132:133], v[120:121], v[130:131] op_sel:[0,0,1] op_sel_hi:[1,1,0] neg_lo:[0,0,1] neg_hi:[0,0,1]
	v_pk_fma_f32 v[130:131], v[132:133], v[120:121], v[130:131] op_sel:[0,0,1] op_sel_hi:[1,0,0]
	s_delay_alu instid0(VALU_DEP_1) | instskip(SKIP_4) | instid1(VALU_DEP_1)
	v_mov_b32_e32 v135, v131
	ds_load_2addr_b64 v[130:133], v124 offset0:29 offset1:30
	v_pk_add_f32 v[60:61], v[60:61], v[134:135] neg_lo:[0,1] neg_hi:[0,1]
	s_wait_dscnt 0x0
	v_pk_mul_f32 v[134:135], v[130:131], v[122:123] op_sel:[0,1]
	v_pk_fma_f32 v[136:137], v[130:131], v[120:121], v[134:135] op_sel:[0,0,1] op_sel_hi:[1,1,0] neg_lo:[0,0,1] neg_hi:[0,0,1]
	v_pk_fma_f32 v[130:131], v[130:131], v[120:121], v[134:135] op_sel:[0,0,1] op_sel_hi:[1,0,0]
	v_dual_mul_f32 v134, v133, v123 :: v_dual_mov_b32 v130, v133
	s_delay_alu instid0(VALU_DEP_2) | instskip(NEXT) | instid1(VALU_DEP_2)
	v_dual_mov_b32 v137, v131 :: v_dual_mov_b32 v131, v132
	v_pk_fma_f32 v[134:135], v[132:133], v[88:89], v[134:135] op_sel_hi:[1,1,0] neg_lo:[0,0,1] neg_hi:[0,0,1]
	v_mul_f32_e32 v132, v133, v120
	s_delay_alu instid0(VALU_DEP_3) | instskip(NEXT) | instid1(VALU_DEP_2)
	v_pk_add_f32 v[56:57], v[56:57], v[136:137] neg_lo:[0,1] neg_hi:[0,1]
	v_pk_fma_f32 v[130:131], v[130:131], v[88:89], v[132:133] op_sel_hi:[1,1,0]
	s_delay_alu instid0(VALU_DEP_1) | instskip(SKIP_4) | instid1(VALU_DEP_1)
	v_mov_b32_e32 v135, v131
	ds_load_2addr_b64 v[130:133], v124 offset0:31 offset1:32
	v_pk_add_f32 v[58:59], v[58:59], v[134:135] neg_lo:[0,1] neg_hi:[0,1]
	s_wait_dscnt 0x0
	v_pk_mul_f32 v[134:135], v[130:131], v[122:123] op_sel:[0,1]
	v_pk_fma_f32 v[136:137], v[130:131], v[120:121], v[134:135] op_sel:[0,0,1] op_sel_hi:[1,1,0] neg_lo:[0,0,1] neg_hi:[0,0,1]
	v_pk_fma_f32 v[130:131], v[130:131], v[120:121], v[134:135] op_sel:[0,0,1] op_sel_hi:[1,0,0]
	s_delay_alu instid0(VALU_DEP_1) | instskip(SKIP_1) | instid1(VALU_DEP_1)
	v_mov_b32_e32 v137, v131
	v_pk_mul_f32 v[130:131], v[132:133], v[122:123] op_sel:[0,1]
	v_pk_fma_f32 v[134:135], v[132:133], v[120:121], v[130:131] op_sel:[0,0,1] op_sel_hi:[1,1,0] neg_lo:[0,0,1] neg_hi:[0,0,1]
	v_pk_fma_f32 v[130:131], v[132:133], v[120:121], v[130:131] op_sel:[0,0,1] op_sel_hi:[1,0,0]
	s_delay_alu instid0(VALU_DEP_1)
	v_mov_b32_e32 v135, v131
	ds_load_2addr_b64 v[130:133], v124 offset0:33 offset1:34
	v_pk_add_f32 v[54:55], v[54:55], v[136:137] neg_lo:[0,1] neg_hi:[0,1]
	v_pk_add_f32 v[52:53], v[52:53], v[134:135] neg_lo:[0,1] neg_hi:[0,1]
	s_wait_dscnt 0x0
	v_pk_mul_f32 v[134:135], v[130:131], v[122:123] op_sel:[0,1]
	s_delay_alu instid0(VALU_DEP_1) | instskip(SKIP_1) | instid1(VALU_DEP_1)
	v_pk_fma_f32 v[136:137], v[130:131], v[120:121], v[134:135] op_sel:[0,0,1] op_sel_hi:[1,1,0] neg_lo:[0,0,1] neg_hi:[0,0,1]
	v_pk_fma_f32 v[130:131], v[130:131], v[120:121], v[134:135] op_sel:[0,0,1] op_sel_hi:[1,0,0]
	v_mov_b32_e32 v137, v131
	v_pk_mul_f32 v[130:131], v[132:133], v[122:123] op_sel:[0,1]
	s_delay_alu instid0(VALU_DEP_1) | instskip(SKIP_1) | instid1(VALU_DEP_1)
	v_pk_fma_f32 v[134:135], v[132:133], v[120:121], v[130:131] op_sel:[0,0,1] op_sel_hi:[1,1,0] neg_lo:[0,0,1] neg_hi:[0,0,1]
	v_pk_fma_f32 v[130:131], v[132:133], v[120:121], v[130:131] op_sel:[0,0,1] op_sel_hi:[1,0,0]
	v_mov_b32_e32 v135, v131
	ds_load_2addr_b64 v[130:133], v124 offset0:35 offset1:36
	v_pk_add_f32 v[48:49], v[48:49], v[136:137] neg_lo:[0,1] neg_hi:[0,1]
	v_pk_add_f32 v[50:51], v[50:51], v[134:135] neg_lo:[0,1] neg_hi:[0,1]
	s_wait_dscnt 0x0
	v_dual_mul_f32 v134, v131, v123 :: v_dual_mul_f32 v136, v131, v120
	s_delay_alu instid0(VALU_DEP_1) | instskip(NEXT) | instid1(VALU_DEP_2)
	v_pk_fma_f32 v[134:135], v[130:131], v[88:89], v[134:135] op_sel_hi:[1,1,0] neg_lo:[0,0,1] neg_hi:[0,0,1]
	v_pk_fma_f32 v[130:131], v[130:131], v[88:89], v[136:137] op_sel:[1,0,0] op_sel_hi:[0,1,0]
	s_delay_alu instid0(VALU_DEP_1) | instskip(SKIP_1) | instid1(VALU_DEP_2)
	v_mov_b32_e32 v135, v131
	v_pk_mul_f32 v[130:131], v[132:133], v[122:123] op_sel:[0,1]
	v_pk_add_f32 v[46:47], v[46:47], v[134:135] neg_lo:[0,1] neg_hi:[0,1]
	s_delay_alu instid0(VALU_DEP_2) | instskip(SKIP_1) | instid1(VALU_DEP_1)
	v_pk_fma_f32 v[134:135], v[132:133], v[120:121], v[130:131] op_sel:[0,0,1] op_sel_hi:[1,1,0] neg_lo:[0,0,1] neg_hi:[0,0,1]
	v_pk_fma_f32 v[130:131], v[132:133], v[120:121], v[130:131] op_sel:[0,0,1] op_sel_hi:[1,0,0]
	v_mov_b32_e32 v135, v131
	ds_load_2addr_b64 v[130:133], v124 offset0:37 offset1:38
	v_pk_add_f32 v[44:45], v[44:45], v[134:135] neg_lo:[0,1] neg_hi:[0,1]
	s_wait_dscnt 0x0
	v_pk_mul_f32 v[134:135], v[130:131], v[122:123] op_sel:[0,1]
	s_delay_alu instid0(VALU_DEP_1) | instskip(SKIP_1) | instid1(VALU_DEP_1)
	v_pk_fma_f32 v[136:137], v[130:131], v[120:121], v[134:135] op_sel:[0,0,1] op_sel_hi:[1,1,0] neg_lo:[0,0,1] neg_hi:[0,0,1]
	v_pk_fma_f32 v[130:131], v[130:131], v[120:121], v[134:135] op_sel:[0,0,1] op_sel_hi:[1,0,0]
	v_mov_b32_e32 v137, v131
	v_pk_mul_f32 v[130:131], v[132:133], v[122:123] op_sel:[0,1]
	s_delay_alu instid0(VALU_DEP_2) | instskip(NEXT) | instid1(VALU_DEP_2)
	v_pk_add_f32 v[40:41], v[40:41], v[136:137] neg_lo:[0,1] neg_hi:[0,1]
	v_pk_fma_f32 v[134:135], v[132:133], v[120:121], v[130:131] op_sel:[0,0,1] op_sel_hi:[1,1,0] neg_lo:[0,0,1] neg_hi:[0,0,1]
	v_pk_fma_f32 v[130:131], v[132:133], v[120:121], v[130:131] op_sel:[0,0,1] op_sel_hi:[1,0,0]
	s_delay_alu instid0(VALU_DEP_1) | instskip(SKIP_4) | instid1(VALU_DEP_1)
	v_mov_b32_e32 v135, v131
	ds_load_2addr_b64 v[130:133], v124 offset0:39 offset1:40
	v_pk_add_f32 v[42:43], v[42:43], v[134:135] neg_lo:[0,1] neg_hi:[0,1]
	s_wait_dscnt 0x0
	v_pk_mul_f32 v[134:135], v[130:131], v[122:123] op_sel:[0,1]
	v_pk_fma_f32 v[136:137], v[130:131], v[120:121], v[134:135] op_sel:[0,0,1] op_sel_hi:[1,1,0] neg_lo:[0,0,1] neg_hi:[0,0,1]
	v_pk_fma_f32 v[130:131], v[130:131], v[120:121], v[134:135] op_sel:[0,0,1] op_sel_hi:[1,0,0]
	v_dual_mul_f32 v134, v133, v123 :: v_dual_mov_b32 v130, v133
	s_delay_alu instid0(VALU_DEP_2) | instskip(NEXT) | instid1(VALU_DEP_2)
	v_dual_mov_b32 v137, v131 :: v_dual_mov_b32 v131, v132
	v_pk_fma_f32 v[134:135], v[132:133], v[88:89], v[134:135] op_sel_hi:[1,1,0] neg_lo:[0,0,1] neg_hi:[0,0,1]
	v_mul_f32_e32 v132, v133, v120
	s_delay_alu instid0(VALU_DEP_3) | instskip(NEXT) | instid1(VALU_DEP_2)
	v_pk_add_f32 v[38:39], v[38:39], v[136:137] neg_lo:[0,1] neg_hi:[0,1]
	v_pk_fma_f32 v[130:131], v[130:131], v[88:89], v[132:133] op_sel_hi:[1,1,0]
	s_delay_alu instid0(VALU_DEP_1) | instskip(SKIP_4) | instid1(VALU_DEP_1)
	v_mov_b32_e32 v135, v131
	ds_load_2addr_b64 v[130:133], v124 offset0:41 offset1:42
	v_pk_add_f32 v[36:37], v[36:37], v[134:135] neg_lo:[0,1] neg_hi:[0,1]
	s_wait_dscnt 0x0
	v_pk_mul_f32 v[134:135], v[130:131], v[122:123] op_sel:[0,1]
	v_pk_fma_f32 v[136:137], v[130:131], v[120:121], v[134:135] op_sel:[0,0,1] op_sel_hi:[1,1,0] neg_lo:[0,0,1] neg_hi:[0,0,1]
	v_pk_fma_f32 v[130:131], v[130:131], v[120:121], v[134:135] op_sel:[0,0,1] op_sel_hi:[1,0,0]
	s_delay_alu instid0(VALU_DEP_1) | instskip(SKIP_1) | instid1(VALU_DEP_1)
	v_mov_b32_e32 v137, v131
	v_pk_mul_f32 v[130:131], v[132:133], v[122:123] op_sel:[0,1]
	v_pk_fma_f32 v[134:135], v[132:133], v[120:121], v[130:131] op_sel:[0,0,1] op_sel_hi:[1,1,0] neg_lo:[0,0,1] neg_hi:[0,0,1]
	v_pk_fma_f32 v[130:131], v[132:133], v[120:121], v[130:131] op_sel:[0,0,1] op_sel_hi:[1,0,0]
	s_delay_alu instid0(VALU_DEP_1)
	v_mov_b32_e32 v135, v131
	ds_load_2addr_b64 v[130:133], v124 offset0:43 offset1:44
	v_pk_add_f32 v[32:33], v[32:33], v[136:137] neg_lo:[0,1] neg_hi:[0,1]
	v_pk_add_f32 v[34:35], v[34:35], v[134:135] neg_lo:[0,1] neg_hi:[0,1]
	s_wait_dscnt 0x0
	v_pk_mul_f32 v[134:135], v[130:131], v[122:123] op_sel:[0,1]
	s_delay_alu instid0(VALU_DEP_1) | instskip(SKIP_1) | instid1(VALU_DEP_1)
	v_pk_fma_f32 v[136:137], v[130:131], v[120:121], v[134:135] op_sel:[0,0,1] op_sel_hi:[1,1,0] neg_lo:[0,0,1] neg_hi:[0,0,1]
	v_pk_fma_f32 v[130:131], v[130:131], v[120:121], v[134:135] op_sel:[0,0,1] op_sel_hi:[1,0,0]
	v_mov_b32_e32 v137, v131
	v_pk_mul_f32 v[130:131], v[132:133], v[122:123] op_sel:[0,1]
	s_delay_alu instid0(VALU_DEP_1) | instskip(SKIP_1) | instid1(VALU_DEP_1)
	v_pk_fma_f32 v[134:135], v[132:133], v[120:121], v[130:131] op_sel:[0,0,1] op_sel_hi:[1,1,0] neg_lo:[0,0,1] neg_hi:[0,0,1]
	v_pk_fma_f32 v[130:131], v[132:133], v[120:121], v[130:131] op_sel:[0,0,1] op_sel_hi:[1,0,0]
	v_mov_b32_e32 v135, v131
	ds_load_2addr_b64 v[130:133], v124 offset0:45 offset1:46
	v_pk_add_f32 v[30:31], v[30:31], v[136:137] neg_lo:[0,1] neg_hi:[0,1]
	v_pk_add_f32 v[26:27], v[26:27], v[134:135] neg_lo:[0,1] neg_hi:[0,1]
	s_wait_dscnt 0x0
	v_dual_mul_f32 v134, v131, v123 :: v_dual_mul_f32 v136, v131, v120
	s_delay_alu instid0(VALU_DEP_1) | instskip(NEXT) | instid1(VALU_DEP_2)
	v_pk_fma_f32 v[134:135], v[130:131], v[88:89], v[134:135] op_sel_hi:[1,1,0] neg_lo:[0,0,1] neg_hi:[0,0,1]
	v_pk_fma_f32 v[130:131], v[130:131], v[88:89], v[136:137] op_sel:[1,0,0] op_sel_hi:[0,1,0]
	s_delay_alu instid0(VALU_DEP_1) | instskip(SKIP_1) | instid1(VALU_DEP_2)
	v_mov_b32_e32 v135, v131
	v_pk_mul_f32 v[130:131], v[132:133], v[122:123] op_sel:[0,1]
	v_pk_add_f32 v[22:23], v[22:23], v[134:135] neg_lo:[0,1] neg_hi:[0,1]
	s_delay_alu instid0(VALU_DEP_2) | instskip(SKIP_1) | instid1(VALU_DEP_1)
	v_pk_fma_f32 v[134:135], v[132:133], v[120:121], v[130:131] op_sel:[0,0,1] op_sel_hi:[1,1,0] neg_lo:[0,0,1] neg_hi:[0,0,1]
	v_pk_fma_f32 v[130:131], v[132:133], v[120:121], v[130:131] op_sel:[0,0,1] op_sel_hi:[1,0,0]
	v_mov_b32_e32 v135, v131
	ds_load_2addr_b64 v[130:133], v124 offset0:47 offset1:48
	v_pk_add_f32 v[24:25], v[24:25], v[134:135] neg_lo:[0,1] neg_hi:[0,1]
	s_wait_dscnt 0x0
	v_pk_mul_f32 v[134:135], v[130:131], v[122:123] op_sel:[0,1]
	s_delay_alu instid0(VALU_DEP_1) | instskip(SKIP_1) | instid1(VALU_DEP_1)
	v_pk_fma_f32 v[136:137], v[130:131], v[120:121], v[134:135] op_sel:[0,0,1] op_sel_hi:[1,1,0] neg_lo:[0,0,1] neg_hi:[0,0,1]
	v_pk_fma_f32 v[130:131], v[130:131], v[120:121], v[134:135] op_sel:[0,0,1] op_sel_hi:[1,0,0]
	v_mov_b32_e32 v137, v131
	v_pk_mul_f32 v[130:131], v[132:133], v[122:123] op_sel:[0,1]
	s_delay_alu instid0(VALU_DEP_2) | instskip(NEXT) | instid1(VALU_DEP_2)
	v_pk_add_f32 v[20:21], v[20:21], v[136:137] neg_lo:[0,1] neg_hi:[0,1]
	v_pk_fma_f32 v[134:135], v[132:133], v[120:121], v[130:131] op_sel:[0,0,1] op_sel_hi:[1,1,0] neg_lo:[0,0,1] neg_hi:[0,0,1]
	v_pk_fma_f32 v[130:131], v[132:133], v[120:121], v[130:131] op_sel:[0,0,1] op_sel_hi:[1,0,0]
	s_delay_alu instid0(VALU_DEP_1) | instskip(SKIP_4) | instid1(VALU_DEP_1)
	v_mov_b32_e32 v135, v131
	ds_load_2addr_b64 v[130:133], v124 offset0:49 offset1:50
	v_pk_add_f32 v[14:15], v[14:15], v[134:135] neg_lo:[0,1] neg_hi:[0,1]
	s_wait_dscnt 0x0
	v_pk_mul_f32 v[134:135], v[130:131], v[122:123] op_sel:[0,1]
	v_pk_fma_f32 v[136:137], v[130:131], v[120:121], v[134:135] op_sel:[0,0,1] op_sel_hi:[1,1,0] neg_lo:[0,0,1] neg_hi:[0,0,1]
	v_pk_fma_f32 v[130:131], v[130:131], v[120:121], v[134:135] op_sel:[0,0,1] op_sel_hi:[1,0,0]
	v_dual_mul_f32 v134, v133, v123 :: v_dual_mov_b32 v130, v133
	s_delay_alu instid0(VALU_DEP_2) | instskip(NEXT) | instid1(VALU_DEP_2)
	v_dual_mov_b32 v137, v131 :: v_dual_mov_b32 v131, v132
	v_pk_fma_f32 v[134:135], v[132:133], v[88:89], v[134:135] op_sel_hi:[1,1,0] neg_lo:[0,0,1] neg_hi:[0,0,1]
	v_mul_f32_e32 v132, v133, v120
	s_delay_alu instid0(VALU_DEP_3) | instskip(NEXT) | instid1(VALU_DEP_2)
	v_pk_add_f32 v[10:11], v[10:11], v[136:137] neg_lo:[0,1] neg_hi:[0,1]
	v_pk_fma_f32 v[130:131], v[130:131], v[88:89], v[132:133] op_sel_hi:[1,1,0]
	s_delay_alu instid0(VALU_DEP_1) | instskip(SKIP_4) | instid1(VALU_DEP_1)
	v_mov_b32_e32 v135, v131
	ds_load_2addr_b64 v[130:133], v124 offset0:51 offset1:52
	v_pk_add_f32 v[12:13], v[12:13], v[134:135] neg_lo:[0,1] neg_hi:[0,1]
	s_wait_dscnt 0x0
	v_pk_mul_f32 v[134:135], v[130:131], v[122:123] op_sel:[0,1]
	v_pk_fma_f32 v[136:137], v[130:131], v[120:121], v[134:135] op_sel:[0,0,1] op_sel_hi:[1,1,0] neg_lo:[0,0,1] neg_hi:[0,0,1]
	v_pk_fma_f32 v[130:131], v[130:131], v[120:121], v[134:135] op_sel:[0,0,1] op_sel_hi:[1,0,0]
	s_delay_alu instid0(VALU_DEP_1) | instskip(SKIP_1) | instid1(VALU_DEP_1)
	v_mov_b32_e32 v137, v131
	v_pk_mul_f32 v[130:131], v[132:133], v[122:123] op_sel:[0,1]
	v_pk_fma_f32 v[134:135], v[132:133], v[120:121], v[130:131] op_sel:[0,0,1] op_sel_hi:[1,1,0] neg_lo:[0,0,1] neg_hi:[0,0,1]
	v_pk_fma_f32 v[130:131], v[132:133], v[120:121], v[130:131] op_sel:[0,0,1] op_sel_hi:[1,0,0]
	s_delay_alu instid0(VALU_DEP_1)
	v_mov_b32_e32 v135, v131
	ds_load_2addr_b64 v[130:133], v124 offset0:53 offset1:54
	v_pk_add_f32 v[8:9], v[8:9], v[136:137] neg_lo:[0,1] neg_hi:[0,1]
	v_pk_add_f32 v[6:7], v[6:7], v[134:135] neg_lo:[0,1] neg_hi:[0,1]
	s_wait_dscnt 0x0
	v_pk_mul_f32 v[134:135], v[130:131], v[122:123] op_sel:[0,1]
	s_delay_alu instid0(VALU_DEP_1) | instskip(SKIP_1) | instid1(VALU_DEP_1)
	v_pk_fma_f32 v[136:137], v[130:131], v[120:121], v[134:135] op_sel:[0,0,1] op_sel_hi:[1,1,0] neg_lo:[0,0,1] neg_hi:[0,0,1]
	v_pk_fma_f32 v[130:131], v[130:131], v[120:121], v[134:135] op_sel:[0,0,1] op_sel_hi:[1,0,0]
	v_mov_b32_e32 v137, v131
	v_pk_mul_f32 v[130:131], v[132:133], v[122:123] op_sel:[0,1]
	s_delay_alu instid0(VALU_DEP_1) | instskip(SKIP_1) | instid1(VALU_DEP_1)
	v_pk_fma_f32 v[134:135], v[132:133], v[120:121], v[130:131] op_sel:[0,0,1] op_sel_hi:[1,1,0] neg_lo:[0,0,1] neg_hi:[0,0,1]
	v_pk_fma_f32 v[130:131], v[132:133], v[120:121], v[130:131] op_sel:[0,0,1] op_sel_hi:[1,0,0]
	v_mov_b32_e32 v135, v131
	ds_load_2addr_b64 v[130:133], v124 offset0:55 offset1:56
	v_pk_add_f32 v[28:29], v[28:29], v[136:137] neg_lo:[0,1] neg_hi:[0,1]
	v_pk_add_f32 v[18:19], v[18:19], v[134:135] neg_lo:[0,1] neg_hi:[0,1]
	s_wait_dscnt 0x0
	v_dual_mul_f32 v134, v131, v123 :: v_dual_mul_f32 v136, v131, v120
	v_pk_mul_f32 v[122:123], v[132:133], v[122:123] op_sel:[0,1]
	s_delay_alu instid0(VALU_DEP_2) | instskip(NEXT) | instid1(VALU_DEP_3)
	v_pk_fma_f32 v[134:135], v[130:131], v[88:89], v[134:135] op_sel_hi:[1,1,0] neg_lo:[0,0,1] neg_hi:[0,0,1]
	v_pk_fma_f32 v[130:131], v[130:131], v[88:89], v[136:137] op_sel:[1,0,0] op_sel_hi:[0,1,0]
	s_delay_alu instid0(VALU_DEP_1) | instskip(NEXT) | instid1(VALU_DEP_4)
	v_mov_b32_e32 v135, v131
	v_pk_fma_f32 v[130:131], v[132:133], v[120:121], v[122:123] op_sel:[0,0,1] op_sel_hi:[1,1,0] neg_lo:[0,0,1] neg_hi:[0,0,1]
	v_pk_fma_f32 v[120:121], v[132:133], v[120:121], v[122:123] op_sel:[0,0,1] op_sel_hi:[1,0,0]
	s_delay_alu instid0(VALU_DEP_1) | instskip(NEXT) | instid1(VALU_DEP_4)
	v_mov_b32_e32 v131, v121
	v_pk_add_f32 v[16:17], v[16:17], v[134:135] neg_lo:[0,1] neg_hi:[0,1]
	s_delay_alu instid0(VALU_DEP_2)
	v_pk_add_f32 v[118:119], v[118:119], v[130:131] neg_lo:[0,1] neg_hi:[0,1]
.LBB112_146:
	s_or_b32 exec_lo, exec_lo, s0
	v_lshl_add_u32 v120, v128, 3, v124
	s_barrier_signal -1
	s_barrier_wait -1
	ds_store_b64 v120, v[86:87]
	s_wait_dscnt 0x0
	s_barrier_signal -1
	s_barrier_wait -1
	ds_load_b64 v[122:123], v124 offset:56
	v_mov_b32_e32 v120, 7
	s_cmp_lt_i32 s18, 9
	s_cbranch_scc1 .LBB112_149
; %bb.147:
	v_add3_u32 v121, v125, 0, 64
	v_mov_b32_e32 v120, 7
	s_mov_b32 s0, 8
.LBB112_148:                            ; =>This Inner Loop Header: Depth=1
	ds_load_b64 v[130:131], v121
	s_wait_dscnt 0x1
	v_cmp_gt_f32_e32 vcc_lo, 0, v122
	v_cndmask_b32_e64 v132, v122, -v122, vcc_lo
	v_cmp_gt_f32_e32 vcc_lo, 0, v123
	v_cndmask_b32_e64 v134, v123, -v123, vcc_lo
	s_wait_dscnt 0x0
	v_cmp_gt_f32_e32 vcc_lo, 0, v130
	v_cndmask_b32_e64 v133, v130, -v130, vcc_lo
	v_cmp_gt_f32_e32 vcc_lo, 0, v131
	v_cndmask_b32_e64 v135, v131, -v131, vcc_lo
	s_delay_alu instid0(VALU_DEP_1) | instskip(NEXT) | instid1(VALU_DEP_1)
	v_pk_add_f32 v[132:133], v[132:133], v[134:135]
	v_cmp_lt_f32_e32 vcc_lo, v132, v133
	v_dual_add_nc_u32 v121, 8, v121 :: v_dual_cndmask_b32 v123, v123, v131, vcc_lo
	v_cndmask_b32_e32 v122, v122, v130, vcc_lo
	v_cndmask_b32_e64 v120, v120, s0, vcc_lo
	s_add_co_i32 s0, s0, 1
	s_delay_alu instid0(SALU_CYCLE_1)
	s_cmp_lg_u32 s18, s0
	s_cbranch_scc1 .LBB112_148
.LBB112_149:
	s_wait_dscnt 0x0
	v_cmp_eq_f32_e32 vcc_lo, 0, v122
	v_cmp_eq_f32_e64 s0, 0, v123
	s_and_b32 s0, vcc_lo, s0
	s_delay_alu instid0(SALU_CYCLE_1) | instskip(NEXT) | instid1(SALU_CYCLE_1)
	s_and_saveexec_b32 s1, s0
	s_xor_b32 s0, exec_lo, s1
; %bb.150:
	v_cmp_ne_u32_e32 vcc_lo, 0, v126
	v_cndmask_b32_e32 v126, 8, v126, vcc_lo
; %bb.151:
	s_and_not1_saveexec_b32 s0, s0
	s_cbranch_execz .LBB112_157
; %bb.152:
	v_cmp_ngt_f32_e64 s1, |v122|, |v123|
	s_and_saveexec_b32 s12, s1
	s_delay_alu instid0(SALU_CYCLE_1)
	s_xor_b32 s1, exec_lo, s12
	s_cbranch_execz .LBB112_154
; %bb.153:
	v_div_scale_f32 v121, null, v123, v123, v122
	v_div_scale_f32 v131, vcc_lo, v122, v123, v122
	s_delay_alu instid0(VALU_DEP_2) | instskip(SKIP_1) | instid1(TRANS32_DEP_1)
	v_rcp_f32_e32 v129, v121
	v_nop
	v_fma_f32 v130, -v121, v129, 1.0
	s_delay_alu instid0(VALU_DEP_1) | instskip(NEXT) | instid1(VALU_DEP_1)
	v_fmac_f32_e32 v129, v130, v129
	v_mul_f32_e32 v130, v131, v129
	s_delay_alu instid0(VALU_DEP_1) | instskip(NEXT) | instid1(VALU_DEP_1)
	v_fma_f32 v132, -v121, v130, v131
	v_fmac_f32_e32 v130, v132, v129
	s_delay_alu instid0(VALU_DEP_1) | instskip(NEXT) | instid1(VALU_DEP_1)
	v_fma_f32 v121, -v121, v130, v131
	v_div_fmas_f32 v121, v121, v129, v130
	s_delay_alu instid0(VALU_DEP_1) | instskip(NEXT) | instid1(VALU_DEP_1)
	v_div_fixup_f32 v121, v121, v123, v122
	v_fmac_f32_e32 v123, v122, v121
	s_delay_alu instid0(VALU_DEP_1) | instskip(SKIP_1) | instid1(VALU_DEP_2)
	v_div_scale_f32 v122, null, v123, v123, 1.0
	v_div_scale_f32 v131, vcc_lo, 1.0, v123, 1.0
	v_rcp_f32_e32 v129, v122
	v_nop
	s_delay_alu instid0(TRANS32_DEP_1) | instskip(NEXT) | instid1(VALU_DEP_1)
	v_fma_f32 v130, -v122, v129, 1.0
	v_fmac_f32_e32 v129, v130, v129
	s_delay_alu instid0(VALU_DEP_1) | instskip(NEXT) | instid1(VALU_DEP_1)
	v_mul_f32_e32 v130, v131, v129
	v_fma_f32 v132, -v122, v130, v131
	s_delay_alu instid0(VALU_DEP_1) | instskip(NEXT) | instid1(VALU_DEP_1)
	v_fmac_f32_e32 v130, v132, v129
	v_fma_f32 v122, -v122, v130, v131
	s_delay_alu instid0(VALU_DEP_1) | instskip(NEXT) | instid1(VALU_DEP_1)
	v_div_fmas_f32 v122, v122, v129, v130
	v_div_fixup_f32 v123, v122, v123, 1.0
	s_delay_alu instid0(VALU_DEP_1)
	v_mul_f32_e32 v122, v121, v123
	v_xor_b32_e32 v123, 0x80000000, v123
.LBB112_154:
	s_and_not1_saveexec_b32 s1, s1
	s_cbranch_execz .LBB112_156
; %bb.155:
	s_delay_alu instid0(VALU_DEP_1) | instskip(SKIP_1) | instid1(VALU_DEP_2)
	v_div_scale_f32 v121, null, v122, v122, v123
	v_div_scale_f32 v131, vcc_lo, v123, v122, v123
	v_rcp_f32_e32 v129, v121
	v_nop
	s_delay_alu instid0(TRANS32_DEP_1) | instskip(NEXT) | instid1(VALU_DEP_1)
	v_fma_f32 v130, -v121, v129, 1.0
	v_fmac_f32_e32 v129, v130, v129
	s_delay_alu instid0(VALU_DEP_1) | instskip(NEXT) | instid1(VALU_DEP_1)
	v_mul_f32_e32 v130, v131, v129
	v_fma_f32 v132, -v121, v130, v131
	s_delay_alu instid0(VALU_DEP_1) | instskip(NEXT) | instid1(VALU_DEP_1)
	v_fmac_f32_e32 v130, v132, v129
	v_fma_f32 v121, -v121, v130, v131
	s_delay_alu instid0(VALU_DEP_1) | instskip(NEXT) | instid1(VALU_DEP_1)
	v_div_fmas_f32 v121, v121, v129, v130
	v_div_fixup_f32 v121, v121, v122, v123
	s_delay_alu instid0(VALU_DEP_1) | instskip(NEXT) | instid1(VALU_DEP_1)
	v_fmac_f32_e32 v122, v123, v121
	v_div_scale_f32 v123, null, v122, v122, 1.0
	s_delay_alu instid0(VALU_DEP_1) | instskip(SKIP_1) | instid1(TRANS32_DEP_1)
	v_rcp_f32_e32 v129, v123
	v_nop
	v_fma_f32 v130, -v123, v129, 1.0
	s_delay_alu instid0(VALU_DEP_1) | instskip(SKIP_1) | instid1(VALU_DEP_1)
	v_fmac_f32_e32 v129, v130, v129
	v_div_scale_f32 v130, vcc_lo, 1.0, v122, 1.0
	v_mul_f32_e32 v131, v130, v129
	s_delay_alu instid0(VALU_DEP_1) | instskip(NEXT) | instid1(VALU_DEP_1)
	v_fma_f32 v132, -v123, v131, v130
	v_fmac_f32_e32 v131, v132, v129
	s_delay_alu instid0(VALU_DEP_1) | instskip(NEXT) | instid1(VALU_DEP_1)
	v_fma_f32 v123, -v123, v131, v130
	v_div_fmas_f32 v123, v123, v129, v131
	s_delay_alu instid0(VALU_DEP_1) | instskip(NEXT) | instid1(VALU_DEP_1)
	v_div_fixup_f32 v122, v123, v122, 1.0
	v_mul_f32_e64 v123, v121, -v122
.LBB112_156:
	s_or_b32 exec_lo, exec_lo, s1
.LBB112_157:
	s_delay_alu instid0(SALU_CYCLE_1) | instskip(NEXT) | instid1(SALU_CYCLE_1)
	s_or_b32 exec_lo, exec_lo, s0
	s_mov_b32 s0, exec_lo
	v_cmpx_ne_u32_e64 v128, v120
	s_xor_b32 s0, exec_lo, s0
	s_cbranch_execz .LBB112_163
; %bb.158:
	s_mov_b32 s1, exec_lo
	v_cmpx_eq_u32_e32 7, v128
	s_cbranch_execz .LBB112_162
; %bb.159:
	v_cmp_ne_u32_e32 vcc_lo, 7, v120
	s_xor_b32 s12, s16, -1
	s_delay_alu instid0(SALU_CYCLE_1) | instskip(NEXT) | instid1(SALU_CYCLE_1)
	s_and_b32 s13, s12, vcc_lo
	s_and_saveexec_b32 s12, s13
	s_cbranch_execz .LBB112_161
; %bb.160:
	v_ashrrev_i32_e32 v121, 31, v120
	s_delay_alu instid0(VALU_DEP_1)
	v_lshl_add_u64 v[128:129], v[120:121], 2, v[4:5]
	s_clause 0x1
	global_load_b32 v121, v[128:129], off
	global_load_b32 v127, v[4:5], off offset:28
	s_wait_loadcnt 0x1
	global_store_b32 v[4:5], v121, off offset:28
	s_wait_loadcnt 0x0
	global_store_b32 v[128:129], v127, off
.LBB112_161:
	s_wait_xcnt 0x0
	s_or_b32 exec_lo, exec_lo, s12
	v_dual_mov_b32 v128, v120 :: v_dual_mov_b32 v127, v120
.LBB112_162:
	s_or_b32 exec_lo, exec_lo, s1
.LBB112_163:
	s_and_not1_saveexec_b32 s0, s0
	s_cbranch_execz .LBB112_165
; %bb.164:
	v_dual_mov_b32 v120, v104 :: v_dual_mov_b32 v121, v105
	v_dual_mov_b32 v128, v100 :: v_dual_mov_b32 v129, v101
	ds_store_2addr_b64 v124, v[120:121], v[128:129] offset0:8 offset1:9
	v_dual_mov_b32 v120, v102 :: v_dual_mov_b32 v121, v103
	v_dual_mov_b32 v128, v98 :: v_dual_mov_b32 v129, v99
	ds_store_2addr_b64 v124, v[120:121], v[128:129] offset0:10 offset1:11
	;; [unrolled: 3-line block ×24, first 2 shown]
	ds_store_b64 v124, v[118:119] offset:448
	v_mov_b32_e32 v128, 7
.LBB112_165:
	s_or_b32 exec_lo, exec_lo, s0
	s_delay_alu instid0(SALU_CYCLE_1)
	s_mov_b32 s0, exec_lo
	s_wait_storecnt_dscnt 0x0
	s_barrier_signal -1
	s_barrier_wait -1
	v_cmpx_lt_i32_e32 7, v128
	s_cbranch_execz .LBB112_167
; %bb.166:
	v_pk_mul_f32 v[130:131], v[122:123], v[86:87] op_sel:[1,1] op_sel_hi:[0,1]
	s_delay_alu instid0(VALU_DEP_1)
	v_pk_fma_f32 v[120:121], v[122:123], v[86:87], v[130:131] op_sel_hi:[1,0,1] neg_lo:[0,0,1] neg_hi:[0,0,1]
	v_pk_fma_f32 v[122:123], v[122:123], v[86:87], v[130:131] op_sel_hi:[1,0,1]
	ds_load_2addr_b64 v[130:133], v124 offset0:8 offset1:9
	v_dual_mov_b32 v86, v120 :: v_dual_mov_b32 v87, v123
	s_wait_dscnt 0x0
	v_pk_mul_f32 v[134:135], v[130:131], v[122:123] op_sel:[0,1]
	s_delay_alu instid0(VALU_DEP_1) | instskip(SKIP_1) | instid1(VALU_DEP_1)
	v_pk_fma_f32 v[136:137], v[130:131], v[120:121], v[134:135] op_sel:[0,0,1] op_sel_hi:[1,1,0] neg_lo:[0,0,1] neg_hi:[0,0,1]
	v_pk_fma_f32 v[130:131], v[130:131], v[120:121], v[134:135] op_sel:[0,0,1] op_sel_hi:[1,0,0]
	v_mov_b32_e32 v137, v131
	v_pk_mul_f32 v[130:131], v[132:133], v[122:123] op_sel:[0,1]
	s_delay_alu instid0(VALU_DEP_1) | instskip(SKIP_1) | instid1(VALU_DEP_1)
	v_pk_fma_f32 v[134:135], v[132:133], v[120:121], v[130:131] op_sel:[0,0,1] op_sel_hi:[1,1,0] neg_lo:[0,0,1] neg_hi:[0,0,1]
	v_pk_fma_f32 v[130:131], v[132:133], v[120:121], v[130:131] op_sel:[0,0,1] op_sel_hi:[1,0,0]
	v_mov_b32_e32 v135, v131
	ds_load_2addr_b64 v[130:133], v124 offset0:10 offset1:11
	v_pk_add_f32 v[104:105], v[104:105], v[136:137] neg_lo:[0,1] neg_hi:[0,1]
	v_pk_add_f32 v[100:101], v[100:101], v[134:135] neg_lo:[0,1] neg_hi:[0,1]
	s_wait_dscnt 0x0
	v_pk_mul_f32 v[134:135], v[130:131], v[122:123] op_sel:[0,1]
	s_delay_alu instid0(VALU_DEP_1) | instskip(SKIP_2) | instid1(VALU_DEP_2)
	v_pk_fma_f32 v[136:137], v[130:131], v[120:121], v[134:135] op_sel:[0,0,1] op_sel_hi:[1,1,0] neg_lo:[0,0,1] neg_hi:[0,0,1]
	v_pk_fma_f32 v[130:131], v[130:131], v[120:121], v[134:135] op_sel:[0,0,1] op_sel_hi:[1,0,0]
	v_dual_mul_f32 v134, v133, v123 :: v_dual_mov_b32 v130, v133
	v_dual_mov_b32 v137, v131 :: v_dual_mov_b32 v131, v132
	s_delay_alu instid0(VALU_DEP_2) | instskip(SKIP_1) | instid1(VALU_DEP_3)
	v_pk_fma_f32 v[134:135], v[132:133], v[86:87], v[134:135] op_sel_hi:[1,1,0] neg_lo:[0,0,1] neg_hi:[0,0,1]
	v_mul_f32_e32 v132, v133, v120
	v_pk_add_f32 v[102:103], v[102:103], v[136:137] neg_lo:[0,1] neg_hi:[0,1]
	s_delay_alu instid0(VALU_DEP_2) | instskip(NEXT) | instid1(VALU_DEP_1)
	v_pk_fma_f32 v[130:131], v[130:131], v[86:87], v[132:133] op_sel_hi:[1,1,0]
	v_mov_b32_e32 v135, v131
	ds_load_2addr_b64 v[130:133], v124 offset0:12 offset1:13
	v_pk_add_f32 v[98:99], v[98:99], v[134:135] neg_lo:[0,1] neg_hi:[0,1]
	s_wait_dscnt 0x0
	v_pk_mul_f32 v[134:135], v[130:131], v[122:123] op_sel:[0,1]
	s_delay_alu instid0(VALU_DEP_1) | instskip(SKIP_1) | instid1(VALU_DEP_1)
	v_pk_fma_f32 v[136:137], v[130:131], v[120:121], v[134:135] op_sel:[0,0,1] op_sel_hi:[1,1,0] neg_lo:[0,0,1] neg_hi:[0,0,1]
	v_pk_fma_f32 v[130:131], v[130:131], v[120:121], v[134:135] op_sel:[0,0,1] op_sel_hi:[1,0,0]
	v_mov_b32_e32 v137, v131
	v_pk_mul_f32 v[130:131], v[132:133], v[122:123] op_sel:[0,1]
	s_delay_alu instid0(VALU_DEP_1) | instskip(SKIP_1) | instid1(VALU_DEP_1)
	v_pk_fma_f32 v[134:135], v[132:133], v[120:121], v[130:131] op_sel:[0,0,1] op_sel_hi:[1,1,0] neg_lo:[0,0,1] neg_hi:[0,0,1]
	v_pk_fma_f32 v[130:131], v[132:133], v[120:121], v[130:131] op_sel:[0,0,1] op_sel_hi:[1,0,0]
	v_mov_b32_e32 v135, v131
	ds_load_2addr_b64 v[130:133], v124 offset0:14 offset1:15
	v_pk_add_f32 v[96:97], v[96:97], v[136:137] neg_lo:[0,1] neg_hi:[0,1]
	v_pk_add_f32 v[92:93], v[92:93], v[134:135] neg_lo:[0,1] neg_hi:[0,1]
	s_wait_dscnt 0x0
	v_pk_mul_f32 v[134:135], v[130:131], v[122:123] op_sel:[0,1]
	s_delay_alu instid0(VALU_DEP_1) | instskip(SKIP_1) | instid1(VALU_DEP_1)
	v_pk_fma_f32 v[136:137], v[130:131], v[120:121], v[134:135] op_sel:[0,0,1] op_sel_hi:[1,1,0] neg_lo:[0,0,1] neg_hi:[0,0,1]
	v_pk_fma_f32 v[130:131], v[130:131], v[120:121], v[134:135] op_sel:[0,0,1] op_sel_hi:[1,0,0]
	v_mov_b32_e32 v137, v131
	v_pk_mul_f32 v[130:131], v[132:133], v[122:123] op_sel:[0,1]
	s_delay_alu instid0(VALU_DEP_1) | instskip(SKIP_1) | instid1(VALU_DEP_1)
	v_pk_fma_f32 v[134:135], v[132:133], v[120:121], v[130:131] op_sel:[0,0,1] op_sel_hi:[1,1,0] neg_lo:[0,0,1] neg_hi:[0,0,1]
	v_pk_fma_f32 v[130:131], v[132:133], v[120:121], v[130:131] op_sel:[0,0,1] op_sel_hi:[1,0,0]
	v_mov_b32_e32 v135, v131
	ds_load_2addr_b64 v[130:133], v124 offset0:16 offset1:17
	v_pk_add_f32 v[94:95], v[94:95], v[136:137] neg_lo:[0,1] neg_hi:[0,1]
	v_pk_add_f32 v[90:91], v[90:91], v[134:135] neg_lo:[0,1] neg_hi:[0,1]
	s_wait_dscnt 0x0
	v_dual_mul_f32 v134, v131, v123 :: v_dual_mul_f32 v136, v131, v120
	s_delay_alu instid0(VALU_DEP_1) | instskip(NEXT) | instid1(VALU_DEP_2)
	v_pk_fma_f32 v[134:135], v[130:131], v[86:87], v[134:135] op_sel_hi:[1,1,0] neg_lo:[0,0,1] neg_hi:[0,0,1]
	v_pk_fma_f32 v[130:131], v[130:131], v[86:87], v[136:137] op_sel:[1,0,0] op_sel_hi:[0,1,0]
	s_delay_alu instid0(VALU_DEP_1) | instskip(SKIP_1) | instid1(VALU_DEP_2)
	v_mov_b32_e32 v135, v131
	v_pk_mul_f32 v[130:131], v[132:133], v[122:123] op_sel:[0,1]
	v_pk_add_f32 v[84:85], v[84:85], v[134:135] neg_lo:[0,1] neg_hi:[0,1]
	s_delay_alu instid0(VALU_DEP_2) | instskip(SKIP_1) | instid1(VALU_DEP_1)
	v_pk_fma_f32 v[134:135], v[132:133], v[120:121], v[130:131] op_sel:[0,0,1] op_sel_hi:[1,1,0] neg_lo:[0,0,1] neg_hi:[0,0,1]
	v_pk_fma_f32 v[130:131], v[132:133], v[120:121], v[130:131] op_sel:[0,0,1] op_sel_hi:[1,0,0]
	v_mov_b32_e32 v135, v131
	ds_load_2addr_b64 v[130:133], v124 offset0:18 offset1:19
	v_pk_add_f32 v[80:81], v[80:81], v[134:135] neg_lo:[0,1] neg_hi:[0,1]
	s_wait_dscnt 0x0
	v_pk_mul_f32 v[134:135], v[130:131], v[122:123] op_sel:[0,1]
	s_delay_alu instid0(VALU_DEP_1) | instskip(SKIP_1) | instid1(VALU_DEP_1)
	v_pk_fma_f32 v[136:137], v[130:131], v[120:121], v[134:135] op_sel:[0,0,1] op_sel_hi:[1,1,0] neg_lo:[0,0,1] neg_hi:[0,0,1]
	v_pk_fma_f32 v[130:131], v[130:131], v[120:121], v[134:135] op_sel:[0,0,1] op_sel_hi:[1,0,0]
	v_mov_b32_e32 v137, v131
	v_pk_mul_f32 v[130:131], v[132:133], v[122:123] op_sel:[0,1]
	s_delay_alu instid0(VALU_DEP_2) | instskip(NEXT) | instid1(VALU_DEP_2)
	v_pk_add_f32 v[82:83], v[82:83], v[136:137] neg_lo:[0,1] neg_hi:[0,1]
	v_pk_fma_f32 v[134:135], v[132:133], v[120:121], v[130:131] op_sel:[0,0,1] op_sel_hi:[1,1,0] neg_lo:[0,0,1] neg_hi:[0,0,1]
	v_pk_fma_f32 v[130:131], v[132:133], v[120:121], v[130:131] op_sel:[0,0,1] op_sel_hi:[1,0,0]
	s_delay_alu instid0(VALU_DEP_1) | instskip(SKIP_4) | instid1(VALU_DEP_1)
	v_mov_b32_e32 v135, v131
	ds_load_2addr_b64 v[130:133], v124 offset0:20 offset1:21
	v_pk_add_f32 v[78:79], v[78:79], v[134:135] neg_lo:[0,1] neg_hi:[0,1]
	s_wait_dscnt 0x0
	v_pk_mul_f32 v[134:135], v[130:131], v[122:123] op_sel:[0,1]
	v_pk_fma_f32 v[136:137], v[130:131], v[120:121], v[134:135] op_sel:[0,0,1] op_sel_hi:[1,1,0] neg_lo:[0,0,1] neg_hi:[0,0,1]
	v_pk_fma_f32 v[130:131], v[130:131], v[120:121], v[134:135] op_sel:[0,0,1] op_sel_hi:[1,0,0]
	v_dual_mul_f32 v134, v133, v123 :: v_dual_mov_b32 v130, v133
	s_delay_alu instid0(VALU_DEP_2) | instskip(NEXT) | instid1(VALU_DEP_2)
	v_dual_mov_b32 v137, v131 :: v_dual_mov_b32 v131, v132
	v_pk_fma_f32 v[134:135], v[132:133], v[86:87], v[134:135] op_sel_hi:[1,1,0] neg_lo:[0,0,1] neg_hi:[0,0,1]
	v_mul_f32_e32 v132, v133, v120
	s_delay_alu instid0(VALU_DEP_3) | instskip(NEXT) | instid1(VALU_DEP_2)
	v_pk_add_f32 v[76:77], v[76:77], v[136:137] neg_lo:[0,1] neg_hi:[0,1]
	v_pk_fma_f32 v[130:131], v[130:131], v[86:87], v[132:133] op_sel_hi:[1,1,0]
	s_delay_alu instid0(VALU_DEP_1) | instskip(SKIP_4) | instid1(VALU_DEP_1)
	v_mov_b32_e32 v135, v131
	ds_load_2addr_b64 v[130:133], v124 offset0:22 offset1:23
	v_pk_add_f32 v[72:73], v[72:73], v[134:135] neg_lo:[0,1] neg_hi:[0,1]
	s_wait_dscnt 0x0
	v_pk_mul_f32 v[134:135], v[130:131], v[122:123] op_sel:[0,1]
	v_pk_fma_f32 v[136:137], v[130:131], v[120:121], v[134:135] op_sel:[0,0,1] op_sel_hi:[1,1,0] neg_lo:[0,0,1] neg_hi:[0,0,1]
	v_pk_fma_f32 v[130:131], v[130:131], v[120:121], v[134:135] op_sel:[0,0,1] op_sel_hi:[1,0,0]
	s_delay_alu instid0(VALU_DEP_1) | instskip(SKIP_1) | instid1(VALU_DEP_1)
	v_mov_b32_e32 v137, v131
	v_pk_mul_f32 v[130:131], v[132:133], v[122:123] op_sel:[0,1]
	v_pk_fma_f32 v[134:135], v[132:133], v[120:121], v[130:131] op_sel:[0,0,1] op_sel_hi:[1,1,0] neg_lo:[0,0,1] neg_hi:[0,0,1]
	v_pk_fma_f32 v[130:131], v[132:133], v[120:121], v[130:131] op_sel:[0,0,1] op_sel_hi:[1,0,0]
	s_delay_alu instid0(VALU_DEP_1)
	v_mov_b32_e32 v135, v131
	ds_load_2addr_b64 v[130:133], v124 offset0:24 offset1:25
	v_pk_add_f32 v[74:75], v[74:75], v[136:137] neg_lo:[0,1] neg_hi:[0,1]
	v_pk_add_f32 v[70:71], v[70:71], v[134:135] neg_lo:[0,1] neg_hi:[0,1]
	s_wait_dscnt 0x0
	v_pk_mul_f32 v[134:135], v[130:131], v[122:123] op_sel:[0,1]
	s_delay_alu instid0(VALU_DEP_1) | instskip(SKIP_1) | instid1(VALU_DEP_1)
	v_pk_fma_f32 v[136:137], v[130:131], v[120:121], v[134:135] op_sel:[0,0,1] op_sel_hi:[1,1,0] neg_lo:[0,0,1] neg_hi:[0,0,1]
	v_pk_fma_f32 v[130:131], v[130:131], v[120:121], v[134:135] op_sel:[0,0,1] op_sel_hi:[1,0,0]
	v_mov_b32_e32 v137, v131
	v_pk_mul_f32 v[130:131], v[132:133], v[122:123] op_sel:[0,1]
	s_delay_alu instid0(VALU_DEP_1) | instskip(SKIP_1) | instid1(VALU_DEP_1)
	v_pk_fma_f32 v[134:135], v[132:133], v[120:121], v[130:131] op_sel:[0,0,1] op_sel_hi:[1,1,0] neg_lo:[0,0,1] neg_hi:[0,0,1]
	v_pk_fma_f32 v[130:131], v[132:133], v[120:121], v[130:131] op_sel:[0,0,1] op_sel_hi:[1,0,0]
	v_mov_b32_e32 v135, v131
	ds_load_2addr_b64 v[130:133], v124 offset0:26 offset1:27
	v_pk_add_f32 v[68:69], v[68:69], v[136:137] neg_lo:[0,1] neg_hi:[0,1]
	v_pk_add_f32 v[64:65], v[64:65], v[134:135] neg_lo:[0,1] neg_hi:[0,1]
	s_wait_dscnt 0x0
	v_dual_mul_f32 v134, v131, v123 :: v_dual_mul_f32 v136, v131, v120
	s_delay_alu instid0(VALU_DEP_1) | instskip(NEXT) | instid1(VALU_DEP_2)
	v_pk_fma_f32 v[134:135], v[130:131], v[86:87], v[134:135] op_sel_hi:[1,1,0] neg_lo:[0,0,1] neg_hi:[0,0,1]
	v_pk_fma_f32 v[130:131], v[130:131], v[86:87], v[136:137] op_sel:[1,0,0] op_sel_hi:[0,1,0]
	s_delay_alu instid0(VALU_DEP_1) | instskip(SKIP_1) | instid1(VALU_DEP_2)
	v_mov_b32_e32 v135, v131
	v_pk_mul_f32 v[130:131], v[132:133], v[122:123] op_sel:[0,1]
	v_pk_add_f32 v[66:67], v[66:67], v[134:135] neg_lo:[0,1] neg_hi:[0,1]
	s_delay_alu instid0(VALU_DEP_2) | instskip(SKIP_1) | instid1(VALU_DEP_1)
	v_pk_fma_f32 v[134:135], v[132:133], v[120:121], v[130:131] op_sel:[0,0,1] op_sel_hi:[1,1,0] neg_lo:[0,0,1] neg_hi:[0,0,1]
	v_pk_fma_f32 v[130:131], v[132:133], v[120:121], v[130:131] op_sel:[0,0,1] op_sel_hi:[1,0,0]
	v_mov_b32_e32 v135, v131
	ds_load_2addr_b64 v[130:133], v124 offset0:28 offset1:29
	v_pk_add_f32 v[62:63], v[62:63], v[134:135] neg_lo:[0,1] neg_hi:[0,1]
	s_wait_dscnt 0x0
	v_pk_mul_f32 v[134:135], v[130:131], v[122:123] op_sel:[0,1]
	s_delay_alu instid0(VALU_DEP_1) | instskip(SKIP_1) | instid1(VALU_DEP_1)
	v_pk_fma_f32 v[136:137], v[130:131], v[120:121], v[134:135] op_sel:[0,0,1] op_sel_hi:[1,1,0] neg_lo:[0,0,1] neg_hi:[0,0,1]
	v_pk_fma_f32 v[130:131], v[130:131], v[120:121], v[134:135] op_sel:[0,0,1] op_sel_hi:[1,0,0]
	v_mov_b32_e32 v137, v131
	v_pk_mul_f32 v[130:131], v[132:133], v[122:123] op_sel:[0,1]
	s_delay_alu instid0(VALU_DEP_2) | instskip(NEXT) | instid1(VALU_DEP_2)
	v_pk_add_f32 v[60:61], v[60:61], v[136:137] neg_lo:[0,1] neg_hi:[0,1]
	v_pk_fma_f32 v[134:135], v[132:133], v[120:121], v[130:131] op_sel:[0,0,1] op_sel_hi:[1,1,0] neg_lo:[0,0,1] neg_hi:[0,0,1]
	v_pk_fma_f32 v[130:131], v[132:133], v[120:121], v[130:131] op_sel:[0,0,1] op_sel_hi:[1,0,0]
	s_delay_alu instid0(VALU_DEP_1) | instskip(SKIP_4) | instid1(VALU_DEP_1)
	v_mov_b32_e32 v135, v131
	ds_load_2addr_b64 v[130:133], v124 offset0:30 offset1:31
	v_pk_add_f32 v[56:57], v[56:57], v[134:135] neg_lo:[0,1] neg_hi:[0,1]
	s_wait_dscnt 0x0
	v_pk_mul_f32 v[134:135], v[130:131], v[122:123] op_sel:[0,1]
	v_pk_fma_f32 v[136:137], v[130:131], v[120:121], v[134:135] op_sel:[0,0,1] op_sel_hi:[1,1,0] neg_lo:[0,0,1] neg_hi:[0,0,1]
	v_pk_fma_f32 v[130:131], v[130:131], v[120:121], v[134:135] op_sel:[0,0,1] op_sel_hi:[1,0,0]
	v_dual_mul_f32 v134, v133, v123 :: v_dual_mov_b32 v130, v133
	s_delay_alu instid0(VALU_DEP_2) | instskip(NEXT) | instid1(VALU_DEP_2)
	v_dual_mov_b32 v137, v131 :: v_dual_mov_b32 v131, v132
	v_pk_fma_f32 v[134:135], v[132:133], v[86:87], v[134:135] op_sel_hi:[1,1,0] neg_lo:[0,0,1] neg_hi:[0,0,1]
	v_mul_f32_e32 v132, v133, v120
	s_delay_alu instid0(VALU_DEP_3) | instskip(NEXT) | instid1(VALU_DEP_2)
	v_pk_add_f32 v[58:59], v[58:59], v[136:137] neg_lo:[0,1] neg_hi:[0,1]
	v_pk_fma_f32 v[130:131], v[130:131], v[86:87], v[132:133] op_sel_hi:[1,1,0]
	s_delay_alu instid0(VALU_DEP_1) | instskip(SKIP_4) | instid1(VALU_DEP_1)
	v_mov_b32_e32 v135, v131
	ds_load_2addr_b64 v[130:133], v124 offset0:32 offset1:33
	v_pk_add_f32 v[54:55], v[54:55], v[134:135] neg_lo:[0,1] neg_hi:[0,1]
	s_wait_dscnt 0x0
	v_pk_mul_f32 v[134:135], v[130:131], v[122:123] op_sel:[0,1]
	v_pk_fma_f32 v[136:137], v[130:131], v[120:121], v[134:135] op_sel:[0,0,1] op_sel_hi:[1,1,0] neg_lo:[0,0,1] neg_hi:[0,0,1]
	v_pk_fma_f32 v[130:131], v[130:131], v[120:121], v[134:135] op_sel:[0,0,1] op_sel_hi:[1,0,0]
	s_delay_alu instid0(VALU_DEP_1) | instskip(SKIP_1) | instid1(VALU_DEP_1)
	v_mov_b32_e32 v137, v131
	v_pk_mul_f32 v[130:131], v[132:133], v[122:123] op_sel:[0,1]
	v_pk_fma_f32 v[134:135], v[132:133], v[120:121], v[130:131] op_sel:[0,0,1] op_sel_hi:[1,1,0] neg_lo:[0,0,1] neg_hi:[0,0,1]
	v_pk_fma_f32 v[130:131], v[132:133], v[120:121], v[130:131] op_sel:[0,0,1] op_sel_hi:[1,0,0]
	s_delay_alu instid0(VALU_DEP_1)
	v_mov_b32_e32 v135, v131
	ds_load_2addr_b64 v[130:133], v124 offset0:34 offset1:35
	v_pk_add_f32 v[52:53], v[52:53], v[136:137] neg_lo:[0,1] neg_hi:[0,1]
	v_pk_add_f32 v[48:49], v[48:49], v[134:135] neg_lo:[0,1] neg_hi:[0,1]
	s_wait_dscnt 0x0
	v_pk_mul_f32 v[134:135], v[130:131], v[122:123] op_sel:[0,1]
	s_delay_alu instid0(VALU_DEP_1) | instskip(SKIP_1) | instid1(VALU_DEP_1)
	v_pk_fma_f32 v[136:137], v[130:131], v[120:121], v[134:135] op_sel:[0,0,1] op_sel_hi:[1,1,0] neg_lo:[0,0,1] neg_hi:[0,0,1]
	v_pk_fma_f32 v[130:131], v[130:131], v[120:121], v[134:135] op_sel:[0,0,1] op_sel_hi:[1,0,0]
	v_mov_b32_e32 v137, v131
	v_pk_mul_f32 v[130:131], v[132:133], v[122:123] op_sel:[0,1]
	s_delay_alu instid0(VALU_DEP_1) | instskip(SKIP_1) | instid1(VALU_DEP_1)
	v_pk_fma_f32 v[134:135], v[132:133], v[120:121], v[130:131] op_sel:[0,0,1] op_sel_hi:[1,1,0] neg_lo:[0,0,1] neg_hi:[0,0,1]
	v_pk_fma_f32 v[130:131], v[132:133], v[120:121], v[130:131] op_sel:[0,0,1] op_sel_hi:[1,0,0]
	v_mov_b32_e32 v135, v131
	ds_load_2addr_b64 v[130:133], v124 offset0:36 offset1:37
	v_pk_add_f32 v[50:51], v[50:51], v[136:137] neg_lo:[0,1] neg_hi:[0,1]
	v_pk_add_f32 v[46:47], v[46:47], v[134:135] neg_lo:[0,1] neg_hi:[0,1]
	s_wait_dscnt 0x0
	v_dual_mul_f32 v134, v131, v123 :: v_dual_mul_f32 v136, v131, v120
	s_delay_alu instid0(VALU_DEP_1) | instskip(NEXT) | instid1(VALU_DEP_2)
	v_pk_fma_f32 v[134:135], v[130:131], v[86:87], v[134:135] op_sel_hi:[1,1,0] neg_lo:[0,0,1] neg_hi:[0,0,1]
	v_pk_fma_f32 v[130:131], v[130:131], v[86:87], v[136:137] op_sel:[1,0,0] op_sel_hi:[0,1,0]
	s_delay_alu instid0(VALU_DEP_1) | instskip(SKIP_1) | instid1(VALU_DEP_2)
	v_mov_b32_e32 v135, v131
	v_pk_mul_f32 v[130:131], v[132:133], v[122:123] op_sel:[0,1]
	v_pk_add_f32 v[44:45], v[44:45], v[134:135] neg_lo:[0,1] neg_hi:[0,1]
	s_delay_alu instid0(VALU_DEP_2) | instskip(SKIP_1) | instid1(VALU_DEP_1)
	v_pk_fma_f32 v[134:135], v[132:133], v[120:121], v[130:131] op_sel:[0,0,1] op_sel_hi:[1,1,0] neg_lo:[0,0,1] neg_hi:[0,0,1]
	v_pk_fma_f32 v[130:131], v[132:133], v[120:121], v[130:131] op_sel:[0,0,1] op_sel_hi:[1,0,0]
	v_mov_b32_e32 v135, v131
	ds_load_2addr_b64 v[130:133], v124 offset0:38 offset1:39
	v_pk_add_f32 v[40:41], v[40:41], v[134:135] neg_lo:[0,1] neg_hi:[0,1]
	s_wait_dscnt 0x0
	v_pk_mul_f32 v[134:135], v[130:131], v[122:123] op_sel:[0,1]
	s_delay_alu instid0(VALU_DEP_1) | instskip(SKIP_1) | instid1(VALU_DEP_1)
	v_pk_fma_f32 v[136:137], v[130:131], v[120:121], v[134:135] op_sel:[0,0,1] op_sel_hi:[1,1,0] neg_lo:[0,0,1] neg_hi:[0,0,1]
	v_pk_fma_f32 v[130:131], v[130:131], v[120:121], v[134:135] op_sel:[0,0,1] op_sel_hi:[1,0,0]
	v_mov_b32_e32 v137, v131
	v_pk_mul_f32 v[130:131], v[132:133], v[122:123] op_sel:[0,1]
	s_delay_alu instid0(VALU_DEP_2) | instskip(NEXT) | instid1(VALU_DEP_2)
	v_pk_add_f32 v[42:43], v[42:43], v[136:137] neg_lo:[0,1] neg_hi:[0,1]
	v_pk_fma_f32 v[134:135], v[132:133], v[120:121], v[130:131] op_sel:[0,0,1] op_sel_hi:[1,1,0] neg_lo:[0,0,1] neg_hi:[0,0,1]
	v_pk_fma_f32 v[130:131], v[132:133], v[120:121], v[130:131] op_sel:[0,0,1] op_sel_hi:[1,0,0]
	s_delay_alu instid0(VALU_DEP_1) | instskip(SKIP_4) | instid1(VALU_DEP_1)
	v_mov_b32_e32 v135, v131
	ds_load_2addr_b64 v[130:133], v124 offset0:40 offset1:41
	v_pk_add_f32 v[38:39], v[38:39], v[134:135] neg_lo:[0,1] neg_hi:[0,1]
	s_wait_dscnt 0x0
	v_pk_mul_f32 v[134:135], v[130:131], v[122:123] op_sel:[0,1]
	v_pk_fma_f32 v[136:137], v[130:131], v[120:121], v[134:135] op_sel:[0,0,1] op_sel_hi:[1,1,0] neg_lo:[0,0,1] neg_hi:[0,0,1]
	v_pk_fma_f32 v[130:131], v[130:131], v[120:121], v[134:135] op_sel:[0,0,1] op_sel_hi:[1,0,0]
	v_dual_mul_f32 v134, v133, v123 :: v_dual_mov_b32 v130, v133
	s_delay_alu instid0(VALU_DEP_2) | instskip(NEXT) | instid1(VALU_DEP_2)
	v_dual_mov_b32 v137, v131 :: v_dual_mov_b32 v131, v132
	v_pk_fma_f32 v[134:135], v[132:133], v[86:87], v[134:135] op_sel_hi:[1,1,0] neg_lo:[0,0,1] neg_hi:[0,0,1]
	v_mul_f32_e32 v132, v133, v120
	s_delay_alu instid0(VALU_DEP_3) | instskip(NEXT) | instid1(VALU_DEP_2)
	v_pk_add_f32 v[36:37], v[36:37], v[136:137] neg_lo:[0,1] neg_hi:[0,1]
	v_pk_fma_f32 v[130:131], v[130:131], v[86:87], v[132:133] op_sel_hi:[1,1,0]
	s_delay_alu instid0(VALU_DEP_1) | instskip(SKIP_4) | instid1(VALU_DEP_1)
	v_mov_b32_e32 v135, v131
	ds_load_2addr_b64 v[130:133], v124 offset0:42 offset1:43
	v_pk_add_f32 v[32:33], v[32:33], v[134:135] neg_lo:[0,1] neg_hi:[0,1]
	s_wait_dscnt 0x0
	v_pk_mul_f32 v[134:135], v[130:131], v[122:123] op_sel:[0,1]
	v_pk_fma_f32 v[136:137], v[130:131], v[120:121], v[134:135] op_sel:[0,0,1] op_sel_hi:[1,1,0] neg_lo:[0,0,1] neg_hi:[0,0,1]
	v_pk_fma_f32 v[130:131], v[130:131], v[120:121], v[134:135] op_sel:[0,0,1] op_sel_hi:[1,0,0]
	s_delay_alu instid0(VALU_DEP_1) | instskip(SKIP_1) | instid1(VALU_DEP_1)
	v_mov_b32_e32 v137, v131
	v_pk_mul_f32 v[130:131], v[132:133], v[122:123] op_sel:[0,1]
	v_pk_fma_f32 v[134:135], v[132:133], v[120:121], v[130:131] op_sel:[0,0,1] op_sel_hi:[1,1,0] neg_lo:[0,0,1] neg_hi:[0,0,1]
	v_pk_fma_f32 v[130:131], v[132:133], v[120:121], v[130:131] op_sel:[0,0,1] op_sel_hi:[1,0,0]
	s_delay_alu instid0(VALU_DEP_1)
	v_mov_b32_e32 v135, v131
	ds_load_2addr_b64 v[130:133], v124 offset0:44 offset1:45
	v_pk_add_f32 v[34:35], v[34:35], v[136:137] neg_lo:[0,1] neg_hi:[0,1]
	v_pk_add_f32 v[30:31], v[30:31], v[134:135] neg_lo:[0,1] neg_hi:[0,1]
	s_wait_dscnt 0x0
	v_pk_mul_f32 v[134:135], v[130:131], v[122:123] op_sel:[0,1]
	s_delay_alu instid0(VALU_DEP_1) | instskip(SKIP_1) | instid1(VALU_DEP_1)
	v_pk_fma_f32 v[136:137], v[130:131], v[120:121], v[134:135] op_sel:[0,0,1] op_sel_hi:[1,1,0] neg_lo:[0,0,1] neg_hi:[0,0,1]
	v_pk_fma_f32 v[130:131], v[130:131], v[120:121], v[134:135] op_sel:[0,0,1] op_sel_hi:[1,0,0]
	v_mov_b32_e32 v137, v131
	v_pk_mul_f32 v[130:131], v[132:133], v[122:123] op_sel:[0,1]
	s_delay_alu instid0(VALU_DEP_1) | instskip(SKIP_1) | instid1(VALU_DEP_1)
	v_pk_fma_f32 v[134:135], v[132:133], v[120:121], v[130:131] op_sel:[0,0,1] op_sel_hi:[1,1,0] neg_lo:[0,0,1] neg_hi:[0,0,1]
	v_pk_fma_f32 v[130:131], v[132:133], v[120:121], v[130:131] op_sel:[0,0,1] op_sel_hi:[1,0,0]
	v_mov_b32_e32 v135, v131
	ds_load_2addr_b64 v[130:133], v124 offset0:46 offset1:47
	v_pk_add_f32 v[26:27], v[26:27], v[136:137] neg_lo:[0,1] neg_hi:[0,1]
	v_pk_add_f32 v[22:23], v[22:23], v[134:135] neg_lo:[0,1] neg_hi:[0,1]
	s_wait_dscnt 0x0
	v_dual_mul_f32 v134, v131, v123 :: v_dual_mul_f32 v136, v131, v120
	s_delay_alu instid0(VALU_DEP_1) | instskip(NEXT) | instid1(VALU_DEP_2)
	v_pk_fma_f32 v[134:135], v[130:131], v[86:87], v[134:135] op_sel_hi:[1,1,0] neg_lo:[0,0,1] neg_hi:[0,0,1]
	v_pk_fma_f32 v[130:131], v[130:131], v[86:87], v[136:137] op_sel:[1,0,0] op_sel_hi:[0,1,0]
	s_delay_alu instid0(VALU_DEP_1) | instskip(SKIP_1) | instid1(VALU_DEP_2)
	v_mov_b32_e32 v135, v131
	v_pk_mul_f32 v[130:131], v[132:133], v[122:123] op_sel:[0,1]
	v_pk_add_f32 v[24:25], v[24:25], v[134:135] neg_lo:[0,1] neg_hi:[0,1]
	s_delay_alu instid0(VALU_DEP_2) | instskip(SKIP_1) | instid1(VALU_DEP_1)
	v_pk_fma_f32 v[134:135], v[132:133], v[120:121], v[130:131] op_sel:[0,0,1] op_sel_hi:[1,1,0] neg_lo:[0,0,1] neg_hi:[0,0,1]
	v_pk_fma_f32 v[130:131], v[132:133], v[120:121], v[130:131] op_sel:[0,0,1] op_sel_hi:[1,0,0]
	v_mov_b32_e32 v135, v131
	ds_load_2addr_b64 v[130:133], v124 offset0:48 offset1:49
	v_pk_add_f32 v[20:21], v[20:21], v[134:135] neg_lo:[0,1] neg_hi:[0,1]
	s_wait_dscnt 0x0
	v_pk_mul_f32 v[134:135], v[130:131], v[122:123] op_sel:[0,1]
	s_delay_alu instid0(VALU_DEP_1) | instskip(SKIP_1) | instid1(VALU_DEP_1)
	v_pk_fma_f32 v[136:137], v[130:131], v[120:121], v[134:135] op_sel:[0,0,1] op_sel_hi:[1,1,0] neg_lo:[0,0,1] neg_hi:[0,0,1]
	v_pk_fma_f32 v[130:131], v[130:131], v[120:121], v[134:135] op_sel:[0,0,1] op_sel_hi:[1,0,0]
	v_mov_b32_e32 v137, v131
	v_pk_mul_f32 v[130:131], v[132:133], v[122:123] op_sel:[0,1]
	s_delay_alu instid0(VALU_DEP_2) | instskip(NEXT) | instid1(VALU_DEP_2)
	v_pk_add_f32 v[14:15], v[14:15], v[136:137] neg_lo:[0,1] neg_hi:[0,1]
	v_pk_fma_f32 v[134:135], v[132:133], v[120:121], v[130:131] op_sel:[0,0,1] op_sel_hi:[1,1,0] neg_lo:[0,0,1] neg_hi:[0,0,1]
	v_pk_fma_f32 v[130:131], v[132:133], v[120:121], v[130:131] op_sel:[0,0,1] op_sel_hi:[1,0,0]
	s_delay_alu instid0(VALU_DEP_1) | instskip(SKIP_4) | instid1(VALU_DEP_1)
	v_mov_b32_e32 v135, v131
	ds_load_2addr_b64 v[130:133], v124 offset0:50 offset1:51
	v_pk_add_f32 v[10:11], v[10:11], v[134:135] neg_lo:[0,1] neg_hi:[0,1]
	s_wait_dscnt 0x0
	v_pk_mul_f32 v[134:135], v[130:131], v[122:123] op_sel:[0,1]
	v_pk_fma_f32 v[136:137], v[130:131], v[120:121], v[134:135] op_sel:[0,0,1] op_sel_hi:[1,1,0] neg_lo:[0,0,1] neg_hi:[0,0,1]
	v_pk_fma_f32 v[130:131], v[130:131], v[120:121], v[134:135] op_sel:[0,0,1] op_sel_hi:[1,0,0]
	v_dual_mul_f32 v134, v133, v123 :: v_dual_mov_b32 v130, v133
	s_delay_alu instid0(VALU_DEP_2) | instskip(NEXT) | instid1(VALU_DEP_2)
	v_dual_mov_b32 v137, v131 :: v_dual_mov_b32 v131, v132
	v_pk_fma_f32 v[134:135], v[132:133], v[86:87], v[134:135] op_sel_hi:[1,1,0] neg_lo:[0,0,1] neg_hi:[0,0,1]
	v_mul_f32_e32 v132, v133, v120
	s_delay_alu instid0(VALU_DEP_3) | instskip(NEXT) | instid1(VALU_DEP_2)
	v_pk_add_f32 v[12:13], v[12:13], v[136:137] neg_lo:[0,1] neg_hi:[0,1]
	v_pk_fma_f32 v[130:131], v[130:131], v[86:87], v[132:133] op_sel_hi:[1,1,0]
	s_delay_alu instid0(VALU_DEP_1) | instskip(SKIP_4) | instid1(VALU_DEP_1)
	v_mov_b32_e32 v135, v131
	ds_load_2addr_b64 v[130:133], v124 offset0:52 offset1:53
	v_pk_add_f32 v[8:9], v[8:9], v[134:135] neg_lo:[0,1] neg_hi:[0,1]
	s_wait_dscnt 0x0
	v_pk_mul_f32 v[134:135], v[130:131], v[122:123] op_sel:[0,1]
	v_pk_fma_f32 v[136:137], v[130:131], v[120:121], v[134:135] op_sel:[0,0,1] op_sel_hi:[1,1,0] neg_lo:[0,0,1] neg_hi:[0,0,1]
	v_pk_fma_f32 v[130:131], v[130:131], v[120:121], v[134:135] op_sel:[0,0,1] op_sel_hi:[1,0,0]
	s_delay_alu instid0(VALU_DEP_1) | instskip(SKIP_1) | instid1(VALU_DEP_1)
	v_mov_b32_e32 v137, v131
	v_pk_mul_f32 v[130:131], v[132:133], v[122:123] op_sel:[0,1]
	v_pk_fma_f32 v[134:135], v[132:133], v[120:121], v[130:131] op_sel:[0,0,1] op_sel_hi:[1,1,0] neg_lo:[0,0,1] neg_hi:[0,0,1]
	v_pk_fma_f32 v[130:131], v[132:133], v[120:121], v[130:131] op_sel:[0,0,1] op_sel_hi:[1,0,0]
	s_delay_alu instid0(VALU_DEP_1)
	v_mov_b32_e32 v135, v131
	ds_load_2addr_b64 v[130:133], v124 offset0:54 offset1:55
	v_pk_add_f32 v[6:7], v[6:7], v[136:137] neg_lo:[0,1] neg_hi:[0,1]
	v_pk_add_f32 v[28:29], v[28:29], v[134:135] neg_lo:[0,1] neg_hi:[0,1]
	s_wait_dscnt 0x0
	v_pk_mul_f32 v[134:135], v[130:131], v[122:123] op_sel:[0,1]
	s_delay_alu instid0(VALU_DEP_1) | instskip(SKIP_1) | instid1(VALU_DEP_1)
	v_pk_fma_f32 v[136:137], v[130:131], v[120:121], v[134:135] op_sel:[0,0,1] op_sel_hi:[1,1,0] neg_lo:[0,0,1] neg_hi:[0,0,1]
	v_pk_fma_f32 v[130:131], v[130:131], v[120:121], v[134:135] op_sel:[0,0,1] op_sel_hi:[1,0,0]
	v_mov_b32_e32 v137, v131
	v_pk_mul_f32 v[130:131], v[132:133], v[122:123] op_sel:[0,1]
	s_delay_alu instid0(VALU_DEP_1) | instskip(SKIP_1) | instid1(VALU_DEP_1)
	v_pk_fma_f32 v[134:135], v[132:133], v[120:121], v[130:131] op_sel:[0,0,1] op_sel_hi:[1,1,0] neg_lo:[0,0,1] neg_hi:[0,0,1]
	v_pk_fma_f32 v[130:131], v[132:133], v[120:121], v[130:131] op_sel:[0,0,1] op_sel_hi:[1,0,0]
	v_mov_b32_e32 v135, v131
	ds_load_b64 v[130:131], v124 offset:448
	v_pk_add_f32 v[18:19], v[18:19], v[136:137] neg_lo:[0,1] neg_hi:[0,1]
	v_pk_add_f32 v[16:17], v[16:17], v[134:135] neg_lo:[0,1] neg_hi:[0,1]
	s_wait_dscnt 0x0
	v_pk_mul_f32 v[122:123], v[130:131], v[122:123] op_sel:[0,1]
	s_delay_alu instid0(VALU_DEP_1) | instskip(SKIP_1) | instid1(VALU_DEP_1)
	v_pk_fma_f32 v[132:133], v[130:131], v[120:121], v[122:123] op_sel:[0,0,1] op_sel_hi:[1,1,0] neg_lo:[0,0,1] neg_hi:[0,0,1]
	v_pk_fma_f32 v[120:121], v[130:131], v[120:121], v[122:123] op_sel:[0,0,1] op_sel_hi:[1,0,0]
	v_mov_b32_e32 v133, v121
	s_delay_alu instid0(VALU_DEP_1)
	v_pk_add_f32 v[118:119], v[118:119], v[132:133] neg_lo:[0,1] neg_hi:[0,1]
.LBB112_167:
	s_or_b32 exec_lo, exec_lo, s0
	v_lshl_add_u32 v120, v128, 3, v124
	s_barrier_signal -1
	s_barrier_wait -1
	ds_store_b64 v120, v[104:105]
	s_wait_dscnt 0x0
	s_barrier_signal -1
	s_barrier_wait -1
	ds_load_b64 v[122:123], v124 offset:64
	v_mov_b32_e32 v120, 8
	s_cmp_lt_i32 s18, 10
	s_cbranch_scc1 .LBB112_170
; %bb.168:
	v_add3_u32 v121, v125, 0, 0x48
	v_mov_b32_e32 v120, 8
	s_mov_b32 s0, 9
.LBB112_169:                            ; =>This Inner Loop Header: Depth=1
	ds_load_b64 v[130:131], v121
	s_wait_dscnt 0x1
	v_cmp_gt_f32_e32 vcc_lo, 0, v122
	v_cndmask_b32_e64 v132, v122, -v122, vcc_lo
	v_cmp_gt_f32_e32 vcc_lo, 0, v123
	v_cndmask_b32_e64 v134, v123, -v123, vcc_lo
	s_wait_dscnt 0x0
	v_cmp_gt_f32_e32 vcc_lo, 0, v130
	v_cndmask_b32_e64 v133, v130, -v130, vcc_lo
	v_cmp_gt_f32_e32 vcc_lo, 0, v131
	v_cndmask_b32_e64 v135, v131, -v131, vcc_lo
	s_delay_alu instid0(VALU_DEP_1) | instskip(NEXT) | instid1(VALU_DEP_1)
	v_pk_add_f32 v[132:133], v[132:133], v[134:135]
	v_cmp_lt_f32_e32 vcc_lo, v132, v133
	v_dual_add_nc_u32 v121, 8, v121 :: v_dual_cndmask_b32 v123, v123, v131, vcc_lo
	v_cndmask_b32_e32 v122, v122, v130, vcc_lo
	v_cndmask_b32_e64 v120, v120, s0, vcc_lo
	s_add_co_i32 s0, s0, 1
	s_delay_alu instid0(SALU_CYCLE_1)
	s_cmp_lg_u32 s18, s0
	s_cbranch_scc1 .LBB112_169
.LBB112_170:
	s_wait_dscnt 0x0
	v_cmp_eq_f32_e32 vcc_lo, 0, v122
	v_cmp_eq_f32_e64 s0, 0, v123
	s_and_b32 s0, vcc_lo, s0
	s_delay_alu instid0(SALU_CYCLE_1) | instskip(NEXT) | instid1(SALU_CYCLE_1)
	s_and_saveexec_b32 s1, s0
	s_xor_b32 s0, exec_lo, s1
; %bb.171:
	v_cmp_ne_u32_e32 vcc_lo, 0, v126
	v_cndmask_b32_e32 v126, 9, v126, vcc_lo
; %bb.172:
	s_and_not1_saveexec_b32 s0, s0
	s_cbranch_execz .LBB112_178
; %bb.173:
	v_cmp_ngt_f32_e64 s1, |v122|, |v123|
	s_and_saveexec_b32 s12, s1
	s_delay_alu instid0(SALU_CYCLE_1)
	s_xor_b32 s1, exec_lo, s12
	s_cbranch_execz .LBB112_175
; %bb.174:
	v_div_scale_f32 v121, null, v123, v123, v122
	v_div_scale_f32 v131, vcc_lo, v122, v123, v122
	s_delay_alu instid0(VALU_DEP_2) | instskip(SKIP_1) | instid1(TRANS32_DEP_1)
	v_rcp_f32_e32 v129, v121
	v_nop
	v_fma_f32 v130, -v121, v129, 1.0
	s_delay_alu instid0(VALU_DEP_1) | instskip(NEXT) | instid1(VALU_DEP_1)
	v_fmac_f32_e32 v129, v130, v129
	v_mul_f32_e32 v130, v131, v129
	s_delay_alu instid0(VALU_DEP_1) | instskip(NEXT) | instid1(VALU_DEP_1)
	v_fma_f32 v132, -v121, v130, v131
	v_fmac_f32_e32 v130, v132, v129
	s_delay_alu instid0(VALU_DEP_1) | instskip(NEXT) | instid1(VALU_DEP_1)
	v_fma_f32 v121, -v121, v130, v131
	v_div_fmas_f32 v121, v121, v129, v130
	s_delay_alu instid0(VALU_DEP_1) | instskip(NEXT) | instid1(VALU_DEP_1)
	v_div_fixup_f32 v121, v121, v123, v122
	v_fmac_f32_e32 v123, v122, v121
	s_delay_alu instid0(VALU_DEP_1) | instskip(SKIP_1) | instid1(VALU_DEP_2)
	v_div_scale_f32 v122, null, v123, v123, 1.0
	v_div_scale_f32 v131, vcc_lo, 1.0, v123, 1.0
	v_rcp_f32_e32 v129, v122
	v_nop
	s_delay_alu instid0(TRANS32_DEP_1) | instskip(NEXT) | instid1(VALU_DEP_1)
	v_fma_f32 v130, -v122, v129, 1.0
	v_fmac_f32_e32 v129, v130, v129
	s_delay_alu instid0(VALU_DEP_1) | instskip(NEXT) | instid1(VALU_DEP_1)
	v_mul_f32_e32 v130, v131, v129
	v_fma_f32 v132, -v122, v130, v131
	s_delay_alu instid0(VALU_DEP_1) | instskip(NEXT) | instid1(VALU_DEP_1)
	v_fmac_f32_e32 v130, v132, v129
	v_fma_f32 v122, -v122, v130, v131
	s_delay_alu instid0(VALU_DEP_1) | instskip(NEXT) | instid1(VALU_DEP_1)
	v_div_fmas_f32 v122, v122, v129, v130
	v_div_fixup_f32 v123, v122, v123, 1.0
	s_delay_alu instid0(VALU_DEP_1)
	v_mul_f32_e32 v122, v121, v123
	v_xor_b32_e32 v123, 0x80000000, v123
.LBB112_175:
	s_and_not1_saveexec_b32 s1, s1
	s_cbranch_execz .LBB112_177
; %bb.176:
	s_delay_alu instid0(VALU_DEP_1) | instskip(SKIP_1) | instid1(VALU_DEP_2)
	v_div_scale_f32 v121, null, v122, v122, v123
	v_div_scale_f32 v131, vcc_lo, v123, v122, v123
	v_rcp_f32_e32 v129, v121
	v_nop
	s_delay_alu instid0(TRANS32_DEP_1) | instskip(NEXT) | instid1(VALU_DEP_1)
	v_fma_f32 v130, -v121, v129, 1.0
	v_fmac_f32_e32 v129, v130, v129
	s_delay_alu instid0(VALU_DEP_1) | instskip(NEXT) | instid1(VALU_DEP_1)
	v_mul_f32_e32 v130, v131, v129
	v_fma_f32 v132, -v121, v130, v131
	s_delay_alu instid0(VALU_DEP_1) | instskip(NEXT) | instid1(VALU_DEP_1)
	v_fmac_f32_e32 v130, v132, v129
	v_fma_f32 v121, -v121, v130, v131
	s_delay_alu instid0(VALU_DEP_1) | instskip(NEXT) | instid1(VALU_DEP_1)
	v_div_fmas_f32 v121, v121, v129, v130
	v_div_fixup_f32 v121, v121, v122, v123
	s_delay_alu instid0(VALU_DEP_1) | instskip(NEXT) | instid1(VALU_DEP_1)
	v_fmac_f32_e32 v122, v123, v121
	v_div_scale_f32 v123, null, v122, v122, 1.0
	s_delay_alu instid0(VALU_DEP_1) | instskip(SKIP_1) | instid1(TRANS32_DEP_1)
	v_rcp_f32_e32 v129, v123
	v_nop
	v_fma_f32 v130, -v123, v129, 1.0
	s_delay_alu instid0(VALU_DEP_1) | instskip(SKIP_1) | instid1(VALU_DEP_1)
	v_fmac_f32_e32 v129, v130, v129
	v_div_scale_f32 v130, vcc_lo, 1.0, v122, 1.0
	v_mul_f32_e32 v131, v130, v129
	s_delay_alu instid0(VALU_DEP_1) | instskip(NEXT) | instid1(VALU_DEP_1)
	v_fma_f32 v132, -v123, v131, v130
	v_fmac_f32_e32 v131, v132, v129
	s_delay_alu instid0(VALU_DEP_1) | instskip(NEXT) | instid1(VALU_DEP_1)
	v_fma_f32 v123, -v123, v131, v130
	v_div_fmas_f32 v123, v123, v129, v131
	s_delay_alu instid0(VALU_DEP_1) | instskip(NEXT) | instid1(VALU_DEP_1)
	v_div_fixup_f32 v122, v123, v122, 1.0
	v_mul_f32_e64 v123, v121, -v122
.LBB112_177:
	s_or_b32 exec_lo, exec_lo, s1
.LBB112_178:
	s_delay_alu instid0(SALU_CYCLE_1) | instskip(NEXT) | instid1(SALU_CYCLE_1)
	s_or_b32 exec_lo, exec_lo, s0
	s_mov_b32 s0, exec_lo
	v_cmpx_ne_u32_e64 v128, v120
	s_xor_b32 s0, exec_lo, s0
	s_cbranch_execz .LBB112_184
; %bb.179:
	s_mov_b32 s1, exec_lo
	v_cmpx_eq_u32_e32 8, v128
	s_cbranch_execz .LBB112_183
; %bb.180:
	v_cmp_ne_u32_e32 vcc_lo, 8, v120
	s_xor_b32 s12, s16, -1
	s_delay_alu instid0(SALU_CYCLE_1) | instskip(NEXT) | instid1(SALU_CYCLE_1)
	s_and_b32 s13, s12, vcc_lo
	s_and_saveexec_b32 s12, s13
	s_cbranch_execz .LBB112_182
; %bb.181:
	v_ashrrev_i32_e32 v121, 31, v120
	s_delay_alu instid0(VALU_DEP_1)
	v_lshl_add_u64 v[128:129], v[120:121], 2, v[4:5]
	s_clause 0x1
	global_load_b32 v121, v[128:129], off
	global_load_b32 v127, v[4:5], off offset:32
	s_wait_loadcnt 0x1
	global_store_b32 v[4:5], v121, off offset:32
	s_wait_loadcnt 0x0
	global_store_b32 v[128:129], v127, off
.LBB112_182:
	s_wait_xcnt 0x0
	s_or_b32 exec_lo, exec_lo, s12
	v_dual_mov_b32 v128, v120 :: v_dual_mov_b32 v127, v120
.LBB112_183:
	s_or_b32 exec_lo, exec_lo, s1
.LBB112_184:
	s_and_not1_saveexec_b32 s0, s0
	s_cbranch_execz .LBB112_186
; %bb.185:
	v_mov_b32_e32 v128, 8
	ds_store_2addr_b64 v124, v[100:101], v[102:103] offset0:9 offset1:10
	ds_store_2addr_b64 v124, v[98:99], v[96:97] offset0:11 offset1:12
	;; [unrolled: 1-line block ×24, first 2 shown]
.LBB112_186:
	s_or_b32 exec_lo, exec_lo, s0
	s_delay_alu instid0(SALU_CYCLE_1)
	s_mov_b32 s0, exec_lo
	s_wait_storecnt_dscnt 0x0
	s_barrier_signal -1
	s_barrier_wait -1
	v_cmpx_lt_i32_e32 8, v128
	s_cbranch_execz .LBB112_188
; %bb.187:
	v_pk_mul_f32 v[130:131], v[122:123], v[104:105] op_sel:[1,1] op_sel_hi:[0,1]
	s_delay_alu instid0(VALU_DEP_1)
	v_pk_fma_f32 v[120:121], v[122:123], v[104:105], v[130:131] op_sel_hi:[1,0,1] neg_lo:[0,0,1] neg_hi:[0,0,1]
	v_pk_fma_f32 v[122:123], v[122:123], v[104:105], v[130:131] op_sel_hi:[1,0,1]
	ds_load_2addr_b64 v[130:133], v124 offset0:9 offset1:10
	v_dual_mov_b32 v104, v120 :: v_dual_mov_b32 v105, v123
	s_wait_dscnt 0x0
	v_pk_mul_f32 v[134:135], v[130:131], v[122:123] op_sel:[0,1]
	s_delay_alu instid0(VALU_DEP_1) | instskip(SKIP_1) | instid1(VALU_DEP_1)
	v_pk_fma_f32 v[136:137], v[130:131], v[120:121], v[134:135] op_sel:[0,0,1] op_sel_hi:[1,1,0] neg_lo:[0,0,1] neg_hi:[0,0,1]
	v_pk_fma_f32 v[130:131], v[130:131], v[120:121], v[134:135] op_sel:[0,0,1] op_sel_hi:[1,0,0]
	v_mov_b32_e32 v137, v131
	v_pk_mul_f32 v[130:131], v[132:133], v[122:123] op_sel:[0,1]
	s_delay_alu instid0(VALU_DEP_1) | instskip(SKIP_1) | instid1(VALU_DEP_1)
	v_pk_fma_f32 v[134:135], v[132:133], v[120:121], v[130:131] op_sel:[0,0,1] op_sel_hi:[1,1,0] neg_lo:[0,0,1] neg_hi:[0,0,1]
	v_pk_fma_f32 v[130:131], v[132:133], v[120:121], v[130:131] op_sel:[0,0,1] op_sel_hi:[1,0,0]
	v_mov_b32_e32 v135, v131
	ds_load_2addr_b64 v[130:133], v124 offset0:11 offset1:12
	v_pk_add_f32 v[100:101], v[100:101], v[136:137] neg_lo:[0,1] neg_hi:[0,1]
	v_pk_add_f32 v[102:103], v[102:103], v[134:135] neg_lo:[0,1] neg_hi:[0,1]
	s_wait_dscnt 0x0
	v_pk_mul_f32 v[134:135], v[130:131], v[122:123] op_sel:[0,1]
	s_delay_alu instid0(VALU_DEP_1) | instskip(SKIP_2) | instid1(VALU_DEP_2)
	v_pk_fma_f32 v[136:137], v[130:131], v[120:121], v[134:135] op_sel:[0,0,1] op_sel_hi:[1,1,0] neg_lo:[0,0,1] neg_hi:[0,0,1]
	v_pk_fma_f32 v[130:131], v[130:131], v[120:121], v[134:135] op_sel:[0,0,1] op_sel_hi:[1,0,0]
	v_dual_mul_f32 v134, v133, v123 :: v_dual_mov_b32 v130, v133
	v_dual_mov_b32 v137, v131 :: v_dual_mov_b32 v131, v132
	s_delay_alu instid0(VALU_DEP_2) | instskip(SKIP_1) | instid1(VALU_DEP_3)
	v_pk_fma_f32 v[134:135], v[132:133], v[104:105], v[134:135] op_sel_hi:[1,1,0] neg_lo:[0,0,1] neg_hi:[0,0,1]
	v_mul_f32_e32 v132, v133, v120
	v_pk_add_f32 v[98:99], v[98:99], v[136:137] neg_lo:[0,1] neg_hi:[0,1]
	s_delay_alu instid0(VALU_DEP_2) | instskip(NEXT) | instid1(VALU_DEP_1)
	v_pk_fma_f32 v[130:131], v[130:131], v[104:105], v[132:133] op_sel_hi:[1,1,0]
	v_mov_b32_e32 v135, v131
	ds_load_2addr_b64 v[130:133], v124 offset0:13 offset1:14
	v_pk_add_f32 v[96:97], v[96:97], v[134:135] neg_lo:[0,1] neg_hi:[0,1]
	s_wait_dscnt 0x0
	v_pk_mul_f32 v[134:135], v[130:131], v[122:123] op_sel:[0,1]
	s_delay_alu instid0(VALU_DEP_1) | instskip(SKIP_1) | instid1(VALU_DEP_1)
	v_pk_fma_f32 v[136:137], v[130:131], v[120:121], v[134:135] op_sel:[0,0,1] op_sel_hi:[1,1,0] neg_lo:[0,0,1] neg_hi:[0,0,1]
	v_pk_fma_f32 v[130:131], v[130:131], v[120:121], v[134:135] op_sel:[0,0,1] op_sel_hi:[1,0,0]
	v_mov_b32_e32 v137, v131
	v_pk_mul_f32 v[130:131], v[132:133], v[122:123] op_sel:[0,1]
	s_delay_alu instid0(VALU_DEP_1) | instskip(SKIP_1) | instid1(VALU_DEP_1)
	v_pk_fma_f32 v[134:135], v[132:133], v[120:121], v[130:131] op_sel:[0,0,1] op_sel_hi:[1,1,0] neg_lo:[0,0,1] neg_hi:[0,0,1]
	v_pk_fma_f32 v[130:131], v[132:133], v[120:121], v[130:131] op_sel:[0,0,1] op_sel_hi:[1,0,0]
	v_mov_b32_e32 v135, v131
	ds_load_2addr_b64 v[130:133], v124 offset0:15 offset1:16
	v_pk_add_f32 v[92:93], v[92:93], v[136:137] neg_lo:[0,1] neg_hi:[0,1]
	v_pk_add_f32 v[94:95], v[94:95], v[134:135] neg_lo:[0,1] neg_hi:[0,1]
	s_wait_dscnt 0x0
	v_pk_mul_f32 v[134:135], v[130:131], v[122:123] op_sel:[0,1]
	s_delay_alu instid0(VALU_DEP_1) | instskip(SKIP_1) | instid1(VALU_DEP_1)
	v_pk_fma_f32 v[136:137], v[130:131], v[120:121], v[134:135] op_sel:[0,0,1] op_sel_hi:[1,1,0] neg_lo:[0,0,1] neg_hi:[0,0,1]
	v_pk_fma_f32 v[130:131], v[130:131], v[120:121], v[134:135] op_sel:[0,0,1] op_sel_hi:[1,0,0]
	v_mov_b32_e32 v137, v131
	v_pk_mul_f32 v[130:131], v[132:133], v[122:123] op_sel:[0,1]
	s_delay_alu instid0(VALU_DEP_1) | instskip(SKIP_1) | instid1(VALU_DEP_1)
	v_pk_fma_f32 v[134:135], v[132:133], v[120:121], v[130:131] op_sel:[0,0,1] op_sel_hi:[1,1,0] neg_lo:[0,0,1] neg_hi:[0,0,1]
	v_pk_fma_f32 v[130:131], v[132:133], v[120:121], v[130:131] op_sel:[0,0,1] op_sel_hi:[1,0,0]
	v_mov_b32_e32 v135, v131
	ds_load_2addr_b64 v[130:133], v124 offset0:17 offset1:18
	v_pk_add_f32 v[90:91], v[90:91], v[136:137] neg_lo:[0,1] neg_hi:[0,1]
	v_pk_add_f32 v[84:85], v[84:85], v[134:135] neg_lo:[0,1] neg_hi:[0,1]
	s_wait_dscnt 0x0
	v_dual_mul_f32 v134, v131, v123 :: v_dual_mul_f32 v136, v131, v120
	s_delay_alu instid0(VALU_DEP_1) | instskip(NEXT) | instid1(VALU_DEP_2)
	v_pk_fma_f32 v[134:135], v[130:131], v[104:105], v[134:135] op_sel_hi:[1,1,0] neg_lo:[0,0,1] neg_hi:[0,0,1]
	v_pk_fma_f32 v[130:131], v[130:131], v[104:105], v[136:137] op_sel:[1,0,0] op_sel_hi:[0,1,0]
	s_delay_alu instid0(VALU_DEP_1) | instskip(SKIP_1) | instid1(VALU_DEP_2)
	v_mov_b32_e32 v135, v131
	v_pk_mul_f32 v[130:131], v[132:133], v[122:123] op_sel:[0,1]
	v_pk_add_f32 v[80:81], v[80:81], v[134:135] neg_lo:[0,1] neg_hi:[0,1]
	s_delay_alu instid0(VALU_DEP_2) | instskip(SKIP_1) | instid1(VALU_DEP_1)
	v_pk_fma_f32 v[134:135], v[132:133], v[120:121], v[130:131] op_sel:[0,0,1] op_sel_hi:[1,1,0] neg_lo:[0,0,1] neg_hi:[0,0,1]
	v_pk_fma_f32 v[130:131], v[132:133], v[120:121], v[130:131] op_sel:[0,0,1] op_sel_hi:[1,0,0]
	v_mov_b32_e32 v135, v131
	ds_load_2addr_b64 v[130:133], v124 offset0:19 offset1:20
	v_pk_add_f32 v[82:83], v[82:83], v[134:135] neg_lo:[0,1] neg_hi:[0,1]
	s_wait_dscnt 0x0
	v_pk_mul_f32 v[134:135], v[130:131], v[122:123] op_sel:[0,1]
	s_delay_alu instid0(VALU_DEP_1) | instskip(SKIP_1) | instid1(VALU_DEP_1)
	v_pk_fma_f32 v[136:137], v[130:131], v[120:121], v[134:135] op_sel:[0,0,1] op_sel_hi:[1,1,0] neg_lo:[0,0,1] neg_hi:[0,0,1]
	v_pk_fma_f32 v[130:131], v[130:131], v[120:121], v[134:135] op_sel:[0,0,1] op_sel_hi:[1,0,0]
	v_mov_b32_e32 v137, v131
	v_pk_mul_f32 v[130:131], v[132:133], v[122:123] op_sel:[0,1]
	s_delay_alu instid0(VALU_DEP_2) | instskip(NEXT) | instid1(VALU_DEP_2)
	v_pk_add_f32 v[78:79], v[78:79], v[136:137] neg_lo:[0,1] neg_hi:[0,1]
	v_pk_fma_f32 v[134:135], v[132:133], v[120:121], v[130:131] op_sel:[0,0,1] op_sel_hi:[1,1,0] neg_lo:[0,0,1] neg_hi:[0,0,1]
	v_pk_fma_f32 v[130:131], v[132:133], v[120:121], v[130:131] op_sel:[0,0,1] op_sel_hi:[1,0,0]
	s_delay_alu instid0(VALU_DEP_1) | instskip(SKIP_4) | instid1(VALU_DEP_1)
	v_mov_b32_e32 v135, v131
	ds_load_2addr_b64 v[130:133], v124 offset0:21 offset1:22
	v_pk_add_f32 v[76:77], v[76:77], v[134:135] neg_lo:[0,1] neg_hi:[0,1]
	s_wait_dscnt 0x0
	v_pk_mul_f32 v[134:135], v[130:131], v[122:123] op_sel:[0,1]
	v_pk_fma_f32 v[136:137], v[130:131], v[120:121], v[134:135] op_sel:[0,0,1] op_sel_hi:[1,1,0] neg_lo:[0,0,1] neg_hi:[0,0,1]
	v_pk_fma_f32 v[130:131], v[130:131], v[120:121], v[134:135] op_sel:[0,0,1] op_sel_hi:[1,0,0]
	v_dual_mul_f32 v134, v133, v123 :: v_dual_mov_b32 v130, v133
	s_delay_alu instid0(VALU_DEP_2) | instskip(NEXT) | instid1(VALU_DEP_2)
	v_dual_mov_b32 v137, v131 :: v_dual_mov_b32 v131, v132
	v_pk_fma_f32 v[134:135], v[132:133], v[104:105], v[134:135] op_sel_hi:[1,1,0] neg_lo:[0,0,1] neg_hi:[0,0,1]
	v_mul_f32_e32 v132, v133, v120
	s_delay_alu instid0(VALU_DEP_3) | instskip(NEXT) | instid1(VALU_DEP_2)
	v_pk_add_f32 v[72:73], v[72:73], v[136:137] neg_lo:[0,1] neg_hi:[0,1]
	v_pk_fma_f32 v[130:131], v[130:131], v[104:105], v[132:133] op_sel_hi:[1,1,0]
	s_delay_alu instid0(VALU_DEP_1) | instskip(SKIP_4) | instid1(VALU_DEP_1)
	v_mov_b32_e32 v135, v131
	ds_load_2addr_b64 v[130:133], v124 offset0:23 offset1:24
	v_pk_add_f32 v[74:75], v[74:75], v[134:135] neg_lo:[0,1] neg_hi:[0,1]
	s_wait_dscnt 0x0
	v_pk_mul_f32 v[134:135], v[130:131], v[122:123] op_sel:[0,1]
	v_pk_fma_f32 v[136:137], v[130:131], v[120:121], v[134:135] op_sel:[0,0,1] op_sel_hi:[1,1,0] neg_lo:[0,0,1] neg_hi:[0,0,1]
	v_pk_fma_f32 v[130:131], v[130:131], v[120:121], v[134:135] op_sel:[0,0,1] op_sel_hi:[1,0,0]
	s_delay_alu instid0(VALU_DEP_1) | instskip(SKIP_1) | instid1(VALU_DEP_1)
	v_mov_b32_e32 v137, v131
	v_pk_mul_f32 v[130:131], v[132:133], v[122:123] op_sel:[0,1]
	v_pk_fma_f32 v[134:135], v[132:133], v[120:121], v[130:131] op_sel:[0,0,1] op_sel_hi:[1,1,0] neg_lo:[0,0,1] neg_hi:[0,0,1]
	v_pk_fma_f32 v[130:131], v[132:133], v[120:121], v[130:131] op_sel:[0,0,1] op_sel_hi:[1,0,0]
	s_delay_alu instid0(VALU_DEP_1)
	v_mov_b32_e32 v135, v131
	ds_load_2addr_b64 v[130:133], v124 offset0:25 offset1:26
	v_pk_add_f32 v[70:71], v[70:71], v[136:137] neg_lo:[0,1] neg_hi:[0,1]
	v_pk_add_f32 v[68:69], v[68:69], v[134:135] neg_lo:[0,1] neg_hi:[0,1]
	s_wait_dscnt 0x0
	v_pk_mul_f32 v[134:135], v[130:131], v[122:123] op_sel:[0,1]
	s_delay_alu instid0(VALU_DEP_1) | instskip(SKIP_1) | instid1(VALU_DEP_1)
	v_pk_fma_f32 v[136:137], v[130:131], v[120:121], v[134:135] op_sel:[0,0,1] op_sel_hi:[1,1,0] neg_lo:[0,0,1] neg_hi:[0,0,1]
	v_pk_fma_f32 v[130:131], v[130:131], v[120:121], v[134:135] op_sel:[0,0,1] op_sel_hi:[1,0,0]
	v_mov_b32_e32 v137, v131
	v_pk_mul_f32 v[130:131], v[132:133], v[122:123] op_sel:[0,1]
	s_delay_alu instid0(VALU_DEP_1) | instskip(SKIP_1) | instid1(VALU_DEP_1)
	v_pk_fma_f32 v[134:135], v[132:133], v[120:121], v[130:131] op_sel:[0,0,1] op_sel_hi:[1,1,0] neg_lo:[0,0,1] neg_hi:[0,0,1]
	v_pk_fma_f32 v[130:131], v[132:133], v[120:121], v[130:131] op_sel:[0,0,1] op_sel_hi:[1,0,0]
	v_mov_b32_e32 v135, v131
	ds_load_2addr_b64 v[130:133], v124 offset0:27 offset1:28
	v_pk_add_f32 v[64:65], v[64:65], v[136:137] neg_lo:[0,1] neg_hi:[0,1]
	v_pk_add_f32 v[66:67], v[66:67], v[134:135] neg_lo:[0,1] neg_hi:[0,1]
	s_wait_dscnt 0x0
	v_dual_mul_f32 v134, v131, v123 :: v_dual_mul_f32 v136, v131, v120
	s_delay_alu instid0(VALU_DEP_1) | instskip(NEXT) | instid1(VALU_DEP_2)
	v_pk_fma_f32 v[134:135], v[130:131], v[104:105], v[134:135] op_sel_hi:[1,1,0] neg_lo:[0,0,1] neg_hi:[0,0,1]
	v_pk_fma_f32 v[130:131], v[130:131], v[104:105], v[136:137] op_sel:[1,0,0] op_sel_hi:[0,1,0]
	s_delay_alu instid0(VALU_DEP_1) | instskip(SKIP_1) | instid1(VALU_DEP_2)
	v_mov_b32_e32 v135, v131
	v_pk_mul_f32 v[130:131], v[132:133], v[122:123] op_sel:[0,1]
	v_pk_add_f32 v[62:63], v[62:63], v[134:135] neg_lo:[0,1] neg_hi:[0,1]
	s_delay_alu instid0(VALU_DEP_2) | instskip(SKIP_1) | instid1(VALU_DEP_1)
	v_pk_fma_f32 v[134:135], v[132:133], v[120:121], v[130:131] op_sel:[0,0,1] op_sel_hi:[1,1,0] neg_lo:[0,0,1] neg_hi:[0,0,1]
	v_pk_fma_f32 v[130:131], v[132:133], v[120:121], v[130:131] op_sel:[0,0,1] op_sel_hi:[1,0,0]
	v_mov_b32_e32 v135, v131
	ds_load_2addr_b64 v[130:133], v124 offset0:29 offset1:30
	v_pk_add_f32 v[60:61], v[60:61], v[134:135] neg_lo:[0,1] neg_hi:[0,1]
	s_wait_dscnt 0x0
	v_pk_mul_f32 v[134:135], v[130:131], v[122:123] op_sel:[0,1]
	s_delay_alu instid0(VALU_DEP_1) | instskip(SKIP_1) | instid1(VALU_DEP_1)
	v_pk_fma_f32 v[136:137], v[130:131], v[120:121], v[134:135] op_sel:[0,0,1] op_sel_hi:[1,1,0] neg_lo:[0,0,1] neg_hi:[0,0,1]
	v_pk_fma_f32 v[130:131], v[130:131], v[120:121], v[134:135] op_sel:[0,0,1] op_sel_hi:[1,0,0]
	v_mov_b32_e32 v137, v131
	v_pk_mul_f32 v[130:131], v[132:133], v[122:123] op_sel:[0,1]
	s_delay_alu instid0(VALU_DEP_2) | instskip(NEXT) | instid1(VALU_DEP_2)
	v_pk_add_f32 v[56:57], v[56:57], v[136:137] neg_lo:[0,1] neg_hi:[0,1]
	v_pk_fma_f32 v[134:135], v[132:133], v[120:121], v[130:131] op_sel:[0,0,1] op_sel_hi:[1,1,0] neg_lo:[0,0,1] neg_hi:[0,0,1]
	v_pk_fma_f32 v[130:131], v[132:133], v[120:121], v[130:131] op_sel:[0,0,1] op_sel_hi:[1,0,0]
	s_delay_alu instid0(VALU_DEP_1) | instskip(SKIP_4) | instid1(VALU_DEP_1)
	v_mov_b32_e32 v135, v131
	ds_load_2addr_b64 v[130:133], v124 offset0:31 offset1:32
	v_pk_add_f32 v[58:59], v[58:59], v[134:135] neg_lo:[0,1] neg_hi:[0,1]
	s_wait_dscnt 0x0
	v_pk_mul_f32 v[134:135], v[130:131], v[122:123] op_sel:[0,1]
	v_pk_fma_f32 v[136:137], v[130:131], v[120:121], v[134:135] op_sel:[0,0,1] op_sel_hi:[1,1,0] neg_lo:[0,0,1] neg_hi:[0,0,1]
	v_pk_fma_f32 v[130:131], v[130:131], v[120:121], v[134:135] op_sel:[0,0,1] op_sel_hi:[1,0,0]
	v_dual_mul_f32 v134, v133, v123 :: v_dual_mov_b32 v130, v133
	s_delay_alu instid0(VALU_DEP_2) | instskip(NEXT) | instid1(VALU_DEP_2)
	v_dual_mov_b32 v137, v131 :: v_dual_mov_b32 v131, v132
	v_pk_fma_f32 v[134:135], v[132:133], v[104:105], v[134:135] op_sel_hi:[1,1,0] neg_lo:[0,0,1] neg_hi:[0,0,1]
	v_mul_f32_e32 v132, v133, v120
	s_delay_alu instid0(VALU_DEP_3) | instskip(NEXT) | instid1(VALU_DEP_2)
	v_pk_add_f32 v[54:55], v[54:55], v[136:137] neg_lo:[0,1] neg_hi:[0,1]
	v_pk_fma_f32 v[130:131], v[130:131], v[104:105], v[132:133] op_sel_hi:[1,1,0]
	s_delay_alu instid0(VALU_DEP_1) | instskip(SKIP_4) | instid1(VALU_DEP_1)
	v_mov_b32_e32 v135, v131
	ds_load_2addr_b64 v[130:133], v124 offset0:33 offset1:34
	v_pk_add_f32 v[52:53], v[52:53], v[134:135] neg_lo:[0,1] neg_hi:[0,1]
	s_wait_dscnt 0x0
	v_pk_mul_f32 v[134:135], v[130:131], v[122:123] op_sel:[0,1]
	v_pk_fma_f32 v[136:137], v[130:131], v[120:121], v[134:135] op_sel:[0,0,1] op_sel_hi:[1,1,0] neg_lo:[0,0,1] neg_hi:[0,0,1]
	v_pk_fma_f32 v[130:131], v[130:131], v[120:121], v[134:135] op_sel:[0,0,1] op_sel_hi:[1,0,0]
	s_delay_alu instid0(VALU_DEP_1) | instskip(SKIP_1) | instid1(VALU_DEP_1)
	v_mov_b32_e32 v137, v131
	v_pk_mul_f32 v[130:131], v[132:133], v[122:123] op_sel:[0,1]
	v_pk_fma_f32 v[134:135], v[132:133], v[120:121], v[130:131] op_sel:[0,0,1] op_sel_hi:[1,1,0] neg_lo:[0,0,1] neg_hi:[0,0,1]
	v_pk_fma_f32 v[130:131], v[132:133], v[120:121], v[130:131] op_sel:[0,0,1] op_sel_hi:[1,0,0]
	s_delay_alu instid0(VALU_DEP_1)
	v_mov_b32_e32 v135, v131
	ds_load_2addr_b64 v[130:133], v124 offset0:35 offset1:36
	v_pk_add_f32 v[48:49], v[48:49], v[136:137] neg_lo:[0,1] neg_hi:[0,1]
	v_pk_add_f32 v[50:51], v[50:51], v[134:135] neg_lo:[0,1] neg_hi:[0,1]
	s_wait_dscnt 0x0
	v_pk_mul_f32 v[134:135], v[130:131], v[122:123] op_sel:[0,1]
	s_delay_alu instid0(VALU_DEP_1) | instskip(SKIP_1) | instid1(VALU_DEP_1)
	v_pk_fma_f32 v[136:137], v[130:131], v[120:121], v[134:135] op_sel:[0,0,1] op_sel_hi:[1,1,0] neg_lo:[0,0,1] neg_hi:[0,0,1]
	v_pk_fma_f32 v[130:131], v[130:131], v[120:121], v[134:135] op_sel:[0,0,1] op_sel_hi:[1,0,0]
	v_mov_b32_e32 v137, v131
	v_pk_mul_f32 v[130:131], v[132:133], v[122:123] op_sel:[0,1]
	s_delay_alu instid0(VALU_DEP_1) | instskip(SKIP_1) | instid1(VALU_DEP_1)
	v_pk_fma_f32 v[134:135], v[132:133], v[120:121], v[130:131] op_sel:[0,0,1] op_sel_hi:[1,1,0] neg_lo:[0,0,1] neg_hi:[0,0,1]
	v_pk_fma_f32 v[130:131], v[132:133], v[120:121], v[130:131] op_sel:[0,0,1] op_sel_hi:[1,0,0]
	v_mov_b32_e32 v135, v131
	ds_load_2addr_b64 v[130:133], v124 offset0:37 offset1:38
	v_pk_add_f32 v[46:47], v[46:47], v[136:137] neg_lo:[0,1] neg_hi:[0,1]
	v_pk_add_f32 v[44:45], v[44:45], v[134:135] neg_lo:[0,1] neg_hi:[0,1]
	s_wait_dscnt 0x0
	v_dual_mul_f32 v134, v131, v123 :: v_dual_mul_f32 v136, v131, v120
	s_delay_alu instid0(VALU_DEP_1) | instskip(NEXT) | instid1(VALU_DEP_2)
	v_pk_fma_f32 v[134:135], v[130:131], v[104:105], v[134:135] op_sel_hi:[1,1,0] neg_lo:[0,0,1] neg_hi:[0,0,1]
	v_pk_fma_f32 v[130:131], v[130:131], v[104:105], v[136:137] op_sel:[1,0,0] op_sel_hi:[0,1,0]
	s_delay_alu instid0(VALU_DEP_1) | instskip(SKIP_1) | instid1(VALU_DEP_2)
	v_mov_b32_e32 v135, v131
	v_pk_mul_f32 v[130:131], v[132:133], v[122:123] op_sel:[0,1]
	v_pk_add_f32 v[40:41], v[40:41], v[134:135] neg_lo:[0,1] neg_hi:[0,1]
	s_delay_alu instid0(VALU_DEP_2) | instskip(SKIP_1) | instid1(VALU_DEP_1)
	v_pk_fma_f32 v[134:135], v[132:133], v[120:121], v[130:131] op_sel:[0,0,1] op_sel_hi:[1,1,0] neg_lo:[0,0,1] neg_hi:[0,0,1]
	v_pk_fma_f32 v[130:131], v[132:133], v[120:121], v[130:131] op_sel:[0,0,1] op_sel_hi:[1,0,0]
	v_mov_b32_e32 v135, v131
	ds_load_2addr_b64 v[130:133], v124 offset0:39 offset1:40
	v_pk_add_f32 v[42:43], v[42:43], v[134:135] neg_lo:[0,1] neg_hi:[0,1]
	s_wait_dscnt 0x0
	v_pk_mul_f32 v[134:135], v[130:131], v[122:123] op_sel:[0,1]
	s_delay_alu instid0(VALU_DEP_1) | instskip(SKIP_1) | instid1(VALU_DEP_1)
	v_pk_fma_f32 v[136:137], v[130:131], v[120:121], v[134:135] op_sel:[0,0,1] op_sel_hi:[1,1,0] neg_lo:[0,0,1] neg_hi:[0,0,1]
	v_pk_fma_f32 v[130:131], v[130:131], v[120:121], v[134:135] op_sel:[0,0,1] op_sel_hi:[1,0,0]
	v_mov_b32_e32 v137, v131
	v_pk_mul_f32 v[130:131], v[132:133], v[122:123] op_sel:[0,1]
	s_delay_alu instid0(VALU_DEP_2) | instskip(NEXT) | instid1(VALU_DEP_2)
	v_pk_add_f32 v[38:39], v[38:39], v[136:137] neg_lo:[0,1] neg_hi:[0,1]
	v_pk_fma_f32 v[134:135], v[132:133], v[120:121], v[130:131] op_sel:[0,0,1] op_sel_hi:[1,1,0] neg_lo:[0,0,1] neg_hi:[0,0,1]
	v_pk_fma_f32 v[130:131], v[132:133], v[120:121], v[130:131] op_sel:[0,0,1] op_sel_hi:[1,0,0]
	s_delay_alu instid0(VALU_DEP_1) | instskip(SKIP_4) | instid1(VALU_DEP_1)
	v_mov_b32_e32 v135, v131
	ds_load_2addr_b64 v[130:133], v124 offset0:41 offset1:42
	v_pk_add_f32 v[36:37], v[36:37], v[134:135] neg_lo:[0,1] neg_hi:[0,1]
	s_wait_dscnt 0x0
	v_pk_mul_f32 v[134:135], v[130:131], v[122:123] op_sel:[0,1]
	v_pk_fma_f32 v[136:137], v[130:131], v[120:121], v[134:135] op_sel:[0,0,1] op_sel_hi:[1,1,0] neg_lo:[0,0,1] neg_hi:[0,0,1]
	v_pk_fma_f32 v[130:131], v[130:131], v[120:121], v[134:135] op_sel:[0,0,1] op_sel_hi:[1,0,0]
	v_dual_mul_f32 v134, v133, v123 :: v_dual_mov_b32 v130, v133
	s_delay_alu instid0(VALU_DEP_2) | instskip(NEXT) | instid1(VALU_DEP_2)
	v_dual_mov_b32 v137, v131 :: v_dual_mov_b32 v131, v132
	v_pk_fma_f32 v[134:135], v[132:133], v[104:105], v[134:135] op_sel_hi:[1,1,0] neg_lo:[0,0,1] neg_hi:[0,0,1]
	v_mul_f32_e32 v132, v133, v120
	s_delay_alu instid0(VALU_DEP_3) | instskip(NEXT) | instid1(VALU_DEP_2)
	v_pk_add_f32 v[32:33], v[32:33], v[136:137] neg_lo:[0,1] neg_hi:[0,1]
	v_pk_fma_f32 v[130:131], v[130:131], v[104:105], v[132:133] op_sel_hi:[1,1,0]
	s_delay_alu instid0(VALU_DEP_1) | instskip(SKIP_4) | instid1(VALU_DEP_1)
	v_mov_b32_e32 v135, v131
	ds_load_2addr_b64 v[130:133], v124 offset0:43 offset1:44
	v_pk_add_f32 v[34:35], v[34:35], v[134:135] neg_lo:[0,1] neg_hi:[0,1]
	s_wait_dscnt 0x0
	v_pk_mul_f32 v[134:135], v[130:131], v[122:123] op_sel:[0,1]
	v_pk_fma_f32 v[136:137], v[130:131], v[120:121], v[134:135] op_sel:[0,0,1] op_sel_hi:[1,1,0] neg_lo:[0,0,1] neg_hi:[0,0,1]
	v_pk_fma_f32 v[130:131], v[130:131], v[120:121], v[134:135] op_sel:[0,0,1] op_sel_hi:[1,0,0]
	s_delay_alu instid0(VALU_DEP_1) | instskip(SKIP_1) | instid1(VALU_DEP_1)
	v_mov_b32_e32 v137, v131
	v_pk_mul_f32 v[130:131], v[132:133], v[122:123] op_sel:[0,1]
	v_pk_fma_f32 v[134:135], v[132:133], v[120:121], v[130:131] op_sel:[0,0,1] op_sel_hi:[1,1,0] neg_lo:[0,0,1] neg_hi:[0,0,1]
	v_pk_fma_f32 v[130:131], v[132:133], v[120:121], v[130:131] op_sel:[0,0,1] op_sel_hi:[1,0,0]
	s_delay_alu instid0(VALU_DEP_1)
	v_mov_b32_e32 v135, v131
	ds_load_2addr_b64 v[130:133], v124 offset0:45 offset1:46
	v_pk_add_f32 v[30:31], v[30:31], v[136:137] neg_lo:[0,1] neg_hi:[0,1]
	v_pk_add_f32 v[26:27], v[26:27], v[134:135] neg_lo:[0,1] neg_hi:[0,1]
	s_wait_dscnt 0x0
	v_pk_mul_f32 v[134:135], v[130:131], v[122:123] op_sel:[0,1]
	s_delay_alu instid0(VALU_DEP_1) | instskip(SKIP_1) | instid1(VALU_DEP_1)
	v_pk_fma_f32 v[136:137], v[130:131], v[120:121], v[134:135] op_sel:[0,0,1] op_sel_hi:[1,1,0] neg_lo:[0,0,1] neg_hi:[0,0,1]
	v_pk_fma_f32 v[130:131], v[130:131], v[120:121], v[134:135] op_sel:[0,0,1] op_sel_hi:[1,0,0]
	v_mov_b32_e32 v137, v131
	v_pk_mul_f32 v[130:131], v[132:133], v[122:123] op_sel:[0,1]
	s_delay_alu instid0(VALU_DEP_1) | instskip(SKIP_1) | instid1(VALU_DEP_1)
	v_pk_fma_f32 v[134:135], v[132:133], v[120:121], v[130:131] op_sel:[0,0,1] op_sel_hi:[1,1,0] neg_lo:[0,0,1] neg_hi:[0,0,1]
	v_pk_fma_f32 v[130:131], v[132:133], v[120:121], v[130:131] op_sel:[0,0,1] op_sel_hi:[1,0,0]
	v_mov_b32_e32 v135, v131
	ds_load_2addr_b64 v[130:133], v124 offset0:47 offset1:48
	v_pk_add_f32 v[22:23], v[22:23], v[136:137] neg_lo:[0,1] neg_hi:[0,1]
	v_pk_add_f32 v[24:25], v[24:25], v[134:135] neg_lo:[0,1] neg_hi:[0,1]
	s_wait_dscnt 0x0
	v_dual_mul_f32 v134, v131, v123 :: v_dual_mul_f32 v136, v131, v120
	s_delay_alu instid0(VALU_DEP_1) | instskip(NEXT) | instid1(VALU_DEP_2)
	v_pk_fma_f32 v[134:135], v[130:131], v[104:105], v[134:135] op_sel_hi:[1,1,0] neg_lo:[0,0,1] neg_hi:[0,0,1]
	v_pk_fma_f32 v[130:131], v[130:131], v[104:105], v[136:137] op_sel:[1,0,0] op_sel_hi:[0,1,0]
	s_delay_alu instid0(VALU_DEP_1) | instskip(SKIP_1) | instid1(VALU_DEP_2)
	v_mov_b32_e32 v135, v131
	v_pk_mul_f32 v[130:131], v[132:133], v[122:123] op_sel:[0,1]
	v_pk_add_f32 v[20:21], v[20:21], v[134:135] neg_lo:[0,1] neg_hi:[0,1]
	s_delay_alu instid0(VALU_DEP_2) | instskip(SKIP_1) | instid1(VALU_DEP_1)
	v_pk_fma_f32 v[134:135], v[132:133], v[120:121], v[130:131] op_sel:[0,0,1] op_sel_hi:[1,1,0] neg_lo:[0,0,1] neg_hi:[0,0,1]
	v_pk_fma_f32 v[130:131], v[132:133], v[120:121], v[130:131] op_sel:[0,0,1] op_sel_hi:[1,0,0]
	v_mov_b32_e32 v135, v131
	ds_load_2addr_b64 v[130:133], v124 offset0:49 offset1:50
	v_pk_add_f32 v[14:15], v[14:15], v[134:135] neg_lo:[0,1] neg_hi:[0,1]
	s_wait_dscnt 0x0
	v_pk_mul_f32 v[134:135], v[130:131], v[122:123] op_sel:[0,1]
	s_delay_alu instid0(VALU_DEP_1) | instskip(SKIP_1) | instid1(VALU_DEP_1)
	v_pk_fma_f32 v[136:137], v[130:131], v[120:121], v[134:135] op_sel:[0,0,1] op_sel_hi:[1,1,0] neg_lo:[0,0,1] neg_hi:[0,0,1]
	v_pk_fma_f32 v[130:131], v[130:131], v[120:121], v[134:135] op_sel:[0,0,1] op_sel_hi:[1,0,0]
	v_mov_b32_e32 v137, v131
	v_pk_mul_f32 v[130:131], v[132:133], v[122:123] op_sel:[0,1]
	s_delay_alu instid0(VALU_DEP_2) | instskip(NEXT) | instid1(VALU_DEP_2)
	v_pk_add_f32 v[10:11], v[10:11], v[136:137] neg_lo:[0,1] neg_hi:[0,1]
	v_pk_fma_f32 v[134:135], v[132:133], v[120:121], v[130:131] op_sel:[0,0,1] op_sel_hi:[1,1,0] neg_lo:[0,0,1] neg_hi:[0,0,1]
	v_pk_fma_f32 v[130:131], v[132:133], v[120:121], v[130:131] op_sel:[0,0,1] op_sel_hi:[1,0,0]
	s_delay_alu instid0(VALU_DEP_1) | instskip(SKIP_4) | instid1(VALU_DEP_1)
	v_mov_b32_e32 v135, v131
	ds_load_2addr_b64 v[130:133], v124 offset0:51 offset1:52
	v_pk_add_f32 v[12:13], v[12:13], v[134:135] neg_lo:[0,1] neg_hi:[0,1]
	s_wait_dscnt 0x0
	v_pk_mul_f32 v[134:135], v[130:131], v[122:123] op_sel:[0,1]
	v_pk_fma_f32 v[136:137], v[130:131], v[120:121], v[134:135] op_sel:[0,0,1] op_sel_hi:[1,1,0] neg_lo:[0,0,1] neg_hi:[0,0,1]
	v_pk_fma_f32 v[130:131], v[130:131], v[120:121], v[134:135] op_sel:[0,0,1] op_sel_hi:[1,0,0]
	v_dual_mul_f32 v134, v133, v123 :: v_dual_mov_b32 v130, v133
	s_delay_alu instid0(VALU_DEP_2) | instskip(NEXT) | instid1(VALU_DEP_2)
	v_dual_mov_b32 v137, v131 :: v_dual_mov_b32 v131, v132
	v_pk_fma_f32 v[134:135], v[132:133], v[104:105], v[134:135] op_sel_hi:[1,1,0] neg_lo:[0,0,1] neg_hi:[0,0,1]
	v_mul_f32_e32 v132, v133, v120
	s_delay_alu instid0(VALU_DEP_3) | instskip(NEXT) | instid1(VALU_DEP_2)
	v_pk_add_f32 v[8:9], v[8:9], v[136:137] neg_lo:[0,1] neg_hi:[0,1]
	v_pk_fma_f32 v[130:131], v[130:131], v[104:105], v[132:133] op_sel_hi:[1,1,0]
	s_delay_alu instid0(VALU_DEP_1) | instskip(SKIP_4) | instid1(VALU_DEP_1)
	v_mov_b32_e32 v135, v131
	ds_load_2addr_b64 v[130:133], v124 offset0:53 offset1:54
	v_pk_add_f32 v[6:7], v[6:7], v[134:135] neg_lo:[0,1] neg_hi:[0,1]
	s_wait_dscnt 0x0
	v_pk_mul_f32 v[134:135], v[130:131], v[122:123] op_sel:[0,1]
	v_pk_fma_f32 v[136:137], v[130:131], v[120:121], v[134:135] op_sel:[0,0,1] op_sel_hi:[1,1,0] neg_lo:[0,0,1] neg_hi:[0,0,1]
	v_pk_fma_f32 v[130:131], v[130:131], v[120:121], v[134:135] op_sel:[0,0,1] op_sel_hi:[1,0,0]
	s_delay_alu instid0(VALU_DEP_1) | instskip(SKIP_1) | instid1(VALU_DEP_1)
	v_mov_b32_e32 v137, v131
	v_pk_mul_f32 v[130:131], v[132:133], v[122:123] op_sel:[0,1]
	v_pk_fma_f32 v[134:135], v[132:133], v[120:121], v[130:131] op_sel:[0,0,1] op_sel_hi:[1,1,0] neg_lo:[0,0,1] neg_hi:[0,0,1]
	v_pk_fma_f32 v[130:131], v[132:133], v[120:121], v[130:131] op_sel:[0,0,1] op_sel_hi:[1,0,0]
	s_delay_alu instid0(VALU_DEP_1)
	v_mov_b32_e32 v135, v131
	ds_load_2addr_b64 v[130:133], v124 offset0:55 offset1:56
	v_pk_add_f32 v[28:29], v[28:29], v[136:137] neg_lo:[0,1] neg_hi:[0,1]
	v_pk_add_f32 v[18:19], v[18:19], v[134:135] neg_lo:[0,1] neg_hi:[0,1]
	s_wait_dscnt 0x0
	v_pk_mul_f32 v[134:135], v[130:131], v[122:123] op_sel:[0,1]
	v_mul_f32_e32 v122, v133, v123
	s_delay_alu instid0(VALU_DEP_2) | instskip(SKIP_2) | instid1(VALU_DEP_4)
	v_pk_fma_f32 v[136:137], v[130:131], v[120:121], v[134:135] op_sel:[0,0,1] op_sel_hi:[1,1,0] neg_lo:[0,0,1] neg_hi:[0,0,1]
	v_pk_fma_f32 v[130:131], v[130:131], v[120:121], v[134:135] op_sel:[0,0,1] op_sel_hi:[1,0,0]
	v_dual_mov_b32 v130, v133 :: v_dual_mul_f32 v120, v133, v120
	v_pk_fma_f32 v[122:123], v[132:133], v[104:105], v[122:123] op_sel_hi:[1,1,0] neg_lo:[0,0,1] neg_hi:[0,0,1]
	s_delay_alu instid0(VALU_DEP_3) | instskip(NEXT) | instid1(VALU_DEP_1)
	v_dual_mov_b32 v137, v131 :: v_dual_mov_b32 v131, v132
	v_pk_add_f32 v[16:17], v[16:17], v[136:137] neg_lo:[0,1] neg_hi:[0,1]
	s_delay_alu instid0(VALU_DEP_2) | instskip(NEXT) | instid1(VALU_DEP_1)
	v_pk_fma_f32 v[120:121], v[130:131], v[104:105], v[120:121] op_sel_hi:[1,1,0]
	v_mov_b32_e32 v123, v121
	s_delay_alu instid0(VALU_DEP_1)
	v_pk_add_f32 v[118:119], v[118:119], v[122:123] neg_lo:[0,1] neg_hi:[0,1]
.LBB112_188:
	s_or_b32 exec_lo, exec_lo, s0
	v_lshl_add_u32 v120, v128, 3, v124
	s_barrier_signal -1
	s_barrier_wait -1
	ds_store_b64 v120, v[100:101]
	s_wait_dscnt 0x0
	s_barrier_signal -1
	s_barrier_wait -1
	ds_load_b64 v[122:123], v124 offset:72
	v_mov_b32_e32 v120, 9
	s_cmp_lt_i32 s18, 11
	s_cbranch_scc1 .LBB112_191
; %bb.189:
	v_add3_u32 v121, v125, 0, 0x50
	v_mov_b32_e32 v120, 9
	s_mov_b32 s0, 10
.LBB112_190:                            ; =>This Inner Loop Header: Depth=1
	ds_load_b64 v[130:131], v121
	s_wait_dscnt 0x1
	v_cmp_gt_f32_e32 vcc_lo, 0, v122
	v_cndmask_b32_e64 v132, v122, -v122, vcc_lo
	v_cmp_gt_f32_e32 vcc_lo, 0, v123
	v_cndmask_b32_e64 v134, v123, -v123, vcc_lo
	s_wait_dscnt 0x0
	v_cmp_gt_f32_e32 vcc_lo, 0, v130
	v_cndmask_b32_e64 v133, v130, -v130, vcc_lo
	v_cmp_gt_f32_e32 vcc_lo, 0, v131
	v_cndmask_b32_e64 v135, v131, -v131, vcc_lo
	s_delay_alu instid0(VALU_DEP_1) | instskip(NEXT) | instid1(VALU_DEP_1)
	v_pk_add_f32 v[132:133], v[132:133], v[134:135]
	v_cmp_lt_f32_e32 vcc_lo, v132, v133
	v_dual_add_nc_u32 v121, 8, v121 :: v_dual_cndmask_b32 v123, v123, v131, vcc_lo
	v_cndmask_b32_e32 v122, v122, v130, vcc_lo
	v_cndmask_b32_e64 v120, v120, s0, vcc_lo
	s_add_co_i32 s0, s0, 1
	s_delay_alu instid0(SALU_CYCLE_1)
	s_cmp_lg_u32 s18, s0
	s_cbranch_scc1 .LBB112_190
.LBB112_191:
	s_wait_dscnt 0x0
	v_cmp_eq_f32_e32 vcc_lo, 0, v122
	v_cmp_eq_f32_e64 s0, 0, v123
	s_and_b32 s0, vcc_lo, s0
	s_delay_alu instid0(SALU_CYCLE_1) | instskip(NEXT) | instid1(SALU_CYCLE_1)
	s_and_saveexec_b32 s1, s0
	s_xor_b32 s0, exec_lo, s1
; %bb.192:
	v_cmp_ne_u32_e32 vcc_lo, 0, v126
	v_cndmask_b32_e32 v126, 10, v126, vcc_lo
; %bb.193:
	s_and_not1_saveexec_b32 s0, s0
	s_cbranch_execz .LBB112_199
; %bb.194:
	v_cmp_ngt_f32_e64 s1, |v122|, |v123|
	s_and_saveexec_b32 s12, s1
	s_delay_alu instid0(SALU_CYCLE_1)
	s_xor_b32 s1, exec_lo, s12
	s_cbranch_execz .LBB112_196
; %bb.195:
	v_div_scale_f32 v121, null, v123, v123, v122
	v_div_scale_f32 v131, vcc_lo, v122, v123, v122
	s_delay_alu instid0(VALU_DEP_2) | instskip(SKIP_1) | instid1(TRANS32_DEP_1)
	v_rcp_f32_e32 v129, v121
	v_nop
	v_fma_f32 v130, -v121, v129, 1.0
	s_delay_alu instid0(VALU_DEP_1) | instskip(NEXT) | instid1(VALU_DEP_1)
	v_fmac_f32_e32 v129, v130, v129
	v_mul_f32_e32 v130, v131, v129
	s_delay_alu instid0(VALU_DEP_1) | instskip(NEXT) | instid1(VALU_DEP_1)
	v_fma_f32 v132, -v121, v130, v131
	v_fmac_f32_e32 v130, v132, v129
	s_delay_alu instid0(VALU_DEP_1) | instskip(NEXT) | instid1(VALU_DEP_1)
	v_fma_f32 v121, -v121, v130, v131
	v_div_fmas_f32 v121, v121, v129, v130
	s_delay_alu instid0(VALU_DEP_1) | instskip(NEXT) | instid1(VALU_DEP_1)
	v_div_fixup_f32 v121, v121, v123, v122
	v_fmac_f32_e32 v123, v122, v121
	s_delay_alu instid0(VALU_DEP_1) | instskip(SKIP_1) | instid1(VALU_DEP_2)
	v_div_scale_f32 v122, null, v123, v123, 1.0
	v_div_scale_f32 v131, vcc_lo, 1.0, v123, 1.0
	v_rcp_f32_e32 v129, v122
	v_nop
	s_delay_alu instid0(TRANS32_DEP_1) | instskip(NEXT) | instid1(VALU_DEP_1)
	v_fma_f32 v130, -v122, v129, 1.0
	v_fmac_f32_e32 v129, v130, v129
	s_delay_alu instid0(VALU_DEP_1) | instskip(NEXT) | instid1(VALU_DEP_1)
	v_mul_f32_e32 v130, v131, v129
	v_fma_f32 v132, -v122, v130, v131
	s_delay_alu instid0(VALU_DEP_1) | instskip(NEXT) | instid1(VALU_DEP_1)
	v_fmac_f32_e32 v130, v132, v129
	v_fma_f32 v122, -v122, v130, v131
	s_delay_alu instid0(VALU_DEP_1) | instskip(NEXT) | instid1(VALU_DEP_1)
	v_div_fmas_f32 v122, v122, v129, v130
	v_div_fixup_f32 v123, v122, v123, 1.0
	s_delay_alu instid0(VALU_DEP_1)
	v_mul_f32_e32 v122, v121, v123
	v_xor_b32_e32 v123, 0x80000000, v123
.LBB112_196:
	s_and_not1_saveexec_b32 s1, s1
	s_cbranch_execz .LBB112_198
; %bb.197:
	s_delay_alu instid0(VALU_DEP_1) | instskip(SKIP_1) | instid1(VALU_DEP_2)
	v_div_scale_f32 v121, null, v122, v122, v123
	v_div_scale_f32 v131, vcc_lo, v123, v122, v123
	v_rcp_f32_e32 v129, v121
	v_nop
	s_delay_alu instid0(TRANS32_DEP_1) | instskip(NEXT) | instid1(VALU_DEP_1)
	v_fma_f32 v130, -v121, v129, 1.0
	v_fmac_f32_e32 v129, v130, v129
	s_delay_alu instid0(VALU_DEP_1) | instskip(NEXT) | instid1(VALU_DEP_1)
	v_mul_f32_e32 v130, v131, v129
	v_fma_f32 v132, -v121, v130, v131
	s_delay_alu instid0(VALU_DEP_1) | instskip(NEXT) | instid1(VALU_DEP_1)
	v_fmac_f32_e32 v130, v132, v129
	v_fma_f32 v121, -v121, v130, v131
	s_delay_alu instid0(VALU_DEP_1) | instskip(NEXT) | instid1(VALU_DEP_1)
	v_div_fmas_f32 v121, v121, v129, v130
	v_div_fixup_f32 v121, v121, v122, v123
	s_delay_alu instid0(VALU_DEP_1) | instskip(NEXT) | instid1(VALU_DEP_1)
	v_fmac_f32_e32 v122, v123, v121
	v_div_scale_f32 v123, null, v122, v122, 1.0
	s_delay_alu instid0(VALU_DEP_1) | instskip(SKIP_1) | instid1(TRANS32_DEP_1)
	v_rcp_f32_e32 v129, v123
	v_nop
	v_fma_f32 v130, -v123, v129, 1.0
	s_delay_alu instid0(VALU_DEP_1) | instskip(SKIP_1) | instid1(VALU_DEP_1)
	v_fmac_f32_e32 v129, v130, v129
	v_div_scale_f32 v130, vcc_lo, 1.0, v122, 1.0
	v_mul_f32_e32 v131, v130, v129
	s_delay_alu instid0(VALU_DEP_1) | instskip(NEXT) | instid1(VALU_DEP_1)
	v_fma_f32 v132, -v123, v131, v130
	v_fmac_f32_e32 v131, v132, v129
	s_delay_alu instid0(VALU_DEP_1) | instskip(NEXT) | instid1(VALU_DEP_1)
	v_fma_f32 v123, -v123, v131, v130
	v_div_fmas_f32 v123, v123, v129, v131
	s_delay_alu instid0(VALU_DEP_1) | instskip(NEXT) | instid1(VALU_DEP_1)
	v_div_fixup_f32 v122, v123, v122, 1.0
	v_mul_f32_e64 v123, v121, -v122
.LBB112_198:
	s_or_b32 exec_lo, exec_lo, s1
.LBB112_199:
	s_delay_alu instid0(SALU_CYCLE_1) | instskip(NEXT) | instid1(SALU_CYCLE_1)
	s_or_b32 exec_lo, exec_lo, s0
	s_mov_b32 s0, exec_lo
	v_cmpx_ne_u32_e64 v128, v120
	s_xor_b32 s0, exec_lo, s0
	s_cbranch_execz .LBB112_205
; %bb.200:
	s_mov_b32 s1, exec_lo
	v_cmpx_eq_u32_e32 9, v128
	s_cbranch_execz .LBB112_204
; %bb.201:
	v_cmp_ne_u32_e32 vcc_lo, 9, v120
	s_xor_b32 s12, s16, -1
	s_delay_alu instid0(SALU_CYCLE_1) | instskip(NEXT) | instid1(SALU_CYCLE_1)
	s_and_b32 s13, s12, vcc_lo
	s_and_saveexec_b32 s12, s13
	s_cbranch_execz .LBB112_203
; %bb.202:
	v_ashrrev_i32_e32 v121, 31, v120
	s_delay_alu instid0(VALU_DEP_1)
	v_lshl_add_u64 v[128:129], v[120:121], 2, v[4:5]
	s_clause 0x1
	global_load_b32 v121, v[128:129], off
	global_load_b32 v127, v[4:5], off offset:36
	s_wait_loadcnt 0x1
	global_store_b32 v[4:5], v121, off offset:36
	s_wait_loadcnt 0x0
	global_store_b32 v[128:129], v127, off
.LBB112_203:
	s_wait_xcnt 0x0
	s_or_b32 exec_lo, exec_lo, s12
	v_dual_mov_b32 v128, v120 :: v_dual_mov_b32 v127, v120
.LBB112_204:
	s_or_b32 exec_lo, exec_lo, s1
.LBB112_205:
	s_and_not1_saveexec_b32 s0, s0
	s_cbranch_execz .LBB112_207
; %bb.206:
	v_dual_mov_b32 v120, v102 :: v_dual_mov_b32 v121, v103
	v_dual_mov_b32 v128, v98 :: v_dual_mov_b32 v129, v99
	ds_store_2addr_b64 v124, v[120:121], v[128:129] offset0:10 offset1:11
	v_dual_mov_b32 v120, v96 :: v_dual_mov_b32 v121, v97
	v_dual_mov_b32 v128, v92 :: v_dual_mov_b32 v129, v93
	ds_store_2addr_b64 v124, v[120:121], v[128:129] offset0:12 offset1:13
	;; [unrolled: 3-line block ×23, first 2 shown]
	ds_store_b64 v124, v[118:119] offset:448
	v_mov_b32_e32 v128, 9
.LBB112_207:
	s_or_b32 exec_lo, exec_lo, s0
	s_delay_alu instid0(SALU_CYCLE_1)
	s_mov_b32 s0, exec_lo
	s_wait_storecnt_dscnt 0x0
	s_barrier_signal -1
	s_barrier_wait -1
	v_cmpx_lt_i32_e32 9, v128
	s_cbranch_execz .LBB112_209
; %bb.208:
	v_pk_mul_f32 v[130:131], v[122:123], v[100:101] op_sel:[1,1] op_sel_hi:[0,1]
	s_delay_alu instid0(VALU_DEP_1)
	v_pk_fma_f32 v[120:121], v[122:123], v[100:101], v[130:131] op_sel_hi:[1,0,1] neg_lo:[0,0,1] neg_hi:[0,0,1]
	v_pk_fma_f32 v[122:123], v[122:123], v[100:101], v[130:131] op_sel_hi:[1,0,1]
	ds_load_2addr_b64 v[130:133], v124 offset0:10 offset1:11
	v_dual_mov_b32 v100, v120 :: v_dual_mov_b32 v101, v123
	s_wait_dscnt 0x0
	v_pk_mul_f32 v[134:135], v[130:131], v[122:123] op_sel:[0,1]
	s_delay_alu instid0(VALU_DEP_1) | instskip(SKIP_1) | instid1(VALU_DEP_1)
	v_pk_fma_f32 v[136:137], v[130:131], v[120:121], v[134:135] op_sel:[0,0,1] op_sel_hi:[1,1,0] neg_lo:[0,0,1] neg_hi:[0,0,1]
	v_pk_fma_f32 v[130:131], v[130:131], v[120:121], v[134:135] op_sel:[0,0,1] op_sel_hi:[1,0,0]
	v_mov_b32_e32 v137, v131
	v_pk_mul_f32 v[130:131], v[132:133], v[122:123] op_sel:[0,1]
	s_delay_alu instid0(VALU_DEP_1) | instskip(SKIP_1) | instid1(VALU_DEP_1)
	v_pk_fma_f32 v[134:135], v[132:133], v[120:121], v[130:131] op_sel:[0,0,1] op_sel_hi:[1,1,0] neg_lo:[0,0,1] neg_hi:[0,0,1]
	v_pk_fma_f32 v[130:131], v[132:133], v[120:121], v[130:131] op_sel:[0,0,1] op_sel_hi:[1,0,0]
	v_mov_b32_e32 v135, v131
	ds_load_2addr_b64 v[130:133], v124 offset0:12 offset1:13
	v_pk_add_f32 v[102:103], v[102:103], v[136:137] neg_lo:[0,1] neg_hi:[0,1]
	v_pk_add_f32 v[98:99], v[98:99], v[134:135] neg_lo:[0,1] neg_hi:[0,1]
	s_wait_dscnt 0x0
	v_pk_mul_f32 v[134:135], v[130:131], v[122:123] op_sel:[0,1]
	s_delay_alu instid0(VALU_DEP_1) | instskip(SKIP_2) | instid1(VALU_DEP_2)
	v_pk_fma_f32 v[136:137], v[130:131], v[120:121], v[134:135] op_sel:[0,0,1] op_sel_hi:[1,1,0] neg_lo:[0,0,1] neg_hi:[0,0,1]
	v_pk_fma_f32 v[130:131], v[130:131], v[120:121], v[134:135] op_sel:[0,0,1] op_sel_hi:[1,0,0]
	v_dual_mul_f32 v134, v133, v123 :: v_dual_mov_b32 v130, v133
	v_dual_mov_b32 v137, v131 :: v_dual_mov_b32 v131, v132
	s_delay_alu instid0(VALU_DEP_2) | instskip(SKIP_1) | instid1(VALU_DEP_3)
	v_pk_fma_f32 v[134:135], v[132:133], v[100:101], v[134:135] op_sel_hi:[1,1,0] neg_lo:[0,0,1] neg_hi:[0,0,1]
	v_mul_f32_e32 v132, v133, v120
	v_pk_add_f32 v[96:97], v[96:97], v[136:137] neg_lo:[0,1] neg_hi:[0,1]
	s_delay_alu instid0(VALU_DEP_2) | instskip(NEXT) | instid1(VALU_DEP_1)
	v_pk_fma_f32 v[130:131], v[130:131], v[100:101], v[132:133] op_sel_hi:[1,1,0]
	v_mov_b32_e32 v135, v131
	ds_load_2addr_b64 v[130:133], v124 offset0:14 offset1:15
	v_pk_add_f32 v[92:93], v[92:93], v[134:135] neg_lo:[0,1] neg_hi:[0,1]
	s_wait_dscnt 0x0
	v_pk_mul_f32 v[134:135], v[130:131], v[122:123] op_sel:[0,1]
	s_delay_alu instid0(VALU_DEP_1) | instskip(SKIP_1) | instid1(VALU_DEP_1)
	v_pk_fma_f32 v[136:137], v[130:131], v[120:121], v[134:135] op_sel:[0,0,1] op_sel_hi:[1,1,0] neg_lo:[0,0,1] neg_hi:[0,0,1]
	v_pk_fma_f32 v[130:131], v[130:131], v[120:121], v[134:135] op_sel:[0,0,1] op_sel_hi:[1,0,0]
	v_mov_b32_e32 v137, v131
	v_pk_mul_f32 v[130:131], v[132:133], v[122:123] op_sel:[0,1]
	s_delay_alu instid0(VALU_DEP_1) | instskip(SKIP_1) | instid1(VALU_DEP_1)
	v_pk_fma_f32 v[134:135], v[132:133], v[120:121], v[130:131] op_sel:[0,0,1] op_sel_hi:[1,1,0] neg_lo:[0,0,1] neg_hi:[0,0,1]
	v_pk_fma_f32 v[130:131], v[132:133], v[120:121], v[130:131] op_sel:[0,0,1] op_sel_hi:[1,0,0]
	v_mov_b32_e32 v135, v131
	ds_load_2addr_b64 v[130:133], v124 offset0:16 offset1:17
	v_pk_add_f32 v[94:95], v[94:95], v[136:137] neg_lo:[0,1] neg_hi:[0,1]
	v_pk_add_f32 v[90:91], v[90:91], v[134:135] neg_lo:[0,1] neg_hi:[0,1]
	s_wait_dscnt 0x0
	v_pk_mul_f32 v[134:135], v[130:131], v[122:123] op_sel:[0,1]
	s_delay_alu instid0(VALU_DEP_1) | instskip(SKIP_1) | instid1(VALU_DEP_1)
	v_pk_fma_f32 v[136:137], v[130:131], v[120:121], v[134:135] op_sel:[0,0,1] op_sel_hi:[1,1,0] neg_lo:[0,0,1] neg_hi:[0,0,1]
	v_pk_fma_f32 v[130:131], v[130:131], v[120:121], v[134:135] op_sel:[0,0,1] op_sel_hi:[1,0,0]
	v_mov_b32_e32 v137, v131
	v_pk_mul_f32 v[130:131], v[132:133], v[122:123] op_sel:[0,1]
	s_delay_alu instid0(VALU_DEP_1) | instskip(SKIP_1) | instid1(VALU_DEP_1)
	v_pk_fma_f32 v[134:135], v[132:133], v[120:121], v[130:131] op_sel:[0,0,1] op_sel_hi:[1,1,0] neg_lo:[0,0,1] neg_hi:[0,0,1]
	v_pk_fma_f32 v[130:131], v[132:133], v[120:121], v[130:131] op_sel:[0,0,1] op_sel_hi:[1,0,0]
	v_mov_b32_e32 v135, v131
	ds_load_2addr_b64 v[130:133], v124 offset0:18 offset1:19
	v_pk_add_f32 v[84:85], v[84:85], v[136:137] neg_lo:[0,1] neg_hi:[0,1]
	v_pk_add_f32 v[80:81], v[80:81], v[134:135] neg_lo:[0,1] neg_hi:[0,1]
	s_wait_dscnt 0x0
	v_dual_mul_f32 v134, v131, v123 :: v_dual_mul_f32 v136, v131, v120
	s_delay_alu instid0(VALU_DEP_1) | instskip(NEXT) | instid1(VALU_DEP_2)
	v_pk_fma_f32 v[134:135], v[130:131], v[100:101], v[134:135] op_sel_hi:[1,1,0] neg_lo:[0,0,1] neg_hi:[0,0,1]
	v_pk_fma_f32 v[130:131], v[130:131], v[100:101], v[136:137] op_sel:[1,0,0] op_sel_hi:[0,1,0]
	s_delay_alu instid0(VALU_DEP_1) | instskip(SKIP_1) | instid1(VALU_DEP_2)
	v_mov_b32_e32 v135, v131
	v_pk_mul_f32 v[130:131], v[132:133], v[122:123] op_sel:[0,1]
	v_pk_add_f32 v[82:83], v[82:83], v[134:135] neg_lo:[0,1] neg_hi:[0,1]
	s_delay_alu instid0(VALU_DEP_2) | instskip(SKIP_1) | instid1(VALU_DEP_1)
	v_pk_fma_f32 v[134:135], v[132:133], v[120:121], v[130:131] op_sel:[0,0,1] op_sel_hi:[1,1,0] neg_lo:[0,0,1] neg_hi:[0,0,1]
	v_pk_fma_f32 v[130:131], v[132:133], v[120:121], v[130:131] op_sel:[0,0,1] op_sel_hi:[1,0,0]
	v_mov_b32_e32 v135, v131
	ds_load_2addr_b64 v[130:133], v124 offset0:20 offset1:21
	v_pk_add_f32 v[78:79], v[78:79], v[134:135] neg_lo:[0,1] neg_hi:[0,1]
	s_wait_dscnt 0x0
	v_pk_mul_f32 v[134:135], v[130:131], v[122:123] op_sel:[0,1]
	s_delay_alu instid0(VALU_DEP_1) | instskip(SKIP_1) | instid1(VALU_DEP_1)
	v_pk_fma_f32 v[136:137], v[130:131], v[120:121], v[134:135] op_sel:[0,0,1] op_sel_hi:[1,1,0] neg_lo:[0,0,1] neg_hi:[0,0,1]
	v_pk_fma_f32 v[130:131], v[130:131], v[120:121], v[134:135] op_sel:[0,0,1] op_sel_hi:[1,0,0]
	v_mov_b32_e32 v137, v131
	v_pk_mul_f32 v[130:131], v[132:133], v[122:123] op_sel:[0,1]
	s_delay_alu instid0(VALU_DEP_2) | instskip(NEXT) | instid1(VALU_DEP_2)
	v_pk_add_f32 v[76:77], v[76:77], v[136:137] neg_lo:[0,1] neg_hi:[0,1]
	v_pk_fma_f32 v[134:135], v[132:133], v[120:121], v[130:131] op_sel:[0,0,1] op_sel_hi:[1,1,0] neg_lo:[0,0,1] neg_hi:[0,0,1]
	v_pk_fma_f32 v[130:131], v[132:133], v[120:121], v[130:131] op_sel:[0,0,1] op_sel_hi:[1,0,0]
	s_delay_alu instid0(VALU_DEP_1) | instskip(SKIP_4) | instid1(VALU_DEP_1)
	v_mov_b32_e32 v135, v131
	ds_load_2addr_b64 v[130:133], v124 offset0:22 offset1:23
	v_pk_add_f32 v[72:73], v[72:73], v[134:135] neg_lo:[0,1] neg_hi:[0,1]
	s_wait_dscnt 0x0
	v_pk_mul_f32 v[134:135], v[130:131], v[122:123] op_sel:[0,1]
	v_pk_fma_f32 v[136:137], v[130:131], v[120:121], v[134:135] op_sel:[0,0,1] op_sel_hi:[1,1,0] neg_lo:[0,0,1] neg_hi:[0,0,1]
	v_pk_fma_f32 v[130:131], v[130:131], v[120:121], v[134:135] op_sel:[0,0,1] op_sel_hi:[1,0,0]
	v_dual_mul_f32 v134, v133, v123 :: v_dual_mov_b32 v130, v133
	s_delay_alu instid0(VALU_DEP_2) | instskip(NEXT) | instid1(VALU_DEP_2)
	v_dual_mov_b32 v137, v131 :: v_dual_mov_b32 v131, v132
	v_pk_fma_f32 v[134:135], v[132:133], v[100:101], v[134:135] op_sel_hi:[1,1,0] neg_lo:[0,0,1] neg_hi:[0,0,1]
	v_mul_f32_e32 v132, v133, v120
	s_delay_alu instid0(VALU_DEP_3) | instskip(NEXT) | instid1(VALU_DEP_2)
	v_pk_add_f32 v[74:75], v[74:75], v[136:137] neg_lo:[0,1] neg_hi:[0,1]
	v_pk_fma_f32 v[130:131], v[130:131], v[100:101], v[132:133] op_sel_hi:[1,1,0]
	s_delay_alu instid0(VALU_DEP_1) | instskip(SKIP_4) | instid1(VALU_DEP_1)
	v_mov_b32_e32 v135, v131
	ds_load_2addr_b64 v[130:133], v124 offset0:24 offset1:25
	v_pk_add_f32 v[70:71], v[70:71], v[134:135] neg_lo:[0,1] neg_hi:[0,1]
	s_wait_dscnt 0x0
	v_pk_mul_f32 v[134:135], v[130:131], v[122:123] op_sel:[0,1]
	v_pk_fma_f32 v[136:137], v[130:131], v[120:121], v[134:135] op_sel:[0,0,1] op_sel_hi:[1,1,0] neg_lo:[0,0,1] neg_hi:[0,0,1]
	v_pk_fma_f32 v[130:131], v[130:131], v[120:121], v[134:135] op_sel:[0,0,1] op_sel_hi:[1,0,0]
	s_delay_alu instid0(VALU_DEP_1) | instskip(SKIP_1) | instid1(VALU_DEP_1)
	v_mov_b32_e32 v137, v131
	v_pk_mul_f32 v[130:131], v[132:133], v[122:123] op_sel:[0,1]
	v_pk_fma_f32 v[134:135], v[132:133], v[120:121], v[130:131] op_sel:[0,0,1] op_sel_hi:[1,1,0] neg_lo:[0,0,1] neg_hi:[0,0,1]
	v_pk_fma_f32 v[130:131], v[132:133], v[120:121], v[130:131] op_sel:[0,0,1] op_sel_hi:[1,0,0]
	s_delay_alu instid0(VALU_DEP_1)
	v_mov_b32_e32 v135, v131
	ds_load_2addr_b64 v[130:133], v124 offset0:26 offset1:27
	v_pk_add_f32 v[68:69], v[68:69], v[136:137] neg_lo:[0,1] neg_hi:[0,1]
	v_pk_add_f32 v[64:65], v[64:65], v[134:135] neg_lo:[0,1] neg_hi:[0,1]
	s_wait_dscnt 0x0
	v_pk_mul_f32 v[134:135], v[130:131], v[122:123] op_sel:[0,1]
	s_delay_alu instid0(VALU_DEP_1) | instskip(SKIP_1) | instid1(VALU_DEP_1)
	v_pk_fma_f32 v[136:137], v[130:131], v[120:121], v[134:135] op_sel:[0,0,1] op_sel_hi:[1,1,0] neg_lo:[0,0,1] neg_hi:[0,0,1]
	v_pk_fma_f32 v[130:131], v[130:131], v[120:121], v[134:135] op_sel:[0,0,1] op_sel_hi:[1,0,0]
	v_mov_b32_e32 v137, v131
	v_pk_mul_f32 v[130:131], v[132:133], v[122:123] op_sel:[0,1]
	s_delay_alu instid0(VALU_DEP_1) | instskip(SKIP_1) | instid1(VALU_DEP_1)
	v_pk_fma_f32 v[134:135], v[132:133], v[120:121], v[130:131] op_sel:[0,0,1] op_sel_hi:[1,1,0] neg_lo:[0,0,1] neg_hi:[0,0,1]
	v_pk_fma_f32 v[130:131], v[132:133], v[120:121], v[130:131] op_sel:[0,0,1] op_sel_hi:[1,0,0]
	v_mov_b32_e32 v135, v131
	ds_load_2addr_b64 v[130:133], v124 offset0:28 offset1:29
	v_pk_add_f32 v[66:67], v[66:67], v[136:137] neg_lo:[0,1] neg_hi:[0,1]
	v_pk_add_f32 v[62:63], v[62:63], v[134:135] neg_lo:[0,1] neg_hi:[0,1]
	s_wait_dscnt 0x0
	v_dual_mul_f32 v134, v131, v123 :: v_dual_mul_f32 v136, v131, v120
	s_delay_alu instid0(VALU_DEP_1) | instskip(NEXT) | instid1(VALU_DEP_2)
	v_pk_fma_f32 v[134:135], v[130:131], v[100:101], v[134:135] op_sel_hi:[1,1,0] neg_lo:[0,0,1] neg_hi:[0,0,1]
	v_pk_fma_f32 v[130:131], v[130:131], v[100:101], v[136:137] op_sel:[1,0,0] op_sel_hi:[0,1,0]
	s_delay_alu instid0(VALU_DEP_1) | instskip(SKIP_1) | instid1(VALU_DEP_2)
	v_mov_b32_e32 v135, v131
	v_pk_mul_f32 v[130:131], v[132:133], v[122:123] op_sel:[0,1]
	v_pk_add_f32 v[60:61], v[60:61], v[134:135] neg_lo:[0,1] neg_hi:[0,1]
	s_delay_alu instid0(VALU_DEP_2) | instskip(SKIP_1) | instid1(VALU_DEP_1)
	v_pk_fma_f32 v[134:135], v[132:133], v[120:121], v[130:131] op_sel:[0,0,1] op_sel_hi:[1,1,0] neg_lo:[0,0,1] neg_hi:[0,0,1]
	v_pk_fma_f32 v[130:131], v[132:133], v[120:121], v[130:131] op_sel:[0,0,1] op_sel_hi:[1,0,0]
	v_mov_b32_e32 v135, v131
	ds_load_2addr_b64 v[130:133], v124 offset0:30 offset1:31
	v_pk_add_f32 v[56:57], v[56:57], v[134:135] neg_lo:[0,1] neg_hi:[0,1]
	s_wait_dscnt 0x0
	v_pk_mul_f32 v[134:135], v[130:131], v[122:123] op_sel:[0,1]
	s_delay_alu instid0(VALU_DEP_1) | instskip(SKIP_1) | instid1(VALU_DEP_1)
	v_pk_fma_f32 v[136:137], v[130:131], v[120:121], v[134:135] op_sel:[0,0,1] op_sel_hi:[1,1,0] neg_lo:[0,0,1] neg_hi:[0,0,1]
	v_pk_fma_f32 v[130:131], v[130:131], v[120:121], v[134:135] op_sel:[0,0,1] op_sel_hi:[1,0,0]
	v_mov_b32_e32 v137, v131
	v_pk_mul_f32 v[130:131], v[132:133], v[122:123] op_sel:[0,1]
	s_delay_alu instid0(VALU_DEP_2) | instskip(NEXT) | instid1(VALU_DEP_2)
	v_pk_add_f32 v[58:59], v[58:59], v[136:137] neg_lo:[0,1] neg_hi:[0,1]
	v_pk_fma_f32 v[134:135], v[132:133], v[120:121], v[130:131] op_sel:[0,0,1] op_sel_hi:[1,1,0] neg_lo:[0,0,1] neg_hi:[0,0,1]
	v_pk_fma_f32 v[130:131], v[132:133], v[120:121], v[130:131] op_sel:[0,0,1] op_sel_hi:[1,0,0]
	s_delay_alu instid0(VALU_DEP_1) | instskip(SKIP_4) | instid1(VALU_DEP_1)
	v_mov_b32_e32 v135, v131
	ds_load_2addr_b64 v[130:133], v124 offset0:32 offset1:33
	v_pk_add_f32 v[54:55], v[54:55], v[134:135] neg_lo:[0,1] neg_hi:[0,1]
	s_wait_dscnt 0x0
	v_pk_mul_f32 v[134:135], v[130:131], v[122:123] op_sel:[0,1]
	v_pk_fma_f32 v[136:137], v[130:131], v[120:121], v[134:135] op_sel:[0,0,1] op_sel_hi:[1,1,0] neg_lo:[0,0,1] neg_hi:[0,0,1]
	v_pk_fma_f32 v[130:131], v[130:131], v[120:121], v[134:135] op_sel:[0,0,1] op_sel_hi:[1,0,0]
	v_dual_mul_f32 v134, v133, v123 :: v_dual_mov_b32 v130, v133
	s_delay_alu instid0(VALU_DEP_2) | instskip(NEXT) | instid1(VALU_DEP_2)
	v_dual_mov_b32 v137, v131 :: v_dual_mov_b32 v131, v132
	v_pk_fma_f32 v[134:135], v[132:133], v[100:101], v[134:135] op_sel_hi:[1,1,0] neg_lo:[0,0,1] neg_hi:[0,0,1]
	v_mul_f32_e32 v132, v133, v120
	s_delay_alu instid0(VALU_DEP_3) | instskip(NEXT) | instid1(VALU_DEP_2)
	v_pk_add_f32 v[52:53], v[52:53], v[136:137] neg_lo:[0,1] neg_hi:[0,1]
	v_pk_fma_f32 v[130:131], v[130:131], v[100:101], v[132:133] op_sel_hi:[1,1,0]
	s_delay_alu instid0(VALU_DEP_1) | instskip(SKIP_4) | instid1(VALU_DEP_1)
	v_mov_b32_e32 v135, v131
	ds_load_2addr_b64 v[130:133], v124 offset0:34 offset1:35
	v_pk_add_f32 v[48:49], v[48:49], v[134:135] neg_lo:[0,1] neg_hi:[0,1]
	s_wait_dscnt 0x0
	v_pk_mul_f32 v[134:135], v[130:131], v[122:123] op_sel:[0,1]
	v_pk_fma_f32 v[136:137], v[130:131], v[120:121], v[134:135] op_sel:[0,0,1] op_sel_hi:[1,1,0] neg_lo:[0,0,1] neg_hi:[0,0,1]
	v_pk_fma_f32 v[130:131], v[130:131], v[120:121], v[134:135] op_sel:[0,0,1] op_sel_hi:[1,0,0]
	s_delay_alu instid0(VALU_DEP_1) | instskip(SKIP_1) | instid1(VALU_DEP_1)
	v_mov_b32_e32 v137, v131
	v_pk_mul_f32 v[130:131], v[132:133], v[122:123] op_sel:[0,1]
	v_pk_fma_f32 v[134:135], v[132:133], v[120:121], v[130:131] op_sel:[0,0,1] op_sel_hi:[1,1,0] neg_lo:[0,0,1] neg_hi:[0,0,1]
	v_pk_fma_f32 v[130:131], v[132:133], v[120:121], v[130:131] op_sel:[0,0,1] op_sel_hi:[1,0,0]
	s_delay_alu instid0(VALU_DEP_1)
	v_mov_b32_e32 v135, v131
	ds_load_2addr_b64 v[130:133], v124 offset0:36 offset1:37
	v_pk_add_f32 v[50:51], v[50:51], v[136:137] neg_lo:[0,1] neg_hi:[0,1]
	v_pk_add_f32 v[46:47], v[46:47], v[134:135] neg_lo:[0,1] neg_hi:[0,1]
	s_wait_dscnt 0x0
	v_pk_mul_f32 v[134:135], v[130:131], v[122:123] op_sel:[0,1]
	s_delay_alu instid0(VALU_DEP_1) | instskip(SKIP_1) | instid1(VALU_DEP_1)
	v_pk_fma_f32 v[136:137], v[130:131], v[120:121], v[134:135] op_sel:[0,0,1] op_sel_hi:[1,1,0] neg_lo:[0,0,1] neg_hi:[0,0,1]
	v_pk_fma_f32 v[130:131], v[130:131], v[120:121], v[134:135] op_sel:[0,0,1] op_sel_hi:[1,0,0]
	v_mov_b32_e32 v137, v131
	v_pk_mul_f32 v[130:131], v[132:133], v[122:123] op_sel:[0,1]
	s_delay_alu instid0(VALU_DEP_1) | instskip(SKIP_1) | instid1(VALU_DEP_1)
	v_pk_fma_f32 v[134:135], v[132:133], v[120:121], v[130:131] op_sel:[0,0,1] op_sel_hi:[1,1,0] neg_lo:[0,0,1] neg_hi:[0,0,1]
	v_pk_fma_f32 v[130:131], v[132:133], v[120:121], v[130:131] op_sel:[0,0,1] op_sel_hi:[1,0,0]
	v_mov_b32_e32 v135, v131
	ds_load_2addr_b64 v[130:133], v124 offset0:38 offset1:39
	v_pk_add_f32 v[44:45], v[44:45], v[136:137] neg_lo:[0,1] neg_hi:[0,1]
	v_pk_add_f32 v[40:41], v[40:41], v[134:135] neg_lo:[0,1] neg_hi:[0,1]
	s_wait_dscnt 0x0
	v_dual_mul_f32 v134, v131, v123 :: v_dual_mul_f32 v136, v131, v120
	s_delay_alu instid0(VALU_DEP_1) | instskip(NEXT) | instid1(VALU_DEP_2)
	v_pk_fma_f32 v[134:135], v[130:131], v[100:101], v[134:135] op_sel_hi:[1,1,0] neg_lo:[0,0,1] neg_hi:[0,0,1]
	v_pk_fma_f32 v[130:131], v[130:131], v[100:101], v[136:137] op_sel:[1,0,0] op_sel_hi:[0,1,0]
	s_delay_alu instid0(VALU_DEP_1) | instskip(SKIP_1) | instid1(VALU_DEP_2)
	v_mov_b32_e32 v135, v131
	v_pk_mul_f32 v[130:131], v[132:133], v[122:123] op_sel:[0,1]
	v_pk_add_f32 v[42:43], v[42:43], v[134:135] neg_lo:[0,1] neg_hi:[0,1]
	s_delay_alu instid0(VALU_DEP_2) | instskip(SKIP_1) | instid1(VALU_DEP_1)
	v_pk_fma_f32 v[134:135], v[132:133], v[120:121], v[130:131] op_sel:[0,0,1] op_sel_hi:[1,1,0] neg_lo:[0,0,1] neg_hi:[0,0,1]
	v_pk_fma_f32 v[130:131], v[132:133], v[120:121], v[130:131] op_sel:[0,0,1] op_sel_hi:[1,0,0]
	v_mov_b32_e32 v135, v131
	ds_load_2addr_b64 v[130:133], v124 offset0:40 offset1:41
	v_pk_add_f32 v[38:39], v[38:39], v[134:135] neg_lo:[0,1] neg_hi:[0,1]
	s_wait_dscnt 0x0
	v_pk_mul_f32 v[134:135], v[130:131], v[122:123] op_sel:[0,1]
	s_delay_alu instid0(VALU_DEP_1) | instskip(SKIP_1) | instid1(VALU_DEP_1)
	v_pk_fma_f32 v[136:137], v[130:131], v[120:121], v[134:135] op_sel:[0,0,1] op_sel_hi:[1,1,0] neg_lo:[0,0,1] neg_hi:[0,0,1]
	v_pk_fma_f32 v[130:131], v[130:131], v[120:121], v[134:135] op_sel:[0,0,1] op_sel_hi:[1,0,0]
	v_mov_b32_e32 v137, v131
	v_pk_mul_f32 v[130:131], v[132:133], v[122:123] op_sel:[0,1]
	s_delay_alu instid0(VALU_DEP_2) | instskip(NEXT) | instid1(VALU_DEP_2)
	v_pk_add_f32 v[36:37], v[36:37], v[136:137] neg_lo:[0,1] neg_hi:[0,1]
	v_pk_fma_f32 v[134:135], v[132:133], v[120:121], v[130:131] op_sel:[0,0,1] op_sel_hi:[1,1,0] neg_lo:[0,0,1] neg_hi:[0,0,1]
	v_pk_fma_f32 v[130:131], v[132:133], v[120:121], v[130:131] op_sel:[0,0,1] op_sel_hi:[1,0,0]
	s_delay_alu instid0(VALU_DEP_1) | instskip(SKIP_4) | instid1(VALU_DEP_1)
	v_mov_b32_e32 v135, v131
	ds_load_2addr_b64 v[130:133], v124 offset0:42 offset1:43
	v_pk_add_f32 v[32:33], v[32:33], v[134:135] neg_lo:[0,1] neg_hi:[0,1]
	s_wait_dscnt 0x0
	v_pk_mul_f32 v[134:135], v[130:131], v[122:123] op_sel:[0,1]
	v_pk_fma_f32 v[136:137], v[130:131], v[120:121], v[134:135] op_sel:[0,0,1] op_sel_hi:[1,1,0] neg_lo:[0,0,1] neg_hi:[0,0,1]
	v_pk_fma_f32 v[130:131], v[130:131], v[120:121], v[134:135] op_sel:[0,0,1] op_sel_hi:[1,0,0]
	v_dual_mul_f32 v134, v133, v123 :: v_dual_mov_b32 v130, v133
	s_delay_alu instid0(VALU_DEP_2) | instskip(NEXT) | instid1(VALU_DEP_2)
	v_dual_mov_b32 v137, v131 :: v_dual_mov_b32 v131, v132
	v_pk_fma_f32 v[134:135], v[132:133], v[100:101], v[134:135] op_sel_hi:[1,1,0] neg_lo:[0,0,1] neg_hi:[0,0,1]
	v_mul_f32_e32 v132, v133, v120
	s_delay_alu instid0(VALU_DEP_3) | instskip(NEXT) | instid1(VALU_DEP_2)
	v_pk_add_f32 v[34:35], v[34:35], v[136:137] neg_lo:[0,1] neg_hi:[0,1]
	v_pk_fma_f32 v[130:131], v[130:131], v[100:101], v[132:133] op_sel_hi:[1,1,0]
	s_delay_alu instid0(VALU_DEP_1) | instskip(SKIP_4) | instid1(VALU_DEP_1)
	v_mov_b32_e32 v135, v131
	ds_load_2addr_b64 v[130:133], v124 offset0:44 offset1:45
	v_pk_add_f32 v[30:31], v[30:31], v[134:135] neg_lo:[0,1] neg_hi:[0,1]
	s_wait_dscnt 0x0
	v_pk_mul_f32 v[134:135], v[130:131], v[122:123] op_sel:[0,1]
	v_pk_fma_f32 v[136:137], v[130:131], v[120:121], v[134:135] op_sel:[0,0,1] op_sel_hi:[1,1,0] neg_lo:[0,0,1] neg_hi:[0,0,1]
	v_pk_fma_f32 v[130:131], v[130:131], v[120:121], v[134:135] op_sel:[0,0,1] op_sel_hi:[1,0,0]
	s_delay_alu instid0(VALU_DEP_1) | instskip(SKIP_1) | instid1(VALU_DEP_1)
	v_mov_b32_e32 v137, v131
	v_pk_mul_f32 v[130:131], v[132:133], v[122:123] op_sel:[0,1]
	v_pk_fma_f32 v[134:135], v[132:133], v[120:121], v[130:131] op_sel:[0,0,1] op_sel_hi:[1,1,0] neg_lo:[0,0,1] neg_hi:[0,0,1]
	v_pk_fma_f32 v[130:131], v[132:133], v[120:121], v[130:131] op_sel:[0,0,1] op_sel_hi:[1,0,0]
	s_delay_alu instid0(VALU_DEP_1)
	v_mov_b32_e32 v135, v131
	ds_load_2addr_b64 v[130:133], v124 offset0:46 offset1:47
	v_pk_add_f32 v[26:27], v[26:27], v[136:137] neg_lo:[0,1] neg_hi:[0,1]
	v_pk_add_f32 v[22:23], v[22:23], v[134:135] neg_lo:[0,1] neg_hi:[0,1]
	s_wait_dscnt 0x0
	v_pk_mul_f32 v[134:135], v[130:131], v[122:123] op_sel:[0,1]
	s_delay_alu instid0(VALU_DEP_1) | instskip(SKIP_1) | instid1(VALU_DEP_1)
	v_pk_fma_f32 v[136:137], v[130:131], v[120:121], v[134:135] op_sel:[0,0,1] op_sel_hi:[1,1,0] neg_lo:[0,0,1] neg_hi:[0,0,1]
	v_pk_fma_f32 v[130:131], v[130:131], v[120:121], v[134:135] op_sel:[0,0,1] op_sel_hi:[1,0,0]
	v_mov_b32_e32 v137, v131
	v_pk_mul_f32 v[130:131], v[132:133], v[122:123] op_sel:[0,1]
	s_delay_alu instid0(VALU_DEP_1) | instskip(SKIP_1) | instid1(VALU_DEP_1)
	v_pk_fma_f32 v[134:135], v[132:133], v[120:121], v[130:131] op_sel:[0,0,1] op_sel_hi:[1,1,0] neg_lo:[0,0,1] neg_hi:[0,0,1]
	v_pk_fma_f32 v[130:131], v[132:133], v[120:121], v[130:131] op_sel:[0,0,1] op_sel_hi:[1,0,0]
	v_mov_b32_e32 v135, v131
	ds_load_2addr_b64 v[130:133], v124 offset0:48 offset1:49
	v_pk_add_f32 v[24:25], v[24:25], v[136:137] neg_lo:[0,1] neg_hi:[0,1]
	v_pk_add_f32 v[20:21], v[20:21], v[134:135] neg_lo:[0,1] neg_hi:[0,1]
	s_wait_dscnt 0x0
	v_dual_mul_f32 v134, v131, v123 :: v_dual_mul_f32 v136, v131, v120
	s_delay_alu instid0(VALU_DEP_1) | instskip(NEXT) | instid1(VALU_DEP_2)
	v_pk_fma_f32 v[134:135], v[130:131], v[100:101], v[134:135] op_sel_hi:[1,1,0] neg_lo:[0,0,1] neg_hi:[0,0,1]
	v_pk_fma_f32 v[130:131], v[130:131], v[100:101], v[136:137] op_sel:[1,0,0] op_sel_hi:[0,1,0]
	s_delay_alu instid0(VALU_DEP_1) | instskip(SKIP_1) | instid1(VALU_DEP_2)
	v_mov_b32_e32 v135, v131
	v_pk_mul_f32 v[130:131], v[132:133], v[122:123] op_sel:[0,1]
	v_pk_add_f32 v[14:15], v[14:15], v[134:135] neg_lo:[0,1] neg_hi:[0,1]
	s_delay_alu instid0(VALU_DEP_2) | instskip(SKIP_1) | instid1(VALU_DEP_1)
	v_pk_fma_f32 v[134:135], v[132:133], v[120:121], v[130:131] op_sel:[0,0,1] op_sel_hi:[1,1,0] neg_lo:[0,0,1] neg_hi:[0,0,1]
	v_pk_fma_f32 v[130:131], v[132:133], v[120:121], v[130:131] op_sel:[0,0,1] op_sel_hi:[1,0,0]
	v_mov_b32_e32 v135, v131
	ds_load_2addr_b64 v[130:133], v124 offset0:50 offset1:51
	v_pk_add_f32 v[10:11], v[10:11], v[134:135] neg_lo:[0,1] neg_hi:[0,1]
	s_wait_dscnt 0x0
	v_pk_mul_f32 v[134:135], v[130:131], v[122:123] op_sel:[0,1]
	s_delay_alu instid0(VALU_DEP_1) | instskip(SKIP_1) | instid1(VALU_DEP_1)
	v_pk_fma_f32 v[136:137], v[130:131], v[120:121], v[134:135] op_sel:[0,0,1] op_sel_hi:[1,1,0] neg_lo:[0,0,1] neg_hi:[0,0,1]
	v_pk_fma_f32 v[130:131], v[130:131], v[120:121], v[134:135] op_sel:[0,0,1] op_sel_hi:[1,0,0]
	v_mov_b32_e32 v137, v131
	v_pk_mul_f32 v[130:131], v[132:133], v[122:123] op_sel:[0,1]
	s_delay_alu instid0(VALU_DEP_2) | instskip(NEXT) | instid1(VALU_DEP_2)
	v_pk_add_f32 v[12:13], v[12:13], v[136:137] neg_lo:[0,1] neg_hi:[0,1]
	v_pk_fma_f32 v[134:135], v[132:133], v[120:121], v[130:131] op_sel:[0,0,1] op_sel_hi:[1,1,0] neg_lo:[0,0,1] neg_hi:[0,0,1]
	v_pk_fma_f32 v[130:131], v[132:133], v[120:121], v[130:131] op_sel:[0,0,1] op_sel_hi:[1,0,0]
	s_delay_alu instid0(VALU_DEP_1) | instskip(SKIP_4) | instid1(VALU_DEP_1)
	v_mov_b32_e32 v135, v131
	ds_load_2addr_b64 v[130:133], v124 offset0:52 offset1:53
	v_pk_add_f32 v[8:9], v[8:9], v[134:135] neg_lo:[0,1] neg_hi:[0,1]
	s_wait_dscnt 0x0
	v_pk_mul_f32 v[134:135], v[130:131], v[122:123] op_sel:[0,1]
	v_pk_fma_f32 v[136:137], v[130:131], v[120:121], v[134:135] op_sel:[0,0,1] op_sel_hi:[1,1,0] neg_lo:[0,0,1] neg_hi:[0,0,1]
	v_pk_fma_f32 v[130:131], v[130:131], v[120:121], v[134:135] op_sel:[0,0,1] op_sel_hi:[1,0,0]
	v_dual_mul_f32 v134, v133, v123 :: v_dual_mov_b32 v130, v133
	s_delay_alu instid0(VALU_DEP_2) | instskip(NEXT) | instid1(VALU_DEP_2)
	v_dual_mov_b32 v137, v131 :: v_dual_mov_b32 v131, v132
	v_pk_fma_f32 v[134:135], v[132:133], v[100:101], v[134:135] op_sel_hi:[1,1,0] neg_lo:[0,0,1] neg_hi:[0,0,1]
	v_mul_f32_e32 v132, v133, v120
	s_delay_alu instid0(VALU_DEP_3) | instskip(NEXT) | instid1(VALU_DEP_2)
	v_pk_add_f32 v[6:7], v[6:7], v[136:137] neg_lo:[0,1] neg_hi:[0,1]
	v_pk_fma_f32 v[130:131], v[130:131], v[100:101], v[132:133] op_sel_hi:[1,1,0]
	s_delay_alu instid0(VALU_DEP_1) | instskip(SKIP_4) | instid1(VALU_DEP_1)
	v_mov_b32_e32 v135, v131
	ds_load_2addr_b64 v[130:133], v124 offset0:54 offset1:55
	v_pk_add_f32 v[28:29], v[28:29], v[134:135] neg_lo:[0,1] neg_hi:[0,1]
	s_wait_dscnt 0x0
	v_pk_mul_f32 v[134:135], v[130:131], v[122:123] op_sel:[0,1]
	v_pk_fma_f32 v[136:137], v[130:131], v[120:121], v[134:135] op_sel:[0,0,1] op_sel_hi:[1,1,0] neg_lo:[0,0,1] neg_hi:[0,0,1]
	v_pk_fma_f32 v[130:131], v[130:131], v[120:121], v[134:135] op_sel:[0,0,1] op_sel_hi:[1,0,0]
	s_delay_alu instid0(VALU_DEP_1) | instskip(SKIP_1) | instid1(VALU_DEP_1)
	v_mov_b32_e32 v137, v131
	v_pk_mul_f32 v[130:131], v[132:133], v[122:123] op_sel:[0,1]
	v_pk_fma_f32 v[134:135], v[132:133], v[120:121], v[130:131] op_sel:[0,0,1] op_sel_hi:[1,1,0] neg_lo:[0,0,1] neg_hi:[0,0,1]
	v_pk_fma_f32 v[130:131], v[132:133], v[120:121], v[130:131] op_sel:[0,0,1] op_sel_hi:[1,0,0]
	s_delay_alu instid0(VALU_DEP_1)
	v_mov_b32_e32 v135, v131
	ds_load_b64 v[130:131], v124 offset:448
	v_pk_add_f32 v[18:19], v[18:19], v[136:137] neg_lo:[0,1] neg_hi:[0,1]
	v_pk_add_f32 v[16:17], v[16:17], v[134:135] neg_lo:[0,1] neg_hi:[0,1]
	s_wait_dscnt 0x0
	v_pk_mul_f32 v[122:123], v[130:131], v[122:123] op_sel:[0,1]
	s_delay_alu instid0(VALU_DEP_1) | instskip(SKIP_1) | instid1(VALU_DEP_1)
	v_pk_fma_f32 v[132:133], v[130:131], v[120:121], v[122:123] op_sel:[0,0,1] op_sel_hi:[1,1,0] neg_lo:[0,0,1] neg_hi:[0,0,1]
	v_pk_fma_f32 v[120:121], v[130:131], v[120:121], v[122:123] op_sel:[0,0,1] op_sel_hi:[1,0,0]
	v_mov_b32_e32 v133, v121
	s_delay_alu instid0(VALU_DEP_1)
	v_pk_add_f32 v[118:119], v[118:119], v[132:133] neg_lo:[0,1] neg_hi:[0,1]
.LBB112_209:
	s_or_b32 exec_lo, exec_lo, s0
	v_lshl_add_u32 v120, v128, 3, v124
	s_barrier_signal -1
	s_barrier_wait -1
	ds_store_b64 v120, v[102:103]
	s_wait_dscnt 0x0
	s_barrier_signal -1
	s_barrier_wait -1
	ds_load_b64 v[122:123], v124 offset:80
	v_mov_b32_e32 v120, 10
	s_cmp_lt_i32 s18, 12
	s_cbranch_scc1 .LBB112_212
; %bb.210:
	v_add3_u32 v121, v125, 0, 0x58
	v_mov_b32_e32 v120, 10
	s_mov_b32 s0, 11
.LBB112_211:                            ; =>This Inner Loop Header: Depth=1
	ds_load_b64 v[130:131], v121
	s_wait_dscnt 0x1
	v_cmp_gt_f32_e32 vcc_lo, 0, v122
	v_cndmask_b32_e64 v132, v122, -v122, vcc_lo
	v_cmp_gt_f32_e32 vcc_lo, 0, v123
	v_cndmask_b32_e64 v134, v123, -v123, vcc_lo
	s_wait_dscnt 0x0
	v_cmp_gt_f32_e32 vcc_lo, 0, v130
	v_cndmask_b32_e64 v133, v130, -v130, vcc_lo
	v_cmp_gt_f32_e32 vcc_lo, 0, v131
	v_cndmask_b32_e64 v135, v131, -v131, vcc_lo
	s_delay_alu instid0(VALU_DEP_1) | instskip(NEXT) | instid1(VALU_DEP_1)
	v_pk_add_f32 v[132:133], v[132:133], v[134:135]
	v_cmp_lt_f32_e32 vcc_lo, v132, v133
	v_dual_add_nc_u32 v121, 8, v121 :: v_dual_cndmask_b32 v123, v123, v131, vcc_lo
	v_cndmask_b32_e32 v122, v122, v130, vcc_lo
	v_cndmask_b32_e64 v120, v120, s0, vcc_lo
	s_add_co_i32 s0, s0, 1
	s_delay_alu instid0(SALU_CYCLE_1)
	s_cmp_lg_u32 s18, s0
	s_cbranch_scc1 .LBB112_211
.LBB112_212:
	s_wait_dscnt 0x0
	v_cmp_eq_f32_e32 vcc_lo, 0, v122
	v_cmp_eq_f32_e64 s0, 0, v123
	s_and_b32 s0, vcc_lo, s0
	s_delay_alu instid0(SALU_CYCLE_1) | instskip(NEXT) | instid1(SALU_CYCLE_1)
	s_and_saveexec_b32 s1, s0
	s_xor_b32 s0, exec_lo, s1
; %bb.213:
	v_cmp_ne_u32_e32 vcc_lo, 0, v126
	v_cndmask_b32_e32 v126, 11, v126, vcc_lo
; %bb.214:
	s_and_not1_saveexec_b32 s0, s0
	s_cbranch_execz .LBB112_220
; %bb.215:
	v_cmp_ngt_f32_e64 s1, |v122|, |v123|
	s_and_saveexec_b32 s12, s1
	s_delay_alu instid0(SALU_CYCLE_1)
	s_xor_b32 s1, exec_lo, s12
	s_cbranch_execz .LBB112_217
; %bb.216:
	v_div_scale_f32 v121, null, v123, v123, v122
	v_div_scale_f32 v131, vcc_lo, v122, v123, v122
	s_delay_alu instid0(VALU_DEP_2) | instskip(SKIP_1) | instid1(TRANS32_DEP_1)
	v_rcp_f32_e32 v129, v121
	v_nop
	v_fma_f32 v130, -v121, v129, 1.0
	s_delay_alu instid0(VALU_DEP_1) | instskip(NEXT) | instid1(VALU_DEP_1)
	v_fmac_f32_e32 v129, v130, v129
	v_mul_f32_e32 v130, v131, v129
	s_delay_alu instid0(VALU_DEP_1) | instskip(NEXT) | instid1(VALU_DEP_1)
	v_fma_f32 v132, -v121, v130, v131
	v_fmac_f32_e32 v130, v132, v129
	s_delay_alu instid0(VALU_DEP_1) | instskip(NEXT) | instid1(VALU_DEP_1)
	v_fma_f32 v121, -v121, v130, v131
	v_div_fmas_f32 v121, v121, v129, v130
	s_delay_alu instid0(VALU_DEP_1) | instskip(NEXT) | instid1(VALU_DEP_1)
	v_div_fixup_f32 v121, v121, v123, v122
	v_fmac_f32_e32 v123, v122, v121
	s_delay_alu instid0(VALU_DEP_1) | instskip(SKIP_1) | instid1(VALU_DEP_2)
	v_div_scale_f32 v122, null, v123, v123, 1.0
	v_div_scale_f32 v131, vcc_lo, 1.0, v123, 1.0
	v_rcp_f32_e32 v129, v122
	v_nop
	s_delay_alu instid0(TRANS32_DEP_1) | instskip(NEXT) | instid1(VALU_DEP_1)
	v_fma_f32 v130, -v122, v129, 1.0
	v_fmac_f32_e32 v129, v130, v129
	s_delay_alu instid0(VALU_DEP_1) | instskip(NEXT) | instid1(VALU_DEP_1)
	v_mul_f32_e32 v130, v131, v129
	v_fma_f32 v132, -v122, v130, v131
	s_delay_alu instid0(VALU_DEP_1) | instskip(NEXT) | instid1(VALU_DEP_1)
	v_fmac_f32_e32 v130, v132, v129
	v_fma_f32 v122, -v122, v130, v131
	s_delay_alu instid0(VALU_DEP_1) | instskip(NEXT) | instid1(VALU_DEP_1)
	v_div_fmas_f32 v122, v122, v129, v130
	v_div_fixup_f32 v123, v122, v123, 1.0
	s_delay_alu instid0(VALU_DEP_1)
	v_mul_f32_e32 v122, v121, v123
	v_xor_b32_e32 v123, 0x80000000, v123
.LBB112_217:
	s_and_not1_saveexec_b32 s1, s1
	s_cbranch_execz .LBB112_219
; %bb.218:
	s_delay_alu instid0(VALU_DEP_1) | instskip(SKIP_1) | instid1(VALU_DEP_2)
	v_div_scale_f32 v121, null, v122, v122, v123
	v_div_scale_f32 v131, vcc_lo, v123, v122, v123
	v_rcp_f32_e32 v129, v121
	v_nop
	s_delay_alu instid0(TRANS32_DEP_1) | instskip(NEXT) | instid1(VALU_DEP_1)
	v_fma_f32 v130, -v121, v129, 1.0
	v_fmac_f32_e32 v129, v130, v129
	s_delay_alu instid0(VALU_DEP_1) | instskip(NEXT) | instid1(VALU_DEP_1)
	v_mul_f32_e32 v130, v131, v129
	v_fma_f32 v132, -v121, v130, v131
	s_delay_alu instid0(VALU_DEP_1) | instskip(NEXT) | instid1(VALU_DEP_1)
	v_fmac_f32_e32 v130, v132, v129
	v_fma_f32 v121, -v121, v130, v131
	s_delay_alu instid0(VALU_DEP_1) | instskip(NEXT) | instid1(VALU_DEP_1)
	v_div_fmas_f32 v121, v121, v129, v130
	v_div_fixup_f32 v121, v121, v122, v123
	s_delay_alu instid0(VALU_DEP_1) | instskip(NEXT) | instid1(VALU_DEP_1)
	v_fmac_f32_e32 v122, v123, v121
	v_div_scale_f32 v123, null, v122, v122, 1.0
	s_delay_alu instid0(VALU_DEP_1) | instskip(SKIP_1) | instid1(TRANS32_DEP_1)
	v_rcp_f32_e32 v129, v123
	v_nop
	v_fma_f32 v130, -v123, v129, 1.0
	s_delay_alu instid0(VALU_DEP_1) | instskip(SKIP_1) | instid1(VALU_DEP_1)
	v_fmac_f32_e32 v129, v130, v129
	v_div_scale_f32 v130, vcc_lo, 1.0, v122, 1.0
	v_mul_f32_e32 v131, v130, v129
	s_delay_alu instid0(VALU_DEP_1) | instskip(NEXT) | instid1(VALU_DEP_1)
	v_fma_f32 v132, -v123, v131, v130
	v_fmac_f32_e32 v131, v132, v129
	s_delay_alu instid0(VALU_DEP_1) | instskip(NEXT) | instid1(VALU_DEP_1)
	v_fma_f32 v123, -v123, v131, v130
	v_div_fmas_f32 v123, v123, v129, v131
	s_delay_alu instid0(VALU_DEP_1) | instskip(NEXT) | instid1(VALU_DEP_1)
	v_div_fixup_f32 v122, v123, v122, 1.0
	v_mul_f32_e64 v123, v121, -v122
.LBB112_219:
	s_or_b32 exec_lo, exec_lo, s1
.LBB112_220:
	s_delay_alu instid0(SALU_CYCLE_1) | instskip(NEXT) | instid1(SALU_CYCLE_1)
	s_or_b32 exec_lo, exec_lo, s0
	s_mov_b32 s0, exec_lo
	v_cmpx_ne_u32_e64 v128, v120
	s_xor_b32 s0, exec_lo, s0
	s_cbranch_execz .LBB112_226
; %bb.221:
	s_mov_b32 s1, exec_lo
	v_cmpx_eq_u32_e32 10, v128
	s_cbranch_execz .LBB112_225
; %bb.222:
	v_cmp_ne_u32_e32 vcc_lo, 10, v120
	s_xor_b32 s12, s16, -1
	s_delay_alu instid0(SALU_CYCLE_1) | instskip(NEXT) | instid1(SALU_CYCLE_1)
	s_and_b32 s13, s12, vcc_lo
	s_and_saveexec_b32 s12, s13
	s_cbranch_execz .LBB112_224
; %bb.223:
	v_ashrrev_i32_e32 v121, 31, v120
	s_delay_alu instid0(VALU_DEP_1)
	v_lshl_add_u64 v[128:129], v[120:121], 2, v[4:5]
	s_clause 0x1
	global_load_b32 v121, v[128:129], off
	global_load_b32 v127, v[4:5], off offset:40
	s_wait_loadcnt 0x1
	global_store_b32 v[4:5], v121, off offset:40
	s_wait_loadcnt 0x0
	global_store_b32 v[128:129], v127, off
.LBB112_224:
	s_wait_xcnt 0x0
	s_or_b32 exec_lo, exec_lo, s12
	v_dual_mov_b32 v128, v120 :: v_dual_mov_b32 v127, v120
.LBB112_225:
	s_or_b32 exec_lo, exec_lo, s1
.LBB112_226:
	s_and_not1_saveexec_b32 s0, s0
	s_cbranch_execz .LBB112_228
; %bb.227:
	v_mov_b32_e32 v128, 10
	ds_store_2addr_b64 v124, v[98:99], v[96:97] offset0:11 offset1:12
	ds_store_2addr_b64 v124, v[92:93], v[94:95] offset0:13 offset1:14
	ds_store_2addr_b64 v124, v[90:91], v[84:85] offset0:15 offset1:16
	ds_store_2addr_b64 v124, v[80:81], v[82:83] offset0:17 offset1:18
	ds_store_2addr_b64 v124, v[78:79], v[76:77] offset0:19 offset1:20
	ds_store_2addr_b64 v124, v[72:73], v[74:75] offset0:21 offset1:22
	ds_store_2addr_b64 v124, v[70:71], v[68:69] offset0:23 offset1:24
	ds_store_2addr_b64 v124, v[64:65], v[66:67] offset0:25 offset1:26
	ds_store_2addr_b64 v124, v[62:63], v[60:61] offset0:27 offset1:28
	ds_store_2addr_b64 v124, v[56:57], v[58:59] offset0:29 offset1:30
	ds_store_2addr_b64 v124, v[54:55], v[52:53] offset0:31 offset1:32
	ds_store_2addr_b64 v124, v[48:49], v[50:51] offset0:33 offset1:34
	ds_store_2addr_b64 v124, v[46:47], v[44:45] offset0:35 offset1:36
	ds_store_2addr_b64 v124, v[40:41], v[42:43] offset0:37 offset1:38
	ds_store_2addr_b64 v124, v[38:39], v[36:37] offset0:39 offset1:40
	ds_store_2addr_b64 v124, v[32:33], v[34:35] offset0:41 offset1:42
	ds_store_2addr_b64 v124, v[30:31], v[26:27] offset0:43 offset1:44
	ds_store_2addr_b64 v124, v[22:23], v[24:25] offset0:45 offset1:46
	ds_store_2addr_b64 v124, v[20:21], v[14:15] offset0:47 offset1:48
	ds_store_2addr_b64 v124, v[10:11], v[12:13] offset0:49 offset1:50
	ds_store_2addr_b64 v124, v[8:9], v[6:7] offset0:51 offset1:52
	ds_store_2addr_b64 v124, v[28:29], v[18:19] offset0:53 offset1:54
	ds_store_2addr_b64 v124, v[16:17], v[118:119] offset0:55 offset1:56
.LBB112_228:
	s_or_b32 exec_lo, exec_lo, s0
	s_delay_alu instid0(SALU_CYCLE_1)
	s_mov_b32 s0, exec_lo
	s_wait_storecnt_dscnt 0x0
	s_barrier_signal -1
	s_barrier_wait -1
	v_cmpx_lt_i32_e32 10, v128
	s_cbranch_execz .LBB112_230
; %bb.229:
	v_pk_mul_f32 v[130:131], v[122:123], v[102:103] op_sel:[1,1] op_sel_hi:[0,1]
	s_delay_alu instid0(VALU_DEP_1)
	v_pk_fma_f32 v[120:121], v[122:123], v[102:103], v[130:131] op_sel_hi:[1,0,1] neg_lo:[0,0,1] neg_hi:[0,0,1]
	v_pk_fma_f32 v[122:123], v[122:123], v[102:103], v[130:131] op_sel_hi:[1,0,1]
	ds_load_2addr_b64 v[130:133], v124 offset0:11 offset1:12
	v_dual_mov_b32 v102, v120 :: v_dual_mov_b32 v103, v123
	s_wait_dscnt 0x0
	v_pk_mul_f32 v[134:135], v[130:131], v[122:123] op_sel:[0,1]
	s_delay_alu instid0(VALU_DEP_1) | instskip(SKIP_1) | instid1(VALU_DEP_1)
	v_pk_fma_f32 v[136:137], v[130:131], v[120:121], v[134:135] op_sel:[0,0,1] op_sel_hi:[1,1,0] neg_lo:[0,0,1] neg_hi:[0,0,1]
	v_pk_fma_f32 v[130:131], v[130:131], v[120:121], v[134:135] op_sel:[0,0,1] op_sel_hi:[1,0,0]
	v_mov_b32_e32 v137, v131
	v_pk_mul_f32 v[130:131], v[132:133], v[122:123] op_sel:[0,1]
	s_delay_alu instid0(VALU_DEP_1) | instskip(SKIP_1) | instid1(VALU_DEP_1)
	v_pk_fma_f32 v[134:135], v[132:133], v[120:121], v[130:131] op_sel:[0,0,1] op_sel_hi:[1,1,0] neg_lo:[0,0,1] neg_hi:[0,0,1]
	v_pk_fma_f32 v[130:131], v[132:133], v[120:121], v[130:131] op_sel:[0,0,1] op_sel_hi:[1,0,0]
	v_mov_b32_e32 v135, v131
	ds_load_2addr_b64 v[130:133], v124 offset0:13 offset1:14
	v_pk_add_f32 v[98:99], v[98:99], v[136:137] neg_lo:[0,1] neg_hi:[0,1]
	v_pk_add_f32 v[96:97], v[96:97], v[134:135] neg_lo:[0,1] neg_hi:[0,1]
	s_wait_dscnt 0x0
	v_pk_mul_f32 v[134:135], v[130:131], v[122:123] op_sel:[0,1]
	s_delay_alu instid0(VALU_DEP_1) | instskip(SKIP_2) | instid1(VALU_DEP_2)
	v_pk_fma_f32 v[136:137], v[130:131], v[120:121], v[134:135] op_sel:[0,0,1] op_sel_hi:[1,1,0] neg_lo:[0,0,1] neg_hi:[0,0,1]
	v_pk_fma_f32 v[130:131], v[130:131], v[120:121], v[134:135] op_sel:[0,0,1] op_sel_hi:[1,0,0]
	v_dual_mul_f32 v134, v133, v123 :: v_dual_mov_b32 v130, v133
	v_dual_mov_b32 v137, v131 :: v_dual_mov_b32 v131, v132
	s_delay_alu instid0(VALU_DEP_2) | instskip(SKIP_1) | instid1(VALU_DEP_3)
	v_pk_fma_f32 v[134:135], v[132:133], v[102:103], v[134:135] op_sel_hi:[1,1,0] neg_lo:[0,0,1] neg_hi:[0,0,1]
	v_mul_f32_e32 v132, v133, v120
	v_pk_add_f32 v[92:93], v[92:93], v[136:137] neg_lo:[0,1] neg_hi:[0,1]
	s_delay_alu instid0(VALU_DEP_2) | instskip(NEXT) | instid1(VALU_DEP_1)
	v_pk_fma_f32 v[130:131], v[130:131], v[102:103], v[132:133] op_sel_hi:[1,1,0]
	v_mov_b32_e32 v135, v131
	ds_load_2addr_b64 v[130:133], v124 offset0:15 offset1:16
	v_pk_add_f32 v[94:95], v[94:95], v[134:135] neg_lo:[0,1] neg_hi:[0,1]
	s_wait_dscnt 0x0
	v_pk_mul_f32 v[134:135], v[130:131], v[122:123] op_sel:[0,1]
	s_delay_alu instid0(VALU_DEP_1) | instskip(SKIP_1) | instid1(VALU_DEP_1)
	v_pk_fma_f32 v[136:137], v[130:131], v[120:121], v[134:135] op_sel:[0,0,1] op_sel_hi:[1,1,0] neg_lo:[0,0,1] neg_hi:[0,0,1]
	v_pk_fma_f32 v[130:131], v[130:131], v[120:121], v[134:135] op_sel:[0,0,1] op_sel_hi:[1,0,0]
	v_mov_b32_e32 v137, v131
	v_pk_mul_f32 v[130:131], v[132:133], v[122:123] op_sel:[0,1]
	s_delay_alu instid0(VALU_DEP_1) | instskip(SKIP_1) | instid1(VALU_DEP_1)
	v_pk_fma_f32 v[134:135], v[132:133], v[120:121], v[130:131] op_sel:[0,0,1] op_sel_hi:[1,1,0] neg_lo:[0,0,1] neg_hi:[0,0,1]
	v_pk_fma_f32 v[130:131], v[132:133], v[120:121], v[130:131] op_sel:[0,0,1] op_sel_hi:[1,0,0]
	v_mov_b32_e32 v135, v131
	ds_load_2addr_b64 v[130:133], v124 offset0:17 offset1:18
	v_pk_add_f32 v[90:91], v[90:91], v[136:137] neg_lo:[0,1] neg_hi:[0,1]
	v_pk_add_f32 v[84:85], v[84:85], v[134:135] neg_lo:[0,1] neg_hi:[0,1]
	s_wait_dscnt 0x0
	v_pk_mul_f32 v[134:135], v[130:131], v[122:123] op_sel:[0,1]
	s_delay_alu instid0(VALU_DEP_1) | instskip(SKIP_1) | instid1(VALU_DEP_1)
	v_pk_fma_f32 v[136:137], v[130:131], v[120:121], v[134:135] op_sel:[0,0,1] op_sel_hi:[1,1,0] neg_lo:[0,0,1] neg_hi:[0,0,1]
	v_pk_fma_f32 v[130:131], v[130:131], v[120:121], v[134:135] op_sel:[0,0,1] op_sel_hi:[1,0,0]
	v_mov_b32_e32 v137, v131
	v_pk_mul_f32 v[130:131], v[132:133], v[122:123] op_sel:[0,1]
	s_delay_alu instid0(VALU_DEP_1) | instskip(SKIP_1) | instid1(VALU_DEP_1)
	v_pk_fma_f32 v[134:135], v[132:133], v[120:121], v[130:131] op_sel:[0,0,1] op_sel_hi:[1,1,0] neg_lo:[0,0,1] neg_hi:[0,0,1]
	v_pk_fma_f32 v[130:131], v[132:133], v[120:121], v[130:131] op_sel:[0,0,1] op_sel_hi:[1,0,0]
	v_mov_b32_e32 v135, v131
	ds_load_2addr_b64 v[130:133], v124 offset0:19 offset1:20
	v_pk_add_f32 v[80:81], v[80:81], v[136:137] neg_lo:[0,1] neg_hi:[0,1]
	v_pk_add_f32 v[82:83], v[82:83], v[134:135] neg_lo:[0,1] neg_hi:[0,1]
	s_wait_dscnt 0x0
	v_dual_mul_f32 v134, v131, v123 :: v_dual_mul_f32 v136, v131, v120
	s_delay_alu instid0(VALU_DEP_1) | instskip(NEXT) | instid1(VALU_DEP_2)
	v_pk_fma_f32 v[134:135], v[130:131], v[102:103], v[134:135] op_sel_hi:[1,1,0] neg_lo:[0,0,1] neg_hi:[0,0,1]
	v_pk_fma_f32 v[130:131], v[130:131], v[102:103], v[136:137] op_sel:[1,0,0] op_sel_hi:[0,1,0]
	s_delay_alu instid0(VALU_DEP_1) | instskip(SKIP_1) | instid1(VALU_DEP_2)
	v_mov_b32_e32 v135, v131
	v_pk_mul_f32 v[130:131], v[132:133], v[122:123] op_sel:[0,1]
	v_pk_add_f32 v[78:79], v[78:79], v[134:135] neg_lo:[0,1] neg_hi:[0,1]
	s_delay_alu instid0(VALU_DEP_2) | instskip(SKIP_1) | instid1(VALU_DEP_1)
	v_pk_fma_f32 v[134:135], v[132:133], v[120:121], v[130:131] op_sel:[0,0,1] op_sel_hi:[1,1,0] neg_lo:[0,0,1] neg_hi:[0,0,1]
	v_pk_fma_f32 v[130:131], v[132:133], v[120:121], v[130:131] op_sel:[0,0,1] op_sel_hi:[1,0,0]
	v_mov_b32_e32 v135, v131
	ds_load_2addr_b64 v[130:133], v124 offset0:21 offset1:22
	v_pk_add_f32 v[76:77], v[76:77], v[134:135] neg_lo:[0,1] neg_hi:[0,1]
	s_wait_dscnt 0x0
	v_pk_mul_f32 v[134:135], v[130:131], v[122:123] op_sel:[0,1]
	s_delay_alu instid0(VALU_DEP_1) | instskip(SKIP_1) | instid1(VALU_DEP_1)
	v_pk_fma_f32 v[136:137], v[130:131], v[120:121], v[134:135] op_sel:[0,0,1] op_sel_hi:[1,1,0] neg_lo:[0,0,1] neg_hi:[0,0,1]
	v_pk_fma_f32 v[130:131], v[130:131], v[120:121], v[134:135] op_sel:[0,0,1] op_sel_hi:[1,0,0]
	v_mov_b32_e32 v137, v131
	v_pk_mul_f32 v[130:131], v[132:133], v[122:123] op_sel:[0,1]
	s_delay_alu instid0(VALU_DEP_2) | instskip(NEXT) | instid1(VALU_DEP_2)
	v_pk_add_f32 v[72:73], v[72:73], v[136:137] neg_lo:[0,1] neg_hi:[0,1]
	v_pk_fma_f32 v[134:135], v[132:133], v[120:121], v[130:131] op_sel:[0,0,1] op_sel_hi:[1,1,0] neg_lo:[0,0,1] neg_hi:[0,0,1]
	v_pk_fma_f32 v[130:131], v[132:133], v[120:121], v[130:131] op_sel:[0,0,1] op_sel_hi:[1,0,0]
	s_delay_alu instid0(VALU_DEP_1) | instskip(SKIP_4) | instid1(VALU_DEP_1)
	v_mov_b32_e32 v135, v131
	ds_load_2addr_b64 v[130:133], v124 offset0:23 offset1:24
	v_pk_add_f32 v[74:75], v[74:75], v[134:135] neg_lo:[0,1] neg_hi:[0,1]
	s_wait_dscnt 0x0
	v_pk_mul_f32 v[134:135], v[130:131], v[122:123] op_sel:[0,1]
	v_pk_fma_f32 v[136:137], v[130:131], v[120:121], v[134:135] op_sel:[0,0,1] op_sel_hi:[1,1,0] neg_lo:[0,0,1] neg_hi:[0,0,1]
	v_pk_fma_f32 v[130:131], v[130:131], v[120:121], v[134:135] op_sel:[0,0,1] op_sel_hi:[1,0,0]
	v_dual_mul_f32 v134, v133, v123 :: v_dual_mov_b32 v130, v133
	s_delay_alu instid0(VALU_DEP_2) | instskip(NEXT) | instid1(VALU_DEP_2)
	v_dual_mov_b32 v137, v131 :: v_dual_mov_b32 v131, v132
	v_pk_fma_f32 v[134:135], v[132:133], v[102:103], v[134:135] op_sel_hi:[1,1,0] neg_lo:[0,0,1] neg_hi:[0,0,1]
	v_mul_f32_e32 v132, v133, v120
	s_delay_alu instid0(VALU_DEP_3) | instskip(NEXT) | instid1(VALU_DEP_2)
	v_pk_add_f32 v[70:71], v[70:71], v[136:137] neg_lo:[0,1] neg_hi:[0,1]
	v_pk_fma_f32 v[130:131], v[130:131], v[102:103], v[132:133] op_sel_hi:[1,1,0]
	s_delay_alu instid0(VALU_DEP_1) | instskip(SKIP_4) | instid1(VALU_DEP_1)
	v_mov_b32_e32 v135, v131
	ds_load_2addr_b64 v[130:133], v124 offset0:25 offset1:26
	v_pk_add_f32 v[68:69], v[68:69], v[134:135] neg_lo:[0,1] neg_hi:[0,1]
	s_wait_dscnt 0x0
	v_pk_mul_f32 v[134:135], v[130:131], v[122:123] op_sel:[0,1]
	v_pk_fma_f32 v[136:137], v[130:131], v[120:121], v[134:135] op_sel:[0,0,1] op_sel_hi:[1,1,0] neg_lo:[0,0,1] neg_hi:[0,0,1]
	v_pk_fma_f32 v[130:131], v[130:131], v[120:121], v[134:135] op_sel:[0,0,1] op_sel_hi:[1,0,0]
	s_delay_alu instid0(VALU_DEP_1) | instskip(SKIP_1) | instid1(VALU_DEP_1)
	v_mov_b32_e32 v137, v131
	v_pk_mul_f32 v[130:131], v[132:133], v[122:123] op_sel:[0,1]
	v_pk_fma_f32 v[134:135], v[132:133], v[120:121], v[130:131] op_sel:[0,0,1] op_sel_hi:[1,1,0] neg_lo:[0,0,1] neg_hi:[0,0,1]
	v_pk_fma_f32 v[130:131], v[132:133], v[120:121], v[130:131] op_sel:[0,0,1] op_sel_hi:[1,0,0]
	s_delay_alu instid0(VALU_DEP_1)
	v_mov_b32_e32 v135, v131
	ds_load_2addr_b64 v[130:133], v124 offset0:27 offset1:28
	v_pk_add_f32 v[64:65], v[64:65], v[136:137] neg_lo:[0,1] neg_hi:[0,1]
	v_pk_add_f32 v[66:67], v[66:67], v[134:135] neg_lo:[0,1] neg_hi:[0,1]
	s_wait_dscnt 0x0
	v_pk_mul_f32 v[134:135], v[130:131], v[122:123] op_sel:[0,1]
	s_delay_alu instid0(VALU_DEP_1) | instskip(SKIP_1) | instid1(VALU_DEP_1)
	v_pk_fma_f32 v[136:137], v[130:131], v[120:121], v[134:135] op_sel:[0,0,1] op_sel_hi:[1,1,0] neg_lo:[0,0,1] neg_hi:[0,0,1]
	v_pk_fma_f32 v[130:131], v[130:131], v[120:121], v[134:135] op_sel:[0,0,1] op_sel_hi:[1,0,0]
	v_mov_b32_e32 v137, v131
	v_pk_mul_f32 v[130:131], v[132:133], v[122:123] op_sel:[0,1]
	s_delay_alu instid0(VALU_DEP_1) | instskip(SKIP_1) | instid1(VALU_DEP_1)
	v_pk_fma_f32 v[134:135], v[132:133], v[120:121], v[130:131] op_sel:[0,0,1] op_sel_hi:[1,1,0] neg_lo:[0,0,1] neg_hi:[0,0,1]
	v_pk_fma_f32 v[130:131], v[132:133], v[120:121], v[130:131] op_sel:[0,0,1] op_sel_hi:[1,0,0]
	v_mov_b32_e32 v135, v131
	ds_load_2addr_b64 v[130:133], v124 offset0:29 offset1:30
	v_pk_add_f32 v[62:63], v[62:63], v[136:137] neg_lo:[0,1] neg_hi:[0,1]
	v_pk_add_f32 v[60:61], v[60:61], v[134:135] neg_lo:[0,1] neg_hi:[0,1]
	s_wait_dscnt 0x0
	v_dual_mul_f32 v134, v131, v123 :: v_dual_mul_f32 v136, v131, v120
	s_delay_alu instid0(VALU_DEP_1) | instskip(NEXT) | instid1(VALU_DEP_2)
	v_pk_fma_f32 v[134:135], v[130:131], v[102:103], v[134:135] op_sel_hi:[1,1,0] neg_lo:[0,0,1] neg_hi:[0,0,1]
	v_pk_fma_f32 v[130:131], v[130:131], v[102:103], v[136:137] op_sel:[1,0,0] op_sel_hi:[0,1,0]
	s_delay_alu instid0(VALU_DEP_1) | instskip(SKIP_1) | instid1(VALU_DEP_2)
	v_mov_b32_e32 v135, v131
	v_pk_mul_f32 v[130:131], v[132:133], v[122:123] op_sel:[0,1]
	v_pk_add_f32 v[56:57], v[56:57], v[134:135] neg_lo:[0,1] neg_hi:[0,1]
	s_delay_alu instid0(VALU_DEP_2) | instskip(SKIP_1) | instid1(VALU_DEP_1)
	v_pk_fma_f32 v[134:135], v[132:133], v[120:121], v[130:131] op_sel:[0,0,1] op_sel_hi:[1,1,0] neg_lo:[0,0,1] neg_hi:[0,0,1]
	v_pk_fma_f32 v[130:131], v[132:133], v[120:121], v[130:131] op_sel:[0,0,1] op_sel_hi:[1,0,0]
	v_mov_b32_e32 v135, v131
	ds_load_2addr_b64 v[130:133], v124 offset0:31 offset1:32
	v_pk_add_f32 v[58:59], v[58:59], v[134:135] neg_lo:[0,1] neg_hi:[0,1]
	s_wait_dscnt 0x0
	v_pk_mul_f32 v[134:135], v[130:131], v[122:123] op_sel:[0,1]
	s_delay_alu instid0(VALU_DEP_1) | instskip(SKIP_1) | instid1(VALU_DEP_1)
	v_pk_fma_f32 v[136:137], v[130:131], v[120:121], v[134:135] op_sel:[0,0,1] op_sel_hi:[1,1,0] neg_lo:[0,0,1] neg_hi:[0,0,1]
	v_pk_fma_f32 v[130:131], v[130:131], v[120:121], v[134:135] op_sel:[0,0,1] op_sel_hi:[1,0,0]
	v_mov_b32_e32 v137, v131
	v_pk_mul_f32 v[130:131], v[132:133], v[122:123] op_sel:[0,1]
	s_delay_alu instid0(VALU_DEP_2) | instskip(NEXT) | instid1(VALU_DEP_2)
	v_pk_add_f32 v[54:55], v[54:55], v[136:137] neg_lo:[0,1] neg_hi:[0,1]
	v_pk_fma_f32 v[134:135], v[132:133], v[120:121], v[130:131] op_sel:[0,0,1] op_sel_hi:[1,1,0] neg_lo:[0,0,1] neg_hi:[0,0,1]
	v_pk_fma_f32 v[130:131], v[132:133], v[120:121], v[130:131] op_sel:[0,0,1] op_sel_hi:[1,0,0]
	s_delay_alu instid0(VALU_DEP_1) | instskip(SKIP_4) | instid1(VALU_DEP_1)
	v_mov_b32_e32 v135, v131
	ds_load_2addr_b64 v[130:133], v124 offset0:33 offset1:34
	v_pk_add_f32 v[52:53], v[52:53], v[134:135] neg_lo:[0,1] neg_hi:[0,1]
	s_wait_dscnt 0x0
	v_pk_mul_f32 v[134:135], v[130:131], v[122:123] op_sel:[0,1]
	v_pk_fma_f32 v[136:137], v[130:131], v[120:121], v[134:135] op_sel:[0,0,1] op_sel_hi:[1,1,0] neg_lo:[0,0,1] neg_hi:[0,0,1]
	v_pk_fma_f32 v[130:131], v[130:131], v[120:121], v[134:135] op_sel:[0,0,1] op_sel_hi:[1,0,0]
	v_dual_mul_f32 v134, v133, v123 :: v_dual_mov_b32 v130, v133
	s_delay_alu instid0(VALU_DEP_2) | instskip(NEXT) | instid1(VALU_DEP_2)
	v_dual_mov_b32 v137, v131 :: v_dual_mov_b32 v131, v132
	v_pk_fma_f32 v[134:135], v[132:133], v[102:103], v[134:135] op_sel_hi:[1,1,0] neg_lo:[0,0,1] neg_hi:[0,0,1]
	v_mul_f32_e32 v132, v133, v120
	s_delay_alu instid0(VALU_DEP_3) | instskip(NEXT) | instid1(VALU_DEP_2)
	v_pk_add_f32 v[48:49], v[48:49], v[136:137] neg_lo:[0,1] neg_hi:[0,1]
	v_pk_fma_f32 v[130:131], v[130:131], v[102:103], v[132:133] op_sel_hi:[1,1,0]
	s_delay_alu instid0(VALU_DEP_1) | instskip(SKIP_4) | instid1(VALU_DEP_1)
	v_mov_b32_e32 v135, v131
	ds_load_2addr_b64 v[130:133], v124 offset0:35 offset1:36
	v_pk_add_f32 v[50:51], v[50:51], v[134:135] neg_lo:[0,1] neg_hi:[0,1]
	s_wait_dscnt 0x0
	v_pk_mul_f32 v[134:135], v[130:131], v[122:123] op_sel:[0,1]
	v_pk_fma_f32 v[136:137], v[130:131], v[120:121], v[134:135] op_sel:[0,0,1] op_sel_hi:[1,1,0] neg_lo:[0,0,1] neg_hi:[0,0,1]
	v_pk_fma_f32 v[130:131], v[130:131], v[120:121], v[134:135] op_sel:[0,0,1] op_sel_hi:[1,0,0]
	s_delay_alu instid0(VALU_DEP_1) | instskip(SKIP_1) | instid1(VALU_DEP_1)
	v_mov_b32_e32 v137, v131
	v_pk_mul_f32 v[130:131], v[132:133], v[122:123] op_sel:[0,1]
	v_pk_fma_f32 v[134:135], v[132:133], v[120:121], v[130:131] op_sel:[0,0,1] op_sel_hi:[1,1,0] neg_lo:[0,0,1] neg_hi:[0,0,1]
	v_pk_fma_f32 v[130:131], v[132:133], v[120:121], v[130:131] op_sel:[0,0,1] op_sel_hi:[1,0,0]
	s_delay_alu instid0(VALU_DEP_1)
	v_mov_b32_e32 v135, v131
	ds_load_2addr_b64 v[130:133], v124 offset0:37 offset1:38
	v_pk_add_f32 v[46:47], v[46:47], v[136:137] neg_lo:[0,1] neg_hi:[0,1]
	v_pk_add_f32 v[44:45], v[44:45], v[134:135] neg_lo:[0,1] neg_hi:[0,1]
	s_wait_dscnt 0x0
	v_pk_mul_f32 v[134:135], v[130:131], v[122:123] op_sel:[0,1]
	s_delay_alu instid0(VALU_DEP_1) | instskip(SKIP_1) | instid1(VALU_DEP_1)
	v_pk_fma_f32 v[136:137], v[130:131], v[120:121], v[134:135] op_sel:[0,0,1] op_sel_hi:[1,1,0] neg_lo:[0,0,1] neg_hi:[0,0,1]
	v_pk_fma_f32 v[130:131], v[130:131], v[120:121], v[134:135] op_sel:[0,0,1] op_sel_hi:[1,0,0]
	v_mov_b32_e32 v137, v131
	v_pk_mul_f32 v[130:131], v[132:133], v[122:123] op_sel:[0,1]
	s_delay_alu instid0(VALU_DEP_1) | instskip(SKIP_1) | instid1(VALU_DEP_1)
	v_pk_fma_f32 v[134:135], v[132:133], v[120:121], v[130:131] op_sel:[0,0,1] op_sel_hi:[1,1,0] neg_lo:[0,0,1] neg_hi:[0,0,1]
	v_pk_fma_f32 v[130:131], v[132:133], v[120:121], v[130:131] op_sel:[0,0,1] op_sel_hi:[1,0,0]
	v_mov_b32_e32 v135, v131
	ds_load_2addr_b64 v[130:133], v124 offset0:39 offset1:40
	v_pk_add_f32 v[40:41], v[40:41], v[136:137] neg_lo:[0,1] neg_hi:[0,1]
	v_pk_add_f32 v[42:43], v[42:43], v[134:135] neg_lo:[0,1] neg_hi:[0,1]
	s_wait_dscnt 0x0
	v_dual_mul_f32 v134, v131, v123 :: v_dual_mul_f32 v136, v131, v120
	s_delay_alu instid0(VALU_DEP_1) | instskip(NEXT) | instid1(VALU_DEP_2)
	v_pk_fma_f32 v[134:135], v[130:131], v[102:103], v[134:135] op_sel_hi:[1,1,0] neg_lo:[0,0,1] neg_hi:[0,0,1]
	v_pk_fma_f32 v[130:131], v[130:131], v[102:103], v[136:137] op_sel:[1,0,0] op_sel_hi:[0,1,0]
	s_delay_alu instid0(VALU_DEP_1) | instskip(SKIP_1) | instid1(VALU_DEP_2)
	v_mov_b32_e32 v135, v131
	v_pk_mul_f32 v[130:131], v[132:133], v[122:123] op_sel:[0,1]
	v_pk_add_f32 v[38:39], v[38:39], v[134:135] neg_lo:[0,1] neg_hi:[0,1]
	s_delay_alu instid0(VALU_DEP_2) | instskip(SKIP_1) | instid1(VALU_DEP_1)
	v_pk_fma_f32 v[134:135], v[132:133], v[120:121], v[130:131] op_sel:[0,0,1] op_sel_hi:[1,1,0] neg_lo:[0,0,1] neg_hi:[0,0,1]
	v_pk_fma_f32 v[130:131], v[132:133], v[120:121], v[130:131] op_sel:[0,0,1] op_sel_hi:[1,0,0]
	v_mov_b32_e32 v135, v131
	ds_load_2addr_b64 v[130:133], v124 offset0:41 offset1:42
	v_pk_add_f32 v[36:37], v[36:37], v[134:135] neg_lo:[0,1] neg_hi:[0,1]
	s_wait_dscnt 0x0
	v_pk_mul_f32 v[134:135], v[130:131], v[122:123] op_sel:[0,1]
	s_delay_alu instid0(VALU_DEP_1) | instskip(SKIP_1) | instid1(VALU_DEP_1)
	v_pk_fma_f32 v[136:137], v[130:131], v[120:121], v[134:135] op_sel:[0,0,1] op_sel_hi:[1,1,0] neg_lo:[0,0,1] neg_hi:[0,0,1]
	v_pk_fma_f32 v[130:131], v[130:131], v[120:121], v[134:135] op_sel:[0,0,1] op_sel_hi:[1,0,0]
	v_mov_b32_e32 v137, v131
	v_pk_mul_f32 v[130:131], v[132:133], v[122:123] op_sel:[0,1]
	s_delay_alu instid0(VALU_DEP_2) | instskip(NEXT) | instid1(VALU_DEP_2)
	v_pk_add_f32 v[32:33], v[32:33], v[136:137] neg_lo:[0,1] neg_hi:[0,1]
	v_pk_fma_f32 v[134:135], v[132:133], v[120:121], v[130:131] op_sel:[0,0,1] op_sel_hi:[1,1,0] neg_lo:[0,0,1] neg_hi:[0,0,1]
	v_pk_fma_f32 v[130:131], v[132:133], v[120:121], v[130:131] op_sel:[0,0,1] op_sel_hi:[1,0,0]
	s_delay_alu instid0(VALU_DEP_1) | instskip(SKIP_4) | instid1(VALU_DEP_1)
	v_mov_b32_e32 v135, v131
	ds_load_2addr_b64 v[130:133], v124 offset0:43 offset1:44
	v_pk_add_f32 v[34:35], v[34:35], v[134:135] neg_lo:[0,1] neg_hi:[0,1]
	s_wait_dscnt 0x0
	v_pk_mul_f32 v[134:135], v[130:131], v[122:123] op_sel:[0,1]
	v_pk_fma_f32 v[136:137], v[130:131], v[120:121], v[134:135] op_sel:[0,0,1] op_sel_hi:[1,1,0] neg_lo:[0,0,1] neg_hi:[0,0,1]
	v_pk_fma_f32 v[130:131], v[130:131], v[120:121], v[134:135] op_sel:[0,0,1] op_sel_hi:[1,0,0]
	v_dual_mul_f32 v134, v133, v123 :: v_dual_mov_b32 v130, v133
	s_delay_alu instid0(VALU_DEP_2) | instskip(NEXT) | instid1(VALU_DEP_2)
	v_dual_mov_b32 v137, v131 :: v_dual_mov_b32 v131, v132
	v_pk_fma_f32 v[134:135], v[132:133], v[102:103], v[134:135] op_sel_hi:[1,1,0] neg_lo:[0,0,1] neg_hi:[0,0,1]
	v_mul_f32_e32 v132, v133, v120
	s_delay_alu instid0(VALU_DEP_3) | instskip(NEXT) | instid1(VALU_DEP_2)
	v_pk_add_f32 v[30:31], v[30:31], v[136:137] neg_lo:[0,1] neg_hi:[0,1]
	v_pk_fma_f32 v[130:131], v[130:131], v[102:103], v[132:133] op_sel_hi:[1,1,0]
	s_delay_alu instid0(VALU_DEP_1) | instskip(SKIP_4) | instid1(VALU_DEP_1)
	v_mov_b32_e32 v135, v131
	ds_load_2addr_b64 v[130:133], v124 offset0:45 offset1:46
	v_pk_add_f32 v[26:27], v[26:27], v[134:135] neg_lo:[0,1] neg_hi:[0,1]
	s_wait_dscnt 0x0
	v_pk_mul_f32 v[134:135], v[130:131], v[122:123] op_sel:[0,1]
	v_pk_fma_f32 v[136:137], v[130:131], v[120:121], v[134:135] op_sel:[0,0,1] op_sel_hi:[1,1,0] neg_lo:[0,0,1] neg_hi:[0,0,1]
	v_pk_fma_f32 v[130:131], v[130:131], v[120:121], v[134:135] op_sel:[0,0,1] op_sel_hi:[1,0,0]
	s_delay_alu instid0(VALU_DEP_1) | instskip(SKIP_1) | instid1(VALU_DEP_1)
	v_mov_b32_e32 v137, v131
	v_pk_mul_f32 v[130:131], v[132:133], v[122:123] op_sel:[0,1]
	v_pk_fma_f32 v[134:135], v[132:133], v[120:121], v[130:131] op_sel:[0,0,1] op_sel_hi:[1,1,0] neg_lo:[0,0,1] neg_hi:[0,0,1]
	v_pk_fma_f32 v[130:131], v[132:133], v[120:121], v[130:131] op_sel:[0,0,1] op_sel_hi:[1,0,0]
	s_delay_alu instid0(VALU_DEP_1)
	v_mov_b32_e32 v135, v131
	ds_load_2addr_b64 v[130:133], v124 offset0:47 offset1:48
	v_pk_add_f32 v[22:23], v[22:23], v[136:137] neg_lo:[0,1] neg_hi:[0,1]
	v_pk_add_f32 v[24:25], v[24:25], v[134:135] neg_lo:[0,1] neg_hi:[0,1]
	s_wait_dscnt 0x0
	v_pk_mul_f32 v[134:135], v[130:131], v[122:123] op_sel:[0,1]
	s_delay_alu instid0(VALU_DEP_1) | instskip(SKIP_1) | instid1(VALU_DEP_1)
	v_pk_fma_f32 v[136:137], v[130:131], v[120:121], v[134:135] op_sel:[0,0,1] op_sel_hi:[1,1,0] neg_lo:[0,0,1] neg_hi:[0,0,1]
	v_pk_fma_f32 v[130:131], v[130:131], v[120:121], v[134:135] op_sel:[0,0,1] op_sel_hi:[1,0,0]
	v_mov_b32_e32 v137, v131
	v_pk_mul_f32 v[130:131], v[132:133], v[122:123] op_sel:[0,1]
	s_delay_alu instid0(VALU_DEP_1) | instskip(SKIP_1) | instid1(VALU_DEP_1)
	v_pk_fma_f32 v[134:135], v[132:133], v[120:121], v[130:131] op_sel:[0,0,1] op_sel_hi:[1,1,0] neg_lo:[0,0,1] neg_hi:[0,0,1]
	v_pk_fma_f32 v[130:131], v[132:133], v[120:121], v[130:131] op_sel:[0,0,1] op_sel_hi:[1,0,0]
	v_mov_b32_e32 v135, v131
	ds_load_2addr_b64 v[130:133], v124 offset0:49 offset1:50
	v_pk_add_f32 v[20:21], v[20:21], v[136:137] neg_lo:[0,1] neg_hi:[0,1]
	v_pk_add_f32 v[14:15], v[14:15], v[134:135] neg_lo:[0,1] neg_hi:[0,1]
	s_wait_dscnt 0x0
	v_dual_mul_f32 v134, v131, v123 :: v_dual_mul_f32 v136, v131, v120
	s_delay_alu instid0(VALU_DEP_1) | instskip(NEXT) | instid1(VALU_DEP_2)
	v_pk_fma_f32 v[134:135], v[130:131], v[102:103], v[134:135] op_sel_hi:[1,1,0] neg_lo:[0,0,1] neg_hi:[0,0,1]
	v_pk_fma_f32 v[130:131], v[130:131], v[102:103], v[136:137] op_sel:[1,0,0] op_sel_hi:[0,1,0]
	s_delay_alu instid0(VALU_DEP_1) | instskip(SKIP_1) | instid1(VALU_DEP_2)
	v_mov_b32_e32 v135, v131
	v_pk_mul_f32 v[130:131], v[132:133], v[122:123] op_sel:[0,1]
	v_pk_add_f32 v[10:11], v[10:11], v[134:135] neg_lo:[0,1] neg_hi:[0,1]
	s_delay_alu instid0(VALU_DEP_2) | instskip(SKIP_1) | instid1(VALU_DEP_1)
	v_pk_fma_f32 v[134:135], v[132:133], v[120:121], v[130:131] op_sel:[0,0,1] op_sel_hi:[1,1,0] neg_lo:[0,0,1] neg_hi:[0,0,1]
	v_pk_fma_f32 v[130:131], v[132:133], v[120:121], v[130:131] op_sel:[0,0,1] op_sel_hi:[1,0,0]
	v_mov_b32_e32 v135, v131
	ds_load_2addr_b64 v[130:133], v124 offset0:51 offset1:52
	v_pk_add_f32 v[12:13], v[12:13], v[134:135] neg_lo:[0,1] neg_hi:[0,1]
	s_wait_dscnt 0x0
	v_pk_mul_f32 v[134:135], v[130:131], v[122:123] op_sel:[0,1]
	s_delay_alu instid0(VALU_DEP_1) | instskip(SKIP_1) | instid1(VALU_DEP_1)
	v_pk_fma_f32 v[136:137], v[130:131], v[120:121], v[134:135] op_sel:[0,0,1] op_sel_hi:[1,1,0] neg_lo:[0,0,1] neg_hi:[0,0,1]
	v_pk_fma_f32 v[130:131], v[130:131], v[120:121], v[134:135] op_sel:[0,0,1] op_sel_hi:[1,0,0]
	v_mov_b32_e32 v137, v131
	v_pk_mul_f32 v[130:131], v[132:133], v[122:123] op_sel:[0,1]
	s_delay_alu instid0(VALU_DEP_2) | instskip(NEXT) | instid1(VALU_DEP_2)
	v_pk_add_f32 v[8:9], v[8:9], v[136:137] neg_lo:[0,1] neg_hi:[0,1]
	v_pk_fma_f32 v[134:135], v[132:133], v[120:121], v[130:131] op_sel:[0,0,1] op_sel_hi:[1,1,0] neg_lo:[0,0,1] neg_hi:[0,0,1]
	v_pk_fma_f32 v[130:131], v[132:133], v[120:121], v[130:131] op_sel:[0,0,1] op_sel_hi:[1,0,0]
	s_delay_alu instid0(VALU_DEP_1) | instskip(SKIP_4) | instid1(VALU_DEP_1)
	v_mov_b32_e32 v135, v131
	ds_load_2addr_b64 v[130:133], v124 offset0:53 offset1:54
	v_pk_add_f32 v[6:7], v[6:7], v[134:135] neg_lo:[0,1] neg_hi:[0,1]
	s_wait_dscnt 0x0
	v_pk_mul_f32 v[134:135], v[130:131], v[122:123] op_sel:[0,1]
	v_pk_fma_f32 v[136:137], v[130:131], v[120:121], v[134:135] op_sel:[0,0,1] op_sel_hi:[1,1,0] neg_lo:[0,0,1] neg_hi:[0,0,1]
	v_pk_fma_f32 v[130:131], v[130:131], v[120:121], v[134:135] op_sel:[0,0,1] op_sel_hi:[1,0,0]
	v_dual_mul_f32 v134, v133, v123 :: v_dual_mov_b32 v130, v133
	s_delay_alu instid0(VALU_DEP_2) | instskip(NEXT) | instid1(VALU_DEP_2)
	v_dual_mov_b32 v137, v131 :: v_dual_mov_b32 v131, v132
	v_pk_fma_f32 v[134:135], v[132:133], v[102:103], v[134:135] op_sel_hi:[1,1,0] neg_lo:[0,0,1] neg_hi:[0,0,1]
	v_mul_f32_e32 v132, v133, v120
	s_delay_alu instid0(VALU_DEP_3) | instskip(NEXT) | instid1(VALU_DEP_2)
	v_pk_add_f32 v[28:29], v[28:29], v[136:137] neg_lo:[0,1] neg_hi:[0,1]
	v_pk_fma_f32 v[130:131], v[130:131], v[102:103], v[132:133] op_sel_hi:[1,1,0]
	s_delay_alu instid0(VALU_DEP_1)
	v_mov_b32_e32 v135, v131
	ds_load_2addr_b64 v[130:133], v124 offset0:55 offset1:56
	v_pk_add_f32 v[18:19], v[18:19], v[134:135] neg_lo:[0,1] neg_hi:[0,1]
	s_wait_dscnt 0x0
	v_pk_mul_f32 v[134:135], v[130:131], v[122:123] op_sel:[0,1]
	v_pk_mul_f32 v[122:123], v[132:133], v[122:123] op_sel:[0,1]
	s_delay_alu instid0(VALU_DEP_2) | instskip(SKIP_1) | instid1(VALU_DEP_1)
	v_pk_fma_f32 v[136:137], v[130:131], v[120:121], v[134:135] op_sel:[0,0,1] op_sel_hi:[1,1,0] neg_lo:[0,0,1] neg_hi:[0,0,1]
	v_pk_fma_f32 v[130:131], v[130:131], v[120:121], v[134:135] op_sel:[0,0,1] op_sel_hi:[1,0,0]
	v_mov_b32_e32 v137, v131
	s_delay_alu instid0(VALU_DEP_4) | instskip(SKIP_1) | instid1(VALU_DEP_1)
	v_pk_fma_f32 v[130:131], v[132:133], v[120:121], v[122:123] op_sel:[0,0,1] op_sel_hi:[1,1,0] neg_lo:[0,0,1] neg_hi:[0,0,1]
	v_pk_fma_f32 v[120:121], v[132:133], v[120:121], v[122:123] op_sel:[0,0,1] op_sel_hi:[1,0,0]
	v_mov_b32_e32 v131, v121
	s_delay_alu instid0(VALU_DEP_4) | instskip(NEXT) | instid1(VALU_DEP_2)
	v_pk_add_f32 v[16:17], v[16:17], v[136:137] neg_lo:[0,1] neg_hi:[0,1]
	v_pk_add_f32 v[118:119], v[118:119], v[130:131] neg_lo:[0,1] neg_hi:[0,1]
.LBB112_230:
	s_or_b32 exec_lo, exec_lo, s0
	v_lshl_add_u32 v120, v128, 3, v124
	s_barrier_signal -1
	s_barrier_wait -1
	ds_store_b64 v120, v[98:99]
	s_wait_dscnt 0x0
	s_barrier_signal -1
	s_barrier_wait -1
	ds_load_b64 v[122:123], v124 offset:88
	v_mov_b32_e32 v120, 11
	s_cmp_lt_i32 s18, 13
	s_cbranch_scc1 .LBB112_233
; %bb.231:
	v_add3_u32 v121, v125, 0, 0x60
	v_mov_b32_e32 v120, 11
	s_mov_b32 s0, 12
.LBB112_232:                            ; =>This Inner Loop Header: Depth=1
	ds_load_b64 v[130:131], v121
	s_wait_dscnt 0x1
	v_cmp_gt_f32_e32 vcc_lo, 0, v122
	v_cndmask_b32_e64 v132, v122, -v122, vcc_lo
	v_cmp_gt_f32_e32 vcc_lo, 0, v123
	v_cndmask_b32_e64 v134, v123, -v123, vcc_lo
	s_wait_dscnt 0x0
	v_cmp_gt_f32_e32 vcc_lo, 0, v130
	v_cndmask_b32_e64 v133, v130, -v130, vcc_lo
	v_cmp_gt_f32_e32 vcc_lo, 0, v131
	v_cndmask_b32_e64 v135, v131, -v131, vcc_lo
	s_delay_alu instid0(VALU_DEP_1) | instskip(NEXT) | instid1(VALU_DEP_1)
	v_pk_add_f32 v[132:133], v[132:133], v[134:135]
	v_cmp_lt_f32_e32 vcc_lo, v132, v133
	v_dual_add_nc_u32 v121, 8, v121 :: v_dual_cndmask_b32 v123, v123, v131, vcc_lo
	v_cndmask_b32_e32 v122, v122, v130, vcc_lo
	v_cndmask_b32_e64 v120, v120, s0, vcc_lo
	s_add_co_i32 s0, s0, 1
	s_delay_alu instid0(SALU_CYCLE_1)
	s_cmp_lg_u32 s18, s0
	s_cbranch_scc1 .LBB112_232
.LBB112_233:
	s_wait_dscnt 0x0
	v_cmp_eq_f32_e32 vcc_lo, 0, v122
	v_cmp_eq_f32_e64 s0, 0, v123
	s_and_b32 s0, vcc_lo, s0
	s_delay_alu instid0(SALU_CYCLE_1) | instskip(NEXT) | instid1(SALU_CYCLE_1)
	s_and_saveexec_b32 s1, s0
	s_xor_b32 s0, exec_lo, s1
; %bb.234:
	v_cmp_ne_u32_e32 vcc_lo, 0, v126
	v_cndmask_b32_e32 v126, 12, v126, vcc_lo
; %bb.235:
	s_and_not1_saveexec_b32 s0, s0
	s_cbranch_execz .LBB112_241
; %bb.236:
	v_cmp_ngt_f32_e64 s1, |v122|, |v123|
	s_and_saveexec_b32 s12, s1
	s_delay_alu instid0(SALU_CYCLE_1)
	s_xor_b32 s1, exec_lo, s12
	s_cbranch_execz .LBB112_238
; %bb.237:
	v_div_scale_f32 v121, null, v123, v123, v122
	v_div_scale_f32 v131, vcc_lo, v122, v123, v122
	s_delay_alu instid0(VALU_DEP_2) | instskip(SKIP_1) | instid1(TRANS32_DEP_1)
	v_rcp_f32_e32 v129, v121
	v_nop
	v_fma_f32 v130, -v121, v129, 1.0
	s_delay_alu instid0(VALU_DEP_1) | instskip(NEXT) | instid1(VALU_DEP_1)
	v_fmac_f32_e32 v129, v130, v129
	v_mul_f32_e32 v130, v131, v129
	s_delay_alu instid0(VALU_DEP_1) | instskip(NEXT) | instid1(VALU_DEP_1)
	v_fma_f32 v132, -v121, v130, v131
	v_fmac_f32_e32 v130, v132, v129
	s_delay_alu instid0(VALU_DEP_1) | instskip(NEXT) | instid1(VALU_DEP_1)
	v_fma_f32 v121, -v121, v130, v131
	v_div_fmas_f32 v121, v121, v129, v130
	s_delay_alu instid0(VALU_DEP_1) | instskip(NEXT) | instid1(VALU_DEP_1)
	v_div_fixup_f32 v121, v121, v123, v122
	v_fmac_f32_e32 v123, v122, v121
	s_delay_alu instid0(VALU_DEP_1) | instskip(SKIP_1) | instid1(VALU_DEP_2)
	v_div_scale_f32 v122, null, v123, v123, 1.0
	v_div_scale_f32 v131, vcc_lo, 1.0, v123, 1.0
	v_rcp_f32_e32 v129, v122
	v_nop
	s_delay_alu instid0(TRANS32_DEP_1) | instskip(NEXT) | instid1(VALU_DEP_1)
	v_fma_f32 v130, -v122, v129, 1.0
	v_fmac_f32_e32 v129, v130, v129
	s_delay_alu instid0(VALU_DEP_1) | instskip(NEXT) | instid1(VALU_DEP_1)
	v_mul_f32_e32 v130, v131, v129
	v_fma_f32 v132, -v122, v130, v131
	s_delay_alu instid0(VALU_DEP_1) | instskip(NEXT) | instid1(VALU_DEP_1)
	v_fmac_f32_e32 v130, v132, v129
	v_fma_f32 v122, -v122, v130, v131
	s_delay_alu instid0(VALU_DEP_1) | instskip(NEXT) | instid1(VALU_DEP_1)
	v_div_fmas_f32 v122, v122, v129, v130
	v_div_fixup_f32 v123, v122, v123, 1.0
	s_delay_alu instid0(VALU_DEP_1)
	v_mul_f32_e32 v122, v121, v123
	v_xor_b32_e32 v123, 0x80000000, v123
.LBB112_238:
	s_and_not1_saveexec_b32 s1, s1
	s_cbranch_execz .LBB112_240
; %bb.239:
	s_delay_alu instid0(VALU_DEP_1) | instskip(SKIP_1) | instid1(VALU_DEP_2)
	v_div_scale_f32 v121, null, v122, v122, v123
	v_div_scale_f32 v131, vcc_lo, v123, v122, v123
	v_rcp_f32_e32 v129, v121
	v_nop
	s_delay_alu instid0(TRANS32_DEP_1) | instskip(NEXT) | instid1(VALU_DEP_1)
	v_fma_f32 v130, -v121, v129, 1.0
	v_fmac_f32_e32 v129, v130, v129
	s_delay_alu instid0(VALU_DEP_1) | instskip(NEXT) | instid1(VALU_DEP_1)
	v_mul_f32_e32 v130, v131, v129
	v_fma_f32 v132, -v121, v130, v131
	s_delay_alu instid0(VALU_DEP_1) | instskip(NEXT) | instid1(VALU_DEP_1)
	v_fmac_f32_e32 v130, v132, v129
	v_fma_f32 v121, -v121, v130, v131
	s_delay_alu instid0(VALU_DEP_1) | instskip(NEXT) | instid1(VALU_DEP_1)
	v_div_fmas_f32 v121, v121, v129, v130
	v_div_fixup_f32 v121, v121, v122, v123
	s_delay_alu instid0(VALU_DEP_1) | instskip(NEXT) | instid1(VALU_DEP_1)
	v_fmac_f32_e32 v122, v123, v121
	v_div_scale_f32 v123, null, v122, v122, 1.0
	s_delay_alu instid0(VALU_DEP_1) | instskip(SKIP_1) | instid1(TRANS32_DEP_1)
	v_rcp_f32_e32 v129, v123
	v_nop
	v_fma_f32 v130, -v123, v129, 1.0
	s_delay_alu instid0(VALU_DEP_1) | instskip(SKIP_1) | instid1(VALU_DEP_1)
	v_fmac_f32_e32 v129, v130, v129
	v_div_scale_f32 v130, vcc_lo, 1.0, v122, 1.0
	v_mul_f32_e32 v131, v130, v129
	s_delay_alu instid0(VALU_DEP_1) | instskip(NEXT) | instid1(VALU_DEP_1)
	v_fma_f32 v132, -v123, v131, v130
	v_fmac_f32_e32 v131, v132, v129
	s_delay_alu instid0(VALU_DEP_1) | instskip(NEXT) | instid1(VALU_DEP_1)
	v_fma_f32 v123, -v123, v131, v130
	v_div_fmas_f32 v123, v123, v129, v131
	s_delay_alu instid0(VALU_DEP_1) | instskip(NEXT) | instid1(VALU_DEP_1)
	v_div_fixup_f32 v122, v123, v122, 1.0
	v_mul_f32_e64 v123, v121, -v122
.LBB112_240:
	s_or_b32 exec_lo, exec_lo, s1
.LBB112_241:
	s_delay_alu instid0(SALU_CYCLE_1) | instskip(NEXT) | instid1(SALU_CYCLE_1)
	s_or_b32 exec_lo, exec_lo, s0
	s_mov_b32 s0, exec_lo
	v_cmpx_ne_u32_e64 v128, v120
	s_xor_b32 s0, exec_lo, s0
	s_cbranch_execz .LBB112_247
; %bb.242:
	s_mov_b32 s1, exec_lo
	v_cmpx_eq_u32_e32 11, v128
	s_cbranch_execz .LBB112_246
; %bb.243:
	v_cmp_ne_u32_e32 vcc_lo, 11, v120
	s_xor_b32 s12, s16, -1
	s_delay_alu instid0(SALU_CYCLE_1) | instskip(NEXT) | instid1(SALU_CYCLE_1)
	s_and_b32 s13, s12, vcc_lo
	s_and_saveexec_b32 s12, s13
	s_cbranch_execz .LBB112_245
; %bb.244:
	v_ashrrev_i32_e32 v121, 31, v120
	s_delay_alu instid0(VALU_DEP_1)
	v_lshl_add_u64 v[128:129], v[120:121], 2, v[4:5]
	s_clause 0x1
	global_load_b32 v121, v[128:129], off
	global_load_b32 v127, v[4:5], off offset:44
	s_wait_loadcnt 0x1
	global_store_b32 v[4:5], v121, off offset:44
	s_wait_loadcnt 0x0
	global_store_b32 v[128:129], v127, off
.LBB112_245:
	s_wait_xcnt 0x0
	s_or_b32 exec_lo, exec_lo, s12
	v_dual_mov_b32 v128, v120 :: v_dual_mov_b32 v127, v120
.LBB112_246:
	s_or_b32 exec_lo, exec_lo, s1
.LBB112_247:
	s_and_not1_saveexec_b32 s0, s0
	s_cbranch_execz .LBB112_249
; %bb.248:
	v_dual_mov_b32 v120, v96 :: v_dual_mov_b32 v121, v97
	v_dual_mov_b32 v128, v92 :: v_dual_mov_b32 v129, v93
	ds_store_2addr_b64 v124, v[120:121], v[128:129] offset0:12 offset1:13
	v_dual_mov_b32 v120, v94 :: v_dual_mov_b32 v121, v95
	v_dual_mov_b32 v128, v90 :: v_dual_mov_b32 v129, v91
	ds_store_2addr_b64 v124, v[120:121], v[128:129] offset0:14 offset1:15
	;; [unrolled: 3-line block ×22, first 2 shown]
	ds_store_b64 v124, v[118:119] offset:448
	v_mov_b32_e32 v128, 11
.LBB112_249:
	s_or_b32 exec_lo, exec_lo, s0
	s_delay_alu instid0(SALU_CYCLE_1)
	s_mov_b32 s0, exec_lo
	s_wait_storecnt_dscnt 0x0
	s_barrier_signal -1
	s_barrier_wait -1
	v_cmpx_lt_i32_e32 11, v128
	s_cbranch_execz .LBB112_251
; %bb.250:
	v_pk_mul_f32 v[130:131], v[122:123], v[98:99] op_sel:[1,1] op_sel_hi:[0,1]
	s_delay_alu instid0(VALU_DEP_1)
	v_pk_fma_f32 v[120:121], v[122:123], v[98:99], v[130:131] op_sel_hi:[1,0,1] neg_lo:[0,0,1] neg_hi:[0,0,1]
	v_pk_fma_f32 v[122:123], v[122:123], v[98:99], v[130:131] op_sel_hi:[1,0,1]
	ds_load_2addr_b64 v[130:133], v124 offset0:12 offset1:13
	v_dual_mov_b32 v98, v120 :: v_dual_mov_b32 v99, v123
	s_wait_dscnt 0x0
	v_pk_mul_f32 v[134:135], v[130:131], v[122:123] op_sel:[0,1]
	s_delay_alu instid0(VALU_DEP_1) | instskip(SKIP_1) | instid1(VALU_DEP_1)
	v_pk_fma_f32 v[136:137], v[130:131], v[120:121], v[134:135] op_sel:[0,0,1] op_sel_hi:[1,1,0] neg_lo:[0,0,1] neg_hi:[0,0,1]
	v_pk_fma_f32 v[130:131], v[130:131], v[120:121], v[134:135] op_sel:[0,0,1] op_sel_hi:[1,0,0]
	v_mov_b32_e32 v137, v131
	v_pk_mul_f32 v[130:131], v[132:133], v[122:123] op_sel:[0,1]
	s_delay_alu instid0(VALU_DEP_1) | instskip(SKIP_1) | instid1(VALU_DEP_1)
	v_pk_fma_f32 v[134:135], v[132:133], v[120:121], v[130:131] op_sel:[0,0,1] op_sel_hi:[1,1,0] neg_lo:[0,0,1] neg_hi:[0,0,1]
	v_pk_fma_f32 v[130:131], v[132:133], v[120:121], v[130:131] op_sel:[0,0,1] op_sel_hi:[1,0,0]
	v_mov_b32_e32 v135, v131
	ds_load_2addr_b64 v[130:133], v124 offset0:14 offset1:15
	v_pk_add_f32 v[96:97], v[96:97], v[136:137] neg_lo:[0,1] neg_hi:[0,1]
	v_pk_add_f32 v[92:93], v[92:93], v[134:135] neg_lo:[0,1] neg_hi:[0,1]
	s_wait_dscnt 0x0
	v_pk_mul_f32 v[134:135], v[130:131], v[122:123] op_sel:[0,1]
	s_delay_alu instid0(VALU_DEP_1) | instskip(SKIP_2) | instid1(VALU_DEP_2)
	v_pk_fma_f32 v[136:137], v[130:131], v[120:121], v[134:135] op_sel:[0,0,1] op_sel_hi:[1,1,0] neg_lo:[0,0,1] neg_hi:[0,0,1]
	v_pk_fma_f32 v[130:131], v[130:131], v[120:121], v[134:135] op_sel:[0,0,1] op_sel_hi:[1,0,0]
	v_dual_mul_f32 v134, v133, v123 :: v_dual_mov_b32 v130, v133
	v_dual_mov_b32 v137, v131 :: v_dual_mov_b32 v131, v132
	s_delay_alu instid0(VALU_DEP_2) | instskip(SKIP_1) | instid1(VALU_DEP_3)
	v_pk_fma_f32 v[134:135], v[132:133], v[98:99], v[134:135] op_sel_hi:[1,1,0] neg_lo:[0,0,1] neg_hi:[0,0,1]
	v_mul_f32_e32 v132, v133, v120
	v_pk_add_f32 v[94:95], v[94:95], v[136:137] neg_lo:[0,1] neg_hi:[0,1]
	s_delay_alu instid0(VALU_DEP_2) | instskip(NEXT) | instid1(VALU_DEP_1)
	v_pk_fma_f32 v[130:131], v[130:131], v[98:99], v[132:133] op_sel_hi:[1,1,0]
	v_mov_b32_e32 v135, v131
	ds_load_2addr_b64 v[130:133], v124 offset0:16 offset1:17
	v_pk_add_f32 v[90:91], v[90:91], v[134:135] neg_lo:[0,1] neg_hi:[0,1]
	s_wait_dscnt 0x0
	v_pk_mul_f32 v[134:135], v[130:131], v[122:123] op_sel:[0,1]
	s_delay_alu instid0(VALU_DEP_1) | instskip(SKIP_1) | instid1(VALU_DEP_1)
	v_pk_fma_f32 v[136:137], v[130:131], v[120:121], v[134:135] op_sel:[0,0,1] op_sel_hi:[1,1,0] neg_lo:[0,0,1] neg_hi:[0,0,1]
	v_pk_fma_f32 v[130:131], v[130:131], v[120:121], v[134:135] op_sel:[0,0,1] op_sel_hi:[1,0,0]
	v_mov_b32_e32 v137, v131
	v_pk_mul_f32 v[130:131], v[132:133], v[122:123] op_sel:[0,1]
	s_delay_alu instid0(VALU_DEP_1) | instskip(SKIP_1) | instid1(VALU_DEP_1)
	v_pk_fma_f32 v[134:135], v[132:133], v[120:121], v[130:131] op_sel:[0,0,1] op_sel_hi:[1,1,0] neg_lo:[0,0,1] neg_hi:[0,0,1]
	v_pk_fma_f32 v[130:131], v[132:133], v[120:121], v[130:131] op_sel:[0,0,1] op_sel_hi:[1,0,0]
	v_mov_b32_e32 v135, v131
	ds_load_2addr_b64 v[130:133], v124 offset0:18 offset1:19
	v_pk_add_f32 v[84:85], v[84:85], v[136:137] neg_lo:[0,1] neg_hi:[0,1]
	v_pk_add_f32 v[80:81], v[80:81], v[134:135] neg_lo:[0,1] neg_hi:[0,1]
	s_wait_dscnt 0x0
	v_pk_mul_f32 v[134:135], v[130:131], v[122:123] op_sel:[0,1]
	s_delay_alu instid0(VALU_DEP_1) | instskip(SKIP_1) | instid1(VALU_DEP_1)
	v_pk_fma_f32 v[136:137], v[130:131], v[120:121], v[134:135] op_sel:[0,0,1] op_sel_hi:[1,1,0] neg_lo:[0,0,1] neg_hi:[0,0,1]
	v_pk_fma_f32 v[130:131], v[130:131], v[120:121], v[134:135] op_sel:[0,0,1] op_sel_hi:[1,0,0]
	v_mov_b32_e32 v137, v131
	v_pk_mul_f32 v[130:131], v[132:133], v[122:123] op_sel:[0,1]
	s_delay_alu instid0(VALU_DEP_1) | instskip(SKIP_1) | instid1(VALU_DEP_1)
	v_pk_fma_f32 v[134:135], v[132:133], v[120:121], v[130:131] op_sel:[0,0,1] op_sel_hi:[1,1,0] neg_lo:[0,0,1] neg_hi:[0,0,1]
	v_pk_fma_f32 v[130:131], v[132:133], v[120:121], v[130:131] op_sel:[0,0,1] op_sel_hi:[1,0,0]
	v_mov_b32_e32 v135, v131
	ds_load_2addr_b64 v[130:133], v124 offset0:20 offset1:21
	v_pk_add_f32 v[82:83], v[82:83], v[136:137] neg_lo:[0,1] neg_hi:[0,1]
	v_pk_add_f32 v[78:79], v[78:79], v[134:135] neg_lo:[0,1] neg_hi:[0,1]
	s_wait_dscnt 0x0
	v_dual_mul_f32 v134, v131, v123 :: v_dual_mul_f32 v136, v131, v120
	s_delay_alu instid0(VALU_DEP_1) | instskip(NEXT) | instid1(VALU_DEP_2)
	v_pk_fma_f32 v[134:135], v[130:131], v[98:99], v[134:135] op_sel_hi:[1,1,0] neg_lo:[0,0,1] neg_hi:[0,0,1]
	v_pk_fma_f32 v[130:131], v[130:131], v[98:99], v[136:137] op_sel:[1,0,0] op_sel_hi:[0,1,0]
	s_delay_alu instid0(VALU_DEP_1) | instskip(SKIP_1) | instid1(VALU_DEP_2)
	v_mov_b32_e32 v135, v131
	v_pk_mul_f32 v[130:131], v[132:133], v[122:123] op_sel:[0,1]
	v_pk_add_f32 v[76:77], v[76:77], v[134:135] neg_lo:[0,1] neg_hi:[0,1]
	s_delay_alu instid0(VALU_DEP_2) | instskip(SKIP_1) | instid1(VALU_DEP_1)
	v_pk_fma_f32 v[134:135], v[132:133], v[120:121], v[130:131] op_sel:[0,0,1] op_sel_hi:[1,1,0] neg_lo:[0,0,1] neg_hi:[0,0,1]
	v_pk_fma_f32 v[130:131], v[132:133], v[120:121], v[130:131] op_sel:[0,0,1] op_sel_hi:[1,0,0]
	v_mov_b32_e32 v135, v131
	ds_load_2addr_b64 v[130:133], v124 offset0:22 offset1:23
	v_pk_add_f32 v[72:73], v[72:73], v[134:135] neg_lo:[0,1] neg_hi:[0,1]
	s_wait_dscnt 0x0
	v_pk_mul_f32 v[134:135], v[130:131], v[122:123] op_sel:[0,1]
	s_delay_alu instid0(VALU_DEP_1) | instskip(SKIP_1) | instid1(VALU_DEP_1)
	v_pk_fma_f32 v[136:137], v[130:131], v[120:121], v[134:135] op_sel:[0,0,1] op_sel_hi:[1,1,0] neg_lo:[0,0,1] neg_hi:[0,0,1]
	v_pk_fma_f32 v[130:131], v[130:131], v[120:121], v[134:135] op_sel:[0,0,1] op_sel_hi:[1,0,0]
	v_mov_b32_e32 v137, v131
	v_pk_mul_f32 v[130:131], v[132:133], v[122:123] op_sel:[0,1]
	s_delay_alu instid0(VALU_DEP_2) | instskip(NEXT) | instid1(VALU_DEP_2)
	v_pk_add_f32 v[74:75], v[74:75], v[136:137] neg_lo:[0,1] neg_hi:[0,1]
	v_pk_fma_f32 v[134:135], v[132:133], v[120:121], v[130:131] op_sel:[0,0,1] op_sel_hi:[1,1,0] neg_lo:[0,0,1] neg_hi:[0,0,1]
	v_pk_fma_f32 v[130:131], v[132:133], v[120:121], v[130:131] op_sel:[0,0,1] op_sel_hi:[1,0,0]
	s_delay_alu instid0(VALU_DEP_1) | instskip(SKIP_4) | instid1(VALU_DEP_1)
	v_mov_b32_e32 v135, v131
	ds_load_2addr_b64 v[130:133], v124 offset0:24 offset1:25
	v_pk_add_f32 v[70:71], v[70:71], v[134:135] neg_lo:[0,1] neg_hi:[0,1]
	s_wait_dscnt 0x0
	v_pk_mul_f32 v[134:135], v[130:131], v[122:123] op_sel:[0,1]
	v_pk_fma_f32 v[136:137], v[130:131], v[120:121], v[134:135] op_sel:[0,0,1] op_sel_hi:[1,1,0] neg_lo:[0,0,1] neg_hi:[0,0,1]
	v_pk_fma_f32 v[130:131], v[130:131], v[120:121], v[134:135] op_sel:[0,0,1] op_sel_hi:[1,0,0]
	v_dual_mul_f32 v134, v133, v123 :: v_dual_mov_b32 v130, v133
	s_delay_alu instid0(VALU_DEP_2) | instskip(NEXT) | instid1(VALU_DEP_2)
	v_dual_mov_b32 v137, v131 :: v_dual_mov_b32 v131, v132
	v_pk_fma_f32 v[134:135], v[132:133], v[98:99], v[134:135] op_sel_hi:[1,1,0] neg_lo:[0,0,1] neg_hi:[0,0,1]
	v_mul_f32_e32 v132, v133, v120
	s_delay_alu instid0(VALU_DEP_3) | instskip(NEXT) | instid1(VALU_DEP_2)
	v_pk_add_f32 v[68:69], v[68:69], v[136:137] neg_lo:[0,1] neg_hi:[0,1]
	v_pk_fma_f32 v[130:131], v[130:131], v[98:99], v[132:133] op_sel_hi:[1,1,0]
	s_delay_alu instid0(VALU_DEP_1) | instskip(SKIP_4) | instid1(VALU_DEP_1)
	v_mov_b32_e32 v135, v131
	ds_load_2addr_b64 v[130:133], v124 offset0:26 offset1:27
	v_pk_add_f32 v[64:65], v[64:65], v[134:135] neg_lo:[0,1] neg_hi:[0,1]
	s_wait_dscnt 0x0
	v_pk_mul_f32 v[134:135], v[130:131], v[122:123] op_sel:[0,1]
	v_pk_fma_f32 v[136:137], v[130:131], v[120:121], v[134:135] op_sel:[0,0,1] op_sel_hi:[1,1,0] neg_lo:[0,0,1] neg_hi:[0,0,1]
	v_pk_fma_f32 v[130:131], v[130:131], v[120:121], v[134:135] op_sel:[0,0,1] op_sel_hi:[1,0,0]
	s_delay_alu instid0(VALU_DEP_1) | instskip(SKIP_1) | instid1(VALU_DEP_1)
	v_mov_b32_e32 v137, v131
	v_pk_mul_f32 v[130:131], v[132:133], v[122:123] op_sel:[0,1]
	v_pk_fma_f32 v[134:135], v[132:133], v[120:121], v[130:131] op_sel:[0,0,1] op_sel_hi:[1,1,0] neg_lo:[0,0,1] neg_hi:[0,0,1]
	v_pk_fma_f32 v[130:131], v[132:133], v[120:121], v[130:131] op_sel:[0,0,1] op_sel_hi:[1,0,0]
	s_delay_alu instid0(VALU_DEP_1)
	v_mov_b32_e32 v135, v131
	ds_load_2addr_b64 v[130:133], v124 offset0:28 offset1:29
	v_pk_add_f32 v[66:67], v[66:67], v[136:137] neg_lo:[0,1] neg_hi:[0,1]
	v_pk_add_f32 v[62:63], v[62:63], v[134:135] neg_lo:[0,1] neg_hi:[0,1]
	s_wait_dscnt 0x0
	v_pk_mul_f32 v[134:135], v[130:131], v[122:123] op_sel:[0,1]
	s_delay_alu instid0(VALU_DEP_1) | instskip(SKIP_1) | instid1(VALU_DEP_1)
	v_pk_fma_f32 v[136:137], v[130:131], v[120:121], v[134:135] op_sel:[0,0,1] op_sel_hi:[1,1,0] neg_lo:[0,0,1] neg_hi:[0,0,1]
	v_pk_fma_f32 v[130:131], v[130:131], v[120:121], v[134:135] op_sel:[0,0,1] op_sel_hi:[1,0,0]
	v_mov_b32_e32 v137, v131
	v_pk_mul_f32 v[130:131], v[132:133], v[122:123] op_sel:[0,1]
	s_delay_alu instid0(VALU_DEP_1) | instskip(SKIP_1) | instid1(VALU_DEP_1)
	v_pk_fma_f32 v[134:135], v[132:133], v[120:121], v[130:131] op_sel:[0,0,1] op_sel_hi:[1,1,0] neg_lo:[0,0,1] neg_hi:[0,0,1]
	v_pk_fma_f32 v[130:131], v[132:133], v[120:121], v[130:131] op_sel:[0,0,1] op_sel_hi:[1,0,0]
	v_mov_b32_e32 v135, v131
	ds_load_2addr_b64 v[130:133], v124 offset0:30 offset1:31
	v_pk_add_f32 v[60:61], v[60:61], v[136:137] neg_lo:[0,1] neg_hi:[0,1]
	v_pk_add_f32 v[56:57], v[56:57], v[134:135] neg_lo:[0,1] neg_hi:[0,1]
	s_wait_dscnt 0x0
	v_dual_mul_f32 v134, v131, v123 :: v_dual_mul_f32 v136, v131, v120
	s_delay_alu instid0(VALU_DEP_1) | instskip(NEXT) | instid1(VALU_DEP_2)
	v_pk_fma_f32 v[134:135], v[130:131], v[98:99], v[134:135] op_sel_hi:[1,1,0] neg_lo:[0,0,1] neg_hi:[0,0,1]
	v_pk_fma_f32 v[130:131], v[130:131], v[98:99], v[136:137] op_sel:[1,0,0] op_sel_hi:[0,1,0]
	s_delay_alu instid0(VALU_DEP_1) | instskip(SKIP_1) | instid1(VALU_DEP_2)
	v_mov_b32_e32 v135, v131
	v_pk_mul_f32 v[130:131], v[132:133], v[122:123] op_sel:[0,1]
	v_pk_add_f32 v[58:59], v[58:59], v[134:135] neg_lo:[0,1] neg_hi:[0,1]
	s_delay_alu instid0(VALU_DEP_2) | instskip(SKIP_1) | instid1(VALU_DEP_1)
	v_pk_fma_f32 v[134:135], v[132:133], v[120:121], v[130:131] op_sel:[0,0,1] op_sel_hi:[1,1,0] neg_lo:[0,0,1] neg_hi:[0,0,1]
	v_pk_fma_f32 v[130:131], v[132:133], v[120:121], v[130:131] op_sel:[0,0,1] op_sel_hi:[1,0,0]
	v_mov_b32_e32 v135, v131
	ds_load_2addr_b64 v[130:133], v124 offset0:32 offset1:33
	v_pk_add_f32 v[54:55], v[54:55], v[134:135] neg_lo:[0,1] neg_hi:[0,1]
	s_wait_dscnt 0x0
	v_pk_mul_f32 v[134:135], v[130:131], v[122:123] op_sel:[0,1]
	s_delay_alu instid0(VALU_DEP_1) | instskip(SKIP_1) | instid1(VALU_DEP_1)
	v_pk_fma_f32 v[136:137], v[130:131], v[120:121], v[134:135] op_sel:[0,0,1] op_sel_hi:[1,1,0] neg_lo:[0,0,1] neg_hi:[0,0,1]
	v_pk_fma_f32 v[130:131], v[130:131], v[120:121], v[134:135] op_sel:[0,0,1] op_sel_hi:[1,0,0]
	v_mov_b32_e32 v137, v131
	v_pk_mul_f32 v[130:131], v[132:133], v[122:123] op_sel:[0,1]
	s_delay_alu instid0(VALU_DEP_2) | instskip(NEXT) | instid1(VALU_DEP_2)
	v_pk_add_f32 v[52:53], v[52:53], v[136:137] neg_lo:[0,1] neg_hi:[0,1]
	v_pk_fma_f32 v[134:135], v[132:133], v[120:121], v[130:131] op_sel:[0,0,1] op_sel_hi:[1,1,0] neg_lo:[0,0,1] neg_hi:[0,0,1]
	v_pk_fma_f32 v[130:131], v[132:133], v[120:121], v[130:131] op_sel:[0,0,1] op_sel_hi:[1,0,0]
	s_delay_alu instid0(VALU_DEP_1) | instskip(SKIP_4) | instid1(VALU_DEP_1)
	v_mov_b32_e32 v135, v131
	ds_load_2addr_b64 v[130:133], v124 offset0:34 offset1:35
	v_pk_add_f32 v[48:49], v[48:49], v[134:135] neg_lo:[0,1] neg_hi:[0,1]
	s_wait_dscnt 0x0
	v_pk_mul_f32 v[134:135], v[130:131], v[122:123] op_sel:[0,1]
	v_pk_fma_f32 v[136:137], v[130:131], v[120:121], v[134:135] op_sel:[0,0,1] op_sel_hi:[1,1,0] neg_lo:[0,0,1] neg_hi:[0,0,1]
	v_pk_fma_f32 v[130:131], v[130:131], v[120:121], v[134:135] op_sel:[0,0,1] op_sel_hi:[1,0,0]
	v_dual_mul_f32 v134, v133, v123 :: v_dual_mov_b32 v130, v133
	s_delay_alu instid0(VALU_DEP_2) | instskip(NEXT) | instid1(VALU_DEP_2)
	v_dual_mov_b32 v137, v131 :: v_dual_mov_b32 v131, v132
	v_pk_fma_f32 v[134:135], v[132:133], v[98:99], v[134:135] op_sel_hi:[1,1,0] neg_lo:[0,0,1] neg_hi:[0,0,1]
	v_mul_f32_e32 v132, v133, v120
	s_delay_alu instid0(VALU_DEP_3) | instskip(NEXT) | instid1(VALU_DEP_2)
	v_pk_add_f32 v[50:51], v[50:51], v[136:137] neg_lo:[0,1] neg_hi:[0,1]
	v_pk_fma_f32 v[130:131], v[130:131], v[98:99], v[132:133] op_sel_hi:[1,1,0]
	s_delay_alu instid0(VALU_DEP_1) | instskip(SKIP_4) | instid1(VALU_DEP_1)
	v_mov_b32_e32 v135, v131
	ds_load_2addr_b64 v[130:133], v124 offset0:36 offset1:37
	v_pk_add_f32 v[46:47], v[46:47], v[134:135] neg_lo:[0,1] neg_hi:[0,1]
	s_wait_dscnt 0x0
	v_pk_mul_f32 v[134:135], v[130:131], v[122:123] op_sel:[0,1]
	v_pk_fma_f32 v[136:137], v[130:131], v[120:121], v[134:135] op_sel:[0,0,1] op_sel_hi:[1,1,0] neg_lo:[0,0,1] neg_hi:[0,0,1]
	v_pk_fma_f32 v[130:131], v[130:131], v[120:121], v[134:135] op_sel:[0,0,1] op_sel_hi:[1,0,0]
	s_delay_alu instid0(VALU_DEP_1) | instskip(SKIP_1) | instid1(VALU_DEP_1)
	v_mov_b32_e32 v137, v131
	v_pk_mul_f32 v[130:131], v[132:133], v[122:123] op_sel:[0,1]
	v_pk_fma_f32 v[134:135], v[132:133], v[120:121], v[130:131] op_sel:[0,0,1] op_sel_hi:[1,1,0] neg_lo:[0,0,1] neg_hi:[0,0,1]
	v_pk_fma_f32 v[130:131], v[132:133], v[120:121], v[130:131] op_sel:[0,0,1] op_sel_hi:[1,0,0]
	s_delay_alu instid0(VALU_DEP_1)
	v_mov_b32_e32 v135, v131
	ds_load_2addr_b64 v[130:133], v124 offset0:38 offset1:39
	v_pk_add_f32 v[44:45], v[44:45], v[136:137] neg_lo:[0,1] neg_hi:[0,1]
	v_pk_add_f32 v[40:41], v[40:41], v[134:135] neg_lo:[0,1] neg_hi:[0,1]
	s_wait_dscnt 0x0
	v_pk_mul_f32 v[134:135], v[130:131], v[122:123] op_sel:[0,1]
	s_delay_alu instid0(VALU_DEP_1) | instskip(SKIP_1) | instid1(VALU_DEP_1)
	v_pk_fma_f32 v[136:137], v[130:131], v[120:121], v[134:135] op_sel:[0,0,1] op_sel_hi:[1,1,0] neg_lo:[0,0,1] neg_hi:[0,0,1]
	v_pk_fma_f32 v[130:131], v[130:131], v[120:121], v[134:135] op_sel:[0,0,1] op_sel_hi:[1,0,0]
	v_mov_b32_e32 v137, v131
	v_pk_mul_f32 v[130:131], v[132:133], v[122:123] op_sel:[0,1]
	s_delay_alu instid0(VALU_DEP_1) | instskip(SKIP_1) | instid1(VALU_DEP_1)
	v_pk_fma_f32 v[134:135], v[132:133], v[120:121], v[130:131] op_sel:[0,0,1] op_sel_hi:[1,1,0] neg_lo:[0,0,1] neg_hi:[0,0,1]
	v_pk_fma_f32 v[130:131], v[132:133], v[120:121], v[130:131] op_sel:[0,0,1] op_sel_hi:[1,0,0]
	v_mov_b32_e32 v135, v131
	ds_load_2addr_b64 v[130:133], v124 offset0:40 offset1:41
	v_pk_add_f32 v[42:43], v[42:43], v[136:137] neg_lo:[0,1] neg_hi:[0,1]
	v_pk_add_f32 v[38:39], v[38:39], v[134:135] neg_lo:[0,1] neg_hi:[0,1]
	s_wait_dscnt 0x0
	v_dual_mul_f32 v134, v131, v123 :: v_dual_mul_f32 v136, v131, v120
	s_delay_alu instid0(VALU_DEP_1) | instskip(NEXT) | instid1(VALU_DEP_2)
	v_pk_fma_f32 v[134:135], v[130:131], v[98:99], v[134:135] op_sel_hi:[1,1,0] neg_lo:[0,0,1] neg_hi:[0,0,1]
	v_pk_fma_f32 v[130:131], v[130:131], v[98:99], v[136:137] op_sel:[1,0,0] op_sel_hi:[0,1,0]
	s_delay_alu instid0(VALU_DEP_1) | instskip(SKIP_1) | instid1(VALU_DEP_2)
	v_mov_b32_e32 v135, v131
	v_pk_mul_f32 v[130:131], v[132:133], v[122:123] op_sel:[0,1]
	v_pk_add_f32 v[36:37], v[36:37], v[134:135] neg_lo:[0,1] neg_hi:[0,1]
	s_delay_alu instid0(VALU_DEP_2) | instskip(SKIP_1) | instid1(VALU_DEP_1)
	v_pk_fma_f32 v[134:135], v[132:133], v[120:121], v[130:131] op_sel:[0,0,1] op_sel_hi:[1,1,0] neg_lo:[0,0,1] neg_hi:[0,0,1]
	v_pk_fma_f32 v[130:131], v[132:133], v[120:121], v[130:131] op_sel:[0,0,1] op_sel_hi:[1,0,0]
	v_mov_b32_e32 v135, v131
	ds_load_2addr_b64 v[130:133], v124 offset0:42 offset1:43
	v_pk_add_f32 v[32:33], v[32:33], v[134:135] neg_lo:[0,1] neg_hi:[0,1]
	s_wait_dscnt 0x0
	v_pk_mul_f32 v[134:135], v[130:131], v[122:123] op_sel:[0,1]
	s_delay_alu instid0(VALU_DEP_1) | instskip(SKIP_1) | instid1(VALU_DEP_1)
	v_pk_fma_f32 v[136:137], v[130:131], v[120:121], v[134:135] op_sel:[0,0,1] op_sel_hi:[1,1,0] neg_lo:[0,0,1] neg_hi:[0,0,1]
	v_pk_fma_f32 v[130:131], v[130:131], v[120:121], v[134:135] op_sel:[0,0,1] op_sel_hi:[1,0,0]
	v_mov_b32_e32 v137, v131
	v_pk_mul_f32 v[130:131], v[132:133], v[122:123] op_sel:[0,1]
	s_delay_alu instid0(VALU_DEP_2) | instskip(NEXT) | instid1(VALU_DEP_2)
	v_pk_add_f32 v[34:35], v[34:35], v[136:137] neg_lo:[0,1] neg_hi:[0,1]
	v_pk_fma_f32 v[134:135], v[132:133], v[120:121], v[130:131] op_sel:[0,0,1] op_sel_hi:[1,1,0] neg_lo:[0,0,1] neg_hi:[0,0,1]
	v_pk_fma_f32 v[130:131], v[132:133], v[120:121], v[130:131] op_sel:[0,0,1] op_sel_hi:[1,0,0]
	s_delay_alu instid0(VALU_DEP_1) | instskip(SKIP_4) | instid1(VALU_DEP_1)
	v_mov_b32_e32 v135, v131
	ds_load_2addr_b64 v[130:133], v124 offset0:44 offset1:45
	v_pk_add_f32 v[30:31], v[30:31], v[134:135] neg_lo:[0,1] neg_hi:[0,1]
	s_wait_dscnt 0x0
	v_pk_mul_f32 v[134:135], v[130:131], v[122:123] op_sel:[0,1]
	v_pk_fma_f32 v[136:137], v[130:131], v[120:121], v[134:135] op_sel:[0,0,1] op_sel_hi:[1,1,0] neg_lo:[0,0,1] neg_hi:[0,0,1]
	v_pk_fma_f32 v[130:131], v[130:131], v[120:121], v[134:135] op_sel:[0,0,1] op_sel_hi:[1,0,0]
	v_dual_mul_f32 v134, v133, v123 :: v_dual_mov_b32 v130, v133
	s_delay_alu instid0(VALU_DEP_2) | instskip(NEXT) | instid1(VALU_DEP_2)
	v_dual_mov_b32 v137, v131 :: v_dual_mov_b32 v131, v132
	v_pk_fma_f32 v[134:135], v[132:133], v[98:99], v[134:135] op_sel_hi:[1,1,0] neg_lo:[0,0,1] neg_hi:[0,0,1]
	v_mul_f32_e32 v132, v133, v120
	s_delay_alu instid0(VALU_DEP_3) | instskip(NEXT) | instid1(VALU_DEP_2)
	v_pk_add_f32 v[26:27], v[26:27], v[136:137] neg_lo:[0,1] neg_hi:[0,1]
	v_pk_fma_f32 v[130:131], v[130:131], v[98:99], v[132:133] op_sel_hi:[1,1,0]
	s_delay_alu instid0(VALU_DEP_1) | instskip(SKIP_4) | instid1(VALU_DEP_1)
	v_mov_b32_e32 v135, v131
	ds_load_2addr_b64 v[130:133], v124 offset0:46 offset1:47
	v_pk_add_f32 v[22:23], v[22:23], v[134:135] neg_lo:[0,1] neg_hi:[0,1]
	s_wait_dscnt 0x0
	v_pk_mul_f32 v[134:135], v[130:131], v[122:123] op_sel:[0,1]
	v_pk_fma_f32 v[136:137], v[130:131], v[120:121], v[134:135] op_sel:[0,0,1] op_sel_hi:[1,1,0] neg_lo:[0,0,1] neg_hi:[0,0,1]
	v_pk_fma_f32 v[130:131], v[130:131], v[120:121], v[134:135] op_sel:[0,0,1] op_sel_hi:[1,0,0]
	s_delay_alu instid0(VALU_DEP_1) | instskip(SKIP_1) | instid1(VALU_DEP_1)
	v_mov_b32_e32 v137, v131
	v_pk_mul_f32 v[130:131], v[132:133], v[122:123] op_sel:[0,1]
	v_pk_fma_f32 v[134:135], v[132:133], v[120:121], v[130:131] op_sel:[0,0,1] op_sel_hi:[1,1,0] neg_lo:[0,0,1] neg_hi:[0,0,1]
	v_pk_fma_f32 v[130:131], v[132:133], v[120:121], v[130:131] op_sel:[0,0,1] op_sel_hi:[1,0,0]
	s_delay_alu instid0(VALU_DEP_1)
	v_mov_b32_e32 v135, v131
	ds_load_2addr_b64 v[130:133], v124 offset0:48 offset1:49
	v_pk_add_f32 v[24:25], v[24:25], v[136:137] neg_lo:[0,1] neg_hi:[0,1]
	v_pk_add_f32 v[20:21], v[20:21], v[134:135] neg_lo:[0,1] neg_hi:[0,1]
	s_wait_dscnt 0x0
	v_pk_mul_f32 v[134:135], v[130:131], v[122:123] op_sel:[0,1]
	s_delay_alu instid0(VALU_DEP_1) | instskip(SKIP_1) | instid1(VALU_DEP_1)
	v_pk_fma_f32 v[136:137], v[130:131], v[120:121], v[134:135] op_sel:[0,0,1] op_sel_hi:[1,1,0] neg_lo:[0,0,1] neg_hi:[0,0,1]
	v_pk_fma_f32 v[130:131], v[130:131], v[120:121], v[134:135] op_sel:[0,0,1] op_sel_hi:[1,0,0]
	v_mov_b32_e32 v137, v131
	v_pk_mul_f32 v[130:131], v[132:133], v[122:123] op_sel:[0,1]
	s_delay_alu instid0(VALU_DEP_1) | instskip(SKIP_1) | instid1(VALU_DEP_1)
	v_pk_fma_f32 v[134:135], v[132:133], v[120:121], v[130:131] op_sel:[0,0,1] op_sel_hi:[1,1,0] neg_lo:[0,0,1] neg_hi:[0,0,1]
	v_pk_fma_f32 v[130:131], v[132:133], v[120:121], v[130:131] op_sel:[0,0,1] op_sel_hi:[1,0,0]
	v_mov_b32_e32 v135, v131
	ds_load_2addr_b64 v[130:133], v124 offset0:50 offset1:51
	v_pk_add_f32 v[14:15], v[14:15], v[136:137] neg_lo:[0,1] neg_hi:[0,1]
	v_pk_add_f32 v[10:11], v[10:11], v[134:135] neg_lo:[0,1] neg_hi:[0,1]
	s_wait_dscnt 0x0
	v_dual_mul_f32 v134, v131, v123 :: v_dual_mul_f32 v136, v131, v120
	s_delay_alu instid0(VALU_DEP_1) | instskip(NEXT) | instid1(VALU_DEP_2)
	v_pk_fma_f32 v[134:135], v[130:131], v[98:99], v[134:135] op_sel_hi:[1,1,0] neg_lo:[0,0,1] neg_hi:[0,0,1]
	v_pk_fma_f32 v[130:131], v[130:131], v[98:99], v[136:137] op_sel:[1,0,0] op_sel_hi:[0,1,0]
	s_delay_alu instid0(VALU_DEP_1) | instskip(SKIP_1) | instid1(VALU_DEP_2)
	v_mov_b32_e32 v135, v131
	v_pk_mul_f32 v[130:131], v[132:133], v[122:123] op_sel:[0,1]
	v_pk_add_f32 v[12:13], v[12:13], v[134:135] neg_lo:[0,1] neg_hi:[0,1]
	s_delay_alu instid0(VALU_DEP_2) | instskip(SKIP_1) | instid1(VALU_DEP_1)
	v_pk_fma_f32 v[134:135], v[132:133], v[120:121], v[130:131] op_sel:[0,0,1] op_sel_hi:[1,1,0] neg_lo:[0,0,1] neg_hi:[0,0,1]
	v_pk_fma_f32 v[130:131], v[132:133], v[120:121], v[130:131] op_sel:[0,0,1] op_sel_hi:[1,0,0]
	v_mov_b32_e32 v135, v131
	ds_load_2addr_b64 v[130:133], v124 offset0:52 offset1:53
	v_pk_add_f32 v[8:9], v[8:9], v[134:135] neg_lo:[0,1] neg_hi:[0,1]
	s_wait_dscnt 0x0
	v_pk_mul_f32 v[134:135], v[130:131], v[122:123] op_sel:[0,1]
	s_delay_alu instid0(VALU_DEP_1) | instskip(SKIP_1) | instid1(VALU_DEP_1)
	v_pk_fma_f32 v[136:137], v[130:131], v[120:121], v[134:135] op_sel:[0,0,1] op_sel_hi:[1,1,0] neg_lo:[0,0,1] neg_hi:[0,0,1]
	v_pk_fma_f32 v[130:131], v[130:131], v[120:121], v[134:135] op_sel:[0,0,1] op_sel_hi:[1,0,0]
	v_mov_b32_e32 v137, v131
	v_pk_mul_f32 v[130:131], v[132:133], v[122:123] op_sel:[0,1]
	s_delay_alu instid0(VALU_DEP_2) | instskip(NEXT) | instid1(VALU_DEP_2)
	v_pk_add_f32 v[6:7], v[6:7], v[136:137] neg_lo:[0,1] neg_hi:[0,1]
	v_pk_fma_f32 v[134:135], v[132:133], v[120:121], v[130:131] op_sel:[0,0,1] op_sel_hi:[1,1,0] neg_lo:[0,0,1] neg_hi:[0,0,1]
	v_pk_fma_f32 v[130:131], v[132:133], v[120:121], v[130:131] op_sel:[0,0,1] op_sel_hi:[1,0,0]
	s_delay_alu instid0(VALU_DEP_1) | instskip(SKIP_4) | instid1(VALU_DEP_1)
	v_mov_b32_e32 v135, v131
	ds_load_2addr_b64 v[130:133], v124 offset0:54 offset1:55
	v_pk_add_f32 v[28:29], v[28:29], v[134:135] neg_lo:[0,1] neg_hi:[0,1]
	s_wait_dscnt 0x0
	v_pk_mul_f32 v[134:135], v[130:131], v[122:123] op_sel:[0,1]
	v_pk_fma_f32 v[136:137], v[130:131], v[120:121], v[134:135] op_sel:[0,0,1] op_sel_hi:[1,1,0] neg_lo:[0,0,1] neg_hi:[0,0,1]
	v_pk_fma_f32 v[130:131], v[130:131], v[120:121], v[134:135] op_sel:[0,0,1] op_sel_hi:[1,0,0]
	v_dual_mul_f32 v134, v133, v123 :: v_dual_mov_b32 v130, v133
	s_delay_alu instid0(VALU_DEP_2) | instskip(NEXT) | instid1(VALU_DEP_2)
	v_dual_mov_b32 v137, v131 :: v_dual_mov_b32 v131, v132
	v_pk_fma_f32 v[134:135], v[132:133], v[98:99], v[134:135] op_sel_hi:[1,1,0] neg_lo:[0,0,1] neg_hi:[0,0,1]
	v_mul_f32_e32 v132, v133, v120
	s_delay_alu instid0(VALU_DEP_3) | instskip(NEXT) | instid1(VALU_DEP_2)
	v_pk_add_f32 v[18:19], v[18:19], v[136:137] neg_lo:[0,1] neg_hi:[0,1]
	v_pk_fma_f32 v[130:131], v[130:131], v[98:99], v[132:133] op_sel_hi:[1,1,0]
	s_delay_alu instid0(VALU_DEP_1) | instskip(SKIP_4) | instid1(VALU_DEP_1)
	v_mov_b32_e32 v135, v131
	ds_load_b64 v[130:131], v124 offset:448
	v_pk_add_f32 v[16:17], v[16:17], v[134:135] neg_lo:[0,1] neg_hi:[0,1]
	s_wait_dscnt 0x0
	v_pk_mul_f32 v[122:123], v[130:131], v[122:123] op_sel:[0,1]
	v_pk_fma_f32 v[132:133], v[130:131], v[120:121], v[122:123] op_sel:[0,0,1] op_sel_hi:[1,1,0] neg_lo:[0,0,1] neg_hi:[0,0,1]
	v_pk_fma_f32 v[120:121], v[130:131], v[120:121], v[122:123] op_sel:[0,0,1] op_sel_hi:[1,0,0]
	s_delay_alu instid0(VALU_DEP_1) | instskip(NEXT) | instid1(VALU_DEP_1)
	v_mov_b32_e32 v133, v121
	v_pk_add_f32 v[118:119], v[118:119], v[132:133] neg_lo:[0,1] neg_hi:[0,1]
.LBB112_251:
	s_or_b32 exec_lo, exec_lo, s0
	v_lshl_add_u32 v120, v128, 3, v124
	s_barrier_signal -1
	s_barrier_wait -1
	ds_store_b64 v120, v[96:97]
	s_wait_dscnt 0x0
	s_barrier_signal -1
	s_barrier_wait -1
	ds_load_b64 v[122:123], v124 offset:96
	v_mov_b32_e32 v120, 12
	s_cmp_lt_i32 s18, 14
	s_cbranch_scc1 .LBB112_254
; %bb.252:
	v_add3_u32 v121, v125, 0, 0x68
	v_mov_b32_e32 v120, 12
	s_mov_b32 s0, 13
.LBB112_253:                            ; =>This Inner Loop Header: Depth=1
	ds_load_b64 v[130:131], v121
	s_wait_dscnt 0x1
	v_cmp_gt_f32_e32 vcc_lo, 0, v122
	v_cndmask_b32_e64 v132, v122, -v122, vcc_lo
	v_cmp_gt_f32_e32 vcc_lo, 0, v123
	v_cndmask_b32_e64 v134, v123, -v123, vcc_lo
	s_wait_dscnt 0x0
	v_cmp_gt_f32_e32 vcc_lo, 0, v130
	v_cndmask_b32_e64 v133, v130, -v130, vcc_lo
	v_cmp_gt_f32_e32 vcc_lo, 0, v131
	v_cndmask_b32_e64 v135, v131, -v131, vcc_lo
	s_delay_alu instid0(VALU_DEP_1) | instskip(NEXT) | instid1(VALU_DEP_1)
	v_pk_add_f32 v[132:133], v[132:133], v[134:135]
	v_cmp_lt_f32_e32 vcc_lo, v132, v133
	v_dual_add_nc_u32 v121, 8, v121 :: v_dual_cndmask_b32 v123, v123, v131, vcc_lo
	v_cndmask_b32_e32 v122, v122, v130, vcc_lo
	v_cndmask_b32_e64 v120, v120, s0, vcc_lo
	s_add_co_i32 s0, s0, 1
	s_delay_alu instid0(SALU_CYCLE_1)
	s_cmp_lg_u32 s18, s0
	s_cbranch_scc1 .LBB112_253
.LBB112_254:
	s_wait_dscnt 0x0
	v_cmp_eq_f32_e32 vcc_lo, 0, v122
	v_cmp_eq_f32_e64 s0, 0, v123
	s_and_b32 s0, vcc_lo, s0
	s_delay_alu instid0(SALU_CYCLE_1) | instskip(NEXT) | instid1(SALU_CYCLE_1)
	s_and_saveexec_b32 s1, s0
	s_xor_b32 s0, exec_lo, s1
; %bb.255:
	v_cmp_ne_u32_e32 vcc_lo, 0, v126
	v_cndmask_b32_e32 v126, 13, v126, vcc_lo
; %bb.256:
	s_and_not1_saveexec_b32 s0, s0
	s_cbranch_execz .LBB112_262
; %bb.257:
	v_cmp_ngt_f32_e64 s1, |v122|, |v123|
	s_and_saveexec_b32 s12, s1
	s_delay_alu instid0(SALU_CYCLE_1)
	s_xor_b32 s1, exec_lo, s12
	s_cbranch_execz .LBB112_259
; %bb.258:
	v_div_scale_f32 v121, null, v123, v123, v122
	v_div_scale_f32 v131, vcc_lo, v122, v123, v122
	s_delay_alu instid0(VALU_DEP_2) | instskip(SKIP_1) | instid1(TRANS32_DEP_1)
	v_rcp_f32_e32 v129, v121
	v_nop
	v_fma_f32 v130, -v121, v129, 1.0
	s_delay_alu instid0(VALU_DEP_1) | instskip(NEXT) | instid1(VALU_DEP_1)
	v_fmac_f32_e32 v129, v130, v129
	v_mul_f32_e32 v130, v131, v129
	s_delay_alu instid0(VALU_DEP_1) | instskip(NEXT) | instid1(VALU_DEP_1)
	v_fma_f32 v132, -v121, v130, v131
	v_fmac_f32_e32 v130, v132, v129
	s_delay_alu instid0(VALU_DEP_1) | instskip(NEXT) | instid1(VALU_DEP_1)
	v_fma_f32 v121, -v121, v130, v131
	v_div_fmas_f32 v121, v121, v129, v130
	s_delay_alu instid0(VALU_DEP_1) | instskip(NEXT) | instid1(VALU_DEP_1)
	v_div_fixup_f32 v121, v121, v123, v122
	v_fmac_f32_e32 v123, v122, v121
	s_delay_alu instid0(VALU_DEP_1) | instskip(SKIP_1) | instid1(VALU_DEP_2)
	v_div_scale_f32 v122, null, v123, v123, 1.0
	v_div_scale_f32 v131, vcc_lo, 1.0, v123, 1.0
	v_rcp_f32_e32 v129, v122
	v_nop
	s_delay_alu instid0(TRANS32_DEP_1) | instskip(NEXT) | instid1(VALU_DEP_1)
	v_fma_f32 v130, -v122, v129, 1.0
	v_fmac_f32_e32 v129, v130, v129
	s_delay_alu instid0(VALU_DEP_1) | instskip(NEXT) | instid1(VALU_DEP_1)
	v_mul_f32_e32 v130, v131, v129
	v_fma_f32 v132, -v122, v130, v131
	s_delay_alu instid0(VALU_DEP_1) | instskip(NEXT) | instid1(VALU_DEP_1)
	v_fmac_f32_e32 v130, v132, v129
	v_fma_f32 v122, -v122, v130, v131
	s_delay_alu instid0(VALU_DEP_1) | instskip(NEXT) | instid1(VALU_DEP_1)
	v_div_fmas_f32 v122, v122, v129, v130
	v_div_fixup_f32 v123, v122, v123, 1.0
	s_delay_alu instid0(VALU_DEP_1)
	v_mul_f32_e32 v122, v121, v123
	v_xor_b32_e32 v123, 0x80000000, v123
.LBB112_259:
	s_and_not1_saveexec_b32 s1, s1
	s_cbranch_execz .LBB112_261
; %bb.260:
	s_delay_alu instid0(VALU_DEP_1) | instskip(SKIP_1) | instid1(VALU_DEP_2)
	v_div_scale_f32 v121, null, v122, v122, v123
	v_div_scale_f32 v131, vcc_lo, v123, v122, v123
	v_rcp_f32_e32 v129, v121
	v_nop
	s_delay_alu instid0(TRANS32_DEP_1) | instskip(NEXT) | instid1(VALU_DEP_1)
	v_fma_f32 v130, -v121, v129, 1.0
	v_fmac_f32_e32 v129, v130, v129
	s_delay_alu instid0(VALU_DEP_1) | instskip(NEXT) | instid1(VALU_DEP_1)
	v_mul_f32_e32 v130, v131, v129
	v_fma_f32 v132, -v121, v130, v131
	s_delay_alu instid0(VALU_DEP_1) | instskip(NEXT) | instid1(VALU_DEP_1)
	v_fmac_f32_e32 v130, v132, v129
	v_fma_f32 v121, -v121, v130, v131
	s_delay_alu instid0(VALU_DEP_1) | instskip(NEXT) | instid1(VALU_DEP_1)
	v_div_fmas_f32 v121, v121, v129, v130
	v_div_fixup_f32 v121, v121, v122, v123
	s_delay_alu instid0(VALU_DEP_1) | instskip(NEXT) | instid1(VALU_DEP_1)
	v_fmac_f32_e32 v122, v123, v121
	v_div_scale_f32 v123, null, v122, v122, 1.0
	s_delay_alu instid0(VALU_DEP_1) | instskip(SKIP_1) | instid1(TRANS32_DEP_1)
	v_rcp_f32_e32 v129, v123
	v_nop
	v_fma_f32 v130, -v123, v129, 1.0
	s_delay_alu instid0(VALU_DEP_1) | instskip(SKIP_1) | instid1(VALU_DEP_1)
	v_fmac_f32_e32 v129, v130, v129
	v_div_scale_f32 v130, vcc_lo, 1.0, v122, 1.0
	v_mul_f32_e32 v131, v130, v129
	s_delay_alu instid0(VALU_DEP_1) | instskip(NEXT) | instid1(VALU_DEP_1)
	v_fma_f32 v132, -v123, v131, v130
	v_fmac_f32_e32 v131, v132, v129
	s_delay_alu instid0(VALU_DEP_1) | instskip(NEXT) | instid1(VALU_DEP_1)
	v_fma_f32 v123, -v123, v131, v130
	v_div_fmas_f32 v123, v123, v129, v131
	s_delay_alu instid0(VALU_DEP_1) | instskip(NEXT) | instid1(VALU_DEP_1)
	v_div_fixup_f32 v122, v123, v122, 1.0
	v_mul_f32_e64 v123, v121, -v122
.LBB112_261:
	s_or_b32 exec_lo, exec_lo, s1
.LBB112_262:
	s_delay_alu instid0(SALU_CYCLE_1) | instskip(NEXT) | instid1(SALU_CYCLE_1)
	s_or_b32 exec_lo, exec_lo, s0
	s_mov_b32 s0, exec_lo
	v_cmpx_ne_u32_e64 v128, v120
	s_xor_b32 s0, exec_lo, s0
	s_cbranch_execz .LBB112_268
; %bb.263:
	s_mov_b32 s1, exec_lo
	v_cmpx_eq_u32_e32 12, v128
	s_cbranch_execz .LBB112_267
; %bb.264:
	v_cmp_ne_u32_e32 vcc_lo, 12, v120
	s_xor_b32 s12, s16, -1
	s_delay_alu instid0(SALU_CYCLE_1) | instskip(NEXT) | instid1(SALU_CYCLE_1)
	s_and_b32 s13, s12, vcc_lo
	s_and_saveexec_b32 s12, s13
	s_cbranch_execz .LBB112_266
; %bb.265:
	v_ashrrev_i32_e32 v121, 31, v120
	s_delay_alu instid0(VALU_DEP_1)
	v_lshl_add_u64 v[128:129], v[120:121], 2, v[4:5]
	s_clause 0x1
	global_load_b32 v121, v[128:129], off
	global_load_b32 v127, v[4:5], off offset:48
	s_wait_loadcnt 0x1
	global_store_b32 v[4:5], v121, off offset:48
	s_wait_loadcnt 0x0
	global_store_b32 v[128:129], v127, off
.LBB112_266:
	s_wait_xcnt 0x0
	s_or_b32 exec_lo, exec_lo, s12
	v_dual_mov_b32 v128, v120 :: v_dual_mov_b32 v127, v120
.LBB112_267:
	s_or_b32 exec_lo, exec_lo, s1
.LBB112_268:
	s_and_not1_saveexec_b32 s0, s0
	s_cbranch_execz .LBB112_270
; %bb.269:
	v_mov_b32_e32 v128, 12
	ds_store_2addr_b64 v124, v[92:93], v[94:95] offset0:13 offset1:14
	ds_store_2addr_b64 v124, v[90:91], v[84:85] offset0:15 offset1:16
	ds_store_2addr_b64 v124, v[80:81], v[82:83] offset0:17 offset1:18
	ds_store_2addr_b64 v124, v[78:79], v[76:77] offset0:19 offset1:20
	ds_store_2addr_b64 v124, v[72:73], v[74:75] offset0:21 offset1:22
	ds_store_2addr_b64 v124, v[70:71], v[68:69] offset0:23 offset1:24
	ds_store_2addr_b64 v124, v[64:65], v[66:67] offset0:25 offset1:26
	ds_store_2addr_b64 v124, v[62:63], v[60:61] offset0:27 offset1:28
	ds_store_2addr_b64 v124, v[56:57], v[58:59] offset0:29 offset1:30
	ds_store_2addr_b64 v124, v[54:55], v[52:53] offset0:31 offset1:32
	ds_store_2addr_b64 v124, v[48:49], v[50:51] offset0:33 offset1:34
	ds_store_2addr_b64 v124, v[46:47], v[44:45] offset0:35 offset1:36
	ds_store_2addr_b64 v124, v[40:41], v[42:43] offset0:37 offset1:38
	ds_store_2addr_b64 v124, v[38:39], v[36:37] offset0:39 offset1:40
	ds_store_2addr_b64 v124, v[32:33], v[34:35] offset0:41 offset1:42
	ds_store_2addr_b64 v124, v[30:31], v[26:27] offset0:43 offset1:44
	ds_store_2addr_b64 v124, v[22:23], v[24:25] offset0:45 offset1:46
	ds_store_2addr_b64 v124, v[20:21], v[14:15] offset0:47 offset1:48
	ds_store_2addr_b64 v124, v[10:11], v[12:13] offset0:49 offset1:50
	ds_store_2addr_b64 v124, v[8:9], v[6:7] offset0:51 offset1:52
	ds_store_2addr_b64 v124, v[28:29], v[18:19] offset0:53 offset1:54
	ds_store_2addr_b64 v124, v[16:17], v[118:119] offset0:55 offset1:56
.LBB112_270:
	s_or_b32 exec_lo, exec_lo, s0
	s_delay_alu instid0(SALU_CYCLE_1)
	s_mov_b32 s0, exec_lo
	s_wait_storecnt_dscnt 0x0
	s_barrier_signal -1
	s_barrier_wait -1
	v_cmpx_lt_i32_e32 12, v128
	s_cbranch_execz .LBB112_272
; %bb.271:
	v_pk_mul_f32 v[130:131], v[122:123], v[96:97] op_sel:[1,1] op_sel_hi:[0,1]
	s_delay_alu instid0(VALU_DEP_1)
	v_pk_fma_f32 v[120:121], v[122:123], v[96:97], v[130:131] op_sel_hi:[1,0,1] neg_lo:[0,0,1] neg_hi:[0,0,1]
	v_pk_fma_f32 v[122:123], v[122:123], v[96:97], v[130:131] op_sel_hi:[1,0,1]
	ds_load_2addr_b64 v[130:133], v124 offset0:13 offset1:14
	v_dual_mov_b32 v96, v120 :: v_dual_mov_b32 v97, v123
	s_wait_dscnt 0x0
	v_pk_mul_f32 v[134:135], v[130:131], v[122:123] op_sel:[0,1]
	s_delay_alu instid0(VALU_DEP_1) | instskip(SKIP_1) | instid1(VALU_DEP_1)
	v_pk_fma_f32 v[136:137], v[130:131], v[120:121], v[134:135] op_sel:[0,0,1] op_sel_hi:[1,1,0] neg_lo:[0,0,1] neg_hi:[0,0,1]
	v_pk_fma_f32 v[130:131], v[130:131], v[120:121], v[134:135] op_sel:[0,0,1] op_sel_hi:[1,0,0]
	v_mov_b32_e32 v137, v131
	v_pk_mul_f32 v[130:131], v[132:133], v[122:123] op_sel:[0,1]
	s_delay_alu instid0(VALU_DEP_1) | instskip(SKIP_1) | instid1(VALU_DEP_1)
	v_pk_fma_f32 v[134:135], v[132:133], v[120:121], v[130:131] op_sel:[0,0,1] op_sel_hi:[1,1,0] neg_lo:[0,0,1] neg_hi:[0,0,1]
	v_pk_fma_f32 v[130:131], v[132:133], v[120:121], v[130:131] op_sel:[0,0,1] op_sel_hi:[1,0,0]
	v_mov_b32_e32 v135, v131
	ds_load_2addr_b64 v[130:133], v124 offset0:15 offset1:16
	v_pk_add_f32 v[92:93], v[92:93], v[136:137] neg_lo:[0,1] neg_hi:[0,1]
	v_pk_add_f32 v[94:95], v[94:95], v[134:135] neg_lo:[0,1] neg_hi:[0,1]
	s_wait_dscnt 0x0
	v_pk_mul_f32 v[134:135], v[130:131], v[122:123] op_sel:[0,1]
	s_delay_alu instid0(VALU_DEP_1) | instskip(SKIP_2) | instid1(VALU_DEP_2)
	v_pk_fma_f32 v[136:137], v[130:131], v[120:121], v[134:135] op_sel:[0,0,1] op_sel_hi:[1,1,0] neg_lo:[0,0,1] neg_hi:[0,0,1]
	v_pk_fma_f32 v[130:131], v[130:131], v[120:121], v[134:135] op_sel:[0,0,1] op_sel_hi:[1,0,0]
	v_dual_mul_f32 v134, v133, v123 :: v_dual_mov_b32 v130, v133
	v_dual_mov_b32 v137, v131 :: v_dual_mov_b32 v131, v132
	s_delay_alu instid0(VALU_DEP_2) | instskip(SKIP_1) | instid1(VALU_DEP_3)
	v_pk_fma_f32 v[134:135], v[132:133], v[96:97], v[134:135] op_sel_hi:[1,1,0] neg_lo:[0,0,1] neg_hi:[0,0,1]
	v_mul_f32_e32 v132, v133, v120
	v_pk_add_f32 v[90:91], v[90:91], v[136:137] neg_lo:[0,1] neg_hi:[0,1]
	s_delay_alu instid0(VALU_DEP_2) | instskip(NEXT) | instid1(VALU_DEP_1)
	v_pk_fma_f32 v[130:131], v[130:131], v[96:97], v[132:133] op_sel_hi:[1,1,0]
	v_mov_b32_e32 v135, v131
	ds_load_2addr_b64 v[130:133], v124 offset0:17 offset1:18
	v_pk_add_f32 v[84:85], v[84:85], v[134:135] neg_lo:[0,1] neg_hi:[0,1]
	s_wait_dscnt 0x0
	v_pk_mul_f32 v[134:135], v[130:131], v[122:123] op_sel:[0,1]
	s_delay_alu instid0(VALU_DEP_1) | instskip(SKIP_1) | instid1(VALU_DEP_1)
	v_pk_fma_f32 v[136:137], v[130:131], v[120:121], v[134:135] op_sel:[0,0,1] op_sel_hi:[1,1,0] neg_lo:[0,0,1] neg_hi:[0,0,1]
	v_pk_fma_f32 v[130:131], v[130:131], v[120:121], v[134:135] op_sel:[0,0,1] op_sel_hi:[1,0,0]
	v_mov_b32_e32 v137, v131
	v_pk_mul_f32 v[130:131], v[132:133], v[122:123] op_sel:[0,1]
	s_delay_alu instid0(VALU_DEP_1) | instskip(SKIP_1) | instid1(VALU_DEP_1)
	v_pk_fma_f32 v[134:135], v[132:133], v[120:121], v[130:131] op_sel:[0,0,1] op_sel_hi:[1,1,0] neg_lo:[0,0,1] neg_hi:[0,0,1]
	v_pk_fma_f32 v[130:131], v[132:133], v[120:121], v[130:131] op_sel:[0,0,1] op_sel_hi:[1,0,0]
	v_mov_b32_e32 v135, v131
	ds_load_2addr_b64 v[130:133], v124 offset0:19 offset1:20
	v_pk_add_f32 v[80:81], v[80:81], v[136:137] neg_lo:[0,1] neg_hi:[0,1]
	v_pk_add_f32 v[82:83], v[82:83], v[134:135] neg_lo:[0,1] neg_hi:[0,1]
	s_wait_dscnt 0x0
	v_pk_mul_f32 v[134:135], v[130:131], v[122:123] op_sel:[0,1]
	s_delay_alu instid0(VALU_DEP_1) | instskip(SKIP_1) | instid1(VALU_DEP_1)
	v_pk_fma_f32 v[136:137], v[130:131], v[120:121], v[134:135] op_sel:[0,0,1] op_sel_hi:[1,1,0] neg_lo:[0,0,1] neg_hi:[0,0,1]
	v_pk_fma_f32 v[130:131], v[130:131], v[120:121], v[134:135] op_sel:[0,0,1] op_sel_hi:[1,0,0]
	v_mov_b32_e32 v137, v131
	v_pk_mul_f32 v[130:131], v[132:133], v[122:123] op_sel:[0,1]
	s_delay_alu instid0(VALU_DEP_1) | instskip(SKIP_1) | instid1(VALU_DEP_1)
	v_pk_fma_f32 v[134:135], v[132:133], v[120:121], v[130:131] op_sel:[0,0,1] op_sel_hi:[1,1,0] neg_lo:[0,0,1] neg_hi:[0,0,1]
	v_pk_fma_f32 v[130:131], v[132:133], v[120:121], v[130:131] op_sel:[0,0,1] op_sel_hi:[1,0,0]
	v_mov_b32_e32 v135, v131
	ds_load_2addr_b64 v[130:133], v124 offset0:21 offset1:22
	v_pk_add_f32 v[78:79], v[78:79], v[136:137] neg_lo:[0,1] neg_hi:[0,1]
	v_pk_add_f32 v[76:77], v[76:77], v[134:135] neg_lo:[0,1] neg_hi:[0,1]
	s_wait_dscnt 0x0
	v_dual_mul_f32 v134, v131, v123 :: v_dual_mul_f32 v136, v131, v120
	s_delay_alu instid0(VALU_DEP_1) | instskip(NEXT) | instid1(VALU_DEP_2)
	v_pk_fma_f32 v[134:135], v[130:131], v[96:97], v[134:135] op_sel_hi:[1,1,0] neg_lo:[0,0,1] neg_hi:[0,0,1]
	v_pk_fma_f32 v[130:131], v[130:131], v[96:97], v[136:137] op_sel:[1,0,0] op_sel_hi:[0,1,0]
	s_delay_alu instid0(VALU_DEP_1) | instskip(SKIP_1) | instid1(VALU_DEP_2)
	v_mov_b32_e32 v135, v131
	v_pk_mul_f32 v[130:131], v[132:133], v[122:123] op_sel:[0,1]
	v_pk_add_f32 v[72:73], v[72:73], v[134:135] neg_lo:[0,1] neg_hi:[0,1]
	s_delay_alu instid0(VALU_DEP_2) | instskip(SKIP_1) | instid1(VALU_DEP_1)
	v_pk_fma_f32 v[134:135], v[132:133], v[120:121], v[130:131] op_sel:[0,0,1] op_sel_hi:[1,1,0] neg_lo:[0,0,1] neg_hi:[0,0,1]
	v_pk_fma_f32 v[130:131], v[132:133], v[120:121], v[130:131] op_sel:[0,0,1] op_sel_hi:[1,0,0]
	v_mov_b32_e32 v135, v131
	ds_load_2addr_b64 v[130:133], v124 offset0:23 offset1:24
	v_pk_add_f32 v[74:75], v[74:75], v[134:135] neg_lo:[0,1] neg_hi:[0,1]
	s_wait_dscnt 0x0
	v_pk_mul_f32 v[134:135], v[130:131], v[122:123] op_sel:[0,1]
	s_delay_alu instid0(VALU_DEP_1) | instskip(SKIP_1) | instid1(VALU_DEP_1)
	v_pk_fma_f32 v[136:137], v[130:131], v[120:121], v[134:135] op_sel:[0,0,1] op_sel_hi:[1,1,0] neg_lo:[0,0,1] neg_hi:[0,0,1]
	v_pk_fma_f32 v[130:131], v[130:131], v[120:121], v[134:135] op_sel:[0,0,1] op_sel_hi:[1,0,0]
	v_mov_b32_e32 v137, v131
	v_pk_mul_f32 v[130:131], v[132:133], v[122:123] op_sel:[0,1]
	s_delay_alu instid0(VALU_DEP_2) | instskip(NEXT) | instid1(VALU_DEP_2)
	v_pk_add_f32 v[70:71], v[70:71], v[136:137] neg_lo:[0,1] neg_hi:[0,1]
	v_pk_fma_f32 v[134:135], v[132:133], v[120:121], v[130:131] op_sel:[0,0,1] op_sel_hi:[1,1,0] neg_lo:[0,0,1] neg_hi:[0,0,1]
	v_pk_fma_f32 v[130:131], v[132:133], v[120:121], v[130:131] op_sel:[0,0,1] op_sel_hi:[1,0,0]
	s_delay_alu instid0(VALU_DEP_1) | instskip(SKIP_4) | instid1(VALU_DEP_1)
	v_mov_b32_e32 v135, v131
	ds_load_2addr_b64 v[130:133], v124 offset0:25 offset1:26
	v_pk_add_f32 v[68:69], v[68:69], v[134:135] neg_lo:[0,1] neg_hi:[0,1]
	s_wait_dscnt 0x0
	v_pk_mul_f32 v[134:135], v[130:131], v[122:123] op_sel:[0,1]
	v_pk_fma_f32 v[136:137], v[130:131], v[120:121], v[134:135] op_sel:[0,0,1] op_sel_hi:[1,1,0] neg_lo:[0,0,1] neg_hi:[0,0,1]
	v_pk_fma_f32 v[130:131], v[130:131], v[120:121], v[134:135] op_sel:[0,0,1] op_sel_hi:[1,0,0]
	v_dual_mul_f32 v134, v133, v123 :: v_dual_mov_b32 v130, v133
	s_delay_alu instid0(VALU_DEP_2) | instskip(NEXT) | instid1(VALU_DEP_2)
	v_dual_mov_b32 v137, v131 :: v_dual_mov_b32 v131, v132
	v_pk_fma_f32 v[134:135], v[132:133], v[96:97], v[134:135] op_sel_hi:[1,1,0] neg_lo:[0,0,1] neg_hi:[0,0,1]
	v_mul_f32_e32 v132, v133, v120
	s_delay_alu instid0(VALU_DEP_3) | instskip(NEXT) | instid1(VALU_DEP_2)
	v_pk_add_f32 v[64:65], v[64:65], v[136:137] neg_lo:[0,1] neg_hi:[0,1]
	v_pk_fma_f32 v[130:131], v[130:131], v[96:97], v[132:133] op_sel_hi:[1,1,0]
	s_delay_alu instid0(VALU_DEP_1) | instskip(SKIP_4) | instid1(VALU_DEP_1)
	v_mov_b32_e32 v135, v131
	ds_load_2addr_b64 v[130:133], v124 offset0:27 offset1:28
	v_pk_add_f32 v[66:67], v[66:67], v[134:135] neg_lo:[0,1] neg_hi:[0,1]
	s_wait_dscnt 0x0
	v_pk_mul_f32 v[134:135], v[130:131], v[122:123] op_sel:[0,1]
	v_pk_fma_f32 v[136:137], v[130:131], v[120:121], v[134:135] op_sel:[0,0,1] op_sel_hi:[1,1,0] neg_lo:[0,0,1] neg_hi:[0,0,1]
	v_pk_fma_f32 v[130:131], v[130:131], v[120:121], v[134:135] op_sel:[0,0,1] op_sel_hi:[1,0,0]
	s_delay_alu instid0(VALU_DEP_1) | instskip(SKIP_1) | instid1(VALU_DEP_1)
	v_mov_b32_e32 v137, v131
	v_pk_mul_f32 v[130:131], v[132:133], v[122:123] op_sel:[0,1]
	v_pk_fma_f32 v[134:135], v[132:133], v[120:121], v[130:131] op_sel:[0,0,1] op_sel_hi:[1,1,0] neg_lo:[0,0,1] neg_hi:[0,0,1]
	v_pk_fma_f32 v[130:131], v[132:133], v[120:121], v[130:131] op_sel:[0,0,1] op_sel_hi:[1,0,0]
	s_delay_alu instid0(VALU_DEP_1)
	v_mov_b32_e32 v135, v131
	ds_load_2addr_b64 v[130:133], v124 offset0:29 offset1:30
	v_pk_add_f32 v[62:63], v[62:63], v[136:137] neg_lo:[0,1] neg_hi:[0,1]
	v_pk_add_f32 v[60:61], v[60:61], v[134:135] neg_lo:[0,1] neg_hi:[0,1]
	s_wait_dscnt 0x0
	v_pk_mul_f32 v[134:135], v[130:131], v[122:123] op_sel:[0,1]
	s_delay_alu instid0(VALU_DEP_1) | instskip(SKIP_1) | instid1(VALU_DEP_1)
	v_pk_fma_f32 v[136:137], v[130:131], v[120:121], v[134:135] op_sel:[0,0,1] op_sel_hi:[1,1,0] neg_lo:[0,0,1] neg_hi:[0,0,1]
	v_pk_fma_f32 v[130:131], v[130:131], v[120:121], v[134:135] op_sel:[0,0,1] op_sel_hi:[1,0,0]
	v_mov_b32_e32 v137, v131
	v_pk_mul_f32 v[130:131], v[132:133], v[122:123] op_sel:[0,1]
	s_delay_alu instid0(VALU_DEP_1) | instskip(SKIP_1) | instid1(VALU_DEP_1)
	v_pk_fma_f32 v[134:135], v[132:133], v[120:121], v[130:131] op_sel:[0,0,1] op_sel_hi:[1,1,0] neg_lo:[0,0,1] neg_hi:[0,0,1]
	v_pk_fma_f32 v[130:131], v[132:133], v[120:121], v[130:131] op_sel:[0,0,1] op_sel_hi:[1,0,0]
	v_mov_b32_e32 v135, v131
	ds_load_2addr_b64 v[130:133], v124 offset0:31 offset1:32
	v_pk_add_f32 v[56:57], v[56:57], v[136:137] neg_lo:[0,1] neg_hi:[0,1]
	v_pk_add_f32 v[58:59], v[58:59], v[134:135] neg_lo:[0,1] neg_hi:[0,1]
	s_wait_dscnt 0x0
	v_dual_mul_f32 v134, v131, v123 :: v_dual_mul_f32 v136, v131, v120
	s_delay_alu instid0(VALU_DEP_1) | instskip(NEXT) | instid1(VALU_DEP_2)
	v_pk_fma_f32 v[134:135], v[130:131], v[96:97], v[134:135] op_sel_hi:[1,1,0] neg_lo:[0,0,1] neg_hi:[0,0,1]
	v_pk_fma_f32 v[130:131], v[130:131], v[96:97], v[136:137] op_sel:[1,0,0] op_sel_hi:[0,1,0]
	s_delay_alu instid0(VALU_DEP_1) | instskip(SKIP_1) | instid1(VALU_DEP_2)
	v_mov_b32_e32 v135, v131
	v_pk_mul_f32 v[130:131], v[132:133], v[122:123] op_sel:[0,1]
	v_pk_add_f32 v[54:55], v[54:55], v[134:135] neg_lo:[0,1] neg_hi:[0,1]
	s_delay_alu instid0(VALU_DEP_2) | instskip(SKIP_1) | instid1(VALU_DEP_1)
	v_pk_fma_f32 v[134:135], v[132:133], v[120:121], v[130:131] op_sel:[0,0,1] op_sel_hi:[1,1,0] neg_lo:[0,0,1] neg_hi:[0,0,1]
	v_pk_fma_f32 v[130:131], v[132:133], v[120:121], v[130:131] op_sel:[0,0,1] op_sel_hi:[1,0,0]
	v_mov_b32_e32 v135, v131
	ds_load_2addr_b64 v[130:133], v124 offset0:33 offset1:34
	v_pk_add_f32 v[52:53], v[52:53], v[134:135] neg_lo:[0,1] neg_hi:[0,1]
	s_wait_dscnt 0x0
	v_pk_mul_f32 v[134:135], v[130:131], v[122:123] op_sel:[0,1]
	s_delay_alu instid0(VALU_DEP_1) | instskip(SKIP_1) | instid1(VALU_DEP_1)
	v_pk_fma_f32 v[136:137], v[130:131], v[120:121], v[134:135] op_sel:[0,0,1] op_sel_hi:[1,1,0] neg_lo:[0,0,1] neg_hi:[0,0,1]
	v_pk_fma_f32 v[130:131], v[130:131], v[120:121], v[134:135] op_sel:[0,0,1] op_sel_hi:[1,0,0]
	v_mov_b32_e32 v137, v131
	v_pk_mul_f32 v[130:131], v[132:133], v[122:123] op_sel:[0,1]
	s_delay_alu instid0(VALU_DEP_2) | instskip(NEXT) | instid1(VALU_DEP_2)
	v_pk_add_f32 v[48:49], v[48:49], v[136:137] neg_lo:[0,1] neg_hi:[0,1]
	v_pk_fma_f32 v[134:135], v[132:133], v[120:121], v[130:131] op_sel:[0,0,1] op_sel_hi:[1,1,0] neg_lo:[0,0,1] neg_hi:[0,0,1]
	v_pk_fma_f32 v[130:131], v[132:133], v[120:121], v[130:131] op_sel:[0,0,1] op_sel_hi:[1,0,0]
	s_delay_alu instid0(VALU_DEP_1) | instskip(SKIP_4) | instid1(VALU_DEP_1)
	v_mov_b32_e32 v135, v131
	ds_load_2addr_b64 v[130:133], v124 offset0:35 offset1:36
	v_pk_add_f32 v[50:51], v[50:51], v[134:135] neg_lo:[0,1] neg_hi:[0,1]
	s_wait_dscnt 0x0
	v_pk_mul_f32 v[134:135], v[130:131], v[122:123] op_sel:[0,1]
	v_pk_fma_f32 v[136:137], v[130:131], v[120:121], v[134:135] op_sel:[0,0,1] op_sel_hi:[1,1,0] neg_lo:[0,0,1] neg_hi:[0,0,1]
	v_pk_fma_f32 v[130:131], v[130:131], v[120:121], v[134:135] op_sel:[0,0,1] op_sel_hi:[1,0,0]
	v_dual_mul_f32 v134, v133, v123 :: v_dual_mov_b32 v130, v133
	s_delay_alu instid0(VALU_DEP_2) | instskip(NEXT) | instid1(VALU_DEP_2)
	v_dual_mov_b32 v137, v131 :: v_dual_mov_b32 v131, v132
	v_pk_fma_f32 v[134:135], v[132:133], v[96:97], v[134:135] op_sel_hi:[1,1,0] neg_lo:[0,0,1] neg_hi:[0,0,1]
	v_mul_f32_e32 v132, v133, v120
	s_delay_alu instid0(VALU_DEP_3) | instskip(NEXT) | instid1(VALU_DEP_2)
	v_pk_add_f32 v[46:47], v[46:47], v[136:137] neg_lo:[0,1] neg_hi:[0,1]
	v_pk_fma_f32 v[130:131], v[130:131], v[96:97], v[132:133] op_sel_hi:[1,1,0]
	s_delay_alu instid0(VALU_DEP_1) | instskip(SKIP_4) | instid1(VALU_DEP_1)
	v_mov_b32_e32 v135, v131
	ds_load_2addr_b64 v[130:133], v124 offset0:37 offset1:38
	v_pk_add_f32 v[44:45], v[44:45], v[134:135] neg_lo:[0,1] neg_hi:[0,1]
	s_wait_dscnt 0x0
	v_pk_mul_f32 v[134:135], v[130:131], v[122:123] op_sel:[0,1]
	v_pk_fma_f32 v[136:137], v[130:131], v[120:121], v[134:135] op_sel:[0,0,1] op_sel_hi:[1,1,0] neg_lo:[0,0,1] neg_hi:[0,0,1]
	v_pk_fma_f32 v[130:131], v[130:131], v[120:121], v[134:135] op_sel:[0,0,1] op_sel_hi:[1,0,0]
	s_delay_alu instid0(VALU_DEP_1) | instskip(SKIP_1) | instid1(VALU_DEP_1)
	v_mov_b32_e32 v137, v131
	v_pk_mul_f32 v[130:131], v[132:133], v[122:123] op_sel:[0,1]
	v_pk_fma_f32 v[134:135], v[132:133], v[120:121], v[130:131] op_sel:[0,0,1] op_sel_hi:[1,1,0] neg_lo:[0,0,1] neg_hi:[0,0,1]
	v_pk_fma_f32 v[130:131], v[132:133], v[120:121], v[130:131] op_sel:[0,0,1] op_sel_hi:[1,0,0]
	s_delay_alu instid0(VALU_DEP_1)
	v_mov_b32_e32 v135, v131
	ds_load_2addr_b64 v[130:133], v124 offset0:39 offset1:40
	v_pk_add_f32 v[40:41], v[40:41], v[136:137] neg_lo:[0,1] neg_hi:[0,1]
	v_pk_add_f32 v[42:43], v[42:43], v[134:135] neg_lo:[0,1] neg_hi:[0,1]
	s_wait_dscnt 0x0
	v_pk_mul_f32 v[134:135], v[130:131], v[122:123] op_sel:[0,1]
	s_delay_alu instid0(VALU_DEP_1) | instskip(SKIP_1) | instid1(VALU_DEP_1)
	v_pk_fma_f32 v[136:137], v[130:131], v[120:121], v[134:135] op_sel:[0,0,1] op_sel_hi:[1,1,0] neg_lo:[0,0,1] neg_hi:[0,0,1]
	v_pk_fma_f32 v[130:131], v[130:131], v[120:121], v[134:135] op_sel:[0,0,1] op_sel_hi:[1,0,0]
	v_mov_b32_e32 v137, v131
	v_pk_mul_f32 v[130:131], v[132:133], v[122:123] op_sel:[0,1]
	s_delay_alu instid0(VALU_DEP_1) | instskip(SKIP_1) | instid1(VALU_DEP_1)
	v_pk_fma_f32 v[134:135], v[132:133], v[120:121], v[130:131] op_sel:[0,0,1] op_sel_hi:[1,1,0] neg_lo:[0,0,1] neg_hi:[0,0,1]
	v_pk_fma_f32 v[130:131], v[132:133], v[120:121], v[130:131] op_sel:[0,0,1] op_sel_hi:[1,0,0]
	v_mov_b32_e32 v135, v131
	ds_load_2addr_b64 v[130:133], v124 offset0:41 offset1:42
	v_pk_add_f32 v[38:39], v[38:39], v[136:137] neg_lo:[0,1] neg_hi:[0,1]
	v_pk_add_f32 v[36:37], v[36:37], v[134:135] neg_lo:[0,1] neg_hi:[0,1]
	s_wait_dscnt 0x0
	v_dual_mul_f32 v134, v131, v123 :: v_dual_mul_f32 v136, v131, v120
	s_delay_alu instid0(VALU_DEP_1) | instskip(NEXT) | instid1(VALU_DEP_2)
	v_pk_fma_f32 v[134:135], v[130:131], v[96:97], v[134:135] op_sel_hi:[1,1,0] neg_lo:[0,0,1] neg_hi:[0,0,1]
	v_pk_fma_f32 v[130:131], v[130:131], v[96:97], v[136:137] op_sel:[1,0,0] op_sel_hi:[0,1,0]
	s_delay_alu instid0(VALU_DEP_1) | instskip(SKIP_1) | instid1(VALU_DEP_2)
	v_mov_b32_e32 v135, v131
	v_pk_mul_f32 v[130:131], v[132:133], v[122:123] op_sel:[0,1]
	v_pk_add_f32 v[32:33], v[32:33], v[134:135] neg_lo:[0,1] neg_hi:[0,1]
	s_delay_alu instid0(VALU_DEP_2) | instskip(SKIP_1) | instid1(VALU_DEP_1)
	v_pk_fma_f32 v[134:135], v[132:133], v[120:121], v[130:131] op_sel:[0,0,1] op_sel_hi:[1,1,0] neg_lo:[0,0,1] neg_hi:[0,0,1]
	v_pk_fma_f32 v[130:131], v[132:133], v[120:121], v[130:131] op_sel:[0,0,1] op_sel_hi:[1,0,0]
	v_mov_b32_e32 v135, v131
	ds_load_2addr_b64 v[130:133], v124 offset0:43 offset1:44
	v_pk_add_f32 v[34:35], v[34:35], v[134:135] neg_lo:[0,1] neg_hi:[0,1]
	s_wait_dscnt 0x0
	v_pk_mul_f32 v[134:135], v[130:131], v[122:123] op_sel:[0,1]
	s_delay_alu instid0(VALU_DEP_1) | instskip(SKIP_1) | instid1(VALU_DEP_1)
	v_pk_fma_f32 v[136:137], v[130:131], v[120:121], v[134:135] op_sel:[0,0,1] op_sel_hi:[1,1,0] neg_lo:[0,0,1] neg_hi:[0,0,1]
	v_pk_fma_f32 v[130:131], v[130:131], v[120:121], v[134:135] op_sel:[0,0,1] op_sel_hi:[1,0,0]
	v_mov_b32_e32 v137, v131
	v_pk_mul_f32 v[130:131], v[132:133], v[122:123] op_sel:[0,1]
	s_delay_alu instid0(VALU_DEP_2) | instskip(NEXT) | instid1(VALU_DEP_2)
	v_pk_add_f32 v[30:31], v[30:31], v[136:137] neg_lo:[0,1] neg_hi:[0,1]
	v_pk_fma_f32 v[134:135], v[132:133], v[120:121], v[130:131] op_sel:[0,0,1] op_sel_hi:[1,1,0] neg_lo:[0,0,1] neg_hi:[0,0,1]
	v_pk_fma_f32 v[130:131], v[132:133], v[120:121], v[130:131] op_sel:[0,0,1] op_sel_hi:[1,0,0]
	s_delay_alu instid0(VALU_DEP_1) | instskip(SKIP_4) | instid1(VALU_DEP_1)
	v_mov_b32_e32 v135, v131
	ds_load_2addr_b64 v[130:133], v124 offset0:45 offset1:46
	v_pk_add_f32 v[26:27], v[26:27], v[134:135] neg_lo:[0,1] neg_hi:[0,1]
	s_wait_dscnt 0x0
	v_pk_mul_f32 v[134:135], v[130:131], v[122:123] op_sel:[0,1]
	v_pk_fma_f32 v[136:137], v[130:131], v[120:121], v[134:135] op_sel:[0,0,1] op_sel_hi:[1,1,0] neg_lo:[0,0,1] neg_hi:[0,0,1]
	v_pk_fma_f32 v[130:131], v[130:131], v[120:121], v[134:135] op_sel:[0,0,1] op_sel_hi:[1,0,0]
	v_dual_mul_f32 v134, v133, v123 :: v_dual_mov_b32 v130, v133
	s_delay_alu instid0(VALU_DEP_2) | instskip(NEXT) | instid1(VALU_DEP_2)
	v_dual_mov_b32 v137, v131 :: v_dual_mov_b32 v131, v132
	v_pk_fma_f32 v[134:135], v[132:133], v[96:97], v[134:135] op_sel_hi:[1,1,0] neg_lo:[0,0,1] neg_hi:[0,0,1]
	v_mul_f32_e32 v132, v133, v120
	s_delay_alu instid0(VALU_DEP_3) | instskip(NEXT) | instid1(VALU_DEP_2)
	v_pk_add_f32 v[22:23], v[22:23], v[136:137] neg_lo:[0,1] neg_hi:[0,1]
	v_pk_fma_f32 v[130:131], v[130:131], v[96:97], v[132:133] op_sel_hi:[1,1,0]
	s_delay_alu instid0(VALU_DEP_1) | instskip(SKIP_4) | instid1(VALU_DEP_1)
	v_mov_b32_e32 v135, v131
	ds_load_2addr_b64 v[130:133], v124 offset0:47 offset1:48
	v_pk_add_f32 v[24:25], v[24:25], v[134:135] neg_lo:[0,1] neg_hi:[0,1]
	s_wait_dscnt 0x0
	v_pk_mul_f32 v[134:135], v[130:131], v[122:123] op_sel:[0,1]
	v_pk_fma_f32 v[136:137], v[130:131], v[120:121], v[134:135] op_sel:[0,0,1] op_sel_hi:[1,1,0] neg_lo:[0,0,1] neg_hi:[0,0,1]
	v_pk_fma_f32 v[130:131], v[130:131], v[120:121], v[134:135] op_sel:[0,0,1] op_sel_hi:[1,0,0]
	s_delay_alu instid0(VALU_DEP_1) | instskip(SKIP_1) | instid1(VALU_DEP_1)
	v_mov_b32_e32 v137, v131
	v_pk_mul_f32 v[130:131], v[132:133], v[122:123] op_sel:[0,1]
	v_pk_fma_f32 v[134:135], v[132:133], v[120:121], v[130:131] op_sel:[0,0,1] op_sel_hi:[1,1,0] neg_lo:[0,0,1] neg_hi:[0,0,1]
	v_pk_fma_f32 v[130:131], v[132:133], v[120:121], v[130:131] op_sel:[0,0,1] op_sel_hi:[1,0,0]
	s_delay_alu instid0(VALU_DEP_1)
	v_mov_b32_e32 v135, v131
	ds_load_2addr_b64 v[130:133], v124 offset0:49 offset1:50
	v_pk_add_f32 v[20:21], v[20:21], v[136:137] neg_lo:[0,1] neg_hi:[0,1]
	v_pk_add_f32 v[14:15], v[14:15], v[134:135] neg_lo:[0,1] neg_hi:[0,1]
	s_wait_dscnt 0x0
	v_pk_mul_f32 v[134:135], v[130:131], v[122:123] op_sel:[0,1]
	s_delay_alu instid0(VALU_DEP_1) | instskip(SKIP_1) | instid1(VALU_DEP_1)
	v_pk_fma_f32 v[136:137], v[130:131], v[120:121], v[134:135] op_sel:[0,0,1] op_sel_hi:[1,1,0] neg_lo:[0,0,1] neg_hi:[0,0,1]
	v_pk_fma_f32 v[130:131], v[130:131], v[120:121], v[134:135] op_sel:[0,0,1] op_sel_hi:[1,0,0]
	v_mov_b32_e32 v137, v131
	v_pk_mul_f32 v[130:131], v[132:133], v[122:123] op_sel:[0,1]
	s_delay_alu instid0(VALU_DEP_1) | instskip(SKIP_1) | instid1(VALU_DEP_1)
	v_pk_fma_f32 v[134:135], v[132:133], v[120:121], v[130:131] op_sel:[0,0,1] op_sel_hi:[1,1,0] neg_lo:[0,0,1] neg_hi:[0,0,1]
	v_pk_fma_f32 v[130:131], v[132:133], v[120:121], v[130:131] op_sel:[0,0,1] op_sel_hi:[1,0,0]
	v_mov_b32_e32 v135, v131
	ds_load_2addr_b64 v[130:133], v124 offset0:51 offset1:52
	v_pk_add_f32 v[10:11], v[10:11], v[136:137] neg_lo:[0,1] neg_hi:[0,1]
	v_pk_add_f32 v[12:13], v[12:13], v[134:135] neg_lo:[0,1] neg_hi:[0,1]
	s_wait_dscnt 0x0
	v_dual_mul_f32 v134, v131, v123 :: v_dual_mul_f32 v136, v131, v120
	s_delay_alu instid0(VALU_DEP_1) | instskip(NEXT) | instid1(VALU_DEP_2)
	v_pk_fma_f32 v[134:135], v[130:131], v[96:97], v[134:135] op_sel_hi:[1,1,0] neg_lo:[0,0,1] neg_hi:[0,0,1]
	v_pk_fma_f32 v[130:131], v[130:131], v[96:97], v[136:137] op_sel:[1,0,0] op_sel_hi:[0,1,0]
	s_delay_alu instid0(VALU_DEP_1) | instskip(SKIP_1) | instid1(VALU_DEP_2)
	v_mov_b32_e32 v135, v131
	v_pk_mul_f32 v[130:131], v[132:133], v[122:123] op_sel:[0,1]
	v_pk_add_f32 v[8:9], v[8:9], v[134:135] neg_lo:[0,1] neg_hi:[0,1]
	s_delay_alu instid0(VALU_DEP_2) | instskip(SKIP_1) | instid1(VALU_DEP_1)
	v_pk_fma_f32 v[134:135], v[132:133], v[120:121], v[130:131] op_sel:[0,0,1] op_sel_hi:[1,1,0] neg_lo:[0,0,1] neg_hi:[0,0,1]
	v_pk_fma_f32 v[130:131], v[132:133], v[120:121], v[130:131] op_sel:[0,0,1] op_sel_hi:[1,0,0]
	v_mov_b32_e32 v135, v131
	ds_load_2addr_b64 v[130:133], v124 offset0:53 offset1:54
	v_pk_add_f32 v[6:7], v[6:7], v[134:135] neg_lo:[0,1] neg_hi:[0,1]
	s_wait_dscnt 0x0
	v_pk_mul_f32 v[134:135], v[130:131], v[122:123] op_sel:[0,1]
	s_delay_alu instid0(VALU_DEP_1) | instskip(SKIP_1) | instid1(VALU_DEP_1)
	v_pk_fma_f32 v[136:137], v[130:131], v[120:121], v[134:135] op_sel:[0,0,1] op_sel_hi:[1,1,0] neg_lo:[0,0,1] neg_hi:[0,0,1]
	v_pk_fma_f32 v[130:131], v[130:131], v[120:121], v[134:135] op_sel:[0,0,1] op_sel_hi:[1,0,0]
	v_mov_b32_e32 v137, v131
	v_pk_mul_f32 v[130:131], v[132:133], v[122:123] op_sel:[0,1]
	s_delay_alu instid0(VALU_DEP_2) | instskip(NEXT) | instid1(VALU_DEP_2)
	v_pk_add_f32 v[28:29], v[28:29], v[136:137] neg_lo:[0,1] neg_hi:[0,1]
	v_pk_fma_f32 v[134:135], v[132:133], v[120:121], v[130:131] op_sel:[0,0,1] op_sel_hi:[1,1,0] neg_lo:[0,0,1] neg_hi:[0,0,1]
	v_pk_fma_f32 v[130:131], v[132:133], v[120:121], v[130:131] op_sel:[0,0,1] op_sel_hi:[1,0,0]
	s_delay_alu instid0(VALU_DEP_1)
	v_mov_b32_e32 v135, v131
	ds_load_2addr_b64 v[130:133], v124 offset0:55 offset1:56
	v_pk_add_f32 v[18:19], v[18:19], v[134:135] neg_lo:[0,1] neg_hi:[0,1]
	s_wait_dscnt 0x0
	v_pk_mul_f32 v[134:135], v[130:131], v[122:123] op_sel:[0,1]
	v_pk_mul_f32 v[122:123], v[132:133], v[122:123] op_sel:[0,1]
	s_delay_alu instid0(VALU_DEP_2) | instskip(SKIP_1) | instid1(VALU_DEP_1)
	v_pk_fma_f32 v[136:137], v[130:131], v[120:121], v[134:135] op_sel:[0,0,1] op_sel_hi:[1,1,0] neg_lo:[0,0,1] neg_hi:[0,0,1]
	v_pk_fma_f32 v[130:131], v[130:131], v[120:121], v[134:135] op_sel:[0,0,1] op_sel_hi:[1,0,0]
	v_mov_b32_e32 v137, v131
	s_delay_alu instid0(VALU_DEP_4) | instskip(SKIP_1) | instid1(VALU_DEP_3)
	v_pk_fma_f32 v[130:131], v[132:133], v[120:121], v[122:123] op_sel:[0,0,1] op_sel_hi:[1,1,0] neg_lo:[0,0,1] neg_hi:[0,0,1]
	v_pk_fma_f32 v[120:121], v[132:133], v[120:121], v[122:123] op_sel:[0,0,1] op_sel_hi:[1,0,0]
	v_pk_add_f32 v[16:17], v[16:17], v[136:137] neg_lo:[0,1] neg_hi:[0,1]
	s_delay_alu instid0(VALU_DEP_2) | instskip(NEXT) | instid1(VALU_DEP_1)
	v_mov_b32_e32 v131, v121
	v_pk_add_f32 v[118:119], v[118:119], v[130:131] neg_lo:[0,1] neg_hi:[0,1]
.LBB112_272:
	s_or_b32 exec_lo, exec_lo, s0
	v_lshl_add_u32 v120, v128, 3, v124
	s_barrier_signal -1
	s_barrier_wait -1
	ds_store_b64 v120, v[92:93]
	s_wait_dscnt 0x0
	s_barrier_signal -1
	s_barrier_wait -1
	ds_load_b64 v[122:123], v124 offset:104
	v_mov_b32_e32 v120, 13
	s_cmp_lt_i32 s18, 15
	s_cbranch_scc1 .LBB112_275
; %bb.273:
	v_add3_u32 v121, v125, 0, 0x70
	v_mov_b32_e32 v120, 13
	s_mov_b32 s0, 14
.LBB112_274:                            ; =>This Inner Loop Header: Depth=1
	ds_load_b64 v[130:131], v121
	s_wait_dscnt 0x1
	v_cmp_gt_f32_e32 vcc_lo, 0, v122
	v_cndmask_b32_e64 v132, v122, -v122, vcc_lo
	v_cmp_gt_f32_e32 vcc_lo, 0, v123
	v_cndmask_b32_e64 v134, v123, -v123, vcc_lo
	s_wait_dscnt 0x0
	v_cmp_gt_f32_e32 vcc_lo, 0, v130
	v_cndmask_b32_e64 v133, v130, -v130, vcc_lo
	v_cmp_gt_f32_e32 vcc_lo, 0, v131
	v_cndmask_b32_e64 v135, v131, -v131, vcc_lo
	s_delay_alu instid0(VALU_DEP_1) | instskip(NEXT) | instid1(VALU_DEP_1)
	v_pk_add_f32 v[132:133], v[132:133], v[134:135]
	v_cmp_lt_f32_e32 vcc_lo, v132, v133
	v_dual_add_nc_u32 v121, 8, v121 :: v_dual_cndmask_b32 v123, v123, v131, vcc_lo
	v_cndmask_b32_e32 v122, v122, v130, vcc_lo
	v_cndmask_b32_e64 v120, v120, s0, vcc_lo
	s_add_co_i32 s0, s0, 1
	s_delay_alu instid0(SALU_CYCLE_1)
	s_cmp_lg_u32 s18, s0
	s_cbranch_scc1 .LBB112_274
.LBB112_275:
	s_wait_dscnt 0x0
	v_cmp_eq_f32_e32 vcc_lo, 0, v122
	v_cmp_eq_f32_e64 s0, 0, v123
	s_and_b32 s0, vcc_lo, s0
	s_delay_alu instid0(SALU_CYCLE_1) | instskip(NEXT) | instid1(SALU_CYCLE_1)
	s_and_saveexec_b32 s1, s0
	s_xor_b32 s0, exec_lo, s1
; %bb.276:
	v_cmp_ne_u32_e32 vcc_lo, 0, v126
	v_cndmask_b32_e32 v126, 14, v126, vcc_lo
; %bb.277:
	s_and_not1_saveexec_b32 s0, s0
	s_cbranch_execz .LBB112_283
; %bb.278:
	v_cmp_ngt_f32_e64 s1, |v122|, |v123|
	s_and_saveexec_b32 s12, s1
	s_delay_alu instid0(SALU_CYCLE_1)
	s_xor_b32 s1, exec_lo, s12
	s_cbranch_execz .LBB112_280
; %bb.279:
	v_div_scale_f32 v121, null, v123, v123, v122
	v_div_scale_f32 v131, vcc_lo, v122, v123, v122
	s_delay_alu instid0(VALU_DEP_2) | instskip(SKIP_1) | instid1(TRANS32_DEP_1)
	v_rcp_f32_e32 v129, v121
	v_nop
	v_fma_f32 v130, -v121, v129, 1.0
	s_delay_alu instid0(VALU_DEP_1) | instskip(NEXT) | instid1(VALU_DEP_1)
	v_fmac_f32_e32 v129, v130, v129
	v_mul_f32_e32 v130, v131, v129
	s_delay_alu instid0(VALU_DEP_1) | instskip(NEXT) | instid1(VALU_DEP_1)
	v_fma_f32 v132, -v121, v130, v131
	v_fmac_f32_e32 v130, v132, v129
	s_delay_alu instid0(VALU_DEP_1) | instskip(NEXT) | instid1(VALU_DEP_1)
	v_fma_f32 v121, -v121, v130, v131
	v_div_fmas_f32 v121, v121, v129, v130
	s_delay_alu instid0(VALU_DEP_1) | instskip(NEXT) | instid1(VALU_DEP_1)
	v_div_fixup_f32 v121, v121, v123, v122
	v_fmac_f32_e32 v123, v122, v121
	s_delay_alu instid0(VALU_DEP_1) | instskip(SKIP_1) | instid1(VALU_DEP_2)
	v_div_scale_f32 v122, null, v123, v123, 1.0
	v_div_scale_f32 v131, vcc_lo, 1.0, v123, 1.0
	v_rcp_f32_e32 v129, v122
	v_nop
	s_delay_alu instid0(TRANS32_DEP_1) | instskip(NEXT) | instid1(VALU_DEP_1)
	v_fma_f32 v130, -v122, v129, 1.0
	v_fmac_f32_e32 v129, v130, v129
	s_delay_alu instid0(VALU_DEP_1) | instskip(NEXT) | instid1(VALU_DEP_1)
	v_mul_f32_e32 v130, v131, v129
	v_fma_f32 v132, -v122, v130, v131
	s_delay_alu instid0(VALU_DEP_1) | instskip(NEXT) | instid1(VALU_DEP_1)
	v_fmac_f32_e32 v130, v132, v129
	v_fma_f32 v122, -v122, v130, v131
	s_delay_alu instid0(VALU_DEP_1) | instskip(NEXT) | instid1(VALU_DEP_1)
	v_div_fmas_f32 v122, v122, v129, v130
	v_div_fixup_f32 v123, v122, v123, 1.0
	s_delay_alu instid0(VALU_DEP_1)
	v_mul_f32_e32 v122, v121, v123
	v_xor_b32_e32 v123, 0x80000000, v123
.LBB112_280:
	s_and_not1_saveexec_b32 s1, s1
	s_cbranch_execz .LBB112_282
; %bb.281:
	s_delay_alu instid0(VALU_DEP_1) | instskip(SKIP_1) | instid1(VALU_DEP_2)
	v_div_scale_f32 v121, null, v122, v122, v123
	v_div_scale_f32 v131, vcc_lo, v123, v122, v123
	v_rcp_f32_e32 v129, v121
	v_nop
	s_delay_alu instid0(TRANS32_DEP_1) | instskip(NEXT) | instid1(VALU_DEP_1)
	v_fma_f32 v130, -v121, v129, 1.0
	v_fmac_f32_e32 v129, v130, v129
	s_delay_alu instid0(VALU_DEP_1) | instskip(NEXT) | instid1(VALU_DEP_1)
	v_mul_f32_e32 v130, v131, v129
	v_fma_f32 v132, -v121, v130, v131
	s_delay_alu instid0(VALU_DEP_1) | instskip(NEXT) | instid1(VALU_DEP_1)
	v_fmac_f32_e32 v130, v132, v129
	v_fma_f32 v121, -v121, v130, v131
	s_delay_alu instid0(VALU_DEP_1) | instskip(NEXT) | instid1(VALU_DEP_1)
	v_div_fmas_f32 v121, v121, v129, v130
	v_div_fixup_f32 v121, v121, v122, v123
	s_delay_alu instid0(VALU_DEP_1) | instskip(NEXT) | instid1(VALU_DEP_1)
	v_fmac_f32_e32 v122, v123, v121
	v_div_scale_f32 v123, null, v122, v122, 1.0
	s_delay_alu instid0(VALU_DEP_1) | instskip(SKIP_1) | instid1(TRANS32_DEP_1)
	v_rcp_f32_e32 v129, v123
	v_nop
	v_fma_f32 v130, -v123, v129, 1.0
	s_delay_alu instid0(VALU_DEP_1) | instskip(SKIP_1) | instid1(VALU_DEP_1)
	v_fmac_f32_e32 v129, v130, v129
	v_div_scale_f32 v130, vcc_lo, 1.0, v122, 1.0
	v_mul_f32_e32 v131, v130, v129
	s_delay_alu instid0(VALU_DEP_1) | instskip(NEXT) | instid1(VALU_DEP_1)
	v_fma_f32 v132, -v123, v131, v130
	v_fmac_f32_e32 v131, v132, v129
	s_delay_alu instid0(VALU_DEP_1) | instskip(NEXT) | instid1(VALU_DEP_1)
	v_fma_f32 v123, -v123, v131, v130
	v_div_fmas_f32 v123, v123, v129, v131
	s_delay_alu instid0(VALU_DEP_1) | instskip(NEXT) | instid1(VALU_DEP_1)
	v_div_fixup_f32 v122, v123, v122, 1.0
	v_mul_f32_e64 v123, v121, -v122
.LBB112_282:
	s_or_b32 exec_lo, exec_lo, s1
.LBB112_283:
	s_delay_alu instid0(SALU_CYCLE_1) | instskip(NEXT) | instid1(SALU_CYCLE_1)
	s_or_b32 exec_lo, exec_lo, s0
	s_mov_b32 s0, exec_lo
	v_cmpx_ne_u32_e64 v128, v120
	s_xor_b32 s0, exec_lo, s0
	s_cbranch_execz .LBB112_289
; %bb.284:
	s_mov_b32 s1, exec_lo
	v_cmpx_eq_u32_e32 13, v128
	s_cbranch_execz .LBB112_288
; %bb.285:
	v_cmp_ne_u32_e32 vcc_lo, 13, v120
	s_xor_b32 s12, s16, -1
	s_delay_alu instid0(SALU_CYCLE_1) | instskip(NEXT) | instid1(SALU_CYCLE_1)
	s_and_b32 s13, s12, vcc_lo
	s_and_saveexec_b32 s12, s13
	s_cbranch_execz .LBB112_287
; %bb.286:
	v_ashrrev_i32_e32 v121, 31, v120
	s_delay_alu instid0(VALU_DEP_1)
	v_lshl_add_u64 v[128:129], v[120:121], 2, v[4:5]
	s_clause 0x1
	global_load_b32 v121, v[128:129], off
	global_load_b32 v127, v[4:5], off offset:52
	s_wait_loadcnt 0x1
	global_store_b32 v[4:5], v121, off offset:52
	s_wait_loadcnt 0x0
	global_store_b32 v[128:129], v127, off
.LBB112_287:
	s_wait_xcnt 0x0
	s_or_b32 exec_lo, exec_lo, s12
	v_dual_mov_b32 v128, v120 :: v_dual_mov_b32 v127, v120
.LBB112_288:
	s_or_b32 exec_lo, exec_lo, s1
.LBB112_289:
	s_and_not1_saveexec_b32 s0, s0
	s_cbranch_execz .LBB112_291
; %bb.290:
	v_dual_mov_b32 v120, v94 :: v_dual_mov_b32 v121, v95
	v_dual_mov_b32 v128, v90 :: v_dual_mov_b32 v129, v91
	ds_store_2addr_b64 v124, v[120:121], v[128:129] offset0:14 offset1:15
	v_dual_mov_b32 v120, v84 :: v_dual_mov_b32 v121, v85
	v_dual_mov_b32 v128, v80 :: v_dual_mov_b32 v129, v81
	ds_store_2addr_b64 v124, v[120:121], v[128:129] offset0:16 offset1:17
	;; [unrolled: 3-line block ×21, first 2 shown]
	ds_store_b64 v124, v[118:119] offset:448
	v_mov_b32_e32 v128, 13
.LBB112_291:
	s_or_b32 exec_lo, exec_lo, s0
	s_delay_alu instid0(SALU_CYCLE_1)
	s_mov_b32 s0, exec_lo
	s_wait_storecnt_dscnt 0x0
	s_barrier_signal -1
	s_barrier_wait -1
	v_cmpx_lt_i32_e32 13, v128
	s_cbranch_execz .LBB112_293
; %bb.292:
	v_pk_mul_f32 v[130:131], v[122:123], v[92:93] op_sel:[1,1] op_sel_hi:[0,1]
	s_delay_alu instid0(VALU_DEP_1)
	v_pk_fma_f32 v[120:121], v[122:123], v[92:93], v[130:131] op_sel_hi:[1,0,1] neg_lo:[0,0,1] neg_hi:[0,0,1]
	v_pk_fma_f32 v[122:123], v[122:123], v[92:93], v[130:131] op_sel_hi:[1,0,1]
	ds_load_2addr_b64 v[130:133], v124 offset0:14 offset1:15
	v_dual_mov_b32 v92, v120 :: v_dual_mov_b32 v93, v123
	s_wait_dscnt 0x0
	v_pk_mul_f32 v[134:135], v[130:131], v[122:123] op_sel:[0,1]
	s_delay_alu instid0(VALU_DEP_1) | instskip(SKIP_1) | instid1(VALU_DEP_1)
	v_pk_fma_f32 v[136:137], v[130:131], v[120:121], v[134:135] op_sel:[0,0,1] op_sel_hi:[1,1,0] neg_lo:[0,0,1] neg_hi:[0,0,1]
	v_pk_fma_f32 v[130:131], v[130:131], v[120:121], v[134:135] op_sel:[0,0,1] op_sel_hi:[1,0,0]
	v_mov_b32_e32 v137, v131
	v_pk_mul_f32 v[130:131], v[132:133], v[122:123] op_sel:[0,1]
	s_delay_alu instid0(VALU_DEP_1) | instskip(SKIP_1) | instid1(VALU_DEP_1)
	v_pk_fma_f32 v[134:135], v[132:133], v[120:121], v[130:131] op_sel:[0,0,1] op_sel_hi:[1,1,0] neg_lo:[0,0,1] neg_hi:[0,0,1]
	v_pk_fma_f32 v[130:131], v[132:133], v[120:121], v[130:131] op_sel:[0,0,1] op_sel_hi:[1,0,0]
	v_mov_b32_e32 v135, v131
	ds_load_2addr_b64 v[130:133], v124 offset0:16 offset1:17
	v_pk_add_f32 v[94:95], v[94:95], v[136:137] neg_lo:[0,1] neg_hi:[0,1]
	v_pk_add_f32 v[90:91], v[90:91], v[134:135] neg_lo:[0,1] neg_hi:[0,1]
	s_wait_dscnt 0x0
	v_pk_mul_f32 v[134:135], v[130:131], v[122:123] op_sel:[0,1]
	s_delay_alu instid0(VALU_DEP_1) | instskip(SKIP_2) | instid1(VALU_DEP_2)
	v_pk_fma_f32 v[136:137], v[130:131], v[120:121], v[134:135] op_sel:[0,0,1] op_sel_hi:[1,1,0] neg_lo:[0,0,1] neg_hi:[0,0,1]
	v_pk_fma_f32 v[130:131], v[130:131], v[120:121], v[134:135] op_sel:[0,0,1] op_sel_hi:[1,0,0]
	v_dual_mul_f32 v134, v133, v123 :: v_dual_mov_b32 v130, v133
	v_dual_mov_b32 v137, v131 :: v_dual_mov_b32 v131, v132
	s_delay_alu instid0(VALU_DEP_2) | instskip(SKIP_1) | instid1(VALU_DEP_3)
	v_pk_fma_f32 v[134:135], v[132:133], v[92:93], v[134:135] op_sel_hi:[1,1,0] neg_lo:[0,0,1] neg_hi:[0,0,1]
	v_mul_f32_e32 v132, v133, v120
	v_pk_add_f32 v[84:85], v[84:85], v[136:137] neg_lo:[0,1] neg_hi:[0,1]
	s_delay_alu instid0(VALU_DEP_2) | instskip(NEXT) | instid1(VALU_DEP_1)
	v_pk_fma_f32 v[130:131], v[130:131], v[92:93], v[132:133] op_sel_hi:[1,1,0]
	v_mov_b32_e32 v135, v131
	ds_load_2addr_b64 v[130:133], v124 offset0:18 offset1:19
	v_pk_add_f32 v[80:81], v[80:81], v[134:135] neg_lo:[0,1] neg_hi:[0,1]
	s_wait_dscnt 0x0
	v_pk_mul_f32 v[134:135], v[130:131], v[122:123] op_sel:[0,1]
	s_delay_alu instid0(VALU_DEP_1) | instskip(SKIP_1) | instid1(VALU_DEP_1)
	v_pk_fma_f32 v[136:137], v[130:131], v[120:121], v[134:135] op_sel:[0,0,1] op_sel_hi:[1,1,0] neg_lo:[0,0,1] neg_hi:[0,0,1]
	v_pk_fma_f32 v[130:131], v[130:131], v[120:121], v[134:135] op_sel:[0,0,1] op_sel_hi:[1,0,0]
	v_mov_b32_e32 v137, v131
	v_pk_mul_f32 v[130:131], v[132:133], v[122:123] op_sel:[0,1]
	s_delay_alu instid0(VALU_DEP_1) | instskip(SKIP_1) | instid1(VALU_DEP_1)
	v_pk_fma_f32 v[134:135], v[132:133], v[120:121], v[130:131] op_sel:[0,0,1] op_sel_hi:[1,1,0] neg_lo:[0,0,1] neg_hi:[0,0,1]
	v_pk_fma_f32 v[130:131], v[132:133], v[120:121], v[130:131] op_sel:[0,0,1] op_sel_hi:[1,0,0]
	v_mov_b32_e32 v135, v131
	ds_load_2addr_b64 v[130:133], v124 offset0:20 offset1:21
	v_pk_add_f32 v[82:83], v[82:83], v[136:137] neg_lo:[0,1] neg_hi:[0,1]
	v_pk_add_f32 v[78:79], v[78:79], v[134:135] neg_lo:[0,1] neg_hi:[0,1]
	s_wait_dscnt 0x0
	v_pk_mul_f32 v[134:135], v[130:131], v[122:123] op_sel:[0,1]
	s_delay_alu instid0(VALU_DEP_1) | instskip(SKIP_1) | instid1(VALU_DEP_1)
	v_pk_fma_f32 v[136:137], v[130:131], v[120:121], v[134:135] op_sel:[0,0,1] op_sel_hi:[1,1,0] neg_lo:[0,0,1] neg_hi:[0,0,1]
	v_pk_fma_f32 v[130:131], v[130:131], v[120:121], v[134:135] op_sel:[0,0,1] op_sel_hi:[1,0,0]
	v_mov_b32_e32 v137, v131
	v_pk_mul_f32 v[130:131], v[132:133], v[122:123] op_sel:[0,1]
	s_delay_alu instid0(VALU_DEP_1) | instskip(SKIP_1) | instid1(VALU_DEP_1)
	v_pk_fma_f32 v[134:135], v[132:133], v[120:121], v[130:131] op_sel:[0,0,1] op_sel_hi:[1,1,0] neg_lo:[0,0,1] neg_hi:[0,0,1]
	v_pk_fma_f32 v[130:131], v[132:133], v[120:121], v[130:131] op_sel:[0,0,1] op_sel_hi:[1,0,0]
	v_mov_b32_e32 v135, v131
	ds_load_2addr_b64 v[130:133], v124 offset0:22 offset1:23
	v_pk_add_f32 v[76:77], v[76:77], v[136:137] neg_lo:[0,1] neg_hi:[0,1]
	v_pk_add_f32 v[72:73], v[72:73], v[134:135] neg_lo:[0,1] neg_hi:[0,1]
	s_wait_dscnt 0x0
	v_dual_mul_f32 v134, v131, v123 :: v_dual_mul_f32 v136, v131, v120
	s_delay_alu instid0(VALU_DEP_1) | instskip(NEXT) | instid1(VALU_DEP_2)
	v_pk_fma_f32 v[134:135], v[130:131], v[92:93], v[134:135] op_sel_hi:[1,1,0] neg_lo:[0,0,1] neg_hi:[0,0,1]
	v_pk_fma_f32 v[130:131], v[130:131], v[92:93], v[136:137] op_sel:[1,0,0] op_sel_hi:[0,1,0]
	s_delay_alu instid0(VALU_DEP_1) | instskip(SKIP_1) | instid1(VALU_DEP_2)
	v_mov_b32_e32 v135, v131
	v_pk_mul_f32 v[130:131], v[132:133], v[122:123] op_sel:[0,1]
	v_pk_add_f32 v[74:75], v[74:75], v[134:135] neg_lo:[0,1] neg_hi:[0,1]
	s_delay_alu instid0(VALU_DEP_2) | instskip(SKIP_1) | instid1(VALU_DEP_1)
	v_pk_fma_f32 v[134:135], v[132:133], v[120:121], v[130:131] op_sel:[0,0,1] op_sel_hi:[1,1,0] neg_lo:[0,0,1] neg_hi:[0,0,1]
	v_pk_fma_f32 v[130:131], v[132:133], v[120:121], v[130:131] op_sel:[0,0,1] op_sel_hi:[1,0,0]
	v_mov_b32_e32 v135, v131
	ds_load_2addr_b64 v[130:133], v124 offset0:24 offset1:25
	v_pk_add_f32 v[70:71], v[70:71], v[134:135] neg_lo:[0,1] neg_hi:[0,1]
	s_wait_dscnt 0x0
	v_pk_mul_f32 v[134:135], v[130:131], v[122:123] op_sel:[0,1]
	s_delay_alu instid0(VALU_DEP_1) | instskip(SKIP_1) | instid1(VALU_DEP_1)
	v_pk_fma_f32 v[136:137], v[130:131], v[120:121], v[134:135] op_sel:[0,0,1] op_sel_hi:[1,1,0] neg_lo:[0,0,1] neg_hi:[0,0,1]
	v_pk_fma_f32 v[130:131], v[130:131], v[120:121], v[134:135] op_sel:[0,0,1] op_sel_hi:[1,0,0]
	v_mov_b32_e32 v137, v131
	v_pk_mul_f32 v[130:131], v[132:133], v[122:123] op_sel:[0,1]
	s_delay_alu instid0(VALU_DEP_2) | instskip(NEXT) | instid1(VALU_DEP_2)
	v_pk_add_f32 v[68:69], v[68:69], v[136:137] neg_lo:[0,1] neg_hi:[0,1]
	v_pk_fma_f32 v[134:135], v[132:133], v[120:121], v[130:131] op_sel:[0,0,1] op_sel_hi:[1,1,0] neg_lo:[0,0,1] neg_hi:[0,0,1]
	v_pk_fma_f32 v[130:131], v[132:133], v[120:121], v[130:131] op_sel:[0,0,1] op_sel_hi:[1,0,0]
	s_delay_alu instid0(VALU_DEP_1) | instskip(SKIP_4) | instid1(VALU_DEP_1)
	v_mov_b32_e32 v135, v131
	ds_load_2addr_b64 v[130:133], v124 offset0:26 offset1:27
	v_pk_add_f32 v[64:65], v[64:65], v[134:135] neg_lo:[0,1] neg_hi:[0,1]
	s_wait_dscnt 0x0
	v_pk_mul_f32 v[134:135], v[130:131], v[122:123] op_sel:[0,1]
	v_pk_fma_f32 v[136:137], v[130:131], v[120:121], v[134:135] op_sel:[0,0,1] op_sel_hi:[1,1,0] neg_lo:[0,0,1] neg_hi:[0,0,1]
	v_pk_fma_f32 v[130:131], v[130:131], v[120:121], v[134:135] op_sel:[0,0,1] op_sel_hi:[1,0,0]
	v_dual_mul_f32 v134, v133, v123 :: v_dual_mov_b32 v130, v133
	s_delay_alu instid0(VALU_DEP_2) | instskip(NEXT) | instid1(VALU_DEP_2)
	v_dual_mov_b32 v137, v131 :: v_dual_mov_b32 v131, v132
	v_pk_fma_f32 v[134:135], v[132:133], v[92:93], v[134:135] op_sel_hi:[1,1,0] neg_lo:[0,0,1] neg_hi:[0,0,1]
	v_mul_f32_e32 v132, v133, v120
	s_delay_alu instid0(VALU_DEP_3) | instskip(NEXT) | instid1(VALU_DEP_2)
	v_pk_add_f32 v[66:67], v[66:67], v[136:137] neg_lo:[0,1] neg_hi:[0,1]
	v_pk_fma_f32 v[130:131], v[130:131], v[92:93], v[132:133] op_sel_hi:[1,1,0]
	s_delay_alu instid0(VALU_DEP_1) | instskip(SKIP_4) | instid1(VALU_DEP_1)
	v_mov_b32_e32 v135, v131
	ds_load_2addr_b64 v[130:133], v124 offset0:28 offset1:29
	v_pk_add_f32 v[62:63], v[62:63], v[134:135] neg_lo:[0,1] neg_hi:[0,1]
	s_wait_dscnt 0x0
	v_pk_mul_f32 v[134:135], v[130:131], v[122:123] op_sel:[0,1]
	v_pk_fma_f32 v[136:137], v[130:131], v[120:121], v[134:135] op_sel:[0,0,1] op_sel_hi:[1,1,0] neg_lo:[0,0,1] neg_hi:[0,0,1]
	v_pk_fma_f32 v[130:131], v[130:131], v[120:121], v[134:135] op_sel:[0,0,1] op_sel_hi:[1,0,0]
	s_delay_alu instid0(VALU_DEP_1) | instskip(SKIP_1) | instid1(VALU_DEP_1)
	v_mov_b32_e32 v137, v131
	v_pk_mul_f32 v[130:131], v[132:133], v[122:123] op_sel:[0,1]
	v_pk_fma_f32 v[134:135], v[132:133], v[120:121], v[130:131] op_sel:[0,0,1] op_sel_hi:[1,1,0] neg_lo:[0,0,1] neg_hi:[0,0,1]
	v_pk_fma_f32 v[130:131], v[132:133], v[120:121], v[130:131] op_sel:[0,0,1] op_sel_hi:[1,0,0]
	s_delay_alu instid0(VALU_DEP_1)
	v_mov_b32_e32 v135, v131
	ds_load_2addr_b64 v[130:133], v124 offset0:30 offset1:31
	v_pk_add_f32 v[60:61], v[60:61], v[136:137] neg_lo:[0,1] neg_hi:[0,1]
	v_pk_add_f32 v[56:57], v[56:57], v[134:135] neg_lo:[0,1] neg_hi:[0,1]
	s_wait_dscnt 0x0
	v_pk_mul_f32 v[134:135], v[130:131], v[122:123] op_sel:[0,1]
	s_delay_alu instid0(VALU_DEP_1) | instskip(SKIP_1) | instid1(VALU_DEP_1)
	v_pk_fma_f32 v[136:137], v[130:131], v[120:121], v[134:135] op_sel:[0,0,1] op_sel_hi:[1,1,0] neg_lo:[0,0,1] neg_hi:[0,0,1]
	v_pk_fma_f32 v[130:131], v[130:131], v[120:121], v[134:135] op_sel:[0,0,1] op_sel_hi:[1,0,0]
	v_mov_b32_e32 v137, v131
	v_pk_mul_f32 v[130:131], v[132:133], v[122:123] op_sel:[0,1]
	s_delay_alu instid0(VALU_DEP_1) | instskip(SKIP_1) | instid1(VALU_DEP_1)
	v_pk_fma_f32 v[134:135], v[132:133], v[120:121], v[130:131] op_sel:[0,0,1] op_sel_hi:[1,1,0] neg_lo:[0,0,1] neg_hi:[0,0,1]
	v_pk_fma_f32 v[130:131], v[132:133], v[120:121], v[130:131] op_sel:[0,0,1] op_sel_hi:[1,0,0]
	v_mov_b32_e32 v135, v131
	ds_load_2addr_b64 v[130:133], v124 offset0:32 offset1:33
	v_pk_add_f32 v[58:59], v[58:59], v[136:137] neg_lo:[0,1] neg_hi:[0,1]
	v_pk_add_f32 v[54:55], v[54:55], v[134:135] neg_lo:[0,1] neg_hi:[0,1]
	s_wait_dscnt 0x0
	v_dual_mul_f32 v134, v131, v123 :: v_dual_mul_f32 v136, v131, v120
	s_delay_alu instid0(VALU_DEP_1) | instskip(NEXT) | instid1(VALU_DEP_2)
	v_pk_fma_f32 v[134:135], v[130:131], v[92:93], v[134:135] op_sel_hi:[1,1,0] neg_lo:[0,0,1] neg_hi:[0,0,1]
	v_pk_fma_f32 v[130:131], v[130:131], v[92:93], v[136:137] op_sel:[1,0,0] op_sel_hi:[0,1,0]
	s_delay_alu instid0(VALU_DEP_1) | instskip(SKIP_1) | instid1(VALU_DEP_2)
	v_mov_b32_e32 v135, v131
	v_pk_mul_f32 v[130:131], v[132:133], v[122:123] op_sel:[0,1]
	v_pk_add_f32 v[52:53], v[52:53], v[134:135] neg_lo:[0,1] neg_hi:[0,1]
	s_delay_alu instid0(VALU_DEP_2) | instskip(SKIP_1) | instid1(VALU_DEP_1)
	v_pk_fma_f32 v[134:135], v[132:133], v[120:121], v[130:131] op_sel:[0,0,1] op_sel_hi:[1,1,0] neg_lo:[0,0,1] neg_hi:[0,0,1]
	v_pk_fma_f32 v[130:131], v[132:133], v[120:121], v[130:131] op_sel:[0,0,1] op_sel_hi:[1,0,0]
	v_mov_b32_e32 v135, v131
	ds_load_2addr_b64 v[130:133], v124 offset0:34 offset1:35
	v_pk_add_f32 v[48:49], v[48:49], v[134:135] neg_lo:[0,1] neg_hi:[0,1]
	s_wait_dscnt 0x0
	v_pk_mul_f32 v[134:135], v[130:131], v[122:123] op_sel:[0,1]
	s_delay_alu instid0(VALU_DEP_1) | instskip(SKIP_1) | instid1(VALU_DEP_1)
	v_pk_fma_f32 v[136:137], v[130:131], v[120:121], v[134:135] op_sel:[0,0,1] op_sel_hi:[1,1,0] neg_lo:[0,0,1] neg_hi:[0,0,1]
	v_pk_fma_f32 v[130:131], v[130:131], v[120:121], v[134:135] op_sel:[0,0,1] op_sel_hi:[1,0,0]
	v_mov_b32_e32 v137, v131
	v_pk_mul_f32 v[130:131], v[132:133], v[122:123] op_sel:[0,1]
	s_delay_alu instid0(VALU_DEP_2) | instskip(NEXT) | instid1(VALU_DEP_2)
	v_pk_add_f32 v[50:51], v[50:51], v[136:137] neg_lo:[0,1] neg_hi:[0,1]
	v_pk_fma_f32 v[134:135], v[132:133], v[120:121], v[130:131] op_sel:[0,0,1] op_sel_hi:[1,1,0] neg_lo:[0,0,1] neg_hi:[0,0,1]
	v_pk_fma_f32 v[130:131], v[132:133], v[120:121], v[130:131] op_sel:[0,0,1] op_sel_hi:[1,0,0]
	s_delay_alu instid0(VALU_DEP_1) | instskip(SKIP_4) | instid1(VALU_DEP_1)
	v_mov_b32_e32 v135, v131
	ds_load_2addr_b64 v[130:133], v124 offset0:36 offset1:37
	v_pk_add_f32 v[46:47], v[46:47], v[134:135] neg_lo:[0,1] neg_hi:[0,1]
	s_wait_dscnt 0x0
	v_pk_mul_f32 v[134:135], v[130:131], v[122:123] op_sel:[0,1]
	v_pk_fma_f32 v[136:137], v[130:131], v[120:121], v[134:135] op_sel:[0,0,1] op_sel_hi:[1,1,0] neg_lo:[0,0,1] neg_hi:[0,0,1]
	v_pk_fma_f32 v[130:131], v[130:131], v[120:121], v[134:135] op_sel:[0,0,1] op_sel_hi:[1,0,0]
	v_dual_mul_f32 v134, v133, v123 :: v_dual_mov_b32 v130, v133
	s_delay_alu instid0(VALU_DEP_2) | instskip(NEXT) | instid1(VALU_DEP_2)
	v_dual_mov_b32 v137, v131 :: v_dual_mov_b32 v131, v132
	v_pk_fma_f32 v[134:135], v[132:133], v[92:93], v[134:135] op_sel_hi:[1,1,0] neg_lo:[0,0,1] neg_hi:[0,0,1]
	v_mul_f32_e32 v132, v133, v120
	s_delay_alu instid0(VALU_DEP_3) | instskip(NEXT) | instid1(VALU_DEP_2)
	v_pk_add_f32 v[44:45], v[44:45], v[136:137] neg_lo:[0,1] neg_hi:[0,1]
	v_pk_fma_f32 v[130:131], v[130:131], v[92:93], v[132:133] op_sel_hi:[1,1,0]
	s_delay_alu instid0(VALU_DEP_1) | instskip(SKIP_4) | instid1(VALU_DEP_1)
	v_mov_b32_e32 v135, v131
	ds_load_2addr_b64 v[130:133], v124 offset0:38 offset1:39
	v_pk_add_f32 v[40:41], v[40:41], v[134:135] neg_lo:[0,1] neg_hi:[0,1]
	s_wait_dscnt 0x0
	v_pk_mul_f32 v[134:135], v[130:131], v[122:123] op_sel:[0,1]
	v_pk_fma_f32 v[136:137], v[130:131], v[120:121], v[134:135] op_sel:[0,0,1] op_sel_hi:[1,1,0] neg_lo:[0,0,1] neg_hi:[0,0,1]
	v_pk_fma_f32 v[130:131], v[130:131], v[120:121], v[134:135] op_sel:[0,0,1] op_sel_hi:[1,0,0]
	s_delay_alu instid0(VALU_DEP_1) | instskip(SKIP_1) | instid1(VALU_DEP_1)
	v_mov_b32_e32 v137, v131
	v_pk_mul_f32 v[130:131], v[132:133], v[122:123] op_sel:[0,1]
	v_pk_fma_f32 v[134:135], v[132:133], v[120:121], v[130:131] op_sel:[0,0,1] op_sel_hi:[1,1,0] neg_lo:[0,0,1] neg_hi:[0,0,1]
	v_pk_fma_f32 v[130:131], v[132:133], v[120:121], v[130:131] op_sel:[0,0,1] op_sel_hi:[1,0,0]
	s_delay_alu instid0(VALU_DEP_1)
	v_mov_b32_e32 v135, v131
	ds_load_2addr_b64 v[130:133], v124 offset0:40 offset1:41
	v_pk_add_f32 v[42:43], v[42:43], v[136:137] neg_lo:[0,1] neg_hi:[0,1]
	v_pk_add_f32 v[38:39], v[38:39], v[134:135] neg_lo:[0,1] neg_hi:[0,1]
	s_wait_dscnt 0x0
	v_pk_mul_f32 v[134:135], v[130:131], v[122:123] op_sel:[0,1]
	s_delay_alu instid0(VALU_DEP_1) | instskip(SKIP_1) | instid1(VALU_DEP_1)
	v_pk_fma_f32 v[136:137], v[130:131], v[120:121], v[134:135] op_sel:[0,0,1] op_sel_hi:[1,1,0] neg_lo:[0,0,1] neg_hi:[0,0,1]
	v_pk_fma_f32 v[130:131], v[130:131], v[120:121], v[134:135] op_sel:[0,0,1] op_sel_hi:[1,0,0]
	v_mov_b32_e32 v137, v131
	v_pk_mul_f32 v[130:131], v[132:133], v[122:123] op_sel:[0,1]
	s_delay_alu instid0(VALU_DEP_1) | instskip(SKIP_1) | instid1(VALU_DEP_1)
	v_pk_fma_f32 v[134:135], v[132:133], v[120:121], v[130:131] op_sel:[0,0,1] op_sel_hi:[1,1,0] neg_lo:[0,0,1] neg_hi:[0,0,1]
	v_pk_fma_f32 v[130:131], v[132:133], v[120:121], v[130:131] op_sel:[0,0,1] op_sel_hi:[1,0,0]
	v_mov_b32_e32 v135, v131
	ds_load_2addr_b64 v[130:133], v124 offset0:42 offset1:43
	v_pk_add_f32 v[36:37], v[36:37], v[136:137] neg_lo:[0,1] neg_hi:[0,1]
	v_pk_add_f32 v[32:33], v[32:33], v[134:135] neg_lo:[0,1] neg_hi:[0,1]
	s_wait_dscnt 0x0
	v_dual_mul_f32 v134, v131, v123 :: v_dual_mul_f32 v136, v131, v120
	s_delay_alu instid0(VALU_DEP_1) | instskip(NEXT) | instid1(VALU_DEP_2)
	v_pk_fma_f32 v[134:135], v[130:131], v[92:93], v[134:135] op_sel_hi:[1,1,0] neg_lo:[0,0,1] neg_hi:[0,0,1]
	v_pk_fma_f32 v[130:131], v[130:131], v[92:93], v[136:137] op_sel:[1,0,0] op_sel_hi:[0,1,0]
	s_delay_alu instid0(VALU_DEP_1) | instskip(SKIP_1) | instid1(VALU_DEP_2)
	v_mov_b32_e32 v135, v131
	v_pk_mul_f32 v[130:131], v[132:133], v[122:123] op_sel:[0,1]
	v_pk_add_f32 v[34:35], v[34:35], v[134:135] neg_lo:[0,1] neg_hi:[0,1]
	s_delay_alu instid0(VALU_DEP_2) | instskip(SKIP_1) | instid1(VALU_DEP_1)
	v_pk_fma_f32 v[134:135], v[132:133], v[120:121], v[130:131] op_sel:[0,0,1] op_sel_hi:[1,1,0] neg_lo:[0,0,1] neg_hi:[0,0,1]
	v_pk_fma_f32 v[130:131], v[132:133], v[120:121], v[130:131] op_sel:[0,0,1] op_sel_hi:[1,0,0]
	v_mov_b32_e32 v135, v131
	ds_load_2addr_b64 v[130:133], v124 offset0:44 offset1:45
	v_pk_add_f32 v[30:31], v[30:31], v[134:135] neg_lo:[0,1] neg_hi:[0,1]
	s_wait_dscnt 0x0
	v_pk_mul_f32 v[134:135], v[130:131], v[122:123] op_sel:[0,1]
	s_delay_alu instid0(VALU_DEP_1) | instskip(SKIP_1) | instid1(VALU_DEP_1)
	v_pk_fma_f32 v[136:137], v[130:131], v[120:121], v[134:135] op_sel:[0,0,1] op_sel_hi:[1,1,0] neg_lo:[0,0,1] neg_hi:[0,0,1]
	v_pk_fma_f32 v[130:131], v[130:131], v[120:121], v[134:135] op_sel:[0,0,1] op_sel_hi:[1,0,0]
	v_mov_b32_e32 v137, v131
	v_pk_mul_f32 v[130:131], v[132:133], v[122:123] op_sel:[0,1]
	s_delay_alu instid0(VALU_DEP_2) | instskip(NEXT) | instid1(VALU_DEP_2)
	v_pk_add_f32 v[26:27], v[26:27], v[136:137] neg_lo:[0,1] neg_hi:[0,1]
	v_pk_fma_f32 v[134:135], v[132:133], v[120:121], v[130:131] op_sel:[0,0,1] op_sel_hi:[1,1,0] neg_lo:[0,0,1] neg_hi:[0,0,1]
	v_pk_fma_f32 v[130:131], v[132:133], v[120:121], v[130:131] op_sel:[0,0,1] op_sel_hi:[1,0,0]
	s_delay_alu instid0(VALU_DEP_1) | instskip(SKIP_4) | instid1(VALU_DEP_1)
	v_mov_b32_e32 v135, v131
	ds_load_2addr_b64 v[130:133], v124 offset0:46 offset1:47
	v_pk_add_f32 v[22:23], v[22:23], v[134:135] neg_lo:[0,1] neg_hi:[0,1]
	s_wait_dscnt 0x0
	v_pk_mul_f32 v[134:135], v[130:131], v[122:123] op_sel:[0,1]
	v_pk_fma_f32 v[136:137], v[130:131], v[120:121], v[134:135] op_sel:[0,0,1] op_sel_hi:[1,1,0] neg_lo:[0,0,1] neg_hi:[0,0,1]
	v_pk_fma_f32 v[130:131], v[130:131], v[120:121], v[134:135] op_sel:[0,0,1] op_sel_hi:[1,0,0]
	v_dual_mul_f32 v134, v133, v123 :: v_dual_mov_b32 v130, v133
	s_delay_alu instid0(VALU_DEP_2) | instskip(NEXT) | instid1(VALU_DEP_2)
	v_dual_mov_b32 v137, v131 :: v_dual_mov_b32 v131, v132
	v_pk_fma_f32 v[134:135], v[132:133], v[92:93], v[134:135] op_sel_hi:[1,1,0] neg_lo:[0,0,1] neg_hi:[0,0,1]
	v_mul_f32_e32 v132, v133, v120
	s_delay_alu instid0(VALU_DEP_3) | instskip(NEXT) | instid1(VALU_DEP_2)
	v_pk_add_f32 v[24:25], v[24:25], v[136:137] neg_lo:[0,1] neg_hi:[0,1]
	v_pk_fma_f32 v[130:131], v[130:131], v[92:93], v[132:133] op_sel_hi:[1,1,0]
	s_delay_alu instid0(VALU_DEP_1) | instskip(SKIP_4) | instid1(VALU_DEP_1)
	v_mov_b32_e32 v135, v131
	ds_load_2addr_b64 v[130:133], v124 offset0:48 offset1:49
	v_pk_add_f32 v[20:21], v[20:21], v[134:135] neg_lo:[0,1] neg_hi:[0,1]
	s_wait_dscnt 0x0
	v_pk_mul_f32 v[134:135], v[130:131], v[122:123] op_sel:[0,1]
	v_pk_fma_f32 v[136:137], v[130:131], v[120:121], v[134:135] op_sel:[0,0,1] op_sel_hi:[1,1,0] neg_lo:[0,0,1] neg_hi:[0,0,1]
	v_pk_fma_f32 v[130:131], v[130:131], v[120:121], v[134:135] op_sel:[0,0,1] op_sel_hi:[1,0,0]
	s_delay_alu instid0(VALU_DEP_1) | instskip(SKIP_1) | instid1(VALU_DEP_1)
	v_mov_b32_e32 v137, v131
	v_pk_mul_f32 v[130:131], v[132:133], v[122:123] op_sel:[0,1]
	v_pk_fma_f32 v[134:135], v[132:133], v[120:121], v[130:131] op_sel:[0,0,1] op_sel_hi:[1,1,0] neg_lo:[0,0,1] neg_hi:[0,0,1]
	v_pk_fma_f32 v[130:131], v[132:133], v[120:121], v[130:131] op_sel:[0,0,1] op_sel_hi:[1,0,0]
	s_delay_alu instid0(VALU_DEP_1)
	v_mov_b32_e32 v135, v131
	ds_load_2addr_b64 v[130:133], v124 offset0:50 offset1:51
	v_pk_add_f32 v[14:15], v[14:15], v[136:137] neg_lo:[0,1] neg_hi:[0,1]
	v_pk_add_f32 v[10:11], v[10:11], v[134:135] neg_lo:[0,1] neg_hi:[0,1]
	s_wait_dscnt 0x0
	v_pk_mul_f32 v[134:135], v[130:131], v[122:123] op_sel:[0,1]
	s_delay_alu instid0(VALU_DEP_1) | instskip(SKIP_1) | instid1(VALU_DEP_1)
	v_pk_fma_f32 v[136:137], v[130:131], v[120:121], v[134:135] op_sel:[0,0,1] op_sel_hi:[1,1,0] neg_lo:[0,0,1] neg_hi:[0,0,1]
	v_pk_fma_f32 v[130:131], v[130:131], v[120:121], v[134:135] op_sel:[0,0,1] op_sel_hi:[1,0,0]
	v_mov_b32_e32 v137, v131
	v_pk_mul_f32 v[130:131], v[132:133], v[122:123] op_sel:[0,1]
	s_delay_alu instid0(VALU_DEP_1) | instskip(SKIP_1) | instid1(VALU_DEP_1)
	v_pk_fma_f32 v[134:135], v[132:133], v[120:121], v[130:131] op_sel:[0,0,1] op_sel_hi:[1,1,0] neg_lo:[0,0,1] neg_hi:[0,0,1]
	v_pk_fma_f32 v[130:131], v[132:133], v[120:121], v[130:131] op_sel:[0,0,1] op_sel_hi:[1,0,0]
	v_mov_b32_e32 v135, v131
	ds_load_2addr_b64 v[130:133], v124 offset0:52 offset1:53
	v_pk_add_f32 v[12:13], v[12:13], v[136:137] neg_lo:[0,1] neg_hi:[0,1]
	v_pk_add_f32 v[8:9], v[8:9], v[134:135] neg_lo:[0,1] neg_hi:[0,1]
	s_wait_dscnt 0x0
	v_dual_mul_f32 v134, v131, v123 :: v_dual_mul_f32 v136, v131, v120
	s_delay_alu instid0(VALU_DEP_1) | instskip(NEXT) | instid1(VALU_DEP_2)
	v_pk_fma_f32 v[134:135], v[130:131], v[92:93], v[134:135] op_sel_hi:[1,1,0] neg_lo:[0,0,1] neg_hi:[0,0,1]
	v_pk_fma_f32 v[130:131], v[130:131], v[92:93], v[136:137] op_sel:[1,0,0] op_sel_hi:[0,1,0]
	s_delay_alu instid0(VALU_DEP_1) | instskip(SKIP_1) | instid1(VALU_DEP_2)
	v_mov_b32_e32 v135, v131
	v_pk_mul_f32 v[130:131], v[132:133], v[122:123] op_sel:[0,1]
	v_pk_add_f32 v[6:7], v[6:7], v[134:135] neg_lo:[0,1] neg_hi:[0,1]
	s_delay_alu instid0(VALU_DEP_2) | instskip(SKIP_1) | instid1(VALU_DEP_1)
	v_pk_fma_f32 v[134:135], v[132:133], v[120:121], v[130:131] op_sel:[0,0,1] op_sel_hi:[1,1,0] neg_lo:[0,0,1] neg_hi:[0,0,1]
	v_pk_fma_f32 v[130:131], v[132:133], v[120:121], v[130:131] op_sel:[0,0,1] op_sel_hi:[1,0,0]
	v_mov_b32_e32 v135, v131
	ds_load_2addr_b64 v[130:133], v124 offset0:54 offset1:55
	v_pk_add_f32 v[28:29], v[28:29], v[134:135] neg_lo:[0,1] neg_hi:[0,1]
	s_wait_dscnt 0x0
	v_pk_mul_f32 v[134:135], v[130:131], v[122:123] op_sel:[0,1]
	s_delay_alu instid0(VALU_DEP_1) | instskip(SKIP_1) | instid1(VALU_DEP_1)
	v_pk_fma_f32 v[136:137], v[130:131], v[120:121], v[134:135] op_sel:[0,0,1] op_sel_hi:[1,1,0] neg_lo:[0,0,1] neg_hi:[0,0,1]
	v_pk_fma_f32 v[130:131], v[130:131], v[120:121], v[134:135] op_sel:[0,0,1] op_sel_hi:[1,0,0]
	v_mov_b32_e32 v137, v131
	v_pk_mul_f32 v[130:131], v[132:133], v[122:123] op_sel:[0,1]
	s_delay_alu instid0(VALU_DEP_2) | instskip(NEXT) | instid1(VALU_DEP_2)
	v_pk_add_f32 v[18:19], v[18:19], v[136:137] neg_lo:[0,1] neg_hi:[0,1]
	v_pk_fma_f32 v[134:135], v[132:133], v[120:121], v[130:131] op_sel:[0,0,1] op_sel_hi:[1,1,0] neg_lo:[0,0,1] neg_hi:[0,0,1]
	v_pk_fma_f32 v[130:131], v[132:133], v[120:121], v[130:131] op_sel:[0,0,1] op_sel_hi:[1,0,0]
	s_delay_alu instid0(VALU_DEP_1) | instskip(SKIP_4) | instid1(VALU_DEP_1)
	v_mov_b32_e32 v135, v131
	ds_load_b64 v[130:131], v124 offset:448
	v_pk_add_f32 v[16:17], v[16:17], v[134:135] neg_lo:[0,1] neg_hi:[0,1]
	s_wait_dscnt 0x0
	v_pk_mul_f32 v[122:123], v[130:131], v[122:123] op_sel:[0,1]
	v_pk_fma_f32 v[132:133], v[130:131], v[120:121], v[122:123] op_sel:[0,0,1] op_sel_hi:[1,1,0] neg_lo:[0,0,1] neg_hi:[0,0,1]
	v_pk_fma_f32 v[120:121], v[130:131], v[120:121], v[122:123] op_sel:[0,0,1] op_sel_hi:[1,0,0]
	s_delay_alu instid0(VALU_DEP_1) | instskip(NEXT) | instid1(VALU_DEP_1)
	v_mov_b32_e32 v133, v121
	v_pk_add_f32 v[118:119], v[118:119], v[132:133] neg_lo:[0,1] neg_hi:[0,1]
.LBB112_293:
	s_or_b32 exec_lo, exec_lo, s0
	v_lshl_add_u32 v120, v128, 3, v124
	s_barrier_signal -1
	s_barrier_wait -1
	ds_store_b64 v120, v[94:95]
	s_wait_dscnt 0x0
	s_barrier_signal -1
	s_barrier_wait -1
	ds_load_b64 v[122:123], v124 offset:112
	v_mov_b32_e32 v120, 14
	s_cmp_lt_i32 s18, 16
	s_cbranch_scc1 .LBB112_296
; %bb.294:
	v_add3_u32 v121, v125, 0, 0x78
	v_mov_b32_e32 v120, 14
	s_mov_b32 s0, 15
.LBB112_295:                            ; =>This Inner Loop Header: Depth=1
	ds_load_b64 v[130:131], v121
	s_wait_dscnt 0x1
	v_cmp_gt_f32_e32 vcc_lo, 0, v122
	v_cndmask_b32_e64 v132, v122, -v122, vcc_lo
	v_cmp_gt_f32_e32 vcc_lo, 0, v123
	v_cndmask_b32_e64 v134, v123, -v123, vcc_lo
	s_wait_dscnt 0x0
	v_cmp_gt_f32_e32 vcc_lo, 0, v130
	v_cndmask_b32_e64 v133, v130, -v130, vcc_lo
	v_cmp_gt_f32_e32 vcc_lo, 0, v131
	v_cndmask_b32_e64 v135, v131, -v131, vcc_lo
	s_delay_alu instid0(VALU_DEP_1) | instskip(NEXT) | instid1(VALU_DEP_1)
	v_pk_add_f32 v[132:133], v[132:133], v[134:135]
	v_cmp_lt_f32_e32 vcc_lo, v132, v133
	v_dual_add_nc_u32 v121, 8, v121 :: v_dual_cndmask_b32 v123, v123, v131, vcc_lo
	v_cndmask_b32_e32 v122, v122, v130, vcc_lo
	v_cndmask_b32_e64 v120, v120, s0, vcc_lo
	s_add_co_i32 s0, s0, 1
	s_delay_alu instid0(SALU_CYCLE_1)
	s_cmp_lg_u32 s18, s0
	s_cbranch_scc1 .LBB112_295
.LBB112_296:
	s_wait_dscnt 0x0
	v_cmp_eq_f32_e32 vcc_lo, 0, v122
	v_cmp_eq_f32_e64 s0, 0, v123
	s_and_b32 s0, vcc_lo, s0
	s_delay_alu instid0(SALU_CYCLE_1) | instskip(NEXT) | instid1(SALU_CYCLE_1)
	s_and_saveexec_b32 s1, s0
	s_xor_b32 s0, exec_lo, s1
; %bb.297:
	v_cmp_ne_u32_e32 vcc_lo, 0, v126
	v_cndmask_b32_e32 v126, 15, v126, vcc_lo
; %bb.298:
	s_and_not1_saveexec_b32 s0, s0
	s_cbranch_execz .LBB112_304
; %bb.299:
	v_cmp_ngt_f32_e64 s1, |v122|, |v123|
	s_and_saveexec_b32 s12, s1
	s_delay_alu instid0(SALU_CYCLE_1)
	s_xor_b32 s1, exec_lo, s12
	s_cbranch_execz .LBB112_301
; %bb.300:
	v_div_scale_f32 v121, null, v123, v123, v122
	v_div_scale_f32 v131, vcc_lo, v122, v123, v122
	s_delay_alu instid0(VALU_DEP_2) | instskip(SKIP_1) | instid1(TRANS32_DEP_1)
	v_rcp_f32_e32 v129, v121
	v_nop
	v_fma_f32 v130, -v121, v129, 1.0
	s_delay_alu instid0(VALU_DEP_1) | instskip(NEXT) | instid1(VALU_DEP_1)
	v_fmac_f32_e32 v129, v130, v129
	v_mul_f32_e32 v130, v131, v129
	s_delay_alu instid0(VALU_DEP_1) | instskip(NEXT) | instid1(VALU_DEP_1)
	v_fma_f32 v132, -v121, v130, v131
	v_fmac_f32_e32 v130, v132, v129
	s_delay_alu instid0(VALU_DEP_1) | instskip(NEXT) | instid1(VALU_DEP_1)
	v_fma_f32 v121, -v121, v130, v131
	v_div_fmas_f32 v121, v121, v129, v130
	s_delay_alu instid0(VALU_DEP_1) | instskip(NEXT) | instid1(VALU_DEP_1)
	v_div_fixup_f32 v121, v121, v123, v122
	v_fmac_f32_e32 v123, v122, v121
	s_delay_alu instid0(VALU_DEP_1) | instskip(SKIP_1) | instid1(VALU_DEP_2)
	v_div_scale_f32 v122, null, v123, v123, 1.0
	v_div_scale_f32 v131, vcc_lo, 1.0, v123, 1.0
	v_rcp_f32_e32 v129, v122
	v_nop
	s_delay_alu instid0(TRANS32_DEP_1) | instskip(NEXT) | instid1(VALU_DEP_1)
	v_fma_f32 v130, -v122, v129, 1.0
	v_fmac_f32_e32 v129, v130, v129
	s_delay_alu instid0(VALU_DEP_1) | instskip(NEXT) | instid1(VALU_DEP_1)
	v_mul_f32_e32 v130, v131, v129
	v_fma_f32 v132, -v122, v130, v131
	s_delay_alu instid0(VALU_DEP_1) | instskip(NEXT) | instid1(VALU_DEP_1)
	v_fmac_f32_e32 v130, v132, v129
	v_fma_f32 v122, -v122, v130, v131
	s_delay_alu instid0(VALU_DEP_1) | instskip(NEXT) | instid1(VALU_DEP_1)
	v_div_fmas_f32 v122, v122, v129, v130
	v_div_fixup_f32 v123, v122, v123, 1.0
	s_delay_alu instid0(VALU_DEP_1)
	v_mul_f32_e32 v122, v121, v123
	v_xor_b32_e32 v123, 0x80000000, v123
.LBB112_301:
	s_and_not1_saveexec_b32 s1, s1
	s_cbranch_execz .LBB112_303
; %bb.302:
	s_delay_alu instid0(VALU_DEP_1) | instskip(SKIP_1) | instid1(VALU_DEP_2)
	v_div_scale_f32 v121, null, v122, v122, v123
	v_div_scale_f32 v131, vcc_lo, v123, v122, v123
	v_rcp_f32_e32 v129, v121
	v_nop
	s_delay_alu instid0(TRANS32_DEP_1) | instskip(NEXT) | instid1(VALU_DEP_1)
	v_fma_f32 v130, -v121, v129, 1.0
	v_fmac_f32_e32 v129, v130, v129
	s_delay_alu instid0(VALU_DEP_1) | instskip(NEXT) | instid1(VALU_DEP_1)
	v_mul_f32_e32 v130, v131, v129
	v_fma_f32 v132, -v121, v130, v131
	s_delay_alu instid0(VALU_DEP_1) | instskip(NEXT) | instid1(VALU_DEP_1)
	v_fmac_f32_e32 v130, v132, v129
	v_fma_f32 v121, -v121, v130, v131
	s_delay_alu instid0(VALU_DEP_1) | instskip(NEXT) | instid1(VALU_DEP_1)
	v_div_fmas_f32 v121, v121, v129, v130
	v_div_fixup_f32 v121, v121, v122, v123
	s_delay_alu instid0(VALU_DEP_1) | instskip(NEXT) | instid1(VALU_DEP_1)
	v_fmac_f32_e32 v122, v123, v121
	v_div_scale_f32 v123, null, v122, v122, 1.0
	s_delay_alu instid0(VALU_DEP_1) | instskip(SKIP_1) | instid1(TRANS32_DEP_1)
	v_rcp_f32_e32 v129, v123
	v_nop
	v_fma_f32 v130, -v123, v129, 1.0
	s_delay_alu instid0(VALU_DEP_1) | instskip(SKIP_1) | instid1(VALU_DEP_1)
	v_fmac_f32_e32 v129, v130, v129
	v_div_scale_f32 v130, vcc_lo, 1.0, v122, 1.0
	v_mul_f32_e32 v131, v130, v129
	s_delay_alu instid0(VALU_DEP_1) | instskip(NEXT) | instid1(VALU_DEP_1)
	v_fma_f32 v132, -v123, v131, v130
	v_fmac_f32_e32 v131, v132, v129
	s_delay_alu instid0(VALU_DEP_1) | instskip(NEXT) | instid1(VALU_DEP_1)
	v_fma_f32 v123, -v123, v131, v130
	v_div_fmas_f32 v123, v123, v129, v131
	s_delay_alu instid0(VALU_DEP_1) | instskip(NEXT) | instid1(VALU_DEP_1)
	v_div_fixup_f32 v122, v123, v122, 1.0
	v_mul_f32_e64 v123, v121, -v122
.LBB112_303:
	s_or_b32 exec_lo, exec_lo, s1
.LBB112_304:
	s_delay_alu instid0(SALU_CYCLE_1) | instskip(NEXT) | instid1(SALU_CYCLE_1)
	s_or_b32 exec_lo, exec_lo, s0
	s_mov_b32 s0, exec_lo
	v_cmpx_ne_u32_e64 v128, v120
	s_xor_b32 s0, exec_lo, s0
	s_cbranch_execz .LBB112_310
; %bb.305:
	s_mov_b32 s1, exec_lo
	v_cmpx_eq_u32_e32 14, v128
	s_cbranch_execz .LBB112_309
; %bb.306:
	v_cmp_ne_u32_e32 vcc_lo, 14, v120
	s_xor_b32 s12, s16, -1
	s_delay_alu instid0(SALU_CYCLE_1) | instskip(NEXT) | instid1(SALU_CYCLE_1)
	s_and_b32 s13, s12, vcc_lo
	s_and_saveexec_b32 s12, s13
	s_cbranch_execz .LBB112_308
; %bb.307:
	v_ashrrev_i32_e32 v121, 31, v120
	s_delay_alu instid0(VALU_DEP_1)
	v_lshl_add_u64 v[128:129], v[120:121], 2, v[4:5]
	s_clause 0x1
	global_load_b32 v121, v[128:129], off
	global_load_b32 v127, v[4:5], off offset:56
	s_wait_loadcnt 0x1
	global_store_b32 v[4:5], v121, off offset:56
	s_wait_loadcnt 0x0
	global_store_b32 v[128:129], v127, off
.LBB112_308:
	s_wait_xcnt 0x0
	s_or_b32 exec_lo, exec_lo, s12
	v_dual_mov_b32 v128, v120 :: v_dual_mov_b32 v127, v120
.LBB112_309:
	s_or_b32 exec_lo, exec_lo, s1
.LBB112_310:
	s_and_not1_saveexec_b32 s0, s0
	s_cbranch_execz .LBB112_312
; %bb.311:
	v_mov_b32_e32 v128, 14
	ds_store_2addr_b64 v124, v[90:91], v[84:85] offset0:15 offset1:16
	ds_store_2addr_b64 v124, v[80:81], v[82:83] offset0:17 offset1:18
	;; [unrolled: 1-line block ×21, first 2 shown]
.LBB112_312:
	s_or_b32 exec_lo, exec_lo, s0
	s_delay_alu instid0(SALU_CYCLE_1)
	s_mov_b32 s0, exec_lo
	s_wait_storecnt_dscnt 0x0
	s_barrier_signal -1
	s_barrier_wait -1
	v_cmpx_lt_i32_e32 14, v128
	s_cbranch_execz .LBB112_314
; %bb.313:
	v_pk_mul_f32 v[130:131], v[122:123], v[94:95] op_sel:[1,1] op_sel_hi:[0,1]
	s_delay_alu instid0(VALU_DEP_1)
	v_pk_fma_f32 v[120:121], v[122:123], v[94:95], v[130:131] op_sel_hi:[1,0,1] neg_lo:[0,0,1] neg_hi:[0,0,1]
	v_pk_fma_f32 v[122:123], v[122:123], v[94:95], v[130:131] op_sel_hi:[1,0,1]
	ds_load_2addr_b64 v[130:133], v124 offset0:15 offset1:16
	v_dual_mov_b32 v94, v120 :: v_dual_mov_b32 v95, v123
	s_wait_dscnt 0x0
	v_pk_mul_f32 v[134:135], v[130:131], v[122:123] op_sel:[0,1]
	s_delay_alu instid0(VALU_DEP_1) | instskip(SKIP_1) | instid1(VALU_DEP_1)
	v_pk_fma_f32 v[136:137], v[130:131], v[120:121], v[134:135] op_sel:[0,0,1] op_sel_hi:[1,1,0] neg_lo:[0,0,1] neg_hi:[0,0,1]
	v_pk_fma_f32 v[130:131], v[130:131], v[120:121], v[134:135] op_sel:[0,0,1] op_sel_hi:[1,0,0]
	v_mov_b32_e32 v137, v131
	v_pk_mul_f32 v[130:131], v[132:133], v[122:123] op_sel:[0,1]
	s_delay_alu instid0(VALU_DEP_1) | instskip(SKIP_1) | instid1(VALU_DEP_1)
	v_pk_fma_f32 v[134:135], v[132:133], v[120:121], v[130:131] op_sel:[0,0,1] op_sel_hi:[1,1,0] neg_lo:[0,0,1] neg_hi:[0,0,1]
	v_pk_fma_f32 v[130:131], v[132:133], v[120:121], v[130:131] op_sel:[0,0,1] op_sel_hi:[1,0,0]
	v_mov_b32_e32 v135, v131
	ds_load_2addr_b64 v[130:133], v124 offset0:17 offset1:18
	v_pk_add_f32 v[90:91], v[90:91], v[136:137] neg_lo:[0,1] neg_hi:[0,1]
	v_pk_add_f32 v[84:85], v[84:85], v[134:135] neg_lo:[0,1] neg_hi:[0,1]
	s_wait_dscnt 0x0
	v_pk_mul_f32 v[134:135], v[130:131], v[122:123] op_sel:[0,1]
	s_delay_alu instid0(VALU_DEP_1) | instskip(SKIP_2) | instid1(VALU_DEP_2)
	v_pk_fma_f32 v[136:137], v[130:131], v[120:121], v[134:135] op_sel:[0,0,1] op_sel_hi:[1,1,0] neg_lo:[0,0,1] neg_hi:[0,0,1]
	v_pk_fma_f32 v[130:131], v[130:131], v[120:121], v[134:135] op_sel:[0,0,1] op_sel_hi:[1,0,0]
	v_dual_mul_f32 v134, v133, v123 :: v_dual_mov_b32 v130, v133
	v_dual_mov_b32 v137, v131 :: v_dual_mov_b32 v131, v132
	s_delay_alu instid0(VALU_DEP_2) | instskip(SKIP_1) | instid1(VALU_DEP_3)
	v_pk_fma_f32 v[134:135], v[132:133], v[94:95], v[134:135] op_sel_hi:[1,1,0] neg_lo:[0,0,1] neg_hi:[0,0,1]
	v_mul_f32_e32 v132, v133, v120
	v_pk_add_f32 v[80:81], v[80:81], v[136:137] neg_lo:[0,1] neg_hi:[0,1]
	s_delay_alu instid0(VALU_DEP_2) | instskip(NEXT) | instid1(VALU_DEP_1)
	v_pk_fma_f32 v[130:131], v[130:131], v[94:95], v[132:133] op_sel_hi:[1,1,0]
	v_mov_b32_e32 v135, v131
	ds_load_2addr_b64 v[130:133], v124 offset0:19 offset1:20
	v_pk_add_f32 v[82:83], v[82:83], v[134:135] neg_lo:[0,1] neg_hi:[0,1]
	s_wait_dscnt 0x0
	v_pk_mul_f32 v[134:135], v[130:131], v[122:123] op_sel:[0,1]
	s_delay_alu instid0(VALU_DEP_1) | instskip(SKIP_1) | instid1(VALU_DEP_1)
	v_pk_fma_f32 v[136:137], v[130:131], v[120:121], v[134:135] op_sel:[0,0,1] op_sel_hi:[1,1,0] neg_lo:[0,0,1] neg_hi:[0,0,1]
	v_pk_fma_f32 v[130:131], v[130:131], v[120:121], v[134:135] op_sel:[0,0,1] op_sel_hi:[1,0,0]
	v_mov_b32_e32 v137, v131
	v_pk_mul_f32 v[130:131], v[132:133], v[122:123] op_sel:[0,1]
	s_delay_alu instid0(VALU_DEP_1) | instskip(SKIP_1) | instid1(VALU_DEP_1)
	v_pk_fma_f32 v[134:135], v[132:133], v[120:121], v[130:131] op_sel:[0,0,1] op_sel_hi:[1,1,0] neg_lo:[0,0,1] neg_hi:[0,0,1]
	v_pk_fma_f32 v[130:131], v[132:133], v[120:121], v[130:131] op_sel:[0,0,1] op_sel_hi:[1,0,0]
	v_mov_b32_e32 v135, v131
	ds_load_2addr_b64 v[130:133], v124 offset0:21 offset1:22
	v_pk_add_f32 v[78:79], v[78:79], v[136:137] neg_lo:[0,1] neg_hi:[0,1]
	v_pk_add_f32 v[76:77], v[76:77], v[134:135] neg_lo:[0,1] neg_hi:[0,1]
	s_wait_dscnt 0x0
	v_pk_mul_f32 v[134:135], v[130:131], v[122:123] op_sel:[0,1]
	s_delay_alu instid0(VALU_DEP_1) | instskip(SKIP_1) | instid1(VALU_DEP_1)
	v_pk_fma_f32 v[136:137], v[130:131], v[120:121], v[134:135] op_sel:[0,0,1] op_sel_hi:[1,1,0] neg_lo:[0,0,1] neg_hi:[0,0,1]
	v_pk_fma_f32 v[130:131], v[130:131], v[120:121], v[134:135] op_sel:[0,0,1] op_sel_hi:[1,0,0]
	v_mov_b32_e32 v137, v131
	v_pk_mul_f32 v[130:131], v[132:133], v[122:123] op_sel:[0,1]
	s_delay_alu instid0(VALU_DEP_1) | instskip(SKIP_1) | instid1(VALU_DEP_1)
	v_pk_fma_f32 v[134:135], v[132:133], v[120:121], v[130:131] op_sel:[0,0,1] op_sel_hi:[1,1,0] neg_lo:[0,0,1] neg_hi:[0,0,1]
	v_pk_fma_f32 v[130:131], v[132:133], v[120:121], v[130:131] op_sel:[0,0,1] op_sel_hi:[1,0,0]
	v_mov_b32_e32 v135, v131
	ds_load_2addr_b64 v[130:133], v124 offset0:23 offset1:24
	v_pk_add_f32 v[72:73], v[72:73], v[136:137] neg_lo:[0,1] neg_hi:[0,1]
	v_pk_add_f32 v[74:75], v[74:75], v[134:135] neg_lo:[0,1] neg_hi:[0,1]
	s_wait_dscnt 0x0
	v_dual_mul_f32 v134, v131, v123 :: v_dual_mul_f32 v136, v131, v120
	s_delay_alu instid0(VALU_DEP_1) | instskip(NEXT) | instid1(VALU_DEP_2)
	v_pk_fma_f32 v[134:135], v[130:131], v[94:95], v[134:135] op_sel_hi:[1,1,0] neg_lo:[0,0,1] neg_hi:[0,0,1]
	v_pk_fma_f32 v[130:131], v[130:131], v[94:95], v[136:137] op_sel:[1,0,0] op_sel_hi:[0,1,0]
	s_delay_alu instid0(VALU_DEP_1) | instskip(SKIP_1) | instid1(VALU_DEP_2)
	v_mov_b32_e32 v135, v131
	v_pk_mul_f32 v[130:131], v[132:133], v[122:123] op_sel:[0,1]
	v_pk_add_f32 v[70:71], v[70:71], v[134:135] neg_lo:[0,1] neg_hi:[0,1]
	s_delay_alu instid0(VALU_DEP_2) | instskip(SKIP_1) | instid1(VALU_DEP_1)
	v_pk_fma_f32 v[134:135], v[132:133], v[120:121], v[130:131] op_sel:[0,0,1] op_sel_hi:[1,1,0] neg_lo:[0,0,1] neg_hi:[0,0,1]
	v_pk_fma_f32 v[130:131], v[132:133], v[120:121], v[130:131] op_sel:[0,0,1] op_sel_hi:[1,0,0]
	v_mov_b32_e32 v135, v131
	ds_load_2addr_b64 v[130:133], v124 offset0:25 offset1:26
	v_pk_add_f32 v[68:69], v[68:69], v[134:135] neg_lo:[0,1] neg_hi:[0,1]
	s_wait_dscnt 0x0
	v_pk_mul_f32 v[134:135], v[130:131], v[122:123] op_sel:[0,1]
	s_delay_alu instid0(VALU_DEP_1) | instskip(SKIP_1) | instid1(VALU_DEP_1)
	v_pk_fma_f32 v[136:137], v[130:131], v[120:121], v[134:135] op_sel:[0,0,1] op_sel_hi:[1,1,0] neg_lo:[0,0,1] neg_hi:[0,0,1]
	v_pk_fma_f32 v[130:131], v[130:131], v[120:121], v[134:135] op_sel:[0,0,1] op_sel_hi:[1,0,0]
	v_mov_b32_e32 v137, v131
	v_pk_mul_f32 v[130:131], v[132:133], v[122:123] op_sel:[0,1]
	s_delay_alu instid0(VALU_DEP_2) | instskip(NEXT) | instid1(VALU_DEP_2)
	v_pk_add_f32 v[64:65], v[64:65], v[136:137] neg_lo:[0,1] neg_hi:[0,1]
	v_pk_fma_f32 v[134:135], v[132:133], v[120:121], v[130:131] op_sel:[0,0,1] op_sel_hi:[1,1,0] neg_lo:[0,0,1] neg_hi:[0,0,1]
	v_pk_fma_f32 v[130:131], v[132:133], v[120:121], v[130:131] op_sel:[0,0,1] op_sel_hi:[1,0,0]
	s_delay_alu instid0(VALU_DEP_1) | instskip(SKIP_4) | instid1(VALU_DEP_1)
	v_mov_b32_e32 v135, v131
	ds_load_2addr_b64 v[130:133], v124 offset0:27 offset1:28
	v_pk_add_f32 v[66:67], v[66:67], v[134:135] neg_lo:[0,1] neg_hi:[0,1]
	s_wait_dscnt 0x0
	v_pk_mul_f32 v[134:135], v[130:131], v[122:123] op_sel:[0,1]
	v_pk_fma_f32 v[136:137], v[130:131], v[120:121], v[134:135] op_sel:[0,0,1] op_sel_hi:[1,1,0] neg_lo:[0,0,1] neg_hi:[0,0,1]
	v_pk_fma_f32 v[130:131], v[130:131], v[120:121], v[134:135] op_sel:[0,0,1] op_sel_hi:[1,0,0]
	v_dual_mul_f32 v134, v133, v123 :: v_dual_mov_b32 v130, v133
	s_delay_alu instid0(VALU_DEP_2) | instskip(NEXT) | instid1(VALU_DEP_2)
	v_dual_mov_b32 v137, v131 :: v_dual_mov_b32 v131, v132
	v_pk_fma_f32 v[134:135], v[132:133], v[94:95], v[134:135] op_sel_hi:[1,1,0] neg_lo:[0,0,1] neg_hi:[0,0,1]
	v_mul_f32_e32 v132, v133, v120
	s_delay_alu instid0(VALU_DEP_3) | instskip(NEXT) | instid1(VALU_DEP_2)
	v_pk_add_f32 v[62:63], v[62:63], v[136:137] neg_lo:[0,1] neg_hi:[0,1]
	v_pk_fma_f32 v[130:131], v[130:131], v[94:95], v[132:133] op_sel_hi:[1,1,0]
	s_delay_alu instid0(VALU_DEP_1) | instskip(SKIP_4) | instid1(VALU_DEP_1)
	v_mov_b32_e32 v135, v131
	ds_load_2addr_b64 v[130:133], v124 offset0:29 offset1:30
	v_pk_add_f32 v[60:61], v[60:61], v[134:135] neg_lo:[0,1] neg_hi:[0,1]
	s_wait_dscnt 0x0
	v_pk_mul_f32 v[134:135], v[130:131], v[122:123] op_sel:[0,1]
	v_pk_fma_f32 v[136:137], v[130:131], v[120:121], v[134:135] op_sel:[0,0,1] op_sel_hi:[1,1,0] neg_lo:[0,0,1] neg_hi:[0,0,1]
	v_pk_fma_f32 v[130:131], v[130:131], v[120:121], v[134:135] op_sel:[0,0,1] op_sel_hi:[1,0,0]
	s_delay_alu instid0(VALU_DEP_1) | instskip(SKIP_1) | instid1(VALU_DEP_1)
	v_mov_b32_e32 v137, v131
	v_pk_mul_f32 v[130:131], v[132:133], v[122:123] op_sel:[0,1]
	v_pk_fma_f32 v[134:135], v[132:133], v[120:121], v[130:131] op_sel:[0,0,1] op_sel_hi:[1,1,0] neg_lo:[0,0,1] neg_hi:[0,0,1]
	v_pk_fma_f32 v[130:131], v[132:133], v[120:121], v[130:131] op_sel:[0,0,1] op_sel_hi:[1,0,0]
	s_delay_alu instid0(VALU_DEP_1)
	v_mov_b32_e32 v135, v131
	ds_load_2addr_b64 v[130:133], v124 offset0:31 offset1:32
	v_pk_add_f32 v[56:57], v[56:57], v[136:137] neg_lo:[0,1] neg_hi:[0,1]
	v_pk_add_f32 v[58:59], v[58:59], v[134:135] neg_lo:[0,1] neg_hi:[0,1]
	s_wait_dscnt 0x0
	v_pk_mul_f32 v[134:135], v[130:131], v[122:123] op_sel:[0,1]
	s_delay_alu instid0(VALU_DEP_1) | instskip(SKIP_1) | instid1(VALU_DEP_1)
	v_pk_fma_f32 v[136:137], v[130:131], v[120:121], v[134:135] op_sel:[0,0,1] op_sel_hi:[1,1,0] neg_lo:[0,0,1] neg_hi:[0,0,1]
	v_pk_fma_f32 v[130:131], v[130:131], v[120:121], v[134:135] op_sel:[0,0,1] op_sel_hi:[1,0,0]
	v_mov_b32_e32 v137, v131
	v_pk_mul_f32 v[130:131], v[132:133], v[122:123] op_sel:[0,1]
	s_delay_alu instid0(VALU_DEP_1) | instskip(SKIP_1) | instid1(VALU_DEP_1)
	v_pk_fma_f32 v[134:135], v[132:133], v[120:121], v[130:131] op_sel:[0,0,1] op_sel_hi:[1,1,0] neg_lo:[0,0,1] neg_hi:[0,0,1]
	v_pk_fma_f32 v[130:131], v[132:133], v[120:121], v[130:131] op_sel:[0,0,1] op_sel_hi:[1,0,0]
	v_mov_b32_e32 v135, v131
	ds_load_2addr_b64 v[130:133], v124 offset0:33 offset1:34
	v_pk_add_f32 v[54:55], v[54:55], v[136:137] neg_lo:[0,1] neg_hi:[0,1]
	v_pk_add_f32 v[52:53], v[52:53], v[134:135] neg_lo:[0,1] neg_hi:[0,1]
	s_wait_dscnt 0x0
	v_dual_mul_f32 v134, v131, v123 :: v_dual_mul_f32 v136, v131, v120
	s_delay_alu instid0(VALU_DEP_1) | instskip(NEXT) | instid1(VALU_DEP_2)
	v_pk_fma_f32 v[134:135], v[130:131], v[94:95], v[134:135] op_sel_hi:[1,1,0] neg_lo:[0,0,1] neg_hi:[0,0,1]
	v_pk_fma_f32 v[130:131], v[130:131], v[94:95], v[136:137] op_sel:[1,0,0] op_sel_hi:[0,1,0]
	s_delay_alu instid0(VALU_DEP_1) | instskip(SKIP_1) | instid1(VALU_DEP_2)
	v_mov_b32_e32 v135, v131
	v_pk_mul_f32 v[130:131], v[132:133], v[122:123] op_sel:[0,1]
	v_pk_add_f32 v[48:49], v[48:49], v[134:135] neg_lo:[0,1] neg_hi:[0,1]
	s_delay_alu instid0(VALU_DEP_2) | instskip(SKIP_1) | instid1(VALU_DEP_1)
	v_pk_fma_f32 v[134:135], v[132:133], v[120:121], v[130:131] op_sel:[0,0,1] op_sel_hi:[1,1,0] neg_lo:[0,0,1] neg_hi:[0,0,1]
	v_pk_fma_f32 v[130:131], v[132:133], v[120:121], v[130:131] op_sel:[0,0,1] op_sel_hi:[1,0,0]
	v_mov_b32_e32 v135, v131
	ds_load_2addr_b64 v[130:133], v124 offset0:35 offset1:36
	v_pk_add_f32 v[50:51], v[50:51], v[134:135] neg_lo:[0,1] neg_hi:[0,1]
	s_wait_dscnt 0x0
	v_pk_mul_f32 v[134:135], v[130:131], v[122:123] op_sel:[0,1]
	s_delay_alu instid0(VALU_DEP_1) | instskip(SKIP_1) | instid1(VALU_DEP_1)
	v_pk_fma_f32 v[136:137], v[130:131], v[120:121], v[134:135] op_sel:[0,0,1] op_sel_hi:[1,1,0] neg_lo:[0,0,1] neg_hi:[0,0,1]
	v_pk_fma_f32 v[130:131], v[130:131], v[120:121], v[134:135] op_sel:[0,0,1] op_sel_hi:[1,0,0]
	v_mov_b32_e32 v137, v131
	v_pk_mul_f32 v[130:131], v[132:133], v[122:123] op_sel:[0,1]
	s_delay_alu instid0(VALU_DEP_2) | instskip(NEXT) | instid1(VALU_DEP_2)
	v_pk_add_f32 v[46:47], v[46:47], v[136:137] neg_lo:[0,1] neg_hi:[0,1]
	v_pk_fma_f32 v[134:135], v[132:133], v[120:121], v[130:131] op_sel:[0,0,1] op_sel_hi:[1,1,0] neg_lo:[0,0,1] neg_hi:[0,0,1]
	v_pk_fma_f32 v[130:131], v[132:133], v[120:121], v[130:131] op_sel:[0,0,1] op_sel_hi:[1,0,0]
	s_delay_alu instid0(VALU_DEP_1) | instskip(SKIP_4) | instid1(VALU_DEP_1)
	v_mov_b32_e32 v135, v131
	ds_load_2addr_b64 v[130:133], v124 offset0:37 offset1:38
	v_pk_add_f32 v[44:45], v[44:45], v[134:135] neg_lo:[0,1] neg_hi:[0,1]
	s_wait_dscnt 0x0
	v_pk_mul_f32 v[134:135], v[130:131], v[122:123] op_sel:[0,1]
	v_pk_fma_f32 v[136:137], v[130:131], v[120:121], v[134:135] op_sel:[0,0,1] op_sel_hi:[1,1,0] neg_lo:[0,0,1] neg_hi:[0,0,1]
	v_pk_fma_f32 v[130:131], v[130:131], v[120:121], v[134:135] op_sel:[0,0,1] op_sel_hi:[1,0,0]
	v_dual_mul_f32 v134, v133, v123 :: v_dual_mov_b32 v130, v133
	s_delay_alu instid0(VALU_DEP_2) | instskip(NEXT) | instid1(VALU_DEP_2)
	v_dual_mov_b32 v137, v131 :: v_dual_mov_b32 v131, v132
	v_pk_fma_f32 v[134:135], v[132:133], v[94:95], v[134:135] op_sel_hi:[1,1,0] neg_lo:[0,0,1] neg_hi:[0,0,1]
	v_mul_f32_e32 v132, v133, v120
	s_delay_alu instid0(VALU_DEP_3) | instskip(NEXT) | instid1(VALU_DEP_2)
	v_pk_add_f32 v[40:41], v[40:41], v[136:137] neg_lo:[0,1] neg_hi:[0,1]
	v_pk_fma_f32 v[130:131], v[130:131], v[94:95], v[132:133] op_sel_hi:[1,1,0]
	s_delay_alu instid0(VALU_DEP_1) | instskip(SKIP_4) | instid1(VALU_DEP_1)
	v_mov_b32_e32 v135, v131
	ds_load_2addr_b64 v[130:133], v124 offset0:39 offset1:40
	v_pk_add_f32 v[42:43], v[42:43], v[134:135] neg_lo:[0,1] neg_hi:[0,1]
	s_wait_dscnt 0x0
	v_pk_mul_f32 v[134:135], v[130:131], v[122:123] op_sel:[0,1]
	v_pk_fma_f32 v[136:137], v[130:131], v[120:121], v[134:135] op_sel:[0,0,1] op_sel_hi:[1,1,0] neg_lo:[0,0,1] neg_hi:[0,0,1]
	v_pk_fma_f32 v[130:131], v[130:131], v[120:121], v[134:135] op_sel:[0,0,1] op_sel_hi:[1,0,0]
	s_delay_alu instid0(VALU_DEP_1) | instskip(SKIP_1) | instid1(VALU_DEP_1)
	v_mov_b32_e32 v137, v131
	v_pk_mul_f32 v[130:131], v[132:133], v[122:123] op_sel:[0,1]
	v_pk_fma_f32 v[134:135], v[132:133], v[120:121], v[130:131] op_sel:[0,0,1] op_sel_hi:[1,1,0] neg_lo:[0,0,1] neg_hi:[0,0,1]
	v_pk_fma_f32 v[130:131], v[132:133], v[120:121], v[130:131] op_sel:[0,0,1] op_sel_hi:[1,0,0]
	s_delay_alu instid0(VALU_DEP_1)
	v_mov_b32_e32 v135, v131
	ds_load_2addr_b64 v[130:133], v124 offset0:41 offset1:42
	v_pk_add_f32 v[38:39], v[38:39], v[136:137] neg_lo:[0,1] neg_hi:[0,1]
	v_pk_add_f32 v[36:37], v[36:37], v[134:135] neg_lo:[0,1] neg_hi:[0,1]
	s_wait_dscnt 0x0
	v_pk_mul_f32 v[134:135], v[130:131], v[122:123] op_sel:[0,1]
	s_delay_alu instid0(VALU_DEP_1) | instskip(SKIP_1) | instid1(VALU_DEP_1)
	v_pk_fma_f32 v[136:137], v[130:131], v[120:121], v[134:135] op_sel:[0,0,1] op_sel_hi:[1,1,0] neg_lo:[0,0,1] neg_hi:[0,0,1]
	v_pk_fma_f32 v[130:131], v[130:131], v[120:121], v[134:135] op_sel:[0,0,1] op_sel_hi:[1,0,0]
	v_mov_b32_e32 v137, v131
	v_pk_mul_f32 v[130:131], v[132:133], v[122:123] op_sel:[0,1]
	s_delay_alu instid0(VALU_DEP_1) | instskip(SKIP_1) | instid1(VALU_DEP_1)
	v_pk_fma_f32 v[134:135], v[132:133], v[120:121], v[130:131] op_sel:[0,0,1] op_sel_hi:[1,1,0] neg_lo:[0,0,1] neg_hi:[0,0,1]
	v_pk_fma_f32 v[130:131], v[132:133], v[120:121], v[130:131] op_sel:[0,0,1] op_sel_hi:[1,0,0]
	v_mov_b32_e32 v135, v131
	ds_load_2addr_b64 v[130:133], v124 offset0:43 offset1:44
	v_pk_add_f32 v[32:33], v[32:33], v[136:137] neg_lo:[0,1] neg_hi:[0,1]
	v_pk_add_f32 v[34:35], v[34:35], v[134:135] neg_lo:[0,1] neg_hi:[0,1]
	s_wait_dscnt 0x0
	v_dual_mul_f32 v134, v131, v123 :: v_dual_mul_f32 v136, v131, v120
	s_delay_alu instid0(VALU_DEP_1) | instskip(NEXT) | instid1(VALU_DEP_2)
	v_pk_fma_f32 v[134:135], v[130:131], v[94:95], v[134:135] op_sel_hi:[1,1,0] neg_lo:[0,0,1] neg_hi:[0,0,1]
	v_pk_fma_f32 v[130:131], v[130:131], v[94:95], v[136:137] op_sel:[1,0,0] op_sel_hi:[0,1,0]
	s_delay_alu instid0(VALU_DEP_1) | instskip(SKIP_1) | instid1(VALU_DEP_2)
	v_mov_b32_e32 v135, v131
	v_pk_mul_f32 v[130:131], v[132:133], v[122:123] op_sel:[0,1]
	v_pk_add_f32 v[30:31], v[30:31], v[134:135] neg_lo:[0,1] neg_hi:[0,1]
	s_delay_alu instid0(VALU_DEP_2) | instskip(SKIP_1) | instid1(VALU_DEP_1)
	v_pk_fma_f32 v[134:135], v[132:133], v[120:121], v[130:131] op_sel:[0,0,1] op_sel_hi:[1,1,0] neg_lo:[0,0,1] neg_hi:[0,0,1]
	v_pk_fma_f32 v[130:131], v[132:133], v[120:121], v[130:131] op_sel:[0,0,1] op_sel_hi:[1,0,0]
	v_mov_b32_e32 v135, v131
	ds_load_2addr_b64 v[130:133], v124 offset0:45 offset1:46
	v_pk_add_f32 v[26:27], v[26:27], v[134:135] neg_lo:[0,1] neg_hi:[0,1]
	s_wait_dscnt 0x0
	v_pk_mul_f32 v[134:135], v[130:131], v[122:123] op_sel:[0,1]
	s_delay_alu instid0(VALU_DEP_1) | instskip(SKIP_1) | instid1(VALU_DEP_1)
	v_pk_fma_f32 v[136:137], v[130:131], v[120:121], v[134:135] op_sel:[0,0,1] op_sel_hi:[1,1,0] neg_lo:[0,0,1] neg_hi:[0,0,1]
	v_pk_fma_f32 v[130:131], v[130:131], v[120:121], v[134:135] op_sel:[0,0,1] op_sel_hi:[1,0,0]
	v_mov_b32_e32 v137, v131
	v_pk_mul_f32 v[130:131], v[132:133], v[122:123] op_sel:[0,1]
	s_delay_alu instid0(VALU_DEP_2) | instskip(NEXT) | instid1(VALU_DEP_2)
	v_pk_add_f32 v[22:23], v[22:23], v[136:137] neg_lo:[0,1] neg_hi:[0,1]
	v_pk_fma_f32 v[134:135], v[132:133], v[120:121], v[130:131] op_sel:[0,0,1] op_sel_hi:[1,1,0] neg_lo:[0,0,1] neg_hi:[0,0,1]
	v_pk_fma_f32 v[130:131], v[132:133], v[120:121], v[130:131] op_sel:[0,0,1] op_sel_hi:[1,0,0]
	s_delay_alu instid0(VALU_DEP_1) | instskip(SKIP_4) | instid1(VALU_DEP_1)
	v_mov_b32_e32 v135, v131
	ds_load_2addr_b64 v[130:133], v124 offset0:47 offset1:48
	v_pk_add_f32 v[24:25], v[24:25], v[134:135] neg_lo:[0,1] neg_hi:[0,1]
	s_wait_dscnt 0x0
	v_pk_mul_f32 v[134:135], v[130:131], v[122:123] op_sel:[0,1]
	v_pk_fma_f32 v[136:137], v[130:131], v[120:121], v[134:135] op_sel:[0,0,1] op_sel_hi:[1,1,0] neg_lo:[0,0,1] neg_hi:[0,0,1]
	v_pk_fma_f32 v[130:131], v[130:131], v[120:121], v[134:135] op_sel:[0,0,1] op_sel_hi:[1,0,0]
	v_dual_mul_f32 v134, v133, v123 :: v_dual_mov_b32 v130, v133
	s_delay_alu instid0(VALU_DEP_2) | instskip(NEXT) | instid1(VALU_DEP_2)
	v_dual_mov_b32 v137, v131 :: v_dual_mov_b32 v131, v132
	v_pk_fma_f32 v[134:135], v[132:133], v[94:95], v[134:135] op_sel_hi:[1,1,0] neg_lo:[0,0,1] neg_hi:[0,0,1]
	v_mul_f32_e32 v132, v133, v120
	s_delay_alu instid0(VALU_DEP_3) | instskip(NEXT) | instid1(VALU_DEP_2)
	v_pk_add_f32 v[20:21], v[20:21], v[136:137] neg_lo:[0,1] neg_hi:[0,1]
	v_pk_fma_f32 v[130:131], v[130:131], v[94:95], v[132:133] op_sel_hi:[1,1,0]
	s_delay_alu instid0(VALU_DEP_1) | instskip(SKIP_4) | instid1(VALU_DEP_1)
	v_mov_b32_e32 v135, v131
	ds_load_2addr_b64 v[130:133], v124 offset0:49 offset1:50
	v_pk_add_f32 v[14:15], v[14:15], v[134:135] neg_lo:[0,1] neg_hi:[0,1]
	s_wait_dscnt 0x0
	v_pk_mul_f32 v[134:135], v[130:131], v[122:123] op_sel:[0,1]
	v_pk_fma_f32 v[136:137], v[130:131], v[120:121], v[134:135] op_sel:[0,0,1] op_sel_hi:[1,1,0] neg_lo:[0,0,1] neg_hi:[0,0,1]
	v_pk_fma_f32 v[130:131], v[130:131], v[120:121], v[134:135] op_sel:[0,0,1] op_sel_hi:[1,0,0]
	s_delay_alu instid0(VALU_DEP_1) | instskip(SKIP_1) | instid1(VALU_DEP_1)
	v_mov_b32_e32 v137, v131
	v_pk_mul_f32 v[130:131], v[132:133], v[122:123] op_sel:[0,1]
	v_pk_fma_f32 v[134:135], v[132:133], v[120:121], v[130:131] op_sel:[0,0,1] op_sel_hi:[1,1,0] neg_lo:[0,0,1] neg_hi:[0,0,1]
	v_pk_fma_f32 v[130:131], v[132:133], v[120:121], v[130:131] op_sel:[0,0,1] op_sel_hi:[1,0,0]
	s_delay_alu instid0(VALU_DEP_1)
	v_mov_b32_e32 v135, v131
	ds_load_2addr_b64 v[130:133], v124 offset0:51 offset1:52
	v_pk_add_f32 v[10:11], v[10:11], v[136:137] neg_lo:[0,1] neg_hi:[0,1]
	v_pk_add_f32 v[12:13], v[12:13], v[134:135] neg_lo:[0,1] neg_hi:[0,1]
	s_wait_dscnt 0x0
	v_pk_mul_f32 v[134:135], v[130:131], v[122:123] op_sel:[0,1]
	s_delay_alu instid0(VALU_DEP_1) | instskip(SKIP_1) | instid1(VALU_DEP_1)
	v_pk_fma_f32 v[136:137], v[130:131], v[120:121], v[134:135] op_sel:[0,0,1] op_sel_hi:[1,1,0] neg_lo:[0,0,1] neg_hi:[0,0,1]
	v_pk_fma_f32 v[130:131], v[130:131], v[120:121], v[134:135] op_sel:[0,0,1] op_sel_hi:[1,0,0]
	v_mov_b32_e32 v137, v131
	v_pk_mul_f32 v[130:131], v[132:133], v[122:123] op_sel:[0,1]
	s_delay_alu instid0(VALU_DEP_1) | instskip(SKIP_1) | instid1(VALU_DEP_1)
	v_pk_fma_f32 v[134:135], v[132:133], v[120:121], v[130:131] op_sel:[0,0,1] op_sel_hi:[1,1,0] neg_lo:[0,0,1] neg_hi:[0,0,1]
	v_pk_fma_f32 v[130:131], v[132:133], v[120:121], v[130:131] op_sel:[0,0,1] op_sel_hi:[1,0,0]
	v_mov_b32_e32 v135, v131
	ds_load_2addr_b64 v[130:133], v124 offset0:53 offset1:54
	v_pk_add_f32 v[8:9], v[8:9], v[136:137] neg_lo:[0,1] neg_hi:[0,1]
	v_pk_add_f32 v[6:7], v[6:7], v[134:135] neg_lo:[0,1] neg_hi:[0,1]
	s_wait_dscnt 0x0
	v_dual_mul_f32 v134, v131, v123 :: v_dual_mul_f32 v136, v131, v120
	s_delay_alu instid0(VALU_DEP_1) | instskip(NEXT) | instid1(VALU_DEP_2)
	v_pk_fma_f32 v[134:135], v[130:131], v[94:95], v[134:135] op_sel_hi:[1,1,0] neg_lo:[0,0,1] neg_hi:[0,0,1]
	v_pk_fma_f32 v[130:131], v[130:131], v[94:95], v[136:137] op_sel:[1,0,0] op_sel_hi:[0,1,0]
	s_delay_alu instid0(VALU_DEP_1) | instskip(SKIP_1) | instid1(VALU_DEP_2)
	v_mov_b32_e32 v135, v131
	v_pk_mul_f32 v[130:131], v[132:133], v[122:123] op_sel:[0,1]
	v_pk_add_f32 v[28:29], v[28:29], v[134:135] neg_lo:[0,1] neg_hi:[0,1]
	s_delay_alu instid0(VALU_DEP_2) | instskip(SKIP_1) | instid1(VALU_DEP_1)
	v_pk_fma_f32 v[134:135], v[132:133], v[120:121], v[130:131] op_sel:[0,0,1] op_sel_hi:[1,1,0] neg_lo:[0,0,1] neg_hi:[0,0,1]
	v_pk_fma_f32 v[130:131], v[132:133], v[120:121], v[130:131] op_sel:[0,0,1] op_sel_hi:[1,0,0]
	v_mov_b32_e32 v135, v131
	ds_load_2addr_b64 v[130:133], v124 offset0:55 offset1:56
	v_pk_add_f32 v[18:19], v[18:19], v[134:135] neg_lo:[0,1] neg_hi:[0,1]
	s_wait_dscnt 0x0
	v_pk_mul_f32 v[134:135], v[130:131], v[122:123] op_sel:[0,1]
	v_mul_f32_e32 v122, v133, v123
	s_delay_alu instid0(VALU_DEP_2) | instskip(SKIP_2) | instid1(VALU_DEP_4)
	v_pk_fma_f32 v[136:137], v[130:131], v[120:121], v[134:135] op_sel:[0,0,1] op_sel_hi:[1,1,0] neg_lo:[0,0,1] neg_hi:[0,0,1]
	v_pk_fma_f32 v[130:131], v[130:131], v[120:121], v[134:135] op_sel:[0,0,1] op_sel_hi:[1,0,0]
	v_dual_mov_b32 v130, v133 :: v_dual_mul_f32 v120, v133, v120
	v_pk_fma_f32 v[122:123], v[132:133], v[94:95], v[122:123] op_sel_hi:[1,1,0] neg_lo:[0,0,1] neg_hi:[0,0,1]
	s_delay_alu instid0(VALU_DEP_3) | instskip(NEXT) | instid1(VALU_DEP_1)
	v_dual_mov_b32 v137, v131 :: v_dual_mov_b32 v131, v132
	v_pk_add_f32 v[16:17], v[16:17], v[136:137] neg_lo:[0,1] neg_hi:[0,1]
	s_delay_alu instid0(VALU_DEP_2) | instskip(NEXT) | instid1(VALU_DEP_1)
	v_pk_fma_f32 v[120:121], v[130:131], v[94:95], v[120:121] op_sel_hi:[1,1,0]
	v_mov_b32_e32 v123, v121
	s_delay_alu instid0(VALU_DEP_1)
	v_pk_add_f32 v[118:119], v[118:119], v[122:123] neg_lo:[0,1] neg_hi:[0,1]
.LBB112_314:
	s_or_b32 exec_lo, exec_lo, s0
	v_lshl_add_u32 v120, v128, 3, v124
	s_barrier_signal -1
	s_barrier_wait -1
	ds_store_b64 v120, v[90:91]
	s_wait_dscnt 0x0
	s_barrier_signal -1
	s_barrier_wait -1
	ds_load_b64 v[122:123], v124 offset:120
	v_mov_b32_e32 v120, 15
	s_cmp_lt_i32 s18, 17
	s_cbranch_scc1 .LBB112_317
; %bb.315:
	v_add3_u32 v121, v125, 0, 0x80
	v_mov_b32_e32 v120, 15
	s_mov_b32 s0, 16
.LBB112_316:                            ; =>This Inner Loop Header: Depth=1
	ds_load_b64 v[130:131], v121
	s_wait_dscnt 0x1
	v_cmp_gt_f32_e32 vcc_lo, 0, v122
	v_cndmask_b32_e64 v132, v122, -v122, vcc_lo
	v_cmp_gt_f32_e32 vcc_lo, 0, v123
	v_cndmask_b32_e64 v134, v123, -v123, vcc_lo
	s_wait_dscnt 0x0
	v_cmp_gt_f32_e32 vcc_lo, 0, v130
	v_cndmask_b32_e64 v133, v130, -v130, vcc_lo
	v_cmp_gt_f32_e32 vcc_lo, 0, v131
	v_cndmask_b32_e64 v135, v131, -v131, vcc_lo
	s_delay_alu instid0(VALU_DEP_1) | instskip(NEXT) | instid1(VALU_DEP_1)
	v_pk_add_f32 v[132:133], v[132:133], v[134:135]
	v_cmp_lt_f32_e32 vcc_lo, v132, v133
	v_dual_add_nc_u32 v121, 8, v121 :: v_dual_cndmask_b32 v123, v123, v131, vcc_lo
	v_cndmask_b32_e32 v122, v122, v130, vcc_lo
	v_cndmask_b32_e64 v120, v120, s0, vcc_lo
	s_add_co_i32 s0, s0, 1
	s_delay_alu instid0(SALU_CYCLE_1)
	s_cmp_lg_u32 s18, s0
	s_cbranch_scc1 .LBB112_316
.LBB112_317:
	s_wait_dscnt 0x0
	v_cmp_eq_f32_e32 vcc_lo, 0, v122
	v_cmp_eq_f32_e64 s0, 0, v123
	s_and_b32 s0, vcc_lo, s0
	s_delay_alu instid0(SALU_CYCLE_1) | instskip(NEXT) | instid1(SALU_CYCLE_1)
	s_and_saveexec_b32 s1, s0
	s_xor_b32 s0, exec_lo, s1
; %bb.318:
	v_cmp_ne_u32_e32 vcc_lo, 0, v126
	v_cndmask_b32_e32 v126, 16, v126, vcc_lo
; %bb.319:
	s_and_not1_saveexec_b32 s0, s0
	s_cbranch_execz .LBB112_325
; %bb.320:
	v_cmp_ngt_f32_e64 s1, |v122|, |v123|
	s_and_saveexec_b32 s12, s1
	s_delay_alu instid0(SALU_CYCLE_1)
	s_xor_b32 s1, exec_lo, s12
	s_cbranch_execz .LBB112_322
; %bb.321:
	v_div_scale_f32 v121, null, v123, v123, v122
	v_div_scale_f32 v131, vcc_lo, v122, v123, v122
	s_delay_alu instid0(VALU_DEP_2) | instskip(SKIP_1) | instid1(TRANS32_DEP_1)
	v_rcp_f32_e32 v129, v121
	v_nop
	v_fma_f32 v130, -v121, v129, 1.0
	s_delay_alu instid0(VALU_DEP_1) | instskip(NEXT) | instid1(VALU_DEP_1)
	v_fmac_f32_e32 v129, v130, v129
	v_mul_f32_e32 v130, v131, v129
	s_delay_alu instid0(VALU_DEP_1) | instskip(NEXT) | instid1(VALU_DEP_1)
	v_fma_f32 v132, -v121, v130, v131
	v_fmac_f32_e32 v130, v132, v129
	s_delay_alu instid0(VALU_DEP_1) | instskip(NEXT) | instid1(VALU_DEP_1)
	v_fma_f32 v121, -v121, v130, v131
	v_div_fmas_f32 v121, v121, v129, v130
	s_delay_alu instid0(VALU_DEP_1) | instskip(NEXT) | instid1(VALU_DEP_1)
	v_div_fixup_f32 v121, v121, v123, v122
	v_fmac_f32_e32 v123, v122, v121
	s_delay_alu instid0(VALU_DEP_1) | instskip(SKIP_1) | instid1(VALU_DEP_2)
	v_div_scale_f32 v122, null, v123, v123, 1.0
	v_div_scale_f32 v131, vcc_lo, 1.0, v123, 1.0
	v_rcp_f32_e32 v129, v122
	v_nop
	s_delay_alu instid0(TRANS32_DEP_1) | instskip(NEXT) | instid1(VALU_DEP_1)
	v_fma_f32 v130, -v122, v129, 1.0
	v_fmac_f32_e32 v129, v130, v129
	s_delay_alu instid0(VALU_DEP_1) | instskip(NEXT) | instid1(VALU_DEP_1)
	v_mul_f32_e32 v130, v131, v129
	v_fma_f32 v132, -v122, v130, v131
	s_delay_alu instid0(VALU_DEP_1) | instskip(NEXT) | instid1(VALU_DEP_1)
	v_fmac_f32_e32 v130, v132, v129
	v_fma_f32 v122, -v122, v130, v131
	s_delay_alu instid0(VALU_DEP_1) | instskip(NEXT) | instid1(VALU_DEP_1)
	v_div_fmas_f32 v122, v122, v129, v130
	v_div_fixup_f32 v123, v122, v123, 1.0
	s_delay_alu instid0(VALU_DEP_1)
	v_mul_f32_e32 v122, v121, v123
	v_xor_b32_e32 v123, 0x80000000, v123
.LBB112_322:
	s_and_not1_saveexec_b32 s1, s1
	s_cbranch_execz .LBB112_324
; %bb.323:
	s_delay_alu instid0(VALU_DEP_1) | instskip(SKIP_1) | instid1(VALU_DEP_2)
	v_div_scale_f32 v121, null, v122, v122, v123
	v_div_scale_f32 v131, vcc_lo, v123, v122, v123
	v_rcp_f32_e32 v129, v121
	v_nop
	s_delay_alu instid0(TRANS32_DEP_1) | instskip(NEXT) | instid1(VALU_DEP_1)
	v_fma_f32 v130, -v121, v129, 1.0
	v_fmac_f32_e32 v129, v130, v129
	s_delay_alu instid0(VALU_DEP_1) | instskip(NEXT) | instid1(VALU_DEP_1)
	v_mul_f32_e32 v130, v131, v129
	v_fma_f32 v132, -v121, v130, v131
	s_delay_alu instid0(VALU_DEP_1) | instskip(NEXT) | instid1(VALU_DEP_1)
	v_fmac_f32_e32 v130, v132, v129
	v_fma_f32 v121, -v121, v130, v131
	s_delay_alu instid0(VALU_DEP_1) | instskip(NEXT) | instid1(VALU_DEP_1)
	v_div_fmas_f32 v121, v121, v129, v130
	v_div_fixup_f32 v121, v121, v122, v123
	s_delay_alu instid0(VALU_DEP_1) | instskip(NEXT) | instid1(VALU_DEP_1)
	v_fmac_f32_e32 v122, v123, v121
	v_div_scale_f32 v123, null, v122, v122, 1.0
	s_delay_alu instid0(VALU_DEP_1) | instskip(SKIP_1) | instid1(TRANS32_DEP_1)
	v_rcp_f32_e32 v129, v123
	v_nop
	v_fma_f32 v130, -v123, v129, 1.0
	s_delay_alu instid0(VALU_DEP_1) | instskip(SKIP_1) | instid1(VALU_DEP_1)
	v_fmac_f32_e32 v129, v130, v129
	v_div_scale_f32 v130, vcc_lo, 1.0, v122, 1.0
	v_mul_f32_e32 v131, v130, v129
	s_delay_alu instid0(VALU_DEP_1) | instskip(NEXT) | instid1(VALU_DEP_1)
	v_fma_f32 v132, -v123, v131, v130
	v_fmac_f32_e32 v131, v132, v129
	s_delay_alu instid0(VALU_DEP_1) | instskip(NEXT) | instid1(VALU_DEP_1)
	v_fma_f32 v123, -v123, v131, v130
	v_div_fmas_f32 v123, v123, v129, v131
	s_delay_alu instid0(VALU_DEP_1) | instskip(NEXT) | instid1(VALU_DEP_1)
	v_div_fixup_f32 v122, v123, v122, 1.0
	v_mul_f32_e64 v123, v121, -v122
.LBB112_324:
	s_or_b32 exec_lo, exec_lo, s1
.LBB112_325:
	s_delay_alu instid0(SALU_CYCLE_1) | instskip(NEXT) | instid1(SALU_CYCLE_1)
	s_or_b32 exec_lo, exec_lo, s0
	s_mov_b32 s0, exec_lo
	v_cmpx_ne_u32_e64 v128, v120
	s_xor_b32 s0, exec_lo, s0
	s_cbranch_execz .LBB112_331
; %bb.326:
	s_mov_b32 s1, exec_lo
	v_cmpx_eq_u32_e32 15, v128
	s_cbranch_execz .LBB112_330
; %bb.327:
	v_cmp_ne_u32_e32 vcc_lo, 15, v120
	s_xor_b32 s12, s16, -1
	s_delay_alu instid0(SALU_CYCLE_1) | instskip(NEXT) | instid1(SALU_CYCLE_1)
	s_and_b32 s13, s12, vcc_lo
	s_and_saveexec_b32 s12, s13
	s_cbranch_execz .LBB112_329
; %bb.328:
	v_ashrrev_i32_e32 v121, 31, v120
	s_delay_alu instid0(VALU_DEP_1)
	v_lshl_add_u64 v[128:129], v[120:121], 2, v[4:5]
	s_clause 0x1
	global_load_b32 v121, v[128:129], off
	global_load_b32 v127, v[4:5], off offset:60
	s_wait_loadcnt 0x1
	global_store_b32 v[4:5], v121, off offset:60
	s_wait_loadcnt 0x0
	global_store_b32 v[128:129], v127, off
.LBB112_329:
	s_wait_xcnt 0x0
	s_or_b32 exec_lo, exec_lo, s12
	v_dual_mov_b32 v128, v120 :: v_dual_mov_b32 v127, v120
.LBB112_330:
	s_or_b32 exec_lo, exec_lo, s1
.LBB112_331:
	s_and_not1_saveexec_b32 s0, s0
	s_cbranch_execz .LBB112_333
; %bb.332:
	v_dual_mov_b32 v120, v84 :: v_dual_mov_b32 v121, v85
	v_dual_mov_b32 v128, v80 :: v_dual_mov_b32 v129, v81
	ds_store_2addr_b64 v124, v[120:121], v[128:129] offset0:16 offset1:17
	v_dual_mov_b32 v120, v82 :: v_dual_mov_b32 v121, v83
	v_dual_mov_b32 v128, v78 :: v_dual_mov_b32 v129, v79
	ds_store_2addr_b64 v124, v[120:121], v[128:129] offset0:18 offset1:19
	;; [unrolled: 3-line block ×20, first 2 shown]
	ds_store_b64 v124, v[118:119] offset:448
	v_mov_b32_e32 v128, 15
.LBB112_333:
	s_or_b32 exec_lo, exec_lo, s0
	s_delay_alu instid0(SALU_CYCLE_1)
	s_mov_b32 s0, exec_lo
	s_wait_storecnt_dscnt 0x0
	s_barrier_signal -1
	s_barrier_wait -1
	v_cmpx_lt_i32_e32 15, v128
	s_cbranch_execz .LBB112_335
; %bb.334:
	v_pk_mul_f32 v[130:131], v[122:123], v[90:91] op_sel:[1,1] op_sel_hi:[0,1]
	s_delay_alu instid0(VALU_DEP_1)
	v_pk_fma_f32 v[120:121], v[122:123], v[90:91], v[130:131] op_sel_hi:[1,0,1] neg_lo:[0,0,1] neg_hi:[0,0,1]
	v_pk_fma_f32 v[122:123], v[122:123], v[90:91], v[130:131] op_sel_hi:[1,0,1]
	ds_load_2addr_b64 v[130:133], v124 offset0:16 offset1:17
	v_dual_mov_b32 v90, v120 :: v_dual_mov_b32 v91, v123
	s_wait_dscnt 0x0
	v_pk_mul_f32 v[134:135], v[130:131], v[122:123] op_sel:[0,1]
	s_delay_alu instid0(VALU_DEP_1) | instskip(SKIP_1) | instid1(VALU_DEP_1)
	v_pk_fma_f32 v[136:137], v[130:131], v[120:121], v[134:135] op_sel:[0,0,1] op_sel_hi:[1,1,0] neg_lo:[0,0,1] neg_hi:[0,0,1]
	v_pk_fma_f32 v[130:131], v[130:131], v[120:121], v[134:135] op_sel:[0,0,1] op_sel_hi:[1,0,0]
	v_mov_b32_e32 v137, v131
	v_pk_mul_f32 v[130:131], v[132:133], v[122:123] op_sel:[0,1]
	s_delay_alu instid0(VALU_DEP_1) | instskip(SKIP_1) | instid1(VALU_DEP_1)
	v_pk_fma_f32 v[134:135], v[132:133], v[120:121], v[130:131] op_sel:[0,0,1] op_sel_hi:[1,1,0] neg_lo:[0,0,1] neg_hi:[0,0,1]
	v_pk_fma_f32 v[130:131], v[132:133], v[120:121], v[130:131] op_sel:[0,0,1] op_sel_hi:[1,0,0]
	v_mov_b32_e32 v135, v131
	ds_load_2addr_b64 v[130:133], v124 offset0:18 offset1:19
	v_pk_add_f32 v[84:85], v[84:85], v[136:137] neg_lo:[0,1] neg_hi:[0,1]
	v_pk_add_f32 v[80:81], v[80:81], v[134:135] neg_lo:[0,1] neg_hi:[0,1]
	s_wait_dscnt 0x0
	v_pk_mul_f32 v[134:135], v[130:131], v[122:123] op_sel:[0,1]
	s_delay_alu instid0(VALU_DEP_1) | instskip(SKIP_2) | instid1(VALU_DEP_2)
	v_pk_fma_f32 v[136:137], v[130:131], v[120:121], v[134:135] op_sel:[0,0,1] op_sel_hi:[1,1,0] neg_lo:[0,0,1] neg_hi:[0,0,1]
	v_pk_fma_f32 v[130:131], v[130:131], v[120:121], v[134:135] op_sel:[0,0,1] op_sel_hi:[1,0,0]
	v_dual_mul_f32 v134, v133, v123 :: v_dual_mov_b32 v130, v133
	v_dual_mov_b32 v137, v131 :: v_dual_mov_b32 v131, v132
	s_delay_alu instid0(VALU_DEP_2) | instskip(SKIP_1) | instid1(VALU_DEP_3)
	v_pk_fma_f32 v[134:135], v[132:133], v[90:91], v[134:135] op_sel_hi:[1,1,0] neg_lo:[0,0,1] neg_hi:[0,0,1]
	v_mul_f32_e32 v132, v133, v120
	v_pk_add_f32 v[82:83], v[82:83], v[136:137] neg_lo:[0,1] neg_hi:[0,1]
	s_delay_alu instid0(VALU_DEP_2) | instskip(NEXT) | instid1(VALU_DEP_1)
	v_pk_fma_f32 v[130:131], v[130:131], v[90:91], v[132:133] op_sel_hi:[1,1,0]
	v_mov_b32_e32 v135, v131
	ds_load_2addr_b64 v[130:133], v124 offset0:20 offset1:21
	v_pk_add_f32 v[78:79], v[78:79], v[134:135] neg_lo:[0,1] neg_hi:[0,1]
	s_wait_dscnt 0x0
	v_pk_mul_f32 v[134:135], v[130:131], v[122:123] op_sel:[0,1]
	s_delay_alu instid0(VALU_DEP_1) | instskip(SKIP_1) | instid1(VALU_DEP_1)
	v_pk_fma_f32 v[136:137], v[130:131], v[120:121], v[134:135] op_sel:[0,0,1] op_sel_hi:[1,1,0] neg_lo:[0,0,1] neg_hi:[0,0,1]
	v_pk_fma_f32 v[130:131], v[130:131], v[120:121], v[134:135] op_sel:[0,0,1] op_sel_hi:[1,0,0]
	v_mov_b32_e32 v137, v131
	v_pk_mul_f32 v[130:131], v[132:133], v[122:123] op_sel:[0,1]
	s_delay_alu instid0(VALU_DEP_1) | instskip(SKIP_1) | instid1(VALU_DEP_1)
	v_pk_fma_f32 v[134:135], v[132:133], v[120:121], v[130:131] op_sel:[0,0,1] op_sel_hi:[1,1,0] neg_lo:[0,0,1] neg_hi:[0,0,1]
	v_pk_fma_f32 v[130:131], v[132:133], v[120:121], v[130:131] op_sel:[0,0,1] op_sel_hi:[1,0,0]
	v_mov_b32_e32 v135, v131
	ds_load_2addr_b64 v[130:133], v124 offset0:22 offset1:23
	v_pk_add_f32 v[76:77], v[76:77], v[136:137] neg_lo:[0,1] neg_hi:[0,1]
	v_pk_add_f32 v[72:73], v[72:73], v[134:135] neg_lo:[0,1] neg_hi:[0,1]
	s_wait_dscnt 0x0
	v_pk_mul_f32 v[134:135], v[130:131], v[122:123] op_sel:[0,1]
	s_delay_alu instid0(VALU_DEP_1) | instskip(SKIP_1) | instid1(VALU_DEP_1)
	v_pk_fma_f32 v[136:137], v[130:131], v[120:121], v[134:135] op_sel:[0,0,1] op_sel_hi:[1,1,0] neg_lo:[0,0,1] neg_hi:[0,0,1]
	v_pk_fma_f32 v[130:131], v[130:131], v[120:121], v[134:135] op_sel:[0,0,1] op_sel_hi:[1,0,0]
	v_mov_b32_e32 v137, v131
	v_pk_mul_f32 v[130:131], v[132:133], v[122:123] op_sel:[0,1]
	s_delay_alu instid0(VALU_DEP_1) | instskip(SKIP_1) | instid1(VALU_DEP_1)
	v_pk_fma_f32 v[134:135], v[132:133], v[120:121], v[130:131] op_sel:[0,0,1] op_sel_hi:[1,1,0] neg_lo:[0,0,1] neg_hi:[0,0,1]
	v_pk_fma_f32 v[130:131], v[132:133], v[120:121], v[130:131] op_sel:[0,0,1] op_sel_hi:[1,0,0]
	v_mov_b32_e32 v135, v131
	ds_load_2addr_b64 v[130:133], v124 offset0:24 offset1:25
	v_pk_add_f32 v[74:75], v[74:75], v[136:137] neg_lo:[0,1] neg_hi:[0,1]
	v_pk_add_f32 v[70:71], v[70:71], v[134:135] neg_lo:[0,1] neg_hi:[0,1]
	s_wait_dscnt 0x0
	v_dual_mul_f32 v134, v131, v123 :: v_dual_mul_f32 v136, v131, v120
	s_delay_alu instid0(VALU_DEP_1) | instskip(NEXT) | instid1(VALU_DEP_2)
	v_pk_fma_f32 v[134:135], v[130:131], v[90:91], v[134:135] op_sel_hi:[1,1,0] neg_lo:[0,0,1] neg_hi:[0,0,1]
	v_pk_fma_f32 v[130:131], v[130:131], v[90:91], v[136:137] op_sel:[1,0,0] op_sel_hi:[0,1,0]
	s_delay_alu instid0(VALU_DEP_1) | instskip(SKIP_1) | instid1(VALU_DEP_2)
	v_mov_b32_e32 v135, v131
	v_pk_mul_f32 v[130:131], v[132:133], v[122:123] op_sel:[0,1]
	v_pk_add_f32 v[68:69], v[68:69], v[134:135] neg_lo:[0,1] neg_hi:[0,1]
	s_delay_alu instid0(VALU_DEP_2) | instskip(SKIP_1) | instid1(VALU_DEP_1)
	v_pk_fma_f32 v[134:135], v[132:133], v[120:121], v[130:131] op_sel:[0,0,1] op_sel_hi:[1,1,0] neg_lo:[0,0,1] neg_hi:[0,0,1]
	v_pk_fma_f32 v[130:131], v[132:133], v[120:121], v[130:131] op_sel:[0,0,1] op_sel_hi:[1,0,0]
	v_mov_b32_e32 v135, v131
	ds_load_2addr_b64 v[130:133], v124 offset0:26 offset1:27
	v_pk_add_f32 v[64:65], v[64:65], v[134:135] neg_lo:[0,1] neg_hi:[0,1]
	s_wait_dscnt 0x0
	v_pk_mul_f32 v[134:135], v[130:131], v[122:123] op_sel:[0,1]
	s_delay_alu instid0(VALU_DEP_1) | instskip(SKIP_1) | instid1(VALU_DEP_1)
	v_pk_fma_f32 v[136:137], v[130:131], v[120:121], v[134:135] op_sel:[0,0,1] op_sel_hi:[1,1,0] neg_lo:[0,0,1] neg_hi:[0,0,1]
	v_pk_fma_f32 v[130:131], v[130:131], v[120:121], v[134:135] op_sel:[0,0,1] op_sel_hi:[1,0,0]
	v_mov_b32_e32 v137, v131
	v_pk_mul_f32 v[130:131], v[132:133], v[122:123] op_sel:[0,1]
	s_delay_alu instid0(VALU_DEP_2) | instskip(NEXT) | instid1(VALU_DEP_2)
	v_pk_add_f32 v[66:67], v[66:67], v[136:137] neg_lo:[0,1] neg_hi:[0,1]
	v_pk_fma_f32 v[134:135], v[132:133], v[120:121], v[130:131] op_sel:[0,0,1] op_sel_hi:[1,1,0] neg_lo:[0,0,1] neg_hi:[0,0,1]
	v_pk_fma_f32 v[130:131], v[132:133], v[120:121], v[130:131] op_sel:[0,0,1] op_sel_hi:[1,0,0]
	s_delay_alu instid0(VALU_DEP_1) | instskip(SKIP_4) | instid1(VALU_DEP_1)
	v_mov_b32_e32 v135, v131
	ds_load_2addr_b64 v[130:133], v124 offset0:28 offset1:29
	v_pk_add_f32 v[62:63], v[62:63], v[134:135] neg_lo:[0,1] neg_hi:[0,1]
	s_wait_dscnt 0x0
	v_pk_mul_f32 v[134:135], v[130:131], v[122:123] op_sel:[0,1]
	v_pk_fma_f32 v[136:137], v[130:131], v[120:121], v[134:135] op_sel:[0,0,1] op_sel_hi:[1,1,0] neg_lo:[0,0,1] neg_hi:[0,0,1]
	v_pk_fma_f32 v[130:131], v[130:131], v[120:121], v[134:135] op_sel:[0,0,1] op_sel_hi:[1,0,0]
	v_dual_mul_f32 v134, v133, v123 :: v_dual_mov_b32 v130, v133
	s_delay_alu instid0(VALU_DEP_2) | instskip(NEXT) | instid1(VALU_DEP_2)
	v_dual_mov_b32 v137, v131 :: v_dual_mov_b32 v131, v132
	v_pk_fma_f32 v[134:135], v[132:133], v[90:91], v[134:135] op_sel_hi:[1,1,0] neg_lo:[0,0,1] neg_hi:[0,0,1]
	v_mul_f32_e32 v132, v133, v120
	s_delay_alu instid0(VALU_DEP_3) | instskip(NEXT) | instid1(VALU_DEP_2)
	v_pk_add_f32 v[60:61], v[60:61], v[136:137] neg_lo:[0,1] neg_hi:[0,1]
	v_pk_fma_f32 v[130:131], v[130:131], v[90:91], v[132:133] op_sel_hi:[1,1,0]
	s_delay_alu instid0(VALU_DEP_1) | instskip(SKIP_4) | instid1(VALU_DEP_1)
	v_mov_b32_e32 v135, v131
	ds_load_2addr_b64 v[130:133], v124 offset0:30 offset1:31
	v_pk_add_f32 v[56:57], v[56:57], v[134:135] neg_lo:[0,1] neg_hi:[0,1]
	s_wait_dscnt 0x0
	v_pk_mul_f32 v[134:135], v[130:131], v[122:123] op_sel:[0,1]
	v_pk_fma_f32 v[136:137], v[130:131], v[120:121], v[134:135] op_sel:[0,0,1] op_sel_hi:[1,1,0] neg_lo:[0,0,1] neg_hi:[0,0,1]
	v_pk_fma_f32 v[130:131], v[130:131], v[120:121], v[134:135] op_sel:[0,0,1] op_sel_hi:[1,0,0]
	s_delay_alu instid0(VALU_DEP_1) | instskip(SKIP_1) | instid1(VALU_DEP_1)
	v_mov_b32_e32 v137, v131
	v_pk_mul_f32 v[130:131], v[132:133], v[122:123] op_sel:[0,1]
	v_pk_fma_f32 v[134:135], v[132:133], v[120:121], v[130:131] op_sel:[0,0,1] op_sel_hi:[1,1,0] neg_lo:[0,0,1] neg_hi:[0,0,1]
	v_pk_fma_f32 v[130:131], v[132:133], v[120:121], v[130:131] op_sel:[0,0,1] op_sel_hi:[1,0,0]
	s_delay_alu instid0(VALU_DEP_1)
	v_mov_b32_e32 v135, v131
	ds_load_2addr_b64 v[130:133], v124 offset0:32 offset1:33
	v_pk_add_f32 v[58:59], v[58:59], v[136:137] neg_lo:[0,1] neg_hi:[0,1]
	v_pk_add_f32 v[54:55], v[54:55], v[134:135] neg_lo:[0,1] neg_hi:[0,1]
	s_wait_dscnt 0x0
	v_pk_mul_f32 v[134:135], v[130:131], v[122:123] op_sel:[0,1]
	s_delay_alu instid0(VALU_DEP_1) | instskip(SKIP_1) | instid1(VALU_DEP_1)
	v_pk_fma_f32 v[136:137], v[130:131], v[120:121], v[134:135] op_sel:[0,0,1] op_sel_hi:[1,1,0] neg_lo:[0,0,1] neg_hi:[0,0,1]
	v_pk_fma_f32 v[130:131], v[130:131], v[120:121], v[134:135] op_sel:[0,0,1] op_sel_hi:[1,0,0]
	v_mov_b32_e32 v137, v131
	v_pk_mul_f32 v[130:131], v[132:133], v[122:123] op_sel:[0,1]
	s_delay_alu instid0(VALU_DEP_1) | instskip(SKIP_1) | instid1(VALU_DEP_1)
	v_pk_fma_f32 v[134:135], v[132:133], v[120:121], v[130:131] op_sel:[0,0,1] op_sel_hi:[1,1,0] neg_lo:[0,0,1] neg_hi:[0,0,1]
	v_pk_fma_f32 v[130:131], v[132:133], v[120:121], v[130:131] op_sel:[0,0,1] op_sel_hi:[1,0,0]
	v_mov_b32_e32 v135, v131
	ds_load_2addr_b64 v[130:133], v124 offset0:34 offset1:35
	v_pk_add_f32 v[52:53], v[52:53], v[136:137] neg_lo:[0,1] neg_hi:[0,1]
	v_pk_add_f32 v[48:49], v[48:49], v[134:135] neg_lo:[0,1] neg_hi:[0,1]
	s_wait_dscnt 0x0
	v_dual_mul_f32 v134, v131, v123 :: v_dual_mul_f32 v136, v131, v120
	s_delay_alu instid0(VALU_DEP_1) | instskip(NEXT) | instid1(VALU_DEP_2)
	v_pk_fma_f32 v[134:135], v[130:131], v[90:91], v[134:135] op_sel_hi:[1,1,0] neg_lo:[0,0,1] neg_hi:[0,0,1]
	v_pk_fma_f32 v[130:131], v[130:131], v[90:91], v[136:137] op_sel:[1,0,0] op_sel_hi:[0,1,0]
	s_delay_alu instid0(VALU_DEP_1) | instskip(SKIP_1) | instid1(VALU_DEP_2)
	v_mov_b32_e32 v135, v131
	v_pk_mul_f32 v[130:131], v[132:133], v[122:123] op_sel:[0,1]
	v_pk_add_f32 v[50:51], v[50:51], v[134:135] neg_lo:[0,1] neg_hi:[0,1]
	s_delay_alu instid0(VALU_DEP_2) | instskip(SKIP_1) | instid1(VALU_DEP_1)
	v_pk_fma_f32 v[134:135], v[132:133], v[120:121], v[130:131] op_sel:[0,0,1] op_sel_hi:[1,1,0] neg_lo:[0,0,1] neg_hi:[0,0,1]
	v_pk_fma_f32 v[130:131], v[132:133], v[120:121], v[130:131] op_sel:[0,0,1] op_sel_hi:[1,0,0]
	v_mov_b32_e32 v135, v131
	ds_load_2addr_b64 v[130:133], v124 offset0:36 offset1:37
	v_pk_add_f32 v[46:47], v[46:47], v[134:135] neg_lo:[0,1] neg_hi:[0,1]
	s_wait_dscnt 0x0
	v_pk_mul_f32 v[134:135], v[130:131], v[122:123] op_sel:[0,1]
	s_delay_alu instid0(VALU_DEP_1) | instskip(SKIP_1) | instid1(VALU_DEP_1)
	v_pk_fma_f32 v[136:137], v[130:131], v[120:121], v[134:135] op_sel:[0,0,1] op_sel_hi:[1,1,0] neg_lo:[0,0,1] neg_hi:[0,0,1]
	v_pk_fma_f32 v[130:131], v[130:131], v[120:121], v[134:135] op_sel:[0,0,1] op_sel_hi:[1,0,0]
	v_mov_b32_e32 v137, v131
	v_pk_mul_f32 v[130:131], v[132:133], v[122:123] op_sel:[0,1]
	s_delay_alu instid0(VALU_DEP_2) | instskip(NEXT) | instid1(VALU_DEP_2)
	v_pk_add_f32 v[44:45], v[44:45], v[136:137] neg_lo:[0,1] neg_hi:[0,1]
	v_pk_fma_f32 v[134:135], v[132:133], v[120:121], v[130:131] op_sel:[0,0,1] op_sel_hi:[1,1,0] neg_lo:[0,0,1] neg_hi:[0,0,1]
	v_pk_fma_f32 v[130:131], v[132:133], v[120:121], v[130:131] op_sel:[0,0,1] op_sel_hi:[1,0,0]
	s_delay_alu instid0(VALU_DEP_1) | instskip(SKIP_4) | instid1(VALU_DEP_1)
	v_mov_b32_e32 v135, v131
	ds_load_2addr_b64 v[130:133], v124 offset0:38 offset1:39
	v_pk_add_f32 v[40:41], v[40:41], v[134:135] neg_lo:[0,1] neg_hi:[0,1]
	s_wait_dscnt 0x0
	v_pk_mul_f32 v[134:135], v[130:131], v[122:123] op_sel:[0,1]
	v_pk_fma_f32 v[136:137], v[130:131], v[120:121], v[134:135] op_sel:[0,0,1] op_sel_hi:[1,1,0] neg_lo:[0,0,1] neg_hi:[0,0,1]
	v_pk_fma_f32 v[130:131], v[130:131], v[120:121], v[134:135] op_sel:[0,0,1] op_sel_hi:[1,0,0]
	v_dual_mul_f32 v134, v133, v123 :: v_dual_mov_b32 v130, v133
	s_delay_alu instid0(VALU_DEP_2) | instskip(NEXT) | instid1(VALU_DEP_2)
	v_dual_mov_b32 v137, v131 :: v_dual_mov_b32 v131, v132
	v_pk_fma_f32 v[134:135], v[132:133], v[90:91], v[134:135] op_sel_hi:[1,1,0] neg_lo:[0,0,1] neg_hi:[0,0,1]
	v_mul_f32_e32 v132, v133, v120
	s_delay_alu instid0(VALU_DEP_3) | instskip(NEXT) | instid1(VALU_DEP_2)
	v_pk_add_f32 v[42:43], v[42:43], v[136:137] neg_lo:[0,1] neg_hi:[0,1]
	v_pk_fma_f32 v[130:131], v[130:131], v[90:91], v[132:133] op_sel_hi:[1,1,0]
	s_delay_alu instid0(VALU_DEP_1) | instskip(SKIP_4) | instid1(VALU_DEP_1)
	v_mov_b32_e32 v135, v131
	ds_load_2addr_b64 v[130:133], v124 offset0:40 offset1:41
	v_pk_add_f32 v[38:39], v[38:39], v[134:135] neg_lo:[0,1] neg_hi:[0,1]
	s_wait_dscnt 0x0
	v_pk_mul_f32 v[134:135], v[130:131], v[122:123] op_sel:[0,1]
	v_pk_fma_f32 v[136:137], v[130:131], v[120:121], v[134:135] op_sel:[0,0,1] op_sel_hi:[1,1,0] neg_lo:[0,0,1] neg_hi:[0,0,1]
	v_pk_fma_f32 v[130:131], v[130:131], v[120:121], v[134:135] op_sel:[0,0,1] op_sel_hi:[1,0,0]
	s_delay_alu instid0(VALU_DEP_1) | instskip(SKIP_1) | instid1(VALU_DEP_1)
	v_mov_b32_e32 v137, v131
	v_pk_mul_f32 v[130:131], v[132:133], v[122:123] op_sel:[0,1]
	v_pk_fma_f32 v[134:135], v[132:133], v[120:121], v[130:131] op_sel:[0,0,1] op_sel_hi:[1,1,0] neg_lo:[0,0,1] neg_hi:[0,0,1]
	v_pk_fma_f32 v[130:131], v[132:133], v[120:121], v[130:131] op_sel:[0,0,1] op_sel_hi:[1,0,0]
	s_delay_alu instid0(VALU_DEP_1)
	v_mov_b32_e32 v135, v131
	ds_load_2addr_b64 v[130:133], v124 offset0:42 offset1:43
	v_pk_add_f32 v[36:37], v[36:37], v[136:137] neg_lo:[0,1] neg_hi:[0,1]
	v_pk_add_f32 v[32:33], v[32:33], v[134:135] neg_lo:[0,1] neg_hi:[0,1]
	s_wait_dscnt 0x0
	v_pk_mul_f32 v[134:135], v[130:131], v[122:123] op_sel:[0,1]
	s_delay_alu instid0(VALU_DEP_1) | instskip(SKIP_1) | instid1(VALU_DEP_1)
	v_pk_fma_f32 v[136:137], v[130:131], v[120:121], v[134:135] op_sel:[0,0,1] op_sel_hi:[1,1,0] neg_lo:[0,0,1] neg_hi:[0,0,1]
	v_pk_fma_f32 v[130:131], v[130:131], v[120:121], v[134:135] op_sel:[0,0,1] op_sel_hi:[1,0,0]
	v_mov_b32_e32 v137, v131
	v_pk_mul_f32 v[130:131], v[132:133], v[122:123] op_sel:[0,1]
	s_delay_alu instid0(VALU_DEP_1) | instskip(SKIP_1) | instid1(VALU_DEP_1)
	v_pk_fma_f32 v[134:135], v[132:133], v[120:121], v[130:131] op_sel:[0,0,1] op_sel_hi:[1,1,0] neg_lo:[0,0,1] neg_hi:[0,0,1]
	v_pk_fma_f32 v[130:131], v[132:133], v[120:121], v[130:131] op_sel:[0,0,1] op_sel_hi:[1,0,0]
	v_mov_b32_e32 v135, v131
	ds_load_2addr_b64 v[130:133], v124 offset0:44 offset1:45
	v_pk_add_f32 v[34:35], v[34:35], v[136:137] neg_lo:[0,1] neg_hi:[0,1]
	v_pk_add_f32 v[30:31], v[30:31], v[134:135] neg_lo:[0,1] neg_hi:[0,1]
	s_wait_dscnt 0x0
	v_dual_mul_f32 v134, v131, v123 :: v_dual_mul_f32 v136, v131, v120
	s_delay_alu instid0(VALU_DEP_1) | instskip(NEXT) | instid1(VALU_DEP_2)
	v_pk_fma_f32 v[134:135], v[130:131], v[90:91], v[134:135] op_sel_hi:[1,1,0] neg_lo:[0,0,1] neg_hi:[0,0,1]
	v_pk_fma_f32 v[130:131], v[130:131], v[90:91], v[136:137] op_sel:[1,0,0] op_sel_hi:[0,1,0]
	s_delay_alu instid0(VALU_DEP_1) | instskip(SKIP_1) | instid1(VALU_DEP_2)
	v_mov_b32_e32 v135, v131
	v_pk_mul_f32 v[130:131], v[132:133], v[122:123] op_sel:[0,1]
	v_pk_add_f32 v[26:27], v[26:27], v[134:135] neg_lo:[0,1] neg_hi:[0,1]
	s_delay_alu instid0(VALU_DEP_2) | instskip(SKIP_1) | instid1(VALU_DEP_1)
	v_pk_fma_f32 v[134:135], v[132:133], v[120:121], v[130:131] op_sel:[0,0,1] op_sel_hi:[1,1,0] neg_lo:[0,0,1] neg_hi:[0,0,1]
	v_pk_fma_f32 v[130:131], v[132:133], v[120:121], v[130:131] op_sel:[0,0,1] op_sel_hi:[1,0,0]
	v_mov_b32_e32 v135, v131
	ds_load_2addr_b64 v[130:133], v124 offset0:46 offset1:47
	v_pk_add_f32 v[22:23], v[22:23], v[134:135] neg_lo:[0,1] neg_hi:[0,1]
	s_wait_dscnt 0x0
	v_pk_mul_f32 v[134:135], v[130:131], v[122:123] op_sel:[0,1]
	s_delay_alu instid0(VALU_DEP_1) | instskip(SKIP_1) | instid1(VALU_DEP_1)
	v_pk_fma_f32 v[136:137], v[130:131], v[120:121], v[134:135] op_sel:[0,0,1] op_sel_hi:[1,1,0] neg_lo:[0,0,1] neg_hi:[0,0,1]
	v_pk_fma_f32 v[130:131], v[130:131], v[120:121], v[134:135] op_sel:[0,0,1] op_sel_hi:[1,0,0]
	v_mov_b32_e32 v137, v131
	v_pk_mul_f32 v[130:131], v[132:133], v[122:123] op_sel:[0,1]
	s_delay_alu instid0(VALU_DEP_2) | instskip(NEXT) | instid1(VALU_DEP_2)
	v_pk_add_f32 v[24:25], v[24:25], v[136:137] neg_lo:[0,1] neg_hi:[0,1]
	v_pk_fma_f32 v[134:135], v[132:133], v[120:121], v[130:131] op_sel:[0,0,1] op_sel_hi:[1,1,0] neg_lo:[0,0,1] neg_hi:[0,0,1]
	v_pk_fma_f32 v[130:131], v[132:133], v[120:121], v[130:131] op_sel:[0,0,1] op_sel_hi:[1,0,0]
	s_delay_alu instid0(VALU_DEP_1) | instskip(SKIP_4) | instid1(VALU_DEP_1)
	v_mov_b32_e32 v135, v131
	ds_load_2addr_b64 v[130:133], v124 offset0:48 offset1:49
	v_pk_add_f32 v[20:21], v[20:21], v[134:135] neg_lo:[0,1] neg_hi:[0,1]
	s_wait_dscnt 0x0
	v_pk_mul_f32 v[134:135], v[130:131], v[122:123] op_sel:[0,1]
	v_pk_fma_f32 v[136:137], v[130:131], v[120:121], v[134:135] op_sel:[0,0,1] op_sel_hi:[1,1,0] neg_lo:[0,0,1] neg_hi:[0,0,1]
	v_pk_fma_f32 v[130:131], v[130:131], v[120:121], v[134:135] op_sel:[0,0,1] op_sel_hi:[1,0,0]
	v_dual_mul_f32 v134, v133, v123 :: v_dual_mov_b32 v130, v133
	s_delay_alu instid0(VALU_DEP_2) | instskip(NEXT) | instid1(VALU_DEP_2)
	v_dual_mov_b32 v137, v131 :: v_dual_mov_b32 v131, v132
	v_pk_fma_f32 v[134:135], v[132:133], v[90:91], v[134:135] op_sel_hi:[1,1,0] neg_lo:[0,0,1] neg_hi:[0,0,1]
	v_mul_f32_e32 v132, v133, v120
	s_delay_alu instid0(VALU_DEP_3) | instskip(NEXT) | instid1(VALU_DEP_2)
	v_pk_add_f32 v[14:15], v[14:15], v[136:137] neg_lo:[0,1] neg_hi:[0,1]
	v_pk_fma_f32 v[130:131], v[130:131], v[90:91], v[132:133] op_sel_hi:[1,1,0]
	s_delay_alu instid0(VALU_DEP_1) | instskip(SKIP_4) | instid1(VALU_DEP_1)
	v_mov_b32_e32 v135, v131
	ds_load_2addr_b64 v[130:133], v124 offset0:50 offset1:51
	v_pk_add_f32 v[10:11], v[10:11], v[134:135] neg_lo:[0,1] neg_hi:[0,1]
	s_wait_dscnt 0x0
	v_pk_mul_f32 v[134:135], v[130:131], v[122:123] op_sel:[0,1]
	v_pk_fma_f32 v[136:137], v[130:131], v[120:121], v[134:135] op_sel:[0,0,1] op_sel_hi:[1,1,0] neg_lo:[0,0,1] neg_hi:[0,0,1]
	v_pk_fma_f32 v[130:131], v[130:131], v[120:121], v[134:135] op_sel:[0,0,1] op_sel_hi:[1,0,0]
	s_delay_alu instid0(VALU_DEP_1) | instskip(SKIP_1) | instid1(VALU_DEP_1)
	v_mov_b32_e32 v137, v131
	v_pk_mul_f32 v[130:131], v[132:133], v[122:123] op_sel:[0,1]
	v_pk_fma_f32 v[134:135], v[132:133], v[120:121], v[130:131] op_sel:[0,0,1] op_sel_hi:[1,1,0] neg_lo:[0,0,1] neg_hi:[0,0,1]
	v_pk_fma_f32 v[130:131], v[132:133], v[120:121], v[130:131] op_sel:[0,0,1] op_sel_hi:[1,0,0]
	s_delay_alu instid0(VALU_DEP_1)
	v_mov_b32_e32 v135, v131
	ds_load_2addr_b64 v[130:133], v124 offset0:52 offset1:53
	v_pk_add_f32 v[12:13], v[12:13], v[136:137] neg_lo:[0,1] neg_hi:[0,1]
	v_pk_add_f32 v[8:9], v[8:9], v[134:135] neg_lo:[0,1] neg_hi:[0,1]
	s_wait_dscnt 0x0
	v_pk_mul_f32 v[134:135], v[130:131], v[122:123] op_sel:[0,1]
	s_delay_alu instid0(VALU_DEP_1) | instskip(SKIP_1) | instid1(VALU_DEP_1)
	v_pk_fma_f32 v[136:137], v[130:131], v[120:121], v[134:135] op_sel:[0,0,1] op_sel_hi:[1,1,0] neg_lo:[0,0,1] neg_hi:[0,0,1]
	v_pk_fma_f32 v[130:131], v[130:131], v[120:121], v[134:135] op_sel:[0,0,1] op_sel_hi:[1,0,0]
	v_mov_b32_e32 v137, v131
	v_pk_mul_f32 v[130:131], v[132:133], v[122:123] op_sel:[0,1]
	s_delay_alu instid0(VALU_DEP_1) | instskip(SKIP_1) | instid1(VALU_DEP_1)
	v_pk_fma_f32 v[134:135], v[132:133], v[120:121], v[130:131] op_sel:[0,0,1] op_sel_hi:[1,1,0] neg_lo:[0,0,1] neg_hi:[0,0,1]
	v_pk_fma_f32 v[130:131], v[132:133], v[120:121], v[130:131] op_sel:[0,0,1] op_sel_hi:[1,0,0]
	v_mov_b32_e32 v135, v131
	ds_load_2addr_b64 v[130:133], v124 offset0:54 offset1:55
	v_pk_add_f32 v[6:7], v[6:7], v[136:137] neg_lo:[0,1] neg_hi:[0,1]
	v_pk_add_f32 v[28:29], v[28:29], v[134:135] neg_lo:[0,1] neg_hi:[0,1]
	s_wait_dscnt 0x0
	v_dual_mul_f32 v134, v131, v123 :: v_dual_mul_f32 v136, v131, v120
	s_delay_alu instid0(VALU_DEP_1) | instskip(NEXT) | instid1(VALU_DEP_2)
	v_pk_fma_f32 v[134:135], v[130:131], v[90:91], v[134:135] op_sel_hi:[1,1,0] neg_lo:[0,0,1] neg_hi:[0,0,1]
	v_pk_fma_f32 v[130:131], v[130:131], v[90:91], v[136:137] op_sel:[1,0,0] op_sel_hi:[0,1,0]
	s_delay_alu instid0(VALU_DEP_1) | instskip(SKIP_1) | instid1(VALU_DEP_2)
	v_mov_b32_e32 v135, v131
	v_pk_mul_f32 v[130:131], v[132:133], v[122:123] op_sel:[0,1]
	v_pk_add_f32 v[18:19], v[18:19], v[134:135] neg_lo:[0,1] neg_hi:[0,1]
	s_delay_alu instid0(VALU_DEP_2) | instskip(SKIP_1) | instid1(VALU_DEP_1)
	v_pk_fma_f32 v[134:135], v[132:133], v[120:121], v[130:131] op_sel:[0,0,1] op_sel_hi:[1,1,0] neg_lo:[0,0,1] neg_hi:[0,0,1]
	v_pk_fma_f32 v[130:131], v[132:133], v[120:121], v[130:131] op_sel:[0,0,1] op_sel_hi:[1,0,0]
	v_mov_b32_e32 v135, v131
	ds_load_b64 v[130:131], v124 offset:448
	v_pk_add_f32 v[16:17], v[16:17], v[134:135] neg_lo:[0,1] neg_hi:[0,1]
	s_wait_dscnt 0x0
	v_pk_mul_f32 v[122:123], v[130:131], v[122:123] op_sel:[0,1]
	s_delay_alu instid0(VALU_DEP_1) | instskip(SKIP_1) | instid1(VALU_DEP_1)
	v_pk_fma_f32 v[132:133], v[130:131], v[120:121], v[122:123] op_sel:[0,0,1] op_sel_hi:[1,1,0] neg_lo:[0,0,1] neg_hi:[0,0,1]
	v_pk_fma_f32 v[120:121], v[130:131], v[120:121], v[122:123] op_sel:[0,0,1] op_sel_hi:[1,0,0]
	v_mov_b32_e32 v133, v121
	s_delay_alu instid0(VALU_DEP_1)
	v_pk_add_f32 v[118:119], v[118:119], v[132:133] neg_lo:[0,1] neg_hi:[0,1]
.LBB112_335:
	s_or_b32 exec_lo, exec_lo, s0
	v_lshl_add_u32 v120, v128, 3, v124
	s_barrier_signal -1
	s_barrier_wait -1
	ds_store_b64 v120, v[84:85]
	s_wait_dscnt 0x0
	s_barrier_signal -1
	s_barrier_wait -1
	ds_load_b64 v[122:123], v124 offset:128
	v_mov_b32_e32 v120, 16
	s_cmp_lt_i32 s18, 18
	s_cbranch_scc1 .LBB112_338
; %bb.336:
	v_add3_u32 v121, v125, 0, 0x88
	v_mov_b32_e32 v120, 16
	s_mov_b32 s0, 17
.LBB112_337:                            ; =>This Inner Loop Header: Depth=1
	ds_load_b64 v[130:131], v121
	s_wait_dscnt 0x1
	v_cmp_gt_f32_e32 vcc_lo, 0, v122
	v_cndmask_b32_e64 v132, v122, -v122, vcc_lo
	v_cmp_gt_f32_e32 vcc_lo, 0, v123
	v_cndmask_b32_e64 v134, v123, -v123, vcc_lo
	s_wait_dscnt 0x0
	v_cmp_gt_f32_e32 vcc_lo, 0, v130
	v_cndmask_b32_e64 v133, v130, -v130, vcc_lo
	v_cmp_gt_f32_e32 vcc_lo, 0, v131
	v_cndmask_b32_e64 v135, v131, -v131, vcc_lo
	s_delay_alu instid0(VALU_DEP_1) | instskip(NEXT) | instid1(VALU_DEP_1)
	v_pk_add_f32 v[132:133], v[132:133], v[134:135]
	v_cmp_lt_f32_e32 vcc_lo, v132, v133
	v_dual_add_nc_u32 v121, 8, v121 :: v_dual_cndmask_b32 v123, v123, v131, vcc_lo
	v_cndmask_b32_e32 v122, v122, v130, vcc_lo
	v_cndmask_b32_e64 v120, v120, s0, vcc_lo
	s_add_co_i32 s0, s0, 1
	s_delay_alu instid0(SALU_CYCLE_1)
	s_cmp_lg_u32 s18, s0
	s_cbranch_scc1 .LBB112_337
.LBB112_338:
	s_wait_dscnt 0x0
	v_cmp_eq_f32_e32 vcc_lo, 0, v122
	v_cmp_eq_f32_e64 s0, 0, v123
	s_and_b32 s0, vcc_lo, s0
	s_delay_alu instid0(SALU_CYCLE_1) | instskip(NEXT) | instid1(SALU_CYCLE_1)
	s_and_saveexec_b32 s1, s0
	s_xor_b32 s0, exec_lo, s1
; %bb.339:
	v_cmp_ne_u32_e32 vcc_lo, 0, v126
	v_cndmask_b32_e32 v126, 17, v126, vcc_lo
; %bb.340:
	s_and_not1_saveexec_b32 s0, s0
	s_cbranch_execz .LBB112_346
; %bb.341:
	v_cmp_ngt_f32_e64 s1, |v122|, |v123|
	s_and_saveexec_b32 s12, s1
	s_delay_alu instid0(SALU_CYCLE_1)
	s_xor_b32 s1, exec_lo, s12
	s_cbranch_execz .LBB112_343
; %bb.342:
	v_div_scale_f32 v121, null, v123, v123, v122
	v_div_scale_f32 v131, vcc_lo, v122, v123, v122
	s_delay_alu instid0(VALU_DEP_2) | instskip(SKIP_1) | instid1(TRANS32_DEP_1)
	v_rcp_f32_e32 v129, v121
	v_nop
	v_fma_f32 v130, -v121, v129, 1.0
	s_delay_alu instid0(VALU_DEP_1) | instskip(NEXT) | instid1(VALU_DEP_1)
	v_fmac_f32_e32 v129, v130, v129
	v_mul_f32_e32 v130, v131, v129
	s_delay_alu instid0(VALU_DEP_1) | instskip(NEXT) | instid1(VALU_DEP_1)
	v_fma_f32 v132, -v121, v130, v131
	v_fmac_f32_e32 v130, v132, v129
	s_delay_alu instid0(VALU_DEP_1) | instskip(NEXT) | instid1(VALU_DEP_1)
	v_fma_f32 v121, -v121, v130, v131
	v_div_fmas_f32 v121, v121, v129, v130
	s_delay_alu instid0(VALU_DEP_1) | instskip(NEXT) | instid1(VALU_DEP_1)
	v_div_fixup_f32 v121, v121, v123, v122
	v_fmac_f32_e32 v123, v122, v121
	s_delay_alu instid0(VALU_DEP_1) | instskip(SKIP_1) | instid1(VALU_DEP_2)
	v_div_scale_f32 v122, null, v123, v123, 1.0
	v_div_scale_f32 v131, vcc_lo, 1.0, v123, 1.0
	v_rcp_f32_e32 v129, v122
	v_nop
	s_delay_alu instid0(TRANS32_DEP_1) | instskip(NEXT) | instid1(VALU_DEP_1)
	v_fma_f32 v130, -v122, v129, 1.0
	v_fmac_f32_e32 v129, v130, v129
	s_delay_alu instid0(VALU_DEP_1) | instskip(NEXT) | instid1(VALU_DEP_1)
	v_mul_f32_e32 v130, v131, v129
	v_fma_f32 v132, -v122, v130, v131
	s_delay_alu instid0(VALU_DEP_1) | instskip(NEXT) | instid1(VALU_DEP_1)
	v_fmac_f32_e32 v130, v132, v129
	v_fma_f32 v122, -v122, v130, v131
	s_delay_alu instid0(VALU_DEP_1) | instskip(NEXT) | instid1(VALU_DEP_1)
	v_div_fmas_f32 v122, v122, v129, v130
	v_div_fixup_f32 v123, v122, v123, 1.0
	s_delay_alu instid0(VALU_DEP_1)
	v_mul_f32_e32 v122, v121, v123
	v_xor_b32_e32 v123, 0x80000000, v123
.LBB112_343:
	s_and_not1_saveexec_b32 s1, s1
	s_cbranch_execz .LBB112_345
; %bb.344:
	s_delay_alu instid0(VALU_DEP_1) | instskip(SKIP_1) | instid1(VALU_DEP_2)
	v_div_scale_f32 v121, null, v122, v122, v123
	v_div_scale_f32 v131, vcc_lo, v123, v122, v123
	v_rcp_f32_e32 v129, v121
	v_nop
	s_delay_alu instid0(TRANS32_DEP_1) | instskip(NEXT) | instid1(VALU_DEP_1)
	v_fma_f32 v130, -v121, v129, 1.0
	v_fmac_f32_e32 v129, v130, v129
	s_delay_alu instid0(VALU_DEP_1) | instskip(NEXT) | instid1(VALU_DEP_1)
	v_mul_f32_e32 v130, v131, v129
	v_fma_f32 v132, -v121, v130, v131
	s_delay_alu instid0(VALU_DEP_1) | instskip(NEXT) | instid1(VALU_DEP_1)
	v_fmac_f32_e32 v130, v132, v129
	v_fma_f32 v121, -v121, v130, v131
	s_delay_alu instid0(VALU_DEP_1) | instskip(NEXT) | instid1(VALU_DEP_1)
	v_div_fmas_f32 v121, v121, v129, v130
	v_div_fixup_f32 v121, v121, v122, v123
	s_delay_alu instid0(VALU_DEP_1) | instskip(NEXT) | instid1(VALU_DEP_1)
	v_fmac_f32_e32 v122, v123, v121
	v_div_scale_f32 v123, null, v122, v122, 1.0
	s_delay_alu instid0(VALU_DEP_1) | instskip(SKIP_1) | instid1(TRANS32_DEP_1)
	v_rcp_f32_e32 v129, v123
	v_nop
	v_fma_f32 v130, -v123, v129, 1.0
	s_delay_alu instid0(VALU_DEP_1) | instskip(SKIP_1) | instid1(VALU_DEP_1)
	v_fmac_f32_e32 v129, v130, v129
	v_div_scale_f32 v130, vcc_lo, 1.0, v122, 1.0
	v_mul_f32_e32 v131, v130, v129
	s_delay_alu instid0(VALU_DEP_1) | instskip(NEXT) | instid1(VALU_DEP_1)
	v_fma_f32 v132, -v123, v131, v130
	v_fmac_f32_e32 v131, v132, v129
	s_delay_alu instid0(VALU_DEP_1) | instskip(NEXT) | instid1(VALU_DEP_1)
	v_fma_f32 v123, -v123, v131, v130
	v_div_fmas_f32 v123, v123, v129, v131
	s_delay_alu instid0(VALU_DEP_1) | instskip(NEXT) | instid1(VALU_DEP_1)
	v_div_fixup_f32 v122, v123, v122, 1.0
	v_mul_f32_e64 v123, v121, -v122
.LBB112_345:
	s_or_b32 exec_lo, exec_lo, s1
.LBB112_346:
	s_delay_alu instid0(SALU_CYCLE_1) | instskip(NEXT) | instid1(SALU_CYCLE_1)
	s_or_b32 exec_lo, exec_lo, s0
	s_mov_b32 s0, exec_lo
	v_cmpx_ne_u32_e64 v128, v120
	s_xor_b32 s0, exec_lo, s0
	s_cbranch_execz .LBB112_352
; %bb.347:
	s_mov_b32 s1, exec_lo
	v_cmpx_eq_u32_e32 16, v128
	s_cbranch_execz .LBB112_351
; %bb.348:
	v_cmp_ne_u32_e32 vcc_lo, 16, v120
	s_xor_b32 s12, s16, -1
	s_delay_alu instid0(SALU_CYCLE_1) | instskip(NEXT) | instid1(SALU_CYCLE_1)
	s_and_b32 s13, s12, vcc_lo
	s_and_saveexec_b32 s12, s13
	s_cbranch_execz .LBB112_350
; %bb.349:
	v_ashrrev_i32_e32 v121, 31, v120
	s_delay_alu instid0(VALU_DEP_1)
	v_lshl_add_u64 v[128:129], v[120:121], 2, v[4:5]
	s_clause 0x1
	global_load_b32 v121, v[128:129], off
	global_load_b32 v127, v[4:5], off offset:64
	s_wait_loadcnt 0x1
	global_store_b32 v[4:5], v121, off offset:64
	s_wait_loadcnt 0x0
	global_store_b32 v[128:129], v127, off
.LBB112_350:
	s_wait_xcnt 0x0
	s_or_b32 exec_lo, exec_lo, s12
	v_dual_mov_b32 v128, v120 :: v_dual_mov_b32 v127, v120
.LBB112_351:
	s_or_b32 exec_lo, exec_lo, s1
.LBB112_352:
	s_and_not1_saveexec_b32 s0, s0
	s_cbranch_execz .LBB112_354
; %bb.353:
	v_mov_b32_e32 v128, 16
	ds_store_2addr_b64 v124, v[80:81], v[82:83] offset0:17 offset1:18
	ds_store_2addr_b64 v124, v[78:79], v[76:77] offset0:19 offset1:20
	;; [unrolled: 1-line block ×20, first 2 shown]
.LBB112_354:
	s_or_b32 exec_lo, exec_lo, s0
	s_delay_alu instid0(SALU_CYCLE_1)
	s_mov_b32 s0, exec_lo
	s_wait_storecnt_dscnt 0x0
	s_barrier_signal -1
	s_barrier_wait -1
	v_cmpx_lt_i32_e32 16, v128
	s_cbranch_execz .LBB112_356
; %bb.355:
	v_pk_mul_f32 v[130:131], v[122:123], v[84:85] op_sel:[1,1] op_sel_hi:[0,1]
	s_delay_alu instid0(VALU_DEP_1)
	v_pk_fma_f32 v[120:121], v[122:123], v[84:85], v[130:131] op_sel_hi:[1,0,1] neg_lo:[0,0,1] neg_hi:[0,0,1]
	v_pk_fma_f32 v[122:123], v[122:123], v[84:85], v[130:131] op_sel_hi:[1,0,1]
	ds_load_2addr_b64 v[130:133], v124 offset0:17 offset1:18
	v_dual_mov_b32 v84, v120 :: v_dual_mov_b32 v85, v123
	s_wait_dscnt 0x0
	v_pk_mul_f32 v[134:135], v[130:131], v[122:123] op_sel:[0,1]
	s_delay_alu instid0(VALU_DEP_1) | instskip(SKIP_1) | instid1(VALU_DEP_1)
	v_pk_fma_f32 v[136:137], v[130:131], v[120:121], v[134:135] op_sel:[0,0,1] op_sel_hi:[1,1,0] neg_lo:[0,0,1] neg_hi:[0,0,1]
	v_pk_fma_f32 v[130:131], v[130:131], v[120:121], v[134:135] op_sel:[0,0,1] op_sel_hi:[1,0,0]
	v_mov_b32_e32 v137, v131
	v_pk_mul_f32 v[130:131], v[132:133], v[122:123] op_sel:[0,1]
	s_delay_alu instid0(VALU_DEP_1) | instskip(SKIP_1) | instid1(VALU_DEP_1)
	v_pk_fma_f32 v[134:135], v[132:133], v[120:121], v[130:131] op_sel:[0,0,1] op_sel_hi:[1,1,0] neg_lo:[0,0,1] neg_hi:[0,0,1]
	v_pk_fma_f32 v[130:131], v[132:133], v[120:121], v[130:131] op_sel:[0,0,1] op_sel_hi:[1,0,0]
	v_mov_b32_e32 v135, v131
	ds_load_2addr_b64 v[130:133], v124 offset0:19 offset1:20
	v_pk_add_f32 v[80:81], v[80:81], v[136:137] neg_lo:[0,1] neg_hi:[0,1]
	v_pk_add_f32 v[82:83], v[82:83], v[134:135] neg_lo:[0,1] neg_hi:[0,1]
	s_wait_dscnt 0x0
	v_pk_mul_f32 v[134:135], v[130:131], v[122:123] op_sel:[0,1]
	s_delay_alu instid0(VALU_DEP_1) | instskip(SKIP_2) | instid1(VALU_DEP_2)
	v_pk_fma_f32 v[136:137], v[130:131], v[120:121], v[134:135] op_sel:[0,0,1] op_sel_hi:[1,1,0] neg_lo:[0,0,1] neg_hi:[0,0,1]
	v_pk_fma_f32 v[130:131], v[130:131], v[120:121], v[134:135] op_sel:[0,0,1] op_sel_hi:[1,0,0]
	v_dual_mul_f32 v134, v133, v123 :: v_dual_mov_b32 v130, v133
	v_dual_mov_b32 v137, v131 :: v_dual_mov_b32 v131, v132
	s_delay_alu instid0(VALU_DEP_2) | instskip(SKIP_1) | instid1(VALU_DEP_3)
	v_pk_fma_f32 v[134:135], v[132:133], v[84:85], v[134:135] op_sel_hi:[1,1,0] neg_lo:[0,0,1] neg_hi:[0,0,1]
	v_mul_f32_e32 v132, v133, v120
	v_pk_add_f32 v[78:79], v[78:79], v[136:137] neg_lo:[0,1] neg_hi:[0,1]
	s_delay_alu instid0(VALU_DEP_2) | instskip(NEXT) | instid1(VALU_DEP_1)
	v_pk_fma_f32 v[130:131], v[130:131], v[84:85], v[132:133] op_sel_hi:[1,1,0]
	v_mov_b32_e32 v135, v131
	ds_load_2addr_b64 v[130:133], v124 offset0:21 offset1:22
	v_pk_add_f32 v[76:77], v[76:77], v[134:135] neg_lo:[0,1] neg_hi:[0,1]
	s_wait_dscnt 0x0
	v_pk_mul_f32 v[134:135], v[130:131], v[122:123] op_sel:[0,1]
	s_delay_alu instid0(VALU_DEP_1) | instskip(SKIP_1) | instid1(VALU_DEP_1)
	v_pk_fma_f32 v[136:137], v[130:131], v[120:121], v[134:135] op_sel:[0,0,1] op_sel_hi:[1,1,0] neg_lo:[0,0,1] neg_hi:[0,0,1]
	v_pk_fma_f32 v[130:131], v[130:131], v[120:121], v[134:135] op_sel:[0,0,1] op_sel_hi:[1,0,0]
	v_mov_b32_e32 v137, v131
	v_pk_mul_f32 v[130:131], v[132:133], v[122:123] op_sel:[0,1]
	s_delay_alu instid0(VALU_DEP_1) | instskip(SKIP_1) | instid1(VALU_DEP_1)
	v_pk_fma_f32 v[134:135], v[132:133], v[120:121], v[130:131] op_sel:[0,0,1] op_sel_hi:[1,1,0] neg_lo:[0,0,1] neg_hi:[0,0,1]
	v_pk_fma_f32 v[130:131], v[132:133], v[120:121], v[130:131] op_sel:[0,0,1] op_sel_hi:[1,0,0]
	v_mov_b32_e32 v135, v131
	ds_load_2addr_b64 v[130:133], v124 offset0:23 offset1:24
	v_pk_add_f32 v[72:73], v[72:73], v[136:137] neg_lo:[0,1] neg_hi:[0,1]
	v_pk_add_f32 v[74:75], v[74:75], v[134:135] neg_lo:[0,1] neg_hi:[0,1]
	s_wait_dscnt 0x0
	v_pk_mul_f32 v[134:135], v[130:131], v[122:123] op_sel:[0,1]
	s_delay_alu instid0(VALU_DEP_1) | instskip(SKIP_1) | instid1(VALU_DEP_1)
	v_pk_fma_f32 v[136:137], v[130:131], v[120:121], v[134:135] op_sel:[0,0,1] op_sel_hi:[1,1,0] neg_lo:[0,0,1] neg_hi:[0,0,1]
	v_pk_fma_f32 v[130:131], v[130:131], v[120:121], v[134:135] op_sel:[0,0,1] op_sel_hi:[1,0,0]
	v_mov_b32_e32 v137, v131
	v_pk_mul_f32 v[130:131], v[132:133], v[122:123] op_sel:[0,1]
	s_delay_alu instid0(VALU_DEP_1) | instskip(SKIP_1) | instid1(VALU_DEP_1)
	v_pk_fma_f32 v[134:135], v[132:133], v[120:121], v[130:131] op_sel:[0,0,1] op_sel_hi:[1,1,0] neg_lo:[0,0,1] neg_hi:[0,0,1]
	v_pk_fma_f32 v[130:131], v[132:133], v[120:121], v[130:131] op_sel:[0,0,1] op_sel_hi:[1,0,0]
	v_mov_b32_e32 v135, v131
	ds_load_2addr_b64 v[130:133], v124 offset0:25 offset1:26
	v_pk_add_f32 v[70:71], v[70:71], v[136:137] neg_lo:[0,1] neg_hi:[0,1]
	v_pk_add_f32 v[68:69], v[68:69], v[134:135] neg_lo:[0,1] neg_hi:[0,1]
	s_wait_dscnt 0x0
	v_dual_mul_f32 v134, v131, v123 :: v_dual_mul_f32 v136, v131, v120
	s_delay_alu instid0(VALU_DEP_1) | instskip(NEXT) | instid1(VALU_DEP_2)
	v_pk_fma_f32 v[134:135], v[130:131], v[84:85], v[134:135] op_sel_hi:[1,1,0] neg_lo:[0,0,1] neg_hi:[0,0,1]
	v_pk_fma_f32 v[130:131], v[130:131], v[84:85], v[136:137] op_sel:[1,0,0] op_sel_hi:[0,1,0]
	s_delay_alu instid0(VALU_DEP_1) | instskip(SKIP_1) | instid1(VALU_DEP_2)
	v_mov_b32_e32 v135, v131
	v_pk_mul_f32 v[130:131], v[132:133], v[122:123] op_sel:[0,1]
	v_pk_add_f32 v[64:65], v[64:65], v[134:135] neg_lo:[0,1] neg_hi:[0,1]
	s_delay_alu instid0(VALU_DEP_2) | instskip(SKIP_1) | instid1(VALU_DEP_1)
	v_pk_fma_f32 v[134:135], v[132:133], v[120:121], v[130:131] op_sel:[0,0,1] op_sel_hi:[1,1,0] neg_lo:[0,0,1] neg_hi:[0,0,1]
	v_pk_fma_f32 v[130:131], v[132:133], v[120:121], v[130:131] op_sel:[0,0,1] op_sel_hi:[1,0,0]
	v_mov_b32_e32 v135, v131
	ds_load_2addr_b64 v[130:133], v124 offset0:27 offset1:28
	v_pk_add_f32 v[66:67], v[66:67], v[134:135] neg_lo:[0,1] neg_hi:[0,1]
	s_wait_dscnt 0x0
	v_pk_mul_f32 v[134:135], v[130:131], v[122:123] op_sel:[0,1]
	s_delay_alu instid0(VALU_DEP_1) | instskip(SKIP_1) | instid1(VALU_DEP_1)
	v_pk_fma_f32 v[136:137], v[130:131], v[120:121], v[134:135] op_sel:[0,0,1] op_sel_hi:[1,1,0] neg_lo:[0,0,1] neg_hi:[0,0,1]
	v_pk_fma_f32 v[130:131], v[130:131], v[120:121], v[134:135] op_sel:[0,0,1] op_sel_hi:[1,0,0]
	v_mov_b32_e32 v137, v131
	v_pk_mul_f32 v[130:131], v[132:133], v[122:123] op_sel:[0,1]
	s_delay_alu instid0(VALU_DEP_2) | instskip(NEXT) | instid1(VALU_DEP_2)
	v_pk_add_f32 v[62:63], v[62:63], v[136:137] neg_lo:[0,1] neg_hi:[0,1]
	v_pk_fma_f32 v[134:135], v[132:133], v[120:121], v[130:131] op_sel:[0,0,1] op_sel_hi:[1,1,0] neg_lo:[0,0,1] neg_hi:[0,0,1]
	v_pk_fma_f32 v[130:131], v[132:133], v[120:121], v[130:131] op_sel:[0,0,1] op_sel_hi:[1,0,0]
	s_delay_alu instid0(VALU_DEP_1) | instskip(SKIP_4) | instid1(VALU_DEP_1)
	v_mov_b32_e32 v135, v131
	ds_load_2addr_b64 v[130:133], v124 offset0:29 offset1:30
	v_pk_add_f32 v[60:61], v[60:61], v[134:135] neg_lo:[0,1] neg_hi:[0,1]
	s_wait_dscnt 0x0
	v_pk_mul_f32 v[134:135], v[130:131], v[122:123] op_sel:[0,1]
	v_pk_fma_f32 v[136:137], v[130:131], v[120:121], v[134:135] op_sel:[0,0,1] op_sel_hi:[1,1,0] neg_lo:[0,0,1] neg_hi:[0,0,1]
	v_pk_fma_f32 v[130:131], v[130:131], v[120:121], v[134:135] op_sel:[0,0,1] op_sel_hi:[1,0,0]
	v_dual_mul_f32 v134, v133, v123 :: v_dual_mov_b32 v130, v133
	s_delay_alu instid0(VALU_DEP_2) | instskip(NEXT) | instid1(VALU_DEP_2)
	v_dual_mov_b32 v137, v131 :: v_dual_mov_b32 v131, v132
	v_pk_fma_f32 v[134:135], v[132:133], v[84:85], v[134:135] op_sel_hi:[1,1,0] neg_lo:[0,0,1] neg_hi:[0,0,1]
	v_mul_f32_e32 v132, v133, v120
	s_delay_alu instid0(VALU_DEP_3) | instskip(NEXT) | instid1(VALU_DEP_2)
	v_pk_add_f32 v[56:57], v[56:57], v[136:137] neg_lo:[0,1] neg_hi:[0,1]
	v_pk_fma_f32 v[130:131], v[130:131], v[84:85], v[132:133] op_sel_hi:[1,1,0]
	s_delay_alu instid0(VALU_DEP_1) | instskip(SKIP_4) | instid1(VALU_DEP_1)
	v_mov_b32_e32 v135, v131
	ds_load_2addr_b64 v[130:133], v124 offset0:31 offset1:32
	v_pk_add_f32 v[58:59], v[58:59], v[134:135] neg_lo:[0,1] neg_hi:[0,1]
	s_wait_dscnt 0x0
	v_pk_mul_f32 v[134:135], v[130:131], v[122:123] op_sel:[0,1]
	v_pk_fma_f32 v[136:137], v[130:131], v[120:121], v[134:135] op_sel:[0,0,1] op_sel_hi:[1,1,0] neg_lo:[0,0,1] neg_hi:[0,0,1]
	v_pk_fma_f32 v[130:131], v[130:131], v[120:121], v[134:135] op_sel:[0,0,1] op_sel_hi:[1,0,0]
	s_delay_alu instid0(VALU_DEP_1) | instskip(SKIP_1) | instid1(VALU_DEP_1)
	v_mov_b32_e32 v137, v131
	v_pk_mul_f32 v[130:131], v[132:133], v[122:123] op_sel:[0,1]
	v_pk_fma_f32 v[134:135], v[132:133], v[120:121], v[130:131] op_sel:[0,0,1] op_sel_hi:[1,1,0] neg_lo:[0,0,1] neg_hi:[0,0,1]
	v_pk_fma_f32 v[130:131], v[132:133], v[120:121], v[130:131] op_sel:[0,0,1] op_sel_hi:[1,0,0]
	s_delay_alu instid0(VALU_DEP_1)
	v_mov_b32_e32 v135, v131
	ds_load_2addr_b64 v[130:133], v124 offset0:33 offset1:34
	v_pk_add_f32 v[54:55], v[54:55], v[136:137] neg_lo:[0,1] neg_hi:[0,1]
	v_pk_add_f32 v[52:53], v[52:53], v[134:135] neg_lo:[0,1] neg_hi:[0,1]
	s_wait_dscnt 0x0
	v_pk_mul_f32 v[134:135], v[130:131], v[122:123] op_sel:[0,1]
	s_delay_alu instid0(VALU_DEP_1) | instskip(SKIP_1) | instid1(VALU_DEP_1)
	v_pk_fma_f32 v[136:137], v[130:131], v[120:121], v[134:135] op_sel:[0,0,1] op_sel_hi:[1,1,0] neg_lo:[0,0,1] neg_hi:[0,0,1]
	v_pk_fma_f32 v[130:131], v[130:131], v[120:121], v[134:135] op_sel:[0,0,1] op_sel_hi:[1,0,0]
	v_mov_b32_e32 v137, v131
	v_pk_mul_f32 v[130:131], v[132:133], v[122:123] op_sel:[0,1]
	s_delay_alu instid0(VALU_DEP_1) | instskip(SKIP_1) | instid1(VALU_DEP_1)
	v_pk_fma_f32 v[134:135], v[132:133], v[120:121], v[130:131] op_sel:[0,0,1] op_sel_hi:[1,1,0] neg_lo:[0,0,1] neg_hi:[0,0,1]
	v_pk_fma_f32 v[130:131], v[132:133], v[120:121], v[130:131] op_sel:[0,0,1] op_sel_hi:[1,0,0]
	v_mov_b32_e32 v135, v131
	ds_load_2addr_b64 v[130:133], v124 offset0:35 offset1:36
	v_pk_add_f32 v[48:49], v[48:49], v[136:137] neg_lo:[0,1] neg_hi:[0,1]
	v_pk_add_f32 v[50:51], v[50:51], v[134:135] neg_lo:[0,1] neg_hi:[0,1]
	s_wait_dscnt 0x0
	v_dual_mul_f32 v134, v131, v123 :: v_dual_mul_f32 v136, v131, v120
	s_delay_alu instid0(VALU_DEP_1) | instskip(NEXT) | instid1(VALU_DEP_2)
	v_pk_fma_f32 v[134:135], v[130:131], v[84:85], v[134:135] op_sel_hi:[1,1,0] neg_lo:[0,0,1] neg_hi:[0,0,1]
	v_pk_fma_f32 v[130:131], v[130:131], v[84:85], v[136:137] op_sel:[1,0,0] op_sel_hi:[0,1,0]
	s_delay_alu instid0(VALU_DEP_1) | instskip(SKIP_1) | instid1(VALU_DEP_2)
	v_mov_b32_e32 v135, v131
	v_pk_mul_f32 v[130:131], v[132:133], v[122:123] op_sel:[0,1]
	v_pk_add_f32 v[46:47], v[46:47], v[134:135] neg_lo:[0,1] neg_hi:[0,1]
	s_delay_alu instid0(VALU_DEP_2) | instskip(SKIP_1) | instid1(VALU_DEP_1)
	v_pk_fma_f32 v[134:135], v[132:133], v[120:121], v[130:131] op_sel:[0,0,1] op_sel_hi:[1,1,0] neg_lo:[0,0,1] neg_hi:[0,0,1]
	v_pk_fma_f32 v[130:131], v[132:133], v[120:121], v[130:131] op_sel:[0,0,1] op_sel_hi:[1,0,0]
	v_mov_b32_e32 v135, v131
	ds_load_2addr_b64 v[130:133], v124 offset0:37 offset1:38
	v_pk_add_f32 v[44:45], v[44:45], v[134:135] neg_lo:[0,1] neg_hi:[0,1]
	s_wait_dscnt 0x0
	v_pk_mul_f32 v[134:135], v[130:131], v[122:123] op_sel:[0,1]
	s_delay_alu instid0(VALU_DEP_1) | instskip(SKIP_1) | instid1(VALU_DEP_1)
	v_pk_fma_f32 v[136:137], v[130:131], v[120:121], v[134:135] op_sel:[0,0,1] op_sel_hi:[1,1,0] neg_lo:[0,0,1] neg_hi:[0,0,1]
	v_pk_fma_f32 v[130:131], v[130:131], v[120:121], v[134:135] op_sel:[0,0,1] op_sel_hi:[1,0,0]
	v_mov_b32_e32 v137, v131
	v_pk_mul_f32 v[130:131], v[132:133], v[122:123] op_sel:[0,1]
	s_delay_alu instid0(VALU_DEP_2) | instskip(NEXT) | instid1(VALU_DEP_2)
	v_pk_add_f32 v[40:41], v[40:41], v[136:137] neg_lo:[0,1] neg_hi:[0,1]
	v_pk_fma_f32 v[134:135], v[132:133], v[120:121], v[130:131] op_sel:[0,0,1] op_sel_hi:[1,1,0] neg_lo:[0,0,1] neg_hi:[0,0,1]
	v_pk_fma_f32 v[130:131], v[132:133], v[120:121], v[130:131] op_sel:[0,0,1] op_sel_hi:[1,0,0]
	s_delay_alu instid0(VALU_DEP_1) | instskip(SKIP_4) | instid1(VALU_DEP_1)
	v_mov_b32_e32 v135, v131
	ds_load_2addr_b64 v[130:133], v124 offset0:39 offset1:40
	v_pk_add_f32 v[42:43], v[42:43], v[134:135] neg_lo:[0,1] neg_hi:[0,1]
	s_wait_dscnt 0x0
	v_pk_mul_f32 v[134:135], v[130:131], v[122:123] op_sel:[0,1]
	v_pk_fma_f32 v[136:137], v[130:131], v[120:121], v[134:135] op_sel:[0,0,1] op_sel_hi:[1,1,0] neg_lo:[0,0,1] neg_hi:[0,0,1]
	v_pk_fma_f32 v[130:131], v[130:131], v[120:121], v[134:135] op_sel:[0,0,1] op_sel_hi:[1,0,0]
	v_dual_mul_f32 v134, v133, v123 :: v_dual_mov_b32 v130, v133
	s_delay_alu instid0(VALU_DEP_2) | instskip(NEXT) | instid1(VALU_DEP_2)
	v_dual_mov_b32 v137, v131 :: v_dual_mov_b32 v131, v132
	v_pk_fma_f32 v[134:135], v[132:133], v[84:85], v[134:135] op_sel_hi:[1,1,0] neg_lo:[0,0,1] neg_hi:[0,0,1]
	v_mul_f32_e32 v132, v133, v120
	s_delay_alu instid0(VALU_DEP_3) | instskip(NEXT) | instid1(VALU_DEP_2)
	v_pk_add_f32 v[38:39], v[38:39], v[136:137] neg_lo:[0,1] neg_hi:[0,1]
	v_pk_fma_f32 v[130:131], v[130:131], v[84:85], v[132:133] op_sel_hi:[1,1,0]
	s_delay_alu instid0(VALU_DEP_1) | instskip(SKIP_4) | instid1(VALU_DEP_1)
	v_mov_b32_e32 v135, v131
	ds_load_2addr_b64 v[130:133], v124 offset0:41 offset1:42
	v_pk_add_f32 v[36:37], v[36:37], v[134:135] neg_lo:[0,1] neg_hi:[0,1]
	s_wait_dscnt 0x0
	v_pk_mul_f32 v[134:135], v[130:131], v[122:123] op_sel:[0,1]
	v_pk_fma_f32 v[136:137], v[130:131], v[120:121], v[134:135] op_sel:[0,0,1] op_sel_hi:[1,1,0] neg_lo:[0,0,1] neg_hi:[0,0,1]
	v_pk_fma_f32 v[130:131], v[130:131], v[120:121], v[134:135] op_sel:[0,0,1] op_sel_hi:[1,0,0]
	s_delay_alu instid0(VALU_DEP_1) | instskip(SKIP_1) | instid1(VALU_DEP_1)
	v_mov_b32_e32 v137, v131
	v_pk_mul_f32 v[130:131], v[132:133], v[122:123] op_sel:[0,1]
	v_pk_fma_f32 v[134:135], v[132:133], v[120:121], v[130:131] op_sel:[0,0,1] op_sel_hi:[1,1,0] neg_lo:[0,0,1] neg_hi:[0,0,1]
	v_pk_fma_f32 v[130:131], v[132:133], v[120:121], v[130:131] op_sel:[0,0,1] op_sel_hi:[1,0,0]
	s_delay_alu instid0(VALU_DEP_1)
	v_mov_b32_e32 v135, v131
	ds_load_2addr_b64 v[130:133], v124 offset0:43 offset1:44
	v_pk_add_f32 v[32:33], v[32:33], v[136:137] neg_lo:[0,1] neg_hi:[0,1]
	v_pk_add_f32 v[34:35], v[34:35], v[134:135] neg_lo:[0,1] neg_hi:[0,1]
	s_wait_dscnt 0x0
	v_pk_mul_f32 v[134:135], v[130:131], v[122:123] op_sel:[0,1]
	s_delay_alu instid0(VALU_DEP_1) | instskip(SKIP_1) | instid1(VALU_DEP_1)
	v_pk_fma_f32 v[136:137], v[130:131], v[120:121], v[134:135] op_sel:[0,0,1] op_sel_hi:[1,1,0] neg_lo:[0,0,1] neg_hi:[0,0,1]
	v_pk_fma_f32 v[130:131], v[130:131], v[120:121], v[134:135] op_sel:[0,0,1] op_sel_hi:[1,0,0]
	v_mov_b32_e32 v137, v131
	v_pk_mul_f32 v[130:131], v[132:133], v[122:123] op_sel:[0,1]
	s_delay_alu instid0(VALU_DEP_1) | instskip(SKIP_1) | instid1(VALU_DEP_1)
	v_pk_fma_f32 v[134:135], v[132:133], v[120:121], v[130:131] op_sel:[0,0,1] op_sel_hi:[1,1,0] neg_lo:[0,0,1] neg_hi:[0,0,1]
	v_pk_fma_f32 v[130:131], v[132:133], v[120:121], v[130:131] op_sel:[0,0,1] op_sel_hi:[1,0,0]
	v_mov_b32_e32 v135, v131
	ds_load_2addr_b64 v[130:133], v124 offset0:45 offset1:46
	v_pk_add_f32 v[30:31], v[30:31], v[136:137] neg_lo:[0,1] neg_hi:[0,1]
	v_pk_add_f32 v[26:27], v[26:27], v[134:135] neg_lo:[0,1] neg_hi:[0,1]
	s_wait_dscnt 0x0
	v_dual_mul_f32 v134, v131, v123 :: v_dual_mul_f32 v136, v131, v120
	s_delay_alu instid0(VALU_DEP_1) | instskip(NEXT) | instid1(VALU_DEP_2)
	v_pk_fma_f32 v[134:135], v[130:131], v[84:85], v[134:135] op_sel_hi:[1,1,0] neg_lo:[0,0,1] neg_hi:[0,0,1]
	v_pk_fma_f32 v[130:131], v[130:131], v[84:85], v[136:137] op_sel:[1,0,0] op_sel_hi:[0,1,0]
	s_delay_alu instid0(VALU_DEP_1) | instskip(SKIP_1) | instid1(VALU_DEP_2)
	v_mov_b32_e32 v135, v131
	v_pk_mul_f32 v[130:131], v[132:133], v[122:123] op_sel:[0,1]
	v_pk_add_f32 v[22:23], v[22:23], v[134:135] neg_lo:[0,1] neg_hi:[0,1]
	s_delay_alu instid0(VALU_DEP_2) | instskip(SKIP_1) | instid1(VALU_DEP_1)
	v_pk_fma_f32 v[134:135], v[132:133], v[120:121], v[130:131] op_sel:[0,0,1] op_sel_hi:[1,1,0] neg_lo:[0,0,1] neg_hi:[0,0,1]
	v_pk_fma_f32 v[130:131], v[132:133], v[120:121], v[130:131] op_sel:[0,0,1] op_sel_hi:[1,0,0]
	v_mov_b32_e32 v135, v131
	ds_load_2addr_b64 v[130:133], v124 offset0:47 offset1:48
	v_pk_add_f32 v[24:25], v[24:25], v[134:135] neg_lo:[0,1] neg_hi:[0,1]
	s_wait_dscnt 0x0
	v_pk_mul_f32 v[134:135], v[130:131], v[122:123] op_sel:[0,1]
	s_delay_alu instid0(VALU_DEP_1) | instskip(SKIP_1) | instid1(VALU_DEP_1)
	v_pk_fma_f32 v[136:137], v[130:131], v[120:121], v[134:135] op_sel:[0,0,1] op_sel_hi:[1,1,0] neg_lo:[0,0,1] neg_hi:[0,0,1]
	v_pk_fma_f32 v[130:131], v[130:131], v[120:121], v[134:135] op_sel:[0,0,1] op_sel_hi:[1,0,0]
	v_mov_b32_e32 v137, v131
	v_pk_mul_f32 v[130:131], v[132:133], v[122:123] op_sel:[0,1]
	s_delay_alu instid0(VALU_DEP_2) | instskip(NEXT) | instid1(VALU_DEP_2)
	v_pk_add_f32 v[20:21], v[20:21], v[136:137] neg_lo:[0,1] neg_hi:[0,1]
	v_pk_fma_f32 v[134:135], v[132:133], v[120:121], v[130:131] op_sel:[0,0,1] op_sel_hi:[1,1,0] neg_lo:[0,0,1] neg_hi:[0,0,1]
	v_pk_fma_f32 v[130:131], v[132:133], v[120:121], v[130:131] op_sel:[0,0,1] op_sel_hi:[1,0,0]
	s_delay_alu instid0(VALU_DEP_1) | instskip(SKIP_4) | instid1(VALU_DEP_1)
	v_mov_b32_e32 v135, v131
	ds_load_2addr_b64 v[130:133], v124 offset0:49 offset1:50
	v_pk_add_f32 v[14:15], v[14:15], v[134:135] neg_lo:[0,1] neg_hi:[0,1]
	s_wait_dscnt 0x0
	v_pk_mul_f32 v[134:135], v[130:131], v[122:123] op_sel:[0,1]
	v_pk_fma_f32 v[136:137], v[130:131], v[120:121], v[134:135] op_sel:[0,0,1] op_sel_hi:[1,1,0] neg_lo:[0,0,1] neg_hi:[0,0,1]
	v_pk_fma_f32 v[130:131], v[130:131], v[120:121], v[134:135] op_sel:[0,0,1] op_sel_hi:[1,0,0]
	v_dual_mul_f32 v134, v133, v123 :: v_dual_mov_b32 v130, v133
	s_delay_alu instid0(VALU_DEP_2) | instskip(NEXT) | instid1(VALU_DEP_2)
	v_dual_mov_b32 v137, v131 :: v_dual_mov_b32 v131, v132
	v_pk_fma_f32 v[134:135], v[132:133], v[84:85], v[134:135] op_sel_hi:[1,1,0] neg_lo:[0,0,1] neg_hi:[0,0,1]
	v_mul_f32_e32 v132, v133, v120
	s_delay_alu instid0(VALU_DEP_3) | instskip(NEXT) | instid1(VALU_DEP_2)
	v_pk_add_f32 v[10:11], v[10:11], v[136:137] neg_lo:[0,1] neg_hi:[0,1]
	v_pk_fma_f32 v[130:131], v[130:131], v[84:85], v[132:133] op_sel_hi:[1,1,0]
	s_delay_alu instid0(VALU_DEP_1) | instskip(SKIP_4) | instid1(VALU_DEP_1)
	v_mov_b32_e32 v135, v131
	ds_load_2addr_b64 v[130:133], v124 offset0:51 offset1:52
	v_pk_add_f32 v[12:13], v[12:13], v[134:135] neg_lo:[0,1] neg_hi:[0,1]
	s_wait_dscnt 0x0
	v_pk_mul_f32 v[134:135], v[130:131], v[122:123] op_sel:[0,1]
	v_pk_fma_f32 v[136:137], v[130:131], v[120:121], v[134:135] op_sel:[0,0,1] op_sel_hi:[1,1,0] neg_lo:[0,0,1] neg_hi:[0,0,1]
	v_pk_fma_f32 v[130:131], v[130:131], v[120:121], v[134:135] op_sel:[0,0,1] op_sel_hi:[1,0,0]
	s_delay_alu instid0(VALU_DEP_1) | instskip(SKIP_1) | instid1(VALU_DEP_1)
	v_mov_b32_e32 v137, v131
	v_pk_mul_f32 v[130:131], v[132:133], v[122:123] op_sel:[0,1]
	v_pk_fma_f32 v[134:135], v[132:133], v[120:121], v[130:131] op_sel:[0,0,1] op_sel_hi:[1,1,0] neg_lo:[0,0,1] neg_hi:[0,0,1]
	v_pk_fma_f32 v[130:131], v[132:133], v[120:121], v[130:131] op_sel:[0,0,1] op_sel_hi:[1,0,0]
	s_delay_alu instid0(VALU_DEP_1)
	v_mov_b32_e32 v135, v131
	ds_load_2addr_b64 v[130:133], v124 offset0:53 offset1:54
	v_pk_add_f32 v[8:9], v[8:9], v[136:137] neg_lo:[0,1] neg_hi:[0,1]
	v_pk_add_f32 v[6:7], v[6:7], v[134:135] neg_lo:[0,1] neg_hi:[0,1]
	s_wait_dscnt 0x0
	v_pk_mul_f32 v[134:135], v[130:131], v[122:123] op_sel:[0,1]
	s_delay_alu instid0(VALU_DEP_1) | instskip(SKIP_1) | instid1(VALU_DEP_1)
	v_pk_fma_f32 v[136:137], v[130:131], v[120:121], v[134:135] op_sel:[0,0,1] op_sel_hi:[1,1,0] neg_lo:[0,0,1] neg_hi:[0,0,1]
	v_pk_fma_f32 v[130:131], v[130:131], v[120:121], v[134:135] op_sel:[0,0,1] op_sel_hi:[1,0,0]
	v_mov_b32_e32 v137, v131
	v_pk_mul_f32 v[130:131], v[132:133], v[122:123] op_sel:[0,1]
	s_delay_alu instid0(VALU_DEP_1) | instskip(SKIP_1) | instid1(VALU_DEP_1)
	v_pk_fma_f32 v[134:135], v[132:133], v[120:121], v[130:131] op_sel:[0,0,1] op_sel_hi:[1,1,0] neg_lo:[0,0,1] neg_hi:[0,0,1]
	v_pk_fma_f32 v[130:131], v[132:133], v[120:121], v[130:131] op_sel:[0,0,1] op_sel_hi:[1,0,0]
	v_mov_b32_e32 v135, v131
	ds_load_2addr_b64 v[130:133], v124 offset0:55 offset1:56
	v_pk_add_f32 v[28:29], v[28:29], v[136:137] neg_lo:[0,1] neg_hi:[0,1]
	v_pk_add_f32 v[18:19], v[18:19], v[134:135] neg_lo:[0,1] neg_hi:[0,1]
	s_wait_dscnt 0x0
	v_dual_mul_f32 v134, v131, v123 :: v_dual_mul_f32 v136, v131, v120
	v_pk_mul_f32 v[122:123], v[132:133], v[122:123] op_sel:[0,1]
	s_delay_alu instid0(VALU_DEP_2) | instskip(NEXT) | instid1(VALU_DEP_3)
	v_pk_fma_f32 v[134:135], v[130:131], v[84:85], v[134:135] op_sel_hi:[1,1,0] neg_lo:[0,0,1] neg_hi:[0,0,1]
	v_pk_fma_f32 v[130:131], v[130:131], v[84:85], v[136:137] op_sel:[1,0,0] op_sel_hi:[0,1,0]
	s_delay_alu instid0(VALU_DEP_1) | instskip(NEXT) | instid1(VALU_DEP_4)
	v_mov_b32_e32 v135, v131
	v_pk_fma_f32 v[130:131], v[132:133], v[120:121], v[122:123] op_sel:[0,0,1] op_sel_hi:[1,1,0] neg_lo:[0,0,1] neg_hi:[0,0,1]
	v_pk_fma_f32 v[120:121], v[132:133], v[120:121], v[122:123] op_sel:[0,0,1] op_sel_hi:[1,0,0]
	s_delay_alu instid0(VALU_DEP_1) | instskip(NEXT) | instid1(VALU_DEP_4)
	v_mov_b32_e32 v131, v121
	v_pk_add_f32 v[16:17], v[16:17], v[134:135] neg_lo:[0,1] neg_hi:[0,1]
	s_delay_alu instid0(VALU_DEP_2)
	v_pk_add_f32 v[118:119], v[118:119], v[130:131] neg_lo:[0,1] neg_hi:[0,1]
.LBB112_356:
	s_or_b32 exec_lo, exec_lo, s0
	v_lshl_add_u32 v120, v128, 3, v124
	s_barrier_signal -1
	s_barrier_wait -1
	ds_store_b64 v120, v[80:81]
	s_wait_dscnt 0x0
	s_barrier_signal -1
	s_barrier_wait -1
	ds_load_b64 v[122:123], v124 offset:136
	v_mov_b32_e32 v120, 17
	s_cmp_lt_i32 s18, 19
	s_cbranch_scc1 .LBB112_359
; %bb.357:
	v_add3_u32 v121, v125, 0, 0x90
	v_mov_b32_e32 v120, 17
	s_mov_b32 s0, 18
.LBB112_358:                            ; =>This Inner Loop Header: Depth=1
	ds_load_b64 v[130:131], v121
	s_wait_dscnt 0x1
	v_cmp_gt_f32_e32 vcc_lo, 0, v122
	v_cndmask_b32_e64 v132, v122, -v122, vcc_lo
	v_cmp_gt_f32_e32 vcc_lo, 0, v123
	v_cndmask_b32_e64 v134, v123, -v123, vcc_lo
	s_wait_dscnt 0x0
	v_cmp_gt_f32_e32 vcc_lo, 0, v130
	v_cndmask_b32_e64 v133, v130, -v130, vcc_lo
	v_cmp_gt_f32_e32 vcc_lo, 0, v131
	v_cndmask_b32_e64 v135, v131, -v131, vcc_lo
	s_delay_alu instid0(VALU_DEP_1) | instskip(NEXT) | instid1(VALU_DEP_1)
	v_pk_add_f32 v[132:133], v[132:133], v[134:135]
	v_cmp_lt_f32_e32 vcc_lo, v132, v133
	v_dual_add_nc_u32 v121, 8, v121 :: v_dual_cndmask_b32 v123, v123, v131, vcc_lo
	v_cndmask_b32_e32 v122, v122, v130, vcc_lo
	v_cndmask_b32_e64 v120, v120, s0, vcc_lo
	s_add_co_i32 s0, s0, 1
	s_delay_alu instid0(SALU_CYCLE_1)
	s_cmp_lg_u32 s18, s0
	s_cbranch_scc1 .LBB112_358
.LBB112_359:
	s_wait_dscnt 0x0
	v_cmp_eq_f32_e32 vcc_lo, 0, v122
	v_cmp_eq_f32_e64 s0, 0, v123
	s_and_b32 s0, vcc_lo, s0
	s_delay_alu instid0(SALU_CYCLE_1) | instskip(NEXT) | instid1(SALU_CYCLE_1)
	s_and_saveexec_b32 s1, s0
	s_xor_b32 s0, exec_lo, s1
; %bb.360:
	v_cmp_ne_u32_e32 vcc_lo, 0, v126
	v_cndmask_b32_e32 v126, 18, v126, vcc_lo
; %bb.361:
	s_and_not1_saveexec_b32 s0, s0
	s_cbranch_execz .LBB112_367
; %bb.362:
	v_cmp_ngt_f32_e64 s1, |v122|, |v123|
	s_and_saveexec_b32 s12, s1
	s_delay_alu instid0(SALU_CYCLE_1)
	s_xor_b32 s1, exec_lo, s12
	s_cbranch_execz .LBB112_364
; %bb.363:
	v_div_scale_f32 v121, null, v123, v123, v122
	v_div_scale_f32 v131, vcc_lo, v122, v123, v122
	s_delay_alu instid0(VALU_DEP_2) | instskip(SKIP_1) | instid1(TRANS32_DEP_1)
	v_rcp_f32_e32 v129, v121
	v_nop
	v_fma_f32 v130, -v121, v129, 1.0
	s_delay_alu instid0(VALU_DEP_1) | instskip(NEXT) | instid1(VALU_DEP_1)
	v_fmac_f32_e32 v129, v130, v129
	v_mul_f32_e32 v130, v131, v129
	s_delay_alu instid0(VALU_DEP_1) | instskip(NEXT) | instid1(VALU_DEP_1)
	v_fma_f32 v132, -v121, v130, v131
	v_fmac_f32_e32 v130, v132, v129
	s_delay_alu instid0(VALU_DEP_1) | instskip(NEXT) | instid1(VALU_DEP_1)
	v_fma_f32 v121, -v121, v130, v131
	v_div_fmas_f32 v121, v121, v129, v130
	s_delay_alu instid0(VALU_DEP_1) | instskip(NEXT) | instid1(VALU_DEP_1)
	v_div_fixup_f32 v121, v121, v123, v122
	v_fmac_f32_e32 v123, v122, v121
	s_delay_alu instid0(VALU_DEP_1) | instskip(SKIP_1) | instid1(VALU_DEP_2)
	v_div_scale_f32 v122, null, v123, v123, 1.0
	v_div_scale_f32 v131, vcc_lo, 1.0, v123, 1.0
	v_rcp_f32_e32 v129, v122
	v_nop
	s_delay_alu instid0(TRANS32_DEP_1) | instskip(NEXT) | instid1(VALU_DEP_1)
	v_fma_f32 v130, -v122, v129, 1.0
	v_fmac_f32_e32 v129, v130, v129
	s_delay_alu instid0(VALU_DEP_1) | instskip(NEXT) | instid1(VALU_DEP_1)
	v_mul_f32_e32 v130, v131, v129
	v_fma_f32 v132, -v122, v130, v131
	s_delay_alu instid0(VALU_DEP_1) | instskip(NEXT) | instid1(VALU_DEP_1)
	v_fmac_f32_e32 v130, v132, v129
	v_fma_f32 v122, -v122, v130, v131
	s_delay_alu instid0(VALU_DEP_1) | instskip(NEXT) | instid1(VALU_DEP_1)
	v_div_fmas_f32 v122, v122, v129, v130
	v_div_fixup_f32 v123, v122, v123, 1.0
	s_delay_alu instid0(VALU_DEP_1)
	v_mul_f32_e32 v122, v121, v123
	v_xor_b32_e32 v123, 0x80000000, v123
.LBB112_364:
	s_and_not1_saveexec_b32 s1, s1
	s_cbranch_execz .LBB112_366
; %bb.365:
	s_delay_alu instid0(VALU_DEP_1) | instskip(SKIP_1) | instid1(VALU_DEP_2)
	v_div_scale_f32 v121, null, v122, v122, v123
	v_div_scale_f32 v131, vcc_lo, v123, v122, v123
	v_rcp_f32_e32 v129, v121
	v_nop
	s_delay_alu instid0(TRANS32_DEP_1) | instskip(NEXT) | instid1(VALU_DEP_1)
	v_fma_f32 v130, -v121, v129, 1.0
	v_fmac_f32_e32 v129, v130, v129
	s_delay_alu instid0(VALU_DEP_1) | instskip(NEXT) | instid1(VALU_DEP_1)
	v_mul_f32_e32 v130, v131, v129
	v_fma_f32 v132, -v121, v130, v131
	s_delay_alu instid0(VALU_DEP_1) | instskip(NEXT) | instid1(VALU_DEP_1)
	v_fmac_f32_e32 v130, v132, v129
	v_fma_f32 v121, -v121, v130, v131
	s_delay_alu instid0(VALU_DEP_1) | instskip(NEXT) | instid1(VALU_DEP_1)
	v_div_fmas_f32 v121, v121, v129, v130
	v_div_fixup_f32 v121, v121, v122, v123
	s_delay_alu instid0(VALU_DEP_1) | instskip(NEXT) | instid1(VALU_DEP_1)
	v_fmac_f32_e32 v122, v123, v121
	v_div_scale_f32 v123, null, v122, v122, 1.0
	s_delay_alu instid0(VALU_DEP_1) | instskip(SKIP_1) | instid1(TRANS32_DEP_1)
	v_rcp_f32_e32 v129, v123
	v_nop
	v_fma_f32 v130, -v123, v129, 1.0
	s_delay_alu instid0(VALU_DEP_1) | instskip(SKIP_1) | instid1(VALU_DEP_1)
	v_fmac_f32_e32 v129, v130, v129
	v_div_scale_f32 v130, vcc_lo, 1.0, v122, 1.0
	v_mul_f32_e32 v131, v130, v129
	s_delay_alu instid0(VALU_DEP_1) | instskip(NEXT) | instid1(VALU_DEP_1)
	v_fma_f32 v132, -v123, v131, v130
	v_fmac_f32_e32 v131, v132, v129
	s_delay_alu instid0(VALU_DEP_1) | instskip(NEXT) | instid1(VALU_DEP_1)
	v_fma_f32 v123, -v123, v131, v130
	v_div_fmas_f32 v123, v123, v129, v131
	s_delay_alu instid0(VALU_DEP_1) | instskip(NEXT) | instid1(VALU_DEP_1)
	v_div_fixup_f32 v122, v123, v122, 1.0
	v_mul_f32_e64 v123, v121, -v122
.LBB112_366:
	s_or_b32 exec_lo, exec_lo, s1
.LBB112_367:
	s_delay_alu instid0(SALU_CYCLE_1) | instskip(NEXT) | instid1(SALU_CYCLE_1)
	s_or_b32 exec_lo, exec_lo, s0
	s_mov_b32 s0, exec_lo
	v_cmpx_ne_u32_e64 v128, v120
	s_xor_b32 s0, exec_lo, s0
	s_cbranch_execz .LBB112_373
; %bb.368:
	s_mov_b32 s1, exec_lo
	v_cmpx_eq_u32_e32 17, v128
	s_cbranch_execz .LBB112_372
; %bb.369:
	v_cmp_ne_u32_e32 vcc_lo, 17, v120
	s_xor_b32 s12, s16, -1
	s_delay_alu instid0(SALU_CYCLE_1) | instskip(NEXT) | instid1(SALU_CYCLE_1)
	s_and_b32 s13, s12, vcc_lo
	s_and_saveexec_b32 s12, s13
	s_cbranch_execz .LBB112_371
; %bb.370:
	v_ashrrev_i32_e32 v121, 31, v120
	s_delay_alu instid0(VALU_DEP_1)
	v_lshl_add_u64 v[128:129], v[120:121], 2, v[4:5]
	s_clause 0x1
	global_load_b32 v121, v[128:129], off
	global_load_b32 v127, v[4:5], off offset:68
	s_wait_loadcnt 0x1
	global_store_b32 v[4:5], v121, off offset:68
	s_wait_loadcnt 0x0
	global_store_b32 v[128:129], v127, off
.LBB112_371:
	s_wait_xcnt 0x0
	s_or_b32 exec_lo, exec_lo, s12
	v_dual_mov_b32 v128, v120 :: v_dual_mov_b32 v127, v120
.LBB112_372:
	s_or_b32 exec_lo, exec_lo, s1
.LBB112_373:
	s_and_not1_saveexec_b32 s0, s0
	s_cbranch_execz .LBB112_375
; %bb.374:
	v_dual_mov_b32 v120, v82 :: v_dual_mov_b32 v121, v83
	v_dual_mov_b32 v128, v78 :: v_dual_mov_b32 v129, v79
	ds_store_2addr_b64 v124, v[120:121], v[128:129] offset0:18 offset1:19
	v_dual_mov_b32 v120, v76 :: v_dual_mov_b32 v121, v77
	v_dual_mov_b32 v128, v72 :: v_dual_mov_b32 v129, v73
	ds_store_2addr_b64 v124, v[120:121], v[128:129] offset0:20 offset1:21
	;; [unrolled: 3-line block ×19, first 2 shown]
	ds_store_b64 v124, v[118:119] offset:448
	v_mov_b32_e32 v128, 17
.LBB112_375:
	s_or_b32 exec_lo, exec_lo, s0
	s_delay_alu instid0(SALU_CYCLE_1)
	s_mov_b32 s0, exec_lo
	s_wait_storecnt_dscnt 0x0
	s_barrier_signal -1
	s_barrier_wait -1
	v_cmpx_lt_i32_e32 17, v128
	s_cbranch_execz .LBB112_377
; %bb.376:
	v_pk_mul_f32 v[130:131], v[122:123], v[80:81] op_sel:[1,1] op_sel_hi:[0,1]
	s_delay_alu instid0(VALU_DEP_1)
	v_pk_fma_f32 v[120:121], v[122:123], v[80:81], v[130:131] op_sel_hi:[1,0,1] neg_lo:[0,0,1] neg_hi:[0,0,1]
	v_pk_fma_f32 v[122:123], v[122:123], v[80:81], v[130:131] op_sel_hi:[1,0,1]
	ds_load_2addr_b64 v[130:133], v124 offset0:18 offset1:19
	v_dual_mov_b32 v80, v120 :: v_dual_mov_b32 v81, v123
	s_wait_dscnt 0x0
	v_pk_mul_f32 v[134:135], v[130:131], v[122:123] op_sel:[0,1]
	s_delay_alu instid0(VALU_DEP_1) | instskip(SKIP_1) | instid1(VALU_DEP_1)
	v_pk_fma_f32 v[136:137], v[130:131], v[120:121], v[134:135] op_sel:[0,0,1] op_sel_hi:[1,1,0] neg_lo:[0,0,1] neg_hi:[0,0,1]
	v_pk_fma_f32 v[130:131], v[130:131], v[120:121], v[134:135] op_sel:[0,0,1] op_sel_hi:[1,0,0]
	v_mov_b32_e32 v137, v131
	v_pk_mul_f32 v[130:131], v[132:133], v[122:123] op_sel:[0,1]
	s_delay_alu instid0(VALU_DEP_1) | instskip(SKIP_1) | instid1(VALU_DEP_1)
	v_pk_fma_f32 v[134:135], v[132:133], v[120:121], v[130:131] op_sel:[0,0,1] op_sel_hi:[1,1,0] neg_lo:[0,0,1] neg_hi:[0,0,1]
	v_pk_fma_f32 v[130:131], v[132:133], v[120:121], v[130:131] op_sel:[0,0,1] op_sel_hi:[1,0,0]
	v_mov_b32_e32 v135, v131
	ds_load_2addr_b64 v[130:133], v124 offset0:20 offset1:21
	v_pk_add_f32 v[82:83], v[82:83], v[136:137] neg_lo:[0,1] neg_hi:[0,1]
	v_pk_add_f32 v[78:79], v[78:79], v[134:135] neg_lo:[0,1] neg_hi:[0,1]
	s_wait_dscnt 0x0
	v_pk_mul_f32 v[134:135], v[130:131], v[122:123] op_sel:[0,1]
	s_delay_alu instid0(VALU_DEP_1) | instskip(SKIP_2) | instid1(VALU_DEP_2)
	v_pk_fma_f32 v[136:137], v[130:131], v[120:121], v[134:135] op_sel:[0,0,1] op_sel_hi:[1,1,0] neg_lo:[0,0,1] neg_hi:[0,0,1]
	v_pk_fma_f32 v[130:131], v[130:131], v[120:121], v[134:135] op_sel:[0,0,1] op_sel_hi:[1,0,0]
	v_dual_mul_f32 v134, v133, v123 :: v_dual_mov_b32 v130, v133
	v_dual_mov_b32 v137, v131 :: v_dual_mov_b32 v131, v132
	s_delay_alu instid0(VALU_DEP_2) | instskip(SKIP_1) | instid1(VALU_DEP_3)
	v_pk_fma_f32 v[134:135], v[132:133], v[80:81], v[134:135] op_sel_hi:[1,1,0] neg_lo:[0,0,1] neg_hi:[0,0,1]
	v_mul_f32_e32 v132, v133, v120
	v_pk_add_f32 v[76:77], v[76:77], v[136:137] neg_lo:[0,1] neg_hi:[0,1]
	s_delay_alu instid0(VALU_DEP_2) | instskip(NEXT) | instid1(VALU_DEP_1)
	v_pk_fma_f32 v[130:131], v[130:131], v[80:81], v[132:133] op_sel_hi:[1,1,0]
	v_mov_b32_e32 v135, v131
	ds_load_2addr_b64 v[130:133], v124 offset0:22 offset1:23
	v_pk_add_f32 v[72:73], v[72:73], v[134:135] neg_lo:[0,1] neg_hi:[0,1]
	s_wait_dscnt 0x0
	v_pk_mul_f32 v[134:135], v[130:131], v[122:123] op_sel:[0,1]
	s_delay_alu instid0(VALU_DEP_1) | instskip(SKIP_1) | instid1(VALU_DEP_1)
	v_pk_fma_f32 v[136:137], v[130:131], v[120:121], v[134:135] op_sel:[0,0,1] op_sel_hi:[1,1,0] neg_lo:[0,0,1] neg_hi:[0,0,1]
	v_pk_fma_f32 v[130:131], v[130:131], v[120:121], v[134:135] op_sel:[0,0,1] op_sel_hi:[1,0,0]
	v_mov_b32_e32 v137, v131
	v_pk_mul_f32 v[130:131], v[132:133], v[122:123] op_sel:[0,1]
	s_delay_alu instid0(VALU_DEP_1) | instskip(SKIP_1) | instid1(VALU_DEP_1)
	v_pk_fma_f32 v[134:135], v[132:133], v[120:121], v[130:131] op_sel:[0,0,1] op_sel_hi:[1,1,0] neg_lo:[0,0,1] neg_hi:[0,0,1]
	v_pk_fma_f32 v[130:131], v[132:133], v[120:121], v[130:131] op_sel:[0,0,1] op_sel_hi:[1,0,0]
	v_mov_b32_e32 v135, v131
	ds_load_2addr_b64 v[130:133], v124 offset0:24 offset1:25
	v_pk_add_f32 v[74:75], v[74:75], v[136:137] neg_lo:[0,1] neg_hi:[0,1]
	v_pk_add_f32 v[70:71], v[70:71], v[134:135] neg_lo:[0,1] neg_hi:[0,1]
	s_wait_dscnt 0x0
	v_pk_mul_f32 v[134:135], v[130:131], v[122:123] op_sel:[0,1]
	s_delay_alu instid0(VALU_DEP_1) | instskip(SKIP_1) | instid1(VALU_DEP_1)
	v_pk_fma_f32 v[136:137], v[130:131], v[120:121], v[134:135] op_sel:[0,0,1] op_sel_hi:[1,1,0] neg_lo:[0,0,1] neg_hi:[0,0,1]
	v_pk_fma_f32 v[130:131], v[130:131], v[120:121], v[134:135] op_sel:[0,0,1] op_sel_hi:[1,0,0]
	v_mov_b32_e32 v137, v131
	v_pk_mul_f32 v[130:131], v[132:133], v[122:123] op_sel:[0,1]
	s_delay_alu instid0(VALU_DEP_1) | instskip(SKIP_1) | instid1(VALU_DEP_1)
	v_pk_fma_f32 v[134:135], v[132:133], v[120:121], v[130:131] op_sel:[0,0,1] op_sel_hi:[1,1,0] neg_lo:[0,0,1] neg_hi:[0,0,1]
	v_pk_fma_f32 v[130:131], v[132:133], v[120:121], v[130:131] op_sel:[0,0,1] op_sel_hi:[1,0,0]
	v_mov_b32_e32 v135, v131
	ds_load_2addr_b64 v[130:133], v124 offset0:26 offset1:27
	v_pk_add_f32 v[68:69], v[68:69], v[136:137] neg_lo:[0,1] neg_hi:[0,1]
	v_pk_add_f32 v[64:65], v[64:65], v[134:135] neg_lo:[0,1] neg_hi:[0,1]
	s_wait_dscnt 0x0
	v_dual_mul_f32 v134, v131, v123 :: v_dual_mul_f32 v136, v131, v120
	s_delay_alu instid0(VALU_DEP_1) | instskip(NEXT) | instid1(VALU_DEP_2)
	v_pk_fma_f32 v[134:135], v[130:131], v[80:81], v[134:135] op_sel_hi:[1,1,0] neg_lo:[0,0,1] neg_hi:[0,0,1]
	v_pk_fma_f32 v[130:131], v[130:131], v[80:81], v[136:137] op_sel:[1,0,0] op_sel_hi:[0,1,0]
	s_delay_alu instid0(VALU_DEP_1) | instskip(SKIP_1) | instid1(VALU_DEP_2)
	v_mov_b32_e32 v135, v131
	v_pk_mul_f32 v[130:131], v[132:133], v[122:123] op_sel:[0,1]
	v_pk_add_f32 v[66:67], v[66:67], v[134:135] neg_lo:[0,1] neg_hi:[0,1]
	s_delay_alu instid0(VALU_DEP_2) | instskip(SKIP_1) | instid1(VALU_DEP_1)
	v_pk_fma_f32 v[134:135], v[132:133], v[120:121], v[130:131] op_sel:[0,0,1] op_sel_hi:[1,1,0] neg_lo:[0,0,1] neg_hi:[0,0,1]
	v_pk_fma_f32 v[130:131], v[132:133], v[120:121], v[130:131] op_sel:[0,0,1] op_sel_hi:[1,0,0]
	v_mov_b32_e32 v135, v131
	ds_load_2addr_b64 v[130:133], v124 offset0:28 offset1:29
	v_pk_add_f32 v[62:63], v[62:63], v[134:135] neg_lo:[0,1] neg_hi:[0,1]
	s_wait_dscnt 0x0
	v_pk_mul_f32 v[134:135], v[130:131], v[122:123] op_sel:[0,1]
	s_delay_alu instid0(VALU_DEP_1) | instskip(SKIP_1) | instid1(VALU_DEP_1)
	v_pk_fma_f32 v[136:137], v[130:131], v[120:121], v[134:135] op_sel:[0,0,1] op_sel_hi:[1,1,0] neg_lo:[0,0,1] neg_hi:[0,0,1]
	v_pk_fma_f32 v[130:131], v[130:131], v[120:121], v[134:135] op_sel:[0,0,1] op_sel_hi:[1,0,0]
	v_mov_b32_e32 v137, v131
	v_pk_mul_f32 v[130:131], v[132:133], v[122:123] op_sel:[0,1]
	s_delay_alu instid0(VALU_DEP_2) | instskip(NEXT) | instid1(VALU_DEP_2)
	v_pk_add_f32 v[60:61], v[60:61], v[136:137] neg_lo:[0,1] neg_hi:[0,1]
	v_pk_fma_f32 v[134:135], v[132:133], v[120:121], v[130:131] op_sel:[0,0,1] op_sel_hi:[1,1,0] neg_lo:[0,0,1] neg_hi:[0,0,1]
	v_pk_fma_f32 v[130:131], v[132:133], v[120:121], v[130:131] op_sel:[0,0,1] op_sel_hi:[1,0,0]
	s_delay_alu instid0(VALU_DEP_1) | instskip(SKIP_4) | instid1(VALU_DEP_1)
	v_mov_b32_e32 v135, v131
	ds_load_2addr_b64 v[130:133], v124 offset0:30 offset1:31
	v_pk_add_f32 v[56:57], v[56:57], v[134:135] neg_lo:[0,1] neg_hi:[0,1]
	s_wait_dscnt 0x0
	v_pk_mul_f32 v[134:135], v[130:131], v[122:123] op_sel:[0,1]
	v_pk_fma_f32 v[136:137], v[130:131], v[120:121], v[134:135] op_sel:[0,0,1] op_sel_hi:[1,1,0] neg_lo:[0,0,1] neg_hi:[0,0,1]
	v_pk_fma_f32 v[130:131], v[130:131], v[120:121], v[134:135] op_sel:[0,0,1] op_sel_hi:[1,0,0]
	v_dual_mul_f32 v134, v133, v123 :: v_dual_mov_b32 v130, v133
	s_delay_alu instid0(VALU_DEP_2) | instskip(NEXT) | instid1(VALU_DEP_2)
	v_dual_mov_b32 v137, v131 :: v_dual_mov_b32 v131, v132
	v_pk_fma_f32 v[134:135], v[132:133], v[80:81], v[134:135] op_sel_hi:[1,1,0] neg_lo:[0,0,1] neg_hi:[0,0,1]
	v_mul_f32_e32 v132, v133, v120
	s_delay_alu instid0(VALU_DEP_3) | instskip(NEXT) | instid1(VALU_DEP_2)
	v_pk_add_f32 v[58:59], v[58:59], v[136:137] neg_lo:[0,1] neg_hi:[0,1]
	v_pk_fma_f32 v[130:131], v[130:131], v[80:81], v[132:133] op_sel_hi:[1,1,0]
	s_delay_alu instid0(VALU_DEP_1) | instskip(SKIP_4) | instid1(VALU_DEP_1)
	v_mov_b32_e32 v135, v131
	ds_load_2addr_b64 v[130:133], v124 offset0:32 offset1:33
	v_pk_add_f32 v[54:55], v[54:55], v[134:135] neg_lo:[0,1] neg_hi:[0,1]
	s_wait_dscnt 0x0
	v_pk_mul_f32 v[134:135], v[130:131], v[122:123] op_sel:[0,1]
	v_pk_fma_f32 v[136:137], v[130:131], v[120:121], v[134:135] op_sel:[0,0,1] op_sel_hi:[1,1,0] neg_lo:[0,0,1] neg_hi:[0,0,1]
	v_pk_fma_f32 v[130:131], v[130:131], v[120:121], v[134:135] op_sel:[0,0,1] op_sel_hi:[1,0,0]
	s_delay_alu instid0(VALU_DEP_1) | instskip(SKIP_1) | instid1(VALU_DEP_1)
	v_mov_b32_e32 v137, v131
	v_pk_mul_f32 v[130:131], v[132:133], v[122:123] op_sel:[0,1]
	v_pk_fma_f32 v[134:135], v[132:133], v[120:121], v[130:131] op_sel:[0,0,1] op_sel_hi:[1,1,0] neg_lo:[0,0,1] neg_hi:[0,0,1]
	v_pk_fma_f32 v[130:131], v[132:133], v[120:121], v[130:131] op_sel:[0,0,1] op_sel_hi:[1,0,0]
	s_delay_alu instid0(VALU_DEP_1)
	v_mov_b32_e32 v135, v131
	ds_load_2addr_b64 v[130:133], v124 offset0:34 offset1:35
	v_pk_add_f32 v[52:53], v[52:53], v[136:137] neg_lo:[0,1] neg_hi:[0,1]
	v_pk_add_f32 v[48:49], v[48:49], v[134:135] neg_lo:[0,1] neg_hi:[0,1]
	s_wait_dscnt 0x0
	v_pk_mul_f32 v[134:135], v[130:131], v[122:123] op_sel:[0,1]
	s_delay_alu instid0(VALU_DEP_1) | instskip(SKIP_1) | instid1(VALU_DEP_1)
	v_pk_fma_f32 v[136:137], v[130:131], v[120:121], v[134:135] op_sel:[0,0,1] op_sel_hi:[1,1,0] neg_lo:[0,0,1] neg_hi:[0,0,1]
	v_pk_fma_f32 v[130:131], v[130:131], v[120:121], v[134:135] op_sel:[0,0,1] op_sel_hi:[1,0,0]
	v_mov_b32_e32 v137, v131
	v_pk_mul_f32 v[130:131], v[132:133], v[122:123] op_sel:[0,1]
	s_delay_alu instid0(VALU_DEP_1) | instskip(SKIP_1) | instid1(VALU_DEP_1)
	v_pk_fma_f32 v[134:135], v[132:133], v[120:121], v[130:131] op_sel:[0,0,1] op_sel_hi:[1,1,0] neg_lo:[0,0,1] neg_hi:[0,0,1]
	v_pk_fma_f32 v[130:131], v[132:133], v[120:121], v[130:131] op_sel:[0,0,1] op_sel_hi:[1,0,0]
	v_mov_b32_e32 v135, v131
	ds_load_2addr_b64 v[130:133], v124 offset0:36 offset1:37
	v_pk_add_f32 v[50:51], v[50:51], v[136:137] neg_lo:[0,1] neg_hi:[0,1]
	v_pk_add_f32 v[46:47], v[46:47], v[134:135] neg_lo:[0,1] neg_hi:[0,1]
	s_wait_dscnt 0x0
	v_dual_mul_f32 v134, v131, v123 :: v_dual_mul_f32 v136, v131, v120
	s_delay_alu instid0(VALU_DEP_1) | instskip(NEXT) | instid1(VALU_DEP_2)
	v_pk_fma_f32 v[134:135], v[130:131], v[80:81], v[134:135] op_sel_hi:[1,1,0] neg_lo:[0,0,1] neg_hi:[0,0,1]
	v_pk_fma_f32 v[130:131], v[130:131], v[80:81], v[136:137] op_sel:[1,0,0] op_sel_hi:[0,1,0]
	s_delay_alu instid0(VALU_DEP_1) | instskip(SKIP_1) | instid1(VALU_DEP_2)
	v_mov_b32_e32 v135, v131
	v_pk_mul_f32 v[130:131], v[132:133], v[122:123] op_sel:[0,1]
	v_pk_add_f32 v[44:45], v[44:45], v[134:135] neg_lo:[0,1] neg_hi:[0,1]
	s_delay_alu instid0(VALU_DEP_2) | instskip(SKIP_1) | instid1(VALU_DEP_1)
	v_pk_fma_f32 v[134:135], v[132:133], v[120:121], v[130:131] op_sel:[0,0,1] op_sel_hi:[1,1,0] neg_lo:[0,0,1] neg_hi:[0,0,1]
	v_pk_fma_f32 v[130:131], v[132:133], v[120:121], v[130:131] op_sel:[0,0,1] op_sel_hi:[1,0,0]
	v_mov_b32_e32 v135, v131
	ds_load_2addr_b64 v[130:133], v124 offset0:38 offset1:39
	v_pk_add_f32 v[40:41], v[40:41], v[134:135] neg_lo:[0,1] neg_hi:[0,1]
	s_wait_dscnt 0x0
	v_pk_mul_f32 v[134:135], v[130:131], v[122:123] op_sel:[0,1]
	s_delay_alu instid0(VALU_DEP_1) | instskip(SKIP_1) | instid1(VALU_DEP_1)
	v_pk_fma_f32 v[136:137], v[130:131], v[120:121], v[134:135] op_sel:[0,0,1] op_sel_hi:[1,1,0] neg_lo:[0,0,1] neg_hi:[0,0,1]
	v_pk_fma_f32 v[130:131], v[130:131], v[120:121], v[134:135] op_sel:[0,0,1] op_sel_hi:[1,0,0]
	v_mov_b32_e32 v137, v131
	v_pk_mul_f32 v[130:131], v[132:133], v[122:123] op_sel:[0,1]
	s_delay_alu instid0(VALU_DEP_2) | instskip(NEXT) | instid1(VALU_DEP_2)
	v_pk_add_f32 v[42:43], v[42:43], v[136:137] neg_lo:[0,1] neg_hi:[0,1]
	v_pk_fma_f32 v[134:135], v[132:133], v[120:121], v[130:131] op_sel:[0,0,1] op_sel_hi:[1,1,0] neg_lo:[0,0,1] neg_hi:[0,0,1]
	v_pk_fma_f32 v[130:131], v[132:133], v[120:121], v[130:131] op_sel:[0,0,1] op_sel_hi:[1,0,0]
	s_delay_alu instid0(VALU_DEP_1) | instskip(SKIP_4) | instid1(VALU_DEP_1)
	v_mov_b32_e32 v135, v131
	ds_load_2addr_b64 v[130:133], v124 offset0:40 offset1:41
	v_pk_add_f32 v[38:39], v[38:39], v[134:135] neg_lo:[0,1] neg_hi:[0,1]
	s_wait_dscnt 0x0
	v_pk_mul_f32 v[134:135], v[130:131], v[122:123] op_sel:[0,1]
	v_pk_fma_f32 v[136:137], v[130:131], v[120:121], v[134:135] op_sel:[0,0,1] op_sel_hi:[1,1,0] neg_lo:[0,0,1] neg_hi:[0,0,1]
	v_pk_fma_f32 v[130:131], v[130:131], v[120:121], v[134:135] op_sel:[0,0,1] op_sel_hi:[1,0,0]
	v_dual_mul_f32 v134, v133, v123 :: v_dual_mov_b32 v130, v133
	s_delay_alu instid0(VALU_DEP_2) | instskip(NEXT) | instid1(VALU_DEP_2)
	v_dual_mov_b32 v137, v131 :: v_dual_mov_b32 v131, v132
	v_pk_fma_f32 v[134:135], v[132:133], v[80:81], v[134:135] op_sel_hi:[1,1,0] neg_lo:[0,0,1] neg_hi:[0,0,1]
	v_mul_f32_e32 v132, v133, v120
	s_delay_alu instid0(VALU_DEP_3) | instskip(NEXT) | instid1(VALU_DEP_2)
	v_pk_add_f32 v[36:37], v[36:37], v[136:137] neg_lo:[0,1] neg_hi:[0,1]
	v_pk_fma_f32 v[130:131], v[130:131], v[80:81], v[132:133] op_sel_hi:[1,1,0]
	s_delay_alu instid0(VALU_DEP_1) | instskip(SKIP_4) | instid1(VALU_DEP_1)
	v_mov_b32_e32 v135, v131
	ds_load_2addr_b64 v[130:133], v124 offset0:42 offset1:43
	v_pk_add_f32 v[32:33], v[32:33], v[134:135] neg_lo:[0,1] neg_hi:[0,1]
	s_wait_dscnt 0x0
	v_pk_mul_f32 v[134:135], v[130:131], v[122:123] op_sel:[0,1]
	v_pk_fma_f32 v[136:137], v[130:131], v[120:121], v[134:135] op_sel:[0,0,1] op_sel_hi:[1,1,0] neg_lo:[0,0,1] neg_hi:[0,0,1]
	v_pk_fma_f32 v[130:131], v[130:131], v[120:121], v[134:135] op_sel:[0,0,1] op_sel_hi:[1,0,0]
	s_delay_alu instid0(VALU_DEP_1) | instskip(SKIP_1) | instid1(VALU_DEP_1)
	v_mov_b32_e32 v137, v131
	v_pk_mul_f32 v[130:131], v[132:133], v[122:123] op_sel:[0,1]
	v_pk_fma_f32 v[134:135], v[132:133], v[120:121], v[130:131] op_sel:[0,0,1] op_sel_hi:[1,1,0] neg_lo:[0,0,1] neg_hi:[0,0,1]
	v_pk_fma_f32 v[130:131], v[132:133], v[120:121], v[130:131] op_sel:[0,0,1] op_sel_hi:[1,0,0]
	s_delay_alu instid0(VALU_DEP_1)
	v_mov_b32_e32 v135, v131
	ds_load_2addr_b64 v[130:133], v124 offset0:44 offset1:45
	v_pk_add_f32 v[34:35], v[34:35], v[136:137] neg_lo:[0,1] neg_hi:[0,1]
	v_pk_add_f32 v[30:31], v[30:31], v[134:135] neg_lo:[0,1] neg_hi:[0,1]
	s_wait_dscnt 0x0
	v_pk_mul_f32 v[134:135], v[130:131], v[122:123] op_sel:[0,1]
	s_delay_alu instid0(VALU_DEP_1) | instskip(SKIP_1) | instid1(VALU_DEP_1)
	v_pk_fma_f32 v[136:137], v[130:131], v[120:121], v[134:135] op_sel:[0,0,1] op_sel_hi:[1,1,0] neg_lo:[0,0,1] neg_hi:[0,0,1]
	v_pk_fma_f32 v[130:131], v[130:131], v[120:121], v[134:135] op_sel:[0,0,1] op_sel_hi:[1,0,0]
	v_mov_b32_e32 v137, v131
	v_pk_mul_f32 v[130:131], v[132:133], v[122:123] op_sel:[0,1]
	s_delay_alu instid0(VALU_DEP_1) | instskip(SKIP_1) | instid1(VALU_DEP_1)
	v_pk_fma_f32 v[134:135], v[132:133], v[120:121], v[130:131] op_sel:[0,0,1] op_sel_hi:[1,1,0] neg_lo:[0,0,1] neg_hi:[0,0,1]
	v_pk_fma_f32 v[130:131], v[132:133], v[120:121], v[130:131] op_sel:[0,0,1] op_sel_hi:[1,0,0]
	v_mov_b32_e32 v135, v131
	ds_load_2addr_b64 v[130:133], v124 offset0:46 offset1:47
	v_pk_add_f32 v[26:27], v[26:27], v[136:137] neg_lo:[0,1] neg_hi:[0,1]
	v_pk_add_f32 v[22:23], v[22:23], v[134:135] neg_lo:[0,1] neg_hi:[0,1]
	s_wait_dscnt 0x0
	v_dual_mul_f32 v134, v131, v123 :: v_dual_mul_f32 v136, v131, v120
	s_delay_alu instid0(VALU_DEP_1) | instskip(NEXT) | instid1(VALU_DEP_2)
	v_pk_fma_f32 v[134:135], v[130:131], v[80:81], v[134:135] op_sel_hi:[1,1,0] neg_lo:[0,0,1] neg_hi:[0,0,1]
	v_pk_fma_f32 v[130:131], v[130:131], v[80:81], v[136:137] op_sel:[1,0,0] op_sel_hi:[0,1,0]
	s_delay_alu instid0(VALU_DEP_1) | instskip(SKIP_1) | instid1(VALU_DEP_2)
	v_mov_b32_e32 v135, v131
	v_pk_mul_f32 v[130:131], v[132:133], v[122:123] op_sel:[0,1]
	v_pk_add_f32 v[24:25], v[24:25], v[134:135] neg_lo:[0,1] neg_hi:[0,1]
	s_delay_alu instid0(VALU_DEP_2) | instskip(SKIP_1) | instid1(VALU_DEP_1)
	v_pk_fma_f32 v[134:135], v[132:133], v[120:121], v[130:131] op_sel:[0,0,1] op_sel_hi:[1,1,0] neg_lo:[0,0,1] neg_hi:[0,0,1]
	v_pk_fma_f32 v[130:131], v[132:133], v[120:121], v[130:131] op_sel:[0,0,1] op_sel_hi:[1,0,0]
	v_mov_b32_e32 v135, v131
	ds_load_2addr_b64 v[130:133], v124 offset0:48 offset1:49
	v_pk_add_f32 v[20:21], v[20:21], v[134:135] neg_lo:[0,1] neg_hi:[0,1]
	s_wait_dscnt 0x0
	v_pk_mul_f32 v[134:135], v[130:131], v[122:123] op_sel:[0,1]
	s_delay_alu instid0(VALU_DEP_1) | instskip(SKIP_1) | instid1(VALU_DEP_1)
	v_pk_fma_f32 v[136:137], v[130:131], v[120:121], v[134:135] op_sel:[0,0,1] op_sel_hi:[1,1,0] neg_lo:[0,0,1] neg_hi:[0,0,1]
	v_pk_fma_f32 v[130:131], v[130:131], v[120:121], v[134:135] op_sel:[0,0,1] op_sel_hi:[1,0,0]
	v_mov_b32_e32 v137, v131
	v_pk_mul_f32 v[130:131], v[132:133], v[122:123] op_sel:[0,1]
	s_delay_alu instid0(VALU_DEP_2) | instskip(NEXT) | instid1(VALU_DEP_2)
	v_pk_add_f32 v[14:15], v[14:15], v[136:137] neg_lo:[0,1] neg_hi:[0,1]
	v_pk_fma_f32 v[134:135], v[132:133], v[120:121], v[130:131] op_sel:[0,0,1] op_sel_hi:[1,1,0] neg_lo:[0,0,1] neg_hi:[0,0,1]
	v_pk_fma_f32 v[130:131], v[132:133], v[120:121], v[130:131] op_sel:[0,0,1] op_sel_hi:[1,0,0]
	s_delay_alu instid0(VALU_DEP_1) | instskip(SKIP_4) | instid1(VALU_DEP_1)
	v_mov_b32_e32 v135, v131
	ds_load_2addr_b64 v[130:133], v124 offset0:50 offset1:51
	v_pk_add_f32 v[10:11], v[10:11], v[134:135] neg_lo:[0,1] neg_hi:[0,1]
	s_wait_dscnt 0x0
	v_pk_mul_f32 v[134:135], v[130:131], v[122:123] op_sel:[0,1]
	v_pk_fma_f32 v[136:137], v[130:131], v[120:121], v[134:135] op_sel:[0,0,1] op_sel_hi:[1,1,0] neg_lo:[0,0,1] neg_hi:[0,0,1]
	v_pk_fma_f32 v[130:131], v[130:131], v[120:121], v[134:135] op_sel:[0,0,1] op_sel_hi:[1,0,0]
	v_dual_mul_f32 v134, v133, v123 :: v_dual_mov_b32 v130, v133
	s_delay_alu instid0(VALU_DEP_2) | instskip(NEXT) | instid1(VALU_DEP_2)
	v_dual_mov_b32 v137, v131 :: v_dual_mov_b32 v131, v132
	v_pk_fma_f32 v[134:135], v[132:133], v[80:81], v[134:135] op_sel_hi:[1,1,0] neg_lo:[0,0,1] neg_hi:[0,0,1]
	v_mul_f32_e32 v132, v133, v120
	s_delay_alu instid0(VALU_DEP_3) | instskip(NEXT) | instid1(VALU_DEP_2)
	v_pk_add_f32 v[12:13], v[12:13], v[136:137] neg_lo:[0,1] neg_hi:[0,1]
	v_pk_fma_f32 v[130:131], v[130:131], v[80:81], v[132:133] op_sel_hi:[1,1,0]
	s_delay_alu instid0(VALU_DEP_1) | instskip(SKIP_4) | instid1(VALU_DEP_1)
	v_mov_b32_e32 v135, v131
	ds_load_2addr_b64 v[130:133], v124 offset0:52 offset1:53
	v_pk_add_f32 v[8:9], v[8:9], v[134:135] neg_lo:[0,1] neg_hi:[0,1]
	s_wait_dscnt 0x0
	v_pk_mul_f32 v[134:135], v[130:131], v[122:123] op_sel:[0,1]
	v_pk_fma_f32 v[136:137], v[130:131], v[120:121], v[134:135] op_sel:[0,0,1] op_sel_hi:[1,1,0] neg_lo:[0,0,1] neg_hi:[0,0,1]
	v_pk_fma_f32 v[130:131], v[130:131], v[120:121], v[134:135] op_sel:[0,0,1] op_sel_hi:[1,0,0]
	s_delay_alu instid0(VALU_DEP_1) | instskip(SKIP_1) | instid1(VALU_DEP_1)
	v_mov_b32_e32 v137, v131
	v_pk_mul_f32 v[130:131], v[132:133], v[122:123] op_sel:[0,1]
	v_pk_fma_f32 v[134:135], v[132:133], v[120:121], v[130:131] op_sel:[0,0,1] op_sel_hi:[1,1,0] neg_lo:[0,0,1] neg_hi:[0,0,1]
	v_pk_fma_f32 v[130:131], v[132:133], v[120:121], v[130:131] op_sel:[0,0,1] op_sel_hi:[1,0,0]
	s_delay_alu instid0(VALU_DEP_1)
	v_mov_b32_e32 v135, v131
	ds_load_2addr_b64 v[130:133], v124 offset0:54 offset1:55
	v_pk_add_f32 v[6:7], v[6:7], v[136:137] neg_lo:[0,1] neg_hi:[0,1]
	v_pk_add_f32 v[28:29], v[28:29], v[134:135] neg_lo:[0,1] neg_hi:[0,1]
	s_wait_dscnt 0x0
	v_pk_mul_f32 v[134:135], v[130:131], v[122:123] op_sel:[0,1]
	s_delay_alu instid0(VALU_DEP_1) | instskip(SKIP_1) | instid1(VALU_DEP_1)
	v_pk_fma_f32 v[136:137], v[130:131], v[120:121], v[134:135] op_sel:[0,0,1] op_sel_hi:[1,1,0] neg_lo:[0,0,1] neg_hi:[0,0,1]
	v_pk_fma_f32 v[130:131], v[130:131], v[120:121], v[134:135] op_sel:[0,0,1] op_sel_hi:[1,0,0]
	v_mov_b32_e32 v137, v131
	v_pk_mul_f32 v[130:131], v[132:133], v[122:123] op_sel:[0,1]
	s_delay_alu instid0(VALU_DEP_1) | instskip(SKIP_1) | instid1(VALU_DEP_1)
	v_pk_fma_f32 v[134:135], v[132:133], v[120:121], v[130:131] op_sel:[0,0,1] op_sel_hi:[1,1,0] neg_lo:[0,0,1] neg_hi:[0,0,1]
	v_pk_fma_f32 v[130:131], v[132:133], v[120:121], v[130:131] op_sel:[0,0,1] op_sel_hi:[1,0,0]
	v_mov_b32_e32 v135, v131
	ds_load_b64 v[130:131], v124 offset:448
	v_pk_add_f32 v[18:19], v[18:19], v[136:137] neg_lo:[0,1] neg_hi:[0,1]
	v_pk_add_f32 v[16:17], v[16:17], v[134:135] neg_lo:[0,1] neg_hi:[0,1]
	s_wait_dscnt 0x0
	v_pk_mul_f32 v[122:123], v[130:131], v[122:123] op_sel:[0,1]
	s_delay_alu instid0(VALU_DEP_1) | instskip(SKIP_1) | instid1(VALU_DEP_1)
	v_pk_fma_f32 v[132:133], v[130:131], v[120:121], v[122:123] op_sel:[0,0,1] op_sel_hi:[1,1,0] neg_lo:[0,0,1] neg_hi:[0,0,1]
	v_pk_fma_f32 v[120:121], v[130:131], v[120:121], v[122:123] op_sel:[0,0,1] op_sel_hi:[1,0,0]
	v_mov_b32_e32 v133, v121
	s_delay_alu instid0(VALU_DEP_1)
	v_pk_add_f32 v[118:119], v[118:119], v[132:133] neg_lo:[0,1] neg_hi:[0,1]
.LBB112_377:
	s_or_b32 exec_lo, exec_lo, s0
	v_lshl_add_u32 v120, v128, 3, v124
	s_barrier_signal -1
	s_barrier_wait -1
	ds_store_b64 v120, v[82:83]
	s_wait_dscnt 0x0
	s_barrier_signal -1
	s_barrier_wait -1
	ds_load_b64 v[122:123], v124 offset:144
	v_mov_b32_e32 v120, 18
	s_cmp_lt_i32 s18, 20
	s_cbranch_scc1 .LBB112_380
; %bb.378:
	v_add3_u32 v121, v125, 0, 0x98
	v_mov_b32_e32 v120, 18
	s_mov_b32 s0, 19
.LBB112_379:                            ; =>This Inner Loop Header: Depth=1
	ds_load_b64 v[130:131], v121
	s_wait_dscnt 0x1
	v_cmp_gt_f32_e32 vcc_lo, 0, v122
	v_cndmask_b32_e64 v132, v122, -v122, vcc_lo
	v_cmp_gt_f32_e32 vcc_lo, 0, v123
	v_cndmask_b32_e64 v134, v123, -v123, vcc_lo
	s_wait_dscnt 0x0
	v_cmp_gt_f32_e32 vcc_lo, 0, v130
	v_cndmask_b32_e64 v133, v130, -v130, vcc_lo
	v_cmp_gt_f32_e32 vcc_lo, 0, v131
	v_cndmask_b32_e64 v135, v131, -v131, vcc_lo
	s_delay_alu instid0(VALU_DEP_1) | instskip(NEXT) | instid1(VALU_DEP_1)
	v_pk_add_f32 v[132:133], v[132:133], v[134:135]
	v_cmp_lt_f32_e32 vcc_lo, v132, v133
	v_dual_add_nc_u32 v121, 8, v121 :: v_dual_cndmask_b32 v123, v123, v131, vcc_lo
	v_cndmask_b32_e32 v122, v122, v130, vcc_lo
	v_cndmask_b32_e64 v120, v120, s0, vcc_lo
	s_add_co_i32 s0, s0, 1
	s_delay_alu instid0(SALU_CYCLE_1)
	s_cmp_lg_u32 s18, s0
	s_cbranch_scc1 .LBB112_379
.LBB112_380:
	s_wait_dscnt 0x0
	v_cmp_eq_f32_e32 vcc_lo, 0, v122
	v_cmp_eq_f32_e64 s0, 0, v123
	s_and_b32 s0, vcc_lo, s0
	s_delay_alu instid0(SALU_CYCLE_1) | instskip(NEXT) | instid1(SALU_CYCLE_1)
	s_and_saveexec_b32 s1, s0
	s_xor_b32 s0, exec_lo, s1
; %bb.381:
	v_cmp_ne_u32_e32 vcc_lo, 0, v126
	v_cndmask_b32_e32 v126, 19, v126, vcc_lo
; %bb.382:
	s_and_not1_saveexec_b32 s0, s0
	s_cbranch_execz .LBB112_388
; %bb.383:
	v_cmp_ngt_f32_e64 s1, |v122|, |v123|
	s_and_saveexec_b32 s12, s1
	s_delay_alu instid0(SALU_CYCLE_1)
	s_xor_b32 s1, exec_lo, s12
	s_cbranch_execz .LBB112_385
; %bb.384:
	v_div_scale_f32 v121, null, v123, v123, v122
	v_div_scale_f32 v131, vcc_lo, v122, v123, v122
	s_delay_alu instid0(VALU_DEP_2) | instskip(SKIP_1) | instid1(TRANS32_DEP_1)
	v_rcp_f32_e32 v129, v121
	v_nop
	v_fma_f32 v130, -v121, v129, 1.0
	s_delay_alu instid0(VALU_DEP_1) | instskip(NEXT) | instid1(VALU_DEP_1)
	v_fmac_f32_e32 v129, v130, v129
	v_mul_f32_e32 v130, v131, v129
	s_delay_alu instid0(VALU_DEP_1) | instskip(NEXT) | instid1(VALU_DEP_1)
	v_fma_f32 v132, -v121, v130, v131
	v_fmac_f32_e32 v130, v132, v129
	s_delay_alu instid0(VALU_DEP_1) | instskip(NEXT) | instid1(VALU_DEP_1)
	v_fma_f32 v121, -v121, v130, v131
	v_div_fmas_f32 v121, v121, v129, v130
	s_delay_alu instid0(VALU_DEP_1) | instskip(NEXT) | instid1(VALU_DEP_1)
	v_div_fixup_f32 v121, v121, v123, v122
	v_fmac_f32_e32 v123, v122, v121
	s_delay_alu instid0(VALU_DEP_1) | instskip(SKIP_1) | instid1(VALU_DEP_2)
	v_div_scale_f32 v122, null, v123, v123, 1.0
	v_div_scale_f32 v131, vcc_lo, 1.0, v123, 1.0
	v_rcp_f32_e32 v129, v122
	v_nop
	s_delay_alu instid0(TRANS32_DEP_1) | instskip(NEXT) | instid1(VALU_DEP_1)
	v_fma_f32 v130, -v122, v129, 1.0
	v_fmac_f32_e32 v129, v130, v129
	s_delay_alu instid0(VALU_DEP_1) | instskip(NEXT) | instid1(VALU_DEP_1)
	v_mul_f32_e32 v130, v131, v129
	v_fma_f32 v132, -v122, v130, v131
	s_delay_alu instid0(VALU_DEP_1) | instskip(NEXT) | instid1(VALU_DEP_1)
	v_fmac_f32_e32 v130, v132, v129
	v_fma_f32 v122, -v122, v130, v131
	s_delay_alu instid0(VALU_DEP_1) | instskip(NEXT) | instid1(VALU_DEP_1)
	v_div_fmas_f32 v122, v122, v129, v130
	v_div_fixup_f32 v123, v122, v123, 1.0
	s_delay_alu instid0(VALU_DEP_1)
	v_mul_f32_e32 v122, v121, v123
	v_xor_b32_e32 v123, 0x80000000, v123
.LBB112_385:
	s_and_not1_saveexec_b32 s1, s1
	s_cbranch_execz .LBB112_387
; %bb.386:
	s_delay_alu instid0(VALU_DEP_1) | instskip(SKIP_1) | instid1(VALU_DEP_2)
	v_div_scale_f32 v121, null, v122, v122, v123
	v_div_scale_f32 v131, vcc_lo, v123, v122, v123
	v_rcp_f32_e32 v129, v121
	v_nop
	s_delay_alu instid0(TRANS32_DEP_1) | instskip(NEXT) | instid1(VALU_DEP_1)
	v_fma_f32 v130, -v121, v129, 1.0
	v_fmac_f32_e32 v129, v130, v129
	s_delay_alu instid0(VALU_DEP_1) | instskip(NEXT) | instid1(VALU_DEP_1)
	v_mul_f32_e32 v130, v131, v129
	v_fma_f32 v132, -v121, v130, v131
	s_delay_alu instid0(VALU_DEP_1) | instskip(NEXT) | instid1(VALU_DEP_1)
	v_fmac_f32_e32 v130, v132, v129
	v_fma_f32 v121, -v121, v130, v131
	s_delay_alu instid0(VALU_DEP_1) | instskip(NEXT) | instid1(VALU_DEP_1)
	v_div_fmas_f32 v121, v121, v129, v130
	v_div_fixup_f32 v121, v121, v122, v123
	s_delay_alu instid0(VALU_DEP_1) | instskip(NEXT) | instid1(VALU_DEP_1)
	v_fmac_f32_e32 v122, v123, v121
	v_div_scale_f32 v123, null, v122, v122, 1.0
	s_delay_alu instid0(VALU_DEP_1) | instskip(SKIP_1) | instid1(TRANS32_DEP_1)
	v_rcp_f32_e32 v129, v123
	v_nop
	v_fma_f32 v130, -v123, v129, 1.0
	s_delay_alu instid0(VALU_DEP_1) | instskip(SKIP_1) | instid1(VALU_DEP_1)
	v_fmac_f32_e32 v129, v130, v129
	v_div_scale_f32 v130, vcc_lo, 1.0, v122, 1.0
	v_mul_f32_e32 v131, v130, v129
	s_delay_alu instid0(VALU_DEP_1) | instskip(NEXT) | instid1(VALU_DEP_1)
	v_fma_f32 v132, -v123, v131, v130
	v_fmac_f32_e32 v131, v132, v129
	s_delay_alu instid0(VALU_DEP_1) | instskip(NEXT) | instid1(VALU_DEP_1)
	v_fma_f32 v123, -v123, v131, v130
	v_div_fmas_f32 v123, v123, v129, v131
	s_delay_alu instid0(VALU_DEP_1) | instskip(NEXT) | instid1(VALU_DEP_1)
	v_div_fixup_f32 v122, v123, v122, 1.0
	v_mul_f32_e64 v123, v121, -v122
.LBB112_387:
	s_or_b32 exec_lo, exec_lo, s1
.LBB112_388:
	s_delay_alu instid0(SALU_CYCLE_1) | instskip(NEXT) | instid1(SALU_CYCLE_1)
	s_or_b32 exec_lo, exec_lo, s0
	s_mov_b32 s0, exec_lo
	v_cmpx_ne_u32_e64 v128, v120
	s_xor_b32 s0, exec_lo, s0
	s_cbranch_execz .LBB112_394
; %bb.389:
	s_mov_b32 s1, exec_lo
	v_cmpx_eq_u32_e32 18, v128
	s_cbranch_execz .LBB112_393
; %bb.390:
	v_cmp_ne_u32_e32 vcc_lo, 18, v120
	s_xor_b32 s12, s16, -1
	s_delay_alu instid0(SALU_CYCLE_1) | instskip(NEXT) | instid1(SALU_CYCLE_1)
	s_and_b32 s13, s12, vcc_lo
	s_and_saveexec_b32 s12, s13
	s_cbranch_execz .LBB112_392
; %bb.391:
	v_ashrrev_i32_e32 v121, 31, v120
	s_delay_alu instid0(VALU_DEP_1)
	v_lshl_add_u64 v[128:129], v[120:121], 2, v[4:5]
	s_clause 0x1
	global_load_b32 v121, v[128:129], off
	global_load_b32 v127, v[4:5], off offset:72
	s_wait_loadcnt 0x1
	global_store_b32 v[4:5], v121, off offset:72
	s_wait_loadcnt 0x0
	global_store_b32 v[128:129], v127, off
.LBB112_392:
	s_wait_xcnt 0x0
	s_or_b32 exec_lo, exec_lo, s12
	v_dual_mov_b32 v128, v120 :: v_dual_mov_b32 v127, v120
.LBB112_393:
	s_or_b32 exec_lo, exec_lo, s1
.LBB112_394:
	s_and_not1_saveexec_b32 s0, s0
	s_cbranch_execz .LBB112_396
; %bb.395:
	v_mov_b32_e32 v128, 18
	ds_store_2addr_b64 v124, v[78:79], v[76:77] offset0:19 offset1:20
	ds_store_2addr_b64 v124, v[72:73], v[74:75] offset0:21 offset1:22
	;; [unrolled: 1-line block ×19, first 2 shown]
.LBB112_396:
	s_or_b32 exec_lo, exec_lo, s0
	s_delay_alu instid0(SALU_CYCLE_1)
	s_mov_b32 s0, exec_lo
	s_wait_storecnt_dscnt 0x0
	s_barrier_signal -1
	s_barrier_wait -1
	v_cmpx_lt_i32_e32 18, v128
	s_cbranch_execz .LBB112_398
; %bb.397:
	v_pk_mul_f32 v[130:131], v[122:123], v[82:83] op_sel:[1,1] op_sel_hi:[0,1]
	s_delay_alu instid0(VALU_DEP_1)
	v_pk_fma_f32 v[120:121], v[122:123], v[82:83], v[130:131] op_sel_hi:[1,0,1] neg_lo:[0,0,1] neg_hi:[0,0,1]
	v_pk_fma_f32 v[122:123], v[122:123], v[82:83], v[130:131] op_sel_hi:[1,0,1]
	ds_load_2addr_b64 v[130:133], v124 offset0:19 offset1:20
	v_dual_mov_b32 v82, v120 :: v_dual_mov_b32 v83, v123
	s_wait_dscnt 0x0
	v_pk_mul_f32 v[134:135], v[130:131], v[122:123] op_sel:[0,1]
	s_delay_alu instid0(VALU_DEP_1) | instskip(SKIP_1) | instid1(VALU_DEP_1)
	v_pk_fma_f32 v[136:137], v[130:131], v[120:121], v[134:135] op_sel:[0,0,1] op_sel_hi:[1,1,0] neg_lo:[0,0,1] neg_hi:[0,0,1]
	v_pk_fma_f32 v[130:131], v[130:131], v[120:121], v[134:135] op_sel:[0,0,1] op_sel_hi:[1,0,0]
	v_mov_b32_e32 v137, v131
	v_pk_mul_f32 v[130:131], v[132:133], v[122:123] op_sel:[0,1]
	s_delay_alu instid0(VALU_DEP_1) | instskip(SKIP_1) | instid1(VALU_DEP_1)
	v_pk_fma_f32 v[134:135], v[132:133], v[120:121], v[130:131] op_sel:[0,0,1] op_sel_hi:[1,1,0] neg_lo:[0,0,1] neg_hi:[0,0,1]
	v_pk_fma_f32 v[130:131], v[132:133], v[120:121], v[130:131] op_sel:[0,0,1] op_sel_hi:[1,0,0]
	v_mov_b32_e32 v135, v131
	ds_load_2addr_b64 v[130:133], v124 offset0:21 offset1:22
	v_pk_add_f32 v[78:79], v[78:79], v[136:137] neg_lo:[0,1] neg_hi:[0,1]
	v_pk_add_f32 v[76:77], v[76:77], v[134:135] neg_lo:[0,1] neg_hi:[0,1]
	s_wait_dscnt 0x0
	v_pk_mul_f32 v[134:135], v[130:131], v[122:123] op_sel:[0,1]
	s_delay_alu instid0(VALU_DEP_1) | instskip(SKIP_2) | instid1(VALU_DEP_2)
	v_pk_fma_f32 v[136:137], v[130:131], v[120:121], v[134:135] op_sel:[0,0,1] op_sel_hi:[1,1,0] neg_lo:[0,0,1] neg_hi:[0,0,1]
	v_pk_fma_f32 v[130:131], v[130:131], v[120:121], v[134:135] op_sel:[0,0,1] op_sel_hi:[1,0,0]
	v_dual_mul_f32 v134, v133, v123 :: v_dual_mov_b32 v130, v133
	v_dual_mov_b32 v137, v131 :: v_dual_mov_b32 v131, v132
	s_delay_alu instid0(VALU_DEP_2) | instskip(SKIP_1) | instid1(VALU_DEP_3)
	v_pk_fma_f32 v[134:135], v[132:133], v[82:83], v[134:135] op_sel_hi:[1,1,0] neg_lo:[0,0,1] neg_hi:[0,0,1]
	v_mul_f32_e32 v132, v133, v120
	v_pk_add_f32 v[72:73], v[72:73], v[136:137] neg_lo:[0,1] neg_hi:[0,1]
	s_delay_alu instid0(VALU_DEP_2) | instskip(NEXT) | instid1(VALU_DEP_1)
	v_pk_fma_f32 v[130:131], v[130:131], v[82:83], v[132:133] op_sel_hi:[1,1,0]
	v_mov_b32_e32 v135, v131
	ds_load_2addr_b64 v[130:133], v124 offset0:23 offset1:24
	v_pk_add_f32 v[74:75], v[74:75], v[134:135] neg_lo:[0,1] neg_hi:[0,1]
	s_wait_dscnt 0x0
	v_pk_mul_f32 v[134:135], v[130:131], v[122:123] op_sel:[0,1]
	s_delay_alu instid0(VALU_DEP_1) | instskip(SKIP_1) | instid1(VALU_DEP_1)
	v_pk_fma_f32 v[136:137], v[130:131], v[120:121], v[134:135] op_sel:[0,0,1] op_sel_hi:[1,1,0] neg_lo:[0,0,1] neg_hi:[0,0,1]
	v_pk_fma_f32 v[130:131], v[130:131], v[120:121], v[134:135] op_sel:[0,0,1] op_sel_hi:[1,0,0]
	v_mov_b32_e32 v137, v131
	v_pk_mul_f32 v[130:131], v[132:133], v[122:123] op_sel:[0,1]
	s_delay_alu instid0(VALU_DEP_1) | instskip(SKIP_1) | instid1(VALU_DEP_1)
	v_pk_fma_f32 v[134:135], v[132:133], v[120:121], v[130:131] op_sel:[0,0,1] op_sel_hi:[1,1,0] neg_lo:[0,0,1] neg_hi:[0,0,1]
	v_pk_fma_f32 v[130:131], v[132:133], v[120:121], v[130:131] op_sel:[0,0,1] op_sel_hi:[1,0,0]
	v_mov_b32_e32 v135, v131
	ds_load_2addr_b64 v[130:133], v124 offset0:25 offset1:26
	v_pk_add_f32 v[70:71], v[70:71], v[136:137] neg_lo:[0,1] neg_hi:[0,1]
	v_pk_add_f32 v[68:69], v[68:69], v[134:135] neg_lo:[0,1] neg_hi:[0,1]
	s_wait_dscnt 0x0
	v_pk_mul_f32 v[134:135], v[130:131], v[122:123] op_sel:[0,1]
	s_delay_alu instid0(VALU_DEP_1) | instskip(SKIP_1) | instid1(VALU_DEP_1)
	v_pk_fma_f32 v[136:137], v[130:131], v[120:121], v[134:135] op_sel:[0,0,1] op_sel_hi:[1,1,0] neg_lo:[0,0,1] neg_hi:[0,0,1]
	v_pk_fma_f32 v[130:131], v[130:131], v[120:121], v[134:135] op_sel:[0,0,1] op_sel_hi:[1,0,0]
	v_mov_b32_e32 v137, v131
	v_pk_mul_f32 v[130:131], v[132:133], v[122:123] op_sel:[0,1]
	s_delay_alu instid0(VALU_DEP_1) | instskip(SKIP_1) | instid1(VALU_DEP_1)
	v_pk_fma_f32 v[134:135], v[132:133], v[120:121], v[130:131] op_sel:[0,0,1] op_sel_hi:[1,1,0] neg_lo:[0,0,1] neg_hi:[0,0,1]
	v_pk_fma_f32 v[130:131], v[132:133], v[120:121], v[130:131] op_sel:[0,0,1] op_sel_hi:[1,0,0]
	v_mov_b32_e32 v135, v131
	ds_load_2addr_b64 v[130:133], v124 offset0:27 offset1:28
	v_pk_add_f32 v[64:65], v[64:65], v[136:137] neg_lo:[0,1] neg_hi:[0,1]
	v_pk_add_f32 v[66:67], v[66:67], v[134:135] neg_lo:[0,1] neg_hi:[0,1]
	s_wait_dscnt 0x0
	v_dual_mul_f32 v134, v131, v123 :: v_dual_mul_f32 v136, v131, v120
	s_delay_alu instid0(VALU_DEP_1) | instskip(NEXT) | instid1(VALU_DEP_2)
	v_pk_fma_f32 v[134:135], v[130:131], v[82:83], v[134:135] op_sel_hi:[1,1,0] neg_lo:[0,0,1] neg_hi:[0,0,1]
	v_pk_fma_f32 v[130:131], v[130:131], v[82:83], v[136:137] op_sel:[1,0,0] op_sel_hi:[0,1,0]
	s_delay_alu instid0(VALU_DEP_1) | instskip(SKIP_1) | instid1(VALU_DEP_2)
	v_mov_b32_e32 v135, v131
	v_pk_mul_f32 v[130:131], v[132:133], v[122:123] op_sel:[0,1]
	v_pk_add_f32 v[62:63], v[62:63], v[134:135] neg_lo:[0,1] neg_hi:[0,1]
	s_delay_alu instid0(VALU_DEP_2) | instskip(SKIP_1) | instid1(VALU_DEP_1)
	v_pk_fma_f32 v[134:135], v[132:133], v[120:121], v[130:131] op_sel:[0,0,1] op_sel_hi:[1,1,0] neg_lo:[0,0,1] neg_hi:[0,0,1]
	v_pk_fma_f32 v[130:131], v[132:133], v[120:121], v[130:131] op_sel:[0,0,1] op_sel_hi:[1,0,0]
	v_mov_b32_e32 v135, v131
	ds_load_2addr_b64 v[130:133], v124 offset0:29 offset1:30
	v_pk_add_f32 v[60:61], v[60:61], v[134:135] neg_lo:[0,1] neg_hi:[0,1]
	s_wait_dscnt 0x0
	v_pk_mul_f32 v[134:135], v[130:131], v[122:123] op_sel:[0,1]
	s_delay_alu instid0(VALU_DEP_1) | instskip(SKIP_1) | instid1(VALU_DEP_1)
	v_pk_fma_f32 v[136:137], v[130:131], v[120:121], v[134:135] op_sel:[0,0,1] op_sel_hi:[1,1,0] neg_lo:[0,0,1] neg_hi:[0,0,1]
	v_pk_fma_f32 v[130:131], v[130:131], v[120:121], v[134:135] op_sel:[0,0,1] op_sel_hi:[1,0,0]
	v_mov_b32_e32 v137, v131
	v_pk_mul_f32 v[130:131], v[132:133], v[122:123] op_sel:[0,1]
	s_delay_alu instid0(VALU_DEP_2) | instskip(NEXT) | instid1(VALU_DEP_2)
	v_pk_add_f32 v[56:57], v[56:57], v[136:137] neg_lo:[0,1] neg_hi:[0,1]
	v_pk_fma_f32 v[134:135], v[132:133], v[120:121], v[130:131] op_sel:[0,0,1] op_sel_hi:[1,1,0] neg_lo:[0,0,1] neg_hi:[0,0,1]
	v_pk_fma_f32 v[130:131], v[132:133], v[120:121], v[130:131] op_sel:[0,0,1] op_sel_hi:[1,0,0]
	s_delay_alu instid0(VALU_DEP_1) | instskip(SKIP_4) | instid1(VALU_DEP_1)
	v_mov_b32_e32 v135, v131
	ds_load_2addr_b64 v[130:133], v124 offset0:31 offset1:32
	v_pk_add_f32 v[58:59], v[58:59], v[134:135] neg_lo:[0,1] neg_hi:[0,1]
	s_wait_dscnt 0x0
	v_pk_mul_f32 v[134:135], v[130:131], v[122:123] op_sel:[0,1]
	v_pk_fma_f32 v[136:137], v[130:131], v[120:121], v[134:135] op_sel:[0,0,1] op_sel_hi:[1,1,0] neg_lo:[0,0,1] neg_hi:[0,0,1]
	v_pk_fma_f32 v[130:131], v[130:131], v[120:121], v[134:135] op_sel:[0,0,1] op_sel_hi:[1,0,0]
	v_dual_mul_f32 v134, v133, v123 :: v_dual_mov_b32 v130, v133
	s_delay_alu instid0(VALU_DEP_2) | instskip(NEXT) | instid1(VALU_DEP_2)
	v_dual_mov_b32 v137, v131 :: v_dual_mov_b32 v131, v132
	v_pk_fma_f32 v[134:135], v[132:133], v[82:83], v[134:135] op_sel_hi:[1,1,0] neg_lo:[0,0,1] neg_hi:[0,0,1]
	v_mul_f32_e32 v132, v133, v120
	s_delay_alu instid0(VALU_DEP_3) | instskip(NEXT) | instid1(VALU_DEP_2)
	v_pk_add_f32 v[54:55], v[54:55], v[136:137] neg_lo:[0,1] neg_hi:[0,1]
	v_pk_fma_f32 v[130:131], v[130:131], v[82:83], v[132:133] op_sel_hi:[1,1,0]
	s_delay_alu instid0(VALU_DEP_1) | instskip(SKIP_4) | instid1(VALU_DEP_1)
	v_mov_b32_e32 v135, v131
	ds_load_2addr_b64 v[130:133], v124 offset0:33 offset1:34
	v_pk_add_f32 v[52:53], v[52:53], v[134:135] neg_lo:[0,1] neg_hi:[0,1]
	s_wait_dscnt 0x0
	v_pk_mul_f32 v[134:135], v[130:131], v[122:123] op_sel:[0,1]
	v_pk_fma_f32 v[136:137], v[130:131], v[120:121], v[134:135] op_sel:[0,0,1] op_sel_hi:[1,1,0] neg_lo:[0,0,1] neg_hi:[0,0,1]
	v_pk_fma_f32 v[130:131], v[130:131], v[120:121], v[134:135] op_sel:[0,0,1] op_sel_hi:[1,0,0]
	s_delay_alu instid0(VALU_DEP_1) | instskip(SKIP_1) | instid1(VALU_DEP_1)
	v_mov_b32_e32 v137, v131
	v_pk_mul_f32 v[130:131], v[132:133], v[122:123] op_sel:[0,1]
	v_pk_fma_f32 v[134:135], v[132:133], v[120:121], v[130:131] op_sel:[0,0,1] op_sel_hi:[1,1,0] neg_lo:[0,0,1] neg_hi:[0,0,1]
	v_pk_fma_f32 v[130:131], v[132:133], v[120:121], v[130:131] op_sel:[0,0,1] op_sel_hi:[1,0,0]
	s_delay_alu instid0(VALU_DEP_1)
	v_mov_b32_e32 v135, v131
	ds_load_2addr_b64 v[130:133], v124 offset0:35 offset1:36
	v_pk_add_f32 v[48:49], v[48:49], v[136:137] neg_lo:[0,1] neg_hi:[0,1]
	v_pk_add_f32 v[50:51], v[50:51], v[134:135] neg_lo:[0,1] neg_hi:[0,1]
	s_wait_dscnt 0x0
	v_pk_mul_f32 v[134:135], v[130:131], v[122:123] op_sel:[0,1]
	s_delay_alu instid0(VALU_DEP_1) | instskip(SKIP_1) | instid1(VALU_DEP_1)
	v_pk_fma_f32 v[136:137], v[130:131], v[120:121], v[134:135] op_sel:[0,0,1] op_sel_hi:[1,1,0] neg_lo:[0,0,1] neg_hi:[0,0,1]
	v_pk_fma_f32 v[130:131], v[130:131], v[120:121], v[134:135] op_sel:[0,0,1] op_sel_hi:[1,0,0]
	v_mov_b32_e32 v137, v131
	v_pk_mul_f32 v[130:131], v[132:133], v[122:123] op_sel:[0,1]
	s_delay_alu instid0(VALU_DEP_1) | instskip(SKIP_1) | instid1(VALU_DEP_1)
	v_pk_fma_f32 v[134:135], v[132:133], v[120:121], v[130:131] op_sel:[0,0,1] op_sel_hi:[1,1,0] neg_lo:[0,0,1] neg_hi:[0,0,1]
	v_pk_fma_f32 v[130:131], v[132:133], v[120:121], v[130:131] op_sel:[0,0,1] op_sel_hi:[1,0,0]
	v_mov_b32_e32 v135, v131
	ds_load_2addr_b64 v[130:133], v124 offset0:37 offset1:38
	v_pk_add_f32 v[46:47], v[46:47], v[136:137] neg_lo:[0,1] neg_hi:[0,1]
	v_pk_add_f32 v[44:45], v[44:45], v[134:135] neg_lo:[0,1] neg_hi:[0,1]
	s_wait_dscnt 0x0
	v_dual_mul_f32 v134, v131, v123 :: v_dual_mul_f32 v136, v131, v120
	s_delay_alu instid0(VALU_DEP_1) | instskip(NEXT) | instid1(VALU_DEP_2)
	v_pk_fma_f32 v[134:135], v[130:131], v[82:83], v[134:135] op_sel_hi:[1,1,0] neg_lo:[0,0,1] neg_hi:[0,0,1]
	v_pk_fma_f32 v[130:131], v[130:131], v[82:83], v[136:137] op_sel:[1,0,0] op_sel_hi:[0,1,0]
	s_delay_alu instid0(VALU_DEP_1) | instskip(SKIP_1) | instid1(VALU_DEP_2)
	v_mov_b32_e32 v135, v131
	v_pk_mul_f32 v[130:131], v[132:133], v[122:123] op_sel:[0,1]
	v_pk_add_f32 v[40:41], v[40:41], v[134:135] neg_lo:[0,1] neg_hi:[0,1]
	s_delay_alu instid0(VALU_DEP_2) | instskip(SKIP_1) | instid1(VALU_DEP_1)
	v_pk_fma_f32 v[134:135], v[132:133], v[120:121], v[130:131] op_sel:[0,0,1] op_sel_hi:[1,1,0] neg_lo:[0,0,1] neg_hi:[0,0,1]
	v_pk_fma_f32 v[130:131], v[132:133], v[120:121], v[130:131] op_sel:[0,0,1] op_sel_hi:[1,0,0]
	v_mov_b32_e32 v135, v131
	ds_load_2addr_b64 v[130:133], v124 offset0:39 offset1:40
	v_pk_add_f32 v[42:43], v[42:43], v[134:135] neg_lo:[0,1] neg_hi:[0,1]
	s_wait_dscnt 0x0
	v_pk_mul_f32 v[134:135], v[130:131], v[122:123] op_sel:[0,1]
	s_delay_alu instid0(VALU_DEP_1) | instskip(SKIP_1) | instid1(VALU_DEP_1)
	v_pk_fma_f32 v[136:137], v[130:131], v[120:121], v[134:135] op_sel:[0,0,1] op_sel_hi:[1,1,0] neg_lo:[0,0,1] neg_hi:[0,0,1]
	v_pk_fma_f32 v[130:131], v[130:131], v[120:121], v[134:135] op_sel:[0,0,1] op_sel_hi:[1,0,0]
	v_mov_b32_e32 v137, v131
	v_pk_mul_f32 v[130:131], v[132:133], v[122:123] op_sel:[0,1]
	s_delay_alu instid0(VALU_DEP_2) | instskip(NEXT) | instid1(VALU_DEP_2)
	v_pk_add_f32 v[38:39], v[38:39], v[136:137] neg_lo:[0,1] neg_hi:[0,1]
	v_pk_fma_f32 v[134:135], v[132:133], v[120:121], v[130:131] op_sel:[0,0,1] op_sel_hi:[1,1,0] neg_lo:[0,0,1] neg_hi:[0,0,1]
	v_pk_fma_f32 v[130:131], v[132:133], v[120:121], v[130:131] op_sel:[0,0,1] op_sel_hi:[1,0,0]
	s_delay_alu instid0(VALU_DEP_1) | instskip(SKIP_4) | instid1(VALU_DEP_1)
	v_mov_b32_e32 v135, v131
	ds_load_2addr_b64 v[130:133], v124 offset0:41 offset1:42
	v_pk_add_f32 v[36:37], v[36:37], v[134:135] neg_lo:[0,1] neg_hi:[0,1]
	s_wait_dscnt 0x0
	v_pk_mul_f32 v[134:135], v[130:131], v[122:123] op_sel:[0,1]
	v_pk_fma_f32 v[136:137], v[130:131], v[120:121], v[134:135] op_sel:[0,0,1] op_sel_hi:[1,1,0] neg_lo:[0,0,1] neg_hi:[0,0,1]
	v_pk_fma_f32 v[130:131], v[130:131], v[120:121], v[134:135] op_sel:[0,0,1] op_sel_hi:[1,0,0]
	v_dual_mul_f32 v134, v133, v123 :: v_dual_mov_b32 v130, v133
	s_delay_alu instid0(VALU_DEP_2) | instskip(NEXT) | instid1(VALU_DEP_2)
	v_dual_mov_b32 v137, v131 :: v_dual_mov_b32 v131, v132
	v_pk_fma_f32 v[134:135], v[132:133], v[82:83], v[134:135] op_sel_hi:[1,1,0] neg_lo:[0,0,1] neg_hi:[0,0,1]
	v_mul_f32_e32 v132, v133, v120
	s_delay_alu instid0(VALU_DEP_3) | instskip(NEXT) | instid1(VALU_DEP_2)
	v_pk_add_f32 v[32:33], v[32:33], v[136:137] neg_lo:[0,1] neg_hi:[0,1]
	v_pk_fma_f32 v[130:131], v[130:131], v[82:83], v[132:133] op_sel_hi:[1,1,0]
	s_delay_alu instid0(VALU_DEP_1) | instskip(SKIP_4) | instid1(VALU_DEP_1)
	v_mov_b32_e32 v135, v131
	ds_load_2addr_b64 v[130:133], v124 offset0:43 offset1:44
	v_pk_add_f32 v[34:35], v[34:35], v[134:135] neg_lo:[0,1] neg_hi:[0,1]
	s_wait_dscnt 0x0
	v_pk_mul_f32 v[134:135], v[130:131], v[122:123] op_sel:[0,1]
	v_pk_fma_f32 v[136:137], v[130:131], v[120:121], v[134:135] op_sel:[0,0,1] op_sel_hi:[1,1,0] neg_lo:[0,0,1] neg_hi:[0,0,1]
	v_pk_fma_f32 v[130:131], v[130:131], v[120:121], v[134:135] op_sel:[0,0,1] op_sel_hi:[1,0,0]
	s_delay_alu instid0(VALU_DEP_1) | instskip(SKIP_1) | instid1(VALU_DEP_1)
	v_mov_b32_e32 v137, v131
	v_pk_mul_f32 v[130:131], v[132:133], v[122:123] op_sel:[0,1]
	v_pk_fma_f32 v[134:135], v[132:133], v[120:121], v[130:131] op_sel:[0,0,1] op_sel_hi:[1,1,0] neg_lo:[0,0,1] neg_hi:[0,0,1]
	v_pk_fma_f32 v[130:131], v[132:133], v[120:121], v[130:131] op_sel:[0,0,1] op_sel_hi:[1,0,0]
	s_delay_alu instid0(VALU_DEP_1)
	v_mov_b32_e32 v135, v131
	ds_load_2addr_b64 v[130:133], v124 offset0:45 offset1:46
	v_pk_add_f32 v[30:31], v[30:31], v[136:137] neg_lo:[0,1] neg_hi:[0,1]
	v_pk_add_f32 v[26:27], v[26:27], v[134:135] neg_lo:[0,1] neg_hi:[0,1]
	s_wait_dscnt 0x0
	v_pk_mul_f32 v[134:135], v[130:131], v[122:123] op_sel:[0,1]
	s_delay_alu instid0(VALU_DEP_1) | instskip(SKIP_1) | instid1(VALU_DEP_1)
	v_pk_fma_f32 v[136:137], v[130:131], v[120:121], v[134:135] op_sel:[0,0,1] op_sel_hi:[1,1,0] neg_lo:[0,0,1] neg_hi:[0,0,1]
	v_pk_fma_f32 v[130:131], v[130:131], v[120:121], v[134:135] op_sel:[0,0,1] op_sel_hi:[1,0,0]
	v_mov_b32_e32 v137, v131
	v_pk_mul_f32 v[130:131], v[132:133], v[122:123] op_sel:[0,1]
	s_delay_alu instid0(VALU_DEP_1) | instskip(SKIP_1) | instid1(VALU_DEP_1)
	v_pk_fma_f32 v[134:135], v[132:133], v[120:121], v[130:131] op_sel:[0,0,1] op_sel_hi:[1,1,0] neg_lo:[0,0,1] neg_hi:[0,0,1]
	v_pk_fma_f32 v[130:131], v[132:133], v[120:121], v[130:131] op_sel:[0,0,1] op_sel_hi:[1,0,0]
	v_mov_b32_e32 v135, v131
	ds_load_2addr_b64 v[130:133], v124 offset0:47 offset1:48
	v_pk_add_f32 v[22:23], v[22:23], v[136:137] neg_lo:[0,1] neg_hi:[0,1]
	v_pk_add_f32 v[24:25], v[24:25], v[134:135] neg_lo:[0,1] neg_hi:[0,1]
	s_wait_dscnt 0x0
	v_dual_mul_f32 v134, v131, v123 :: v_dual_mul_f32 v136, v131, v120
	s_delay_alu instid0(VALU_DEP_1) | instskip(NEXT) | instid1(VALU_DEP_2)
	v_pk_fma_f32 v[134:135], v[130:131], v[82:83], v[134:135] op_sel_hi:[1,1,0] neg_lo:[0,0,1] neg_hi:[0,0,1]
	v_pk_fma_f32 v[130:131], v[130:131], v[82:83], v[136:137] op_sel:[1,0,0] op_sel_hi:[0,1,0]
	s_delay_alu instid0(VALU_DEP_1) | instskip(SKIP_1) | instid1(VALU_DEP_2)
	v_mov_b32_e32 v135, v131
	v_pk_mul_f32 v[130:131], v[132:133], v[122:123] op_sel:[0,1]
	v_pk_add_f32 v[20:21], v[20:21], v[134:135] neg_lo:[0,1] neg_hi:[0,1]
	s_delay_alu instid0(VALU_DEP_2) | instskip(SKIP_1) | instid1(VALU_DEP_1)
	v_pk_fma_f32 v[134:135], v[132:133], v[120:121], v[130:131] op_sel:[0,0,1] op_sel_hi:[1,1,0] neg_lo:[0,0,1] neg_hi:[0,0,1]
	v_pk_fma_f32 v[130:131], v[132:133], v[120:121], v[130:131] op_sel:[0,0,1] op_sel_hi:[1,0,0]
	v_mov_b32_e32 v135, v131
	ds_load_2addr_b64 v[130:133], v124 offset0:49 offset1:50
	v_pk_add_f32 v[14:15], v[14:15], v[134:135] neg_lo:[0,1] neg_hi:[0,1]
	s_wait_dscnt 0x0
	v_pk_mul_f32 v[134:135], v[130:131], v[122:123] op_sel:[0,1]
	s_delay_alu instid0(VALU_DEP_1) | instskip(SKIP_1) | instid1(VALU_DEP_1)
	v_pk_fma_f32 v[136:137], v[130:131], v[120:121], v[134:135] op_sel:[0,0,1] op_sel_hi:[1,1,0] neg_lo:[0,0,1] neg_hi:[0,0,1]
	v_pk_fma_f32 v[130:131], v[130:131], v[120:121], v[134:135] op_sel:[0,0,1] op_sel_hi:[1,0,0]
	v_mov_b32_e32 v137, v131
	v_pk_mul_f32 v[130:131], v[132:133], v[122:123] op_sel:[0,1]
	s_delay_alu instid0(VALU_DEP_2) | instskip(NEXT) | instid1(VALU_DEP_2)
	v_pk_add_f32 v[10:11], v[10:11], v[136:137] neg_lo:[0,1] neg_hi:[0,1]
	v_pk_fma_f32 v[134:135], v[132:133], v[120:121], v[130:131] op_sel:[0,0,1] op_sel_hi:[1,1,0] neg_lo:[0,0,1] neg_hi:[0,0,1]
	v_pk_fma_f32 v[130:131], v[132:133], v[120:121], v[130:131] op_sel:[0,0,1] op_sel_hi:[1,0,0]
	s_delay_alu instid0(VALU_DEP_1) | instskip(SKIP_4) | instid1(VALU_DEP_1)
	v_mov_b32_e32 v135, v131
	ds_load_2addr_b64 v[130:133], v124 offset0:51 offset1:52
	v_pk_add_f32 v[12:13], v[12:13], v[134:135] neg_lo:[0,1] neg_hi:[0,1]
	s_wait_dscnt 0x0
	v_pk_mul_f32 v[134:135], v[130:131], v[122:123] op_sel:[0,1]
	v_pk_fma_f32 v[136:137], v[130:131], v[120:121], v[134:135] op_sel:[0,0,1] op_sel_hi:[1,1,0] neg_lo:[0,0,1] neg_hi:[0,0,1]
	v_pk_fma_f32 v[130:131], v[130:131], v[120:121], v[134:135] op_sel:[0,0,1] op_sel_hi:[1,0,0]
	v_dual_mul_f32 v134, v133, v123 :: v_dual_mov_b32 v130, v133
	s_delay_alu instid0(VALU_DEP_2) | instskip(NEXT) | instid1(VALU_DEP_2)
	v_dual_mov_b32 v137, v131 :: v_dual_mov_b32 v131, v132
	v_pk_fma_f32 v[134:135], v[132:133], v[82:83], v[134:135] op_sel_hi:[1,1,0] neg_lo:[0,0,1] neg_hi:[0,0,1]
	v_mul_f32_e32 v132, v133, v120
	s_delay_alu instid0(VALU_DEP_3) | instskip(NEXT) | instid1(VALU_DEP_2)
	v_pk_add_f32 v[8:9], v[8:9], v[136:137] neg_lo:[0,1] neg_hi:[0,1]
	v_pk_fma_f32 v[130:131], v[130:131], v[82:83], v[132:133] op_sel_hi:[1,1,0]
	s_delay_alu instid0(VALU_DEP_1) | instskip(SKIP_4) | instid1(VALU_DEP_1)
	v_mov_b32_e32 v135, v131
	ds_load_2addr_b64 v[130:133], v124 offset0:53 offset1:54
	v_pk_add_f32 v[6:7], v[6:7], v[134:135] neg_lo:[0,1] neg_hi:[0,1]
	s_wait_dscnt 0x0
	v_pk_mul_f32 v[134:135], v[130:131], v[122:123] op_sel:[0,1]
	v_pk_fma_f32 v[136:137], v[130:131], v[120:121], v[134:135] op_sel:[0,0,1] op_sel_hi:[1,1,0] neg_lo:[0,0,1] neg_hi:[0,0,1]
	v_pk_fma_f32 v[130:131], v[130:131], v[120:121], v[134:135] op_sel:[0,0,1] op_sel_hi:[1,0,0]
	s_delay_alu instid0(VALU_DEP_1) | instskip(SKIP_1) | instid1(VALU_DEP_1)
	v_mov_b32_e32 v137, v131
	v_pk_mul_f32 v[130:131], v[132:133], v[122:123] op_sel:[0,1]
	v_pk_fma_f32 v[134:135], v[132:133], v[120:121], v[130:131] op_sel:[0,0,1] op_sel_hi:[1,1,0] neg_lo:[0,0,1] neg_hi:[0,0,1]
	v_pk_fma_f32 v[130:131], v[132:133], v[120:121], v[130:131] op_sel:[0,0,1] op_sel_hi:[1,0,0]
	s_delay_alu instid0(VALU_DEP_1)
	v_mov_b32_e32 v135, v131
	ds_load_2addr_b64 v[130:133], v124 offset0:55 offset1:56
	v_pk_add_f32 v[28:29], v[28:29], v[136:137] neg_lo:[0,1] neg_hi:[0,1]
	v_pk_add_f32 v[18:19], v[18:19], v[134:135] neg_lo:[0,1] neg_hi:[0,1]
	s_wait_dscnt 0x0
	v_pk_mul_f32 v[134:135], v[130:131], v[122:123] op_sel:[0,1]
	v_pk_mul_f32 v[122:123], v[132:133], v[122:123] op_sel:[0,1]
	s_delay_alu instid0(VALU_DEP_2) | instskip(SKIP_1) | instid1(VALU_DEP_1)
	v_pk_fma_f32 v[136:137], v[130:131], v[120:121], v[134:135] op_sel:[0,0,1] op_sel_hi:[1,1,0] neg_lo:[0,0,1] neg_hi:[0,0,1]
	v_pk_fma_f32 v[130:131], v[130:131], v[120:121], v[134:135] op_sel:[0,0,1] op_sel_hi:[1,0,0]
	v_mov_b32_e32 v137, v131
	s_delay_alu instid0(VALU_DEP_4) | instskip(SKIP_1) | instid1(VALU_DEP_1)
	v_pk_fma_f32 v[130:131], v[132:133], v[120:121], v[122:123] op_sel:[0,0,1] op_sel_hi:[1,1,0] neg_lo:[0,0,1] neg_hi:[0,0,1]
	v_pk_fma_f32 v[120:121], v[132:133], v[120:121], v[122:123] op_sel:[0,0,1] op_sel_hi:[1,0,0]
	v_mov_b32_e32 v131, v121
	s_delay_alu instid0(VALU_DEP_4) | instskip(NEXT) | instid1(VALU_DEP_2)
	v_pk_add_f32 v[16:17], v[16:17], v[136:137] neg_lo:[0,1] neg_hi:[0,1]
	v_pk_add_f32 v[118:119], v[118:119], v[130:131] neg_lo:[0,1] neg_hi:[0,1]
.LBB112_398:
	s_or_b32 exec_lo, exec_lo, s0
	v_lshl_add_u32 v120, v128, 3, v124
	s_barrier_signal -1
	s_barrier_wait -1
	ds_store_b64 v120, v[78:79]
	s_wait_dscnt 0x0
	s_barrier_signal -1
	s_barrier_wait -1
	ds_load_b64 v[122:123], v124 offset:152
	v_mov_b32_e32 v120, 19
	s_cmp_lt_i32 s18, 21
	s_cbranch_scc1 .LBB112_401
; %bb.399:
	v_add3_u32 v121, v125, 0, 0xa0
	v_mov_b32_e32 v120, 19
	s_mov_b32 s0, 20
.LBB112_400:                            ; =>This Inner Loop Header: Depth=1
	ds_load_b64 v[130:131], v121
	s_wait_dscnt 0x1
	v_cmp_gt_f32_e32 vcc_lo, 0, v122
	v_cndmask_b32_e64 v132, v122, -v122, vcc_lo
	v_cmp_gt_f32_e32 vcc_lo, 0, v123
	v_cndmask_b32_e64 v134, v123, -v123, vcc_lo
	s_wait_dscnt 0x0
	v_cmp_gt_f32_e32 vcc_lo, 0, v130
	v_cndmask_b32_e64 v133, v130, -v130, vcc_lo
	v_cmp_gt_f32_e32 vcc_lo, 0, v131
	v_cndmask_b32_e64 v135, v131, -v131, vcc_lo
	s_delay_alu instid0(VALU_DEP_1) | instskip(NEXT) | instid1(VALU_DEP_1)
	v_pk_add_f32 v[132:133], v[132:133], v[134:135]
	v_cmp_lt_f32_e32 vcc_lo, v132, v133
	v_dual_add_nc_u32 v121, 8, v121 :: v_dual_cndmask_b32 v123, v123, v131, vcc_lo
	v_cndmask_b32_e32 v122, v122, v130, vcc_lo
	v_cndmask_b32_e64 v120, v120, s0, vcc_lo
	s_add_co_i32 s0, s0, 1
	s_delay_alu instid0(SALU_CYCLE_1)
	s_cmp_lg_u32 s18, s0
	s_cbranch_scc1 .LBB112_400
.LBB112_401:
	s_wait_dscnt 0x0
	v_cmp_eq_f32_e32 vcc_lo, 0, v122
	v_cmp_eq_f32_e64 s0, 0, v123
	s_and_b32 s0, vcc_lo, s0
	s_delay_alu instid0(SALU_CYCLE_1) | instskip(NEXT) | instid1(SALU_CYCLE_1)
	s_and_saveexec_b32 s1, s0
	s_xor_b32 s0, exec_lo, s1
; %bb.402:
	v_cmp_ne_u32_e32 vcc_lo, 0, v126
	v_cndmask_b32_e32 v126, 20, v126, vcc_lo
; %bb.403:
	s_and_not1_saveexec_b32 s0, s0
	s_cbranch_execz .LBB112_409
; %bb.404:
	v_cmp_ngt_f32_e64 s1, |v122|, |v123|
	s_and_saveexec_b32 s12, s1
	s_delay_alu instid0(SALU_CYCLE_1)
	s_xor_b32 s1, exec_lo, s12
	s_cbranch_execz .LBB112_406
; %bb.405:
	v_div_scale_f32 v121, null, v123, v123, v122
	v_div_scale_f32 v131, vcc_lo, v122, v123, v122
	s_delay_alu instid0(VALU_DEP_2) | instskip(SKIP_1) | instid1(TRANS32_DEP_1)
	v_rcp_f32_e32 v129, v121
	v_nop
	v_fma_f32 v130, -v121, v129, 1.0
	s_delay_alu instid0(VALU_DEP_1) | instskip(NEXT) | instid1(VALU_DEP_1)
	v_fmac_f32_e32 v129, v130, v129
	v_mul_f32_e32 v130, v131, v129
	s_delay_alu instid0(VALU_DEP_1) | instskip(NEXT) | instid1(VALU_DEP_1)
	v_fma_f32 v132, -v121, v130, v131
	v_fmac_f32_e32 v130, v132, v129
	s_delay_alu instid0(VALU_DEP_1) | instskip(NEXT) | instid1(VALU_DEP_1)
	v_fma_f32 v121, -v121, v130, v131
	v_div_fmas_f32 v121, v121, v129, v130
	s_delay_alu instid0(VALU_DEP_1) | instskip(NEXT) | instid1(VALU_DEP_1)
	v_div_fixup_f32 v121, v121, v123, v122
	v_fmac_f32_e32 v123, v122, v121
	s_delay_alu instid0(VALU_DEP_1) | instskip(SKIP_1) | instid1(VALU_DEP_2)
	v_div_scale_f32 v122, null, v123, v123, 1.0
	v_div_scale_f32 v131, vcc_lo, 1.0, v123, 1.0
	v_rcp_f32_e32 v129, v122
	v_nop
	s_delay_alu instid0(TRANS32_DEP_1) | instskip(NEXT) | instid1(VALU_DEP_1)
	v_fma_f32 v130, -v122, v129, 1.0
	v_fmac_f32_e32 v129, v130, v129
	s_delay_alu instid0(VALU_DEP_1) | instskip(NEXT) | instid1(VALU_DEP_1)
	v_mul_f32_e32 v130, v131, v129
	v_fma_f32 v132, -v122, v130, v131
	s_delay_alu instid0(VALU_DEP_1) | instskip(NEXT) | instid1(VALU_DEP_1)
	v_fmac_f32_e32 v130, v132, v129
	v_fma_f32 v122, -v122, v130, v131
	s_delay_alu instid0(VALU_DEP_1) | instskip(NEXT) | instid1(VALU_DEP_1)
	v_div_fmas_f32 v122, v122, v129, v130
	v_div_fixup_f32 v123, v122, v123, 1.0
	s_delay_alu instid0(VALU_DEP_1)
	v_mul_f32_e32 v122, v121, v123
	v_xor_b32_e32 v123, 0x80000000, v123
.LBB112_406:
	s_and_not1_saveexec_b32 s1, s1
	s_cbranch_execz .LBB112_408
; %bb.407:
	s_delay_alu instid0(VALU_DEP_1) | instskip(SKIP_1) | instid1(VALU_DEP_2)
	v_div_scale_f32 v121, null, v122, v122, v123
	v_div_scale_f32 v131, vcc_lo, v123, v122, v123
	v_rcp_f32_e32 v129, v121
	v_nop
	s_delay_alu instid0(TRANS32_DEP_1) | instskip(NEXT) | instid1(VALU_DEP_1)
	v_fma_f32 v130, -v121, v129, 1.0
	v_fmac_f32_e32 v129, v130, v129
	s_delay_alu instid0(VALU_DEP_1) | instskip(NEXT) | instid1(VALU_DEP_1)
	v_mul_f32_e32 v130, v131, v129
	v_fma_f32 v132, -v121, v130, v131
	s_delay_alu instid0(VALU_DEP_1) | instskip(NEXT) | instid1(VALU_DEP_1)
	v_fmac_f32_e32 v130, v132, v129
	v_fma_f32 v121, -v121, v130, v131
	s_delay_alu instid0(VALU_DEP_1) | instskip(NEXT) | instid1(VALU_DEP_1)
	v_div_fmas_f32 v121, v121, v129, v130
	v_div_fixup_f32 v121, v121, v122, v123
	s_delay_alu instid0(VALU_DEP_1) | instskip(NEXT) | instid1(VALU_DEP_1)
	v_fmac_f32_e32 v122, v123, v121
	v_div_scale_f32 v123, null, v122, v122, 1.0
	s_delay_alu instid0(VALU_DEP_1) | instskip(SKIP_1) | instid1(TRANS32_DEP_1)
	v_rcp_f32_e32 v129, v123
	v_nop
	v_fma_f32 v130, -v123, v129, 1.0
	s_delay_alu instid0(VALU_DEP_1) | instskip(SKIP_1) | instid1(VALU_DEP_1)
	v_fmac_f32_e32 v129, v130, v129
	v_div_scale_f32 v130, vcc_lo, 1.0, v122, 1.0
	v_mul_f32_e32 v131, v130, v129
	s_delay_alu instid0(VALU_DEP_1) | instskip(NEXT) | instid1(VALU_DEP_1)
	v_fma_f32 v132, -v123, v131, v130
	v_fmac_f32_e32 v131, v132, v129
	s_delay_alu instid0(VALU_DEP_1) | instskip(NEXT) | instid1(VALU_DEP_1)
	v_fma_f32 v123, -v123, v131, v130
	v_div_fmas_f32 v123, v123, v129, v131
	s_delay_alu instid0(VALU_DEP_1) | instskip(NEXT) | instid1(VALU_DEP_1)
	v_div_fixup_f32 v122, v123, v122, 1.0
	v_mul_f32_e64 v123, v121, -v122
.LBB112_408:
	s_or_b32 exec_lo, exec_lo, s1
.LBB112_409:
	s_delay_alu instid0(SALU_CYCLE_1) | instskip(NEXT) | instid1(SALU_CYCLE_1)
	s_or_b32 exec_lo, exec_lo, s0
	s_mov_b32 s0, exec_lo
	v_cmpx_ne_u32_e64 v128, v120
	s_xor_b32 s0, exec_lo, s0
	s_cbranch_execz .LBB112_415
; %bb.410:
	s_mov_b32 s1, exec_lo
	v_cmpx_eq_u32_e32 19, v128
	s_cbranch_execz .LBB112_414
; %bb.411:
	v_cmp_ne_u32_e32 vcc_lo, 19, v120
	s_xor_b32 s12, s16, -1
	s_delay_alu instid0(SALU_CYCLE_1) | instskip(NEXT) | instid1(SALU_CYCLE_1)
	s_and_b32 s13, s12, vcc_lo
	s_and_saveexec_b32 s12, s13
	s_cbranch_execz .LBB112_413
; %bb.412:
	v_ashrrev_i32_e32 v121, 31, v120
	s_delay_alu instid0(VALU_DEP_1)
	v_lshl_add_u64 v[128:129], v[120:121], 2, v[4:5]
	s_clause 0x1
	global_load_b32 v121, v[128:129], off
	global_load_b32 v127, v[4:5], off offset:76
	s_wait_loadcnt 0x1
	global_store_b32 v[4:5], v121, off offset:76
	s_wait_loadcnt 0x0
	global_store_b32 v[128:129], v127, off
.LBB112_413:
	s_wait_xcnt 0x0
	s_or_b32 exec_lo, exec_lo, s12
	v_dual_mov_b32 v128, v120 :: v_dual_mov_b32 v127, v120
.LBB112_414:
	s_or_b32 exec_lo, exec_lo, s1
.LBB112_415:
	s_and_not1_saveexec_b32 s0, s0
	s_cbranch_execz .LBB112_417
; %bb.416:
	v_dual_mov_b32 v120, v76 :: v_dual_mov_b32 v121, v77
	v_dual_mov_b32 v128, v72 :: v_dual_mov_b32 v129, v73
	ds_store_2addr_b64 v124, v[120:121], v[128:129] offset0:20 offset1:21
	v_dual_mov_b32 v120, v74 :: v_dual_mov_b32 v121, v75
	v_dual_mov_b32 v128, v70 :: v_dual_mov_b32 v129, v71
	ds_store_2addr_b64 v124, v[120:121], v[128:129] offset0:22 offset1:23
	;; [unrolled: 3-line block ×18, first 2 shown]
	ds_store_b64 v124, v[118:119] offset:448
	v_mov_b32_e32 v128, 19
.LBB112_417:
	s_or_b32 exec_lo, exec_lo, s0
	s_delay_alu instid0(SALU_CYCLE_1)
	s_mov_b32 s0, exec_lo
	s_wait_storecnt_dscnt 0x0
	s_barrier_signal -1
	s_barrier_wait -1
	v_cmpx_lt_i32_e32 19, v128
	s_cbranch_execz .LBB112_419
; %bb.418:
	v_pk_mul_f32 v[130:131], v[122:123], v[78:79] op_sel:[1,1] op_sel_hi:[0,1]
	s_delay_alu instid0(VALU_DEP_1)
	v_pk_fma_f32 v[120:121], v[122:123], v[78:79], v[130:131] op_sel_hi:[1,0,1] neg_lo:[0,0,1] neg_hi:[0,0,1]
	v_pk_fma_f32 v[122:123], v[122:123], v[78:79], v[130:131] op_sel_hi:[1,0,1]
	ds_load_2addr_b64 v[130:133], v124 offset0:20 offset1:21
	v_dual_mov_b32 v78, v120 :: v_dual_mov_b32 v79, v123
	s_wait_dscnt 0x0
	v_pk_mul_f32 v[134:135], v[130:131], v[122:123] op_sel:[0,1]
	s_delay_alu instid0(VALU_DEP_1) | instskip(SKIP_1) | instid1(VALU_DEP_1)
	v_pk_fma_f32 v[136:137], v[130:131], v[120:121], v[134:135] op_sel:[0,0,1] op_sel_hi:[1,1,0] neg_lo:[0,0,1] neg_hi:[0,0,1]
	v_pk_fma_f32 v[130:131], v[130:131], v[120:121], v[134:135] op_sel:[0,0,1] op_sel_hi:[1,0,0]
	v_mov_b32_e32 v137, v131
	v_pk_mul_f32 v[130:131], v[132:133], v[122:123] op_sel:[0,1]
	s_delay_alu instid0(VALU_DEP_1) | instskip(SKIP_1) | instid1(VALU_DEP_1)
	v_pk_fma_f32 v[134:135], v[132:133], v[120:121], v[130:131] op_sel:[0,0,1] op_sel_hi:[1,1,0] neg_lo:[0,0,1] neg_hi:[0,0,1]
	v_pk_fma_f32 v[130:131], v[132:133], v[120:121], v[130:131] op_sel:[0,0,1] op_sel_hi:[1,0,0]
	v_mov_b32_e32 v135, v131
	ds_load_2addr_b64 v[130:133], v124 offset0:22 offset1:23
	v_pk_add_f32 v[76:77], v[76:77], v[136:137] neg_lo:[0,1] neg_hi:[0,1]
	v_pk_add_f32 v[72:73], v[72:73], v[134:135] neg_lo:[0,1] neg_hi:[0,1]
	s_wait_dscnt 0x0
	v_pk_mul_f32 v[134:135], v[130:131], v[122:123] op_sel:[0,1]
	s_delay_alu instid0(VALU_DEP_1) | instskip(SKIP_2) | instid1(VALU_DEP_2)
	v_pk_fma_f32 v[136:137], v[130:131], v[120:121], v[134:135] op_sel:[0,0,1] op_sel_hi:[1,1,0] neg_lo:[0,0,1] neg_hi:[0,0,1]
	v_pk_fma_f32 v[130:131], v[130:131], v[120:121], v[134:135] op_sel:[0,0,1] op_sel_hi:[1,0,0]
	v_dual_mul_f32 v134, v133, v123 :: v_dual_mov_b32 v130, v133
	v_dual_mov_b32 v137, v131 :: v_dual_mov_b32 v131, v132
	s_delay_alu instid0(VALU_DEP_2) | instskip(SKIP_1) | instid1(VALU_DEP_3)
	v_pk_fma_f32 v[134:135], v[132:133], v[78:79], v[134:135] op_sel_hi:[1,1,0] neg_lo:[0,0,1] neg_hi:[0,0,1]
	v_mul_f32_e32 v132, v133, v120
	v_pk_add_f32 v[74:75], v[74:75], v[136:137] neg_lo:[0,1] neg_hi:[0,1]
	s_delay_alu instid0(VALU_DEP_2) | instskip(NEXT) | instid1(VALU_DEP_1)
	v_pk_fma_f32 v[130:131], v[130:131], v[78:79], v[132:133] op_sel_hi:[1,1,0]
	v_mov_b32_e32 v135, v131
	ds_load_2addr_b64 v[130:133], v124 offset0:24 offset1:25
	v_pk_add_f32 v[70:71], v[70:71], v[134:135] neg_lo:[0,1] neg_hi:[0,1]
	s_wait_dscnt 0x0
	v_pk_mul_f32 v[134:135], v[130:131], v[122:123] op_sel:[0,1]
	s_delay_alu instid0(VALU_DEP_1) | instskip(SKIP_1) | instid1(VALU_DEP_1)
	v_pk_fma_f32 v[136:137], v[130:131], v[120:121], v[134:135] op_sel:[0,0,1] op_sel_hi:[1,1,0] neg_lo:[0,0,1] neg_hi:[0,0,1]
	v_pk_fma_f32 v[130:131], v[130:131], v[120:121], v[134:135] op_sel:[0,0,1] op_sel_hi:[1,0,0]
	v_mov_b32_e32 v137, v131
	v_pk_mul_f32 v[130:131], v[132:133], v[122:123] op_sel:[0,1]
	s_delay_alu instid0(VALU_DEP_1) | instskip(SKIP_1) | instid1(VALU_DEP_1)
	v_pk_fma_f32 v[134:135], v[132:133], v[120:121], v[130:131] op_sel:[0,0,1] op_sel_hi:[1,1,0] neg_lo:[0,0,1] neg_hi:[0,0,1]
	v_pk_fma_f32 v[130:131], v[132:133], v[120:121], v[130:131] op_sel:[0,0,1] op_sel_hi:[1,0,0]
	v_mov_b32_e32 v135, v131
	ds_load_2addr_b64 v[130:133], v124 offset0:26 offset1:27
	v_pk_add_f32 v[68:69], v[68:69], v[136:137] neg_lo:[0,1] neg_hi:[0,1]
	v_pk_add_f32 v[64:65], v[64:65], v[134:135] neg_lo:[0,1] neg_hi:[0,1]
	s_wait_dscnt 0x0
	v_pk_mul_f32 v[134:135], v[130:131], v[122:123] op_sel:[0,1]
	s_delay_alu instid0(VALU_DEP_1) | instskip(SKIP_1) | instid1(VALU_DEP_1)
	v_pk_fma_f32 v[136:137], v[130:131], v[120:121], v[134:135] op_sel:[0,0,1] op_sel_hi:[1,1,0] neg_lo:[0,0,1] neg_hi:[0,0,1]
	v_pk_fma_f32 v[130:131], v[130:131], v[120:121], v[134:135] op_sel:[0,0,1] op_sel_hi:[1,0,0]
	v_mov_b32_e32 v137, v131
	v_pk_mul_f32 v[130:131], v[132:133], v[122:123] op_sel:[0,1]
	s_delay_alu instid0(VALU_DEP_1) | instskip(SKIP_1) | instid1(VALU_DEP_1)
	v_pk_fma_f32 v[134:135], v[132:133], v[120:121], v[130:131] op_sel:[0,0,1] op_sel_hi:[1,1,0] neg_lo:[0,0,1] neg_hi:[0,0,1]
	v_pk_fma_f32 v[130:131], v[132:133], v[120:121], v[130:131] op_sel:[0,0,1] op_sel_hi:[1,0,0]
	v_mov_b32_e32 v135, v131
	ds_load_2addr_b64 v[130:133], v124 offset0:28 offset1:29
	v_pk_add_f32 v[66:67], v[66:67], v[136:137] neg_lo:[0,1] neg_hi:[0,1]
	v_pk_add_f32 v[62:63], v[62:63], v[134:135] neg_lo:[0,1] neg_hi:[0,1]
	s_wait_dscnt 0x0
	v_dual_mul_f32 v134, v131, v123 :: v_dual_mul_f32 v136, v131, v120
	s_delay_alu instid0(VALU_DEP_1) | instskip(NEXT) | instid1(VALU_DEP_2)
	v_pk_fma_f32 v[134:135], v[130:131], v[78:79], v[134:135] op_sel_hi:[1,1,0] neg_lo:[0,0,1] neg_hi:[0,0,1]
	v_pk_fma_f32 v[130:131], v[130:131], v[78:79], v[136:137] op_sel:[1,0,0] op_sel_hi:[0,1,0]
	s_delay_alu instid0(VALU_DEP_1) | instskip(SKIP_1) | instid1(VALU_DEP_2)
	v_mov_b32_e32 v135, v131
	v_pk_mul_f32 v[130:131], v[132:133], v[122:123] op_sel:[0,1]
	v_pk_add_f32 v[60:61], v[60:61], v[134:135] neg_lo:[0,1] neg_hi:[0,1]
	s_delay_alu instid0(VALU_DEP_2) | instskip(SKIP_1) | instid1(VALU_DEP_1)
	v_pk_fma_f32 v[134:135], v[132:133], v[120:121], v[130:131] op_sel:[0,0,1] op_sel_hi:[1,1,0] neg_lo:[0,0,1] neg_hi:[0,0,1]
	v_pk_fma_f32 v[130:131], v[132:133], v[120:121], v[130:131] op_sel:[0,0,1] op_sel_hi:[1,0,0]
	v_mov_b32_e32 v135, v131
	ds_load_2addr_b64 v[130:133], v124 offset0:30 offset1:31
	v_pk_add_f32 v[56:57], v[56:57], v[134:135] neg_lo:[0,1] neg_hi:[0,1]
	s_wait_dscnt 0x0
	v_pk_mul_f32 v[134:135], v[130:131], v[122:123] op_sel:[0,1]
	s_delay_alu instid0(VALU_DEP_1) | instskip(SKIP_1) | instid1(VALU_DEP_1)
	v_pk_fma_f32 v[136:137], v[130:131], v[120:121], v[134:135] op_sel:[0,0,1] op_sel_hi:[1,1,0] neg_lo:[0,0,1] neg_hi:[0,0,1]
	v_pk_fma_f32 v[130:131], v[130:131], v[120:121], v[134:135] op_sel:[0,0,1] op_sel_hi:[1,0,0]
	v_mov_b32_e32 v137, v131
	v_pk_mul_f32 v[130:131], v[132:133], v[122:123] op_sel:[0,1]
	s_delay_alu instid0(VALU_DEP_2) | instskip(NEXT) | instid1(VALU_DEP_2)
	v_pk_add_f32 v[58:59], v[58:59], v[136:137] neg_lo:[0,1] neg_hi:[0,1]
	v_pk_fma_f32 v[134:135], v[132:133], v[120:121], v[130:131] op_sel:[0,0,1] op_sel_hi:[1,1,0] neg_lo:[0,0,1] neg_hi:[0,0,1]
	v_pk_fma_f32 v[130:131], v[132:133], v[120:121], v[130:131] op_sel:[0,0,1] op_sel_hi:[1,0,0]
	s_delay_alu instid0(VALU_DEP_1) | instskip(SKIP_4) | instid1(VALU_DEP_1)
	v_mov_b32_e32 v135, v131
	ds_load_2addr_b64 v[130:133], v124 offset0:32 offset1:33
	v_pk_add_f32 v[54:55], v[54:55], v[134:135] neg_lo:[0,1] neg_hi:[0,1]
	s_wait_dscnt 0x0
	v_pk_mul_f32 v[134:135], v[130:131], v[122:123] op_sel:[0,1]
	v_pk_fma_f32 v[136:137], v[130:131], v[120:121], v[134:135] op_sel:[0,0,1] op_sel_hi:[1,1,0] neg_lo:[0,0,1] neg_hi:[0,0,1]
	v_pk_fma_f32 v[130:131], v[130:131], v[120:121], v[134:135] op_sel:[0,0,1] op_sel_hi:[1,0,0]
	v_dual_mul_f32 v134, v133, v123 :: v_dual_mov_b32 v130, v133
	s_delay_alu instid0(VALU_DEP_2) | instskip(NEXT) | instid1(VALU_DEP_2)
	v_dual_mov_b32 v137, v131 :: v_dual_mov_b32 v131, v132
	v_pk_fma_f32 v[134:135], v[132:133], v[78:79], v[134:135] op_sel_hi:[1,1,0] neg_lo:[0,0,1] neg_hi:[0,0,1]
	v_mul_f32_e32 v132, v133, v120
	s_delay_alu instid0(VALU_DEP_3) | instskip(NEXT) | instid1(VALU_DEP_2)
	v_pk_add_f32 v[52:53], v[52:53], v[136:137] neg_lo:[0,1] neg_hi:[0,1]
	v_pk_fma_f32 v[130:131], v[130:131], v[78:79], v[132:133] op_sel_hi:[1,1,0]
	s_delay_alu instid0(VALU_DEP_1) | instskip(SKIP_4) | instid1(VALU_DEP_1)
	v_mov_b32_e32 v135, v131
	ds_load_2addr_b64 v[130:133], v124 offset0:34 offset1:35
	v_pk_add_f32 v[48:49], v[48:49], v[134:135] neg_lo:[0,1] neg_hi:[0,1]
	s_wait_dscnt 0x0
	v_pk_mul_f32 v[134:135], v[130:131], v[122:123] op_sel:[0,1]
	v_pk_fma_f32 v[136:137], v[130:131], v[120:121], v[134:135] op_sel:[0,0,1] op_sel_hi:[1,1,0] neg_lo:[0,0,1] neg_hi:[0,0,1]
	v_pk_fma_f32 v[130:131], v[130:131], v[120:121], v[134:135] op_sel:[0,0,1] op_sel_hi:[1,0,0]
	s_delay_alu instid0(VALU_DEP_1) | instskip(SKIP_1) | instid1(VALU_DEP_1)
	v_mov_b32_e32 v137, v131
	v_pk_mul_f32 v[130:131], v[132:133], v[122:123] op_sel:[0,1]
	v_pk_fma_f32 v[134:135], v[132:133], v[120:121], v[130:131] op_sel:[0,0,1] op_sel_hi:[1,1,0] neg_lo:[0,0,1] neg_hi:[0,0,1]
	v_pk_fma_f32 v[130:131], v[132:133], v[120:121], v[130:131] op_sel:[0,0,1] op_sel_hi:[1,0,0]
	s_delay_alu instid0(VALU_DEP_1)
	v_mov_b32_e32 v135, v131
	ds_load_2addr_b64 v[130:133], v124 offset0:36 offset1:37
	v_pk_add_f32 v[50:51], v[50:51], v[136:137] neg_lo:[0,1] neg_hi:[0,1]
	v_pk_add_f32 v[46:47], v[46:47], v[134:135] neg_lo:[0,1] neg_hi:[0,1]
	s_wait_dscnt 0x0
	v_pk_mul_f32 v[134:135], v[130:131], v[122:123] op_sel:[0,1]
	s_delay_alu instid0(VALU_DEP_1) | instskip(SKIP_1) | instid1(VALU_DEP_1)
	v_pk_fma_f32 v[136:137], v[130:131], v[120:121], v[134:135] op_sel:[0,0,1] op_sel_hi:[1,1,0] neg_lo:[0,0,1] neg_hi:[0,0,1]
	v_pk_fma_f32 v[130:131], v[130:131], v[120:121], v[134:135] op_sel:[0,0,1] op_sel_hi:[1,0,0]
	v_mov_b32_e32 v137, v131
	v_pk_mul_f32 v[130:131], v[132:133], v[122:123] op_sel:[0,1]
	s_delay_alu instid0(VALU_DEP_1) | instskip(SKIP_1) | instid1(VALU_DEP_1)
	v_pk_fma_f32 v[134:135], v[132:133], v[120:121], v[130:131] op_sel:[0,0,1] op_sel_hi:[1,1,0] neg_lo:[0,0,1] neg_hi:[0,0,1]
	v_pk_fma_f32 v[130:131], v[132:133], v[120:121], v[130:131] op_sel:[0,0,1] op_sel_hi:[1,0,0]
	v_mov_b32_e32 v135, v131
	ds_load_2addr_b64 v[130:133], v124 offset0:38 offset1:39
	v_pk_add_f32 v[44:45], v[44:45], v[136:137] neg_lo:[0,1] neg_hi:[0,1]
	v_pk_add_f32 v[40:41], v[40:41], v[134:135] neg_lo:[0,1] neg_hi:[0,1]
	s_wait_dscnt 0x0
	v_dual_mul_f32 v134, v131, v123 :: v_dual_mul_f32 v136, v131, v120
	s_delay_alu instid0(VALU_DEP_1) | instskip(NEXT) | instid1(VALU_DEP_2)
	v_pk_fma_f32 v[134:135], v[130:131], v[78:79], v[134:135] op_sel_hi:[1,1,0] neg_lo:[0,0,1] neg_hi:[0,0,1]
	v_pk_fma_f32 v[130:131], v[130:131], v[78:79], v[136:137] op_sel:[1,0,0] op_sel_hi:[0,1,0]
	s_delay_alu instid0(VALU_DEP_1) | instskip(SKIP_1) | instid1(VALU_DEP_2)
	v_mov_b32_e32 v135, v131
	v_pk_mul_f32 v[130:131], v[132:133], v[122:123] op_sel:[0,1]
	v_pk_add_f32 v[42:43], v[42:43], v[134:135] neg_lo:[0,1] neg_hi:[0,1]
	s_delay_alu instid0(VALU_DEP_2) | instskip(SKIP_1) | instid1(VALU_DEP_1)
	v_pk_fma_f32 v[134:135], v[132:133], v[120:121], v[130:131] op_sel:[0,0,1] op_sel_hi:[1,1,0] neg_lo:[0,0,1] neg_hi:[0,0,1]
	v_pk_fma_f32 v[130:131], v[132:133], v[120:121], v[130:131] op_sel:[0,0,1] op_sel_hi:[1,0,0]
	v_mov_b32_e32 v135, v131
	ds_load_2addr_b64 v[130:133], v124 offset0:40 offset1:41
	v_pk_add_f32 v[38:39], v[38:39], v[134:135] neg_lo:[0,1] neg_hi:[0,1]
	s_wait_dscnt 0x0
	v_pk_mul_f32 v[134:135], v[130:131], v[122:123] op_sel:[0,1]
	s_delay_alu instid0(VALU_DEP_1) | instskip(SKIP_1) | instid1(VALU_DEP_1)
	v_pk_fma_f32 v[136:137], v[130:131], v[120:121], v[134:135] op_sel:[0,0,1] op_sel_hi:[1,1,0] neg_lo:[0,0,1] neg_hi:[0,0,1]
	v_pk_fma_f32 v[130:131], v[130:131], v[120:121], v[134:135] op_sel:[0,0,1] op_sel_hi:[1,0,0]
	v_mov_b32_e32 v137, v131
	v_pk_mul_f32 v[130:131], v[132:133], v[122:123] op_sel:[0,1]
	s_delay_alu instid0(VALU_DEP_2) | instskip(NEXT) | instid1(VALU_DEP_2)
	v_pk_add_f32 v[36:37], v[36:37], v[136:137] neg_lo:[0,1] neg_hi:[0,1]
	v_pk_fma_f32 v[134:135], v[132:133], v[120:121], v[130:131] op_sel:[0,0,1] op_sel_hi:[1,1,0] neg_lo:[0,0,1] neg_hi:[0,0,1]
	v_pk_fma_f32 v[130:131], v[132:133], v[120:121], v[130:131] op_sel:[0,0,1] op_sel_hi:[1,0,0]
	s_delay_alu instid0(VALU_DEP_1) | instskip(SKIP_4) | instid1(VALU_DEP_1)
	v_mov_b32_e32 v135, v131
	ds_load_2addr_b64 v[130:133], v124 offset0:42 offset1:43
	v_pk_add_f32 v[32:33], v[32:33], v[134:135] neg_lo:[0,1] neg_hi:[0,1]
	s_wait_dscnt 0x0
	v_pk_mul_f32 v[134:135], v[130:131], v[122:123] op_sel:[0,1]
	v_pk_fma_f32 v[136:137], v[130:131], v[120:121], v[134:135] op_sel:[0,0,1] op_sel_hi:[1,1,0] neg_lo:[0,0,1] neg_hi:[0,0,1]
	v_pk_fma_f32 v[130:131], v[130:131], v[120:121], v[134:135] op_sel:[0,0,1] op_sel_hi:[1,0,0]
	v_dual_mul_f32 v134, v133, v123 :: v_dual_mov_b32 v130, v133
	s_delay_alu instid0(VALU_DEP_2) | instskip(NEXT) | instid1(VALU_DEP_2)
	v_dual_mov_b32 v137, v131 :: v_dual_mov_b32 v131, v132
	v_pk_fma_f32 v[134:135], v[132:133], v[78:79], v[134:135] op_sel_hi:[1,1,0] neg_lo:[0,0,1] neg_hi:[0,0,1]
	v_mul_f32_e32 v132, v133, v120
	s_delay_alu instid0(VALU_DEP_3) | instskip(NEXT) | instid1(VALU_DEP_2)
	v_pk_add_f32 v[34:35], v[34:35], v[136:137] neg_lo:[0,1] neg_hi:[0,1]
	v_pk_fma_f32 v[130:131], v[130:131], v[78:79], v[132:133] op_sel_hi:[1,1,0]
	s_delay_alu instid0(VALU_DEP_1) | instskip(SKIP_4) | instid1(VALU_DEP_1)
	v_mov_b32_e32 v135, v131
	ds_load_2addr_b64 v[130:133], v124 offset0:44 offset1:45
	v_pk_add_f32 v[30:31], v[30:31], v[134:135] neg_lo:[0,1] neg_hi:[0,1]
	s_wait_dscnt 0x0
	v_pk_mul_f32 v[134:135], v[130:131], v[122:123] op_sel:[0,1]
	v_pk_fma_f32 v[136:137], v[130:131], v[120:121], v[134:135] op_sel:[0,0,1] op_sel_hi:[1,1,0] neg_lo:[0,0,1] neg_hi:[0,0,1]
	v_pk_fma_f32 v[130:131], v[130:131], v[120:121], v[134:135] op_sel:[0,0,1] op_sel_hi:[1,0,0]
	s_delay_alu instid0(VALU_DEP_1) | instskip(SKIP_1) | instid1(VALU_DEP_1)
	v_mov_b32_e32 v137, v131
	v_pk_mul_f32 v[130:131], v[132:133], v[122:123] op_sel:[0,1]
	v_pk_fma_f32 v[134:135], v[132:133], v[120:121], v[130:131] op_sel:[0,0,1] op_sel_hi:[1,1,0] neg_lo:[0,0,1] neg_hi:[0,0,1]
	v_pk_fma_f32 v[130:131], v[132:133], v[120:121], v[130:131] op_sel:[0,0,1] op_sel_hi:[1,0,0]
	s_delay_alu instid0(VALU_DEP_1)
	v_mov_b32_e32 v135, v131
	ds_load_2addr_b64 v[130:133], v124 offset0:46 offset1:47
	v_pk_add_f32 v[26:27], v[26:27], v[136:137] neg_lo:[0,1] neg_hi:[0,1]
	v_pk_add_f32 v[22:23], v[22:23], v[134:135] neg_lo:[0,1] neg_hi:[0,1]
	s_wait_dscnt 0x0
	v_pk_mul_f32 v[134:135], v[130:131], v[122:123] op_sel:[0,1]
	s_delay_alu instid0(VALU_DEP_1) | instskip(SKIP_1) | instid1(VALU_DEP_1)
	v_pk_fma_f32 v[136:137], v[130:131], v[120:121], v[134:135] op_sel:[0,0,1] op_sel_hi:[1,1,0] neg_lo:[0,0,1] neg_hi:[0,0,1]
	v_pk_fma_f32 v[130:131], v[130:131], v[120:121], v[134:135] op_sel:[0,0,1] op_sel_hi:[1,0,0]
	v_mov_b32_e32 v137, v131
	v_pk_mul_f32 v[130:131], v[132:133], v[122:123] op_sel:[0,1]
	s_delay_alu instid0(VALU_DEP_1) | instskip(SKIP_1) | instid1(VALU_DEP_1)
	v_pk_fma_f32 v[134:135], v[132:133], v[120:121], v[130:131] op_sel:[0,0,1] op_sel_hi:[1,1,0] neg_lo:[0,0,1] neg_hi:[0,0,1]
	v_pk_fma_f32 v[130:131], v[132:133], v[120:121], v[130:131] op_sel:[0,0,1] op_sel_hi:[1,0,0]
	v_mov_b32_e32 v135, v131
	ds_load_2addr_b64 v[130:133], v124 offset0:48 offset1:49
	v_pk_add_f32 v[24:25], v[24:25], v[136:137] neg_lo:[0,1] neg_hi:[0,1]
	v_pk_add_f32 v[20:21], v[20:21], v[134:135] neg_lo:[0,1] neg_hi:[0,1]
	s_wait_dscnt 0x0
	v_dual_mul_f32 v134, v131, v123 :: v_dual_mul_f32 v136, v131, v120
	s_delay_alu instid0(VALU_DEP_1) | instskip(NEXT) | instid1(VALU_DEP_2)
	v_pk_fma_f32 v[134:135], v[130:131], v[78:79], v[134:135] op_sel_hi:[1,1,0] neg_lo:[0,0,1] neg_hi:[0,0,1]
	v_pk_fma_f32 v[130:131], v[130:131], v[78:79], v[136:137] op_sel:[1,0,0] op_sel_hi:[0,1,0]
	s_delay_alu instid0(VALU_DEP_1) | instskip(SKIP_1) | instid1(VALU_DEP_2)
	v_mov_b32_e32 v135, v131
	v_pk_mul_f32 v[130:131], v[132:133], v[122:123] op_sel:[0,1]
	v_pk_add_f32 v[14:15], v[14:15], v[134:135] neg_lo:[0,1] neg_hi:[0,1]
	s_delay_alu instid0(VALU_DEP_2) | instskip(SKIP_1) | instid1(VALU_DEP_1)
	v_pk_fma_f32 v[134:135], v[132:133], v[120:121], v[130:131] op_sel:[0,0,1] op_sel_hi:[1,1,0] neg_lo:[0,0,1] neg_hi:[0,0,1]
	v_pk_fma_f32 v[130:131], v[132:133], v[120:121], v[130:131] op_sel:[0,0,1] op_sel_hi:[1,0,0]
	v_mov_b32_e32 v135, v131
	ds_load_2addr_b64 v[130:133], v124 offset0:50 offset1:51
	v_pk_add_f32 v[10:11], v[10:11], v[134:135] neg_lo:[0,1] neg_hi:[0,1]
	s_wait_dscnt 0x0
	v_pk_mul_f32 v[134:135], v[130:131], v[122:123] op_sel:[0,1]
	s_delay_alu instid0(VALU_DEP_1) | instskip(SKIP_1) | instid1(VALU_DEP_1)
	v_pk_fma_f32 v[136:137], v[130:131], v[120:121], v[134:135] op_sel:[0,0,1] op_sel_hi:[1,1,0] neg_lo:[0,0,1] neg_hi:[0,0,1]
	v_pk_fma_f32 v[130:131], v[130:131], v[120:121], v[134:135] op_sel:[0,0,1] op_sel_hi:[1,0,0]
	v_mov_b32_e32 v137, v131
	v_pk_mul_f32 v[130:131], v[132:133], v[122:123] op_sel:[0,1]
	s_delay_alu instid0(VALU_DEP_2) | instskip(NEXT) | instid1(VALU_DEP_2)
	v_pk_add_f32 v[12:13], v[12:13], v[136:137] neg_lo:[0,1] neg_hi:[0,1]
	v_pk_fma_f32 v[134:135], v[132:133], v[120:121], v[130:131] op_sel:[0,0,1] op_sel_hi:[1,1,0] neg_lo:[0,0,1] neg_hi:[0,0,1]
	v_pk_fma_f32 v[130:131], v[132:133], v[120:121], v[130:131] op_sel:[0,0,1] op_sel_hi:[1,0,0]
	s_delay_alu instid0(VALU_DEP_1) | instskip(SKIP_4) | instid1(VALU_DEP_1)
	v_mov_b32_e32 v135, v131
	ds_load_2addr_b64 v[130:133], v124 offset0:52 offset1:53
	v_pk_add_f32 v[8:9], v[8:9], v[134:135] neg_lo:[0,1] neg_hi:[0,1]
	s_wait_dscnt 0x0
	v_pk_mul_f32 v[134:135], v[130:131], v[122:123] op_sel:[0,1]
	v_pk_fma_f32 v[136:137], v[130:131], v[120:121], v[134:135] op_sel:[0,0,1] op_sel_hi:[1,1,0] neg_lo:[0,0,1] neg_hi:[0,0,1]
	v_pk_fma_f32 v[130:131], v[130:131], v[120:121], v[134:135] op_sel:[0,0,1] op_sel_hi:[1,0,0]
	v_dual_mul_f32 v134, v133, v123 :: v_dual_mov_b32 v130, v133
	s_delay_alu instid0(VALU_DEP_2) | instskip(NEXT) | instid1(VALU_DEP_2)
	v_dual_mov_b32 v137, v131 :: v_dual_mov_b32 v131, v132
	v_pk_fma_f32 v[134:135], v[132:133], v[78:79], v[134:135] op_sel_hi:[1,1,0] neg_lo:[0,0,1] neg_hi:[0,0,1]
	v_mul_f32_e32 v132, v133, v120
	s_delay_alu instid0(VALU_DEP_3) | instskip(NEXT) | instid1(VALU_DEP_2)
	v_pk_add_f32 v[6:7], v[6:7], v[136:137] neg_lo:[0,1] neg_hi:[0,1]
	v_pk_fma_f32 v[130:131], v[130:131], v[78:79], v[132:133] op_sel_hi:[1,1,0]
	s_delay_alu instid0(VALU_DEP_1) | instskip(SKIP_4) | instid1(VALU_DEP_1)
	v_mov_b32_e32 v135, v131
	ds_load_2addr_b64 v[130:133], v124 offset0:54 offset1:55
	v_pk_add_f32 v[28:29], v[28:29], v[134:135] neg_lo:[0,1] neg_hi:[0,1]
	s_wait_dscnt 0x0
	v_pk_mul_f32 v[134:135], v[130:131], v[122:123] op_sel:[0,1]
	v_pk_fma_f32 v[136:137], v[130:131], v[120:121], v[134:135] op_sel:[0,0,1] op_sel_hi:[1,1,0] neg_lo:[0,0,1] neg_hi:[0,0,1]
	v_pk_fma_f32 v[130:131], v[130:131], v[120:121], v[134:135] op_sel:[0,0,1] op_sel_hi:[1,0,0]
	s_delay_alu instid0(VALU_DEP_1) | instskip(SKIP_1) | instid1(VALU_DEP_1)
	v_mov_b32_e32 v137, v131
	v_pk_mul_f32 v[130:131], v[132:133], v[122:123] op_sel:[0,1]
	v_pk_fma_f32 v[134:135], v[132:133], v[120:121], v[130:131] op_sel:[0,0,1] op_sel_hi:[1,1,0] neg_lo:[0,0,1] neg_hi:[0,0,1]
	v_pk_fma_f32 v[130:131], v[132:133], v[120:121], v[130:131] op_sel:[0,0,1] op_sel_hi:[1,0,0]
	s_delay_alu instid0(VALU_DEP_1)
	v_mov_b32_e32 v135, v131
	ds_load_b64 v[130:131], v124 offset:448
	v_pk_add_f32 v[18:19], v[18:19], v[136:137] neg_lo:[0,1] neg_hi:[0,1]
	v_pk_add_f32 v[16:17], v[16:17], v[134:135] neg_lo:[0,1] neg_hi:[0,1]
	s_wait_dscnt 0x0
	v_pk_mul_f32 v[122:123], v[130:131], v[122:123] op_sel:[0,1]
	s_delay_alu instid0(VALU_DEP_1) | instskip(SKIP_1) | instid1(VALU_DEP_1)
	v_pk_fma_f32 v[132:133], v[130:131], v[120:121], v[122:123] op_sel:[0,0,1] op_sel_hi:[1,1,0] neg_lo:[0,0,1] neg_hi:[0,0,1]
	v_pk_fma_f32 v[120:121], v[130:131], v[120:121], v[122:123] op_sel:[0,0,1] op_sel_hi:[1,0,0]
	v_mov_b32_e32 v133, v121
	s_delay_alu instid0(VALU_DEP_1)
	v_pk_add_f32 v[118:119], v[118:119], v[132:133] neg_lo:[0,1] neg_hi:[0,1]
.LBB112_419:
	s_or_b32 exec_lo, exec_lo, s0
	v_lshl_add_u32 v120, v128, 3, v124
	s_barrier_signal -1
	s_barrier_wait -1
	ds_store_b64 v120, v[76:77]
	s_wait_dscnt 0x0
	s_barrier_signal -1
	s_barrier_wait -1
	ds_load_b64 v[122:123], v124 offset:160
	v_mov_b32_e32 v120, 20
	s_cmp_lt_i32 s18, 22
	s_cbranch_scc1 .LBB112_422
; %bb.420:
	v_add3_u32 v121, v125, 0, 0xa8
	v_mov_b32_e32 v120, 20
	s_mov_b32 s0, 21
.LBB112_421:                            ; =>This Inner Loop Header: Depth=1
	ds_load_b64 v[130:131], v121
	s_wait_dscnt 0x1
	v_cmp_gt_f32_e32 vcc_lo, 0, v122
	v_cndmask_b32_e64 v132, v122, -v122, vcc_lo
	v_cmp_gt_f32_e32 vcc_lo, 0, v123
	v_cndmask_b32_e64 v134, v123, -v123, vcc_lo
	s_wait_dscnt 0x0
	v_cmp_gt_f32_e32 vcc_lo, 0, v130
	v_cndmask_b32_e64 v133, v130, -v130, vcc_lo
	v_cmp_gt_f32_e32 vcc_lo, 0, v131
	v_cndmask_b32_e64 v135, v131, -v131, vcc_lo
	s_delay_alu instid0(VALU_DEP_1) | instskip(NEXT) | instid1(VALU_DEP_1)
	v_pk_add_f32 v[132:133], v[132:133], v[134:135]
	v_cmp_lt_f32_e32 vcc_lo, v132, v133
	v_dual_add_nc_u32 v121, 8, v121 :: v_dual_cndmask_b32 v123, v123, v131, vcc_lo
	v_cndmask_b32_e32 v122, v122, v130, vcc_lo
	v_cndmask_b32_e64 v120, v120, s0, vcc_lo
	s_add_co_i32 s0, s0, 1
	s_delay_alu instid0(SALU_CYCLE_1)
	s_cmp_lg_u32 s18, s0
	s_cbranch_scc1 .LBB112_421
.LBB112_422:
	s_wait_dscnt 0x0
	v_cmp_eq_f32_e32 vcc_lo, 0, v122
	v_cmp_eq_f32_e64 s0, 0, v123
	s_and_b32 s0, vcc_lo, s0
	s_delay_alu instid0(SALU_CYCLE_1) | instskip(NEXT) | instid1(SALU_CYCLE_1)
	s_and_saveexec_b32 s1, s0
	s_xor_b32 s0, exec_lo, s1
; %bb.423:
	v_cmp_ne_u32_e32 vcc_lo, 0, v126
	v_cndmask_b32_e32 v126, 21, v126, vcc_lo
; %bb.424:
	s_and_not1_saveexec_b32 s0, s0
	s_cbranch_execz .LBB112_430
; %bb.425:
	v_cmp_ngt_f32_e64 s1, |v122|, |v123|
	s_and_saveexec_b32 s12, s1
	s_delay_alu instid0(SALU_CYCLE_1)
	s_xor_b32 s1, exec_lo, s12
	s_cbranch_execz .LBB112_427
; %bb.426:
	v_div_scale_f32 v121, null, v123, v123, v122
	v_div_scale_f32 v131, vcc_lo, v122, v123, v122
	s_delay_alu instid0(VALU_DEP_2) | instskip(SKIP_1) | instid1(TRANS32_DEP_1)
	v_rcp_f32_e32 v129, v121
	v_nop
	v_fma_f32 v130, -v121, v129, 1.0
	s_delay_alu instid0(VALU_DEP_1) | instskip(NEXT) | instid1(VALU_DEP_1)
	v_fmac_f32_e32 v129, v130, v129
	v_mul_f32_e32 v130, v131, v129
	s_delay_alu instid0(VALU_DEP_1) | instskip(NEXT) | instid1(VALU_DEP_1)
	v_fma_f32 v132, -v121, v130, v131
	v_fmac_f32_e32 v130, v132, v129
	s_delay_alu instid0(VALU_DEP_1) | instskip(NEXT) | instid1(VALU_DEP_1)
	v_fma_f32 v121, -v121, v130, v131
	v_div_fmas_f32 v121, v121, v129, v130
	s_delay_alu instid0(VALU_DEP_1) | instskip(NEXT) | instid1(VALU_DEP_1)
	v_div_fixup_f32 v121, v121, v123, v122
	v_fmac_f32_e32 v123, v122, v121
	s_delay_alu instid0(VALU_DEP_1) | instskip(SKIP_1) | instid1(VALU_DEP_2)
	v_div_scale_f32 v122, null, v123, v123, 1.0
	v_div_scale_f32 v131, vcc_lo, 1.0, v123, 1.0
	v_rcp_f32_e32 v129, v122
	v_nop
	s_delay_alu instid0(TRANS32_DEP_1) | instskip(NEXT) | instid1(VALU_DEP_1)
	v_fma_f32 v130, -v122, v129, 1.0
	v_fmac_f32_e32 v129, v130, v129
	s_delay_alu instid0(VALU_DEP_1) | instskip(NEXT) | instid1(VALU_DEP_1)
	v_mul_f32_e32 v130, v131, v129
	v_fma_f32 v132, -v122, v130, v131
	s_delay_alu instid0(VALU_DEP_1) | instskip(NEXT) | instid1(VALU_DEP_1)
	v_fmac_f32_e32 v130, v132, v129
	v_fma_f32 v122, -v122, v130, v131
	s_delay_alu instid0(VALU_DEP_1) | instskip(NEXT) | instid1(VALU_DEP_1)
	v_div_fmas_f32 v122, v122, v129, v130
	v_div_fixup_f32 v123, v122, v123, 1.0
	s_delay_alu instid0(VALU_DEP_1)
	v_mul_f32_e32 v122, v121, v123
	v_xor_b32_e32 v123, 0x80000000, v123
.LBB112_427:
	s_and_not1_saveexec_b32 s1, s1
	s_cbranch_execz .LBB112_429
; %bb.428:
	s_delay_alu instid0(VALU_DEP_1) | instskip(SKIP_1) | instid1(VALU_DEP_2)
	v_div_scale_f32 v121, null, v122, v122, v123
	v_div_scale_f32 v131, vcc_lo, v123, v122, v123
	v_rcp_f32_e32 v129, v121
	v_nop
	s_delay_alu instid0(TRANS32_DEP_1) | instskip(NEXT) | instid1(VALU_DEP_1)
	v_fma_f32 v130, -v121, v129, 1.0
	v_fmac_f32_e32 v129, v130, v129
	s_delay_alu instid0(VALU_DEP_1) | instskip(NEXT) | instid1(VALU_DEP_1)
	v_mul_f32_e32 v130, v131, v129
	v_fma_f32 v132, -v121, v130, v131
	s_delay_alu instid0(VALU_DEP_1) | instskip(NEXT) | instid1(VALU_DEP_1)
	v_fmac_f32_e32 v130, v132, v129
	v_fma_f32 v121, -v121, v130, v131
	s_delay_alu instid0(VALU_DEP_1) | instskip(NEXT) | instid1(VALU_DEP_1)
	v_div_fmas_f32 v121, v121, v129, v130
	v_div_fixup_f32 v121, v121, v122, v123
	s_delay_alu instid0(VALU_DEP_1) | instskip(NEXT) | instid1(VALU_DEP_1)
	v_fmac_f32_e32 v122, v123, v121
	v_div_scale_f32 v123, null, v122, v122, 1.0
	s_delay_alu instid0(VALU_DEP_1) | instskip(SKIP_1) | instid1(TRANS32_DEP_1)
	v_rcp_f32_e32 v129, v123
	v_nop
	v_fma_f32 v130, -v123, v129, 1.0
	s_delay_alu instid0(VALU_DEP_1) | instskip(SKIP_1) | instid1(VALU_DEP_1)
	v_fmac_f32_e32 v129, v130, v129
	v_div_scale_f32 v130, vcc_lo, 1.0, v122, 1.0
	v_mul_f32_e32 v131, v130, v129
	s_delay_alu instid0(VALU_DEP_1) | instskip(NEXT) | instid1(VALU_DEP_1)
	v_fma_f32 v132, -v123, v131, v130
	v_fmac_f32_e32 v131, v132, v129
	s_delay_alu instid0(VALU_DEP_1) | instskip(NEXT) | instid1(VALU_DEP_1)
	v_fma_f32 v123, -v123, v131, v130
	v_div_fmas_f32 v123, v123, v129, v131
	s_delay_alu instid0(VALU_DEP_1) | instskip(NEXT) | instid1(VALU_DEP_1)
	v_div_fixup_f32 v122, v123, v122, 1.0
	v_mul_f32_e64 v123, v121, -v122
.LBB112_429:
	s_or_b32 exec_lo, exec_lo, s1
.LBB112_430:
	s_delay_alu instid0(SALU_CYCLE_1) | instskip(NEXT) | instid1(SALU_CYCLE_1)
	s_or_b32 exec_lo, exec_lo, s0
	s_mov_b32 s0, exec_lo
	v_cmpx_ne_u32_e64 v128, v120
	s_xor_b32 s0, exec_lo, s0
	s_cbranch_execz .LBB112_436
; %bb.431:
	s_mov_b32 s1, exec_lo
	v_cmpx_eq_u32_e32 20, v128
	s_cbranch_execz .LBB112_435
; %bb.432:
	v_cmp_ne_u32_e32 vcc_lo, 20, v120
	s_xor_b32 s12, s16, -1
	s_delay_alu instid0(SALU_CYCLE_1) | instskip(NEXT) | instid1(SALU_CYCLE_1)
	s_and_b32 s13, s12, vcc_lo
	s_and_saveexec_b32 s12, s13
	s_cbranch_execz .LBB112_434
; %bb.433:
	v_ashrrev_i32_e32 v121, 31, v120
	s_delay_alu instid0(VALU_DEP_1)
	v_lshl_add_u64 v[128:129], v[120:121], 2, v[4:5]
	s_clause 0x1
	global_load_b32 v121, v[128:129], off
	global_load_b32 v127, v[4:5], off offset:80
	s_wait_loadcnt 0x1
	global_store_b32 v[4:5], v121, off offset:80
	s_wait_loadcnt 0x0
	global_store_b32 v[128:129], v127, off
.LBB112_434:
	s_wait_xcnt 0x0
	s_or_b32 exec_lo, exec_lo, s12
	v_dual_mov_b32 v128, v120 :: v_dual_mov_b32 v127, v120
.LBB112_435:
	s_or_b32 exec_lo, exec_lo, s1
.LBB112_436:
	s_and_not1_saveexec_b32 s0, s0
	s_cbranch_execz .LBB112_438
; %bb.437:
	v_mov_b32_e32 v128, 20
	ds_store_2addr_b64 v124, v[72:73], v[74:75] offset0:21 offset1:22
	ds_store_2addr_b64 v124, v[70:71], v[68:69] offset0:23 offset1:24
	;; [unrolled: 1-line block ×18, first 2 shown]
.LBB112_438:
	s_or_b32 exec_lo, exec_lo, s0
	s_delay_alu instid0(SALU_CYCLE_1)
	s_mov_b32 s0, exec_lo
	s_wait_storecnt_dscnt 0x0
	s_barrier_signal -1
	s_barrier_wait -1
	v_cmpx_lt_i32_e32 20, v128
	s_cbranch_execz .LBB112_440
; %bb.439:
	v_pk_mul_f32 v[130:131], v[122:123], v[76:77] op_sel:[1,1] op_sel_hi:[0,1]
	s_delay_alu instid0(VALU_DEP_1)
	v_pk_fma_f32 v[120:121], v[122:123], v[76:77], v[130:131] op_sel_hi:[1,0,1] neg_lo:[0,0,1] neg_hi:[0,0,1]
	v_pk_fma_f32 v[122:123], v[122:123], v[76:77], v[130:131] op_sel_hi:[1,0,1]
	ds_load_2addr_b64 v[130:133], v124 offset0:21 offset1:22
	v_dual_mov_b32 v76, v120 :: v_dual_mov_b32 v77, v123
	s_wait_dscnt 0x0
	v_pk_mul_f32 v[134:135], v[130:131], v[122:123] op_sel:[0,1]
	s_delay_alu instid0(VALU_DEP_1) | instskip(SKIP_1) | instid1(VALU_DEP_1)
	v_pk_fma_f32 v[136:137], v[130:131], v[120:121], v[134:135] op_sel:[0,0,1] op_sel_hi:[1,1,0] neg_lo:[0,0,1] neg_hi:[0,0,1]
	v_pk_fma_f32 v[130:131], v[130:131], v[120:121], v[134:135] op_sel:[0,0,1] op_sel_hi:[1,0,0]
	v_mov_b32_e32 v137, v131
	v_pk_mul_f32 v[130:131], v[132:133], v[122:123] op_sel:[0,1]
	s_delay_alu instid0(VALU_DEP_1) | instskip(SKIP_1) | instid1(VALU_DEP_1)
	v_pk_fma_f32 v[134:135], v[132:133], v[120:121], v[130:131] op_sel:[0,0,1] op_sel_hi:[1,1,0] neg_lo:[0,0,1] neg_hi:[0,0,1]
	v_pk_fma_f32 v[130:131], v[132:133], v[120:121], v[130:131] op_sel:[0,0,1] op_sel_hi:[1,0,0]
	v_mov_b32_e32 v135, v131
	ds_load_2addr_b64 v[130:133], v124 offset0:23 offset1:24
	v_pk_add_f32 v[72:73], v[72:73], v[136:137] neg_lo:[0,1] neg_hi:[0,1]
	v_pk_add_f32 v[74:75], v[74:75], v[134:135] neg_lo:[0,1] neg_hi:[0,1]
	s_wait_dscnt 0x0
	v_pk_mul_f32 v[134:135], v[130:131], v[122:123] op_sel:[0,1]
	s_delay_alu instid0(VALU_DEP_1) | instskip(SKIP_2) | instid1(VALU_DEP_2)
	v_pk_fma_f32 v[136:137], v[130:131], v[120:121], v[134:135] op_sel:[0,0,1] op_sel_hi:[1,1,0] neg_lo:[0,0,1] neg_hi:[0,0,1]
	v_pk_fma_f32 v[130:131], v[130:131], v[120:121], v[134:135] op_sel:[0,0,1] op_sel_hi:[1,0,0]
	v_dual_mul_f32 v134, v133, v123 :: v_dual_mov_b32 v130, v133
	v_dual_mov_b32 v137, v131 :: v_dual_mov_b32 v131, v132
	s_delay_alu instid0(VALU_DEP_2) | instskip(SKIP_1) | instid1(VALU_DEP_3)
	v_pk_fma_f32 v[134:135], v[132:133], v[76:77], v[134:135] op_sel_hi:[1,1,0] neg_lo:[0,0,1] neg_hi:[0,0,1]
	v_mul_f32_e32 v132, v133, v120
	v_pk_add_f32 v[70:71], v[70:71], v[136:137] neg_lo:[0,1] neg_hi:[0,1]
	s_delay_alu instid0(VALU_DEP_2) | instskip(NEXT) | instid1(VALU_DEP_1)
	v_pk_fma_f32 v[130:131], v[130:131], v[76:77], v[132:133] op_sel_hi:[1,1,0]
	v_mov_b32_e32 v135, v131
	ds_load_2addr_b64 v[130:133], v124 offset0:25 offset1:26
	v_pk_add_f32 v[68:69], v[68:69], v[134:135] neg_lo:[0,1] neg_hi:[0,1]
	s_wait_dscnt 0x0
	v_pk_mul_f32 v[134:135], v[130:131], v[122:123] op_sel:[0,1]
	s_delay_alu instid0(VALU_DEP_1) | instskip(SKIP_1) | instid1(VALU_DEP_1)
	v_pk_fma_f32 v[136:137], v[130:131], v[120:121], v[134:135] op_sel:[0,0,1] op_sel_hi:[1,1,0] neg_lo:[0,0,1] neg_hi:[0,0,1]
	v_pk_fma_f32 v[130:131], v[130:131], v[120:121], v[134:135] op_sel:[0,0,1] op_sel_hi:[1,0,0]
	v_mov_b32_e32 v137, v131
	v_pk_mul_f32 v[130:131], v[132:133], v[122:123] op_sel:[0,1]
	s_delay_alu instid0(VALU_DEP_1) | instskip(SKIP_1) | instid1(VALU_DEP_1)
	v_pk_fma_f32 v[134:135], v[132:133], v[120:121], v[130:131] op_sel:[0,0,1] op_sel_hi:[1,1,0] neg_lo:[0,0,1] neg_hi:[0,0,1]
	v_pk_fma_f32 v[130:131], v[132:133], v[120:121], v[130:131] op_sel:[0,0,1] op_sel_hi:[1,0,0]
	v_mov_b32_e32 v135, v131
	ds_load_2addr_b64 v[130:133], v124 offset0:27 offset1:28
	v_pk_add_f32 v[64:65], v[64:65], v[136:137] neg_lo:[0,1] neg_hi:[0,1]
	v_pk_add_f32 v[66:67], v[66:67], v[134:135] neg_lo:[0,1] neg_hi:[0,1]
	s_wait_dscnt 0x0
	v_pk_mul_f32 v[134:135], v[130:131], v[122:123] op_sel:[0,1]
	s_delay_alu instid0(VALU_DEP_1) | instskip(SKIP_1) | instid1(VALU_DEP_1)
	v_pk_fma_f32 v[136:137], v[130:131], v[120:121], v[134:135] op_sel:[0,0,1] op_sel_hi:[1,1,0] neg_lo:[0,0,1] neg_hi:[0,0,1]
	v_pk_fma_f32 v[130:131], v[130:131], v[120:121], v[134:135] op_sel:[0,0,1] op_sel_hi:[1,0,0]
	v_mov_b32_e32 v137, v131
	v_pk_mul_f32 v[130:131], v[132:133], v[122:123] op_sel:[0,1]
	s_delay_alu instid0(VALU_DEP_1) | instskip(SKIP_1) | instid1(VALU_DEP_1)
	v_pk_fma_f32 v[134:135], v[132:133], v[120:121], v[130:131] op_sel:[0,0,1] op_sel_hi:[1,1,0] neg_lo:[0,0,1] neg_hi:[0,0,1]
	v_pk_fma_f32 v[130:131], v[132:133], v[120:121], v[130:131] op_sel:[0,0,1] op_sel_hi:[1,0,0]
	v_mov_b32_e32 v135, v131
	ds_load_2addr_b64 v[130:133], v124 offset0:29 offset1:30
	v_pk_add_f32 v[62:63], v[62:63], v[136:137] neg_lo:[0,1] neg_hi:[0,1]
	v_pk_add_f32 v[60:61], v[60:61], v[134:135] neg_lo:[0,1] neg_hi:[0,1]
	s_wait_dscnt 0x0
	v_dual_mul_f32 v134, v131, v123 :: v_dual_mul_f32 v136, v131, v120
	s_delay_alu instid0(VALU_DEP_1) | instskip(NEXT) | instid1(VALU_DEP_2)
	v_pk_fma_f32 v[134:135], v[130:131], v[76:77], v[134:135] op_sel_hi:[1,1,0] neg_lo:[0,0,1] neg_hi:[0,0,1]
	v_pk_fma_f32 v[130:131], v[130:131], v[76:77], v[136:137] op_sel:[1,0,0] op_sel_hi:[0,1,0]
	s_delay_alu instid0(VALU_DEP_1) | instskip(SKIP_1) | instid1(VALU_DEP_2)
	v_mov_b32_e32 v135, v131
	v_pk_mul_f32 v[130:131], v[132:133], v[122:123] op_sel:[0,1]
	v_pk_add_f32 v[56:57], v[56:57], v[134:135] neg_lo:[0,1] neg_hi:[0,1]
	s_delay_alu instid0(VALU_DEP_2) | instskip(SKIP_1) | instid1(VALU_DEP_1)
	v_pk_fma_f32 v[134:135], v[132:133], v[120:121], v[130:131] op_sel:[0,0,1] op_sel_hi:[1,1,0] neg_lo:[0,0,1] neg_hi:[0,0,1]
	v_pk_fma_f32 v[130:131], v[132:133], v[120:121], v[130:131] op_sel:[0,0,1] op_sel_hi:[1,0,0]
	v_mov_b32_e32 v135, v131
	ds_load_2addr_b64 v[130:133], v124 offset0:31 offset1:32
	v_pk_add_f32 v[58:59], v[58:59], v[134:135] neg_lo:[0,1] neg_hi:[0,1]
	s_wait_dscnt 0x0
	v_pk_mul_f32 v[134:135], v[130:131], v[122:123] op_sel:[0,1]
	s_delay_alu instid0(VALU_DEP_1) | instskip(SKIP_1) | instid1(VALU_DEP_1)
	v_pk_fma_f32 v[136:137], v[130:131], v[120:121], v[134:135] op_sel:[0,0,1] op_sel_hi:[1,1,0] neg_lo:[0,0,1] neg_hi:[0,0,1]
	v_pk_fma_f32 v[130:131], v[130:131], v[120:121], v[134:135] op_sel:[0,0,1] op_sel_hi:[1,0,0]
	v_mov_b32_e32 v137, v131
	v_pk_mul_f32 v[130:131], v[132:133], v[122:123] op_sel:[0,1]
	s_delay_alu instid0(VALU_DEP_2) | instskip(NEXT) | instid1(VALU_DEP_2)
	v_pk_add_f32 v[54:55], v[54:55], v[136:137] neg_lo:[0,1] neg_hi:[0,1]
	v_pk_fma_f32 v[134:135], v[132:133], v[120:121], v[130:131] op_sel:[0,0,1] op_sel_hi:[1,1,0] neg_lo:[0,0,1] neg_hi:[0,0,1]
	v_pk_fma_f32 v[130:131], v[132:133], v[120:121], v[130:131] op_sel:[0,0,1] op_sel_hi:[1,0,0]
	s_delay_alu instid0(VALU_DEP_1) | instskip(SKIP_4) | instid1(VALU_DEP_1)
	v_mov_b32_e32 v135, v131
	ds_load_2addr_b64 v[130:133], v124 offset0:33 offset1:34
	v_pk_add_f32 v[52:53], v[52:53], v[134:135] neg_lo:[0,1] neg_hi:[0,1]
	s_wait_dscnt 0x0
	v_pk_mul_f32 v[134:135], v[130:131], v[122:123] op_sel:[0,1]
	v_pk_fma_f32 v[136:137], v[130:131], v[120:121], v[134:135] op_sel:[0,0,1] op_sel_hi:[1,1,0] neg_lo:[0,0,1] neg_hi:[0,0,1]
	v_pk_fma_f32 v[130:131], v[130:131], v[120:121], v[134:135] op_sel:[0,0,1] op_sel_hi:[1,0,0]
	v_dual_mul_f32 v134, v133, v123 :: v_dual_mov_b32 v130, v133
	s_delay_alu instid0(VALU_DEP_2) | instskip(NEXT) | instid1(VALU_DEP_2)
	v_dual_mov_b32 v137, v131 :: v_dual_mov_b32 v131, v132
	v_pk_fma_f32 v[134:135], v[132:133], v[76:77], v[134:135] op_sel_hi:[1,1,0] neg_lo:[0,0,1] neg_hi:[0,0,1]
	v_mul_f32_e32 v132, v133, v120
	s_delay_alu instid0(VALU_DEP_3) | instskip(NEXT) | instid1(VALU_DEP_2)
	v_pk_add_f32 v[48:49], v[48:49], v[136:137] neg_lo:[0,1] neg_hi:[0,1]
	v_pk_fma_f32 v[130:131], v[130:131], v[76:77], v[132:133] op_sel_hi:[1,1,0]
	s_delay_alu instid0(VALU_DEP_1) | instskip(SKIP_4) | instid1(VALU_DEP_1)
	v_mov_b32_e32 v135, v131
	ds_load_2addr_b64 v[130:133], v124 offset0:35 offset1:36
	v_pk_add_f32 v[50:51], v[50:51], v[134:135] neg_lo:[0,1] neg_hi:[0,1]
	s_wait_dscnt 0x0
	v_pk_mul_f32 v[134:135], v[130:131], v[122:123] op_sel:[0,1]
	v_pk_fma_f32 v[136:137], v[130:131], v[120:121], v[134:135] op_sel:[0,0,1] op_sel_hi:[1,1,0] neg_lo:[0,0,1] neg_hi:[0,0,1]
	v_pk_fma_f32 v[130:131], v[130:131], v[120:121], v[134:135] op_sel:[0,0,1] op_sel_hi:[1,0,0]
	s_delay_alu instid0(VALU_DEP_1) | instskip(SKIP_1) | instid1(VALU_DEP_1)
	v_mov_b32_e32 v137, v131
	v_pk_mul_f32 v[130:131], v[132:133], v[122:123] op_sel:[0,1]
	v_pk_fma_f32 v[134:135], v[132:133], v[120:121], v[130:131] op_sel:[0,0,1] op_sel_hi:[1,1,0] neg_lo:[0,0,1] neg_hi:[0,0,1]
	v_pk_fma_f32 v[130:131], v[132:133], v[120:121], v[130:131] op_sel:[0,0,1] op_sel_hi:[1,0,0]
	s_delay_alu instid0(VALU_DEP_1)
	v_mov_b32_e32 v135, v131
	ds_load_2addr_b64 v[130:133], v124 offset0:37 offset1:38
	v_pk_add_f32 v[46:47], v[46:47], v[136:137] neg_lo:[0,1] neg_hi:[0,1]
	v_pk_add_f32 v[44:45], v[44:45], v[134:135] neg_lo:[0,1] neg_hi:[0,1]
	s_wait_dscnt 0x0
	v_pk_mul_f32 v[134:135], v[130:131], v[122:123] op_sel:[0,1]
	s_delay_alu instid0(VALU_DEP_1) | instskip(SKIP_1) | instid1(VALU_DEP_1)
	v_pk_fma_f32 v[136:137], v[130:131], v[120:121], v[134:135] op_sel:[0,0,1] op_sel_hi:[1,1,0] neg_lo:[0,0,1] neg_hi:[0,0,1]
	v_pk_fma_f32 v[130:131], v[130:131], v[120:121], v[134:135] op_sel:[0,0,1] op_sel_hi:[1,0,0]
	v_mov_b32_e32 v137, v131
	v_pk_mul_f32 v[130:131], v[132:133], v[122:123] op_sel:[0,1]
	s_delay_alu instid0(VALU_DEP_1) | instskip(SKIP_1) | instid1(VALU_DEP_1)
	v_pk_fma_f32 v[134:135], v[132:133], v[120:121], v[130:131] op_sel:[0,0,1] op_sel_hi:[1,1,0] neg_lo:[0,0,1] neg_hi:[0,0,1]
	v_pk_fma_f32 v[130:131], v[132:133], v[120:121], v[130:131] op_sel:[0,0,1] op_sel_hi:[1,0,0]
	v_mov_b32_e32 v135, v131
	ds_load_2addr_b64 v[130:133], v124 offset0:39 offset1:40
	v_pk_add_f32 v[40:41], v[40:41], v[136:137] neg_lo:[0,1] neg_hi:[0,1]
	v_pk_add_f32 v[42:43], v[42:43], v[134:135] neg_lo:[0,1] neg_hi:[0,1]
	s_wait_dscnt 0x0
	v_dual_mul_f32 v134, v131, v123 :: v_dual_mul_f32 v136, v131, v120
	s_delay_alu instid0(VALU_DEP_1) | instskip(NEXT) | instid1(VALU_DEP_2)
	v_pk_fma_f32 v[134:135], v[130:131], v[76:77], v[134:135] op_sel_hi:[1,1,0] neg_lo:[0,0,1] neg_hi:[0,0,1]
	v_pk_fma_f32 v[130:131], v[130:131], v[76:77], v[136:137] op_sel:[1,0,0] op_sel_hi:[0,1,0]
	s_delay_alu instid0(VALU_DEP_1) | instskip(SKIP_1) | instid1(VALU_DEP_2)
	v_mov_b32_e32 v135, v131
	v_pk_mul_f32 v[130:131], v[132:133], v[122:123] op_sel:[0,1]
	v_pk_add_f32 v[38:39], v[38:39], v[134:135] neg_lo:[0,1] neg_hi:[0,1]
	s_delay_alu instid0(VALU_DEP_2) | instskip(SKIP_1) | instid1(VALU_DEP_1)
	v_pk_fma_f32 v[134:135], v[132:133], v[120:121], v[130:131] op_sel:[0,0,1] op_sel_hi:[1,1,0] neg_lo:[0,0,1] neg_hi:[0,0,1]
	v_pk_fma_f32 v[130:131], v[132:133], v[120:121], v[130:131] op_sel:[0,0,1] op_sel_hi:[1,0,0]
	v_mov_b32_e32 v135, v131
	ds_load_2addr_b64 v[130:133], v124 offset0:41 offset1:42
	v_pk_add_f32 v[36:37], v[36:37], v[134:135] neg_lo:[0,1] neg_hi:[0,1]
	s_wait_dscnt 0x0
	v_pk_mul_f32 v[134:135], v[130:131], v[122:123] op_sel:[0,1]
	s_delay_alu instid0(VALU_DEP_1) | instskip(SKIP_1) | instid1(VALU_DEP_1)
	v_pk_fma_f32 v[136:137], v[130:131], v[120:121], v[134:135] op_sel:[0,0,1] op_sel_hi:[1,1,0] neg_lo:[0,0,1] neg_hi:[0,0,1]
	v_pk_fma_f32 v[130:131], v[130:131], v[120:121], v[134:135] op_sel:[0,0,1] op_sel_hi:[1,0,0]
	v_mov_b32_e32 v137, v131
	v_pk_mul_f32 v[130:131], v[132:133], v[122:123] op_sel:[0,1]
	s_delay_alu instid0(VALU_DEP_2) | instskip(NEXT) | instid1(VALU_DEP_2)
	v_pk_add_f32 v[32:33], v[32:33], v[136:137] neg_lo:[0,1] neg_hi:[0,1]
	v_pk_fma_f32 v[134:135], v[132:133], v[120:121], v[130:131] op_sel:[0,0,1] op_sel_hi:[1,1,0] neg_lo:[0,0,1] neg_hi:[0,0,1]
	v_pk_fma_f32 v[130:131], v[132:133], v[120:121], v[130:131] op_sel:[0,0,1] op_sel_hi:[1,0,0]
	s_delay_alu instid0(VALU_DEP_1) | instskip(SKIP_4) | instid1(VALU_DEP_1)
	v_mov_b32_e32 v135, v131
	ds_load_2addr_b64 v[130:133], v124 offset0:43 offset1:44
	v_pk_add_f32 v[34:35], v[34:35], v[134:135] neg_lo:[0,1] neg_hi:[0,1]
	s_wait_dscnt 0x0
	v_pk_mul_f32 v[134:135], v[130:131], v[122:123] op_sel:[0,1]
	v_pk_fma_f32 v[136:137], v[130:131], v[120:121], v[134:135] op_sel:[0,0,1] op_sel_hi:[1,1,0] neg_lo:[0,0,1] neg_hi:[0,0,1]
	v_pk_fma_f32 v[130:131], v[130:131], v[120:121], v[134:135] op_sel:[0,0,1] op_sel_hi:[1,0,0]
	v_dual_mul_f32 v134, v133, v123 :: v_dual_mov_b32 v130, v133
	s_delay_alu instid0(VALU_DEP_2) | instskip(NEXT) | instid1(VALU_DEP_2)
	v_dual_mov_b32 v137, v131 :: v_dual_mov_b32 v131, v132
	v_pk_fma_f32 v[134:135], v[132:133], v[76:77], v[134:135] op_sel_hi:[1,1,0] neg_lo:[0,0,1] neg_hi:[0,0,1]
	v_mul_f32_e32 v132, v133, v120
	s_delay_alu instid0(VALU_DEP_3) | instskip(NEXT) | instid1(VALU_DEP_2)
	v_pk_add_f32 v[30:31], v[30:31], v[136:137] neg_lo:[0,1] neg_hi:[0,1]
	v_pk_fma_f32 v[130:131], v[130:131], v[76:77], v[132:133] op_sel_hi:[1,1,0]
	s_delay_alu instid0(VALU_DEP_1) | instskip(SKIP_4) | instid1(VALU_DEP_1)
	v_mov_b32_e32 v135, v131
	ds_load_2addr_b64 v[130:133], v124 offset0:45 offset1:46
	v_pk_add_f32 v[26:27], v[26:27], v[134:135] neg_lo:[0,1] neg_hi:[0,1]
	s_wait_dscnt 0x0
	v_pk_mul_f32 v[134:135], v[130:131], v[122:123] op_sel:[0,1]
	v_pk_fma_f32 v[136:137], v[130:131], v[120:121], v[134:135] op_sel:[0,0,1] op_sel_hi:[1,1,0] neg_lo:[0,0,1] neg_hi:[0,0,1]
	v_pk_fma_f32 v[130:131], v[130:131], v[120:121], v[134:135] op_sel:[0,0,1] op_sel_hi:[1,0,0]
	s_delay_alu instid0(VALU_DEP_1) | instskip(SKIP_1) | instid1(VALU_DEP_1)
	v_mov_b32_e32 v137, v131
	v_pk_mul_f32 v[130:131], v[132:133], v[122:123] op_sel:[0,1]
	v_pk_fma_f32 v[134:135], v[132:133], v[120:121], v[130:131] op_sel:[0,0,1] op_sel_hi:[1,1,0] neg_lo:[0,0,1] neg_hi:[0,0,1]
	v_pk_fma_f32 v[130:131], v[132:133], v[120:121], v[130:131] op_sel:[0,0,1] op_sel_hi:[1,0,0]
	s_delay_alu instid0(VALU_DEP_1)
	v_mov_b32_e32 v135, v131
	ds_load_2addr_b64 v[130:133], v124 offset0:47 offset1:48
	v_pk_add_f32 v[22:23], v[22:23], v[136:137] neg_lo:[0,1] neg_hi:[0,1]
	v_pk_add_f32 v[24:25], v[24:25], v[134:135] neg_lo:[0,1] neg_hi:[0,1]
	s_wait_dscnt 0x0
	v_pk_mul_f32 v[134:135], v[130:131], v[122:123] op_sel:[0,1]
	s_delay_alu instid0(VALU_DEP_1) | instskip(SKIP_1) | instid1(VALU_DEP_1)
	v_pk_fma_f32 v[136:137], v[130:131], v[120:121], v[134:135] op_sel:[0,0,1] op_sel_hi:[1,1,0] neg_lo:[0,0,1] neg_hi:[0,0,1]
	v_pk_fma_f32 v[130:131], v[130:131], v[120:121], v[134:135] op_sel:[0,0,1] op_sel_hi:[1,0,0]
	v_mov_b32_e32 v137, v131
	v_pk_mul_f32 v[130:131], v[132:133], v[122:123] op_sel:[0,1]
	s_delay_alu instid0(VALU_DEP_1) | instskip(SKIP_1) | instid1(VALU_DEP_1)
	v_pk_fma_f32 v[134:135], v[132:133], v[120:121], v[130:131] op_sel:[0,0,1] op_sel_hi:[1,1,0] neg_lo:[0,0,1] neg_hi:[0,0,1]
	v_pk_fma_f32 v[130:131], v[132:133], v[120:121], v[130:131] op_sel:[0,0,1] op_sel_hi:[1,0,0]
	v_mov_b32_e32 v135, v131
	ds_load_2addr_b64 v[130:133], v124 offset0:49 offset1:50
	v_pk_add_f32 v[20:21], v[20:21], v[136:137] neg_lo:[0,1] neg_hi:[0,1]
	v_pk_add_f32 v[14:15], v[14:15], v[134:135] neg_lo:[0,1] neg_hi:[0,1]
	s_wait_dscnt 0x0
	v_dual_mul_f32 v134, v131, v123 :: v_dual_mul_f32 v136, v131, v120
	s_delay_alu instid0(VALU_DEP_1) | instskip(NEXT) | instid1(VALU_DEP_2)
	v_pk_fma_f32 v[134:135], v[130:131], v[76:77], v[134:135] op_sel_hi:[1,1,0] neg_lo:[0,0,1] neg_hi:[0,0,1]
	v_pk_fma_f32 v[130:131], v[130:131], v[76:77], v[136:137] op_sel:[1,0,0] op_sel_hi:[0,1,0]
	s_delay_alu instid0(VALU_DEP_1) | instskip(SKIP_1) | instid1(VALU_DEP_2)
	v_mov_b32_e32 v135, v131
	v_pk_mul_f32 v[130:131], v[132:133], v[122:123] op_sel:[0,1]
	v_pk_add_f32 v[10:11], v[10:11], v[134:135] neg_lo:[0,1] neg_hi:[0,1]
	s_delay_alu instid0(VALU_DEP_2) | instskip(SKIP_1) | instid1(VALU_DEP_1)
	v_pk_fma_f32 v[134:135], v[132:133], v[120:121], v[130:131] op_sel:[0,0,1] op_sel_hi:[1,1,0] neg_lo:[0,0,1] neg_hi:[0,0,1]
	v_pk_fma_f32 v[130:131], v[132:133], v[120:121], v[130:131] op_sel:[0,0,1] op_sel_hi:[1,0,0]
	v_mov_b32_e32 v135, v131
	ds_load_2addr_b64 v[130:133], v124 offset0:51 offset1:52
	v_pk_add_f32 v[12:13], v[12:13], v[134:135] neg_lo:[0,1] neg_hi:[0,1]
	s_wait_dscnt 0x0
	v_pk_mul_f32 v[134:135], v[130:131], v[122:123] op_sel:[0,1]
	s_delay_alu instid0(VALU_DEP_1) | instskip(SKIP_1) | instid1(VALU_DEP_1)
	v_pk_fma_f32 v[136:137], v[130:131], v[120:121], v[134:135] op_sel:[0,0,1] op_sel_hi:[1,1,0] neg_lo:[0,0,1] neg_hi:[0,0,1]
	v_pk_fma_f32 v[130:131], v[130:131], v[120:121], v[134:135] op_sel:[0,0,1] op_sel_hi:[1,0,0]
	v_mov_b32_e32 v137, v131
	v_pk_mul_f32 v[130:131], v[132:133], v[122:123] op_sel:[0,1]
	s_delay_alu instid0(VALU_DEP_2) | instskip(NEXT) | instid1(VALU_DEP_2)
	v_pk_add_f32 v[8:9], v[8:9], v[136:137] neg_lo:[0,1] neg_hi:[0,1]
	v_pk_fma_f32 v[134:135], v[132:133], v[120:121], v[130:131] op_sel:[0,0,1] op_sel_hi:[1,1,0] neg_lo:[0,0,1] neg_hi:[0,0,1]
	v_pk_fma_f32 v[130:131], v[132:133], v[120:121], v[130:131] op_sel:[0,0,1] op_sel_hi:[1,0,0]
	s_delay_alu instid0(VALU_DEP_1) | instskip(SKIP_4) | instid1(VALU_DEP_1)
	v_mov_b32_e32 v135, v131
	ds_load_2addr_b64 v[130:133], v124 offset0:53 offset1:54
	v_pk_add_f32 v[6:7], v[6:7], v[134:135] neg_lo:[0,1] neg_hi:[0,1]
	s_wait_dscnt 0x0
	v_pk_mul_f32 v[134:135], v[130:131], v[122:123] op_sel:[0,1]
	v_pk_fma_f32 v[136:137], v[130:131], v[120:121], v[134:135] op_sel:[0,0,1] op_sel_hi:[1,1,0] neg_lo:[0,0,1] neg_hi:[0,0,1]
	v_pk_fma_f32 v[130:131], v[130:131], v[120:121], v[134:135] op_sel:[0,0,1] op_sel_hi:[1,0,0]
	v_dual_mul_f32 v134, v133, v123 :: v_dual_mov_b32 v130, v133
	s_delay_alu instid0(VALU_DEP_2) | instskip(NEXT) | instid1(VALU_DEP_2)
	v_dual_mov_b32 v137, v131 :: v_dual_mov_b32 v131, v132
	v_pk_fma_f32 v[134:135], v[132:133], v[76:77], v[134:135] op_sel_hi:[1,1,0] neg_lo:[0,0,1] neg_hi:[0,0,1]
	v_mul_f32_e32 v132, v133, v120
	s_delay_alu instid0(VALU_DEP_3) | instskip(NEXT) | instid1(VALU_DEP_2)
	v_pk_add_f32 v[28:29], v[28:29], v[136:137] neg_lo:[0,1] neg_hi:[0,1]
	v_pk_fma_f32 v[130:131], v[130:131], v[76:77], v[132:133] op_sel_hi:[1,1,0]
	s_delay_alu instid0(VALU_DEP_1)
	v_mov_b32_e32 v135, v131
	ds_load_2addr_b64 v[130:133], v124 offset0:55 offset1:56
	v_pk_add_f32 v[18:19], v[18:19], v[134:135] neg_lo:[0,1] neg_hi:[0,1]
	s_wait_dscnt 0x0
	v_pk_mul_f32 v[134:135], v[130:131], v[122:123] op_sel:[0,1]
	v_mul_f32_e32 v122, v133, v123
	s_delay_alu instid0(VALU_DEP_2) | instskip(SKIP_2) | instid1(VALU_DEP_4)
	v_pk_fma_f32 v[136:137], v[130:131], v[120:121], v[134:135] op_sel:[0,0,1] op_sel_hi:[1,1,0] neg_lo:[0,0,1] neg_hi:[0,0,1]
	v_pk_fma_f32 v[130:131], v[130:131], v[120:121], v[134:135] op_sel:[0,0,1] op_sel_hi:[1,0,0]
	v_dual_mov_b32 v130, v133 :: v_dual_mul_f32 v120, v133, v120
	v_pk_fma_f32 v[122:123], v[132:133], v[76:77], v[122:123] op_sel_hi:[1,1,0] neg_lo:[0,0,1] neg_hi:[0,0,1]
	s_delay_alu instid0(VALU_DEP_3) | instskip(NEXT) | instid1(VALU_DEP_1)
	v_dual_mov_b32 v137, v131 :: v_dual_mov_b32 v131, v132
	v_pk_add_f32 v[16:17], v[16:17], v[136:137] neg_lo:[0,1] neg_hi:[0,1]
	s_delay_alu instid0(VALU_DEP_2) | instskip(NEXT) | instid1(VALU_DEP_1)
	v_pk_fma_f32 v[120:121], v[130:131], v[76:77], v[120:121] op_sel_hi:[1,1,0]
	v_mov_b32_e32 v123, v121
	s_delay_alu instid0(VALU_DEP_1)
	v_pk_add_f32 v[118:119], v[118:119], v[122:123] neg_lo:[0,1] neg_hi:[0,1]
.LBB112_440:
	s_or_b32 exec_lo, exec_lo, s0
	v_lshl_add_u32 v120, v128, 3, v124
	s_barrier_signal -1
	s_barrier_wait -1
	ds_store_b64 v120, v[72:73]
	s_wait_dscnt 0x0
	s_barrier_signal -1
	s_barrier_wait -1
	ds_load_b64 v[122:123], v124 offset:168
	v_mov_b32_e32 v120, 21
	s_cmp_lt_i32 s18, 23
	s_cbranch_scc1 .LBB112_443
; %bb.441:
	v_add3_u32 v121, v125, 0, 0xb0
	v_mov_b32_e32 v120, 21
	s_mov_b32 s0, 22
.LBB112_442:                            ; =>This Inner Loop Header: Depth=1
	ds_load_b64 v[130:131], v121
	s_wait_dscnt 0x1
	v_cmp_gt_f32_e32 vcc_lo, 0, v122
	v_cndmask_b32_e64 v132, v122, -v122, vcc_lo
	v_cmp_gt_f32_e32 vcc_lo, 0, v123
	v_cndmask_b32_e64 v134, v123, -v123, vcc_lo
	s_wait_dscnt 0x0
	v_cmp_gt_f32_e32 vcc_lo, 0, v130
	v_cndmask_b32_e64 v133, v130, -v130, vcc_lo
	v_cmp_gt_f32_e32 vcc_lo, 0, v131
	v_cndmask_b32_e64 v135, v131, -v131, vcc_lo
	s_delay_alu instid0(VALU_DEP_1) | instskip(NEXT) | instid1(VALU_DEP_1)
	v_pk_add_f32 v[132:133], v[132:133], v[134:135]
	v_cmp_lt_f32_e32 vcc_lo, v132, v133
	v_dual_add_nc_u32 v121, 8, v121 :: v_dual_cndmask_b32 v123, v123, v131, vcc_lo
	v_cndmask_b32_e32 v122, v122, v130, vcc_lo
	v_cndmask_b32_e64 v120, v120, s0, vcc_lo
	s_add_co_i32 s0, s0, 1
	s_delay_alu instid0(SALU_CYCLE_1)
	s_cmp_lg_u32 s18, s0
	s_cbranch_scc1 .LBB112_442
.LBB112_443:
	s_wait_dscnt 0x0
	v_cmp_eq_f32_e32 vcc_lo, 0, v122
	v_cmp_eq_f32_e64 s0, 0, v123
	s_and_b32 s0, vcc_lo, s0
	s_delay_alu instid0(SALU_CYCLE_1) | instskip(NEXT) | instid1(SALU_CYCLE_1)
	s_and_saveexec_b32 s1, s0
	s_xor_b32 s0, exec_lo, s1
; %bb.444:
	v_cmp_ne_u32_e32 vcc_lo, 0, v126
	v_cndmask_b32_e32 v126, 22, v126, vcc_lo
; %bb.445:
	s_and_not1_saveexec_b32 s0, s0
	s_cbranch_execz .LBB112_451
; %bb.446:
	v_cmp_ngt_f32_e64 s1, |v122|, |v123|
	s_and_saveexec_b32 s12, s1
	s_delay_alu instid0(SALU_CYCLE_1)
	s_xor_b32 s1, exec_lo, s12
	s_cbranch_execz .LBB112_448
; %bb.447:
	v_div_scale_f32 v121, null, v123, v123, v122
	v_div_scale_f32 v131, vcc_lo, v122, v123, v122
	s_delay_alu instid0(VALU_DEP_2) | instskip(SKIP_1) | instid1(TRANS32_DEP_1)
	v_rcp_f32_e32 v129, v121
	v_nop
	v_fma_f32 v130, -v121, v129, 1.0
	s_delay_alu instid0(VALU_DEP_1) | instskip(NEXT) | instid1(VALU_DEP_1)
	v_fmac_f32_e32 v129, v130, v129
	v_mul_f32_e32 v130, v131, v129
	s_delay_alu instid0(VALU_DEP_1) | instskip(NEXT) | instid1(VALU_DEP_1)
	v_fma_f32 v132, -v121, v130, v131
	v_fmac_f32_e32 v130, v132, v129
	s_delay_alu instid0(VALU_DEP_1) | instskip(NEXT) | instid1(VALU_DEP_1)
	v_fma_f32 v121, -v121, v130, v131
	v_div_fmas_f32 v121, v121, v129, v130
	s_delay_alu instid0(VALU_DEP_1) | instskip(NEXT) | instid1(VALU_DEP_1)
	v_div_fixup_f32 v121, v121, v123, v122
	v_fmac_f32_e32 v123, v122, v121
	s_delay_alu instid0(VALU_DEP_1) | instskip(SKIP_1) | instid1(VALU_DEP_2)
	v_div_scale_f32 v122, null, v123, v123, 1.0
	v_div_scale_f32 v131, vcc_lo, 1.0, v123, 1.0
	v_rcp_f32_e32 v129, v122
	v_nop
	s_delay_alu instid0(TRANS32_DEP_1) | instskip(NEXT) | instid1(VALU_DEP_1)
	v_fma_f32 v130, -v122, v129, 1.0
	v_fmac_f32_e32 v129, v130, v129
	s_delay_alu instid0(VALU_DEP_1) | instskip(NEXT) | instid1(VALU_DEP_1)
	v_mul_f32_e32 v130, v131, v129
	v_fma_f32 v132, -v122, v130, v131
	s_delay_alu instid0(VALU_DEP_1) | instskip(NEXT) | instid1(VALU_DEP_1)
	v_fmac_f32_e32 v130, v132, v129
	v_fma_f32 v122, -v122, v130, v131
	s_delay_alu instid0(VALU_DEP_1) | instskip(NEXT) | instid1(VALU_DEP_1)
	v_div_fmas_f32 v122, v122, v129, v130
	v_div_fixup_f32 v123, v122, v123, 1.0
	s_delay_alu instid0(VALU_DEP_1)
	v_mul_f32_e32 v122, v121, v123
	v_xor_b32_e32 v123, 0x80000000, v123
.LBB112_448:
	s_and_not1_saveexec_b32 s1, s1
	s_cbranch_execz .LBB112_450
; %bb.449:
	s_delay_alu instid0(VALU_DEP_1) | instskip(SKIP_1) | instid1(VALU_DEP_2)
	v_div_scale_f32 v121, null, v122, v122, v123
	v_div_scale_f32 v131, vcc_lo, v123, v122, v123
	v_rcp_f32_e32 v129, v121
	v_nop
	s_delay_alu instid0(TRANS32_DEP_1) | instskip(NEXT) | instid1(VALU_DEP_1)
	v_fma_f32 v130, -v121, v129, 1.0
	v_fmac_f32_e32 v129, v130, v129
	s_delay_alu instid0(VALU_DEP_1) | instskip(NEXT) | instid1(VALU_DEP_1)
	v_mul_f32_e32 v130, v131, v129
	v_fma_f32 v132, -v121, v130, v131
	s_delay_alu instid0(VALU_DEP_1) | instskip(NEXT) | instid1(VALU_DEP_1)
	v_fmac_f32_e32 v130, v132, v129
	v_fma_f32 v121, -v121, v130, v131
	s_delay_alu instid0(VALU_DEP_1) | instskip(NEXT) | instid1(VALU_DEP_1)
	v_div_fmas_f32 v121, v121, v129, v130
	v_div_fixup_f32 v121, v121, v122, v123
	s_delay_alu instid0(VALU_DEP_1) | instskip(NEXT) | instid1(VALU_DEP_1)
	v_fmac_f32_e32 v122, v123, v121
	v_div_scale_f32 v123, null, v122, v122, 1.0
	s_delay_alu instid0(VALU_DEP_1) | instskip(SKIP_1) | instid1(TRANS32_DEP_1)
	v_rcp_f32_e32 v129, v123
	v_nop
	v_fma_f32 v130, -v123, v129, 1.0
	s_delay_alu instid0(VALU_DEP_1) | instskip(SKIP_1) | instid1(VALU_DEP_1)
	v_fmac_f32_e32 v129, v130, v129
	v_div_scale_f32 v130, vcc_lo, 1.0, v122, 1.0
	v_mul_f32_e32 v131, v130, v129
	s_delay_alu instid0(VALU_DEP_1) | instskip(NEXT) | instid1(VALU_DEP_1)
	v_fma_f32 v132, -v123, v131, v130
	v_fmac_f32_e32 v131, v132, v129
	s_delay_alu instid0(VALU_DEP_1) | instskip(NEXT) | instid1(VALU_DEP_1)
	v_fma_f32 v123, -v123, v131, v130
	v_div_fmas_f32 v123, v123, v129, v131
	s_delay_alu instid0(VALU_DEP_1) | instskip(NEXT) | instid1(VALU_DEP_1)
	v_div_fixup_f32 v122, v123, v122, 1.0
	v_mul_f32_e64 v123, v121, -v122
.LBB112_450:
	s_or_b32 exec_lo, exec_lo, s1
.LBB112_451:
	s_delay_alu instid0(SALU_CYCLE_1) | instskip(NEXT) | instid1(SALU_CYCLE_1)
	s_or_b32 exec_lo, exec_lo, s0
	s_mov_b32 s0, exec_lo
	v_cmpx_ne_u32_e64 v128, v120
	s_xor_b32 s0, exec_lo, s0
	s_cbranch_execz .LBB112_457
; %bb.452:
	s_mov_b32 s1, exec_lo
	v_cmpx_eq_u32_e32 21, v128
	s_cbranch_execz .LBB112_456
; %bb.453:
	v_cmp_ne_u32_e32 vcc_lo, 21, v120
	s_xor_b32 s12, s16, -1
	s_delay_alu instid0(SALU_CYCLE_1) | instskip(NEXT) | instid1(SALU_CYCLE_1)
	s_and_b32 s13, s12, vcc_lo
	s_and_saveexec_b32 s12, s13
	s_cbranch_execz .LBB112_455
; %bb.454:
	v_ashrrev_i32_e32 v121, 31, v120
	s_delay_alu instid0(VALU_DEP_1)
	v_lshl_add_u64 v[128:129], v[120:121], 2, v[4:5]
	s_clause 0x1
	global_load_b32 v121, v[128:129], off
	global_load_b32 v127, v[4:5], off offset:84
	s_wait_loadcnt 0x1
	global_store_b32 v[4:5], v121, off offset:84
	s_wait_loadcnt 0x0
	global_store_b32 v[128:129], v127, off
.LBB112_455:
	s_wait_xcnt 0x0
	s_or_b32 exec_lo, exec_lo, s12
	v_dual_mov_b32 v128, v120 :: v_dual_mov_b32 v127, v120
.LBB112_456:
	s_or_b32 exec_lo, exec_lo, s1
.LBB112_457:
	s_and_not1_saveexec_b32 s0, s0
	s_cbranch_execz .LBB112_459
; %bb.458:
	v_dual_mov_b32 v120, v74 :: v_dual_mov_b32 v121, v75
	v_dual_mov_b32 v128, v70 :: v_dual_mov_b32 v129, v71
	ds_store_2addr_b64 v124, v[120:121], v[128:129] offset0:22 offset1:23
	v_dual_mov_b32 v120, v68 :: v_dual_mov_b32 v121, v69
	v_dual_mov_b32 v128, v64 :: v_dual_mov_b32 v129, v65
	ds_store_2addr_b64 v124, v[120:121], v[128:129] offset0:24 offset1:25
	;; [unrolled: 3-line block ×17, first 2 shown]
	ds_store_b64 v124, v[118:119] offset:448
	v_mov_b32_e32 v128, 21
.LBB112_459:
	s_or_b32 exec_lo, exec_lo, s0
	s_delay_alu instid0(SALU_CYCLE_1)
	s_mov_b32 s0, exec_lo
	s_wait_storecnt_dscnt 0x0
	s_barrier_signal -1
	s_barrier_wait -1
	v_cmpx_lt_i32_e32 21, v128
	s_cbranch_execz .LBB112_461
; %bb.460:
	v_pk_mul_f32 v[130:131], v[122:123], v[72:73] op_sel:[1,1] op_sel_hi:[0,1]
	s_delay_alu instid0(VALU_DEP_1)
	v_pk_fma_f32 v[120:121], v[122:123], v[72:73], v[130:131] op_sel_hi:[1,0,1] neg_lo:[0,0,1] neg_hi:[0,0,1]
	v_pk_fma_f32 v[122:123], v[122:123], v[72:73], v[130:131] op_sel_hi:[1,0,1]
	ds_load_2addr_b64 v[130:133], v124 offset0:22 offset1:23
	v_dual_mov_b32 v72, v120 :: v_dual_mov_b32 v73, v123
	s_wait_dscnt 0x0
	v_pk_mul_f32 v[134:135], v[130:131], v[122:123] op_sel:[0,1]
	s_delay_alu instid0(VALU_DEP_1) | instskip(SKIP_1) | instid1(VALU_DEP_1)
	v_pk_fma_f32 v[136:137], v[130:131], v[120:121], v[134:135] op_sel:[0,0,1] op_sel_hi:[1,1,0] neg_lo:[0,0,1] neg_hi:[0,0,1]
	v_pk_fma_f32 v[130:131], v[130:131], v[120:121], v[134:135] op_sel:[0,0,1] op_sel_hi:[1,0,0]
	v_mov_b32_e32 v137, v131
	v_pk_mul_f32 v[130:131], v[132:133], v[122:123] op_sel:[0,1]
	s_delay_alu instid0(VALU_DEP_1) | instskip(SKIP_1) | instid1(VALU_DEP_1)
	v_pk_fma_f32 v[134:135], v[132:133], v[120:121], v[130:131] op_sel:[0,0,1] op_sel_hi:[1,1,0] neg_lo:[0,0,1] neg_hi:[0,0,1]
	v_pk_fma_f32 v[130:131], v[132:133], v[120:121], v[130:131] op_sel:[0,0,1] op_sel_hi:[1,0,0]
	v_mov_b32_e32 v135, v131
	ds_load_2addr_b64 v[130:133], v124 offset0:24 offset1:25
	v_pk_add_f32 v[74:75], v[74:75], v[136:137] neg_lo:[0,1] neg_hi:[0,1]
	v_pk_add_f32 v[70:71], v[70:71], v[134:135] neg_lo:[0,1] neg_hi:[0,1]
	s_wait_dscnt 0x0
	v_pk_mul_f32 v[134:135], v[130:131], v[122:123] op_sel:[0,1]
	s_delay_alu instid0(VALU_DEP_1) | instskip(SKIP_2) | instid1(VALU_DEP_2)
	v_pk_fma_f32 v[136:137], v[130:131], v[120:121], v[134:135] op_sel:[0,0,1] op_sel_hi:[1,1,0] neg_lo:[0,0,1] neg_hi:[0,0,1]
	v_pk_fma_f32 v[130:131], v[130:131], v[120:121], v[134:135] op_sel:[0,0,1] op_sel_hi:[1,0,0]
	v_dual_mul_f32 v134, v133, v123 :: v_dual_mov_b32 v130, v133
	v_dual_mov_b32 v137, v131 :: v_dual_mov_b32 v131, v132
	s_delay_alu instid0(VALU_DEP_2) | instskip(SKIP_1) | instid1(VALU_DEP_3)
	v_pk_fma_f32 v[134:135], v[132:133], v[72:73], v[134:135] op_sel_hi:[1,1,0] neg_lo:[0,0,1] neg_hi:[0,0,1]
	v_mul_f32_e32 v132, v133, v120
	v_pk_add_f32 v[68:69], v[68:69], v[136:137] neg_lo:[0,1] neg_hi:[0,1]
	s_delay_alu instid0(VALU_DEP_2) | instskip(NEXT) | instid1(VALU_DEP_1)
	v_pk_fma_f32 v[130:131], v[130:131], v[72:73], v[132:133] op_sel_hi:[1,1,0]
	v_mov_b32_e32 v135, v131
	ds_load_2addr_b64 v[130:133], v124 offset0:26 offset1:27
	v_pk_add_f32 v[64:65], v[64:65], v[134:135] neg_lo:[0,1] neg_hi:[0,1]
	s_wait_dscnt 0x0
	v_pk_mul_f32 v[134:135], v[130:131], v[122:123] op_sel:[0,1]
	s_delay_alu instid0(VALU_DEP_1) | instskip(SKIP_1) | instid1(VALU_DEP_1)
	v_pk_fma_f32 v[136:137], v[130:131], v[120:121], v[134:135] op_sel:[0,0,1] op_sel_hi:[1,1,0] neg_lo:[0,0,1] neg_hi:[0,0,1]
	v_pk_fma_f32 v[130:131], v[130:131], v[120:121], v[134:135] op_sel:[0,0,1] op_sel_hi:[1,0,0]
	v_mov_b32_e32 v137, v131
	v_pk_mul_f32 v[130:131], v[132:133], v[122:123] op_sel:[0,1]
	s_delay_alu instid0(VALU_DEP_1) | instskip(SKIP_1) | instid1(VALU_DEP_1)
	v_pk_fma_f32 v[134:135], v[132:133], v[120:121], v[130:131] op_sel:[0,0,1] op_sel_hi:[1,1,0] neg_lo:[0,0,1] neg_hi:[0,0,1]
	v_pk_fma_f32 v[130:131], v[132:133], v[120:121], v[130:131] op_sel:[0,0,1] op_sel_hi:[1,0,0]
	v_mov_b32_e32 v135, v131
	ds_load_2addr_b64 v[130:133], v124 offset0:28 offset1:29
	v_pk_add_f32 v[66:67], v[66:67], v[136:137] neg_lo:[0,1] neg_hi:[0,1]
	v_pk_add_f32 v[62:63], v[62:63], v[134:135] neg_lo:[0,1] neg_hi:[0,1]
	s_wait_dscnt 0x0
	v_pk_mul_f32 v[134:135], v[130:131], v[122:123] op_sel:[0,1]
	s_delay_alu instid0(VALU_DEP_1) | instskip(SKIP_1) | instid1(VALU_DEP_1)
	v_pk_fma_f32 v[136:137], v[130:131], v[120:121], v[134:135] op_sel:[0,0,1] op_sel_hi:[1,1,0] neg_lo:[0,0,1] neg_hi:[0,0,1]
	v_pk_fma_f32 v[130:131], v[130:131], v[120:121], v[134:135] op_sel:[0,0,1] op_sel_hi:[1,0,0]
	v_mov_b32_e32 v137, v131
	v_pk_mul_f32 v[130:131], v[132:133], v[122:123] op_sel:[0,1]
	s_delay_alu instid0(VALU_DEP_1) | instskip(SKIP_1) | instid1(VALU_DEP_1)
	v_pk_fma_f32 v[134:135], v[132:133], v[120:121], v[130:131] op_sel:[0,0,1] op_sel_hi:[1,1,0] neg_lo:[0,0,1] neg_hi:[0,0,1]
	v_pk_fma_f32 v[130:131], v[132:133], v[120:121], v[130:131] op_sel:[0,0,1] op_sel_hi:[1,0,0]
	v_mov_b32_e32 v135, v131
	ds_load_2addr_b64 v[130:133], v124 offset0:30 offset1:31
	v_pk_add_f32 v[60:61], v[60:61], v[136:137] neg_lo:[0,1] neg_hi:[0,1]
	v_pk_add_f32 v[56:57], v[56:57], v[134:135] neg_lo:[0,1] neg_hi:[0,1]
	s_wait_dscnt 0x0
	v_dual_mul_f32 v134, v131, v123 :: v_dual_mul_f32 v136, v131, v120
	s_delay_alu instid0(VALU_DEP_1) | instskip(NEXT) | instid1(VALU_DEP_2)
	v_pk_fma_f32 v[134:135], v[130:131], v[72:73], v[134:135] op_sel_hi:[1,1,0] neg_lo:[0,0,1] neg_hi:[0,0,1]
	v_pk_fma_f32 v[130:131], v[130:131], v[72:73], v[136:137] op_sel:[1,0,0] op_sel_hi:[0,1,0]
	s_delay_alu instid0(VALU_DEP_1) | instskip(SKIP_1) | instid1(VALU_DEP_2)
	v_mov_b32_e32 v135, v131
	v_pk_mul_f32 v[130:131], v[132:133], v[122:123] op_sel:[0,1]
	v_pk_add_f32 v[58:59], v[58:59], v[134:135] neg_lo:[0,1] neg_hi:[0,1]
	s_delay_alu instid0(VALU_DEP_2) | instskip(SKIP_1) | instid1(VALU_DEP_1)
	v_pk_fma_f32 v[134:135], v[132:133], v[120:121], v[130:131] op_sel:[0,0,1] op_sel_hi:[1,1,0] neg_lo:[0,0,1] neg_hi:[0,0,1]
	v_pk_fma_f32 v[130:131], v[132:133], v[120:121], v[130:131] op_sel:[0,0,1] op_sel_hi:[1,0,0]
	v_mov_b32_e32 v135, v131
	ds_load_2addr_b64 v[130:133], v124 offset0:32 offset1:33
	v_pk_add_f32 v[54:55], v[54:55], v[134:135] neg_lo:[0,1] neg_hi:[0,1]
	s_wait_dscnt 0x0
	v_pk_mul_f32 v[134:135], v[130:131], v[122:123] op_sel:[0,1]
	s_delay_alu instid0(VALU_DEP_1) | instskip(SKIP_1) | instid1(VALU_DEP_1)
	v_pk_fma_f32 v[136:137], v[130:131], v[120:121], v[134:135] op_sel:[0,0,1] op_sel_hi:[1,1,0] neg_lo:[0,0,1] neg_hi:[0,0,1]
	v_pk_fma_f32 v[130:131], v[130:131], v[120:121], v[134:135] op_sel:[0,0,1] op_sel_hi:[1,0,0]
	v_mov_b32_e32 v137, v131
	v_pk_mul_f32 v[130:131], v[132:133], v[122:123] op_sel:[0,1]
	s_delay_alu instid0(VALU_DEP_2) | instskip(NEXT) | instid1(VALU_DEP_2)
	v_pk_add_f32 v[52:53], v[52:53], v[136:137] neg_lo:[0,1] neg_hi:[0,1]
	v_pk_fma_f32 v[134:135], v[132:133], v[120:121], v[130:131] op_sel:[0,0,1] op_sel_hi:[1,1,0] neg_lo:[0,0,1] neg_hi:[0,0,1]
	v_pk_fma_f32 v[130:131], v[132:133], v[120:121], v[130:131] op_sel:[0,0,1] op_sel_hi:[1,0,0]
	s_delay_alu instid0(VALU_DEP_1) | instskip(SKIP_4) | instid1(VALU_DEP_1)
	v_mov_b32_e32 v135, v131
	ds_load_2addr_b64 v[130:133], v124 offset0:34 offset1:35
	v_pk_add_f32 v[48:49], v[48:49], v[134:135] neg_lo:[0,1] neg_hi:[0,1]
	s_wait_dscnt 0x0
	v_pk_mul_f32 v[134:135], v[130:131], v[122:123] op_sel:[0,1]
	v_pk_fma_f32 v[136:137], v[130:131], v[120:121], v[134:135] op_sel:[0,0,1] op_sel_hi:[1,1,0] neg_lo:[0,0,1] neg_hi:[0,0,1]
	v_pk_fma_f32 v[130:131], v[130:131], v[120:121], v[134:135] op_sel:[0,0,1] op_sel_hi:[1,0,0]
	v_dual_mul_f32 v134, v133, v123 :: v_dual_mov_b32 v130, v133
	s_delay_alu instid0(VALU_DEP_2) | instskip(NEXT) | instid1(VALU_DEP_2)
	v_dual_mov_b32 v137, v131 :: v_dual_mov_b32 v131, v132
	v_pk_fma_f32 v[134:135], v[132:133], v[72:73], v[134:135] op_sel_hi:[1,1,0] neg_lo:[0,0,1] neg_hi:[0,0,1]
	v_mul_f32_e32 v132, v133, v120
	s_delay_alu instid0(VALU_DEP_3) | instskip(NEXT) | instid1(VALU_DEP_2)
	v_pk_add_f32 v[50:51], v[50:51], v[136:137] neg_lo:[0,1] neg_hi:[0,1]
	v_pk_fma_f32 v[130:131], v[130:131], v[72:73], v[132:133] op_sel_hi:[1,1,0]
	s_delay_alu instid0(VALU_DEP_1) | instskip(SKIP_4) | instid1(VALU_DEP_1)
	v_mov_b32_e32 v135, v131
	ds_load_2addr_b64 v[130:133], v124 offset0:36 offset1:37
	v_pk_add_f32 v[46:47], v[46:47], v[134:135] neg_lo:[0,1] neg_hi:[0,1]
	s_wait_dscnt 0x0
	v_pk_mul_f32 v[134:135], v[130:131], v[122:123] op_sel:[0,1]
	v_pk_fma_f32 v[136:137], v[130:131], v[120:121], v[134:135] op_sel:[0,0,1] op_sel_hi:[1,1,0] neg_lo:[0,0,1] neg_hi:[0,0,1]
	v_pk_fma_f32 v[130:131], v[130:131], v[120:121], v[134:135] op_sel:[0,0,1] op_sel_hi:[1,0,0]
	s_delay_alu instid0(VALU_DEP_1) | instskip(SKIP_1) | instid1(VALU_DEP_1)
	v_mov_b32_e32 v137, v131
	v_pk_mul_f32 v[130:131], v[132:133], v[122:123] op_sel:[0,1]
	v_pk_fma_f32 v[134:135], v[132:133], v[120:121], v[130:131] op_sel:[0,0,1] op_sel_hi:[1,1,0] neg_lo:[0,0,1] neg_hi:[0,0,1]
	v_pk_fma_f32 v[130:131], v[132:133], v[120:121], v[130:131] op_sel:[0,0,1] op_sel_hi:[1,0,0]
	s_delay_alu instid0(VALU_DEP_1)
	v_mov_b32_e32 v135, v131
	ds_load_2addr_b64 v[130:133], v124 offset0:38 offset1:39
	v_pk_add_f32 v[44:45], v[44:45], v[136:137] neg_lo:[0,1] neg_hi:[0,1]
	v_pk_add_f32 v[40:41], v[40:41], v[134:135] neg_lo:[0,1] neg_hi:[0,1]
	s_wait_dscnt 0x0
	v_pk_mul_f32 v[134:135], v[130:131], v[122:123] op_sel:[0,1]
	s_delay_alu instid0(VALU_DEP_1) | instskip(SKIP_1) | instid1(VALU_DEP_1)
	v_pk_fma_f32 v[136:137], v[130:131], v[120:121], v[134:135] op_sel:[0,0,1] op_sel_hi:[1,1,0] neg_lo:[0,0,1] neg_hi:[0,0,1]
	v_pk_fma_f32 v[130:131], v[130:131], v[120:121], v[134:135] op_sel:[0,0,1] op_sel_hi:[1,0,0]
	v_mov_b32_e32 v137, v131
	v_pk_mul_f32 v[130:131], v[132:133], v[122:123] op_sel:[0,1]
	s_delay_alu instid0(VALU_DEP_1) | instskip(SKIP_1) | instid1(VALU_DEP_1)
	v_pk_fma_f32 v[134:135], v[132:133], v[120:121], v[130:131] op_sel:[0,0,1] op_sel_hi:[1,1,0] neg_lo:[0,0,1] neg_hi:[0,0,1]
	v_pk_fma_f32 v[130:131], v[132:133], v[120:121], v[130:131] op_sel:[0,0,1] op_sel_hi:[1,0,0]
	v_mov_b32_e32 v135, v131
	ds_load_2addr_b64 v[130:133], v124 offset0:40 offset1:41
	v_pk_add_f32 v[42:43], v[42:43], v[136:137] neg_lo:[0,1] neg_hi:[0,1]
	v_pk_add_f32 v[38:39], v[38:39], v[134:135] neg_lo:[0,1] neg_hi:[0,1]
	s_wait_dscnt 0x0
	v_dual_mul_f32 v134, v131, v123 :: v_dual_mul_f32 v136, v131, v120
	s_delay_alu instid0(VALU_DEP_1) | instskip(NEXT) | instid1(VALU_DEP_2)
	v_pk_fma_f32 v[134:135], v[130:131], v[72:73], v[134:135] op_sel_hi:[1,1,0] neg_lo:[0,0,1] neg_hi:[0,0,1]
	v_pk_fma_f32 v[130:131], v[130:131], v[72:73], v[136:137] op_sel:[1,0,0] op_sel_hi:[0,1,0]
	s_delay_alu instid0(VALU_DEP_1) | instskip(SKIP_1) | instid1(VALU_DEP_2)
	v_mov_b32_e32 v135, v131
	v_pk_mul_f32 v[130:131], v[132:133], v[122:123] op_sel:[0,1]
	v_pk_add_f32 v[36:37], v[36:37], v[134:135] neg_lo:[0,1] neg_hi:[0,1]
	s_delay_alu instid0(VALU_DEP_2) | instskip(SKIP_1) | instid1(VALU_DEP_1)
	v_pk_fma_f32 v[134:135], v[132:133], v[120:121], v[130:131] op_sel:[0,0,1] op_sel_hi:[1,1,0] neg_lo:[0,0,1] neg_hi:[0,0,1]
	v_pk_fma_f32 v[130:131], v[132:133], v[120:121], v[130:131] op_sel:[0,0,1] op_sel_hi:[1,0,0]
	v_mov_b32_e32 v135, v131
	ds_load_2addr_b64 v[130:133], v124 offset0:42 offset1:43
	v_pk_add_f32 v[32:33], v[32:33], v[134:135] neg_lo:[0,1] neg_hi:[0,1]
	s_wait_dscnt 0x0
	v_pk_mul_f32 v[134:135], v[130:131], v[122:123] op_sel:[0,1]
	s_delay_alu instid0(VALU_DEP_1) | instskip(SKIP_1) | instid1(VALU_DEP_1)
	v_pk_fma_f32 v[136:137], v[130:131], v[120:121], v[134:135] op_sel:[0,0,1] op_sel_hi:[1,1,0] neg_lo:[0,0,1] neg_hi:[0,0,1]
	v_pk_fma_f32 v[130:131], v[130:131], v[120:121], v[134:135] op_sel:[0,0,1] op_sel_hi:[1,0,0]
	v_mov_b32_e32 v137, v131
	v_pk_mul_f32 v[130:131], v[132:133], v[122:123] op_sel:[0,1]
	s_delay_alu instid0(VALU_DEP_2) | instskip(NEXT) | instid1(VALU_DEP_2)
	v_pk_add_f32 v[34:35], v[34:35], v[136:137] neg_lo:[0,1] neg_hi:[0,1]
	v_pk_fma_f32 v[134:135], v[132:133], v[120:121], v[130:131] op_sel:[0,0,1] op_sel_hi:[1,1,0] neg_lo:[0,0,1] neg_hi:[0,0,1]
	v_pk_fma_f32 v[130:131], v[132:133], v[120:121], v[130:131] op_sel:[0,0,1] op_sel_hi:[1,0,0]
	s_delay_alu instid0(VALU_DEP_1) | instskip(SKIP_4) | instid1(VALU_DEP_1)
	v_mov_b32_e32 v135, v131
	ds_load_2addr_b64 v[130:133], v124 offset0:44 offset1:45
	v_pk_add_f32 v[30:31], v[30:31], v[134:135] neg_lo:[0,1] neg_hi:[0,1]
	s_wait_dscnt 0x0
	v_pk_mul_f32 v[134:135], v[130:131], v[122:123] op_sel:[0,1]
	v_pk_fma_f32 v[136:137], v[130:131], v[120:121], v[134:135] op_sel:[0,0,1] op_sel_hi:[1,1,0] neg_lo:[0,0,1] neg_hi:[0,0,1]
	v_pk_fma_f32 v[130:131], v[130:131], v[120:121], v[134:135] op_sel:[0,0,1] op_sel_hi:[1,0,0]
	v_dual_mul_f32 v134, v133, v123 :: v_dual_mov_b32 v130, v133
	s_delay_alu instid0(VALU_DEP_2) | instskip(NEXT) | instid1(VALU_DEP_2)
	v_dual_mov_b32 v137, v131 :: v_dual_mov_b32 v131, v132
	v_pk_fma_f32 v[134:135], v[132:133], v[72:73], v[134:135] op_sel_hi:[1,1,0] neg_lo:[0,0,1] neg_hi:[0,0,1]
	v_mul_f32_e32 v132, v133, v120
	s_delay_alu instid0(VALU_DEP_3) | instskip(NEXT) | instid1(VALU_DEP_2)
	v_pk_add_f32 v[26:27], v[26:27], v[136:137] neg_lo:[0,1] neg_hi:[0,1]
	v_pk_fma_f32 v[130:131], v[130:131], v[72:73], v[132:133] op_sel_hi:[1,1,0]
	s_delay_alu instid0(VALU_DEP_1) | instskip(SKIP_4) | instid1(VALU_DEP_1)
	v_mov_b32_e32 v135, v131
	ds_load_2addr_b64 v[130:133], v124 offset0:46 offset1:47
	v_pk_add_f32 v[22:23], v[22:23], v[134:135] neg_lo:[0,1] neg_hi:[0,1]
	s_wait_dscnt 0x0
	v_pk_mul_f32 v[134:135], v[130:131], v[122:123] op_sel:[0,1]
	v_pk_fma_f32 v[136:137], v[130:131], v[120:121], v[134:135] op_sel:[0,0,1] op_sel_hi:[1,1,0] neg_lo:[0,0,1] neg_hi:[0,0,1]
	v_pk_fma_f32 v[130:131], v[130:131], v[120:121], v[134:135] op_sel:[0,0,1] op_sel_hi:[1,0,0]
	s_delay_alu instid0(VALU_DEP_1) | instskip(SKIP_1) | instid1(VALU_DEP_1)
	v_mov_b32_e32 v137, v131
	v_pk_mul_f32 v[130:131], v[132:133], v[122:123] op_sel:[0,1]
	v_pk_fma_f32 v[134:135], v[132:133], v[120:121], v[130:131] op_sel:[0,0,1] op_sel_hi:[1,1,0] neg_lo:[0,0,1] neg_hi:[0,0,1]
	v_pk_fma_f32 v[130:131], v[132:133], v[120:121], v[130:131] op_sel:[0,0,1] op_sel_hi:[1,0,0]
	s_delay_alu instid0(VALU_DEP_1)
	v_mov_b32_e32 v135, v131
	ds_load_2addr_b64 v[130:133], v124 offset0:48 offset1:49
	v_pk_add_f32 v[24:25], v[24:25], v[136:137] neg_lo:[0,1] neg_hi:[0,1]
	v_pk_add_f32 v[20:21], v[20:21], v[134:135] neg_lo:[0,1] neg_hi:[0,1]
	s_wait_dscnt 0x0
	v_pk_mul_f32 v[134:135], v[130:131], v[122:123] op_sel:[0,1]
	s_delay_alu instid0(VALU_DEP_1) | instskip(SKIP_1) | instid1(VALU_DEP_1)
	v_pk_fma_f32 v[136:137], v[130:131], v[120:121], v[134:135] op_sel:[0,0,1] op_sel_hi:[1,1,0] neg_lo:[0,0,1] neg_hi:[0,0,1]
	v_pk_fma_f32 v[130:131], v[130:131], v[120:121], v[134:135] op_sel:[0,0,1] op_sel_hi:[1,0,0]
	v_mov_b32_e32 v137, v131
	v_pk_mul_f32 v[130:131], v[132:133], v[122:123] op_sel:[0,1]
	s_delay_alu instid0(VALU_DEP_1) | instskip(SKIP_1) | instid1(VALU_DEP_1)
	v_pk_fma_f32 v[134:135], v[132:133], v[120:121], v[130:131] op_sel:[0,0,1] op_sel_hi:[1,1,0] neg_lo:[0,0,1] neg_hi:[0,0,1]
	v_pk_fma_f32 v[130:131], v[132:133], v[120:121], v[130:131] op_sel:[0,0,1] op_sel_hi:[1,0,0]
	v_mov_b32_e32 v135, v131
	ds_load_2addr_b64 v[130:133], v124 offset0:50 offset1:51
	v_pk_add_f32 v[14:15], v[14:15], v[136:137] neg_lo:[0,1] neg_hi:[0,1]
	v_pk_add_f32 v[10:11], v[10:11], v[134:135] neg_lo:[0,1] neg_hi:[0,1]
	s_wait_dscnt 0x0
	v_dual_mul_f32 v134, v131, v123 :: v_dual_mul_f32 v136, v131, v120
	s_delay_alu instid0(VALU_DEP_1) | instskip(NEXT) | instid1(VALU_DEP_2)
	v_pk_fma_f32 v[134:135], v[130:131], v[72:73], v[134:135] op_sel_hi:[1,1,0] neg_lo:[0,0,1] neg_hi:[0,0,1]
	v_pk_fma_f32 v[130:131], v[130:131], v[72:73], v[136:137] op_sel:[1,0,0] op_sel_hi:[0,1,0]
	s_delay_alu instid0(VALU_DEP_1) | instskip(SKIP_1) | instid1(VALU_DEP_2)
	v_mov_b32_e32 v135, v131
	v_pk_mul_f32 v[130:131], v[132:133], v[122:123] op_sel:[0,1]
	v_pk_add_f32 v[12:13], v[12:13], v[134:135] neg_lo:[0,1] neg_hi:[0,1]
	s_delay_alu instid0(VALU_DEP_2) | instskip(SKIP_1) | instid1(VALU_DEP_1)
	v_pk_fma_f32 v[134:135], v[132:133], v[120:121], v[130:131] op_sel:[0,0,1] op_sel_hi:[1,1,0] neg_lo:[0,0,1] neg_hi:[0,0,1]
	v_pk_fma_f32 v[130:131], v[132:133], v[120:121], v[130:131] op_sel:[0,0,1] op_sel_hi:[1,0,0]
	v_mov_b32_e32 v135, v131
	ds_load_2addr_b64 v[130:133], v124 offset0:52 offset1:53
	v_pk_add_f32 v[8:9], v[8:9], v[134:135] neg_lo:[0,1] neg_hi:[0,1]
	s_wait_dscnt 0x0
	v_pk_mul_f32 v[134:135], v[130:131], v[122:123] op_sel:[0,1]
	s_delay_alu instid0(VALU_DEP_1) | instskip(SKIP_1) | instid1(VALU_DEP_1)
	v_pk_fma_f32 v[136:137], v[130:131], v[120:121], v[134:135] op_sel:[0,0,1] op_sel_hi:[1,1,0] neg_lo:[0,0,1] neg_hi:[0,0,1]
	v_pk_fma_f32 v[130:131], v[130:131], v[120:121], v[134:135] op_sel:[0,0,1] op_sel_hi:[1,0,0]
	v_mov_b32_e32 v137, v131
	v_pk_mul_f32 v[130:131], v[132:133], v[122:123] op_sel:[0,1]
	s_delay_alu instid0(VALU_DEP_2) | instskip(NEXT) | instid1(VALU_DEP_2)
	v_pk_add_f32 v[6:7], v[6:7], v[136:137] neg_lo:[0,1] neg_hi:[0,1]
	v_pk_fma_f32 v[134:135], v[132:133], v[120:121], v[130:131] op_sel:[0,0,1] op_sel_hi:[1,1,0] neg_lo:[0,0,1] neg_hi:[0,0,1]
	v_pk_fma_f32 v[130:131], v[132:133], v[120:121], v[130:131] op_sel:[0,0,1] op_sel_hi:[1,0,0]
	s_delay_alu instid0(VALU_DEP_1) | instskip(SKIP_4) | instid1(VALU_DEP_1)
	v_mov_b32_e32 v135, v131
	ds_load_2addr_b64 v[130:133], v124 offset0:54 offset1:55
	v_pk_add_f32 v[28:29], v[28:29], v[134:135] neg_lo:[0,1] neg_hi:[0,1]
	s_wait_dscnt 0x0
	v_pk_mul_f32 v[134:135], v[130:131], v[122:123] op_sel:[0,1]
	v_pk_fma_f32 v[136:137], v[130:131], v[120:121], v[134:135] op_sel:[0,0,1] op_sel_hi:[1,1,0] neg_lo:[0,0,1] neg_hi:[0,0,1]
	v_pk_fma_f32 v[130:131], v[130:131], v[120:121], v[134:135] op_sel:[0,0,1] op_sel_hi:[1,0,0]
	v_dual_mul_f32 v134, v133, v123 :: v_dual_mov_b32 v130, v133
	s_delay_alu instid0(VALU_DEP_2) | instskip(NEXT) | instid1(VALU_DEP_2)
	v_dual_mov_b32 v137, v131 :: v_dual_mov_b32 v131, v132
	v_pk_fma_f32 v[134:135], v[132:133], v[72:73], v[134:135] op_sel_hi:[1,1,0] neg_lo:[0,0,1] neg_hi:[0,0,1]
	v_mul_f32_e32 v132, v133, v120
	s_delay_alu instid0(VALU_DEP_3) | instskip(NEXT) | instid1(VALU_DEP_2)
	v_pk_add_f32 v[18:19], v[18:19], v[136:137] neg_lo:[0,1] neg_hi:[0,1]
	v_pk_fma_f32 v[130:131], v[130:131], v[72:73], v[132:133] op_sel_hi:[1,1,0]
	s_delay_alu instid0(VALU_DEP_1) | instskip(SKIP_4) | instid1(VALU_DEP_1)
	v_mov_b32_e32 v135, v131
	ds_load_b64 v[130:131], v124 offset:448
	v_pk_add_f32 v[16:17], v[16:17], v[134:135] neg_lo:[0,1] neg_hi:[0,1]
	s_wait_dscnt 0x0
	v_pk_mul_f32 v[122:123], v[130:131], v[122:123] op_sel:[0,1]
	v_pk_fma_f32 v[132:133], v[130:131], v[120:121], v[122:123] op_sel:[0,0,1] op_sel_hi:[1,1,0] neg_lo:[0,0,1] neg_hi:[0,0,1]
	v_pk_fma_f32 v[120:121], v[130:131], v[120:121], v[122:123] op_sel:[0,0,1] op_sel_hi:[1,0,0]
	s_delay_alu instid0(VALU_DEP_1) | instskip(NEXT) | instid1(VALU_DEP_1)
	v_mov_b32_e32 v133, v121
	v_pk_add_f32 v[118:119], v[118:119], v[132:133] neg_lo:[0,1] neg_hi:[0,1]
.LBB112_461:
	s_or_b32 exec_lo, exec_lo, s0
	v_lshl_add_u32 v120, v128, 3, v124
	s_barrier_signal -1
	s_barrier_wait -1
	ds_store_b64 v120, v[74:75]
	s_wait_dscnt 0x0
	s_barrier_signal -1
	s_barrier_wait -1
	ds_load_b64 v[122:123], v124 offset:176
	v_mov_b32_e32 v120, 22
	s_cmp_lt_i32 s18, 24
	s_cbranch_scc1 .LBB112_464
; %bb.462:
	v_add3_u32 v121, v125, 0, 0xb8
	v_mov_b32_e32 v120, 22
	s_mov_b32 s0, 23
.LBB112_463:                            ; =>This Inner Loop Header: Depth=1
	ds_load_b64 v[130:131], v121
	s_wait_dscnt 0x1
	v_cmp_gt_f32_e32 vcc_lo, 0, v122
	v_cndmask_b32_e64 v132, v122, -v122, vcc_lo
	v_cmp_gt_f32_e32 vcc_lo, 0, v123
	v_cndmask_b32_e64 v134, v123, -v123, vcc_lo
	s_wait_dscnt 0x0
	v_cmp_gt_f32_e32 vcc_lo, 0, v130
	v_cndmask_b32_e64 v133, v130, -v130, vcc_lo
	v_cmp_gt_f32_e32 vcc_lo, 0, v131
	v_cndmask_b32_e64 v135, v131, -v131, vcc_lo
	s_delay_alu instid0(VALU_DEP_1) | instskip(NEXT) | instid1(VALU_DEP_1)
	v_pk_add_f32 v[132:133], v[132:133], v[134:135]
	v_cmp_lt_f32_e32 vcc_lo, v132, v133
	v_dual_add_nc_u32 v121, 8, v121 :: v_dual_cndmask_b32 v123, v123, v131, vcc_lo
	v_cndmask_b32_e32 v122, v122, v130, vcc_lo
	v_cndmask_b32_e64 v120, v120, s0, vcc_lo
	s_add_co_i32 s0, s0, 1
	s_delay_alu instid0(SALU_CYCLE_1)
	s_cmp_lg_u32 s18, s0
	s_cbranch_scc1 .LBB112_463
.LBB112_464:
	s_wait_dscnt 0x0
	v_cmp_eq_f32_e32 vcc_lo, 0, v122
	v_cmp_eq_f32_e64 s0, 0, v123
	s_and_b32 s0, vcc_lo, s0
	s_delay_alu instid0(SALU_CYCLE_1) | instskip(NEXT) | instid1(SALU_CYCLE_1)
	s_and_saveexec_b32 s1, s0
	s_xor_b32 s0, exec_lo, s1
; %bb.465:
	v_cmp_ne_u32_e32 vcc_lo, 0, v126
	v_cndmask_b32_e32 v126, 23, v126, vcc_lo
; %bb.466:
	s_and_not1_saveexec_b32 s0, s0
	s_cbranch_execz .LBB112_472
; %bb.467:
	v_cmp_ngt_f32_e64 s1, |v122|, |v123|
	s_and_saveexec_b32 s12, s1
	s_delay_alu instid0(SALU_CYCLE_1)
	s_xor_b32 s1, exec_lo, s12
	s_cbranch_execz .LBB112_469
; %bb.468:
	v_div_scale_f32 v121, null, v123, v123, v122
	v_div_scale_f32 v131, vcc_lo, v122, v123, v122
	s_delay_alu instid0(VALU_DEP_2) | instskip(SKIP_1) | instid1(TRANS32_DEP_1)
	v_rcp_f32_e32 v129, v121
	v_nop
	v_fma_f32 v130, -v121, v129, 1.0
	s_delay_alu instid0(VALU_DEP_1) | instskip(NEXT) | instid1(VALU_DEP_1)
	v_fmac_f32_e32 v129, v130, v129
	v_mul_f32_e32 v130, v131, v129
	s_delay_alu instid0(VALU_DEP_1) | instskip(NEXT) | instid1(VALU_DEP_1)
	v_fma_f32 v132, -v121, v130, v131
	v_fmac_f32_e32 v130, v132, v129
	s_delay_alu instid0(VALU_DEP_1) | instskip(NEXT) | instid1(VALU_DEP_1)
	v_fma_f32 v121, -v121, v130, v131
	v_div_fmas_f32 v121, v121, v129, v130
	s_delay_alu instid0(VALU_DEP_1) | instskip(NEXT) | instid1(VALU_DEP_1)
	v_div_fixup_f32 v121, v121, v123, v122
	v_fmac_f32_e32 v123, v122, v121
	s_delay_alu instid0(VALU_DEP_1) | instskip(SKIP_1) | instid1(VALU_DEP_2)
	v_div_scale_f32 v122, null, v123, v123, 1.0
	v_div_scale_f32 v131, vcc_lo, 1.0, v123, 1.0
	v_rcp_f32_e32 v129, v122
	v_nop
	s_delay_alu instid0(TRANS32_DEP_1) | instskip(NEXT) | instid1(VALU_DEP_1)
	v_fma_f32 v130, -v122, v129, 1.0
	v_fmac_f32_e32 v129, v130, v129
	s_delay_alu instid0(VALU_DEP_1) | instskip(NEXT) | instid1(VALU_DEP_1)
	v_mul_f32_e32 v130, v131, v129
	v_fma_f32 v132, -v122, v130, v131
	s_delay_alu instid0(VALU_DEP_1) | instskip(NEXT) | instid1(VALU_DEP_1)
	v_fmac_f32_e32 v130, v132, v129
	v_fma_f32 v122, -v122, v130, v131
	s_delay_alu instid0(VALU_DEP_1) | instskip(NEXT) | instid1(VALU_DEP_1)
	v_div_fmas_f32 v122, v122, v129, v130
	v_div_fixup_f32 v123, v122, v123, 1.0
	s_delay_alu instid0(VALU_DEP_1)
	v_mul_f32_e32 v122, v121, v123
	v_xor_b32_e32 v123, 0x80000000, v123
.LBB112_469:
	s_and_not1_saveexec_b32 s1, s1
	s_cbranch_execz .LBB112_471
; %bb.470:
	s_delay_alu instid0(VALU_DEP_1) | instskip(SKIP_1) | instid1(VALU_DEP_2)
	v_div_scale_f32 v121, null, v122, v122, v123
	v_div_scale_f32 v131, vcc_lo, v123, v122, v123
	v_rcp_f32_e32 v129, v121
	v_nop
	s_delay_alu instid0(TRANS32_DEP_1) | instskip(NEXT) | instid1(VALU_DEP_1)
	v_fma_f32 v130, -v121, v129, 1.0
	v_fmac_f32_e32 v129, v130, v129
	s_delay_alu instid0(VALU_DEP_1) | instskip(NEXT) | instid1(VALU_DEP_1)
	v_mul_f32_e32 v130, v131, v129
	v_fma_f32 v132, -v121, v130, v131
	s_delay_alu instid0(VALU_DEP_1) | instskip(NEXT) | instid1(VALU_DEP_1)
	v_fmac_f32_e32 v130, v132, v129
	v_fma_f32 v121, -v121, v130, v131
	s_delay_alu instid0(VALU_DEP_1) | instskip(NEXT) | instid1(VALU_DEP_1)
	v_div_fmas_f32 v121, v121, v129, v130
	v_div_fixup_f32 v121, v121, v122, v123
	s_delay_alu instid0(VALU_DEP_1) | instskip(NEXT) | instid1(VALU_DEP_1)
	v_fmac_f32_e32 v122, v123, v121
	v_div_scale_f32 v123, null, v122, v122, 1.0
	s_delay_alu instid0(VALU_DEP_1) | instskip(SKIP_1) | instid1(TRANS32_DEP_1)
	v_rcp_f32_e32 v129, v123
	v_nop
	v_fma_f32 v130, -v123, v129, 1.0
	s_delay_alu instid0(VALU_DEP_1) | instskip(SKIP_1) | instid1(VALU_DEP_1)
	v_fmac_f32_e32 v129, v130, v129
	v_div_scale_f32 v130, vcc_lo, 1.0, v122, 1.0
	v_mul_f32_e32 v131, v130, v129
	s_delay_alu instid0(VALU_DEP_1) | instskip(NEXT) | instid1(VALU_DEP_1)
	v_fma_f32 v132, -v123, v131, v130
	v_fmac_f32_e32 v131, v132, v129
	s_delay_alu instid0(VALU_DEP_1) | instskip(NEXT) | instid1(VALU_DEP_1)
	v_fma_f32 v123, -v123, v131, v130
	v_div_fmas_f32 v123, v123, v129, v131
	s_delay_alu instid0(VALU_DEP_1) | instskip(NEXT) | instid1(VALU_DEP_1)
	v_div_fixup_f32 v122, v123, v122, 1.0
	v_mul_f32_e64 v123, v121, -v122
.LBB112_471:
	s_or_b32 exec_lo, exec_lo, s1
.LBB112_472:
	s_delay_alu instid0(SALU_CYCLE_1) | instskip(NEXT) | instid1(SALU_CYCLE_1)
	s_or_b32 exec_lo, exec_lo, s0
	s_mov_b32 s0, exec_lo
	v_cmpx_ne_u32_e64 v128, v120
	s_xor_b32 s0, exec_lo, s0
	s_cbranch_execz .LBB112_478
; %bb.473:
	s_mov_b32 s1, exec_lo
	v_cmpx_eq_u32_e32 22, v128
	s_cbranch_execz .LBB112_477
; %bb.474:
	v_cmp_ne_u32_e32 vcc_lo, 22, v120
	s_xor_b32 s12, s16, -1
	s_delay_alu instid0(SALU_CYCLE_1) | instskip(NEXT) | instid1(SALU_CYCLE_1)
	s_and_b32 s13, s12, vcc_lo
	s_and_saveexec_b32 s12, s13
	s_cbranch_execz .LBB112_476
; %bb.475:
	v_ashrrev_i32_e32 v121, 31, v120
	s_delay_alu instid0(VALU_DEP_1)
	v_lshl_add_u64 v[128:129], v[120:121], 2, v[4:5]
	s_clause 0x1
	global_load_b32 v121, v[128:129], off
	global_load_b32 v127, v[4:5], off offset:88
	s_wait_loadcnt 0x1
	global_store_b32 v[4:5], v121, off offset:88
	s_wait_loadcnt 0x0
	global_store_b32 v[128:129], v127, off
.LBB112_476:
	s_wait_xcnt 0x0
	s_or_b32 exec_lo, exec_lo, s12
	v_dual_mov_b32 v128, v120 :: v_dual_mov_b32 v127, v120
.LBB112_477:
	s_or_b32 exec_lo, exec_lo, s1
.LBB112_478:
	s_and_not1_saveexec_b32 s0, s0
	s_cbranch_execz .LBB112_480
; %bb.479:
	v_mov_b32_e32 v128, 22
	ds_store_2addr_b64 v124, v[70:71], v[68:69] offset0:23 offset1:24
	ds_store_2addr_b64 v124, v[64:65], v[66:67] offset0:25 offset1:26
	;; [unrolled: 1-line block ×17, first 2 shown]
.LBB112_480:
	s_or_b32 exec_lo, exec_lo, s0
	s_delay_alu instid0(SALU_CYCLE_1)
	s_mov_b32 s0, exec_lo
	s_wait_storecnt_dscnt 0x0
	s_barrier_signal -1
	s_barrier_wait -1
	v_cmpx_lt_i32_e32 22, v128
	s_cbranch_execz .LBB112_482
; %bb.481:
	v_pk_mul_f32 v[130:131], v[122:123], v[74:75] op_sel:[1,1] op_sel_hi:[0,1]
	s_delay_alu instid0(VALU_DEP_1)
	v_pk_fma_f32 v[120:121], v[122:123], v[74:75], v[130:131] op_sel_hi:[1,0,1] neg_lo:[0,0,1] neg_hi:[0,0,1]
	v_pk_fma_f32 v[122:123], v[122:123], v[74:75], v[130:131] op_sel_hi:[1,0,1]
	ds_load_2addr_b64 v[130:133], v124 offset0:23 offset1:24
	v_dual_mov_b32 v74, v120 :: v_dual_mov_b32 v75, v123
	s_wait_dscnt 0x0
	v_pk_mul_f32 v[134:135], v[130:131], v[122:123] op_sel:[0,1]
	s_delay_alu instid0(VALU_DEP_1) | instskip(SKIP_1) | instid1(VALU_DEP_1)
	v_pk_fma_f32 v[136:137], v[130:131], v[120:121], v[134:135] op_sel:[0,0,1] op_sel_hi:[1,1,0] neg_lo:[0,0,1] neg_hi:[0,0,1]
	v_pk_fma_f32 v[130:131], v[130:131], v[120:121], v[134:135] op_sel:[0,0,1] op_sel_hi:[1,0,0]
	v_mov_b32_e32 v137, v131
	v_pk_mul_f32 v[130:131], v[132:133], v[122:123] op_sel:[0,1]
	s_delay_alu instid0(VALU_DEP_1) | instskip(SKIP_1) | instid1(VALU_DEP_1)
	v_pk_fma_f32 v[134:135], v[132:133], v[120:121], v[130:131] op_sel:[0,0,1] op_sel_hi:[1,1,0] neg_lo:[0,0,1] neg_hi:[0,0,1]
	v_pk_fma_f32 v[130:131], v[132:133], v[120:121], v[130:131] op_sel:[0,0,1] op_sel_hi:[1,0,0]
	v_mov_b32_e32 v135, v131
	ds_load_2addr_b64 v[130:133], v124 offset0:25 offset1:26
	v_pk_add_f32 v[70:71], v[70:71], v[136:137] neg_lo:[0,1] neg_hi:[0,1]
	v_pk_add_f32 v[68:69], v[68:69], v[134:135] neg_lo:[0,1] neg_hi:[0,1]
	s_wait_dscnt 0x0
	v_pk_mul_f32 v[134:135], v[130:131], v[122:123] op_sel:[0,1]
	s_delay_alu instid0(VALU_DEP_1) | instskip(SKIP_2) | instid1(VALU_DEP_2)
	v_pk_fma_f32 v[136:137], v[130:131], v[120:121], v[134:135] op_sel:[0,0,1] op_sel_hi:[1,1,0] neg_lo:[0,0,1] neg_hi:[0,0,1]
	v_pk_fma_f32 v[130:131], v[130:131], v[120:121], v[134:135] op_sel:[0,0,1] op_sel_hi:[1,0,0]
	v_dual_mul_f32 v134, v133, v123 :: v_dual_mov_b32 v130, v133
	v_dual_mov_b32 v137, v131 :: v_dual_mov_b32 v131, v132
	s_delay_alu instid0(VALU_DEP_2) | instskip(SKIP_1) | instid1(VALU_DEP_3)
	v_pk_fma_f32 v[134:135], v[132:133], v[74:75], v[134:135] op_sel_hi:[1,1,0] neg_lo:[0,0,1] neg_hi:[0,0,1]
	v_mul_f32_e32 v132, v133, v120
	v_pk_add_f32 v[64:65], v[64:65], v[136:137] neg_lo:[0,1] neg_hi:[0,1]
	s_delay_alu instid0(VALU_DEP_2) | instskip(NEXT) | instid1(VALU_DEP_1)
	v_pk_fma_f32 v[130:131], v[130:131], v[74:75], v[132:133] op_sel_hi:[1,1,0]
	v_mov_b32_e32 v135, v131
	ds_load_2addr_b64 v[130:133], v124 offset0:27 offset1:28
	v_pk_add_f32 v[66:67], v[66:67], v[134:135] neg_lo:[0,1] neg_hi:[0,1]
	s_wait_dscnt 0x0
	v_pk_mul_f32 v[134:135], v[130:131], v[122:123] op_sel:[0,1]
	s_delay_alu instid0(VALU_DEP_1) | instskip(SKIP_1) | instid1(VALU_DEP_1)
	v_pk_fma_f32 v[136:137], v[130:131], v[120:121], v[134:135] op_sel:[0,0,1] op_sel_hi:[1,1,0] neg_lo:[0,0,1] neg_hi:[0,0,1]
	v_pk_fma_f32 v[130:131], v[130:131], v[120:121], v[134:135] op_sel:[0,0,1] op_sel_hi:[1,0,0]
	v_mov_b32_e32 v137, v131
	v_pk_mul_f32 v[130:131], v[132:133], v[122:123] op_sel:[0,1]
	s_delay_alu instid0(VALU_DEP_1) | instskip(SKIP_1) | instid1(VALU_DEP_1)
	v_pk_fma_f32 v[134:135], v[132:133], v[120:121], v[130:131] op_sel:[0,0,1] op_sel_hi:[1,1,0] neg_lo:[0,0,1] neg_hi:[0,0,1]
	v_pk_fma_f32 v[130:131], v[132:133], v[120:121], v[130:131] op_sel:[0,0,1] op_sel_hi:[1,0,0]
	v_mov_b32_e32 v135, v131
	ds_load_2addr_b64 v[130:133], v124 offset0:29 offset1:30
	v_pk_add_f32 v[62:63], v[62:63], v[136:137] neg_lo:[0,1] neg_hi:[0,1]
	v_pk_add_f32 v[60:61], v[60:61], v[134:135] neg_lo:[0,1] neg_hi:[0,1]
	s_wait_dscnt 0x0
	v_pk_mul_f32 v[134:135], v[130:131], v[122:123] op_sel:[0,1]
	s_delay_alu instid0(VALU_DEP_1) | instskip(SKIP_1) | instid1(VALU_DEP_1)
	v_pk_fma_f32 v[136:137], v[130:131], v[120:121], v[134:135] op_sel:[0,0,1] op_sel_hi:[1,1,0] neg_lo:[0,0,1] neg_hi:[0,0,1]
	v_pk_fma_f32 v[130:131], v[130:131], v[120:121], v[134:135] op_sel:[0,0,1] op_sel_hi:[1,0,0]
	v_mov_b32_e32 v137, v131
	v_pk_mul_f32 v[130:131], v[132:133], v[122:123] op_sel:[0,1]
	s_delay_alu instid0(VALU_DEP_1) | instskip(SKIP_1) | instid1(VALU_DEP_1)
	v_pk_fma_f32 v[134:135], v[132:133], v[120:121], v[130:131] op_sel:[0,0,1] op_sel_hi:[1,1,0] neg_lo:[0,0,1] neg_hi:[0,0,1]
	v_pk_fma_f32 v[130:131], v[132:133], v[120:121], v[130:131] op_sel:[0,0,1] op_sel_hi:[1,0,0]
	v_mov_b32_e32 v135, v131
	ds_load_2addr_b64 v[130:133], v124 offset0:31 offset1:32
	v_pk_add_f32 v[56:57], v[56:57], v[136:137] neg_lo:[0,1] neg_hi:[0,1]
	v_pk_add_f32 v[58:59], v[58:59], v[134:135] neg_lo:[0,1] neg_hi:[0,1]
	s_wait_dscnt 0x0
	v_dual_mul_f32 v134, v131, v123 :: v_dual_mul_f32 v136, v131, v120
	s_delay_alu instid0(VALU_DEP_1) | instskip(NEXT) | instid1(VALU_DEP_2)
	v_pk_fma_f32 v[134:135], v[130:131], v[74:75], v[134:135] op_sel_hi:[1,1,0] neg_lo:[0,0,1] neg_hi:[0,0,1]
	v_pk_fma_f32 v[130:131], v[130:131], v[74:75], v[136:137] op_sel:[1,0,0] op_sel_hi:[0,1,0]
	s_delay_alu instid0(VALU_DEP_1) | instskip(SKIP_1) | instid1(VALU_DEP_2)
	v_mov_b32_e32 v135, v131
	v_pk_mul_f32 v[130:131], v[132:133], v[122:123] op_sel:[0,1]
	v_pk_add_f32 v[54:55], v[54:55], v[134:135] neg_lo:[0,1] neg_hi:[0,1]
	s_delay_alu instid0(VALU_DEP_2) | instskip(SKIP_1) | instid1(VALU_DEP_1)
	v_pk_fma_f32 v[134:135], v[132:133], v[120:121], v[130:131] op_sel:[0,0,1] op_sel_hi:[1,1,0] neg_lo:[0,0,1] neg_hi:[0,0,1]
	v_pk_fma_f32 v[130:131], v[132:133], v[120:121], v[130:131] op_sel:[0,0,1] op_sel_hi:[1,0,0]
	v_mov_b32_e32 v135, v131
	ds_load_2addr_b64 v[130:133], v124 offset0:33 offset1:34
	v_pk_add_f32 v[52:53], v[52:53], v[134:135] neg_lo:[0,1] neg_hi:[0,1]
	s_wait_dscnt 0x0
	v_pk_mul_f32 v[134:135], v[130:131], v[122:123] op_sel:[0,1]
	s_delay_alu instid0(VALU_DEP_1) | instskip(SKIP_1) | instid1(VALU_DEP_1)
	v_pk_fma_f32 v[136:137], v[130:131], v[120:121], v[134:135] op_sel:[0,0,1] op_sel_hi:[1,1,0] neg_lo:[0,0,1] neg_hi:[0,0,1]
	v_pk_fma_f32 v[130:131], v[130:131], v[120:121], v[134:135] op_sel:[0,0,1] op_sel_hi:[1,0,0]
	v_mov_b32_e32 v137, v131
	v_pk_mul_f32 v[130:131], v[132:133], v[122:123] op_sel:[0,1]
	s_delay_alu instid0(VALU_DEP_2) | instskip(NEXT) | instid1(VALU_DEP_2)
	v_pk_add_f32 v[48:49], v[48:49], v[136:137] neg_lo:[0,1] neg_hi:[0,1]
	v_pk_fma_f32 v[134:135], v[132:133], v[120:121], v[130:131] op_sel:[0,0,1] op_sel_hi:[1,1,0] neg_lo:[0,0,1] neg_hi:[0,0,1]
	v_pk_fma_f32 v[130:131], v[132:133], v[120:121], v[130:131] op_sel:[0,0,1] op_sel_hi:[1,0,0]
	s_delay_alu instid0(VALU_DEP_1) | instskip(SKIP_4) | instid1(VALU_DEP_1)
	v_mov_b32_e32 v135, v131
	ds_load_2addr_b64 v[130:133], v124 offset0:35 offset1:36
	v_pk_add_f32 v[50:51], v[50:51], v[134:135] neg_lo:[0,1] neg_hi:[0,1]
	s_wait_dscnt 0x0
	v_pk_mul_f32 v[134:135], v[130:131], v[122:123] op_sel:[0,1]
	v_pk_fma_f32 v[136:137], v[130:131], v[120:121], v[134:135] op_sel:[0,0,1] op_sel_hi:[1,1,0] neg_lo:[0,0,1] neg_hi:[0,0,1]
	v_pk_fma_f32 v[130:131], v[130:131], v[120:121], v[134:135] op_sel:[0,0,1] op_sel_hi:[1,0,0]
	v_dual_mul_f32 v134, v133, v123 :: v_dual_mov_b32 v130, v133
	s_delay_alu instid0(VALU_DEP_2) | instskip(NEXT) | instid1(VALU_DEP_2)
	v_dual_mov_b32 v137, v131 :: v_dual_mov_b32 v131, v132
	v_pk_fma_f32 v[134:135], v[132:133], v[74:75], v[134:135] op_sel_hi:[1,1,0] neg_lo:[0,0,1] neg_hi:[0,0,1]
	v_mul_f32_e32 v132, v133, v120
	s_delay_alu instid0(VALU_DEP_3) | instskip(NEXT) | instid1(VALU_DEP_2)
	v_pk_add_f32 v[46:47], v[46:47], v[136:137] neg_lo:[0,1] neg_hi:[0,1]
	v_pk_fma_f32 v[130:131], v[130:131], v[74:75], v[132:133] op_sel_hi:[1,1,0]
	s_delay_alu instid0(VALU_DEP_1) | instskip(SKIP_4) | instid1(VALU_DEP_1)
	v_mov_b32_e32 v135, v131
	ds_load_2addr_b64 v[130:133], v124 offset0:37 offset1:38
	v_pk_add_f32 v[44:45], v[44:45], v[134:135] neg_lo:[0,1] neg_hi:[0,1]
	s_wait_dscnt 0x0
	v_pk_mul_f32 v[134:135], v[130:131], v[122:123] op_sel:[0,1]
	v_pk_fma_f32 v[136:137], v[130:131], v[120:121], v[134:135] op_sel:[0,0,1] op_sel_hi:[1,1,0] neg_lo:[0,0,1] neg_hi:[0,0,1]
	v_pk_fma_f32 v[130:131], v[130:131], v[120:121], v[134:135] op_sel:[0,0,1] op_sel_hi:[1,0,0]
	s_delay_alu instid0(VALU_DEP_1) | instskip(SKIP_1) | instid1(VALU_DEP_1)
	v_mov_b32_e32 v137, v131
	v_pk_mul_f32 v[130:131], v[132:133], v[122:123] op_sel:[0,1]
	v_pk_fma_f32 v[134:135], v[132:133], v[120:121], v[130:131] op_sel:[0,0,1] op_sel_hi:[1,1,0] neg_lo:[0,0,1] neg_hi:[0,0,1]
	v_pk_fma_f32 v[130:131], v[132:133], v[120:121], v[130:131] op_sel:[0,0,1] op_sel_hi:[1,0,0]
	s_delay_alu instid0(VALU_DEP_1)
	v_mov_b32_e32 v135, v131
	ds_load_2addr_b64 v[130:133], v124 offset0:39 offset1:40
	v_pk_add_f32 v[40:41], v[40:41], v[136:137] neg_lo:[0,1] neg_hi:[0,1]
	v_pk_add_f32 v[42:43], v[42:43], v[134:135] neg_lo:[0,1] neg_hi:[0,1]
	s_wait_dscnt 0x0
	v_pk_mul_f32 v[134:135], v[130:131], v[122:123] op_sel:[0,1]
	s_delay_alu instid0(VALU_DEP_1) | instskip(SKIP_1) | instid1(VALU_DEP_1)
	v_pk_fma_f32 v[136:137], v[130:131], v[120:121], v[134:135] op_sel:[0,0,1] op_sel_hi:[1,1,0] neg_lo:[0,0,1] neg_hi:[0,0,1]
	v_pk_fma_f32 v[130:131], v[130:131], v[120:121], v[134:135] op_sel:[0,0,1] op_sel_hi:[1,0,0]
	v_mov_b32_e32 v137, v131
	v_pk_mul_f32 v[130:131], v[132:133], v[122:123] op_sel:[0,1]
	s_delay_alu instid0(VALU_DEP_1) | instskip(SKIP_1) | instid1(VALU_DEP_1)
	v_pk_fma_f32 v[134:135], v[132:133], v[120:121], v[130:131] op_sel:[0,0,1] op_sel_hi:[1,1,0] neg_lo:[0,0,1] neg_hi:[0,0,1]
	v_pk_fma_f32 v[130:131], v[132:133], v[120:121], v[130:131] op_sel:[0,0,1] op_sel_hi:[1,0,0]
	v_mov_b32_e32 v135, v131
	ds_load_2addr_b64 v[130:133], v124 offset0:41 offset1:42
	v_pk_add_f32 v[38:39], v[38:39], v[136:137] neg_lo:[0,1] neg_hi:[0,1]
	v_pk_add_f32 v[36:37], v[36:37], v[134:135] neg_lo:[0,1] neg_hi:[0,1]
	s_wait_dscnt 0x0
	v_dual_mul_f32 v134, v131, v123 :: v_dual_mul_f32 v136, v131, v120
	s_delay_alu instid0(VALU_DEP_1) | instskip(NEXT) | instid1(VALU_DEP_2)
	v_pk_fma_f32 v[134:135], v[130:131], v[74:75], v[134:135] op_sel_hi:[1,1,0] neg_lo:[0,0,1] neg_hi:[0,0,1]
	v_pk_fma_f32 v[130:131], v[130:131], v[74:75], v[136:137] op_sel:[1,0,0] op_sel_hi:[0,1,0]
	s_delay_alu instid0(VALU_DEP_1) | instskip(SKIP_1) | instid1(VALU_DEP_2)
	v_mov_b32_e32 v135, v131
	v_pk_mul_f32 v[130:131], v[132:133], v[122:123] op_sel:[0,1]
	v_pk_add_f32 v[32:33], v[32:33], v[134:135] neg_lo:[0,1] neg_hi:[0,1]
	s_delay_alu instid0(VALU_DEP_2) | instskip(SKIP_1) | instid1(VALU_DEP_1)
	v_pk_fma_f32 v[134:135], v[132:133], v[120:121], v[130:131] op_sel:[0,0,1] op_sel_hi:[1,1,0] neg_lo:[0,0,1] neg_hi:[0,0,1]
	v_pk_fma_f32 v[130:131], v[132:133], v[120:121], v[130:131] op_sel:[0,0,1] op_sel_hi:[1,0,0]
	v_mov_b32_e32 v135, v131
	ds_load_2addr_b64 v[130:133], v124 offset0:43 offset1:44
	v_pk_add_f32 v[34:35], v[34:35], v[134:135] neg_lo:[0,1] neg_hi:[0,1]
	s_wait_dscnt 0x0
	v_pk_mul_f32 v[134:135], v[130:131], v[122:123] op_sel:[0,1]
	s_delay_alu instid0(VALU_DEP_1) | instskip(SKIP_1) | instid1(VALU_DEP_1)
	v_pk_fma_f32 v[136:137], v[130:131], v[120:121], v[134:135] op_sel:[0,0,1] op_sel_hi:[1,1,0] neg_lo:[0,0,1] neg_hi:[0,0,1]
	v_pk_fma_f32 v[130:131], v[130:131], v[120:121], v[134:135] op_sel:[0,0,1] op_sel_hi:[1,0,0]
	v_mov_b32_e32 v137, v131
	v_pk_mul_f32 v[130:131], v[132:133], v[122:123] op_sel:[0,1]
	s_delay_alu instid0(VALU_DEP_2) | instskip(NEXT) | instid1(VALU_DEP_2)
	v_pk_add_f32 v[30:31], v[30:31], v[136:137] neg_lo:[0,1] neg_hi:[0,1]
	v_pk_fma_f32 v[134:135], v[132:133], v[120:121], v[130:131] op_sel:[0,0,1] op_sel_hi:[1,1,0] neg_lo:[0,0,1] neg_hi:[0,0,1]
	v_pk_fma_f32 v[130:131], v[132:133], v[120:121], v[130:131] op_sel:[0,0,1] op_sel_hi:[1,0,0]
	s_delay_alu instid0(VALU_DEP_1) | instskip(SKIP_4) | instid1(VALU_DEP_1)
	v_mov_b32_e32 v135, v131
	ds_load_2addr_b64 v[130:133], v124 offset0:45 offset1:46
	v_pk_add_f32 v[26:27], v[26:27], v[134:135] neg_lo:[0,1] neg_hi:[0,1]
	s_wait_dscnt 0x0
	v_pk_mul_f32 v[134:135], v[130:131], v[122:123] op_sel:[0,1]
	v_pk_fma_f32 v[136:137], v[130:131], v[120:121], v[134:135] op_sel:[0,0,1] op_sel_hi:[1,1,0] neg_lo:[0,0,1] neg_hi:[0,0,1]
	v_pk_fma_f32 v[130:131], v[130:131], v[120:121], v[134:135] op_sel:[0,0,1] op_sel_hi:[1,0,0]
	v_dual_mul_f32 v134, v133, v123 :: v_dual_mov_b32 v130, v133
	s_delay_alu instid0(VALU_DEP_2) | instskip(NEXT) | instid1(VALU_DEP_2)
	v_dual_mov_b32 v137, v131 :: v_dual_mov_b32 v131, v132
	v_pk_fma_f32 v[134:135], v[132:133], v[74:75], v[134:135] op_sel_hi:[1,1,0] neg_lo:[0,0,1] neg_hi:[0,0,1]
	v_mul_f32_e32 v132, v133, v120
	s_delay_alu instid0(VALU_DEP_3) | instskip(NEXT) | instid1(VALU_DEP_2)
	v_pk_add_f32 v[22:23], v[22:23], v[136:137] neg_lo:[0,1] neg_hi:[0,1]
	v_pk_fma_f32 v[130:131], v[130:131], v[74:75], v[132:133] op_sel_hi:[1,1,0]
	s_delay_alu instid0(VALU_DEP_1) | instskip(SKIP_4) | instid1(VALU_DEP_1)
	v_mov_b32_e32 v135, v131
	ds_load_2addr_b64 v[130:133], v124 offset0:47 offset1:48
	v_pk_add_f32 v[24:25], v[24:25], v[134:135] neg_lo:[0,1] neg_hi:[0,1]
	s_wait_dscnt 0x0
	v_pk_mul_f32 v[134:135], v[130:131], v[122:123] op_sel:[0,1]
	v_pk_fma_f32 v[136:137], v[130:131], v[120:121], v[134:135] op_sel:[0,0,1] op_sel_hi:[1,1,0] neg_lo:[0,0,1] neg_hi:[0,0,1]
	v_pk_fma_f32 v[130:131], v[130:131], v[120:121], v[134:135] op_sel:[0,0,1] op_sel_hi:[1,0,0]
	s_delay_alu instid0(VALU_DEP_1) | instskip(SKIP_1) | instid1(VALU_DEP_1)
	v_mov_b32_e32 v137, v131
	v_pk_mul_f32 v[130:131], v[132:133], v[122:123] op_sel:[0,1]
	v_pk_fma_f32 v[134:135], v[132:133], v[120:121], v[130:131] op_sel:[0,0,1] op_sel_hi:[1,1,0] neg_lo:[0,0,1] neg_hi:[0,0,1]
	v_pk_fma_f32 v[130:131], v[132:133], v[120:121], v[130:131] op_sel:[0,0,1] op_sel_hi:[1,0,0]
	s_delay_alu instid0(VALU_DEP_1)
	v_mov_b32_e32 v135, v131
	ds_load_2addr_b64 v[130:133], v124 offset0:49 offset1:50
	v_pk_add_f32 v[20:21], v[20:21], v[136:137] neg_lo:[0,1] neg_hi:[0,1]
	v_pk_add_f32 v[14:15], v[14:15], v[134:135] neg_lo:[0,1] neg_hi:[0,1]
	s_wait_dscnt 0x0
	v_pk_mul_f32 v[134:135], v[130:131], v[122:123] op_sel:[0,1]
	s_delay_alu instid0(VALU_DEP_1) | instskip(SKIP_1) | instid1(VALU_DEP_1)
	v_pk_fma_f32 v[136:137], v[130:131], v[120:121], v[134:135] op_sel:[0,0,1] op_sel_hi:[1,1,0] neg_lo:[0,0,1] neg_hi:[0,0,1]
	v_pk_fma_f32 v[130:131], v[130:131], v[120:121], v[134:135] op_sel:[0,0,1] op_sel_hi:[1,0,0]
	v_mov_b32_e32 v137, v131
	v_pk_mul_f32 v[130:131], v[132:133], v[122:123] op_sel:[0,1]
	s_delay_alu instid0(VALU_DEP_1) | instskip(SKIP_1) | instid1(VALU_DEP_1)
	v_pk_fma_f32 v[134:135], v[132:133], v[120:121], v[130:131] op_sel:[0,0,1] op_sel_hi:[1,1,0] neg_lo:[0,0,1] neg_hi:[0,0,1]
	v_pk_fma_f32 v[130:131], v[132:133], v[120:121], v[130:131] op_sel:[0,0,1] op_sel_hi:[1,0,0]
	v_mov_b32_e32 v135, v131
	ds_load_2addr_b64 v[130:133], v124 offset0:51 offset1:52
	v_pk_add_f32 v[10:11], v[10:11], v[136:137] neg_lo:[0,1] neg_hi:[0,1]
	v_pk_add_f32 v[12:13], v[12:13], v[134:135] neg_lo:[0,1] neg_hi:[0,1]
	s_wait_dscnt 0x0
	v_dual_mul_f32 v134, v131, v123 :: v_dual_mul_f32 v136, v131, v120
	s_delay_alu instid0(VALU_DEP_1) | instskip(NEXT) | instid1(VALU_DEP_2)
	v_pk_fma_f32 v[134:135], v[130:131], v[74:75], v[134:135] op_sel_hi:[1,1,0] neg_lo:[0,0,1] neg_hi:[0,0,1]
	v_pk_fma_f32 v[130:131], v[130:131], v[74:75], v[136:137] op_sel:[1,0,0] op_sel_hi:[0,1,0]
	s_delay_alu instid0(VALU_DEP_1) | instskip(SKIP_1) | instid1(VALU_DEP_2)
	v_mov_b32_e32 v135, v131
	v_pk_mul_f32 v[130:131], v[132:133], v[122:123] op_sel:[0,1]
	v_pk_add_f32 v[8:9], v[8:9], v[134:135] neg_lo:[0,1] neg_hi:[0,1]
	s_delay_alu instid0(VALU_DEP_2) | instskip(SKIP_1) | instid1(VALU_DEP_1)
	v_pk_fma_f32 v[134:135], v[132:133], v[120:121], v[130:131] op_sel:[0,0,1] op_sel_hi:[1,1,0] neg_lo:[0,0,1] neg_hi:[0,0,1]
	v_pk_fma_f32 v[130:131], v[132:133], v[120:121], v[130:131] op_sel:[0,0,1] op_sel_hi:[1,0,0]
	v_mov_b32_e32 v135, v131
	ds_load_2addr_b64 v[130:133], v124 offset0:53 offset1:54
	v_pk_add_f32 v[6:7], v[6:7], v[134:135] neg_lo:[0,1] neg_hi:[0,1]
	s_wait_dscnt 0x0
	v_pk_mul_f32 v[134:135], v[130:131], v[122:123] op_sel:[0,1]
	s_delay_alu instid0(VALU_DEP_1) | instskip(SKIP_1) | instid1(VALU_DEP_1)
	v_pk_fma_f32 v[136:137], v[130:131], v[120:121], v[134:135] op_sel:[0,0,1] op_sel_hi:[1,1,0] neg_lo:[0,0,1] neg_hi:[0,0,1]
	v_pk_fma_f32 v[130:131], v[130:131], v[120:121], v[134:135] op_sel:[0,0,1] op_sel_hi:[1,0,0]
	v_mov_b32_e32 v137, v131
	v_pk_mul_f32 v[130:131], v[132:133], v[122:123] op_sel:[0,1]
	s_delay_alu instid0(VALU_DEP_2) | instskip(NEXT) | instid1(VALU_DEP_2)
	v_pk_add_f32 v[28:29], v[28:29], v[136:137] neg_lo:[0,1] neg_hi:[0,1]
	v_pk_fma_f32 v[134:135], v[132:133], v[120:121], v[130:131] op_sel:[0,0,1] op_sel_hi:[1,1,0] neg_lo:[0,0,1] neg_hi:[0,0,1]
	v_pk_fma_f32 v[130:131], v[132:133], v[120:121], v[130:131] op_sel:[0,0,1] op_sel_hi:[1,0,0]
	s_delay_alu instid0(VALU_DEP_1)
	v_mov_b32_e32 v135, v131
	ds_load_2addr_b64 v[130:133], v124 offset0:55 offset1:56
	v_pk_add_f32 v[18:19], v[18:19], v[134:135] neg_lo:[0,1] neg_hi:[0,1]
	s_wait_dscnt 0x0
	v_pk_mul_f32 v[134:135], v[130:131], v[122:123] op_sel:[0,1]
	v_pk_mul_f32 v[122:123], v[132:133], v[122:123] op_sel:[0,1]
	s_delay_alu instid0(VALU_DEP_2) | instskip(SKIP_1) | instid1(VALU_DEP_1)
	v_pk_fma_f32 v[136:137], v[130:131], v[120:121], v[134:135] op_sel:[0,0,1] op_sel_hi:[1,1,0] neg_lo:[0,0,1] neg_hi:[0,0,1]
	v_pk_fma_f32 v[130:131], v[130:131], v[120:121], v[134:135] op_sel:[0,0,1] op_sel_hi:[1,0,0]
	v_mov_b32_e32 v137, v131
	s_delay_alu instid0(VALU_DEP_4) | instskip(SKIP_1) | instid1(VALU_DEP_3)
	v_pk_fma_f32 v[130:131], v[132:133], v[120:121], v[122:123] op_sel:[0,0,1] op_sel_hi:[1,1,0] neg_lo:[0,0,1] neg_hi:[0,0,1]
	v_pk_fma_f32 v[120:121], v[132:133], v[120:121], v[122:123] op_sel:[0,0,1] op_sel_hi:[1,0,0]
	v_pk_add_f32 v[16:17], v[16:17], v[136:137] neg_lo:[0,1] neg_hi:[0,1]
	s_delay_alu instid0(VALU_DEP_2) | instskip(NEXT) | instid1(VALU_DEP_1)
	v_mov_b32_e32 v131, v121
	v_pk_add_f32 v[118:119], v[118:119], v[130:131] neg_lo:[0,1] neg_hi:[0,1]
.LBB112_482:
	s_or_b32 exec_lo, exec_lo, s0
	v_lshl_add_u32 v120, v128, 3, v124
	s_barrier_signal -1
	s_barrier_wait -1
	ds_store_b64 v120, v[70:71]
	s_wait_dscnt 0x0
	s_barrier_signal -1
	s_barrier_wait -1
	ds_load_b64 v[122:123], v124 offset:184
	v_mov_b32_e32 v120, 23
	s_cmp_lt_i32 s18, 25
	s_cbranch_scc1 .LBB112_485
; %bb.483:
	v_add3_u32 v121, v125, 0, 0xc0
	v_mov_b32_e32 v120, 23
	s_mov_b32 s0, 24
.LBB112_484:                            ; =>This Inner Loop Header: Depth=1
	ds_load_b64 v[130:131], v121
	s_wait_dscnt 0x1
	v_cmp_gt_f32_e32 vcc_lo, 0, v122
	v_cndmask_b32_e64 v132, v122, -v122, vcc_lo
	v_cmp_gt_f32_e32 vcc_lo, 0, v123
	v_cndmask_b32_e64 v134, v123, -v123, vcc_lo
	s_wait_dscnt 0x0
	v_cmp_gt_f32_e32 vcc_lo, 0, v130
	v_cndmask_b32_e64 v133, v130, -v130, vcc_lo
	v_cmp_gt_f32_e32 vcc_lo, 0, v131
	v_cndmask_b32_e64 v135, v131, -v131, vcc_lo
	s_delay_alu instid0(VALU_DEP_1) | instskip(NEXT) | instid1(VALU_DEP_1)
	v_pk_add_f32 v[132:133], v[132:133], v[134:135]
	v_cmp_lt_f32_e32 vcc_lo, v132, v133
	v_dual_add_nc_u32 v121, 8, v121 :: v_dual_cndmask_b32 v123, v123, v131, vcc_lo
	v_cndmask_b32_e32 v122, v122, v130, vcc_lo
	v_cndmask_b32_e64 v120, v120, s0, vcc_lo
	s_add_co_i32 s0, s0, 1
	s_delay_alu instid0(SALU_CYCLE_1)
	s_cmp_lg_u32 s18, s0
	s_cbranch_scc1 .LBB112_484
.LBB112_485:
	s_wait_dscnt 0x0
	v_cmp_eq_f32_e32 vcc_lo, 0, v122
	v_cmp_eq_f32_e64 s0, 0, v123
	s_and_b32 s0, vcc_lo, s0
	s_delay_alu instid0(SALU_CYCLE_1) | instskip(NEXT) | instid1(SALU_CYCLE_1)
	s_and_saveexec_b32 s1, s0
	s_xor_b32 s0, exec_lo, s1
; %bb.486:
	v_cmp_ne_u32_e32 vcc_lo, 0, v126
	v_cndmask_b32_e32 v126, 24, v126, vcc_lo
; %bb.487:
	s_and_not1_saveexec_b32 s0, s0
	s_cbranch_execz .LBB112_493
; %bb.488:
	v_cmp_ngt_f32_e64 s1, |v122|, |v123|
	s_and_saveexec_b32 s12, s1
	s_delay_alu instid0(SALU_CYCLE_1)
	s_xor_b32 s1, exec_lo, s12
	s_cbranch_execz .LBB112_490
; %bb.489:
	v_div_scale_f32 v121, null, v123, v123, v122
	v_div_scale_f32 v131, vcc_lo, v122, v123, v122
	s_delay_alu instid0(VALU_DEP_2) | instskip(SKIP_1) | instid1(TRANS32_DEP_1)
	v_rcp_f32_e32 v129, v121
	v_nop
	v_fma_f32 v130, -v121, v129, 1.0
	s_delay_alu instid0(VALU_DEP_1) | instskip(NEXT) | instid1(VALU_DEP_1)
	v_fmac_f32_e32 v129, v130, v129
	v_mul_f32_e32 v130, v131, v129
	s_delay_alu instid0(VALU_DEP_1) | instskip(NEXT) | instid1(VALU_DEP_1)
	v_fma_f32 v132, -v121, v130, v131
	v_fmac_f32_e32 v130, v132, v129
	s_delay_alu instid0(VALU_DEP_1) | instskip(NEXT) | instid1(VALU_DEP_1)
	v_fma_f32 v121, -v121, v130, v131
	v_div_fmas_f32 v121, v121, v129, v130
	s_delay_alu instid0(VALU_DEP_1) | instskip(NEXT) | instid1(VALU_DEP_1)
	v_div_fixup_f32 v121, v121, v123, v122
	v_fmac_f32_e32 v123, v122, v121
	s_delay_alu instid0(VALU_DEP_1) | instskip(SKIP_1) | instid1(VALU_DEP_2)
	v_div_scale_f32 v122, null, v123, v123, 1.0
	v_div_scale_f32 v131, vcc_lo, 1.0, v123, 1.0
	v_rcp_f32_e32 v129, v122
	v_nop
	s_delay_alu instid0(TRANS32_DEP_1) | instskip(NEXT) | instid1(VALU_DEP_1)
	v_fma_f32 v130, -v122, v129, 1.0
	v_fmac_f32_e32 v129, v130, v129
	s_delay_alu instid0(VALU_DEP_1) | instskip(NEXT) | instid1(VALU_DEP_1)
	v_mul_f32_e32 v130, v131, v129
	v_fma_f32 v132, -v122, v130, v131
	s_delay_alu instid0(VALU_DEP_1) | instskip(NEXT) | instid1(VALU_DEP_1)
	v_fmac_f32_e32 v130, v132, v129
	v_fma_f32 v122, -v122, v130, v131
	s_delay_alu instid0(VALU_DEP_1) | instskip(NEXT) | instid1(VALU_DEP_1)
	v_div_fmas_f32 v122, v122, v129, v130
	v_div_fixup_f32 v123, v122, v123, 1.0
	s_delay_alu instid0(VALU_DEP_1)
	v_mul_f32_e32 v122, v121, v123
	v_xor_b32_e32 v123, 0x80000000, v123
.LBB112_490:
	s_and_not1_saveexec_b32 s1, s1
	s_cbranch_execz .LBB112_492
; %bb.491:
	s_delay_alu instid0(VALU_DEP_1) | instskip(SKIP_1) | instid1(VALU_DEP_2)
	v_div_scale_f32 v121, null, v122, v122, v123
	v_div_scale_f32 v131, vcc_lo, v123, v122, v123
	v_rcp_f32_e32 v129, v121
	v_nop
	s_delay_alu instid0(TRANS32_DEP_1) | instskip(NEXT) | instid1(VALU_DEP_1)
	v_fma_f32 v130, -v121, v129, 1.0
	v_fmac_f32_e32 v129, v130, v129
	s_delay_alu instid0(VALU_DEP_1) | instskip(NEXT) | instid1(VALU_DEP_1)
	v_mul_f32_e32 v130, v131, v129
	v_fma_f32 v132, -v121, v130, v131
	s_delay_alu instid0(VALU_DEP_1) | instskip(NEXT) | instid1(VALU_DEP_1)
	v_fmac_f32_e32 v130, v132, v129
	v_fma_f32 v121, -v121, v130, v131
	s_delay_alu instid0(VALU_DEP_1) | instskip(NEXT) | instid1(VALU_DEP_1)
	v_div_fmas_f32 v121, v121, v129, v130
	v_div_fixup_f32 v121, v121, v122, v123
	s_delay_alu instid0(VALU_DEP_1) | instskip(NEXT) | instid1(VALU_DEP_1)
	v_fmac_f32_e32 v122, v123, v121
	v_div_scale_f32 v123, null, v122, v122, 1.0
	s_delay_alu instid0(VALU_DEP_1) | instskip(SKIP_1) | instid1(TRANS32_DEP_1)
	v_rcp_f32_e32 v129, v123
	v_nop
	v_fma_f32 v130, -v123, v129, 1.0
	s_delay_alu instid0(VALU_DEP_1) | instskip(SKIP_1) | instid1(VALU_DEP_1)
	v_fmac_f32_e32 v129, v130, v129
	v_div_scale_f32 v130, vcc_lo, 1.0, v122, 1.0
	v_mul_f32_e32 v131, v130, v129
	s_delay_alu instid0(VALU_DEP_1) | instskip(NEXT) | instid1(VALU_DEP_1)
	v_fma_f32 v132, -v123, v131, v130
	v_fmac_f32_e32 v131, v132, v129
	s_delay_alu instid0(VALU_DEP_1) | instskip(NEXT) | instid1(VALU_DEP_1)
	v_fma_f32 v123, -v123, v131, v130
	v_div_fmas_f32 v123, v123, v129, v131
	s_delay_alu instid0(VALU_DEP_1) | instskip(NEXT) | instid1(VALU_DEP_1)
	v_div_fixup_f32 v122, v123, v122, 1.0
	v_mul_f32_e64 v123, v121, -v122
.LBB112_492:
	s_or_b32 exec_lo, exec_lo, s1
.LBB112_493:
	s_delay_alu instid0(SALU_CYCLE_1) | instskip(NEXT) | instid1(SALU_CYCLE_1)
	s_or_b32 exec_lo, exec_lo, s0
	s_mov_b32 s0, exec_lo
	v_cmpx_ne_u32_e64 v128, v120
	s_xor_b32 s0, exec_lo, s0
	s_cbranch_execz .LBB112_499
; %bb.494:
	s_mov_b32 s1, exec_lo
	v_cmpx_eq_u32_e32 23, v128
	s_cbranch_execz .LBB112_498
; %bb.495:
	v_cmp_ne_u32_e32 vcc_lo, 23, v120
	s_xor_b32 s12, s16, -1
	s_delay_alu instid0(SALU_CYCLE_1) | instskip(NEXT) | instid1(SALU_CYCLE_1)
	s_and_b32 s13, s12, vcc_lo
	s_and_saveexec_b32 s12, s13
	s_cbranch_execz .LBB112_497
; %bb.496:
	v_ashrrev_i32_e32 v121, 31, v120
	s_delay_alu instid0(VALU_DEP_1)
	v_lshl_add_u64 v[128:129], v[120:121], 2, v[4:5]
	s_clause 0x1
	global_load_b32 v121, v[128:129], off
	global_load_b32 v127, v[4:5], off offset:92
	s_wait_loadcnt 0x1
	global_store_b32 v[4:5], v121, off offset:92
	s_wait_loadcnt 0x0
	global_store_b32 v[128:129], v127, off
.LBB112_497:
	s_wait_xcnt 0x0
	s_or_b32 exec_lo, exec_lo, s12
	v_dual_mov_b32 v128, v120 :: v_dual_mov_b32 v127, v120
.LBB112_498:
	s_or_b32 exec_lo, exec_lo, s1
.LBB112_499:
	s_and_not1_saveexec_b32 s0, s0
	s_cbranch_execz .LBB112_501
; %bb.500:
	v_dual_mov_b32 v120, v68 :: v_dual_mov_b32 v121, v69
	v_dual_mov_b32 v128, v64 :: v_dual_mov_b32 v129, v65
	ds_store_2addr_b64 v124, v[120:121], v[128:129] offset0:24 offset1:25
	v_dual_mov_b32 v120, v66 :: v_dual_mov_b32 v121, v67
	v_dual_mov_b32 v128, v62 :: v_dual_mov_b32 v129, v63
	ds_store_2addr_b64 v124, v[120:121], v[128:129] offset0:26 offset1:27
	;; [unrolled: 3-line block ×16, first 2 shown]
	ds_store_b64 v124, v[118:119] offset:448
	v_mov_b32_e32 v128, 23
.LBB112_501:
	s_or_b32 exec_lo, exec_lo, s0
	s_delay_alu instid0(SALU_CYCLE_1)
	s_mov_b32 s0, exec_lo
	s_wait_storecnt_dscnt 0x0
	s_barrier_signal -1
	s_barrier_wait -1
	v_cmpx_lt_i32_e32 23, v128
	s_cbranch_execz .LBB112_503
; %bb.502:
	v_pk_mul_f32 v[130:131], v[122:123], v[70:71] op_sel:[1,1] op_sel_hi:[0,1]
	s_delay_alu instid0(VALU_DEP_1)
	v_pk_fma_f32 v[120:121], v[122:123], v[70:71], v[130:131] op_sel_hi:[1,0,1] neg_lo:[0,0,1] neg_hi:[0,0,1]
	v_pk_fma_f32 v[122:123], v[122:123], v[70:71], v[130:131] op_sel_hi:[1,0,1]
	ds_load_2addr_b64 v[130:133], v124 offset0:24 offset1:25
	v_dual_mov_b32 v70, v120 :: v_dual_mov_b32 v71, v123
	s_wait_dscnt 0x0
	v_pk_mul_f32 v[134:135], v[130:131], v[122:123] op_sel:[0,1]
	s_delay_alu instid0(VALU_DEP_1) | instskip(SKIP_1) | instid1(VALU_DEP_1)
	v_pk_fma_f32 v[136:137], v[130:131], v[120:121], v[134:135] op_sel:[0,0,1] op_sel_hi:[1,1,0] neg_lo:[0,0,1] neg_hi:[0,0,1]
	v_pk_fma_f32 v[130:131], v[130:131], v[120:121], v[134:135] op_sel:[0,0,1] op_sel_hi:[1,0,0]
	v_mov_b32_e32 v137, v131
	v_pk_mul_f32 v[130:131], v[132:133], v[122:123] op_sel:[0,1]
	s_delay_alu instid0(VALU_DEP_1) | instskip(SKIP_1) | instid1(VALU_DEP_1)
	v_pk_fma_f32 v[134:135], v[132:133], v[120:121], v[130:131] op_sel:[0,0,1] op_sel_hi:[1,1,0] neg_lo:[0,0,1] neg_hi:[0,0,1]
	v_pk_fma_f32 v[130:131], v[132:133], v[120:121], v[130:131] op_sel:[0,0,1] op_sel_hi:[1,0,0]
	v_mov_b32_e32 v135, v131
	ds_load_2addr_b64 v[130:133], v124 offset0:26 offset1:27
	v_pk_add_f32 v[68:69], v[68:69], v[136:137] neg_lo:[0,1] neg_hi:[0,1]
	v_pk_add_f32 v[64:65], v[64:65], v[134:135] neg_lo:[0,1] neg_hi:[0,1]
	s_wait_dscnt 0x0
	v_pk_mul_f32 v[134:135], v[130:131], v[122:123] op_sel:[0,1]
	s_delay_alu instid0(VALU_DEP_1) | instskip(SKIP_2) | instid1(VALU_DEP_2)
	v_pk_fma_f32 v[136:137], v[130:131], v[120:121], v[134:135] op_sel:[0,0,1] op_sel_hi:[1,1,0] neg_lo:[0,0,1] neg_hi:[0,0,1]
	v_pk_fma_f32 v[130:131], v[130:131], v[120:121], v[134:135] op_sel:[0,0,1] op_sel_hi:[1,0,0]
	v_dual_mul_f32 v134, v133, v123 :: v_dual_mov_b32 v130, v133
	v_dual_mov_b32 v137, v131 :: v_dual_mov_b32 v131, v132
	s_delay_alu instid0(VALU_DEP_2) | instskip(SKIP_1) | instid1(VALU_DEP_3)
	v_pk_fma_f32 v[134:135], v[132:133], v[70:71], v[134:135] op_sel_hi:[1,1,0] neg_lo:[0,0,1] neg_hi:[0,0,1]
	v_mul_f32_e32 v132, v133, v120
	v_pk_add_f32 v[66:67], v[66:67], v[136:137] neg_lo:[0,1] neg_hi:[0,1]
	s_delay_alu instid0(VALU_DEP_2) | instskip(NEXT) | instid1(VALU_DEP_1)
	v_pk_fma_f32 v[130:131], v[130:131], v[70:71], v[132:133] op_sel_hi:[1,1,0]
	v_mov_b32_e32 v135, v131
	ds_load_2addr_b64 v[130:133], v124 offset0:28 offset1:29
	v_pk_add_f32 v[62:63], v[62:63], v[134:135] neg_lo:[0,1] neg_hi:[0,1]
	s_wait_dscnt 0x0
	v_pk_mul_f32 v[134:135], v[130:131], v[122:123] op_sel:[0,1]
	s_delay_alu instid0(VALU_DEP_1) | instskip(SKIP_1) | instid1(VALU_DEP_1)
	v_pk_fma_f32 v[136:137], v[130:131], v[120:121], v[134:135] op_sel:[0,0,1] op_sel_hi:[1,1,0] neg_lo:[0,0,1] neg_hi:[0,0,1]
	v_pk_fma_f32 v[130:131], v[130:131], v[120:121], v[134:135] op_sel:[0,0,1] op_sel_hi:[1,0,0]
	v_mov_b32_e32 v137, v131
	v_pk_mul_f32 v[130:131], v[132:133], v[122:123] op_sel:[0,1]
	s_delay_alu instid0(VALU_DEP_1) | instskip(SKIP_1) | instid1(VALU_DEP_1)
	v_pk_fma_f32 v[134:135], v[132:133], v[120:121], v[130:131] op_sel:[0,0,1] op_sel_hi:[1,1,0] neg_lo:[0,0,1] neg_hi:[0,0,1]
	v_pk_fma_f32 v[130:131], v[132:133], v[120:121], v[130:131] op_sel:[0,0,1] op_sel_hi:[1,0,0]
	v_mov_b32_e32 v135, v131
	ds_load_2addr_b64 v[130:133], v124 offset0:30 offset1:31
	v_pk_add_f32 v[60:61], v[60:61], v[136:137] neg_lo:[0,1] neg_hi:[0,1]
	v_pk_add_f32 v[56:57], v[56:57], v[134:135] neg_lo:[0,1] neg_hi:[0,1]
	s_wait_dscnt 0x0
	v_pk_mul_f32 v[134:135], v[130:131], v[122:123] op_sel:[0,1]
	s_delay_alu instid0(VALU_DEP_1) | instskip(SKIP_1) | instid1(VALU_DEP_1)
	v_pk_fma_f32 v[136:137], v[130:131], v[120:121], v[134:135] op_sel:[0,0,1] op_sel_hi:[1,1,0] neg_lo:[0,0,1] neg_hi:[0,0,1]
	v_pk_fma_f32 v[130:131], v[130:131], v[120:121], v[134:135] op_sel:[0,0,1] op_sel_hi:[1,0,0]
	v_mov_b32_e32 v137, v131
	v_pk_mul_f32 v[130:131], v[132:133], v[122:123] op_sel:[0,1]
	s_delay_alu instid0(VALU_DEP_1) | instskip(SKIP_1) | instid1(VALU_DEP_1)
	v_pk_fma_f32 v[134:135], v[132:133], v[120:121], v[130:131] op_sel:[0,0,1] op_sel_hi:[1,1,0] neg_lo:[0,0,1] neg_hi:[0,0,1]
	v_pk_fma_f32 v[130:131], v[132:133], v[120:121], v[130:131] op_sel:[0,0,1] op_sel_hi:[1,0,0]
	v_mov_b32_e32 v135, v131
	ds_load_2addr_b64 v[130:133], v124 offset0:32 offset1:33
	v_pk_add_f32 v[58:59], v[58:59], v[136:137] neg_lo:[0,1] neg_hi:[0,1]
	v_pk_add_f32 v[54:55], v[54:55], v[134:135] neg_lo:[0,1] neg_hi:[0,1]
	s_wait_dscnt 0x0
	v_dual_mul_f32 v134, v131, v123 :: v_dual_mul_f32 v136, v131, v120
	s_delay_alu instid0(VALU_DEP_1) | instskip(NEXT) | instid1(VALU_DEP_2)
	v_pk_fma_f32 v[134:135], v[130:131], v[70:71], v[134:135] op_sel_hi:[1,1,0] neg_lo:[0,0,1] neg_hi:[0,0,1]
	v_pk_fma_f32 v[130:131], v[130:131], v[70:71], v[136:137] op_sel:[1,0,0] op_sel_hi:[0,1,0]
	s_delay_alu instid0(VALU_DEP_1) | instskip(SKIP_1) | instid1(VALU_DEP_2)
	v_mov_b32_e32 v135, v131
	v_pk_mul_f32 v[130:131], v[132:133], v[122:123] op_sel:[0,1]
	v_pk_add_f32 v[52:53], v[52:53], v[134:135] neg_lo:[0,1] neg_hi:[0,1]
	s_delay_alu instid0(VALU_DEP_2) | instskip(SKIP_1) | instid1(VALU_DEP_1)
	v_pk_fma_f32 v[134:135], v[132:133], v[120:121], v[130:131] op_sel:[0,0,1] op_sel_hi:[1,1,0] neg_lo:[0,0,1] neg_hi:[0,0,1]
	v_pk_fma_f32 v[130:131], v[132:133], v[120:121], v[130:131] op_sel:[0,0,1] op_sel_hi:[1,0,0]
	v_mov_b32_e32 v135, v131
	ds_load_2addr_b64 v[130:133], v124 offset0:34 offset1:35
	v_pk_add_f32 v[48:49], v[48:49], v[134:135] neg_lo:[0,1] neg_hi:[0,1]
	s_wait_dscnt 0x0
	v_pk_mul_f32 v[134:135], v[130:131], v[122:123] op_sel:[0,1]
	s_delay_alu instid0(VALU_DEP_1) | instskip(SKIP_1) | instid1(VALU_DEP_1)
	v_pk_fma_f32 v[136:137], v[130:131], v[120:121], v[134:135] op_sel:[0,0,1] op_sel_hi:[1,1,0] neg_lo:[0,0,1] neg_hi:[0,0,1]
	v_pk_fma_f32 v[130:131], v[130:131], v[120:121], v[134:135] op_sel:[0,0,1] op_sel_hi:[1,0,0]
	v_mov_b32_e32 v137, v131
	v_pk_mul_f32 v[130:131], v[132:133], v[122:123] op_sel:[0,1]
	s_delay_alu instid0(VALU_DEP_2) | instskip(NEXT) | instid1(VALU_DEP_2)
	v_pk_add_f32 v[50:51], v[50:51], v[136:137] neg_lo:[0,1] neg_hi:[0,1]
	v_pk_fma_f32 v[134:135], v[132:133], v[120:121], v[130:131] op_sel:[0,0,1] op_sel_hi:[1,1,0] neg_lo:[0,0,1] neg_hi:[0,0,1]
	v_pk_fma_f32 v[130:131], v[132:133], v[120:121], v[130:131] op_sel:[0,0,1] op_sel_hi:[1,0,0]
	s_delay_alu instid0(VALU_DEP_1) | instskip(SKIP_4) | instid1(VALU_DEP_1)
	v_mov_b32_e32 v135, v131
	ds_load_2addr_b64 v[130:133], v124 offset0:36 offset1:37
	v_pk_add_f32 v[46:47], v[46:47], v[134:135] neg_lo:[0,1] neg_hi:[0,1]
	s_wait_dscnt 0x0
	v_pk_mul_f32 v[134:135], v[130:131], v[122:123] op_sel:[0,1]
	v_pk_fma_f32 v[136:137], v[130:131], v[120:121], v[134:135] op_sel:[0,0,1] op_sel_hi:[1,1,0] neg_lo:[0,0,1] neg_hi:[0,0,1]
	v_pk_fma_f32 v[130:131], v[130:131], v[120:121], v[134:135] op_sel:[0,0,1] op_sel_hi:[1,0,0]
	v_dual_mul_f32 v134, v133, v123 :: v_dual_mov_b32 v130, v133
	s_delay_alu instid0(VALU_DEP_2) | instskip(NEXT) | instid1(VALU_DEP_2)
	v_dual_mov_b32 v137, v131 :: v_dual_mov_b32 v131, v132
	v_pk_fma_f32 v[134:135], v[132:133], v[70:71], v[134:135] op_sel_hi:[1,1,0] neg_lo:[0,0,1] neg_hi:[0,0,1]
	v_mul_f32_e32 v132, v133, v120
	s_delay_alu instid0(VALU_DEP_3) | instskip(NEXT) | instid1(VALU_DEP_2)
	v_pk_add_f32 v[44:45], v[44:45], v[136:137] neg_lo:[0,1] neg_hi:[0,1]
	v_pk_fma_f32 v[130:131], v[130:131], v[70:71], v[132:133] op_sel_hi:[1,1,0]
	s_delay_alu instid0(VALU_DEP_1) | instskip(SKIP_4) | instid1(VALU_DEP_1)
	v_mov_b32_e32 v135, v131
	ds_load_2addr_b64 v[130:133], v124 offset0:38 offset1:39
	v_pk_add_f32 v[40:41], v[40:41], v[134:135] neg_lo:[0,1] neg_hi:[0,1]
	s_wait_dscnt 0x0
	v_pk_mul_f32 v[134:135], v[130:131], v[122:123] op_sel:[0,1]
	v_pk_fma_f32 v[136:137], v[130:131], v[120:121], v[134:135] op_sel:[0,0,1] op_sel_hi:[1,1,0] neg_lo:[0,0,1] neg_hi:[0,0,1]
	v_pk_fma_f32 v[130:131], v[130:131], v[120:121], v[134:135] op_sel:[0,0,1] op_sel_hi:[1,0,0]
	s_delay_alu instid0(VALU_DEP_1) | instskip(SKIP_1) | instid1(VALU_DEP_1)
	v_mov_b32_e32 v137, v131
	v_pk_mul_f32 v[130:131], v[132:133], v[122:123] op_sel:[0,1]
	v_pk_fma_f32 v[134:135], v[132:133], v[120:121], v[130:131] op_sel:[0,0,1] op_sel_hi:[1,1,0] neg_lo:[0,0,1] neg_hi:[0,0,1]
	v_pk_fma_f32 v[130:131], v[132:133], v[120:121], v[130:131] op_sel:[0,0,1] op_sel_hi:[1,0,0]
	s_delay_alu instid0(VALU_DEP_1)
	v_mov_b32_e32 v135, v131
	ds_load_2addr_b64 v[130:133], v124 offset0:40 offset1:41
	v_pk_add_f32 v[42:43], v[42:43], v[136:137] neg_lo:[0,1] neg_hi:[0,1]
	v_pk_add_f32 v[38:39], v[38:39], v[134:135] neg_lo:[0,1] neg_hi:[0,1]
	s_wait_dscnt 0x0
	v_pk_mul_f32 v[134:135], v[130:131], v[122:123] op_sel:[0,1]
	s_delay_alu instid0(VALU_DEP_1) | instskip(SKIP_1) | instid1(VALU_DEP_1)
	v_pk_fma_f32 v[136:137], v[130:131], v[120:121], v[134:135] op_sel:[0,0,1] op_sel_hi:[1,1,0] neg_lo:[0,0,1] neg_hi:[0,0,1]
	v_pk_fma_f32 v[130:131], v[130:131], v[120:121], v[134:135] op_sel:[0,0,1] op_sel_hi:[1,0,0]
	v_mov_b32_e32 v137, v131
	v_pk_mul_f32 v[130:131], v[132:133], v[122:123] op_sel:[0,1]
	s_delay_alu instid0(VALU_DEP_1) | instskip(SKIP_1) | instid1(VALU_DEP_1)
	v_pk_fma_f32 v[134:135], v[132:133], v[120:121], v[130:131] op_sel:[0,0,1] op_sel_hi:[1,1,0] neg_lo:[0,0,1] neg_hi:[0,0,1]
	v_pk_fma_f32 v[130:131], v[132:133], v[120:121], v[130:131] op_sel:[0,0,1] op_sel_hi:[1,0,0]
	v_mov_b32_e32 v135, v131
	ds_load_2addr_b64 v[130:133], v124 offset0:42 offset1:43
	v_pk_add_f32 v[36:37], v[36:37], v[136:137] neg_lo:[0,1] neg_hi:[0,1]
	v_pk_add_f32 v[32:33], v[32:33], v[134:135] neg_lo:[0,1] neg_hi:[0,1]
	s_wait_dscnt 0x0
	v_dual_mul_f32 v134, v131, v123 :: v_dual_mul_f32 v136, v131, v120
	s_delay_alu instid0(VALU_DEP_1) | instskip(NEXT) | instid1(VALU_DEP_2)
	v_pk_fma_f32 v[134:135], v[130:131], v[70:71], v[134:135] op_sel_hi:[1,1,0] neg_lo:[0,0,1] neg_hi:[0,0,1]
	v_pk_fma_f32 v[130:131], v[130:131], v[70:71], v[136:137] op_sel:[1,0,0] op_sel_hi:[0,1,0]
	s_delay_alu instid0(VALU_DEP_1) | instskip(SKIP_1) | instid1(VALU_DEP_2)
	v_mov_b32_e32 v135, v131
	v_pk_mul_f32 v[130:131], v[132:133], v[122:123] op_sel:[0,1]
	v_pk_add_f32 v[34:35], v[34:35], v[134:135] neg_lo:[0,1] neg_hi:[0,1]
	s_delay_alu instid0(VALU_DEP_2) | instskip(SKIP_1) | instid1(VALU_DEP_1)
	v_pk_fma_f32 v[134:135], v[132:133], v[120:121], v[130:131] op_sel:[0,0,1] op_sel_hi:[1,1,0] neg_lo:[0,0,1] neg_hi:[0,0,1]
	v_pk_fma_f32 v[130:131], v[132:133], v[120:121], v[130:131] op_sel:[0,0,1] op_sel_hi:[1,0,0]
	v_mov_b32_e32 v135, v131
	ds_load_2addr_b64 v[130:133], v124 offset0:44 offset1:45
	v_pk_add_f32 v[30:31], v[30:31], v[134:135] neg_lo:[0,1] neg_hi:[0,1]
	s_wait_dscnt 0x0
	v_pk_mul_f32 v[134:135], v[130:131], v[122:123] op_sel:[0,1]
	s_delay_alu instid0(VALU_DEP_1) | instskip(SKIP_1) | instid1(VALU_DEP_1)
	v_pk_fma_f32 v[136:137], v[130:131], v[120:121], v[134:135] op_sel:[0,0,1] op_sel_hi:[1,1,0] neg_lo:[0,0,1] neg_hi:[0,0,1]
	v_pk_fma_f32 v[130:131], v[130:131], v[120:121], v[134:135] op_sel:[0,0,1] op_sel_hi:[1,0,0]
	v_mov_b32_e32 v137, v131
	v_pk_mul_f32 v[130:131], v[132:133], v[122:123] op_sel:[0,1]
	s_delay_alu instid0(VALU_DEP_2) | instskip(NEXT) | instid1(VALU_DEP_2)
	v_pk_add_f32 v[26:27], v[26:27], v[136:137] neg_lo:[0,1] neg_hi:[0,1]
	v_pk_fma_f32 v[134:135], v[132:133], v[120:121], v[130:131] op_sel:[0,0,1] op_sel_hi:[1,1,0] neg_lo:[0,0,1] neg_hi:[0,0,1]
	v_pk_fma_f32 v[130:131], v[132:133], v[120:121], v[130:131] op_sel:[0,0,1] op_sel_hi:[1,0,0]
	s_delay_alu instid0(VALU_DEP_1) | instskip(SKIP_4) | instid1(VALU_DEP_1)
	v_mov_b32_e32 v135, v131
	ds_load_2addr_b64 v[130:133], v124 offset0:46 offset1:47
	v_pk_add_f32 v[22:23], v[22:23], v[134:135] neg_lo:[0,1] neg_hi:[0,1]
	s_wait_dscnt 0x0
	v_pk_mul_f32 v[134:135], v[130:131], v[122:123] op_sel:[0,1]
	v_pk_fma_f32 v[136:137], v[130:131], v[120:121], v[134:135] op_sel:[0,0,1] op_sel_hi:[1,1,0] neg_lo:[0,0,1] neg_hi:[0,0,1]
	v_pk_fma_f32 v[130:131], v[130:131], v[120:121], v[134:135] op_sel:[0,0,1] op_sel_hi:[1,0,0]
	v_dual_mul_f32 v134, v133, v123 :: v_dual_mov_b32 v130, v133
	s_delay_alu instid0(VALU_DEP_2) | instskip(NEXT) | instid1(VALU_DEP_2)
	v_dual_mov_b32 v137, v131 :: v_dual_mov_b32 v131, v132
	v_pk_fma_f32 v[134:135], v[132:133], v[70:71], v[134:135] op_sel_hi:[1,1,0] neg_lo:[0,0,1] neg_hi:[0,0,1]
	v_mul_f32_e32 v132, v133, v120
	s_delay_alu instid0(VALU_DEP_3) | instskip(NEXT) | instid1(VALU_DEP_2)
	v_pk_add_f32 v[24:25], v[24:25], v[136:137] neg_lo:[0,1] neg_hi:[0,1]
	v_pk_fma_f32 v[130:131], v[130:131], v[70:71], v[132:133] op_sel_hi:[1,1,0]
	s_delay_alu instid0(VALU_DEP_1) | instskip(SKIP_4) | instid1(VALU_DEP_1)
	v_mov_b32_e32 v135, v131
	ds_load_2addr_b64 v[130:133], v124 offset0:48 offset1:49
	v_pk_add_f32 v[20:21], v[20:21], v[134:135] neg_lo:[0,1] neg_hi:[0,1]
	s_wait_dscnt 0x0
	v_pk_mul_f32 v[134:135], v[130:131], v[122:123] op_sel:[0,1]
	v_pk_fma_f32 v[136:137], v[130:131], v[120:121], v[134:135] op_sel:[0,0,1] op_sel_hi:[1,1,0] neg_lo:[0,0,1] neg_hi:[0,0,1]
	v_pk_fma_f32 v[130:131], v[130:131], v[120:121], v[134:135] op_sel:[0,0,1] op_sel_hi:[1,0,0]
	s_delay_alu instid0(VALU_DEP_1) | instskip(SKIP_1) | instid1(VALU_DEP_1)
	v_mov_b32_e32 v137, v131
	v_pk_mul_f32 v[130:131], v[132:133], v[122:123] op_sel:[0,1]
	v_pk_fma_f32 v[134:135], v[132:133], v[120:121], v[130:131] op_sel:[0,0,1] op_sel_hi:[1,1,0] neg_lo:[0,0,1] neg_hi:[0,0,1]
	v_pk_fma_f32 v[130:131], v[132:133], v[120:121], v[130:131] op_sel:[0,0,1] op_sel_hi:[1,0,0]
	s_delay_alu instid0(VALU_DEP_1)
	v_mov_b32_e32 v135, v131
	ds_load_2addr_b64 v[130:133], v124 offset0:50 offset1:51
	v_pk_add_f32 v[14:15], v[14:15], v[136:137] neg_lo:[0,1] neg_hi:[0,1]
	v_pk_add_f32 v[10:11], v[10:11], v[134:135] neg_lo:[0,1] neg_hi:[0,1]
	s_wait_dscnt 0x0
	v_pk_mul_f32 v[134:135], v[130:131], v[122:123] op_sel:[0,1]
	s_delay_alu instid0(VALU_DEP_1) | instskip(SKIP_1) | instid1(VALU_DEP_1)
	v_pk_fma_f32 v[136:137], v[130:131], v[120:121], v[134:135] op_sel:[0,0,1] op_sel_hi:[1,1,0] neg_lo:[0,0,1] neg_hi:[0,0,1]
	v_pk_fma_f32 v[130:131], v[130:131], v[120:121], v[134:135] op_sel:[0,0,1] op_sel_hi:[1,0,0]
	v_mov_b32_e32 v137, v131
	v_pk_mul_f32 v[130:131], v[132:133], v[122:123] op_sel:[0,1]
	s_delay_alu instid0(VALU_DEP_1) | instskip(SKIP_1) | instid1(VALU_DEP_1)
	v_pk_fma_f32 v[134:135], v[132:133], v[120:121], v[130:131] op_sel:[0,0,1] op_sel_hi:[1,1,0] neg_lo:[0,0,1] neg_hi:[0,0,1]
	v_pk_fma_f32 v[130:131], v[132:133], v[120:121], v[130:131] op_sel:[0,0,1] op_sel_hi:[1,0,0]
	v_mov_b32_e32 v135, v131
	ds_load_2addr_b64 v[130:133], v124 offset0:52 offset1:53
	v_pk_add_f32 v[12:13], v[12:13], v[136:137] neg_lo:[0,1] neg_hi:[0,1]
	v_pk_add_f32 v[8:9], v[8:9], v[134:135] neg_lo:[0,1] neg_hi:[0,1]
	s_wait_dscnt 0x0
	v_dual_mul_f32 v134, v131, v123 :: v_dual_mul_f32 v136, v131, v120
	s_delay_alu instid0(VALU_DEP_1) | instskip(NEXT) | instid1(VALU_DEP_2)
	v_pk_fma_f32 v[134:135], v[130:131], v[70:71], v[134:135] op_sel_hi:[1,1,0] neg_lo:[0,0,1] neg_hi:[0,0,1]
	v_pk_fma_f32 v[130:131], v[130:131], v[70:71], v[136:137] op_sel:[1,0,0] op_sel_hi:[0,1,0]
	s_delay_alu instid0(VALU_DEP_1) | instskip(SKIP_1) | instid1(VALU_DEP_2)
	v_mov_b32_e32 v135, v131
	v_pk_mul_f32 v[130:131], v[132:133], v[122:123] op_sel:[0,1]
	v_pk_add_f32 v[6:7], v[6:7], v[134:135] neg_lo:[0,1] neg_hi:[0,1]
	s_delay_alu instid0(VALU_DEP_2) | instskip(SKIP_1) | instid1(VALU_DEP_1)
	v_pk_fma_f32 v[134:135], v[132:133], v[120:121], v[130:131] op_sel:[0,0,1] op_sel_hi:[1,1,0] neg_lo:[0,0,1] neg_hi:[0,0,1]
	v_pk_fma_f32 v[130:131], v[132:133], v[120:121], v[130:131] op_sel:[0,0,1] op_sel_hi:[1,0,0]
	v_mov_b32_e32 v135, v131
	ds_load_2addr_b64 v[130:133], v124 offset0:54 offset1:55
	v_pk_add_f32 v[28:29], v[28:29], v[134:135] neg_lo:[0,1] neg_hi:[0,1]
	s_wait_dscnt 0x0
	v_pk_mul_f32 v[134:135], v[130:131], v[122:123] op_sel:[0,1]
	s_delay_alu instid0(VALU_DEP_1) | instskip(SKIP_1) | instid1(VALU_DEP_1)
	v_pk_fma_f32 v[136:137], v[130:131], v[120:121], v[134:135] op_sel:[0,0,1] op_sel_hi:[1,1,0] neg_lo:[0,0,1] neg_hi:[0,0,1]
	v_pk_fma_f32 v[130:131], v[130:131], v[120:121], v[134:135] op_sel:[0,0,1] op_sel_hi:[1,0,0]
	v_mov_b32_e32 v137, v131
	v_pk_mul_f32 v[130:131], v[132:133], v[122:123] op_sel:[0,1]
	s_delay_alu instid0(VALU_DEP_2) | instskip(NEXT) | instid1(VALU_DEP_2)
	v_pk_add_f32 v[18:19], v[18:19], v[136:137] neg_lo:[0,1] neg_hi:[0,1]
	v_pk_fma_f32 v[134:135], v[132:133], v[120:121], v[130:131] op_sel:[0,0,1] op_sel_hi:[1,1,0] neg_lo:[0,0,1] neg_hi:[0,0,1]
	v_pk_fma_f32 v[130:131], v[132:133], v[120:121], v[130:131] op_sel:[0,0,1] op_sel_hi:[1,0,0]
	s_delay_alu instid0(VALU_DEP_1) | instskip(SKIP_4) | instid1(VALU_DEP_1)
	v_mov_b32_e32 v135, v131
	ds_load_b64 v[130:131], v124 offset:448
	v_pk_add_f32 v[16:17], v[16:17], v[134:135] neg_lo:[0,1] neg_hi:[0,1]
	s_wait_dscnt 0x0
	v_pk_mul_f32 v[122:123], v[130:131], v[122:123] op_sel:[0,1]
	v_pk_fma_f32 v[132:133], v[130:131], v[120:121], v[122:123] op_sel:[0,0,1] op_sel_hi:[1,1,0] neg_lo:[0,0,1] neg_hi:[0,0,1]
	v_pk_fma_f32 v[120:121], v[130:131], v[120:121], v[122:123] op_sel:[0,0,1] op_sel_hi:[1,0,0]
	s_delay_alu instid0(VALU_DEP_1) | instskip(NEXT) | instid1(VALU_DEP_1)
	v_mov_b32_e32 v133, v121
	v_pk_add_f32 v[118:119], v[118:119], v[132:133] neg_lo:[0,1] neg_hi:[0,1]
.LBB112_503:
	s_or_b32 exec_lo, exec_lo, s0
	v_lshl_add_u32 v120, v128, 3, v124
	s_barrier_signal -1
	s_barrier_wait -1
	ds_store_b64 v120, v[68:69]
	s_wait_dscnt 0x0
	s_barrier_signal -1
	s_barrier_wait -1
	ds_load_b64 v[122:123], v124 offset:192
	v_mov_b32_e32 v120, 24
	s_cmp_lt_i32 s18, 26
	s_cbranch_scc1 .LBB112_506
; %bb.504:
	v_add3_u32 v121, v125, 0, 0xc8
	v_mov_b32_e32 v120, 24
	s_mov_b32 s0, 25
.LBB112_505:                            ; =>This Inner Loop Header: Depth=1
	ds_load_b64 v[130:131], v121
	s_wait_dscnt 0x1
	v_cmp_gt_f32_e32 vcc_lo, 0, v122
	v_cndmask_b32_e64 v132, v122, -v122, vcc_lo
	v_cmp_gt_f32_e32 vcc_lo, 0, v123
	v_cndmask_b32_e64 v134, v123, -v123, vcc_lo
	s_wait_dscnt 0x0
	v_cmp_gt_f32_e32 vcc_lo, 0, v130
	v_cndmask_b32_e64 v133, v130, -v130, vcc_lo
	v_cmp_gt_f32_e32 vcc_lo, 0, v131
	v_cndmask_b32_e64 v135, v131, -v131, vcc_lo
	s_delay_alu instid0(VALU_DEP_1) | instskip(NEXT) | instid1(VALU_DEP_1)
	v_pk_add_f32 v[132:133], v[132:133], v[134:135]
	v_cmp_lt_f32_e32 vcc_lo, v132, v133
	v_dual_add_nc_u32 v121, 8, v121 :: v_dual_cndmask_b32 v123, v123, v131, vcc_lo
	v_cndmask_b32_e32 v122, v122, v130, vcc_lo
	v_cndmask_b32_e64 v120, v120, s0, vcc_lo
	s_add_co_i32 s0, s0, 1
	s_delay_alu instid0(SALU_CYCLE_1)
	s_cmp_lg_u32 s18, s0
	s_cbranch_scc1 .LBB112_505
.LBB112_506:
	s_wait_dscnt 0x0
	v_cmp_eq_f32_e32 vcc_lo, 0, v122
	v_cmp_eq_f32_e64 s0, 0, v123
	s_and_b32 s0, vcc_lo, s0
	s_delay_alu instid0(SALU_CYCLE_1) | instskip(NEXT) | instid1(SALU_CYCLE_1)
	s_and_saveexec_b32 s1, s0
	s_xor_b32 s0, exec_lo, s1
; %bb.507:
	v_cmp_ne_u32_e32 vcc_lo, 0, v126
	v_cndmask_b32_e32 v126, 25, v126, vcc_lo
; %bb.508:
	s_and_not1_saveexec_b32 s0, s0
	s_cbranch_execz .LBB112_514
; %bb.509:
	v_cmp_ngt_f32_e64 s1, |v122|, |v123|
	s_and_saveexec_b32 s12, s1
	s_delay_alu instid0(SALU_CYCLE_1)
	s_xor_b32 s1, exec_lo, s12
	s_cbranch_execz .LBB112_511
; %bb.510:
	v_div_scale_f32 v121, null, v123, v123, v122
	v_div_scale_f32 v131, vcc_lo, v122, v123, v122
	s_delay_alu instid0(VALU_DEP_2) | instskip(SKIP_1) | instid1(TRANS32_DEP_1)
	v_rcp_f32_e32 v129, v121
	v_nop
	v_fma_f32 v130, -v121, v129, 1.0
	s_delay_alu instid0(VALU_DEP_1) | instskip(NEXT) | instid1(VALU_DEP_1)
	v_fmac_f32_e32 v129, v130, v129
	v_mul_f32_e32 v130, v131, v129
	s_delay_alu instid0(VALU_DEP_1) | instskip(NEXT) | instid1(VALU_DEP_1)
	v_fma_f32 v132, -v121, v130, v131
	v_fmac_f32_e32 v130, v132, v129
	s_delay_alu instid0(VALU_DEP_1) | instskip(NEXT) | instid1(VALU_DEP_1)
	v_fma_f32 v121, -v121, v130, v131
	v_div_fmas_f32 v121, v121, v129, v130
	s_delay_alu instid0(VALU_DEP_1) | instskip(NEXT) | instid1(VALU_DEP_1)
	v_div_fixup_f32 v121, v121, v123, v122
	v_fmac_f32_e32 v123, v122, v121
	s_delay_alu instid0(VALU_DEP_1) | instskip(SKIP_1) | instid1(VALU_DEP_2)
	v_div_scale_f32 v122, null, v123, v123, 1.0
	v_div_scale_f32 v131, vcc_lo, 1.0, v123, 1.0
	v_rcp_f32_e32 v129, v122
	v_nop
	s_delay_alu instid0(TRANS32_DEP_1) | instskip(NEXT) | instid1(VALU_DEP_1)
	v_fma_f32 v130, -v122, v129, 1.0
	v_fmac_f32_e32 v129, v130, v129
	s_delay_alu instid0(VALU_DEP_1) | instskip(NEXT) | instid1(VALU_DEP_1)
	v_mul_f32_e32 v130, v131, v129
	v_fma_f32 v132, -v122, v130, v131
	s_delay_alu instid0(VALU_DEP_1) | instskip(NEXT) | instid1(VALU_DEP_1)
	v_fmac_f32_e32 v130, v132, v129
	v_fma_f32 v122, -v122, v130, v131
	s_delay_alu instid0(VALU_DEP_1) | instskip(NEXT) | instid1(VALU_DEP_1)
	v_div_fmas_f32 v122, v122, v129, v130
	v_div_fixup_f32 v123, v122, v123, 1.0
	s_delay_alu instid0(VALU_DEP_1)
	v_mul_f32_e32 v122, v121, v123
	v_xor_b32_e32 v123, 0x80000000, v123
.LBB112_511:
	s_and_not1_saveexec_b32 s1, s1
	s_cbranch_execz .LBB112_513
; %bb.512:
	s_delay_alu instid0(VALU_DEP_1) | instskip(SKIP_1) | instid1(VALU_DEP_2)
	v_div_scale_f32 v121, null, v122, v122, v123
	v_div_scale_f32 v131, vcc_lo, v123, v122, v123
	v_rcp_f32_e32 v129, v121
	v_nop
	s_delay_alu instid0(TRANS32_DEP_1) | instskip(NEXT) | instid1(VALU_DEP_1)
	v_fma_f32 v130, -v121, v129, 1.0
	v_fmac_f32_e32 v129, v130, v129
	s_delay_alu instid0(VALU_DEP_1) | instskip(NEXT) | instid1(VALU_DEP_1)
	v_mul_f32_e32 v130, v131, v129
	v_fma_f32 v132, -v121, v130, v131
	s_delay_alu instid0(VALU_DEP_1) | instskip(NEXT) | instid1(VALU_DEP_1)
	v_fmac_f32_e32 v130, v132, v129
	v_fma_f32 v121, -v121, v130, v131
	s_delay_alu instid0(VALU_DEP_1) | instskip(NEXT) | instid1(VALU_DEP_1)
	v_div_fmas_f32 v121, v121, v129, v130
	v_div_fixup_f32 v121, v121, v122, v123
	s_delay_alu instid0(VALU_DEP_1) | instskip(NEXT) | instid1(VALU_DEP_1)
	v_fmac_f32_e32 v122, v123, v121
	v_div_scale_f32 v123, null, v122, v122, 1.0
	s_delay_alu instid0(VALU_DEP_1) | instskip(SKIP_1) | instid1(TRANS32_DEP_1)
	v_rcp_f32_e32 v129, v123
	v_nop
	v_fma_f32 v130, -v123, v129, 1.0
	s_delay_alu instid0(VALU_DEP_1) | instskip(SKIP_1) | instid1(VALU_DEP_1)
	v_fmac_f32_e32 v129, v130, v129
	v_div_scale_f32 v130, vcc_lo, 1.0, v122, 1.0
	v_mul_f32_e32 v131, v130, v129
	s_delay_alu instid0(VALU_DEP_1) | instskip(NEXT) | instid1(VALU_DEP_1)
	v_fma_f32 v132, -v123, v131, v130
	v_fmac_f32_e32 v131, v132, v129
	s_delay_alu instid0(VALU_DEP_1) | instskip(NEXT) | instid1(VALU_DEP_1)
	v_fma_f32 v123, -v123, v131, v130
	v_div_fmas_f32 v123, v123, v129, v131
	s_delay_alu instid0(VALU_DEP_1) | instskip(NEXT) | instid1(VALU_DEP_1)
	v_div_fixup_f32 v122, v123, v122, 1.0
	v_mul_f32_e64 v123, v121, -v122
.LBB112_513:
	s_or_b32 exec_lo, exec_lo, s1
.LBB112_514:
	s_delay_alu instid0(SALU_CYCLE_1) | instskip(NEXT) | instid1(SALU_CYCLE_1)
	s_or_b32 exec_lo, exec_lo, s0
	s_mov_b32 s0, exec_lo
	v_cmpx_ne_u32_e64 v128, v120
	s_xor_b32 s0, exec_lo, s0
	s_cbranch_execz .LBB112_520
; %bb.515:
	s_mov_b32 s1, exec_lo
	v_cmpx_eq_u32_e32 24, v128
	s_cbranch_execz .LBB112_519
; %bb.516:
	v_cmp_ne_u32_e32 vcc_lo, 24, v120
	s_xor_b32 s12, s16, -1
	s_delay_alu instid0(SALU_CYCLE_1) | instskip(NEXT) | instid1(SALU_CYCLE_1)
	s_and_b32 s13, s12, vcc_lo
	s_and_saveexec_b32 s12, s13
	s_cbranch_execz .LBB112_518
; %bb.517:
	v_ashrrev_i32_e32 v121, 31, v120
	s_delay_alu instid0(VALU_DEP_1)
	v_lshl_add_u64 v[128:129], v[120:121], 2, v[4:5]
	s_clause 0x1
	global_load_b32 v121, v[128:129], off
	global_load_b32 v127, v[4:5], off offset:96
	s_wait_loadcnt 0x1
	global_store_b32 v[4:5], v121, off offset:96
	s_wait_loadcnt 0x0
	global_store_b32 v[128:129], v127, off
.LBB112_518:
	s_wait_xcnt 0x0
	s_or_b32 exec_lo, exec_lo, s12
	v_dual_mov_b32 v128, v120 :: v_dual_mov_b32 v127, v120
.LBB112_519:
	s_or_b32 exec_lo, exec_lo, s1
.LBB112_520:
	s_and_not1_saveexec_b32 s0, s0
	s_cbranch_execz .LBB112_522
; %bb.521:
	v_mov_b32_e32 v128, 24
	ds_store_2addr_b64 v124, v[64:65], v[66:67] offset0:25 offset1:26
	ds_store_2addr_b64 v124, v[62:63], v[60:61] offset0:27 offset1:28
	;; [unrolled: 1-line block ×16, first 2 shown]
.LBB112_522:
	s_or_b32 exec_lo, exec_lo, s0
	s_delay_alu instid0(SALU_CYCLE_1)
	s_mov_b32 s0, exec_lo
	s_wait_storecnt_dscnt 0x0
	s_barrier_signal -1
	s_barrier_wait -1
	v_cmpx_lt_i32_e32 24, v128
	s_cbranch_execz .LBB112_524
; %bb.523:
	v_pk_mul_f32 v[130:131], v[122:123], v[68:69] op_sel:[1,1] op_sel_hi:[0,1]
	s_delay_alu instid0(VALU_DEP_1)
	v_pk_fma_f32 v[120:121], v[122:123], v[68:69], v[130:131] op_sel_hi:[1,0,1] neg_lo:[0,0,1] neg_hi:[0,0,1]
	v_pk_fma_f32 v[122:123], v[122:123], v[68:69], v[130:131] op_sel_hi:[1,0,1]
	ds_load_2addr_b64 v[130:133], v124 offset0:25 offset1:26
	v_dual_mov_b32 v68, v120 :: v_dual_mov_b32 v69, v123
	s_wait_dscnt 0x0
	v_pk_mul_f32 v[134:135], v[130:131], v[122:123] op_sel:[0,1]
	s_delay_alu instid0(VALU_DEP_1) | instskip(SKIP_1) | instid1(VALU_DEP_1)
	v_pk_fma_f32 v[136:137], v[130:131], v[120:121], v[134:135] op_sel:[0,0,1] op_sel_hi:[1,1,0] neg_lo:[0,0,1] neg_hi:[0,0,1]
	v_pk_fma_f32 v[130:131], v[130:131], v[120:121], v[134:135] op_sel:[0,0,1] op_sel_hi:[1,0,0]
	v_mov_b32_e32 v137, v131
	v_pk_mul_f32 v[130:131], v[132:133], v[122:123] op_sel:[0,1]
	s_delay_alu instid0(VALU_DEP_1) | instskip(SKIP_1) | instid1(VALU_DEP_1)
	v_pk_fma_f32 v[134:135], v[132:133], v[120:121], v[130:131] op_sel:[0,0,1] op_sel_hi:[1,1,0] neg_lo:[0,0,1] neg_hi:[0,0,1]
	v_pk_fma_f32 v[130:131], v[132:133], v[120:121], v[130:131] op_sel:[0,0,1] op_sel_hi:[1,0,0]
	v_mov_b32_e32 v135, v131
	ds_load_2addr_b64 v[130:133], v124 offset0:27 offset1:28
	v_pk_add_f32 v[64:65], v[64:65], v[136:137] neg_lo:[0,1] neg_hi:[0,1]
	v_pk_add_f32 v[66:67], v[66:67], v[134:135] neg_lo:[0,1] neg_hi:[0,1]
	s_wait_dscnt 0x0
	v_pk_mul_f32 v[134:135], v[130:131], v[122:123] op_sel:[0,1]
	s_delay_alu instid0(VALU_DEP_1) | instskip(SKIP_2) | instid1(VALU_DEP_2)
	v_pk_fma_f32 v[136:137], v[130:131], v[120:121], v[134:135] op_sel:[0,0,1] op_sel_hi:[1,1,0] neg_lo:[0,0,1] neg_hi:[0,0,1]
	v_pk_fma_f32 v[130:131], v[130:131], v[120:121], v[134:135] op_sel:[0,0,1] op_sel_hi:[1,0,0]
	v_dual_mul_f32 v134, v133, v123 :: v_dual_mov_b32 v130, v133
	v_dual_mov_b32 v137, v131 :: v_dual_mov_b32 v131, v132
	s_delay_alu instid0(VALU_DEP_2) | instskip(SKIP_1) | instid1(VALU_DEP_3)
	v_pk_fma_f32 v[134:135], v[132:133], v[68:69], v[134:135] op_sel_hi:[1,1,0] neg_lo:[0,0,1] neg_hi:[0,0,1]
	v_mul_f32_e32 v132, v133, v120
	v_pk_add_f32 v[62:63], v[62:63], v[136:137] neg_lo:[0,1] neg_hi:[0,1]
	s_delay_alu instid0(VALU_DEP_2) | instskip(NEXT) | instid1(VALU_DEP_1)
	v_pk_fma_f32 v[130:131], v[130:131], v[68:69], v[132:133] op_sel_hi:[1,1,0]
	v_mov_b32_e32 v135, v131
	ds_load_2addr_b64 v[130:133], v124 offset0:29 offset1:30
	v_pk_add_f32 v[60:61], v[60:61], v[134:135] neg_lo:[0,1] neg_hi:[0,1]
	s_wait_dscnt 0x0
	v_pk_mul_f32 v[134:135], v[130:131], v[122:123] op_sel:[0,1]
	s_delay_alu instid0(VALU_DEP_1) | instskip(SKIP_1) | instid1(VALU_DEP_1)
	v_pk_fma_f32 v[136:137], v[130:131], v[120:121], v[134:135] op_sel:[0,0,1] op_sel_hi:[1,1,0] neg_lo:[0,0,1] neg_hi:[0,0,1]
	v_pk_fma_f32 v[130:131], v[130:131], v[120:121], v[134:135] op_sel:[0,0,1] op_sel_hi:[1,0,0]
	v_mov_b32_e32 v137, v131
	v_pk_mul_f32 v[130:131], v[132:133], v[122:123] op_sel:[0,1]
	s_delay_alu instid0(VALU_DEP_1) | instskip(SKIP_1) | instid1(VALU_DEP_1)
	v_pk_fma_f32 v[134:135], v[132:133], v[120:121], v[130:131] op_sel:[0,0,1] op_sel_hi:[1,1,0] neg_lo:[0,0,1] neg_hi:[0,0,1]
	v_pk_fma_f32 v[130:131], v[132:133], v[120:121], v[130:131] op_sel:[0,0,1] op_sel_hi:[1,0,0]
	v_mov_b32_e32 v135, v131
	ds_load_2addr_b64 v[130:133], v124 offset0:31 offset1:32
	v_pk_add_f32 v[56:57], v[56:57], v[136:137] neg_lo:[0,1] neg_hi:[0,1]
	v_pk_add_f32 v[58:59], v[58:59], v[134:135] neg_lo:[0,1] neg_hi:[0,1]
	s_wait_dscnt 0x0
	v_pk_mul_f32 v[134:135], v[130:131], v[122:123] op_sel:[0,1]
	s_delay_alu instid0(VALU_DEP_1) | instskip(SKIP_1) | instid1(VALU_DEP_1)
	v_pk_fma_f32 v[136:137], v[130:131], v[120:121], v[134:135] op_sel:[0,0,1] op_sel_hi:[1,1,0] neg_lo:[0,0,1] neg_hi:[0,0,1]
	v_pk_fma_f32 v[130:131], v[130:131], v[120:121], v[134:135] op_sel:[0,0,1] op_sel_hi:[1,0,0]
	v_mov_b32_e32 v137, v131
	v_pk_mul_f32 v[130:131], v[132:133], v[122:123] op_sel:[0,1]
	s_delay_alu instid0(VALU_DEP_1) | instskip(SKIP_1) | instid1(VALU_DEP_1)
	v_pk_fma_f32 v[134:135], v[132:133], v[120:121], v[130:131] op_sel:[0,0,1] op_sel_hi:[1,1,0] neg_lo:[0,0,1] neg_hi:[0,0,1]
	v_pk_fma_f32 v[130:131], v[132:133], v[120:121], v[130:131] op_sel:[0,0,1] op_sel_hi:[1,0,0]
	v_mov_b32_e32 v135, v131
	ds_load_2addr_b64 v[130:133], v124 offset0:33 offset1:34
	v_pk_add_f32 v[54:55], v[54:55], v[136:137] neg_lo:[0,1] neg_hi:[0,1]
	v_pk_add_f32 v[52:53], v[52:53], v[134:135] neg_lo:[0,1] neg_hi:[0,1]
	s_wait_dscnt 0x0
	v_dual_mul_f32 v134, v131, v123 :: v_dual_mul_f32 v136, v131, v120
	s_delay_alu instid0(VALU_DEP_1) | instskip(NEXT) | instid1(VALU_DEP_2)
	v_pk_fma_f32 v[134:135], v[130:131], v[68:69], v[134:135] op_sel_hi:[1,1,0] neg_lo:[0,0,1] neg_hi:[0,0,1]
	v_pk_fma_f32 v[130:131], v[130:131], v[68:69], v[136:137] op_sel:[1,0,0] op_sel_hi:[0,1,0]
	s_delay_alu instid0(VALU_DEP_1) | instskip(SKIP_1) | instid1(VALU_DEP_2)
	v_mov_b32_e32 v135, v131
	v_pk_mul_f32 v[130:131], v[132:133], v[122:123] op_sel:[0,1]
	v_pk_add_f32 v[48:49], v[48:49], v[134:135] neg_lo:[0,1] neg_hi:[0,1]
	s_delay_alu instid0(VALU_DEP_2) | instskip(SKIP_1) | instid1(VALU_DEP_1)
	v_pk_fma_f32 v[134:135], v[132:133], v[120:121], v[130:131] op_sel:[0,0,1] op_sel_hi:[1,1,0] neg_lo:[0,0,1] neg_hi:[0,0,1]
	v_pk_fma_f32 v[130:131], v[132:133], v[120:121], v[130:131] op_sel:[0,0,1] op_sel_hi:[1,0,0]
	v_mov_b32_e32 v135, v131
	ds_load_2addr_b64 v[130:133], v124 offset0:35 offset1:36
	v_pk_add_f32 v[50:51], v[50:51], v[134:135] neg_lo:[0,1] neg_hi:[0,1]
	s_wait_dscnt 0x0
	v_pk_mul_f32 v[134:135], v[130:131], v[122:123] op_sel:[0,1]
	s_delay_alu instid0(VALU_DEP_1) | instskip(SKIP_1) | instid1(VALU_DEP_1)
	v_pk_fma_f32 v[136:137], v[130:131], v[120:121], v[134:135] op_sel:[0,0,1] op_sel_hi:[1,1,0] neg_lo:[0,0,1] neg_hi:[0,0,1]
	v_pk_fma_f32 v[130:131], v[130:131], v[120:121], v[134:135] op_sel:[0,0,1] op_sel_hi:[1,0,0]
	v_mov_b32_e32 v137, v131
	v_pk_mul_f32 v[130:131], v[132:133], v[122:123] op_sel:[0,1]
	s_delay_alu instid0(VALU_DEP_2) | instskip(NEXT) | instid1(VALU_DEP_2)
	v_pk_add_f32 v[46:47], v[46:47], v[136:137] neg_lo:[0,1] neg_hi:[0,1]
	v_pk_fma_f32 v[134:135], v[132:133], v[120:121], v[130:131] op_sel:[0,0,1] op_sel_hi:[1,1,0] neg_lo:[0,0,1] neg_hi:[0,0,1]
	v_pk_fma_f32 v[130:131], v[132:133], v[120:121], v[130:131] op_sel:[0,0,1] op_sel_hi:[1,0,0]
	s_delay_alu instid0(VALU_DEP_1) | instskip(SKIP_4) | instid1(VALU_DEP_1)
	v_mov_b32_e32 v135, v131
	ds_load_2addr_b64 v[130:133], v124 offset0:37 offset1:38
	v_pk_add_f32 v[44:45], v[44:45], v[134:135] neg_lo:[0,1] neg_hi:[0,1]
	s_wait_dscnt 0x0
	v_pk_mul_f32 v[134:135], v[130:131], v[122:123] op_sel:[0,1]
	v_pk_fma_f32 v[136:137], v[130:131], v[120:121], v[134:135] op_sel:[0,0,1] op_sel_hi:[1,1,0] neg_lo:[0,0,1] neg_hi:[0,0,1]
	v_pk_fma_f32 v[130:131], v[130:131], v[120:121], v[134:135] op_sel:[0,0,1] op_sel_hi:[1,0,0]
	v_dual_mul_f32 v134, v133, v123 :: v_dual_mov_b32 v130, v133
	s_delay_alu instid0(VALU_DEP_2) | instskip(NEXT) | instid1(VALU_DEP_2)
	v_dual_mov_b32 v137, v131 :: v_dual_mov_b32 v131, v132
	v_pk_fma_f32 v[134:135], v[132:133], v[68:69], v[134:135] op_sel_hi:[1,1,0] neg_lo:[0,0,1] neg_hi:[0,0,1]
	v_mul_f32_e32 v132, v133, v120
	s_delay_alu instid0(VALU_DEP_3) | instskip(NEXT) | instid1(VALU_DEP_2)
	v_pk_add_f32 v[40:41], v[40:41], v[136:137] neg_lo:[0,1] neg_hi:[0,1]
	v_pk_fma_f32 v[130:131], v[130:131], v[68:69], v[132:133] op_sel_hi:[1,1,0]
	s_delay_alu instid0(VALU_DEP_1) | instskip(SKIP_4) | instid1(VALU_DEP_1)
	v_mov_b32_e32 v135, v131
	ds_load_2addr_b64 v[130:133], v124 offset0:39 offset1:40
	v_pk_add_f32 v[42:43], v[42:43], v[134:135] neg_lo:[0,1] neg_hi:[0,1]
	s_wait_dscnt 0x0
	v_pk_mul_f32 v[134:135], v[130:131], v[122:123] op_sel:[0,1]
	v_pk_fma_f32 v[136:137], v[130:131], v[120:121], v[134:135] op_sel:[0,0,1] op_sel_hi:[1,1,0] neg_lo:[0,0,1] neg_hi:[0,0,1]
	v_pk_fma_f32 v[130:131], v[130:131], v[120:121], v[134:135] op_sel:[0,0,1] op_sel_hi:[1,0,0]
	s_delay_alu instid0(VALU_DEP_1) | instskip(SKIP_1) | instid1(VALU_DEP_1)
	v_mov_b32_e32 v137, v131
	v_pk_mul_f32 v[130:131], v[132:133], v[122:123] op_sel:[0,1]
	v_pk_fma_f32 v[134:135], v[132:133], v[120:121], v[130:131] op_sel:[0,0,1] op_sel_hi:[1,1,0] neg_lo:[0,0,1] neg_hi:[0,0,1]
	v_pk_fma_f32 v[130:131], v[132:133], v[120:121], v[130:131] op_sel:[0,0,1] op_sel_hi:[1,0,0]
	s_delay_alu instid0(VALU_DEP_1)
	v_mov_b32_e32 v135, v131
	ds_load_2addr_b64 v[130:133], v124 offset0:41 offset1:42
	v_pk_add_f32 v[38:39], v[38:39], v[136:137] neg_lo:[0,1] neg_hi:[0,1]
	v_pk_add_f32 v[36:37], v[36:37], v[134:135] neg_lo:[0,1] neg_hi:[0,1]
	s_wait_dscnt 0x0
	v_pk_mul_f32 v[134:135], v[130:131], v[122:123] op_sel:[0,1]
	s_delay_alu instid0(VALU_DEP_1) | instskip(SKIP_1) | instid1(VALU_DEP_1)
	v_pk_fma_f32 v[136:137], v[130:131], v[120:121], v[134:135] op_sel:[0,0,1] op_sel_hi:[1,1,0] neg_lo:[0,0,1] neg_hi:[0,0,1]
	v_pk_fma_f32 v[130:131], v[130:131], v[120:121], v[134:135] op_sel:[0,0,1] op_sel_hi:[1,0,0]
	v_mov_b32_e32 v137, v131
	v_pk_mul_f32 v[130:131], v[132:133], v[122:123] op_sel:[0,1]
	s_delay_alu instid0(VALU_DEP_1) | instskip(SKIP_1) | instid1(VALU_DEP_1)
	v_pk_fma_f32 v[134:135], v[132:133], v[120:121], v[130:131] op_sel:[0,0,1] op_sel_hi:[1,1,0] neg_lo:[0,0,1] neg_hi:[0,0,1]
	v_pk_fma_f32 v[130:131], v[132:133], v[120:121], v[130:131] op_sel:[0,0,1] op_sel_hi:[1,0,0]
	v_mov_b32_e32 v135, v131
	ds_load_2addr_b64 v[130:133], v124 offset0:43 offset1:44
	v_pk_add_f32 v[32:33], v[32:33], v[136:137] neg_lo:[0,1] neg_hi:[0,1]
	v_pk_add_f32 v[34:35], v[34:35], v[134:135] neg_lo:[0,1] neg_hi:[0,1]
	s_wait_dscnt 0x0
	v_dual_mul_f32 v134, v131, v123 :: v_dual_mul_f32 v136, v131, v120
	s_delay_alu instid0(VALU_DEP_1) | instskip(NEXT) | instid1(VALU_DEP_2)
	v_pk_fma_f32 v[134:135], v[130:131], v[68:69], v[134:135] op_sel_hi:[1,1,0] neg_lo:[0,0,1] neg_hi:[0,0,1]
	v_pk_fma_f32 v[130:131], v[130:131], v[68:69], v[136:137] op_sel:[1,0,0] op_sel_hi:[0,1,0]
	s_delay_alu instid0(VALU_DEP_1) | instskip(SKIP_1) | instid1(VALU_DEP_2)
	v_mov_b32_e32 v135, v131
	v_pk_mul_f32 v[130:131], v[132:133], v[122:123] op_sel:[0,1]
	v_pk_add_f32 v[30:31], v[30:31], v[134:135] neg_lo:[0,1] neg_hi:[0,1]
	s_delay_alu instid0(VALU_DEP_2) | instskip(SKIP_1) | instid1(VALU_DEP_1)
	v_pk_fma_f32 v[134:135], v[132:133], v[120:121], v[130:131] op_sel:[0,0,1] op_sel_hi:[1,1,0] neg_lo:[0,0,1] neg_hi:[0,0,1]
	v_pk_fma_f32 v[130:131], v[132:133], v[120:121], v[130:131] op_sel:[0,0,1] op_sel_hi:[1,0,0]
	v_mov_b32_e32 v135, v131
	ds_load_2addr_b64 v[130:133], v124 offset0:45 offset1:46
	v_pk_add_f32 v[26:27], v[26:27], v[134:135] neg_lo:[0,1] neg_hi:[0,1]
	s_wait_dscnt 0x0
	v_pk_mul_f32 v[134:135], v[130:131], v[122:123] op_sel:[0,1]
	s_delay_alu instid0(VALU_DEP_1) | instskip(SKIP_1) | instid1(VALU_DEP_1)
	v_pk_fma_f32 v[136:137], v[130:131], v[120:121], v[134:135] op_sel:[0,0,1] op_sel_hi:[1,1,0] neg_lo:[0,0,1] neg_hi:[0,0,1]
	v_pk_fma_f32 v[130:131], v[130:131], v[120:121], v[134:135] op_sel:[0,0,1] op_sel_hi:[1,0,0]
	v_mov_b32_e32 v137, v131
	v_pk_mul_f32 v[130:131], v[132:133], v[122:123] op_sel:[0,1]
	s_delay_alu instid0(VALU_DEP_2) | instskip(NEXT) | instid1(VALU_DEP_2)
	v_pk_add_f32 v[22:23], v[22:23], v[136:137] neg_lo:[0,1] neg_hi:[0,1]
	v_pk_fma_f32 v[134:135], v[132:133], v[120:121], v[130:131] op_sel:[0,0,1] op_sel_hi:[1,1,0] neg_lo:[0,0,1] neg_hi:[0,0,1]
	v_pk_fma_f32 v[130:131], v[132:133], v[120:121], v[130:131] op_sel:[0,0,1] op_sel_hi:[1,0,0]
	s_delay_alu instid0(VALU_DEP_1) | instskip(SKIP_4) | instid1(VALU_DEP_1)
	v_mov_b32_e32 v135, v131
	ds_load_2addr_b64 v[130:133], v124 offset0:47 offset1:48
	v_pk_add_f32 v[24:25], v[24:25], v[134:135] neg_lo:[0,1] neg_hi:[0,1]
	s_wait_dscnt 0x0
	v_pk_mul_f32 v[134:135], v[130:131], v[122:123] op_sel:[0,1]
	v_pk_fma_f32 v[136:137], v[130:131], v[120:121], v[134:135] op_sel:[0,0,1] op_sel_hi:[1,1,0] neg_lo:[0,0,1] neg_hi:[0,0,1]
	v_pk_fma_f32 v[130:131], v[130:131], v[120:121], v[134:135] op_sel:[0,0,1] op_sel_hi:[1,0,0]
	v_dual_mul_f32 v134, v133, v123 :: v_dual_mov_b32 v130, v133
	s_delay_alu instid0(VALU_DEP_2) | instskip(NEXT) | instid1(VALU_DEP_2)
	v_dual_mov_b32 v137, v131 :: v_dual_mov_b32 v131, v132
	v_pk_fma_f32 v[134:135], v[132:133], v[68:69], v[134:135] op_sel_hi:[1,1,0] neg_lo:[0,0,1] neg_hi:[0,0,1]
	v_mul_f32_e32 v132, v133, v120
	s_delay_alu instid0(VALU_DEP_3) | instskip(NEXT) | instid1(VALU_DEP_2)
	v_pk_add_f32 v[20:21], v[20:21], v[136:137] neg_lo:[0,1] neg_hi:[0,1]
	v_pk_fma_f32 v[130:131], v[130:131], v[68:69], v[132:133] op_sel_hi:[1,1,0]
	s_delay_alu instid0(VALU_DEP_1) | instskip(SKIP_4) | instid1(VALU_DEP_1)
	v_mov_b32_e32 v135, v131
	ds_load_2addr_b64 v[130:133], v124 offset0:49 offset1:50
	v_pk_add_f32 v[14:15], v[14:15], v[134:135] neg_lo:[0,1] neg_hi:[0,1]
	s_wait_dscnt 0x0
	v_pk_mul_f32 v[134:135], v[130:131], v[122:123] op_sel:[0,1]
	v_pk_fma_f32 v[136:137], v[130:131], v[120:121], v[134:135] op_sel:[0,0,1] op_sel_hi:[1,1,0] neg_lo:[0,0,1] neg_hi:[0,0,1]
	v_pk_fma_f32 v[130:131], v[130:131], v[120:121], v[134:135] op_sel:[0,0,1] op_sel_hi:[1,0,0]
	s_delay_alu instid0(VALU_DEP_1) | instskip(SKIP_1) | instid1(VALU_DEP_1)
	v_mov_b32_e32 v137, v131
	v_pk_mul_f32 v[130:131], v[132:133], v[122:123] op_sel:[0,1]
	v_pk_fma_f32 v[134:135], v[132:133], v[120:121], v[130:131] op_sel:[0,0,1] op_sel_hi:[1,1,0] neg_lo:[0,0,1] neg_hi:[0,0,1]
	v_pk_fma_f32 v[130:131], v[132:133], v[120:121], v[130:131] op_sel:[0,0,1] op_sel_hi:[1,0,0]
	s_delay_alu instid0(VALU_DEP_1)
	v_mov_b32_e32 v135, v131
	ds_load_2addr_b64 v[130:133], v124 offset0:51 offset1:52
	v_pk_add_f32 v[10:11], v[10:11], v[136:137] neg_lo:[0,1] neg_hi:[0,1]
	v_pk_add_f32 v[12:13], v[12:13], v[134:135] neg_lo:[0,1] neg_hi:[0,1]
	s_wait_dscnt 0x0
	v_pk_mul_f32 v[134:135], v[130:131], v[122:123] op_sel:[0,1]
	s_delay_alu instid0(VALU_DEP_1) | instskip(SKIP_1) | instid1(VALU_DEP_1)
	v_pk_fma_f32 v[136:137], v[130:131], v[120:121], v[134:135] op_sel:[0,0,1] op_sel_hi:[1,1,0] neg_lo:[0,0,1] neg_hi:[0,0,1]
	v_pk_fma_f32 v[130:131], v[130:131], v[120:121], v[134:135] op_sel:[0,0,1] op_sel_hi:[1,0,0]
	v_mov_b32_e32 v137, v131
	v_pk_mul_f32 v[130:131], v[132:133], v[122:123] op_sel:[0,1]
	s_delay_alu instid0(VALU_DEP_1) | instskip(SKIP_1) | instid1(VALU_DEP_1)
	v_pk_fma_f32 v[134:135], v[132:133], v[120:121], v[130:131] op_sel:[0,0,1] op_sel_hi:[1,1,0] neg_lo:[0,0,1] neg_hi:[0,0,1]
	v_pk_fma_f32 v[130:131], v[132:133], v[120:121], v[130:131] op_sel:[0,0,1] op_sel_hi:[1,0,0]
	v_mov_b32_e32 v135, v131
	ds_load_2addr_b64 v[130:133], v124 offset0:53 offset1:54
	v_pk_add_f32 v[8:9], v[8:9], v[136:137] neg_lo:[0,1] neg_hi:[0,1]
	v_pk_add_f32 v[6:7], v[6:7], v[134:135] neg_lo:[0,1] neg_hi:[0,1]
	s_wait_dscnt 0x0
	v_dual_mul_f32 v134, v131, v123 :: v_dual_mul_f32 v136, v131, v120
	s_delay_alu instid0(VALU_DEP_1) | instskip(NEXT) | instid1(VALU_DEP_2)
	v_pk_fma_f32 v[134:135], v[130:131], v[68:69], v[134:135] op_sel_hi:[1,1,0] neg_lo:[0,0,1] neg_hi:[0,0,1]
	v_pk_fma_f32 v[130:131], v[130:131], v[68:69], v[136:137] op_sel:[1,0,0] op_sel_hi:[0,1,0]
	s_delay_alu instid0(VALU_DEP_1) | instskip(SKIP_1) | instid1(VALU_DEP_2)
	v_mov_b32_e32 v135, v131
	v_pk_mul_f32 v[130:131], v[132:133], v[122:123] op_sel:[0,1]
	v_pk_add_f32 v[28:29], v[28:29], v[134:135] neg_lo:[0,1] neg_hi:[0,1]
	s_delay_alu instid0(VALU_DEP_2) | instskip(SKIP_1) | instid1(VALU_DEP_1)
	v_pk_fma_f32 v[134:135], v[132:133], v[120:121], v[130:131] op_sel:[0,0,1] op_sel_hi:[1,1,0] neg_lo:[0,0,1] neg_hi:[0,0,1]
	v_pk_fma_f32 v[130:131], v[132:133], v[120:121], v[130:131] op_sel:[0,0,1] op_sel_hi:[1,0,0]
	v_mov_b32_e32 v135, v131
	ds_load_2addr_b64 v[130:133], v124 offset0:55 offset1:56
	v_pk_add_f32 v[18:19], v[18:19], v[134:135] neg_lo:[0,1] neg_hi:[0,1]
	s_wait_dscnt 0x0
	v_pk_mul_f32 v[134:135], v[130:131], v[122:123] op_sel:[0,1]
	v_pk_mul_f32 v[122:123], v[132:133], v[122:123] op_sel:[0,1]
	s_delay_alu instid0(VALU_DEP_2) | instskip(SKIP_1) | instid1(VALU_DEP_1)
	v_pk_fma_f32 v[136:137], v[130:131], v[120:121], v[134:135] op_sel:[0,0,1] op_sel_hi:[1,1,0] neg_lo:[0,0,1] neg_hi:[0,0,1]
	v_pk_fma_f32 v[130:131], v[130:131], v[120:121], v[134:135] op_sel:[0,0,1] op_sel_hi:[1,0,0]
	v_mov_b32_e32 v137, v131
	s_delay_alu instid0(VALU_DEP_4) | instskip(SKIP_1) | instid1(VALU_DEP_3)
	v_pk_fma_f32 v[130:131], v[132:133], v[120:121], v[122:123] op_sel:[0,0,1] op_sel_hi:[1,1,0] neg_lo:[0,0,1] neg_hi:[0,0,1]
	v_pk_fma_f32 v[120:121], v[132:133], v[120:121], v[122:123] op_sel:[0,0,1] op_sel_hi:[1,0,0]
	v_pk_add_f32 v[16:17], v[16:17], v[136:137] neg_lo:[0,1] neg_hi:[0,1]
	s_delay_alu instid0(VALU_DEP_2) | instskip(NEXT) | instid1(VALU_DEP_1)
	v_mov_b32_e32 v131, v121
	v_pk_add_f32 v[118:119], v[118:119], v[130:131] neg_lo:[0,1] neg_hi:[0,1]
.LBB112_524:
	s_or_b32 exec_lo, exec_lo, s0
	v_lshl_add_u32 v120, v128, 3, v124
	s_barrier_signal -1
	s_barrier_wait -1
	ds_store_b64 v120, v[64:65]
	s_wait_dscnt 0x0
	s_barrier_signal -1
	s_barrier_wait -1
	ds_load_b64 v[122:123], v124 offset:200
	v_mov_b32_e32 v120, 25
	s_cmp_lt_i32 s18, 27
	s_cbranch_scc1 .LBB112_527
; %bb.525:
	v_add3_u32 v121, v125, 0, 0xd0
	v_mov_b32_e32 v120, 25
	s_mov_b32 s0, 26
.LBB112_526:                            ; =>This Inner Loop Header: Depth=1
	ds_load_b64 v[130:131], v121
	s_wait_dscnt 0x1
	v_cmp_gt_f32_e32 vcc_lo, 0, v122
	v_cndmask_b32_e64 v132, v122, -v122, vcc_lo
	v_cmp_gt_f32_e32 vcc_lo, 0, v123
	v_cndmask_b32_e64 v134, v123, -v123, vcc_lo
	s_wait_dscnt 0x0
	v_cmp_gt_f32_e32 vcc_lo, 0, v130
	v_cndmask_b32_e64 v133, v130, -v130, vcc_lo
	v_cmp_gt_f32_e32 vcc_lo, 0, v131
	v_cndmask_b32_e64 v135, v131, -v131, vcc_lo
	s_delay_alu instid0(VALU_DEP_1) | instskip(NEXT) | instid1(VALU_DEP_1)
	v_pk_add_f32 v[132:133], v[132:133], v[134:135]
	v_cmp_lt_f32_e32 vcc_lo, v132, v133
	v_dual_add_nc_u32 v121, 8, v121 :: v_dual_cndmask_b32 v123, v123, v131, vcc_lo
	v_cndmask_b32_e32 v122, v122, v130, vcc_lo
	v_cndmask_b32_e64 v120, v120, s0, vcc_lo
	s_add_co_i32 s0, s0, 1
	s_delay_alu instid0(SALU_CYCLE_1)
	s_cmp_lg_u32 s18, s0
	s_cbranch_scc1 .LBB112_526
.LBB112_527:
	s_wait_dscnt 0x0
	v_cmp_eq_f32_e32 vcc_lo, 0, v122
	v_cmp_eq_f32_e64 s0, 0, v123
	s_and_b32 s0, vcc_lo, s0
	s_delay_alu instid0(SALU_CYCLE_1) | instskip(NEXT) | instid1(SALU_CYCLE_1)
	s_and_saveexec_b32 s1, s0
	s_xor_b32 s0, exec_lo, s1
; %bb.528:
	v_cmp_ne_u32_e32 vcc_lo, 0, v126
	v_cndmask_b32_e32 v126, 26, v126, vcc_lo
; %bb.529:
	s_and_not1_saveexec_b32 s0, s0
	s_cbranch_execz .LBB112_535
; %bb.530:
	v_cmp_ngt_f32_e64 s1, |v122|, |v123|
	s_and_saveexec_b32 s12, s1
	s_delay_alu instid0(SALU_CYCLE_1)
	s_xor_b32 s1, exec_lo, s12
	s_cbranch_execz .LBB112_532
; %bb.531:
	v_div_scale_f32 v121, null, v123, v123, v122
	v_div_scale_f32 v131, vcc_lo, v122, v123, v122
	s_delay_alu instid0(VALU_DEP_2) | instskip(SKIP_1) | instid1(TRANS32_DEP_1)
	v_rcp_f32_e32 v129, v121
	v_nop
	v_fma_f32 v130, -v121, v129, 1.0
	s_delay_alu instid0(VALU_DEP_1) | instskip(NEXT) | instid1(VALU_DEP_1)
	v_fmac_f32_e32 v129, v130, v129
	v_mul_f32_e32 v130, v131, v129
	s_delay_alu instid0(VALU_DEP_1) | instskip(NEXT) | instid1(VALU_DEP_1)
	v_fma_f32 v132, -v121, v130, v131
	v_fmac_f32_e32 v130, v132, v129
	s_delay_alu instid0(VALU_DEP_1) | instskip(NEXT) | instid1(VALU_DEP_1)
	v_fma_f32 v121, -v121, v130, v131
	v_div_fmas_f32 v121, v121, v129, v130
	s_delay_alu instid0(VALU_DEP_1) | instskip(NEXT) | instid1(VALU_DEP_1)
	v_div_fixup_f32 v121, v121, v123, v122
	v_fmac_f32_e32 v123, v122, v121
	s_delay_alu instid0(VALU_DEP_1) | instskip(SKIP_1) | instid1(VALU_DEP_2)
	v_div_scale_f32 v122, null, v123, v123, 1.0
	v_div_scale_f32 v131, vcc_lo, 1.0, v123, 1.0
	v_rcp_f32_e32 v129, v122
	v_nop
	s_delay_alu instid0(TRANS32_DEP_1) | instskip(NEXT) | instid1(VALU_DEP_1)
	v_fma_f32 v130, -v122, v129, 1.0
	v_fmac_f32_e32 v129, v130, v129
	s_delay_alu instid0(VALU_DEP_1) | instskip(NEXT) | instid1(VALU_DEP_1)
	v_mul_f32_e32 v130, v131, v129
	v_fma_f32 v132, -v122, v130, v131
	s_delay_alu instid0(VALU_DEP_1) | instskip(NEXT) | instid1(VALU_DEP_1)
	v_fmac_f32_e32 v130, v132, v129
	v_fma_f32 v122, -v122, v130, v131
	s_delay_alu instid0(VALU_DEP_1) | instskip(NEXT) | instid1(VALU_DEP_1)
	v_div_fmas_f32 v122, v122, v129, v130
	v_div_fixup_f32 v123, v122, v123, 1.0
	s_delay_alu instid0(VALU_DEP_1)
	v_mul_f32_e32 v122, v121, v123
	v_xor_b32_e32 v123, 0x80000000, v123
.LBB112_532:
	s_and_not1_saveexec_b32 s1, s1
	s_cbranch_execz .LBB112_534
; %bb.533:
	s_delay_alu instid0(VALU_DEP_1) | instskip(SKIP_1) | instid1(VALU_DEP_2)
	v_div_scale_f32 v121, null, v122, v122, v123
	v_div_scale_f32 v131, vcc_lo, v123, v122, v123
	v_rcp_f32_e32 v129, v121
	v_nop
	s_delay_alu instid0(TRANS32_DEP_1) | instskip(NEXT) | instid1(VALU_DEP_1)
	v_fma_f32 v130, -v121, v129, 1.0
	v_fmac_f32_e32 v129, v130, v129
	s_delay_alu instid0(VALU_DEP_1) | instskip(NEXT) | instid1(VALU_DEP_1)
	v_mul_f32_e32 v130, v131, v129
	v_fma_f32 v132, -v121, v130, v131
	s_delay_alu instid0(VALU_DEP_1) | instskip(NEXT) | instid1(VALU_DEP_1)
	v_fmac_f32_e32 v130, v132, v129
	v_fma_f32 v121, -v121, v130, v131
	s_delay_alu instid0(VALU_DEP_1) | instskip(NEXT) | instid1(VALU_DEP_1)
	v_div_fmas_f32 v121, v121, v129, v130
	v_div_fixup_f32 v121, v121, v122, v123
	s_delay_alu instid0(VALU_DEP_1) | instskip(NEXT) | instid1(VALU_DEP_1)
	v_fmac_f32_e32 v122, v123, v121
	v_div_scale_f32 v123, null, v122, v122, 1.0
	s_delay_alu instid0(VALU_DEP_1) | instskip(SKIP_1) | instid1(TRANS32_DEP_1)
	v_rcp_f32_e32 v129, v123
	v_nop
	v_fma_f32 v130, -v123, v129, 1.0
	s_delay_alu instid0(VALU_DEP_1) | instskip(SKIP_1) | instid1(VALU_DEP_1)
	v_fmac_f32_e32 v129, v130, v129
	v_div_scale_f32 v130, vcc_lo, 1.0, v122, 1.0
	v_mul_f32_e32 v131, v130, v129
	s_delay_alu instid0(VALU_DEP_1) | instskip(NEXT) | instid1(VALU_DEP_1)
	v_fma_f32 v132, -v123, v131, v130
	v_fmac_f32_e32 v131, v132, v129
	s_delay_alu instid0(VALU_DEP_1) | instskip(NEXT) | instid1(VALU_DEP_1)
	v_fma_f32 v123, -v123, v131, v130
	v_div_fmas_f32 v123, v123, v129, v131
	s_delay_alu instid0(VALU_DEP_1) | instskip(NEXT) | instid1(VALU_DEP_1)
	v_div_fixup_f32 v122, v123, v122, 1.0
	v_mul_f32_e64 v123, v121, -v122
.LBB112_534:
	s_or_b32 exec_lo, exec_lo, s1
.LBB112_535:
	s_delay_alu instid0(SALU_CYCLE_1) | instskip(NEXT) | instid1(SALU_CYCLE_1)
	s_or_b32 exec_lo, exec_lo, s0
	s_mov_b32 s0, exec_lo
	v_cmpx_ne_u32_e64 v128, v120
	s_xor_b32 s0, exec_lo, s0
	s_cbranch_execz .LBB112_541
; %bb.536:
	s_mov_b32 s1, exec_lo
	v_cmpx_eq_u32_e32 25, v128
	s_cbranch_execz .LBB112_540
; %bb.537:
	v_cmp_ne_u32_e32 vcc_lo, 25, v120
	s_xor_b32 s12, s16, -1
	s_delay_alu instid0(SALU_CYCLE_1) | instskip(NEXT) | instid1(SALU_CYCLE_1)
	s_and_b32 s13, s12, vcc_lo
	s_and_saveexec_b32 s12, s13
	s_cbranch_execz .LBB112_539
; %bb.538:
	v_ashrrev_i32_e32 v121, 31, v120
	s_delay_alu instid0(VALU_DEP_1)
	v_lshl_add_u64 v[128:129], v[120:121], 2, v[4:5]
	s_clause 0x1
	global_load_b32 v121, v[128:129], off
	global_load_b32 v127, v[4:5], off offset:100
	s_wait_loadcnt 0x1
	global_store_b32 v[4:5], v121, off offset:100
	s_wait_loadcnt 0x0
	global_store_b32 v[128:129], v127, off
.LBB112_539:
	s_wait_xcnt 0x0
	s_or_b32 exec_lo, exec_lo, s12
	v_dual_mov_b32 v128, v120 :: v_dual_mov_b32 v127, v120
.LBB112_540:
	s_or_b32 exec_lo, exec_lo, s1
.LBB112_541:
	s_and_not1_saveexec_b32 s0, s0
	s_cbranch_execz .LBB112_543
; %bb.542:
	v_dual_mov_b32 v120, v66 :: v_dual_mov_b32 v121, v67
	v_dual_mov_b32 v128, v62 :: v_dual_mov_b32 v129, v63
	ds_store_2addr_b64 v124, v[120:121], v[128:129] offset0:26 offset1:27
	v_dual_mov_b32 v120, v60 :: v_dual_mov_b32 v121, v61
	v_dual_mov_b32 v128, v56 :: v_dual_mov_b32 v129, v57
	ds_store_2addr_b64 v124, v[120:121], v[128:129] offset0:28 offset1:29
	;; [unrolled: 3-line block ×15, first 2 shown]
	ds_store_b64 v124, v[118:119] offset:448
	v_mov_b32_e32 v128, 25
.LBB112_543:
	s_or_b32 exec_lo, exec_lo, s0
	s_delay_alu instid0(SALU_CYCLE_1)
	s_mov_b32 s0, exec_lo
	s_wait_storecnt_dscnt 0x0
	s_barrier_signal -1
	s_barrier_wait -1
	v_cmpx_lt_i32_e32 25, v128
	s_cbranch_execz .LBB112_545
; %bb.544:
	v_pk_mul_f32 v[130:131], v[122:123], v[64:65] op_sel:[1,1] op_sel_hi:[0,1]
	s_delay_alu instid0(VALU_DEP_1)
	v_pk_fma_f32 v[120:121], v[122:123], v[64:65], v[130:131] op_sel_hi:[1,0,1] neg_lo:[0,0,1] neg_hi:[0,0,1]
	v_pk_fma_f32 v[122:123], v[122:123], v[64:65], v[130:131] op_sel_hi:[1,0,1]
	ds_load_2addr_b64 v[130:133], v124 offset0:26 offset1:27
	v_dual_mov_b32 v64, v120 :: v_dual_mov_b32 v65, v123
	s_wait_dscnt 0x0
	v_pk_mul_f32 v[134:135], v[130:131], v[122:123] op_sel:[0,1]
	s_delay_alu instid0(VALU_DEP_1) | instskip(SKIP_1) | instid1(VALU_DEP_1)
	v_pk_fma_f32 v[136:137], v[130:131], v[120:121], v[134:135] op_sel:[0,0,1] op_sel_hi:[1,1,0] neg_lo:[0,0,1] neg_hi:[0,0,1]
	v_pk_fma_f32 v[130:131], v[130:131], v[120:121], v[134:135] op_sel:[0,0,1] op_sel_hi:[1,0,0]
	v_mov_b32_e32 v137, v131
	v_pk_mul_f32 v[130:131], v[132:133], v[122:123] op_sel:[0,1]
	s_delay_alu instid0(VALU_DEP_1) | instskip(SKIP_1) | instid1(VALU_DEP_1)
	v_pk_fma_f32 v[134:135], v[132:133], v[120:121], v[130:131] op_sel:[0,0,1] op_sel_hi:[1,1,0] neg_lo:[0,0,1] neg_hi:[0,0,1]
	v_pk_fma_f32 v[130:131], v[132:133], v[120:121], v[130:131] op_sel:[0,0,1] op_sel_hi:[1,0,0]
	v_mov_b32_e32 v135, v131
	ds_load_2addr_b64 v[130:133], v124 offset0:28 offset1:29
	v_pk_add_f32 v[66:67], v[66:67], v[136:137] neg_lo:[0,1] neg_hi:[0,1]
	v_pk_add_f32 v[62:63], v[62:63], v[134:135] neg_lo:[0,1] neg_hi:[0,1]
	s_wait_dscnt 0x0
	v_pk_mul_f32 v[134:135], v[130:131], v[122:123] op_sel:[0,1]
	s_delay_alu instid0(VALU_DEP_1) | instskip(SKIP_2) | instid1(VALU_DEP_2)
	v_pk_fma_f32 v[136:137], v[130:131], v[120:121], v[134:135] op_sel:[0,0,1] op_sel_hi:[1,1,0] neg_lo:[0,0,1] neg_hi:[0,0,1]
	v_pk_fma_f32 v[130:131], v[130:131], v[120:121], v[134:135] op_sel:[0,0,1] op_sel_hi:[1,0,0]
	v_dual_mul_f32 v134, v133, v123 :: v_dual_mov_b32 v130, v133
	v_dual_mov_b32 v137, v131 :: v_dual_mov_b32 v131, v132
	s_delay_alu instid0(VALU_DEP_2) | instskip(SKIP_1) | instid1(VALU_DEP_3)
	v_pk_fma_f32 v[134:135], v[132:133], v[64:65], v[134:135] op_sel_hi:[1,1,0] neg_lo:[0,0,1] neg_hi:[0,0,1]
	v_mul_f32_e32 v132, v133, v120
	v_pk_add_f32 v[60:61], v[60:61], v[136:137] neg_lo:[0,1] neg_hi:[0,1]
	s_delay_alu instid0(VALU_DEP_2) | instskip(NEXT) | instid1(VALU_DEP_1)
	v_pk_fma_f32 v[130:131], v[130:131], v[64:65], v[132:133] op_sel_hi:[1,1,0]
	v_mov_b32_e32 v135, v131
	ds_load_2addr_b64 v[130:133], v124 offset0:30 offset1:31
	v_pk_add_f32 v[56:57], v[56:57], v[134:135] neg_lo:[0,1] neg_hi:[0,1]
	s_wait_dscnt 0x0
	v_pk_mul_f32 v[134:135], v[130:131], v[122:123] op_sel:[0,1]
	s_delay_alu instid0(VALU_DEP_1) | instskip(SKIP_1) | instid1(VALU_DEP_1)
	v_pk_fma_f32 v[136:137], v[130:131], v[120:121], v[134:135] op_sel:[0,0,1] op_sel_hi:[1,1,0] neg_lo:[0,0,1] neg_hi:[0,0,1]
	v_pk_fma_f32 v[130:131], v[130:131], v[120:121], v[134:135] op_sel:[0,0,1] op_sel_hi:[1,0,0]
	v_mov_b32_e32 v137, v131
	v_pk_mul_f32 v[130:131], v[132:133], v[122:123] op_sel:[0,1]
	s_delay_alu instid0(VALU_DEP_1) | instskip(SKIP_1) | instid1(VALU_DEP_1)
	v_pk_fma_f32 v[134:135], v[132:133], v[120:121], v[130:131] op_sel:[0,0,1] op_sel_hi:[1,1,0] neg_lo:[0,0,1] neg_hi:[0,0,1]
	v_pk_fma_f32 v[130:131], v[132:133], v[120:121], v[130:131] op_sel:[0,0,1] op_sel_hi:[1,0,0]
	v_mov_b32_e32 v135, v131
	ds_load_2addr_b64 v[130:133], v124 offset0:32 offset1:33
	v_pk_add_f32 v[58:59], v[58:59], v[136:137] neg_lo:[0,1] neg_hi:[0,1]
	v_pk_add_f32 v[54:55], v[54:55], v[134:135] neg_lo:[0,1] neg_hi:[0,1]
	s_wait_dscnt 0x0
	v_pk_mul_f32 v[134:135], v[130:131], v[122:123] op_sel:[0,1]
	s_delay_alu instid0(VALU_DEP_1) | instskip(SKIP_1) | instid1(VALU_DEP_1)
	v_pk_fma_f32 v[136:137], v[130:131], v[120:121], v[134:135] op_sel:[0,0,1] op_sel_hi:[1,1,0] neg_lo:[0,0,1] neg_hi:[0,0,1]
	v_pk_fma_f32 v[130:131], v[130:131], v[120:121], v[134:135] op_sel:[0,0,1] op_sel_hi:[1,0,0]
	v_mov_b32_e32 v137, v131
	v_pk_mul_f32 v[130:131], v[132:133], v[122:123] op_sel:[0,1]
	s_delay_alu instid0(VALU_DEP_1) | instskip(SKIP_1) | instid1(VALU_DEP_1)
	v_pk_fma_f32 v[134:135], v[132:133], v[120:121], v[130:131] op_sel:[0,0,1] op_sel_hi:[1,1,0] neg_lo:[0,0,1] neg_hi:[0,0,1]
	v_pk_fma_f32 v[130:131], v[132:133], v[120:121], v[130:131] op_sel:[0,0,1] op_sel_hi:[1,0,0]
	v_mov_b32_e32 v135, v131
	ds_load_2addr_b64 v[130:133], v124 offset0:34 offset1:35
	v_pk_add_f32 v[52:53], v[52:53], v[136:137] neg_lo:[0,1] neg_hi:[0,1]
	v_pk_add_f32 v[48:49], v[48:49], v[134:135] neg_lo:[0,1] neg_hi:[0,1]
	s_wait_dscnt 0x0
	v_dual_mul_f32 v134, v131, v123 :: v_dual_mul_f32 v136, v131, v120
	s_delay_alu instid0(VALU_DEP_1) | instskip(NEXT) | instid1(VALU_DEP_2)
	v_pk_fma_f32 v[134:135], v[130:131], v[64:65], v[134:135] op_sel_hi:[1,1,0] neg_lo:[0,0,1] neg_hi:[0,0,1]
	v_pk_fma_f32 v[130:131], v[130:131], v[64:65], v[136:137] op_sel:[1,0,0] op_sel_hi:[0,1,0]
	s_delay_alu instid0(VALU_DEP_1) | instskip(SKIP_1) | instid1(VALU_DEP_2)
	v_mov_b32_e32 v135, v131
	v_pk_mul_f32 v[130:131], v[132:133], v[122:123] op_sel:[0,1]
	v_pk_add_f32 v[50:51], v[50:51], v[134:135] neg_lo:[0,1] neg_hi:[0,1]
	s_delay_alu instid0(VALU_DEP_2) | instskip(SKIP_1) | instid1(VALU_DEP_1)
	v_pk_fma_f32 v[134:135], v[132:133], v[120:121], v[130:131] op_sel:[0,0,1] op_sel_hi:[1,1,0] neg_lo:[0,0,1] neg_hi:[0,0,1]
	v_pk_fma_f32 v[130:131], v[132:133], v[120:121], v[130:131] op_sel:[0,0,1] op_sel_hi:[1,0,0]
	v_mov_b32_e32 v135, v131
	ds_load_2addr_b64 v[130:133], v124 offset0:36 offset1:37
	v_pk_add_f32 v[46:47], v[46:47], v[134:135] neg_lo:[0,1] neg_hi:[0,1]
	s_wait_dscnt 0x0
	v_pk_mul_f32 v[134:135], v[130:131], v[122:123] op_sel:[0,1]
	s_delay_alu instid0(VALU_DEP_1) | instskip(SKIP_1) | instid1(VALU_DEP_1)
	v_pk_fma_f32 v[136:137], v[130:131], v[120:121], v[134:135] op_sel:[0,0,1] op_sel_hi:[1,1,0] neg_lo:[0,0,1] neg_hi:[0,0,1]
	v_pk_fma_f32 v[130:131], v[130:131], v[120:121], v[134:135] op_sel:[0,0,1] op_sel_hi:[1,0,0]
	v_mov_b32_e32 v137, v131
	v_pk_mul_f32 v[130:131], v[132:133], v[122:123] op_sel:[0,1]
	s_delay_alu instid0(VALU_DEP_2) | instskip(NEXT) | instid1(VALU_DEP_2)
	v_pk_add_f32 v[44:45], v[44:45], v[136:137] neg_lo:[0,1] neg_hi:[0,1]
	v_pk_fma_f32 v[134:135], v[132:133], v[120:121], v[130:131] op_sel:[0,0,1] op_sel_hi:[1,1,0] neg_lo:[0,0,1] neg_hi:[0,0,1]
	v_pk_fma_f32 v[130:131], v[132:133], v[120:121], v[130:131] op_sel:[0,0,1] op_sel_hi:[1,0,0]
	s_delay_alu instid0(VALU_DEP_1) | instskip(SKIP_4) | instid1(VALU_DEP_1)
	v_mov_b32_e32 v135, v131
	ds_load_2addr_b64 v[130:133], v124 offset0:38 offset1:39
	v_pk_add_f32 v[40:41], v[40:41], v[134:135] neg_lo:[0,1] neg_hi:[0,1]
	s_wait_dscnt 0x0
	v_pk_mul_f32 v[134:135], v[130:131], v[122:123] op_sel:[0,1]
	v_pk_fma_f32 v[136:137], v[130:131], v[120:121], v[134:135] op_sel:[0,0,1] op_sel_hi:[1,1,0] neg_lo:[0,0,1] neg_hi:[0,0,1]
	v_pk_fma_f32 v[130:131], v[130:131], v[120:121], v[134:135] op_sel:[0,0,1] op_sel_hi:[1,0,0]
	v_dual_mul_f32 v134, v133, v123 :: v_dual_mov_b32 v130, v133
	s_delay_alu instid0(VALU_DEP_2) | instskip(NEXT) | instid1(VALU_DEP_2)
	v_dual_mov_b32 v137, v131 :: v_dual_mov_b32 v131, v132
	v_pk_fma_f32 v[134:135], v[132:133], v[64:65], v[134:135] op_sel_hi:[1,1,0] neg_lo:[0,0,1] neg_hi:[0,0,1]
	v_mul_f32_e32 v132, v133, v120
	s_delay_alu instid0(VALU_DEP_3) | instskip(NEXT) | instid1(VALU_DEP_2)
	v_pk_add_f32 v[42:43], v[42:43], v[136:137] neg_lo:[0,1] neg_hi:[0,1]
	v_pk_fma_f32 v[130:131], v[130:131], v[64:65], v[132:133] op_sel_hi:[1,1,0]
	s_delay_alu instid0(VALU_DEP_1) | instskip(SKIP_4) | instid1(VALU_DEP_1)
	v_mov_b32_e32 v135, v131
	ds_load_2addr_b64 v[130:133], v124 offset0:40 offset1:41
	v_pk_add_f32 v[38:39], v[38:39], v[134:135] neg_lo:[0,1] neg_hi:[0,1]
	s_wait_dscnt 0x0
	v_pk_mul_f32 v[134:135], v[130:131], v[122:123] op_sel:[0,1]
	v_pk_fma_f32 v[136:137], v[130:131], v[120:121], v[134:135] op_sel:[0,0,1] op_sel_hi:[1,1,0] neg_lo:[0,0,1] neg_hi:[0,0,1]
	v_pk_fma_f32 v[130:131], v[130:131], v[120:121], v[134:135] op_sel:[0,0,1] op_sel_hi:[1,0,0]
	s_delay_alu instid0(VALU_DEP_1) | instskip(SKIP_1) | instid1(VALU_DEP_1)
	v_mov_b32_e32 v137, v131
	v_pk_mul_f32 v[130:131], v[132:133], v[122:123] op_sel:[0,1]
	v_pk_fma_f32 v[134:135], v[132:133], v[120:121], v[130:131] op_sel:[0,0,1] op_sel_hi:[1,1,0] neg_lo:[0,0,1] neg_hi:[0,0,1]
	v_pk_fma_f32 v[130:131], v[132:133], v[120:121], v[130:131] op_sel:[0,0,1] op_sel_hi:[1,0,0]
	s_delay_alu instid0(VALU_DEP_1)
	v_mov_b32_e32 v135, v131
	ds_load_2addr_b64 v[130:133], v124 offset0:42 offset1:43
	v_pk_add_f32 v[36:37], v[36:37], v[136:137] neg_lo:[0,1] neg_hi:[0,1]
	v_pk_add_f32 v[32:33], v[32:33], v[134:135] neg_lo:[0,1] neg_hi:[0,1]
	s_wait_dscnt 0x0
	v_pk_mul_f32 v[134:135], v[130:131], v[122:123] op_sel:[0,1]
	s_delay_alu instid0(VALU_DEP_1) | instskip(SKIP_1) | instid1(VALU_DEP_1)
	v_pk_fma_f32 v[136:137], v[130:131], v[120:121], v[134:135] op_sel:[0,0,1] op_sel_hi:[1,1,0] neg_lo:[0,0,1] neg_hi:[0,0,1]
	v_pk_fma_f32 v[130:131], v[130:131], v[120:121], v[134:135] op_sel:[0,0,1] op_sel_hi:[1,0,0]
	v_mov_b32_e32 v137, v131
	v_pk_mul_f32 v[130:131], v[132:133], v[122:123] op_sel:[0,1]
	s_delay_alu instid0(VALU_DEP_1) | instskip(SKIP_1) | instid1(VALU_DEP_1)
	v_pk_fma_f32 v[134:135], v[132:133], v[120:121], v[130:131] op_sel:[0,0,1] op_sel_hi:[1,1,0] neg_lo:[0,0,1] neg_hi:[0,0,1]
	v_pk_fma_f32 v[130:131], v[132:133], v[120:121], v[130:131] op_sel:[0,0,1] op_sel_hi:[1,0,0]
	v_mov_b32_e32 v135, v131
	ds_load_2addr_b64 v[130:133], v124 offset0:44 offset1:45
	v_pk_add_f32 v[34:35], v[34:35], v[136:137] neg_lo:[0,1] neg_hi:[0,1]
	v_pk_add_f32 v[30:31], v[30:31], v[134:135] neg_lo:[0,1] neg_hi:[0,1]
	s_wait_dscnt 0x0
	v_dual_mul_f32 v134, v131, v123 :: v_dual_mul_f32 v136, v131, v120
	s_delay_alu instid0(VALU_DEP_1) | instskip(NEXT) | instid1(VALU_DEP_2)
	v_pk_fma_f32 v[134:135], v[130:131], v[64:65], v[134:135] op_sel_hi:[1,1,0] neg_lo:[0,0,1] neg_hi:[0,0,1]
	v_pk_fma_f32 v[130:131], v[130:131], v[64:65], v[136:137] op_sel:[1,0,0] op_sel_hi:[0,1,0]
	s_delay_alu instid0(VALU_DEP_1) | instskip(SKIP_1) | instid1(VALU_DEP_2)
	v_mov_b32_e32 v135, v131
	v_pk_mul_f32 v[130:131], v[132:133], v[122:123] op_sel:[0,1]
	v_pk_add_f32 v[26:27], v[26:27], v[134:135] neg_lo:[0,1] neg_hi:[0,1]
	s_delay_alu instid0(VALU_DEP_2) | instskip(SKIP_1) | instid1(VALU_DEP_1)
	v_pk_fma_f32 v[134:135], v[132:133], v[120:121], v[130:131] op_sel:[0,0,1] op_sel_hi:[1,1,0] neg_lo:[0,0,1] neg_hi:[0,0,1]
	v_pk_fma_f32 v[130:131], v[132:133], v[120:121], v[130:131] op_sel:[0,0,1] op_sel_hi:[1,0,0]
	v_mov_b32_e32 v135, v131
	ds_load_2addr_b64 v[130:133], v124 offset0:46 offset1:47
	v_pk_add_f32 v[22:23], v[22:23], v[134:135] neg_lo:[0,1] neg_hi:[0,1]
	s_wait_dscnt 0x0
	v_pk_mul_f32 v[134:135], v[130:131], v[122:123] op_sel:[0,1]
	s_delay_alu instid0(VALU_DEP_1) | instskip(SKIP_1) | instid1(VALU_DEP_1)
	v_pk_fma_f32 v[136:137], v[130:131], v[120:121], v[134:135] op_sel:[0,0,1] op_sel_hi:[1,1,0] neg_lo:[0,0,1] neg_hi:[0,0,1]
	v_pk_fma_f32 v[130:131], v[130:131], v[120:121], v[134:135] op_sel:[0,0,1] op_sel_hi:[1,0,0]
	v_mov_b32_e32 v137, v131
	v_pk_mul_f32 v[130:131], v[132:133], v[122:123] op_sel:[0,1]
	s_delay_alu instid0(VALU_DEP_2) | instskip(NEXT) | instid1(VALU_DEP_2)
	v_pk_add_f32 v[24:25], v[24:25], v[136:137] neg_lo:[0,1] neg_hi:[0,1]
	v_pk_fma_f32 v[134:135], v[132:133], v[120:121], v[130:131] op_sel:[0,0,1] op_sel_hi:[1,1,0] neg_lo:[0,0,1] neg_hi:[0,0,1]
	v_pk_fma_f32 v[130:131], v[132:133], v[120:121], v[130:131] op_sel:[0,0,1] op_sel_hi:[1,0,0]
	s_delay_alu instid0(VALU_DEP_1) | instskip(SKIP_4) | instid1(VALU_DEP_1)
	v_mov_b32_e32 v135, v131
	ds_load_2addr_b64 v[130:133], v124 offset0:48 offset1:49
	v_pk_add_f32 v[20:21], v[20:21], v[134:135] neg_lo:[0,1] neg_hi:[0,1]
	s_wait_dscnt 0x0
	v_pk_mul_f32 v[134:135], v[130:131], v[122:123] op_sel:[0,1]
	v_pk_fma_f32 v[136:137], v[130:131], v[120:121], v[134:135] op_sel:[0,0,1] op_sel_hi:[1,1,0] neg_lo:[0,0,1] neg_hi:[0,0,1]
	v_pk_fma_f32 v[130:131], v[130:131], v[120:121], v[134:135] op_sel:[0,0,1] op_sel_hi:[1,0,0]
	v_dual_mul_f32 v134, v133, v123 :: v_dual_mov_b32 v130, v133
	s_delay_alu instid0(VALU_DEP_2) | instskip(NEXT) | instid1(VALU_DEP_2)
	v_dual_mov_b32 v137, v131 :: v_dual_mov_b32 v131, v132
	v_pk_fma_f32 v[134:135], v[132:133], v[64:65], v[134:135] op_sel_hi:[1,1,0] neg_lo:[0,0,1] neg_hi:[0,0,1]
	v_mul_f32_e32 v132, v133, v120
	s_delay_alu instid0(VALU_DEP_3) | instskip(NEXT) | instid1(VALU_DEP_2)
	v_pk_add_f32 v[14:15], v[14:15], v[136:137] neg_lo:[0,1] neg_hi:[0,1]
	v_pk_fma_f32 v[130:131], v[130:131], v[64:65], v[132:133] op_sel_hi:[1,1,0]
	s_delay_alu instid0(VALU_DEP_1) | instskip(SKIP_4) | instid1(VALU_DEP_1)
	v_mov_b32_e32 v135, v131
	ds_load_2addr_b64 v[130:133], v124 offset0:50 offset1:51
	v_pk_add_f32 v[10:11], v[10:11], v[134:135] neg_lo:[0,1] neg_hi:[0,1]
	s_wait_dscnt 0x0
	v_pk_mul_f32 v[134:135], v[130:131], v[122:123] op_sel:[0,1]
	v_pk_fma_f32 v[136:137], v[130:131], v[120:121], v[134:135] op_sel:[0,0,1] op_sel_hi:[1,1,0] neg_lo:[0,0,1] neg_hi:[0,0,1]
	v_pk_fma_f32 v[130:131], v[130:131], v[120:121], v[134:135] op_sel:[0,0,1] op_sel_hi:[1,0,0]
	s_delay_alu instid0(VALU_DEP_1) | instskip(SKIP_1) | instid1(VALU_DEP_1)
	v_mov_b32_e32 v137, v131
	v_pk_mul_f32 v[130:131], v[132:133], v[122:123] op_sel:[0,1]
	v_pk_fma_f32 v[134:135], v[132:133], v[120:121], v[130:131] op_sel:[0,0,1] op_sel_hi:[1,1,0] neg_lo:[0,0,1] neg_hi:[0,0,1]
	v_pk_fma_f32 v[130:131], v[132:133], v[120:121], v[130:131] op_sel:[0,0,1] op_sel_hi:[1,0,0]
	s_delay_alu instid0(VALU_DEP_1)
	v_mov_b32_e32 v135, v131
	ds_load_2addr_b64 v[130:133], v124 offset0:52 offset1:53
	v_pk_add_f32 v[12:13], v[12:13], v[136:137] neg_lo:[0,1] neg_hi:[0,1]
	v_pk_add_f32 v[8:9], v[8:9], v[134:135] neg_lo:[0,1] neg_hi:[0,1]
	s_wait_dscnt 0x0
	v_pk_mul_f32 v[134:135], v[130:131], v[122:123] op_sel:[0,1]
	s_delay_alu instid0(VALU_DEP_1) | instskip(SKIP_1) | instid1(VALU_DEP_1)
	v_pk_fma_f32 v[136:137], v[130:131], v[120:121], v[134:135] op_sel:[0,0,1] op_sel_hi:[1,1,0] neg_lo:[0,0,1] neg_hi:[0,0,1]
	v_pk_fma_f32 v[130:131], v[130:131], v[120:121], v[134:135] op_sel:[0,0,1] op_sel_hi:[1,0,0]
	v_mov_b32_e32 v137, v131
	v_pk_mul_f32 v[130:131], v[132:133], v[122:123] op_sel:[0,1]
	s_delay_alu instid0(VALU_DEP_1) | instskip(SKIP_1) | instid1(VALU_DEP_1)
	v_pk_fma_f32 v[134:135], v[132:133], v[120:121], v[130:131] op_sel:[0,0,1] op_sel_hi:[1,1,0] neg_lo:[0,0,1] neg_hi:[0,0,1]
	v_pk_fma_f32 v[130:131], v[132:133], v[120:121], v[130:131] op_sel:[0,0,1] op_sel_hi:[1,0,0]
	v_mov_b32_e32 v135, v131
	ds_load_2addr_b64 v[130:133], v124 offset0:54 offset1:55
	v_pk_add_f32 v[6:7], v[6:7], v[136:137] neg_lo:[0,1] neg_hi:[0,1]
	v_pk_add_f32 v[28:29], v[28:29], v[134:135] neg_lo:[0,1] neg_hi:[0,1]
	s_wait_dscnt 0x0
	v_dual_mul_f32 v134, v131, v123 :: v_dual_mul_f32 v136, v131, v120
	s_delay_alu instid0(VALU_DEP_1) | instskip(NEXT) | instid1(VALU_DEP_2)
	v_pk_fma_f32 v[134:135], v[130:131], v[64:65], v[134:135] op_sel_hi:[1,1,0] neg_lo:[0,0,1] neg_hi:[0,0,1]
	v_pk_fma_f32 v[130:131], v[130:131], v[64:65], v[136:137] op_sel:[1,0,0] op_sel_hi:[0,1,0]
	s_delay_alu instid0(VALU_DEP_1) | instskip(SKIP_1) | instid1(VALU_DEP_2)
	v_mov_b32_e32 v135, v131
	v_pk_mul_f32 v[130:131], v[132:133], v[122:123] op_sel:[0,1]
	v_pk_add_f32 v[18:19], v[18:19], v[134:135] neg_lo:[0,1] neg_hi:[0,1]
	s_delay_alu instid0(VALU_DEP_2) | instskip(SKIP_1) | instid1(VALU_DEP_1)
	v_pk_fma_f32 v[134:135], v[132:133], v[120:121], v[130:131] op_sel:[0,0,1] op_sel_hi:[1,1,0] neg_lo:[0,0,1] neg_hi:[0,0,1]
	v_pk_fma_f32 v[130:131], v[132:133], v[120:121], v[130:131] op_sel:[0,0,1] op_sel_hi:[1,0,0]
	v_mov_b32_e32 v135, v131
	ds_load_b64 v[130:131], v124 offset:448
	v_pk_add_f32 v[16:17], v[16:17], v[134:135] neg_lo:[0,1] neg_hi:[0,1]
	s_wait_dscnt 0x0
	v_pk_mul_f32 v[122:123], v[130:131], v[122:123] op_sel:[0,1]
	s_delay_alu instid0(VALU_DEP_1) | instskip(SKIP_1) | instid1(VALU_DEP_1)
	v_pk_fma_f32 v[132:133], v[130:131], v[120:121], v[122:123] op_sel:[0,0,1] op_sel_hi:[1,1,0] neg_lo:[0,0,1] neg_hi:[0,0,1]
	v_pk_fma_f32 v[120:121], v[130:131], v[120:121], v[122:123] op_sel:[0,0,1] op_sel_hi:[1,0,0]
	v_mov_b32_e32 v133, v121
	s_delay_alu instid0(VALU_DEP_1)
	v_pk_add_f32 v[118:119], v[118:119], v[132:133] neg_lo:[0,1] neg_hi:[0,1]
.LBB112_545:
	s_or_b32 exec_lo, exec_lo, s0
	v_lshl_add_u32 v120, v128, 3, v124
	s_barrier_signal -1
	s_barrier_wait -1
	ds_store_b64 v120, v[66:67]
	s_wait_dscnt 0x0
	s_barrier_signal -1
	s_barrier_wait -1
	ds_load_b64 v[122:123], v124 offset:208
	v_mov_b32_e32 v120, 26
	s_cmp_lt_i32 s18, 28
	s_cbranch_scc1 .LBB112_548
; %bb.546:
	v_add3_u32 v121, v125, 0, 0xd8
	v_mov_b32_e32 v120, 26
	s_mov_b32 s0, 27
.LBB112_547:                            ; =>This Inner Loop Header: Depth=1
	ds_load_b64 v[130:131], v121
	s_wait_dscnt 0x1
	v_cmp_gt_f32_e32 vcc_lo, 0, v122
	v_cndmask_b32_e64 v132, v122, -v122, vcc_lo
	v_cmp_gt_f32_e32 vcc_lo, 0, v123
	v_cndmask_b32_e64 v134, v123, -v123, vcc_lo
	s_wait_dscnt 0x0
	v_cmp_gt_f32_e32 vcc_lo, 0, v130
	v_cndmask_b32_e64 v133, v130, -v130, vcc_lo
	v_cmp_gt_f32_e32 vcc_lo, 0, v131
	v_cndmask_b32_e64 v135, v131, -v131, vcc_lo
	s_delay_alu instid0(VALU_DEP_1) | instskip(NEXT) | instid1(VALU_DEP_1)
	v_pk_add_f32 v[132:133], v[132:133], v[134:135]
	v_cmp_lt_f32_e32 vcc_lo, v132, v133
	v_dual_add_nc_u32 v121, 8, v121 :: v_dual_cndmask_b32 v123, v123, v131, vcc_lo
	v_cndmask_b32_e32 v122, v122, v130, vcc_lo
	v_cndmask_b32_e64 v120, v120, s0, vcc_lo
	s_add_co_i32 s0, s0, 1
	s_delay_alu instid0(SALU_CYCLE_1)
	s_cmp_lg_u32 s18, s0
	s_cbranch_scc1 .LBB112_547
.LBB112_548:
	s_wait_dscnt 0x0
	v_cmp_eq_f32_e32 vcc_lo, 0, v122
	v_cmp_eq_f32_e64 s0, 0, v123
	s_and_b32 s0, vcc_lo, s0
	s_delay_alu instid0(SALU_CYCLE_1) | instskip(NEXT) | instid1(SALU_CYCLE_1)
	s_and_saveexec_b32 s1, s0
	s_xor_b32 s0, exec_lo, s1
; %bb.549:
	v_cmp_ne_u32_e32 vcc_lo, 0, v126
	v_cndmask_b32_e32 v126, 27, v126, vcc_lo
; %bb.550:
	s_and_not1_saveexec_b32 s0, s0
	s_cbranch_execz .LBB112_556
; %bb.551:
	v_cmp_ngt_f32_e64 s1, |v122|, |v123|
	s_and_saveexec_b32 s12, s1
	s_delay_alu instid0(SALU_CYCLE_1)
	s_xor_b32 s1, exec_lo, s12
	s_cbranch_execz .LBB112_553
; %bb.552:
	v_div_scale_f32 v121, null, v123, v123, v122
	v_div_scale_f32 v131, vcc_lo, v122, v123, v122
	s_delay_alu instid0(VALU_DEP_2) | instskip(SKIP_1) | instid1(TRANS32_DEP_1)
	v_rcp_f32_e32 v129, v121
	v_nop
	v_fma_f32 v130, -v121, v129, 1.0
	s_delay_alu instid0(VALU_DEP_1) | instskip(NEXT) | instid1(VALU_DEP_1)
	v_fmac_f32_e32 v129, v130, v129
	v_mul_f32_e32 v130, v131, v129
	s_delay_alu instid0(VALU_DEP_1) | instskip(NEXT) | instid1(VALU_DEP_1)
	v_fma_f32 v132, -v121, v130, v131
	v_fmac_f32_e32 v130, v132, v129
	s_delay_alu instid0(VALU_DEP_1) | instskip(NEXT) | instid1(VALU_DEP_1)
	v_fma_f32 v121, -v121, v130, v131
	v_div_fmas_f32 v121, v121, v129, v130
	s_delay_alu instid0(VALU_DEP_1) | instskip(NEXT) | instid1(VALU_DEP_1)
	v_div_fixup_f32 v121, v121, v123, v122
	v_fmac_f32_e32 v123, v122, v121
	s_delay_alu instid0(VALU_DEP_1) | instskip(SKIP_1) | instid1(VALU_DEP_2)
	v_div_scale_f32 v122, null, v123, v123, 1.0
	v_div_scale_f32 v131, vcc_lo, 1.0, v123, 1.0
	v_rcp_f32_e32 v129, v122
	v_nop
	s_delay_alu instid0(TRANS32_DEP_1) | instskip(NEXT) | instid1(VALU_DEP_1)
	v_fma_f32 v130, -v122, v129, 1.0
	v_fmac_f32_e32 v129, v130, v129
	s_delay_alu instid0(VALU_DEP_1) | instskip(NEXT) | instid1(VALU_DEP_1)
	v_mul_f32_e32 v130, v131, v129
	v_fma_f32 v132, -v122, v130, v131
	s_delay_alu instid0(VALU_DEP_1) | instskip(NEXT) | instid1(VALU_DEP_1)
	v_fmac_f32_e32 v130, v132, v129
	v_fma_f32 v122, -v122, v130, v131
	s_delay_alu instid0(VALU_DEP_1) | instskip(NEXT) | instid1(VALU_DEP_1)
	v_div_fmas_f32 v122, v122, v129, v130
	v_div_fixup_f32 v123, v122, v123, 1.0
	s_delay_alu instid0(VALU_DEP_1)
	v_mul_f32_e32 v122, v121, v123
	v_xor_b32_e32 v123, 0x80000000, v123
.LBB112_553:
	s_and_not1_saveexec_b32 s1, s1
	s_cbranch_execz .LBB112_555
; %bb.554:
	s_delay_alu instid0(VALU_DEP_1) | instskip(SKIP_1) | instid1(VALU_DEP_2)
	v_div_scale_f32 v121, null, v122, v122, v123
	v_div_scale_f32 v131, vcc_lo, v123, v122, v123
	v_rcp_f32_e32 v129, v121
	v_nop
	s_delay_alu instid0(TRANS32_DEP_1) | instskip(NEXT) | instid1(VALU_DEP_1)
	v_fma_f32 v130, -v121, v129, 1.0
	v_fmac_f32_e32 v129, v130, v129
	s_delay_alu instid0(VALU_DEP_1) | instskip(NEXT) | instid1(VALU_DEP_1)
	v_mul_f32_e32 v130, v131, v129
	v_fma_f32 v132, -v121, v130, v131
	s_delay_alu instid0(VALU_DEP_1) | instskip(NEXT) | instid1(VALU_DEP_1)
	v_fmac_f32_e32 v130, v132, v129
	v_fma_f32 v121, -v121, v130, v131
	s_delay_alu instid0(VALU_DEP_1) | instskip(NEXT) | instid1(VALU_DEP_1)
	v_div_fmas_f32 v121, v121, v129, v130
	v_div_fixup_f32 v121, v121, v122, v123
	s_delay_alu instid0(VALU_DEP_1) | instskip(NEXT) | instid1(VALU_DEP_1)
	v_fmac_f32_e32 v122, v123, v121
	v_div_scale_f32 v123, null, v122, v122, 1.0
	s_delay_alu instid0(VALU_DEP_1) | instskip(SKIP_1) | instid1(TRANS32_DEP_1)
	v_rcp_f32_e32 v129, v123
	v_nop
	v_fma_f32 v130, -v123, v129, 1.0
	s_delay_alu instid0(VALU_DEP_1) | instskip(SKIP_1) | instid1(VALU_DEP_1)
	v_fmac_f32_e32 v129, v130, v129
	v_div_scale_f32 v130, vcc_lo, 1.0, v122, 1.0
	v_mul_f32_e32 v131, v130, v129
	s_delay_alu instid0(VALU_DEP_1) | instskip(NEXT) | instid1(VALU_DEP_1)
	v_fma_f32 v132, -v123, v131, v130
	v_fmac_f32_e32 v131, v132, v129
	s_delay_alu instid0(VALU_DEP_1) | instskip(NEXT) | instid1(VALU_DEP_1)
	v_fma_f32 v123, -v123, v131, v130
	v_div_fmas_f32 v123, v123, v129, v131
	s_delay_alu instid0(VALU_DEP_1) | instskip(NEXT) | instid1(VALU_DEP_1)
	v_div_fixup_f32 v122, v123, v122, 1.0
	v_mul_f32_e64 v123, v121, -v122
.LBB112_555:
	s_or_b32 exec_lo, exec_lo, s1
.LBB112_556:
	s_delay_alu instid0(SALU_CYCLE_1) | instskip(NEXT) | instid1(SALU_CYCLE_1)
	s_or_b32 exec_lo, exec_lo, s0
	s_mov_b32 s0, exec_lo
	v_cmpx_ne_u32_e64 v128, v120
	s_xor_b32 s0, exec_lo, s0
	s_cbranch_execz .LBB112_562
; %bb.557:
	s_mov_b32 s1, exec_lo
	v_cmpx_eq_u32_e32 26, v128
	s_cbranch_execz .LBB112_561
; %bb.558:
	v_cmp_ne_u32_e32 vcc_lo, 26, v120
	s_xor_b32 s12, s16, -1
	s_delay_alu instid0(SALU_CYCLE_1) | instskip(NEXT) | instid1(SALU_CYCLE_1)
	s_and_b32 s13, s12, vcc_lo
	s_and_saveexec_b32 s12, s13
	s_cbranch_execz .LBB112_560
; %bb.559:
	v_ashrrev_i32_e32 v121, 31, v120
	s_delay_alu instid0(VALU_DEP_1)
	v_lshl_add_u64 v[128:129], v[120:121], 2, v[4:5]
	s_clause 0x1
	global_load_b32 v121, v[128:129], off
	global_load_b32 v127, v[4:5], off offset:104
	s_wait_loadcnt 0x1
	global_store_b32 v[4:5], v121, off offset:104
	s_wait_loadcnt 0x0
	global_store_b32 v[128:129], v127, off
.LBB112_560:
	s_wait_xcnt 0x0
	s_or_b32 exec_lo, exec_lo, s12
	v_dual_mov_b32 v128, v120 :: v_dual_mov_b32 v127, v120
.LBB112_561:
	s_or_b32 exec_lo, exec_lo, s1
.LBB112_562:
	s_and_not1_saveexec_b32 s0, s0
	s_cbranch_execz .LBB112_564
; %bb.563:
	v_mov_b32_e32 v128, 26
	ds_store_2addr_b64 v124, v[62:63], v[60:61] offset0:27 offset1:28
	ds_store_2addr_b64 v124, v[56:57], v[58:59] offset0:29 offset1:30
	;; [unrolled: 1-line block ×15, first 2 shown]
.LBB112_564:
	s_or_b32 exec_lo, exec_lo, s0
	s_delay_alu instid0(SALU_CYCLE_1)
	s_mov_b32 s0, exec_lo
	s_wait_storecnt_dscnt 0x0
	s_barrier_signal -1
	s_barrier_wait -1
	v_cmpx_lt_i32_e32 26, v128
	s_cbranch_execz .LBB112_566
; %bb.565:
	v_pk_mul_f32 v[130:131], v[122:123], v[66:67] op_sel:[1,1] op_sel_hi:[0,1]
	s_delay_alu instid0(VALU_DEP_1)
	v_pk_fma_f32 v[120:121], v[122:123], v[66:67], v[130:131] op_sel_hi:[1,0,1] neg_lo:[0,0,1] neg_hi:[0,0,1]
	v_pk_fma_f32 v[122:123], v[122:123], v[66:67], v[130:131] op_sel_hi:[1,0,1]
	ds_load_2addr_b64 v[130:133], v124 offset0:27 offset1:28
	v_dual_mov_b32 v66, v120 :: v_dual_mov_b32 v67, v123
	s_wait_dscnt 0x0
	v_pk_mul_f32 v[134:135], v[130:131], v[122:123] op_sel:[0,1]
	s_delay_alu instid0(VALU_DEP_1) | instskip(SKIP_1) | instid1(VALU_DEP_1)
	v_pk_fma_f32 v[136:137], v[130:131], v[120:121], v[134:135] op_sel:[0,0,1] op_sel_hi:[1,1,0] neg_lo:[0,0,1] neg_hi:[0,0,1]
	v_pk_fma_f32 v[130:131], v[130:131], v[120:121], v[134:135] op_sel:[0,0,1] op_sel_hi:[1,0,0]
	v_mov_b32_e32 v137, v131
	v_pk_mul_f32 v[130:131], v[132:133], v[122:123] op_sel:[0,1]
	s_delay_alu instid0(VALU_DEP_1) | instskip(SKIP_1) | instid1(VALU_DEP_1)
	v_pk_fma_f32 v[134:135], v[132:133], v[120:121], v[130:131] op_sel:[0,0,1] op_sel_hi:[1,1,0] neg_lo:[0,0,1] neg_hi:[0,0,1]
	v_pk_fma_f32 v[130:131], v[132:133], v[120:121], v[130:131] op_sel:[0,0,1] op_sel_hi:[1,0,0]
	v_mov_b32_e32 v135, v131
	ds_load_2addr_b64 v[130:133], v124 offset0:29 offset1:30
	v_pk_add_f32 v[62:63], v[62:63], v[136:137] neg_lo:[0,1] neg_hi:[0,1]
	v_pk_add_f32 v[60:61], v[60:61], v[134:135] neg_lo:[0,1] neg_hi:[0,1]
	s_wait_dscnt 0x0
	v_pk_mul_f32 v[134:135], v[130:131], v[122:123] op_sel:[0,1]
	s_delay_alu instid0(VALU_DEP_1) | instskip(SKIP_2) | instid1(VALU_DEP_2)
	v_pk_fma_f32 v[136:137], v[130:131], v[120:121], v[134:135] op_sel:[0,0,1] op_sel_hi:[1,1,0] neg_lo:[0,0,1] neg_hi:[0,0,1]
	v_pk_fma_f32 v[130:131], v[130:131], v[120:121], v[134:135] op_sel:[0,0,1] op_sel_hi:[1,0,0]
	v_dual_mul_f32 v134, v133, v123 :: v_dual_mov_b32 v130, v133
	v_dual_mov_b32 v137, v131 :: v_dual_mov_b32 v131, v132
	s_delay_alu instid0(VALU_DEP_2) | instskip(SKIP_1) | instid1(VALU_DEP_3)
	v_pk_fma_f32 v[134:135], v[132:133], v[66:67], v[134:135] op_sel_hi:[1,1,0] neg_lo:[0,0,1] neg_hi:[0,0,1]
	v_mul_f32_e32 v132, v133, v120
	v_pk_add_f32 v[56:57], v[56:57], v[136:137] neg_lo:[0,1] neg_hi:[0,1]
	s_delay_alu instid0(VALU_DEP_2) | instskip(NEXT) | instid1(VALU_DEP_1)
	v_pk_fma_f32 v[130:131], v[130:131], v[66:67], v[132:133] op_sel_hi:[1,1,0]
	v_mov_b32_e32 v135, v131
	ds_load_2addr_b64 v[130:133], v124 offset0:31 offset1:32
	v_pk_add_f32 v[58:59], v[58:59], v[134:135] neg_lo:[0,1] neg_hi:[0,1]
	s_wait_dscnt 0x0
	v_pk_mul_f32 v[134:135], v[130:131], v[122:123] op_sel:[0,1]
	s_delay_alu instid0(VALU_DEP_1) | instskip(SKIP_1) | instid1(VALU_DEP_1)
	v_pk_fma_f32 v[136:137], v[130:131], v[120:121], v[134:135] op_sel:[0,0,1] op_sel_hi:[1,1,0] neg_lo:[0,0,1] neg_hi:[0,0,1]
	v_pk_fma_f32 v[130:131], v[130:131], v[120:121], v[134:135] op_sel:[0,0,1] op_sel_hi:[1,0,0]
	v_mov_b32_e32 v137, v131
	v_pk_mul_f32 v[130:131], v[132:133], v[122:123] op_sel:[0,1]
	s_delay_alu instid0(VALU_DEP_1) | instskip(SKIP_1) | instid1(VALU_DEP_1)
	v_pk_fma_f32 v[134:135], v[132:133], v[120:121], v[130:131] op_sel:[0,0,1] op_sel_hi:[1,1,0] neg_lo:[0,0,1] neg_hi:[0,0,1]
	v_pk_fma_f32 v[130:131], v[132:133], v[120:121], v[130:131] op_sel:[0,0,1] op_sel_hi:[1,0,0]
	v_mov_b32_e32 v135, v131
	ds_load_2addr_b64 v[130:133], v124 offset0:33 offset1:34
	v_pk_add_f32 v[54:55], v[54:55], v[136:137] neg_lo:[0,1] neg_hi:[0,1]
	v_pk_add_f32 v[52:53], v[52:53], v[134:135] neg_lo:[0,1] neg_hi:[0,1]
	s_wait_dscnt 0x0
	v_pk_mul_f32 v[134:135], v[130:131], v[122:123] op_sel:[0,1]
	s_delay_alu instid0(VALU_DEP_1) | instskip(SKIP_1) | instid1(VALU_DEP_1)
	v_pk_fma_f32 v[136:137], v[130:131], v[120:121], v[134:135] op_sel:[0,0,1] op_sel_hi:[1,1,0] neg_lo:[0,0,1] neg_hi:[0,0,1]
	v_pk_fma_f32 v[130:131], v[130:131], v[120:121], v[134:135] op_sel:[0,0,1] op_sel_hi:[1,0,0]
	v_mov_b32_e32 v137, v131
	v_pk_mul_f32 v[130:131], v[132:133], v[122:123] op_sel:[0,1]
	s_delay_alu instid0(VALU_DEP_1) | instskip(SKIP_1) | instid1(VALU_DEP_1)
	v_pk_fma_f32 v[134:135], v[132:133], v[120:121], v[130:131] op_sel:[0,0,1] op_sel_hi:[1,1,0] neg_lo:[0,0,1] neg_hi:[0,0,1]
	v_pk_fma_f32 v[130:131], v[132:133], v[120:121], v[130:131] op_sel:[0,0,1] op_sel_hi:[1,0,0]
	v_mov_b32_e32 v135, v131
	ds_load_2addr_b64 v[130:133], v124 offset0:35 offset1:36
	v_pk_add_f32 v[48:49], v[48:49], v[136:137] neg_lo:[0,1] neg_hi:[0,1]
	v_pk_add_f32 v[50:51], v[50:51], v[134:135] neg_lo:[0,1] neg_hi:[0,1]
	s_wait_dscnt 0x0
	v_dual_mul_f32 v134, v131, v123 :: v_dual_mul_f32 v136, v131, v120
	s_delay_alu instid0(VALU_DEP_1) | instskip(NEXT) | instid1(VALU_DEP_2)
	v_pk_fma_f32 v[134:135], v[130:131], v[66:67], v[134:135] op_sel_hi:[1,1,0] neg_lo:[0,0,1] neg_hi:[0,0,1]
	v_pk_fma_f32 v[130:131], v[130:131], v[66:67], v[136:137] op_sel:[1,0,0] op_sel_hi:[0,1,0]
	s_delay_alu instid0(VALU_DEP_1) | instskip(SKIP_1) | instid1(VALU_DEP_2)
	v_mov_b32_e32 v135, v131
	v_pk_mul_f32 v[130:131], v[132:133], v[122:123] op_sel:[0,1]
	v_pk_add_f32 v[46:47], v[46:47], v[134:135] neg_lo:[0,1] neg_hi:[0,1]
	s_delay_alu instid0(VALU_DEP_2) | instskip(SKIP_1) | instid1(VALU_DEP_1)
	v_pk_fma_f32 v[134:135], v[132:133], v[120:121], v[130:131] op_sel:[0,0,1] op_sel_hi:[1,1,0] neg_lo:[0,0,1] neg_hi:[0,0,1]
	v_pk_fma_f32 v[130:131], v[132:133], v[120:121], v[130:131] op_sel:[0,0,1] op_sel_hi:[1,0,0]
	v_mov_b32_e32 v135, v131
	ds_load_2addr_b64 v[130:133], v124 offset0:37 offset1:38
	v_pk_add_f32 v[44:45], v[44:45], v[134:135] neg_lo:[0,1] neg_hi:[0,1]
	s_wait_dscnt 0x0
	v_pk_mul_f32 v[134:135], v[130:131], v[122:123] op_sel:[0,1]
	s_delay_alu instid0(VALU_DEP_1) | instskip(SKIP_1) | instid1(VALU_DEP_1)
	v_pk_fma_f32 v[136:137], v[130:131], v[120:121], v[134:135] op_sel:[0,0,1] op_sel_hi:[1,1,0] neg_lo:[0,0,1] neg_hi:[0,0,1]
	v_pk_fma_f32 v[130:131], v[130:131], v[120:121], v[134:135] op_sel:[0,0,1] op_sel_hi:[1,0,0]
	v_mov_b32_e32 v137, v131
	v_pk_mul_f32 v[130:131], v[132:133], v[122:123] op_sel:[0,1]
	s_delay_alu instid0(VALU_DEP_2) | instskip(NEXT) | instid1(VALU_DEP_2)
	v_pk_add_f32 v[40:41], v[40:41], v[136:137] neg_lo:[0,1] neg_hi:[0,1]
	v_pk_fma_f32 v[134:135], v[132:133], v[120:121], v[130:131] op_sel:[0,0,1] op_sel_hi:[1,1,0] neg_lo:[0,0,1] neg_hi:[0,0,1]
	v_pk_fma_f32 v[130:131], v[132:133], v[120:121], v[130:131] op_sel:[0,0,1] op_sel_hi:[1,0,0]
	s_delay_alu instid0(VALU_DEP_1) | instskip(SKIP_4) | instid1(VALU_DEP_1)
	v_mov_b32_e32 v135, v131
	ds_load_2addr_b64 v[130:133], v124 offset0:39 offset1:40
	v_pk_add_f32 v[42:43], v[42:43], v[134:135] neg_lo:[0,1] neg_hi:[0,1]
	s_wait_dscnt 0x0
	v_pk_mul_f32 v[134:135], v[130:131], v[122:123] op_sel:[0,1]
	v_pk_fma_f32 v[136:137], v[130:131], v[120:121], v[134:135] op_sel:[0,0,1] op_sel_hi:[1,1,0] neg_lo:[0,0,1] neg_hi:[0,0,1]
	v_pk_fma_f32 v[130:131], v[130:131], v[120:121], v[134:135] op_sel:[0,0,1] op_sel_hi:[1,0,0]
	v_dual_mul_f32 v134, v133, v123 :: v_dual_mov_b32 v130, v133
	s_delay_alu instid0(VALU_DEP_2) | instskip(NEXT) | instid1(VALU_DEP_2)
	v_dual_mov_b32 v137, v131 :: v_dual_mov_b32 v131, v132
	v_pk_fma_f32 v[134:135], v[132:133], v[66:67], v[134:135] op_sel_hi:[1,1,0] neg_lo:[0,0,1] neg_hi:[0,0,1]
	v_mul_f32_e32 v132, v133, v120
	s_delay_alu instid0(VALU_DEP_3) | instskip(NEXT) | instid1(VALU_DEP_2)
	v_pk_add_f32 v[38:39], v[38:39], v[136:137] neg_lo:[0,1] neg_hi:[0,1]
	v_pk_fma_f32 v[130:131], v[130:131], v[66:67], v[132:133] op_sel_hi:[1,1,0]
	s_delay_alu instid0(VALU_DEP_1) | instskip(SKIP_4) | instid1(VALU_DEP_1)
	v_mov_b32_e32 v135, v131
	ds_load_2addr_b64 v[130:133], v124 offset0:41 offset1:42
	v_pk_add_f32 v[36:37], v[36:37], v[134:135] neg_lo:[0,1] neg_hi:[0,1]
	s_wait_dscnt 0x0
	v_pk_mul_f32 v[134:135], v[130:131], v[122:123] op_sel:[0,1]
	v_pk_fma_f32 v[136:137], v[130:131], v[120:121], v[134:135] op_sel:[0,0,1] op_sel_hi:[1,1,0] neg_lo:[0,0,1] neg_hi:[0,0,1]
	v_pk_fma_f32 v[130:131], v[130:131], v[120:121], v[134:135] op_sel:[0,0,1] op_sel_hi:[1,0,0]
	s_delay_alu instid0(VALU_DEP_1) | instskip(SKIP_1) | instid1(VALU_DEP_1)
	v_mov_b32_e32 v137, v131
	v_pk_mul_f32 v[130:131], v[132:133], v[122:123] op_sel:[0,1]
	v_pk_fma_f32 v[134:135], v[132:133], v[120:121], v[130:131] op_sel:[0,0,1] op_sel_hi:[1,1,0] neg_lo:[0,0,1] neg_hi:[0,0,1]
	v_pk_fma_f32 v[130:131], v[132:133], v[120:121], v[130:131] op_sel:[0,0,1] op_sel_hi:[1,0,0]
	s_delay_alu instid0(VALU_DEP_1)
	v_mov_b32_e32 v135, v131
	ds_load_2addr_b64 v[130:133], v124 offset0:43 offset1:44
	v_pk_add_f32 v[32:33], v[32:33], v[136:137] neg_lo:[0,1] neg_hi:[0,1]
	v_pk_add_f32 v[34:35], v[34:35], v[134:135] neg_lo:[0,1] neg_hi:[0,1]
	s_wait_dscnt 0x0
	v_pk_mul_f32 v[134:135], v[130:131], v[122:123] op_sel:[0,1]
	s_delay_alu instid0(VALU_DEP_1) | instskip(SKIP_1) | instid1(VALU_DEP_1)
	v_pk_fma_f32 v[136:137], v[130:131], v[120:121], v[134:135] op_sel:[0,0,1] op_sel_hi:[1,1,0] neg_lo:[0,0,1] neg_hi:[0,0,1]
	v_pk_fma_f32 v[130:131], v[130:131], v[120:121], v[134:135] op_sel:[0,0,1] op_sel_hi:[1,0,0]
	v_mov_b32_e32 v137, v131
	v_pk_mul_f32 v[130:131], v[132:133], v[122:123] op_sel:[0,1]
	s_delay_alu instid0(VALU_DEP_1) | instskip(SKIP_1) | instid1(VALU_DEP_1)
	v_pk_fma_f32 v[134:135], v[132:133], v[120:121], v[130:131] op_sel:[0,0,1] op_sel_hi:[1,1,0] neg_lo:[0,0,1] neg_hi:[0,0,1]
	v_pk_fma_f32 v[130:131], v[132:133], v[120:121], v[130:131] op_sel:[0,0,1] op_sel_hi:[1,0,0]
	v_mov_b32_e32 v135, v131
	ds_load_2addr_b64 v[130:133], v124 offset0:45 offset1:46
	v_pk_add_f32 v[30:31], v[30:31], v[136:137] neg_lo:[0,1] neg_hi:[0,1]
	v_pk_add_f32 v[26:27], v[26:27], v[134:135] neg_lo:[0,1] neg_hi:[0,1]
	s_wait_dscnt 0x0
	v_dual_mul_f32 v134, v131, v123 :: v_dual_mul_f32 v136, v131, v120
	s_delay_alu instid0(VALU_DEP_1) | instskip(NEXT) | instid1(VALU_DEP_2)
	v_pk_fma_f32 v[134:135], v[130:131], v[66:67], v[134:135] op_sel_hi:[1,1,0] neg_lo:[0,0,1] neg_hi:[0,0,1]
	v_pk_fma_f32 v[130:131], v[130:131], v[66:67], v[136:137] op_sel:[1,0,0] op_sel_hi:[0,1,0]
	s_delay_alu instid0(VALU_DEP_1) | instskip(SKIP_1) | instid1(VALU_DEP_2)
	v_mov_b32_e32 v135, v131
	v_pk_mul_f32 v[130:131], v[132:133], v[122:123] op_sel:[0,1]
	v_pk_add_f32 v[22:23], v[22:23], v[134:135] neg_lo:[0,1] neg_hi:[0,1]
	s_delay_alu instid0(VALU_DEP_2) | instskip(SKIP_1) | instid1(VALU_DEP_1)
	v_pk_fma_f32 v[134:135], v[132:133], v[120:121], v[130:131] op_sel:[0,0,1] op_sel_hi:[1,1,0] neg_lo:[0,0,1] neg_hi:[0,0,1]
	v_pk_fma_f32 v[130:131], v[132:133], v[120:121], v[130:131] op_sel:[0,0,1] op_sel_hi:[1,0,0]
	v_mov_b32_e32 v135, v131
	ds_load_2addr_b64 v[130:133], v124 offset0:47 offset1:48
	v_pk_add_f32 v[24:25], v[24:25], v[134:135] neg_lo:[0,1] neg_hi:[0,1]
	s_wait_dscnt 0x0
	v_pk_mul_f32 v[134:135], v[130:131], v[122:123] op_sel:[0,1]
	s_delay_alu instid0(VALU_DEP_1) | instskip(SKIP_1) | instid1(VALU_DEP_1)
	v_pk_fma_f32 v[136:137], v[130:131], v[120:121], v[134:135] op_sel:[0,0,1] op_sel_hi:[1,1,0] neg_lo:[0,0,1] neg_hi:[0,0,1]
	v_pk_fma_f32 v[130:131], v[130:131], v[120:121], v[134:135] op_sel:[0,0,1] op_sel_hi:[1,0,0]
	v_mov_b32_e32 v137, v131
	v_pk_mul_f32 v[130:131], v[132:133], v[122:123] op_sel:[0,1]
	s_delay_alu instid0(VALU_DEP_2) | instskip(NEXT) | instid1(VALU_DEP_2)
	v_pk_add_f32 v[20:21], v[20:21], v[136:137] neg_lo:[0,1] neg_hi:[0,1]
	v_pk_fma_f32 v[134:135], v[132:133], v[120:121], v[130:131] op_sel:[0,0,1] op_sel_hi:[1,1,0] neg_lo:[0,0,1] neg_hi:[0,0,1]
	v_pk_fma_f32 v[130:131], v[132:133], v[120:121], v[130:131] op_sel:[0,0,1] op_sel_hi:[1,0,0]
	s_delay_alu instid0(VALU_DEP_1) | instskip(SKIP_4) | instid1(VALU_DEP_1)
	v_mov_b32_e32 v135, v131
	ds_load_2addr_b64 v[130:133], v124 offset0:49 offset1:50
	v_pk_add_f32 v[14:15], v[14:15], v[134:135] neg_lo:[0,1] neg_hi:[0,1]
	s_wait_dscnt 0x0
	v_pk_mul_f32 v[134:135], v[130:131], v[122:123] op_sel:[0,1]
	v_pk_fma_f32 v[136:137], v[130:131], v[120:121], v[134:135] op_sel:[0,0,1] op_sel_hi:[1,1,0] neg_lo:[0,0,1] neg_hi:[0,0,1]
	v_pk_fma_f32 v[130:131], v[130:131], v[120:121], v[134:135] op_sel:[0,0,1] op_sel_hi:[1,0,0]
	v_dual_mul_f32 v134, v133, v123 :: v_dual_mov_b32 v130, v133
	s_delay_alu instid0(VALU_DEP_2) | instskip(NEXT) | instid1(VALU_DEP_2)
	v_dual_mov_b32 v137, v131 :: v_dual_mov_b32 v131, v132
	v_pk_fma_f32 v[134:135], v[132:133], v[66:67], v[134:135] op_sel_hi:[1,1,0] neg_lo:[0,0,1] neg_hi:[0,0,1]
	v_mul_f32_e32 v132, v133, v120
	s_delay_alu instid0(VALU_DEP_3) | instskip(NEXT) | instid1(VALU_DEP_2)
	v_pk_add_f32 v[10:11], v[10:11], v[136:137] neg_lo:[0,1] neg_hi:[0,1]
	v_pk_fma_f32 v[130:131], v[130:131], v[66:67], v[132:133] op_sel_hi:[1,1,0]
	s_delay_alu instid0(VALU_DEP_1) | instskip(SKIP_4) | instid1(VALU_DEP_1)
	v_mov_b32_e32 v135, v131
	ds_load_2addr_b64 v[130:133], v124 offset0:51 offset1:52
	v_pk_add_f32 v[12:13], v[12:13], v[134:135] neg_lo:[0,1] neg_hi:[0,1]
	s_wait_dscnt 0x0
	v_pk_mul_f32 v[134:135], v[130:131], v[122:123] op_sel:[0,1]
	v_pk_fma_f32 v[136:137], v[130:131], v[120:121], v[134:135] op_sel:[0,0,1] op_sel_hi:[1,1,0] neg_lo:[0,0,1] neg_hi:[0,0,1]
	v_pk_fma_f32 v[130:131], v[130:131], v[120:121], v[134:135] op_sel:[0,0,1] op_sel_hi:[1,0,0]
	s_delay_alu instid0(VALU_DEP_1) | instskip(SKIP_1) | instid1(VALU_DEP_1)
	v_mov_b32_e32 v137, v131
	v_pk_mul_f32 v[130:131], v[132:133], v[122:123] op_sel:[0,1]
	v_pk_fma_f32 v[134:135], v[132:133], v[120:121], v[130:131] op_sel:[0,0,1] op_sel_hi:[1,1,0] neg_lo:[0,0,1] neg_hi:[0,0,1]
	v_pk_fma_f32 v[130:131], v[132:133], v[120:121], v[130:131] op_sel:[0,0,1] op_sel_hi:[1,0,0]
	s_delay_alu instid0(VALU_DEP_1)
	v_mov_b32_e32 v135, v131
	ds_load_2addr_b64 v[130:133], v124 offset0:53 offset1:54
	v_pk_add_f32 v[8:9], v[8:9], v[136:137] neg_lo:[0,1] neg_hi:[0,1]
	v_pk_add_f32 v[6:7], v[6:7], v[134:135] neg_lo:[0,1] neg_hi:[0,1]
	s_wait_dscnt 0x0
	v_pk_mul_f32 v[134:135], v[130:131], v[122:123] op_sel:[0,1]
	s_delay_alu instid0(VALU_DEP_1) | instskip(SKIP_1) | instid1(VALU_DEP_1)
	v_pk_fma_f32 v[136:137], v[130:131], v[120:121], v[134:135] op_sel:[0,0,1] op_sel_hi:[1,1,0] neg_lo:[0,0,1] neg_hi:[0,0,1]
	v_pk_fma_f32 v[130:131], v[130:131], v[120:121], v[134:135] op_sel:[0,0,1] op_sel_hi:[1,0,0]
	v_mov_b32_e32 v137, v131
	v_pk_mul_f32 v[130:131], v[132:133], v[122:123] op_sel:[0,1]
	s_delay_alu instid0(VALU_DEP_1) | instskip(SKIP_1) | instid1(VALU_DEP_1)
	v_pk_fma_f32 v[134:135], v[132:133], v[120:121], v[130:131] op_sel:[0,0,1] op_sel_hi:[1,1,0] neg_lo:[0,0,1] neg_hi:[0,0,1]
	v_pk_fma_f32 v[130:131], v[132:133], v[120:121], v[130:131] op_sel:[0,0,1] op_sel_hi:[1,0,0]
	v_mov_b32_e32 v135, v131
	ds_load_2addr_b64 v[130:133], v124 offset0:55 offset1:56
	v_pk_add_f32 v[28:29], v[28:29], v[136:137] neg_lo:[0,1] neg_hi:[0,1]
	v_pk_add_f32 v[18:19], v[18:19], v[134:135] neg_lo:[0,1] neg_hi:[0,1]
	s_wait_dscnt 0x0
	v_mul_f32_e32 v122, v131, v123
	s_delay_alu instid0(VALU_DEP_1) | instskip(SKIP_1) | instid1(VALU_DEP_1)
	v_pk_fma_f32 v[134:135], v[130:131], v[66:67], v[122:123] op_sel_hi:[1,1,0] neg_lo:[0,0,1] neg_hi:[0,0,1]
	v_dual_mul_f32 v122, v131, v120 :: v_dual_mul_f32 v120, v133, v120
	v_pk_fma_f32 v[130:131], v[130:131], v[66:67], v[122:123] op_sel:[1,0,0] op_sel_hi:[0,1,0]
	v_dual_mov_b32 v130, v133 :: v_dual_mul_f32 v122, v133, v123
	s_delay_alu instid0(VALU_DEP_2) | instskip(NEXT) | instid1(VALU_DEP_2)
	v_dual_mov_b32 v135, v131 :: v_dual_mov_b32 v131, v132
	v_pk_fma_f32 v[122:123], v[132:133], v[66:67], v[122:123] op_sel_hi:[1,1,0] neg_lo:[0,0,1] neg_hi:[0,0,1]
	s_delay_alu instid0(VALU_DEP_2) | instskip(NEXT) | instid1(VALU_DEP_3)
	v_pk_add_f32 v[16:17], v[16:17], v[134:135] neg_lo:[0,1] neg_hi:[0,1]
	v_pk_fma_f32 v[120:121], v[130:131], v[66:67], v[120:121] op_sel_hi:[1,1,0]
	s_delay_alu instid0(VALU_DEP_1) | instskip(NEXT) | instid1(VALU_DEP_1)
	v_mov_b32_e32 v123, v121
	v_pk_add_f32 v[118:119], v[118:119], v[122:123] neg_lo:[0,1] neg_hi:[0,1]
.LBB112_566:
	s_or_b32 exec_lo, exec_lo, s0
	v_lshl_add_u32 v120, v128, 3, v124
	s_barrier_signal -1
	s_barrier_wait -1
	ds_store_b64 v120, v[62:63]
	s_wait_dscnt 0x0
	s_barrier_signal -1
	s_barrier_wait -1
	ds_load_b64 v[122:123], v124 offset:216
	v_mov_b32_e32 v120, 27
	s_cmp_lt_i32 s18, 29
	s_cbranch_scc1 .LBB112_569
; %bb.567:
	v_add3_u32 v121, v125, 0, 0xe0
	v_mov_b32_e32 v120, 27
	s_mov_b32 s0, 28
.LBB112_568:                            ; =>This Inner Loop Header: Depth=1
	ds_load_b64 v[130:131], v121
	s_wait_dscnt 0x1
	v_cmp_gt_f32_e32 vcc_lo, 0, v122
	v_cndmask_b32_e64 v132, v122, -v122, vcc_lo
	v_cmp_gt_f32_e32 vcc_lo, 0, v123
	v_cndmask_b32_e64 v134, v123, -v123, vcc_lo
	s_wait_dscnt 0x0
	v_cmp_gt_f32_e32 vcc_lo, 0, v130
	v_cndmask_b32_e64 v133, v130, -v130, vcc_lo
	v_cmp_gt_f32_e32 vcc_lo, 0, v131
	v_cndmask_b32_e64 v135, v131, -v131, vcc_lo
	s_delay_alu instid0(VALU_DEP_1) | instskip(NEXT) | instid1(VALU_DEP_1)
	v_pk_add_f32 v[132:133], v[132:133], v[134:135]
	v_cmp_lt_f32_e32 vcc_lo, v132, v133
	v_dual_add_nc_u32 v121, 8, v121 :: v_dual_cndmask_b32 v123, v123, v131, vcc_lo
	v_cndmask_b32_e32 v122, v122, v130, vcc_lo
	v_cndmask_b32_e64 v120, v120, s0, vcc_lo
	s_add_co_i32 s0, s0, 1
	s_delay_alu instid0(SALU_CYCLE_1)
	s_cmp_lg_u32 s18, s0
	s_cbranch_scc1 .LBB112_568
.LBB112_569:
	s_wait_dscnt 0x0
	v_cmp_eq_f32_e32 vcc_lo, 0, v122
	v_cmp_eq_f32_e64 s0, 0, v123
	s_and_b32 s0, vcc_lo, s0
	s_delay_alu instid0(SALU_CYCLE_1) | instskip(NEXT) | instid1(SALU_CYCLE_1)
	s_and_saveexec_b32 s1, s0
	s_xor_b32 s0, exec_lo, s1
; %bb.570:
	v_cmp_ne_u32_e32 vcc_lo, 0, v126
	v_cndmask_b32_e32 v126, 28, v126, vcc_lo
; %bb.571:
	s_and_not1_saveexec_b32 s0, s0
	s_cbranch_execz .LBB112_577
; %bb.572:
	v_cmp_ngt_f32_e64 s1, |v122|, |v123|
	s_and_saveexec_b32 s12, s1
	s_delay_alu instid0(SALU_CYCLE_1)
	s_xor_b32 s1, exec_lo, s12
	s_cbranch_execz .LBB112_574
; %bb.573:
	v_div_scale_f32 v121, null, v123, v123, v122
	v_div_scale_f32 v131, vcc_lo, v122, v123, v122
	s_delay_alu instid0(VALU_DEP_2) | instskip(SKIP_1) | instid1(TRANS32_DEP_1)
	v_rcp_f32_e32 v129, v121
	v_nop
	v_fma_f32 v130, -v121, v129, 1.0
	s_delay_alu instid0(VALU_DEP_1) | instskip(NEXT) | instid1(VALU_DEP_1)
	v_fmac_f32_e32 v129, v130, v129
	v_mul_f32_e32 v130, v131, v129
	s_delay_alu instid0(VALU_DEP_1) | instskip(NEXT) | instid1(VALU_DEP_1)
	v_fma_f32 v132, -v121, v130, v131
	v_fmac_f32_e32 v130, v132, v129
	s_delay_alu instid0(VALU_DEP_1) | instskip(NEXT) | instid1(VALU_DEP_1)
	v_fma_f32 v121, -v121, v130, v131
	v_div_fmas_f32 v121, v121, v129, v130
	s_delay_alu instid0(VALU_DEP_1) | instskip(NEXT) | instid1(VALU_DEP_1)
	v_div_fixup_f32 v121, v121, v123, v122
	v_fmac_f32_e32 v123, v122, v121
	s_delay_alu instid0(VALU_DEP_1) | instskip(SKIP_1) | instid1(VALU_DEP_2)
	v_div_scale_f32 v122, null, v123, v123, 1.0
	v_div_scale_f32 v131, vcc_lo, 1.0, v123, 1.0
	v_rcp_f32_e32 v129, v122
	v_nop
	s_delay_alu instid0(TRANS32_DEP_1) | instskip(NEXT) | instid1(VALU_DEP_1)
	v_fma_f32 v130, -v122, v129, 1.0
	v_fmac_f32_e32 v129, v130, v129
	s_delay_alu instid0(VALU_DEP_1) | instskip(NEXT) | instid1(VALU_DEP_1)
	v_mul_f32_e32 v130, v131, v129
	v_fma_f32 v132, -v122, v130, v131
	s_delay_alu instid0(VALU_DEP_1) | instskip(NEXT) | instid1(VALU_DEP_1)
	v_fmac_f32_e32 v130, v132, v129
	v_fma_f32 v122, -v122, v130, v131
	s_delay_alu instid0(VALU_DEP_1) | instskip(NEXT) | instid1(VALU_DEP_1)
	v_div_fmas_f32 v122, v122, v129, v130
	v_div_fixup_f32 v123, v122, v123, 1.0
	s_delay_alu instid0(VALU_DEP_1)
	v_mul_f32_e32 v122, v121, v123
	v_xor_b32_e32 v123, 0x80000000, v123
.LBB112_574:
	s_and_not1_saveexec_b32 s1, s1
	s_cbranch_execz .LBB112_576
; %bb.575:
	s_delay_alu instid0(VALU_DEP_1) | instskip(SKIP_1) | instid1(VALU_DEP_2)
	v_div_scale_f32 v121, null, v122, v122, v123
	v_div_scale_f32 v131, vcc_lo, v123, v122, v123
	v_rcp_f32_e32 v129, v121
	v_nop
	s_delay_alu instid0(TRANS32_DEP_1) | instskip(NEXT) | instid1(VALU_DEP_1)
	v_fma_f32 v130, -v121, v129, 1.0
	v_fmac_f32_e32 v129, v130, v129
	s_delay_alu instid0(VALU_DEP_1) | instskip(NEXT) | instid1(VALU_DEP_1)
	v_mul_f32_e32 v130, v131, v129
	v_fma_f32 v132, -v121, v130, v131
	s_delay_alu instid0(VALU_DEP_1) | instskip(NEXT) | instid1(VALU_DEP_1)
	v_fmac_f32_e32 v130, v132, v129
	v_fma_f32 v121, -v121, v130, v131
	s_delay_alu instid0(VALU_DEP_1) | instskip(NEXT) | instid1(VALU_DEP_1)
	v_div_fmas_f32 v121, v121, v129, v130
	v_div_fixup_f32 v121, v121, v122, v123
	s_delay_alu instid0(VALU_DEP_1) | instskip(NEXT) | instid1(VALU_DEP_1)
	v_fmac_f32_e32 v122, v123, v121
	v_div_scale_f32 v123, null, v122, v122, 1.0
	s_delay_alu instid0(VALU_DEP_1) | instskip(SKIP_1) | instid1(TRANS32_DEP_1)
	v_rcp_f32_e32 v129, v123
	v_nop
	v_fma_f32 v130, -v123, v129, 1.0
	s_delay_alu instid0(VALU_DEP_1) | instskip(SKIP_1) | instid1(VALU_DEP_1)
	v_fmac_f32_e32 v129, v130, v129
	v_div_scale_f32 v130, vcc_lo, 1.0, v122, 1.0
	v_mul_f32_e32 v131, v130, v129
	s_delay_alu instid0(VALU_DEP_1) | instskip(NEXT) | instid1(VALU_DEP_1)
	v_fma_f32 v132, -v123, v131, v130
	v_fmac_f32_e32 v131, v132, v129
	s_delay_alu instid0(VALU_DEP_1) | instskip(NEXT) | instid1(VALU_DEP_1)
	v_fma_f32 v123, -v123, v131, v130
	v_div_fmas_f32 v123, v123, v129, v131
	s_delay_alu instid0(VALU_DEP_1) | instskip(NEXT) | instid1(VALU_DEP_1)
	v_div_fixup_f32 v122, v123, v122, 1.0
	v_mul_f32_e64 v123, v121, -v122
.LBB112_576:
	s_or_b32 exec_lo, exec_lo, s1
.LBB112_577:
	s_delay_alu instid0(SALU_CYCLE_1) | instskip(NEXT) | instid1(SALU_CYCLE_1)
	s_or_b32 exec_lo, exec_lo, s0
	s_mov_b32 s0, exec_lo
	v_cmpx_ne_u32_e64 v128, v120
	s_xor_b32 s0, exec_lo, s0
	s_cbranch_execz .LBB112_583
; %bb.578:
	s_mov_b32 s1, exec_lo
	v_cmpx_eq_u32_e32 27, v128
	s_cbranch_execz .LBB112_582
; %bb.579:
	v_cmp_ne_u32_e32 vcc_lo, 27, v120
	s_xor_b32 s12, s16, -1
	s_delay_alu instid0(SALU_CYCLE_1) | instskip(NEXT) | instid1(SALU_CYCLE_1)
	s_and_b32 s13, s12, vcc_lo
	s_and_saveexec_b32 s12, s13
	s_cbranch_execz .LBB112_581
; %bb.580:
	v_ashrrev_i32_e32 v121, 31, v120
	s_delay_alu instid0(VALU_DEP_1)
	v_lshl_add_u64 v[128:129], v[120:121], 2, v[4:5]
	s_clause 0x1
	global_load_b32 v121, v[128:129], off
	global_load_b32 v127, v[4:5], off offset:108
	s_wait_loadcnt 0x1
	global_store_b32 v[4:5], v121, off offset:108
	s_wait_loadcnt 0x0
	global_store_b32 v[128:129], v127, off
.LBB112_581:
	s_wait_xcnt 0x0
	s_or_b32 exec_lo, exec_lo, s12
	v_dual_mov_b32 v128, v120 :: v_dual_mov_b32 v127, v120
.LBB112_582:
	s_or_b32 exec_lo, exec_lo, s1
.LBB112_583:
	s_and_not1_saveexec_b32 s0, s0
	s_cbranch_execz .LBB112_585
; %bb.584:
	v_dual_mov_b32 v120, v60 :: v_dual_mov_b32 v121, v61
	v_dual_mov_b32 v128, v56 :: v_dual_mov_b32 v129, v57
	ds_store_2addr_b64 v124, v[120:121], v[128:129] offset0:28 offset1:29
	v_dual_mov_b32 v120, v58 :: v_dual_mov_b32 v121, v59
	v_dual_mov_b32 v128, v54 :: v_dual_mov_b32 v129, v55
	ds_store_2addr_b64 v124, v[120:121], v[128:129] offset0:30 offset1:31
	;; [unrolled: 3-line block ×14, first 2 shown]
	ds_store_b64 v124, v[118:119] offset:448
	v_mov_b32_e32 v128, 27
.LBB112_585:
	s_or_b32 exec_lo, exec_lo, s0
	s_delay_alu instid0(SALU_CYCLE_1)
	s_mov_b32 s0, exec_lo
	s_wait_storecnt_dscnt 0x0
	s_barrier_signal -1
	s_barrier_wait -1
	v_cmpx_lt_i32_e32 27, v128
	s_cbranch_execz .LBB112_587
; %bb.586:
	v_pk_mul_f32 v[130:131], v[122:123], v[62:63] op_sel:[1,1] op_sel_hi:[0,1]
	s_delay_alu instid0(VALU_DEP_1)
	v_pk_fma_f32 v[120:121], v[122:123], v[62:63], v[130:131] op_sel_hi:[1,0,1] neg_lo:[0,0,1] neg_hi:[0,0,1]
	v_pk_fma_f32 v[122:123], v[122:123], v[62:63], v[130:131] op_sel_hi:[1,0,1]
	ds_load_2addr_b64 v[130:133], v124 offset0:28 offset1:29
	v_dual_mov_b32 v62, v120 :: v_dual_mov_b32 v63, v123
	s_wait_dscnt 0x0
	v_pk_mul_f32 v[134:135], v[130:131], v[122:123] op_sel:[0,1]
	s_delay_alu instid0(VALU_DEP_1) | instskip(SKIP_1) | instid1(VALU_DEP_1)
	v_pk_fma_f32 v[136:137], v[130:131], v[120:121], v[134:135] op_sel:[0,0,1] op_sel_hi:[1,1,0] neg_lo:[0,0,1] neg_hi:[0,0,1]
	v_pk_fma_f32 v[130:131], v[130:131], v[120:121], v[134:135] op_sel:[0,0,1] op_sel_hi:[1,0,0]
	v_mov_b32_e32 v137, v131
	v_pk_mul_f32 v[130:131], v[132:133], v[122:123] op_sel:[0,1]
	s_delay_alu instid0(VALU_DEP_1) | instskip(SKIP_1) | instid1(VALU_DEP_1)
	v_pk_fma_f32 v[134:135], v[132:133], v[120:121], v[130:131] op_sel:[0,0,1] op_sel_hi:[1,1,0] neg_lo:[0,0,1] neg_hi:[0,0,1]
	v_pk_fma_f32 v[130:131], v[132:133], v[120:121], v[130:131] op_sel:[0,0,1] op_sel_hi:[1,0,0]
	v_mov_b32_e32 v135, v131
	ds_load_2addr_b64 v[130:133], v124 offset0:30 offset1:31
	v_pk_add_f32 v[60:61], v[60:61], v[136:137] neg_lo:[0,1] neg_hi:[0,1]
	v_pk_add_f32 v[56:57], v[56:57], v[134:135] neg_lo:[0,1] neg_hi:[0,1]
	s_wait_dscnt 0x0
	v_pk_mul_f32 v[134:135], v[130:131], v[122:123] op_sel:[0,1]
	s_delay_alu instid0(VALU_DEP_1) | instskip(SKIP_2) | instid1(VALU_DEP_2)
	v_pk_fma_f32 v[136:137], v[130:131], v[120:121], v[134:135] op_sel:[0,0,1] op_sel_hi:[1,1,0] neg_lo:[0,0,1] neg_hi:[0,0,1]
	v_pk_fma_f32 v[130:131], v[130:131], v[120:121], v[134:135] op_sel:[0,0,1] op_sel_hi:[1,0,0]
	v_dual_mul_f32 v134, v133, v123 :: v_dual_mov_b32 v130, v133
	v_dual_mov_b32 v137, v131 :: v_dual_mov_b32 v131, v132
	s_delay_alu instid0(VALU_DEP_2) | instskip(SKIP_1) | instid1(VALU_DEP_3)
	v_pk_fma_f32 v[134:135], v[132:133], v[62:63], v[134:135] op_sel_hi:[1,1,0] neg_lo:[0,0,1] neg_hi:[0,0,1]
	v_mul_f32_e32 v132, v133, v120
	v_pk_add_f32 v[58:59], v[58:59], v[136:137] neg_lo:[0,1] neg_hi:[0,1]
	s_delay_alu instid0(VALU_DEP_2) | instskip(NEXT) | instid1(VALU_DEP_1)
	v_pk_fma_f32 v[130:131], v[130:131], v[62:63], v[132:133] op_sel_hi:[1,1,0]
	v_mov_b32_e32 v135, v131
	ds_load_2addr_b64 v[130:133], v124 offset0:32 offset1:33
	v_pk_add_f32 v[54:55], v[54:55], v[134:135] neg_lo:[0,1] neg_hi:[0,1]
	s_wait_dscnt 0x0
	v_pk_mul_f32 v[134:135], v[130:131], v[122:123] op_sel:[0,1]
	s_delay_alu instid0(VALU_DEP_1) | instskip(SKIP_1) | instid1(VALU_DEP_1)
	v_pk_fma_f32 v[136:137], v[130:131], v[120:121], v[134:135] op_sel:[0,0,1] op_sel_hi:[1,1,0] neg_lo:[0,0,1] neg_hi:[0,0,1]
	v_pk_fma_f32 v[130:131], v[130:131], v[120:121], v[134:135] op_sel:[0,0,1] op_sel_hi:[1,0,0]
	v_mov_b32_e32 v137, v131
	v_pk_mul_f32 v[130:131], v[132:133], v[122:123] op_sel:[0,1]
	s_delay_alu instid0(VALU_DEP_1) | instskip(SKIP_1) | instid1(VALU_DEP_1)
	v_pk_fma_f32 v[134:135], v[132:133], v[120:121], v[130:131] op_sel:[0,0,1] op_sel_hi:[1,1,0] neg_lo:[0,0,1] neg_hi:[0,0,1]
	v_pk_fma_f32 v[130:131], v[132:133], v[120:121], v[130:131] op_sel:[0,0,1] op_sel_hi:[1,0,0]
	v_mov_b32_e32 v135, v131
	ds_load_2addr_b64 v[130:133], v124 offset0:34 offset1:35
	v_pk_add_f32 v[52:53], v[52:53], v[136:137] neg_lo:[0,1] neg_hi:[0,1]
	v_pk_add_f32 v[48:49], v[48:49], v[134:135] neg_lo:[0,1] neg_hi:[0,1]
	s_wait_dscnt 0x0
	v_pk_mul_f32 v[134:135], v[130:131], v[122:123] op_sel:[0,1]
	s_delay_alu instid0(VALU_DEP_1) | instskip(SKIP_1) | instid1(VALU_DEP_1)
	v_pk_fma_f32 v[136:137], v[130:131], v[120:121], v[134:135] op_sel:[0,0,1] op_sel_hi:[1,1,0] neg_lo:[0,0,1] neg_hi:[0,0,1]
	v_pk_fma_f32 v[130:131], v[130:131], v[120:121], v[134:135] op_sel:[0,0,1] op_sel_hi:[1,0,0]
	v_mov_b32_e32 v137, v131
	v_pk_mul_f32 v[130:131], v[132:133], v[122:123] op_sel:[0,1]
	s_delay_alu instid0(VALU_DEP_1) | instskip(SKIP_1) | instid1(VALU_DEP_1)
	v_pk_fma_f32 v[134:135], v[132:133], v[120:121], v[130:131] op_sel:[0,0,1] op_sel_hi:[1,1,0] neg_lo:[0,0,1] neg_hi:[0,0,1]
	v_pk_fma_f32 v[130:131], v[132:133], v[120:121], v[130:131] op_sel:[0,0,1] op_sel_hi:[1,0,0]
	v_mov_b32_e32 v135, v131
	ds_load_2addr_b64 v[130:133], v124 offset0:36 offset1:37
	v_pk_add_f32 v[50:51], v[50:51], v[136:137] neg_lo:[0,1] neg_hi:[0,1]
	v_pk_add_f32 v[46:47], v[46:47], v[134:135] neg_lo:[0,1] neg_hi:[0,1]
	s_wait_dscnt 0x0
	v_dual_mul_f32 v134, v131, v123 :: v_dual_mul_f32 v136, v131, v120
	s_delay_alu instid0(VALU_DEP_1) | instskip(NEXT) | instid1(VALU_DEP_2)
	v_pk_fma_f32 v[134:135], v[130:131], v[62:63], v[134:135] op_sel_hi:[1,1,0] neg_lo:[0,0,1] neg_hi:[0,0,1]
	v_pk_fma_f32 v[130:131], v[130:131], v[62:63], v[136:137] op_sel:[1,0,0] op_sel_hi:[0,1,0]
	s_delay_alu instid0(VALU_DEP_1) | instskip(SKIP_1) | instid1(VALU_DEP_2)
	v_mov_b32_e32 v135, v131
	v_pk_mul_f32 v[130:131], v[132:133], v[122:123] op_sel:[0,1]
	v_pk_add_f32 v[44:45], v[44:45], v[134:135] neg_lo:[0,1] neg_hi:[0,1]
	s_delay_alu instid0(VALU_DEP_2) | instskip(SKIP_1) | instid1(VALU_DEP_1)
	v_pk_fma_f32 v[134:135], v[132:133], v[120:121], v[130:131] op_sel:[0,0,1] op_sel_hi:[1,1,0] neg_lo:[0,0,1] neg_hi:[0,0,1]
	v_pk_fma_f32 v[130:131], v[132:133], v[120:121], v[130:131] op_sel:[0,0,1] op_sel_hi:[1,0,0]
	v_mov_b32_e32 v135, v131
	ds_load_2addr_b64 v[130:133], v124 offset0:38 offset1:39
	v_pk_add_f32 v[40:41], v[40:41], v[134:135] neg_lo:[0,1] neg_hi:[0,1]
	s_wait_dscnt 0x0
	v_pk_mul_f32 v[134:135], v[130:131], v[122:123] op_sel:[0,1]
	s_delay_alu instid0(VALU_DEP_1) | instskip(SKIP_1) | instid1(VALU_DEP_1)
	v_pk_fma_f32 v[136:137], v[130:131], v[120:121], v[134:135] op_sel:[0,0,1] op_sel_hi:[1,1,0] neg_lo:[0,0,1] neg_hi:[0,0,1]
	v_pk_fma_f32 v[130:131], v[130:131], v[120:121], v[134:135] op_sel:[0,0,1] op_sel_hi:[1,0,0]
	v_mov_b32_e32 v137, v131
	v_pk_mul_f32 v[130:131], v[132:133], v[122:123] op_sel:[0,1]
	s_delay_alu instid0(VALU_DEP_2) | instskip(NEXT) | instid1(VALU_DEP_2)
	v_pk_add_f32 v[42:43], v[42:43], v[136:137] neg_lo:[0,1] neg_hi:[0,1]
	v_pk_fma_f32 v[134:135], v[132:133], v[120:121], v[130:131] op_sel:[0,0,1] op_sel_hi:[1,1,0] neg_lo:[0,0,1] neg_hi:[0,0,1]
	v_pk_fma_f32 v[130:131], v[132:133], v[120:121], v[130:131] op_sel:[0,0,1] op_sel_hi:[1,0,0]
	s_delay_alu instid0(VALU_DEP_1) | instskip(SKIP_4) | instid1(VALU_DEP_1)
	v_mov_b32_e32 v135, v131
	ds_load_2addr_b64 v[130:133], v124 offset0:40 offset1:41
	v_pk_add_f32 v[38:39], v[38:39], v[134:135] neg_lo:[0,1] neg_hi:[0,1]
	s_wait_dscnt 0x0
	v_pk_mul_f32 v[134:135], v[130:131], v[122:123] op_sel:[0,1]
	v_pk_fma_f32 v[136:137], v[130:131], v[120:121], v[134:135] op_sel:[0,0,1] op_sel_hi:[1,1,0] neg_lo:[0,0,1] neg_hi:[0,0,1]
	v_pk_fma_f32 v[130:131], v[130:131], v[120:121], v[134:135] op_sel:[0,0,1] op_sel_hi:[1,0,0]
	v_dual_mul_f32 v134, v133, v123 :: v_dual_mov_b32 v130, v133
	s_delay_alu instid0(VALU_DEP_2) | instskip(NEXT) | instid1(VALU_DEP_2)
	v_dual_mov_b32 v137, v131 :: v_dual_mov_b32 v131, v132
	v_pk_fma_f32 v[134:135], v[132:133], v[62:63], v[134:135] op_sel_hi:[1,1,0] neg_lo:[0,0,1] neg_hi:[0,0,1]
	v_mul_f32_e32 v132, v133, v120
	s_delay_alu instid0(VALU_DEP_3) | instskip(NEXT) | instid1(VALU_DEP_2)
	v_pk_add_f32 v[36:37], v[36:37], v[136:137] neg_lo:[0,1] neg_hi:[0,1]
	v_pk_fma_f32 v[130:131], v[130:131], v[62:63], v[132:133] op_sel_hi:[1,1,0]
	s_delay_alu instid0(VALU_DEP_1) | instskip(SKIP_4) | instid1(VALU_DEP_1)
	v_mov_b32_e32 v135, v131
	ds_load_2addr_b64 v[130:133], v124 offset0:42 offset1:43
	v_pk_add_f32 v[32:33], v[32:33], v[134:135] neg_lo:[0,1] neg_hi:[0,1]
	s_wait_dscnt 0x0
	v_pk_mul_f32 v[134:135], v[130:131], v[122:123] op_sel:[0,1]
	v_pk_fma_f32 v[136:137], v[130:131], v[120:121], v[134:135] op_sel:[0,0,1] op_sel_hi:[1,1,0] neg_lo:[0,0,1] neg_hi:[0,0,1]
	v_pk_fma_f32 v[130:131], v[130:131], v[120:121], v[134:135] op_sel:[0,0,1] op_sel_hi:[1,0,0]
	s_delay_alu instid0(VALU_DEP_1) | instskip(SKIP_1) | instid1(VALU_DEP_1)
	v_mov_b32_e32 v137, v131
	v_pk_mul_f32 v[130:131], v[132:133], v[122:123] op_sel:[0,1]
	v_pk_fma_f32 v[134:135], v[132:133], v[120:121], v[130:131] op_sel:[0,0,1] op_sel_hi:[1,1,0] neg_lo:[0,0,1] neg_hi:[0,0,1]
	v_pk_fma_f32 v[130:131], v[132:133], v[120:121], v[130:131] op_sel:[0,0,1] op_sel_hi:[1,0,0]
	s_delay_alu instid0(VALU_DEP_1)
	v_mov_b32_e32 v135, v131
	ds_load_2addr_b64 v[130:133], v124 offset0:44 offset1:45
	v_pk_add_f32 v[34:35], v[34:35], v[136:137] neg_lo:[0,1] neg_hi:[0,1]
	v_pk_add_f32 v[30:31], v[30:31], v[134:135] neg_lo:[0,1] neg_hi:[0,1]
	s_wait_dscnt 0x0
	v_pk_mul_f32 v[134:135], v[130:131], v[122:123] op_sel:[0,1]
	s_delay_alu instid0(VALU_DEP_1) | instskip(SKIP_1) | instid1(VALU_DEP_1)
	v_pk_fma_f32 v[136:137], v[130:131], v[120:121], v[134:135] op_sel:[0,0,1] op_sel_hi:[1,1,0] neg_lo:[0,0,1] neg_hi:[0,0,1]
	v_pk_fma_f32 v[130:131], v[130:131], v[120:121], v[134:135] op_sel:[0,0,1] op_sel_hi:[1,0,0]
	v_mov_b32_e32 v137, v131
	v_pk_mul_f32 v[130:131], v[132:133], v[122:123] op_sel:[0,1]
	s_delay_alu instid0(VALU_DEP_1) | instskip(SKIP_1) | instid1(VALU_DEP_1)
	v_pk_fma_f32 v[134:135], v[132:133], v[120:121], v[130:131] op_sel:[0,0,1] op_sel_hi:[1,1,0] neg_lo:[0,0,1] neg_hi:[0,0,1]
	v_pk_fma_f32 v[130:131], v[132:133], v[120:121], v[130:131] op_sel:[0,0,1] op_sel_hi:[1,0,0]
	v_mov_b32_e32 v135, v131
	ds_load_2addr_b64 v[130:133], v124 offset0:46 offset1:47
	v_pk_add_f32 v[26:27], v[26:27], v[136:137] neg_lo:[0,1] neg_hi:[0,1]
	v_pk_add_f32 v[22:23], v[22:23], v[134:135] neg_lo:[0,1] neg_hi:[0,1]
	s_wait_dscnt 0x0
	v_dual_mul_f32 v134, v131, v123 :: v_dual_mul_f32 v136, v131, v120
	s_delay_alu instid0(VALU_DEP_1) | instskip(NEXT) | instid1(VALU_DEP_2)
	v_pk_fma_f32 v[134:135], v[130:131], v[62:63], v[134:135] op_sel_hi:[1,1,0] neg_lo:[0,0,1] neg_hi:[0,0,1]
	v_pk_fma_f32 v[130:131], v[130:131], v[62:63], v[136:137] op_sel:[1,0,0] op_sel_hi:[0,1,0]
	s_delay_alu instid0(VALU_DEP_1) | instskip(SKIP_1) | instid1(VALU_DEP_2)
	v_mov_b32_e32 v135, v131
	v_pk_mul_f32 v[130:131], v[132:133], v[122:123] op_sel:[0,1]
	v_pk_add_f32 v[24:25], v[24:25], v[134:135] neg_lo:[0,1] neg_hi:[0,1]
	s_delay_alu instid0(VALU_DEP_2) | instskip(SKIP_1) | instid1(VALU_DEP_1)
	v_pk_fma_f32 v[134:135], v[132:133], v[120:121], v[130:131] op_sel:[0,0,1] op_sel_hi:[1,1,0] neg_lo:[0,0,1] neg_hi:[0,0,1]
	v_pk_fma_f32 v[130:131], v[132:133], v[120:121], v[130:131] op_sel:[0,0,1] op_sel_hi:[1,0,0]
	v_mov_b32_e32 v135, v131
	ds_load_2addr_b64 v[130:133], v124 offset0:48 offset1:49
	v_pk_add_f32 v[20:21], v[20:21], v[134:135] neg_lo:[0,1] neg_hi:[0,1]
	s_wait_dscnt 0x0
	v_pk_mul_f32 v[134:135], v[130:131], v[122:123] op_sel:[0,1]
	s_delay_alu instid0(VALU_DEP_1) | instskip(SKIP_1) | instid1(VALU_DEP_1)
	v_pk_fma_f32 v[136:137], v[130:131], v[120:121], v[134:135] op_sel:[0,0,1] op_sel_hi:[1,1,0] neg_lo:[0,0,1] neg_hi:[0,0,1]
	v_pk_fma_f32 v[130:131], v[130:131], v[120:121], v[134:135] op_sel:[0,0,1] op_sel_hi:[1,0,0]
	v_mov_b32_e32 v137, v131
	v_pk_mul_f32 v[130:131], v[132:133], v[122:123] op_sel:[0,1]
	s_delay_alu instid0(VALU_DEP_2) | instskip(NEXT) | instid1(VALU_DEP_2)
	v_pk_add_f32 v[14:15], v[14:15], v[136:137] neg_lo:[0,1] neg_hi:[0,1]
	v_pk_fma_f32 v[134:135], v[132:133], v[120:121], v[130:131] op_sel:[0,0,1] op_sel_hi:[1,1,0] neg_lo:[0,0,1] neg_hi:[0,0,1]
	v_pk_fma_f32 v[130:131], v[132:133], v[120:121], v[130:131] op_sel:[0,0,1] op_sel_hi:[1,0,0]
	s_delay_alu instid0(VALU_DEP_1) | instskip(SKIP_4) | instid1(VALU_DEP_1)
	v_mov_b32_e32 v135, v131
	ds_load_2addr_b64 v[130:133], v124 offset0:50 offset1:51
	v_pk_add_f32 v[10:11], v[10:11], v[134:135] neg_lo:[0,1] neg_hi:[0,1]
	s_wait_dscnt 0x0
	v_pk_mul_f32 v[134:135], v[130:131], v[122:123] op_sel:[0,1]
	v_pk_fma_f32 v[136:137], v[130:131], v[120:121], v[134:135] op_sel:[0,0,1] op_sel_hi:[1,1,0] neg_lo:[0,0,1] neg_hi:[0,0,1]
	v_pk_fma_f32 v[130:131], v[130:131], v[120:121], v[134:135] op_sel:[0,0,1] op_sel_hi:[1,0,0]
	v_dual_mul_f32 v134, v133, v123 :: v_dual_mov_b32 v130, v133
	s_delay_alu instid0(VALU_DEP_2) | instskip(NEXT) | instid1(VALU_DEP_2)
	v_dual_mov_b32 v137, v131 :: v_dual_mov_b32 v131, v132
	v_pk_fma_f32 v[134:135], v[132:133], v[62:63], v[134:135] op_sel_hi:[1,1,0] neg_lo:[0,0,1] neg_hi:[0,0,1]
	v_mul_f32_e32 v132, v133, v120
	s_delay_alu instid0(VALU_DEP_3) | instskip(NEXT) | instid1(VALU_DEP_2)
	v_pk_add_f32 v[12:13], v[12:13], v[136:137] neg_lo:[0,1] neg_hi:[0,1]
	v_pk_fma_f32 v[130:131], v[130:131], v[62:63], v[132:133] op_sel_hi:[1,1,0]
	s_delay_alu instid0(VALU_DEP_1) | instskip(SKIP_4) | instid1(VALU_DEP_1)
	v_mov_b32_e32 v135, v131
	ds_load_2addr_b64 v[130:133], v124 offset0:52 offset1:53
	v_pk_add_f32 v[8:9], v[8:9], v[134:135] neg_lo:[0,1] neg_hi:[0,1]
	s_wait_dscnt 0x0
	v_pk_mul_f32 v[134:135], v[130:131], v[122:123] op_sel:[0,1]
	v_pk_fma_f32 v[136:137], v[130:131], v[120:121], v[134:135] op_sel:[0,0,1] op_sel_hi:[1,1,0] neg_lo:[0,0,1] neg_hi:[0,0,1]
	v_pk_fma_f32 v[130:131], v[130:131], v[120:121], v[134:135] op_sel:[0,0,1] op_sel_hi:[1,0,0]
	s_delay_alu instid0(VALU_DEP_1) | instskip(SKIP_1) | instid1(VALU_DEP_1)
	v_mov_b32_e32 v137, v131
	v_pk_mul_f32 v[130:131], v[132:133], v[122:123] op_sel:[0,1]
	v_pk_fma_f32 v[134:135], v[132:133], v[120:121], v[130:131] op_sel:[0,0,1] op_sel_hi:[1,1,0] neg_lo:[0,0,1] neg_hi:[0,0,1]
	v_pk_fma_f32 v[130:131], v[132:133], v[120:121], v[130:131] op_sel:[0,0,1] op_sel_hi:[1,0,0]
	s_delay_alu instid0(VALU_DEP_1)
	v_mov_b32_e32 v135, v131
	ds_load_2addr_b64 v[130:133], v124 offset0:54 offset1:55
	v_pk_add_f32 v[6:7], v[6:7], v[136:137] neg_lo:[0,1] neg_hi:[0,1]
	v_pk_add_f32 v[28:29], v[28:29], v[134:135] neg_lo:[0,1] neg_hi:[0,1]
	s_wait_dscnt 0x0
	v_pk_mul_f32 v[134:135], v[130:131], v[122:123] op_sel:[0,1]
	s_delay_alu instid0(VALU_DEP_1) | instskip(SKIP_1) | instid1(VALU_DEP_1)
	v_pk_fma_f32 v[136:137], v[130:131], v[120:121], v[134:135] op_sel:[0,0,1] op_sel_hi:[1,1,0] neg_lo:[0,0,1] neg_hi:[0,0,1]
	v_pk_fma_f32 v[130:131], v[130:131], v[120:121], v[134:135] op_sel:[0,0,1] op_sel_hi:[1,0,0]
	v_mov_b32_e32 v137, v131
	v_pk_mul_f32 v[130:131], v[132:133], v[122:123] op_sel:[0,1]
	s_delay_alu instid0(VALU_DEP_1) | instskip(SKIP_1) | instid1(VALU_DEP_1)
	v_pk_fma_f32 v[134:135], v[132:133], v[120:121], v[130:131] op_sel:[0,0,1] op_sel_hi:[1,1,0] neg_lo:[0,0,1] neg_hi:[0,0,1]
	v_pk_fma_f32 v[130:131], v[132:133], v[120:121], v[130:131] op_sel:[0,0,1] op_sel_hi:[1,0,0]
	v_mov_b32_e32 v135, v131
	ds_load_b64 v[130:131], v124 offset:448
	v_pk_add_f32 v[18:19], v[18:19], v[136:137] neg_lo:[0,1] neg_hi:[0,1]
	v_pk_add_f32 v[16:17], v[16:17], v[134:135] neg_lo:[0,1] neg_hi:[0,1]
	s_wait_dscnt 0x0
	v_pk_mul_f32 v[122:123], v[130:131], v[122:123] op_sel:[0,1]
	s_delay_alu instid0(VALU_DEP_1) | instskip(SKIP_1) | instid1(VALU_DEP_1)
	v_pk_fma_f32 v[132:133], v[130:131], v[120:121], v[122:123] op_sel:[0,0,1] op_sel_hi:[1,1,0] neg_lo:[0,0,1] neg_hi:[0,0,1]
	v_pk_fma_f32 v[120:121], v[130:131], v[120:121], v[122:123] op_sel:[0,0,1] op_sel_hi:[1,0,0]
	v_mov_b32_e32 v133, v121
	s_delay_alu instid0(VALU_DEP_1)
	v_pk_add_f32 v[118:119], v[118:119], v[132:133] neg_lo:[0,1] neg_hi:[0,1]
.LBB112_587:
	s_or_b32 exec_lo, exec_lo, s0
	v_lshl_add_u32 v120, v128, 3, v124
	s_barrier_signal -1
	s_barrier_wait -1
	ds_store_b64 v120, v[60:61]
	s_wait_dscnt 0x0
	s_barrier_signal -1
	s_barrier_wait -1
	ds_load_b64 v[122:123], v124 offset:224
	v_mov_b32_e32 v120, 28
	s_cmp_lt_i32 s18, 30
	s_cbranch_scc1 .LBB112_590
; %bb.588:
	v_add3_u32 v121, v125, 0, 0xe8
	v_mov_b32_e32 v120, 28
	s_mov_b32 s0, 29
.LBB112_589:                            ; =>This Inner Loop Header: Depth=1
	ds_load_b64 v[130:131], v121
	s_wait_dscnt 0x1
	v_cmp_gt_f32_e32 vcc_lo, 0, v122
	v_cndmask_b32_e64 v132, v122, -v122, vcc_lo
	v_cmp_gt_f32_e32 vcc_lo, 0, v123
	v_cndmask_b32_e64 v134, v123, -v123, vcc_lo
	s_wait_dscnt 0x0
	v_cmp_gt_f32_e32 vcc_lo, 0, v130
	v_cndmask_b32_e64 v133, v130, -v130, vcc_lo
	v_cmp_gt_f32_e32 vcc_lo, 0, v131
	v_cndmask_b32_e64 v135, v131, -v131, vcc_lo
	s_delay_alu instid0(VALU_DEP_1) | instskip(NEXT) | instid1(VALU_DEP_1)
	v_pk_add_f32 v[132:133], v[132:133], v[134:135]
	v_cmp_lt_f32_e32 vcc_lo, v132, v133
	v_dual_add_nc_u32 v121, 8, v121 :: v_dual_cndmask_b32 v123, v123, v131, vcc_lo
	v_cndmask_b32_e32 v122, v122, v130, vcc_lo
	v_cndmask_b32_e64 v120, v120, s0, vcc_lo
	s_add_co_i32 s0, s0, 1
	s_delay_alu instid0(SALU_CYCLE_1)
	s_cmp_lg_u32 s18, s0
	s_cbranch_scc1 .LBB112_589
.LBB112_590:
	s_wait_dscnt 0x0
	v_cmp_eq_f32_e32 vcc_lo, 0, v122
	v_cmp_eq_f32_e64 s0, 0, v123
	s_and_b32 s0, vcc_lo, s0
	s_delay_alu instid0(SALU_CYCLE_1) | instskip(NEXT) | instid1(SALU_CYCLE_1)
	s_and_saveexec_b32 s1, s0
	s_xor_b32 s0, exec_lo, s1
; %bb.591:
	v_cmp_ne_u32_e32 vcc_lo, 0, v126
	v_cndmask_b32_e32 v126, 29, v126, vcc_lo
; %bb.592:
	s_and_not1_saveexec_b32 s0, s0
	s_cbranch_execz .LBB112_598
; %bb.593:
	v_cmp_ngt_f32_e64 s1, |v122|, |v123|
	s_and_saveexec_b32 s12, s1
	s_delay_alu instid0(SALU_CYCLE_1)
	s_xor_b32 s1, exec_lo, s12
	s_cbranch_execz .LBB112_595
; %bb.594:
	v_div_scale_f32 v121, null, v123, v123, v122
	v_div_scale_f32 v131, vcc_lo, v122, v123, v122
	s_delay_alu instid0(VALU_DEP_2) | instskip(SKIP_1) | instid1(TRANS32_DEP_1)
	v_rcp_f32_e32 v129, v121
	v_nop
	v_fma_f32 v130, -v121, v129, 1.0
	s_delay_alu instid0(VALU_DEP_1) | instskip(NEXT) | instid1(VALU_DEP_1)
	v_fmac_f32_e32 v129, v130, v129
	v_mul_f32_e32 v130, v131, v129
	s_delay_alu instid0(VALU_DEP_1) | instskip(NEXT) | instid1(VALU_DEP_1)
	v_fma_f32 v132, -v121, v130, v131
	v_fmac_f32_e32 v130, v132, v129
	s_delay_alu instid0(VALU_DEP_1) | instskip(NEXT) | instid1(VALU_DEP_1)
	v_fma_f32 v121, -v121, v130, v131
	v_div_fmas_f32 v121, v121, v129, v130
	s_delay_alu instid0(VALU_DEP_1) | instskip(NEXT) | instid1(VALU_DEP_1)
	v_div_fixup_f32 v121, v121, v123, v122
	v_fmac_f32_e32 v123, v122, v121
	s_delay_alu instid0(VALU_DEP_1) | instskip(SKIP_1) | instid1(VALU_DEP_2)
	v_div_scale_f32 v122, null, v123, v123, 1.0
	v_div_scale_f32 v131, vcc_lo, 1.0, v123, 1.0
	v_rcp_f32_e32 v129, v122
	v_nop
	s_delay_alu instid0(TRANS32_DEP_1) | instskip(NEXT) | instid1(VALU_DEP_1)
	v_fma_f32 v130, -v122, v129, 1.0
	v_fmac_f32_e32 v129, v130, v129
	s_delay_alu instid0(VALU_DEP_1) | instskip(NEXT) | instid1(VALU_DEP_1)
	v_mul_f32_e32 v130, v131, v129
	v_fma_f32 v132, -v122, v130, v131
	s_delay_alu instid0(VALU_DEP_1) | instskip(NEXT) | instid1(VALU_DEP_1)
	v_fmac_f32_e32 v130, v132, v129
	v_fma_f32 v122, -v122, v130, v131
	s_delay_alu instid0(VALU_DEP_1) | instskip(NEXT) | instid1(VALU_DEP_1)
	v_div_fmas_f32 v122, v122, v129, v130
	v_div_fixup_f32 v123, v122, v123, 1.0
	s_delay_alu instid0(VALU_DEP_1)
	v_mul_f32_e32 v122, v121, v123
	v_xor_b32_e32 v123, 0x80000000, v123
.LBB112_595:
	s_and_not1_saveexec_b32 s1, s1
	s_cbranch_execz .LBB112_597
; %bb.596:
	s_delay_alu instid0(VALU_DEP_1) | instskip(SKIP_1) | instid1(VALU_DEP_2)
	v_div_scale_f32 v121, null, v122, v122, v123
	v_div_scale_f32 v131, vcc_lo, v123, v122, v123
	v_rcp_f32_e32 v129, v121
	v_nop
	s_delay_alu instid0(TRANS32_DEP_1) | instskip(NEXT) | instid1(VALU_DEP_1)
	v_fma_f32 v130, -v121, v129, 1.0
	v_fmac_f32_e32 v129, v130, v129
	s_delay_alu instid0(VALU_DEP_1) | instskip(NEXT) | instid1(VALU_DEP_1)
	v_mul_f32_e32 v130, v131, v129
	v_fma_f32 v132, -v121, v130, v131
	s_delay_alu instid0(VALU_DEP_1) | instskip(NEXT) | instid1(VALU_DEP_1)
	v_fmac_f32_e32 v130, v132, v129
	v_fma_f32 v121, -v121, v130, v131
	s_delay_alu instid0(VALU_DEP_1) | instskip(NEXT) | instid1(VALU_DEP_1)
	v_div_fmas_f32 v121, v121, v129, v130
	v_div_fixup_f32 v121, v121, v122, v123
	s_delay_alu instid0(VALU_DEP_1) | instskip(NEXT) | instid1(VALU_DEP_1)
	v_fmac_f32_e32 v122, v123, v121
	v_div_scale_f32 v123, null, v122, v122, 1.0
	s_delay_alu instid0(VALU_DEP_1) | instskip(SKIP_1) | instid1(TRANS32_DEP_1)
	v_rcp_f32_e32 v129, v123
	v_nop
	v_fma_f32 v130, -v123, v129, 1.0
	s_delay_alu instid0(VALU_DEP_1) | instskip(SKIP_1) | instid1(VALU_DEP_1)
	v_fmac_f32_e32 v129, v130, v129
	v_div_scale_f32 v130, vcc_lo, 1.0, v122, 1.0
	v_mul_f32_e32 v131, v130, v129
	s_delay_alu instid0(VALU_DEP_1) | instskip(NEXT) | instid1(VALU_DEP_1)
	v_fma_f32 v132, -v123, v131, v130
	v_fmac_f32_e32 v131, v132, v129
	s_delay_alu instid0(VALU_DEP_1) | instskip(NEXT) | instid1(VALU_DEP_1)
	v_fma_f32 v123, -v123, v131, v130
	v_div_fmas_f32 v123, v123, v129, v131
	s_delay_alu instid0(VALU_DEP_1) | instskip(NEXT) | instid1(VALU_DEP_1)
	v_div_fixup_f32 v122, v123, v122, 1.0
	v_mul_f32_e64 v123, v121, -v122
.LBB112_597:
	s_or_b32 exec_lo, exec_lo, s1
.LBB112_598:
	s_delay_alu instid0(SALU_CYCLE_1) | instskip(NEXT) | instid1(SALU_CYCLE_1)
	s_or_b32 exec_lo, exec_lo, s0
	s_mov_b32 s0, exec_lo
	v_cmpx_ne_u32_e64 v128, v120
	s_xor_b32 s0, exec_lo, s0
	s_cbranch_execz .LBB112_604
; %bb.599:
	s_mov_b32 s1, exec_lo
	v_cmpx_eq_u32_e32 28, v128
	s_cbranch_execz .LBB112_603
; %bb.600:
	v_cmp_ne_u32_e32 vcc_lo, 28, v120
	s_xor_b32 s12, s16, -1
	s_delay_alu instid0(SALU_CYCLE_1) | instskip(NEXT) | instid1(SALU_CYCLE_1)
	s_and_b32 s13, s12, vcc_lo
	s_and_saveexec_b32 s12, s13
	s_cbranch_execz .LBB112_602
; %bb.601:
	v_ashrrev_i32_e32 v121, 31, v120
	s_delay_alu instid0(VALU_DEP_1)
	v_lshl_add_u64 v[128:129], v[120:121], 2, v[4:5]
	s_clause 0x1
	global_load_b32 v121, v[128:129], off
	global_load_b32 v127, v[4:5], off offset:112
	s_wait_loadcnt 0x1
	global_store_b32 v[4:5], v121, off offset:112
	s_wait_loadcnt 0x0
	global_store_b32 v[128:129], v127, off
.LBB112_602:
	s_wait_xcnt 0x0
	s_or_b32 exec_lo, exec_lo, s12
	v_dual_mov_b32 v128, v120 :: v_dual_mov_b32 v127, v120
.LBB112_603:
	s_or_b32 exec_lo, exec_lo, s1
.LBB112_604:
	s_and_not1_saveexec_b32 s0, s0
	s_cbranch_execz .LBB112_606
; %bb.605:
	v_mov_b32_e32 v128, 28
	ds_store_2addr_b64 v124, v[56:57], v[58:59] offset0:29 offset1:30
	ds_store_2addr_b64 v124, v[54:55], v[52:53] offset0:31 offset1:32
	;; [unrolled: 1-line block ×14, first 2 shown]
.LBB112_606:
	s_or_b32 exec_lo, exec_lo, s0
	s_delay_alu instid0(SALU_CYCLE_1)
	s_mov_b32 s0, exec_lo
	s_wait_storecnt_dscnt 0x0
	s_barrier_signal -1
	s_barrier_wait -1
	v_cmpx_lt_i32_e32 28, v128
	s_cbranch_execz .LBB112_608
; %bb.607:
	v_pk_mul_f32 v[130:131], v[122:123], v[60:61] op_sel:[1,1] op_sel_hi:[0,1]
	s_delay_alu instid0(VALU_DEP_1)
	v_pk_fma_f32 v[120:121], v[122:123], v[60:61], v[130:131] op_sel_hi:[1,0,1] neg_lo:[0,0,1] neg_hi:[0,0,1]
	v_pk_fma_f32 v[122:123], v[122:123], v[60:61], v[130:131] op_sel_hi:[1,0,1]
	ds_load_2addr_b64 v[130:133], v124 offset0:29 offset1:30
	v_dual_mov_b32 v60, v120 :: v_dual_mov_b32 v61, v123
	s_wait_dscnt 0x0
	v_pk_mul_f32 v[134:135], v[130:131], v[122:123] op_sel:[0,1]
	s_delay_alu instid0(VALU_DEP_1) | instskip(SKIP_1) | instid1(VALU_DEP_1)
	v_pk_fma_f32 v[136:137], v[130:131], v[120:121], v[134:135] op_sel:[0,0,1] op_sel_hi:[1,1,0] neg_lo:[0,0,1] neg_hi:[0,0,1]
	v_pk_fma_f32 v[130:131], v[130:131], v[120:121], v[134:135] op_sel:[0,0,1] op_sel_hi:[1,0,0]
	v_mov_b32_e32 v137, v131
	v_pk_mul_f32 v[130:131], v[132:133], v[122:123] op_sel:[0,1]
	s_delay_alu instid0(VALU_DEP_1) | instskip(SKIP_1) | instid1(VALU_DEP_1)
	v_pk_fma_f32 v[134:135], v[132:133], v[120:121], v[130:131] op_sel:[0,0,1] op_sel_hi:[1,1,0] neg_lo:[0,0,1] neg_hi:[0,0,1]
	v_pk_fma_f32 v[130:131], v[132:133], v[120:121], v[130:131] op_sel:[0,0,1] op_sel_hi:[1,0,0]
	v_mov_b32_e32 v135, v131
	ds_load_2addr_b64 v[130:133], v124 offset0:31 offset1:32
	v_pk_add_f32 v[56:57], v[56:57], v[136:137] neg_lo:[0,1] neg_hi:[0,1]
	v_pk_add_f32 v[58:59], v[58:59], v[134:135] neg_lo:[0,1] neg_hi:[0,1]
	s_wait_dscnt 0x0
	v_pk_mul_f32 v[134:135], v[130:131], v[122:123] op_sel:[0,1]
	s_delay_alu instid0(VALU_DEP_1) | instskip(SKIP_2) | instid1(VALU_DEP_2)
	v_pk_fma_f32 v[136:137], v[130:131], v[120:121], v[134:135] op_sel:[0,0,1] op_sel_hi:[1,1,0] neg_lo:[0,0,1] neg_hi:[0,0,1]
	v_pk_fma_f32 v[130:131], v[130:131], v[120:121], v[134:135] op_sel:[0,0,1] op_sel_hi:[1,0,0]
	v_dual_mul_f32 v134, v133, v123 :: v_dual_mov_b32 v130, v133
	v_dual_mov_b32 v137, v131 :: v_dual_mov_b32 v131, v132
	s_delay_alu instid0(VALU_DEP_2) | instskip(SKIP_1) | instid1(VALU_DEP_3)
	v_pk_fma_f32 v[134:135], v[132:133], v[60:61], v[134:135] op_sel_hi:[1,1,0] neg_lo:[0,0,1] neg_hi:[0,0,1]
	v_mul_f32_e32 v132, v133, v120
	v_pk_add_f32 v[54:55], v[54:55], v[136:137] neg_lo:[0,1] neg_hi:[0,1]
	s_delay_alu instid0(VALU_DEP_2) | instskip(NEXT) | instid1(VALU_DEP_1)
	v_pk_fma_f32 v[130:131], v[130:131], v[60:61], v[132:133] op_sel_hi:[1,1,0]
	v_mov_b32_e32 v135, v131
	ds_load_2addr_b64 v[130:133], v124 offset0:33 offset1:34
	v_pk_add_f32 v[52:53], v[52:53], v[134:135] neg_lo:[0,1] neg_hi:[0,1]
	s_wait_dscnt 0x0
	v_pk_mul_f32 v[134:135], v[130:131], v[122:123] op_sel:[0,1]
	s_delay_alu instid0(VALU_DEP_1) | instskip(SKIP_1) | instid1(VALU_DEP_1)
	v_pk_fma_f32 v[136:137], v[130:131], v[120:121], v[134:135] op_sel:[0,0,1] op_sel_hi:[1,1,0] neg_lo:[0,0,1] neg_hi:[0,0,1]
	v_pk_fma_f32 v[130:131], v[130:131], v[120:121], v[134:135] op_sel:[0,0,1] op_sel_hi:[1,0,0]
	v_mov_b32_e32 v137, v131
	v_pk_mul_f32 v[130:131], v[132:133], v[122:123] op_sel:[0,1]
	s_delay_alu instid0(VALU_DEP_1) | instskip(SKIP_1) | instid1(VALU_DEP_1)
	v_pk_fma_f32 v[134:135], v[132:133], v[120:121], v[130:131] op_sel:[0,0,1] op_sel_hi:[1,1,0] neg_lo:[0,0,1] neg_hi:[0,0,1]
	v_pk_fma_f32 v[130:131], v[132:133], v[120:121], v[130:131] op_sel:[0,0,1] op_sel_hi:[1,0,0]
	v_mov_b32_e32 v135, v131
	ds_load_2addr_b64 v[130:133], v124 offset0:35 offset1:36
	v_pk_add_f32 v[48:49], v[48:49], v[136:137] neg_lo:[0,1] neg_hi:[0,1]
	v_pk_add_f32 v[50:51], v[50:51], v[134:135] neg_lo:[0,1] neg_hi:[0,1]
	s_wait_dscnt 0x0
	v_pk_mul_f32 v[134:135], v[130:131], v[122:123] op_sel:[0,1]
	s_delay_alu instid0(VALU_DEP_1) | instskip(SKIP_1) | instid1(VALU_DEP_1)
	v_pk_fma_f32 v[136:137], v[130:131], v[120:121], v[134:135] op_sel:[0,0,1] op_sel_hi:[1,1,0] neg_lo:[0,0,1] neg_hi:[0,0,1]
	v_pk_fma_f32 v[130:131], v[130:131], v[120:121], v[134:135] op_sel:[0,0,1] op_sel_hi:[1,0,0]
	v_mov_b32_e32 v137, v131
	v_pk_mul_f32 v[130:131], v[132:133], v[122:123] op_sel:[0,1]
	s_delay_alu instid0(VALU_DEP_1) | instskip(SKIP_1) | instid1(VALU_DEP_1)
	v_pk_fma_f32 v[134:135], v[132:133], v[120:121], v[130:131] op_sel:[0,0,1] op_sel_hi:[1,1,0] neg_lo:[0,0,1] neg_hi:[0,0,1]
	v_pk_fma_f32 v[130:131], v[132:133], v[120:121], v[130:131] op_sel:[0,0,1] op_sel_hi:[1,0,0]
	v_mov_b32_e32 v135, v131
	ds_load_2addr_b64 v[130:133], v124 offset0:37 offset1:38
	v_pk_add_f32 v[46:47], v[46:47], v[136:137] neg_lo:[0,1] neg_hi:[0,1]
	v_pk_add_f32 v[44:45], v[44:45], v[134:135] neg_lo:[0,1] neg_hi:[0,1]
	s_wait_dscnt 0x0
	v_dual_mul_f32 v134, v131, v123 :: v_dual_mul_f32 v136, v131, v120
	s_delay_alu instid0(VALU_DEP_1) | instskip(NEXT) | instid1(VALU_DEP_2)
	v_pk_fma_f32 v[134:135], v[130:131], v[60:61], v[134:135] op_sel_hi:[1,1,0] neg_lo:[0,0,1] neg_hi:[0,0,1]
	v_pk_fma_f32 v[130:131], v[130:131], v[60:61], v[136:137] op_sel:[1,0,0] op_sel_hi:[0,1,0]
	s_delay_alu instid0(VALU_DEP_1) | instskip(SKIP_1) | instid1(VALU_DEP_2)
	v_mov_b32_e32 v135, v131
	v_pk_mul_f32 v[130:131], v[132:133], v[122:123] op_sel:[0,1]
	v_pk_add_f32 v[40:41], v[40:41], v[134:135] neg_lo:[0,1] neg_hi:[0,1]
	s_delay_alu instid0(VALU_DEP_2) | instskip(SKIP_1) | instid1(VALU_DEP_1)
	v_pk_fma_f32 v[134:135], v[132:133], v[120:121], v[130:131] op_sel:[0,0,1] op_sel_hi:[1,1,0] neg_lo:[0,0,1] neg_hi:[0,0,1]
	v_pk_fma_f32 v[130:131], v[132:133], v[120:121], v[130:131] op_sel:[0,0,1] op_sel_hi:[1,0,0]
	v_mov_b32_e32 v135, v131
	ds_load_2addr_b64 v[130:133], v124 offset0:39 offset1:40
	v_pk_add_f32 v[42:43], v[42:43], v[134:135] neg_lo:[0,1] neg_hi:[0,1]
	s_wait_dscnt 0x0
	v_pk_mul_f32 v[134:135], v[130:131], v[122:123] op_sel:[0,1]
	s_delay_alu instid0(VALU_DEP_1) | instskip(SKIP_1) | instid1(VALU_DEP_1)
	v_pk_fma_f32 v[136:137], v[130:131], v[120:121], v[134:135] op_sel:[0,0,1] op_sel_hi:[1,1,0] neg_lo:[0,0,1] neg_hi:[0,0,1]
	v_pk_fma_f32 v[130:131], v[130:131], v[120:121], v[134:135] op_sel:[0,0,1] op_sel_hi:[1,0,0]
	v_mov_b32_e32 v137, v131
	v_pk_mul_f32 v[130:131], v[132:133], v[122:123] op_sel:[0,1]
	s_delay_alu instid0(VALU_DEP_2) | instskip(NEXT) | instid1(VALU_DEP_2)
	v_pk_add_f32 v[38:39], v[38:39], v[136:137] neg_lo:[0,1] neg_hi:[0,1]
	v_pk_fma_f32 v[134:135], v[132:133], v[120:121], v[130:131] op_sel:[0,0,1] op_sel_hi:[1,1,0] neg_lo:[0,0,1] neg_hi:[0,0,1]
	v_pk_fma_f32 v[130:131], v[132:133], v[120:121], v[130:131] op_sel:[0,0,1] op_sel_hi:[1,0,0]
	s_delay_alu instid0(VALU_DEP_1) | instskip(SKIP_4) | instid1(VALU_DEP_1)
	v_mov_b32_e32 v135, v131
	ds_load_2addr_b64 v[130:133], v124 offset0:41 offset1:42
	v_pk_add_f32 v[36:37], v[36:37], v[134:135] neg_lo:[0,1] neg_hi:[0,1]
	s_wait_dscnt 0x0
	v_pk_mul_f32 v[134:135], v[130:131], v[122:123] op_sel:[0,1]
	v_pk_fma_f32 v[136:137], v[130:131], v[120:121], v[134:135] op_sel:[0,0,1] op_sel_hi:[1,1,0] neg_lo:[0,0,1] neg_hi:[0,0,1]
	v_pk_fma_f32 v[130:131], v[130:131], v[120:121], v[134:135] op_sel:[0,0,1] op_sel_hi:[1,0,0]
	v_dual_mul_f32 v134, v133, v123 :: v_dual_mov_b32 v130, v133
	s_delay_alu instid0(VALU_DEP_2) | instskip(NEXT) | instid1(VALU_DEP_2)
	v_dual_mov_b32 v137, v131 :: v_dual_mov_b32 v131, v132
	v_pk_fma_f32 v[134:135], v[132:133], v[60:61], v[134:135] op_sel_hi:[1,1,0] neg_lo:[0,0,1] neg_hi:[0,0,1]
	v_mul_f32_e32 v132, v133, v120
	s_delay_alu instid0(VALU_DEP_3) | instskip(NEXT) | instid1(VALU_DEP_2)
	v_pk_add_f32 v[32:33], v[32:33], v[136:137] neg_lo:[0,1] neg_hi:[0,1]
	v_pk_fma_f32 v[130:131], v[130:131], v[60:61], v[132:133] op_sel_hi:[1,1,0]
	s_delay_alu instid0(VALU_DEP_1) | instskip(SKIP_4) | instid1(VALU_DEP_1)
	v_mov_b32_e32 v135, v131
	ds_load_2addr_b64 v[130:133], v124 offset0:43 offset1:44
	v_pk_add_f32 v[34:35], v[34:35], v[134:135] neg_lo:[0,1] neg_hi:[0,1]
	s_wait_dscnt 0x0
	v_pk_mul_f32 v[134:135], v[130:131], v[122:123] op_sel:[0,1]
	v_pk_fma_f32 v[136:137], v[130:131], v[120:121], v[134:135] op_sel:[0,0,1] op_sel_hi:[1,1,0] neg_lo:[0,0,1] neg_hi:[0,0,1]
	v_pk_fma_f32 v[130:131], v[130:131], v[120:121], v[134:135] op_sel:[0,0,1] op_sel_hi:[1,0,0]
	s_delay_alu instid0(VALU_DEP_1) | instskip(SKIP_1) | instid1(VALU_DEP_1)
	v_mov_b32_e32 v137, v131
	v_pk_mul_f32 v[130:131], v[132:133], v[122:123] op_sel:[0,1]
	v_pk_fma_f32 v[134:135], v[132:133], v[120:121], v[130:131] op_sel:[0,0,1] op_sel_hi:[1,1,0] neg_lo:[0,0,1] neg_hi:[0,0,1]
	v_pk_fma_f32 v[130:131], v[132:133], v[120:121], v[130:131] op_sel:[0,0,1] op_sel_hi:[1,0,0]
	s_delay_alu instid0(VALU_DEP_1)
	v_mov_b32_e32 v135, v131
	ds_load_2addr_b64 v[130:133], v124 offset0:45 offset1:46
	v_pk_add_f32 v[30:31], v[30:31], v[136:137] neg_lo:[0,1] neg_hi:[0,1]
	v_pk_add_f32 v[26:27], v[26:27], v[134:135] neg_lo:[0,1] neg_hi:[0,1]
	s_wait_dscnt 0x0
	v_pk_mul_f32 v[134:135], v[130:131], v[122:123] op_sel:[0,1]
	s_delay_alu instid0(VALU_DEP_1) | instskip(SKIP_1) | instid1(VALU_DEP_1)
	v_pk_fma_f32 v[136:137], v[130:131], v[120:121], v[134:135] op_sel:[0,0,1] op_sel_hi:[1,1,0] neg_lo:[0,0,1] neg_hi:[0,0,1]
	v_pk_fma_f32 v[130:131], v[130:131], v[120:121], v[134:135] op_sel:[0,0,1] op_sel_hi:[1,0,0]
	v_mov_b32_e32 v137, v131
	v_pk_mul_f32 v[130:131], v[132:133], v[122:123] op_sel:[0,1]
	s_delay_alu instid0(VALU_DEP_1) | instskip(SKIP_1) | instid1(VALU_DEP_1)
	v_pk_fma_f32 v[134:135], v[132:133], v[120:121], v[130:131] op_sel:[0,0,1] op_sel_hi:[1,1,0] neg_lo:[0,0,1] neg_hi:[0,0,1]
	v_pk_fma_f32 v[130:131], v[132:133], v[120:121], v[130:131] op_sel:[0,0,1] op_sel_hi:[1,0,0]
	v_mov_b32_e32 v135, v131
	ds_load_2addr_b64 v[130:133], v124 offset0:47 offset1:48
	v_pk_add_f32 v[22:23], v[22:23], v[136:137] neg_lo:[0,1] neg_hi:[0,1]
	v_pk_add_f32 v[24:25], v[24:25], v[134:135] neg_lo:[0,1] neg_hi:[0,1]
	s_wait_dscnt 0x0
	v_dual_mul_f32 v134, v131, v123 :: v_dual_mul_f32 v136, v131, v120
	s_delay_alu instid0(VALU_DEP_1) | instskip(NEXT) | instid1(VALU_DEP_2)
	v_pk_fma_f32 v[134:135], v[130:131], v[60:61], v[134:135] op_sel_hi:[1,1,0] neg_lo:[0,0,1] neg_hi:[0,0,1]
	v_pk_fma_f32 v[130:131], v[130:131], v[60:61], v[136:137] op_sel:[1,0,0] op_sel_hi:[0,1,0]
	s_delay_alu instid0(VALU_DEP_1) | instskip(SKIP_1) | instid1(VALU_DEP_2)
	v_mov_b32_e32 v135, v131
	v_pk_mul_f32 v[130:131], v[132:133], v[122:123] op_sel:[0,1]
	v_pk_add_f32 v[20:21], v[20:21], v[134:135] neg_lo:[0,1] neg_hi:[0,1]
	s_delay_alu instid0(VALU_DEP_2) | instskip(SKIP_1) | instid1(VALU_DEP_1)
	v_pk_fma_f32 v[134:135], v[132:133], v[120:121], v[130:131] op_sel:[0,0,1] op_sel_hi:[1,1,0] neg_lo:[0,0,1] neg_hi:[0,0,1]
	v_pk_fma_f32 v[130:131], v[132:133], v[120:121], v[130:131] op_sel:[0,0,1] op_sel_hi:[1,0,0]
	v_mov_b32_e32 v135, v131
	ds_load_2addr_b64 v[130:133], v124 offset0:49 offset1:50
	v_pk_add_f32 v[14:15], v[14:15], v[134:135] neg_lo:[0,1] neg_hi:[0,1]
	s_wait_dscnt 0x0
	v_pk_mul_f32 v[134:135], v[130:131], v[122:123] op_sel:[0,1]
	s_delay_alu instid0(VALU_DEP_1) | instskip(SKIP_1) | instid1(VALU_DEP_1)
	v_pk_fma_f32 v[136:137], v[130:131], v[120:121], v[134:135] op_sel:[0,0,1] op_sel_hi:[1,1,0] neg_lo:[0,0,1] neg_hi:[0,0,1]
	v_pk_fma_f32 v[130:131], v[130:131], v[120:121], v[134:135] op_sel:[0,0,1] op_sel_hi:[1,0,0]
	v_mov_b32_e32 v137, v131
	v_pk_mul_f32 v[130:131], v[132:133], v[122:123] op_sel:[0,1]
	s_delay_alu instid0(VALU_DEP_2) | instskip(NEXT) | instid1(VALU_DEP_2)
	v_pk_add_f32 v[10:11], v[10:11], v[136:137] neg_lo:[0,1] neg_hi:[0,1]
	v_pk_fma_f32 v[134:135], v[132:133], v[120:121], v[130:131] op_sel:[0,0,1] op_sel_hi:[1,1,0] neg_lo:[0,0,1] neg_hi:[0,0,1]
	v_pk_fma_f32 v[130:131], v[132:133], v[120:121], v[130:131] op_sel:[0,0,1] op_sel_hi:[1,0,0]
	s_delay_alu instid0(VALU_DEP_1) | instskip(SKIP_4) | instid1(VALU_DEP_1)
	v_mov_b32_e32 v135, v131
	ds_load_2addr_b64 v[130:133], v124 offset0:51 offset1:52
	v_pk_add_f32 v[12:13], v[12:13], v[134:135] neg_lo:[0,1] neg_hi:[0,1]
	s_wait_dscnt 0x0
	v_pk_mul_f32 v[134:135], v[130:131], v[122:123] op_sel:[0,1]
	v_pk_fma_f32 v[136:137], v[130:131], v[120:121], v[134:135] op_sel:[0,0,1] op_sel_hi:[1,1,0] neg_lo:[0,0,1] neg_hi:[0,0,1]
	v_pk_fma_f32 v[130:131], v[130:131], v[120:121], v[134:135] op_sel:[0,0,1] op_sel_hi:[1,0,0]
	v_dual_mul_f32 v134, v133, v123 :: v_dual_mov_b32 v130, v133
	s_delay_alu instid0(VALU_DEP_2) | instskip(NEXT) | instid1(VALU_DEP_2)
	v_dual_mov_b32 v137, v131 :: v_dual_mov_b32 v131, v132
	v_pk_fma_f32 v[134:135], v[132:133], v[60:61], v[134:135] op_sel_hi:[1,1,0] neg_lo:[0,0,1] neg_hi:[0,0,1]
	v_mul_f32_e32 v132, v133, v120
	s_delay_alu instid0(VALU_DEP_3) | instskip(NEXT) | instid1(VALU_DEP_2)
	v_pk_add_f32 v[8:9], v[8:9], v[136:137] neg_lo:[0,1] neg_hi:[0,1]
	v_pk_fma_f32 v[130:131], v[130:131], v[60:61], v[132:133] op_sel_hi:[1,1,0]
	s_delay_alu instid0(VALU_DEP_1) | instskip(SKIP_4) | instid1(VALU_DEP_1)
	v_mov_b32_e32 v135, v131
	ds_load_2addr_b64 v[130:133], v124 offset0:53 offset1:54
	v_pk_add_f32 v[6:7], v[6:7], v[134:135] neg_lo:[0,1] neg_hi:[0,1]
	s_wait_dscnt 0x0
	v_pk_mul_f32 v[134:135], v[130:131], v[122:123] op_sel:[0,1]
	v_pk_fma_f32 v[136:137], v[130:131], v[120:121], v[134:135] op_sel:[0,0,1] op_sel_hi:[1,1,0] neg_lo:[0,0,1] neg_hi:[0,0,1]
	v_pk_fma_f32 v[130:131], v[130:131], v[120:121], v[134:135] op_sel:[0,0,1] op_sel_hi:[1,0,0]
	s_delay_alu instid0(VALU_DEP_1) | instskip(SKIP_1) | instid1(VALU_DEP_1)
	v_mov_b32_e32 v137, v131
	v_pk_mul_f32 v[130:131], v[132:133], v[122:123] op_sel:[0,1]
	v_pk_fma_f32 v[134:135], v[132:133], v[120:121], v[130:131] op_sel:[0,0,1] op_sel_hi:[1,1,0] neg_lo:[0,0,1] neg_hi:[0,0,1]
	v_pk_fma_f32 v[130:131], v[132:133], v[120:121], v[130:131] op_sel:[0,0,1] op_sel_hi:[1,0,0]
	s_delay_alu instid0(VALU_DEP_1)
	v_mov_b32_e32 v135, v131
	ds_load_2addr_b64 v[130:133], v124 offset0:55 offset1:56
	v_pk_add_f32 v[28:29], v[28:29], v[136:137] neg_lo:[0,1] neg_hi:[0,1]
	v_pk_add_f32 v[18:19], v[18:19], v[134:135] neg_lo:[0,1] neg_hi:[0,1]
	s_wait_dscnt 0x0
	v_pk_mul_f32 v[134:135], v[130:131], v[122:123] op_sel:[0,1]
	v_pk_mul_f32 v[122:123], v[132:133], v[122:123] op_sel:[0,1]
	s_delay_alu instid0(VALU_DEP_2) | instskip(SKIP_1) | instid1(VALU_DEP_1)
	v_pk_fma_f32 v[136:137], v[130:131], v[120:121], v[134:135] op_sel:[0,0,1] op_sel_hi:[1,1,0] neg_lo:[0,0,1] neg_hi:[0,0,1]
	v_pk_fma_f32 v[130:131], v[130:131], v[120:121], v[134:135] op_sel:[0,0,1] op_sel_hi:[1,0,0]
	v_mov_b32_e32 v137, v131
	s_delay_alu instid0(VALU_DEP_4) | instskip(SKIP_1) | instid1(VALU_DEP_1)
	v_pk_fma_f32 v[130:131], v[132:133], v[120:121], v[122:123] op_sel:[0,0,1] op_sel_hi:[1,1,0] neg_lo:[0,0,1] neg_hi:[0,0,1]
	v_pk_fma_f32 v[120:121], v[132:133], v[120:121], v[122:123] op_sel:[0,0,1] op_sel_hi:[1,0,0]
	v_mov_b32_e32 v131, v121
	s_delay_alu instid0(VALU_DEP_4) | instskip(NEXT) | instid1(VALU_DEP_2)
	v_pk_add_f32 v[16:17], v[16:17], v[136:137] neg_lo:[0,1] neg_hi:[0,1]
	v_pk_add_f32 v[118:119], v[118:119], v[130:131] neg_lo:[0,1] neg_hi:[0,1]
.LBB112_608:
	s_or_b32 exec_lo, exec_lo, s0
	v_lshl_add_u32 v120, v128, 3, v124
	s_barrier_signal -1
	s_barrier_wait -1
	ds_store_b64 v120, v[56:57]
	s_wait_dscnt 0x0
	s_barrier_signal -1
	s_barrier_wait -1
	ds_load_b64 v[122:123], v124 offset:232
	v_mov_b32_e32 v120, 29
	s_cmp_lt_i32 s18, 31
	s_cbranch_scc1 .LBB112_611
; %bb.609:
	v_add3_u32 v121, v125, 0, 0xf0
	v_mov_b32_e32 v120, 29
	s_mov_b32 s0, 30
.LBB112_610:                            ; =>This Inner Loop Header: Depth=1
	ds_load_b64 v[130:131], v121
	s_wait_dscnt 0x1
	v_cmp_gt_f32_e32 vcc_lo, 0, v122
	v_cndmask_b32_e64 v132, v122, -v122, vcc_lo
	v_cmp_gt_f32_e32 vcc_lo, 0, v123
	v_cndmask_b32_e64 v134, v123, -v123, vcc_lo
	s_wait_dscnt 0x0
	v_cmp_gt_f32_e32 vcc_lo, 0, v130
	v_cndmask_b32_e64 v133, v130, -v130, vcc_lo
	v_cmp_gt_f32_e32 vcc_lo, 0, v131
	v_cndmask_b32_e64 v135, v131, -v131, vcc_lo
	s_delay_alu instid0(VALU_DEP_1) | instskip(NEXT) | instid1(VALU_DEP_1)
	v_pk_add_f32 v[132:133], v[132:133], v[134:135]
	v_cmp_lt_f32_e32 vcc_lo, v132, v133
	v_dual_add_nc_u32 v121, 8, v121 :: v_dual_cndmask_b32 v123, v123, v131, vcc_lo
	v_cndmask_b32_e32 v122, v122, v130, vcc_lo
	v_cndmask_b32_e64 v120, v120, s0, vcc_lo
	s_add_co_i32 s0, s0, 1
	s_delay_alu instid0(SALU_CYCLE_1)
	s_cmp_lg_u32 s18, s0
	s_cbranch_scc1 .LBB112_610
.LBB112_611:
	s_wait_dscnt 0x0
	v_cmp_eq_f32_e32 vcc_lo, 0, v122
	v_cmp_eq_f32_e64 s0, 0, v123
	s_and_b32 s0, vcc_lo, s0
	s_delay_alu instid0(SALU_CYCLE_1) | instskip(NEXT) | instid1(SALU_CYCLE_1)
	s_and_saveexec_b32 s1, s0
	s_xor_b32 s0, exec_lo, s1
; %bb.612:
	v_cmp_ne_u32_e32 vcc_lo, 0, v126
	v_cndmask_b32_e32 v126, 30, v126, vcc_lo
; %bb.613:
	s_and_not1_saveexec_b32 s0, s0
	s_cbranch_execz .LBB112_619
; %bb.614:
	v_cmp_ngt_f32_e64 s1, |v122|, |v123|
	s_and_saveexec_b32 s12, s1
	s_delay_alu instid0(SALU_CYCLE_1)
	s_xor_b32 s1, exec_lo, s12
	s_cbranch_execz .LBB112_616
; %bb.615:
	v_div_scale_f32 v121, null, v123, v123, v122
	v_div_scale_f32 v131, vcc_lo, v122, v123, v122
	s_delay_alu instid0(VALU_DEP_2) | instskip(SKIP_1) | instid1(TRANS32_DEP_1)
	v_rcp_f32_e32 v129, v121
	v_nop
	v_fma_f32 v130, -v121, v129, 1.0
	s_delay_alu instid0(VALU_DEP_1) | instskip(NEXT) | instid1(VALU_DEP_1)
	v_fmac_f32_e32 v129, v130, v129
	v_mul_f32_e32 v130, v131, v129
	s_delay_alu instid0(VALU_DEP_1) | instskip(NEXT) | instid1(VALU_DEP_1)
	v_fma_f32 v132, -v121, v130, v131
	v_fmac_f32_e32 v130, v132, v129
	s_delay_alu instid0(VALU_DEP_1) | instskip(NEXT) | instid1(VALU_DEP_1)
	v_fma_f32 v121, -v121, v130, v131
	v_div_fmas_f32 v121, v121, v129, v130
	s_delay_alu instid0(VALU_DEP_1) | instskip(NEXT) | instid1(VALU_DEP_1)
	v_div_fixup_f32 v121, v121, v123, v122
	v_fmac_f32_e32 v123, v122, v121
	s_delay_alu instid0(VALU_DEP_1) | instskip(SKIP_1) | instid1(VALU_DEP_2)
	v_div_scale_f32 v122, null, v123, v123, 1.0
	v_div_scale_f32 v131, vcc_lo, 1.0, v123, 1.0
	v_rcp_f32_e32 v129, v122
	v_nop
	s_delay_alu instid0(TRANS32_DEP_1) | instskip(NEXT) | instid1(VALU_DEP_1)
	v_fma_f32 v130, -v122, v129, 1.0
	v_fmac_f32_e32 v129, v130, v129
	s_delay_alu instid0(VALU_DEP_1) | instskip(NEXT) | instid1(VALU_DEP_1)
	v_mul_f32_e32 v130, v131, v129
	v_fma_f32 v132, -v122, v130, v131
	s_delay_alu instid0(VALU_DEP_1) | instskip(NEXT) | instid1(VALU_DEP_1)
	v_fmac_f32_e32 v130, v132, v129
	v_fma_f32 v122, -v122, v130, v131
	s_delay_alu instid0(VALU_DEP_1) | instskip(NEXT) | instid1(VALU_DEP_1)
	v_div_fmas_f32 v122, v122, v129, v130
	v_div_fixup_f32 v123, v122, v123, 1.0
	s_delay_alu instid0(VALU_DEP_1)
	v_mul_f32_e32 v122, v121, v123
	v_xor_b32_e32 v123, 0x80000000, v123
.LBB112_616:
	s_and_not1_saveexec_b32 s1, s1
	s_cbranch_execz .LBB112_618
; %bb.617:
	s_delay_alu instid0(VALU_DEP_1) | instskip(SKIP_1) | instid1(VALU_DEP_2)
	v_div_scale_f32 v121, null, v122, v122, v123
	v_div_scale_f32 v131, vcc_lo, v123, v122, v123
	v_rcp_f32_e32 v129, v121
	v_nop
	s_delay_alu instid0(TRANS32_DEP_1) | instskip(NEXT) | instid1(VALU_DEP_1)
	v_fma_f32 v130, -v121, v129, 1.0
	v_fmac_f32_e32 v129, v130, v129
	s_delay_alu instid0(VALU_DEP_1) | instskip(NEXT) | instid1(VALU_DEP_1)
	v_mul_f32_e32 v130, v131, v129
	v_fma_f32 v132, -v121, v130, v131
	s_delay_alu instid0(VALU_DEP_1) | instskip(NEXT) | instid1(VALU_DEP_1)
	v_fmac_f32_e32 v130, v132, v129
	v_fma_f32 v121, -v121, v130, v131
	s_delay_alu instid0(VALU_DEP_1) | instskip(NEXT) | instid1(VALU_DEP_1)
	v_div_fmas_f32 v121, v121, v129, v130
	v_div_fixup_f32 v121, v121, v122, v123
	s_delay_alu instid0(VALU_DEP_1) | instskip(NEXT) | instid1(VALU_DEP_1)
	v_fmac_f32_e32 v122, v123, v121
	v_div_scale_f32 v123, null, v122, v122, 1.0
	s_delay_alu instid0(VALU_DEP_1) | instskip(SKIP_1) | instid1(TRANS32_DEP_1)
	v_rcp_f32_e32 v129, v123
	v_nop
	v_fma_f32 v130, -v123, v129, 1.0
	s_delay_alu instid0(VALU_DEP_1) | instskip(SKIP_1) | instid1(VALU_DEP_1)
	v_fmac_f32_e32 v129, v130, v129
	v_div_scale_f32 v130, vcc_lo, 1.0, v122, 1.0
	v_mul_f32_e32 v131, v130, v129
	s_delay_alu instid0(VALU_DEP_1) | instskip(NEXT) | instid1(VALU_DEP_1)
	v_fma_f32 v132, -v123, v131, v130
	v_fmac_f32_e32 v131, v132, v129
	s_delay_alu instid0(VALU_DEP_1) | instskip(NEXT) | instid1(VALU_DEP_1)
	v_fma_f32 v123, -v123, v131, v130
	v_div_fmas_f32 v123, v123, v129, v131
	s_delay_alu instid0(VALU_DEP_1) | instskip(NEXT) | instid1(VALU_DEP_1)
	v_div_fixup_f32 v122, v123, v122, 1.0
	v_mul_f32_e64 v123, v121, -v122
.LBB112_618:
	s_or_b32 exec_lo, exec_lo, s1
.LBB112_619:
	s_delay_alu instid0(SALU_CYCLE_1) | instskip(NEXT) | instid1(SALU_CYCLE_1)
	s_or_b32 exec_lo, exec_lo, s0
	s_mov_b32 s0, exec_lo
	v_cmpx_ne_u32_e64 v128, v120
	s_xor_b32 s0, exec_lo, s0
	s_cbranch_execz .LBB112_625
; %bb.620:
	s_mov_b32 s1, exec_lo
	v_cmpx_eq_u32_e32 29, v128
	s_cbranch_execz .LBB112_624
; %bb.621:
	v_cmp_ne_u32_e32 vcc_lo, 29, v120
	s_xor_b32 s12, s16, -1
	s_delay_alu instid0(SALU_CYCLE_1) | instskip(NEXT) | instid1(SALU_CYCLE_1)
	s_and_b32 s13, s12, vcc_lo
	s_and_saveexec_b32 s12, s13
	s_cbranch_execz .LBB112_623
; %bb.622:
	v_ashrrev_i32_e32 v121, 31, v120
	s_delay_alu instid0(VALU_DEP_1)
	v_lshl_add_u64 v[128:129], v[120:121], 2, v[4:5]
	s_clause 0x1
	global_load_b32 v121, v[128:129], off
	global_load_b32 v127, v[4:5], off offset:116
	s_wait_loadcnt 0x1
	global_store_b32 v[4:5], v121, off offset:116
	s_wait_loadcnt 0x0
	global_store_b32 v[128:129], v127, off
.LBB112_623:
	s_wait_xcnt 0x0
	s_or_b32 exec_lo, exec_lo, s12
	v_dual_mov_b32 v128, v120 :: v_dual_mov_b32 v127, v120
.LBB112_624:
	s_or_b32 exec_lo, exec_lo, s1
.LBB112_625:
	s_and_not1_saveexec_b32 s0, s0
	s_cbranch_execz .LBB112_627
; %bb.626:
	v_dual_mov_b32 v120, v58 :: v_dual_mov_b32 v121, v59
	v_dual_mov_b32 v128, v54 :: v_dual_mov_b32 v129, v55
	ds_store_2addr_b64 v124, v[120:121], v[128:129] offset0:30 offset1:31
	v_dual_mov_b32 v120, v52 :: v_dual_mov_b32 v121, v53
	v_dual_mov_b32 v128, v48 :: v_dual_mov_b32 v129, v49
	ds_store_2addr_b64 v124, v[120:121], v[128:129] offset0:32 offset1:33
	;; [unrolled: 3-line block ×13, first 2 shown]
	ds_store_b64 v124, v[118:119] offset:448
	v_mov_b32_e32 v128, 29
.LBB112_627:
	s_or_b32 exec_lo, exec_lo, s0
	s_delay_alu instid0(SALU_CYCLE_1)
	s_mov_b32 s0, exec_lo
	s_wait_storecnt_dscnt 0x0
	s_barrier_signal -1
	s_barrier_wait -1
	v_cmpx_lt_i32_e32 29, v128
	s_cbranch_execz .LBB112_629
; %bb.628:
	v_pk_mul_f32 v[130:131], v[122:123], v[56:57] op_sel:[1,1] op_sel_hi:[0,1]
	s_delay_alu instid0(VALU_DEP_1)
	v_pk_fma_f32 v[120:121], v[122:123], v[56:57], v[130:131] op_sel_hi:[1,0,1] neg_lo:[0,0,1] neg_hi:[0,0,1]
	v_pk_fma_f32 v[122:123], v[122:123], v[56:57], v[130:131] op_sel_hi:[1,0,1]
	ds_load_2addr_b64 v[130:133], v124 offset0:30 offset1:31
	v_dual_mov_b32 v56, v120 :: v_dual_mov_b32 v57, v123
	s_wait_dscnt 0x0
	v_pk_mul_f32 v[134:135], v[130:131], v[122:123] op_sel:[0,1]
	s_delay_alu instid0(VALU_DEP_1) | instskip(SKIP_1) | instid1(VALU_DEP_1)
	v_pk_fma_f32 v[136:137], v[130:131], v[120:121], v[134:135] op_sel:[0,0,1] op_sel_hi:[1,1,0] neg_lo:[0,0,1] neg_hi:[0,0,1]
	v_pk_fma_f32 v[130:131], v[130:131], v[120:121], v[134:135] op_sel:[0,0,1] op_sel_hi:[1,0,0]
	v_mov_b32_e32 v137, v131
	v_pk_mul_f32 v[130:131], v[132:133], v[122:123] op_sel:[0,1]
	s_delay_alu instid0(VALU_DEP_1) | instskip(SKIP_1) | instid1(VALU_DEP_1)
	v_pk_fma_f32 v[134:135], v[132:133], v[120:121], v[130:131] op_sel:[0,0,1] op_sel_hi:[1,1,0] neg_lo:[0,0,1] neg_hi:[0,0,1]
	v_pk_fma_f32 v[130:131], v[132:133], v[120:121], v[130:131] op_sel:[0,0,1] op_sel_hi:[1,0,0]
	v_mov_b32_e32 v135, v131
	ds_load_2addr_b64 v[130:133], v124 offset0:32 offset1:33
	v_pk_add_f32 v[58:59], v[58:59], v[136:137] neg_lo:[0,1] neg_hi:[0,1]
	v_pk_add_f32 v[54:55], v[54:55], v[134:135] neg_lo:[0,1] neg_hi:[0,1]
	s_wait_dscnt 0x0
	v_pk_mul_f32 v[134:135], v[130:131], v[122:123] op_sel:[0,1]
	s_delay_alu instid0(VALU_DEP_1) | instskip(SKIP_2) | instid1(VALU_DEP_2)
	v_pk_fma_f32 v[136:137], v[130:131], v[120:121], v[134:135] op_sel:[0,0,1] op_sel_hi:[1,1,0] neg_lo:[0,0,1] neg_hi:[0,0,1]
	v_pk_fma_f32 v[130:131], v[130:131], v[120:121], v[134:135] op_sel:[0,0,1] op_sel_hi:[1,0,0]
	v_dual_mul_f32 v134, v133, v123 :: v_dual_mov_b32 v130, v133
	v_dual_mov_b32 v137, v131 :: v_dual_mov_b32 v131, v132
	s_delay_alu instid0(VALU_DEP_2) | instskip(SKIP_1) | instid1(VALU_DEP_3)
	v_pk_fma_f32 v[134:135], v[132:133], v[56:57], v[134:135] op_sel_hi:[1,1,0] neg_lo:[0,0,1] neg_hi:[0,0,1]
	v_mul_f32_e32 v132, v133, v120
	v_pk_add_f32 v[52:53], v[52:53], v[136:137] neg_lo:[0,1] neg_hi:[0,1]
	s_delay_alu instid0(VALU_DEP_2) | instskip(NEXT) | instid1(VALU_DEP_1)
	v_pk_fma_f32 v[130:131], v[130:131], v[56:57], v[132:133] op_sel_hi:[1,1,0]
	v_mov_b32_e32 v135, v131
	ds_load_2addr_b64 v[130:133], v124 offset0:34 offset1:35
	v_pk_add_f32 v[48:49], v[48:49], v[134:135] neg_lo:[0,1] neg_hi:[0,1]
	s_wait_dscnt 0x0
	v_pk_mul_f32 v[134:135], v[130:131], v[122:123] op_sel:[0,1]
	s_delay_alu instid0(VALU_DEP_1) | instskip(SKIP_1) | instid1(VALU_DEP_1)
	v_pk_fma_f32 v[136:137], v[130:131], v[120:121], v[134:135] op_sel:[0,0,1] op_sel_hi:[1,1,0] neg_lo:[0,0,1] neg_hi:[0,0,1]
	v_pk_fma_f32 v[130:131], v[130:131], v[120:121], v[134:135] op_sel:[0,0,1] op_sel_hi:[1,0,0]
	v_mov_b32_e32 v137, v131
	v_pk_mul_f32 v[130:131], v[132:133], v[122:123] op_sel:[0,1]
	s_delay_alu instid0(VALU_DEP_1) | instskip(SKIP_1) | instid1(VALU_DEP_1)
	v_pk_fma_f32 v[134:135], v[132:133], v[120:121], v[130:131] op_sel:[0,0,1] op_sel_hi:[1,1,0] neg_lo:[0,0,1] neg_hi:[0,0,1]
	v_pk_fma_f32 v[130:131], v[132:133], v[120:121], v[130:131] op_sel:[0,0,1] op_sel_hi:[1,0,0]
	v_mov_b32_e32 v135, v131
	ds_load_2addr_b64 v[130:133], v124 offset0:36 offset1:37
	v_pk_add_f32 v[50:51], v[50:51], v[136:137] neg_lo:[0,1] neg_hi:[0,1]
	v_pk_add_f32 v[46:47], v[46:47], v[134:135] neg_lo:[0,1] neg_hi:[0,1]
	s_wait_dscnt 0x0
	v_pk_mul_f32 v[134:135], v[130:131], v[122:123] op_sel:[0,1]
	s_delay_alu instid0(VALU_DEP_1) | instskip(SKIP_1) | instid1(VALU_DEP_1)
	v_pk_fma_f32 v[136:137], v[130:131], v[120:121], v[134:135] op_sel:[0,0,1] op_sel_hi:[1,1,0] neg_lo:[0,0,1] neg_hi:[0,0,1]
	v_pk_fma_f32 v[130:131], v[130:131], v[120:121], v[134:135] op_sel:[0,0,1] op_sel_hi:[1,0,0]
	v_mov_b32_e32 v137, v131
	v_pk_mul_f32 v[130:131], v[132:133], v[122:123] op_sel:[0,1]
	s_delay_alu instid0(VALU_DEP_1) | instskip(SKIP_1) | instid1(VALU_DEP_1)
	v_pk_fma_f32 v[134:135], v[132:133], v[120:121], v[130:131] op_sel:[0,0,1] op_sel_hi:[1,1,0] neg_lo:[0,0,1] neg_hi:[0,0,1]
	v_pk_fma_f32 v[130:131], v[132:133], v[120:121], v[130:131] op_sel:[0,0,1] op_sel_hi:[1,0,0]
	v_mov_b32_e32 v135, v131
	ds_load_2addr_b64 v[130:133], v124 offset0:38 offset1:39
	v_pk_add_f32 v[44:45], v[44:45], v[136:137] neg_lo:[0,1] neg_hi:[0,1]
	v_pk_add_f32 v[40:41], v[40:41], v[134:135] neg_lo:[0,1] neg_hi:[0,1]
	s_wait_dscnt 0x0
	v_dual_mul_f32 v134, v131, v123 :: v_dual_mul_f32 v136, v131, v120
	s_delay_alu instid0(VALU_DEP_1) | instskip(NEXT) | instid1(VALU_DEP_2)
	v_pk_fma_f32 v[134:135], v[130:131], v[56:57], v[134:135] op_sel_hi:[1,1,0] neg_lo:[0,0,1] neg_hi:[0,0,1]
	v_pk_fma_f32 v[130:131], v[130:131], v[56:57], v[136:137] op_sel:[1,0,0] op_sel_hi:[0,1,0]
	s_delay_alu instid0(VALU_DEP_1) | instskip(SKIP_1) | instid1(VALU_DEP_2)
	v_mov_b32_e32 v135, v131
	v_pk_mul_f32 v[130:131], v[132:133], v[122:123] op_sel:[0,1]
	v_pk_add_f32 v[42:43], v[42:43], v[134:135] neg_lo:[0,1] neg_hi:[0,1]
	s_delay_alu instid0(VALU_DEP_2) | instskip(SKIP_1) | instid1(VALU_DEP_1)
	v_pk_fma_f32 v[134:135], v[132:133], v[120:121], v[130:131] op_sel:[0,0,1] op_sel_hi:[1,1,0] neg_lo:[0,0,1] neg_hi:[0,0,1]
	v_pk_fma_f32 v[130:131], v[132:133], v[120:121], v[130:131] op_sel:[0,0,1] op_sel_hi:[1,0,0]
	v_mov_b32_e32 v135, v131
	ds_load_2addr_b64 v[130:133], v124 offset0:40 offset1:41
	v_pk_add_f32 v[38:39], v[38:39], v[134:135] neg_lo:[0,1] neg_hi:[0,1]
	s_wait_dscnt 0x0
	v_pk_mul_f32 v[134:135], v[130:131], v[122:123] op_sel:[0,1]
	s_delay_alu instid0(VALU_DEP_1) | instskip(SKIP_1) | instid1(VALU_DEP_1)
	v_pk_fma_f32 v[136:137], v[130:131], v[120:121], v[134:135] op_sel:[0,0,1] op_sel_hi:[1,1,0] neg_lo:[0,0,1] neg_hi:[0,0,1]
	v_pk_fma_f32 v[130:131], v[130:131], v[120:121], v[134:135] op_sel:[0,0,1] op_sel_hi:[1,0,0]
	v_mov_b32_e32 v137, v131
	v_pk_mul_f32 v[130:131], v[132:133], v[122:123] op_sel:[0,1]
	s_delay_alu instid0(VALU_DEP_2) | instskip(NEXT) | instid1(VALU_DEP_2)
	v_pk_add_f32 v[36:37], v[36:37], v[136:137] neg_lo:[0,1] neg_hi:[0,1]
	v_pk_fma_f32 v[134:135], v[132:133], v[120:121], v[130:131] op_sel:[0,0,1] op_sel_hi:[1,1,0] neg_lo:[0,0,1] neg_hi:[0,0,1]
	v_pk_fma_f32 v[130:131], v[132:133], v[120:121], v[130:131] op_sel:[0,0,1] op_sel_hi:[1,0,0]
	s_delay_alu instid0(VALU_DEP_1) | instskip(SKIP_4) | instid1(VALU_DEP_1)
	v_mov_b32_e32 v135, v131
	ds_load_2addr_b64 v[130:133], v124 offset0:42 offset1:43
	v_pk_add_f32 v[32:33], v[32:33], v[134:135] neg_lo:[0,1] neg_hi:[0,1]
	s_wait_dscnt 0x0
	v_pk_mul_f32 v[134:135], v[130:131], v[122:123] op_sel:[0,1]
	v_pk_fma_f32 v[136:137], v[130:131], v[120:121], v[134:135] op_sel:[0,0,1] op_sel_hi:[1,1,0] neg_lo:[0,0,1] neg_hi:[0,0,1]
	v_pk_fma_f32 v[130:131], v[130:131], v[120:121], v[134:135] op_sel:[0,0,1] op_sel_hi:[1,0,0]
	v_dual_mul_f32 v134, v133, v123 :: v_dual_mov_b32 v130, v133
	s_delay_alu instid0(VALU_DEP_2) | instskip(NEXT) | instid1(VALU_DEP_2)
	v_dual_mov_b32 v137, v131 :: v_dual_mov_b32 v131, v132
	v_pk_fma_f32 v[134:135], v[132:133], v[56:57], v[134:135] op_sel_hi:[1,1,0] neg_lo:[0,0,1] neg_hi:[0,0,1]
	v_mul_f32_e32 v132, v133, v120
	s_delay_alu instid0(VALU_DEP_3) | instskip(NEXT) | instid1(VALU_DEP_2)
	v_pk_add_f32 v[34:35], v[34:35], v[136:137] neg_lo:[0,1] neg_hi:[0,1]
	v_pk_fma_f32 v[130:131], v[130:131], v[56:57], v[132:133] op_sel_hi:[1,1,0]
	s_delay_alu instid0(VALU_DEP_1) | instskip(SKIP_4) | instid1(VALU_DEP_1)
	v_mov_b32_e32 v135, v131
	ds_load_2addr_b64 v[130:133], v124 offset0:44 offset1:45
	v_pk_add_f32 v[30:31], v[30:31], v[134:135] neg_lo:[0,1] neg_hi:[0,1]
	s_wait_dscnt 0x0
	v_pk_mul_f32 v[134:135], v[130:131], v[122:123] op_sel:[0,1]
	v_pk_fma_f32 v[136:137], v[130:131], v[120:121], v[134:135] op_sel:[0,0,1] op_sel_hi:[1,1,0] neg_lo:[0,0,1] neg_hi:[0,0,1]
	v_pk_fma_f32 v[130:131], v[130:131], v[120:121], v[134:135] op_sel:[0,0,1] op_sel_hi:[1,0,0]
	s_delay_alu instid0(VALU_DEP_1) | instskip(SKIP_1) | instid1(VALU_DEP_1)
	v_mov_b32_e32 v137, v131
	v_pk_mul_f32 v[130:131], v[132:133], v[122:123] op_sel:[0,1]
	v_pk_fma_f32 v[134:135], v[132:133], v[120:121], v[130:131] op_sel:[0,0,1] op_sel_hi:[1,1,0] neg_lo:[0,0,1] neg_hi:[0,0,1]
	v_pk_fma_f32 v[130:131], v[132:133], v[120:121], v[130:131] op_sel:[0,0,1] op_sel_hi:[1,0,0]
	s_delay_alu instid0(VALU_DEP_1)
	v_mov_b32_e32 v135, v131
	ds_load_2addr_b64 v[130:133], v124 offset0:46 offset1:47
	v_pk_add_f32 v[26:27], v[26:27], v[136:137] neg_lo:[0,1] neg_hi:[0,1]
	v_pk_add_f32 v[22:23], v[22:23], v[134:135] neg_lo:[0,1] neg_hi:[0,1]
	s_wait_dscnt 0x0
	v_pk_mul_f32 v[134:135], v[130:131], v[122:123] op_sel:[0,1]
	s_delay_alu instid0(VALU_DEP_1) | instskip(SKIP_1) | instid1(VALU_DEP_1)
	v_pk_fma_f32 v[136:137], v[130:131], v[120:121], v[134:135] op_sel:[0,0,1] op_sel_hi:[1,1,0] neg_lo:[0,0,1] neg_hi:[0,0,1]
	v_pk_fma_f32 v[130:131], v[130:131], v[120:121], v[134:135] op_sel:[0,0,1] op_sel_hi:[1,0,0]
	v_mov_b32_e32 v137, v131
	v_pk_mul_f32 v[130:131], v[132:133], v[122:123] op_sel:[0,1]
	s_delay_alu instid0(VALU_DEP_1) | instskip(SKIP_1) | instid1(VALU_DEP_1)
	v_pk_fma_f32 v[134:135], v[132:133], v[120:121], v[130:131] op_sel:[0,0,1] op_sel_hi:[1,1,0] neg_lo:[0,0,1] neg_hi:[0,0,1]
	v_pk_fma_f32 v[130:131], v[132:133], v[120:121], v[130:131] op_sel:[0,0,1] op_sel_hi:[1,0,0]
	v_mov_b32_e32 v135, v131
	ds_load_2addr_b64 v[130:133], v124 offset0:48 offset1:49
	v_pk_add_f32 v[24:25], v[24:25], v[136:137] neg_lo:[0,1] neg_hi:[0,1]
	v_pk_add_f32 v[20:21], v[20:21], v[134:135] neg_lo:[0,1] neg_hi:[0,1]
	s_wait_dscnt 0x0
	v_dual_mul_f32 v134, v131, v123 :: v_dual_mul_f32 v136, v131, v120
	s_delay_alu instid0(VALU_DEP_1) | instskip(NEXT) | instid1(VALU_DEP_2)
	v_pk_fma_f32 v[134:135], v[130:131], v[56:57], v[134:135] op_sel_hi:[1,1,0] neg_lo:[0,0,1] neg_hi:[0,0,1]
	v_pk_fma_f32 v[130:131], v[130:131], v[56:57], v[136:137] op_sel:[1,0,0] op_sel_hi:[0,1,0]
	s_delay_alu instid0(VALU_DEP_1) | instskip(SKIP_1) | instid1(VALU_DEP_2)
	v_mov_b32_e32 v135, v131
	v_pk_mul_f32 v[130:131], v[132:133], v[122:123] op_sel:[0,1]
	v_pk_add_f32 v[14:15], v[14:15], v[134:135] neg_lo:[0,1] neg_hi:[0,1]
	s_delay_alu instid0(VALU_DEP_2) | instskip(SKIP_1) | instid1(VALU_DEP_1)
	v_pk_fma_f32 v[134:135], v[132:133], v[120:121], v[130:131] op_sel:[0,0,1] op_sel_hi:[1,1,0] neg_lo:[0,0,1] neg_hi:[0,0,1]
	v_pk_fma_f32 v[130:131], v[132:133], v[120:121], v[130:131] op_sel:[0,0,1] op_sel_hi:[1,0,0]
	v_mov_b32_e32 v135, v131
	ds_load_2addr_b64 v[130:133], v124 offset0:50 offset1:51
	v_pk_add_f32 v[10:11], v[10:11], v[134:135] neg_lo:[0,1] neg_hi:[0,1]
	s_wait_dscnt 0x0
	v_pk_mul_f32 v[134:135], v[130:131], v[122:123] op_sel:[0,1]
	s_delay_alu instid0(VALU_DEP_1) | instskip(SKIP_1) | instid1(VALU_DEP_1)
	v_pk_fma_f32 v[136:137], v[130:131], v[120:121], v[134:135] op_sel:[0,0,1] op_sel_hi:[1,1,0] neg_lo:[0,0,1] neg_hi:[0,0,1]
	v_pk_fma_f32 v[130:131], v[130:131], v[120:121], v[134:135] op_sel:[0,0,1] op_sel_hi:[1,0,0]
	v_mov_b32_e32 v137, v131
	v_pk_mul_f32 v[130:131], v[132:133], v[122:123] op_sel:[0,1]
	s_delay_alu instid0(VALU_DEP_2) | instskip(NEXT) | instid1(VALU_DEP_2)
	v_pk_add_f32 v[12:13], v[12:13], v[136:137] neg_lo:[0,1] neg_hi:[0,1]
	v_pk_fma_f32 v[134:135], v[132:133], v[120:121], v[130:131] op_sel:[0,0,1] op_sel_hi:[1,1,0] neg_lo:[0,0,1] neg_hi:[0,0,1]
	v_pk_fma_f32 v[130:131], v[132:133], v[120:121], v[130:131] op_sel:[0,0,1] op_sel_hi:[1,0,0]
	s_delay_alu instid0(VALU_DEP_1) | instskip(SKIP_4) | instid1(VALU_DEP_1)
	v_mov_b32_e32 v135, v131
	ds_load_2addr_b64 v[130:133], v124 offset0:52 offset1:53
	v_pk_add_f32 v[8:9], v[8:9], v[134:135] neg_lo:[0,1] neg_hi:[0,1]
	s_wait_dscnt 0x0
	v_pk_mul_f32 v[134:135], v[130:131], v[122:123] op_sel:[0,1]
	v_pk_fma_f32 v[136:137], v[130:131], v[120:121], v[134:135] op_sel:[0,0,1] op_sel_hi:[1,1,0] neg_lo:[0,0,1] neg_hi:[0,0,1]
	v_pk_fma_f32 v[130:131], v[130:131], v[120:121], v[134:135] op_sel:[0,0,1] op_sel_hi:[1,0,0]
	v_dual_mul_f32 v134, v133, v123 :: v_dual_mov_b32 v130, v133
	s_delay_alu instid0(VALU_DEP_2) | instskip(NEXT) | instid1(VALU_DEP_2)
	v_dual_mov_b32 v137, v131 :: v_dual_mov_b32 v131, v132
	v_pk_fma_f32 v[134:135], v[132:133], v[56:57], v[134:135] op_sel_hi:[1,1,0] neg_lo:[0,0,1] neg_hi:[0,0,1]
	v_mul_f32_e32 v132, v133, v120
	s_delay_alu instid0(VALU_DEP_3) | instskip(NEXT) | instid1(VALU_DEP_2)
	v_pk_add_f32 v[6:7], v[6:7], v[136:137] neg_lo:[0,1] neg_hi:[0,1]
	v_pk_fma_f32 v[130:131], v[130:131], v[56:57], v[132:133] op_sel_hi:[1,1,0]
	s_delay_alu instid0(VALU_DEP_1) | instskip(SKIP_4) | instid1(VALU_DEP_1)
	v_mov_b32_e32 v135, v131
	ds_load_2addr_b64 v[130:133], v124 offset0:54 offset1:55
	v_pk_add_f32 v[28:29], v[28:29], v[134:135] neg_lo:[0,1] neg_hi:[0,1]
	s_wait_dscnt 0x0
	v_pk_mul_f32 v[134:135], v[130:131], v[122:123] op_sel:[0,1]
	v_pk_fma_f32 v[136:137], v[130:131], v[120:121], v[134:135] op_sel:[0,0,1] op_sel_hi:[1,1,0] neg_lo:[0,0,1] neg_hi:[0,0,1]
	v_pk_fma_f32 v[130:131], v[130:131], v[120:121], v[134:135] op_sel:[0,0,1] op_sel_hi:[1,0,0]
	s_delay_alu instid0(VALU_DEP_1) | instskip(SKIP_1) | instid1(VALU_DEP_1)
	v_mov_b32_e32 v137, v131
	v_pk_mul_f32 v[130:131], v[132:133], v[122:123] op_sel:[0,1]
	v_pk_fma_f32 v[134:135], v[132:133], v[120:121], v[130:131] op_sel:[0,0,1] op_sel_hi:[1,1,0] neg_lo:[0,0,1] neg_hi:[0,0,1]
	v_pk_fma_f32 v[130:131], v[132:133], v[120:121], v[130:131] op_sel:[0,0,1] op_sel_hi:[1,0,0]
	s_delay_alu instid0(VALU_DEP_1)
	v_mov_b32_e32 v135, v131
	ds_load_b64 v[130:131], v124 offset:448
	v_pk_add_f32 v[18:19], v[18:19], v[136:137] neg_lo:[0,1] neg_hi:[0,1]
	v_pk_add_f32 v[16:17], v[16:17], v[134:135] neg_lo:[0,1] neg_hi:[0,1]
	s_wait_dscnt 0x0
	v_pk_mul_f32 v[122:123], v[130:131], v[122:123] op_sel:[0,1]
	s_delay_alu instid0(VALU_DEP_1) | instskip(SKIP_1) | instid1(VALU_DEP_1)
	v_pk_fma_f32 v[132:133], v[130:131], v[120:121], v[122:123] op_sel:[0,0,1] op_sel_hi:[1,1,0] neg_lo:[0,0,1] neg_hi:[0,0,1]
	v_pk_fma_f32 v[120:121], v[130:131], v[120:121], v[122:123] op_sel:[0,0,1] op_sel_hi:[1,0,0]
	v_mov_b32_e32 v133, v121
	s_delay_alu instid0(VALU_DEP_1)
	v_pk_add_f32 v[118:119], v[118:119], v[132:133] neg_lo:[0,1] neg_hi:[0,1]
.LBB112_629:
	s_or_b32 exec_lo, exec_lo, s0
	v_lshl_add_u32 v120, v128, 3, v124
	s_barrier_signal -1
	s_barrier_wait -1
	ds_store_b64 v120, v[58:59]
	s_wait_dscnt 0x0
	s_barrier_signal -1
	s_barrier_wait -1
	ds_load_b64 v[122:123], v124 offset:240
	v_mov_b32_e32 v120, 30
	s_cmp_lt_i32 s18, 32
	s_cbranch_scc1 .LBB112_632
; %bb.630:
	v_add3_u32 v121, v125, 0, 0xf8
	v_mov_b32_e32 v120, 30
	s_mov_b32 s0, 31
.LBB112_631:                            ; =>This Inner Loop Header: Depth=1
	ds_load_b64 v[130:131], v121
	s_wait_dscnt 0x1
	v_cmp_gt_f32_e32 vcc_lo, 0, v122
	v_cndmask_b32_e64 v132, v122, -v122, vcc_lo
	v_cmp_gt_f32_e32 vcc_lo, 0, v123
	v_cndmask_b32_e64 v134, v123, -v123, vcc_lo
	s_wait_dscnt 0x0
	v_cmp_gt_f32_e32 vcc_lo, 0, v130
	v_cndmask_b32_e64 v133, v130, -v130, vcc_lo
	v_cmp_gt_f32_e32 vcc_lo, 0, v131
	v_cndmask_b32_e64 v135, v131, -v131, vcc_lo
	s_delay_alu instid0(VALU_DEP_1) | instskip(NEXT) | instid1(VALU_DEP_1)
	v_pk_add_f32 v[132:133], v[132:133], v[134:135]
	v_cmp_lt_f32_e32 vcc_lo, v132, v133
	v_dual_add_nc_u32 v121, 8, v121 :: v_dual_cndmask_b32 v123, v123, v131, vcc_lo
	v_cndmask_b32_e32 v122, v122, v130, vcc_lo
	v_cndmask_b32_e64 v120, v120, s0, vcc_lo
	s_add_co_i32 s0, s0, 1
	s_delay_alu instid0(SALU_CYCLE_1)
	s_cmp_lg_u32 s18, s0
	s_cbranch_scc1 .LBB112_631
.LBB112_632:
	s_wait_dscnt 0x0
	v_cmp_eq_f32_e32 vcc_lo, 0, v122
	v_cmp_eq_f32_e64 s0, 0, v123
	s_and_b32 s0, vcc_lo, s0
	s_delay_alu instid0(SALU_CYCLE_1) | instskip(NEXT) | instid1(SALU_CYCLE_1)
	s_and_saveexec_b32 s1, s0
	s_xor_b32 s0, exec_lo, s1
; %bb.633:
	v_cmp_ne_u32_e32 vcc_lo, 0, v126
	v_cndmask_b32_e32 v126, 31, v126, vcc_lo
; %bb.634:
	s_and_not1_saveexec_b32 s0, s0
	s_cbranch_execz .LBB112_640
; %bb.635:
	v_cmp_ngt_f32_e64 s1, |v122|, |v123|
	s_and_saveexec_b32 s12, s1
	s_delay_alu instid0(SALU_CYCLE_1)
	s_xor_b32 s1, exec_lo, s12
	s_cbranch_execz .LBB112_637
; %bb.636:
	v_div_scale_f32 v121, null, v123, v123, v122
	v_div_scale_f32 v131, vcc_lo, v122, v123, v122
	s_delay_alu instid0(VALU_DEP_2) | instskip(SKIP_1) | instid1(TRANS32_DEP_1)
	v_rcp_f32_e32 v129, v121
	v_nop
	v_fma_f32 v130, -v121, v129, 1.0
	s_delay_alu instid0(VALU_DEP_1) | instskip(NEXT) | instid1(VALU_DEP_1)
	v_fmac_f32_e32 v129, v130, v129
	v_mul_f32_e32 v130, v131, v129
	s_delay_alu instid0(VALU_DEP_1) | instskip(NEXT) | instid1(VALU_DEP_1)
	v_fma_f32 v132, -v121, v130, v131
	v_fmac_f32_e32 v130, v132, v129
	s_delay_alu instid0(VALU_DEP_1) | instskip(NEXT) | instid1(VALU_DEP_1)
	v_fma_f32 v121, -v121, v130, v131
	v_div_fmas_f32 v121, v121, v129, v130
	s_delay_alu instid0(VALU_DEP_1) | instskip(NEXT) | instid1(VALU_DEP_1)
	v_div_fixup_f32 v121, v121, v123, v122
	v_fmac_f32_e32 v123, v122, v121
	s_delay_alu instid0(VALU_DEP_1) | instskip(SKIP_1) | instid1(VALU_DEP_2)
	v_div_scale_f32 v122, null, v123, v123, 1.0
	v_div_scale_f32 v131, vcc_lo, 1.0, v123, 1.0
	v_rcp_f32_e32 v129, v122
	v_nop
	s_delay_alu instid0(TRANS32_DEP_1) | instskip(NEXT) | instid1(VALU_DEP_1)
	v_fma_f32 v130, -v122, v129, 1.0
	v_fmac_f32_e32 v129, v130, v129
	s_delay_alu instid0(VALU_DEP_1) | instskip(NEXT) | instid1(VALU_DEP_1)
	v_mul_f32_e32 v130, v131, v129
	v_fma_f32 v132, -v122, v130, v131
	s_delay_alu instid0(VALU_DEP_1) | instskip(NEXT) | instid1(VALU_DEP_1)
	v_fmac_f32_e32 v130, v132, v129
	v_fma_f32 v122, -v122, v130, v131
	s_delay_alu instid0(VALU_DEP_1) | instskip(NEXT) | instid1(VALU_DEP_1)
	v_div_fmas_f32 v122, v122, v129, v130
	v_div_fixup_f32 v123, v122, v123, 1.0
	s_delay_alu instid0(VALU_DEP_1)
	v_mul_f32_e32 v122, v121, v123
	v_xor_b32_e32 v123, 0x80000000, v123
.LBB112_637:
	s_and_not1_saveexec_b32 s1, s1
	s_cbranch_execz .LBB112_639
; %bb.638:
	s_delay_alu instid0(VALU_DEP_1) | instskip(SKIP_1) | instid1(VALU_DEP_2)
	v_div_scale_f32 v121, null, v122, v122, v123
	v_div_scale_f32 v131, vcc_lo, v123, v122, v123
	v_rcp_f32_e32 v129, v121
	v_nop
	s_delay_alu instid0(TRANS32_DEP_1) | instskip(NEXT) | instid1(VALU_DEP_1)
	v_fma_f32 v130, -v121, v129, 1.0
	v_fmac_f32_e32 v129, v130, v129
	s_delay_alu instid0(VALU_DEP_1) | instskip(NEXT) | instid1(VALU_DEP_1)
	v_mul_f32_e32 v130, v131, v129
	v_fma_f32 v132, -v121, v130, v131
	s_delay_alu instid0(VALU_DEP_1) | instskip(NEXT) | instid1(VALU_DEP_1)
	v_fmac_f32_e32 v130, v132, v129
	v_fma_f32 v121, -v121, v130, v131
	s_delay_alu instid0(VALU_DEP_1) | instskip(NEXT) | instid1(VALU_DEP_1)
	v_div_fmas_f32 v121, v121, v129, v130
	v_div_fixup_f32 v121, v121, v122, v123
	s_delay_alu instid0(VALU_DEP_1) | instskip(NEXT) | instid1(VALU_DEP_1)
	v_fmac_f32_e32 v122, v123, v121
	v_div_scale_f32 v123, null, v122, v122, 1.0
	s_delay_alu instid0(VALU_DEP_1) | instskip(SKIP_1) | instid1(TRANS32_DEP_1)
	v_rcp_f32_e32 v129, v123
	v_nop
	v_fma_f32 v130, -v123, v129, 1.0
	s_delay_alu instid0(VALU_DEP_1) | instskip(SKIP_1) | instid1(VALU_DEP_1)
	v_fmac_f32_e32 v129, v130, v129
	v_div_scale_f32 v130, vcc_lo, 1.0, v122, 1.0
	v_mul_f32_e32 v131, v130, v129
	s_delay_alu instid0(VALU_DEP_1) | instskip(NEXT) | instid1(VALU_DEP_1)
	v_fma_f32 v132, -v123, v131, v130
	v_fmac_f32_e32 v131, v132, v129
	s_delay_alu instid0(VALU_DEP_1) | instskip(NEXT) | instid1(VALU_DEP_1)
	v_fma_f32 v123, -v123, v131, v130
	v_div_fmas_f32 v123, v123, v129, v131
	s_delay_alu instid0(VALU_DEP_1) | instskip(NEXT) | instid1(VALU_DEP_1)
	v_div_fixup_f32 v122, v123, v122, 1.0
	v_mul_f32_e64 v123, v121, -v122
.LBB112_639:
	s_or_b32 exec_lo, exec_lo, s1
.LBB112_640:
	s_delay_alu instid0(SALU_CYCLE_1) | instskip(NEXT) | instid1(SALU_CYCLE_1)
	s_or_b32 exec_lo, exec_lo, s0
	s_mov_b32 s0, exec_lo
	v_cmpx_ne_u32_e64 v128, v120
	s_xor_b32 s0, exec_lo, s0
	s_cbranch_execz .LBB112_646
; %bb.641:
	s_mov_b32 s1, exec_lo
	v_cmpx_eq_u32_e32 30, v128
	s_cbranch_execz .LBB112_645
; %bb.642:
	v_cmp_ne_u32_e32 vcc_lo, 30, v120
	s_xor_b32 s12, s16, -1
	s_delay_alu instid0(SALU_CYCLE_1) | instskip(NEXT) | instid1(SALU_CYCLE_1)
	s_and_b32 s13, s12, vcc_lo
	s_and_saveexec_b32 s12, s13
	s_cbranch_execz .LBB112_644
; %bb.643:
	v_ashrrev_i32_e32 v121, 31, v120
	s_delay_alu instid0(VALU_DEP_1)
	v_lshl_add_u64 v[128:129], v[120:121], 2, v[4:5]
	s_clause 0x1
	global_load_b32 v121, v[128:129], off
	global_load_b32 v127, v[4:5], off offset:120
	s_wait_loadcnt 0x1
	global_store_b32 v[4:5], v121, off offset:120
	s_wait_loadcnt 0x0
	global_store_b32 v[128:129], v127, off
.LBB112_644:
	s_wait_xcnt 0x0
	s_or_b32 exec_lo, exec_lo, s12
	v_dual_mov_b32 v128, v120 :: v_dual_mov_b32 v127, v120
.LBB112_645:
	s_or_b32 exec_lo, exec_lo, s1
.LBB112_646:
	s_and_not1_saveexec_b32 s0, s0
	s_cbranch_execz .LBB112_648
; %bb.647:
	v_mov_b32_e32 v128, 30
	ds_store_2addr_b64 v124, v[54:55], v[52:53] offset0:31 offset1:32
	ds_store_2addr_b64 v124, v[48:49], v[50:51] offset0:33 offset1:34
	;; [unrolled: 1-line block ×13, first 2 shown]
.LBB112_648:
	s_or_b32 exec_lo, exec_lo, s0
	s_delay_alu instid0(SALU_CYCLE_1)
	s_mov_b32 s0, exec_lo
	s_wait_storecnt_dscnt 0x0
	s_barrier_signal -1
	s_barrier_wait -1
	v_cmpx_lt_i32_e32 30, v128
	s_cbranch_execz .LBB112_650
; %bb.649:
	v_pk_mul_f32 v[130:131], v[122:123], v[58:59] op_sel:[1,1] op_sel_hi:[0,1]
	s_delay_alu instid0(VALU_DEP_1)
	v_pk_fma_f32 v[120:121], v[122:123], v[58:59], v[130:131] op_sel_hi:[1,0,1] neg_lo:[0,0,1] neg_hi:[0,0,1]
	v_pk_fma_f32 v[122:123], v[122:123], v[58:59], v[130:131] op_sel_hi:[1,0,1]
	ds_load_2addr_b64 v[130:133], v124 offset0:31 offset1:32
	v_dual_mov_b32 v58, v120 :: v_dual_mov_b32 v59, v123
	s_wait_dscnt 0x0
	v_pk_mul_f32 v[134:135], v[130:131], v[122:123] op_sel:[0,1]
	s_delay_alu instid0(VALU_DEP_1) | instskip(SKIP_1) | instid1(VALU_DEP_1)
	v_pk_fma_f32 v[136:137], v[130:131], v[120:121], v[134:135] op_sel:[0,0,1] op_sel_hi:[1,1,0] neg_lo:[0,0,1] neg_hi:[0,0,1]
	v_pk_fma_f32 v[130:131], v[130:131], v[120:121], v[134:135] op_sel:[0,0,1] op_sel_hi:[1,0,0]
	v_mov_b32_e32 v137, v131
	v_pk_mul_f32 v[130:131], v[132:133], v[122:123] op_sel:[0,1]
	s_delay_alu instid0(VALU_DEP_1) | instskip(SKIP_1) | instid1(VALU_DEP_1)
	v_pk_fma_f32 v[134:135], v[132:133], v[120:121], v[130:131] op_sel:[0,0,1] op_sel_hi:[1,1,0] neg_lo:[0,0,1] neg_hi:[0,0,1]
	v_pk_fma_f32 v[130:131], v[132:133], v[120:121], v[130:131] op_sel:[0,0,1] op_sel_hi:[1,0,0]
	v_mov_b32_e32 v135, v131
	ds_load_2addr_b64 v[130:133], v124 offset0:33 offset1:34
	v_pk_add_f32 v[54:55], v[54:55], v[136:137] neg_lo:[0,1] neg_hi:[0,1]
	v_pk_add_f32 v[52:53], v[52:53], v[134:135] neg_lo:[0,1] neg_hi:[0,1]
	s_wait_dscnt 0x0
	v_pk_mul_f32 v[134:135], v[130:131], v[122:123] op_sel:[0,1]
	s_delay_alu instid0(VALU_DEP_1) | instskip(SKIP_2) | instid1(VALU_DEP_2)
	v_pk_fma_f32 v[136:137], v[130:131], v[120:121], v[134:135] op_sel:[0,0,1] op_sel_hi:[1,1,0] neg_lo:[0,0,1] neg_hi:[0,0,1]
	v_pk_fma_f32 v[130:131], v[130:131], v[120:121], v[134:135] op_sel:[0,0,1] op_sel_hi:[1,0,0]
	v_dual_mul_f32 v134, v133, v123 :: v_dual_mov_b32 v130, v133
	v_dual_mov_b32 v137, v131 :: v_dual_mov_b32 v131, v132
	s_delay_alu instid0(VALU_DEP_2) | instskip(SKIP_1) | instid1(VALU_DEP_3)
	v_pk_fma_f32 v[134:135], v[132:133], v[58:59], v[134:135] op_sel_hi:[1,1,0] neg_lo:[0,0,1] neg_hi:[0,0,1]
	v_mul_f32_e32 v132, v133, v120
	v_pk_add_f32 v[48:49], v[48:49], v[136:137] neg_lo:[0,1] neg_hi:[0,1]
	s_delay_alu instid0(VALU_DEP_2) | instskip(NEXT) | instid1(VALU_DEP_1)
	v_pk_fma_f32 v[130:131], v[130:131], v[58:59], v[132:133] op_sel_hi:[1,1,0]
	v_mov_b32_e32 v135, v131
	ds_load_2addr_b64 v[130:133], v124 offset0:35 offset1:36
	v_pk_add_f32 v[50:51], v[50:51], v[134:135] neg_lo:[0,1] neg_hi:[0,1]
	s_wait_dscnt 0x0
	v_pk_mul_f32 v[134:135], v[130:131], v[122:123] op_sel:[0,1]
	s_delay_alu instid0(VALU_DEP_1) | instskip(SKIP_1) | instid1(VALU_DEP_1)
	v_pk_fma_f32 v[136:137], v[130:131], v[120:121], v[134:135] op_sel:[0,0,1] op_sel_hi:[1,1,0] neg_lo:[0,0,1] neg_hi:[0,0,1]
	v_pk_fma_f32 v[130:131], v[130:131], v[120:121], v[134:135] op_sel:[0,0,1] op_sel_hi:[1,0,0]
	v_mov_b32_e32 v137, v131
	v_pk_mul_f32 v[130:131], v[132:133], v[122:123] op_sel:[0,1]
	s_delay_alu instid0(VALU_DEP_1) | instskip(SKIP_1) | instid1(VALU_DEP_1)
	v_pk_fma_f32 v[134:135], v[132:133], v[120:121], v[130:131] op_sel:[0,0,1] op_sel_hi:[1,1,0] neg_lo:[0,0,1] neg_hi:[0,0,1]
	v_pk_fma_f32 v[130:131], v[132:133], v[120:121], v[130:131] op_sel:[0,0,1] op_sel_hi:[1,0,0]
	v_mov_b32_e32 v135, v131
	ds_load_2addr_b64 v[130:133], v124 offset0:37 offset1:38
	v_pk_add_f32 v[46:47], v[46:47], v[136:137] neg_lo:[0,1] neg_hi:[0,1]
	v_pk_add_f32 v[44:45], v[44:45], v[134:135] neg_lo:[0,1] neg_hi:[0,1]
	s_wait_dscnt 0x0
	v_pk_mul_f32 v[134:135], v[130:131], v[122:123] op_sel:[0,1]
	s_delay_alu instid0(VALU_DEP_1) | instskip(SKIP_1) | instid1(VALU_DEP_1)
	v_pk_fma_f32 v[136:137], v[130:131], v[120:121], v[134:135] op_sel:[0,0,1] op_sel_hi:[1,1,0] neg_lo:[0,0,1] neg_hi:[0,0,1]
	v_pk_fma_f32 v[130:131], v[130:131], v[120:121], v[134:135] op_sel:[0,0,1] op_sel_hi:[1,0,0]
	v_mov_b32_e32 v137, v131
	v_pk_mul_f32 v[130:131], v[132:133], v[122:123] op_sel:[0,1]
	s_delay_alu instid0(VALU_DEP_1) | instskip(SKIP_1) | instid1(VALU_DEP_1)
	v_pk_fma_f32 v[134:135], v[132:133], v[120:121], v[130:131] op_sel:[0,0,1] op_sel_hi:[1,1,0] neg_lo:[0,0,1] neg_hi:[0,0,1]
	v_pk_fma_f32 v[130:131], v[132:133], v[120:121], v[130:131] op_sel:[0,0,1] op_sel_hi:[1,0,0]
	v_mov_b32_e32 v135, v131
	ds_load_2addr_b64 v[130:133], v124 offset0:39 offset1:40
	v_pk_add_f32 v[40:41], v[40:41], v[136:137] neg_lo:[0,1] neg_hi:[0,1]
	v_pk_add_f32 v[42:43], v[42:43], v[134:135] neg_lo:[0,1] neg_hi:[0,1]
	s_wait_dscnt 0x0
	v_dual_mul_f32 v134, v131, v123 :: v_dual_mul_f32 v136, v131, v120
	s_delay_alu instid0(VALU_DEP_1) | instskip(NEXT) | instid1(VALU_DEP_2)
	v_pk_fma_f32 v[134:135], v[130:131], v[58:59], v[134:135] op_sel_hi:[1,1,0] neg_lo:[0,0,1] neg_hi:[0,0,1]
	v_pk_fma_f32 v[130:131], v[130:131], v[58:59], v[136:137] op_sel:[1,0,0] op_sel_hi:[0,1,0]
	s_delay_alu instid0(VALU_DEP_1) | instskip(SKIP_1) | instid1(VALU_DEP_2)
	v_mov_b32_e32 v135, v131
	v_pk_mul_f32 v[130:131], v[132:133], v[122:123] op_sel:[0,1]
	v_pk_add_f32 v[38:39], v[38:39], v[134:135] neg_lo:[0,1] neg_hi:[0,1]
	s_delay_alu instid0(VALU_DEP_2) | instskip(SKIP_1) | instid1(VALU_DEP_1)
	v_pk_fma_f32 v[134:135], v[132:133], v[120:121], v[130:131] op_sel:[0,0,1] op_sel_hi:[1,1,0] neg_lo:[0,0,1] neg_hi:[0,0,1]
	v_pk_fma_f32 v[130:131], v[132:133], v[120:121], v[130:131] op_sel:[0,0,1] op_sel_hi:[1,0,0]
	v_mov_b32_e32 v135, v131
	ds_load_2addr_b64 v[130:133], v124 offset0:41 offset1:42
	v_pk_add_f32 v[36:37], v[36:37], v[134:135] neg_lo:[0,1] neg_hi:[0,1]
	s_wait_dscnt 0x0
	v_pk_mul_f32 v[134:135], v[130:131], v[122:123] op_sel:[0,1]
	s_delay_alu instid0(VALU_DEP_1) | instskip(SKIP_1) | instid1(VALU_DEP_1)
	v_pk_fma_f32 v[136:137], v[130:131], v[120:121], v[134:135] op_sel:[0,0,1] op_sel_hi:[1,1,0] neg_lo:[0,0,1] neg_hi:[0,0,1]
	v_pk_fma_f32 v[130:131], v[130:131], v[120:121], v[134:135] op_sel:[0,0,1] op_sel_hi:[1,0,0]
	v_mov_b32_e32 v137, v131
	v_pk_mul_f32 v[130:131], v[132:133], v[122:123] op_sel:[0,1]
	s_delay_alu instid0(VALU_DEP_2) | instskip(NEXT) | instid1(VALU_DEP_2)
	v_pk_add_f32 v[32:33], v[32:33], v[136:137] neg_lo:[0,1] neg_hi:[0,1]
	v_pk_fma_f32 v[134:135], v[132:133], v[120:121], v[130:131] op_sel:[0,0,1] op_sel_hi:[1,1,0] neg_lo:[0,0,1] neg_hi:[0,0,1]
	v_pk_fma_f32 v[130:131], v[132:133], v[120:121], v[130:131] op_sel:[0,0,1] op_sel_hi:[1,0,0]
	s_delay_alu instid0(VALU_DEP_1) | instskip(SKIP_4) | instid1(VALU_DEP_1)
	v_mov_b32_e32 v135, v131
	ds_load_2addr_b64 v[130:133], v124 offset0:43 offset1:44
	v_pk_add_f32 v[34:35], v[34:35], v[134:135] neg_lo:[0,1] neg_hi:[0,1]
	s_wait_dscnt 0x0
	v_pk_mul_f32 v[134:135], v[130:131], v[122:123] op_sel:[0,1]
	v_pk_fma_f32 v[136:137], v[130:131], v[120:121], v[134:135] op_sel:[0,0,1] op_sel_hi:[1,1,0] neg_lo:[0,0,1] neg_hi:[0,0,1]
	v_pk_fma_f32 v[130:131], v[130:131], v[120:121], v[134:135] op_sel:[0,0,1] op_sel_hi:[1,0,0]
	v_dual_mul_f32 v134, v133, v123 :: v_dual_mov_b32 v130, v133
	s_delay_alu instid0(VALU_DEP_2) | instskip(NEXT) | instid1(VALU_DEP_2)
	v_dual_mov_b32 v137, v131 :: v_dual_mov_b32 v131, v132
	v_pk_fma_f32 v[134:135], v[132:133], v[58:59], v[134:135] op_sel_hi:[1,1,0] neg_lo:[0,0,1] neg_hi:[0,0,1]
	v_mul_f32_e32 v132, v133, v120
	s_delay_alu instid0(VALU_DEP_3) | instskip(NEXT) | instid1(VALU_DEP_2)
	v_pk_add_f32 v[30:31], v[30:31], v[136:137] neg_lo:[0,1] neg_hi:[0,1]
	v_pk_fma_f32 v[130:131], v[130:131], v[58:59], v[132:133] op_sel_hi:[1,1,0]
	s_delay_alu instid0(VALU_DEP_1) | instskip(SKIP_4) | instid1(VALU_DEP_1)
	v_mov_b32_e32 v135, v131
	ds_load_2addr_b64 v[130:133], v124 offset0:45 offset1:46
	v_pk_add_f32 v[26:27], v[26:27], v[134:135] neg_lo:[0,1] neg_hi:[0,1]
	s_wait_dscnt 0x0
	v_pk_mul_f32 v[134:135], v[130:131], v[122:123] op_sel:[0,1]
	v_pk_fma_f32 v[136:137], v[130:131], v[120:121], v[134:135] op_sel:[0,0,1] op_sel_hi:[1,1,0] neg_lo:[0,0,1] neg_hi:[0,0,1]
	v_pk_fma_f32 v[130:131], v[130:131], v[120:121], v[134:135] op_sel:[0,0,1] op_sel_hi:[1,0,0]
	s_delay_alu instid0(VALU_DEP_1) | instskip(SKIP_1) | instid1(VALU_DEP_1)
	v_mov_b32_e32 v137, v131
	v_pk_mul_f32 v[130:131], v[132:133], v[122:123] op_sel:[0,1]
	v_pk_fma_f32 v[134:135], v[132:133], v[120:121], v[130:131] op_sel:[0,0,1] op_sel_hi:[1,1,0] neg_lo:[0,0,1] neg_hi:[0,0,1]
	v_pk_fma_f32 v[130:131], v[132:133], v[120:121], v[130:131] op_sel:[0,0,1] op_sel_hi:[1,0,0]
	s_delay_alu instid0(VALU_DEP_1)
	v_mov_b32_e32 v135, v131
	ds_load_2addr_b64 v[130:133], v124 offset0:47 offset1:48
	v_pk_add_f32 v[22:23], v[22:23], v[136:137] neg_lo:[0,1] neg_hi:[0,1]
	v_pk_add_f32 v[24:25], v[24:25], v[134:135] neg_lo:[0,1] neg_hi:[0,1]
	s_wait_dscnt 0x0
	v_pk_mul_f32 v[134:135], v[130:131], v[122:123] op_sel:[0,1]
	s_delay_alu instid0(VALU_DEP_1) | instskip(SKIP_1) | instid1(VALU_DEP_1)
	v_pk_fma_f32 v[136:137], v[130:131], v[120:121], v[134:135] op_sel:[0,0,1] op_sel_hi:[1,1,0] neg_lo:[0,0,1] neg_hi:[0,0,1]
	v_pk_fma_f32 v[130:131], v[130:131], v[120:121], v[134:135] op_sel:[0,0,1] op_sel_hi:[1,0,0]
	v_mov_b32_e32 v137, v131
	v_pk_mul_f32 v[130:131], v[132:133], v[122:123] op_sel:[0,1]
	s_delay_alu instid0(VALU_DEP_1) | instskip(SKIP_1) | instid1(VALU_DEP_1)
	v_pk_fma_f32 v[134:135], v[132:133], v[120:121], v[130:131] op_sel:[0,0,1] op_sel_hi:[1,1,0] neg_lo:[0,0,1] neg_hi:[0,0,1]
	v_pk_fma_f32 v[130:131], v[132:133], v[120:121], v[130:131] op_sel:[0,0,1] op_sel_hi:[1,0,0]
	v_mov_b32_e32 v135, v131
	ds_load_2addr_b64 v[130:133], v124 offset0:49 offset1:50
	v_pk_add_f32 v[20:21], v[20:21], v[136:137] neg_lo:[0,1] neg_hi:[0,1]
	v_pk_add_f32 v[14:15], v[14:15], v[134:135] neg_lo:[0,1] neg_hi:[0,1]
	s_wait_dscnt 0x0
	v_dual_mul_f32 v134, v131, v123 :: v_dual_mul_f32 v136, v131, v120
	s_delay_alu instid0(VALU_DEP_1) | instskip(NEXT) | instid1(VALU_DEP_2)
	v_pk_fma_f32 v[134:135], v[130:131], v[58:59], v[134:135] op_sel_hi:[1,1,0] neg_lo:[0,0,1] neg_hi:[0,0,1]
	v_pk_fma_f32 v[130:131], v[130:131], v[58:59], v[136:137] op_sel:[1,0,0] op_sel_hi:[0,1,0]
	s_delay_alu instid0(VALU_DEP_1) | instskip(SKIP_1) | instid1(VALU_DEP_2)
	v_mov_b32_e32 v135, v131
	v_pk_mul_f32 v[130:131], v[132:133], v[122:123] op_sel:[0,1]
	v_pk_add_f32 v[10:11], v[10:11], v[134:135] neg_lo:[0,1] neg_hi:[0,1]
	s_delay_alu instid0(VALU_DEP_2) | instskip(SKIP_1) | instid1(VALU_DEP_1)
	v_pk_fma_f32 v[134:135], v[132:133], v[120:121], v[130:131] op_sel:[0,0,1] op_sel_hi:[1,1,0] neg_lo:[0,0,1] neg_hi:[0,0,1]
	v_pk_fma_f32 v[130:131], v[132:133], v[120:121], v[130:131] op_sel:[0,0,1] op_sel_hi:[1,0,0]
	v_mov_b32_e32 v135, v131
	ds_load_2addr_b64 v[130:133], v124 offset0:51 offset1:52
	v_pk_add_f32 v[12:13], v[12:13], v[134:135] neg_lo:[0,1] neg_hi:[0,1]
	s_wait_dscnt 0x0
	v_pk_mul_f32 v[134:135], v[130:131], v[122:123] op_sel:[0,1]
	s_delay_alu instid0(VALU_DEP_1) | instskip(SKIP_1) | instid1(VALU_DEP_1)
	v_pk_fma_f32 v[136:137], v[130:131], v[120:121], v[134:135] op_sel:[0,0,1] op_sel_hi:[1,1,0] neg_lo:[0,0,1] neg_hi:[0,0,1]
	v_pk_fma_f32 v[130:131], v[130:131], v[120:121], v[134:135] op_sel:[0,0,1] op_sel_hi:[1,0,0]
	v_mov_b32_e32 v137, v131
	v_pk_mul_f32 v[130:131], v[132:133], v[122:123] op_sel:[0,1]
	s_delay_alu instid0(VALU_DEP_2) | instskip(NEXT) | instid1(VALU_DEP_2)
	v_pk_add_f32 v[8:9], v[8:9], v[136:137] neg_lo:[0,1] neg_hi:[0,1]
	v_pk_fma_f32 v[134:135], v[132:133], v[120:121], v[130:131] op_sel:[0,0,1] op_sel_hi:[1,1,0] neg_lo:[0,0,1] neg_hi:[0,0,1]
	v_pk_fma_f32 v[130:131], v[132:133], v[120:121], v[130:131] op_sel:[0,0,1] op_sel_hi:[1,0,0]
	s_delay_alu instid0(VALU_DEP_1) | instskip(SKIP_4) | instid1(VALU_DEP_1)
	v_mov_b32_e32 v135, v131
	ds_load_2addr_b64 v[130:133], v124 offset0:53 offset1:54
	v_pk_add_f32 v[6:7], v[6:7], v[134:135] neg_lo:[0,1] neg_hi:[0,1]
	s_wait_dscnt 0x0
	v_pk_mul_f32 v[134:135], v[130:131], v[122:123] op_sel:[0,1]
	v_pk_fma_f32 v[136:137], v[130:131], v[120:121], v[134:135] op_sel:[0,0,1] op_sel_hi:[1,1,0] neg_lo:[0,0,1] neg_hi:[0,0,1]
	v_pk_fma_f32 v[130:131], v[130:131], v[120:121], v[134:135] op_sel:[0,0,1] op_sel_hi:[1,0,0]
	v_dual_mul_f32 v134, v133, v123 :: v_dual_mov_b32 v130, v133
	s_delay_alu instid0(VALU_DEP_2) | instskip(NEXT) | instid1(VALU_DEP_2)
	v_dual_mov_b32 v137, v131 :: v_dual_mov_b32 v131, v132
	v_pk_fma_f32 v[134:135], v[132:133], v[58:59], v[134:135] op_sel_hi:[1,1,0] neg_lo:[0,0,1] neg_hi:[0,0,1]
	v_mul_f32_e32 v132, v133, v120
	s_delay_alu instid0(VALU_DEP_3) | instskip(NEXT) | instid1(VALU_DEP_2)
	v_pk_add_f32 v[28:29], v[28:29], v[136:137] neg_lo:[0,1] neg_hi:[0,1]
	v_pk_fma_f32 v[130:131], v[130:131], v[58:59], v[132:133] op_sel_hi:[1,1,0]
	s_delay_alu instid0(VALU_DEP_1)
	v_mov_b32_e32 v135, v131
	ds_load_2addr_b64 v[130:133], v124 offset0:55 offset1:56
	v_pk_add_f32 v[18:19], v[18:19], v[134:135] neg_lo:[0,1] neg_hi:[0,1]
	s_wait_dscnt 0x0
	v_pk_mul_f32 v[134:135], v[130:131], v[122:123] op_sel:[0,1]
	v_pk_mul_f32 v[122:123], v[132:133], v[122:123] op_sel:[0,1]
	s_delay_alu instid0(VALU_DEP_2) | instskip(SKIP_1) | instid1(VALU_DEP_1)
	v_pk_fma_f32 v[136:137], v[130:131], v[120:121], v[134:135] op_sel:[0,0,1] op_sel_hi:[1,1,0] neg_lo:[0,0,1] neg_hi:[0,0,1]
	v_pk_fma_f32 v[130:131], v[130:131], v[120:121], v[134:135] op_sel:[0,0,1] op_sel_hi:[1,0,0]
	v_mov_b32_e32 v137, v131
	s_delay_alu instid0(VALU_DEP_4) | instskip(SKIP_1) | instid1(VALU_DEP_1)
	v_pk_fma_f32 v[130:131], v[132:133], v[120:121], v[122:123] op_sel:[0,0,1] op_sel_hi:[1,1,0] neg_lo:[0,0,1] neg_hi:[0,0,1]
	v_pk_fma_f32 v[120:121], v[132:133], v[120:121], v[122:123] op_sel:[0,0,1] op_sel_hi:[1,0,0]
	v_mov_b32_e32 v131, v121
	s_delay_alu instid0(VALU_DEP_4) | instskip(NEXT) | instid1(VALU_DEP_2)
	v_pk_add_f32 v[16:17], v[16:17], v[136:137] neg_lo:[0,1] neg_hi:[0,1]
	v_pk_add_f32 v[118:119], v[118:119], v[130:131] neg_lo:[0,1] neg_hi:[0,1]
.LBB112_650:
	s_or_b32 exec_lo, exec_lo, s0
	v_lshl_add_u32 v120, v128, 3, v124
	s_barrier_signal -1
	s_barrier_wait -1
	ds_store_b64 v120, v[54:55]
	s_wait_dscnt 0x0
	s_barrier_signal -1
	s_barrier_wait -1
	ds_load_b64 v[122:123], v124 offset:248
	v_mov_b32_e32 v120, 31
	s_cmp_lt_i32 s18, 33
	s_cbranch_scc1 .LBB112_653
; %bb.651:
	v_add3_u32 v121, v125, 0, 0x100
	v_mov_b32_e32 v120, 31
	s_mov_b32 s0, 32
.LBB112_652:                            ; =>This Inner Loop Header: Depth=1
	ds_load_b64 v[130:131], v121
	s_wait_dscnt 0x1
	v_cmp_gt_f32_e32 vcc_lo, 0, v122
	v_cndmask_b32_e64 v132, v122, -v122, vcc_lo
	v_cmp_gt_f32_e32 vcc_lo, 0, v123
	v_cndmask_b32_e64 v134, v123, -v123, vcc_lo
	s_wait_dscnt 0x0
	v_cmp_gt_f32_e32 vcc_lo, 0, v130
	v_cndmask_b32_e64 v133, v130, -v130, vcc_lo
	v_cmp_gt_f32_e32 vcc_lo, 0, v131
	v_cndmask_b32_e64 v135, v131, -v131, vcc_lo
	s_delay_alu instid0(VALU_DEP_1) | instskip(NEXT) | instid1(VALU_DEP_1)
	v_pk_add_f32 v[132:133], v[132:133], v[134:135]
	v_cmp_lt_f32_e32 vcc_lo, v132, v133
	v_dual_add_nc_u32 v121, 8, v121 :: v_dual_cndmask_b32 v123, v123, v131, vcc_lo
	v_cndmask_b32_e32 v122, v122, v130, vcc_lo
	v_cndmask_b32_e64 v120, v120, s0, vcc_lo
	s_add_co_i32 s0, s0, 1
	s_delay_alu instid0(SALU_CYCLE_1)
	s_cmp_lg_u32 s18, s0
	s_cbranch_scc1 .LBB112_652
.LBB112_653:
	s_wait_dscnt 0x0
	v_cmp_eq_f32_e32 vcc_lo, 0, v122
	v_cmp_eq_f32_e64 s0, 0, v123
	s_and_b32 s0, vcc_lo, s0
	s_delay_alu instid0(SALU_CYCLE_1) | instskip(NEXT) | instid1(SALU_CYCLE_1)
	s_and_saveexec_b32 s1, s0
	s_xor_b32 s0, exec_lo, s1
; %bb.654:
	v_cmp_ne_u32_e32 vcc_lo, 0, v126
	v_cndmask_b32_e32 v126, 32, v126, vcc_lo
; %bb.655:
	s_and_not1_saveexec_b32 s0, s0
	s_cbranch_execz .LBB112_661
; %bb.656:
	v_cmp_ngt_f32_e64 s1, |v122|, |v123|
	s_and_saveexec_b32 s12, s1
	s_delay_alu instid0(SALU_CYCLE_1)
	s_xor_b32 s1, exec_lo, s12
	s_cbranch_execz .LBB112_658
; %bb.657:
	v_div_scale_f32 v121, null, v123, v123, v122
	v_div_scale_f32 v131, vcc_lo, v122, v123, v122
	s_delay_alu instid0(VALU_DEP_2) | instskip(SKIP_1) | instid1(TRANS32_DEP_1)
	v_rcp_f32_e32 v129, v121
	v_nop
	v_fma_f32 v130, -v121, v129, 1.0
	s_delay_alu instid0(VALU_DEP_1) | instskip(NEXT) | instid1(VALU_DEP_1)
	v_fmac_f32_e32 v129, v130, v129
	v_mul_f32_e32 v130, v131, v129
	s_delay_alu instid0(VALU_DEP_1) | instskip(NEXT) | instid1(VALU_DEP_1)
	v_fma_f32 v132, -v121, v130, v131
	v_fmac_f32_e32 v130, v132, v129
	s_delay_alu instid0(VALU_DEP_1) | instskip(NEXT) | instid1(VALU_DEP_1)
	v_fma_f32 v121, -v121, v130, v131
	v_div_fmas_f32 v121, v121, v129, v130
	s_delay_alu instid0(VALU_DEP_1) | instskip(NEXT) | instid1(VALU_DEP_1)
	v_div_fixup_f32 v121, v121, v123, v122
	v_fmac_f32_e32 v123, v122, v121
	s_delay_alu instid0(VALU_DEP_1) | instskip(SKIP_1) | instid1(VALU_DEP_2)
	v_div_scale_f32 v122, null, v123, v123, 1.0
	v_div_scale_f32 v131, vcc_lo, 1.0, v123, 1.0
	v_rcp_f32_e32 v129, v122
	v_nop
	s_delay_alu instid0(TRANS32_DEP_1) | instskip(NEXT) | instid1(VALU_DEP_1)
	v_fma_f32 v130, -v122, v129, 1.0
	v_fmac_f32_e32 v129, v130, v129
	s_delay_alu instid0(VALU_DEP_1) | instskip(NEXT) | instid1(VALU_DEP_1)
	v_mul_f32_e32 v130, v131, v129
	v_fma_f32 v132, -v122, v130, v131
	s_delay_alu instid0(VALU_DEP_1) | instskip(NEXT) | instid1(VALU_DEP_1)
	v_fmac_f32_e32 v130, v132, v129
	v_fma_f32 v122, -v122, v130, v131
	s_delay_alu instid0(VALU_DEP_1) | instskip(NEXT) | instid1(VALU_DEP_1)
	v_div_fmas_f32 v122, v122, v129, v130
	v_div_fixup_f32 v123, v122, v123, 1.0
	s_delay_alu instid0(VALU_DEP_1)
	v_mul_f32_e32 v122, v121, v123
	v_xor_b32_e32 v123, 0x80000000, v123
.LBB112_658:
	s_and_not1_saveexec_b32 s1, s1
	s_cbranch_execz .LBB112_660
; %bb.659:
	s_delay_alu instid0(VALU_DEP_1) | instskip(SKIP_1) | instid1(VALU_DEP_2)
	v_div_scale_f32 v121, null, v122, v122, v123
	v_div_scale_f32 v131, vcc_lo, v123, v122, v123
	v_rcp_f32_e32 v129, v121
	v_nop
	s_delay_alu instid0(TRANS32_DEP_1) | instskip(NEXT) | instid1(VALU_DEP_1)
	v_fma_f32 v130, -v121, v129, 1.0
	v_fmac_f32_e32 v129, v130, v129
	s_delay_alu instid0(VALU_DEP_1) | instskip(NEXT) | instid1(VALU_DEP_1)
	v_mul_f32_e32 v130, v131, v129
	v_fma_f32 v132, -v121, v130, v131
	s_delay_alu instid0(VALU_DEP_1) | instskip(NEXT) | instid1(VALU_DEP_1)
	v_fmac_f32_e32 v130, v132, v129
	v_fma_f32 v121, -v121, v130, v131
	s_delay_alu instid0(VALU_DEP_1) | instskip(NEXT) | instid1(VALU_DEP_1)
	v_div_fmas_f32 v121, v121, v129, v130
	v_div_fixup_f32 v121, v121, v122, v123
	s_delay_alu instid0(VALU_DEP_1) | instskip(NEXT) | instid1(VALU_DEP_1)
	v_fmac_f32_e32 v122, v123, v121
	v_div_scale_f32 v123, null, v122, v122, 1.0
	s_delay_alu instid0(VALU_DEP_1) | instskip(SKIP_1) | instid1(TRANS32_DEP_1)
	v_rcp_f32_e32 v129, v123
	v_nop
	v_fma_f32 v130, -v123, v129, 1.0
	s_delay_alu instid0(VALU_DEP_1) | instskip(SKIP_1) | instid1(VALU_DEP_1)
	v_fmac_f32_e32 v129, v130, v129
	v_div_scale_f32 v130, vcc_lo, 1.0, v122, 1.0
	v_mul_f32_e32 v131, v130, v129
	s_delay_alu instid0(VALU_DEP_1) | instskip(NEXT) | instid1(VALU_DEP_1)
	v_fma_f32 v132, -v123, v131, v130
	v_fmac_f32_e32 v131, v132, v129
	s_delay_alu instid0(VALU_DEP_1) | instskip(NEXT) | instid1(VALU_DEP_1)
	v_fma_f32 v123, -v123, v131, v130
	v_div_fmas_f32 v123, v123, v129, v131
	s_delay_alu instid0(VALU_DEP_1) | instskip(NEXT) | instid1(VALU_DEP_1)
	v_div_fixup_f32 v122, v123, v122, 1.0
	v_mul_f32_e64 v123, v121, -v122
.LBB112_660:
	s_or_b32 exec_lo, exec_lo, s1
.LBB112_661:
	s_delay_alu instid0(SALU_CYCLE_1) | instskip(NEXT) | instid1(SALU_CYCLE_1)
	s_or_b32 exec_lo, exec_lo, s0
	s_mov_b32 s0, exec_lo
	v_cmpx_ne_u32_e64 v128, v120
	s_xor_b32 s0, exec_lo, s0
	s_cbranch_execz .LBB112_667
; %bb.662:
	s_mov_b32 s1, exec_lo
	v_cmpx_eq_u32_e32 31, v128
	s_cbranch_execz .LBB112_666
; %bb.663:
	v_cmp_ne_u32_e32 vcc_lo, 31, v120
	s_xor_b32 s12, s16, -1
	s_delay_alu instid0(SALU_CYCLE_1) | instskip(NEXT) | instid1(SALU_CYCLE_1)
	s_and_b32 s13, s12, vcc_lo
	s_and_saveexec_b32 s12, s13
	s_cbranch_execz .LBB112_665
; %bb.664:
	v_ashrrev_i32_e32 v121, 31, v120
	s_delay_alu instid0(VALU_DEP_1)
	v_lshl_add_u64 v[128:129], v[120:121], 2, v[4:5]
	s_clause 0x1
	global_load_b32 v121, v[128:129], off
	global_load_b32 v127, v[4:5], off offset:124
	s_wait_loadcnt 0x1
	global_store_b32 v[4:5], v121, off offset:124
	s_wait_loadcnt 0x0
	global_store_b32 v[128:129], v127, off
.LBB112_665:
	s_wait_xcnt 0x0
	s_or_b32 exec_lo, exec_lo, s12
	v_dual_mov_b32 v128, v120 :: v_dual_mov_b32 v127, v120
.LBB112_666:
	s_or_b32 exec_lo, exec_lo, s1
.LBB112_667:
	s_and_not1_saveexec_b32 s0, s0
	s_cbranch_execz .LBB112_669
; %bb.668:
	v_dual_mov_b32 v120, v52 :: v_dual_mov_b32 v121, v53
	v_dual_mov_b32 v128, v48 :: v_dual_mov_b32 v129, v49
	ds_store_2addr_b64 v124, v[120:121], v[128:129] offset0:32 offset1:33
	v_dual_mov_b32 v120, v50 :: v_dual_mov_b32 v121, v51
	v_dual_mov_b32 v128, v46 :: v_dual_mov_b32 v129, v47
	ds_store_2addr_b64 v124, v[120:121], v[128:129] offset0:34 offset1:35
	;; [unrolled: 3-line block ×12, first 2 shown]
	ds_store_b64 v124, v[118:119] offset:448
	v_mov_b32_e32 v128, 31
.LBB112_669:
	s_or_b32 exec_lo, exec_lo, s0
	s_delay_alu instid0(SALU_CYCLE_1)
	s_mov_b32 s0, exec_lo
	s_wait_storecnt_dscnt 0x0
	s_barrier_signal -1
	s_barrier_wait -1
	v_cmpx_lt_i32_e32 31, v128
	s_cbranch_execz .LBB112_671
; %bb.670:
	v_pk_mul_f32 v[130:131], v[122:123], v[54:55] op_sel:[1,1] op_sel_hi:[0,1]
	s_delay_alu instid0(VALU_DEP_1)
	v_pk_fma_f32 v[120:121], v[122:123], v[54:55], v[130:131] op_sel_hi:[1,0,1] neg_lo:[0,0,1] neg_hi:[0,0,1]
	v_pk_fma_f32 v[122:123], v[122:123], v[54:55], v[130:131] op_sel_hi:[1,0,1]
	ds_load_2addr_b64 v[130:133], v124 offset0:32 offset1:33
	v_dual_mov_b32 v54, v120 :: v_dual_mov_b32 v55, v123
	s_wait_dscnt 0x0
	v_pk_mul_f32 v[134:135], v[130:131], v[122:123] op_sel:[0,1]
	s_delay_alu instid0(VALU_DEP_1) | instskip(SKIP_1) | instid1(VALU_DEP_1)
	v_pk_fma_f32 v[136:137], v[130:131], v[120:121], v[134:135] op_sel:[0,0,1] op_sel_hi:[1,1,0] neg_lo:[0,0,1] neg_hi:[0,0,1]
	v_pk_fma_f32 v[130:131], v[130:131], v[120:121], v[134:135] op_sel:[0,0,1] op_sel_hi:[1,0,0]
	v_mov_b32_e32 v137, v131
	v_pk_mul_f32 v[130:131], v[132:133], v[122:123] op_sel:[0,1]
	s_delay_alu instid0(VALU_DEP_1) | instskip(SKIP_1) | instid1(VALU_DEP_1)
	v_pk_fma_f32 v[134:135], v[132:133], v[120:121], v[130:131] op_sel:[0,0,1] op_sel_hi:[1,1,0] neg_lo:[0,0,1] neg_hi:[0,0,1]
	v_pk_fma_f32 v[130:131], v[132:133], v[120:121], v[130:131] op_sel:[0,0,1] op_sel_hi:[1,0,0]
	v_mov_b32_e32 v135, v131
	ds_load_2addr_b64 v[130:133], v124 offset0:34 offset1:35
	v_pk_add_f32 v[52:53], v[52:53], v[136:137] neg_lo:[0,1] neg_hi:[0,1]
	v_pk_add_f32 v[48:49], v[48:49], v[134:135] neg_lo:[0,1] neg_hi:[0,1]
	s_wait_dscnt 0x0
	v_pk_mul_f32 v[134:135], v[130:131], v[122:123] op_sel:[0,1]
	s_delay_alu instid0(VALU_DEP_1) | instskip(SKIP_2) | instid1(VALU_DEP_2)
	v_pk_fma_f32 v[136:137], v[130:131], v[120:121], v[134:135] op_sel:[0,0,1] op_sel_hi:[1,1,0] neg_lo:[0,0,1] neg_hi:[0,0,1]
	v_pk_fma_f32 v[130:131], v[130:131], v[120:121], v[134:135] op_sel:[0,0,1] op_sel_hi:[1,0,0]
	v_dual_mul_f32 v134, v133, v123 :: v_dual_mov_b32 v130, v133
	v_dual_mov_b32 v137, v131 :: v_dual_mov_b32 v131, v132
	s_delay_alu instid0(VALU_DEP_2) | instskip(SKIP_1) | instid1(VALU_DEP_3)
	v_pk_fma_f32 v[134:135], v[132:133], v[54:55], v[134:135] op_sel_hi:[1,1,0] neg_lo:[0,0,1] neg_hi:[0,0,1]
	v_mul_f32_e32 v132, v133, v120
	v_pk_add_f32 v[50:51], v[50:51], v[136:137] neg_lo:[0,1] neg_hi:[0,1]
	s_delay_alu instid0(VALU_DEP_2) | instskip(NEXT) | instid1(VALU_DEP_1)
	v_pk_fma_f32 v[130:131], v[130:131], v[54:55], v[132:133] op_sel_hi:[1,1,0]
	v_mov_b32_e32 v135, v131
	ds_load_2addr_b64 v[130:133], v124 offset0:36 offset1:37
	v_pk_add_f32 v[46:47], v[46:47], v[134:135] neg_lo:[0,1] neg_hi:[0,1]
	s_wait_dscnt 0x0
	v_pk_mul_f32 v[134:135], v[130:131], v[122:123] op_sel:[0,1]
	s_delay_alu instid0(VALU_DEP_1) | instskip(SKIP_1) | instid1(VALU_DEP_1)
	v_pk_fma_f32 v[136:137], v[130:131], v[120:121], v[134:135] op_sel:[0,0,1] op_sel_hi:[1,1,0] neg_lo:[0,0,1] neg_hi:[0,0,1]
	v_pk_fma_f32 v[130:131], v[130:131], v[120:121], v[134:135] op_sel:[0,0,1] op_sel_hi:[1,0,0]
	v_mov_b32_e32 v137, v131
	v_pk_mul_f32 v[130:131], v[132:133], v[122:123] op_sel:[0,1]
	s_delay_alu instid0(VALU_DEP_1) | instskip(SKIP_1) | instid1(VALU_DEP_1)
	v_pk_fma_f32 v[134:135], v[132:133], v[120:121], v[130:131] op_sel:[0,0,1] op_sel_hi:[1,1,0] neg_lo:[0,0,1] neg_hi:[0,0,1]
	v_pk_fma_f32 v[130:131], v[132:133], v[120:121], v[130:131] op_sel:[0,0,1] op_sel_hi:[1,0,0]
	v_mov_b32_e32 v135, v131
	ds_load_2addr_b64 v[130:133], v124 offset0:38 offset1:39
	v_pk_add_f32 v[44:45], v[44:45], v[136:137] neg_lo:[0,1] neg_hi:[0,1]
	v_pk_add_f32 v[40:41], v[40:41], v[134:135] neg_lo:[0,1] neg_hi:[0,1]
	s_wait_dscnt 0x0
	v_pk_mul_f32 v[134:135], v[130:131], v[122:123] op_sel:[0,1]
	s_delay_alu instid0(VALU_DEP_1) | instskip(SKIP_1) | instid1(VALU_DEP_1)
	v_pk_fma_f32 v[136:137], v[130:131], v[120:121], v[134:135] op_sel:[0,0,1] op_sel_hi:[1,1,0] neg_lo:[0,0,1] neg_hi:[0,0,1]
	v_pk_fma_f32 v[130:131], v[130:131], v[120:121], v[134:135] op_sel:[0,0,1] op_sel_hi:[1,0,0]
	v_mov_b32_e32 v137, v131
	v_pk_mul_f32 v[130:131], v[132:133], v[122:123] op_sel:[0,1]
	s_delay_alu instid0(VALU_DEP_1) | instskip(SKIP_1) | instid1(VALU_DEP_1)
	v_pk_fma_f32 v[134:135], v[132:133], v[120:121], v[130:131] op_sel:[0,0,1] op_sel_hi:[1,1,0] neg_lo:[0,0,1] neg_hi:[0,0,1]
	v_pk_fma_f32 v[130:131], v[132:133], v[120:121], v[130:131] op_sel:[0,0,1] op_sel_hi:[1,0,0]
	v_mov_b32_e32 v135, v131
	ds_load_2addr_b64 v[130:133], v124 offset0:40 offset1:41
	v_pk_add_f32 v[42:43], v[42:43], v[136:137] neg_lo:[0,1] neg_hi:[0,1]
	v_pk_add_f32 v[38:39], v[38:39], v[134:135] neg_lo:[0,1] neg_hi:[0,1]
	s_wait_dscnt 0x0
	v_dual_mul_f32 v134, v131, v123 :: v_dual_mul_f32 v136, v131, v120
	s_delay_alu instid0(VALU_DEP_1) | instskip(NEXT) | instid1(VALU_DEP_2)
	v_pk_fma_f32 v[134:135], v[130:131], v[54:55], v[134:135] op_sel_hi:[1,1,0] neg_lo:[0,0,1] neg_hi:[0,0,1]
	v_pk_fma_f32 v[130:131], v[130:131], v[54:55], v[136:137] op_sel:[1,0,0] op_sel_hi:[0,1,0]
	s_delay_alu instid0(VALU_DEP_1) | instskip(SKIP_1) | instid1(VALU_DEP_2)
	v_mov_b32_e32 v135, v131
	v_pk_mul_f32 v[130:131], v[132:133], v[122:123] op_sel:[0,1]
	v_pk_add_f32 v[36:37], v[36:37], v[134:135] neg_lo:[0,1] neg_hi:[0,1]
	s_delay_alu instid0(VALU_DEP_2) | instskip(SKIP_1) | instid1(VALU_DEP_1)
	v_pk_fma_f32 v[134:135], v[132:133], v[120:121], v[130:131] op_sel:[0,0,1] op_sel_hi:[1,1,0] neg_lo:[0,0,1] neg_hi:[0,0,1]
	v_pk_fma_f32 v[130:131], v[132:133], v[120:121], v[130:131] op_sel:[0,0,1] op_sel_hi:[1,0,0]
	v_mov_b32_e32 v135, v131
	ds_load_2addr_b64 v[130:133], v124 offset0:42 offset1:43
	v_pk_add_f32 v[32:33], v[32:33], v[134:135] neg_lo:[0,1] neg_hi:[0,1]
	s_wait_dscnt 0x0
	v_pk_mul_f32 v[134:135], v[130:131], v[122:123] op_sel:[0,1]
	s_delay_alu instid0(VALU_DEP_1) | instskip(SKIP_1) | instid1(VALU_DEP_1)
	v_pk_fma_f32 v[136:137], v[130:131], v[120:121], v[134:135] op_sel:[0,0,1] op_sel_hi:[1,1,0] neg_lo:[0,0,1] neg_hi:[0,0,1]
	v_pk_fma_f32 v[130:131], v[130:131], v[120:121], v[134:135] op_sel:[0,0,1] op_sel_hi:[1,0,0]
	v_mov_b32_e32 v137, v131
	v_pk_mul_f32 v[130:131], v[132:133], v[122:123] op_sel:[0,1]
	s_delay_alu instid0(VALU_DEP_2) | instskip(NEXT) | instid1(VALU_DEP_2)
	v_pk_add_f32 v[34:35], v[34:35], v[136:137] neg_lo:[0,1] neg_hi:[0,1]
	v_pk_fma_f32 v[134:135], v[132:133], v[120:121], v[130:131] op_sel:[0,0,1] op_sel_hi:[1,1,0] neg_lo:[0,0,1] neg_hi:[0,0,1]
	v_pk_fma_f32 v[130:131], v[132:133], v[120:121], v[130:131] op_sel:[0,0,1] op_sel_hi:[1,0,0]
	s_delay_alu instid0(VALU_DEP_1) | instskip(SKIP_4) | instid1(VALU_DEP_1)
	v_mov_b32_e32 v135, v131
	ds_load_2addr_b64 v[130:133], v124 offset0:44 offset1:45
	v_pk_add_f32 v[30:31], v[30:31], v[134:135] neg_lo:[0,1] neg_hi:[0,1]
	s_wait_dscnt 0x0
	v_pk_mul_f32 v[134:135], v[130:131], v[122:123] op_sel:[0,1]
	v_pk_fma_f32 v[136:137], v[130:131], v[120:121], v[134:135] op_sel:[0,0,1] op_sel_hi:[1,1,0] neg_lo:[0,0,1] neg_hi:[0,0,1]
	v_pk_fma_f32 v[130:131], v[130:131], v[120:121], v[134:135] op_sel:[0,0,1] op_sel_hi:[1,0,0]
	v_dual_mul_f32 v134, v133, v123 :: v_dual_mov_b32 v130, v133
	s_delay_alu instid0(VALU_DEP_2) | instskip(NEXT) | instid1(VALU_DEP_2)
	v_dual_mov_b32 v137, v131 :: v_dual_mov_b32 v131, v132
	v_pk_fma_f32 v[134:135], v[132:133], v[54:55], v[134:135] op_sel_hi:[1,1,0] neg_lo:[0,0,1] neg_hi:[0,0,1]
	v_mul_f32_e32 v132, v133, v120
	s_delay_alu instid0(VALU_DEP_3) | instskip(NEXT) | instid1(VALU_DEP_2)
	v_pk_add_f32 v[26:27], v[26:27], v[136:137] neg_lo:[0,1] neg_hi:[0,1]
	v_pk_fma_f32 v[130:131], v[130:131], v[54:55], v[132:133] op_sel_hi:[1,1,0]
	s_delay_alu instid0(VALU_DEP_1) | instskip(SKIP_4) | instid1(VALU_DEP_1)
	v_mov_b32_e32 v135, v131
	ds_load_2addr_b64 v[130:133], v124 offset0:46 offset1:47
	v_pk_add_f32 v[22:23], v[22:23], v[134:135] neg_lo:[0,1] neg_hi:[0,1]
	s_wait_dscnt 0x0
	v_pk_mul_f32 v[134:135], v[130:131], v[122:123] op_sel:[0,1]
	v_pk_fma_f32 v[136:137], v[130:131], v[120:121], v[134:135] op_sel:[0,0,1] op_sel_hi:[1,1,0] neg_lo:[0,0,1] neg_hi:[0,0,1]
	v_pk_fma_f32 v[130:131], v[130:131], v[120:121], v[134:135] op_sel:[0,0,1] op_sel_hi:[1,0,0]
	s_delay_alu instid0(VALU_DEP_1) | instskip(SKIP_1) | instid1(VALU_DEP_1)
	v_mov_b32_e32 v137, v131
	v_pk_mul_f32 v[130:131], v[132:133], v[122:123] op_sel:[0,1]
	v_pk_fma_f32 v[134:135], v[132:133], v[120:121], v[130:131] op_sel:[0,0,1] op_sel_hi:[1,1,0] neg_lo:[0,0,1] neg_hi:[0,0,1]
	v_pk_fma_f32 v[130:131], v[132:133], v[120:121], v[130:131] op_sel:[0,0,1] op_sel_hi:[1,0,0]
	s_delay_alu instid0(VALU_DEP_1)
	v_mov_b32_e32 v135, v131
	ds_load_2addr_b64 v[130:133], v124 offset0:48 offset1:49
	v_pk_add_f32 v[24:25], v[24:25], v[136:137] neg_lo:[0,1] neg_hi:[0,1]
	v_pk_add_f32 v[20:21], v[20:21], v[134:135] neg_lo:[0,1] neg_hi:[0,1]
	s_wait_dscnt 0x0
	v_pk_mul_f32 v[134:135], v[130:131], v[122:123] op_sel:[0,1]
	s_delay_alu instid0(VALU_DEP_1) | instskip(SKIP_1) | instid1(VALU_DEP_1)
	v_pk_fma_f32 v[136:137], v[130:131], v[120:121], v[134:135] op_sel:[0,0,1] op_sel_hi:[1,1,0] neg_lo:[0,0,1] neg_hi:[0,0,1]
	v_pk_fma_f32 v[130:131], v[130:131], v[120:121], v[134:135] op_sel:[0,0,1] op_sel_hi:[1,0,0]
	v_mov_b32_e32 v137, v131
	v_pk_mul_f32 v[130:131], v[132:133], v[122:123] op_sel:[0,1]
	s_delay_alu instid0(VALU_DEP_1) | instskip(SKIP_1) | instid1(VALU_DEP_1)
	v_pk_fma_f32 v[134:135], v[132:133], v[120:121], v[130:131] op_sel:[0,0,1] op_sel_hi:[1,1,0] neg_lo:[0,0,1] neg_hi:[0,0,1]
	v_pk_fma_f32 v[130:131], v[132:133], v[120:121], v[130:131] op_sel:[0,0,1] op_sel_hi:[1,0,0]
	v_mov_b32_e32 v135, v131
	ds_load_2addr_b64 v[130:133], v124 offset0:50 offset1:51
	v_pk_add_f32 v[14:15], v[14:15], v[136:137] neg_lo:[0,1] neg_hi:[0,1]
	v_pk_add_f32 v[10:11], v[10:11], v[134:135] neg_lo:[0,1] neg_hi:[0,1]
	s_wait_dscnt 0x0
	v_dual_mul_f32 v134, v131, v123 :: v_dual_mul_f32 v136, v131, v120
	s_delay_alu instid0(VALU_DEP_1) | instskip(NEXT) | instid1(VALU_DEP_2)
	v_pk_fma_f32 v[134:135], v[130:131], v[54:55], v[134:135] op_sel_hi:[1,1,0] neg_lo:[0,0,1] neg_hi:[0,0,1]
	v_pk_fma_f32 v[130:131], v[130:131], v[54:55], v[136:137] op_sel:[1,0,0] op_sel_hi:[0,1,0]
	s_delay_alu instid0(VALU_DEP_1) | instskip(SKIP_1) | instid1(VALU_DEP_2)
	v_mov_b32_e32 v135, v131
	v_pk_mul_f32 v[130:131], v[132:133], v[122:123] op_sel:[0,1]
	v_pk_add_f32 v[12:13], v[12:13], v[134:135] neg_lo:[0,1] neg_hi:[0,1]
	s_delay_alu instid0(VALU_DEP_2) | instskip(SKIP_1) | instid1(VALU_DEP_1)
	v_pk_fma_f32 v[134:135], v[132:133], v[120:121], v[130:131] op_sel:[0,0,1] op_sel_hi:[1,1,0] neg_lo:[0,0,1] neg_hi:[0,0,1]
	v_pk_fma_f32 v[130:131], v[132:133], v[120:121], v[130:131] op_sel:[0,0,1] op_sel_hi:[1,0,0]
	v_mov_b32_e32 v135, v131
	ds_load_2addr_b64 v[130:133], v124 offset0:52 offset1:53
	v_pk_add_f32 v[8:9], v[8:9], v[134:135] neg_lo:[0,1] neg_hi:[0,1]
	s_wait_dscnt 0x0
	v_pk_mul_f32 v[134:135], v[130:131], v[122:123] op_sel:[0,1]
	s_delay_alu instid0(VALU_DEP_1) | instskip(SKIP_1) | instid1(VALU_DEP_1)
	v_pk_fma_f32 v[136:137], v[130:131], v[120:121], v[134:135] op_sel:[0,0,1] op_sel_hi:[1,1,0] neg_lo:[0,0,1] neg_hi:[0,0,1]
	v_pk_fma_f32 v[130:131], v[130:131], v[120:121], v[134:135] op_sel:[0,0,1] op_sel_hi:[1,0,0]
	v_mov_b32_e32 v137, v131
	v_pk_mul_f32 v[130:131], v[132:133], v[122:123] op_sel:[0,1]
	s_delay_alu instid0(VALU_DEP_2) | instskip(NEXT) | instid1(VALU_DEP_2)
	v_pk_add_f32 v[6:7], v[6:7], v[136:137] neg_lo:[0,1] neg_hi:[0,1]
	v_pk_fma_f32 v[134:135], v[132:133], v[120:121], v[130:131] op_sel:[0,0,1] op_sel_hi:[1,1,0] neg_lo:[0,0,1] neg_hi:[0,0,1]
	v_pk_fma_f32 v[130:131], v[132:133], v[120:121], v[130:131] op_sel:[0,0,1] op_sel_hi:[1,0,0]
	s_delay_alu instid0(VALU_DEP_1) | instskip(SKIP_4) | instid1(VALU_DEP_1)
	v_mov_b32_e32 v135, v131
	ds_load_2addr_b64 v[130:133], v124 offset0:54 offset1:55
	v_pk_add_f32 v[28:29], v[28:29], v[134:135] neg_lo:[0,1] neg_hi:[0,1]
	s_wait_dscnt 0x0
	v_pk_mul_f32 v[134:135], v[130:131], v[122:123] op_sel:[0,1]
	v_pk_fma_f32 v[136:137], v[130:131], v[120:121], v[134:135] op_sel:[0,0,1] op_sel_hi:[1,1,0] neg_lo:[0,0,1] neg_hi:[0,0,1]
	v_pk_fma_f32 v[130:131], v[130:131], v[120:121], v[134:135] op_sel:[0,0,1] op_sel_hi:[1,0,0]
	v_dual_mul_f32 v134, v133, v123 :: v_dual_mov_b32 v130, v133
	s_delay_alu instid0(VALU_DEP_2) | instskip(NEXT) | instid1(VALU_DEP_2)
	v_dual_mov_b32 v137, v131 :: v_dual_mov_b32 v131, v132
	v_pk_fma_f32 v[134:135], v[132:133], v[54:55], v[134:135] op_sel_hi:[1,1,0] neg_lo:[0,0,1] neg_hi:[0,0,1]
	v_mul_f32_e32 v132, v133, v120
	s_delay_alu instid0(VALU_DEP_3) | instskip(NEXT) | instid1(VALU_DEP_2)
	v_pk_add_f32 v[18:19], v[18:19], v[136:137] neg_lo:[0,1] neg_hi:[0,1]
	v_pk_fma_f32 v[130:131], v[130:131], v[54:55], v[132:133] op_sel_hi:[1,1,0]
	s_delay_alu instid0(VALU_DEP_1) | instskip(SKIP_4) | instid1(VALU_DEP_1)
	v_mov_b32_e32 v135, v131
	ds_load_b64 v[130:131], v124 offset:448
	v_pk_add_f32 v[16:17], v[16:17], v[134:135] neg_lo:[0,1] neg_hi:[0,1]
	s_wait_dscnt 0x0
	v_pk_mul_f32 v[122:123], v[130:131], v[122:123] op_sel:[0,1]
	v_pk_fma_f32 v[132:133], v[130:131], v[120:121], v[122:123] op_sel:[0,0,1] op_sel_hi:[1,1,0] neg_lo:[0,0,1] neg_hi:[0,0,1]
	v_pk_fma_f32 v[120:121], v[130:131], v[120:121], v[122:123] op_sel:[0,0,1] op_sel_hi:[1,0,0]
	s_delay_alu instid0(VALU_DEP_1) | instskip(NEXT) | instid1(VALU_DEP_1)
	v_mov_b32_e32 v133, v121
	v_pk_add_f32 v[118:119], v[118:119], v[132:133] neg_lo:[0,1] neg_hi:[0,1]
.LBB112_671:
	s_or_b32 exec_lo, exec_lo, s0
	v_lshl_add_u32 v120, v128, 3, v124
	s_barrier_signal -1
	s_barrier_wait -1
	ds_store_b64 v120, v[52:53]
	s_wait_dscnt 0x0
	s_barrier_signal -1
	s_barrier_wait -1
	ds_load_b64 v[122:123], v124 offset:256
	v_mov_b32_e32 v120, 32
	s_cmp_lt_i32 s18, 34
	s_cbranch_scc1 .LBB112_674
; %bb.672:
	v_add3_u32 v121, v125, 0, 0x108
	v_mov_b32_e32 v120, 32
	s_mov_b32 s0, 33
.LBB112_673:                            ; =>This Inner Loop Header: Depth=1
	ds_load_b64 v[130:131], v121
	s_wait_dscnt 0x1
	v_cmp_gt_f32_e32 vcc_lo, 0, v122
	v_cndmask_b32_e64 v132, v122, -v122, vcc_lo
	v_cmp_gt_f32_e32 vcc_lo, 0, v123
	v_cndmask_b32_e64 v134, v123, -v123, vcc_lo
	s_wait_dscnt 0x0
	v_cmp_gt_f32_e32 vcc_lo, 0, v130
	v_cndmask_b32_e64 v133, v130, -v130, vcc_lo
	v_cmp_gt_f32_e32 vcc_lo, 0, v131
	v_cndmask_b32_e64 v135, v131, -v131, vcc_lo
	s_delay_alu instid0(VALU_DEP_1) | instskip(NEXT) | instid1(VALU_DEP_1)
	v_pk_add_f32 v[132:133], v[132:133], v[134:135]
	v_cmp_lt_f32_e32 vcc_lo, v132, v133
	v_dual_add_nc_u32 v121, 8, v121 :: v_dual_cndmask_b32 v123, v123, v131, vcc_lo
	v_cndmask_b32_e32 v122, v122, v130, vcc_lo
	v_cndmask_b32_e64 v120, v120, s0, vcc_lo
	s_add_co_i32 s0, s0, 1
	s_delay_alu instid0(SALU_CYCLE_1)
	s_cmp_lg_u32 s18, s0
	s_cbranch_scc1 .LBB112_673
.LBB112_674:
	s_wait_dscnt 0x0
	v_cmp_eq_f32_e32 vcc_lo, 0, v122
	v_cmp_eq_f32_e64 s0, 0, v123
	s_and_b32 s0, vcc_lo, s0
	s_delay_alu instid0(SALU_CYCLE_1) | instskip(NEXT) | instid1(SALU_CYCLE_1)
	s_and_saveexec_b32 s1, s0
	s_xor_b32 s0, exec_lo, s1
; %bb.675:
	v_cmp_ne_u32_e32 vcc_lo, 0, v126
	v_cndmask_b32_e32 v126, 33, v126, vcc_lo
; %bb.676:
	s_and_not1_saveexec_b32 s0, s0
	s_cbranch_execz .LBB112_682
; %bb.677:
	v_cmp_ngt_f32_e64 s1, |v122|, |v123|
	s_and_saveexec_b32 s12, s1
	s_delay_alu instid0(SALU_CYCLE_1)
	s_xor_b32 s1, exec_lo, s12
	s_cbranch_execz .LBB112_679
; %bb.678:
	v_div_scale_f32 v121, null, v123, v123, v122
	v_div_scale_f32 v131, vcc_lo, v122, v123, v122
	s_delay_alu instid0(VALU_DEP_2) | instskip(SKIP_1) | instid1(TRANS32_DEP_1)
	v_rcp_f32_e32 v129, v121
	v_nop
	v_fma_f32 v130, -v121, v129, 1.0
	s_delay_alu instid0(VALU_DEP_1) | instskip(NEXT) | instid1(VALU_DEP_1)
	v_fmac_f32_e32 v129, v130, v129
	v_mul_f32_e32 v130, v131, v129
	s_delay_alu instid0(VALU_DEP_1) | instskip(NEXT) | instid1(VALU_DEP_1)
	v_fma_f32 v132, -v121, v130, v131
	v_fmac_f32_e32 v130, v132, v129
	s_delay_alu instid0(VALU_DEP_1) | instskip(NEXT) | instid1(VALU_DEP_1)
	v_fma_f32 v121, -v121, v130, v131
	v_div_fmas_f32 v121, v121, v129, v130
	s_delay_alu instid0(VALU_DEP_1) | instskip(NEXT) | instid1(VALU_DEP_1)
	v_div_fixup_f32 v121, v121, v123, v122
	v_fmac_f32_e32 v123, v122, v121
	s_delay_alu instid0(VALU_DEP_1) | instskip(SKIP_1) | instid1(VALU_DEP_2)
	v_div_scale_f32 v122, null, v123, v123, 1.0
	v_div_scale_f32 v131, vcc_lo, 1.0, v123, 1.0
	v_rcp_f32_e32 v129, v122
	v_nop
	s_delay_alu instid0(TRANS32_DEP_1) | instskip(NEXT) | instid1(VALU_DEP_1)
	v_fma_f32 v130, -v122, v129, 1.0
	v_fmac_f32_e32 v129, v130, v129
	s_delay_alu instid0(VALU_DEP_1) | instskip(NEXT) | instid1(VALU_DEP_1)
	v_mul_f32_e32 v130, v131, v129
	v_fma_f32 v132, -v122, v130, v131
	s_delay_alu instid0(VALU_DEP_1) | instskip(NEXT) | instid1(VALU_DEP_1)
	v_fmac_f32_e32 v130, v132, v129
	v_fma_f32 v122, -v122, v130, v131
	s_delay_alu instid0(VALU_DEP_1) | instskip(NEXT) | instid1(VALU_DEP_1)
	v_div_fmas_f32 v122, v122, v129, v130
	v_div_fixup_f32 v123, v122, v123, 1.0
	s_delay_alu instid0(VALU_DEP_1)
	v_mul_f32_e32 v122, v121, v123
	v_xor_b32_e32 v123, 0x80000000, v123
.LBB112_679:
	s_and_not1_saveexec_b32 s1, s1
	s_cbranch_execz .LBB112_681
; %bb.680:
	s_delay_alu instid0(VALU_DEP_1) | instskip(SKIP_1) | instid1(VALU_DEP_2)
	v_div_scale_f32 v121, null, v122, v122, v123
	v_div_scale_f32 v131, vcc_lo, v123, v122, v123
	v_rcp_f32_e32 v129, v121
	v_nop
	s_delay_alu instid0(TRANS32_DEP_1) | instskip(NEXT) | instid1(VALU_DEP_1)
	v_fma_f32 v130, -v121, v129, 1.0
	v_fmac_f32_e32 v129, v130, v129
	s_delay_alu instid0(VALU_DEP_1) | instskip(NEXT) | instid1(VALU_DEP_1)
	v_mul_f32_e32 v130, v131, v129
	v_fma_f32 v132, -v121, v130, v131
	s_delay_alu instid0(VALU_DEP_1) | instskip(NEXT) | instid1(VALU_DEP_1)
	v_fmac_f32_e32 v130, v132, v129
	v_fma_f32 v121, -v121, v130, v131
	s_delay_alu instid0(VALU_DEP_1) | instskip(NEXT) | instid1(VALU_DEP_1)
	v_div_fmas_f32 v121, v121, v129, v130
	v_div_fixup_f32 v121, v121, v122, v123
	s_delay_alu instid0(VALU_DEP_1) | instskip(NEXT) | instid1(VALU_DEP_1)
	v_fmac_f32_e32 v122, v123, v121
	v_div_scale_f32 v123, null, v122, v122, 1.0
	s_delay_alu instid0(VALU_DEP_1) | instskip(SKIP_1) | instid1(TRANS32_DEP_1)
	v_rcp_f32_e32 v129, v123
	v_nop
	v_fma_f32 v130, -v123, v129, 1.0
	s_delay_alu instid0(VALU_DEP_1) | instskip(SKIP_1) | instid1(VALU_DEP_1)
	v_fmac_f32_e32 v129, v130, v129
	v_div_scale_f32 v130, vcc_lo, 1.0, v122, 1.0
	v_mul_f32_e32 v131, v130, v129
	s_delay_alu instid0(VALU_DEP_1) | instskip(NEXT) | instid1(VALU_DEP_1)
	v_fma_f32 v132, -v123, v131, v130
	v_fmac_f32_e32 v131, v132, v129
	s_delay_alu instid0(VALU_DEP_1) | instskip(NEXT) | instid1(VALU_DEP_1)
	v_fma_f32 v123, -v123, v131, v130
	v_div_fmas_f32 v123, v123, v129, v131
	s_delay_alu instid0(VALU_DEP_1) | instskip(NEXT) | instid1(VALU_DEP_1)
	v_div_fixup_f32 v122, v123, v122, 1.0
	v_mul_f32_e64 v123, v121, -v122
.LBB112_681:
	s_or_b32 exec_lo, exec_lo, s1
.LBB112_682:
	s_delay_alu instid0(SALU_CYCLE_1) | instskip(NEXT) | instid1(SALU_CYCLE_1)
	s_or_b32 exec_lo, exec_lo, s0
	s_mov_b32 s0, exec_lo
	v_cmpx_ne_u32_e64 v128, v120
	s_xor_b32 s0, exec_lo, s0
	s_cbranch_execz .LBB112_688
; %bb.683:
	s_mov_b32 s1, exec_lo
	v_cmpx_eq_u32_e32 32, v128
	s_cbranch_execz .LBB112_687
; %bb.684:
	v_cmp_ne_u32_e32 vcc_lo, 32, v120
	s_xor_b32 s12, s16, -1
	s_delay_alu instid0(SALU_CYCLE_1) | instskip(NEXT) | instid1(SALU_CYCLE_1)
	s_and_b32 s13, s12, vcc_lo
	s_and_saveexec_b32 s12, s13
	s_cbranch_execz .LBB112_686
; %bb.685:
	v_ashrrev_i32_e32 v121, 31, v120
	s_delay_alu instid0(VALU_DEP_1)
	v_lshl_add_u64 v[128:129], v[120:121], 2, v[4:5]
	s_clause 0x1
	global_load_b32 v121, v[128:129], off
	global_load_b32 v127, v[4:5], off offset:128
	s_wait_loadcnt 0x1
	global_store_b32 v[4:5], v121, off offset:128
	s_wait_loadcnt 0x0
	global_store_b32 v[128:129], v127, off
.LBB112_686:
	s_wait_xcnt 0x0
	s_or_b32 exec_lo, exec_lo, s12
	v_dual_mov_b32 v128, v120 :: v_dual_mov_b32 v127, v120
.LBB112_687:
	s_or_b32 exec_lo, exec_lo, s1
.LBB112_688:
	s_and_not1_saveexec_b32 s0, s0
	s_cbranch_execz .LBB112_690
; %bb.689:
	v_mov_b32_e32 v128, 32
	ds_store_2addr_b64 v124, v[48:49], v[50:51] offset0:33 offset1:34
	ds_store_2addr_b64 v124, v[46:47], v[44:45] offset0:35 offset1:36
	ds_store_2addr_b64 v124, v[40:41], v[42:43] offset0:37 offset1:38
	ds_store_2addr_b64 v124, v[38:39], v[36:37] offset0:39 offset1:40
	ds_store_2addr_b64 v124, v[32:33], v[34:35] offset0:41 offset1:42
	ds_store_2addr_b64 v124, v[30:31], v[26:27] offset0:43 offset1:44
	ds_store_2addr_b64 v124, v[22:23], v[24:25] offset0:45 offset1:46
	ds_store_2addr_b64 v124, v[20:21], v[14:15] offset0:47 offset1:48
	ds_store_2addr_b64 v124, v[10:11], v[12:13] offset0:49 offset1:50
	ds_store_2addr_b64 v124, v[8:9], v[6:7] offset0:51 offset1:52
	ds_store_2addr_b64 v124, v[28:29], v[18:19] offset0:53 offset1:54
	ds_store_2addr_b64 v124, v[16:17], v[118:119] offset0:55 offset1:56
.LBB112_690:
	s_or_b32 exec_lo, exec_lo, s0
	s_delay_alu instid0(SALU_CYCLE_1)
	s_mov_b32 s0, exec_lo
	s_wait_storecnt_dscnt 0x0
	s_barrier_signal -1
	s_barrier_wait -1
	v_cmpx_lt_i32_e32 32, v128
	s_cbranch_execz .LBB112_692
; %bb.691:
	v_pk_mul_f32 v[130:131], v[122:123], v[52:53] op_sel:[1,1] op_sel_hi:[0,1]
	s_delay_alu instid0(VALU_DEP_1)
	v_pk_fma_f32 v[120:121], v[122:123], v[52:53], v[130:131] op_sel_hi:[1,0,1] neg_lo:[0,0,1] neg_hi:[0,0,1]
	v_pk_fma_f32 v[122:123], v[122:123], v[52:53], v[130:131] op_sel_hi:[1,0,1]
	ds_load_2addr_b64 v[130:133], v124 offset0:33 offset1:34
	v_dual_mov_b32 v52, v120 :: v_dual_mov_b32 v53, v123
	s_wait_dscnt 0x0
	v_pk_mul_f32 v[134:135], v[130:131], v[122:123] op_sel:[0,1]
	s_delay_alu instid0(VALU_DEP_1) | instskip(SKIP_1) | instid1(VALU_DEP_1)
	v_pk_fma_f32 v[136:137], v[130:131], v[120:121], v[134:135] op_sel:[0,0,1] op_sel_hi:[1,1,0] neg_lo:[0,0,1] neg_hi:[0,0,1]
	v_pk_fma_f32 v[130:131], v[130:131], v[120:121], v[134:135] op_sel:[0,0,1] op_sel_hi:[1,0,0]
	v_mov_b32_e32 v137, v131
	v_pk_mul_f32 v[130:131], v[132:133], v[122:123] op_sel:[0,1]
	s_delay_alu instid0(VALU_DEP_1) | instskip(SKIP_1) | instid1(VALU_DEP_1)
	v_pk_fma_f32 v[134:135], v[132:133], v[120:121], v[130:131] op_sel:[0,0,1] op_sel_hi:[1,1,0] neg_lo:[0,0,1] neg_hi:[0,0,1]
	v_pk_fma_f32 v[130:131], v[132:133], v[120:121], v[130:131] op_sel:[0,0,1] op_sel_hi:[1,0,0]
	v_mov_b32_e32 v135, v131
	ds_load_2addr_b64 v[130:133], v124 offset0:35 offset1:36
	v_pk_add_f32 v[48:49], v[48:49], v[136:137] neg_lo:[0,1] neg_hi:[0,1]
	v_pk_add_f32 v[50:51], v[50:51], v[134:135] neg_lo:[0,1] neg_hi:[0,1]
	s_wait_dscnt 0x0
	v_pk_mul_f32 v[134:135], v[130:131], v[122:123] op_sel:[0,1]
	s_delay_alu instid0(VALU_DEP_1) | instskip(SKIP_2) | instid1(VALU_DEP_2)
	v_pk_fma_f32 v[136:137], v[130:131], v[120:121], v[134:135] op_sel:[0,0,1] op_sel_hi:[1,1,0] neg_lo:[0,0,1] neg_hi:[0,0,1]
	v_pk_fma_f32 v[130:131], v[130:131], v[120:121], v[134:135] op_sel:[0,0,1] op_sel_hi:[1,0,0]
	v_dual_mul_f32 v134, v133, v123 :: v_dual_mov_b32 v130, v133
	v_dual_mov_b32 v137, v131 :: v_dual_mov_b32 v131, v132
	s_delay_alu instid0(VALU_DEP_2) | instskip(SKIP_1) | instid1(VALU_DEP_3)
	v_pk_fma_f32 v[134:135], v[132:133], v[52:53], v[134:135] op_sel_hi:[1,1,0] neg_lo:[0,0,1] neg_hi:[0,0,1]
	v_mul_f32_e32 v132, v133, v120
	v_pk_add_f32 v[46:47], v[46:47], v[136:137] neg_lo:[0,1] neg_hi:[0,1]
	s_delay_alu instid0(VALU_DEP_2) | instskip(NEXT) | instid1(VALU_DEP_1)
	v_pk_fma_f32 v[130:131], v[130:131], v[52:53], v[132:133] op_sel_hi:[1,1,0]
	v_mov_b32_e32 v135, v131
	ds_load_2addr_b64 v[130:133], v124 offset0:37 offset1:38
	v_pk_add_f32 v[44:45], v[44:45], v[134:135] neg_lo:[0,1] neg_hi:[0,1]
	s_wait_dscnt 0x0
	v_pk_mul_f32 v[134:135], v[130:131], v[122:123] op_sel:[0,1]
	s_delay_alu instid0(VALU_DEP_1) | instskip(SKIP_1) | instid1(VALU_DEP_1)
	v_pk_fma_f32 v[136:137], v[130:131], v[120:121], v[134:135] op_sel:[0,0,1] op_sel_hi:[1,1,0] neg_lo:[0,0,1] neg_hi:[0,0,1]
	v_pk_fma_f32 v[130:131], v[130:131], v[120:121], v[134:135] op_sel:[0,0,1] op_sel_hi:[1,0,0]
	v_mov_b32_e32 v137, v131
	v_pk_mul_f32 v[130:131], v[132:133], v[122:123] op_sel:[0,1]
	s_delay_alu instid0(VALU_DEP_1) | instskip(SKIP_1) | instid1(VALU_DEP_1)
	v_pk_fma_f32 v[134:135], v[132:133], v[120:121], v[130:131] op_sel:[0,0,1] op_sel_hi:[1,1,0] neg_lo:[0,0,1] neg_hi:[0,0,1]
	v_pk_fma_f32 v[130:131], v[132:133], v[120:121], v[130:131] op_sel:[0,0,1] op_sel_hi:[1,0,0]
	v_mov_b32_e32 v135, v131
	ds_load_2addr_b64 v[130:133], v124 offset0:39 offset1:40
	v_pk_add_f32 v[40:41], v[40:41], v[136:137] neg_lo:[0,1] neg_hi:[0,1]
	v_pk_add_f32 v[42:43], v[42:43], v[134:135] neg_lo:[0,1] neg_hi:[0,1]
	s_wait_dscnt 0x0
	v_pk_mul_f32 v[134:135], v[130:131], v[122:123] op_sel:[0,1]
	s_delay_alu instid0(VALU_DEP_1) | instskip(SKIP_1) | instid1(VALU_DEP_1)
	v_pk_fma_f32 v[136:137], v[130:131], v[120:121], v[134:135] op_sel:[0,0,1] op_sel_hi:[1,1,0] neg_lo:[0,0,1] neg_hi:[0,0,1]
	v_pk_fma_f32 v[130:131], v[130:131], v[120:121], v[134:135] op_sel:[0,0,1] op_sel_hi:[1,0,0]
	v_mov_b32_e32 v137, v131
	v_pk_mul_f32 v[130:131], v[132:133], v[122:123] op_sel:[0,1]
	s_delay_alu instid0(VALU_DEP_1) | instskip(SKIP_1) | instid1(VALU_DEP_1)
	v_pk_fma_f32 v[134:135], v[132:133], v[120:121], v[130:131] op_sel:[0,0,1] op_sel_hi:[1,1,0] neg_lo:[0,0,1] neg_hi:[0,0,1]
	v_pk_fma_f32 v[130:131], v[132:133], v[120:121], v[130:131] op_sel:[0,0,1] op_sel_hi:[1,0,0]
	v_mov_b32_e32 v135, v131
	ds_load_2addr_b64 v[130:133], v124 offset0:41 offset1:42
	v_pk_add_f32 v[38:39], v[38:39], v[136:137] neg_lo:[0,1] neg_hi:[0,1]
	v_pk_add_f32 v[36:37], v[36:37], v[134:135] neg_lo:[0,1] neg_hi:[0,1]
	s_wait_dscnt 0x0
	v_dual_mul_f32 v134, v131, v123 :: v_dual_mul_f32 v136, v131, v120
	s_delay_alu instid0(VALU_DEP_1) | instskip(NEXT) | instid1(VALU_DEP_2)
	v_pk_fma_f32 v[134:135], v[130:131], v[52:53], v[134:135] op_sel_hi:[1,1,0] neg_lo:[0,0,1] neg_hi:[0,0,1]
	v_pk_fma_f32 v[130:131], v[130:131], v[52:53], v[136:137] op_sel:[1,0,0] op_sel_hi:[0,1,0]
	s_delay_alu instid0(VALU_DEP_1) | instskip(SKIP_1) | instid1(VALU_DEP_2)
	v_mov_b32_e32 v135, v131
	v_pk_mul_f32 v[130:131], v[132:133], v[122:123] op_sel:[0,1]
	v_pk_add_f32 v[32:33], v[32:33], v[134:135] neg_lo:[0,1] neg_hi:[0,1]
	s_delay_alu instid0(VALU_DEP_2) | instskip(SKIP_1) | instid1(VALU_DEP_1)
	v_pk_fma_f32 v[134:135], v[132:133], v[120:121], v[130:131] op_sel:[0,0,1] op_sel_hi:[1,1,0] neg_lo:[0,0,1] neg_hi:[0,0,1]
	v_pk_fma_f32 v[130:131], v[132:133], v[120:121], v[130:131] op_sel:[0,0,1] op_sel_hi:[1,0,0]
	v_mov_b32_e32 v135, v131
	ds_load_2addr_b64 v[130:133], v124 offset0:43 offset1:44
	v_pk_add_f32 v[34:35], v[34:35], v[134:135] neg_lo:[0,1] neg_hi:[0,1]
	s_wait_dscnt 0x0
	v_pk_mul_f32 v[134:135], v[130:131], v[122:123] op_sel:[0,1]
	s_delay_alu instid0(VALU_DEP_1) | instskip(SKIP_1) | instid1(VALU_DEP_1)
	v_pk_fma_f32 v[136:137], v[130:131], v[120:121], v[134:135] op_sel:[0,0,1] op_sel_hi:[1,1,0] neg_lo:[0,0,1] neg_hi:[0,0,1]
	v_pk_fma_f32 v[130:131], v[130:131], v[120:121], v[134:135] op_sel:[0,0,1] op_sel_hi:[1,0,0]
	v_mov_b32_e32 v137, v131
	v_pk_mul_f32 v[130:131], v[132:133], v[122:123] op_sel:[0,1]
	s_delay_alu instid0(VALU_DEP_2) | instskip(NEXT) | instid1(VALU_DEP_2)
	v_pk_add_f32 v[30:31], v[30:31], v[136:137] neg_lo:[0,1] neg_hi:[0,1]
	v_pk_fma_f32 v[134:135], v[132:133], v[120:121], v[130:131] op_sel:[0,0,1] op_sel_hi:[1,1,0] neg_lo:[0,0,1] neg_hi:[0,0,1]
	v_pk_fma_f32 v[130:131], v[132:133], v[120:121], v[130:131] op_sel:[0,0,1] op_sel_hi:[1,0,0]
	s_delay_alu instid0(VALU_DEP_1) | instskip(SKIP_4) | instid1(VALU_DEP_1)
	v_mov_b32_e32 v135, v131
	ds_load_2addr_b64 v[130:133], v124 offset0:45 offset1:46
	v_pk_add_f32 v[26:27], v[26:27], v[134:135] neg_lo:[0,1] neg_hi:[0,1]
	s_wait_dscnt 0x0
	v_pk_mul_f32 v[134:135], v[130:131], v[122:123] op_sel:[0,1]
	v_pk_fma_f32 v[136:137], v[130:131], v[120:121], v[134:135] op_sel:[0,0,1] op_sel_hi:[1,1,0] neg_lo:[0,0,1] neg_hi:[0,0,1]
	v_pk_fma_f32 v[130:131], v[130:131], v[120:121], v[134:135] op_sel:[0,0,1] op_sel_hi:[1,0,0]
	v_dual_mul_f32 v134, v133, v123 :: v_dual_mov_b32 v130, v133
	s_delay_alu instid0(VALU_DEP_2) | instskip(NEXT) | instid1(VALU_DEP_2)
	v_dual_mov_b32 v137, v131 :: v_dual_mov_b32 v131, v132
	v_pk_fma_f32 v[134:135], v[132:133], v[52:53], v[134:135] op_sel_hi:[1,1,0] neg_lo:[0,0,1] neg_hi:[0,0,1]
	v_mul_f32_e32 v132, v133, v120
	s_delay_alu instid0(VALU_DEP_3) | instskip(NEXT) | instid1(VALU_DEP_2)
	v_pk_add_f32 v[22:23], v[22:23], v[136:137] neg_lo:[0,1] neg_hi:[0,1]
	v_pk_fma_f32 v[130:131], v[130:131], v[52:53], v[132:133] op_sel_hi:[1,1,0]
	s_delay_alu instid0(VALU_DEP_1) | instskip(SKIP_4) | instid1(VALU_DEP_1)
	v_mov_b32_e32 v135, v131
	ds_load_2addr_b64 v[130:133], v124 offset0:47 offset1:48
	v_pk_add_f32 v[24:25], v[24:25], v[134:135] neg_lo:[0,1] neg_hi:[0,1]
	s_wait_dscnt 0x0
	v_pk_mul_f32 v[134:135], v[130:131], v[122:123] op_sel:[0,1]
	v_pk_fma_f32 v[136:137], v[130:131], v[120:121], v[134:135] op_sel:[0,0,1] op_sel_hi:[1,1,0] neg_lo:[0,0,1] neg_hi:[0,0,1]
	v_pk_fma_f32 v[130:131], v[130:131], v[120:121], v[134:135] op_sel:[0,0,1] op_sel_hi:[1,0,0]
	s_delay_alu instid0(VALU_DEP_1) | instskip(SKIP_1) | instid1(VALU_DEP_1)
	v_mov_b32_e32 v137, v131
	v_pk_mul_f32 v[130:131], v[132:133], v[122:123] op_sel:[0,1]
	v_pk_fma_f32 v[134:135], v[132:133], v[120:121], v[130:131] op_sel:[0,0,1] op_sel_hi:[1,1,0] neg_lo:[0,0,1] neg_hi:[0,0,1]
	v_pk_fma_f32 v[130:131], v[132:133], v[120:121], v[130:131] op_sel:[0,0,1] op_sel_hi:[1,0,0]
	s_delay_alu instid0(VALU_DEP_1)
	v_mov_b32_e32 v135, v131
	ds_load_2addr_b64 v[130:133], v124 offset0:49 offset1:50
	v_pk_add_f32 v[20:21], v[20:21], v[136:137] neg_lo:[0,1] neg_hi:[0,1]
	v_pk_add_f32 v[14:15], v[14:15], v[134:135] neg_lo:[0,1] neg_hi:[0,1]
	s_wait_dscnt 0x0
	v_pk_mul_f32 v[134:135], v[130:131], v[122:123] op_sel:[0,1]
	s_delay_alu instid0(VALU_DEP_1) | instskip(SKIP_1) | instid1(VALU_DEP_1)
	v_pk_fma_f32 v[136:137], v[130:131], v[120:121], v[134:135] op_sel:[0,0,1] op_sel_hi:[1,1,0] neg_lo:[0,0,1] neg_hi:[0,0,1]
	v_pk_fma_f32 v[130:131], v[130:131], v[120:121], v[134:135] op_sel:[0,0,1] op_sel_hi:[1,0,0]
	v_mov_b32_e32 v137, v131
	v_pk_mul_f32 v[130:131], v[132:133], v[122:123] op_sel:[0,1]
	s_delay_alu instid0(VALU_DEP_1) | instskip(SKIP_1) | instid1(VALU_DEP_1)
	v_pk_fma_f32 v[134:135], v[132:133], v[120:121], v[130:131] op_sel:[0,0,1] op_sel_hi:[1,1,0] neg_lo:[0,0,1] neg_hi:[0,0,1]
	v_pk_fma_f32 v[130:131], v[132:133], v[120:121], v[130:131] op_sel:[0,0,1] op_sel_hi:[1,0,0]
	v_mov_b32_e32 v135, v131
	ds_load_2addr_b64 v[130:133], v124 offset0:51 offset1:52
	v_pk_add_f32 v[10:11], v[10:11], v[136:137] neg_lo:[0,1] neg_hi:[0,1]
	v_pk_add_f32 v[12:13], v[12:13], v[134:135] neg_lo:[0,1] neg_hi:[0,1]
	s_wait_dscnt 0x0
	v_dual_mul_f32 v134, v131, v123 :: v_dual_mul_f32 v136, v131, v120
	s_delay_alu instid0(VALU_DEP_1) | instskip(NEXT) | instid1(VALU_DEP_2)
	v_pk_fma_f32 v[134:135], v[130:131], v[52:53], v[134:135] op_sel_hi:[1,1,0] neg_lo:[0,0,1] neg_hi:[0,0,1]
	v_pk_fma_f32 v[130:131], v[130:131], v[52:53], v[136:137] op_sel:[1,0,0] op_sel_hi:[0,1,0]
	s_delay_alu instid0(VALU_DEP_1) | instskip(SKIP_1) | instid1(VALU_DEP_2)
	v_mov_b32_e32 v135, v131
	v_pk_mul_f32 v[130:131], v[132:133], v[122:123] op_sel:[0,1]
	v_pk_add_f32 v[8:9], v[8:9], v[134:135] neg_lo:[0,1] neg_hi:[0,1]
	s_delay_alu instid0(VALU_DEP_2) | instskip(SKIP_1) | instid1(VALU_DEP_1)
	v_pk_fma_f32 v[134:135], v[132:133], v[120:121], v[130:131] op_sel:[0,0,1] op_sel_hi:[1,1,0] neg_lo:[0,0,1] neg_hi:[0,0,1]
	v_pk_fma_f32 v[130:131], v[132:133], v[120:121], v[130:131] op_sel:[0,0,1] op_sel_hi:[1,0,0]
	v_mov_b32_e32 v135, v131
	ds_load_2addr_b64 v[130:133], v124 offset0:53 offset1:54
	v_pk_add_f32 v[6:7], v[6:7], v[134:135] neg_lo:[0,1] neg_hi:[0,1]
	s_wait_dscnt 0x0
	v_pk_mul_f32 v[134:135], v[130:131], v[122:123] op_sel:[0,1]
	s_delay_alu instid0(VALU_DEP_1) | instskip(SKIP_1) | instid1(VALU_DEP_1)
	v_pk_fma_f32 v[136:137], v[130:131], v[120:121], v[134:135] op_sel:[0,0,1] op_sel_hi:[1,1,0] neg_lo:[0,0,1] neg_hi:[0,0,1]
	v_pk_fma_f32 v[130:131], v[130:131], v[120:121], v[134:135] op_sel:[0,0,1] op_sel_hi:[1,0,0]
	v_mov_b32_e32 v137, v131
	v_pk_mul_f32 v[130:131], v[132:133], v[122:123] op_sel:[0,1]
	s_delay_alu instid0(VALU_DEP_2) | instskip(NEXT) | instid1(VALU_DEP_2)
	v_pk_add_f32 v[28:29], v[28:29], v[136:137] neg_lo:[0,1] neg_hi:[0,1]
	v_pk_fma_f32 v[134:135], v[132:133], v[120:121], v[130:131] op_sel:[0,0,1] op_sel_hi:[1,1,0] neg_lo:[0,0,1] neg_hi:[0,0,1]
	v_pk_fma_f32 v[130:131], v[132:133], v[120:121], v[130:131] op_sel:[0,0,1] op_sel_hi:[1,0,0]
	s_delay_alu instid0(VALU_DEP_1)
	v_mov_b32_e32 v135, v131
	ds_load_2addr_b64 v[130:133], v124 offset0:55 offset1:56
	v_pk_add_f32 v[18:19], v[18:19], v[134:135] neg_lo:[0,1] neg_hi:[0,1]
	s_wait_dscnt 0x0
	v_pk_mul_f32 v[134:135], v[130:131], v[122:123] op_sel:[0,1]
	v_mul_f32_e32 v122, v133, v123
	s_delay_alu instid0(VALU_DEP_2) | instskip(SKIP_2) | instid1(VALU_DEP_4)
	v_pk_fma_f32 v[136:137], v[130:131], v[120:121], v[134:135] op_sel:[0,0,1] op_sel_hi:[1,1,0] neg_lo:[0,0,1] neg_hi:[0,0,1]
	v_pk_fma_f32 v[130:131], v[130:131], v[120:121], v[134:135] op_sel:[0,0,1] op_sel_hi:[1,0,0]
	v_dual_mov_b32 v130, v133 :: v_dual_mul_f32 v120, v133, v120
	v_pk_fma_f32 v[122:123], v[132:133], v[52:53], v[122:123] op_sel_hi:[1,1,0] neg_lo:[0,0,1] neg_hi:[0,0,1]
	s_delay_alu instid0(VALU_DEP_3) | instskip(NEXT) | instid1(VALU_DEP_1)
	v_dual_mov_b32 v137, v131 :: v_dual_mov_b32 v131, v132
	v_pk_add_f32 v[16:17], v[16:17], v[136:137] neg_lo:[0,1] neg_hi:[0,1]
	s_delay_alu instid0(VALU_DEP_2) | instskip(NEXT) | instid1(VALU_DEP_1)
	v_pk_fma_f32 v[120:121], v[130:131], v[52:53], v[120:121] op_sel_hi:[1,1,0]
	v_mov_b32_e32 v123, v121
	s_delay_alu instid0(VALU_DEP_1)
	v_pk_add_f32 v[118:119], v[118:119], v[122:123] neg_lo:[0,1] neg_hi:[0,1]
.LBB112_692:
	s_or_b32 exec_lo, exec_lo, s0
	v_lshl_add_u32 v120, v128, 3, v124
	s_barrier_signal -1
	s_barrier_wait -1
	ds_store_b64 v120, v[48:49]
	s_wait_dscnt 0x0
	s_barrier_signal -1
	s_barrier_wait -1
	ds_load_b64 v[122:123], v124 offset:264
	v_mov_b32_e32 v120, 33
	s_cmp_lt_i32 s18, 35
	s_cbranch_scc1 .LBB112_695
; %bb.693:
	v_add3_u32 v121, v125, 0, 0x110
	v_mov_b32_e32 v120, 33
	s_mov_b32 s0, 34
.LBB112_694:                            ; =>This Inner Loop Header: Depth=1
	ds_load_b64 v[130:131], v121
	s_wait_dscnt 0x1
	v_cmp_gt_f32_e32 vcc_lo, 0, v122
	v_cndmask_b32_e64 v132, v122, -v122, vcc_lo
	v_cmp_gt_f32_e32 vcc_lo, 0, v123
	v_cndmask_b32_e64 v134, v123, -v123, vcc_lo
	s_wait_dscnt 0x0
	v_cmp_gt_f32_e32 vcc_lo, 0, v130
	v_cndmask_b32_e64 v133, v130, -v130, vcc_lo
	v_cmp_gt_f32_e32 vcc_lo, 0, v131
	v_cndmask_b32_e64 v135, v131, -v131, vcc_lo
	s_delay_alu instid0(VALU_DEP_1) | instskip(NEXT) | instid1(VALU_DEP_1)
	v_pk_add_f32 v[132:133], v[132:133], v[134:135]
	v_cmp_lt_f32_e32 vcc_lo, v132, v133
	v_dual_add_nc_u32 v121, 8, v121 :: v_dual_cndmask_b32 v123, v123, v131, vcc_lo
	v_cndmask_b32_e32 v122, v122, v130, vcc_lo
	v_cndmask_b32_e64 v120, v120, s0, vcc_lo
	s_add_co_i32 s0, s0, 1
	s_delay_alu instid0(SALU_CYCLE_1)
	s_cmp_lg_u32 s18, s0
	s_cbranch_scc1 .LBB112_694
.LBB112_695:
	s_wait_dscnt 0x0
	v_cmp_eq_f32_e32 vcc_lo, 0, v122
	v_cmp_eq_f32_e64 s0, 0, v123
	s_and_b32 s0, vcc_lo, s0
	s_delay_alu instid0(SALU_CYCLE_1) | instskip(NEXT) | instid1(SALU_CYCLE_1)
	s_and_saveexec_b32 s1, s0
	s_xor_b32 s0, exec_lo, s1
; %bb.696:
	v_cmp_ne_u32_e32 vcc_lo, 0, v126
	v_cndmask_b32_e32 v126, 34, v126, vcc_lo
; %bb.697:
	s_and_not1_saveexec_b32 s0, s0
	s_cbranch_execz .LBB112_703
; %bb.698:
	v_cmp_ngt_f32_e64 s1, |v122|, |v123|
	s_and_saveexec_b32 s12, s1
	s_delay_alu instid0(SALU_CYCLE_1)
	s_xor_b32 s1, exec_lo, s12
	s_cbranch_execz .LBB112_700
; %bb.699:
	v_div_scale_f32 v121, null, v123, v123, v122
	v_div_scale_f32 v131, vcc_lo, v122, v123, v122
	s_delay_alu instid0(VALU_DEP_2) | instskip(SKIP_1) | instid1(TRANS32_DEP_1)
	v_rcp_f32_e32 v129, v121
	v_nop
	v_fma_f32 v130, -v121, v129, 1.0
	s_delay_alu instid0(VALU_DEP_1) | instskip(NEXT) | instid1(VALU_DEP_1)
	v_fmac_f32_e32 v129, v130, v129
	v_mul_f32_e32 v130, v131, v129
	s_delay_alu instid0(VALU_DEP_1) | instskip(NEXT) | instid1(VALU_DEP_1)
	v_fma_f32 v132, -v121, v130, v131
	v_fmac_f32_e32 v130, v132, v129
	s_delay_alu instid0(VALU_DEP_1) | instskip(NEXT) | instid1(VALU_DEP_1)
	v_fma_f32 v121, -v121, v130, v131
	v_div_fmas_f32 v121, v121, v129, v130
	s_delay_alu instid0(VALU_DEP_1) | instskip(NEXT) | instid1(VALU_DEP_1)
	v_div_fixup_f32 v121, v121, v123, v122
	v_fmac_f32_e32 v123, v122, v121
	s_delay_alu instid0(VALU_DEP_1) | instskip(SKIP_1) | instid1(VALU_DEP_2)
	v_div_scale_f32 v122, null, v123, v123, 1.0
	v_div_scale_f32 v131, vcc_lo, 1.0, v123, 1.0
	v_rcp_f32_e32 v129, v122
	v_nop
	s_delay_alu instid0(TRANS32_DEP_1) | instskip(NEXT) | instid1(VALU_DEP_1)
	v_fma_f32 v130, -v122, v129, 1.0
	v_fmac_f32_e32 v129, v130, v129
	s_delay_alu instid0(VALU_DEP_1) | instskip(NEXT) | instid1(VALU_DEP_1)
	v_mul_f32_e32 v130, v131, v129
	v_fma_f32 v132, -v122, v130, v131
	s_delay_alu instid0(VALU_DEP_1) | instskip(NEXT) | instid1(VALU_DEP_1)
	v_fmac_f32_e32 v130, v132, v129
	v_fma_f32 v122, -v122, v130, v131
	s_delay_alu instid0(VALU_DEP_1) | instskip(NEXT) | instid1(VALU_DEP_1)
	v_div_fmas_f32 v122, v122, v129, v130
	v_div_fixup_f32 v123, v122, v123, 1.0
	s_delay_alu instid0(VALU_DEP_1)
	v_mul_f32_e32 v122, v121, v123
	v_xor_b32_e32 v123, 0x80000000, v123
.LBB112_700:
	s_and_not1_saveexec_b32 s1, s1
	s_cbranch_execz .LBB112_702
; %bb.701:
	s_delay_alu instid0(VALU_DEP_1) | instskip(SKIP_1) | instid1(VALU_DEP_2)
	v_div_scale_f32 v121, null, v122, v122, v123
	v_div_scale_f32 v131, vcc_lo, v123, v122, v123
	v_rcp_f32_e32 v129, v121
	v_nop
	s_delay_alu instid0(TRANS32_DEP_1) | instskip(NEXT) | instid1(VALU_DEP_1)
	v_fma_f32 v130, -v121, v129, 1.0
	v_fmac_f32_e32 v129, v130, v129
	s_delay_alu instid0(VALU_DEP_1) | instskip(NEXT) | instid1(VALU_DEP_1)
	v_mul_f32_e32 v130, v131, v129
	v_fma_f32 v132, -v121, v130, v131
	s_delay_alu instid0(VALU_DEP_1) | instskip(NEXT) | instid1(VALU_DEP_1)
	v_fmac_f32_e32 v130, v132, v129
	v_fma_f32 v121, -v121, v130, v131
	s_delay_alu instid0(VALU_DEP_1) | instskip(NEXT) | instid1(VALU_DEP_1)
	v_div_fmas_f32 v121, v121, v129, v130
	v_div_fixup_f32 v121, v121, v122, v123
	s_delay_alu instid0(VALU_DEP_1) | instskip(NEXT) | instid1(VALU_DEP_1)
	v_fmac_f32_e32 v122, v123, v121
	v_div_scale_f32 v123, null, v122, v122, 1.0
	s_delay_alu instid0(VALU_DEP_1) | instskip(SKIP_1) | instid1(TRANS32_DEP_1)
	v_rcp_f32_e32 v129, v123
	v_nop
	v_fma_f32 v130, -v123, v129, 1.0
	s_delay_alu instid0(VALU_DEP_1) | instskip(SKIP_1) | instid1(VALU_DEP_1)
	v_fmac_f32_e32 v129, v130, v129
	v_div_scale_f32 v130, vcc_lo, 1.0, v122, 1.0
	v_mul_f32_e32 v131, v130, v129
	s_delay_alu instid0(VALU_DEP_1) | instskip(NEXT) | instid1(VALU_DEP_1)
	v_fma_f32 v132, -v123, v131, v130
	v_fmac_f32_e32 v131, v132, v129
	s_delay_alu instid0(VALU_DEP_1) | instskip(NEXT) | instid1(VALU_DEP_1)
	v_fma_f32 v123, -v123, v131, v130
	v_div_fmas_f32 v123, v123, v129, v131
	s_delay_alu instid0(VALU_DEP_1) | instskip(NEXT) | instid1(VALU_DEP_1)
	v_div_fixup_f32 v122, v123, v122, 1.0
	v_mul_f32_e64 v123, v121, -v122
.LBB112_702:
	s_or_b32 exec_lo, exec_lo, s1
.LBB112_703:
	s_delay_alu instid0(SALU_CYCLE_1) | instskip(NEXT) | instid1(SALU_CYCLE_1)
	s_or_b32 exec_lo, exec_lo, s0
	s_mov_b32 s0, exec_lo
	v_cmpx_ne_u32_e64 v128, v120
	s_xor_b32 s0, exec_lo, s0
	s_cbranch_execz .LBB112_709
; %bb.704:
	s_mov_b32 s1, exec_lo
	v_cmpx_eq_u32_e32 33, v128
	s_cbranch_execz .LBB112_708
; %bb.705:
	v_cmp_ne_u32_e32 vcc_lo, 33, v120
	s_xor_b32 s12, s16, -1
	s_delay_alu instid0(SALU_CYCLE_1) | instskip(NEXT) | instid1(SALU_CYCLE_1)
	s_and_b32 s13, s12, vcc_lo
	s_and_saveexec_b32 s12, s13
	s_cbranch_execz .LBB112_707
; %bb.706:
	v_ashrrev_i32_e32 v121, 31, v120
	s_delay_alu instid0(VALU_DEP_1)
	v_lshl_add_u64 v[128:129], v[120:121], 2, v[4:5]
	s_clause 0x1
	global_load_b32 v121, v[128:129], off
	global_load_b32 v127, v[4:5], off offset:132
	s_wait_loadcnt 0x1
	global_store_b32 v[4:5], v121, off offset:132
	s_wait_loadcnt 0x0
	global_store_b32 v[128:129], v127, off
.LBB112_707:
	s_wait_xcnt 0x0
	s_or_b32 exec_lo, exec_lo, s12
	v_dual_mov_b32 v128, v120 :: v_dual_mov_b32 v127, v120
.LBB112_708:
	s_or_b32 exec_lo, exec_lo, s1
.LBB112_709:
	s_and_not1_saveexec_b32 s0, s0
	s_cbranch_execz .LBB112_711
; %bb.710:
	v_dual_mov_b32 v120, v50 :: v_dual_mov_b32 v121, v51
	v_dual_mov_b32 v128, v46 :: v_dual_mov_b32 v129, v47
	ds_store_2addr_b64 v124, v[120:121], v[128:129] offset0:34 offset1:35
	v_dual_mov_b32 v120, v44 :: v_dual_mov_b32 v121, v45
	v_dual_mov_b32 v128, v40 :: v_dual_mov_b32 v129, v41
	ds_store_2addr_b64 v124, v[120:121], v[128:129] offset0:36 offset1:37
	;; [unrolled: 3-line block ×11, first 2 shown]
	ds_store_b64 v124, v[118:119] offset:448
	v_mov_b32_e32 v128, 33
.LBB112_711:
	s_or_b32 exec_lo, exec_lo, s0
	s_delay_alu instid0(SALU_CYCLE_1)
	s_mov_b32 s0, exec_lo
	s_wait_storecnt_dscnt 0x0
	s_barrier_signal -1
	s_barrier_wait -1
	v_cmpx_lt_i32_e32 33, v128
	s_cbranch_execz .LBB112_713
; %bb.712:
	v_pk_mul_f32 v[130:131], v[122:123], v[48:49] op_sel:[1,1] op_sel_hi:[0,1]
	s_delay_alu instid0(VALU_DEP_1)
	v_pk_fma_f32 v[120:121], v[122:123], v[48:49], v[130:131] op_sel_hi:[1,0,1] neg_lo:[0,0,1] neg_hi:[0,0,1]
	v_pk_fma_f32 v[122:123], v[122:123], v[48:49], v[130:131] op_sel_hi:[1,0,1]
	ds_load_2addr_b64 v[130:133], v124 offset0:34 offset1:35
	v_dual_mov_b32 v48, v120 :: v_dual_mov_b32 v49, v123
	s_wait_dscnt 0x0
	v_pk_mul_f32 v[134:135], v[130:131], v[122:123] op_sel:[0,1]
	s_delay_alu instid0(VALU_DEP_1) | instskip(SKIP_1) | instid1(VALU_DEP_1)
	v_pk_fma_f32 v[136:137], v[130:131], v[120:121], v[134:135] op_sel:[0,0,1] op_sel_hi:[1,1,0] neg_lo:[0,0,1] neg_hi:[0,0,1]
	v_pk_fma_f32 v[130:131], v[130:131], v[120:121], v[134:135] op_sel:[0,0,1] op_sel_hi:[1,0,0]
	v_mov_b32_e32 v137, v131
	v_pk_mul_f32 v[130:131], v[132:133], v[122:123] op_sel:[0,1]
	s_delay_alu instid0(VALU_DEP_1) | instskip(SKIP_1) | instid1(VALU_DEP_1)
	v_pk_fma_f32 v[134:135], v[132:133], v[120:121], v[130:131] op_sel:[0,0,1] op_sel_hi:[1,1,0] neg_lo:[0,0,1] neg_hi:[0,0,1]
	v_pk_fma_f32 v[130:131], v[132:133], v[120:121], v[130:131] op_sel:[0,0,1] op_sel_hi:[1,0,0]
	v_mov_b32_e32 v135, v131
	ds_load_2addr_b64 v[130:133], v124 offset0:36 offset1:37
	v_pk_add_f32 v[50:51], v[50:51], v[136:137] neg_lo:[0,1] neg_hi:[0,1]
	v_pk_add_f32 v[46:47], v[46:47], v[134:135] neg_lo:[0,1] neg_hi:[0,1]
	s_wait_dscnt 0x0
	v_pk_mul_f32 v[134:135], v[130:131], v[122:123] op_sel:[0,1]
	s_delay_alu instid0(VALU_DEP_1) | instskip(SKIP_2) | instid1(VALU_DEP_2)
	v_pk_fma_f32 v[136:137], v[130:131], v[120:121], v[134:135] op_sel:[0,0,1] op_sel_hi:[1,1,0] neg_lo:[0,0,1] neg_hi:[0,0,1]
	v_pk_fma_f32 v[130:131], v[130:131], v[120:121], v[134:135] op_sel:[0,0,1] op_sel_hi:[1,0,0]
	v_dual_mul_f32 v134, v133, v123 :: v_dual_mov_b32 v130, v133
	v_dual_mov_b32 v137, v131 :: v_dual_mov_b32 v131, v132
	s_delay_alu instid0(VALU_DEP_2) | instskip(SKIP_1) | instid1(VALU_DEP_3)
	v_pk_fma_f32 v[134:135], v[132:133], v[48:49], v[134:135] op_sel_hi:[1,1,0] neg_lo:[0,0,1] neg_hi:[0,0,1]
	v_mul_f32_e32 v132, v133, v120
	v_pk_add_f32 v[44:45], v[44:45], v[136:137] neg_lo:[0,1] neg_hi:[0,1]
	s_delay_alu instid0(VALU_DEP_2) | instskip(NEXT) | instid1(VALU_DEP_1)
	v_pk_fma_f32 v[130:131], v[130:131], v[48:49], v[132:133] op_sel_hi:[1,1,0]
	v_mov_b32_e32 v135, v131
	ds_load_2addr_b64 v[130:133], v124 offset0:38 offset1:39
	v_pk_add_f32 v[40:41], v[40:41], v[134:135] neg_lo:[0,1] neg_hi:[0,1]
	s_wait_dscnt 0x0
	v_pk_mul_f32 v[134:135], v[130:131], v[122:123] op_sel:[0,1]
	s_delay_alu instid0(VALU_DEP_1) | instskip(SKIP_1) | instid1(VALU_DEP_1)
	v_pk_fma_f32 v[136:137], v[130:131], v[120:121], v[134:135] op_sel:[0,0,1] op_sel_hi:[1,1,0] neg_lo:[0,0,1] neg_hi:[0,0,1]
	v_pk_fma_f32 v[130:131], v[130:131], v[120:121], v[134:135] op_sel:[0,0,1] op_sel_hi:[1,0,0]
	v_mov_b32_e32 v137, v131
	v_pk_mul_f32 v[130:131], v[132:133], v[122:123] op_sel:[0,1]
	s_delay_alu instid0(VALU_DEP_1) | instskip(SKIP_1) | instid1(VALU_DEP_1)
	v_pk_fma_f32 v[134:135], v[132:133], v[120:121], v[130:131] op_sel:[0,0,1] op_sel_hi:[1,1,0] neg_lo:[0,0,1] neg_hi:[0,0,1]
	v_pk_fma_f32 v[130:131], v[132:133], v[120:121], v[130:131] op_sel:[0,0,1] op_sel_hi:[1,0,0]
	v_mov_b32_e32 v135, v131
	ds_load_2addr_b64 v[130:133], v124 offset0:40 offset1:41
	v_pk_add_f32 v[42:43], v[42:43], v[136:137] neg_lo:[0,1] neg_hi:[0,1]
	v_pk_add_f32 v[38:39], v[38:39], v[134:135] neg_lo:[0,1] neg_hi:[0,1]
	s_wait_dscnt 0x0
	v_pk_mul_f32 v[134:135], v[130:131], v[122:123] op_sel:[0,1]
	s_delay_alu instid0(VALU_DEP_1) | instskip(SKIP_1) | instid1(VALU_DEP_1)
	v_pk_fma_f32 v[136:137], v[130:131], v[120:121], v[134:135] op_sel:[0,0,1] op_sel_hi:[1,1,0] neg_lo:[0,0,1] neg_hi:[0,0,1]
	v_pk_fma_f32 v[130:131], v[130:131], v[120:121], v[134:135] op_sel:[0,0,1] op_sel_hi:[1,0,0]
	v_mov_b32_e32 v137, v131
	v_pk_mul_f32 v[130:131], v[132:133], v[122:123] op_sel:[0,1]
	s_delay_alu instid0(VALU_DEP_1) | instskip(SKIP_1) | instid1(VALU_DEP_1)
	v_pk_fma_f32 v[134:135], v[132:133], v[120:121], v[130:131] op_sel:[0,0,1] op_sel_hi:[1,1,0] neg_lo:[0,0,1] neg_hi:[0,0,1]
	v_pk_fma_f32 v[130:131], v[132:133], v[120:121], v[130:131] op_sel:[0,0,1] op_sel_hi:[1,0,0]
	v_mov_b32_e32 v135, v131
	ds_load_2addr_b64 v[130:133], v124 offset0:42 offset1:43
	v_pk_add_f32 v[36:37], v[36:37], v[136:137] neg_lo:[0,1] neg_hi:[0,1]
	v_pk_add_f32 v[32:33], v[32:33], v[134:135] neg_lo:[0,1] neg_hi:[0,1]
	s_wait_dscnt 0x0
	v_dual_mul_f32 v134, v131, v123 :: v_dual_mul_f32 v136, v131, v120
	s_delay_alu instid0(VALU_DEP_1) | instskip(NEXT) | instid1(VALU_DEP_2)
	v_pk_fma_f32 v[134:135], v[130:131], v[48:49], v[134:135] op_sel_hi:[1,1,0] neg_lo:[0,0,1] neg_hi:[0,0,1]
	v_pk_fma_f32 v[130:131], v[130:131], v[48:49], v[136:137] op_sel:[1,0,0] op_sel_hi:[0,1,0]
	s_delay_alu instid0(VALU_DEP_1) | instskip(SKIP_1) | instid1(VALU_DEP_2)
	v_mov_b32_e32 v135, v131
	v_pk_mul_f32 v[130:131], v[132:133], v[122:123] op_sel:[0,1]
	v_pk_add_f32 v[34:35], v[34:35], v[134:135] neg_lo:[0,1] neg_hi:[0,1]
	s_delay_alu instid0(VALU_DEP_2) | instskip(SKIP_1) | instid1(VALU_DEP_1)
	v_pk_fma_f32 v[134:135], v[132:133], v[120:121], v[130:131] op_sel:[0,0,1] op_sel_hi:[1,1,0] neg_lo:[0,0,1] neg_hi:[0,0,1]
	v_pk_fma_f32 v[130:131], v[132:133], v[120:121], v[130:131] op_sel:[0,0,1] op_sel_hi:[1,0,0]
	v_mov_b32_e32 v135, v131
	ds_load_2addr_b64 v[130:133], v124 offset0:44 offset1:45
	v_pk_add_f32 v[30:31], v[30:31], v[134:135] neg_lo:[0,1] neg_hi:[0,1]
	s_wait_dscnt 0x0
	v_pk_mul_f32 v[134:135], v[130:131], v[122:123] op_sel:[0,1]
	s_delay_alu instid0(VALU_DEP_1) | instskip(SKIP_1) | instid1(VALU_DEP_1)
	v_pk_fma_f32 v[136:137], v[130:131], v[120:121], v[134:135] op_sel:[0,0,1] op_sel_hi:[1,1,0] neg_lo:[0,0,1] neg_hi:[0,0,1]
	v_pk_fma_f32 v[130:131], v[130:131], v[120:121], v[134:135] op_sel:[0,0,1] op_sel_hi:[1,0,0]
	v_mov_b32_e32 v137, v131
	v_pk_mul_f32 v[130:131], v[132:133], v[122:123] op_sel:[0,1]
	s_delay_alu instid0(VALU_DEP_2) | instskip(NEXT) | instid1(VALU_DEP_2)
	v_pk_add_f32 v[26:27], v[26:27], v[136:137] neg_lo:[0,1] neg_hi:[0,1]
	v_pk_fma_f32 v[134:135], v[132:133], v[120:121], v[130:131] op_sel:[0,0,1] op_sel_hi:[1,1,0] neg_lo:[0,0,1] neg_hi:[0,0,1]
	v_pk_fma_f32 v[130:131], v[132:133], v[120:121], v[130:131] op_sel:[0,0,1] op_sel_hi:[1,0,0]
	s_delay_alu instid0(VALU_DEP_1) | instskip(SKIP_4) | instid1(VALU_DEP_1)
	v_mov_b32_e32 v135, v131
	ds_load_2addr_b64 v[130:133], v124 offset0:46 offset1:47
	v_pk_add_f32 v[22:23], v[22:23], v[134:135] neg_lo:[0,1] neg_hi:[0,1]
	s_wait_dscnt 0x0
	v_pk_mul_f32 v[134:135], v[130:131], v[122:123] op_sel:[0,1]
	v_pk_fma_f32 v[136:137], v[130:131], v[120:121], v[134:135] op_sel:[0,0,1] op_sel_hi:[1,1,0] neg_lo:[0,0,1] neg_hi:[0,0,1]
	v_pk_fma_f32 v[130:131], v[130:131], v[120:121], v[134:135] op_sel:[0,0,1] op_sel_hi:[1,0,0]
	v_dual_mul_f32 v134, v133, v123 :: v_dual_mov_b32 v130, v133
	s_delay_alu instid0(VALU_DEP_2) | instskip(NEXT) | instid1(VALU_DEP_2)
	v_dual_mov_b32 v137, v131 :: v_dual_mov_b32 v131, v132
	v_pk_fma_f32 v[134:135], v[132:133], v[48:49], v[134:135] op_sel_hi:[1,1,0] neg_lo:[0,0,1] neg_hi:[0,0,1]
	v_mul_f32_e32 v132, v133, v120
	s_delay_alu instid0(VALU_DEP_3) | instskip(NEXT) | instid1(VALU_DEP_2)
	v_pk_add_f32 v[24:25], v[24:25], v[136:137] neg_lo:[0,1] neg_hi:[0,1]
	v_pk_fma_f32 v[130:131], v[130:131], v[48:49], v[132:133] op_sel_hi:[1,1,0]
	s_delay_alu instid0(VALU_DEP_1) | instskip(SKIP_4) | instid1(VALU_DEP_1)
	v_mov_b32_e32 v135, v131
	ds_load_2addr_b64 v[130:133], v124 offset0:48 offset1:49
	v_pk_add_f32 v[20:21], v[20:21], v[134:135] neg_lo:[0,1] neg_hi:[0,1]
	s_wait_dscnt 0x0
	v_pk_mul_f32 v[134:135], v[130:131], v[122:123] op_sel:[0,1]
	v_pk_fma_f32 v[136:137], v[130:131], v[120:121], v[134:135] op_sel:[0,0,1] op_sel_hi:[1,1,0] neg_lo:[0,0,1] neg_hi:[0,0,1]
	v_pk_fma_f32 v[130:131], v[130:131], v[120:121], v[134:135] op_sel:[0,0,1] op_sel_hi:[1,0,0]
	s_delay_alu instid0(VALU_DEP_1) | instskip(SKIP_1) | instid1(VALU_DEP_1)
	v_mov_b32_e32 v137, v131
	v_pk_mul_f32 v[130:131], v[132:133], v[122:123] op_sel:[0,1]
	v_pk_fma_f32 v[134:135], v[132:133], v[120:121], v[130:131] op_sel:[0,0,1] op_sel_hi:[1,1,0] neg_lo:[0,0,1] neg_hi:[0,0,1]
	v_pk_fma_f32 v[130:131], v[132:133], v[120:121], v[130:131] op_sel:[0,0,1] op_sel_hi:[1,0,0]
	s_delay_alu instid0(VALU_DEP_1)
	v_mov_b32_e32 v135, v131
	ds_load_2addr_b64 v[130:133], v124 offset0:50 offset1:51
	v_pk_add_f32 v[14:15], v[14:15], v[136:137] neg_lo:[0,1] neg_hi:[0,1]
	v_pk_add_f32 v[10:11], v[10:11], v[134:135] neg_lo:[0,1] neg_hi:[0,1]
	s_wait_dscnt 0x0
	v_pk_mul_f32 v[134:135], v[130:131], v[122:123] op_sel:[0,1]
	s_delay_alu instid0(VALU_DEP_1) | instskip(SKIP_1) | instid1(VALU_DEP_1)
	v_pk_fma_f32 v[136:137], v[130:131], v[120:121], v[134:135] op_sel:[0,0,1] op_sel_hi:[1,1,0] neg_lo:[0,0,1] neg_hi:[0,0,1]
	v_pk_fma_f32 v[130:131], v[130:131], v[120:121], v[134:135] op_sel:[0,0,1] op_sel_hi:[1,0,0]
	v_mov_b32_e32 v137, v131
	v_pk_mul_f32 v[130:131], v[132:133], v[122:123] op_sel:[0,1]
	s_delay_alu instid0(VALU_DEP_1) | instskip(SKIP_1) | instid1(VALU_DEP_1)
	v_pk_fma_f32 v[134:135], v[132:133], v[120:121], v[130:131] op_sel:[0,0,1] op_sel_hi:[1,1,0] neg_lo:[0,0,1] neg_hi:[0,0,1]
	v_pk_fma_f32 v[130:131], v[132:133], v[120:121], v[130:131] op_sel:[0,0,1] op_sel_hi:[1,0,0]
	v_mov_b32_e32 v135, v131
	ds_load_2addr_b64 v[130:133], v124 offset0:52 offset1:53
	v_pk_add_f32 v[12:13], v[12:13], v[136:137] neg_lo:[0,1] neg_hi:[0,1]
	v_pk_add_f32 v[8:9], v[8:9], v[134:135] neg_lo:[0,1] neg_hi:[0,1]
	s_wait_dscnt 0x0
	v_dual_mul_f32 v134, v131, v123 :: v_dual_mul_f32 v136, v131, v120
	s_delay_alu instid0(VALU_DEP_1) | instskip(NEXT) | instid1(VALU_DEP_2)
	v_pk_fma_f32 v[134:135], v[130:131], v[48:49], v[134:135] op_sel_hi:[1,1,0] neg_lo:[0,0,1] neg_hi:[0,0,1]
	v_pk_fma_f32 v[130:131], v[130:131], v[48:49], v[136:137] op_sel:[1,0,0] op_sel_hi:[0,1,0]
	s_delay_alu instid0(VALU_DEP_1) | instskip(SKIP_1) | instid1(VALU_DEP_2)
	v_mov_b32_e32 v135, v131
	v_pk_mul_f32 v[130:131], v[132:133], v[122:123] op_sel:[0,1]
	v_pk_add_f32 v[6:7], v[6:7], v[134:135] neg_lo:[0,1] neg_hi:[0,1]
	s_delay_alu instid0(VALU_DEP_2) | instskip(SKIP_1) | instid1(VALU_DEP_1)
	v_pk_fma_f32 v[134:135], v[132:133], v[120:121], v[130:131] op_sel:[0,0,1] op_sel_hi:[1,1,0] neg_lo:[0,0,1] neg_hi:[0,0,1]
	v_pk_fma_f32 v[130:131], v[132:133], v[120:121], v[130:131] op_sel:[0,0,1] op_sel_hi:[1,0,0]
	v_mov_b32_e32 v135, v131
	ds_load_2addr_b64 v[130:133], v124 offset0:54 offset1:55
	v_pk_add_f32 v[28:29], v[28:29], v[134:135] neg_lo:[0,1] neg_hi:[0,1]
	s_wait_dscnt 0x0
	v_pk_mul_f32 v[134:135], v[130:131], v[122:123] op_sel:[0,1]
	s_delay_alu instid0(VALU_DEP_1) | instskip(SKIP_1) | instid1(VALU_DEP_1)
	v_pk_fma_f32 v[136:137], v[130:131], v[120:121], v[134:135] op_sel:[0,0,1] op_sel_hi:[1,1,0] neg_lo:[0,0,1] neg_hi:[0,0,1]
	v_pk_fma_f32 v[130:131], v[130:131], v[120:121], v[134:135] op_sel:[0,0,1] op_sel_hi:[1,0,0]
	v_mov_b32_e32 v137, v131
	v_pk_mul_f32 v[130:131], v[132:133], v[122:123] op_sel:[0,1]
	s_delay_alu instid0(VALU_DEP_2) | instskip(NEXT) | instid1(VALU_DEP_2)
	v_pk_add_f32 v[18:19], v[18:19], v[136:137] neg_lo:[0,1] neg_hi:[0,1]
	v_pk_fma_f32 v[134:135], v[132:133], v[120:121], v[130:131] op_sel:[0,0,1] op_sel_hi:[1,1,0] neg_lo:[0,0,1] neg_hi:[0,0,1]
	v_pk_fma_f32 v[130:131], v[132:133], v[120:121], v[130:131] op_sel:[0,0,1] op_sel_hi:[1,0,0]
	s_delay_alu instid0(VALU_DEP_1) | instskip(SKIP_4) | instid1(VALU_DEP_1)
	v_mov_b32_e32 v135, v131
	ds_load_b64 v[130:131], v124 offset:448
	v_pk_add_f32 v[16:17], v[16:17], v[134:135] neg_lo:[0,1] neg_hi:[0,1]
	s_wait_dscnt 0x0
	v_pk_mul_f32 v[122:123], v[130:131], v[122:123] op_sel:[0,1]
	v_pk_fma_f32 v[132:133], v[130:131], v[120:121], v[122:123] op_sel:[0,0,1] op_sel_hi:[1,1,0] neg_lo:[0,0,1] neg_hi:[0,0,1]
	v_pk_fma_f32 v[120:121], v[130:131], v[120:121], v[122:123] op_sel:[0,0,1] op_sel_hi:[1,0,0]
	s_delay_alu instid0(VALU_DEP_1) | instskip(NEXT) | instid1(VALU_DEP_1)
	v_mov_b32_e32 v133, v121
	v_pk_add_f32 v[118:119], v[118:119], v[132:133] neg_lo:[0,1] neg_hi:[0,1]
.LBB112_713:
	s_or_b32 exec_lo, exec_lo, s0
	v_lshl_add_u32 v120, v128, 3, v124
	s_barrier_signal -1
	s_barrier_wait -1
	ds_store_b64 v120, v[50:51]
	s_wait_dscnt 0x0
	s_barrier_signal -1
	s_barrier_wait -1
	ds_load_b64 v[122:123], v124 offset:272
	v_mov_b32_e32 v120, 34
	s_cmp_lt_i32 s18, 36
	s_cbranch_scc1 .LBB112_716
; %bb.714:
	v_add3_u32 v121, v125, 0, 0x118
	v_mov_b32_e32 v120, 34
	s_mov_b32 s0, 35
.LBB112_715:                            ; =>This Inner Loop Header: Depth=1
	ds_load_b64 v[130:131], v121
	s_wait_dscnt 0x1
	v_cmp_gt_f32_e32 vcc_lo, 0, v122
	v_cndmask_b32_e64 v132, v122, -v122, vcc_lo
	v_cmp_gt_f32_e32 vcc_lo, 0, v123
	v_cndmask_b32_e64 v134, v123, -v123, vcc_lo
	s_wait_dscnt 0x0
	v_cmp_gt_f32_e32 vcc_lo, 0, v130
	v_cndmask_b32_e64 v133, v130, -v130, vcc_lo
	v_cmp_gt_f32_e32 vcc_lo, 0, v131
	v_cndmask_b32_e64 v135, v131, -v131, vcc_lo
	s_delay_alu instid0(VALU_DEP_1) | instskip(NEXT) | instid1(VALU_DEP_1)
	v_pk_add_f32 v[132:133], v[132:133], v[134:135]
	v_cmp_lt_f32_e32 vcc_lo, v132, v133
	v_dual_add_nc_u32 v121, 8, v121 :: v_dual_cndmask_b32 v123, v123, v131, vcc_lo
	v_cndmask_b32_e32 v122, v122, v130, vcc_lo
	v_cndmask_b32_e64 v120, v120, s0, vcc_lo
	s_add_co_i32 s0, s0, 1
	s_delay_alu instid0(SALU_CYCLE_1)
	s_cmp_lg_u32 s18, s0
	s_cbranch_scc1 .LBB112_715
.LBB112_716:
	s_wait_dscnt 0x0
	v_cmp_eq_f32_e32 vcc_lo, 0, v122
	v_cmp_eq_f32_e64 s0, 0, v123
	s_and_b32 s0, vcc_lo, s0
	s_delay_alu instid0(SALU_CYCLE_1) | instskip(NEXT) | instid1(SALU_CYCLE_1)
	s_and_saveexec_b32 s1, s0
	s_xor_b32 s0, exec_lo, s1
; %bb.717:
	v_cmp_ne_u32_e32 vcc_lo, 0, v126
	v_cndmask_b32_e32 v126, 35, v126, vcc_lo
; %bb.718:
	s_and_not1_saveexec_b32 s0, s0
	s_cbranch_execz .LBB112_724
; %bb.719:
	v_cmp_ngt_f32_e64 s1, |v122|, |v123|
	s_and_saveexec_b32 s12, s1
	s_delay_alu instid0(SALU_CYCLE_1)
	s_xor_b32 s1, exec_lo, s12
	s_cbranch_execz .LBB112_721
; %bb.720:
	v_div_scale_f32 v121, null, v123, v123, v122
	v_div_scale_f32 v131, vcc_lo, v122, v123, v122
	s_delay_alu instid0(VALU_DEP_2) | instskip(SKIP_1) | instid1(TRANS32_DEP_1)
	v_rcp_f32_e32 v129, v121
	v_nop
	v_fma_f32 v130, -v121, v129, 1.0
	s_delay_alu instid0(VALU_DEP_1) | instskip(NEXT) | instid1(VALU_DEP_1)
	v_fmac_f32_e32 v129, v130, v129
	v_mul_f32_e32 v130, v131, v129
	s_delay_alu instid0(VALU_DEP_1) | instskip(NEXT) | instid1(VALU_DEP_1)
	v_fma_f32 v132, -v121, v130, v131
	v_fmac_f32_e32 v130, v132, v129
	s_delay_alu instid0(VALU_DEP_1) | instskip(NEXT) | instid1(VALU_DEP_1)
	v_fma_f32 v121, -v121, v130, v131
	v_div_fmas_f32 v121, v121, v129, v130
	s_delay_alu instid0(VALU_DEP_1) | instskip(NEXT) | instid1(VALU_DEP_1)
	v_div_fixup_f32 v121, v121, v123, v122
	v_fmac_f32_e32 v123, v122, v121
	s_delay_alu instid0(VALU_DEP_1) | instskip(SKIP_1) | instid1(VALU_DEP_2)
	v_div_scale_f32 v122, null, v123, v123, 1.0
	v_div_scale_f32 v131, vcc_lo, 1.0, v123, 1.0
	v_rcp_f32_e32 v129, v122
	v_nop
	s_delay_alu instid0(TRANS32_DEP_1) | instskip(NEXT) | instid1(VALU_DEP_1)
	v_fma_f32 v130, -v122, v129, 1.0
	v_fmac_f32_e32 v129, v130, v129
	s_delay_alu instid0(VALU_DEP_1) | instskip(NEXT) | instid1(VALU_DEP_1)
	v_mul_f32_e32 v130, v131, v129
	v_fma_f32 v132, -v122, v130, v131
	s_delay_alu instid0(VALU_DEP_1) | instskip(NEXT) | instid1(VALU_DEP_1)
	v_fmac_f32_e32 v130, v132, v129
	v_fma_f32 v122, -v122, v130, v131
	s_delay_alu instid0(VALU_DEP_1) | instskip(NEXT) | instid1(VALU_DEP_1)
	v_div_fmas_f32 v122, v122, v129, v130
	v_div_fixup_f32 v123, v122, v123, 1.0
	s_delay_alu instid0(VALU_DEP_1)
	v_mul_f32_e32 v122, v121, v123
	v_xor_b32_e32 v123, 0x80000000, v123
.LBB112_721:
	s_and_not1_saveexec_b32 s1, s1
	s_cbranch_execz .LBB112_723
; %bb.722:
	s_delay_alu instid0(VALU_DEP_1) | instskip(SKIP_1) | instid1(VALU_DEP_2)
	v_div_scale_f32 v121, null, v122, v122, v123
	v_div_scale_f32 v131, vcc_lo, v123, v122, v123
	v_rcp_f32_e32 v129, v121
	v_nop
	s_delay_alu instid0(TRANS32_DEP_1) | instskip(NEXT) | instid1(VALU_DEP_1)
	v_fma_f32 v130, -v121, v129, 1.0
	v_fmac_f32_e32 v129, v130, v129
	s_delay_alu instid0(VALU_DEP_1) | instskip(NEXT) | instid1(VALU_DEP_1)
	v_mul_f32_e32 v130, v131, v129
	v_fma_f32 v132, -v121, v130, v131
	s_delay_alu instid0(VALU_DEP_1) | instskip(NEXT) | instid1(VALU_DEP_1)
	v_fmac_f32_e32 v130, v132, v129
	v_fma_f32 v121, -v121, v130, v131
	s_delay_alu instid0(VALU_DEP_1) | instskip(NEXT) | instid1(VALU_DEP_1)
	v_div_fmas_f32 v121, v121, v129, v130
	v_div_fixup_f32 v121, v121, v122, v123
	s_delay_alu instid0(VALU_DEP_1) | instskip(NEXT) | instid1(VALU_DEP_1)
	v_fmac_f32_e32 v122, v123, v121
	v_div_scale_f32 v123, null, v122, v122, 1.0
	s_delay_alu instid0(VALU_DEP_1) | instskip(SKIP_1) | instid1(TRANS32_DEP_1)
	v_rcp_f32_e32 v129, v123
	v_nop
	v_fma_f32 v130, -v123, v129, 1.0
	s_delay_alu instid0(VALU_DEP_1) | instskip(SKIP_1) | instid1(VALU_DEP_1)
	v_fmac_f32_e32 v129, v130, v129
	v_div_scale_f32 v130, vcc_lo, 1.0, v122, 1.0
	v_mul_f32_e32 v131, v130, v129
	s_delay_alu instid0(VALU_DEP_1) | instskip(NEXT) | instid1(VALU_DEP_1)
	v_fma_f32 v132, -v123, v131, v130
	v_fmac_f32_e32 v131, v132, v129
	s_delay_alu instid0(VALU_DEP_1) | instskip(NEXT) | instid1(VALU_DEP_1)
	v_fma_f32 v123, -v123, v131, v130
	v_div_fmas_f32 v123, v123, v129, v131
	s_delay_alu instid0(VALU_DEP_1) | instskip(NEXT) | instid1(VALU_DEP_1)
	v_div_fixup_f32 v122, v123, v122, 1.0
	v_mul_f32_e64 v123, v121, -v122
.LBB112_723:
	s_or_b32 exec_lo, exec_lo, s1
.LBB112_724:
	s_delay_alu instid0(SALU_CYCLE_1) | instskip(NEXT) | instid1(SALU_CYCLE_1)
	s_or_b32 exec_lo, exec_lo, s0
	s_mov_b32 s0, exec_lo
	v_cmpx_ne_u32_e64 v128, v120
	s_xor_b32 s0, exec_lo, s0
	s_cbranch_execz .LBB112_730
; %bb.725:
	s_mov_b32 s1, exec_lo
	v_cmpx_eq_u32_e32 34, v128
	s_cbranch_execz .LBB112_729
; %bb.726:
	v_cmp_ne_u32_e32 vcc_lo, 34, v120
	s_xor_b32 s12, s16, -1
	s_delay_alu instid0(SALU_CYCLE_1) | instskip(NEXT) | instid1(SALU_CYCLE_1)
	s_and_b32 s13, s12, vcc_lo
	s_and_saveexec_b32 s12, s13
	s_cbranch_execz .LBB112_728
; %bb.727:
	v_ashrrev_i32_e32 v121, 31, v120
	s_delay_alu instid0(VALU_DEP_1)
	v_lshl_add_u64 v[128:129], v[120:121], 2, v[4:5]
	s_clause 0x1
	global_load_b32 v121, v[128:129], off
	global_load_b32 v127, v[4:5], off offset:136
	s_wait_loadcnt 0x1
	global_store_b32 v[4:5], v121, off offset:136
	s_wait_loadcnt 0x0
	global_store_b32 v[128:129], v127, off
.LBB112_728:
	s_wait_xcnt 0x0
	s_or_b32 exec_lo, exec_lo, s12
	v_dual_mov_b32 v128, v120 :: v_dual_mov_b32 v127, v120
.LBB112_729:
	s_or_b32 exec_lo, exec_lo, s1
.LBB112_730:
	s_and_not1_saveexec_b32 s0, s0
	s_cbranch_execz .LBB112_732
; %bb.731:
	v_mov_b32_e32 v128, 34
	ds_store_2addr_b64 v124, v[46:47], v[44:45] offset0:35 offset1:36
	ds_store_2addr_b64 v124, v[40:41], v[42:43] offset0:37 offset1:38
	;; [unrolled: 1-line block ×11, first 2 shown]
.LBB112_732:
	s_or_b32 exec_lo, exec_lo, s0
	s_delay_alu instid0(SALU_CYCLE_1)
	s_mov_b32 s0, exec_lo
	s_wait_storecnt_dscnt 0x0
	s_barrier_signal -1
	s_barrier_wait -1
	v_cmpx_lt_i32_e32 34, v128
	s_cbranch_execz .LBB112_734
; %bb.733:
	v_pk_mul_f32 v[130:131], v[122:123], v[50:51] op_sel:[1,1] op_sel_hi:[0,1]
	s_delay_alu instid0(VALU_DEP_1)
	v_pk_fma_f32 v[120:121], v[122:123], v[50:51], v[130:131] op_sel_hi:[1,0,1] neg_lo:[0,0,1] neg_hi:[0,0,1]
	v_pk_fma_f32 v[122:123], v[122:123], v[50:51], v[130:131] op_sel_hi:[1,0,1]
	ds_load_2addr_b64 v[130:133], v124 offset0:35 offset1:36
	v_dual_mov_b32 v50, v120 :: v_dual_mov_b32 v51, v123
	s_wait_dscnt 0x0
	v_pk_mul_f32 v[134:135], v[130:131], v[122:123] op_sel:[0,1]
	s_delay_alu instid0(VALU_DEP_1) | instskip(SKIP_1) | instid1(VALU_DEP_1)
	v_pk_fma_f32 v[136:137], v[130:131], v[120:121], v[134:135] op_sel:[0,0,1] op_sel_hi:[1,1,0] neg_lo:[0,0,1] neg_hi:[0,0,1]
	v_pk_fma_f32 v[130:131], v[130:131], v[120:121], v[134:135] op_sel:[0,0,1] op_sel_hi:[1,0,0]
	v_mov_b32_e32 v137, v131
	v_pk_mul_f32 v[130:131], v[132:133], v[122:123] op_sel:[0,1]
	s_delay_alu instid0(VALU_DEP_1) | instskip(SKIP_1) | instid1(VALU_DEP_1)
	v_pk_fma_f32 v[134:135], v[132:133], v[120:121], v[130:131] op_sel:[0,0,1] op_sel_hi:[1,1,0] neg_lo:[0,0,1] neg_hi:[0,0,1]
	v_pk_fma_f32 v[130:131], v[132:133], v[120:121], v[130:131] op_sel:[0,0,1] op_sel_hi:[1,0,0]
	v_mov_b32_e32 v135, v131
	ds_load_2addr_b64 v[130:133], v124 offset0:37 offset1:38
	v_pk_add_f32 v[46:47], v[46:47], v[136:137] neg_lo:[0,1] neg_hi:[0,1]
	v_pk_add_f32 v[44:45], v[44:45], v[134:135] neg_lo:[0,1] neg_hi:[0,1]
	s_wait_dscnt 0x0
	v_pk_mul_f32 v[134:135], v[130:131], v[122:123] op_sel:[0,1]
	s_delay_alu instid0(VALU_DEP_1) | instskip(SKIP_2) | instid1(VALU_DEP_2)
	v_pk_fma_f32 v[136:137], v[130:131], v[120:121], v[134:135] op_sel:[0,0,1] op_sel_hi:[1,1,0] neg_lo:[0,0,1] neg_hi:[0,0,1]
	v_pk_fma_f32 v[130:131], v[130:131], v[120:121], v[134:135] op_sel:[0,0,1] op_sel_hi:[1,0,0]
	v_dual_mul_f32 v134, v133, v123 :: v_dual_mov_b32 v130, v133
	v_dual_mov_b32 v137, v131 :: v_dual_mov_b32 v131, v132
	s_delay_alu instid0(VALU_DEP_2) | instskip(SKIP_1) | instid1(VALU_DEP_3)
	v_pk_fma_f32 v[134:135], v[132:133], v[50:51], v[134:135] op_sel_hi:[1,1,0] neg_lo:[0,0,1] neg_hi:[0,0,1]
	v_mul_f32_e32 v132, v133, v120
	v_pk_add_f32 v[40:41], v[40:41], v[136:137] neg_lo:[0,1] neg_hi:[0,1]
	s_delay_alu instid0(VALU_DEP_2) | instskip(NEXT) | instid1(VALU_DEP_1)
	v_pk_fma_f32 v[130:131], v[130:131], v[50:51], v[132:133] op_sel_hi:[1,1,0]
	v_mov_b32_e32 v135, v131
	ds_load_2addr_b64 v[130:133], v124 offset0:39 offset1:40
	v_pk_add_f32 v[42:43], v[42:43], v[134:135] neg_lo:[0,1] neg_hi:[0,1]
	s_wait_dscnt 0x0
	v_pk_mul_f32 v[134:135], v[130:131], v[122:123] op_sel:[0,1]
	s_delay_alu instid0(VALU_DEP_1) | instskip(SKIP_1) | instid1(VALU_DEP_1)
	v_pk_fma_f32 v[136:137], v[130:131], v[120:121], v[134:135] op_sel:[0,0,1] op_sel_hi:[1,1,0] neg_lo:[0,0,1] neg_hi:[0,0,1]
	v_pk_fma_f32 v[130:131], v[130:131], v[120:121], v[134:135] op_sel:[0,0,1] op_sel_hi:[1,0,0]
	v_mov_b32_e32 v137, v131
	v_pk_mul_f32 v[130:131], v[132:133], v[122:123] op_sel:[0,1]
	s_delay_alu instid0(VALU_DEP_1) | instskip(SKIP_1) | instid1(VALU_DEP_1)
	v_pk_fma_f32 v[134:135], v[132:133], v[120:121], v[130:131] op_sel:[0,0,1] op_sel_hi:[1,1,0] neg_lo:[0,0,1] neg_hi:[0,0,1]
	v_pk_fma_f32 v[130:131], v[132:133], v[120:121], v[130:131] op_sel:[0,0,1] op_sel_hi:[1,0,0]
	v_mov_b32_e32 v135, v131
	ds_load_2addr_b64 v[130:133], v124 offset0:41 offset1:42
	v_pk_add_f32 v[38:39], v[38:39], v[136:137] neg_lo:[0,1] neg_hi:[0,1]
	v_pk_add_f32 v[36:37], v[36:37], v[134:135] neg_lo:[0,1] neg_hi:[0,1]
	s_wait_dscnt 0x0
	v_pk_mul_f32 v[134:135], v[130:131], v[122:123] op_sel:[0,1]
	s_delay_alu instid0(VALU_DEP_1) | instskip(SKIP_1) | instid1(VALU_DEP_1)
	v_pk_fma_f32 v[136:137], v[130:131], v[120:121], v[134:135] op_sel:[0,0,1] op_sel_hi:[1,1,0] neg_lo:[0,0,1] neg_hi:[0,0,1]
	v_pk_fma_f32 v[130:131], v[130:131], v[120:121], v[134:135] op_sel:[0,0,1] op_sel_hi:[1,0,0]
	v_mov_b32_e32 v137, v131
	v_pk_mul_f32 v[130:131], v[132:133], v[122:123] op_sel:[0,1]
	s_delay_alu instid0(VALU_DEP_1) | instskip(SKIP_1) | instid1(VALU_DEP_1)
	v_pk_fma_f32 v[134:135], v[132:133], v[120:121], v[130:131] op_sel:[0,0,1] op_sel_hi:[1,1,0] neg_lo:[0,0,1] neg_hi:[0,0,1]
	v_pk_fma_f32 v[130:131], v[132:133], v[120:121], v[130:131] op_sel:[0,0,1] op_sel_hi:[1,0,0]
	v_mov_b32_e32 v135, v131
	ds_load_2addr_b64 v[130:133], v124 offset0:43 offset1:44
	v_pk_add_f32 v[32:33], v[32:33], v[136:137] neg_lo:[0,1] neg_hi:[0,1]
	v_pk_add_f32 v[34:35], v[34:35], v[134:135] neg_lo:[0,1] neg_hi:[0,1]
	s_wait_dscnt 0x0
	v_dual_mul_f32 v134, v131, v123 :: v_dual_mul_f32 v136, v131, v120
	s_delay_alu instid0(VALU_DEP_1) | instskip(NEXT) | instid1(VALU_DEP_2)
	v_pk_fma_f32 v[134:135], v[130:131], v[50:51], v[134:135] op_sel_hi:[1,1,0] neg_lo:[0,0,1] neg_hi:[0,0,1]
	v_pk_fma_f32 v[130:131], v[130:131], v[50:51], v[136:137] op_sel:[1,0,0] op_sel_hi:[0,1,0]
	s_delay_alu instid0(VALU_DEP_1) | instskip(SKIP_1) | instid1(VALU_DEP_2)
	v_mov_b32_e32 v135, v131
	v_pk_mul_f32 v[130:131], v[132:133], v[122:123] op_sel:[0,1]
	v_pk_add_f32 v[30:31], v[30:31], v[134:135] neg_lo:[0,1] neg_hi:[0,1]
	s_delay_alu instid0(VALU_DEP_2) | instskip(SKIP_1) | instid1(VALU_DEP_1)
	v_pk_fma_f32 v[134:135], v[132:133], v[120:121], v[130:131] op_sel:[0,0,1] op_sel_hi:[1,1,0] neg_lo:[0,0,1] neg_hi:[0,0,1]
	v_pk_fma_f32 v[130:131], v[132:133], v[120:121], v[130:131] op_sel:[0,0,1] op_sel_hi:[1,0,0]
	v_mov_b32_e32 v135, v131
	ds_load_2addr_b64 v[130:133], v124 offset0:45 offset1:46
	v_pk_add_f32 v[26:27], v[26:27], v[134:135] neg_lo:[0,1] neg_hi:[0,1]
	s_wait_dscnt 0x0
	v_pk_mul_f32 v[134:135], v[130:131], v[122:123] op_sel:[0,1]
	s_delay_alu instid0(VALU_DEP_1) | instskip(SKIP_1) | instid1(VALU_DEP_1)
	v_pk_fma_f32 v[136:137], v[130:131], v[120:121], v[134:135] op_sel:[0,0,1] op_sel_hi:[1,1,0] neg_lo:[0,0,1] neg_hi:[0,0,1]
	v_pk_fma_f32 v[130:131], v[130:131], v[120:121], v[134:135] op_sel:[0,0,1] op_sel_hi:[1,0,0]
	v_mov_b32_e32 v137, v131
	v_pk_mul_f32 v[130:131], v[132:133], v[122:123] op_sel:[0,1]
	s_delay_alu instid0(VALU_DEP_2) | instskip(NEXT) | instid1(VALU_DEP_2)
	v_pk_add_f32 v[22:23], v[22:23], v[136:137] neg_lo:[0,1] neg_hi:[0,1]
	v_pk_fma_f32 v[134:135], v[132:133], v[120:121], v[130:131] op_sel:[0,0,1] op_sel_hi:[1,1,0] neg_lo:[0,0,1] neg_hi:[0,0,1]
	v_pk_fma_f32 v[130:131], v[132:133], v[120:121], v[130:131] op_sel:[0,0,1] op_sel_hi:[1,0,0]
	s_delay_alu instid0(VALU_DEP_1) | instskip(SKIP_4) | instid1(VALU_DEP_1)
	v_mov_b32_e32 v135, v131
	ds_load_2addr_b64 v[130:133], v124 offset0:47 offset1:48
	v_pk_add_f32 v[24:25], v[24:25], v[134:135] neg_lo:[0,1] neg_hi:[0,1]
	s_wait_dscnt 0x0
	v_pk_mul_f32 v[134:135], v[130:131], v[122:123] op_sel:[0,1]
	v_pk_fma_f32 v[136:137], v[130:131], v[120:121], v[134:135] op_sel:[0,0,1] op_sel_hi:[1,1,0] neg_lo:[0,0,1] neg_hi:[0,0,1]
	v_pk_fma_f32 v[130:131], v[130:131], v[120:121], v[134:135] op_sel:[0,0,1] op_sel_hi:[1,0,0]
	v_dual_mul_f32 v134, v133, v123 :: v_dual_mov_b32 v130, v133
	s_delay_alu instid0(VALU_DEP_2) | instskip(NEXT) | instid1(VALU_DEP_2)
	v_dual_mov_b32 v137, v131 :: v_dual_mov_b32 v131, v132
	v_pk_fma_f32 v[134:135], v[132:133], v[50:51], v[134:135] op_sel_hi:[1,1,0] neg_lo:[0,0,1] neg_hi:[0,0,1]
	v_mul_f32_e32 v132, v133, v120
	s_delay_alu instid0(VALU_DEP_3) | instskip(NEXT) | instid1(VALU_DEP_2)
	v_pk_add_f32 v[20:21], v[20:21], v[136:137] neg_lo:[0,1] neg_hi:[0,1]
	v_pk_fma_f32 v[130:131], v[130:131], v[50:51], v[132:133] op_sel_hi:[1,1,0]
	s_delay_alu instid0(VALU_DEP_1) | instskip(SKIP_4) | instid1(VALU_DEP_1)
	v_mov_b32_e32 v135, v131
	ds_load_2addr_b64 v[130:133], v124 offset0:49 offset1:50
	v_pk_add_f32 v[14:15], v[14:15], v[134:135] neg_lo:[0,1] neg_hi:[0,1]
	s_wait_dscnt 0x0
	v_pk_mul_f32 v[134:135], v[130:131], v[122:123] op_sel:[0,1]
	v_pk_fma_f32 v[136:137], v[130:131], v[120:121], v[134:135] op_sel:[0,0,1] op_sel_hi:[1,1,0] neg_lo:[0,0,1] neg_hi:[0,0,1]
	v_pk_fma_f32 v[130:131], v[130:131], v[120:121], v[134:135] op_sel:[0,0,1] op_sel_hi:[1,0,0]
	s_delay_alu instid0(VALU_DEP_1) | instskip(SKIP_1) | instid1(VALU_DEP_1)
	v_mov_b32_e32 v137, v131
	v_pk_mul_f32 v[130:131], v[132:133], v[122:123] op_sel:[0,1]
	v_pk_fma_f32 v[134:135], v[132:133], v[120:121], v[130:131] op_sel:[0,0,1] op_sel_hi:[1,1,0] neg_lo:[0,0,1] neg_hi:[0,0,1]
	v_pk_fma_f32 v[130:131], v[132:133], v[120:121], v[130:131] op_sel:[0,0,1] op_sel_hi:[1,0,0]
	s_delay_alu instid0(VALU_DEP_1)
	v_mov_b32_e32 v135, v131
	ds_load_2addr_b64 v[130:133], v124 offset0:51 offset1:52
	v_pk_add_f32 v[10:11], v[10:11], v[136:137] neg_lo:[0,1] neg_hi:[0,1]
	v_pk_add_f32 v[12:13], v[12:13], v[134:135] neg_lo:[0,1] neg_hi:[0,1]
	s_wait_dscnt 0x0
	v_pk_mul_f32 v[134:135], v[130:131], v[122:123] op_sel:[0,1]
	s_delay_alu instid0(VALU_DEP_1) | instskip(SKIP_1) | instid1(VALU_DEP_1)
	v_pk_fma_f32 v[136:137], v[130:131], v[120:121], v[134:135] op_sel:[0,0,1] op_sel_hi:[1,1,0] neg_lo:[0,0,1] neg_hi:[0,0,1]
	v_pk_fma_f32 v[130:131], v[130:131], v[120:121], v[134:135] op_sel:[0,0,1] op_sel_hi:[1,0,0]
	v_mov_b32_e32 v137, v131
	v_pk_mul_f32 v[130:131], v[132:133], v[122:123] op_sel:[0,1]
	s_delay_alu instid0(VALU_DEP_1) | instskip(SKIP_1) | instid1(VALU_DEP_1)
	v_pk_fma_f32 v[134:135], v[132:133], v[120:121], v[130:131] op_sel:[0,0,1] op_sel_hi:[1,1,0] neg_lo:[0,0,1] neg_hi:[0,0,1]
	v_pk_fma_f32 v[130:131], v[132:133], v[120:121], v[130:131] op_sel:[0,0,1] op_sel_hi:[1,0,0]
	v_mov_b32_e32 v135, v131
	ds_load_2addr_b64 v[130:133], v124 offset0:53 offset1:54
	v_pk_add_f32 v[8:9], v[8:9], v[136:137] neg_lo:[0,1] neg_hi:[0,1]
	v_pk_add_f32 v[6:7], v[6:7], v[134:135] neg_lo:[0,1] neg_hi:[0,1]
	s_wait_dscnt 0x0
	v_dual_mul_f32 v134, v131, v123 :: v_dual_mul_f32 v136, v131, v120
	s_delay_alu instid0(VALU_DEP_1) | instskip(NEXT) | instid1(VALU_DEP_2)
	v_pk_fma_f32 v[134:135], v[130:131], v[50:51], v[134:135] op_sel_hi:[1,1,0] neg_lo:[0,0,1] neg_hi:[0,0,1]
	v_pk_fma_f32 v[130:131], v[130:131], v[50:51], v[136:137] op_sel:[1,0,0] op_sel_hi:[0,1,0]
	s_delay_alu instid0(VALU_DEP_1) | instskip(SKIP_1) | instid1(VALU_DEP_2)
	v_mov_b32_e32 v135, v131
	v_pk_mul_f32 v[130:131], v[132:133], v[122:123] op_sel:[0,1]
	v_pk_add_f32 v[28:29], v[28:29], v[134:135] neg_lo:[0,1] neg_hi:[0,1]
	s_delay_alu instid0(VALU_DEP_2) | instskip(SKIP_1) | instid1(VALU_DEP_1)
	v_pk_fma_f32 v[134:135], v[132:133], v[120:121], v[130:131] op_sel:[0,0,1] op_sel_hi:[1,1,0] neg_lo:[0,0,1] neg_hi:[0,0,1]
	v_pk_fma_f32 v[130:131], v[132:133], v[120:121], v[130:131] op_sel:[0,0,1] op_sel_hi:[1,0,0]
	v_mov_b32_e32 v135, v131
	ds_load_2addr_b64 v[130:133], v124 offset0:55 offset1:56
	v_pk_add_f32 v[18:19], v[18:19], v[134:135] neg_lo:[0,1] neg_hi:[0,1]
	s_wait_dscnt 0x0
	v_pk_mul_f32 v[134:135], v[130:131], v[122:123] op_sel:[0,1]
	v_pk_mul_f32 v[122:123], v[132:133], v[122:123] op_sel:[0,1]
	s_delay_alu instid0(VALU_DEP_2) | instskip(SKIP_1) | instid1(VALU_DEP_1)
	v_pk_fma_f32 v[136:137], v[130:131], v[120:121], v[134:135] op_sel:[0,0,1] op_sel_hi:[1,1,0] neg_lo:[0,0,1] neg_hi:[0,0,1]
	v_pk_fma_f32 v[130:131], v[130:131], v[120:121], v[134:135] op_sel:[0,0,1] op_sel_hi:[1,0,0]
	v_mov_b32_e32 v137, v131
	s_delay_alu instid0(VALU_DEP_4) | instskip(SKIP_1) | instid1(VALU_DEP_3)
	v_pk_fma_f32 v[130:131], v[132:133], v[120:121], v[122:123] op_sel:[0,0,1] op_sel_hi:[1,1,0] neg_lo:[0,0,1] neg_hi:[0,0,1]
	v_pk_fma_f32 v[120:121], v[132:133], v[120:121], v[122:123] op_sel:[0,0,1] op_sel_hi:[1,0,0]
	v_pk_add_f32 v[16:17], v[16:17], v[136:137] neg_lo:[0,1] neg_hi:[0,1]
	s_delay_alu instid0(VALU_DEP_2) | instskip(NEXT) | instid1(VALU_DEP_1)
	v_mov_b32_e32 v131, v121
	v_pk_add_f32 v[118:119], v[118:119], v[130:131] neg_lo:[0,1] neg_hi:[0,1]
.LBB112_734:
	s_or_b32 exec_lo, exec_lo, s0
	v_lshl_add_u32 v120, v128, 3, v124
	s_barrier_signal -1
	s_barrier_wait -1
	ds_store_b64 v120, v[46:47]
	s_wait_dscnt 0x0
	s_barrier_signal -1
	s_barrier_wait -1
	ds_load_b64 v[122:123], v124 offset:280
	v_mov_b32_e32 v120, 35
	s_cmp_lt_i32 s18, 37
	s_cbranch_scc1 .LBB112_737
; %bb.735:
	v_add3_u32 v121, v125, 0, 0x120
	v_mov_b32_e32 v120, 35
	s_mov_b32 s0, 36
.LBB112_736:                            ; =>This Inner Loop Header: Depth=1
	ds_load_b64 v[130:131], v121
	s_wait_dscnt 0x1
	v_cmp_gt_f32_e32 vcc_lo, 0, v122
	v_cndmask_b32_e64 v132, v122, -v122, vcc_lo
	v_cmp_gt_f32_e32 vcc_lo, 0, v123
	v_cndmask_b32_e64 v134, v123, -v123, vcc_lo
	s_wait_dscnt 0x0
	v_cmp_gt_f32_e32 vcc_lo, 0, v130
	v_cndmask_b32_e64 v133, v130, -v130, vcc_lo
	v_cmp_gt_f32_e32 vcc_lo, 0, v131
	v_cndmask_b32_e64 v135, v131, -v131, vcc_lo
	s_delay_alu instid0(VALU_DEP_1) | instskip(NEXT) | instid1(VALU_DEP_1)
	v_pk_add_f32 v[132:133], v[132:133], v[134:135]
	v_cmp_lt_f32_e32 vcc_lo, v132, v133
	v_dual_add_nc_u32 v121, 8, v121 :: v_dual_cndmask_b32 v123, v123, v131, vcc_lo
	v_cndmask_b32_e32 v122, v122, v130, vcc_lo
	v_cndmask_b32_e64 v120, v120, s0, vcc_lo
	s_add_co_i32 s0, s0, 1
	s_delay_alu instid0(SALU_CYCLE_1)
	s_cmp_lg_u32 s18, s0
	s_cbranch_scc1 .LBB112_736
.LBB112_737:
	s_wait_dscnt 0x0
	v_cmp_eq_f32_e32 vcc_lo, 0, v122
	v_cmp_eq_f32_e64 s0, 0, v123
	s_and_b32 s0, vcc_lo, s0
	s_delay_alu instid0(SALU_CYCLE_1) | instskip(NEXT) | instid1(SALU_CYCLE_1)
	s_and_saveexec_b32 s1, s0
	s_xor_b32 s0, exec_lo, s1
; %bb.738:
	v_cmp_ne_u32_e32 vcc_lo, 0, v126
	v_cndmask_b32_e32 v126, 36, v126, vcc_lo
; %bb.739:
	s_and_not1_saveexec_b32 s0, s0
	s_cbranch_execz .LBB112_745
; %bb.740:
	v_cmp_ngt_f32_e64 s1, |v122|, |v123|
	s_and_saveexec_b32 s12, s1
	s_delay_alu instid0(SALU_CYCLE_1)
	s_xor_b32 s1, exec_lo, s12
	s_cbranch_execz .LBB112_742
; %bb.741:
	v_div_scale_f32 v121, null, v123, v123, v122
	v_div_scale_f32 v131, vcc_lo, v122, v123, v122
	s_delay_alu instid0(VALU_DEP_2) | instskip(SKIP_1) | instid1(TRANS32_DEP_1)
	v_rcp_f32_e32 v129, v121
	v_nop
	v_fma_f32 v130, -v121, v129, 1.0
	s_delay_alu instid0(VALU_DEP_1) | instskip(NEXT) | instid1(VALU_DEP_1)
	v_fmac_f32_e32 v129, v130, v129
	v_mul_f32_e32 v130, v131, v129
	s_delay_alu instid0(VALU_DEP_1) | instskip(NEXT) | instid1(VALU_DEP_1)
	v_fma_f32 v132, -v121, v130, v131
	v_fmac_f32_e32 v130, v132, v129
	s_delay_alu instid0(VALU_DEP_1) | instskip(NEXT) | instid1(VALU_DEP_1)
	v_fma_f32 v121, -v121, v130, v131
	v_div_fmas_f32 v121, v121, v129, v130
	s_delay_alu instid0(VALU_DEP_1) | instskip(NEXT) | instid1(VALU_DEP_1)
	v_div_fixup_f32 v121, v121, v123, v122
	v_fmac_f32_e32 v123, v122, v121
	s_delay_alu instid0(VALU_DEP_1) | instskip(SKIP_1) | instid1(VALU_DEP_2)
	v_div_scale_f32 v122, null, v123, v123, 1.0
	v_div_scale_f32 v131, vcc_lo, 1.0, v123, 1.0
	v_rcp_f32_e32 v129, v122
	v_nop
	s_delay_alu instid0(TRANS32_DEP_1) | instskip(NEXT) | instid1(VALU_DEP_1)
	v_fma_f32 v130, -v122, v129, 1.0
	v_fmac_f32_e32 v129, v130, v129
	s_delay_alu instid0(VALU_DEP_1) | instskip(NEXT) | instid1(VALU_DEP_1)
	v_mul_f32_e32 v130, v131, v129
	v_fma_f32 v132, -v122, v130, v131
	s_delay_alu instid0(VALU_DEP_1) | instskip(NEXT) | instid1(VALU_DEP_1)
	v_fmac_f32_e32 v130, v132, v129
	v_fma_f32 v122, -v122, v130, v131
	s_delay_alu instid0(VALU_DEP_1) | instskip(NEXT) | instid1(VALU_DEP_1)
	v_div_fmas_f32 v122, v122, v129, v130
	v_div_fixup_f32 v123, v122, v123, 1.0
	s_delay_alu instid0(VALU_DEP_1)
	v_mul_f32_e32 v122, v121, v123
	v_xor_b32_e32 v123, 0x80000000, v123
.LBB112_742:
	s_and_not1_saveexec_b32 s1, s1
	s_cbranch_execz .LBB112_744
; %bb.743:
	s_delay_alu instid0(VALU_DEP_1) | instskip(SKIP_1) | instid1(VALU_DEP_2)
	v_div_scale_f32 v121, null, v122, v122, v123
	v_div_scale_f32 v131, vcc_lo, v123, v122, v123
	v_rcp_f32_e32 v129, v121
	v_nop
	s_delay_alu instid0(TRANS32_DEP_1) | instskip(NEXT) | instid1(VALU_DEP_1)
	v_fma_f32 v130, -v121, v129, 1.0
	v_fmac_f32_e32 v129, v130, v129
	s_delay_alu instid0(VALU_DEP_1) | instskip(NEXT) | instid1(VALU_DEP_1)
	v_mul_f32_e32 v130, v131, v129
	v_fma_f32 v132, -v121, v130, v131
	s_delay_alu instid0(VALU_DEP_1) | instskip(NEXT) | instid1(VALU_DEP_1)
	v_fmac_f32_e32 v130, v132, v129
	v_fma_f32 v121, -v121, v130, v131
	s_delay_alu instid0(VALU_DEP_1) | instskip(NEXT) | instid1(VALU_DEP_1)
	v_div_fmas_f32 v121, v121, v129, v130
	v_div_fixup_f32 v121, v121, v122, v123
	s_delay_alu instid0(VALU_DEP_1) | instskip(NEXT) | instid1(VALU_DEP_1)
	v_fmac_f32_e32 v122, v123, v121
	v_div_scale_f32 v123, null, v122, v122, 1.0
	s_delay_alu instid0(VALU_DEP_1) | instskip(SKIP_1) | instid1(TRANS32_DEP_1)
	v_rcp_f32_e32 v129, v123
	v_nop
	v_fma_f32 v130, -v123, v129, 1.0
	s_delay_alu instid0(VALU_DEP_1) | instskip(SKIP_1) | instid1(VALU_DEP_1)
	v_fmac_f32_e32 v129, v130, v129
	v_div_scale_f32 v130, vcc_lo, 1.0, v122, 1.0
	v_mul_f32_e32 v131, v130, v129
	s_delay_alu instid0(VALU_DEP_1) | instskip(NEXT) | instid1(VALU_DEP_1)
	v_fma_f32 v132, -v123, v131, v130
	v_fmac_f32_e32 v131, v132, v129
	s_delay_alu instid0(VALU_DEP_1) | instskip(NEXT) | instid1(VALU_DEP_1)
	v_fma_f32 v123, -v123, v131, v130
	v_div_fmas_f32 v123, v123, v129, v131
	s_delay_alu instid0(VALU_DEP_1) | instskip(NEXT) | instid1(VALU_DEP_1)
	v_div_fixup_f32 v122, v123, v122, 1.0
	v_mul_f32_e64 v123, v121, -v122
.LBB112_744:
	s_or_b32 exec_lo, exec_lo, s1
.LBB112_745:
	s_delay_alu instid0(SALU_CYCLE_1) | instskip(NEXT) | instid1(SALU_CYCLE_1)
	s_or_b32 exec_lo, exec_lo, s0
	s_mov_b32 s0, exec_lo
	v_cmpx_ne_u32_e64 v128, v120
	s_xor_b32 s0, exec_lo, s0
	s_cbranch_execz .LBB112_751
; %bb.746:
	s_mov_b32 s1, exec_lo
	v_cmpx_eq_u32_e32 35, v128
	s_cbranch_execz .LBB112_750
; %bb.747:
	v_cmp_ne_u32_e32 vcc_lo, 35, v120
	s_xor_b32 s12, s16, -1
	s_delay_alu instid0(SALU_CYCLE_1) | instskip(NEXT) | instid1(SALU_CYCLE_1)
	s_and_b32 s13, s12, vcc_lo
	s_and_saveexec_b32 s12, s13
	s_cbranch_execz .LBB112_749
; %bb.748:
	v_ashrrev_i32_e32 v121, 31, v120
	s_delay_alu instid0(VALU_DEP_1)
	v_lshl_add_u64 v[128:129], v[120:121], 2, v[4:5]
	s_clause 0x1
	global_load_b32 v121, v[128:129], off
	global_load_b32 v127, v[4:5], off offset:140
	s_wait_loadcnt 0x1
	global_store_b32 v[4:5], v121, off offset:140
	s_wait_loadcnt 0x0
	global_store_b32 v[128:129], v127, off
.LBB112_749:
	s_wait_xcnt 0x0
	s_or_b32 exec_lo, exec_lo, s12
	v_dual_mov_b32 v128, v120 :: v_dual_mov_b32 v127, v120
.LBB112_750:
	s_or_b32 exec_lo, exec_lo, s1
.LBB112_751:
	s_and_not1_saveexec_b32 s0, s0
	s_cbranch_execz .LBB112_753
; %bb.752:
	v_dual_mov_b32 v120, v44 :: v_dual_mov_b32 v121, v45
	v_dual_mov_b32 v128, v40 :: v_dual_mov_b32 v129, v41
	ds_store_2addr_b64 v124, v[120:121], v[128:129] offset0:36 offset1:37
	v_dual_mov_b32 v120, v42 :: v_dual_mov_b32 v121, v43
	v_dual_mov_b32 v128, v38 :: v_dual_mov_b32 v129, v39
	ds_store_2addr_b64 v124, v[120:121], v[128:129] offset0:38 offset1:39
	;; [unrolled: 3-line block ×10, first 2 shown]
	ds_store_b64 v124, v[118:119] offset:448
	v_mov_b32_e32 v128, 35
.LBB112_753:
	s_or_b32 exec_lo, exec_lo, s0
	s_delay_alu instid0(SALU_CYCLE_1)
	s_mov_b32 s0, exec_lo
	s_wait_storecnt_dscnt 0x0
	s_barrier_signal -1
	s_barrier_wait -1
	v_cmpx_lt_i32_e32 35, v128
	s_cbranch_execz .LBB112_755
; %bb.754:
	v_pk_mul_f32 v[130:131], v[122:123], v[46:47] op_sel:[1,1] op_sel_hi:[0,1]
	s_delay_alu instid0(VALU_DEP_1)
	v_pk_fma_f32 v[120:121], v[122:123], v[46:47], v[130:131] op_sel_hi:[1,0,1] neg_lo:[0,0,1] neg_hi:[0,0,1]
	v_pk_fma_f32 v[122:123], v[122:123], v[46:47], v[130:131] op_sel_hi:[1,0,1]
	ds_load_2addr_b64 v[130:133], v124 offset0:36 offset1:37
	v_dual_mov_b32 v46, v120 :: v_dual_mov_b32 v47, v123
	s_wait_dscnt 0x0
	v_pk_mul_f32 v[134:135], v[130:131], v[122:123] op_sel:[0,1]
	s_delay_alu instid0(VALU_DEP_1) | instskip(SKIP_1) | instid1(VALU_DEP_1)
	v_pk_fma_f32 v[136:137], v[130:131], v[120:121], v[134:135] op_sel:[0,0,1] op_sel_hi:[1,1,0] neg_lo:[0,0,1] neg_hi:[0,0,1]
	v_pk_fma_f32 v[130:131], v[130:131], v[120:121], v[134:135] op_sel:[0,0,1] op_sel_hi:[1,0,0]
	v_mov_b32_e32 v137, v131
	v_pk_mul_f32 v[130:131], v[132:133], v[122:123] op_sel:[0,1]
	s_delay_alu instid0(VALU_DEP_1) | instskip(SKIP_1) | instid1(VALU_DEP_1)
	v_pk_fma_f32 v[134:135], v[132:133], v[120:121], v[130:131] op_sel:[0,0,1] op_sel_hi:[1,1,0] neg_lo:[0,0,1] neg_hi:[0,0,1]
	v_pk_fma_f32 v[130:131], v[132:133], v[120:121], v[130:131] op_sel:[0,0,1] op_sel_hi:[1,0,0]
	v_mov_b32_e32 v135, v131
	ds_load_2addr_b64 v[130:133], v124 offset0:38 offset1:39
	v_pk_add_f32 v[44:45], v[44:45], v[136:137] neg_lo:[0,1] neg_hi:[0,1]
	v_pk_add_f32 v[40:41], v[40:41], v[134:135] neg_lo:[0,1] neg_hi:[0,1]
	s_wait_dscnt 0x0
	v_pk_mul_f32 v[134:135], v[130:131], v[122:123] op_sel:[0,1]
	s_delay_alu instid0(VALU_DEP_1) | instskip(SKIP_2) | instid1(VALU_DEP_2)
	v_pk_fma_f32 v[136:137], v[130:131], v[120:121], v[134:135] op_sel:[0,0,1] op_sel_hi:[1,1,0] neg_lo:[0,0,1] neg_hi:[0,0,1]
	v_pk_fma_f32 v[130:131], v[130:131], v[120:121], v[134:135] op_sel:[0,0,1] op_sel_hi:[1,0,0]
	v_dual_mul_f32 v134, v133, v123 :: v_dual_mov_b32 v130, v133
	v_dual_mov_b32 v137, v131 :: v_dual_mov_b32 v131, v132
	s_delay_alu instid0(VALU_DEP_2) | instskip(SKIP_1) | instid1(VALU_DEP_3)
	v_pk_fma_f32 v[134:135], v[132:133], v[46:47], v[134:135] op_sel_hi:[1,1,0] neg_lo:[0,0,1] neg_hi:[0,0,1]
	v_mul_f32_e32 v132, v133, v120
	v_pk_add_f32 v[42:43], v[42:43], v[136:137] neg_lo:[0,1] neg_hi:[0,1]
	s_delay_alu instid0(VALU_DEP_2) | instskip(NEXT) | instid1(VALU_DEP_1)
	v_pk_fma_f32 v[130:131], v[130:131], v[46:47], v[132:133] op_sel_hi:[1,1,0]
	v_mov_b32_e32 v135, v131
	ds_load_2addr_b64 v[130:133], v124 offset0:40 offset1:41
	v_pk_add_f32 v[38:39], v[38:39], v[134:135] neg_lo:[0,1] neg_hi:[0,1]
	s_wait_dscnt 0x0
	v_pk_mul_f32 v[134:135], v[130:131], v[122:123] op_sel:[0,1]
	s_delay_alu instid0(VALU_DEP_1) | instskip(SKIP_1) | instid1(VALU_DEP_1)
	v_pk_fma_f32 v[136:137], v[130:131], v[120:121], v[134:135] op_sel:[0,0,1] op_sel_hi:[1,1,0] neg_lo:[0,0,1] neg_hi:[0,0,1]
	v_pk_fma_f32 v[130:131], v[130:131], v[120:121], v[134:135] op_sel:[0,0,1] op_sel_hi:[1,0,0]
	v_mov_b32_e32 v137, v131
	v_pk_mul_f32 v[130:131], v[132:133], v[122:123] op_sel:[0,1]
	s_delay_alu instid0(VALU_DEP_1) | instskip(SKIP_1) | instid1(VALU_DEP_1)
	v_pk_fma_f32 v[134:135], v[132:133], v[120:121], v[130:131] op_sel:[0,0,1] op_sel_hi:[1,1,0] neg_lo:[0,0,1] neg_hi:[0,0,1]
	v_pk_fma_f32 v[130:131], v[132:133], v[120:121], v[130:131] op_sel:[0,0,1] op_sel_hi:[1,0,0]
	v_mov_b32_e32 v135, v131
	ds_load_2addr_b64 v[130:133], v124 offset0:42 offset1:43
	v_pk_add_f32 v[36:37], v[36:37], v[136:137] neg_lo:[0,1] neg_hi:[0,1]
	v_pk_add_f32 v[32:33], v[32:33], v[134:135] neg_lo:[0,1] neg_hi:[0,1]
	s_wait_dscnt 0x0
	v_pk_mul_f32 v[134:135], v[130:131], v[122:123] op_sel:[0,1]
	s_delay_alu instid0(VALU_DEP_1) | instskip(SKIP_1) | instid1(VALU_DEP_1)
	v_pk_fma_f32 v[136:137], v[130:131], v[120:121], v[134:135] op_sel:[0,0,1] op_sel_hi:[1,1,0] neg_lo:[0,0,1] neg_hi:[0,0,1]
	v_pk_fma_f32 v[130:131], v[130:131], v[120:121], v[134:135] op_sel:[0,0,1] op_sel_hi:[1,0,0]
	v_mov_b32_e32 v137, v131
	v_pk_mul_f32 v[130:131], v[132:133], v[122:123] op_sel:[0,1]
	s_delay_alu instid0(VALU_DEP_1) | instskip(SKIP_1) | instid1(VALU_DEP_1)
	v_pk_fma_f32 v[134:135], v[132:133], v[120:121], v[130:131] op_sel:[0,0,1] op_sel_hi:[1,1,0] neg_lo:[0,0,1] neg_hi:[0,0,1]
	v_pk_fma_f32 v[130:131], v[132:133], v[120:121], v[130:131] op_sel:[0,0,1] op_sel_hi:[1,0,0]
	v_mov_b32_e32 v135, v131
	ds_load_2addr_b64 v[130:133], v124 offset0:44 offset1:45
	v_pk_add_f32 v[34:35], v[34:35], v[136:137] neg_lo:[0,1] neg_hi:[0,1]
	v_pk_add_f32 v[30:31], v[30:31], v[134:135] neg_lo:[0,1] neg_hi:[0,1]
	s_wait_dscnt 0x0
	v_dual_mul_f32 v134, v131, v123 :: v_dual_mul_f32 v136, v131, v120
	s_delay_alu instid0(VALU_DEP_1) | instskip(NEXT) | instid1(VALU_DEP_2)
	v_pk_fma_f32 v[134:135], v[130:131], v[46:47], v[134:135] op_sel_hi:[1,1,0] neg_lo:[0,0,1] neg_hi:[0,0,1]
	v_pk_fma_f32 v[130:131], v[130:131], v[46:47], v[136:137] op_sel:[1,0,0] op_sel_hi:[0,1,0]
	s_delay_alu instid0(VALU_DEP_1) | instskip(SKIP_1) | instid1(VALU_DEP_2)
	v_mov_b32_e32 v135, v131
	v_pk_mul_f32 v[130:131], v[132:133], v[122:123] op_sel:[0,1]
	v_pk_add_f32 v[26:27], v[26:27], v[134:135] neg_lo:[0,1] neg_hi:[0,1]
	s_delay_alu instid0(VALU_DEP_2) | instskip(SKIP_1) | instid1(VALU_DEP_1)
	v_pk_fma_f32 v[134:135], v[132:133], v[120:121], v[130:131] op_sel:[0,0,1] op_sel_hi:[1,1,0] neg_lo:[0,0,1] neg_hi:[0,0,1]
	v_pk_fma_f32 v[130:131], v[132:133], v[120:121], v[130:131] op_sel:[0,0,1] op_sel_hi:[1,0,0]
	v_mov_b32_e32 v135, v131
	ds_load_2addr_b64 v[130:133], v124 offset0:46 offset1:47
	v_pk_add_f32 v[22:23], v[22:23], v[134:135] neg_lo:[0,1] neg_hi:[0,1]
	s_wait_dscnt 0x0
	v_pk_mul_f32 v[134:135], v[130:131], v[122:123] op_sel:[0,1]
	s_delay_alu instid0(VALU_DEP_1) | instskip(SKIP_1) | instid1(VALU_DEP_1)
	v_pk_fma_f32 v[136:137], v[130:131], v[120:121], v[134:135] op_sel:[0,0,1] op_sel_hi:[1,1,0] neg_lo:[0,0,1] neg_hi:[0,0,1]
	v_pk_fma_f32 v[130:131], v[130:131], v[120:121], v[134:135] op_sel:[0,0,1] op_sel_hi:[1,0,0]
	v_mov_b32_e32 v137, v131
	v_pk_mul_f32 v[130:131], v[132:133], v[122:123] op_sel:[0,1]
	s_delay_alu instid0(VALU_DEP_2) | instskip(NEXT) | instid1(VALU_DEP_2)
	v_pk_add_f32 v[24:25], v[24:25], v[136:137] neg_lo:[0,1] neg_hi:[0,1]
	v_pk_fma_f32 v[134:135], v[132:133], v[120:121], v[130:131] op_sel:[0,0,1] op_sel_hi:[1,1,0] neg_lo:[0,0,1] neg_hi:[0,0,1]
	v_pk_fma_f32 v[130:131], v[132:133], v[120:121], v[130:131] op_sel:[0,0,1] op_sel_hi:[1,0,0]
	s_delay_alu instid0(VALU_DEP_1) | instskip(SKIP_4) | instid1(VALU_DEP_1)
	v_mov_b32_e32 v135, v131
	ds_load_2addr_b64 v[130:133], v124 offset0:48 offset1:49
	v_pk_add_f32 v[20:21], v[20:21], v[134:135] neg_lo:[0,1] neg_hi:[0,1]
	s_wait_dscnt 0x0
	v_pk_mul_f32 v[134:135], v[130:131], v[122:123] op_sel:[0,1]
	v_pk_fma_f32 v[136:137], v[130:131], v[120:121], v[134:135] op_sel:[0,0,1] op_sel_hi:[1,1,0] neg_lo:[0,0,1] neg_hi:[0,0,1]
	v_pk_fma_f32 v[130:131], v[130:131], v[120:121], v[134:135] op_sel:[0,0,1] op_sel_hi:[1,0,0]
	v_dual_mul_f32 v134, v133, v123 :: v_dual_mov_b32 v130, v133
	s_delay_alu instid0(VALU_DEP_2) | instskip(NEXT) | instid1(VALU_DEP_2)
	v_dual_mov_b32 v137, v131 :: v_dual_mov_b32 v131, v132
	v_pk_fma_f32 v[134:135], v[132:133], v[46:47], v[134:135] op_sel_hi:[1,1,0] neg_lo:[0,0,1] neg_hi:[0,0,1]
	v_mul_f32_e32 v132, v133, v120
	s_delay_alu instid0(VALU_DEP_3) | instskip(NEXT) | instid1(VALU_DEP_2)
	v_pk_add_f32 v[14:15], v[14:15], v[136:137] neg_lo:[0,1] neg_hi:[0,1]
	v_pk_fma_f32 v[130:131], v[130:131], v[46:47], v[132:133] op_sel_hi:[1,1,0]
	s_delay_alu instid0(VALU_DEP_1) | instskip(SKIP_4) | instid1(VALU_DEP_1)
	v_mov_b32_e32 v135, v131
	ds_load_2addr_b64 v[130:133], v124 offset0:50 offset1:51
	v_pk_add_f32 v[10:11], v[10:11], v[134:135] neg_lo:[0,1] neg_hi:[0,1]
	s_wait_dscnt 0x0
	v_pk_mul_f32 v[134:135], v[130:131], v[122:123] op_sel:[0,1]
	v_pk_fma_f32 v[136:137], v[130:131], v[120:121], v[134:135] op_sel:[0,0,1] op_sel_hi:[1,1,0] neg_lo:[0,0,1] neg_hi:[0,0,1]
	v_pk_fma_f32 v[130:131], v[130:131], v[120:121], v[134:135] op_sel:[0,0,1] op_sel_hi:[1,0,0]
	s_delay_alu instid0(VALU_DEP_1) | instskip(SKIP_1) | instid1(VALU_DEP_1)
	v_mov_b32_e32 v137, v131
	v_pk_mul_f32 v[130:131], v[132:133], v[122:123] op_sel:[0,1]
	v_pk_fma_f32 v[134:135], v[132:133], v[120:121], v[130:131] op_sel:[0,0,1] op_sel_hi:[1,1,0] neg_lo:[0,0,1] neg_hi:[0,0,1]
	v_pk_fma_f32 v[130:131], v[132:133], v[120:121], v[130:131] op_sel:[0,0,1] op_sel_hi:[1,0,0]
	s_delay_alu instid0(VALU_DEP_1)
	v_mov_b32_e32 v135, v131
	ds_load_2addr_b64 v[130:133], v124 offset0:52 offset1:53
	v_pk_add_f32 v[12:13], v[12:13], v[136:137] neg_lo:[0,1] neg_hi:[0,1]
	v_pk_add_f32 v[8:9], v[8:9], v[134:135] neg_lo:[0,1] neg_hi:[0,1]
	s_wait_dscnt 0x0
	v_pk_mul_f32 v[134:135], v[130:131], v[122:123] op_sel:[0,1]
	s_delay_alu instid0(VALU_DEP_1) | instskip(SKIP_1) | instid1(VALU_DEP_1)
	v_pk_fma_f32 v[136:137], v[130:131], v[120:121], v[134:135] op_sel:[0,0,1] op_sel_hi:[1,1,0] neg_lo:[0,0,1] neg_hi:[0,0,1]
	v_pk_fma_f32 v[130:131], v[130:131], v[120:121], v[134:135] op_sel:[0,0,1] op_sel_hi:[1,0,0]
	v_mov_b32_e32 v137, v131
	v_pk_mul_f32 v[130:131], v[132:133], v[122:123] op_sel:[0,1]
	s_delay_alu instid0(VALU_DEP_1) | instskip(SKIP_1) | instid1(VALU_DEP_1)
	v_pk_fma_f32 v[134:135], v[132:133], v[120:121], v[130:131] op_sel:[0,0,1] op_sel_hi:[1,1,0] neg_lo:[0,0,1] neg_hi:[0,0,1]
	v_pk_fma_f32 v[130:131], v[132:133], v[120:121], v[130:131] op_sel:[0,0,1] op_sel_hi:[1,0,0]
	v_mov_b32_e32 v135, v131
	ds_load_2addr_b64 v[130:133], v124 offset0:54 offset1:55
	v_pk_add_f32 v[6:7], v[6:7], v[136:137] neg_lo:[0,1] neg_hi:[0,1]
	v_pk_add_f32 v[28:29], v[28:29], v[134:135] neg_lo:[0,1] neg_hi:[0,1]
	s_wait_dscnt 0x0
	v_dual_mul_f32 v134, v131, v123 :: v_dual_mul_f32 v136, v131, v120
	s_delay_alu instid0(VALU_DEP_1) | instskip(NEXT) | instid1(VALU_DEP_2)
	v_pk_fma_f32 v[134:135], v[130:131], v[46:47], v[134:135] op_sel_hi:[1,1,0] neg_lo:[0,0,1] neg_hi:[0,0,1]
	v_pk_fma_f32 v[130:131], v[130:131], v[46:47], v[136:137] op_sel:[1,0,0] op_sel_hi:[0,1,0]
	s_delay_alu instid0(VALU_DEP_1) | instskip(SKIP_1) | instid1(VALU_DEP_2)
	v_mov_b32_e32 v135, v131
	v_pk_mul_f32 v[130:131], v[132:133], v[122:123] op_sel:[0,1]
	v_pk_add_f32 v[18:19], v[18:19], v[134:135] neg_lo:[0,1] neg_hi:[0,1]
	s_delay_alu instid0(VALU_DEP_2) | instskip(SKIP_1) | instid1(VALU_DEP_1)
	v_pk_fma_f32 v[134:135], v[132:133], v[120:121], v[130:131] op_sel:[0,0,1] op_sel_hi:[1,1,0] neg_lo:[0,0,1] neg_hi:[0,0,1]
	v_pk_fma_f32 v[130:131], v[132:133], v[120:121], v[130:131] op_sel:[0,0,1] op_sel_hi:[1,0,0]
	v_mov_b32_e32 v135, v131
	ds_load_b64 v[130:131], v124 offset:448
	v_pk_add_f32 v[16:17], v[16:17], v[134:135] neg_lo:[0,1] neg_hi:[0,1]
	s_wait_dscnt 0x0
	v_pk_mul_f32 v[122:123], v[130:131], v[122:123] op_sel:[0,1]
	s_delay_alu instid0(VALU_DEP_1) | instskip(SKIP_1) | instid1(VALU_DEP_1)
	v_pk_fma_f32 v[132:133], v[130:131], v[120:121], v[122:123] op_sel:[0,0,1] op_sel_hi:[1,1,0] neg_lo:[0,0,1] neg_hi:[0,0,1]
	v_pk_fma_f32 v[120:121], v[130:131], v[120:121], v[122:123] op_sel:[0,0,1] op_sel_hi:[1,0,0]
	v_mov_b32_e32 v133, v121
	s_delay_alu instid0(VALU_DEP_1)
	v_pk_add_f32 v[118:119], v[118:119], v[132:133] neg_lo:[0,1] neg_hi:[0,1]
.LBB112_755:
	s_or_b32 exec_lo, exec_lo, s0
	v_lshl_add_u32 v120, v128, 3, v124
	s_barrier_signal -1
	s_barrier_wait -1
	ds_store_b64 v120, v[44:45]
	s_wait_dscnt 0x0
	s_barrier_signal -1
	s_barrier_wait -1
	ds_load_b64 v[122:123], v124 offset:288
	v_mov_b32_e32 v120, 36
	s_cmp_lt_i32 s18, 38
	s_cbranch_scc1 .LBB112_758
; %bb.756:
	v_add3_u32 v121, v125, 0, 0x128
	v_mov_b32_e32 v120, 36
	s_mov_b32 s0, 37
.LBB112_757:                            ; =>This Inner Loop Header: Depth=1
	ds_load_b64 v[130:131], v121
	s_wait_dscnt 0x1
	v_cmp_gt_f32_e32 vcc_lo, 0, v122
	v_cndmask_b32_e64 v132, v122, -v122, vcc_lo
	v_cmp_gt_f32_e32 vcc_lo, 0, v123
	v_cndmask_b32_e64 v134, v123, -v123, vcc_lo
	s_wait_dscnt 0x0
	v_cmp_gt_f32_e32 vcc_lo, 0, v130
	v_cndmask_b32_e64 v133, v130, -v130, vcc_lo
	v_cmp_gt_f32_e32 vcc_lo, 0, v131
	v_cndmask_b32_e64 v135, v131, -v131, vcc_lo
	s_delay_alu instid0(VALU_DEP_1) | instskip(NEXT) | instid1(VALU_DEP_1)
	v_pk_add_f32 v[132:133], v[132:133], v[134:135]
	v_cmp_lt_f32_e32 vcc_lo, v132, v133
	v_dual_add_nc_u32 v121, 8, v121 :: v_dual_cndmask_b32 v123, v123, v131, vcc_lo
	v_cndmask_b32_e32 v122, v122, v130, vcc_lo
	v_cndmask_b32_e64 v120, v120, s0, vcc_lo
	s_add_co_i32 s0, s0, 1
	s_delay_alu instid0(SALU_CYCLE_1)
	s_cmp_lg_u32 s18, s0
	s_cbranch_scc1 .LBB112_757
.LBB112_758:
	s_wait_dscnt 0x0
	v_cmp_eq_f32_e32 vcc_lo, 0, v122
	v_cmp_eq_f32_e64 s0, 0, v123
	s_and_b32 s0, vcc_lo, s0
	s_delay_alu instid0(SALU_CYCLE_1) | instskip(NEXT) | instid1(SALU_CYCLE_1)
	s_and_saveexec_b32 s1, s0
	s_xor_b32 s0, exec_lo, s1
; %bb.759:
	v_cmp_ne_u32_e32 vcc_lo, 0, v126
	v_cndmask_b32_e32 v126, 37, v126, vcc_lo
; %bb.760:
	s_and_not1_saveexec_b32 s0, s0
	s_cbranch_execz .LBB112_766
; %bb.761:
	v_cmp_ngt_f32_e64 s1, |v122|, |v123|
	s_and_saveexec_b32 s12, s1
	s_delay_alu instid0(SALU_CYCLE_1)
	s_xor_b32 s1, exec_lo, s12
	s_cbranch_execz .LBB112_763
; %bb.762:
	v_div_scale_f32 v121, null, v123, v123, v122
	v_div_scale_f32 v131, vcc_lo, v122, v123, v122
	s_delay_alu instid0(VALU_DEP_2) | instskip(SKIP_1) | instid1(TRANS32_DEP_1)
	v_rcp_f32_e32 v129, v121
	v_nop
	v_fma_f32 v130, -v121, v129, 1.0
	s_delay_alu instid0(VALU_DEP_1) | instskip(NEXT) | instid1(VALU_DEP_1)
	v_fmac_f32_e32 v129, v130, v129
	v_mul_f32_e32 v130, v131, v129
	s_delay_alu instid0(VALU_DEP_1) | instskip(NEXT) | instid1(VALU_DEP_1)
	v_fma_f32 v132, -v121, v130, v131
	v_fmac_f32_e32 v130, v132, v129
	s_delay_alu instid0(VALU_DEP_1) | instskip(NEXT) | instid1(VALU_DEP_1)
	v_fma_f32 v121, -v121, v130, v131
	v_div_fmas_f32 v121, v121, v129, v130
	s_delay_alu instid0(VALU_DEP_1) | instskip(NEXT) | instid1(VALU_DEP_1)
	v_div_fixup_f32 v121, v121, v123, v122
	v_fmac_f32_e32 v123, v122, v121
	s_delay_alu instid0(VALU_DEP_1) | instskip(SKIP_1) | instid1(VALU_DEP_2)
	v_div_scale_f32 v122, null, v123, v123, 1.0
	v_div_scale_f32 v131, vcc_lo, 1.0, v123, 1.0
	v_rcp_f32_e32 v129, v122
	v_nop
	s_delay_alu instid0(TRANS32_DEP_1) | instskip(NEXT) | instid1(VALU_DEP_1)
	v_fma_f32 v130, -v122, v129, 1.0
	v_fmac_f32_e32 v129, v130, v129
	s_delay_alu instid0(VALU_DEP_1) | instskip(NEXT) | instid1(VALU_DEP_1)
	v_mul_f32_e32 v130, v131, v129
	v_fma_f32 v132, -v122, v130, v131
	s_delay_alu instid0(VALU_DEP_1) | instskip(NEXT) | instid1(VALU_DEP_1)
	v_fmac_f32_e32 v130, v132, v129
	v_fma_f32 v122, -v122, v130, v131
	s_delay_alu instid0(VALU_DEP_1) | instskip(NEXT) | instid1(VALU_DEP_1)
	v_div_fmas_f32 v122, v122, v129, v130
	v_div_fixup_f32 v123, v122, v123, 1.0
	s_delay_alu instid0(VALU_DEP_1)
	v_mul_f32_e32 v122, v121, v123
	v_xor_b32_e32 v123, 0x80000000, v123
.LBB112_763:
	s_and_not1_saveexec_b32 s1, s1
	s_cbranch_execz .LBB112_765
; %bb.764:
	s_delay_alu instid0(VALU_DEP_1) | instskip(SKIP_1) | instid1(VALU_DEP_2)
	v_div_scale_f32 v121, null, v122, v122, v123
	v_div_scale_f32 v131, vcc_lo, v123, v122, v123
	v_rcp_f32_e32 v129, v121
	v_nop
	s_delay_alu instid0(TRANS32_DEP_1) | instskip(NEXT) | instid1(VALU_DEP_1)
	v_fma_f32 v130, -v121, v129, 1.0
	v_fmac_f32_e32 v129, v130, v129
	s_delay_alu instid0(VALU_DEP_1) | instskip(NEXT) | instid1(VALU_DEP_1)
	v_mul_f32_e32 v130, v131, v129
	v_fma_f32 v132, -v121, v130, v131
	s_delay_alu instid0(VALU_DEP_1) | instskip(NEXT) | instid1(VALU_DEP_1)
	v_fmac_f32_e32 v130, v132, v129
	v_fma_f32 v121, -v121, v130, v131
	s_delay_alu instid0(VALU_DEP_1) | instskip(NEXT) | instid1(VALU_DEP_1)
	v_div_fmas_f32 v121, v121, v129, v130
	v_div_fixup_f32 v121, v121, v122, v123
	s_delay_alu instid0(VALU_DEP_1) | instskip(NEXT) | instid1(VALU_DEP_1)
	v_fmac_f32_e32 v122, v123, v121
	v_div_scale_f32 v123, null, v122, v122, 1.0
	s_delay_alu instid0(VALU_DEP_1) | instskip(SKIP_1) | instid1(TRANS32_DEP_1)
	v_rcp_f32_e32 v129, v123
	v_nop
	v_fma_f32 v130, -v123, v129, 1.0
	s_delay_alu instid0(VALU_DEP_1) | instskip(SKIP_1) | instid1(VALU_DEP_1)
	v_fmac_f32_e32 v129, v130, v129
	v_div_scale_f32 v130, vcc_lo, 1.0, v122, 1.0
	v_mul_f32_e32 v131, v130, v129
	s_delay_alu instid0(VALU_DEP_1) | instskip(NEXT) | instid1(VALU_DEP_1)
	v_fma_f32 v132, -v123, v131, v130
	v_fmac_f32_e32 v131, v132, v129
	s_delay_alu instid0(VALU_DEP_1) | instskip(NEXT) | instid1(VALU_DEP_1)
	v_fma_f32 v123, -v123, v131, v130
	v_div_fmas_f32 v123, v123, v129, v131
	s_delay_alu instid0(VALU_DEP_1) | instskip(NEXT) | instid1(VALU_DEP_1)
	v_div_fixup_f32 v122, v123, v122, 1.0
	v_mul_f32_e64 v123, v121, -v122
.LBB112_765:
	s_or_b32 exec_lo, exec_lo, s1
.LBB112_766:
	s_delay_alu instid0(SALU_CYCLE_1) | instskip(NEXT) | instid1(SALU_CYCLE_1)
	s_or_b32 exec_lo, exec_lo, s0
	s_mov_b32 s0, exec_lo
	v_cmpx_ne_u32_e64 v128, v120
	s_xor_b32 s0, exec_lo, s0
	s_cbranch_execz .LBB112_772
; %bb.767:
	s_mov_b32 s1, exec_lo
	v_cmpx_eq_u32_e32 36, v128
	s_cbranch_execz .LBB112_771
; %bb.768:
	v_cmp_ne_u32_e32 vcc_lo, 36, v120
	s_xor_b32 s12, s16, -1
	s_delay_alu instid0(SALU_CYCLE_1) | instskip(NEXT) | instid1(SALU_CYCLE_1)
	s_and_b32 s13, s12, vcc_lo
	s_and_saveexec_b32 s12, s13
	s_cbranch_execz .LBB112_770
; %bb.769:
	v_ashrrev_i32_e32 v121, 31, v120
	s_delay_alu instid0(VALU_DEP_1)
	v_lshl_add_u64 v[128:129], v[120:121], 2, v[4:5]
	s_clause 0x1
	global_load_b32 v121, v[128:129], off
	global_load_b32 v127, v[4:5], off offset:144
	s_wait_loadcnt 0x1
	global_store_b32 v[4:5], v121, off offset:144
	s_wait_loadcnt 0x0
	global_store_b32 v[128:129], v127, off
.LBB112_770:
	s_wait_xcnt 0x0
	s_or_b32 exec_lo, exec_lo, s12
	v_dual_mov_b32 v128, v120 :: v_dual_mov_b32 v127, v120
.LBB112_771:
	s_or_b32 exec_lo, exec_lo, s1
.LBB112_772:
	s_and_not1_saveexec_b32 s0, s0
	s_cbranch_execz .LBB112_774
; %bb.773:
	v_mov_b32_e32 v128, 36
	ds_store_2addr_b64 v124, v[40:41], v[42:43] offset0:37 offset1:38
	ds_store_2addr_b64 v124, v[38:39], v[36:37] offset0:39 offset1:40
	;; [unrolled: 1-line block ×10, first 2 shown]
.LBB112_774:
	s_or_b32 exec_lo, exec_lo, s0
	s_delay_alu instid0(SALU_CYCLE_1)
	s_mov_b32 s0, exec_lo
	s_wait_storecnt_dscnt 0x0
	s_barrier_signal -1
	s_barrier_wait -1
	v_cmpx_lt_i32_e32 36, v128
	s_cbranch_execz .LBB112_776
; %bb.775:
	v_pk_mul_f32 v[130:131], v[122:123], v[44:45] op_sel:[1,1] op_sel_hi:[0,1]
	s_delay_alu instid0(VALU_DEP_1)
	v_pk_fma_f32 v[120:121], v[122:123], v[44:45], v[130:131] op_sel_hi:[1,0,1] neg_lo:[0,0,1] neg_hi:[0,0,1]
	v_pk_fma_f32 v[122:123], v[122:123], v[44:45], v[130:131] op_sel_hi:[1,0,1]
	ds_load_2addr_b64 v[130:133], v124 offset0:37 offset1:38
	v_dual_mov_b32 v44, v120 :: v_dual_mov_b32 v45, v123
	s_wait_dscnt 0x0
	v_pk_mul_f32 v[134:135], v[130:131], v[122:123] op_sel:[0,1]
	s_delay_alu instid0(VALU_DEP_1) | instskip(SKIP_1) | instid1(VALU_DEP_1)
	v_pk_fma_f32 v[136:137], v[130:131], v[120:121], v[134:135] op_sel:[0,0,1] op_sel_hi:[1,1,0] neg_lo:[0,0,1] neg_hi:[0,0,1]
	v_pk_fma_f32 v[130:131], v[130:131], v[120:121], v[134:135] op_sel:[0,0,1] op_sel_hi:[1,0,0]
	v_mov_b32_e32 v137, v131
	v_pk_mul_f32 v[130:131], v[132:133], v[122:123] op_sel:[0,1]
	s_delay_alu instid0(VALU_DEP_1) | instskip(SKIP_1) | instid1(VALU_DEP_1)
	v_pk_fma_f32 v[134:135], v[132:133], v[120:121], v[130:131] op_sel:[0,0,1] op_sel_hi:[1,1,0] neg_lo:[0,0,1] neg_hi:[0,0,1]
	v_pk_fma_f32 v[130:131], v[132:133], v[120:121], v[130:131] op_sel:[0,0,1] op_sel_hi:[1,0,0]
	v_mov_b32_e32 v135, v131
	ds_load_2addr_b64 v[130:133], v124 offset0:39 offset1:40
	v_pk_add_f32 v[40:41], v[40:41], v[136:137] neg_lo:[0,1] neg_hi:[0,1]
	v_pk_add_f32 v[42:43], v[42:43], v[134:135] neg_lo:[0,1] neg_hi:[0,1]
	s_wait_dscnt 0x0
	v_pk_mul_f32 v[134:135], v[130:131], v[122:123] op_sel:[0,1]
	s_delay_alu instid0(VALU_DEP_1) | instskip(SKIP_2) | instid1(VALU_DEP_2)
	v_pk_fma_f32 v[136:137], v[130:131], v[120:121], v[134:135] op_sel:[0,0,1] op_sel_hi:[1,1,0] neg_lo:[0,0,1] neg_hi:[0,0,1]
	v_pk_fma_f32 v[130:131], v[130:131], v[120:121], v[134:135] op_sel:[0,0,1] op_sel_hi:[1,0,0]
	v_dual_mul_f32 v134, v133, v123 :: v_dual_mov_b32 v130, v133
	v_dual_mov_b32 v137, v131 :: v_dual_mov_b32 v131, v132
	s_delay_alu instid0(VALU_DEP_2) | instskip(SKIP_1) | instid1(VALU_DEP_3)
	v_pk_fma_f32 v[134:135], v[132:133], v[44:45], v[134:135] op_sel_hi:[1,1,0] neg_lo:[0,0,1] neg_hi:[0,0,1]
	v_mul_f32_e32 v132, v133, v120
	v_pk_add_f32 v[38:39], v[38:39], v[136:137] neg_lo:[0,1] neg_hi:[0,1]
	s_delay_alu instid0(VALU_DEP_2) | instskip(NEXT) | instid1(VALU_DEP_1)
	v_pk_fma_f32 v[130:131], v[130:131], v[44:45], v[132:133] op_sel_hi:[1,1,0]
	v_mov_b32_e32 v135, v131
	ds_load_2addr_b64 v[130:133], v124 offset0:41 offset1:42
	v_pk_add_f32 v[36:37], v[36:37], v[134:135] neg_lo:[0,1] neg_hi:[0,1]
	s_wait_dscnt 0x0
	v_pk_mul_f32 v[134:135], v[130:131], v[122:123] op_sel:[0,1]
	s_delay_alu instid0(VALU_DEP_1) | instskip(SKIP_1) | instid1(VALU_DEP_1)
	v_pk_fma_f32 v[136:137], v[130:131], v[120:121], v[134:135] op_sel:[0,0,1] op_sel_hi:[1,1,0] neg_lo:[0,0,1] neg_hi:[0,0,1]
	v_pk_fma_f32 v[130:131], v[130:131], v[120:121], v[134:135] op_sel:[0,0,1] op_sel_hi:[1,0,0]
	v_mov_b32_e32 v137, v131
	v_pk_mul_f32 v[130:131], v[132:133], v[122:123] op_sel:[0,1]
	s_delay_alu instid0(VALU_DEP_1) | instskip(SKIP_1) | instid1(VALU_DEP_1)
	v_pk_fma_f32 v[134:135], v[132:133], v[120:121], v[130:131] op_sel:[0,0,1] op_sel_hi:[1,1,0] neg_lo:[0,0,1] neg_hi:[0,0,1]
	v_pk_fma_f32 v[130:131], v[132:133], v[120:121], v[130:131] op_sel:[0,0,1] op_sel_hi:[1,0,0]
	v_mov_b32_e32 v135, v131
	ds_load_2addr_b64 v[130:133], v124 offset0:43 offset1:44
	v_pk_add_f32 v[32:33], v[32:33], v[136:137] neg_lo:[0,1] neg_hi:[0,1]
	v_pk_add_f32 v[34:35], v[34:35], v[134:135] neg_lo:[0,1] neg_hi:[0,1]
	s_wait_dscnt 0x0
	v_pk_mul_f32 v[134:135], v[130:131], v[122:123] op_sel:[0,1]
	s_delay_alu instid0(VALU_DEP_1) | instskip(SKIP_1) | instid1(VALU_DEP_1)
	v_pk_fma_f32 v[136:137], v[130:131], v[120:121], v[134:135] op_sel:[0,0,1] op_sel_hi:[1,1,0] neg_lo:[0,0,1] neg_hi:[0,0,1]
	v_pk_fma_f32 v[130:131], v[130:131], v[120:121], v[134:135] op_sel:[0,0,1] op_sel_hi:[1,0,0]
	v_mov_b32_e32 v137, v131
	v_pk_mul_f32 v[130:131], v[132:133], v[122:123] op_sel:[0,1]
	s_delay_alu instid0(VALU_DEP_1) | instskip(SKIP_1) | instid1(VALU_DEP_1)
	v_pk_fma_f32 v[134:135], v[132:133], v[120:121], v[130:131] op_sel:[0,0,1] op_sel_hi:[1,1,0] neg_lo:[0,0,1] neg_hi:[0,0,1]
	v_pk_fma_f32 v[130:131], v[132:133], v[120:121], v[130:131] op_sel:[0,0,1] op_sel_hi:[1,0,0]
	v_mov_b32_e32 v135, v131
	ds_load_2addr_b64 v[130:133], v124 offset0:45 offset1:46
	v_pk_add_f32 v[30:31], v[30:31], v[136:137] neg_lo:[0,1] neg_hi:[0,1]
	v_pk_add_f32 v[26:27], v[26:27], v[134:135] neg_lo:[0,1] neg_hi:[0,1]
	s_wait_dscnt 0x0
	v_dual_mul_f32 v134, v131, v123 :: v_dual_mul_f32 v136, v131, v120
	s_delay_alu instid0(VALU_DEP_1) | instskip(NEXT) | instid1(VALU_DEP_2)
	v_pk_fma_f32 v[134:135], v[130:131], v[44:45], v[134:135] op_sel_hi:[1,1,0] neg_lo:[0,0,1] neg_hi:[0,0,1]
	v_pk_fma_f32 v[130:131], v[130:131], v[44:45], v[136:137] op_sel:[1,0,0] op_sel_hi:[0,1,0]
	s_delay_alu instid0(VALU_DEP_1) | instskip(SKIP_1) | instid1(VALU_DEP_2)
	v_mov_b32_e32 v135, v131
	v_pk_mul_f32 v[130:131], v[132:133], v[122:123] op_sel:[0,1]
	v_pk_add_f32 v[22:23], v[22:23], v[134:135] neg_lo:[0,1] neg_hi:[0,1]
	s_delay_alu instid0(VALU_DEP_2) | instskip(SKIP_1) | instid1(VALU_DEP_1)
	v_pk_fma_f32 v[134:135], v[132:133], v[120:121], v[130:131] op_sel:[0,0,1] op_sel_hi:[1,1,0] neg_lo:[0,0,1] neg_hi:[0,0,1]
	v_pk_fma_f32 v[130:131], v[132:133], v[120:121], v[130:131] op_sel:[0,0,1] op_sel_hi:[1,0,0]
	v_mov_b32_e32 v135, v131
	ds_load_2addr_b64 v[130:133], v124 offset0:47 offset1:48
	v_pk_add_f32 v[24:25], v[24:25], v[134:135] neg_lo:[0,1] neg_hi:[0,1]
	s_wait_dscnt 0x0
	v_pk_mul_f32 v[134:135], v[130:131], v[122:123] op_sel:[0,1]
	s_delay_alu instid0(VALU_DEP_1) | instskip(SKIP_1) | instid1(VALU_DEP_1)
	v_pk_fma_f32 v[136:137], v[130:131], v[120:121], v[134:135] op_sel:[0,0,1] op_sel_hi:[1,1,0] neg_lo:[0,0,1] neg_hi:[0,0,1]
	v_pk_fma_f32 v[130:131], v[130:131], v[120:121], v[134:135] op_sel:[0,0,1] op_sel_hi:[1,0,0]
	v_mov_b32_e32 v137, v131
	v_pk_mul_f32 v[130:131], v[132:133], v[122:123] op_sel:[0,1]
	s_delay_alu instid0(VALU_DEP_2) | instskip(NEXT) | instid1(VALU_DEP_2)
	v_pk_add_f32 v[20:21], v[20:21], v[136:137] neg_lo:[0,1] neg_hi:[0,1]
	v_pk_fma_f32 v[134:135], v[132:133], v[120:121], v[130:131] op_sel:[0,0,1] op_sel_hi:[1,1,0] neg_lo:[0,0,1] neg_hi:[0,0,1]
	v_pk_fma_f32 v[130:131], v[132:133], v[120:121], v[130:131] op_sel:[0,0,1] op_sel_hi:[1,0,0]
	s_delay_alu instid0(VALU_DEP_1) | instskip(SKIP_4) | instid1(VALU_DEP_1)
	v_mov_b32_e32 v135, v131
	ds_load_2addr_b64 v[130:133], v124 offset0:49 offset1:50
	v_pk_add_f32 v[14:15], v[14:15], v[134:135] neg_lo:[0,1] neg_hi:[0,1]
	s_wait_dscnt 0x0
	v_pk_mul_f32 v[134:135], v[130:131], v[122:123] op_sel:[0,1]
	v_pk_fma_f32 v[136:137], v[130:131], v[120:121], v[134:135] op_sel:[0,0,1] op_sel_hi:[1,1,0] neg_lo:[0,0,1] neg_hi:[0,0,1]
	v_pk_fma_f32 v[130:131], v[130:131], v[120:121], v[134:135] op_sel:[0,0,1] op_sel_hi:[1,0,0]
	v_dual_mul_f32 v134, v133, v123 :: v_dual_mov_b32 v130, v133
	s_delay_alu instid0(VALU_DEP_2) | instskip(NEXT) | instid1(VALU_DEP_2)
	v_dual_mov_b32 v137, v131 :: v_dual_mov_b32 v131, v132
	v_pk_fma_f32 v[134:135], v[132:133], v[44:45], v[134:135] op_sel_hi:[1,1,0] neg_lo:[0,0,1] neg_hi:[0,0,1]
	v_mul_f32_e32 v132, v133, v120
	s_delay_alu instid0(VALU_DEP_3) | instskip(NEXT) | instid1(VALU_DEP_2)
	v_pk_add_f32 v[10:11], v[10:11], v[136:137] neg_lo:[0,1] neg_hi:[0,1]
	v_pk_fma_f32 v[130:131], v[130:131], v[44:45], v[132:133] op_sel_hi:[1,1,0]
	s_delay_alu instid0(VALU_DEP_1) | instskip(SKIP_4) | instid1(VALU_DEP_1)
	v_mov_b32_e32 v135, v131
	ds_load_2addr_b64 v[130:133], v124 offset0:51 offset1:52
	v_pk_add_f32 v[12:13], v[12:13], v[134:135] neg_lo:[0,1] neg_hi:[0,1]
	s_wait_dscnt 0x0
	v_pk_mul_f32 v[134:135], v[130:131], v[122:123] op_sel:[0,1]
	v_pk_fma_f32 v[136:137], v[130:131], v[120:121], v[134:135] op_sel:[0,0,1] op_sel_hi:[1,1,0] neg_lo:[0,0,1] neg_hi:[0,0,1]
	v_pk_fma_f32 v[130:131], v[130:131], v[120:121], v[134:135] op_sel:[0,0,1] op_sel_hi:[1,0,0]
	s_delay_alu instid0(VALU_DEP_1) | instskip(SKIP_1) | instid1(VALU_DEP_1)
	v_mov_b32_e32 v137, v131
	v_pk_mul_f32 v[130:131], v[132:133], v[122:123] op_sel:[0,1]
	v_pk_fma_f32 v[134:135], v[132:133], v[120:121], v[130:131] op_sel:[0,0,1] op_sel_hi:[1,1,0] neg_lo:[0,0,1] neg_hi:[0,0,1]
	v_pk_fma_f32 v[130:131], v[132:133], v[120:121], v[130:131] op_sel:[0,0,1] op_sel_hi:[1,0,0]
	s_delay_alu instid0(VALU_DEP_1)
	v_mov_b32_e32 v135, v131
	ds_load_2addr_b64 v[130:133], v124 offset0:53 offset1:54
	v_pk_add_f32 v[8:9], v[8:9], v[136:137] neg_lo:[0,1] neg_hi:[0,1]
	v_pk_add_f32 v[6:7], v[6:7], v[134:135] neg_lo:[0,1] neg_hi:[0,1]
	s_wait_dscnt 0x0
	v_pk_mul_f32 v[134:135], v[130:131], v[122:123] op_sel:[0,1]
	s_delay_alu instid0(VALU_DEP_1) | instskip(SKIP_1) | instid1(VALU_DEP_1)
	v_pk_fma_f32 v[136:137], v[130:131], v[120:121], v[134:135] op_sel:[0,0,1] op_sel_hi:[1,1,0] neg_lo:[0,0,1] neg_hi:[0,0,1]
	v_pk_fma_f32 v[130:131], v[130:131], v[120:121], v[134:135] op_sel:[0,0,1] op_sel_hi:[1,0,0]
	v_mov_b32_e32 v137, v131
	v_pk_mul_f32 v[130:131], v[132:133], v[122:123] op_sel:[0,1]
	s_delay_alu instid0(VALU_DEP_1) | instskip(SKIP_1) | instid1(VALU_DEP_1)
	v_pk_fma_f32 v[134:135], v[132:133], v[120:121], v[130:131] op_sel:[0,0,1] op_sel_hi:[1,1,0] neg_lo:[0,0,1] neg_hi:[0,0,1]
	v_pk_fma_f32 v[130:131], v[132:133], v[120:121], v[130:131] op_sel:[0,0,1] op_sel_hi:[1,0,0]
	v_mov_b32_e32 v135, v131
	ds_load_2addr_b64 v[130:133], v124 offset0:55 offset1:56
	v_pk_add_f32 v[28:29], v[28:29], v[136:137] neg_lo:[0,1] neg_hi:[0,1]
	v_pk_add_f32 v[18:19], v[18:19], v[134:135] neg_lo:[0,1] neg_hi:[0,1]
	s_wait_dscnt 0x0
	v_dual_mul_f32 v134, v131, v123 :: v_dual_mul_f32 v136, v131, v120
	v_pk_mul_f32 v[122:123], v[132:133], v[122:123] op_sel:[0,1]
	s_delay_alu instid0(VALU_DEP_2) | instskip(NEXT) | instid1(VALU_DEP_3)
	v_pk_fma_f32 v[134:135], v[130:131], v[44:45], v[134:135] op_sel_hi:[1,1,0] neg_lo:[0,0,1] neg_hi:[0,0,1]
	v_pk_fma_f32 v[130:131], v[130:131], v[44:45], v[136:137] op_sel:[1,0,0] op_sel_hi:[0,1,0]
	s_delay_alu instid0(VALU_DEP_1) | instskip(NEXT) | instid1(VALU_DEP_4)
	v_mov_b32_e32 v135, v131
	v_pk_fma_f32 v[130:131], v[132:133], v[120:121], v[122:123] op_sel:[0,0,1] op_sel_hi:[1,1,0] neg_lo:[0,0,1] neg_hi:[0,0,1]
	v_pk_fma_f32 v[120:121], v[132:133], v[120:121], v[122:123] op_sel:[0,0,1] op_sel_hi:[1,0,0]
	s_delay_alu instid0(VALU_DEP_1) | instskip(NEXT) | instid1(VALU_DEP_4)
	v_mov_b32_e32 v131, v121
	v_pk_add_f32 v[16:17], v[16:17], v[134:135] neg_lo:[0,1] neg_hi:[0,1]
	s_delay_alu instid0(VALU_DEP_2)
	v_pk_add_f32 v[118:119], v[118:119], v[130:131] neg_lo:[0,1] neg_hi:[0,1]
.LBB112_776:
	s_or_b32 exec_lo, exec_lo, s0
	v_lshl_add_u32 v120, v128, 3, v124
	s_barrier_signal -1
	s_barrier_wait -1
	ds_store_b64 v120, v[40:41]
	s_wait_dscnt 0x0
	s_barrier_signal -1
	s_barrier_wait -1
	ds_load_b64 v[120:121], v124 offset:296
	v_mov_b32_e32 v122, 37
	s_cmp_lt_i32 s18, 39
	s_cbranch_scc1 .LBB112_779
; %bb.777:
	v_add3_u32 v123, v125, 0, 0x130
	v_mov_b32_e32 v122, 37
	s_mov_b32 s0, 38
.LBB112_778:                            ; =>This Inner Loop Header: Depth=1
	ds_load_b64 v[130:131], v123
	s_wait_dscnt 0x1
	v_cmp_gt_f32_e32 vcc_lo, 0, v120
	v_cndmask_b32_e64 v132, v120, -v120, vcc_lo
	v_cmp_gt_f32_e32 vcc_lo, 0, v121
	v_cndmask_b32_e64 v134, v121, -v121, vcc_lo
	s_wait_dscnt 0x0
	v_cmp_gt_f32_e32 vcc_lo, 0, v130
	v_cndmask_b32_e64 v133, v130, -v130, vcc_lo
	v_cmp_gt_f32_e32 vcc_lo, 0, v131
	v_cndmask_b32_e64 v135, v131, -v131, vcc_lo
	s_delay_alu instid0(VALU_DEP_1) | instskip(NEXT) | instid1(VALU_DEP_1)
	v_pk_add_f32 v[132:133], v[132:133], v[134:135]
	v_cmp_lt_f32_e32 vcc_lo, v132, v133
	v_dual_cndmask_b32 v120, v120, v130 :: v_dual_add_nc_u32 v123, 8, v123
	v_cndmask_b32_e32 v121, v121, v131, vcc_lo
	v_cndmask_b32_e64 v122, v122, s0, vcc_lo
	s_add_co_i32 s0, s0, 1
	s_delay_alu instid0(SALU_CYCLE_1)
	s_cmp_lg_u32 s18, s0
	s_cbranch_scc1 .LBB112_778
.LBB112_779:
	s_wait_dscnt 0x0
	v_cmp_eq_f32_e32 vcc_lo, 0, v120
	v_cmp_eq_f32_e64 s0, 0, v121
	s_and_b32 s0, vcc_lo, s0
	s_delay_alu instid0(SALU_CYCLE_1) | instskip(NEXT) | instid1(SALU_CYCLE_1)
	s_and_saveexec_b32 s1, s0
	s_xor_b32 s0, exec_lo, s1
; %bb.780:
	v_cmp_ne_u32_e32 vcc_lo, 0, v126
	v_cndmask_b32_e32 v126, 38, v126, vcc_lo
; %bb.781:
	s_and_not1_saveexec_b32 s0, s0
	s_cbranch_execz .LBB112_787
; %bb.782:
	v_cmp_ngt_f32_e64 s1, |v120|, |v121|
	s_and_saveexec_b32 s12, s1
	s_delay_alu instid0(SALU_CYCLE_1)
	s_xor_b32 s1, exec_lo, s12
	s_cbranch_execz .LBB112_784
; %bb.783:
	v_div_scale_f32 v123, null, v121, v121, v120
	v_div_scale_f32 v131, vcc_lo, v120, v121, v120
	s_delay_alu instid0(VALU_DEP_2) | instskip(SKIP_1) | instid1(TRANS32_DEP_1)
	v_rcp_f32_e32 v129, v123
	v_nop
	v_fma_f32 v130, -v123, v129, 1.0
	s_delay_alu instid0(VALU_DEP_1) | instskip(NEXT) | instid1(VALU_DEP_1)
	v_fmac_f32_e32 v129, v130, v129
	v_mul_f32_e32 v130, v131, v129
	s_delay_alu instid0(VALU_DEP_1) | instskip(NEXT) | instid1(VALU_DEP_1)
	v_fma_f32 v132, -v123, v130, v131
	v_fmac_f32_e32 v130, v132, v129
	s_delay_alu instid0(VALU_DEP_1) | instskip(NEXT) | instid1(VALU_DEP_1)
	v_fma_f32 v123, -v123, v130, v131
	v_div_fmas_f32 v123, v123, v129, v130
	s_delay_alu instid0(VALU_DEP_1) | instskip(NEXT) | instid1(VALU_DEP_1)
	v_div_fixup_f32 v123, v123, v121, v120
	v_fmac_f32_e32 v121, v120, v123
	s_delay_alu instid0(VALU_DEP_1) | instskip(SKIP_1) | instid1(VALU_DEP_2)
	v_div_scale_f32 v120, null, v121, v121, 1.0
	v_div_scale_f32 v131, vcc_lo, 1.0, v121, 1.0
	v_rcp_f32_e32 v129, v120
	v_nop
	s_delay_alu instid0(TRANS32_DEP_1) | instskip(NEXT) | instid1(VALU_DEP_1)
	v_fma_f32 v130, -v120, v129, 1.0
	v_fmac_f32_e32 v129, v130, v129
	s_delay_alu instid0(VALU_DEP_1) | instskip(NEXT) | instid1(VALU_DEP_1)
	v_mul_f32_e32 v130, v131, v129
	v_fma_f32 v132, -v120, v130, v131
	s_delay_alu instid0(VALU_DEP_1) | instskip(NEXT) | instid1(VALU_DEP_1)
	v_fmac_f32_e32 v130, v132, v129
	v_fma_f32 v120, -v120, v130, v131
	s_delay_alu instid0(VALU_DEP_1) | instskip(NEXT) | instid1(VALU_DEP_1)
	v_div_fmas_f32 v120, v120, v129, v130
	v_div_fixup_f32 v121, v120, v121, 1.0
	s_delay_alu instid0(VALU_DEP_1)
	v_mul_f32_e32 v120, v123, v121
	v_xor_b32_e32 v121, 0x80000000, v121
.LBB112_784:
	s_and_not1_saveexec_b32 s1, s1
	s_cbranch_execz .LBB112_786
; %bb.785:
	s_delay_alu instid0(VALU_DEP_1) | instskip(SKIP_1) | instid1(VALU_DEP_2)
	v_div_scale_f32 v123, null, v120, v120, v121
	v_div_scale_f32 v131, vcc_lo, v121, v120, v121
	v_rcp_f32_e32 v129, v123
	v_nop
	s_delay_alu instid0(TRANS32_DEP_1) | instskip(NEXT) | instid1(VALU_DEP_1)
	v_fma_f32 v130, -v123, v129, 1.0
	v_fmac_f32_e32 v129, v130, v129
	s_delay_alu instid0(VALU_DEP_1) | instskip(NEXT) | instid1(VALU_DEP_1)
	v_mul_f32_e32 v130, v131, v129
	v_fma_f32 v132, -v123, v130, v131
	s_delay_alu instid0(VALU_DEP_1) | instskip(NEXT) | instid1(VALU_DEP_1)
	v_fmac_f32_e32 v130, v132, v129
	v_fma_f32 v123, -v123, v130, v131
	s_delay_alu instid0(VALU_DEP_1) | instskip(NEXT) | instid1(VALU_DEP_1)
	v_div_fmas_f32 v123, v123, v129, v130
	v_div_fixup_f32 v123, v123, v120, v121
	s_delay_alu instid0(VALU_DEP_1) | instskip(NEXT) | instid1(VALU_DEP_1)
	v_fmac_f32_e32 v120, v121, v123
	v_div_scale_f32 v121, null, v120, v120, 1.0
	s_delay_alu instid0(VALU_DEP_1) | instskip(SKIP_1) | instid1(TRANS32_DEP_1)
	v_rcp_f32_e32 v129, v121
	v_nop
	v_fma_f32 v130, -v121, v129, 1.0
	s_delay_alu instid0(VALU_DEP_1) | instskip(SKIP_1) | instid1(VALU_DEP_1)
	v_fmac_f32_e32 v129, v130, v129
	v_div_scale_f32 v130, vcc_lo, 1.0, v120, 1.0
	v_mul_f32_e32 v131, v130, v129
	s_delay_alu instid0(VALU_DEP_1) | instskip(NEXT) | instid1(VALU_DEP_1)
	v_fma_f32 v132, -v121, v131, v130
	v_fmac_f32_e32 v131, v132, v129
	s_delay_alu instid0(VALU_DEP_1) | instskip(NEXT) | instid1(VALU_DEP_1)
	v_fma_f32 v121, -v121, v131, v130
	v_div_fmas_f32 v121, v121, v129, v131
	s_delay_alu instid0(VALU_DEP_1) | instskip(NEXT) | instid1(VALU_DEP_1)
	v_div_fixup_f32 v120, v121, v120, 1.0
	v_mul_f32_e64 v121, v123, -v120
.LBB112_786:
	s_or_b32 exec_lo, exec_lo, s1
.LBB112_787:
	s_delay_alu instid0(SALU_CYCLE_1) | instskip(NEXT) | instid1(SALU_CYCLE_1)
	s_or_b32 exec_lo, exec_lo, s0
	s_mov_b32 s0, exec_lo
	v_cmpx_ne_u32_e64 v128, v122
	s_xor_b32 s0, exec_lo, s0
	s_cbranch_execz .LBB112_793
; %bb.788:
	s_mov_b32 s1, exec_lo
	v_cmpx_eq_u32_e32 37, v128
	s_cbranch_execz .LBB112_792
; %bb.789:
	v_cmp_ne_u32_e32 vcc_lo, 37, v122
	s_xor_b32 s12, s16, -1
	s_delay_alu instid0(SALU_CYCLE_1) | instskip(NEXT) | instid1(SALU_CYCLE_1)
	s_and_b32 s13, s12, vcc_lo
	s_and_saveexec_b32 s12, s13
	s_cbranch_execz .LBB112_791
; %bb.790:
	v_ashrrev_i32_e32 v123, 31, v122
	s_delay_alu instid0(VALU_DEP_1)
	v_lshl_add_u64 v[128:129], v[122:123], 2, v[4:5]
	s_clause 0x1
	global_load_b32 v123, v[128:129], off
	global_load_b32 v127, v[4:5], off offset:148
	s_wait_loadcnt 0x1
	global_store_b32 v[4:5], v123, off offset:148
	s_wait_loadcnt 0x0
	global_store_b32 v[128:129], v127, off
.LBB112_791:
	s_wait_xcnt 0x0
	s_or_b32 exec_lo, exec_lo, s12
	v_dual_mov_b32 v128, v122 :: v_dual_mov_b32 v127, v122
.LBB112_792:
	s_or_b32 exec_lo, exec_lo, s1
.LBB112_793:
	s_and_not1_saveexec_b32 s0, s0
	s_cbranch_execz .LBB112_795
; %bb.794:
	v_dual_mov_b32 v122, v42 :: v_dual_mov_b32 v123, v43
	v_dual_mov_b32 v128, v38 :: v_dual_mov_b32 v129, v39
	ds_store_2addr_b64 v124, v[122:123], v[128:129] offset0:38 offset1:39
	v_dual_mov_b32 v122, v36 :: v_dual_mov_b32 v123, v37
	v_dual_mov_b32 v128, v32 :: v_dual_mov_b32 v129, v33
	ds_store_2addr_b64 v124, v[122:123], v[128:129] offset0:40 offset1:41
	;; [unrolled: 3-line block ×9, first 2 shown]
	ds_store_b64 v124, v[118:119] offset:448
	v_mov_b32_e32 v128, 37
.LBB112_795:
	s_or_b32 exec_lo, exec_lo, s0
	s_delay_alu instid0(SALU_CYCLE_1)
	s_mov_b32 s0, exec_lo
	s_wait_storecnt_dscnt 0x0
	s_barrier_signal -1
	s_barrier_wait -1
	v_cmpx_lt_i32_e32 37, v128
	s_cbranch_execz .LBB112_797
; %bb.796:
	v_pk_mul_f32 v[130:131], v[120:121], v[40:41] op_sel:[1,1] op_sel_hi:[0,1]
	s_delay_alu instid0(VALU_DEP_1)
	v_pk_fma_f32 v[122:123], v[120:121], v[40:41], v[130:131] op_sel_hi:[1,0,1] neg_lo:[0,0,1] neg_hi:[0,0,1]
	v_pk_fma_f32 v[120:121], v[120:121], v[40:41], v[130:131] op_sel_hi:[1,0,1]
	ds_load_2addr_b64 v[130:133], v124 offset0:38 offset1:39
	v_dual_mov_b32 v40, v122 :: v_dual_mov_b32 v41, v121
	s_wait_dscnt 0x0
	v_pk_mul_f32 v[134:135], v[130:131], v[120:121] op_sel:[0,1]
	s_delay_alu instid0(VALU_DEP_1) | instskip(SKIP_1) | instid1(VALU_DEP_1)
	v_pk_fma_f32 v[136:137], v[130:131], v[122:123], v[134:135] op_sel:[0,0,1] op_sel_hi:[1,1,0] neg_lo:[0,0,1] neg_hi:[0,0,1]
	v_pk_fma_f32 v[130:131], v[130:131], v[122:123], v[134:135] op_sel:[0,0,1] op_sel_hi:[1,0,0]
	v_mov_b32_e32 v137, v131
	v_pk_mul_f32 v[130:131], v[132:133], v[120:121] op_sel:[0,1]
	s_delay_alu instid0(VALU_DEP_1) | instskip(SKIP_1) | instid1(VALU_DEP_1)
	v_pk_fma_f32 v[134:135], v[132:133], v[122:123], v[130:131] op_sel:[0,0,1] op_sel_hi:[1,1,0] neg_lo:[0,0,1] neg_hi:[0,0,1]
	v_pk_fma_f32 v[130:131], v[132:133], v[122:123], v[130:131] op_sel:[0,0,1] op_sel_hi:[1,0,0]
	v_mov_b32_e32 v135, v131
	ds_load_2addr_b64 v[130:133], v124 offset0:40 offset1:41
	v_pk_add_f32 v[42:43], v[42:43], v[136:137] neg_lo:[0,1] neg_hi:[0,1]
	v_pk_add_f32 v[38:39], v[38:39], v[134:135] neg_lo:[0,1] neg_hi:[0,1]
	s_wait_dscnt 0x0
	v_pk_mul_f32 v[134:135], v[130:131], v[120:121] op_sel:[0,1]
	s_delay_alu instid0(VALU_DEP_1) | instskip(SKIP_2) | instid1(VALU_DEP_2)
	v_pk_fma_f32 v[136:137], v[130:131], v[122:123], v[134:135] op_sel:[0,0,1] op_sel_hi:[1,1,0] neg_lo:[0,0,1] neg_hi:[0,0,1]
	v_pk_fma_f32 v[130:131], v[130:131], v[122:123], v[134:135] op_sel:[0,0,1] op_sel_hi:[1,0,0]
	v_dual_mul_f32 v134, v133, v121 :: v_dual_mov_b32 v130, v133
	v_dual_mov_b32 v137, v131 :: v_dual_mov_b32 v131, v132
	s_delay_alu instid0(VALU_DEP_2) | instskip(SKIP_1) | instid1(VALU_DEP_3)
	v_pk_fma_f32 v[134:135], v[132:133], v[40:41], v[134:135] op_sel_hi:[1,1,0] neg_lo:[0,0,1] neg_hi:[0,0,1]
	v_mul_f32_e32 v132, v133, v122
	v_pk_add_f32 v[36:37], v[36:37], v[136:137] neg_lo:[0,1] neg_hi:[0,1]
	s_delay_alu instid0(VALU_DEP_2) | instskip(NEXT) | instid1(VALU_DEP_1)
	v_pk_fma_f32 v[130:131], v[130:131], v[40:41], v[132:133] op_sel_hi:[1,1,0]
	v_mov_b32_e32 v135, v131
	ds_load_2addr_b64 v[130:133], v124 offset0:42 offset1:43
	v_pk_add_f32 v[32:33], v[32:33], v[134:135] neg_lo:[0,1] neg_hi:[0,1]
	s_wait_dscnt 0x0
	v_pk_mul_f32 v[134:135], v[130:131], v[120:121] op_sel:[0,1]
	s_delay_alu instid0(VALU_DEP_1) | instskip(SKIP_1) | instid1(VALU_DEP_1)
	v_pk_fma_f32 v[136:137], v[130:131], v[122:123], v[134:135] op_sel:[0,0,1] op_sel_hi:[1,1,0] neg_lo:[0,0,1] neg_hi:[0,0,1]
	v_pk_fma_f32 v[130:131], v[130:131], v[122:123], v[134:135] op_sel:[0,0,1] op_sel_hi:[1,0,0]
	v_mov_b32_e32 v137, v131
	v_pk_mul_f32 v[130:131], v[132:133], v[120:121] op_sel:[0,1]
	s_delay_alu instid0(VALU_DEP_1) | instskip(SKIP_1) | instid1(VALU_DEP_1)
	v_pk_fma_f32 v[134:135], v[132:133], v[122:123], v[130:131] op_sel:[0,0,1] op_sel_hi:[1,1,0] neg_lo:[0,0,1] neg_hi:[0,0,1]
	v_pk_fma_f32 v[130:131], v[132:133], v[122:123], v[130:131] op_sel:[0,0,1] op_sel_hi:[1,0,0]
	v_mov_b32_e32 v135, v131
	ds_load_2addr_b64 v[130:133], v124 offset0:44 offset1:45
	v_pk_add_f32 v[34:35], v[34:35], v[136:137] neg_lo:[0,1] neg_hi:[0,1]
	v_pk_add_f32 v[30:31], v[30:31], v[134:135] neg_lo:[0,1] neg_hi:[0,1]
	s_wait_dscnt 0x0
	v_pk_mul_f32 v[134:135], v[130:131], v[120:121] op_sel:[0,1]
	s_delay_alu instid0(VALU_DEP_1) | instskip(SKIP_1) | instid1(VALU_DEP_1)
	v_pk_fma_f32 v[136:137], v[130:131], v[122:123], v[134:135] op_sel:[0,0,1] op_sel_hi:[1,1,0] neg_lo:[0,0,1] neg_hi:[0,0,1]
	v_pk_fma_f32 v[130:131], v[130:131], v[122:123], v[134:135] op_sel:[0,0,1] op_sel_hi:[1,0,0]
	v_mov_b32_e32 v137, v131
	v_pk_mul_f32 v[130:131], v[132:133], v[120:121] op_sel:[0,1]
	s_delay_alu instid0(VALU_DEP_1) | instskip(SKIP_1) | instid1(VALU_DEP_1)
	v_pk_fma_f32 v[134:135], v[132:133], v[122:123], v[130:131] op_sel:[0,0,1] op_sel_hi:[1,1,0] neg_lo:[0,0,1] neg_hi:[0,0,1]
	v_pk_fma_f32 v[130:131], v[132:133], v[122:123], v[130:131] op_sel:[0,0,1] op_sel_hi:[1,0,0]
	v_mov_b32_e32 v135, v131
	ds_load_2addr_b64 v[130:133], v124 offset0:46 offset1:47
	v_pk_add_f32 v[26:27], v[26:27], v[136:137] neg_lo:[0,1] neg_hi:[0,1]
	v_pk_add_f32 v[22:23], v[22:23], v[134:135] neg_lo:[0,1] neg_hi:[0,1]
	s_wait_dscnt 0x0
	v_dual_mul_f32 v134, v131, v121 :: v_dual_mul_f32 v136, v131, v122
	s_delay_alu instid0(VALU_DEP_1) | instskip(NEXT) | instid1(VALU_DEP_2)
	v_pk_fma_f32 v[134:135], v[130:131], v[40:41], v[134:135] op_sel_hi:[1,1,0] neg_lo:[0,0,1] neg_hi:[0,0,1]
	v_pk_fma_f32 v[130:131], v[130:131], v[40:41], v[136:137] op_sel:[1,0,0] op_sel_hi:[0,1,0]
	s_delay_alu instid0(VALU_DEP_1) | instskip(SKIP_1) | instid1(VALU_DEP_2)
	v_mov_b32_e32 v135, v131
	v_pk_mul_f32 v[130:131], v[132:133], v[120:121] op_sel:[0,1]
	v_pk_add_f32 v[24:25], v[24:25], v[134:135] neg_lo:[0,1] neg_hi:[0,1]
	s_delay_alu instid0(VALU_DEP_2) | instskip(SKIP_1) | instid1(VALU_DEP_1)
	v_pk_fma_f32 v[134:135], v[132:133], v[122:123], v[130:131] op_sel:[0,0,1] op_sel_hi:[1,1,0] neg_lo:[0,0,1] neg_hi:[0,0,1]
	v_pk_fma_f32 v[130:131], v[132:133], v[122:123], v[130:131] op_sel:[0,0,1] op_sel_hi:[1,0,0]
	v_mov_b32_e32 v135, v131
	ds_load_2addr_b64 v[130:133], v124 offset0:48 offset1:49
	v_pk_add_f32 v[20:21], v[20:21], v[134:135] neg_lo:[0,1] neg_hi:[0,1]
	s_wait_dscnt 0x0
	v_pk_mul_f32 v[134:135], v[130:131], v[120:121] op_sel:[0,1]
	s_delay_alu instid0(VALU_DEP_1) | instskip(SKIP_1) | instid1(VALU_DEP_1)
	v_pk_fma_f32 v[136:137], v[130:131], v[122:123], v[134:135] op_sel:[0,0,1] op_sel_hi:[1,1,0] neg_lo:[0,0,1] neg_hi:[0,0,1]
	v_pk_fma_f32 v[130:131], v[130:131], v[122:123], v[134:135] op_sel:[0,0,1] op_sel_hi:[1,0,0]
	v_mov_b32_e32 v137, v131
	v_pk_mul_f32 v[130:131], v[132:133], v[120:121] op_sel:[0,1]
	s_delay_alu instid0(VALU_DEP_2) | instskip(NEXT) | instid1(VALU_DEP_2)
	v_pk_add_f32 v[14:15], v[14:15], v[136:137] neg_lo:[0,1] neg_hi:[0,1]
	v_pk_fma_f32 v[134:135], v[132:133], v[122:123], v[130:131] op_sel:[0,0,1] op_sel_hi:[1,1,0] neg_lo:[0,0,1] neg_hi:[0,0,1]
	v_pk_fma_f32 v[130:131], v[132:133], v[122:123], v[130:131] op_sel:[0,0,1] op_sel_hi:[1,0,0]
	s_delay_alu instid0(VALU_DEP_1) | instskip(SKIP_4) | instid1(VALU_DEP_1)
	v_mov_b32_e32 v135, v131
	ds_load_2addr_b64 v[130:133], v124 offset0:50 offset1:51
	v_pk_add_f32 v[10:11], v[10:11], v[134:135] neg_lo:[0,1] neg_hi:[0,1]
	s_wait_dscnt 0x0
	v_pk_mul_f32 v[134:135], v[130:131], v[120:121] op_sel:[0,1]
	v_pk_fma_f32 v[136:137], v[130:131], v[122:123], v[134:135] op_sel:[0,0,1] op_sel_hi:[1,1,0] neg_lo:[0,0,1] neg_hi:[0,0,1]
	v_pk_fma_f32 v[130:131], v[130:131], v[122:123], v[134:135] op_sel:[0,0,1] op_sel_hi:[1,0,0]
	v_dual_mul_f32 v134, v133, v121 :: v_dual_mov_b32 v130, v133
	s_delay_alu instid0(VALU_DEP_2) | instskip(NEXT) | instid1(VALU_DEP_2)
	v_dual_mov_b32 v137, v131 :: v_dual_mov_b32 v131, v132
	v_pk_fma_f32 v[134:135], v[132:133], v[40:41], v[134:135] op_sel_hi:[1,1,0] neg_lo:[0,0,1] neg_hi:[0,0,1]
	v_mul_f32_e32 v132, v133, v122
	s_delay_alu instid0(VALU_DEP_3) | instskip(NEXT) | instid1(VALU_DEP_2)
	v_pk_add_f32 v[12:13], v[12:13], v[136:137] neg_lo:[0,1] neg_hi:[0,1]
	v_pk_fma_f32 v[130:131], v[130:131], v[40:41], v[132:133] op_sel_hi:[1,1,0]
	s_delay_alu instid0(VALU_DEP_1) | instskip(SKIP_4) | instid1(VALU_DEP_1)
	v_mov_b32_e32 v135, v131
	ds_load_2addr_b64 v[130:133], v124 offset0:52 offset1:53
	v_pk_add_f32 v[8:9], v[8:9], v[134:135] neg_lo:[0,1] neg_hi:[0,1]
	s_wait_dscnt 0x0
	v_pk_mul_f32 v[134:135], v[130:131], v[120:121] op_sel:[0,1]
	v_pk_fma_f32 v[136:137], v[130:131], v[122:123], v[134:135] op_sel:[0,0,1] op_sel_hi:[1,1,0] neg_lo:[0,0,1] neg_hi:[0,0,1]
	v_pk_fma_f32 v[130:131], v[130:131], v[122:123], v[134:135] op_sel:[0,0,1] op_sel_hi:[1,0,0]
	s_delay_alu instid0(VALU_DEP_1) | instskip(SKIP_1) | instid1(VALU_DEP_1)
	v_mov_b32_e32 v137, v131
	v_pk_mul_f32 v[130:131], v[132:133], v[120:121] op_sel:[0,1]
	v_pk_fma_f32 v[134:135], v[132:133], v[122:123], v[130:131] op_sel:[0,0,1] op_sel_hi:[1,1,0] neg_lo:[0,0,1] neg_hi:[0,0,1]
	v_pk_fma_f32 v[130:131], v[132:133], v[122:123], v[130:131] op_sel:[0,0,1] op_sel_hi:[1,0,0]
	s_delay_alu instid0(VALU_DEP_1)
	v_mov_b32_e32 v135, v131
	ds_load_2addr_b64 v[130:133], v124 offset0:54 offset1:55
	v_pk_add_f32 v[6:7], v[6:7], v[136:137] neg_lo:[0,1] neg_hi:[0,1]
	v_pk_add_f32 v[28:29], v[28:29], v[134:135] neg_lo:[0,1] neg_hi:[0,1]
	s_wait_dscnt 0x0
	v_pk_mul_f32 v[134:135], v[130:131], v[120:121] op_sel:[0,1]
	s_delay_alu instid0(VALU_DEP_1) | instskip(SKIP_1) | instid1(VALU_DEP_1)
	v_pk_fma_f32 v[136:137], v[130:131], v[122:123], v[134:135] op_sel:[0,0,1] op_sel_hi:[1,1,0] neg_lo:[0,0,1] neg_hi:[0,0,1]
	v_pk_fma_f32 v[130:131], v[130:131], v[122:123], v[134:135] op_sel:[0,0,1] op_sel_hi:[1,0,0]
	v_mov_b32_e32 v137, v131
	v_pk_mul_f32 v[130:131], v[132:133], v[120:121] op_sel:[0,1]
	s_delay_alu instid0(VALU_DEP_1) | instskip(SKIP_1) | instid1(VALU_DEP_1)
	v_pk_fma_f32 v[134:135], v[132:133], v[122:123], v[130:131] op_sel:[0,0,1] op_sel_hi:[1,1,0] neg_lo:[0,0,1] neg_hi:[0,0,1]
	v_pk_fma_f32 v[130:131], v[132:133], v[122:123], v[130:131] op_sel:[0,0,1] op_sel_hi:[1,0,0]
	v_mov_b32_e32 v135, v131
	ds_load_b64 v[130:131], v124 offset:448
	v_pk_add_f32 v[18:19], v[18:19], v[136:137] neg_lo:[0,1] neg_hi:[0,1]
	v_pk_add_f32 v[16:17], v[16:17], v[134:135] neg_lo:[0,1] neg_hi:[0,1]
	s_wait_dscnt 0x0
	v_pk_mul_f32 v[120:121], v[130:131], v[120:121] op_sel:[0,1]
	s_delay_alu instid0(VALU_DEP_1) | instskip(SKIP_1) | instid1(VALU_DEP_1)
	v_pk_fma_f32 v[132:133], v[130:131], v[122:123], v[120:121] op_sel:[0,0,1] op_sel_hi:[1,1,0] neg_lo:[0,0,1] neg_hi:[0,0,1]
	v_pk_fma_f32 v[120:121], v[130:131], v[122:123], v[120:121] op_sel:[0,0,1] op_sel_hi:[1,0,0]
	v_mov_b32_e32 v133, v121
	s_delay_alu instid0(VALU_DEP_1)
	v_pk_add_f32 v[118:119], v[118:119], v[132:133] neg_lo:[0,1] neg_hi:[0,1]
.LBB112_797:
	s_or_b32 exec_lo, exec_lo, s0
	v_lshl_add_u32 v120, v128, 3, v124
	s_barrier_signal -1
	s_barrier_wait -1
	ds_store_b64 v120, v[42:43]
	s_wait_dscnt 0x0
	s_barrier_signal -1
	s_barrier_wait -1
	ds_load_b64 v[120:121], v124 offset:304
	v_mov_b32_e32 v122, 38
	s_cmp_lt_i32 s18, 40
	s_cbranch_scc1 .LBB112_800
; %bb.798:
	v_add3_u32 v123, v125, 0, 0x138
	v_mov_b32_e32 v122, 38
	s_mov_b32 s0, 39
.LBB112_799:                            ; =>This Inner Loop Header: Depth=1
	ds_load_b64 v[130:131], v123
	s_wait_dscnt 0x1
	v_cmp_gt_f32_e32 vcc_lo, 0, v120
	v_cndmask_b32_e64 v132, v120, -v120, vcc_lo
	v_cmp_gt_f32_e32 vcc_lo, 0, v121
	v_cndmask_b32_e64 v134, v121, -v121, vcc_lo
	s_wait_dscnt 0x0
	v_cmp_gt_f32_e32 vcc_lo, 0, v130
	v_cndmask_b32_e64 v133, v130, -v130, vcc_lo
	v_cmp_gt_f32_e32 vcc_lo, 0, v131
	v_cndmask_b32_e64 v135, v131, -v131, vcc_lo
	s_delay_alu instid0(VALU_DEP_1) | instskip(NEXT) | instid1(VALU_DEP_1)
	v_pk_add_f32 v[132:133], v[132:133], v[134:135]
	v_cmp_lt_f32_e32 vcc_lo, v132, v133
	v_dual_cndmask_b32 v120, v120, v130 :: v_dual_add_nc_u32 v123, 8, v123
	v_cndmask_b32_e32 v121, v121, v131, vcc_lo
	v_cndmask_b32_e64 v122, v122, s0, vcc_lo
	s_add_co_i32 s0, s0, 1
	s_delay_alu instid0(SALU_CYCLE_1)
	s_cmp_lg_u32 s18, s0
	s_cbranch_scc1 .LBB112_799
.LBB112_800:
	s_wait_dscnt 0x0
	v_cmp_eq_f32_e32 vcc_lo, 0, v120
	v_cmp_eq_f32_e64 s0, 0, v121
	s_and_b32 s0, vcc_lo, s0
	s_delay_alu instid0(SALU_CYCLE_1) | instskip(NEXT) | instid1(SALU_CYCLE_1)
	s_and_saveexec_b32 s1, s0
	s_xor_b32 s0, exec_lo, s1
; %bb.801:
	v_cmp_ne_u32_e32 vcc_lo, 0, v126
	v_cndmask_b32_e32 v126, 39, v126, vcc_lo
; %bb.802:
	s_and_not1_saveexec_b32 s0, s0
	s_cbranch_execz .LBB112_808
; %bb.803:
	v_cmp_ngt_f32_e64 s1, |v120|, |v121|
	s_and_saveexec_b32 s12, s1
	s_delay_alu instid0(SALU_CYCLE_1)
	s_xor_b32 s1, exec_lo, s12
	s_cbranch_execz .LBB112_805
; %bb.804:
	v_div_scale_f32 v123, null, v121, v121, v120
	v_div_scale_f32 v131, vcc_lo, v120, v121, v120
	s_delay_alu instid0(VALU_DEP_2) | instskip(SKIP_1) | instid1(TRANS32_DEP_1)
	v_rcp_f32_e32 v129, v123
	v_nop
	v_fma_f32 v130, -v123, v129, 1.0
	s_delay_alu instid0(VALU_DEP_1) | instskip(NEXT) | instid1(VALU_DEP_1)
	v_fmac_f32_e32 v129, v130, v129
	v_mul_f32_e32 v130, v131, v129
	s_delay_alu instid0(VALU_DEP_1) | instskip(NEXT) | instid1(VALU_DEP_1)
	v_fma_f32 v132, -v123, v130, v131
	v_fmac_f32_e32 v130, v132, v129
	s_delay_alu instid0(VALU_DEP_1) | instskip(NEXT) | instid1(VALU_DEP_1)
	v_fma_f32 v123, -v123, v130, v131
	v_div_fmas_f32 v123, v123, v129, v130
	s_delay_alu instid0(VALU_DEP_1) | instskip(NEXT) | instid1(VALU_DEP_1)
	v_div_fixup_f32 v123, v123, v121, v120
	v_fmac_f32_e32 v121, v120, v123
	s_delay_alu instid0(VALU_DEP_1) | instskip(SKIP_1) | instid1(VALU_DEP_2)
	v_div_scale_f32 v120, null, v121, v121, 1.0
	v_div_scale_f32 v131, vcc_lo, 1.0, v121, 1.0
	v_rcp_f32_e32 v129, v120
	v_nop
	s_delay_alu instid0(TRANS32_DEP_1) | instskip(NEXT) | instid1(VALU_DEP_1)
	v_fma_f32 v130, -v120, v129, 1.0
	v_fmac_f32_e32 v129, v130, v129
	s_delay_alu instid0(VALU_DEP_1) | instskip(NEXT) | instid1(VALU_DEP_1)
	v_mul_f32_e32 v130, v131, v129
	v_fma_f32 v132, -v120, v130, v131
	s_delay_alu instid0(VALU_DEP_1) | instskip(NEXT) | instid1(VALU_DEP_1)
	v_fmac_f32_e32 v130, v132, v129
	v_fma_f32 v120, -v120, v130, v131
	s_delay_alu instid0(VALU_DEP_1) | instskip(NEXT) | instid1(VALU_DEP_1)
	v_div_fmas_f32 v120, v120, v129, v130
	v_div_fixup_f32 v121, v120, v121, 1.0
	s_delay_alu instid0(VALU_DEP_1)
	v_mul_f32_e32 v120, v123, v121
	v_xor_b32_e32 v121, 0x80000000, v121
.LBB112_805:
	s_and_not1_saveexec_b32 s1, s1
	s_cbranch_execz .LBB112_807
; %bb.806:
	s_delay_alu instid0(VALU_DEP_1) | instskip(SKIP_1) | instid1(VALU_DEP_2)
	v_div_scale_f32 v123, null, v120, v120, v121
	v_div_scale_f32 v131, vcc_lo, v121, v120, v121
	v_rcp_f32_e32 v129, v123
	v_nop
	s_delay_alu instid0(TRANS32_DEP_1) | instskip(NEXT) | instid1(VALU_DEP_1)
	v_fma_f32 v130, -v123, v129, 1.0
	v_fmac_f32_e32 v129, v130, v129
	s_delay_alu instid0(VALU_DEP_1) | instskip(NEXT) | instid1(VALU_DEP_1)
	v_mul_f32_e32 v130, v131, v129
	v_fma_f32 v132, -v123, v130, v131
	s_delay_alu instid0(VALU_DEP_1) | instskip(NEXT) | instid1(VALU_DEP_1)
	v_fmac_f32_e32 v130, v132, v129
	v_fma_f32 v123, -v123, v130, v131
	s_delay_alu instid0(VALU_DEP_1) | instskip(NEXT) | instid1(VALU_DEP_1)
	v_div_fmas_f32 v123, v123, v129, v130
	v_div_fixup_f32 v123, v123, v120, v121
	s_delay_alu instid0(VALU_DEP_1) | instskip(NEXT) | instid1(VALU_DEP_1)
	v_fmac_f32_e32 v120, v121, v123
	v_div_scale_f32 v121, null, v120, v120, 1.0
	s_delay_alu instid0(VALU_DEP_1) | instskip(SKIP_1) | instid1(TRANS32_DEP_1)
	v_rcp_f32_e32 v129, v121
	v_nop
	v_fma_f32 v130, -v121, v129, 1.0
	s_delay_alu instid0(VALU_DEP_1) | instskip(SKIP_1) | instid1(VALU_DEP_1)
	v_fmac_f32_e32 v129, v130, v129
	v_div_scale_f32 v130, vcc_lo, 1.0, v120, 1.0
	v_mul_f32_e32 v131, v130, v129
	s_delay_alu instid0(VALU_DEP_1) | instskip(NEXT) | instid1(VALU_DEP_1)
	v_fma_f32 v132, -v121, v131, v130
	v_fmac_f32_e32 v131, v132, v129
	s_delay_alu instid0(VALU_DEP_1) | instskip(NEXT) | instid1(VALU_DEP_1)
	v_fma_f32 v121, -v121, v131, v130
	v_div_fmas_f32 v121, v121, v129, v131
	s_delay_alu instid0(VALU_DEP_1) | instskip(NEXT) | instid1(VALU_DEP_1)
	v_div_fixup_f32 v120, v121, v120, 1.0
	v_mul_f32_e64 v121, v123, -v120
.LBB112_807:
	s_or_b32 exec_lo, exec_lo, s1
.LBB112_808:
	s_delay_alu instid0(SALU_CYCLE_1) | instskip(NEXT) | instid1(SALU_CYCLE_1)
	s_or_b32 exec_lo, exec_lo, s0
	s_mov_b32 s0, exec_lo
	v_cmpx_ne_u32_e64 v128, v122
	s_xor_b32 s0, exec_lo, s0
	s_cbranch_execz .LBB112_814
; %bb.809:
	s_mov_b32 s1, exec_lo
	v_cmpx_eq_u32_e32 38, v128
	s_cbranch_execz .LBB112_813
; %bb.810:
	v_cmp_ne_u32_e32 vcc_lo, 38, v122
	s_xor_b32 s12, s16, -1
	s_delay_alu instid0(SALU_CYCLE_1) | instskip(NEXT) | instid1(SALU_CYCLE_1)
	s_and_b32 s13, s12, vcc_lo
	s_and_saveexec_b32 s12, s13
	s_cbranch_execz .LBB112_812
; %bb.811:
	v_ashrrev_i32_e32 v123, 31, v122
	s_delay_alu instid0(VALU_DEP_1)
	v_lshl_add_u64 v[128:129], v[122:123], 2, v[4:5]
	s_clause 0x1
	global_load_b32 v123, v[128:129], off
	global_load_b32 v127, v[4:5], off offset:152
	s_wait_loadcnt 0x1
	global_store_b32 v[4:5], v123, off offset:152
	s_wait_loadcnt 0x0
	global_store_b32 v[128:129], v127, off
.LBB112_812:
	s_wait_xcnt 0x0
	s_or_b32 exec_lo, exec_lo, s12
	v_dual_mov_b32 v128, v122 :: v_dual_mov_b32 v127, v122
.LBB112_813:
	s_or_b32 exec_lo, exec_lo, s1
.LBB112_814:
	s_and_not1_saveexec_b32 s0, s0
	s_cbranch_execz .LBB112_816
; %bb.815:
	v_mov_b32_e32 v128, 38
	ds_store_2addr_b64 v124, v[38:39], v[36:37] offset0:39 offset1:40
	ds_store_2addr_b64 v124, v[32:33], v[34:35] offset0:41 offset1:42
	;; [unrolled: 1-line block ×9, first 2 shown]
.LBB112_816:
	s_or_b32 exec_lo, exec_lo, s0
	s_delay_alu instid0(SALU_CYCLE_1)
	s_mov_b32 s0, exec_lo
	s_wait_storecnt_dscnt 0x0
	s_barrier_signal -1
	s_barrier_wait -1
	v_cmpx_lt_i32_e32 38, v128
	s_cbranch_execz .LBB112_818
; %bb.817:
	v_pk_mul_f32 v[130:131], v[120:121], v[42:43] op_sel:[1,1] op_sel_hi:[0,1]
	s_delay_alu instid0(VALU_DEP_1)
	v_pk_fma_f32 v[122:123], v[120:121], v[42:43], v[130:131] op_sel_hi:[1,0,1] neg_lo:[0,0,1] neg_hi:[0,0,1]
	v_pk_fma_f32 v[120:121], v[120:121], v[42:43], v[130:131] op_sel_hi:[1,0,1]
	ds_load_2addr_b64 v[130:133], v124 offset0:39 offset1:40
	v_dual_mov_b32 v42, v122 :: v_dual_mov_b32 v43, v121
	s_wait_dscnt 0x0
	v_pk_mul_f32 v[134:135], v[130:131], v[120:121] op_sel:[0,1]
	s_delay_alu instid0(VALU_DEP_1) | instskip(SKIP_1) | instid1(VALU_DEP_1)
	v_pk_fma_f32 v[136:137], v[130:131], v[122:123], v[134:135] op_sel:[0,0,1] op_sel_hi:[1,1,0] neg_lo:[0,0,1] neg_hi:[0,0,1]
	v_pk_fma_f32 v[130:131], v[130:131], v[122:123], v[134:135] op_sel:[0,0,1] op_sel_hi:[1,0,0]
	v_mov_b32_e32 v137, v131
	v_pk_mul_f32 v[130:131], v[132:133], v[120:121] op_sel:[0,1]
	s_delay_alu instid0(VALU_DEP_1) | instskip(SKIP_1) | instid1(VALU_DEP_1)
	v_pk_fma_f32 v[134:135], v[132:133], v[122:123], v[130:131] op_sel:[0,0,1] op_sel_hi:[1,1,0] neg_lo:[0,0,1] neg_hi:[0,0,1]
	v_pk_fma_f32 v[130:131], v[132:133], v[122:123], v[130:131] op_sel:[0,0,1] op_sel_hi:[1,0,0]
	v_mov_b32_e32 v135, v131
	ds_load_2addr_b64 v[130:133], v124 offset0:41 offset1:42
	v_pk_add_f32 v[38:39], v[38:39], v[136:137] neg_lo:[0,1] neg_hi:[0,1]
	v_pk_add_f32 v[36:37], v[36:37], v[134:135] neg_lo:[0,1] neg_hi:[0,1]
	s_wait_dscnt 0x0
	v_pk_mul_f32 v[134:135], v[130:131], v[120:121] op_sel:[0,1]
	s_delay_alu instid0(VALU_DEP_1) | instskip(SKIP_2) | instid1(VALU_DEP_2)
	v_pk_fma_f32 v[136:137], v[130:131], v[122:123], v[134:135] op_sel:[0,0,1] op_sel_hi:[1,1,0] neg_lo:[0,0,1] neg_hi:[0,0,1]
	v_pk_fma_f32 v[130:131], v[130:131], v[122:123], v[134:135] op_sel:[0,0,1] op_sel_hi:[1,0,0]
	v_dual_mul_f32 v134, v133, v121 :: v_dual_mov_b32 v130, v133
	v_dual_mov_b32 v137, v131 :: v_dual_mov_b32 v131, v132
	s_delay_alu instid0(VALU_DEP_2) | instskip(SKIP_1) | instid1(VALU_DEP_3)
	v_pk_fma_f32 v[134:135], v[132:133], v[42:43], v[134:135] op_sel_hi:[1,1,0] neg_lo:[0,0,1] neg_hi:[0,0,1]
	v_mul_f32_e32 v132, v133, v122
	v_pk_add_f32 v[32:33], v[32:33], v[136:137] neg_lo:[0,1] neg_hi:[0,1]
	s_delay_alu instid0(VALU_DEP_2) | instskip(NEXT) | instid1(VALU_DEP_1)
	v_pk_fma_f32 v[130:131], v[130:131], v[42:43], v[132:133] op_sel_hi:[1,1,0]
	v_mov_b32_e32 v135, v131
	ds_load_2addr_b64 v[130:133], v124 offset0:43 offset1:44
	v_pk_add_f32 v[34:35], v[34:35], v[134:135] neg_lo:[0,1] neg_hi:[0,1]
	s_wait_dscnt 0x0
	v_pk_mul_f32 v[134:135], v[130:131], v[120:121] op_sel:[0,1]
	s_delay_alu instid0(VALU_DEP_1) | instskip(SKIP_1) | instid1(VALU_DEP_1)
	v_pk_fma_f32 v[136:137], v[130:131], v[122:123], v[134:135] op_sel:[0,0,1] op_sel_hi:[1,1,0] neg_lo:[0,0,1] neg_hi:[0,0,1]
	v_pk_fma_f32 v[130:131], v[130:131], v[122:123], v[134:135] op_sel:[0,0,1] op_sel_hi:[1,0,0]
	v_mov_b32_e32 v137, v131
	v_pk_mul_f32 v[130:131], v[132:133], v[120:121] op_sel:[0,1]
	s_delay_alu instid0(VALU_DEP_1) | instskip(SKIP_1) | instid1(VALU_DEP_1)
	v_pk_fma_f32 v[134:135], v[132:133], v[122:123], v[130:131] op_sel:[0,0,1] op_sel_hi:[1,1,0] neg_lo:[0,0,1] neg_hi:[0,0,1]
	v_pk_fma_f32 v[130:131], v[132:133], v[122:123], v[130:131] op_sel:[0,0,1] op_sel_hi:[1,0,0]
	v_mov_b32_e32 v135, v131
	ds_load_2addr_b64 v[130:133], v124 offset0:45 offset1:46
	v_pk_add_f32 v[30:31], v[30:31], v[136:137] neg_lo:[0,1] neg_hi:[0,1]
	v_pk_add_f32 v[26:27], v[26:27], v[134:135] neg_lo:[0,1] neg_hi:[0,1]
	s_wait_dscnt 0x0
	v_pk_mul_f32 v[134:135], v[130:131], v[120:121] op_sel:[0,1]
	s_delay_alu instid0(VALU_DEP_1) | instskip(SKIP_1) | instid1(VALU_DEP_1)
	v_pk_fma_f32 v[136:137], v[130:131], v[122:123], v[134:135] op_sel:[0,0,1] op_sel_hi:[1,1,0] neg_lo:[0,0,1] neg_hi:[0,0,1]
	v_pk_fma_f32 v[130:131], v[130:131], v[122:123], v[134:135] op_sel:[0,0,1] op_sel_hi:[1,0,0]
	v_mov_b32_e32 v137, v131
	v_pk_mul_f32 v[130:131], v[132:133], v[120:121] op_sel:[0,1]
	s_delay_alu instid0(VALU_DEP_1) | instskip(SKIP_1) | instid1(VALU_DEP_1)
	v_pk_fma_f32 v[134:135], v[132:133], v[122:123], v[130:131] op_sel:[0,0,1] op_sel_hi:[1,1,0] neg_lo:[0,0,1] neg_hi:[0,0,1]
	v_pk_fma_f32 v[130:131], v[132:133], v[122:123], v[130:131] op_sel:[0,0,1] op_sel_hi:[1,0,0]
	v_mov_b32_e32 v135, v131
	ds_load_2addr_b64 v[130:133], v124 offset0:47 offset1:48
	v_pk_add_f32 v[22:23], v[22:23], v[136:137] neg_lo:[0,1] neg_hi:[0,1]
	v_pk_add_f32 v[24:25], v[24:25], v[134:135] neg_lo:[0,1] neg_hi:[0,1]
	s_wait_dscnt 0x0
	v_dual_mul_f32 v134, v131, v121 :: v_dual_mul_f32 v136, v131, v122
	s_delay_alu instid0(VALU_DEP_1) | instskip(NEXT) | instid1(VALU_DEP_2)
	v_pk_fma_f32 v[134:135], v[130:131], v[42:43], v[134:135] op_sel_hi:[1,1,0] neg_lo:[0,0,1] neg_hi:[0,0,1]
	v_pk_fma_f32 v[130:131], v[130:131], v[42:43], v[136:137] op_sel:[1,0,0] op_sel_hi:[0,1,0]
	s_delay_alu instid0(VALU_DEP_1) | instskip(SKIP_1) | instid1(VALU_DEP_2)
	v_mov_b32_e32 v135, v131
	v_pk_mul_f32 v[130:131], v[132:133], v[120:121] op_sel:[0,1]
	v_pk_add_f32 v[20:21], v[20:21], v[134:135] neg_lo:[0,1] neg_hi:[0,1]
	s_delay_alu instid0(VALU_DEP_2) | instskip(SKIP_1) | instid1(VALU_DEP_1)
	v_pk_fma_f32 v[134:135], v[132:133], v[122:123], v[130:131] op_sel:[0,0,1] op_sel_hi:[1,1,0] neg_lo:[0,0,1] neg_hi:[0,0,1]
	v_pk_fma_f32 v[130:131], v[132:133], v[122:123], v[130:131] op_sel:[0,0,1] op_sel_hi:[1,0,0]
	v_mov_b32_e32 v135, v131
	ds_load_2addr_b64 v[130:133], v124 offset0:49 offset1:50
	v_pk_add_f32 v[14:15], v[14:15], v[134:135] neg_lo:[0,1] neg_hi:[0,1]
	s_wait_dscnt 0x0
	v_pk_mul_f32 v[134:135], v[130:131], v[120:121] op_sel:[0,1]
	s_delay_alu instid0(VALU_DEP_1) | instskip(SKIP_1) | instid1(VALU_DEP_1)
	v_pk_fma_f32 v[136:137], v[130:131], v[122:123], v[134:135] op_sel:[0,0,1] op_sel_hi:[1,1,0] neg_lo:[0,0,1] neg_hi:[0,0,1]
	v_pk_fma_f32 v[130:131], v[130:131], v[122:123], v[134:135] op_sel:[0,0,1] op_sel_hi:[1,0,0]
	v_mov_b32_e32 v137, v131
	v_pk_mul_f32 v[130:131], v[132:133], v[120:121] op_sel:[0,1]
	s_delay_alu instid0(VALU_DEP_2) | instskip(NEXT) | instid1(VALU_DEP_2)
	v_pk_add_f32 v[10:11], v[10:11], v[136:137] neg_lo:[0,1] neg_hi:[0,1]
	v_pk_fma_f32 v[134:135], v[132:133], v[122:123], v[130:131] op_sel:[0,0,1] op_sel_hi:[1,1,0] neg_lo:[0,0,1] neg_hi:[0,0,1]
	v_pk_fma_f32 v[130:131], v[132:133], v[122:123], v[130:131] op_sel:[0,0,1] op_sel_hi:[1,0,0]
	s_delay_alu instid0(VALU_DEP_1) | instskip(SKIP_4) | instid1(VALU_DEP_1)
	v_mov_b32_e32 v135, v131
	ds_load_2addr_b64 v[130:133], v124 offset0:51 offset1:52
	v_pk_add_f32 v[12:13], v[12:13], v[134:135] neg_lo:[0,1] neg_hi:[0,1]
	s_wait_dscnt 0x0
	v_pk_mul_f32 v[134:135], v[130:131], v[120:121] op_sel:[0,1]
	v_pk_fma_f32 v[136:137], v[130:131], v[122:123], v[134:135] op_sel:[0,0,1] op_sel_hi:[1,1,0] neg_lo:[0,0,1] neg_hi:[0,0,1]
	v_pk_fma_f32 v[130:131], v[130:131], v[122:123], v[134:135] op_sel:[0,0,1] op_sel_hi:[1,0,0]
	v_dual_mul_f32 v134, v133, v121 :: v_dual_mov_b32 v130, v133
	s_delay_alu instid0(VALU_DEP_2) | instskip(NEXT) | instid1(VALU_DEP_2)
	v_dual_mov_b32 v137, v131 :: v_dual_mov_b32 v131, v132
	v_pk_fma_f32 v[134:135], v[132:133], v[42:43], v[134:135] op_sel_hi:[1,1,0] neg_lo:[0,0,1] neg_hi:[0,0,1]
	v_mul_f32_e32 v132, v133, v122
	s_delay_alu instid0(VALU_DEP_3) | instskip(NEXT) | instid1(VALU_DEP_2)
	v_pk_add_f32 v[8:9], v[8:9], v[136:137] neg_lo:[0,1] neg_hi:[0,1]
	v_pk_fma_f32 v[130:131], v[130:131], v[42:43], v[132:133] op_sel_hi:[1,1,0]
	s_delay_alu instid0(VALU_DEP_1) | instskip(SKIP_4) | instid1(VALU_DEP_1)
	v_mov_b32_e32 v135, v131
	ds_load_2addr_b64 v[130:133], v124 offset0:53 offset1:54
	v_pk_add_f32 v[6:7], v[6:7], v[134:135] neg_lo:[0,1] neg_hi:[0,1]
	s_wait_dscnt 0x0
	v_pk_mul_f32 v[134:135], v[130:131], v[120:121] op_sel:[0,1]
	v_pk_fma_f32 v[136:137], v[130:131], v[122:123], v[134:135] op_sel:[0,0,1] op_sel_hi:[1,1,0] neg_lo:[0,0,1] neg_hi:[0,0,1]
	v_pk_fma_f32 v[130:131], v[130:131], v[122:123], v[134:135] op_sel:[0,0,1] op_sel_hi:[1,0,0]
	s_delay_alu instid0(VALU_DEP_1) | instskip(SKIP_1) | instid1(VALU_DEP_1)
	v_mov_b32_e32 v137, v131
	v_pk_mul_f32 v[130:131], v[132:133], v[120:121] op_sel:[0,1]
	v_pk_fma_f32 v[134:135], v[132:133], v[122:123], v[130:131] op_sel:[0,0,1] op_sel_hi:[1,1,0] neg_lo:[0,0,1] neg_hi:[0,0,1]
	v_pk_fma_f32 v[130:131], v[132:133], v[122:123], v[130:131] op_sel:[0,0,1] op_sel_hi:[1,0,0]
	s_delay_alu instid0(VALU_DEP_1)
	v_mov_b32_e32 v135, v131
	ds_load_2addr_b64 v[130:133], v124 offset0:55 offset1:56
	v_pk_add_f32 v[28:29], v[28:29], v[136:137] neg_lo:[0,1] neg_hi:[0,1]
	v_pk_add_f32 v[18:19], v[18:19], v[134:135] neg_lo:[0,1] neg_hi:[0,1]
	s_wait_dscnt 0x0
	v_pk_mul_f32 v[134:135], v[130:131], v[120:121] op_sel:[0,1]
	v_mul_f32_e32 v120, v133, v121
	s_delay_alu instid0(VALU_DEP_2) | instskip(SKIP_2) | instid1(VALU_DEP_4)
	v_pk_fma_f32 v[136:137], v[130:131], v[122:123], v[134:135] op_sel:[0,0,1] op_sel_hi:[1,1,0] neg_lo:[0,0,1] neg_hi:[0,0,1]
	v_pk_fma_f32 v[130:131], v[130:131], v[122:123], v[134:135] op_sel:[0,0,1] op_sel_hi:[1,0,0]
	v_dual_mov_b32 v130, v133 :: v_dual_mul_f32 v122, v133, v122
	v_pk_fma_f32 v[120:121], v[132:133], v[42:43], v[120:121] op_sel_hi:[1,1,0] neg_lo:[0,0,1] neg_hi:[0,0,1]
	s_delay_alu instid0(VALU_DEP_3) | instskip(NEXT) | instid1(VALU_DEP_1)
	v_dual_mov_b32 v137, v131 :: v_dual_mov_b32 v131, v132
	v_pk_add_f32 v[16:17], v[16:17], v[136:137] neg_lo:[0,1] neg_hi:[0,1]
	s_delay_alu instid0(VALU_DEP_2) | instskip(NEXT) | instid1(VALU_DEP_1)
	v_pk_fma_f32 v[122:123], v[130:131], v[42:43], v[122:123] op_sel_hi:[1,1,0]
	v_mov_b32_e32 v121, v123
	s_delay_alu instid0(VALU_DEP_1)
	v_pk_add_f32 v[118:119], v[118:119], v[120:121] neg_lo:[0,1] neg_hi:[0,1]
.LBB112_818:
	s_or_b32 exec_lo, exec_lo, s0
	v_lshl_add_u32 v120, v128, 3, v124
	s_barrier_signal -1
	s_barrier_wait -1
	ds_store_b64 v120, v[38:39]
	s_wait_dscnt 0x0
	s_barrier_signal -1
	s_barrier_wait -1
	ds_load_b64 v[120:121], v124 offset:312
	v_mov_b32_e32 v122, 39
	s_cmp_lt_i32 s18, 41
	s_cbranch_scc1 .LBB112_821
; %bb.819:
	v_add3_u32 v123, v125, 0, 0x140
	v_mov_b32_e32 v122, 39
	s_mov_b32 s0, 40
.LBB112_820:                            ; =>This Inner Loop Header: Depth=1
	ds_load_b64 v[130:131], v123
	s_wait_dscnt 0x1
	v_cmp_gt_f32_e32 vcc_lo, 0, v120
	v_cndmask_b32_e64 v132, v120, -v120, vcc_lo
	v_cmp_gt_f32_e32 vcc_lo, 0, v121
	v_cndmask_b32_e64 v134, v121, -v121, vcc_lo
	s_wait_dscnt 0x0
	v_cmp_gt_f32_e32 vcc_lo, 0, v130
	v_cndmask_b32_e64 v133, v130, -v130, vcc_lo
	v_cmp_gt_f32_e32 vcc_lo, 0, v131
	v_cndmask_b32_e64 v135, v131, -v131, vcc_lo
	s_delay_alu instid0(VALU_DEP_1) | instskip(NEXT) | instid1(VALU_DEP_1)
	v_pk_add_f32 v[132:133], v[132:133], v[134:135]
	v_cmp_lt_f32_e32 vcc_lo, v132, v133
	v_dual_cndmask_b32 v120, v120, v130 :: v_dual_add_nc_u32 v123, 8, v123
	v_cndmask_b32_e32 v121, v121, v131, vcc_lo
	v_cndmask_b32_e64 v122, v122, s0, vcc_lo
	s_add_co_i32 s0, s0, 1
	s_delay_alu instid0(SALU_CYCLE_1)
	s_cmp_lg_u32 s18, s0
	s_cbranch_scc1 .LBB112_820
.LBB112_821:
	s_wait_dscnt 0x0
	v_cmp_eq_f32_e32 vcc_lo, 0, v120
	v_cmp_eq_f32_e64 s0, 0, v121
	s_and_b32 s0, vcc_lo, s0
	s_delay_alu instid0(SALU_CYCLE_1) | instskip(NEXT) | instid1(SALU_CYCLE_1)
	s_and_saveexec_b32 s1, s0
	s_xor_b32 s0, exec_lo, s1
; %bb.822:
	v_cmp_ne_u32_e32 vcc_lo, 0, v126
	v_cndmask_b32_e32 v126, 40, v126, vcc_lo
; %bb.823:
	s_and_not1_saveexec_b32 s0, s0
	s_cbranch_execz .LBB112_829
; %bb.824:
	v_cmp_ngt_f32_e64 s1, |v120|, |v121|
	s_and_saveexec_b32 s12, s1
	s_delay_alu instid0(SALU_CYCLE_1)
	s_xor_b32 s1, exec_lo, s12
	s_cbranch_execz .LBB112_826
; %bb.825:
	v_div_scale_f32 v123, null, v121, v121, v120
	v_div_scale_f32 v131, vcc_lo, v120, v121, v120
	s_delay_alu instid0(VALU_DEP_2) | instskip(SKIP_1) | instid1(TRANS32_DEP_1)
	v_rcp_f32_e32 v129, v123
	v_nop
	v_fma_f32 v130, -v123, v129, 1.0
	s_delay_alu instid0(VALU_DEP_1) | instskip(NEXT) | instid1(VALU_DEP_1)
	v_fmac_f32_e32 v129, v130, v129
	v_mul_f32_e32 v130, v131, v129
	s_delay_alu instid0(VALU_DEP_1) | instskip(NEXT) | instid1(VALU_DEP_1)
	v_fma_f32 v132, -v123, v130, v131
	v_fmac_f32_e32 v130, v132, v129
	s_delay_alu instid0(VALU_DEP_1) | instskip(NEXT) | instid1(VALU_DEP_1)
	v_fma_f32 v123, -v123, v130, v131
	v_div_fmas_f32 v123, v123, v129, v130
	s_delay_alu instid0(VALU_DEP_1) | instskip(NEXT) | instid1(VALU_DEP_1)
	v_div_fixup_f32 v123, v123, v121, v120
	v_fmac_f32_e32 v121, v120, v123
	s_delay_alu instid0(VALU_DEP_1) | instskip(SKIP_1) | instid1(VALU_DEP_2)
	v_div_scale_f32 v120, null, v121, v121, 1.0
	v_div_scale_f32 v131, vcc_lo, 1.0, v121, 1.0
	v_rcp_f32_e32 v129, v120
	v_nop
	s_delay_alu instid0(TRANS32_DEP_1) | instskip(NEXT) | instid1(VALU_DEP_1)
	v_fma_f32 v130, -v120, v129, 1.0
	v_fmac_f32_e32 v129, v130, v129
	s_delay_alu instid0(VALU_DEP_1) | instskip(NEXT) | instid1(VALU_DEP_1)
	v_mul_f32_e32 v130, v131, v129
	v_fma_f32 v132, -v120, v130, v131
	s_delay_alu instid0(VALU_DEP_1) | instskip(NEXT) | instid1(VALU_DEP_1)
	v_fmac_f32_e32 v130, v132, v129
	v_fma_f32 v120, -v120, v130, v131
	s_delay_alu instid0(VALU_DEP_1) | instskip(NEXT) | instid1(VALU_DEP_1)
	v_div_fmas_f32 v120, v120, v129, v130
	v_div_fixup_f32 v121, v120, v121, 1.0
	s_delay_alu instid0(VALU_DEP_1)
	v_mul_f32_e32 v120, v123, v121
	v_xor_b32_e32 v121, 0x80000000, v121
.LBB112_826:
	s_and_not1_saveexec_b32 s1, s1
	s_cbranch_execz .LBB112_828
; %bb.827:
	s_delay_alu instid0(VALU_DEP_1) | instskip(SKIP_1) | instid1(VALU_DEP_2)
	v_div_scale_f32 v123, null, v120, v120, v121
	v_div_scale_f32 v131, vcc_lo, v121, v120, v121
	v_rcp_f32_e32 v129, v123
	v_nop
	s_delay_alu instid0(TRANS32_DEP_1) | instskip(NEXT) | instid1(VALU_DEP_1)
	v_fma_f32 v130, -v123, v129, 1.0
	v_fmac_f32_e32 v129, v130, v129
	s_delay_alu instid0(VALU_DEP_1) | instskip(NEXT) | instid1(VALU_DEP_1)
	v_mul_f32_e32 v130, v131, v129
	v_fma_f32 v132, -v123, v130, v131
	s_delay_alu instid0(VALU_DEP_1) | instskip(NEXT) | instid1(VALU_DEP_1)
	v_fmac_f32_e32 v130, v132, v129
	v_fma_f32 v123, -v123, v130, v131
	s_delay_alu instid0(VALU_DEP_1) | instskip(NEXT) | instid1(VALU_DEP_1)
	v_div_fmas_f32 v123, v123, v129, v130
	v_div_fixup_f32 v123, v123, v120, v121
	s_delay_alu instid0(VALU_DEP_1) | instskip(NEXT) | instid1(VALU_DEP_1)
	v_fmac_f32_e32 v120, v121, v123
	v_div_scale_f32 v121, null, v120, v120, 1.0
	s_delay_alu instid0(VALU_DEP_1) | instskip(SKIP_1) | instid1(TRANS32_DEP_1)
	v_rcp_f32_e32 v129, v121
	v_nop
	v_fma_f32 v130, -v121, v129, 1.0
	s_delay_alu instid0(VALU_DEP_1) | instskip(SKIP_1) | instid1(VALU_DEP_1)
	v_fmac_f32_e32 v129, v130, v129
	v_div_scale_f32 v130, vcc_lo, 1.0, v120, 1.0
	v_mul_f32_e32 v131, v130, v129
	s_delay_alu instid0(VALU_DEP_1) | instskip(NEXT) | instid1(VALU_DEP_1)
	v_fma_f32 v132, -v121, v131, v130
	v_fmac_f32_e32 v131, v132, v129
	s_delay_alu instid0(VALU_DEP_1) | instskip(NEXT) | instid1(VALU_DEP_1)
	v_fma_f32 v121, -v121, v131, v130
	v_div_fmas_f32 v121, v121, v129, v131
	s_delay_alu instid0(VALU_DEP_1) | instskip(NEXT) | instid1(VALU_DEP_1)
	v_div_fixup_f32 v120, v121, v120, 1.0
	v_mul_f32_e64 v121, v123, -v120
.LBB112_828:
	s_or_b32 exec_lo, exec_lo, s1
.LBB112_829:
	s_delay_alu instid0(SALU_CYCLE_1) | instskip(NEXT) | instid1(SALU_CYCLE_1)
	s_or_b32 exec_lo, exec_lo, s0
	s_mov_b32 s0, exec_lo
	v_cmpx_ne_u32_e64 v128, v122
	s_xor_b32 s0, exec_lo, s0
	s_cbranch_execz .LBB112_835
; %bb.830:
	s_mov_b32 s1, exec_lo
	v_cmpx_eq_u32_e32 39, v128
	s_cbranch_execz .LBB112_834
; %bb.831:
	v_cmp_ne_u32_e32 vcc_lo, 39, v122
	s_xor_b32 s12, s16, -1
	s_delay_alu instid0(SALU_CYCLE_1) | instskip(NEXT) | instid1(SALU_CYCLE_1)
	s_and_b32 s13, s12, vcc_lo
	s_and_saveexec_b32 s12, s13
	s_cbranch_execz .LBB112_833
; %bb.832:
	v_ashrrev_i32_e32 v123, 31, v122
	s_delay_alu instid0(VALU_DEP_1)
	v_lshl_add_u64 v[128:129], v[122:123], 2, v[4:5]
	s_clause 0x1
	global_load_b32 v123, v[128:129], off
	global_load_b32 v127, v[4:5], off offset:156
	s_wait_loadcnt 0x1
	global_store_b32 v[4:5], v123, off offset:156
	s_wait_loadcnt 0x0
	global_store_b32 v[128:129], v127, off
.LBB112_833:
	s_wait_xcnt 0x0
	s_or_b32 exec_lo, exec_lo, s12
	v_dual_mov_b32 v128, v122 :: v_dual_mov_b32 v127, v122
.LBB112_834:
	s_or_b32 exec_lo, exec_lo, s1
.LBB112_835:
	s_and_not1_saveexec_b32 s0, s0
	s_cbranch_execz .LBB112_837
; %bb.836:
	v_dual_mov_b32 v122, v36 :: v_dual_mov_b32 v123, v37
	v_dual_mov_b32 v128, v32 :: v_dual_mov_b32 v129, v33
	;; [unrolled: 1-line block ×8, first 2 shown]
	ds_store_2addr_b64 v124, v[122:123], v[128:129] offset0:40 offset1:41
	ds_store_2addr_b64 v124, v[130:131], v[132:133] offset0:42 offset1:43
	ds_store_2addr_b64 v124, v[134:135], v[136:137] offset0:44 offset1:45
	ds_store_2addr_b64 v124, v[138:139], v[140:141] offset0:46 offset1:47
	v_dual_mov_b32 v122, v14 :: v_dual_mov_b32 v123, v15
	v_dual_mov_b32 v130, v10 :: v_dual_mov_b32 v131, v11
	;; [unrolled: 1-line block ×8, first 2 shown]
	v_mov_b32_e32 v143, v17
	ds_store_2addr_b64 v124, v[122:123], v[130:131] offset0:48 offset1:49
	ds_store_2addr_b64 v124, v[132:133], v[134:135] offset0:50 offset1:51
	ds_store_2addr_b64 v124, v[136:137], v[138:139] offset0:52 offset1:53
	ds_store_2addr_b64 v124, v[140:141], v[142:143] offset0:54 offset1:55
	ds_store_b64 v124, v[118:119] offset:448
.LBB112_837:
	s_or_b32 exec_lo, exec_lo, s0
	s_delay_alu instid0(SALU_CYCLE_1)
	s_mov_b32 s0, exec_lo
	s_wait_storecnt_dscnt 0x0
	s_barrier_signal -1
	s_barrier_wait -1
	v_cmpx_lt_i32_e32 39, v128
	s_cbranch_execz .LBB112_839
; %bb.838:
	v_pk_mul_f32 v[130:131], v[120:121], v[38:39] op_sel:[1,1] op_sel_hi:[0,1]
	s_delay_alu instid0(VALU_DEP_1)
	v_pk_fma_f32 v[122:123], v[120:121], v[38:39], v[130:131] op_sel_hi:[1,0,1] neg_lo:[0,0,1] neg_hi:[0,0,1]
	v_pk_fma_f32 v[120:121], v[120:121], v[38:39], v[130:131] op_sel_hi:[1,0,1]
	ds_load_2addr_b64 v[130:133], v124 offset0:40 offset1:41
	v_dual_mov_b32 v38, v122 :: v_dual_mov_b32 v39, v121
	s_wait_dscnt 0x0
	v_pk_mul_f32 v[134:135], v[130:131], v[120:121] op_sel:[0,1]
	s_delay_alu instid0(VALU_DEP_1) | instskip(SKIP_1) | instid1(VALU_DEP_1)
	v_pk_fma_f32 v[136:137], v[130:131], v[122:123], v[134:135] op_sel:[0,0,1] op_sel_hi:[1,1,0] neg_lo:[0,0,1] neg_hi:[0,0,1]
	v_pk_fma_f32 v[130:131], v[130:131], v[122:123], v[134:135] op_sel:[0,0,1] op_sel_hi:[1,0,0]
	v_mov_b32_e32 v137, v131
	v_pk_mul_f32 v[130:131], v[132:133], v[120:121] op_sel:[0,1]
	s_delay_alu instid0(VALU_DEP_1) | instskip(SKIP_1) | instid1(VALU_DEP_1)
	v_pk_fma_f32 v[134:135], v[132:133], v[122:123], v[130:131] op_sel:[0,0,1] op_sel_hi:[1,1,0] neg_lo:[0,0,1] neg_hi:[0,0,1]
	v_pk_fma_f32 v[130:131], v[132:133], v[122:123], v[130:131] op_sel:[0,0,1] op_sel_hi:[1,0,0]
	v_mov_b32_e32 v135, v131
	ds_load_2addr_b64 v[130:133], v124 offset0:42 offset1:43
	v_pk_add_f32 v[36:37], v[36:37], v[136:137] neg_lo:[0,1] neg_hi:[0,1]
	v_pk_add_f32 v[32:33], v[32:33], v[134:135] neg_lo:[0,1] neg_hi:[0,1]
	s_wait_dscnt 0x0
	v_pk_mul_f32 v[134:135], v[130:131], v[120:121] op_sel:[0,1]
	s_delay_alu instid0(VALU_DEP_1) | instskip(SKIP_2) | instid1(VALU_DEP_2)
	v_pk_fma_f32 v[136:137], v[130:131], v[122:123], v[134:135] op_sel:[0,0,1] op_sel_hi:[1,1,0] neg_lo:[0,0,1] neg_hi:[0,0,1]
	v_pk_fma_f32 v[130:131], v[130:131], v[122:123], v[134:135] op_sel:[0,0,1] op_sel_hi:[1,0,0]
	v_dual_mul_f32 v134, v133, v121 :: v_dual_mov_b32 v130, v133
	v_dual_mov_b32 v137, v131 :: v_dual_mov_b32 v131, v132
	s_delay_alu instid0(VALU_DEP_2) | instskip(SKIP_1) | instid1(VALU_DEP_3)
	v_pk_fma_f32 v[134:135], v[132:133], v[38:39], v[134:135] op_sel_hi:[1,1,0] neg_lo:[0,0,1] neg_hi:[0,0,1]
	v_mul_f32_e32 v132, v133, v122
	v_pk_add_f32 v[34:35], v[34:35], v[136:137] neg_lo:[0,1] neg_hi:[0,1]
	s_delay_alu instid0(VALU_DEP_2) | instskip(NEXT) | instid1(VALU_DEP_1)
	v_pk_fma_f32 v[130:131], v[130:131], v[38:39], v[132:133] op_sel_hi:[1,1,0]
	v_mov_b32_e32 v135, v131
	ds_load_2addr_b64 v[130:133], v124 offset0:44 offset1:45
	v_pk_add_f32 v[30:31], v[30:31], v[134:135] neg_lo:[0,1] neg_hi:[0,1]
	s_wait_dscnt 0x0
	v_pk_mul_f32 v[134:135], v[130:131], v[120:121] op_sel:[0,1]
	s_delay_alu instid0(VALU_DEP_1) | instskip(SKIP_1) | instid1(VALU_DEP_1)
	v_pk_fma_f32 v[136:137], v[130:131], v[122:123], v[134:135] op_sel:[0,0,1] op_sel_hi:[1,1,0] neg_lo:[0,0,1] neg_hi:[0,0,1]
	v_pk_fma_f32 v[130:131], v[130:131], v[122:123], v[134:135] op_sel:[0,0,1] op_sel_hi:[1,0,0]
	v_mov_b32_e32 v137, v131
	v_pk_mul_f32 v[130:131], v[132:133], v[120:121] op_sel:[0,1]
	s_delay_alu instid0(VALU_DEP_1) | instskip(SKIP_1) | instid1(VALU_DEP_1)
	v_pk_fma_f32 v[134:135], v[132:133], v[122:123], v[130:131] op_sel:[0,0,1] op_sel_hi:[1,1,0] neg_lo:[0,0,1] neg_hi:[0,0,1]
	v_pk_fma_f32 v[130:131], v[132:133], v[122:123], v[130:131] op_sel:[0,0,1] op_sel_hi:[1,0,0]
	v_mov_b32_e32 v135, v131
	ds_load_2addr_b64 v[130:133], v124 offset0:46 offset1:47
	v_pk_add_f32 v[26:27], v[26:27], v[136:137] neg_lo:[0,1] neg_hi:[0,1]
	v_pk_add_f32 v[22:23], v[22:23], v[134:135] neg_lo:[0,1] neg_hi:[0,1]
	s_wait_dscnt 0x0
	v_pk_mul_f32 v[134:135], v[130:131], v[120:121] op_sel:[0,1]
	s_delay_alu instid0(VALU_DEP_1) | instskip(SKIP_1) | instid1(VALU_DEP_1)
	v_pk_fma_f32 v[136:137], v[130:131], v[122:123], v[134:135] op_sel:[0,0,1] op_sel_hi:[1,1,0] neg_lo:[0,0,1] neg_hi:[0,0,1]
	v_pk_fma_f32 v[130:131], v[130:131], v[122:123], v[134:135] op_sel:[0,0,1] op_sel_hi:[1,0,0]
	v_mov_b32_e32 v137, v131
	v_pk_mul_f32 v[130:131], v[132:133], v[120:121] op_sel:[0,1]
	s_delay_alu instid0(VALU_DEP_1) | instskip(SKIP_1) | instid1(VALU_DEP_1)
	v_pk_fma_f32 v[134:135], v[132:133], v[122:123], v[130:131] op_sel:[0,0,1] op_sel_hi:[1,1,0] neg_lo:[0,0,1] neg_hi:[0,0,1]
	v_pk_fma_f32 v[130:131], v[132:133], v[122:123], v[130:131] op_sel:[0,0,1] op_sel_hi:[1,0,0]
	v_mov_b32_e32 v135, v131
	ds_load_2addr_b64 v[130:133], v124 offset0:48 offset1:49
	v_pk_add_f32 v[24:25], v[24:25], v[136:137] neg_lo:[0,1] neg_hi:[0,1]
	v_pk_add_f32 v[20:21], v[20:21], v[134:135] neg_lo:[0,1] neg_hi:[0,1]
	s_wait_dscnt 0x0
	v_dual_mul_f32 v134, v131, v121 :: v_dual_mul_f32 v136, v131, v122
	s_delay_alu instid0(VALU_DEP_1) | instskip(NEXT) | instid1(VALU_DEP_2)
	v_pk_fma_f32 v[134:135], v[130:131], v[38:39], v[134:135] op_sel_hi:[1,1,0] neg_lo:[0,0,1] neg_hi:[0,0,1]
	v_pk_fma_f32 v[130:131], v[130:131], v[38:39], v[136:137] op_sel:[1,0,0] op_sel_hi:[0,1,0]
	s_delay_alu instid0(VALU_DEP_1) | instskip(SKIP_1) | instid1(VALU_DEP_2)
	v_mov_b32_e32 v135, v131
	v_pk_mul_f32 v[130:131], v[132:133], v[120:121] op_sel:[0,1]
	v_pk_add_f32 v[14:15], v[14:15], v[134:135] neg_lo:[0,1] neg_hi:[0,1]
	s_delay_alu instid0(VALU_DEP_2) | instskip(SKIP_1) | instid1(VALU_DEP_1)
	v_pk_fma_f32 v[134:135], v[132:133], v[122:123], v[130:131] op_sel:[0,0,1] op_sel_hi:[1,1,0] neg_lo:[0,0,1] neg_hi:[0,0,1]
	v_pk_fma_f32 v[130:131], v[132:133], v[122:123], v[130:131] op_sel:[0,0,1] op_sel_hi:[1,0,0]
	v_mov_b32_e32 v135, v131
	ds_load_2addr_b64 v[130:133], v124 offset0:50 offset1:51
	v_pk_add_f32 v[10:11], v[10:11], v[134:135] neg_lo:[0,1] neg_hi:[0,1]
	s_wait_dscnt 0x0
	v_pk_mul_f32 v[134:135], v[130:131], v[120:121] op_sel:[0,1]
	s_delay_alu instid0(VALU_DEP_1) | instskip(SKIP_1) | instid1(VALU_DEP_1)
	v_pk_fma_f32 v[136:137], v[130:131], v[122:123], v[134:135] op_sel:[0,0,1] op_sel_hi:[1,1,0] neg_lo:[0,0,1] neg_hi:[0,0,1]
	v_pk_fma_f32 v[130:131], v[130:131], v[122:123], v[134:135] op_sel:[0,0,1] op_sel_hi:[1,0,0]
	v_mov_b32_e32 v137, v131
	v_pk_mul_f32 v[130:131], v[132:133], v[120:121] op_sel:[0,1]
	s_delay_alu instid0(VALU_DEP_2) | instskip(NEXT) | instid1(VALU_DEP_2)
	v_pk_add_f32 v[12:13], v[12:13], v[136:137] neg_lo:[0,1] neg_hi:[0,1]
	v_pk_fma_f32 v[134:135], v[132:133], v[122:123], v[130:131] op_sel:[0,0,1] op_sel_hi:[1,1,0] neg_lo:[0,0,1] neg_hi:[0,0,1]
	v_pk_fma_f32 v[130:131], v[132:133], v[122:123], v[130:131] op_sel:[0,0,1] op_sel_hi:[1,0,0]
	s_delay_alu instid0(VALU_DEP_1) | instskip(SKIP_4) | instid1(VALU_DEP_1)
	v_mov_b32_e32 v135, v131
	ds_load_2addr_b64 v[130:133], v124 offset0:52 offset1:53
	v_pk_add_f32 v[8:9], v[8:9], v[134:135] neg_lo:[0,1] neg_hi:[0,1]
	s_wait_dscnt 0x0
	v_pk_mul_f32 v[134:135], v[130:131], v[120:121] op_sel:[0,1]
	v_pk_fma_f32 v[136:137], v[130:131], v[122:123], v[134:135] op_sel:[0,0,1] op_sel_hi:[1,1,0] neg_lo:[0,0,1] neg_hi:[0,0,1]
	v_pk_fma_f32 v[130:131], v[130:131], v[122:123], v[134:135] op_sel:[0,0,1] op_sel_hi:[1,0,0]
	v_dual_mul_f32 v134, v133, v121 :: v_dual_mov_b32 v130, v133
	s_delay_alu instid0(VALU_DEP_2) | instskip(NEXT) | instid1(VALU_DEP_2)
	v_dual_mov_b32 v137, v131 :: v_dual_mov_b32 v131, v132
	v_pk_fma_f32 v[134:135], v[132:133], v[38:39], v[134:135] op_sel_hi:[1,1,0] neg_lo:[0,0,1] neg_hi:[0,0,1]
	v_mul_f32_e32 v132, v133, v122
	s_delay_alu instid0(VALU_DEP_3) | instskip(NEXT) | instid1(VALU_DEP_2)
	v_pk_add_f32 v[6:7], v[6:7], v[136:137] neg_lo:[0,1] neg_hi:[0,1]
	v_pk_fma_f32 v[130:131], v[130:131], v[38:39], v[132:133] op_sel_hi:[1,1,0]
	s_delay_alu instid0(VALU_DEP_1) | instskip(SKIP_4) | instid1(VALU_DEP_1)
	v_mov_b32_e32 v135, v131
	ds_load_2addr_b64 v[130:133], v124 offset0:54 offset1:55
	v_pk_add_f32 v[28:29], v[28:29], v[134:135] neg_lo:[0,1] neg_hi:[0,1]
	s_wait_dscnt 0x0
	v_pk_mul_f32 v[134:135], v[130:131], v[120:121] op_sel:[0,1]
	v_pk_fma_f32 v[136:137], v[130:131], v[122:123], v[134:135] op_sel:[0,0,1] op_sel_hi:[1,1,0] neg_lo:[0,0,1] neg_hi:[0,0,1]
	v_pk_fma_f32 v[130:131], v[130:131], v[122:123], v[134:135] op_sel:[0,0,1] op_sel_hi:[1,0,0]
	s_delay_alu instid0(VALU_DEP_1) | instskip(SKIP_1) | instid1(VALU_DEP_1)
	v_mov_b32_e32 v137, v131
	v_pk_mul_f32 v[130:131], v[132:133], v[120:121] op_sel:[0,1]
	v_pk_fma_f32 v[134:135], v[132:133], v[122:123], v[130:131] op_sel:[0,0,1] op_sel_hi:[1,1,0] neg_lo:[0,0,1] neg_hi:[0,0,1]
	v_pk_fma_f32 v[130:131], v[132:133], v[122:123], v[130:131] op_sel:[0,0,1] op_sel_hi:[1,0,0]
	s_delay_alu instid0(VALU_DEP_1)
	v_mov_b32_e32 v135, v131
	ds_load_b64 v[130:131], v124 offset:448
	v_pk_add_f32 v[18:19], v[18:19], v[136:137] neg_lo:[0,1] neg_hi:[0,1]
	v_pk_add_f32 v[16:17], v[16:17], v[134:135] neg_lo:[0,1] neg_hi:[0,1]
	s_wait_dscnt 0x0
	v_pk_mul_f32 v[120:121], v[130:131], v[120:121] op_sel:[0,1]
	s_delay_alu instid0(VALU_DEP_1) | instskip(SKIP_1) | instid1(VALU_DEP_1)
	v_pk_fma_f32 v[132:133], v[130:131], v[122:123], v[120:121] op_sel:[0,0,1] op_sel_hi:[1,1,0] neg_lo:[0,0,1] neg_hi:[0,0,1]
	v_pk_fma_f32 v[120:121], v[130:131], v[122:123], v[120:121] op_sel:[0,0,1] op_sel_hi:[1,0,0]
	v_mov_b32_e32 v133, v121
	s_delay_alu instid0(VALU_DEP_1)
	v_pk_add_f32 v[118:119], v[118:119], v[132:133] neg_lo:[0,1] neg_hi:[0,1]
.LBB112_839:
	s_or_b32 exec_lo, exec_lo, s0
	v_lshl_add_u32 v120, v128, 3, v124
	s_barrier_signal -1
	s_barrier_wait -1
	ds_store_b64 v120, v[36:37]
	s_wait_dscnt 0x0
	s_barrier_signal -1
	s_barrier_wait -1
	ds_load_b64 v[120:121], v124 offset:320
	v_mov_b32_e32 v122, 40
	s_cmp_lt_i32 s18, 42
	s_cbranch_scc1 .LBB112_842
; %bb.840:
	v_add3_u32 v123, v125, 0, 0x148
	v_mov_b32_e32 v122, 40
	s_mov_b32 s0, 41
.LBB112_841:                            ; =>This Inner Loop Header: Depth=1
	ds_load_b64 v[130:131], v123
	s_wait_dscnt 0x1
	v_cmp_gt_f32_e32 vcc_lo, 0, v120
	v_cndmask_b32_e64 v132, v120, -v120, vcc_lo
	v_cmp_gt_f32_e32 vcc_lo, 0, v121
	v_cndmask_b32_e64 v134, v121, -v121, vcc_lo
	s_wait_dscnt 0x0
	v_cmp_gt_f32_e32 vcc_lo, 0, v130
	v_cndmask_b32_e64 v133, v130, -v130, vcc_lo
	v_cmp_gt_f32_e32 vcc_lo, 0, v131
	v_cndmask_b32_e64 v135, v131, -v131, vcc_lo
	s_delay_alu instid0(VALU_DEP_1) | instskip(NEXT) | instid1(VALU_DEP_1)
	v_pk_add_f32 v[132:133], v[132:133], v[134:135]
	v_cmp_lt_f32_e32 vcc_lo, v132, v133
	v_dual_cndmask_b32 v120, v120, v130 :: v_dual_add_nc_u32 v123, 8, v123
	v_cndmask_b32_e32 v121, v121, v131, vcc_lo
	v_cndmask_b32_e64 v122, v122, s0, vcc_lo
	s_add_co_i32 s0, s0, 1
	s_delay_alu instid0(SALU_CYCLE_1)
	s_cmp_lg_u32 s18, s0
	s_cbranch_scc1 .LBB112_841
.LBB112_842:
	s_wait_dscnt 0x0
	v_cmp_eq_f32_e32 vcc_lo, 0, v120
	v_cmp_eq_f32_e64 s0, 0, v121
	s_and_b32 s0, vcc_lo, s0
	s_delay_alu instid0(SALU_CYCLE_1) | instskip(NEXT) | instid1(SALU_CYCLE_1)
	s_and_saveexec_b32 s1, s0
	s_xor_b32 s0, exec_lo, s1
; %bb.843:
	v_cmp_ne_u32_e32 vcc_lo, 0, v126
	v_cndmask_b32_e32 v126, 41, v126, vcc_lo
; %bb.844:
	s_and_not1_saveexec_b32 s0, s0
	s_cbranch_execz .LBB112_850
; %bb.845:
	v_cmp_ngt_f32_e64 s1, |v120|, |v121|
	s_and_saveexec_b32 s12, s1
	s_delay_alu instid0(SALU_CYCLE_1)
	s_xor_b32 s1, exec_lo, s12
	s_cbranch_execz .LBB112_847
; %bb.846:
	v_div_scale_f32 v123, null, v121, v121, v120
	v_div_scale_f32 v131, vcc_lo, v120, v121, v120
	s_delay_alu instid0(VALU_DEP_2) | instskip(SKIP_1) | instid1(TRANS32_DEP_1)
	v_rcp_f32_e32 v129, v123
	v_nop
	v_fma_f32 v130, -v123, v129, 1.0
	s_delay_alu instid0(VALU_DEP_1) | instskip(NEXT) | instid1(VALU_DEP_1)
	v_fmac_f32_e32 v129, v130, v129
	v_mul_f32_e32 v130, v131, v129
	s_delay_alu instid0(VALU_DEP_1) | instskip(NEXT) | instid1(VALU_DEP_1)
	v_fma_f32 v132, -v123, v130, v131
	v_fmac_f32_e32 v130, v132, v129
	s_delay_alu instid0(VALU_DEP_1) | instskip(NEXT) | instid1(VALU_DEP_1)
	v_fma_f32 v123, -v123, v130, v131
	v_div_fmas_f32 v123, v123, v129, v130
	s_delay_alu instid0(VALU_DEP_1) | instskip(NEXT) | instid1(VALU_DEP_1)
	v_div_fixup_f32 v123, v123, v121, v120
	v_fmac_f32_e32 v121, v120, v123
	s_delay_alu instid0(VALU_DEP_1) | instskip(SKIP_1) | instid1(VALU_DEP_2)
	v_div_scale_f32 v120, null, v121, v121, 1.0
	v_div_scale_f32 v131, vcc_lo, 1.0, v121, 1.0
	v_rcp_f32_e32 v129, v120
	v_nop
	s_delay_alu instid0(TRANS32_DEP_1) | instskip(NEXT) | instid1(VALU_DEP_1)
	v_fma_f32 v130, -v120, v129, 1.0
	v_fmac_f32_e32 v129, v130, v129
	s_delay_alu instid0(VALU_DEP_1) | instskip(NEXT) | instid1(VALU_DEP_1)
	v_mul_f32_e32 v130, v131, v129
	v_fma_f32 v132, -v120, v130, v131
	s_delay_alu instid0(VALU_DEP_1) | instskip(NEXT) | instid1(VALU_DEP_1)
	v_fmac_f32_e32 v130, v132, v129
	v_fma_f32 v120, -v120, v130, v131
	s_delay_alu instid0(VALU_DEP_1) | instskip(NEXT) | instid1(VALU_DEP_1)
	v_div_fmas_f32 v120, v120, v129, v130
	v_div_fixup_f32 v121, v120, v121, 1.0
	s_delay_alu instid0(VALU_DEP_1)
	v_mul_f32_e32 v120, v123, v121
	v_xor_b32_e32 v121, 0x80000000, v121
.LBB112_847:
	s_and_not1_saveexec_b32 s1, s1
	s_cbranch_execz .LBB112_849
; %bb.848:
	s_delay_alu instid0(VALU_DEP_1) | instskip(SKIP_1) | instid1(VALU_DEP_2)
	v_div_scale_f32 v123, null, v120, v120, v121
	v_div_scale_f32 v131, vcc_lo, v121, v120, v121
	v_rcp_f32_e32 v129, v123
	v_nop
	s_delay_alu instid0(TRANS32_DEP_1) | instskip(NEXT) | instid1(VALU_DEP_1)
	v_fma_f32 v130, -v123, v129, 1.0
	v_fmac_f32_e32 v129, v130, v129
	s_delay_alu instid0(VALU_DEP_1) | instskip(NEXT) | instid1(VALU_DEP_1)
	v_mul_f32_e32 v130, v131, v129
	v_fma_f32 v132, -v123, v130, v131
	s_delay_alu instid0(VALU_DEP_1) | instskip(NEXT) | instid1(VALU_DEP_1)
	v_fmac_f32_e32 v130, v132, v129
	v_fma_f32 v123, -v123, v130, v131
	s_delay_alu instid0(VALU_DEP_1) | instskip(NEXT) | instid1(VALU_DEP_1)
	v_div_fmas_f32 v123, v123, v129, v130
	v_div_fixup_f32 v123, v123, v120, v121
	s_delay_alu instid0(VALU_DEP_1) | instskip(NEXT) | instid1(VALU_DEP_1)
	v_fmac_f32_e32 v120, v121, v123
	v_div_scale_f32 v121, null, v120, v120, 1.0
	s_delay_alu instid0(VALU_DEP_1) | instskip(SKIP_1) | instid1(TRANS32_DEP_1)
	v_rcp_f32_e32 v129, v121
	v_nop
	v_fma_f32 v130, -v121, v129, 1.0
	s_delay_alu instid0(VALU_DEP_1) | instskip(SKIP_1) | instid1(VALU_DEP_1)
	v_fmac_f32_e32 v129, v130, v129
	v_div_scale_f32 v130, vcc_lo, 1.0, v120, 1.0
	v_mul_f32_e32 v131, v130, v129
	s_delay_alu instid0(VALU_DEP_1) | instskip(NEXT) | instid1(VALU_DEP_1)
	v_fma_f32 v132, -v121, v131, v130
	v_fmac_f32_e32 v131, v132, v129
	s_delay_alu instid0(VALU_DEP_1) | instskip(NEXT) | instid1(VALU_DEP_1)
	v_fma_f32 v121, -v121, v131, v130
	v_div_fmas_f32 v121, v121, v129, v131
	s_delay_alu instid0(VALU_DEP_1) | instskip(NEXT) | instid1(VALU_DEP_1)
	v_div_fixup_f32 v120, v121, v120, 1.0
	v_mul_f32_e64 v121, v123, -v120
.LBB112_849:
	s_or_b32 exec_lo, exec_lo, s1
.LBB112_850:
	s_delay_alu instid0(SALU_CYCLE_1) | instskip(NEXT) | instid1(SALU_CYCLE_1)
	s_or_b32 exec_lo, exec_lo, s0
	s_mov_b32 s0, exec_lo
	v_cmpx_ne_u32_e64 v128, v122
	s_xor_b32 s0, exec_lo, s0
	s_cbranch_execz .LBB112_856
; %bb.851:
	s_mov_b32 s1, exec_lo
	v_cmpx_eq_u32_e32 40, v128
	s_cbranch_execz .LBB112_855
; %bb.852:
	v_cmp_ne_u32_e32 vcc_lo, 40, v122
	s_xor_b32 s12, s16, -1
	s_delay_alu instid0(SALU_CYCLE_1) | instskip(NEXT) | instid1(SALU_CYCLE_1)
	s_and_b32 s13, s12, vcc_lo
	s_and_saveexec_b32 s12, s13
	s_cbranch_execz .LBB112_854
; %bb.853:
	v_ashrrev_i32_e32 v123, 31, v122
	s_delay_alu instid0(VALU_DEP_1)
	v_lshl_add_u64 v[128:129], v[122:123], 2, v[4:5]
	s_clause 0x1
	global_load_b32 v123, v[128:129], off
	global_load_b32 v127, v[4:5], off offset:160
	s_wait_loadcnt 0x1
	global_store_b32 v[4:5], v123, off offset:160
	s_wait_loadcnt 0x0
	global_store_b32 v[128:129], v127, off
.LBB112_854:
	s_wait_xcnt 0x0
	s_or_b32 exec_lo, exec_lo, s12
	v_dual_mov_b32 v128, v122 :: v_dual_mov_b32 v127, v122
.LBB112_855:
	s_or_b32 exec_lo, exec_lo, s1
.LBB112_856:
	s_and_not1_saveexec_b32 s0, s0
	s_cbranch_execz .LBB112_858
; %bb.857:
	v_mov_b32_e32 v128, 40
	ds_store_2addr_b64 v124, v[32:33], v[34:35] offset0:41 offset1:42
	ds_store_2addr_b64 v124, v[30:31], v[26:27] offset0:43 offset1:44
	;; [unrolled: 1-line block ×8, first 2 shown]
.LBB112_858:
	s_or_b32 exec_lo, exec_lo, s0
	s_delay_alu instid0(SALU_CYCLE_1)
	s_mov_b32 s0, exec_lo
	s_wait_storecnt_dscnt 0x0
	s_barrier_signal -1
	s_barrier_wait -1
	v_cmpx_lt_i32_e32 40, v128
	s_cbranch_execz .LBB112_860
; %bb.859:
	v_pk_mul_f32 v[130:131], v[120:121], v[36:37] op_sel:[1,1] op_sel_hi:[0,1]
	s_delay_alu instid0(VALU_DEP_1)
	v_pk_fma_f32 v[122:123], v[120:121], v[36:37], v[130:131] op_sel_hi:[1,0,1] neg_lo:[0,0,1] neg_hi:[0,0,1]
	v_pk_fma_f32 v[120:121], v[120:121], v[36:37], v[130:131] op_sel_hi:[1,0,1]
	ds_load_2addr_b64 v[130:133], v124 offset0:41 offset1:42
	v_dual_mov_b32 v36, v122 :: v_dual_mov_b32 v37, v121
	s_wait_dscnt 0x0
	v_pk_mul_f32 v[134:135], v[130:131], v[120:121] op_sel:[0,1]
	s_delay_alu instid0(VALU_DEP_1) | instskip(SKIP_1) | instid1(VALU_DEP_1)
	v_pk_fma_f32 v[136:137], v[130:131], v[122:123], v[134:135] op_sel:[0,0,1] op_sel_hi:[1,1,0] neg_lo:[0,0,1] neg_hi:[0,0,1]
	v_pk_fma_f32 v[130:131], v[130:131], v[122:123], v[134:135] op_sel:[0,0,1] op_sel_hi:[1,0,0]
	v_mov_b32_e32 v137, v131
	v_pk_mul_f32 v[130:131], v[132:133], v[120:121] op_sel:[0,1]
	s_delay_alu instid0(VALU_DEP_1) | instskip(SKIP_1) | instid1(VALU_DEP_1)
	v_pk_fma_f32 v[134:135], v[132:133], v[122:123], v[130:131] op_sel:[0,0,1] op_sel_hi:[1,1,0] neg_lo:[0,0,1] neg_hi:[0,0,1]
	v_pk_fma_f32 v[130:131], v[132:133], v[122:123], v[130:131] op_sel:[0,0,1] op_sel_hi:[1,0,0]
	v_mov_b32_e32 v135, v131
	ds_load_2addr_b64 v[130:133], v124 offset0:43 offset1:44
	v_pk_add_f32 v[32:33], v[32:33], v[136:137] neg_lo:[0,1] neg_hi:[0,1]
	v_pk_add_f32 v[34:35], v[34:35], v[134:135] neg_lo:[0,1] neg_hi:[0,1]
	s_wait_dscnt 0x0
	v_pk_mul_f32 v[134:135], v[130:131], v[120:121] op_sel:[0,1]
	s_delay_alu instid0(VALU_DEP_1) | instskip(SKIP_2) | instid1(VALU_DEP_2)
	v_pk_fma_f32 v[136:137], v[130:131], v[122:123], v[134:135] op_sel:[0,0,1] op_sel_hi:[1,1,0] neg_lo:[0,0,1] neg_hi:[0,0,1]
	v_pk_fma_f32 v[130:131], v[130:131], v[122:123], v[134:135] op_sel:[0,0,1] op_sel_hi:[1,0,0]
	v_dual_mul_f32 v134, v133, v121 :: v_dual_mov_b32 v130, v133
	v_dual_mov_b32 v137, v131 :: v_dual_mov_b32 v131, v132
	s_delay_alu instid0(VALU_DEP_2) | instskip(SKIP_1) | instid1(VALU_DEP_3)
	v_pk_fma_f32 v[134:135], v[132:133], v[36:37], v[134:135] op_sel_hi:[1,1,0] neg_lo:[0,0,1] neg_hi:[0,0,1]
	v_mul_f32_e32 v132, v133, v122
	v_pk_add_f32 v[30:31], v[30:31], v[136:137] neg_lo:[0,1] neg_hi:[0,1]
	s_delay_alu instid0(VALU_DEP_2) | instskip(NEXT) | instid1(VALU_DEP_1)
	v_pk_fma_f32 v[130:131], v[130:131], v[36:37], v[132:133] op_sel_hi:[1,1,0]
	v_mov_b32_e32 v135, v131
	ds_load_2addr_b64 v[130:133], v124 offset0:45 offset1:46
	v_pk_add_f32 v[26:27], v[26:27], v[134:135] neg_lo:[0,1] neg_hi:[0,1]
	s_wait_dscnt 0x0
	v_pk_mul_f32 v[134:135], v[130:131], v[120:121] op_sel:[0,1]
	s_delay_alu instid0(VALU_DEP_1) | instskip(SKIP_1) | instid1(VALU_DEP_1)
	v_pk_fma_f32 v[136:137], v[130:131], v[122:123], v[134:135] op_sel:[0,0,1] op_sel_hi:[1,1,0] neg_lo:[0,0,1] neg_hi:[0,0,1]
	v_pk_fma_f32 v[130:131], v[130:131], v[122:123], v[134:135] op_sel:[0,0,1] op_sel_hi:[1,0,0]
	v_mov_b32_e32 v137, v131
	v_pk_mul_f32 v[130:131], v[132:133], v[120:121] op_sel:[0,1]
	s_delay_alu instid0(VALU_DEP_1) | instskip(SKIP_1) | instid1(VALU_DEP_1)
	v_pk_fma_f32 v[134:135], v[132:133], v[122:123], v[130:131] op_sel:[0,0,1] op_sel_hi:[1,1,0] neg_lo:[0,0,1] neg_hi:[0,0,1]
	v_pk_fma_f32 v[130:131], v[132:133], v[122:123], v[130:131] op_sel:[0,0,1] op_sel_hi:[1,0,0]
	v_mov_b32_e32 v135, v131
	ds_load_2addr_b64 v[130:133], v124 offset0:47 offset1:48
	v_pk_add_f32 v[22:23], v[22:23], v[136:137] neg_lo:[0,1] neg_hi:[0,1]
	v_pk_add_f32 v[24:25], v[24:25], v[134:135] neg_lo:[0,1] neg_hi:[0,1]
	s_wait_dscnt 0x0
	v_pk_mul_f32 v[134:135], v[130:131], v[120:121] op_sel:[0,1]
	s_delay_alu instid0(VALU_DEP_1) | instskip(SKIP_1) | instid1(VALU_DEP_1)
	v_pk_fma_f32 v[136:137], v[130:131], v[122:123], v[134:135] op_sel:[0,0,1] op_sel_hi:[1,1,0] neg_lo:[0,0,1] neg_hi:[0,0,1]
	v_pk_fma_f32 v[130:131], v[130:131], v[122:123], v[134:135] op_sel:[0,0,1] op_sel_hi:[1,0,0]
	v_mov_b32_e32 v137, v131
	v_pk_mul_f32 v[130:131], v[132:133], v[120:121] op_sel:[0,1]
	s_delay_alu instid0(VALU_DEP_1) | instskip(SKIP_1) | instid1(VALU_DEP_1)
	v_pk_fma_f32 v[134:135], v[132:133], v[122:123], v[130:131] op_sel:[0,0,1] op_sel_hi:[1,1,0] neg_lo:[0,0,1] neg_hi:[0,0,1]
	v_pk_fma_f32 v[130:131], v[132:133], v[122:123], v[130:131] op_sel:[0,0,1] op_sel_hi:[1,0,0]
	v_mov_b32_e32 v135, v131
	ds_load_2addr_b64 v[130:133], v124 offset0:49 offset1:50
	v_pk_add_f32 v[20:21], v[20:21], v[136:137] neg_lo:[0,1] neg_hi:[0,1]
	v_pk_add_f32 v[14:15], v[14:15], v[134:135] neg_lo:[0,1] neg_hi:[0,1]
	s_wait_dscnt 0x0
	v_dual_mul_f32 v134, v131, v121 :: v_dual_mul_f32 v136, v131, v122
	s_delay_alu instid0(VALU_DEP_1) | instskip(NEXT) | instid1(VALU_DEP_2)
	v_pk_fma_f32 v[134:135], v[130:131], v[36:37], v[134:135] op_sel_hi:[1,1,0] neg_lo:[0,0,1] neg_hi:[0,0,1]
	v_pk_fma_f32 v[130:131], v[130:131], v[36:37], v[136:137] op_sel:[1,0,0] op_sel_hi:[0,1,0]
	s_delay_alu instid0(VALU_DEP_1) | instskip(SKIP_1) | instid1(VALU_DEP_2)
	v_mov_b32_e32 v135, v131
	v_pk_mul_f32 v[130:131], v[132:133], v[120:121] op_sel:[0,1]
	v_pk_add_f32 v[10:11], v[10:11], v[134:135] neg_lo:[0,1] neg_hi:[0,1]
	s_delay_alu instid0(VALU_DEP_2) | instskip(SKIP_1) | instid1(VALU_DEP_1)
	v_pk_fma_f32 v[134:135], v[132:133], v[122:123], v[130:131] op_sel:[0,0,1] op_sel_hi:[1,1,0] neg_lo:[0,0,1] neg_hi:[0,0,1]
	v_pk_fma_f32 v[130:131], v[132:133], v[122:123], v[130:131] op_sel:[0,0,1] op_sel_hi:[1,0,0]
	v_mov_b32_e32 v135, v131
	ds_load_2addr_b64 v[130:133], v124 offset0:51 offset1:52
	v_pk_add_f32 v[12:13], v[12:13], v[134:135] neg_lo:[0,1] neg_hi:[0,1]
	s_wait_dscnt 0x0
	v_pk_mul_f32 v[134:135], v[130:131], v[120:121] op_sel:[0,1]
	s_delay_alu instid0(VALU_DEP_1) | instskip(SKIP_1) | instid1(VALU_DEP_1)
	v_pk_fma_f32 v[136:137], v[130:131], v[122:123], v[134:135] op_sel:[0,0,1] op_sel_hi:[1,1,0] neg_lo:[0,0,1] neg_hi:[0,0,1]
	v_pk_fma_f32 v[130:131], v[130:131], v[122:123], v[134:135] op_sel:[0,0,1] op_sel_hi:[1,0,0]
	v_mov_b32_e32 v137, v131
	v_pk_mul_f32 v[130:131], v[132:133], v[120:121] op_sel:[0,1]
	s_delay_alu instid0(VALU_DEP_2) | instskip(NEXT) | instid1(VALU_DEP_2)
	v_pk_add_f32 v[8:9], v[8:9], v[136:137] neg_lo:[0,1] neg_hi:[0,1]
	v_pk_fma_f32 v[134:135], v[132:133], v[122:123], v[130:131] op_sel:[0,0,1] op_sel_hi:[1,1,0] neg_lo:[0,0,1] neg_hi:[0,0,1]
	v_pk_fma_f32 v[130:131], v[132:133], v[122:123], v[130:131] op_sel:[0,0,1] op_sel_hi:[1,0,0]
	s_delay_alu instid0(VALU_DEP_1) | instskip(SKIP_4) | instid1(VALU_DEP_1)
	v_mov_b32_e32 v135, v131
	ds_load_2addr_b64 v[130:133], v124 offset0:53 offset1:54
	v_pk_add_f32 v[6:7], v[6:7], v[134:135] neg_lo:[0,1] neg_hi:[0,1]
	s_wait_dscnt 0x0
	v_pk_mul_f32 v[134:135], v[130:131], v[120:121] op_sel:[0,1]
	v_pk_fma_f32 v[136:137], v[130:131], v[122:123], v[134:135] op_sel:[0,0,1] op_sel_hi:[1,1,0] neg_lo:[0,0,1] neg_hi:[0,0,1]
	v_pk_fma_f32 v[130:131], v[130:131], v[122:123], v[134:135] op_sel:[0,0,1] op_sel_hi:[1,0,0]
	v_dual_mul_f32 v134, v133, v121 :: v_dual_mov_b32 v130, v133
	s_delay_alu instid0(VALU_DEP_2) | instskip(NEXT) | instid1(VALU_DEP_2)
	v_dual_mov_b32 v137, v131 :: v_dual_mov_b32 v131, v132
	v_pk_fma_f32 v[134:135], v[132:133], v[36:37], v[134:135] op_sel_hi:[1,1,0] neg_lo:[0,0,1] neg_hi:[0,0,1]
	v_mul_f32_e32 v132, v133, v122
	s_delay_alu instid0(VALU_DEP_3) | instskip(NEXT) | instid1(VALU_DEP_2)
	v_pk_add_f32 v[28:29], v[28:29], v[136:137] neg_lo:[0,1] neg_hi:[0,1]
	v_pk_fma_f32 v[130:131], v[130:131], v[36:37], v[132:133] op_sel_hi:[1,1,0]
	s_delay_alu instid0(VALU_DEP_1)
	v_mov_b32_e32 v135, v131
	ds_load_2addr_b64 v[130:133], v124 offset0:55 offset1:56
	v_pk_add_f32 v[18:19], v[18:19], v[134:135] neg_lo:[0,1] neg_hi:[0,1]
	s_wait_dscnt 0x0
	v_pk_mul_f32 v[134:135], v[130:131], v[120:121] op_sel:[0,1]
	v_pk_mul_f32 v[120:121], v[132:133], v[120:121] op_sel:[0,1]
	s_delay_alu instid0(VALU_DEP_2) | instskip(SKIP_1) | instid1(VALU_DEP_1)
	v_pk_fma_f32 v[136:137], v[130:131], v[122:123], v[134:135] op_sel:[0,0,1] op_sel_hi:[1,1,0] neg_lo:[0,0,1] neg_hi:[0,0,1]
	v_pk_fma_f32 v[130:131], v[130:131], v[122:123], v[134:135] op_sel:[0,0,1] op_sel_hi:[1,0,0]
	v_mov_b32_e32 v137, v131
	s_delay_alu instid0(VALU_DEP_4) | instskip(SKIP_1) | instid1(VALU_DEP_1)
	v_pk_fma_f32 v[130:131], v[132:133], v[122:123], v[120:121] op_sel:[0,0,1] op_sel_hi:[1,1,0] neg_lo:[0,0,1] neg_hi:[0,0,1]
	v_pk_fma_f32 v[120:121], v[132:133], v[122:123], v[120:121] op_sel:[0,0,1] op_sel_hi:[1,0,0]
	v_mov_b32_e32 v131, v121
	s_delay_alu instid0(VALU_DEP_4) | instskip(NEXT) | instid1(VALU_DEP_2)
	v_pk_add_f32 v[16:17], v[16:17], v[136:137] neg_lo:[0,1] neg_hi:[0,1]
	v_pk_add_f32 v[118:119], v[118:119], v[130:131] neg_lo:[0,1] neg_hi:[0,1]
.LBB112_860:
	s_or_b32 exec_lo, exec_lo, s0
	v_lshl_add_u32 v120, v128, 3, v124
	s_barrier_signal -1
	s_barrier_wait -1
	ds_store_b64 v120, v[32:33]
	s_wait_dscnt 0x0
	s_barrier_signal -1
	s_barrier_wait -1
	ds_load_b64 v[120:121], v124 offset:328
	v_mov_b32_e32 v122, 41
	s_cmp_lt_i32 s18, 43
	s_cbranch_scc1 .LBB112_863
; %bb.861:
	v_add3_u32 v123, v125, 0, 0x150
	v_mov_b32_e32 v122, 41
	s_mov_b32 s0, 42
.LBB112_862:                            ; =>This Inner Loop Header: Depth=1
	ds_load_b64 v[130:131], v123
	s_wait_dscnt 0x1
	v_cmp_gt_f32_e32 vcc_lo, 0, v120
	v_cndmask_b32_e64 v132, v120, -v120, vcc_lo
	v_cmp_gt_f32_e32 vcc_lo, 0, v121
	v_cndmask_b32_e64 v134, v121, -v121, vcc_lo
	s_wait_dscnt 0x0
	v_cmp_gt_f32_e32 vcc_lo, 0, v130
	v_cndmask_b32_e64 v133, v130, -v130, vcc_lo
	v_cmp_gt_f32_e32 vcc_lo, 0, v131
	v_cndmask_b32_e64 v135, v131, -v131, vcc_lo
	s_delay_alu instid0(VALU_DEP_1) | instskip(NEXT) | instid1(VALU_DEP_1)
	v_pk_add_f32 v[132:133], v[132:133], v[134:135]
	v_cmp_lt_f32_e32 vcc_lo, v132, v133
	v_dual_cndmask_b32 v120, v120, v130 :: v_dual_add_nc_u32 v123, 8, v123
	v_cndmask_b32_e32 v121, v121, v131, vcc_lo
	v_cndmask_b32_e64 v122, v122, s0, vcc_lo
	s_add_co_i32 s0, s0, 1
	s_delay_alu instid0(SALU_CYCLE_1)
	s_cmp_lg_u32 s18, s0
	s_cbranch_scc1 .LBB112_862
.LBB112_863:
	s_wait_dscnt 0x0
	v_cmp_eq_f32_e32 vcc_lo, 0, v120
	v_cmp_eq_f32_e64 s0, 0, v121
	s_and_b32 s0, vcc_lo, s0
	s_delay_alu instid0(SALU_CYCLE_1) | instskip(NEXT) | instid1(SALU_CYCLE_1)
	s_and_saveexec_b32 s1, s0
	s_xor_b32 s0, exec_lo, s1
; %bb.864:
	v_cmp_ne_u32_e32 vcc_lo, 0, v126
	v_cndmask_b32_e32 v126, 42, v126, vcc_lo
; %bb.865:
	s_and_not1_saveexec_b32 s0, s0
	s_cbranch_execz .LBB112_871
; %bb.866:
	v_cmp_ngt_f32_e64 s1, |v120|, |v121|
	s_and_saveexec_b32 s12, s1
	s_delay_alu instid0(SALU_CYCLE_1)
	s_xor_b32 s1, exec_lo, s12
	s_cbranch_execz .LBB112_868
; %bb.867:
	v_div_scale_f32 v123, null, v121, v121, v120
	v_div_scale_f32 v131, vcc_lo, v120, v121, v120
	s_delay_alu instid0(VALU_DEP_2) | instskip(SKIP_1) | instid1(TRANS32_DEP_1)
	v_rcp_f32_e32 v129, v123
	v_nop
	v_fma_f32 v130, -v123, v129, 1.0
	s_delay_alu instid0(VALU_DEP_1) | instskip(NEXT) | instid1(VALU_DEP_1)
	v_fmac_f32_e32 v129, v130, v129
	v_mul_f32_e32 v130, v131, v129
	s_delay_alu instid0(VALU_DEP_1) | instskip(NEXT) | instid1(VALU_DEP_1)
	v_fma_f32 v132, -v123, v130, v131
	v_fmac_f32_e32 v130, v132, v129
	s_delay_alu instid0(VALU_DEP_1) | instskip(NEXT) | instid1(VALU_DEP_1)
	v_fma_f32 v123, -v123, v130, v131
	v_div_fmas_f32 v123, v123, v129, v130
	s_delay_alu instid0(VALU_DEP_1) | instskip(NEXT) | instid1(VALU_DEP_1)
	v_div_fixup_f32 v123, v123, v121, v120
	v_fmac_f32_e32 v121, v120, v123
	s_delay_alu instid0(VALU_DEP_1) | instskip(SKIP_1) | instid1(VALU_DEP_2)
	v_div_scale_f32 v120, null, v121, v121, 1.0
	v_div_scale_f32 v131, vcc_lo, 1.0, v121, 1.0
	v_rcp_f32_e32 v129, v120
	v_nop
	s_delay_alu instid0(TRANS32_DEP_1) | instskip(NEXT) | instid1(VALU_DEP_1)
	v_fma_f32 v130, -v120, v129, 1.0
	v_fmac_f32_e32 v129, v130, v129
	s_delay_alu instid0(VALU_DEP_1) | instskip(NEXT) | instid1(VALU_DEP_1)
	v_mul_f32_e32 v130, v131, v129
	v_fma_f32 v132, -v120, v130, v131
	s_delay_alu instid0(VALU_DEP_1) | instskip(NEXT) | instid1(VALU_DEP_1)
	v_fmac_f32_e32 v130, v132, v129
	v_fma_f32 v120, -v120, v130, v131
	s_delay_alu instid0(VALU_DEP_1) | instskip(NEXT) | instid1(VALU_DEP_1)
	v_div_fmas_f32 v120, v120, v129, v130
	v_div_fixup_f32 v121, v120, v121, 1.0
	s_delay_alu instid0(VALU_DEP_1)
	v_mul_f32_e32 v120, v123, v121
	v_xor_b32_e32 v121, 0x80000000, v121
.LBB112_868:
	s_and_not1_saveexec_b32 s1, s1
	s_cbranch_execz .LBB112_870
; %bb.869:
	s_delay_alu instid0(VALU_DEP_1) | instskip(SKIP_1) | instid1(VALU_DEP_2)
	v_div_scale_f32 v123, null, v120, v120, v121
	v_div_scale_f32 v131, vcc_lo, v121, v120, v121
	v_rcp_f32_e32 v129, v123
	v_nop
	s_delay_alu instid0(TRANS32_DEP_1) | instskip(NEXT) | instid1(VALU_DEP_1)
	v_fma_f32 v130, -v123, v129, 1.0
	v_fmac_f32_e32 v129, v130, v129
	s_delay_alu instid0(VALU_DEP_1) | instskip(NEXT) | instid1(VALU_DEP_1)
	v_mul_f32_e32 v130, v131, v129
	v_fma_f32 v132, -v123, v130, v131
	s_delay_alu instid0(VALU_DEP_1) | instskip(NEXT) | instid1(VALU_DEP_1)
	v_fmac_f32_e32 v130, v132, v129
	v_fma_f32 v123, -v123, v130, v131
	s_delay_alu instid0(VALU_DEP_1) | instskip(NEXT) | instid1(VALU_DEP_1)
	v_div_fmas_f32 v123, v123, v129, v130
	v_div_fixup_f32 v123, v123, v120, v121
	s_delay_alu instid0(VALU_DEP_1) | instskip(NEXT) | instid1(VALU_DEP_1)
	v_fmac_f32_e32 v120, v121, v123
	v_div_scale_f32 v121, null, v120, v120, 1.0
	s_delay_alu instid0(VALU_DEP_1) | instskip(SKIP_1) | instid1(TRANS32_DEP_1)
	v_rcp_f32_e32 v129, v121
	v_nop
	v_fma_f32 v130, -v121, v129, 1.0
	s_delay_alu instid0(VALU_DEP_1) | instskip(SKIP_1) | instid1(VALU_DEP_1)
	v_fmac_f32_e32 v129, v130, v129
	v_div_scale_f32 v130, vcc_lo, 1.0, v120, 1.0
	v_mul_f32_e32 v131, v130, v129
	s_delay_alu instid0(VALU_DEP_1) | instskip(NEXT) | instid1(VALU_DEP_1)
	v_fma_f32 v132, -v121, v131, v130
	v_fmac_f32_e32 v131, v132, v129
	s_delay_alu instid0(VALU_DEP_1) | instskip(NEXT) | instid1(VALU_DEP_1)
	v_fma_f32 v121, -v121, v131, v130
	v_div_fmas_f32 v121, v121, v129, v131
	s_delay_alu instid0(VALU_DEP_1) | instskip(NEXT) | instid1(VALU_DEP_1)
	v_div_fixup_f32 v120, v121, v120, 1.0
	v_mul_f32_e64 v121, v123, -v120
.LBB112_870:
	s_or_b32 exec_lo, exec_lo, s1
.LBB112_871:
	s_delay_alu instid0(SALU_CYCLE_1) | instskip(NEXT) | instid1(SALU_CYCLE_1)
	s_or_b32 exec_lo, exec_lo, s0
	s_mov_b32 s0, exec_lo
	v_cmpx_ne_u32_e64 v128, v122
	s_xor_b32 s0, exec_lo, s0
	s_cbranch_execz .LBB112_877
; %bb.872:
	s_mov_b32 s1, exec_lo
	v_cmpx_eq_u32_e32 41, v128
	s_cbranch_execz .LBB112_876
; %bb.873:
	v_cmp_ne_u32_e32 vcc_lo, 41, v122
	s_xor_b32 s12, s16, -1
	s_delay_alu instid0(SALU_CYCLE_1) | instskip(NEXT) | instid1(SALU_CYCLE_1)
	s_and_b32 s13, s12, vcc_lo
	s_and_saveexec_b32 s12, s13
	s_cbranch_execz .LBB112_875
; %bb.874:
	v_ashrrev_i32_e32 v123, 31, v122
	s_delay_alu instid0(VALU_DEP_1)
	v_lshl_add_u64 v[128:129], v[122:123], 2, v[4:5]
	s_clause 0x1
	global_load_b32 v123, v[128:129], off
	global_load_b32 v127, v[4:5], off offset:164
	s_wait_loadcnt 0x1
	global_store_b32 v[4:5], v123, off offset:164
	s_wait_loadcnt 0x0
	global_store_b32 v[128:129], v127, off
.LBB112_875:
	s_wait_xcnt 0x0
	s_or_b32 exec_lo, exec_lo, s12
	v_dual_mov_b32 v128, v122 :: v_dual_mov_b32 v127, v122
.LBB112_876:
	s_or_b32 exec_lo, exec_lo, s1
.LBB112_877:
	s_and_not1_saveexec_b32 s0, s0
	s_cbranch_execz .LBB112_879
; %bb.878:
	v_dual_mov_b32 v122, v34 :: v_dual_mov_b32 v123, v35
	v_dual_mov_b32 v128, v30 :: v_dual_mov_b32 v129, v31
	ds_store_2addr_b64 v124, v[122:123], v[128:129] offset0:42 offset1:43
	v_dual_mov_b32 v122, v26 :: v_dual_mov_b32 v123, v27
	v_dual_mov_b32 v128, v22 :: v_dual_mov_b32 v129, v23
	ds_store_2addr_b64 v124, v[122:123], v[128:129] offset0:44 offset1:45
	;; [unrolled: 3-line block ×7, first 2 shown]
	ds_store_b64 v124, v[118:119] offset:448
	v_mov_b32_e32 v128, 41
.LBB112_879:
	s_or_b32 exec_lo, exec_lo, s0
	s_delay_alu instid0(SALU_CYCLE_1)
	s_mov_b32 s0, exec_lo
	s_wait_storecnt_dscnt 0x0
	s_barrier_signal -1
	s_barrier_wait -1
	v_cmpx_lt_i32_e32 41, v128
	s_cbranch_execz .LBB112_881
; %bb.880:
	v_pk_mul_f32 v[130:131], v[120:121], v[32:33] op_sel:[1,1] op_sel_hi:[0,1]
	s_delay_alu instid0(VALU_DEP_1)
	v_pk_fma_f32 v[122:123], v[120:121], v[32:33], v[130:131] op_sel_hi:[1,0,1] neg_lo:[0,0,1] neg_hi:[0,0,1]
	v_pk_fma_f32 v[120:121], v[120:121], v[32:33], v[130:131] op_sel_hi:[1,0,1]
	ds_load_2addr_b64 v[130:133], v124 offset0:42 offset1:43
	v_dual_mov_b32 v32, v122 :: v_dual_mov_b32 v33, v121
	s_wait_dscnt 0x0
	v_pk_mul_f32 v[134:135], v[130:131], v[120:121] op_sel:[0,1]
	s_delay_alu instid0(VALU_DEP_1) | instskip(SKIP_1) | instid1(VALU_DEP_1)
	v_pk_fma_f32 v[136:137], v[130:131], v[122:123], v[134:135] op_sel:[0,0,1] op_sel_hi:[1,1,0] neg_lo:[0,0,1] neg_hi:[0,0,1]
	v_pk_fma_f32 v[130:131], v[130:131], v[122:123], v[134:135] op_sel:[0,0,1] op_sel_hi:[1,0,0]
	v_mov_b32_e32 v137, v131
	v_pk_mul_f32 v[130:131], v[132:133], v[120:121] op_sel:[0,1]
	s_delay_alu instid0(VALU_DEP_1) | instskip(SKIP_1) | instid1(VALU_DEP_1)
	v_pk_fma_f32 v[134:135], v[132:133], v[122:123], v[130:131] op_sel:[0,0,1] op_sel_hi:[1,1,0] neg_lo:[0,0,1] neg_hi:[0,0,1]
	v_pk_fma_f32 v[130:131], v[132:133], v[122:123], v[130:131] op_sel:[0,0,1] op_sel_hi:[1,0,0]
	v_mov_b32_e32 v135, v131
	ds_load_2addr_b64 v[130:133], v124 offset0:44 offset1:45
	v_pk_add_f32 v[34:35], v[34:35], v[136:137] neg_lo:[0,1] neg_hi:[0,1]
	v_pk_add_f32 v[30:31], v[30:31], v[134:135] neg_lo:[0,1] neg_hi:[0,1]
	s_wait_dscnt 0x0
	v_pk_mul_f32 v[134:135], v[130:131], v[120:121] op_sel:[0,1]
	s_delay_alu instid0(VALU_DEP_1) | instskip(SKIP_2) | instid1(VALU_DEP_2)
	v_pk_fma_f32 v[136:137], v[130:131], v[122:123], v[134:135] op_sel:[0,0,1] op_sel_hi:[1,1,0] neg_lo:[0,0,1] neg_hi:[0,0,1]
	v_pk_fma_f32 v[130:131], v[130:131], v[122:123], v[134:135] op_sel:[0,0,1] op_sel_hi:[1,0,0]
	v_dual_mul_f32 v134, v133, v121 :: v_dual_mov_b32 v130, v133
	v_dual_mov_b32 v137, v131 :: v_dual_mov_b32 v131, v132
	s_delay_alu instid0(VALU_DEP_2) | instskip(SKIP_1) | instid1(VALU_DEP_3)
	v_pk_fma_f32 v[134:135], v[132:133], v[32:33], v[134:135] op_sel_hi:[1,1,0] neg_lo:[0,0,1] neg_hi:[0,0,1]
	v_mul_f32_e32 v132, v133, v122
	v_pk_add_f32 v[26:27], v[26:27], v[136:137] neg_lo:[0,1] neg_hi:[0,1]
	s_delay_alu instid0(VALU_DEP_2) | instskip(NEXT) | instid1(VALU_DEP_1)
	v_pk_fma_f32 v[130:131], v[130:131], v[32:33], v[132:133] op_sel_hi:[1,1,0]
	v_mov_b32_e32 v135, v131
	ds_load_2addr_b64 v[130:133], v124 offset0:46 offset1:47
	v_pk_add_f32 v[22:23], v[22:23], v[134:135] neg_lo:[0,1] neg_hi:[0,1]
	s_wait_dscnt 0x0
	v_pk_mul_f32 v[134:135], v[130:131], v[120:121] op_sel:[0,1]
	s_delay_alu instid0(VALU_DEP_1) | instskip(SKIP_1) | instid1(VALU_DEP_1)
	v_pk_fma_f32 v[136:137], v[130:131], v[122:123], v[134:135] op_sel:[0,0,1] op_sel_hi:[1,1,0] neg_lo:[0,0,1] neg_hi:[0,0,1]
	v_pk_fma_f32 v[130:131], v[130:131], v[122:123], v[134:135] op_sel:[0,0,1] op_sel_hi:[1,0,0]
	v_mov_b32_e32 v137, v131
	v_pk_mul_f32 v[130:131], v[132:133], v[120:121] op_sel:[0,1]
	s_delay_alu instid0(VALU_DEP_1) | instskip(SKIP_1) | instid1(VALU_DEP_1)
	v_pk_fma_f32 v[134:135], v[132:133], v[122:123], v[130:131] op_sel:[0,0,1] op_sel_hi:[1,1,0] neg_lo:[0,0,1] neg_hi:[0,0,1]
	v_pk_fma_f32 v[130:131], v[132:133], v[122:123], v[130:131] op_sel:[0,0,1] op_sel_hi:[1,0,0]
	v_mov_b32_e32 v135, v131
	ds_load_2addr_b64 v[130:133], v124 offset0:48 offset1:49
	v_pk_add_f32 v[24:25], v[24:25], v[136:137] neg_lo:[0,1] neg_hi:[0,1]
	v_pk_add_f32 v[20:21], v[20:21], v[134:135] neg_lo:[0,1] neg_hi:[0,1]
	s_wait_dscnt 0x0
	v_pk_mul_f32 v[134:135], v[130:131], v[120:121] op_sel:[0,1]
	s_delay_alu instid0(VALU_DEP_1) | instskip(SKIP_1) | instid1(VALU_DEP_1)
	v_pk_fma_f32 v[136:137], v[130:131], v[122:123], v[134:135] op_sel:[0,0,1] op_sel_hi:[1,1,0] neg_lo:[0,0,1] neg_hi:[0,0,1]
	v_pk_fma_f32 v[130:131], v[130:131], v[122:123], v[134:135] op_sel:[0,0,1] op_sel_hi:[1,0,0]
	v_mov_b32_e32 v137, v131
	v_pk_mul_f32 v[130:131], v[132:133], v[120:121] op_sel:[0,1]
	s_delay_alu instid0(VALU_DEP_1) | instskip(SKIP_1) | instid1(VALU_DEP_1)
	v_pk_fma_f32 v[134:135], v[132:133], v[122:123], v[130:131] op_sel:[0,0,1] op_sel_hi:[1,1,0] neg_lo:[0,0,1] neg_hi:[0,0,1]
	v_pk_fma_f32 v[130:131], v[132:133], v[122:123], v[130:131] op_sel:[0,0,1] op_sel_hi:[1,0,0]
	v_mov_b32_e32 v135, v131
	ds_load_2addr_b64 v[130:133], v124 offset0:50 offset1:51
	v_pk_add_f32 v[14:15], v[14:15], v[136:137] neg_lo:[0,1] neg_hi:[0,1]
	v_pk_add_f32 v[10:11], v[10:11], v[134:135] neg_lo:[0,1] neg_hi:[0,1]
	s_wait_dscnt 0x0
	v_dual_mul_f32 v134, v131, v121 :: v_dual_mul_f32 v136, v131, v122
	s_delay_alu instid0(VALU_DEP_1) | instskip(NEXT) | instid1(VALU_DEP_2)
	v_pk_fma_f32 v[134:135], v[130:131], v[32:33], v[134:135] op_sel_hi:[1,1,0] neg_lo:[0,0,1] neg_hi:[0,0,1]
	v_pk_fma_f32 v[130:131], v[130:131], v[32:33], v[136:137] op_sel:[1,0,0] op_sel_hi:[0,1,0]
	s_delay_alu instid0(VALU_DEP_1) | instskip(SKIP_1) | instid1(VALU_DEP_2)
	v_mov_b32_e32 v135, v131
	v_pk_mul_f32 v[130:131], v[132:133], v[120:121] op_sel:[0,1]
	v_pk_add_f32 v[12:13], v[12:13], v[134:135] neg_lo:[0,1] neg_hi:[0,1]
	s_delay_alu instid0(VALU_DEP_2) | instskip(SKIP_1) | instid1(VALU_DEP_1)
	v_pk_fma_f32 v[134:135], v[132:133], v[122:123], v[130:131] op_sel:[0,0,1] op_sel_hi:[1,1,0] neg_lo:[0,0,1] neg_hi:[0,0,1]
	v_pk_fma_f32 v[130:131], v[132:133], v[122:123], v[130:131] op_sel:[0,0,1] op_sel_hi:[1,0,0]
	v_mov_b32_e32 v135, v131
	ds_load_2addr_b64 v[130:133], v124 offset0:52 offset1:53
	v_pk_add_f32 v[8:9], v[8:9], v[134:135] neg_lo:[0,1] neg_hi:[0,1]
	s_wait_dscnt 0x0
	v_pk_mul_f32 v[134:135], v[130:131], v[120:121] op_sel:[0,1]
	s_delay_alu instid0(VALU_DEP_1) | instskip(SKIP_1) | instid1(VALU_DEP_1)
	v_pk_fma_f32 v[136:137], v[130:131], v[122:123], v[134:135] op_sel:[0,0,1] op_sel_hi:[1,1,0] neg_lo:[0,0,1] neg_hi:[0,0,1]
	v_pk_fma_f32 v[130:131], v[130:131], v[122:123], v[134:135] op_sel:[0,0,1] op_sel_hi:[1,0,0]
	v_mov_b32_e32 v137, v131
	v_pk_mul_f32 v[130:131], v[132:133], v[120:121] op_sel:[0,1]
	s_delay_alu instid0(VALU_DEP_2) | instskip(NEXT) | instid1(VALU_DEP_2)
	v_pk_add_f32 v[6:7], v[6:7], v[136:137] neg_lo:[0,1] neg_hi:[0,1]
	v_pk_fma_f32 v[134:135], v[132:133], v[122:123], v[130:131] op_sel:[0,0,1] op_sel_hi:[1,1,0] neg_lo:[0,0,1] neg_hi:[0,0,1]
	v_pk_fma_f32 v[130:131], v[132:133], v[122:123], v[130:131] op_sel:[0,0,1] op_sel_hi:[1,0,0]
	s_delay_alu instid0(VALU_DEP_1) | instskip(SKIP_4) | instid1(VALU_DEP_1)
	v_mov_b32_e32 v135, v131
	ds_load_2addr_b64 v[130:133], v124 offset0:54 offset1:55
	v_pk_add_f32 v[28:29], v[28:29], v[134:135] neg_lo:[0,1] neg_hi:[0,1]
	s_wait_dscnt 0x0
	v_pk_mul_f32 v[134:135], v[130:131], v[120:121] op_sel:[0,1]
	v_pk_fma_f32 v[136:137], v[130:131], v[122:123], v[134:135] op_sel:[0,0,1] op_sel_hi:[1,1,0] neg_lo:[0,0,1] neg_hi:[0,0,1]
	v_pk_fma_f32 v[130:131], v[130:131], v[122:123], v[134:135] op_sel:[0,0,1] op_sel_hi:[1,0,0]
	v_dual_mul_f32 v134, v133, v121 :: v_dual_mov_b32 v130, v133
	s_delay_alu instid0(VALU_DEP_2) | instskip(NEXT) | instid1(VALU_DEP_2)
	v_dual_mov_b32 v137, v131 :: v_dual_mov_b32 v131, v132
	v_pk_fma_f32 v[134:135], v[132:133], v[32:33], v[134:135] op_sel_hi:[1,1,0] neg_lo:[0,0,1] neg_hi:[0,0,1]
	v_mul_f32_e32 v132, v133, v122
	s_delay_alu instid0(VALU_DEP_3) | instskip(NEXT) | instid1(VALU_DEP_2)
	v_pk_add_f32 v[18:19], v[18:19], v[136:137] neg_lo:[0,1] neg_hi:[0,1]
	v_pk_fma_f32 v[130:131], v[130:131], v[32:33], v[132:133] op_sel_hi:[1,1,0]
	s_delay_alu instid0(VALU_DEP_1) | instskip(SKIP_4) | instid1(VALU_DEP_1)
	v_mov_b32_e32 v135, v131
	ds_load_b64 v[130:131], v124 offset:448
	v_pk_add_f32 v[16:17], v[16:17], v[134:135] neg_lo:[0,1] neg_hi:[0,1]
	s_wait_dscnt 0x0
	v_pk_mul_f32 v[120:121], v[130:131], v[120:121] op_sel:[0,1]
	v_pk_fma_f32 v[132:133], v[130:131], v[122:123], v[120:121] op_sel:[0,0,1] op_sel_hi:[1,1,0] neg_lo:[0,0,1] neg_hi:[0,0,1]
	v_pk_fma_f32 v[120:121], v[130:131], v[122:123], v[120:121] op_sel:[0,0,1] op_sel_hi:[1,0,0]
	s_delay_alu instid0(VALU_DEP_1) | instskip(NEXT) | instid1(VALU_DEP_1)
	v_mov_b32_e32 v133, v121
	v_pk_add_f32 v[118:119], v[118:119], v[132:133] neg_lo:[0,1] neg_hi:[0,1]
.LBB112_881:
	s_or_b32 exec_lo, exec_lo, s0
	v_lshl_add_u32 v120, v128, 3, v124
	s_barrier_signal -1
	s_barrier_wait -1
	ds_store_b64 v120, v[34:35]
	s_wait_dscnt 0x0
	s_barrier_signal -1
	s_barrier_wait -1
	ds_load_b64 v[120:121], v124 offset:336
	v_mov_b32_e32 v122, 42
	s_cmp_lt_i32 s18, 44
	s_cbranch_scc1 .LBB112_884
; %bb.882:
	v_add3_u32 v123, v125, 0, 0x158
	v_mov_b32_e32 v122, 42
	s_mov_b32 s0, 43
.LBB112_883:                            ; =>This Inner Loop Header: Depth=1
	ds_load_b64 v[130:131], v123
	s_wait_dscnt 0x1
	v_cmp_gt_f32_e32 vcc_lo, 0, v120
	v_cndmask_b32_e64 v132, v120, -v120, vcc_lo
	v_cmp_gt_f32_e32 vcc_lo, 0, v121
	v_cndmask_b32_e64 v134, v121, -v121, vcc_lo
	s_wait_dscnt 0x0
	v_cmp_gt_f32_e32 vcc_lo, 0, v130
	v_cndmask_b32_e64 v133, v130, -v130, vcc_lo
	v_cmp_gt_f32_e32 vcc_lo, 0, v131
	v_cndmask_b32_e64 v135, v131, -v131, vcc_lo
	s_delay_alu instid0(VALU_DEP_1) | instskip(NEXT) | instid1(VALU_DEP_1)
	v_pk_add_f32 v[132:133], v[132:133], v[134:135]
	v_cmp_lt_f32_e32 vcc_lo, v132, v133
	v_dual_cndmask_b32 v120, v120, v130 :: v_dual_add_nc_u32 v123, 8, v123
	v_cndmask_b32_e32 v121, v121, v131, vcc_lo
	v_cndmask_b32_e64 v122, v122, s0, vcc_lo
	s_add_co_i32 s0, s0, 1
	s_delay_alu instid0(SALU_CYCLE_1)
	s_cmp_lg_u32 s18, s0
	s_cbranch_scc1 .LBB112_883
.LBB112_884:
	s_wait_dscnt 0x0
	v_cmp_eq_f32_e32 vcc_lo, 0, v120
	v_cmp_eq_f32_e64 s0, 0, v121
	s_and_b32 s0, vcc_lo, s0
	s_delay_alu instid0(SALU_CYCLE_1) | instskip(NEXT) | instid1(SALU_CYCLE_1)
	s_and_saveexec_b32 s1, s0
	s_xor_b32 s0, exec_lo, s1
; %bb.885:
	v_cmp_ne_u32_e32 vcc_lo, 0, v126
	v_cndmask_b32_e32 v126, 43, v126, vcc_lo
; %bb.886:
	s_and_not1_saveexec_b32 s0, s0
	s_cbranch_execz .LBB112_892
; %bb.887:
	v_cmp_ngt_f32_e64 s1, |v120|, |v121|
	s_and_saveexec_b32 s12, s1
	s_delay_alu instid0(SALU_CYCLE_1)
	s_xor_b32 s1, exec_lo, s12
	s_cbranch_execz .LBB112_889
; %bb.888:
	v_div_scale_f32 v123, null, v121, v121, v120
	v_div_scale_f32 v131, vcc_lo, v120, v121, v120
	s_delay_alu instid0(VALU_DEP_2) | instskip(SKIP_1) | instid1(TRANS32_DEP_1)
	v_rcp_f32_e32 v129, v123
	v_nop
	v_fma_f32 v130, -v123, v129, 1.0
	s_delay_alu instid0(VALU_DEP_1) | instskip(NEXT) | instid1(VALU_DEP_1)
	v_fmac_f32_e32 v129, v130, v129
	v_mul_f32_e32 v130, v131, v129
	s_delay_alu instid0(VALU_DEP_1) | instskip(NEXT) | instid1(VALU_DEP_1)
	v_fma_f32 v132, -v123, v130, v131
	v_fmac_f32_e32 v130, v132, v129
	s_delay_alu instid0(VALU_DEP_1) | instskip(NEXT) | instid1(VALU_DEP_1)
	v_fma_f32 v123, -v123, v130, v131
	v_div_fmas_f32 v123, v123, v129, v130
	s_delay_alu instid0(VALU_DEP_1) | instskip(NEXT) | instid1(VALU_DEP_1)
	v_div_fixup_f32 v123, v123, v121, v120
	v_fmac_f32_e32 v121, v120, v123
	s_delay_alu instid0(VALU_DEP_1) | instskip(SKIP_1) | instid1(VALU_DEP_2)
	v_div_scale_f32 v120, null, v121, v121, 1.0
	v_div_scale_f32 v131, vcc_lo, 1.0, v121, 1.0
	v_rcp_f32_e32 v129, v120
	v_nop
	s_delay_alu instid0(TRANS32_DEP_1) | instskip(NEXT) | instid1(VALU_DEP_1)
	v_fma_f32 v130, -v120, v129, 1.0
	v_fmac_f32_e32 v129, v130, v129
	s_delay_alu instid0(VALU_DEP_1) | instskip(NEXT) | instid1(VALU_DEP_1)
	v_mul_f32_e32 v130, v131, v129
	v_fma_f32 v132, -v120, v130, v131
	s_delay_alu instid0(VALU_DEP_1) | instskip(NEXT) | instid1(VALU_DEP_1)
	v_fmac_f32_e32 v130, v132, v129
	v_fma_f32 v120, -v120, v130, v131
	s_delay_alu instid0(VALU_DEP_1) | instskip(NEXT) | instid1(VALU_DEP_1)
	v_div_fmas_f32 v120, v120, v129, v130
	v_div_fixup_f32 v121, v120, v121, 1.0
	s_delay_alu instid0(VALU_DEP_1)
	v_mul_f32_e32 v120, v123, v121
	v_xor_b32_e32 v121, 0x80000000, v121
.LBB112_889:
	s_and_not1_saveexec_b32 s1, s1
	s_cbranch_execz .LBB112_891
; %bb.890:
	s_delay_alu instid0(VALU_DEP_1) | instskip(SKIP_1) | instid1(VALU_DEP_2)
	v_div_scale_f32 v123, null, v120, v120, v121
	v_div_scale_f32 v131, vcc_lo, v121, v120, v121
	v_rcp_f32_e32 v129, v123
	v_nop
	s_delay_alu instid0(TRANS32_DEP_1) | instskip(NEXT) | instid1(VALU_DEP_1)
	v_fma_f32 v130, -v123, v129, 1.0
	v_fmac_f32_e32 v129, v130, v129
	s_delay_alu instid0(VALU_DEP_1) | instskip(NEXT) | instid1(VALU_DEP_1)
	v_mul_f32_e32 v130, v131, v129
	v_fma_f32 v132, -v123, v130, v131
	s_delay_alu instid0(VALU_DEP_1) | instskip(NEXT) | instid1(VALU_DEP_1)
	v_fmac_f32_e32 v130, v132, v129
	v_fma_f32 v123, -v123, v130, v131
	s_delay_alu instid0(VALU_DEP_1) | instskip(NEXT) | instid1(VALU_DEP_1)
	v_div_fmas_f32 v123, v123, v129, v130
	v_div_fixup_f32 v123, v123, v120, v121
	s_delay_alu instid0(VALU_DEP_1) | instskip(NEXT) | instid1(VALU_DEP_1)
	v_fmac_f32_e32 v120, v121, v123
	v_div_scale_f32 v121, null, v120, v120, 1.0
	s_delay_alu instid0(VALU_DEP_1) | instskip(SKIP_1) | instid1(TRANS32_DEP_1)
	v_rcp_f32_e32 v129, v121
	v_nop
	v_fma_f32 v130, -v121, v129, 1.0
	s_delay_alu instid0(VALU_DEP_1) | instskip(SKIP_1) | instid1(VALU_DEP_1)
	v_fmac_f32_e32 v129, v130, v129
	v_div_scale_f32 v130, vcc_lo, 1.0, v120, 1.0
	v_mul_f32_e32 v131, v130, v129
	s_delay_alu instid0(VALU_DEP_1) | instskip(NEXT) | instid1(VALU_DEP_1)
	v_fma_f32 v132, -v121, v131, v130
	v_fmac_f32_e32 v131, v132, v129
	s_delay_alu instid0(VALU_DEP_1) | instskip(NEXT) | instid1(VALU_DEP_1)
	v_fma_f32 v121, -v121, v131, v130
	v_div_fmas_f32 v121, v121, v129, v131
	s_delay_alu instid0(VALU_DEP_1) | instskip(NEXT) | instid1(VALU_DEP_1)
	v_div_fixup_f32 v120, v121, v120, 1.0
	v_mul_f32_e64 v121, v123, -v120
.LBB112_891:
	s_or_b32 exec_lo, exec_lo, s1
.LBB112_892:
	s_delay_alu instid0(SALU_CYCLE_1) | instskip(NEXT) | instid1(SALU_CYCLE_1)
	s_or_b32 exec_lo, exec_lo, s0
	s_mov_b32 s0, exec_lo
	v_cmpx_ne_u32_e64 v128, v122
	s_xor_b32 s0, exec_lo, s0
	s_cbranch_execz .LBB112_898
; %bb.893:
	s_mov_b32 s1, exec_lo
	v_cmpx_eq_u32_e32 42, v128
	s_cbranch_execz .LBB112_897
; %bb.894:
	v_cmp_ne_u32_e32 vcc_lo, 42, v122
	s_xor_b32 s12, s16, -1
	s_delay_alu instid0(SALU_CYCLE_1) | instskip(NEXT) | instid1(SALU_CYCLE_1)
	s_and_b32 s13, s12, vcc_lo
	s_and_saveexec_b32 s12, s13
	s_cbranch_execz .LBB112_896
; %bb.895:
	v_ashrrev_i32_e32 v123, 31, v122
	s_delay_alu instid0(VALU_DEP_1)
	v_lshl_add_u64 v[128:129], v[122:123], 2, v[4:5]
	s_clause 0x1
	global_load_b32 v123, v[128:129], off
	global_load_b32 v127, v[4:5], off offset:168
	s_wait_loadcnt 0x1
	global_store_b32 v[4:5], v123, off offset:168
	s_wait_loadcnt 0x0
	global_store_b32 v[128:129], v127, off
.LBB112_896:
	s_wait_xcnt 0x0
	s_or_b32 exec_lo, exec_lo, s12
	v_dual_mov_b32 v128, v122 :: v_dual_mov_b32 v127, v122
.LBB112_897:
	s_or_b32 exec_lo, exec_lo, s1
.LBB112_898:
	s_and_not1_saveexec_b32 s0, s0
	s_cbranch_execz .LBB112_900
; %bb.899:
	v_mov_b32_e32 v128, 42
	ds_store_2addr_b64 v124, v[30:31], v[26:27] offset0:43 offset1:44
	ds_store_2addr_b64 v124, v[22:23], v[24:25] offset0:45 offset1:46
	;; [unrolled: 1-line block ×7, first 2 shown]
.LBB112_900:
	s_or_b32 exec_lo, exec_lo, s0
	s_delay_alu instid0(SALU_CYCLE_1)
	s_mov_b32 s0, exec_lo
	s_wait_storecnt_dscnt 0x0
	s_barrier_signal -1
	s_barrier_wait -1
	v_cmpx_lt_i32_e32 42, v128
	s_cbranch_execz .LBB112_902
; %bb.901:
	v_pk_mul_f32 v[122:123], v[120:121], v[34:35] op_sel:[1,1] op_sel_hi:[0,1]
	s_delay_alu instid0(VALU_DEP_1)
	v_pk_fma_f32 v[130:131], v[120:121], v[34:35], v[122:123] op_sel_hi:[1,0,1] neg_lo:[0,0,1] neg_hi:[0,0,1]
	v_pk_fma_f32 v[132:133], v[120:121], v[34:35], v[122:123] op_sel_hi:[1,0,1]
	ds_load_2addr_b64 v[120:123], v124 offset0:43 offset1:44
	v_dual_mov_b32 v34, v130 :: v_dual_mov_b32 v35, v133
	s_wait_dscnt 0x0
	v_pk_mul_f32 v[134:135], v[120:121], v[132:133] op_sel:[0,1]
	s_delay_alu instid0(VALU_DEP_1) | instskip(SKIP_1) | instid1(VALU_DEP_1)
	v_pk_fma_f32 v[136:137], v[120:121], v[130:131], v[134:135] op_sel:[0,0,1] op_sel_hi:[1,1,0] neg_lo:[0,0,1] neg_hi:[0,0,1]
	v_pk_fma_f32 v[120:121], v[120:121], v[130:131], v[134:135] op_sel:[0,0,1] op_sel_hi:[1,0,0]
	v_mov_b32_e32 v137, v121
	v_pk_mul_f32 v[120:121], v[122:123], v[132:133] op_sel:[0,1]
	s_delay_alu instid0(VALU_DEP_1) | instskip(SKIP_1) | instid1(VALU_DEP_1)
	v_pk_fma_f32 v[134:135], v[122:123], v[130:131], v[120:121] op_sel:[0,0,1] op_sel_hi:[1,1,0] neg_lo:[0,0,1] neg_hi:[0,0,1]
	v_pk_fma_f32 v[120:121], v[122:123], v[130:131], v[120:121] op_sel:[0,0,1] op_sel_hi:[1,0,0]
	v_mov_b32_e32 v135, v121
	ds_load_2addr_b64 v[120:123], v124 offset0:45 offset1:46
	v_pk_add_f32 v[30:31], v[30:31], v[136:137] neg_lo:[0,1] neg_hi:[0,1]
	v_pk_add_f32 v[26:27], v[26:27], v[134:135] neg_lo:[0,1] neg_hi:[0,1]
	s_wait_dscnt 0x0
	v_pk_mul_f32 v[134:135], v[120:121], v[132:133] op_sel:[0,1]
	s_delay_alu instid0(VALU_DEP_1) | instskip(SKIP_2) | instid1(VALU_DEP_2)
	v_pk_fma_f32 v[136:137], v[120:121], v[130:131], v[134:135] op_sel:[0,0,1] op_sel_hi:[1,1,0] neg_lo:[0,0,1] neg_hi:[0,0,1]
	v_pk_fma_f32 v[120:121], v[120:121], v[130:131], v[134:135] op_sel:[0,0,1] op_sel_hi:[1,0,0]
	v_dual_mul_f32 v134, v123, v133 :: v_dual_mov_b32 v120, v123
	v_dual_mov_b32 v137, v121 :: v_dual_mov_b32 v121, v122
	s_delay_alu instid0(VALU_DEP_2) | instskip(SKIP_1) | instid1(VALU_DEP_3)
	v_pk_fma_f32 v[134:135], v[122:123], v[34:35], v[134:135] op_sel_hi:[1,1,0] neg_lo:[0,0,1] neg_hi:[0,0,1]
	v_mul_f32_e32 v122, v123, v130
	v_pk_add_f32 v[22:23], v[22:23], v[136:137] neg_lo:[0,1] neg_hi:[0,1]
	s_delay_alu instid0(VALU_DEP_2) | instskip(NEXT) | instid1(VALU_DEP_1)
	v_pk_fma_f32 v[120:121], v[120:121], v[34:35], v[122:123] op_sel_hi:[1,1,0]
	v_mov_b32_e32 v135, v121
	ds_load_2addr_b64 v[120:123], v124 offset0:47 offset1:48
	v_pk_add_f32 v[24:25], v[24:25], v[134:135] neg_lo:[0,1] neg_hi:[0,1]
	s_wait_dscnt 0x0
	v_pk_mul_f32 v[134:135], v[120:121], v[132:133] op_sel:[0,1]
	s_delay_alu instid0(VALU_DEP_1) | instskip(SKIP_1) | instid1(VALU_DEP_1)
	v_pk_fma_f32 v[136:137], v[120:121], v[130:131], v[134:135] op_sel:[0,0,1] op_sel_hi:[1,1,0] neg_lo:[0,0,1] neg_hi:[0,0,1]
	v_pk_fma_f32 v[120:121], v[120:121], v[130:131], v[134:135] op_sel:[0,0,1] op_sel_hi:[1,0,0]
	v_mov_b32_e32 v137, v121
	v_pk_mul_f32 v[120:121], v[122:123], v[132:133] op_sel:[0,1]
	s_delay_alu instid0(VALU_DEP_1) | instskip(SKIP_1) | instid1(VALU_DEP_1)
	v_pk_fma_f32 v[134:135], v[122:123], v[130:131], v[120:121] op_sel:[0,0,1] op_sel_hi:[1,1,0] neg_lo:[0,0,1] neg_hi:[0,0,1]
	v_pk_fma_f32 v[120:121], v[122:123], v[130:131], v[120:121] op_sel:[0,0,1] op_sel_hi:[1,0,0]
	v_mov_b32_e32 v135, v121
	ds_load_2addr_b64 v[120:123], v124 offset0:49 offset1:50
	v_pk_add_f32 v[20:21], v[20:21], v[136:137] neg_lo:[0,1] neg_hi:[0,1]
	v_pk_add_f32 v[14:15], v[14:15], v[134:135] neg_lo:[0,1] neg_hi:[0,1]
	s_wait_dscnt 0x0
	v_pk_mul_f32 v[134:135], v[120:121], v[132:133] op_sel:[0,1]
	s_delay_alu instid0(VALU_DEP_1) | instskip(SKIP_1) | instid1(VALU_DEP_1)
	v_pk_fma_f32 v[136:137], v[120:121], v[130:131], v[134:135] op_sel:[0,0,1] op_sel_hi:[1,1,0] neg_lo:[0,0,1] neg_hi:[0,0,1]
	v_pk_fma_f32 v[120:121], v[120:121], v[130:131], v[134:135] op_sel:[0,0,1] op_sel_hi:[1,0,0]
	v_mov_b32_e32 v137, v121
	v_pk_mul_f32 v[120:121], v[122:123], v[132:133] op_sel:[0,1]
	s_delay_alu instid0(VALU_DEP_1) | instskip(SKIP_1) | instid1(VALU_DEP_1)
	v_pk_fma_f32 v[134:135], v[122:123], v[130:131], v[120:121] op_sel:[0,0,1] op_sel_hi:[1,1,0] neg_lo:[0,0,1] neg_hi:[0,0,1]
	v_pk_fma_f32 v[120:121], v[122:123], v[130:131], v[120:121] op_sel:[0,0,1] op_sel_hi:[1,0,0]
	v_mov_b32_e32 v135, v121
	ds_load_2addr_b64 v[120:123], v124 offset0:51 offset1:52
	v_pk_add_f32 v[10:11], v[10:11], v[136:137] neg_lo:[0,1] neg_hi:[0,1]
	v_pk_add_f32 v[12:13], v[12:13], v[134:135] neg_lo:[0,1] neg_hi:[0,1]
	s_wait_dscnt 0x0
	v_dual_mul_f32 v134, v121, v133 :: v_dual_mul_f32 v136, v121, v130
	s_delay_alu instid0(VALU_DEP_1) | instskip(NEXT) | instid1(VALU_DEP_2)
	v_pk_fma_f32 v[134:135], v[120:121], v[34:35], v[134:135] op_sel_hi:[1,1,0] neg_lo:[0,0,1] neg_hi:[0,0,1]
	v_pk_fma_f32 v[120:121], v[120:121], v[34:35], v[136:137] op_sel:[1,0,0] op_sel_hi:[0,1,0]
	s_delay_alu instid0(VALU_DEP_1) | instskip(SKIP_1) | instid1(VALU_DEP_2)
	v_mov_b32_e32 v135, v121
	v_pk_mul_f32 v[120:121], v[122:123], v[132:133] op_sel:[0,1]
	v_pk_add_f32 v[8:9], v[8:9], v[134:135] neg_lo:[0,1] neg_hi:[0,1]
	s_delay_alu instid0(VALU_DEP_2) | instskip(SKIP_1) | instid1(VALU_DEP_1)
	v_pk_fma_f32 v[134:135], v[122:123], v[130:131], v[120:121] op_sel:[0,0,1] op_sel_hi:[1,1,0] neg_lo:[0,0,1] neg_hi:[0,0,1]
	v_pk_fma_f32 v[120:121], v[122:123], v[130:131], v[120:121] op_sel:[0,0,1] op_sel_hi:[1,0,0]
	v_mov_b32_e32 v135, v121
	ds_load_2addr_b64 v[120:123], v124 offset0:53 offset1:54
	v_pk_add_f32 v[6:7], v[6:7], v[134:135] neg_lo:[0,1] neg_hi:[0,1]
	s_wait_dscnt 0x0
	v_pk_mul_f32 v[134:135], v[120:121], v[132:133] op_sel:[0,1]
	s_delay_alu instid0(VALU_DEP_1) | instskip(SKIP_1) | instid1(VALU_DEP_1)
	v_pk_fma_f32 v[136:137], v[120:121], v[130:131], v[134:135] op_sel:[0,0,1] op_sel_hi:[1,1,0] neg_lo:[0,0,1] neg_hi:[0,0,1]
	v_pk_fma_f32 v[120:121], v[120:121], v[130:131], v[134:135] op_sel:[0,0,1] op_sel_hi:[1,0,0]
	v_mov_b32_e32 v137, v121
	v_pk_mul_f32 v[120:121], v[122:123], v[132:133] op_sel:[0,1]
	s_delay_alu instid0(VALU_DEP_2) | instskip(NEXT) | instid1(VALU_DEP_2)
	v_pk_add_f32 v[28:29], v[28:29], v[136:137] neg_lo:[0,1] neg_hi:[0,1]
	v_pk_fma_f32 v[134:135], v[122:123], v[130:131], v[120:121] op_sel:[0,0,1] op_sel_hi:[1,1,0] neg_lo:[0,0,1] neg_hi:[0,0,1]
	v_pk_fma_f32 v[120:121], v[122:123], v[130:131], v[120:121] op_sel:[0,0,1] op_sel_hi:[1,0,0]
	s_delay_alu instid0(VALU_DEP_1) | instskip(SKIP_4) | instid1(VALU_DEP_1)
	v_mov_b32_e32 v135, v121
	ds_load_2addr_b64 v[120:123], v124 offset0:55 offset1:56
	v_pk_add_f32 v[18:19], v[18:19], v[134:135] neg_lo:[0,1] neg_hi:[0,1]
	s_wait_dscnt 0x0
	v_pk_mul_f32 v[134:135], v[120:121], v[132:133] op_sel:[0,1]
	v_pk_fma_f32 v[136:137], v[120:121], v[130:131], v[134:135] op_sel:[0,0,1] op_sel_hi:[1,1,0] neg_lo:[0,0,1] neg_hi:[0,0,1]
	v_pk_fma_f32 v[120:121], v[120:121], v[130:131], v[134:135] op_sel:[0,0,1] op_sel_hi:[1,0,0]
	s_delay_alu instid0(VALU_DEP_1) | instskip(SKIP_1) | instid1(VALU_DEP_2)
	v_mov_b32_e32 v137, v121
	v_pk_mul_f32 v[120:121], v[122:123], v[132:133] op_sel:[0,1]
	v_pk_add_f32 v[16:17], v[16:17], v[136:137] neg_lo:[0,1] neg_hi:[0,1]
	s_delay_alu instid0(VALU_DEP_2) | instskip(SKIP_1) | instid1(VALU_DEP_1)
	v_pk_fma_f32 v[132:133], v[122:123], v[130:131], v[120:121] op_sel:[0,0,1] op_sel_hi:[1,1,0] neg_lo:[0,0,1] neg_hi:[0,0,1]
	v_pk_fma_f32 v[120:121], v[122:123], v[130:131], v[120:121] op_sel:[0,0,1] op_sel_hi:[1,0,0]
	v_mov_b32_e32 v133, v121
	s_delay_alu instid0(VALU_DEP_1)
	v_pk_add_f32 v[118:119], v[118:119], v[132:133] neg_lo:[0,1] neg_hi:[0,1]
.LBB112_902:
	s_or_b32 exec_lo, exec_lo, s0
	v_lshl_add_u32 v120, v128, 3, v124
	s_barrier_signal -1
	s_barrier_wait -1
	ds_store_b64 v120, v[30:31]
	s_wait_dscnt 0x0
	s_barrier_signal -1
	s_barrier_wait -1
	ds_load_b64 v[120:121], v124 offset:344
	v_mov_b32_e32 v122, 43
	s_cmp_lt_i32 s18, 45
	s_cbranch_scc1 .LBB112_905
; %bb.903:
	v_add3_u32 v123, v125, 0, 0x160
	v_mov_b32_e32 v122, 43
	s_mov_b32 s0, 44
.LBB112_904:                            ; =>This Inner Loop Header: Depth=1
	ds_load_b64 v[130:131], v123
	s_wait_dscnt 0x1
	v_cmp_gt_f32_e32 vcc_lo, 0, v120
	v_cndmask_b32_e64 v132, v120, -v120, vcc_lo
	v_cmp_gt_f32_e32 vcc_lo, 0, v121
	v_cndmask_b32_e64 v134, v121, -v121, vcc_lo
	s_wait_dscnt 0x0
	v_cmp_gt_f32_e32 vcc_lo, 0, v130
	v_cndmask_b32_e64 v133, v130, -v130, vcc_lo
	v_cmp_gt_f32_e32 vcc_lo, 0, v131
	v_cndmask_b32_e64 v135, v131, -v131, vcc_lo
	s_delay_alu instid0(VALU_DEP_1) | instskip(NEXT) | instid1(VALU_DEP_1)
	v_pk_add_f32 v[132:133], v[132:133], v[134:135]
	v_cmp_lt_f32_e32 vcc_lo, v132, v133
	v_dual_cndmask_b32 v120, v120, v130 :: v_dual_add_nc_u32 v123, 8, v123
	v_cndmask_b32_e32 v121, v121, v131, vcc_lo
	v_cndmask_b32_e64 v122, v122, s0, vcc_lo
	s_add_co_i32 s0, s0, 1
	s_delay_alu instid0(SALU_CYCLE_1)
	s_cmp_lg_u32 s18, s0
	s_cbranch_scc1 .LBB112_904
.LBB112_905:
	s_wait_dscnt 0x0
	v_cmp_eq_f32_e32 vcc_lo, 0, v120
	v_cmp_eq_f32_e64 s0, 0, v121
	s_and_b32 s0, vcc_lo, s0
	s_delay_alu instid0(SALU_CYCLE_1) | instskip(NEXT) | instid1(SALU_CYCLE_1)
	s_and_saveexec_b32 s1, s0
	s_xor_b32 s0, exec_lo, s1
; %bb.906:
	v_cmp_ne_u32_e32 vcc_lo, 0, v126
	v_cndmask_b32_e32 v126, 44, v126, vcc_lo
; %bb.907:
	s_and_not1_saveexec_b32 s0, s0
	s_cbranch_execz .LBB112_913
; %bb.908:
	v_cmp_ngt_f32_e64 s1, |v120|, |v121|
	s_and_saveexec_b32 s12, s1
	s_delay_alu instid0(SALU_CYCLE_1)
	s_xor_b32 s1, exec_lo, s12
	s_cbranch_execz .LBB112_910
; %bb.909:
	v_div_scale_f32 v123, null, v121, v121, v120
	v_div_scale_f32 v131, vcc_lo, v120, v121, v120
	s_delay_alu instid0(VALU_DEP_2) | instskip(SKIP_1) | instid1(TRANS32_DEP_1)
	v_rcp_f32_e32 v129, v123
	v_nop
	v_fma_f32 v130, -v123, v129, 1.0
	s_delay_alu instid0(VALU_DEP_1) | instskip(NEXT) | instid1(VALU_DEP_1)
	v_fmac_f32_e32 v129, v130, v129
	v_mul_f32_e32 v130, v131, v129
	s_delay_alu instid0(VALU_DEP_1) | instskip(NEXT) | instid1(VALU_DEP_1)
	v_fma_f32 v132, -v123, v130, v131
	v_fmac_f32_e32 v130, v132, v129
	s_delay_alu instid0(VALU_DEP_1) | instskip(NEXT) | instid1(VALU_DEP_1)
	v_fma_f32 v123, -v123, v130, v131
	v_div_fmas_f32 v123, v123, v129, v130
	s_delay_alu instid0(VALU_DEP_1) | instskip(NEXT) | instid1(VALU_DEP_1)
	v_div_fixup_f32 v123, v123, v121, v120
	v_fmac_f32_e32 v121, v120, v123
	s_delay_alu instid0(VALU_DEP_1) | instskip(SKIP_1) | instid1(VALU_DEP_2)
	v_div_scale_f32 v120, null, v121, v121, 1.0
	v_div_scale_f32 v131, vcc_lo, 1.0, v121, 1.0
	v_rcp_f32_e32 v129, v120
	v_nop
	s_delay_alu instid0(TRANS32_DEP_1) | instskip(NEXT) | instid1(VALU_DEP_1)
	v_fma_f32 v130, -v120, v129, 1.0
	v_fmac_f32_e32 v129, v130, v129
	s_delay_alu instid0(VALU_DEP_1) | instskip(NEXT) | instid1(VALU_DEP_1)
	v_mul_f32_e32 v130, v131, v129
	v_fma_f32 v132, -v120, v130, v131
	s_delay_alu instid0(VALU_DEP_1) | instskip(NEXT) | instid1(VALU_DEP_1)
	v_fmac_f32_e32 v130, v132, v129
	v_fma_f32 v120, -v120, v130, v131
	s_delay_alu instid0(VALU_DEP_1) | instskip(NEXT) | instid1(VALU_DEP_1)
	v_div_fmas_f32 v120, v120, v129, v130
	v_div_fixup_f32 v121, v120, v121, 1.0
	s_delay_alu instid0(VALU_DEP_1)
	v_mul_f32_e32 v120, v123, v121
	v_xor_b32_e32 v121, 0x80000000, v121
.LBB112_910:
	s_and_not1_saveexec_b32 s1, s1
	s_cbranch_execz .LBB112_912
; %bb.911:
	s_delay_alu instid0(VALU_DEP_1) | instskip(SKIP_1) | instid1(VALU_DEP_2)
	v_div_scale_f32 v123, null, v120, v120, v121
	v_div_scale_f32 v131, vcc_lo, v121, v120, v121
	v_rcp_f32_e32 v129, v123
	v_nop
	s_delay_alu instid0(TRANS32_DEP_1) | instskip(NEXT) | instid1(VALU_DEP_1)
	v_fma_f32 v130, -v123, v129, 1.0
	v_fmac_f32_e32 v129, v130, v129
	s_delay_alu instid0(VALU_DEP_1) | instskip(NEXT) | instid1(VALU_DEP_1)
	v_mul_f32_e32 v130, v131, v129
	v_fma_f32 v132, -v123, v130, v131
	s_delay_alu instid0(VALU_DEP_1) | instskip(NEXT) | instid1(VALU_DEP_1)
	v_fmac_f32_e32 v130, v132, v129
	v_fma_f32 v123, -v123, v130, v131
	s_delay_alu instid0(VALU_DEP_1) | instskip(NEXT) | instid1(VALU_DEP_1)
	v_div_fmas_f32 v123, v123, v129, v130
	v_div_fixup_f32 v123, v123, v120, v121
	s_delay_alu instid0(VALU_DEP_1) | instskip(NEXT) | instid1(VALU_DEP_1)
	v_fmac_f32_e32 v120, v121, v123
	v_div_scale_f32 v121, null, v120, v120, 1.0
	s_delay_alu instid0(VALU_DEP_1) | instskip(SKIP_1) | instid1(TRANS32_DEP_1)
	v_rcp_f32_e32 v129, v121
	v_nop
	v_fma_f32 v130, -v121, v129, 1.0
	s_delay_alu instid0(VALU_DEP_1) | instskip(SKIP_1) | instid1(VALU_DEP_1)
	v_fmac_f32_e32 v129, v130, v129
	v_div_scale_f32 v130, vcc_lo, 1.0, v120, 1.0
	v_mul_f32_e32 v131, v130, v129
	s_delay_alu instid0(VALU_DEP_1) | instskip(NEXT) | instid1(VALU_DEP_1)
	v_fma_f32 v132, -v121, v131, v130
	v_fmac_f32_e32 v131, v132, v129
	s_delay_alu instid0(VALU_DEP_1) | instskip(NEXT) | instid1(VALU_DEP_1)
	v_fma_f32 v121, -v121, v131, v130
	v_div_fmas_f32 v121, v121, v129, v131
	s_delay_alu instid0(VALU_DEP_1) | instskip(NEXT) | instid1(VALU_DEP_1)
	v_div_fixup_f32 v120, v121, v120, 1.0
	v_mul_f32_e64 v121, v123, -v120
.LBB112_912:
	s_or_b32 exec_lo, exec_lo, s1
.LBB112_913:
	s_delay_alu instid0(SALU_CYCLE_1) | instskip(NEXT) | instid1(SALU_CYCLE_1)
	s_or_b32 exec_lo, exec_lo, s0
	s_mov_b32 s0, exec_lo
	v_cmpx_ne_u32_e64 v128, v122
	s_xor_b32 s0, exec_lo, s0
	s_cbranch_execz .LBB112_919
; %bb.914:
	s_mov_b32 s1, exec_lo
	v_cmpx_eq_u32_e32 43, v128
	s_cbranch_execz .LBB112_918
; %bb.915:
	v_cmp_ne_u32_e32 vcc_lo, 43, v122
	s_xor_b32 s12, s16, -1
	s_delay_alu instid0(SALU_CYCLE_1) | instskip(NEXT) | instid1(SALU_CYCLE_1)
	s_and_b32 s13, s12, vcc_lo
	s_and_saveexec_b32 s12, s13
	s_cbranch_execz .LBB112_917
; %bb.916:
	v_ashrrev_i32_e32 v123, 31, v122
	s_delay_alu instid0(VALU_DEP_1)
	v_lshl_add_u64 v[128:129], v[122:123], 2, v[4:5]
	s_clause 0x1
	global_load_b32 v123, v[128:129], off
	global_load_b32 v127, v[4:5], off offset:172
	s_wait_loadcnt 0x1
	global_store_b32 v[4:5], v123, off offset:172
	s_wait_loadcnt 0x0
	global_store_b32 v[128:129], v127, off
.LBB112_917:
	s_wait_xcnt 0x0
	s_or_b32 exec_lo, exec_lo, s12
	v_dual_mov_b32 v128, v122 :: v_dual_mov_b32 v127, v122
.LBB112_918:
	s_or_b32 exec_lo, exec_lo, s1
.LBB112_919:
	s_and_not1_saveexec_b32 s0, s0
	s_cbranch_execz .LBB112_921
; %bb.920:
	v_dual_mov_b32 v122, v26 :: v_dual_mov_b32 v123, v27
	v_dual_mov_b32 v128, v22 :: v_dual_mov_b32 v129, v23
	;; [unrolled: 1-line block ×4, first 2 shown]
	ds_store_2addr_b64 v124, v[122:123], v[128:129] offset0:44 offset1:45
	ds_store_2addr_b64 v124, v[130:131], v[132:133] offset0:46 offset1:47
	v_dual_mov_b32 v122, v14 :: v_dual_mov_b32 v123, v15
	v_dual_mov_b32 v130, v10 :: v_dual_mov_b32 v131, v11
	;; [unrolled: 1-line block ×8, first 2 shown]
	v_mov_b32_e32 v143, v17
	ds_store_2addr_b64 v124, v[122:123], v[130:131] offset0:48 offset1:49
	ds_store_2addr_b64 v124, v[132:133], v[134:135] offset0:50 offset1:51
	ds_store_2addr_b64 v124, v[136:137], v[138:139] offset0:52 offset1:53
	ds_store_2addr_b64 v124, v[140:141], v[142:143] offset0:54 offset1:55
	ds_store_b64 v124, v[118:119] offset:448
.LBB112_921:
	s_or_b32 exec_lo, exec_lo, s0
	s_delay_alu instid0(SALU_CYCLE_1)
	s_mov_b32 s0, exec_lo
	s_wait_storecnt_dscnt 0x0
	s_barrier_signal -1
	s_barrier_wait -1
	v_cmpx_lt_i32_e32 43, v128
	s_cbranch_execz .LBB112_923
; %bb.922:
	v_pk_mul_f32 v[122:123], v[120:121], v[30:31] op_sel:[1,1] op_sel_hi:[0,1]
	s_delay_alu instid0(VALU_DEP_1)
	v_pk_fma_f32 v[130:131], v[120:121], v[30:31], v[122:123] op_sel_hi:[1,0,1] neg_lo:[0,0,1] neg_hi:[0,0,1]
	v_pk_fma_f32 v[132:133], v[120:121], v[30:31], v[122:123] op_sel_hi:[1,0,1]
	ds_load_2addr_b64 v[120:123], v124 offset0:44 offset1:45
	v_dual_mov_b32 v30, v130 :: v_dual_mov_b32 v31, v133
	s_wait_dscnt 0x0
	v_pk_mul_f32 v[134:135], v[120:121], v[132:133] op_sel:[0,1]
	s_delay_alu instid0(VALU_DEP_1) | instskip(SKIP_1) | instid1(VALU_DEP_1)
	v_pk_fma_f32 v[136:137], v[120:121], v[130:131], v[134:135] op_sel:[0,0,1] op_sel_hi:[1,1,0] neg_lo:[0,0,1] neg_hi:[0,0,1]
	v_pk_fma_f32 v[120:121], v[120:121], v[130:131], v[134:135] op_sel:[0,0,1] op_sel_hi:[1,0,0]
	v_mov_b32_e32 v137, v121
	v_pk_mul_f32 v[120:121], v[122:123], v[132:133] op_sel:[0,1]
	s_delay_alu instid0(VALU_DEP_1) | instskip(SKIP_1) | instid1(VALU_DEP_1)
	v_pk_fma_f32 v[134:135], v[122:123], v[130:131], v[120:121] op_sel:[0,0,1] op_sel_hi:[1,1,0] neg_lo:[0,0,1] neg_hi:[0,0,1]
	v_pk_fma_f32 v[120:121], v[122:123], v[130:131], v[120:121] op_sel:[0,0,1] op_sel_hi:[1,0,0]
	v_mov_b32_e32 v135, v121
	ds_load_2addr_b64 v[120:123], v124 offset0:46 offset1:47
	v_pk_add_f32 v[26:27], v[26:27], v[136:137] neg_lo:[0,1] neg_hi:[0,1]
	v_pk_add_f32 v[22:23], v[22:23], v[134:135] neg_lo:[0,1] neg_hi:[0,1]
	s_wait_dscnt 0x0
	v_pk_mul_f32 v[134:135], v[120:121], v[132:133] op_sel:[0,1]
	s_delay_alu instid0(VALU_DEP_1) | instskip(SKIP_2) | instid1(VALU_DEP_2)
	v_pk_fma_f32 v[136:137], v[120:121], v[130:131], v[134:135] op_sel:[0,0,1] op_sel_hi:[1,1,0] neg_lo:[0,0,1] neg_hi:[0,0,1]
	v_pk_fma_f32 v[120:121], v[120:121], v[130:131], v[134:135] op_sel:[0,0,1] op_sel_hi:[1,0,0]
	v_dual_mul_f32 v134, v123, v133 :: v_dual_mov_b32 v120, v123
	v_dual_mov_b32 v137, v121 :: v_dual_mov_b32 v121, v122
	s_delay_alu instid0(VALU_DEP_2) | instskip(SKIP_1) | instid1(VALU_DEP_3)
	v_pk_fma_f32 v[134:135], v[122:123], v[30:31], v[134:135] op_sel_hi:[1,1,0] neg_lo:[0,0,1] neg_hi:[0,0,1]
	v_mul_f32_e32 v122, v123, v130
	v_pk_add_f32 v[24:25], v[24:25], v[136:137] neg_lo:[0,1] neg_hi:[0,1]
	s_delay_alu instid0(VALU_DEP_2) | instskip(NEXT) | instid1(VALU_DEP_1)
	v_pk_fma_f32 v[120:121], v[120:121], v[30:31], v[122:123] op_sel_hi:[1,1,0]
	v_mov_b32_e32 v135, v121
	ds_load_2addr_b64 v[120:123], v124 offset0:48 offset1:49
	v_pk_add_f32 v[20:21], v[20:21], v[134:135] neg_lo:[0,1] neg_hi:[0,1]
	s_wait_dscnt 0x0
	v_pk_mul_f32 v[134:135], v[120:121], v[132:133] op_sel:[0,1]
	s_delay_alu instid0(VALU_DEP_1) | instskip(SKIP_1) | instid1(VALU_DEP_1)
	v_pk_fma_f32 v[136:137], v[120:121], v[130:131], v[134:135] op_sel:[0,0,1] op_sel_hi:[1,1,0] neg_lo:[0,0,1] neg_hi:[0,0,1]
	v_pk_fma_f32 v[120:121], v[120:121], v[130:131], v[134:135] op_sel:[0,0,1] op_sel_hi:[1,0,0]
	v_mov_b32_e32 v137, v121
	v_pk_mul_f32 v[120:121], v[122:123], v[132:133] op_sel:[0,1]
	s_delay_alu instid0(VALU_DEP_1) | instskip(SKIP_1) | instid1(VALU_DEP_1)
	v_pk_fma_f32 v[134:135], v[122:123], v[130:131], v[120:121] op_sel:[0,0,1] op_sel_hi:[1,1,0] neg_lo:[0,0,1] neg_hi:[0,0,1]
	v_pk_fma_f32 v[120:121], v[122:123], v[130:131], v[120:121] op_sel:[0,0,1] op_sel_hi:[1,0,0]
	v_mov_b32_e32 v135, v121
	ds_load_2addr_b64 v[120:123], v124 offset0:50 offset1:51
	v_pk_add_f32 v[14:15], v[14:15], v[136:137] neg_lo:[0,1] neg_hi:[0,1]
	v_pk_add_f32 v[10:11], v[10:11], v[134:135] neg_lo:[0,1] neg_hi:[0,1]
	s_wait_dscnt 0x0
	v_pk_mul_f32 v[134:135], v[120:121], v[132:133] op_sel:[0,1]
	s_delay_alu instid0(VALU_DEP_1) | instskip(SKIP_1) | instid1(VALU_DEP_1)
	v_pk_fma_f32 v[136:137], v[120:121], v[130:131], v[134:135] op_sel:[0,0,1] op_sel_hi:[1,1,0] neg_lo:[0,0,1] neg_hi:[0,0,1]
	v_pk_fma_f32 v[120:121], v[120:121], v[130:131], v[134:135] op_sel:[0,0,1] op_sel_hi:[1,0,0]
	v_mov_b32_e32 v137, v121
	v_pk_mul_f32 v[120:121], v[122:123], v[132:133] op_sel:[0,1]
	s_delay_alu instid0(VALU_DEP_1) | instskip(SKIP_1) | instid1(VALU_DEP_1)
	v_pk_fma_f32 v[134:135], v[122:123], v[130:131], v[120:121] op_sel:[0,0,1] op_sel_hi:[1,1,0] neg_lo:[0,0,1] neg_hi:[0,0,1]
	v_pk_fma_f32 v[120:121], v[122:123], v[130:131], v[120:121] op_sel:[0,0,1] op_sel_hi:[1,0,0]
	v_mov_b32_e32 v135, v121
	ds_load_2addr_b64 v[120:123], v124 offset0:52 offset1:53
	v_pk_add_f32 v[12:13], v[12:13], v[136:137] neg_lo:[0,1] neg_hi:[0,1]
	v_pk_add_f32 v[8:9], v[8:9], v[134:135] neg_lo:[0,1] neg_hi:[0,1]
	s_wait_dscnt 0x0
	v_dual_mul_f32 v134, v121, v133 :: v_dual_mul_f32 v136, v121, v130
	s_delay_alu instid0(VALU_DEP_1) | instskip(NEXT) | instid1(VALU_DEP_2)
	v_pk_fma_f32 v[134:135], v[120:121], v[30:31], v[134:135] op_sel_hi:[1,1,0] neg_lo:[0,0,1] neg_hi:[0,0,1]
	v_pk_fma_f32 v[120:121], v[120:121], v[30:31], v[136:137] op_sel:[1,0,0] op_sel_hi:[0,1,0]
	s_delay_alu instid0(VALU_DEP_1) | instskip(SKIP_1) | instid1(VALU_DEP_2)
	v_mov_b32_e32 v135, v121
	v_pk_mul_f32 v[120:121], v[122:123], v[132:133] op_sel:[0,1]
	v_pk_add_f32 v[6:7], v[6:7], v[134:135] neg_lo:[0,1] neg_hi:[0,1]
	s_delay_alu instid0(VALU_DEP_2) | instskip(SKIP_1) | instid1(VALU_DEP_1)
	v_pk_fma_f32 v[134:135], v[122:123], v[130:131], v[120:121] op_sel:[0,0,1] op_sel_hi:[1,1,0] neg_lo:[0,0,1] neg_hi:[0,0,1]
	v_pk_fma_f32 v[120:121], v[122:123], v[130:131], v[120:121] op_sel:[0,0,1] op_sel_hi:[1,0,0]
	v_mov_b32_e32 v135, v121
	ds_load_2addr_b64 v[120:123], v124 offset0:54 offset1:55
	v_pk_add_f32 v[28:29], v[28:29], v[134:135] neg_lo:[0,1] neg_hi:[0,1]
	s_wait_dscnt 0x0
	v_pk_mul_f32 v[134:135], v[120:121], v[132:133] op_sel:[0,1]
	s_delay_alu instid0(VALU_DEP_1) | instskip(SKIP_1) | instid1(VALU_DEP_1)
	v_pk_fma_f32 v[136:137], v[120:121], v[130:131], v[134:135] op_sel:[0,0,1] op_sel_hi:[1,1,0] neg_lo:[0,0,1] neg_hi:[0,0,1]
	v_pk_fma_f32 v[120:121], v[120:121], v[130:131], v[134:135] op_sel:[0,0,1] op_sel_hi:[1,0,0]
	v_mov_b32_e32 v137, v121
	v_pk_mul_f32 v[120:121], v[122:123], v[132:133] op_sel:[0,1]
	s_delay_alu instid0(VALU_DEP_2) | instskip(NEXT) | instid1(VALU_DEP_2)
	v_pk_add_f32 v[18:19], v[18:19], v[136:137] neg_lo:[0,1] neg_hi:[0,1]
	v_pk_fma_f32 v[134:135], v[122:123], v[130:131], v[120:121] op_sel:[0,0,1] op_sel_hi:[1,1,0] neg_lo:[0,0,1] neg_hi:[0,0,1]
	v_pk_fma_f32 v[120:121], v[122:123], v[130:131], v[120:121] op_sel:[0,0,1] op_sel_hi:[1,0,0]
	s_delay_alu instid0(VALU_DEP_1) | instskip(SKIP_4) | instid1(VALU_DEP_1)
	v_mov_b32_e32 v135, v121
	ds_load_b64 v[120:121], v124 offset:448
	v_pk_add_f32 v[16:17], v[16:17], v[134:135] neg_lo:[0,1] neg_hi:[0,1]
	s_wait_dscnt 0x0
	v_pk_mul_f32 v[122:123], v[120:121], v[132:133] op_sel:[0,1]
	v_pk_fma_f32 v[132:133], v[120:121], v[130:131], v[122:123] op_sel:[0,0,1] op_sel_hi:[1,1,0] neg_lo:[0,0,1] neg_hi:[0,0,1]
	v_pk_fma_f32 v[120:121], v[120:121], v[130:131], v[122:123] op_sel:[0,0,1] op_sel_hi:[1,0,0]
	s_delay_alu instid0(VALU_DEP_1) | instskip(NEXT) | instid1(VALU_DEP_1)
	v_mov_b32_e32 v133, v121
	v_pk_add_f32 v[118:119], v[118:119], v[132:133] neg_lo:[0,1] neg_hi:[0,1]
.LBB112_923:
	s_or_b32 exec_lo, exec_lo, s0
	v_lshl_add_u32 v120, v128, 3, v124
	s_barrier_signal -1
	s_barrier_wait -1
	ds_store_b64 v120, v[26:27]
	s_wait_dscnt 0x0
	s_barrier_signal -1
	s_barrier_wait -1
	ds_load_b64 v[120:121], v124 offset:352
	v_mov_b32_e32 v122, 44
	s_cmp_lt_i32 s18, 46
	s_cbranch_scc1 .LBB112_926
; %bb.924:
	v_add3_u32 v123, v125, 0, 0x168
	v_mov_b32_e32 v122, 44
	s_mov_b32 s0, 45
.LBB112_925:                            ; =>This Inner Loop Header: Depth=1
	ds_load_b64 v[130:131], v123
	s_wait_dscnt 0x1
	v_cmp_gt_f32_e32 vcc_lo, 0, v120
	v_cndmask_b32_e64 v132, v120, -v120, vcc_lo
	v_cmp_gt_f32_e32 vcc_lo, 0, v121
	v_cndmask_b32_e64 v134, v121, -v121, vcc_lo
	s_wait_dscnt 0x0
	v_cmp_gt_f32_e32 vcc_lo, 0, v130
	v_cndmask_b32_e64 v133, v130, -v130, vcc_lo
	v_cmp_gt_f32_e32 vcc_lo, 0, v131
	v_cndmask_b32_e64 v135, v131, -v131, vcc_lo
	s_delay_alu instid0(VALU_DEP_1) | instskip(NEXT) | instid1(VALU_DEP_1)
	v_pk_add_f32 v[132:133], v[132:133], v[134:135]
	v_cmp_lt_f32_e32 vcc_lo, v132, v133
	v_dual_cndmask_b32 v120, v120, v130 :: v_dual_add_nc_u32 v123, 8, v123
	v_cndmask_b32_e32 v121, v121, v131, vcc_lo
	v_cndmask_b32_e64 v122, v122, s0, vcc_lo
	s_add_co_i32 s0, s0, 1
	s_delay_alu instid0(SALU_CYCLE_1)
	s_cmp_lg_u32 s18, s0
	s_cbranch_scc1 .LBB112_925
.LBB112_926:
	s_wait_dscnt 0x0
	v_cmp_eq_f32_e32 vcc_lo, 0, v120
	v_cmp_eq_f32_e64 s0, 0, v121
	s_and_b32 s0, vcc_lo, s0
	s_delay_alu instid0(SALU_CYCLE_1) | instskip(NEXT) | instid1(SALU_CYCLE_1)
	s_and_saveexec_b32 s1, s0
	s_xor_b32 s0, exec_lo, s1
; %bb.927:
	v_cmp_ne_u32_e32 vcc_lo, 0, v126
	v_cndmask_b32_e32 v126, 45, v126, vcc_lo
; %bb.928:
	s_and_not1_saveexec_b32 s0, s0
	s_cbranch_execz .LBB112_934
; %bb.929:
	v_cmp_ngt_f32_e64 s1, |v120|, |v121|
	s_and_saveexec_b32 s12, s1
	s_delay_alu instid0(SALU_CYCLE_1)
	s_xor_b32 s1, exec_lo, s12
	s_cbranch_execz .LBB112_931
; %bb.930:
	v_div_scale_f32 v123, null, v121, v121, v120
	v_div_scale_f32 v131, vcc_lo, v120, v121, v120
	s_delay_alu instid0(VALU_DEP_2) | instskip(SKIP_1) | instid1(TRANS32_DEP_1)
	v_rcp_f32_e32 v129, v123
	v_nop
	v_fma_f32 v130, -v123, v129, 1.0
	s_delay_alu instid0(VALU_DEP_1) | instskip(NEXT) | instid1(VALU_DEP_1)
	v_fmac_f32_e32 v129, v130, v129
	v_mul_f32_e32 v130, v131, v129
	s_delay_alu instid0(VALU_DEP_1) | instskip(NEXT) | instid1(VALU_DEP_1)
	v_fma_f32 v132, -v123, v130, v131
	v_fmac_f32_e32 v130, v132, v129
	s_delay_alu instid0(VALU_DEP_1) | instskip(NEXT) | instid1(VALU_DEP_1)
	v_fma_f32 v123, -v123, v130, v131
	v_div_fmas_f32 v123, v123, v129, v130
	s_delay_alu instid0(VALU_DEP_1) | instskip(NEXT) | instid1(VALU_DEP_1)
	v_div_fixup_f32 v123, v123, v121, v120
	v_fmac_f32_e32 v121, v120, v123
	s_delay_alu instid0(VALU_DEP_1) | instskip(SKIP_1) | instid1(VALU_DEP_2)
	v_div_scale_f32 v120, null, v121, v121, 1.0
	v_div_scale_f32 v131, vcc_lo, 1.0, v121, 1.0
	v_rcp_f32_e32 v129, v120
	v_nop
	s_delay_alu instid0(TRANS32_DEP_1) | instskip(NEXT) | instid1(VALU_DEP_1)
	v_fma_f32 v130, -v120, v129, 1.0
	v_fmac_f32_e32 v129, v130, v129
	s_delay_alu instid0(VALU_DEP_1) | instskip(NEXT) | instid1(VALU_DEP_1)
	v_mul_f32_e32 v130, v131, v129
	v_fma_f32 v132, -v120, v130, v131
	s_delay_alu instid0(VALU_DEP_1) | instskip(NEXT) | instid1(VALU_DEP_1)
	v_fmac_f32_e32 v130, v132, v129
	v_fma_f32 v120, -v120, v130, v131
	s_delay_alu instid0(VALU_DEP_1) | instskip(NEXT) | instid1(VALU_DEP_1)
	v_div_fmas_f32 v120, v120, v129, v130
	v_div_fixup_f32 v121, v120, v121, 1.0
	s_delay_alu instid0(VALU_DEP_1)
	v_mul_f32_e32 v120, v123, v121
	v_xor_b32_e32 v121, 0x80000000, v121
.LBB112_931:
	s_and_not1_saveexec_b32 s1, s1
	s_cbranch_execz .LBB112_933
; %bb.932:
	s_delay_alu instid0(VALU_DEP_1) | instskip(SKIP_1) | instid1(VALU_DEP_2)
	v_div_scale_f32 v123, null, v120, v120, v121
	v_div_scale_f32 v131, vcc_lo, v121, v120, v121
	v_rcp_f32_e32 v129, v123
	v_nop
	s_delay_alu instid0(TRANS32_DEP_1) | instskip(NEXT) | instid1(VALU_DEP_1)
	v_fma_f32 v130, -v123, v129, 1.0
	v_fmac_f32_e32 v129, v130, v129
	s_delay_alu instid0(VALU_DEP_1) | instskip(NEXT) | instid1(VALU_DEP_1)
	v_mul_f32_e32 v130, v131, v129
	v_fma_f32 v132, -v123, v130, v131
	s_delay_alu instid0(VALU_DEP_1) | instskip(NEXT) | instid1(VALU_DEP_1)
	v_fmac_f32_e32 v130, v132, v129
	v_fma_f32 v123, -v123, v130, v131
	s_delay_alu instid0(VALU_DEP_1) | instskip(NEXT) | instid1(VALU_DEP_1)
	v_div_fmas_f32 v123, v123, v129, v130
	v_div_fixup_f32 v123, v123, v120, v121
	s_delay_alu instid0(VALU_DEP_1) | instskip(NEXT) | instid1(VALU_DEP_1)
	v_fmac_f32_e32 v120, v121, v123
	v_div_scale_f32 v121, null, v120, v120, 1.0
	s_delay_alu instid0(VALU_DEP_1) | instskip(SKIP_1) | instid1(TRANS32_DEP_1)
	v_rcp_f32_e32 v129, v121
	v_nop
	v_fma_f32 v130, -v121, v129, 1.0
	s_delay_alu instid0(VALU_DEP_1) | instskip(SKIP_1) | instid1(VALU_DEP_1)
	v_fmac_f32_e32 v129, v130, v129
	v_div_scale_f32 v130, vcc_lo, 1.0, v120, 1.0
	v_mul_f32_e32 v131, v130, v129
	s_delay_alu instid0(VALU_DEP_1) | instskip(NEXT) | instid1(VALU_DEP_1)
	v_fma_f32 v132, -v121, v131, v130
	v_fmac_f32_e32 v131, v132, v129
	s_delay_alu instid0(VALU_DEP_1) | instskip(NEXT) | instid1(VALU_DEP_1)
	v_fma_f32 v121, -v121, v131, v130
	v_div_fmas_f32 v121, v121, v129, v131
	s_delay_alu instid0(VALU_DEP_1) | instskip(NEXT) | instid1(VALU_DEP_1)
	v_div_fixup_f32 v120, v121, v120, 1.0
	v_mul_f32_e64 v121, v123, -v120
.LBB112_933:
	s_or_b32 exec_lo, exec_lo, s1
.LBB112_934:
	s_delay_alu instid0(SALU_CYCLE_1) | instskip(NEXT) | instid1(SALU_CYCLE_1)
	s_or_b32 exec_lo, exec_lo, s0
	s_mov_b32 s0, exec_lo
	v_cmpx_ne_u32_e64 v128, v122
	s_xor_b32 s0, exec_lo, s0
	s_cbranch_execz .LBB112_940
; %bb.935:
	s_mov_b32 s1, exec_lo
	v_cmpx_eq_u32_e32 44, v128
	s_cbranch_execz .LBB112_939
; %bb.936:
	v_cmp_ne_u32_e32 vcc_lo, 44, v122
	s_xor_b32 s12, s16, -1
	s_delay_alu instid0(SALU_CYCLE_1) | instskip(NEXT) | instid1(SALU_CYCLE_1)
	s_and_b32 s13, s12, vcc_lo
	s_and_saveexec_b32 s12, s13
	s_cbranch_execz .LBB112_938
; %bb.937:
	v_ashrrev_i32_e32 v123, 31, v122
	s_delay_alu instid0(VALU_DEP_1)
	v_lshl_add_u64 v[128:129], v[122:123], 2, v[4:5]
	s_clause 0x1
	global_load_b32 v123, v[128:129], off
	global_load_b32 v127, v[4:5], off offset:176
	s_wait_loadcnt 0x1
	global_store_b32 v[4:5], v123, off offset:176
	s_wait_loadcnt 0x0
	global_store_b32 v[128:129], v127, off
.LBB112_938:
	s_wait_xcnt 0x0
	s_or_b32 exec_lo, exec_lo, s12
	v_dual_mov_b32 v128, v122 :: v_dual_mov_b32 v127, v122
.LBB112_939:
	s_or_b32 exec_lo, exec_lo, s1
.LBB112_940:
	s_and_not1_saveexec_b32 s0, s0
	s_cbranch_execz .LBB112_942
; %bb.941:
	v_mov_b32_e32 v128, 44
	ds_store_2addr_b64 v124, v[22:23], v[24:25] offset0:45 offset1:46
	ds_store_2addr_b64 v124, v[20:21], v[14:15] offset0:47 offset1:48
	;; [unrolled: 1-line block ×6, first 2 shown]
.LBB112_942:
	s_or_b32 exec_lo, exec_lo, s0
	s_delay_alu instid0(SALU_CYCLE_1)
	s_mov_b32 s0, exec_lo
	s_wait_storecnt_dscnt 0x0
	s_barrier_signal -1
	s_barrier_wait -1
	v_cmpx_lt_i32_e32 44, v128
	s_cbranch_execz .LBB112_944
; %bb.943:
	v_pk_mul_f32 v[122:123], v[120:121], v[26:27] op_sel:[1,1] op_sel_hi:[0,1]
	s_delay_alu instid0(VALU_DEP_1)
	v_pk_fma_f32 v[130:131], v[120:121], v[26:27], v[122:123] op_sel_hi:[1,0,1] neg_lo:[0,0,1] neg_hi:[0,0,1]
	v_pk_fma_f32 v[132:133], v[120:121], v[26:27], v[122:123] op_sel_hi:[1,0,1]
	ds_load_2addr_b64 v[120:123], v124 offset0:45 offset1:46
	v_dual_mov_b32 v26, v130 :: v_dual_mov_b32 v27, v133
	s_wait_dscnt 0x0
	v_pk_mul_f32 v[134:135], v[120:121], v[132:133] op_sel:[0,1]
	s_delay_alu instid0(VALU_DEP_1) | instskip(SKIP_1) | instid1(VALU_DEP_1)
	v_pk_fma_f32 v[136:137], v[120:121], v[130:131], v[134:135] op_sel:[0,0,1] op_sel_hi:[1,1,0] neg_lo:[0,0,1] neg_hi:[0,0,1]
	v_pk_fma_f32 v[120:121], v[120:121], v[130:131], v[134:135] op_sel:[0,0,1] op_sel_hi:[1,0,0]
	v_mov_b32_e32 v137, v121
	v_pk_mul_f32 v[120:121], v[122:123], v[132:133] op_sel:[0,1]
	s_delay_alu instid0(VALU_DEP_1) | instskip(SKIP_1) | instid1(VALU_DEP_1)
	v_pk_fma_f32 v[134:135], v[122:123], v[130:131], v[120:121] op_sel:[0,0,1] op_sel_hi:[1,1,0] neg_lo:[0,0,1] neg_hi:[0,0,1]
	v_pk_fma_f32 v[120:121], v[122:123], v[130:131], v[120:121] op_sel:[0,0,1] op_sel_hi:[1,0,0]
	v_mov_b32_e32 v135, v121
	ds_load_2addr_b64 v[120:123], v124 offset0:47 offset1:48
	v_pk_add_f32 v[22:23], v[22:23], v[136:137] neg_lo:[0,1] neg_hi:[0,1]
	v_pk_add_f32 v[24:25], v[24:25], v[134:135] neg_lo:[0,1] neg_hi:[0,1]
	s_wait_dscnt 0x0
	v_pk_mul_f32 v[134:135], v[120:121], v[132:133] op_sel:[0,1]
	s_delay_alu instid0(VALU_DEP_1) | instskip(SKIP_2) | instid1(VALU_DEP_2)
	v_pk_fma_f32 v[136:137], v[120:121], v[130:131], v[134:135] op_sel:[0,0,1] op_sel_hi:[1,1,0] neg_lo:[0,0,1] neg_hi:[0,0,1]
	v_pk_fma_f32 v[120:121], v[120:121], v[130:131], v[134:135] op_sel:[0,0,1] op_sel_hi:[1,0,0]
	v_dual_mul_f32 v134, v123, v133 :: v_dual_mov_b32 v120, v123
	v_dual_mov_b32 v137, v121 :: v_dual_mov_b32 v121, v122
	s_delay_alu instid0(VALU_DEP_2) | instskip(SKIP_1) | instid1(VALU_DEP_3)
	v_pk_fma_f32 v[134:135], v[122:123], v[26:27], v[134:135] op_sel_hi:[1,1,0] neg_lo:[0,0,1] neg_hi:[0,0,1]
	v_mul_f32_e32 v122, v123, v130
	v_pk_add_f32 v[20:21], v[20:21], v[136:137] neg_lo:[0,1] neg_hi:[0,1]
	s_delay_alu instid0(VALU_DEP_2) | instskip(NEXT) | instid1(VALU_DEP_1)
	v_pk_fma_f32 v[120:121], v[120:121], v[26:27], v[122:123] op_sel_hi:[1,1,0]
	v_mov_b32_e32 v135, v121
	ds_load_2addr_b64 v[120:123], v124 offset0:49 offset1:50
	v_pk_add_f32 v[14:15], v[14:15], v[134:135] neg_lo:[0,1] neg_hi:[0,1]
	s_wait_dscnt 0x0
	v_pk_mul_f32 v[134:135], v[120:121], v[132:133] op_sel:[0,1]
	s_delay_alu instid0(VALU_DEP_1) | instskip(SKIP_1) | instid1(VALU_DEP_1)
	v_pk_fma_f32 v[136:137], v[120:121], v[130:131], v[134:135] op_sel:[0,0,1] op_sel_hi:[1,1,0] neg_lo:[0,0,1] neg_hi:[0,0,1]
	v_pk_fma_f32 v[120:121], v[120:121], v[130:131], v[134:135] op_sel:[0,0,1] op_sel_hi:[1,0,0]
	v_mov_b32_e32 v137, v121
	v_pk_mul_f32 v[120:121], v[122:123], v[132:133] op_sel:[0,1]
	s_delay_alu instid0(VALU_DEP_1) | instskip(SKIP_1) | instid1(VALU_DEP_1)
	v_pk_fma_f32 v[134:135], v[122:123], v[130:131], v[120:121] op_sel:[0,0,1] op_sel_hi:[1,1,0] neg_lo:[0,0,1] neg_hi:[0,0,1]
	v_pk_fma_f32 v[120:121], v[122:123], v[130:131], v[120:121] op_sel:[0,0,1] op_sel_hi:[1,0,0]
	v_mov_b32_e32 v135, v121
	ds_load_2addr_b64 v[120:123], v124 offset0:51 offset1:52
	v_pk_add_f32 v[10:11], v[10:11], v[136:137] neg_lo:[0,1] neg_hi:[0,1]
	v_pk_add_f32 v[12:13], v[12:13], v[134:135] neg_lo:[0,1] neg_hi:[0,1]
	s_wait_dscnt 0x0
	v_pk_mul_f32 v[134:135], v[120:121], v[132:133] op_sel:[0,1]
	s_delay_alu instid0(VALU_DEP_1) | instskip(SKIP_1) | instid1(VALU_DEP_1)
	v_pk_fma_f32 v[136:137], v[120:121], v[130:131], v[134:135] op_sel:[0,0,1] op_sel_hi:[1,1,0] neg_lo:[0,0,1] neg_hi:[0,0,1]
	v_pk_fma_f32 v[120:121], v[120:121], v[130:131], v[134:135] op_sel:[0,0,1] op_sel_hi:[1,0,0]
	v_mov_b32_e32 v137, v121
	v_pk_mul_f32 v[120:121], v[122:123], v[132:133] op_sel:[0,1]
	s_delay_alu instid0(VALU_DEP_1) | instskip(SKIP_1) | instid1(VALU_DEP_1)
	v_pk_fma_f32 v[134:135], v[122:123], v[130:131], v[120:121] op_sel:[0,0,1] op_sel_hi:[1,1,0] neg_lo:[0,0,1] neg_hi:[0,0,1]
	v_pk_fma_f32 v[120:121], v[122:123], v[130:131], v[120:121] op_sel:[0,0,1] op_sel_hi:[1,0,0]
	v_mov_b32_e32 v135, v121
	ds_load_2addr_b64 v[120:123], v124 offset0:53 offset1:54
	v_pk_add_f32 v[8:9], v[8:9], v[136:137] neg_lo:[0,1] neg_hi:[0,1]
	v_pk_add_f32 v[6:7], v[6:7], v[134:135] neg_lo:[0,1] neg_hi:[0,1]
	s_wait_dscnt 0x0
	v_dual_mul_f32 v134, v121, v133 :: v_dual_mul_f32 v136, v121, v130
	s_delay_alu instid0(VALU_DEP_1) | instskip(NEXT) | instid1(VALU_DEP_2)
	v_pk_fma_f32 v[134:135], v[120:121], v[26:27], v[134:135] op_sel_hi:[1,1,0] neg_lo:[0,0,1] neg_hi:[0,0,1]
	v_pk_fma_f32 v[120:121], v[120:121], v[26:27], v[136:137] op_sel:[1,0,0] op_sel_hi:[0,1,0]
	s_delay_alu instid0(VALU_DEP_1) | instskip(SKIP_1) | instid1(VALU_DEP_2)
	v_mov_b32_e32 v135, v121
	v_pk_mul_f32 v[120:121], v[122:123], v[132:133] op_sel:[0,1]
	v_pk_add_f32 v[28:29], v[28:29], v[134:135] neg_lo:[0,1] neg_hi:[0,1]
	s_delay_alu instid0(VALU_DEP_2) | instskip(SKIP_1) | instid1(VALU_DEP_1)
	v_pk_fma_f32 v[134:135], v[122:123], v[130:131], v[120:121] op_sel:[0,0,1] op_sel_hi:[1,1,0] neg_lo:[0,0,1] neg_hi:[0,0,1]
	v_pk_fma_f32 v[120:121], v[122:123], v[130:131], v[120:121] op_sel:[0,0,1] op_sel_hi:[1,0,0]
	v_mov_b32_e32 v135, v121
	ds_load_2addr_b64 v[120:123], v124 offset0:55 offset1:56
	v_pk_add_f32 v[18:19], v[18:19], v[134:135] neg_lo:[0,1] neg_hi:[0,1]
	s_wait_dscnt 0x0
	v_pk_mul_f32 v[134:135], v[120:121], v[132:133] op_sel:[0,1]
	v_mul_f32_e32 v132, v123, v133
	s_delay_alu instid0(VALU_DEP_2) | instskip(SKIP_2) | instid1(VALU_DEP_4)
	v_pk_fma_f32 v[136:137], v[120:121], v[130:131], v[134:135] op_sel:[0,0,1] op_sel_hi:[1,1,0] neg_lo:[0,0,1] neg_hi:[0,0,1]
	v_pk_fma_f32 v[120:121], v[120:121], v[130:131], v[134:135] op_sel:[0,0,1] op_sel_hi:[1,0,0]
	v_mov_b32_e32 v120, v123
	v_pk_fma_f32 v[132:133], v[122:123], v[26:27], v[132:133] op_sel_hi:[1,1,0] neg_lo:[0,0,1] neg_hi:[0,0,1]
	s_delay_alu instid0(VALU_DEP_3) | instskip(SKIP_1) | instid1(VALU_DEP_2)
	v_dual_mov_b32 v137, v121 :: v_dual_mov_b32 v121, v122
	v_mul_f32_e32 v122, v123, v130
	v_pk_add_f32 v[16:17], v[16:17], v[136:137] neg_lo:[0,1] neg_hi:[0,1]
	s_delay_alu instid0(VALU_DEP_2) | instskip(NEXT) | instid1(VALU_DEP_1)
	v_pk_fma_f32 v[120:121], v[120:121], v[26:27], v[122:123] op_sel_hi:[1,1,0]
	v_mov_b32_e32 v133, v121
	s_delay_alu instid0(VALU_DEP_1)
	v_pk_add_f32 v[118:119], v[118:119], v[132:133] neg_lo:[0,1] neg_hi:[0,1]
.LBB112_944:
	s_or_b32 exec_lo, exec_lo, s0
	v_lshl_add_u32 v120, v128, 3, v124
	s_barrier_signal -1
	s_barrier_wait -1
	ds_store_b64 v120, v[22:23]
	s_wait_dscnt 0x0
	s_barrier_signal -1
	s_barrier_wait -1
	ds_load_b64 v[120:121], v124 offset:360
	v_mov_b32_e32 v122, 45
	s_cmp_lt_i32 s18, 47
	s_cbranch_scc1 .LBB112_947
; %bb.945:
	v_add3_u32 v123, v125, 0, 0x170
	v_mov_b32_e32 v122, 45
	s_mov_b32 s0, 46
.LBB112_946:                            ; =>This Inner Loop Header: Depth=1
	ds_load_b64 v[130:131], v123
	s_wait_dscnt 0x1
	v_cmp_gt_f32_e32 vcc_lo, 0, v120
	v_cndmask_b32_e64 v132, v120, -v120, vcc_lo
	v_cmp_gt_f32_e32 vcc_lo, 0, v121
	v_cndmask_b32_e64 v134, v121, -v121, vcc_lo
	s_wait_dscnt 0x0
	v_cmp_gt_f32_e32 vcc_lo, 0, v130
	v_cndmask_b32_e64 v133, v130, -v130, vcc_lo
	v_cmp_gt_f32_e32 vcc_lo, 0, v131
	v_cndmask_b32_e64 v135, v131, -v131, vcc_lo
	s_delay_alu instid0(VALU_DEP_1) | instskip(NEXT) | instid1(VALU_DEP_1)
	v_pk_add_f32 v[132:133], v[132:133], v[134:135]
	v_cmp_lt_f32_e32 vcc_lo, v132, v133
	v_dual_cndmask_b32 v120, v120, v130 :: v_dual_add_nc_u32 v123, 8, v123
	v_cndmask_b32_e32 v121, v121, v131, vcc_lo
	v_cndmask_b32_e64 v122, v122, s0, vcc_lo
	s_add_co_i32 s0, s0, 1
	s_delay_alu instid0(SALU_CYCLE_1)
	s_cmp_lg_u32 s18, s0
	s_cbranch_scc1 .LBB112_946
.LBB112_947:
	s_wait_dscnt 0x0
	v_cmp_eq_f32_e32 vcc_lo, 0, v120
	v_cmp_eq_f32_e64 s0, 0, v121
	s_and_b32 s0, vcc_lo, s0
	s_delay_alu instid0(SALU_CYCLE_1) | instskip(NEXT) | instid1(SALU_CYCLE_1)
	s_and_saveexec_b32 s1, s0
	s_xor_b32 s0, exec_lo, s1
; %bb.948:
	v_cmp_ne_u32_e32 vcc_lo, 0, v126
	v_cndmask_b32_e32 v126, 46, v126, vcc_lo
; %bb.949:
	s_and_not1_saveexec_b32 s0, s0
	s_cbranch_execz .LBB112_955
; %bb.950:
	v_cmp_ngt_f32_e64 s1, |v120|, |v121|
	s_and_saveexec_b32 s12, s1
	s_delay_alu instid0(SALU_CYCLE_1)
	s_xor_b32 s1, exec_lo, s12
	s_cbranch_execz .LBB112_952
; %bb.951:
	v_div_scale_f32 v123, null, v121, v121, v120
	v_div_scale_f32 v131, vcc_lo, v120, v121, v120
	s_delay_alu instid0(VALU_DEP_2) | instskip(SKIP_1) | instid1(TRANS32_DEP_1)
	v_rcp_f32_e32 v129, v123
	v_nop
	v_fma_f32 v130, -v123, v129, 1.0
	s_delay_alu instid0(VALU_DEP_1) | instskip(NEXT) | instid1(VALU_DEP_1)
	v_fmac_f32_e32 v129, v130, v129
	v_mul_f32_e32 v130, v131, v129
	s_delay_alu instid0(VALU_DEP_1) | instskip(NEXT) | instid1(VALU_DEP_1)
	v_fma_f32 v132, -v123, v130, v131
	v_fmac_f32_e32 v130, v132, v129
	s_delay_alu instid0(VALU_DEP_1) | instskip(NEXT) | instid1(VALU_DEP_1)
	v_fma_f32 v123, -v123, v130, v131
	v_div_fmas_f32 v123, v123, v129, v130
	s_delay_alu instid0(VALU_DEP_1) | instskip(NEXT) | instid1(VALU_DEP_1)
	v_div_fixup_f32 v123, v123, v121, v120
	v_fmac_f32_e32 v121, v120, v123
	s_delay_alu instid0(VALU_DEP_1) | instskip(SKIP_1) | instid1(VALU_DEP_2)
	v_div_scale_f32 v120, null, v121, v121, 1.0
	v_div_scale_f32 v131, vcc_lo, 1.0, v121, 1.0
	v_rcp_f32_e32 v129, v120
	v_nop
	s_delay_alu instid0(TRANS32_DEP_1) | instskip(NEXT) | instid1(VALU_DEP_1)
	v_fma_f32 v130, -v120, v129, 1.0
	v_fmac_f32_e32 v129, v130, v129
	s_delay_alu instid0(VALU_DEP_1) | instskip(NEXT) | instid1(VALU_DEP_1)
	v_mul_f32_e32 v130, v131, v129
	v_fma_f32 v132, -v120, v130, v131
	s_delay_alu instid0(VALU_DEP_1) | instskip(NEXT) | instid1(VALU_DEP_1)
	v_fmac_f32_e32 v130, v132, v129
	v_fma_f32 v120, -v120, v130, v131
	s_delay_alu instid0(VALU_DEP_1) | instskip(NEXT) | instid1(VALU_DEP_1)
	v_div_fmas_f32 v120, v120, v129, v130
	v_div_fixup_f32 v121, v120, v121, 1.0
	s_delay_alu instid0(VALU_DEP_1)
	v_mul_f32_e32 v120, v123, v121
	v_xor_b32_e32 v121, 0x80000000, v121
.LBB112_952:
	s_and_not1_saveexec_b32 s1, s1
	s_cbranch_execz .LBB112_954
; %bb.953:
	s_delay_alu instid0(VALU_DEP_1) | instskip(SKIP_1) | instid1(VALU_DEP_2)
	v_div_scale_f32 v123, null, v120, v120, v121
	v_div_scale_f32 v131, vcc_lo, v121, v120, v121
	v_rcp_f32_e32 v129, v123
	v_nop
	s_delay_alu instid0(TRANS32_DEP_1) | instskip(NEXT) | instid1(VALU_DEP_1)
	v_fma_f32 v130, -v123, v129, 1.0
	v_fmac_f32_e32 v129, v130, v129
	s_delay_alu instid0(VALU_DEP_1) | instskip(NEXT) | instid1(VALU_DEP_1)
	v_mul_f32_e32 v130, v131, v129
	v_fma_f32 v132, -v123, v130, v131
	s_delay_alu instid0(VALU_DEP_1) | instskip(NEXT) | instid1(VALU_DEP_1)
	v_fmac_f32_e32 v130, v132, v129
	v_fma_f32 v123, -v123, v130, v131
	s_delay_alu instid0(VALU_DEP_1) | instskip(NEXT) | instid1(VALU_DEP_1)
	v_div_fmas_f32 v123, v123, v129, v130
	v_div_fixup_f32 v123, v123, v120, v121
	s_delay_alu instid0(VALU_DEP_1) | instskip(NEXT) | instid1(VALU_DEP_1)
	v_fmac_f32_e32 v120, v121, v123
	v_div_scale_f32 v121, null, v120, v120, 1.0
	s_delay_alu instid0(VALU_DEP_1) | instskip(SKIP_1) | instid1(TRANS32_DEP_1)
	v_rcp_f32_e32 v129, v121
	v_nop
	v_fma_f32 v130, -v121, v129, 1.0
	s_delay_alu instid0(VALU_DEP_1) | instskip(SKIP_1) | instid1(VALU_DEP_1)
	v_fmac_f32_e32 v129, v130, v129
	v_div_scale_f32 v130, vcc_lo, 1.0, v120, 1.0
	v_mul_f32_e32 v131, v130, v129
	s_delay_alu instid0(VALU_DEP_1) | instskip(NEXT) | instid1(VALU_DEP_1)
	v_fma_f32 v132, -v121, v131, v130
	v_fmac_f32_e32 v131, v132, v129
	s_delay_alu instid0(VALU_DEP_1) | instskip(NEXT) | instid1(VALU_DEP_1)
	v_fma_f32 v121, -v121, v131, v130
	v_div_fmas_f32 v121, v121, v129, v131
	s_delay_alu instid0(VALU_DEP_1) | instskip(NEXT) | instid1(VALU_DEP_1)
	v_div_fixup_f32 v120, v121, v120, 1.0
	v_mul_f32_e64 v121, v123, -v120
.LBB112_954:
	s_or_b32 exec_lo, exec_lo, s1
.LBB112_955:
	s_delay_alu instid0(SALU_CYCLE_1) | instskip(NEXT) | instid1(SALU_CYCLE_1)
	s_or_b32 exec_lo, exec_lo, s0
	s_mov_b32 s0, exec_lo
	v_cmpx_ne_u32_e64 v128, v122
	s_xor_b32 s0, exec_lo, s0
	s_cbranch_execz .LBB112_961
; %bb.956:
	s_mov_b32 s1, exec_lo
	v_cmpx_eq_u32_e32 45, v128
	s_cbranch_execz .LBB112_960
; %bb.957:
	v_cmp_ne_u32_e32 vcc_lo, 45, v122
	s_xor_b32 s12, s16, -1
	s_delay_alu instid0(SALU_CYCLE_1) | instskip(NEXT) | instid1(SALU_CYCLE_1)
	s_and_b32 s13, s12, vcc_lo
	s_and_saveexec_b32 s12, s13
	s_cbranch_execz .LBB112_959
; %bb.958:
	v_ashrrev_i32_e32 v123, 31, v122
	s_delay_alu instid0(VALU_DEP_1)
	v_lshl_add_u64 v[128:129], v[122:123], 2, v[4:5]
	s_clause 0x1
	global_load_b32 v123, v[128:129], off
	global_load_b32 v127, v[4:5], off offset:180
	s_wait_loadcnt 0x1
	global_store_b32 v[4:5], v123, off offset:180
	s_wait_loadcnt 0x0
	global_store_b32 v[128:129], v127, off
.LBB112_959:
	s_wait_xcnt 0x0
	s_or_b32 exec_lo, exec_lo, s12
	v_dual_mov_b32 v128, v122 :: v_dual_mov_b32 v127, v122
.LBB112_960:
	s_or_b32 exec_lo, exec_lo, s1
.LBB112_961:
	s_and_not1_saveexec_b32 s0, s0
	s_cbranch_execz .LBB112_963
; %bb.962:
	v_dual_mov_b32 v122, v24 :: v_dual_mov_b32 v123, v25
	v_dual_mov_b32 v128, v20 :: v_dual_mov_b32 v129, v21
	ds_store_2addr_b64 v124, v[122:123], v[128:129] offset0:46 offset1:47
	v_dual_mov_b32 v122, v14 :: v_dual_mov_b32 v123, v15
	v_dual_mov_b32 v128, v10 :: v_dual_mov_b32 v129, v11
	ds_store_2addr_b64 v124, v[122:123], v[128:129] offset0:48 offset1:49
	;; [unrolled: 3-line block ×5, first 2 shown]
	ds_store_b64 v124, v[118:119] offset:448
	v_mov_b32_e32 v128, 45
.LBB112_963:
	s_or_b32 exec_lo, exec_lo, s0
	s_delay_alu instid0(SALU_CYCLE_1)
	s_mov_b32 s0, exec_lo
	s_wait_storecnt_dscnt 0x0
	s_barrier_signal -1
	s_barrier_wait -1
	v_cmpx_lt_i32_e32 45, v128
	s_cbranch_execz .LBB112_965
; %bb.964:
	v_pk_mul_f32 v[122:123], v[120:121], v[22:23] op_sel:[1,1] op_sel_hi:[0,1]
	s_delay_alu instid0(VALU_DEP_1)
	v_pk_fma_f32 v[130:131], v[120:121], v[22:23], v[122:123] op_sel_hi:[1,0,1] neg_lo:[0,0,1] neg_hi:[0,0,1]
	v_pk_fma_f32 v[132:133], v[120:121], v[22:23], v[122:123] op_sel_hi:[1,0,1]
	ds_load_2addr_b64 v[120:123], v124 offset0:46 offset1:47
	v_dual_mov_b32 v22, v130 :: v_dual_mov_b32 v23, v133
	s_wait_dscnt 0x0
	v_pk_mul_f32 v[134:135], v[120:121], v[132:133] op_sel:[0,1]
	s_delay_alu instid0(VALU_DEP_1) | instskip(SKIP_1) | instid1(VALU_DEP_1)
	v_pk_fma_f32 v[136:137], v[120:121], v[130:131], v[134:135] op_sel:[0,0,1] op_sel_hi:[1,1,0] neg_lo:[0,0,1] neg_hi:[0,0,1]
	v_pk_fma_f32 v[120:121], v[120:121], v[130:131], v[134:135] op_sel:[0,0,1] op_sel_hi:[1,0,0]
	v_mov_b32_e32 v137, v121
	v_pk_mul_f32 v[120:121], v[122:123], v[132:133] op_sel:[0,1]
	s_delay_alu instid0(VALU_DEP_1) | instskip(SKIP_1) | instid1(VALU_DEP_1)
	v_pk_fma_f32 v[134:135], v[122:123], v[130:131], v[120:121] op_sel:[0,0,1] op_sel_hi:[1,1,0] neg_lo:[0,0,1] neg_hi:[0,0,1]
	v_pk_fma_f32 v[120:121], v[122:123], v[130:131], v[120:121] op_sel:[0,0,1] op_sel_hi:[1,0,0]
	v_mov_b32_e32 v135, v121
	ds_load_2addr_b64 v[120:123], v124 offset0:48 offset1:49
	v_pk_add_f32 v[24:25], v[24:25], v[136:137] neg_lo:[0,1] neg_hi:[0,1]
	v_pk_add_f32 v[20:21], v[20:21], v[134:135] neg_lo:[0,1] neg_hi:[0,1]
	s_wait_dscnt 0x0
	v_pk_mul_f32 v[134:135], v[120:121], v[132:133] op_sel:[0,1]
	s_delay_alu instid0(VALU_DEP_1) | instskip(SKIP_2) | instid1(VALU_DEP_2)
	v_pk_fma_f32 v[136:137], v[120:121], v[130:131], v[134:135] op_sel:[0,0,1] op_sel_hi:[1,1,0] neg_lo:[0,0,1] neg_hi:[0,0,1]
	v_pk_fma_f32 v[120:121], v[120:121], v[130:131], v[134:135] op_sel:[0,0,1] op_sel_hi:[1,0,0]
	v_dual_mul_f32 v134, v123, v133 :: v_dual_mov_b32 v120, v123
	v_dual_mov_b32 v137, v121 :: v_dual_mov_b32 v121, v122
	s_delay_alu instid0(VALU_DEP_2) | instskip(SKIP_1) | instid1(VALU_DEP_3)
	v_pk_fma_f32 v[134:135], v[122:123], v[22:23], v[134:135] op_sel_hi:[1,1,0] neg_lo:[0,0,1] neg_hi:[0,0,1]
	v_mul_f32_e32 v122, v123, v130
	v_pk_add_f32 v[14:15], v[14:15], v[136:137] neg_lo:[0,1] neg_hi:[0,1]
	s_delay_alu instid0(VALU_DEP_2) | instskip(NEXT) | instid1(VALU_DEP_1)
	v_pk_fma_f32 v[120:121], v[120:121], v[22:23], v[122:123] op_sel_hi:[1,1,0]
	v_mov_b32_e32 v135, v121
	ds_load_2addr_b64 v[120:123], v124 offset0:50 offset1:51
	v_pk_add_f32 v[10:11], v[10:11], v[134:135] neg_lo:[0,1] neg_hi:[0,1]
	s_wait_dscnt 0x0
	v_pk_mul_f32 v[134:135], v[120:121], v[132:133] op_sel:[0,1]
	s_delay_alu instid0(VALU_DEP_1) | instskip(SKIP_1) | instid1(VALU_DEP_1)
	v_pk_fma_f32 v[136:137], v[120:121], v[130:131], v[134:135] op_sel:[0,0,1] op_sel_hi:[1,1,0] neg_lo:[0,0,1] neg_hi:[0,0,1]
	v_pk_fma_f32 v[120:121], v[120:121], v[130:131], v[134:135] op_sel:[0,0,1] op_sel_hi:[1,0,0]
	v_mov_b32_e32 v137, v121
	v_pk_mul_f32 v[120:121], v[122:123], v[132:133] op_sel:[0,1]
	s_delay_alu instid0(VALU_DEP_1) | instskip(SKIP_1) | instid1(VALU_DEP_1)
	v_pk_fma_f32 v[134:135], v[122:123], v[130:131], v[120:121] op_sel:[0,0,1] op_sel_hi:[1,1,0] neg_lo:[0,0,1] neg_hi:[0,0,1]
	v_pk_fma_f32 v[120:121], v[122:123], v[130:131], v[120:121] op_sel:[0,0,1] op_sel_hi:[1,0,0]
	v_mov_b32_e32 v135, v121
	ds_load_2addr_b64 v[120:123], v124 offset0:52 offset1:53
	v_pk_add_f32 v[12:13], v[12:13], v[136:137] neg_lo:[0,1] neg_hi:[0,1]
	v_pk_add_f32 v[8:9], v[8:9], v[134:135] neg_lo:[0,1] neg_hi:[0,1]
	s_wait_dscnt 0x0
	v_pk_mul_f32 v[134:135], v[120:121], v[132:133] op_sel:[0,1]
	s_delay_alu instid0(VALU_DEP_1) | instskip(SKIP_1) | instid1(VALU_DEP_1)
	v_pk_fma_f32 v[136:137], v[120:121], v[130:131], v[134:135] op_sel:[0,0,1] op_sel_hi:[1,1,0] neg_lo:[0,0,1] neg_hi:[0,0,1]
	v_pk_fma_f32 v[120:121], v[120:121], v[130:131], v[134:135] op_sel:[0,0,1] op_sel_hi:[1,0,0]
	v_mov_b32_e32 v137, v121
	v_pk_mul_f32 v[120:121], v[122:123], v[132:133] op_sel:[0,1]
	s_delay_alu instid0(VALU_DEP_1) | instskip(SKIP_1) | instid1(VALU_DEP_1)
	v_pk_fma_f32 v[134:135], v[122:123], v[130:131], v[120:121] op_sel:[0,0,1] op_sel_hi:[1,1,0] neg_lo:[0,0,1] neg_hi:[0,0,1]
	v_pk_fma_f32 v[120:121], v[122:123], v[130:131], v[120:121] op_sel:[0,0,1] op_sel_hi:[1,0,0]
	v_mov_b32_e32 v135, v121
	ds_load_2addr_b64 v[120:123], v124 offset0:54 offset1:55
	v_pk_add_f32 v[6:7], v[6:7], v[136:137] neg_lo:[0,1] neg_hi:[0,1]
	v_pk_add_f32 v[28:29], v[28:29], v[134:135] neg_lo:[0,1] neg_hi:[0,1]
	s_wait_dscnt 0x0
	v_dual_mul_f32 v134, v121, v133 :: v_dual_mul_f32 v136, v121, v130
	s_delay_alu instid0(VALU_DEP_1) | instskip(NEXT) | instid1(VALU_DEP_2)
	v_pk_fma_f32 v[134:135], v[120:121], v[22:23], v[134:135] op_sel_hi:[1,1,0] neg_lo:[0,0,1] neg_hi:[0,0,1]
	v_pk_fma_f32 v[120:121], v[120:121], v[22:23], v[136:137] op_sel:[1,0,0] op_sel_hi:[0,1,0]
	s_delay_alu instid0(VALU_DEP_1) | instskip(SKIP_1) | instid1(VALU_DEP_2)
	v_mov_b32_e32 v135, v121
	v_pk_mul_f32 v[120:121], v[122:123], v[132:133] op_sel:[0,1]
	v_pk_add_f32 v[18:19], v[18:19], v[134:135] neg_lo:[0,1] neg_hi:[0,1]
	s_delay_alu instid0(VALU_DEP_2) | instskip(SKIP_1) | instid1(VALU_DEP_1)
	v_pk_fma_f32 v[134:135], v[122:123], v[130:131], v[120:121] op_sel:[0,0,1] op_sel_hi:[1,1,0] neg_lo:[0,0,1] neg_hi:[0,0,1]
	v_pk_fma_f32 v[120:121], v[122:123], v[130:131], v[120:121] op_sel:[0,0,1] op_sel_hi:[1,0,0]
	v_mov_b32_e32 v135, v121
	ds_load_b64 v[120:121], v124 offset:448
	v_pk_add_f32 v[16:17], v[16:17], v[134:135] neg_lo:[0,1] neg_hi:[0,1]
	s_wait_dscnt 0x0
	v_pk_mul_f32 v[122:123], v[120:121], v[132:133] op_sel:[0,1]
	s_delay_alu instid0(VALU_DEP_1) | instskip(SKIP_1) | instid1(VALU_DEP_1)
	v_pk_fma_f32 v[132:133], v[120:121], v[130:131], v[122:123] op_sel:[0,0,1] op_sel_hi:[1,1,0] neg_lo:[0,0,1] neg_hi:[0,0,1]
	v_pk_fma_f32 v[120:121], v[120:121], v[130:131], v[122:123] op_sel:[0,0,1] op_sel_hi:[1,0,0]
	v_mov_b32_e32 v133, v121
	s_delay_alu instid0(VALU_DEP_1)
	v_pk_add_f32 v[118:119], v[118:119], v[132:133] neg_lo:[0,1] neg_hi:[0,1]
.LBB112_965:
	s_or_b32 exec_lo, exec_lo, s0
	v_lshl_add_u32 v120, v128, 3, v124
	s_barrier_signal -1
	s_barrier_wait -1
	ds_store_b64 v120, v[24:25]
	s_wait_dscnt 0x0
	s_barrier_signal -1
	s_barrier_wait -1
	ds_load_b64 v[120:121], v124 offset:368
	v_mov_b32_e32 v122, 46
	s_cmp_lt_i32 s18, 48
	s_cbranch_scc1 .LBB112_968
; %bb.966:
	v_add3_u32 v123, v125, 0, 0x178
	v_mov_b32_e32 v122, 46
	s_mov_b32 s0, 47
.LBB112_967:                            ; =>This Inner Loop Header: Depth=1
	ds_load_b64 v[130:131], v123
	s_wait_dscnt 0x1
	v_cmp_gt_f32_e32 vcc_lo, 0, v120
	v_cndmask_b32_e64 v132, v120, -v120, vcc_lo
	v_cmp_gt_f32_e32 vcc_lo, 0, v121
	v_cndmask_b32_e64 v134, v121, -v121, vcc_lo
	s_wait_dscnt 0x0
	v_cmp_gt_f32_e32 vcc_lo, 0, v130
	v_cndmask_b32_e64 v133, v130, -v130, vcc_lo
	v_cmp_gt_f32_e32 vcc_lo, 0, v131
	v_cndmask_b32_e64 v135, v131, -v131, vcc_lo
	s_delay_alu instid0(VALU_DEP_1) | instskip(NEXT) | instid1(VALU_DEP_1)
	v_pk_add_f32 v[132:133], v[132:133], v[134:135]
	v_cmp_lt_f32_e32 vcc_lo, v132, v133
	v_dual_cndmask_b32 v120, v120, v130 :: v_dual_add_nc_u32 v123, 8, v123
	v_cndmask_b32_e32 v121, v121, v131, vcc_lo
	v_cndmask_b32_e64 v122, v122, s0, vcc_lo
	s_add_co_i32 s0, s0, 1
	s_delay_alu instid0(SALU_CYCLE_1)
	s_cmp_lg_u32 s18, s0
	s_cbranch_scc1 .LBB112_967
.LBB112_968:
	s_wait_dscnt 0x0
	v_cmp_eq_f32_e32 vcc_lo, 0, v120
	v_cmp_eq_f32_e64 s0, 0, v121
	s_and_b32 s0, vcc_lo, s0
	s_delay_alu instid0(SALU_CYCLE_1) | instskip(NEXT) | instid1(SALU_CYCLE_1)
	s_and_saveexec_b32 s1, s0
	s_xor_b32 s0, exec_lo, s1
; %bb.969:
	v_cmp_ne_u32_e32 vcc_lo, 0, v126
	v_cndmask_b32_e32 v126, 47, v126, vcc_lo
; %bb.970:
	s_and_not1_saveexec_b32 s0, s0
	s_cbranch_execz .LBB112_976
; %bb.971:
	v_cmp_ngt_f32_e64 s1, |v120|, |v121|
	s_and_saveexec_b32 s12, s1
	s_delay_alu instid0(SALU_CYCLE_1)
	s_xor_b32 s1, exec_lo, s12
	s_cbranch_execz .LBB112_973
; %bb.972:
	v_div_scale_f32 v123, null, v121, v121, v120
	v_div_scale_f32 v131, vcc_lo, v120, v121, v120
	s_delay_alu instid0(VALU_DEP_2) | instskip(SKIP_1) | instid1(TRANS32_DEP_1)
	v_rcp_f32_e32 v129, v123
	v_nop
	v_fma_f32 v130, -v123, v129, 1.0
	s_delay_alu instid0(VALU_DEP_1) | instskip(NEXT) | instid1(VALU_DEP_1)
	v_fmac_f32_e32 v129, v130, v129
	v_mul_f32_e32 v130, v131, v129
	s_delay_alu instid0(VALU_DEP_1) | instskip(NEXT) | instid1(VALU_DEP_1)
	v_fma_f32 v132, -v123, v130, v131
	v_fmac_f32_e32 v130, v132, v129
	s_delay_alu instid0(VALU_DEP_1) | instskip(NEXT) | instid1(VALU_DEP_1)
	v_fma_f32 v123, -v123, v130, v131
	v_div_fmas_f32 v123, v123, v129, v130
	s_delay_alu instid0(VALU_DEP_1) | instskip(NEXT) | instid1(VALU_DEP_1)
	v_div_fixup_f32 v123, v123, v121, v120
	v_fmac_f32_e32 v121, v120, v123
	s_delay_alu instid0(VALU_DEP_1) | instskip(SKIP_1) | instid1(VALU_DEP_2)
	v_div_scale_f32 v120, null, v121, v121, 1.0
	v_div_scale_f32 v131, vcc_lo, 1.0, v121, 1.0
	v_rcp_f32_e32 v129, v120
	v_nop
	s_delay_alu instid0(TRANS32_DEP_1) | instskip(NEXT) | instid1(VALU_DEP_1)
	v_fma_f32 v130, -v120, v129, 1.0
	v_fmac_f32_e32 v129, v130, v129
	s_delay_alu instid0(VALU_DEP_1) | instskip(NEXT) | instid1(VALU_DEP_1)
	v_mul_f32_e32 v130, v131, v129
	v_fma_f32 v132, -v120, v130, v131
	s_delay_alu instid0(VALU_DEP_1) | instskip(NEXT) | instid1(VALU_DEP_1)
	v_fmac_f32_e32 v130, v132, v129
	v_fma_f32 v120, -v120, v130, v131
	s_delay_alu instid0(VALU_DEP_1) | instskip(NEXT) | instid1(VALU_DEP_1)
	v_div_fmas_f32 v120, v120, v129, v130
	v_div_fixup_f32 v121, v120, v121, 1.0
	s_delay_alu instid0(VALU_DEP_1)
	v_mul_f32_e32 v120, v123, v121
	v_xor_b32_e32 v121, 0x80000000, v121
.LBB112_973:
	s_and_not1_saveexec_b32 s1, s1
	s_cbranch_execz .LBB112_975
; %bb.974:
	s_delay_alu instid0(VALU_DEP_1) | instskip(SKIP_1) | instid1(VALU_DEP_2)
	v_div_scale_f32 v123, null, v120, v120, v121
	v_div_scale_f32 v131, vcc_lo, v121, v120, v121
	v_rcp_f32_e32 v129, v123
	v_nop
	s_delay_alu instid0(TRANS32_DEP_1) | instskip(NEXT) | instid1(VALU_DEP_1)
	v_fma_f32 v130, -v123, v129, 1.0
	v_fmac_f32_e32 v129, v130, v129
	s_delay_alu instid0(VALU_DEP_1) | instskip(NEXT) | instid1(VALU_DEP_1)
	v_mul_f32_e32 v130, v131, v129
	v_fma_f32 v132, -v123, v130, v131
	s_delay_alu instid0(VALU_DEP_1) | instskip(NEXT) | instid1(VALU_DEP_1)
	v_fmac_f32_e32 v130, v132, v129
	v_fma_f32 v123, -v123, v130, v131
	s_delay_alu instid0(VALU_DEP_1) | instskip(NEXT) | instid1(VALU_DEP_1)
	v_div_fmas_f32 v123, v123, v129, v130
	v_div_fixup_f32 v123, v123, v120, v121
	s_delay_alu instid0(VALU_DEP_1) | instskip(NEXT) | instid1(VALU_DEP_1)
	v_fmac_f32_e32 v120, v121, v123
	v_div_scale_f32 v121, null, v120, v120, 1.0
	s_delay_alu instid0(VALU_DEP_1) | instskip(SKIP_1) | instid1(TRANS32_DEP_1)
	v_rcp_f32_e32 v129, v121
	v_nop
	v_fma_f32 v130, -v121, v129, 1.0
	s_delay_alu instid0(VALU_DEP_1) | instskip(SKIP_1) | instid1(VALU_DEP_1)
	v_fmac_f32_e32 v129, v130, v129
	v_div_scale_f32 v130, vcc_lo, 1.0, v120, 1.0
	v_mul_f32_e32 v131, v130, v129
	s_delay_alu instid0(VALU_DEP_1) | instskip(NEXT) | instid1(VALU_DEP_1)
	v_fma_f32 v132, -v121, v131, v130
	v_fmac_f32_e32 v131, v132, v129
	s_delay_alu instid0(VALU_DEP_1) | instskip(NEXT) | instid1(VALU_DEP_1)
	v_fma_f32 v121, -v121, v131, v130
	v_div_fmas_f32 v121, v121, v129, v131
	s_delay_alu instid0(VALU_DEP_1) | instskip(NEXT) | instid1(VALU_DEP_1)
	v_div_fixup_f32 v120, v121, v120, 1.0
	v_mul_f32_e64 v121, v123, -v120
.LBB112_975:
	s_or_b32 exec_lo, exec_lo, s1
.LBB112_976:
	s_delay_alu instid0(SALU_CYCLE_1) | instskip(NEXT) | instid1(SALU_CYCLE_1)
	s_or_b32 exec_lo, exec_lo, s0
	s_mov_b32 s0, exec_lo
	v_cmpx_ne_u32_e64 v128, v122
	s_xor_b32 s0, exec_lo, s0
	s_cbranch_execz .LBB112_982
; %bb.977:
	s_mov_b32 s1, exec_lo
	v_cmpx_eq_u32_e32 46, v128
	s_cbranch_execz .LBB112_981
; %bb.978:
	v_cmp_ne_u32_e32 vcc_lo, 46, v122
	s_xor_b32 s12, s16, -1
	s_delay_alu instid0(SALU_CYCLE_1) | instskip(NEXT) | instid1(SALU_CYCLE_1)
	s_and_b32 s13, s12, vcc_lo
	s_and_saveexec_b32 s12, s13
	s_cbranch_execz .LBB112_980
; %bb.979:
	v_ashrrev_i32_e32 v123, 31, v122
	s_delay_alu instid0(VALU_DEP_1)
	v_lshl_add_u64 v[128:129], v[122:123], 2, v[4:5]
	s_clause 0x1
	global_load_b32 v123, v[128:129], off
	global_load_b32 v127, v[4:5], off offset:184
	s_wait_loadcnt 0x1
	global_store_b32 v[4:5], v123, off offset:184
	s_wait_loadcnt 0x0
	global_store_b32 v[128:129], v127, off
.LBB112_980:
	s_wait_xcnt 0x0
	s_or_b32 exec_lo, exec_lo, s12
	v_dual_mov_b32 v128, v122 :: v_dual_mov_b32 v127, v122
.LBB112_981:
	s_or_b32 exec_lo, exec_lo, s1
.LBB112_982:
	s_and_not1_saveexec_b32 s0, s0
	s_cbranch_execz .LBB112_984
; %bb.983:
	v_mov_b32_e32 v128, 46
	ds_store_2addr_b64 v124, v[20:21], v[14:15] offset0:47 offset1:48
	ds_store_2addr_b64 v124, v[10:11], v[12:13] offset0:49 offset1:50
	;; [unrolled: 1-line block ×5, first 2 shown]
.LBB112_984:
	s_or_b32 exec_lo, exec_lo, s0
	s_delay_alu instid0(SALU_CYCLE_1)
	s_mov_b32 s0, exec_lo
	s_wait_storecnt_dscnt 0x0
	s_barrier_signal -1
	s_barrier_wait -1
	v_cmpx_lt_i32_e32 46, v128
	s_cbranch_execz .LBB112_986
; %bb.985:
	v_pk_mul_f32 v[122:123], v[120:121], v[24:25] op_sel:[1,1] op_sel_hi:[0,1]
	s_delay_alu instid0(VALU_DEP_1)
	v_pk_fma_f32 v[130:131], v[120:121], v[24:25], v[122:123] op_sel_hi:[1,0,1] neg_lo:[0,0,1] neg_hi:[0,0,1]
	v_pk_fma_f32 v[132:133], v[120:121], v[24:25], v[122:123] op_sel_hi:[1,0,1]
	ds_load_2addr_b64 v[120:123], v124 offset0:47 offset1:48
	v_dual_mov_b32 v24, v130 :: v_dual_mov_b32 v25, v133
	s_wait_dscnt 0x0
	v_pk_mul_f32 v[134:135], v[120:121], v[132:133] op_sel:[0,1]
	s_delay_alu instid0(VALU_DEP_1) | instskip(SKIP_1) | instid1(VALU_DEP_1)
	v_pk_fma_f32 v[136:137], v[120:121], v[130:131], v[134:135] op_sel:[0,0,1] op_sel_hi:[1,1,0] neg_lo:[0,0,1] neg_hi:[0,0,1]
	v_pk_fma_f32 v[120:121], v[120:121], v[130:131], v[134:135] op_sel:[0,0,1] op_sel_hi:[1,0,0]
	v_mov_b32_e32 v137, v121
	v_pk_mul_f32 v[120:121], v[122:123], v[132:133] op_sel:[0,1]
	s_delay_alu instid0(VALU_DEP_1) | instskip(SKIP_1) | instid1(VALU_DEP_1)
	v_pk_fma_f32 v[134:135], v[122:123], v[130:131], v[120:121] op_sel:[0,0,1] op_sel_hi:[1,1,0] neg_lo:[0,0,1] neg_hi:[0,0,1]
	v_pk_fma_f32 v[120:121], v[122:123], v[130:131], v[120:121] op_sel:[0,0,1] op_sel_hi:[1,0,0]
	v_mov_b32_e32 v135, v121
	ds_load_2addr_b64 v[120:123], v124 offset0:49 offset1:50
	v_pk_add_f32 v[20:21], v[20:21], v[136:137] neg_lo:[0,1] neg_hi:[0,1]
	v_pk_add_f32 v[14:15], v[14:15], v[134:135] neg_lo:[0,1] neg_hi:[0,1]
	s_wait_dscnt 0x0
	v_pk_mul_f32 v[134:135], v[120:121], v[132:133] op_sel:[0,1]
	s_delay_alu instid0(VALU_DEP_1) | instskip(SKIP_2) | instid1(VALU_DEP_2)
	v_pk_fma_f32 v[136:137], v[120:121], v[130:131], v[134:135] op_sel:[0,0,1] op_sel_hi:[1,1,0] neg_lo:[0,0,1] neg_hi:[0,0,1]
	v_pk_fma_f32 v[120:121], v[120:121], v[130:131], v[134:135] op_sel:[0,0,1] op_sel_hi:[1,0,0]
	v_dual_mul_f32 v134, v123, v133 :: v_dual_mov_b32 v120, v123
	v_dual_mov_b32 v137, v121 :: v_dual_mov_b32 v121, v122
	s_delay_alu instid0(VALU_DEP_2) | instskip(SKIP_1) | instid1(VALU_DEP_3)
	v_pk_fma_f32 v[134:135], v[122:123], v[24:25], v[134:135] op_sel_hi:[1,1,0] neg_lo:[0,0,1] neg_hi:[0,0,1]
	v_mul_f32_e32 v122, v123, v130
	v_pk_add_f32 v[10:11], v[10:11], v[136:137] neg_lo:[0,1] neg_hi:[0,1]
	s_delay_alu instid0(VALU_DEP_2) | instskip(NEXT) | instid1(VALU_DEP_1)
	v_pk_fma_f32 v[120:121], v[120:121], v[24:25], v[122:123] op_sel_hi:[1,1,0]
	v_mov_b32_e32 v135, v121
	ds_load_2addr_b64 v[120:123], v124 offset0:51 offset1:52
	v_pk_add_f32 v[12:13], v[12:13], v[134:135] neg_lo:[0,1] neg_hi:[0,1]
	s_wait_dscnt 0x0
	v_pk_mul_f32 v[134:135], v[120:121], v[132:133] op_sel:[0,1]
	s_delay_alu instid0(VALU_DEP_1) | instskip(SKIP_1) | instid1(VALU_DEP_1)
	v_pk_fma_f32 v[136:137], v[120:121], v[130:131], v[134:135] op_sel:[0,0,1] op_sel_hi:[1,1,0] neg_lo:[0,0,1] neg_hi:[0,0,1]
	v_pk_fma_f32 v[120:121], v[120:121], v[130:131], v[134:135] op_sel:[0,0,1] op_sel_hi:[1,0,0]
	v_mov_b32_e32 v137, v121
	v_pk_mul_f32 v[120:121], v[122:123], v[132:133] op_sel:[0,1]
	s_delay_alu instid0(VALU_DEP_1) | instskip(SKIP_1) | instid1(VALU_DEP_1)
	v_pk_fma_f32 v[134:135], v[122:123], v[130:131], v[120:121] op_sel:[0,0,1] op_sel_hi:[1,1,0] neg_lo:[0,0,1] neg_hi:[0,0,1]
	v_pk_fma_f32 v[120:121], v[122:123], v[130:131], v[120:121] op_sel:[0,0,1] op_sel_hi:[1,0,0]
	v_mov_b32_e32 v135, v121
	ds_load_2addr_b64 v[120:123], v124 offset0:53 offset1:54
	v_pk_add_f32 v[8:9], v[8:9], v[136:137] neg_lo:[0,1] neg_hi:[0,1]
	v_pk_add_f32 v[6:7], v[6:7], v[134:135] neg_lo:[0,1] neg_hi:[0,1]
	s_wait_dscnt 0x0
	v_pk_mul_f32 v[134:135], v[120:121], v[132:133] op_sel:[0,1]
	s_delay_alu instid0(VALU_DEP_1) | instskip(SKIP_1) | instid1(VALU_DEP_1)
	v_pk_fma_f32 v[136:137], v[120:121], v[130:131], v[134:135] op_sel:[0,0,1] op_sel_hi:[1,1,0] neg_lo:[0,0,1] neg_hi:[0,0,1]
	v_pk_fma_f32 v[120:121], v[120:121], v[130:131], v[134:135] op_sel:[0,0,1] op_sel_hi:[1,0,0]
	v_mov_b32_e32 v137, v121
	v_pk_mul_f32 v[120:121], v[122:123], v[132:133] op_sel:[0,1]
	s_delay_alu instid0(VALU_DEP_1) | instskip(SKIP_1) | instid1(VALU_DEP_1)
	v_pk_fma_f32 v[134:135], v[122:123], v[130:131], v[120:121] op_sel:[0,0,1] op_sel_hi:[1,1,0] neg_lo:[0,0,1] neg_hi:[0,0,1]
	v_pk_fma_f32 v[120:121], v[122:123], v[130:131], v[120:121] op_sel:[0,0,1] op_sel_hi:[1,0,0]
	v_mov_b32_e32 v135, v121
	ds_load_2addr_b64 v[120:123], v124 offset0:55 offset1:56
	v_pk_add_f32 v[28:29], v[28:29], v[136:137] neg_lo:[0,1] neg_hi:[0,1]
	v_pk_add_f32 v[18:19], v[18:19], v[134:135] neg_lo:[0,1] neg_hi:[0,1]
	s_wait_dscnt 0x0
	v_dual_mul_f32 v134, v121, v133 :: v_dual_mul_f32 v136, v121, v130
	s_delay_alu instid0(VALU_DEP_1) | instskip(NEXT) | instid1(VALU_DEP_2)
	v_pk_fma_f32 v[134:135], v[120:121], v[24:25], v[134:135] op_sel_hi:[1,1,0] neg_lo:[0,0,1] neg_hi:[0,0,1]
	v_pk_fma_f32 v[120:121], v[120:121], v[24:25], v[136:137] op_sel:[1,0,0] op_sel_hi:[0,1,0]
	s_delay_alu instid0(VALU_DEP_1) | instskip(SKIP_1) | instid1(VALU_DEP_1)
	v_mov_b32_e32 v135, v121
	v_pk_mul_f32 v[120:121], v[122:123], v[132:133] op_sel:[0,1]
	v_pk_fma_f32 v[132:133], v[122:123], v[130:131], v[120:121] op_sel:[0,0,1] op_sel_hi:[1,1,0] neg_lo:[0,0,1] neg_hi:[0,0,1]
	v_pk_fma_f32 v[120:121], v[122:123], v[130:131], v[120:121] op_sel:[0,0,1] op_sel_hi:[1,0,0]
	s_delay_alu instid0(VALU_DEP_1) | instskip(SKIP_1) | instid1(VALU_DEP_2)
	v_mov_b32_e32 v133, v121
	v_pk_add_f32 v[16:17], v[16:17], v[134:135] neg_lo:[0,1] neg_hi:[0,1]
	v_pk_add_f32 v[118:119], v[118:119], v[132:133] neg_lo:[0,1] neg_hi:[0,1]
.LBB112_986:
	s_or_b32 exec_lo, exec_lo, s0
	v_lshl_add_u32 v120, v128, 3, v124
	s_barrier_signal -1
	s_barrier_wait -1
	ds_store_b64 v120, v[20:21]
	s_wait_dscnt 0x0
	s_barrier_signal -1
	s_barrier_wait -1
	ds_load_b64 v[120:121], v124 offset:376
	v_mov_b32_e32 v122, 47
	s_cmp_lt_i32 s18, 49
	s_cbranch_scc1 .LBB112_989
; %bb.987:
	v_add3_u32 v123, v125, 0, 0x180
	v_mov_b32_e32 v122, 47
	s_mov_b32 s0, 48
.LBB112_988:                            ; =>This Inner Loop Header: Depth=1
	ds_load_b64 v[130:131], v123
	s_wait_dscnt 0x1
	v_cmp_gt_f32_e32 vcc_lo, 0, v120
	v_cndmask_b32_e64 v132, v120, -v120, vcc_lo
	v_cmp_gt_f32_e32 vcc_lo, 0, v121
	v_cndmask_b32_e64 v134, v121, -v121, vcc_lo
	s_wait_dscnt 0x0
	v_cmp_gt_f32_e32 vcc_lo, 0, v130
	v_cndmask_b32_e64 v133, v130, -v130, vcc_lo
	v_cmp_gt_f32_e32 vcc_lo, 0, v131
	v_cndmask_b32_e64 v135, v131, -v131, vcc_lo
	s_delay_alu instid0(VALU_DEP_1) | instskip(NEXT) | instid1(VALU_DEP_1)
	v_pk_add_f32 v[132:133], v[132:133], v[134:135]
	v_cmp_lt_f32_e32 vcc_lo, v132, v133
	v_dual_cndmask_b32 v120, v120, v130 :: v_dual_add_nc_u32 v123, 8, v123
	v_cndmask_b32_e32 v121, v121, v131, vcc_lo
	v_cndmask_b32_e64 v122, v122, s0, vcc_lo
	s_add_co_i32 s0, s0, 1
	s_delay_alu instid0(SALU_CYCLE_1)
	s_cmp_lg_u32 s18, s0
	s_cbranch_scc1 .LBB112_988
.LBB112_989:
	s_wait_dscnt 0x0
	v_cmp_eq_f32_e32 vcc_lo, 0, v120
	v_cmp_eq_f32_e64 s0, 0, v121
	s_and_b32 s0, vcc_lo, s0
	s_delay_alu instid0(SALU_CYCLE_1) | instskip(NEXT) | instid1(SALU_CYCLE_1)
	s_and_saveexec_b32 s1, s0
	s_xor_b32 s0, exec_lo, s1
; %bb.990:
	v_cmp_ne_u32_e32 vcc_lo, 0, v126
	v_cndmask_b32_e32 v126, 48, v126, vcc_lo
; %bb.991:
	s_and_not1_saveexec_b32 s0, s0
	s_cbranch_execz .LBB112_997
; %bb.992:
	v_cmp_ngt_f32_e64 s1, |v120|, |v121|
	s_and_saveexec_b32 s12, s1
	s_delay_alu instid0(SALU_CYCLE_1)
	s_xor_b32 s1, exec_lo, s12
	s_cbranch_execz .LBB112_994
; %bb.993:
	v_div_scale_f32 v123, null, v121, v121, v120
	v_div_scale_f32 v131, vcc_lo, v120, v121, v120
	s_delay_alu instid0(VALU_DEP_2) | instskip(SKIP_1) | instid1(TRANS32_DEP_1)
	v_rcp_f32_e32 v129, v123
	v_nop
	v_fma_f32 v130, -v123, v129, 1.0
	s_delay_alu instid0(VALU_DEP_1) | instskip(NEXT) | instid1(VALU_DEP_1)
	v_fmac_f32_e32 v129, v130, v129
	v_mul_f32_e32 v130, v131, v129
	s_delay_alu instid0(VALU_DEP_1) | instskip(NEXT) | instid1(VALU_DEP_1)
	v_fma_f32 v132, -v123, v130, v131
	v_fmac_f32_e32 v130, v132, v129
	s_delay_alu instid0(VALU_DEP_1) | instskip(NEXT) | instid1(VALU_DEP_1)
	v_fma_f32 v123, -v123, v130, v131
	v_div_fmas_f32 v123, v123, v129, v130
	s_delay_alu instid0(VALU_DEP_1) | instskip(NEXT) | instid1(VALU_DEP_1)
	v_div_fixup_f32 v123, v123, v121, v120
	v_fmac_f32_e32 v121, v120, v123
	s_delay_alu instid0(VALU_DEP_1) | instskip(SKIP_1) | instid1(VALU_DEP_2)
	v_div_scale_f32 v120, null, v121, v121, 1.0
	v_div_scale_f32 v131, vcc_lo, 1.0, v121, 1.0
	v_rcp_f32_e32 v129, v120
	v_nop
	s_delay_alu instid0(TRANS32_DEP_1) | instskip(NEXT) | instid1(VALU_DEP_1)
	v_fma_f32 v130, -v120, v129, 1.0
	v_fmac_f32_e32 v129, v130, v129
	s_delay_alu instid0(VALU_DEP_1) | instskip(NEXT) | instid1(VALU_DEP_1)
	v_mul_f32_e32 v130, v131, v129
	v_fma_f32 v132, -v120, v130, v131
	s_delay_alu instid0(VALU_DEP_1) | instskip(NEXT) | instid1(VALU_DEP_1)
	v_fmac_f32_e32 v130, v132, v129
	v_fma_f32 v120, -v120, v130, v131
	s_delay_alu instid0(VALU_DEP_1) | instskip(NEXT) | instid1(VALU_DEP_1)
	v_div_fmas_f32 v120, v120, v129, v130
	v_div_fixup_f32 v121, v120, v121, 1.0
	s_delay_alu instid0(VALU_DEP_1)
	v_mul_f32_e32 v120, v123, v121
	v_xor_b32_e32 v121, 0x80000000, v121
.LBB112_994:
	s_and_not1_saveexec_b32 s1, s1
	s_cbranch_execz .LBB112_996
; %bb.995:
	s_delay_alu instid0(VALU_DEP_1) | instskip(SKIP_1) | instid1(VALU_DEP_2)
	v_div_scale_f32 v123, null, v120, v120, v121
	v_div_scale_f32 v131, vcc_lo, v121, v120, v121
	v_rcp_f32_e32 v129, v123
	v_nop
	s_delay_alu instid0(TRANS32_DEP_1) | instskip(NEXT) | instid1(VALU_DEP_1)
	v_fma_f32 v130, -v123, v129, 1.0
	v_fmac_f32_e32 v129, v130, v129
	s_delay_alu instid0(VALU_DEP_1) | instskip(NEXT) | instid1(VALU_DEP_1)
	v_mul_f32_e32 v130, v131, v129
	v_fma_f32 v132, -v123, v130, v131
	s_delay_alu instid0(VALU_DEP_1) | instskip(NEXT) | instid1(VALU_DEP_1)
	v_fmac_f32_e32 v130, v132, v129
	v_fma_f32 v123, -v123, v130, v131
	s_delay_alu instid0(VALU_DEP_1) | instskip(NEXT) | instid1(VALU_DEP_1)
	v_div_fmas_f32 v123, v123, v129, v130
	v_div_fixup_f32 v123, v123, v120, v121
	s_delay_alu instid0(VALU_DEP_1) | instskip(NEXT) | instid1(VALU_DEP_1)
	v_fmac_f32_e32 v120, v121, v123
	v_div_scale_f32 v121, null, v120, v120, 1.0
	s_delay_alu instid0(VALU_DEP_1) | instskip(SKIP_1) | instid1(TRANS32_DEP_1)
	v_rcp_f32_e32 v129, v121
	v_nop
	v_fma_f32 v130, -v121, v129, 1.0
	s_delay_alu instid0(VALU_DEP_1) | instskip(SKIP_1) | instid1(VALU_DEP_1)
	v_fmac_f32_e32 v129, v130, v129
	v_div_scale_f32 v130, vcc_lo, 1.0, v120, 1.0
	v_mul_f32_e32 v131, v130, v129
	s_delay_alu instid0(VALU_DEP_1) | instskip(NEXT) | instid1(VALU_DEP_1)
	v_fma_f32 v132, -v121, v131, v130
	v_fmac_f32_e32 v131, v132, v129
	s_delay_alu instid0(VALU_DEP_1) | instskip(NEXT) | instid1(VALU_DEP_1)
	v_fma_f32 v121, -v121, v131, v130
	v_div_fmas_f32 v121, v121, v129, v131
	s_delay_alu instid0(VALU_DEP_1) | instskip(NEXT) | instid1(VALU_DEP_1)
	v_div_fixup_f32 v120, v121, v120, 1.0
	v_mul_f32_e64 v121, v123, -v120
.LBB112_996:
	s_or_b32 exec_lo, exec_lo, s1
.LBB112_997:
	s_delay_alu instid0(SALU_CYCLE_1) | instskip(NEXT) | instid1(SALU_CYCLE_1)
	s_or_b32 exec_lo, exec_lo, s0
	s_mov_b32 s0, exec_lo
	v_cmpx_ne_u32_e64 v128, v122
	s_xor_b32 s0, exec_lo, s0
	s_cbranch_execz .LBB112_1003
; %bb.998:
	s_mov_b32 s1, exec_lo
	v_cmpx_eq_u32_e32 47, v128
	s_cbranch_execz .LBB112_1002
; %bb.999:
	v_cmp_ne_u32_e32 vcc_lo, 47, v122
	s_xor_b32 s12, s16, -1
	s_delay_alu instid0(SALU_CYCLE_1) | instskip(NEXT) | instid1(SALU_CYCLE_1)
	s_and_b32 s13, s12, vcc_lo
	s_and_saveexec_b32 s12, s13
	s_cbranch_execz .LBB112_1001
; %bb.1000:
	v_ashrrev_i32_e32 v123, 31, v122
	s_delay_alu instid0(VALU_DEP_1)
	v_lshl_add_u64 v[128:129], v[122:123], 2, v[4:5]
	s_clause 0x1
	global_load_b32 v123, v[128:129], off
	global_load_b32 v127, v[4:5], off offset:188
	s_wait_loadcnt 0x1
	global_store_b32 v[4:5], v123, off offset:188
	s_wait_loadcnt 0x0
	global_store_b32 v[128:129], v127, off
.LBB112_1001:
	s_wait_xcnt 0x0
	s_or_b32 exec_lo, exec_lo, s12
	v_dual_mov_b32 v128, v122 :: v_dual_mov_b32 v127, v122
.LBB112_1002:
	s_or_b32 exec_lo, exec_lo, s1
.LBB112_1003:
	s_and_not1_saveexec_b32 s0, s0
	s_cbranch_execz .LBB112_1005
; %bb.1004:
	v_dual_mov_b32 v122, v14 :: v_dual_mov_b32 v123, v15
	v_dual_mov_b32 v130, v10 :: v_dual_mov_b32 v131, v11
	v_dual_mov_b32 v128, 47 :: v_dual_mov_b32 v132, v12
	v_dual_mov_b32 v133, v13 :: v_dual_mov_b32 v134, v8
	v_dual_mov_b32 v135, v9 :: v_dual_mov_b32 v136, v6
	v_dual_mov_b32 v137, v7 :: v_dual_mov_b32 v138, v28
	v_dual_mov_b32 v139, v29 :: v_dual_mov_b32 v140, v18
	v_dual_mov_b32 v141, v19 :: v_dual_mov_b32 v142, v16
	v_mov_b32_e32 v143, v17
	ds_store_2addr_b64 v124, v[122:123], v[130:131] offset0:48 offset1:49
	ds_store_2addr_b64 v124, v[132:133], v[134:135] offset0:50 offset1:51
	;; [unrolled: 1-line block ×4, first 2 shown]
	ds_store_b64 v124, v[118:119] offset:448
.LBB112_1005:
	s_or_b32 exec_lo, exec_lo, s0
	s_delay_alu instid0(SALU_CYCLE_1)
	s_mov_b32 s0, exec_lo
	s_wait_storecnt_dscnt 0x0
	s_barrier_signal -1
	s_barrier_wait -1
	v_cmpx_lt_i32_e32 47, v128
	s_cbranch_execz .LBB112_1007
; %bb.1006:
	v_pk_mul_f32 v[122:123], v[120:121], v[20:21] op_sel:[1,1] op_sel_hi:[0,1]
	s_delay_alu instid0(VALU_DEP_1)
	v_pk_fma_f32 v[130:131], v[120:121], v[20:21], v[122:123] op_sel_hi:[1,0,1] neg_lo:[0,0,1] neg_hi:[0,0,1]
	v_pk_fma_f32 v[132:133], v[120:121], v[20:21], v[122:123] op_sel_hi:[1,0,1]
	ds_load_2addr_b64 v[120:123], v124 offset0:48 offset1:49
	v_dual_mov_b32 v20, v130 :: v_dual_mov_b32 v21, v133
	s_wait_dscnt 0x0
	v_pk_mul_f32 v[134:135], v[120:121], v[132:133] op_sel:[0,1]
	s_delay_alu instid0(VALU_DEP_1) | instskip(SKIP_1) | instid1(VALU_DEP_1)
	v_pk_fma_f32 v[136:137], v[120:121], v[130:131], v[134:135] op_sel:[0,0,1] op_sel_hi:[1,1,0] neg_lo:[0,0,1] neg_hi:[0,0,1]
	v_pk_fma_f32 v[120:121], v[120:121], v[130:131], v[134:135] op_sel:[0,0,1] op_sel_hi:[1,0,0]
	v_mov_b32_e32 v137, v121
	v_pk_mul_f32 v[120:121], v[122:123], v[132:133] op_sel:[0,1]
	s_delay_alu instid0(VALU_DEP_1) | instskip(SKIP_1) | instid1(VALU_DEP_1)
	v_pk_fma_f32 v[134:135], v[122:123], v[130:131], v[120:121] op_sel:[0,0,1] op_sel_hi:[1,1,0] neg_lo:[0,0,1] neg_hi:[0,0,1]
	v_pk_fma_f32 v[120:121], v[122:123], v[130:131], v[120:121] op_sel:[0,0,1] op_sel_hi:[1,0,0]
	v_mov_b32_e32 v135, v121
	ds_load_2addr_b64 v[120:123], v124 offset0:50 offset1:51
	v_pk_add_f32 v[14:15], v[14:15], v[136:137] neg_lo:[0,1] neg_hi:[0,1]
	v_pk_add_f32 v[10:11], v[10:11], v[134:135] neg_lo:[0,1] neg_hi:[0,1]
	s_wait_dscnt 0x0
	v_pk_mul_f32 v[134:135], v[120:121], v[132:133] op_sel:[0,1]
	s_delay_alu instid0(VALU_DEP_1) | instskip(SKIP_2) | instid1(VALU_DEP_2)
	v_pk_fma_f32 v[136:137], v[120:121], v[130:131], v[134:135] op_sel:[0,0,1] op_sel_hi:[1,1,0] neg_lo:[0,0,1] neg_hi:[0,0,1]
	v_pk_fma_f32 v[120:121], v[120:121], v[130:131], v[134:135] op_sel:[0,0,1] op_sel_hi:[1,0,0]
	v_dual_mul_f32 v134, v123, v133 :: v_dual_mov_b32 v120, v123
	v_dual_mov_b32 v137, v121 :: v_dual_mov_b32 v121, v122
	s_delay_alu instid0(VALU_DEP_2) | instskip(SKIP_1) | instid1(VALU_DEP_3)
	v_pk_fma_f32 v[134:135], v[122:123], v[20:21], v[134:135] op_sel_hi:[1,1,0] neg_lo:[0,0,1] neg_hi:[0,0,1]
	v_mul_f32_e32 v122, v123, v130
	v_pk_add_f32 v[12:13], v[12:13], v[136:137] neg_lo:[0,1] neg_hi:[0,1]
	s_delay_alu instid0(VALU_DEP_2) | instskip(NEXT) | instid1(VALU_DEP_1)
	v_pk_fma_f32 v[120:121], v[120:121], v[20:21], v[122:123] op_sel_hi:[1,1,0]
	v_mov_b32_e32 v135, v121
	ds_load_2addr_b64 v[120:123], v124 offset0:52 offset1:53
	v_pk_add_f32 v[8:9], v[8:9], v[134:135] neg_lo:[0,1] neg_hi:[0,1]
	s_wait_dscnt 0x0
	v_pk_mul_f32 v[134:135], v[120:121], v[132:133] op_sel:[0,1]
	s_delay_alu instid0(VALU_DEP_1) | instskip(SKIP_1) | instid1(VALU_DEP_1)
	v_pk_fma_f32 v[136:137], v[120:121], v[130:131], v[134:135] op_sel:[0,0,1] op_sel_hi:[1,1,0] neg_lo:[0,0,1] neg_hi:[0,0,1]
	v_pk_fma_f32 v[120:121], v[120:121], v[130:131], v[134:135] op_sel:[0,0,1] op_sel_hi:[1,0,0]
	v_mov_b32_e32 v137, v121
	v_pk_mul_f32 v[120:121], v[122:123], v[132:133] op_sel:[0,1]
	s_delay_alu instid0(VALU_DEP_1) | instskip(SKIP_1) | instid1(VALU_DEP_1)
	v_pk_fma_f32 v[134:135], v[122:123], v[130:131], v[120:121] op_sel:[0,0,1] op_sel_hi:[1,1,0] neg_lo:[0,0,1] neg_hi:[0,0,1]
	v_pk_fma_f32 v[120:121], v[122:123], v[130:131], v[120:121] op_sel:[0,0,1] op_sel_hi:[1,0,0]
	v_mov_b32_e32 v135, v121
	ds_load_2addr_b64 v[120:123], v124 offset0:54 offset1:55
	v_pk_add_f32 v[6:7], v[6:7], v[136:137] neg_lo:[0,1] neg_hi:[0,1]
	v_pk_add_f32 v[28:29], v[28:29], v[134:135] neg_lo:[0,1] neg_hi:[0,1]
	s_wait_dscnt 0x0
	v_pk_mul_f32 v[134:135], v[120:121], v[132:133] op_sel:[0,1]
	s_delay_alu instid0(VALU_DEP_1) | instskip(SKIP_1) | instid1(VALU_DEP_1)
	v_pk_fma_f32 v[136:137], v[120:121], v[130:131], v[134:135] op_sel:[0,0,1] op_sel_hi:[1,1,0] neg_lo:[0,0,1] neg_hi:[0,0,1]
	v_pk_fma_f32 v[120:121], v[120:121], v[130:131], v[134:135] op_sel:[0,0,1] op_sel_hi:[1,0,0]
	v_mov_b32_e32 v137, v121
	v_pk_mul_f32 v[120:121], v[122:123], v[132:133] op_sel:[0,1]
	s_delay_alu instid0(VALU_DEP_1) | instskip(SKIP_1) | instid1(VALU_DEP_1)
	v_pk_fma_f32 v[134:135], v[122:123], v[130:131], v[120:121] op_sel:[0,0,1] op_sel_hi:[1,1,0] neg_lo:[0,0,1] neg_hi:[0,0,1]
	v_pk_fma_f32 v[120:121], v[122:123], v[130:131], v[120:121] op_sel:[0,0,1] op_sel_hi:[1,0,0]
	v_mov_b32_e32 v135, v121
	ds_load_b64 v[120:121], v124 offset:448
	v_pk_add_f32 v[18:19], v[18:19], v[136:137] neg_lo:[0,1] neg_hi:[0,1]
	v_pk_add_f32 v[16:17], v[16:17], v[134:135] neg_lo:[0,1] neg_hi:[0,1]
	s_wait_dscnt 0x0
	v_pk_mul_f32 v[122:123], v[120:121], v[132:133] op_sel:[0,1]
	s_delay_alu instid0(VALU_DEP_1) | instskip(SKIP_1) | instid1(VALU_DEP_1)
	v_pk_fma_f32 v[132:133], v[120:121], v[130:131], v[122:123] op_sel:[0,0,1] op_sel_hi:[1,1,0] neg_lo:[0,0,1] neg_hi:[0,0,1]
	v_pk_fma_f32 v[120:121], v[120:121], v[130:131], v[122:123] op_sel:[0,0,1] op_sel_hi:[1,0,0]
	v_mov_b32_e32 v133, v121
	s_delay_alu instid0(VALU_DEP_1)
	v_pk_add_f32 v[118:119], v[118:119], v[132:133] neg_lo:[0,1] neg_hi:[0,1]
.LBB112_1007:
	s_or_b32 exec_lo, exec_lo, s0
	v_lshl_add_u32 v120, v128, 3, v124
	s_barrier_signal -1
	s_barrier_wait -1
	ds_store_b64 v120, v[14:15]
	s_wait_dscnt 0x0
	s_barrier_signal -1
	s_barrier_wait -1
	ds_load_b64 v[120:121], v124 offset:384
	v_mov_b32_e32 v122, 48
	s_cmp_lt_i32 s18, 50
	s_cbranch_scc1 .LBB112_1010
; %bb.1008:
	v_add3_u32 v123, v125, 0, 0x188
	v_mov_b32_e32 v122, 48
	s_mov_b32 s0, 49
.LBB112_1009:                           ; =>This Inner Loop Header: Depth=1
	ds_load_b64 v[130:131], v123
	s_wait_dscnt 0x1
	v_cmp_gt_f32_e32 vcc_lo, 0, v120
	v_cndmask_b32_e64 v132, v120, -v120, vcc_lo
	v_cmp_gt_f32_e32 vcc_lo, 0, v121
	v_cndmask_b32_e64 v134, v121, -v121, vcc_lo
	s_wait_dscnt 0x0
	v_cmp_gt_f32_e32 vcc_lo, 0, v130
	v_cndmask_b32_e64 v133, v130, -v130, vcc_lo
	v_cmp_gt_f32_e32 vcc_lo, 0, v131
	v_cndmask_b32_e64 v135, v131, -v131, vcc_lo
	s_delay_alu instid0(VALU_DEP_1) | instskip(NEXT) | instid1(VALU_DEP_1)
	v_pk_add_f32 v[132:133], v[132:133], v[134:135]
	v_cmp_lt_f32_e32 vcc_lo, v132, v133
	v_dual_cndmask_b32 v120, v120, v130 :: v_dual_add_nc_u32 v123, 8, v123
	v_cndmask_b32_e32 v121, v121, v131, vcc_lo
	v_cndmask_b32_e64 v122, v122, s0, vcc_lo
	s_add_co_i32 s0, s0, 1
	s_delay_alu instid0(SALU_CYCLE_1)
	s_cmp_lg_u32 s18, s0
	s_cbranch_scc1 .LBB112_1009
.LBB112_1010:
	s_wait_dscnt 0x0
	v_cmp_eq_f32_e32 vcc_lo, 0, v120
	v_cmp_eq_f32_e64 s0, 0, v121
	s_and_b32 s0, vcc_lo, s0
	s_delay_alu instid0(SALU_CYCLE_1) | instskip(NEXT) | instid1(SALU_CYCLE_1)
	s_and_saveexec_b32 s1, s0
	s_xor_b32 s0, exec_lo, s1
; %bb.1011:
	v_cmp_ne_u32_e32 vcc_lo, 0, v126
	v_cndmask_b32_e32 v126, 49, v126, vcc_lo
; %bb.1012:
	s_and_not1_saveexec_b32 s0, s0
	s_cbranch_execz .LBB112_1018
; %bb.1013:
	v_cmp_ngt_f32_e64 s1, |v120|, |v121|
	s_and_saveexec_b32 s12, s1
	s_delay_alu instid0(SALU_CYCLE_1)
	s_xor_b32 s1, exec_lo, s12
	s_cbranch_execz .LBB112_1015
; %bb.1014:
	v_div_scale_f32 v123, null, v121, v121, v120
	v_div_scale_f32 v131, vcc_lo, v120, v121, v120
	s_delay_alu instid0(VALU_DEP_2) | instskip(SKIP_1) | instid1(TRANS32_DEP_1)
	v_rcp_f32_e32 v129, v123
	v_nop
	v_fma_f32 v130, -v123, v129, 1.0
	s_delay_alu instid0(VALU_DEP_1) | instskip(NEXT) | instid1(VALU_DEP_1)
	v_fmac_f32_e32 v129, v130, v129
	v_mul_f32_e32 v130, v131, v129
	s_delay_alu instid0(VALU_DEP_1) | instskip(NEXT) | instid1(VALU_DEP_1)
	v_fma_f32 v132, -v123, v130, v131
	v_fmac_f32_e32 v130, v132, v129
	s_delay_alu instid0(VALU_DEP_1) | instskip(NEXT) | instid1(VALU_DEP_1)
	v_fma_f32 v123, -v123, v130, v131
	v_div_fmas_f32 v123, v123, v129, v130
	s_delay_alu instid0(VALU_DEP_1) | instskip(NEXT) | instid1(VALU_DEP_1)
	v_div_fixup_f32 v123, v123, v121, v120
	v_fmac_f32_e32 v121, v120, v123
	s_delay_alu instid0(VALU_DEP_1) | instskip(SKIP_1) | instid1(VALU_DEP_2)
	v_div_scale_f32 v120, null, v121, v121, 1.0
	v_div_scale_f32 v131, vcc_lo, 1.0, v121, 1.0
	v_rcp_f32_e32 v129, v120
	v_nop
	s_delay_alu instid0(TRANS32_DEP_1) | instskip(NEXT) | instid1(VALU_DEP_1)
	v_fma_f32 v130, -v120, v129, 1.0
	v_fmac_f32_e32 v129, v130, v129
	s_delay_alu instid0(VALU_DEP_1) | instskip(NEXT) | instid1(VALU_DEP_1)
	v_mul_f32_e32 v130, v131, v129
	v_fma_f32 v132, -v120, v130, v131
	s_delay_alu instid0(VALU_DEP_1) | instskip(NEXT) | instid1(VALU_DEP_1)
	v_fmac_f32_e32 v130, v132, v129
	v_fma_f32 v120, -v120, v130, v131
	s_delay_alu instid0(VALU_DEP_1) | instskip(NEXT) | instid1(VALU_DEP_1)
	v_div_fmas_f32 v120, v120, v129, v130
	v_div_fixup_f32 v121, v120, v121, 1.0
	s_delay_alu instid0(VALU_DEP_1)
	v_mul_f32_e32 v120, v123, v121
	v_xor_b32_e32 v121, 0x80000000, v121
.LBB112_1015:
	s_and_not1_saveexec_b32 s1, s1
	s_cbranch_execz .LBB112_1017
; %bb.1016:
	s_delay_alu instid0(VALU_DEP_1) | instskip(SKIP_1) | instid1(VALU_DEP_2)
	v_div_scale_f32 v123, null, v120, v120, v121
	v_div_scale_f32 v131, vcc_lo, v121, v120, v121
	v_rcp_f32_e32 v129, v123
	v_nop
	s_delay_alu instid0(TRANS32_DEP_1) | instskip(NEXT) | instid1(VALU_DEP_1)
	v_fma_f32 v130, -v123, v129, 1.0
	v_fmac_f32_e32 v129, v130, v129
	s_delay_alu instid0(VALU_DEP_1) | instskip(NEXT) | instid1(VALU_DEP_1)
	v_mul_f32_e32 v130, v131, v129
	v_fma_f32 v132, -v123, v130, v131
	s_delay_alu instid0(VALU_DEP_1) | instskip(NEXT) | instid1(VALU_DEP_1)
	v_fmac_f32_e32 v130, v132, v129
	v_fma_f32 v123, -v123, v130, v131
	s_delay_alu instid0(VALU_DEP_1) | instskip(NEXT) | instid1(VALU_DEP_1)
	v_div_fmas_f32 v123, v123, v129, v130
	v_div_fixup_f32 v123, v123, v120, v121
	s_delay_alu instid0(VALU_DEP_1) | instskip(NEXT) | instid1(VALU_DEP_1)
	v_fmac_f32_e32 v120, v121, v123
	v_div_scale_f32 v121, null, v120, v120, 1.0
	s_delay_alu instid0(VALU_DEP_1) | instskip(SKIP_1) | instid1(TRANS32_DEP_1)
	v_rcp_f32_e32 v129, v121
	v_nop
	v_fma_f32 v130, -v121, v129, 1.0
	s_delay_alu instid0(VALU_DEP_1) | instskip(SKIP_1) | instid1(VALU_DEP_1)
	v_fmac_f32_e32 v129, v130, v129
	v_div_scale_f32 v130, vcc_lo, 1.0, v120, 1.0
	v_mul_f32_e32 v131, v130, v129
	s_delay_alu instid0(VALU_DEP_1) | instskip(NEXT) | instid1(VALU_DEP_1)
	v_fma_f32 v132, -v121, v131, v130
	v_fmac_f32_e32 v131, v132, v129
	s_delay_alu instid0(VALU_DEP_1) | instskip(NEXT) | instid1(VALU_DEP_1)
	v_fma_f32 v121, -v121, v131, v130
	v_div_fmas_f32 v121, v121, v129, v131
	s_delay_alu instid0(VALU_DEP_1) | instskip(NEXT) | instid1(VALU_DEP_1)
	v_div_fixup_f32 v120, v121, v120, 1.0
	v_mul_f32_e64 v121, v123, -v120
.LBB112_1017:
	s_or_b32 exec_lo, exec_lo, s1
.LBB112_1018:
	s_delay_alu instid0(SALU_CYCLE_1) | instskip(NEXT) | instid1(SALU_CYCLE_1)
	s_or_b32 exec_lo, exec_lo, s0
	s_mov_b32 s0, exec_lo
	v_cmpx_ne_u32_e64 v128, v122
	s_xor_b32 s0, exec_lo, s0
	s_cbranch_execz .LBB112_1024
; %bb.1019:
	s_mov_b32 s1, exec_lo
	v_cmpx_eq_u32_e32 48, v128
	s_cbranch_execz .LBB112_1023
; %bb.1020:
	v_cmp_ne_u32_e32 vcc_lo, 48, v122
	s_xor_b32 s12, s16, -1
	s_delay_alu instid0(SALU_CYCLE_1) | instskip(NEXT) | instid1(SALU_CYCLE_1)
	s_and_b32 s13, s12, vcc_lo
	s_and_saveexec_b32 s12, s13
	s_cbranch_execz .LBB112_1022
; %bb.1021:
	v_ashrrev_i32_e32 v123, 31, v122
	s_delay_alu instid0(VALU_DEP_1)
	v_lshl_add_u64 v[128:129], v[122:123], 2, v[4:5]
	s_clause 0x1
	global_load_b32 v123, v[128:129], off
	global_load_b32 v127, v[4:5], off offset:192
	s_wait_loadcnt 0x1
	global_store_b32 v[4:5], v123, off offset:192
	s_wait_loadcnt 0x0
	global_store_b32 v[128:129], v127, off
.LBB112_1022:
	s_wait_xcnt 0x0
	s_or_b32 exec_lo, exec_lo, s12
	v_dual_mov_b32 v128, v122 :: v_dual_mov_b32 v127, v122
.LBB112_1023:
	s_or_b32 exec_lo, exec_lo, s1
.LBB112_1024:
	s_and_not1_saveexec_b32 s0, s0
	s_cbranch_execz .LBB112_1026
; %bb.1025:
	v_mov_b32_e32 v128, 48
	ds_store_2addr_b64 v124, v[10:11], v[12:13] offset0:49 offset1:50
	ds_store_2addr_b64 v124, v[8:9], v[6:7] offset0:51 offset1:52
	;; [unrolled: 1-line block ×4, first 2 shown]
.LBB112_1026:
	s_or_b32 exec_lo, exec_lo, s0
	s_delay_alu instid0(SALU_CYCLE_1)
	s_mov_b32 s0, exec_lo
	s_wait_storecnt_dscnt 0x0
	s_barrier_signal -1
	s_barrier_wait -1
	v_cmpx_lt_i32_e32 48, v128
	s_cbranch_execz .LBB112_1028
; %bb.1027:
	v_pk_mul_f32 v[122:123], v[120:121], v[14:15] op_sel:[1,1] op_sel_hi:[0,1]
	s_delay_alu instid0(VALU_DEP_1)
	v_pk_fma_f32 v[130:131], v[120:121], v[14:15], v[122:123] op_sel_hi:[1,0,1] neg_lo:[0,0,1] neg_hi:[0,0,1]
	v_pk_fma_f32 v[132:133], v[120:121], v[14:15], v[122:123] op_sel_hi:[1,0,1]
	ds_load_2addr_b64 v[120:123], v124 offset0:49 offset1:50
	v_dual_mov_b32 v14, v130 :: v_dual_mov_b32 v15, v133
	s_wait_dscnt 0x0
	v_pk_mul_f32 v[134:135], v[120:121], v[132:133] op_sel:[0,1]
	s_delay_alu instid0(VALU_DEP_1) | instskip(SKIP_1) | instid1(VALU_DEP_1)
	v_pk_fma_f32 v[136:137], v[120:121], v[130:131], v[134:135] op_sel:[0,0,1] op_sel_hi:[1,1,0] neg_lo:[0,0,1] neg_hi:[0,0,1]
	v_pk_fma_f32 v[120:121], v[120:121], v[130:131], v[134:135] op_sel:[0,0,1] op_sel_hi:[1,0,0]
	v_mov_b32_e32 v137, v121
	v_pk_mul_f32 v[120:121], v[122:123], v[132:133] op_sel:[0,1]
	s_delay_alu instid0(VALU_DEP_1) | instskip(SKIP_1) | instid1(VALU_DEP_1)
	v_pk_fma_f32 v[134:135], v[122:123], v[130:131], v[120:121] op_sel:[0,0,1] op_sel_hi:[1,1,0] neg_lo:[0,0,1] neg_hi:[0,0,1]
	v_pk_fma_f32 v[120:121], v[122:123], v[130:131], v[120:121] op_sel:[0,0,1] op_sel_hi:[1,0,0]
	v_mov_b32_e32 v135, v121
	ds_load_2addr_b64 v[120:123], v124 offset0:51 offset1:52
	v_pk_add_f32 v[10:11], v[10:11], v[136:137] neg_lo:[0,1] neg_hi:[0,1]
	v_pk_add_f32 v[12:13], v[12:13], v[134:135] neg_lo:[0,1] neg_hi:[0,1]
	s_wait_dscnt 0x0
	v_pk_mul_f32 v[134:135], v[120:121], v[132:133] op_sel:[0,1]
	s_delay_alu instid0(VALU_DEP_1) | instskip(SKIP_2) | instid1(VALU_DEP_2)
	v_pk_fma_f32 v[136:137], v[120:121], v[130:131], v[134:135] op_sel:[0,0,1] op_sel_hi:[1,1,0] neg_lo:[0,0,1] neg_hi:[0,0,1]
	v_pk_fma_f32 v[120:121], v[120:121], v[130:131], v[134:135] op_sel:[0,0,1] op_sel_hi:[1,0,0]
	v_dual_mul_f32 v134, v123, v133 :: v_dual_mov_b32 v120, v123
	v_dual_mov_b32 v137, v121 :: v_dual_mov_b32 v121, v122
	s_delay_alu instid0(VALU_DEP_2) | instskip(SKIP_1) | instid1(VALU_DEP_3)
	v_pk_fma_f32 v[134:135], v[122:123], v[14:15], v[134:135] op_sel_hi:[1,1,0] neg_lo:[0,0,1] neg_hi:[0,0,1]
	v_mul_f32_e32 v122, v123, v130
	v_pk_add_f32 v[8:9], v[8:9], v[136:137] neg_lo:[0,1] neg_hi:[0,1]
	s_delay_alu instid0(VALU_DEP_2) | instskip(NEXT) | instid1(VALU_DEP_1)
	v_pk_fma_f32 v[120:121], v[120:121], v[14:15], v[122:123] op_sel_hi:[1,1,0]
	v_mov_b32_e32 v135, v121
	ds_load_2addr_b64 v[120:123], v124 offset0:53 offset1:54
	v_pk_add_f32 v[6:7], v[6:7], v[134:135] neg_lo:[0,1] neg_hi:[0,1]
	s_wait_dscnt 0x0
	v_pk_mul_f32 v[134:135], v[120:121], v[132:133] op_sel:[0,1]
	s_delay_alu instid0(VALU_DEP_1) | instskip(SKIP_1) | instid1(VALU_DEP_1)
	v_pk_fma_f32 v[136:137], v[120:121], v[130:131], v[134:135] op_sel:[0,0,1] op_sel_hi:[1,1,0] neg_lo:[0,0,1] neg_hi:[0,0,1]
	v_pk_fma_f32 v[120:121], v[120:121], v[130:131], v[134:135] op_sel:[0,0,1] op_sel_hi:[1,0,0]
	v_mov_b32_e32 v137, v121
	v_pk_mul_f32 v[120:121], v[122:123], v[132:133] op_sel:[0,1]
	s_delay_alu instid0(VALU_DEP_1) | instskip(SKIP_1) | instid1(VALU_DEP_1)
	v_pk_fma_f32 v[134:135], v[122:123], v[130:131], v[120:121] op_sel:[0,0,1] op_sel_hi:[1,1,0] neg_lo:[0,0,1] neg_hi:[0,0,1]
	v_pk_fma_f32 v[120:121], v[122:123], v[130:131], v[120:121] op_sel:[0,0,1] op_sel_hi:[1,0,0]
	v_mov_b32_e32 v135, v121
	ds_load_2addr_b64 v[120:123], v124 offset0:55 offset1:56
	v_pk_add_f32 v[28:29], v[28:29], v[136:137] neg_lo:[0,1] neg_hi:[0,1]
	v_pk_add_f32 v[18:19], v[18:19], v[134:135] neg_lo:[0,1] neg_hi:[0,1]
	s_wait_dscnt 0x0
	v_pk_mul_f32 v[134:135], v[120:121], v[132:133] op_sel:[0,1]
	s_delay_alu instid0(VALU_DEP_1) | instskip(SKIP_1) | instid1(VALU_DEP_1)
	v_pk_fma_f32 v[136:137], v[120:121], v[130:131], v[134:135] op_sel:[0,0,1] op_sel_hi:[1,1,0] neg_lo:[0,0,1] neg_hi:[0,0,1]
	v_pk_fma_f32 v[120:121], v[120:121], v[130:131], v[134:135] op_sel:[0,0,1] op_sel_hi:[1,0,0]
	v_mov_b32_e32 v137, v121
	v_pk_mul_f32 v[120:121], v[122:123], v[132:133] op_sel:[0,1]
	s_delay_alu instid0(VALU_DEP_1) | instskip(SKIP_1) | instid1(VALU_DEP_1)
	v_pk_fma_f32 v[132:133], v[122:123], v[130:131], v[120:121] op_sel:[0,0,1] op_sel_hi:[1,1,0] neg_lo:[0,0,1] neg_hi:[0,0,1]
	v_pk_fma_f32 v[120:121], v[122:123], v[130:131], v[120:121] op_sel:[0,0,1] op_sel_hi:[1,0,0]
	v_mov_b32_e32 v133, v121
	v_pk_add_f32 v[16:17], v[16:17], v[136:137] neg_lo:[0,1] neg_hi:[0,1]
	s_delay_alu instid0(VALU_DEP_2)
	v_pk_add_f32 v[118:119], v[118:119], v[132:133] neg_lo:[0,1] neg_hi:[0,1]
.LBB112_1028:
	s_or_b32 exec_lo, exec_lo, s0
	v_lshl_add_u32 v120, v128, 3, v124
	s_barrier_signal -1
	s_barrier_wait -1
	ds_store_b64 v120, v[10:11]
	s_wait_dscnt 0x0
	s_barrier_signal -1
	s_barrier_wait -1
	ds_load_b64 v[120:121], v124 offset:392
	v_mov_b32_e32 v122, 49
	s_cmp_lt_i32 s18, 51
	s_cbranch_scc1 .LBB112_1031
; %bb.1029:
	v_add3_u32 v123, v125, 0, 0x190
	v_mov_b32_e32 v122, 49
	s_mov_b32 s0, 50
.LBB112_1030:                           ; =>This Inner Loop Header: Depth=1
	ds_load_b64 v[130:131], v123
	s_wait_dscnt 0x1
	v_cmp_gt_f32_e32 vcc_lo, 0, v120
	v_cndmask_b32_e64 v132, v120, -v120, vcc_lo
	v_cmp_gt_f32_e32 vcc_lo, 0, v121
	v_cndmask_b32_e64 v134, v121, -v121, vcc_lo
	s_wait_dscnt 0x0
	v_cmp_gt_f32_e32 vcc_lo, 0, v130
	v_cndmask_b32_e64 v133, v130, -v130, vcc_lo
	v_cmp_gt_f32_e32 vcc_lo, 0, v131
	v_cndmask_b32_e64 v135, v131, -v131, vcc_lo
	s_delay_alu instid0(VALU_DEP_1) | instskip(NEXT) | instid1(VALU_DEP_1)
	v_pk_add_f32 v[132:133], v[132:133], v[134:135]
	v_cmp_lt_f32_e32 vcc_lo, v132, v133
	v_dual_cndmask_b32 v120, v120, v130 :: v_dual_add_nc_u32 v123, 8, v123
	v_cndmask_b32_e32 v121, v121, v131, vcc_lo
	v_cndmask_b32_e64 v122, v122, s0, vcc_lo
	s_add_co_i32 s0, s0, 1
	s_delay_alu instid0(SALU_CYCLE_1)
	s_cmp_lg_u32 s18, s0
	s_cbranch_scc1 .LBB112_1030
.LBB112_1031:
	s_wait_dscnt 0x0
	v_cmp_eq_f32_e32 vcc_lo, 0, v120
	v_cmp_eq_f32_e64 s0, 0, v121
	s_and_b32 s0, vcc_lo, s0
	s_delay_alu instid0(SALU_CYCLE_1) | instskip(NEXT) | instid1(SALU_CYCLE_1)
	s_and_saveexec_b32 s1, s0
	s_xor_b32 s0, exec_lo, s1
; %bb.1032:
	v_cmp_ne_u32_e32 vcc_lo, 0, v126
	v_cndmask_b32_e32 v126, 50, v126, vcc_lo
; %bb.1033:
	s_and_not1_saveexec_b32 s0, s0
	s_cbranch_execz .LBB112_1039
; %bb.1034:
	v_cmp_ngt_f32_e64 s1, |v120|, |v121|
	s_and_saveexec_b32 s12, s1
	s_delay_alu instid0(SALU_CYCLE_1)
	s_xor_b32 s1, exec_lo, s12
	s_cbranch_execz .LBB112_1036
; %bb.1035:
	v_div_scale_f32 v123, null, v121, v121, v120
	v_div_scale_f32 v131, vcc_lo, v120, v121, v120
	s_delay_alu instid0(VALU_DEP_2) | instskip(SKIP_1) | instid1(TRANS32_DEP_1)
	v_rcp_f32_e32 v129, v123
	v_nop
	v_fma_f32 v130, -v123, v129, 1.0
	s_delay_alu instid0(VALU_DEP_1) | instskip(NEXT) | instid1(VALU_DEP_1)
	v_fmac_f32_e32 v129, v130, v129
	v_mul_f32_e32 v130, v131, v129
	s_delay_alu instid0(VALU_DEP_1) | instskip(NEXT) | instid1(VALU_DEP_1)
	v_fma_f32 v132, -v123, v130, v131
	v_fmac_f32_e32 v130, v132, v129
	s_delay_alu instid0(VALU_DEP_1) | instskip(NEXT) | instid1(VALU_DEP_1)
	v_fma_f32 v123, -v123, v130, v131
	v_div_fmas_f32 v123, v123, v129, v130
	s_delay_alu instid0(VALU_DEP_1) | instskip(NEXT) | instid1(VALU_DEP_1)
	v_div_fixup_f32 v123, v123, v121, v120
	v_fmac_f32_e32 v121, v120, v123
	s_delay_alu instid0(VALU_DEP_1) | instskip(SKIP_1) | instid1(VALU_DEP_2)
	v_div_scale_f32 v120, null, v121, v121, 1.0
	v_div_scale_f32 v131, vcc_lo, 1.0, v121, 1.0
	v_rcp_f32_e32 v129, v120
	v_nop
	s_delay_alu instid0(TRANS32_DEP_1) | instskip(NEXT) | instid1(VALU_DEP_1)
	v_fma_f32 v130, -v120, v129, 1.0
	v_fmac_f32_e32 v129, v130, v129
	s_delay_alu instid0(VALU_DEP_1) | instskip(NEXT) | instid1(VALU_DEP_1)
	v_mul_f32_e32 v130, v131, v129
	v_fma_f32 v132, -v120, v130, v131
	s_delay_alu instid0(VALU_DEP_1) | instskip(NEXT) | instid1(VALU_DEP_1)
	v_fmac_f32_e32 v130, v132, v129
	v_fma_f32 v120, -v120, v130, v131
	s_delay_alu instid0(VALU_DEP_1) | instskip(NEXT) | instid1(VALU_DEP_1)
	v_div_fmas_f32 v120, v120, v129, v130
	v_div_fixup_f32 v121, v120, v121, 1.0
	s_delay_alu instid0(VALU_DEP_1)
	v_mul_f32_e32 v120, v123, v121
	v_xor_b32_e32 v121, 0x80000000, v121
.LBB112_1036:
	s_and_not1_saveexec_b32 s1, s1
	s_cbranch_execz .LBB112_1038
; %bb.1037:
	s_delay_alu instid0(VALU_DEP_1) | instskip(SKIP_1) | instid1(VALU_DEP_2)
	v_div_scale_f32 v123, null, v120, v120, v121
	v_div_scale_f32 v131, vcc_lo, v121, v120, v121
	v_rcp_f32_e32 v129, v123
	v_nop
	s_delay_alu instid0(TRANS32_DEP_1) | instskip(NEXT) | instid1(VALU_DEP_1)
	v_fma_f32 v130, -v123, v129, 1.0
	v_fmac_f32_e32 v129, v130, v129
	s_delay_alu instid0(VALU_DEP_1) | instskip(NEXT) | instid1(VALU_DEP_1)
	v_mul_f32_e32 v130, v131, v129
	v_fma_f32 v132, -v123, v130, v131
	s_delay_alu instid0(VALU_DEP_1) | instskip(NEXT) | instid1(VALU_DEP_1)
	v_fmac_f32_e32 v130, v132, v129
	v_fma_f32 v123, -v123, v130, v131
	s_delay_alu instid0(VALU_DEP_1) | instskip(NEXT) | instid1(VALU_DEP_1)
	v_div_fmas_f32 v123, v123, v129, v130
	v_div_fixup_f32 v123, v123, v120, v121
	s_delay_alu instid0(VALU_DEP_1) | instskip(NEXT) | instid1(VALU_DEP_1)
	v_fmac_f32_e32 v120, v121, v123
	v_div_scale_f32 v121, null, v120, v120, 1.0
	s_delay_alu instid0(VALU_DEP_1) | instskip(SKIP_1) | instid1(TRANS32_DEP_1)
	v_rcp_f32_e32 v129, v121
	v_nop
	v_fma_f32 v130, -v121, v129, 1.0
	s_delay_alu instid0(VALU_DEP_1) | instskip(SKIP_1) | instid1(VALU_DEP_1)
	v_fmac_f32_e32 v129, v130, v129
	v_div_scale_f32 v130, vcc_lo, 1.0, v120, 1.0
	v_mul_f32_e32 v131, v130, v129
	s_delay_alu instid0(VALU_DEP_1) | instskip(NEXT) | instid1(VALU_DEP_1)
	v_fma_f32 v132, -v121, v131, v130
	v_fmac_f32_e32 v131, v132, v129
	s_delay_alu instid0(VALU_DEP_1) | instskip(NEXT) | instid1(VALU_DEP_1)
	v_fma_f32 v121, -v121, v131, v130
	v_div_fmas_f32 v121, v121, v129, v131
	s_delay_alu instid0(VALU_DEP_1) | instskip(NEXT) | instid1(VALU_DEP_1)
	v_div_fixup_f32 v120, v121, v120, 1.0
	v_mul_f32_e64 v121, v123, -v120
.LBB112_1038:
	s_or_b32 exec_lo, exec_lo, s1
.LBB112_1039:
	s_delay_alu instid0(SALU_CYCLE_1) | instskip(NEXT) | instid1(SALU_CYCLE_1)
	s_or_b32 exec_lo, exec_lo, s0
	s_mov_b32 s0, exec_lo
	v_cmpx_ne_u32_e64 v128, v122
	s_xor_b32 s0, exec_lo, s0
	s_cbranch_execz .LBB112_1045
; %bb.1040:
	s_mov_b32 s1, exec_lo
	v_cmpx_eq_u32_e32 49, v128
	s_cbranch_execz .LBB112_1044
; %bb.1041:
	v_cmp_ne_u32_e32 vcc_lo, 49, v122
	s_xor_b32 s12, s16, -1
	s_delay_alu instid0(SALU_CYCLE_1) | instskip(NEXT) | instid1(SALU_CYCLE_1)
	s_and_b32 s13, s12, vcc_lo
	s_and_saveexec_b32 s12, s13
	s_cbranch_execz .LBB112_1043
; %bb.1042:
	v_ashrrev_i32_e32 v123, 31, v122
	s_delay_alu instid0(VALU_DEP_1)
	v_lshl_add_u64 v[128:129], v[122:123], 2, v[4:5]
	s_clause 0x1
	global_load_b32 v123, v[128:129], off
	global_load_b32 v127, v[4:5], off offset:196
	s_wait_loadcnt 0x1
	global_store_b32 v[4:5], v123, off offset:196
	s_wait_loadcnt 0x0
	global_store_b32 v[128:129], v127, off
.LBB112_1043:
	s_wait_xcnt 0x0
	s_or_b32 exec_lo, exec_lo, s12
	v_dual_mov_b32 v128, v122 :: v_dual_mov_b32 v127, v122
.LBB112_1044:
	s_or_b32 exec_lo, exec_lo, s1
.LBB112_1045:
	s_and_not1_saveexec_b32 s0, s0
	s_cbranch_execz .LBB112_1047
; %bb.1046:
	v_dual_mov_b32 v122, v12 :: v_dual_mov_b32 v123, v13
	v_dual_mov_b32 v130, v8 :: v_dual_mov_b32 v131, v9
	;; [unrolled: 1-line block ×6, first 2 shown]
	v_mov_b32_e32 v139, v17
	ds_store_2addr_b64 v124, v[122:123], v[130:131] offset0:50 offset1:51
	ds_store_2addr_b64 v124, v[132:133], v[134:135] offset0:52 offset1:53
	;; [unrolled: 1-line block ×3, first 2 shown]
	ds_store_b64 v124, v[118:119] offset:448
.LBB112_1047:
	s_or_b32 exec_lo, exec_lo, s0
	s_delay_alu instid0(SALU_CYCLE_1)
	s_mov_b32 s0, exec_lo
	s_wait_storecnt_dscnt 0x0
	s_barrier_signal -1
	s_barrier_wait -1
	v_cmpx_lt_i32_e32 49, v128
	s_cbranch_execz .LBB112_1049
; %bb.1048:
	v_pk_mul_f32 v[122:123], v[120:121], v[10:11] op_sel:[1,1] op_sel_hi:[0,1]
	s_delay_alu instid0(VALU_DEP_1)
	v_pk_fma_f32 v[130:131], v[120:121], v[10:11], v[122:123] op_sel_hi:[1,0,1] neg_lo:[0,0,1] neg_hi:[0,0,1]
	v_pk_fma_f32 v[132:133], v[120:121], v[10:11], v[122:123] op_sel_hi:[1,0,1]
	ds_load_2addr_b64 v[120:123], v124 offset0:50 offset1:51
	v_dual_mov_b32 v10, v130 :: v_dual_mov_b32 v11, v133
	s_wait_dscnt 0x0
	v_pk_mul_f32 v[134:135], v[120:121], v[132:133] op_sel:[0,1]
	s_delay_alu instid0(VALU_DEP_1) | instskip(SKIP_1) | instid1(VALU_DEP_1)
	v_pk_fma_f32 v[136:137], v[120:121], v[130:131], v[134:135] op_sel:[0,0,1] op_sel_hi:[1,1,0] neg_lo:[0,0,1] neg_hi:[0,0,1]
	v_pk_fma_f32 v[120:121], v[120:121], v[130:131], v[134:135] op_sel:[0,0,1] op_sel_hi:[1,0,0]
	v_mov_b32_e32 v137, v121
	v_pk_mul_f32 v[120:121], v[122:123], v[132:133] op_sel:[0,1]
	s_delay_alu instid0(VALU_DEP_1) | instskip(SKIP_1) | instid1(VALU_DEP_1)
	v_pk_fma_f32 v[134:135], v[122:123], v[130:131], v[120:121] op_sel:[0,0,1] op_sel_hi:[1,1,0] neg_lo:[0,0,1] neg_hi:[0,0,1]
	v_pk_fma_f32 v[120:121], v[122:123], v[130:131], v[120:121] op_sel:[0,0,1] op_sel_hi:[1,0,0]
	v_mov_b32_e32 v135, v121
	ds_load_2addr_b64 v[120:123], v124 offset0:52 offset1:53
	v_pk_add_f32 v[12:13], v[12:13], v[136:137] neg_lo:[0,1] neg_hi:[0,1]
	v_pk_add_f32 v[8:9], v[8:9], v[134:135] neg_lo:[0,1] neg_hi:[0,1]
	s_wait_dscnt 0x0
	v_pk_mul_f32 v[134:135], v[120:121], v[132:133] op_sel:[0,1]
	s_delay_alu instid0(VALU_DEP_1) | instskip(SKIP_2) | instid1(VALU_DEP_2)
	v_pk_fma_f32 v[136:137], v[120:121], v[130:131], v[134:135] op_sel:[0,0,1] op_sel_hi:[1,1,0] neg_lo:[0,0,1] neg_hi:[0,0,1]
	v_pk_fma_f32 v[120:121], v[120:121], v[130:131], v[134:135] op_sel:[0,0,1] op_sel_hi:[1,0,0]
	v_dual_mul_f32 v134, v123, v133 :: v_dual_mov_b32 v120, v123
	v_dual_mov_b32 v137, v121 :: v_dual_mov_b32 v121, v122
	s_delay_alu instid0(VALU_DEP_2) | instskip(SKIP_1) | instid1(VALU_DEP_3)
	v_pk_fma_f32 v[134:135], v[122:123], v[10:11], v[134:135] op_sel_hi:[1,1,0] neg_lo:[0,0,1] neg_hi:[0,0,1]
	v_mul_f32_e32 v122, v123, v130
	v_pk_add_f32 v[6:7], v[6:7], v[136:137] neg_lo:[0,1] neg_hi:[0,1]
	s_delay_alu instid0(VALU_DEP_2) | instskip(NEXT) | instid1(VALU_DEP_1)
	v_pk_fma_f32 v[120:121], v[120:121], v[10:11], v[122:123] op_sel_hi:[1,1,0]
	v_mov_b32_e32 v135, v121
	ds_load_2addr_b64 v[120:123], v124 offset0:54 offset1:55
	v_pk_add_f32 v[28:29], v[28:29], v[134:135] neg_lo:[0,1] neg_hi:[0,1]
	s_wait_dscnt 0x0
	v_pk_mul_f32 v[134:135], v[120:121], v[132:133] op_sel:[0,1]
	s_delay_alu instid0(VALU_DEP_1) | instskip(SKIP_1) | instid1(VALU_DEP_1)
	v_pk_fma_f32 v[136:137], v[120:121], v[130:131], v[134:135] op_sel:[0,0,1] op_sel_hi:[1,1,0] neg_lo:[0,0,1] neg_hi:[0,0,1]
	v_pk_fma_f32 v[120:121], v[120:121], v[130:131], v[134:135] op_sel:[0,0,1] op_sel_hi:[1,0,0]
	v_mov_b32_e32 v137, v121
	v_pk_mul_f32 v[120:121], v[122:123], v[132:133] op_sel:[0,1]
	s_delay_alu instid0(VALU_DEP_1) | instskip(SKIP_1) | instid1(VALU_DEP_1)
	v_pk_fma_f32 v[134:135], v[122:123], v[130:131], v[120:121] op_sel:[0,0,1] op_sel_hi:[1,1,0] neg_lo:[0,0,1] neg_hi:[0,0,1]
	v_pk_fma_f32 v[120:121], v[122:123], v[130:131], v[120:121] op_sel:[0,0,1] op_sel_hi:[1,0,0]
	v_mov_b32_e32 v135, v121
	ds_load_b64 v[120:121], v124 offset:448
	v_pk_add_f32 v[18:19], v[18:19], v[136:137] neg_lo:[0,1] neg_hi:[0,1]
	v_pk_add_f32 v[16:17], v[16:17], v[134:135] neg_lo:[0,1] neg_hi:[0,1]
	s_wait_dscnt 0x0
	v_pk_mul_f32 v[122:123], v[120:121], v[132:133] op_sel:[0,1]
	s_delay_alu instid0(VALU_DEP_1) | instskip(SKIP_1) | instid1(VALU_DEP_1)
	v_pk_fma_f32 v[132:133], v[120:121], v[130:131], v[122:123] op_sel:[0,0,1] op_sel_hi:[1,1,0] neg_lo:[0,0,1] neg_hi:[0,0,1]
	v_pk_fma_f32 v[120:121], v[120:121], v[130:131], v[122:123] op_sel:[0,0,1] op_sel_hi:[1,0,0]
	v_mov_b32_e32 v133, v121
	s_delay_alu instid0(VALU_DEP_1)
	v_pk_add_f32 v[118:119], v[118:119], v[132:133] neg_lo:[0,1] neg_hi:[0,1]
.LBB112_1049:
	s_or_b32 exec_lo, exec_lo, s0
	v_lshl_add_u32 v120, v128, 3, v124
	s_barrier_signal -1
	s_barrier_wait -1
	ds_store_b64 v120, v[12:13]
	s_wait_dscnt 0x0
	s_barrier_signal -1
	s_barrier_wait -1
	ds_load_b64 v[120:121], v124 offset:400
	v_mov_b32_e32 v122, 50
	s_cmp_lt_i32 s18, 52
	s_cbranch_scc1 .LBB112_1052
; %bb.1050:
	v_add3_u32 v123, v125, 0, 0x198
	v_mov_b32_e32 v122, 50
	s_mov_b32 s0, 51
.LBB112_1051:                           ; =>This Inner Loop Header: Depth=1
	ds_load_b64 v[130:131], v123
	s_wait_dscnt 0x1
	v_cmp_gt_f32_e32 vcc_lo, 0, v120
	v_cndmask_b32_e64 v132, v120, -v120, vcc_lo
	v_cmp_gt_f32_e32 vcc_lo, 0, v121
	v_cndmask_b32_e64 v134, v121, -v121, vcc_lo
	s_wait_dscnt 0x0
	v_cmp_gt_f32_e32 vcc_lo, 0, v130
	v_cndmask_b32_e64 v133, v130, -v130, vcc_lo
	v_cmp_gt_f32_e32 vcc_lo, 0, v131
	v_cndmask_b32_e64 v135, v131, -v131, vcc_lo
	s_delay_alu instid0(VALU_DEP_1) | instskip(NEXT) | instid1(VALU_DEP_1)
	v_pk_add_f32 v[132:133], v[132:133], v[134:135]
	v_cmp_lt_f32_e32 vcc_lo, v132, v133
	v_dual_cndmask_b32 v120, v120, v130 :: v_dual_add_nc_u32 v123, 8, v123
	v_cndmask_b32_e32 v121, v121, v131, vcc_lo
	v_cndmask_b32_e64 v122, v122, s0, vcc_lo
	s_add_co_i32 s0, s0, 1
	s_delay_alu instid0(SALU_CYCLE_1)
	s_cmp_lg_u32 s18, s0
	s_cbranch_scc1 .LBB112_1051
.LBB112_1052:
	s_wait_dscnt 0x0
	v_cmp_eq_f32_e32 vcc_lo, 0, v120
	v_cmp_eq_f32_e64 s0, 0, v121
	s_and_b32 s0, vcc_lo, s0
	s_delay_alu instid0(SALU_CYCLE_1) | instskip(NEXT) | instid1(SALU_CYCLE_1)
	s_and_saveexec_b32 s1, s0
	s_xor_b32 s0, exec_lo, s1
; %bb.1053:
	v_cmp_ne_u32_e32 vcc_lo, 0, v126
	v_cndmask_b32_e32 v126, 51, v126, vcc_lo
; %bb.1054:
	s_and_not1_saveexec_b32 s0, s0
	s_cbranch_execz .LBB112_1060
; %bb.1055:
	v_cmp_ngt_f32_e64 s1, |v120|, |v121|
	s_and_saveexec_b32 s12, s1
	s_delay_alu instid0(SALU_CYCLE_1)
	s_xor_b32 s1, exec_lo, s12
	s_cbranch_execz .LBB112_1057
; %bb.1056:
	v_div_scale_f32 v123, null, v121, v121, v120
	v_div_scale_f32 v131, vcc_lo, v120, v121, v120
	s_delay_alu instid0(VALU_DEP_2) | instskip(SKIP_1) | instid1(TRANS32_DEP_1)
	v_rcp_f32_e32 v129, v123
	v_nop
	v_fma_f32 v130, -v123, v129, 1.0
	s_delay_alu instid0(VALU_DEP_1) | instskip(NEXT) | instid1(VALU_DEP_1)
	v_fmac_f32_e32 v129, v130, v129
	v_mul_f32_e32 v130, v131, v129
	s_delay_alu instid0(VALU_DEP_1) | instskip(NEXT) | instid1(VALU_DEP_1)
	v_fma_f32 v132, -v123, v130, v131
	v_fmac_f32_e32 v130, v132, v129
	s_delay_alu instid0(VALU_DEP_1) | instskip(NEXT) | instid1(VALU_DEP_1)
	v_fma_f32 v123, -v123, v130, v131
	v_div_fmas_f32 v123, v123, v129, v130
	s_delay_alu instid0(VALU_DEP_1) | instskip(NEXT) | instid1(VALU_DEP_1)
	v_div_fixup_f32 v123, v123, v121, v120
	v_fmac_f32_e32 v121, v120, v123
	s_delay_alu instid0(VALU_DEP_1) | instskip(SKIP_1) | instid1(VALU_DEP_2)
	v_div_scale_f32 v120, null, v121, v121, 1.0
	v_div_scale_f32 v131, vcc_lo, 1.0, v121, 1.0
	v_rcp_f32_e32 v129, v120
	v_nop
	s_delay_alu instid0(TRANS32_DEP_1) | instskip(NEXT) | instid1(VALU_DEP_1)
	v_fma_f32 v130, -v120, v129, 1.0
	v_fmac_f32_e32 v129, v130, v129
	s_delay_alu instid0(VALU_DEP_1) | instskip(NEXT) | instid1(VALU_DEP_1)
	v_mul_f32_e32 v130, v131, v129
	v_fma_f32 v132, -v120, v130, v131
	s_delay_alu instid0(VALU_DEP_1) | instskip(NEXT) | instid1(VALU_DEP_1)
	v_fmac_f32_e32 v130, v132, v129
	v_fma_f32 v120, -v120, v130, v131
	s_delay_alu instid0(VALU_DEP_1) | instskip(NEXT) | instid1(VALU_DEP_1)
	v_div_fmas_f32 v120, v120, v129, v130
	v_div_fixup_f32 v121, v120, v121, 1.0
	s_delay_alu instid0(VALU_DEP_1)
	v_mul_f32_e32 v120, v123, v121
	v_xor_b32_e32 v121, 0x80000000, v121
.LBB112_1057:
	s_and_not1_saveexec_b32 s1, s1
	s_cbranch_execz .LBB112_1059
; %bb.1058:
	s_delay_alu instid0(VALU_DEP_1) | instskip(SKIP_1) | instid1(VALU_DEP_2)
	v_div_scale_f32 v123, null, v120, v120, v121
	v_div_scale_f32 v131, vcc_lo, v121, v120, v121
	v_rcp_f32_e32 v129, v123
	v_nop
	s_delay_alu instid0(TRANS32_DEP_1) | instskip(NEXT) | instid1(VALU_DEP_1)
	v_fma_f32 v130, -v123, v129, 1.0
	v_fmac_f32_e32 v129, v130, v129
	s_delay_alu instid0(VALU_DEP_1) | instskip(NEXT) | instid1(VALU_DEP_1)
	v_mul_f32_e32 v130, v131, v129
	v_fma_f32 v132, -v123, v130, v131
	s_delay_alu instid0(VALU_DEP_1) | instskip(NEXT) | instid1(VALU_DEP_1)
	v_fmac_f32_e32 v130, v132, v129
	v_fma_f32 v123, -v123, v130, v131
	s_delay_alu instid0(VALU_DEP_1) | instskip(NEXT) | instid1(VALU_DEP_1)
	v_div_fmas_f32 v123, v123, v129, v130
	v_div_fixup_f32 v123, v123, v120, v121
	s_delay_alu instid0(VALU_DEP_1) | instskip(NEXT) | instid1(VALU_DEP_1)
	v_fmac_f32_e32 v120, v121, v123
	v_div_scale_f32 v121, null, v120, v120, 1.0
	s_delay_alu instid0(VALU_DEP_1) | instskip(SKIP_1) | instid1(TRANS32_DEP_1)
	v_rcp_f32_e32 v129, v121
	v_nop
	v_fma_f32 v130, -v121, v129, 1.0
	s_delay_alu instid0(VALU_DEP_1) | instskip(SKIP_1) | instid1(VALU_DEP_1)
	v_fmac_f32_e32 v129, v130, v129
	v_div_scale_f32 v130, vcc_lo, 1.0, v120, 1.0
	v_mul_f32_e32 v131, v130, v129
	s_delay_alu instid0(VALU_DEP_1) | instskip(NEXT) | instid1(VALU_DEP_1)
	v_fma_f32 v132, -v121, v131, v130
	v_fmac_f32_e32 v131, v132, v129
	s_delay_alu instid0(VALU_DEP_1) | instskip(NEXT) | instid1(VALU_DEP_1)
	v_fma_f32 v121, -v121, v131, v130
	v_div_fmas_f32 v121, v121, v129, v131
	s_delay_alu instid0(VALU_DEP_1) | instskip(NEXT) | instid1(VALU_DEP_1)
	v_div_fixup_f32 v120, v121, v120, 1.0
	v_mul_f32_e64 v121, v123, -v120
.LBB112_1059:
	s_or_b32 exec_lo, exec_lo, s1
.LBB112_1060:
	s_delay_alu instid0(SALU_CYCLE_1) | instskip(NEXT) | instid1(SALU_CYCLE_1)
	s_or_b32 exec_lo, exec_lo, s0
	s_mov_b32 s0, exec_lo
	v_cmpx_ne_u32_e64 v128, v122
	s_xor_b32 s0, exec_lo, s0
	s_cbranch_execz .LBB112_1066
; %bb.1061:
	s_mov_b32 s1, exec_lo
	v_cmpx_eq_u32_e32 50, v128
	s_cbranch_execz .LBB112_1065
; %bb.1062:
	v_cmp_ne_u32_e32 vcc_lo, 50, v122
	s_xor_b32 s12, s16, -1
	s_delay_alu instid0(SALU_CYCLE_1) | instskip(NEXT) | instid1(SALU_CYCLE_1)
	s_and_b32 s13, s12, vcc_lo
	s_and_saveexec_b32 s12, s13
	s_cbranch_execz .LBB112_1064
; %bb.1063:
	v_ashrrev_i32_e32 v123, 31, v122
	s_delay_alu instid0(VALU_DEP_1)
	v_lshl_add_u64 v[128:129], v[122:123], 2, v[4:5]
	s_clause 0x1
	global_load_b32 v123, v[128:129], off
	global_load_b32 v127, v[4:5], off offset:200
	s_wait_loadcnt 0x1
	global_store_b32 v[4:5], v123, off offset:200
	s_wait_loadcnt 0x0
	global_store_b32 v[128:129], v127, off
.LBB112_1064:
	s_wait_xcnt 0x0
	s_or_b32 exec_lo, exec_lo, s12
	v_dual_mov_b32 v128, v122 :: v_dual_mov_b32 v127, v122
.LBB112_1065:
	s_or_b32 exec_lo, exec_lo, s1
.LBB112_1066:
	s_and_not1_saveexec_b32 s0, s0
	s_cbranch_execz .LBB112_1068
; %bb.1067:
	v_mov_b32_e32 v128, 50
	ds_store_2addr_b64 v124, v[8:9], v[6:7] offset0:51 offset1:52
	ds_store_2addr_b64 v124, v[28:29], v[18:19] offset0:53 offset1:54
	;; [unrolled: 1-line block ×3, first 2 shown]
.LBB112_1068:
	s_or_b32 exec_lo, exec_lo, s0
	s_delay_alu instid0(SALU_CYCLE_1)
	s_mov_b32 s0, exec_lo
	s_wait_storecnt_dscnt 0x0
	s_barrier_signal -1
	s_barrier_wait -1
	v_cmpx_lt_i32_e32 50, v128
	s_cbranch_execz .LBB112_1070
; %bb.1069:
	v_pk_mul_f32 v[122:123], v[120:121], v[12:13] op_sel:[1,1] op_sel_hi:[0,1]
	s_delay_alu instid0(VALU_DEP_1)
	v_pk_fma_f32 v[130:131], v[120:121], v[12:13], v[122:123] op_sel_hi:[1,0,1] neg_lo:[0,0,1] neg_hi:[0,0,1]
	v_pk_fma_f32 v[132:133], v[120:121], v[12:13], v[122:123] op_sel_hi:[1,0,1]
	ds_load_2addr_b64 v[120:123], v124 offset0:51 offset1:52
	v_dual_mov_b32 v12, v130 :: v_dual_mov_b32 v13, v133
	s_wait_dscnt 0x0
	v_pk_mul_f32 v[134:135], v[120:121], v[132:133] op_sel:[0,1]
	s_delay_alu instid0(VALU_DEP_1) | instskip(SKIP_1) | instid1(VALU_DEP_1)
	v_pk_fma_f32 v[136:137], v[120:121], v[130:131], v[134:135] op_sel:[0,0,1] op_sel_hi:[1,1,0] neg_lo:[0,0,1] neg_hi:[0,0,1]
	v_pk_fma_f32 v[120:121], v[120:121], v[130:131], v[134:135] op_sel:[0,0,1] op_sel_hi:[1,0,0]
	v_mov_b32_e32 v137, v121
	v_pk_mul_f32 v[120:121], v[122:123], v[132:133] op_sel:[0,1]
	s_delay_alu instid0(VALU_DEP_1) | instskip(SKIP_1) | instid1(VALU_DEP_1)
	v_pk_fma_f32 v[134:135], v[122:123], v[130:131], v[120:121] op_sel:[0,0,1] op_sel_hi:[1,1,0] neg_lo:[0,0,1] neg_hi:[0,0,1]
	v_pk_fma_f32 v[120:121], v[122:123], v[130:131], v[120:121] op_sel:[0,0,1] op_sel_hi:[1,0,0]
	v_mov_b32_e32 v135, v121
	ds_load_2addr_b64 v[120:123], v124 offset0:53 offset1:54
	v_pk_add_f32 v[8:9], v[8:9], v[136:137] neg_lo:[0,1] neg_hi:[0,1]
	v_pk_add_f32 v[6:7], v[6:7], v[134:135] neg_lo:[0,1] neg_hi:[0,1]
	s_wait_dscnt 0x0
	v_pk_mul_f32 v[134:135], v[120:121], v[132:133] op_sel:[0,1]
	s_delay_alu instid0(VALU_DEP_1) | instskip(SKIP_2) | instid1(VALU_DEP_2)
	v_pk_fma_f32 v[136:137], v[120:121], v[130:131], v[134:135] op_sel:[0,0,1] op_sel_hi:[1,1,0] neg_lo:[0,0,1] neg_hi:[0,0,1]
	v_pk_fma_f32 v[120:121], v[120:121], v[130:131], v[134:135] op_sel:[0,0,1] op_sel_hi:[1,0,0]
	v_dual_mul_f32 v134, v123, v133 :: v_dual_mov_b32 v120, v123
	v_dual_mov_b32 v137, v121 :: v_dual_mov_b32 v121, v122
	s_delay_alu instid0(VALU_DEP_2) | instskip(SKIP_1) | instid1(VALU_DEP_3)
	v_pk_fma_f32 v[134:135], v[122:123], v[12:13], v[134:135] op_sel_hi:[1,1,0] neg_lo:[0,0,1] neg_hi:[0,0,1]
	v_mul_f32_e32 v122, v123, v130
	v_pk_add_f32 v[28:29], v[28:29], v[136:137] neg_lo:[0,1] neg_hi:[0,1]
	s_delay_alu instid0(VALU_DEP_2) | instskip(NEXT) | instid1(VALU_DEP_1)
	v_pk_fma_f32 v[120:121], v[120:121], v[12:13], v[122:123] op_sel_hi:[1,1,0]
	v_mov_b32_e32 v135, v121
	ds_load_2addr_b64 v[120:123], v124 offset0:55 offset1:56
	v_pk_add_f32 v[18:19], v[18:19], v[134:135] neg_lo:[0,1] neg_hi:[0,1]
	s_wait_dscnt 0x0
	v_pk_mul_f32 v[134:135], v[120:121], v[132:133] op_sel:[0,1]
	v_mul_f32_e32 v132, v123, v133
	s_delay_alu instid0(VALU_DEP_2) | instskip(SKIP_2) | instid1(VALU_DEP_4)
	v_pk_fma_f32 v[136:137], v[120:121], v[130:131], v[134:135] op_sel:[0,0,1] op_sel_hi:[1,1,0] neg_lo:[0,0,1] neg_hi:[0,0,1]
	v_pk_fma_f32 v[120:121], v[120:121], v[130:131], v[134:135] op_sel:[0,0,1] op_sel_hi:[1,0,0]
	v_mov_b32_e32 v120, v123
	v_pk_fma_f32 v[132:133], v[122:123], v[12:13], v[132:133] op_sel_hi:[1,1,0] neg_lo:[0,0,1] neg_hi:[0,0,1]
	s_delay_alu instid0(VALU_DEP_3) | instskip(SKIP_1) | instid1(VALU_DEP_2)
	v_dual_mov_b32 v137, v121 :: v_dual_mov_b32 v121, v122
	v_mul_f32_e32 v122, v123, v130
	v_pk_add_f32 v[16:17], v[16:17], v[136:137] neg_lo:[0,1] neg_hi:[0,1]
	s_delay_alu instid0(VALU_DEP_2) | instskip(NEXT) | instid1(VALU_DEP_1)
	v_pk_fma_f32 v[120:121], v[120:121], v[12:13], v[122:123] op_sel_hi:[1,1,0]
	v_mov_b32_e32 v133, v121
	s_delay_alu instid0(VALU_DEP_1)
	v_pk_add_f32 v[118:119], v[118:119], v[132:133] neg_lo:[0,1] neg_hi:[0,1]
.LBB112_1070:
	s_or_b32 exec_lo, exec_lo, s0
	v_lshl_add_u32 v120, v128, 3, v124
	s_barrier_signal -1
	s_barrier_wait -1
	ds_store_b64 v120, v[8:9]
	s_wait_dscnt 0x0
	s_barrier_signal -1
	s_barrier_wait -1
	ds_load_b64 v[120:121], v124 offset:408
	v_mov_b32_e32 v122, 51
	s_cmp_lt_i32 s18, 53
	s_cbranch_scc1 .LBB112_1073
; %bb.1071:
	v_add3_u32 v123, v125, 0, 0x1a0
	v_mov_b32_e32 v122, 51
	s_mov_b32 s0, 52
.LBB112_1072:                           ; =>This Inner Loop Header: Depth=1
	ds_load_b64 v[130:131], v123
	s_wait_dscnt 0x1
	v_cmp_gt_f32_e32 vcc_lo, 0, v120
	v_cndmask_b32_e64 v132, v120, -v120, vcc_lo
	v_cmp_gt_f32_e32 vcc_lo, 0, v121
	v_cndmask_b32_e64 v134, v121, -v121, vcc_lo
	s_wait_dscnt 0x0
	v_cmp_gt_f32_e32 vcc_lo, 0, v130
	v_cndmask_b32_e64 v133, v130, -v130, vcc_lo
	v_cmp_gt_f32_e32 vcc_lo, 0, v131
	v_cndmask_b32_e64 v135, v131, -v131, vcc_lo
	s_delay_alu instid0(VALU_DEP_1) | instskip(NEXT) | instid1(VALU_DEP_1)
	v_pk_add_f32 v[132:133], v[132:133], v[134:135]
	v_cmp_lt_f32_e32 vcc_lo, v132, v133
	v_dual_cndmask_b32 v120, v120, v130 :: v_dual_add_nc_u32 v123, 8, v123
	v_cndmask_b32_e32 v121, v121, v131, vcc_lo
	v_cndmask_b32_e64 v122, v122, s0, vcc_lo
	s_add_co_i32 s0, s0, 1
	s_delay_alu instid0(SALU_CYCLE_1)
	s_cmp_lg_u32 s18, s0
	s_cbranch_scc1 .LBB112_1072
.LBB112_1073:
	s_wait_dscnt 0x0
	v_cmp_eq_f32_e32 vcc_lo, 0, v120
	v_cmp_eq_f32_e64 s0, 0, v121
	s_and_b32 s0, vcc_lo, s0
	s_delay_alu instid0(SALU_CYCLE_1) | instskip(NEXT) | instid1(SALU_CYCLE_1)
	s_and_saveexec_b32 s1, s0
	s_xor_b32 s0, exec_lo, s1
; %bb.1074:
	v_cmp_ne_u32_e32 vcc_lo, 0, v126
	v_cndmask_b32_e32 v126, 52, v126, vcc_lo
; %bb.1075:
	s_and_not1_saveexec_b32 s0, s0
	s_cbranch_execz .LBB112_1081
; %bb.1076:
	v_cmp_ngt_f32_e64 s1, |v120|, |v121|
	s_and_saveexec_b32 s12, s1
	s_delay_alu instid0(SALU_CYCLE_1)
	s_xor_b32 s1, exec_lo, s12
	s_cbranch_execz .LBB112_1078
; %bb.1077:
	v_div_scale_f32 v123, null, v121, v121, v120
	v_div_scale_f32 v131, vcc_lo, v120, v121, v120
	s_delay_alu instid0(VALU_DEP_2) | instskip(SKIP_1) | instid1(TRANS32_DEP_1)
	v_rcp_f32_e32 v129, v123
	v_nop
	v_fma_f32 v130, -v123, v129, 1.0
	s_delay_alu instid0(VALU_DEP_1) | instskip(NEXT) | instid1(VALU_DEP_1)
	v_fmac_f32_e32 v129, v130, v129
	v_mul_f32_e32 v130, v131, v129
	s_delay_alu instid0(VALU_DEP_1) | instskip(NEXT) | instid1(VALU_DEP_1)
	v_fma_f32 v132, -v123, v130, v131
	v_fmac_f32_e32 v130, v132, v129
	s_delay_alu instid0(VALU_DEP_1) | instskip(NEXT) | instid1(VALU_DEP_1)
	v_fma_f32 v123, -v123, v130, v131
	v_div_fmas_f32 v123, v123, v129, v130
	s_delay_alu instid0(VALU_DEP_1) | instskip(NEXT) | instid1(VALU_DEP_1)
	v_div_fixup_f32 v123, v123, v121, v120
	v_fmac_f32_e32 v121, v120, v123
	s_delay_alu instid0(VALU_DEP_1) | instskip(SKIP_1) | instid1(VALU_DEP_2)
	v_div_scale_f32 v120, null, v121, v121, 1.0
	v_div_scale_f32 v131, vcc_lo, 1.0, v121, 1.0
	v_rcp_f32_e32 v129, v120
	v_nop
	s_delay_alu instid0(TRANS32_DEP_1) | instskip(NEXT) | instid1(VALU_DEP_1)
	v_fma_f32 v130, -v120, v129, 1.0
	v_fmac_f32_e32 v129, v130, v129
	s_delay_alu instid0(VALU_DEP_1) | instskip(NEXT) | instid1(VALU_DEP_1)
	v_mul_f32_e32 v130, v131, v129
	v_fma_f32 v132, -v120, v130, v131
	s_delay_alu instid0(VALU_DEP_1) | instskip(NEXT) | instid1(VALU_DEP_1)
	v_fmac_f32_e32 v130, v132, v129
	v_fma_f32 v120, -v120, v130, v131
	s_delay_alu instid0(VALU_DEP_1) | instskip(NEXT) | instid1(VALU_DEP_1)
	v_div_fmas_f32 v120, v120, v129, v130
	v_div_fixup_f32 v121, v120, v121, 1.0
	s_delay_alu instid0(VALU_DEP_1)
	v_mul_f32_e32 v120, v123, v121
	v_xor_b32_e32 v121, 0x80000000, v121
.LBB112_1078:
	s_and_not1_saveexec_b32 s1, s1
	s_cbranch_execz .LBB112_1080
; %bb.1079:
	s_delay_alu instid0(VALU_DEP_1) | instskip(SKIP_1) | instid1(VALU_DEP_2)
	v_div_scale_f32 v123, null, v120, v120, v121
	v_div_scale_f32 v131, vcc_lo, v121, v120, v121
	v_rcp_f32_e32 v129, v123
	v_nop
	s_delay_alu instid0(TRANS32_DEP_1) | instskip(NEXT) | instid1(VALU_DEP_1)
	v_fma_f32 v130, -v123, v129, 1.0
	v_fmac_f32_e32 v129, v130, v129
	s_delay_alu instid0(VALU_DEP_1) | instskip(NEXT) | instid1(VALU_DEP_1)
	v_mul_f32_e32 v130, v131, v129
	v_fma_f32 v132, -v123, v130, v131
	s_delay_alu instid0(VALU_DEP_1) | instskip(NEXT) | instid1(VALU_DEP_1)
	v_fmac_f32_e32 v130, v132, v129
	v_fma_f32 v123, -v123, v130, v131
	s_delay_alu instid0(VALU_DEP_1) | instskip(NEXT) | instid1(VALU_DEP_1)
	v_div_fmas_f32 v123, v123, v129, v130
	v_div_fixup_f32 v123, v123, v120, v121
	s_delay_alu instid0(VALU_DEP_1) | instskip(NEXT) | instid1(VALU_DEP_1)
	v_fmac_f32_e32 v120, v121, v123
	v_div_scale_f32 v121, null, v120, v120, 1.0
	s_delay_alu instid0(VALU_DEP_1) | instskip(SKIP_1) | instid1(TRANS32_DEP_1)
	v_rcp_f32_e32 v129, v121
	v_nop
	v_fma_f32 v130, -v121, v129, 1.0
	s_delay_alu instid0(VALU_DEP_1) | instskip(SKIP_1) | instid1(VALU_DEP_1)
	v_fmac_f32_e32 v129, v130, v129
	v_div_scale_f32 v130, vcc_lo, 1.0, v120, 1.0
	v_mul_f32_e32 v131, v130, v129
	s_delay_alu instid0(VALU_DEP_1) | instskip(NEXT) | instid1(VALU_DEP_1)
	v_fma_f32 v132, -v121, v131, v130
	v_fmac_f32_e32 v131, v132, v129
	s_delay_alu instid0(VALU_DEP_1) | instskip(NEXT) | instid1(VALU_DEP_1)
	v_fma_f32 v121, -v121, v131, v130
	v_div_fmas_f32 v121, v121, v129, v131
	s_delay_alu instid0(VALU_DEP_1) | instskip(NEXT) | instid1(VALU_DEP_1)
	v_div_fixup_f32 v120, v121, v120, 1.0
	v_mul_f32_e64 v121, v123, -v120
.LBB112_1080:
	s_or_b32 exec_lo, exec_lo, s1
.LBB112_1081:
	s_delay_alu instid0(SALU_CYCLE_1) | instskip(NEXT) | instid1(SALU_CYCLE_1)
	s_or_b32 exec_lo, exec_lo, s0
	s_mov_b32 s0, exec_lo
	v_cmpx_ne_u32_e64 v128, v122
	s_xor_b32 s0, exec_lo, s0
	s_cbranch_execz .LBB112_1087
; %bb.1082:
	s_mov_b32 s1, exec_lo
	v_cmpx_eq_u32_e32 51, v128
	s_cbranch_execz .LBB112_1086
; %bb.1083:
	v_cmp_ne_u32_e32 vcc_lo, 51, v122
	s_xor_b32 s12, s16, -1
	s_delay_alu instid0(SALU_CYCLE_1) | instskip(NEXT) | instid1(SALU_CYCLE_1)
	s_and_b32 s13, s12, vcc_lo
	s_and_saveexec_b32 s12, s13
	s_cbranch_execz .LBB112_1085
; %bb.1084:
	v_ashrrev_i32_e32 v123, 31, v122
	s_delay_alu instid0(VALU_DEP_1)
	v_lshl_add_u64 v[128:129], v[122:123], 2, v[4:5]
	s_clause 0x1
	global_load_b32 v123, v[128:129], off
	global_load_b32 v127, v[4:5], off offset:204
	s_wait_loadcnt 0x1
	global_store_b32 v[4:5], v123, off offset:204
	s_wait_loadcnt 0x0
	global_store_b32 v[128:129], v127, off
.LBB112_1085:
	s_wait_xcnt 0x0
	s_or_b32 exec_lo, exec_lo, s12
	v_dual_mov_b32 v128, v122 :: v_dual_mov_b32 v127, v122
.LBB112_1086:
	s_or_b32 exec_lo, exec_lo, s1
.LBB112_1087:
	s_and_not1_saveexec_b32 s0, s0
	s_cbranch_execz .LBB112_1089
; %bb.1088:
	v_dual_mov_b32 v122, v6 :: v_dual_mov_b32 v123, v7
	v_dual_mov_b32 v130, v28 :: v_dual_mov_b32 v131, v29
	;; [unrolled: 1-line block ×4, first 2 shown]
	v_mov_b32_e32 v135, v17
	ds_store_2addr_b64 v124, v[122:123], v[130:131] offset0:52 offset1:53
	ds_store_2addr_b64 v124, v[132:133], v[134:135] offset0:54 offset1:55
	ds_store_b64 v124, v[118:119] offset:448
.LBB112_1089:
	s_or_b32 exec_lo, exec_lo, s0
	s_delay_alu instid0(SALU_CYCLE_1)
	s_mov_b32 s0, exec_lo
	s_wait_storecnt_dscnt 0x0
	s_barrier_signal -1
	s_barrier_wait -1
	v_cmpx_lt_i32_e32 51, v128
	s_cbranch_execz .LBB112_1091
; %bb.1090:
	v_pk_mul_f32 v[122:123], v[120:121], v[8:9] op_sel:[1,1] op_sel_hi:[0,1]
	s_delay_alu instid0(VALU_DEP_1)
	v_pk_fma_f32 v[130:131], v[120:121], v[8:9], v[122:123] op_sel_hi:[1,0,1] neg_lo:[0,0,1] neg_hi:[0,0,1]
	v_pk_fma_f32 v[132:133], v[120:121], v[8:9], v[122:123] op_sel_hi:[1,0,1]
	ds_load_2addr_b64 v[120:123], v124 offset0:52 offset1:53
	v_dual_mov_b32 v8, v130 :: v_dual_mov_b32 v9, v133
	s_wait_dscnt 0x0
	v_pk_mul_f32 v[134:135], v[120:121], v[132:133] op_sel:[0,1]
	s_delay_alu instid0(VALU_DEP_1) | instskip(SKIP_1) | instid1(VALU_DEP_1)
	v_pk_fma_f32 v[136:137], v[120:121], v[130:131], v[134:135] op_sel:[0,0,1] op_sel_hi:[1,1,0] neg_lo:[0,0,1] neg_hi:[0,0,1]
	v_pk_fma_f32 v[120:121], v[120:121], v[130:131], v[134:135] op_sel:[0,0,1] op_sel_hi:[1,0,0]
	v_mov_b32_e32 v137, v121
	v_pk_mul_f32 v[120:121], v[122:123], v[132:133] op_sel:[0,1]
	s_delay_alu instid0(VALU_DEP_1) | instskip(SKIP_1) | instid1(VALU_DEP_1)
	v_pk_fma_f32 v[134:135], v[122:123], v[130:131], v[120:121] op_sel:[0,0,1] op_sel_hi:[1,1,0] neg_lo:[0,0,1] neg_hi:[0,0,1]
	v_pk_fma_f32 v[120:121], v[122:123], v[130:131], v[120:121] op_sel:[0,0,1] op_sel_hi:[1,0,0]
	v_mov_b32_e32 v135, v121
	ds_load_2addr_b64 v[120:123], v124 offset0:54 offset1:55
	v_pk_add_f32 v[6:7], v[6:7], v[136:137] neg_lo:[0,1] neg_hi:[0,1]
	v_pk_add_f32 v[28:29], v[28:29], v[134:135] neg_lo:[0,1] neg_hi:[0,1]
	s_wait_dscnt 0x0
	v_pk_mul_f32 v[134:135], v[120:121], v[132:133] op_sel:[0,1]
	s_delay_alu instid0(VALU_DEP_1) | instskip(SKIP_2) | instid1(VALU_DEP_2)
	v_pk_fma_f32 v[136:137], v[120:121], v[130:131], v[134:135] op_sel:[0,0,1] op_sel_hi:[1,1,0] neg_lo:[0,0,1] neg_hi:[0,0,1]
	v_pk_fma_f32 v[120:121], v[120:121], v[130:131], v[134:135] op_sel:[0,0,1] op_sel_hi:[1,0,0]
	v_dual_mul_f32 v134, v123, v133 :: v_dual_mov_b32 v120, v123
	v_dual_mov_b32 v137, v121 :: v_dual_mov_b32 v121, v122
	s_delay_alu instid0(VALU_DEP_2) | instskip(SKIP_1) | instid1(VALU_DEP_3)
	v_pk_fma_f32 v[134:135], v[122:123], v[8:9], v[134:135] op_sel_hi:[1,1,0] neg_lo:[0,0,1] neg_hi:[0,0,1]
	v_mul_f32_e32 v122, v123, v130
	v_pk_add_f32 v[18:19], v[18:19], v[136:137] neg_lo:[0,1] neg_hi:[0,1]
	s_delay_alu instid0(VALU_DEP_2) | instskip(NEXT) | instid1(VALU_DEP_1)
	v_pk_fma_f32 v[120:121], v[120:121], v[8:9], v[122:123] op_sel_hi:[1,1,0]
	v_mov_b32_e32 v135, v121
	ds_load_b64 v[120:121], v124 offset:448
	v_pk_add_f32 v[16:17], v[16:17], v[134:135] neg_lo:[0,1] neg_hi:[0,1]
	s_wait_dscnt 0x0
	v_pk_mul_f32 v[122:123], v[120:121], v[132:133] op_sel:[0,1]
	s_delay_alu instid0(VALU_DEP_1) | instskip(SKIP_1) | instid1(VALU_DEP_1)
	v_pk_fma_f32 v[132:133], v[120:121], v[130:131], v[122:123] op_sel:[0,0,1] op_sel_hi:[1,1,0] neg_lo:[0,0,1] neg_hi:[0,0,1]
	v_pk_fma_f32 v[120:121], v[120:121], v[130:131], v[122:123] op_sel:[0,0,1] op_sel_hi:[1,0,0]
	v_mov_b32_e32 v133, v121
	s_delay_alu instid0(VALU_DEP_1)
	v_pk_add_f32 v[118:119], v[118:119], v[132:133] neg_lo:[0,1] neg_hi:[0,1]
.LBB112_1091:
	s_or_b32 exec_lo, exec_lo, s0
	v_lshl_add_u32 v120, v128, 3, v124
	s_barrier_signal -1
	s_barrier_wait -1
	ds_store_b64 v120, v[6:7]
	s_wait_dscnt 0x0
	s_barrier_signal -1
	s_barrier_wait -1
	ds_load_b64 v[120:121], v124 offset:416
	v_mov_b32_e32 v122, 52
	s_cmp_lt_i32 s18, 54
	s_cbranch_scc1 .LBB112_1094
; %bb.1092:
	v_add3_u32 v123, v125, 0, 0x1a8
	v_mov_b32_e32 v122, 52
	s_mov_b32 s0, 53
.LBB112_1093:                           ; =>This Inner Loop Header: Depth=1
	ds_load_b64 v[130:131], v123
	s_wait_dscnt 0x1
	v_cmp_gt_f32_e32 vcc_lo, 0, v120
	v_cndmask_b32_e64 v132, v120, -v120, vcc_lo
	v_cmp_gt_f32_e32 vcc_lo, 0, v121
	v_cndmask_b32_e64 v134, v121, -v121, vcc_lo
	s_wait_dscnt 0x0
	v_cmp_gt_f32_e32 vcc_lo, 0, v130
	v_cndmask_b32_e64 v133, v130, -v130, vcc_lo
	v_cmp_gt_f32_e32 vcc_lo, 0, v131
	v_cndmask_b32_e64 v135, v131, -v131, vcc_lo
	s_delay_alu instid0(VALU_DEP_1) | instskip(NEXT) | instid1(VALU_DEP_1)
	v_pk_add_f32 v[132:133], v[132:133], v[134:135]
	v_cmp_lt_f32_e32 vcc_lo, v132, v133
	v_dual_cndmask_b32 v120, v120, v130 :: v_dual_add_nc_u32 v123, 8, v123
	v_cndmask_b32_e32 v121, v121, v131, vcc_lo
	v_cndmask_b32_e64 v122, v122, s0, vcc_lo
	s_add_co_i32 s0, s0, 1
	s_delay_alu instid0(SALU_CYCLE_1)
	s_cmp_lg_u32 s18, s0
	s_cbranch_scc1 .LBB112_1093
.LBB112_1094:
	s_wait_dscnt 0x0
	v_cmp_eq_f32_e32 vcc_lo, 0, v120
	v_cmp_eq_f32_e64 s0, 0, v121
	s_and_b32 s0, vcc_lo, s0
	s_delay_alu instid0(SALU_CYCLE_1) | instskip(NEXT) | instid1(SALU_CYCLE_1)
	s_and_saveexec_b32 s1, s0
	s_xor_b32 s0, exec_lo, s1
; %bb.1095:
	v_cmp_ne_u32_e32 vcc_lo, 0, v126
	v_cndmask_b32_e32 v126, 53, v126, vcc_lo
; %bb.1096:
	s_and_not1_saveexec_b32 s0, s0
	s_cbranch_execz .LBB112_1102
; %bb.1097:
	v_cmp_ngt_f32_e64 s1, |v120|, |v121|
	s_and_saveexec_b32 s12, s1
	s_delay_alu instid0(SALU_CYCLE_1)
	s_xor_b32 s1, exec_lo, s12
	s_cbranch_execz .LBB112_1099
; %bb.1098:
	v_div_scale_f32 v123, null, v121, v121, v120
	v_div_scale_f32 v131, vcc_lo, v120, v121, v120
	s_delay_alu instid0(VALU_DEP_2) | instskip(SKIP_1) | instid1(TRANS32_DEP_1)
	v_rcp_f32_e32 v129, v123
	v_nop
	v_fma_f32 v130, -v123, v129, 1.0
	s_delay_alu instid0(VALU_DEP_1) | instskip(NEXT) | instid1(VALU_DEP_1)
	v_fmac_f32_e32 v129, v130, v129
	v_mul_f32_e32 v130, v131, v129
	s_delay_alu instid0(VALU_DEP_1) | instskip(NEXT) | instid1(VALU_DEP_1)
	v_fma_f32 v132, -v123, v130, v131
	v_fmac_f32_e32 v130, v132, v129
	s_delay_alu instid0(VALU_DEP_1) | instskip(NEXT) | instid1(VALU_DEP_1)
	v_fma_f32 v123, -v123, v130, v131
	v_div_fmas_f32 v123, v123, v129, v130
	s_delay_alu instid0(VALU_DEP_1) | instskip(NEXT) | instid1(VALU_DEP_1)
	v_div_fixup_f32 v123, v123, v121, v120
	v_fmac_f32_e32 v121, v120, v123
	s_delay_alu instid0(VALU_DEP_1) | instskip(SKIP_1) | instid1(VALU_DEP_2)
	v_div_scale_f32 v120, null, v121, v121, 1.0
	v_div_scale_f32 v131, vcc_lo, 1.0, v121, 1.0
	v_rcp_f32_e32 v129, v120
	v_nop
	s_delay_alu instid0(TRANS32_DEP_1) | instskip(NEXT) | instid1(VALU_DEP_1)
	v_fma_f32 v130, -v120, v129, 1.0
	v_fmac_f32_e32 v129, v130, v129
	s_delay_alu instid0(VALU_DEP_1) | instskip(NEXT) | instid1(VALU_DEP_1)
	v_mul_f32_e32 v130, v131, v129
	v_fma_f32 v132, -v120, v130, v131
	s_delay_alu instid0(VALU_DEP_1) | instskip(NEXT) | instid1(VALU_DEP_1)
	v_fmac_f32_e32 v130, v132, v129
	v_fma_f32 v120, -v120, v130, v131
	s_delay_alu instid0(VALU_DEP_1) | instskip(NEXT) | instid1(VALU_DEP_1)
	v_div_fmas_f32 v120, v120, v129, v130
	v_div_fixup_f32 v121, v120, v121, 1.0
	s_delay_alu instid0(VALU_DEP_1)
	v_mul_f32_e32 v120, v123, v121
	v_xor_b32_e32 v121, 0x80000000, v121
.LBB112_1099:
	s_and_not1_saveexec_b32 s1, s1
	s_cbranch_execz .LBB112_1101
; %bb.1100:
	s_delay_alu instid0(VALU_DEP_1) | instskip(SKIP_1) | instid1(VALU_DEP_2)
	v_div_scale_f32 v123, null, v120, v120, v121
	v_div_scale_f32 v131, vcc_lo, v121, v120, v121
	v_rcp_f32_e32 v129, v123
	v_nop
	s_delay_alu instid0(TRANS32_DEP_1) | instskip(NEXT) | instid1(VALU_DEP_1)
	v_fma_f32 v130, -v123, v129, 1.0
	v_fmac_f32_e32 v129, v130, v129
	s_delay_alu instid0(VALU_DEP_1) | instskip(NEXT) | instid1(VALU_DEP_1)
	v_mul_f32_e32 v130, v131, v129
	v_fma_f32 v132, -v123, v130, v131
	s_delay_alu instid0(VALU_DEP_1) | instskip(NEXT) | instid1(VALU_DEP_1)
	v_fmac_f32_e32 v130, v132, v129
	v_fma_f32 v123, -v123, v130, v131
	s_delay_alu instid0(VALU_DEP_1) | instskip(NEXT) | instid1(VALU_DEP_1)
	v_div_fmas_f32 v123, v123, v129, v130
	v_div_fixup_f32 v123, v123, v120, v121
	s_delay_alu instid0(VALU_DEP_1) | instskip(NEXT) | instid1(VALU_DEP_1)
	v_fmac_f32_e32 v120, v121, v123
	v_div_scale_f32 v121, null, v120, v120, 1.0
	s_delay_alu instid0(VALU_DEP_1) | instskip(SKIP_1) | instid1(TRANS32_DEP_1)
	v_rcp_f32_e32 v129, v121
	v_nop
	v_fma_f32 v130, -v121, v129, 1.0
	s_delay_alu instid0(VALU_DEP_1) | instskip(SKIP_1) | instid1(VALU_DEP_1)
	v_fmac_f32_e32 v129, v130, v129
	v_div_scale_f32 v130, vcc_lo, 1.0, v120, 1.0
	v_mul_f32_e32 v131, v130, v129
	s_delay_alu instid0(VALU_DEP_1) | instskip(NEXT) | instid1(VALU_DEP_1)
	v_fma_f32 v132, -v121, v131, v130
	v_fmac_f32_e32 v131, v132, v129
	s_delay_alu instid0(VALU_DEP_1) | instskip(NEXT) | instid1(VALU_DEP_1)
	v_fma_f32 v121, -v121, v131, v130
	v_div_fmas_f32 v121, v121, v129, v131
	s_delay_alu instid0(VALU_DEP_1) | instskip(NEXT) | instid1(VALU_DEP_1)
	v_div_fixup_f32 v120, v121, v120, 1.0
	v_mul_f32_e64 v121, v123, -v120
.LBB112_1101:
	s_or_b32 exec_lo, exec_lo, s1
.LBB112_1102:
	s_delay_alu instid0(SALU_CYCLE_1) | instskip(NEXT) | instid1(SALU_CYCLE_1)
	s_or_b32 exec_lo, exec_lo, s0
	s_mov_b32 s0, exec_lo
	v_cmpx_ne_u32_e64 v128, v122
	s_xor_b32 s0, exec_lo, s0
	s_cbranch_execz .LBB112_1108
; %bb.1103:
	s_mov_b32 s1, exec_lo
	v_cmpx_eq_u32_e32 52, v128
	s_cbranch_execz .LBB112_1107
; %bb.1104:
	v_cmp_ne_u32_e32 vcc_lo, 52, v122
	s_xor_b32 s12, s16, -1
	s_delay_alu instid0(SALU_CYCLE_1) | instskip(NEXT) | instid1(SALU_CYCLE_1)
	s_and_b32 s13, s12, vcc_lo
	s_and_saveexec_b32 s12, s13
	s_cbranch_execz .LBB112_1106
; %bb.1105:
	v_ashrrev_i32_e32 v123, 31, v122
	s_delay_alu instid0(VALU_DEP_1)
	v_lshl_add_u64 v[128:129], v[122:123], 2, v[4:5]
	s_clause 0x1
	global_load_b32 v123, v[128:129], off
	global_load_b32 v127, v[4:5], off offset:208
	s_wait_loadcnt 0x1
	global_store_b32 v[4:5], v123, off offset:208
	s_wait_loadcnt 0x0
	global_store_b32 v[128:129], v127, off
.LBB112_1106:
	s_wait_xcnt 0x0
	s_or_b32 exec_lo, exec_lo, s12
	v_dual_mov_b32 v128, v122 :: v_dual_mov_b32 v127, v122
.LBB112_1107:
	s_or_b32 exec_lo, exec_lo, s1
.LBB112_1108:
	s_and_not1_saveexec_b32 s0, s0
	s_cbranch_execz .LBB112_1110
; %bb.1109:
	v_mov_b32_e32 v128, 52
	ds_store_2addr_b64 v124, v[28:29], v[18:19] offset0:53 offset1:54
	ds_store_2addr_b64 v124, v[16:17], v[118:119] offset0:55 offset1:56
.LBB112_1110:
	s_or_b32 exec_lo, exec_lo, s0
	s_delay_alu instid0(SALU_CYCLE_1)
	s_mov_b32 s0, exec_lo
	s_wait_storecnt_dscnt 0x0
	s_barrier_signal -1
	s_barrier_wait -1
	v_cmpx_lt_i32_e32 52, v128
	s_cbranch_execz .LBB112_1112
; %bb.1111:
	v_pk_mul_f32 v[122:123], v[120:121], v[6:7] op_sel:[1,1] op_sel_hi:[0,1]
	s_delay_alu instid0(VALU_DEP_1)
	v_pk_fma_f32 v[130:131], v[120:121], v[6:7], v[122:123] op_sel_hi:[1,0,1] neg_lo:[0,0,1] neg_hi:[0,0,1]
	v_pk_fma_f32 v[132:133], v[120:121], v[6:7], v[122:123] op_sel_hi:[1,0,1]
	ds_load_2addr_b64 v[120:123], v124 offset0:53 offset1:54
	v_dual_mov_b32 v6, v130 :: v_dual_mov_b32 v7, v133
	s_wait_dscnt 0x0
	v_pk_mul_f32 v[134:135], v[120:121], v[132:133] op_sel:[0,1]
	s_delay_alu instid0(VALU_DEP_1) | instskip(SKIP_1) | instid1(VALU_DEP_1)
	v_pk_fma_f32 v[136:137], v[120:121], v[130:131], v[134:135] op_sel:[0,0,1] op_sel_hi:[1,1,0] neg_lo:[0,0,1] neg_hi:[0,0,1]
	v_pk_fma_f32 v[120:121], v[120:121], v[130:131], v[134:135] op_sel:[0,0,1] op_sel_hi:[1,0,0]
	v_mov_b32_e32 v137, v121
	v_pk_mul_f32 v[120:121], v[122:123], v[132:133] op_sel:[0,1]
	s_delay_alu instid0(VALU_DEP_1) | instskip(SKIP_1) | instid1(VALU_DEP_1)
	v_pk_fma_f32 v[134:135], v[122:123], v[130:131], v[120:121] op_sel:[0,0,1] op_sel_hi:[1,1,0] neg_lo:[0,0,1] neg_hi:[0,0,1]
	v_pk_fma_f32 v[120:121], v[122:123], v[130:131], v[120:121] op_sel:[0,0,1] op_sel_hi:[1,0,0]
	v_mov_b32_e32 v135, v121
	ds_load_2addr_b64 v[120:123], v124 offset0:55 offset1:56
	v_pk_add_f32 v[28:29], v[28:29], v[136:137] neg_lo:[0,1] neg_hi:[0,1]
	v_pk_add_f32 v[18:19], v[18:19], v[134:135] neg_lo:[0,1] neg_hi:[0,1]
	s_wait_dscnt 0x0
	v_pk_mul_f32 v[134:135], v[120:121], v[132:133] op_sel:[0,1]
	s_delay_alu instid0(VALU_DEP_1) | instskip(SKIP_1) | instid1(VALU_DEP_1)
	v_pk_fma_f32 v[136:137], v[120:121], v[130:131], v[134:135] op_sel:[0,0,1] op_sel_hi:[1,1,0] neg_lo:[0,0,1] neg_hi:[0,0,1]
	v_pk_fma_f32 v[120:121], v[120:121], v[130:131], v[134:135] op_sel:[0,0,1] op_sel_hi:[1,0,0]
	v_dual_mov_b32 v120, v123 :: v_dual_mov_b32 v137, v121
	v_mov_b32_e32 v121, v122
	s_delay_alu instid0(VALU_DEP_2) | instskip(NEXT) | instid1(VALU_DEP_2)
	v_pk_add_f32 v[16:17], v[16:17], v[136:137] neg_lo:[0,1] neg_hi:[0,1]
	v_pk_mul_f32 v[120:121], v[120:121], v[132:133] op_sel:[0,1]
	s_delay_alu instid0(VALU_DEP_1) | instskip(SKIP_1) | instid1(VALU_DEP_1)
	v_pk_fma_f32 v[132:133], v[122:123], v[130:131], v[120:121] neg_lo:[0,0,1] neg_hi:[0,0,1]
	v_pk_fma_f32 v[120:121], v[122:123], v[130:131], v[120:121] op_sel_hi:[1,0,1]
	v_mov_b32_e32 v133, v121
	s_delay_alu instid0(VALU_DEP_1)
	v_pk_add_f32 v[118:119], v[118:119], v[132:133] neg_lo:[0,1] neg_hi:[0,1]
.LBB112_1112:
	s_or_b32 exec_lo, exec_lo, s0
	v_lshl_add_u32 v120, v128, 3, v124
	s_barrier_signal -1
	s_barrier_wait -1
	ds_store_b64 v120, v[28:29]
	s_wait_dscnt 0x0
	s_barrier_signal -1
	s_barrier_wait -1
	ds_load_b64 v[120:121], v124 offset:424
	v_mov_b32_e32 v122, 53
	s_cmp_lt_i32 s18, 55
	s_cbranch_scc1 .LBB112_1115
; %bb.1113:
	v_add3_u32 v123, v125, 0, 0x1b0
	v_mov_b32_e32 v122, 53
	s_mov_b32 s0, 54
.LBB112_1114:                           ; =>This Inner Loop Header: Depth=1
	ds_load_b64 v[130:131], v123
	s_wait_dscnt 0x1
	v_cmp_gt_f32_e32 vcc_lo, 0, v120
	v_cndmask_b32_e64 v132, v120, -v120, vcc_lo
	v_cmp_gt_f32_e32 vcc_lo, 0, v121
	v_cndmask_b32_e64 v134, v121, -v121, vcc_lo
	s_wait_dscnt 0x0
	v_cmp_gt_f32_e32 vcc_lo, 0, v130
	v_cndmask_b32_e64 v133, v130, -v130, vcc_lo
	v_cmp_gt_f32_e32 vcc_lo, 0, v131
	v_cndmask_b32_e64 v135, v131, -v131, vcc_lo
	s_delay_alu instid0(VALU_DEP_1) | instskip(NEXT) | instid1(VALU_DEP_1)
	v_pk_add_f32 v[132:133], v[132:133], v[134:135]
	v_cmp_lt_f32_e32 vcc_lo, v132, v133
	v_dual_cndmask_b32 v120, v120, v130 :: v_dual_add_nc_u32 v123, 8, v123
	v_cndmask_b32_e32 v121, v121, v131, vcc_lo
	v_cndmask_b32_e64 v122, v122, s0, vcc_lo
	s_add_co_i32 s0, s0, 1
	s_delay_alu instid0(SALU_CYCLE_1)
	s_cmp_lg_u32 s18, s0
	s_cbranch_scc1 .LBB112_1114
.LBB112_1115:
	s_wait_dscnt 0x0
	v_cmp_eq_f32_e32 vcc_lo, 0, v120
	v_cmp_eq_f32_e64 s0, 0, v121
	s_and_b32 s0, vcc_lo, s0
	s_delay_alu instid0(SALU_CYCLE_1) | instskip(NEXT) | instid1(SALU_CYCLE_1)
	s_and_saveexec_b32 s1, s0
	s_xor_b32 s0, exec_lo, s1
; %bb.1116:
	v_cmp_ne_u32_e32 vcc_lo, 0, v126
	v_cndmask_b32_e32 v126, 54, v126, vcc_lo
; %bb.1117:
	s_and_not1_saveexec_b32 s0, s0
	s_cbranch_execz .LBB112_1123
; %bb.1118:
	v_cmp_ngt_f32_e64 s1, |v120|, |v121|
	s_and_saveexec_b32 s12, s1
	s_delay_alu instid0(SALU_CYCLE_1)
	s_xor_b32 s1, exec_lo, s12
	s_cbranch_execz .LBB112_1120
; %bb.1119:
	v_div_scale_f32 v123, null, v121, v121, v120
	v_div_scale_f32 v131, vcc_lo, v120, v121, v120
	s_delay_alu instid0(VALU_DEP_2) | instskip(SKIP_1) | instid1(TRANS32_DEP_1)
	v_rcp_f32_e32 v129, v123
	v_nop
	v_fma_f32 v130, -v123, v129, 1.0
	s_delay_alu instid0(VALU_DEP_1) | instskip(NEXT) | instid1(VALU_DEP_1)
	v_fmac_f32_e32 v129, v130, v129
	v_mul_f32_e32 v130, v131, v129
	s_delay_alu instid0(VALU_DEP_1) | instskip(NEXT) | instid1(VALU_DEP_1)
	v_fma_f32 v132, -v123, v130, v131
	v_fmac_f32_e32 v130, v132, v129
	s_delay_alu instid0(VALU_DEP_1) | instskip(NEXT) | instid1(VALU_DEP_1)
	v_fma_f32 v123, -v123, v130, v131
	v_div_fmas_f32 v123, v123, v129, v130
	s_delay_alu instid0(VALU_DEP_1) | instskip(NEXT) | instid1(VALU_DEP_1)
	v_div_fixup_f32 v123, v123, v121, v120
	v_fmac_f32_e32 v121, v120, v123
	s_delay_alu instid0(VALU_DEP_1) | instskip(SKIP_1) | instid1(VALU_DEP_2)
	v_div_scale_f32 v120, null, v121, v121, 1.0
	v_div_scale_f32 v131, vcc_lo, 1.0, v121, 1.0
	v_rcp_f32_e32 v129, v120
	v_nop
	s_delay_alu instid0(TRANS32_DEP_1) | instskip(NEXT) | instid1(VALU_DEP_1)
	v_fma_f32 v130, -v120, v129, 1.0
	v_fmac_f32_e32 v129, v130, v129
	s_delay_alu instid0(VALU_DEP_1) | instskip(NEXT) | instid1(VALU_DEP_1)
	v_mul_f32_e32 v130, v131, v129
	v_fma_f32 v132, -v120, v130, v131
	s_delay_alu instid0(VALU_DEP_1) | instskip(NEXT) | instid1(VALU_DEP_1)
	v_fmac_f32_e32 v130, v132, v129
	v_fma_f32 v120, -v120, v130, v131
	s_delay_alu instid0(VALU_DEP_1) | instskip(NEXT) | instid1(VALU_DEP_1)
	v_div_fmas_f32 v120, v120, v129, v130
	v_div_fixup_f32 v121, v120, v121, 1.0
	s_delay_alu instid0(VALU_DEP_1)
	v_mul_f32_e32 v120, v123, v121
	v_xor_b32_e32 v121, 0x80000000, v121
.LBB112_1120:
	s_and_not1_saveexec_b32 s1, s1
	s_cbranch_execz .LBB112_1122
; %bb.1121:
	s_delay_alu instid0(VALU_DEP_1) | instskip(SKIP_1) | instid1(VALU_DEP_2)
	v_div_scale_f32 v123, null, v120, v120, v121
	v_div_scale_f32 v131, vcc_lo, v121, v120, v121
	v_rcp_f32_e32 v129, v123
	v_nop
	s_delay_alu instid0(TRANS32_DEP_1) | instskip(NEXT) | instid1(VALU_DEP_1)
	v_fma_f32 v130, -v123, v129, 1.0
	v_fmac_f32_e32 v129, v130, v129
	s_delay_alu instid0(VALU_DEP_1) | instskip(NEXT) | instid1(VALU_DEP_1)
	v_mul_f32_e32 v130, v131, v129
	v_fma_f32 v132, -v123, v130, v131
	s_delay_alu instid0(VALU_DEP_1) | instskip(NEXT) | instid1(VALU_DEP_1)
	v_fmac_f32_e32 v130, v132, v129
	v_fma_f32 v123, -v123, v130, v131
	s_delay_alu instid0(VALU_DEP_1) | instskip(NEXT) | instid1(VALU_DEP_1)
	v_div_fmas_f32 v123, v123, v129, v130
	v_div_fixup_f32 v123, v123, v120, v121
	s_delay_alu instid0(VALU_DEP_1) | instskip(NEXT) | instid1(VALU_DEP_1)
	v_fmac_f32_e32 v120, v121, v123
	v_div_scale_f32 v121, null, v120, v120, 1.0
	s_delay_alu instid0(VALU_DEP_1) | instskip(SKIP_1) | instid1(TRANS32_DEP_1)
	v_rcp_f32_e32 v129, v121
	v_nop
	v_fma_f32 v130, -v121, v129, 1.0
	s_delay_alu instid0(VALU_DEP_1) | instskip(SKIP_1) | instid1(VALU_DEP_1)
	v_fmac_f32_e32 v129, v130, v129
	v_div_scale_f32 v130, vcc_lo, 1.0, v120, 1.0
	v_mul_f32_e32 v131, v130, v129
	s_delay_alu instid0(VALU_DEP_1) | instskip(NEXT) | instid1(VALU_DEP_1)
	v_fma_f32 v132, -v121, v131, v130
	v_fmac_f32_e32 v131, v132, v129
	s_delay_alu instid0(VALU_DEP_1) | instskip(NEXT) | instid1(VALU_DEP_1)
	v_fma_f32 v121, -v121, v131, v130
	v_div_fmas_f32 v121, v121, v129, v131
	s_delay_alu instid0(VALU_DEP_1) | instskip(NEXT) | instid1(VALU_DEP_1)
	v_div_fixup_f32 v120, v121, v120, 1.0
	v_mul_f32_e64 v121, v123, -v120
.LBB112_1122:
	s_or_b32 exec_lo, exec_lo, s1
.LBB112_1123:
	s_delay_alu instid0(SALU_CYCLE_1) | instskip(NEXT) | instid1(SALU_CYCLE_1)
	s_or_b32 exec_lo, exec_lo, s0
	s_mov_b32 s0, exec_lo
	v_cmpx_ne_u32_e64 v128, v122
	s_xor_b32 s0, exec_lo, s0
	s_cbranch_execz .LBB112_1129
; %bb.1124:
	s_mov_b32 s1, exec_lo
	v_cmpx_eq_u32_e32 53, v128
	s_cbranch_execz .LBB112_1128
; %bb.1125:
	v_cmp_ne_u32_e32 vcc_lo, 53, v122
	s_xor_b32 s12, s16, -1
	s_delay_alu instid0(SALU_CYCLE_1) | instskip(NEXT) | instid1(SALU_CYCLE_1)
	s_and_b32 s13, s12, vcc_lo
	s_and_saveexec_b32 s12, s13
	s_cbranch_execz .LBB112_1127
; %bb.1126:
	v_ashrrev_i32_e32 v123, 31, v122
	s_delay_alu instid0(VALU_DEP_1)
	v_lshl_add_u64 v[128:129], v[122:123], 2, v[4:5]
	s_clause 0x1
	global_load_b32 v123, v[128:129], off
	global_load_b32 v127, v[4:5], off offset:212
	s_wait_loadcnt 0x1
	global_store_b32 v[4:5], v123, off offset:212
	s_wait_loadcnt 0x0
	global_store_b32 v[128:129], v127, off
.LBB112_1127:
	s_wait_xcnt 0x0
	s_or_b32 exec_lo, exec_lo, s12
	v_dual_mov_b32 v128, v122 :: v_dual_mov_b32 v127, v122
.LBB112_1128:
	s_or_b32 exec_lo, exec_lo, s1
.LBB112_1129:
	s_and_not1_saveexec_b32 s0, s0
	s_cbranch_execz .LBB112_1131
; %bb.1130:
	v_dual_mov_b32 v122, v18 :: v_dual_mov_b32 v123, v19
	v_dual_mov_b32 v130, v16 :: v_dual_mov_b32 v131, v17
	v_mov_b32_e32 v128, 53
	ds_store_2addr_b64 v124, v[122:123], v[130:131] offset0:54 offset1:55
	ds_store_b64 v124, v[118:119] offset:448
.LBB112_1131:
	s_or_b32 exec_lo, exec_lo, s0
	s_delay_alu instid0(SALU_CYCLE_1)
	s_mov_b32 s0, exec_lo
	s_wait_storecnt_dscnt 0x0
	s_barrier_signal -1
	s_barrier_wait -1
	v_cmpx_lt_i32_e32 53, v128
	s_cbranch_execz .LBB112_1133
; %bb.1132:
	ds_load_2addr_b64 v[130:133], v124 offset0:54 offset1:55
	ds_load_b64 v[122:123], v124 offset:448
	v_pk_mul_f32 v[134:135], v[120:121], v[28:29] op_sel:[1,1] op_sel_hi:[0,1]
	s_delay_alu instid0(VALU_DEP_1) | instskip(SKIP_2) | instid1(VALU_DEP_2)
	v_pk_fma_f32 v[136:137], v[120:121], v[28:29], v[134:135] op_sel_hi:[1,0,1]
	v_pk_fma_f32 v[28:29], v[120:121], v[28:29], v[134:135] op_sel_hi:[1,0,1] neg_lo:[0,0,1] neg_hi:[0,0,1]
	s_wait_dscnt 0x1
	v_pk_mul_f32 v[120:121], v[130:131], v[136:137] op_sel:[0,1]
	v_pk_mul_f32 v[134:135], v[132:133], v[136:137] op_sel:[0,1]
	s_wait_dscnt 0x0
	v_pk_mul_f32 v[138:139], v[122:123], v[136:137] op_sel:[1,1] op_sel_hi:[0,1]
	s_delay_alu instid0(VALU_DEP_3) | instskip(SKIP_2) | instid1(VALU_DEP_4)
	v_pk_fma_f32 v[140:141], v[130:131], v[28:29], v[120:121] op_sel:[0,0,1] op_sel_hi:[1,1,0] neg_lo:[0,0,1] neg_hi:[0,0,1]
	v_pk_fma_f32 v[120:121], v[130:131], v[28:29], v[120:121] op_sel:[0,0,1] op_sel_hi:[1,0,0]
	v_pk_fma_f32 v[130:131], v[132:133], v[28:29], v[134:135] op_sel:[0,0,1] op_sel_hi:[1,0,0]
	v_pk_fma_f32 v[142:143], v[122:123], v[28:29], v[138:139] op_sel_hi:[1,0,1]
	v_pk_fma_f32 v[132:133], v[132:133], v[28:29], v[134:135] op_sel:[0,0,1] op_sel_hi:[1,1,0] neg_lo:[0,0,1] neg_hi:[0,0,1]
	v_pk_fma_f32 v[122:123], v[122:123], v[28:29], v[138:139] neg_lo:[0,0,1] neg_hi:[0,0,1]
	s_delay_alu instid0(VALU_DEP_4) | instskip(NEXT) | instid1(VALU_DEP_4)
	v_dual_mov_b32 v141, v121 :: v_dual_mov_b32 v133, v131
	v_dual_mov_b32 v123, v143 :: v_dual_mov_b32 v29, v137
	s_delay_alu instid0(VALU_DEP_2) | instskip(NEXT) | instid1(VALU_DEP_3)
	v_pk_add_f32 v[18:19], v[18:19], v[140:141] neg_lo:[0,1] neg_hi:[0,1]
	v_pk_add_f32 v[16:17], v[16:17], v[132:133] neg_lo:[0,1] neg_hi:[0,1]
	s_delay_alu instid0(VALU_DEP_3)
	v_pk_add_f32 v[118:119], v[118:119], v[122:123] neg_lo:[0,1] neg_hi:[0,1]
.LBB112_1133:
	s_or_b32 exec_lo, exec_lo, s0
	v_lshl_add_u32 v120, v128, 3, v124
	s_barrier_signal -1
	s_barrier_wait -1
	ds_store_b64 v120, v[18:19]
	s_wait_dscnt 0x0
	s_barrier_signal -1
	s_barrier_wait -1
	ds_load_b64 v[120:121], v124 offset:432
	v_mov_b32_e32 v122, 54
	s_cmp_lt_i32 s18, 56
	s_cbranch_scc1 .LBB112_1136
; %bb.1134:
	v_add3_u32 v123, v125, 0, 0x1b8
	v_mov_b32_e32 v122, 54
	s_mov_b32 s0, 55
.LBB112_1135:                           ; =>This Inner Loop Header: Depth=1
	ds_load_b64 v[130:131], v123
	s_wait_dscnt 0x1
	v_cmp_gt_f32_e32 vcc_lo, 0, v120
	v_cndmask_b32_e64 v132, v120, -v120, vcc_lo
	v_cmp_gt_f32_e32 vcc_lo, 0, v121
	v_cndmask_b32_e64 v134, v121, -v121, vcc_lo
	s_wait_dscnt 0x0
	v_cmp_gt_f32_e32 vcc_lo, 0, v130
	v_cndmask_b32_e64 v133, v130, -v130, vcc_lo
	v_cmp_gt_f32_e32 vcc_lo, 0, v131
	v_cndmask_b32_e64 v135, v131, -v131, vcc_lo
	s_delay_alu instid0(VALU_DEP_1) | instskip(NEXT) | instid1(VALU_DEP_1)
	v_pk_add_f32 v[132:133], v[132:133], v[134:135]
	v_cmp_lt_f32_e32 vcc_lo, v132, v133
	v_dual_cndmask_b32 v120, v120, v130 :: v_dual_add_nc_u32 v123, 8, v123
	v_cndmask_b32_e32 v121, v121, v131, vcc_lo
	v_cndmask_b32_e64 v122, v122, s0, vcc_lo
	s_add_co_i32 s0, s0, 1
	s_delay_alu instid0(SALU_CYCLE_1)
	s_cmp_lg_u32 s18, s0
	s_cbranch_scc1 .LBB112_1135
.LBB112_1136:
	s_wait_dscnt 0x0
	v_cmp_eq_f32_e32 vcc_lo, 0, v120
	v_cmp_eq_f32_e64 s0, 0, v121
	s_and_b32 s0, vcc_lo, s0
	s_delay_alu instid0(SALU_CYCLE_1) | instskip(NEXT) | instid1(SALU_CYCLE_1)
	s_and_saveexec_b32 s1, s0
	s_xor_b32 s0, exec_lo, s1
; %bb.1137:
	v_cmp_ne_u32_e32 vcc_lo, 0, v126
	v_cndmask_b32_e32 v126, 55, v126, vcc_lo
; %bb.1138:
	s_and_not1_saveexec_b32 s0, s0
	s_cbranch_execz .LBB112_1144
; %bb.1139:
	v_cmp_ngt_f32_e64 s1, |v120|, |v121|
	s_and_saveexec_b32 s12, s1
	s_delay_alu instid0(SALU_CYCLE_1)
	s_xor_b32 s1, exec_lo, s12
	s_cbranch_execz .LBB112_1141
; %bb.1140:
	v_div_scale_f32 v123, null, v121, v121, v120
	v_div_scale_f32 v131, vcc_lo, v120, v121, v120
	s_delay_alu instid0(VALU_DEP_2) | instskip(SKIP_1) | instid1(TRANS32_DEP_1)
	v_rcp_f32_e32 v129, v123
	v_nop
	v_fma_f32 v130, -v123, v129, 1.0
	s_delay_alu instid0(VALU_DEP_1) | instskip(NEXT) | instid1(VALU_DEP_1)
	v_fmac_f32_e32 v129, v130, v129
	v_mul_f32_e32 v130, v131, v129
	s_delay_alu instid0(VALU_DEP_1) | instskip(NEXT) | instid1(VALU_DEP_1)
	v_fma_f32 v132, -v123, v130, v131
	v_fmac_f32_e32 v130, v132, v129
	s_delay_alu instid0(VALU_DEP_1) | instskip(NEXT) | instid1(VALU_DEP_1)
	v_fma_f32 v123, -v123, v130, v131
	v_div_fmas_f32 v123, v123, v129, v130
	s_delay_alu instid0(VALU_DEP_1) | instskip(NEXT) | instid1(VALU_DEP_1)
	v_div_fixup_f32 v123, v123, v121, v120
	v_fmac_f32_e32 v121, v120, v123
	s_delay_alu instid0(VALU_DEP_1) | instskip(SKIP_1) | instid1(VALU_DEP_2)
	v_div_scale_f32 v120, null, v121, v121, 1.0
	v_div_scale_f32 v131, vcc_lo, 1.0, v121, 1.0
	v_rcp_f32_e32 v129, v120
	v_nop
	s_delay_alu instid0(TRANS32_DEP_1) | instskip(NEXT) | instid1(VALU_DEP_1)
	v_fma_f32 v130, -v120, v129, 1.0
	v_fmac_f32_e32 v129, v130, v129
	s_delay_alu instid0(VALU_DEP_1) | instskip(NEXT) | instid1(VALU_DEP_1)
	v_mul_f32_e32 v130, v131, v129
	v_fma_f32 v132, -v120, v130, v131
	s_delay_alu instid0(VALU_DEP_1) | instskip(NEXT) | instid1(VALU_DEP_1)
	v_fmac_f32_e32 v130, v132, v129
	v_fma_f32 v120, -v120, v130, v131
	s_delay_alu instid0(VALU_DEP_1) | instskip(NEXT) | instid1(VALU_DEP_1)
	v_div_fmas_f32 v120, v120, v129, v130
	v_div_fixup_f32 v121, v120, v121, 1.0
	s_delay_alu instid0(VALU_DEP_1)
	v_mul_f32_e32 v120, v123, v121
	v_xor_b32_e32 v121, 0x80000000, v121
.LBB112_1141:
	s_and_not1_saveexec_b32 s1, s1
	s_cbranch_execz .LBB112_1143
; %bb.1142:
	s_delay_alu instid0(VALU_DEP_1) | instskip(SKIP_1) | instid1(VALU_DEP_2)
	v_div_scale_f32 v123, null, v120, v120, v121
	v_div_scale_f32 v131, vcc_lo, v121, v120, v121
	v_rcp_f32_e32 v129, v123
	v_nop
	s_delay_alu instid0(TRANS32_DEP_1) | instskip(NEXT) | instid1(VALU_DEP_1)
	v_fma_f32 v130, -v123, v129, 1.0
	v_fmac_f32_e32 v129, v130, v129
	s_delay_alu instid0(VALU_DEP_1) | instskip(NEXT) | instid1(VALU_DEP_1)
	v_mul_f32_e32 v130, v131, v129
	v_fma_f32 v132, -v123, v130, v131
	s_delay_alu instid0(VALU_DEP_1) | instskip(NEXT) | instid1(VALU_DEP_1)
	v_fmac_f32_e32 v130, v132, v129
	v_fma_f32 v123, -v123, v130, v131
	s_delay_alu instid0(VALU_DEP_1) | instskip(NEXT) | instid1(VALU_DEP_1)
	v_div_fmas_f32 v123, v123, v129, v130
	v_div_fixup_f32 v123, v123, v120, v121
	s_delay_alu instid0(VALU_DEP_1) | instskip(NEXT) | instid1(VALU_DEP_1)
	v_fmac_f32_e32 v120, v121, v123
	v_div_scale_f32 v121, null, v120, v120, 1.0
	s_delay_alu instid0(VALU_DEP_1) | instskip(SKIP_1) | instid1(TRANS32_DEP_1)
	v_rcp_f32_e32 v129, v121
	v_nop
	v_fma_f32 v130, -v121, v129, 1.0
	s_delay_alu instid0(VALU_DEP_1) | instskip(SKIP_1) | instid1(VALU_DEP_1)
	v_fmac_f32_e32 v129, v130, v129
	v_div_scale_f32 v130, vcc_lo, 1.0, v120, 1.0
	v_mul_f32_e32 v131, v130, v129
	s_delay_alu instid0(VALU_DEP_1) | instskip(NEXT) | instid1(VALU_DEP_1)
	v_fma_f32 v132, -v121, v131, v130
	v_fmac_f32_e32 v131, v132, v129
	s_delay_alu instid0(VALU_DEP_1) | instskip(NEXT) | instid1(VALU_DEP_1)
	v_fma_f32 v121, -v121, v131, v130
	v_div_fmas_f32 v121, v121, v129, v131
	s_delay_alu instid0(VALU_DEP_1) | instskip(NEXT) | instid1(VALU_DEP_1)
	v_div_fixup_f32 v120, v121, v120, 1.0
	v_mul_f32_e64 v121, v123, -v120
.LBB112_1143:
	s_or_b32 exec_lo, exec_lo, s1
.LBB112_1144:
	s_delay_alu instid0(SALU_CYCLE_1) | instskip(NEXT) | instid1(SALU_CYCLE_1)
	s_or_b32 exec_lo, exec_lo, s0
	s_mov_b32 s0, exec_lo
	v_cmpx_ne_u32_e64 v128, v122
	s_xor_b32 s0, exec_lo, s0
	s_cbranch_execz .LBB112_1150
; %bb.1145:
	s_mov_b32 s1, exec_lo
	v_cmpx_eq_u32_e32 54, v128
	s_cbranch_execz .LBB112_1149
; %bb.1146:
	v_cmp_ne_u32_e32 vcc_lo, 54, v122
	s_xor_b32 s12, s16, -1
	s_delay_alu instid0(SALU_CYCLE_1) | instskip(NEXT) | instid1(SALU_CYCLE_1)
	s_and_b32 s13, s12, vcc_lo
	s_and_saveexec_b32 s12, s13
	s_cbranch_execz .LBB112_1148
; %bb.1147:
	v_ashrrev_i32_e32 v123, 31, v122
	s_delay_alu instid0(VALU_DEP_1)
	v_lshl_add_u64 v[128:129], v[122:123], 2, v[4:5]
	s_clause 0x1
	global_load_b32 v123, v[128:129], off
	global_load_b32 v127, v[4:5], off offset:216
	s_wait_loadcnt 0x1
	global_store_b32 v[4:5], v123, off offset:216
	s_wait_loadcnt 0x0
	global_store_b32 v[128:129], v127, off
.LBB112_1148:
	s_wait_xcnt 0x0
	s_or_b32 exec_lo, exec_lo, s12
	v_dual_mov_b32 v128, v122 :: v_dual_mov_b32 v127, v122
.LBB112_1149:
	s_or_b32 exec_lo, exec_lo, s1
.LBB112_1150:
	s_and_not1_saveexec_b32 s0, s0
; %bb.1151:
	v_mov_b32_e32 v128, 54
	ds_store_2addr_b64 v124, v[16:17], v[118:119] offset0:55 offset1:56
; %bb.1152:
	s_or_b32 exec_lo, exec_lo, s0
	s_delay_alu instid0(SALU_CYCLE_1)
	s_mov_b32 s0, exec_lo
	s_wait_storecnt_dscnt 0x0
	s_barrier_signal -1
	s_barrier_wait -1
	v_cmpx_lt_i32_e32 54, v128
	s_cbranch_execz .LBB112_1154
; %bb.1153:
	ds_load_2addr_b64 v[130:133], v124 offset0:55 offset1:56
	v_pk_mul_f32 v[122:123], v[120:121], v[18:19] op_sel:[1,1] op_sel_hi:[0,1]
	s_delay_alu instid0(VALU_DEP_1) | instskip(SKIP_3) | instid1(VALU_DEP_3)
	v_pk_fma_f32 v[134:135], v[120:121], v[18:19], v[122:123] op_sel_hi:[1,0,1]
	v_pk_fma_f32 v[18:19], v[120:121], v[18:19], v[122:123] op_sel_hi:[1,0,1] neg_lo:[0,0,1] neg_hi:[0,0,1]
	s_wait_dscnt 0x0
	v_dual_mov_b32 v136, v133 :: v_dual_mov_b32 v137, v132
	v_pk_mul_f32 v[120:121], v[130:131], v[134:135] op_sel:[0,1]
	s_delay_alu instid0(VALU_DEP_2) | instskip(NEXT) | instid1(VALU_DEP_2)
	v_pk_mul_f32 v[122:123], v[136:137], v[134:135] op_sel:[0,1]
	v_pk_fma_f32 v[136:137], v[130:131], v[18:19], v[120:121] op_sel:[0,0,1] op_sel_hi:[1,0,0]
	v_pk_fma_f32 v[120:121], v[130:131], v[18:19], v[120:121] op_sel:[0,0,1] op_sel_hi:[1,1,0] neg_lo:[0,0,1] neg_hi:[0,0,1]
	s_delay_alu instid0(VALU_DEP_3) | instskip(SKIP_1) | instid1(VALU_DEP_4)
	v_pk_fma_f32 v[138:139], v[132:133], v[18:19], v[122:123] op_sel_hi:[1,0,1]
	v_pk_fma_f32 v[122:123], v[132:133], v[18:19], v[122:123] neg_lo:[0,0,1] neg_hi:[0,0,1]
	v_dual_mov_b32 v121, v137 :: v_dual_mov_b32 v19, v135
	s_delay_alu instid0(VALU_DEP_3) | instskip(NEXT) | instid1(VALU_DEP_2)
	v_mov_b32_e32 v123, v139
	v_pk_add_f32 v[16:17], v[16:17], v[120:121] neg_lo:[0,1] neg_hi:[0,1]
	s_delay_alu instid0(VALU_DEP_2)
	v_pk_add_f32 v[118:119], v[118:119], v[122:123] neg_lo:[0,1] neg_hi:[0,1]
.LBB112_1154:
	s_or_b32 exec_lo, exec_lo, s0
	v_lshl_add_u32 v120, v128, 3, v124
	s_barrier_signal -1
	s_barrier_wait -1
	ds_store_b64 v120, v[16:17]
	s_wait_dscnt 0x0
	s_barrier_signal -1
	s_barrier_wait -1
	ds_load_b64 v[120:121], v124 offset:440
	v_mov_b32_e32 v122, 55
	s_cmp_lt_i32 s18, 57
	s_cbranch_scc1 .LBB112_1157
; %bb.1155:
	v_add3_u32 v123, v125, 0, 0x1c0
	v_mov_b32_e32 v122, 55
	s_mov_b32 s0, 56
.LBB112_1156:                           ; =>This Inner Loop Header: Depth=1
	ds_load_b64 v[130:131], v123
	s_wait_dscnt 0x1
	v_cmp_gt_f32_e32 vcc_lo, 0, v120
	v_cndmask_b32_e64 v132, v120, -v120, vcc_lo
	v_cmp_gt_f32_e32 vcc_lo, 0, v121
	v_cndmask_b32_e64 v134, v121, -v121, vcc_lo
	s_wait_dscnt 0x0
	v_cmp_gt_f32_e32 vcc_lo, 0, v130
	v_cndmask_b32_e64 v133, v130, -v130, vcc_lo
	v_cmp_gt_f32_e32 vcc_lo, 0, v131
	v_cndmask_b32_e64 v135, v131, -v131, vcc_lo
	s_delay_alu instid0(VALU_DEP_1) | instskip(NEXT) | instid1(VALU_DEP_1)
	v_pk_add_f32 v[132:133], v[132:133], v[134:135]
	v_cmp_lt_f32_e32 vcc_lo, v132, v133
	v_dual_cndmask_b32 v120, v120, v130 :: v_dual_add_nc_u32 v123, 8, v123
	v_cndmask_b32_e32 v121, v121, v131, vcc_lo
	v_cndmask_b32_e64 v122, v122, s0, vcc_lo
	s_add_co_i32 s0, s0, 1
	s_delay_alu instid0(SALU_CYCLE_1)
	s_cmp_lg_u32 s18, s0
	s_cbranch_scc1 .LBB112_1156
.LBB112_1157:
	s_wait_dscnt 0x0
	v_cmp_eq_f32_e32 vcc_lo, 0, v120
	v_cmp_eq_f32_e64 s0, 0, v121
	s_and_b32 s0, vcc_lo, s0
	s_delay_alu instid0(SALU_CYCLE_1) | instskip(NEXT) | instid1(SALU_CYCLE_1)
	s_and_saveexec_b32 s1, s0
	s_xor_b32 s0, exec_lo, s1
; %bb.1158:
	v_cmp_ne_u32_e32 vcc_lo, 0, v126
	v_cndmask_b32_e32 v126, 56, v126, vcc_lo
; %bb.1159:
	s_and_not1_saveexec_b32 s0, s0
	s_cbranch_execz .LBB112_1165
; %bb.1160:
	v_cmp_ngt_f32_e64 s1, |v120|, |v121|
	s_and_saveexec_b32 s12, s1
	s_delay_alu instid0(SALU_CYCLE_1)
	s_xor_b32 s1, exec_lo, s12
	s_cbranch_execz .LBB112_1162
; %bb.1161:
	v_div_scale_f32 v123, null, v121, v121, v120
	v_div_scale_f32 v131, vcc_lo, v120, v121, v120
	s_delay_alu instid0(VALU_DEP_2) | instskip(SKIP_1) | instid1(TRANS32_DEP_1)
	v_rcp_f32_e32 v129, v123
	v_nop
	v_fma_f32 v130, -v123, v129, 1.0
	s_delay_alu instid0(VALU_DEP_1) | instskip(NEXT) | instid1(VALU_DEP_1)
	v_fmac_f32_e32 v129, v130, v129
	v_mul_f32_e32 v130, v131, v129
	s_delay_alu instid0(VALU_DEP_1) | instskip(NEXT) | instid1(VALU_DEP_1)
	v_fma_f32 v132, -v123, v130, v131
	v_fmac_f32_e32 v130, v132, v129
	s_delay_alu instid0(VALU_DEP_1) | instskip(NEXT) | instid1(VALU_DEP_1)
	v_fma_f32 v123, -v123, v130, v131
	v_div_fmas_f32 v123, v123, v129, v130
	s_delay_alu instid0(VALU_DEP_1) | instskip(NEXT) | instid1(VALU_DEP_1)
	v_div_fixup_f32 v123, v123, v121, v120
	v_fmac_f32_e32 v121, v120, v123
	s_delay_alu instid0(VALU_DEP_1) | instskip(SKIP_1) | instid1(VALU_DEP_2)
	v_div_scale_f32 v120, null, v121, v121, 1.0
	v_div_scale_f32 v131, vcc_lo, 1.0, v121, 1.0
	v_rcp_f32_e32 v129, v120
	v_nop
	s_delay_alu instid0(TRANS32_DEP_1) | instskip(NEXT) | instid1(VALU_DEP_1)
	v_fma_f32 v130, -v120, v129, 1.0
	v_fmac_f32_e32 v129, v130, v129
	s_delay_alu instid0(VALU_DEP_1) | instskip(NEXT) | instid1(VALU_DEP_1)
	v_mul_f32_e32 v130, v131, v129
	v_fma_f32 v132, -v120, v130, v131
	s_delay_alu instid0(VALU_DEP_1) | instskip(NEXT) | instid1(VALU_DEP_1)
	v_fmac_f32_e32 v130, v132, v129
	v_fma_f32 v120, -v120, v130, v131
	s_delay_alu instid0(VALU_DEP_1) | instskip(NEXT) | instid1(VALU_DEP_1)
	v_div_fmas_f32 v120, v120, v129, v130
	v_div_fixup_f32 v121, v120, v121, 1.0
	s_delay_alu instid0(VALU_DEP_1)
	v_mul_f32_e32 v120, v123, v121
	v_xor_b32_e32 v121, 0x80000000, v121
.LBB112_1162:
	s_and_not1_saveexec_b32 s1, s1
	s_cbranch_execz .LBB112_1164
; %bb.1163:
	s_delay_alu instid0(VALU_DEP_1) | instskip(SKIP_1) | instid1(VALU_DEP_2)
	v_div_scale_f32 v123, null, v120, v120, v121
	v_div_scale_f32 v131, vcc_lo, v121, v120, v121
	v_rcp_f32_e32 v129, v123
	v_nop
	s_delay_alu instid0(TRANS32_DEP_1) | instskip(NEXT) | instid1(VALU_DEP_1)
	v_fma_f32 v130, -v123, v129, 1.0
	v_fmac_f32_e32 v129, v130, v129
	s_delay_alu instid0(VALU_DEP_1) | instskip(NEXT) | instid1(VALU_DEP_1)
	v_mul_f32_e32 v130, v131, v129
	v_fma_f32 v132, -v123, v130, v131
	s_delay_alu instid0(VALU_DEP_1) | instskip(NEXT) | instid1(VALU_DEP_1)
	v_fmac_f32_e32 v130, v132, v129
	v_fma_f32 v123, -v123, v130, v131
	s_delay_alu instid0(VALU_DEP_1) | instskip(NEXT) | instid1(VALU_DEP_1)
	v_div_fmas_f32 v123, v123, v129, v130
	v_div_fixup_f32 v123, v123, v120, v121
	s_delay_alu instid0(VALU_DEP_1) | instskip(NEXT) | instid1(VALU_DEP_1)
	v_fmac_f32_e32 v120, v121, v123
	v_div_scale_f32 v121, null, v120, v120, 1.0
	s_delay_alu instid0(VALU_DEP_1) | instskip(SKIP_1) | instid1(TRANS32_DEP_1)
	v_rcp_f32_e32 v129, v121
	v_nop
	v_fma_f32 v130, -v121, v129, 1.0
	s_delay_alu instid0(VALU_DEP_1) | instskip(SKIP_1) | instid1(VALU_DEP_1)
	v_fmac_f32_e32 v129, v130, v129
	v_div_scale_f32 v130, vcc_lo, 1.0, v120, 1.0
	v_mul_f32_e32 v131, v130, v129
	s_delay_alu instid0(VALU_DEP_1) | instskip(NEXT) | instid1(VALU_DEP_1)
	v_fma_f32 v132, -v121, v131, v130
	v_fmac_f32_e32 v131, v132, v129
	s_delay_alu instid0(VALU_DEP_1) | instskip(NEXT) | instid1(VALU_DEP_1)
	v_fma_f32 v121, -v121, v131, v130
	v_div_fmas_f32 v121, v121, v129, v131
	s_delay_alu instid0(VALU_DEP_1) | instskip(NEXT) | instid1(VALU_DEP_1)
	v_div_fixup_f32 v120, v121, v120, 1.0
	v_mul_f32_e64 v121, v123, -v120
.LBB112_1164:
	s_or_b32 exec_lo, exec_lo, s1
.LBB112_1165:
	s_delay_alu instid0(SALU_CYCLE_1) | instskip(NEXT) | instid1(SALU_CYCLE_1)
	s_or_b32 exec_lo, exec_lo, s0
	s_mov_b32 s0, exec_lo
	v_cmpx_ne_u32_e64 v128, v122
	s_xor_b32 s0, exec_lo, s0
	s_cbranch_execz .LBB112_1171
; %bb.1166:
	s_mov_b32 s1, exec_lo
	v_cmpx_eq_u32_e32 55, v128
	s_cbranch_execz .LBB112_1170
; %bb.1167:
	v_cmp_ne_u32_e32 vcc_lo, 55, v122
	s_xor_b32 s12, s16, -1
	s_delay_alu instid0(SALU_CYCLE_1) | instskip(NEXT) | instid1(SALU_CYCLE_1)
	s_and_b32 s13, s12, vcc_lo
	s_and_saveexec_b32 s12, s13
	s_cbranch_execz .LBB112_1169
; %bb.1168:
	v_ashrrev_i32_e32 v123, 31, v122
	s_delay_alu instid0(VALU_DEP_1)
	v_lshl_add_u64 v[128:129], v[122:123], 2, v[4:5]
	s_clause 0x1
	global_load_b32 v123, v[128:129], off
	global_load_b32 v127, v[4:5], off offset:220
	s_wait_loadcnt 0x1
	global_store_b32 v[4:5], v123, off offset:220
	s_wait_loadcnt 0x0
	global_store_b32 v[128:129], v127, off
.LBB112_1169:
	s_wait_xcnt 0x0
	s_or_b32 exec_lo, exec_lo, s12
	v_dual_mov_b32 v128, v122 :: v_dual_mov_b32 v127, v122
.LBB112_1170:
	s_or_b32 exec_lo, exec_lo, s1
.LBB112_1171:
	s_and_not1_saveexec_b32 s0, s0
; %bb.1172:
	v_mov_b32_e32 v128, 55
	ds_store_b64 v124, v[118:119] offset:448
; %bb.1173:
	s_or_b32 exec_lo, exec_lo, s0
	s_delay_alu instid0(SALU_CYCLE_1)
	s_mov_b32 s0, exec_lo
	s_wait_storecnt_dscnt 0x0
	s_barrier_signal -1
	s_barrier_wait -1
	v_cmpx_lt_i32_e32 55, v128
	s_cbranch_execz .LBB112_1175
; %bb.1174:
	ds_load_b64 v[122:123], v124 offset:448
	v_pk_mul_f32 v[130:131], v[120:121], v[16:17] op_sel:[1,1] op_sel_hi:[0,1]
	s_delay_alu instid0(VALU_DEP_1) | instskip(SKIP_2) | instid1(VALU_DEP_2)
	v_pk_fma_f32 v[132:133], v[120:121], v[16:17], v[130:131] op_sel_hi:[1,0,1]
	v_pk_fma_f32 v[16:17], v[120:121], v[16:17], v[130:131] op_sel_hi:[1,0,1] neg_lo:[0,0,1] neg_hi:[0,0,1]
	s_wait_dscnt 0x0
	v_pk_mul_f32 v[120:121], v[122:123], v[132:133] op_sel:[1,1] op_sel_hi:[0,1]
	s_delay_alu instid0(VALU_DEP_1) | instskip(SKIP_1) | instid1(VALU_DEP_2)
	v_pk_fma_f32 v[130:131], v[122:123], v[16:17], v[120:121] op_sel_hi:[1,0,1]
	v_pk_fma_f32 v[120:121], v[122:123], v[16:17], v[120:121] neg_lo:[0,0,1] neg_hi:[0,0,1]
	v_dual_mov_b32 v17, v133 :: v_dual_mov_b32 v121, v131
	s_delay_alu instid0(VALU_DEP_1)
	v_pk_add_f32 v[118:119], v[118:119], v[120:121] neg_lo:[0,1] neg_hi:[0,1]
.LBB112_1175:
	s_or_b32 exec_lo, exec_lo, s0
	v_lshl_add_u32 v120, v128, 3, v124
	s_barrier_signal -1
	s_barrier_wait -1
	ds_store_b64 v120, v[118:119]
	s_wait_dscnt 0x0
	s_barrier_signal -1
	s_barrier_wait -1
	ds_load_b64 v[120:121], v124 offset:448
	v_mov_b32_e32 v122, 56
	s_cmp_lt_i32 s18, 58
	s_cbranch_scc1 .LBB112_1178
; %bb.1176:
	v_add3_u32 v123, v125, 0, 0x1c8
	v_mov_b32_e32 v122, 56
	s_mov_b32 s0, 57
.LBB112_1177:                           ; =>This Inner Loop Header: Depth=1
	ds_load_b64 v[124:125], v123
	s_wait_dscnt 0x1
	v_cmp_gt_f32_e32 vcc_lo, 0, v120
	v_cndmask_b32_e64 v130, v120, -v120, vcc_lo
	v_cmp_gt_f32_e32 vcc_lo, 0, v121
	v_cndmask_b32_e64 v132, v121, -v121, vcc_lo
	s_wait_dscnt 0x0
	v_cmp_gt_f32_e32 vcc_lo, 0, v124
	v_cndmask_b32_e64 v131, v124, -v124, vcc_lo
	v_cmp_gt_f32_e32 vcc_lo, 0, v125
	v_cndmask_b32_e64 v133, v125, -v125, vcc_lo
	s_delay_alu instid0(VALU_DEP_1) | instskip(NEXT) | instid1(VALU_DEP_1)
	v_pk_add_f32 v[130:131], v[130:131], v[132:133]
	v_cmp_lt_f32_e32 vcc_lo, v130, v131
	v_dual_add_nc_u32 v123, 8, v123 :: v_dual_cndmask_b32 v121, v121, v125, vcc_lo
	v_cndmask_b32_e32 v120, v120, v124, vcc_lo
	v_cndmask_b32_e64 v122, v122, s0, vcc_lo
	s_add_co_i32 s0, s0, 1
	s_delay_alu instid0(SALU_CYCLE_1)
	s_cmp_lg_u32 s18, s0
	s_cbranch_scc1 .LBB112_1177
.LBB112_1178:
	s_wait_dscnt 0x0
	v_cmp_eq_f32_e32 vcc_lo, 0, v120
	v_cmp_eq_f32_e64 s0, 0, v121
	s_and_b32 s0, vcc_lo, s0
	s_delay_alu instid0(SALU_CYCLE_1) | instskip(NEXT) | instid1(SALU_CYCLE_1)
	s_and_saveexec_b32 s1, s0
	s_xor_b32 s0, exec_lo, s1
; %bb.1179:
	v_cmp_ne_u32_e32 vcc_lo, 0, v126
	v_cndmask_b32_e32 v126, 57, v126, vcc_lo
; %bb.1180:
	s_and_not1_saveexec_b32 s0, s0
	s_cbranch_execz .LBB112_1186
; %bb.1181:
	v_cmp_ngt_f32_e64 s1, |v120|, |v121|
	s_and_saveexec_b32 s12, s1
	s_delay_alu instid0(SALU_CYCLE_1)
	s_xor_b32 s1, exec_lo, s12
	s_cbranch_execz .LBB112_1183
; %bb.1182:
	v_div_scale_f32 v123, null, v121, v121, v120
	v_div_scale_f32 v129, vcc_lo, v120, v121, v120
	s_delay_alu instid0(VALU_DEP_2) | instskip(SKIP_1) | instid1(TRANS32_DEP_1)
	v_rcp_f32_e32 v124, v123
	v_nop
	v_fma_f32 v125, -v123, v124, 1.0
	s_delay_alu instid0(VALU_DEP_1) | instskip(NEXT) | instid1(VALU_DEP_1)
	v_fmac_f32_e32 v124, v125, v124
	v_mul_f32_e32 v125, v129, v124
	s_delay_alu instid0(VALU_DEP_1) | instskip(NEXT) | instid1(VALU_DEP_1)
	v_fma_f32 v130, -v123, v125, v129
	v_fmac_f32_e32 v125, v130, v124
	s_delay_alu instid0(VALU_DEP_1) | instskip(NEXT) | instid1(VALU_DEP_1)
	v_fma_f32 v123, -v123, v125, v129
	v_div_fmas_f32 v123, v123, v124, v125
	s_delay_alu instid0(VALU_DEP_1) | instskip(NEXT) | instid1(VALU_DEP_1)
	v_div_fixup_f32 v123, v123, v121, v120
	v_fmac_f32_e32 v121, v120, v123
	s_delay_alu instid0(VALU_DEP_1) | instskip(SKIP_1) | instid1(VALU_DEP_2)
	v_div_scale_f32 v120, null, v121, v121, 1.0
	v_div_scale_f32 v129, vcc_lo, 1.0, v121, 1.0
	v_rcp_f32_e32 v124, v120
	v_nop
	s_delay_alu instid0(TRANS32_DEP_1) | instskip(NEXT) | instid1(VALU_DEP_1)
	v_fma_f32 v125, -v120, v124, 1.0
	v_fmac_f32_e32 v124, v125, v124
	s_delay_alu instid0(VALU_DEP_1) | instskip(NEXT) | instid1(VALU_DEP_1)
	v_mul_f32_e32 v125, v129, v124
	v_fma_f32 v130, -v120, v125, v129
	s_delay_alu instid0(VALU_DEP_1) | instskip(NEXT) | instid1(VALU_DEP_1)
	v_fmac_f32_e32 v125, v130, v124
	v_fma_f32 v120, -v120, v125, v129
	s_delay_alu instid0(VALU_DEP_1) | instskip(NEXT) | instid1(VALU_DEP_1)
	v_div_fmas_f32 v120, v120, v124, v125
	v_div_fixup_f32 v121, v120, v121, 1.0
	s_delay_alu instid0(VALU_DEP_1)
	v_mul_f32_e32 v120, v123, v121
	v_xor_b32_e32 v121, 0x80000000, v121
.LBB112_1183:
	s_and_not1_saveexec_b32 s1, s1
	s_cbranch_execz .LBB112_1185
; %bb.1184:
	s_delay_alu instid0(VALU_DEP_1) | instskip(SKIP_1) | instid1(VALU_DEP_2)
	v_div_scale_f32 v123, null, v120, v120, v121
	v_div_scale_f32 v129, vcc_lo, v121, v120, v121
	v_rcp_f32_e32 v124, v123
	v_nop
	s_delay_alu instid0(TRANS32_DEP_1) | instskip(NEXT) | instid1(VALU_DEP_1)
	v_fma_f32 v125, -v123, v124, 1.0
	v_fmac_f32_e32 v124, v125, v124
	s_delay_alu instid0(VALU_DEP_1) | instskip(NEXT) | instid1(VALU_DEP_1)
	v_mul_f32_e32 v125, v129, v124
	v_fma_f32 v130, -v123, v125, v129
	s_delay_alu instid0(VALU_DEP_1) | instskip(NEXT) | instid1(VALU_DEP_1)
	v_fmac_f32_e32 v125, v130, v124
	v_fma_f32 v123, -v123, v125, v129
	s_delay_alu instid0(VALU_DEP_1) | instskip(NEXT) | instid1(VALU_DEP_1)
	v_div_fmas_f32 v123, v123, v124, v125
	v_div_fixup_f32 v123, v123, v120, v121
	s_delay_alu instid0(VALU_DEP_1) | instskip(NEXT) | instid1(VALU_DEP_1)
	v_fmac_f32_e32 v120, v121, v123
	v_div_scale_f32 v121, null, v120, v120, 1.0
	s_delay_alu instid0(VALU_DEP_1) | instskip(SKIP_1) | instid1(TRANS32_DEP_1)
	v_rcp_f32_e32 v124, v121
	v_nop
	v_fma_f32 v125, -v121, v124, 1.0
	s_delay_alu instid0(VALU_DEP_1) | instskip(SKIP_1) | instid1(VALU_DEP_1)
	v_fmac_f32_e32 v124, v125, v124
	v_div_scale_f32 v125, vcc_lo, 1.0, v120, 1.0
	v_mul_f32_e32 v129, v125, v124
	s_delay_alu instid0(VALU_DEP_1) | instskip(NEXT) | instid1(VALU_DEP_1)
	v_fma_f32 v130, -v121, v129, v125
	v_fmac_f32_e32 v129, v130, v124
	s_delay_alu instid0(VALU_DEP_1) | instskip(NEXT) | instid1(VALU_DEP_1)
	v_fma_f32 v121, -v121, v129, v125
	v_div_fmas_f32 v121, v121, v124, v129
	s_delay_alu instid0(VALU_DEP_1) | instskip(NEXT) | instid1(VALU_DEP_1)
	v_div_fixup_f32 v120, v121, v120, 1.0
	v_mul_f32_e64 v121, v123, -v120
.LBB112_1185:
	s_or_b32 exec_lo, exec_lo, s1
.LBB112_1186:
	s_delay_alu instid0(SALU_CYCLE_1)
	s_or_b32 exec_lo, exec_lo, s0
	v_mov_b32_e32 v124, 56
	s_mov_b32 s0, exec_lo
	v_cmpx_ne_u32_e64 v128, v122
	s_cbranch_execz .LBB112_1192
; %bb.1187:
	s_mov_b32 s1, exec_lo
	v_cmpx_eq_u32_e32 56, v128
	s_cbranch_execz .LBB112_1191
; %bb.1188:
	v_cmp_ne_u32_e32 vcc_lo, 56, v122
	s_xor_b32 s12, s16, -1
	s_delay_alu instid0(SALU_CYCLE_1) | instskip(NEXT) | instid1(SALU_CYCLE_1)
	s_and_b32 s13, s12, vcc_lo
	s_and_saveexec_b32 s12, s13
	s_cbranch_execz .LBB112_1190
; %bb.1189:
	v_ashrrev_i32_e32 v123, 31, v122
	s_delay_alu instid0(VALU_DEP_1)
	v_lshl_add_u64 v[124:125], v[122:123], 2, v[4:5]
	s_clause 0x1
	global_load_b32 v123, v[124:125], off
	global_load_b32 v127, v[4:5], off offset:224
	s_wait_loadcnt 0x1
	global_store_b32 v[4:5], v123, off offset:224
	s_wait_loadcnt 0x0
	global_store_b32 v[124:125], v127, off
.LBB112_1190:
	s_wait_xcnt 0x0
	s_or_b32 exec_lo, exec_lo, s12
	v_dual_mov_b32 v128, v122 :: v_dual_mov_b32 v127, v122
.LBB112_1191:
	s_or_b32 exec_lo, exec_lo, s1
	s_delay_alu instid0(VALU_DEP_1)
	v_mov_b32_e32 v124, v128
.LBB112_1192:
	s_or_b32 exec_lo, exec_lo, s0
	s_delay_alu instid0(VALU_DEP_1)
	v_ashrrev_i32_e32 v125, 31, v124
	s_mov_b32 s0, exec_lo
	s_wait_storecnt 0x0
	s_barrier_signal -1
	s_barrier_wait -1
	s_barrier_signal -1
	s_barrier_wait -1
	v_cmpx_gt_i32_e32 57, v124
	s_cbranch_execz .LBB112_1194
; %bb.1193:
	v_mul_u64_e32 v[4:5], s[10:11], v[2:3]
	v_add3_u32 v122, v127, s17, 1
	s_delay_alu instid0(VALU_DEP_2) | instskip(NEXT) | instid1(VALU_DEP_1)
	v_lshl_add_u64 v[4:5], v[4:5], 2, s[6:7]
	v_lshl_add_u64 v[4:5], s[8:9], 2, v[4:5]
	s_delay_alu instid0(VALU_DEP_1)
	v_lshl_add_u64 v[4:5], v[124:125], 2, v[4:5]
	global_store_b32 v[4:5], v122, off
.LBB112_1194:
	s_wait_xcnt 0x0
	s_or_b32 exec_lo, exec_lo, s0
	s_delay_alu instid0(SALU_CYCLE_1)
	s_mov_b32 s1, exec_lo
	v_cmpx_eq_u32_e32 0, v124
	s_cbranch_execz .LBB112_1197
; %bb.1195:
	s_wait_kmcnt 0x0
	v_lshl_add_u64 v[2:3], v[2:3], 2, s[4:5]
	v_cmp_ne_u32_e64 s0, 0, v126
	global_load_b32 v4, v[2:3], off
	s_wait_loadcnt 0x0
	v_cmp_eq_u32_e32 vcc_lo, 0, v4
	s_and_b32 s0, vcc_lo, s0
	s_wait_xcnt 0x0
	s_and_b32 exec_lo, exec_lo, s0
	s_cbranch_execz .LBB112_1197
; %bb.1196:
	v_add_nc_u32_e32 v4, s17, v126
	global_store_b32 v[2:3], v4, off
.LBB112_1197:
	s_wait_xcnt 0x0
	s_or_b32 exec_lo, exec_lo, s1
	v_add3_u32 v4, s2, s2, v124
	v_pk_mul_f32 v[2:3], v[120:121], v[118:119] op_sel:[1,1] op_sel_hi:[0,1]
	v_cmp_lt_i32_e32 vcc_lo, 56, v124
	v_lshl_add_u64 v[124:125], v[124:125], 3, v[0:1]
	s_delay_alu instid0(VALU_DEP_4) | instskip(NEXT) | instid1(VALU_DEP_4)
	v_add_nc_u32_e32 v122, s2, v4
	v_pk_fma_f32 v[138:139], v[120:121], v[118:119], v[2:3] op_sel_hi:[1,0,1]
	v_pk_fma_f32 v[2:3], v[120:121], v[118:119], v[2:3] neg_lo:[0,0,1] neg_hi:[0,0,1]
	global_store_b64 v[124:125], v[116:117], off
	s_wait_xcnt 0x0
	v_lshl_add_u64 v[116:117], s[2:3], 3, v[124:125]
	v_dual_add_nc_u32 v126, s2, v122 :: v_dual_ashrrev_i32 v5, 31, v4
	v_dual_cndmask_b32 v2, v118, v2 :: v_dual_cndmask_b32 v3, v119, v139
	global_store_b64 v[116:117], v[114:115], off
	v_add_nc_u32_e32 v128, s2, v126
	v_lshl_add_u64 v[4:5], v[4:5], 3, v[0:1]
	s_delay_alu instid0(VALU_DEP_2)
	v_dual_ashrrev_i32 v123, 31, v122 :: v_dual_add_nc_u32 v130, s2, v128
	global_store_b64 v[4:5], v[112:113], off
	s_wait_xcnt 0x0
	v_lshl_add_u64 v[112:113], v[122:123], 3, v[0:1]
	v_dual_ashrrev_i32 v127, 31, v126 :: v_dual_ashrrev_i32 v129, 31, v128
	v_add_nc_u32_e32 v132, s2, v130
	global_store_b64 v[112:113], v[110:111], off
	s_wait_xcnt 0x0
	v_lshl_add_u64 v[112:113], v[126:127], 3, v[0:1]
	v_add_nc_u32_e32 v134, s2, v132
	global_store_b64 v[112:113], v[108:109], off
	s_wait_xcnt 0x0
	v_lshl_add_u64 v[112:113], v[128:129], 3, v[0:1]
	v_add_nc_u32_e32 v136, s2, v134
	global_store_b64 v[112:113], v[106:107], off
	v_dual_add_nc_u32 v120, s2, v136 :: v_dual_ashrrev_i32 v135, 31, v134
	v_ashrrev_i32_e32 v133, 31, v132
	s_delay_alu instid0(VALU_DEP_2) | instskip(SKIP_1) | instid1(VALU_DEP_2)
	v_dual_add_nc_u32 v118, s2, v120 :: v_dual_ashrrev_i32 v121, 31, v120
	s_wait_xcnt 0x0
	v_lshl_add_u64 v[112:113], v[132:133], 3, v[0:1]
	s_delay_alu instid0(VALU_DEP_2) | instskip(NEXT) | instid1(VALU_DEP_3)
	v_dual_ashrrev_i32 v137, 31, v136 :: v_dual_add_nc_u32 v138, s2, v118
	v_lshl_add_u64 v[120:121], v[120:121], 3, v[0:1]
	s_delay_alu instid0(VALU_DEP_2) | instskip(NEXT) | instid1(VALU_DEP_1)
	v_add_nc_u32_e32 v124, s2, v138
	v_add_nc_u32_e32 v114, s2, v124
	s_delay_alu instid0(VALU_DEP_1) | instskip(NEXT) | instid1(VALU_DEP_1)
	v_add_nc_u32_e32 v116, s2, v114
	v_dual_add_nc_u32 v4, s2, v116 :: v_dual_ashrrev_i32 v139, 31, v138
	v_ashrrev_i32_e32 v125, 31, v124
	s_delay_alu instid0(VALU_DEP_2) | instskip(SKIP_1) | instid1(VALU_DEP_2)
	v_dual_add_nc_u32 v122, s2, v4 :: v_dual_ashrrev_i32 v115, 31, v114
	v_ashrrev_i32_e32 v117, 31, v116
	v_dual_ashrrev_i32 v5, 31, v4 :: v_dual_add_nc_u32 v110, s2, v122
	v_ashrrev_i32_e32 v123, 31, v122
	s_delay_alu instid0(VALU_DEP_2) | instskip(NEXT) | instid1(VALU_DEP_3)
	v_lshl_add_u64 v[4:5], v[4:5], 3, v[0:1]
	v_add_nc_u32_e32 v126, s2, v110
	s_delay_alu instid0(VALU_DEP_1) | instskip(NEXT) | instid1(VALU_DEP_1)
	v_add_nc_u32_e32 v108, s2, v126
	v_dual_ashrrev_i32 v131, 31, v130 :: v_dual_add_nc_u32 v128, s2, v108
	s_delay_alu instid0(VALU_DEP_1)
	v_lshl_add_u64 v[106:107], v[130:131], 3, v[0:1]
	s_clause 0x1
	global_store_b64 v[106:107], v[88:89], off
	global_store_b64 v[112:113], v[86:87], off
	v_add_nc_u32_e32 v130, s2, v128
	s_wait_xcnt 0x1
	v_lshl_add_u64 v[106:107], v[134:135], 3, v[0:1]
	s_wait_xcnt 0x0
	v_lshl_add_u64 v[112:113], v[136:137], 3, v[0:1]
	v_dual_ashrrev_i32 v127, 31, v126 :: v_dual_ashrrev_i32 v109, 31, v108
	v_dual_add_nc_u32 v86, s2, v130 :: v_dual_ashrrev_i32 v129, 31, v128
	s_delay_alu instid0(VALU_DEP_1) | instskip(NEXT) | instid1(VALU_DEP_1)
	v_add_nc_u32_e32 v88, s2, v86
	v_dual_ashrrev_i32 v119, 31, v118 :: v_dual_add_nc_u32 v132, s2, v88
	s_delay_alu instid0(VALU_DEP_1)
	v_lshl_add_u64 v[118:119], v[118:119], 3, v[0:1]
	s_clause 0x3
	global_store_b64 v[106:107], v[104:105], off
	global_store_b64 v[112:113], v[100:101], off
	;; [unrolled: 1-line block ×4, first 2 shown]
	s_wait_xcnt 0x1
	v_lshl_add_u64 v[102:103], v[138:139], 3, v[0:1]
	s_wait_xcnt 0x0
	v_add_nc_u32_e32 v98, s2, v132
	v_lshl_add_u64 v[106:107], v[114:115], 3, v[0:1]
	v_lshl_add_u64 v[104:105], v[124:125], 3, v[0:1]
	;; [unrolled: 1-line block ×3, first 2 shown]
	s_clause 0x3
	global_store_b64 v[102:103], v[96:97], off
	global_store_b64 v[104:105], v[92:93], off
	;; [unrolled: 1-line block ×4, first 2 shown]
	v_add_nc_u32_e32 v100, s2, v98
	s_wait_xcnt 0x1
	v_lshl_add_u64 v[94:95], v[122:123], 3, v[0:1]
	v_lshl_add_u64 v[102:103], v[126:127], 3, v[0:1]
	v_dual_ashrrev_i32 v87, 31, v86 :: v_dual_ashrrev_i32 v89, 31, v88
	v_add_nc_u32_e32 v114, s2, v100
	v_ashrrev_i32_e32 v133, 31, v132
	v_ashrrev_i32_e32 v101, 31, v100
	s_delay_alu instid0(VALU_DEP_4) | instskip(SKIP_2) | instid1(VALU_DEP_1)
	v_lshl_add_u64 v[86:87], v[86:87], 3, v[0:1]
	s_wait_xcnt 0x0
	v_add_nc_u32_e32 v90, s2, v114
	v_add_nc_u32_e32 v92, s2, v90
	s_delay_alu instid0(VALU_DEP_1) | instskip(SKIP_1) | instid1(VALU_DEP_1)
	v_dual_ashrrev_i32 v115, 31, v114 :: v_dual_ashrrev_i32 v93, 31, v92
	v_dual_add_nc_u32 v104, s2, v92 :: v_dual_ashrrev_i32 v111, 31, v110
	v_dual_ashrrev_i32 v91, 31, v90 :: v_dual_ashrrev_i32 v105, 31, v104
	s_delay_alu instid0(VALU_DEP_2)
	v_lshl_add_u64 v[96:97], v[110:111], 3, v[0:1]
	s_clause 0x3
	global_store_b64 v[4:5], v[84:85], off
	global_store_b64 v[94:95], v[80:81], off
	;; [unrolled: 1-line block ×4, first 2 shown]
	s_wait_xcnt 0x3
	v_dual_add_nc_u32 v4, s2, v104 :: v_dual_ashrrev_i32 v131, 31, v130
	s_wait_xcnt 0x2
	v_lshl_add_u64 v[80:81], v[108:109], 3, v[0:1]
	s_wait_xcnt 0x1
	v_lshl_add_u64 v[82:83], v[128:129], 3, v[0:1]
	s_wait_xcnt 0x0
	v_add_nc_u32_e32 v78, s2, v4
	v_lshl_add_u64 v[84:85], v[130:131], 3, v[0:1]
	s_clause 0x3
	global_store_b64 v[80:81], v[76:77], off
	global_store_b64 v[82:83], v[72:73], off
	;; [unrolled: 1-line block ×4, first 2 shown]
	v_add_nc_u32_e32 v94, s2, v78
	s_wait_xcnt 0x1
	v_lshl_add_u64 v[74:75], v[88:89], 3, v[0:1]
	v_lshl_add_u64 v[76:77], v[132:133], 3, v[0:1]
	;; [unrolled: 1-line block ×3, first 2 shown]
	v_dual_ashrrev_i32 v5, 31, v4 :: v_dual_ashrrev_i32 v95, 31, v94
	s_wait_xcnt 0x0
	v_add_nc_u32_e32 v70, s2, v94
	v_ashrrev_i32_e32 v79, 31, v78
	s_delay_alu instid0(VALU_DEP_3) | instskip(NEXT) | instid1(VALU_DEP_3)
	v_lshl_add_u64 v[4:5], v[4:5], 3, v[0:1]
	v_add_nc_u32_e32 v72, s2, v70
	s_delay_alu instid0(VALU_DEP_1) | instskip(NEXT) | instid1(VALU_DEP_1)
	v_dual_ashrrev_i32 v99, 31, v98 :: v_dual_add_nc_u32 v84, s2, v72
	v_lshl_add_u64 v[80:81], v[98:99], 3, v[0:1]
	s_clause 0x3
	global_store_b64 v[74:75], v[68:69], off
	global_store_b64 v[76:77], v[64:65], off
	;; [unrolled: 1-line block ×4, first 2 shown]
	s_wait_xcnt 0x0
	v_add_nc_u32_e32 v62, s2, v84
	v_lshl_add_u64 v[66:67], v[114:115], 3, v[0:1]
	v_lshl_add_u64 v[68:69], v[90:91], 3, v[0:1]
	;; [unrolled: 1-line block ×4, first 2 shown]
	v_add_nc_u32_e32 v64, s2, v62
	s_clause 0x3
	global_store_b64 v[66:67], v[60:61], off
	global_store_b64 v[68:69], v[56:57], off
	;; [unrolled: 1-line block ×4, first 2 shown]
	s_wait_xcnt 0x1
	v_lshl_add_u64 v[58:59], v[78:79], 3, v[0:1]
	v_lshl_add_u64 v[60:61], v[94:95], 3, v[0:1]
	v_dual_ashrrev_i32 v73, 31, v72 :: v_dual_ashrrev_i32 v63, 31, v62
	v_add_nc_u32_e32 v80, s2, v64
	s_wait_xcnt 0x0
	s_delay_alu instid0(VALU_DEP_1) | instskip(NEXT) | instid1(VALU_DEP_1)
	v_add_nc_u32_e32 v54, s2, v80
	v_dual_ashrrev_i32 v65, 31, v64 :: v_dual_ashrrev_i32 v55, 31, v54
	v_add_nc_u32_e32 v56, s2, v54
	s_delay_alu instid0(VALU_DEP_1) | instskip(NEXT) | instid1(VALU_DEP_1)
	v_dual_ashrrev_i32 v71, 31, v70 :: v_dual_add_nc_u32 v68, s2, v56
	v_lshl_add_u64 v[66:67], v[70:71], 3, v[0:1]
	s_clause 0x3
	global_store_b64 v[4:5], v[52:53], off
	global_store_b64 v[58:59], v[48:49], off
	;; [unrolled: 1-line block ×4, first 2 shown]
	s_wait_xcnt 0x2
	v_lshl_add_u64 v[48:49], v[72:73], 3, v[0:1]
	v_add_nc_u32_e32 v4, s2, v68
	v_lshl_add_u64 v[52:53], v[62:63], 3, v[0:1]
	v_lshl_add_u64 v[58:59], v[64:65], 3, v[0:1]
	v_ashrrev_i32_e32 v57, 31, v56
	v_ashrrev_i32_e32 v69, 31, v68
	s_wait_xcnt 0x0
	v_add_nc_u32_e32 v46, s2, v4
	s_delay_alu instid0(VALU_DEP_1) | instskip(NEXT) | instid1(VALU_DEP_1)
	v_dual_ashrrev_i32 v85, 31, v84 :: v_dual_add_nc_u32 v60, s2, v46
	v_lshl_add_u64 v[50:51], v[84:85], 3, v[0:1]
	s_clause 0x3
	global_store_b64 v[48:49], v[44:45], off
	global_store_b64 v[50:51], v[40:41], off
	;; [unrolled: 1-line block ×4, first 2 shown]
	s_wait_xcnt 0x0
	v_add_nc_u32_e32 v38, s2, v60
	v_lshl_add_u64 v[44:45], v[54:55], 3, v[0:1]
	v_lshl_add_u64 v[48:49], v[56:57], 3, v[0:1]
	;; [unrolled: 1-line block ×3, first 2 shown]
	s_delay_alu instid0(VALU_DEP_4) | instskip(SKIP_1) | instid1(VALU_DEP_2)
	v_add_nc_u32_e32 v40, s2, v38
	v_dual_ashrrev_i32 v47, 31, v46 :: v_dual_ashrrev_i32 v81, 31, v80
	v_dual_ashrrev_i32 v39, 31, v38 :: v_dual_add_nc_u32 v52, s2, v40
	v_ashrrev_i32_e32 v41, 31, v40
	s_delay_alu instid0(VALU_DEP_3)
	v_lshl_add_u64 v[42:43], v[80:81], 3, v[0:1]
	s_clause 0x3
	global_store_b64 v[42:43], v[36:37], off
	global_store_b64 v[44:45], v[32:33], off
	;; [unrolled: 1-line block ×4, first 2 shown]
	s_wait_xcnt 0x0
	v_dual_add_nc_u32 v30, s2, v52 :: v_dual_ashrrev_i32 v53, 31, v52
	v_ashrrev_i32_e32 v5, 31, v4
	v_lshl_add_u64 v[34:35], v[46:47], 3, v[0:1]
	v_lshl_add_u64 v[38:39], v[38:39], 3, v[0:1]
	s_delay_alu instid0(VALU_DEP_4) | instskip(NEXT) | instid1(VALU_DEP_4)
	v_dual_add_nc_u32 v32, s2, v30 :: v_dual_ashrrev_i32 v31, 31, v30
	v_lshl_add_u64 v[4:5], v[4:5], 3, v[0:1]
	s_delay_alu instid0(VALU_DEP_2) | instskip(NEXT) | instid1(VALU_DEP_1)
	v_dual_add_nc_u32 v42, s2, v32 :: v_dual_ashrrev_i32 v33, 31, v32
	v_dual_ashrrev_i32 v61, 31, v60 :: v_dual_ashrrev_i32 v43, 31, v42
	s_delay_alu instid0(VALU_DEP_1)
	v_lshl_add_u64 v[36:37], v[60:61], 3, v[0:1]
	s_clause 0x3
	global_store_b64 v[4:5], v[26:27], off
	global_store_b64 v[34:35], v[22:23], off
	;; [unrolled: 1-line block ×4, first 2 shown]
	s_wait_xcnt 0x3
	v_add_nc_u32_e32 v4, s2, v42
	s_wait_xcnt 0x2
	v_lshl_add_u64 v[22:23], v[40:41], 3, v[0:1]
	v_lshl_add_u64 v[26:27], v[30:31], 3, v[0:1]
	;; [unrolled: 1-line block ×3, first 2 shown]
	s_wait_xcnt 0x1
	v_lshl_add_u64 v[24:25], v[52:53], 3, v[0:1]
	s_wait_xcnt 0x0
	v_dual_add_nc_u32 v20, s2, v4 :: v_dual_ashrrev_i32 v5, 31, v4
	s_clause 0x3
	global_store_b64 v[22:23], v[14:15], off
	global_store_b64 v[24:25], v[10:11], off
	;; [unrolled: 1-line block ×4, first 2 shown]
	s_wait_xcnt 0x2
	v_lshl_add_u64 v[10:11], v[42:43], 3, v[0:1]
	v_dual_add_nc_u32 v32, s2, v20 :: v_dual_ashrrev_i32 v21, 31, v20
	v_lshl_add_u64 v[4:5], v[4:5], 3, v[0:1]
	s_wait_xcnt 0x0
	s_delay_alu instid0(VALU_DEP_2) | instskip(NEXT) | instid1(VALU_DEP_3)
	v_dual_add_nc_u32 v8, s2, v32 :: v_dual_ashrrev_i32 v33, 31, v32
	v_lshl_add_u64 v[12:13], v[20:21], 3, v[0:1]
	s_delay_alu instid0(VALU_DEP_2) | instskip(NEXT) | instid1(VALU_DEP_3)
	v_ashrrev_i32_e32 v9, 31, v8
	v_lshl_add_u64 v[14:15], v[32:33], 3, v[0:1]
	s_delay_alu instid0(VALU_DEP_2)
	v_lshl_add_u64 v[0:1], v[8:9], 3, v[0:1]
	s_clause 0x4
	global_store_b64 v[10:11], v[6:7], off
	global_store_b64 v[4:5], v[28:29], off
	;; [unrolled: 1-line block ×5, first 2 shown]
.LBB112_1198:
	s_sendmsg sendmsg(MSG_DEALLOC_VGPRS)
	s_endpgm
	.section	.rodata,"a",@progbits
	.p2align	6, 0x0
	.amdhsa_kernel _ZN9rocsolver6v33100L18getf2_small_kernelILi57E19rocblas_complex_numIfEiiPS3_EEvT1_T3_lS5_lPS5_llPT2_S5_S5_S7_l
		.amdhsa_group_segment_fixed_size 0
		.amdhsa_private_segment_fixed_size 0
		.amdhsa_kernarg_size 352
		.amdhsa_user_sgpr_count 2
		.amdhsa_user_sgpr_dispatch_ptr 0
		.amdhsa_user_sgpr_queue_ptr 0
		.amdhsa_user_sgpr_kernarg_segment_ptr 1
		.amdhsa_user_sgpr_dispatch_id 0
		.amdhsa_user_sgpr_kernarg_preload_length 0
		.amdhsa_user_sgpr_kernarg_preload_offset 0
		.amdhsa_user_sgpr_private_segment_size 0
		.amdhsa_wavefront_size32 1
		.amdhsa_uses_dynamic_stack 0
		.amdhsa_enable_private_segment 0
		.amdhsa_system_sgpr_workgroup_id_x 1
		.amdhsa_system_sgpr_workgroup_id_y 1
		.amdhsa_system_sgpr_workgroup_id_z 0
		.amdhsa_system_sgpr_workgroup_info 0
		.amdhsa_system_vgpr_workitem_id 1
		.amdhsa_next_free_vgpr 144
		.amdhsa_next_free_sgpr 19
		.amdhsa_named_barrier_count 0
		.amdhsa_reserve_vcc 1
		.amdhsa_float_round_mode_32 0
		.amdhsa_float_round_mode_16_64 0
		.amdhsa_float_denorm_mode_32 3
		.amdhsa_float_denorm_mode_16_64 3
		.amdhsa_fp16_overflow 0
		.amdhsa_memory_ordered 1
		.amdhsa_forward_progress 1
		.amdhsa_inst_pref_size 255
		.amdhsa_round_robin_scheduling 0
		.amdhsa_exception_fp_ieee_invalid_op 0
		.amdhsa_exception_fp_denorm_src 0
		.amdhsa_exception_fp_ieee_div_zero 0
		.amdhsa_exception_fp_ieee_overflow 0
		.amdhsa_exception_fp_ieee_underflow 0
		.amdhsa_exception_fp_ieee_inexact 0
		.amdhsa_exception_int_div_zero 0
	.end_amdhsa_kernel
	.section	.text._ZN9rocsolver6v33100L18getf2_small_kernelILi57E19rocblas_complex_numIfEiiPS3_EEvT1_T3_lS5_lPS5_llPT2_S5_S5_S7_l,"axG",@progbits,_ZN9rocsolver6v33100L18getf2_small_kernelILi57E19rocblas_complex_numIfEiiPS3_EEvT1_T3_lS5_lPS5_llPT2_S5_S5_S7_l,comdat
.Lfunc_end112:
	.size	_ZN9rocsolver6v33100L18getf2_small_kernelILi57E19rocblas_complex_numIfEiiPS3_EEvT1_T3_lS5_lPS5_llPT2_S5_S5_S7_l, .Lfunc_end112-_ZN9rocsolver6v33100L18getf2_small_kernelILi57E19rocblas_complex_numIfEiiPS3_EEvT1_T3_lS5_lPS5_llPT2_S5_S5_S7_l
                                        ; -- End function
	.set _ZN9rocsolver6v33100L18getf2_small_kernelILi57E19rocblas_complex_numIfEiiPS3_EEvT1_T3_lS5_lPS5_llPT2_S5_S5_S7_l.num_vgpr, 144
	.set _ZN9rocsolver6v33100L18getf2_small_kernelILi57E19rocblas_complex_numIfEiiPS3_EEvT1_T3_lS5_lPS5_llPT2_S5_S5_S7_l.num_agpr, 0
	.set _ZN9rocsolver6v33100L18getf2_small_kernelILi57E19rocblas_complex_numIfEiiPS3_EEvT1_T3_lS5_lPS5_llPT2_S5_S5_S7_l.numbered_sgpr, 19
	.set _ZN9rocsolver6v33100L18getf2_small_kernelILi57E19rocblas_complex_numIfEiiPS3_EEvT1_T3_lS5_lPS5_llPT2_S5_S5_S7_l.num_named_barrier, 0
	.set _ZN9rocsolver6v33100L18getf2_small_kernelILi57E19rocblas_complex_numIfEiiPS3_EEvT1_T3_lS5_lPS5_llPT2_S5_S5_S7_l.private_seg_size, 0
	.set _ZN9rocsolver6v33100L18getf2_small_kernelILi57E19rocblas_complex_numIfEiiPS3_EEvT1_T3_lS5_lPS5_llPT2_S5_S5_S7_l.uses_vcc, 1
	.set _ZN9rocsolver6v33100L18getf2_small_kernelILi57E19rocblas_complex_numIfEiiPS3_EEvT1_T3_lS5_lPS5_llPT2_S5_S5_S7_l.uses_flat_scratch, 0
	.set _ZN9rocsolver6v33100L18getf2_small_kernelILi57E19rocblas_complex_numIfEiiPS3_EEvT1_T3_lS5_lPS5_llPT2_S5_S5_S7_l.has_dyn_sized_stack, 0
	.set _ZN9rocsolver6v33100L18getf2_small_kernelILi57E19rocblas_complex_numIfEiiPS3_EEvT1_T3_lS5_lPS5_llPT2_S5_S5_S7_l.has_recursion, 0
	.set _ZN9rocsolver6v33100L18getf2_small_kernelILi57E19rocblas_complex_numIfEiiPS3_EEvT1_T3_lS5_lPS5_llPT2_S5_S5_S7_l.has_indirect_call, 0
	.section	.AMDGPU.csdata,"",@progbits
; Kernel info:
; codeLenInByte = 149420
; TotalNumSgprs: 21
; NumVgprs: 144
; ScratchSize: 0
; MemoryBound: 0
; FloatMode: 240
; IeeeMode: 1
; LDSByteSize: 0 bytes/workgroup (compile time only)
; SGPRBlocks: 0
; VGPRBlocks: 8
; NumSGPRsForWavesPerEU: 21
; NumVGPRsForWavesPerEU: 144
; NamedBarCnt: 0
; Occupancy: 7
; WaveLimiterHint : 0
; COMPUTE_PGM_RSRC2:SCRATCH_EN: 0
; COMPUTE_PGM_RSRC2:USER_SGPR: 2
; COMPUTE_PGM_RSRC2:TRAP_HANDLER: 0
; COMPUTE_PGM_RSRC2:TGID_X_EN: 1
; COMPUTE_PGM_RSRC2:TGID_Y_EN: 1
; COMPUTE_PGM_RSRC2:TGID_Z_EN: 0
; COMPUTE_PGM_RSRC2:TIDIG_COMP_CNT: 1
	.section	.text._ZN9rocsolver6v33100L23getf2_npvt_small_kernelILi57E19rocblas_complex_numIfEiiPS3_EEvT1_T3_lS5_lPT2_S5_S5_,"axG",@progbits,_ZN9rocsolver6v33100L23getf2_npvt_small_kernelILi57E19rocblas_complex_numIfEiiPS3_EEvT1_T3_lS5_lPT2_S5_S5_,comdat
	.globl	_ZN9rocsolver6v33100L23getf2_npvt_small_kernelILi57E19rocblas_complex_numIfEiiPS3_EEvT1_T3_lS5_lPT2_S5_S5_ ; -- Begin function _ZN9rocsolver6v33100L23getf2_npvt_small_kernelILi57E19rocblas_complex_numIfEiiPS3_EEvT1_T3_lS5_lPT2_S5_S5_
	.p2align	8
	.type	_ZN9rocsolver6v33100L23getf2_npvt_small_kernelILi57E19rocblas_complex_numIfEiiPS3_EEvT1_T3_lS5_lPT2_S5_S5_,@function
_ZN9rocsolver6v33100L23getf2_npvt_small_kernelILi57E19rocblas_complex_numIfEiiPS3_EEvT1_T3_lS5_lPT2_S5_S5_: ; @_ZN9rocsolver6v33100L23getf2_npvt_small_kernelILi57E19rocblas_complex_numIfEiiPS3_EEvT1_T3_lS5_lPT2_S5_S5_
; %bb.0:
	s_clause 0x1
	s_load_u16 s14, s[0:1], 0x46
	s_load_b64 s[2:3], s[0:1], 0x30
	s_bfe_u32 s4, ttmp6, 0x40010
	s_bfe_u32 s5, ttmp6, 0x40004
	s_add_co_i32 s4, s4, 1
	s_getreg_b32 s6, hwreg(HW_REG_IB_STS2, 6, 4)
	s_mul_i32 s4, ttmp7, s4
	v_bfe_u32 v50, v0, 10, 10
	s_add_co_i32 s5, s5, s4
	s_cmp_eq_u32 s6, 0
	s_cselect_b32 s4, ttmp7, s5
	s_wait_kmcnt 0x0
	v_mad_u32 v84, s4, s14, v50
	s_delay_alu instid0(VALU_DEP_1)
	v_cmp_gt_i32_e32 vcc_lo, s2, v84
	s_and_saveexec_b32 s2, vcc_lo
	s_cbranch_execnz .LBB113_1
; %bb.517:
	s_add_pc_i64 .LBB113_516-.Lpost_addpc5
.Lpost_addpc5:
.LBB113_1:
	s_clause 0x1
	s_load_b32 s12, s[0:1], 0x18
	s_load_b128 s[8:11], s[0:1], 0x8
	v_and_b32_e32 v180, 0x3ff, v0
	s_load_b128 s[4:7], s[0:1], 0x20
	s_mulk_i32 s14, 0x1c8
	v_mad_u32_u24 v182, 0x1c8, v50, 0
	v_mov_b32_e32 v35, 0
	s_wait_xcnt 0x0
	v_cmp_ne_u32_e64 s1, 0, v180
	v_cmp_eq_u32_e64 s0, 0, v180
	v_lshlrev_b32_e32 v34, 3, v180
	s_wait_kmcnt 0x0
	v_add3_u32 v28, s12, s12, v180
	s_ashr_i32 s13, s12, 31
	s_delay_alu instid0(VALU_DEP_1) | instskip(NEXT) | instid1(VALU_DEP_1)
	v_add_nc_u32_e32 v20, s12, v28
	v_add_nc_u32_e32 v22, s12, v20
	s_delay_alu instid0(VALU_DEP_1) | instskip(NEXT) | instid1(VALU_DEP_1)
	v_add_nc_u32_e32 v24, s12, v22
	v_add_nc_u32_e32 v26, s12, v24
	s_delay_alu instid0(VALU_DEP_1) | instskip(SKIP_1) | instid1(VALU_DEP_2)
	v_dual_add_nc_u32 v14, s12, v26 :: v_dual_ashrrev_i32 v21, 31, v20
	v_ashrrev_i32_e32 v23, 31, v22
	v_dual_add_nc_u32 v18, s12, v14 :: v_dual_ashrrev_i32 v29, 31, v28
	v_ashrrev_i32_e32 v27, 31, v26
	v_ashrrev_i32_e32 v15, 31, v14
	s_delay_alu instid0(VALU_DEP_3) | instskip(NEXT) | instid1(VALU_DEP_1)
	v_dual_add_nc_u32 v12, s12, v18 :: v_dual_ashrrev_i32 v19, 31, v18
	v_add_nc_u32_e32 v8, s12, v12
	s_delay_alu instid0(VALU_DEP_1) | instskip(NEXT) | instid1(VALU_DEP_1)
	v_add_nc_u32_e32 v0, s12, v8
	v_dual_add_nc_u32 v4, s12, v0 :: v_dual_ashrrev_i32 v1, 31, v0
	s_delay_alu instid0(VALU_DEP_1) | instskip(NEXT) | instid1(VALU_DEP_1)
	v_add_nc_u32_e32 v2, s12, v4
	v_add_nc_u32_e32 v6, s12, v2
	s_delay_alu instid0(VALU_DEP_1) | instskip(NEXT) | instid1(VALU_DEP_1)
	v_dual_add_nc_u32 v10, s12, v6 :: v_dual_ashrrev_i32 v7, 31, v6
	v_dual_add_nc_u32 v30, s12, v10 :: v_dual_ashrrev_i32 v85, 31, v84
	v_dual_ashrrev_i32 v9, 31, v8 :: v_dual_ashrrev_i32 v3, 31, v2
	s_delay_alu instid0(VALU_DEP_2) | instskip(SKIP_1) | instid1(VALU_DEP_4)
	v_dual_ashrrev_i32 v5, 31, v4 :: v_dual_ashrrev_i32 v31, 31, v30
	v_add_nc_u32_e32 v32, s12, v30
	v_mul_u64_e32 v[16:17], s[4:5], v[84:85]
	s_delay_alu instid0(VALU_DEP_2) | instskip(NEXT) | instid1(VALU_DEP_1)
	v_dual_ashrrev_i32 v11, 31, v10 :: v_dual_add_nc_u32 v42, s12, v32
	v_dual_ashrrev_i32 v33, 31, v32 :: v_dual_ashrrev_i32 v43, 31, v42
	v_add_nc_u32_e32 v48, s12, v42
	s_delay_alu instid0(VALU_DEP_1) | instskip(NEXT) | instid1(VALU_DEP_1)
	v_add_nc_u32_e32 v52, s12, v48
	v_add_nc_u32_e32 v66, s12, v52
	v_ashrrev_i32_e32 v25, 31, v24
	s_delay_alu instid0(VALU_DEP_2) | instskip(SKIP_2) | instid1(VALU_DEP_1)
	v_dual_ashrrev_i32 v53, 31, v52 :: v_dual_ashrrev_i32 v67, 31, v66
	v_dual_add_nc_u32 v70, s12, v66 :: v_dual_ashrrev_i32 v13, 31, v12
	v_lshl_add_u64 v[16:17], v[16:17], 3, s[8:9]
	v_lshl_add_u64 v[68:69], s[10:11], 3, v[16:17]
	s_delay_alu instid0(VALU_DEP_1) | instskip(NEXT) | instid1(VALU_DEP_4)
	v_lshl_add_u64 v[202:203], v[28:29], 3, v[68:69]
	v_add_nc_u32_e32 v28, s12, v70
	v_lshl_add_u64 v[230:231], v[12:13], 3, v[68:69]
	v_lshl_add_u64 v[204:205], v[14:15], 3, v[68:69]
	;; [unrolled: 1-line block ×4, first 2 shown]
	v_add_nc_u32_e32 v72, s12, v28
	v_lshl_add_u64 v[236:237], v[4:5], 3, v[68:69]
	v_lshl_add_u64 v[240:241], v[2:3], 3, v[68:69]
	;; [unrolled: 1-line block ×4, first 2 shown]
	v_add_nc_u32_e32 v12, s12, v72
	v_lshl_add_u64 v[246:247], v[30:31], 3, v[68:69]
	v_lshl_add_u64 v[248:249], v[32:33], 3, v[68:69]
	v_add_nc_u64_e32 v[16:17], v[68:69], v[34:35]
	v_lshl_add_u64 v[250:251], v[42:43], 3, v[68:69]
	v_add_nc_u32_e32 v14, s12, v12
	v_lshl_add_u64 v[210:211], v[22:23], 3, v[68:69]
	v_lshl_add_u64 v[244:245], v[10:11], 3, v[68:69]
	v_lshl_add_u64 v[190:191], v[24:25], 3, v[68:69]
	v_lshl_add_u64 v[192:193], v[26:27], 3, v[68:69]
	v_dual_add_nc_u32 v8, s12, v14 :: v_dual_ashrrev_i32 v15, 31, v14
	v_lshl_add_u64 v[238:239], s[12:13], 3, v[16:17]
	v_lshl_add_u64 v[208:209], v[20:21], 3, v[68:69]
	s_clause 0x3
	global_load_b64 v[26:27], v[210:211], off
	global_load_b64 v[22:23], v[190:191], off
	;; [unrolled: 1-line block ×4, first 2 shown]
	v_dual_add_nc_u32 v0, s12, v8 :: v_dual_ashrrev_i32 v9, 31, v8
	v_lshl_add_u64 v[14:15], v[14:15], 3, v[68:69]
	s_clause 0x7
	global_load_b64 v[54:55], v[16:17], off
	global_load_b64 v[56:57], v[238:239], off
	;; [unrolled: 1-line block ×8, first 2 shown]
	v_add_nc_u32_e32 v4, s12, v0
	s_clause 0x3
	global_load_b64 v[64:65], v[236:237], off
	global_load_b64 v[60:61], v[240:241], off
	;; [unrolled: 1-line block ×4, first 2 shown]
	v_lshl_add_u64 v[254:255], v[52:53], 3, v[68:69]
	v_lshl_add_u64 v[8:9], v[8:9], 3, v[68:69]
	v_ashrrev_i32_e32 v29, 31, v28
	v_add_nc_u32_e32 v2, s12, v4
	s_delay_alu instid0(VALU_DEP_1) | instskip(NEXT) | instid1(VALU_DEP_1)
	v_dual_ashrrev_i32 v73, 31, v72 :: v_dual_add_nc_u32 v6, s12, v2
	v_dual_ashrrev_i32 v1, 31, v0 :: v_dual_add_nc_u32 v10, s12, v6
	v_ashrrev_i32_e32 v49, 31, v48
	v_dual_ashrrev_i32 v5, 31, v4 :: v_dual_ashrrev_i32 v3, 31, v2
	v_ashrrev_i32_e32 v7, 31, v6
	s_delay_alu instid0(VALU_DEP_4) | instskip(NEXT) | instid1(VALU_DEP_4)
	v_add_nc_u32_e32 v18, s12, v10
	v_lshl_add_u64 v[252:253], v[48:49], 3, v[68:69]
	v_lshl_add_u64 v[48:49], v[66:67], 3, v[68:69]
	;; [unrolled: 1-line block ×3, first 2 shown]
	s_clause 0x3
	global_load_b64 v[80:81], v[246:247], off
	global_load_b64 v[76:77], v[248:249], off
	;; [unrolled: 1-line block ×4, first 2 shown]
	v_dual_add_nc_u32 v30, s12, v18 :: v_dual_ashrrev_i32 v19, 31, v18
	s_clause 0x2
	global_load_b64 v[94:95], v[48:49], off
	global_load_b64 v[112:113], v[14:15], off
	;; [unrolled: 1-line block ×3, first 2 shown]
	v_add_nc_u32_e32 v32, s12, v30
	v_ashrrev_i32_e32 v71, 31, v70
	v_lshl_add_u64 v[18:19], v[18:19], 3, v[68:69]
	global_load_b64 v[108:109], v[8:9], off
	v_dual_ashrrev_i32 v11, 31, v10 :: v_dual_add_nc_u32 v42, s12, v32
	v_ashrrev_i32_e32 v33, 31, v32
	v_ashrrev_i32_e32 v13, 31, v12
	v_lshl_add_u64 v[52:53], v[70:71], 3, v[68:69]
	scratch_store_b64 off, v[48:49], off    ; 8-byte Folded Spill
	v_dual_add_nc_u32 v28, s12, v42 :: v_dual_ashrrev_i32 v43, 31, v42
	v_lshl_add_u64 v[32:33], v[32:33], 3, v[68:69]
	global_load_b64 v[142:143], v[18:19], off
	scratch_store_b64 off, v[52:53], off offset:8 ; 8-byte Folded Spill
	global_load_b64 v[96:97], v[52:53], off
	v_lshl_add_u64 v[42:43], v[42:43], 3, v[68:69]
	global_load_b64 v[140:141], v[32:33], off
	s_wait_xcnt 0x4
	v_add_nc_u32_e32 v48, s12, v28
	v_lshl_add_u64 v[70:71], v[72:73], 3, v[68:69]
	scratch_store_b64 off, v[66:67], off offset:16 ; 8-byte Folded Spill
	global_load_b64 v[162:163], v[42:43], off
	s_wait_xcnt 0x3
	v_lshl_add_u64 v[52:53], v[12:13], 3, v[68:69]
	v_add_nc_u32_e32 v12, s12, v48
	s_wait_xcnt 0x1
	v_lshl_add_u64 v[66:67], v[0:1], 3, v[68:69]
	v_lshl_add_u64 v[6:7], v[6:7], 3, v[68:69]
	s_clause 0x3
	scratch_store_b64 off, v[14:15], off offset:40
	scratch_store_b64 off, v[52:53], off offset:32
	;; [unrolled: 1-line block ×4, first 2 shown]
	v_dual_ashrrev_i32 v13, 31, v12 :: v_dual_add_nc_u32 v0, s12, v12
	s_wait_xcnt 0x3
	v_lshl_add_u64 v[14:15], v[4:5], 3, v[68:69]
	s_clause 0x1
	global_load_b64 v[114:115], v[70:71], off
	global_load_b64 v[110:111], v[52:53], off
	v_lshl_add_u64 v[12:13], v[12:13], 3, v[68:69]
	s_wait_xcnt 0x0
	v_lshl_add_u64 v[52:53], v[2:3], 3, v[68:69]
	v_ashrrev_i32_e32 v31, 31, v30
	scratch_store_b64 off, v[70:71], off offset:24 ; 8-byte Folded Spill
	s_wait_xcnt 0x0
	v_lshl_add_u64 v[70:71], v[10:11], 3, v[68:69]
	s_clause 0x1
	global_load_b64 v[156:157], v[12:13], off
	global_load_b64 v[124:125], v[6:7], off
	v_add_nc_u32_e32 v8, s12, v0
	s_clause 0x3
	scratch_store_b64 off, v[14:15], off offset:64
	scratch_store_b64 off, v[52:53], off offset:72
	;; [unrolled: 1-line block ×4, first 2 shown]
	v_add_nc_u32_e32 v4, s12, v8
	v_lshl_add_u64 v[30:31], v[30:31], 3, v[68:69]
	v_ashrrev_i32_e32 v49, 31, v48
	s_clause 0x3
	scratch_store_b64 off, v[18:19], off offset:96
	scratch_store_b64 off, v[32:33], off offset:112
	;; [unrolled: 1-line block ×4, first 2 shown]
	v_dual_ashrrev_i32 v5, 31, v4 :: v_dual_add_nc_u32 v2, s12, v4
	s_wait_xcnt 0x2
	v_lshl_add_u64 v[32:33], v[48:49], 3, v[68:69]
	s_clause 0x1
	global_load_b64 v[126:127], v[14:15], off
	global_load_b64 v[144:145], v[30:31], off
	v_lshl_add_u64 v[4:5], v[4:5], 3, v[68:69]
	v_ashrrev_i32_e32 v29, 31, v28
	global_load_b64 v[160:161], v[32:33], off
	v_dual_ashrrev_i32 v9, 31, v8 :: v_dual_ashrrev_i32 v3, 31, v2
	global_load_b64 v[176:177], v[4:5], off
	v_dual_add_nc_u32 v6, s12, v2 :: v_dual_ashrrev_i32 v1, 31, v0
	scratch_store_b64 off, v[32:33], off offset:136 ; 8-byte Folded Spill
	s_clause 0x1
	global_load_b64 v[128:129], v[52:53], off
	global_load_b64 v[146:147], v[70:71], off
	v_add_nc_u32_e32 v10, s12, v6
	v_lshl_add_u64 v[48:49], v[0:1], 3, v[68:69]
	scratch_store_b64 off, v[12:13], off offset:144 ; 8-byte Folded Spill
	v_ashrrev_i32_e32 v7, 31, v6
	s_clause 0x2
	global_load_b64 v[98:99], v[254:255], off
	global_load_b64 v[130:131], v[66:67], off
	;; [unrolled: 1-line block ×3, first 2 shown]
	s_wait_xcnt 0xa
	v_add_nc_u32_e32 v14, s12, v10
	s_wait_xcnt 0x9
	v_lshl_add_u64 v[30:31], v[28:29], 3, v[68:69]
	s_wait_xcnt 0x6
	v_lshl_add_u64 v[32:33], v[2:3], 3, v[68:69]
	scratch_store_b64 off, v[48:49], off offset:152 ; 8-byte Folded Spill
	v_ashrrev_i32_e32 v11, 31, v10
	v_add_nc_u32_e32 v18, s12, v14
	scratch_store_b64 off, v[30:31], off offset:128 ; 8-byte Folded Spill
	global_load_b64 v[158:159], v[30:31], off
	scratch_store_b64 off, v[4:5], off offset:168 ; 8-byte Folded Spill
	global_load_b64 v[172:173], v[32:33], off
	v_add_nc_u32_e32 v28, s12, v18
	s_delay_alu instid0(VALU_DEP_1) | instskip(SKIP_1) | instid1(VALU_DEP_2)
	v_dual_ashrrev_i32 v15, 31, v14 :: v_dual_add_nc_u32 v0, s12, v28
	v_dual_ashrrev_i32 v19, 31, v18 :: v_dual_ashrrev_i32 v29, 31, v28
	v_lshl_add_u64 v[14:15], v[14:15], 3, v[68:69]
	s_wait_xcnt 0x8
	s_delay_alu instid0(VALU_DEP_3) | instskip(NEXT) | instid1(VALU_DEP_3)
	v_add_nc_u32_e32 v12, s12, v0
	v_lshl_add_u64 v[18:19], v[18:19], 3, v[68:69]
	v_lshl_add_u64 v[28:29], v[28:29], 3, v[68:69]
	v_ashrrev_i32_e32 v1, 31, v0
	scratch_store_b64 off, v[14:15], off offset:200 ; 8-byte Folded Spill
	s_clause 0x2
	global_load_b64 v[198:199], v[14:15], off
	global_load_b64 v[194:195], v[18:19], off
	;; [unrolled: 1-line block ×3, first 2 shown]
	s_wait_xcnt 0x6
	v_lshl_add_u64 v[30:31], v[8:9], 3, v[68:69]
	v_add_nc_u32_e32 v8, s12, v12
	s_clause 0x2
	scratch_store_b64 off, v[18:19], off offset:208
	scratch_store_b64 off, v[28:29], off offset:216
	;; [unrolled: 1-line block ×3, first 2 shown]
	v_add_nc_u32_e32 v2, s12, v8
	global_load_b64 v[174:175], v[30:31], off
	s_wait_xcnt 0x0
	v_lshl_add_u64 v[30:31], v[10:11], 3, v[68:69]
	v_dual_ashrrev_i32 v9, 31, v8 :: v_dual_ashrrev_i32 v3, 31, v2
	v_add_nc_u32_e32 v4, s12, v2
	global_load_b64 v[196:197], v[30:31], off
	v_lshl_add_u64 v[42:43], v[6:7], 3, v[68:69]
	scratch_store_b64 off, v[30:31], off offset:192 ; 8-byte Folded Spill
	v_lshl_add_u64 v[8:9], v[8:9], 3, v[68:69]
	v_add_nc_u32_e32 v6, s12, v4
	v_ashrrev_i32_e32 v13, 31, v12
	v_lshl_add_u64 v[2:3], v[2:3], 3, v[68:69]
	s_clause 0x1
	global_load_b64 v[200:201], v[42:43], off
	global_load_b64 v[214:215], v[8:9], off
	v_add_nc_u32_e32 v10, s12, v6
	v_lshl_add_u64 v[12:13], v[12:13], 3, v[68:69]
	global_load_b64 v[220:221], v[2:3], off
	s_clause 0x1
	scratch_store_b64 off, v[32:33], off offset:176
	scratch_store_b64 off, v[42:43], off offset:184
	global_load_b64 v[222:223], v[12:13], off
	v_lshl_add_u64 v[14:15], v[0:1], 3, v[68:69]
	v_dual_add_nc_u32 v0, s12, v10 :: v_dual_ashrrev_i32 v5, 31, v4
	v_ashrrev_i32_e32 v7, 31, v6
	v_ashrrev_i32_e32 v11, 31, v10
	global_load_b64 v[216:217], v[14:15], off
	v_ashrrev_i32_e32 v1, 31, v0
	v_lshl_add_u64 v[4:5], v[4:5], 3, v[68:69]
	v_lshl_add_u64 v[6:7], v[6:7], 3, v[68:69]
	;; [unrolled: 1-line block ×3, first 2 shown]
	s_clause 0x1
	scratch_store_b64 off, v[14:15], off offset:224
	scratch_store_b64 off, v[12:13], off offset:232
	v_lshl_add_u64 v[0:1], v[0:1], 3, v[68:69]
	s_clause 0x2
	global_load_b64 v[212:213], v[4:5], off
	global_load_b64 v[218:219], v[6:7], off
	;; [unrolled: 1-line block ×3, first 2 shown]
	s_clause 0x1
	scratch_store_b64 off, v[8:9], off offset:240
	scratch_store_b64 off, v[0:1], off offset:248
	global_load_b64 v[228:229], v[0:1], off
	s_wait_xcnt 0x0
	v_lshlrev_b32_e32 v0, 3, v50
	s_clause 0x3
	scratch_store_b64 off, v[2:3], off offset:256
	scratch_store_b64 off, v[4:5], off offset:264
	;; [unrolled: 1-line block ×4, first 2 shown]
	v_add3_u32 v181, 0, s14, v0
	s_wait_xcnt 0x0
	s_and_saveexec_b32 s4, s0
	s_cbranch_execz .LBB113_8
; %bb.2:
	s_wait_loadcnt 0x34
	ds_store_b64 v181, v[54:55]
	s_wait_loadcnt 0x32
	ds_store_2addr_b64 v182, v[56:57], v[46:47] offset0:1 offset1:2
	s_wait_loadcnt 0x31
	ds_store_2addr_b64 v182, v[44:45], v[26:27] offset0:3 offset1:4
	ds_store_2addr_b64 v182, v[22:23], v[24:25] offset0:5 offset1:6
	s_wait_loadcnt 0x30
	ds_store_2addr_b64 v182, v[20:21], v[40:41] offset0:7 offset1:8
	s_wait_loadcnt 0x2e
	;; [unrolled: 2-line block ×7, first 2 shown]
	ds_store_2addr_b64 v182, v[74:75], v[98:99] offset0:19 offset1:20
	ds_store_2addr_b64 v182, v[94:95], v[96:97] offset0:21 offset1:22
	;; [unrolled: 1-line block ×4, first 2 shown]
	s_wait_loadcnt 0x11
	ds_store_2addr_b64 v182, v[108:109], v[130:131] offset0:27 offset1:28
	ds_store_2addr_b64 v182, v[126:127], v[128:129] offset0:29 offset1:30
	;; [unrolled: 1-line block ×5, first 2 shown]
	s_wait_loadcnt 0xf
	ds_store_2addr_b64 v182, v[158:159], v[160:161] offset0:37 offset1:38
	ds_store_2addr_b64 v182, v[156:157], v[178:179] offset0:39 offset1:40
	s_wait_loadcnt 0xa
	ds_store_2addr_b64 v182, v[174:175], v[176:177] offset0:41 offset1:42
	s_wait_loadcnt 0x8
	ds_store_2addr_b64 v182, v[172:173], v[200:201] offset0:43 offset1:44
	ds_store_2addr_b64 v182, v[196:197], v[198:199] offset0:45 offset1:46
	;; [unrolled: 1-line block ×3, first 2 shown]
	s_wait_loadcnt 0x4
	ds_store_2addr_b64 v182, v[216:217], v[222:223] offset0:49 offset1:50
	ds_store_2addr_b64 v182, v[214:215], v[220:221] offset0:51 offset1:52
	s_wait_loadcnt 0x2
	ds_store_2addr_b64 v182, v[212:213], v[218:219] offset0:53 offset1:54
	s_wait_loadcnt 0x0
	ds_store_2addr_b64 v182, v[226:227], v[228:229] offset0:55 offset1:56
	ds_load_b64 v[0:1], v181
	s_wait_dscnt 0x0
	v_cmp_neq_f32_e32 vcc_lo, 0, v0
	v_cmp_neq_f32_e64 s2, 0, v1
	s_or_b32 s2, vcc_lo, s2
	s_delay_alu instid0(SALU_CYCLE_1)
	s_and_b32 exec_lo, exec_lo, s2
	s_cbranch_execz .LBB113_8
; %bb.3:
	v_cmp_ngt_f32_e64 s2, |v0|, |v1|
                                        ; implicit-def: $vgpr2_vgpr3
	s_and_saveexec_b32 s5, s2
	s_delay_alu instid0(SALU_CYCLE_1)
	s_xor_b32 s2, exec_lo, s5
	s_cbranch_execz .LBB113_5
; %bb.4:
	v_div_scale_f32 v2, null, v1, v1, v0
	v_div_scale_f32 v5, vcc_lo, v0, v1, v0
	s_delay_alu instid0(VALU_DEP_2) | instskip(SKIP_1) | instid1(TRANS32_DEP_1)
	v_rcp_f32_e32 v3, v2
	v_nop
	v_fma_f32 v4, -v2, v3, 1.0
	s_delay_alu instid0(VALU_DEP_1) | instskip(NEXT) | instid1(VALU_DEP_1)
	v_fmac_f32_e32 v3, v4, v3
	v_mul_f32_e32 v4, v5, v3
	s_delay_alu instid0(VALU_DEP_1) | instskip(NEXT) | instid1(VALU_DEP_1)
	v_fma_f32 v6, -v2, v4, v5
	v_fmac_f32_e32 v4, v6, v3
	s_delay_alu instid0(VALU_DEP_1) | instskip(NEXT) | instid1(VALU_DEP_1)
	v_fma_f32 v2, -v2, v4, v5
	v_div_fmas_f32 v2, v2, v3, v4
	s_delay_alu instid0(VALU_DEP_1) | instskip(NEXT) | instid1(VALU_DEP_1)
	v_div_fixup_f32 v2, v2, v1, v0
	v_fmac_f32_e32 v1, v0, v2
	s_delay_alu instid0(VALU_DEP_1) | instskip(SKIP_1) | instid1(VALU_DEP_2)
	v_div_scale_f32 v0, null, v1, v1, 1.0
	v_div_scale_f32 v5, vcc_lo, 1.0, v1, 1.0
	v_rcp_f32_e32 v3, v0
	v_nop
	s_delay_alu instid0(TRANS32_DEP_1) | instskip(NEXT) | instid1(VALU_DEP_1)
	v_fma_f32 v4, -v0, v3, 1.0
	v_fmac_f32_e32 v3, v4, v3
	s_delay_alu instid0(VALU_DEP_1) | instskip(NEXT) | instid1(VALU_DEP_1)
	v_mul_f32_e32 v4, v5, v3
	v_fma_f32 v6, -v0, v4, v5
	s_delay_alu instid0(VALU_DEP_1) | instskip(NEXT) | instid1(VALU_DEP_1)
	v_fmac_f32_e32 v4, v6, v3
	v_fma_f32 v0, -v0, v4, v5
	s_delay_alu instid0(VALU_DEP_1) | instskip(NEXT) | instid1(VALU_DEP_1)
	v_div_fmas_f32 v0, v0, v3, v4
	v_div_fixup_f32 v0, v0, v1, 1.0
	s_delay_alu instid0(VALU_DEP_1)
	v_mul_f32_e32 v2, v2, v0
	v_xor_b32_e32 v3, 0x80000000, v0
                                        ; implicit-def: $vgpr0_vgpr1
.LBB113_5:
	s_and_not1_saveexec_b32 s2, s2
	s_cbranch_execz .LBB113_7
; %bb.6:
	v_div_scale_f32 v2, null, v0, v0, v1
	v_div_scale_f32 v5, vcc_lo, v1, v0, v1
	s_delay_alu instid0(VALU_DEP_2) | instskip(SKIP_1) | instid1(TRANS32_DEP_1)
	v_rcp_f32_e32 v3, v2
	v_nop
	v_fma_f32 v4, -v2, v3, 1.0
	s_delay_alu instid0(VALU_DEP_1) | instskip(NEXT) | instid1(VALU_DEP_1)
	v_fmac_f32_e32 v3, v4, v3
	v_mul_f32_e32 v4, v5, v3
	s_delay_alu instid0(VALU_DEP_1) | instskip(NEXT) | instid1(VALU_DEP_1)
	v_fma_f32 v6, -v2, v4, v5
	v_fmac_f32_e32 v4, v6, v3
	s_delay_alu instid0(VALU_DEP_1) | instskip(NEXT) | instid1(VALU_DEP_1)
	v_fma_f32 v2, -v2, v4, v5
	v_div_fmas_f32 v2, v2, v3, v4
	s_delay_alu instid0(VALU_DEP_1) | instskip(NEXT) | instid1(VALU_DEP_1)
	v_div_fixup_f32 v3, v2, v0, v1
	v_fmac_f32_e32 v0, v1, v3
	s_delay_alu instid0(VALU_DEP_1) | instskip(NEXT) | instid1(VALU_DEP_1)
	v_div_scale_f32 v1, null, v0, v0, 1.0
	v_rcp_f32_e32 v2, v1
	v_nop
	s_delay_alu instid0(TRANS32_DEP_1) | instskip(NEXT) | instid1(VALU_DEP_1)
	v_fma_f32 v4, -v1, v2, 1.0
	v_fmac_f32_e32 v2, v4, v2
	v_div_scale_f32 v4, vcc_lo, 1.0, v0, 1.0
	s_delay_alu instid0(VALU_DEP_1) | instskip(NEXT) | instid1(VALU_DEP_1)
	v_mul_f32_e32 v5, v4, v2
	v_fma_f32 v6, -v1, v5, v4
	s_delay_alu instid0(VALU_DEP_1) | instskip(NEXT) | instid1(VALU_DEP_1)
	v_fmac_f32_e32 v5, v6, v2
	v_fma_f32 v1, -v1, v5, v4
	s_delay_alu instid0(VALU_DEP_1) | instskip(NEXT) | instid1(VALU_DEP_1)
	v_div_fmas_f32 v1, v1, v2, v5
	v_div_fixup_f32 v2, v1, v0, 1.0
	s_delay_alu instid0(VALU_DEP_1)
	v_mul_f32_e64 v3, v3, -v2
.LBB113_7:
	s_or_b32 exec_lo, exec_lo, s2
	ds_store_b64 v181, v[2:3]
.LBB113_8:
	s_or_b32 exec_lo, exec_lo, s4
	s_wait_storecnt 0x0
	s_wait_loadcnt_dscnt 0x0
	s_barrier_signal -1
	s_barrier_wait -1
	ds_load_b64 v[0:1], v181
	s_wait_dscnt 0x0
	scratch_store_b64 off, v[0:1], off offset:288 ; 8-byte Folded Spill
	s_wait_xcnt 0x0
	s_and_saveexec_b32 s2, s1
	s_cbranch_execz .LBB113_10
; %bb.9:
	scratch_load_b64 v[4:5], off, off offset:288 ; 8-byte Folded Reload
	s_wait_loadcnt 0x0
	v_pk_mul_f32 v[2:3], v[4:5], v[54:55] op_sel:[1,1] op_sel_hi:[0,1]
	s_delay_alu instid0(VALU_DEP_1)
	v_pk_fma_f32 v[0:1], v[4:5], v[54:55], v[2:3] op_sel_hi:[1,0,1] neg_lo:[0,0,1] neg_hi:[0,0,1]
	v_pk_fma_f32 v[2:3], v[4:5], v[54:55], v[2:3] op_sel_hi:[1,0,1]
	ds_load_2addr_b64 v[4:7], v182 offset0:1 offset1:2
	v_dual_mov_b32 v54, v0 :: v_dual_mov_b32 v55, v3
	s_wait_dscnt 0x0
	v_pk_mul_f32 v[8:9], v[4:5], v[2:3] op_sel:[0,1]
	s_delay_alu instid0(VALU_DEP_1) | instskip(SKIP_1) | instid1(VALU_DEP_1)
	v_pk_fma_f32 v[10:11], v[4:5], v[0:1], v[8:9] op_sel:[0,0,1] op_sel_hi:[1,1,0] neg_lo:[0,0,1] neg_hi:[0,0,1]
	v_pk_fma_f32 v[4:5], v[4:5], v[0:1], v[8:9] op_sel:[0,0,1] op_sel_hi:[1,0,0]
	v_mov_b32_e32 v11, v5
	v_pk_mul_f32 v[4:5], v[6:7], v[2:3] op_sel:[0,1]
	s_delay_alu instid0(VALU_DEP_1) | instskip(SKIP_1) | instid1(VALU_DEP_1)
	v_pk_fma_f32 v[8:9], v[6:7], v[0:1], v[4:5] op_sel:[0,0,1] op_sel_hi:[1,1,0] neg_lo:[0,0,1] neg_hi:[0,0,1]
	v_pk_fma_f32 v[4:5], v[6:7], v[0:1], v[4:5] op_sel:[0,0,1] op_sel_hi:[1,0,0]
	v_mov_b32_e32 v9, v5
	ds_load_2addr_b64 v[4:7], v182 offset0:3 offset1:4
	v_pk_add_f32 v[56:57], v[56:57], v[10:11] neg_lo:[0,1] neg_hi:[0,1]
	v_pk_add_f32 v[46:47], v[46:47], v[8:9] neg_lo:[0,1] neg_hi:[0,1]
	s_wait_dscnt 0x0
	v_pk_mul_f32 v[8:9], v[4:5], v[2:3] op_sel:[0,1]
	s_delay_alu instid0(VALU_DEP_1) | instskip(SKIP_2) | instid1(VALU_DEP_2)
	v_pk_fma_f32 v[10:11], v[4:5], v[0:1], v[8:9] op_sel:[0,0,1] op_sel_hi:[1,1,0] neg_lo:[0,0,1] neg_hi:[0,0,1]
	v_pk_fma_f32 v[4:5], v[4:5], v[0:1], v[8:9] op_sel:[0,0,1] op_sel_hi:[1,0,0]
	v_dual_mul_f32 v8, v7, v3 :: v_dual_mov_b32 v4, v7
	v_dual_mov_b32 v11, v5 :: v_dual_mov_b32 v5, v6
	s_delay_alu instid0(VALU_DEP_2) | instskip(SKIP_1) | instid1(VALU_DEP_3)
	v_pk_fma_f32 v[8:9], v[6:7], v[54:55], v[8:9] op_sel_hi:[1,1,0] neg_lo:[0,0,1] neg_hi:[0,0,1]
	v_mul_f32_e32 v6, v7, v0
	v_pk_add_f32 v[44:45], v[44:45], v[10:11] neg_lo:[0,1] neg_hi:[0,1]
	s_delay_alu instid0(VALU_DEP_2) | instskip(NEXT) | instid1(VALU_DEP_1)
	v_pk_fma_f32 v[4:5], v[4:5], v[54:55], v[6:7] op_sel_hi:[1,1,0]
	v_mov_b32_e32 v9, v5
	ds_load_2addr_b64 v[4:7], v182 offset0:5 offset1:6
	v_pk_add_f32 v[26:27], v[26:27], v[8:9] neg_lo:[0,1] neg_hi:[0,1]
	s_wait_dscnt 0x0
	v_pk_mul_f32 v[8:9], v[4:5], v[2:3] op_sel:[0,1]
	s_delay_alu instid0(VALU_DEP_1) | instskip(SKIP_1) | instid1(VALU_DEP_1)
	v_pk_fma_f32 v[10:11], v[4:5], v[0:1], v[8:9] op_sel:[0,0,1] op_sel_hi:[1,1,0] neg_lo:[0,0,1] neg_hi:[0,0,1]
	v_pk_fma_f32 v[4:5], v[4:5], v[0:1], v[8:9] op_sel:[0,0,1] op_sel_hi:[1,0,0]
	v_mov_b32_e32 v11, v5
	v_pk_mul_f32 v[4:5], v[6:7], v[2:3] op_sel:[0,1]
	s_delay_alu instid0(VALU_DEP_1) | instskip(SKIP_1) | instid1(VALU_DEP_1)
	v_pk_fma_f32 v[8:9], v[6:7], v[0:1], v[4:5] op_sel:[0,0,1] op_sel_hi:[1,1,0] neg_lo:[0,0,1] neg_hi:[0,0,1]
	v_pk_fma_f32 v[4:5], v[6:7], v[0:1], v[4:5] op_sel:[0,0,1] op_sel_hi:[1,0,0]
	v_mov_b32_e32 v9, v5
	ds_load_2addr_b64 v[4:7], v182 offset0:7 offset1:8
	v_pk_add_f32 v[22:23], v[22:23], v[10:11] neg_lo:[0,1] neg_hi:[0,1]
	v_pk_add_f32 v[24:25], v[24:25], v[8:9] neg_lo:[0,1] neg_hi:[0,1]
	s_wait_dscnt 0x0
	v_pk_mul_f32 v[8:9], v[4:5], v[2:3] op_sel:[0,1]
	s_delay_alu instid0(VALU_DEP_1) | instskip(SKIP_1) | instid1(VALU_DEP_1)
	v_pk_fma_f32 v[10:11], v[4:5], v[0:1], v[8:9] op_sel:[0,0,1] op_sel_hi:[1,1,0] neg_lo:[0,0,1] neg_hi:[0,0,1]
	v_pk_fma_f32 v[4:5], v[4:5], v[0:1], v[8:9] op_sel:[0,0,1] op_sel_hi:[1,0,0]
	v_mov_b32_e32 v11, v5
	v_pk_mul_f32 v[4:5], v[6:7], v[2:3] op_sel:[0,1]
	s_delay_alu instid0(VALU_DEP_1) | instskip(SKIP_1) | instid1(VALU_DEP_1)
	v_pk_fma_f32 v[8:9], v[6:7], v[0:1], v[4:5] op_sel:[0,0,1] op_sel_hi:[1,1,0] neg_lo:[0,0,1] neg_hi:[0,0,1]
	v_pk_fma_f32 v[4:5], v[6:7], v[0:1], v[4:5] op_sel:[0,0,1] op_sel_hi:[1,0,0]
	v_mov_b32_e32 v9, v5
	ds_load_2addr_b64 v[4:7], v182 offset0:9 offset1:10
	v_pk_add_f32 v[20:21], v[20:21], v[10:11] neg_lo:[0,1] neg_hi:[0,1]
	v_pk_add_f32 v[40:41], v[40:41], v[8:9] neg_lo:[0,1] neg_hi:[0,1]
	s_wait_dscnt 0x0
	v_dual_mul_f32 v8, v5, v3 :: v_dual_mul_f32 v10, v5, v0
	s_delay_alu instid0(VALU_DEP_1) | instskip(NEXT) | instid1(VALU_DEP_2)
	v_pk_fma_f32 v[8:9], v[4:5], v[54:55], v[8:9] op_sel_hi:[1,1,0] neg_lo:[0,0,1] neg_hi:[0,0,1]
	v_pk_fma_f32 v[4:5], v[4:5], v[54:55], v[10:11] op_sel:[1,0,0] op_sel_hi:[0,1,0]
	s_delay_alu instid0(VALU_DEP_1) | instskip(SKIP_1) | instid1(VALU_DEP_2)
	v_mov_b32_e32 v9, v5
	v_pk_mul_f32 v[4:5], v[6:7], v[2:3] op_sel:[0,1]
	v_pk_add_f32 v[36:37], v[36:37], v[8:9] neg_lo:[0,1] neg_hi:[0,1]
	s_delay_alu instid0(VALU_DEP_2) | instskip(SKIP_1) | instid1(VALU_DEP_1)
	v_pk_fma_f32 v[8:9], v[6:7], v[0:1], v[4:5] op_sel:[0,0,1] op_sel_hi:[1,1,0] neg_lo:[0,0,1] neg_hi:[0,0,1]
	v_pk_fma_f32 v[4:5], v[6:7], v[0:1], v[4:5] op_sel:[0,0,1] op_sel_hi:[1,0,0]
	v_mov_b32_e32 v9, v5
	ds_load_2addr_b64 v[4:7], v182 offset0:11 offset1:12
	v_pk_add_f32 v[38:39], v[38:39], v[8:9] neg_lo:[0,1] neg_hi:[0,1]
	s_wait_dscnt 0x0
	v_pk_mul_f32 v[8:9], v[4:5], v[2:3] op_sel:[0,1]
	s_delay_alu instid0(VALU_DEP_1) | instskip(SKIP_1) | instid1(VALU_DEP_1)
	v_pk_fma_f32 v[10:11], v[4:5], v[0:1], v[8:9] op_sel:[0,0,1] op_sel_hi:[1,1,0] neg_lo:[0,0,1] neg_hi:[0,0,1]
	v_pk_fma_f32 v[4:5], v[4:5], v[0:1], v[8:9] op_sel:[0,0,1] op_sel_hi:[1,0,0]
	v_mov_b32_e32 v11, v5
	v_pk_mul_f32 v[4:5], v[6:7], v[2:3] op_sel:[0,1]
	s_delay_alu instid0(VALU_DEP_2) | instskip(NEXT) | instid1(VALU_DEP_2)
	v_pk_add_f32 v[34:35], v[34:35], v[10:11] neg_lo:[0,1] neg_hi:[0,1]
	v_pk_fma_f32 v[8:9], v[6:7], v[0:1], v[4:5] op_sel:[0,0,1] op_sel_hi:[1,1,0] neg_lo:[0,0,1] neg_hi:[0,0,1]
	v_pk_fma_f32 v[4:5], v[6:7], v[0:1], v[4:5] op_sel:[0,0,1] op_sel_hi:[1,0,0]
	s_delay_alu instid0(VALU_DEP_1) | instskip(SKIP_4) | instid1(VALU_DEP_1)
	v_mov_b32_e32 v9, v5
	ds_load_2addr_b64 v[4:7], v182 offset0:13 offset1:14
	v_pk_add_f32 v[64:65], v[64:65], v[8:9] neg_lo:[0,1] neg_hi:[0,1]
	s_wait_dscnt 0x0
	v_pk_mul_f32 v[8:9], v[4:5], v[2:3] op_sel:[0,1]
	v_pk_fma_f32 v[10:11], v[4:5], v[0:1], v[8:9] op_sel:[0,0,1] op_sel_hi:[1,1,0] neg_lo:[0,0,1] neg_hi:[0,0,1]
	v_pk_fma_f32 v[4:5], v[4:5], v[0:1], v[8:9] op_sel:[0,0,1] op_sel_hi:[1,0,0]
	v_dual_mul_f32 v8, v7, v3 :: v_dual_mov_b32 v4, v7
	s_delay_alu instid0(VALU_DEP_2) | instskip(NEXT) | instid1(VALU_DEP_2)
	v_dual_mov_b32 v11, v5 :: v_dual_mov_b32 v5, v6
	v_pk_fma_f32 v[8:9], v[6:7], v[54:55], v[8:9] op_sel_hi:[1,1,0] neg_lo:[0,0,1] neg_hi:[0,0,1]
	v_mul_f32_e32 v6, v7, v0
	s_delay_alu instid0(VALU_DEP_3) | instskip(NEXT) | instid1(VALU_DEP_2)
	v_pk_add_f32 v[60:61], v[60:61], v[10:11] neg_lo:[0,1] neg_hi:[0,1]
	v_pk_fma_f32 v[4:5], v[4:5], v[54:55], v[6:7] op_sel_hi:[1,1,0]
	s_delay_alu instid0(VALU_DEP_1) | instskip(SKIP_4) | instid1(VALU_DEP_1)
	v_mov_b32_e32 v9, v5
	ds_load_2addr_b64 v[4:7], v182 offset0:15 offset1:16
	v_pk_add_f32 v[62:63], v[62:63], v[8:9] neg_lo:[0,1] neg_hi:[0,1]
	s_wait_dscnt 0x0
	v_pk_mul_f32 v[8:9], v[4:5], v[2:3] op_sel:[0,1]
	v_pk_fma_f32 v[10:11], v[4:5], v[0:1], v[8:9] op_sel:[0,0,1] op_sel_hi:[1,1,0] neg_lo:[0,0,1] neg_hi:[0,0,1]
	v_pk_fma_f32 v[4:5], v[4:5], v[0:1], v[8:9] op_sel:[0,0,1] op_sel_hi:[1,0,0]
	s_delay_alu instid0(VALU_DEP_1) | instskip(SKIP_1) | instid1(VALU_DEP_1)
	v_mov_b32_e32 v11, v5
	v_pk_mul_f32 v[4:5], v[6:7], v[2:3] op_sel:[0,1]
	v_pk_fma_f32 v[8:9], v[6:7], v[0:1], v[4:5] op_sel:[0,0,1] op_sel_hi:[1,1,0] neg_lo:[0,0,1] neg_hi:[0,0,1]
	v_pk_fma_f32 v[4:5], v[6:7], v[0:1], v[4:5] op_sel:[0,0,1] op_sel_hi:[1,0,0]
	s_delay_alu instid0(VALU_DEP_1)
	v_mov_b32_e32 v9, v5
	ds_load_2addr_b64 v[4:7], v182 offset0:17 offset1:18
	v_pk_add_f32 v[58:59], v[58:59], v[10:11] neg_lo:[0,1] neg_hi:[0,1]
	v_pk_add_f32 v[80:81], v[80:81], v[8:9] neg_lo:[0,1] neg_hi:[0,1]
	s_wait_dscnt 0x0
	v_pk_mul_f32 v[8:9], v[4:5], v[2:3] op_sel:[0,1]
	s_delay_alu instid0(VALU_DEP_1) | instskip(SKIP_1) | instid1(VALU_DEP_1)
	v_pk_fma_f32 v[10:11], v[4:5], v[0:1], v[8:9] op_sel:[0,0,1] op_sel_hi:[1,1,0] neg_lo:[0,0,1] neg_hi:[0,0,1]
	v_pk_fma_f32 v[4:5], v[4:5], v[0:1], v[8:9] op_sel:[0,0,1] op_sel_hi:[1,0,0]
	v_mov_b32_e32 v11, v5
	v_pk_mul_f32 v[4:5], v[6:7], v[2:3] op_sel:[0,1]
	s_delay_alu instid0(VALU_DEP_1) | instskip(SKIP_1) | instid1(VALU_DEP_1)
	v_pk_fma_f32 v[8:9], v[6:7], v[0:1], v[4:5] op_sel:[0,0,1] op_sel_hi:[1,1,0] neg_lo:[0,0,1] neg_hi:[0,0,1]
	v_pk_fma_f32 v[4:5], v[6:7], v[0:1], v[4:5] op_sel:[0,0,1] op_sel_hi:[1,0,0]
	v_mov_b32_e32 v9, v5
	ds_load_2addr_b64 v[4:7], v182 offset0:19 offset1:20
	v_pk_add_f32 v[76:77], v[76:77], v[10:11] neg_lo:[0,1] neg_hi:[0,1]
	v_pk_add_f32 v[78:79], v[78:79], v[8:9] neg_lo:[0,1] neg_hi:[0,1]
	s_wait_dscnt 0x0
	v_dual_mul_f32 v8, v5, v3 :: v_dual_mul_f32 v10, v5, v0
	s_delay_alu instid0(VALU_DEP_1) | instskip(NEXT) | instid1(VALU_DEP_2)
	v_pk_fma_f32 v[8:9], v[4:5], v[54:55], v[8:9] op_sel_hi:[1,1,0] neg_lo:[0,0,1] neg_hi:[0,0,1]
	v_pk_fma_f32 v[4:5], v[4:5], v[54:55], v[10:11] op_sel:[1,0,0] op_sel_hi:[0,1,0]
	s_delay_alu instid0(VALU_DEP_1) | instskip(SKIP_1) | instid1(VALU_DEP_2)
	v_mov_b32_e32 v9, v5
	v_pk_mul_f32 v[4:5], v[6:7], v[2:3] op_sel:[0,1]
	v_pk_add_f32 v[74:75], v[74:75], v[8:9] neg_lo:[0,1] neg_hi:[0,1]
	s_delay_alu instid0(VALU_DEP_2) | instskip(SKIP_1) | instid1(VALU_DEP_1)
	v_pk_fma_f32 v[8:9], v[6:7], v[0:1], v[4:5] op_sel:[0,0,1] op_sel_hi:[1,1,0] neg_lo:[0,0,1] neg_hi:[0,0,1]
	v_pk_fma_f32 v[4:5], v[6:7], v[0:1], v[4:5] op_sel:[0,0,1] op_sel_hi:[1,0,0]
	v_mov_b32_e32 v9, v5
	ds_load_2addr_b64 v[4:7], v182 offset0:21 offset1:22
	v_pk_add_f32 v[98:99], v[98:99], v[8:9] neg_lo:[0,1] neg_hi:[0,1]
	s_wait_dscnt 0x0
	v_pk_mul_f32 v[8:9], v[4:5], v[2:3] op_sel:[0,1]
	s_delay_alu instid0(VALU_DEP_1) | instskip(SKIP_1) | instid1(VALU_DEP_1)
	v_pk_fma_f32 v[10:11], v[4:5], v[0:1], v[8:9] op_sel:[0,0,1] op_sel_hi:[1,1,0] neg_lo:[0,0,1] neg_hi:[0,0,1]
	v_pk_fma_f32 v[4:5], v[4:5], v[0:1], v[8:9] op_sel:[0,0,1] op_sel_hi:[1,0,0]
	v_mov_b32_e32 v11, v5
	v_pk_mul_f32 v[4:5], v[6:7], v[2:3] op_sel:[0,1]
	s_delay_alu instid0(VALU_DEP_2) | instskip(NEXT) | instid1(VALU_DEP_2)
	v_pk_add_f32 v[94:95], v[94:95], v[10:11] neg_lo:[0,1] neg_hi:[0,1]
	v_pk_fma_f32 v[8:9], v[6:7], v[0:1], v[4:5] op_sel:[0,0,1] op_sel_hi:[1,1,0] neg_lo:[0,0,1] neg_hi:[0,0,1]
	v_pk_fma_f32 v[4:5], v[6:7], v[0:1], v[4:5] op_sel:[0,0,1] op_sel_hi:[1,0,0]
	s_delay_alu instid0(VALU_DEP_1) | instskip(SKIP_4) | instid1(VALU_DEP_1)
	v_mov_b32_e32 v9, v5
	ds_load_2addr_b64 v[4:7], v182 offset0:23 offset1:24
	v_pk_add_f32 v[96:97], v[96:97], v[8:9] neg_lo:[0,1] neg_hi:[0,1]
	s_wait_dscnt 0x0
	v_pk_mul_f32 v[8:9], v[4:5], v[2:3] op_sel:[0,1]
	v_pk_fma_f32 v[10:11], v[4:5], v[0:1], v[8:9] op_sel:[0,0,1] op_sel_hi:[1,1,0] neg_lo:[0,0,1] neg_hi:[0,0,1]
	v_pk_fma_f32 v[4:5], v[4:5], v[0:1], v[8:9] op_sel:[0,0,1] op_sel_hi:[1,0,0]
	v_dual_mul_f32 v8, v7, v3 :: v_dual_mov_b32 v4, v7
	s_delay_alu instid0(VALU_DEP_2) | instskip(NEXT) | instid1(VALU_DEP_2)
	v_dual_mov_b32 v11, v5 :: v_dual_mov_b32 v5, v6
	v_pk_fma_f32 v[8:9], v[6:7], v[54:55], v[8:9] op_sel_hi:[1,1,0] neg_lo:[0,0,1] neg_hi:[0,0,1]
	v_mul_f32_e32 v6, v7, v0
	s_delay_alu instid0(VALU_DEP_3) | instskip(NEXT) | instid1(VALU_DEP_2)
	v_pk_add_f32 v[92:93], v[92:93], v[10:11] neg_lo:[0,1] neg_hi:[0,1]
	v_pk_fma_f32 v[4:5], v[4:5], v[54:55], v[6:7] op_sel_hi:[1,1,0]
	s_delay_alu instid0(VALU_DEP_1) | instskip(SKIP_4) | instid1(VALU_DEP_1)
	v_mov_b32_e32 v9, v5
	ds_load_2addr_b64 v[4:7], v182 offset0:25 offset1:26
	v_pk_add_f32 v[114:115], v[114:115], v[8:9] neg_lo:[0,1] neg_hi:[0,1]
	s_wait_dscnt 0x0
	v_pk_mul_f32 v[8:9], v[4:5], v[2:3] op_sel:[0,1]
	v_pk_fma_f32 v[10:11], v[4:5], v[0:1], v[8:9] op_sel:[0,0,1] op_sel_hi:[1,1,0] neg_lo:[0,0,1] neg_hi:[0,0,1]
	v_pk_fma_f32 v[4:5], v[4:5], v[0:1], v[8:9] op_sel:[0,0,1] op_sel_hi:[1,0,0]
	s_delay_alu instid0(VALU_DEP_1) | instskip(SKIP_1) | instid1(VALU_DEP_1)
	v_mov_b32_e32 v11, v5
	v_pk_mul_f32 v[4:5], v[6:7], v[2:3] op_sel:[0,1]
	v_pk_fma_f32 v[8:9], v[6:7], v[0:1], v[4:5] op_sel:[0,0,1] op_sel_hi:[1,1,0] neg_lo:[0,0,1] neg_hi:[0,0,1]
	v_pk_fma_f32 v[4:5], v[6:7], v[0:1], v[4:5] op_sel:[0,0,1] op_sel_hi:[1,0,0]
	s_delay_alu instid0(VALU_DEP_1)
	v_mov_b32_e32 v9, v5
	ds_load_2addr_b64 v[4:7], v182 offset0:27 offset1:28
	v_pk_add_f32 v[110:111], v[110:111], v[10:11] neg_lo:[0,1] neg_hi:[0,1]
	v_pk_add_f32 v[112:113], v[112:113], v[8:9] neg_lo:[0,1] neg_hi:[0,1]
	s_wait_dscnt 0x0
	v_pk_mul_f32 v[8:9], v[4:5], v[2:3] op_sel:[0,1]
	s_delay_alu instid0(VALU_DEP_1) | instskip(SKIP_1) | instid1(VALU_DEP_1)
	v_pk_fma_f32 v[10:11], v[4:5], v[0:1], v[8:9] op_sel:[0,0,1] op_sel_hi:[1,1,0] neg_lo:[0,0,1] neg_hi:[0,0,1]
	v_pk_fma_f32 v[4:5], v[4:5], v[0:1], v[8:9] op_sel:[0,0,1] op_sel_hi:[1,0,0]
	v_mov_b32_e32 v11, v5
	v_pk_mul_f32 v[4:5], v[6:7], v[2:3] op_sel:[0,1]
	s_delay_alu instid0(VALU_DEP_1) | instskip(SKIP_1) | instid1(VALU_DEP_1)
	v_pk_fma_f32 v[8:9], v[6:7], v[0:1], v[4:5] op_sel:[0,0,1] op_sel_hi:[1,1,0] neg_lo:[0,0,1] neg_hi:[0,0,1]
	v_pk_fma_f32 v[4:5], v[6:7], v[0:1], v[4:5] op_sel:[0,0,1] op_sel_hi:[1,0,0]
	v_mov_b32_e32 v9, v5
	ds_load_2addr_b64 v[4:7], v182 offset0:29 offset1:30
	v_pk_add_f32 v[108:109], v[108:109], v[10:11] neg_lo:[0,1] neg_hi:[0,1]
	v_pk_add_f32 v[130:131], v[130:131], v[8:9] neg_lo:[0,1] neg_hi:[0,1]
	s_wait_dscnt 0x0
	v_dual_mul_f32 v8, v5, v3 :: v_dual_mul_f32 v10, v5, v0
	s_delay_alu instid0(VALU_DEP_1) | instskip(NEXT) | instid1(VALU_DEP_2)
	v_pk_fma_f32 v[8:9], v[4:5], v[54:55], v[8:9] op_sel_hi:[1,1,0] neg_lo:[0,0,1] neg_hi:[0,0,1]
	v_pk_fma_f32 v[4:5], v[4:5], v[54:55], v[10:11] op_sel:[1,0,0] op_sel_hi:[0,1,0]
	s_delay_alu instid0(VALU_DEP_1) | instskip(SKIP_1) | instid1(VALU_DEP_2)
	v_mov_b32_e32 v9, v5
	v_pk_mul_f32 v[4:5], v[6:7], v[2:3] op_sel:[0,1]
	v_pk_add_f32 v[126:127], v[126:127], v[8:9] neg_lo:[0,1] neg_hi:[0,1]
	s_delay_alu instid0(VALU_DEP_2) | instskip(SKIP_1) | instid1(VALU_DEP_1)
	v_pk_fma_f32 v[8:9], v[6:7], v[0:1], v[4:5] op_sel:[0,0,1] op_sel_hi:[1,1,0] neg_lo:[0,0,1] neg_hi:[0,0,1]
	v_pk_fma_f32 v[4:5], v[6:7], v[0:1], v[4:5] op_sel:[0,0,1] op_sel_hi:[1,0,0]
	v_mov_b32_e32 v9, v5
	ds_load_2addr_b64 v[4:7], v182 offset0:31 offset1:32
	v_pk_add_f32 v[128:129], v[128:129], v[8:9] neg_lo:[0,1] neg_hi:[0,1]
	s_wait_dscnt 0x0
	v_pk_mul_f32 v[8:9], v[4:5], v[2:3] op_sel:[0,1]
	s_delay_alu instid0(VALU_DEP_1) | instskip(SKIP_1) | instid1(VALU_DEP_1)
	v_pk_fma_f32 v[10:11], v[4:5], v[0:1], v[8:9] op_sel:[0,0,1] op_sel_hi:[1,1,0] neg_lo:[0,0,1] neg_hi:[0,0,1]
	v_pk_fma_f32 v[4:5], v[4:5], v[0:1], v[8:9] op_sel:[0,0,1] op_sel_hi:[1,0,0]
	v_mov_b32_e32 v11, v5
	v_pk_mul_f32 v[4:5], v[6:7], v[2:3] op_sel:[0,1]
	s_delay_alu instid0(VALU_DEP_2) | instskip(NEXT) | instid1(VALU_DEP_2)
	v_pk_add_f32 v[124:125], v[124:125], v[10:11] neg_lo:[0,1] neg_hi:[0,1]
	v_pk_fma_f32 v[8:9], v[6:7], v[0:1], v[4:5] op_sel:[0,0,1] op_sel_hi:[1,1,0] neg_lo:[0,0,1] neg_hi:[0,0,1]
	v_pk_fma_f32 v[4:5], v[6:7], v[0:1], v[4:5] op_sel:[0,0,1] op_sel_hi:[1,0,0]
	s_delay_alu instid0(VALU_DEP_1) | instskip(SKIP_4) | instid1(VALU_DEP_1)
	v_mov_b32_e32 v9, v5
	ds_load_2addr_b64 v[4:7], v182 offset0:33 offset1:34
	v_pk_add_f32 v[146:147], v[146:147], v[8:9] neg_lo:[0,1] neg_hi:[0,1]
	s_wait_dscnt 0x0
	v_pk_mul_f32 v[8:9], v[4:5], v[2:3] op_sel:[0,1]
	v_pk_fma_f32 v[10:11], v[4:5], v[0:1], v[8:9] op_sel:[0,0,1] op_sel_hi:[1,1,0] neg_lo:[0,0,1] neg_hi:[0,0,1]
	v_pk_fma_f32 v[4:5], v[4:5], v[0:1], v[8:9] op_sel:[0,0,1] op_sel_hi:[1,0,0]
	v_dual_mul_f32 v8, v7, v3 :: v_dual_mov_b32 v4, v7
	s_delay_alu instid0(VALU_DEP_2) | instskip(NEXT) | instid1(VALU_DEP_2)
	v_dual_mov_b32 v11, v5 :: v_dual_mov_b32 v5, v6
	v_pk_fma_f32 v[8:9], v[6:7], v[54:55], v[8:9] op_sel_hi:[1,1,0] neg_lo:[0,0,1] neg_hi:[0,0,1]
	v_mul_f32_e32 v6, v7, v0
	s_delay_alu instid0(VALU_DEP_3) | instskip(NEXT) | instid1(VALU_DEP_2)
	v_pk_add_f32 v[142:143], v[142:143], v[10:11] neg_lo:[0,1] neg_hi:[0,1]
	v_pk_fma_f32 v[4:5], v[4:5], v[54:55], v[6:7] op_sel_hi:[1,1,0]
	s_delay_alu instid0(VALU_DEP_1) | instskip(SKIP_4) | instid1(VALU_DEP_1)
	v_mov_b32_e32 v9, v5
	ds_load_2addr_b64 v[4:7], v182 offset0:35 offset1:36
	v_pk_add_f32 v[144:145], v[144:145], v[8:9] neg_lo:[0,1] neg_hi:[0,1]
	s_wait_dscnt 0x0
	v_pk_mul_f32 v[8:9], v[4:5], v[2:3] op_sel:[0,1]
	v_pk_fma_f32 v[10:11], v[4:5], v[0:1], v[8:9] op_sel:[0,0,1] op_sel_hi:[1,1,0] neg_lo:[0,0,1] neg_hi:[0,0,1]
	v_pk_fma_f32 v[4:5], v[4:5], v[0:1], v[8:9] op_sel:[0,0,1] op_sel_hi:[1,0,0]
	s_delay_alu instid0(VALU_DEP_1) | instskip(SKIP_1) | instid1(VALU_DEP_1)
	v_mov_b32_e32 v11, v5
	v_pk_mul_f32 v[4:5], v[6:7], v[2:3] op_sel:[0,1]
	v_pk_fma_f32 v[8:9], v[6:7], v[0:1], v[4:5] op_sel:[0,0,1] op_sel_hi:[1,1,0] neg_lo:[0,0,1] neg_hi:[0,0,1]
	v_pk_fma_f32 v[4:5], v[6:7], v[0:1], v[4:5] op_sel:[0,0,1] op_sel_hi:[1,0,0]
	s_delay_alu instid0(VALU_DEP_1)
	v_mov_b32_e32 v9, v5
	ds_load_2addr_b64 v[4:7], v182 offset0:37 offset1:38
	v_pk_add_f32 v[140:141], v[140:141], v[10:11] neg_lo:[0,1] neg_hi:[0,1]
	v_pk_add_f32 v[162:163], v[162:163], v[8:9] neg_lo:[0,1] neg_hi:[0,1]
	s_wait_dscnt 0x0
	v_pk_mul_f32 v[8:9], v[4:5], v[2:3] op_sel:[0,1]
	s_delay_alu instid0(VALU_DEP_1) | instskip(SKIP_1) | instid1(VALU_DEP_1)
	v_pk_fma_f32 v[10:11], v[4:5], v[0:1], v[8:9] op_sel:[0,0,1] op_sel_hi:[1,1,0] neg_lo:[0,0,1] neg_hi:[0,0,1]
	v_pk_fma_f32 v[4:5], v[4:5], v[0:1], v[8:9] op_sel:[0,0,1] op_sel_hi:[1,0,0]
	v_mov_b32_e32 v11, v5
	v_pk_mul_f32 v[4:5], v[6:7], v[2:3] op_sel:[0,1]
	s_delay_alu instid0(VALU_DEP_1) | instskip(SKIP_1) | instid1(VALU_DEP_1)
	v_pk_fma_f32 v[8:9], v[6:7], v[0:1], v[4:5] op_sel:[0,0,1] op_sel_hi:[1,1,0] neg_lo:[0,0,1] neg_hi:[0,0,1]
	v_pk_fma_f32 v[4:5], v[6:7], v[0:1], v[4:5] op_sel:[0,0,1] op_sel_hi:[1,0,0]
	v_mov_b32_e32 v9, v5
	ds_load_2addr_b64 v[4:7], v182 offset0:39 offset1:40
	v_pk_add_f32 v[158:159], v[158:159], v[10:11] neg_lo:[0,1] neg_hi:[0,1]
	v_pk_add_f32 v[160:161], v[160:161], v[8:9] neg_lo:[0,1] neg_hi:[0,1]
	s_wait_dscnt 0x0
	v_dual_mul_f32 v8, v5, v3 :: v_dual_mul_f32 v10, v5, v0
	s_delay_alu instid0(VALU_DEP_1) | instskip(NEXT) | instid1(VALU_DEP_2)
	v_pk_fma_f32 v[8:9], v[4:5], v[54:55], v[8:9] op_sel_hi:[1,1,0] neg_lo:[0,0,1] neg_hi:[0,0,1]
	v_pk_fma_f32 v[4:5], v[4:5], v[54:55], v[10:11] op_sel:[1,0,0] op_sel_hi:[0,1,0]
	s_delay_alu instid0(VALU_DEP_1) | instskip(SKIP_1) | instid1(VALU_DEP_2)
	v_mov_b32_e32 v9, v5
	v_pk_mul_f32 v[4:5], v[6:7], v[2:3] op_sel:[0,1]
	v_pk_add_f32 v[156:157], v[156:157], v[8:9] neg_lo:[0,1] neg_hi:[0,1]
	s_delay_alu instid0(VALU_DEP_2) | instskip(SKIP_1) | instid1(VALU_DEP_1)
	v_pk_fma_f32 v[8:9], v[6:7], v[0:1], v[4:5] op_sel:[0,0,1] op_sel_hi:[1,1,0] neg_lo:[0,0,1] neg_hi:[0,0,1]
	v_pk_fma_f32 v[4:5], v[6:7], v[0:1], v[4:5] op_sel:[0,0,1] op_sel_hi:[1,0,0]
	v_mov_b32_e32 v9, v5
	ds_load_2addr_b64 v[4:7], v182 offset0:41 offset1:42
	v_pk_add_f32 v[178:179], v[178:179], v[8:9] neg_lo:[0,1] neg_hi:[0,1]
	s_wait_dscnt 0x0
	v_pk_mul_f32 v[8:9], v[4:5], v[2:3] op_sel:[0,1]
	s_delay_alu instid0(VALU_DEP_1) | instskip(SKIP_1) | instid1(VALU_DEP_1)
	v_pk_fma_f32 v[10:11], v[4:5], v[0:1], v[8:9] op_sel:[0,0,1] op_sel_hi:[1,1,0] neg_lo:[0,0,1] neg_hi:[0,0,1]
	v_pk_fma_f32 v[4:5], v[4:5], v[0:1], v[8:9] op_sel:[0,0,1] op_sel_hi:[1,0,0]
	v_mov_b32_e32 v11, v5
	v_pk_mul_f32 v[4:5], v[6:7], v[2:3] op_sel:[0,1]
	s_delay_alu instid0(VALU_DEP_2) | instskip(NEXT) | instid1(VALU_DEP_2)
	v_pk_add_f32 v[174:175], v[174:175], v[10:11] neg_lo:[0,1] neg_hi:[0,1]
	v_pk_fma_f32 v[8:9], v[6:7], v[0:1], v[4:5] op_sel:[0,0,1] op_sel_hi:[1,1,0] neg_lo:[0,0,1] neg_hi:[0,0,1]
	v_pk_fma_f32 v[4:5], v[6:7], v[0:1], v[4:5] op_sel:[0,0,1] op_sel_hi:[1,0,0]
	s_delay_alu instid0(VALU_DEP_1) | instskip(SKIP_4) | instid1(VALU_DEP_1)
	v_mov_b32_e32 v9, v5
	ds_load_2addr_b64 v[4:7], v182 offset0:43 offset1:44
	v_pk_add_f32 v[176:177], v[176:177], v[8:9] neg_lo:[0,1] neg_hi:[0,1]
	s_wait_dscnt 0x0
	v_pk_mul_f32 v[8:9], v[4:5], v[2:3] op_sel:[0,1]
	v_pk_fma_f32 v[10:11], v[4:5], v[0:1], v[8:9] op_sel:[0,0,1] op_sel_hi:[1,1,0] neg_lo:[0,0,1] neg_hi:[0,0,1]
	v_pk_fma_f32 v[4:5], v[4:5], v[0:1], v[8:9] op_sel:[0,0,1] op_sel_hi:[1,0,0]
	v_dual_mul_f32 v8, v7, v3 :: v_dual_mov_b32 v4, v7
	s_delay_alu instid0(VALU_DEP_2) | instskip(NEXT) | instid1(VALU_DEP_2)
	v_dual_mov_b32 v11, v5 :: v_dual_mov_b32 v5, v6
	v_pk_fma_f32 v[8:9], v[6:7], v[54:55], v[8:9] op_sel_hi:[1,1,0] neg_lo:[0,0,1] neg_hi:[0,0,1]
	v_mul_f32_e32 v6, v7, v0
	s_delay_alu instid0(VALU_DEP_3) | instskip(NEXT) | instid1(VALU_DEP_2)
	v_pk_add_f32 v[172:173], v[172:173], v[10:11] neg_lo:[0,1] neg_hi:[0,1]
	v_pk_fma_f32 v[4:5], v[4:5], v[54:55], v[6:7] op_sel_hi:[1,1,0]
	s_delay_alu instid0(VALU_DEP_1) | instskip(SKIP_4) | instid1(VALU_DEP_1)
	v_mov_b32_e32 v9, v5
	ds_load_2addr_b64 v[4:7], v182 offset0:45 offset1:46
	v_pk_add_f32 v[200:201], v[200:201], v[8:9] neg_lo:[0,1] neg_hi:[0,1]
	s_wait_dscnt 0x0
	v_pk_mul_f32 v[8:9], v[4:5], v[2:3] op_sel:[0,1]
	v_pk_fma_f32 v[10:11], v[4:5], v[0:1], v[8:9] op_sel:[0,0,1] op_sel_hi:[1,1,0] neg_lo:[0,0,1] neg_hi:[0,0,1]
	v_pk_fma_f32 v[4:5], v[4:5], v[0:1], v[8:9] op_sel:[0,0,1] op_sel_hi:[1,0,0]
	s_delay_alu instid0(VALU_DEP_1) | instskip(SKIP_1) | instid1(VALU_DEP_1)
	v_mov_b32_e32 v11, v5
	v_pk_mul_f32 v[4:5], v[6:7], v[2:3] op_sel:[0,1]
	v_pk_fma_f32 v[8:9], v[6:7], v[0:1], v[4:5] op_sel:[0,0,1] op_sel_hi:[1,1,0] neg_lo:[0,0,1] neg_hi:[0,0,1]
	v_pk_fma_f32 v[4:5], v[6:7], v[0:1], v[4:5] op_sel:[0,0,1] op_sel_hi:[1,0,0]
	s_delay_alu instid0(VALU_DEP_1)
	v_mov_b32_e32 v9, v5
	ds_load_2addr_b64 v[4:7], v182 offset0:47 offset1:48
	v_pk_add_f32 v[196:197], v[196:197], v[10:11] neg_lo:[0,1] neg_hi:[0,1]
	v_pk_add_f32 v[198:199], v[198:199], v[8:9] neg_lo:[0,1] neg_hi:[0,1]
	s_wait_dscnt 0x0
	v_pk_mul_f32 v[8:9], v[4:5], v[2:3] op_sel:[0,1]
	s_delay_alu instid0(VALU_DEP_1) | instskip(SKIP_1) | instid1(VALU_DEP_1)
	v_pk_fma_f32 v[10:11], v[4:5], v[0:1], v[8:9] op_sel:[0,0,1] op_sel_hi:[1,1,0] neg_lo:[0,0,1] neg_hi:[0,0,1]
	v_pk_fma_f32 v[4:5], v[4:5], v[0:1], v[8:9] op_sel:[0,0,1] op_sel_hi:[1,0,0]
	v_mov_b32_e32 v11, v5
	v_pk_mul_f32 v[4:5], v[6:7], v[2:3] op_sel:[0,1]
	s_delay_alu instid0(VALU_DEP_1) | instskip(SKIP_1) | instid1(VALU_DEP_1)
	v_pk_fma_f32 v[8:9], v[6:7], v[0:1], v[4:5] op_sel:[0,0,1] op_sel_hi:[1,1,0] neg_lo:[0,0,1] neg_hi:[0,0,1]
	v_pk_fma_f32 v[4:5], v[6:7], v[0:1], v[4:5] op_sel:[0,0,1] op_sel_hi:[1,0,0]
	v_mov_b32_e32 v9, v5
	ds_load_2addr_b64 v[4:7], v182 offset0:49 offset1:50
	v_pk_add_f32 v[194:195], v[194:195], v[10:11] neg_lo:[0,1] neg_hi:[0,1]
	v_pk_add_f32 v[224:225], v[224:225], v[8:9] neg_lo:[0,1] neg_hi:[0,1]
	s_wait_dscnt 0x0
	v_dual_mul_f32 v8, v5, v3 :: v_dual_mul_f32 v10, v5, v0
	s_delay_alu instid0(VALU_DEP_1) | instskip(NEXT) | instid1(VALU_DEP_2)
	v_pk_fma_f32 v[8:9], v[4:5], v[54:55], v[8:9] op_sel_hi:[1,1,0] neg_lo:[0,0,1] neg_hi:[0,0,1]
	v_pk_fma_f32 v[4:5], v[4:5], v[54:55], v[10:11] op_sel:[1,0,0] op_sel_hi:[0,1,0]
	s_delay_alu instid0(VALU_DEP_1) | instskip(SKIP_1) | instid1(VALU_DEP_2)
	v_mov_b32_e32 v9, v5
	v_pk_mul_f32 v[4:5], v[6:7], v[2:3] op_sel:[0,1]
	v_pk_add_f32 v[216:217], v[216:217], v[8:9] neg_lo:[0,1] neg_hi:[0,1]
	s_delay_alu instid0(VALU_DEP_2) | instskip(SKIP_1) | instid1(VALU_DEP_1)
	v_pk_fma_f32 v[8:9], v[6:7], v[0:1], v[4:5] op_sel:[0,0,1] op_sel_hi:[1,1,0] neg_lo:[0,0,1] neg_hi:[0,0,1]
	v_pk_fma_f32 v[4:5], v[6:7], v[0:1], v[4:5] op_sel:[0,0,1] op_sel_hi:[1,0,0]
	v_mov_b32_e32 v9, v5
	ds_load_2addr_b64 v[4:7], v182 offset0:51 offset1:52
	v_pk_add_f32 v[222:223], v[222:223], v[8:9] neg_lo:[0,1] neg_hi:[0,1]
	s_wait_dscnt 0x0
	v_pk_mul_f32 v[8:9], v[4:5], v[2:3] op_sel:[0,1]
	s_delay_alu instid0(VALU_DEP_1) | instskip(SKIP_1) | instid1(VALU_DEP_1)
	v_pk_fma_f32 v[10:11], v[4:5], v[0:1], v[8:9] op_sel:[0,0,1] op_sel_hi:[1,1,0] neg_lo:[0,0,1] neg_hi:[0,0,1]
	v_pk_fma_f32 v[4:5], v[4:5], v[0:1], v[8:9] op_sel:[0,0,1] op_sel_hi:[1,0,0]
	v_mov_b32_e32 v11, v5
	v_pk_mul_f32 v[4:5], v[6:7], v[2:3] op_sel:[0,1]
	s_delay_alu instid0(VALU_DEP_2) | instskip(NEXT) | instid1(VALU_DEP_2)
	v_pk_add_f32 v[214:215], v[214:215], v[10:11] neg_lo:[0,1] neg_hi:[0,1]
	v_pk_fma_f32 v[8:9], v[6:7], v[0:1], v[4:5] op_sel:[0,0,1] op_sel_hi:[1,1,0] neg_lo:[0,0,1] neg_hi:[0,0,1]
	v_pk_fma_f32 v[4:5], v[6:7], v[0:1], v[4:5] op_sel:[0,0,1] op_sel_hi:[1,0,0]
	s_delay_alu instid0(VALU_DEP_1) | instskip(SKIP_4) | instid1(VALU_DEP_1)
	v_mov_b32_e32 v9, v5
	ds_load_2addr_b64 v[4:7], v182 offset0:53 offset1:54
	v_pk_add_f32 v[220:221], v[220:221], v[8:9] neg_lo:[0,1] neg_hi:[0,1]
	s_wait_dscnt 0x0
	v_pk_mul_f32 v[8:9], v[4:5], v[2:3] op_sel:[0,1]
	v_pk_fma_f32 v[10:11], v[4:5], v[0:1], v[8:9] op_sel:[0,0,1] op_sel_hi:[1,1,0] neg_lo:[0,0,1] neg_hi:[0,0,1]
	v_pk_fma_f32 v[4:5], v[4:5], v[0:1], v[8:9] op_sel:[0,0,1] op_sel_hi:[1,0,0]
	v_dual_mul_f32 v8, v7, v3 :: v_dual_mov_b32 v4, v7
	s_delay_alu instid0(VALU_DEP_2) | instskip(NEXT) | instid1(VALU_DEP_2)
	v_dual_mov_b32 v11, v5 :: v_dual_mov_b32 v5, v6
	v_pk_fma_f32 v[8:9], v[6:7], v[54:55], v[8:9] op_sel_hi:[1,1,0] neg_lo:[0,0,1] neg_hi:[0,0,1]
	v_mul_f32_e32 v6, v7, v0
	s_delay_alu instid0(VALU_DEP_3) | instskip(NEXT) | instid1(VALU_DEP_2)
	v_pk_add_f32 v[212:213], v[212:213], v[10:11] neg_lo:[0,1] neg_hi:[0,1]
	v_pk_fma_f32 v[4:5], v[4:5], v[54:55], v[6:7] op_sel_hi:[1,1,0]
	s_delay_alu instid0(VALU_DEP_1)
	v_mov_b32_e32 v9, v5
	ds_load_2addr_b64 v[4:7], v182 offset0:55 offset1:56
	v_pk_add_f32 v[218:219], v[218:219], v[8:9] neg_lo:[0,1] neg_hi:[0,1]
	s_wait_dscnt 0x0
	v_pk_mul_f32 v[8:9], v[4:5], v[2:3] op_sel:[0,1]
	v_pk_mul_f32 v[2:3], v[6:7], v[2:3] op_sel:[0,1]
	s_delay_alu instid0(VALU_DEP_2) | instskip(SKIP_1) | instid1(VALU_DEP_1)
	v_pk_fma_f32 v[10:11], v[4:5], v[0:1], v[8:9] op_sel:[0,0,1] op_sel_hi:[1,1,0] neg_lo:[0,0,1] neg_hi:[0,0,1]
	v_pk_fma_f32 v[4:5], v[4:5], v[0:1], v[8:9] op_sel:[0,0,1] op_sel_hi:[1,0,0]
	v_mov_b32_e32 v11, v5
	s_delay_alu instid0(VALU_DEP_4) | instskip(SKIP_1) | instid1(VALU_DEP_1)
	v_pk_fma_f32 v[4:5], v[6:7], v[0:1], v[2:3] op_sel:[0,0,1] op_sel_hi:[1,1,0] neg_lo:[0,0,1] neg_hi:[0,0,1]
	v_pk_fma_f32 v[0:1], v[6:7], v[0:1], v[2:3] op_sel:[0,0,1] op_sel_hi:[1,0,0]
	v_mov_b32_e32 v5, v1
	s_delay_alu instid0(VALU_DEP_4) | instskip(NEXT) | instid1(VALU_DEP_2)
	v_pk_add_f32 v[226:227], v[226:227], v[10:11] neg_lo:[0,1] neg_hi:[0,1]
	v_pk_add_f32 v[228:229], v[228:229], v[4:5] neg_lo:[0,1] neg_hi:[0,1]
.LBB113_10:
	s_wait_xcnt 0x0
	s_or_b32 exec_lo, exec_lo, s2
	s_delay_alu instid0(SALU_CYCLE_1)
	s_mov_b32 s2, exec_lo
	s_wait_storecnt 0x0
	s_barrier_signal -1
	s_barrier_wait -1
	v_cmpx_eq_u32_e32 1, v180
	s_cbranch_execz .LBB113_17
; %bb.11:
	v_dual_mov_b32 v0, v46 :: v_dual_mov_b32 v1, v47
	v_dual_mov_b32 v2, v44 :: v_dual_mov_b32 v3, v45
	ds_store_b64 v181, v[56:57]
	ds_store_2addr_b64 v182, v[0:1], v[2:3] offset0:2 offset1:3
	v_dual_mov_b32 v0, v26 :: v_dual_mov_b32 v1, v27
	v_dual_mov_b32 v2, v22 :: v_dual_mov_b32 v3, v23
	ds_store_2addr_b64 v182, v[0:1], v[2:3] offset0:4 offset1:5
	v_dual_mov_b32 v0, v24 :: v_dual_mov_b32 v1, v25
	v_dual_mov_b32 v2, v20 :: v_dual_mov_b32 v3, v21
	;; [unrolled: 3-line block ×26, first 2 shown]
	ds_store_2addr_b64 v182, v[0:1], v[2:3] offset0:54 offset1:55
	ds_store_b64 v182, v[228:229] offset:448
	ds_load_b64 v[0:1], v181
	s_wait_dscnt 0x0
	v_cmp_neq_f32_e32 vcc_lo, 0, v0
	v_cmp_neq_f32_e64 s1, 0, v1
	s_or_b32 s1, vcc_lo, s1
	s_delay_alu instid0(SALU_CYCLE_1)
	s_and_b32 exec_lo, exec_lo, s1
	s_cbranch_execz .LBB113_17
; %bb.12:
	v_cmp_ngt_f32_e64 s1, |v0|, |v1|
                                        ; implicit-def: $vgpr2_vgpr3
	s_and_saveexec_b32 s4, s1
	s_delay_alu instid0(SALU_CYCLE_1)
	s_xor_b32 s1, exec_lo, s4
	s_cbranch_execz .LBB113_14
; %bb.13:
	v_div_scale_f32 v2, null, v1, v1, v0
	v_div_scale_f32 v5, vcc_lo, v0, v1, v0
	s_delay_alu instid0(VALU_DEP_2) | instskip(SKIP_1) | instid1(TRANS32_DEP_1)
	v_rcp_f32_e32 v3, v2
	v_nop
	v_fma_f32 v4, -v2, v3, 1.0
	s_delay_alu instid0(VALU_DEP_1) | instskip(NEXT) | instid1(VALU_DEP_1)
	v_fmac_f32_e32 v3, v4, v3
	v_mul_f32_e32 v4, v5, v3
	s_delay_alu instid0(VALU_DEP_1) | instskip(NEXT) | instid1(VALU_DEP_1)
	v_fma_f32 v6, -v2, v4, v5
	v_fmac_f32_e32 v4, v6, v3
	s_delay_alu instid0(VALU_DEP_1) | instskip(NEXT) | instid1(VALU_DEP_1)
	v_fma_f32 v2, -v2, v4, v5
	v_div_fmas_f32 v2, v2, v3, v4
	s_delay_alu instid0(VALU_DEP_1) | instskip(NEXT) | instid1(VALU_DEP_1)
	v_div_fixup_f32 v2, v2, v1, v0
	v_fmac_f32_e32 v1, v0, v2
	s_delay_alu instid0(VALU_DEP_1) | instskip(SKIP_1) | instid1(VALU_DEP_2)
	v_div_scale_f32 v0, null, v1, v1, 1.0
	v_div_scale_f32 v5, vcc_lo, 1.0, v1, 1.0
	v_rcp_f32_e32 v3, v0
	v_nop
	s_delay_alu instid0(TRANS32_DEP_1) | instskip(NEXT) | instid1(VALU_DEP_1)
	v_fma_f32 v4, -v0, v3, 1.0
	v_fmac_f32_e32 v3, v4, v3
	s_delay_alu instid0(VALU_DEP_1) | instskip(NEXT) | instid1(VALU_DEP_1)
	v_mul_f32_e32 v4, v5, v3
	v_fma_f32 v6, -v0, v4, v5
	s_delay_alu instid0(VALU_DEP_1) | instskip(NEXT) | instid1(VALU_DEP_1)
	v_fmac_f32_e32 v4, v6, v3
	v_fma_f32 v0, -v0, v4, v5
	s_delay_alu instid0(VALU_DEP_1) | instskip(NEXT) | instid1(VALU_DEP_1)
	v_div_fmas_f32 v0, v0, v3, v4
	v_div_fixup_f32 v0, v0, v1, 1.0
	s_delay_alu instid0(VALU_DEP_1)
	v_mul_f32_e32 v2, v2, v0
	v_xor_b32_e32 v3, 0x80000000, v0
                                        ; implicit-def: $vgpr0_vgpr1
.LBB113_14:
	s_and_not1_saveexec_b32 s1, s1
	s_cbranch_execz .LBB113_16
; %bb.15:
	v_div_scale_f32 v2, null, v0, v0, v1
	v_div_scale_f32 v5, vcc_lo, v1, v0, v1
	s_delay_alu instid0(VALU_DEP_2) | instskip(SKIP_1) | instid1(TRANS32_DEP_1)
	v_rcp_f32_e32 v3, v2
	v_nop
	v_fma_f32 v4, -v2, v3, 1.0
	s_delay_alu instid0(VALU_DEP_1) | instskip(NEXT) | instid1(VALU_DEP_1)
	v_fmac_f32_e32 v3, v4, v3
	v_mul_f32_e32 v4, v5, v3
	s_delay_alu instid0(VALU_DEP_1) | instskip(NEXT) | instid1(VALU_DEP_1)
	v_fma_f32 v6, -v2, v4, v5
	v_fmac_f32_e32 v4, v6, v3
	s_delay_alu instid0(VALU_DEP_1) | instskip(NEXT) | instid1(VALU_DEP_1)
	v_fma_f32 v2, -v2, v4, v5
	v_div_fmas_f32 v2, v2, v3, v4
	s_delay_alu instid0(VALU_DEP_1) | instskip(NEXT) | instid1(VALU_DEP_1)
	v_div_fixup_f32 v3, v2, v0, v1
	v_fmac_f32_e32 v0, v1, v3
	s_delay_alu instid0(VALU_DEP_1) | instskip(NEXT) | instid1(VALU_DEP_1)
	v_div_scale_f32 v1, null, v0, v0, 1.0
	v_rcp_f32_e32 v2, v1
	v_nop
	s_delay_alu instid0(TRANS32_DEP_1) | instskip(NEXT) | instid1(VALU_DEP_1)
	v_fma_f32 v4, -v1, v2, 1.0
	v_fmac_f32_e32 v2, v4, v2
	v_div_scale_f32 v4, vcc_lo, 1.0, v0, 1.0
	s_delay_alu instid0(VALU_DEP_1) | instskip(NEXT) | instid1(VALU_DEP_1)
	v_mul_f32_e32 v5, v4, v2
	v_fma_f32 v6, -v1, v5, v4
	s_delay_alu instid0(VALU_DEP_1) | instskip(NEXT) | instid1(VALU_DEP_1)
	v_fmac_f32_e32 v5, v6, v2
	v_fma_f32 v1, -v1, v5, v4
	s_delay_alu instid0(VALU_DEP_1) | instskip(NEXT) | instid1(VALU_DEP_1)
	v_div_fmas_f32 v1, v1, v2, v5
	v_div_fixup_f32 v2, v1, v0, 1.0
	s_delay_alu instid0(VALU_DEP_1)
	v_mul_f32_e64 v3, v3, -v2
.LBB113_16:
	s_or_b32 exec_lo, exec_lo, s1
	ds_store_b64 v181, v[2:3]
.LBB113_17:
	s_or_b32 exec_lo, exec_lo, s2
	s_wait_dscnt 0x0
	s_barrier_signal -1
	s_barrier_wait -1
	ds_load_b64 v[0:1], v181
	s_mov_b32 s1, exec_lo
	s_wait_dscnt 0x0
	scratch_store_b64 off, v[0:1], off offset:296 ; 8-byte Folded Spill
	s_wait_xcnt 0x0
	v_cmpx_lt_u32_e32 1, v180
	s_cbranch_execz .LBB113_19
; %bb.18:
	scratch_load_b64 v[4:5], off, off offset:296 ; 8-byte Folded Reload
	s_wait_loadcnt 0x0
	v_pk_mul_f32 v[2:3], v[4:5], v[56:57] op_sel:[1,1] op_sel_hi:[0,1]
	s_delay_alu instid0(VALU_DEP_1)
	v_pk_fma_f32 v[0:1], v[4:5], v[56:57], v[2:3] op_sel_hi:[1,0,1] neg_lo:[0,0,1] neg_hi:[0,0,1]
	v_pk_fma_f32 v[2:3], v[4:5], v[56:57], v[2:3] op_sel_hi:[1,0,1]
	ds_load_2addr_b64 v[4:7], v182 offset0:2 offset1:3
	v_dual_mov_b32 v56, v0 :: v_dual_mov_b32 v57, v3
	s_wait_dscnt 0x0
	v_pk_mul_f32 v[8:9], v[4:5], v[2:3] op_sel:[0,1]
	s_delay_alu instid0(VALU_DEP_1) | instskip(SKIP_1) | instid1(VALU_DEP_1)
	v_pk_fma_f32 v[10:11], v[4:5], v[0:1], v[8:9] op_sel:[0,0,1] op_sel_hi:[1,1,0] neg_lo:[0,0,1] neg_hi:[0,0,1]
	v_pk_fma_f32 v[4:5], v[4:5], v[0:1], v[8:9] op_sel:[0,0,1] op_sel_hi:[1,0,0]
	v_mov_b32_e32 v11, v5
	v_pk_mul_f32 v[4:5], v[6:7], v[2:3] op_sel:[0,1]
	s_delay_alu instid0(VALU_DEP_1) | instskip(SKIP_1) | instid1(VALU_DEP_1)
	v_pk_fma_f32 v[8:9], v[6:7], v[0:1], v[4:5] op_sel:[0,0,1] op_sel_hi:[1,1,0] neg_lo:[0,0,1] neg_hi:[0,0,1]
	v_pk_fma_f32 v[4:5], v[6:7], v[0:1], v[4:5] op_sel:[0,0,1] op_sel_hi:[1,0,0]
	v_mov_b32_e32 v9, v5
	ds_load_2addr_b64 v[4:7], v182 offset0:4 offset1:5
	v_pk_add_f32 v[46:47], v[46:47], v[10:11] neg_lo:[0,1] neg_hi:[0,1]
	v_pk_add_f32 v[44:45], v[44:45], v[8:9] neg_lo:[0,1] neg_hi:[0,1]
	s_wait_dscnt 0x0
	v_pk_mul_f32 v[8:9], v[4:5], v[2:3] op_sel:[0,1]
	s_delay_alu instid0(VALU_DEP_1) | instskip(SKIP_2) | instid1(VALU_DEP_2)
	v_pk_fma_f32 v[10:11], v[4:5], v[0:1], v[8:9] op_sel:[0,0,1] op_sel_hi:[1,1,0] neg_lo:[0,0,1] neg_hi:[0,0,1]
	v_pk_fma_f32 v[4:5], v[4:5], v[0:1], v[8:9] op_sel:[0,0,1] op_sel_hi:[1,0,0]
	v_dual_mul_f32 v8, v7, v3 :: v_dual_mov_b32 v4, v7
	v_dual_mov_b32 v11, v5 :: v_dual_mov_b32 v5, v6
	s_delay_alu instid0(VALU_DEP_2) | instskip(SKIP_1) | instid1(VALU_DEP_3)
	v_pk_fma_f32 v[8:9], v[6:7], v[56:57], v[8:9] op_sel_hi:[1,1,0] neg_lo:[0,0,1] neg_hi:[0,0,1]
	v_mul_f32_e32 v6, v7, v0
	v_pk_add_f32 v[26:27], v[26:27], v[10:11] neg_lo:[0,1] neg_hi:[0,1]
	s_delay_alu instid0(VALU_DEP_2) | instskip(NEXT) | instid1(VALU_DEP_1)
	v_pk_fma_f32 v[4:5], v[4:5], v[56:57], v[6:7] op_sel_hi:[1,1,0]
	v_mov_b32_e32 v9, v5
	ds_load_2addr_b64 v[4:7], v182 offset0:6 offset1:7
	v_pk_add_f32 v[22:23], v[22:23], v[8:9] neg_lo:[0,1] neg_hi:[0,1]
	s_wait_dscnt 0x0
	v_pk_mul_f32 v[8:9], v[4:5], v[2:3] op_sel:[0,1]
	s_delay_alu instid0(VALU_DEP_1) | instskip(SKIP_1) | instid1(VALU_DEP_1)
	v_pk_fma_f32 v[10:11], v[4:5], v[0:1], v[8:9] op_sel:[0,0,1] op_sel_hi:[1,1,0] neg_lo:[0,0,1] neg_hi:[0,0,1]
	v_pk_fma_f32 v[4:5], v[4:5], v[0:1], v[8:9] op_sel:[0,0,1] op_sel_hi:[1,0,0]
	v_mov_b32_e32 v11, v5
	v_pk_mul_f32 v[4:5], v[6:7], v[2:3] op_sel:[0,1]
	s_delay_alu instid0(VALU_DEP_1) | instskip(SKIP_1) | instid1(VALU_DEP_1)
	v_pk_fma_f32 v[8:9], v[6:7], v[0:1], v[4:5] op_sel:[0,0,1] op_sel_hi:[1,1,0] neg_lo:[0,0,1] neg_hi:[0,0,1]
	v_pk_fma_f32 v[4:5], v[6:7], v[0:1], v[4:5] op_sel:[0,0,1] op_sel_hi:[1,0,0]
	v_mov_b32_e32 v9, v5
	ds_load_2addr_b64 v[4:7], v182 offset0:8 offset1:9
	v_pk_add_f32 v[24:25], v[24:25], v[10:11] neg_lo:[0,1] neg_hi:[0,1]
	v_pk_add_f32 v[20:21], v[20:21], v[8:9] neg_lo:[0,1] neg_hi:[0,1]
	s_wait_dscnt 0x0
	v_pk_mul_f32 v[8:9], v[4:5], v[2:3] op_sel:[0,1]
	s_delay_alu instid0(VALU_DEP_1) | instskip(SKIP_1) | instid1(VALU_DEP_1)
	v_pk_fma_f32 v[10:11], v[4:5], v[0:1], v[8:9] op_sel:[0,0,1] op_sel_hi:[1,1,0] neg_lo:[0,0,1] neg_hi:[0,0,1]
	v_pk_fma_f32 v[4:5], v[4:5], v[0:1], v[8:9] op_sel:[0,0,1] op_sel_hi:[1,0,0]
	v_mov_b32_e32 v11, v5
	v_pk_mul_f32 v[4:5], v[6:7], v[2:3] op_sel:[0,1]
	s_delay_alu instid0(VALU_DEP_1) | instskip(SKIP_1) | instid1(VALU_DEP_1)
	v_pk_fma_f32 v[8:9], v[6:7], v[0:1], v[4:5] op_sel:[0,0,1] op_sel_hi:[1,1,0] neg_lo:[0,0,1] neg_hi:[0,0,1]
	v_pk_fma_f32 v[4:5], v[6:7], v[0:1], v[4:5] op_sel:[0,0,1] op_sel_hi:[1,0,0]
	v_mov_b32_e32 v9, v5
	ds_load_2addr_b64 v[4:7], v182 offset0:10 offset1:11
	v_pk_add_f32 v[40:41], v[40:41], v[10:11] neg_lo:[0,1] neg_hi:[0,1]
	v_pk_add_f32 v[36:37], v[36:37], v[8:9] neg_lo:[0,1] neg_hi:[0,1]
	s_wait_dscnt 0x0
	v_dual_mul_f32 v8, v5, v3 :: v_dual_mul_f32 v10, v5, v0
	s_delay_alu instid0(VALU_DEP_1) | instskip(NEXT) | instid1(VALU_DEP_2)
	v_pk_fma_f32 v[8:9], v[4:5], v[56:57], v[8:9] op_sel_hi:[1,1,0] neg_lo:[0,0,1] neg_hi:[0,0,1]
	v_pk_fma_f32 v[4:5], v[4:5], v[56:57], v[10:11] op_sel:[1,0,0] op_sel_hi:[0,1,0]
	s_delay_alu instid0(VALU_DEP_1) | instskip(SKIP_1) | instid1(VALU_DEP_2)
	v_mov_b32_e32 v9, v5
	v_pk_mul_f32 v[4:5], v[6:7], v[2:3] op_sel:[0,1]
	v_pk_add_f32 v[38:39], v[38:39], v[8:9] neg_lo:[0,1] neg_hi:[0,1]
	s_delay_alu instid0(VALU_DEP_2) | instskip(SKIP_1) | instid1(VALU_DEP_1)
	v_pk_fma_f32 v[8:9], v[6:7], v[0:1], v[4:5] op_sel:[0,0,1] op_sel_hi:[1,1,0] neg_lo:[0,0,1] neg_hi:[0,0,1]
	v_pk_fma_f32 v[4:5], v[6:7], v[0:1], v[4:5] op_sel:[0,0,1] op_sel_hi:[1,0,0]
	v_mov_b32_e32 v9, v5
	ds_load_2addr_b64 v[4:7], v182 offset0:12 offset1:13
	v_pk_add_f32 v[34:35], v[34:35], v[8:9] neg_lo:[0,1] neg_hi:[0,1]
	s_wait_dscnt 0x0
	v_pk_mul_f32 v[8:9], v[4:5], v[2:3] op_sel:[0,1]
	s_delay_alu instid0(VALU_DEP_1) | instskip(SKIP_1) | instid1(VALU_DEP_1)
	v_pk_fma_f32 v[10:11], v[4:5], v[0:1], v[8:9] op_sel:[0,0,1] op_sel_hi:[1,1,0] neg_lo:[0,0,1] neg_hi:[0,0,1]
	v_pk_fma_f32 v[4:5], v[4:5], v[0:1], v[8:9] op_sel:[0,0,1] op_sel_hi:[1,0,0]
	v_mov_b32_e32 v11, v5
	v_pk_mul_f32 v[4:5], v[6:7], v[2:3] op_sel:[0,1]
	s_delay_alu instid0(VALU_DEP_2) | instskip(NEXT) | instid1(VALU_DEP_2)
	v_pk_add_f32 v[64:65], v[64:65], v[10:11] neg_lo:[0,1] neg_hi:[0,1]
	v_pk_fma_f32 v[8:9], v[6:7], v[0:1], v[4:5] op_sel:[0,0,1] op_sel_hi:[1,1,0] neg_lo:[0,0,1] neg_hi:[0,0,1]
	v_pk_fma_f32 v[4:5], v[6:7], v[0:1], v[4:5] op_sel:[0,0,1] op_sel_hi:[1,0,0]
	s_delay_alu instid0(VALU_DEP_1) | instskip(SKIP_4) | instid1(VALU_DEP_1)
	v_mov_b32_e32 v9, v5
	ds_load_2addr_b64 v[4:7], v182 offset0:14 offset1:15
	v_pk_add_f32 v[60:61], v[60:61], v[8:9] neg_lo:[0,1] neg_hi:[0,1]
	s_wait_dscnt 0x0
	v_pk_mul_f32 v[8:9], v[4:5], v[2:3] op_sel:[0,1]
	v_pk_fma_f32 v[10:11], v[4:5], v[0:1], v[8:9] op_sel:[0,0,1] op_sel_hi:[1,1,0] neg_lo:[0,0,1] neg_hi:[0,0,1]
	v_pk_fma_f32 v[4:5], v[4:5], v[0:1], v[8:9] op_sel:[0,0,1] op_sel_hi:[1,0,0]
	v_dual_mul_f32 v8, v7, v3 :: v_dual_mov_b32 v4, v7
	s_delay_alu instid0(VALU_DEP_2) | instskip(NEXT) | instid1(VALU_DEP_2)
	v_dual_mov_b32 v11, v5 :: v_dual_mov_b32 v5, v6
	v_pk_fma_f32 v[8:9], v[6:7], v[56:57], v[8:9] op_sel_hi:[1,1,0] neg_lo:[0,0,1] neg_hi:[0,0,1]
	v_mul_f32_e32 v6, v7, v0
	s_delay_alu instid0(VALU_DEP_3) | instskip(NEXT) | instid1(VALU_DEP_2)
	v_pk_add_f32 v[62:63], v[62:63], v[10:11] neg_lo:[0,1] neg_hi:[0,1]
	v_pk_fma_f32 v[4:5], v[4:5], v[56:57], v[6:7] op_sel_hi:[1,1,0]
	s_delay_alu instid0(VALU_DEP_1) | instskip(SKIP_4) | instid1(VALU_DEP_1)
	v_mov_b32_e32 v9, v5
	ds_load_2addr_b64 v[4:7], v182 offset0:16 offset1:17
	v_pk_add_f32 v[58:59], v[58:59], v[8:9] neg_lo:[0,1] neg_hi:[0,1]
	s_wait_dscnt 0x0
	v_pk_mul_f32 v[8:9], v[4:5], v[2:3] op_sel:[0,1]
	v_pk_fma_f32 v[10:11], v[4:5], v[0:1], v[8:9] op_sel:[0,0,1] op_sel_hi:[1,1,0] neg_lo:[0,0,1] neg_hi:[0,0,1]
	v_pk_fma_f32 v[4:5], v[4:5], v[0:1], v[8:9] op_sel:[0,0,1] op_sel_hi:[1,0,0]
	s_delay_alu instid0(VALU_DEP_1) | instskip(SKIP_1) | instid1(VALU_DEP_1)
	v_mov_b32_e32 v11, v5
	v_pk_mul_f32 v[4:5], v[6:7], v[2:3] op_sel:[0,1]
	v_pk_fma_f32 v[8:9], v[6:7], v[0:1], v[4:5] op_sel:[0,0,1] op_sel_hi:[1,1,0] neg_lo:[0,0,1] neg_hi:[0,0,1]
	v_pk_fma_f32 v[4:5], v[6:7], v[0:1], v[4:5] op_sel:[0,0,1] op_sel_hi:[1,0,0]
	s_delay_alu instid0(VALU_DEP_1)
	v_mov_b32_e32 v9, v5
	ds_load_2addr_b64 v[4:7], v182 offset0:18 offset1:19
	v_pk_add_f32 v[80:81], v[80:81], v[10:11] neg_lo:[0,1] neg_hi:[0,1]
	v_pk_add_f32 v[76:77], v[76:77], v[8:9] neg_lo:[0,1] neg_hi:[0,1]
	s_wait_dscnt 0x0
	v_pk_mul_f32 v[8:9], v[4:5], v[2:3] op_sel:[0,1]
	s_delay_alu instid0(VALU_DEP_1) | instskip(SKIP_1) | instid1(VALU_DEP_1)
	v_pk_fma_f32 v[10:11], v[4:5], v[0:1], v[8:9] op_sel:[0,0,1] op_sel_hi:[1,1,0] neg_lo:[0,0,1] neg_hi:[0,0,1]
	v_pk_fma_f32 v[4:5], v[4:5], v[0:1], v[8:9] op_sel:[0,0,1] op_sel_hi:[1,0,0]
	v_mov_b32_e32 v11, v5
	v_pk_mul_f32 v[4:5], v[6:7], v[2:3] op_sel:[0,1]
	s_delay_alu instid0(VALU_DEP_1) | instskip(SKIP_1) | instid1(VALU_DEP_1)
	v_pk_fma_f32 v[8:9], v[6:7], v[0:1], v[4:5] op_sel:[0,0,1] op_sel_hi:[1,1,0] neg_lo:[0,0,1] neg_hi:[0,0,1]
	v_pk_fma_f32 v[4:5], v[6:7], v[0:1], v[4:5] op_sel:[0,0,1] op_sel_hi:[1,0,0]
	v_mov_b32_e32 v9, v5
	ds_load_2addr_b64 v[4:7], v182 offset0:20 offset1:21
	v_pk_add_f32 v[78:79], v[78:79], v[10:11] neg_lo:[0,1] neg_hi:[0,1]
	v_pk_add_f32 v[74:75], v[74:75], v[8:9] neg_lo:[0,1] neg_hi:[0,1]
	s_wait_dscnt 0x0
	v_dual_mul_f32 v8, v5, v3 :: v_dual_mul_f32 v10, v5, v0
	s_delay_alu instid0(VALU_DEP_1) | instskip(NEXT) | instid1(VALU_DEP_2)
	v_pk_fma_f32 v[8:9], v[4:5], v[56:57], v[8:9] op_sel_hi:[1,1,0] neg_lo:[0,0,1] neg_hi:[0,0,1]
	v_pk_fma_f32 v[4:5], v[4:5], v[56:57], v[10:11] op_sel:[1,0,0] op_sel_hi:[0,1,0]
	s_delay_alu instid0(VALU_DEP_1) | instskip(SKIP_1) | instid1(VALU_DEP_2)
	v_mov_b32_e32 v9, v5
	v_pk_mul_f32 v[4:5], v[6:7], v[2:3] op_sel:[0,1]
	v_pk_add_f32 v[98:99], v[98:99], v[8:9] neg_lo:[0,1] neg_hi:[0,1]
	s_delay_alu instid0(VALU_DEP_2) | instskip(SKIP_1) | instid1(VALU_DEP_1)
	v_pk_fma_f32 v[8:9], v[6:7], v[0:1], v[4:5] op_sel:[0,0,1] op_sel_hi:[1,1,0] neg_lo:[0,0,1] neg_hi:[0,0,1]
	v_pk_fma_f32 v[4:5], v[6:7], v[0:1], v[4:5] op_sel:[0,0,1] op_sel_hi:[1,0,0]
	v_mov_b32_e32 v9, v5
	ds_load_2addr_b64 v[4:7], v182 offset0:22 offset1:23
	v_pk_add_f32 v[94:95], v[94:95], v[8:9] neg_lo:[0,1] neg_hi:[0,1]
	s_wait_dscnt 0x0
	v_pk_mul_f32 v[8:9], v[4:5], v[2:3] op_sel:[0,1]
	s_delay_alu instid0(VALU_DEP_1) | instskip(SKIP_1) | instid1(VALU_DEP_1)
	v_pk_fma_f32 v[10:11], v[4:5], v[0:1], v[8:9] op_sel:[0,0,1] op_sel_hi:[1,1,0] neg_lo:[0,0,1] neg_hi:[0,0,1]
	v_pk_fma_f32 v[4:5], v[4:5], v[0:1], v[8:9] op_sel:[0,0,1] op_sel_hi:[1,0,0]
	v_mov_b32_e32 v11, v5
	v_pk_mul_f32 v[4:5], v[6:7], v[2:3] op_sel:[0,1]
	s_delay_alu instid0(VALU_DEP_2) | instskip(NEXT) | instid1(VALU_DEP_2)
	v_pk_add_f32 v[96:97], v[96:97], v[10:11] neg_lo:[0,1] neg_hi:[0,1]
	v_pk_fma_f32 v[8:9], v[6:7], v[0:1], v[4:5] op_sel:[0,0,1] op_sel_hi:[1,1,0] neg_lo:[0,0,1] neg_hi:[0,0,1]
	v_pk_fma_f32 v[4:5], v[6:7], v[0:1], v[4:5] op_sel:[0,0,1] op_sel_hi:[1,0,0]
	s_delay_alu instid0(VALU_DEP_1) | instskip(SKIP_4) | instid1(VALU_DEP_1)
	v_mov_b32_e32 v9, v5
	ds_load_2addr_b64 v[4:7], v182 offset0:24 offset1:25
	v_pk_add_f32 v[92:93], v[92:93], v[8:9] neg_lo:[0,1] neg_hi:[0,1]
	s_wait_dscnt 0x0
	v_pk_mul_f32 v[8:9], v[4:5], v[2:3] op_sel:[0,1]
	v_pk_fma_f32 v[10:11], v[4:5], v[0:1], v[8:9] op_sel:[0,0,1] op_sel_hi:[1,1,0] neg_lo:[0,0,1] neg_hi:[0,0,1]
	v_pk_fma_f32 v[4:5], v[4:5], v[0:1], v[8:9] op_sel:[0,0,1] op_sel_hi:[1,0,0]
	v_dual_mul_f32 v8, v7, v3 :: v_dual_mov_b32 v4, v7
	s_delay_alu instid0(VALU_DEP_2) | instskip(NEXT) | instid1(VALU_DEP_2)
	v_dual_mov_b32 v11, v5 :: v_dual_mov_b32 v5, v6
	v_pk_fma_f32 v[8:9], v[6:7], v[56:57], v[8:9] op_sel_hi:[1,1,0] neg_lo:[0,0,1] neg_hi:[0,0,1]
	v_mul_f32_e32 v6, v7, v0
	s_delay_alu instid0(VALU_DEP_3) | instskip(NEXT) | instid1(VALU_DEP_2)
	v_pk_add_f32 v[114:115], v[114:115], v[10:11] neg_lo:[0,1] neg_hi:[0,1]
	v_pk_fma_f32 v[4:5], v[4:5], v[56:57], v[6:7] op_sel_hi:[1,1,0]
	s_delay_alu instid0(VALU_DEP_1) | instskip(SKIP_4) | instid1(VALU_DEP_1)
	v_mov_b32_e32 v9, v5
	ds_load_2addr_b64 v[4:7], v182 offset0:26 offset1:27
	v_pk_add_f32 v[110:111], v[110:111], v[8:9] neg_lo:[0,1] neg_hi:[0,1]
	s_wait_dscnt 0x0
	v_pk_mul_f32 v[8:9], v[4:5], v[2:3] op_sel:[0,1]
	v_pk_fma_f32 v[10:11], v[4:5], v[0:1], v[8:9] op_sel:[0,0,1] op_sel_hi:[1,1,0] neg_lo:[0,0,1] neg_hi:[0,0,1]
	v_pk_fma_f32 v[4:5], v[4:5], v[0:1], v[8:9] op_sel:[0,0,1] op_sel_hi:[1,0,0]
	s_delay_alu instid0(VALU_DEP_1) | instskip(SKIP_1) | instid1(VALU_DEP_1)
	v_mov_b32_e32 v11, v5
	v_pk_mul_f32 v[4:5], v[6:7], v[2:3] op_sel:[0,1]
	v_pk_fma_f32 v[8:9], v[6:7], v[0:1], v[4:5] op_sel:[0,0,1] op_sel_hi:[1,1,0] neg_lo:[0,0,1] neg_hi:[0,0,1]
	v_pk_fma_f32 v[4:5], v[6:7], v[0:1], v[4:5] op_sel:[0,0,1] op_sel_hi:[1,0,0]
	s_delay_alu instid0(VALU_DEP_1)
	v_mov_b32_e32 v9, v5
	ds_load_2addr_b64 v[4:7], v182 offset0:28 offset1:29
	v_pk_add_f32 v[112:113], v[112:113], v[10:11] neg_lo:[0,1] neg_hi:[0,1]
	v_pk_add_f32 v[108:109], v[108:109], v[8:9] neg_lo:[0,1] neg_hi:[0,1]
	s_wait_dscnt 0x0
	v_pk_mul_f32 v[8:9], v[4:5], v[2:3] op_sel:[0,1]
	s_delay_alu instid0(VALU_DEP_1) | instskip(SKIP_1) | instid1(VALU_DEP_1)
	v_pk_fma_f32 v[10:11], v[4:5], v[0:1], v[8:9] op_sel:[0,0,1] op_sel_hi:[1,1,0] neg_lo:[0,0,1] neg_hi:[0,0,1]
	v_pk_fma_f32 v[4:5], v[4:5], v[0:1], v[8:9] op_sel:[0,0,1] op_sel_hi:[1,0,0]
	v_mov_b32_e32 v11, v5
	v_pk_mul_f32 v[4:5], v[6:7], v[2:3] op_sel:[0,1]
	s_delay_alu instid0(VALU_DEP_1) | instskip(SKIP_1) | instid1(VALU_DEP_1)
	v_pk_fma_f32 v[8:9], v[6:7], v[0:1], v[4:5] op_sel:[0,0,1] op_sel_hi:[1,1,0] neg_lo:[0,0,1] neg_hi:[0,0,1]
	v_pk_fma_f32 v[4:5], v[6:7], v[0:1], v[4:5] op_sel:[0,0,1] op_sel_hi:[1,0,0]
	v_mov_b32_e32 v9, v5
	ds_load_2addr_b64 v[4:7], v182 offset0:30 offset1:31
	v_pk_add_f32 v[130:131], v[130:131], v[10:11] neg_lo:[0,1] neg_hi:[0,1]
	v_pk_add_f32 v[126:127], v[126:127], v[8:9] neg_lo:[0,1] neg_hi:[0,1]
	s_wait_dscnt 0x0
	v_dual_mul_f32 v8, v5, v3 :: v_dual_mul_f32 v10, v5, v0
	s_delay_alu instid0(VALU_DEP_1) | instskip(NEXT) | instid1(VALU_DEP_2)
	v_pk_fma_f32 v[8:9], v[4:5], v[56:57], v[8:9] op_sel_hi:[1,1,0] neg_lo:[0,0,1] neg_hi:[0,0,1]
	v_pk_fma_f32 v[4:5], v[4:5], v[56:57], v[10:11] op_sel:[1,0,0] op_sel_hi:[0,1,0]
	s_delay_alu instid0(VALU_DEP_1) | instskip(SKIP_1) | instid1(VALU_DEP_2)
	v_mov_b32_e32 v9, v5
	v_pk_mul_f32 v[4:5], v[6:7], v[2:3] op_sel:[0,1]
	v_pk_add_f32 v[128:129], v[128:129], v[8:9] neg_lo:[0,1] neg_hi:[0,1]
	s_delay_alu instid0(VALU_DEP_2) | instskip(SKIP_1) | instid1(VALU_DEP_1)
	v_pk_fma_f32 v[8:9], v[6:7], v[0:1], v[4:5] op_sel:[0,0,1] op_sel_hi:[1,1,0] neg_lo:[0,0,1] neg_hi:[0,0,1]
	v_pk_fma_f32 v[4:5], v[6:7], v[0:1], v[4:5] op_sel:[0,0,1] op_sel_hi:[1,0,0]
	v_mov_b32_e32 v9, v5
	ds_load_2addr_b64 v[4:7], v182 offset0:32 offset1:33
	v_pk_add_f32 v[124:125], v[124:125], v[8:9] neg_lo:[0,1] neg_hi:[0,1]
	s_wait_dscnt 0x0
	v_pk_mul_f32 v[8:9], v[4:5], v[2:3] op_sel:[0,1]
	s_delay_alu instid0(VALU_DEP_1) | instskip(SKIP_1) | instid1(VALU_DEP_1)
	v_pk_fma_f32 v[10:11], v[4:5], v[0:1], v[8:9] op_sel:[0,0,1] op_sel_hi:[1,1,0] neg_lo:[0,0,1] neg_hi:[0,0,1]
	v_pk_fma_f32 v[4:5], v[4:5], v[0:1], v[8:9] op_sel:[0,0,1] op_sel_hi:[1,0,0]
	v_mov_b32_e32 v11, v5
	v_pk_mul_f32 v[4:5], v[6:7], v[2:3] op_sel:[0,1]
	s_delay_alu instid0(VALU_DEP_2) | instskip(NEXT) | instid1(VALU_DEP_2)
	v_pk_add_f32 v[146:147], v[146:147], v[10:11] neg_lo:[0,1] neg_hi:[0,1]
	v_pk_fma_f32 v[8:9], v[6:7], v[0:1], v[4:5] op_sel:[0,0,1] op_sel_hi:[1,1,0] neg_lo:[0,0,1] neg_hi:[0,0,1]
	v_pk_fma_f32 v[4:5], v[6:7], v[0:1], v[4:5] op_sel:[0,0,1] op_sel_hi:[1,0,0]
	s_delay_alu instid0(VALU_DEP_1) | instskip(SKIP_4) | instid1(VALU_DEP_1)
	v_mov_b32_e32 v9, v5
	ds_load_2addr_b64 v[4:7], v182 offset0:34 offset1:35
	v_pk_add_f32 v[142:143], v[142:143], v[8:9] neg_lo:[0,1] neg_hi:[0,1]
	s_wait_dscnt 0x0
	v_pk_mul_f32 v[8:9], v[4:5], v[2:3] op_sel:[0,1]
	v_pk_fma_f32 v[10:11], v[4:5], v[0:1], v[8:9] op_sel:[0,0,1] op_sel_hi:[1,1,0] neg_lo:[0,0,1] neg_hi:[0,0,1]
	v_pk_fma_f32 v[4:5], v[4:5], v[0:1], v[8:9] op_sel:[0,0,1] op_sel_hi:[1,0,0]
	v_dual_mul_f32 v8, v7, v3 :: v_dual_mov_b32 v4, v7
	s_delay_alu instid0(VALU_DEP_2) | instskip(NEXT) | instid1(VALU_DEP_2)
	v_dual_mov_b32 v11, v5 :: v_dual_mov_b32 v5, v6
	v_pk_fma_f32 v[8:9], v[6:7], v[56:57], v[8:9] op_sel_hi:[1,1,0] neg_lo:[0,0,1] neg_hi:[0,0,1]
	v_mul_f32_e32 v6, v7, v0
	s_delay_alu instid0(VALU_DEP_3) | instskip(NEXT) | instid1(VALU_DEP_2)
	v_pk_add_f32 v[144:145], v[144:145], v[10:11] neg_lo:[0,1] neg_hi:[0,1]
	v_pk_fma_f32 v[4:5], v[4:5], v[56:57], v[6:7] op_sel_hi:[1,1,0]
	s_delay_alu instid0(VALU_DEP_1) | instskip(SKIP_4) | instid1(VALU_DEP_1)
	v_mov_b32_e32 v9, v5
	ds_load_2addr_b64 v[4:7], v182 offset0:36 offset1:37
	v_pk_add_f32 v[140:141], v[140:141], v[8:9] neg_lo:[0,1] neg_hi:[0,1]
	s_wait_dscnt 0x0
	v_pk_mul_f32 v[8:9], v[4:5], v[2:3] op_sel:[0,1]
	v_pk_fma_f32 v[10:11], v[4:5], v[0:1], v[8:9] op_sel:[0,0,1] op_sel_hi:[1,1,0] neg_lo:[0,0,1] neg_hi:[0,0,1]
	v_pk_fma_f32 v[4:5], v[4:5], v[0:1], v[8:9] op_sel:[0,0,1] op_sel_hi:[1,0,0]
	s_delay_alu instid0(VALU_DEP_1) | instskip(SKIP_1) | instid1(VALU_DEP_1)
	v_mov_b32_e32 v11, v5
	v_pk_mul_f32 v[4:5], v[6:7], v[2:3] op_sel:[0,1]
	v_pk_fma_f32 v[8:9], v[6:7], v[0:1], v[4:5] op_sel:[0,0,1] op_sel_hi:[1,1,0] neg_lo:[0,0,1] neg_hi:[0,0,1]
	v_pk_fma_f32 v[4:5], v[6:7], v[0:1], v[4:5] op_sel:[0,0,1] op_sel_hi:[1,0,0]
	s_delay_alu instid0(VALU_DEP_1)
	v_mov_b32_e32 v9, v5
	ds_load_2addr_b64 v[4:7], v182 offset0:38 offset1:39
	v_pk_add_f32 v[162:163], v[162:163], v[10:11] neg_lo:[0,1] neg_hi:[0,1]
	v_pk_add_f32 v[158:159], v[158:159], v[8:9] neg_lo:[0,1] neg_hi:[0,1]
	s_wait_dscnt 0x0
	v_pk_mul_f32 v[8:9], v[4:5], v[2:3] op_sel:[0,1]
	s_delay_alu instid0(VALU_DEP_1) | instskip(SKIP_1) | instid1(VALU_DEP_1)
	v_pk_fma_f32 v[10:11], v[4:5], v[0:1], v[8:9] op_sel:[0,0,1] op_sel_hi:[1,1,0] neg_lo:[0,0,1] neg_hi:[0,0,1]
	v_pk_fma_f32 v[4:5], v[4:5], v[0:1], v[8:9] op_sel:[0,0,1] op_sel_hi:[1,0,0]
	v_mov_b32_e32 v11, v5
	v_pk_mul_f32 v[4:5], v[6:7], v[2:3] op_sel:[0,1]
	s_delay_alu instid0(VALU_DEP_1) | instskip(SKIP_1) | instid1(VALU_DEP_1)
	v_pk_fma_f32 v[8:9], v[6:7], v[0:1], v[4:5] op_sel:[0,0,1] op_sel_hi:[1,1,0] neg_lo:[0,0,1] neg_hi:[0,0,1]
	v_pk_fma_f32 v[4:5], v[6:7], v[0:1], v[4:5] op_sel:[0,0,1] op_sel_hi:[1,0,0]
	v_mov_b32_e32 v9, v5
	ds_load_2addr_b64 v[4:7], v182 offset0:40 offset1:41
	v_pk_add_f32 v[160:161], v[160:161], v[10:11] neg_lo:[0,1] neg_hi:[0,1]
	v_pk_add_f32 v[156:157], v[156:157], v[8:9] neg_lo:[0,1] neg_hi:[0,1]
	s_wait_dscnt 0x0
	v_dual_mul_f32 v8, v5, v3 :: v_dual_mul_f32 v10, v5, v0
	s_delay_alu instid0(VALU_DEP_1) | instskip(NEXT) | instid1(VALU_DEP_2)
	v_pk_fma_f32 v[8:9], v[4:5], v[56:57], v[8:9] op_sel_hi:[1,1,0] neg_lo:[0,0,1] neg_hi:[0,0,1]
	v_pk_fma_f32 v[4:5], v[4:5], v[56:57], v[10:11] op_sel:[1,0,0] op_sel_hi:[0,1,0]
	s_delay_alu instid0(VALU_DEP_1) | instskip(SKIP_1) | instid1(VALU_DEP_2)
	v_mov_b32_e32 v9, v5
	v_pk_mul_f32 v[4:5], v[6:7], v[2:3] op_sel:[0,1]
	v_pk_add_f32 v[178:179], v[178:179], v[8:9] neg_lo:[0,1] neg_hi:[0,1]
	s_delay_alu instid0(VALU_DEP_2) | instskip(SKIP_1) | instid1(VALU_DEP_1)
	v_pk_fma_f32 v[8:9], v[6:7], v[0:1], v[4:5] op_sel:[0,0,1] op_sel_hi:[1,1,0] neg_lo:[0,0,1] neg_hi:[0,0,1]
	v_pk_fma_f32 v[4:5], v[6:7], v[0:1], v[4:5] op_sel:[0,0,1] op_sel_hi:[1,0,0]
	v_mov_b32_e32 v9, v5
	ds_load_2addr_b64 v[4:7], v182 offset0:42 offset1:43
	v_pk_add_f32 v[174:175], v[174:175], v[8:9] neg_lo:[0,1] neg_hi:[0,1]
	s_wait_dscnt 0x0
	v_pk_mul_f32 v[8:9], v[4:5], v[2:3] op_sel:[0,1]
	s_delay_alu instid0(VALU_DEP_1) | instskip(SKIP_1) | instid1(VALU_DEP_1)
	v_pk_fma_f32 v[10:11], v[4:5], v[0:1], v[8:9] op_sel:[0,0,1] op_sel_hi:[1,1,0] neg_lo:[0,0,1] neg_hi:[0,0,1]
	v_pk_fma_f32 v[4:5], v[4:5], v[0:1], v[8:9] op_sel:[0,0,1] op_sel_hi:[1,0,0]
	v_mov_b32_e32 v11, v5
	v_pk_mul_f32 v[4:5], v[6:7], v[2:3] op_sel:[0,1]
	s_delay_alu instid0(VALU_DEP_2) | instskip(NEXT) | instid1(VALU_DEP_2)
	v_pk_add_f32 v[176:177], v[176:177], v[10:11] neg_lo:[0,1] neg_hi:[0,1]
	v_pk_fma_f32 v[8:9], v[6:7], v[0:1], v[4:5] op_sel:[0,0,1] op_sel_hi:[1,1,0] neg_lo:[0,0,1] neg_hi:[0,0,1]
	v_pk_fma_f32 v[4:5], v[6:7], v[0:1], v[4:5] op_sel:[0,0,1] op_sel_hi:[1,0,0]
	s_delay_alu instid0(VALU_DEP_1) | instskip(SKIP_4) | instid1(VALU_DEP_1)
	v_mov_b32_e32 v9, v5
	ds_load_2addr_b64 v[4:7], v182 offset0:44 offset1:45
	v_pk_add_f32 v[172:173], v[172:173], v[8:9] neg_lo:[0,1] neg_hi:[0,1]
	s_wait_dscnt 0x0
	v_pk_mul_f32 v[8:9], v[4:5], v[2:3] op_sel:[0,1]
	v_pk_fma_f32 v[10:11], v[4:5], v[0:1], v[8:9] op_sel:[0,0,1] op_sel_hi:[1,1,0] neg_lo:[0,0,1] neg_hi:[0,0,1]
	v_pk_fma_f32 v[4:5], v[4:5], v[0:1], v[8:9] op_sel:[0,0,1] op_sel_hi:[1,0,0]
	v_dual_mul_f32 v8, v7, v3 :: v_dual_mov_b32 v4, v7
	s_delay_alu instid0(VALU_DEP_2) | instskip(NEXT) | instid1(VALU_DEP_2)
	v_dual_mov_b32 v11, v5 :: v_dual_mov_b32 v5, v6
	v_pk_fma_f32 v[8:9], v[6:7], v[56:57], v[8:9] op_sel_hi:[1,1,0] neg_lo:[0,0,1] neg_hi:[0,0,1]
	v_mul_f32_e32 v6, v7, v0
	s_delay_alu instid0(VALU_DEP_3) | instskip(NEXT) | instid1(VALU_DEP_2)
	v_pk_add_f32 v[200:201], v[200:201], v[10:11] neg_lo:[0,1] neg_hi:[0,1]
	v_pk_fma_f32 v[4:5], v[4:5], v[56:57], v[6:7] op_sel_hi:[1,1,0]
	s_delay_alu instid0(VALU_DEP_1) | instskip(SKIP_4) | instid1(VALU_DEP_1)
	v_mov_b32_e32 v9, v5
	ds_load_2addr_b64 v[4:7], v182 offset0:46 offset1:47
	v_pk_add_f32 v[196:197], v[196:197], v[8:9] neg_lo:[0,1] neg_hi:[0,1]
	s_wait_dscnt 0x0
	v_pk_mul_f32 v[8:9], v[4:5], v[2:3] op_sel:[0,1]
	v_pk_fma_f32 v[10:11], v[4:5], v[0:1], v[8:9] op_sel:[0,0,1] op_sel_hi:[1,1,0] neg_lo:[0,0,1] neg_hi:[0,0,1]
	v_pk_fma_f32 v[4:5], v[4:5], v[0:1], v[8:9] op_sel:[0,0,1] op_sel_hi:[1,0,0]
	s_delay_alu instid0(VALU_DEP_1) | instskip(SKIP_1) | instid1(VALU_DEP_1)
	v_mov_b32_e32 v11, v5
	v_pk_mul_f32 v[4:5], v[6:7], v[2:3] op_sel:[0,1]
	v_pk_fma_f32 v[8:9], v[6:7], v[0:1], v[4:5] op_sel:[0,0,1] op_sel_hi:[1,1,0] neg_lo:[0,0,1] neg_hi:[0,0,1]
	v_pk_fma_f32 v[4:5], v[6:7], v[0:1], v[4:5] op_sel:[0,0,1] op_sel_hi:[1,0,0]
	s_delay_alu instid0(VALU_DEP_1)
	v_mov_b32_e32 v9, v5
	ds_load_2addr_b64 v[4:7], v182 offset0:48 offset1:49
	v_pk_add_f32 v[198:199], v[198:199], v[10:11] neg_lo:[0,1] neg_hi:[0,1]
	v_pk_add_f32 v[194:195], v[194:195], v[8:9] neg_lo:[0,1] neg_hi:[0,1]
	s_wait_dscnt 0x0
	v_pk_mul_f32 v[8:9], v[4:5], v[2:3] op_sel:[0,1]
	s_delay_alu instid0(VALU_DEP_1) | instskip(SKIP_1) | instid1(VALU_DEP_1)
	v_pk_fma_f32 v[10:11], v[4:5], v[0:1], v[8:9] op_sel:[0,0,1] op_sel_hi:[1,1,0] neg_lo:[0,0,1] neg_hi:[0,0,1]
	v_pk_fma_f32 v[4:5], v[4:5], v[0:1], v[8:9] op_sel:[0,0,1] op_sel_hi:[1,0,0]
	v_mov_b32_e32 v11, v5
	v_pk_mul_f32 v[4:5], v[6:7], v[2:3] op_sel:[0,1]
	s_delay_alu instid0(VALU_DEP_1) | instskip(SKIP_1) | instid1(VALU_DEP_1)
	v_pk_fma_f32 v[8:9], v[6:7], v[0:1], v[4:5] op_sel:[0,0,1] op_sel_hi:[1,1,0] neg_lo:[0,0,1] neg_hi:[0,0,1]
	v_pk_fma_f32 v[4:5], v[6:7], v[0:1], v[4:5] op_sel:[0,0,1] op_sel_hi:[1,0,0]
	v_mov_b32_e32 v9, v5
	ds_load_2addr_b64 v[4:7], v182 offset0:50 offset1:51
	v_pk_add_f32 v[224:225], v[224:225], v[10:11] neg_lo:[0,1] neg_hi:[0,1]
	v_pk_add_f32 v[216:217], v[216:217], v[8:9] neg_lo:[0,1] neg_hi:[0,1]
	s_wait_dscnt 0x0
	v_dual_mul_f32 v8, v5, v3 :: v_dual_mul_f32 v10, v5, v0
	s_delay_alu instid0(VALU_DEP_1) | instskip(NEXT) | instid1(VALU_DEP_2)
	v_pk_fma_f32 v[8:9], v[4:5], v[56:57], v[8:9] op_sel_hi:[1,1,0] neg_lo:[0,0,1] neg_hi:[0,0,1]
	v_pk_fma_f32 v[4:5], v[4:5], v[56:57], v[10:11] op_sel:[1,0,0] op_sel_hi:[0,1,0]
	s_delay_alu instid0(VALU_DEP_1) | instskip(SKIP_1) | instid1(VALU_DEP_2)
	v_mov_b32_e32 v9, v5
	v_pk_mul_f32 v[4:5], v[6:7], v[2:3] op_sel:[0,1]
	v_pk_add_f32 v[222:223], v[222:223], v[8:9] neg_lo:[0,1] neg_hi:[0,1]
	s_delay_alu instid0(VALU_DEP_2) | instskip(SKIP_1) | instid1(VALU_DEP_1)
	v_pk_fma_f32 v[8:9], v[6:7], v[0:1], v[4:5] op_sel:[0,0,1] op_sel_hi:[1,1,0] neg_lo:[0,0,1] neg_hi:[0,0,1]
	v_pk_fma_f32 v[4:5], v[6:7], v[0:1], v[4:5] op_sel:[0,0,1] op_sel_hi:[1,0,0]
	v_mov_b32_e32 v9, v5
	ds_load_2addr_b64 v[4:7], v182 offset0:52 offset1:53
	v_pk_add_f32 v[214:215], v[214:215], v[8:9] neg_lo:[0,1] neg_hi:[0,1]
	s_wait_dscnt 0x0
	v_pk_mul_f32 v[8:9], v[4:5], v[2:3] op_sel:[0,1]
	s_delay_alu instid0(VALU_DEP_1) | instskip(SKIP_1) | instid1(VALU_DEP_1)
	v_pk_fma_f32 v[10:11], v[4:5], v[0:1], v[8:9] op_sel:[0,0,1] op_sel_hi:[1,1,0] neg_lo:[0,0,1] neg_hi:[0,0,1]
	v_pk_fma_f32 v[4:5], v[4:5], v[0:1], v[8:9] op_sel:[0,0,1] op_sel_hi:[1,0,0]
	v_mov_b32_e32 v11, v5
	v_pk_mul_f32 v[4:5], v[6:7], v[2:3] op_sel:[0,1]
	s_delay_alu instid0(VALU_DEP_2) | instskip(NEXT) | instid1(VALU_DEP_2)
	v_pk_add_f32 v[220:221], v[220:221], v[10:11] neg_lo:[0,1] neg_hi:[0,1]
	v_pk_fma_f32 v[8:9], v[6:7], v[0:1], v[4:5] op_sel:[0,0,1] op_sel_hi:[1,1,0] neg_lo:[0,0,1] neg_hi:[0,0,1]
	v_pk_fma_f32 v[4:5], v[6:7], v[0:1], v[4:5] op_sel:[0,0,1] op_sel_hi:[1,0,0]
	s_delay_alu instid0(VALU_DEP_1) | instskip(SKIP_4) | instid1(VALU_DEP_1)
	v_mov_b32_e32 v9, v5
	ds_load_2addr_b64 v[4:7], v182 offset0:54 offset1:55
	v_pk_add_f32 v[212:213], v[212:213], v[8:9] neg_lo:[0,1] neg_hi:[0,1]
	s_wait_dscnt 0x0
	v_pk_mul_f32 v[8:9], v[4:5], v[2:3] op_sel:[0,1]
	v_pk_fma_f32 v[10:11], v[4:5], v[0:1], v[8:9] op_sel:[0,0,1] op_sel_hi:[1,1,0] neg_lo:[0,0,1] neg_hi:[0,0,1]
	v_pk_fma_f32 v[4:5], v[4:5], v[0:1], v[8:9] op_sel:[0,0,1] op_sel_hi:[1,0,0]
	v_dual_mul_f32 v8, v7, v3 :: v_dual_mov_b32 v4, v7
	s_delay_alu instid0(VALU_DEP_2) | instskip(NEXT) | instid1(VALU_DEP_2)
	v_dual_mov_b32 v11, v5 :: v_dual_mov_b32 v5, v6
	v_pk_fma_f32 v[8:9], v[6:7], v[56:57], v[8:9] op_sel_hi:[1,1,0] neg_lo:[0,0,1] neg_hi:[0,0,1]
	v_mul_f32_e32 v6, v7, v0
	s_delay_alu instid0(VALU_DEP_3) | instskip(NEXT) | instid1(VALU_DEP_2)
	v_pk_add_f32 v[218:219], v[218:219], v[10:11] neg_lo:[0,1] neg_hi:[0,1]
	v_pk_fma_f32 v[4:5], v[4:5], v[56:57], v[6:7] op_sel_hi:[1,1,0]
	s_delay_alu instid0(VALU_DEP_1) | instskip(SKIP_4) | instid1(VALU_DEP_1)
	v_mov_b32_e32 v9, v5
	ds_load_b64 v[4:5], v182 offset:448
	v_pk_add_f32 v[226:227], v[226:227], v[8:9] neg_lo:[0,1] neg_hi:[0,1]
	s_wait_dscnt 0x0
	v_pk_mul_f32 v[2:3], v[4:5], v[2:3] op_sel:[0,1]
	v_pk_fma_f32 v[6:7], v[4:5], v[0:1], v[2:3] op_sel:[0,0,1] op_sel_hi:[1,1,0] neg_lo:[0,0,1] neg_hi:[0,0,1]
	v_pk_fma_f32 v[0:1], v[4:5], v[0:1], v[2:3] op_sel:[0,0,1] op_sel_hi:[1,0,0]
	s_delay_alu instid0(VALU_DEP_1) | instskip(NEXT) | instid1(VALU_DEP_1)
	v_mov_b32_e32 v7, v1
	v_pk_add_f32 v[228:229], v[228:229], v[6:7] neg_lo:[0,1] neg_hi:[0,1]
.LBB113_19:
	s_wait_xcnt 0x0
	s_or_b32 exec_lo, exec_lo, s1
	s_delay_alu instid0(SALU_CYCLE_1)
	s_mov_b32 s2, exec_lo
	s_wait_storecnt 0x0
	s_barrier_signal -1
	s_barrier_wait -1
	v_cmpx_eq_u32_e32 2, v180
	s_cbranch_execz .LBB113_26
; %bb.20:
	ds_store_b64 v181, v[46:47]
	ds_store_2addr_b64 v182, v[44:45], v[26:27] offset0:3 offset1:4
	ds_store_2addr_b64 v182, v[22:23], v[24:25] offset0:5 offset1:6
	;; [unrolled: 1-line block ×27, first 2 shown]
	ds_load_b64 v[0:1], v181
	s_wait_dscnt 0x0
	v_cmp_neq_f32_e32 vcc_lo, 0, v0
	v_cmp_neq_f32_e64 s1, 0, v1
	s_or_b32 s1, vcc_lo, s1
	s_delay_alu instid0(SALU_CYCLE_1)
	s_and_b32 exec_lo, exec_lo, s1
	s_cbranch_execz .LBB113_26
; %bb.21:
	v_cmp_ngt_f32_e64 s1, |v0|, |v1|
                                        ; implicit-def: $vgpr2_vgpr3
	s_and_saveexec_b32 s4, s1
	s_delay_alu instid0(SALU_CYCLE_1)
	s_xor_b32 s1, exec_lo, s4
	s_cbranch_execz .LBB113_23
; %bb.22:
	v_div_scale_f32 v2, null, v1, v1, v0
	v_div_scale_f32 v5, vcc_lo, v0, v1, v0
	s_delay_alu instid0(VALU_DEP_2) | instskip(SKIP_1) | instid1(TRANS32_DEP_1)
	v_rcp_f32_e32 v3, v2
	v_nop
	v_fma_f32 v4, -v2, v3, 1.0
	s_delay_alu instid0(VALU_DEP_1) | instskip(NEXT) | instid1(VALU_DEP_1)
	v_fmac_f32_e32 v3, v4, v3
	v_mul_f32_e32 v4, v5, v3
	s_delay_alu instid0(VALU_DEP_1) | instskip(NEXT) | instid1(VALU_DEP_1)
	v_fma_f32 v6, -v2, v4, v5
	v_fmac_f32_e32 v4, v6, v3
	s_delay_alu instid0(VALU_DEP_1) | instskip(NEXT) | instid1(VALU_DEP_1)
	v_fma_f32 v2, -v2, v4, v5
	v_div_fmas_f32 v2, v2, v3, v4
	s_delay_alu instid0(VALU_DEP_1) | instskip(NEXT) | instid1(VALU_DEP_1)
	v_div_fixup_f32 v2, v2, v1, v0
	v_fmac_f32_e32 v1, v0, v2
	s_delay_alu instid0(VALU_DEP_1) | instskip(SKIP_1) | instid1(VALU_DEP_2)
	v_div_scale_f32 v0, null, v1, v1, 1.0
	v_div_scale_f32 v5, vcc_lo, 1.0, v1, 1.0
	v_rcp_f32_e32 v3, v0
	v_nop
	s_delay_alu instid0(TRANS32_DEP_1) | instskip(NEXT) | instid1(VALU_DEP_1)
	v_fma_f32 v4, -v0, v3, 1.0
	v_fmac_f32_e32 v3, v4, v3
	s_delay_alu instid0(VALU_DEP_1) | instskip(NEXT) | instid1(VALU_DEP_1)
	v_mul_f32_e32 v4, v5, v3
	v_fma_f32 v6, -v0, v4, v5
	s_delay_alu instid0(VALU_DEP_1) | instskip(NEXT) | instid1(VALU_DEP_1)
	v_fmac_f32_e32 v4, v6, v3
	v_fma_f32 v0, -v0, v4, v5
	s_delay_alu instid0(VALU_DEP_1) | instskip(NEXT) | instid1(VALU_DEP_1)
	v_div_fmas_f32 v0, v0, v3, v4
	v_div_fixup_f32 v0, v0, v1, 1.0
	s_delay_alu instid0(VALU_DEP_1)
	v_mul_f32_e32 v2, v2, v0
	v_xor_b32_e32 v3, 0x80000000, v0
                                        ; implicit-def: $vgpr0_vgpr1
.LBB113_23:
	s_and_not1_saveexec_b32 s1, s1
	s_cbranch_execz .LBB113_25
; %bb.24:
	v_div_scale_f32 v2, null, v0, v0, v1
	v_div_scale_f32 v5, vcc_lo, v1, v0, v1
	s_delay_alu instid0(VALU_DEP_2) | instskip(SKIP_1) | instid1(TRANS32_DEP_1)
	v_rcp_f32_e32 v3, v2
	v_nop
	v_fma_f32 v4, -v2, v3, 1.0
	s_delay_alu instid0(VALU_DEP_1) | instskip(NEXT) | instid1(VALU_DEP_1)
	v_fmac_f32_e32 v3, v4, v3
	v_mul_f32_e32 v4, v5, v3
	s_delay_alu instid0(VALU_DEP_1) | instskip(NEXT) | instid1(VALU_DEP_1)
	v_fma_f32 v6, -v2, v4, v5
	v_fmac_f32_e32 v4, v6, v3
	s_delay_alu instid0(VALU_DEP_1) | instskip(NEXT) | instid1(VALU_DEP_1)
	v_fma_f32 v2, -v2, v4, v5
	v_div_fmas_f32 v2, v2, v3, v4
	s_delay_alu instid0(VALU_DEP_1) | instskip(NEXT) | instid1(VALU_DEP_1)
	v_div_fixup_f32 v3, v2, v0, v1
	v_fmac_f32_e32 v0, v1, v3
	s_delay_alu instid0(VALU_DEP_1) | instskip(NEXT) | instid1(VALU_DEP_1)
	v_div_scale_f32 v1, null, v0, v0, 1.0
	v_rcp_f32_e32 v2, v1
	v_nop
	s_delay_alu instid0(TRANS32_DEP_1) | instskip(NEXT) | instid1(VALU_DEP_1)
	v_fma_f32 v4, -v1, v2, 1.0
	v_fmac_f32_e32 v2, v4, v2
	v_div_scale_f32 v4, vcc_lo, 1.0, v0, 1.0
	s_delay_alu instid0(VALU_DEP_1) | instskip(NEXT) | instid1(VALU_DEP_1)
	v_mul_f32_e32 v5, v4, v2
	v_fma_f32 v6, -v1, v5, v4
	s_delay_alu instid0(VALU_DEP_1) | instskip(NEXT) | instid1(VALU_DEP_1)
	v_fmac_f32_e32 v5, v6, v2
	v_fma_f32 v1, -v1, v5, v4
	s_delay_alu instid0(VALU_DEP_1) | instskip(NEXT) | instid1(VALU_DEP_1)
	v_div_fmas_f32 v1, v1, v2, v5
	v_div_fixup_f32 v2, v1, v0, 1.0
	s_delay_alu instid0(VALU_DEP_1)
	v_mul_f32_e64 v3, v3, -v2
.LBB113_25:
	s_or_b32 exec_lo, exec_lo, s1
	ds_store_b64 v181, v[2:3]
.LBB113_26:
	s_or_b32 exec_lo, exec_lo, s2
	s_wait_dscnt 0x0
	s_barrier_signal -1
	s_barrier_wait -1
	ds_load_b64 v[0:1], v181
	s_mov_b32 s1, exec_lo
	s_wait_dscnt 0x0
	scratch_store_b64 off, v[0:1], off offset:304 ; 8-byte Folded Spill
	s_wait_xcnt 0x0
	v_cmpx_lt_u32_e32 2, v180
	s_cbranch_execz .LBB113_28
; %bb.27:
	scratch_load_b64 v[4:5], off, off offset:304 ; 8-byte Folded Reload
	s_wait_loadcnt 0x0
	v_pk_mul_f32 v[2:3], v[4:5], v[46:47] op_sel:[1,1] op_sel_hi:[0,1]
	s_delay_alu instid0(VALU_DEP_1)
	v_pk_fma_f32 v[0:1], v[4:5], v[46:47], v[2:3] op_sel_hi:[1,0,1] neg_lo:[0,0,1] neg_hi:[0,0,1]
	v_pk_fma_f32 v[2:3], v[4:5], v[46:47], v[2:3] op_sel_hi:[1,0,1]
	ds_load_2addr_b64 v[4:7], v182 offset0:3 offset1:4
	v_dual_mov_b32 v46, v0 :: v_dual_mov_b32 v47, v3
	s_wait_dscnt 0x0
	v_pk_mul_f32 v[8:9], v[4:5], v[2:3] op_sel:[0,1]
	s_delay_alu instid0(VALU_DEP_1) | instskip(SKIP_1) | instid1(VALU_DEP_1)
	v_pk_fma_f32 v[10:11], v[4:5], v[0:1], v[8:9] op_sel:[0,0,1] op_sel_hi:[1,1,0] neg_lo:[0,0,1] neg_hi:[0,0,1]
	v_pk_fma_f32 v[4:5], v[4:5], v[0:1], v[8:9] op_sel:[0,0,1] op_sel_hi:[1,0,0]
	v_mov_b32_e32 v11, v5
	v_pk_mul_f32 v[4:5], v[6:7], v[2:3] op_sel:[0,1]
	s_delay_alu instid0(VALU_DEP_1) | instskip(SKIP_1) | instid1(VALU_DEP_1)
	v_pk_fma_f32 v[8:9], v[6:7], v[0:1], v[4:5] op_sel:[0,0,1] op_sel_hi:[1,1,0] neg_lo:[0,0,1] neg_hi:[0,0,1]
	v_pk_fma_f32 v[4:5], v[6:7], v[0:1], v[4:5] op_sel:[0,0,1] op_sel_hi:[1,0,0]
	v_mov_b32_e32 v9, v5
	ds_load_2addr_b64 v[4:7], v182 offset0:5 offset1:6
	v_pk_add_f32 v[44:45], v[44:45], v[10:11] neg_lo:[0,1] neg_hi:[0,1]
	v_pk_add_f32 v[26:27], v[26:27], v[8:9] neg_lo:[0,1] neg_hi:[0,1]
	s_wait_dscnt 0x0
	v_pk_mul_f32 v[8:9], v[4:5], v[2:3] op_sel:[0,1]
	s_delay_alu instid0(VALU_DEP_1) | instskip(SKIP_2) | instid1(VALU_DEP_2)
	v_pk_fma_f32 v[10:11], v[4:5], v[0:1], v[8:9] op_sel:[0,0,1] op_sel_hi:[1,1,0] neg_lo:[0,0,1] neg_hi:[0,0,1]
	v_pk_fma_f32 v[4:5], v[4:5], v[0:1], v[8:9] op_sel:[0,0,1] op_sel_hi:[1,0,0]
	v_dual_mul_f32 v8, v7, v3 :: v_dual_mov_b32 v4, v7
	v_dual_mov_b32 v11, v5 :: v_dual_mov_b32 v5, v6
	s_delay_alu instid0(VALU_DEP_2) | instskip(SKIP_1) | instid1(VALU_DEP_3)
	v_pk_fma_f32 v[8:9], v[6:7], v[46:47], v[8:9] op_sel_hi:[1,1,0] neg_lo:[0,0,1] neg_hi:[0,0,1]
	v_mul_f32_e32 v6, v7, v0
	v_pk_add_f32 v[22:23], v[22:23], v[10:11] neg_lo:[0,1] neg_hi:[0,1]
	s_delay_alu instid0(VALU_DEP_2) | instskip(NEXT) | instid1(VALU_DEP_1)
	v_pk_fma_f32 v[4:5], v[4:5], v[46:47], v[6:7] op_sel_hi:[1,1,0]
	v_mov_b32_e32 v9, v5
	ds_load_2addr_b64 v[4:7], v182 offset0:7 offset1:8
	v_pk_add_f32 v[24:25], v[24:25], v[8:9] neg_lo:[0,1] neg_hi:[0,1]
	s_wait_dscnt 0x0
	v_pk_mul_f32 v[8:9], v[4:5], v[2:3] op_sel:[0,1]
	s_delay_alu instid0(VALU_DEP_1) | instskip(SKIP_1) | instid1(VALU_DEP_1)
	v_pk_fma_f32 v[10:11], v[4:5], v[0:1], v[8:9] op_sel:[0,0,1] op_sel_hi:[1,1,0] neg_lo:[0,0,1] neg_hi:[0,0,1]
	v_pk_fma_f32 v[4:5], v[4:5], v[0:1], v[8:9] op_sel:[0,0,1] op_sel_hi:[1,0,0]
	v_mov_b32_e32 v11, v5
	v_pk_mul_f32 v[4:5], v[6:7], v[2:3] op_sel:[0,1]
	s_delay_alu instid0(VALU_DEP_1) | instskip(SKIP_1) | instid1(VALU_DEP_1)
	v_pk_fma_f32 v[8:9], v[6:7], v[0:1], v[4:5] op_sel:[0,0,1] op_sel_hi:[1,1,0] neg_lo:[0,0,1] neg_hi:[0,0,1]
	v_pk_fma_f32 v[4:5], v[6:7], v[0:1], v[4:5] op_sel:[0,0,1] op_sel_hi:[1,0,0]
	v_mov_b32_e32 v9, v5
	ds_load_2addr_b64 v[4:7], v182 offset0:9 offset1:10
	v_pk_add_f32 v[20:21], v[20:21], v[10:11] neg_lo:[0,1] neg_hi:[0,1]
	v_pk_add_f32 v[40:41], v[40:41], v[8:9] neg_lo:[0,1] neg_hi:[0,1]
	s_wait_dscnt 0x0
	v_pk_mul_f32 v[8:9], v[4:5], v[2:3] op_sel:[0,1]
	s_delay_alu instid0(VALU_DEP_1) | instskip(SKIP_1) | instid1(VALU_DEP_1)
	v_pk_fma_f32 v[10:11], v[4:5], v[0:1], v[8:9] op_sel:[0,0,1] op_sel_hi:[1,1,0] neg_lo:[0,0,1] neg_hi:[0,0,1]
	v_pk_fma_f32 v[4:5], v[4:5], v[0:1], v[8:9] op_sel:[0,0,1] op_sel_hi:[1,0,0]
	v_mov_b32_e32 v11, v5
	v_pk_mul_f32 v[4:5], v[6:7], v[2:3] op_sel:[0,1]
	s_delay_alu instid0(VALU_DEP_1) | instskip(SKIP_1) | instid1(VALU_DEP_1)
	v_pk_fma_f32 v[8:9], v[6:7], v[0:1], v[4:5] op_sel:[0,0,1] op_sel_hi:[1,1,0] neg_lo:[0,0,1] neg_hi:[0,0,1]
	v_pk_fma_f32 v[4:5], v[6:7], v[0:1], v[4:5] op_sel:[0,0,1] op_sel_hi:[1,0,0]
	v_mov_b32_e32 v9, v5
	ds_load_2addr_b64 v[4:7], v182 offset0:11 offset1:12
	v_pk_add_f32 v[36:37], v[36:37], v[10:11] neg_lo:[0,1] neg_hi:[0,1]
	v_pk_add_f32 v[38:39], v[38:39], v[8:9] neg_lo:[0,1] neg_hi:[0,1]
	s_wait_dscnt 0x0
	v_dual_mul_f32 v8, v5, v3 :: v_dual_mul_f32 v10, v5, v0
	s_delay_alu instid0(VALU_DEP_1) | instskip(NEXT) | instid1(VALU_DEP_2)
	v_pk_fma_f32 v[8:9], v[4:5], v[46:47], v[8:9] op_sel_hi:[1,1,0] neg_lo:[0,0,1] neg_hi:[0,0,1]
	v_pk_fma_f32 v[4:5], v[4:5], v[46:47], v[10:11] op_sel:[1,0,0] op_sel_hi:[0,1,0]
	s_delay_alu instid0(VALU_DEP_1) | instskip(SKIP_1) | instid1(VALU_DEP_2)
	v_mov_b32_e32 v9, v5
	v_pk_mul_f32 v[4:5], v[6:7], v[2:3] op_sel:[0,1]
	v_pk_add_f32 v[34:35], v[34:35], v[8:9] neg_lo:[0,1] neg_hi:[0,1]
	s_delay_alu instid0(VALU_DEP_2) | instskip(SKIP_1) | instid1(VALU_DEP_1)
	v_pk_fma_f32 v[8:9], v[6:7], v[0:1], v[4:5] op_sel:[0,0,1] op_sel_hi:[1,1,0] neg_lo:[0,0,1] neg_hi:[0,0,1]
	v_pk_fma_f32 v[4:5], v[6:7], v[0:1], v[4:5] op_sel:[0,0,1] op_sel_hi:[1,0,0]
	v_mov_b32_e32 v9, v5
	ds_load_2addr_b64 v[4:7], v182 offset0:13 offset1:14
	v_pk_add_f32 v[64:65], v[64:65], v[8:9] neg_lo:[0,1] neg_hi:[0,1]
	s_wait_dscnt 0x0
	v_pk_mul_f32 v[8:9], v[4:5], v[2:3] op_sel:[0,1]
	s_delay_alu instid0(VALU_DEP_1) | instskip(SKIP_1) | instid1(VALU_DEP_1)
	v_pk_fma_f32 v[10:11], v[4:5], v[0:1], v[8:9] op_sel:[0,0,1] op_sel_hi:[1,1,0] neg_lo:[0,0,1] neg_hi:[0,0,1]
	v_pk_fma_f32 v[4:5], v[4:5], v[0:1], v[8:9] op_sel:[0,0,1] op_sel_hi:[1,0,0]
	v_mov_b32_e32 v11, v5
	v_pk_mul_f32 v[4:5], v[6:7], v[2:3] op_sel:[0,1]
	s_delay_alu instid0(VALU_DEP_2) | instskip(NEXT) | instid1(VALU_DEP_2)
	v_pk_add_f32 v[60:61], v[60:61], v[10:11] neg_lo:[0,1] neg_hi:[0,1]
	v_pk_fma_f32 v[8:9], v[6:7], v[0:1], v[4:5] op_sel:[0,0,1] op_sel_hi:[1,1,0] neg_lo:[0,0,1] neg_hi:[0,0,1]
	v_pk_fma_f32 v[4:5], v[6:7], v[0:1], v[4:5] op_sel:[0,0,1] op_sel_hi:[1,0,0]
	s_delay_alu instid0(VALU_DEP_1) | instskip(SKIP_4) | instid1(VALU_DEP_1)
	v_mov_b32_e32 v9, v5
	ds_load_2addr_b64 v[4:7], v182 offset0:15 offset1:16
	v_pk_add_f32 v[62:63], v[62:63], v[8:9] neg_lo:[0,1] neg_hi:[0,1]
	s_wait_dscnt 0x0
	v_pk_mul_f32 v[8:9], v[4:5], v[2:3] op_sel:[0,1]
	v_pk_fma_f32 v[10:11], v[4:5], v[0:1], v[8:9] op_sel:[0,0,1] op_sel_hi:[1,1,0] neg_lo:[0,0,1] neg_hi:[0,0,1]
	v_pk_fma_f32 v[4:5], v[4:5], v[0:1], v[8:9] op_sel:[0,0,1] op_sel_hi:[1,0,0]
	v_dual_mul_f32 v8, v7, v3 :: v_dual_mov_b32 v4, v7
	s_delay_alu instid0(VALU_DEP_2) | instskip(NEXT) | instid1(VALU_DEP_2)
	v_dual_mov_b32 v11, v5 :: v_dual_mov_b32 v5, v6
	v_pk_fma_f32 v[8:9], v[6:7], v[46:47], v[8:9] op_sel_hi:[1,1,0] neg_lo:[0,0,1] neg_hi:[0,0,1]
	v_mul_f32_e32 v6, v7, v0
	s_delay_alu instid0(VALU_DEP_3) | instskip(NEXT) | instid1(VALU_DEP_2)
	v_pk_add_f32 v[58:59], v[58:59], v[10:11] neg_lo:[0,1] neg_hi:[0,1]
	v_pk_fma_f32 v[4:5], v[4:5], v[46:47], v[6:7] op_sel_hi:[1,1,0]
	s_delay_alu instid0(VALU_DEP_1) | instskip(SKIP_4) | instid1(VALU_DEP_1)
	v_mov_b32_e32 v9, v5
	ds_load_2addr_b64 v[4:7], v182 offset0:17 offset1:18
	v_pk_add_f32 v[80:81], v[80:81], v[8:9] neg_lo:[0,1] neg_hi:[0,1]
	s_wait_dscnt 0x0
	v_pk_mul_f32 v[8:9], v[4:5], v[2:3] op_sel:[0,1]
	v_pk_fma_f32 v[10:11], v[4:5], v[0:1], v[8:9] op_sel:[0,0,1] op_sel_hi:[1,1,0] neg_lo:[0,0,1] neg_hi:[0,0,1]
	v_pk_fma_f32 v[4:5], v[4:5], v[0:1], v[8:9] op_sel:[0,0,1] op_sel_hi:[1,0,0]
	s_delay_alu instid0(VALU_DEP_1) | instskip(SKIP_1) | instid1(VALU_DEP_1)
	v_mov_b32_e32 v11, v5
	v_pk_mul_f32 v[4:5], v[6:7], v[2:3] op_sel:[0,1]
	v_pk_fma_f32 v[8:9], v[6:7], v[0:1], v[4:5] op_sel:[0,0,1] op_sel_hi:[1,1,0] neg_lo:[0,0,1] neg_hi:[0,0,1]
	v_pk_fma_f32 v[4:5], v[6:7], v[0:1], v[4:5] op_sel:[0,0,1] op_sel_hi:[1,0,0]
	s_delay_alu instid0(VALU_DEP_1)
	v_mov_b32_e32 v9, v5
	ds_load_2addr_b64 v[4:7], v182 offset0:19 offset1:20
	v_pk_add_f32 v[76:77], v[76:77], v[10:11] neg_lo:[0,1] neg_hi:[0,1]
	v_pk_add_f32 v[78:79], v[78:79], v[8:9] neg_lo:[0,1] neg_hi:[0,1]
	s_wait_dscnt 0x0
	v_pk_mul_f32 v[8:9], v[4:5], v[2:3] op_sel:[0,1]
	s_delay_alu instid0(VALU_DEP_1) | instskip(SKIP_1) | instid1(VALU_DEP_1)
	v_pk_fma_f32 v[10:11], v[4:5], v[0:1], v[8:9] op_sel:[0,0,1] op_sel_hi:[1,1,0] neg_lo:[0,0,1] neg_hi:[0,0,1]
	v_pk_fma_f32 v[4:5], v[4:5], v[0:1], v[8:9] op_sel:[0,0,1] op_sel_hi:[1,0,0]
	v_mov_b32_e32 v11, v5
	v_pk_mul_f32 v[4:5], v[6:7], v[2:3] op_sel:[0,1]
	s_delay_alu instid0(VALU_DEP_1) | instskip(SKIP_1) | instid1(VALU_DEP_1)
	v_pk_fma_f32 v[8:9], v[6:7], v[0:1], v[4:5] op_sel:[0,0,1] op_sel_hi:[1,1,0] neg_lo:[0,0,1] neg_hi:[0,0,1]
	v_pk_fma_f32 v[4:5], v[6:7], v[0:1], v[4:5] op_sel:[0,0,1] op_sel_hi:[1,0,0]
	v_mov_b32_e32 v9, v5
	ds_load_2addr_b64 v[4:7], v182 offset0:21 offset1:22
	v_pk_add_f32 v[74:75], v[74:75], v[10:11] neg_lo:[0,1] neg_hi:[0,1]
	v_pk_add_f32 v[98:99], v[98:99], v[8:9] neg_lo:[0,1] neg_hi:[0,1]
	s_wait_dscnt 0x0
	v_dual_mul_f32 v8, v5, v3 :: v_dual_mul_f32 v10, v5, v0
	s_delay_alu instid0(VALU_DEP_1) | instskip(NEXT) | instid1(VALU_DEP_2)
	v_pk_fma_f32 v[8:9], v[4:5], v[46:47], v[8:9] op_sel_hi:[1,1,0] neg_lo:[0,0,1] neg_hi:[0,0,1]
	v_pk_fma_f32 v[4:5], v[4:5], v[46:47], v[10:11] op_sel:[1,0,0] op_sel_hi:[0,1,0]
	s_delay_alu instid0(VALU_DEP_1) | instskip(SKIP_1) | instid1(VALU_DEP_2)
	v_mov_b32_e32 v9, v5
	v_pk_mul_f32 v[4:5], v[6:7], v[2:3] op_sel:[0,1]
	v_pk_add_f32 v[94:95], v[94:95], v[8:9] neg_lo:[0,1] neg_hi:[0,1]
	s_delay_alu instid0(VALU_DEP_2) | instskip(SKIP_1) | instid1(VALU_DEP_1)
	v_pk_fma_f32 v[8:9], v[6:7], v[0:1], v[4:5] op_sel:[0,0,1] op_sel_hi:[1,1,0] neg_lo:[0,0,1] neg_hi:[0,0,1]
	v_pk_fma_f32 v[4:5], v[6:7], v[0:1], v[4:5] op_sel:[0,0,1] op_sel_hi:[1,0,0]
	v_mov_b32_e32 v9, v5
	ds_load_2addr_b64 v[4:7], v182 offset0:23 offset1:24
	v_pk_add_f32 v[96:97], v[96:97], v[8:9] neg_lo:[0,1] neg_hi:[0,1]
	s_wait_dscnt 0x0
	v_pk_mul_f32 v[8:9], v[4:5], v[2:3] op_sel:[0,1]
	s_delay_alu instid0(VALU_DEP_1) | instskip(SKIP_1) | instid1(VALU_DEP_1)
	v_pk_fma_f32 v[10:11], v[4:5], v[0:1], v[8:9] op_sel:[0,0,1] op_sel_hi:[1,1,0] neg_lo:[0,0,1] neg_hi:[0,0,1]
	v_pk_fma_f32 v[4:5], v[4:5], v[0:1], v[8:9] op_sel:[0,0,1] op_sel_hi:[1,0,0]
	v_mov_b32_e32 v11, v5
	v_pk_mul_f32 v[4:5], v[6:7], v[2:3] op_sel:[0,1]
	s_delay_alu instid0(VALU_DEP_2) | instskip(NEXT) | instid1(VALU_DEP_2)
	v_pk_add_f32 v[92:93], v[92:93], v[10:11] neg_lo:[0,1] neg_hi:[0,1]
	v_pk_fma_f32 v[8:9], v[6:7], v[0:1], v[4:5] op_sel:[0,0,1] op_sel_hi:[1,1,0] neg_lo:[0,0,1] neg_hi:[0,0,1]
	v_pk_fma_f32 v[4:5], v[6:7], v[0:1], v[4:5] op_sel:[0,0,1] op_sel_hi:[1,0,0]
	s_delay_alu instid0(VALU_DEP_1) | instskip(SKIP_4) | instid1(VALU_DEP_1)
	v_mov_b32_e32 v9, v5
	ds_load_2addr_b64 v[4:7], v182 offset0:25 offset1:26
	v_pk_add_f32 v[114:115], v[114:115], v[8:9] neg_lo:[0,1] neg_hi:[0,1]
	s_wait_dscnt 0x0
	v_pk_mul_f32 v[8:9], v[4:5], v[2:3] op_sel:[0,1]
	v_pk_fma_f32 v[10:11], v[4:5], v[0:1], v[8:9] op_sel:[0,0,1] op_sel_hi:[1,1,0] neg_lo:[0,0,1] neg_hi:[0,0,1]
	v_pk_fma_f32 v[4:5], v[4:5], v[0:1], v[8:9] op_sel:[0,0,1] op_sel_hi:[1,0,0]
	v_dual_mul_f32 v8, v7, v3 :: v_dual_mov_b32 v4, v7
	s_delay_alu instid0(VALU_DEP_2) | instskip(NEXT) | instid1(VALU_DEP_2)
	v_dual_mov_b32 v11, v5 :: v_dual_mov_b32 v5, v6
	v_pk_fma_f32 v[8:9], v[6:7], v[46:47], v[8:9] op_sel_hi:[1,1,0] neg_lo:[0,0,1] neg_hi:[0,0,1]
	v_mul_f32_e32 v6, v7, v0
	s_delay_alu instid0(VALU_DEP_3) | instskip(NEXT) | instid1(VALU_DEP_2)
	v_pk_add_f32 v[110:111], v[110:111], v[10:11] neg_lo:[0,1] neg_hi:[0,1]
	v_pk_fma_f32 v[4:5], v[4:5], v[46:47], v[6:7] op_sel_hi:[1,1,0]
	s_delay_alu instid0(VALU_DEP_1) | instskip(SKIP_4) | instid1(VALU_DEP_1)
	v_mov_b32_e32 v9, v5
	ds_load_2addr_b64 v[4:7], v182 offset0:27 offset1:28
	v_pk_add_f32 v[112:113], v[112:113], v[8:9] neg_lo:[0,1] neg_hi:[0,1]
	s_wait_dscnt 0x0
	v_pk_mul_f32 v[8:9], v[4:5], v[2:3] op_sel:[0,1]
	v_pk_fma_f32 v[10:11], v[4:5], v[0:1], v[8:9] op_sel:[0,0,1] op_sel_hi:[1,1,0] neg_lo:[0,0,1] neg_hi:[0,0,1]
	v_pk_fma_f32 v[4:5], v[4:5], v[0:1], v[8:9] op_sel:[0,0,1] op_sel_hi:[1,0,0]
	s_delay_alu instid0(VALU_DEP_1) | instskip(SKIP_1) | instid1(VALU_DEP_1)
	v_mov_b32_e32 v11, v5
	v_pk_mul_f32 v[4:5], v[6:7], v[2:3] op_sel:[0,1]
	v_pk_fma_f32 v[8:9], v[6:7], v[0:1], v[4:5] op_sel:[0,0,1] op_sel_hi:[1,1,0] neg_lo:[0,0,1] neg_hi:[0,0,1]
	v_pk_fma_f32 v[4:5], v[6:7], v[0:1], v[4:5] op_sel:[0,0,1] op_sel_hi:[1,0,0]
	s_delay_alu instid0(VALU_DEP_1)
	v_mov_b32_e32 v9, v5
	ds_load_2addr_b64 v[4:7], v182 offset0:29 offset1:30
	v_pk_add_f32 v[108:109], v[108:109], v[10:11] neg_lo:[0,1] neg_hi:[0,1]
	v_pk_add_f32 v[130:131], v[130:131], v[8:9] neg_lo:[0,1] neg_hi:[0,1]
	s_wait_dscnt 0x0
	v_pk_mul_f32 v[8:9], v[4:5], v[2:3] op_sel:[0,1]
	s_delay_alu instid0(VALU_DEP_1) | instskip(SKIP_1) | instid1(VALU_DEP_1)
	v_pk_fma_f32 v[10:11], v[4:5], v[0:1], v[8:9] op_sel:[0,0,1] op_sel_hi:[1,1,0] neg_lo:[0,0,1] neg_hi:[0,0,1]
	v_pk_fma_f32 v[4:5], v[4:5], v[0:1], v[8:9] op_sel:[0,0,1] op_sel_hi:[1,0,0]
	v_mov_b32_e32 v11, v5
	v_pk_mul_f32 v[4:5], v[6:7], v[2:3] op_sel:[0,1]
	s_delay_alu instid0(VALU_DEP_1) | instskip(SKIP_1) | instid1(VALU_DEP_1)
	v_pk_fma_f32 v[8:9], v[6:7], v[0:1], v[4:5] op_sel:[0,0,1] op_sel_hi:[1,1,0] neg_lo:[0,0,1] neg_hi:[0,0,1]
	v_pk_fma_f32 v[4:5], v[6:7], v[0:1], v[4:5] op_sel:[0,0,1] op_sel_hi:[1,0,0]
	v_mov_b32_e32 v9, v5
	ds_load_2addr_b64 v[4:7], v182 offset0:31 offset1:32
	v_pk_add_f32 v[126:127], v[126:127], v[10:11] neg_lo:[0,1] neg_hi:[0,1]
	v_pk_add_f32 v[128:129], v[128:129], v[8:9] neg_lo:[0,1] neg_hi:[0,1]
	s_wait_dscnt 0x0
	v_dual_mul_f32 v8, v5, v3 :: v_dual_mul_f32 v10, v5, v0
	s_delay_alu instid0(VALU_DEP_1) | instskip(NEXT) | instid1(VALU_DEP_2)
	v_pk_fma_f32 v[8:9], v[4:5], v[46:47], v[8:9] op_sel_hi:[1,1,0] neg_lo:[0,0,1] neg_hi:[0,0,1]
	v_pk_fma_f32 v[4:5], v[4:5], v[46:47], v[10:11] op_sel:[1,0,0] op_sel_hi:[0,1,0]
	s_delay_alu instid0(VALU_DEP_1) | instskip(SKIP_1) | instid1(VALU_DEP_2)
	v_mov_b32_e32 v9, v5
	v_pk_mul_f32 v[4:5], v[6:7], v[2:3] op_sel:[0,1]
	v_pk_add_f32 v[124:125], v[124:125], v[8:9] neg_lo:[0,1] neg_hi:[0,1]
	s_delay_alu instid0(VALU_DEP_2) | instskip(SKIP_1) | instid1(VALU_DEP_1)
	v_pk_fma_f32 v[8:9], v[6:7], v[0:1], v[4:5] op_sel:[0,0,1] op_sel_hi:[1,1,0] neg_lo:[0,0,1] neg_hi:[0,0,1]
	v_pk_fma_f32 v[4:5], v[6:7], v[0:1], v[4:5] op_sel:[0,0,1] op_sel_hi:[1,0,0]
	v_mov_b32_e32 v9, v5
	ds_load_2addr_b64 v[4:7], v182 offset0:33 offset1:34
	v_pk_add_f32 v[146:147], v[146:147], v[8:9] neg_lo:[0,1] neg_hi:[0,1]
	s_wait_dscnt 0x0
	v_pk_mul_f32 v[8:9], v[4:5], v[2:3] op_sel:[0,1]
	s_delay_alu instid0(VALU_DEP_1) | instskip(SKIP_1) | instid1(VALU_DEP_1)
	v_pk_fma_f32 v[10:11], v[4:5], v[0:1], v[8:9] op_sel:[0,0,1] op_sel_hi:[1,1,0] neg_lo:[0,0,1] neg_hi:[0,0,1]
	v_pk_fma_f32 v[4:5], v[4:5], v[0:1], v[8:9] op_sel:[0,0,1] op_sel_hi:[1,0,0]
	v_mov_b32_e32 v11, v5
	v_pk_mul_f32 v[4:5], v[6:7], v[2:3] op_sel:[0,1]
	s_delay_alu instid0(VALU_DEP_2) | instskip(NEXT) | instid1(VALU_DEP_2)
	v_pk_add_f32 v[142:143], v[142:143], v[10:11] neg_lo:[0,1] neg_hi:[0,1]
	v_pk_fma_f32 v[8:9], v[6:7], v[0:1], v[4:5] op_sel:[0,0,1] op_sel_hi:[1,1,0] neg_lo:[0,0,1] neg_hi:[0,0,1]
	v_pk_fma_f32 v[4:5], v[6:7], v[0:1], v[4:5] op_sel:[0,0,1] op_sel_hi:[1,0,0]
	s_delay_alu instid0(VALU_DEP_1) | instskip(SKIP_4) | instid1(VALU_DEP_1)
	v_mov_b32_e32 v9, v5
	ds_load_2addr_b64 v[4:7], v182 offset0:35 offset1:36
	v_pk_add_f32 v[144:145], v[144:145], v[8:9] neg_lo:[0,1] neg_hi:[0,1]
	s_wait_dscnt 0x0
	v_pk_mul_f32 v[8:9], v[4:5], v[2:3] op_sel:[0,1]
	v_pk_fma_f32 v[10:11], v[4:5], v[0:1], v[8:9] op_sel:[0,0,1] op_sel_hi:[1,1,0] neg_lo:[0,0,1] neg_hi:[0,0,1]
	v_pk_fma_f32 v[4:5], v[4:5], v[0:1], v[8:9] op_sel:[0,0,1] op_sel_hi:[1,0,0]
	v_dual_mul_f32 v8, v7, v3 :: v_dual_mov_b32 v4, v7
	s_delay_alu instid0(VALU_DEP_2) | instskip(NEXT) | instid1(VALU_DEP_2)
	v_dual_mov_b32 v11, v5 :: v_dual_mov_b32 v5, v6
	v_pk_fma_f32 v[8:9], v[6:7], v[46:47], v[8:9] op_sel_hi:[1,1,0] neg_lo:[0,0,1] neg_hi:[0,0,1]
	v_mul_f32_e32 v6, v7, v0
	s_delay_alu instid0(VALU_DEP_3) | instskip(NEXT) | instid1(VALU_DEP_2)
	v_pk_add_f32 v[140:141], v[140:141], v[10:11] neg_lo:[0,1] neg_hi:[0,1]
	v_pk_fma_f32 v[4:5], v[4:5], v[46:47], v[6:7] op_sel_hi:[1,1,0]
	s_delay_alu instid0(VALU_DEP_1) | instskip(SKIP_4) | instid1(VALU_DEP_1)
	v_mov_b32_e32 v9, v5
	ds_load_2addr_b64 v[4:7], v182 offset0:37 offset1:38
	v_pk_add_f32 v[162:163], v[162:163], v[8:9] neg_lo:[0,1] neg_hi:[0,1]
	s_wait_dscnt 0x0
	v_pk_mul_f32 v[8:9], v[4:5], v[2:3] op_sel:[0,1]
	v_pk_fma_f32 v[10:11], v[4:5], v[0:1], v[8:9] op_sel:[0,0,1] op_sel_hi:[1,1,0] neg_lo:[0,0,1] neg_hi:[0,0,1]
	v_pk_fma_f32 v[4:5], v[4:5], v[0:1], v[8:9] op_sel:[0,0,1] op_sel_hi:[1,0,0]
	s_delay_alu instid0(VALU_DEP_1) | instskip(SKIP_1) | instid1(VALU_DEP_1)
	v_mov_b32_e32 v11, v5
	v_pk_mul_f32 v[4:5], v[6:7], v[2:3] op_sel:[0,1]
	v_pk_fma_f32 v[8:9], v[6:7], v[0:1], v[4:5] op_sel:[0,0,1] op_sel_hi:[1,1,0] neg_lo:[0,0,1] neg_hi:[0,0,1]
	v_pk_fma_f32 v[4:5], v[6:7], v[0:1], v[4:5] op_sel:[0,0,1] op_sel_hi:[1,0,0]
	s_delay_alu instid0(VALU_DEP_1)
	v_mov_b32_e32 v9, v5
	ds_load_2addr_b64 v[4:7], v182 offset0:39 offset1:40
	v_pk_add_f32 v[158:159], v[158:159], v[10:11] neg_lo:[0,1] neg_hi:[0,1]
	v_pk_add_f32 v[160:161], v[160:161], v[8:9] neg_lo:[0,1] neg_hi:[0,1]
	s_wait_dscnt 0x0
	v_pk_mul_f32 v[8:9], v[4:5], v[2:3] op_sel:[0,1]
	s_delay_alu instid0(VALU_DEP_1) | instskip(SKIP_1) | instid1(VALU_DEP_1)
	v_pk_fma_f32 v[10:11], v[4:5], v[0:1], v[8:9] op_sel:[0,0,1] op_sel_hi:[1,1,0] neg_lo:[0,0,1] neg_hi:[0,0,1]
	v_pk_fma_f32 v[4:5], v[4:5], v[0:1], v[8:9] op_sel:[0,0,1] op_sel_hi:[1,0,0]
	v_mov_b32_e32 v11, v5
	v_pk_mul_f32 v[4:5], v[6:7], v[2:3] op_sel:[0,1]
	s_delay_alu instid0(VALU_DEP_1) | instskip(SKIP_1) | instid1(VALU_DEP_1)
	v_pk_fma_f32 v[8:9], v[6:7], v[0:1], v[4:5] op_sel:[0,0,1] op_sel_hi:[1,1,0] neg_lo:[0,0,1] neg_hi:[0,0,1]
	v_pk_fma_f32 v[4:5], v[6:7], v[0:1], v[4:5] op_sel:[0,0,1] op_sel_hi:[1,0,0]
	v_mov_b32_e32 v9, v5
	ds_load_2addr_b64 v[4:7], v182 offset0:41 offset1:42
	v_pk_add_f32 v[156:157], v[156:157], v[10:11] neg_lo:[0,1] neg_hi:[0,1]
	v_pk_add_f32 v[178:179], v[178:179], v[8:9] neg_lo:[0,1] neg_hi:[0,1]
	s_wait_dscnt 0x0
	v_dual_mul_f32 v8, v5, v3 :: v_dual_mul_f32 v10, v5, v0
	s_delay_alu instid0(VALU_DEP_1) | instskip(NEXT) | instid1(VALU_DEP_2)
	v_pk_fma_f32 v[8:9], v[4:5], v[46:47], v[8:9] op_sel_hi:[1,1,0] neg_lo:[0,0,1] neg_hi:[0,0,1]
	v_pk_fma_f32 v[4:5], v[4:5], v[46:47], v[10:11] op_sel:[1,0,0] op_sel_hi:[0,1,0]
	s_delay_alu instid0(VALU_DEP_1) | instskip(SKIP_1) | instid1(VALU_DEP_2)
	v_mov_b32_e32 v9, v5
	v_pk_mul_f32 v[4:5], v[6:7], v[2:3] op_sel:[0,1]
	v_pk_add_f32 v[174:175], v[174:175], v[8:9] neg_lo:[0,1] neg_hi:[0,1]
	s_delay_alu instid0(VALU_DEP_2) | instskip(SKIP_1) | instid1(VALU_DEP_1)
	v_pk_fma_f32 v[8:9], v[6:7], v[0:1], v[4:5] op_sel:[0,0,1] op_sel_hi:[1,1,0] neg_lo:[0,0,1] neg_hi:[0,0,1]
	v_pk_fma_f32 v[4:5], v[6:7], v[0:1], v[4:5] op_sel:[0,0,1] op_sel_hi:[1,0,0]
	v_mov_b32_e32 v9, v5
	ds_load_2addr_b64 v[4:7], v182 offset0:43 offset1:44
	v_pk_add_f32 v[176:177], v[176:177], v[8:9] neg_lo:[0,1] neg_hi:[0,1]
	s_wait_dscnt 0x0
	v_pk_mul_f32 v[8:9], v[4:5], v[2:3] op_sel:[0,1]
	s_delay_alu instid0(VALU_DEP_1) | instskip(SKIP_1) | instid1(VALU_DEP_1)
	v_pk_fma_f32 v[10:11], v[4:5], v[0:1], v[8:9] op_sel:[0,0,1] op_sel_hi:[1,1,0] neg_lo:[0,0,1] neg_hi:[0,0,1]
	v_pk_fma_f32 v[4:5], v[4:5], v[0:1], v[8:9] op_sel:[0,0,1] op_sel_hi:[1,0,0]
	v_mov_b32_e32 v11, v5
	v_pk_mul_f32 v[4:5], v[6:7], v[2:3] op_sel:[0,1]
	s_delay_alu instid0(VALU_DEP_2) | instskip(NEXT) | instid1(VALU_DEP_2)
	v_pk_add_f32 v[172:173], v[172:173], v[10:11] neg_lo:[0,1] neg_hi:[0,1]
	v_pk_fma_f32 v[8:9], v[6:7], v[0:1], v[4:5] op_sel:[0,0,1] op_sel_hi:[1,1,0] neg_lo:[0,0,1] neg_hi:[0,0,1]
	v_pk_fma_f32 v[4:5], v[6:7], v[0:1], v[4:5] op_sel:[0,0,1] op_sel_hi:[1,0,0]
	s_delay_alu instid0(VALU_DEP_1) | instskip(SKIP_4) | instid1(VALU_DEP_1)
	v_mov_b32_e32 v9, v5
	ds_load_2addr_b64 v[4:7], v182 offset0:45 offset1:46
	v_pk_add_f32 v[200:201], v[200:201], v[8:9] neg_lo:[0,1] neg_hi:[0,1]
	s_wait_dscnt 0x0
	v_pk_mul_f32 v[8:9], v[4:5], v[2:3] op_sel:[0,1]
	v_pk_fma_f32 v[10:11], v[4:5], v[0:1], v[8:9] op_sel:[0,0,1] op_sel_hi:[1,1,0] neg_lo:[0,0,1] neg_hi:[0,0,1]
	v_pk_fma_f32 v[4:5], v[4:5], v[0:1], v[8:9] op_sel:[0,0,1] op_sel_hi:[1,0,0]
	v_dual_mul_f32 v8, v7, v3 :: v_dual_mov_b32 v4, v7
	s_delay_alu instid0(VALU_DEP_2) | instskip(NEXT) | instid1(VALU_DEP_2)
	v_dual_mov_b32 v11, v5 :: v_dual_mov_b32 v5, v6
	v_pk_fma_f32 v[8:9], v[6:7], v[46:47], v[8:9] op_sel_hi:[1,1,0] neg_lo:[0,0,1] neg_hi:[0,0,1]
	v_mul_f32_e32 v6, v7, v0
	s_delay_alu instid0(VALU_DEP_3) | instskip(NEXT) | instid1(VALU_DEP_2)
	v_pk_add_f32 v[196:197], v[196:197], v[10:11] neg_lo:[0,1] neg_hi:[0,1]
	v_pk_fma_f32 v[4:5], v[4:5], v[46:47], v[6:7] op_sel_hi:[1,1,0]
	s_delay_alu instid0(VALU_DEP_1) | instskip(SKIP_4) | instid1(VALU_DEP_1)
	v_mov_b32_e32 v9, v5
	ds_load_2addr_b64 v[4:7], v182 offset0:47 offset1:48
	v_pk_add_f32 v[198:199], v[198:199], v[8:9] neg_lo:[0,1] neg_hi:[0,1]
	s_wait_dscnt 0x0
	v_pk_mul_f32 v[8:9], v[4:5], v[2:3] op_sel:[0,1]
	v_pk_fma_f32 v[10:11], v[4:5], v[0:1], v[8:9] op_sel:[0,0,1] op_sel_hi:[1,1,0] neg_lo:[0,0,1] neg_hi:[0,0,1]
	v_pk_fma_f32 v[4:5], v[4:5], v[0:1], v[8:9] op_sel:[0,0,1] op_sel_hi:[1,0,0]
	s_delay_alu instid0(VALU_DEP_1) | instskip(SKIP_1) | instid1(VALU_DEP_1)
	v_mov_b32_e32 v11, v5
	v_pk_mul_f32 v[4:5], v[6:7], v[2:3] op_sel:[0,1]
	v_pk_fma_f32 v[8:9], v[6:7], v[0:1], v[4:5] op_sel:[0,0,1] op_sel_hi:[1,1,0] neg_lo:[0,0,1] neg_hi:[0,0,1]
	v_pk_fma_f32 v[4:5], v[6:7], v[0:1], v[4:5] op_sel:[0,0,1] op_sel_hi:[1,0,0]
	s_delay_alu instid0(VALU_DEP_1)
	v_mov_b32_e32 v9, v5
	ds_load_2addr_b64 v[4:7], v182 offset0:49 offset1:50
	v_pk_add_f32 v[194:195], v[194:195], v[10:11] neg_lo:[0,1] neg_hi:[0,1]
	v_pk_add_f32 v[224:225], v[224:225], v[8:9] neg_lo:[0,1] neg_hi:[0,1]
	s_wait_dscnt 0x0
	v_pk_mul_f32 v[8:9], v[4:5], v[2:3] op_sel:[0,1]
	s_delay_alu instid0(VALU_DEP_1) | instskip(SKIP_1) | instid1(VALU_DEP_1)
	v_pk_fma_f32 v[10:11], v[4:5], v[0:1], v[8:9] op_sel:[0,0,1] op_sel_hi:[1,1,0] neg_lo:[0,0,1] neg_hi:[0,0,1]
	v_pk_fma_f32 v[4:5], v[4:5], v[0:1], v[8:9] op_sel:[0,0,1] op_sel_hi:[1,0,0]
	v_mov_b32_e32 v11, v5
	v_pk_mul_f32 v[4:5], v[6:7], v[2:3] op_sel:[0,1]
	s_delay_alu instid0(VALU_DEP_1) | instskip(SKIP_1) | instid1(VALU_DEP_1)
	v_pk_fma_f32 v[8:9], v[6:7], v[0:1], v[4:5] op_sel:[0,0,1] op_sel_hi:[1,1,0] neg_lo:[0,0,1] neg_hi:[0,0,1]
	v_pk_fma_f32 v[4:5], v[6:7], v[0:1], v[4:5] op_sel:[0,0,1] op_sel_hi:[1,0,0]
	v_mov_b32_e32 v9, v5
	ds_load_2addr_b64 v[4:7], v182 offset0:51 offset1:52
	v_pk_add_f32 v[216:217], v[216:217], v[10:11] neg_lo:[0,1] neg_hi:[0,1]
	v_pk_add_f32 v[222:223], v[222:223], v[8:9] neg_lo:[0,1] neg_hi:[0,1]
	s_wait_dscnt 0x0
	v_dual_mul_f32 v8, v5, v3 :: v_dual_mul_f32 v10, v5, v0
	s_delay_alu instid0(VALU_DEP_1) | instskip(NEXT) | instid1(VALU_DEP_2)
	v_pk_fma_f32 v[8:9], v[4:5], v[46:47], v[8:9] op_sel_hi:[1,1,0] neg_lo:[0,0,1] neg_hi:[0,0,1]
	v_pk_fma_f32 v[4:5], v[4:5], v[46:47], v[10:11] op_sel:[1,0,0] op_sel_hi:[0,1,0]
	s_delay_alu instid0(VALU_DEP_1) | instskip(SKIP_1) | instid1(VALU_DEP_2)
	v_mov_b32_e32 v9, v5
	v_pk_mul_f32 v[4:5], v[6:7], v[2:3] op_sel:[0,1]
	v_pk_add_f32 v[214:215], v[214:215], v[8:9] neg_lo:[0,1] neg_hi:[0,1]
	s_delay_alu instid0(VALU_DEP_2) | instskip(SKIP_1) | instid1(VALU_DEP_1)
	v_pk_fma_f32 v[8:9], v[6:7], v[0:1], v[4:5] op_sel:[0,0,1] op_sel_hi:[1,1,0] neg_lo:[0,0,1] neg_hi:[0,0,1]
	v_pk_fma_f32 v[4:5], v[6:7], v[0:1], v[4:5] op_sel:[0,0,1] op_sel_hi:[1,0,0]
	v_mov_b32_e32 v9, v5
	ds_load_2addr_b64 v[4:7], v182 offset0:53 offset1:54
	v_pk_add_f32 v[220:221], v[220:221], v[8:9] neg_lo:[0,1] neg_hi:[0,1]
	s_wait_dscnt 0x0
	v_pk_mul_f32 v[8:9], v[4:5], v[2:3] op_sel:[0,1]
	s_delay_alu instid0(VALU_DEP_1) | instskip(SKIP_1) | instid1(VALU_DEP_1)
	v_pk_fma_f32 v[10:11], v[4:5], v[0:1], v[8:9] op_sel:[0,0,1] op_sel_hi:[1,1,0] neg_lo:[0,0,1] neg_hi:[0,0,1]
	v_pk_fma_f32 v[4:5], v[4:5], v[0:1], v[8:9] op_sel:[0,0,1] op_sel_hi:[1,0,0]
	v_mov_b32_e32 v11, v5
	v_pk_mul_f32 v[4:5], v[6:7], v[2:3] op_sel:[0,1]
	s_delay_alu instid0(VALU_DEP_2) | instskip(NEXT) | instid1(VALU_DEP_2)
	v_pk_add_f32 v[212:213], v[212:213], v[10:11] neg_lo:[0,1] neg_hi:[0,1]
	v_pk_fma_f32 v[8:9], v[6:7], v[0:1], v[4:5] op_sel:[0,0,1] op_sel_hi:[1,1,0] neg_lo:[0,0,1] neg_hi:[0,0,1]
	v_pk_fma_f32 v[4:5], v[6:7], v[0:1], v[4:5] op_sel:[0,0,1] op_sel_hi:[1,0,0]
	s_delay_alu instid0(VALU_DEP_1)
	v_mov_b32_e32 v9, v5
	ds_load_2addr_b64 v[4:7], v182 offset0:55 offset1:56
	v_pk_add_f32 v[218:219], v[218:219], v[8:9] neg_lo:[0,1] neg_hi:[0,1]
	s_wait_dscnt 0x0
	v_pk_mul_f32 v[8:9], v[4:5], v[2:3] op_sel:[0,1]
	v_mul_f32_e32 v2, v7, v3
	s_delay_alu instid0(VALU_DEP_2) | instskip(SKIP_2) | instid1(VALU_DEP_4)
	v_pk_fma_f32 v[10:11], v[4:5], v[0:1], v[8:9] op_sel:[0,0,1] op_sel_hi:[1,1,0] neg_lo:[0,0,1] neg_hi:[0,0,1]
	v_pk_fma_f32 v[4:5], v[4:5], v[0:1], v[8:9] op_sel:[0,0,1] op_sel_hi:[1,0,0]
	v_dual_mov_b32 v4, v7 :: v_dual_mul_f32 v0, v7, v0
	v_pk_fma_f32 v[2:3], v[6:7], v[46:47], v[2:3] op_sel_hi:[1,1,0] neg_lo:[0,0,1] neg_hi:[0,0,1]
	s_delay_alu instid0(VALU_DEP_3) | instskip(NEXT) | instid1(VALU_DEP_1)
	v_dual_mov_b32 v11, v5 :: v_dual_mov_b32 v5, v6
	v_pk_add_f32 v[226:227], v[226:227], v[10:11] neg_lo:[0,1] neg_hi:[0,1]
	s_delay_alu instid0(VALU_DEP_2) | instskip(NEXT) | instid1(VALU_DEP_1)
	v_pk_fma_f32 v[0:1], v[4:5], v[46:47], v[0:1] op_sel_hi:[1,1,0]
	v_mov_b32_e32 v3, v1
	s_delay_alu instid0(VALU_DEP_1)
	v_pk_add_f32 v[228:229], v[228:229], v[2:3] neg_lo:[0,1] neg_hi:[0,1]
.LBB113_28:
	s_wait_xcnt 0x0
	s_or_b32 exec_lo, exec_lo, s1
	s_delay_alu instid0(SALU_CYCLE_1)
	s_mov_b32 s2, exec_lo
	s_wait_storecnt 0x0
	s_barrier_signal -1
	s_barrier_wait -1
	v_cmpx_eq_u32_e32 3, v180
	s_cbranch_execz .LBB113_35
; %bb.29:
	v_dual_mov_b32 v0, v26 :: v_dual_mov_b32 v1, v27
	v_dual_mov_b32 v2, v22 :: v_dual_mov_b32 v3, v23
	ds_store_b64 v181, v[44:45]
	ds_store_2addr_b64 v182, v[0:1], v[2:3] offset0:4 offset1:5
	v_dual_mov_b32 v0, v24 :: v_dual_mov_b32 v1, v25
	v_dual_mov_b32 v2, v20 :: v_dual_mov_b32 v3, v21
	ds_store_2addr_b64 v182, v[0:1], v[2:3] offset0:6 offset1:7
	v_dual_mov_b32 v0, v40 :: v_dual_mov_b32 v1, v41
	v_dual_mov_b32 v2, v36 :: v_dual_mov_b32 v3, v37
	;; [unrolled: 3-line block ×25, first 2 shown]
	ds_store_2addr_b64 v182, v[0:1], v[2:3] offset0:54 offset1:55
	ds_store_b64 v182, v[228:229] offset:448
	ds_load_b64 v[0:1], v181
	s_wait_dscnt 0x0
	v_cmp_neq_f32_e32 vcc_lo, 0, v0
	v_cmp_neq_f32_e64 s1, 0, v1
	s_or_b32 s1, vcc_lo, s1
	s_delay_alu instid0(SALU_CYCLE_1)
	s_and_b32 exec_lo, exec_lo, s1
	s_cbranch_execz .LBB113_35
; %bb.30:
	v_cmp_ngt_f32_e64 s1, |v0|, |v1|
                                        ; implicit-def: $vgpr2_vgpr3
	s_and_saveexec_b32 s4, s1
	s_delay_alu instid0(SALU_CYCLE_1)
	s_xor_b32 s1, exec_lo, s4
	s_cbranch_execz .LBB113_32
; %bb.31:
	v_div_scale_f32 v2, null, v1, v1, v0
	v_div_scale_f32 v5, vcc_lo, v0, v1, v0
	s_delay_alu instid0(VALU_DEP_2) | instskip(SKIP_1) | instid1(TRANS32_DEP_1)
	v_rcp_f32_e32 v3, v2
	v_nop
	v_fma_f32 v4, -v2, v3, 1.0
	s_delay_alu instid0(VALU_DEP_1) | instskip(NEXT) | instid1(VALU_DEP_1)
	v_fmac_f32_e32 v3, v4, v3
	v_mul_f32_e32 v4, v5, v3
	s_delay_alu instid0(VALU_DEP_1) | instskip(NEXT) | instid1(VALU_DEP_1)
	v_fma_f32 v6, -v2, v4, v5
	v_fmac_f32_e32 v4, v6, v3
	s_delay_alu instid0(VALU_DEP_1) | instskip(NEXT) | instid1(VALU_DEP_1)
	v_fma_f32 v2, -v2, v4, v5
	v_div_fmas_f32 v2, v2, v3, v4
	s_delay_alu instid0(VALU_DEP_1) | instskip(NEXT) | instid1(VALU_DEP_1)
	v_div_fixup_f32 v2, v2, v1, v0
	v_fmac_f32_e32 v1, v0, v2
	s_delay_alu instid0(VALU_DEP_1) | instskip(SKIP_1) | instid1(VALU_DEP_2)
	v_div_scale_f32 v0, null, v1, v1, 1.0
	v_div_scale_f32 v5, vcc_lo, 1.0, v1, 1.0
	v_rcp_f32_e32 v3, v0
	v_nop
	s_delay_alu instid0(TRANS32_DEP_1) | instskip(NEXT) | instid1(VALU_DEP_1)
	v_fma_f32 v4, -v0, v3, 1.0
	v_fmac_f32_e32 v3, v4, v3
	s_delay_alu instid0(VALU_DEP_1) | instskip(NEXT) | instid1(VALU_DEP_1)
	v_mul_f32_e32 v4, v5, v3
	v_fma_f32 v6, -v0, v4, v5
	s_delay_alu instid0(VALU_DEP_1) | instskip(NEXT) | instid1(VALU_DEP_1)
	v_fmac_f32_e32 v4, v6, v3
	v_fma_f32 v0, -v0, v4, v5
	s_delay_alu instid0(VALU_DEP_1) | instskip(NEXT) | instid1(VALU_DEP_1)
	v_div_fmas_f32 v0, v0, v3, v4
	v_div_fixup_f32 v0, v0, v1, 1.0
	s_delay_alu instid0(VALU_DEP_1)
	v_mul_f32_e32 v2, v2, v0
	v_xor_b32_e32 v3, 0x80000000, v0
                                        ; implicit-def: $vgpr0_vgpr1
.LBB113_32:
	s_and_not1_saveexec_b32 s1, s1
	s_cbranch_execz .LBB113_34
; %bb.33:
	v_div_scale_f32 v2, null, v0, v0, v1
	v_div_scale_f32 v5, vcc_lo, v1, v0, v1
	s_delay_alu instid0(VALU_DEP_2) | instskip(SKIP_1) | instid1(TRANS32_DEP_1)
	v_rcp_f32_e32 v3, v2
	v_nop
	v_fma_f32 v4, -v2, v3, 1.0
	s_delay_alu instid0(VALU_DEP_1) | instskip(NEXT) | instid1(VALU_DEP_1)
	v_fmac_f32_e32 v3, v4, v3
	v_mul_f32_e32 v4, v5, v3
	s_delay_alu instid0(VALU_DEP_1) | instskip(NEXT) | instid1(VALU_DEP_1)
	v_fma_f32 v6, -v2, v4, v5
	v_fmac_f32_e32 v4, v6, v3
	s_delay_alu instid0(VALU_DEP_1) | instskip(NEXT) | instid1(VALU_DEP_1)
	v_fma_f32 v2, -v2, v4, v5
	v_div_fmas_f32 v2, v2, v3, v4
	s_delay_alu instid0(VALU_DEP_1) | instskip(NEXT) | instid1(VALU_DEP_1)
	v_div_fixup_f32 v3, v2, v0, v1
	v_fmac_f32_e32 v0, v1, v3
	s_delay_alu instid0(VALU_DEP_1) | instskip(NEXT) | instid1(VALU_DEP_1)
	v_div_scale_f32 v1, null, v0, v0, 1.0
	v_rcp_f32_e32 v2, v1
	v_nop
	s_delay_alu instid0(TRANS32_DEP_1) | instskip(NEXT) | instid1(VALU_DEP_1)
	v_fma_f32 v4, -v1, v2, 1.0
	v_fmac_f32_e32 v2, v4, v2
	v_div_scale_f32 v4, vcc_lo, 1.0, v0, 1.0
	s_delay_alu instid0(VALU_DEP_1) | instskip(NEXT) | instid1(VALU_DEP_1)
	v_mul_f32_e32 v5, v4, v2
	v_fma_f32 v6, -v1, v5, v4
	s_delay_alu instid0(VALU_DEP_1) | instskip(NEXT) | instid1(VALU_DEP_1)
	v_fmac_f32_e32 v5, v6, v2
	v_fma_f32 v1, -v1, v5, v4
	s_delay_alu instid0(VALU_DEP_1) | instskip(NEXT) | instid1(VALU_DEP_1)
	v_div_fmas_f32 v1, v1, v2, v5
	v_div_fixup_f32 v2, v1, v0, 1.0
	s_delay_alu instid0(VALU_DEP_1)
	v_mul_f32_e64 v3, v3, -v2
.LBB113_34:
	s_or_b32 exec_lo, exec_lo, s1
	ds_store_b64 v181, v[2:3]
.LBB113_35:
	s_or_b32 exec_lo, exec_lo, s2
	s_wait_dscnt 0x0
	s_barrier_signal -1
	s_barrier_wait -1
	ds_load_b64 v[0:1], v181
	s_mov_b32 s1, exec_lo
	s_wait_dscnt 0x0
	scratch_store_b64 off, v[0:1], off offset:312 ; 8-byte Folded Spill
	s_wait_xcnt 0x0
	v_cmpx_lt_u32_e32 3, v180
	s_cbranch_execz .LBB113_37
; %bb.36:
	scratch_load_b64 v[4:5], off, off offset:312 ; 8-byte Folded Reload
	s_wait_loadcnt 0x0
	v_pk_mul_f32 v[2:3], v[4:5], v[44:45] op_sel:[1,1] op_sel_hi:[0,1]
	s_delay_alu instid0(VALU_DEP_1)
	v_pk_fma_f32 v[0:1], v[4:5], v[44:45], v[2:3] op_sel_hi:[1,0,1] neg_lo:[0,0,1] neg_hi:[0,0,1]
	v_pk_fma_f32 v[2:3], v[4:5], v[44:45], v[2:3] op_sel_hi:[1,0,1]
	ds_load_2addr_b64 v[4:7], v182 offset0:4 offset1:5
	v_dual_mov_b32 v44, v0 :: v_dual_mov_b32 v45, v3
	s_wait_dscnt 0x0
	v_pk_mul_f32 v[8:9], v[4:5], v[2:3] op_sel:[0,1]
	s_delay_alu instid0(VALU_DEP_1) | instskip(SKIP_1) | instid1(VALU_DEP_1)
	v_pk_fma_f32 v[10:11], v[4:5], v[0:1], v[8:9] op_sel:[0,0,1] op_sel_hi:[1,1,0] neg_lo:[0,0,1] neg_hi:[0,0,1]
	v_pk_fma_f32 v[4:5], v[4:5], v[0:1], v[8:9] op_sel:[0,0,1] op_sel_hi:[1,0,0]
	v_mov_b32_e32 v11, v5
	v_pk_mul_f32 v[4:5], v[6:7], v[2:3] op_sel:[0,1]
	s_delay_alu instid0(VALU_DEP_1) | instskip(SKIP_1) | instid1(VALU_DEP_1)
	v_pk_fma_f32 v[8:9], v[6:7], v[0:1], v[4:5] op_sel:[0,0,1] op_sel_hi:[1,1,0] neg_lo:[0,0,1] neg_hi:[0,0,1]
	v_pk_fma_f32 v[4:5], v[6:7], v[0:1], v[4:5] op_sel:[0,0,1] op_sel_hi:[1,0,0]
	v_mov_b32_e32 v9, v5
	ds_load_2addr_b64 v[4:7], v182 offset0:6 offset1:7
	v_pk_add_f32 v[26:27], v[26:27], v[10:11] neg_lo:[0,1] neg_hi:[0,1]
	v_pk_add_f32 v[22:23], v[22:23], v[8:9] neg_lo:[0,1] neg_hi:[0,1]
	s_wait_dscnt 0x0
	v_pk_mul_f32 v[8:9], v[4:5], v[2:3] op_sel:[0,1]
	s_delay_alu instid0(VALU_DEP_1) | instskip(SKIP_2) | instid1(VALU_DEP_2)
	v_pk_fma_f32 v[10:11], v[4:5], v[0:1], v[8:9] op_sel:[0,0,1] op_sel_hi:[1,1,0] neg_lo:[0,0,1] neg_hi:[0,0,1]
	v_pk_fma_f32 v[4:5], v[4:5], v[0:1], v[8:9] op_sel:[0,0,1] op_sel_hi:[1,0,0]
	v_dual_mul_f32 v8, v7, v3 :: v_dual_mov_b32 v4, v7
	v_dual_mov_b32 v11, v5 :: v_dual_mov_b32 v5, v6
	s_delay_alu instid0(VALU_DEP_2) | instskip(SKIP_1) | instid1(VALU_DEP_3)
	v_pk_fma_f32 v[8:9], v[6:7], v[44:45], v[8:9] op_sel_hi:[1,1,0] neg_lo:[0,0,1] neg_hi:[0,0,1]
	v_mul_f32_e32 v6, v7, v0
	v_pk_add_f32 v[24:25], v[24:25], v[10:11] neg_lo:[0,1] neg_hi:[0,1]
	s_delay_alu instid0(VALU_DEP_2) | instskip(NEXT) | instid1(VALU_DEP_1)
	v_pk_fma_f32 v[4:5], v[4:5], v[44:45], v[6:7] op_sel_hi:[1,1,0]
	v_mov_b32_e32 v9, v5
	ds_load_2addr_b64 v[4:7], v182 offset0:8 offset1:9
	v_pk_add_f32 v[20:21], v[20:21], v[8:9] neg_lo:[0,1] neg_hi:[0,1]
	s_wait_dscnt 0x0
	v_pk_mul_f32 v[8:9], v[4:5], v[2:3] op_sel:[0,1]
	s_delay_alu instid0(VALU_DEP_1) | instskip(SKIP_1) | instid1(VALU_DEP_1)
	v_pk_fma_f32 v[10:11], v[4:5], v[0:1], v[8:9] op_sel:[0,0,1] op_sel_hi:[1,1,0] neg_lo:[0,0,1] neg_hi:[0,0,1]
	v_pk_fma_f32 v[4:5], v[4:5], v[0:1], v[8:9] op_sel:[0,0,1] op_sel_hi:[1,0,0]
	v_mov_b32_e32 v11, v5
	v_pk_mul_f32 v[4:5], v[6:7], v[2:3] op_sel:[0,1]
	s_delay_alu instid0(VALU_DEP_1) | instskip(SKIP_1) | instid1(VALU_DEP_1)
	v_pk_fma_f32 v[8:9], v[6:7], v[0:1], v[4:5] op_sel:[0,0,1] op_sel_hi:[1,1,0] neg_lo:[0,0,1] neg_hi:[0,0,1]
	v_pk_fma_f32 v[4:5], v[6:7], v[0:1], v[4:5] op_sel:[0,0,1] op_sel_hi:[1,0,0]
	v_mov_b32_e32 v9, v5
	ds_load_2addr_b64 v[4:7], v182 offset0:10 offset1:11
	v_pk_add_f32 v[40:41], v[40:41], v[10:11] neg_lo:[0,1] neg_hi:[0,1]
	v_pk_add_f32 v[36:37], v[36:37], v[8:9] neg_lo:[0,1] neg_hi:[0,1]
	s_wait_dscnt 0x0
	v_pk_mul_f32 v[8:9], v[4:5], v[2:3] op_sel:[0,1]
	s_delay_alu instid0(VALU_DEP_1) | instskip(SKIP_1) | instid1(VALU_DEP_1)
	v_pk_fma_f32 v[10:11], v[4:5], v[0:1], v[8:9] op_sel:[0,0,1] op_sel_hi:[1,1,0] neg_lo:[0,0,1] neg_hi:[0,0,1]
	v_pk_fma_f32 v[4:5], v[4:5], v[0:1], v[8:9] op_sel:[0,0,1] op_sel_hi:[1,0,0]
	v_mov_b32_e32 v11, v5
	v_pk_mul_f32 v[4:5], v[6:7], v[2:3] op_sel:[0,1]
	s_delay_alu instid0(VALU_DEP_1) | instskip(SKIP_1) | instid1(VALU_DEP_1)
	v_pk_fma_f32 v[8:9], v[6:7], v[0:1], v[4:5] op_sel:[0,0,1] op_sel_hi:[1,1,0] neg_lo:[0,0,1] neg_hi:[0,0,1]
	v_pk_fma_f32 v[4:5], v[6:7], v[0:1], v[4:5] op_sel:[0,0,1] op_sel_hi:[1,0,0]
	v_mov_b32_e32 v9, v5
	ds_load_2addr_b64 v[4:7], v182 offset0:12 offset1:13
	v_pk_add_f32 v[38:39], v[38:39], v[10:11] neg_lo:[0,1] neg_hi:[0,1]
	v_pk_add_f32 v[34:35], v[34:35], v[8:9] neg_lo:[0,1] neg_hi:[0,1]
	s_wait_dscnt 0x0
	v_dual_mul_f32 v8, v5, v3 :: v_dual_mul_f32 v10, v5, v0
	s_delay_alu instid0(VALU_DEP_1) | instskip(NEXT) | instid1(VALU_DEP_2)
	v_pk_fma_f32 v[8:9], v[4:5], v[44:45], v[8:9] op_sel_hi:[1,1,0] neg_lo:[0,0,1] neg_hi:[0,0,1]
	v_pk_fma_f32 v[4:5], v[4:5], v[44:45], v[10:11] op_sel:[1,0,0] op_sel_hi:[0,1,0]
	s_delay_alu instid0(VALU_DEP_1) | instskip(SKIP_1) | instid1(VALU_DEP_2)
	v_mov_b32_e32 v9, v5
	v_pk_mul_f32 v[4:5], v[6:7], v[2:3] op_sel:[0,1]
	v_pk_add_f32 v[64:65], v[64:65], v[8:9] neg_lo:[0,1] neg_hi:[0,1]
	s_delay_alu instid0(VALU_DEP_2) | instskip(SKIP_1) | instid1(VALU_DEP_1)
	v_pk_fma_f32 v[8:9], v[6:7], v[0:1], v[4:5] op_sel:[0,0,1] op_sel_hi:[1,1,0] neg_lo:[0,0,1] neg_hi:[0,0,1]
	v_pk_fma_f32 v[4:5], v[6:7], v[0:1], v[4:5] op_sel:[0,0,1] op_sel_hi:[1,0,0]
	v_mov_b32_e32 v9, v5
	ds_load_2addr_b64 v[4:7], v182 offset0:14 offset1:15
	v_pk_add_f32 v[60:61], v[60:61], v[8:9] neg_lo:[0,1] neg_hi:[0,1]
	s_wait_dscnt 0x0
	v_pk_mul_f32 v[8:9], v[4:5], v[2:3] op_sel:[0,1]
	s_delay_alu instid0(VALU_DEP_1) | instskip(SKIP_1) | instid1(VALU_DEP_1)
	v_pk_fma_f32 v[10:11], v[4:5], v[0:1], v[8:9] op_sel:[0,0,1] op_sel_hi:[1,1,0] neg_lo:[0,0,1] neg_hi:[0,0,1]
	v_pk_fma_f32 v[4:5], v[4:5], v[0:1], v[8:9] op_sel:[0,0,1] op_sel_hi:[1,0,0]
	v_mov_b32_e32 v11, v5
	v_pk_mul_f32 v[4:5], v[6:7], v[2:3] op_sel:[0,1]
	s_delay_alu instid0(VALU_DEP_2) | instskip(NEXT) | instid1(VALU_DEP_2)
	v_pk_add_f32 v[62:63], v[62:63], v[10:11] neg_lo:[0,1] neg_hi:[0,1]
	v_pk_fma_f32 v[8:9], v[6:7], v[0:1], v[4:5] op_sel:[0,0,1] op_sel_hi:[1,1,0] neg_lo:[0,0,1] neg_hi:[0,0,1]
	v_pk_fma_f32 v[4:5], v[6:7], v[0:1], v[4:5] op_sel:[0,0,1] op_sel_hi:[1,0,0]
	s_delay_alu instid0(VALU_DEP_1) | instskip(SKIP_4) | instid1(VALU_DEP_1)
	v_mov_b32_e32 v9, v5
	ds_load_2addr_b64 v[4:7], v182 offset0:16 offset1:17
	v_pk_add_f32 v[58:59], v[58:59], v[8:9] neg_lo:[0,1] neg_hi:[0,1]
	s_wait_dscnt 0x0
	v_pk_mul_f32 v[8:9], v[4:5], v[2:3] op_sel:[0,1]
	v_pk_fma_f32 v[10:11], v[4:5], v[0:1], v[8:9] op_sel:[0,0,1] op_sel_hi:[1,1,0] neg_lo:[0,0,1] neg_hi:[0,0,1]
	v_pk_fma_f32 v[4:5], v[4:5], v[0:1], v[8:9] op_sel:[0,0,1] op_sel_hi:[1,0,0]
	v_dual_mul_f32 v8, v7, v3 :: v_dual_mov_b32 v4, v7
	s_delay_alu instid0(VALU_DEP_2) | instskip(NEXT) | instid1(VALU_DEP_2)
	v_dual_mov_b32 v11, v5 :: v_dual_mov_b32 v5, v6
	v_pk_fma_f32 v[8:9], v[6:7], v[44:45], v[8:9] op_sel_hi:[1,1,0] neg_lo:[0,0,1] neg_hi:[0,0,1]
	v_mul_f32_e32 v6, v7, v0
	s_delay_alu instid0(VALU_DEP_3) | instskip(NEXT) | instid1(VALU_DEP_2)
	v_pk_add_f32 v[80:81], v[80:81], v[10:11] neg_lo:[0,1] neg_hi:[0,1]
	v_pk_fma_f32 v[4:5], v[4:5], v[44:45], v[6:7] op_sel_hi:[1,1,0]
	s_delay_alu instid0(VALU_DEP_1) | instskip(SKIP_4) | instid1(VALU_DEP_1)
	v_mov_b32_e32 v9, v5
	ds_load_2addr_b64 v[4:7], v182 offset0:18 offset1:19
	v_pk_add_f32 v[76:77], v[76:77], v[8:9] neg_lo:[0,1] neg_hi:[0,1]
	s_wait_dscnt 0x0
	v_pk_mul_f32 v[8:9], v[4:5], v[2:3] op_sel:[0,1]
	v_pk_fma_f32 v[10:11], v[4:5], v[0:1], v[8:9] op_sel:[0,0,1] op_sel_hi:[1,1,0] neg_lo:[0,0,1] neg_hi:[0,0,1]
	v_pk_fma_f32 v[4:5], v[4:5], v[0:1], v[8:9] op_sel:[0,0,1] op_sel_hi:[1,0,0]
	s_delay_alu instid0(VALU_DEP_1) | instskip(SKIP_1) | instid1(VALU_DEP_1)
	v_mov_b32_e32 v11, v5
	v_pk_mul_f32 v[4:5], v[6:7], v[2:3] op_sel:[0,1]
	v_pk_fma_f32 v[8:9], v[6:7], v[0:1], v[4:5] op_sel:[0,0,1] op_sel_hi:[1,1,0] neg_lo:[0,0,1] neg_hi:[0,0,1]
	v_pk_fma_f32 v[4:5], v[6:7], v[0:1], v[4:5] op_sel:[0,0,1] op_sel_hi:[1,0,0]
	s_delay_alu instid0(VALU_DEP_1)
	v_mov_b32_e32 v9, v5
	ds_load_2addr_b64 v[4:7], v182 offset0:20 offset1:21
	v_pk_add_f32 v[78:79], v[78:79], v[10:11] neg_lo:[0,1] neg_hi:[0,1]
	v_pk_add_f32 v[74:75], v[74:75], v[8:9] neg_lo:[0,1] neg_hi:[0,1]
	s_wait_dscnt 0x0
	v_pk_mul_f32 v[8:9], v[4:5], v[2:3] op_sel:[0,1]
	s_delay_alu instid0(VALU_DEP_1) | instskip(SKIP_1) | instid1(VALU_DEP_1)
	v_pk_fma_f32 v[10:11], v[4:5], v[0:1], v[8:9] op_sel:[0,0,1] op_sel_hi:[1,1,0] neg_lo:[0,0,1] neg_hi:[0,0,1]
	v_pk_fma_f32 v[4:5], v[4:5], v[0:1], v[8:9] op_sel:[0,0,1] op_sel_hi:[1,0,0]
	v_mov_b32_e32 v11, v5
	v_pk_mul_f32 v[4:5], v[6:7], v[2:3] op_sel:[0,1]
	s_delay_alu instid0(VALU_DEP_1) | instskip(SKIP_1) | instid1(VALU_DEP_1)
	v_pk_fma_f32 v[8:9], v[6:7], v[0:1], v[4:5] op_sel:[0,0,1] op_sel_hi:[1,1,0] neg_lo:[0,0,1] neg_hi:[0,0,1]
	v_pk_fma_f32 v[4:5], v[6:7], v[0:1], v[4:5] op_sel:[0,0,1] op_sel_hi:[1,0,0]
	v_mov_b32_e32 v9, v5
	ds_load_2addr_b64 v[4:7], v182 offset0:22 offset1:23
	v_pk_add_f32 v[98:99], v[98:99], v[10:11] neg_lo:[0,1] neg_hi:[0,1]
	v_pk_add_f32 v[94:95], v[94:95], v[8:9] neg_lo:[0,1] neg_hi:[0,1]
	s_wait_dscnt 0x0
	v_dual_mul_f32 v8, v5, v3 :: v_dual_mul_f32 v10, v5, v0
	s_delay_alu instid0(VALU_DEP_1) | instskip(NEXT) | instid1(VALU_DEP_2)
	v_pk_fma_f32 v[8:9], v[4:5], v[44:45], v[8:9] op_sel_hi:[1,1,0] neg_lo:[0,0,1] neg_hi:[0,0,1]
	v_pk_fma_f32 v[4:5], v[4:5], v[44:45], v[10:11] op_sel:[1,0,0] op_sel_hi:[0,1,0]
	s_delay_alu instid0(VALU_DEP_1) | instskip(SKIP_1) | instid1(VALU_DEP_2)
	v_mov_b32_e32 v9, v5
	v_pk_mul_f32 v[4:5], v[6:7], v[2:3] op_sel:[0,1]
	v_pk_add_f32 v[96:97], v[96:97], v[8:9] neg_lo:[0,1] neg_hi:[0,1]
	s_delay_alu instid0(VALU_DEP_2) | instskip(SKIP_1) | instid1(VALU_DEP_1)
	v_pk_fma_f32 v[8:9], v[6:7], v[0:1], v[4:5] op_sel:[0,0,1] op_sel_hi:[1,1,0] neg_lo:[0,0,1] neg_hi:[0,0,1]
	v_pk_fma_f32 v[4:5], v[6:7], v[0:1], v[4:5] op_sel:[0,0,1] op_sel_hi:[1,0,0]
	v_mov_b32_e32 v9, v5
	ds_load_2addr_b64 v[4:7], v182 offset0:24 offset1:25
	v_pk_add_f32 v[92:93], v[92:93], v[8:9] neg_lo:[0,1] neg_hi:[0,1]
	s_wait_dscnt 0x0
	v_pk_mul_f32 v[8:9], v[4:5], v[2:3] op_sel:[0,1]
	s_delay_alu instid0(VALU_DEP_1) | instskip(SKIP_1) | instid1(VALU_DEP_1)
	v_pk_fma_f32 v[10:11], v[4:5], v[0:1], v[8:9] op_sel:[0,0,1] op_sel_hi:[1,1,0] neg_lo:[0,0,1] neg_hi:[0,0,1]
	v_pk_fma_f32 v[4:5], v[4:5], v[0:1], v[8:9] op_sel:[0,0,1] op_sel_hi:[1,0,0]
	v_mov_b32_e32 v11, v5
	v_pk_mul_f32 v[4:5], v[6:7], v[2:3] op_sel:[0,1]
	s_delay_alu instid0(VALU_DEP_2) | instskip(NEXT) | instid1(VALU_DEP_2)
	v_pk_add_f32 v[114:115], v[114:115], v[10:11] neg_lo:[0,1] neg_hi:[0,1]
	v_pk_fma_f32 v[8:9], v[6:7], v[0:1], v[4:5] op_sel:[0,0,1] op_sel_hi:[1,1,0] neg_lo:[0,0,1] neg_hi:[0,0,1]
	v_pk_fma_f32 v[4:5], v[6:7], v[0:1], v[4:5] op_sel:[0,0,1] op_sel_hi:[1,0,0]
	s_delay_alu instid0(VALU_DEP_1) | instskip(SKIP_4) | instid1(VALU_DEP_1)
	v_mov_b32_e32 v9, v5
	ds_load_2addr_b64 v[4:7], v182 offset0:26 offset1:27
	v_pk_add_f32 v[110:111], v[110:111], v[8:9] neg_lo:[0,1] neg_hi:[0,1]
	s_wait_dscnt 0x0
	v_pk_mul_f32 v[8:9], v[4:5], v[2:3] op_sel:[0,1]
	v_pk_fma_f32 v[10:11], v[4:5], v[0:1], v[8:9] op_sel:[0,0,1] op_sel_hi:[1,1,0] neg_lo:[0,0,1] neg_hi:[0,0,1]
	v_pk_fma_f32 v[4:5], v[4:5], v[0:1], v[8:9] op_sel:[0,0,1] op_sel_hi:[1,0,0]
	v_dual_mul_f32 v8, v7, v3 :: v_dual_mov_b32 v4, v7
	s_delay_alu instid0(VALU_DEP_2) | instskip(NEXT) | instid1(VALU_DEP_2)
	v_dual_mov_b32 v11, v5 :: v_dual_mov_b32 v5, v6
	v_pk_fma_f32 v[8:9], v[6:7], v[44:45], v[8:9] op_sel_hi:[1,1,0] neg_lo:[0,0,1] neg_hi:[0,0,1]
	v_mul_f32_e32 v6, v7, v0
	s_delay_alu instid0(VALU_DEP_3) | instskip(NEXT) | instid1(VALU_DEP_2)
	v_pk_add_f32 v[112:113], v[112:113], v[10:11] neg_lo:[0,1] neg_hi:[0,1]
	v_pk_fma_f32 v[4:5], v[4:5], v[44:45], v[6:7] op_sel_hi:[1,1,0]
	s_delay_alu instid0(VALU_DEP_1) | instskip(SKIP_4) | instid1(VALU_DEP_1)
	v_mov_b32_e32 v9, v5
	ds_load_2addr_b64 v[4:7], v182 offset0:28 offset1:29
	v_pk_add_f32 v[108:109], v[108:109], v[8:9] neg_lo:[0,1] neg_hi:[0,1]
	s_wait_dscnt 0x0
	v_pk_mul_f32 v[8:9], v[4:5], v[2:3] op_sel:[0,1]
	v_pk_fma_f32 v[10:11], v[4:5], v[0:1], v[8:9] op_sel:[0,0,1] op_sel_hi:[1,1,0] neg_lo:[0,0,1] neg_hi:[0,0,1]
	v_pk_fma_f32 v[4:5], v[4:5], v[0:1], v[8:9] op_sel:[0,0,1] op_sel_hi:[1,0,0]
	s_delay_alu instid0(VALU_DEP_1) | instskip(SKIP_1) | instid1(VALU_DEP_1)
	v_mov_b32_e32 v11, v5
	v_pk_mul_f32 v[4:5], v[6:7], v[2:3] op_sel:[0,1]
	v_pk_fma_f32 v[8:9], v[6:7], v[0:1], v[4:5] op_sel:[0,0,1] op_sel_hi:[1,1,0] neg_lo:[0,0,1] neg_hi:[0,0,1]
	v_pk_fma_f32 v[4:5], v[6:7], v[0:1], v[4:5] op_sel:[0,0,1] op_sel_hi:[1,0,0]
	s_delay_alu instid0(VALU_DEP_1)
	v_mov_b32_e32 v9, v5
	ds_load_2addr_b64 v[4:7], v182 offset0:30 offset1:31
	v_pk_add_f32 v[130:131], v[130:131], v[10:11] neg_lo:[0,1] neg_hi:[0,1]
	v_pk_add_f32 v[126:127], v[126:127], v[8:9] neg_lo:[0,1] neg_hi:[0,1]
	s_wait_dscnt 0x0
	v_pk_mul_f32 v[8:9], v[4:5], v[2:3] op_sel:[0,1]
	s_delay_alu instid0(VALU_DEP_1) | instskip(SKIP_1) | instid1(VALU_DEP_1)
	v_pk_fma_f32 v[10:11], v[4:5], v[0:1], v[8:9] op_sel:[0,0,1] op_sel_hi:[1,1,0] neg_lo:[0,0,1] neg_hi:[0,0,1]
	v_pk_fma_f32 v[4:5], v[4:5], v[0:1], v[8:9] op_sel:[0,0,1] op_sel_hi:[1,0,0]
	v_mov_b32_e32 v11, v5
	v_pk_mul_f32 v[4:5], v[6:7], v[2:3] op_sel:[0,1]
	s_delay_alu instid0(VALU_DEP_1) | instskip(SKIP_1) | instid1(VALU_DEP_1)
	v_pk_fma_f32 v[8:9], v[6:7], v[0:1], v[4:5] op_sel:[0,0,1] op_sel_hi:[1,1,0] neg_lo:[0,0,1] neg_hi:[0,0,1]
	v_pk_fma_f32 v[4:5], v[6:7], v[0:1], v[4:5] op_sel:[0,0,1] op_sel_hi:[1,0,0]
	v_mov_b32_e32 v9, v5
	ds_load_2addr_b64 v[4:7], v182 offset0:32 offset1:33
	v_pk_add_f32 v[128:129], v[128:129], v[10:11] neg_lo:[0,1] neg_hi:[0,1]
	v_pk_add_f32 v[124:125], v[124:125], v[8:9] neg_lo:[0,1] neg_hi:[0,1]
	s_wait_dscnt 0x0
	v_dual_mul_f32 v8, v5, v3 :: v_dual_mul_f32 v10, v5, v0
	s_delay_alu instid0(VALU_DEP_1) | instskip(NEXT) | instid1(VALU_DEP_2)
	v_pk_fma_f32 v[8:9], v[4:5], v[44:45], v[8:9] op_sel_hi:[1,1,0] neg_lo:[0,0,1] neg_hi:[0,0,1]
	v_pk_fma_f32 v[4:5], v[4:5], v[44:45], v[10:11] op_sel:[1,0,0] op_sel_hi:[0,1,0]
	s_delay_alu instid0(VALU_DEP_1) | instskip(SKIP_1) | instid1(VALU_DEP_2)
	v_mov_b32_e32 v9, v5
	v_pk_mul_f32 v[4:5], v[6:7], v[2:3] op_sel:[0,1]
	v_pk_add_f32 v[146:147], v[146:147], v[8:9] neg_lo:[0,1] neg_hi:[0,1]
	s_delay_alu instid0(VALU_DEP_2) | instskip(SKIP_1) | instid1(VALU_DEP_1)
	v_pk_fma_f32 v[8:9], v[6:7], v[0:1], v[4:5] op_sel:[0,0,1] op_sel_hi:[1,1,0] neg_lo:[0,0,1] neg_hi:[0,0,1]
	v_pk_fma_f32 v[4:5], v[6:7], v[0:1], v[4:5] op_sel:[0,0,1] op_sel_hi:[1,0,0]
	v_mov_b32_e32 v9, v5
	ds_load_2addr_b64 v[4:7], v182 offset0:34 offset1:35
	v_pk_add_f32 v[142:143], v[142:143], v[8:9] neg_lo:[0,1] neg_hi:[0,1]
	s_wait_dscnt 0x0
	v_pk_mul_f32 v[8:9], v[4:5], v[2:3] op_sel:[0,1]
	s_delay_alu instid0(VALU_DEP_1) | instskip(SKIP_1) | instid1(VALU_DEP_1)
	v_pk_fma_f32 v[10:11], v[4:5], v[0:1], v[8:9] op_sel:[0,0,1] op_sel_hi:[1,1,0] neg_lo:[0,0,1] neg_hi:[0,0,1]
	v_pk_fma_f32 v[4:5], v[4:5], v[0:1], v[8:9] op_sel:[0,0,1] op_sel_hi:[1,0,0]
	v_mov_b32_e32 v11, v5
	v_pk_mul_f32 v[4:5], v[6:7], v[2:3] op_sel:[0,1]
	s_delay_alu instid0(VALU_DEP_2) | instskip(NEXT) | instid1(VALU_DEP_2)
	v_pk_add_f32 v[144:145], v[144:145], v[10:11] neg_lo:[0,1] neg_hi:[0,1]
	v_pk_fma_f32 v[8:9], v[6:7], v[0:1], v[4:5] op_sel:[0,0,1] op_sel_hi:[1,1,0] neg_lo:[0,0,1] neg_hi:[0,0,1]
	v_pk_fma_f32 v[4:5], v[6:7], v[0:1], v[4:5] op_sel:[0,0,1] op_sel_hi:[1,0,0]
	s_delay_alu instid0(VALU_DEP_1) | instskip(SKIP_4) | instid1(VALU_DEP_1)
	v_mov_b32_e32 v9, v5
	ds_load_2addr_b64 v[4:7], v182 offset0:36 offset1:37
	v_pk_add_f32 v[140:141], v[140:141], v[8:9] neg_lo:[0,1] neg_hi:[0,1]
	s_wait_dscnt 0x0
	v_pk_mul_f32 v[8:9], v[4:5], v[2:3] op_sel:[0,1]
	v_pk_fma_f32 v[10:11], v[4:5], v[0:1], v[8:9] op_sel:[0,0,1] op_sel_hi:[1,1,0] neg_lo:[0,0,1] neg_hi:[0,0,1]
	v_pk_fma_f32 v[4:5], v[4:5], v[0:1], v[8:9] op_sel:[0,0,1] op_sel_hi:[1,0,0]
	v_dual_mul_f32 v8, v7, v3 :: v_dual_mov_b32 v4, v7
	s_delay_alu instid0(VALU_DEP_2) | instskip(NEXT) | instid1(VALU_DEP_2)
	v_dual_mov_b32 v11, v5 :: v_dual_mov_b32 v5, v6
	v_pk_fma_f32 v[8:9], v[6:7], v[44:45], v[8:9] op_sel_hi:[1,1,0] neg_lo:[0,0,1] neg_hi:[0,0,1]
	v_mul_f32_e32 v6, v7, v0
	s_delay_alu instid0(VALU_DEP_3) | instskip(NEXT) | instid1(VALU_DEP_2)
	v_pk_add_f32 v[162:163], v[162:163], v[10:11] neg_lo:[0,1] neg_hi:[0,1]
	v_pk_fma_f32 v[4:5], v[4:5], v[44:45], v[6:7] op_sel_hi:[1,1,0]
	s_delay_alu instid0(VALU_DEP_1) | instskip(SKIP_4) | instid1(VALU_DEP_1)
	v_mov_b32_e32 v9, v5
	ds_load_2addr_b64 v[4:7], v182 offset0:38 offset1:39
	v_pk_add_f32 v[158:159], v[158:159], v[8:9] neg_lo:[0,1] neg_hi:[0,1]
	s_wait_dscnt 0x0
	v_pk_mul_f32 v[8:9], v[4:5], v[2:3] op_sel:[0,1]
	v_pk_fma_f32 v[10:11], v[4:5], v[0:1], v[8:9] op_sel:[0,0,1] op_sel_hi:[1,1,0] neg_lo:[0,0,1] neg_hi:[0,0,1]
	v_pk_fma_f32 v[4:5], v[4:5], v[0:1], v[8:9] op_sel:[0,0,1] op_sel_hi:[1,0,0]
	s_delay_alu instid0(VALU_DEP_1) | instskip(SKIP_1) | instid1(VALU_DEP_1)
	v_mov_b32_e32 v11, v5
	v_pk_mul_f32 v[4:5], v[6:7], v[2:3] op_sel:[0,1]
	v_pk_fma_f32 v[8:9], v[6:7], v[0:1], v[4:5] op_sel:[0,0,1] op_sel_hi:[1,1,0] neg_lo:[0,0,1] neg_hi:[0,0,1]
	v_pk_fma_f32 v[4:5], v[6:7], v[0:1], v[4:5] op_sel:[0,0,1] op_sel_hi:[1,0,0]
	s_delay_alu instid0(VALU_DEP_1)
	v_mov_b32_e32 v9, v5
	ds_load_2addr_b64 v[4:7], v182 offset0:40 offset1:41
	v_pk_add_f32 v[160:161], v[160:161], v[10:11] neg_lo:[0,1] neg_hi:[0,1]
	v_pk_add_f32 v[156:157], v[156:157], v[8:9] neg_lo:[0,1] neg_hi:[0,1]
	s_wait_dscnt 0x0
	v_pk_mul_f32 v[8:9], v[4:5], v[2:3] op_sel:[0,1]
	s_delay_alu instid0(VALU_DEP_1) | instskip(SKIP_1) | instid1(VALU_DEP_1)
	v_pk_fma_f32 v[10:11], v[4:5], v[0:1], v[8:9] op_sel:[0,0,1] op_sel_hi:[1,1,0] neg_lo:[0,0,1] neg_hi:[0,0,1]
	v_pk_fma_f32 v[4:5], v[4:5], v[0:1], v[8:9] op_sel:[0,0,1] op_sel_hi:[1,0,0]
	v_mov_b32_e32 v11, v5
	v_pk_mul_f32 v[4:5], v[6:7], v[2:3] op_sel:[0,1]
	s_delay_alu instid0(VALU_DEP_1) | instskip(SKIP_1) | instid1(VALU_DEP_1)
	v_pk_fma_f32 v[8:9], v[6:7], v[0:1], v[4:5] op_sel:[0,0,1] op_sel_hi:[1,1,0] neg_lo:[0,0,1] neg_hi:[0,0,1]
	v_pk_fma_f32 v[4:5], v[6:7], v[0:1], v[4:5] op_sel:[0,0,1] op_sel_hi:[1,0,0]
	v_mov_b32_e32 v9, v5
	ds_load_2addr_b64 v[4:7], v182 offset0:42 offset1:43
	v_pk_add_f32 v[178:179], v[178:179], v[10:11] neg_lo:[0,1] neg_hi:[0,1]
	v_pk_add_f32 v[174:175], v[174:175], v[8:9] neg_lo:[0,1] neg_hi:[0,1]
	s_wait_dscnt 0x0
	v_dual_mul_f32 v8, v5, v3 :: v_dual_mul_f32 v10, v5, v0
	s_delay_alu instid0(VALU_DEP_1) | instskip(NEXT) | instid1(VALU_DEP_2)
	v_pk_fma_f32 v[8:9], v[4:5], v[44:45], v[8:9] op_sel_hi:[1,1,0] neg_lo:[0,0,1] neg_hi:[0,0,1]
	v_pk_fma_f32 v[4:5], v[4:5], v[44:45], v[10:11] op_sel:[1,0,0] op_sel_hi:[0,1,0]
	s_delay_alu instid0(VALU_DEP_1) | instskip(SKIP_1) | instid1(VALU_DEP_2)
	v_mov_b32_e32 v9, v5
	v_pk_mul_f32 v[4:5], v[6:7], v[2:3] op_sel:[0,1]
	v_pk_add_f32 v[176:177], v[176:177], v[8:9] neg_lo:[0,1] neg_hi:[0,1]
	s_delay_alu instid0(VALU_DEP_2) | instskip(SKIP_1) | instid1(VALU_DEP_1)
	v_pk_fma_f32 v[8:9], v[6:7], v[0:1], v[4:5] op_sel:[0,0,1] op_sel_hi:[1,1,0] neg_lo:[0,0,1] neg_hi:[0,0,1]
	v_pk_fma_f32 v[4:5], v[6:7], v[0:1], v[4:5] op_sel:[0,0,1] op_sel_hi:[1,0,0]
	v_mov_b32_e32 v9, v5
	ds_load_2addr_b64 v[4:7], v182 offset0:44 offset1:45
	v_pk_add_f32 v[172:173], v[172:173], v[8:9] neg_lo:[0,1] neg_hi:[0,1]
	s_wait_dscnt 0x0
	v_pk_mul_f32 v[8:9], v[4:5], v[2:3] op_sel:[0,1]
	s_delay_alu instid0(VALU_DEP_1) | instskip(SKIP_1) | instid1(VALU_DEP_1)
	v_pk_fma_f32 v[10:11], v[4:5], v[0:1], v[8:9] op_sel:[0,0,1] op_sel_hi:[1,1,0] neg_lo:[0,0,1] neg_hi:[0,0,1]
	v_pk_fma_f32 v[4:5], v[4:5], v[0:1], v[8:9] op_sel:[0,0,1] op_sel_hi:[1,0,0]
	v_mov_b32_e32 v11, v5
	v_pk_mul_f32 v[4:5], v[6:7], v[2:3] op_sel:[0,1]
	s_delay_alu instid0(VALU_DEP_2) | instskip(NEXT) | instid1(VALU_DEP_2)
	v_pk_add_f32 v[200:201], v[200:201], v[10:11] neg_lo:[0,1] neg_hi:[0,1]
	v_pk_fma_f32 v[8:9], v[6:7], v[0:1], v[4:5] op_sel:[0,0,1] op_sel_hi:[1,1,0] neg_lo:[0,0,1] neg_hi:[0,0,1]
	v_pk_fma_f32 v[4:5], v[6:7], v[0:1], v[4:5] op_sel:[0,0,1] op_sel_hi:[1,0,0]
	s_delay_alu instid0(VALU_DEP_1) | instskip(SKIP_4) | instid1(VALU_DEP_1)
	v_mov_b32_e32 v9, v5
	ds_load_2addr_b64 v[4:7], v182 offset0:46 offset1:47
	v_pk_add_f32 v[196:197], v[196:197], v[8:9] neg_lo:[0,1] neg_hi:[0,1]
	s_wait_dscnt 0x0
	v_pk_mul_f32 v[8:9], v[4:5], v[2:3] op_sel:[0,1]
	v_pk_fma_f32 v[10:11], v[4:5], v[0:1], v[8:9] op_sel:[0,0,1] op_sel_hi:[1,1,0] neg_lo:[0,0,1] neg_hi:[0,0,1]
	v_pk_fma_f32 v[4:5], v[4:5], v[0:1], v[8:9] op_sel:[0,0,1] op_sel_hi:[1,0,0]
	v_dual_mul_f32 v8, v7, v3 :: v_dual_mov_b32 v4, v7
	s_delay_alu instid0(VALU_DEP_2) | instskip(NEXT) | instid1(VALU_DEP_2)
	v_dual_mov_b32 v11, v5 :: v_dual_mov_b32 v5, v6
	v_pk_fma_f32 v[8:9], v[6:7], v[44:45], v[8:9] op_sel_hi:[1,1,0] neg_lo:[0,0,1] neg_hi:[0,0,1]
	v_mul_f32_e32 v6, v7, v0
	s_delay_alu instid0(VALU_DEP_3) | instskip(NEXT) | instid1(VALU_DEP_2)
	v_pk_add_f32 v[198:199], v[198:199], v[10:11] neg_lo:[0,1] neg_hi:[0,1]
	v_pk_fma_f32 v[4:5], v[4:5], v[44:45], v[6:7] op_sel_hi:[1,1,0]
	s_delay_alu instid0(VALU_DEP_1) | instskip(SKIP_4) | instid1(VALU_DEP_1)
	v_mov_b32_e32 v9, v5
	ds_load_2addr_b64 v[4:7], v182 offset0:48 offset1:49
	v_pk_add_f32 v[194:195], v[194:195], v[8:9] neg_lo:[0,1] neg_hi:[0,1]
	s_wait_dscnt 0x0
	v_pk_mul_f32 v[8:9], v[4:5], v[2:3] op_sel:[0,1]
	v_pk_fma_f32 v[10:11], v[4:5], v[0:1], v[8:9] op_sel:[0,0,1] op_sel_hi:[1,1,0] neg_lo:[0,0,1] neg_hi:[0,0,1]
	v_pk_fma_f32 v[4:5], v[4:5], v[0:1], v[8:9] op_sel:[0,0,1] op_sel_hi:[1,0,0]
	s_delay_alu instid0(VALU_DEP_1) | instskip(SKIP_1) | instid1(VALU_DEP_1)
	v_mov_b32_e32 v11, v5
	v_pk_mul_f32 v[4:5], v[6:7], v[2:3] op_sel:[0,1]
	v_pk_fma_f32 v[8:9], v[6:7], v[0:1], v[4:5] op_sel:[0,0,1] op_sel_hi:[1,1,0] neg_lo:[0,0,1] neg_hi:[0,0,1]
	v_pk_fma_f32 v[4:5], v[6:7], v[0:1], v[4:5] op_sel:[0,0,1] op_sel_hi:[1,0,0]
	s_delay_alu instid0(VALU_DEP_1)
	v_mov_b32_e32 v9, v5
	ds_load_2addr_b64 v[4:7], v182 offset0:50 offset1:51
	v_pk_add_f32 v[224:225], v[224:225], v[10:11] neg_lo:[0,1] neg_hi:[0,1]
	v_pk_add_f32 v[216:217], v[216:217], v[8:9] neg_lo:[0,1] neg_hi:[0,1]
	s_wait_dscnt 0x0
	v_pk_mul_f32 v[8:9], v[4:5], v[2:3] op_sel:[0,1]
	s_delay_alu instid0(VALU_DEP_1) | instskip(SKIP_1) | instid1(VALU_DEP_1)
	v_pk_fma_f32 v[10:11], v[4:5], v[0:1], v[8:9] op_sel:[0,0,1] op_sel_hi:[1,1,0] neg_lo:[0,0,1] neg_hi:[0,0,1]
	v_pk_fma_f32 v[4:5], v[4:5], v[0:1], v[8:9] op_sel:[0,0,1] op_sel_hi:[1,0,0]
	v_mov_b32_e32 v11, v5
	v_pk_mul_f32 v[4:5], v[6:7], v[2:3] op_sel:[0,1]
	s_delay_alu instid0(VALU_DEP_1) | instskip(SKIP_1) | instid1(VALU_DEP_1)
	v_pk_fma_f32 v[8:9], v[6:7], v[0:1], v[4:5] op_sel:[0,0,1] op_sel_hi:[1,1,0] neg_lo:[0,0,1] neg_hi:[0,0,1]
	v_pk_fma_f32 v[4:5], v[6:7], v[0:1], v[4:5] op_sel:[0,0,1] op_sel_hi:[1,0,0]
	v_mov_b32_e32 v9, v5
	ds_load_2addr_b64 v[4:7], v182 offset0:52 offset1:53
	v_pk_add_f32 v[222:223], v[222:223], v[10:11] neg_lo:[0,1] neg_hi:[0,1]
	v_pk_add_f32 v[214:215], v[214:215], v[8:9] neg_lo:[0,1] neg_hi:[0,1]
	s_wait_dscnt 0x0
	v_dual_mul_f32 v8, v5, v3 :: v_dual_mul_f32 v10, v5, v0
	s_delay_alu instid0(VALU_DEP_1) | instskip(NEXT) | instid1(VALU_DEP_2)
	v_pk_fma_f32 v[8:9], v[4:5], v[44:45], v[8:9] op_sel_hi:[1,1,0] neg_lo:[0,0,1] neg_hi:[0,0,1]
	v_pk_fma_f32 v[4:5], v[4:5], v[44:45], v[10:11] op_sel:[1,0,0] op_sel_hi:[0,1,0]
	s_delay_alu instid0(VALU_DEP_1) | instskip(SKIP_1) | instid1(VALU_DEP_2)
	v_mov_b32_e32 v9, v5
	v_pk_mul_f32 v[4:5], v[6:7], v[2:3] op_sel:[0,1]
	v_pk_add_f32 v[220:221], v[220:221], v[8:9] neg_lo:[0,1] neg_hi:[0,1]
	s_delay_alu instid0(VALU_DEP_2) | instskip(SKIP_1) | instid1(VALU_DEP_1)
	v_pk_fma_f32 v[8:9], v[6:7], v[0:1], v[4:5] op_sel:[0,0,1] op_sel_hi:[1,1,0] neg_lo:[0,0,1] neg_hi:[0,0,1]
	v_pk_fma_f32 v[4:5], v[6:7], v[0:1], v[4:5] op_sel:[0,0,1] op_sel_hi:[1,0,0]
	v_mov_b32_e32 v9, v5
	ds_load_2addr_b64 v[4:7], v182 offset0:54 offset1:55
	v_pk_add_f32 v[212:213], v[212:213], v[8:9] neg_lo:[0,1] neg_hi:[0,1]
	s_wait_dscnt 0x0
	v_pk_mul_f32 v[8:9], v[4:5], v[2:3] op_sel:[0,1]
	s_delay_alu instid0(VALU_DEP_1) | instskip(SKIP_1) | instid1(VALU_DEP_1)
	v_pk_fma_f32 v[10:11], v[4:5], v[0:1], v[8:9] op_sel:[0,0,1] op_sel_hi:[1,1,0] neg_lo:[0,0,1] neg_hi:[0,0,1]
	v_pk_fma_f32 v[4:5], v[4:5], v[0:1], v[8:9] op_sel:[0,0,1] op_sel_hi:[1,0,0]
	v_mov_b32_e32 v11, v5
	v_pk_mul_f32 v[4:5], v[6:7], v[2:3] op_sel:[0,1]
	s_delay_alu instid0(VALU_DEP_2) | instskip(NEXT) | instid1(VALU_DEP_2)
	v_pk_add_f32 v[218:219], v[218:219], v[10:11] neg_lo:[0,1] neg_hi:[0,1]
	v_pk_fma_f32 v[8:9], v[6:7], v[0:1], v[4:5] op_sel:[0,0,1] op_sel_hi:[1,1,0] neg_lo:[0,0,1] neg_hi:[0,0,1]
	v_pk_fma_f32 v[4:5], v[6:7], v[0:1], v[4:5] op_sel:[0,0,1] op_sel_hi:[1,0,0]
	s_delay_alu instid0(VALU_DEP_1) | instskip(SKIP_4) | instid1(VALU_DEP_1)
	v_mov_b32_e32 v9, v5
	ds_load_b64 v[4:5], v182 offset:448
	v_pk_add_f32 v[226:227], v[226:227], v[8:9] neg_lo:[0,1] neg_hi:[0,1]
	s_wait_dscnt 0x0
	v_pk_mul_f32 v[2:3], v[4:5], v[2:3] op_sel:[0,1]
	v_pk_fma_f32 v[6:7], v[4:5], v[0:1], v[2:3] op_sel:[0,0,1] op_sel_hi:[1,1,0] neg_lo:[0,0,1] neg_hi:[0,0,1]
	v_pk_fma_f32 v[0:1], v[4:5], v[0:1], v[2:3] op_sel:[0,0,1] op_sel_hi:[1,0,0]
	s_delay_alu instid0(VALU_DEP_1) | instskip(NEXT) | instid1(VALU_DEP_1)
	v_mov_b32_e32 v7, v1
	v_pk_add_f32 v[228:229], v[228:229], v[6:7] neg_lo:[0,1] neg_hi:[0,1]
.LBB113_37:
	s_wait_xcnt 0x0
	s_or_b32 exec_lo, exec_lo, s1
	s_delay_alu instid0(SALU_CYCLE_1)
	s_mov_b32 s2, exec_lo
	s_wait_storecnt 0x0
	s_barrier_signal -1
	s_barrier_wait -1
	v_cmpx_eq_u32_e32 4, v180
	s_cbranch_execz .LBB113_44
; %bb.38:
	ds_store_b64 v181, v[26:27]
	ds_store_2addr_b64 v182, v[22:23], v[24:25] offset0:5 offset1:6
	ds_store_2addr_b64 v182, v[20:21], v[40:41] offset0:7 offset1:8
	;; [unrolled: 1-line block ×26, first 2 shown]
	ds_load_b64 v[0:1], v181
	s_wait_dscnt 0x0
	v_cmp_neq_f32_e32 vcc_lo, 0, v0
	v_cmp_neq_f32_e64 s1, 0, v1
	s_or_b32 s1, vcc_lo, s1
	s_delay_alu instid0(SALU_CYCLE_1)
	s_and_b32 exec_lo, exec_lo, s1
	s_cbranch_execz .LBB113_44
; %bb.39:
	v_cmp_ngt_f32_e64 s1, |v0|, |v1|
                                        ; implicit-def: $vgpr2_vgpr3
	s_and_saveexec_b32 s4, s1
	s_delay_alu instid0(SALU_CYCLE_1)
	s_xor_b32 s1, exec_lo, s4
	s_cbranch_execz .LBB113_41
; %bb.40:
	v_div_scale_f32 v2, null, v1, v1, v0
	v_div_scale_f32 v5, vcc_lo, v0, v1, v0
	s_delay_alu instid0(VALU_DEP_2) | instskip(SKIP_1) | instid1(TRANS32_DEP_1)
	v_rcp_f32_e32 v3, v2
	v_nop
	v_fma_f32 v4, -v2, v3, 1.0
	s_delay_alu instid0(VALU_DEP_1) | instskip(NEXT) | instid1(VALU_DEP_1)
	v_fmac_f32_e32 v3, v4, v3
	v_mul_f32_e32 v4, v5, v3
	s_delay_alu instid0(VALU_DEP_1) | instskip(NEXT) | instid1(VALU_DEP_1)
	v_fma_f32 v6, -v2, v4, v5
	v_fmac_f32_e32 v4, v6, v3
	s_delay_alu instid0(VALU_DEP_1) | instskip(NEXT) | instid1(VALU_DEP_1)
	v_fma_f32 v2, -v2, v4, v5
	v_div_fmas_f32 v2, v2, v3, v4
	s_delay_alu instid0(VALU_DEP_1) | instskip(NEXT) | instid1(VALU_DEP_1)
	v_div_fixup_f32 v2, v2, v1, v0
	v_fmac_f32_e32 v1, v0, v2
	s_delay_alu instid0(VALU_DEP_1) | instskip(SKIP_1) | instid1(VALU_DEP_2)
	v_div_scale_f32 v0, null, v1, v1, 1.0
	v_div_scale_f32 v5, vcc_lo, 1.0, v1, 1.0
	v_rcp_f32_e32 v3, v0
	v_nop
	s_delay_alu instid0(TRANS32_DEP_1) | instskip(NEXT) | instid1(VALU_DEP_1)
	v_fma_f32 v4, -v0, v3, 1.0
	v_fmac_f32_e32 v3, v4, v3
	s_delay_alu instid0(VALU_DEP_1) | instskip(NEXT) | instid1(VALU_DEP_1)
	v_mul_f32_e32 v4, v5, v3
	v_fma_f32 v6, -v0, v4, v5
	s_delay_alu instid0(VALU_DEP_1) | instskip(NEXT) | instid1(VALU_DEP_1)
	v_fmac_f32_e32 v4, v6, v3
	v_fma_f32 v0, -v0, v4, v5
	s_delay_alu instid0(VALU_DEP_1) | instskip(NEXT) | instid1(VALU_DEP_1)
	v_div_fmas_f32 v0, v0, v3, v4
	v_div_fixup_f32 v0, v0, v1, 1.0
	s_delay_alu instid0(VALU_DEP_1)
	v_mul_f32_e32 v2, v2, v0
	v_xor_b32_e32 v3, 0x80000000, v0
                                        ; implicit-def: $vgpr0_vgpr1
.LBB113_41:
	s_and_not1_saveexec_b32 s1, s1
	s_cbranch_execz .LBB113_43
; %bb.42:
	v_div_scale_f32 v2, null, v0, v0, v1
	v_div_scale_f32 v5, vcc_lo, v1, v0, v1
	s_delay_alu instid0(VALU_DEP_2) | instskip(SKIP_1) | instid1(TRANS32_DEP_1)
	v_rcp_f32_e32 v3, v2
	v_nop
	v_fma_f32 v4, -v2, v3, 1.0
	s_delay_alu instid0(VALU_DEP_1) | instskip(NEXT) | instid1(VALU_DEP_1)
	v_fmac_f32_e32 v3, v4, v3
	v_mul_f32_e32 v4, v5, v3
	s_delay_alu instid0(VALU_DEP_1) | instskip(NEXT) | instid1(VALU_DEP_1)
	v_fma_f32 v6, -v2, v4, v5
	v_fmac_f32_e32 v4, v6, v3
	s_delay_alu instid0(VALU_DEP_1) | instskip(NEXT) | instid1(VALU_DEP_1)
	v_fma_f32 v2, -v2, v4, v5
	v_div_fmas_f32 v2, v2, v3, v4
	s_delay_alu instid0(VALU_DEP_1) | instskip(NEXT) | instid1(VALU_DEP_1)
	v_div_fixup_f32 v3, v2, v0, v1
	v_fmac_f32_e32 v0, v1, v3
	s_delay_alu instid0(VALU_DEP_1) | instskip(NEXT) | instid1(VALU_DEP_1)
	v_div_scale_f32 v1, null, v0, v0, 1.0
	v_rcp_f32_e32 v2, v1
	v_nop
	s_delay_alu instid0(TRANS32_DEP_1) | instskip(NEXT) | instid1(VALU_DEP_1)
	v_fma_f32 v4, -v1, v2, 1.0
	v_fmac_f32_e32 v2, v4, v2
	v_div_scale_f32 v4, vcc_lo, 1.0, v0, 1.0
	s_delay_alu instid0(VALU_DEP_1) | instskip(NEXT) | instid1(VALU_DEP_1)
	v_mul_f32_e32 v5, v4, v2
	v_fma_f32 v6, -v1, v5, v4
	s_delay_alu instid0(VALU_DEP_1) | instskip(NEXT) | instid1(VALU_DEP_1)
	v_fmac_f32_e32 v5, v6, v2
	v_fma_f32 v1, -v1, v5, v4
	s_delay_alu instid0(VALU_DEP_1) | instskip(NEXT) | instid1(VALU_DEP_1)
	v_div_fmas_f32 v1, v1, v2, v5
	v_div_fixup_f32 v2, v1, v0, 1.0
	s_delay_alu instid0(VALU_DEP_1)
	v_mul_f32_e64 v3, v3, -v2
.LBB113_43:
	s_or_b32 exec_lo, exec_lo, s1
	ds_store_b64 v181, v[2:3]
.LBB113_44:
	s_or_b32 exec_lo, exec_lo, s2
	s_wait_dscnt 0x0
	s_barrier_signal -1
	s_barrier_wait -1
	ds_load_b64 v[0:1], v181
	s_mov_b32 s1, exec_lo
	s_wait_dscnt 0x0
	scratch_store_b64 off, v[0:1], off offset:320 ; 8-byte Folded Spill
	s_wait_xcnt 0x0
	v_cmpx_lt_u32_e32 4, v180
	s_cbranch_execz .LBB113_46
; %bb.45:
	scratch_load_b64 v[4:5], off, off offset:320 ; 8-byte Folded Reload
	s_wait_loadcnt 0x0
	v_pk_mul_f32 v[2:3], v[4:5], v[26:27] op_sel:[1,1] op_sel_hi:[0,1]
	s_delay_alu instid0(VALU_DEP_1)
	v_pk_fma_f32 v[0:1], v[4:5], v[26:27], v[2:3] op_sel_hi:[1,0,1] neg_lo:[0,0,1] neg_hi:[0,0,1]
	v_pk_fma_f32 v[2:3], v[4:5], v[26:27], v[2:3] op_sel_hi:[1,0,1]
	ds_load_2addr_b64 v[4:7], v182 offset0:5 offset1:6
	v_dual_mov_b32 v26, v0 :: v_dual_mov_b32 v27, v3
	s_wait_dscnt 0x0
	v_pk_mul_f32 v[8:9], v[4:5], v[2:3] op_sel:[0,1]
	s_delay_alu instid0(VALU_DEP_1) | instskip(SKIP_1) | instid1(VALU_DEP_1)
	v_pk_fma_f32 v[10:11], v[4:5], v[0:1], v[8:9] op_sel:[0,0,1] op_sel_hi:[1,1,0] neg_lo:[0,0,1] neg_hi:[0,0,1]
	v_pk_fma_f32 v[4:5], v[4:5], v[0:1], v[8:9] op_sel:[0,0,1] op_sel_hi:[1,0,0]
	v_mov_b32_e32 v11, v5
	v_pk_mul_f32 v[4:5], v[6:7], v[2:3] op_sel:[0,1]
	s_delay_alu instid0(VALU_DEP_1) | instskip(SKIP_1) | instid1(VALU_DEP_1)
	v_pk_fma_f32 v[8:9], v[6:7], v[0:1], v[4:5] op_sel:[0,0,1] op_sel_hi:[1,1,0] neg_lo:[0,0,1] neg_hi:[0,0,1]
	v_pk_fma_f32 v[4:5], v[6:7], v[0:1], v[4:5] op_sel:[0,0,1] op_sel_hi:[1,0,0]
	v_mov_b32_e32 v9, v5
	ds_load_2addr_b64 v[4:7], v182 offset0:7 offset1:8
	v_pk_add_f32 v[22:23], v[22:23], v[10:11] neg_lo:[0,1] neg_hi:[0,1]
	v_pk_add_f32 v[24:25], v[24:25], v[8:9] neg_lo:[0,1] neg_hi:[0,1]
	s_wait_dscnt 0x0
	v_pk_mul_f32 v[8:9], v[4:5], v[2:3] op_sel:[0,1]
	s_delay_alu instid0(VALU_DEP_1) | instskip(SKIP_2) | instid1(VALU_DEP_2)
	v_pk_fma_f32 v[10:11], v[4:5], v[0:1], v[8:9] op_sel:[0,0,1] op_sel_hi:[1,1,0] neg_lo:[0,0,1] neg_hi:[0,0,1]
	v_pk_fma_f32 v[4:5], v[4:5], v[0:1], v[8:9] op_sel:[0,0,1] op_sel_hi:[1,0,0]
	v_dual_mul_f32 v8, v7, v3 :: v_dual_mov_b32 v4, v7
	v_dual_mov_b32 v11, v5 :: v_dual_mov_b32 v5, v6
	s_delay_alu instid0(VALU_DEP_2) | instskip(SKIP_1) | instid1(VALU_DEP_3)
	v_pk_fma_f32 v[8:9], v[6:7], v[26:27], v[8:9] op_sel_hi:[1,1,0] neg_lo:[0,0,1] neg_hi:[0,0,1]
	v_mul_f32_e32 v6, v7, v0
	v_pk_add_f32 v[20:21], v[20:21], v[10:11] neg_lo:[0,1] neg_hi:[0,1]
	s_delay_alu instid0(VALU_DEP_2) | instskip(NEXT) | instid1(VALU_DEP_1)
	v_pk_fma_f32 v[4:5], v[4:5], v[26:27], v[6:7] op_sel_hi:[1,1,0]
	v_mov_b32_e32 v9, v5
	ds_load_2addr_b64 v[4:7], v182 offset0:9 offset1:10
	v_pk_add_f32 v[40:41], v[40:41], v[8:9] neg_lo:[0,1] neg_hi:[0,1]
	s_wait_dscnt 0x0
	v_pk_mul_f32 v[8:9], v[4:5], v[2:3] op_sel:[0,1]
	s_delay_alu instid0(VALU_DEP_1) | instskip(SKIP_1) | instid1(VALU_DEP_1)
	v_pk_fma_f32 v[10:11], v[4:5], v[0:1], v[8:9] op_sel:[0,0,1] op_sel_hi:[1,1,0] neg_lo:[0,0,1] neg_hi:[0,0,1]
	v_pk_fma_f32 v[4:5], v[4:5], v[0:1], v[8:9] op_sel:[0,0,1] op_sel_hi:[1,0,0]
	v_mov_b32_e32 v11, v5
	v_pk_mul_f32 v[4:5], v[6:7], v[2:3] op_sel:[0,1]
	s_delay_alu instid0(VALU_DEP_1) | instskip(SKIP_1) | instid1(VALU_DEP_1)
	v_pk_fma_f32 v[8:9], v[6:7], v[0:1], v[4:5] op_sel:[0,0,1] op_sel_hi:[1,1,0] neg_lo:[0,0,1] neg_hi:[0,0,1]
	v_pk_fma_f32 v[4:5], v[6:7], v[0:1], v[4:5] op_sel:[0,0,1] op_sel_hi:[1,0,0]
	v_mov_b32_e32 v9, v5
	ds_load_2addr_b64 v[4:7], v182 offset0:11 offset1:12
	v_pk_add_f32 v[36:37], v[36:37], v[10:11] neg_lo:[0,1] neg_hi:[0,1]
	v_pk_add_f32 v[38:39], v[38:39], v[8:9] neg_lo:[0,1] neg_hi:[0,1]
	s_wait_dscnt 0x0
	v_pk_mul_f32 v[8:9], v[4:5], v[2:3] op_sel:[0,1]
	s_delay_alu instid0(VALU_DEP_1) | instskip(SKIP_1) | instid1(VALU_DEP_1)
	v_pk_fma_f32 v[10:11], v[4:5], v[0:1], v[8:9] op_sel:[0,0,1] op_sel_hi:[1,1,0] neg_lo:[0,0,1] neg_hi:[0,0,1]
	v_pk_fma_f32 v[4:5], v[4:5], v[0:1], v[8:9] op_sel:[0,0,1] op_sel_hi:[1,0,0]
	v_mov_b32_e32 v11, v5
	v_pk_mul_f32 v[4:5], v[6:7], v[2:3] op_sel:[0,1]
	s_delay_alu instid0(VALU_DEP_1) | instskip(SKIP_1) | instid1(VALU_DEP_1)
	v_pk_fma_f32 v[8:9], v[6:7], v[0:1], v[4:5] op_sel:[0,0,1] op_sel_hi:[1,1,0] neg_lo:[0,0,1] neg_hi:[0,0,1]
	v_pk_fma_f32 v[4:5], v[6:7], v[0:1], v[4:5] op_sel:[0,0,1] op_sel_hi:[1,0,0]
	v_mov_b32_e32 v9, v5
	ds_load_2addr_b64 v[4:7], v182 offset0:13 offset1:14
	v_pk_add_f32 v[34:35], v[34:35], v[10:11] neg_lo:[0,1] neg_hi:[0,1]
	v_pk_add_f32 v[64:65], v[64:65], v[8:9] neg_lo:[0,1] neg_hi:[0,1]
	s_wait_dscnt 0x0
	v_dual_mul_f32 v8, v5, v3 :: v_dual_mul_f32 v10, v5, v0
	s_delay_alu instid0(VALU_DEP_1) | instskip(NEXT) | instid1(VALU_DEP_2)
	v_pk_fma_f32 v[8:9], v[4:5], v[26:27], v[8:9] op_sel_hi:[1,1,0] neg_lo:[0,0,1] neg_hi:[0,0,1]
	v_pk_fma_f32 v[4:5], v[4:5], v[26:27], v[10:11] op_sel:[1,0,0] op_sel_hi:[0,1,0]
	s_delay_alu instid0(VALU_DEP_1) | instskip(SKIP_1) | instid1(VALU_DEP_2)
	v_mov_b32_e32 v9, v5
	v_pk_mul_f32 v[4:5], v[6:7], v[2:3] op_sel:[0,1]
	v_pk_add_f32 v[60:61], v[60:61], v[8:9] neg_lo:[0,1] neg_hi:[0,1]
	s_delay_alu instid0(VALU_DEP_2) | instskip(SKIP_1) | instid1(VALU_DEP_1)
	v_pk_fma_f32 v[8:9], v[6:7], v[0:1], v[4:5] op_sel:[0,0,1] op_sel_hi:[1,1,0] neg_lo:[0,0,1] neg_hi:[0,0,1]
	v_pk_fma_f32 v[4:5], v[6:7], v[0:1], v[4:5] op_sel:[0,0,1] op_sel_hi:[1,0,0]
	v_mov_b32_e32 v9, v5
	ds_load_2addr_b64 v[4:7], v182 offset0:15 offset1:16
	v_pk_add_f32 v[62:63], v[62:63], v[8:9] neg_lo:[0,1] neg_hi:[0,1]
	s_wait_dscnt 0x0
	v_pk_mul_f32 v[8:9], v[4:5], v[2:3] op_sel:[0,1]
	s_delay_alu instid0(VALU_DEP_1) | instskip(SKIP_1) | instid1(VALU_DEP_1)
	v_pk_fma_f32 v[10:11], v[4:5], v[0:1], v[8:9] op_sel:[0,0,1] op_sel_hi:[1,1,0] neg_lo:[0,0,1] neg_hi:[0,0,1]
	v_pk_fma_f32 v[4:5], v[4:5], v[0:1], v[8:9] op_sel:[0,0,1] op_sel_hi:[1,0,0]
	v_mov_b32_e32 v11, v5
	v_pk_mul_f32 v[4:5], v[6:7], v[2:3] op_sel:[0,1]
	s_delay_alu instid0(VALU_DEP_2) | instskip(NEXT) | instid1(VALU_DEP_2)
	v_pk_add_f32 v[58:59], v[58:59], v[10:11] neg_lo:[0,1] neg_hi:[0,1]
	v_pk_fma_f32 v[8:9], v[6:7], v[0:1], v[4:5] op_sel:[0,0,1] op_sel_hi:[1,1,0] neg_lo:[0,0,1] neg_hi:[0,0,1]
	v_pk_fma_f32 v[4:5], v[6:7], v[0:1], v[4:5] op_sel:[0,0,1] op_sel_hi:[1,0,0]
	s_delay_alu instid0(VALU_DEP_1) | instskip(SKIP_4) | instid1(VALU_DEP_1)
	v_mov_b32_e32 v9, v5
	ds_load_2addr_b64 v[4:7], v182 offset0:17 offset1:18
	v_pk_add_f32 v[80:81], v[80:81], v[8:9] neg_lo:[0,1] neg_hi:[0,1]
	s_wait_dscnt 0x0
	v_pk_mul_f32 v[8:9], v[4:5], v[2:3] op_sel:[0,1]
	v_pk_fma_f32 v[10:11], v[4:5], v[0:1], v[8:9] op_sel:[0,0,1] op_sel_hi:[1,1,0] neg_lo:[0,0,1] neg_hi:[0,0,1]
	v_pk_fma_f32 v[4:5], v[4:5], v[0:1], v[8:9] op_sel:[0,0,1] op_sel_hi:[1,0,0]
	v_dual_mul_f32 v8, v7, v3 :: v_dual_mov_b32 v4, v7
	s_delay_alu instid0(VALU_DEP_2) | instskip(NEXT) | instid1(VALU_DEP_2)
	v_dual_mov_b32 v11, v5 :: v_dual_mov_b32 v5, v6
	v_pk_fma_f32 v[8:9], v[6:7], v[26:27], v[8:9] op_sel_hi:[1,1,0] neg_lo:[0,0,1] neg_hi:[0,0,1]
	v_mul_f32_e32 v6, v7, v0
	s_delay_alu instid0(VALU_DEP_3) | instskip(NEXT) | instid1(VALU_DEP_2)
	v_pk_add_f32 v[76:77], v[76:77], v[10:11] neg_lo:[0,1] neg_hi:[0,1]
	v_pk_fma_f32 v[4:5], v[4:5], v[26:27], v[6:7] op_sel_hi:[1,1,0]
	s_delay_alu instid0(VALU_DEP_1) | instskip(SKIP_4) | instid1(VALU_DEP_1)
	v_mov_b32_e32 v9, v5
	ds_load_2addr_b64 v[4:7], v182 offset0:19 offset1:20
	v_pk_add_f32 v[78:79], v[78:79], v[8:9] neg_lo:[0,1] neg_hi:[0,1]
	s_wait_dscnt 0x0
	v_pk_mul_f32 v[8:9], v[4:5], v[2:3] op_sel:[0,1]
	v_pk_fma_f32 v[10:11], v[4:5], v[0:1], v[8:9] op_sel:[0,0,1] op_sel_hi:[1,1,0] neg_lo:[0,0,1] neg_hi:[0,0,1]
	v_pk_fma_f32 v[4:5], v[4:5], v[0:1], v[8:9] op_sel:[0,0,1] op_sel_hi:[1,0,0]
	s_delay_alu instid0(VALU_DEP_1) | instskip(SKIP_1) | instid1(VALU_DEP_1)
	v_mov_b32_e32 v11, v5
	v_pk_mul_f32 v[4:5], v[6:7], v[2:3] op_sel:[0,1]
	v_pk_fma_f32 v[8:9], v[6:7], v[0:1], v[4:5] op_sel:[0,0,1] op_sel_hi:[1,1,0] neg_lo:[0,0,1] neg_hi:[0,0,1]
	v_pk_fma_f32 v[4:5], v[6:7], v[0:1], v[4:5] op_sel:[0,0,1] op_sel_hi:[1,0,0]
	s_delay_alu instid0(VALU_DEP_1)
	v_mov_b32_e32 v9, v5
	ds_load_2addr_b64 v[4:7], v182 offset0:21 offset1:22
	v_pk_add_f32 v[74:75], v[74:75], v[10:11] neg_lo:[0,1] neg_hi:[0,1]
	v_pk_add_f32 v[98:99], v[98:99], v[8:9] neg_lo:[0,1] neg_hi:[0,1]
	s_wait_dscnt 0x0
	v_pk_mul_f32 v[8:9], v[4:5], v[2:3] op_sel:[0,1]
	s_delay_alu instid0(VALU_DEP_1) | instskip(SKIP_1) | instid1(VALU_DEP_1)
	v_pk_fma_f32 v[10:11], v[4:5], v[0:1], v[8:9] op_sel:[0,0,1] op_sel_hi:[1,1,0] neg_lo:[0,0,1] neg_hi:[0,0,1]
	v_pk_fma_f32 v[4:5], v[4:5], v[0:1], v[8:9] op_sel:[0,0,1] op_sel_hi:[1,0,0]
	v_mov_b32_e32 v11, v5
	v_pk_mul_f32 v[4:5], v[6:7], v[2:3] op_sel:[0,1]
	s_delay_alu instid0(VALU_DEP_1) | instskip(SKIP_1) | instid1(VALU_DEP_1)
	v_pk_fma_f32 v[8:9], v[6:7], v[0:1], v[4:5] op_sel:[0,0,1] op_sel_hi:[1,1,0] neg_lo:[0,0,1] neg_hi:[0,0,1]
	v_pk_fma_f32 v[4:5], v[6:7], v[0:1], v[4:5] op_sel:[0,0,1] op_sel_hi:[1,0,0]
	v_mov_b32_e32 v9, v5
	ds_load_2addr_b64 v[4:7], v182 offset0:23 offset1:24
	v_pk_add_f32 v[94:95], v[94:95], v[10:11] neg_lo:[0,1] neg_hi:[0,1]
	v_pk_add_f32 v[96:97], v[96:97], v[8:9] neg_lo:[0,1] neg_hi:[0,1]
	s_wait_dscnt 0x0
	v_dual_mul_f32 v8, v5, v3 :: v_dual_mul_f32 v10, v5, v0
	s_delay_alu instid0(VALU_DEP_1) | instskip(NEXT) | instid1(VALU_DEP_2)
	v_pk_fma_f32 v[8:9], v[4:5], v[26:27], v[8:9] op_sel_hi:[1,1,0] neg_lo:[0,0,1] neg_hi:[0,0,1]
	v_pk_fma_f32 v[4:5], v[4:5], v[26:27], v[10:11] op_sel:[1,0,0] op_sel_hi:[0,1,0]
	s_delay_alu instid0(VALU_DEP_1) | instskip(SKIP_1) | instid1(VALU_DEP_2)
	v_mov_b32_e32 v9, v5
	v_pk_mul_f32 v[4:5], v[6:7], v[2:3] op_sel:[0,1]
	v_pk_add_f32 v[92:93], v[92:93], v[8:9] neg_lo:[0,1] neg_hi:[0,1]
	s_delay_alu instid0(VALU_DEP_2) | instskip(SKIP_1) | instid1(VALU_DEP_1)
	v_pk_fma_f32 v[8:9], v[6:7], v[0:1], v[4:5] op_sel:[0,0,1] op_sel_hi:[1,1,0] neg_lo:[0,0,1] neg_hi:[0,0,1]
	v_pk_fma_f32 v[4:5], v[6:7], v[0:1], v[4:5] op_sel:[0,0,1] op_sel_hi:[1,0,0]
	v_mov_b32_e32 v9, v5
	ds_load_2addr_b64 v[4:7], v182 offset0:25 offset1:26
	v_pk_add_f32 v[114:115], v[114:115], v[8:9] neg_lo:[0,1] neg_hi:[0,1]
	s_wait_dscnt 0x0
	v_pk_mul_f32 v[8:9], v[4:5], v[2:3] op_sel:[0,1]
	s_delay_alu instid0(VALU_DEP_1) | instskip(SKIP_1) | instid1(VALU_DEP_1)
	v_pk_fma_f32 v[10:11], v[4:5], v[0:1], v[8:9] op_sel:[0,0,1] op_sel_hi:[1,1,0] neg_lo:[0,0,1] neg_hi:[0,0,1]
	v_pk_fma_f32 v[4:5], v[4:5], v[0:1], v[8:9] op_sel:[0,0,1] op_sel_hi:[1,0,0]
	v_mov_b32_e32 v11, v5
	v_pk_mul_f32 v[4:5], v[6:7], v[2:3] op_sel:[0,1]
	s_delay_alu instid0(VALU_DEP_2) | instskip(NEXT) | instid1(VALU_DEP_2)
	v_pk_add_f32 v[110:111], v[110:111], v[10:11] neg_lo:[0,1] neg_hi:[0,1]
	v_pk_fma_f32 v[8:9], v[6:7], v[0:1], v[4:5] op_sel:[0,0,1] op_sel_hi:[1,1,0] neg_lo:[0,0,1] neg_hi:[0,0,1]
	v_pk_fma_f32 v[4:5], v[6:7], v[0:1], v[4:5] op_sel:[0,0,1] op_sel_hi:[1,0,0]
	s_delay_alu instid0(VALU_DEP_1) | instskip(SKIP_4) | instid1(VALU_DEP_1)
	v_mov_b32_e32 v9, v5
	ds_load_2addr_b64 v[4:7], v182 offset0:27 offset1:28
	v_pk_add_f32 v[112:113], v[112:113], v[8:9] neg_lo:[0,1] neg_hi:[0,1]
	s_wait_dscnt 0x0
	v_pk_mul_f32 v[8:9], v[4:5], v[2:3] op_sel:[0,1]
	v_pk_fma_f32 v[10:11], v[4:5], v[0:1], v[8:9] op_sel:[0,0,1] op_sel_hi:[1,1,0] neg_lo:[0,0,1] neg_hi:[0,0,1]
	v_pk_fma_f32 v[4:5], v[4:5], v[0:1], v[8:9] op_sel:[0,0,1] op_sel_hi:[1,0,0]
	v_dual_mul_f32 v8, v7, v3 :: v_dual_mov_b32 v4, v7
	s_delay_alu instid0(VALU_DEP_2) | instskip(NEXT) | instid1(VALU_DEP_2)
	v_dual_mov_b32 v11, v5 :: v_dual_mov_b32 v5, v6
	v_pk_fma_f32 v[8:9], v[6:7], v[26:27], v[8:9] op_sel_hi:[1,1,0] neg_lo:[0,0,1] neg_hi:[0,0,1]
	v_mul_f32_e32 v6, v7, v0
	s_delay_alu instid0(VALU_DEP_3) | instskip(NEXT) | instid1(VALU_DEP_2)
	v_pk_add_f32 v[108:109], v[108:109], v[10:11] neg_lo:[0,1] neg_hi:[0,1]
	v_pk_fma_f32 v[4:5], v[4:5], v[26:27], v[6:7] op_sel_hi:[1,1,0]
	s_delay_alu instid0(VALU_DEP_1) | instskip(SKIP_4) | instid1(VALU_DEP_1)
	v_mov_b32_e32 v9, v5
	ds_load_2addr_b64 v[4:7], v182 offset0:29 offset1:30
	v_pk_add_f32 v[130:131], v[130:131], v[8:9] neg_lo:[0,1] neg_hi:[0,1]
	s_wait_dscnt 0x0
	v_pk_mul_f32 v[8:9], v[4:5], v[2:3] op_sel:[0,1]
	v_pk_fma_f32 v[10:11], v[4:5], v[0:1], v[8:9] op_sel:[0,0,1] op_sel_hi:[1,1,0] neg_lo:[0,0,1] neg_hi:[0,0,1]
	v_pk_fma_f32 v[4:5], v[4:5], v[0:1], v[8:9] op_sel:[0,0,1] op_sel_hi:[1,0,0]
	s_delay_alu instid0(VALU_DEP_1) | instskip(SKIP_1) | instid1(VALU_DEP_1)
	v_mov_b32_e32 v11, v5
	v_pk_mul_f32 v[4:5], v[6:7], v[2:3] op_sel:[0,1]
	v_pk_fma_f32 v[8:9], v[6:7], v[0:1], v[4:5] op_sel:[0,0,1] op_sel_hi:[1,1,0] neg_lo:[0,0,1] neg_hi:[0,0,1]
	v_pk_fma_f32 v[4:5], v[6:7], v[0:1], v[4:5] op_sel:[0,0,1] op_sel_hi:[1,0,0]
	s_delay_alu instid0(VALU_DEP_1)
	v_mov_b32_e32 v9, v5
	ds_load_2addr_b64 v[4:7], v182 offset0:31 offset1:32
	v_pk_add_f32 v[126:127], v[126:127], v[10:11] neg_lo:[0,1] neg_hi:[0,1]
	v_pk_add_f32 v[128:129], v[128:129], v[8:9] neg_lo:[0,1] neg_hi:[0,1]
	s_wait_dscnt 0x0
	v_pk_mul_f32 v[8:9], v[4:5], v[2:3] op_sel:[0,1]
	s_delay_alu instid0(VALU_DEP_1) | instskip(SKIP_1) | instid1(VALU_DEP_1)
	v_pk_fma_f32 v[10:11], v[4:5], v[0:1], v[8:9] op_sel:[0,0,1] op_sel_hi:[1,1,0] neg_lo:[0,0,1] neg_hi:[0,0,1]
	v_pk_fma_f32 v[4:5], v[4:5], v[0:1], v[8:9] op_sel:[0,0,1] op_sel_hi:[1,0,0]
	v_mov_b32_e32 v11, v5
	v_pk_mul_f32 v[4:5], v[6:7], v[2:3] op_sel:[0,1]
	s_delay_alu instid0(VALU_DEP_1) | instskip(SKIP_1) | instid1(VALU_DEP_1)
	v_pk_fma_f32 v[8:9], v[6:7], v[0:1], v[4:5] op_sel:[0,0,1] op_sel_hi:[1,1,0] neg_lo:[0,0,1] neg_hi:[0,0,1]
	v_pk_fma_f32 v[4:5], v[6:7], v[0:1], v[4:5] op_sel:[0,0,1] op_sel_hi:[1,0,0]
	v_mov_b32_e32 v9, v5
	ds_load_2addr_b64 v[4:7], v182 offset0:33 offset1:34
	v_pk_add_f32 v[124:125], v[124:125], v[10:11] neg_lo:[0,1] neg_hi:[0,1]
	v_pk_add_f32 v[146:147], v[146:147], v[8:9] neg_lo:[0,1] neg_hi:[0,1]
	s_wait_dscnt 0x0
	v_dual_mul_f32 v8, v5, v3 :: v_dual_mul_f32 v10, v5, v0
	s_delay_alu instid0(VALU_DEP_1) | instskip(NEXT) | instid1(VALU_DEP_2)
	v_pk_fma_f32 v[8:9], v[4:5], v[26:27], v[8:9] op_sel_hi:[1,1,0] neg_lo:[0,0,1] neg_hi:[0,0,1]
	v_pk_fma_f32 v[4:5], v[4:5], v[26:27], v[10:11] op_sel:[1,0,0] op_sel_hi:[0,1,0]
	s_delay_alu instid0(VALU_DEP_1) | instskip(SKIP_1) | instid1(VALU_DEP_2)
	v_mov_b32_e32 v9, v5
	v_pk_mul_f32 v[4:5], v[6:7], v[2:3] op_sel:[0,1]
	v_pk_add_f32 v[142:143], v[142:143], v[8:9] neg_lo:[0,1] neg_hi:[0,1]
	s_delay_alu instid0(VALU_DEP_2) | instskip(SKIP_1) | instid1(VALU_DEP_1)
	v_pk_fma_f32 v[8:9], v[6:7], v[0:1], v[4:5] op_sel:[0,0,1] op_sel_hi:[1,1,0] neg_lo:[0,0,1] neg_hi:[0,0,1]
	v_pk_fma_f32 v[4:5], v[6:7], v[0:1], v[4:5] op_sel:[0,0,1] op_sel_hi:[1,0,0]
	v_mov_b32_e32 v9, v5
	ds_load_2addr_b64 v[4:7], v182 offset0:35 offset1:36
	v_pk_add_f32 v[144:145], v[144:145], v[8:9] neg_lo:[0,1] neg_hi:[0,1]
	s_wait_dscnt 0x0
	v_pk_mul_f32 v[8:9], v[4:5], v[2:3] op_sel:[0,1]
	s_delay_alu instid0(VALU_DEP_1) | instskip(SKIP_1) | instid1(VALU_DEP_1)
	v_pk_fma_f32 v[10:11], v[4:5], v[0:1], v[8:9] op_sel:[0,0,1] op_sel_hi:[1,1,0] neg_lo:[0,0,1] neg_hi:[0,0,1]
	v_pk_fma_f32 v[4:5], v[4:5], v[0:1], v[8:9] op_sel:[0,0,1] op_sel_hi:[1,0,0]
	v_mov_b32_e32 v11, v5
	v_pk_mul_f32 v[4:5], v[6:7], v[2:3] op_sel:[0,1]
	s_delay_alu instid0(VALU_DEP_2) | instskip(NEXT) | instid1(VALU_DEP_2)
	v_pk_add_f32 v[140:141], v[140:141], v[10:11] neg_lo:[0,1] neg_hi:[0,1]
	v_pk_fma_f32 v[8:9], v[6:7], v[0:1], v[4:5] op_sel:[0,0,1] op_sel_hi:[1,1,0] neg_lo:[0,0,1] neg_hi:[0,0,1]
	v_pk_fma_f32 v[4:5], v[6:7], v[0:1], v[4:5] op_sel:[0,0,1] op_sel_hi:[1,0,0]
	s_delay_alu instid0(VALU_DEP_1) | instskip(SKIP_4) | instid1(VALU_DEP_1)
	v_mov_b32_e32 v9, v5
	ds_load_2addr_b64 v[4:7], v182 offset0:37 offset1:38
	v_pk_add_f32 v[162:163], v[162:163], v[8:9] neg_lo:[0,1] neg_hi:[0,1]
	s_wait_dscnt 0x0
	v_pk_mul_f32 v[8:9], v[4:5], v[2:3] op_sel:[0,1]
	v_pk_fma_f32 v[10:11], v[4:5], v[0:1], v[8:9] op_sel:[0,0,1] op_sel_hi:[1,1,0] neg_lo:[0,0,1] neg_hi:[0,0,1]
	v_pk_fma_f32 v[4:5], v[4:5], v[0:1], v[8:9] op_sel:[0,0,1] op_sel_hi:[1,0,0]
	v_dual_mul_f32 v8, v7, v3 :: v_dual_mov_b32 v4, v7
	s_delay_alu instid0(VALU_DEP_2) | instskip(NEXT) | instid1(VALU_DEP_2)
	v_dual_mov_b32 v11, v5 :: v_dual_mov_b32 v5, v6
	v_pk_fma_f32 v[8:9], v[6:7], v[26:27], v[8:9] op_sel_hi:[1,1,0] neg_lo:[0,0,1] neg_hi:[0,0,1]
	v_mul_f32_e32 v6, v7, v0
	s_delay_alu instid0(VALU_DEP_3) | instskip(NEXT) | instid1(VALU_DEP_2)
	v_pk_add_f32 v[158:159], v[158:159], v[10:11] neg_lo:[0,1] neg_hi:[0,1]
	v_pk_fma_f32 v[4:5], v[4:5], v[26:27], v[6:7] op_sel_hi:[1,1,0]
	s_delay_alu instid0(VALU_DEP_1) | instskip(SKIP_4) | instid1(VALU_DEP_1)
	v_mov_b32_e32 v9, v5
	ds_load_2addr_b64 v[4:7], v182 offset0:39 offset1:40
	v_pk_add_f32 v[160:161], v[160:161], v[8:9] neg_lo:[0,1] neg_hi:[0,1]
	s_wait_dscnt 0x0
	v_pk_mul_f32 v[8:9], v[4:5], v[2:3] op_sel:[0,1]
	v_pk_fma_f32 v[10:11], v[4:5], v[0:1], v[8:9] op_sel:[0,0,1] op_sel_hi:[1,1,0] neg_lo:[0,0,1] neg_hi:[0,0,1]
	v_pk_fma_f32 v[4:5], v[4:5], v[0:1], v[8:9] op_sel:[0,0,1] op_sel_hi:[1,0,0]
	s_delay_alu instid0(VALU_DEP_1) | instskip(SKIP_1) | instid1(VALU_DEP_1)
	v_mov_b32_e32 v11, v5
	v_pk_mul_f32 v[4:5], v[6:7], v[2:3] op_sel:[0,1]
	v_pk_fma_f32 v[8:9], v[6:7], v[0:1], v[4:5] op_sel:[0,0,1] op_sel_hi:[1,1,0] neg_lo:[0,0,1] neg_hi:[0,0,1]
	v_pk_fma_f32 v[4:5], v[6:7], v[0:1], v[4:5] op_sel:[0,0,1] op_sel_hi:[1,0,0]
	s_delay_alu instid0(VALU_DEP_1)
	v_mov_b32_e32 v9, v5
	ds_load_2addr_b64 v[4:7], v182 offset0:41 offset1:42
	v_pk_add_f32 v[156:157], v[156:157], v[10:11] neg_lo:[0,1] neg_hi:[0,1]
	v_pk_add_f32 v[178:179], v[178:179], v[8:9] neg_lo:[0,1] neg_hi:[0,1]
	s_wait_dscnt 0x0
	v_pk_mul_f32 v[8:9], v[4:5], v[2:3] op_sel:[0,1]
	s_delay_alu instid0(VALU_DEP_1) | instskip(SKIP_1) | instid1(VALU_DEP_1)
	v_pk_fma_f32 v[10:11], v[4:5], v[0:1], v[8:9] op_sel:[0,0,1] op_sel_hi:[1,1,0] neg_lo:[0,0,1] neg_hi:[0,0,1]
	v_pk_fma_f32 v[4:5], v[4:5], v[0:1], v[8:9] op_sel:[0,0,1] op_sel_hi:[1,0,0]
	v_mov_b32_e32 v11, v5
	v_pk_mul_f32 v[4:5], v[6:7], v[2:3] op_sel:[0,1]
	s_delay_alu instid0(VALU_DEP_1) | instskip(SKIP_1) | instid1(VALU_DEP_1)
	v_pk_fma_f32 v[8:9], v[6:7], v[0:1], v[4:5] op_sel:[0,0,1] op_sel_hi:[1,1,0] neg_lo:[0,0,1] neg_hi:[0,0,1]
	v_pk_fma_f32 v[4:5], v[6:7], v[0:1], v[4:5] op_sel:[0,0,1] op_sel_hi:[1,0,0]
	v_mov_b32_e32 v9, v5
	ds_load_2addr_b64 v[4:7], v182 offset0:43 offset1:44
	v_pk_add_f32 v[174:175], v[174:175], v[10:11] neg_lo:[0,1] neg_hi:[0,1]
	v_pk_add_f32 v[176:177], v[176:177], v[8:9] neg_lo:[0,1] neg_hi:[0,1]
	s_wait_dscnt 0x0
	v_dual_mul_f32 v8, v5, v3 :: v_dual_mul_f32 v10, v5, v0
	s_delay_alu instid0(VALU_DEP_1) | instskip(NEXT) | instid1(VALU_DEP_2)
	v_pk_fma_f32 v[8:9], v[4:5], v[26:27], v[8:9] op_sel_hi:[1,1,0] neg_lo:[0,0,1] neg_hi:[0,0,1]
	v_pk_fma_f32 v[4:5], v[4:5], v[26:27], v[10:11] op_sel:[1,0,0] op_sel_hi:[0,1,0]
	s_delay_alu instid0(VALU_DEP_1) | instskip(SKIP_1) | instid1(VALU_DEP_2)
	v_mov_b32_e32 v9, v5
	v_pk_mul_f32 v[4:5], v[6:7], v[2:3] op_sel:[0,1]
	v_pk_add_f32 v[172:173], v[172:173], v[8:9] neg_lo:[0,1] neg_hi:[0,1]
	s_delay_alu instid0(VALU_DEP_2) | instskip(SKIP_1) | instid1(VALU_DEP_1)
	v_pk_fma_f32 v[8:9], v[6:7], v[0:1], v[4:5] op_sel:[0,0,1] op_sel_hi:[1,1,0] neg_lo:[0,0,1] neg_hi:[0,0,1]
	v_pk_fma_f32 v[4:5], v[6:7], v[0:1], v[4:5] op_sel:[0,0,1] op_sel_hi:[1,0,0]
	v_mov_b32_e32 v9, v5
	ds_load_2addr_b64 v[4:7], v182 offset0:45 offset1:46
	v_pk_add_f32 v[200:201], v[200:201], v[8:9] neg_lo:[0,1] neg_hi:[0,1]
	s_wait_dscnt 0x0
	v_pk_mul_f32 v[8:9], v[4:5], v[2:3] op_sel:[0,1]
	s_delay_alu instid0(VALU_DEP_1) | instskip(SKIP_1) | instid1(VALU_DEP_1)
	v_pk_fma_f32 v[10:11], v[4:5], v[0:1], v[8:9] op_sel:[0,0,1] op_sel_hi:[1,1,0] neg_lo:[0,0,1] neg_hi:[0,0,1]
	v_pk_fma_f32 v[4:5], v[4:5], v[0:1], v[8:9] op_sel:[0,0,1] op_sel_hi:[1,0,0]
	v_mov_b32_e32 v11, v5
	v_pk_mul_f32 v[4:5], v[6:7], v[2:3] op_sel:[0,1]
	s_delay_alu instid0(VALU_DEP_2) | instskip(NEXT) | instid1(VALU_DEP_2)
	v_pk_add_f32 v[196:197], v[196:197], v[10:11] neg_lo:[0,1] neg_hi:[0,1]
	v_pk_fma_f32 v[8:9], v[6:7], v[0:1], v[4:5] op_sel:[0,0,1] op_sel_hi:[1,1,0] neg_lo:[0,0,1] neg_hi:[0,0,1]
	v_pk_fma_f32 v[4:5], v[6:7], v[0:1], v[4:5] op_sel:[0,0,1] op_sel_hi:[1,0,0]
	s_delay_alu instid0(VALU_DEP_1) | instskip(SKIP_4) | instid1(VALU_DEP_1)
	v_mov_b32_e32 v9, v5
	ds_load_2addr_b64 v[4:7], v182 offset0:47 offset1:48
	v_pk_add_f32 v[198:199], v[198:199], v[8:9] neg_lo:[0,1] neg_hi:[0,1]
	s_wait_dscnt 0x0
	v_pk_mul_f32 v[8:9], v[4:5], v[2:3] op_sel:[0,1]
	v_pk_fma_f32 v[10:11], v[4:5], v[0:1], v[8:9] op_sel:[0,0,1] op_sel_hi:[1,1,0] neg_lo:[0,0,1] neg_hi:[0,0,1]
	v_pk_fma_f32 v[4:5], v[4:5], v[0:1], v[8:9] op_sel:[0,0,1] op_sel_hi:[1,0,0]
	v_dual_mul_f32 v8, v7, v3 :: v_dual_mov_b32 v4, v7
	s_delay_alu instid0(VALU_DEP_2) | instskip(NEXT) | instid1(VALU_DEP_2)
	v_dual_mov_b32 v11, v5 :: v_dual_mov_b32 v5, v6
	v_pk_fma_f32 v[8:9], v[6:7], v[26:27], v[8:9] op_sel_hi:[1,1,0] neg_lo:[0,0,1] neg_hi:[0,0,1]
	v_mul_f32_e32 v6, v7, v0
	s_delay_alu instid0(VALU_DEP_3) | instskip(NEXT) | instid1(VALU_DEP_2)
	v_pk_add_f32 v[194:195], v[194:195], v[10:11] neg_lo:[0,1] neg_hi:[0,1]
	v_pk_fma_f32 v[4:5], v[4:5], v[26:27], v[6:7] op_sel_hi:[1,1,0]
	s_delay_alu instid0(VALU_DEP_1) | instskip(SKIP_4) | instid1(VALU_DEP_1)
	v_mov_b32_e32 v9, v5
	ds_load_2addr_b64 v[4:7], v182 offset0:49 offset1:50
	v_pk_add_f32 v[224:225], v[224:225], v[8:9] neg_lo:[0,1] neg_hi:[0,1]
	s_wait_dscnt 0x0
	v_pk_mul_f32 v[8:9], v[4:5], v[2:3] op_sel:[0,1]
	v_pk_fma_f32 v[10:11], v[4:5], v[0:1], v[8:9] op_sel:[0,0,1] op_sel_hi:[1,1,0] neg_lo:[0,0,1] neg_hi:[0,0,1]
	v_pk_fma_f32 v[4:5], v[4:5], v[0:1], v[8:9] op_sel:[0,0,1] op_sel_hi:[1,0,0]
	s_delay_alu instid0(VALU_DEP_1) | instskip(SKIP_1) | instid1(VALU_DEP_1)
	v_mov_b32_e32 v11, v5
	v_pk_mul_f32 v[4:5], v[6:7], v[2:3] op_sel:[0,1]
	v_pk_fma_f32 v[8:9], v[6:7], v[0:1], v[4:5] op_sel:[0,0,1] op_sel_hi:[1,1,0] neg_lo:[0,0,1] neg_hi:[0,0,1]
	v_pk_fma_f32 v[4:5], v[6:7], v[0:1], v[4:5] op_sel:[0,0,1] op_sel_hi:[1,0,0]
	s_delay_alu instid0(VALU_DEP_1)
	v_mov_b32_e32 v9, v5
	ds_load_2addr_b64 v[4:7], v182 offset0:51 offset1:52
	v_pk_add_f32 v[216:217], v[216:217], v[10:11] neg_lo:[0,1] neg_hi:[0,1]
	v_pk_add_f32 v[222:223], v[222:223], v[8:9] neg_lo:[0,1] neg_hi:[0,1]
	s_wait_dscnt 0x0
	v_pk_mul_f32 v[8:9], v[4:5], v[2:3] op_sel:[0,1]
	s_delay_alu instid0(VALU_DEP_1) | instskip(SKIP_1) | instid1(VALU_DEP_1)
	v_pk_fma_f32 v[10:11], v[4:5], v[0:1], v[8:9] op_sel:[0,0,1] op_sel_hi:[1,1,0] neg_lo:[0,0,1] neg_hi:[0,0,1]
	v_pk_fma_f32 v[4:5], v[4:5], v[0:1], v[8:9] op_sel:[0,0,1] op_sel_hi:[1,0,0]
	v_mov_b32_e32 v11, v5
	v_pk_mul_f32 v[4:5], v[6:7], v[2:3] op_sel:[0,1]
	s_delay_alu instid0(VALU_DEP_1) | instskip(SKIP_1) | instid1(VALU_DEP_1)
	v_pk_fma_f32 v[8:9], v[6:7], v[0:1], v[4:5] op_sel:[0,0,1] op_sel_hi:[1,1,0] neg_lo:[0,0,1] neg_hi:[0,0,1]
	v_pk_fma_f32 v[4:5], v[6:7], v[0:1], v[4:5] op_sel:[0,0,1] op_sel_hi:[1,0,0]
	v_mov_b32_e32 v9, v5
	ds_load_2addr_b64 v[4:7], v182 offset0:53 offset1:54
	v_pk_add_f32 v[214:215], v[214:215], v[10:11] neg_lo:[0,1] neg_hi:[0,1]
	v_pk_add_f32 v[220:221], v[220:221], v[8:9] neg_lo:[0,1] neg_hi:[0,1]
	s_wait_dscnt 0x0
	v_dual_mul_f32 v8, v5, v3 :: v_dual_mul_f32 v10, v5, v0
	s_delay_alu instid0(VALU_DEP_1) | instskip(NEXT) | instid1(VALU_DEP_2)
	v_pk_fma_f32 v[8:9], v[4:5], v[26:27], v[8:9] op_sel_hi:[1,1,0] neg_lo:[0,0,1] neg_hi:[0,0,1]
	v_pk_fma_f32 v[4:5], v[4:5], v[26:27], v[10:11] op_sel:[1,0,0] op_sel_hi:[0,1,0]
	s_delay_alu instid0(VALU_DEP_1) | instskip(SKIP_1) | instid1(VALU_DEP_2)
	v_mov_b32_e32 v9, v5
	v_pk_mul_f32 v[4:5], v[6:7], v[2:3] op_sel:[0,1]
	v_pk_add_f32 v[212:213], v[212:213], v[8:9] neg_lo:[0,1] neg_hi:[0,1]
	s_delay_alu instid0(VALU_DEP_2) | instskip(SKIP_1) | instid1(VALU_DEP_1)
	v_pk_fma_f32 v[8:9], v[6:7], v[0:1], v[4:5] op_sel:[0,0,1] op_sel_hi:[1,1,0] neg_lo:[0,0,1] neg_hi:[0,0,1]
	v_pk_fma_f32 v[4:5], v[6:7], v[0:1], v[4:5] op_sel:[0,0,1] op_sel_hi:[1,0,0]
	v_mov_b32_e32 v9, v5
	ds_load_2addr_b64 v[4:7], v182 offset0:55 offset1:56
	v_pk_add_f32 v[218:219], v[218:219], v[8:9] neg_lo:[0,1] neg_hi:[0,1]
	s_wait_dscnt 0x0
	v_pk_mul_f32 v[8:9], v[4:5], v[2:3] op_sel:[0,1]
	v_pk_mul_f32 v[2:3], v[6:7], v[2:3] op_sel:[0,1]
	s_delay_alu instid0(VALU_DEP_2) | instskip(SKIP_1) | instid1(VALU_DEP_1)
	v_pk_fma_f32 v[10:11], v[4:5], v[0:1], v[8:9] op_sel:[0,0,1] op_sel_hi:[1,1,0] neg_lo:[0,0,1] neg_hi:[0,0,1]
	v_pk_fma_f32 v[4:5], v[4:5], v[0:1], v[8:9] op_sel:[0,0,1] op_sel_hi:[1,0,0]
	v_mov_b32_e32 v11, v5
	s_delay_alu instid0(VALU_DEP_4) | instskip(SKIP_1) | instid1(VALU_DEP_3)
	v_pk_fma_f32 v[4:5], v[6:7], v[0:1], v[2:3] op_sel:[0,0,1] op_sel_hi:[1,1,0] neg_lo:[0,0,1] neg_hi:[0,0,1]
	v_pk_fma_f32 v[0:1], v[6:7], v[0:1], v[2:3] op_sel:[0,0,1] op_sel_hi:[1,0,0]
	v_pk_add_f32 v[226:227], v[226:227], v[10:11] neg_lo:[0,1] neg_hi:[0,1]
	s_delay_alu instid0(VALU_DEP_2) | instskip(NEXT) | instid1(VALU_DEP_1)
	v_mov_b32_e32 v5, v1
	v_pk_add_f32 v[228:229], v[228:229], v[4:5] neg_lo:[0,1] neg_hi:[0,1]
.LBB113_46:
	s_wait_xcnt 0x0
	s_or_b32 exec_lo, exec_lo, s1
	s_delay_alu instid0(SALU_CYCLE_1)
	s_mov_b32 s2, exec_lo
	s_wait_storecnt 0x0
	s_barrier_signal -1
	s_barrier_wait -1
	v_cmpx_eq_u32_e32 5, v180
	s_cbranch_execz .LBB113_53
; %bb.47:
	v_dual_mov_b32 v0, v24 :: v_dual_mov_b32 v1, v25
	v_dual_mov_b32 v2, v20 :: v_dual_mov_b32 v3, v21
	ds_store_b64 v181, v[22:23]
	ds_store_2addr_b64 v182, v[0:1], v[2:3] offset0:6 offset1:7
	v_dual_mov_b32 v0, v40 :: v_dual_mov_b32 v1, v41
	v_dual_mov_b32 v2, v36 :: v_dual_mov_b32 v3, v37
	ds_store_2addr_b64 v182, v[0:1], v[2:3] offset0:8 offset1:9
	v_dual_mov_b32 v0, v38 :: v_dual_mov_b32 v1, v39
	v_dual_mov_b32 v2, v34 :: v_dual_mov_b32 v3, v35
	;; [unrolled: 3-line block ×24, first 2 shown]
	ds_store_2addr_b64 v182, v[0:1], v[2:3] offset0:54 offset1:55
	ds_store_b64 v182, v[228:229] offset:448
	ds_load_b64 v[0:1], v181
	s_wait_dscnt 0x0
	v_cmp_neq_f32_e32 vcc_lo, 0, v0
	v_cmp_neq_f32_e64 s1, 0, v1
	s_or_b32 s1, vcc_lo, s1
	s_delay_alu instid0(SALU_CYCLE_1)
	s_and_b32 exec_lo, exec_lo, s1
	s_cbranch_execz .LBB113_53
; %bb.48:
	v_cmp_ngt_f32_e64 s1, |v0|, |v1|
                                        ; implicit-def: $vgpr2_vgpr3
	s_and_saveexec_b32 s4, s1
	s_delay_alu instid0(SALU_CYCLE_1)
	s_xor_b32 s1, exec_lo, s4
	s_cbranch_execz .LBB113_50
; %bb.49:
	v_div_scale_f32 v2, null, v1, v1, v0
	v_div_scale_f32 v5, vcc_lo, v0, v1, v0
	s_delay_alu instid0(VALU_DEP_2) | instskip(SKIP_1) | instid1(TRANS32_DEP_1)
	v_rcp_f32_e32 v3, v2
	v_nop
	v_fma_f32 v4, -v2, v3, 1.0
	s_delay_alu instid0(VALU_DEP_1) | instskip(NEXT) | instid1(VALU_DEP_1)
	v_fmac_f32_e32 v3, v4, v3
	v_mul_f32_e32 v4, v5, v3
	s_delay_alu instid0(VALU_DEP_1) | instskip(NEXT) | instid1(VALU_DEP_1)
	v_fma_f32 v6, -v2, v4, v5
	v_fmac_f32_e32 v4, v6, v3
	s_delay_alu instid0(VALU_DEP_1) | instskip(NEXT) | instid1(VALU_DEP_1)
	v_fma_f32 v2, -v2, v4, v5
	v_div_fmas_f32 v2, v2, v3, v4
	s_delay_alu instid0(VALU_DEP_1) | instskip(NEXT) | instid1(VALU_DEP_1)
	v_div_fixup_f32 v2, v2, v1, v0
	v_fmac_f32_e32 v1, v0, v2
	s_delay_alu instid0(VALU_DEP_1) | instskip(SKIP_1) | instid1(VALU_DEP_2)
	v_div_scale_f32 v0, null, v1, v1, 1.0
	v_div_scale_f32 v5, vcc_lo, 1.0, v1, 1.0
	v_rcp_f32_e32 v3, v0
	v_nop
	s_delay_alu instid0(TRANS32_DEP_1) | instskip(NEXT) | instid1(VALU_DEP_1)
	v_fma_f32 v4, -v0, v3, 1.0
	v_fmac_f32_e32 v3, v4, v3
	s_delay_alu instid0(VALU_DEP_1) | instskip(NEXT) | instid1(VALU_DEP_1)
	v_mul_f32_e32 v4, v5, v3
	v_fma_f32 v6, -v0, v4, v5
	s_delay_alu instid0(VALU_DEP_1) | instskip(NEXT) | instid1(VALU_DEP_1)
	v_fmac_f32_e32 v4, v6, v3
	v_fma_f32 v0, -v0, v4, v5
	s_delay_alu instid0(VALU_DEP_1) | instskip(NEXT) | instid1(VALU_DEP_1)
	v_div_fmas_f32 v0, v0, v3, v4
	v_div_fixup_f32 v0, v0, v1, 1.0
	s_delay_alu instid0(VALU_DEP_1)
	v_mul_f32_e32 v2, v2, v0
	v_xor_b32_e32 v3, 0x80000000, v0
                                        ; implicit-def: $vgpr0_vgpr1
.LBB113_50:
	s_and_not1_saveexec_b32 s1, s1
	s_cbranch_execz .LBB113_52
; %bb.51:
	v_div_scale_f32 v2, null, v0, v0, v1
	v_div_scale_f32 v5, vcc_lo, v1, v0, v1
	s_delay_alu instid0(VALU_DEP_2) | instskip(SKIP_1) | instid1(TRANS32_DEP_1)
	v_rcp_f32_e32 v3, v2
	v_nop
	v_fma_f32 v4, -v2, v3, 1.0
	s_delay_alu instid0(VALU_DEP_1) | instskip(NEXT) | instid1(VALU_DEP_1)
	v_fmac_f32_e32 v3, v4, v3
	v_mul_f32_e32 v4, v5, v3
	s_delay_alu instid0(VALU_DEP_1) | instskip(NEXT) | instid1(VALU_DEP_1)
	v_fma_f32 v6, -v2, v4, v5
	v_fmac_f32_e32 v4, v6, v3
	s_delay_alu instid0(VALU_DEP_1) | instskip(NEXT) | instid1(VALU_DEP_1)
	v_fma_f32 v2, -v2, v4, v5
	v_div_fmas_f32 v2, v2, v3, v4
	s_delay_alu instid0(VALU_DEP_1) | instskip(NEXT) | instid1(VALU_DEP_1)
	v_div_fixup_f32 v3, v2, v0, v1
	v_fmac_f32_e32 v0, v1, v3
	s_delay_alu instid0(VALU_DEP_1) | instskip(NEXT) | instid1(VALU_DEP_1)
	v_div_scale_f32 v1, null, v0, v0, 1.0
	v_rcp_f32_e32 v2, v1
	v_nop
	s_delay_alu instid0(TRANS32_DEP_1) | instskip(NEXT) | instid1(VALU_DEP_1)
	v_fma_f32 v4, -v1, v2, 1.0
	v_fmac_f32_e32 v2, v4, v2
	v_div_scale_f32 v4, vcc_lo, 1.0, v0, 1.0
	s_delay_alu instid0(VALU_DEP_1) | instskip(NEXT) | instid1(VALU_DEP_1)
	v_mul_f32_e32 v5, v4, v2
	v_fma_f32 v6, -v1, v5, v4
	s_delay_alu instid0(VALU_DEP_1) | instskip(NEXT) | instid1(VALU_DEP_1)
	v_fmac_f32_e32 v5, v6, v2
	v_fma_f32 v1, -v1, v5, v4
	s_delay_alu instid0(VALU_DEP_1) | instskip(NEXT) | instid1(VALU_DEP_1)
	v_div_fmas_f32 v1, v1, v2, v5
	v_div_fixup_f32 v2, v1, v0, 1.0
	s_delay_alu instid0(VALU_DEP_1)
	v_mul_f32_e64 v3, v3, -v2
.LBB113_52:
	s_or_b32 exec_lo, exec_lo, s1
	ds_store_b64 v181, v[2:3]
.LBB113_53:
	s_or_b32 exec_lo, exec_lo, s2
	s_wait_dscnt 0x0
	s_barrier_signal -1
	s_barrier_wait -1
	ds_load_b64 v[0:1], v181
	s_mov_b32 s1, exec_lo
	s_wait_dscnt 0x0
	scratch_store_b64 off, v[0:1], off offset:328 ; 8-byte Folded Spill
	s_wait_xcnt 0x0
	v_cmpx_lt_u32_e32 5, v180
	s_cbranch_execz .LBB113_55
; %bb.54:
	scratch_load_b64 v[4:5], off, off offset:328 ; 8-byte Folded Reload
	s_wait_loadcnt 0x0
	v_pk_mul_f32 v[2:3], v[4:5], v[22:23] op_sel:[1,1] op_sel_hi:[0,1]
	s_delay_alu instid0(VALU_DEP_1)
	v_pk_fma_f32 v[0:1], v[4:5], v[22:23], v[2:3] op_sel_hi:[1,0,1] neg_lo:[0,0,1] neg_hi:[0,0,1]
	v_pk_fma_f32 v[2:3], v[4:5], v[22:23], v[2:3] op_sel_hi:[1,0,1]
	ds_load_2addr_b64 v[4:7], v182 offset0:6 offset1:7
	v_dual_mov_b32 v22, v0 :: v_dual_mov_b32 v23, v3
	s_wait_dscnt 0x0
	v_pk_mul_f32 v[8:9], v[4:5], v[2:3] op_sel:[0,1]
	s_delay_alu instid0(VALU_DEP_1) | instskip(SKIP_1) | instid1(VALU_DEP_1)
	v_pk_fma_f32 v[10:11], v[4:5], v[0:1], v[8:9] op_sel:[0,0,1] op_sel_hi:[1,1,0] neg_lo:[0,0,1] neg_hi:[0,0,1]
	v_pk_fma_f32 v[4:5], v[4:5], v[0:1], v[8:9] op_sel:[0,0,1] op_sel_hi:[1,0,0]
	v_mov_b32_e32 v11, v5
	v_pk_mul_f32 v[4:5], v[6:7], v[2:3] op_sel:[0,1]
	s_delay_alu instid0(VALU_DEP_1) | instskip(SKIP_1) | instid1(VALU_DEP_1)
	v_pk_fma_f32 v[8:9], v[6:7], v[0:1], v[4:5] op_sel:[0,0,1] op_sel_hi:[1,1,0] neg_lo:[0,0,1] neg_hi:[0,0,1]
	v_pk_fma_f32 v[4:5], v[6:7], v[0:1], v[4:5] op_sel:[0,0,1] op_sel_hi:[1,0,0]
	v_mov_b32_e32 v9, v5
	ds_load_2addr_b64 v[4:7], v182 offset0:8 offset1:9
	v_pk_add_f32 v[24:25], v[24:25], v[10:11] neg_lo:[0,1] neg_hi:[0,1]
	v_pk_add_f32 v[20:21], v[20:21], v[8:9] neg_lo:[0,1] neg_hi:[0,1]
	s_wait_dscnt 0x0
	v_pk_mul_f32 v[8:9], v[4:5], v[2:3] op_sel:[0,1]
	s_delay_alu instid0(VALU_DEP_1) | instskip(SKIP_2) | instid1(VALU_DEP_2)
	v_pk_fma_f32 v[10:11], v[4:5], v[0:1], v[8:9] op_sel:[0,0,1] op_sel_hi:[1,1,0] neg_lo:[0,0,1] neg_hi:[0,0,1]
	v_pk_fma_f32 v[4:5], v[4:5], v[0:1], v[8:9] op_sel:[0,0,1] op_sel_hi:[1,0,0]
	v_dual_mul_f32 v8, v7, v3 :: v_dual_mov_b32 v4, v7
	v_dual_mov_b32 v11, v5 :: v_dual_mov_b32 v5, v6
	s_delay_alu instid0(VALU_DEP_2) | instskip(SKIP_1) | instid1(VALU_DEP_3)
	v_pk_fma_f32 v[8:9], v[6:7], v[22:23], v[8:9] op_sel_hi:[1,1,0] neg_lo:[0,0,1] neg_hi:[0,0,1]
	v_mul_f32_e32 v6, v7, v0
	v_pk_add_f32 v[40:41], v[40:41], v[10:11] neg_lo:[0,1] neg_hi:[0,1]
	s_delay_alu instid0(VALU_DEP_2) | instskip(NEXT) | instid1(VALU_DEP_1)
	v_pk_fma_f32 v[4:5], v[4:5], v[22:23], v[6:7] op_sel_hi:[1,1,0]
	v_mov_b32_e32 v9, v5
	ds_load_2addr_b64 v[4:7], v182 offset0:10 offset1:11
	v_pk_add_f32 v[36:37], v[36:37], v[8:9] neg_lo:[0,1] neg_hi:[0,1]
	s_wait_dscnt 0x0
	v_pk_mul_f32 v[8:9], v[4:5], v[2:3] op_sel:[0,1]
	s_delay_alu instid0(VALU_DEP_1) | instskip(SKIP_1) | instid1(VALU_DEP_1)
	v_pk_fma_f32 v[10:11], v[4:5], v[0:1], v[8:9] op_sel:[0,0,1] op_sel_hi:[1,1,0] neg_lo:[0,0,1] neg_hi:[0,0,1]
	v_pk_fma_f32 v[4:5], v[4:5], v[0:1], v[8:9] op_sel:[0,0,1] op_sel_hi:[1,0,0]
	v_mov_b32_e32 v11, v5
	v_pk_mul_f32 v[4:5], v[6:7], v[2:3] op_sel:[0,1]
	s_delay_alu instid0(VALU_DEP_1) | instskip(SKIP_1) | instid1(VALU_DEP_1)
	v_pk_fma_f32 v[8:9], v[6:7], v[0:1], v[4:5] op_sel:[0,0,1] op_sel_hi:[1,1,0] neg_lo:[0,0,1] neg_hi:[0,0,1]
	v_pk_fma_f32 v[4:5], v[6:7], v[0:1], v[4:5] op_sel:[0,0,1] op_sel_hi:[1,0,0]
	v_mov_b32_e32 v9, v5
	ds_load_2addr_b64 v[4:7], v182 offset0:12 offset1:13
	v_pk_add_f32 v[38:39], v[38:39], v[10:11] neg_lo:[0,1] neg_hi:[0,1]
	v_pk_add_f32 v[34:35], v[34:35], v[8:9] neg_lo:[0,1] neg_hi:[0,1]
	s_wait_dscnt 0x0
	v_pk_mul_f32 v[8:9], v[4:5], v[2:3] op_sel:[0,1]
	s_delay_alu instid0(VALU_DEP_1) | instskip(SKIP_1) | instid1(VALU_DEP_1)
	v_pk_fma_f32 v[10:11], v[4:5], v[0:1], v[8:9] op_sel:[0,0,1] op_sel_hi:[1,1,0] neg_lo:[0,0,1] neg_hi:[0,0,1]
	v_pk_fma_f32 v[4:5], v[4:5], v[0:1], v[8:9] op_sel:[0,0,1] op_sel_hi:[1,0,0]
	v_mov_b32_e32 v11, v5
	v_pk_mul_f32 v[4:5], v[6:7], v[2:3] op_sel:[0,1]
	s_delay_alu instid0(VALU_DEP_1) | instskip(SKIP_1) | instid1(VALU_DEP_1)
	v_pk_fma_f32 v[8:9], v[6:7], v[0:1], v[4:5] op_sel:[0,0,1] op_sel_hi:[1,1,0] neg_lo:[0,0,1] neg_hi:[0,0,1]
	v_pk_fma_f32 v[4:5], v[6:7], v[0:1], v[4:5] op_sel:[0,0,1] op_sel_hi:[1,0,0]
	v_mov_b32_e32 v9, v5
	ds_load_2addr_b64 v[4:7], v182 offset0:14 offset1:15
	v_pk_add_f32 v[64:65], v[64:65], v[10:11] neg_lo:[0,1] neg_hi:[0,1]
	v_pk_add_f32 v[60:61], v[60:61], v[8:9] neg_lo:[0,1] neg_hi:[0,1]
	s_wait_dscnt 0x0
	v_dual_mul_f32 v8, v5, v3 :: v_dual_mul_f32 v10, v5, v0
	s_delay_alu instid0(VALU_DEP_1) | instskip(NEXT) | instid1(VALU_DEP_2)
	v_pk_fma_f32 v[8:9], v[4:5], v[22:23], v[8:9] op_sel_hi:[1,1,0] neg_lo:[0,0,1] neg_hi:[0,0,1]
	v_pk_fma_f32 v[4:5], v[4:5], v[22:23], v[10:11] op_sel:[1,0,0] op_sel_hi:[0,1,0]
	s_delay_alu instid0(VALU_DEP_1) | instskip(SKIP_1) | instid1(VALU_DEP_2)
	v_mov_b32_e32 v9, v5
	v_pk_mul_f32 v[4:5], v[6:7], v[2:3] op_sel:[0,1]
	v_pk_add_f32 v[62:63], v[62:63], v[8:9] neg_lo:[0,1] neg_hi:[0,1]
	s_delay_alu instid0(VALU_DEP_2) | instskip(SKIP_1) | instid1(VALU_DEP_1)
	v_pk_fma_f32 v[8:9], v[6:7], v[0:1], v[4:5] op_sel:[0,0,1] op_sel_hi:[1,1,0] neg_lo:[0,0,1] neg_hi:[0,0,1]
	v_pk_fma_f32 v[4:5], v[6:7], v[0:1], v[4:5] op_sel:[0,0,1] op_sel_hi:[1,0,0]
	v_mov_b32_e32 v9, v5
	ds_load_2addr_b64 v[4:7], v182 offset0:16 offset1:17
	v_pk_add_f32 v[58:59], v[58:59], v[8:9] neg_lo:[0,1] neg_hi:[0,1]
	s_wait_dscnt 0x0
	v_pk_mul_f32 v[8:9], v[4:5], v[2:3] op_sel:[0,1]
	s_delay_alu instid0(VALU_DEP_1) | instskip(SKIP_1) | instid1(VALU_DEP_1)
	v_pk_fma_f32 v[10:11], v[4:5], v[0:1], v[8:9] op_sel:[0,0,1] op_sel_hi:[1,1,0] neg_lo:[0,0,1] neg_hi:[0,0,1]
	v_pk_fma_f32 v[4:5], v[4:5], v[0:1], v[8:9] op_sel:[0,0,1] op_sel_hi:[1,0,0]
	v_mov_b32_e32 v11, v5
	v_pk_mul_f32 v[4:5], v[6:7], v[2:3] op_sel:[0,1]
	s_delay_alu instid0(VALU_DEP_2) | instskip(NEXT) | instid1(VALU_DEP_2)
	v_pk_add_f32 v[80:81], v[80:81], v[10:11] neg_lo:[0,1] neg_hi:[0,1]
	v_pk_fma_f32 v[8:9], v[6:7], v[0:1], v[4:5] op_sel:[0,0,1] op_sel_hi:[1,1,0] neg_lo:[0,0,1] neg_hi:[0,0,1]
	v_pk_fma_f32 v[4:5], v[6:7], v[0:1], v[4:5] op_sel:[0,0,1] op_sel_hi:[1,0,0]
	s_delay_alu instid0(VALU_DEP_1) | instskip(SKIP_4) | instid1(VALU_DEP_1)
	v_mov_b32_e32 v9, v5
	ds_load_2addr_b64 v[4:7], v182 offset0:18 offset1:19
	v_pk_add_f32 v[76:77], v[76:77], v[8:9] neg_lo:[0,1] neg_hi:[0,1]
	s_wait_dscnt 0x0
	v_pk_mul_f32 v[8:9], v[4:5], v[2:3] op_sel:[0,1]
	v_pk_fma_f32 v[10:11], v[4:5], v[0:1], v[8:9] op_sel:[0,0,1] op_sel_hi:[1,1,0] neg_lo:[0,0,1] neg_hi:[0,0,1]
	v_pk_fma_f32 v[4:5], v[4:5], v[0:1], v[8:9] op_sel:[0,0,1] op_sel_hi:[1,0,0]
	v_dual_mul_f32 v8, v7, v3 :: v_dual_mov_b32 v4, v7
	s_delay_alu instid0(VALU_DEP_2) | instskip(NEXT) | instid1(VALU_DEP_2)
	v_dual_mov_b32 v11, v5 :: v_dual_mov_b32 v5, v6
	v_pk_fma_f32 v[8:9], v[6:7], v[22:23], v[8:9] op_sel_hi:[1,1,0] neg_lo:[0,0,1] neg_hi:[0,0,1]
	v_mul_f32_e32 v6, v7, v0
	s_delay_alu instid0(VALU_DEP_3) | instskip(NEXT) | instid1(VALU_DEP_2)
	v_pk_add_f32 v[78:79], v[78:79], v[10:11] neg_lo:[0,1] neg_hi:[0,1]
	v_pk_fma_f32 v[4:5], v[4:5], v[22:23], v[6:7] op_sel_hi:[1,1,0]
	s_delay_alu instid0(VALU_DEP_1) | instskip(SKIP_4) | instid1(VALU_DEP_1)
	v_mov_b32_e32 v9, v5
	ds_load_2addr_b64 v[4:7], v182 offset0:20 offset1:21
	v_pk_add_f32 v[74:75], v[74:75], v[8:9] neg_lo:[0,1] neg_hi:[0,1]
	s_wait_dscnt 0x0
	v_pk_mul_f32 v[8:9], v[4:5], v[2:3] op_sel:[0,1]
	v_pk_fma_f32 v[10:11], v[4:5], v[0:1], v[8:9] op_sel:[0,0,1] op_sel_hi:[1,1,0] neg_lo:[0,0,1] neg_hi:[0,0,1]
	v_pk_fma_f32 v[4:5], v[4:5], v[0:1], v[8:9] op_sel:[0,0,1] op_sel_hi:[1,0,0]
	s_delay_alu instid0(VALU_DEP_1) | instskip(SKIP_1) | instid1(VALU_DEP_1)
	v_mov_b32_e32 v11, v5
	v_pk_mul_f32 v[4:5], v[6:7], v[2:3] op_sel:[0,1]
	v_pk_fma_f32 v[8:9], v[6:7], v[0:1], v[4:5] op_sel:[0,0,1] op_sel_hi:[1,1,0] neg_lo:[0,0,1] neg_hi:[0,0,1]
	v_pk_fma_f32 v[4:5], v[6:7], v[0:1], v[4:5] op_sel:[0,0,1] op_sel_hi:[1,0,0]
	s_delay_alu instid0(VALU_DEP_1)
	v_mov_b32_e32 v9, v5
	ds_load_2addr_b64 v[4:7], v182 offset0:22 offset1:23
	v_pk_add_f32 v[98:99], v[98:99], v[10:11] neg_lo:[0,1] neg_hi:[0,1]
	v_pk_add_f32 v[94:95], v[94:95], v[8:9] neg_lo:[0,1] neg_hi:[0,1]
	s_wait_dscnt 0x0
	v_pk_mul_f32 v[8:9], v[4:5], v[2:3] op_sel:[0,1]
	s_delay_alu instid0(VALU_DEP_1) | instskip(SKIP_1) | instid1(VALU_DEP_1)
	v_pk_fma_f32 v[10:11], v[4:5], v[0:1], v[8:9] op_sel:[0,0,1] op_sel_hi:[1,1,0] neg_lo:[0,0,1] neg_hi:[0,0,1]
	v_pk_fma_f32 v[4:5], v[4:5], v[0:1], v[8:9] op_sel:[0,0,1] op_sel_hi:[1,0,0]
	v_mov_b32_e32 v11, v5
	v_pk_mul_f32 v[4:5], v[6:7], v[2:3] op_sel:[0,1]
	s_delay_alu instid0(VALU_DEP_1) | instskip(SKIP_1) | instid1(VALU_DEP_1)
	v_pk_fma_f32 v[8:9], v[6:7], v[0:1], v[4:5] op_sel:[0,0,1] op_sel_hi:[1,1,0] neg_lo:[0,0,1] neg_hi:[0,0,1]
	v_pk_fma_f32 v[4:5], v[6:7], v[0:1], v[4:5] op_sel:[0,0,1] op_sel_hi:[1,0,0]
	v_mov_b32_e32 v9, v5
	ds_load_2addr_b64 v[4:7], v182 offset0:24 offset1:25
	v_pk_add_f32 v[96:97], v[96:97], v[10:11] neg_lo:[0,1] neg_hi:[0,1]
	v_pk_add_f32 v[92:93], v[92:93], v[8:9] neg_lo:[0,1] neg_hi:[0,1]
	s_wait_dscnt 0x0
	v_dual_mul_f32 v8, v5, v3 :: v_dual_mul_f32 v10, v5, v0
	s_delay_alu instid0(VALU_DEP_1) | instskip(NEXT) | instid1(VALU_DEP_2)
	v_pk_fma_f32 v[8:9], v[4:5], v[22:23], v[8:9] op_sel_hi:[1,1,0] neg_lo:[0,0,1] neg_hi:[0,0,1]
	v_pk_fma_f32 v[4:5], v[4:5], v[22:23], v[10:11] op_sel:[1,0,0] op_sel_hi:[0,1,0]
	s_delay_alu instid0(VALU_DEP_1) | instskip(SKIP_1) | instid1(VALU_DEP_2)
	v_mov_b32_e32 v9, v5
	v_pk_mul_f32 v[4:5], v[6:7], v[2:3] op_sel:[0,1]
	v_pk_add_f32 v[114:115], v[114:115], v[8:9] neg_lo:[0,1] neg_hi:[0,1]
	s_delay_alu instid0(VALU_DEP_2) | instskip(SKIP_1) | instid1(VALU_DEP_1)
	v_pk_fma_f32 v[8:9], v[6:7], v[0:1], v[4:5] op_sel:[0,0,1] op_sel_hi:[1,1,0] neg_lo:[0,0,1] neg_hi:[0,0,1]
	v_pk_fma_f32 v[4:5], v[6:7], v[0:1], v[4:5] op_sel:[0,0,1] op_sel_hi:[1,0,0]
	v_mov_b32_e32 v9, v5
	ds_load_2addr_b64 v[4:7], v182 offset0:26 offset1:27
	v_pk_add_f32 v[110:111], v[110:111], v[8:9] neg_lo:[0,1] neg_hi:[0,1]
	s_wait_dscnt 0x0
	v_pk_mul_f32 v[8:9], v[4:5], v[2:3] op_sel:[0,1]
	s_delay_alu instid0(VALU_DEP_1) | instskip(SKIP_1) | instid1(VALU_DEP_1)
	v_pk_fma_f32 v[10:11], v[4:5], v[0:1], v[8:9] op_sel:[0,0,1] op_sel_hi:[1,1,0] neg_lo:[0,0,1] neg_hi:[0,0,1]
	v_pk_fma_f32 v[4:5], v[4:5], v[0:1], v[8:9] op_sel:[0,0,1] op_sel_hi:[1,0,0]
	v_mov_b32_e32 v11, v5
	v_pk_mul_f32 v[4:5], v[6:7], v[2:3] op_sel:[0,1]
	s_delay_alu instid0(VALU_DEP_2) | instskip(NEXT) | instid1(VALU_DEP_2)
	v_pk_add_f32 v[112:113], v[112:113], v[10:11] neg_lo:[0,1] neg_hi:[0,1]
	v_pk_fma_f32 v[8:9], v[6:7], v[0:1], v[4:5] op_sel:[0,0,1] op_sel_hi:[1,1,0] neg_lo:[0,0,1] neg_hi:[0,0,1]
	v_pk_fma_f32 v[4:5], v[6:7], v[0:1], v[4:5] op_sel:[0,0,1] op_sel_hi:[1,0,0]
	s_delay_alu instid0(VALU_DEP_1) | instskip(SKIP_4) | instid1(VALU_DEP_1)
	v_mov_b32_e32 v9, v5
	ds_load_2addr_b64 v[4:7], v182 offset0:28 offset1:29
	v_pk_add_f32 v[108:109], v[108:109], v[8:9] neg_lo:[0,1] neg_hi:[0,1]
	s_wait_dscnt 0x0
	v_pk_mul_f32 v[8:9], v[4:5], v[2:3] op_sel:[0,1]
	v_pk_fma_f32 v[10:11], v[4:5], v[0:1], v[8:9] op_sel:[0,0,1] op_sel_hi:[1,1,0] neg_lo:[0,0,1] neg_hi:[0,0,1]
	v_pk_fma_f32 v[4:5], v[4:5], v[0:1], v[8:9] op_sel:[0,0,1] op_sel_hi:[1,0,0]
	v_dual_mul_f32 v8, v7, v3 :: v_dual_mov_b32 v4, v7
	s_delay_alu instid0(VALU_DEP_2) | instskip(NEXT) | instid1(VALU_DEP_2)
	v_dual_mov_b32 v11, v5 :: v_dual_mov_b32 v5, v6
	v_pk_fma_f32 v[8:9], v[6:7], v[22:23], v[8:9] op_sel_hi:[1,1,0] neg_lo:[0,0,1] neg_hi:[0,0,1]
	v_mul_f32_e32 v6, v7, v0
	s_delay_alu instid0(VALU_DEP_3) | instskip(NEXT) | instid1(VALU_DEP_2)
	v_pk_add_f32 v[130:131], v[130:131], v[10:11] neg_lo:[0,1] neg_hi:[0,1]
	v_pk_fma_f32 v[4:5], v[4:5], v[22:23], v[6:7] op_sel_hi:[1,1,0]
	s_delay_alu instid0(VALU_DEP_1) | instskip(SKIP_4) | instid1(VALU_DEP_1)
	v_mov_b32_e32 v9, v5
	ds_load_2addr_b64 v[4:7], v182 offset0:30 offset1:31
	v_pk_add_f32 v[126:127], v[126:127], v[8:9] neg_lo:[0,1] neg_hi:[0,1]
	s_wait_dscnt 0x0
	v_pk_mul_f32 v[8:9], v[4:5], v[2:3] op_sel:[0,1]
	v_pk_fma_f32 v[10:11], v[4:5], v[0:1], v[8:9] op_sel:[0,0,1] op_sel_hi:[1,1,0] neg_lo:[0,0,1] neg_hi:[0,0,1]
	v_pk_fma_f32 v[4:5], v[4:5], v[0:1], v[8:9] op_sel:[0,0,1] op_sel_hi:[1,0,0]
	s_delay_alu instid0(VALU_DEP_1) | instskip(SKIP_1) | instid1(VALU_DEP_1)
	v_mov_b32_e32 v11, v5
	v_pk_mul_f32 v[4:5], v[6:7], v[2:3] op_sel:[0,1]
	v_pk_fma_f32 v[8:9], v[6:7], v[0:1], v[4:5] op_sel:[0,0,1] op_sel_hi:[1,1,0] neg_lo:[0,0,1] neg_hi:[0,0,1]
	v_pk_fma_f32 v[4:5], v[6:7], v[0:1], v[4:5] op_sel:[0,0,1] op_sel_hi:[1,0,0]
	s_delay_alu instid0(VALU_DEP_1)
	v_mov_b32_e32 v9, v5
	ds_load_2addr_b64 v[4:7], v182 offset0:32 offset1:33
	v_pk_add_f32 v[128:129], v[128:129], v[10:11] neg_lo:[0,1] neg_hi:[0,1]
	v_pk_add_f32 v[124:125], v[124:125], v[8:9] neg_lo:[0,1] neg_hi:[0,1]
	s_wait_dscnt 0x0
	v_pk_mul_f32 v[8:9], v[4:5], v[2:3] op_sel:[0,1]
	s_delay_alu instid0(VALU_DEP_1) | instskip(SKIP_1) | instid1(VALU_DEP_1)
	v_pk_fma_f32 v[10:11], v[4:5], v[0:1], v[8:9] op_sel:[0,0,1] op_sel_hi:[1,1,0] neg_lo:[0,0,1] neg_hi:[0,0,1]
	v_pk_fma_f32 v[4:5], v[4:5], v[0:1], v[8:9] op_sel:[0,0,1] op_sel_hi:[1,0,0]
	v_mov_b32_e32 v11, v5
	v_pk_mul_f32 v[4:5], v[6:7], v[2:3] op_sel:[0,1]
	s_delay_alu instid0(VALU_DEP_1) | instskip(SKIP_1) | instid1(VALU_DEP_1)
	v_pk_fma_f32 v[8:9], v[6:7], v[0:1], v[4:5] op_sel:[0,0,1] op_sel_hi:[1,1,0] neg_lo:[0,0,1] neg_hi:[0,0,1]
	v_pk_fma_f32 v[4:5], v[6:7], v[0:1], v[4:5] op_sel:[0,0,1] op_sel_hi:[1,0,0]
	v_mov_b32_e32 v9, v5
	ds_load_2addr_b64 v[4:7], v182 offset0:34 offset1:35
	v_pk_add_f32 v[146:147], v[146:147], v[10:11] neg_lo:[0,1] neg_hi:[0,1]
	v_pk_add_f32 v[142:143], v[142:143], v[8:9] neg_lo:[0,1] neg_hi:[0,1]
	s_wait_dscnt 0x0
	v_dual_mul_f32 v8, v5, v3 :: v_dual_mul_f32 v10, v5, v0
	s_delay_alu instid0(VALU_DEP_1) | instskip(NEXT) | instid1(VALU_DEP_2)
	v_pk_fma_f32 v[8:9], v[4:5], v[22:23], v[8:9] op_sel_hi:[1,1,0] neg_lo:[0,0,1] neg_hi:[0,0,1]
	v_pk_fma_f32 v[4:5], v[4:5], v[22:23], v[10:11] op_sel:[1,0,0] op_sel_hi:[0,1,0]
	s_delay_alu instid0(VALU_DEP_1) | instskip(SKIP_1) | instid1(VALU_DEP_2)
	v_mov_b32_e32 v9, v5
	v_pk_mul_f32 v[4:5], v[6:7], v[2:3] op_sel:[0,1]
	v_pk_add_f32 v[144:145], v[144:145], v[8:9] neg_lo:[0,1] neg_hi:[0,1]
	s_delay_alu instid0(VALU_DEP_2) | instskip(SKIP_1) | instid1(VALU_DEP_1)
	v_pk_fma_f32 v[8:9], v[6:7], v[0:1], v[4:5] op_sel:[0,0,1] op_sel_hi:[1,1,0] neg_lo:[0,0,1] neg_hi:[0,0,1]
	v_pk_fma_f32 v[4:5], v[6:7], v[0:1], v[4:5] op_sel:[0,0,1] op_sel_hi:[1,0,0]
	v_mov_b32_e32 v9, v5
	ds_load_2addr_b64 v[4:7], v182 offset0:36 offset1:37
	v_pk_add_f32 v[140:141], v[140:141], v[8:9] neg_lo:[0,1] neg_hi:[0,1]
	s_wait_dscnt 0x0
	v_pk_mul_f32 v[8:9], v[4:5], v[2:3] op_sel:[0,1]
	s_delay_alu instid0(VALU_DEP_1) | instskip(SKIP_1) | instid1(VALU_DEP_1)
	v_pk_fma_f32 v[10:11], v[4:5], v[0:1], v[8:9] op_sel:[0,0,1] op_sel_hi:[1,1,0] neg_lo:[0,0,1] neg_hi:[0,0,1]
	v_pk_fma_f32 v[4:5], v[4:5], v[0:1], v[8:9] op_sel:[0,0,1] op_sel_hi:[1,0,0]
	v_mov_b32_e32 v11, v5
	v_pk_mul_f32 v[4:5], v[6:7], v[2:3] op_sel:[0,1]
	s_delay_alu instid0(VALU_DEP_2) | instskip(NEXT) | instid1(VALU_DEP_2)
	v_pk_add_f32 v[162:163], v[162:163], v[10:11] neg_lo:[0,1] neg_hi:[0,1]
	v_pk_fma_f32 v[8:9], v[6:7], v[0:1], v[4:5] op_sel:[0,0,1] op_sel_hi:[1,1,0] neg_lo:[0,0,1] neg_hi:[0,0,1]
	v_pk_fma_f32 v[4:5], v[6:7], v[0:1], v[4:5] op_sel:[0,0,1] op_sel_hi:[1,0,0]
	s_delay_alu instid0(VALU_DEP_1) | instskip(SKIP_4) | instid1(VALU_DEP_1)
	v_mov_b32_e32 v9, v5
	ds_load_2addr_b64 v[4:7], v182 offset0:38 offset1:39
	v_pk_add_f32 v[158:159], v[158:159], v[8:9] neg_lo:[0,1] neg_hi:[0,1]
	s_wait_dscnt 0x0
	v_pk_mul_f32 v[8:9], v[4:5], v[2:3] op_sel:[0,1]
	v_pk_fma_f32 v[10:11], v[4:5], v[0:1], v[8:9] op_sel:[0,0,1] op_sel_hi:[1,1,0] neg_lo:[0,0,1] neg_hi:[0,0,1]
	v_pk_fma_f32 v[4:5], v[4:5], v[0:1], v[8:9] op_sel:[0,0,1] op_sel_hi:[1,0,0]
	v_dual_mul_f32 v8, v7, v3 :: v_dual_mov_b32 v4, v7
	s_delay_alu instid0(VALU_DEP_2) | instskip(NEXT) | instid1(VALU_DEP_2)
	v_dual_mov_b32 v11, v5 :: v_dual_mov_b32 v5, v6
	v_pk_fma_f32 v[8:9], v[6:7], v[22:23], v[8:9] op_sel_hi:[1,1,0] neg_lo:[0,0,1] neg_hi:[0,0,1]
	v_mul_f32_e32 v6, v7, v0
	s_delay_alu instid0(VALU_DEP_3) | instskip(NEXT) | instid1(VALU_DEP_2)
	v_pk_add_f32 v[160:161], v[160:161], v[10:11] neg_lo:[0,1] neg_hi:[0,1]
	v_pk_fma_f32 v[4:5], v[4:5], v[22:23], v[6:7] op_sel_hi:[1,1,0]
	s_delay_alu instid0(VALU_DEP_1) | instskip(SKIP_4) | instid1(VALU_DEP_1)
	v_mov_b32_e32 v9, v5
	ds_load_2addr_b64 v[4:7], v182 offset0:40 offset1:41
	v_pk_add_f32 v[156:157], v[156:157], v[8:9] neg_lo:[0,1] neg_hi:[0,1]
	s_wait_dscnt 0x0
	v_pk_mul_f32 v[8:9], v[4:5], v[2:3] op_sel:[0,1]
	v_pk_fma_f32 v[10:11], v[4:5], v[0:1], v[8:9] op_sel:[0,0,1] op_sel_hi:[1,1,0] neg_lo:[0,0,1] neg_hi:[0,0,1]
	v_pk_fma_f32 v[4:5], v[4:5], v[0:1], v[8:9] op_sel:[0,0,1] op_sel_hi:[1,0,0]
	s_delay_alu instid0(VALU_DEP_1) | instskip(SKIP_1) | instid1(VALU_DEP_1)
	v_mov_b32_e32 v11, v5
	v_pk_mul_f32 v[4:5], v[6:7], v[2:3] op_sel:[0,1]
	v_pk_fma_f32 v[8:9], v[6:7], v[0:1], v[4:5] op_sel:[0,0,1] op_sel_hi:[1,1,0] neg_lo:[0,0,1] neg_hi:[0,0,1]
	v_pk_fma_f32 v[4:5], v[6:7], v[0:1], v[4:5] op_sel:[0,0,1] op_sel_hi:[1,0,0]
	s_delay_alu instid0(VALU_DEP_1)
	v_mov_b32_e32 v9, v5
	ds_load_2addr_b64 v[4:7], v182 offset0:42 offset1:43
	v_pk_add_f32 v[178:179], v[178:179], v[10:11] neg_lo:[0,1] neg_hi:[0,1]
	v_pk_add_f32 v[174:175], v[174:175], v[8:9] neg_lo:[0,1] neg_hi:[0,1]
	s_wait_dscnt 0x0
	v_pk_mul_f32 v[8:9], v[4:5], v[2:3] op_sel:[0,1]
	s_delay_alu instid0(VALU_DEP_1) | instskip(SKIP_1) | instid1(VALU_DEP_1)
	v_pk_fma_f32 v[10:11], v[4:5], v[0:1], v[8:9] op_sel:[0,0,1] op_sel_hi:[1,1,0] neg_lo:[0,0,1] neg_hi:[0,0,1]
	v_pk_fma_f32 v[4:5], v[4:5], v[0:1], v[8:9] op_sel:[0,0,1] op_sel_hi:[1,0,0]
	v_mov_b32_e32 v11, v5
	v_pk_mul_f32 v[4:5], v[6:7], v[2:3] op_sel:[0,1]
	s_delay_alu instid0(VALU_DEP_1) | instskip(SKIP_1) | instid1(VALU_DEP_1)
	v_pk_fma_f32 v[8:9], v[6:7], v[0:1], v[4:5] op_sel:[0,0,1] op_sel_hi:[1,1,0] neg_lo:[0,0,1] neg_hi:[0,0,1]
	v_pk_fma_f32 v[4:5], v[6:7], v[0:1], v[4:5] op_sel:[0,0,1] op_sel_hi:[1,0,0]
	v_mov_b32_e32 v9, v5
	ds_load_2addr_b64 v[4:7], v182 offset0:44 offset1:45
	v_pk_add_f32 v[176:177], v[176:177], v[10:11] neg_lo:[0,1] neg_hi:[0,1]
	v_pk_add_f32 v[172:173], v[172:173], v[8:9] neg_lo:[0,1] neg_hi:[0,1]
	s_wait_dscnt 0x0
	v_dual_mul_f32 v8, v5, v3 :: v_dual_mul_f32 v10, v5, v0
	s_delay_alu instid0(VALU_DEP_1) | instskip(NEXT) | instid1(VALU_DEP_2)
	v_pk_fma_f32 v[8:9], v[4:5], v[22:23], v[8:9] op_sel_hi:[1,1,0] neg_lo:[0,0,1] neg_hi:[0,0,1]
	v_pk_fma_f32 v[4:5], v[4:5], v[22:23], v[10:11] op_sel:[1,0,0] op_sel_hi:[0,1,0]
	s_delay_alu instid0(VALU_DEP_1) | instskip(SKIP_1) | instid1(VALU_DEP_2)
	v_mov_b32_e32 v9, v5
	v_pk_mul_f32 v[4:5], v[6:7], v[2:3] op_sel:[0,1]
	v_pk_add_f32 v[200:201], v[200:201], v[8:9] neg_lo:[0,1] neg_hi:[0,1]
	s_delay_alu instid0(VALU_DEP_2) | instskip(SKIP_1) | instid1(VALU_DEP_1)
	v_pk_fma_f32 v[8:9], v[6:7], v[0:1], v[4:5] op_sel:[0,0,1] op_sel_hi:[1,1,0] neg_lo:[0,0,1] neg_hi:[0,0,1]
	v_pk_fma_f32 v[4:5], v[6:7], v[0:1], v[4:5] op_sel:[0,0,1] op_sel_hi:[1,0,0]
	v_mov_b32_e32 v9, v5
	ds_load_2addr_b64 v[4:7], v182 offset0:46 offset1:47
	v_pk_add_f32 v[196:197], v[196:197], v[8:9] neg_lo:[0,1] neg_hi:[0,1]
	s_wait_dscnt 0x0
	v_pk_mul_f32 v[8:9], v[4:5], v[2:3] op_sel:[0,1]
	s_delay_alu instid0(VALU_DEP_1) | instskip(SKIP_1) | instid1(VALU_DEP_1)
	v_pk_fma_f32 v[10:11], v[4:5], v[0:1], v[8:9] op_sel:[0,0,1] op_sel_hi:[1,1,0] neg_lo:[0,0,1] neg_hi:[0,0,1]
	v_pk_fma_f32 v[4:5], v[4:5], v[0:1], v[8:9] op_sel:[0,0,1] op_sel_hi:[1,0,0]
	v_mov_b32_e32 v11, v5
	v_pk_mul_f32 v[4:5], v[6:7], v[2:3] op_sel:[0,1]
	s_delay_alu instid0(VALU_DEP_2) | instskip(NEXT) | instid1(VALU_DEP_2)
	v_pk_add_f32 v[198:199], v[198:199], v[10:11] neg_lo:[0,1] neg_hi:[0,1]
	v_pk_fma_f32 v[8:9], v[6:7], v[0:1], v[4:5] op_sel:[0,0,1] op_sel_hi:[1,1,0] neg_lo:[0,0,1] neg_hi:[0,0,1]
	v_pk_fma_f32 v[4:5], v[6:7], v[0:1], v[4:5] op_sel:[0,0,1] op_sel_hi:[1,0,0]
	s_delay_alu instid0(VALU_DEP_1) | instskip(SKIP_4) | instid1(VALU_DEP_1)
	v_mov_b32_e32 v9, v5
	ds_load_2addr_b64 v[4:7], v182 offset0:48 offset1:49
	v_pk_add_f32 v[194:195], v[194:195], v[8:9] neg_lo:[0,1] neg_hi:[0,1]
	s_wait_dscnt 0x0
	v_pk_mul_f32 v[8:9], v[4:5], v[2:3] op_sel:[0,1]
	v_pk_fma_f32 v[10:11], v[4:5], v[0:1], v[8:9] op_sel:[0,0,1] op_sel_hi:[1,1,0] neg_lo:[0,0,1] neg_hi:[0,0,1]
	v_pk_fma_f32 v[4:5], v[4:5], v[0:1], v[8:9] op_sel:[0,0,1] op_sel_hi:[1,0,0]
	v_dual_mul_f32 v8, v7, v3 :: v_dual_mov_b32 v4, v7
	s_delay_alu instid0(VALU_DEP_2) | instskip(NEXT) | instid1(VALU_DEP_2)
	v_dual_mov_b32 v11, v5 :: v_dual_mov_b32 v5, v6
	v_pk_fma_f32 v[8:9], v[6:7], v[22:23], v[8:9] op_sel_hi:[1,1,0] neg_lo:[0,0,1] neg_hi:[0,0,1]
	v_mul_f32_e32 v6, v7, v0
	s_delay_alu instid0(VALU_DEP_3) | instskip(NEXT) | instid1(VALU_DEP_2)
	v_pk_add_f32 v[224:225], v[224:225], v[10:11] neg_lo:[0,1] neg_hi:[0,1]
	v_pk_fma_f32 v[4:5], v[4:5], v[22:23], v[6:7] op_sel_hi:[1,1,0]
	s_delay_alu instid0(VALU_DEP_1) | instskip(SKIP_4) | instid1(VALU_DEP_1)
	v_mov_b32_e32 v9, v5
	ds_load_2addr_b64 v[4:7], v182 offset0:50 offset1:51
	v_pk_add_f32 v[216:217], v[216:217], v[8:9] neg_lo:[0,1] neg_hi:[0,1]
	s_wait_dscnt 0x0
	v_pk_mul_f32 v[8:9], v[4:5], v[2:3] op_sel:[0,1]
	v_pk_fma_f32 v[10:11], v[4:5], v[0:1], v[8:9] op_sel:[0,0,1] op_sel_hi:[1,1,0] neg_lo:[0,0,1] neg_hi:[0,0,1]
	v_pk_fma_f32 v[4:5], v[4:5], v[0:1], v[8:9] op_sel:[0,0,1] op_sel_hi:[1,0,0]
	s_delay_alu instid0(VALU_DEP_1) | instskip(SKIP_1) | instid1(VALU_DEP_1)
	v_mov_b32_e32 v11, v5
	v_pk_mul_f32 v[4:5], v[6:7], v[2:3] op_sel:[0,1]
	v_pk_fma_f32 v[8:9], v[6:7], v[0:1], v[4:5] op_sel:[0,0,1] op_sel_hi:[1,1,0] neg_lo:[0,0,1] neg_hi:[0,0,1]
	v_pk_fma_f32 v[4:5], v[6:7], v[0:1], v[4:5] op_sel:[0,0,1] op_sel_hi:[1,0,0]
	s_delay_alu instid0(VALU_DEP_1)
	v_mov_b32_e32 v9, v5
	ds_load_2addr_b64 v[4:7], v182 offset0:52 offset1:53
	v_pk_add_f32 v[222:223], v[222:223], v[10:11] neg_lo:[0,1] neg_hi:[0,1]
	v_pk_add_f32 v[214:215], v[214:215], v[8:9] neg_lo:[0,1] neg_hi:[0,1]
	s_wait_dscnt 0x0
	v_pk_mul_f32 v[8:9], v[4:5], v[2:3] op_sel:[0,1]
	s_delay_alu instid0(VALU_DEP_1) | instskip(SKIP_1) | instid1(VALU_DEP_1)
	v_pk_fma_f32 v[10:11], v[4:5], v[0:1], v[8:9] op_sel:[0,0,1] op_sel_hi:[1,1,0] neg_lo:[0,0,1] neg_hi:[0,0,1]
	v_pk_fma_f32 v[4:5], v[4:5], v[0:1], v[8:9] op_sel:[0,0,1] op_sel_hi:[1,0,0]
	v_mov_b32_e32 v11, v5
	v_pk_mul_f32 v[4:5], v[6:7], v[2:3] op_sel:[0,1]
	s_delay_alu instid0(VALU_DEP_1) | instskip(SKIP_1) | instid1(VALU_DEP_1)
	v_pk_fma_f32 v[8:9], v[6:7], v[0:1], v[4:5] op_sel:[0,0,1] op_sel_hi:[1,1,0] neg_lo:[0,0,1] neg_hi:[0,0,1]
	v_pk_fma_f32 v[4:5], v[6:7], v[0:1], v[4:5] op_sel:[0,0,1] op_sel_hi:[1,0,0]
	v_mov_b32_e32 v9, v5
	ds_load_2addr_b64 v[4:7], v182 offset0:54 offset1:55
	v_pk_add_f32 v[220:221], v[220:221], v[10:11] neg_lo:[0,1] neg_hi:[0,1]
	v_pk_add_f32 v[212:213], v[212:213], v[8:9] neg_lo:[0,1] neg_hi:[0,1]
	s_wait_dscnt 0x0
	v_dual_mul_f32 v8, v5, v3 :: v_dual_mul_f32 v10, v5, v0
	s_delay_alu instid0(VALU_DEP_1) | instskip(NEXT) | instid1(VALU_DEP_2)
	v_pk_fma_f32 v[8:9], v[4:5], v[22:23], v[8:9] op_sel_hi:[1,1,0] neg_lo:[0,0,1] neg_hi:[0,0,1]
	v_pk_fma_f32 v[4:5], v[4:5], v[22:23], v[10:11] op_sel:[1,0,0] op_sel_hi:[0,1,0]
	s_delay_alu instid0(VALU_DEP_1) | instskip(SKIP_1) | instid1(VALU_DEP_2)
	v_mov_b32_e32 v9, v5
	v_pk_mul_f32 v[4:5], v[6:7], v[2:3] op_sel:[0,1]
	v_pk_add_f32 v[218:219], v[218:219], v[8:9] neg_lo:[0,1] neg_hi:[0,1]
	s_delay_alu instid0(VALU_DEP_2) | instskip(SKIP_1) | instid1(VALU_DEP_1)
	v_pk_fma_f32 v[8:9], v[6:7], v[0:1], v[4:5] op_sel:[0,0,1] op_sel_hi:[1,1,0] neg_lo:[0,0,1] neg_hi:[0,0,1]
	v_pk_fma_f32 v[4:5], v[6:7], v[0:1], v[4:5] op_sel:[0,0,1] op_sel_hi:[1,0,0]
	v_mov_b32_e32 v9, v5
	ds_load_b64 v[4:5], v182 offset:448
	v_pk_add_f32 v[226:227], v[226:227], v[8:9] neg_lo:[0,1] neg_hi:[0,1]
	s_wait_dscnt 0x0
	v_pk_mul_f32 v[2:3], v[4:5], v[2:3] op_sel:[0,1]
	s_delay_alu instid0(VALU_DEP_1) | instskip(SKIP_1) | instid1(VALU_DEP_1)
	v_pk_fma_f32 v[6:7], v[4:5], v[0:1], v[2:3] op_sel:[0,0,1] op_sel_hi:[1,1,0] neg_lo:[0,0,1] neg_hi:[0,0,1]
	v_pk_fma_f32 v[0:1], v[4:5], v[0:1], v[2:3] op_sel:[0,0,1] op_sel_hi:[1,0,0]
	v_mov_b32_e32 v7, v1
	s_delay_alu instid0(VALU_DEP_1)
	v_pk_add_f32 v[228:229], v[228:229], v[6:7] neg_lo:[0,1] neg_hi:[0,1]
.LBB113_55:
	s_wait_xcnt 0x0
	s_or_b32 exec_lo, exec_lo, s1
	s_delay_alu instid0(SALU_CYCLE_1)
	s_mov_b32 s2, exec_lo
	s_wait_storecnt 0x0
	s_barrier_signal -1
	s_barrier_wait -1
	v_cmpx_eq_u32_e32 6, v180
	s_cbranch_execz .LBB113_62
; %bb.56:
	ds_store_b64 v181, v[24:25]
	ds_store_2addr_b64 v182, v[20:21], v[40:41] offset0:7 offset1:8
	ds_store_2addr_b64 v182, v[36:37], v[38:39] offset0:9 offset1:10
	ds_store_2addr_b64 v182, v[34:35], v[64:65] offset0:11 offset1:12
	ds_store_2addr_b64 v182, v[60:61], v[62:63] offset0:13 offset1:14
	ds_store_2addr_b64 v182, v[58:59], v[80:81] offset0:15 offset1:16
	ds_store_2addr_b64 v182, v[76:77], v[78:79] offset0:17 offset1:18
	ds_store_2addr_b64 v182, v[74:75], v[98:99] offset0:19 offset1:20
	ds_store_2addr_b64 v182, v[94:95], v[96:97] offset0:21 offset1:22
	ds_store_2addr_b64 v182, v[92:93], v[114:115] offset0:23 offset1:24
	ds_store_2addr_b64 v182, v[110:111], v[112:113] offset0:25 offset1:26
	ds_store_2addr_b64 v182, v[108:109], v[130:131] offset0:27 offset1:28
	ds_store_2addr_b64 v182, v[126:127], v[128:129] offset0:29 offset1:30
	ds_store_2addr_b64 v182, v[124:125], v[146:147] offset0:31 offset1:32
	ds_store_2addr_b64 v182, v[142:143], v[144:145] offset0:33 offset1:34
	ds_store_2addr_b64 v182, v[140:141], v[162:163] offset0:35 offset1:36
	ds_store_2addr_b64 v182, v[158:159], v[160:161] offset0:37 offset1:38
	ds_store_2addr_b64 v182, v[156:157], v[178:179] offset0:39 offset1:40
	ds_store_2addr_b64 v182, v[174:175], v[176:177] offset0:41 offset1:42
	ds_store_2addr_b64 v182, v[172:173], v[200:201] offset0:43 offset1:44
	ds_store_2addr_b64 v182, v[196:197], v[198:199] offset0:45 offset1:46
	ds_store_2addr_b64 v182, v[194:195], v[224:225] offset0:47 offset1:48
	ds_store_2addr_b64 v182, v[216:217], v[222:223] offset0:49 offset1:50
	ds_store_2addr_b64 v182, v[214:215], v[220:221] offset0:51 offset1:52
	ds_store_2addr_b64 v182, v[212:213], v[218:219] offset0:53 offset1:54
	ds_store_2addr_b64 v182, v[226:227], v[228:229] offset0:55 offset1:56
	ds_load_b64 v[0:1], v181
	s_wait_dscnt 0x0
	v_cmp_neq_f32_e32 vcc_lo, 0, v0
	v_cmp_neq_f32_e64 s1, 0, v1
	s_or_b32 s1, vcc_lo, s1
	s_delay_alu instid0(SALU_CYCLE_1)
	s_and_b32 exec_lo, exec_lo, s1
	s_cbranch_execz .LBB113_62
; %bb.57:
	v_cmp_ngt_f32_e64 s1, |v0|, |v1|
                                        ; implicit-def: $vgpr2_vgpr3
	s_and_saveexec_b32 s4, s1
	s_delay_alu instid0(SALU_CYCLE_1)
	s_xor_b32 s1, exec_lo, s4
	s_cbranch_execz .LBB113_59
; %bb.58:
	v_div_scale_f32 v2, null, v1, v1, v0
	v_div_scale_f32 v5, vcc_lo, v0, v1, v0
	s_delay_alu instid0(VALU_DEP_2) | instskip(SKIP_1) | instid1(TRANS32_DEP_1)
	v_rcp_f32_e32 v3, v2
	v_nop
	v_fma_f32 v4, -v2, v3, 1.0
	s_delay_alu instid0(VALU_DEP_1) | instskip(NEXT) | instid1(VALU_DEP_1)
	v_fmac_f32_e32 v3, v4, v3
	v_mul_f32_e32 v4, v5, v3
	s_delay_alu instid0(VALU_DEP_1) | instskip(NEXT) | instid1(VALU_DEP_1)
	v_fma_f32 v6, -v2, v4, v5
	v_fmac_f32_e32 v4, v6, v3
	s_delay_alu instid0(VALU_DEP_1) | instskip(NEXT) | instid1(VALU_DEP_1)
	v_fma_f32 v2, -v2, v4, v5
	v_div_fmas_f32 v2, v2, v3, v4
	s_delay_alu instid0(VALU_DEP_1) | instskip(NEXT) | instid1(VALU_DEP_1)
	v_div_fixup_f32 v2, v2, v1, v0
	v_fmac_f32_e32 v1, v0, v2
	s_delay_alu instid0(VALU_DEP_1) | instskip(SKIP_1) | instid1(VALU_DEP_2)
	v_div_scale_f32 v0, null, v1, v1, 1.0
	v_div_scale_f32 v5, vcc_lo, 1.0, v1, 1.0
	v_rcp_f32_e32 v3, v0
	v_nop
	s_delay_alu instid0(TRANS32_DEP_1) | instskip(NEXT) | instid1(VALU_DEP_1)
	v_fma_f32 v4, -v0, v3, 1.0
	v_fmac_f32_e32 v3, v4, v3
	s_delay_alu instid0(VALU_DEP_1) | instskip(NEXT) | instid1(VALU_DEP_1)
	v_mul_f32_e32 v4, v5, v3
	v_fma_f32 v6, -v0, v4, v5
	s_delay_alu instid0(VALU_DEP_1) | instskip(NEXT) | instid1(VALU_DEP_1)
	v_fmac_f32_e32 v4, v6, v3
	v_fma_f32 v0, -v0, v4, v5
	s_delay_alu instid0(VALU_DEP_1) | instskip(NEXT) | instid1(VALU_DEP_1)
	v_div_fmas_f32 v0, v0, v3, v4
	v_div_fixup_f32 v0, v0, v1, 1.0
	s_delay_alu instid0(VALU_DEP_1)
	v_mul_f32_e32 v2, v2, v0
	v_xor_b32_e32 v3, 0x80000000, v0
                                        ; implicit-def: $vgpr0_vgpr1
.LBB113_59:
	s_and_not1_saveexec_b32 s1, s1
	s_cbranch_execz .LBB113_61
; %bb.60:
	v_div_scale_f32 v2, null, v0, v0, v1
	v_div_scale_f32 v5, vcc_lo, v1, v0, v1
	s_delay_alu instid0(VALU_DEP_2) | instskip(SKIP_1) | instid1(TRANS32_DEP_1)
	v_rcp_f32_e32 v3, v2
	v_nop
	v_fma_f32 v4, -v2, v3, 1.0
	s_delay_alu instid0(VALU_DEP_1) | instskip(NEXT) | instid1(VALU_DEP_1)
	v_fmac_f32_e32 v3, v4, v3
	v_mul_f32_e32 v4, v5, v3
	s_delay_alu instid0(VALU_DEP_1) | instskip(NEXT) | instid1(VALU_DEP_1)
	v_fma_f32 v6, -v2, v4, v5
	v_fmac_f32_e32 v4, v6, v3
	s_delay_alu instid0(VALU_DEP_1) | instskip(NEXT) | instid1(VALU_DEP_1)
	v_fma_f32 v2, -v2, v4, v5
	v_div_fmas_f32 v2, v2, v3, v4
	s_delay_alu instid0(VALU_DEP_1) | instskip(NEXT) | instid1(VALU_DEP_1)
	v_div_fixup_f32 v3, v2, v0, v1
	v_fmac_f32_e32 v0, v1, v3
	s_delay_alu instid0(VALU_DEP_1) | instskip(NEXT) | instid1(VALU_DEP_1)
	v_div_scale_f32 v1, null, v0, v0, 1.0
	v_rcp_f32_e32 v2, v1
	v_nop
	s_delay_alu instid0(TRANS32_DEP_1) | instskip(NEXT) | instid1(VALU_DEP_1)
	v_fma_f32 v4, -v1, v2, 1.0
	v_fmac_f32_e32 v2, v4, v2
	v_div_scale_f32 v4, vcc_lo, 1.0, v0, 1.0
	s_delay_alu instid0(VALU_DEP_1) | instskip(NEXT) | instid1(VALU_DEP_1)
	v_mul_f32_e32 v5, v4, v2
	v_fma_f32 v6, -v1, v5, v4
	s_delay_alu instid0(VALU_DEP_1) | instskip(NEXT) | instid1(VALU_DEP_1)
	v_fmac_f32_e32 v5, v6, v2
	v_fma_f32 v1, -v1, v5, v4
	s_delay_alu instid0(VALU_DEP_1) | instskip(NEXT) | instid1(VALU_DEP_1)
	v_div_fmas_f32 v1, v1, v2, v5
	v_div_fixup_f32 v2, v1, v0, 1.0
	s_delay_alu instid0(VALU_DEP_1)
	v_mul_f32_e64 v3, v3, -v2
.LBB113_61:
	s_or_b32 exec_lo, exec_lo, s1
	ds_store_b64 v181, v[2:3]
.LBB113_62:
	s_or_b32 exec_lo, exec_lo, s2
	s_wait_dscnt 0x0
	s_barrier_signal -1
	s_barrier_wait -1
	ds_load_b64 v[0:1], v181
	s_mov_b32 s1, exec_lo
	s_wait_dscnt 0x0
	scratch_store_b64 off, v[0:1], off offset:336 ; 8-byte Folded Spill
	s_wait_xcnt 0x0
	v_cmpx_lt_u32_e32 6, v180
	s_cbranch_execz .LBB113_64
; %bb.63:
	scratch_load_b64 v[4:5], off, off offset:336 ; 8-byte Folded Reload
	s_wait_loadcnt 0x0
	v_pk_mul_f32 v[2:3], v[4:5], v[24:25] op_sel:[1,1] op_sel_hi:[0,1]
	s_delay_alu instid0(VALU_DEP_1)
	v_pk_fma_f32 v[0:1], v[4:5], v[24:25], v[2:3] op_sel_hi:[1,0,1] neg_lo:[0,0,1] neg_hi:[0,0,1]
	v_pk_fma_f32 v[2:3], v[4:5], v[24:25], v[2:3] op_sel_hi:[1,0,1]
	ds_load_2addr_b64 v[4:7], v182 offset0:7 offset1:8
	v_dual_mov_b32 v24, v0 :: v_dual_mov_b32 v25, v3
	s_wait_dscnt 0x0
	v_pk_mul_f32 v[8:9], v[4:5], v[2:3] op_sel:[0,1]
	s_delay_alu instid0(VALU_DEP_1) | instskip(SKIP_1) | instid1(VALU_DEP_1)
	v_pk_fma_f32 v[10:11], v[4:5], v[0:1], v[8:9] op_sel:[0,0,1] op_sel_hi:[1,1,0] neg_lo:[0,0,1] neg_hi:[0,0,1]
	v_pk_fma_f32 v[4:5], v[4:5], v[0:1], v[8:9] op_sel:[0,0,1] op_sel_hi:[1,0,0]
	v_mov_b32_e32 v11, v5
	v_pk_mul_f32 v[4:5], v[6:7], v[2:3] op_sel:[0,1]
	s_delay_alu instid0(VALU_DEP_1) | instskip(SKIP_1) | instid1(VALU_DEP_1)
	v_pk_fma_f32 v[8:9], v[6:7], v[0:1], v[4:5] op_sel:[0,0,1] op_sel_hi:[1,1,0] neg_lo:[0,0,1] neg_hi:[0,0,1]
	v_pk_fma_f32 v[4:5], v[6:7], v[0:1], v[4:5] op_sel:[0,0,1] op_sel_hi:[1,0,0]
	v_mov_b32_e32 v9, v5
	ds_load_2addr_b64 v[4:7], v182 offset0:9 offset1:10
	v_pk_add_f32 v[20:21], v[20:21], v[10:11] neg_lo:[0,1] neg_hi:[0,1]
	v_pk_add_f32 v[40:41], v[40:41], v[8:9] neg_lo:[0,1] neg_hi:[0,1]
	s_wait_dscnt 0x0
	v_pk_mul_f32 v[8:9], v[4:5], v[2:3] op_sel:[0,1]
	s_delay_alu instid0(VALU_DEP_1) | instskip(SKIP_2) | instid1(VALU_DEP_2)
	v_pk_fma_f32 v[10:11], v[4:5], v[0:1], v[8:9] op_sel:[0,0,1] op_sel_hi:[1,1,0] neg_lo:[0,0,1] neg_hi:[0,0,1]
	v_pk_fma_f32 v[4:5], v[4:5], v[0:1], v[8:9] op_sel:[0,0,1] op_sel_hi:[1,0,0]
	v_dual_mul_f32 v8, v7, v3 :: v_dual_mov_b32 v4, v7
	v_dual_mov_b32 v11, v5 :: v_dual_mov_b32 v5, v6
	s_delay_alu instid0(VALU_DEP_2) | instskip(SKIP_1) | instid1(VALU_DEP_3)
	v_pk_fma_f32 v[8:9], v[6:7], v[24:25], v[8:9] op_sel_hi:[1,1,0] neg_lo:[0,0,1] neg_hi:[0,0,1]
	v_mul_f32_e32 v6, v7, v0
	v_pk_add_f32 v[36:37], v[36:37], v[10:11] neg_lo:[0,1] neg_hi:[0,1]
	s_delay_alu instid0(VALU_DEP_2) | instskip(NEXT) | instid1(VALU_DEP_1)
	v_pk_fma_f32 v[4:5], v[4:5], v[24:25], v[6:7] op_sel_hi:[1,1,0]
	v_mov_b32_e32 v9, v5
	ds_load_2addr_b64 v[4:7], v182 offset0:11 offset1:12
	v_pk_add_f32 v[38:39], v[38:39], v[8:9] neg_lo:[0,1] neg_hi:[0,1]
	s_wait_dscnt 0x0
	v_pk_mul_f32 v[8:9], v[4:5], v[2:3] op_sel:[0,1]
	s_delay_alu instid0(VALU_DEP_1) | instskip(SKIP_1) | instid1(VALU_DEP_1)
	v_pk_fma_f32 v[10:11], v[4:5], v[0:1], v[8:9] op_sel:[0,0,1] op_sel_hi:[1,1,0] neg_lo:[0,0,1] neg_hi:[0,0,1]
	v_pk_fma_f32 v[4:5], v[4:5], v[0:1], v[8:9] op_sel:[0,0,1] op_sel_hi:[1,0,0]
	v_mov_b32_e32 v11, v5
	v_pk_mul_f32 v[4:5], v[6:7], v[2:3] op_sel:[0,1]
	s_delay_alu instid0(VALU_DEP_1) | instskip(SKIP_1) | instid1(VALU_DEP_1)
	v_pk_fma_f32 v[8:9], v[6:7], v[0:1], v[4:5] op_sel:[0,0,1] op_sel_hi:[1,1,0] neg_lo:[0,0,1] neg_hi:[0,0,1]
	v_pk_fma_f32 v[4:5], v[6:7], v[0:1], v[4:5] op_sel:[0,0,1] op_sel_hi:[1,0,0]
	v_mov_b32_e32 v9, v5
	ds_load_2addr_b64 v[4:7], v182 offset0:13 offset1:14
	v_pk_add_f32 v[34:35], v[34:35], v[10:11] neg_lo:[0,1] neg_hi:[0,1]
	v_pk_add_f32 v[64:65], v[64:65], v[8:9] neg_lo:[0,1] neg_hi:[0,1]
	s_wait_dscnt 0x0
	v_pk_mul_f32 v[8:9], v[4:5], v[2:3] op_sel:[0,1]
	s_delay_alu instid0(VALU_DEP_1) | instskip(SKIP_1) | instid1(VALU_DEP_1)
	v_pk_fma_f32 v[10:11], v[4:5], v[0:1], v[8:9] op_sel:[0,0,1] op_sel_hi:[1,1,0] neg_lo:[0,0,1] neg_hi:[0,0,1]
	v_pk_fma_f32 v[4:5], v[4:5], v[0:1], v[8:9] op_sel:[0,0,1] op_sel_hi:[1,0,0]
	v_mov_b32_e32 v11, v5
	v_pk_mul_f32 v[4:5], v[6:7], v[2:3] op_sel:[0,1]
	s_delay_alu instid0(VALU_DEP_1) | instskip(SKIP_1) | instid1(VALU_DEP_1)
	v_pk_fma_f32 v[8:9], v[6:7], v[0:1], v[4:5] op_sel:[0,0,1] op_sel_hi:[1,1,0] neg_lo:[0,0,1] neg_hi:[0,0,1]
	v_pk_fma_f32 v[4:5], v[6:7], v[0:1], v[4:5] op_sel:[0,0,1] op_sel_hi:[1,0,0]
	v_mov_b32_e32 v9, v5
	ds_load_2addr_b64 v[4:7], v182 offset0:15 offset1:16
	v_pk_add_f32 v[60:61], v[60:61], v[10:11] neg_lo:[0,1] neg_hi:[0,1]
	v_pk_add_f32 v[62:63], v[62:63], v[8:9] neg_lo:[0,1] neg_hi:[0,1]
	s_wait_dscnt 0x0
	v_dual_mul_f32 v8, v5, v3 :: v_dual_mul_f32 v10, v5, v0
	s_delay_alu instid0(VALU_DEP_1) | instskip(NEXT) | instid1(VALU_DEP_2)
	v_pk_fma_f32 v[8:9], v[4:5], v[24:25], v[8:9] op_sel_hi:[1,1,0] neg_lo:[0,0,1] neg_hi:[0,0,1]
	v_pk_fma_f32 v[4:5], v[4:5], v[24:25], v[10:11] op_sel:[1,0,0] op_sel_hi:[0,1,0]
	s_delay_alu instid0(VALU_DEP_1) | instskip(SKIP_1) | instid1(VALU_DEP_2)
	v_mov_b32_e32 v9, v5
	v_pk_mul_f32 v[4:5], v[6:7], v[2:3] op_sel:[0,1]
	v_pk_add_f32 v[58:59], v[58:59], v[8:9] neg_lo:[0,1] neg_hi:[0,1]
	s_delay_alu instid0(VALU_DEP_2) | instskip(SKIP_1) | instid1(VALU_DEP_1)
	v_pk_fma_f32 v[8:9], v[6:7], v[0:1], v[4:5] op_sel:[0,0,1] op_sel_hi:[1,1,0] neg_lo:[0,0,1] neg_hi:[0,0,1]
	v_pk_fma_f32 v[4:5], v[6:7], v[0:1], v[4:5] op_sel:[0,0,1] op_sel_hi:[1,0,0]
	v_mov_b32_e32 v9, v5
	ds_load_2addr_b64 v[4:7], v182 offset0:17 offset1:18
	v_pk_add_f32 v[80:81], v[80:81], v[8:9] neg_lo:[0,1] neg_hi:[0,1]
	s_wait_dscnt 0x0
	v_pk_mul_f32 v[8:9], v[4:5], v[2:3] op_sel:[0,1]
	s_delay_alu instid0(VALU_DEP_1) | instskip(SKIP_1) | instid1(VALU_DEP_1)
	v_pk_fma_f32 v[10:11], v[4:5], v[0:1], v[8:9] op_sel:[0,0,1] op_sel_hi:[1,1,0] neg_lo:[0,0,1] neg_hi:[0,0,1]
	v_pk_fma_f32 v[4:5], v[4:5], v[0:1], v[8:9] op_sel:[0,0,1] op_sel_hi:[1,0,0]
	v_mov_b32_e32 v11, v5
	v_pk_mul_f32 v[4:5], v[6:7], v[2:3] op_sel:[0,1]
	s_delay_alu instid0(VALU_DEP_2) | instskip(NEXT) | instid1(VALU_DEP_2)
	v_pk_add_f32 v[76:77], v[76:77], v[10:11] neg_lo:[0,1] neg_hi:[0,1]
	v_pk_fma_f32 v[8:9], v[6:7], v[0:1], v[4:5] op_sel:[0,0,1] op_sel_hi:[1,1,0] neg_lo:[0,0,1] neg_hi:[0,0,1]
	v_pk_fma_f32 v[4:5], v[6:7], v[0:1], v[4:5] op_sel:[0,0,1] op_sel_hi:[1,0,0]
	s_delay_alu instid0(VALU_DEP_1) | instskip(SKIP_4) | instid1(VALU_DEP_1)
	v_mov_b32_e32 v9, v5
	ds_load_2addr_b64 v[4:7], v182 offset0:19 offset1:20
	v_pk_add_f32 v[78:79], v[78:79], v[8:9] neg_lo:[0,1] neg_hi:[0,1]
	s_wait_dscnt 0x0
	v_pk_mul_f32 v[8:9], v[4:5], v[2:3] op_sel:[0,1]
	v_pk_fma_f32 v[10:11], v[4:5], v[0:1], v[8:9] op_sel:[0,0,1] op_sel_hi:[1,1,0] neg_lo:[0,0,1] neg_hi:[0,0,1]
	v_pk_fma_f32 v[4:5], v[4:5], v[0:1], v[8:9] op_sel:[0,0,1] op_sel_hi:[1,0,0]
	v_dual_mul_f32 v8, v7, v3 :: v_dual_mov_b32 v4, v7
	s_delay_alu instid0(VALU_DEP_2) | instskip(NEXT) | instid1(VALU_DEP_2)
	v_dual_mov_b32 v11, v5 :: v_dual_mov_b32 v5, v6
	v_pk_fma_f32 v[8:9], v[6:7], v[24:25], v[8:9] op_sel_hi:[1,1,0] neg_lo:[0,0,1] neg_hi:[0,0,1]
	v_mul_f32_e32 v6, v7, v0
	s_delay_alu instid0(VALU_DEP_3) | instskip(NEXT) | instid1(VALU_DEP_2)
	v_pk_add_f32 v[74:75], v[74:75], v[10:11] neg_lo:[0,1] neg_hi:[0,1]
	v_pk_fma_f32 v[4:5], v[4:5], v[24:25], v[6:7] op_sel_hi:[1,1,0]
	s_delay_alu instid0(VALU_DEP_1) | instskip(SKIP_4) | instid1(VALU_DEP_1)
	v_mov_b32_e32 v9, v5
	ds_load_2addr_b64 v[4:7], v182 offset0:21 offset1:22
	v_pk_add_f32 v[98:99], v[98:99], v[8:9] neg_lo:[0,1] neg_hi:[0,1]
	s_wait_dscnt 0x0
	v_pk_mul_f32 v[8:9], v[4:5], v[2:3] op_sel:[0,1]
	v_pk_fma_f32 v[10:11], v[4:5], v[0:1], v[8:9] op_sel:[0,0,1] op_sel_hi:[1,1,0] neg_lo:[0,0,1] neg_hi:[0,0,1]
	v_pk_fma_f32 v[4:5], v[4:5], v[0:1], v[8:9] op_sel:[0,0,1] op_sel_hi:[1,0,0]
	s_delay_alu instid0(VALU_DEP_1) | instskip(SKIP_1) | instid1(VALU_DEP_1)
	v_mov_b32_e32 v11, v5
	v_pk_mul_f32 v[4:5], v[6:7], v[2:3] op_sel:[0,1]
	v_pk_fma_f32 v[8:9], v[6:7], v[0:1], v[4:5] op_sel:[0,0,1] op_sel_hi:[1,1,0] neg_lo:[0,0,1] neg_hi:[0,0,1]
	v_pk_fma_f32 v[4:5], v[6:7], v[0:1], v[4:5] op_sel:[0,0,1] op_sel_hi:[1,0,0]
	s_delay_alu instid0(VALU_DEP_1)
	v_mov_b32_e32 v9, v5
	ds_load_2addr_b64 v[4:7], v182 offset0:23 offset1:24
	v_pk_add_f32 v[94:95], v[94:95], v[10:11] neg_lo:[0,1] neg_hi:[0,1]
	v_pk_add_f32 v[96:97], v[96:97], v[8:9] neg_lo:[0,1] neg_hi:[0,1]
	s_wait_dscnt 0x0
	v_pk_mul_f32 v[8:9], v[4:5], v[2:3] op_sel:[0,1]
	s_delay_alu instid0(VALU_DEP_1) | instskip(SKIP_1) | instid1(VALU_DEP_1)
	v_pk_fma_f32 v[10:11], v[4:5], v[0:1], v[8:9] op_sel:[0,0,1] op_sel_hi:[1,1,0] neg_lo:[0,0,1] neg_hi:[0,0,1]
	v_pk_fma_f32 v[4:5], v[4:5], v[0:1], v[8:9] op_sel:[0,0,1] op_sel_hi:[1,0,0]
	v_mov_b32_e32 v11, v5
	v_pk_mul_f32 v[4:5], v[6:7], v[2:3] op_sel:[0,1]
	s_delay_alu instid0(VALU_DEP_1) | instskip(SKIP_1) | instid1(VALU_DEP_1)
	v_pk_fma_f32 v[8:9], v[6:7], v[0:1], v[4:5] op_sel:[0,0,1] op_sel_hi:[1,1,0] neg_lo:[0,0,1] neg_hi:[0,0,1]
	v_pk_fma_f32 v[4:5], v[6:7], v[0:1], v[4:5] op_sel:[0,0,1] op_sel_hi:[1,0,0]
	v_mov_b32_e32 v9, v5
	ds_load_2addr_b64 v[4:7], v182 offset0:25 offset1:26
	v_pk_add_f32 v[92:93], v[92:93], v[10:11] neg_lo:[0,1] neg_hi:[0,1]
	v_pk_add_f32 v[114:115], v[114:115], v[8:9] neg_lo:[0,1] neg_hi:[0,1]
	s_wait_dscnt 0x0
	v_dual_mul_f32 v8, v5, v3 :: v_dual_mul_f32 v10, v5, v0
	s_delay_alu instid0(VALU_DEP_1) | instskip(NEXT) | instid1(VALU_DEP_2)
	v_pk_fma_f32 v[8:9], v[4:5], v[24:25], v[8:9] op_sel_hi:[1,1,0] neg_lo:[0,0,1] neg_hi:[0,0,1]
	v_pk_fma_f32 v[4:5], v[4:5], v[24:25], v[10:11] op_sel:[1,0,0] op_sel_hi:[0,1,0]
	s_delay_alu instid0(VALU_DEP_1) | instskip(SKIP_1) | instid1(VALU_DEP_2)
	v_mov_b32_e32 v9, v5
	v_pk_mul_f32 v[4:5], v[6:7], v[2:3] op_sel:[0,1]
	v_pk_add_f32 v[110:111], v[110:111], v[8:9] neg_lo:[0,1] neg_hi:[0,1]
	s_delay_alu instid0(VALU_DEP_2) | instskip(SKIP_1) | instid1(VALU_DEP_1)
	v_pk_fma_f32 v[8:9], v[6:7], v[0:1], v[4:5] op_sel:[0,0,1] op_sel_hi:[1,1,0] neg_lo:[0,0,1] neg_hi:[0,0,1]
	v_pk_fma_f32 v[4:5], v[6:7], v[0:1], v[4:5] op_sel:[0,0,1] op_sel_hi:[1,0,0]
	v_mov_b32_e32 v9, v5
	ds_load_2addr_b64 v[4:7], v182 offset0:27 offset1:28
	v_pk_add_f32 v[112:113], v[112:113], v[8:9] neg_lo:[0,1] neg_hi:[0,1]
	s_wait_dscnt 0x0
	v_pk_mul_f32 v[8:9], v[4:5], v[2:3] op_sel:[0,1]
	s_delay_alu instid0(VALU_DEP_1) | instskip(SKIP_1) | instid1(VALU_DEP_1)
	v_pk_fma_f32 v[10:11], v[4:5], v[0:1], v[8:9] op_sel:[0,0,1] op_sel_hi:[1,1,0] neg_lo:[0,0,1] neg_hi:[0,0,1]
	v_pk_fma_f32 v[4:5], v[4:5], v[0:1], v[8:9] op_sel:[0,0,1] op_sel_hi:[1,0,0]
	v_mov_b32_e32 v11, v5
	v_pk_mul_f32 v[4:5], v[6:7], v[2:3] op_sel:[0,1]
	s_delay_alu instid0(VALU_DEP_2) | instskip(NEXT) | instid1(VALU_DEP_2)
	v_pk_add_f32 v[108:109], v[108:109], v[10:11] neg_lo:[0,1] neg_hi:[0,1]
	v_pk_fma_f32 v[8:9], v[6:7], v[0:1], v[4:5] op_sel:[0,0,1] op_sel_hi:[1,1,0] neg_lo:[0,0,1] neg_hi:[0,0,1]
	v_pk_fma_f32 v[4:5], v[6:7], v[0:1], v[4:5] op_sel:[0,0,1] op_sel_hi:[1,0,0]
	s_delay_alu instid0(VALU_DEP_1) | instskip(SKIP_4) | instid1(VALU_DEP_1)
	v_mov_b32_e32 v9, v5
	ds_load_2addr_b64 v[4:7], v182 offset0:29 offset1:30
	v_pk_add_f32 v[130:131], v[130:131], v[8:9] neg_lo:[0,1] neg_hi:[0,1]
	s_wait_dscnt 0x0
	v_pk_mul_f32 v[8:9], v[4:5], v[2:3] op_sel:[0,1]
	v_pk_fma_f32 v[10:11], v[4:5], v[0:1], v[8:9] op_sel:[0,0,1] op_sel_hi:[1,1,0] neg_lo:[0,0,1] neg_hi:[0,0,1]
	v_pk_fma_f32 v[4:5], v[4:5], v[0:1], v[8:9] op_sel:[0,0,1] op_sel_hi:[1,0,0]
	v_dual_mul_f32 v8, v7, v3 :: v_dual_mov_b32 v4, v7
	s_delay_alu instid0(VALU_DEP_2) | instskip(NEXT) | instid1(VALU_DEP_2)
	v_dual_mov_b32 v11, v5 :: v_dual_mov_b32 v5, v6
	v_pk_fma_f32 v[8:9], v[6:7], v[24:25], v[8:9] op_sel_hi:[1,1,0] neg_lo:[0,0,1] neg_hi:[0,0,1]
	v_mul_f32_e32 v6, v7, v0
	s_delay_alu instid0(VALU_DEP_3) | instskip(NEXT) | instid1(VALU_DEP_2)
	v_pk_add_f32 v[126:127], v[126:127], v[10:11] neg_lo:[0,1] neg_hi:[0,1]
	v_pk_fma_f32 v[4:5], v[4:5], v[24:25], v[6:7] op_sel_hi:[1,1,0]
	s_delay_alu instid0(VALU_DEP_1) | instskip(SKIP_4) | instid1(VALU_DEP_1)
	v_mov_b32_e32 v9, v5
	ds_load_2addr_b64 v[4:7], v182 offset0:31 offset1:32
	v_pk_add_f32 v[128:129], v[128:129], v[8:9] neg_lo:[0,1] neg_hi:[0,1]
	s_wait_dscnt 0x0
	v_pk_mul_f32 v[8:9], v[4:5], v[2:3] op_sel:[0,1]
	v_pk_fma_f32 v[10:11], v[4:5], v[0:1], v[8:9] op_sel:[0,0,1] op_sel_hi:[1,1,0] neg_lo:[0,0,1] neg_hi:[0,0,1]
	v_pk_fma_f32 v[4:5], v[4:5], v[0:1], v[8:9] op_sel:[0,0,1] op_sel_hi:[1,0,0]
	s_delay_alu instid0(VALU_DEP_1) | instskip(SKIP_1) | instid1(VALU_DEP_1)
	v_mov_b32_e32 v11, v5
	v_pk_mul_f32 v[4:5], v[6:7], v[2:3] op_sel:[0,1]
	v_pk_fma_f32 v[8:9], v[6:7], v[0:1], v[4:5] op_sel:[0,0,1] op_sel_hi:[1,1,0] neg_lo:[0,0,1] neg_hi:[0,0,1]
	v_pk_fma_f32 v[4:5], v[6:7], v[0:1], v[4:5] op_sel:[0,0,1] op_sel_hi:[1,0,0]
	s_delay_alu instid0(VALU_DEP_1)
	v_mov_b32_e32 v9, v5
	ds_load_2addr_b64 v[4:7], v182 offset0:33 offset1:34
	v_pk_add_f32 v[124:125], v[124:125], v[10:11] neg_lo:[0,1] neg_hi:[0,1]
	v_pk_add_f32 v[146:147], v[146:147], v[8:9] neg_lo:[0,1] neg_hi:[0,1]
	s_wait_dscnt 0x0
	v_pk_mul_f32 v[8:9], v[4:5], v[2:3] op_sel:[0,1]
	s_delay_alu instid0(VALU_DEP_1) | instskip(SKIP_1) | instid1(VALU_DEP_1)
	v_pk_fma_f32 v[10:11], v[4:5], v[0:1], v[8:9] op_sel:[0,0,1] op_sel_hi:[1,1,0] neg_lo:[0,0,1] neg_hi:[0,0,1]
	v_pk_fma_f32 v[4:5], v[4:5], v[0:1], v[8:9] op_sel:[0,0,1] op_sel_hi:[1,0,0]
	v_mov_b32_e32 v11, v5
	v_pk_mul_f32 v[4:5], v[6:7], v[2:3] op_sel:[0,1]
	s_delay_alu instid0(VALU_DEP_1) | instskip(SKIP_1) | instid1(VALU_DEP_1)
	v_pk_fma_f32 v[8:9], v[6:7], v[0:1], v[4:5] op_sel:[0,0,1] op_sel_hi:[1,1,0] neg_lo:[0,0,1] neg_hi:[0,0,1]
	v_pk_fma_f32 v[4:5], v[6:7], v[0:1], v[4:5] op_sel:[0,0,1] op_sel_hi:[1,0,0]
	v_mov_b32_e32 v9, v5
	ds_load_2addr_b64 v[4:7], v182 offset0:35 offset1:36
	v_pk_add_f32 v[142:143], v[142:143], v[10:11] neg_lo:[0,1] neg_hi:[0,1]
	v_pk_add_f32 v[144:145], v[144:145], v[8:9] neg_lo:[0,1] neg_hi:[0,1]
	s_wait_dscnt 0x0
	v_dual_mul_f32 v8, v5, v3 :: v_dual_mul_f32 v10, v5, v0
	s_delay_alu instid0(VALU_DEP_1) | instskip(NEXT) | instid1(VALU_DEP_2)
	v_pk_fma_f32 v[8:9], v[4:5], v[24:25], v[8:9] op_sel_hi:[1,1,0] neg_lo:[0,0,1] neg_hi:[0,0,1]
	v_pk_fma_f32 v[4:5], v[4:5], v[24:25], v[10:11] op_sel:[1,0,0] op_sel_hi:[0,1,0]
	s_delay_alu instid0(VALU_DEP_1) | instskip(SKIP_1) | instid1(VALU_DEP_2)
	v_mov_b32_e32 v9, v5
	v_pk_mul_f32 v[4:5], v[6:7], v[2:3] op_sel:[0,1]
	v_pk_add_f32 v[140:141], v[140:141], v[8:9] neg_lo:[0,1] neg_hi:[0,1]
	s_delay_alu instid0(VALU_DEP_2) | instskip(SKIP_1) | instid1(VALU_DEP_1)
	v_pk_fma_f32 v[8:9], v[6:7], v[0:1], v[4:5] op_sel:[0,0,1] op_sel_hi:[1,1,0] neg_lo:[0,0,1] neg_hi:[0,0,1]
	v_pk_fma_f32 v[4:5], v[6:7], v[0:1], v[4:5] op_sel:[0,0,1] op_sel_hi:[1,0,0]
	v_mov_b32_e32 v9, v5
	ds_load_2addr_b64 v[4:7], v182 offset0:37 offset1:38
	v_pk_add_f32 v[162:163], v[162:163], v[8:9] neg_lo:[0,1] neg_hi:[0,1]
	s_wait_dscnt 0x0
	v_pk_mul_f32 v[8:9], v[4:5], v[2:3] op_sel:[0,1]
	s_delay_alu instid0(VALU_DEP_1) | instskip(SKIP_1) | instid1(VALU_DEP_1)
	v_pk_fma_f32 v[10:11], v[4:5], v[0:1], v[8:9] op_sel:[0,0,1] op_sel_hi:[1,1,0] neg_lo:[0,0,1] neg_hi:[0,0,1]
	v_pk_fma_f32 v[4:5], v[4:5], v[0:1], v[8:9] op_sel:[0,0,1] op_sel_hi:[1,0,0]
	v_mov_b32_e32 v11, v5
	v_pk_mul_f32 v[4:5], v[6:7], v[2:3] op_sel:[0,1]
	s_delay_alu instid0(VALU_DEP_2) | instskip(NEXT) | instid1(VALU_DEP_2)
	v_pk_add_f32 v[158:159], v[158:159], v[10:11] neg_lo:[0,1] neg_hi:[0,1]
	v_pk_fma_f32 v[8:9], v[6:7], v[0:1], v[4:5] op_sel:[0,0,1] op_sel_hi:[1,1,0] neg_lo:[0,0,1] neg_hi:[0,0,1]
	v_pk_fma_f32 v[4:5], v[6:7], v[0:1], v[4:5] op_sel:[0,0,1] op_sel_hi:[1,0,0]
	s_delay_alu instid0(VALU_DEP_1) | instskip(SKIP_4) | instid1(VALU_DEP_1)
	v_mov_b32_e32 v9, v5
	ds_load_2addr_b64 v[4:7], v182 offset0:39 offset1:40
	v_pk_add_f32 v[160:161], v[160:161], v[8:9] neg_lo:[0,1] neg_hi:[0,1]
	s_wait_dscnt 0x0
	v_pk_mul_f32 v[8:9], v[4:5], v[2:3] op_sel:[0,1]
	v_pk_fma_f32 v[10:11], v[4:5], v[0:1], v[8:9] op_sel:[0,0,1] op_sel_hi:[1,1,0] neg_lo:[0,0,1] neg_hi:[0,0,1]
	v_pk_fma_f32 v[4:5], v[4:5], v[0:1], v[8:9] op_sel:[0,0,1] op_sel_hi:[1,0,0]
	v_dual_mul_f32 v8, v7, v3 :: v_dual_mov_b32 v4, v7
	s_delay_alu instid0(VALU_DEP_2) | instskip(NEXT) | instid1(VALU_DEP_2)
	v_dual_mov_b32 v11, v5 :: v_dual_mov_b32 v5, v6
	v_pk_fma_f32 v[8:9], v[6:7], v[24:25], v[8:9] op_sel_hi:[1,1,0] neg_lo:[0,0,1] neg_hi:[0,0,1]
	v_mul_f32_e32 v6, v7, v0
	s_delay_alu instid0(VALU_DEP_3) | instskip(NEXT) | instid1(VALU_DEP_2)
	v_pk_add_f32 v[156:157], v[156:157], v[10:11] neg_lo:[0,1] neg_hi:[0,1]
	v_pk_fma_f32 v[4:5], v[4:5], v[24:25], v[6:7] op_sel_hi:[1,1,0]
	s_delay_alu instid0(VALU_DEP_1) | instskip(SKIP_4) | instid1(VALU_DEP_1)
	v_mov_b32_e32 v9, v5
	ds_load_2addr_b64 v[4:7], v182 offset0:41 offset1:42
	v_pk_add_f32 v[178:179], v[178:179], v[8:9] neg_lo:[0,1] neg_hi:[0,1]
	s_wait_dscnt 0x0
	v_pk_mul_f32 v[8:9], v[4:5], v[2:3] op_sel:[0,1]
	v_pk_fma_f32 v[10:11], v[4:5], v[0:1], v[8:9] op_sel:[0,0,1] op_sel_hi:[1,1,0] neg_lo:[0,0,1] neg_hi:[0,0,1]
	v_pk_fma_f32 v[4:5], v[4:5], v[0:1], v[8:9] op_sel:[0,0,1] op_sel_hi:[1,0,0]
	s_delay_alu instid0(VALU_DEP_1) | instskip(SKIP_1) | instid1(VALU_DEP_1)
	v_mov_b32_e32 v11, v5
	v_pk_mul_f32 v[4:5], v[6:7], v[2:3] op_sel:[0,1]
	v_pk_fma_f32 v[8:9], v[6:7], v[0:1], v[4:5] op_sel:[0,0,1] op_sel_hi:[1,1,0] neg_lo:[0,0,1] neg_hi:[0,0,1]
	v_pk_fma_f32 v[4:5], v[6:7], v[0:1], v[4:5] op_sel:[0,0,1] op_sel_hi:[1,0,0]
	s_delay_alu instid0(VALU_DEP_1)
	v_mov_b32_e32 v9, v5
	ds_load_2addr_b64 v[4:7], v182 offset0:43 offset1:44
	v_pk_add_f32 v[174:175], v[174:175], v[10:11] neg_lo:[0,1] neg_hi:[0,1]
	v_pk_add_f32 v[176:177], v[176:177], v[8:9] neg_lo:[0,1] neg_hi:[0,1]
	s_wait_dscnt 0x0
	v_pk_mul_f32 v[8:9], v[4:5], v[2:3] op_sel:[0,1]
	s_delay_alu instid0(VALU_DEP_1) | instskip(SKIP_1) | instid1(VALU_DEP_1)
	v_pk_fma_f32 v[10:11], v[4:5], v[0:1], v[8:9] op_sel:[0,0,1] op_sel_hi:[1,1,0] neg_lo:[0,0,1] neg_hi:[0,0,1]
	v_pk_fma_f32 v[4:5], v[4:5], v[0:1], v[8:9] op_sel:[0,0,1] op_sel_hi:[1,0,0]
	v_mov_b32_e32 v11, v5
	v_pk_mul_f32 v[4:5], v[6:7], v[2:3] op_sel:[0,1]
	s_delay_alu instid0(VALU_DEP_1) | instskip(SKIP_1) | instid1(VALU_DEP_1)
	v_pk_fma_f32 v[8:9], v[6:7], v[0:1], v[4:5] op_sel:[0,0,1] op_sel_hi:[1,1,0] neg_lo:[0,0,1] neg_hi:[0,0,1]
	v_pk_fma_f32 v[4:5], v[6:7], v[0:1], v[4:5] op_sel:[0,0,1] op_sel_hi:[1,0,0]
	v_mov_b32_e32 v9, v5
	ds_load_2addr_b64 v[4:7], v182 offset0:45 offset1:46
	v_pk_add_f32 v[172:173], v[172:173], v[10:11] neg_lo:[0,1] neg_hi:[0,1]
	v_pk_add_f32 v[200:201], v[200:201], v[8:9] neg_lo:[0,1] neg_hi:[0,1]
	s_wait_dscnt 0x0
	v_dual_mul_f32 v8, v5, v3 :: v_dual_mul_f32 v10, v5, v0
	s_delay_alu instid0(VALU_DEP_1) | instskip(NEXT) | instid1(VALU_DEP_2)
	v_pk_fma_f32 v[8:9], v[4:5], v[24:25], v[8:9] op_sel_hi:[1,1,0] neg_lo:[0,0,1] neg_hi:[0,0,1]
	v_pk_fma_f32 v[4:5], v[4:5], v[24:25], v[10:11] op_sel:[1,0,0] op_sel_hi:[0,1,0]
	s_delay_alu instid0(VALU_DEP_1) | instskip(SKIP_1) | instid1(VALU_DEP_2)
	v_mov_b32_e32 v9, v5
	v_pk_mul_f32 v[4:5], v[6:7], v[2:3] op_sel:[0,1]
	v_pk_add_f32 v[196:197], v[196:197], v[8:9] neg_lo:[0,1] neg_hi:[0,1]
	s_delay_alu instid0(VALU_DEP_2) | instskip(SKIP_1) | instid1(VALU_DEP_1)
	v_pk_fma_f32 v[8:9], v[6:7], v[0:1], v[4:5] op_sel:[0,0,1] op_sel_hi:[1,1,0] neg_lo:[0,0,1] neg_hi:[0,0,1]
	v_pk_fma_f32 v[4:5], v[6:7], v[0:1], v[4:5] op_sel:[0,0,1] op_sel_hi:[1,0,0]
	v_mov_b32_e32 v9, v5
	ds_load_2addr_b64 v[4:7], v182 offset0:47 offset1:48
	v_pk_add_f32 v[198:199], v[198:199], v[8:9] neg_lo:[0,1] neg_hi:[0,1]
	s_wait_dscnt 0x0
	v_pk_mul_f32 v[8:9], v[4:5], v[2:3] op_sel:[0,1]
	s_delay_alu instid0(VALU_DEP_1) | instskip(SKIP_1) | instid1(VALU_DEP_1)
	v_pk_fma_f32 v[10:11], v[4:5], v[0:1], v[8:9] op_sel:[0,0,1] op_sel_hi:[1,1,0] neg_lo:[0,0,1] neg_hi:[0,0,1]
	v_pk_fma_f32 v[4:5], v[4:5], v[0:1], v[8:9] op_sel:[0,0,1] op_sel_hi:[1,0,0]
	v_mov_b32_e32 v11, v5
	v_pk_mul_f32 v[4:5], v[6:7], v[2:3] op_sel:[0,1]
	s_delay_alu instid0(VALU_DEP_2) | instskip(NEXT) | instid1(VALU_DEP_2)
	v_pk_add_f32 v[194:195], v[194:195], v[10:11] neg_lo:[0,1] neg_hi:[0,1]
	v_pk_fma_f32 v[8:9], v[6:7], v[0:1], v[4:5] op_sel:[0,0,1] op_sel_hi:[1,1,0] neg_lo:[0,0,1] neg_hi:[0,0,1]
	v_pk_fma_f32 v[4:5], v[6:7], v[0:1], v[4:5] op_sel:[0,0,1] op_sel_hi:[1,0,0]
	s_delay_alu instid0(VALU_DEP_1) | instskip(SKIP_4) | instid1(VALU_DEP_1)
	v_mov_b32_e32 v9, v5
	ds_load_2addr_b64 v[4:7], v182 offset0:49 offset1:50
	v_pk_add_f32 v[224:225], v[224:225], v[8:9] neg_lo:[0,1] neg_hi:[0,1]
	s_wait_dscnt 0x0
	v_pk_mul_f32 v[8:9], v[4:5], v[2:3] op_sel:[0,1]
	v_pk_fma_f32 v[10:11], v[4:5], v[0:1], v[8:9] op_sel:[0,0,1] op_sel_hi:[1,1,0] neg_lo:[0,0,1] neg_hi:[0,0,1]
	v_pk_fma_f32 v[4:5], v[4:5], v[0:1], v[8:9] op_sel:[0,0,1] op_sel_hi:[1,0,0]
	v_dual_mul_f32 v8, v7, v3 :: v_dual_mov_b32 v4, v7
	s_delay_alu instid0(VALU_DEP_2) | instskip(NEXT) | instid1(VALU_DEP_2)
	v_dual_mov_b32 v11, v5 :: v_dual_mov_b32 v5, v6
	v_pk_fma_f32 v[8:9], v[6:7], v[24:25], v[8:9] op_sel_hi:[1,1,0] neg_lo:[0,0,1] neg_hi:[0,0,1]
	v_mul_f32_e32 v6, v7, v0
	s_delay_alu instid0(VALU_DEP_3) | instskip(NEXT) | instid1(VALU_DEP_2)
	v_pk_add_f32 v[216:217], v[216:217], v[10:11] neg_lo:[0,1] neg_hi:[0,1]
	v_pk_fma_f32 v[4:5], v[4:5], v[24:25], v[6:7] op_sel_hi:[1,1,0]
	s_delay_alu instid0(VALU_DEP_1) | instskip(SKIP_4) | instid1(VALU_DEP_1)
	v_mov_b32_e32 v9, v5
	ds_load_2addr_b64 v[4:7], v182 offset0:51 offset1:52
	v_pk_add_f32 v[222:223], v[222:223], v[8:9] neg_lo:[0,1] neg_hi:[0,1]
	s_wait_dscnt 0x0
	v_pk_mul_f32 v[8:9], v[4:5], v[2:3] op_sel:[0,1]
	v_pk_fma_f32 v[10:11], v[4:5], v[0:1], v[8:9] op_sel:[0,0,1] op_sel_hi:[1,1,0] neg_lo:[0,0,1] neg_hi:[0,0,1]
	v_pk_fma_f32 v[4:5], v[4:5], v[0:1], v[8:9] op_sel:[0,0,1] op_sel_hi:[1,0,0]
	s_delay_alu instid0(VALU_DEP_1) | instskip(SKIP_1) | instid1(VALU_DEP_1)
	v_mov_b32_e32 v11, v5
	v_pk_mul_f32 v[4:5], v[6:7], v[2:3] op_sel:[0,1]
	v_pk_fma_f32 v[8:9], v[6:7], v[0:1], v[4:5] op_sel:[0,0,1] op_sel_hi:[1,1,0] neg_lo:[0,0,1] neg_hi:[0,0,1]
	v_pk_fma_f32 v[4:5], v[6:7], v[0:1], v[4:5] op_sel:[0,0,1] op_sel_hi:[1,0,0]
	s_delay_alu instid0(VALU_DEP_1)
	v_mov_b32_e32 v9, v5
	ds_load_2addr_b64 v[4:7], v182 offset0:53 offset1:54
	v_pk_add_f32 v[214:215], v[214:215], v[10:11] neg_lo:[0,1] neg_hi:[0,1]
	v_pk_add_f32 v[220:221], v[220:221], v[8:9] neg_lo:[0,1] neg_hi:[0,1]
	s_wait_dscnt 0x0
	v_pk_mul_f32 v[8:9], v[4:5], v[2:3] op_sel:[0,1]
	s_delay_alu instid0(VALU_DEP_1) | instskip(SKIP_1) | instid1(VALU_DEP_1)
	v_pk_fma_f32 v[10:11], v[4:5], v[0:1], v[8:9] op_sel:[0,0,1] op_sel_hi:[1,1,0] neg_lo:[0,0,1] neg_hi:[0,0,1]
	v_pk_fma_f32 v[4:5], v[4:5], v[0:1], v[8:9] op_sel:[0,0,1] op_sel_hi:[1,0,0]
	v_mov_b32_e32 v11, v5
	v_pk_mul_f32 v[4:5], v[6:7], v[2:3] op_sel:[0,1]
	s_delay_alu instid0(VALU_DEP_1) | instskip(SKIP_1) | instid1(VALU_DEP_1)
	v_pk_fma_f32 v[8:9], v[6:7], v[0:1], v[4:5] op_sel:[0,0,1] op_sel_hi:[1,1,0] neg_lo:[0,0,1] neg_hi:[0,0,1]
	v_pk_fma_f32 v[4:5], v[6:7], v[0:1], v[4:5] op_sel:[0,0,1] op_sel_hi:[1,0,0]
	v_mov_b32_e32 v9, v5
	ds_load_2addr_b64 v[4:7], v182 offset0:55 offset1:56
	v_pk_add_f32 v[212:213], v[212:213], v[10:11] neg_lo:[0,1] neg_hi:[0,1]
	v_pk_add_f32 v[218:219], v[218:219], v[8:9] neg_lo:[0,1] neg_hi:[0,1]
	s_wait_dscnt 0x0
	v_dual_mul_f32 v8, v5, v3 :: v_dual_mul_f32 v10, v5, v0
	v_pk_mul_f32 v[2:3], v[6:7], v[2:3] op_sel:[0,1]
	s_delay_alu instid0(VALU_DEP_2) | instskip(NEXT) | instid1(VALU_DEP_3)
	v_pk_fma_f32 v[8:9], v[4:5], v[24:25], v[8:9] op_sel_hi:[1,1,0] neg_lo:[0,0,1] neg_hi:[0,0,1]
	v_pk_fma_f32 v[4:5], v[4:5], v[24:25], v[10:11] op_sel:[1,0,0] op_sel_hi:[0,1,0]
	s_delay_alu instid0(VALU_DEP_1) | instskip(NEXT) | instid1(VALU_DEP_4)
	v_mov_b32_e32 v9, v5
	v_pk_fma_f32 v[4:5], v[6:7], v[0:1], v[2:3] op_sel:[0,0,1] op_sel_hi:[1,1,0] neg_lo:[0,0,1] neg_hi:[0,0,1]
	v_pk_fma_f32 v[0:1], v[6:7], v[0:1], v[2:3] op_sel:[0,0,1] op_sel_hi:[1,0,0]
	s_delay_alu instid0(VALU_DEP_1) | instskip(NEXT) | instid1(VALU_DEP_4)
	v_mov_b32_e32 v5, v1
	v_pk_add_f32 v[226:227], v[226:227], v[8:9] neg_lo:[0,1] neg_hi:[0,1]
	s_delay_alu instid0(VALU_DEP_2)
	v_pk_add_f32 v[228:229], v[228:229], v[4:5] neg_lo:[0,1] neg_hi:[0,1]
.LBB113_64:
	s_wait_xcnt 0x0
	s_or_b32 exec_lo, exec_lo, s1
	s_delay_alu instid0(SALU_CYCLE_1)
	s_mov_b32 s2, exec_lo
	s_wait_storecnt 0x0
	s_barrier_signal -1
	s_barrier_wait -1
	v_cmpx_eq_u32_e32 7, v180
	s_cbranch_execz .LBB113_71
; %bb.65:
	v_dual_mov_b32 v0, v40 :: v_dual_mov_b32 v1, v41
	v_dual_mov_b32 v2, v36 :: v_dual_mov_b32 v3, v37
	ds_store_b64 v181, v[20:21]
	ds_store_2addr_b64 v182, v[0:1], v[2:3] offset0:8 offset1:9
	v_dual_mov_b32 v0, v38 :: v_dual_mov_b32 v1, v39
	v_dual_mov_b32 v2, v34 :: v_dual_mov_b32 v3, v35
	ds_store_2addr_b64 v182, v[0:1], v[2:3] offset0:10 offset1:11
	v_dual_mov_b32 v0, v64 :: v_dual_mov_b32 v1, v65
	v_dual_mov_b32 v2, v60 :: v_dual_mov_b32 v3, v61
	;; [unrolled: 3-line block ×23, first 2 shown]
	ds_store_2addr_b64 v182, v[0:1], v[2:3] offset0:54 offset1:55
	ds_store_b64 v182, v[228:229] offset:448
	ds_load_b64 v[0:1], v181
	s_wait_dscnt 0x0
	v_cmp_neq_f32_e32 vcc_lo, 0, v0
	v_cmp_neq_f32_e64 s1, 0, v1
	s_or_b32 s1, vcc_lo, s1
	s_delay_alu instid0(SALU_CYCLE_1)
	s_and_b32 exec_lo, exec_lo, s1
	s_cbranch_execz .LBB113_71
; %bb.66:
	v_cmp_ngt_f32_e64 s1, |v0|, |v1|
                                        ; implicit-def: $vgpr2_vgpr3
	s_and_saveexec_b32 s4, s1
	s_delay_alu instid0(SALU_CYCLE_1)
	s_xor_b32 s1, exec_lo, s4
	s_cbranch_execz .LBB113_68
; %bb.67:
	v_div_scale_f32 v2, null, v1, v1, v0
	v_div_scale_f32 v5, vcc_lo, v0, v1, v0
	s_delay_alu instid0(VALU_DEP_2) | instskip(SKIP_1) | instid1(TRANS32_DEP_1)
	v_rcp_f32_e32 v3, v2
	v_nop
	v_fma_f32 v4, -v2, v3, 1.0
	s_delay_alu instid0(VALU_DEP_1) | instskip(NEXT) | instid1(VALU_DEP_1)
	v_fmac_f32_e32 v3, v4, v3
	v_mul_f32_e32 v4, v5, v3
	s_delay_alu instid0(VALU_DEP_1) | instskip(NEXT) | instid1(VALU_DEP_1)
	v_fma_f32 v6, -v2, v4, v5
	v_fmac_f32_e32 v4, v6, v3
	s_delay_alu instid0(VALU_DEP_1) | instskip(NEXT) | instid1(VALU_DEP_1)
	v_fma_f32 v2, -v2, v4, v5
	v_div_fmas_f32 v2, v2, v3, v4
	s_delay_alu instid0(VALU_DEP_1) | instskip(NEXT) | instid1(VALU_DEP_1)
	v_div_fixup_f32 v2, v2, v1, v0
	v_fmac_f32_e32 v1, v0, v2
	s_delay_alu instid0(VALU_DEP_1) | instskip(SKIP_1) | instid1(VALU_DEP_2)
	v_div_scale_f32 v0, null, v1, v1, 1.0
	v_div_scale_f32 v5, vcc_lo, 1.0, v1, 1.0
	v_rcp_f32_e32 v3, v0
	v_nop
	s_delay_alu instid0(TRANS32_DEP_1) | instskip(NEXT) | instid1(VALU_DEP_1)
	v_fma_f32 v4, -v0, v3, 1.0
	v_fmac_f32_e32 v3, v4, v3
	s_delay_alu instid0(VALU_DEP_1) | instskip(NEXT) | instid1(VALU_DEP_1)
	v_mul_f32_e32 v4, v5, v3
	v_fma_f32 v6, -v0, v4, v5
	s_delay_alu instid0(VALU_DEP_1) | instskip(NEXT) | instid1(VALU_DEP_1)
	v_fmac_f32_e32 v4, v6, v3
	v_fma_f32 v0, -v0, v4, v5
	s_delay_alu instid0(VALU_DEP_1) | instskip(NEXT) | instid1(VALU_DEP_1)
	v_div_fmas_f32 v0, v0, v3, v4
	v_div_fixup_f32 v0, v0, v1, 1.0
	s_delay_alu instid0(VALU_DEP_1)
	v_mul_f32_e32 v2, v2, v0
	v_xor_b32_e32 v3, 0x80000000, v0
                                        ; implicit-def: $vgpr0_vgpr1
.LBB113_68:
	s_and_not1_saveexec_b32 s1, s1
	s_cbranch_execz .LBB113_70
; %bb.69:
	v_div_scale_f32 v2, null, v0, v0, v1
	v_div_scale_f32 v5, vcc_lo, v1, v0, v1
	s_delay_alu instid0(VALU_DEP_2) | instskip(SKIP_1) | instid1(TRANS32_DEP_1)
	v_rcp_f32_e32 v3, v2
	v_nop
	v_fma_f32 v4, -v2, v3, 1.0
	s_delay_alu instid0(VALU_DEP_1) | instskip(NEXT) | instid1(VALU_DEP_1)
	v_fmac_f32_e32 v3, v4, v3
	v_mul_f32_e32 v4, v5, v3
	s_delay_alu instid0(VALU_DEP_1) | instskip(NEXT) | instid1(VALU_DEP_1)
	v_fma_f32 v6, -v2, v4, v5
	v_fmac_f32_e32 v4, v6, v3
	s_delay_alu instid0(VALU_DEP_1) | instskip(NEXT) | instid1(VALU_DEP_1)
	v_fma_f32 v2, -v2, v4, v5
	v_div_fmas_f32 v2, v2, v3, v4
	s_delay_alu instid0(VALU_DEP_1) | instskip(NEXT) | instid1(VALU_DEP_1)
	v_div_fixup_f32 v3, v2, v0, v1
	v_fmac_f32_e32 v0, v1, v3
	s_delay_alu instid0(VALU_DEP_1) | instskip(NEXT) | instid1(VALU_DEP_1)
	v_div_scale_f32 v1, null, v0, v0, 1.0
	v_rcp_f32_e32 v2, v1
	v_nop
	s_delay_alu instid0(TRANS32_DEP_1) | instskip(NEXT) | instid1(VALU_DEP_1)
	v_fma_f32 v4, -v1, v2, 1.0
	v_fmac_f32_e32 v2, v4, v2
	v_div_scale_f32 v4, vcc_lo, 1.0, v0, 1.0
	s_delay_alu instid0(VALU_DEP_1) | instskip(NEXT) | instid1(VALU_DEP_1)
	v_mul_f32_e32 v5, v4, v2
	v_fma_f32 v6, -v1, v5, v4
	s_delay_alu instid0(VALU_DEP_1) | instskip(NEXT) | instid1(VALU_DEP_1)
	v_fmac_f32_e32 v5, v6, v2
	v_fma_f32 v1, -v1, v5, v4
	s_delay_alu instid0(VALU_DEP_1) | instskip(NEXT) | instid1(VALU_DEP_1)
	v_div_fmas_f32 v1, v1, v2, v5
	v_div_fixup_f32 v2, v1, v0, 1.0
	s_delay_alu instid0(VALU_DEP_1)
	v_mul_f32_e64 v3, v3, -v2
.LBB113_70:
	s_or_b32 exec_lo, exec_lo, s1
	ds_store_b64 v181, v[2:3]
.LBB113_71:
	s_or_b32 exec_lo, exec_lo, s2
	s_wait_dscnt 0x0
	s_barrier_signal -1
	s_barrier_wait -1
	ds_load_b64 v[0:1], v181
	s_mov_b32 s1, exec_lo
	s_wait_dscnt 0x0
	scratch_store_b64 off, v[0:1], off offset:344 ; 8-byte Folded Spill
	s_wait_xcnt 0x0
	v_cmpx_lt_u32_e32 7, v180
	s_cbranch_execz .LBB113_73
; %bb.72:
	scratch_load_b64 v[4:5], off, off offset:344 ; 8-byte Folded Reload
	s_wait_loadcnt 0x0
	v_pk_mul_f32 v[2:3], v[4:5], v[20:21] op_sel:[1,1] op_sel_hi:[0,1]
	s_delay_alu instid0(VALU_DEP_1)
	v_pk_fma_f32 v[0:1], v[4:5], v[20:21], v[2:3] op_sel_hi:[1,0,1] neg_lo:[0,0,1] neg_hi:[0,0,1]
	v_pk_fma_f32 v[2:3], v[4:5], v[20:21], v[2:3] op_sel_hi:[1,0,1]
	ds_load_2addr_b64 v[4:7], v182 offset0:8 offset1:9
	v_dual_mov_b32 v20, v0 :: v_dual_mov_b32 v21, v3
	s_wait_dscnt 0x0
	v_pk_mul_f32 v[8:9], v[4:5], v[2:3] op_sel:[0,1]
	s_delay_alu instid0(VALU_DEP_1) | instskip(SKIP_1) | instid1(VALU_DEP_1)
	v_pk_fma_f32 v[10:11], v[4:5], v[0:1], v[8:9] op_sel:[0,0,1] op_sel_hi:[1,1,0] neg_lo:[0,0,1] neg_hi:[0,0,1]
	v_pk_fma_f32 v[4:5], v[4:5], v[0:1], v[8:9] op_sel:[0,0,1] op_sel_hi:[1,0,0]
	v_mov_b32_e32 v11, v5
	v_pk_mul_f32 v[4:5], v[6:7], v[2:3] op_sel:[0,1]
	s_delay_alu instid0(VALU_DEP_1) | instskip(SKIP_1) | instid1(VALU_DEP_1)
	v_pk_fma_f32 v[8:9], v[6:7], v[0:1], v[4:5] op_sel:[0,0,1] op_sel_hi:[1,1,0] neg_lo:[0,0,1] neg_hi:[0,0,1]
	v_pk_fma_f32 v[4:5], v[6:7], v[0:1], v[4:5] op_sel:[0,0,1] op_sel_hi:[1,0,0]
	v_mov_b32_e32 v9, v5
	ds_load_2addr_b64 v[4:7], v182 offset0:10 offset1:11
	v_pk_add_f32 v[40:41], v[40:41], v[10:11] neg_lo:[0,1] neg_hi:[0,1]
	v_pk_add_f32 v[36:37], v[36:37], v[8:9] neg_lo:[0,1] neg_hi:[0,1]
	s_wait_dscnt 0x0
	v_pk_mul_f32 v[8:9], v[4:5], v[2:3] op_sel:[0,1]
	s_delay_alu instid0(VALU_DEP_1) | instskip(SKIP_2) | instid1(VALU_DEP_2)
	v_pk_fma_f32 v[10:11], v[4:5], v[0:1], v[8:9] op_sel:[0,0,1] op_sel_hi:[1,1,0] neg_lo:[0,0,1] neg_hi:[0,0,1]
	v_pk_fma_f32 v[4:5], v[4:5], v[0:1], v[8:9] op_sel:[0,0,1] op_sel_hi:[1,0,0]
	v_dual_mul_f32 v8, v7, v3 :: v_dual_mov_b32 v4, v7
	v_dual_mov_b32 v11, v5 :: v_dual_mov_b32 v5, v6
	s_delay_alu instid0(VALU_DEP_2) | instskip(SKIP_1) | instid1(VALU_DEP_3)
	v_pk_fma_f32 v[8:9], v[6:7], v[20:21], v[8:9] op_sel_hi:[1,1,0] neg_lo:[0,0,1] neg_hi:[0,0,1]
	v_mul_f32_e32 v6, v7, v0
	v_pk_add_f32 v[38:39], v[38:39], v[10:11] neg_lo:[0,1] neg_hi:[0,1]
	s_delay_alu instid0(VALU_DEP_2) | instskip(NEXT) | instid1(VALU_DEP_1)
	v_pk_fma_f32 v[4:5], v[4:5], v[20:21], v[6:7] op_sel_hi:[1,1,0]
	v_mov_b32_e32 v9, v5
	ds_load_2addr_b64 v[4:7], v182 offset0:12 offset1:13
	v_pk_add_f32 v[34:35], v[34:35], v[8:9] neg_lo:[0,1] neg_hi:[0,1]
	s_wait_dscnt 0x0
	v_pk_mul_f32 v[8:9], v[4:5], v[2:3] op_sel:[0,1]
	s_delay_alu instid0(VALU_DEP_1) | instskip(SKIP_1) | instid1(VALU_DEP_1)
	v_pk_fma_f32 v[10:11], v[4:5], v[0:1], v[8:9] op_sel:[0,0,1] op_sel_hi:[1,1,0] neg_lo:[0,0,1] neg_hi:[0,0,1]
	v_pk_fma_f32 v[4:5], v[4:5], v[0:1], v[8:9] op_sel:[0,0,1] op_sel_hi:[1,0,0]
	v_mov_b32_e32 v11, v5
	v_pk_mul_f32 v[4:5], v[6:7], v[2:3] op_sel:[0,1]
	s_delay_alu instid0(VALU_DEP_1) | instskip(SKIP_1) | instid1(VALU_DEP_1)
	v_pk_fma_f32 v[8:9], v[6:7], v[0:1], v[4:5] op_sel:[0,0,1] op_sel_hi:[1,1,0] neg_lo:[0,0,1] neg_hi:[0,0,1]
	v_pk_fma_f32 v[4:5], v[6:7], v[0:1], v[4:5] op_sel:[0,0,1] op_sel_hi:[1,0,0]
	v_mov_b32_e32 v9, v5
	ds_load_2addr_b64 v[4:7], v182 offset0:14 offset1:15
	v_pk_add_f32 v[64:65], v[64:65], v[10:11] neg_lo:[0,1] neg_hi:[0,1]
	v_pk_add_f32 v[60:61], v[60:61], v[8:9] neg_lo:[0,1] neg_hi:[0,1]
	s_wait_dscnt 0x0
	v_pk_mul_f32 v[8:9], v[4:5], v[2:3] op_sel:[0,1]
	s_delay_alu instid0(VALU_DEP_1) | instskip(SKIP_1) | instid1(VALU_DEP_1)
	v_pk_fma_f32 v[10:11], v[4:5], v[0:1], v[8:9] op_sel:[0,0,1] op_sel_hi:[1,1,0] neg_lo:[0,0,1] neg_hi:[0,0,1]
	v_pk_fma_f32 v[4:5], v[4:5], v[0:1], v[8:9] op_sel:[0,0,1] op_sel_hi:[1,0,0]
	v_mov_b32_e32 v11, v5
	v_pk_mul_f32 v[4:5], v[6:7], v[2:3] op_sel:[0,1]
	s_delay_alu instid0(VALU_DEP_1) | instskip(SKIP_1) | instid1(VALU_DEP_1)
	v_pk_fma_f32 v[8:9], v[6:7], v[0:1], v[4:5] op_sel:[0,0,1] op_sel_hi:[1,1,0] neg_lo:[0,0,1] neg_hi:[0,0,1]
	v_pk_fma_f32 v[4:5], v[6:7], v[0:1], v[4:5] op_sel:[0,0,1] op_sel_hi:[1,0,0]
	v_mov_b32_e32 v9, v5
	ds_load_2addr_b64 v[4:7], v182 offset0:16 offset1:17
	v_pk_add_f32 v[62:63], v[62:63], v[10:11] neg_lo:[0,1] neg_hi:[0,1]
	v_pk_add_f32 v[58:59], v[58:59], v[8:9] neg_lo:[0,1] neg_hi:[0,1]
	s_wait_dscnt 0x0
	v_dual_mul_f32 v8, v5, v3 :: v_dual_mul_f32 v10, v5, v0
	s_delay_alu instid0(VALU_DEP_1) | instskip(NEXT) | instid1(VALU_DEP_2)
	v_pk_fma_f32 v[8:9], v[4:5], v[20:21], v[8:9] op_sel_hi:[1,1,0] neg_lo:[0,0,1] neg_hi:[0,0,1]
	v_pk_fma_f32 v[4:5], v[4:5], v[20:21], v[10:11] op_sel:[1,0,0] op_sel_hi:[0,1,0]
	s_delay_alu instid0(VALU_DEP_1) | instskip(SKIP_1) | instid1(VALU_DEP_2)
	v_mov_b32_e32 v9, v5
	v_pk_mul_f32 v[4:5], v[6:7], v[2:3] op_sel:[0,1]
	v_pk_add_f32 v[80:81], v[80:81], v[8:9] neg_lo:[0,1] neg_hi:[0,1]
	s_delay_alu instid0(VALU_DEP_2) | instskip(SKIP_1) | instid1(VALU_DEP_1)
	v_pk_fma_f32 v[8:9], v[6:7], v[0:1], v[4:5] op_sel:[0,0,1] op_sel_hi:[1,1,0] neg_lo:[0,0,1] neg_hi:[0,0,1]
	v_pk_fma_f32 v[4:5], v[6:7], v[0:1], v[4:5] op_sel:[0,0,1] op_sel_hi:[1,0,0]
	v_mov_b32_e32 v9, v5
	ds_load_2addr_b64 v[4:7], v182 offset0:18 offset1:19
	v_pk_add_f32 v[76:77], v[76:77], v[8:9] neg_lo:[0,1] neg_hi:[0,1]
	s_wait_dscnt 0x0
	v_pk_mul_f32 v[8:9], v[4:5], v[2:3] op_sel:[0,1]
	s_delay_alu instid0(VALU_DEP_1) | instskip(SKIP_1) | instid1(VALU_DEP_1)
	v_pk_fma_f32 v[10:11], v[4:5], v[0:1], v[8:9] op_sel:[0,0,1] op_sel_hi:[1,1,0] neg_lo:[0,0,1] neg_hi:[0,0,1]
	v_pk_fma_f32 v[4:5], v[4:5], v[0:1], v[8:9] op_sel:[0,0,1] op_sel_hi:[1,0,0]
	v_mov_b32_e32 v11, v5
	v_pk_mul_f32 v[4:5], v[6:7], v[2:3] op_sel:[0,1]
	s_delay_alu instid0(VALU_DEP_2) | instskip(NEXT) | instid1(VALU_DEP_2)
	v_pk_add_f32 v[78:79], v[78:79], v[10:11] neg_lo:[0,1] neg_hi:[0,1]
	v_pk_fma_f32 v[8:9], v[6:7], v[0:1], v[4:5] op_sel:[0,0,1] op_sel_hi:[1,1,0] neg_lo:[0,0,1] neg_hi:[0,0,1]
	v_pk_fma_f32 v[4:5], v[6:7], v[0:1], v[4:5] op_sel:[0,0,1] op_sel_hi:[1,0,0]
	s_delay_alu instid0(VALU_DEP_1) | instskip(SKIP_4) | instid1(VALU_DEP_1)
	v_mov_b32_e32 v9, v5
	ds_load_2addr_b64 v[4:7], v182 offset0:20 offset1:21
	v_pk_add_f32 v[74:75], v[74:75], v[8:9] neg_lo:[0,1] neg_hi:[0,1]
	s_wait_dscnt 0x0
	v_pk_mul_f32 v[8:9], v[4:5], v[2:3] op_sel:[0,1]
	v_pk_fma_f32 v[10:11], v[4:5], v[0:1], v[8:9] op_sel:[0,0,1] op_sel_hi:[1,1,0] neg_lo:[0,0,1] neg_hi:[0,0,1]
	v_pk_fma_f32 v[4:5], v[4:5], v[0:1], v[8:9] op_sel:[0,0,1] op_sel_hi:[1,0,0]
	v_dual_mul_f32 v8, v7, v3 :: v_dual_mov_b32 v4, v7
	s_delay_alu instid0(VALU_DEP_2) | instskip(NEXT) | instid1(VALU_DEP_2)
	v_dual_mov_b32 v11, v5 :: v_dual_mov_b32 v5, v6
	v_pk_fma_f32 v[8:9], v[6:7], v[20:21], v[8:9] op_sel_hi:[1,1,0] neg_lo:[0,0,1] neg_hi:[0,0,1]
	v_mul_f32_e32 v6, v7, v0
	s_delay_alu instid0(VALU_DEP_3) | instskip(NEXT) | instid1(VALU_DEP_2)
	v_pk_add_f32 v[98:99], v[98:99], v[10:11] neg_lo:[0,1] neg_hi:[0,1]
	v_pk_fma_f32 v[4:5], v[4:5], v[20:21], v[6:7] op_sel_hi:[1,1,0]
	s_delay_alu instid0(VALU_DEP_1) | instskip(SKIP_4) | instid1(VALU_DEP_1)
	v_mov_b32_e32 v9, v5
	ds_load_2addr_b64 v[4:7], v182 offset0:22 offset1:23
	v_pk_add_f32 v[94:95], v[94:95], v[8:9] neg_lo:[0,1] neg_hi:[0,1]
	s_wait_dscnt 0x0
	v_pk_mul_f32 v[8:9], v[4:5], v[2:3] op_sel:[0,1]
	v_pk_fma_f32 v[10:11], v[4:5], v[0:1], v[8:9] op_sel:[0,0,1] op_sel_hi:[1,1,0] neg_lo:[0,0,1] neg_hi:[0,0,1]
	v_pk_fma_f32 v[4:5], v[4:5], v[0:1], v[8:9] op_sel:[0,0,1] op_sel_hi:[1,0,0]
	s_delay_alu instid0(VALU_DEP_1) | instskip(SKIP_1) | instid1(VALU_DEP_1)
	v_mov_b32_e32 v11, v5
	v_pk_mul_f32 v[4:5], v[6:7], v[2:3] op_sel:[0,1]
	v_pk_fma_f32 v[8:9], v[6:7], v[0:1], v[4:5] op_sel:[0,0,1] op_sel_hi:[1,1,0] neg_lo:[0,0,1] neg_hi:[0,0,1]
	v_pk_fma_f32 v[4:5], v[6:7], v[0:1], v[4:5] op_sel:[0,0,1] op_sel_hi:[1,0,0]
	s_delay_alu instid0(VALU_DEP_1)
	v_mov_b32_e32 v9, v5
	ds_load_2addr_b64 v[4:7], v182 offset0:24 offset1:25
	v_pk_add_f32 v[96:97], v[96:97], v[10:11] neg_lo:[0,1] neg_hi:[0,1]
	v_pk_add_f32 v[92:93], v[92:93], v[8:9] neg_lo:[0,1] neg_hi:[0,1]
	s_wait_dscnt 0x0
	v_pk_mul_f32 v[8:9], v[4:5], v[2:3] op_sel:[0,1]
	s_delay_alu instid0(VALU_DEP_1) | instskip(SKIP_1) | instid1(VALU_DEP_1)
	v_pk_fma_f32 v[10:11], v[4:5], v[0:1], v[8:9] op_sel:[0,0,1] op_sel_hi:[1,1,0] neg_lo:[0,0,1] neg_hi:[0,0,1]
	v_pk_fma_f32 v[4:5], v[4:5], v[0:1], v[8:9] op_sel:[0,0,1] op_sel_hi:[1,0,0]
	v_mov_b32_e32 v11, v5
	v_pk_mul_f32 v[4:5], v[6:7], v[2:3] op_sel:[0,1]
	s_delay_alu instid0(VALU_DEP_1) | instskip(SKIP_1) | instid1(VALU_DEP_1)
	v_pk_fma_f32 v[8:9], v[6:7], v[0:1], v[4:5] op_sel:[0,0,1] op_sel_hi:[1,1,0] neg_lo:[0,0,1] neg_hi:[0,0,1]
	v_pk_fma_f32 v[4:5], v[6:7], v[0:1], v[4:5] op_sel:[0,0,1] op_sel_hi:[1,0,0]
	v_mov_b32_e32 v9, v5
	ds_load_2addr_b64 v[4:7], v182 offset0:26 offset1:27
	v_pk_add_f32 v[114:115], v[114:115], v[10:11] neg_lo:[0,1] neg_hi:[0,1]
	v_pk_add_f32 v[110:111], v[110:111], v[8:9] neg_lo:[0,1] neg_hi:[0,1]
	s_wait_dscnt 0x0
	v_dual_mul_f32 v8, v5, v3 :: v_dual_mul_f32 v10, v5, v0
	s_delay_alu instid0(VALU_DEP_1) | instskip(NEXT) | instid1(VALU_DEP_2)
	v_pk_fma_f32 v[8:9], v[4:5], v[20:21], v[8:9] op_sel_hi:[1,1,0] neg_lo:[0,0,1] neg_hi:[0,0,1]
	v_pk_fma_f32 v[4:5], v[4:5], v[20:21], v[10:11] op_sel:[1,0,0] op_sel_hi:[0,1,0]
	s_delay_alu instid0(VALU_DEP_1) | instskip(SKIP_1) | instid1(VALU_DEP_2)
	v_mov_b32_e32 v9, v5
	v_pk_mul_f32 v[4:5], v[6:7], v[2:3] op_sel:[0,1]
	v_pk_add_f32 v[112:113], v[112:113], v[8:9] neg_lo:[0,1] neg_hi:[0,1]
	s_delay_alu instid0(VALU_DEP_2) | instskip(SKIP_1) | instid1(VALU_DEP_1)
	v_pk_fma_f32 v[8:9], v[6:7], v[0:1], v[4:5] op_sel:[0,0,1] op_sel_hi:[1,1,0] neg_lo:[0,0,1] neg_hi:[0,0,1]
	v_pk_fma_f32 v[4:5], v[6:7], v[0:1], v[4:5] op_sel:[0,0,1] op_sel_hi:[1,0,0]
	v_mov_b32_e32 v9, v5
	ds_load_2addr_b64 v[4:7], v182 offset0:28 offset1:29
	v_pk_add_f32 v[108:109], v[108:109], v[8:9] neg_lo:[0,1] neg_hi:[0,1]
	s_wait_dscnt 0x0
	v_pk_mul_f32 v[8:9], v[4:5], v[2:3] op_sel:[0,1]
	s_delay_alu instid0(VALU_DEP_1) | instskip(SKIP_1) | instid1(VALU_DEP_1)
	v_pk_fma_f32 v[10:11], v[4:5], v[0:1], v[8:9] op_sel:[0,0,1] op_sel_hi:[1,1,0] neg_lo:[0,0,1] neg_hi:[0,0,1]
	v_pk_fma_f32 v[4:5], v[4:5], v[0:1], v[8:9] op_sel:[0,0,1] op_sel_hi:[1,0,0]
	v_mov_b32_e32 v11, v5
	v_pk_mul_f32 v[4:5], v[6:7], v[2:3] op_sel:[0,1]
	s_delay_alu instid0(VALU_DEP_2) | instskip(NEXT) | instid1(VALU_DEP_2)
	v_pk_add_f32 v[130:131], v[130:131], v[10:11] neg_lo:[0,1] neg_hi:[0,1]
	v_pk_fma_f32 v[8:9], v[6:7], v[0:1], v[4:5] op_sel:[0,0,1] op_sel_hi:[1,1,0] neg_lo:[0,0,1] neg_hi:[0,0,1]
	v_pk_fma_f32 v[4:5], v[6:7], v[0:1], v[4:5] op_sel:[0,0,1] op_sel_hi:[1,0,0]
	s_delay_alu instid0(VALU_DEP_1) | instskip(SKIP_4) | instid1(VALU_DEP_1)
	v_mov_b32_e32 v9, v5
	ds_load_2addr_b64 v[4:7], v182 offset0:30 offset1:31
	v_pk_add_f32 v[126:127], v[126:127], v[8:9] neg_lo:[0,1] neg_hi:[0,1]
	s_wait_dscnt 0x0
	v_pk_mul_f32 v[8:9], v[4:5], v[2:3] op_sel:[0,1]
	v_pk_fma_f32 v[10:11], v[4:5], v[0:1], v[8:9] op_sel:[0,0,1] op_sel_hi:[1,1,0] neg_lo:[0,0,1] neg_hi:[0,0,1]
	v_pk_fma_f32 v[4:5], v[4:5], v[0:1], v[8:9] op_sel:[0,0,1] op_sel_hi:[1,0,0]
	v_dual_mul_f32 v8, v7, v3 :: v_dual_mov_b32 v4, v7
	s_delay_alu instid0(VALU_DEP_2) | instskip(NEXT) | instid1(VALU_DEP_2)
	v_dual_mov_b32 v11, v5 :: v_dual_mov_b32 v5, v6
	v_pk_fma_f32 v[8:9], v[6:7], v[20:21], v[8:9] op_sel_hi:[1,1,0] neg_lo:[0,0,1] neg_hi:[0,0,1]
	v_mul_f32_e32 v6, v7, v0
	s_delay_alu instid0(VALU_DEP_3) | instskip(NEXT) | instid1(VALU_DEP_2)
	v_pk_add_f32 v[128:129], v[128:129], v[10:11] neg_lo:[0,1] neg_hi:[0,1]
	v_pk_fma_f32 v[4:5], v[4:5], v[20:21], v[6:7] op_sel_hi:[1,1,0]
	s_delay_alu instid0(VALU_DEP_1) | instskip(SKIP_4) | instid1(VALU_DEP_1)
	v_mov_b32_e32 v9, v5
	ds_load_2addr_b64 v[4:7], v182 offset0:32 offset1:33
	v_pk_add_f32 v[124:125], v[124:125], v[8:9] neg_lo:[0,1] neg_hi:[0,1]
	s_wait_dscnt 0x0
	v_pk_mul_f32 v[8:9], v[4:5], v[2:3] op_sel:[0,1]
	v_pk_fma_f32 v[10:11], v[4:5], v[0:1], v[8:9] op_sel:[0,0,1] op_sel_hi:[1,1,0] neg_lo:[0,0,1] neg_hi:[0,0,1]
	v_pk_fma_f32 v[4:5], v[4:5], v[0:1], v[8:9] op_sel:[0,0,1] op_sel_hi:[1,0,0]
	s_delay_alu instid0(VALU_DEP_1) | instskip(SKIP_1) | instid1(VALU_DEP_1)
	v_mov_b32_e32 v11, v5
	v_pk_mul_f32 v[4:5], v[6:7], v[2:3] op_sel:[0,1]
	v_pk_fma_f32 v[8:9], v[6:7], v[0:1], v[4:5] op_sel:[0,0,1] op_sel_hi:[1,1,0] neg_lo:[0,0,1] neg_hi:[0,0,1]
	v_pk_fma_f32 v[4:5], v[6:7], v[0:1], v[4:5] op_sel:[0,0,1] op_sel_hi:[1,0,0]
	s_delay_alu instid0(VALU_DEP_1)
	v_mov_b32_e32 v9, v5
	ds_load_2addr_b64 v[4:7], v182 offset0:34 offset1:35
	v_pk_add_f32 v[146:147], v[146:147], v[10:11] neg_lo:[0,1] neg_hi:[0,1]
	v_pk_add_f32 v[142:143], v[142:143], v[8:9] neg_lo:[0,1] neg_hi:[0,1]
	s_wait_dscnt 0x0
	v_pk_mul_f32 v[8:9], v[4:5], v[2:3] op_sel:[0,1]
	s_delay_alu instid0(VALU_DEP_1) | instskip(SKIP_1) | instid1(VALU_DEP_1)
	v_pk_fma_f32 v[10:11], v[4:5], v[0:1], v[8:9] op_sel:[0,0,1] op_sel_hi:[1,1,0] neg_lo:[0,0,1] neg_hi:[0,0,1]
	v_pk_fma_f32 v[4:5], v[4:5], v[0:1], v[8:9] op_sel:[0,0,1] op_sel_hi:[1,0,0]
	v_mov_b32_e32 v11, v5
	v_pk_mul_f32 v[4:5], v[6:7], v[2:3] op_sel:[0,1]
	s_delay_alu instid0(VALU_DEP_1) | instskip(SKIP_1) | instid1(VALU_DEP_1)
	v_pk_fma_f32 v[8:9], v[6:7], v[0:1], v[4:5] op_sel:[0,0,1] op_sel_hi:[1,1,0] neg_lo:[0,0,1] neg_hi:[0,0,1]
	v_pk_fma_f32 v[4:5], v[6:7], v[0:1], v[4:5] op_sel:[0,0,1] op_sel_hi:[1,0,0]
	v_mov_b32_e32 v9, v5
	ds_load_2addr_b64 v[4:7], v182 offset0:36 offset1:37
	v_pk_add_f32 v[144:145], v[144:145], v[10:11] neg_lo:[0,1] neg_hi:[0,1]
	v_pk_add_f32 v[140:141], v[140:141], v[8:9] neg_lo:[0,1] neg_hi:[0,1]
	s_wait_dscnt 0x0
	v_dual_mul_f32 v8, v5, v3 :: v_dual_mul_f32 v10, v5, v0
	s_delay_alu instid0(VALU_DEP_1) | instskip(NEXT) | instid1(VALU_DEP_2)
	v_pk_fma_f32 v[8:9], v[4:5], v[20:21], v[8:9] op_sel_hi:[1,1,0] neg_lo:[0,0,1] neg_hi:[0,0,1]
	v_pk_fma_f32 v[4:5], v[4:5], v[20:21], v[10:11] op_sel:[1,0,0] op_sel_hi:[0,1,0]
	s_delay_alu instid0(VALU_DEP_1) | instskip(SKIP_1) | instid1(VALU_DEP_2)
	v_mov_b32_e32 v9, v5
	v_pk_mul_f32 v[4:5], v[6:7], v[2:3] op_sel:[0,1]
	v_pk_add_f32 v[162:163], v[162:163], v[8:9] neg_lo:[0,1] neg_hi:[0,1]
	s_delay_alu instid0(VALU_DEP_2) | instskip(SKIP_1) | instid1(VALU_DEP_1)
	v_pk_fma_f32 v[8:9], v[6:7], v[0:1], v[4:5] op_sel:[0,0,1] op_sel_hi:[1,1,0] neg_lo:[0,0,1] neg_hi:[0,0,1]
	v_pk_fma_f32 v[4:5], v[6:7], v[0:1], v[4:5] op_sel:[0,0,1] op_sel_hi:[1,0,0]
	v_mov_b32_e32 v9, v5
	ds_load_2addr_b64 v[4:7], v182 offset0:38 offset1:39
	v_pk_add_f32 v[158:159], v[158:159], v[8:9] neg_lo:[0,1] neg_hi:[0,1]
	s_wait_dscnt 0x0
	v_pk_mul_f32 v[8:9], v[4:5], v[2:3] op_sel:[0,1]
	s_delay_alu instid0(VALU_DEP_1) | instskip(SKIP_1) | instid1(VALU_DEP_1)
	v_pk_fma_f32 v[10:11], v[4:5], v[0:1], v[8:9] op_sel:[0,0,1] op_sel_hi:[1,1,0] neg_lo:[0,0,1] neg_hi:[0,0,1]
	v_pk_fma_f32 v[4:5], v[4:5], v[0:1], v[8:9] op_sel:[0,0,1] op_sel_hi:[1,0,0]
	v_mov_b32_e32 v11, v5
	v_pk_mul_f32 v[4:5], v[6:7], v[2:3] op_sel:[0,1]
	s_delay_alu instid0(VALU_DEP_2) | instskip(NEXT) | instid1(VALU_DEP_2)
	v_pk_add_f32 v[160:161], v[160:161], v[10:11] neg_lo:[0,1] neg_hi:[0,1]
	v_pk_fma_f32 v[8:9], v[6:7], v[0:1], v[4:5] op_sel:[0,0,1] op_sel_hi:[1,1,0] neg_lo:[0,0,1] neg_hi:[0,0,1]
	v_pk_fma_f32 v[4:5], v[6:7], v[0:1], v[4:5] op_sel:[0,0,1] op_sel_hi:[1,0,0]
	s_delay_alu instid0(VALU_DEP_1) | instskip(SKIP_4) | instid1(VALU_DEP_1)
	v_mov_b32_e32 v9, v5
	ds_load_2addr_b64 v[4:7], v182 offset0:40 offset1:41
	v_pk_add_f32 v[156:157], v[156:157], v[8:9] neg_lo:[0,1] neg_hi:[0,1]
	s_wait_dscnt 0x0
	v_pk_mul_f32 v[8:9], v[4:5], v[2:3] op_sel:[0,1]
	v_pk_fma_f32 v[10:11], v[4:5], v[0:1], v[8:9] op_sel:[0,0,1] op_sel_hi:[1,1,0] neg_lo:[0,0,1] neg_hi:[0,0,1]
	v_pk_fma_f32 v[4:5], v[4:5], v[0:1], v[8:9] op_sel:[0,0,1] op_sel_hi:[1,0,0]
	v_dual_mul_f32 v8, v7, v3 :: v_dual_mov_b32 v4, v7
	s_delay_alu instid0(VALU_DEP_2) | instskip(NEXT) | instid1(VALU_DEP_2)
	v_dual_mov_b32 v11, v5 :: v_dual_mov_b32 v5, v6
	v_pk_fma_f32 v[8:9], v[6:7], v[20:21], v[8:9] op_sel_hi:[1,1,0] neg_lo:[0,0,1] neg_hi:[0,0,1]
	v_mul_f32_e32 v6, v7, v0
	s_delay_alu instid0(VALU_DEP_3) | instskip(NEXT) | instid1(VALU_DEP_2)
	v_pk_add_f32 v[178:179], v[178:179], v[10:11] neg_lo:[0,1] neg_hi:[0,1]
	v_pk_fma_f32 v[4:5], v[4:5], v[20:21], v[6:7] op_sel_hi:[1,1,0]
	s_delay_alu instid0(VALU_DEP_1) | instskip(SKIP_4) | instid1(VALU_DEP_1)
	v_mov_b32_e32 v9, v5
	ds_load_2addr_b64 v[4:7], v182 offset0:42 offset1:43
	v_pk_add_f32 v[174:175], v[174:175], v[8:9] neg_lo:[0,1] neg_hi:[0,1]
	s_wait_dscnt 0x0
	v_pk_mul_f32 v[8:9], v[4:5], v[2:3] op_sel:[0,1]
	v_pk_fma_f32 v[10:11], v[4:5], v[0:1], v[8:9] op_sel:[0,0,1] op_sel_hi:[1,1,0] neg_lo:[0,0,1] neg_hi:[0,0,1]
	v_pk_fma_f32 v[4:5], v[4:5], v[0:1], v[8:9] op_sel:[0,0,1] op_sel_hi:[1,0,0]
	s_delay_alu instid0(VALU_DEP_1) | instskip(SKIP_1) | instid1(VALU_DEP_1)
	v_mov_b32_e32 v11, v5
	v_pk_mul_f32 v[4:5], v[6:7], v[2:3] op_sel:[0,1]
	v_pk_fma_f32 v[8:9], v[6:7], v[0:1], v[4:5] op_sel:[0,0,1] op_sel_hi:[1,1,0] neg_lo:[0,0,1] neg_hi:[0,0,1]
	v_pk_fma_f32 v[4:5], v[6:7], v[0:1], v[4:5] op_sel:[0,0,1] op_sel_hi:[1,0,0]
	s_delay_alu instid0(VALU_DEP_1)
	v_mov_b32_e32 v9, v5
	ds_load_2addr_b64 v[4:7], v182 offset0:44 offset1:45
	v_pk_add_f32 v[176:177], v[176:177], v[10:11] neg_lo:[0,1] neg_hi:[0,1]
	v_pk_add_f32 v[172:173], v[172:173], v[8:9] neg_lo:[0,1] neg_hi:[0,1]
	s_wait_dscnt 0x0
	v_pk_mul_f32 v[8:9], v[4:5], v[2:3] op_sel:[0,1]
	s_delay_alu instid0(VALU_DEP_1) | instskip(SKIP_1) | instid1(VALU_DEP_1)
	v_pk_fma_f32 v[10:11], v[4:5], v[0:1], v[8:9] op_sel:[0,0,1] op_sel_hi:[1,1,0] neg_lo:[0,0,1] neg_hi:[0,0,1]
	v_pk_fma_f32 v[4:5], v[4:5], v[0:1], v[8:9] op_sel:[0,0,1] op_sel_hi:[1,0,0]
	v_mov_b32_e32 v11, v5
	v_pk_mul_f32 v[4:5], v[6:7], v[2:3] op_sel:[0,1]
	s_delay_alu instid0(VALU_DEP_1) | instskip(SKIP_1) | instid1(VALU_DEP_1)
	v_pk_fma_f32 v[8:9], v[6:7], v[0:1], v[4:5] op_sel:[0,0,1] op_sel_hi:[1,1,0] neg_lo:[0,0,1] neg_hi:[0,0,1]
	v_pk_fma_f32 v[4:5], v[6:7], v[0:1], v[4:5] op_sel:[0,0,1] op_sel_hi:[1,0,0]
	v_mov_b32_e32 v9, v5
	ds_load_2addr_b64 v[4:7], v182 offset0:46 offset1:47
	v_pk_add_f32 v[200:201], v[200:201], v[10:11] neg_lo:[0,1] neg_hi:[0,1]
	v_pk_add_f32 v[196:197], v[196:197], v[8:9] neg_lo:[0,1] neg_hi:[0,1]
	s_wait_dscnt 0x0
	v_dual_mul_f32 v8, v5, v3 :: v_dual_mul_f32 v10, v5, v0
	s_delay_alu instid0(VALU_DEP_1) | instskip(NEXT) | instid1(VALU_DEP_2)
	v_pk_fma_f32 v[8:9], v[4:5], v[20:21], v[8:9] op_sel_hi:[1,1,0] neg_lo:[0,0,1] neg_hi:[0,0,1]
	v_pk_fma_f32 v[4:5], v[4:5], v[20:21], v[10:11] op_sel:[1,0,0] op_sel_hi:[0,1,0]
	s_delay_alu instid0(VALU_DEP_1) | instskip(SKIP_1) | instid1(VALU_DEP_2)
	v_mov_b32_e32 v9, v5
	v_pk_mul_f32 v[4:5], v[6:7], v[2:3] op_sel:[0,1]
	v_pk_add_f32 v[198:199], v[198:199], v[8:9] neg_lo:[0,1] neg_hi:[0,1]
	s_delay_alu instid0(VALU_DEP_2) | instskip(SKIP_1) | instid1(VALU_DEP_1)
	v_pk_fma_f32 v[8:9], v[6:7], v[0:1], v[4:5] op_sel:[0,0,1] op_sel_hi:[1,1,0] neg_lo:[0,0,1] neg_hi:[0,0,1]
	v_pk_fma_f32 v[4:5], v[6:7], v[0:1], v[4:5] op_sel:[0,0,1] op_sel_hi:[1,0,0]
	v_mov_b32_e32 v9, v5
	ds_load_2addr_b64 v[4:7], v182 offset0:48 offset1:49
	v_pk_add_f32 v[194:195], v[194:195], v[8:9] neg_lo:[0,1] neg_hi:[0,1]
	s_wait_dscnt 0x0
	v_pk_mul_f32 v[8:9], v[4:5], v[2:3] op_sel:[0,1]
	s_delay_alu instid0(VALU_DEP_1) | instskip(SKIP_1) | instid1(VALU_DEP_1)
	v_pk_fma_f32 v[10:11], v[4:5], v[0:1], v[8:9] op_sel:[0,0,1] op_sel_hi:[1,1,0] neg_lo:[0,0,1] neg_hi:[0,0,1]
	v_pk_fma_f32 v[4:5], v[4:5], v[0:1], v[8:9] op_sel:[0,0,1] op_sel_hi:[1,0,0]
	v_mov_b32_e32 v11, v5
	v_pk_mul_f32 v[4:5], v[6:7], v[2:3] op_sel:[0,1]
	s_delay_alu instid0(VALU_DEP_2) | instskip(NEXT) | instid1(VALU_DEP_2)
	v_pk_add_f32 v[224:225], v[224:225], v[10:11] neg_lo:[0,1] neg_hi:[0,1]
	v_pk_fma_f32 v[8:9], v[6:7], v[0:1], v[4:5] op_sel:[0,0,1] op_sel_hi:[1,1,0] neg_lo:[0,0,1] neg_hi:[0,0,1]
	v_pk_fma_f32 v[4:5], v[6:7], v[0:1], v[4:5] op_sel:[0,0,1] op_sel_hi:[1,0,0]
	s_delay_alu instid0(VALU_DEP_1) | instskip(SKIP_4) | instid1(VALU_DEP_1)
	v_mov_b32_e32 v9, v5
	ds_load_2addr_b64 v[4:7], v182 offset0:50 offset1:51
	v_pk_add_f32 v[216:217], v[216:217], v[8:9] neg_lo:[0,1] neg_hi:[0,1]
	s_wait_dscnt 0x0
	v_pk_mul_f32 v[8:9], v[4:5], v[2:3] op_sel:[0,1]
	v_pk_fma_f32 v[10:11], v[4:5], v[0:1], v[8:9] op_sel:[0,0,1] op_sel_hi:[1,1,0] neg_lo:[0,0,1] neg_hi:[0,0,1]
	v_pk_fma_f32 v[4:5], v[4:5], v[0:1], v[8:9] op_sel:[0,0,1] op_sel_hi:[1,0,0]
	v_dual_mul_f32 v8, v7, v3 :: v_dual_mov_b32 v4, v7
	s_delay_alu instid0(VALU_DEP_2) | instskip(NEXT) | instid1(VALU_DEP_2)
	v_dual_mov_b32 v11, v5 :: v_dual_mov_b32 v5, v6
	v_pk_fma_f32 v[8:9], v[6:7], v[20:21], v[8:9] op_sel_hi:[1,1,0] neg_lo:[0,0,1] neg_hi:[0,0,1]
	v_mul_f32_e32 v6, v7, v0
	s_delay_alu instid0(VALU_DEP_3) | instskip(NEXT) | instid1(VALU_DEP_2)
	v_pk_add_f32 v[222:223], v[222:223], v[10:11] neg_lo:[0,1] neg_hi:[0,1]
	v_pk_fma_f32 v[4:5], v[4:5], v[20:21], v[6:7] op_sel_hi:[1,1,0]
	s_delay_alu instid0(VALU_DEP_1) | instskip(SKIP_4) | instid1(VALU_DEP_1)
	v_mov_b32_e32 v9, v5
	ds_load_2addr_b64 v[4:7], v182 offset0:52 offset1:53
	v_pk_add_f32 v[214:215], v[214:215], v[8:9] neg_lo:[0,1] neg_hi:[0,1]
	s_wait_dscnt 0x0
	v_pk_mul_f32 v[8:9], v[4:5], v[2:3] op_sel:[0,1]
	v_pk_fma_f32 v[10:11], v[4:5], v[0:1], v[8:9] op_sel:[0,0,1] op_sel_hi:[1,1,0] neg_lo:[0,0,1] neg_hi:[0,0,1]
	v_pk_fma_f32 v[4:5], v[4:5], v[0:1], v[8:9] op_sel:[0,0,1] op_sel_hi:[1,0,0]
	s_delay_alu instid0(VALU_DEP_1) | instskip(SKIP_1) | instid1(VALU_DEP_1)
	v_mov_b32_e32 v11, v5
	v_pk_mul_f32 v[4:5], v[6:7], v[2:3] op_sel:[0,1]
	v_pk_fma_f32 v[8:9], v[6:7], v[0:1], v[4:5] op_sel:[0,0,1] op_sel_hi:[1,1,0] neg_lo:[0,0,1] neg_hi:[0,0,1]
	v_pk_fma_f32 v[4:5], v[6:7], v[0:1], v[4:5] op_sel:[0,0,1] op_sel_hi:[1,0,0]
	s_delay_alu instid0(VALU_DEP_1)
	v_mov_b32_e32 v9, v5
	ds_load_2addr_b64 v[4:7], v182 offset0:54 offset1:55
	v_pk_add_f32 v[220:221], v[220:221], v[10:11] neg_lo:[0,1] neg_hi:[0,1]
	v_pk_add_f32 v[212:213], v[212:213], v[8:9] neg_lo:[0,1] neg_hi:[0,1]
	s_wait_dscnt 0x0
	v_pk_mul_f32 v[8:9], v[4:5], v[2:3] op_sel:[0,1]
	s_delay_alu instid0(VALU_DEP_1) | instskip(SKIP_1) | instid1(VALU_DEP_1)
	v_pk_fma_f32 v[10:11], v[4:5], v[0:1], v[8:9] op_sel:[0,0,1] op_sel_hi:[1,1,0] neg_lo:[0,0,1] neg_hi:[0,0,1]
	v_pk_fma_f32 v[4:5], v[4:5], v[0:1], v[8:9] op_sel:[0,0,1] op_sel_hi:[1,0,0]
	v_mov_b32_e32 v11, v5
	v_pk_mul_f32 v[4:5], v[6:7], v[2:3] op_sel:[0,1]
	s_delay_alu instid0(VALU_DEP_1) | instskip(SKIP_1) | instid1(VALU_DEP_1)
	v_pk_fma_f32 v[8:9], v[6:7], v[0:1], v[4:5] op_sel:[0,0,1] op_sel_hi:[1,1,0] neg_lo:[0,0,1] neg_hi:[0,0,1]
	v_pk_fma_f32 v[4:5], v[6:7], v[0:1], v[4:5] op_sel:[0,0,1] op_sel_hi:[1,0,0]
	v_mov_b32_e32 v9, v5
	ds_load_b64 v[4:5], v182 offset:448
	v_pk_add_f32 v[218:219], v[218:219], v[10:11] neg_lo:[0,1] neg_hi:[0,1]
	v_pk_add_f32 v[226:227], v[226:227], v[8:9] neg_lo:[0,1] neg_hi:[0,1]
	s_wait_dscnt 0x0
	v_pk_mul_f32 v[2:3], v[4:5], v[2:3] op_sel:[0,1]
	s_delay_alu instid0(VALU_DEP_1) | instskip(SKIP_1) | instid1(VALU_DEP_1)
	v_pk_fma_f32 v[6:7], v[4:5], v[0:1], v[2:3] op_sel:[0,0,1] op_sel_hi:[1,1,0] neg_lo:[0,0,1] neg_hi:[0,0,1]
	v_pk_fma_f32 v[0:1], v[4:5], v[0:1], v[2:3] op_sel:[0,0,1] op_sel_hi:[1,0,0]
	v_mov_b32_e32 v7, v1
	s_delay_alu instid0(VALU_DEP_1)
	v_pk_add_f32 v[228:229], v[228:229], v[6:7] neg_lo:[0,1] neg_hi:[0,1]
.LBB113_73:
	s_wait_xcnt 0x0
	s_or_b32 exec_lo, exec_lo, s1
	s_delay_alu instid0(SALU_CYCLE_1)
	s_mov_b32 s2, exec_lo
	s_wait_storecnt 0x0
	s_barrier_signal -1
	s_barrier_wait -1
	v_cmpx_eq_u32_e32 8, v180
	s_cbranch_execz .LBB113_80
; %bb.74:
	ds_store_b64 v181, v[40:41]
	ds_store_2addr_b64 v182, v[36:37], v[38:39] offset0:9 offset1:10
	ds_store_2addr_b64 v182, v[34:35], v[64:65] offset0:11 offset1:12
	;; [unrolled: 1-line block ×24, first 2 shown]
	ds_load_b64 v[0:1], v181
	s_wait_dscnt 0x0
	v_cmp_neq_f32_e32 vcc_lo, 0, v0
	v_cmp_neq_f32_e64 s1, 0, v1
	s_or_b32 s1, vcc_lo, s1
	s_delay_alu instid0(SALU_CYCLE_1)
	s_and_b32 exec_lo, exec_lo, s1
	s_cbranch_execz .LBB113_80
; %bb.75:
	v_cmp_ngt_f32_e64 s1, |v0|, |v1|
                                        ; implicit-def: $vgpr2_vgpr3
	s_and_saveexec_b32 s4, s1
	s_delay_alu instid0(SALU_CYCLE_1)
	s_xor_b32 s1, exec_lo, s4
	s_cbranch_execz .LBB113_77
; %bb.76:
	v_div_scale_f32 v2, null, v1, v1, v0
	v_div_scale_f32 v5, vcc_lo, v0, v1, v0
	s_delay_alu instid0(VALU_DEP_2) | instskip(SKIP_1) | instid1(TRANS32_DEP_1)
	v_rcp_f32_e32 v3, v2
	v_nop
	v_fma_f32 v4, -v2, v3, 1.0
	s_delay_alu instid0(VALU_DEP_1) | instskip(NEXT) | instid1(VALU_DEP_1)
	v_fmac_f32_e32 v3, v4, v3
	v_mul_f32_e32 v4, v5, v3
	s_delay_alu instid0(VALU_DEP_1) | instskip(NEXT) | instid1(VALU_DEP_1)
	v_fma_f32 v6, -v2, v4, v5
	v_fmac_f32_e32 v4, v6, v3
	s_delay_alu instid0(VALU_DEP_1) | instskip(NEXT) | instid1(VALU_DEP_1)
	v_fma_f32 v2, -v2, v4, v5
	v_div_fmas_f32 v2, v2, v3, v4
	s_delay_alu instid0(VALU_DEP_1) | instskip(NEXT) | instid1(VALU_DEP_1)
	v_div_fixup_f32 v2, v2, v1, v0
	v_fmac_f32_e32 v1, v0, v2
	s_delay_alu instid0(VALU_DEP_1) | instskip(SKIP_1) | instid1(VALU_DEP_2)
	v_div_scale_f32 v0, null, v1, v1, 1.0
	v_div_scale_f32 v5, vcc_lo, 1.0, v1, 1.0
	v_rcp_f32_e32 v3, v0
	v_nop
	s_delay_alu instid0(TRANS32_DEP_1) | instskip(NEXT) | instid1(VALU_DEP_1)
	v_fma_f32 v4, -v0, v3, 1.0
	v_fmac_f32_e32 v3, v4, v3
	s_delay_alu instid0(VALU_DEP_1) | instskip(NEXT) | instid1(VALU_DEP_1)
	v_mul_f32_e32 v4, v5, v3
	v_fma_f32 v6, -v0, v4, v5
	s_delay_alu instid0(VALU_DEP_1) | instskip(NEXT) | instid1(VALU_DEP_1)
	v_fmac_f32_e32 v4, v6, v3
	v_fma_f32 v0, -v0, v4, v5
	s_delay_alu instid0(VALU_DEP_1) | instskip(NEXT) | instid1(VALU_DEP_1)
	v_div_fmas_f32 v0, v0, v3, v4
	v_div_fixup_f32 v0, v0, v1, 1.0
	s_delay_alu instid0(VALU_DEP_1)
	v_mul_f32_e32 v2, v2, v0
	v_xor_b32_e32 v3, 0x80000000, v0
                                        ; implicit-def: $vgpr0_vgpr1
.LBB113_77:
	s_and_not1_saveexec_b32 s1, s1
	s_cbranch_execz .LBB113_79
; %bb.78:
	v_div_scale_f32 v2, null, v0, v0, v1
	v_div_scale_f32 v5, vcc_lo, v1, v0, v1
	s_delay_alu instid0(VALU_DEP_2) | instskip(SKIP_1) | instid1(TRANS32_DEP_1)
	v_rcp_f32_e32 v3, v2
	v_nop
	v_fma_f32 v4, -v2, v3, 1.0
	s_delay_alu instid0(VALU_DEP_1) | instskip(NEXT) | instid1(VALU_DEP_1)
	v_fmac_f32_e32 v3, v4, v3
	v_mul_f32_e32 v4, v5, v3
	s_delay_alu instid0(VALU_DEP_1) | instskip(NEXT) | instid1(VALU_DEP_1)
	v_fma_f32 v6, -v2, v4, v5
	v_fmac_f32_e32 v4, v6, v3
	s_delay_alu instid0(VALU_DEP_1) | instskip(NEXT) | instid1(VALU_DEP_1)
	v_fma_f32 v2, -v2, v4, v5
	v_div_fmas_f32 v2, v2, v3, v4
	s_delay_alu instid0(VALU_DEP_1) | instskip(NEXT) | instid1(VALU_DEP_1)
	v_div_fixup_f32 v3, v2, v0, v1
	v_fmac_f32_e32 v0, v1, v3
	s_delay_alu instid0(VALU_DEP_1) | instskip(NEXT) | instid1(VALU_DEP_1)
	v_div_scale_f32 v1, null, v0, v0, 1.0
	v_rcp_f32_e32 v2, v1
	v_nop
	s_delay_alu instid0(TRANS32_DEP_1) | instskip(NEXT) | instid1(VALU_DEP_1)
	v_fma_f32 v4, -v1, v2, 1.0
	v_fmac_f32_e32 v2, v4, v2
	v_div_scale_f32 v4, vcc_lo, 1.0, v0, 1.0
	s_delay_alu instid0(VALU_DEP_1) | instskip(NEXT) | instid1(VALU_DEP_1)
	v_mul_f32_e32 v5, v4, v2
	v_fma_f32 v6, -v1, v5, v4
	s_delay_alu instid0(VALU_DEP_1) | instskip(NEXT) | instid1(VALU_DEP_1)
	v_fmac_f32_e32 v5, v6, v2
	v_fma_f32 v1, -v1, v5, v4
	s_delay_alu instid0(VALU_DEP_1) | instskip(NEXT) | instid1(VALU_DEP_1)
	v_div_fmas_f32 v1, v1, v2, v5
	v_div_fixup_f32 v2, v1, v0, 1.0
	s_delay_alu instid0(VALU_DEP_1)
	v_mul_f32_e64 v3, v3, -v2
.LBB113_79:
	s_or_b32 exec_lo, exec_lo, s1
	ds_store_b64 v181, v[2:3]
.LBB113_80:
	s_or_b32 exec_lo, exec_lo, s2
	s_wait_dscnt 0x0
	s_barrier_signal -1
	s_barrier_wait -1
	ds_load_b64 v[0:1], v181
	s_mov_b32 s1, exec_lo
	s_wait_dscnt 0x0
	scratch_store_b64 off, v[0:1], off offset:352 ; 8-byte Folded Spill
	s_wait_xcnt 0x0
	v_cmpx_lt_u32_e32 8, v180
	s_cbranch_execz .LBB113_82
; %bb.81:
	scratch_load_b64 v[4:5], off, off offset:352 ; 8-byte Folded Reload
	s_wait_loadcnt 0x0
	v_pk_mul_f32 v[2:3], v[4:5], v[40:41] op_sel:[1,1] op_sel_hi:[0,1]
	s_delay_alu instid0(VALU_DEP_1)
	v_pk_fma_f32 v[0:1], v[4:5], v[40:41], v[2:3] op_sel_hi:[1,0,1] neg_lo:[0,0,1] neg_hi:[0,0,1]
	v_pk_fma_f32 v[2:3], v[4:5], v[40:41], v[2:3] op_sel_hi:[1,0,1]
	ds_load_2addr_b64 v[4:7], v182 offset0:9 offset1:10
	v_dual_mov_b32 v40, v0 :: v_dual_mov_b32 v41, v3
	s_wait_dscnt 0x0
	v_pk_mul_f32 v[8:9], v[4:5], v[2:3] op_sel:[0,1]
	s_delay_alu instid0(VALU_DEP_1) | instskip(SKIP_1) | instid1(VALU_DEP_1)
	v_pk_fma_f32 v[10:11], v[4:5], v[0:1], v[8:9] op_sel:[0,0,1] op_sel_hi:[1,1,0] neg_lo:[0,0,1] neg_hi:[0,0,1]
	v_pk_fma_f32 v[4:5], v[4:5], v[0:1], v[8:9] op_sel:[0,0,1] op_sel_hi:[1,0,0]
	v_mov_b32_e32 v11, v5
	v_pk_mul_f32 v[4:5], v[6:7], v[2:3] op_sel:[0,1]
	s_delay_alu instid0(VALU_DEP_1) | instskip(SKIP_1) | instid1(VALU_DEP_1)
	v_pk_fma_f32 v[8:9], v[6:7], v[0:1], v[4:5] op_sel:[0,0,1] op_sel_hi:[1,1,0] neg_lo:[0,0,1] neg_hi:[0,0,1]
	v_pk_fma_f32 v[4:5], v[6:7], v[0:1], v[4:5] op_sel:[0,0,1] op_sel_hi:[1,0,0]
	v_mov_b32_e32 v9, v5
	ds_load_2addr_b64 v[4:7], v182 offset0:11 offset1:12
	v_pk_add_f32 v[36:37], v[36:37], v[10:11] neg_lo:[0,1] neg_hi:[0,1]
	v_pk_add_f32 v[38:39], v[38:39], v[8:9] neg_lo:[0,1] neg_hi:[0,1]
	s_wait_dscnt 0x0
	v_pk_mul_f32 v[8:9], v[4:5], v[2:3] op_sel:[0,1]
	s_delay_alu instid0(VALU_DEP_1) | instskip(SKIP_2) | instid1(VALU_DEP_2)
	v_pk_fma_f32 v[10:11], v[4:5], v[0:1], v[8:9] op_sel:[0,0,1] op_sel_hi:[1,1,0] neg_lo:[0,0,1] neg_hi:[0,0,1]
	v_pk_fma_f32 v[4:5], v[4:5], v[0:1], v[8:9] op_sel:[0,0,1] op_sel_hi:[1,0,0]
	v_dual_mul_f32 v8, v7, v3 :: v_dual_mov_b32 v4, v7
	v_dual_mov_b32 v11, v5 :: v_dual_mov_b32 v5, v6
	s_delay_alu instid0(VALU_DEP_2) | instskip(SKIP_1) | instid1(VALU_DEP_3)
	v_pk_fma_f32 v[8:9], v[6:7], v[40:41], v[8:9] op_sel_hi:[1,1,0] neg_lo:[0,0,1] neg_hi:[0,0,1]
	v_mul_f32_e32 v6, v7, v0
	v_pk_add_f32 v[34:35], v[34:35], v[10:11] neg_lo:[0,1] neg_hi:[0,1]
	s_delay_alu instid0(VALU_DEP_2) | instskip(NEXT) | instid1(VALU_DEP_1)
	v_pk_fma_f32 v[4:5], v[4:5], v[40:41], v[6:7] op_sel_hi:[1,1,0]
	v_mov_b32_e32 v9, v5
	ds_load_2addr_b64 v[4:7], v182 offset0:13 offset1:14
	v_pk_add_f32 v[64:65], v[64:65], v[8:9] neg_lo:[0,1] neg_hi:[0,1]
	s_wait_dscnt 0x0
	v_pk_mul_f32 v[8:9], v[4:5], v[2:3] op_sel:[0,1]
	s_delay_alu instid0(VALU_DEP_1) | instskip(SKIP_1) | instid1(VALU_DEP_1)
	v_pk_fma_f32 v[10:11], v[4:5], v[0:1], v[8:9] op_sel:[0,0,1] op_sel_hi:[1,1,0] neg_lo:[0,0,1] neg_hi:[0,0,1]
	v_pk_fma_f32 v[4:5], v[4:5], v[0:1], v[8:9] op_sel:[0,0,1] op_sel_hi:[1,0,0]
	v_mov_b32_e32 v11, v5
	v_pk_mul_f32 v[4:5], v[6:7], v[2:3] op_sel:[0,1]
	s_delay_alu instid0(VALU_DEP_1) | instskip(SKIP_1) | instid1(VALU_DEP_1)
	v_pk_fma_f32 v[8:9], v[6:7], v[0:1], v[4:5] op_sel:[0,0,1] op_sel_hi:[1,1,0] neg_lo:[0,0,1] neg_hi:[0,0,1]
	v_pk_fma_f32 v[4:5], v[6:7], v[0:1], v[4:5] op_sel:[0,0,1] op_sel_hi:[1,0,0]
	v_mov_b32_e32 v9, v5
	ds_load_2addr_b64 v[4:7], v182 offset0:15 offset1:16
	v_pk_add_f32 v[60:61], v[60:61], v[10:11] neg_lo:[0,1] neg_hi:[0,1]
	v_pk_add_f32 v[62:63], v[62:63], v[8:9] neg_lo:[0,1] neg_hi:[0,1]
	s_wait_dscnt 0x0
	v_pk_mul_f32 v[8:9], v[4:5], v[2:3] op_sel:[0,1]
	s_delay_alu instid0(VALU_DEP_1) | instskip(SKIP_1) | instid1(VALU_DEP_1)
	v_pk_fma_f32 v[10:11], v[4:5], v[0:1], v[8:9] op_sel:[0,0,1] op_sel_hi:[1,1,0] neg_lo:[0,0,1] neg_hi:[0,0,1]
	v_pk_fma_f32 v[4:5], v[4:5], v[0:1], v[8:9] op_sel:[0,0,1] op_sel_hi:[1,0,0]
	v_mov_b32_e32 v11, v5
	v_pk_mul_f32 v[4:5], v[6:7], v[2:3] op_sel:[0,1]
	s_delay_alu instid0(VALU_DEP_1) | instskip(SKIP_1) | instid1(VALU_DEP_1)
	v_pk_fma_f32 v[8:9], v[6:7], v[0:1], v[4:5] op_sel:[0,0,1] op_sel_hi:[1,1,0] neg_lo:[0,0,1] neg_hi:[0,0,1]
	v_pk_fma_f32 v[4:5], v[6:7], v[0:1], v[4:5] op_sel:[0,0,1] op_sel_hi:[1,0,0]
	v_mov_b32_e32 v9, v5
	ds_load_2addr_b64 v[4:7], v182 offset0:17 offset1:18
	v_pk_add_f32 v[58:59], v[58:59], v[10:11] neg_lo:[0,1] neg_hi:[0,1]
	v_pk_add_f32 v[80:81], v[80:81], v[8:9] neg_lo:[0,1] neg_hi:[0,1]
	s_wait_dscnt 0x0
	v_dual_mul_f32 v8, v5, v3 :: v_dual_mul_f32 v10, v5, v0
	s_delay_alu instid0(VALU_DEP_1) | instskip(NEXT) | instid1(VALU_DEP_2)
	v_pk_fma_f32 v[8:9], v[4:5], v[40:41], v[8:9] op_sel_hi:[1,1,0] neg_lo:[0,0,1] neg_hi:[0,0,1]
	v_pk_fma_f32 v[4:5], v[4:5], v[40:41], v[10:11] op_sel:[1,0,0] op_sel_hi:[0,1,0]
	s_delay_alu instid0(VALU_DEP_1) | instskip(SKIP_1) | instid1(VALU_DEP_2)
	v_mov_b32_e32 v9, v5
	v_pk_mul_f32 v[4:5], v[6:7], v[2:3] op_sel:[0,1]
	v_pk_add_f32 v[76:77], v[76:77], v[8:9] neg_lo:[0,1] neg_hi:[0,1]
	s_delay_alu instid0(VALU_DEP_2) | instskip(SKIP_1) | instid1(VALU_DEP_1)
	v_pk_fma_f32 v[8:9], v[6:7], v[0:1], v[4:5] op_sel:[0,0,1] op_sel_hi:[1,1,0] neg_lo:[0,0,1] neg_hi:[0,0,1]
	v_pk_fma_f32 v[4:5], v[6:7], v[0:1], v[4:5] op_sel:[0,0,1] op_sel_hi:[1,0,0]
	v_mov_b32_e32 v9, v5
	ds_load_2addr_b64 v[4:7], v182 offset0:19 offset1:20
	v_pk_add_f32 v[78:79], v[78:79], v[8:9] neg_lo:[0,1] neg_hi:[0,1]
	s_wait_dscnt 0x0
	v_pk_mul_f32 v[8:9], v[4:5], v[2:3] op_sel:[0,1]
	s_delay_alu instid0(VALU_DEP_1) | instskip(SKIP_1) | instid1(VALU_DEP_1)
	v_pk_fma_f32 v[10:11], v[4:5], v[0:1], v[8:9] op_sel:[0,0,1] op_sel_hi:[1,1,0] neg_lo:[0,0,1] neg_hi:[0,0,1]
	v_pk_fma_f32 v[4:5], v[4:5], v[0:1], v[8:9] op_sel:[0,0,1] op_sel_hi:[1,0,0]
	v_mov_b32_e32 v11, v5
	v_pk_mul_f32 v[4:5], v[6:7], v[2:3] op_sel:[0,1]
	s_delay_alu instid0(VALU_DEP_2) | instskip(NEXT) | instid1(VALU_DEP_2)
	v_pk_add_f32 v[74:75], v[74:75], v[10:11] neg_lo:[0,1] neg_hi:[0,1]
	v_pk_fma_f32 v[8:9], v[6:7], v[0:1], v[4:5] op_sel:[0,0,1] op_sel_hi:[1,1,0] neg_lo:[0,0,1] neg_hi:[0,0,1]
	v_pk_fma_f32 v[4:5], v[6:7], v[0:1], v[4:5] op_sel:[0,0,1] op_sel_hi:[1,0,0]
	s_delay_alu instid0(VALU_DEP_1) | instskip(SKIP_4) | instid1(VALU_DEP_1)
	v_mov_b32_e32 v9, v5
	ds_load_2addr_b64 v[4:7], v182 offset0:21 offset1:22
	v_pk_add_f32 v[98:99], v[98:99], v[8:9] neg_lo:[0,1] neg_hi:[0,1]
	s_wait_dscnt 0x0
	v_pk_mul_f32 v[8:9], v[4:5], v[2:3] op_sel:[0,1]
	v_pk_fma_f32 v[10:11], v[4:5], v[0:1], v[8:9] op_sel:[0,0,1] op_sel_hi:[1,1,0] neg_lo:[0,0,1] neg_hi:[0,0,1]
	v_pk_fma_f32 v[4:5], v[4:5], v[0:1], v[8:9] op_sel:[0,0,1] op_sel_hi:[1,0,0]
	v_dual_mul_f32 v8, v7, v3 :: v_dual_mov_b32 v4, v7
	s_delay_alu instid0(VALU_DEP_2) | instskip(NEXT) | instid1(VALU_DEP_2)
	v_dual_mov_b32 v11, v5 :: v_dual_mov_b32 v5, v6
	v_pk_fma_f32 v[8:9], v[6:7], v[40:41], v[8:9] op_sel_hi:[1,1,0] neg_lo:[0,0,1] neg_hi:[0,0,1]
	v_mul_f32_e32 v6, v7, v0
	s_delay_alu instid0(VALU_DEP_3) | instskip(NEXT) | instid1(VALU_DEP_2)
	v_pk_add_f32 v[94:95], v[94:95], v[10:11] neg_lo:[0,1] neg_hi:[0,1]
	v_pk_fma_f32 v[4:5], v[4:5], v[40:41], v[6:7] op_sel_hi:[1,1,0]
	s_delay_alu instid0(VALU_DEP_1) | instskip(SKIP_4) | instid1(VALU_DEP_1)
	v_mov_b32_e32 v9, v5
	ds_load_2addr_b64 v[4:7], v182 offset0:23 offset1:24
	v_pk_add_f32 v[96:97], v[96:97], v[8:9] neg_lo:[0,1] neg_hi:[0,1]
	s_wait_dscnt 0x0
	v_pk_mul_f32 v[8:9], v[4:5], v[2:3] op_sel:[0,1]
	v_pk_fma_f32 v[10:11], v[4:5], v[0:1], v[8:9] op_sel:[0,0,1] op_sel_hi:[1,1,0] neg_lo:[0,0,1] neg_hi:[0,0,1]
	v_pk_fma_f32 v[4:5], v[4:5], v[0:1], v[8:9] op_sel:[0,0,1] op_sel_hi:[1,0,0]
	s_delay_alu instid0(VALU_DEP_1) | instskip(SKIP_1) | instid1(VALU_DEP_1)
	v_mov_b32_e32 v11, v5
	v_pk_mul_f32 v[4:5], v[6:7], v[2:3] op_sel:[0,1]
	v_pk_fma_f32 v[8:9], v[6:7], v[0:1], v[4:5] op_sel:[0,0,1] op_sel_hi:[1,1,0] neg_lo:[0,0,1] neg_hi:[0,0,1]
	v_pk_fma_f32 v[4:5], v[6:7], v[0:1], v[4:5] op_sel:[0,0,1] op_sel_hi:[1,0,0]
	s_delay_alu instid0(VALU_DEP_1)
	v_mov_b32_e32 v9, v5
	ds_load_2addr_b64 v[4:7], v182 offset0:25 offset1:26
	v_pk_add_f32 v[92:93], v[92:93], v[10:11] neg_lo:[0,1] neg_hi:[0,1]
	v_pk_add_f32 v[114:115], v[114:115], v[8:9] neg_lo:[0,1] neg_hi:[0,1]
	s_wait_dscnt 0x0
	v_pk_mul_f32 v[8:9], v[4:5], v[2:3] op_sel:[0,1]
	s_delay_alu instid0(VALU_DEP_1) | instskip(SKIP_1) | instid1(VALU_DEP_1)
	v_pk_fma_f32 v[10:11], v[4:5], v[0:1], v[8:9] op_sel:[0,0,1] op_sel_hi:[1,1,0] neg_lo:[0,0,1] neg_hi:[0,0,1]
	v_pk_fma_f32 v[4:5], v[4:5], v[0:1], v[8:9] op_sel:[0,0,1] op_sel_hi:[1,0,0]
	v_mov_b32_e32 v11, v5
	v_pk_mul_f32 v[4:5], v[6:7], v[2:3] op_sel:[0,1]
	s_delay_alu instid0(VALU_DEP_1) | instskip(SKIP_1) | instid1(VALU_DEP_1)
	v_pk_fma_f32 v[8:9], v[6:7], v[0:1], v[4:5] op_sel:[0,0,1] op_sel_hi:[1,1,0] neg_lo:[0,0,1] neg_hi:[0,0,1]
	v_pk_fma_f32 v[4:5], v[6:7], v[0:1], v[4:5] op_sel:[0,0,1] op_sel_hi:[1,0,0]
	v_mov_b32_e32 v9, v5
	ds_load_2addr_b64 v[4:7], v182 offset0:27 offset1:28
	v_pk_add_f32 v[110:111], v[110:111], v[10:11] neg_lo:[0,1] neg_hi:[0,1]
	v_pk_add_f32 v[112:113], v[112:113], v[8:9] neg_lo:[0,1] neg_hi:[0,1]
	s_wait_dscnt 0x0
	v_dual_mul_f32 v8, v5, v3 :: v_dual_mul_f32 v10, v5, v0
	s_delay_alu instid0(VALU_DEP_1) | instskip(NEXT) | instid1(VALU_DEP_2)
	v_pk_fma_f32 v[8:9], v[4:5], v[40:41], v[8:9] op_sel_hi:[1,1,0] neg_lo:[0,0,1] neg_hi:[0,0,1]
	v_pk_fma_f32 v[4:5], v[4:5], v[40:41], v[10:11] op_sel:[1,0,0] op_sel_hi:[0,1,0]
	s_delay_alu instid0(VALU_DEP_1) | instskip(SKIP_1) | instid1(VALU_DEP_2)
	v_mov_b32_e32 v9, v5
	v_pk_mul_f32 v[4:5], v[6:7], v[2:3] op_sel:[0,1]
	v_pk_add_f32 v[108:109], v[108:109], v[8:9] neg_lo:[0,1] neg_hi:[0,1]
	s_delay_alu instid0(VALU_DEP_2) | instskip(SKIP_1) | instid1(VALU_DEP_1)
	v_pk_fma_f32 v[8:9], v[6:7], v[0:1], v[4:5] op_sel:[0,0,1] op_sel_hi:[1,1,0] neg_lo:[0,0,1] neg_hi:[0,0,1]
	v_pk_fma_f32 v[4:5], v[6:7], v[0:1], v[4:5] op_sel:[0,0,1] op_sel_hi:[1,0,0]
	v_mov_b32_e32 v9, v5
	ds_load_2addr_b64 v[4:7], v182 offset0:29 offset1:30
	v_pk_add_f32 v[130:131], v[130:131], v[8:9] neg_lo:[0,1] neg_hi:[0,1]
	s_wait_dscnt 0x0
	v_pk_mul_f32 v[8:9], v[4:5], v[2:3] op_sel:[0,1]
	s_delay_alu instid0(VALU_DEP_1) | instskip(SKIP_1) | instid1(VALU_DEP_1)
	v_pk_fma_f32 v[10:11], v[4:5], v[0:1], v[8:9] op_sel:[0,0,1] op_sel_hi:[1,1,0] neg_lo:[0,0,1] neg_hi:[0,0,1]
	v_pk_fma_f32 v[4:5], v[4:5], v[0:1], v[8:9] op_sel:[0,0,1] op_sel_hi:[1,0,0]
	v_mov_b32_e32 v11, v5
	v_pk_mul_f32 v[4:5], v[6:7], v[2:3] op_sel:[0,1]
	s_delay_alu instid0(VALU_DEP_2) | instskip(NEXT) | instid1(VALU_DEP_2)
	v_pk_add_f32 v[126:127], v[126:127], v[10:11] neg_lo:[0,1] neg_hi:[0,1]
	v_pk_fma_f32 v[8:9], v[6:7], v[0:1], v[4:5] op_sel:[0,0,1] op_sel_hi:[1,1,0] neg_lo:[0,0,1] neg_hi:[0,0,1]
	v_pk_fma_f32 v[4:5], v[6:7], v[0:1], v[4:5] op_sel:[0,0,1] op_sel_hi:[1,0,0]
	s_delay_alu instid0(VALU_DEP_1) | instskip(SKIP_4) | instid1(VALU_DEP_1)
	v_mov_b32_e32 v9, v5
	ds_load_2addr_b64 v[4:7], v182 offset0:31 offset1:32
	v_pk_add_f32 v[128:129], v[128:129], v[8:9] neg_lo:[0,1] neg_hi:[0,1]
	s_wait_dscnt 0x0
	v_pk_mul_f32 v[8:9], v[4:5], v[2:3] op_sel:[0,1]
	v_pk_fma_f32 v[10:11], v[4:5], v[0:1], v[8:9] op_sel:[0,0,1] op_sel_hi:[1,1,0] neg_lo:[0,0,1] neg_hi:[0,0,1]
	v_pk_fma_f32 v[4:5], v[4:5], v[0:1], v[8:9] op_sel:[0,0,1] op_sel_hi:[1,0,0]
	v_dual_mul_f32 v8, v7, v3 :: v_dual_mov_b32 v4, v7
	s_delay_alu instid0(VALU_DEP_2) | instskip(NEXT) | instid1(VALU_DEP_2)
	v_dual_mov_b32 v11, v5 :: v_dual_mov_b32 v5, v6
	v_pk_fma_f32 v[8:9], v[6:7], v[40:41], v[8:9] op_sel_hi:[1,1,0] neg_lo:[0,0,1] neg_hi:[0,0,1]
	v_mul_f32_e32 v6, v7, v0
	s_delay_alu instid0(VALU_DEP_3) | instskip(NEXT) | instid1(VALU_DEP_2)
	v_pk_add_f32 v[124:125], v[124:125], v[10:11] neg_lo:[0,1] neg_hi:[0,1]
	v_pk_fma_f32 v[4:5], v[4:5], v[40:41], v[6:7] op_sel_hi:[1,1,0]
	s_delay_alu instid0(VALU_DEP_1) | instskip(SKIP_4) | instid1(VALU_DEP_1)
	v_mov_b32_e32 v9, v5
	ds_load_2addr_b64 v[4:7], v182 offset0:33 offset1:34
	v_pk_add_f32 v[146:147], v[146:147], v[8:9] neg_lo:[0,1] neg_hi:[0,1]
	s_wait_dscnt 0x0
	v_pk_mul_f32 v[8:9], v[4:5], v[2:3] op_sel:[0,1]
	v_pk_fma_f32 v[10:11], v[4:5], v[0:1], v[8:9] op_sel:[0,0,1] op_sel_hi:[1,1,0] neg_lo:[0,0,1] neg_hi:[0,0,1]
	v_pk_fma_f32 v[4:5], v[4:5], v[0:1], v[8:9] op_sel:[0,0,1] op_sel_hi:[1,0,0]
	s_delay_alu instid0(VALU_DEP_1) | instskip(SKIP_1) | instid1(VALU_DEP_1)
	v_mov_b32_e32 v11, v5
	v_pk_mul_f32 v[4:5], v[6:7], v[2:3] op_sel:[0,1]
	v_pk_fma_f32 v[8:9], v[6:7], v[0:1], v[4:5] op_sel:[0,0,1] op_sel_hi:[1,1,0] neg_lo:[0,0,1] neg_hi:[0,0,1]
	v_pk_fma_f32 v[4:5], v[6:7], v[0:1], v[4:5] op_sel:[0,0,1] op_sel_hi:[1,0,0]
	s_delay_alu instid0(VALU_DEP_1)
	v_mov_b32_e32 v9, v5
	ds_load_2addr_b64 v[4:7], v182 offset0:35 offset1:36
	v_pk_add_f32 v[142:143], v[142:143], v[10:11] neg_lo:[0,1] neg_hi:[0,1]
	v_pk_add_f32 v[144:145], v[144:145], v[8:9] neg_lo:[0,1] neg_hi:[0,1]
	s_wait_dscnt 0x0
	v_pk_mul_f32 v[8:9], v[4:5], v[2:3] op_sel:[0,1]
	s_delay_alu instid0(VALU_DEP_1) | instskip(SKIP_1) | instid1(VALU_DEP_1)
	v_pk_fma_f32 v[10:11], v[4:5], v[0:1], v[8:9] op_sel:[0,0,1] op_sel_hi:[1,1,0] neg_lo:[0,0,1] neg_hi:[0,0,1]
	v_pk_fma_f32 v[4:5], v[4:5], v[0:1], v[8:9] op_sel:[0,0,1] op_sel_hi:[1,0,0]
	v_mov_b32_e32 v11, v5
	v_pk_mul_f32 v[4:5], v[6:7], v[2:3] op_sel:[0,1]
	s_delay_alu instid0(VALU_DEP_1) | instskip(SKIP_1) | instid1(VALU_DEP_1)
	v_pk_fma_f32 v[8:9], v[6:7], v[0:1], v[4:5] op_sel:[0,0,1] op_sel_hi:[1,1,0] neg_lo:[0,0,1] neg_hi:[0,0,1]
	v_pk_fma_f32 v[4:5], v[6:7], v[0:1], v[4:5] op_sel:[0,0,1] op_sel_hi:[1,0,0]
	v_mov_b32_e32 v9, v5
	ds_load_2addr_b64 v[4:7], v182 offset0:37 offset1:38
	v_pk_add_f32 v[140:141], v[140:141], v[10:11] neg_lo:[0,1] neg_hi:[0,1]
	v_pk_add_f32 v[162:163], v[162:163], v[8:9] neg_lo:[0,1] neg_hi:[0,1]
	s_wait_dscnt 0x0
	v_dual_mul_f32 v8, v5, v3 :: v_dual_mul_f32 v10, v5, v0
	s_delay_alu instid0(VALU_DEP_1) | instskip(NEXT) | instid1(VALU_DEP_2)
	v_pk_fma_f32 v[8:9], v[4:5], v[40:41], v[8:9] op_sel_hi:[1,1,0] neg_lo:[0,0,1] neg_hi:[0,0,1]
	v_pk_fma_f32 v[4:5], v[4:5], v[40:41], v[10:11] op_sel:[1,0,0] op_sel_hi:[0,1,0]
	s_delay_alu instid0(VALU_DEP_1) | instskip(SKIP_1) | instid1(VALU_DEP_2)
	v_mov_b32_e32 v9, v5
	v_pk_mul_f32 v[4:5], v[6:7], v[2:3] op_sel:[0,1]
	v_pk_add_f32 v[158:159], v[158:159], v[8:9] neg_lo:[0,1] neg_hi:[0,1]
	s_delay_alu instid0(VALU_DEP_2) | instskip(SKIP_1) | instid1(VALU_DEP_1)
	v_pk_fma_f32 v[8:9], v[6:7], v[0:1], v[4:5] op_sel:[0,0,1] op_sel_hi:[1,1,0] neg_lo:[0,0,1] neg_hi:[0,0,1]
	v_pk_fma_f32 v[4:5], v[6:7], v[0:1], v[4:5] op_sel:[0,0,1] op_sel_hi:[1,0,0]
	v_mov_b32_e32 v9, v5
	ds_load_2addr_b64 v[4:7], v182 offset0:39 offset1:40
	v_pk_add_f32 v[160:161], v[160:161], v[8:9] neg_lo:[0,1] neg_hi:[0,1]
	s_wait_dscnt 0x0
	v_pk_mul_f32 v[8:9], v[4:5], v[2:3] op_sel:[0,1]
	s_delay_alu instid0(VALU_DEP_1) | instskip(SKIP_1) | instid1(VALU_DEP_1)
	v_pk_fma_f32 v[10:11], v[4:5], v[0:1], v[8:9] op_sel:[0,0,1] op_sel_hi:[1,1,0] neg_lo:[0,0,1] neg_hi:[0,0,1]
	v_pk_fma_f32 v[4:5], v[4:5], v[0:1], v[8:9] op_sel:[0,0,1] op_sel_hi:[1,0,0]
	v_mov_b32_e32 v11, v5
	v_pk_mul_f32 v[4:5], v[6:7], v[2:3] op_sel:[0,1]
	s_delay_alu instid0(VALU_DEP_2) | instskip(NEXT) | instid1(VALU_DEP_2)
	v_pk_add_f32 v[156:157], v[156:157], v[10:11] neg_lo:[0,1] neg_hi:[0,1]
	v_pk_fma_f32 v[8:9], v[6:7], v[0:1], v[4:5] op_sel:[0,0,1] op_sel_hi:[1,1,0] neg_lo:[0,0,1] neg_hi:[0,0,1]
	v_pk_fma_f32 v[4:5], v[6:7], v[0:1], v[4:5] op_sel:[0,0,1] op_sel_hi:[1,0,0]
	s_delay_alu instid0(VALU_DEP_1) | instskip(SKIP_4) | instid1(VALU_DEP_1)
	v_mov_b32_e32 v9, v5
	ds_load_2addr_b64 v[4:7], v182 offset0:41 offset1:42
	v_pk_add_f32 v[178:179], v[178:179], v[8:9] neg_lo:[0,1] neg_hi:[0,1]
	s_wait_dscnt 0x0
	v_pk_mul_f32 v[8:9], v[4:5], v[2:3] op_sel:[0,1]
	v_pk_fma_f32 v[10:11], v[4:5], v[0:1], v[8:9] op_sel:[0,0,1] op_sel_hi:[1,1,0] neg_lo:[0,0,1] neg_hi:[0,0,1]
	v_pk_fma_f32 v[4:5], v[4:5], v[0:1], v[8:9] op_sel:[0,0,1] op_sel_hi:[1,0,0]
	v_dual_mul_f32 v8, v7, v3 :: v_dual_mov_b32 v4, v7
	s_delay_alu instid0(VALU_DEP_2) | instskip(NEXT) | instid1(VALU_DEP_2)
	v_dual_mov_b32 v11, v5 :: v_dual_mov_b32 v5, v6
	v_pk_fma_f32 v[8:9], v[6:7], v[40:41], v[8:9] op_sel_hi:[1,1,0] neg_lo:[0,0,1] neg_hi:[0,0,1]
	v_mul_f32_e32 v6, v7, v0
	s_delay_alu instid0(VALU_DEP_3) | instskip(NEXT) | instid1(VALU_DEP_2)
	v_pk_add_f32 v[174:175], v[174:175], v[10:11] neg_lo:[0,1] neg_hi:[0,1]
	v_pk_fma_f32 v[4:5], v[4:5], v[40:41], v[6:7] op_sel_hi:[1,1,0]
	s_delay_alu instid0(VALU_DEP_1) | instskip(SKIP_4) | instid1(VALU_DEP_1)
	v_mov_b32_e32 v9, v5
	ds_load_2addr_b64 v[4:7], v182 offset0:43 offset1:44
	v_pk_add_f32 v[176:177], v[176:177], v[8:9] neg_lo:[0,1] neg_hi:[0,1]
	s_wait_dscnt 0x0
	v_pk_mul_f32 v[8:9], v[4:5], v[2:3] op_sel:[0,1]
	v_pk_fma_f32 v[10:11], v[4:5], v[0:1], v[8:9] op_sel:[0,0,1] op_sel_hi:[1,1,0] neg_lo:[0,0,1] neg_hi:[0,0,1]
	v_pk_fma_f32 v[4:5], v[4:5], v[0:1], v[8:9] op_sel:[0,0,1] op_sel_hi:[1,0,0]
	s_delay_alu instid0(VALU_DEP_1) | instskip(SKIP_1) | instid1(VALU_DEP_1)
	v_mov_b32_e32 v11, v5
	v_pk_mul_f32 v[4:5], v[6:7], v[2:3] op_sel:[0,1]
	v_pk_fma_f32 v[8:9], v[6:7], v[0:1], v[4:5] op_sel:[0,0,1] op_sel_hi:[1,1,0] neg_lo:[0,0,1] neg_hi:[0,0,1]
	v_pk_fma_f32 v[4:5], v[6:7], v[0:1], v[4:5] op_sel:[0,0,1] op_sel_hi:[1,0,0]
	s_delay_alu instid0(VALU_DEP_1)
	v_mov_b32_e32 v9, v5
	ds_load_2addr_b64 v[4:7], v182 offset0:45 offset1:46
	v_pk_add_f32 v[172:173], v[172:173], v[10:11] neg_lo:[0,1] neg_hi:[0,1]
	v_pk_add_f32 v[200:201], v[200:201], v[8:9] neg_lo:[0,1] neg_hi:[0,1]
	s_wait_dscnt 0x0
	v_pk_mul_f32 v[8:9], v[4:5], v[2:3] op_sel:[0,1]
	s_delay_alu instid0(VALU_DEP_1) | instskip(SKIP_1) | instid1(VALU_DEP_1)
	v_pk_fma_f32 v[10:11], v[4:5], v[0:1], v[8:9] op_sel:[0,0,1] op_sel_hi:[1,1,0] neg_lo:[0,0,1] neg_hi:[0,0,1]
	v_pk_fma_f32 v[4:5], v[4:5], v[0:1], v[8:9] op_sel:[0,0,1] op_sel_hi:[1,0,0]
	v_mov_b32_e32 v11, v5
	v_pk_mul_f32 v[4:5], v[6:7], v[2:3] op_sel:[0,1]
	s_delay_alu instid0(VALU_DEP_1) | instskip(SKIP_1) | instid1(VALU_DEP_1)
	v_pk_fma_f32 v[8:9], v[6:7], v[0:1], v[4:5] op_sel:[0,0,1] op_sel_hi:[1,1,0] neg_lo:[0,0,1] neg_hi:[0,0,1]
	v_pk_fma_f32 v[4:5], v[6:7], v[0:1], v[4:5] op_sel:[0,0,1] op_sel_hi:[1,0,0]
	v_mov_b32_e32 v9, v5
	ds_load_2addr_b64 v[4:7], v182 offset0:47 offset1:48
	v_pk_add_f32 v[196:197], v[196:197], v[10:11] neg_lo:[0,1] neg_hi:[0,1]
	v_pk_add_f32 v[198:199], v[198:199], v[8:9] neg_lo:[0,1] neg_hi:[0,1]
	s_wait_dscnt 0x0
	v_dual_mul_f32 v8, v5, v3 :: v_dual_mul_f32 v10, v5, v0
	s_delay_alu instid0(VALU_DEP_1) | instskip(NEXT) | instid1(VALU_DEP_2)
	v_pk_fma_f32 v[8:9], v[4:5], v[40:41], v[8:9] op_sel_hi:[1,1,0] neg_lo:[0,0,1] neg_hi:[0,0,1]
	v_pk_fma_f32 v[4:5], v[4:5], v[40:41], v[10:11] op_sel:[1,0,0] op_sel_hi:[0,1,0]
	s_delay_alu instid0(VALU_DEP_1) | instskip(SKIP_1) | instid1(VALU_DEP_2)
	v_mov_b32_e32 v9, v5
	v_pk_mul_f32 v[4:5], v[6:7], v[2:3] op_sel:[0,1]
	v_pk_add_f32 v[194:195], v[194:195], v[8:9] neg_lo:[0,1] neg_hi:[0,1]
	s_delay_alu instid0(VALU_DEP_2) | instskip(SKIP_1) | instid1(VALU_DEP_1)
	v_pk_fma_f32 v[8:9], v[6:7], v[0:1], v[4:5] op_sel:[0,0,1] op_sel_hi:[1,1,0] neg_lo:[0,0,1] neg_hi:[0,0,1]
	v_pk_fma_f32 v[4:5], v[6:7], v[0:1], v[4:5] op_sel:[0,0,1] op_sel_hi:[1,0,0]
	v_mov_b32_e32 v9, v5
	ds_load_2addr_b64 v[4:7], v182 offset0:49 offset1:50
	v_pk_add_f32 v[224:225], v[224:225], v[8:9] neg_lo:[0,1] neg_hi:[0,1]
	s_wait_dscnt 0x0
	v_pk_mul_f32 v[8:9], v[4:5], v[2:3] op_sel:[0,1]
	s_delay_alu instid0(VALU_DEP_1) | instskip(SKIP_1) | instid1(VALU_DEP_1)
	v_pk_fma_f32 v[10:11], v[4:5], v[0:1], v[8:9] op_sel:[0,0,1] op_sel_hi:[1,1,0] neg_lo:[0,0,1] neg_hi:[0,0,1]
	v_pk_fma_f32 v[4:5], v[4:5], v[0:1], v[8:9] op_sel:[0,0,1] op_sel_hi:[1,0,0]
	v_mov_b32_e32 v11, v5
	v_pk_mul_f32 v[4:5], v[6:7], v[2:3] op_sel:[0,1]
	s_delay_alu instid0(VALU_DEP_2) | instskip(NEXT) | instid1(VALU_DEP_2)
	v_pk_add_f32 v[216:217], v[216:217], v[10:11] neg_lo:[0,1] neg_hi:[0,1]
	v_pk_fma_f32 v[8:9], v[6:7], v[0:1], v[4:5] op_sel:[0,0,1] op_sel_hi:[1,1,0] neg_lo:[0,0,1] neg_hi:[0,0,1]
	v_pk_fma_f32 v[4:5], v[6:7], v[0:1], v[4:5] op_sel:[0,0,1] op_sel_hi:[1,0,0]
	s_delay_alu instid0(VALU_DEP_1) | instskip(SKIP_4) | instid1(VALU_DEP_1)
	v_mov_b32_e32 v9, v5
	ds_load_2addr_b64 v[4:7], v182 offset0:51 offset1:52
	v_pk_add_f32 v[222:223], v[222:223], v[8:9] neg_lo:[0,1] neg_hi:[0,1]
	s_wait_dscnt 0x0
	v_pk_mul_f32 v[8:9], v[4:5], v[2:3] op_sel:[0,1]
	v_pk_fma_f32 v[10:11], v[4:5], v[0:1], v[8:9] op_sel:[0,0,1] op_sel_hi:[1,1,0] neg_lo:[0,0,1] neg_hi:[0,0,1]
	v_pk_fma_f32 v[4:5], v[4:5], v[0:1], v[8:9] op_sel:[0,0,1] op_sel_hi:[1,0,0]
	v_dual_mul_f32 v8, v7, v3 :: v_dual_mov_b32 v4, v7
	s_delay_alu instid0(VALU_DEP_2) | instskip(NEXT) | instid1(VALU_DEP_2)
	v_dual_mov_b32 v11, v5 :: v_dual_mov_b32 v5, v6
	v_pk_fma_f32 v[8:9], v[6:7], v[40:41], v[8:9] op_sel_hi:[1,1,0] neg_lo:[0,0,1] neg_hi:[0,0,1]
	v_mul_f32_e32 v6, v7, v0
	s_delay_alu instid0(VALU_DEP_3) | instskip(NEXT) | instid1(VALU_DEP_2)
	v_pk_add_f32 v[214:215], v[214:215], v[10:11] neg_lo:[0,1] neg_hi:[0,1]
	v_pk_fma_f32 v[4:5], v[4:5], v[40:41], v[6:7] op_sel_hi:[1,1,0]
	s_delay_alu instid0(VALU_DEP_1) | instskip(SKIP_4) | instid1(VALU_DEP_1)
	v_mov_b32_e32 v9, v5
	ds_load_2addr_b64 v[4:7], v182 offset0:53 offset1:54
	v_pk_add_f32 v[220:221], v[220:221], v[8:9] neg_lo:[0,1] neg_hi:[0,1]
	s_wait_dscnt 0x0
	v_pk_mul_f32 v[8:9], v[4:5], v[2:3] op_sel:[0,1]
	v_pk_fma_f32 v[10:11], v[4:5], v[0:1], v[8:9] op_sel:[0,0,1] op_sel_hi:[1,1,0] neg_lo:[0,0,1] neg_hi:[0,0,1]
	v_pk_fma_f32 v[4:5], v[4:5], v[0:1], v[8:9] op_sel:[0,0,1] op_sel_hi:[1,0,0]
	s_delay_alu instid0(VALU_DEP_1) | instskip(SKIP_1) | instid1(VALU_DEP_1)
	v_mov_b32_e32 v11, v5
	v_pk_mul_f32 v[4:5], v[6:7], v[2:3] op_sel:[0,1]
	v_pk_fma_f32 v[8:9], v[6:7], v[0:1], v[4:5] op_sel:[0,0,1] op_sel_hi:[1,1,0] neg_lo:[0,0,1] neg_hi:[0,0,1]
	v_pk_fma_f32 v[4:5], v[6:7], v[0:1], v[4:5] op_sel:[0,0,1] op_sel_hi:[1,0,0]
	s_delay_alu instid0(VALU_DEP_1)
	v_mov_b32_e32 v9, v5
	ds_load_2addr_b64 v[4:7], v182 offset0:55 offset1:56
	v_pk_add_f32 v[212:213], v[212:213], v[10:11] neg_lo:[0,1] neg_hi:[0,1]
	v_pk_add_f32 v[218:219], v[218:219], v[8:9] neg_lo:[0,1] neg_hi:[0,1]
	s_wait_dscnt 0x0
	v_pk_mul_f32 v[8:9], v[4:5], v[2:3] op_sel:[0,1]
	v_mul_f32_e32 v2, v7, v3
	s_delay_alu instid0(VALU_DEP_2) | instskip(SKIP_2) | instid1(VALU_DEP_4)
	v_pk_fma_f32 v[10:11], v[4:5], v[0:1], v[8:9] op_sel:[0,0,1] op_sel_hi:[1,1,0] neg_lo:[0,0,1] neg_hi:[0,0,1]
	v_pk_fma_f32 v[4:5], v[4:5], v[0:1], v[8:9] op_sel:[0,0,1] op_sel_hi:[1,0,0]
	v_dual_mov_b32 v4, v7 :: v_dual_mul_f32 v0, v7, v0
	v_pk_fma_f32 v[2:3], v[6:7], v[40:41], v[2:3] op_sel_hi:[1,1,0] neg_lo:[0,0,1] neg_hi:[0,0,1]
	s_delay_alu instid0(VALU_DEP_3) | instskip(NEXT) | instid1(VALU_DEP_1)
	v_dual_mov_b32 v11, v5 :: v_dual_mov_b32 v5, v6
	v_pk_add_f32 v[226:227], v[226:227], v[10:11] neg_lo:[0,1] neg_hi:[0,1]
	s_delay_alu instid0(VALU_DEP_2) | instskip(NEXT) | instid1(VALU_DEP_1)
	v_pk_fma_f32 v[0:1], v[4:5], v[40:41], v[0:1] op_sel_hi:[1,1,0]
	v_mov_b32_e32 v3, v1
	s_delay_alu instid0(VALU_DEP_1)
	v_pk_add_f32 v[228:229], v[228:229], v[2:3] neg_lo:[0,1] neg_hi:[0,1]
.LBB113_82:
	s_wait_xcnt 0x0
	s_or_b32 exec_lo, exec_lo, s1
	s_delay_alu instid0(SALU_CYCLE_1)
	s_mov_b32 s2, exec_lo
	s_wait_storecnt 0x0
	s_barrier_signal -1
	s_barrier_wait -1
	v_cmpx_eq_u32_e32 9, v180
	s_cbranch_execz .LBB113_89
; %bb.83:
	v_dual_mov_b32 v0, v38 :: v_dual_mov_b32 v1, v39
	v_dual_mov_b32 v2, v34 :: v_dual_mov_b32 v3, v35
	ds_store_b64 v181, v[36:37]
	ds_store_2addr_b64 v182, v[0:1], v[2:3] offset0:10 offset1:11
	v_dual_mov_b32 v0, v64 :: v_dual_mov_b32 v1, v65
	v_dual_mov_b32 v2, v60 :: v_dual_mov_b32 v3, v61
	ds_store_2addr_b64 v182, v[0:1], v[2:3] offset0:12 offset1:13
	v_dual_mov_b32 v0, v62 :: v_dual_mov_b32 v1, v63
	v_dual_mov_b32 v2, v58 :: v_dual_mov_b32 v3, v59
	;; [unrolled: 3-line block ×22, first 2 shown]
	ds_store_2addr_b64 v182, v[0:1], v[2:3] offset0:54 offset1:55
	ds_store_b64 v182, v[228:229] offset:448
	ds_load_b64 v[0:1], v181
	s_wait_dscnt 0x0
	v_cmp_neq_f32_e32 vcc_lo, 0, v0
	v_cmp_neq_f32_e64 s1, 0, v1
	s_or_b32 s1, vcc_lo, s1
	s_delay_alu instid0(SALU_CYCLE_1)
	s_and_b32 exec_lo, exec_lo, s1
	s_cbranch_execz .LBB113_89
; %bb.84:
	v_cmp_ngt_f32_e64 s1, |v0|, |v1|
                                        ; implicit-def: $vgpr2_vgpr3
	s_and_saveexec_b32 s4, s1
	s_delay_alu instid0(SALU_CYCLE_1)
	s_xor_b32 s1, exec_lo, s4
	s_cbranch_execz .LBB113_86
; %bb.85:
	v_div_scale_f32 v2, null, v1, v1, v0
	v_div_scale_f32 v5, vcc_lo, v0, v1, v0
	s_delay_alu instid0(VALU_DEP_2) | instskip(SKIP_1) | instid1(TRANS32_DEP_1)
	v_rcp_f32_e32 v3, v2
	v_nop
	v_fma_f32 v4, -v2, v3, 1.0
	s_delay_alu instid0(VALU_DEP_1) | instskip(NEXT) | instid1(VALU_DEP_1)
	v_fmac_f32_e32 v3, v4, v3
	v_mul_f32_e32 v4, v5, v3
	s_delay_alu instid0(VALU_DEP_1) | instskip(NEXT) | instid1(VALU_DEP_1)
	v_fma_f32 v6, -v2, v4, v5
	v_fmac_f32_e32 v4, v6, v3
	s_delay_alu instid0(VALU_DEP_1) | instskip(NEXT) | instid1(VALU_DEP_1)
	v_fma_f32 v2, -v2, v4, v5
	v_div_fmas_f32 v2, v2, v3, v4
	s_delay_alu instid0(VALU_DEP_1) | instskip(NEXT) | instid1(VALU_DEP_1)
	v_div_fixup_f32 v2, v2, v1, v0
	v_fmac_f32_e32 v1, v0, v2
	s_delay_alu instid0(VALU_DEP_1) | instskip(SKIP_1) | instid1(VALU_DEP_2)
	v_div_scale_f32 v0, null, v1, v1, 1.0
	v_div_scale_f32 v5, vcc_lo, 1.0, v1, 1.0
	v_rcp_f32_e32 v3, v0
	v_nop
	s_delay_alu instid0(TRANS32_DEP_1) | instskip(NEXT) | instid1(VALU_DEP_1)
	v_fma_f32 v4, -v0, v3, 1.0
	v_fmac_f32_e32 v3, v4, v3
	s_delay_alu instid0(VALU_DEP_1) | instskip(NEXT) | instid1(VALU_DEP_1)
	v_mul_f32_e32 v4, v5, v3
	v_fma_f32 v6, -v0, v4, v5
	s_delay_alu instid0(VALU_DEP_1) | instskip(NEXT) | instid1(VALU_DEP_1)
	v_fmac_f32_e32 v4, v6, v3
	v_fma_f32 v0, -v0, v4, v5
	s_delay_alu instid0(VALU_DEP_1) | instskip(NEXT) | instid1(VALU_DEP_1)
	v_div_fmas_f32 v0, v0, v3, v4
	v_div_fixup_f32 v0, v0, v1, 1.0
	s_delay_alu instid0(VALU_DEP_1)
	v_mul_f32_e32 v2, v2, v0
	v_xor_b32_e32 v3, 0x80000000, v0
                                        ; implicit-def: $vgpr0_vgpr1
.LBB113_86:
	s_and_not1_saveexec_b32 s1, s1
	s_cbranch_execz .LBB113_88
; %bb.87:
	v_div_scale_f32 v2, null, v0, v0, v1
	v_div_scale_f32 v5, vcc_lo, v1, v0, v1
	s_delay_alu instid0(VALU_DEP_2) | instskip(SKIP_1) | instid1(TRANS32_DEP_1)
	v_rcp_f32_e32 v3, v2
	v_nop
	v_fma_f32 v4, -v2, v3, 1.0
	s_delay_alu instid0(VALU_DEP_1) | instskip(NEXT) | instid1(VALU_DEP_1)
	v_fmac_f32_e32 v3, v4, v3
	v_mul_f32_e32 v4, v5, v3
	s_delay_alu instid0(VALU_DEP_1) | instskip(NEXT) | instid1(VALU_DEP_1)
	v_fma_f32 v6, -v2, v4, v5
	v_fmac_f32_e32 v4, v6, v3
	s_delay_alu instid0(VALU_DEP_1) | instskip(NEXT) | instid1(VALU_DEP_1)
	v_fma_f32 v2, -v2, v4, v5
	v_div_fmas_f32 v2, v2, v3, v4
	s_delay_alu instid0(VALU_DEP_1) | instskip(NEXT) | instid1(VALU_DEP_1)
	v_div_fixup_f32 v3, v2, v0, v1
	v_fmac_f32_e32 v0, v1, v3
	s_delay_alu instid0(VALU_DEP_1) | instskip(NEXT) | instid1(VALU_DEP_1)
	v_div_scale_f32 v1, null, v0, v0, 1.0
	v_rcp_f32_e32 v2, v1
	v_nop
	s_delay_alu instid0(TRANS32_DEP_1) | instskip(NEXT) | instid1(VALU_DEP_1)
	v_fma_f32 v4, -v1, v2, 1.0
	v_fmac_f32_e32 v2, v4, v2
	v_div_scale_f32 v4, vcc_lo, 1.0, v0, 1.0
	s_delay_alu instid0(VALU_DEP_1) | instskip(NEXT) | instid1(VALU_DEP_1)
	v_mul_f32_e32 v5, v4, v2
	v_fma_f32 v6, -v1, v5, v4
	s_delay_alu instid0(VALU_DEP_1) | instskip(NEXT) | instid1(VALU_DEP_1)
	v_fmac_f32_e32 v5, v6, v2
	v_fma_f32 v1, -v1, v5, v4
	s_delay_alu instid0(VALU_DEP_1) | instskip(NEXT) | instid1(VALU_DEP_1)
	v_div_fmas_f32 v1, v1, v2, v5
	v_div_fixup_f32 v2, v1, v0, 1.0
	s_delay_alu instid0(VALU_DEP_1)
	v_mul_f32_e64 v3, v3, -v2
.LBB113_88:
	s_or_b32 exec_lo, exec_lo, s1
	ds_store_b64 v181, v[2:3]
.LBB113_89:
	s_or_b32 exec_lo, exec_lo, s2
	s_wait_dscnt 0x0
	s_barrier_signal -1
	s_barrier_wait -1
	ds_load_b64 v[0:1], v181
	s_mov_b32 s1, exec_lo
	s_wait_dscnt 0x0
	scratch_store_b64 off, v[0:1], off offset:360 ; 8-byte Folded Spill
	s_wait_xcnt 0x0
	v_cmpx_lt_u32_e32 9, v180
	s_cbranch_execz .LBB113_91
; %bb.90:
	scratch_load_b64 v[4:5], off, off offset:360 ; 8-byte Folded Reload
	s_wait_loadcnt 0x0
	v_pk_mul_f32 v[2:3], v[4:5], v[36:37] op_sel:[1,1] op_sel_hi:[0,1]
	s_delay_alu instid0(VALU_DEP_1)
	v_pk_fma_f32 v[0:1], v[4:5], v[36:37], v[2:3] op_sel_hi:[1,0,1] neg_lo:[0,0,1] neg_hi:[0,0,1]
	v_pk_fma_f32 v[2:3], v[4:5], v[36:37], v[2:3] op_sel_hi:[1,0,1]
	ds_load_2addr_b64 v[4:7], v182 offset0:10 offset1:11
	v_dual_mov_b32 v36, v0 :: v_dual_mov_b32 v37, v3
	s_wait_dscnt 0x0
	v_pk_mul_f32 v[8:9], v[4:5], v[2:3] op_sel:[0,1]
	s_delay_alu instid0(VALU_DEP_1) | instskip(SKIP_1) | instid1(VALU_DEP_1)
	v_pk_fma_f32 v[10:11], v[4:5], v[0:1], v[8:9] op_sel:[0,0,1] op_sel_hi:[1,1,0] neg_lo:[0,0,1] neg_hi:[0,0,1]
	v_pk_fma_f32 v[4:5], v[4:5], v[0:1], v[8:9] op_sel:[0,0,1] op_sel_hi:[1,0,0]
	v_mov_b32_e32 v11, v5
	v_pk_mul_f32 v[4:5], v[6:7], v[2:3] op_sel:[0,1]
	s_delay_alu instid0(VALU_DEP_1) | instskip(SKIP_1) | instid1(VALU_DEP_1)
	v_pk_fma_f32 v[8:9], v[6:7], v[0:1], v[4:5] op_sel:[0,0,1] op_sel_hi:[1,1,0] neg_lo:[0,0,1] neg_hi:[0,0,1]
	v_pk_fma_f32 v[4:5], v[6:7], v[0:1], v[4:5] op_sel:[0,0,1] op_sel_hi:[1,0,0]
	v_mov_b32_e32 v9, v5
	ds_load_2addr_b64 v[4:7], v182 offset0:12 offset1:13
	v_pk_add_f32 v[38:39], v[38:39], v[10:11] neg_lo:[0,1] neg_hi:[0,1]
	v_pk_add_f32 v[34:35], v[34:35], v[8:9] neg_lo:[0,1] neg_hi:[0,1]
	s_wait_dscnt 0x0
	v_pk_mul_f32 v[8:9], v[4:5], v[2:3] op_sel:[0,1]
	s_delay_alu instid0(VALU_DEP_1) | instskip(SKIP_2) | instid1(VALU_DEP_2)
	v_pk_fma_f32 v[10:11], v[4:5], v[0:1], v[8:9] op_sel:[0,0,1] op_sel_hi:[1,1,0] neg_lo:[0,0,1] neg_hi:[0,0,1]
	v_pk_fma_f32 v[4:5], v[4:5], v[0:1], v[8:9] op_sel:[0,0,1] op_sel_hi:[1,0,0]
	v_dual_mul_f32 v8, v7, v3 :: v_dual_mov_b32 v4, v7
	v_dual_mov_b32 v11, v5 :: v_dual_mov_b32 v5, v6
	s_delay_alu instid0(VALU_DEP_2) | instskip(SKIP_1) | instid1(VALU_DEP_3)
	v_pk_fma_f32 v[8:9], v[6:7], v[36:37], v[8:9] op_sel_hi:[1,1,0] neg_lo:[0,0,1] neg_hi:[0,0,1]
	v_mul_f32_e32 v6, v7, v0
	v_pk_add_f32 v[64:65], v[64:65], v[10:11] neg_lo:[0,1] neg_hi:[0,1]
	s_delay_alu instid0(VALU_DEP_2) | instskip(NEXT) | instid1(VALU_DEP_1)
	v_pk_fma_f32 v[4:5], v[4:5], v[36:37], v[6:7] op_sel_hi:[1,1,0]
	v_mov_b32_e32 v9, v5
	ds_load_2addr_b64 v[4:7], v182 offset0:14 offset1:15
	v_pk_add_f32 v[60:61], v[60:61], v[8:9] neg_lo:[0,1] neg_hi:[0,1]
	s_wait_dscnt 0x0
	v_pk_mul_f32 v[8:9], v[4:5], v[2:3] op_sel:[0,1]
	s_delay_alu instid0(VALU_DEP_1) | instskip(SKIP_1) | instid1(VALU_DEP_1)
	v_pk_fma_f32 v[10:11], v[4:5], v[0:1], v[8:9] op_sel:[0,0,1] op_sel_hi:[1,1,0] neg_lo:[0,0,1] neg_hi:[0,0,1]
	v_pk_fma_f32 v[4:5], v[4:5], v[0:1], v[8:9] op_sel:[0,0,1] op_sel_hi:[1,0,0]
	v_mov_b32_e32 v11, v5
	v_pk_mul_f32 v[4:5], v[6:7], v[2:3] op_sel:[0,1]
	s_delay_alu instid0(VALU_DEP_1) | instskip(SKIP_1) | instid1(VALU_DEP_1)
	v_pk_fma_f32 v[8:9], v[6:7], v[0:1], v[4:5] op_sel:[0,0,1] op_sel_hi:[1,1,0] neg_lo:[0,0,1] neg_hi:[0,0,1]
	v_pk_fma_f32 v[4:5], v[6:7], v[0:1], v[4:5] op_sel:[0,0,1] op_sel_hi:[1,0,0]
	v_mov_b32_e32 v9, v5
	ds_load_2addr_b64 v[4:7], v182 offset0:16 offset1:17
	v_pk_add_f32 v[62:63], v[62:63], v[10:11] neg_lo:[0,1] neg_hi:[0,1]
	v_pk_add_f32 v[58:59], v[58:59], v[8:9] neg_lo:[0,1] neg_hi:[0,1]
	s_wait_dscnt 0x0
	v_pk_mul_f32 v[8:9], v[4:5], v[2:3] op_sel:[0,1]
	s_delay_alu instid0(VALU_DEP_1) | instskip(SKIP_1) | instid1(VALU_DEP_1)
	v_pk_fma_f32 v[10:11], v[4:5], v[0:1], v[8:9] op_sel:[0,0,1] op_sel_hi:[1,1,0] neg_lo:[0,0,1] neg_hi:[0,0,1]
	v_pk_fma_f32 v[4:5], v[4:5], v[0:1], v[8:9] op_sel:[0,0,1] op_sel_hi:[1,0,0]
	v_mov_b32_e32 v11, v5
	v_pk_mul_f32 v[4:5], v[6:7], v[2:3] op_sel:[0,1]
	s_delay_alu instid0(VALU_DEP_1) | instskip(SKIP_1) | instid1(VALU_DEP_1)
	v_pk_fma_f32 v[8:9], v[6:7], v[0:1], v[4:5] op_sel:[0,0,1] op_sel_hi:[1,1,0] neg_lo:[0,0,1] neg_hi:[0,0,1]
	v_pk_fma_f32 v[4:5], v[6:7], v[0:1], v[4:5] op_sel:[0,0,1] op_sel_hi:[1,0,0]
	v_mov_b32_e32 v9, v5
	ds_load_2addr_b64 v[4:7], v182 offset0:18 offset1:19
	v_pk_add_f32 v[80:81], v[80:81], v[10:11] neg_lo:[0,1] neg_hi:[0,1]
	v_pk_add_f32 v[76:77], v[76:77], v[8:9] neg_lo:[0,1] neg_hi:[0,1]
	s_wait_dscnt 0x0
	v_dual_mul_f32 v8, v5, v3 :: v_dual_mul_f32 v10, v5, v0
	s_delay_alu instid0(VALU_DEP_1) | instskip(NEXT) | instid1(VALU_DEP_2)
	v_pk_fma_f32 v[8:9], v[4:5], v[36:37], v[8:9] op_sel_hi:[1,1,0] neg_lo:[0,0,1] neg_hi:[0,0,1]
	v_pk_fma_f32 v[4:5], v[4:5], v[36:37], v[10:11] op_sel:[1,0,0] op_sel_hi:[0,1,0]
	s_delay_alu instid0(VALU_DEP_1) | instskip(SKIP_1) | instid1(VALU_DEP_2)
	v_mov_b32_e32 v9, v5
	v_pk_mul_f32 v[4:5], v[6:7], v[2:3] op_sel:[0,1]
	v_pk_add_f32 v[78:79], v[78:79], v[8:9] neg_lo:[0,1] neg_hi:[0,1]
	s_delay_alu instid0(VALU_DEP_2) | instskip(SKIP_1) | instid1(VALU_DEP_1)
	v_pk_fma_f32 v[8:9], v[6:7], v[0:1], v[4:5] op_sel:[0,0,1] op_sel_hi:[1,1,0] neg_lo:[0,0,1] neg_hi:[0,0,1]
	v_pk_fma_f32 v[4:5], v[6:7], v[0:1], v[4:5] op_sel:[0,0,1] op_sel_hi:[1,0,0]
	v_mov_b32_e32 v9, v5
	ds_load_2addr_b64 v[4:7], v182 offset0:20 offset1:21
	v_pk_add_f32 v[74:75], v[74:75], v[8:9] neg_lo:[0,1] neg_hi:[0,1]
	s_wait_dscnt 0x0
	v_pk_mul_f32 v[8:9], v[4:5], v[2:3] op_sel:[0,1]
	s_delay_alu instid0(VALU_DEP_1) | instskip(SKIP_1) | instid1(VALU_DEP_1)
	v_pk_fma_f32 v[10:11], v[4:5], v[0:1], v[8:9] op_sel:[0,0,1] op_sel_hi:[1,1,0] neg_lo:[0,0,1] neg_hi:[0,0,1]
	v_pk_fma_f32 v[4:5], v[4:5], v[0:1], v[8:9] op_sel:[0,0,1] op_sel_hi:[1,0,0]
	v_mov_b32_e32 v11, v5
	v_pk_mul_f32 v[4:5], v[6:7], v[2:3] op_sel:[0,1]
	s_delay_alu instid0(VALU_DEP_2) | instskip(NEXT) | instid1(VALU_DEP_2)
	v_pk_add_f32 v[98:99], v[98:99], v[10:11] neg_lo:[0,1] neg_hi:[0,1]
	v_pk_fma_f32 v[8:9], v[6:7], v[0:1], v[4:5] op_sel:[0,0,1] op_sel_hi:[1,1,0] neg_lo:[0,0,1] neg_hi:[0,0,1]
	v_pk_fma_f32 v[4:5], v[6:7], v[0:1], v[4:5] op_sel:[0,0,1] op_sel_hi:[1,0,0]
	s_delay_alu instid0(VALU_DEP_1) | instskip(SKIP_4) | instid1(VALU_DEP_1)
	v_mov_b32_e32 v9, v5
	ds_load_2addr_b64 v[4:7], v182 offset0:22 offset1:23
	v_pk_add_f32 v[94:95], v[94:95], v[8:9] neg_lo:[0,1] neg_hi:[0,1]
	s_wait_dscnt 0x0
	v_pk_mul_f32 v[8:9], v[4:5], v[2:3] op_sel:[0,1]
	v_pk_fma_f32 v[10:11], v[4:5], v[0:1], v[8:9] op_sel:[0,0,1] op_sel_hi:[1,1,0] neg_lo:[0,0,1] neg_hi:[0,0,1]
	v_pk_fma_f32 v[4:5], v[4:5], v[0:1], v[8:9] op_sel:[0,0,1] op_sel_hi:[1,0,0]
	v_dual_mul_f32 v8, v7, v3 :: v_dual_mov_b32 v4, v7
	s_delay_alu instid0(VALU_DEP_2) | instskip(NEXT) | instid1(VALU_DEP_2)
	v_dual_mov_b32 v11, v5 :: v_dual_mov_b32 v5, v6
	v_pk_fma_f32 v[8:9], v[6:7], v[36:37], v[8:9] op_sel_hi:[1,1,0] neg_lo:[0,0,1] neg_hi:[0,0,1]
	v_mul_f32_e32 v6, v7, v0
	s_delay_alu instid0(VALU_DEP_3) | instskip(NEXT) | instid1(VALU_DEP_2)
	v_pk_add_f32 v[96:97], v[96:97], v[10:11] neg_lo:[0,1] neg_hi:[0,1]
	v_pk_fma_f32 v[4:5], v[4:5], v[36:37], v[6:7] op_sel_hi:[1,1,0]
	s_delay_alu instid0(VALU_DEP_1) | instskip(SKIP_4) | instid1(VALU_DEP_1)
	v_mov_b32_e32 v9, v5
	ds_load_2addr_b64 v[4:7], v182 offset0:24 offset1:25
	v_pk_add_f32 v[92:93], v[92:93], v[8:9] neg_lo:[0,1] neg_hi:[0,1]
	s_wait_dscnt 0x0
	v_pk_mul_f32 v[8:9], v[4:5], v[2:3] op_sel:[0,1]
	v_pk_fma_f32 v[10:11], v[4:5], v[0:1], v[8:9] op_sel:[0,0,1] op_sel_hi:[1,1,0] neg_lo:[0,0,1] neg_hi:[0,0,1]
	v_pk_fma_f32 v[4:5], v[4:5], v[0:1], v[8:9] op_sel:[0,0,1] op_sel_hi:[1,0,0]
	s_delay_alu instid0(VALU_DEP_1) | instskip(SKIP_1) | instid1(VALU_DEP_1)
	v_mov_b32_e32 v11, v5
	v_pk_mul_f32 v[4:5], v[6:7], v[2:3] op_sel:[0,1]
	v_pk_fma_f32 v[8:9], v[6:7], v[0:1], v[4:5] op_sel:[0,0,1] op_sel_hi:[1,1,0] neg_lo:[0,0,1] neg_hi:[0,0,1]
	v_pk_fma_f32 v[4:5], v[6:7], v[0:1], v[4:5] op_sel:[0,0,1] op_sel_hi:[1,0,0]
	s_delay_alu instid0(VALU_DEP_1)
	v_mov_b32_e32 v9, v5
	ds_load_2addr_b64 v[4:7], v182 offset0:26 offset1:27
	v_pk_add_f32 v[114:115], v[114:115], v[10:11] neg_lo:[0,1] neg_hi:[0,1]
	v_pk_add_f32 v[110:111], v[110:111], v[8:9] neg_lo:[0,1] neg_hi:[0,1]
	s_wait_dscnt 0x0
	v_pk_mul_f32 v[8:9], v[4:5], v[2:3] op_sel:[0,1]
	s_delay_alu instid0(VALU_DEP_1) | instskip(SKIP_1) | instid1(VALU_DEP_1)
	v_pk_fma_f32 v[10:11], v[4:5], v[0:1], v[8:9] op_sel:[0,0,1] op_sel_hi:[1,1,0] neg_lo:[0,0,1] neg_hi:[0,0,1]
	v_pk_fma_f32 v[4:5], v[4:5], v[0:1], v[8:9] op_sel:[0,0,1] op_sel_hi:[1,0,0]
	v_mov_b32_e32 v11, v5
	v_pk_mul_f32 v[4:5], v[6:7], v[2:3] op_sel:[0,1]
	s_delay_alu instid0(VALU_DEP_1) | instskip(SKIP_1) | instid1(VALU_DEP_1)
	v_pk_fma_f32 v[8:9], v[6:7], v[0:1], v[4:5] op_sel:[0,0,1] op_sel_hi:[1,1,0] neg_lo:[0,0,1] neg_hi:[0,0,1]
	v_pk_fma_f32 v[4:5], v[6:7], v[0:1], v[4:5] op_sel:[0,0,1] op_sel_hi:[1,0,0]
	v_mov_b32_e32 v9, v5
	ds_load_2addr_b64 v[4:7], v182 offset0:28 offset1:29
	v_pk_add_f32 v[112:113], v[112:113], v[10:11] neg_lo:[0,1] neg_hi:[0,1]
	v_pk_add_f32 v[108:109], v[108:109], v[8:9] neg_lo:[0,1] neg_hi:[0,1]
	s_wait_dscnt 0x0
	v_dual_mul_f32 v8, v5, v3 :: v_dual_mul_f32 v10, v5, v0
	s_delay_alu instid0(VALU_DEP_1) | instskip(NEXT) | instid1(VALU_DEP_2)
	v_pk_fma_f32 v[8:9], v[4:5], v[36:37], v[8:9] op_sel_hi:[1,1,0] neg_lo:[0,0,1] neg_hi:[0,0,1]
	v_pk_fma_f32 v[4:5], v[4:5], v[36:37], v[10:11] op_sel:[1,0,0] op_sel_hi:[0,1,0]
	s_delay_alu instid0(VALU_DEP_1) | instskip(SKIP_1) | instid1(VALU_DEP_2)
	v_mov_b32_e32 v9, v5
	v_pk_mul_f32 v[4:5], v[6:7], v[2:3] op_sel:[0,1]
	v_pk_add_f32 v[130:131], v[130:131], v[8:9] neg_lo:[0,1] neg_hi:[0,1]
	s_delay_alu instid0(VALU_DEP_2) | instskip(SKIP_1) | instid1(VALU_DEP_1)
	v_pk_fma_f32 v[8:9], v[6:7], v[0:1], v[4:5] op_sel:[0,0,1] op_sel_hi:[1,1,0] neg_lo:[0,0,1] neg_hi:[0,0,1]
	v_pk_fma_f32 v[4:5], v[6:7], v[0:1], v[4:5] op_sel:[0,0,1] op_sel_hi:[1,0,0]
	v_mov_b32_e32 v9, v5
	ds_load_2addr_b64 v[4:7], v182 offset0:30 offset1:31
	v_pk_add_f32 v[126:127], v[126:127], v[8:9] neg_lo:[0,1] neg_hi:[0,1]
	s_wait_dscnt 0x0
	v_pk_mul_f32 v[8:9], v[4:5], v[2:3] op_sel:[0,1]
	s_delay_alu instid0(VALU_DEP_1) | instskip(SKIP_1) | instid1(VALU_DEP_1)
	v_pk_fma_f32 v[10:11], v[4:5], v[0:1], v[8:9] op_sel:[0,0,1] op_sel_hi:[1,1,0] neg_lo:[0,0,1] neg_hi:[0,0,1]
	v_pk_fma_f32 v[4:5], v[4:5], v[0:1], v[8:9] op_sel:[0,0,1] op_sel_hi:[1,0,0]
	v_mov_b32_e32 v11, v5
	v_pk_mul_f32 v[4:5], v[6:7], v[2:3] op_sel:[0,1]
	s_delay_alu instid0(VALU_DEP_2) | instskip(NEXT) | instid1(VALU_DEP_2)
	v_pk_add_f32 v[128:129], v[128:129], v[10:11] neg_lo:[0,1] neg_hi:[0,1]
	v_pk_fma_f32 v[8:9], v[6:7], v[0:1], v[4:5] op_sel:[0,0,1] op_sel_hi:[1,1,0] neg_lo:[0,0,1] neg_hi:[0,0,1]
	v_pk_fma_f32 v[4:5], v[6:7], v[0:1], v[4:5] op_sel:[0,0,1] op_sel_hi:[1,0,0]
	s_delay_alu instid0(VALU_DEP_1) | instskip(SKIP_4) | instid1(VALU_DEP_1)
	v_mov_b32_e32 v9, v5
	ds_load_2addr_b64 v[4:7], v182 offset0:32 offset1:33
	v_pk_add_f32 v[124:125], v[124:125], v[8:9] neg_lo:[0,1] neg_hi:[0,1]
	s_wait_dscnt 0x0
	v_pk_mul_f32 v[8:9], v[4:5], v[2:3] op_sel:[0,1]
	v_pk_fma_f32 v[10:11], v[4:5], v[0:1], v[8:9] op_sel:[0,0,1] op_sel_hi:[1,1,0] neg_lo:[0,0,1] neg_hi:[0,0,1]
	v_pk_fma_f32 v[4:5], v[4:5], v[0:1], v[8:9] op_sel:[0,0,1] op_sel_hi:[1,0,0]
	v_dual_mul_f32 v8, v7, v3 :: v_dual_mov_b32 v4, v7
	s_delay_alu instid0(VALU_DEP_2) | instskip(NEXT) | instid1(VALU_DEP_2)
	v_dual_mov_b32 v11, v5 :: v_dual_mov_b32 v5, v6
	v_pk_fma_f32 v[8:9], v[6:7], v[36:37], v[8:9] op_sel_hi:[1,1,0] neg_lo:[0,0,1] neg_hi:[0,0,1]
	v_mul_f32_e32 v6, v7, v0
	s_delay_alu instid0(VALU_DEP_3) | instskip(NEXT) | instid1(VALU_DEP_2)
	v_pk_add_f32 v[146:147], v[146:147], v[10:11] neg_lo:[0,1] neg_hi:[0,1]
	v_pk_fma_f32 v[4:5], v[4:5], v[36:37], v[6:7] op_sel_hi:[1,1,0]
	s_delay_alu instid0(VALU_DEP_1) | instskip(SKIP_4) | instid1(VALU_DEP_1)
	v_mov_b32_e32 v9, v5
	ds_load_2addr_b64 v[4:7], v182 offset0:34 offset1:35
	v_pk_add_f32 v[142:143], v[142:143], v[8:9] neg_lo:[0,1] neg_hi:[0,1]
	s_wait_dscnt 0x0
	v_pk_mul_f32 v[8:9], v[4:5], v[2:3] op_sel:[0,1]
	v_pk_fma_f32 v[10:11], v[4:5], v[0:1], v[8:9] op_sel:[0,0,1] op_sel_hi:[1,1,0] neg_lo:[0,0,1] neg_hi:[0,0,1]
	v_pk_fma_f32 v[4:5], v[4:5], v[0:1], v[8:9] op_sel:[0,0,1] op_sel_hi:[1,0,0]
	s_delay_alu instid0(VALU_DEP_1) | instskip(SKIP_1) | instid1(VALU_DEP_1)
	v_mov_b32_e32 v11, v5
	v_pk_mul_f32 v[4:5], v[6:7], v[2:3] op_sel:[0,1]
	v_pk_fma_f32 v[8:9], v[6:7], v[0:1], v[4:5] op_sel:[0,0,1] op_sel_hi:[1,1,0] neg_lo:[0,0,1] neg_hi:[0,0,1]
	v_pk_fma_f32 v[4:5], v[6:7], v[0:1], v[4:5] op_sel:[0,0,1] op_sel_hi:[1,0,0]
	s_delay_alu instid0(VALU_DEP_1)
	v_mov_b32_e32 v9, v5
	ds_load_2addr_b64 v[4:7], v182 offset0:36 offset1:37
	v_pk_add_f32 v[144:145], v[144:145], v[10:11] neg_lo:[0,1] neg_hi:[0,1]
	v_pk_add_f32 v[140:141], v[140:141], v[8:9] neg_lo:[0,1] neg_hi:[0,1]
	s_wait_dscnt 0x0
	v_pk_mul_f32 v[8:9], v[4:5], v[2:3] op_sel:[0,1]
	s_delay_alu instid0(VALU_DEP_1) | instskip(SKIP_1) | instid1(VALU_DEP_1)
	v_pk_fma_f32 v[10:11], v[4:5], v[0:1], v[8:9] op_sel:[0,0,1] op_sel_hi:[1,1,0] neg_lo:[0,0,1] neg_hi:[0,0,1]
	v_pk_fma_f32 v[4:5], v[4:5], v[0:1], v[8:9] op_sel:[0,0,1] op_sel_hi:[1,0,0]
	v_mov_b32_e32 v11, v5
	v_pk_mul_f32 v[4:5], v[6:7], v[2:3] op_sel:[0,1]
	s_delay_alu instid0(VALU_DEP_1) | instskip(SKIP_1) | instid1(VALU_DEP_1)
	v_pk_fma_f32 v[8:9], v[6:7], v[0:1], v[4:5] op_sel:[0,0,1] op_sel_hi:[1,1,0] neg_lo:[0,0,1] neg_hi:[0,0,1]
	v_pk_fma_f32 v[4:5], v[6:7], v[0:1], v[4:5] op_sel:[0,0,1] op_sel_hi:[1,0,0]
	v_mov_b32_e32 v9, v5
	ds_load_2addr_b64 v[4:7], v182 offset0:38 offset1:39
	v_pk_add_f32 v[162:163], v[162:163], v[10:11] neg_lo:[0,1] neg_hi:[0,1]
	v_pk_add_f32 v[158:159], v[158:159], v[8:9] neg_lo:[0,1] neg_hi:[0,1]
	s_wait_dscnt 0x0
	v_dual_mul_f32 v8, v5, v3 :: v_dual_mul_f32 v10, v5, v0
	s_delay_alu instid0(VALU_DEP_1) | instskip(NEXT) | instid1(VALU_DEP_2)
	v_pk_fma_f32 v[8:9], v[4:5], v[36:37], v[8:9] op_sel_hi:[1,1,0] neg_lo:[0,0,1] neg_hi:[0,0,1]
	v_pk_fma_f32 v[4:5], v[4:5], v[36:37], v[10:11] op_sel:[1,0,0] op_sel_hi:[0,1,0]
	s_delay_alu instid0(VALU_DEP_1) | instskip(SKIP_1) | instid1(VALU_DEP_2)
	v_mov_b32_e32 v9, v5
	v_pk_mul_f32 v[4:5], v[6:7], v[2:3] op_sel:[0,1]
	v_pk_add_f32 v[160:161], v[160:161], v[8:9] neg_lo:[0,1] neg_hi:[0,1]
	s_delay_alu instid0(VALU_DEP_2) | instskip(SKIP_1) | instid1(VALU_DEP_1)
	v_pk_fma_f32 v[8:9], v[6:7], v[0:1], v[4:5] op_sel:[0,0,1] op_sel_hi:[1,1,0] neg_lo:[0,0,1] neg_hi:[0,0,1]
	v_pk_fma_f32 v[4:5], v[6:7], v[0:1], v[4:5] op_sel:[0,0,1] op_sel_hi:[1,0,0]
	v_mov_b32_e32 v9, v5
	ds_load_2addr_b64 v[4:7], v182 offset0:40 offset1:41
	v_pk_add_f32 v[156:157], v[156:157], v[8:9] neg_lo:[0,1] neg_hi:[0,1]
	s_wait_dscnt 0x0
	v_pk_mul_f32 v[8:9], v[4:5], v[2:3] op_sel:[0,1]
	s_delay_alu instid0(VALU_DEP_1) | instskip(SKIP_1) | instid1(VALU_DEP_1)
	v_pk_fma_f32 v[10:11], v[4:5], v[0:1], v[8:9] op_sel:[0,0,1] op_sel_hi:[1,1,0] neg_lo:[0,0,1] neg_hi:[0,0,1]
	v_pk_fma_f32 v[4:5], v[4:5], v[0:1], v[8:9] op_sel:[0,0,1] op_sel_hi:[1,0,0]
	v_mov_b32_e32 v11, v5
	v_pk_mul_f32 v[4:5], v[6:7], v[2:3] op_sel:[0,1]
	s_delay_alu instid0(VALU_DEP_2) | instskip(NEXT) | instid1(VALU_DEP_2)
	v_pk_add_f32 v[178:179], v[178:179], v[10:11] neg_lo:[0,1] neg_hi:[0,1]
	v_pk_fma_f32 v[8:9], v[6:7], v[0:1], v[4:5] op_sel:[0,0,1] op_sel_hi:[1,1,0] neg_lo:[0,0,1] neg_hi:[0,0,1]
	v_pk_fma_f32 v[4:5], v[6:7], v[0:1], v[4:5] op_sel:[0,0,1] op_sel_hi:[1,0,0]
	s_delay_alu instid0(VALU_DEP_1) | instskip(SKIP_4) | instid1(VALU_DEP_1)
	v_mov_b32_e32 v9, v5
	ds_load_2addr_b64 v[4:7], v182 offset0:42 offset1:43
	v_pk_add_f32 v[174:175], v[174:175], v[8:9] neg_lo:[0,1] neg_hi:[0,1]
	s_wait_dscnt 0x0
	v_pk_mul_f32 v[8:9], v[4:5], v[2:3] op_sel:[0,1]
	v_pk_fma_f32 v[10:11], v[4:5], v[0:1], v[8:9] op_sel:[0,0,1] op_sel_hi:[1,1,0] neg_lo:[0,0,1] neg_hi:[0,0,1]
	v_pk_fma_f32 v[4:5], v[4:5], v[0:1], v[8:9] op_sel:[0,0,1] op_sel_hi:[1,0,0]
	v_dual_mul_f32 v8, v7, v3 :: v_dual_mov_b32 v4, v7
	s_delay_alu instid0(VALU_DEP_2) | instskip(NEXT) | instid1(VALU_DEP_2)
	v_dual_mov_b32 v11, v5 :: v_dual_mov_b32 v5, v6
	v_pk_fma_f32 v[8:9], v[6:7], v[36:37], v[8:9] op_sel_hi:[1,1,0] neg_lo:[0,0,1] neg_hi:[0,0,1]
	v_mul_f32_e32 v6, v7, v0
	s_delay_alu instid0(VALU_DEP_3) | instskip(NEXT) | instid1(VALU_DEP_2)
	v_pk_add_f32 v[176:177], v[176:177], v[10:11] neg_lo:[0,1] neg_hi:[0,1]
	v_pk_fma_f32 v[4:5], v[4:5], v[36:37], v[6:7] op_sel_hi:[1,1,0]
	s_delay_alu instid0(VALU_DEP_1) | instskip(SKIP_4) | instid1(VALU_DEP_1)
	v_mov_b32_e32 v9, v5
	ds_load_2addr_b64 v[4:7], v182 offset0:44 offset1:45
	v_pk_add_f32 v[172:173], v[172:173], v[8:9] neg_lo:[0,1] neg_hi:[0,1]
	s_wait_dscnt 0x0
	v_pk_mul_f32 v[8:9], v[4:5], v[2:3] op_sel:[0,1]
	v_pk_fma_f32 v[10:11], v[4:5], v[0:1], v[8:9] op_sel:[0,0,1] op_sel_hi:[1,1,0] neg_lo:[0,0,1] neg_hi:[0,0,1]
	v_pk_fma_f32 v[4:5], v[4:5], v[0:1], v[8:9] op_sel:[0,0,1] op_sel_hi:[1,0,0]
	s_delay_alu instid0(VALU_DEP_1) | instskip(SKIP_1) | instid1(VALU_DEP_1)
	v_mov_b32_e32 v11, v5
	v_pk_mul_f32 v[4:5], v[6:7], v[2:3] op_sel:[0,1]
	v_pk_fma_f32 v[8:9], v[6:7], v[0:1], v[4:5] op_sel:[0,0,1] op_sel_hi:[1,1,0] neg_lo:[0,0,1] neg_hi:[0,0,1]
	v_pk_fma_f32 v[4:5], v[6:7], v[0:1], v[4:5] op_sel:[0,0,1] op_sel_hi:[1,0,0]
	s_delay_alu instid0(VALU_DEP_1)
	v_mov_b32_e32 v9, v5
	ds_load_2addr_b64 v[4:7], v182 offset0:46 offset1:47
	v_pk_add_f32 v[200:201], v[200:201], v[10:11] neg_lo:[0,1] neg_hi:[0,1]
	v_pk_add_f32 v[196:197], v[196:197], v[8:9] neg_lo:[0,1] neg_hi:[0,1]
	s_wait_dscnt 0x0
	v_pk_mul_f32 v[8:9], v[4:5], v[2:3] op_sel:[0,1]
	s_delay_alu instid0(VALU_DEP_1) | instskip(SKIP_1) | instid1(VALU_DEP_1)
	v_pk_fma_f32 v[10:11], v[4:5], v[0:1], v[8:9] op_sel:[0,0,1] op_sel_hi:[1,1,0] neg_lo:[0,0,1] neg_hi:[0,0,1]
	v_pk_fma_f32 v[4:5], v[4:5], v[0:1], v[8:9] op_sel:[0,0,1] op_sel_hi:[1,0,0]
	v_mov_b32_e32 v11, v5
	v_pk_mul_f32 v[4:5], v[6:7], v[2:3] op_sel:[0,1]
	s_delay_alu instid0(VALU_DEP_1) | instskip(SKIP_1) | instid1(VALU_DEP_1)
	v_pk_fma_f32 v[8:9], v[6:7], v[0:1], v[4:5] op_sel:[0,0,1] op_sel_hi:[1,1,0] neg_lo:[0,0,1] neg_hi:[0,0,1]
	v_pk_fma_f32 v[4:5], v[6:7], v[0:1], v[4:5] op_sel:[0,0,1] op_sel_hi:[1,0,0]
	v_mov_b32_e32 v9, v5
	ds_load_2addr_b64 v[4:7], v182 offset0:48 offset1:49
	v_pk_add_f32 v[198:199], v[198:199], v[10:11] neg_lo:[0,1] neg_hi:[0,1]
	v_pk_add_f32 v[194:195], v[194:195], v[8:9] neg_lo:[0,1] neg_hi:[0,1]
	s_wait_dscnt 0x0
	v_dual_mul_f32 v8, v5, v3 :: v_dual_mul_f32 v10, v5, v0
	s_delay_alu instid0(VALU_DEP_1) | instskip(NEXT) | instid1(VALU_DEP_2)
	v_pk_fma_f32 v[8:9], v[4:5], v[36:37], v[8:9] op_sel_hi:[1,1,0] neg_lo:[0,0,1] neg_hi:[0,0,1]
	v_pk_fma_f32 v[4:5], v[4:5], v[36:37], v[10:11] op_sel:[1,0,0] op_sel_hi:[0,1,0]
	s_delay_alu instid0(VALU_DEP_1) | instskip(SKIP_1) | instid1(VALU_DEP_2)
	v_mov_b32_e32 v9, v5
	v_pk_mul_f32 v[4:5], v[6:7], v[2:3] op_sel:[0,1]
	v_pk_add_f32 v[224:225], v[224:225], v[8:9] neg_lo:[0,1] neg_hi:[0,1]
	s_delay_alu instid0(VALU_DEP_2) | instskip(SKIP_1) | instid1(VALU_DEP_1)
	v_pk_fma_f32 v[8:9], v[6:7], v[0:1], v[4:5] op_sel:[0,0,1] op_sel_hi:[1,1,0] neg_lo:[0,0,1] neg_hi:[0,0,1]
	v_pk_fma_f32 v[4:5], v[6:7], v[0:1], v[4:5] op_sel:[0,0,1] op_sel_hi:[1,0,0]
	v_mov_b32_e32 v9, v5
	ds_load_2addr_b64 v[4:7], v182 offset0:50 offset1:51
	v_pk_add_f32 v[216:217], v[216:217], v[8:9] neg_lo:[0,1] neg_hi:[0,1]
	s_wait_dscnt 0x0
	v_pk_mul_f32 v[8:9], v[4:5], v[2:3] op_sel:[0,1]
	s_delay_alu instid0(VALU_DEP_1) | instskip(SKIP_1) | instid1(VALU_DEP_1)
	v_pk_fma_f32 v[10:11], v[4:5], v[0:1], v[8:9] op_sel:[0,0,1] op_sel_hi:[1,1,0] neg_lo:[0,0,1] neg_hi:[0,0,1]
	v_pk_fma_f32 v[4:5], v[4:5], v[0:1], v[8:9] op_sel:[0,0,1] op_sel_hi:[1,0,0]
	v_mov_b32_e32 v11, v5
	v_pk_mul_f32 v[4:5], v[6:7], v[2:3] op_sel:[0,1]
	s_delay_alu instid0(VALU_DEP_2) | instskip(NEXT) | instid1(VALU_DEP_2)
	v_pk_add_f32 v[222:223], v[222:223], v[10:11] neg_lo:[0,1] neg_hi:[0,1]
	v_pk_fma_f32 v[8:9], v[6:7], v[0:1], v[4:5] op_sel:[0,0,1] op_sel_hi:[1,1,0] neg_lo:[0,0,1] neg_hi:[0,0,1]
	v_pk_fma_f32 v[4:5], v[6:7], v[0:1], v[4:5] op_sel:[0,0,1] op_sel_hi:[1,0,0]
	s_delay_alu instid0(VALU_DEP_1) | instskip(SKIP_4) | instid1(VALU_DEP_1)
	v_mov_b32_e32 v9, v5
	ds_load_2addr_b64 v[4:7], v182 offset0:52 offset1:53
	v_pk_add_f32 v[214:215], v[214:215], v[8:9] neg_lo:[0,1] neg_hi:[0,1]
	s_wait_dscnt 0x0
	v_pk_mul_f32 v[8:9], v[4:5], v[2:3] op_sel:[0,1]
	v_pk_fma_f32 v[10:11], v[4:5], v[0:1], v[8:9] op_sel:[0,0,1] op_sel_hi:[1,1,0] neg_lo:[0,0,1] neg_hi:[0,0,1]
	v_pk_fma_f32 v[4:5], v[4:5], v[0:1], v[8:9] op_sel:[0,0,1] op_sel_hi:[1,0,0]
	v_dual_mul_f32 v8, v7, v3 :: v_dual_mov_b32 v4, v7
	s_delay_alu instid0(VALU_DEP_2) | instskip(NEXT) | instid1(VALU_DEP_2)
	v_dual_mov_b32 v11, v5 :: v_dual_mov_b32 v5, v6
	v_pk_fma_f32 v[8:9], v[6:7], v[36:37], v[8:9] op_sel_hi:[1,1,0] neg_lo:[0,0,1] neg_hi:[0,0,1]
	v_mul_f32_e32 v6, v7, v0
	s_delay_alu instid0(VALU_DEP_3) | instskip(NEXT) | instid1(VALU_DEP_2)
	v_pk_add_f32 v[220:221], v[220:221], v[10:11] neg_lo:[0,1] neg_hi:[0,1]
	v_pk_fma_f32 v[4:5], v[4:5], v[36:37], v[6:7] op_sel_hi:[1,1,0]
	s_delay_alu instid0(VALU_DEP_1) | instskip(SKIP_4) | instid1(VALU_DEP_1)
	v_mov_b32_e32 v9, v5
	ds_load_2addr_b64 v[4:7], v182 offset0:54 offset1:55
	v_pk_add_f32 v[212:213], v[212:213], v[8:9] neg_lo:[0,1] neg_hi:[0,1]
	s_wait_dscnt 0x0
	v_pk_mul_f32 v[8:9], v[4:5], v[2:3] op_sel:[0,1]
	v_pk_fma_f32 v[10:11], v[4:5], v[0:1], v[8:9] op_sel:[0,0,1] op_sel_hi:[1,1,0] neg_lo:[0,0,1] neg_hi:[0,0,1]
	v_pk_fma_f32 v[4:5], v[4:5], v[0:1], v[8:9] op_sel:[0,0,1] op_sel_hi:[1,0,0]
	s_delay_alu instid0(VALU_DEP_1) | instskip(SKIP_1) | instid1(VALU_DEP_1)
	v_mov_b32_e32 v11, v5
	v_pk_mul_f32 v[4:5], v[6:7], v[2:3] op_sel:[0,1]
	v_pk_fma_f32 v[8:9], v[6:7], v[0:1], v[4:5] op_sel:[0,0,1] op_sel_hi:[1,1,0] neg_lo:[0,0,1] neg_hi:[0,0,1]
	v_pk_fma_f32 v[4:5], v[6:7], v[0:1], v[4:5] op_sel:[0,0,1] op_sel_hi:[1,0,0]
	s_delay_alu instid0(VALU_DEP_1)
	v_mov_b32_e32 v9, v5
	ds_load_b64 v[4:5], v182 offset:448
	v_pk_add_f32 v[218:219], v[218:219], v[10:11] neg_lo:[0,1] neg_hi:[0,1]
	v_pk_add_f32 v[226:227], v[226:227], v[8:9] neg_lo:[0,1] neg_hi:[0,1]
	s_wait_dscnt 0x0
	v_pk_mul_f32 v[2:3], v[4:5], v[2:3] op_sel:[0,1]
	s_delay_alu instid0(VALU_DEP_1) | instskip(SKIP_1) | instid1(VALU_DEP_1)
	v_pk_fma_f32 v[6:7], v[4:5], v[0:1], v[2:3] op_sel:[0,0,1] op_sel_hi:[1,1,0] neg_lo:[0,0,1] neg_hi:[0,0,1]
	v_pk_fma_f32 v[0:1], v[4:5], v[0:1], v[2:3] op_sel:[0,0,1] op_sel_hi:[1,0,0]
	v_mov_b32_e32 v7, v1
	s_delay_alu instid0(VALU_DEP_1)
	v_pk_add_f32 v[228:229], v[228:229], v[6:7] neg_lo:[0,1] neg_hi:[0,1]
.LBB113_91:
	s_wait_xcnt 0x0
	s_or_b32 exec_lo, exec_lo, s1
	s_delay_alu instid0(SALU_CYCLE_1)
	s_mov_b32 s2, exec_lo
	s_wait_storecnt 0x0
	s_barrier_signal -1
	s_barrier_wait -1
	v_cmpx_eq_u32_e32 10, v180
	s_cbranch_execz .LBB113_98
; %bb.92:
	ds_store_b64 v181, v[38:39]
	ds_store_2addr_b64 v182, v[34:35], v[64:65] offset0:11 offset1:12
	ds_store_2addr_b64 v182, v[60:61], v[62:63] offset0:13 offset1:14
	;; [unrolled: 1-line block ×23, first 2 shown]
	ds_load_b64 v[0:1], v181
	s_wait_dscnt 0x0
	v_cmp_neq_f32_e32 vcc_lo, 0, v0
	v_cmp_neq_f32_e64 s1, 0, v1
	s_or_b32 s1, vcc_lo, s1
	s_delay_alu instid0(SALU_CYCLE_1)
	s_and_b32 exec_lo, exec_lo, s1
	s_cbranch_execz .LBB113_98
; %bb.93:
	v_cmp_ngt_f32_e64 s1, |v0|, |v1|
                                        ; implicit-def: $vgpr2_vgpr3
	s_and_saveexec_b32 s4, s1
	s_delay_alu instid0(SALU_CYCLE_1)
	s_xor_b32 s1, exec_lo, s4
	s_cbranch_execz .LBB113_95
; %bb.94:
	v_div_scale_f32 v2, null, v1, v1, v0
	v_div_scale_f32 v5, vcc_lo, v0, v1, v0
	s_delay_alu instid0(VALU_DEP_2) | instskip(SKIP_1) | instid1(TRANS32_DEP_1)
	v_rcp_f32_e32 v3, v2
	v_nop
	v_fma_f32 v4, -v2, v3, 1.0
	s_delay_alu instid0(VALU_DEP_1) | instskip(NEXT) | instid1(VALU_DEP_1)
	v_fmac_f32_e32 v3, v4, v3
	v_mul_f32_e32 v4, v5, v3
	s_delay_alu instid0(VALU_DEP_1) | instskip(NEXT) | instid1(VALU_DEP_1)
	v_fma_f32 v6, -v2, v4, v5
	v_fmac_f32_e32 v4, v6, v3
	s_delay_alu instid0(VALU_DEP_1) | instskip(NEXT) | instid1(VALU_DEP_1)
	v_fma_f32 v2, -v2, v4, v5
	v_div_fmas_f32 v2, v2, v3, v4
	s_delay_alu instid0(VALU_DEP_1) | instskip(NEXT) | instid1(VALU_DEP_1)
	v_div_fixup_f32 v2, v2, v1, v0
	v_fmac_f32_e32 v1, v0, v2
	s_delay_alu instid0(VALU_DEP_1) | instskip(SKIP_1) | instid1(VALU_DEP_2)
	v_div_scale_f32 v0, null, v1, v1, 1.0
	v_div_scale_f32 v5, vcc_lo, 1.0, v1, 1.0
	v_rcp_f32_e32 v3, v0
	v_nop
	s_delay_alu instid0(TRANS32_DEP_1) | instskip(NEXT) | instid1(VALU_DEP_1)
	v_fma_f32 v4, -v0, v3, 1.0
	v_fmac_f32_e32 v3, v4, v3
	s_delay_alu instid0(VALU_DEP_1) | instskip(NEXT) | instid1(VALU_DEP_1)
	v_mul_f32_e32 v4, v5, v3
	v_fma_f32 v6, -v0, v4, v5
	s_delay_alu instid0(VALU_DEP_1) | instskip(NEXT) | instid1(VALU_DEP_1)
	v_fmac_f32_e32 v4, v6, v3
	v_fma_f32 v0, -v0, v4, v5
	s_delay_alu instid0(VALU_DEP_1) | instskip(NEXT) | instid1(VALU_DEP_1)
	v_div_fmas_f32 v0, v0, v3, v4
	v_div_fixup_f32 v0, v0, v1, 1.0
	s_delay_alu instid0(VALU_DEP_1)
	v_mul_f32_e32 v2, v2, v0
	v_xor_b32_e32 v3, 0x80000000, v0
                                        ; implicit-def: $vgpr0_vgpr1
.LBB113_95:
	s_and_not1_saveexec_b32 s1, s1
	s_cbranch_execz .LBB113_97
; %bb.96:
	v_div_scale_f32 v2, null, v0, v0, v1
	v_div_scale_f32 v5, vcc_lo, v1, v0, v1
	s_delay_alu instid0(VALU_DEP_2) | instskip(SKIP_1) | instid1(TRANS32_DEP_1)
	v_rcp_f32_e32 v3, v2
	v_nop
	v_fma_f32 v4, -v2, v3, 1.0
	s_delay_alu instid0(VALU_DEP_1) | instskip(NEXT) | instid1(VALU_DEP_1)
	v_fmac_f32_e32 v3, v4, v3
	v_mul_f32_e32 v4, v5, v3
	s_delay_alu instid0(VALU_DEP_1) | instskip(NEXT) | instid1(VALU_DEP_1)
	v_fma_f32 v6, -v2, v4, v5
	v_fmac_f32_e32 v4, v6, v3
	s_delay_alu instid0(VALU_DEP_1) | instskip(NEXT) | instid1(VALU_DEP_1)
	v_fma_f32 v2, -v2, v4, v5
	v_div_fmas_f32 v2, v2, v3, v4
	s_delay_alu instid0(VALU_DEP_1) | instskip(NEXT) | instid1(VALU_DEP_1)
	v_div_fixup_f32 v3, v2, v0, v1
	v_fmac_f32_e32 v0, v1, v3
	s_delay_alu instid0(VALU_DEP_1) | instskip(NEXT) | instid1(VALU_DEP_1)
	v_div_scale_f32 v1, null, v0, v0, 1.0
	v_rcp_f32_e32 v2, v1
	v_nop
	s_delay_alu instid0(TRANS32_DEP_1) | instskip(NEXT) | instid1(VALU_DEP_1)
	v_fma_f32 v4, -v1, v2, 1.0
	v_fmac_f32_e32 v2, v4, v2
	v_div_scale_f32 v4, vcc_lo, 1.0, v0, 1.0
	s_delay_alu instid0(VALU_DEP_1) | instskip(NEXT) | instid1(VALU_DEP_1)
	v_mul_f32_e32 v5, v4, v2
	v_fma_f32 v6, -v1, v5, v4
	s_delay_alu instid0(VALU_DEP_1) | instskip(NEXT) | instid1(VALU_DEP_1)
	v_fmac_f32_e32 v5, v6, v2
	v_fma_f32 v1, -v1, v5, v4
	s_delay_alu instid0(VALU_DEP_1) | instskip(NEXT) | instid1(VALU_DEP_1)
	v_div_fmas_f32 v1, v1, v2, v5
	v_div_fixup_f32 v2, v1, v0, 1.0
	s_delay_alu instid0(VALU_DEP_1)
	v_mul_f32_e64 v3, v3, -v2
.LBB113_97:
	s_or_b32 exec_lo, exec_lo, s1
	ds_store_b64 v181, v[2:3]
.LBB113_98:
	s_or_b32 exec_lo, exec_lo, s2
	s_wait_dscnt 0x0
	s_barrier_signal -1
	s_barrier_wait -1
	ds_load_b64 v[0:1], v181
	s_mov_b32 s1, exec_lo
	s_wait_dscnt 0x0
	scratch_store_b64 off, v[0:1], off offset:368 ; 8-byte Folded Spill
	s_wait_xcnt 0x0
	v_cmpx_lt_u32_e32 10, v180
	s_cbranch_execz .LBB113_100
; %bb.99:
	scratch_load_b64 v[4:5], off, off offset:368 ; 8-byte Folded Reload
	s_wait_loadcnt 0x0
	v_pk_mul_f32 v[2:3], v[4:5], v[38:39] op_sel:[1,1] op_sel_hi:[0,1]
	s_delay_alu instid0(VALU_DEP_1)
	v_pk_fma_f32 v[0:1], v[4:5], v[38:39], v[2:3] op_sel_hi:[1,0,1] neg_lo:[0,0,1] neg_hi:[0,0,1]
	v_pk_fma_f32 v[2:3], v[4:5], v[38:39], v[2:3] op_sel_hi:[1,0,1]
	ds_load_2addr_b64 v[4:7], v182 offset0:11 offset1:12
	v_dual_mov_b32 v38, v0 :: v_dual_mov_b32 v39, v3
	s_wait_dscnt 0x0
	v_pk_mul_f32 v[8:9], v[4:5], v[2:3] op_sel:[0,1]
	s_delay_alu instid0(VALU_DEP_1) | instskip(SKIP_1) | instid1(VALU_DEP_1)
	v_pk_fma_f32 v[10:11], v[4:5], v[0:1], v[8:9] op_sel:[0,0,1] op_sel_hi:[1,1,0] neg_lo:[0,0,1] neg_hi:[0,0,1]
	v_pk_fma_f32 v[4:5], v[4:5], v[0:1], v[8:9] op_sel:[0,0,1] op_sel_hi:[1,0,0]
	v_mov_b32_e32 v11, v5
	v_pk_mul_f32 v[4:5], v[6:7], v[2:3] op_sel:[0,1]
	s_delay_alu instid0(VALU_DEP_1) | instskip(SKIP_1) | instid1(VALU_DEP_1)
	v_pk_fma_f32 v[8:9], v[6:7], v[0:1], v[4:5] op_sel:[0,0,1] op_sel_hi:[1,1,0] neg_lo:[0,0,1] neg_hi:[0,0,1]
	v_pk_fma_f32 v[4:5], v[6:7], v[0:1], v[4:5] op_sel:[0,0,1] op_sel_hi:[1,0,0]
	v_mov_b32_e32 v9, v5
	ds_load_2addr_b64 v[4:7], v182 offset0:13 offset1:14
	v_pk_add_f32 v[34:35], v[34:35], v[10:11] neg_lo:[0,1] neg_hi:[0,1]
	v_pk_add_f32 v[64:65], v[64:65], v[8:9] neg_lo:[0,1] neg_hi:[0,1]
	s_wait_dscnt 0x0
	v_pk_mul_f32 v[8:9], v[4:5], v[2:3] op_sel:[0,1]
	s_delay_alu instid0(VALU_DEP_1) | instskip(SKIP_2) | instid1(VALU_DEP_2)
	v_pk_fma_f32 v[10:11], v[4:5], v[0:1], v[8:9] op_sel:[0,0,1] op_sel_hi:[1,1,0] neg_lo:[0,0,1] neg_hi:[0,0,1]
	v_pk_fma_f32 v[4:5], v[4:5], v[0:1], v[8:9] op_sel:[0,0,1] op_sel_hi:[1,0,0]
	v_dual_mul_f32 v8, v7, v3 :: v_dual_mov_b32 v4, v7
	v_dual_mov_b32 v11, v5 :: v_dual_mov_b32 v5, v6
	s_delay_alu instid0(VALU_DEP_2) | instskip(SKIP_1) | instid1(VALU_DEP_3)
	v_pk_fma_f32 v[8:9], v[6:7], v[38:39], v[8:9] op_sel_hi:[1,1,0] neg_lo:[0,0,1] neg_hi:[0,0,1]
	v_mul_f32_e32 v6, v7, v0
	v_pk_add_f32 v[60:61], v[60:61], v[10:11] neg_lo:[0,1] neg_hi:[0,1]
	s_delay_alu instid0(VALU_DEP_2) | instskip(NEXT) | instid1(VALU_DEP_1)
	v_pk_fma_f32 v[4:5], v[4:5], v[38:39], v[6:7] op_sel_hi:[1,1,0]
	v_mov_b32_e32 v9, v5
	ds_load_2addr_b64 v[4:7], v182 offset0:15 offset1:16
	v_pk_add_f32 v[62:63], v[62:63], v[8:9] neg_lo:[0,1] neg_hi:[0,1]
	s_wait_dscnt 0x0
	v_pk_mul_f32 v[8:9], v[4:5], v[2:3] op_sel:[0,1]
	s_delay_alu instid0(VALU_DEP_1) | instskip(SKIP_1) | instid1(VALU_DEP_1)
	v_pk_fma_f32 v[10:11], v[4:5], v[0:1], v[8:9] op_sel:[0,0,1] op_sel_hi:[1,1,0] neg_lo:[0,0,1] neg_hi:[0,0,1]
	v_pk_fma_f32 v[4:5], v[4:5], v[0:1], v[8:9] op_sel:[0,0,1] op_sel_hi:[1,0,0]
	v_mov_b32_e32 v11, v5
	v_pk_mul_f32 v[4:5], v[6:7], v[2:3] op_sel:[0,1]
	s_delay_alu instid0(VALU_DEP_1) | instskip(SKIP_1) | instid1(VALU_DEP_1)
	v_pk_fma_f32 v[8:9], v[6:7], v[0:1], v[4:5] op_sel:[0,0,1] op_sel_hi:[1,1,0] neg_lo:[0,0,1] neg_hi:[0,0,1]
	v_pk_fma_f32 v[4:5], v[6:7], v[0:1], v[4:5] op_sel:[0,0,1] op_sel_hi:[1,0,0]
	v_mov_b32_e32 v9, v5
	ds_load_2addr_b64 v[4:7], v182 offset0:17 offset1:18
	v_pk_add_f32 v[58:59], v[58:59], v[10:11] neg_lo:[0,1] neg_hi:[0,1]
	v_pk_add_f32 v[80:81], v[80:81], v[8:9] neg_lo:[0,1] neg_hi:[0,1]
	s_wait_dscnt 0x0
	v_pk_mul_f32 v[8:9], v[4:5], v[2:3] op_sel:[0,1]
	s_delay_alu instid0(VALU_DEP_1) | instskip(SKIP_1) | instid1(VALU_DEP_1)
	v_pk_fma_f32 v[10:11], v[4:5], v[0:1], v[8:9] op_sel:[0,0,1] op_sel_hi:[1,1,0] neg_lo:[0,0,1] neg_hi:[0,0,1]
	v_pk_fma_f32 v[4:5], v[4:5], v[0:1], v[8:9] op_sel:[0,0,1] op_sel_hi:[1,0,0]
	v_mov_b32_e32 v11, v5
	v_pk_mul_f32 v[4:5], v[6:7], v[2:3] op_sel:[0,1]
	s_delay_alu instid0(VALU_DEP_1) | instskip(SKIP_1) | instid1(VALU_DEP_1)
	v_pk_fma_f32 v[8:9], v[6:7], v[0:1], v[4:5] op_sel:[0,0,1] op_sel_hi:[1,1,0] neg_lo:[0,0,1] neg_hi:[0,0,1]
	v_pk_fma_f32 v[4:5], v[6:7], v[0:1], v[4:5] op_sel:[0,0,1] op_sel_hi:[1,0,0]
	v_mov_b32_e32 v9, v5
	ds_load_2addr_b64 v[4:7], v182 offset0:19 offset1:20
	v_pk_add_f32 v[76:77], v[76:77], v[10:11] neg_lo:[0,1] neg_hi:[0,1]
	v_pk_add_f32 v[78:79], v[78:79], v[8:9] neg_lo:[0,1] neg_hi:[0,1]
	s_wait_dscnt 0x0
	v_dual_mul_f32 v8, v5, v3 :: v_dual_mul_f32 v10, v5, v0
	s_delay_alu instid0(VALU_DEP_1) | instskip(NEXT) | instid1(VALU_DEP_2)
	v_pk_fma_f32 v[8:9], v[4:5], v[38:39], v[8:9] op_sel_hi:[1,1,0] neg_lo:[0,0,1] neg_hi:[0,0,1]
	v_pk_fma_f32 v[4:5], v[4:5], v[38:39], v[10:11] op_sel:[1,0,0] op_sel_hi:[0,1,0]
	s_delay_alu instid0(VALU_DEP_1) | instskip(SKIP_1) | instid1(VALU_DEP_2)
	v_mov_b32_e32 v9, v5
	v_pk_mul_f32 v[4:5], v[6:7], v[2:3] op_sel:[0,1]
	v_pk_add_f32 v[74:75], v[74:75], v[8:9] neg_lo:[0,1] neg_hi:[0,1]
	s_delay_alu instid0(VALU_DEP_2) | instskip(SKIP_1) | instid1(VALU_DEP_1)
	v_pk_fma_f32 v[8:9], v[6:7], v[0:1], v[4:5] op_sel:[0,0,1] op_sel_hi:[1,1,0] neg_lo:[0,0,1] neg_hi:[0,0,1]
	v_pk_fma_f32 v[4:5], v[6:7], v[0:1], v[4:5] op_sel:[0,0,1] op_sel_hi:[1,0,0]
	v_mov_b32_e32 v9, v5
	ds_load_2addr_b64 v[4:7], v182 offset0:21 offset1:22
	v_pk_add_f32 v[98:99], v[98:99], v[8:9] neg_lo:[0,1] neg_hi:[0,1]
	s_wait_dscnt 0x0
	v_pk_mul_f32 v[8:9], v[4:5], v[2:3] op_sel:[0,1]
	s_delay_alu instid0(VALU_DEP_1) | instskip(SKIP_1) | instid1(VALU_DEP_1)
	v_pk_fma_f32 v[10:11], v[4:5], v[0:1], v[8:9] op_sel:[0,0,1] op_sel_hi:[1,1,0] neg_lo:[0,0,1] neg_hi:[0,0,1]
	v_pk_fma_f32 v[4:5], v[4:5], v[0:1], v[8:9] op_sel:[0,0,1] op_sel_hi:[1,0,0]
	v_mov_b32_e32 v11, v5
	v_pk_mul_f32 v[4:5], v[6:7], v[2:3] op_sel:[0,1]
	s_delay_alu instid0(VALU_DEP_2) | instskip(NEXT) | instid1(VALU_DEP_2)
	v_pk_add_f32 v[94:95], v[94:95], v[10:11] neg_lo:[0,1] neg_hi:[0,1]
	v_pk_fma_f32 v[8:9], v[6:7], v[0:1], v[4:5] op_sel:[0,0,1] op_sel_hi:[1,1,0] neg_lo:[0,0,1] neg_hi:[0,0,1]
	v_pk_fma_f32 v[4:5], v[6:7], v[0:1], v[4:5] op_sel:[0,0,1] op_sel_hi:[1,0,0]
	s_delay_alu instid0(VALU_DEP_1) | instskip(SKIP_4) | instid1(VALU_DEP_1)
	v_mov_b32_e32 v9, v5
	ds_load_2addr_b64 v[4:7], v182 offset0:23 offset1:24
	v_pk_add_f32 v[96:97], v[96:97], v[8:9] neg_lo:[0,1] neg_hi:[0,1]
	s_wait_dscnt 0x0
	v_pk_mul_f32 v[8:9], v[4:5], v[2:3] op_sel:[0,1]
	v_pk_fma_f32 v[10:11], v[4:5], v[0:1], v[8:9] op_sel:[0,0,1] op_sel_hi:[1,1,0] neg_lo:[0,0,1] neg_hi:[0,0,1]
	v_pk_fma_f32 v[4:5], v[4:5], v[0:1], v[8:9] op_sel:[0,0,1] op_sel_hi:[1,0,0]
	v_dual_mul_f32 v8, v7, v3 :: v_dual_mov_b32 v4, v7
	s_delay_alu instid0(VALU_DEP_2) | instskip(NEXT) | instid1(VALU_DEP_2)
	v_dual_mov_b32 v11, v5 :: v_dual_mov_b32 v5, v6
	v_pk_fma_f32 v[8:9], v[6:7], v[38:39], v[8:9] op_sel_hi:[1,1,0] neg_lo:[0,0,1] neg_hi:[0,0,1]
	v_mul_f32_e32 v6, v7, v0
	s_delay_alu instid0(VALU_DEP_3) | instskip(NEXT) | instid1(VALU_DEP_2)
	v_pk_add_f32 v[92:93], v[92:93], v[10:11] neg_lo:[0,1] neg_hi:[0,1]
	v_pk_fma_f32 v[4:5], v[4:5], v[38:39], v[6:7] op_sel_hi:[1,1,0]
	s_delay_alu instid0(VALU_DEP_1) | instskip(SKIP_4) | instid1(VALU_DEP_1)
	v_mov_b32_e32 v9, v5
	ds_load_2addr_b64 v[4:7], v182 offset0:25 offset1:26
	v_pk_add_f32 v[114:115], v[114:115], v[8:9] neg_lo:[0,1] neg_hi:[0,1]
	s_wait_dscnt 0x0
	v_pk_mul_f32 v[8:9], v[4:5], v[2:3] op_sel:[0,1]
	v_pk_fma_f32 v[10:11], v[4:5], v[0:1], v[8:9] op_sel:[0,0,1] op_sel_hi:[1,1,0] neg_lo:[0,0,1] neg_hi:[0,0,1]
	v_pk_fma_f32 v[4:5], v[4:5], v[0:1], v[8:9] op_sel:[0,0,1] op_sel_hi:[1,0,0]
	s_delay_alu instid0(VALU_DEP_1) | instskip(SKIP_1) | instid1(VALU_DEP_1)
	v_mov_b32_e32 v11, v5
	v_pk_mul_f32 v[4:5], v[6:7], v[2:3] op_sel:[0,1]
	v_pk_fma_f32 v[8:9], v[6:7], v[0:1], v[4:5] op_sel:[0,0,1] op_sel_hi:[1,1,0] neg_lo:[0,0,1] neg_hi:[0,0,1]
	v_pk_fma_f32 v[4:5], v[6:7], v[0:1], v[4:5] op_sel:[0,0,1] op_sel_hi:[1,0,0]
	s_delay_alu instid0(VALU_DEP_1)
	v_mov_b32_e32 v9, v5
	ds_load_2addr_b64 v[4:7], v182 offset0:27 offset1:28
	v_pk_add_f32 v[110:111], v[110:111], v[10:11] neg_lo:[0,1] neg_hi:[0,1]
	v_pk_add_f32 v[112:113], v[112:113], v[8:9] neg_lo:[0,1] neg_hi:[0,1]
	s_wait_dscnt 0x0
	v_pk_mul_f32 v[8:9], v[4:5], v[2:3] op_sel:[0,1]
	s_delay_alu instid0(VALU_DEP_1) | instskip(SKIP_1) | instid1(VALU_DEP_1)
	v_pk_fma_f32 v[10:11], v[4:5], v[0:1], v[8:9] op_sel:[0,0,1] op_sel_hi:[1,1,0] neg_lo:[0,0,1] neg_hi:[0,0,1]
	v_pk_fma_f32 v[4:5], v[4:5], v[0:1], v[8:9] op_sel:[0,0,1] op_sel_hi:[1,0,0]
	v_mov_b32_e32 v11, v5
	v_pk_mul_f32 v[4:5], v[6:7], v[2:3] op_sel:[0,1]
	s_delay_alu instid0(VALU_DEP_1) | instskip(SKIP_1) | instid1(VALU_DEP_1)
	v_pk_fma_f32 v[8:9], v[6:7], v[0:1], v[4:5] op_sel:[0,0,1] op_sel_hi:[1,1,0] neg_lo:[0,0,1] neg_hi:[0,0,1]
	v_pk_fma_f32 v[4:5], v[6:7], v[0:1], v[4:5] op_sel:[0,0,1] op_sel_hi:[1,0,0]
	v_mov_b32_e32 v9, v5
	ds_load_2addr_b64 v[4:7], v182 offset0:29 offset1:30
	v_pk_add_f32 v[108:109], v[108:109], v[10:11] neg_lo:[0,1] neg_hi:[0,1]
	v_pk_add_f32 v[130:131], v[130:131], v[8:9] neg_lo:[0,1] neg_hi:[0,1]
	s_wait_dscnt 0x0
	v_dual_mul_f32 v8, v5, v3 :: v_dual_mul_f32 v10, v5, v0
	s_delay_alu instid0(VALU_DEP_1) | instskip(NEXT) | instid1(VALU_DEP_2)
	v_pk_fma_f32 v[8:9], v[4:5], v[38:39], v[8:9] op_sel_hi:[1,1,0] neg_lo:[0,0,1] neg_hi:[0,0,1]
	v_pk_fma_f32 v[4:5], v[4:5], v[38:39], v[10:11] op_sel:[1,0,0] op_sel_hi:[0,1,0]
	s_delay_alu instid0(VALU_DEP_1) | instskip(SKIP_1) | instid1(VALU_DEP_2)
	v_mov_b32_e32 v9, v5
	v_pk_mul_f32 v[4:5], v[6:7], v[2:3] op_sel:[0,1]
	v_pk_add_f32 v[126:127], v[126:127], v[8:9] neg_lo:[0,1] neg_hi:[0,1]
	s_delay_alu instid0(VALU_DEP_2) | instskip(SKIP_1) | instid1(VALU_DEP_1)
	v_pk_fma_f32 v[8:9], v[6:7], v[0:1], v[4:5] op_sel:[0,0,1] op_sel_hi:[1,1,0] neg_lo:[0,0,1] neg_hi:[0,0,1]
	v_pk_fma_f32 v[4:5], v[6:7], v[0:1], v[4:5] op_sel:[0,0,1] op_sel_hi:[1,0,0]
	v_mov_b32_e32 v9, v5
	ds_load_2addr_b64 v[4:7], v182 offset0:31 offset1:32
	v_pk_add_f32 v[128:129], v[128:129], v[8:9] neg_lo:[0,1] neg_hi:[0,1]
	s_wait_dscnt 0x0
	v_pk_mul_f32 v[8:9], v[4:5], v[2:3] op_sel:[0,1]
	s_delay_alu instid0(VALU_DEP_1) | instskip(SKIP_1) | instid1(VALU_DEP_1)
	v_pk_fma_f32 v[10:11], v[4:5], v[0:1], v[8:9] op_sel:[0,0,1] op_sel_hi:[1,1,0] neg_lo:[0,0,1] neg_hi:[0,0,1]
	v_pk_fma_f32 v[4:5], v[4:5], v[0:1], v[8:9] op_sel:[0,0,1] op_sel_hi:[1,0,0]
	v_mov_b32_e32 v11, v5
	v_pk_mul_f32 v[4:5], v[6:7], v[2:3] op_sel:[0,1]
	s_delay_alu instid0(VALU_DEP_2) | instskip(NEXT) | instid1(VALU_DEP_2)
	v_pk_add_f32 v[124:125], v[124:125], v[10:11] neg_lo:[0,1] neg_hi:[0,1]
	v_pk_fma_f32 v[8:9], v[6:7], v[0:1], v[4:5] op_sel:[0,0,1] op_sel_hi:[1,1,0] neg_lo:[0,0,1] neg_hi:[0,0,1]
	v_pk_fma_f32 v[4:5], v[6:7], v[0:1], v[4:5] op_sel:[0,0,1] op_sel_hi:[1,0,0]
	s_delay_alu instid0(VALU_DEP_1) | instskip(SKIP_4) | instid1(VALU_DEP_1)
	v_mov_b32_e32 v9, v5
	ds_load_2addr_b64 v[4:7], v182 offset0:33 offset1:34
	v_pk_add_f32 v[146:147], v[146:147], v[8:9] neg_lo:[0,1] neg_hi:[0,1]
	s_wait_dscnt 0x0
	v_pk_mul_f32 v[8:9], v[4:5], v[2:3] op_sel:[0,1]
	v_pk_fma_f32 v[10:11], v[4:5], v[0:1], v[8:9] op_sel:[0,0,1] op_sel_hi:[1,1,0] neg_lo:[0,0,1] neg_hi:[0,0,1]
	v_pk_fma_f32 v[4:5], v[4:5], v[0:1], v[8:9] op_sel:[0,0,1] op_sel_hi:[1,0,0]
	v_dual_mul_f32 v8, v7, v3 :: v_dual_mov_b32 v4, v7
	s_delay_alu instid0(VALU_DEP_2) | instskip(NEXT) | instid1(VALU_DEP_2)
	v_dual_mov_b32 v11, v5 :: v_dual_mov_b32 v5, v6
	v_pk_fma_f32 v[8:9], v[6:7], v[38:39], v[8:9] op_sel_hi:[1,1,0] neg_lo:[0,0,1] neg_hi:[0,0,1]
	v_mul_f32_e32 v6, v7, v0
	s_delay_alu instid0(VALU_DEP_3) | instskip(NEXT) | instid1(VALU_DEP_2)
	v_pk_add_f32 v[142:143], v[142:143], v[10:11] neg_lo:[0,1] neg_hi:[0,1]
	v_pk_fma_f32 v[4:5], v[4:5], v[38:39], v[6:7] op_sel_hi:[1,1,0]
	s_delay_alu instid0(VALU_DEP_1) | instskip(SKIP_4) | instid1(VALU_DEP_1)
	v_mov_b32_e32 v9, v5
	ds_load_2addr_b64 v[4:7], v182 offset0:35 offset1:36
	v_pk_add_f32 v[144:145], v[144:145], v[8:9] neg_lo:[0,1] neg_hi:[0,1]
	s_wait_dscnt 0x0
	v_pk_mul_f32 v[8:9], v[4:5], v[2:3] op_sel:[0,1]
	v_pk_fma_f32 v[10:11], v[4:5], v[0:1], v[8:9] op_sel:[0,0,1] op_sel_hi:[1,1,0] neg_lo:[0,0,1] neg_hi:[0,0,1]
	v_pk_fma_f32 v[4:5], v[4:5], v[0:1], v[8:9] op_sel:[0,0,1] op_sel_hi:[1,0,0]
	s_delay_alu instid0(VALU_DEP_1) | instskip(SKIP_1) | instid1(VALU_DEP_1)
	v_mov_b32_e32 v11, v5
	v_pk_mul_f32 v[4:5], v[6:7], v[2:3] op_sel:[0,1]
	v_pk_fma_f32 v[8:9], v[6:7], v[0:1], v[4:5] op_sel:[0,0,1] op_sel_hi:[1,1,0] neg_lo:[0,0,1] neg_hi:[0,0,1]
	v_pk_fma_f32 v[4:5], v[6:7], v[0:1], v[4:5] op_sel:[0,0,1] op_sel_hi:[1,0,0]
	s_delay_alu instid0(VALU_DEP_1)
	v_mov_b32_e32 v9, v5
	ds_load_2addr_b64 v[4:7], v182 offset0:37 offset1:38
	v_pk_add_f32 v[140:141], v[140:141], v[10:11] neg_lo:[0,1] neg_hi:[0,1]
	v_pk_add_f32 v[162:163], v[162:163], v[8:9] neg_lo:[0,1] neg_hi:[0,1]
	s_wait_dscnt 0x0
	v_pk_mul_f32 v[8:9], v[4:5], v[2:3] op_sel:[0,1]
	s_delay_alu instid0(VALU_DEP_1) | instskip(SKIP_1) | instid1(VALU_DEP_1)
	v_pk_fma_f32 v[10:11], v[4:5], v[0:1], v[8:9] op_sel:[0,0,1] op_sel_hi:[1,1,0] neg_lo:[0,0,1] neg_hi:[0,0,1]
	v_pk_fma_f32 v[4:5], v[4:5], v[0:1], v[8:9] op_sel:[0,0,1] op_sel_hi:[1,0,0]
	v_mov_b32_e32 v11, v5
	v_pk_mul_f32 v[4:5], v[6:7], v[2:3] op_sel:[0,1]
	s_delay_alu instid0(VALU_DEP_1) | instskip(SKIP_1) | instid1(VALU_DEP_1)
	v_pk_fma_f32 v[8:9], v[6:7], v[0:1], v[4:5] op_sel:[0,0,1] op_sel_hi:[1,1,0] neg_lo:[0,0,1] neg_hi:[0,0,1]
	v_pk_fma_f32 v[4:5], v[6:7], v[0:1], v[4:5] op_sel:[0,0,1] op_sel_hi:[1,0,0]
	v_mov_b32_e32 v9, v5
	ds_load_2addr_b64 v[4:7], v182 offset0:39 offset1:40
	v_pk_add_f32 v[158:159], v[158:159], v[10:11] neg_lo:[0,1] neg_hi:[0,1]
	v_pk_add_f32 v[160:161], v[160:161], v[8:9] neg_lo:[0,1] neg_hi:[0,1]
	s_wait_dscnt 0x0
	v_dual_mul_f32 v8, v5, v3 :: v_dual_mul_f32 v10, v5, v0
	s_delay_alu instid0(VALU_DEP_1) | instskip(NEXT) | instid1(VALU_DEP_2)
	v_pk_fma_f32 v[8:9], v[4:5], v[38:39], v[8:9] op_sel_hi:[1,1,0] neg_lo:[0,0,1] neg_hi:[0,0,1]
	v_pk_fma_f32 v[4:5], v[4:5], v[38:39], v[10:11] op_sel:[1,0,0] op_sel_hi:[0,1,0]
	s_delay_alu instid0(VALU_DEP_1) | instskip(SKIP_1) | instid1(VALU_DEP_2)
	v_mov_b32_e32 v9, v5
	v_pk_mul_f32 v[4:5], v[6:7], v[2:3] op_sel:[0,1]
	v_pk_add_f32 v[156:157], v[156:157], v[8:9] neg_lo:[0,1] neg_hi:[0,1]
	s_delay_alu instid0(VALU_DEP_2) | instskip(SKIP_1) | instid1(VALU_DEP_1)
	v_pk_fma_f32 v[8:9], v[6:7], v[0:1], v[4:5] op_sel:[0,0,1] op_sel_hi:[1,1,0] neg_lo:[0,0,1] neg_hi:[0,0,1]
	v_pk_fma_f32 v[4:5], v[6:7], v[0:1], v[4:5] op_sel:[0,0,1] op_sel_hi:[1,0,0]
	v_mov_b32_e32 v9, v5
	ds_load_2addr_b64 v[4:7], v182 offset0:41 offset1:42
	v_pk_add_f32 v[178:179], v[178:179], v[8:9] neg_lo:[0,1] neg_hi:[0,1]
	s_wait_dscnt 0x0
	v_pk_mul_f32 v[8:9], v[4:5], v[2:3] op_sel:[0,1]
	s_delay_alu instid0(VALU_DEP_1) | instskip(SKIP_1) | instid1(VALU_DEP_1)
	v_pk_fma_f32 v[10:11], v[4:5], v[0:1], v[8:9] op_sel:[0,0,1] op_sel_hi:[1,1,0] neg_lo:[0,0,1] neg_hi:[0,0,1]
	v_pk_fma_f32 v[4:5], v[4:5], v[0:1], v[8:9] op_sel:[0,0,1] op_sel_hi:[1,0,0]
	v_mov_b32_e32 v11, v5
	v_pk_mul_f32 v[4:5], v[6:7], v[2:3] op_sel:[0,1]
	s_delay_alu instid0(VALU_DEP_2) | instskip(NEXT) | instid1(VALU_DEP_2)
	v_pk_add_f32 v[174:175], v[174:175], v[10:11] neg_lo:[0,1] neg_hi:[0,1]
	v_pk_fma_f32 v[8:9], v[6:7], v[0:1], v[4:5] op_sel:[0,0,1] op_sel_hi:[1,1,0] neg_lo:[0,0,1] neg_hi:[0,0,1]
	v_pk_fma_f32 v[4:5], v[6:7], v[0:1], v[4:5] op_sel:[0,0,1] op_sel_hi:[1,0,0]
	s_delay_alu instid0(VALU_DEP_1) | instskip(SKIP_4) | instid1(VALU_DEP_1)
	v_mov_b32_e32 v9, v5
	ds_load_2addr_b64 v[4:7], v182 offset0:43 offset1:44
	v_pk_add_f32 v[176:177], v[176:177], v[8:9] neg_lo:[0,1] neg_hi:[0,1]
	s_wait_dscnt 0x0
	v_pk_mul_f32 v[8:9], v[4:5], v[2:3] op_sel:[0,1]
	v_pk_fma_f32 v[10:11], v[4:5], v[0:1], v[8:9] op_sel:[0,0,1] op_sel_hi:[1,1,0] neg_lo:[0,0,1] neg_hi:[0,0,1]
	v_pk_fma_f32 v[4:5], v[4:5], v[0:1], v[8:9] op_sel:[0,0,1] op_sel_hi:[1,0,0]
	v_dual_mul_f32 v8, v7, v3 :: v_dual_mov_b32 v4, v7
	s_delay_alu instid0(VALU_DEP_2) | instskip(NEXT) | instid1(VALU_DEP_2)
	v_dual_mov_b32 v11, v5 :: v_dual_mov_b32 v5, v6
	v_pk_fma_f32 v[8:9], v[6:7], v[38:39], v[8:9] op_sel_hi:[1,1,0] neg_lo:[0,0,1] neg_hi:[0,0,1]
	v_mul_f32_e32 v6, v7, v0
	s_delay_alu instid0(VALU_DEP_3) | instskip(NEXT) | instid1(VALU_DEP_2)
	v_pk_add_f32 v[172:173], v[172:173], v[10:11] neg_lo:[0,1] neg_hi:[0,1]
	v_pk_fma_f32 v[4:5], v[4:5], v[38:39], v[6:7] op_sel_hi:[1,1,0]
	s_delay_alu instid0(VALU_DEP_1) | instskip(SKIP_4) | instid1(VALU_DEP_1)
	v_mov_b32_e32 v9, v5
	ds_load_2addr_b64 v[4:7], v182 offset0:45 offset1:46
	v_pk_add_f32 v[200:201], v[200:201], v[8:9] neg_lo:[0,1] neg_hi:[0,1]
	s_wait_dscnt 0x0
	v_pk_mul_f32 v[8:9], v[4:5], v[2:3] op_sel:[0,1]
	v_pk_fma_f32 v[10:11], v[4:5], v[0:1], v[8:9] op_sel:[0,0,1] op_sel_hi:[1,1,0] neg_lo:[0,0,1] neg_hi:[0,0,1]
	v_pk_fma_f32 v[4:5], v[4:5], v[0:1], v[8:9] op_sel:[0,0,1] op_sel_hi:[1,0,0]
	s_delay_alu instid0(VALU_DEP_1) | instskip(SKIP_1) | instid1(VALU_DEP_1)
	v_mov_b32_e32 v11, v5
	v_pk_mul_f32 v[4:5], v[6:7], v[2:3] op_sel:[0,1]
	v_pk_fma_f32 v[8:9], v[6:7], v[0:1], v[4:5] op_sel:[0,0,1] op_sel_hi:[1,1,0] neg_lo:[0,0,1] neg_hi:[0,0,1]
	v_pk_fma_f32 v[4:5], v[6:7], v[0:1], v[4:5] op_sel:[0,0,1] op_sel_hi:[1,0,0]
	s_delay_alu instid0(VALU_DEP_1)
	v_mov_b32_e32 v9, v5
	ds_load_2addr_b64 v[4:7], v182 offset0:47 offset1:48
	v_pk_add_f32 v[196:197], v[196:197], v[10:11] neg_lo:[0,1] neg_hi:[0,1]
	v_pk_add_f32 v[198:199], v[198:199], v[8:9] neg_lo:[0,1] neg_hi:[0,1]
	s_wait_dscnt 0x0
	v_pk_mul_f32 v[8:9], v[4:5], v[2:3] op_sel:[0,1]
	s_delay_alu instid0(VALU_DEP_1) | instskip(SKIP_1) | instid1(VALU_DEP_1)
	v_pk_fma_f32 v[10:11], v[4:5], v[0:1], v[8:9] op_sel:[0,0,1] op_sel_hi:[1,1,0] neg_lo:[0,0,1] neg_hi:[0,0,1]
	v_pk_fma_f32 v[4:5], v[4:5], v[0:1], v[8:9] op_sel:[0,0,1] op_sel_hi:[1,0,0]
	v_mov_b32_e32 v11, v5
	v_pk_mul_f32 v[4:5], v[6:7], v[2:3] op_sel:[0,1]
	s_delay_alu instid0(VALU_DEP_1) | instskip(SKIP_1) | instid1(VALU_DEP_1)
	v_pk_fma_f32 v[8:9], v[6:7], v[0:1], v[4:5] op_sel:[0,0,1] op_sel_hi:[1,1,0] neg_lo:[0,0,1] neg_hi:[0,0,1]
	v_pk_fma_f32 v[4:5], v[6:7], v[0:1], v[4:5] op_sel:[0,0,1] op_sel_hi:[1,0,0]
	v_mov_b32_e32 v9, v5
	ds_load_2addr_b64 v[4:7], v182 offset0:49 offset1:50
	v_pk_add_f32 v[194:195], v[194:195], v[10:11] neg_lo:[0,1] neg_hi:[0,1]
	v_pk_add_f32 v[224:225], v[224:225], v[8:9] neg_lo:[0,1] neg_hi:[0,1]
	s_wait_dscnt 0x0
	v_dual_mul_f32 v8, v5, v3 :: v_dual_mul_f32 v10, v5, v0
	s_delay_alu instid0(VALU_DEP_1) | instskip(NEXT) | instid1(VALU_DEP_2)
	v_pk_fma_f32 v[8:9], v[4:5], v[38:39], v[8:9] op_sel_hi:[1,1,0] neg_lo:[0,0,1] neg_hi:[0,0,1]
	v_pk_fma_f32 v[4:5], v[4:5], v[38:39], v[10:11] op_sel:[1,0,0] op_sel_hi:[0,1,0]
	s_delay_alu instid0(VALU_DEP_1) | instskip(SKIP_1) | instid1(VALU_DEP_2)
	v_mov_b32_e32 v9, v5
	v_pk_mul_f32 v[4:5], v[6:7], v[2:3] op_sel:[0,1]
	v_pk_add_f32 v[216:217], v[216:217], v[8:9] neg_lo:[0,1] neg_hi:[0,1]
	s_delay_alu instid0(VALU_DEP_2) | instskip(SKIP_1) | instid1(VALU_DEP_1)
	v_pk_fma_f32 v[8:9], v[6:7], v[0:1], v[4:5] op_sel:[0,0,1] op_sel_hi:[1,1,0] neg_lo:[0,0,1] neg_hi:[0,0,1]
	v_pk_fma_f32 v[4:5], v[6:7], v[0:1], v[4:5] op_sel:[0,0,1] op_sel_hi:[1,0,0]
	v_mov_b32_e32 v9, v5
	ds_load_2addr_b64 v[4:7], v182 offset0:51 offset1:52
	v_pk_add_f32 v[222:223], v[222:223], v[8:9] neg_lo:[0,1] neg_hi:[0,1]
	s_wait_dscnt 0x0
	v_pk_mul_f32 v[8:9], v[4:5], v[2:3] op_sel:[0,1]
	s_delay_alu instid0(VALU_DEP_1) | instskip(SKIP_1) | instid1(VALU_DEP_1)
	v_pk_fma_f32 v[10:11], v[4:5], v[0:1], v[8:9] op_sel:[0,0,1] op_sel_hi:[1,1,0] neg_lo:[0,0,1] neg_hi:[0,0,1]
	v_pk_fma_f32 v[4:5], v[4:5], v[0:1], v[8:9] op_sel:[0,0,1] op_sel_hi:[1,0,0]
	v_mov_b32_e32 v11, v5
	v_pk_mul_f32 v[4:5], v[6:7], v[2:3] op_sel:[0,1]
	s_delay_alu instid0(VALU_DEP_2) | instskip(NEXT) | instid1(VALU_DEP_2)
	v_pk_add_f32 v[214:215], v[214:215], v[10:11] neg_lo:[0,1] neg_hi:[0,1]
	v_pk_fma_f32 v[8:9], v[6:7], v[0:1], v[4:5] op_sel:[0,0,1] op_sel_hi:[1,1,0] neg_lo:[0,0,1] neg_hi:[0,0,1]
	v_pk_fma_f32 v[4:5], v[6:7], v[0:1], v[4:5] op_sel:[0,0,1] op_sel_hi:[1,0,0]
	s_delay_alu instid0(VALU_DEP_1) | instskip(SKIP_4) | instid1(VALU_DEP_1)
	v_mov_b32_e32 v9, v5
	ds_load_2addr_b64 v[4:7], v182 offset0:53 offset1:54
	v_pk_add_f32 v[220:221], v[220:221], v[8:9] neg_lo:[0,1] neg_hi:[0,1]
	s_wait_dscnt 0x0
	v_pk_mul_f32 v[8:9], v[4:5], v[2:3] op_sel:[0,1]
	v_pk_fma_f32 v[10:11], v[4:5], v[0:1], v[8:9] op_sel:[0,0,1] op_sel_hi:[1,1,0] neg_lo:[0,0,1] neg_hi:[0,0,1]
	v_pk_fma_f32 v[4:5], v[4:5], v[0:1], v[8:9] op_sel:[0,0,1] op_sel_hi:[1,0,0]
	v_dual_mul_f32 v8, v7, v3 :: v_dual_mov_b32 v4, v7
	s_delay_alu instid0(VALU_DEP_2) | instskip(NEXT) | instid1(VALU_DEP_2)
	v_dual_mov_b32 v11, v5 :: v_dual_mov_b32 v5, v6
	v_pk_fma_f32 v[8:9], v[6:7], v[38:39], v[8:9] op_sel_hi:[1,1,0] neg_lo:[0,0,1] neg_hi:[0,0,1]
	v_mul_f32_e32 v6, v7, v0
	s_delay_alu instid0(VALU_DEP_3) | instskip(NEXT) | instid1(VALU_DEP_2)
	v_pk_add_f32 v[212:213], v[212:213], v[10:11] neg_lo:[0,1] neg_hi:[0,1]
	v_pk_fma_f32 v[4:5], v[4:5], v[38:39], v[6:7] op_sel_hi:[1,1,0]
	s_delay_alu instid0(VALU_DEP_1)
	v_mov_b32_e32 v9, v5
	ds_load_2addr_b64 v[4:7], v182 offset0:55 offset1:56
	v_pk_add_f32 v[218:219], v[218:219], v[8:9] neg_lo:[0,1] neg_hi:[0,1]
	s_wait_dscnt 0x0
	v_pk_mul_f32 v[8:9], v[4:5], v[2:3] op_sel:[0,1]
	v_pk_mul_f32 v[2:3], v[6:7], v[2:3] op_sel:[0,1]
	s_delay_alu instid0(VALU_DEP_2) | instskip(SKIP_1) | instid1(VALU_DEP_1)
	v_pk_fma_f32 v[10:11], v[4:5], v[0:1], v[8:9] op_sel:[0,0,1] op_sel_hi:[1,1,0] neg_lo:[0,0,1] neg_hi:[0,0,1]
	v_pk_fma_f32 v[4:5], v[4:5], v[0:1], v[8:9] op_sel:[0,0,1] op_sel_hi:[1,0,0]
	v_mov_b32_e32 v11, v5
	s_delay_alu instid0(VALU_DEP_4) | instskip(SKIP_1) | instid1(VALU_DEP_1)
	v_pk_fma_f32 v[4:5], v[6:7], v[0:1], v[2:3] op_sel:[0,0,1] op_sel_hi:[1,1,0] neg_lo:[0,0,1] neg_hi:[0,0,1]
	v_pk_fma_f32 v[0:1], v[6:7], v[0:1], v[2:3] op_sel:[0,0,1] op_sel_hi:[1,0,0]
	v_mov_b32_e32 v5, v1
	s_delay_alu instid0(VALU_DEP_4) | instskip(NEXT) | instid1(VALU_DEP_2)
	v_pk_add_f32 v[226:227], v[226:227], v[10:11] neg_lo:[0,1] neg_hi:[0,1]
	v_pk_add_f32 v[228:229], v[228:229], v[4:5] neg_lo:[0,1] neg_hi:[0,1]
.LBB113_100:
	s_wait_xcnt 0x0
	s_or_b32 exec_lo, exec_lo, s1
	s_delay_alu instid0(SALU_CYCLE_1)
	s_mov_b32 s2, exec_lo
	s_wait_storecnt 0x0
	s_barrier_signal -1
	s_barrier_wait -1
	v_cmpx_eq_u32_e32 11, v180
	s_cbranch_execz .LBB113_107
; %bb.101:
	v_dual_mov_b32 v0, v64 :: v_dual_mov_b32 v1, v65
	v_dual_mov_b32 v2, v60 :: v_dual_mov_b32 v3, v61
	ds_store_b64 v181, v[34:35]
	ds_store_2addr_b64 v182, v[0:1], v[2:3] offset0:12 offset1:13
	v_dual_mov_b32 v0, v62 :: v_dual_mov_b32 v1, v63
	v_dual_mov_b32 v2, v58 :: v_dual_mov_b32 v3, v59
	ds_store_2addr_b64 v182, v[0:1], v[2:3] offset0:14 offset1:15
	v_dual_mov_b32 v0, v80 :: v_dual_mov_b32 v1, v81
	v_dual_mov_b32 v2, v76 :: v_dual_mov_b32 v3, v77
	;; [unrolled: 3-line block ×21, first 2 shown]
	ds_store_2addr_b64 v182, v[0:1], v[2:3] offset0:54 offset1:55
	ds_store_b64 v182, v[228:229] offset:448
	ds_load_b64 v[0:1], v181
	s_wait_dscnt 0x0
	v_cmp_neq_f32_e32 vcc_lo, 0, v0
	v_cmp_neq_f32_e64 s1, 0, v1
	s_or_b32 s1, vcc_lo, s1
	s_delay_alu instid0(SALU_CYCLE_1)
	s_and_b32 exec_lo, exec_lo, s1
	s_cbranch_execz .LBB113_107
; %bb.102:
	v_cmp_ngt_f32_e64 s1, |v0|, |v1|
                                        ; implicit-def: $vgpr2_vgpr3
	s_and_saveexec_b32 s4, s1
	s_delay_alu instid0(SALU_CYCLE_1)
	s_xor_b32 s1, exec_lo, s4
	s_cbranch_execz .LBB113_104
; %bb.103:
	v_div_scale_f32 v2, null, v1, v1, v0
	v_div_scale_f32 v5, vcc_lo, v0, v1, v0
	s_delay_alu instid0(VALU_DEP_2) | instskip(SKIP_1) | instid1(TRANS32_DEP_1)
	v_rcp_f32_e32 v3, v2
	v_nop
	v_fma_f32 v4, -v2, v3, 1.0
	s_delay_alu instid0(VALU_DEP_1) | instskip(NEXT) | instid1(VALU_DEP_1)
	v_fmac_f32_e32 v3, v4, v3
	v_mul_f32_e32 v4, v5, v3
	s_delay_alu instid0(VALU_DEP_1) | instskip(NEXT) | instid1(VALU_DEP_1)
	v_fma_f32 v6, -v2, v4, v5
	v_fmac_f32_e32 v4, v6, v3
	s_delay_alu instid0(VALU_DEP_1) | instskip(NEXT) | instid1(VALU_DEP_1)
	v_fma_f32 v2, -v2, v4, v5
	v_div_fmas_f32 v2, v2, v3, v4
	s_delay_alu instid0(VALU_DEP_1) | instskip(NEXT) | instid1(VALU_DEP_1)
	v_div_fixup_f32 v2, v2, v1, v0
	v_fmac_f32_e32 v1, v0, v2
	s_delay_alu instid0(VALU_DEP_1) | instskip(SKIP_1) | instid1(VALU_DEP_2)
	v_div_scale_f32 v0, null, v1, v1, 1.0
	v_div_scale_f32 v5, vcc_lo, 1.0, v1, 1.0
	v_rcp_f32_e32 v3, v0
	v_nop
	s_delay_alu instid0(TRANS32_DEP_1) | instskip(NEXT) | instid1(VALU_DEP_1)
	v_fma_f32 v4, -v0, v3, 1.0
	v_fmac_f32_e32 v3, v4, v3
	s_delay_alu instid0(VALU_DEP_1) | instskip(NEXT) | instid1(VALU_DEP_1)
	v_mul_f32_e32 v4, v5, v3
	v_fma_f32 v6, -v0, v4, v5
	s_delay_alu instid0(VALU_DEP_1) | instskip(NEXT) | instid1(VALU_DEP_1)
	v_fmac_f32_e32 v4, v6, v3
	v_fma_f32 v0, -v0, v4, v5
	s_delay_alu instid0(VALU_DEP_1) | instskip(NEXT) | instid1(VALU_DEP_1)
	v_div_fmas_f32 v0, v0, v3, v4
	v_div_fixup_f32 v0, v0, v1, 1.0
	s_delay_alu instid0(VALU_DEP_1)
	v_mul_f32_e32 v2, v2, v0
	v_xor_b32_e32 v3, 0x80000000, v0
                                        ; implicit-def: $vgpr0_vgpr1
.LBB113_104:
	s_and_not1_saveexec_b32 s1, s1
	s_cbranch_execz .LBB113_106
; %bb.105:
	v_div_scale_f32 v2, null, v0, v0, v1
	v_div_scale_f32 v5, vcc_lo, v1, v0, v1
	s_delay_alu instid0(VALU_DEP_2) | instskip(SKIP_1) | instid1(TRANS32_DEP_1)
	v_rcp_f32_e32 v3, v2
	v_nop
	v_fma_f32 v4, -v2, v3, 1.0
	s_delay_alu instid0(VALU_DEP_1) | instskip(NEXT) | instid1(VALU_DEP_1)
	v_fmac_f32_e32 v3, v4, v3
	v_mul_f32_e32 v4, v5, v3
	s_delay_alu instid0(VALU_DEP_1) | instskip(NEXT) | instid1(VALU_DEP_1)
	v_fma_f32 v6, -v2, v4, v5
	v_fmac_f32_e32 v4, v6, v3
	s_delay_alu instid0(VALU_DEP_1) | instskip(NEXT) | instid1(VALU_DEP_1)
	v_fma_f32 v2, -v2, v4, v5
	v_div_fmas_f32 v2, v2, v3, v4
	s_delay_alu instid0(VALU_DEP_1) | instskip(NEXT) | instid1(VALU_DEP_1)
	v_div_fixup_f32 v3, v2, v0, v1
	v_fmac_f32_e32 v0, v1, v3
	s_delay_alu instid0(VALU_DEP_1) | instskip(NEXT) | instid1(VALU_DEP_1)
	v_div_scale_f32 v1, null, v0, v0, 1.0
	v_rcp_f32_e32 v2, v1
	v_nop
	s_delay_alu instid0(TRANS32_DEP_1) | instskip(NEXT) | instid1(VALU_DEP_1)
	v_fma_f32 v4, -v1, v2, 1.0
	v_fmac_f32_e32 v2, v4, v2
	v_div_scale_f32 v4, vcc_lo, 1.0, v0, 1.0
	s_delay_alu instid0(VALU_DEP_1) | instskip(NEXT) | instid1(VALU_DEP_1)
	v_mul_f32_e32 v5, v4, v2
	v_fma_f32 v6, -v1, v5, v4
	s_delay_alu instid0(VALU_DEP_1) | instskip(NEXT) | instid1(VALU_DEP_1)
	v_fmac_f32_e32 v5, v6, v2
	v_fma_f32 v1, -v1, v5, v4
	s_delay_alu instid0(VALU_DEP_1) | instskip(NEXT) | instid1(VALU_DEP_1)
	v_div_fmas_f32 v1, v1, v2, v5
	v_div_fixup_f32 v2, v1, v0, 1.0
	s_delay_alu instid0(VALU_DEP_1)
	v_mul_f32_e64 v3, v3, -v2
.LBB113_106:
	s_or_b32 exec_lo, exec_lo, s1
	ds_store_b64 v181, v[2:3]
.LBB113_107:
	s_or_b32 exec_lo, exec_lo, s2
	s_wait_dscnt 0x0
	s_barrier_signal -1
	s_barrier_wait -1
	ds_load_b64 v[0:1], v181
	s_mov_b32 s1, exec_lo
	s_wait_dscnt 0x0
	scratch_store_b64 off, v[0:1], off offset:376 ; 8-byte Folded Spill
	s_wait_xcnt 0x0
	v_cmpx_lt_u32_e32 11, v180
	s_cbranch_execz .LBB113_109
; %bb.108:
	scratch_load_b64 v[4:5], off, off offset:376 ; 8-byte Folded Reload
	s_wait_loadcnt 0x0
	v_pk_mul_f32 v[2:3], v[4:5], v[34:35] op_sel:[1,1] op_sel_hi:[0,1]
	s_delay_alu instid0(VALU_DEP_1)
	v_pk_fma_f32 v[0:1], v[4:5], v[34:35], v[2:3] op_sel_hi:[1,0,1] neg_lo:[0,0,1] neg_hi:[0,0,1]
	v_pk_fma_f32 v[2:3], v[4:5], v[34:35], v[2:3] op_sel_hi:[1,0,1]
	ds_load_2addr_b64 v[4:7], v182 offset0:12 offset1:13
	v_dual_mov_b32 v34, v0 :: v_dual_mov_b32 v35, v3
	s_wait_dscnt 0x0
	v_pk_mul_f32 v[8:9], v[4:5], v[2:3] op_sel:[0,1]
	s_delay_alu instid0(VALU_DEP_1) | instskip(SKIP_1) | instid1(VALU_DEP_1)
	v_pk_fma_f32 v[10:11], v[4:5], v[0:1], v[8:9] op_sel:[0,0,1] op_sel_hi:[1,1,0] neg_lo:[0,0,1] neg_hi:[0,0,1]
	v_pk_fma_f32 v[4:5], v[4:5], v[0:1], v[8:9] op_sel:[0,0,1] op_sel_hi:[1,0,0]
	v_mov_b32_e32 v11, v5
	v_pk_mul_f32 v[4:5], v[6:7], v[2:3] op_sel:[0,1]
	s_delay_alu instid0(VALU_DEP_1) | instskip(SKIP_1) | instid1(VALU_DEP_1)
	v_pk_fma_f32 v[8:9], v[6:7], v[0:1], v[4:5] op_sel:[0,0,1] op_sel_hi:[1,1,0] neg_lo:[0,0,1] neg_hi:[0,0,1]
	v_pk_fma_f32 v[4:5], v[6:7], v[0:1], v[4:5] op_sel:[0,0,1] op_sel_hi:[1,0,0]
	v_mov_b32_e32 v9, v5
	ds_load_2addr_b64 v[4:7], v182 offset0:14 offset1:15
	v_pk_add_f32 v[64:65], v[64:65], v[10:11] neg_lo:[0,1] neg_hi:[0,1]
	v_pk_add_f32 v[60:61], v[60:61], v[8:9] neg_lo:[0,1] neg_hi:[0,1]
	s_wait_dscnt 0x0
	v_pk_mul_f32 v[8:9], v[4:5], v[2:3] op_sel:[0,1]
	s_delay_alu instid0(VALU_DEP_1) | instskip(SKIP_2) | instid1(VALU_DEP_2)
	v_pk_fma_f32 v[10:11], v[4:5], v[0:1], v[8:9] op_sel:[0,0,1] op_sel_hi:[1,1,0] neg_lo:[0,0,1] neg_hi:[0,0,1]
	v_pk_fma_f32 v[4:5], v[4:5], v[0:1], v[8:9] op_sel:[0,0,1] op_sel_hi:[1,0,0]
	v_dual_mul_f32 v8, v7, v3 :: v_dual_mov_b32 v4, v7
	v_dual_mov_b32 v11, v5 :: v_dual_mov_b32 v5, v6
	s_delay_alu instid0(VALU_DEP_2) | instskip(SKIP_1) | instid1(VALU_DEP_3)
	v_pk_fma_f32 v[8:9], v[6:7], v[34:35], v[8:9] op_sel_hi:[1,1,0] neg_lo:[0,0,1] neg_hi:[0,0,1]
	v_mul_f32_e32 v6, v7, v0
	v_pk_add_f32 v[62:63], v[62:63], v[10:11] neg_lo:[0,1] neg_hi:[0,1]
	s_delay_alu instid0(VALU_DEP_2) | instskip(NEXT) | instid1(VALU_DEP_1)
	v_pk_fma_f32 v[4:5], v[4:5], v[34:35], v[6:7] op_sel_hi:[1,1,0]
	v_mov_b32_e32 v9, v5
	ds_load_2addr_b64 v[4:7], v182 offset0:16 offset1:17
	v_pk_add_f32 v[58:59], v[58:59], v[8:9] neg_lo:[0,1] neg_hi:[0,1]
	s_wait_dscnt 0x0
	v_pk_mul_f32 v[8:9], v[4:5], v[2:3] op_sel:[0,1]
	s_delay_alu instid0(VALU_DEP_1) | instskip(SKIP_1) | instid1(VALU_DEP_1)
	v_pk_fma_f32 v[10:11], v[4:5], v[0:1], v[8:9] op_sel:[0,0,1] op_sel_hi:[1,1,0] neg_lo:[0,0,1] neg_hi:[0,0,1]
	v_pk_fma_f32 v[4:5], v[4:5], v[0:1], v[8:9] op_sel:[0,0,1] op_sel_hi:[1,0,0]
	v_mov_b32_e32 v11, v5
	v_pk_mul_f32 v[4:5], v[6:7], v[2:3] op_sel:[0,1]
	s_delay_alu instid0(VALU_DEP_1) | instskip(SKIP_1) | instid1(VALU_DEP_1)
	v_pk_fma_f32 v[8:9], v[6:7], v[0:1], v[4:5] op_sel:[0,0,1] op_sel_hi:[1,1,0] neg_lo:[0,0,1] neg_hi:[0,0,1]
	v_pk_fma_f32 v[4:5], v[6:7], v[0:1], v[4:5] op_sel:[0,0,1] op_sel_hi:[1,0,0]
	v_mov_b32_e32 v9, v5
	ds_load_2addr_b64 v[4:7], v182 offset0:18 offset1:19
	v_pk_add_f32 v[80:81], v[80:81], v[10:11] neg_lo:[0,1] neg_hi:[0,1]
	v_pk_add_f32 v[76:77], v[76:77], v[8:9] neg_lo:[0,1] neg_hi:[0,1]
	s_wait_dscnt 0x0
	v_pk_mul_f32 v[8:9], v[4:5], v[2:3] op_sel:[0,1]
	s_delay_alu instid0(VALU_DEP_1) | instskip(SKIP_1) | instid1(VALU_DEP_1)
	v_pk_fma_f32 v[10:11], v[4:5], v[0:1], v[8:9] op_sel:[0,0,1] op_sel_hi:[1,1,0] neg_lo:[0,0,1] neg_hi:[0,0,1]
	v_pk_fma_f32 v[4:5], v[4:5], v[0:1], v[8:9] op_sel:[0,0,1] op_sel_hi:[1,0,0]
	v_mov_b32_e32 v11, v5
	v_pk_mul_f32 v[4:5], v[6:7], v[2:3] op_sel:[0,1]
	s_delay_alu instid0(VALU_DEP_1) | instskip(SKIP_1) | instid1(VALU_DEP_1)
	v_pk_fma_f32 v[8:9], v[6:7], v[0:1], v[4:5] op_sel:[0,0,1] op_sel_hi:[1,1,0] neg_lo:[0,0,1] neg_hi:[0,0,1]
	v_pk_fma_f32 v[4:5], v[6:7], v[0:1], v[4:5] op_sel:[0,0,1] op_sel_hi:[1,0,0]
	v_mov_b32_e32 v9, v5
	ds_load_2addr_b64 v[4:7], v182 offset0:20 offset1:21
	v_pk_add_f32 v[78:79], v[78:79], v[10:11] neg_lo:[0,1] neg_hi:[0,1]
	v_pk_add_f32 v[74:75], v[74:75], v[8:9] neg_lo:[0,1] neg_hi:[0,1]
	s_wait_dscnt 0x0
	v_dual_mul_f32 v8, v5, v3 :: v_dual_mul_f32 v10, v5, v0
	s_delay_alu instid0(VALU_DEP_1) | instskip(NEXT) | instid1(VALU_DEP_2)
	v_pk_fma_f32 v[8:9], v[4:5], v[34:35], v[8:9] op_sel_hi:[1,1,0] neg_lo:[0,0,1] neg_hi:[0,0,1]
	v_pk_fma_f32 v[4:5], v[4:5], v[34:35], v[10:11] op_sel:[1,0,0] op_sel_hi:[0,1,0]
	s_delay_alu instid0(VALU_DEP_1) | instskip(SKIP_1) | instid1(VALU_DEP_2)
	v_mov_b32_e32 v9, v5
	v_pk_mul_f32 v[4:5], v[6:7], v[2:3] op_sel:[0,1]
	v_pk_add_f32 v[98:99], v[98:99], v[8:9] neg_lo:[0,1] neg_hi:[0,1]
	s_delay_alu instid0(VALU_DEP_2) | instskip(SKIP_1) | instid1(VALU_DEP_1)
	v_pk_fma_f32 v[8:9], v[6:7], v[0:1], v[4:5] op_sel:[0,0,1] op_sel_hi:[1,1,0] neg_lo:[0,0,1] neg_hi:[0,0,1]
	v_pk_fma_f32 v[4:5], v[6:7], v[0:1], v[4:5] op_sel:[0,0,1] op_sel_hi:[1,0,0]
	v_mov_b32_e32 v9, v5
	ds_load_2addr_b64 v[4:7], v182 offset0:22 offset1:23
	v_pk_add_f32 v[94:95], v[94:95], v[8:9] neg_lo:[0,1] neg_hi:[0,1]
	s_wait_dscnt 0x0
	v_pk_mul_f32 v[8:9], v[4:5], v[2:3] op_sel:[0,1]
	s_delay_alu instid0(VALU_DEP_1) | instskip(SKIP_1) | instid1(VALU_DEP_1)
	v_pk_fma_f32 v[10:11], v[4:5], v[0:1], v[8:9] op_sel:[0,0,1] op_sel_hi:[1,1,0] neg_lo:[0,0,1] neg_hi:[0,0,1]
	v_pk_fma_f32 v[4:5], v[4:5], v[0:1], v[8:9] op_sel:[0,0,1] op_sel_hi:[1,0,0]
	v_mov_b32_e32 v11, v5
	v_pk_mul_f32 v[4:5], v[6:7], v[2:3] op_sel:[0,1]
	s_delay_alu instid0(VALU_DEP_2) | instskip(NEXT) | instid1(VALU_DEP_2)
	v_pk_add_f32 v[96:97], v[96:97], v[10:11] neg_lo:[0,1] neg_hi:[0,1]
	v_pk_fma_f32 v[8:9], v[6:7], v[0:1], v[4:5] op_sel:[0,0,1] op_sel_hi:[1,1,0] neg_lo:[0,0,1] neg_hi:[0,0,1]
	v_pk_fma_f32 v[4:5], v[6:7], v[0:1], v[4:5] op_sel:[0,0,1] op_sel_hi:[1,0,0]
	s_delay_alu instid0(VALU_DEP_1) | instskip(SKIP_4) | instid1(VALU_DEP_1)
	v_mov_b32_e32 v9, v5
	ds_load_2addr_b64 v[4:7], v182 offset0:24 offset1:25
	v_pk_add_f32 v[92:93], v[92:93], v[8:9] neg_lo:[0,1] neg_hi:[0,1]
	s_wait_dscnt 0x0
	v_pk_mul_f32 v[8:9], v[4:5], v[2:3] op_sel:[0,1]
	v_pk_fma_f32 v[10:11], v[4:5], v[0:1], v[8:9] op_sel:[0,0,1] op_sel_hi:[1,1,0] neg_lo:[0,0,1] neg_hi:[0,0,1]
	v_pk_fma_f32 v[4:5], v[4:5], v[0:1], v[8:9] op_sel:[0,0,1] op_sel_hi:[1,0,0]
	v_dual_mul_f32 v8, v7, v3 :: v_dual_mov_b32 v4, v7
	s_delay_alu instid0(VALU_DEP_2) | instskip(NEXT) | instid1(VALU_DEP_2)
	v_dual_mov_b32 v11, v5 :: v_dual_mov_b32 v5, v6
	v_pk_fma_f32 v[8:9], v[6:7], v[34:35], v[8:9] op_sel_hi:[1,1,0] neg_lo:[0,0,1] neg_hi:[0,0,1]
	v_mul_f32_e32 v6, v7, v0
	s_delay_alu instid0(VALU_DEP_3) | instskip(NEXT) | instid1(VALU_DEP_2)
	v_pk_add_f32 v[114:115], v[114:115], v[10:11] neg_lo:[0,1] neg_hi:[0,1]
	v_pk_fma_f32 v[4:5], v[4:5], v[34:35], v[6:7] op_sel_hi:[1,1,0]
	s_delay_alu instid0(VALU_DEP_1) | instskip(SKIP_4) | instid1(VALU_DEP_1)
	v_mov_b32_e32 v9, v5
	ds_load_2addr_b64 v[4:7], v182 offset0:26 offset1:27
	v_pk_add_f32 v[110:111], v[110:111], v[8:9] neg_lo:[0,1] neg_hi:[0,1]
	s_wait_dscnt 0x0
	v_pk_mul_f32 v[8:9], v[4:5], v[2:3] op_sel:[0,1]
	v_pk_fma_f32 v[10:11], v[4:5], v[0:1], v[8:9] op_sel:[0,0,1] op_sel_hi:[1,1,0] neg_lo:[0,0,1] neg_hi:[0,0,1]
	v_pk_fma_f32 v[4:5], v[4:5], v[0:1], v[8:9] op_sel:[0,0,1] op_sel_hi:[1,0,0]
	s_delay_alu instid0(VALU_DEP_1) | instskip(SKIP_1) | instid1(VALU_DEP_1)
	v_mov_b32_e32 v11, v5
	v_pk_mul_f32 v[4:5], v[6:7], v[2:3] op_sel:[0,1]
	v_pk_fma_f32 v[8:9], v[6:7], v[0:1], v[4:5] op_sel:[0,0,1] op_sel_hi:[1,1,0] neg_lo:[0,0,1] neg_hi:[0,0,1]
	v_pk_fma_f32 v[4:5], v[6:7], v[0:1], v[4:5] op_sel:[0,0,1] op_sel_hi:[1,0,0]
	s_delay_alu instid0(VALU_DEP_1)
	v_mov_b32_e32 v9, v5
	ds_load_2addr_b64 v[4:7], v182 offset0:28 offset1:29
	v_pk_add_f32 v[112:113], v[112:113], v[10:11] neg_lo:[0,1] neg_hi:[0,1]
	v_pk_add_f32 v[108:109], v[108:109], v[8:9] neg_lo:[0,1] neg_hi:[0,1]
	s_wait_dscnt 0x0
	v_pk_mul_f32 v[8:9], v[4:5], v[2:3] op_sel:[0,1]
	s_delay_alu instid0(VALU_DEP_1) | instskip(SKIP_1) | instid1(VALU_DEP_1)
	v_pk_fma_f32 v[10:11], v[4:5], v[0:1], v[8:9] op_sel:[0,0,1] op_sel_hi:[1,1,0] neg_lo:[0,0,1] neg_hi:[0,0,1]
	v_pk_fma_f32 v[4:5], v[4:5], v[0:1], v[8:9] op_sel:[0,0,1] op_sel_hi:[1,0,0]
	v_mov_b32_e32 v11, v5
	v_pk_mul_f32 v[4:5], v[6:7], v[2:3] op_sel:[0,1]
	s_delay_alu instid0(VALU_DEP_1) | instskip(SKIP_1) | instid1(VALU_DEP_1)
	v_pk_fma_f32 v[8:9], v[6:7], v[0:1], v[4:5] op_sel:[0,0,1] op_sel_hi:[1,1,0] neg_lo:[0,0,1] neg_hi:[0,0,1]
	v_pk_fma_f32 v[4:5], v[6:7], v[0:1], v[4:5] op_sel:[0,0,1] op_sel_hi:[1,0,0]
	v_mov_b32_e32 v9, v5
	ds_load_2addr_b64 v[4:7], v182 offset0:30 offset1:31
	v_pk_add_f32 v[130:131], v[130:131], v[10:11] neg_lo:[0,1] neg_hi:[0,1]
	v_pk_add_f32 v[126:127], v[126:127], v[8:9] neg_lo:[0,1] neg_hi:[0,1]
	s_wait_dscnt 0x0
	v_dual_mul_f32 v8, v5, v3 :: v_dual_mul_f32 v10, v5, v0
	s_delay_alu instid0(VALU_DEP_1) | instskip(NEXT) | instid1(VALU_DEP_2)
	v_pk_fma_f32 v[8:9], v[4:5], v[34:35], v[8:9] op_sel_hi:[1,1,0] neg_lo:[0,0,1] neg_hi:[0,0,1]
	v_pk_fma_f32 v[4:5], v[4:5], v[34:35], v[10:11] op_sel:[1,0,0] op_sel_hi:[0,1,0]
	s_delay_alu instid0(VALU_DEP_1) | instskip(SKIP_1) | instid1(VALU_DEP_2)
	v_mov_b32_e32 v9, v5
	v_pk_mul_f32 v[4:5], v[6:7], v[2:3] op_sel:[0,1]
	v_pk_add_f32 v[128:129], v[128:129], v[8:9] neg_lo:[0,1] neg_hi:[0,1]
	s_delay_alu instid0(VALU_DEP_2) | instskip(SKIP_1) | instid1(VALU_DEP_1)
	v_pk_fma_f32 v[8:9], v[6:7], v[0:1], v[4:5] op_sel:[0,0,1] op_sel_hi:[1,1,0] neg_lo:[0,0,1] neg_hi:[0,0,1]
	v_pk_fma_f32 v[4:5], v[6:7], v[0:1], v[4:5] op_sel:[0,0,1] op_sel_hi:[1,0,0]
	v_mov_b32_e32 v9, v5
	ds_load_2addr_b64 v[4:7], v182 offset0:32 offset1:33
	v_pk_add_f32 v[124:125], v[124:125], v[8:9] neg_lo:[0,1] neg_hi:[0,1]
	s_wait_dscnt 0x0
	v_pk_mul_f32 v[8:9], v[4:5], v[2:3] op_sel:[0,1]
	s_delay_alu instid0(VALU_DEP_1) | instskip(SKIP_1) | instid1(VALU_DEP_1)
	v_pk_fma_f32 v[10:11], v[4:5], v[0:1], v[8:9] op_sel:[0,0,1] op_sel_hi:[1,1,0] neg_lo:[0,0,1] neg_hi:[0,0,1]
	v_pk_fma_f32 v[4:5], v[4:5], v[0:1], v[8:9] op_sel:[0,0,1] op_sel_hi:[1,0,0]
	v_mov_b32_e32 v11, v5
	v_pk_mul_f32 v[4:5], v[6:7], v[2:3] op_sel:[0,1]
	s_delay_alu instid0(VALU_DEP_2) | instskip(NEXT) | instid1(VALU_DEP_2)
	v_pk_add_f32 v[146:147], v[146:147], v[10:11] neg_lo:[0,1] neg_hi:[0,1]
	v_pk_fma_f32 v[8:9], v[6:7], v[0:1], v[4:5] op_sel:[0,0,1] op_sel_hi:[1,1,0] neg_lo:[0,0,1] neg_hi:[0,0,1]
	v_pk_fma_f32 v[4:5], v[6:7], v[0:1], v[4:5] op_sel:[0,0,1] op_sel_hi:[1,0,0]
	s_delay_alu instid0(VALU_DEP_1) | instskip(SKIP_4) | instid1(VALU_DEP_1)
	v_mov_b32_e32 v9, v5
	ds_load_2addr_b64 v[4:7], v182 offset0:34 offset1:35
	v_pk_add_f32 v[142:143], v[142:143], v[8:9] neg_lo:[0,1] neg_hi:[0,1]
	s_wait_dscnt 0x0
	v_pk_mul_f32 v[8:9], v[4:5], v[2:3] op_sel:[0,1]
	v_pk_fma_f32 v[10:11], v[4:5], v[0:1], v[8:9] op_sel:[0,0,1] op_sel_hi:[1,1,0] neg_lo:[0,0,1] neg_hi:[0,0,1]
	v_pk_fma_f32 v[4:5], v[4:5], v[0:1], v[8:9] op_sel:[0,0,1] op_sel_hi:[1,0,0]
	v_dual_mul_f32 v8, v7, v3 :: v_dual_mov_b32 v4, v7
	s_delay_alu instid0(VALU_DEP_2) | instskip(NEXT) | instid1(VALU_DEP_2)
	v_dual_mov_b32 v11, v5 :: v_dual_mov_b32 v5, v6
	v_pk_fma_f32 v[8:9], v[6:7], v[34:35], v[8:9] op_sel_hi:[1,1,0] neg_lo:[0,0,1] neg_hi:[0,0,1]
	v_mul_f32_e32 v6, v7, v0
	s_delay_alu instid0(VALU_DEP_3) | instskip(NEXT) | instid1(VALU_DEP_2)
	v_pk_add_f32 v[144:145], v[144:145], v[10:11] neg_lo:[0,1] neg_hi:[0,1]
	v_pk_fma_f32 v[4:5], v[4:5], v[34:35], v[6:7] op_sel_hi:[1,1,0]
	s_delay_alu instid0(VALU_DEP_1) | instskip(SKIP_4) | instid1(VALU_DEP_1)
	v_mov_b32_e32 v9, v5
	ds_load_2addr_b64 v[4:7], v182 offset0:36 offset1:37
	v_pk_add_f32 v[140:141], v[140:141], v[8:9] neg_lo:[0,1] neg_hi:[0,1]
	s_wait_dscnt 0x0
	v_pk_mul_f32 v[8:9], v[4:5], v[2:3] op_sel:[0,1]
	v_pk_fma_f32 v[10:11], v[4:5], v[0:1], v[8:9] op_sel:[0,0,1] op_sel_hi:[1,1,0] neg_lo:[0,0,1] neg_hi:[0,0,1]
	v_pk_fma_f32 v[4:5], v[4:5], v[0:1], v[8:9] op_sel:[0,0,1] op_sel_hi:[1,0,0]
	s_delay_alu instid0(VALU_DEP_1) | instskip(SKIP_1) | instid1(VALU_DEP_1)
	v_mov_b32_e32 v11, v5
	v_pk_mul_f32 v[4:5], v[6:7], v[2:3] op_sel:[0,1]
	v_pk_fma_f32 v[8:9], v[6:7], v[0:1], v[4:5] op_sel:[0,0,1] op_sel_hi:[1,1,0] neg_lo:[0,0,1] neg_hi:[0,0,1]
	v_pk_fma_f32 v[4:5], v[6:7], v[0:1], v[4:5] op_sel:[0,0,1] op_sel_hi:[1,0,0]
	s_delay_alu instid0(VALU_DEP_1)
	v_mov_b32_e32 v9, v5
	ds_load_2addr_b64 v[4:7], v182 offset0:38 offset1:39
	v_pk_add_f32 v[162:163], v[162:163], v[10:11] neg_lo:[0,1] neg_hi:[0,1]
	v_pk_add_f32 v[158:159], v[158:159], v[8:9] neg_lo:[0,1] neg_hi:[0,1]
	s_wait_dscnt 0x0
	v_pk_mul_f32 v[8:9], v[4:5], v[2:3] op_sel:[0,1]
	s_delay_alu instid0(VALU_DEP_1) | instskip(SKIP_1) | instid1(VALU_DEP_1)
	v_pk_fma_f32 v[10:11], v[4:5], v[0:1], v[8:9] op_sel:[0,0,1] op_sel_hi:[1,1,0] neg_lo:[0,0,1] neg_hi:[0,0,1]
	v_pk_fma_f32 v[4:5], v[4:5], v[0:1], v[8:9] op_sel:[0,0,1] op_sel_hi:[1,0,0]
	v_mov_b32_e32 v11, v5
	v_pk_mul_f32 v[4:5], v[6:7], v[2:3] op_sel:[0,1]
	s_delay_alu instid0(VALU_DEP_1) | instskip(SKIP_1) | instid1(VALU_DEP_1)
	v_pk_fma_f32 v[8:9], v[6:7], v[0:1], v[4:5] op_sel:[0,0,1] op_sel_hi:[1,1,0] neg_lo:[0,0,1] neg_hi:[0,0,1]
	v_pk_fma_f32 v[4:5], v[6:7], v[0:1], v[4:5] op_sel:[0,0,1] op_sel_hi:[1,0,0]
	v_mov_b32_e32 v9, v5
	ds_load_2addr_b64 v[4:7], v182 offset0:40 offset1:41
	v_pk_add_f32 v[160:161], v[160:161], v[10:11] neg_lo:[0,1] neg_hi:[0,1]
	v_pk_add_f32 v[156:157], v[156:157], v[8:9] neg_lo:[0,1] neg_hi:[0,1]
	s_wait_dscnt 0x0
	v_dual_mul_f32 v8, v5, v3 :: v_dual_mul_f32 v10, v5, v0
	s_delay_alu instid0(VALU_DEP_1) | instskip(NEXT) | instid1(VALU_DEP_2)
	v_pk_fma_f32 v[8:9], v[4:5], v[34:35], v[8:9] op_sel_hi:[1,1,0] neg_lo:[0,0,1] neg_hi:[0,0,1]
	v_pk_fma_f32 v[4:5], v[4:5], v[34:35], v[10:11] op_sel:[1,0,0] op_sel_hi:[0,1,0]
	s_delay_alu instid0(VALU_DEP_1) | instskip(SKIP_1) | instid1(VALU_DEP_2)
	v_mov_b32_e32 v9, v5
	v_pk_mul_f32 v[4:5], v[6:7], v[2:3] op_sel:[0,1]
	v_pk_add_f32 v[178:179], v[178:179], v[8:9] neg_lo:[0,1] neg_hi:[0,1]
	s_delay_alu instid0(VALU_DEP_2) | instskip(SKIP_1) | instid1(VALU_DEP_1)
	v_pk_fma_f32 v[8:9], v[6:7], v[0:1], v[4:5] op_sel:[0,0,1] op_sel_hi:[1,1,0] neg_lo:[0,0,1] neg_hi:[0,0,1]
	v_pk_fma_f32 v[4:5], v[6:7], v[0:1], v[4:5] op_sel:[0,0,1] op_sel_hi:[1,0,0]
	v_mov_b32_e32 v9, v5
	ds_load_2addr_b64 v[4:7], v182 offset0:42 offset1:43
	v_pk_add_f32 v[174:175], v[174:175], v[8:9] neg_lo:[0,1] neg_hi:[0,1]
	s_wait_dscnt 0x0
	v_pk_mul_f32 v[8:9], v[4:5], v[2:3] op_sel:[0,1]
	s_delay_alu instid0(VALU_DEP_1) | instskip(SKIP_1) | instid1(VALU_DEP_1)
	v_pk_fma_f32 v[10:11], v[4:5], v[0:1], v[8:9] op_sel:[0,0,1] op_sel_hi:[1,1,0] neg_lo:[0,0,1] neg_hi:[0,0,1]
	v_pk_fma_f32 v[4:5], v[4:5], v[0:1], v[8:9] op_sel:[0,0,1] op_sel_hi:[1,0,0]
	v_mov_b32_e32 v11, v5
	v_pk_mul_f32 v[4:5], v[6:7], v[2:3] op_sel:[0,1]
	s_delay_alu instid0(VALU_DEP_2) | instskip(NEXT) | instid1(VALU_DEP_2)
	v_pk_add_f32 v[176:177], v[176:177], v[10:11] neg_lo:[0,1] neg_hi:[0,1]
	v_pk_fma_f32 v[8:9], v[6:7], v[0:1], v[4:5] op_sel:[0,0,1] op_sel_hi:[1,1,0] neg_lo:[0,0,1] neg_hi:[0,0,1]
	v_pk_fma_f32 v[4:5], v[6:7], v[0:1], v[4:5] op_sel:[0,0,1] op_sel_hi:[1,0,0]
	s_delay_alu instid0(VALU_DEP_1) | instskip(SKIP_4) | instid1(VALU_DEP_1)
	v_mov_b32_e32 v9, v5
	ds_load_2addr_b64 v[4:7], v182 offset0:44 offset1:45
	v_pk_add_f32 v[172:173], v[172:173], v[8:9] neg_lo:[0,1] neg_hi:[0,1]
	s_wait_dscnt 0x0
	v_pk_mul_f32 v[8:9], v[4:5], v[2:3] op_sel:[0,1]
	v_pk_fma_f32 v[10:11], v[4:5], v[0:1], v[8:9] op_sel:[0,0,1] op_sel_hi:[1,1,0] neg_lo:[0,0,1] neg_hi:[0,0,1]
	v_pk_fma_f32 v[4:5], v[4:5], v[0:1], v[8:9] op_sel:[0,0,1] op_sel_hi:[1,0,0]
	v_dual_mul_f32 v8, v7, v3 :: v_dual_mov_b32 v4, v7
	s_delay_alu instid0(VALU_DEP_2) | instskip(NEXT) | instid1(VALU_DEP_2)
	v_dual_mov_b32 v11, v5 :: v_dual_mov_b32 v5, v6
	v_pk_fma_f32 v[8:9], v[6:7], v[34:35], v[8:9] op_sel_hi:[1,1,0] neg_lo:[0,0,1] neg_hi:[0,0,1]
	v_mul_f32_e32 v6, v7, v0
	s_delay_alu instid0(VALU_DEP_3) | instskip(NEXT) | instid1(VALU_DEP_2)
	v_pk_add_f32 v[200:201], v[200:201], v[10:11] neg_lo:[0,1] neg_hi:[0,1]
	v_pk_fma_f32 v[4:5], v[4:5], v[34:35], v[6:7] op_sel_hi:[1,1,0]
	s_delay_alu instid0(VALU_DEP_1) | instskip(SKIP_4) | instid1(VALU_DEP_1)
	v_mov_b32_e32 v9, v5
	ds_load_2addr_b64 v[4:7], v182 offset0:46 offset1:47
	v_pk_add_f32 v[196:197], v[196:197], v[8:9] neg_lo:[0,1] neg_hi:[0,1]
	s_wait_dscnt 0x0
	v_pk_mul_f32 v[8:9], v[4:5], v[2:3] op_sel:[0,1]
	v_pk_fma_f32 v[10:11], v[4:5], v[0:1], v[8:9] op_sel:[0,0,1] op_sel_hi:[1,1,0] neg_lo:[0,0,1] neg_hi:[0,0,1]
	v_pk_fma_f32 v[4:5], v[4:5], v[0:1], v[8:9] op_sel:[0,0,1] op_sel_hi:[1,0,0]
	s_delay_alu instid0(VALU_DEP_1) | instskip(SKIP_1) | instid1(VALU_DEP_1)
	v_mov_b32_e32 v11, v5
	v_pk_mul_f32 v[4:5], v[6:7], v[2:3] op_sel:[0,1]
	v_pk_fma_f32 v[8:9], v[6:7], v[0:1], v[4:5] op_sel:[0,0,1] op_sel_hi:[1,1,0] neg_lo:[0,0,1] neg_hi:[0,0,1]
	v_pk_fma_f32 v[4:5], v[6:7], v[0:1], v[4:5] op_sel:[0,0,1] op_sel_hi:[1,0,0]
	s_delay_alu instid0(VALU_DEP_1)
	v_mov_b32_e32 v9, v5
	ds_load_2addr_b64 v[4:7], v182 offset0:48 offset1:49
	v_pk_add_f32 v[198:199], v[198:199], v[10:11] neg_lo:[0,1] neg_hi:[0,1]
	v_pk_add_f32 v[194:195], v[194:195], v[8:9] neg_lo:[0,1] neg_hi:[0,1]
	s_wait_dscnt 0x0
	v_pk_mul_f32 v[8:9], v[4:5], v[2:3] op_sel:[0,1]
	s_delay_alu instid0(VALU_DEP_1) | instskip(SKIP_1) | instid1(VALU_DEP_1)
	v_pk_fma_f32 v[10:11], v[4:5], v[0:1], v[8:9] op_sel:[0,0,1] op_sel_hi:[1,1,0] neg_lo:[0,0,1] neg_hi:[0,0,1]
	v_pk_fma_f32 v[4:5], v[4:5], v[0:1], v[8:9] op_sel:[0,0,1] op_sel_hi:[1,0,0]
	v_mov_b32_e32 v11, v5
	v_pk_mul_f32 v[4:5], v[6:7], v[2:3] op_sel:[0,1]
	s_delay_alu instid0(VALU_DEP_1) | instskip(SKIP_1) | instid1(VALU_DEP_1)
	v_pk_fma_f32 v[8:9], v[6:7], v[0:1], v[4:5] op_sel:[0,0,1] op_sel_hi:[1,1,0] neg_lo:[0,0,1] neg_hi:[0,0,1]
	v_pk_fma_f32 v[4:5], v[6:7], v[0:1], v[4:5] op_sel:[0,0,1] op_sel_hi:[1,0,0]
	v_mov_b32_e32 v9, v5
	ds_load_2addr_b64 v[4:7], v182 offset0:50 offset1:51
	v_pk_add_f32 v[224:225], v[224:225], v[10:11] neg_lo:[0,1] neg_hi:[0,1]
	v_pk_add_f32 v[216:217], v[216:217], v[8:9] neg_lo:[0,1] neg_hi:[0,1]
	s_wait_dscnt 0x0
	v_dual_mul_f32 v8, v5, v3 :: v_dual_mul_f32 v10, v5, v0
	s_delay_alu instid0(VALU_DEP_1) | instskip(NEXT) | instid1(VALU_DEP_2)
	v_pk_fma_f32 v[8:9], v[4:5], v[34:35], v[8:9] op_sel_hi:[1,1,0] neg_lo:[0,0,1] neg_hi:[0,0,1]
	v_pk_fma_f32 v[4:5], v[4:5], v[34:35], v[10:11] op_sel:[1,0,0] op_sel_hi:[0,1,0]
	s_delay_alu instid0(VALU_DEP_1) | instskip(SKIP_1) | instid1(VALU_DEP_2)
	v_mov_b32_e32 v9, v5
	v_pk_mul_f32 v[4:5], v[6:7], v[2:3] op_sel:[0,1]
	v_pk_add_f32 v[222:223], v[222:223], v[8:9] neg_lo:[0,1] neg_hi:[0,1]
	s_delay_alu instid0(VALU_DEP_2) | instskip(SKIP_1) | instid1(VALU_DEP_1)
	v_pk_fma_f32 v[8:9], v[6:7], v[0:1], v[4:5] op_sel:[0,0,1] op_sel_hi:[1,1,0] neg_lo:[0,0,1] neg_hi:[0,0,1]
	v_pk_fma_f32 v[4:5], v[6:7], v[0:1], v[4:5] op_sel:[0,0,1] op_sel_hi:[1,0,0]
	v_mov_b32_e32 v9, v5
	ds_load_2addr_b64 v[4:7], v182 offset0:52 offset1:53
	v_pk_add_f32 v[214:215], v[214:215], v[8:9] neg_lo:[0,1] neg_hi:[0,1]
	s_wait_dscnt 0x0
	v_pk_mul_f32 v[8:9], v[4:5], v[2:3] op_sel:[0,1]
	s_delay_alu instid0(VALU_DEP_1) | instskip(SKIP_1) | instid1(VALU_DEP_1)
	v_pk_fma_f32 v[10:11], v[4:5], v[0:1], v[8:9] op_sel:[0,0,1] op_sel_hi:[1,1,0] neg_lo:[0,0,1] neg_hi:[0,0,1]
	v_pk_fma_f32 v[4:5], v[4:5], v[0:1], v[8:9] op_sel:[0,0,1] op_sel_hi:[1,0,0]
	v_mov_b32_e32 v11, v5
	v_pk_mul_f32 v[4:5], v[6:7], v[2:3] op_sel:[0,1]
	s_delay_alu instid0(VALU_DEP_2) | instskip(NEXT) | instid1(VALU_DEP_2)
	v_pk_add_f32 v[220:221], v[220:221], v[10:11] neg_lo:[0,1] neg_hi:[0,1]
	v_pk_fma_f32 v[8:9], v[6:7], v[0:1], v[4:5] op_sel:[0,0,1] op_sel_hi:[1,1,0] neg_lo:[0,0,1] neg_hi:[0,0,1]
	v_pk_fma_f32 v[4:5], v[6:7], v[0:1], v[4:5] op_sel:[0,0,1] op_sel_hi:[1,0,0]
	s_delay_alu instid0(VALU_DEP_1) | instskip(SKIP_4) | instid1(VALU_DEP_1)
	v_mov_b32_e32 v9, v5
	ds_load_2addr_b64 v[4:7], v182 offset0:54 offset1:55
	v_pk_add_f32 v[212:213], v[212:213], v[8:9] neg_lo:[0,1] neg_hi:[0,1]
	s_wait_dscnt 0x0
	v_pk_mul_f32 v[8:9], v[4:5], v[2:3] op_sel:[0,1]
	v_pk_fma_f32 v[10:11], v[4:5], v[0:1], v[8:9] op_sel:[0,0,1] op_sel_hi:[1,1,0] neg_lo:[0,0,1] neg_hi:[0,0,1]
	v_pk_fma_f32 v[4:5], v[4:5], v[0:1], v[8:9] op_sel:[0,0,1] op_sel_hi:[1,0,0]
	v_dual_mul_f32 v8, v7, v3 :: v_dual_mov_b32 v4, v7
	s_delay_alu instid0(VALU_DEP_2) | instskip(NEXT) | instid1(VALU_DEP_2)
	v_dual_mov_b32 v11, v5 :: v_dual_mov_b32 v5, v6
	v_pk_fma_f32 v[8:9], v[6:7], v[34:35], v[8:9] op_sel_hi:[1,1,0] neg_lo:[0,0,1] neg_hi:[0,0,1]
	v_mul_f32_e32 v6, v7, v0
	s_delay_alu instid0(VALU_DEP_3) | instskip(NEXT) | instid1(VALU_DEP_2)
	v_pk_add_f32 v[218:219], v[218:219], v[10:11] neg_lo:[0,1] neg_hi:[0,1]
	v_pk_fma_f32 v[4:5], v[4:5], v[34:35], v[6:7] op_sel_hi:[1,1,0]
	s_delay_alu instid0(VALU_DEP_1) | instskip(SKIP_4) | instid1(VALU_DEP_1)
	v_mov_b32_e32 v9, v5
	ds_load_b64 v[4:5], v182 offset:448
	v_pk_add_f32 v[226:227], v[226:227], v[8:9] neg_lo:[0,1] neg_hi:[0,1]
	s_wait_dscnt 0x0
	v_pk_mul_f32 v[2:3], v[4:5], v[2:3] op_sel:[0,1]
	v_pk_fma_f32 v[6:7], v[4:5], v[0:1], v[2:3] op_sel:[0,0,1] op_sel_hi:[1,1,0] neg_lo:[0,0,1] neg_hi:[0,0,1]
	v_pk_fma_f32 v[0:1], v[4:5], v[0:1], v[2:3] op_sel:[0,0,1] op_sel_hi:[1,0,0]
	s_delay_alu instid0(VALU_DEP_1) | instskip(NEXT) | instid1(VALU_DEP_1)
	v_mov_b32_e32 v7, v1
	v_pk_add_f32 v[228:229], v[228:229], v[6:7] neg_lo:[0,1] neg_hi:[0,1]
.LBB113_109:
	s_wait_xcnt 0x0
	s_or_b32 exec_lo, exec_lo, s1
	s_delay_alu instid0(SALU_CYCLE_1)
	s_mov_b32 s2, exec_lo
	s_wait_storecnt 0x0
	s_barrier_signal -1
	s_barrier_wait -1
	v_cmpx_eq_u32_e32 12, v180
	s_cbranch_execz .LBB113_116
; %bb.110:
	ds_store_b64 v181, v[64:65]
	ds_store_2addr_b64 v182, v[60:61], v[62:63] offset0:13 offset1:14
	ds_store_2addr_b64 v182, v[58:59], v[80:81] offset0:15 offset1:16
	;; [unrolled: 1-line block ×22, first 2 shown]
	ds_load_b64 v[0:1], v181
	s_wait_dscnt 0x0
	v_cmp_neq_f32_e32 vcc_lo, 0, v0
	v_cmp_neq_f32_e64 s1, 0, v1
	s_or_b32 s1, vcc_lo, s1
	s_delay_alu instid0(SALU_CYCLE_1)
	s_and_b32 exec_lo, exec_lo, s1
	s_cbranch_execz .LBB113_116
; %bb.111:
	v_cmp_ngt_f32_e64 s1, |v0|, |v1|
                                        ; implicit-def: $vgpr2_vgpr3
	s_and_saveexec_b32 s4, s1
	s_delay_alu instid0(SALU_CYCLE_1)
	s_xor_b32 s1, exec_lo, s4
	s_cbranch_execz .LBB113_113
; %bb.112:
	v_div_scale_f32 v2, null, v1, v1, v0
	v_div_scale_f32 v5, vcc_lo, v0, v1, v0
	s_delay_alu instid0(VALU_DEP_2) | instskip(SKIP_1) | instid1(TRANS32_DEP_1)
	v_rcp_f32_e32 v3, v2
	v_nop
	v_fma_f32 v4, -v2, v3, 1.0
	s_delay_alu instid0(VALU_DEP_1) | instskip(NEXT) | instid1(VALU_DEP_1)
	v_fmac_f32_e32 v3, v4, v3
	v_mul_f32_e32 v4, v5, v3
	s_delay_alu instid0(VALU_DEP_1) | instskip(NEXT) | instid1(VALU_DEP_1)
	v_fma_f32 v6, -v2, v4, v5
	v_fmac_f32_e32 v4, v6, v3
	s_delay_alu instid0(VALU_DEP_1) | instskip(NEXT) | instid1(VALU_DEP_1)
	v_fma_f32 v2, -v2, v4, v5
	v_div_fmas_f32 v2, v2, v3, v4
	s_delay_alu instid0(VALU_DEP_1) | instskip(NEXT) | instid1(VALU_DEP_1)
	v_div_fixup_f32 v2, v2, v1, v0
	v_fmac_f32_e32 v1, v0, v2
	s_delay_alu instid0(VALU_DEP_1) | instskip(SKIP_1) | instid1(VALU_DEP_2)
	v_div_scale_f32 v0, null, v1, v1, 1.0
	v_div_scale_f32 v5, vcc_lo, 1.0, v1, 1.0
	v_rcp_f32_e32 v3, v0
	v_nop
	s_delay_alu instid0(TRANS32_DEP_1) | instskip(NEXT) | instid1(VALU_DEP_1)
	v_fma_f32 v4, -v0, v3, 1.0
	v_fmac_f32_e32 v3, v4, v3
	s_delay_alu instid0(VALU_DEP_1) | instskip(NEXT) | instid1(VALU_DEP_1)
	v_mul_f32_e32 v4, v5, v3
	v_fma_f32 v6, -v0, v4, v5
	s_delay_alu instid0(VALU_DEP_1) | instskip(NEXT) | instid1(VALU_DEP_1)
	v_fmac_f32_e32 v4, v6, v3
	v_fma_f32 v0, -v0, v4, v5
	s_delay_alu instid0(VALU_DEP_1) | instskip(NEXT) | instid1(VALU_DEP_1)
	v_div_fmas_f32 v0, v0, v3, v4
	v_div_fixup_f32 v0, v0, v1, 1.0
	s_delay_alu instid0(VALU_DEP_1)
	v_mul_f32_e32 v2, v2, v0
	v_xor_b32_e32 v3, 0x80000000, v0
                                        ; implicit-def: $vgpr0_vgpr1
.LBB113_113:
	s_and_not1_saveexec_b32 s1, s1
	s_cbranch_execz .LBB113_115
; %bb.114:
	v_div_scale_f32 v2, null, v0, v0, v1
	v_div_scale_f32 v5, vcc_lo, v1, v0, v1
	s_delay_alu instid0(VALU_DEP_2) | instskip(SKIP_1) | instid1(TRANS32_DEP_1)
	v_rcp_f32_e32 v3, v2
	v_nop
	v_fma_f32 v4, -v2, v3, 1.0
	s_delay_alu instid0(VALU_DEP_1) | instskip(NEXT) | instid1(VALU_DEP_1)
	v_fmac_f32_e32 v3, v4, v3
	v_mul_f32_e32 v4, v5, v3
	s_delay_alu instid0(VALU_DEP_1) | instskip(NEXT) | instid1(VALU_DEP_1)
	v_fma_f32 v6, -v2, v4, v5
	v_fmac_f32_e32 v4, v6, v3
	s_delay_alu instid0(VALU_DEP_1) | instskip(NEXT) | instid1(VALU_DEP_1)
	v_fma_f32 v2, -v2, v4, v5
	v_div_fmas_f32 v2, v2, v3, v4
	s_delay_alu instid0(VALU_DEP_1) | instskip(NEXT) | instid1(VALU_DEP_1)
	v_div_fixup_f32 v3, v2, v0, v1
	v_fmac_f32_e32 v0, v1, v3
	s_delay_alu instid0(VALU_DEP_1) | instskip(NEXT) | instid1(VALU_DEP_1)
	v_div_scale_f32 v1, null, v0, v0, 1.0
	v_rcp_f32_e32 v2, v1
	v_nop
	s_delay_alu instid0(TRANS32_DEP_1) | instskip(NEXT) | instid1(VALU_DEP_1)
	v_fma_f32 v4, -v1, v2, 1.0
	v_fmac_f32_e32 v2, v4, v2
	v_div_scale_f32 v4, vcc_lo, 1.0, v0, 1.0
	s_delay_alu instid0(VALU_DEP_1) | instskip(NEXT) | instid1(VALU_DEP_1)
	v_mul_f32_e32 v5, v4, v2
	v_fma_f32 v6, -v1, v5, v4
	s_delay_alu instid0(VALU_DEP_1) | instskip(NEXT) | instid1(VALU_DEP_1)
	v_fmac_f32_e32 v5, v6, v2
	v_fma_f32 v1, -v1, v5, v4
	s_delay_alu instid0(VALU_DEP_1) | instskip(NEXT) | instid1(VALU_DEP_1)
	v_div_fmas_f32 v1, v1, v2, v5
	v_div_fixup_f32 v2, v1, v0, 1.0
	s_delay_alu instid0(VALU_DEP_1)
	v_mul_f32_e64 v3, v3, -v2
.LBB113_115:
	s_or_b32 exec_lo, exec_lo, s1
	ds_store_b64 v181, v[2:3]
.LBB113_116:
	s_or_b32 exec_lo, exec_lo, s2
	s_wait_dscnt 0x0
	s_barrier_signal -1
	s_barrier_wait -1
	ds_load_b64 v[0:1], v181
	s_mov_b32 s1, exec_lo
	s_wait_dscnt 0x0
	scratch_store_b64 off, v[0:1], off offset:384 ; 8-byte Folded Spill
	s_wait_xcnt 0x0
	v_cmpx_lt_u32_e32 12, v180
	s_cbranch_execz .LBB113_118
; %bb.117:
	scratch_load_b64 v[4:5], off, off offset:384 ; 8-byte Folded Reload
	s_wait_loadcnt 0x0
	v_pk_mul_f32 v[2:3], v[4:5], v[64:65] op_sel:[1,1] op_sel_hi:[0,1]
	s_delay_alu instid0(VALU_DEP_1)
	v_pk_fma_f32 v[0:1], v[4:5], v[64:65], v[2:3] op_sel_hi:[1,0,1] neg_lo:[0,0,1] neg_hi:[0,0,1]
	v_pk_fma_f32 v[2:3], v[4:5], v[64:65], v[2:3] op_sel_hi:[1,0,1]
	ds_load_2addr_b64 v[4:7], v182 offset0:13 offset1:14
	v_dual_mov_b32 v64, v0 :: v_dual_mov_b32 v65, v3
	s_wait_dscnt 0x0
	v_pk_mul_f32 v[8:9], v[4:5], v[2:3] op_sel:[0,1]
	s_delay_alu instid0(VALU_DEP_1) | instskip(SKIP_1) | instid1(VALU_DEP_1)
	v_pk_fma_f32 v[10:11], v[4:5], v[0:1], v[8:9] op_sel:[0,0,1] op_sel_hi:[1,1,0] neg_lo:[0,0,1] neg_hi:[0,0,1]
	v_pk_fma_f32 v[4:5], v[4:5], v[0:1], v[8:9] op_sel:[0,0,1] op_sel_hi:[1,0,0]
	v_mov_b32_e32 v11, v5
	v_pk_mul_f32 v[4:5], v[6:7], v[2:3] op_sel:[0,1]
	s_delay_alu instid0(VALU_DEP_1) | instskip(SKIP_1) | instid1(VALU_DEP_1)
	v_pk_fma_f32 v[8:9], v[6:7], v[0:1], v[4:5] op_sel:[0,0,1] op_sel_hi:[1,1,0] neg_lo:[0,0,1] neg_hi:[0,0,1]
	v_pk_fma_f32 v[4:5], v[6:7], v[0:1], v[4:5] op_sel:[0,0,1] op_sel_hi:[1,0,0]
	v_mov_b32_e32 v9, v5
	ds_load_2addr_b64 v[4:7], v182 offset0:15 offset1:16
	v_pk_add_f32 v[60:61], v[60:61], v[10:11] neg_lo:[0,1] neg_hi:[0,1]
	v_pk_add_f32 v[62:63], v[62:63], v[8:9] neg_lo:[0,1] neg_hi:[0,1]
	s_wait_dscnt 0x0
	v_pk_mul_f32 v[8:9], v[4:5], v[2:3] op_sel:[0,1]
	s_delay_alu instid0(VALU_DEP_1) | instskip(SKIP_2) | instid1(VALU_DEP_2)
	v_pk_fma_f32 v[10:11], v[4:5], v[0:1], v[8:9] op_sel:[0,0,1] op_sel_hi:[1,1,0] neg_lo:[0,0,1] neg_hi:[0,0,1]
	v_pk_fma_f32 v[4:5], v[4:5], v[0:1], v[8:9] op_sel:[0,0,1] op_sel_hi:[1,0,0]
	v_dual_mul_f32 v8, v7, v3 :: v_dual_mov_b32 v4, v7
	v_dual_mov_b32 v11, v5 :: v_dual_mov_b32 v5, v6
	s_delay_alu instid0(VALU_DEP_2) | instskip(SKIP_1) | instid1(VALU_DEP_3)
	v_pk_fma_f32 v[8:9], v[6:7], v[64:65], v[8:9] op_sel_hi:[1,1,0] neg_lo:[0,0,1] neg_hi:[0,0,1]
	v_mul_f32_e32 v6, v7, v0
	v_pk_add_f32 v[58:59], v[58:59], v[10:11] neg_lo:[0,1] neg_hi:[0,1]
	s_delay_alu instid0(VALU_DEP_2) | instskip(NEXT) | instid1(VALU_DEP_1)
	v_pk_fma_f32 v[4:5], v[4:5], v[64:65], v[6:7] op_sel_hi:[1,1,0]
	v_mov_b32_e32 v9, v5
	ds_load_2addr_b64 v[4:7], v182 offset0:17 offset1:18
	v_pk_add_f32 v[80:81], v[80:81], v[8:9] neg_lo:[0,1] neg_hi:[0,1]
	s_wait_dscnt 0x0
	v_pk_mul_f32 v[8:9], v[4:5], v[2:3] op_sel:[0,1]
	s_delay_alu instid0(VALU_DEP_1) | instskip(SKIP_1) | instid1(VALU_DEP_1)
	v_pk_fma_f32 v[10:11], v[4:5], v[0:1], v[8:9] op_sel:[0,0,1] op_sel_hi:[1,1,0] neg_lo:[0,0,1] neg_hi:[0,0,1]
	v_pk_fma_f32 v[4:5], v[4:5], v[0:1], v[8:9] op_sel:[0,0,1] op_sel_hi:[1,0,0]
	v_mov_b32_e32 v11, v5
	v_pk_mul_f32 v[4:5], v[6:7], v[2:3] op_sel:[0,1]
	s_delay_alu instid0(VALU_DEP_1) | instskip(SKIP_1) | instid1(VALU_DEP_1)
	v_pk_fma_f32 v[8:9], v[6:7], v[0:1], v[4:5] op_sel:[0,0,1] op_sel_hi:[1,1,0] neg_lo:[0,0,1] neg_hi:[0,0,1]
	v_pk_fma_f32 v[4:5], v[6:7], v[0:1], v[4:5] op_sel:[0,0,1] op_sel_hi:[1,0,0]
	v_mov_b32_e32 v9, v5
	ds_load_2addr_b64 v[4:7], v182 offset0:19 offset1:20
	v_pk_add_f32 v[76:77], v[76:77], v[10:11] neg_lo:[0,1] neg_hi:[0,1]
	v_pk_add_f32 v[78:79], v[78:79], v[8:9] neg_lo:[0,1] neg_hi:[0,1]
	s_wait_dscnt 0x0
	v_pk_mul_f32 v[8:9], v[4:5], v[2:3] op_sel:[0,1]
	s_delay_alu instid0(VALU_DEP_1) | instskip(SKIP_1) | instid1(VALU_DEP_1)
	v_pk_fma_f32 v[10:11], v[4:5], v[0:1], v[8:9] op_sel:[0,0,1] op_sel_hi:[1,1,0] neg_lo:[0,0,1] neg_hi:[0,0,1]
	v_pk_fma_f32 v[4:5], v[4:5], v[0:1], v[8:9] op_sel:[0,0,1] op_sel_hi:[1,0,0]
	v_mov_b32_e32 v11, v5
	v_pk_mul_f32 v[4:5], v[6:7], v[2:3] op_sel:[0,1]
	s_delay_alu instid0(VALU_DEP_1) | instskip(SKIP_1) | instid1(VALU_DEP_1)
	v_pk_fma_f32 v[8:9], v[6:7], v[0:1], v[4:5] op_sel:[0,0,1] op_sel_hi:[1,1,0] neg_lo:[0,0,1] neg_hi:[0,0,1]
	v_pk_fma_f32 v[4:5], v[6:7], v[0:1], v[4:5] op_sel:[0,0,1] op_sel_hi:[1,0,0]
	v_mov_b32_e32 v9, v5
	ds_load_2addr_b64 v[4:7], v182 offset0:21 offset1:22
	v_pk_add_f32 v[74:75], v[74:75], v[10:11] neg_lo:[0,1] neg_hi:[0,1]
	v_pk_add_f32 v[98:99], v[98:99], v[8:9] neg_lo:[0,1] neg_hi:[0,1]
	s_wait_dscnt 0x0
	v_dual_mul_f32 v8, v5, v3 :: v_dual_mul_f32 v10, v5, v0
	s_delay_alu instid0(VALU_DEP_1) | instskip(NEXT) | instid1(VALU_DEP_2)
	v_pk_fma_f32 v[8:9], v[4:5], v[64:65], v[8:9] op_sel_hi:[1,1,0] neg_lo:[0,0,1] neg_hi:[0,0,1]
	v_pk_fma_f32 v[4:5], v[4:5], v[64:65], v[10:11] op_sel:[1,0,0] op_sel_hi:[0,1,0]
	s_delay_alu instid0(VALU_DEP_1) | instskip(SKIP_1) | instid1(VALU_DEP_2)
	v_mov_b32_e32 v9, v5
	v_pk_mul_f32 v[4:5], v[6:7], v[2:3] op_sel:[0,1]
	v_pk_add_f32 v[94:95], v[94:95], v[8:9] neg_lo:[0,1] neg_hi:[0,1]
	s_delay_alu instid0(VALU_DEP_2) | instskip(SKIP_1) | instid1(VALU_DEP_1)
	v_pk_fma_f32 v[8:9], v[6:7], v[0:1], v[4:5] op_sel:[0,0,1] op_sel_hi:[1,1,0] neg_lo:[0,0,1] neg_hi:[0,0,1]
	v_pk_fma_f32 v[4:5], v[6:7], v[0:1], v[4:5] op_sel:[0,0,1] op_sel_hi:[1,0,0]
	v_mov_b32_e32 v9, v5
	ds_load_2addr_b64 v[4:7], v182 offset0:23 offset1:24
	v_pk_add_f32 v[96:97], v[96:97], v[8:9] neg_lo:[0,1] neg_hi:[0,1]
	s_wait_dscnt 0x0
	v_pk_mul_f32 v[8:9], v[4:5], v[2:3] op_sel:[0,1]
	s_delay_alu instid0(VALU_DEP_1) | instskip(SKIP_1) | instid1(VALU_DEP_1)
	v_pk_fma_f32 v[10:11], v[4:5], v[0:1], v[8:9] op_sel:[0,0,1] op_sel_hi:[1,1,0] neg_lo:[0,0,1] neg_hi:[0,0,1]
	v_pk_fma_f32 v[4:5], v[4:5], v[0:1], v[8:9] op_sel:[0,0,1] op_sel_hi:[1,0,0]
	v_mov_b32_e32 v11, v5
	v_pk_mul_f32 v[4:5], v[6:7], v[2:3] op_sel:[0,1]
	s_delay_alu instid0(VALU_DEP_2) | instskip(NEXT) | instid1(VALU_DEP_2)
	v_pk_add_f32 v[92:93], v[92:93], v[10:11] neg_lo:[0,1] neg_hi:[0,1]
	v_pk_fma_f32 v[8:9], v[6:7], v[0:1], v[4:5] op_sel:[0,0,1] op_sel_hi:[1,1,0] neg_lo:[0,0,1] neg_hi:[0,0,1]
	v_pk_fma_f32 v[4:5], v[6:7], v[0:1], v[4:5] op_sel:[0,0,1] op_sel_hi:[1,0,0]
	s_delay_alu instid0(VALU_DEP_1) | instskip(SKIP_4) | instid1(VALU_DEP_1)
	v_mov_b32_e32 v9, v5
	ds_load_2addr_b64 v[4:7], v182 offset0:25 offset1:26
	v_pk_add_f32 v[114:115], v[114:115], v[8:9] neg_lo:[0,1] neg_hi:[0,1]
	s_wait_dscnt 0x0
	v_pk_mul_f32 v[8:9], v[4:5], v[2:3] op_sel:[0,1]
	v_pk_fma_f32 v[10:11], v[4:5], v[0:1], v[8:9] op_sel:[0,0,1] op_sel_hi:[1,1,0] neg_lo:[0,0,1] neg_hi:[0,0,1]
	v_pk_fma_f32 v[4:5], v[4:5], v[0:1], v[8:9] op_sel:[0,0,1] op_sel_hi:[1,0,0]
	v_dual_mul_f32 v8, v7, v3 :: v_dual_mov_b32 v4, v7
	s_delay_alu instid0(VALU_DEP_2) | instskip(NEXT) | instid1(VALU_DEP_2)
	v_dual_mov_b32 v11, v5 :: v_dual_mov_b32 v5, v6
	v_pk_fma_f32 v[8:9], v[6:7], v[64:65], v[8:9] op_sel_hi:[1,1,0] neg_lo:[0,0,1] neg_hi:[0,0,1]
	v_mul_f32_e32 v6, v7, v0
	s_delay_alu instid0(VALU_DEP_3) | instskip(NEXT) | instid1(VALU_DEP_2)
	v_pk_add_f32 v[110:111], v[110:111], v[10:11] neg_lo:[0,1] neg_hi:[0,1]
	v_pk_fma_f32 v[4:5], v[4:5], v[64:65], v[6:7] op_sel_hi:[1,1,0]
	s_delay_alu instid0(VALU_DEP_1) | instskip(SKIP_4) | instid1(VALU_DEP_1)
	v_mov_b32_e32 v9, v5
	ds_load_2addr_b64 v[4:7], v182 offset0:27 offset1:28
	v_pk_add_f32 v[112:113], v[112:113], v[8:9] neg_lo:[0,1] neg_hi:[0,1]
	s_wait_dscnt 0x0
	v_pk_mul_f32 v[8:9], v[4:5], v[2:3] op_sel:[0,1]
	v_pk_fma_f32 v[10:11], v[4:5], v[0:1], v[8:9] op_sel:[0,0,1] op_sel_hi:[1,1,0] neg_lo:[0,0,1] neg_hi:[0,0,1]
	v_pk_fma_f32 v[4:5], v[4:5], v[0:1], v[8:9] op_sel:[0,0,1] op_sel_hi:[1,0,0]
	s_delay_alu instid0(VALU_DEP_1) | instskip(SKIP_1) | instid1(VALU_DEP_1)
	v_mov_b32_e32 v11, v5
	v_pk_mul_f32 v[4:5], v[6:7], v[2:3] op_sel:[0,1]
	v_pk_fma_f32 v[8:9], v[6:7], v[0:1], v[4:5] op_sel:[0,0,1] op_sel_hi:[1,1,0] neg_lo:[0,0,1] neg_hi:[0,0,1]
	v_pk_fma_f32 v[4:5], v[6:7], v[0:1], v[4:5] op_sel:[0,0,1] op_sel_hi:[1,0,0]
	s_delay_alu instid0(VALU_DEP_1)
	v_mov_b32_e32 v9, v5
	ds_load_2addr_b64 v[4:7], v182 offset0:29 offset1:30
	v_pk_add_f32 v[108:109], v[108:109], v[10:11] neg_lo:[0,1] neg_hi:[0,1]
	v_pk_add_f32 v[130:131], v[130:131], v[8:9] neg_lo:[0,1] neg_hi:[0,1]
	s_wait_dscnt 0x0
	v_pk_mul_f32 v[8:9], v[4:5], v[2:3] op_sel:[0,1]
	s_delay_alu instid0(VALU_DEP_1) | instskip(SKIP_1) | instid1(VALU_DEP_1)
	v_pk_fma_f32 v[10:11], v[4:5], v[0:1], v[8:9] op_sel:[0,0,1] op_sel_hi:[1,1,0] neg_lo:[0,0,1] neg_hi:[0,0,1]
	v_pk_fma_f32 v[4:5], v[4:5], v[0:1], v[8:9] op_sel:[0,0,1] op_sel_hi:[1,0,0]
	v_mov_b32_e32 v11, v5
	v_pk_mul_f32 v[4:5], v[6:7], v[2:3] op_sel:[0,1]
	s_delay_alu instid0(VALU_DEP_1) | instskip(SKIP_1) | instid1(VALU_DEP_1)
	v_pk_fma_f32 v[8:9], v[6:7], v[0:1], v[4:5] op_sel:[0,0,1] op_sel_hi:[1,1,0] neg_lo:[0,0,1] neg_hi:[0,0,1]
	v_pk_fma_f32 v[4:5], v[6:7], v[0:1], v[4:5] op_sel:[0,0,1] op_sel_hi:[1,0,0]
	v_mov_b32_e32 v9, v5
	ds_load_2addr_b64 v[4:7], v182 offset0:31 offset1:32
	v_pk_add_f32 v[126:127], v[126:127], v[10:11] neg_lo:[0,1] neg_hi:[0,1]
	v_pk_add_f32 v[128:129], v[128:129], v[8:9] neg_lo:[0,1] neg_hi:[0,1]
	s_wait_dscnt 0x0
	v_dual_mul_f32 v8, v5, v3 :: v_dual_mul_f32 v10, v5, v0
	s_delay_alu instid0(VALU_DEP_1) | instskip(NEXT) | instid1(VALU_DEP_2)
	v_pk_fma_f32 v[8:9], v[4:5], v[64:65], v[8:9] op_sel_hi:[1,1,0] neg_lo:[0,0,1] neg_hi:[0,0,1]
	v_pk_fma_f32 v[4:5], v[4:5], v[64:65], v[10:11] op_sel:[1,0,0] op_sel_hi:[0,1,0]
	s_delay_alu instid0(VALU_DEP_1) | instskip(SKIP_1) | instid1(VALU_DEP_2)
	v_mov_b32_e32 v9, v5
	v_pk_mul_f32 v[4:5], v[6:7], v[2:3] op_sel:[0,1]
	v_pk_add_f32 v[124:125], v[124:125], v[8:9] neg_lo:[0,1] neg_hi:[0,1]
	s_delay_alu instid0(VALU_DEP_2) | instskip(SKIP_1) | instid1(VALU_DEP_1)
	v_pk_fma_f32 v[8:9], v[6:7], v[0:1], v[4:5] op_sel:[0,0,1] op_sel_hi:[1,1,0] neg_lo:[0,0,1] neg_hi:[0,0,1]
	v_pk_fma_f32 v[4:5], v[6:7], v[0:1], v[4:5] op_sel:[0,0,1] op_sel_hi:[1,0,0]
	v_mov_b32_e32 v9, v5
	ds_load_2addr_b64 v[4:7], v182 offset0:33 offset1:34
	v_pk_add_f32 v[146:147], v[146:147], v[8:9] neg_lo:[0,1] neg_hi:[0,1]
	s_wait_dscnt 0x0
	v_pk_mul_f32 v[8:9], v[4:5], v[2:3] op_sel:[0,1]
	s_delay_alu instid0(VALU_DEP_1) | instskip(SKIP_1) | instid1(VALU_DEP_1)
	v_pk_fma_f32 v[10:11], v[4:5], v[0:1], v[8:9] op_sel:[0,0,1] op_sel_hi:[1,1,0] neg_lo:[0,0,1] neg_hi:[0,0,1]
	v_pk_fma_f32 v[4:5], v[4:5], v[0:1], v[8:9] op_sel:[0,0,1] op_sel_hi:[1,0,0]
	v_mov_b32_e32 v11, v5
	v_pk_mul_f32 v[4:5], v[6:7], v[2:3] op_sel:[0,1]
	s_delay_alu instid0(VALU_DEP_2) | instskip(NEXT) | instid1(VALU_DEP_2)
	v_pk_add_f32 v[142:143], v[142:143], v[10:11] neg_lo:[0,1] neg_hi:[0,1]
	v_pk_fma_f32 v[8:9], v[6:7], v[0:1], v[4:5] op_sel:[0,0,1] op_sel_hi:[1,1,0] neg_lo:[0,0,1] neg_hi:[0,0,1]
	v_pk_fma_f32 v[4:5], v[6:7], v[0:1], v[4:5] op_sel:[0,0,1] op_sel_hi:[1,0,0]
	s_delay_alu instid0(VALU_DEP_1) | instskip(SKIP_4) | instid1(VALU_DEP_1)
	v_mov_b32_e32 v9, v5
	ds_load_2addr_b64 v[4:7], v182 offset0:35 offset1:36
	v_pk_add_f32 v[144:145], v[144:145], v[8:9] neg_lo:[0,1] neg_hi:[0,1]
	s_wait_dscnt 0x0
	v_pk_mul_f32 v[8:9], v[4:5], v[2:3] op_sel:[0,1]
	v_pk_fma_f32 v[10:11], v[4:5], v[0:1], v[8:9] op_sel:[0,0,1] op_sel_hi:[1,1,0] neg_lo:[0,0,1] neg_hi:[0,0,1]
	v_pk_fma_f32 v[4:5], v[4:5], v[0:1], v[8:9] op_sel:[0,0,1] op_sel_hi:[1,0,0]
	v_dual_mul_f32 v8, v7, v3 :: v_dual_mov_b32 v4, v7
	s_delay_alu instid0(VALU_DEP_2) | instskip(NEXT) | instid1(VALU_DEP_2)
	v_dual_mov_b32 v11, v5 :: v_dual_mov_b32 v5, v6
	v_pk_fma_f32 v[8:9], v[6:7], v[64:65], v[8:9] op_sel_hi:[1,1,0] neg_lo:[0,0,1] neg_hi:[0,0,1]
	v_mul_f32_e32 v6, v7, v0
	s_delay_alu instid0(VALU_DEP_3) | instskip(NEXT) | instid1(VALU_DEP_2)
	v_pk_add_f32 v[140:141], v[140:141], v[10:11] neg_lo:[0,1] neg_hi:[0,1]
	v_pk_fma_f32 v[4:5], v[4:5], v[64:65], v[6:7] op_sel_hi:[1,1,0]
	s_delay_alu instid0(VALU_DEP_1) | instskip(SKIP_4) | instid1(VALU_DEP_1)
	v_mov_b32_e32 v9, v5
	ds_load_2addr_b64 v[4:7], v182 offset0:37 offset1:38
	v_pk_add_f32 v[162:163], v[162:163], v[8:9] neg_lo:[0,1] neg_hi:[0,1]
	s_wait_dscnt 0x0
	v_pk_mul_f32 v[8:9], v[4:5], v[2:3] op_sel:[0,1]
	v_pk_fma_f32 v[10:11], v[4:5], v[0:1], v[8:9] op_sel:[0,0,1] op_sel_hi:[1,1,0] neg_lo:[0,0,1] neg_hi:[0,0,1]
	v_pk_fma_f32 v[4:5], v[4:5], v[0:1], v[8:9] op_sel:[0,0,1] op_sel_hi:[1,0,0]
	s_delay_alu instid0(VALU_DEP_1) | instskip(SKIP_1) | instid1(VALU_DEP_1)
	v_mov_b32_e32 v11, v5
	v_pk_mul_f32 v[4:5], v[6:7], v[2:3] op_sel:[0,1]
	v_pk_fma_f32 v[8:9], v[6:7], v[0:1], v[4:5] op_sel:[0,0,1] op_sel_hi:[1,1,0] neg_lo:[0,0,1] neg_hi:[0,0,1]
	v_pk_fma_f32 v[4:5], v[6:7], v[0:1], v[4:5] op_sel:[0,0,1] op_sel_hi:[1,0,0]
	s_delay_alu instid0(VALU_DEP_1)
	v_mov_b32_e32 v9, v5
	ds_load_2addr_b64 v[4:7], v182 offset0:39 offset1:40
	v_pk_add_f32 v[158:159], v[158:159], v[10:11] neg_lo:[0,1] neg_hi:[0,1]
	v_pk_add_f32 v[160:161], v[160:161], v[8:9] neg_lo:[0,1] neg_hi:[0,1]
	s_wait_dscnt 0x0
	v_pk_mul_f32 v[8:9], v[4:5], v[2:3] op_sel:[0,1]
	s_delay_alu instid0(VALU_DEP_1) | instskip(SKIP_1) | instid1(VALU_DEP_1)
	v_pk_fma_f32 v[10:11], v[4:5], v[0:1], v[8:9] op_sel:[0,0,1] op_sel_hi:[1,1,0] neg_lo:[0,0,1] neg_hi:[0,0,1]
	v_pk_fma_f32 v[4:5], v[4:5], v[0:1], v[8:9] op_sel:[0,0,1] op_sel_hi:[1,0,0]
	v_mov_b32_e32 v11, v5
	v_pk_mul_f32 v[4:5], v[6:7], v[2:3] op_sel:[0,1]
	s_delay_alu instid0(VALU_DEP_1) | instskip(SKIP_1) | instid1(VALU_DEP_1)
	v_pk_fma_f32 v[8:9], v[6:7], v[0:1], v[4:5] op_sel:[0,0,1] op_sel_hi:[1,1,0] neg_lo:[0,0,1] neg_hi:[0,0,1]
	v_pk_fma_f32 v[4:5], v[6:7], v[0:1], v[4:5] op_sel:[0,0,1] op_sel_hi:[1,0,0]
	v_mov_b32_e32 v9, v5
	ds_load_2addr_b64 v[4:7], v182 offset0:41 offset1:42
	v_pk_add_f32 v[156:157], v[156:157], v[10:11] neg_lo:[0,1] neg_hi:[0,1]
	v_pk_add_f32 v[178:179], v[178:179], v[8:9] neg_lo:[0,1] neg_hi:[0,1]
	s_wait_dscnt 0x0
	v_dual_mul_f32 v8, v5, v3 :: v_dual_mul_f32 v10, v5, v0
	s_delay_alu instid0(VALU_DEP_1) | instskip(NEXT) | instid1(VALU_DEP_2)
	v_pk_fma_f32 v[8:9], v[4:5], v[64:65], v[8:9] op_sel_hi:[1,1,0] neg_lo:[0,0,1] neg_hi:[0,0,1]
	v_pk_fma_f32 v[4:5], v[4:5], v[64:65], v[10:11] op_sel:[1,0,0] op_sel_hi:[0,1,0]
	s_delay_alu instid0(VALU_DEP_1) | instskip(SKIP_1) | instid1(VALU_DEP_2)
	v_mov_b32_e32 v9, v5
	v_pk_mul_f32 v[4:5], v[6:7], v[2:3] op_sel:[0,1]
	v_pk_add_f32 v[174:175], v[174:175], v[8:9] neg_lo:[0,1] neg_hi:[0,1]
	s_delay_alu instid0(VALU_DEP_2) | instskip(SKIP_1) | instid1(VALU_DEP_1)
	v_pk_fma_f32 v[8:9], v[6:7], v[0:1], v[4:5] op_sel:[0,0,1] op_sel_hi:[1,1,0] neg_lo:[0,0,1] neg_hi:[0,0,1]
	v_pk_fma_f32 v[4:5], v[6:7], v[0:1], v[4:5] op_sel:[0,0,1] op_sel_hi:[1,0,0]
	v_mov_b32_e32 v9, v5
	ds_load_2addr_b64 v[4:7], v182 offset0:43 offset1:44
	v_pk_add_f32 v[176:177], v[176:177], v[8:9] neg_lo:[0,1] neg_hi:[0,1]
	s_wait_dscnt 0x0
	v_pk_mul_f32 v[8:9], v[4:5], v[2:3] op_sel:[0,1]
	s_delay_alu instid0(VALU_DEP_1) | instskip(SKIP_1) | instid1(VALU_DEP_1)
	v_pk_fma_f32 v[10:11], v[4:5], v[0:1], v[8:9] op_sel:[0,0,1] op_sel_hi:[1,1,0] neg_lo:[0,0,1] neg_hi:[0,0,1]
	v_pk_fma_f32 v[4:5], v[4:5], v[0:1], v[8:9] op_sel:[0,0,1] op_sel_hi:[1,0,0]
	v_mov_b32_e32 v11, v5
	v_pk_mul_f32 v[4:5], v[6:7], v[2:3] op_sel:[0,1]
	s_delay_alu instid0(VALU_DEP_2) | instskip(NEXT) | instid1(VALU_DEP_2)
	v_pk_add_f32 v[172:173], v[172:173], v[10:11] neg_lo:[0,1] neg_hi:[0,1]
	v_pk_fma_f32 v[8:9], v[6:7], v[0:1], v[4:5] op_sel:[0,0,1] op_sel_hi:[1,1,0] neg_lo:[0,0,1] neg_hi:[0,0,1]
	v_pk_fma_f32 v[4:5], v[6:7], v[0:1], v[4:5] op_sel:[0,0,1] op_sel_hi:[1,0,0]
	s_delay_alu instid0(VALU_DEP_1) | instskip(SKIP_4) | instid1(VALU_DEP_1)
	v_mov_b32_e32 v9, v5
	ds_load_2addr_b64 v[4:7], v182 offset0:45 offset1:46
	v_pk_add_f32 v[200:201], v[200:201], v[8:9] neg_lo:[0,1] neg_hi:[0,1]
	s_wait_dscnt 0x0
	v_pk_mul_f32 v[8:9], v[4:5], v[2:3] op_sel:[0,1]
	v_pk_fma_f32 v[10:11], v[4:5], v[0:1], v[8:9] op_sel:[0,0,1] op_sel_hi:[1,1,0] neg_lo:[0,0,1] neg_hi:[0,0,1]
	v_pk_fma_f32 v[4:5], v[4:5], v[0:1], v[8:9] op_sel:[0,0,1] op_sel_hi:[1,0,0]
	v_dual_mul_f32 v8, v7, v3 :: v_dual_mov_b32 v4, v7
	s_delay_alu instid0(VALU_DEP_2) | instskip(NEXT) | instid1(VALU_DEP_2)
	v_dual_mov_b32 v11, v5 :: v_dual_mov_b32 v5, v6
	v_pk_fma_f32 v[8:9], v[6:7], v[64:65], v[8:9] op_sel_hi:[1,1,0] neg_lo:[0,0,1] neg_hi:[0,0,1]
	v_mul_f32_e32 v6, v7, v0
	s_delay_alu instid0(VALU_DEP_3) | instskip(NEXT) | instid1(VALU_DEP_2)
	v_pk_add_f32 v[196:197], v[196:197], v[10:11] neg_lo:[0,1] neg_hi:[0,1]
	v_pk_fma_f32 v[4:5], v[4:5], v[64:65], v[6:7] op_sel_hi:[1,1,0]
	s_delay_alu instid0(VALU_DEP_1) | instskip(SKIP_4) | instid1(VALU_DEP_1)
	v_mov_b32_e32 v9, v5
	ds_load_2addr_b64 v[4:7], v182 offset0:47 offset1:48
	v_pk_add_f32 v[198:199], v[198:199], v[8:9] neg_lo:[0,1] neg_hi:[0,1]
	s_wait_dscnt 0x0
	v_pk_mul_f32 v[8:9], v[4:5], v[2:3] op_sel:[0,1]
	v_pk_fma_f32 v[10:11], v[4:5], v[0:1], v[8:9] op_sel:[0,0,1] op_sel_hi:[1,1,0] neg_lo:[0,0,1] neg_hi:[0,0,1]
	v_pk_fma_f32 v[4:5], v[4:5], v[0:1], v[8:9] op_sel:[0,0,1] op_sel_hi:[1,0,0]
	s_delay_alu instid0(VALU_DEP_1) | instskip(SKIP_1) | instid1(VALU_DEP_1)
	v_mov_b32_e32 v11, v5
	v_pk_mul_f32 v[4:5], v[6:7], v[2:3] op_sel:[0,1]
	v_pk_fma_f32 v[8:9], v[6:7], v[0:1], v[4:5] op_sel:[0,0,1] op_sel_hi:[1,1,0] neg_lo:[0,0,1] neg_hi:[0,0,1]
	v_pk_fma_f32 v[4:5], v[6:7], v[0:1], v[4:5] op_sel:[0,0,1] op_sel_hi:[1,0,0]
	s_delay_alu instid0(VALU_DEP_1)
	v_mov_b32_e32 v9, v5
	ds_load_2addr_b64 v[4:7], v182 offset0:49 offset1:50
	v_pk_add_f32 v[194:195], v[194:195], v[10:11] neg_lo:[0,1] neg_hi:[0,1]
	v_pk_add_f32 v[224:225], v[224:225], v[8:9] neg_lo:[0,1] neg_hi:[0,1]
	s_wait_dscnt 0x0
	v_pk_mul_f32 v[8:9], v[4:5], v[2:3] op_sel:[0,1]
	s_delay_alu instid0(VALU_DEP_1) | instskip(SKIP_1) | instid1(VALU_DEP_1)
	v_pk_fma_f32 v[10:11], v[4:5], v[0:1], v[8:9] op_sel:[0,0,1] op_sel_hi:[1,1,0] neg_lo:[0,0,1] neg_hi:[0,0,1]
	v_pk_fma_f32 v[4:5], v[4:5], v[0:1], v[8:9] op_sel:[0,0,1] op_sel_hi:[1,0,0]
	v_mov_b32_e32 v11, v5
	v_pk_mul_f32 v[4:5], v[6:7], v[2:3] op_sel:[0,1]
	s_delay_alu instid0(VALU_DEP_1) | instskip(SKIP_1) | instid1(VALU_DEP_1)
	v_pk_fma_f32 v[8:9], v[6:7], v[0:1], v[4:5] op_sel:[0,0,1] op_sel_hi:[1,1,0] neg_lo:[0,0,1] neg_hi:[0,0,1]
	v_pk_fma_f32 v[4:5], v[6:7], v[0:1], v[4:5] op_sel:[0,0,1] op_sel_hi:[1,0,0]
	v_mov_b32_e32 v9, v5
	ds_load_2addr_b64 v[4:7], v182 offset0:51 offset1:52
	v_pk_add_f32 v[216:217], v[216:217], v[10:11] neg_lo:[0,1] neg_hi:[0,1]
	v_pk_add_f32 v[222:223], v[222:223], v[8:9] neg_lo:[0,1] neg_hi:[0,1]
	s_wait_dscnt 0x0
	v_dual_mul_f32 v8, v5, v3 :: v_dual_mul_f32 v10, v5, v0
	s_delay_alu instid0(VALU_DEP_1) | instskip(NEXT) | instid1(VALU_DEP_2)
	v_pk_fma_f32 v[8:9], v[4:5], v[64:65], v[8:9] op_sel_hi:[1,1,0] neg_lo:[0,0,1] neg_hi:[0,0,1]
	v_pk_fma_f32 v[4:5], v[4:5], v[64:65], v[10:11] op_sel:[1,0,0] op_sel_hi:[0,1,0]
	s_delay_alu instid0(VALU_DEP_1) | instskip(SKIP_1) | instid1(VALU_DEP_2)
	v_mov_b32_e32 v9, v5
	v_pk_mul_f32 v[4:5], v[6:7], v[2:3] op_sel:[0,1]
	v_pk_add_f32 v[214:215], v[214:215], v[8:9] neg_lo:[0,1] neg_hi:[0,1]
	s_delay_alu instid0(VALU_DEP_2) | instskip(SKIP_1) | instid1(VALU_DEP_1)
	v_pk_fma_f32 v[8:9], v[6:7], v[0:1], v[4:5] op_sel:[0,0,1] op_sel_hi:[1,1,0] neg_lo:[0,0,1] neg_hi:[0,0,1]
	v_pk_fma_f32 v[4:5], v[6:7], v[0:1], v[4:5] op_sel:[0,0,1] op_sel_hi:[1,0,0]
	v_mov_b32_e32 v9, v5
	ds_load_2addr_b64 v[4:7], v182 offset0:53 offset1:54
	v_pk_add_f32 v[220:221], v[220:221], v[8:9] neg_lo:[0,1] neg_hi:[0,1]
	s_wait_dscnt 0x0
	v_pk_mul_f32 v[8:9], v[4:5], v[2:3] op_sel:[0,1]
	s_delay_alu instid0(VALU_DEP_1) | instskip(SKIP_1) | instid1(VALU_DEP_1)
	v_pk_fma_f32 v[10:11], v[4:5], v[0:1], v[8:9] op_sel:[0,0,1] op_sel_hi:[1,1,0] neg_lo:[0,0,1] neg_hi:[0,0,1]
	v_pk_fma_f32 v[4:5], v[4:5], v[0:1], v[8:9] op_sel:[0,0,1] op_sel_hi:[1,0,0]
	v_mov_b32_e32 v11, v5
	v_pk_mul_f32 v[4:5], v[6:7], v[2:3] op_sel:[0,1]
	s_delay_alu instid0(VALU_DEP_2) | instskip(NEXT) | instid1(VALU_DEP_2)
	v_pk_add_f32 v[212:213], v[212:213], v[10:11] neg_lo:[0,1] neg_hi:[0,1]
	v_pk_fma_f32 v[8:9], v[6:7], v[0:1], v[4:5] op_sel:[0,0,1] op_sel_hi:[1,1,0] neg_lo:[0,0,1] neg_hi:[0,0,1]
	v_pk_fma_f32 v[4:5], v[6:7], v[0:1], v[4:5] op_sel:[0,0,1] op_sel_hi:[1,0,0]
	s_delay_alu instid0(VALU_DEP_1)
	v_mov_b32_e32 v9, v5
	ds_load_2addr_b64 v[4:7], v182 offset0:55 offset1:56
	v_pk_add_f32 v[218:219], v[218:219], v[8:9] neg_lo:[0,1] neg_hi:[0,1]
	s_wait_dscnt 0x0
	v_pk_mul_f32 v[8:9], v[4:5], v[2:3] op_sel:[0,1]
	v_pk_mul_f32 v[2:3], v[6:7], v[2:3] op_sel:[0,1]
	s_delay_alu instid0(VALU_DEP_2) | instskip(SKIP_1) | instid1(VALU_DEP_1)
	v_pk_fma_f32 v[10:11], v[4:5], v[0:1], v[8:9] op_sel:[0,0,1] op_sel_hi:[1,1,0] neg_lo:[0,0,1] neg_hi:[0,0,1]
	v_pk_fma_f32 v[4:5], v[4:5], v[0:1], v[8:9] op_sel:[0,0,1] op_sel_hi:[1,0,0]
	v_mov_b32_e32 v11, v5
	s_delay_alu instid0(VALU_DEP_4) | instskip(SKIP_1) | instid1(VALU_DEP_3)
	v_pk_fma_f32 v[4:5], v[6:7], v[0:1], v[2:3] op_sel:[0,0,1] op_sel_hi:[1,1,0] neg_lo:[0,0,1] neg_hi:[0,0,1]
	v_pk_fma_f32 v[0:1], v[6:7], v[0:1], v[2:3] op_sel:[0,0,1] op_sel_hi:[1,0,0]
	v_pk_add_f32 v[226:227], v[226:227], v[10:11] neg_lo:[0,1] neg_hi:[0,1]
	s_delay_alu instid0(VALU_DEP_2) | instskip(NEXT) | instid1(VALU_DEP_1)
	v_mov_b32_e32 v5, v1
	v_pk_add_f32 v[228:229], v[228:229], v[4:5] neg_lo:[0,1] neg_hi:[0,1]
.LBB113_118:
	s_wait_xcnt 0x0
	s_or_b32 exec_lo, exec_lo, s1
	s_delay_alu instid0(SALU_CYCLE_1)
	s_mov_b32 s2, exec_lo
	s_wait_storecnt 0x0
	s_barrier_signal -1
	s_barrier_wait -1
	v_cmpx_eq_u32_e32 13, v180
	s_cbranch_execz .LBB113_125
; %bb.119:
	v_dual_mov_b32 v0, v62 :: v_dual_mov_b32 v1, v63
	v_dual_mov_b32 v2, v58 :: v_dual_mov_b32 v3, v59
	ds_store_b64 v181, v[60:61]
	ds_store_2addr_b64 v182, v[0:1], v[2:3] offset0:14 offset1:15
	v_dual_mov_b32 v0, v80 :: v_dual_mov_b32 v1, v81
	v_dual_mov_b32 v2, v76 :: v_dual_mov_b32 v3, v77
	ds_store_2addr_b64 v182, v[0:1], v[2:3] offset0:16 offset1:17
	v_dual_mov_b32 v0, v78 :: v_dual_mov_b32 v1, v79
	v_dual_mov_b32 v2, v74 :: v_dual_mov_b32 v3, v75
	;; [unrolled: 3-line block ×20, first 2 shown]
	ds_store_2addr_b64 v182, v[0:1], v[2:3] offset0:54 offset1:55
	ds_store_b64 v182, v[228:229] offset:448
	ds_load_b64 v[0:1], v181
	s_wait_dscnt 0x0
	v_cmp_neq_f32_e32 vcc_lo, 0, v0
	v_cmp_neq_f32_e64 s1, 0, v1
	s_or_b32 s1, vcc_lo, s1
	s_delay_alu instid0(SALU_CYCLE_1)
	s_and_b32 exec_lo, exec_lo, s1
	s_cbranch_execz .LBB113_125
; %bb.120:
	v_cmp_ngt_f32_e64 s1, |v0|, |v1|
                                        ; implicit-def: $vgpr2_vgpr3
	s_and_saveexec_b32 s4, s1
	s_delay_alu instid0(SALU_CYCLE_1)
	s_xor_b32 s1, exec_lo, s4
	s_cbranch_execz .LBB113_122
; %bb.121:
	v_div_scale_f32 v2, null, v1, v1, v0
	v_div_scale_f32 v5, vcc_lo, v0, v1, v0
	s_delay_alu instid0(VALU_DEP_2) | instskip(SKIP_1) | instid1(TRANS32_DEP_1)
	v_rcp_f32_e32 v3, v2
	v_nop
	v_fma_f32 v4, -v2, v3, 1.0
	s_delay_alu instid0(VALU_DEP_1) | instskip(NEXT) | instid1(VALU_DEP_1)
	v_fmac_f32_e32 v3, v4, v3
	v_mul_f32_e32 v4, v5, v3
	s_delay_alu instid0(VALU_DEP_1) | instskip(NEXT) | instid1(VALU_DEP_1)
	v_fma_f32 v6, -v2, v4, v5
	v_fmac_f32_e32 v4, v6, v3
	s_delay_alu instid0(VALU_DEP_1) | instskip(NEXT) | instid1(VALU_DEP_1)
	v_fma_f32 v2, -v2, v4, v5
	v_div_fmas_f32 v2, v2, v3, v4
	s_delay_alu instid0(VALU_DEP_1) | instskip(NEXT) | instid1(VALU_DEP_1)
	v_div_fixup_f32 v2, v2, v1, v0
	v_fmac_f32_e32 v1, v0, v2
	s_delay_alu instid0(VALU_DEP_1) | instskip(SKIP_1) | instid1(VALU_DEP_2)
	v_div_scale_f32 v0, null, v1, v1, 1.0
	v_div_scale_f32 v5, vcc_lo, 1.0, v1, 1.0
	v_rcp_f32_e32 v3, v0
	v_nop
	s_delay_alu instid0(TRANS32_DEP_1) | instskip(NEXT) | instid1(VALU_DEP_1)
	v_fma_f32 v4, -v0, v3, 1.0
	v_fmac_f32_e32 v3, v4, v3
	s_delay_alu instid0(VALU_DEP_1) | instskip(NEXT) | instid1(VALU_DEP_1)
	v_mul_f32_e32 v4, v5, v3
	v_fma_f32 v6, -v0, v4, v5
	s_delay_alu instid0(VALU_DEP_1) | instskip(NEXT) | instid1(VALU_DEP_1)
	v_fmac_f32_e32 v4, v6, v3
	v_fma_f32 v0, -v0, v4, v5
	s_delay_alu instid0(VALU_DEP_1) | instskip(NEXT) | instid1(VALU_DEP_1)
	v_div_fmas_f32 v0, v0, v3, v4
	v_div_fixup_f32 v0, v0, v1, 1.0
	s_delay_alu instid0(VALU_DEP_1)
	v_mul_f32_e32 v2, v2, v0
	v_xor_b32_e32 v3, 0x80000000, v0
                                        ; implicit-def: $vgpr0_vgpr1
.LBB113_122:
	s_and_not1_saveexec_b32 s1, s1
	s_cbranch_execz .LBB113_124
; %bb.123:
	v_div_scale_f32 v2, null, v0, v0, v1
	v_div_scale_f32 v5, vcc_lo, v1, v0, v1
	s_delay_alu instid0(VALU_DEP_2) | instskip(SKIP_1) | instid1(TRANS32_DEP_1)
	v_rcp_f32_e32 v3, v2
	v_nop
	v_fma_f32 v4, -v2, v3, 1.0
	s_delay_alu instid0(VALU_DEP_1) | instskip(NEXT) | instid1(VALU_DEP_1)
	v_fmac_f32_e32 v3, v4, v3
	v_mul_f32_e32 v4, v5, v3
	s_delay_alu instid0(VALU_DEP_1) | instskip(NEXT) | instid1(VALU_DEP_1)
	v_fma_f32 v6, -v2, v4, v5
	v_fmac_f32_e32 v4, v6, v3
	s_delay_alu instid0(VALU_DEP_1) | instskip(NEXT) | instid1(VALU_DEP_1)
	v_fma_f32 v2, -v2, v4, v5
	v_div_fmas_f32 v2, v2, v3, v4
	s_delay_alu instid0(VALU_DEP_1) | instskip(NEXT) | instid1(VALU_DEP_1)
	v_div_fixup_f32 v3, v2, v0, v1
	v_fmac_f32_e32 v0, v1, v3
	s_delay_alu instid0(VALU_DEP_1) | instskip(NEXT) | instid1(VALU_DEP_1)
	v_div_scale_f32 v1, null, v0, v0, 1.0
	v_rcp_f32_e32 v2, v1
	v_nop
	s_delay_alu instid0(TRANS32_DEP_1) | instskip(NEXT) | instid1(VALU_DEP_1)
	v_fma_f32 v4, -v1, v2, 1.0
	v_fmac_f32_e32 v2, v4, v2
	v_div_scale_f32 v4, vcc_lo, 1.0, v0, 1.0
	s_delay_alu instid0(VALU_DEP_1) | instskip(NEXT) | instid1(VALU_DEP_1)
	v_mul_f32_e32 v5, v4, v2
	v_fma_f32 v6, -v1, v5, v4
	s_delay_alu instid0(VALU_DEP_1) | instskip(NEXT) | instid1(VALU_DEP_1)
	v_fmac_f32_e32 v5, v6, v2
	v_fma_f32 v1, -v1, v5, v4
	s_delay_alu instid0(VALU_DEP_1) | instskip(NEXT) | instid1(VALU_DEP_1)
	v_div_fmas_f32 v1, v1, v2, v5
	v_div_fixup_f32 v2, v1, v0, 1.0
	s_delay_alu instid0(VALU_DEP_1)
	v_mul_f32_e64 v3, v3, -v2
.LBB113_124:
	s_or_b32 exec_lo, exec_lo, s1
	ds_store_b64 v181, v[2:3]
.LBB113_125:
	s_or_b32 exec_lo, exec_lo, s2
	s_wait_dscnt 0x0
	s_barrier_signal -1
	s_barrier_wait -1
	ds_load_b64 v[0:1], v181
	s_mov_b32 s1, exec_lo
	s_wait_dscnt 0x0
	scratch_store_b64 off, v[0:1], off offset:392 ; 8-byte Folded Spill
	s_wait_xcnt 0x0
	v_cmpx_lt_u32_e32 13, v180
	s_cbranch_execz .LBB113_127
; %bb.126:
	scratch_load_b64 v[0:1], off, off offset:392 ; 8-byte Folded Reload
	ds_load_2addr_b64 v[6:9], v182 offset0:14 offset1:15
	s_wait_loadcnt 0x0
	v_pk_mul_f32 v[4:5], v[0:1], v[60:61] op_sel:[1,1] op_sel_hi:[0,1]
	s_delay_alu instid0(VALU_DEP_1) | instskip(SKIP_1) | instid1(VALU_DEP_1)
	v_pk_fma_f32 v[2:3], v[0:1], v[60:61], v[4:5] op_sel_hi:[1,0,1] neg_lo:[0,0,1] neg_hi:[0,0,1]
	v_pk_fma_f32 v[4:5], v[0:1], v[60:61], v[4:5] op_sel_hi:[1,0,1]
	v_dual_mov_b32 v60, v2 :: v_dual_mov_b32 v61, v5
	s_wait_dscnt 0x0
	s_delay_alu instid0(VALU_DEP_2) | instskip(NEXT) | instid1(VALU_DEP_1)
	v_pk_mul_f32 v[10:11], v[6:7], v[4:5] op_sel:[0,1]
	v_pk_fma_f32 v[12:13], v[6:7], v[2:3], v[10:11] op_sel:[0,0,1] op_sel_hi:[1,1,0] neg_lo:[0,0,1] neg_hi:[0,0,1]
	v_pk_fma_f32 v[6:7], v[6:7], v[2:3], v[10:11] op_sel:[0,0,1] op_sel_hi:[1,0,0]
	s_delay_alu instid0(VALU_DEP_1) | instskip(SKIP_1) | instid1(VALU_DEP_1)
	v_mov_b32_e32 v13, v7
	v_pk_mul_f32 v[6:7], v[8:9], v[4:5] op_sel:[0,1]
	v_pk_fma_f32 v[10:11], v[8:9], v[2:3], v[6:7] op_sel:[0,0,1] op_sel_hi:[1,1,0] neg_lo:[0,0,1] neg_hi:[0,0,1]
	v_pk_fma_f32 v[6:7], v[8:9], v[2:3], v[6:7] op_sel:[0,0,1] op_sel_hi:[1,0,0]
	s_delay_alu instid0(VALU_DEP_1)
	v_mov_b32_e32 v11, v7
	ds_load_2addr_b64 v[6:9], v182 offset0:16 offset1:17
	v_pk_add_f32 v[62:63], v[62:63], v[12:13] neg_lo:[0,1] neg_hi:[0,1]
	v_pk_add_f32 v[58:59], v[58:59], v[10:11] neg_lo:[0,1] neg_hi:[0,1]
	s_wait_dscnt 0x0
	v_pk_mul_f32 v[10:11], v[6:7], v[4:5] op_sel:[0,1]
	s_delay_alu instid0(VALU_DEP_1) | instskip(SKIP_2) | instid1(VALU_DEP_2)
	v_pk_fma_f32 v[12:13], v[6:7], v[2:3], v[10:11] op_sel:[0,0,1] op_sel_hi:[1,1,0] neg_lo:[0,0,1] neg_hi:[0,0,1]
	v_pk_fma_f32 v[6:7], v[6:7], v[2:3], v[10:11] op_sel:[0,0,1] op_sel_hi:[1,0,0]
	v_dual_mul_f32 v10, v9, v5 :: v_dual_mov_b32 v6, v9
	v_dual_mov_b32 v13, v7 :: v_dual_mov_b32 v7, v8
	s_delay_alu instid0(VALU_DEP_2) | instskip(SKIP_1) | instid1(VALU_DEP_3)
	v_pk_fma_f32 v[10:11], v[8:9], v[60:61], v[10:11] op_sel_hi:[1,1,0] neg_lo:[0,0,1] neg_hi:[0,0,1]
	v_mul_f32_e32 v8, v9, v2
	v_pk_add_f32 v[80:81], v[80:81], v[12:13] neg_lo:[0,1] neg_hi:[0,1]
	s_delay_alu instid0(VALU_DEP_2) | instskip(NEXT) | instid1(VALU_DEP_1)
	v_pk_fma_f32 v[6:7], v[6:7], v[60:61], v[8:9] op_sel_hi:[1,1,0]
	v_mov_b32_e32 v11, v7
	ds_load_2addr_b64 v[6:9], v182 offset0:18 offset1:19
	v_pk_add_f32 v[76:77], v[76:77], v[10:11] neg_lo:[0,1] neg_hi:[0,1]
	s_wait_dscnt 0x0
	v_pk_mul_f32 v[10:11], v[6:7], v[4:5] op_sel:[0,1]
	s_delay_alu instid0(VALU_DEP_1) | instskip(SKIP_1) | instid1(VALU_DEP_1)
	v_pk_fma_f32 v[12:13], v[6:7], v[2:3], v[10:11] op_sel:[0,0,1] op_sel_hi:[1,1,0] neg_lo:[0,0,1] neg_hi:[0,0,1]
	v_pk_fma_f32 v[6:7], v[6:7], v[2:3], v[10:11] op_sel:[0,0,1] op_sel_hi:[1,0,0]
	v_mov_b32_e32 v13, v7
	v_pk_mul_f32 v[6:7], v[8:9], v[4:5] op_sel:[0,1]
	s_delay_alu instid0(VALU_DEP_1) | instskip(SKIP_1) | instid1(VALU_DEP_1)
	v_pk_fma_f32 v[10:11], v[8:9], v[2:3], v[6:7] op_sel:[0,0,1] op_sel_hi:[1,1,0] neg_lo:[0,0,1] neg_hi:[0,0,1]
	v_pk_fma_f32 v[6:7], v[8:9], v[2:3], v[6:7] op_sel:[0,0,1] op_sel_hi:[1,0,0]
	v_mov_b32_e32 v11, v7
	ds_load_2addr_b64 v[6:9], v182 offset0:20 offset1:21
	v_pk_add_f32 v[78:79], v[78:79], v[12:13] neg_lo:[0,1] neg_hi:[0,1]
	v_pk_add_f32 v[74:75], v[74:75], v[10:11] neg_lo:[0,1] neg_hi:[0,1]
	s_wait_dscnt 0x0
	v_pk_mul_f32 v[10:11], v[6:7], v[4:5] op_sel:[0,1]
	s_delay_alu instid0(VALU_DEP_1) | instskip(SKIP_1) | instid1(VALU_DEP_1)
	v_pk_fma_f32 v[12:13], v[6:7], v[2:3], v[10:11] op_sel:[0,0,1] op_sel_hi:[1,1,0] neg_lo:[0,0,1] neg_hi:[0,0,1]
	v_pk_fma_f32 v[6:7], v[6:7], v[2:3], v[10:11] op_sel:[0,0,1] op_sel_hi:[1,0,0]
	v_mov_b32_e32 v13, v7
	v_pk_mul_f32 v[6:7], v[8:9], v[4:5] op_sel:[0,1]
	s_delay_alu instid0(VALU_DEP_1) | instskip(SKIP_1) | instid1(VALU_DEP_1)
	v_pk_fma_f32 v[10:11], v[8:9], v[2:3], v[6:7] op_sel:[0,0,1] op_sel_hi:[1,1,0] neg_lo:[0,0,1] neg_hi:[0,0,1]
	v_pk_fma_f32 v[6:7], v[8:9], v[2:3], v[6:7] op_sel:[0,0,1] op_sel_hi:[1,0,0]
	v_mov_b32_e32 v11, v7
	ds_load_2addr_b64 v[6:9], v182 offset0:22 offset1:23
	v_pk_add_f32 v[98:99], v[98:99], v[12:13] neg_lo:[0,1] neg_hi:[0,1]
	v_pk_add_f32 v[94:95], v[94:95], v[10:11] neg_lo:[0,1] neg_hi:[0,1]
	s_wait_dscnt 0x0
	v_dual_mul_f32 v10, v7, v5 :: v_dual_mul_f32 v12, v7, v2
	s_delay_alu instid0(VALU_DEP_1) | instskip(NEXT) | instid1(VALU_DEP_2)
	v_pk_fma_f32 v[10:11], v[6:7], v[60:61], v[10:11] op_sel_hi:[1,1,0] neg_lo:[0,0,1] neg_hi:[0,0,1]
	v_pk_fma_f32 v[6:7], v[6:7], v[60:61], v[12:13] op_sel:[1,0,0] op_sel_hi:[0,1,0]
	s_delay_alu instid0(VALU_DEP_1) | instskip(SKIP_1) | instid1(VALU_DEP_2)
	v_mov_b32_e32 v11, v7
	v_pk_mul_f32 v[6:7], v[8:9], v[4:5] op_sel:[0,1]
	v_pk_add_f32 v[96:97], v[96:97], v[10:11] neg_lo:[0,1] neg_hi:[0,1]
	s_delay_alu instid0(VALU_DEP_2) | instskip(SKIP_1) | instid1(VALU_DEP_1)
	v_pk_fma_f32 v[10:11], v[8:9], v[2:3], v[6:7] op_sel:[0,0,1] op_sel_hi:[1,1,0] neg_lo:[0,0,1] neg_hi:[0,0,1]
	v_pk_fma_f32 v[6:7], v[8:9], v[2:3], v[6:7] op_sel:[0,0,1] op_sel_hi:[1,0,0]
	v_mov_b32_e32 v11, v7
	ds_load_2addr_b64 v[6:9], v182 offset0:24 offset1:25
	v_pk_add_f32 v[92:93], v[92:93], v[10:11] neg_lo:[0,1] neg_hi:[0,1]
	s_wait_dscnt 0x0
	v_pk_mul_f32 v[10:11], v[6:7], v[4:5] op_sel:[0,1]
	s_delay_alu instid0(VALU_DEP_1) | instskip(SKIP_1) | instid1(VALU_DEP_1)
	v_pk_fma_f32 v[12:13], v[6:7], v[2:3], v[10:11] op_sel:[0,0,1] op_sel_hi:[1,1,0] neg_lo:[0,0,1] neg_hi:[0,0,1]
	v_pk_fma_f32 v[6:7], v[6:7], v[2:3], v[10:11] op_sel:[0,0,1] op_sel_hi:[1,0,0]
	v_mov_b32_e32 v13, v7
	v_pk_mul_f32 v[6:7], v[8:9], v[4:5] op_sel:[0,1]
	s_delay_alu instid0(VALU_DEP_2) | instskip(NEXT) | instid1(VALU_DEP_2)
	v_pk_add_f32 v[114:115], v[114:115], v[12:13] neg_lo:[0,1] neg_hi:[0,1]
	v_pk_fma_f32 v[10:11], v[8:9], v[2:3], v[6:7] op_sel:[0,0,1] op_sel_hi:[1,1,0] neg_lo:[0,0,1] neg_hi:[0,0,1]
	v_pk_fma_f32 v[6:7], v[8:9], v[2:3], v[6:7] op_sel:[0,0,1] op_sel_hi:[1,0,0]
	s_delay_alu instid0(VALU_DEP_1) | instskip(SKIP_4) | instid1(VALU_DEP_1)
	v_mov_b32_e32 v11, v7
	ds_load_2addr_b64 v[6:9], v182 offset0:26 offset1:27
	v_pk_add_f32 v[110:111], v[110:111], v[10:11] neg_lo:[0,1] neg_hi:[0,1]
	s_wait_dscnt 0x0
	v_pk_mul_f32 v[10:11], v[6:7], v[4:5] op_sel:[0,1]
	v_pk_fma_f32 v[12:13], v[6:7], v[2:3], v[10:11] op_sel:[0,0,1] op_sel_hi:[1,1,0] neg_lo:[0,0,1] neg_hi:[0,0,1]
	v_pk_fma_f32 v[6:7], v[6:7], v[2:3], v[10:11] op_sel:[0,0,1] op_sel_hi:[1,0,0]
	v_dual_mul_f32 v10, v9, v5 :: v_dual_mov_b32 v6, v9
	s_delay_alu instid0(VALU_DEP_2) | instskip(NEXT) | instid1(VALU_DEP_2)
	v_dual_mov_b32 v13, v7 :: v_dual_mov_b32 v7, v8
	v_pk_fma_f32 v[10:11], v[8:9], v[60:61], v[10:11] op_sel_hi:[1,1,0] neg_lo:[0,0,1] neg_hi:[0,0,1]
	v_mul_f32_e32 v8, v9, v2
	s_delay_alu instid0(VALU_DEP_3) | instskip(NEXT) | instid1(VALU_DEP_2)
	v_pk_add_f32 v[112:113], v[112:113], v[12:13] neg_lo:[0,1] neg_hi:[0,1]
	v_pk_fma_f32 v[6:7], v[6:7], v[60:61], v[8:9] op_sel_hi:[1,1,0]
	s_delay_alu instid0(VALU_DEP_1) | instskip(SKIP_4) | instid1(VALU_DEP_1)
	v_mov_b32_e32 v11, v7
	ds_load_2addr_b64 v[6:9], v182 offset0:28 offset1:29
	v_pk_add_f32 v[108:109], v[108:109], v[10:11] neg_lo:[0,1] neg_hi:[0,1]
	s_wait_dscnt 0x0
	v_pk_mul_f32 v[10:11], v[6:7], v[4:5] op_sel:[0,1]
	v_pk_fma_f32 v[12:13], v[6:7], v[2:3], v[10:11] op_sel:[0,0,1] op_sel_hi:[1,1,0] neg_lo:[0,0,1] neg_hi:[0,0,1]
	v_pk_fma_f32 v[6:7], v[6:7], v[2:3], v[10:11] op_sel:[0,0,1] op_sel_hi:[1,0,0]
	s_delay_alu instid0(VALU_DEP_1) | instskip(SKIP_1) | instid1(VALU_DEP_1)
	v_mov_b32_e32 v13, v7
	v_pk_mul_f32 v[6:7], v[8:9], v[4:5] op_sel:[0,1]
	v_pk_fma_f32 v[10:11], v[8:9], v[2:3], v[6:7] op_sel:[0,0,1] op_sel_hi:[1,1,0] neg_lo:[0,0,1] neg_hi:[0,0,1]
	v_pk_fma_f32 v[6:7], v[8:9], v[2:3], v[6:7] op_sel:[0,0,1] op_sel_hi:[1,0,0]
	s_delay_alu instid0(VALU_DEP_1)
	v_mov_b32_e32 v11, v7
	ds_load_2addr_b64 v[6:9], v182 offset0:30 offset1:31
	v_pk_add_f32 v[130:131], v[130:131], v[12:13] neg_lo:[0,1] neg_hi:[0,1]
	v_pk_add_f32 v[126:127], v[126:127], v[10:11] neg_lo:[0,1] neg_hi:[0,1]
	s_wait_dscnt 0x0
	v_pk_mul_f32 v[10:11], v[6:7], v[4:5] op_sel:[0,1]
	s_delay_alu instid0(VALU_DEP_1) | instskip(SKIP_1) | instid1(VALU_DEP_1)
	v_pk_fma_f32 v[12:13], v[6:7], v[2:3], v[10:11] op_sel:[0,0,1] op_sel_hi:[1,1,0] neg_lo:[0,0,1] neg_hi:[0,0,1]
	v_pk_fma_f32 v[6:7], v[6:7], v[2:3], v[10:11] op_sel:[0,0,1] op_sel_hi:[1,0,0]
	v_mov_b32_e32 v13, v7
	v_pk_mul_f32 v[6:7], v[8:9], v[4:5] op_sel:[0,1]
	s_delay_alu instid0(VALU_DEP_1) | instskip(SKIP_1) | instid1(VALU_DEP_1)
	v_pk_fma_f32 v[10:11], v[8:9], v[2:3], v[6:7] op_sel:[0,0,1] op_sel_hi:[1,1,0] neg_lo:[0,0,1] neg_hi:[0,0,1]
	v_pk_fma_f32 v[6:7], v[8:9], v[2:3], v[6:7] op_sel:[0,0,1] op_sel_hi:[1,0,0]
	v_mov_b32_e32 v11, v7
	ds_load_2addr_b64 v[6:9], v182 offset0:32 offset1:33
	v_pk_add_f32 v[128:129], v[128:129], v[12:13] neg_lo:[0,1] neg_hi:[0,1]
	v_pk_add_f32 v[124:125], v[124:125], v[10:11] neg_lo:[0,1] neg_hi:[0,1]
	s_wait_dscnt 0x0
	v_dual_mul_f32 v10, v7, v5 :: v_dual_mul_f32 v12, v7, v2
	s_delay_alu instid0(VALU_DEP_1) | instskip(NEXT) | instid1(VALU_DEP_2)
	v_pk_fma_f32 v[10:11], v[6:7], v[60:61], v[10:11] op_sel_hi:[1,1,0] neg_lo:[0,0,1] neg_hi:[0,0,1]
	v_pk_fma_f32 v[6:7], v[6:7], v[60:61], v[12:13] op_sel:[1,0,0] op_sel_hi:[0,1,0]
	s_delay_alu instid0(VALU_DEP_1) | instskip(SKIP_1) | instid1(VALU_DEP_2)
	v_mov_b32_e32 v11, v7
	v_pk_mul_f32 v[6:7], v[8:9], v[4:5] op_sel:[0,1]
	v_pk_add_f32 v[146:147], v[146:147], v[10:11] neg_lo:[0,1] neg_hi:[0,1]
	s_delay_alu instid0(VALU_DEP_2) | instskip(SKIP_1) | instid1(VALU_DEP_1)
	v_pk_fma_f32 v[10:11], v[8:9], v[2:3], v[6:7] op_sel:[0,0,1] op_sel_hi:[1,1,0] neg_lo:[0,0,1] neg_hi:[0,0,1]
	v_pk_fma_f32 v[6:7], v[8:9], v[2:3], v[6:7] op_sel:[0,0,1] op_sel_hi:[1,0,0]
	v_mov_b32_e32 v11, v7
	ds_load_2addr_b64 v[6:9], v182 offset0:34 offset1:35
	v_pk_add_f32 v[142:143], v[142:143], v[10:11] neg_lo:[0,1] neg_hi:[0,1]
	s_wait_dscnt 0x0
	v_pk_mul_f32 v[10:11], v[6:7], v[4:5] op_sel:[0,1]
	s_delay_alu instid0(VALU_DEP_1) | instskip(SKIP_1) | instid1(VALU_DEP_1)
	v_pk_fma_f32 v[12:13], v[6:7], v[2:3], v[10:11] op_sel:[0,0,1] op_sel_hi:[1,1,0] neg_lo:[0,0,1] neg_hi:[0,0,1]
	v_pk_fma_f32 v[6:7], v[6:7], v[2:3], v[10:11] op_sel:[0,0,1] op_sel_hi:[1,0,0]
	v_mov_b32_e32 v13, v7
	v_pk_mul_f32 v[6:7], v[8:9], v[4:5] op_sel:[0,1]
	s_delay_alu instid0(VALU_DEP_2) | instskip(NEXT) | instid1(VALU_DEP_2)
	v_pk_add_f32 v[144:145], v[144:145], v[12:13] neg_lo:[0,1] neg_hi:[0,1]
	v_pk_fma_f32 v[10:11], v[8:9], v[2:3], v[6:7] op_sel:[0,0,1] op_sel_hi:[1,1,0] neg_lo:[0,0,1] neg_hi:[0,0,1]
	v_pk_fma_f32 v[6:7], v[8:9], v[2:3], v[6:7] op_sel:[0,0,1] op_sel_hi:[1,0,0]
	s_delay_alu instid0(VALU_DEP_1) | instskip(SKIP_4) | instid1(VALU_DEP_1)
	v_mov_b32_e32 v11, v7
	ds_load_2addr_b64 v[6:9], v182 offset0:36 offset1:37
	v_pk_add_f32 v[140:141], v[140:141], v[10:11] neg_lo:[0,1] neg_hi:[0,1]
	s_wait_dscnt 0x0
	v_pk_mul_f32 v[10:11], v[6:7], v[4:5] op_sel:[0,1]
	v_pk_fma_f32 v[12:13], v[6:7], v[2:3], v[10:11] op_sel:[0,0,1] op_sel_hi:[1,1,0] neg_lo:[0,0,1] neg_hi:[0,0,1]
	v_pk_fma_f32 v[6:7], v[6:7], v[2:3], v[10:11] op_sel:[0,0,1] op_sel_hi:[1,0,0]
	v_dual_mul_f32 v10, v9, v5 :: v_dual_mov_b32 v6, v9
	s_delay_alu instid0(VALU_DEP_2) | instskip(NEXT) | instid1(VALU_DEP_2)
	v_dual_mov_b32 v13, v7 :: v_dual_mov_b32 v7, v8
	v_pk_fma_f32 v[10:11], v[8:9], v[60:61], v[10:11] op_sel_hi:[1,1,0] neg_lo:[0,0,1] neg_hi:[0,0,1]
	v_mul_f32_e32 v8, v9, v2
	s_delay_alu instid0(VALU_DEP_3) | instskip(NEXT) | instid1(VALU_DEP_2)
	v_pk_add_f32 v[162:163], v[162:163], v[12:13] neg_lo:[0,1] neg_hi:[0,1]
	v_pk_fma_f32 v[6:7], v[6:7], v[60:61], v[8:9] op_sel_hi:[1,1,0]
	s_delay_alu instid0(VALU_DEP_1) | instskip(SKIP_4) | instid1(VALU_DEP_1)
	v_mov_b32_e32 v11, v7
	ds_load_2addr_b64 v[6:9], v182 offset0:38 offset1:39
	v_pk_add_f32 v[158:159], v[158:159], v[10:11] neg_lo:[0,1] neg_hi:[0,1]
	s_wait_dscnt 0x0
	v_pk_mul_f32 v[10:11], v[6:7], v[4:5] op_sel:[0,1]
	v_pk_fma_f32 v[12:13], v[6:7], v[2:3], v[10:11] op_sel:[0,0,1] op_sel_hi:[1,1,0] neg_lo:[0,0,1] neg_hi:[0,0,1]
	v_pk_fma_f32 v[6:7], v[6:7], v[2:3], v[10:11] op_sel:[0,0,1] op_sel_hi:[1,0,0]
	s_delay_alu instid0(VALU_DEP_1) | instskip(SKIP_1) | instid1(VALU_DEP_1)
	v_mov_b32_e32 v13, v7
	v_pk_mul_f32 v[6:7], v[8:9], v[4:5] op_sel:[0,1]
	v_pk_fma_f32 v[10:11], v[8:9], v[2:3], v[6:7] op_sel:[0,0,1] op_sel_hi:[1,1,0] neg_lo:[0,0,1] neg_hi:[0,0,1]
	v_pk_fma_f32 v[6:7], v[8:9], v[2:3], v[6:7] op_sel:[0,0,1] op_sel_hi:[1,0,0]
	s_delay_alu instid0(VALU_DEP_1)
	v_mov_b32_e32 v11, v7
	ds_load_2addr_b64 v[6:9], v182 offset0:40 offset1:41
	v_pk_add_f32 v[160:161], v[160:161], v[12:13] neg_lo:[0,1] neg_hi:[0,1]
	v_pk_add_f32 v[156:157], v[156:157], v[10:11] neg_lo:[0,1] neg_hi:[0,1]
	s_wait_dscnt 0x0
	v_pk_mul_f32 v[10:11], v[6:7], v[4:5] op_sel:[0,1]
	s_delay_alu instid0(VALU_DEP_1) | instskip(SKIP_1) | instid1(VALU_DEP_1)
	v_pk_fma_f32 v[12:13], v[6:7], v[2:3], v[10:11] op_sel:[0,0,1] op_sel_hi:[1,1,0] neg_lo:[0,0,1] neg_hi:[0,0,1]
	v_pk_fma_f32 v[6:7], v[6:7], v[2:3], v[10:11] op_sel:[0,0,1] op_sel_hi:[1,0,0]
	v_mov_b32_e32 v13, v7
	v_pk_mul_f32 v[6:7], v[8:9], v[4:5] op_sel:[0,1]
	s_delay_alu instid0(VALU_DEP_1) | instskip(SKIP_1) | instid1(VALU_DEP_1)
	v_pk_fma_f32 v[10:11], v[8:9], v[2:3], v[6:7] op_sel:[0,0,1] op_sel_hi:[1,1,0] neg_lo:[0,0,1] neg_hi:[0,0,1]
	v_pk_fma_f32 v[6:7], v[8:9], v[2:3], v[6:7] op_sel:[0,0,1] op_sel_hi:[1,0,0]
	v_mov_b32_e32 v11, v7
	ds_load_2addr_b64 v[6:9], v182 offset0:42 offset1:43
	v_pk_add_f32 v[178:179], v[178:179], v[12:13] neg_lo:[0,1] neg_hi:[0,1]
	v_pk_add_f32 v[174:175], v[174:175], v[10:11] neg_lo:[0,1] neg_hi:[0,1]
	s_wait_dscnt 0x0
	v_dual_mul_f32 v10, v7, v5 :: v_dual_mul_f32 v12, v7, v2
	s_delay_alu instid0(VALU_DEP_1) | instskip(NEXT) | instid1(VALU_DEP_2)
	v_pk_fma_f32 v[10:11], v[6:7], v[60:61], v[10:11] op_sel_hi:[1,1,0] neg_lo:[0,0,1] neg_hi:[0,0,1]
	v_pk_fma_f32 v[6:7], v[6:7], v[60:61], v[12:13] op_sel:[1,0,0] op_sel_hi:[0,1,0]
	s_delay_alu instid0(VALU_DEP_1) | instskip(SKIP_1) | instid1(VALU_DEP_2)
	v_mov_b32_e32 v11, v7
	v_pk_mul_f32 v[6:7], v[8:9], v[4:5] op_sel:[0,1]
	v_pk_add_f32 v[176:177], v[176:177], v[10:11] neg_lo:[0,1] neg_hi:[0,1]
	s_delay_alu instid0(VALU_DEP_2) | instskip(SKIP_1) | instid1(VALU_DEP_1)
	v_pk_fma_f32 v[10:11], v[8:9], v[2:3], v[6:7] op_sel:[0,0,1] op_sel_hi:[1,1,0] neg_lo:[0,0,1] neg_hi:[0,0,1]
	v_pk_fma_f32 v[6:7], v[8:9], v[2:3], v[6:7] op_sel:[0,0,1] op_sel_hi:[1,0,0]
	v_mov_b32_e32 v11, v7
	ds_load_2addr_b64 v[6:9], v182 offset0:44 offset1:45
	v_pk_add_f32 v[172:173], v[172:173], v[10:11] neg_lo:[0,1] neg_hi:[0,1]
	s_wait_dscnt 0x0
	v_pk_mul_f32 v[10:11], v[6:7], v[4:5] op_sel:[0,1]
	s_delay_alu instid0(VALU_DEP_1) | instskip(SKIP_1) | instid1(VALU_DEP_1)
	v_pk_fma_f32 v[12:13], v[6:7], v[2:3], v[10:11] op_sel:[0,0,1] op_sel_hi:[1,1,0] neg_lo:[0,0,1] neg_hi:[0,0,1]
	v_pk_fma_f32 v[6:7], v[6:7], v[2:3], v[10:11] op_sel:[0,0,1] op_sel_hi:[1,0,0]
	v_mov_b32_e32 v13, v7
	v_pk_mul_f32 v[6:7], v[8:9], v[4:5] op_sel:[0,1]
	s_delay_alu instid0(VALU_DEP_2) | instskip(NEXT) | instid1(VALU_DEP_2)
	v_pk_add_f32 v[200:201], v[200:201], v[12:13] neg_lo:[0,1] neg_hi:[0,1]
	v_pk_fma_f32 v[10:11], v[8:9], v[2:3], v[6:7] op_sel:[0,0,1] op_sel_hi:[1,1,0] neg_lo:[0,0,1] neg_hi:[0,0,1]
	v_pk_fma_f32 v[6:7], v[8:9], v[2:3], v[6:7] op_sel:[0,0,1] op_sel_hi:[1,0,0]
	s_delay_alu instid0(VALU_DEP_1) | instskip(SKIP_4) | instid1(VALU_DEP_1)
	v_mov_b32_e32 v11, v7
	ds_load_2addr_b64 v[6:9], v182 offset0:46 offset1:47
	v_pk_add_f32 v[196:197], v[196:197], v[10:11] neg_lo:[0,1] neg_hi:[0,1]
	s_wait_dscnt 0x0
	v_pk_mul_f32 v[10:11], v[6:7], v[4:5] op_sel:[0,1]
	v_pk_fma_f32 v[12:13], v[6:7], v[2:3], v[10:11] op_sel:[0,0,1] op_sel_hi:[1,1,0] neg_lo:[0,0,1] neg_hi:[0,0,1]
	v_pk_fma_f32 v[6:7], v[6:7], v[2:3], v[10:11] op_sel:[0,0,1] op_sel_hi:[1,0,0]
	v_dual_mul_f32 v10, v9, v5 :: v_dual_mov_b32 v6, v9
	s_delay_alu instid0(VALU_DEP_2) | instskip(NEXT) | instid1(VALU_DEP_2)
	v_dual_mov_b32 v13, v7 :: v_dual_mov_b32 v7, v8
	v_pk_fma_f32 v[10:11], v[8:9], v[60:61], v[10:11] op_sel_hi:[1,1,0] neg_lo:[0,0,1] neg_hi:[0,0,1]
	v_mul_f32_e32 v8, v9, v2
	s_delay_alu instid0(VALU_DEP_3) | instskip(NEXT) | instid1(VALU_DEP_2)
	v_pk_add_f32 v[198:199], v[198:199], v[12:13] neg_lo:[0,1] neg_hi:[0,1]
	v_pk_fma_f32 v[6:7], v[6:7], v[60:61], v[8:9] op_sel_hi:[1,1,0]
	s_delay_alu instid0(VALU_DEP_1) | instskip(SKIP_4) | instid1(VALU_DEP_1)
	v_mov_b32_e32 v11, v7
	ds_load_2addr_b64 v[6:9], v182 offset0:48 offset1:49
	v_pk_add_f32 v[194:195], v[194:195], v[10:11] neg_lo:[0,1] neg_hi:[0,1]
	s_wait_dscnt 0x0
	v_pk_mul_f32 v[10:11], v[6:7], v[4:5] op_sel:[0,1]
	v_pk_fma_f32 v[12:13], v[6:7], v[2:3], v[10:11] op_sel:[0,0,1] op_sel_hi:[1,1,0] neg_lo:[0,0,1] neg_hi:[0,0,1]
	v_pk_fma_f32 v[6:7], v[6:7], v[2:3], v[10:11] op_sel:[0,0,1] op_sel_hi:[1,0,0]
	s_delay_alu instid0(VALU_DEP_1) | instskip(SKIP_1) | instid1(VALU_DEP_1)
	v_mov_b32_e32 v13, v7
	v_pk_mul_f32 v[6:7], v[8:9], v[4:5] op_sel:[0,1]
	v_pk_fma_f32 v[10:11], v[8:9], v[2:3], v[6:7] op_sel:[0,0,1] op_sel_hi:[1,1,0] neg_lo:[0,0,1] neg_hi:[0,0,1]
	v_pk_fma_f32 v[6:7], v[8:9], v[2:3], v[6:7] op_sel:[0,0,1] op_sel_hi:[1,0,0]
	s_delay_alu instid0(VALU_DEP_1)
	v_mov_b32_e32 v11, v7
	ds_load_2addr_b64 v[6:9], v182 offset0:50 offset1:51
	v_pk_add_f32 v[224:225], v[224:225], v[12:13] neg_lo:[0,1] neg_hi:[0,1]
	v_pk_add_f32 v[216:217], v[216:217], v[10:11] neg_lo:[0,1] neg_hi:[0,1]
	s_wait_dscnt 0x0
	v_pk_mul_f32 v[10:11], v[6:7], v[4:5] op_sel:[0,1]
	s_delay_alu instid0(VALU_DEP_1) | instskip(SKIP_1) | instid1(VALU_DEP_1)
	v_pk_fma_f32 v[12:13], v[6:7], v[2:3], v[10:11] op_sel:[0,0,1] op_sel_hi:[1,1,0] neg_lo:[0,0,1] neg_hi:[0,0,1]
	v_pk_fma_f32 v[6:7], v[6:7], v[2:3], v[10:11] op_sel:[0,0,1] op_sel_hi:[1,0,0]
	v_mov_b32_e32 v13, v7
	v_pk_mul_f32 v[6:7], v[8:9], v[4:5] op_sel:[0,1]
	s_delay_alu instid0(VALU_DEP_1) | instskip(SKIP_1) | instid1(VALU_DEP_1)
	v_pk_fma_f32 v[10:11], v[8:9], v[2:3], v[6:7] op_sel:[0,0,1] op_sel_hi:[1,1,0] neg_lo:[0,0,1] neg_hi:[0,0,1]
	v_pk_fma_f32 v[6:7], v[8:9], v[2:3], v[6:7] op_sel:[0,0,1] op_sel_hi:[1,0,0]
	v_mov_b32_e32 v11, v7
	ds_load_2addr_b64 v[6:9], v182 offset0:52 offset1:53
	v_pk_add_f32 v[222:223], v[222:223], v[12:13] neg_lo:[0,1] neg_hi:[0,1]
	v_pk_add_f32 v[214:215], v[214:215], v[10:11] neg_lo:[0,1] neg_hi:[0,1]
	s_wait_dscnt 0x0
	v_dual_mul_f32 v10, v7, v5 :: v_dual_mul_f32 v12, v7, v2
	s_delay_alu instid0(VALU_DEP_1) | instskip(NEXT) | instid1(VALU_DEP_2)
	v_pk_fma_f32 v[10:11], v[6:7], v[60:61], v[10:11] op_sel_hi:[1,1,0] neg_lo:[0,0,1] neg_hi:[0,0,1]
	v_pk_fma_f32 v[6:7], v[6:7], v[60:61], v[12:13] op_sel:[1,0,0] op_sel_hi:[0,1,0]
	s_delay_alu instid0(VALU_DEP_1) | instskip(SKIP_1) | instid1(VALU_DEP_2)
	v_mov_b32_e32 v11, v7
	v_pk_mul_f32 v[6:7], v[8:9], v[4:5] op_sel:[0,1]
	v_pk_add_f32 v[220:221], v[220:221], v[10:11] neg_lo:[0,1] neg_hi:[0,1]
	s_delay_alu instid0(VALU_DEP_2) | instskip(SKIP_1) | instid1(VALU_DEP_1)
	v_pk_fma_f32 v[10:11], v[8:9], v[2:3], v[6:7] op_sel:[0,0,1] op_sel_hi:[1,1,0] neg_lo:[0,0,1] neg_hi:[0,0,1]
	v_pk_fma_f32 v[6:7], v[8:9], v[2:3], v[6:7] op_sel:[0,0,1] op_sel_hi:[1,0,0]
	v_mov_b32_e32 v11, v7
	ds_load_2addr_b64 v[6:9], v182 offset0:54 offset1:55
	v_pk_add_f32 v[212:213], v[212:213], v[10:11] neg_lo:[0,1] neg_hi:[0,1]
	s_wait_dscnt 0x0
	v_pk_mul_f32 v[10:11], v[6:7], v[4:5] op_sel:[0,1]
	s_delay_alu instid0(VALU_DEP_1) | instskip(SKIP_1) | instid1(VALU_DEP_1)
	v_pk_fma_f32 v[12:13], v[6:7], v[2:3], v[10:11] op_sel:[0,0,1] op_sel_hi:[1,1,0] neg_lo:[0,0,1] neg_hi:[0,0,1]
	v_pk_fma_f32 v[6:7], v[6:7], v[2:3], v[10:11] op_sel:[0,0,1] op_sel_hi:[1,0,0]
	v_mov_b32_e32 v13, v7
	v_pk_mul_f32 v[6:7], v[8:9], v[4:5] op_sel:[0,1]
	s_delay_alu instid0(VALU_DEP_2) | instskip(NEXT) | instid1(VALU_DEP_2)
	v_pk_add_f32 v[218:219], v[218:219], v[12:13] neg_lo:[0,1] neg_hi:[0,1]
	v_pk_fma_f32 v[10:11], v[8:9], v[2:3], v[6:7] op_sel:[0,0,1] op_sel_hi:[1,1,0] neg_lo:[0,0,1] neg_hi:[0,0,1]
	v_pk_fma_f32 v[6:7], v[8:9], v[2:3], v[6:7] op_sel:[0,0,1] op_sel_hi:[1,0,0]
	s_delay_alu instid0(VALU_DEP_1) | instskip(SKIP_4) | instid1(VALU_DEP_1)
	v_mov_b32_e32 v11, v7
	ds_load_b64 v[6:7], v182 offset:448
	v_pk_add_f32 v[226:227], v[226:227], v[10:11] neg_lo:[0,1] neg_hi:[0,1]
	s_wait_dscnt 0x0
	v_pk_mul_f32 v[4:5], v[6:7], v[4:5] op_sel:[0,1]
	v_pk_fma_f32 v[8:9], v[6:7], v[2:3], v[4:5] op_sel:[0,0,1] op_sel_hi:[1,1,0] neg_lo:[0,0,1] neg_hi:[0,0,1]
	v_pk_fma_f32 v[2:3], v[6:7], v[2:3], v[4:5] op_sel:[0,0,1] op_sel_hi:[1,0,0]
	s_delay_alu instid0(VALU_DEP_1) | instskip(NEXT) | instid1(VALU_DEP_1)
	v_mov_b32_e32 v9, v3
	v_pk_add_f32 v[228:229], v[228:229], v[8:9] neg_lo:[0,1] neg_hi:[0,1]
.LBB113_127:
	s_wait_xcnt 0x0
	s_or_b32 exec_lo, exec_lo, s1
	s_delay_alu instid0(SALU_CYCLE_1)
	s_mov_b32 s2, exec_lo
	s_wait_storecnt 0x0
	s_barrier_signal -1
	s_barrier_wait -1
	v_cmpx_eq_u32_e32 14, v180
	s_cbranch_execz .LBB113_134
; %bb.128:
	ds_store_b64 v181, v[62:63]
	ds_store_2addr_b64 v182, v[58:59], v[80:81] offset0:15 offset1:16
	ds_store_2addr_b64 v182, v[76:77], v[78:79] offset0:17 offset1:18
	;; [unrolled: 1-line block ×21, first 2 shown]
	ds_load_b64 v[2:3], v181
	s_wait_dscnt 0x0
	v_cmp_neq_f32_e32 vcc_lo, 0, v2
	v_cmp_neq_f32_e64 s1, 0, v3
	s_or_b32 s1, vcc_lo, s1
	s_delay_alu instid0(SALU_CYCLE_1)
	s_and_b32 exec_lo, exec_lo, s1
	s_cbranch_execz .LBB113_134
; %bb.129:
	v_cmp_ngt_f32_e64 s1, |v2|, |v3|
                                        ; implicit-def: $vgpr4_vgpr5
	s_and_saveexec_b32 s4, s1
	s_delay_alu instid0(SALU_CYCLE_1)
	s_xor_b32 s1, exec_lo, s4
	s_cbranch_execz .LBB113_131
; %bb.130:
	v_div_scale_f32 v4, null, v3, v3, v2
	v_div_scale_f32 v7, vcc_lo, v2, v3, v2
	s_delay_alu instid0(VALU_DEP_2) | instskip(SKIP_1) | instid1(TRANS32_DEP_1)
	v_rcp_f32_e32 v5, v4
	v_nop
	v_fma_f32 v6, -v4, v5, 1.0
	s_delay_alu instid0(VALU_DEP_1) | instskip(NEXT) | instid1(VALU_DEP_1)
	v_fmac_f32_e32 v5, v6, v5
	v_mul_f32_e32 v6, v7, v5
	s_delay_alu instid0(VALU_DEP_1) | instskip(NEXT) | instid1(VALU_DEP_1)
	v_fma_f32 v8, -v4, v6, v7
	v_fmac_f32_e32 v6, v8, v5
	s_delay_alu instid0(VALU_DEP_1) | instskip(NEXT) | instid1(VALU_DEP_1)
	v_fma_f32 v4, -v4, v6, v7
	v_div_fmas_f32 v4, v4, v5, v6
	s_delay_alu instid0(VALU_DEP_1) | instskip(NEXT) | instid1(VALU_DEP_1)
	v_div_fixup_f32 v4, v4, v3, v2
	v_fmac_f32_e32 v3, v2, v4
	s_delay_alu instid0(VALU_DEP_1) | instskip(SKIP_1) | instid1(VALU_DEP_2)
	v_div_scale_f32 v2, null, v3, v3, 1.0
	v_div_scale_f32 v7, vcc_lo, 1.0, v3, 1.0
	v_rcp_f32_e32 v5, v2
	v_nop
	s_delay_alu instid0(TRANS32_DEP_1) | instskip(NEXT) | instid1(VALU_DEP_1)
	v_fma_f32 v6, -v2, v5, 1.0
	v_fmac_f32_e32 v5, v6, v5
	s_delay_alu instid0(VALU_DEP_1) | instskip(NEXT) | instid1(VALU_DEP_1)
	v_mul_f32_e32 v6, v7, v5
	v_fma_f32 v8, -v2, v6, v7
	s_delay_alu instid0(VALU_DEP_1) | instskip(NEXT) | instid1(VALU_DEP_1)
	v_fmac_f32_e32 v6, v8, v5
	v_fma_f32 v2, -v2, v6, v7
	s_delay_alu instid0(VALU_DEP_1) | instskip(NEXT) | instid1(VALU_DEP_1)
	v_div_fmas_f32 v2, v2, v5, v6
	v_div_fixup_f32 v2, v2, v3, 1.0
	s_delay_alu instid0(VALU_DEP_1)
	v_mul_f32_e32 v4, v4, v2
	v_xor_b32_e32 v5, 0x80000000, v2
                                        ; implicit-def: $vgpr2_vgpr3
.LBB113_131:
	s_and_not1_saveexec_b32 s1, s1
	s_cbranch_execz .LBB113_133
; %bb.132:
	v_div_scale_f32 v4, null, v2, v2, v3
	v_div_scale_f32 v7, vcc_lo, v3, v2, v3
	s_delay_alu instid0(VALU_DEP_2) | instskip(SKIP_1) | instid1(TRANS32_DEP_1)
	v_rcp_f32_e32 v5, v4
	v_nop
	v_fma_f32 v6, -v4, v5, 1.0
	s_delay_alu instid0(VALU_DEP_1) | instskip(NEXT) | instid1(VALU_DEP_1)
	v_fmac_f32_e32 v5, v6, v5
	v_mul_f32_e32 v6, v7, v5
	s_delay_alu instid0(VALU_DEP_1) | instskip(NEXT) | instid1(VALU_DEP_1)
	v_fma_f32 v8, -v4, v6, v7
	v_fmac_f32_e32 v6, v8, v5
	s_delay_alu instid0(VALU_DEP_1) | instskip(NEXT) | instid1(VALU_DEP_1)
	v_fma_f32 v4, -v4, v6, v7
	v_div_fmas_f32 v4, v4, v5, v6
	s_delay_alu instid0(VALU_DEP_1) | instskip(NEXT) | instid1(VALU_DEP_1)
	v_div_fixup_f32 v5, v4, v2, v3
	v_fmac_f32_e32 v2, v3, v5
	s_delay_alu instid0(VALU_DEP_1) | instskip(NEXT) | instid1(VALU_DEP_1)
	v_div_scale_f32 v3, null, v2, v2, 1.0
	v_rcp_f32_e32 v4, v3
	v_nop
	s_delay_alu instid0(TRANS32_DEP_1) | instskip(NEXT) | instid1(VALU_DEP_1)
	v_fma_f32 v6, -v3, v4, 1.0
	v_fmac_f32_e32 v4, v6, v4
	v_div_scale_f32 v6, vcc_lo, 1.0, v2, 1.0
	s_delay_alu instid0(VALU_DEP_1) | instskip(NEXT) | instid1(VALU_DEP_1)
	v_mul_f32_e32 v7, v6, v4
	v_fma_f32 v8, -v3, v7, v6
	s_delay_alu instid0(VALU_DEP_1) | instskip(NEXT) | instid1(VALU_DEP_1)
	v_fmac_f32_e32 v7, v8, v4
	v_fma_f32 v3, -v3, v7, v6
	s_delay_alu instid0(VALU_DEP_1) | instskip(NEXT) | instid1(VALU_DEP_1)
	v_div_fmas_f32 v3, v3, v4, v7
	v_div_fixup_f32 v4, v3, v2, 1.0
	s_delay_alu instid0(VALU_DEP_1)
	v_mul_f32_e64 v5, v5, -v4
.LBB113_133:
	s_or_b32 exec_lo, exec_lo, s1
	ds_store_b64 v181, v[4:5]
.LBB113_134:
	s_or_b32 exec_lo, exec_lo, s2
	s_wait_dscnt 0x0
	s_barrier_signal -1
	s_barrier_wait -1
	ds_load_b64 v[2:3], v181
	s_mov_b32 s1, exec_lo
	v_cmpx_lt_u32_e32 14, v180
	s_cbranch_execz .LBB113_136
; %bb.135:
	ds_load_2addr_b64 v[8:11], v182 offset0:15 offset1:16
	s_wait_dscnt 0x1
	v_pk_mul_f32 v[6:7], v[2:3], v[62:63] op_sel:[1,1] op_sel_hi:[0,1]
	s_delay_alu instid0(VALU_DEP_1) | instskip(SKIP_1) | instid1(VALU_DEP_1)
	v_pk_fma_f32 v[4:5], v[2:3], v[62:63], v[6:7] op_sel_hi:[1,0,1] neg_lo:[0,0,1] neg_hi:[0,0,1]
	v_pk_fma_f32 v[6:7], v[2:3], v[62:63], v[6:7] op_sel_hi:[1,0,1]
	v_dual_mov_b32 v62, v4 :: v_dual_mov_b32 v63, v7
	s_wait_dscnt 0x0
	s_delay_alu instid0(VALU_DEP_2) | instskip(NEXT) | instid1(VALU_DEP_1)
	v_pk_mul_f32 v[12:13], v[8:9], v[6:7] op_sel:[0,1]
	v_pk_fma_f32 v[14:15], v[8:9], v[4:5], v[12:13] op_sel:[0,0,1] op_sel_hi:[1,1,0] neg_lo:[0,0,1] neg_hi:[0,0,1]
	v_pk_fma_f32 v[8:9], v[8:9], v[4:5], v[12:13] op_sel:[0,0,1] op_sel_hi:[1,0,0]
	s_delay_alu instid0(VALU_DEP_1) | instskip(SKIP_1) | instid1(VALU_DEP_1)
	v_mov_b32_e32 v15, v9
	v_pk_mul_f32 v[8:9], v[10:11], v[6:7] op_sel:[0,1]
	v_pk_fma_f32 v[12:13], v[10:11], v[4:5], v[8:9] op_sel:[0,0,1] op_sel_hi:[1,1,0] neg_lo:[0,0,1] neg_hi:[0,0,1]
	v_pk_fma_f32 v[8:9], v[10:11], v[4:5], v[8:9] op_sel:[0,0,1] op_sel_hi:[1,0,0]
	s_delay_alu instid0(VALU_DEP_1)
	v_mov_b32_e32 v13, v9
	ds_load_2addr_b64 v[8:11], v182 offset0:17 offset1:18
	v_pk_add_f32 v[58:59], v[58:59], v[14:15] neg_lo:[0,1] neg_hi:[0,1]
	v_pk_add_f32 v[80:81], v[80:81], v[12:13] neg_lo:[0,1] neg_hi:[0,1]
	s_wait_dscnt 0x0
	v_pk_mul_f32 v[12:13], v[8:9], v[6:7] op_sel:[0,1]
	s_delay_alu instid0(VALU_DEP_1) | instskip(SKIP_2) | instid1(VALU_DEP_2)
	v_pk_fma_f32 v[14:15], v[8:9], v[4:5], v[12:13] op_sel:[0,0,1] op_sel_hi:[1,1,0] neg_lo:[0,0,1] neg_hi:[0,0,1]
	v_pk_fma_f32 v[8:9], v[8:9], v[4:5], v[12:13] op_sel:[0,0,1] op_sel_hi:[1,0,0]
	v_dual_mul_f32 v12, v11, v7 :: v_dual_mov_b32 v8, v11
	v_dual_mov_b32 v15, v9 :: v_dual_mov_b32 v9, v10
	s_delay_alu instid0(VALU_DEP_2) | instskip(SKIP_1) | instid1(VALU_DEP_3)
	v_pk_fma_f32 v[12:13], v[10:11], v[62:63], v[12:13] op_sel_hi:[1,1,0] neg_lo:[0,0,1] neg_hi:[0,0,1]
	v_mul_f32_e32 v10, v11, v4
	v_pk_add_f32 v[76:77], v[76:77], v[14:15] neg_lo:[0,1] neg_hi:[0,1]
	s_delay_alu instid0(VALU_DEP_2) | instskip(NEXT) | instid1(VALU_DEP_1)
	v_pk_fma_f32 v[8:9], v[8:9], v[62:63], v[10:11] op_sel_hi:[1,1,0]
	v_mov_b32_e32 v13, v9
	ds_load_2addr_b64 v[8:11], v182 offset0:19 offset1:20
	v_pk_add_f32 v[78:79], v[78:79], v[12:13] neg_lo:[0,1] neg_hi:[0,1]
	s_wait_dscnt 0x0
	v_pk_mul_f32 v[12:13], v[8:9], v[6:7] op_sel:[0,1]
	s_delay_alu instid0(VALU_DEP_1) | instskip(SKIP_1) | instid1(VALU_DEP_1)
	v_pk_fma_f32 v[14:15], v[8:9], v[4:5], v[12:13] op_sel:[0,0,1] op_sel_hi:[1,1,0] neg_lo:[0,0,1] neg_hi:[0,0,1]
	v_pk_fma_f32 v[8:9], v[8:9], v[4:5], v[12:13] op_sel:[0,0,1] op_sel_hi:[1,0,0]
	v_mov_b32_e32 v15, v9
	v_pk_mul_f32 v[8:9], v[10:11], v[6:7] op_sel:[0,1]
	s_delay_alu instid0(VALU_DEP_1) | instskip(SKIP_1) | instid1(VALU_DEP_1)
	v_pk_fma_f32 v[12:13], v[10:11], v[4:5], v[8:9] op_sel:[0,0,1] op_sel_hi:[1,1,0] neg_lo:[0,0,1] neg_hi:[0,0,1]
	v_pk_fma_f32 v[8:9], v[10:11], v[4:5], v[8:9] op_sel:[0,0,1] op_sel_hi:[1,0,0]
	v_mov_b32_e32 v13, v9
	ds_load_2addr_b64 v[8:11], v182 offset0:21 offset1:22
	v_pk_add_f32 v[74:75], v[74:75], v[14:15] neg_lo:[0,1] neg_hi:[0,1]
	v_pk_add_f32 v[98:99], v[98:99], v[12:13] neg_lo:[0,1] neg_hi:[0,1]
	s_wait_dscnt 0x0
	v_pk_mul_f32 v[12:13], v[8:9], v[6:7] op_sel:[0,1]
	s_delay_alu instid0(VALU_DEP_1) | instskip(SKIP_1) | instid1(VALU_DEP_1)
	v_pk_fma_f32 v[14:15], v[8:9], v[4:5], v[12:13] op_sel:[0,0,1] op_sel_hi:[1,1,0] neg_lo:[0,0,1] neg_hi:[0,0,1]
	v_pk_fma_f32 v[8:9], v[8:9], v[4:5], v[12:13] op_sel:[0,0,1] op_sel_hi:[1,0,0]
	v_mov_b32_e32 v15, v9
	v_pk_mul_f32 v[8:9], v[10:11], v[6:7] op_sel:[0,1]
	s_delay_alu instid0(VALU_DEP_1) | instskip(SKIP_1) | instid1(VALU_DEP_1)
	v_pk_fma_f32 v[12:13], v[10:11], v[4:5], v[8:9] op_sel:[0,0,1] op_sel_hi:[1,1,0] neg_lo:[0,0,1] neg_hi:[0,0,1]
	v_pk_fma_f32 v[8:9], v[10:11], v[4:5], v[8:9] op_sel:[0,0,1] op_sel_hi:[1,0,0]
	v_mov_b32_e32 v13, v9
	ds_load_2addr_b64 v[8:11], v182 offset0:23 offset1:24
	v_pk_add_f32 v[94:95], v[94:95], v[14:15] neg_lo:[0,1] neg_hi:[0,1]
	v_pk_add_f32 v[96:97], v[96:97], v[12:13] neg_lo:[0,1] neg_hi:[0,1]
	s_wait_dscnt 0x0
	v_dual_mul_f32 v12, v9, v7 :: v_dual_mul_f32 v14, v9, v4
	s_delay_alu instid0(VALU_DEP_1) | instskip(NEXT) | instid1(VALU_DEP_2)
	v_pk_fma_f32 v[12:13], v[8:9], v[62:63], v[12:13] op_sel_hi:[1,1,0] neg_lo:[0,0,1] neg_hi:[0,0,1]
	v_pk_fma_f32 v[8:9], v[8:9], v[62:63], v[14:15] op_sel:[1,0,0] op_sel_hi:[0,1,0]
	s_delay_alu instid0(VALU_DEP_1) | instskip(SKIP_1) | instid1(VALU_DEP_2)
	v_mov_b32_e32 v13, v9
	v_pk_mul_f32 v[8:9], v[10:11], v[6:7] op_sel:[0,1]
	v_pk_add_f32 v[92:93], v[92:93], v[12:13] neg_lo:[0,1] neg_hi:[0,1]
	s_delay_alu instid0(VALU_DEP_2) | instskip(SKIP_1) | instid1(VALU_DEP_1)
	v_pk_fma_f32 v[12:13], v[10:11], v[4:5], v[8:9] op_sel:[0,0,1] op_sel_hi:[1,1,0] neg_lo:[0,0,1] neg_hi:[0,0,1]
	v_pk_fma_f32 v[8:9], v[10:11], v[4:5], v[8:9] op_sel:[0,0,1] op_sel_hi:[1,0,0]
	v_mov_b32_e32 v13, v9
	ds_load_2addr_b64 v[8:11], v182 offset0:25 offset1:26
	v_pk_add_f32 v[114:115], v[114:115], v[12:13] neg_lo:[0,1] neg_hi:[0,1]
	s_wait_dscnt 0x0
	v_pk_mul_f32 v[12:13], v[8:9], v[6:7] op_sel:[0,1]
	s_delay_alu instid0(VALU_DEP_1) | instskip(SKIP_1) | instid1(VALU_DEP_1)
	v_pk_fma_f32 v[14:15], v[8:9], v[4:5], v[12:13] op_sel:[0,0,1] op_sel_hi:[1,1,0] neg_lo:[0,0,1] neg_hi:[0,0,1]
	v_pk_fma_f32 v[8:9], v[8:9], v[4:5], v[12:13] op_sel:[0,0,1] op_sel_hi:[1,0,0]
	v_mov_b32_e32 v15, v9
	v_pk_mul_f32 v[8:9], v[10:11], v[6:7] op_sel:[0,1]
	s_delay_alu instid0(VALU_DEP_2) | instskip(NEXT) | instid1(VALU_DEP_2)
	v_pk_add_f32 v[110:111], v[110:111], v[14:15] neg_lo:[0,1] neg_hi:[0,1]
	v_pk_fma_f32 v[12:13], v[10:11], v[4:5], v[8:9] op_sel:[0,0,1] op_sel_hi:[1,1,0] neg_lo:[0,0,1] neg_hi:[0,0,1]
	v_pk_fma_f32 v[8:9], v[10:11], v[4:5], v[8:9] op_sel:[0,0,1] op_sel_hi:[1,0,0]
	s_delay_alu instid0(VALU_DEP_1) | instskip(SKIP_4) | instid1(VALU_DEP_1)
	v_mov_b32_e32 v13, v9
	ds_load_2addr_b64 v[8:11], v182 offset0:27 offset1:28
	v_pk_add_f32 v[112:113], v[112:113], v[12:13] neg_lo:[0,1] neg_hi:[0,1]
	s_wait_dscnt 0x0
	v_pk_mul_f32 v[12:13], v[8:9], v[6:7] op_sel:[0,1]
	v_pk_fma_f32 v[14:15], v[8:9], v[4:5], v[12:13] op_sel:[0,0,1] op_sel_hi:[1,1,0] neg_lo:[0,0,1] neg_hi:[0,0,1]
	v_pk_fma_f32 v[8:9], v[8:9], v[4:5], v[12:13] op_sel:[0,0,1] op_sel_hi:[1,0,0]
	v_dual_mul_f32 v12, v11, v7 :: v_dual_mov_b32 v8, v11
	s_delay_alu instid0(VALU_DEP_2) | instskip(NEXT) | instid1(VALU_DEP_2)
	v_dual_mov_b32 v15, v9 :: v_dual_mov_b32 v9, v10
	v_pk_fma_f32 v[12:13], v[10:11], v[62:63], v[12:13] op_sel_hi:[1,1,0] neg_lo:[0,0,1] neg_hi:[0,0,1]
	v_mul_f32_e32 v10, v11, v4
	s_delay_alu instid0(VALU_DEP_3) | instskip(NEXT) | instid1(VALU_DEP_2)
	v_pk_add_f32 v[108:109], v[108:109], v[14:15] neg_lo:[0,1] neg_hi:[0,1]
	v_pk_fma_f32 v[8:9], v[8:9], v[62:63], v[10:11] op_sel_hi:[1,1,0]
	s_delay_alu instid0(VALU_DEP_1) | instskip(SKIP_4) | instid1(VALU_DEP_1)
	v_mov_b32_e32 v13, v9
	ds_load_2addr_b64 v[8:11], v182 offset0:29 offset1:30
	v_pk_add_f32 v[130:131], v[130:131], v[12:13] neg_lo:[0,1] neg_hi:[0,1]
	s_wait_dscnt 0x0
	v_pk_mul_f32 v[12:13], v[8:9], v[6:7] op_sel:[0,1]
	v_pk_fma_f32 v[14:15], v[8:9], v[4:5], v[12:13] op_sel:[0,0,1] op_sel_hi:[1,1,0] neg_lo:[0,0,1] neg_hi:[0,0,1]
	v_pk_fma_f32 v[8:9], v[8:9], v[4:5], v[12:13] op_sel:[0,0,1] op_sel_hi:[1,0,0]
	s_delay_alu instid0(VALU_DEP_1) | instskip(SKIP_1) | instid1(VALU_DEP_1)
	v_mov_b32_e32 v15, v9
	v_pk_mul_f32 v[8:9], v[10:11], v[6:7] op_sel:[0,1]
	v_pk_fma_f32 v[12:13], v[10:11], v[4:5], v[8:9] op_sel:[0,0,1] op_sel_hi:[1,1,0] neg_lo:[0,0,1] neg_hi:[0,0,1]
	v_pk_fma_f32 v[8:9], v[10:11], v[4:5], v[8:9] op_sel:[0,0,1] op_sel_hi:[1,0,0]
	s_delay_alu instid0(VALU_DEP_1)
	v_mov_b32_e32 v13, v9
	ds_load_2addr_b64 v[8:11], v182 offset0:31 offset1:32
	v_pk_add_f32 v[126:127], v[126:127], v[14:15] neg_lo:[0,1] neg_hi:[0,1]
	v_pk_add_f32 v[128:129], v[128:129], v[12:13] neg_lo:[0,1] neg_hi:[0,1]
	s_wait_dscnt 0x0
	v_pk_mul_f32 v[12:13], v[8:9], v[6:7] op_sel:[0,1]
	s_delay_alu instid0(VALU_DEP_1) | instskip(SKIP_1) | instid1(VALU_DEP_1)
	v_pk_fma_f32 v[14:15], v[8:9], v[4:5], v[12:13] op_sel:[0,0,1] op_sel_hi:[1,1,0] neg_lo:[0,0,1] neg_hi:[0,0,1]
	v_pk_fma_f32 v[8:9], v[8:9], v[4:5], v[12:13] op_sel:[0,0,1] op_sel_hi:[1,0,0]
	v_mov_b32_e32 v15, v9
	v_pk_mul_f32 v[8:9], v[10:11], v[6:7] op_sel:[0,1]
	s_delay_alu instid0(VALU_DEP_1) | instskip(SKIP_1) | instid1(VALU_DEP_1)
	v_pk_fma_f32 v[12:13], v[10:11], v[4:5], v[8:9] op_sel:[0,0,1] op_sel_hi:[1,1,0] neg_lo:[0,0,1] neg_hi:[0,0,1]
	v_pk_fma_f32 v[8:9], v[10:11], v[4:5], v[8:9] op_sel:[0,0,1] op_sel_hi:[1,0,0]
	v_mov_b32_e32 v13, v9
	ds_load_2addr_b64 v[8:11], v182 offset0:33 offset1:34
	v_pk_add_f32 v[124:125], v[124:125], v[14:15] neg_lo:[0,1] neg_hi:[0,1]
	v_pk_add_f32 v[146:147], v[146:147], v[12:13] neg_lo:[0,1] neg_hi:[0,1]
	s_wait_dscnt 0x0
	v_dual_mul_f32 v12, v9, v7 :: v_dual_mul_f32 v14, v9, v4
	s_delay_alu instid0(VALU_DEP_1) | instskip(NEXT) | instid1(VALU_DEP_2)
	v_pk_fma_f32 v[12:13], v[8:9], v[62:63], v[12:13] op_sel_hi:[1,1,0] neg_lo:[0,0,1] neg_hi:[0,0,1]
	v_pk_fma_f32 v[8:9], v[8:9], v[62:63], v[14:15] op_sel:[1,0,0] op_sel_hi:[0,1,0]
	s_delay_alu instid0(VALU_DEP_1) | instskip(SKIP_1) | instid1(VALU_DEP_2)
	v_mov_b32_e32 v13, v9
	v_pk_mul_f32 v[8:9], v[10:11], v[6:7] op_sel:[0,1]
	v_pk_add_f32 v[142:143], v[142:143], v[12:13] neg_lo:[0,1] neg_hi:[0,1]
	s_delay_alu instid0(VALU_DEP_2) | instskip(SKIP_1) | instid1(VALU_DEP_1)
	v_pk_fma_f32 v[12:13], v[10:11], v[4:5], v[8:9] op_sel:[0,0,1] op_sel_hi:[1,1,0] neg_lo:[0,0,1] neg_hi:[0,0,1]
	v_pk_fma_f32 v[8:9], v[10:11], v[4:5], v[8:9] op_sel:[0,0,1] op_sel_hi:[1,0,0]
	v_mov_b32_e32 v13, v9
	ds_load_2addr_b64 v[8:11], v182 offset0:35 offset1:36
	v_pk_add_f32 v[144:145], v[144:145], v[12:13] neg_lo:[0,1] neg_hi:[0,1]
	s_wait_dscnt 0x0
	v_pk_mul_f32 v[12:13], v[8:9], v[6:7] op_sel:[0,1]
	s_delay_alu instid0(VALU_DEP_1) | instskip(SKIP_1) | instid1(VALU_DEP_1)
	v_pk_fma_f32 v[14:15], v[8:9], v[4:5], v[12:13] op_sel:[0,0,1] op_sel_hi:[1,1,0] neg_lo:[0,0,1] neg_hi:[0,0,1]
	v_pk_fma_f32 v[8:9], v[8:9], v[4:5], v[12:13] op_sel:[0,0,1] op_sel_hi:[1,0,0]
	v_mov_b32_e32 v15, v9
	v_pk_mul_f32 v[8:9], v[10:11], v[6:7] op_sel:[0,1]
	s_delay_alu instid0(VALU_DEP_2) | instskip(NEXT) | instid1(VALU_DEP_2)
	v_pk_add_f32 v[140:141], v[140:141], v[14:15] neg_lo:[0,1] neg_hi:[0,1]
	v_pk_fma_f32 v[12:13], v[10:11], v[4:5], v[8:9] op_sel:[0,0,1] op_sel_hi:[1,1,0] neg_lo:[0,0,1] neg_hi:[0,0,1]
	v_pk_fma_f32 v[8:9], v[10:11], v[4:5], v[8:9] op_sel:[0,0,1] op_sel_hi:[1,0,0]
	s_delay_alu instid0(VALU_DEP_1) | instskip(SKIP_4) | instid1(VALU_DEP_1)
	v_mov_b32_e32 v13, v9
	ds_load_2addr_b64 v[8:11], v182 offset0:37 offset1:38
	v_pk_add_f32 v[162:163], v[162:163], v[12:13] neg_lo:[0,1] neg_hi:[0,1]
	s_wait_dscnt 0x0
	v_pk_mul_f32 v[12:13], v[8:9], v[6:7] op_sel:[0,1]
	v_pk_fma_f32 v[14:15], v[8:9], v[4:5], v[12:13] op_sel:[0,0,1] op_sel_hi:[1,1,0] neg_lo:[0,0,1] neg_hi:[0,0,1]
	v_pk_fma_f32 v[8:9], v[8:9], v[4:5], v[12:13] op_sel:[0,0,1] op_sel_hi:[1,0,0]
	v_dual_mul_f32 v12, v11, v7 :: v_dual_mov_b32 v8, v11
	s_delay_alu instid0(VALU_DEP_2) | instskip(NEXT) | instid1(VALU_DEP_2)
	v_dual_mov_b32 v15, v9 :: v_dual_mov_b32 v9, v10
	v_pk_fma_f32 v[12:13], v[10:11], v[62:63], v[12:13] op_sel_hi:[1,1,0] neg_lo:[0,0,1] neg_hi:[0,0,1]
	v_mul_f32_e32 v10, v11, v4
	s_delay_alu instid0(VALU_DEP_3) | instskip(NEXT) | instid1(VALU_DEP_2)
	v_pk_add_f32 v[158:159], v[158:159], v[14:15] neg_lo:[0,1] neg_hi:[0,1]
	v_pk_fma_f32 v[8:9], v[8:9], v[62:63], v[10:11] op_sel_hi:[1,1,0]
	s_delay_alu instid0(VALU_DEP_1) | instskip(SKIP_4) | instid1(VALU_DEP_1)
	v_mov_b32_e32 v13, v9
	ds_load_2addr_b64 v[8:11], v182 offset0:39 offset1:40
	v_pk_add_f32 v[160:161], v[160:161], v[12:13] neg_lo:[0,1] neg_hi:[0,1]
	s_wait_dscnt 0x0
	v_pk_mul_f32 v[12:13], v[8:9], v[6:7] op_sel:[0,1]
	v_pk_fma_f32 v[14:15], v[8:9], v[4:5], v[12:13] op_sel:[0,0,1] op_sel_hi:[1,1,0] neg_lo:[0,0,1] neg_hi:[0,0,1]
	v_pk_fma_f32 v[8:9], v[8:9], v[4:5], v[12:13] op_sel:[0,0,1] op_sel_hi:[1,0,0]
	s_delay_alu instid0(VALU_DEP_1) | instskip(SKIP_1) | instid1(VALU_DEP_1)
	v_mov_b32_e32 v15, v9
	v_pk_mul_f32 v[8:9], v[10:11], v[6:7] op_sel:[0,1]
	v_pk_fma_f32 v[12:13], v[10:11], v[4:5], v[8:9] op_sel:[0,0,1] op_sel_hi:[1,1,0] neg_lo:[0,0,1] neg_hi:[0,0,1]
	v_pk_fma_f32 v[8:9], v[10:11], v[4:5], v[8:9] op_sel:[0,0,1] op_sel_hi:[1,0,0]
	s_delay_alu instid0(VALU_DEP_1)
	v_mov_b32_e32 v13, v9
	ds_load_2addr_b64 v[8:11], v182 offset0:41 offset1:42
	v_pk_add_f32 v[156:157], v[156:157], v[14:15] neg_lo:[0,1] neg_hi:[0,1]
	v_pk_add_f32 v[178:179], v[178:179], v[12:13] neg_lo:[0,1] neg_hi:[0,1]
	s_wait_dscnt 0x0
	v_pk_mul_f32 v[12:13], v[8:9], v[6:7] op_sel:[0,1]
	s_delay_alu instid0(VALU_DEP_1) | instskip(SKIP_1) | instid1(VALU_DEP_1)
	v_pk_fma_f32 v[14:15], v[8:9], v[4:5], v[12:13] op_sel:[0,0,1] op_sel_hi:[1,1,0] neg_lo:[0,0,1] neg_hi:[0,0,1]
	v_pk_fma_f32 v[8:9], v[8:9], v[4:5], v[12:13] op_sel:[0,0,1] op_sel_hi:[1,0,0]
	v_mov_b32_e32 v15, v9
	v_pk_mul_f32 v[8:9], v[10:11], v[6:7] op_sel:[0,1]
	s_delay_alu instid0(VALU_DEP_1) | instskip(SKIP_1) | instid1(VALU_DEP_1)
	v_pk_fma_f32 v[12:13], v[10:11], v[4:5], v[8:9] op_sel:[0,0,1] op_sel_hi:[1,1,0] neg_lo:[0,0,1] neg_hi:[0,0,1]
	v_pk_fma_f32 v[8:9], v[10:11], v[4:5], v[8:9] op_sel:[0,0,1] op_sel_hi:[1,0,0]
	v_mov_b32_e32 v13, v9
	ds_load_2addr_b64 v[8:11], v182 offset0:43 offset1:44
	v_pk_add_f32 v[174:175], v[174:175], v[14:15] neg_lo:[0,1] neg_hi:[0,1]
	v_pk_add_f32 v[176:177], v[176:177], v[12:13] neg_lo:[0,1] neg_hi:[0,1]
	s_wait_dscnt 0x0
	v_dual_mul_f32 v12, v9, v7 :: v_dual_mul_f32 v14, v9, v4
	s_delay_alu instid0(VALU_DEP_1) | instskip(NEXT) | instid1(VALU_DEP_2)
	v_pk_fma_f32 v[12:13], v[8:9], v[62:63], v[12:13] op_sel_hi:[1,1,0] neg_lo:[0,0,1] neg_hi:[0,0,1]
	v_pk_fma_f32 v[8:9], v[8:9], v[62:63], v[14:15] op_sel:[1,0,0] op_sel_hi:[0,1,0]
	s_delay_alu instid0(VALU_DEP_1) | instskip(SKIP_1) | instid1(VALU_DEP_2)
	v_mov_b32_e32 v13, v9
	v_pk_mul_f32 v[8:9], v[10:11], v[6:7] op_sel:[0,1]
	v_pk_add_f32 v[172:173], v[172:173], v[12:13] neg_lo:[0,1] neg_hi:[0,1]
	s_delay_alu instid0(VALU_DEP_2) | instskip(SKIP_1) | instid1(VALU_DEP_1)
	v_pk_fma_f32 v[12:13], v[10:11], v[4:5], v[8:9] op_sel:[0,0,1] op_sel_hi:[1,1,0] neg_lo:[0,0,1] neg_hi:[0,0,1]
	v_pk_fma_f32 v[8:9], v[10:11], v[4:5], v[8:9] op_sel:[0,0,1] op_sel_hi:[1,0,0]
	v_mov_b32_e32 v13, v9
	ds_load_2addr_b64 v[8:11], v182 offset0:45 offset1:46
	v_pk_add_f32 v[200:201], v[200:201], v[12:13] neg_lo:[0,1] neg_hi:[0,1]
	s_wait_dscnt 0x0
	v_pk_mul_f32 v[12:13], v[8:9], v[6:7] op_sel:[0,1]
	s_delay_alu instid0(VALU_DEP_1) | instskip(SKIP_1) | instid1(VALU_DEP_1)
	v_pk_fma_f32 v[14:15], v[8:9], v[4:5], v[12:13] op_sel:[0,0,1] op_sel_hi:[1,1,0] neg_lo:[0,0,1] neg_hi:[0,0,1]
	v_pk_fma_f32 v[8:9], v[8:9], v[4:5], v[12:13] op_sel:[0,0,1] op_sel_hi:[1,0,0]
	v_mov_b32_e32 v15, v9
	v_pk_mul_f32 v[8:9], v[10:11], v[6:7] op_sel:[0,1]
	s_delay_alu instid0(VALU_DEP_2) | instskip(NEXT) | instid1(VALU_DEP_2)
	v_pk_add_f32 v[196:197], v[196:197], v[14:15] neg_lo:[0,1] neg_hi:[0,1]
	v_pk_fma_f32 v[12:13], v[10:11], v[4:5], v[8:9] op_sel:[0,0,1] op_sel_hi:[1,1,0] neg_lo:[0,0,1] neg_hi:[0,0,1]
	v_pk_fma_f32 v[8:9], v[10:11], v[4:5], v[8:9] op_sel:[0,0,1] op_sel_hi:[1,0,0]
	s_delay_alu instid0(VALU_DEP_1) | instskip(SKIP_4) | instid1(VALU_DEP_1)
	v_mov_b32_e32 v13, v9
	ds_load_2addr_b64 v[8:11], v182 offset0:47 offset1:48
	v_pk_add_f32 v[198:199], v[198:199], v[12:13] neg_lo:[0,1] neg_hi:[0,1]
	s_wait_dscnt 0x0
	v_pk_mul_f32 v[12:13], v[8:9], v[6:7] op_sel:[0,1]
	v_pk_fma_f32 v[14:15], v[8:9], v[4:5], v[12:13] op_sel:[0,0,1] op_sel_hi:[1,1,0] neg_lo:[0,0,1] neg_hi:[0,0,1]
	v_pk_fma_f32 v[8:9], v[8:9], v[4:5], v[12:13] op_sel:[0,0,1] op_sel_hi:[1,0,0]
	v_dual_mul_f32 v12, v11, v7 :: v_dual_mov_b32 v8, v11
	s_delay_alu instid0(VALU_DEP_2) | instskip(NEXT) | instid1(VALU_DEP_2)
	v_dual_mov_b32 v15, v9 :: v_dual_mov_b32 v9, v10
	v_pk_fma_f32 v[12:13], v[10:11], v[62:63], v[12:13] op_sel_hi:[1,1,0] neg_lo:[0,0,1] neg_hi:[0,0,1]
	v_mul_f32_e32 v10, v11, v4
	s_delay_alu instid0(VALU_DEP_3) | instskip(NEXT) | instid1(VALU_DEP_2)
	v_pk_add_f32 v[194:195], v[194:195], v[14:15] neg_lo:[0,1] neg_hi:[0,1]
	v_pk_fma_f32 v[8:9], v[8:9], v[62:63], v[10:11] op_sel_hi:[1,1,0]
	s_delay_alu instid0(VALU_DEP_1) | instskip(SKIP_4) | instid1(VALU_DEP_1)
	v_mov_b32_e32 v13, v9
	ds_load_2addr_b64 v[8:11], v182 offset0:49 offset1:50
	v_pk_add_f32 v[224:225], v[224:225], v[12:13] neg_lo:[0,1] neg_hi:[0,1]
	s_wait_dscnt 0x0
	v_pk_mul_f32 v[12:13], v[8:9], v[6:7] op_sel:[0,1]
	v_pk_fma_f32 v[14:15], v[8:9], v[4:5], v[12:13] op_sel:[0,0,1] op_sel_hi:[1,1,0] neg_lo:[0,0,1] neg_hi:[0,0,1]
	v_pk_fma_f32 v[8:9], v[8:9], v[4:5], v[12:13] op_sel:[0,0,1] op_sel_hi:[1,0,0]
	s_delay_alu instid0(VALU_DEP_1) | instskip(SKIP_1) | instid1(VALU_DEP_1)
	v_mov_b32_e32 v15, v9
	v_pk_mul_f32 v[8:9], v[10:11], v[6:7] op_sel:[0,1]
	v_pk_fma_f32 v[12:13], v[10:11], v[4:5], v[8:9] op_sel:[0,0,1] op_sel_hi:[1,1,0] neg_lo:[0,0,1] neg_hi:[0,0,1]
	v_pk_fma_f32 v[8:9], v[10:11], v[4:5], v[8:9] op_sel:[0,0,1] op_sel_hi:[1,0,0]
	s_delay_alu instid0(VALU_DEP_1)
	v_mov_b32_e32 v13, v9
	ds_load_2addr_b64 v[8:11], v182 offset0:51 offset1:52
	v_pk_add_f32 v[216:217], v[216:217], v[14:15] neg_lo:[0,1] neg_hi:[0,1]
	v_pk_add_f32 v[222:223], v[222:223], v[12:13] neg_lo:[0,1] neg_hi:[0,1]
	s_wait_dscnt 0x0
	v_pk_mul_f32 v[12:13], v[8:9], v[6:7] op_sel:[0,1]
	s_delay_alu instid0(VALU_DEP_1) | instskip(SKIP_1) | instid1(VALU_DEP_1)
	v_pk_fma_f32 v[14:15], v[8:9], v[4:5], v[12:13] op_sel:[0,0,1] op_sel_hi:[1,1,0] neg_lo:[0,0,1] neg_hi:[0,0,1]
	v_pk_fma_f32 v[8:9], v[8:9], v[4:5], v[12:13] op_sel:[0,0,1] op_sel_hi:[1,0,0]
	v_mov_b32_e32 v15, v9
	v_pk_mul_f32 v[8:9], v[10:11], v[6:7] op_sel:[0,1]
	s_delay_alu instid0(VALU_DEP_1) | instskip(SKIP_1) | instid1(VALU_DEP_1)
	v_pk_fma_f32 v[12:13], v[10:11], v[4:5], v[8:9] op_sel:[0,0,1] op_sel_hi:[1,1,0] neg_lo:[0,0,1] neg_hi:[0,0,1]
	v_pk_fma_f32 v[8:9], v[10:11], v[4:5], v[8:9] op_sel:[0,0,1] op_sel_hi:[1,0,0]
	v_mov_b32_e32 v13, v9
	ds_load_2addr_b64 v[8:11], v182 offset0:53 offset1:54
	v_pk_add_f32 v[214:215], v[214:215], v[14:15] neg_lo:[0,1] neg_hi:[0,1]
	v_pk_add_f32 v[220:221], v[220:221], v[12:13] neg_lo:[0,1] neg_hi:[0,1]
	s_wait_dscnt 0x0
	v_dual_mul_f32 v12, v9, v7 :: v_dual_mul_f32 v14, v9, v4
	s_delay_alu instid0(VALU_DEP_1) | instskip(NEXT) | instid1(VALU_DEP_2)
	v_pk_fma_f32 v[12:13], v[8:9], v[62:63], v[12:13] op_sel_hi:[1,1,0] neg_lo:[0,0,1] neg_hi:[0,0,1]
	v_pk_fma_f32 v[8:9], v[8:9], v[62:63], v[14:15] op_sel:[1,0,0] op_sel_hi:[0,1,0]
	s_delay_alu instid0(VALU_DEP_1) | instskip(SKIP_1) | instid1(VALU_DEP_2)
	v_mov_b32_e32 v13, v9
	v_pk_mul_f32 v[8:9], v[10:11], v[6:7] op_sel:[0,1]
	v_pk_add_f32 v[212:213], v[212:213], v[12:13] neg_lo:[0,1] neg_hi:[0,1]
	s_delay_alu instid0(VALU_DEP_2) | instskip(SKIP_1) | instid1(VALU_DEP_1)
	v_pk_fma_f32 v[12:13], v[10:11], v[4:5], v[8:9] op_sel:[0,0,1] op_sel_hi:[1,1,0] neg_lo:[0,0,1] neg_hi:[0,0,1]
	v_pk_fma_f32 v[8:9], v[10:11], v[4:5], v[8:9] op_sel:[0,0,1] op_sel_hi:[1,0,0]
	v_mov_b32_e32 v13, v9
	ds_load_2addr_b64 v[8:11], v182 offset0:55 offset1:56
	v_pk_add_f32 v[218:219], v[218:219], v[12:13] neg_lo:[0,1] neg_hi:[0,1]
	s_wait_dscnt 0x0
	v_pk_mul_f32 v[12:13], v[8:9], v[6:7] op_sel:[0,1]
	v_mul_f32_e32 v6, v11, v7
	s_delay_alu instid0(VALU_DEP_2) | instskip(SKIP_2) | instid1(VALU_DEP_4)
	v_pk_fma_f32 v[14:15], v[8:9], v[4:5], v[12:13] op_sel:[0,0,1] op_sel_hi:[1,1,0] neg_lo:[0,0,1] neg_hi:[0,0,1]
	v_pk_fma_f32 v[8:9], v[8:9], v[4:5], v[12:13] op_sel:[0,0,1] op_sel_hi:[1,0,0]
	v_dual_mov_b32 v8, v11 :: v_dual_mul_f32 v4, v11, v4
	v_pk_fma_f32 v[6:7], v[10:11], v[62:63], v[6:7] op_sel_hi:[1,1,0] neg_lo:[0,0,1] neg_hi:[0,0,1]
	s_delay_alu instid0(VALU_DEP_3) | instskip(NEXT) | instid1(VALU_DEP_1)
	v_dual_mov_b32 v15, v9 :: v_dual_mov_b32 v9, v10
	v_pk_add_f32 v[226:227], v[226:227], v[14:15] neg_lo:[0,1] neg_hi:[0,1]
	s_delay_alu instid0(VALU_DEP_2) | instskip(NEXT) | instid1(VALU_DEP_1)
	v_pk_fma_f32 v[4:5], v[8:9], v[62:63], v[4:5] op_sel_hi:[1,1,0]
	v_mov_b32_e32 v7, v5
	s_delay_alu instid0(VALU_DEP_1)
	v_pk_add_f32 v[228:229], v[228:229], v[6:7] neg_lo:[0,1] neg_hi:[0,1]
.LBB113_136:
	s_or_b32 exec_lo, exec_lo, s1
	s_delay_alu instid0(SALU_CYCLE_1)
	s_mov_b32 s2, exec_lo
	s_wait_dscnt 0x0
	s_barrier_signal -1
	s_barrier_wait -1
	v_cmpx_eq_u32_e32 15, v180
	s_cbranch_execz .LBB113_143
; %bb.137:
	v_dual_mov_b32 v4, v80 :: v_dual_mov_b32 v5, v81
	v_dual_mov_b32 v6, v76 :: v_dual_mov_b32 v7, v77
	ds_store_b64 v181, v[58:59]
	ds_store_2addr_b64 v182, v[4:5], v[6:7] offset0:16 offset1:17
	v_dual_mov_b32 v4, v78 :: v_dual_mov_b32 v5, v79
	v_dual_mov_b32 v6, v74 :: v_dual_mov_b32 v7, v75
	ds_store_2addr_b64 v182, v[4:5], v[6:7] offset0:18 offset1:19
	v_dual_mov_b32 v4, v98 :: v_dual_mov_b32 v5, v99
	v_dual_mov_b32 v6, v94 :: v_dual_mov_b32 v7, v95
	;; [unrolled: 3-line block ×19, first 2 shown]
	ds_store_2addr_b64 v182, v[4:5], v[6:7] offset0:54 offset1:55
	ds_store_b64 v182, v[228:229] offset:448
	ds_load_b64 v[4:5], v181
	s_wait_dscnt 0x0
	v_cmp_neq_f32_e32 vcc_lo, 0, v4
	v_cmp_neq_f32_e64 s1, 0, v5
	s_or_b32 s1, vcc_lo, s1
	s_delay_alu instid0(SALU_CYCLE_1)
	s_and_b32 exec_lo, exec_lo, s1
	s_cbranch_execz .LBB113_143
; %bb.138:
	v_cmp_ngt_f32_e64 s1, |v4|, |v5|
                                        ; implicit-def: $vgpr6_vgpr7
	s_and_saveexec_b32 s4, s1
	s_delay_alu instid0(SALU_CYCLE_1)
	s_xor_b32 s1, exec_lo, s4
	s_cbranch_execz .LBB113_140
; %bb.139:
	v_div_scale_f32 v6, null, v5, v5, v4
	v_div_scale_f32 v9, vcc_lo, v4, v5, v4
	s_delay_alu instid0(VALU_DEP_2) | instskip(SKIP_1) | instid1(TRANS32_DEP_1)
	v_rcp_f32_e32 v7, v6
	v_nop
	v_fma_f32 v8, -v6, v7, 1.0
	s_delay_alu instid0(VALU_DEP_1) | instskip(NEXT) | instid1(VALU_DEP_1)
	v_fmac_f32_e32 v7, v8, v7
	v_mul_f32_e32 v8, v9, v7
	s_delay_alu instid0(VALU_DEP_1) | instskip(NEXT) | instid1(VALU_DEP_1)
	v_fma_f32 v10, -v6, v8, v9
	v_fmac_f32_e32 v8, v10, v7
	s_delay_alu instid0(VALU_DEP_1) | instskip(NEXT) | instid1(VALU_DEP_1)
	v_fma_f32 v6, -v6, v8, v9
	v_div_fmas_f32 v6, v6, v7, v8
	s_delay_alu instid0(VALU_DEP_1) | instskip(NEXT) | instid1(VALU_DEP_1)
	v_div_fixup_f32 v6, v6, v5, v4
	v_fmac_f32_e32 v5, v4, v6
	s_delay_alu instid0(VALU_DEP_1) | instskip(SKIP_1) | instid1(VALU_DEP_2)
	v_div_scale_f32 v4, null, v5, v5, 1.0
	v_div_scale_f32 v9, vcc_lo, 1.0, v5, 1.0
	v_rcp_f32_e32 v7, v4
	v_nop
	s_delay_alu instid0(TRANS32_DEP_1) | instskip(NEXT) | instid1(VALU_DEP_1)
	v_fma_f32 v8, -v4, v7, 1.0
	v_fmac_f32_e32 v7, v8, v7
	s_delay_alu instid0(VALU_DEP_1) | instskip(NEXT) | instid1(VALU_DEP_1)
	v_mul_f32_e32 v8, v9, v7
	v_fma_f32 v10, -v4, v8, v9
	s_delay_alu instid0(VALU_DEP_1) | instskip(NEXT) | instid1(VALU_DEP_1)
	v_fmac_f32_e32 v8, v10, v7
	v_fma_f32 v4, -v4, v8, v9
	s_delay_alu instid0(VALU_DEP_1) | instskip(NEXT) | instid1(VALU_DEP_1)
	v_div_fmas_f32 v4, v4, v7, v8
	v_div_fixup_f32 v4, v4, v5, 1.0
	s_delay_alu instid0(VALU_DEP_1)
	v_mul_f32_e32 v6, v6, v4
	v_xor_b32_e32 v7, 0x80000000, v4
                                        ; implicit-def: $vgpr4_vgpr5
.LBB113_140:
	s_and_not1_saveexec_b32 s1, s1
	s_cbranch_execz .LBB113_142
; %bb.141:
	v_div_scale_f32 v6, null, v4, v4, v5
	v_div_scale_f32 v9, vcc_lo, v5, v4, v5
	s_delay_alu instid0(VALU_DEP_2) | instskip(SKIP_1) | instid1(TRANS32_DEP_1)
	v_rcp_f32_e32 v7, v6
	v_nop
	v_fma_f32 v8, -v6, v7, 1.0
	s_delay_alu instid0(VALU_DEP_1) | instskip(NEXT) | instid1(VALU_DEP_1)
	v_fmac_f32_e32 v7, v8, v7
	v_mul_f32_e32 v8, v9, v7
	s_delay_alu instid0(VALU_DEP_1) | instskip(NEXT) | instid1(VALU_DEP_1)
	v_fma_f32 v10, -v6, v8, v9
	v_fmac_f32_e32 v8, v10, v7
	s_delay_alu instid0(VALU_DEP_1) | instskip(NEXT) | instid1(VALU_DEP_1)
	v_fma_f32 v6, -v6, v8, v9
	v_div_fmas_f32 v6, v6, v7, v8
	s_delay_alu instid0(VALU_DEP_1) | instskip(NEXT) | instid1(VALU_DEP_1)
	v_div_fixup_f32 v7, v6, v4, v5
	v_fmac_f32_e32 v4, v5, v7
	s_delay_alu instid0(VALU_DEP_1) | instskip(NEXT) | instid1(VALU_DEP_1)
	v_div_scale_f32 v5, null, v4, v4, 1.0
	v_rcp_f32_e32 v6, v5
	v_nop
	s_delay_alu instid0(TRANS32_DEP_1) | instskip(NEXT) | instid1(VALU_DEP_1)
	v_fma_f32 v8, -v5, v6, 1.0
	v_fmac_f32_e32 v6, v8, v6
	v_div_scale_f32 v8, vcc_lo, 1.0, v4, 1.0
	s_delay_alu instid0(VALU_DEP_1) | instskip(NEXT) | instid1(VALU_DEP_1)
	v_mul_f32_e32 v9, v8, v6
	v_fma_f32 v10, -v5, v9, v8
	s_delay_alu instid0(VALU_DEP_1) | instskip(NEXT) | instid1(VALU_DEP_1)
	v_fmac_f32_e32 v9, v10, v6
	v_fma_f32 v5, -v5, v9, v8
	s_delay_alu instid0(VALU_DEP_1) | instskip(NEXT) | instid1(VALU_DEP_1)
	v_div_fmas_f32 v5, v5, v6, v9
	v_div_fixup_f32 v6, v5, v4, 1.0
	s_delay_alu instid0(VALU_DEP_1)
	v_mul_f32_e64 v7, v7, -v6
.LBB113_142:
	s_or_b32 exec_lo, exec_lo, s1
	ds_store_b64 v181, v[6:7]
.LBB113_143:
	s_or_b32 exec_lo, exec_lo, s2
	s_wait_dscnt 0x0
	s_barrier_signal -1
	s_barrier_wait -1
	ds_load_b64 v[4:5], v181
	s_mov_b32 s1, exec_lo
	v_cmpx_lt_u32_e32 15, v180
	s_cbranch_execz .LBB113_145
; %bb.144:
	ds_load_2addr_b64 v[10:13], v182 offset0:16 offset1:17
	s_wait_dscnt 0x1
	v_pk_mul_f32 v[8:9], v[4:5], v[58:59] op_sel:[1,1] op_sel_hi:[0,1]
	s_delay_alu instid0(VALU_DEP_1) | instskip(SKIP_1) | instid1(VALU_DEP_1)
	v_pk_fma_f32 v[6:7], v[4:5], v[58:59], v[8:9] op_sel_hi:[1,0,1] neg_lo:[0,0,1] neg_hi:[0,0,1]
	v_pk_fma_f32 v[8:9], v[4:5], v[58:59], v[8:9] op_sel_hi:[1,0,1]
	v_dual_mov_b32 v58, v6 :: v_dual_mov_b32 v59, v9
	s_wait_dscnt 0x0
	s_delay_alu instid0(VALU_DEP_2) | instskip(NEXT) | instid1(VALU_DEP_1)
	v_pk_mul_f32 v[14:15], v[10:11], v[8:9] op_sel:[0,1]
	v_pk_fma_f32 v[18:19], v[10:11], v[6:7], v[14:15] op_sel:[0,0,1] op_sel_hi:[1,1,0] neg_lo:[0,0,1] neg_hi:[0,0,1]
	v_pk_fma_f32 v[10:11], v[10:11], v[6:7], v[14:15] op_sel:[0,0,1] op_sel_hi:[1,0,0]
	s_delay_alu instid0(VALU_DEP_1) | instskip(SKIP_1) | instid1(VALU_DEP_1)
	v_mov_b32_e32 v19, v11
	v_pk_mul_f32 v[10:11], v[12:13], v[8:9] op_sel:[0,1]
	v_pk_fma_f32 v[14:15], v[12:13], v[6:7], v[10:11] op_sel:[0,0,1] op_sel_hi:[1,1,0] neg_lo:[0,0,1] neg_hi:[0,0,1]
	v_pk_fma_f32 v[10:11], v[12:13], v[6:7], v[10:11] op_sel:[0,0,1] op_sel_hi:[1,0,0]
	s_delay_alu instid0(VALU_DEP_1)
	v_mov_b32_e32 v15, v11
	ds_load_2addr_b64 v[10:13], v182 offset0:18 offset1:19
	v_pk_add_f32 v[80:81], v[80:81], v[18:19] neg_lo:[0,1] neg_hi:[0,1]
	v_pk_add_f32 v[76:77], v[76:77], v[14:15] neg_lo:[0,1] neg_hi:[0,1]
	s_wait_dscnt 0x0
	v_pk_mul_f32 v[14:15], v[10:11], v[8:9] op_sel:[0,1]
	s_delay_alu instid0(VALU_DEP_1) | instskip(SKIP_2) | instid1(VALU_DEP_2)
	v_pk_fma_f32 v[18:19], v[10:11], v[6:7], v[14:15] op_sel:[0,0,1] op_sel_hi:[1,1,0] neg_lo:[0,0,1] neg_hi:[0,0,1]
	v_pk_fma_f32 v[10:11], v[10:11], v[6:7], v[14:15] op_sel:[0,0,1] op_sel_hi:[1,0,0]
	v_dual_mul_f32 v14, v13, v9 :: v_dual_mov_b32 v10, v13
	v_dual_mov_b32 v19, v11 :: v_dual_mov_b32 v11, v12
	s_delay_alu instid0(VALU_DEP_2) | instskip(SKIP_1) | instid1(VALU_DEP_3)
	v_pk_fma_f32 v[14:15], v[12:13], v[58:59], v[14:15] op_sel_hi:[1,1,0] neg_lo:[0,0,1] neg_hi:[0,0,1]
	v_mul_f32_e32 v12, v13, v6
	v_pk_add_f32 v[78:79], v[78:79], v[18:19] neg_lo:[0,1] neg_hi:[0,1]
	s_delay_alu instid0(VALU_DEP_2) | instskip(NEXT) | instid1(VALU_DEP_1)
	v_pk_fma_f32 v[10:11], v[10:11], v[58:59], v[12:13] op_sel_hi:[1,1,0]
	v_mov_b32_e32 v15, v11
	ds_load_2addr_b64 v[10:13], v182 offset0:20 offset1:21
	v_pk_add_f32 v[74:75], v[74:75], v[14:15] neg_lo:[0,1] neg_hi:[0,1]
	s_wait_dscnt 0x0
	v_pk_mul_f32 v[14:15], v[10:11], v[8:9] op_sel:[0,1]
	s_delay_alu instid0(VALU_DEP_1) | instskip(SKIP_1) | instid1(VALU_DEP_1)
	v_pk_fma_f32 v[18:19], v[10:11], v[6:7], v[14:15] op_sel:[0,0,1] op_sel_hi:[1,1,0] neg_lo:[0,0,1] neg_hi:[0,0,1]
	v_pk_fma_f32 v[10:11], v[10:11], v[6:7], v[14:15] op_sel:[0,0,1] op_sel_hi:[1,0,0]
	v_mov_b32_e32 v19, v11
	v_pk_mul_f32 v[10:11], v[12:13], v[8:9] op_sel:[0,1]
	s_delay_alu instid0(VALU_DEP_1) | instskip(SKIP_1) | instid1(VALU_DEP_1)
	v_pk_fma_f32 v[14:15], v[12:13], v[6:7], v[10:11] op_sel:[0,0,1] op_sel_hi:[1,1,0] neg_lo:[0,0,1] neg_hi:[0,0,1]
	v_pk_fma_f32 v[10:11], v[12:13], v[6:7], v[10:11] op_sel:[0,0,1] op_sel_hi:[1,0,0]
	v_mov_b32_e32 v15, v11
	ds_load_2addr_b64 v[10:13], v182 offset0:22 offset1:23
	v_pk_add_f32 v[98:99], v[98:99], v[18:19] neg_lo:[0,1] neg_hi:[0,1]
	v_pk_add_f32 v[94:95], v[94:95], v[14:15] neg_lo:[0,1] neg_hi:[0,1]
	s_wait_dscnt 0x0
	v_pk_mul_f32 v[14:15], v[10:11], v[8:9] op_sel:[0,1]
	s_delay_alu instid0(VALU_DEP_1) | instskip(SKIP_1) | instid1(VALU_DEP_1)
	v_pk_fma_f32 v[18:19], v[10:11], v[6:7], v[14:15] op_sel:[0,0,1] op_sel_hi:[1,1,0] neg_lo:[0,0,1] neg_hi:[0,0,1]
	v_pk_fma_f32 v[10:11], v[10:11], v[6:7], v[14:15] op_sel:[0,0,1] op_sel_hi:[1,0,0]
	v_mov_b32_e32 v19, v11
	v_pk_mul_f32 v[10:11], v[12:13], v[8:9] op_sel:[0,1]
	s_delay_alu instid0(VALU_DEP_1) | instskip(SKIP_1) | instid1(VALU_DEP_1)
	v_pk_fma_f32 v[14:15], v[12:13], v[6:7], v[10:11] op_sel:[0,0,1] op_sel_hi:[1,1,0] neg_lo:[0,0,1] neg_hi:[0,0,1]
	v_pk_fma_f32 v[10:11], v[12:13], v[6:7], v[10:11] op_sel:[0,0,1] op_sel_hi:[1,0,0]
	v_mov_b32_e32 v15, v11
	ds_load_2addr_b64 v[10:13], v182 offset0:24 offset1:25
	v_pk_add_f32 v[96:97], v[96:97], v[18:19] neg_lo:[0,1] neg_hi:[0,1]
	v_pk_add_f32 v[92:93], v[92:93], v[14:15] neg_lo:[0,1] neg_hi:[0,1]
	s_wait_dscnt 0x0
	v_dual_mul_f32 v14, v11, v9 :: v_dual_mul_f32 v18, v11, v6
	s_delay_alu instid0(VALU_DEP_1) | instskip(NEXT) | instid1(VALU_DEP_2)
	v_pk_fma_f32 v[14:15], v[10:11], v[58:59], v[14:15] op_sel_hi:[1,1,0] neg_lo:[0,0,1] neg_hi:[0,0,1]
	v_pk_fma_f32 v[10:11], v[10:11], v[58:59], v[18:19] op_sel:[1,0,0] op_sel_hi:[0,1,0]
	s_delay_alu instid0(VALU_DEP_1) | instskip(SKIP_1) | instid1(VALU_DEP_2)
	v_mov_b32_e32 v15, v11
	v_pk_mul_f32 v[10:11], v[12:13], v[8:9] op_sel:[0,1]
	v_pk_add_f32 v[114:115], v[114:115], v[14:15] neg_lo:[0,1] neg_hi:[0,1]
	s_delay_alu instid0(VALU_DEP_2) | instskip(SKIP_1) | instid1(VALU_DEP_1)
	v_pk_fma_f32 v[14:15], v[12:13], v[6:7], v[10:11] op_sel:[0,0,1] op_sel_hi:[1,1,0] neg_lo:[0,0,1] neg_hi:[0,0,1]
	v_pk_fma_f32 v[10:11], v[12:13], v[6:7], v[10:11] op_sel:[0,0,1] op_sel_hi:[1,0,0]
	v_mov_b32_e32 v15, v11
	ds_load_2addr_b64 v[10:13], v182 offset0:26 offset1:27
	v_pk_add_f32 v[110:111], v[110:111], v[14:15] neg_lo:[0,1] neg_hi:[0,1]
	s_wait_dscnt 0x0
	v_pk_mul_f32 v[14:15], v[10:11], v[8:9] op_sel:[0,1]
	s_delay_alu instid0(VALU_DEP_1) | instskip(SKIP_1) | instid1(VALU_DEP_1)
	v_pk_fma_f32 v[18:19], v[10:11], v[6:7], v[14:15] op_sel:[0,0,1] op_sel_hi:[1,1,0] neg_lo:[0,0,1] neg_hi:[0,0,1]
	v_pk_fma_f32 v[10:11], v[10:11], v[6:7], v[14:15] op_sel:[0,0,1] op_sel_hi:[1,0,0]
	v_mov_b32_e32 v19, v11
	v_pk_mul_f32 v[10:11], v[12:13], v[8:9] op_sel:[0,1]
	s_delay_alu instid0(VALU_DEP_2) | instskip(NEXT) | instid1(VALU_DEP_2)
	v_pk_add_f32 v[112:113], v[112:113], v[18:19] neg_lo:[0,1] neg_hi:[0,1]
	v_pk_fma_f32 v[14:15], v[12:13], v[6:7], v[10:11] op_sel:[0,0,1] op_sel_hi:[1,1,0] neg_lo:[0,0,1] neg_hi:[0,0,1]
	v_pk_fma_f32 v[10:11], v[12:13], v[6:7], v[10:11] op_sel:[0,0,1] op_sel_hi:[1,0,0]
	s_delay_alu instid0(VALU_DEP_1) | instskip(SKIP_4) | instid1(VALU_DEP_1)
	v_mov_b32_e32 v15, v11
	ds_load_2addr_b64 v[10:13], v182 offset0:28 offset1:29
	v_pk_add_f32 v[108:109], v[108:109], v[14:15] neg_lo:[0,1] neg_hi:[0,1]
	s_wait_dscnt 0x0
	v_pk_mul_f32 v[14:15], v[10:11], v[8:9] op_sel:[0,1]
	v_pk_fma_f32 v[18:19], v[10:11], v[6:7], v[14:15] op_sel:[0,0,1] op_sel_hi:[1,1,0] neg_lo:[0,0,1] neg_hi:[0,0,1]
	v_pk_fma_f32 v[10:11], v[10:11], v[6:7], v[14:15] op_sel:[0,0,1] op_sel_hi:[1,0,0]
	v_dual_mul_f32 v14, v13, v9 :: v_dual_mov_b32 v10, v13
	s_delay_alu instid0(VALU_DEP_2) | instskip(NEXT) | instid1(VALU_DEP_2)
	v_dual_mov_b32 v19, v11 :: v_dual_mov_b32 v11, v12
	v_pk_fma_f32 v[14:15], v[12:13], v[58:59], v[14:15] op_sel_hi:[1,1,0] neg_lo:[0,0,1] neg_hi:[0,0,1]
	v_mul_f32_e32 v12, v13, v6
	s_delay_alu instid0(VALU_DEP_3) | instskip(NEXT) | instid1(VALU_DEP_2)
	v_pk_add_f32 v[130:131], v[130:131], v[18:19] neg_lo:[0,1] neg_hi:[0,1]
	v_pk_fma_f32 v[10:11], v[10:11], v[58:59], v[12:13] op_sel_hi:[1,1,0]
	s_delay_alu instid0(VALU_DEP_1) | instskip(SKIP_4) | instid1(VALU_DEP_1)
	v_mov_b32_e32 v15, v11
	ds_load_2addr_b64 v[10:13], v182 offset0:30 offset1:31
	v_pk_add_f32 v[126:127], v[126:127], v[14:15] neg_lo:[0,1] neg_hi:[0,1]
	s_wait_dscnt 0x0
	v_pk_mul_f32 v[14:15], v[10:11], v[8:9] op_sel:[0,1]
	v_pk_fma_f32 v[18:19], v[10:11], v[6:7], v[14:15] op_sel:[0,0,1] op_sel_hi:[1,1,0] neg_lo:[0,0,1] neg_hi:[0,0,1]
	v_pk_fma_f32 v[10:11], v[10:11], v[6:7], v[14:15] op_sel:[0,0,1] op_sel_hi:[1,0,0]
	s_delay_alu instid0(VALU_DEP_1) | instskip(SKIP_1) | instid1(VALU_DEP_1)
	v_mov_b32_e32 v19, v11
	v_pk_mul_f32 v[10:11], v[12:13], v[8:9] op_sel:[0,1]
	v_pk_fma_f32 v[14:15], v[12:13], v[6:7], v[10:11] op_sel:[0,0,1] op_sel_hi:[1,1,0] neg_lo:[0,0,1] neg_hi:[0,0,1]
	v_pk_fma_f32 v[10:11], v[12:13], v[6:7], v[10:11] op_sel:[0,0,1] op_sel_hi:[1,0,0]
	s_delay_alu instid0(VALU_DEP_1)
	v_mov_b32_e32 v15, v11
	ds_load_2addr_b64 v[10:13], v182 offset0:32 offset1:33
	v_pk_add_f32 v[128:129], v[128:129], v[18:19] neg_lo:[0,1] neg_hi:[0,1]
	v_pk_add_f32 v[124:125], v[124:125], v[14:15] neg_lo:[0,1] neg_hi:[0,1]
	s_wait_dscnt 0x0
	v_pk_mul_f32 v[14:15], v[10:11], v[8:9] op_sel:[0,1]
	s_delay_alu instid0(VALU_DEP_1) | instskip(SKIP_1) | instid1(VALU_DEP_1)
	v_pk_fma_f32 v[18:19], v[10:11], v[6:7], v[14:15] op_sel:[0,0,1] op_sel_hi:[1,1,0] neg_lo:[0,0,1] neg_hi:[0,0,1]
	v_pk_fma_f32 v[10:11], v[10:11], v[6:7], v[14:15] op_sel:[0,0,1] op_sel_hi:[1,0,0]
	v_mov_b32_e32 v19, v11
	v_pk_mul_f32 v[10:11], v[12:13], v[8:9] op_sel:[0,1]
	s_delay_alu instid0(VALU_DEP_1) | instskip(SKIP_1) | instid1(VALU_DEP_1)
	v_pk_fma_f32 v[14:15], v[12:13], v[6:7], v[10:11] op_sel:[0,0,1] op_sel_hi:[1,1,0] neg_lo:[0,0,1] neg_hi:[0,0,1]
	v_pk_fma_f32 v[10:11], v[12:13], v[6:7], v[10:11] op_sel:[0,0,1] op_sel_hi:[1,0,0]
	v_mov_b32_e32 v15, v11
	ds_load_2addr_b64 v[10:13], v182 offset0:34 offset1:35
	v_pk_add_f32 v[146:147], v[146:147], v[18:19] neg_lo:[0,1] neg_hi:[0,1]
	v_pk_add_f32 v[142:143], v[142:143], v[14:15] neg_lo:[0,1] neg_hi:[0,1]
	s_wait_dscnt 0x0
	v_dual_mul_f32 v14, v11, v9 :: v_dual_mul_f32 v18, v11, v6
	s_delay_alu instid0(VALU_DEP_1) | instskip(NEXT) | instid1(VALU_DEP_2)
	v_pk_fma_f32 v[14:15], v[10:11], v[58:59], v[14:15] op_sel_hi:[1,1,0] neg_lo:[0,0,1] neg_hi:[0,0,1]
	v_pk_fma_f32 v[10:11], v[10:11], v[58:59], v[18:19] op_sel:[1,0,0] op_sel_hi:[0,1,0]
	s_delay_alu instid0(VALU_DEP_1) | instskip(SKIP_1) | instid1(VALU_DEP_2)
	v_mov_b32_e32 v15, v11
	v_pk_mul_f32 v[10:11], v[12:13], v[8:9] op_sel:[0,1]
	v_pk_add_f32 v[144:145], v[144:145], v[14:15] neg_lo:[0,1] neg_hi:[0,1]
	s_delay_alu instid0(VALU_DEP_2) | instskip(SKIP_1) | instid1(VALU_DEP_1)
	v_pk_fma_f32 v[14:15], v[12:13], v[6:7], v[10:11] op_sel:[0,0,1] op_sel_hi:[1,1,0] neg_lo:[0,0,1] neg_hi:[0,0,1]
	v_pk_fma_f32 v[10:11], v[12:13], v[6:7], v[10:11] op_sel:[0,0,1] op_sel_hi:[1,0,0]
	v_mov_b32_e32 v15, v11
	ds_load_2addr_b64 v[10:13], v182 offset0:36 offset1:37
	v_pk_add_f32 v[140:141], v[140:141], v[14:15] neg_lo:[0,1] neg_hi:[0,1]
	s_wait_dscnt 0x0
	v_pk_mul_f32 v[14:15], v[10:11], v[8:9] op_sel:[0,1]
	s_delay_alu instid0(VALU_DEP_1) | instskip(SKIP_1) | instid1(VALU_DEP_1)
	v_pk_fma_f32 v[18:19], v[10:11], v[6:7], v[14:15] op_sel:[0,0,1] op_sel_hi:[1,1,0] neg_lo:[0,0,1] neg_hi:[0,0,1]
	v_pk_fma_f32 v[10:11], v[10:11], v[6:7], v[14:15] op_sel:[0,0,1] op_sel_hi:[1,0,0]
	v_mov_b32_e32 v19, v11
	v_pk_mul_f32 v[10:11], v[12:13], v[8:9] op_sel:[0,1]
	s_delay_alu instid0(VALU_DEP_2) | instskip(NEXT) | instid1(VALU_DEP_2)
	v_pk_add_f32 v[162:163], v[162:163], v[18:19] neg_lo:[0,1] neg_hi:[0,1]
	v_pk_fma_f32 v[14:15], v[12:13], v[6:7], v[10:11] op_sel:[0,0,1] op_sel_hi:[1,1,0] neg_lo:[0,0,1] neg_hi:[0,0,1]
	v_pk_fma_f32 v[10:11], v[12:13], v[6:7], v[10:11] op_sel:[0,0,1] op_sel_hi:[1,0,0]
	s_delay_alu instid0(VALU_DEP_1) | instskip(SKIP_4) | instid1(VALU_DEP_1)
	v_mov_b32_e32 v15, v11
	ds_load_2addr_b64 v[10:13], v182 offset0:38 offset1:39
	v_pk_add_f32 v[158:159], v[158:159], v[14:15] neg_lo:[0,1] neg_hi:[0,1]
	s_wait_dscnt 0x0
	v_pk_mul_f32 v[14:15], v[10:11], v[8:9] op_sel:[0,1]
	v_pk_fma_f32 v[18:19], v[10:11], v[6:7], v[14:15] op_sel:[0,0,1] op_sel_hi:[1,1,0] neg_lo:[0,0,1] neg_hi:[0,0,1]
	v_pk_fma_f32 v[10:11], v[10:11], v[6:7], v[14:15] op_sel:[0,0,1] op_sel_hi:[1,0,0]
	v_dual_mul_f32 v14, v13, v9 :: v_dual_mov_b32 v10, v13
	s_delay_alu instid0(VALU_DEP_2) | instskip(NEXT) | instid1(VALU_DEP_2)
	v_dual_mov_b32 v19, v11 :: v_dual_mov_b32 v11, v12
	v_pk_fma_f32 v[14:15], v[12:13], v[58:59], v[14:15] op_sel_hi:[1,1,0] neg_lo:[0,0,1] neg_hi:[0,0,1]
	v_mul_f32_e32 v12, v13, v6
	s_delay_alu instid0(VALU_DEP_3) | instskip(NEXT) | instid1(VALU_DEP_2)
	v_pk_add_f32 v[160:161], v[160:161], v[18:19] neg_lo:[0,1] neg_hi:[0,1]
	v_pk_fma_f32 v[10:11], v[10:11], v[58:59], v[12:13] op_sel_hi:[1,1,0]
	s_delay_alu instid0(VALU_DEP_1) | instskip(SKIP_4) | instid1(VALU_DEP_1)
	v_mov_b32_e32 v15, v11
	ds_load_2addr_b64 v[10:13], v182 offset0:40 offset1:41
	v_pk_add_f32 v[156:157], v[156:157], v[14:15] neg_lo:[0,1] neg_hi:[0,1]
	s_wait_dscnt 0x0
	v_pk_mul_f32 v[14:15], v[10:11], v[8:9] op_sel:[0,1]
	v_pk_fma_f32 v[18:19], v[10:11], v[6:7], v[14:15] op_sel:[0,0,1] op_sel_hi:[1,1,0] neg_lo:[0,0,1] neg_hi:[0,0,1]
	v_pk_fma_f32 v[10:11], v[10:11], v[6:7], v[14:15] op_sel:[0,0,1] op_sel_hi:[1,0,0]
	s_delay_alu instid0(VALU_DEP_1) | instskip(SKIP_1) | instid1(VALU_DEP_1)
	v_mov_b32_e32 v19, v11
	v_pk_mul_f32 v[10:11], v[12:13], v[8:9] op_sel:[0,1]
	v_pk_fma_f32 v[14:15], v[12:13], v[6:7], v[10:11] op_sel:[0,0,1] op_sel_hi:[1,1,0] neg_lo:[0,0,1] neg_hi:[0,0,1]
	v_pk_fma_f32 v[10:11], v[12:13], v[6:7], v[10:11] op_sel:[0,0,1] op_sel_hi:[1,0,0]
	s_delay_alu instid0(VALU_DEP_1)
	v_mov_b32_e32 v15, v11
	ds_load_2addr_b64 v[10:13], v182 offset0:42 offset1:43
	v_pk_add_f32 v[178:179], v[178:179], v[18:19] neg_lo:[0,1] neg_hi:[0,1]
	v_pk_add_f32 v[174:175], v[174:175], v[14:15] neg_lo:[0,1] neg_hi:[0,1]
	s_wait_dscnt 0x0
	v_pk_mul_f32 v[14:15], v[10:11], v[8:9] op_sel:[0,1]
	s_delay_alu instid0(VALU_DEP_1) | instskip(SKIP_1) | instid1(VALU_DEP_1)
	v_pk_fma_f32 v[18:19], v[10:11], v[6:7], v[14:15] op_sel:[0,0,1] op_sel_hi:[1,1,0] neg_lo:[0,0,1] neg_hi:[0,0,1]
	v_pk_fma_f32 v[10:11], v[10:11], v[6:7], v[14:15] op_sel:[0,0,1] op_sel_hi:[1,0,0]
	v_mov_b32_e32 v19, v11
	v_pk_mul_f32 v[10:11], v[12:13], v[8:9] op_sel:[0,1]
	s_delay_alu instid0(VALU_DEP_1) | instskip(SKIP_1) | instid1(VALU_DEP_1)
	v_pk_fma_f32 v[14:15], v[12:13], v[6:7], v[10:11] op_sel:[0,0,1] op_sel_hi:[1,1,0] neg_lo:[0,0,1] neg_hi:[0,0,1]
	v_pk_fma_f32 v[10:11], v[12:13], v[6:7], v[10:11] op_sel:[0,0,1] op_sel_hi:[1,0,0]
	v_mov_b32_e32 v15, v11
	ds_load_2addr_b64 v[10:13], v182 offset0:44 offset1:45
	v_pk_add_f32 v[176:177], v[176:177], v[18:19] neg_lo:[0,1] neg_hi:[0,1]
	v_pk_add_f32 v[172:173], v[172:173], v[14:15] neg_lo:[0,1] neg_hi:[0,1]
	s_wait_dscnt 0x0
	v_dual_mul_f32 v14, v11, v9 :: v_dual_mul_f32 v18, v11, v6
	s_delay_alu instid0(VALU_DEP_1) | instskip(NEXT) | instid1(VALU_DEP_2)
	v_pk_fma_f32 v[14:15], v[10:11], v[58:59], v[14:15] op_sel_hi:[1,1,0] neg_lo:[0,0,1] neg_hi:[0,0,1]
	v_pk_fma_f32 v[10:11], v[10:11], v[58:59], v[18:19] op_sel:[1,0,0] op_sel_hi:[0,1,0]
	s_delay_alu instid0(VALU_DEP_1) | instskip(SKIP_1) | instid1(VALU_DEP_2)
	v_mov_b32_e32 v15, v11
	v_pk_mul_f32 v[10:11], v[12:13], v[8:9] op_sel:[0,1]
	v_pk_add_f32 v[200:201], v[200:201], v[14:15] neg_lo:[0,1] neg_hi:[0,1]
	s_delay_alu instid0(VALU_DEP_2) | instskip(SKIP_1) | instid1(VALU_DEP_1)
	v_pk_fma_f32 v[14:15], v[12:13], v[6:7], v[10:11] op_sel:[0,0,1] op_sel_hi:[1,1,0] neg_lo:[0,0,1] neg_hi:[0,0,1]
	v_pk_fma_f32 v[10:11], v[12:13], v[6:7], v[10:11] op_sel:[0,0,1] op_sel_hi:[1,0,0]
	v_mov_b32_e32 v15, v11
	ds_load_2addr_b64 v[10:13], v182 offset0:46 offset1:47
	v_pk_add_f32 v[196:197], v[196:197], v[14:15] neg_lo:[0,1] neg_hi:[0,1]
	s_wait_dscnt 0x0
	v_pk_mul_f32 v[14:15], v[10:11], v[8:9] op_sel:[0,1]
	s_delay_alu instid0(VALU_DEP_1) | instskip(SKIP_1) | instid1(VALU_DEP_1)
	v_pk_fma_f32 v[18:19], v[10:11], v[6:7], v[14:15] op_sel:[0,0,1] op_sel_hi:[1,1,0] neg_lo:[0,0,1] neg_hi:[0,0,1]
	v_pk_fma_f32 v[10:11], v[10:11], v[6:7], v[14:15] op_sel:[0,0,1] op_sel_hi:[1,0,0]
	v_mov_b32_e32 v19, v11
	v_pk_mul_f32 v[10:11], v[12:13], v[8:9] op_sel:[0,1]
	s_delay_alu instid0(VALU_DEP_2) | instskip(NEXT) | instid1(VALU_DEP_2)
	v_pk_add_f32 v[198:199], v[198:199], v[18:19] neg_lo:[0,1] neg_hi:[0,1]
	v_pk_fma_f32 v[14:15], v[12:13], v[6:7], v[10:11] op_sel:[0,0,1] op_sel_hi:[1,1,0] neg_lo:[0,0,1] neg_hi:[0,0,1]
	v_pk_fma_f32 v[10:11], v[12:13], v[6:7], v[10:11] op_sel:[0,0,1] op_sel_hi:[1,0,0]
	s_delay_alu instid0(VALU_DEP_1) | instskip(SKIP_4) | instid1(VALU_DEP_1)
	v_mov_b32_e32 v15, v11
	ds_load_2addr_b64 v[10:13], v182 offset0:48 offset1:49
	v_pk_add_f32 v[194:195], v[194:195], v[14:15] neg_lo:[0,1] neg_hi:[0,1]
	s_wait_dscnt 0x0
	v_pk_mul_f32 v[14:15], v[10:11], v[8:9] op_sel:[0,1]
	v_pk_fma_f32 v[18:19], v[10:11], v[6:7], v[14:15] op_sel:[0,0,1] op_sel_hi:[1,1,0] neg_lo:[0,0,1] neg_hi:[0,0,1]
	v_pk_fma_f32 v[10:11], v[10:11], v[6:7], v[14:15] op_sel:[0,0,1] op_sel_hi:[1,0,0]
	v_dual_mul_f32 v14, v13, v9 :: v_dual_mov_b32 v10, v13
	s_delay_alu instid0(VALU_DEP_2) | instskip(NEXT) | instid1(VALU_DEP_2)
	v_dual_mov_b32 v19, v11 :: v_dual_mov_b32 v11, v12
	v_pk_fma_f32 v[14:15], v[12:13], v[58:59], v[14:15] op_sel_hi:[1,1,0] neg_lo:[0,0,1] neg_hi:[0,0,1]
	v_mul_f32_e32 v12, v13, v6
	s_delay_alu instid0(VALU_DEP_3) | instskip(NEXT) | instid1(VALU_DEP_2)
	v_pk_add_f32 v[224:225], v[224:225], v[18:19] neg_lo:[0,1] neg_hi:[0,1]
	v_pk_fma_f32 v[10:11], v[10:11], v[58:59], v[12:13] op_sel_hi:[1,1,0]
	s_delay_alu instid0(VALU_DEP_1) | instskip(SKIP_4) | instid1(VALU_DEP_1)
	v_mov_b32_e32 v15, v11
	ds_load_2addr_b64 v[10:13], v182 offset0:50 offset1:51
	v_pk_add_f32 v[216:217], v[216:217], v[14:15] neg_lo:[0,1] neg_hi:[0,1]
	s_wait_dscnt 0x0
	v_pk_mul_f32 v[14:15], v[10:11], v[8:9] op_sel:[0,1]
	v_pk_fma_f32 v[18:19], v[10:11], v[6:7], v[14:15] op_sel:[0,0,1] op_sel_hi:[1,1,0] neg_lo:[0,0,1] neg_hi:[0,0,1]
	v_pk_fma_f32 v[10:11], v[10:11], v[6:7], v[14:15] op_sel:[0,0,1] op_sel_hi:[1,0,0]
	s_delay_alu instid0(VALU_DEP_1) | instskip(SKIP_1) | instid1(VALU_DEP_1)
	v_mov_b32_e32 v19, v11
	v_pk_mul_f32 v[10:11], v[12:13], v[8:9] op_sel:[0,1]
	v_pk_fma_f32 v[14:15], v[12:13], v[6:7], v[10:11] op_sel:[0,0,1] op_sel_hi:[1,1,0] neg_lo:[0,0,1] neg_hi:[0,0,1]
	v_pk_fma_f32 v[10:11], v[12:13], v[6:7], v[10:11] op_sel:[0,0,1] op_sel_hi:[1,0,0]
	s_delay_alu instid0(VALU_DEP_1)
	v_mov_b32_e32 v15, v11
	ds_load_2addr_b64 v[10:13], v182 offset0:52 offset1:53
	v_pk_add_f32 v[222:223], v[222:223], v[18:19] neg_lo:[0,1] neg_hi:[0,1]
	v_pk_add_f32 v[214:215], v[214:215], v[14:15] neg_lo:[0,1] neg_hi:[0,1]
	s_wait_dscnt 0x0
	v_pk_mul_f32 v[14:15], v[10:11], v[8:9] op_sel:[0,1]
	s_delay_alu instid0(VALU_DEP_1) | instskip(SKIP_1) | instid1(VALU_DEP_1)
	v_pk_fma_f32 v[18:19], v[10:11], v[6:7], v[14:15] op_sel:[0,0,1] op_sel_hi:[1,1,0] neg_lo:[0,0,1] neg_hi:[0,0,1]
	v_pk_fma_f32 v[10:11], v[10:11], v[6:7], v[14:15] op_sel:[0,0,1] op_sel_hi:[1,0,0]
	v_mov_b32_e32 v19, v11
	v_pk_mul_f32 v[10:11], v[12:13], v[8:9] op_sel:[0,1]
	s_delay_alu instid0(VALU_DEP_1) | instskip(SKIP_1) | instid1(VALU_DEP_1)
	v_pk_fma_f32 v[14:15], v[12:13], v[6:7], v[10:11] op_sel:[0,0,1] op_sel_hi:[1,1,0] neg_lo:[0,0,1] neg_hi:[0,0,1]
	v_pk_fma_f32 v[10:11], v[12:13], v[6:7], v[10:11] op_sel:[0,0,1] op_sel_hi:[1,0,0]
	v_mov_b32_e32 v15, v11
	ds_load_2addr_b64 v[10:13], v182 offset0:54 offset1:55
	v_pk_add_f32 v[220:221], v[220:221], v[18:19] neg_lo:[0,1] neg_hi:[0,1]
	v_pk_add_f32 v[212:213], v[212:213], v[14:15] neg_lo:[0,1] neg_hi:[0,1]
	s_wait_dscnt 0x0
	v_dual_mul_f32 v14, v11, v9 :: v_dual_mul_f32 v18, v11, v6
	s_delay_alu instid0(VALU_DEP_1) | instskip(NEXT) | instid1(VALU_DEP_2)
	v_pk_fma_f32 v[14:15], v[10:11], v[58:59], v[14:15] op_sel_hi:[1,1,0] neg_lo:[0,0,1] neg_hi:[0,0,1]
	v_pk_fma_f32 v[10:11], v[10:11], v[58:59], v[18:19] op_sel:[1,0,0] op_sel_hi:[0,1,0]
	s_delay_alu instid0(VALU_DEP_1) | instskip(SKIP_1) | instid1(VALU_DEP_2)
	v_mov_b32_e32 v15, v11
	v_pk_mul_f32 v[10:11], v[12:13], v[8:9] op_sel:[0,1]
	v_pk_add_f32 v[218:219], v[218:219], v[14:15] neg_lo:[0,1] neg_hi:[0,1]
	s_delay_alu instid0(VALU_DEP_2) | instskip(SKIP_1) | instid1(VALU_DEP_1)
	v_pk_fma_f32 v[14:15], v[12:13], v[6:7], v[10:11] op_sel:[0,0,1] op_sel_hi:[1,1,0] neg_lo:[0,0,1] neg_hi:[0,0,1]
	v_pk_fma_f32 v[10:11], v[12:13], v[6:7], v[10:11] op_sel:[0,0,1] op_sel_hi:[1,0,0]
	v_mov_b32_e32 v15, v11
	ds_load_b64 v[10:11], v182 offset:448
	v_pk_add_f32 v[226:227], v[226:227], v[14:15] neg_lo:[0,1] neg_hi:[0,1]
	s_wait_dscnt 0x0
	v_pk_mul_f32 v[8:9], v[10:11], v[8:9] op_sel:[0,1]
	s_delay_alu instid0(VALU_DEP_1) | instskip(SKIP_1) | instid1(VALU_DEP_1)
	v_pk_fma_f32 v[12:13], v[10:11], v[6:7], v[8:9] op_sel:[0,0,1] op_sel_hi:[1,1,0] neg_lo:[0,0,1] neg_hi:[0,0,1]
	v_pk_fma_f32 v[6:7], v[10:11], v[6:7], v[8:9] op_sel:[0,0,1] op_sel_hi:[1,0,0]
	v_mov_b32_e32 v13, v7
	s_delay_alu instid0(VALU_DEP_1)
	v_pk_add_f32 v[228:229], v[228:229], v[12:13] neg_lo:[0,1] neg_hi:[0,1]
.LBB113_145:
	s_or_b32 exec_lo, exec_lo, s1
	s_delay_alu instid0(SALU_CYCLE_1)
	s_mov_b32 s2, exec_lo
	s_wait_dscnt 0x0
	s_barrier_signal -1
	s_barrier_wait -1
	v_cmpx_eq_u32_e32 16, v180
	s_cbranch_execz .LBB113_152
; %bb.146:
	ds_store_b64 v181, v[80:81]
	ds_store_2addr_b64 v182, v[76:77], v[78:79] offset0:17 offset1:18
	ds_store_2addr_b64 v182, v[74:75], v[98:99] offset0:19 offset1:20
	;; [unrolled: 1-line block ×20, first 2 shown]
	ds_load_b64 v[6:7], v181
	s_wait_dscnt 0x0
	v_cmp_neq_f32_e32 vcc_lo, 0, v6
	v_cmp_neq_f32_e64 s1, 0, v7
	s_or_b32 s1, vcc_lo, s1
	s_delay_alu instid0(SALU_CYCLE_1)
	s_and_b32 exec_lo, exec_lo, s1
	s_cbranch_execz .LBB113_152
; %bb.147:
	v_cmp_ngt_f32_e64 s1, |v6|, |v7|
                                        ; implicit-def: $vgpr8_vgpr9
	s_and_saveexec_b32 s4, s1
	s_delay_alu instid0(SALU_CYCLE_1)
	s_xor_b32 s1, exec_lo, s4
	s_cbranch_execz .LBB113_149
; %bb.148:
	v_div_scale_f32 v8, null, v7, v7, v6
	v_div_scale_f32 v11, vcc_lo, v6, v7, v6
	s_delay_alu instid0(VALU_DEP_2) | instskip(SKIP_1) | instid1(TRANS32_DEP_1)
	v_rcp_f32_e32 v9, v8
	v_nop
	v_fma_f32 v10, -v8, v9, 1.0
	s_delay_alu instid0(VALU_DEP_1) | instskip(NEXT) | instid1(VALU_DEP_1)
	v_fmac_f32_e32 v9, v10, v9
	v_mul_f32_e32 v10, v11, v9
	s_delay_alu instid0(VALU_DEP_1) | instskip(NEXT) | instid1(VALU_DEP_1)
	v_fma_f32 v12, -v8, v10, v11
	v_fmac_f32_e32 v10, v12, v9
	s_delay_alu instid0(VALU_DEP_1) | instskip(NEXT) | instid1(VALU_DEP_1)
	v_fma_f32 v8, -v8, v10, v11
	v_div_fmas_f32 v8, v8, v9, v10
	s_delay_alu instid0(VALU_DEP_1) | instskip(NEXT) | instid1(VALU_DEP_1)
	v_div_fixup_f32 v8, v8, v7, v6
	v_fmac_f32_e32 v7, v6, v8
	s_delay_alu instid0(VALU_DEP_1) | instskip(SKIP_1) | instid1(VALU_DEP_2)
	v_div_scale_f32 v6, null, v7, v7, 1.0
	v_div_scale_f32 v11, vcc_lo, 1.0, v7, 1.0
	v_rcp_f32_e32 v9, v6
	v_nop
	s_delay_alu instid0(TRANS32_DEP_1) | instskip(NEXT) | instid1(VALU_DEP_1)
	v_fma_f32 v10, -v6, v9, 1.0
	v_fmac_f32_e32 v9, v10, v9
	s_delay_alu instid0(VALU_DEP_1) | instskip(NEXT) | instid1(VALU_DEP_1)
	v_mul_f32_e32 v10, v11, v9
	v_fma_f32 v12, -v6, v10, v11
	s_delay_alu instid0(VALU_DEP_1) | instskip(NEXT) | instid1(VALU_DEP_1)
	v_fmac_f32_e32 v10, v12, v9
	v_fma_f32 v6, -v6, v10, v11
	s_delay_alu instid0(VALU_DEP_1) | instskip(NEXT) | instid1(VALU_DEP_1)
	v_div_fmas_f32 v6, v6, v9, v10
	v_div_fixup_f32 v6, v6, v7, 1.0
	s_delay_alu instid0(VALU_DEP_1)
	v_mul_f32_e32 v8, v8, v6
	v_xor_b32_e32 v9, 0x80000000, v6
                                        ; implicit-def: $vgpr6_vgpr7
.LBB113_149:
	s_and_not1_saveexec_b32 s1, s1
	s_cbranch_execz .LBB113_151
; %bb.150:
	v_div_scale_f32 v8, null, v6, v6, v7
	v_div_scale_f32 v11, vcc_lo, v7, v6, v7
	s_delay_alu instid0(VALU_DEP_2) | instskip(SKIP_1) | instid1(TRANS32_DEP_1)
	v_rcp_f32_e32 v9, v8
	v_nop
	v_fma_f32 v10, -v8, v9, 1.0
	s_delay_alu instid0(VALU_DEP_1) | instskip(NEXT) | instid1(VALU_DEP_1)
	v_fmac_f32_e32 v9, v10, v9
	v_mul_f32_e32 v10, v11, v9
	s_delay_alu instid0(VALU_DEP_1) | instskip(NEXT) | instid1(VALU_DEP_1)
	v_fma_f32 v12, -v8, v10, v11
	v_fmac_f32_e32 v10, v12, v9
	s_delay_alu instid0(VALU_DEP_1) | instskip(NEXT) | instid1(VALU_DEP_1)
	v_fma_f32 v8, -v8, v10, v11
	v_div_fmas_f32 v8, v8, v9, v10
	s_delay_alu instid0(VALU_DEP_1) | instskip(NEXT) | instid1(VALU_DEP_1)
	v_div_fixup_f32 v9, v8, v6, v7
	v_fmac_f32_e32 v6, v7, v9
	s_delay_alu instid0(VALU_DEP_1) | instskip(NEXT) | instid1(VALU_DEP_1)
	v_div_scale_f32 v7, null, v6, v6, 1.0
	v_rcp_f32_e32 v8, v7
	v_nop
	s_delay_alu instid0(TRANS32_DEP_1) | instskip(NEXT) | instid1(VALU_DEP_1)
	v_fma_f32 v10, -v7, v8, 1.0
	v_fmac_f32_e32 v8, v10, v8
	v_div_scale_f32 v10, vcc_lo, 1.0, v6, 1.0
	s_delay_alu instid0(VALU_DEP_1) | instskip(NEXT) | instid1(VALU_DEP_1)
	v_mul_f32_e32 v11, v10, v8
	v_fma_f32 v12, -v7, v11, v10
	s_delay_alu instid0(VALU_DEP_1) | instskip(NEXT) | instid1(VALU_DEP_1)
	v_fmac_f32_e32 v11, v12, v8
	v_fma_f32 v7, -v7, v11, v10
	s_delay_alu instid0(VALU_DEP_1) | instskip(NEXT) | instid1(VALU_DEP_1)
	v_div_fmas_f32 v7, v7, v8, v11
	v_div_fixup_f32 v8, v7, v6, 1.0
	s_delay_alu instid0(VALU_DEP_1)
	v_mul_f32_e64 v9, v9, -v8
.LBB113_151:
	s_or_b32 exec_lo, exec_lo, s1
	ds_store_b64 v181, v[8:9]
.LBB113_152:
	s_or_b32 exec_lo, exec_lo, s2
	s_wait_dscnt 0x0
	s_barrier_signal -1
	s_barrier_wait -1
	ds_load_b64 v[6:7], v181
	s_mov_b32 s1, exec_lo
	v_cmpx_lt_u32_e32 16, v180
	s_cbranch_execz .LBB113_154
; %bb.153:
	ds_load_2addr_b64 v[12:15], v182 offset0:17 offset1:18
	s_wait_dscnt 0x1
	v_pk_mul_f32 v[10:11], v[6:7], v[80:81] op_sel:[1,1] op_sel_hi:[0,1]
	s_delay_alu instid0(VALU_DEP_1) | instskip(SKIP_1) | instid1(VALU_DEP_1)
	v_pk_fma_f32 v[8:9], v[6:7], v[80:81], v[10:11] op_sel_hi:[1,0,1] neg_lo:[0,0,1] neg_hi:[0,0,1]
	v_pk_fma_f32 v[10:11], v[6:7], v[80:81], v[10:11] op_sel_hi:[1,0,1]
	v_dual_mov_b32 v80, v8 :: v_dual_mov_b32 v81, v11
	s_wait_dscnt 0x0
	s_delay_alu instid0(VALU_DEP_2) | instskip(NEXT) | instid1(VALU_DEP_1)
	v_pk_mul_f32 v[18:19], v[12:13], v[10:11] op_sel:[0,1]
	v_pk_fma_f32 v[28:29], v[12:13], v[8:9], v[18:19] op_sel:[0,0,1] op_sel_hi:[1,1,0] neg_lo:[0,0,1] neg_hi:[0,0,1]
	v_pk_fma_f32 v[12:13], v[12:13], v[8:9], v[18:19] op_sel:[0,0,1] op_sel_hi:[1,0,0]
	s_delay_alu instid0(VALU_DEP_1) | instskip(SKIP_1) | instid1(VALU_DEP_1)
	v_mov_b32_e32 v29, v13
	v_pk_mul_f32 v[12:13], v[14:15], v[10:11] op_sel:[0,1]
	v_pk_fma_f32 v[18:19], v[14:15], v[8:9], v[12:13] op_sel:[0,0,1] op_sel_hi:[1,1,0] neg_lo:[0,0,1] neg_hi:[0,0,1]
	v_pk_fma_f32 v[12:13], v[14:15], v[8:9], v[12:13] op_sel:[0,0,1] op_sel_hi:[1,0,0]
	s_delay_alu instid0(VALU_DEP_1)
	v_mov_b32_e32 v19, v13
	ds_load_2addr_b64 v[12:15], v182 offset0:19 offset1:20
	v_pk_add_f32 v[76:77], v[76:77], v[28:29] neg_lo:[0,1] neg_hi:[0,1]
	v_pk_add_f32 v[78:79], v[78:79], v[18:19] neg_lo:[0,1] neg_hi:[0,1]
	s_wait_dscnt 0x0
	v_pk_mul_f32 v[18:19], v[12:13], v[10:11] op_sel:[0,1]
	s_delay_alu instid0(VALU_DEP_1) | instskip(SKIP_2) | instid1(VALU_DEP_2)
	v_pk_fma_f32 v[28:29], v[12:13], v[8:9], v[18:19] op_sel:[0,0,1] op_sel_hi:[1,1,0] neg_lo:[0,0,1] neg_hi:[0,0,1]
	v_pk_fma_f32 v[12:13], v[12:13], v[8:9], v[18:19] op_sel:[0,0,1] op_sel_hi:[1,0,0]
	v_dual_mul_f32 v18, v15, v11 :: v_dual_mov_b32 v12, v15
	v_dual_mov_b32 v29, v13 :: v_dual_mov_b32 v13, v14
	s_delay_alu instid0(VALU_DEP_2) | instskip(SKIP_1) | instid1(VALU_DEP_3)
	v_pk_fma_f32 v[18:19], v[14:15], v[80:81], v[18:19] op_sel_hi:[1,1,0] neg_lo:[0,0,1] neg_hi:[0,0,1]
	v_mul_f32_e32 v14, v15, v8
	v_pk_add_f32 v[74:75], v[74:75], v[28:29] neg_lo:[0,1] neg_hi:[0,1]
	s_delay_alu instid0(VALU_DEP_2) | instskip(NEXT) | instid1(VALU_DEP_1)
	v_pk_fma_f32 v[12:13], v[12:13], v[80:81], v[14:15] op_sel_hi:[1,1,0]
	v_mov_b32_e32 v19, v13
	ds_load_2addr_b64 v[12:15], v182 offset0:21 offset1:22
	v_pk_add_f32 v[98:99], v[98:99], v[18:19] neg_lo:[0,1] neg_hi:[0,1]
	s_wait_dscnt 0x0
	v_pk_mul_f32 v[18:19], v[12:13], v[10:11] op_sel:[0,1]
	s_delay_alu instid0(VALU_DEP_1) | instskip(SKIP_1) | instid1(VALU_DEP_1)
	v_pk_fma_f32 v[28:29], v[12:13], v[8:9], v[18:19] op_sel:[0,0,1] op_sel_hi:[1,1,0] neg_lo:[0,0,1] neg_hi:[0,0,1]
	v_pk_fma_f32 v[12:13], v[12:13], v[8:9], v[18:19] op_sel:[0,0,1] op_sel_hi:[1,0,0]
	v_mov_b32_e32 v29, v13
	v_pk_mul_f32 v[12:13], v[14:15], v[10:11] op_sel:[0,1]
	s_delay_alu instid0(VALU_DEP_1) | instskip(SKIP_1) | instid1(VALU_DEP_1)
	v_pk_fma_f32 v[18:19], v[14:15], v[8:9], v[12:13] op_sel:[0,0,1] op_sel_hi:[1,1,0] neg_lo:[0,0,1] neg_hi:[0,0,1]
	v_pk_fma_f32 v[12:13], v[14:15], v[8:9], v[12:13] op_sel:[0,0,1] op_sel_hi:[1,0,0]
	v_mov_b32_e32 v19, v13
	ds_load_2addr_b64 v[12:15], v182 offset0:23 offset1:24
	v_pk_add_f32 v[94:95], v[94:95], v[28:29] neg_lo:[0,1] neg_hi:[0,1]
	v_pk_add_f32 v[96:97], v[96:97], v[18:19] neg_lo:[0,1] neg_hi:[0,1]
	s_wait_dscnt 0x0
	v_pk_mul_f32 v[18:19], v[12:13], v[10:11] op_sel:[0,1]
	s_delay_alu instid0(VALU_DEP_1) | instskip(SKIP_1) | instid1(VALU_DEP_1)
	v_pk_fma_f32 v[28:29], v[12:13], v[8:9], v[18:19] op_sel:[0,0,1] op_sel_hi:[1,1,0] neg_lo:[0,0,1] neg_hi:[0,0,1]
	v_pk_fma_f32 v[12:13], v[12:13], v[8:9], v[18:19] op_sel:[0,0,1] op_sel_hi:[1,0,0]
	v_mov_b32_e32 v29, v13
	v_pk_mul_f32 v[12:13], v[14:15], v[10:11] op_sel:[0,1]
	s_delay_alu instid0(VALU_DEP_1) | instskip(SKIP_1) | instid1(VALU_DEP_1)
	v_pk_fma_f32 v[18:19], v[14:15], v[8:9], v[12:13] op_sel:[0,0,1] op_sel_hi:[1,1,0] neg_lo:[0,0,1] neg_hi:[0,0,1]
	v_pk_fma_f32 v[12:13], v[14:15], v[8:9], v[12:13] op_sel:[0,0,1] op_sel_hi:[1,0,0]
	v_mov_b32_e32 v19, v13
	ds_load_2addr_b64 v[12:15], v182 offset0:25 offset1:26
	v_pk_add_f32 v[92:93], v[92:93], v[28:29] neg_lo:[0,1] neg_hi:[0,1]
	v_pk_add_f32 v[114:115], v[114:115], v[18:19] neg_lo:[0,1] neg_hi:[0,1]
	s_wait_dscnt 0x0
	v_dual_mul_f32 v18, v13, v11 :: v_dual_mul_f32 v28, v13, v8
	s_delay_alu instid0(VALU_DEP_1) | instskip(NEXT) | instid1(VALU_DEP_2)
	v_pk_fma_f32 v[18:19], v[12:13], v[80:81], v[18:19] op_sel_hi:[1,1,0] neg_lo:[0,0,1] neg_hi:[0,0,1]
	v_pk_fma_f32 v[12:13], v[12:13], v[80:81], v[28:29] op_sel:[1,0,0] op_sel_hi:[0,1,0]
	s_delay_alu instid0(VALU_DEP_1) | instskip(SKIP_1) | instid1(VALU_DEP_2)
	v_mov_b32_e32 v19, v13
	v_pk_mul_f32 v[12:13], v[14:15], v[10:11] op_sel:[0,1]
	v_pk_add_f32 v[110:111], v[110:111], v[18:19] neg_lo:[0,1] neg_hi:[0,1]
	s_delay_alu instid0(VALU_DEP_2) | instskip(SKIP_1) | instid1(VALU_DEP_1)
	v_pk_fma_f32 v[18:19], v[14:15], v[8:9], v[12:13] op_sel:[0,0,1] op_sel_hi:[1,1,0] neg_lo:[0,0,1] neg_hi:[0,0,1]
	v_pk_fma_f32 v[12:13], v[14:15], v[8:9], v[12:13] op_sel:[0,0,1] op_sel_hi:[1,0,0]
	v_mov_b32_e32 v19, v13
	ds_load_2addr_b64 v[12:15], v182 offset0:27 offset1:28
	v_pk_add_f32 v[112:113], v[112:113], v[18:19] neg_lo:[0,1] neg_hi:[0,1]
	s_wait_dscnt 0x0
	v_pk_mul_f32 v[18:19], v[12:13], v[10:11] op_sel:[0,1]
	s_delay_alu instid0(VALU_DEP_1) | instskip(SKIP_1) | instid1(VALU_DEP_1)
	v_pk_fma_f32 v[28:29], v[12:13], v[8:9], v[18:19] op_sel:[0,0,1] op_sel_hi:[1,1,0] neg_lo:[0,0,1] neg_hi:[0,0,1]
	v_pk_fma_f32 v[12:13], v[12:13], v[8:9], v[18:19] op_sel:[0,0,1] op_sel_hi:[1,0,0]
	v_mov_b32_e32 v29, v13
	v_pk_mul_f32 v[12:13], v[14:15], v[10:11] op_sel:[0,1]
	s_delay_alu instid0(VALU_DEP_2) | instskip(NEXT) | instid1(VALU_DEP_2)
	v_pk_add_f32 v[108:109], v[108:109], v[28:29] neg_lo:[0,1] neg_hi:[0,1]
	v_pk_fma_f32 v[18:19], v[14:15], v[8:9], v[12:13] op_sel:[0,0,1] op_sel_hi:[1,1,0] neg_lo:[0,0,1] neg_hi:[0,0,1]
	v_pk_fma_f32 v[12:13], v[14:15], v[8:9], v[12:13] op_sel:[0,0,1] op_sel_hi:[1,0,0]
	s_delay_alu instid0(VALU_DEP_1) | instskip(SKIP_4) | instid1(VALU_DEP_1)
	v_mov_b32_e32 v19, v13
	ds_load_2addr_b64 v[12:15], v182 offset0:29 offset1:30
	v_pk_add_f32 v[130:131], v[130:131], v[18:19] neg_lo:[0,1] neg_hi:[0,1]
	s_wait_dscnt 0x0
	v_pk_mul_f32 v[18:19], v[12:13], v[10:11] op_sel:[0,1]
	v_pk_fma_f32 v[28:29], v[12:13], v[8:9], v[18:19] op_sel:[0,0,1] op_sel_hi:[1,1,0] neg_lo:[0,0,1] neg_hi:[0,0,1]
	v_pk_fma_f32 v[12:13], v[12:13], v[8:9], v[18:19] op_sel:[0,0,1] op_sel_hi:[1,0,0]
	v_dual_mul_f32 v18, v15, v11 :: v_dual_mov_b32 v12, v15
	s_delay_alu instid0(VALU_DEP_2) | instskip(NEXT) | instid1(VALU_DEP_2)
	v_dual_mov_b32 v29, v13 :: v_dual_mov_b32 v13, v14
	v_pk_fma_f32 v[18:19], v[14:15], v[80:81], v[18:19] op_sel_hi:[1,1,0] neg_lo:[0,0,1] neg_hi:[0,0,1]
	v_mul_f32_e32 v14, v15, v8
	s_delay_alu instid0(VALU_DEP_3) | instskip(NEXT) | instid1(VALU_DEP_2)
	v_pk_add_f32 v[126:127], v[126:127], v[28:29] neg_lo:[0,1] neg_hi:[0,1]
	v_pk_fma_f32 v[12:13], v[12:13], v[80:81], v[14:15] op_sel_hi:[1,1,0]
	s_delay_alu instid0(VALU_DEP_1) | instskip(SKIP_4) | instid1(VALU_DEP_1)
	v_mov_b32_e32 v19, v13
	ds_load_2addr_b64 v[12:15], v182 offset0:31 offset1:32
	v_pk_add_f32 v[128:129], v[128:129], v[18:19] neg_lo:[0,1] neg_hi:[0,1]
	s_wait_dscnt 0x0
	v_pk_mul_f32 v[18:19], v[12:13], v[10:11] op_sel:[0,1]
	v_pk_fma_f32 v[28:29], v[12:13], v[8:9], v[18:19] op_sel:[0,0,1] op_sel_hi:[1,1,0] neg_lo:[0,0,1] neg_hi:[0,0,1]
	v_pk_fma_f32 v[12:13], v[12:13], v[8:9], v[18:19] op_sel:[0,0,1] op_sel_hi:[1,0,0]
	s_delay_alu instid0(VALU_DEP_1) | instskip(SKIP_1) | instid1(VALU_DEP_1)
	v_mov_b32_e32 v29, v13
	v_pk_mul_f32 v[12:13], v[14:15], v[10:11] op_sel:[0,1]
	v_pk_fma_f32 v[18:19], v[14:15], v[8:9], v[12:13] op_sel:[0,0,1] op_sel_hi:[1,1,0] neg_lo:[0,0,1] neg_hi:[0,0,1]
	v_pk_fma_f32 v[12:13], v[14:15], v[8:9], v[12:13] op_sel:[0,0,1] op_sel_hi:[1,0,0]
	s_delay_alu instid0(VALU_DEP_1)
	v_mov_b32_e32 v19, v13
	ds_load_2addr_b64 v[12:15], v182 offset0:33 offset1:34
	v_pk_add_f32 v[124:125], v[124:125], v[28:29] neg_lo:[0,1] neg_hi:[0,1]
	v_pk_add_f32 v[146:147], v[146:147], v[18:19] neg_lo:[0,1] neg_hi:[0,1]
	s_wait_dscnt 0x0
	v_pk_mul_f32 v[18:19], v[12:13], v[10:11] op_sel:[0,1]
	s_delay_alu instid0(VALU_DEP_1) | instskip(SKIP_1) | instid1(VALU_DEP_1)
	v_pk_fma_f32 v[28:29], v[12:13], v[8:9], v[18:19] op_sel:[0,0,1] op_sel_hi:[1,1,0] neg_lo:[0,0,1] neg_hi:[0,0,1]
	v_pk_fma_f32 v[12:13], v[12:13], v[8:9], v[18:19] op_sel:[0,0,1] op_sel_hi:[1,0,0]
	v_mov_b32_e32 v29, v13
	v_pk_mul_f32 v[12:13], v[14:15], v[10:11] op_sel:[0,1]
	s_delay_alu instid0(VALU_DEP_1) | instskip(SKIP_1) | instid1(VALU_DEP_1)
	v_pk_fma_f32 v[18:19], v[14:15], v[8:9], v[12:13] op_sel:[0,0,1] op_sel_hi:[1,1,0] neg_lo:[0,0,1] neg_hi:[0,0,1]
	v_pk_fma_f32 v[12:13], v[14:15], v[8:9], v[12:13] op_sel:[0,0,1] op_sel_hi:[1,0,0]
	v_mov_b32_e32 v19, v13
	ds_load_2addr_b64 v[12:15], v182 offset0:35 offset1:36
	v_pk_add_f32 v[142:143], v[142:143], v[28:29] neg_lo:[0,1] neg_hi:[0,1]
	v_pk_add_f32 v[144:145], v[144:145], v[18:19] neg_lo:[0,1] neg_hi:[0,1]
	s_wait_dscnt 0x0
	v_dual_mul_f32 v18, v13, v11 :: v_dual_mul_f32 v28, v13, v8
	s_delay_alu instid0(VALU_DEP_1) | instskip(NEXT) | instid1(VALU_DEP_2)
	v_pk_fma_f32 v[18:19], v[12:13], v[80:81], v[18:19] op_sel_hi:[1,1,0] neg_lo:[0,0,1] neg_hi:[0,0,1]
	v_pk_fma_f32 v[12:13], v[12:13], v[80:81], v[28:29] op_sel:[1,0,0] op_sel_hi:[0,1,0]
	s_delay_alu instid0(VALU_DEP_1) | instskip(SKIP_1) | instid1(VALU_DEP_2)
	v_mov_b32_e32 v19, v13
	v_pk_mul_f32 v[12:13], v[14:15], v[10:11] op_sel:[0,1]
	v_pk_add_f32 v[140:141], v[140:141], v[18:19] neg_lo:[0,1] neg_hi:[0,1]
	s_delay_alu instid0(VALU_DEP_2) | instskip(SKIP_1) | instid1(VALU_DEP_1)
	v_pk_fma_f32 v[18:19], v[14:15], v[8:9], v[12:13] op_sel:[0,0,1] op_sel_hi:[1,1,0] neg_lo:[0,0,1] neg_hi:[0,0,1]
	v_pk_fma_f32 v[12:13], v[14:15], v[8:9], v[12:13] op_sel:[0,0,1] op_sel_hi:[1,0,0]
	v_mov_b32_e32 v19, v13
	ds_load_2addr_b64 v[12:15], v182 offset0:37 offset1:38
	v_pk_add_f32 v[162:163], v[162:163], v[18:19] neg_lo:[0,1] neg_hi:[0,1]
	s_wait_dscnt 0x0
	v_pk_mul_f32 v[18:19], v[12:13], v[10:11] op_sel:[0,1]
	s_delay_alu instid0(VALU_DEP_1) | instskip(SKIP_1) | instid1(VALU_DEP_1)
	v_pk_fma_f32 v[28:29], v[12:13], v[8:9], v[18:19] op_sel:[0,0,1] op_sel_hi:[1,1,0] neg_lo:[0,0,1] neg_hi:[0,0,1]
	v_pk_fma_f32 v[12:13], v[12:13], v[8:9], v[18:19] op_sel:[0,0,1] op_sel_hi:[1,0,0]
	v_mov_b32_e32 v29, v13
	v_pk_mul_f32 v[12:13], v[14:15], v[10:11] op_sel:[0,1]
	s_delay_alu instid0(VALU_DEP_2) | instskip(NEXT) | instid1(VALU_DEP_2)
	v_pk_add_f32 v[158:159], v[158:159], v[28:29] neg_lo:[0,1] neg_hi:[0,1]
	v_pk_fma_f32 v[18:19], v[14:15], v[8:9], v[12:13] op_sel:[0,0,1] op_sel_hi:[1,1,0] neg_lo:[0,0,1] neg_hi:[0,0,1]
	v_pk_fma_f32 v[12:13], v[14:15], v[8:9], v[12:13] op_sel:[0,0,1] op_sel_hi:[1,0,0]
	s_delay_alu instid0(VALU_DEP_1) | instskip(SKIP_4) | instid1(VALU_DEP_1)
	v_mov_b32_e32 v19, v13
	ds_load_2addr_b64 v[12:15], v182 offset0:39 offset1:40
	v_pk_add_f32 v[160:161], v[160:161], v[18:19] neg_lo:[0,1] neg_hi:[0,1]
	s_wait_dscnt 0x0
	v_pk_mul_f32 v[18:19], v[12:13], v[10:11] op_sel:[0,1]
	v_pk_fma_f32 v[28:29], v[12:13], v[8:9], v[18:19] op_sel:[0,0,1] op_sel_hi:[1,1,0] neg_lo:[0,0,1] neg_hi:[0,0,1]
	v_pk_fma_f32 v[12:13], v[12:13], v[8:9], v[18:19] op_sel:[0,0,1] op_sel_hi:[1,0,0]
	v_dual_mul_f32 v18, v15, v11 :: v_dual_mov_b32 v12, v15
	s_delay_alu instid0(VALU_DEP_2) | instskip(NEXT) | instid1(VALU_DEP_2)
	v_dual_mov_b32 v29, v13 :: v_dual_mov_b32 v13, v14
	v_pk_fma_f32 v[18:19], v[14:15], v[80:81], v[18:19] op_sel_hi:[1,1,0] neg_lo:[0,0,1] neg_hi:[0,0,1]
	v_mul_f32_e32 v14, v15, v8
	s_delay_alu instid0(VALU_DEP_3) | instskip(NEXT) | instid1(VALU_DEP_2)
	v_pk_add_f32 v[156:157], v[156:157], v[28:29] neg_lo:[0,1] neg_hi:[0,1]
	v_pk_fma_f32 v[12:13], v[12:13], v[80:81], v[14:15] op_sel_hi:[1,1,0]
	s_delay_alu instid0(VALU_DEP_1) | instskip(SKIP_4) | instid1(VALU_DEP_1)
	v_mov_b32_e32 v19, v13
	ds_load_2addr_b64 v[12:15], v182 offset0:41 offset1:42
	v_pk_add_f32 v[178:179], v[178:179], v[18:19] neg_lo:[0,1] neg_hi:[0,1]
	s_wait_dscnt 0x0
	v_pk_mul_f32 v[18:19], v[12:13], v[10:11] op_sel:[0,1]
	v_pk_fma_f32 v[28:29], v[12:13], v[8:9], v[18:19] op_sel:[0,0,1] op_sel_hi:[1,1,0] neg_lo:[0,0,1] neg_hi:[0,0,1]
	v_pk_fma_f32 v[12:13], v[12:13], v[8:9], v[18:19] op_sel:[0,0,1] op_sel_hi:[1,0,0]
	s_delay_alu instid0(VALU_DEP_1) | instskip(SKIP_1) | instid1(VALU_DEP_1)
	v_mov_b32_e32 v29, v13
	v_pk_mul_f32 v[12:13], v[14:15], v[10:11] op_sel:[0,1]
	v_pk_fma_f32 v[18:19], v[14:15], v[8:9], v[12:13] op_sel:[0,0,1] op_sel_hi:[1,1,0] neg_lo:[0,0,1] neg_hi:[0,0,1]
	v_pk_fma_f32 v[12:13], v[14:15], v[8:9], v[12:13] op_sel:[0,0,1] op_sel_hi:[1,0,0]
	s_delay_alu instid0(VALU_DEP_1)
	v_mov_b32_e32 v19, v13
	ds_load_2addr_b64 v[12:15], v182 offset0:43 offset1:44
	v_pk_add_f32 v[174:175], v[174:175], v[28:29] neg_lo:[0,1] neg_hi:[0,1]
	v_pk_add_f32 v[176:177], v[176:177], v[18:19] neg_lo:[0,1] neg_hi:[0,1]
	s_wait_dscnt 0x0
	v_pk_mul_f32 v[18:19], v[12:13], v[10:11] op_sel:[0,1]
	s_delay_alu instid0(VALU_DEP_1) | instskip(SKIP_1) | instid1(VALU_DEP_1)
	v_pk_fma_f32 v[28:29], v[12:13], v[8:9], v[18:19] op_sel:[0,0,1] op_sel_hi:[1,1,0] neg_lo:[0,0,1] neg_hi:[0,0,1]
	v_pk_fma_f32 v[12:13], v[12:13], v[8:9], v[18:19] op_sel:[0,0,1] op_sel_hi:[1,0,0]
	v_mov_b32_e32 v29, v13
	v_pk_mul_f32 v[12:13], v[14:15], v[10:11] op_sel:[0,1]
	s_delay_alu instid0(VALU_DEP_1) | instskip(SKIP_1) | instid1(VALU_DEP_1)
	v_pk_fma_f32 v[18:19], v[14:15], v[8:9], v[12:13] op_sel:[0,0,1] op_sel_hi:[1,1,0] neg_lo:[0,0,1] neg_hi:[0,0,1]
	v_pk_fma_f32 v[12:13], v[14:15], v[8:9], v[12:13] op_sel:[0,0,1] op_sel_hi:[1,0,0]
	v_mov_b32_e32 v19, v13
	ds_load_2addr_b64 v[12:15], v182 offset0:45 offset1:46
	v_pk_add_f32 v[172:173], v[172:173], v[28:29] neg_lo:[0,1] neg_hi:[0,1]
	v_pk_add_f32 v[200:201], v[200:201], v[18:19] neg_lo:[0,1] neg_hi:[0,1]
	s_wait_dscnt 0x0
	v_dual_mul_f32 v18, v13, v11 :: v_dual_mul_f32 v28, v13, v8
	s_delay_alu instid0(VALU_DEP_1) | instskip(NEXT) | instid1(VALU_DEP_2)
	v_pk_fma_f32 v[18:19], v[12:13], v[80:81], v[18:19] op_sel_hi:[1,1,0] neg_lo:[0,0,1] neg_hi:[0,0,1]
	v_pk_fma_f32 v[12:13], v[12:13], v[80:81], v[28:29] op_sel:[1,0,0] op_sel_hi:[0,1,0]
	s_delay_alu instid0(VALU_DEP_1) | instskip(SKIP_1) | instid1(VALU_DEP_2)
	v_mov_b32_e32 v19, v13
	v_pk_mul_f32 v[12:13], v[14:15], v[10:11] op_sel:[0,1]
	v_pk_add_f32 v[196:197], v[196:197], v[18:19] neg_lo:[0,1] neg_hi:[0,1]
	s_delay_alu instid0(VALU_DEP_2) | instskip(SKIP_1) | instid1(VALU_DEP_1)
	v_pk_fma_f32 v[18:19], v[14:15], v[8:9], v[12:13] op_sel:[0,0,1] op_sel_hi:[1,1,0] neg_lo:[0,0,1] neg_hi:[0,0,1]
	v_pk_fma_f32 v[12:13], v[14:15], v[8:9], v[12:13] op_sel:[0,0,1] op_sel_hi:[1,0,0]
	v_mov_b32_e32 v19, v13
	ds_load_2addr_b64 v[12:15], v182 offset0:47 offset1:48
	v_pk_add_f32 v[198:199], v[198:199], v[18:19] neg_lo:[0,1] neg_hi:[0,1]
	s_wait_dscnt 0x0
	v_pk_mul_f32 v[18:19], v[12:13], v[10:11] op_sel:[0,1]
	s_delay_alu instid0(VALU_DEP_1) | instskip(SKIP_1) | instid1(VALU_DEP_1)
	v_pk_fma_f32 v[28:29], v[12:13], v[8:9], v[18:19] op_sel:[0,0,1] op_sel_hi:[1,1,0] neg_lo:[0,0,1] neg_hi:[0,0,1]
	v_pk_fma_f32 v[12:13], v[12:13], v[8:9], v[18:19] op_sel:[0,0,1] op_sel_hi:[1,0,0]
	v_mov_b32_e32 v29, v13
	v_pk_mul_f32 v[12:13], v[14:15], v[10:11] op_sel:[0,1]
	s_delay_alu instid0(VALU_DEP_2) | instskip(NEXT) | instid1(VALU_DEP_2)
	v_pk_add_f32 v[194:195], v[194:195], v[28:29] neg_lo:[0,1] neg_hi:[0,1]
	v_pk_fma_f32 v[18:19], v[14:15], v[8:9], v[12:13] op_sel:[0,0,1] op_sel_hi:[1,1,0] neg_lo:[0,0,1] neg_hi:[0,0,1]
	v_pk_fma_f32 v[12:13], v[14:15], v[8:9], v[12:13] op_sel:[0,0,1] op_sel_hi:[1,0,0]
	s_delay_alu instid0(VALU_DEP_1) | instskip(SKIP_4) | instid1(VALU_DEP_1)
	v_mov_b32_e32 v19, v13
	ds_load_2addr_b64 v[12:15], v182 offset0:49 offset1:50
	v_pk_add_f32 v[224:225], v[224:225], v[18:19] neg_lo:[0,1] neg_hi:[0,1]
	s_wait_dscnt 0x0
	v_pk_mul_f32 v[18:19], v[12:13], v[10:11] op_sel:[0,1]
	v_pk_fma_f32 v[28:29], v[12:13], v[8:9], v[18:19] op_sel:[0,0,1] op_sel_hi:[1,1,0] neg_lo:[0,0,1] neg_hi:[0,0,1]
	v_pk_fma_f32 v[12:13], v[12:13], v[8:9], v[18:19] op_sel:[0,0,1] op_sel_hi:[1,0,0]
	v_dual_mul_f32 v18, v15, v11 :: v_dual_mov_b32 v12, v15
	s_delay_alu instid0(VALU_DEP_2) | instskip(NEXT) | instid1(VALU_DEP_2)
	v_dual_mov_b32 v29, v13 :: v_dual_mov_b32 v13, v14
	v_pk_fma_f32 v[18:19], v[14:15], v[80:81], v[18:19] op_sel_hi:[1,1,0] neg_lo:[0,0,1] neg_hi:[0,0,1]
	v_mul_f32_e32 v14, v15, v8
	s_delay_alu instid0(VALU_DEP_3) | instskip(NEXT) | instid1(VALU_DEP_2)
	v_pk_add_f32 v[216:217], v[216:217], v[28:29] neg_lo:[0,1] neg_hi:[0,1]
	v_pk_fma_f32 v[12:13], v[12:13], v[80:81], v[14:15] op_sel_hi:[1,1,0]
	s_delay_alu instid0(VALU_DEP_1) | instskip(SKIP_4) | instid1(VALU_DEP_1)
	v_mov_b32_e32 v19, v13
	ds_load_2addr_b64 v[12:15], v182 offset0:51 offset1:52
	v_pk_add_f32 v[222:223], v[222:223], v[18:19] neg_lo:[0,1] neg_hi:[0,1]
	s_wait_dscnt 0x0
	v_pk_mul_f32 v[18:19], v[12:13], v[10:11] op_sel:[0,1]
	v_pk_fma_f32 v[28:29], v[12:13], v[8:9], v[18:19] op_sel:[0,0,1] op_sel_hi:[1,1,0] neg_lo:[0,0,1] neg_hi:[0,0,1]
	v_pk_fma_f32 v[12:13], v[12:13], v[8:9], v[18:19] op_sel:[0,0,1] op_sel_hi:[1,0,0]
	s_delay_alu instid0(VALU_DEP_1) | instskip(SKIP_1) | instid1(VALU_DEP_1)
	v_mov_b32_e32 v29, v13
	v_pk_mul_f32 v[12:13], v[14:15], v[10:11] op_sel:[0,1]
	v_pk_fma_f32 v[18:19], v[14:15], v[8:9], v[12:13] op_sel:[0,0,1] op_sel_hi:[1,1,0] neg_lo:[0,0,1] neg_hi:[0,0,1]
	v_pk_fma_f32 v[12:13], v[14:15], v[8:9], v[12:13] op_sel:[0,0,1] op_sel_hi:[1,0,0]
	s_delay_alu instid0(VALU_DEP_1)
	v_mov_b32_e32 v19, v13
	ds_load_2addr_b64 v[12:15], v182 offset0:53 offset1:54
	v_pk_add_f32 v[214:215], v[214:215], v[28:29] neg_lo:[0,1] neg_hi:[0,1]
	v_pk_add_f32 v[220:221], v[220:221], v[18:19] neg_lo:[0,1] neg_hi:[0,1]
	s_wait_dscnt 0x0
	v_pk_mul_f32 v[18:19], v[12:13], v[10:11] op_sel:[0,1]
	s_delay_alu instid0(VALU_DEP_1) | instskip(SKIP_1) | instid1(VALU_DEP_1)
	v_pk_fma_f32 v[28:29], v[12:13], v[8:9], v[18:19] op_sel:[0,0,1] op_sel_hi:[1,1,0] neg_lo:[0,0,1] neg_hi:[0,0,1]
	v_pk_fma_f32 v[12:13], v[12:13], v[8:9], v[18:19] op_sel:[0,0,1] op_sel_hi:[1,0,0]
	v_mov_b32_e32 v29, v13
	v_pk_mul_f32 v[12:13], v[14:15], v[10:11] op_sel:[0,1]
	s_delay_alu instid0(VALU_DEP_1) | instskip(SKIP_1) | instid1(VALU_DEP_1)
	v_pk_fma_f32 v[18:19], v[14:15], v[8:9], v[12:13] op_sel:[0,0,1] op_sel_hi:[1,1,0] neg_lo:[0,0,1] neg_hi:[0,0,1]
	v_pk_fma_f32 v[12:13], v[14:15], v[8:9], v[12:13] op_sel:[0,0,1] op_sel_hi:[1,0,0]
	v_mov_b32_e32 v19, v13
	ds_load_2addr_b64 v[12:15], v182 offset0:55 offset1:56
	v_pk_add_f32 v[212:213], v[212:213], v[28:29] neg_lo:[0,1] neg_hi:[0,1]
	v_pk_add_f32 v[218:219], v[218:219], v[18:19] neg_lo:[0,1] neg_hi:[0,1]
	s_wait_dscnt 0x0
	v_dual_mul_f32 v18, v13, v11 :: v_dual_mul_f32 v28, v13, v8
	v_pk_mul_f32 v[10:11], v[14:15], v[10:11] op_sel:[0,1]
	s_delay_alu instid0(VALU_DEP_2) | instskip(NEXT) | instid1(VALU_DEP_3)
	v_pk_fma_f32 v[18:19], v[12:13], v[80:81], v[18:19] op_sel_hi:[1,1,0] neg_lo:[0,0,1] neg_hi:[0,0,1]
	v_pk_fma_f32 v[12:13], v[12:13], v[80:81], v[28:29] op_sel:[1,0,0] op_sel_hi:[0,1,0]
	s_delay_alu instid0(VALU_DEP_1) | instskip(NEXT) | instid1(VALU_DEP_4)
	v_mov_b32_e32 v19, v13
	v_pk_fma_f32 v[12:13], v[14:15], v[8:9], v[10:11] op_sel:[0,0,1] op_sel_hi:[1,1,0] neg_lo:[0,0,1] neg_hi:[0,0,1]
	v_pk_fma_f32 v[8:9], v[14:15], v[8:9], v[10:11] op_sel:[0,0,1] op_sel_hi:[1,0,0]
	s_delay_alu instid0(VALU_DEP_1) | instskip(NEXT) | instid1(VALU_DEP_4)
	v_mov_b32_e32 v13, v9
	v_pk_add_f32 v[226:227], v[226:227], v[18:19] neg_lo:[0,1] neg_hi:[0,1]
	s_delay_alu instid0(VALU_DEP_2)
	v_pk_add_f32 v[228:229], v[228:229], v[12:13] neg_lo:[0,1] neg_hi:[0,1]
.LBB113_154:
	s_or_b32 exec_lo, exec_lo, s1
	s_delay_alu instid0(SALU_CYCLE_1)
	s_mov_b32 s2, exec_lo
	s_wait_dscnt 0x0
	s_barrier_signal -1
	s_barrier_wait -1
	v_cmpx_eq_u32_e32 17, v180
	s_cbranch_execz .LBB113_161
; %bb.155:
	v_dual_mov_b32 v8, v78 :: v_dual_mov_b32 v9, v79
	v_dual_mov_b32 v10, v74 :: v_dual_mov_b32 v11, v75
	ds_store_b64 v181, v[76:77]
	ds_store_2addr_b64 v182, v[8:9], v[10:11] offset0:18 offset1:19
	v_dual_mov_b32 v8, v98 :: v_dual_mov_b32 v9, v99
	v_dual_mov_b32 v10, v94 :: v_dual_mov_b32 v11, v95
	ds_store_2addr_b64 v182, v[8:9], v[10:11] offset0:20 offset1:21
	v_dual_mov_b32 v8, v96 :: v_dual_mov_b32 v9, v97
	v_dual_mov_b32 v10, v92 :: v_dual_mov_b32 v11, v93
	;; [unrolled: 3-line block ×18, first 2 shown]
	ds_store_2addr_b64 v182, v[8:9], v[10:11] offset0:54 offset1:55
	ds_store_b64 v182, v[228:229] offset:448
	ds_load_b64 v[8:9], v181
	s_wait_dscnt 0x0
	v_cmp_neq_f32_e32 vcc_lo, 0, v8
	v_cmp_neq_f32_e64 s1, 0, v9
	s_or_b32 s1, vcc_lo, s1
	s_delay_alu instid0(SALU_CYCLE_1)
	s_and_b32 exec_lo, exec_lo, s1
	s_cbranch_execz .LBB113_161
; %bb.156:
	v_cmp_ngt_f32_e64 s1, |v8|, |v9|
                                        ; implicit-def: $vgpr10_vgpr11
	s_and_saveexec_b32 s4, s1
	s_delay_alu instid0(SALU_CYCLE_1)
	s_xor_b32 s1, exec_lo, s4
	s_cbranch_execz .LBB113_158
; %bb.157:
	v_div_scale_f32 v10, null, v9, v9, v8
	v_div_scale_f32 v13, vcc_lo, v8, v9, v8
	s_delay_alu instid0(VALU_DEP_2) | instskip(SKIP_1) | instid1(TRANS32_DEP_1)
	v_rcp_f32_e32 v11, v10
	v_nop
	v_fma_f32 v12, -v10, v11, 1.0
	s_delay_alu instid0(VALU_DEP_1) | instskip(NEXT) | instid1(VALU_DEP_1)
	v_fmac_f32_e32 v11, v12, v11
	v_mul_f32_e32 v12, v13, v11
	s_delay_alu instid0(VALU_DEP_1) | instskip(NEXT) | instid1(VALU_DEP_1)
	v_fma_f32 v14, -v10, v12, v13
	v_fmac_f32_e32 v12, v14, v11
	s_delay_alu instid0(VALU_DEP_1) | instskip(NEXT) | instid1(VALU_DEP_1)
	v_fma_f32 v10, -v10, v12, v13
	v_div_fmas_f32 v10, v10, v11, v12
	s_delay_alu instid0(VALU_DEP_1) | instskip(NEXT) | instid1(VALU_DEP_1)
	v_div_fixup_f32 v10, v10, v9, v8
	v_fmac_f32_e32 v9, v8, v10
	s_delay_alu instid0(VALU_DEP_1) | instskip(SKIP_1) | instid1(VALU_DEP_2)
	v_div_scale_f32 v8, null, v9, v9, 1.0
	v_div_scale_f32 v13, vcc_lo, 1.0, v9, 1.0
	v_rcp_f32_e32 v11, v8
	v_nop
	s_delay_alu instid0(TRANS32_DEP_1) | instskip(NEXT) | instid1(VALU_DEP_1)
	v_fma_f32 v12, -v8, v11, 1.0
	v_fmac_f32_e32 v11, v12, v11
	s_delay_alu instid0(VALU_DEP_1) | instskip(NEXT) | instid1(VALU_DEP_1)
	v_mul_f32_e32 v12, v13, v11
	v_fma_f32 v14, -v8, v12, v13
	s_delay_alu instid0(VALU_DEP_1) | instskip(NEXT) | instid1(VALU_DEP_1)
	v_fmac_f32_e32 v12, v14, v11
	v_fma_f32 v8, -v8, v12, v13
	s_delay_alu instid0(VALU_DEP_1) | instskip(NEXT) | instid1(VALU_DEP_1)
	v_div_fmas_f32 v8, v8, v11, v12
	v_div_fixup_f32 v8, v8, v9, 1.0
	s_delay_alu instid0(VALU_DEP_1)
	v_mul_f32_e32 v10, v10, v8
	v_xor_b32_e32 v11, 0x80000000, v8
                                        ; implicit-def: $vgpr8_vgpr9
.LBB113_158:
	s_and_not1_saveexec_b32 s1, s1
	s_cbranch_execz .LBB113_160
; %bb.159:
	v_div_scale_f32 v10, null, v8, v8, v9
	v_div_scale_f32 v13, vcc_lo, v9, v8, v9
	s_delay_alu instid0(VALU_DEP_2) | instskip(SKIP_1) | instid1(TRANS32_DEP_1)
	v_rcp_f32_e32 v11, v10
	v_nop
	v_fma_f32 v12, -v10, v11, 1.0
	s_delay_alu instid0(VALU_DEP_1) | instskip(NEXT) | instid1(VALU_DEP_1)
	v_fmac_f32_e32 v11, v12, v11
	v_mul_f32_e32 v12, v13, v11
	s_delay_alu instid0(VALU_DEP_1) | instskip(NEXT) | instid1(VALU_DEP_1)
	v_fma_f32 v14, -v10, v12, v13
	v_fmac_f32_e32 v12, v14, v11
	s_delay_alu instid0(VALU_DEP_1) | instskip(NEXT) | instid1(VALU_DEP_1)
	v_fma_f32 v10, -v10, v12, v13
	v_div_fmas_f32 v10, v10, v11, v12
	s_delay_alu instid0(VALU_DEP_1) | instskip(NEXT) | instid1(VALU_DEP_1)
	v_div_fixup_f32 v11, v10, v8, v9
	v_fmac_f32_e32 v8, v9, v11
	s_delay_alu instid0(VALU_DEP_1) | instskip(NEXT) | instid1(VALU_DEP_1)
	v_div_scale_f32 v9, null, v8, v8, 1.0
	v_rcp_f32_e32 v10, v9
	v_nop
	s_delay_alu instid0(TRANS32_DEP_1) | instskip(NEXT) | instid1(VALU_DEP_1)
	v_fma_f32 v12, -v9, v10, 1.0
	v_fmac_f32_e32 v10, v12, v10
	v_div_scale_f32 v12, vcc_lo, 1.0, v8, 1.0
	s_delay_alu instid0(VALU_DEP_1) | instskip(NEXT) | instid1(VALU_DEP_1)
	v_mul_f32_e32 v13, v12, v10
	v_fma_f32 v14, -v9, v13, v12
	s_delay_alu instid0(VALU_DEP_1) | instskip(NEXT) | instid1(VALU_DEP_1)
	v_fmac_f32_e32 v13, v14, v10
	v_fma_f32 v9, -v9, v13, v12
	s_delay_alu instid0(VALU_DEP_1) | instskip(NEXT) | instid1(VALU_DEP_1)
	v_div_fmas_f32 v9, v9, v10, v13
	v_div_fixup_f32 v10, v9, v8, 1.0
	s_delay_alu instid0(VALU_DEP_1)
	v_mul_f32_e64 v11, v11, -v10
.LBB113_160:
	s_or_b32 exec_lo, exec_lo, s1
	ds_store_b64 v181, v[10:11]
.LBB113_161:
	s_or_b32 exec_lo, exec_lo, s2
	s_wait_dscnt 0x0
	s_barrier_signal -1
	s_barrier_wait -1
	ds_load_b64 v[8:9], v181
	s_mov_b32 s1, exec_lo
	v_cmpx_lt_u32_e32 17, v180
	s_cbranch_execz .LBB113_163
; %bb.162:
	ds_load_2addr_b64 v[28:31], v182 offset0:18 offset1:19
	s_wait_dscnt 0x1
	v_pk_mul_f32 v[12:13], v[8:9], v[76:77] op_sel:[1,1] op_sel_hi:[0,1]
	s_delay_alu instid0(VALU_DEP_1) | instskip(SKIP_1) | instid1(VALU_DEP_1)
	v_pk_fma_f32 v[10:11], v[8:9], v[76:77], v[12:13] op_sel_hi:[1,0,1] neg_lo:[0,0,1] neg_hi:[0,0,1]
	v_pk_fma_f32 v[12:13], v[8:9], v[76:77], v[12:13] op_sel_hi:[1,0,1]
	v_dual_mov_b32 v76, v10 :: v_dual_mov_b32 v77, v13
	s_wait_dscnt 0x0
	s_delay_alu instid0(VALU_DEP_2) | instskip(NEXT) | instid1(VALU_DEP_1)
	v_pk_mul_f32 v[14:15], v[28:29], v[12:13] op_sel:[0,1]
	v_pk_fma_f32 v[18:19], v[28:29], v[10:11], v[14:15] op_sel:[0,0,1] op_sel_hi:[1,1,0] neg_lo:[0,0,1] neg_hi:[0,0,1]
	v_pk_fma_f32 v[14:15], v[28:29], v[10:11], v[14:15] op_sel:[0,0,1] op_sel_hi:[1,0,0]
	s_delay_alu instid0(VALU_DEP_1) | instskip(SKIP_1) | instid1(VALU_DEP_2)
	v_mov_b32_e32 v19, v15
	v_pk_mul_f32 v[14:15], v[30:31], v[12:13] op_sel:[0,1]
	v_pk_add_f32 v[78:79], v[78:79], v[18:19] neg_lo:[0,1] neg_hi:[0,1]
	s_delay_alu instid0(VALU_DEP_2) | instskip(SKIP_3) | instid1(VALU_DEP_1)
	v_pk_fma_f32 v[18:19], v[30:31], v[10:11], v[14:15] op_sel:[0,0,1] op_sel_hi:[1,1,0] neg_lo:[0,0,1] neg_hi:[0,0,1]
	v_pk_fma_f32 v[14:15], v[30:31], v[10:11], v[14:15] op_sel:[0,0,1] op_sel_hi:[1,0,0]
	ds_load_2addr_b64 v[28:31], v182 offset0:20 offset1:21
	v_mov_b32_e32 v19, v15
	v_pk_add_f32 v[74:75], v[74:75], v[18:19] neg_lo:[0,1] neg_hi:[0,1]
	s_wait_dscnt 0x0
	v_pk_mul_f32 v[14:15], v[28:29], v[12:13] op_sel:[0,1]
	s_delay_alu instid0(VALU_DEP_1) | instskip(SKIP_2) | instid1(VALU_DEP_2)
	v_pk_fma_f32 v[18:19], v[28:29], v[10:11], v[14:15] op_sel:[0,0,1] op_sel_hi:[1,1,0] neg_lo:[0,0,1] neg_hi:[0,0,1]
	v_pk_fma_f32 v[14:15], v[28:29], v[10:11], v[14:15] op_sel:[0,0,1] op_sel_hi:[1,0,0]
	v_dual_mov_b32 v14, v31 :: v_dual_mul_f32 v28, v31, v10
	v_dual_mov_b32 v19, v15 :: v_dual_mov_b32 v15, v30
	s_delay_alu instid0(VALU_DEP_1) | instskip(SKIP_1) | instid1(VALU_DEP_3)
	v_pk_add_f32 v[98:99], v[98:99], v[18:19] neg_lo:[0,1] neg_hi:[0,1]
	v_mul_f32_e32 v18, v31, v13
	v_pk_fma_f32 v[14:15], v[14:15], v[76:77], v[28:29] op_sel_hi:[1,1,0]
	s_delay_alu instid0(VALU_DEP_2) | instskip(SKIP_2) | instid1(VALU_DEP_1)
	v_pk_fma_f32 v[18:19], v[30:31], v[76:77], v[18:19] op_sel_hi:[1,1,0] neg_lo:[0,0,1] neg_hi:[0,0,1]
	ds_load_2addr_b64 v[28:31], v182 offset0:22 offset1:23
	v_mov_b32_e32 v19, v15
	v_pk_add_f32 v[94:95], v[94:95], v[18:19] neg_lo:[0,1] neg_hi:[0,1]
	s_wait_dscnt 0x0
	v_pk_mul_f32 v[14:15], v[28:29], v[12:13] op_sel:[0,1]
	s_delay_alu instid0(VALU_DEP_1) | instskip(SKIP_1) | instid1(VALU_DEP_1)
	v_pk_fma_f32 v[18:19], v[28:29], v[10:11], v[14:15] op_sel:[0,0,1] op_sel_hi:[1,1,0] neg_lo:[0,0,1] neg_hi:[0,0,1]
	v_pk_fma_f32 v[14:15], v[28:29], v[10:11], v[14:15] op_sel:[0,0,1] op_sel_hi:[1,0,0]
	v_mov_b32_e32 v19, v15
	v_pk_mul_f32 v[14:15], v[30:31], v[12:13] op_sel:[0,1]
	s_delay_alu instid0(VALU_DEP_2) | instskip(NEXT) | instid1(VALU_DEP_2)
	v_pk_add_f32 v[96:97], v[96:97], v[18:19] neg_lo:[0,1] neg_hi:[0,1]
	v_pk_fma_f32 v[18:19], v[30:31], v[10:11], v[14:15] op_sel:[0,0,1] op_sel_hi:[1,1,0] neg_lo:[0,0,1] neg_hi:[0,0,1]
	v_pk_fma_f32 v[14:15], v[30:31], v[10:11], v[14:15] op_sel:[0,0,1] op_sel_hi:[1,0,0]
	ds_load_2addr_b64 v[28:31], v182 offset0:24 offset1:25
	v_mov_b32_e32 v19, v15
	s_delay_alu instid0(VALU_DEP_1) | instskip(SKIP_2) | instid1(VALU_DEP_1)
	v_pk_add_f32 v[92:93], v[92:93], v[18:19] neg_lo:[0,1] neg_hi:[0,1]
	s_wait_dscnt 0x0
	v_pk_mul_f32 v[14:15], v[28:29], v[12:13] op_sel:[0,1]
	v_pk_fma_f32 v[18:19], v[28:29], v[10:11], v[14:15] op_sel:[0,0,1] op_sel_hi:[1,1,0] neg_lo:[0,0,1] neg_hi:[0,0,1]
	v_pk_fma_f32 v[14:15], v[28:29], v[10:11], v[14:15] op_sel:[0,0,1] op_sel_hi:[1,0,0]
	s_delay_alu instid0(VALU_DEP_1) | instskip(SKIP_1) | instid1(VALU_DEP_2)
	v_mov_b32_e32 v19, v15
	v_pk_mul_f32 v[14:15], v[30:31], v[12:13] op_sel:[0,1]
	v_pk_add_f32 v[114:115], v[114:115], v[18:19] neg_lo:[0,1] neg_hi:[0,1]
	s_delay_alu instid0(VALU_DEP_2) | instskip(SKIP_3) | instid1(VALU_DEP_1)
	v_pk_fma_f32 v[18:19], v[30:31], v[10:11], v[14:15] op_sel:[0,0,1] op_sel_hi:[1,1,0] neg_lo:[0,0,1] neg_hi:[0,0,1]
	v_pk_fma_f32 v[14:15], v[30:31], v[10:11], v[14:15] op_sel:[0,0,1] op_sel_hi:[1,0,0]
	ds_load_2addr_b64 v[28:31], v182 offset0:26 offset1:27
	v_mov_b32_e32 v19, v15
	v_pk_add_f32 v[110:111], v[110:111], v[18:19] neg_lo:[0,1] neg_hi:[0,1]
	s_wait_dscnt 0x0
	v_dual_mul_f32 v18, v29, v10 :: v_dual_mul_f32 v14, v29, v13
	s_delay_alu instid0(VALU_DEP_1) | instskip(NEXT) | instid1(VALU_DEP_2)
	v_pk_fma_f32 v[18:19], v[28:29], v[76:77], v[18:19] op_sel:[1,0,0] op_sel_hi:[0,1,0]
	v_pk_fma_f32 v[14:15], v[28:29], v[76:77], v[14:15] op_sel_hi:[1,1,0] neg_lo:[0,0,1] neg_hi:[0,0,1]
	s_delay_alu instid0(VALU_DEP_2) | instskip(NEXT) | instid1(VALU_DEP_1)
	v_mov_b32_e32 v15, v19
	v_pk_add_f32 v[112:113], v[112:113], v[14:15] neg_lo:[0,1] neg_hi:[0,1]
	v_pk_mul_f32 v[14:15], v[30:31], v[12:13] op_sel:[0,1]
	s_delay_alu instid0(VALU_DEP_1) | instskip(SKIP_3) | instid1(VALU_DEP_1)
	v_pk_fma_f32 v[18:19], v[30:31], v[10:11], v[14:15] op_sel:[0,0,1] op_sel_hi:[1,1,0] neg_lo:[0,0,1] neg_hi:[0,0,1]
	v_pk_fma_f32 v[14:15], v[30:31], v[10:11], v[14:15] op_sel:[0,0,1] op_sel_hi:[1,0,0]
	ds_load_2addr_b64 v[28:31], v182 offset0:28 offset1:29
	v_mov_b32_e32 v19, v15
	v_pk_add_f32 v[108:109], v[108:109], v[18:19] neg_lo:[0,1] neg_hi:[0,1]
	s_wait_dscnt 0x0
	v_pk_mul_f32 v[14:15], v[28:29], v[12:13] op_sel:[0,1]
	s_delay_alu instid0(VALU_DEP_1) | instskip(SKIP_1) | instid1(VALU_DEP_1)
	v_pk_fma_f32 v[18:19], v[28:29], v[10:11], v[14:15] op_sel:[0,0,1] op_sel_hi:[1,1,0] neg_lo:[0,0,1] neg_hi:[0,0,1]
	v_pk_fma_f32 v[14:15], v[28:29], v[10:11], v[14:15] op_sel:[0,0,1] op_sel_hi:[1,0,0]
	v_mov_b32_e32 v19, v15
	v_pk_mul_f32 v[14:15], v[30:31], v[12:13] op_sel:[0,1]
	s_delay_alu instid0(VALU_DEP_2) | instskip(NEXT) | instid1(VALU_DEP_2)
	v_pk_add_f32 v[130:131], v[130:131], v[18:19] neg_lo:[0,1] neg_hi:[0,1]
	v_pk_fma_f32 v[18:19], v[30:31], v[10:11], v[14:15] op_sel:[0,0,1] op_sel_hi:[1,1,0] neg_lo:[0,0,1] neg_hi:[0,0,1]
	v_pk_fma_f32 v[14:15], v[30:31], v[10:11], v[14:15] op_sel:[0,0,1] op_sel_hi:[1,0,0]
	ds_load_2addr_b64 v[28:31], v182 offset0:30 offset1:31
	v_mov_b32_e32 v19, v15
	s_delay_alu instid0(VALU_DEP_1) | instskip(SKIP_2) | instid1(VALU_DEP_1)
	v_pk_add_f32 v[126:127], v[126:127], v[18:19] neg_lo:[0,1] neg_hi:[0,1]
	s_wait_dscnt 0x0
	v_pk_mul_f32 v[14:15], v[28:29], v[12:13] op_sel:[0,1]
	v_pk_fma_f32 v[18:19], v[28:29], v[10:11], v[14:15] op_sel:[0,0,1] op_sel_hi:[1,1,0] neg_lo:[0,0,1] neg_hi:[0,0,1]
	v_pk_fma_f32 v[14:15], v[28:29], v[10:11], v[14:15] op_sel:[0,0,1] op_sel_hi:[1,0,0]
	v_dual_mov_b32 v14, v31 :: v_dual_mul_f32 v28, v31, v10
	s_delay_alu instid0(VALU_DEP_2) | instskip(NEXT) | instid1(VALU_DEP_1)
	v_dual_mov_b32 v19, v15 :: v_dual_mov_b32 v15, v30
	v_pk_add_f32 v[128:129], v[128:129], v[18:19] neg_lo:[0,1] neg_hi:[0,1]
	v_mul_f32_e32 v18, v31, v13
	s_delay_alu instid0(VALU_DEP_3) | instskip(NEXT) | instid1(VALU_DEP_2)
	v_pk_fma_f32 v[14:15], v[14:15], v[76:77], v[28:29] op_sel_hi:[1,1,0]
	v_pk_fma_f32 v[18:19], v[30:31], v[76:77], v[18:19] op_sel_hi:[1,1,0] neg_lo:[0,0,1] neg_hi:[0,0,1]
	ds_load_2addr_b64 v[28:31], v182 offset0:32 offset1:33
	v_mov_b32_e32 v19, v15
	s_delay_alu instid0(VALU_DEP_1) | instskip(SKIP_2) | instid1(VALU_DEP_1)
	v_pk_add_f32 v[124:125], v[124:125], v[18:19] neg_lo:[0,1] neg_hi:[0,1]
	s_wait_dscnt 0x0
	v_pk_mul_f32 v[14:15], v[28:29], v[12:13] op_sel:[0,1]
	v_pk_fma_f32 v[18:19], v[28:29], v[10:11], v[14:15] op_sel:[0,0,1] op_sel_hi:[1,1,0] neg_lo:[0,0,1] neg_hi:[0,0,1]
	v_pk_fma_f32 v[14:15], v[28:29], v[10:11], v[14:15] op_sel:[0,0,1] op_sel_hi:[1,0,0]
	s_delay_alu instid0(VALU_DEP_1) | instskip(SKIP_1) | instid1(VALU_DEP_2)
	v_mov_b32_e32 v19, v15
	v_pk_mul_f32 v[14:15], v[30:31], v[12:13] op_sel:[0,1]
	v_pk_add_f32 v[146:147], v[146:147], v[18:19] neg_lo:[0,1] neg_hi:[0,1]
	s_delay_alu instid0(VALU_DEP_2) | instskip(SKIP_3) | instid1(VALU_DEP_1)
	v_pk_fma_f32 v[18:19], v[30:31], v[10:11], v[14:15] op_sel:[0,0,1] op_sel_hi:[1,1,0] neg_lo:[0,0,1] neg_hi:[0,0,1]
	v_pk_fma_f32 v[14:15], v[30:31], v[10:11], v[14:15] op_sel:[0,0,1] op_sel_hi:[1,0,0]
	ds_load_2addr_b64 v[28:31], v182 offset0:34 offset1:35
	v_mov_b32_e32 v19, v15
	v_pk_add_f32 v[142:143], v[142:143], v[18:19] neg_lo:[0,1] neg_hi:[0,1]
	s_wait_dscnt 0x0
	v_pk_mul_f32 v[14:15], v[28:29], v[12:13] op_sel:[0,1]
	s_delay_alu instid0(VALU_DEP_1) | instskip(SKIP_1) | instid1(VALU_DEP_1)
	v_pk_fma_f32 v[18:19], v[28:29], v[10:11], v[14:15] op_sel:[0,0,1] op_sel_hi:[1,1,0] neg_lo:[0,0,1] neg_hi:[0,0,1]
	v_pk_fma_f32 v[14:15], v[28:29], v[10:11], v[14:15] op_sel:[0,0,1] op_sel_hi:[1,0,0]
	v_mov_b32_e32 v19, v15
	v_pk_mul_f32 v[14:15], v[30:31], v[12:13] op_sel:[0,1]
	s_delay_alu instid0(VALU_DEP_2) | instskip(NEXT) | instid1(VALU_DEP_2)
	v_pk_add_f32 v[144:145], v[144:145], v[18:19] neg_lo:[0,1] neg_hi:[0,1]
	v_pk_fma_f32 v[18:19], v[30:31], v[10:11], v[14:15] op_sel:[0,0,1] op_sel_hi:[1,1,0] neg_lo:[0,0,1] neg_hi:[0,0,1]
	v_pk_fma_f32 v[14:15], v[30:31], v[10:11], v[14:15] op_sel:[0,0,1] op_sel_hi:[1,0,0]
	ds_load_2addr_b64 v[28:31], v182 offset0:36 offset1:37
	v_mov_b32_e32 v19, v15
	s_delay_alu instid0(VALU_DEP_1) | instskip(SKIP_2) | instid1(VALU_DEP_1)
	v_pk_add_f32 v[140:141], v[140:141], v[18:19] neg_lo:[0,1] neg_hi:[0,1]
	s_wait_dscnt 0x0
	v_dual_mul_f32 v18, v29, v10 :: v_dual_mul_f32 v14, v29, v13
	v_pk_fma_f32 v[18:19], v[28:29], v[76:77], v[18:19] op_sel:[1,0,0] op_sel_hi:[0,1,0]
	s_delay_alu instid0(VALU_DEP_2) | instskip(NEXT) | instid1(VALU_DEP_2)
	v_pk_fma_f32 v[14:15], v[28:29], v[76:77], v[14:15] op_sel_hi:[1,1,0] neg_lo:[0,0,1] neg_hi:[0,0,1]
	v_mov_b32_e32 v15, v19
	s_delay_alu instid0(VALU_DEP_1) | instskip(SKIP_1) | instid1(VALU_DEP_1)
	v_pk_add_f32 v[162:163], v[162:163], v[14:15] neg_lo:[0,1] neg_hi:[0,1]
	v_pk_mul_f32 v[14:15], v[30:31], v[12:13] op_sel:[0,1]
	v_pk_fma_f32 v[18:19], v[30:31], v[10:11], v[14:15] op_sel:[0,0,1] op_sel_hi:[1,1,0] neg_lo:[0,0,1] neg_hi:[0,0,1]
	v_pk_fma_f32 v[14:15], v[30:31], v[10:11], v[14:15] op_sel:[0,0,1] op_sel_hi:[1,0,0]
	ds_load_2addr_b64 v[28:31], v182 offset0:38 offset1:39
	v_mov_b32_e32 v19, v15
	s_delay_alu instid0(VALU_DEP_1) | instskip(SKIP_2) | instid1(VALU_DEP_1)
	v_pk_add_f32 v[158:159], v[158:159], v[18:19] neg_lo:[0,1] neg_hi:[0,1]
	s_wait_dscnt 0x0
	v_pk_mul_f32 v[14:15], v[28:29], v[12:13] op_sel:[0,1]
	v_pk_fma_f32 v[18:19], v[28:29], v[10:11], v[14:15] op_sel:[0,0,1] op_sel_hi:[1,1,0] neg_lo:[0,0,1] neg_hi:[0,0,1]
	v_pk_fma_f32 v[14:15], v[28:29], v[10:11], v[14:15] op_sel:[0,0,1] op_sel_hi:[1,0,0]
	s_delay_alu instid0(VALU_DEP_1) | instskip(SKIP_1) | instid1(VALU_DEP_2)
	v_mov_b32_e32 v19, v15
	v_pk_mul_f32 v[14:15], v[30:31], v[12:13] op_sel:[0,1]
	v_pk_add_f32 v[160:161], v[160:161], v[18:19] neg_lo:[0,1] neg_hi:[0,1]
	s_delay_alu instid0(VALU_DEP_2) | instskip(SKIP_3) | instid1(VALU_DEP_1)
	v_pk_fma_f32 v[18:19], v[30:31], v[10:11], v[14:15] op_sel:[0,0,1] op_sel_hi:[1,1,0] neg_lo:[0,0,1] neg_hi:[0,0,1]
	v_pk_fma_f32 v[14:15], v[30:31], v[10:11], v[14:15] op_sel:[0,0,1] op_sel_hi:[1,0,0]
	ds_load_2addr_b64 v[28:31], v182 offset0:40 offset1:41
	v_mov_b32_e32 v19, v15
	v_pk_add_f32 v[156:157], v[156:157], v[18:19] neg_lo:[0,1] neg_hi:[0,1]
	s_wait_dscnt 0x0
	v_pk_mul_f32 v[14:15], v[28:29], v[12:13] op_sel:[0,1]
	s_delay_alu instid0(VALU_DEP_1) | instskip(SKIP_2) | instid1(VALU_DEP_2)
	v_pk_fma_f32 v[18:19], v[28:29], v[10:11], v[14:15] op_sel:[0,0,1] op_sel_hi:[1,1,0] neg_lo:[0,0,1] neg_hi:[0,0,1]
	v_pk_fma_f32 v[14:15], v[28:29], v[10:11], v[14:15] op_sel:[0,0,1] op_sel_hi:[1,0,0]
	v_dual_mov_b32 v14, v31 :: v_dual_mul_f32 v28, v31, v10
	v_dual_mov_b32 v19, v15 :: v_dual_mov_b32 v15, v30
	s_delay_alu instid0(VALU_DEP_1) | instskip(SKIP_1) | instid1(VALU_DEP_3)
	v_pk_add_f32 v[178:179], v[178:179], v[18:19] neg_lo:[0,1] neg_hi:[0,1]
	v_mul_f32_e32 v18, v31, v13
	v_pk_fma_f32 v[14:15], v[14:15], v[76:77], v[28:29] op_sel_hi:[1,1,0]
	s_delay_alu instid0(VALU_DEP_2) | instskip(SKIP_2) | instid1(VALU_DEP_1)
	v_pk_fma_f32 v[18:19], v[30:31], v[76:77], v[18:19] op_sel_hi:[1,1,0] neg_lo:[0,0,1] neg_hi:[0,0,1]
	ds_load_2addr_b64 v[28:31], v182 offset0:42 offset1:43
	v_mov_b32_e32 v19, v15
	v_pk_add_f32 v[174:175], v[174:175], v[18:19] neg_lo:[0,1] neg_hi:[0,1]
	s_wait_dscnt 0x0
	v_pk_mul_f32 v[14:15], v[28:29], v[12:13] op_sel:[0,1]
	s_delay_alu instid0(VALU_DEP_1) | instskip(SKIP_1) | instid1(VALU_DEP_1)
	v_pk_fma_f32 v[18:19], v[28:29], v[10:11], v[14:15] op_sel:[0,0,1] op_sel_hi:[1,1,0] neg_lo:[0,0,1] neg_hi:[0,0,1]
	v_pk_fma_f32 v[14:15], v[28:29], v[10:11], v[14:15] op_sel:[0,0,1] op_sel_hi:[1,0,0]
	v_mov_b32_e32 v19, v15
	v_pk_mul_f32 v[14:15], v[30:31], v[12:13] op_sel:[0,1]
	s_delay_alu instid0(VALU_DEP_2) | instskip(NEXT) | instid1(VALU_DEP_2)
	v_pk_add_f32 v[176:177], v[176:177], v[18:19] neg_lo:[0,1] neg_hi:[0,1]
	v_pk_fma_f32 v[18:19], v[30:31], v[10:11], v[14:15] op_sel:[0,0,1] op_sel_hi:[1,1,0] neg_lo:[0,0,1] neg_hi:[0,0,1]
	v_pk_fma_f32 v[14:15], v[30:31], v[10:11], v[14:15] op_sel:[0,0,1] op_sel_hi:[1,0,0]
	ds_load_2addr_b64 v[28:31], v182 offset0:44 offset1:45
	v_mov_b32_e32 v19, v15
	s_delay_alu instid0(VALU_DEP_1) | instskip(SKIP_2) | instid1(VALU_DEP_1)
	v_pk_add_f32 v[172:173], v[172:173], v[18:19] neg_lo:[0,1] neg_hi:[0,1]
	s_wait_dscnt 0x0
	v_pk_mul_f32 v[14:15], v[28:29], v[12:13] op_sel:[0,1]
	v_pk_fma_f32 v[18:19], v[28:29], v[10:11], v[14:15] op_sel:[0,0,1] op_sel_hi:[1,1,0] neg_lo:[0,0,1] neg_hi:[0,0,1]
	v_pk_fma_f32 v[14:15], v[28:29], v[10:11], v[14:15] op_sel:[0,0,1] op_sel_hi:[1,0,0]
	s_delay_alu instid0(VALU_DEP_1) | instskip(SKIP_1) | instid1(VALU_DEP_2)
	v_mov_b32_e32 v19, v15
	v_pk_mul_f32 v[14:15], v[30:31], v[12:13] op_sel:[0,1]
	v_pk_add_f32 v[200:201], v[200:201], v[18:19] neg_lo:[0,1] neg_hi:[0,1]
	s_delay_alu instid0(VALU_DEP_2) | instskip(SKIP_3) | instid1(VALU_DEP_1)
	v_pk_fma_f32 v[18:19], v[30:31], v[10:11], v[14:15] op_sel:[0,0,1] op_sel_hi:[1,1,0] neg_lo:[0,0,1] neg_hi:[0,0,1]
	v_pk_fma_f32 v[14:15], v[30:31], v[10:11], v[14:15] op_sel:[0,0,1] op_sel_hi:[1,0,0]
	ds_load_2addr_b64 v[28:31], v182 offset0:46 offset1:47
	v_mov_b32_e32 v19, v15
	v_pk_add_f32 v[196:197], v[196:197], v[18:19] neg_lo:[0,1] neg_hi:[0,1]
	s_wait_dscnt 0x0
	v_dual_mul_f32 v18, v29, v10 :: v_dual_mul_f32 v14, v29, v13
	s_delay_alu instid0(VALU_DEP_1) | instskip(NEXT) | instid1(VALU_DEP_2)
	v_pk_fma_f32 v[18:19], v[28:29], v[76:77], v[18:19] op_sel:[1,0,0] op_sel_hi:[0,1,0]
	v_pk_fma_f32 v[14:15], v[28:29], v[76:77], v[14:15] op_sel_hi:[1,1,0] neg_lo:[0,0,1] neg_hi:[0,0,1]
	s_delay_alu instid0(VALU_DEP_2) | instskip(NEXT) | instid1(VALU_DEP_1)
	v_mov_b32_e32 v15, v19
	v_pk_add_f32 v[198:199], v[198:199], v[14:15] neg_lo:[0,1] neg_hi:[0,1]
	v_pk_mul_f32 v[14:15], v[30:31], v[12:13] op_sel:[0,1]
	s_delay_alu instid0(VALU_DEP_1) | instskip(SKIP_3) | instid1(VALU_DEP_1)
	v_pk_fma_f32 v[18:19], v[30:31], v[10:11], v[14:15] op_sel:[0,0,1] op_sel_hi:[1,1,0] neg_lo:[0,0,1] neg_hi:[0,0,1]
	v_pk_fma_f32 v[14:15], v[30:31], v[10:11], v[14:15] op_sel:[0,0,1] op_sel_hi:[1,0,0]
	ds_load_2addr_b64 v[28:31], v182 offset0:48 offset1:49
	v_mov_b32_e32 v19, v15
	v_pk_add_f32 v[194:195], v[194:195], v[18:19] neg_lo:[0,1] neg_hi:[0,1]
	s_wait_dscnt 0x0
	v_pk_mul_f32 v[14:15], v[28:29], v[12:13] op_sel:[0,1]
	s_delay_alu instid0(VALU_DEP_1) | instskip(SKIP_1) | instid1(VALU_DEP_1)
	v_pk_fma_f32 v[18:19], v[28:29], v[10:11], v[14:15] op_sel:[0,0,1] op_sel_hi:[1,1,0] neg_lo:[0,0,1] neg_hi:[0,0,1]
	v_pk_fma_f32 v[14:15], v[28:29], v[10:11], v[14:15] op_sel:[0,0,1] op_sel_hi:[1,0,0]
	v_mov_b32_e32 v19, v15
	v_pk_mul_f32 v[14:15], v[30:31], v[12:13] op_sel:[0,1]
	s_delay_alu instid0(VALU_DEP_2) | instskip(NEXT) | instid1(VALU_DEP_2)
	v_pk_add_f32 v[224:225], v[224:225], v[18:19] neg_lo:[0,1] neg_hi:[0,1]
	v_pk_fma_f32 v[18:19], v[30:31], v[10:11], v[14:15] op_sel:[0,0,1] op_sel_hi:[1,1,0] neg_lo:[0,0,1] neg_hi:[0,0,1]
	v_pk_fma_f32 v[14:15], v[30:31], v[10:11], v[14:15] op_sel:[0,0,1] op_sel_hi:[1,0,0]
	ds_load_2addr_b64 v[28:31], v182 offset0:50 offset1:51
	v_mov_b32_e32 v19, v15
	s_delay_alu instid0(VALU_DEP_1) | instskip(SKIP_2) | instid1(VALU_DEP_1)
	v_pk_add_f32 v[216:217], v[216:217], v[18:19] neg_lo:[0,1] neg_hi:[0,1]
	s_wait_dscnt 0x0
	v_pk_mul_f32 v[14:15], v[28:29], v[12:13] op_sel:[0,1]
	v_pk_fma_f32 v[18:19], v[28:29], v[10:11], v[14:15] op_sel:[0,0,1] op_sel_hi:[1,1,0] neg_lo:[0,0,1] neg_hi:[0,0,1]
	v_pk_fma_f32 v[14:15], v[28:29], v[10:11], v[14:15] op_sel:[0,0,1] op_sel_hi:[1,0,0]
	v_dual_mov_b32 v14, v31 :: v_dual_mul_f32 v28, v31, v10
	s_delay_alu instid0(VALU_DEP_2) | instskip(NEXT) | instid1(VALU_DEP_1)
	v_dual_mov_b32 v19, v15 :: v_dual_mov_b32 v15, v30
	v_pk_add_f32 v[222:223], v[222:223], v[18:19] neg_lo:[0,1] neg_hi:[0,1]
	v_mul_f32_e32 v18, v31, v13
	s_delay_alu instid0(VALU_DEP_3) | instskip(NEXT) | instid1(VALU_DEP_2)
	v_pk_fma_f32 v[14:15], v[14:15], v[76:77], v[28:29] op_sel_hi:[1,1,0]
	v_pk_fma_f32 v[18:19], v[30:31], v[76:77], v[18:19] op_sel_hi:[1,1,0] neg_lo:[0,0,1] neg_hi:[0,0,1]
	ds_load_2addr_b64 v[28:31], v182 offset0:52 offset1:53
	v_mov_b32_e32 v19, v15
	s_delay_alu instid0(VALU_DEP_1) | instskip(SKIP_2) | instid1(VALU_DEP_1)
	v_pk_add_f32 v[214:215], v[214:215], v[18:19] neg_lo:[0,1] neg_hi:[0,1]
	s_wait_dscnt 0x0
	v_pk_mul_f32 v[14:15], v[28:29], v[12:13] op_sel:[0,1]
	v_pk_fma_f32 v[18:19], v[28:29], v[10:11], v[14:15] op_sel:[0,0,1] op_sel_hi:[1,1,0] neg_lo:[0,0,1] neg_hi:[0,0,1]
	v_pk_fma_f32 v[14:15], v[28:29], v[10:11], v[14:15] op_sel:[0,0,1] op_sel_hi:[1,0,0]
	s_delay_alu instid0(VALU_DEP_1) | instskip(SKIP_1) | instid1(VALU_DEP_2)
	v_mov_b32_e32 v19, v15
	v_pk_mul_f32 v[14:15], v[30:31], v[12:13] op_sel:[0,1]
	v_pk_add_f32 v[220:221], v[220:221], v[18:19] neg_lo:[0,1] neg_hi:[0,1]
	s_delay_alu instid0(VALU_DEP_2) | instskip(SKIP_3) | instid1(VALU_DEP_1)
	v_pk_fma_f32 v[18:19], v[30:31], v[10:11], v[14:15] op_sel:[0,0,1] op_sel_hi:[1,1,0] neg_lo:[0,0,1] neg_hi:[0,0,1]
	v_pk_fma_f32 v[14:15], v[30:31], v[10:11], v[14:15] op_sel:[0,0,1] op_sel_hi:[1,0,0]
	ds_load_2addr_b64 v[28:31], v182 offset0:54 offset1:55
	v_mov_b32_e32 v19, v15
	v_pk_add_f32 v[212:213], v[212:213], v[18:19] neg_lo:[0,1] neg_hi:[0,1]
	s_wait_dscnt 0x0
	v_pk_mul_f32 v[14:15], v[28:29], v[12:13] op_sel:[0,1]
	s_delay_alu instid0(VALU_DEP_1) | instskip(SKIP_1) | instid1(VALU_DEP_1)
	v_pk_fma_f32 v[18:19], v[28:29], v[10:11], v[14:15] op_sel:[0,0,1] op_sel_hi:[1,1,0] neg_lo:[0,0,1] neg_hi:[0,0,1]
	v_pk_fma_f32 v[14:15], v[28:29], v[10:11], v[14:15] op_sel:[0,0,1] op_sel_hi:[1,0,0]
	v_mov_b32_e32 v19, v15
	v_pk_mul_f32 v[14:15], v[30:31], v[12:13] op_sel:[0,1]
	s_delay_alu instid0(VALU_DEP_2) | instskip(NEXT) | instid1(VALU_DEP_2)
	v_pk_add_f32 v[218:219], v[218:219], v[18:19] neg_lo:[0,1] neg_hi:[0,1]
	v_pk_fma_f32 v[18:19], v[30:31], v[10:11], v[14:15] op_sel:[0,0,1] op_sel_hi:[1,1,0] neg_lo:[0,0,1] neg_hi:[0,0,1]
	v_pk_fma_f32 v[14:15], v[30:31], v[10:11], v[14:15] op_sel:[0,0,1] op_sel_hi:[1,0,0]
	s_delay_alu instid0(VALU_DEP_1) | instskip(SKIP_4) | instid1(VALU_DEP_1)
	v_mov_b32_e32 v19, v15
	ds_load_b64 v[14:15], v182 offset:448
	v_pk_add_f32 v[226:227], v[226:227], v[18:19] neg_lo:[0,1] neg_hi:[0,1]
	s_wait_dscnt 0x0
	v_pk_mul_f32 v[12:13], v[14:15], v[12:13] op_sel:[0,1]
	v_pk_fma_f32 v[18:19], v[14:15], v[10:11], v[12:13] op_sel:[0,0,1] op_sel_hi:[1,1,0] neg_lo:[0,0,1] neg_hi:[0,0,1]
	v_pk_fma_f32 v[10:11], v[14:15], v[10:11], v[12:13] op_sel:[0,0,1] op_sel_hi:[1,0,0]
	s_delay_alu instid0(VALU_DEP_1) | instskip(NEXT) | instid1(VALU_DEP_1)
	v_mov_b32_e32 v19, v11
	v_pk_add_f32 v[228:229], v[228:229], v[18:19] neg_lo:[0,1] neg_hi:[0,1]
.LBB113_163:
	s_or_b32 exec_lo, exec_lo, s1
	s_delay_alu instid0(SALU_CYCLE_1)
	s_mov_b32 s2, exec_lo
	s_wait_dscnt 0x0
	s_barrier_signal -1
	s_barrier_wait -1
	v_cmpx_eq_u32_e32 18, v180
	s_cbranch_execz .LBB113_170
; %bb.164:
	ds_store_b64 v181, v[78:79]
	ds_store_2addr_b64 v182, v[74:75], v[98:99] offset0:19 offset1:20
	ds_store_2addr_b64 v182, v[94:95], v[96:97] offset0:21 offset1:22
	;; [unrolled: 1-line block ×19, first 2 shown]
	ds_load_b64 v[10:11], v181
	s_wait_dscnt 0x0
	v_cmp_neq_f32_e32 vcc_lo, 0, v10
	v_cmp_neq_f32_e64 s1, 0, v11
	s_or_b32 s1, vcc_lo, s1
	s_delay_alu instid0(SALU_CYCLE_1)
	s_and_b32 exec_lo, exec_lo, s1
	s_cbranch_execz .LBB113_170
; %bb.165:
	v_cmp_ngt_f32_e64 s1, |v10|, |v11|
                                        ; implicit-def: $vgpr12_vgpr13
	s_and_saveexec_b32 s4, s1
	s_delay_alu instid0(SALU_CYCLE_1)
	s_xor_b32 s1, exec_lo, s4
	s_cbranch_execz .LBB113_167
; %bb.166:
	v_div_scale_f32 v12, null, v11, v11, v10
	v_div_scale_f32 v15, vcc_lo, v10, v11, v10
	s_delay_alu instid0(VALU_DEP_2) | instskip(SKIP_1) | instid1(TRANS32_DEP_1)
	v_rcp_f32_e32 v13, v12
	v_nop
	v_fma_f32 v14, -v12, v13, 1.0
	s_delay_alu instid0(VALU_DEP_1) | instskip(NEXT) | instid1(VALU_DEP_1)
	v_fmac_f32_e32 v13, v14, v13
	v_mul_f32_e32 v14, v15, v13
	s_delay_alu instid0(VALU_DEP_1) | instskip(NEXT) | instid1(VALU_DEP_1)
	v_fma_f32 v18, -v12, v14, v15
	v_fmac_f32_e32 v14, v18, v13
	s_delay_alu instid0(VALU_DEP_1) | instskip(NEXT) | instid1(VALU_DEP_1)
	v_fma_f32 v12, -v12, v14, v15
	v_div_fmas_f32 v12, v12, v13, v14
	s_delay_alu instid0(VALU_DEP_1) | instskip(NEXT) | instid1(VALU_DEP_1)
	v_div_fixup_f32 v12, v12, v11, v10
	v_fmac_f32_e32 v11, v10, v12
	s_delay_alu instid0(VALU_DEP_1) | instskip(SKIP_1) | instid1(VALU_DEP_2)
	v_div_scale_f32 v10, null, v11, v11, 1.0
	v_div_scale_f32 v15, vcc_lo, 1.0, v11, 1.0
	v_rcp_f32_e32 v13, v10
	v_nop
	s_delay_alu instid0(TRANS32_DEP_1) | instskip(NEXT) | instid1(VALU_DEP_1)
	v_fma_f32 v14, -v10, v13, 1.0
	v_fmac_f32_e32 v13, v14, v13
	s_delay_alu instid0(VALU_DEP_1) | instskip(NEXT) | instid1(VALU_DEP_1)
	v_mul_f32_e32 v14, v15, v13
	v_fma_f32 v18, -v10, v14, v15
	s_delay_alu instid0(VALU_DEP_1) | instskip(NEXT) | instid1(VALU_DEP_1)
	v_fmac_f32_e32 v14, v18, v13
	v_fma_f32 v10, -v10, v14, v15
	s_delay_alu instid0(VALU_DEP_1) | instskip(NEXT) | instid1(VALU_DEP_1)
	v_div_fmas_f32 v10, v10, v13, v14
	v_div_fixup_f32 v10, v10, v11, 1.0
	s_delay_alu instid0(VALU_DEP_1)
	v_mul_f32_e32 v12, v12, v10
	v_xor_b32_e32 v13, 0x80000000, v10
                                        ; implicit-def: $vgpr10_vgpr11
.LBB113_167:
	s_and_not1_saveexec_b32 s1, s1
	s_cbranch_execz .LBB113_169
; %bb.168:
	v_div_scale_f32 v12, null, v10, v10, v11
	v_div_scale_f32 v15, vcc_lo, v11, v10, v11
	s_delay_alu instid0(VALU_DEP_2) | instskip(SKIP_1) | instid1(TRANS32_DEP_1)
	v_rcp_f32_e32 v13, v12
	v_nop
	v_fma_f32 v14, -v12, v13, 1.0
	s_delay_alu instid0(VALU_DEP_1) | instskip(NEXT) | instid1(VALU_DEP_1)
	v_fmac_f32_e32 v13, v14, v13
	v_mul_f32_e32 v14, v15, v13
	s_delay_alu instid0(VALU_DEP_1) | instskip(NEXT) | instid1(VALU_DEP_1)
	v_fma_f32 v18, -v12, v14, v15
	v_fmac_f32_e32 v14, v18, v13
	s_delay_alu instid0(VALU_DEP_1) | instskip(NEXT) | instid1(VALU_DEP_1)
	v_fma_f32 v12, -v12, v14, v15
	v_div_fmas_f32 v12, v12, v13, v14
	s_delay_alu instid0(VALU_DEP_1) | instskip(NEXT) | instid1(VALU_DEP_1)
	v_div_fixup_f32 v13, v12, v10, v11
	v_fmac_f32_e32 v10, v11, v13
	s_delay_alu instid0(VALU_DEP_1) | instskip(NEXT) | instid1(VALU_DEP_1)
	v_div_scale_f32 v11, null, v10, v10, 1.0
	v_rcp_f32_e32 v12, v11
	v_nop
	s_delay_alu instid0(TRANS32_DEP_1) | instskip(NEXT) | instid1(VALU_DEP_1)
	v_fma_f32 v14, -v11, v12, 1.0
	v_fmac_f32_e32 v12, v14, v12
	v_div_scale_f32 v14, vcc_lo, 1.0, v10, 1.0
	s_delay_alu instid0(VALU_DEP_1) | instskip(NEXT) | instid1(VALU_DEP_1)
	v_mul_f32_e32 v15, v14, v12
	v_fma_f32 v18, -v11, v15, v14
	s_delay_alu instid0(VALU_DEP_1) | instskip(NEXT) | instid1(VALU_DEP_1)
	v_fmac_f32_e32 v15, v18, v12
	v_fma_f32 v11, -v11, v15, v14
	s_delay_alu instid0(VALU_DEP_1) | instskip(NEXT) | instid1(VALU_DEP_1)
	v_div_fmas_f32 v11, v11, v12, v15
	v_div_fixup_f32 v12, v11, v10, 1.0
	s_delay_alu instid0(VALU_DEP_1)
	v_mul_f32_e64 v13, v13, -v12
.LBB113_169:
	s_or_b32 exec_lo, exec_lo, s1
	ds_store_b64 v181, v[12:13]
.LBB113_170:
	s_or_b32 exec_lo, exec_lo, s2
	s_wait_dscnt 0x0
	s_barrier_signal -1
	s_barrier_wait -1
	ds_load_b64 v[10:11], v181
	s_mov_b32 s1, exec_lo
	v_cmpx_lt_u32_e32 18, v180
	s_cbranch_execz .LBB113_172
; %bb.171:
	ds_load_2addr_b64 v[28:31], v182 offset0:19 offset1:20
	s_wait_dscnt 0x1
	v_pk_mul_f32 v[14:15], v[10:11], v[78:79] op_sel:[1,1] op_sel_hi:[0,1]
	s_delay_alu instid0(VALU_DEP_1) | instskip(SKIP_1) | instid1(VALU_DEP_1)
	v_pk_fma_f32 v[12:13], v[10:11], v[78:79], v[14:15] op_sel_hi:[1,0,1] neg_lo:[0,0,1] neg_hi:[0,0,1]
	v_pk_fma_f32 v[14:15], v[10:11], v[78:79], v[14:15] op_sel_hi:[1,0,1]
	v_dual_mov_b32 v78, v12 :: v_dual_mov_b32 v79, v15
	s_wait_dscnt 0x0
	s_delay_alu instid0(VALU_DEP_2) | instskip(NEXT) | instid1(VALU_DEP_1)
	v_pk_mul_f32 v[18:19], v[28:29], v[14:15] op_sel:[0,1]
	v_pk_fma_f32 v[32:33], v[28:29], v[12:13], v[18:19] op_sel:[0,0,1] op_sel_hi:[1,1,0] neg_lo:[0,0,1] neg_hi:[0,0,1]
	v_pk_fma_f32 v[18:19], v[28:29], v[12:13], v[18:19] op_sel:[0,0,1] op_sel_hi:[1,0,0]
	s_delay_alu instid0(VALU_DEP_1) | instskip(SKIP_1) | instid1(VALU_DEP_1)
	v_mov_b32_e32 v33, v19
	v_pk_mul_f32 v[18:19], v[30:31], v[14:15] op_sel:[0,1]
	v_pk_fma_f32 v[28:29], v[30:31], v[12:13], v[18:19] op_sel:[0,0,1] op_sel_hi:[1,1,0] neg_lo:[0,0,1] neg_hi:[0,0,1]
	v_pk_fma_f32 v[18:19], v[30:31], v[12:13], v[18:19] op_sel:[0,0,1] op_sel_hi:[1,0,0]
	s_delay_alu instid0(VALU_DEP_1) | instskip(SKIP_1) | instid1(VALU_DEP_2)
	v_mov_b32_e32 v29, v19
	v_pk_add_f32 v[74:75], v[74:75], v[32:33] neg_lo:[0,1] neg_hi:[0,1]
	v_pk_add_f32 v[98:99], v[98:99], v[28:29] neg_lo:[0,1] neg_hi:[0,1]
	ds_load_2addr_b64 v[28:31], v182 offset0:21 offset1:22
	s_wait_dscnt 0x0
	v_pk_mul_f32 v[18:19], v[28:29], v[14:15] op_sel:[0,1]
	s_delay_alu instid0(VALU_DEP_1) | instskip(SKIP_2) | instid1(VALU_DEP_2)
	v_pk_fma_f32 v[32:33], v[28:29], v[12:13], v[18:19] op_sel:[0,0,1] op_sel_hi:[1,1,0] neg_lo:[0,0,1] neg_hi:[0,0,1]
	v_pk_fma_f32 v[18:19], v[28:29], v[12:13], v[18:19] op_sel:[0,0,1] op_sel_hi:[1,0,0]
	v_dual_mul_f32 v28, v31, v15 :: v_dual_mov_b32 v18, v31
	v_dual_mov_b32 v33, v19 :: v_dual_mov_b32 v19, v30
	s_delay_alu instid0(VALU_DEP_2) | instskip(SKIP_1) | instid1(VALU_DEP_3)
	v_pk_fma_f32 v[28:29], v[30:31], v[78:79], v[28:29] op_sel_hi:[1,1,0] neg_lo:[0,0,1] neg_hi:[0,0,1]
	v_mul_f32_e32 v30, v31, v12
	v_pk_add_f32 v[94:95], v[94:95], v[32:33] neg_lo:[0,1] neg_hi:[0,1]
	s_delay_alu instid0(VALU_DEP_2) | instskip(NEXT) | instid1(VALU_DEP_1)
	v_pk_fma_f32 v[18:19], v[18:19], v[78:79], v[30:31] op_sel_hi:[1,1,0]
	v_mov_b32_e32 v29, v19
	s_delay_alu instid0(VALU_DEP_1) | instskip(SKIP_3) | instid1(VALU_DEP_1)
	v_pk_add_f32 v[96:97], v[96:97], v[28:29] neg_lo:[0,1] neg_hi:[0,1]
	ds_load_2addr_b64 v[28:31], v182 offset0:23 offset1:24
	s_wait_dscnt 0x0
	v_pk_mul_f32 v[18:19], v[28:29], v[14:15] op_sel:[0,1]
	v_pk_fma_f32 v[32:33], v[28:29], v[12:13], v[18:19] op_sel:[0,0,1] op_sel_hi:[1,1,0] neg_lo:[0,0,1] neg_hi:[0,0,1]
	v_pk_fma_f32 v[18:19], v[28:29], v[12:13], v[18:19] op_sel:[0,0,1] op_sel_hi:[1,0,0]
	s_delay_alu instid0(VALU_DEP_1) | instskip(SKIP_1) | instid1(VALU_DEP_2)
	v_mov_b32_e32 v33, v19
	v_pk_mul_f32 v[18:19], v[30:31], v[14:15] op_sel:[0,1]
	v_pk_add_f32 v[92:93], v[92:93], v[32:33] neg_lo:[0,1] neg_hi:[0,1]
	s_delay_alu instid0(VALU_DEP_2) | instskip(SKIP_1) | instid1(VALU_DEP_1)
	v_pk_fma_f32 v[28:29], v[30:31], v[12:13], v[18:19] op_sel:[0,0,1] op_sel_hi:[1,1,0] neg_lo:[0,0,1] neg_hi:[0,0,1]
	v_pk_fma_f32 v[18:19], v[30:31], v[12:13], v[18:19] op_sel:[0,0,1] op_sel_hi:[1,0,0]
	v_mov_b32_e32 v29, v19
	s_delay_alu instid0(VALU_DEP_1) | instskip(SKIP_3) | instid1(VALU_DEP_1)
	v_pk_add_f32 v[114:115], v[114:115], v[28:29] neg_lo:[0,1] neg_hi:[0,1]
	ds_load_2addr_b64 v[28:31], v182 offset0:25 offset1:26
	s_wait_dscnt 0x0
	v_pk_mul_f32 v[18:19], v[28:29], v[14:15] op_sel:[0,1]
	v_pk_fma_f32 v[32:33], v[28:29], v[12:13], v[18:19] op_sel:[0,0,1] op_sel_hi:[1,1,0] neg_lo:[0,0,1] neg_hi:[0,0,1]
	v_pk_fma_f32 v[18:19], v[28:29], v[12:13], v[18:19] op_sel:[0,0,1] op_sel_hi:[1,0,0]
	s_delay_alu instid0(VALU_DEP_1) | instskip(SKIP_1) | instid1(VALU_DEP_2)
	v_mov_b32_e32 v33, v19
	v_pk_mul_f32 v[18:19], v[30:31], v[14:15] op_sel:[0,1]
	v_pk_add_f32 v[110:111], v[110:111], v[32:33] neg_lo:[0,1] neg_hi:[0,1]
	s_delay_alu instid0(VALU_DEP_2) | instskip(SKIP_1) | instid1(VALU_DEP_1)
	v_pk_fma_f32 v[28:29], v[30:31], v[12:13], v[18:19] op_sel:[0,0,1] op_sel_hi:[1,1,0] neg_lo:[0,0,1] neg_hi:[0,0,1]
	v_pk_fma_f32 v[18:19], v[30:31], v[12:13], v[18:19] op_sel:[0,0,1] op_sel_hi:[1,0,0]
	v_mov_b32_e32 v29, v19
	s_delay_alu instid0(VALU_DEP_1) | instskip(SKIP_3) | instid1(VALU_DEP_1)
	v_pk_add_f32 v[112:113], v[112:113], v[28:29] neg_lo:[0,1] neg_hi:[0,1]
	ds_load_2addr_b64 v[28:31], v182 offset0:27 offset1:28
	s_wait_dscnt 0x0
	v_dual_mul_f32 v18, v29, v15 :: v_dual_mul_f32 v32, v29, v12
	v_pk_fma_f32 v[18:19], v[28:29], v[78:79], v[18:19] op_sel_hi:[1,1,0] neg_lo:[0,0,1] neg_hi:[0,0,1]
	s_delay_alu instid0(VALU_DEP_2) | instskip(NEXT) | instid1(VALU_DEP_1)
	v_pk_fma_f32 v[28:29], v[28:29], v[78:79], v[32:33] op_sel:[1,0,0] op_sel_hi:[0,1,0]
	v_mov_b32_e32 v19, v29
	s_delay_alu instid0(VALU_DEP_1) | instskip(SKIP_1) | instid1(VALU_DEP_1)
	v_pk_add_f32 v[108:109], v[108:109], v[18:19] neg_lo:[0,1] neg_hi:[0,1]
	v_pk_mul_f32 v[18:19], v[30:31], v[14:15] op_sel:[0,1]
	v_pk_fma_f32 v[28:29], v[30:31], v[12:13], v[18:19] op_sel:[0,0,1] op_sel_hi:[1,1,0] neg_lo:[0,0,1] neg_hi:[0,0,1]
	v_pk_fma_f32 v[18:19], v[30:31], v[12:13], v[18:19] op_sel:[0,0,1] op_sel_hi:[1,0,0]
	s_delay_alu instid0(VALU_DEP_1) | instskip(NEXT) | instid1(VALU_DEP_1)
	v_mov_b32_e32 v29, v19
	v_pk_add_f32 v[130:131], v[130:131], v[28:29] neg_lo:[0,1] neg_hi:[0,1]
	ds_load_2addr_b64 v[28:31], v182 offset0:29 offset1:30
	s_wait_dscnt 0x0
	v_pk_mul_f32 v[18:19], v[28:29], v[14:15] op_sel:[0,1]
	s_delay_alu instid0(VALU_DEP_1) | instskip(SKIP_1) | instid1(VALU_DEP_1)
	v_pk_fma_f32 v[32:33], v[28:29], v[12:13], v[18:19] op_sel:[0,0,1] op_sel_hi:[1,1,0] neg_lo:[0,0,1] neg_hi:[0,0,1]
	v_pk_fma_f32 v[18:19], v[28:29], v[12:13], v[18:19] op_sel:[0,0,1] op_sel_hi:[1,0,0]
	v_mov_b32_e32 v33, v19
	v_pk_mul_f32 v[18:19], v[30:31], v[14:15] op_sel:[0,1]
	s_delay_alu instid0(VALU_DEP_2) | instskip(NEXT) | instid1(VALU_DEP_2)
	v_pk_add_f32 v[126:127], v[126:127], v[32:33] neg_lo:[0,1] neg_hi:[0,1]
	v_pk_fma_f32 v[28:29], v[30:31], v[12:13], v[18:19] op_sel:[0,0,1] op_sel_hi:[1,1,0] neg_lo:[0,0,1] neg_hi:[0,0,1]
	v_pk_fma_f32 v[18:19], v[30:31], v[12:13], v[18:19] op_sel:[0,0,1] op_sel_hi:[1,0,0]
	s_delay_alu instid0(VALU_DEP_1) | instskip(NEXT) | instid1(VALU_DEP_1)
	v_mov_b32_e32 v29, v19
	v_pk_add_f32 v[128:129], v[128:129], v[28:29] neg_lo:[0,1] neg_hi:[0,1]
	ds_load_2addr_b64 v[28:31], v182 offset0:31 offset1:32
	s_wait_dscnt 0x0
	v_pk_mul_f32 v[18:19], v[28:29], v[14:15] op_sel:[0,1]
	s_delay_alu instid0(VALU_DEP_1) | instskip(SKIP_2) | instid1(VALU_DEP_2)
	v_pk_fma_f32 v[32:33], v[28:29], v[12:13], v[18:19] op_sel:[0,0,1] op_sel_hi:[1,1,0] neg_lo:[0,0,1] neg_hi:[0,0,1]
	v_pk_fma_f32 v[18:19], v[28:29], v[12:13], v[18:19] op_sel:[0,0,1] op_sel_hi:[1,0,0]
	v_dual_mul_f32 v28, v31, v15 :: v_dual_mov_b32 v18, v31
	v_dual_mov_b32 v33, v19 :: v_dual_mov_b32 v19, v30
	s_delay_alu instid0(VALU_DEP_2) | instskip(SKIP_1) | instid1(VALU_DEP_3)
	v_pk_fma_f32 v[28:29], v[30:31], v[78:79], v[28:29] op_sel_hi:[1,1,0] neg_lo:[0,0,1] neg_hi:[0,0,1]
	v_mul_f32_e32 v30, v31, v12
	v_pk_add_f32 v[124:125], v[124:125], v[32:33] neg_lo:[0,1] neg_hi:[0,1]
	s_delay_alu instid0(VALU_DEP_2) | instskip(NEXT) | instid1(VALU_DEP_1)
	v_pk_fma_f32 v[18:19], v[18:19], v[78:79], v[30:31] op_sel_hi:[1,1,0]
	v_mov_b32_e32 v29, v19
	s_delay_alu instid0(VALU_DEP_1) | instskip(SKIP_3) | instid1(VALU_DEP_1)
	v_pk_add_f32 v[146:147], v[146:147], v[28:29] neg_lo:[0,1] neg_hi:[0,1]
	ds_load_2addr_b64 v[28:31], v182 offset0:33 offset1:34
	s_wait_dscnt 0x0
	v_pk_mul_f32 v[18:19], v[28:29], v[14:15] op_sel:[0,1]
	v_pk_fma_f32 v[32:33], v[28:29], v[12:13], v[18:19] op_sel:[0,0,1] op_sel_hi:[1,1,0] neg_lo:[0,0,1] neg_hi:[0,0,1]
	v_pk_fma_f32 v[18:19], v[28:29], v[12:13], v[18:19] op_sel:[0,0,1] op_sel_hi:[1,0,0]
	s_delay_alu instid0(VALU_DEP_1) | instskip(SKIP_1) | instid1(VALU_DEP_2)
	v_mov_b32_e32 v33, v19
	v_pk_mul_f32 v[18:19], v[30:31], v[14:15] op_sel:[0,1]
	v_pk_add_f32 v[142:143], v[142:143], v[32:33] neg_lo:[0,1] neg_hi:[0,1]
	s_delay_alu instid0(VALU_DEP_2) | instskip(SKIP_1) | instid1(VALU_DEP_1)
	v_pk_fma_f32 v[28:29], v[30:31], v[12:13], v[18:19] op_sel:[0,0,1] op_sel_hi:[1,1,0] neg_lo:[0,0,1] neg_hi:[0,0,1]
	v_pk_fma_f32 v[18:19], v[30:31], v[12:13], v[18:19] op_sel:[0,0,1] op_sel_hi:[1,0,0]
	v_mov_b32_e32 v29, v19
	s_delay_alu instid0(VALU_DEP_1) | instskip(SKIP_3) | instid1(VALU_DEP_1)
	v_pk_add_f32 v[144:145], v[144:145], v[28:29] neg_lo:[0,1] neg_hi:[0,1]
	ds_load_2addr_b64 v[28:31], v182 offset0:35 offset1:36
	s_wait_dscnt 0x0
	v_pk_mul_f32 v[18:19], v[28:29], v[14:15] op_sel:[0,1]
	v_pk_fma_f32 v[32:33], v[28:29], v[12:13], v[18:19] op_sel:[0,0,1] op_sel_hi:[1,1,0] neg_lo:[0,0,1] neg_hi:[0,0,1]
	v_pk_fma_f32 v[18:19], v[28:29], v[12:13], v[18:19] op_sel:[0,0,1] op_sel_hi:[1,0,0]
	s_delay_alu instid0(VALU_DEP_1) | instskip(SKIP_1) | instid1(VALU_DEP_2)
	v_mov_b32_e32 v33, v19
	v_pk_mul_f32 v[18:19], v[30:31], v[14:15] op_sel:[0,1]
	v_pk_add_f32 v[140:141], v[140:141], v[32:33] neg_lo:[0,1] neg_hi:[0,1]
	s_delay_alu instid0(VALU_DEP_2) | instskip(SKIP_1) | instid1(VALU_DEP_1)
	v_pk_fma_f32 v[28:29], v[30:31], v[12:13], v[18:19] op_sel:[0,0,1] op_sel_hi:[1,1,0] neg_lo:[0,0,1] neg_hi:[0,0,1]
	v_pk_fma_f32 v[18:19], v[30:31], v[12:13], v[18:19] op_sel:[0,0,1] op_sel_hi:[1,0,0]
	v_mov_b32_e32 v29, v19
	s_delay_alu instid0(VALU_DEP_1) | instskip(SKIP_3) | instid1(VALU_DEP_1)
	v_pk_add_f32 v[162:163], v[162:163], v[28:29] neg_lo:[0,1] neg_hi:[0,1]
	ds_load_2addr_b64 v[28:31], v182 offset0:37 offset1:38
	s_wait_dscnt 0x0
	v_dual_mul_f32 v18, v29, v15 :: v_dual_mul_f32 v32, v29, v12
	v_pk_fma_f32 v[18:19], v[28:29], v[78:79], v[18:19] op_sel_hi:[1,1,0] neg_lo:[0,0,1] neg_hi:[0,0,1]
	s_delay_alu instid0(VALU_DEP_2) | instskip(NEXT) | instid1(VALU_DEP_1)
	v_pk_fma_f32 v[28:29], v[28:29], v[78:79], v[32:33] op_sel:[1,0,0] op_sel_hi:[0,1,0]
	v_mov_b32_e32 v19, v29
	s_delay_alu instid0(VALU_DEP_1) | instskip(SKIP_1) | instid1(VALU_DEP_1)
	v_pk_add_f32 v[158:159], v[158:159], v[18:19] neg_lo:[0,1] neg_hi:[0,1]
	v_pk_mul_f32 v[18:19], v[30:31], v[14:15] op_sel:[0,1]
	v_pk_fma_f32 v[28:29], v[30:31], v[12:13], v[18:19] op_sel:[0,0,1] op_sel_hi:[1,1,0] neg_lo:[0,0,1] neg_hi:[0,0,1]
	v_pk_fma_f32 v[18:19], v[30:31], v[12:13], v[18:19] op_sel:[0,0,1] op_sel_hi:[1,0,0]
	s_delay_alu instid0(VALU_DEP_1) | instskip(NEXT) | instid1(VALU_DEP_1)
	v_mov_b32_e32 v29, v19
	v_pk_add_f32 v[160:161], v[160:161], v[28:29] neg_lo:[0,1] neg_hi:[0,1]
	ds_load_2addr_b64 v[28:31], v182 offset0:39 offset1:40
	s_wait_dscnt 0x0
	v_pk_mul_f32 v[18:19], v[28:29], v[14:15] op_sel:[0,1]
	s_delay_alu instid0(VALU_DEP_1) | instskip(SKIP_1) | instid1(VALU_DEP_1)
	v_pk_fma_f32 v[32:33], v[28:29], v[12:13], v[18:19] op_sel:[0,0,1] op_sel_hi:[1,1,0] neg_lo:[0,0,1] neg_hi:[0,0,1]
	v_pk_fma_f32 v[18:19], v[28:29], v[12:13], v[18:19] op_sel:[0,0,1] op_sel_hi:[1,0,0]
	v_mov_b32_e32 v33, v19
	v_pk_mul_f32 v[18:19], v[30:31], v[14:15] op_sel:[0,1]
	s_delay_alu instid0(VALU_DEP_2) | instskip(NEXT) | instid1(VALU_DEP_2)
	v_pk_add_f32 v[156:157], v[156:157], v[32:33] neg_lo:[0,1] neg_hi:[0,1]
	v_pk_fma_f32 v[28:29], v[30:31], v[12:13], v[18:19] op_sel:[0,0,1] op_sel_hi:[1,1,0] neg_lo:[0,0,1] neg_hi:[0,0,1]
	v_pk_fma_f32 v[18:19], v[30:31], v[12:13], v[18:19] op_sel:[0,0,1] op_sel_hi:[1,0,0]
	s_delay_alu instid0(VALU_DEP_1) | instskip(NEXT) | instid1(VALU_DEP_1)
	v_mov_b32_e32 v29, v19
	v_pk_add_f32 v[178:179], v[178:179], v[28:29] neg_lo:[0,1] neg_hi:[0,1]
	ds_load_2addr_b64 v[28:31], v182 offset0:41 offset1:42
	s_wait_dscnt 0x0
	v_pk_mul_f32 v[18:19], v[28:29], v[14:15] op_sel:[0,1]
	s_delay_alu instid0(VALU_DEP_1) | instskip(SKIP_2) | instid1(VALU_DEP_2)
	v_pk_fma_f32 v[32:33], v[28:29], v[12:13], v[18:19] op_sel:[0,0,1] op_sel_hi:[1,1,0] neg_lo:[0,0,1] neg_hi:[0,0,1]
	v_pk_fma_f32 v[18:19], v[28:29], v[12:13], v[18:19] op_sel:[0,0,1] op_sel_hi:[1,0,0]
	v_dual_mul_f32 v28, v31, v15 :: v_dual_mov_b32 v18, v31
	v_dual_mov_b32 v33, v19 :: v_dual_mov_b32 v19, v30
	s_delay_alu instid0(VALU_DEP_2) | instskip(SKIP_1) | instid1(VALU_DEP_3)
	v_pk_fma_f32 v[28:29], v[30:31], v[78:79], v[28:29] op_sel_hi:[1,1,0] neg_lo:[0,0,1] neg_hi:[0,0,1]
	v_mul_f32_e32 v30, v31, v12
	v_pk_add_f32 v[174:175], v[174:175], v[32:33] neg_lo:[0,1] neg_hi:[0,1]
	s_delay_alu instid0(VALU_DEP_2) | instskip(NEXT) | instid1(VALU_DEP_1)
	v_pk_fma_f32 v[18:19], v[18:19], v[78:79], v[30:31] op_sel_hi:[1,1,0]
	v_mov_b32_e32 v29, v19
	s_delay_alu instid0(VALU_DEP_1) | instskip(SKIP_3) | instid1(VALU_DEP_1)
	v_pk_add_f32 v[176:177], v[176:177], v[28:29] neg_lo:[0,1] neg_hi:[0,1]
	ds_load_2addr_b64 v[28:31], v182 offset0:43 offset1:44
	s_wait_dscnt 0x0
	v_pk_mul_f32 v[18:19], v[28:29], v[14:15] op_sel:[0,1]
	v_pk_fma_f32 v[32:33], v[28:29], v[12:13], v[18:19] op_sel:[0,0,1] op_sel_hi:[1,1,0] neg_lo:[0,0,1] neg_hi:[0,0,1]
	v_pk_fma_f32 v[18:19], v[28:29], v[12:13], v[18:19] op_sel:[0,0,1] op_sel_hi:[1,0,0]
	s_delay_alu instid0(VALU_DEP_1) | instskip(SKIP_1) | instid1(VALU_DEP_2)
	v_mov_b32_e32 v33, v19
	v_pk_mul_f32 v[18:19], v[30:31], v[14:15] op_sel:[0,1]
	v_pk_add_f32 v[172:173], v[172:173], v[32:33] neg_lo:[0,1] neg_hi:[0,1]
	s_delay_alu instid0(VALU_DEP_2) | instskip(SKIP_1) | instid1(VALU_DEP_1)
	v_pk_fma_f32 v[28:29], v[30:31], v[12:13], v[18:19] op_sel:[0,0,1] op_sel_hi:[1,1,0] neg_lo:[0,0,1] neg_hi:[0,0,1]
	v_pk_fma_f32 v[18:19], v[30:31], v[12:13], v[18:19] op_sel:[0,0,1] op_sel_hi:[1,0,0]
	v_mov_b32_e32 v29, v19
	s_delay_alu instid0(VALU_DEP_1) | instskip(SKIP_3) | instid1(VALU_DEP_1)
	v_pk_add_f32 v[200:201], v[200:201], v[28:29] neg_lo:[0,1] neg_hi:[0,1]
	ds_load_2addr_b64 v[28:31], v182 offset0:45 offset1:46
	s_wait_dscnt 0x0
	v_pk_mul_f32 v[18:19], v[28:29], v[14:15] op_sel:[0,1]
	v_pk_fma_f32 v[32:33], v[28:29], v[12:13], v[18:19] op_sel:[0,0,1] op_sel_hi:[1,1,0] neg_lo:[0,0,1] neg_hi:[0,0,1]
	v_pk_fma_f32 v[18:19], v[28:29], v[12:13], v[18:19] op_sel:[0,0,1] op_sel_hi:[1,0,0]
	s_delay_alu instid0(VALU_DEP_1) | instskip(SKIP_1) | instid1(VALU_DEP_2)
	v_mov_b32_e32 v33, v19
	v_pk_mul_f32 v[18:19], v[30:31], v[14:15] op_sel:[0,1]
	v_pk_add_f32 v[196:197], v[196:197], v[32:33] neg_lo:[0,1] neg_hi:[0,1]
	s_delay_alu instid0(VALU_DEP_2) | instskip(SKIP_1) | instid1(VALU_DEP_1)
	v_pk_fma_f32 v[28:29], v[30:31], v[12:13], v[18:19] op_sel:[0,0,1] op_sel_hi:[1,1,0] neg_lo:[0,0,1] neg_hi:[0,0,1]
	v_pk_fma_f32 v[18:19], v[30:31], v[12:13], v[18:19] op_sel:[0,0,1] op_sel_hi:[1,0,0]
	v_mov_b32_e32 v29, v19
	s_delay_alu instid0(VALU_DEP_1) | instskip(SKIP_3) | instid1(VALU_DEP_1)
	v_pk_add_f32 v[198:199], v[198:199], v[28:29] neg_lo:[0,1] neg_hi:[0,1]
	ds_load_2addr_b64 v[28:31], v182 offset0:47 offset1:48
	s_wait_dscnt 0x0
	v_dual_mul_f32 v18, v29, v15 :: v_dual_mul_f32 v32, v29, v12
	v_pk_fma_f32 v[18:19], v[28:29], v[78:79], v[18:19] op_sel_hi:[1,1,0] neg_lo:[0,0,1] neg_hi:[0,0,1]
	s_delay_alu instid0(VALU_DEP_2) | instskip(NEXT) | instid1(VALU_DEP_1)
	v_pk_fma_f32 v[28:29], v[28:29], v[78:79], v[32:33] op_sel:[1,0,0] op_sel_hi:[0,1,0]
	v_mov_b32_e32 v19, v29
	s_delay_alu instid0(VALU_DEP_1) | instskip(SKIP_1) | instid1(VALU_DEP_1)
	v_pk_add_f32 v[194:195], v[194:195], v[18:19] neg_lo:[0,1] neg_hi:[0,1]
	v_pk_mul_f32 v[18:19], v[30:31], v[14:15] op_sel:[0,1]
	v_pk_fma_f32 v[28:29], v[30:31], v[12:13], v[18:19] op_sel:[0,0,1] op_sel_hi:[1,1,0] neg_lo:[0,0,1] neg_hi:[0,0,1]
	v_pk_fma_f32 v[18:19], v[30:31], v[12:13], v[18:19] op_sel:[0,0,1] op_sel_hi:[1,0,0]
	s_delay_alu instid0(VALU_DEP_1) | instskip(NEXT) | instid1(VALU_DEP_1)
	v_mov_b32_e32 v29, v19
	v_pk_add_f32 v[224:225], v[224:225], v[28:29] neg_lo:[0,1] neg_hi:[0,1]
	ds_load_2addr_b64 v[28:31], v182 offset0:49 offset1:50
	s_wait_dscnt 0x0
	v_pk_mul_f32 v[18:19], v[28:29], v[14:15] op_sel:[0,1]
	s_delay_alu instid0(VALU_DEP_1) | instskip(SKIP_1) | instid1(VALU_DEP_1)
	v_pk_fma_f32 v[32:33], v[28:29], v[12:13], v[18:19] op_sel:[0,0,1] op_sel_hi:[1,1,0] neg_lo:[0,0,1] neg_hi:[0,0,1]
	v_pk_fma_f32 v[18:19], v[28:29], v[12:13], v[18:19] op_sel:[0,0,1] op_sel_hi:[1,0,0]
	v_mov_b32_e32 v33, v19
	v_pk_mul_f32 v[18:19], v[30:31], v[14:15] op_sel:[0,1]
	s_delay_alu instid0(VALU_DEP_2) | instskip(NEXT) | instid1(VALU_DEP_2)
	v_pk_add_f32 v[216:217], v[216:217], v[32:33] neg_lo:[0,1] neg_hi:[0,1]
	v_pk_fma_f32 v[28:29], v[30:31], v[12:13], v[18:19] op_sel:[0,0,1] op_sel_hi:[1,1,0] neg_lo:[0,0,1] neg_hi:[0,0,1]
	v_pk_fma_f32 v[18:19], v[30:31], v[12:13], v[18:19] op_sel:[0,0,1] op_sel_hi:[1,0,0]
	s_delay_alu instid0(VALU_DEP_1) | instskip(NEXT) | instid1(VALU_DEP_1)
	v_mov_b32_e32 v29, v19
	v_pk_add_f32 v[222:223], v[222:223], v[28:29] neg_lo:[0,1] neg_hi:[0,1]
	ds_load_2addr_b64 v[28:31], v182 offset0:51 offset1:52
	s_wait_dscnt 0x0
	v_pk_mul_f32 v[18:19], v[28:29], v[14:15] op_sel:[0,1]
	s_delay_alu instid0(VALU_DEP_1) | instskip(SKIP_2) | instid1(VALU_DEP_2)
	v_pk_fma_f32 v[32:33], v[28:29], v[12:13], v[18:19] op_sel:[0,0,1] op_sel_hi:[1,1,0] neg_lo:[0,0,1] neg_hi:[0,0,1]
	v_pk_fma_f32 v[18:19], v[28:29], v[12:13], v[18:19] op_sel:[0,0,1] op_sel_hi:[1,0,0]
	v_dual_mul_f32 v28, v31, v15 :: v_dual_mov_b32 v18, v31
	v_dual_mov_b32 v33, v19 :: v_dual_mov_b32 v19, v30
	s_delay_alu instid0(VALU_DEP_2) | instskip(SKIP_1) | instid1(VALU_DEP_3)
	v_pk_fma_f32 v[28:29], v[30:31], v[78:79], v[28:29] op_sel_hi:[1,1,0] neg_lo:[0,0,1] neg_hi:[0,0,1]
	v_mul_f32_e32 v30, v31, v12
	v_pk_add_f32 v[214:215], v[214:215], v[32:33] neg_lo:[0,1] neg_hi:[0,1]
	s_delay_alu instid0(VALU_DEP_2) | instskip(NEXT) | instid1(VALU_DEP_1)
	v_pk_fma_f32 v[18:19], v[18:19], v[78:79], v[30:31] op_sel_hi:[1,1,0]
	v_mov_b32_e32 v29, v19
	s_delay_alu instid0(VALU_DEP_1) | instskip(SKIP_3) | instid1(VALU_DEP_1)
	v_pk_add_f32 v[220:221], v[220:221], v[28:29] neg_lo:[0,1] neg_hi:[0,1]
	ds_load_2addr_b64 v[28:31], v182 offset0:53 offset1:54
	s_wait_dscnt 0x0
	v_pk_mul_f32 v[18:19], v[28:29], v[14:15] op_sel:[0,1]
	v_pk_fma_f32 v[32:33], v[28:29], v[12:13], v[18:19] op_sel:[0,0,1] op_sel_hi:[1,1,0] neg_lo:[0,0,1] neg_hi:[0,0,1]
	v_pk_fma_f32 v[18:19], v[28:29], v[12:13], v[18:19] op_sel:[0,0,1] op_sel_hi:[1,0,0]
	s_delay_alu instid0(VALU_DEP_1) | instskip(SKIP_1) | instid1(VALU_DEP_2)
	v_mov_b32_e32 v33, v19
	v_pk_mul_f32 v[18:19], v[30:31], v[14:15] op_sel:[0,1]
	v_pk_add_f32 v[212:213], v[212:213], v[32:33] neg_lo:[0,1] neg_hi:[0,1]
	s_delay_alu instid0(VALU_DEP_2) | instskip(SKIP_1) | instid1(VALU_DEP_1)
	v_pk_fma_f32 v[28:29], v[30:31], v[12:13], v[18:19] op_sel:[0,0,1] op_sel_hi:[1,1,0] neg_lo:[0,0,1] neg_hi:[0,0,1]
	v_pk_fma_f32 v[18:19], v[30:31], v[12:13], v[18:19] op_sel:[0,0,1] op_sel_hi:[1,0,0]
	v_mov_b32_e32 v29, v19
	s_delay_alu instid0(VALU_DEP_1) | instskip(SKIP_4) | instid1(VALU_DEP_2)
	v_pk_add_f32 v[218:219], v[218:219], v[28:29] neg_lo:[0,1] neg_hi:[0,1]
	ds_load_2addr_b64 v[28:31], v182 offset0:55 offset1:56
	s_wait_dscnt 0x0
	v_pk_mul_f32 v[18:19], v[28:29], v[14:15] op_sel:[0,1]
	v_pk_mul_f32 v[14:15], v[30:31], v[14:15] op_sel:[0,1]
	v_pk_fma_f32 v[32:33], v[28:29], v[12:13], v[18:19] op_sel:[0,0,1] op_sel_hi:[1,1,0] neg_lo:[0,0,1] neg_hi:[0,0,1]
	v_pk_fma_f32 v[18:19], v[28:29], v[12:13], v[18:19] op_sel:[0,0,1] op_sel_hi:[1,0,0]
	s_delay_alu instid0(VALU_DEP_1) | instskip(NEXT) | instid1(VALU_DEP_4)
	v_mov_b32_e32 v33, v19
	v_pk_fma_f32 v[18:19], v[30:31], v[12:13], v[14:15] op_sel:[0,0,1] op_sel_hi:[1,1,0] neg_lo:[0,0,1] neg_hi:[0,0,1]
	v_pk_fma_f32 v[12:13], v[30:31], v[12:13], v[14:15] op_sel:[0,0,1] op_sel_hi:[1,0,0]
	s_delay_alu instid0(VALU_DEP_3) | instskip(NEXT) | instid1(VALU_DEP_2)
	v_pk_add_f32 v[226:227], v[226:227], v[32:33] neg_lo:[0,1] neg_hi:[0,1]
	v_mov_b32_e32 v19, v13
	s_delay_alu instid0(VALU_DEP_1)
	v_pk_add_f32 v[228:229], v[228:229], v[18:19] neg_lo:[0,1] neg_hi:[0,1]
.LBB113_172:
	s_or_b32 exec_lo, exec_lo, s1
	s_delay_alu instid0(SALU_CYCLE_1)
	s_mov_b32 s2, exec_lo
	s_wait_dscnt 0x0
	s_barrier_signal -1
	s_barrier_wait -1
	v_cmpx_eq_u32_e32 19, v180
	s_cbranch_execz .LBB113_179
; %bb.173:
	v_dual_mov_b32 v12, v98 :: v_dual_mov_b32 v13, v99
	v_dual_mov_b32 v14, v94 :: v_dual_mov_b32 v15, v95
	ds_store_b64 v181, v[74:75]
	ds_store_2addr_b64 v182, v[12:13], v[14:15] offset0:20 offset1:21
	v_dual_mov_b32 v12, v96 :: v_dual_mov_b32 v13, v97
	v_dual_mov_b32 v14, v92 :: v_dual_mov_b32 v15, v93
	ds_store_2addr_b64 v182, v[12:13], v[14:15] offset0:22 offset1:23
	v_dual_mov_b32 v12, v114 :: v_dual_mov_b32 v13, v115
	v_dual_mov_b32 v14, v110 :: v_dual_mov_b32 v15, v111
	;; [unrolled: 3-line block ×17, first 2 shown]
	ds_store_2addr_b64 v182, v[12:13], v[14:15] offset0:54 offset1:55
	ds_store_b64 v182, v[228:229] offset:448
	ds_load_b64 v[12:13], v181
	s_wait_dscnt 0x0
	v_cmp_neq_f32_e32 vcc_lo, 0, v12
	v_cmp_neq_f32_e64 s1, 0, v13
	s_or_b32 s1, vcc_lo, s1
	s_delay_alu instid0(SALU_CYCLE_1)
	s_and_b32 exec_lo, exec_lo, s1
	s_cbranch_execz .LBB113_179
; %bb.174:
	v_cmp_ngt_f32_e64 s1, |v12|, |v13|
                                        ; implicit-def: $vgpr14_vgpr15
	s_and_saveexec_b32 s4, s1
	s_delay_alu instid0(SALU_CYCLE_1)
	s_xor_b32 s1, exec_lo, s4
	s_cbranch_execz .LBB113_176
; %bb.175:
	v_div_scale_f32 v14, null, v13, v13, v12
	v_div_scale_f32 v19, vcc_lo, v12, v13, v12
	s_delay_alu instid0(VALU_DEP_2) | instskip(SKIP_1) | instid1(TRANS32_DEP_1)
	v_rcp_f32_e32 v15, v14
	v_nop
	v_fma_f32 v18, -v14, v15, 1.0
	s_delay_alu instid0(VALU_DEP_1) | instskip(NEXT) | instid1(VALU_DEP_1)
	v_fmac_f32_e32 v15, v18, v15
	v_mul_f32_e32 v18, v19, v15
	s_delay_alu instid0(VALU_DEP_1) | instskip(NEXT) | instid1(VALU_DEP_1)
	v_fma_f32 v28, -v14, v18, v19
	v_fmac_f32_e32 v18, v28, v15
	s_delay_alu instid0(VALU_DEP_1) | instskip(NEXT) | instid1(VALU_DEP_1)
	v_fma_f32 v14, -v14, v18, v19
	v_div_fmas_f32 v14, v14, v15, v18
	s_delay_alu instid0(VALU_DEP_1) | instskip(NEXT) | instid1(VALU_DEP_1)
	v_div_fixup_f32 v14, v14, v13, v12
	v_fmac_f32_e32 v13, v12, v14
	s_delay_alu instid0(VALU_DEP_1) | instskip(SKIP_1) | instid1(VALU_DEP_2)
	v_div_scale_f32 v12, null, v13, v13, 1.0
	v_div_scale_f32 v19, vcc_lo, 1.0, v13, 1.0
	v_rcp_f32_e32 v15, v12
	v_nop
	s_delay_alu instid0(TRANS32_DEP_1) | instskip(NEXT) | instid1(VALU_DEP_1)
	v_fma_f32 v18, -v12, v15, 1.0
	v_fmac_f32_e32 v15, v18, v15
	s_delay_alu instid0(VALU_DEP_1) | instskip(NEXT) | instid1(VALU_DEP_1)
	v_mul_f32_e32 v18, v19, v15
	v_fma_f32 v28, -v12, v18, v19
	s_delay_alu instid0(VALU_DEP_1) | instskip(NEXT) | instid1(VALU_DEP_1)
	v_fmac_f32_e32 v18, v28, v15
	v_fma_f32 v12, -v12, v18, v19
	s_delay_alu instid0(VALU_DEP_1) | instskip(NEXT) | instid1(VALU_DEP_1)
	v_div_fmas_f32 v12, v12, v15, v18
	v_div_fixup_f32 v12, v12, v13, 1.0
	s_delay_alu instid0(VALU_DEP_1)
	v_mul_f32_e32 v14, v14, v12
	v_xor_b32_e32 v15, 0x80000000, v12
                                        ; implicit-def: $vgpr12_vgpr13
.LBB113_176:
	s_and_not1_saveexec_b32 s1, s1
	s_cbranch_execz .LBB113_178
; %bb.177:
	v_div_scale_f32 v14, null, v12, v12, v13
	v_div_scale_f32 v19, vcc_lo, v13, v12, v13
	s_delay_alu instid0(VALU_DEP_2) | instskip(SKIP_1) | instid1(TRANS32_DEP_1)
	v_rcp_f32_e32 v15, v14
	v_nop
	v_fma_f32 v18, -v14, v15, 1.0
	s_delay_alu instid0(VALU_DEP_1) | instskip(NEXT) | instid1(VALU_DEP_1)
	v_fmac_f32_e32 v15, v18, v15
	v_mul_f32_e32 v18, v19, v15
	s_delay_alu instid0(VALU_DEP_1) | instskip(NEXT) | instid1(VALU_DEP_1)
	v_fma_f32 v28, -v14, v18, v19
	v_fmac_f32_e32 v18, v28, v15
	s_delay_alu instid0(VALU_DEP_1) | instskip(NEXT) | instid1(VALU_DEP_1)
	v_fma_f32 v14, -v14, v18, v19
	v_div_fmas_f32 v14, v14, v15, v18
	s_delay_alu instid0(VALU_DEP_1) | instskip(NEXT) | instid1(VALU_DEP_1)
	v_div_fixup_f32 v15, v14, v12, v13
	v_fmac_f32_e32 v12, v13, v15
	s_delay_alu instid0(VALU_DEP_1) | instskip(NEXT) | instid1(VALU_DEP_1)
	v_div_scale_f32 v13, null, v12, v12, 1.0
	v_rcp_f32_e32 v14, v13
	v_nop
	s_delay_alu instid0(TRANS32_DEP_1) | instskip(NEXT) | instid1(VALU_DEP_1)
	v_fma_f32 v18, -v13, v14, 1.0
	v_fmac_f32_e32 v14, v18, v14
	v_div_scale_f32 v18, vcc_lo, 1.0, v12, 1.0
	s_delay_alu instid0(VALU_DEP_1) | instskip(NEXT) | instid1(VALU_DEP_1)
	v_mul_f32_e32 v19, v18, v14
	v_fma_f32 v28, -v13, v19, v18
	s_delay_alu instid0(VALU_DEP_1) | instskip(NEXT) | instid1(VALU_DEP_1)
	v_fmac_f32_e32 v19, v28, v14
	v_fma_f32 v13, -v13, v19, v18
	s_delay_alu instid0(VALU_DEP_1) | instskip(NEXT) | instid1(VALU_DEP_1)
	v_div_fmas_f32 v13, v13, v14, v19
	v_div_fixup_f32 v14, v13, v12, 1.0
	s_delay_alu instid0(VALU_DEP_1)
	v_mul_f32_e64 v15, v15, -v14
.LBB113_178:
	s_or_b32 exec_lo, exec_lo, s1
	ds_store_b64 v181, v[14:15]
.LBB113_179:
	s_or_b32 exec_lo, exec_lo, s2
	s_wait_dscnt 0x0
	s_barrier_signal -1
	s_barrier_wait -1
	ds_load_b64 v[12:13], v181
	s_mov_b32 s1, exec_lo
	v_cmpx_lt_u32_e32 19, v180
	s_cbranch_execz .LBB113_181
; %bb.180:
	ds_load_2addr_b64 v[28:31], v182 offset0:20 offset1:21
	s_wait_dscnt 0x1
	v_pk_mul_f32 v[18:19], v[12:13], v[74:75] op_sel:[1,1] op_sel_hi:[0,1]
	s_delay_alu instid0(VALU_DEP_1) | instskip(SKIP_1) | instid1(VALU_DEP_1)
	v_pk_fma_f32 v[14:15], v[12:13], v[74:75], v[18:19] op_sel_hi:[1,0,1] neg_lo:[0,0,1] neg_hi:[0,0,1]
	v_pk_fma_f32 v[18:19], v[12:13], v[74:75], v[18:19] op_sel_hi:[1,0,1]
	v_dual_mov_b32 v74, v14 :: v_dual_mov_b32 v75, v19
	s_wait_dscnt 0x0
	s_delay_alu instid0(VALU_DEP_2) | instskip(NEXT) | instid1(VALU_DEP_1)
	v_pk_mul_f32 v[32:33], v[28:29], v[18:19] op_sel:[0,1]
	v_pk_fma_f32 v[42:43], v[28:29], v[14:15], v[32:33] op_sel:[0,0,1] op_sel_hi:[1,1,0] neg_lo:[0,0,1] neg_hi:[0,0,1]
	v_pk_fma_f32 v[28:29], v[28:29], v[14:15], v[32:33] op_sel:[0,0,1] op_sel_hi:[1,0,0]
	s_delay_alu instid0(VALU_DEP_1) | instskip(SKIP_1) | instid1(VALU_DEP_1)
	v_mov_b32_e32 v43, v29
	v_pk_mul_f32 v[28:29], v[30:31], v[18:19] op_sel:[0,1]
	v_pk_fma_f32 v[32:33], v[30:31], v[14:15], v[28:29] op_sel:[0,0,1] op_sel_hi:[1,1,0] neg_lo:[0,0,1] neg_hi:[0,0,1]
	v_pk_fma_f32 v[28:29], v[30:31], v[14:15], v[28:29] op_sel:[0,0,1] op_sel_hi:[1,0,0]
	s_delay_alu instid0(VALU_DEP_1)
	v_mov_b32_e32 v33, v29
	ds_load_2addr_b64 v[28:31], v182 offset0:22 offset1:23
	v_pk_add_f32 v[98:99], v[98:99], v[42:43] neg_lo:[0,1] neg_hi:[0,1]
	v_pk_add_f32 v[94:95], v[94:95], v[32:33] neg_lo:[0,1] neg_hi:[0,1]
	s_wait_dscnt 0x0
	v_pk_mul_f32 v[32:33], v[28:29], v[18:19] op_sel:[0,1]
	s_delay_alu instid0(VALU_DEP_1) | instskip(SKIP_2) | instid1(VALU_DEP_2)
	v_pk_fma_f32 v[42:43], v[28:29], v[14:15], v[32:33] op_sel:[0,0,1] op_sel_hi:[1,1,0] neg_lo:[0,0,1] neg_hi:[0,0,1]
	v_pk_fma_f32 v[28:29], v[28:29], v[14:15], v[32:33] op_sel:[0,0,1] op_sel_hi:[1,0,0]
	v_dual_mul_f32 v32, v31, v19 :: v_dual_mov_b32 v28, v31
	v_dual_mov_b32 v43, v29 :: v_dual_mov_b32 v29, v30
	s_delay_alu instid0(VALU_DEP_2) | instskip(SKIP_1) | instid1(VALU_DEP_3)
	v_pk_fma_f32 v[32:33], v[30:31], v[74:75], v[32:33] op_sel_hi:[1,1,0] neg_lo:[0,0,1] neg_hi:[0,0,1]
	v_mul_f32_e32 v30, v31, v14
	v_pk_add_f32 v[96:97], v[96:97], v[42:43] neg_lo:[0,1] neg_hi:[0,1]
	s_delay_alu instid0(VALU_DEP_2) | instskip(NEXT) | instid1(VALU_DEP_1)
	v_pk_fma_f32 v[28:29], v[28:29], v[74:75], v[30:31] op_sel_hi:[1,1,0]
	v_mov_b32_e32 v33, v29
	ds_load_2addr_b64 v[28:31], v182 offset0:24 offset1:25
	v_pk_add_f32 v[92:93], v[92:93], v[32:33] neg_lo:[0,1] neg_hi:[0,1]
	s_wait_dscnt 0x0
	v_pk_mul_f32 v[32:33], v[28:29], v[18:19] op_sel:[0,1]
	s_delay_alu instid0(VALU_DEP_1) | instskip(SKIP_1) | instid1(VALU_DEP_1)
	v_pk_fma_f32 v[42:43], v[28:29], v[14:15], v[32:33] op_sel:[0,0,1] op_sel_hi:[1,1,0] neg_lo:[0,0,1] neg_hi:[0,0,1]
	v_pk_fma_f32 v[28:29], v[28:29], v[14:15], v[32:33] op_sel:[0,0,1] op_sel_hi:[1,0,0]
	v_mov_b32_e32 v43, v29
	v_pk_mul_f32 v[28:29], v[30:31], v[18:19] op_sel:[0,1]
	s_delay_alu instid0(VALU_DEP_1) | instskip(SKIP_1) | instid1(VALU_DEP_1)
	v_pk_fma_f32 v[32:33], v[30:31], v[14:15], v[28:29] op_sel:[0,0,1] op_sel_hi:[1,1,0] neg_lo:[0,0,1] neg_hi:[0,0,1]
	v_pk_fma_f32 v[28:29], v[30:31], v[14:15], v[28:29] op_sel:[0,0,1] op_sel_hi:[1,0,0]
	v_mov_b32_e32 v33, v29
	ds_load_2addr_b64 v[28:31], v182 offset0:26 offset1:27
	v_pk_add_f32 v[114:115], v[114:115], v[42:43] neg_lo:[0,1] neg_hi:[0,1]
	v_pk_add_f32 v[110:111], v[110:111], v[32:33] neg_lo:[0,1] neg_hi:[0,1]
	s_wait_dscnt 0x0
	v_pk_mul_f32 v[32:33], v[28:29], v[18:19] op_sel:[0,1]
	s_delay_alu instid0(VALU_DEP_1) | instskip(SKIP_1) | instid1(VALU_DEP_1)
	v_pk_fma_f32 v[42:43], v[28:29], v[14:15], v[32:33] op_sel:[0,0,1] op_sel_hi:[1,1,0] neg_lo:[0,0,1] neg_hi:[0,0,1]
	v_pk_fma_f32 v[28:29], v[28:29], v[14:15], v[32:33] op_sel:[0,0,1] op_sel_hi:[1,0,0]
	v_mov_b32_e32 v43, v29
	v_pk_mul_f32 v[28:29], v[30:31], v[18:19] op_sel:[0,1]
	s_delay_alu instid0(VALU_DEP_1) | instskip(SKIP_1) | instid1(VALU_DEP_1)
	v_pk_fma_f32 v[32:33], v[30:31], v[14:15], v[28:29] op_sel:[0,0,1] op_sel_hi:[1,1,0] neg_lo:[0,0,1] neg_hi:[0,0,1]
	v_pk_fma_f32 v[28:29], v[30:31], v[14:15], v[28:29] op_sel:[0,0,1] op_sel_hi:[1,0,0]
	v_mov_b32_e32 v33, v29
	ds_load_2addr_b64 v[28:31], v182 offset0:28 offset1:29
	v_pk_add_f32 v[112:113], v[112:113], v[42:43] neg_lo:[0,1] neg_hi:[0,1]
	v_pk_add_f32 v[108:109], v[108:109], v[32:33] neg_lo:[0,1] neg_hi:[0,1]
	s_wait_dscnt 0x0
	v_dual_mul_f32 v32, v29, v19 :: v_dual_mul_f32 v42, v29, v14
	s_delay_alu instid0(VALU_DEP_1) | instskip(NEXT) | instid1(VALU_DEP_2)
	v_pk_fma_f32 v[32:33], v[28:29], v[74:75], v[32:33] op_sel_hi:[1,1,0] neg_lo:[0,0,1] neg_hi:[0,0,1]
	v_pk_fma_f32 v[28:29], v[28:29], v[74:75], v[42:43] op_sel:[1,0,0] op_sel_hi:[0,1,0]
	s_delay_alu instid0(VALU_DEP_1) | instskip(SKIP_1) | instid1(VALU_DEP_2)
	v_mov_b32_e32 v33, v29
	v_pk_mul_f32 v[28:29], v[30:31], v[18:19] op_sel:[0,1]
	v_pk_add_f32 v[130:131], v[130:131], v[32:33] neg_lo:[0,1] neg_hi:[0,1]
	s_delay_alu instid0(VALU_DEP_2) | instskip(SKIP_1) | instid1(VALU_DEP_1)
	v_pk_fma_f32 v[32:33], v[30:31], v[14:15], v[28:29] op_sel:[0,0,1] op_sel_hi:[1,1,0] neg_lo:[0,0,1] neg_hi:[0,0,1]
	v_pk_fma_f32 v[28:29], v[30:31], v[14:15], v[28:29] op_sel:[0,0,1] op_sel_hi:[1,0,0]
	v_mov_b32_e32 v33, v29
	ds_load_2addr_b64 v[28:31], v182 offset0:30 offset1:31
	v_pk_add_f32 v[126:127], v[126:127], v[32:33] neg_lo:[0,1] neg_hi:[0,1]
	s_wait_dscnt 0x0
	v_pk_mul_f32 v[32:33], v[28:29], v[18:19] op_sel:[0,1]
	s_delay_alu instid0(VALU_DEP_1) | instskip(SKIP_1) | instid1(VALU_DEP_1)
	v_pk_fma_f32 v[42:43], v[28:29], v[14:15], v[32:33] op_sel:[0,0,1] op_sel_hi:[1,1,0] neg_lo:[0,0,1] neg_hi:[0,0,1]
	v_pk_fma_f32 v[28:29], v[28:29], v[14:15], v[32:33] op_sel:[0,0,1] op_sel_hi:[1,0,0]
	v_mov_b32_e32 v43, v29
	v_pk_mul_f32 v[28:29], v[30:31], v[18:19] op_sel:[0,1]
	s_delay_alu instid0(VALU_DEP_2) | instskip(NEXT) | instid1(VALU_DEP_2)
	v_pk_add_f32 v[128:129], v[128:129], v[42:43] neg_lo:[0,1] neg_hi:[0,1]
	v_pk_fma_f32 v[32:33], v[30:31], v[14:15], v[28:29] op_sel:[0,0,1] op_sel_hi:[1,1,0] neg_lo:[0,0,1] neg_hi:[0,0,1]
	v_pk_fma_f32 v[28:29], v[30:31], v[14:15], v[28:29] op_sel:[0,0,1] op_sel_hi:[1,0,0]
	s_delay_alu instid0(VALU_DEP_1) | instskip(SKIP_4) | instid1(VALU_DEP_1)
	v_mov_b32_e32 v33, v29
	ds_load_2addr_b64 v[28:31], v182 offset0:32 offset1:33
	v_pk_add_f32 v[124:125], v[124:125], v[32:33] neg_lo:[0,1] neg_hi:[0,1]
	s_wait_dscnt 0x0
	v_pk_mul_f32 v[32:33], v[28:29], v[18:19] op_sel:[0,1]
	v_pk_fma_f32 v[42:43], v[28:29], v[14:15], v[32:33] op_sel:[0,0,1] op_sel_hi:[1,1,0] neg_lo:[0,0,1] neg_hi:[0,0,1]
	v_pk_fma_f32 v[28:29], v[28:29], v[14:15], v[32:33] op_sel:[0,0,1] op_sel_hi:[1,0,0]
	v_dual_mul_f32 v32, v31, v19 :: v_dual_mov_b32 v28, v31
	s_delay_alu instid0(VALU_DEP_2) | instskip(NEXT) | instid1(VALU_DEP_2)
	v_dual_mov_b32 v43, v29 :: v_dual_mov_b32 v29, v30
	v_pk_fma_f32 v[32:33], v[30:31], v[74:75], v[32:33] op_sel_hi:[1,1,0] neg_lo:[0,0,1] neg_hi:[0,0,1]
	v_mul_f32_e32 v30, v31, v14
	s_delay_alu instid0(VALU_DEP_3) | instskip(NEXT) | instid1(VALU_DEP_2)
	v_pk_add_f32 v[146:147], v[146:147], v[42:43] neg_lo:[0,1] neg_hi:[0,1]
	v_pk_fma_f32 v[28:29], v[28:29], v[74:75], v[30:31] op_sel_hi:[1,1,0]
	s_delay_alu instid0(VALU_DEP_1) | instskip(SKIP_4) | instid1(VALU_DEP_1)
	v_mov_b32_e32 v33, v29
	ds_load_2addr_b64 v[28:31], v182 offset0:34 offset1:35
	v_pk_add_f32 v[142:143], v[142:143], v[32:33] neg_lo:[0,1] neg_hi:[0,1]
	s_wait_dscnt 0x0
	v_pk_mul_f32 v[32:33], v[28:29], v[18:19] op_sel:[0,1]
	v_pk_fma_f32 v[42:43], v[28:29], v[14:15], v[32:33] op_sel:[0,0,1] op_sel_hi:[1,1,0] neg_lo:[0,0,1] neg_hi:[0,0,1]
	v_pk_fma_f32 v[28:29], v[28:29], v[14:15], v[32:33] op_sel:[0,0,1] op_sel_hi:[1,0,0]
	s_delay_alu instid0(VALU_DEP_1) | instskip(SKIP_1) | instid1(VALU_DEP_1)
	v_mov_b32_e32 v43, v29
	v_pk_mul_f32 v[28:29], v[30:31], v[18:19] op_sel:[0,1]
	v_pk_fma_f32 v[32:33], v[30:31], v[14:15], v[28:29] op_sel:[0,0,1] op_sel_hi:[1,1,0] neg_lo:[0,0,1] neg_hi:[0,0,1]
	v_pk_fma_f32 v[28:29], v[30:31], v[14:15], v[28:29] op_sel:[0,0,1] op_sel_hi:[1,0,0]
	s_delay_alu instid0(VALU_DEP_1)
	v_mov_b32_e32 v33, v29
	ds_load_2addr_b64 v[28:31], v182 offset0:36 offset1:37
	v_pk_add_f32 v[144:145], v[144:145], v[42:43] neg_lo:[0,1] neg_hi:[0,1]
	v_pk_add_f32 v[140:141], v[140:141], v[32:33] neg_lo:[0,1] neg_hi:[0,1]
	s_wait_dscnt 0x0
	v_pk_mul_f32 v[32:33], v[28:29], v[18:19] op_sel:[0,1]
	s_delay_alu instid0(VALU_DEP_1) | instskip(SKIP_1) | instid1(VALU_DEP_1)
	v_pk_fma_f32 v[42:43], v[28:29], v[14:15], v[32:33] op_sel:[0,0,1] op_sel_hi:[1,1,0] neg_lo:[0,0,1] neg_hi:[0,0,1]
	v_pk_fma_f32 v[28:29], v[28:29], v[14:15], v[32:33] op_sel:[0,0,1] op_sel_hi:[1,0,0]
	v_mov_b32_e32 v43, v29
	v_pk_mul_f32 v[28:29], v[30:31], v[18:19] op_sel:[0,1]
	s_delay_alu instid0(VALU_DEP_1) | instskip(SKIP_1) | instid1(VALU_DEP_1)
	v_pk_fma_f32 v[32:33], v[30:31], v[14:15], v[28:29] op_sel:[0,0,1] op_sel_hi:[1,1,0] neg_lo:[0,0,1] neg_hi:[0,0,1]
	v_pk_fma_f32 v[28:29], v[30:31], v[14:15], v[28:29] op_sel:[0,0,1] op_sel_hi:[1,0,0]
	v_mov_b32_e32 v33, v29
	ds_load_2addr_b64 v[28:31], v182 offset0:38 offset1:39
	v_pk_add_f32 v[162:163], v[162:163], v[42:43] neg_lo:[0,1] neg_hi:[0,1]
	v_pk_add_f32 v[158:159], v[158:159], v[32:33] neg_lo:[0,1] neg_hi:[0,1]
	s_wait_dscnt 0x0
	v_dual_mul_f32 v32, v29, v19 :: v_dual_mul_f32 v42, v29, v14
	s_delay_alu instid0(VALU_DEP_1) | instskip(NEXT) | instid1(VALU_DEP_2)
	v_pk_fma_f32 v[32:33], v[28:29], v[74:75], v[32:33] op_sel_hi:[1,1,0] neg_lo:[0,0,1] neg_hi:[0,0,1]
	v_pk_fma_f32 v[28:29], v[28:29], v[74:75], v[42:43] op_sel:[1,0,0] op_sel_hi:[0,1,0]
	s_delay_alu instid0(VALU_DEP_1) | instskip(SKIP_1) | instid1(VALU_DEP_2)
	v_mov_b32_e32 v33, v29
	v_pk_mul_f32 v[28:29], v[30:31], v[18:19] op_sel:[0,1]
	v_pk_add_f32 v[160:161], v[160:161], v[32:33] neg_lo:[0,1] neg_hi:[0,1]
	s_delay_alu instid0(VALU_DEP_2) | instskip(SKIP_1) | instid1(VALU_DEP_1)
	v_pk_fma_f32 v[32:33], v[30:31], v[14:15], v[28:29] op_sel:[0,0,1] op_sel_hi:[1,1,0] neg_lo:[0,0,1] neg_hi:[0,0,1]
	v_pk_fma_f32 v[28:29], v[30:31], v[14:15], v[28:29] op_sel:[0,0,1] op_sel_hi:[1,0,0]
	v_mov_b32_e32 v33, v29
	ds_load_2addr_b64 v[28:31], v182 offset0:40 offset1:41
	v_pk_add_f32 v[156:157], v[156:157], v[32:33] neg_lo:[0,1] neg_hi:[0,1]
	s_wait_dscnt 0x0
	v_pk_mul_f32 v[32:33], v[28:29], v[18:19] op_sel:[0,1]
	s_delay_alu instid0(VALU_DEP_1) | instskip(SKIP_1) | instid1(VALU_DEP_1)
	v_pk_fma_f32 v[42:43], v[28:29], v[14:15], v[32:33] op_sel:[0,0,1] op_sel_hi:[1,1,0] neg_lo:[0,0,1] neg_hi:[0,0,1]
	v_pk_fma_f32 v[28:29], v[28:29], v[14:15], v[32:33] op_sel:[0,0,1] op_sel_hi:[1,0,0]
	v_mov_b32_e32 v43, v29
	v_pk_mul_f32 v[28:29], v[30:31], v[18:19] op_sel:[0,1]
	s_delay_alu instid0(VALU_DEP_2) | instskip(NEXT) | instid1(VALU_DEP_2)
	v_pk_add_f32 v[178:179], v[178:179], v[42:43] neg_lo:[0,1] neg_hi:[0,1]
	v_pk_fma_f32 v[32:33], v[30:31], v[14:15], v[28:29] op_sel:[0,0,1] op_sel_hi:[1,1,0] neg_lo:[0,0,1] neg_hi:[0,0,1]
	v_pk_fma_f32 v[28:29], v[30:31], v[14:15], v[28:29] op_sel:[0,0,1] op_sel_hi:[1,0,0]
	s_delay_alu instid0(VALU_DEP_1) | instskip(SKIP_4) | instid1(VALU_DEP_1)
	v_mov_b32_e32 v33, v29
	ds_load_2addr_b64 v[28:31], v182 offset0:42 offset1:43
	v_pk_add_f32 v[174:175], v[174:175], v[32:33] neg_lo:[0,1] neg_hi:[0,1]
	s_wait_dscnt 0x0
	v_pk_mul_f32 v[32:33], v[28:29], v[18:19] op_sel:[0,1]
	v_pk_fma_f32 v[42:43], v[28:29], v[14:15], v[32:33] op_sel:[0,0,1] op_sel_hi:[1,1,0] neg_lo:[0,0,1] neg_hi:[0,0,1]
	v_pk_fma_f32 v[28:29], v[28:29], v[14:15], v[32:33] op_sel:[0,0,1] op_sel_hi:[1,0,0]
	v_dual_mul_f32 v32, v31, v19 :: v_dual_mov_b32 v28, v31
	s_delay_alu instid0(VALU_DEP_2) | instskip(NEXT) | instid1(VALU_DEP_2)
	v_dual_mov_b32 v43, v29 :: v_dual_mov_b32 v29, v30
	v_pk_fma_f32 v[32:33], v[30:31], v[74:75], v[32:33] op_sel_hi:[1,1,0] neg_lo:[0,0,1] neg_hi:[0,0,1]
	v_mul_f32_e32 v30, v31, v14
	s_delay_alu instid0(VALU_DEP_3) | instskip(NEXT) | instid1(VALU_DEP_2)
	v_pk_add_f32 v[176:177], v[176:177], v[42:43] neg_lo:[0,1] neg_hi:[0,1]
	v_pk_fma_f32 v[28:29], v[28:29], v[74:75], v[30:31] op_sel_hi:[1,1,0]
	s_delay_alu instid0(VALU_DEP_1) | instskip(SKIP_4) | instid1(VALU_DEP_1)
	v_mov_b32_e32 v33, v29
	ds_load_2addr_b64 v[28:31], v182 offset0:44 offset1:45
	v_pk_add_f32 v[172:173], v[172:173], v[32:33] neg_lo:[0,1] neg_hi:[0,1]
	s_wait_dscnt 0x0
	v_pk_mul_f32 v[32:33], v[28:29], v[18:19] op_sel:[0,1]
	v_pk_fma_f32 v[42:43], v[28:29], v[14:15], v[32:33] op_sel:[0,0,1] op_sel_hi:[1,1,0] neg_lo:[0,0,1] neg_hi:[0,0,1]
	v_pk_fma_f32 v[28:29], v[28:29], v[14:15], v[32:33] op_sel:[0,0,1] op_sel_hi:[1,0,0]
	s_delay_alu instid0(VALU_DEP_1) | instskip(SKIP_1) | instid1(VALU_DEP_1)
	v_mov_b32_e32 v43, v29
	v_pk_mul_f32 v[28:29], v[30:31], v[18:19] op_sel:[0,1]
	v_pk_fma_f32 v[32:33], v[30:31], v[14:15], v[28:29] op_sel:[0,0,1] op_sel_hi:[1,1,0] neg_lo:[0,0,1] neg_hi:[0,0,1]
	v_pk_fma_f32 v[28:29], v[30:31], v[14:15], v[28:29] op_sel:[0,0,1] op_sel_hi:[1,0,0]
	s_delay_alu instid0(VALU_DEP_1)
	v_mov_b32_e32 v33, v29
	ds_load_2addr_b64 v[28:31], v182 offset0:46 offset1:47
	v_pk_add_f32 v[200:201], v[200:201], v[42:43] neg_lo:[0,1] neg_hi:[0,1]
	v_pk_add_f32 v[196:197], v[196:197], v[32:33] neg_lo:[0,1] neg_hi:[0,1]
	s_wait_dscnt 0x0
	v_pk_mul_f32 v[32:33], v[28:29], v[18:19] op_sel:[0,1]
	s_delay_alu instid0(VALU_DEP_1) | instskip(SKIP_1) | instid1(VALU_DEP_1)
	v_pk_fma_f32 v[42:43], v[28:29], v[14:15], v[32:33] op_sel:[0,0,1] op_sel_hi:[1,1,0] neg_lo:[0,0,1] neg_hi:[0,0,1]
	v_pk_fma_f32 v[28:29], v[28:29], v[14:15], v[32:33] op_sel:[0,0,1] op_sel_hi:[1,0,0]
	v_mov_b32_e32 v43, v29
	v_pk_mul_f32 v[28:29], v[30:31], v[18:19] op_sel:[0,1]
	s_delay_alu instid0(VALU_DEP_1) | instskip(SKIP_1) | instid1(VALU_DEP_1)
	v_pk_fma_f32 v[32:33], v[30:31], v[14:15], v[28:29] op_sel:[0,0,1] op_sel_hi:[1,1,0] neg_lo:[0,0,1] neg_hi:[0,0,1]
	v_pk_fma_f32 v[28:29], v[30:31], v[14:15], v[28:29] op_sel:[0,0,1] op_sel_hi:[1,0,0]
	v_mov_b32_e32 v33, v29
	ds_load_2addr_b64 v[28:31], v182 offset0:48 offset1:49
	v_pk_add_f32 v[198:199], v[198:199], v[42:43] neg_lo:[0,1] neg_hi:[0,1]
	v_pk_add_f32 v[194:195], v[194:195], v[32:33] neg_lo:[0,1] neg_hi:[0,1]
	s_wait_dscnt 0x0
	v_dual_mul_f32 v32, v29, v19 :: v_dual_mul_f32 v42, v29, v14
	s_delay_alu instid0(VALU_DEP_1) | instskip(NEXT) | instid1(VALU_DEP_2)
	v_pk_fma_f32 v[32:33], v[28:29], v[74:75], v[32:33] op_sel_hi:[1,1,0] neg_lo:[0,0,1] neg_hi:[0,0,1]
	v_pk_fma_f32 v[28:29], v[28:29], v[74:75], v[42:43] op_sel:[1,0,0] op_sel_hi:[0,1,0]
	s_delay_alu instid0(VALU_DEP_1) | instskip(SKIP_1) | instid1(VALU_DEP_2)
	v_mov_b32_e32 v33, v29
	v_pk_mul_f32 v[28:29], v[30:31], v[18:19] op_sel:[0,1]
	v_pk_add_f32 v[224:225], v[224:225], v[32:33] neg_lo:[0,1] neg_hi:[0,1]
	s_delay_alu instid0(VALU_DEP_2) | instskip(SKIP_1) | instid1(VALU_DEP_1)
	v_pk_fma_f32 v[32:33], v[30:31], v[14:15], v[28:29] op_sel:[0,0,1] op_sel_hi:[1,1,0] neg_lo:[0,0,1] neg_hi:[0,0,1]
	v_pk_fma_f32 v[28:29], v[30:31], v[14:15], v[28:29] op_sel:[0,0,1] op_sel_hi:[1,0,0]
	v_mov_b32_e32 v33, v29
	ds_load_2addr_b64 v[28:31], v182 offset0:50 offset1:51
	v_pk_add_f32 v[216:217], v[216:217], v[32:33] neg_lo:[0,1] neg_hi:[0,1]
	s_wait_dscnt 0x0
	v_pk_mul_f32 v[32:33], v[28:29], v[18:19] op_sel:[0,1]
	s_delay_alu instid0(VALU_DEP_1) | instskip(SKIP_1) | instid1(VALU_DEP_1)
	v_pk_fma_f32 v[42:43], v[28:29], v[14:15], v[32:33] op_sel:[0,0,1] op_sel_hi:[1,1,0] neg_lo:[0,0,1] neg_hi:[0,0,1]
	v_pk_fma_f32 v[28:29], v[28:29], v[14:15], v[32:33] op_sel:[0,0,1] op_sel_hi:[1,0,0]
	v_mov_b32_e32 v43, v29
	v_pk_mul_f32 v[28:29], v[30:31], v[18:19] op_sel:[0,1]
	s_delay_alu instid0(VALU_DEP_2) | instskip(NEXT) | instid1(VALU_DEP_2)
	v_pk_add_f32 v[222:223], v[222:223], v[42:43] neg_lo:[0,1] neg_hi:[0,1]
	v_pk_fma_f32 v[32:33], v[30:31], v[14:15], v[28:29] op_sel:[0,0,1] op_sel_hi:[1,1,0] neg_lo:[0,0,1] neg_hi:[0,0,1]
	v_pk_fma_f32 v[28:29], v[30:31], v[14:15], v[28:29] op_sel:[0,0,1] op_sel_hi:[1,0,0]
	s_delay_alu instid0(VALU_DEP_1) | instskip(SKIP_4) | instid1(VALU_DEP_1)
	v_mov_b32_e32 v33, v29
	ds_load_2addr_b64 v[28:31], v182 offset0:52 offset1:53
	v_pk_add_f32 v[214:215], v[214:215], v[32:33] neg_lo:[0,1] neg_hi:[0,1]
	s_wait_dscnt 0x0
	v_pk_mul_f32 v[32:33], v[28:29], v[18:19] op_sel:[0,1]
	v_pk_fma_f32 v[42:43], v[28:29], v[14:15], v[32:33] op_sel:[0,0,1] op_sel_hi:[1,1,0] neg_lo:[0,0,1] neg_hi:[0,0,1]
	v_pk_fma_f32 v[28:29], v[28:29], v[14:15], v[32:33] op_sel:[0,0,1] op_sel_hi:[1,0,0]
	v_dual_mul_f32 v32, v31, v19 :: v_dual_mov_b32 v28, v31
	s_delay_alu instid0(VALU_DEP_2) | instskip(NEXT) | instid1(VALU_DEP_2)
	v_dual_mov_b32 v43, v29 :: v_dual_mov_b32 v29, v30
	v_pk_fma_f32 v[32:33], v[30:31], v[74:75], v[32:33] op_sel_hi:[1,1,0] neg_lo:[0,0,1] neg_hi:[0,0,1]
	v_mul_f32_e32 v30, v31, v14
	s_delay_alu instid0(VALU_DEP_3) | instskip(NEXT) | instid1(VALU_DEP_2)
	v_pk_add_f32 v[220:221], v[220:221], v[42:43] neg_lo:[0,1] neg_hi:[0,1]
	v_pk_fma_f32 v[28:29], v[28:29], v[74:75], v[30:31] op_sel_hi:[1,1,0]
	s_delay_alu instid0(VALU_DEP_1) | instskip(SKIP_4) | instid1(VALU_DEP_1)
	v_mov_b32_e32 v33, v29
	ds_load_2addr_b64 v[28:31], v182 offset0:54 offset1:55
	v_pk_add_f32 v[212:213], v[212:213], v[32:33] neg_lo:[0,1] neg_hi:[0,1]
	s_wait_dscnt 0x0
	v_pk_mul_f32 v[32:33], v[28:29], v[18:19] op_sel:[0,1]
	v_pk_fma_f32 v[42:43], v[28:29], v[14:15], v[32:33] op_sel:[0,0,1] op_sel_hi:[1,1,0] neg_lo:[0,0,1] neg_hi:[0,0,1]
	v_pk_fma_f32 v[28:29], v[28:29], v[14:15], v[32:33] op_sel:[0,0,1] op_sel_hi:[1,0,0]
	s_delay_alu instid0(VALU_DEP_1) | instskip(SKIP_1) | instid1(VALU_DEP_1)
	v_mov_b32_e32 v43, v29
	v_pk_mul_f32 v[28:29], v[30:31], v[18:19] op_sel:[0,1]
	v_pk_fma_f32 v[32:33], v[30:31], v[14:15], v[28:29] op_sel:[0,0,1] op_sel_hi:[1,1,0] neg_lo:[0,0,1] neg_hi:[0,0,1]
	v_pk_fma_f32 v[28:29], v[30:31], v[14:15], v[28:29] op_sel:[0,0,1] op_sel_hi:[1,0,0]
	s_delay_alu instid0(VALU_DEP_1)
	v_mov_b32_e32 v33, v29
	ds_load_b64 v[28:29], v182 offset:448
	v_pk_add_f32 v[218:219], v[218:219], v[42:43] neg_lo:[0,1] neg_hi:[0,1]
	v_pk_add_f32 v[226:227], v[226:227], v[32:33] neg_lo:[0,1] neg_hi:[0,1]
	s_wait_dscnt 0x0
	v_pk_mul_f32 v[18:19], v[28:29], v[18:19] op_sel:[0,1]
	s_delay_alu instid0(VALU_DEP_1) | instskip(SKIP_1) | instid1(VALU_DEP_1)
	v_pk_fma_f32 v[30:31], v[28:29], v[14:15], v[18:19] op_sel:[0,0,1] op_sel_hi:[1,1,0] neg_lo:[0,0,1] neg_hi:[0,0,1]
	v_pk_fma_f32 v[14:15], v[28:29], v[14:15], v[18:19] op_sel:[0,0,1] op_sel_hi:[1,0,0]
	v_mov_b32_e32 v31, v15
	s_delay_alu instid0(VALU_DEP_1)
	v_pk_add_f32 v[228:229], v[228:229], v[30:31] neg_lo:[0,1] neg_hi:[0,1]
.LBB113_181:
	s_or_b32 exec_lo, exec_lo, s1
	s_delay_alu instid0(SALU_CYCLE_1)
	s_mov_b32 s2, exec_lo
	s_wait_dscnt 0x0
	s_barrier_signal -1
	s_barrier_wait -1
	v_cmpx_eq_u32_e32 20, v180
	s_cbranch_execz .LBB113_188
; %bb.182:
	ds_store_b64 v181, v[98:99]
	ds_store_2addr_b64 v182, v[94:95], v[96:97] offset0:21 offset1:22
	ds_store_2addr_b64 v182, v[92:93], v[114:115] offset0:23 offset1:24
	;; [unrolled: 1-line block ×18, first 2 shown]
	ds_load_b64 v[14:15], v181
	s_wait_dscnt 0x0
	v_cmp_neq_f32_e32 vcc_lo, 0, v14
	v_cmp_neq_f32_e64 s1, 0, v15
	s_or_b32 s1, vcc_lo, s1
	s_delay_alu instid0(SALU_CYCLE_1)
	s_and_b32 exec_lo, exec_lo, s1
	s_cbranch_execz .LBB113_188
; %bb.183:
	v_cmp_ngt_f32_e64 s1, |v14|, |v15|
                                        ; implicit-def: $vgpr18_vgpr19
	s_and_saveexec_b32 s4, s1
	s_delay_alu instid0(SALU_CYCLE_1)
	s_xor_b32 s1, exec_lo, s4
	s_cbranch_execz .LBB113_185
; %bb.184:
	v_div_scale_f32 v18, null, v15, v15, v14
	v_div_scale_f32 v29, vcc_lo, v14, v15, v14
	s_delay_alu instid0(VALU_DEP_2) | instskip(SKIP_1) | instid1(TRANS32_DEP_1)
	v_rcp_f32_e32 v19, v18
	v_nop
	v_fma_f32 v28, -v18, v19, 1.0
	s_delay_alu instid0(VALU_DEP_1) | instskip(NEXT) | instid1(VALU_DEP_1)
	v_fmac_f32_e32 v19, v28, v19
	v_mul_f32_e32 v28, v29, v19
	s_delay_alu instid0(VALU_DEP_1) | instskip(NEXT) | instid1(VALU_DEP_1)
	v_fma_f32 v30, -v18, v28, v29
	v_fmac_f32_e32 v28, v30, v19
	s_delay_alu instid0(VALU_DEP_1) | instskip(NEXT) | instid1(VALU_DEP_1)
	v_fma_f32 v18, -v18, v28, v29
	v_div_fmas_f32 v18, v18, v19, v28
	s_delay_alu instid0(VALU_DEP_1) | instskip(NEXT) | instid1(VALU_DEP_1)
	v_div_fixup_f32 v18, v18, v15, v14
	v_fmac_f32_e32 v15, v14, v18
	s_delay_alu instid0(VALU_DEP_1) | instskip(SKIP_1) | instid1(VALU_DEP_2)
	v_div_scale_f32 v14, null, v15, v15, 1.0
	v_div_scale_f32 v29, vcc_lo, 1.0, v15, 1.0
	v_rcp_f32_e32 v19, v14
	v_nop
	s_delay_alu instid0(TRANS32_DEP_1) | instskip(NEXT) | instid1(VALU_DEP_1)
	v_fma_f32 v28, -v14, v19, 1.0
	v_fmac_f32_e32 v19, v28, v19
	s_delay_alu instid0(VALU_DEP_1) | instskip(NEXT) | instid1(VALU_DEP_1)
	v_mul_f32_e32 v28, v29, v19
	v_fma_f32 v30, -v14, v28, v29
	s_delay_alu instid0(VALU_DEP_1) | instskip(NEXT) | instid1(VALU_DEP_1)
	v_fmac_f32_e32 v28, v30, v19
	v_fma_f32 v14, -v14, v28, v29
	s_delay_alu instid0(VALU_DEP_1) | instskip(NEXT) | instid1(VALU_DEP_1)
	v_div_fmas_f32 v14, v14, v19, v28
	v_div_fixup_f32 v14, v14, v15, 1.0
	s_delay_alu instid0(VALU_DEP_1)
	v_mul_f32_e32 v18, v18, v14
	v_xor_b32_e32 v19, 0x80000000, v14
                                        ; implicit-def: $vgpr14_vgpr15
.LBB113_185:
	s_and_not1_saveexec_b32 s1, s1
	s_cbranch_execz .LBB113_187
; %bb.186:
	v_div_scale_f32 v18, null, v14, v14, v15
	v_div_scale_f32 v29, vcc_lo, v15, v14, v15
	s_delay_alu instid0(VALU_DEP_2) | instskip(SKIP_1) | instid1(TRANS32_DEP_1)
	v_rcp_f32_e32 v19, v18
	v_nop
	v_fma_f32 v28, -v18, v19, 1.0
	s_delay_alu instid0(VALU_DEP_1) | instskip(NEXT) | instid1(VALU_DEP_1)
	v_fmac_f32_e32 v19, v28, v19
	v_mul_f32_e32 v28, v29, v19
	s_delay_alu instid0(VALU_DEP_1) | instskip(NEXT) | instid1(VALU_DEP_1)
	v_fma_f32 v30, -v18, v28, v29
	v_fmac_f32_e32 v28, v30, v19
	s_delay_alu instid0(VALU_DEP_1) | instskip(NEXT) | instid1(VALU_DEP_1)
	v_fma_f32 v18, -v18, v28, v29
	v_div_fmas_f32 v18, v18, v19, v28
	s_delay_alu instid0(VALU_DEP_1) | instskip(NEXT) | instid1(VALU_DEP_1)
	v_div_fixup_f32 v19, v18, v14, v15
	v_fmac_f32_e32 v14, v15, v19
	s_delay_alu instid0(VALU_DEP_1) | instskip(NEXT) | instid1(VALU_DEP_1)
	v_div_scale_f32 v15, null, v14, v14, 1.0
	v_rcp_f32_e32 v18, v15
	v_nop
	s_delay_alu instid0(TRANS32_DEP_1) | instskip(NEXT) | instid1(VALU_DEP_1)
	v_fma_f32 v28, -v15, v18, 1.0
	v_fmac_f32_e32 v18, v28, v18
	v_div_scale_f32 v28, vcc_lo, 1.0, v14, 1.0
	s_delay_alu instid0(VALU_DEP_1) | instskip(NEXT) | instid1(VALU_DEP_1)
	v_mul_f32_e32 v29, v28, v18
	v_fma_f32 v30, -v15, v29, v28
	s_delay_alu instid0(VALU_DEP_1) | instskip(NEXT) | instid1(VALU_DEP_1)
	v_fmac_f32_e32 v29, v30, v18
	v_fma_f32 v15, -v15, v29, v28
	s_delay_alu instid0(VALU_DEP_1) | instskip(NEXT) | instid1(VALU_DEP_1)
	v_div_fmas_f32 v15, v15, v18, v29
	v_div_fixup_f32 v18, v15, v14, 1.0
	s_delay_alu instid0(VALU_DEP_1)
	v_mul_f32_e64 v19, v19, -v18
.LBB113_187:
	s_or_b32 exec_lo, exec_lo, s1
	ds_store_b64 v181, v[18:19]
.LBB113_188:
	s_or_b32 exec_lo, exec_lo, s2
	s_wait_dscnt 0x0
	s_barrier_signal -1
	s_barrier_wait -1
	ds_load_b64 v[14:15], v181
	s_mov_b32 s1, exec_lo
	v_cmpx_lt_u32_e32 20, v180
	s_cbranch_execz .LBB113_190
; %bb.189:
	ds_load_2addr_b64 v[30:33], v182 offset0:21 offset1:22
	s_wait_dscnt 0x1
	v_pk_mul_f32 v[28:29], v[14:15], v[98:99] op_sel:[1,1] op_sel_hi:[0,1]
	s_delay_alu instid0(VALU_DEP_1) | instskip(SKIP_1) | instid1(VALU_DEP_1)
	v_pk_fma_f32 v[18:19], v[14:15], v[98:99], v[28:29] op_sel_hi:[1,0,1] neg_lo:[0,0,1] neg_hi:[0,0,1]
	v_pk_fma_f32 v[28:29], v[14:15], v[98:99], v[28:29] op_sel_hi:[1,0,1]
	v_dual_mov_b32 v98, v18 :: v_dual_mov_b32 v99, v29
	s_wait_dscnt 0x0
	s_delay_alu instid0(VALU_DEP_2) | instskip(NEXT) | instid1(VALU_DEP_1)
	v_pk_mul_f32 v[42:43], v[30:31], v[28:29] op_sel:[0,1]
	v_pk_fma_f32 v[48:49], v[30:31], v[18:19], v[42:43] op_sel:[0,0,1] op_sel_hi:[1,1,0] neg_lo:[0,0,1] neg_hi:[0,0,1]
	v_pk_fma_f32 v[30:31], v[30:31], v[18:19], v[42:43] op_sel:[0,0,1] op_sel_hi:[1,0,0]
	s_delay_alu instid0(VALU_DEP_1) | instskip(SKIP_1) | instid1(VALU_DEP_1)
	v_mov_b32_e32 v49, v31
	v_pk_mul_f32 v[30:31], v[32:33], v[28:29] op_sel:[0,1]
	v_pk_fma_f32 v[42:43], v[32:33], v[18:19], v[30:31] op_sel:[0,0,1] op_sel_hi:[1,1,0] neg_lo:[0,0,1] neg_hi:[0,0,1]
	v_pk_fma_f32 v[30:31], v[32:33], v[18:19], v[30:31] op_sel:[0,0,1] op_sel_hi:[1,0,0]
	s_delay_alu instid0(VALU_DEP_1)
	v_mov_b32_e32 v43, v31
	ds_load_2addr_b64 v[30:33], v182 offset0:23 offset1:24
	v_pk_add_f32 v[94:95], v[94:95], v[48:49] neg_lo:[0,1] neg_hi:[0,1]
	v_pk_add_f32 v[96:97], v[96:97], v[42:43] neg_lo:[0,1] neg_hi:[0,1]
	s_wait_dscnt 0x0
	v_pk_mul_f32 v[42:43], v[30:31], v[28:29] op_sel:[0,1]
	s_delay_alu instid0(VALU_DEP_1) | instskip(SKIP_2) | instid1(VALU_DEP_2)
	v_pk_fma_f32 v[48:49], v[30:31], v[18:19], v[42:43] op_sel:[0,0,1] op_sel_hi:[1,1,0] neg_lo:[0,0,1] neg_hi:[0,0,1]
	v_pk_fma_f32 v[30:31], v[30:31], v[18:19], v[42:43] op_sel:[0,0,1] op_sel_hi:[1,0,0]
	v_dual_mul_f32 v42, v33, v29 :: v_dual_mov_b32 v30, v33
	v_dual_mov_b32 v49, v31 :: v_dual_mov_b32 v31, v32
	s_delay_alu instid0(VALU_DEP_2) | instskip(SKIP_1) | instid1(VALU_DEP_3)
	v_pk_fma_f32 v[42:43], v[32:33], v[98:99], v[42:43] op_sel_hi:[1,1,0] neg_lo:[0,0,1] neg_hi:[0,0,1]
	v_mul_f32_e32 v32, v33, v18
	v_pk_add_f32 v[92:93], v[92:93], v[48:49] neg_lo:[0,1] neg_hi:[0,1]
	s_delay_alu instid0(VALU_DEP_2) | instskip(NEXT) | instid1(VALU_DEP_1)
	v_pk_fma_f32 v[30:31], v[30:31], v[98:99], v[32:33] op_sel_hi:[1,1,0]
	v_mov_b32_e32 v43, v31
	ds_load_2addr_b64 v[30:33], v182 offset0:25 offset1:26
	v_pk_add_f32 v[114:115], v[114:115], v[42:43] neg_lo:[0,1] neg_hi:[0,1]
	s_wait_dscnt 0x0
	v_pk_mul_f32 v[42:43], v[30:31], v[28:29] op_sel:[0,1]
	s_delay_alu instid0(VALU_DEP_1) | instskip(SKIP_1) | instid1(VALU_DEP_1)
	v_pk_fma_f32 v[48:49], v[30:31], v[18:19], v[42:43] op_sel:[0,0,1] op_sel_hi:[1,1,0] neg_lo:[0,0,1] neg_hi:[0,0,1]
	v_pk_fma_f32 v[30:31], v[30:31], v[18:19], v[42:43] op_sel:[0,0,1] op_sel_hi:[1,0,0]
	v_mov_b32_e32 v49, v31
	v_pk_mul_f32 v[30:31], v[32:33], v[28:29] op_sel:[0,1]
	s_delay_alu instid0(VALU_DEP_1) | instskip(SKIP_1) | instid1(VALU_DEP_1)
	v_pk_fma_f32 v[42:43], v[32:33], v[18:19], v[30:31] op_sel:[0,0,1] op_sel_hi:[1,1,0] neg_lo:[0,0,1] neg_hi:[0,0,1]
	v_pk_fma_f32 v[30:31], v[32:33], v[18:19], v[30:31] op_sel:[0,0,1] op_sel_hi:[1,0,0]
	v_mov_b32_e32 v43, v31
	ds_load_2addr_b64 v[30:33], v182 offset0:27 offset1:28
	v_pk_add_f32 v[110:111], v[110:111], v[48:49] neg_lo:[0,1] neg_hi:[0,1]
	v_pk_add_f32 v[112:113], v[112:113], v[42:43] neg_lo:[0,1] neg_hi:[0,1]
	s_wait_dscnt 0x0
	v_pk_mul_f32 v[42:43], v[30:31], v[28:29] op_sel:[0,1]
	s_delay_alu instid0(VALU_DEP_1) | instskip(SKIP_1) | instid1(VALU_DEP_1)
	v_pk_fma_f32 v[48:49], v[30:31], v[18:19], v[42:43] op_sel:[0,0,1] op_sel_hi:[1,1,0] neg_lo:[0,0,1] neg_hi:[0,0,1]
	v_pk_fma_f32 v[30:31], v[30:31], v[18:19], v[42:43] op_sel:[0,0,1] op_sel_hi:[1,0,0]
	v_mov_b32_e32 v49, v31
	v_pk_mul_f32 v[30:31], v[32:33], v[28:29] op_sel:[0,1]
	s_delay_alu instid0(VALU_DEP_1) | instskip(SKIP_1) | instid1(VALU_DEP_1)
	v_pk_fma_f32 v[42:43], v[32:33], v[18:19], v[30:31] op_sel:[0,0,1] op_sel_hi:[1,1,0] neg_lo:[0,0,1] neg_hi:[0,0,1]
	v_pk_fma_f32 v[30:31], v[32:33], v[18:19], v[30:31] op_sel:[0,0,1] op_sel_hi:[1,0,0]
	v_mov_b32_e32 v43, v31
	ds_load_2addr_b64 v[30:33], v182 offset0:29 offset1:30
	v_pk_add_f32 v[108:109], v[108:109], v[48:49] neg_lo:[0,1] neg_hi:[0,1]
	v_pk_add_f32 v[130:131], v[130:131], v[42:43] neg_lo:[0,1] neg_hi:[0,1]
	s_wait_dscnt 0x0
	v_dual_mul_f32 v42, v31, v29 :: v_dual_mul_f32 v48, v31, v18
	s_delay_alu instid0(VALU_DEP_1) | instskip(NEXT) | instid1(VALU_DEP_2)
	v_pk_fma_f32 v[42:43], v[30:31], v[98:99], v[42:43] op_sel_hi:[1,1,0] neg_lo:[0,0,1] neg_hi:[0,0,1]
	v_pk_fma_f32 v[30:31], v[30:31], v[98:99], v[48:49] op_sel:[1,0,0] op_sel_hi:[0,1,0]
	s_delay_alu instid0(VALU_DEP_1) | instskip(SKIP_1) | instid1(VALU_DEP_2)
	v_mov_b32_e32 v43, v31
	v_pk_mul_f32 v[30:31], v[32:33], v[28:29] op_sel:[0,1]
	v_pk_add_f32 v[126:127], v[126:127], v[42:43] neg_lo:[0,1] neg_hi:[0,1]
	s_delay_alu instid0(VALU_DEP_2) | instskip(SKIP_1) | instid1(VALU_DEP_1)
	v_pk_fma_f32 v[42:43], v[32:33], v[18:19], v[30:31] op_sel:[0,0,1] op_sel_hi:[1,1,0] neg_lo:[0,0,1] neg_hi:[0,0,1]
	v_pk_fma_f32 v[30:31], v[32:33], v[18:19], v[30:31] op_sel:[0,0,1] op_sel_hi:[1,0,0]
	v_mov_b32_e32 v43, v31
	ds_load_2addr_b64 v[30:33], v182 offset0:31 offset1:32
	v_pk_add_f32 v[128:129], v[128:129], v[42:43] neg_lo:[0,1] neg_hi:[0,1]
	s_wait_dscnt 0x0
	v_pk_mul_f32 v[42:43], v[30:31], v[28:29] op_sel:[0,1]
	s_delay_alu instid0(VALU_DEP_1) | instskip(SKIP_1) | instid1(VALU_DEP_1)
	v_pk_fma_f32 v[48:49], v[30:31], v[18:19], v[42:43] op_sel:[0,0,1] op_sel_hi:[1,1,0] neg_lo:[0,0,1] neg_hi:[0,0,1]
	v_pk_fma_f32 v[30:31], v[30:31], v[18:19], v[42:43] op_sel:[0,0,1] op_sel_hi:[1,0,0]
	v_mov_b32_e32 v49, v31
	v_pk_mul_f32 v[30:31], v[32:33], v[28:29] op_sel:[0,1]
	s_delay_alu instid0(VALU_DEP_2) | instskip(NEXT) | instid1(VALU_DEP_2)
	v_pk_add_f32 v[124:125], v[124:125], v[48:49] neg_lo:[0,1] neg_hi:[0,1]
	v_pk_fma_f32 v[42:43], v[32:33], v[18:19], v[30:31] op_sel:[0,0,1] op_sel_hi:[1,1,0] neg_lo:[0,0,1] neg_hi:[0,0,1]
	v_pk_fma_f32 v[30:31], v[32:33], v[18:19], v[30:31] op_sel:[0,0,1] op_sel_hi:[1,0,0]
	s_delay_alu instid0(VALU_DEP_1) | instskip(SKIP_4) | instid1(VALU_DEP_1)
	v_mov_b32_e32 v43, v31
	ds_load_2addr_b64 v[30:33], v182 offset0:33 offset1:34
	v_pk_add_f32 v[146:147], v[146:147], v[42:43] neg_lo:[0,1] neg_hi:[0,1]
	s_wait_dscnt 0x0
	v_pk_mul_f32 v[42:43], v[30:31], v[28:29] op_sel:[0,1]
	v_pk_fma_f32 v[48:49], v[30:31], v[18:19], v[42:43] op_sel:[0,0,1] op_sel_hi:[1,1,0] neg_lo:[0,0,1] neg_hi:[0,0,1]
	v_pk_fma_f32 v[30:31], v[30:31], v[18:19], v[42:43] op_sel:[0,0,1] op_sel_hi:[1,0,0]
	v_dual_mul_f32 v42, v33, v29 :: v_dual_mov_b32 v30, v33
	s_delay_alu instid0(VALU_DEP_2) | instskip(NEXT) | instid1(VALU_DEP_2)
	v_dual_mov_b32 v49, v31 :: v_dual_mov_b32 v31, v32
	v_pk_fma_f32 v[42:43], v[32:33], v[98:99], v[42:43] op_sel_hi:[1,1,0] neg_lo:[0,0,1] neg_hi:[0,0,1]
	v_mul_f32_e32 v32, v33, v18
	s_delay_alu instid0(VALU_DEP_3) | instskip(NEXT) | instid1(VALU_DEP_2)
	v_pk_add_f32 v[142:143], v[142:143], v[48:49] neg_lo:[0,1] neg_hi:[0,1]
	v_pk_fma_f32 v[30:31], v[30:31], v[98:99], v[32:33] op_sel_hi:[1,1,0]
	s_delay_alu instid0(VALU_DEP_1) | instskip(SKIP_4) | instid1(VALU_DEP_1)
	v_mov_b32_e32 v43, v31
	ds_load_2addr_b64 v[30:33], v182 offset0:35 offset1:36
	v_pk_add_f32 v[144:145], v[144:145], v[42:43] neg_lo:[0,1] neg_hi:[0,1]
	s_wait_dscnt 0x0
	v_pk_mul_f32 v[42:43], v[30:31], v[28:29] op_sel:[0,1]
	v_pk_fma_f32 v[48:49], v[30:31], v[18:19], v[42:43] op_sel:[0,0,1] op_sel_hi:[1,1,0] neg_lo:[0,0,1] neg_hi:[0,0,1]
	v_pk_fma_f32 v[30:31], v[30:31], v[18:19], v[42:43] op_sel:[0,0,1] op_sel_hi:[1,0,0]
	s_delay_alu instid0(VALU_DEP_1) | instskip(SKIP_1) | instid1(VALU_DEP_1)
	v_mov_b32_e32 v49, v31
	v_pk_mul_f32 v[30:31], v[32:33], v[28:29] op_sel:[0,1]
	v_pk_fma_f32 v[42:43], v[32:33], v[18:19], v[30:31] op_sel:[0,0,1] op_sel_hi:[1,1,0] neg_lo:[0,0,1] neg_hi:[0,0,1]
	v_pk_fma_f32 v[30:31], v[32:33], v[18:19], v[30:31] op_sel:[0,0,1] op_sel_hi:[1,0,0]
	s_delay_alu instid0(VALU_DEP_1)
	v_mov_b32_e32 v43, v31
	ds_load_2addr_b64 v[30:33], v182 offset0:37 offset1:38
	v_pk_add_f32 v[140:141], v[140:141], v[48:49] neg_lo:[0,1] neg_hi:[0,1]
	v_pk_add_f32 v[162:163], v[162:163], v[42:43] neg_lo:[0,1] neg_hi:[0,1]
	s_wait_dscnt 0x0
	v_pk_mul_f32 v[42:43], v[30:31], v[28:29] op_sel:[0,1]
	s_delay_alu instid0(VALU_DEP_1) | instskip(SKIP_1) | instid1(VALU_DEP_1)
	v_pk_fma_f32 v[48:49], v[30:31], v[18:19], v[42:43] op_sel:[0,0,1] op_sel_hi:[1,1,0] neg_lo:[0,0,1] neg_hi:[0,0,1]
	v_pk_fma_f32 v[30:31], v[30:31], v[18:19], v[42:43] op_sel:[0,0,1] op_sel_hi:[1,0,0]
	v_mov_b32_e32 v49, v31
	v_pk_mul_f32 v[30:31], v[32:33], v[28:29] op_sel:[0,1]
	s_delay_alu instid0(VALU_DEP_1) | instskip(SKIP_1) | instid1(VALU_DEP_1)
	v_pk_fma_f32 v[42:43], v[32:33], v[18:19], v[30:31] op_sel:[0,0,1] op_sel_hi:[1,1,0] neg_lo:[0,0,1] neg_hi:[0,0,1]
	v_pk_fma_f32 v[30:31], v[32:33], v[18:19], v[30:31] op_sel:[0,0,1] op_sel_hi:[1,0,0]
	v_mov_b32_e32 v43, v31
	ds_load_2addr_b64 v[30:33], v182 offset0:39 offset1:40
	v_pk_add_f32 v[158:159], v[158:159], v[48:49] neg_lo:[0,1] neg_hi:[0,1]
	v_pk_add_f32 v[160:161], v[160:161], v[42:43] neg_lo:[0,1] neg_hi:[0,1]
	s_wait_dscnt 0x0
	v_dual_mul_f32 v42, v31, v29 :: v_dual_mul_f32 v48, v31, v18
	s_delay_alu instid0(VALU_DEP_1) | instskip(NEXT) | instid1(VALU_DEP_2)
	v_pk_fma_f32 v[42:43], v[30:31], v[98:99], v[42:43] op_sel_hi:[1,1,0] neg_lo:[0,0,1] neg_hi:[0,0,1]
	v_pk_fma_f32 v[30:31], v[30:31], v[98:99], v[48:49] op_sel:[1,0,0] op_sel_hi:[0,1,0]
	s_delay_alu instid0(VALU_DEP_1) | instskip(SKIP_1) | instid1(VALU_DEP_2)
	v_mov_b32_e32 v43, v31
	v_pk_mul_f32 v[30:31], v[32:33], v[28:29] op_sel:[0,1]
	v_pk_add_f32 v[156:157], v[156:157], v[42:43] neg_lo:[0,1] neg_hi:[0,1]
	s_delay_alu instid0(VALU_DEP_2) | instskip(SKIP_1) | instid1(VALU_DEP_1)
	v_pk_fma_f32 v[42:43], v[32:33], v[18:19], v[30:31] op_sel:[0,0,1] op_sel_hi:[1,1,0] neg_lo:[0,0,1] neg_hi:[0,0,1]
	v_pk_fma_f32 v[30:31], v[32:33], v[18:19], v[30:31] op_sel:[0,0,1] op_sel_hi:[1,0,0]
	v_mov_b32_e32 v43, v31
	ds_load_2addr_b64 v[30:33], v182 offset0:41 offset1:42
	v_pk_add_f32 v[178:179], v[178:179], v[42:43] neg_lo:[0,1] neg_hi:[0,1]
	s_wait_dscnt 0x0
	v_pk_mul_f32 v[42:43], v[30:31], v[28:29] op_sel:[0,1]
	s_delay_alu instid0(VALU_DEP_1) | instskip(SKIP_1) | instid1(VALU_DEP_1)
	v_pk_fma_f32 v[48:49], v[30:31], v[18:19], v[42:43] op_sel:[0,0,1] op_sel_hi:[1,1,0] neg_lo:[0,0,1] neg_hi:[0,0,1]
	v_pk_fma_f32 v[30:31], v[30:31], v[18:19], v[42:43] op_sel:[0,0,1] op_sel_hi:[1,0,0]
	v_mov_b32_e32 v49, v31
	v_pk_mul_f32 v[30:31], v[32:33], v[28:29] op_sel:[0,1]
	s_delay_alu instid0(VALU_DEP_2) | instskip(NEXT) | instid1(VALU_DEP_2)
	v_pk_add_f32 v[174:175], v[174:175], v[48:49] neg_lo:[0,1] neg_hi:[0,1]
	v_pk_fma_f32 v[42:43], v[32:33], v[18:19], v[30:31] op_sel:[0,0,1] op_sel_hi:[1,1,0] neg_lo:[0,0,1] neg_hi:[0,0,1]
	v_pk_fma_f32 v[30:31], v[32:33], v[18:19], v[30:31] op_sel:[0,0,1] op_sel_hi:[1,0,0]
	s_delay_alu instid0(VALU_DEP_1) | instskip(SKIP_4) | instid1(VALU_DEP_1)
	v_mov_b32_e32 v43, v31
	ds_load_2addr_b64 v[30:33], v182 offset0:43 offset1:44
	v_pk_add_f32 v[176:177], v[176:177], v[42:43] neg_lo:[0,1] neg_hi:[0,1]
	s_wait_dscnt 0x0
	v_pk_mul_f32 v[42:43], v[30:31], v[28:29] op_sel:[0,1]
	v_pk_fma_f32 v[48:49], v[30:31], v[18:19], v[42:43] op_sel:[0,0,1] op_sel_hi:[1,1,0] neg_lo:[0,0,1] neg_hi:[0,0,1]
	v_pk_fma_f32 v[30:31], v[30:31], v[18:19], v[42:43] op_sel:[0,0,1] op_sel_hi:[1,0,0]
	v_dual_mul_f32 v42, v33, v29 :: v_dual_mov_b32 v30, v33
	s_delay_alu instid0(VALU_DEP_2) | instskip(NEXT) | instid1(VALU_DEP_2)
	v_dual_mov_b32 v49, v31 :: v_dual_mov_b32 v31, v32
	v_pk_fma_f32 v[42:43], v[32:33], v[98:99], v[42:43] op_sel_hi:[1,1,0] neg_lo:[0,0,1] neg_hi:[0,0,1]
	v_mul_f32_e32 v32, v33, v18
	s_delay_alu instid0(VALU_DEP_3) | instskip(NEXT) | instid1(VALU_DEP_2)
	v_pk_add_f32 v[172:173], v[172:173], v[48:49] neg_lo:[0,1] neg_hi:[0,1]
	v_pk_fma_f32 v[30:31], v[30:31], v[98:99], v[32:33] op_sel_hi:[1,1,0]
	s_delay_alu instid0(VALU_DEP_1) | instskip(SKIP_4) | instid1(VALU_DEP_1)
	v_mov_b32_e32 v43, v31
	ds_load_2addr_b64 v[30:33], v182 offset0:45 offset1:46
	v_pk_add_f32 v[200:201], v[200:201], v[42:43] neg_lo:[0,1] neg_hi:[0,1]
	s_wait_dscnt 0x0
	v_pk_mul_f32 v[42:43], v[30:31], v[28:29] op_sel:[0,1]
	v_pk_fma_f32 v[48:49], v[30:31], v[18:19], v[42:43] op_sel:[0,0,1] op_sel_hi:[1,1,0] neg_lo:[0,0,1] neg_hi:[0,0,1]
	v_pk_fma_f32 v[30:31], v[30:31], v[18:19], v[42:43] op_sel:[0,0,1] op_sel_hi:[1,0,0]
	s_delay_alu instid0(VALU_DEP_1) | instskip(SKIP_1) | instid1(VALU_DEP_1)
	v_mov_b32_e32 v49, v31
	v_pk_mul_f32 v[30:31], v[32:33], v[28:29] op_sel:[0,1]
	v_pk_fma_f32 v[42:43], v[32:33], v[18:19], v[30:31] op_sel:[0,0,1] op_sel_hi:[1,1,0] neg_lo:[0,0,1] neg_hi:[0,0,1]
	v_pk_fma_f32 v[30:31], v[32:33], v[18:19], v[30:31] op_sel:[0,0,1] op_sel_hi:[1,0,0]
	s_delay_alu instid0(VALU_DEP_1)
	v_mov_b32_e32 v43, v31
	ds_load_2addr_b64 v[30:33], v182 offset0:47 offset1:48
	v_pk_add_f32 v[196:197], v[196:197], v[48:49] neg_lo:[0,1] neg_hi:[0,1]
	v_pk_add_f32 v[198:199], v[198:199], v[42:43] neg_lo:[0,1] neg_hi:[0,1]
	s_wait_dscnt 0x0
	v_pk_mul_f32 v[42:43], v[30:31], v[28:29] op_sel:[0,1]
	s_delay_alu instid0(VALU_DEP_1) | instskip(SKIP_1) | instid1(VALU_DEP_1)
	v_pk_fma_f32 v[48:49], v[30:31], v[18:19], v[42:43] op_sel:[0,0,1] op_sel_hi:[1,1,0] neg_lo:[0,0,1] neg_hi:[0,0,1]
	v_pk_fma_f32 v[30:31], v[30:31], v[18:19], v[42:43] op_sel:[0,0,1] op_sel_hi:[1,0,0]
	v_mov_b32_e32 v49, v31
	v_pk_mul_f32 v[30:31], v[32:33], v[28:29] op_sel:[0,1]
	s_delay_alu instid0(VALU_DEP_1) | instskip(SKIP_1) | instid1(VALU_DEP_1)
	v_pk_fma_f32 v[42:43], v[32:33], v[18:19], v[30:31] op_sel:[0,0,1] op_sel_hi:[1,1,0] neg_lo:[0,0,1] neg_hi:[0,0,1]
	v_pk_fma_f32 v[30:31], v[32:33], v[18:19], v[30:31] op_sel:[0,0,1] op_sel_hi:[1,0,0]
	v_mov_b32_e32 v43, v31
	ds_load_2addr_b64 v[30:33], v182 offset0:49 offset1:50
	v_pk_add_f32 v[194:195], v[194:195], v[48:49] neg_lo:[0,1] neg_hi:[0,1]
	v_pk_add_f32 v[224:225], v[224:225], v[42:43] neg_lo:[0,1] neg_hi:[0,1]
	s_wait_dscnt 0x0
	v_dual_mul_f32 v42, v31, v29 :: v_dual_mul_f32 v48, v31, v18
	s_delay_alu instid0(VALU_DEP_1) | instskip(NEXT) | instid1(VALU_DEP_2)
	v_pk_fma_f32 v[42:43], v[30:31], v[98:99], v[42:43] op_sel_hi:[1,1,0] neg_lo:[0,0,1] neg_hi:[0,0,1]
	v_pk_fma_f32 v[30:31], v[30:31], v[98:99], v[48:49] op_sel:[1,0,0] op_sel_hi:[0,1,0]
	s_delay_alu instid0(VALU_DEP_1) | instskip(SKIP_1) | instid1(VALU_DEP_2)
	v_mov_b32_e32 v43, v31
	v_pk_mul_f32 v[30:31], v[32:33], v[28:29] op_sel:[0,1]
	v_pk_add_f32 v[216:217], v[216:217], v[42:43] neg_lo:[0,1] neg_hi:[0,1]
	s_delay_alu instid0(VALU_DEP_2) | instskip(SKIP_1) | instid1(VALU_DEP_1)
	v_pk_fma_f32 v[42:43], v[32:33], v[18:19], v[30:31] op_sel:[0,0,1] op_sel_hi:[1,1,0] neg_lo:[0,0,1] neg_hi:[0,0,1]
	v_pk_fma_f32 v[30:31], v[32:33], v[18:19], v[30:31] op_sel:[0,0,1] op_sel_hi:[1,0,0]
	v_mov_b32_e32 v43, v31
	ds_load_2addr_b64 v[30:33], v182 offset0:51 offset1:52
	v_pk_add_f32 v[222:223], v[222:223], v[42:43] neg_lo:[0,1] neg_hi:[0,1]
	s_wait_dscnt 0x0
	v_pk_mul_f32 v[42:43], v[30:31], v[28:29] op_sel:[0,1]
	s_delay_alu instid0(VALU_DEP_1) | instskip(SKIP_1) | instid1(VALU_DEP_1)
	v_pk_fma_f32 v[48:49], v[30:31], v[18:19], v[42:43] op_sel:[0,0,1] op_sel_hi:[1,1,0] neg_lo:[0,0,1] neg_hi:[0,0,1]
	v_pk_fma_f32 v[30:31], v[30:31], v[18:19], v[42:43] op_sel:[0,0,1] op_sel_hi:[1,0,0]
	v_mov_b32_e32 v49, v31
	v_pk_mul_f32 v[30:31], v[32:33], v[28:29] op_sel:[0,1]
	s_delay_alu instid0(VALU_DEP_2) | instskip(NEXT) | instid1(VALU_DEP_2)
	v_pk_add_f32 v[214:215], v[214:215], v[48:49] neg_lo:[0,1] neg_hi:[0,1]
	v_pk_fma_f32 v[42:43], v[32:33], v[18:19], v[30:31] op_sel:[0,0,1] op_sel_hi:[1,1,0] neg_lo:[0,0,1] neg_hi:[0,0,1]
	v_pk_fma_f32 v[30:31], v[32:33], v[18:19], v[30:31] op_sel:[0,0,1] op_sel_hi:[1,0,0]
	s_delay_alu instid0(VALU_DEP_1) | instskip(SKIP_4) | instid1(VALU_DEP_1)
	v_mov_b32_e32 v43, v31
	ds_load_2addr_b64 v[30:33], v182 offset0:53 offset1:54
	v_pk_add_f32 v[220:221], v[220:221], v[42:43] neg_lo:[0,1] neg_hi:[0,1]
	s_wait_dscnt 0x0
	v_pk_mul_f32 v[42:43], v[30:31], v[28:29] op_sel:[0,1]
	v_pk_fma_f32 v[48:49], v[30:31], v[18:19], v[42:43] op_sel:[0,0,1] op_sel_hi:[1,1,0] neg_lo:[0,0,1] neg_hi:[0,0,1]
	v_pk_fma_f32 v[30:31], v[30:31], v[18:19], v[42:43] op_sel:[0,0,1] op_sel_hi:[1,0,0]
	v_dual_mul_f32 v42, v33, v29 :: v_dual_mov_b32 v30, v33
	s_delay_alu instid0(VALU_DEP_2) | instskip(NEXT) | instid1(VALU_DEP_2)
	v_dual_mov_b32 v49, v31 :: v_dual_mov_b32 v31, v32
	v_pk_fma_f32 v[42:43], v[32:33], v[98:99], v[42:43] op_sel_hi:[1,1,0] neg_lo:[0,0,1] neg_hi:[0,0,1]
	v_mul_f32_e32 v32, v33, v18
	s_delay_alu instid0(VALU_DEP_3) | instskip(NEXT) | instid1(VALU_DEP_2)
	v_pk_add_f32 v[212:213], v[212:213], v[48:49] neg_lo:[0,1] neg_hi:[0,1]
	v_pk_fma_f32 v[30:31], v[30:31], v[98:99], v[32:33] op_sel_hi:[1,1,0]
	s_delay_alu instid0(VALU_DEP_1)
	v_mov_b32_e32 v43, v31
	ds_load_2addr_b64 v[30:33], v182 offset0:55 offset1:56
	v_pk_add_f32 v[218:219], v[218:219], v[42:43] neg_lo:[0,1] neg_hi:[0,1]
	s_wait_dscnt 0x0
	v_pk_mul_f32 v[42:43], v[30:31], v[28:29] op_sel:[0,1]
	v_mul_f32_e32 v28, v33, v29
	s_delay_alu instid0(VALU_DEP_2) | instskip(SKIP_2) | instid1(VALU_DEP_4)
	v_pk_fma_f32 v[48:49], v[30:31], v[18:19], v[42:43] op_sel:[0,0,1] op_sel_hi:[1,1,0] neg_lo:[0,0,1] neg_hi:[0,0,1]
	v_pk_fma_f32 v[30:31], v[30:31], v[18:19], v[42:43] op_sel:[0,0,1] op_sel_hi:[1,0,0]
	v_dual_mov_b32 v30, v33 :: v_dual_mul_f32 v18, v33, v18
	v_pk_fma_f32 v[28:29], v[32:33], v[98:99], v[28:29] op_sel_hi:[1,1,0] neg_lo:[0,0,1] neg_hi:[0,0,1]
	s_delay_alu instid0(VALU_DEP_3) | instskip(NEXT) | instid1(VALU_DEP_1)
	v_dual_mov_b32 v49, v31 :: v_dual_mov_b32 v31, v32
	v_pk_add_f32 v[226:227], v[226:227], v[48:49] neg_lo:[0,1] neg_hi:[0,1]
	s_delay_alu instid0(VALU_DEP_2) | instskip(NEXT) | instid1(VALU_DEP_1)
	v_pk_fma_f32 v[18:19], v[30:31], v[98:99], v[18:19] op_sel_hi:[1,1,0]
	v_mov_b32_e32 v29, v19
	s_delay_alu instid0(VALU_DEP_1)
	v_pk_add_f32 v[228:229], v[228:229], v[28:29] neg_lo:[0,1] neg_hi:[0,1]
.LBB113_190:
	s_or_b32 exec_lo, exec_lo, s1
	s_delay_alu instid0(SALU_CYCLE_1)
	s_mov_b32 s2, exec_lo
	s_wait_dscnt 0x0
	s_barrier_signal -1
	s_barrier_wait -1
	v_cmpx_eq_u32_e32 21, v180
	s_cbranch_execz .LBB113_197
; %bb.191:
	v_dual_mov_b32 v18, v96 :: v_dual_mov_b32 v19, v97
	v_dual_mov_b32 v28, v92 :: v_dual_mov_b32 v29, v93
	ds_store_b64 v181, v[94:95]
	ds_store_2addr_b64 v182, v[18:19], v[28:29] offset0:22 offset1:23
	v_dual_mov_b32 v18, v114 :: v_dual_mov_b32 v19, v115
	v_dual_mov_b32 v28, v110 :: v_dual_mov_b32 v29, v111
	ds_store_2addr_b64 v182, v[18:19], v[28:29] offset0:24 offset1:25
	v_dual_mov_b32 v18, v112 :: v_dual_mov_b32 v19, v113
	v_dual_mov_b32 v28, v108 :: v_dual_mov_b32 v29, v109
	;; [unrolled: 3-line block ×16, first 2 shown]
	ds_store_2addr_b64 v182, v[18:19], v[28:29] offset0:54 offset1:55
	ds_store_b64 v182, v[228:229] offset:448
	ds_load_b64 v[18:19], v181
	s_wait_dscnt 0x0
	v_cmp_neq_f32_e32 vcc_lo, 0, v18
	v_cmp_neq_f32_e64 s1, 0, v19
	s_or_b32 s1, vcc_lo, s1
	s_delay_alu instid0(SALU_CYCLE_1)
	s_and_b32 exec_lo, exec_lo, s1
	s_cbranch_execz .LBB113_197
; %bb.192:
	v_cmp_ngt_f32_e64 s1, |v18|, |v19|
                                        ; implicit-def: $vgpr28_vgpr29
	s_and_saveexec_b32 s4, s1
	s_delay_alu instid0(SALU_CYCLE_1)
	s_xor_b32 s1, exec_lo, s4
	s_cbranch_execz .LBB113_194
; %bb.193:
	v_div_scale_f32 v28, null, v19, v19, v18
	v_div_scale_f32 v31, vcc_lo, v18, v19, v18
	s_delay_alu instid0(VALU_DEP_2) | instskip(SKIP_1) | instid1(TRANS32_DEP_1)
	v_rcp_f32_e32 v29, v28
	v_nop
	v_fma_f32 v30, -v28, v29, 1.0
	s_delay_alu instid0(VALU_DEP_1) | instskip(NEXT) | instid1(VALU_DEP_1)
	v_fmac_f32_e32 v29, v30, v29
	v_mul_f32_e32 v30, v31, v29
	s_delay_alu instid0(VALU_DEP_1) | instskip(NEXT) | instid1(VALU_DEP_1)
	v_fma_f32 v32, -v28, v30, v31
	v_fmac_f32_e32 v30, v32, v29
	s_delay_alu instid0(VALU_DEP_1) | instskip(NEXT) | instid1(VALU_DEP_1)
	v_fma_f32 v28, -v28, v30, v31
	v_div_fmas_f32 v28, v28, v29, v30
	s_delay_alu instid0(VALU_DEP_1) | instskip(NEXT) | instid1(VALU_DEP_1)
	v_div_fixup_f32 v28, v28, v19, v18
	v_fmac_f32_e32 v19, v18, v28
	s_delay_alu instid0(VALU_DEP_1) | instskip(SKIP_1) | instid1(VALU_DEP_2)
	v_div_scale_f32 v18, null, v19, v19, 1.0
	v_div_scale_f32 v31, vcc_lo, 1.0, v19, 1.0
	v_rcp_f32_e32 v29, v18
	v_nop
	s_delay_alu instid0(TRANS32_DEP_1) | instskip(NEXT) | instid1(VALU_DEP_1)
	v_fma_f32 v30, -v18, v29, 1.0
	v_fmac_f32_e32 v29, v30, v29
	s_delay_alu instid0(VALU_DEP_1) | instskip(NEXT) | instid1(VALU_DEP_1)
	v_mul_f32_e32 v30, v31, v29
	v_fma_f32 v32, -v18, v30, v31
	s_delay_alu instid0(VALU_DEP_1) | instskip(NEXT) | instid1(VALU_DEP_1)
	v_fmac_f32_e32 v30, v32, v29
	v_fma_f32 v18, -v18, v30, v31
	s_delay_alu instid0(VALU_DEP_1) | instskip(NEXT) | instid1(VALU_DEP_1)
	v_div_fmas_f32 v18, v18, v29, v30
	v_div_fixup_f32 v18, v18, v19, 1.0
	s_delay_alu instid0(VALU_DEP_1)
	v_mul_f32_e32 v28, v28, v18
	v_xor_b32_e32 v29, 0x80000000, v18
                                        ; implicit-def: $vgpr18_vgpr19
.LBB113_194:
	s_and_not1_saveexec_b32 s1, s1
	s_cbranch_execz .LBB113_196
; %bb.195:
	v_div_scale_f32 v28, null, v18, v18, v19
	v_div_scale_f32 v31, vcc_lo, v19, v18, v19
	s_delay_alu instid0(VALU_DEP_2) | instskip(SKIP_1) | instid1(TRANS32_DEP_1)
	v_rcp_f32_e32 v29, v28
	v_nop
	v_fma_f32 v30, -v28, v29, 1.0
	s_delay_alu instid0(VALU_DEP_1) | instskip(NEXT) | instid1(VALU_DEP_1)
	v_fmac_f32_e32 v29, v30, v29
	v_mul_f32_e32 v30, v31, v29
	s_delay_alu instid0(VALU_DEP_1) | instskip(NEXT) | instid1(VALU_DEP_1)
	v_fma_f32 v32, -v28, v30, v31
	v_fmac_f32_e32 v30, v32, v29
	s_delay_alu instid0(VALU_DEP_1) | instskip(NEXT) | instid1(VALU_DEP_1)
	v_fma_f32 v28, -v28, v30, v31
	v_div_fmas_f32 v28, v28, v29, v30
	s_delay_alu instid0(VALU_DEP_1) | instskip(NEXT) | instid1(VALU_DEP_1)
	v_div_fixup_f32 v29, v28, v18, v19
	v_fmac_f32_e32 v18, v19, v29
	s_delay_alu instid0(VALU_DEP_1) | instskip(NEXT) | instid1(VALU_DEP_1)
	v_div_scale_f32 v19, null, v18, v18, 1.0
	v_rcp_f32_e32 v28, v19
	v_nop
	s_delay_alu instid0(TRANS32_DEP_1) | instskip(NEXT) | instid1(VALU_DEP_1)
	v_fma_f32 v30, -v19, v28, 1.0
	v_fmac_f32_e32 v28, v30, v28
	v_div_scale_f32 v30, vcc_lo, 1.0, v18, 1.0
	s_delay_alu instid0(VALU_DEP_1) | instskip(NEXT) | instid1(VALU_DEP_1)
	v_mul_f32_e32 v31, v30, v28
	v_fma_f32 v32, -v19, v31, v30
	s_delay_alu instid0(VALU_DEP_1) | instskip(NEXT) | instid1(VALU_DEP_1)
	v_fmac_f32_e32 v31, v32, v28
	v_fma_f32 v19, -v19, v31, v30
	s_delay_alu instid0(VALU_DEP_1) | instskip(NEXT) | instid1(VALU_DEP_1)
	v_div_fmas_f32 v19, v19, v28, v31
	v_div_fixup_f32 v28, v19, v18, 1.0
	s_delay_alu instid0(VALU_DEP_1)
	v_mul_f32_e64 v29, v29, -v28
.LBB113_196:
	s_or_b32 exec_lo, exec_lo, s1
	ds_store_b64 v181, v[28:29]
.LBB113_197:
	s_or_b32 exec_lo, exec_lo, s2
	s_wait_dscnt 0x0
	s_barrier_signal -1
	s_barrier_wait -1
	ds_load_b64 v[18:19], v181
	s_mov_b32 s1, exec_lo
	v_cmpx_lt_u32_e32 21, v180
	s_cbranch_execz .LBB113_199
; %bb.198:
	ds_load_2addr_b64 v[48:51], v182 offset0:22 offset1:23
	s_wait_dscnt 0x1
	v_pk_mul_f32 v[30:31], v[18:19], v[94:95] op_sel:[1,1] op_sel_hi:[0,1]
	s_delay_alu instid0(VALU_DEP_1) | instskip(SKIP_1) | instid1(VALU_DEP_1)
	v_pk_fma_f32 v[28:29], v[18:19], v[94:95], v[30:31] op_sel_hi:[1,0,1] neg_lo:[0,0,1] neg_hi:[0,0,1]
	v_pk_fma_f32 v[30:31], v[18:19], v[94:95], v[30:31] op_sel_hi:[1,0,1]
	v_dual_mov_b32 v94, v28 :: v_dual_mov_b32 v95, v31
	s_wait_dscnt 0x0
	s_delay_alu instid0(VALU_DEP_2) | instskip(NEXT) | instid1(VALU_DEP_1)
	v_pk_mul_f32 v[32:33], v[48:49], v[30:31] op_sel:[0,1]
	v_pk_fma_f32 v[42:43], v[48:49], v[28:29], v[32:33] op_sel:[0,0,1] op_sel_hi:[1,1,0] neg_lo:[0,0,1] neg_hi:[0,0,1]
	v_pk_fma_f32 v[32:33], v[48:49], v[28:29], v[32:33] op_sel:[0,0,1] op_sel_hi:[1,0,0]
	s_delay_alu instid0(VALU_DEP_1) | instskip(SKIP_1) | instid1(VALU_DEP_2)
	v_mov_b32_e32 v43, v33
	v_pk_mul_f32 v[32:33], v[50:51], v[30:31] op_sel:[0,1]
	v_pk_add_f32 v[96:97], v[96:97], v[42:43] neg_lo:[0,1] neg_hi:[0,1]
	s_delay_alu instid0(VALU_DEP_2) | instskip(SKIP_3) | instid1(VALU_DEP_1)
	v_pk_fma_f32 v[42:43], v[50:51], v[28:29], v[32:33] op_sel:[0,0,1] op_sel_hi:[1,1,0] neg_lo:[0,0,1] neg_hi:[0,0,1]
	v_pk_fma_f32 v[32:33], v[50:51], v[28:29], v[32:33] op_sel:[0,0,1] op_sel_hi:[1,0,0]
	ds_load_2addr_b64 v[48:51], v182 offset0:24 offset1:25
	v_mov_b32_e32 v43, v33
	v_pk_add_f32 v[92:93], v[92:93], v[42:43] neg_lo:[0,1] neg_hi:[0,1]
	s_wait_dscnt 0x0
	v_pk_mul_f32 v[32:33], v[48:49], v[30:31] op_sel:[0,1]
	s_delay_alu instid0(VALU_DEP_1) | instskip(SKIP_2) | instid1(VALU_DEP_2)
	v_pk_fma_f32 v[42:43], v[48:49], v[28:29], v[32:33] op_sel:[0,0,1] op_sel_hi:[1,1,0] neg_lo:[0,0,1] neg_hi:[0,0,1]
	v_pk_fma_f32 v[32:33], v[48:49], v[28:29], v[32:33] op_sel:[0,0,1] op_sel_hi:[1,0,0]
	v_dual_mov_b32 v32, v51 :: v_dual_mul_f32 v48, v51, v28
	v_dual_mov_b32 v43, v33 :: v_dual_mov_b32 v33, v50
	s_delay_alu instid0(VALU_DEP_1) | instskip(SKIP_1) | instid1(VALU_DEP_3)
	v_pk_add_f32 v[114:115], v[114:115], v[42:43] neg_lo:[0,1] neg_hi:[0,1]
	v_mul_f32_e32 v42, v51, v31
	v_pk_fma_f32 v[32:33], v[32:33], v[94:95], v[48:49] op_sel_hi:[1,1,0]
	s_delay_alu instid0(VALU_DEP_2) | instskip(SKIP_2) | instid1(VALU_DEP_1)
	v_pk_fma_f32 v[42:43], v[50:51], v[94:95], v[42:43] op_sel_hi:[1,1,0] neg_lo:[0,0,1] neg_hi:[0,0,1]
	ds_load_2addr_b64 v[48:51], v182 offset0:26 offset1:27
	v_mov_b32_e32 v43, v33
	v_pk_add_f32 v[110:111], v[110:111], v[42:43] neg_lo:[0,1] neg_hi:[0,1]
	s_wait_dscnt 0x0
	v_pk_mul_f32 v[32:33], v[48:49], v[30:31] op_sel:[0,1]
	s_delay_alu instid0(VALU_DEP_1) | instskip(SKIP_1) | instid1(VALU_DEP_1)
	v_pk_fma_f32 v[42:43], v[48:49], v[28:29], v[32:33] op_sel:[0,0,1] op_sel_hi:[1,1,0] neg_lo:[0,0,1] neg_hi:[0,0,1]
	v_pk_fma_f32 v[32:33], v[48:49], v[28:29], v[32:33] op_sel:[0,0,1] op_sel_hi:[1,0,0]
	v_mov_b32_e32 v43, v33
	v_pk_mul_f32 v[32:33], v[50:51], v[30:31] op_sel:[0,1]
	s_delay_alu instid0(VALU_DEP_2) | instskip(NEXT) | instid1(VALU_DEP_2)
	v_pk_add_f32 v[112:113], v[112:113], v[42:43] neg_lo:[0,1] neg_hi:[0,1]
	v_pk_fma_f32 v[42:43], v[50:51], v[28:29], v[32:33] op_sel:[0,0,1] op_sel_hi:[1,1,0] neg_lo:[0,0,1] neg_hi:[0,0,1]
	v_pk_fma_f32 v[32:33], v[50:51], v[28:29], v[32:33] op_sel:[0,0,1] op_sel_hi:[1,0,0]
	ds_load_2addr_b64 v[48:51], v182 offset0:28 offset1:29
	v_mov_b32_e32 v43, v33
	s_delay_alu instid0(VALU_DEP_1) | instskip(SKIP_2) | instid1(VALU_DEP_1)
	v_pk_add_f32 v[108:109], v[108:109], v[42:43] neg_lo:[0,1] neg_hi:[0,1]
	s_wait_dscnt 0x0
	v_pk_mul_f32 v[32:33], v[48:49], v[30:31] op_sel:[0,1]
	v_pk_fma_f32 v[42:43], v[48:49], v[28:29], v[32:33] op_sel:[0,0,1] op_sel_hi:[1,1,0] neg_lo:[0,0,1] neg_hi:[0,0,1]
	v_pk_fma_f32 v[32:33], v[48:49], v[28:29], v[32:33] op_sel:[0,0,1] op_sel_hi:[1,0,0]
	s_delay_alu instid0(VALU_DEP_1) | instskip(SKIP_1) | instid1(VALU_DEP_2)
	v_mov_b32_e32 v43, v33
	v_pk_mul_f32 v[32:33], v[50:51], v[30:31] op_sel:[0,1]
	v_pk_add_f32 v[130:131], v[130:131], v[42:43] neg_lo:[0,1] neg_hi:[0,1]
	s_delay_alu instid0(VALU_DEP_2) | instskip(SKIP_3) | instid1(VALU_DEP_1)
	v_pk_fma_f32 v[42:43], v[50:51], v[28:29], v[32:33] op_sel:[0,0,1] op_sel_hi:[1,1,0] neg_lo:[0,0,1] neg_hi:[0,0,1]
	v_pk_fma_f32 v[32:33], v[50:51], v[28:29], v[32:33] op_sel:[0,0,1] op_sel_hi:[1,0,0]
	ds_load_2addr_b64 v[48:51], v182 offset0:30 offset1:31
	v_mov_b32_e32 v43, v33
	v_pk_add_f32 v[126:127], v[126:127], v[42:43] neg_lo:[0,1] neg_hi:[0,1]
	s_wait_dscnt 0x0
	v_dual_mul_f32 v32, v49, v31 :: v_dual_mul_f32 v42, v49, v28
	s_delay_alu instid0(VALU_DEP_1) | instskip(NEXT) | instid1(VALU_DEP_2)
	v_pk_fma_f32 v[32:33], v[48:49], v[94:95], v[32:33] op_sel_hi:[1,1,0] neg_lo:[0,0,1] neg_hi:[0,0,1]
	v_pk_fma_f32 v[42:43], v[48:49], v[94:95], v[42:43] op_sel:[1,0,0] op_sel_hi:[0,1,0]
	s_delay_alu instid0(VALU_DEP_1) | instskip(NEXT) | instid1(VALU_DEP_1)
	v_mov_b32_e32 v33, v43
	v_pk_add_f32 v[128:129], v[128:129], v[32:33] neg_lo:[0,1] neg_hi:[0,1]
	v_pk_mul_f32 v[32:33], v[50:51], v[30:31] op_sel:[0,1]
	s_delay_alu instid0(VALU_DEP_1) | instskip(SKIP_3) | instid1(VALU_DEP_1)
	v_pk_fma_f32 v[42:43], v[50:51], v[28:29], v[32:33] op_sel:[0,0,1] op_sel_hi:[1,1,0] neg_lo:[0,0,1] neg_hi:[0,0,1]
	v_pk_fma_f32 v[32:33], v[50:51], v[28:29], v[32:33] op_sel:[0,0,1] op_sel_hi:[1,0,0]
	ds_load_2addr_b64 v[48:51], v182 offset0:32 offset1:33
	v_mov_b32_e32 v43, v33
	v_pk_add_f32 v[124:125], v[124:125], v[42:43] neg_lo:[0,1] neg_hi:[0,1]
	s_wait_dscnt 0x0
	v_pk_mul_f32 v[32:33], v[48:49], v[30:31] op_sel:[0,1]
	s_delay_alu instid0(VALU_DEP_1) | instskip(SKIP_1) | instid1(VALU_DEP_1)
	v_pk_fma_f32 v[42:43], v[48:49], v[28:29], v[32:33] op_sel:[0,0,1] op_sel_hi:[1,1,0] neg_lo:[0,0,1] neg_hi:[0,0,1]
	v_pk_fma_f32 v[32:33], v[48:49], v[28:29], v[32:33] op_sel:[0,0,1] op_sel_hi:[1,0,0]
	v_mov_b32_e32 v43, v33
	v_pk_mul_f32 v[32:33], v[50:51], v[30:31] op_sel:[0,1]
	s_delay_alu instid0(VALU_DEP_2) | instskip(NEXT) | instid1(VALU_DEP_2)
	v_pk_add_f32 v[146:147], v[146:147], v[42:43] neg_lo:[0,1] neg_hi:[0,1]
	v_pk_fma_f32 v[42:43], v[50:51], v[28:29], v[32:33] op_sel:[0,0,1] op_sel_hi:[1,1,0] neg_lo:[0,0,1] neg_hi:[0,0,1]
	v_pk_fma_f32 v[32:33], v[50:51], v[28:29], v[32:33] op_sel:[0,0,1] op_sel_hi:[1,0,0]
	ds_load_2addr_b64 v[48:51], v182 offset0:34 offset1:35
	v_mov_b32_e32 v43, v33
	s_delay_alu instid0(VALU_DEP_1) | instskip(SKIP_2) | instid1(VALU_DEP_1)
	v_pk_add_f32 v[142:143], v[142:143], v[42:43] neg_lo:[0,1] neg_hi:[0,1]
	s_wait_dscnt 0x0
	v_pk_mul_f32 v[32:33], v[48:49], v[30:31] op_sel:[0,1]
	v_pk_fma_f32 v[42:43], v[48:49], v[28:29], v[32:33] op_sel:[0,0,1] op_sel_hi:[1,1,0] neg_lo:[0,0,1] neg_hi:[0,0,1]
	v_pk_fma_f32 v[32:33], v[48:49], v[28:29], v[32:33] op_sel:[0,0,1] op_sel_hi:[1,0,0]
	v_dual_mov_b32 v32, v51 :: v_dual_mul_f32 v48, v51, v28
	s_delay_alu instid0(VALU_DEP_2) | instskip(NEXT) | instid1(VALU_DEP_1)
	v_dual_mov_b32 v43, v33 :: v_dual_mov_b32 v33, v50
	v_pk_add_f32 v[144:145], v[144:145], v[42:43] neg_lo:[0,1] neg_hi:[0,1]
	v_mul_f32_e32 v42, v51, v31
	s_delay_alu instid0(VALU_DEP_3) | instskip(NEXT) | instid1(VALU_DEP_2)
	v_pk_fma_f32 v[32:33], v[32:33], v[94:95], v[48:49] op_sel_hi:[1,1,0]
	v_pk_fma_f32 v[42:43], v[50:51], v[94:95], v[42:43] op_sel_hi:[1,1,0] neg_lo:[0,0,1] neg_hi:[0,0,1]
	ds_load_2addr_b64 v[48:51], v182 offset0:36 offset1:37
	v_mov_b32_e32 v43, v33
	s_delay_alu instid0(VALU_DEP_1) | instskip(SKIP_2) | instid1(VALU_DEP_1)
	v_pk_add_f32 v[140:141], v[140:141], v[42:43] neg_lo:[0,1] neg_hi:[0,1]
	s_wait_dscnt 0x0
	v_pk_mul_f32 v[32:33], v[48:49], v[30:31] op_sel:[0,1]
	v_pk_fma_f32 v[42:43], v[48:49], v[28:29], v[32:33] op_sel:[0,0,1] op_sel_hi:[1,1,0] neg_lo:[0,0,1] neg_hi:[0,0,1]
	v_pk_fma_f32 v[32:33], v[48:49], v[28:29], v[32:33] op_sel:[0,0,1] op_sel_hi:[1,0,0]
	s_delay_alu instid0(VALU_DEP_1) | instskip(SKIP_1) | instid1(VALU_DEP_2)
	v_mov_b32_e32 v43, v33
	v_pk_mul_f32 v[32:33], v[50:51], v[30:31] op_sel:[0,1]
	v_pk_add_f32 v[162:163], v[162:163], v[42:43] neg_lo:[0,1] neg_hi:[0,1]
	s_delay_alu instid0(VALU_DEP_2) | instskip(SKIP_3) | instid1(VALU_DEP_1)
	v_pk_fma_f32 v[42:43], v[50:51], v[28:29], v[32:33] op_sel:[0,0,1] op_sel_hi:[1,1,0] neg_lo:[0,0,1] neg_hi:[0,0,1]
	v_pk_fma_f32 v[32:33], v[50:51], v[28:29], v[32:33] op_sel:[0,0,1] op_sel_hi:[1,0,0]
	ds_load_2addr_b64 v[48:51], v182 offset0:38 offset1:39
	v_mov_b32_e32 v43, v33
	v_pk_add_f32 v[158:159], v[158:159], v[42:43] neg_lo:[0,1] neg_hi:[0,1]
	s_wait_dscnt 0x0
	v_pk_mul_f32 v[32:33], v[48:49], v[30:31] op_sel:[0,1]
	s_delay_alu instid0(VALU_DEP_1) | instskip(SKIP_1) | instid1(VALU_DEP_1)
	v_pk_fma_f32 v[42:43], v[48:49], v[28:29], v[32:33] op_sel:[0,0,1] op_sel_hi:[1,1,0] neg_lo:[0,0,1] neg_hi:[0,0,1]
	v_pk_fma_f32 v[32:33], v[48:49], v[28:29], v[32:33] op_sel:[0,0,1] op_sel_hi:[1,0,0]
	v_mov_b32_e32 v43, v33
	v_pk_mul_f32 v[32:33], v[50:51], v[30:31] op_sel:[0,1]
	s_delay_alu instid0(VALU_DEP_2) | instskip(NEXT) | instid1(VALU_DEP_2)
	v_pk_add_f32 v[160:161], v[160:161], v[42:43] neg_lo:[0,1] neg_hi:[0,1]
	v_pk_fma_f32 v[42:43], v[50:51], v[28:29], v[32:33] op_sel:[0,0,1] op_sel_hi:[1,1,0] neg_lo:[0,0,1] neg_hi:[0,0,1]
	v_pk_fma_f32 v[32:33], v[50:51], v[28:29], v[32:33] op_sel:[0,0,1] op_sel_hi:[1,0,0]
	ds_load_2addr_b64 v[48:51], v182 offset0:40 offset1:41
	v_mov_b32_e32 v43, v33
	s_delay_alu instid0(VALU_DEP_1) | instskip(SKIP_2) | instid1(VALU_DEP_1)
	v_pk_add_f32 v[156:157], v[156:157], v[42:43] neg_lo:[0,1] neg_hi:[0,1]
	s_wait_dscnt 0x0
	v_dual_mul_f32 v42, v49, v28 :: v_dual_mul_f32 v32, v49, v31
	v_pk_fma_f32 v[42:43], v[48:49], v[94:95], v[42:43] op_sel:[1,0,0] op_sel_hi:[0,1,0]
	s_delay_alu instid0(VALU_DEP_2) | instskip(NEXT) | instid1(VALU_DEP_2)
	v_pk_fma_f32 v[32:33], v[48:49], v[94:95], v[32:33] op_sel_hi:[1,1,0] neg_lo:[0,0,1] neg_hi:[0,0,1]
	v_mov_b32_e32 v33, v43
	s_delay_alu instid0(VALU_DEP_1) | instskip(SKIP_1) | instid1(VALU_DEP_1)
	v_pk_add_f32 v[178:179], v[178:179], v[32:33] neg_lo:[0,1] neg_hi:[0,1]
	v_pk_mul_f32 v[32:33], v[50:51], v[30:31] op_sel:[0,1]
	v_pk_fma_f32 v[42:43], v[50:51], v[28:29], v[32:33] op_sel:[0,0,1] op_sel_hi:[1,1,0] neg_lo:[0,0,1] neg_hi:[0,0,1]
	v_pk_fma_f32 v[32:33], v[50:51], v[28:29], v[32:33] op_sel:[0,0,1] op_sel_hi:[1,0,0]
	ds_load_2addr_b64 v[48:51], v182 offset0:42 offset1:43
	v_mov_b32_e32 v43, v33
	s_delay_alu instid0(VALU_DEP_1) | instskip(SKIP_2) | instid1(VALU_DEP_1)
	v_pk_add_f32 v[174:175], v[174:175], v[42:43] neg_lo:[0,1] neg_hi:[0,1]
	s_wait_dscnt 0x0
	v_pk_mul_f32 v[32:33], v[48:49], v[30:31] op_sel:[0,1]
	v_pk_fma_f32 v[42:43], v[48:49], v[28:29], v[32:33] op_sel:[0,0,1] op_sel_hi:[1,1,0] neg_lo:[0,0,1] neg_hi:[0,0,1]
	v_pk_fma_f32 v[32:33], v[48:49], v[28:29], v[32:33] op_sel:[0,0,1] op_sel_hi:[1,0,0]
	s_delay_alu instid0(VALU_DEP_1) | instskip(SKIP_1) | instid1(VALU_DEP_2)
	v_mov_b32_e32 v43, v33
	v_pk_mul_f32 v[32:33], v[50:51], v[30:31] op_sel:[0,1]
	v_pk_add_f32 v[176:177], v[176:177], v[42:43] neg_lo:[0,1] neg_hi:[0,1]
	s_delay_alu instid0(VALU_DEP_2) | instskip(SKIP_3) | instid1(VALU_DEP_1)
	v_pk_fma_f32 v[42:43], v[50:51], v[28:29], v[32:33] op_sel:[0,0,1] op_sel_hi:[1,1,0] neg_lo:[0,0,1] neg_hi:[0,0,1]
	v_pk_fma_f32 v[32:33], v[50:51], v[28:29], v[32:33] op_sel:[0,0,1] op_sel_hi:[1,0,0]
	ds_load_2addr_b64 v[48:51], v182 offset0:44 offset1:45
	v_mov_b32_e32 v43, v33
	v_pk_add_f32 v[172:173], v[172:173], v[42:43] neg_lo:[0,1] neg_hi:[0,1]
	s_wait_dscnt 0x0
	v_pk_mul_f32 v[32:33], v[48:49], v[30:31] op_sel:[0,1]
	s_delay_alu instid0(VALU_DEP_1) | instskip(SKIP_2) | instid1(VALU_DEP_2)
	v_pk_fma_f32 v[42:43], v[48:49], v[28:29], v[32:33] op_sel:[0,0,1] op_sel_hi:[1,1,0] neg_lo:[0,0,1] neg_hi:[0,0,1]
	v_pk_fma_f32 v[32:33], v[48:49], v[28:29], v[32:33] op_sel:[0,0,1] op_sel_hi:[1,0,0]
	v_dual_mov_b32 v32, v51 :: v_dual_mul_f32 v48, v51, v28
	v_dual_mov_b32 v43, v33 :: v_dual_mov_b32 v33, v50
	s_delay_alu instid0(VALU_DEP_1) | instskip(SKIP_1) | instid1(VALU_DEP_3)
	v_pk_add_f32 v[200:201], v[200:201], v[42:43] neg_lo:[0,1] neg_hi:[0,1]
	v_mul_f32_e32 v42, v51, v31
	v_pk_fma_f32 v[32:33], v[32:33], v[94:95], v[48:49] op_sel_hi:[1,1,0]
	s_delay_alu instid0(VALU_DEP_2) | instskip(SKIP_2) | instid1(VALU_DEP_1)
	v_pk_fma_f32 v[42:43], v[50:51], v[94:95], v[42:43] op_sel_hi:[1,1,0] neg_lo:[0,0,1] neg_hi:[0,0,1]
	ds_load_2addr_b64 v[48:51], v182 offset0:46 offset1:47
	v_mov_b32_e32 v43, v33
	v_pk_add_f32 v[196:197], v[196:197], v[42:43] neg_lo:[0,1] neg_hi:[0,1]
	s_wait_dscnt 0x0
	v_pk_mul_f32 v[32:33], v[48:49], v[30:31] op_sel:[0,1]
	s_delay_alu instid0(VALU_DEP_1) | instskip(SKIP_1) | instid1(VALU_DEP_1)
	v_pk_fma_f32 v[42:43], v[48:49], v[28:29], v[32:33] op_sel:[0,0,1] op_sel_hi:[1,1,0] neg_lo:[0,0,1] neg_hi:[0,0,1]
	v_pk_fma_f32 v[32:33], v[48:49], v[28:29], v[32:33] op_sel:[0,0,1] op_sel_hi:[1,0,0]
	v_mov_b32_e32 v43, v33
	v_pk_mul_f32 v[32:33], v[50:51], v[30:31] op_sel:[0,1]
	s_delay_alu instid0(VALU_DEP_2) | instskip(NEXT) | instid1(VALU_DEP_2)
	v_pk_add_f32 v[198:199], v[198:199], v[42:43] neg_lo:[0,1] neg_hi:[0,1]
	v_pk_fma_f32 v[42:43], v[50:51], v[28:29], v[32:33] op_sel:[0,0,1] op_sel_hi:[1,1,0] neg_lo:[0,0,1] neg_hi:[0,0,1]
	v_pk_fma_f32 v[32:33], v[50:51], v[28:29], v[32:33] op_sel:[0,0,1] op_sel_hi:[1,0,0]
	ds_load_2addr_b64 v[48:51], v182 offset0:48 offset1:49
	v_mov_b32_e32 v43, v33
	s_delay_alu instid0(VALU_DEP_1) | instskip(SKIP_2) | instid1(VALU_DEP_1)
	v_pk_add_f32 v[194:195], v[194:195], v[42:43] neg_lo:[0,1] neg_hi:[0,1]
	s_wait_dscnt 0x0
	v_pk_mul_f32 v[32:33], v[48:49], v[30:31] op_sel:[0,1]
	v_pk_fma_f32 v[42:43], v[48:49], v[28:29], v[32:33] op_sel:[0,0,1] op_sel_hi:[1,1,0] neg_lo:[0,0,1] neg_hi:[0,0,1]
	v_pk_fma_f32 v[32:33], v[48:49], v[28:29], v[32:33] op_sel:[0,0,1] op_sel_hi:[1,0,0]
	s_delay_alu instid0(VALU_DEP_1) | instskip(SKIP_1) | instid1(VALU_DEP_2)
	v_mov_b32_e32 v43, v33
	v_pk_mul_f32 v[32:33], v[50:51], v[30:31] op_sel:[0,1]
	v_pk_add_f32 v[224:225], v[224:225], v[42:43] neg_lo:[0,1] neg_hi:[0,1]
	s_delay_alu instid0(VALU_DEP_2) | instskip(SKIP_3) | instid1(VALU_DEP_1)
	v_pk_fma_f32 v[42:43], v[50:51], v[28:29], v[32:33] op_sel:[0,0,1] op_sel_hi:[1,1,0] neg_lo:[0,0,1] neg_hi:[0,0,1]
	v_pk_fma_f32 v[32:33], v[50:51], v[28:29], v[32:33] op_sel:[0,0,1] op_sel_hi:[1,0,0]
	ds_load_2addr_b64 v[48:51], v182 offset0:50 offset1:51
	v_mov_b32_e32 v43, v33
	v_pk_add_f32 v[216:217], v[216:217], v[42:43] neg_lo:[0,1] neg_hi:[0,1]
	s_wait_dscnt 0x0
	v_dual_mul_f32 v32, v49, v31 :: v_dual_mul_f32 v42, v49, v28
	s_delay_alu instid0(VALU_DEP_1) | instskip(NEXT) | instid1(VALU_DEP_2)
	v_pk_fma_f32 v[32:33], v[48:49], v[94:95], v[32:33] op_sel_hi:[1,1,0] neg_lo:[0,0,1] neg_hi:[0,0,1]
	v_pk_fma_f32 v[42:43], v[48:49], v[94:95], v[42:43] op_sel:[1,0,0] op_sel_hi:[0,1,0]
	s_delay_alu instid0(VALU_DEP_1) | instskip(NEXT) | instid1(VALU_DEP_1)
	v_mov_b32_e32 v33, v43
	v_pk_add_f32 v[222:223], v[222:223], v[32:33] neg_lo:[0,1] neg_hi:[0,1]
	v_pk_mul_f32 v[32:33], v[50:51], v[30:31] op_sel:[0,1]
	s_delay_alu instid0(VALU_DEP_1) | instskip(SKIP_3) | instid1(VALU_DEP_1)
	v_pk_fma_f32 v[42:43], v[50:51], v[28:29], v[32:33] op_sel:[0,0,1] op_sel_hi:[1,1,0] neg_lo:[0,0,1] neg_hi:[0,0,1]
	v_pk_fma_f32 v[32:33], v[50:51], v[28:29], v[32:33] op_sel:[0,0,1] op_sel_hi:[1,0,0]
	ds_load_2addr_b64 v[48:51], v182 offset0:52 offset1:53
	v_mov_b32_e32 v43, v33
	v_pk_add_f32 v[214:215], v[214:215], v[42:43] neg_lo:[0,1] neg_hi:[0,1]
	s_wait_dscnt 0x0
	v_pk_mul_f32 v[32:33], v[48:49], v[30:31] op_sel:[0,1]
	s_delay_alu instid0(VALU_DEP_1) | instskip(SKIP_1) | instid1(VALU_DEP_1)
	v_pk_fma_f32 v[42:43], v[48:49], v[28:29], v[32:33] op_sel:[0,0,1] op_sel_hi:[1,1,0] neg_lo:[0,0,1] neg_hi:[0,0,1]
	v_pk_fma_f32 v[32:33], v[48:49], v[28:29], v[32:33] op_sel:[0,0,1] op_sel_hi:[1,0,0]
	v_mov_b32_e32 v43, v33
	v_pk_mul_f32 v[32:33], v[50:51], v[30:31] op_sel:[0,1]
	s_delay_alu instid0(VALU_DEP_2) | instskip(NEXT) | instid1(VALU_DEP_2)
	v_pk_add_f32 v[220:221], v[220:221], v[42:43] neg_lo:[0,1] neg_hi:[0,1]
	v_pk_fma_f32 v[42:43], v[50:51], v[28:29], v[32:33] op_sel:[0,0,1] op_sel_hi:[1,1,0] neg_lo:[0,0,1] neg_hi:[0,0,1]
	v_pk_fma_f32 v[32:33], v[50:51], v[28:29], v[32:33] op_sel:[0,0,1] op_sel_hi:[1,0,0]
	ds_load_2addr_b64 v[48:51], v182 offset0:54 offset1:55
	v_mov_b32_e32 v43, v33
	s_delay_alu instid0(VALU_DEP_1) | instskip(SKIP_2) | instid1(VALU_DEP_1)
	v_pk_add_f32 v[212:213], v[212:213], v[42:43] neg_lo:[0,1] neg_hi:[0,1]
	s_wait_dscnt 0x0
	v_pk_mul_f32 v[32:33], v[48:49], v[30:31] op_sel:[0,1]
	v_pk_fma_f32 v[42:43], v[48:49], v[28:29], v[32:33] op_sel:[0,0,1] op_sel_hi:[1,1,0] neg_lo:[0,0,1] neg_hi:[0,0,1]
	v_pk_fma_f32 v[32:33], v[48:49], v[28:29], v[32:33] op_sel:[0,0,1] op_sel_hi:[1,0,0]
	v_dual_mov_b32 v32, v51 :: v_dual_mul_f32 v48, v51, v28
	s_delay_alu instid0(VALU_DEP_2) | instskip(NEXT) | instid1(VALU_DEP_1)
	v_dual_mov_b32 v43, v33 :: v_dual_mov_b32 v33, v50
	v_pk_add_f32 v[218:219], v[218:219], v[42:43] neg_lo:[0,1] neg_hi:[0,1]
	v_mul_f32_e32 v42, v51, v31
	s_delay_alu instid0(VALU_DEP_3) | instskip(NEXT) | instid1(VALU_DEP_2)
	v_pk_fma_f32 v[32:33], v[32:33], v[94:95], v[48:49] op_sel_hi:[1,1,0]
	v_pk_fma_f32 v[42:43], v[50:51], v[94:95], v[42:43] op_sel_hi:[1,1,0] neg_lo:[0,0,1] neg_hi:[0,0,1]
	s_delay_alu instid0(VALU_DEP_2) | instskip(SKIP_4) | instid1(VALU_DEP_1)
	v_mov_b32_e32 v43, v33
	ds_load_b64 v[32:33], v182 offset:448
	v_pk_add_f32 v[226:227], v[226:227], v[42:43] neg_lo:[0,1] neg_hi:[0,1]
	s_wait_dscnt 0x0
	v_pk_mul_f32 v[30:31], v[32:33], v[30:31] op_sel:[0,1]
	v_pk_fma_f32 v[42:43], v[32:33], v[28:29], v[30:31] op_sel:[0,0,1] op_sel_hi:[1,1,0] neg_lo:[0,0,1] neg_hi:[0,0,1]
	v_pk_fma_f32 v[28:29], v[32:33], v[28:29], v[30:31] op_sel:[0,0,1] op_sel_hi:[1,0,0]
	s_delay_alu instid0(VALU_DEP_1) | instskip(NEXT) | instid1(VALU_DEP_1)
	v_mov_b32_e32 v43, v29
	v_pk_add_f32 v[228:229], v[228:229], v[42:43] neg_lo:[0,1] neg_hi:[0,1]
.LBB113_199:
	s_or_b32 exec_lo, exec_lo, s1
	s_delay_alu instid0(SALU_CYCLE_1)
	s_mov_b32 s2, exec_lo
	s_wait_dscnt 0x0
	s_barrier_signal -1
	s_barrier_wait -1
	v_cmpx_eq_u32_e32 22, v180
	s_cbranch_execz .LBB113_206
; %bb.200:
	ds_store_b64 v181, v[96:97]
	ds_store_2addr_b64 v182, v[92:93], v[114:115] offset0:23 offset1:24
	ds_store_2addr_b64 v182, v[110:111], v[112:113] offset0:25 offset1:26
	;; [unrolled: 1-line block ×17, first 2 shown]
	ds_load_b64 v[28:29], v181
	s_wait_dscnt 0x0
	v_cmp_neq_f32_e32 vcc_lo, 0, v28
	v_cmp_neq_f32_e64 s1, 0, v29
	s_or_b32 s1, vcc_lo, s1
	s_delay_alu instid0(SALU_CYCLE_1)
	s_and_b32 exec_lo, exec_lo, s1
	s_cbranch_execz .LBB113_206
; %bb.201:
	v_cmp_ngt_f32_e64 s1, |v28|, |v29|
                                        ; implicit-def: $vgpr30_vgpr31
	s_and_saveexec_b32 s4, s1
	s_delay_alu instid0(SALU_CYCLE_1)
	s_xor_b32 s1, exec_lo, s4
	s_cbranch_execz .LBB113_203
; %bb.202:
	v_div_scale_f32 v30, null, v29, v29, v28
	v_div_scale_f32 v33, vcc_lo, v28, v29, v28
	s_delay_alu instid0(VALU_DEP_2) | instskip(SKIP_1) | instid1(TRANS32_DEP_1)
	v_rcp_f32_e32 v31, v30
	v_nop
	v_fma_f32 v32, -v30, v31, 1.0
	s_delay_alu instid0(VALU_DEP_1) | instskip(NEXT) | instid1(VALU_DEP_1)
	v_fmac_f32_e32 v31, v32, v31
	v_mul_f32_e32 v32, v33, v31
	s_delay_alu instid0(VALU_DEP_1) | instskip(NEXT) | instid1(VALU_DEP_1)
	v_fma_f32 v42, -v30, v32, v33
	v_fmac_f32_e32 v32, v42, v31
	s_delay_alu instid0(VALU_DEP_1) | instskip(NEXT) | instid1(VALU_DEP_1)
	v_fma_f32 v30, -v30, v32, v33
	v_div_fmas_f32 v30, v30, v31, v32
	s_delay_alu instid0(VALU_DEP_1) | instskip(NEXT) | instid1(VALU_DEP_1)
	v_div_fixup_f32 v30, v30, v29, v28
	v_fmac_f32_e32 v29, v28, v30
	s_delay_alu instid0(VALU_DEP_1) | instskip(SKIP_1) | instid1(VALU_DEP_2)
	v_div_scale_f32 v28, null, v29, v29, 1.0
	v_div_scale_f32 v33, vcc_lo, 1.0, v29, 1.0
	v_rcp_f32_e32 v31, v28
	v_nop
	s_delay_alu instid0(TRANS32_DEP_1) | instskip(NEXT) | instid1(VALU_DEP_1)
	v_fma_f32 v32, -v28, v31, 1.0
	v_fmac_f32_e32 v31, v32, v31
	s_delay_alu instid0(VALU_DEP_1) | instskip(NEXT) | instid1(VALU_DEP_1)
	v_mul_f32_e32 v32, v33, v31
	v_fma_f32 v42, -v28, v32, v33
	s_delay_alu instid0(VALU_DEP_1) | instskip(NEXT) | instid1(VALU_DEP_1)
	v_fmac_f32_e32 v32, v42, v31
	v_fma_f32 v28, -v28, v32, v33
	s_delay_alu instid0(VALU_DEP_1) | instskip(NEXT) | instid1(VALU_DEP_1)
	v_div_fmas_f32 v28, v28, v31, v32
	v_div_fixup_f32 v28, v28, v29, 1.0
	s_delay_alu instid0(VALU_DEP_1)
	v_mul_f32_e32 v30, v30, v28
	v_xor_b32_e32 v31, 0x80000000, v28
                                        ; implicit-def: $vgpr28_vgpr29
.LBB113_203:
	s_and_not1_saveexec_b32 s1, s1
	s_cbranch_execz .LBB113_205
; %bb.204:
	v_div_scale_f32 v30, null, v28, v28, v29
	v_div_scale_f32 v33, vcc_lo, v29, v28, v29
	s_delay_alu instid0(VALU_DEP_2) | instskip(SKIP_1) | instid1(TRANS32_DEP_1)
	v_rcp_f32_e32 v31, v30
	v_nop
	v_fma_f32 v32, -v30, v31, 1.0
	s_delay_alu instid0(VALU_DEP_1) | instskip(NEXT) | instid1(VALU_DEP_1)
	v_fmac_f32_e32 v31, v32, v31
	v_mul_f32_e32 v32, v33, v31
	s_delay_alu instid0(VALU_DEP_1) | instskip(NEXT) | instid1(VALU_DEP_1)
	v_fma_f32 v42, -v30, v32, v33
	v_fmac_f32_e32 v32, v42, v31
	s_delay_alu instid0(VALU_DEP_1) | instskip(NEXT) | instid1(VALU_DEP_1)
	v_fma_f32 v30, -v30, v32, v33
	v_div_fmas_f32 v30, v30, v31, v32
	s_delay_alu instid0(VALU_DEP_1) | instskip(NEXT) | instid1(VALU_DEP_1)
	v_div_fixup_f32 v31, v30, v28, v29
	v_fmac_f32_e32 v28, v29, v31
	s_delay_alu instid0(VALU_DEP_1) | instskip(NEXT) | instid1(VALU_DEP_1)
	v_div_scale_f32 v29, null, v28, v28, 1.0
	v_rcp_f32_e32 v30, v29
	v_nop
	s_delay_alu instid0(TRANS32_DEP_1) | instskip(NEXT) | instid1(VALU_DEP_1)
	v_fma_f32 v32, -v29, v30, 1.0
	v_fmac_f32_e32 v30, v32, v30
	v_div_scale_f32 v32, vcc_lo, 1.0, v28, 1.0
	s_delay_alu instid0(VALU_DEP_1) | instskip(NEXT) | instid1(VALU_DEP_1)
	v_mul_f32_e32 v33, v32, v30
	v_fma_f32 v42, -v29, v33, v32
	s_delay_alu instid0(VALU_DEP_1) | instskip(NEXT) | instid1(VALU_DEP_1)
	v_fmac_f32_e32 v33, v42, v30
	v_fma_f32 v29, -v29, v33, v32
	s_delay_alu instid0(VALU_DEP_1) | instskip(NEXT) | instid1(VALU_DEP_1)
	v_div_fmas_f32 v29, v29, v30, v33
	v_div_fixup_f32 v30, v29, v28, 1.0
	s_delay_alu instid0(VALU_DEP_1)
	v_mul_f32_e64 v31, v31, -v30
.LBB113_205:
	s_or_b32 exec_lo, exec_lo, s1
	ds_store_b64 v181, v[30:31]
.LBB113_206:
	s_or_b32 exec_lo, exec_lo, s2
	s_wait_dscnt 0x0
	s_barrier_signal -1
	s_barrier_wait -1
	ds_load_b64 v[28:29], v181
	s_mov_b32 s1, exec_lo
	v_cmpx_lt_u32_e32 22, v180
	s_cbranch_execz .LBB113_208
; %bb.207:
	ds_load_2addr_b64 v[48:51], v182 offset0:23 offset1:24
	s_wait_dscnt 0x1
	v_pk_mul_f32 v[32:33], v[28:29], v[96:97] op_sel:[1,1] op_sel_hi:[0,1]
	s_delay_alu instid0(VALU_DEP_1) | instskip(SKIP_1) | instid1(VALU_DEP_1)
	v_pk_fma_f32 v[30:31], v[28:29], v[96:97], v[32:33] op_sel_hi:[1,0,1] neg_lo:[0,0,1] neg_hi:[0,0,1]
	v_pk_fma_f32 v[32:33], v[28:29], v[96:97], v[32:33] op_sel_hi:[1,0,1]
	v_dual_mov_b32 v96, v30 :: v_dual_mov_b32 v97, v33
	s_wait_dscnt 0x0
	s_delay_alu instid0(VALU_DEP_2) | instskip(NEXT) | instid1(VALU_DEP_1)
	v_pk_mul_f32 v[42:43], v[48:49], v[32:33] op_sel:[0,1]
	v_pk_fma_f32 v[52:53], v[48:49], v[30:31], v[42:43] op_sel:[0,0,1] op_sel_hi:[1,1,0] neg_lo:[0,0,1] neg_hi:[0,0,1]
	v_pk_fma_f32 v[42:43], v[48:49], v[30:31], v[42:43] op_sel:[0,0,1] op_sel_hi:[1,0,0]
	s_delay_alu instid0(VALU_DEP_1) | instskip(SKIP_1) | instid1(VALU_DEP_1)
	v_mov_b32_e32 v53, v43
	v_pk_mul_f32 v[42:43], v[50:51], v[32:33] op_sel:[0,1]
	v_pk_fma_f32 v[48:49], v[50:51], v[30:31], v[42:43] op_sel:[0,0,1] op_sel_hi:[1,1,0] neg_lo:[0,0,1] neg_hi:[0,0,1]
	v_pk_fma_f32 v[42:43], v[50:51], v[30:31], v[42:43] op_sel:[0,0,1] op_sel_hi:[1,0,0]
	s_delay_alu instid0(VALU_DEP_1) | instskip(SKIP_1) | instid1(VALU_DEP_2)
	v_mov_b32_e32 v49, v43
	v_pk_add_f32 v[92:93], v[92:93], v[52:53] neg_lo:[0,1] neg_hi:[0,1]
	v_pk_add_f32 v[114:115], v[114:115], v[48:49] neg_lo:[0,1] neg_hi:[0,1]
	ds_load_2addr_b64 v[48:51], v182 offset0:25 offset1:26
	s_wait_dscnt 0x0
	v_pk_mul_f32 v[42:43], v[48:49], v[32:33] op_sel:[0,1]
	s_delay_alu instid0(VALU_DEP_1) | instskip(SKIP_2) | instid1(VALU_DEP_2)
	v_pk_fma_f32 v[52:53], v[48:49], v[30:31], v[42:43] op_sel:[0,0,1] op_sel_hi:[1,1,0] neg_lo:[0,0,1] neg_hi:[0,0,1]
	v_pk_fma_f32 v[42:43], v[48:49], v[30:31], v[42:43] op_sel:[0,0,1] op_sel_hi:[1,0,0]
	v_dual_mul_f32 v48, v51, v33 :: v_dual_mov_b32 v42, v51
	v_dual_mov_b32 v53, v43 :: v_dual_mov_b32 v43, v50
	s_delay_alu instid0(VALU_DEP_2) | instskip(SKIP_1) | instid1(VALU_DEP_3)
	v_pk_fma_f32 v[48:49], v[50:51], v[96:97], v[48:49] op_sel_hi:[1,1,0] neg_lo:[0,0,1] neg_hi:[0,0,1]
	v_mul_f32_e32 v50, v51, v30
	v_pk_add_f32 v[110:111], v[110:111], v[52:53] neg_lo:[0,1] neg_hi:[0,1]
	s_delay_alu instid0(VALU_DEP_2) | instskip(NEXT) | instid1(VALU_DEP_1)
	v_pk_fma_f32 v[42:43], v[42:43], v[96:97], v[50:51] op_sel_hi:[1,1,0]
	v_mov_b32_e32 v49, v43
	s_delay_alu instid0(VALU_DEP_1) | instskip(SKIP_3) | instid1(VALU_DEP_1)
	v_pk_add_f32 v[112:113], v[112:113], v[48:49] neg_lo:[0,1] neg_hi:[0,1]
	ds_load_2addr_b64 v[48:51], v182 offset0:27 offset1:28
	s_wait_dscnt 0x0
	v_pk_mul_f32 v[42:43], v[48:49], v[32:33] op_sel:[0,1]
	v_pk_fma_f32 v[52:53], v[48:49], v[30:31], v[42:43] op_sel:[0,0,1] op_sel_hi:[1,1,0] neg_lo:[0,0,1] neg_hi:[0,0,1]
	v_pk_fma_f32 v[42:43], v[48:49], v[30:31], v[42:43] op_sel:[0,0,1] op_sel_hi:[1,0,0]
	s_delay_alu instid0(VALU_DEP_1) | instskip(SKIP_1) | instid1(VALU_DEP_2)
	v_mov_b32_e32 v53, v43
	v_pk_mul_f32 v[42:43], v[50:51], v[32:33] op_sel:[0,1]
	v_pk_add_f32 v[108:109], v[108:109], v[52:53] neg_lo:[0,1] neg_hi:[0,1]
	s_delay_alu instid0(VALU_DEP_2) | instskip(SKIP_1) | instid1(VALU_DEP_1)
	v_pk_fma_f32 v[48:49], v[50:51], v[30:31], v[42:43] op_sel:[0,0,1] op_sel_hi:[1,1,0] neg_lo:[0,0,1] neg_hi:[0,0,1]
	v_pk_fma_f32 v[42:43], v[50:51], v[30:31], v[42:43] op_sel:[0,0,1] op_sel_hi:[1,0,0]
	v_mov_b32_e32 v49, v43
	s_delay_alu instid0(VALU_DEP_1) | instskip(SKIP_3) | instid1(VALU_DEP_1)
	v_pk_add_f32 v[130:131], v[130:131], v[48:49] neg_lo:[0,1] neg_hi:[0,1]
	ds_load_2addr_b64 v[48:51], v182 offset0:29 offset1:30
	s_wait_dscnt 0x0
	v_pk_mul_f32 v[42:43], v[48:49], v[32:33] op_sel:[0,1]
	v_pk_fma_f32 v[52:53], v[48:49], v[30:31], v[42:43] op_sel:[0,0,1] op_sel_hi:[1,1,0] neg_lo:[0,0,1] neg_hi:[0,0,1]
	v_pk_fma_f32 v[42:43], v[48:49], v[30:31], v[42:43] op_sel:[0,0,1] op_sel_hi:[1,0,0]
	s_delay_alu instid0(VALU_DEP_1) | instskip(SKIP_1) | instid1(VALU_DEP_2)
	v_mov_b32_e32 v53, v43
	v_pk_mul_f32 v[42:43], v[50:51], v[32:33] op_sel:[0,1]
	v_pk_add_f32 v[126:127], v[126:127], v[52:53] neg_lo:[0,1] neg_hi:[0,1]
	s_delay_alu instid0(VALU_DEP_2) | instskip(SKIP_1) | instid1(VALU_DEP_1)
	v_pk_fma_f32 v[48:49], v[50:51], v[30:31], v[42:43] op_sel:[0,0,1] op_sel_hi:[1,1,0] neg_lo:[0,0,1] neg_hi:[0,0,1]
	v_pk_fma_f32 v[42:43], v[50:51], v[30:31], v[42:43] op_sel:[0,0,1] op_sel_hi:[1,0,0]
	v_mov_b32_e32 v49, v43
	s_delay_alu instid0(VALU_DEP_1) | instskip(SKIP_3) | instid1(VALU_DEP_1)
	v_pk_add_f32 v[128:129], v[128:129], v[48:49] neg_lo:[0,1] neg_hi:[0,1]
	ds_load_2addr_b64 v[48:51], v182 offset0:31 offset1:32
	s_wait_dscnt 0x0
	v_dual_mul_f32 v42, v49, v33 :: v_dual_mul_f32 v52, v49, v30
	v_pk_fma_f32 v[42:43], v[48:49], v[96:97], v[42:43] op_sel_hi:[1,1,0] neg_lo:[0,0,1] neg_hi:[0,0,1]
	s_delay_alu instid0(VALU_DEP_2) | instskip(NEXT) | instid1(VALU_DEP_1)
	v_pk_fma_f32 v[48:49], v[48:49], v[96:97], v[52:53] op_sel:[1,0,0] op_sel_hi:[0,1,0]
	v_mov_b32_e32 v43, v49
	s_delay_alu instid0(VALU_DEP_1) | instskip(SKIP_1) | instid1(VALU_DEP_1)
	v_pk_add_f32 v[124:125], v[124:125], v[42:43] neg_lo:[0,1] neg_hi:[0,1]
	v_pk_mul_f32 v[42:43], v[50:51], v[32:33] op_sel:[0,1]
	v_pk_fma_f32 v[48:49], v[50:51], v[30:31], v[42:43] op_sel:[0,0,1] op_sel_hi:[1,1,0] neg_lo:[0,0,1] neg_hi:[0,0,1]
	v_pk_fma_f32 v[42:43], v[50:51], v[30:31], v[42:43] op_sel:[0,0,1] op_sel_hi:[1,0,0]
	s_delay_alu instid0(VALU_DEP_1) | instskip(NEXT) | instid1(VALU_DEP_1)
	v_mov_b32_e32 v49, v43
	v_pk_add_f32 v[146:147], v[146:147], v[48:49] neg_lo:[0,1] neg_hi:[0,1]
	ds_load_2addr_b64 v[48:51], v182 offset0:33 offset1:34
	s_wait_dscnt 0x0
	v_pk_mul_f32 v[42:43], v[48:49], v[32:33] op_sel:[0,1]
	s_delay_alu instid0(VALU_DEP_1) | instskip(SKIP_1) | instid1(VALU_DEP_1)
	v_pk_fma_f32 v[52:53], v[48:49], v[30:31], v[42:43] op_sel:[0,0,1] op_sel_hi:[1,1,0] neg_lo:[0,0,1] neg_hi:[0,0,1]
	v_pk_fma_f32 v[42:43], v[48:49], v[30:31], v[42:43] op_sel:[0,0,1] op_sel_hi:[1,0,0]
	v_mov_b32_e32 v53, v43
	v_pk_mul_f32 v[42:43], v[50:51], v[32:33] op_sel:[0,1]
	s_delay_alu instid0(VALU_DEP_2) | instskip(NEXT) | instid1(VALU_DEP_2)
	v_pk_add_f32 v[142:143], v[142:143], v[52:53] neg_lo:[0,1] neg_hi:[0,1]
	v_pk_fma_f32 v[48:49], v[50:51], v[30:31], v[42:43] op_sel:[0,0,1] op_sel_hi:[1,1,0] neg_lo:[0,0,1] neg_hi:[0,0,1]
	v_pk_fma_f32 v[42:43], v[50:51], v[30:31], v[42:43] op_sel:[0,0,1] op_sel_hi:[1,0,0]
	s_delay_alu instid0(VALU_DEP_1) | instskip(NEXT) | instid1(VALU_DEP_1)
	v_mov_b32_e32 v49, v43
	v_pk_add_f32 v[144:145], v[144:145], v[48:49] neg_lo:[0,1] neg_hi:[0,1]
	ds_load_2addr_b64 v[48:51], v182 offset0:35 offset1:36
	s_wait_dscnt 0x0
	v_pk_mul_f32 v[42:43], v[48:49], v[32:33] op_sel:[0,1]
	s_delay_alu instid0(VALU_DEP_1) | instskip(SKIP_2) | instid1(VALU_DEP_2)
	v_pk_fma_f32 v[52:53], v[48:49], v[30:31], v[42:43] op_sel:[0,0,1] op_sel_hi:[1,1,0] neg_lo:[0,0,1] neg_hi:[0,0,1]
	v_pk_fma_f32 v[42:43], v[48:49], v[30:31], v[42:43] op_sel:[0,0,1] op_sel_hi:[1,0,0]
	v_dual_mul_f32 v48, v51, v33 :: v_dual_mov_b32 v42, v51
	v_dual_mov_b32 v53, v43 :: v_dual_mov_b32 v43, v50
	s_delay_alu instid0(VALU_DEP_2) | instskip(SKIP_1) | instid1(VALU_DEP_3)
	v_pk_fma_f32 v[48:49], v[50:51], v[96:97], v[48:49] op_sel_hi:[1,1,0] neg_lo:[0,0,1] neg_hi:[0,0,1]
	v_mul_f32_e32 v50, v51, v30
	v_pk_add_f32 v[140:141], v[140:141], v[52:53] neg_lo:[0,1] neg_hi:[0,1]
	s_delay_alu instid0(VALU_DEP_2) | instskip(NEXT) | instid1(VALU_DEP_1)
	v_pk_fma_f32 v[42:43], v[42:43], v[96:97], v[50:51] op_sel_hi:[1,1,0]
	v_mov_b32_e32 v49, v43
	s_delay_alu instid0(VALU_DEP_1) | instskip(SKIP_3) | instid1(VALU_DEP_1)
	v_pk_add_f32 v[162:163], v[162:163], v[48:49] neg_lo:[0,1] neg_hi:[0,1]
	ds_load_2addr_b64 v[48:51], v182 offset0:37 offset1:38
	s_wait_dscnt 0x0
	v_pk_mul_f32 v[42:43], v[48:49], v[32:33] op_sel:[0,1]
	v_pk_fma_f32 v[52:53], v[48:49], v[30:31], v[42:43] op_sel:[0,0,1] op_sel_hi:[1,1,0] neg_lo:[0,0,1] neg_hi:[0,0,1]
	v_pk_fma_f32 v[42:43], v[48:49], v[30:31], v[42:43] op_sel:[0,0,1] op_sel_hi:[1,0,0]
	s_delay_alu instid0(VALU_DEP_1) | instskip(SKIP_1) | instid1(VALU_DEP_2)
	v_mov_b32_e32 v53, v43
	v_pk_mul_f32 v[42:43], v[50:51], v[32:33] op_sel:[0,1]
	v_pk_add_f32 v[158:159], v[158:159], v[52:53] neg_lo:[0,1] neg_hi:[0,1]
	s_delay_alu instid0(VALU_DEP_2) | instskip(SKIP_1) | instid1(VALU_DEP_1)
	v_pk_fma_f32 v[48:49], v[50:51], v[30:31], v[42:43] op_sel:[0,0,1] op_sel_hi:[1,1,0] neg_lo:[0,0,1] neg_hi:[0,0,1]
	v_pk_fma_f32 v[42:43], v[50:51], v[30:31], v[42:43] op_sel:[0,0,1] op_sel_hi:[1,0,0]
	v_mov_b32_e32 v49, v43
	s_delay_alu instid0(VALU_DEP_1) | instskip(SKIP_3) | instid1(VALU_DEP_1)
	v_pk_add_f32 v[160:161], v[160:161], v[48:49] neg_lo:[0,1] neg_hi:[0,1]
	ds_load_2addr_b64 v[48:51], v182 offset0:39 offset1:40
	s_wait_dscnt 0x0
	v_pk_mul_f32 v[42:43], v[48:49], v[32:33] op_sel:[0,1]
	v_pk_fma_f32 v[52:53], v[48:49], v[30:31], v[42:43] op_sel:[0,0,1] op_sel_hi:[1,1,0] neg_lo:[0,0,1] neg_hi:[0,0,1]
	v_pk_fma_f32 v[42:43], v[48:49], v[30:31], v[42:43] op_sel:[0,0,1] op_sel_hi:[1,0,0]
	s_delay_alu instid0(VALU_DEP_1) | instskip(SKIP_1) | instid1(VALU_DEP_2)
	v_mov_b32_e32 v53, v43
	v_pk_mul_f32 v[42:43], v[50:51], v[32:33] op_sel:[0,1]
	v_pk_add_f32 v[156:157], v[156:157], v[52:53] neg_lo:[0,1] neg_hi:[0,1]
	s_delay_alu instid0(VALU_DEP_2) | instskip(SKIP_1) | instid1(VALU_DEP_1)
	v_pk_fma_f32 v[48:49], v[50:51], v[30:31], v[42:43] op_sel:[0,0,1] op_sel_hi:[1,1,0] neg_lo:[0,0,1] neg_hi:[0,0,1]
	v_pk_fma_f32 v[42:43], v[50:51], v[30:31], v[42:43] op_sel:[0,0,1] op_sel_hi:[1,0,0]
	v_mov_b32_e32 v49, v43
	s_delay_alu instid0(VALU_DEP_1) | instskip(SKIP_3) | instid1(VALU_DEP_1)
	v_pk_add_f32 v[178:179], v[178:179], v[48:49] neg_lo:[0,1] neg_hi:[0,1]
	ds_load_2addr_b64 v[48:51], v182 offset0:41 offset1:42
	s_wait_dscnt 0x0
	v_dual_mul_f32 v42, v49, v33 :: v_dual_mul_f32 v52, v49, v30
	v_pk_fma_f32 v[42:43], v[48:49], v[96:97], v[42:43] op_sel_hi:[1,1,0] neg_lo:[0,0,1] neg_hi:[0,0,1]
	s_delay_alu instid0(VALU_DEP_2) | instskip(NEXT) | instid1(VALU_DEP_1)
	v_pk_fma_f32 v[48:49], v[48:49], v[96:97], v[52:53] op_sel:[1,0,0] op_sel_hi:[0,1,0]
	v_mov_b32_e32 v43, v49
	s_delay_alu instid0(VALU_DEP_1) | instskip(SKIP_1) | instid1(VALU_DEP_1)
	v_pk_add_f32 v[174:175], v[174:175], v[42:43] neg_lo:[0,1] neg_hi:[0,1]
	v_pk_mul_f32 v[42:43], v[50:51], v[32:33] op_sel:[0,1]
	v_pk_fma_f32 v[48:49], v[50:51], v[30:31], v[42:43] op_sel:[0,0,1] op_sel_hi:[1,1,0] neg_lo:[0,0,1] neg_hi:[0,0,1]
	v_pk_fma_f32 v[42:43], v[50:51], v[30:31], v[42:43] op_sel:[0,0,1] op_sel_hi:[1,0,0]
	s_delay_alu instid0(VALU_DEP_1) | instskip(NEXT) | instid1(VALU_DEP_1)
	v_mov_b32_e32 v49, v43
	v_pk_add_f32 v[176:177], v[176:177], v[48:49] neg_lo:[0,1] neg_hi:[0,1]
	ds_load_2addr_b64 v[48:51], v182 offset0:43 offset1:44
	s_wait_dscnt 0x0
	v_pk_mul_f32 v[42:43], v[48:49], v[32:33] op_sel:[0,1]
	s_delay_alu instid0(VALU_DEP_1) | instskip(SKIP_1) | instid1(VALU_DEP_1)
	v_pk_fma_f32 v[52:53], v[48:49], v[30:31], v[42:43] op_sel:[0,0,1] op_sel_hi:[1,1,0] neg_lo:[0,0,1] neg_hi:[0,0,1]
	v_pk_fma_f32 v[42:43], v[48:49], v[30:31], v[42:43] op_sel:[0,0,1] op_sel_hi:[1,0,0]
	v_mov_b32_e32 v53, v43
	v_pk_mul_f32 v[42:43], v[50:51], v[32:33] op_sel:[0,1]
	s_delay_alu instid0(VALU_DEP_2) | instskip(NEXT) | instid1(VALU_DEP_2)
	v_pk_add_f32 v[172:173], v[172:173], v[52:53] neg_lo:[0,1] neg_hi:[0,1]
	v_pk_fma_f32 v[48:49], v[50:51], v[30:31], v[42:43] op_sel:[0,0,1] op_sel_hi:[1,1,0] neg_lo:[0,0,1] neg_hi:[0,0,1]
	v_pk_fma_f32 v[42:43], v[50:51], v[30:31], v[42:43] op_sel:[0,0,1] op_sel_hi:[1,0,0]
	s_delay_alu instid0(VALU_DEP_1) | instskip(NEXT) | instid1(VALU_DEP_1)
	v_mov_b32_e32 v49, v43
	v_pk_add_f32 v[200:201], v[200:201], v[48:49] neg_lo:[0,1] neg_hi:[0,1]
	ds_load_2addr_b64 v[48:51], v182 offset0:45 offset1:46
	s_wait_dscnt 0x0
	v_pk_mul_f32 v[42:43], v[48:49], v[32:33] op_sel:[0,1]
	s_delay_alu instid0(VALU_DEP_1) | instskip(SKIP_2) | instid1(VALU_DEP_2)
	v_pk_fma_f32 v[52:53], v[48:49], v[30:31], v[42:43] op_sel:[0,0,1] op_sel_hi:[1,1,0] neg_lo:[0,0,1] neg_hi:[0,0,1]
	v_pk_fma_f32 v[42:43], v[48:49], v[30:31], v[42:43] op_sel:[0,0,1] op_sel_hi:[1,0,0]
	v_dual_mul_f32 v48, v51, v33 :: v_dual_mov_b32 v42, v51
	v_dual_mov_b32 v53, v43 :: v_dual_mov_b32 v43, v50
	s_delay_alu instid0(VALU_DEP_2) | instskip(SKIP_1) | instid1(VALU_DEP_3)
	v_pk_fma_f32 v[48:49], v[50:51], v[96:97], v[48:49] op_sel_hi:[1,1,0] neg_lo:[0,0,1] neg_hi:[0,0,1]
	v_mul_f32_e32 v50, v51, v30
	v_pk_add_f32 v[196:197], v[196:197], v[52:53] neg_lo:[0,1] neg_hi:[0,1]
	s_delay_alu instid0(VALU_DEP_2) | instskip(NEXT) | instid1(VALU_DEP_1)
	v_pk_fma_f32 v[42:43], v[42:43], v[96:97], v[50:51] op_sel_hi:[1,1,0]
	v_mov_b32_e32 v49, v43
	s_delay_alu instid0(VALU_DEP_1) | instskip(SKIP_3) | instid1(VALU_DEP_1)
	v_pk_add_f32 v[198:199], v[198:199], v[48:49] neg_lo:[0,1] neg_hi:[0,1]
	ds_load_2addr_b64 v[48:51], v182 offset0:47 offset1:48
	s_wait_dscnt 0x0
	v_pk_mul_f32 v[42:43], v[48:49], v[32:33] op_sel:[0,1]
	v_pk_fma_f32 v[52:53], v[48:49], v[30:31], v[42:43] op_sel:[0,0,1] op_sel_hi:[1,1,0] neg_lo:[0,0,1] neg_hi:[0,0,1]
	v_pk_fma_f32 v[42:43], v[48:49], v[30:31], v[42:43] op_sel:[0,0,1] op_sel_hi:[1,0,0]
	s_delay_alu instid0(VALU_DEP_1) | instskip(SKIP_1) | instid1(VALU_DEP_2)
	v_mov_b32_e32 v53, v43
	v_pk_mul_f32 v[42:43], v[50:51], v[32:33] op_sel:[0,1]
	v_pk_add_f32 v[194:195], v[194:195], v[52:53] neg_lo:[0,1] neg_hi:[0,1]
	s_delay_alu instid0(VALU_DEP_2) | instskip(SKIP_1) | instid1(VALU_DEP_1)
	v_pk_fma_f32 v[48:49], v[50:51], v[30:31], v[42:43] op_sel:[0,0,1] op_sel_hi:[1,1,0] neg_lo:[0,0,1] neg_hi:[0,0,1]
	v_pk_fma_f32 v[42:43], v[50:51], v[30:31], v[42:43] op_sel:[0,0,1] op_sel_hi:[1,0,0]
	v_mov_b32_e32 v49, v43
	s_delay_alu instid0(VALU_DEP_1) | instskip(SKIP_3) | instid1(VALU_DEP_1)
	v_pk_add_f32 v[224:225], v[224:225], v[48:49] neg_lo:[0,1] neg_hi:[0,1]
	ds_load_2addr_b64 v[48:51], v182 offset0:49 offset1:50
	s_wait_dscnt 0x0
	v_pk_mul_f32 v[42:43], v[48:49], v[32:33] op_sel:[0,1]
	v_pk_fma_f32 v[52:53], v[48:49], v[30:31], v[42:43] op_sel:[0,0,1] op_sel_hi:[1,1,0] neg_lo:[0,0,1] neg_hi:[0,0,1]
	v_pk_fma_f32 v[42:43], v[48:49], v[30:31], v[42:43] op_sel:[0,0,1] op_sel_hi:[1,0,0]
	s_delay_alu instid0(VALU_DEP_1) | instskip(SKIP_1) | instid1(VALU_DEP_2)
	v_mov_b32_e32 v53, v43
	v_pk_mul_f32 v[42:43], v[50:51], v[32:33] op_sel:[0,1]
	v_pk_add_f32 v[216:217], v[216:217], v[52:53] neg_lo:[0,1] neg_hi:[0,1]
	s_delay_alu instid0(VALU_DEP_2) | instskip(SKIP_1) | instid1(VALU_DEP_1)
	v_pk_fma_f32 v[48:49], v[50:51], v[30:31], v[42:43] op_sel:[0,0,1] op_sel_hi:[1,1,0] neg_lo:[0,0,1] neg_hi:[0,0,1]
	v_pk_fma_f32 v[42:43], v[50:51], v[30:31], v[42:43] op_sel:[0,0,1] op_sel_hi:[1,0,0]
	v_mov_b32_e32 v49, v43
	s_delay_alu instid0(VALU_DEP_1) | instskip(SKIP_3) | instid1(VALU_DEP_1)
	v_pk_add_f32 v[222:223], v[222:223], v[48:49] neg_lo:[0,1] neg_hi:[0,1]
	ds_load_2addr_b64 v[48:51], v182 offset0:51 offset1:52
	s_wait_dscnt 0x0
	v_dual_mul_f32 v42, v49, v33 :: v_dual_mul_f32 v52, v49, v30
	v_pk_fma_f32 v[42:43], v[48:49], v[96:97], v[42:43] op_sel_hi:[1,1,0] neg_lo:[0,0,1] neg_hi:[0,0,1]
	s_delay_alu instid0(VALU_DEP_2) | instskip(NEXT) | instid1(VALU_DEP_1)
	v_pk_fma_f32 v[48:49], v[48:49], v[96:97], v[52:53] op_sel:[1,0,0] op_sel_hi:[0,1,0]
	v_mov_b32_e32 v43, v49
	s_delay_alu instid0(VALU_DEP_1) | instskip(SKIP_1) | instid1(VALU_DEP_1)
	v_pk_add_f32 v[214:215], v[214:215], v[42:43] neg_lo:[0,1] neg_hi:[0,1]
	v_pk_mul_f32 v[42:43], v[50:51], v[32:33] op_sel:[0,1]
	v_pk_fma_f32 v[48:49], v[50:51], v[30:31], v[42:43] op_sel:[0,0,1] op_sel_hi:[1,1,0] neg_lo:[0,0,1] neg_hi:[0,0,1]
	v_pk_fma_f32 v[42:43], v[50:51], v[30:31], v[42:43] op_sel:[0,0,1] op_sel_hi:[1,0,0]
	s_delay_alu instid0(VALU_DEP_1) | instskip(NEXT) | instid1(VALU_DEP_1)
	v_mov_b32_e32 v49, v43
	v_pk_add_f32 v[220:221], v[220:221], v[48:49] neg_lo:[0,1] neg_hi:[0,1]
	ds_load_2addr_b64 v[48:51], v182 offset0:53 offset1:54
	s_wait_dscnt 0x0
	v_pk_mul_f32 v[42:43], v[48:49], v[32:33] op_sel:[0,1]
	s_delay_alu instid0(VALU_DEP_1) | instskip(SKIP_1) | instid1(VALU_DEP_1)
	v_pk_fma_f32 v[52:53], v[48:49], v[30:31], v[42:43] op_sel:[0,0,1] op_sel_hi:[1,1,0] neg_lo:[0,0,1] neg_hi:[0,0,1]
	v_pk_fma_f32 v[42:43], v[48:49], v[30:31], v[42:43] op_sel:[0,0,1] op_sel_hi:[1,0,0]
	v_mov_b32_e32 v53, v43
	v_pk_mul_f32 v[42:43], v[50:51], v[32:33] op_sel:[0,1]
	s_delay_alu instid0(VALU_DEP_2) | instskip(NEXT) | instid1(VALU_DEP_2)
	v_pk_add_f32 v[212:213], v[212:213], v[52:53] neg_lo:[0,1] neg_hi:[0,1]
	v_pk_fma_f32 v[48:49], v[50:51], v[30:31], v[42:43] op_sel:[0,0,1] op_sel_hi:[1,1,0] neg_lo:[0,0,1] neg_hi:[0,0,1]
	v_pk_fma_f32 v[42:43], v[50:51], v[30:31], v[42:43] op_sel:[0,0,1] op_sel_hi:[1,0,0]
	s_delay_alu instid0(VALU_DEP_1) | instskip(NEXT) | instid1(VALU_DEP_1)
	v_mov_b32_e32 v49, v43
	v_pk_add_f32 v[218:219], v[218:219], v[48:49] neg_lo:[0,1] neg_hi:[0,1]
	ds_load_2addr_b64 v[48:51], v182 offset0:55 offset1:56
	s_wait_dscnt 0x0
	v_pk_mul_f32 v[42:43], v[48:49], v[32:33] op_sel:[0,1]
	v_pk_mul_f32 v[32:33], v[50:51], v[32:33] op_sel:[0,1]
	s_delay_alu instid0(VALU_DEP_2) | instskip(SKIP_1) | instid1(VALU_DEP_1)
	v_pk_fma_f32 v[52:53], v[48:49], v[30:31], v[42:43] op_sel:[0,0,1] op_sel_hi:[1,1,0] neg_lo:[0,0,1] neg_hi:[0,0,1]
	v_pk_fma_f32 v[42:43], v[48:49], v[30:31], v[42:43] op_sel:[0,0,1] op_sel_hi:[1,0,0]
	v_mov_b32_e32 v53, v43
	s_delay_alu instid0(VALU_DEP_4) | instskip(SKIP_1) | instid1(VALU_DEP_3)
	v_pk_fma_f32 v[42:43], v[50:51], v[30:31], v[32:33] op_sel:[0,0,1] op_sel_hi:[1,1,0] neg_lo:[0,0,1] neg_hi:[0,0,1]
	v_pk_fma_f32 v[30:31], v[50:51], v[30:31], v[32:33] op_sel:[0,0,1] op_sel_hi:[1,0,0]
	v_pk_add_f32 v[226:227], v[226:227], v[52:53] neg_lo:[0,1] neg_hi:[0,1]
	s_delay_alu instid0(VALU_DEP_2) | instskip(NEXT) | instid1(VALU_DEP_1)
	v_mov_b32_e32 v43, v31
	v_pk_add_f32 v[228:229], v[228:229], v[42:43] neg_lo:[0,1] neg_hi:[0,1]
.LBB113_208:
	s_or_b32 exec_lo, exec_lo, s1
	s_delay_alu instid0(SALU_CYCLE_1)
	s_mov_b32 s2, exec_lo
	s_wait_dscnt 0x0
	s_barrier_signal -1
	s_barrier_wait -1
	v_cmpx_eq_u32_e32 23, v180
	s_cbranch_execz .LBB113_215
; %bb.209:
	v_dual_mov_b32 v30, v114 :: v_dual_mov_b32 v31, v115
	v_dual_mov_b32 v32, v110 :: v_dual_mov_b32 v33, v111
	ds_store_b64 v181, v[92:93]
	ds_store_2addr_b64 v182, v[30:31], v[32:33] offset0:24 offset1:25
	v_dual_mov_b32 v30, v112 :: v_dual_mov_b32 v31, v113
	v_dual_mov_b32 v32, v108 :: v_dual_mov_b32 v33, v109
	ds_store_2addr_b64 v182, v[30:31], v[32:33] offset0:26 offset1:27
	v_dual_mov_b32 v30, v130 :: v_dual_mov_b32 v31, v131
	v_dual_mov_b32 v32, v126 :: v_dual_mov_b32 v33, v127
	;; [unrolled: 3-line block ×15, first 2 shown]
	ds_store_2addr_b64 v182, v[30:31], v[32:33] offset0:54 offset1:55
	ds_store_b64 v182, v[228:229] offset:448
	ds_load_b64 v[30:31], v181
	s_wait_dscnt 0x0
	v_cmp_neq_f32_e32 vcc_lo, 0, v30
	v_cmp_neq_f32_e64 s1, 0, v31
	s_or_b32 s1, vcc_lo, s1
	s_delay_alu instid0(SALU_CYCLE_1)
	s_and_b32 exec_lo, exec_lo, s1
	s_cbranch_execz .LBB113_215
; %bb.210:
	v_cmp_ngt_f32_e64 s1, |v30|, |v31|
                                        ; implicit-def: $vgpr32_vgpr33
	s_and_saveexec_b32 s4, s1
	s_delay_alu instid0(SALU_CYCLE_1)
	s_xor_b32 s1, exec_lo, s4
	s_cbranch_execz .LBB113_212
; %bb.211:
	v_div_scale_f32 v32, null, v31, v31, v30
	v_div_scale_f32 v43, vcc_lo, v30, v31, v30
	s_delay_alu instid0(VALU_DEP_2) | instskip(SKIP_1) | instid1(TRANS32_DEP_1)
	v_rcp_f32_e32 v33, v32
	v_nop
	v_fma_f32 v42, -v32, v33, 1.0
	s_delay_alu instid0(VALU_DEP_1) | instskip(NEXT) | instid1(VALU_DEP_1)
	v_fmac_f32_e32 v33, v42, v33
	v_mul_f32_e32 v42, v43, v33
	s_delay_alu instid0(VALU_DEP_1) | instskip(NEXT) | instid1(VALU_DEP_1)
	v_fma_f32 v48, -v32, v42, v43
	v_fmac_f32_e32 v42, v48, v33
	s_delay_alu instid0(VALU_DEP_1) | instskip(NEXT) | instid1(VALU_DEP_1)
	v_fma_f32 v32, -v32, v42, v43
	v_div_fmas_f32 v32, v32, v33, v42
	s_delay_alu instid0(VALU_DEP_1) | instskip(NEXT) | instid1(VALU_DEP_1)
	v_div_fixup_f32 v32, v32, v31, v30
	v_fmac_f32_e32 v31, v30, v32
	s_delay_alu instid0(VALU_DEP_1) | instskip(SKIP_1) | instid1(VALU_DEP_2)
	v_div_scale_f32 v30, null, v31, v31, 1.0
	v_div_scale_f32 v43, vcc_lo, 1.0, v31, 1.0
	v_rcp_f32_e32 v33, v30
	v_nop
	s_delay_alu instid0(TRANS32_DEP_1) | instskip(NEXT) | instid1(VALU_DEP_1)
	v_fma_f32 v42, -v30, v33, 1.0
	v_fmac_f32_e32 v33, v42, v33
	s_delay_alu instid0(VALU_DEP_1) | instskip(NEXT) | instid1(VALU_DEP_1)
	v_mul_f32_e32 v42, v43, v33
	v_fma_f32 v48, -v30, v42, v43
	s_delay_alu instid0(VALU_DEP_1) | instskip(NEXT) | instid1(VALU_DEP_1)
	v_fmac_f32_e32 v42, v48, v33
	v_fma_f32 v30, -v30, v42, v43
	s_delay_alu instid0(VALU_DEP_1) | instskip(NEXT) | instid1(VALU_DEP_1)
	v_div_fmas_f32 v30, v30, v33, v42
	v_div_fixup_f32 v30, v30, v31, 1.0
	s_delay_alu instid0(VALU_DEP_1)
	v_mul_f32_e32 v32, v32, v30
	v_xor_b32_e32 v33, 0x80000000, v30
                                        ; implicit-def: $vgpr30_vgpr31
.LBB113_212:
	s_and_not1_saveexec_b32 s1, s1
	s_cbranch_execz .LBB113_214
; %bb.213:
	v_div_scale_f32 v32, null, v30, v30, v31
	v_div_scale_f32 v43, vcc_lo, v31, v30, v31
	s_delay_alu instid0(VALU_DEP_2) | instskip(SKIP_1) | instid1(TRANS32_DEP_1)
	v_rcp_f32_e32 v33, v32
	v_nop
	v_fma_f32 v42, -v32, v33, 1.0
	s_delay_alu instid0(VALU_DEP_1) | instskip(NEXT) | instid1(VALU_DEP_1)
	v_fmac_f32_e32 v33, v42, v33
	v_mul_f32_e32 v42, v43, v33
	s_delay_alu instid0(VALU_DEP_1) | instskip(NEXT) | instid1(VALU_DEP_1)
	v_fma_f32 v48, -v32, v42, v43
	v_fmac_f32_e32 v42, v48, v33
	s_delay_alu instid0(VALU_DEP_1) | instskip(NEXT) | instid1(VALU_DEP_1)
	v_fma_f32 v32, -v32, v42, v43
	v_div_fmas_f32 v32, v32, v33, v42
	s_delay_alu instid0(VALU_DEP_1) | instskip(NEXT) | instid1(VALU_DEP_1)
	v_div_fixup_f32 v33, v32, v30, v31
	v_fmac_f32_e32 v30, v31, v33
	s_delay_alu instid0(VALU_DEP_1) | instskip(NEXT) | instid1(VALU_DEP_1)
	v_div_scale_f32 v31, null, v30, v30, 1.0
	v_rcp_f32_e32 v32, v31
	v_nop
	s_delay_alu instid0(TRANS32_DEP_1) | instskip(NEXT) | instid1(VALU_DEP_1)
	v_fma_f32 v42, -v31, v32, 1.0
	v_fmac_f32_e32 v32, v42, v32
	v_div_scale_f32 v42, vcc_lo, 1.0, v30, 1.0
	s_delay_alu instid0(VALU_DEP_1) | instskip(NEXT) | instid1(VALU_DEP_1)
	v_mul_f32_e32 v43, v42, v32
	v_fma_f32 v48, -v31, v43, v42
	s_delay_alu instid0(VALU_DEP_1) | instskip(NEXT) | instid1(VALU_DEP_1)
	v_fmac_f32_e32 v43, v48, v32
	v_fma_f32 v31, -v31, v43, v42
	s_delay_alu instid0(VALU_DEP_1) | instskip(NEXT) | instid1(VALU_DEP_1)
	v_div_fmas_f32 v31, v31, v32, v43
	v_div_fixup_f32 v32, v31, v30, 1.0
	s_delay_alu instid0(VALU_DEP_1)
	v_mul_f32_e64 v33, v33, -v32
.LBB113_214:
	s_or_b32 exec_lo, exec_lo, s1
	ds_store_b64 v181, v[32:33]
.LBB113_215:
	s_or_b32 exec_lo, exec_lo, s2
	s_wait_dscnt 0x0
	s_barrier_signal -1
	s_barrier_wait -1
	ds_load_b64 v[30:31], v181
	s_mov_b32 s1, exec_lo
	v_cmpx_lt_u32_e32 23, v180
	s_cbranch_execz .LBB113_217
; %bb.216:
	ds_load_2addr_b64 v[48:51], v182 offset0:24 offset1:25
	s_wait_dscnt 0x1
	v_pk_mul_f32 v[42:43], v[30:31], v[92:93] op_sel:[1,1] op_sel_hi:[0,1]
	s_delay_alu instid0(VALU_DEP_1) | instskip(SKIP_1) | instid1(VALU_DEP_1)
	v_pk_fma_f32 v[32:33], v[30:31], v[92:93], v[42:43] op_sel_hi:[1,0,1] neg_lo:[0,0,1] neg_hi:[0,0,1]
	v_pk_fma_f32 v[42:43], v[30:31], v[92:93], v[42:43] op_sel_hi:[1,0,1]
	v_dual_mov_b32 v92, v32 :: v_dual_mov_b32 v93, v43
	s_wait_dscnt 0x0
	s_delay_alu instid0(VALU_DEP_2) | instskip(NEXT) | instid1(VALU_DEP_1)
	v_pk_mul_f32 v[52:53], v[48:49], v[42:43] op_sel:[0,1]
	v_pk_fma_f32 v[66:67], v[48:49], v[32:33], v[52:53] op_sel:[0,0,1] op_sel_hi:[1,1,0] neg_lo:[0,0,1] neg_hi:[0,0,1]
	v_pk_fma_f32 v[48:49], v[48:49], v[32:33], v[52:53] op_sel:[0,0,1] op_sel_hi:[1,0,0]
	s_delay_alu instid0(VALU_DEP_1) | instskip(SKIP_1) | instid1(VALU_DEP_1)
	v_mov_b32_e32 v67, v49
	v_pk_mul_f32 v[48:49], v[50:51], v[42:43] op_sel:[0,1]
	v_pk_fma_f32 v[52:53], v[50:51], v[32:33], v[48:49] op_sel:[0,0,1] op_sel_hi:[1,1,0] neg_lo:[0,0,1] neg_hi:[0,0,1]
	v_pk_fma_f32 v[48:49], v[50:51], v[32:33], v[48:49] op_sel:[0,0,1] op_sel_hi:[1,0,0]
	s_delay_alu instid0(VALU_DEP_1)
	v_mov_b32_e32 v53, v49
	ds_load_2addr_b64 v[48:51], v182 offset0:26 offset1:27
	v_pk_add_f32 v[114:115], v[114:115], v[66:67] neg_lo:[0,1] neg_hi:[0,1]
	v_pk_add_f32 v[110:111], v[110:111], v[52:53] neg_lo:[0,1] neg_hi:[0,1]
	s_wait_dscnt 0x0
	v_pk_mul_f32 v[52:53], v[48:49], v[42:43] op_sel:[0,1]
	s_delay_alu instid0(VALU_DEP_1) | instskip(SKIP_2) | instid1(VALU_DEP_2)
	v_pk_fma_f32 v[66:67], v[48:49], v[32:33], v[52:53] op_sel:[0,0,1] op_sel_hi:[1,1,0] neg_lo:[0,0,1] neg_hi:[0,0,1]
	v_pk_fma_f32 v[48:49], v[48:49], v[32:33], v[52:53] op_sel:[0,0,1] op_sel_hi:[1,0,0]
	v_dual_mul_f32 v52, v51, v43 :: v_dual_mov_b32 v48, v51
	v_dual_mov_b32 v67, v49 :: v_dual_mov_b32 v49, v50
	s_delay_alu instid0(VALU_DEP_2) | instskip(SKIP_1) | instid1(VALU_DEP_3)
	v_pk_fma_f32 v[52:53], v[50:51], v[92:93], v[52:53] op_sel_hi:[1,1,0] neg_lo:[0,0,1] neg_hi:[0,0,1]
	v_mul_f32_e32 v50, v51, v32
	v_pk_add_f32 v[112:113], v[112:113], v[66:67] neg_lo:[0,1] neg_hi:[0,1]
	s_delay_alu instid0(VALU_DEP_2) | instskip(NEXT) | instid1(VALU_DEP_1)
	v_pk_fma_f32 v[48:49], v[48:49], v[92:93], v[50:51] op_sel_hi:[1,1,0]
	v_mov_b32_e32 v53, v49
	ds_load_2addr_b64 v[48:51], v182 offset0:28 offset1:29
	v_pk_add_f32 v[108:109], v[108:109], v[52:53] neg_lo:[0,1] neg_hi:[0,1]
	s_wait_dscnt 0x0
	v_pk_mul_f32 v[52:53], v[48:49], v[42:43] op_sel:[0,1]
	s_delay_alu instid0(VALU_DEP_1) | instskip(SKIP_1) | instid1(VALU_DEP_1)
	v_pk_fma_f32 v[66:67], v[48:49], v[32:33], v[52:53] op_sel:[0,0,1] op_sel_hi:[1,1,0] neg_lo:[0,0,1] neg_hi:[0,0,1]
	v_pk_fma_f32 v[48:49], v[48:49], v[32:33], v[52:53] op_sel:[0,0,1] op_sel_hi:[1,0,0]
	v_mov_b32_e32 v67, v49
	v_pk_mul_f32 v[48:49], v[50:51], v[42:43] op_sel:[0,1]
	s_delay_alu instid0(VALU_DEP_1) | instskip(SKIP_1) | instid1(VALU_DEP_1)
	v_pk_fma_f32 v[52:53], v[50:51], v[32:33], v[48:49] op_sel:[0,0,1] op_sel_hi:[1,1,0] neg_lo:[0,0,1] neg_hi:[0,0,1]
	v_pk_fma_f32 v[48:49], v[50:51], v[32:33], v[48:49] op_sel:[0,0,1] op_sel_hi:[1,0,0]
	v_mov_b32_e32 v53, v49
	ds_load_2addr_b64 v[48:51], v182 offset0:30 offset1:31
	v_pk_add_f32 v[130:131], v[130:131], v[66:67] neg_lo:[0,1] neg_hi:[0,1]
	v_pk_add_f32 v[126:127], v[126:127], v[52:53] neg_lo:[0,1] neg_hi:[0,1]
	s_wait_dscnt 0x0
	v_pk_mul_f32 v[52:53], v[48:49], v[42:43] op_sel:[0,1]
	s_delay_alu instid0(VALU_DEP_1) | instskip(SKIP_1) | instid1(VALU_DEP_1)
	v_pk_fma_f32 v[66:67], v[48:49], v[32:33], v[52:53] op_sel:[0,0,1] op_sel_hi:[1,1,0] neg_lo:[0,0,1] neg_hi:[0,0,1]
	v_pk_fma_f32 v[48:49], v[48:49], v[32:33], v[52:53] op_sel:[0,0,1] op_sel_hi:[1,0,0]
	v_mov_b32_e32 v67, v49
	v_pk_mul_f32 v[48:49], v[50:51], v[42:43] op_sel:[0,1]
	s_delay_alu instid0(VALU_DEP_1) | instskip(SKIP_1) | instid1(VALU_DEP_1)
	v_pk_fma_f32 v[52:53], v[50:51], v[32:33], v[48:49] op_sel:[0,0,1] op_sel_hi:[1,1,0] neg_lo:[0,0,1] neg_hi:[0,0,1]
	v_pk_fma_f32 v[48:49], v[50:51], v[32:33], v[48:49] op_sel:[0,0,1] op_sel_hi:[1,0,0]
	v_mov_b32_e32 v53, v49
	ds_load_2addr_b64 v[48:51], v182 offset0:32 offset1:33
	v_pk_add_f32 v[128:129], v[128:129], v[66:67] neg_lo:[0,1] neg_hi:[0,1]
	v_pk_add_f32 v[124:125], v[124:125], v[52:53] neg_lo:[0,1] neg_hi:[0,1]
	s_wait_dscnt 0x0
	v_dual_mul_f32 v52, v49, v43 :: v_dual_mul_f32 v66, v49, v32
	s_delay_alu instid0(VALU_DEP_1) | instskip(NEXT) | instid1(VALU_DEP_2)
	v_pk_fma_f32 v[52:53], v[48:49], v[92:93], v[52:53] op_sel_hi:[1,1,0] neg_lo:[0,0,1] neg_hi:[0,0,1]
	v_pk_fma_f32 v[48:49], v[48:49], v[92:93], v[66:67] op_sel:[1,0,0] op_sel_hi:[0,1,0]
	s_delay_alu instid0(VALU_DEP_1) | instskip(SKIP_1) | instid1(VALU_DEP_2)
	v_mov_b32_e32 v53, v49
	v_pk_mul_f32 v[48:49], v[50:51], v[42:43] op_sel:[0,1]
	v_pk_add_f32 v[146:147], v[146:147], v[52:53] neg_lo:[0,1] neg_hi:[0,1]
	s_delay_alu instid0(VALU_DEP_2) | instskip(SKIP_1) | instid1(VALU_DEP_1)
	v_pk_fma_f32 v[52:53], v[50:51], v[32:33], v[48:49] op_sel:[0,0,1] op_sel_hi:[1,1,0] neg_lo:[0,0,1] neg_hi:[0,0,1]
	v_pk_fma_f32 v[48:49], v[50:51], v[32:33], v[48:49] op_sel:[0,0,1] op_sel_hi:[1,0,0]
	v_mov_b32_e32 v53, v49
	ds_load_2addr_b64 v[48:51], v182 offset0:34 offset1:35
	v_pk_add_f32 v[142:143], v[142:143], v[52:53] neg_lo:[0,1] neg_hi:[0,1]
	s_wait_dscnt 0x0
	v_pk_mul_f32 v[52:53], v[48:49], v[42:43] op_sel:[0,1]
	s_delay_alu instid0(VALU_DEP_1) | instskip(SKIP_1) | instid1(VALU_DEP_1)
	v_pk_fma_f32 v[66:67], v[48:49], v[32:33], v[52:53] op_sel:[0,0,1] op_sel_hi:[1,1,0] neg_lo:[0,0,1] neg_hi:[0,0,1]
	v_pk_fma_f32 v[48:49], v[48:49], v[32:33], v[52:53] op_sel:[0,0,1] op_sel_hi:[1,0,0]
	v_mov_b32_e32 v67, v49
	v_pk_mul_f32 v[48:49], v[50:51], v[42:43] op_sel:[0,1]
	s_delay_alu instid0(VALU_DEP_2) | instskip(NEXT) | instid1(VALU_DEP_2)
	v_pk_add_f32 v[144:145], v[144:145], v[66:67] neg_lo:[0,1] neg_hi:[0,1]
	v_pk_fma_f32 v[52:53], v[50:51], v[32:33], v[48:49] op_sel:[0,0,1] op_sel_hi:[1,1,0] neg_lo:[0,0,1] neg_hi:[0,0,1]
	v_pk_fma_f32 v[48:49], v[50:51], v[32:33], v[48:49] op_sel:[0,0,1] op_sel_hi:[1,0,0]
	s_delay_alu instid0(VALU_DEP_1) | instskip(SKIP_4) | instid1(VALU_DEP_1)
	v_mov_b32_e32 v53, v49
	ds_load_2addr_b64 v[48:51], v182 offset0:36 offset1:37
	v_pk_add_f32 v[140:141], v[140:141], v[52:53] neg_lo:[0,1] neg_hi:[0,1]
	s_wait_dscnt 0x0
	v_pk_mul_f32 v[52:53], v[48:49], v[42:43] op_sel:[0,1]
	v_pk_fma_f32 v[66:67], v[48:49], v[32:33], v[52:53] op_sel:[0,0,1] op_sel_hi:[1,1,0] neg_lo:[0,0,1] neg_hi:[0,0,1]
	v_pk_fma_f32 v[48:49], v[48:49], v[32:33], v[52:53] op_sel:[0,0,1] op_sel_hi:[1,0,0]
	v_dual_mul_f32 v52, v51, v43 :: v_dual_mov_b32 v48, v51
	s_delay_alu instid0(VALU_DEP_2) | instskip(NEXT) | instid1(VALU_DEP_2)
	v_dual_mov_b32 v67, v49 :: v_dual_mov_b32 v49, v50
	v_pk_fma_f32 v[52:53], v[50:51], v[92:93], v[52:53] op_sel_hi:[1,1,0] neg_lo:[0,0,1] neg_hi:[0,0,1]
	v_mul_f32_e32 v50, v51, v32
	s_delay_alu instid0(VALU_DEP_3) | instskip(NEXT) | instid1(VALU_DEP_2)
	v_pk_add_f32 v[162:163], v[162:163], v[66:67] neg_lo:[0,1] neg_hi:[0,1]
	v_pk_fma_f32 v[48:49], v[48:49], v[92:93], v[50:51] op_sel_hi:[1,1,0]
	s_delay_alu instid0(VALU_DEP_1) | instskip(SKIP_4) | instid1(VALU_DEP_1)
	v_mov_b32_e32 v53, v49
	ds_load_2addr_b64 v[48:51], v182 offset0:38 offset1:39
	v_pk_add_f32 v[158:159], v[158:159], v[52:53] neg_lo:[0,1] neg_hi:[0,1]
	s_wait_dscnt 0x0
	v_pk_mul_f32 v[52:53], v[48:49], v[42:43] op_sel:[0,1]
	v_pk_fma_f32 v[66:67], v[48:49], v[32:33], v[52:53] op_sel:[0,0,1] op_sel_hi:[1,1,0] neg_lo:[0,0,1] neg_hi:[0,0,1]
	v_pk_fma_f32 v[48:49], v[48:49], v[32:33], v[52:53] op_sel:[0,0,1] op_sel_hi:[1,0,0]
	s_delay_alu instid0(VALU_DEP_1) | instskip(SKIP_1) | instid1(VALU_DEP_1)
	v_mov_b32_e32 v67, v49
	v_pk_mul_f32 v[48:49], v[50:51], v[42:43] op_sel:[0,1]
	v_pk_fma_f32 v[52:53], v[50:51], v[32:33], v[48:49] op_sel:[0,0,1] op_sel_hi:[1,1,0] neg_lo:[0,0,1] neg_hi:[0,0,1]
	v_pk_fma_f32 v[48:49], v[50:51], v[32:33], v[48:49] op_sel:[0,0,1] op_sel_hi:[1,0,0]
	s_delay_alu instid0(VALU_DEP_1)
	v_mov_b32_e32 v53, v49
	ds_load_2addr_b64 v[48:51], v182 offset0:40 offset1:41
	v_pk_add_f32 v[160:161], v[160:161], v[66:67] neg_lo:[0,1] neg_hi:[0,1]
	v_pk_add_f32 v[156:157], v[156:157], v[52:53] neg_lo:[0,1] neg_hi:[0,1]
	s_wait_dscnt 0x0
	v_pk_mul_f32 v[52:53], v[48:49], v[42:43] op_sel:[0,1]
	s_delay_alu instid0(VALU_DEP_1) | instskip(SKIP_1) | instid1(VALU_DEP_1)
	v_pk_fma_f32 v[66:67], v[48:49], v[32:33], v[52:53] op_sel:[0,0,1] op_sel_hi:[1,1,0] neg_lo:[0,0,1] neg_hi:[0,0,1]
	v_pk_fma_f32 v[48:49], v[48:49], v[32:33], v[52:53] op_sel:[0,0,1] op_sel_hi:[1,0,0]
	v_mov_b32_e32 v67, v49
	v_pk_mul_f32 v[48:49], v[50:51], v[42:43] op_sel:[0,1]
	s_delay_alu instid0(VALU_DEP_1) | instskip(SKIP_1) | instid1(VALU_DEP_1)
	v_pk_fma_f32 v[52:53], v[50:51], v[32:33], v[48:49] op_sel:[0,0,1] op_sel_hi:[1,1,0] neg_lo:[0,0,1] neg_hi:[0,0,1]
	v_pk_fma_f32 v[48:49], v[50:51], v[32:33], v[48:49] op_sel:[0,0,1] op_sel_hi:[1,0,0]
	v_mov_b32_e32 v53, v49
	ds_load_2addr_b64 v[48:51], v182 offset0:42 offset1:43
	v_pk_add_f32 v[178:179], v[178:179], v[66:67] neg_lo:[0,1] neg_hi:[0,1]
	v_pk_add_f32 v[174:175], v[174:175], v[52:53] neg_lo:[0,1] neg_hi:[0,1]
	s_wait_dscnt 0x0
	v_dual_mul_f32 v52, v49, v43 :: v_dual_mul_f32 v66, v49, v32
	s_delay_alu instid0(VALU_DEP_1) | instskip(NEXT) | instid1(VALU_DEP_2)
	v_pk_fma_f32 v[52:53], v[48:49], v[92:93], v[52:53] op_sel_hi:[1,1,0] neg_lo:[0,0,1] neg_hi:[0,0,1]
	v_pk_fma_f32 v[48:49], v[48:49], v[92:93], v[66:67] op_sel:[1,0,0] op_sel_hi:[0,1,0]
	s_delay_alu instid0(VALU_DEP_1) | instskip(SKIP_1) | instid1(VALU_DEP_2)
	v_mov_b32_e32 v53, v49
	v_pk_mul_f32 v[48:49], v[50:51], v[42:43] op_sel:[0,1]
	v_pk_add_f32 v[176:177], v[176:177], v[52:53] neg_lo:[0,1] neg_hi:[0,1]
	s_delay_alu instid0(VALU_DEP_2) | instskip(SKIP_1) | instid1(VALU_DEP_1)
	v_pk_fma_f32 v[52:53], v[50:51], v[32:33], v[48:49] op_sel:[0,0,1] op_sel_hi:[1,1,0] neg_lo:[0,0,1] neg_hi:[0,0,1]
	v_pk_fma_f32 v[48:49], v[50:51], v[32:33], v[48:49] op_sel:[0,0,1] op_sel_hi:[1,0,0]
	v_mov_b32_e32 v53, v49
	ds_load_2addr_b64 v[48:51], v182 offset0:44 offset1:45
	v_pk_add_f32 v[172:173], v[172:173], v[52:53] neg_lo:[0,1] neg_hi:[0,1]
	s_wait_dscnt 0x0
	v_pk_mul_f32 v[52:53], v[48:49], v[42:43] op_sel:[0,1]
	s_delay_alu instid0(VALU_DEP_1) | instskip(SKIP_1) | instid1(VALU_DEP_1)
	v_pk_fma_f32 v[66:67], v[48:49], v[32:33], v[52:53] op_sel:[0,0,1] op_sel_hi:[1,1,0] neg_lo:[0,0,1] neg_hi:[0,0,1]
	v_pk_fma_f32 v[48:49], v[48:49], v[32:33], v[52:53] op_sel:[0,0,1] op_sel_hi:[1,0,0]
	v_mov_b32_e32 v67, v49
	v_pk_mul_f32 v[48:49], v[50:51], v[42:43] op_sel:[0,1]
	s_delay_alu instid0(VALU_DEP_2) | instskip(NEXT) | instid1(VALU_DEP_2)
	v_pk_add_f32 v[200:201], v[200:201], v[66:67] neg_lo:[0,1] neg_hi:[0,1]
	v_pk_fma_f32 v[52:53], v[50:51], v[32:33], v[48:49] op_sel:[0,0,1] op_sel_hi:[1,1,0] neg_lo:[0,0,1] neg_hi:[0,0,1]
	v_pk_fma_f32 v[48:49], v[50:51], v[32:33], v[48:49] op_sel:[0,0,1] op_sel_hi:[1,0,0]
	s_delay_alu instid0(VALU_DEP_1) | instskip(SKIP_4) | instid1(VALU_DEP_1)
	v_mov_b32_e32 v53, v49
	ds_load_2addr_b64 v[48:51], v182 offset0:46 offset1:47
	v_pk_add_f32 v[196:197], v[196:197], v[52:53] neg_lo:[0,1] neg_hi:[0,1]
	s_wait_dscnt 0x0
	v_pk_mul_f32 v[52:53], v[48:49], v[42:43] op_sel:[0,1]
	v_pk_fma_f32 v[66:67], v[48:49], v[32:33], v[52:53] op_sel:[0,0,1] op_sel_hi:[1,1,0] neg_lo:[0,0,1] neg_hi:[0,0,1]
	v_pk_fma_f32 v[48:49], v[48:49], v[32:33], v[52:53] op_sel:[0,0,1] op_sel_hi:[1,0,0]
	v_dual_mul_f32 v52, v51, v43 :: v_dual_mov_b32 v48, v51
	s_delay_alu instid0(VALU_DEP_2) | instskip(NEXT) | instid1(VALU_DEP_2)
	v_dual_mov_b32 v67, v49 :: v_dual_mov_b32 v49, v50
	v_pk_fma_f32 v[52:53], v[50:51], v[92:93], v[52:53] op_sel_hi:[1,1,0] neg_lo:[0,0,1] neg_hi:[0,0,1]
	v_mul_f32_e32 v50, v51, v32
	s_delay_alu instid0(VALU_DEP_3) | instskip(NEXT) | instid1(VALU_DEP_2)
	v_pk_add_f32 v[198:199], v[198:199], v[66:67] neg_lo:[0,1] neg_hi:[0,1]
	v_pk_fma_f32 v[48:49], v[48:49], v[92:93], v[50:51] op_sel_hi:[1,1,0]
	s_delay_alu instid0(VALU_DEP_1) | instskip(SKIP_4) | instid1(VALU_DEP_1)
	v_mov_b32_e32 v53, v49
	ds_load_2addr_b64 v[48:51], v182 offset0:48 offset1:49
	v_pk_add_f32 v[194:195], v[194:195], v[52:53] neg_lo:[0,1] neg_hi:[0,1]
	s_wait_dscnt 0x0
	v_pk_mul_f32 v[52:53], v[48:49], v[42:43] op_sel:[0,1]
	v_pk_fma_f32 v[66:67], v[48:49], v[32:33], v[52:53] op_sel:[0,0,1] op_sel_hi:[1,1,0] neg_lo:[0,0,1] neg_hi:[0,0,1]
	v_pk_fma_f32 v[48:49], v[48:49], v[32:33], v[52:53] op_sel:[0,0,1] op_sel_hi:[1,0,0]
	s_delay_alu instid0(VALU_DEP_1) | instskip(SKIP_1) | instid1(VALU_DEP_1)
	v_mov_b32_e32 v67, v49
	v_pk_mul_f32 v[48:49], v[50:51], v[42:43] op_sel:[0,1]
	v_pk_fma_f32 v[52:53], v[50:51], v[32:33], v[48:49] op_sel:[0,0,1] op_sel_hi:[1,1,0] neg_lo:[0,0,1] neg_hi:[0,0,1]
	v_pk_fma_f32 v[48:49], v[50:51], v[32:33], v[48:49] op_sel:[0,0,1] op_sel_hi:[1,0,0]
	s_delay_alu instid0(VALU_DEP_1)
	v_mov_b32_e32 v53, v49
	ds_load_2addr_b64 v[48:51], v182 offset0:50 offset1:51
	v_pk_add_f32 v[224:225], v[224:225], v[66:67] neg_lo:[0,1] neg_hi:[0,1]
	v_pk_add_f32 v[216:217], v[216:217], v[52:53] neg_lo:[0,1] neg_hi:[0,1]
	s_wait_dscnt 0x0
	v_pk_mul_f32 v[52:53], v[48:49], v[42:43] op_sel:[0,1]
	s_delay_alu instid0(VALU_DEP_1) | instskip(SKIP_1) | instid1(VALU_DEP_1)
	v_pk_fma_f32 v[66:67], v[48:49], v[32:33], v[52:53] op_sel:[0,0,1] op_sel_hi:[1,1,0] neg_lo:[0,0,1] neg_hi:[0,0,1]
	v_pk_fma_f32 v[48:49], v[48:49], v[32:33], v[52:53] op_sel:[0,0,1] op_sel_hi:[1,0,0]
	v_mov_b32_e32 v67, v49
	v_pk_mul_f32 v[48:49], v[50:51], v[42:43] op_sel:[0,1]
	s_delay_alu instid0(VALU_DEP_1) | instskip(SKIP_1) | instid1(VALU_DEP_1)
	v_pk_fma_f32 v[52:53], v[50:51], v[32:33], v[48:49] op_sel:[0,0,1] op_sel_hi:[1,1,0] neg_lo:[0,0,1] neg_hi:[0,0,1]
	v_pk_fma_f32 v[48:49], v[50:51], v[32:33], v[48:49] op_sel:[0,0,1] op_sel_hi:[1,0,0]
	v_mov_b32_e32 v53, v49
	ds_load_2addr_b64 v[48:51], v182 offset0:52 offset1:53
	v_pk_add_f32 v[222:223], v[222:223], v[66:67] neg_lo:[0,1] neg_hi:[0,1]
	v_pk_add_f32 v[214:215], v[214:215], v[52:53] neg_lo:[0,1] neg_hi:[0,1]
	s_wait_dscnt 0x0
	v_dual_mul_f32 v52, v49, v43 :: v_dual_mul_f32 v66, v49, v32
	s_delay_alu instid0(VALU_DEP_1) | instskip(NEXT) | instid1(VALU_DEP_2)
	v_pk_fma_f32 v[52:53], v[48:49], v[92:93], v[52:53] op_sel_hi:[1,1,0] neg_lo:[0,0,1] neg_hi:[0,0,1]
	v_pk_fma_f32 v[48:49], v[48:49], v[92:93], v[66:67] op_sel:[1,0,0] op_sel_hi:[0,1,0]
	s_delay_alu instid0(VALU_DEP_1) | instskip(SKIP_1) | instid1(VALU_DEP_2)
	v_mov_b32_e32 v53, v49
	v_pk_mul_f32 v[48:49], v[50:51], v[42:43] op_sel:[0,1]
	v_pk_add_f32 v[220:221], v[220:221], v[52:53] neg_lo:[0,1] neg_hi:[0,1]
	s_delay_alu instid0(VALU_DEP_2) | instskip(SKIP_1) | instid1(VALU_DEP_1)
	v_pk_fma_f32 v[52:53], v[50:51], v[32:33], v[48:49] op_sel:[0,0,1] op_sel_hi:[1,1,0] neg_lo:[0,0,1] neg_hi:[0,0,1]
	v_pk_fma_f32 v[48:49], v[50:51], v[32:33], v[48:49] op_sel:[0,0,1] op_sel_hi:[1,0,0]
	v_mov_b32_e32 v53, v49
	ds_load_2addr_b64 v[48:51], v182 offset0:54 offset1:55
	v_pk_add_f32 v[212:213], v[212:213], v[52:53] neg_lo:[0,1] neg_hi:[0,1]
	s_wait_dscnt 0x0
	v_pk_mul_f32 v[52:53], v[48:49], v[42:43] op_sel:[0,1]
	s_delay_alu instid0(VALU_DEP_1) | instskip(SKIP_1) | instid1(VALU_DEP_1)
	v_pk_fma_f32 v[66:67], v[48:49], v[32:33], v[52:53] op_sel:[0,0,1] op_sel_hi:[1,1,0] neg_lo:[0,0,1] neg_hi:[0,0,1]
	v_pk_fma_f32 v[48:49], v[48:49], v[32:33], v[52:53] op_sel:[0,0,1] op_sel_hi:[1,0,0]
	v_mov_b32_e32 v67, v49
	v_pk_mul_f32 v[48:49], v[50:51], v[42:43] op_sel:[0,1]
	s_delay_alu instid0(VALU_DEP_2) | instskip(NEXT) | instid1(VALU_DEP_2)
	v_pk_add_f32 v[218:219], v[218:219], v[66:67] neg_lo:[0,1] neg_hi:[0,1]
	v_pk_fma_f32 v[52:53], v[50:51], v[32:33], v[48:49] op_sel:[0,0,1] op_sel_hi:[1,1,0] neg_lo:[0,0,1] neg_hi:[0,0,1]
	v_pk_fma_f32 v[48:49], v[50:51], v[32:33], v[48:49] op_sel:[0,0,1] op_sel_hi:[1,0,0]
	s_delay_alu instid0(VALU_DEP_1) | instskip(SKIP_4) | instid1(VALU_DEP_1)
	v_mov_b32_e32 v53, v49
	ds_load_b64 v[48:49], v182 offset:448
	v_pk_add_f32 v[226:227], v[226:227], v[52:53] neg_lo:[0,1] neg_hi:[0,1]
	s_wait_dscnt 0x0
	v_pk_mul_f32 v[42:43], v[48:49], v[42:43] op_sel:[0,1]
	v_pk_fma_f32 v[50:51], v[48:49], v[32:33], v[42:43] op_sel:[0,0,1] op_sel_hi:[1,1,0] neg_lo:[0,0,1] neg_hi:[0,0,1]
	v_pk_fma_f32 v[32:33], v[48:49], v[32:33], v[42:43] op_sel:[0,0,1] op_sel_hi:[1,0,0]
	s_delay_alu instid0(VALU_DEP_1) | instskip(NEXT) | instid1(VALU_DEP_1)
	v_mov_b32_e32 v51, v33
	v_pk_add_f32 v[228:229], v[228:229], v[50:51] neg_lo:[0,1] neg_hi:[0,1]
.LBB113_217:
	s_or_b32 exec_lo, exec_lo, s1
	s_delay_alu instid0(SALU_CYCLE_1)
	s_mov_b32 s2, exec_lo
	s_wait_dscnt 0x0
	s_barrier_signal -1
	s_barrier_wait -1
	v_cmpx_eq_u32_e32 24, v180
	s_cbranch_execz .LBB113_224
; %bb.218:
	ds_store_b64 v181, v[114:115]
	ds_store_2addr_b64 v182, v[110:111], v[112:113] offset0:25 offset1:26
	ds_store_2addr_b64 v182, v[108:109], v[130:131] offset0:27 offset1:28
	;; [unrolled: 1-line block ×16, first 2 shown]
	ds_load_b64 v[32:33], v181
	s_wait_dscnt 0x0
	v_cmp_neq_f32_e32 vcc_lo, 0, v32
	v_cmp_neq_f32_e64 s1, 0, v33
	s_or_b32 s1, vcc_lo, s1
	s_delay_alu instid0(SALU_CYCLE_1)
	s_and_b32 exec_lo, exec_lo, s1
	s_cbranch_execz .LBB113_224
; %bb.219:
	v_cmp_ngt_f32_e64 s1, |v32|, |v33|
                                        ; implicit-def: $vgpr42_vgpr43
	s_and_saveexec_b32 s4, s1
	s_delay_alu instid0(SALU_CYCLE_1)
	s_xor_b32 s1, exec_lo, s4
	s_cbranch_execz .LBB113_221
; %bb.220:
	v_div_scale_f32 v42, null, v33, v33, v32
	v_div_scale_f32 v49, vcc_lo, v32, v33, v32
	s_delay_alu instid0(VALU_DEP_2) | instskip(SKIP_1) | instid1(TRANS32_DEP_1)
	v_rcp_f32_e32 v43, v42
	v_nop
	v_fma_f32 v48, -v42, v43, 1.0
	s_delay_alu instid0(VALU_DEP_1) | instskip(NEXT) | instid1(VALU_DEP_1)
	v_fmac_f32_e32 v43, v48, v43
	v_mul_f32_e32 v48, v49, v43
	s_delay_alu instid0(VALU_DEP_1) | instskip(NEXT) | instid1(VALU_DEP_1)
	v_fma_f32 v50, -v42, v48, v49
	v_fmac_f32_e32 v48, v50, v43
	s_delay_alu instid0(VALU_DEP_1) | instskip(NEXT) | instid1(VALU_DEP_1)
	v_fma_f32 v42, -v42, v48, v49
	v_div_fmas_f32 v42, v42, v43, v48
	s_delay_alu instid0(VALU_DEP_1) | instskip(NEXT) | instid1(VALU_DEP_1)
	v_div_fixup_f32 v42, v42, v33, v32
	v_fmac_f32_e32 v33, v32, v42
	s_delay_alu instid0(VALU_DEP_1) | instskip(SKIP_1) | instid1(VALU_DEP_2)
	v_div_scale_f32 v32, null, v33, v33, 1.0
	v_div_scale_f32 v49, vcc_lo, 1.0, v33, 1.0
	v_rcp_f32_e32 v43, v32
	v_nop
	s_delay_alu instid0(TRANS32_DEP_1) | instskip(NEXT) | instid1(VALU_DEP_1)
	v_fma_f32 v48, -v32, v43, 1.0
	v_fmac_f32_e32 v43, v48, v43
	s_delay_alu instid0(VALU_DEP_1) | instskip(NEXT) | instid1(VALU_DEP_1)
	v_mul_f32_e32 v48, v49, v43
	v_fma_f32 v50, -v32, v48, v49
	s_delay_alu instid0(VALU_DEP_1) | instskip(NEXT) | instid1(VALU_DEP_1)
	v_fmac_f32_e32 v48, v50, v43
	v_fma_f32 v32, -v32, v48, v49
	s_delay_alu instid0(VALU_DEP_1) | instskip(NEXT) | instid1(VALU_DEP_1)
	v_div_fmas_f32 v32, v32, v43, v48
	v_div_fixup_f32 v32, v32, v33, 1.0
	s_delay_alu instid0(VALU_DEP_1)
	v_mul_f32_e32 v42, v42, v32
	v_xor_b32_e32 v43, 0x80000000, v32
                                        ; implicit-def: $vgpr32_vgpr33
.LBB113_221:
	s_and_not1_saveexec_b32 s1, s1
	s_cbranch_execz .LBB113_223
; %bb.222:
	v_div_scale_f32 v42, null, v32, v32, v33
	v_div_scale_f32 v49, vcc_lo, v33, v32, v33
	s_delay_alu instid0(VALU_DEP_2) | instskip(SKIP_1) | instid1(TRANS32_DEP_1)
	v_rcp_f32_e32 v43, v42
	v_nop
	v_fma_f32 v48, -v42, v43, 1.0
	s_delay_alu instid0(VALU_DEP_1) | instskip(NEXT) | instid1(VALU_DEP_1)
	v_fmac_f32_e32 v43, v48, v43
	v_mul_f32_e32 v48, v49, v43
	s_delay_alu instid0(VALU_DEP_1) | instskip(NEXT) | instid1(VALU_DEP_1)
	v_fma_f32 v50, -v42, v48, v49
	v_fmac_f32_e32 v48, v50, v43
	s_delay_alu instid0(VALU_DEP_1) | instskip(NEXT) | instid1(VALU_DEP_1)
	v_fma_f32 v42, -v42, v48, v49
	v_div_fmas_f32 v42, v42, v43, v48
	s_delay_alu instid0(VALU_DEP_1) | instskip(NEXT) | instid1(VALU_DEP_1)
	v_div_fixup_f32 v43, v42, v32, v33
	v_fmac_f32_e32 v32, v33, v43
	s_delay_alu instid0(VALU_DEP_1) | instskip(NEXT) | instid1(VALU_DEP_1)
	v_div_scale_f32 v33, null, v32, v32, 1.0
	v_rcp_f32_e32 v42, v33
	v_nop
	s_delay_alu instid0(TRANS32_DEP_1) | instskip(NEXT) | instid1(VALU_DEP_1)
	v_fma_f32 v48, -v33, v42, 1.0
	v_fmac_f32_e32 v42, v48, v42
	v_div_scale_f32 v48, vcc_lo, 1.0, v32, 1.0
	s_delay_alu instid0(VALU_DEP_1) | instskip(NEXT) | instid1(VALU_DEP_1)
	v_mul_f32_e32 v49, v48, v42
	v_fma_f32 v50, -v33, v49, v48
	s_delay_alu instid0(VALU_DEP_1) | instskip(NEXT) | instid1(VALU_DEP_1)
	v_fmac_f32_e32 v49, v50, v42
	v_fma_f32 v33, -v33, v49, v48
	s_delay_alu instid0(VALU_DEP_1) | instskip(NEXT) | instid1(VALU_DEP_1)
	v_div_fmas_f32 v33, v33, v42, v49
	v_div_fixup_f32 v42, v33, v32, 1.0
	s_delay_alu instid0(VALU_DEP_1)
	v_mul_f32_e64 v43, v43, -v42
.LBB113_223:
	s_or_b32 exec_lo, exec_lo, s1
	ds_store_b64 v181, v[42:43]
.LBB113_224:
	s_or_b32 exec_lo, exec_lo, s2
	s_wait_dscnt 0x0
	s_barrier_signal -1
	s_barrier_wait -1
	ds_load_b64 v[32:33], v181
	s_mov_b32 s1, exec_lo
	v_cmpx_lt_u32_e32 24, v180
	s_cbranch_execz .LBB113_226
; %bb.225:
	ds_load_2addr_b64 v[50:53], v182 offset0:25 offset1:26
	s_wait_dscnt 0x1
	v_pk_mul_f32 v[48:49], v[32:33], v[114:115] op_sel:[1,1] op_sel_hi:[0,1]
	s_delay_alu instid0(VALU_DEP_1) | instskip(SKIP_1) | instid1(VALU_DEP_1)
	v_pk_fma_f32 v[42:43], v[32:33], v[114:115], v[48:49] op_sel_hi:[1,0,1] neg_lo:[0,0,1] neg_hi:[0,0,1]
	v_pk_fma_f32 v[48:49], v[32:33], v[114:115], v[48:49] op_sel_hi:[1,0,1]
	v_dual_mov_b32 v114, v42 :: v_dual_mov_b32 v115, v49
	s_wait_dscnt 0x0
	s_delay_alu instid0(VALU_DEP_2) | instskip(NEXT) | instid1(VALU_DEP_1)
	v_pk_mul_f32 v[66:67], v[50:51], v[48:49] op_sel:[0,1]
	v_pk_fma_f32 v[68:69], v[50:51], v[42:43], v[66:67] op_sel:[0,0,1] op_sel_hi:[1,1,0] neg_lo:[0,0,1] neg_hi:[0,0,1]
	v_pk_fma_f32 v[50:51], v[50:51], v[42:43], v[66:67] op_sel:[0,0,1] op_sel_hi:[1,0,0]
	s_delay_alu instid0(VALU_DEP_1) | instskip(SKIP_1) | instid1(VALU_DEP_1)
	v_mov_b32_e32 v69, v51
	v_pk_mul_f32 v[50:51], v[52:53], v[48:49] op_sel:[0,1]
	v_pk_fma_f32 v[66:67], v[52:53], v[42:43], v[50:51] op_sel:[0,0,1] op_sel_hi:[1,1,0] neg_lo:[0,0,1] neg_hi:[0,0,1]
	v_pk_fma_f32 v[50:51], v[52:53], v[42:43], v[50:51] op_sel:[0,0,1] op_sel_hi:[1,0,0]
	s_delay_alu instid0(VALU_DEP_1)
	v_mov_b32_e32 v67, v51
	ds_load_2addr_b64 v[50:53], v182 offset0:27 offset1:28
	v_pk_add_f32 v[110:111], v[110:111], v[68:69] neg_lo:[0,1] neg_hi:[0,1]
	v_pk_add_f32 v[112:113], v[112:113], v[66:67] neg_lo:[0,1] neg_hi:[0,1]
	s_wait_dscnt 0x0
	v_pk_mul_f32 v[66:67], v[50:51], v[48:49] op_sel:[0,1]
	s_delay_alu instid0(VALU_DEP_1) | instskip(SKIP_2) | instid1(VALU_DEP_2)
	v_pk_fma_f32 v[68:69], v[50:51], v[42:43], v[66:67] op_sel:[0,0,1] op_sel_hi:[1,1,0] neg_lo:[0,0,1] neg_hi:[0,0,1]
	v_pk_fma_f32 v[50:51], v[50:51], v[42:43], v[66:67] op_sel:[0,0,1] op_sel_hi:[1,0,0]
	v_dual_mul_f32 v66, v53, v49 :: v_dual_mov_b32 v50, v53
	v_dual_mov_b32 v69, v51 :: v_dual_mov_b32 v51, v52
	s_delay_alu instid0(VALU_DEP_2) | instskip(SKIP_1) | instid1(VALU_DEP_3)
	v_pk_fma_f32 v[66:67], v[52:53], v[114:115], v[66:67] op_sel_hi:[1,1,0] neg_lo:[0,0,1] neg_hi:[0,0,1]
	v_mul_f32_e32 v52, v53, v42
	v_pk_add_f32 v[108:109], v[108:109], v[68:69] neg_lo:[0,1] neg_hi:[0,1]
	s_delay_alu instid0(VALU_DEP_2) | instskip(NEXT) | instid1(VALU_DEP_1)
	v_pk_fma_f32 v[50:51], v[50:51], v[114:115], v[52:53] op_sel_hi:[1,1,0]
	v_mov_b32_e32 v67, v51
	ds_load_2addr_b64 v[50:53], v182 offset0:29 offset1:30
	v_pk_add_f32 v[130:131], v[130:131], v[66:67] neg_lo:[0,1] neg_hi:[0,1]
	s_wait_dscnt 0x0
	v_pk_mul_f32 v[66:67], v[50:51], v[48:49] op_sel:[0,1]
	s_delay_alu instid0(VALU_DEP_1) | instskip(SKIP_1) | instid1(VALU_DEP_1)
	v_pk_fma_f32 v[68:69], v[50:51], v[42:43], v[66:67] op_sel:[0,0,1] op_sel_hi:[1,1,0] neg_lo:[0,0,1] neg_hi:[0,0,1]
	v_pk_fma_f32 v[50:51], v[50:51], v[42:43], v[66:67] op_sel:[0,0,1] op_sel_hi:[1,0,0]
	v_mov_b32_e32 v69, v51
	v_pk_mul_f32 v[50:51], v[52:53], v[48:49] op_sel:[0,1]
	s_delay_alu instid0(VALU_DEP_1) | instskip(SKIP_1) | instid1(VALU_DEP_1)
	v_pk_fma_f32 v[66:67], v[52:53], v[42:43], v[50:51] op_sel:[0,0,1] op_sel_hi:[1,1,0] neg_lo:[0,0,1] neg_hi:[0,0,1]
	v_pk_fma_f32 v[50:51], v[52:53], v[42:43], v[50:51] op_sel:[0,0,1] op_sel_hi:[1,0,0]
	v_mov_b32_e32 v67, v51
	ds_load_2addr_b64 v[50:53], v182 offset0:31 offset1:32
	v_pk_add_f32 v[126:127], v[126:127], v[68:69] neg_lo:[0,1] neg_hi:[0,1]
	v_pk_add_f32 v[128:129], v[128:129], v[66:67] neg_lo:[0,1] neg_hi:[0,1]
	s_wait_dscnt 0x0
	v_pk_mul_f32 v[66:67], v[50:51], v[48:49] op_sel:[0,1]
	s_delay_alu instid0(VALU_DEP_1) | instskip(SKIP_1) | instid1(VALU_DEP_1)
	v_pk_fma_f32 v[68:69], v[50:51], v[42:43], v[66:67] op_sel:[0,0,1] op_sel_hi:[1,1,0] neg_lo:[0,0,1] neg_hi:[0,0,1]
	v_pk_fma_f32 v[50:51], v[50:51], v[42:43], v[66:67] op_sel:[0,0,1] op_sel_hi:[1,0,0]
	v_mov_b32_e32 v69, v51
	v_pk_mul_f32 v[50:51], v[52:53], v[48:49] op_sel:[0,1]
	s_delay_alu instid0(VALU_DEP_1) | instskip(SKIP_1) | instid1(VALU_DEP_1)
	v_pk_fma_f32 v[66:67], v[52:53], v[42:43], v[50:51] op_sel:[0,0,1] op_sel_hi:[1,1,0] neg_lo:[0,0,1] neg_hi:[0,0,1]
	v_pk_fma_f32 v[50:51], v[52:53], v[42:43], v[50:51] op_sel:[0,0,1] op_sel_hi:[1,0,0]
	v_mov_b32_e32 v67, v51
	ds_load_2addr_b64 v[50:53], v182 offset0:33 offset1:34
	v_pk_add_f32 v[124:125], v[124:125], v[68:69] neg_lo:[0,1] neg_hi:[0,1]
	v_pk_add_f32 v[146:147], v[146:147], v[66:67] neg_lo:[0,1] neg_hi:[0,1]
	s_wait_dscnt 0x0
	v_dual_mul_f32 v66, v51, v49 :: v_dual_mul_f32 v68, v51, v42
	s_delay_alu instid0(VALU_DEP_1) | instskip(NEXT) | instid1(VALU_DEP_2)
	v_pk_fma_f32 v[66:67], v[50:51], v[114:115], v[66:67] op_sel_hi:[1,1,0] neg_lo:[0,0,1] neg_hi:[0,0,1]
	v_pk_fma_f32 v[50:51], v[50:51], v[114:115], v[68:69] op_sel:[1,0,0] op_sel_hi:[0,1,0]
	s_delay_alu instid0(VALU_DEP_1) | instskip(SKIP_1) | instid1(VALU_DEP_2)
	v_mov_b32_e32 v67, v51
	v_pk_mul_f32 v[50:51], v[52:53], v[48:49] op_sel:[0,1]
	v_pk_add_f32 v[142:143], v[142:143], v[66:67] neg_lo:[0,1] neg_hi:[0,1]
	s_delay_alu instid0(VALU_DEP_2) | instskip(SKIP_1) | instid1(VALU_DEP_1)
	v_pk_fma_f32 v[66:67], v[52:53], v[42:43], v[50:51] op_sel:[0,0,1] op_sel_hi:[1,1,0] neg_lo:[0,0,1] neg_hi:[0,0,1]
	v_pk_fma_f32 v[50:51], v[52:53], v[42:43], v[50:51] op_sel:[0,0,1] op_sel_hi:[1,0,0]
	v_mov_b32_e32 v67, v51
	ds_load_2addr_b64 v[50:53], v182 offset0:35 offset1:36
	v_pk_add_f32 v[144:145], v[144:145], v[66:67] neg_lo:[0,1] neg_hi:[0,1]
	s_wait_dscnt 0x0
	v_pk_mul_f32 v[66:67], v[50:51], v[48:49] op_sel:[0,1]
	s_delay_alu instid0(VALU_DEP_1) | instskip(SKIP_1) | instid1(VALU_DEP_1)
	v_pk_fma_f32 v[68:69], v[50:51], v[42:43], v[66:67] op_sel:[0,0,1] op_sel_hi:[1,1,0] neg_lo:[0,0,1] neg_hi:[0,0,1]
	v_pk_fma_f32 v[50:51], v[50:51], v[42:43], v[66:67] op_sel:[0,0,1] op_sel_hi:[1,0,0]
	v_mov_b32_e32 v69, v51
	v_pk_mul_f32 v[50:51], v[52:53], v[48:49] op_sel:[0,1]
	s_delay_alu instid0(VALU_DEP_2) | instskip(NEXT) | instid1(VALU_DEP_2)
	v_pk_add_f32 v[140:141], v[140:141], v[68:69] neg_lo:[0,1] neg_hi:[0,1]
	v_pk_fma_f32 v[66:67], v[52:53], v[42:43], v[50:51] op_sel:[0,0,1] op_sel_hi:[1,1,0] neg_lo:[0,0,1] neg_hi:[0,0,1]
	v_pk_fma_f32 v[50:51], v[52:53], v[42:43], v[50:51] op_sel:[0,0,1] op_sel_hi:[1,0,0]
	s_delay_alu instid0(VALU_DEP_1) | instskip(SKIP_4) | instid1(VALU_DEP_1)
	v_mov_b32_e32 v67, v51
	ds_load_2addr_b64 v[50:53], v182 offset0:37 offset1:38
	v_pk_add_f32 v[162:163], v[162:163], v[66:67] neg_lo:[0,1] neg_hi:[0,1]
	s_wait_dscnt 0x0
	v_pk_mul_f32 v[66:67], v[50:51], v[48:49] op_sel:[0,1]
	v_pk_fma_f32 v[68:69], v[50:51], v[42:43], v[66:67] op_sel:[0,0,1] op_sel_hi:[1,1,0] neg_lo:[0,0,1] neg_hi:[0,0,1]
	v_pk_fma_f32 v[50:51], v[50:51], v[42:43], v[66:67] op_sel:[0,0,1] op_sel_hi:[1,0,0]
	v_dual_mul_f32 v66, v53, v49 :: v_dual_mov_b32 v50, v53
	s_delay_alu instid0(VALU_DEP_2) | instskip(NEXT) | instid1(VALU_DEP_2)
	v_dual_mov_b32 v69, v51 :: v_dual_mov_b32 v51, v52
	v_pk_fma_f32 v[66:67], v[52:53], v[114:115], v[66:67] op_sel_hi:[1,1,0] neg_lo:[0,0,1] neg_hi:[0,0,1]
	v_mul_f32_e32 v52, v53, v42
	s_delay_alu instid0(VALU_DEP_3) | instskip(NEXT) | instid1(VALU_DEP_2)
	v_pk_add_f32 v[158:159], v[158:159], v[68:69] neg_lo:[0,1] neg_hi:[0,1]
	v_pk_fma_f32 v[50:51], v[50:51], v[114:115], v[52:53] op_sel_hi:[1,1,0]
	s_delay_alu instid0(VALU_DEP_1) | instskip(SKIP_4) | instid1(VALU_DEP_1)
	v_mov_b32_e32 v67, v51
	ds_load_2addr_b64 v[50:53], v182 offset0:39 offset1:40
	v_pk_add_f32 v[160:161], v[160:161], v[66:67] neg_lo:[0,1] neg_hi:[0,1]
	s_wait_dscnt 0x0
	v_pk_mul_f32 v[66:67], v[50:51], v[48:49] op_sel:[0,1]
	v_pk_fma_f32 v[68:69], v[50:51], v[42:43], v[66:67] op_sel:[0,0,1] op_sel_hi:[1,1,0] neg_lo:[0,0,1] neg_hi:[0,0,1]
	v_pk_fma_f32 v[50:51], v[50:51], v[42:43], v[66:67] op_sel:[0,0,1] op_sel_hi:[1,0,0]
	s_delay_alu instid0(VALU_DEP_1) | instskip(SKIP_1) | instid1(VALU_DEP_1)
	v_mov_b32_e32 v69, v51
	v_pk_mul_f32 v[50:51], v[52:53], v[48:49] op_sel:[0,1]
	v_pk_fma_f32 v[66:67], v[52:53], v[42:43], v[50:51] op_sel:[0,0,1] op_sel_hi:[1,1,0] neg_lo:[0,0,1] neg_hi:[0,0,1]
	v_pk_fma_f32 v[50:51], v[52:53], v[42:43], v[50:51] op_sel:[0,0,1] op_sel_hi:[1,0,0]
	s_delay_alu instid0(VALU_DEP_1)
	v_mov_b32_e32 v67, v51
	ds_load_2addr_b64 v[50:53], v182 offset0:41 offset1:42
	v_pk_add_f32 v[156:157], v[156:157], v[68:69] neg_lo:[0,1] neg_hi:[0,1]
	v_pk_add_f32 v[178:179], v[178:179], v[66:67] neg_lo:[0,1] neg_hi:[0,1]
	s_wait_dscnt 0x0
	v_pk_mul_f32 v[66:67], v[50:51], v[48:49] op_sel:[0,1]
	s_delay_alu instid0(VALU_DEP_1) | instskip(SKIP_1) | instid1(VALU_DEP_1)
	v_pk_fma_f32 v[68:69], v[50:51], v[42:43], v[66:67] op_sel:[0,0,1] op_sel_hi:[1,1,0] neg_lo:[0,0,1] neg_hi:[0,0,1]
	v_pk_fma_f32 v[50:51], v[50:51], v[42:43], v[66:67] op_sel:[0,0,1] op_sel_hi:[1,0,0]
	v_mov_b32_e32 v69, v51
	v_pk_mul_f32 v[50:51], v[52:53], v[48:49] op_sel:[0,1]
	s_delay_alu instid0(VALU_DEP_1) | instskip(SKIP_1) | instid1(VALU_DEP_1)
	v_pk_fma_f32 v[66:67], v[52:53], v[42:43], v[50:51] op_sel:[0,0,1] op_sel_hi:[1,1,0] neg_lo:[0,0,1] neg_hi:[0,0,1]
	v_pk_fma_f32 v[50:51], v[52:53], v[42:43], v[50:51] op_sel:[0,0,1] op_sel_hi:[1,0,0]
	v_mov_b32_e32 v67, v51
	ds_load_2addr_b64 v[50:53], v182 offset0:43 offset1:44
	v_pk_add_f32 v[174:175], v[174:175], v[68:69] neg_lo:[0,1] neg_hi:[0,1]
	v_pk_add_f32 v[176:177], v[176:177], v[66:67] neg_lo:[0,1] neg_hi:[0,1]
	s_wait_dscnt 0x0
	v_dual_mul_f32 v66, v51, v49 :: v_dual_mul_f32 v68, v51, v42
	s_delay_alu instid0(VALU_DEP_1) | instskip(NEXT) | instid1(VALU_DEP_2)
	v_pk_fma_f32 v[66:67], v[50:51], v[114:115], v[66:67] op_sel_hi:[1,1,0] neg_lo:[0,0,1] neg_hi:[0,0,1]
	v_pk_fma_f32 v[50:51], v[50:51], v[114:115], v[68:69] op_sel:[1,0,0] op_sel_hi:[0,1,0]
	s_delay_alu instid0(VALU_DEP_1) | instskip(SKIP_1) | instid1(VALU_DEP_2)
	v_mov_b32_e32 v67, v51
	v_pk_mul_f32 v[50:51], v[52:53], v[48:49] op_sel:[0,1]
	v_pk_add_f32 v[172:173], v[172:173], v[66:67] neg_lo:[0,1] neg_hi:[0,1]
	s_delay_alu instid0(VALU_DEP_2) | instskip(SKIP_1) | instid1(VALU_DEP_1)
	v_pk_fma_f32 v[66:67], v[52:53], v[42:43], v[50:51] op_sel:[0,0,1] op_sel_hi:[1,1,0] neg_lo:[0,0,1] neg_hi:[0,0,1]
	v_pk_fma_f32 v[50:51], v[52:53], v[42:43], v[50:51] op_sel:[0,0,1] op_sel_hi:[1,0,0]
	v_mov_b32_e32 v67, v51
	ds_load_2addr_b64 v[50:53], v182 offset0:45 offset1:46
	v_pk_add_f32 v[200:201], v[200:201], v[66:67] neg_lo:[0,1] neg_hi:[0,1]
	s_wait_dscnt 0x0
	v_pk_mul_f32 v[66:67], v[50:51], v[48:49] op_sel:[0,1]
	s_delay_alu instid0(VALU_DEP_1) | instskip(SKIP_1) | instid1(VALU_DEP_1)
	v_pk_fma_f32 v[68:69], v[50:51], v[42:43], v[66:67] op_sel:[0,0,1] op_sel_hi:[1,1,0] neg_lo:[0,0,1] neg_hi:[0,0,1]
	v_pk_fma_f32 v[50:51], v[50:51], v[42:43], v[66:67] op_sel:[0,0,1] op_sel_hi:[1,0,0]
	v_mov_b32_e32 v69, v51
	v_pk_mul_f32 v[50:51], v[52:53], v[48:49] op_sel:[0,1]
	s_delay_alu instid0(VALU_DEP_2) | instskip(NEXT) | instid1(VALU_DEP_2)
	v_pk_add_f32 v[196:197], v[196:197], v[68:69] neg_lo:[0,1] neg_hi:[0,1]
	v_pk_fma_f32 v[66:67], v[52:53], v[42:43], v[50:51] op_sel:[0,0,1] op_sel_hi:[1,1,0] neg_lo:[0,0,1] neg_hi:[0,0,1]
	v_pk_fma_f32 v[50:51], v[52:53], v[42:43], v[50:51] op_sel:[0,0,1] op_sel_hi:[1,0,0]
	s_delay_alu instid0(VALU_DEP_1) | instskip(SKIP_4) | instid1(VALU_DEP_1)
	v_mov_b32_e32 v67, v51
	ds_load_2addr_b64 v[50:53], v182 offset0:47 offset1:48
	v_pk_add_f32 v[198:199], v[198:199], v[66:67] neg_lo:[0,1] neg_hi:[0,1]
	s_wait_dscnt 0x0
	v_pk_mul_f32 v[66:67], v[50:51], v[48:49] op_sel:[0,1]
	v_pk_fma_f32 v[68:69], v[50:51], v[42:43], v[66:67] op_sel:[0,0,1] op_sel_hi:[1,1,0] neg_lo:[0,0,1] neg_hi:[0,0,1]
	v_pk_fma_f32 v[50:51], v[50:51], v[42:43], v[66:67] op_sel:[0,0,1] op_sel_hi:[1,0,0]
	v_dual_mul_f32 v66, v53, v49 :: v_dual_mov_b32 v50, v53
	s_delay_alu instid0(VALU_DEP_2) | instskip(NEXT) | instid1(VALU_DEP_2)
	v_dual_mov_b32 v69, v51 :: v_dual_mov_b32 v51, v52
	v_pk_fma_f32 v[66:67], v[52:53], v[114:115], v[66:67] op_sel_hi:[1,1,0] neg_lo:[0,0,1] neg_hi:[0,0,1]
	v_mul_f32_e32 v52, v53, v42
	s_delay_alu instid0(VALU_DEP_3) | instskip(NEXT) | instid1(VALU_DEP_2)
	v_pk_add_f32 v[194:195], v[194:195], v[68:69] neg_lo:[0,1] neg_hi:[0,1]
	v_pk_fma_f32 v[50:51], v[50:51], v[114:115], v[52:53] op_sel_hi:[1,1,0]
	s_delay_alu instid0(VALU_DEP_1) | instskip(SKIP_4) | instid1(VALU_DEP_1)
	v_mov_b32_e32 v67, v51
	ds_load_2addr_b64 v[50:53], v182 offset0:49 offset1:50
	v_pk_add_f32 v[224:225], v[224:225], v[66:67] neg_lo:[0,1] neg_hi:[0,1]
	s_wait_dscnt 0x0
	v_pk_mul_f32 v[66:67], v[50:51], v[48:49] op_sel:[0,1]
	v_pk_fma_f32 v[68:69], v[50:51], v[42:43], v[66:67] op_sel:[0,0,1] op_sel_hi:[1,1,0] neg_lo:[0,0,1] neg_hi:[0,0,1]
	v_pk_fma_f32 v[50:51], v[50:51], v[42:43], v[66:67] op_sel:[0,0,1] op_sel_hi:[1,0,0]
	s_delay_alu instid0(VALU_DEP_1) | instskip(SKIP_1) | instid1(VALU_DEP_1)
	v_mov_b32_e32 v69, v51
	v_pk_mul_f32 v[50:51], v[52:53], v[48:49] op_sel:[0,1]
	v_pk_fma_f32 v[66:67], v[52:53], v[42:43], v[50:51] op_sel:[0,0,1] op_sel_hi:[1,1,0] neg_lo:[0,0,1] neg_hi:[0,0,1]
	v_pk_fma_f32 v[50:51], v[52:53], v[42:43], v[50:51] op_sel:[0,0,1] op_sel_hi:[1,0,0]
	s_delay_alu instid0(VALU_DEP_1)
	v_mov_b32_e32 v67, v51
	ds_load_2addr_b64 v[50:53], v182 offset0:51 offset1:52
	v_pk_add_f32 v[216:217], v[216:217], v[68:69] neg_lo:[0,1] neg_hi:[0,1]
	v_pk_add_f32 v[222:223], v[222:223], v[66:67] neg_lo:[0,1] neg_hi:[0,1]
	s_wait_dscnt 0x0
	v_pk_mul_f32 v[66:67], v[50:51], v[48:49] op_sel:[0,1]
	s_delay_alu instid0(VALU_DEP_1) | instskip(SKIP_1) | instid1(VALU_DEP_1)
	v_pk_fma_f32 v[68:69], v[50:51], v[42:43], v[66:67] op_sel:[0,0,1] op_sel_hi:[1,1,0] neg_lo:[0,0,1] neg_hi:[0,0,1]
	v_pk_fma_f32 v[50:51], v[50:51], v[42:43], v[66:67] op_sel:[0,0,1] op_sel_hi:[1,0,0]
	v_mov_b32_e32 v69, v51
	v_pk_mul_f32 v[50:51], v[52:53], v[48:49] op_sel:[0,1]
	s_delay_alu instid0(VALU_DEP_1) | instskip(SKIP_1) | instid1(VALU_DEP_1)
	v_pk_fma_f32 v[66:67], v[52:53], v[42:43], v[50:51] op_sel:[0,0,1] op_sel_hi:[1,1,0] neg_lo:[0,0,1] neg_hi:[0,0,1]
	v_pk_fma_f32 v[50:51], v[52:53], v[42:43], v[50:51] op_sel:[0,0,1] op_sel_hi:[1,0,0]
	v_mov_b32_e32 v67, v51
	ds_load_2addr_b64 v[50:53], v182 offset0:53 offset1:54
	v_pk_add_f32 v[214:215], v[214:215], v[68:69] neg_lo:[0,1] neg_hi:[0,1]
	v_pk_add_f32 v[220:221], v[220:221], v[66:67] neg_lo:[0,1] neg_hi:[0,1]
	s_wait_dscnt 0x0
	v_dual_mul_f32 v66, v51, v49 :: v_dual_mul_f32 v68, v51, v42
	s_delay_alu instid0(VALU_DEP_1) | instskip(NEXT) | instid1(VALU_DEP_2)
	v_pk_fma_f32 v[66:67], v[50:51], v[114:115], v[66:67] op_sel_hi:[1,1,0] neg_lo:[0,0,1] neg_hi:[0,0,1]
	v_pk_fma_f32 v[50:51], v[50:51], v[114:115], v[68:69] op_sel:[1,0,0] op_sel_hi:[0,1,0]
	s_delay_alu instid0(VALU_DEP_1) | instskip(SKIP_1) | instid1(VALU_DEP_2)
	v_mov_b32_e32 v67, v51
	v_pk_mul_f32 v[50:51], v[52:53], v[48:49] op_sel:[0,1]
	v_pk_add_f32 v[212:213], v[212:213], v[66:67] neg_lo:[0,1] neg_hi:[0,1]
	s_delay_alu instid0(VALU_DEP_2) | instskip(SKIP_1) | instid1(VALU_DEP_1)
	v_pk_fma_f32 v[66:67], v[52:53], v[42:43], v[50:51] op_sel:[0,0,1] op_sel_hi:[1,1,0] neg_lo:[0,0,1] neg_hi:[0,0,1]
	v_pk_fma_f32 v[50:51], v[52:53], v[42:43], v[50:51] op_sel:[0,0,1] op_sel_hi:[1,0,0]
	v_mov_b32_e32 v67, v51
	ds_load_2addr_b64 v[50:53], v182 offset0:55 offset1:56
	v_pk_add_f32 v[218:219], v[218:219], v[66:67] neg_lo:[0,1] neg_hi:[0,1]
	s_wait_dscnt 0x0
	v_pk_mul_f32 v[66:67], v[50:51], v[48:49] op_sel:[0,1]
	v_pk_mul_f32 v[48:49], v[52:53], v[48:49] op_sel:[0,1]
	s_delay_alu instid0(VALU_DEP_2) | instskip(SKIP_1) | instid1(VALU_DEP_1)
	v_pk_fma_f32 v[68:69], v[50:51], v[42:43], v[66:67] op_sel:[0,0,1] op_sel_hi:[1,1,0] neg_lo:[0,0,1] neg_hi:[0,0,1]
	v_pk_fma_f32 v[50:51], v[50:51], v[42:43], v[66:67] op_sel:[0,0,1] op_sel_hi:[1,0,0]
	v_mov_b32_e32 v69, v51
	s_delay_alu instid0(VALU_DEP_4) | instskip(SKIP_1) | instid1(VALU_DEP_3)
	v_pk_fma_f32 v[50:51], v[52:53], v[42:43], v[48:49] op_sel:[0,0,1] op_sel_hi:[1,1,0] neg_lo:[0,0,1] neg_hi:[0,0,1]
	v_pk_fma_f32 v[42:43], v[52:53], v[42:43], v[48:49] op_sel:[0,0,1] op_sel_hi:[1,0,0]
	v_pk_add_f32 v[226:227], v[226:227], v[68:69] neg_lo:[0,1] neg_hi:[0,1]
	s_delay_alu instid0(VALU_DEP_2) | instskip(NEXT) | instid1(VALU_DEP_1)
	v_mov_b32_e32 v51, v43
	v_pk_add_f32 v[228:229], v[228:229], v[50:51] neg_lo:[0,1] neg_hi:[0,1]
.LBB113_226:
	s_or_b32 exec_lo, exec_lo, s1
	s_delay_alu instid0(SALU_CYCLE_1)
	s_mov_b32 s2, exec_lo
	s_wait_dscnt 0x0
	s_barrier_signal -1
	s_barrier_wait -1
	v_cmpx_eq_u32_e32 25, v180
	s_cbranch_execz .LBB113_233
; %bb.227:
	v_dual_mov_b32 v42, v112 :: v_dual_mov_b32 v43, v113
	v_dual_mov_b32 v48, v108 :: v_dual_mov_b32 v49, v109
	ds_store_b64 v181, v[110:111]
	ds_store_2addr_b64 v182, v[42:43], v[48:49] offset0:26 offset1:27
	v_dual_mov_b32 v42, v130 :: v_dual_mov_b32 v43, v131
	v_dual_mov_b32 v48, v126 :: v_dual_mov_b32 v49, v127
	ds_store_2addr_b64 v182, v[42:43], v[48:49] offset0:28 offset1:29
	v_dual_mov_b32 v42, v128 :: v_dual_mov_b32 v43, v129
	v_dual_mov_b32 v48, v124 :: v_dual_mov_b32 v49, v125
	;; [unrolled: 3-line block ×14, first 2 shown]
	ds_store_2addr_b64 v182, v[42:43], v[48:49] offset0:54 offset1:55
	ds_store_b64 v182, v[228:229] offset:448
	ds_load_b64 v[42:43], v181
	s_wait_dscnt 0x0
	v_cmp_neq_f32_e32 vcc_lo, 0, v42
	v_cmp_neq_f32_e64 s1, 0, v43
	s_or_b32 s1, vcc_lo, s1
	s_delay_alu instid0(SALU_CYCLE_1)
	s_and_b32 exec_lo, exec_lo, s1
	s_cbranch_execz .LBB113_233
; %bb.228:
	v_cmp_ngt_f32_e64 s1, |v42|, |v43|
                                        ; implicit-def: $vgpr48_vgpr49
	s_and_saveexec_b32 s4, s1
	s_delay_alu instid0(SALU_CYCLE_1)
	s_xor_b32 s1, exec_lo, s4
	s_cbranch_execz .LBB113_230
; %bb.229:
	v_div_scale_f32 v48, null, v43, v43, v42
	v_div_scale_f32 v51, vcc_lo, v42, v43, v42
	s_delay_alu instid0(VALU_DEP_2) | instskip(SKIP_1) | instid1(TRANS32_DEP_1)
	v_rcp_f32_e32 v49, v48
	v_nop
	v_fma_f32 v50, -v48, v49, 1.0
	s_delay_alu instid0(VALU_DEP_1) | instskip(NEXT) | instid1(VALU_DEP_1)
	v_fmac_f32_e32 v49, v50, v49
	v_mul_f32_e32 v50, v51, v49
	s_delay_alu instid0(VALU_DEP_1) | instskip(NEXT) | instid1(VALU_DEP_1)
	v_fma_f32 v52, -v48, v50, v51
	v_fmac_f32_e32 v50, v52, v49
	s_delay_alu instid0(VALU_DEP_1) | instskip(NEXT) | instid1(VALU_DEP_1)
	v_fma_f32 v48, -v48, v50, v51
	v_div_fmas_f32 v48, v48, v49, v50
	s_delay_alu instid0(VALU_DEP_1) | instskip(NEXT) | instid1(VALU_DEP_1)
	v_div_fixup_f32 v48, v48, v43, v42
	v_fmac_f32_e32 v43, v42, v48
	s_delay_alu instid0(VALU_DEP_1) | instskip(SKIP_1) | instid1(VALU_DEP_2)
	v_div_scale_f32 v42, null, v43, v43, 1.0
	v_div_scale_f32 v51, vcc_lo, 1.0, v43, 1.0
	v_rcp_f32_e32 v49, v42
	v_nop
	s_delay_alu instid0(TRANS32_DEP_1) | instskip(NEXT) | instid1(VALU_DEP_1)
	v_fma_f32 v50, -v42, v49, 1.0
	v_fmac_f32_e32 v49, v50, v49
	s_delay_alu instid0(VALU_DEP_1) | instskip(NEXT) | instid1(VALU_DEP_1)
	v_mul_f32_e32 v50, v51, v49
	v_fma_f32 v52, -v42, v50, v51
	s_delay_alu instid0(VALU_DEP_1) | instskip(NEXT) | instid1(VALU_DEP_1)
	v_fmac_f32_e32 v50, v52, v49
	v_fma_f32 v42, -v42, v50, v51
	s_delay_alu instid0(VALU_DEP_1) | instskip(NEXT) | instid1(VALU_DEP_1)
	v_div_fmas_f32 v42, v42, v49, v50
	v_div_fixup_f32 v42, v42, v43, 1.0
	s_delay_alu instid0(VALU_DEP_1)
	v_mul_f32_e32 v48, v48, v42
	v_xor_b32_e32 v49, 0x80000000, v42
                                        ; implicit-def: $vgpr42_vgpr43
.LBB113_230:
	s_and_not1_saveexec_b32 s1, s1
	s_cbranch_execz .LBB113_232
; %bb.231:
	v_div_scale_f32 v48, null, v42, v42, v43
	v_div_scale_f32 v51, vcc_lo, v43, v42, v43
	s_delay_alu instid0(VALU_DEP_2) | instskip(SKIP_1) | instid1(TRANS32_DEP_1)
	v_rcp_f32_e32 v49, v48
	v_nop
	v_fma_f32 v50, -v48, v49, 1.0
	s_delay_alu instid0(VALU_DEP_1) | instskip(NEXT) | instid1(VALU_DEP_1)
	v_fmac_f32_e32 v49, v50, v49
	v_mul_f32_e32 v50, v51, v49
	s_delay_alu instid0(VALU_DEP_1) | instskip(NEXT) | instid1(VALU_DEP_1)
	v_fma_f32 v52, -v48, v50, v51
	v_fmac_f32_e32 v50, v52, v49
	s_delay_alu instid0(VALU_DEP_1) | instskip(NEXT) | instid1(VALU_DEP_1)
	v_fma_f32 v48, -v48, v50, v51
	v_div_fmas_f32 v48, v48, v49, v50
	s_delay_alu instid0(VALU_DEP_1) | instskip(NEXT) | instid1(VALU_DEP_1)
	v_div_fixup_f32 v49, v48, v42, v43
	v_fmac_f32_e32 v42, v43, v49
	s_delay_alu instid0(VALU_DEP_1) | instskip(NEXT) | instid1(VALU_DEP_1)
	v_div_scale_f32 v43, null, v42, v42, 1.0
	v_rcp_f32_e32 v48, v43
	v_nop
	s_delay_alu instid0(TRANS32_DEP_1) | instskip(NEXT) | instid1(VALU_DEP_1)
	v_fma_f32 v50, -v43, v48, 1.0
	v_fmac_f32_e32 v48, v50, v48
	v_div_scale_f32 v50, vcc_lo, 1.0, v42, 1.0
	s_delay_alu instid0(VALU_DEP_1) | instskip(NEXT) | instid1(VALU_DEP_1)
	v_mul_f32_e32 v51, v50, v48
	v_fma_f32 v52, -v43, v51, v50
	s_delay_alu instid0(VALU_DEP_1) | instskip(NEXT) | instid1(VALU_DEP_1)
	v_fmac_f32_e32 v51, v52, v48
	v_fma_f32 v43, -v43, v51, v50
	s_delay_alu instid0(VALU_DEP_1) | instskip(NEXT) | instid1(VALU_DEP_1)
	v_div_fmas_f32 v43, v43, v48, v51
	v_div_fixup_f32 v48, v43, v42, 1.0
	s_delay_alu instid0(VALU_DEP_1)
	v_mul_f32_e64 v49, v49, -v48
.LBB113_232:
	s_or_b32 exec_lo, exec_lo, s1
	ds_store_b64 v181, v[48:49]
.LBB113_233:
	s_or_b32 exec_lo, exec_lo, s2
	s_wait_dscnt 0x0
	s_barrier_signal -1
	s_barrier_wait -1
	ds_load_b64 v[42:43], v181
	s_mov_b32 s1, exec_lo
	v_cmpx_lt_u32_e32 25, v180
	s_cbranch_execz .LBB113_235
; %bb.234:
	ds_load_2addr_b64 v[66:69], v182 offset0:26 offset1:27
	s_wait_dscnt 0x1
	v_pk_mul_f32 v[50:51], v[42:43], v[110:111] op_sel:[1,1] op_sel_hi:[0,1]
	s_delay_alu instid0(VALU_DEP_1) | instskip(SKIP_1) | instid1(VALU_DEP_1)
	v_pk_fma_f32 v[48:49], v[42:43], v[110:111], v[50:51] op_sel_hi:[1,0,1] neg_lo:[0,0,1] neg_hi:[0,0,1]
	v_pk_fma_f32 v[50:51], v[42:43], v[110:111], v[50:51] op_sel_hi:[1,0,1]
	v_dual_mov_b32 v110, v48 :: v_dual_mov_b32 v111, v51
	s_wait_dscnt 0x0
	s_delay_alu instid0(VALU_DEP_2) | instskip(NEXT) | instid1(VALU_DEP_1)
	v_pk_mul_f32 v[52:53], v[66:67], v[50:51] op_sel:[0,1]
	v_pk_fma_f32 v[70:71], v[66:67], v[48:49], v[52:53] op_sel:[0,0,1] op_sel_hi:[1,1,0] neg_lo:[0,0,1] neg_hi:[0,0,1]
	v_pk_fma_f32 v[52:53], v[66:67], v[48:49], v[52:53] op_sel:[0,0,1] op_sel_hi:[1,0,0]
	s_delay_alu instid0(VALU_DEP_1) | instskip(SKIP_1) | instid1(VALU_DEP_1)
	v_mov_b32_e32 v71, v53
	v_pk_mul_f32 v[52:53], v[68:69], v[50:51] op_sel:[0,1]
	v_pk_fma_f32 v[66:67], v[68:69], v[48:49], v[52:53] op_sel:[0,0,1] op_sel_hi:[1,1,0] neg_lo:[0,0,1] neg_hi:[0,0,1]
	v_pk_fma_f32 v[52:53], v[68:69], v[48:49], v[52:53] op_sel:[0,0,1] op_sel_hi:[1,0,0]
	s_delay_alu instid0(VALU_DEP_1) | instskip(SKIP_1) | instid1(VALU_DEP_2)
	v_mov_b32_e32 v67, v53
	v_pk_add_f32 v[112:113], v[112:113], v[70:71] neg_lo:[0,1] neg_hi:[0,1]
	v_pk_add_f32 v[108:109], v[108:109], v[66:67] neg_lo:[0,1] neg_hi:[0,1]
	ds_load_2addr_b64 v[66:69], v182 offset0:28 offset1:29
	s_wait_dscnt 0x0
	v_pk_mul_f32 v[52:53], v[66:67], v[50:51] op_sel:[0,1]
	s_delay_alu instid0(VALU_DEP_1) | instskip(SKIP_2) | instid1(VALU_DEP_2)
	v_pk_fma_f32 v[70:71], v[66:67], v[48:49], v[52:53] op_sel:[0,0,1] op_sel_hi:[1,1,0] neg_lo:[0,0,1] neg_hi:[0,0,1]
	v_pk_fma_f32 v[52:53], v[66:67], v[48:49], v[52:53] op_sel:[0,0,1] op_sel_hi:[1,0,0]
	v_dual_mul_f32 v66, v69, v51 :: v_dual_mov_b32 v52, v69
	v_dual_mov_b32 v71, v53 :: v_dual_mov_b32 v53, v68
	s_delay_alu instid0(VALU_DEP_2) | instskip(SKIP_1) | instid1(VALU_DEP_3)
	v_pk_fma_f32 v[66:67], v[68:69], v[110:111], v[66:67] op_sel_hi:[1,1,0] neg_lo:[0,0,1] neg_hi:[0,0,1]
	v_mul_f32_e32 v68, v69, v48
	v_pk_add_f32 v[130:131], v[130:131], v[70:71] neg_lo:[0,1] neg_hi:[0,1]
	s_delay_alu instid0(VALU_DEP_2) | instskip(NEXT) | instid1(VALU_DEP_1)
	v_pk_fma_f32 v[52:53], v[52:53], v[110:111], v[68:69] op_sel_hi:[1,1,0]
	v_mov_b32_e32 v67, v53
	s_delay_alu instid0(VALU_DEP_1) | instskip(SKIP_3) | instid1(VALU_DEP_1)
	v_pk_add_f32 v[126:127], v[126:127], v[66:67] neg_lo:[0,1] neg_hi:[0,1]
	ds_load_2addr_b64 v[66:69], v182 offset0:30 offset1:31
	s_wait_dscnt 0x0
	v_pk_mul_f32 v[52:53], v[66:67], v[50:51] op_sel:[0,1]
	v_pk_fma_f32 v[70:71], v[66:67], v[48:49], v[52:53] op_sel:[0,0,1] op_sel_hi:[1,1,0] neg_lo:[0,0,1] neg_hi:[0,0,1]
	v_pk_fma_f32 v[52:53], v[66:67], v[48:49], v[52:53] op_sel:[0,0,1] op_sel_hi:[1,0,0]
	s_delay_alu instid0(VALU_DEP_1) | instskip(SKIP_1) | instid1(VALU_DEP_2)
	v_mov_b32_e32 v71, v53
	v_pk_mul_f32 v[52:53], v[68:69], v[50:51] op_sel:[0,1]
	v_pk_add_f32 v[128:129], v[128:129], v[70:71] neg_lo:[0,1] neg_hi:[0,1]
	s_delay_alu instid0(VALU_DEP_2) | instskip(SKIP_1) | instid1(VALU_DEP_1)
	v_pk_fma_f32 v[66:67], v[68:69], v[48:49], v[52:53] op_sel:[0,0,1] op_sel_hi:[1,1,0] neg_lo:[0,0,1] neg_hi:[0,0,1]
	v_pk_fma_f32 v[52:53], v[68:69], v[48:49], v[52:53] op_sel:[0,0,1] op_sel_hi:[1,0,0]
	v_mov_b32_e32 v67, v53
	s_delay_alu instid0(VALU_DEP_1) | instskip(SKIP_3) | instid1(VALU_DEP_1)
	v_pk_add_f32 v[124:125], v[124:125], v[66:67] neg_lo:[0,1] neg_hi:[0,1]
	ds_load_2addr_b64 v[66:69], v182 offset0:32 offset1:33
	s_wait_dscnt 0x0
	v_pk_mul_f32 v[52:53], v[66:67], v[50:51] op_sel:[0,1]
	v_pk_fma_f32 v[70:71], v[66:67], v[48:49], v[52:53] op_sel:[0,0,1] op_sel_hi:[1,1,0] neg_lo:[0,0,1] neg_hi:[0,0,1]
	v_pk_fma_f32 v[52:53], v[66:67], v[48:49], v[52:53] op_sel:[0,0,1] op_sel_hi:[1,0,0]
	s_delay_alu instid0(VALU_DEP_1) | instskip(SKIP_1) | instid1(VALU_DEP_2)
	v_mov_b32_e32 v71, v53
	v_pk_mul_f32 v[52:53], v[68:69], v[50:51] op_sel:[0,1]
	v_pk_add_f32 v[146:147], v[146:147], v[70:71] neg_lo:[0,1] neg_hi:[0,1]
	s_delay_alu instid0(VALU_DEP_2) | instskip(SKIP_1) | instid1(VALU_DEP_1)
	v_pk_fma_f32 v[66:67], v[68:69], v[48:49], v[52:53] op_sel:[0,0,1] op_sel_hi:[1,1,0] neg_lo:[0,0,1] neg_hi:[0,0,1]
	v_pk_fma_f32 v[52:53], v[68:69], v[48:49], v[52:53] op_sel:[0,0,1] op_sel_hi:[1,0,0]
	v_mov_b32_e32 v67, v53
	s_delay_alu instid0(VALU_DEP_1) | instskip(SKIP_3) | instid1(VALU_DEP_1)
	v_pk_add_f32 v[142:143], v[142:143], v[66:67] neg_lo:[0,1] neg_hi:[0,1]
	ds_load_2addr_b64 v[66:69], v182 offset0:34 offset1:35
	s_wait_dscnt 0x0
	v_dual_mul_f32 v52, v67, v51 :: v_dual_mul_f32 v70, v67, v48
	v_pk_fma_f32 v[52:53], v[66:67], v[110:111], v[52:53] op_sel_hi:[1,1,0] neg_lo:[0,0,1] neg_hi:[0,0,1]
	s_delay_alu instid0(VALU_DEP_2) | instskip(NEXT) | instid1(VALU_DEP_1)
	v_pk_fma_f32 v[66:67], v[66:67], v[110:111], v[70:71] op_sel:[1,0,0] op_sel_hi:[0,1,0]
	v_mov_b32_e32 v53, v67
	s_delay_alu instid0(VALU_DEP_1) | instskip(SKIP_1) | instid1(VALU_DEP_1)
	v_pk_add_f32 v[144:145], v[144:145], v[52:53] neg_lo:[0,1] neg_hi:[0,1]
	v_pk_mul_f32 v[52:53], v[68:69], v[50:51] op_sel:[0,1]
	v_pk_fma_f32 v[66:67], v[68:69], v[48:49], v[52:53] op_sel:[0,0,1] op_sel_hi:[1,1,0] neg_lo:[0,0,1] neg_hi:[0,0,1]
	v_pk_fma_f32 v[52:53], v[68:69], v[48:49], v[52:53] op_sel:[0,0,1] op_sel_hi:[1,0,0]
	s_delay_alu instid0(VALU_DEP_1) | instskip(NEXT) | instid1(VALU_DEP_1)
	v_mov_b32_e32 v67, v53
	v_pk_add_f32 v[140:141], v[140:141], v[66:67] neg_lo:[0,1] neg_hi:[0,1]
	ds_load_2addr_b64 v[66:69], v182 offset0:36 offset1:37
	s_wait_dscnt 0x0
	v_pk_mul_f32 v[52:53], v[66:67], v[50:51] op_sel:[0,1]
	s_delay_alu instid0(VALU_DEP_1) | instskip(SKIP_1) | instid1(VALU_DEP_1)
	v_pk_fma_f32 v[70:71], v[66:67], v[48:49], v[52:53] op_sel:[0,0,1] op_sel_hi:[1,1,0] neg_lo:[0,0,1] neg_hi:[0,0,1]
	v_pk_fma_f32 v[52:53], v[66:67], v[48:49], v[52:53] op_sel:[0,0,1] op_sel_hi:[1,0,0]
	v_mov_b32_e32 v71, v53
	v_pk_mul_f32 v[52:53], v[68:69], v[50:51] op_sel:[0,1]
	s_delay_alu instid0(VALU_DEP_2) | instskip(NEXT) | instid1(VALU_DEP_2)
	v_pk_add_f32 v[162:163], v[162:163], v[70:71] neg_lo:[0,1] neg_hi:[0,1]
	v_pk_fma_f32 v[66:67], v[68:69], v[48:49], v[52:53] op_sel:[0,0,1] op_sel_hi:[1,1,0] neg_lo:[0,0,1] neg_hi:[0,0,1]
	v_pk_fma_f32 v[52:53], v[68:69], v[48:49], v[52:53] op_sel:[0,0,1] op_sel_hi:[1,0,0]
	s_delay_alu instid0(VALU_DEP_1) | instskip(NEXT) | instid1(VALU_DEP_1)
	v_mov_b32_e32 v67, v53
	v_pk_add_f32 v[158:159], v[158:159], v[66:67] neg_lo:[0,1] neg_hi:[0,1]
	ds_load_2addr_b64 v[66:69], v182 offset0:38 offset1:39
	s_wait_dscnt 0x0
	v_pk_mul_f32 v[52:53], v[66:67], v[50:51] op_sel:[0,1]
	s_delay_alu instid0(VALU_DEP_1) | instskip(SKIP_2) | instid1(VALU_DEP_2)
	v_pk_fma_f32 v[70:71], v[66:67], v[48:49], v[52:53] op_sel:[0,0,1] op_sel_hi:[1,1,0] neg_lo:[0,0,1] neg_hi:[0,0,1]
	v_pk_fma_f32 v[52:53], v[66:67], v[48:49], v[52:53] op_sel:[0,0,1] op_sel_hi:[1,0,0]
	v_dual_mul_f32 v66, v69, v51 :: v_dual_mov_b32 v52, v69
	v_dual_mov_b32 v71, v53 :: v_dual_mov_b32 v53, v68
	s_delay_alu instid0(VALU_DEP_2) | instskip(SKIP_1) | instid1(VALU_DEP_3)
	v_pk_fma_f32 v[66:67], v[68:69], v[110:111], v[66:67] op_sel_hi:[1,1,0] neg_lo:[0,0,1] neg_hi:[0,0,1]
	v_mul_f32_e32 v68, v69, v48
	v_pk_add_f32 v[160:161], v[160:161], v[70:71] neg_lo:[0,1] neg_hi:[0,1]
	s_delay_alu instid0(VALU_DEP_2) | instskip(NEXT) | instid1(VALU_DEP_1)
	v_pk_fma_f32 v[52:53], v[52:53], v[110:111], v[68:69] op_sel_hi:[1,1,0]
	v_mov_b32_e32 v67, v53
	s_delay_alu instid0(VALU_DEP_1) | instskip(SKIP_3) | instid1(VALU_DEP_1)
	v_pk_add_f32 v[156:157], v[156:157], v[66:67] neg_lo:[0,1] neg_hi:[0,1]
	ds_load_2addr_b64 v[66:69], v182 offset0:40 offset1:41
	s_wait_dscnt 0x0
	v_pk_mul_f32 v[52:53], v[66:67], v[50:51] op_sel:[0,1]
	v_pk_fma_f32 v[70:71], v[66:67], v[48:49], v[52:53] op_sel:[0,0,1] op_sel_hi:[1,1,0] neg_lo:[0,0,1] neg_hi:[0,0,1]
	v_pk_fma_f32 v[52:53], v[66:67], v[48:49], v[52:53] op_sel:[0,0,1] op_sel_hi:[1,0,0]
	s_delay_alu instid0(VALU_DEP_1) | instskip(SKIP_1) | instid1(VALU_DEP_2)
	v_mov_b32_e32 v71, v53
	v_pk_mul_f32 v[52:53], v[68:69], v[50:51] op_sel:[0,1]
	v_pk_add_f32 v[178:179], v[178:179], v[70:71] neg_lo:[0,1] neg_hi:[0,1]
	s_delay_alu instid0(VALU_DEP_2) | instskip(SKIP_1) | instid1(VALU_DEP_1)
	v_pk_fma_f32 v[66:67], v[68:69], v[48:49], v[52:53] op_sel:[0,0,1] op_sel_hi:[1,1,0] neg_lo:[0,0,1] neg_hi:[0,0,1]
	v_pk_fma_f32 v[52:53], v[68:69], v[48:49], v[52:53] op_sel:[0,0,1] op_sel_hi:[1,0,0]
	v_mov_b32_e32 v67, v53
	s_delay_alu instid0(VALU_DEP_1) | instskip(SKIP_3) | instid1(VALU_DEP_1)
	v_pk_add_f32 v[174:175], v[174:175], v[66:67] neg_lo:[0,1] neg_hi:[0,1]
	ds_load_2addr_b64 v[66:69], v182 offset0:42 offset1:43
	s_wait_dscnt 0x0
	v_pk_mul_f32 v[52:53], v[66:67], v[50:51] op_sel:[0,1]
	v_pk_fma_f32 v[70:71], v[66:67], v[48:49], v[52:53] op_sel:[0,0,1] op_sel_hi:[1,1,0] neg_lo:[0,0,1] neg_hi:[0,0,1]
	v_pk_fma_f32 v[52:53], v[66:67], v[48:49], v[52:53] op_sel:[0,0,1] op_sel_hi:[1,0,0]
	s_delay_alu instid0(VALU_DEP_1) | instskip(SKIP_1) | instid1(VALU_DEP_2)
	v_mov_b32_e32 v71, v53
	v_pk_mul_f32 v[52:53], v[68:69], v[50:51] op_sel:[0,1]
	v_pk_add_f32 v[176:177], v[176:177], v[70:71] neg_lo:[0,1] neg_hi:[0,1]
	s_delay_alu instid0(VALU_DEP_2) | instskip(SKIP_1) | instid1(VALU_DEP_1)
	v_pk_fma_f32 v[66:67], v[68:69], v[48:49], v[52:53] op_sel:[0,0,1] op_sel_hi:[1,1,0] neg_lo:[0,0,1] neg_hi:[0,0,1]
	v_pk_fma_f32 v[52:53], v[68:69], v[48:49], v[52:53] op_sel:[0,0,1] op_sel_hi:[1,0,0]
	v_mov_b32_e32 v67, v53
	s_delay_alu instid0(VALU_DEP_1) | instskip(SKIP_3) | instid1(VALU_DEP_1)
	v_pk_add_f32 v[172:173], v[172:173], v[66:67] neg_lo:[0,1] neg_hi:[0,1]
	ds_load_2addr_b64 v[66:69], v182 offset0:44 offset1:45
	s_wait_dscnt 0x0
	v_dual_mul_f32 v52, v67, v51 :: v_dual_mul_f32 v70, v67, v48
	v_pk_fma_f32 v[52:53], v[66:67], v[110:111], v[52:53] op_sel_hi:[1,1,0] neg_lo:[0,0,1] neg_hi:[0,0,1]
	s_delay_alu instid0(VALU_DEP_2) | instskip(NEXT) | instid1(VALU_DEP_1)
	v_pk_fma_f32 v[66:67], v[66:67], v[110:111], v[70:71] op_sel:[1,0,0] op_sel_hi:[0,1,0]
	v_mov_b32_e32 v53, v67
	s_delay_alu instid0(VALU_DEP_1) | instskip(SKIP_1) | instid1(VALU_DEP_1)
	v_pk_add_f32 v[200:201], v[200:201], v[52:53] neg_lo:[0,1] neg_hi:[0,1]
	v_pk_mul_f32 v[52:53], v[68:69], v[50:51] op_sel:[0,1]
	v_pk_fma_f32 v[66:67], v[68:69], v[48:49], v[52:53] op_sel:[0,0,1] op_sel_hi:[1,1,0] neg_lo:[0,0,1] neg_hi:[0,0,1]
	v_pk_fma_f32 v[52:53], v[68:69], v[48:49], v[52:53] op_sel:[0,0,1] op_sel_hi:[1,0,0]
	s_delay_alu instid0(VALU_DEP_1) | instskip(NEXT) | instid1(VALU_DEP_1)
	v_mov_b32_e32 v67, v53
	v_pk_add_f32 v[196:197], v[196:197], v[66:67] neg_lo:[0,1] neg_hi:[0,1]
	ds_load_2addr_b64 v[66:69], v182 offset0:46 offset1:47
	s_wait_dscnt 0x0
	v_pk_mul_f32 v[52:53], v[66:67], v[50:51] op_sel:[0,1]
	s_delay_alu instid0(VALU_DEP_1) | instskip(SKIP_1) | instid1(VALU_DEP_1)
	v_pk_fma_f32 v[70:71], v[66:67], v[48:49], v[52:53] op_sel:[0,0,1] op_sel_hi:[1,1,0] neg_lo:[0,0,1] neg_hi:[0,0,1]
	v_pk_fma_f32 v[52:53], v[66:67], v[48:49], v[52:53] op_sel:[0,0,1] op_sel_hi:[1,0,0]
	v_mov_b32_e32 v71, v53
	v_pk_mul_f32 v[52:53], v[68:69], v[50:51] op_sel:[0,1]
	s_delay_alu instid0(VALU_DEP_2) | instskip(NEXT) | instid1(VALU_DEP_2)
	v_pk_add_f32 v[198:199], v[198:199], v[70:71] neg_lo:[0,1] neg_hi:[0,1]
	v_pk_fma_f32 v[66:67], v[68:69], v[48:49], v[52:53] op_sel:[0,0,1] op_sel_hi:[1,1,0] neg_lo:[0,0,1] neg_hi:[0,0,1]
	v_pk_fma_f32 v[52:53], v[68:69], v[48:49], v[52:53] op_sel:[0,0,1] op_sel_hi:[1,0,0]
	s_delay_alu instid0(VALU_DEP_1) | instskip(NEXT) | instid1(VALU_DEP_1)
	v_mov_b32_e32 v67, v53
	v_pk_add_f32 v[194:195], v[194:195], v[66:67] neg_lo:[0,1] neg_hi:[0,1]
	ds_load_2addr_b64 v[66:69], v182 offset0:48 offset1:49
	s_wait_dscnt 0x0
	v_pk_mul_f32 v[52:53], v[66:67], v[50:51] op_sel:[0,1]
	s_delay_alu instid0(VALU_DEP_1) | instskip(SKIP_2) | instid1(VALU_DEP_2)
	v_pk_fma_f32 v[70:71], v[66:67], v[48:49], v[52:53] op_sel:[0,0,1] op_sel_hi:[1,1,0] neg_lo:[0,0,1] neg_hi:[0,0,1]
	v_pk_fma_f32 v[52:53], v[66:67], v[48:49], v[52:53] op_sel:[0,0,1] op_sel_hi:[1,0,0]
	v_dual_mul_f32 v66, v69, v51 :: v_dual_mov_b32 v52, v69
	v_dual_mov_b32 v71, v53 :: v_dual_mov_b32 v53, v68
	s_delay_alu instid0(VALU_DEP_2) | instskip(SKIP_1) | instid1(VALU_DEP_3)
	v_pk_fma_f32 v[66:67], v[68:69], v[110:111], v[66:67] op_sel_hi:[1,1,0] neg_lo:[0,0,1] neg_hi:[0,0,1]
	v_mul_f32_e32 v68, v69, v48
	v_pk_add_f32 v[224:225], v[224:225], v[70:71] neg_lo:[0,1] neg_hi:[0,1]
	s_delay_alu instid0(VALU_DEP_2) | instskip(NEXT) | instid1(VALU_DEP_1)
	v_pk_fma_f32 v[52:53], v[52:53], v[110:111], v[68:69] op_sel_hi:[1,1,0]
	v_mov_b32_e32 v67, v53
	s_delay_alu instid0(VALU_DEP_1) | instskip(SKIP_3) | instid1(VALU_DEP_1)
	v_pk_add_f32 v[216:217], v[216:217], v[66:67] neg_lo:[0,1] neg_hi:[0,1]
	ds_load_2addr_b64 v[66:69], v182 offset0:50 offset1:51
	s_wait_dscnt 0x0
	v_pk_mul_f32 v[52:53], v[66:67], v[50:51] op_sel:[0,1]
	v_pk_fma_f32 v[70:71], v[66:67], v[48:49], v[52:53] op_sel:[0,0,1] op_sel_hi:[1,1,0] neg_lo:[0,0,1] neg_hi:[0,0,1]
	v_pk_fma_f32 v[52:53], v[66:67], v[48:49], v[52:53] op_sel:[0,0,1] op_sel_hi:[1,0,0]
	s_delay_alu instid0(VALU_DEP_1) | instskip(SKIP_1) | instid1(VALU_DEP_2)
	v_mov_b32_e32 v71, v53
	v_pk_mul_f32 v[52:53], v[68:69], v[50:51] op_sel:[0,1]
	v_pk_add_f32 v[222:223], v[222:223], v[70:71] neg_lo:[0,1] neg_hi:[0,1]
	s_delay_alu instid0(VALU_DEP_2) | instskip(SKIP_1) | instid1(VALU_DEP_1)
	v_pk_fma_f32 v[66:67], v[68:69], v[48:49], v[52:53] op_sel:[0,0,1] op_sel_hi:[1,1,0] neg_lo:[0,0,1] neg_hi:[0,0,1]
	v_pk_fma_f32 v[52:53], v[68:69], v[48:49], v[52:53] op_sel:[0,0,1] op_sel_hi:[1,0,0]
	v_mov_b32_e32 v67, v53
	s_delay_alu instid0(VALU_DEP_1) | instskip(SKIP_3) | instid1(VALU_DEP_1)
	v_pk_add_f32 v[214:215], v[214:215], v[66:67] neg_lo:[0,1] neg_hi:[0,1]
	ds_load_2addr_b64 v[66:69], v182 offset0:52 offset1:53
	s_wait_dscnt 0x0
	v_pk_mul_f32 v[52:53], v[66:67], v[50:51] op_sel:[0,1]
	v_pk_fma_f32 v[70:71], v[66:67], v[48:49], v[52:53] op_sel:[0,0,1] op_sel_hi:[1,1,0] neg_lo:[0,0,1] neg_hi:[0,0,1]
	v_pk_fma_f32 v[52:53], v[66:67], v[48:49], v[52:53] op_sel:[0,0,1] op_sel_hi:[1,0,0]
	s_delay_alu instid0(VALU_DEP_1) | instskip(SKIP_1) | instid1(VALU_DEP_2)
	v_mov_b32_e32 v71, v53
	v_pk_mul_f32 v[52:53], v[68:69], v[50:51] op_sel:[0,1]
	v_pk_add_f32 v[220:221], v[220:221], v[70:71] neg_lo:[0,1] neg_hi:[0,1]
	s_delay_alu instid0(VALU_DEP_2) | instskip(SKIP_1) | instid1(VALU_DEP_1)
	v_pk_fma_f32 v[66:67], v[68:69], v[48:49], v[52:53] op_sel:[0,0,1] op_sel_hi:[1,1,0] neg_lo:[0,0,1] neg_hi:[0,0,1]
	v_pk_fma_f32 v[52:53], v[68:69], v[48:49], v[52:53] op_sel:[0,0,1] op_sel_hi:[1,0,0]
	v_mov_b32_e32 v67, v53
	s_delay_alu instid0(VALU_DEP_1) | instskip(SKIP_3) | instid1(VALU_DEP_1)
	v_pk_add_f32 v[212:213], v[212:213], v[66:67] neg_lo:[0,1] neg_hi:[0,1]
	ds_load_2addr_b64 v[66:69], v182 offset0:54 offset1:55
	s_wait_dscnt 0x0
	v_dual_mul_f32 v52, v67, v51 :: v_dual_mul_f32 v70, v67, v48
	v_pk_fma_f32 v[52:53], v[66:67], v[110:111], v[52:53] op_sel_hi:[1,1,0] neg_lo:[0,0,1] neg_hi:[0,0,1]
	s_delay_alu instid0(VALU_DEP_2) | instskip(NEXT) | instid1(VALU_DEP_1)
	v_pk_fma_f32 v[66:67], v[66:67], v[110:111], v[70:71] op_sel:[1,0,0] op_sel_hi:[0,1,0]
	v_mov_b32_e32 v53, v67
	s_delay_alu instid0(VALU_DEP_1) | instskip(SKIP_1) | instid1(VALU_DEP_1)
	v_pk_add_f32 v[218:219], v[218:219], v[52:53] neg_lo:[0,1] neg_hi:[0,1]
	v_pk_mul_f32 v[52:53], v[68:69], v[50:51] op_sel:[0,1]
	v_pk_fma_f32 v[66:67], v[68:69], v[48:49], v[52:53] op_sel:[0,0,1] op_sel_hi:[1,1,0] neg_lo:[0,0,1] neg_hi:[0,0,1]
	v_pk_fma_f32 v[52:53], v[68:69], v[48:49], v[52:53] op_sel:[0,0,1] op_sel_hi:[1,0,0]
	s_delay_alu instid0(VALU_DEP_1) | instskip(SKIP_4) | instid1(VALU_DEP_1)
	v_mov_b32_e32 v67, v53
	ds_load_b64 v[52:53], v182 offset:448
	v_pk_add_f32 v[226:227], v[226:227], v[66:67] neg_lo:[0,1] neg_hi:[0,1]
	s_wait_dscnt 0x0
	v_pk_mul_f32 v[50:51], v[52:53], v[50:51] op_sel:[0,1]
	v_pk_fma_f32 v[66:67], v[52:53], v[48:49], v[50:51] op_sel:[0,0,1] op_sel_hi:[1,1,0] neg_lo:[0,0,1] neg_hi:[0,0,1]
	v_pk_fma_f32 v[48:49], v[52:53], v[48:49], v[50:51] op_sel:[0,0,1] op_sel_hi:[1,0,0]
	s_delay_alu instid0(VALU_DEP_1) | instskip(NEXT) | instid1(VALU_DEP_1)
	v_mov_b32_e32 v67, v49
	v_pk_add_f32 v[228:229], v[228:229], v[66:67] neg_lo:[0,1] neg_hi:[0,1]
.LBB113_235:
	s_or_b32 exec_lo, exec_lo, s1
	s_delay_alu instid0(SALU_CYCLE_1)
	s_mov_b32 s2, exec_lo
	s_wait_dscnt 0x0
	s_barrier_signal -1
	s_barrier_wait -1
	v_cmpx_eq_u32_e32 26, v180
	s_cbranch_execz .LBB113_242
; %bb.236:
	ds_store_b64 v181, v[112:113]
	ds_store_2addr_b64 v182, v[108:109], v[130:131] offset0:27 offset1:28
	ds_store_2addr_b64 v182, v[126:127], v[128:129] offset0:29 offset1:30
	;; [unrolled: 1-line block ×15, first 2 shown]
	ds_load_b64 v[48:49], v181
	s_wait_dscnt 0x0
	v_cmp_neq_f32_e32 vcc_lo, 0, v48
	v_cmp_neq_f32_e64 s1, 0, v49
	s_or_b32 s1, vcc_lo, s1
	s_delay_alu instid0(SALU_CYCLE_1)
	s_and_b32 exec_lo, exec_lo, s1
	s_cbranch_execz .LBB113_242
; %bb.237:
	v_cmp_ngt_f32_e64 s1, |v48|, |v49|
                                        ; implicit-def: $vgpr50_vgpr51
	s_and_saveexec_b32 s4, s1
	s_delay_alu instid0(SALU_CYCLE_1)
	s_xor_b32 s1, exec_lo, s4
	s_cbranch_execz .LBB113_239
; %bb.238:
	v_div_scale_f32 v50, null, v49, v49, v48
	v_div_scale_f32 v53, vcc_lo, v48, v49, v48
	s_delay_alu instid0(VALU_DEP_2) | instskip(SKIP_1) | instid1(TRANS32_DEP_1)
	v_rcp_f32_e32 v51, v50
	v_nop
	v_fma_f32 v52, -v50, v51, 1.0
	s_delay_alu instid0(VALU_DEP_1) | instskip(NEXT) | instid1(VALU_DEP_1)
	v_fmac_f32_e32 v51, v52, v51
	v_mul_f32_e32 v52, v53, v51
	s_delay_alu instid0(VALU_DEP_1) | instskip(NEXT) | instid1(VALU_DEP_1)
	v_fma_f32 v66, -v50, v52, v53
	v_fmac_f32_e32 v52, v66, v51
	s_delay_alu instid0(VALU_DEP_1) | instskip(NEXT) | instid1(VALU_DEP_1)
	v_fma_f32 v50, -v50, v52, v53
	v_div_fmas_f32 v50, v50, v51, v52
	s_delay_alu instid0(VALU_DEP_1) | instskip(NEXT) | instid1(VALU_DEP_1)
	v_div_fixup_f32 v50, v50, v49, v48
	v_fmac_f32_e32 v49, v48, v50
	s_delay_alu instid0(VALU_DEP_1) | instskip(SKIP_1) | instid1(VALU_DEP_2)
	v_div_scale_f32 v48, null, v49, v49, 1.0
	v_div_scale_f32 v53, vcc_lo, 1.0, v49, 1.0
	v_rcp_f32_e32 v51, v48
	v_nop
	s_delay_alu instid0(TRANS32_DEP_1) | instskip(NEXT) | instid1(VALU_DEP_1)
	v_fma_f32 v52, -v48, v51, 1.0
	v_fmac_f32_e32 v51, v52, v51
	s_delay_alu instid0(VALU_DEP_1) | instskip(NEXT) | instid1(VALU_DEP_1)
	v_mul_f32_e32 v52, v53, v51
	v_fma_f32 v66, -v48, v52, v53
	s_delay_alu instid0(VALU_DEP_1) | instskip(NEXT) | instid1(VALU_DEP_1)
	v_fmac_f32_e32 v52, v66, v51
	v_fma_f32 v48, -v48, v52, v53
	s_delay_alu instid0(VALU_DEP_1) | instskip(NEXT) | instid1(VALU_DEP_1)
	v_div_fmas_f32 v48, v48, v51, v52
	v_div_fixup_f32 v48, v48, v49, 1.0
	s_delay_alu instid0(VALU_DEP_1)
	v_mul_f32_e32 v50, v50, v48
	v_xor_b32_e32 v51, 0x80000000, v48
                                        ; implicit-def: $vgpr48_vgpr49
.LBB113_239:
	s_and_not1_saveexec_b32 s1, s1
	s_cbranch_execz .LBB113_241
; %bb.240:
	v_div_scale_f32 v50, null, v48, v48, v49
	v_div_scale_f32 v53, vcc_lo, v49, v48, v49
	s_delay_alu instid0(VALU_DEP_2) | instskip(SKIP_1) | instid1(TRANS32_DEP_1)
	v_rcp_f32_e32 v51, v50
	v_nop
	v_fma_f32 v52, -v50, v51, 1.0
	s_delay_alu instid0(VALU_DEP_1) | instskip(NEXT) | instid1(VALU_DEP_1)
	v_fmac_f32_e32 v51, v52, v51
	v_mul_f32_e32 v52, v53, v51
	s_delay_alu instid0(VALU_DEP_1) | instskip(NEXT) | instid1(VALU_DEP_1)
	v_fma_f32 v66, -v50, v52, v53
	v_fmac_f32_e32 v52, v66, v51
	s_delay_alu instid0(VALU_DEP_1) | instskip(NEXT) | instid1(VALU_DEP_1)
	v_fma_f32 v50, -v50, v52, v53
	v_div_fmas_f32 v50, v50, v51, v52
	s_delay_alu instid0(VALU_DEP_1) | instskip(NEXT) | instid1(VALU_DEP_1)
	v_div_fixup_f32 v51, v50, v48, v49
	v_fmac_f32_e32 v48, v49, v51
	s_delay_alu instid0(VALU_DEP_1) | instskip(NEXT) | instid1(VALU_DEP_1)
	v_div_scale_f32 v49, null, v48, v48, 1.0
	v_rcp_f32_e32 v50, v49
	v_nop
	s_delay_alu instid0(TRANS32_DEP_1) | instskip(NEXT) | instid1(VALU_DEP_1)
	v_fma_f32 v52, -v49, v50, 1.0
	v_fmac_f32_e32 v50, v52, v50
	v_div_scale_f32 v52, vcc_lo, 1.0, v48, 1.0
	s_delay_alu instid0(VALU_DEP_1) | instskip(NEXT) | instid1(VALU_DEP_1)
	v_mul_f32_e32 v53, v52, v50
	v_fma_f32 v66, -v49, v53, v52
	s_delay_alu instid0(VALU_DEP_1) | instskip(NEXT) | instid1(VALU_DEP_1)
	v_fmac_f32_e32 v53, v66, v50
	v_fma_f32 v49, -v49, v53, v52
	s_delay_alu instid0(VALU_DEP_1) | instskip(NEXT) | instid1(VALU_DEP_1)
	v_div_fmas_f32 v49, v49, v50, v53
	v_div_fixup_f32 v50, v49, v48, 1.0
	s_delay_alu instid0(VALU_DEP_1)
	v_mul_f32_e64 v51, v51, -v50
.LBB113_241:
	s_or_b32 exec_lo, exec_lo, s1
	ds_store_b64 v181, v[50:51]
.LBB113_242:
	s_or_b32 exec_lo, exec_lo, s2
	s_wait_dscnt 0x0
	s_barrier_signal -1
	s_barrier_wait -1
	ds_load_b64 v[48:49], v181
	s_mov_b32 s1, exec_lo
	v_cmpx_lt_u32_e32 26, v180
	s_cbranch_execz .LBB113_244
; %bb.243:
	ds_load_2addr_b64 v[66:69], v182 offset0:27 offset1:28
	s_wait_dscnt 0x1
	v_pk_mul_f32 v[52:53], v[48:49], v[112:113] op_sel:[1,1] op_sel_hi:[0,1]
	s_delay_alu instid0(VALU_DEP_1) | instskip(SKIP_1) | instid1(VALU_DEP_1)
	v_pk_fma_f32 v[50:51], v[48:49], v[112:113], v[52:53] op_sel_hi:[1,0,1] neg_lo:[0,0,1] neg_hi:[0,0,1]
	v_pk_fma_f32 v[52:53], v[48:49], v[112:113], v[52:53] op_sel_hi:[1,0,1]
	v_dual_mov_b32 v112, v50 :: v_dual_mov_b32 v113, v53
	s_wait_dscnt 0x0
	s_delay_alu instid0(VALU_DEP_2) | instskip(NEXT) | instid1(VALU_DEP_1)
	v_pk_mul_f32 v[70:71], v[66:67], v[52:53] op_sel:[0,1]
	v_pk_fma_f32 v[72:73], v[66:67], v[50:51], v[70:71] op_sel:[0,0,1] op_sel_hi:[1,1,0] neg_lo:[0,0,1] neg_hi:[0,0,1]
	v_pk_fma_f32 v[66:67], v[66:67], v[50:51], v[70:71] op_sel:[0,0,1] op_sel_hi:[1,0,0]
	s_delay_alu instid0(VALU_DEP_1) | instskip(SKIP_1) | instid1(VALU_DEP_1)
	v_mov_b32_e32 v73, v67
	v_pk_mul_f32 v[66:67], v[68:69], v[52:53] op_sel:[0,1]
	v_pk_fma_f32 v[70:71], v[68:69], v[50:51], v[66:67] op_sel:[0,0,1] op_sel_hi:[1,1,0] neg_lo:[0,0,1] neg_hi:[0,0,1]
	v_pk_fma_f32 v[66:67], v[68:69], v[50:51], v[66:67] op_sel:[0,0,1] op_sel_hi:[1,0,0]
	s_delay_alu instid0(VALU_DEP_1)
	v_mov_b32_e32 v71, v67
	ds_load_2addr_b64 v[66:69], v182 offset0:29 offset1:30
	v_pk_add_f32 v[108:109], v[108:109], v[72:73] neg_lo:[0,1] neg_hi:[0,1]
	v_pk_add_f32 v[130:131], v[130:131], v[70:71] neg_lo:[0,1] neg_hi:[0,1]
	s_wait_dscnt 0x0
	v_pk_mul_f32 v[70:71], v[66:67], v[52:53] op_sel:[0,1]
	s_delay_alu instid0(VALU_DEP_1) | instskip(SKIP_2) | instid1(VALU_DEP_2)
	v_pk_fma_f32 v[72:73], v[66:67], v[50:51], v[70:71] op_sel:[0,0,1] op_sel_hi:[1,1,0] neg_lo:[0,0,1] neg_hi:[0,0,1]
	v_pk_fma_f32 v[66:67], v[66:67], v[50:51], v[70:71] op_sel:[0,0,1] op_sel_hi:[1,0,0]
	v_dual_mul_f32 v70, v69, v53 :: v_dual_mov_b32 v66, v69
	v_dual_mov_b32 v73, v67 :: v_dual_mov_b32 v67, v68
	s_delay_alu instid0(VALU_DEP_2) | instskip(SKIP_1) | instid1(VALU_DEP_3)
	v_pk_fma_f32 v[70:71], v[68:69], v[112:113], v[70:71] op_sel_hi:[1,1,0] neg_lo:[0,0,1] neg_hi:[0,0,1]
	v_mul_f32_e32 v68, v69, v50
	v_pk_add_f32 v[126:127], v[126:127], v[72:73] neg_lo:[0,1] neg_hi:[0,1]
	s_delay_alu instid0(VALU_DEP_2) | instskip(NEXT) | instid1(VALU_DEP_1)
	v_pk_fma_f32 v[66:67], v[66:67], v[112:113], v[68:69] op_sel_hi:[1,1,0]
	v_mov_b32_e32 v71, v67
	ds_load_2addr_b64 v[66:69], v182 offset0:31 offset1:32
	v_pk_add_f32 v[128:129], v[128:129], v[70:71] neg_lo:[0,1] neg_hi:[0,1]
	s_wait_dscnt 0x0
	v_pk_mul_f32 v[70:71], v[66:67], v[52:53] op_sel:[0,1]
	s_delay_alu instid0(VALU_DEP_1) | instskip(SKIP_1) | instid1(VALU_DEP_1)
	v_pk_fma_f32 v[72:73], v[66:67], v[50:51], v[70:71] op_sel:[0,0,1] op_sel_hi:[1,1,0] neg_lo:[0,0,1] neg_hi:[0,0,1]
	v_pk_fma_f32 v[66:67], v[66:67], v[50:51], v[70:71] op_sel:[0,0,1] op_sel_hi:[1,0,0]
	v_mov_b32_e32 v73, v67
	v_pk_mul_f32 v[66:67], v[68:69], v[52:53] op_sel:[0,1]
	s_delay_alu instid0(VALU_DEP_1) | instskip(SKIP_1) | instid1(VALU_DEP_1)
	v_pk_fma_f32 v[70:71], v[68:69], v[50:51], v[66:67] op_sel:[0,0,1] op_sel_hi:[1,1,0] neg_lo:[0,0,1] neg_hi:[0,0,1]
	v_pk_fma_f32 v[66:67], v[68:69], v[50:51], v[66:67] op_sel:[0,0,1] op_sel_hi:[1,0,0]
	v_mov_b32_e32 v71, v67
	ds_load_2addr_b64 v[66:69], v182 offset0:33 offset1:34
	v_pk_add_f32 v[124:125], v[124:125], v[72:73] neg_lo:[0,1] neg_hi:[0,1]
	v_pk_add_f32 v[146:147], v[146:147], v[70:71] neg_lo:[0,1] neg_hi:[0,1]
	s_wait_dscnt 0x0
	v_pk_mul_f32 v[70:71], v[66:67], v[52:53] op_sel:[0,1]
	s_delay_alu instid0(VALU_DEP_1) | instskip(SKIP_1) | instid1(VALU_DEP_1)
	v_pk_fma_f32 v[72:73], v[66:67], v[50:51], v[70:71] op_sel:[0,0,1] op_sel_hi:[1,1,0] neg_lo:[0,0,1] neg_hi:[0,0,1]
	v_pk_fma_f32 v[66:67], v[66:67], v[50:51], v[70:71] op_sel:[0,0,1] op_sel_hi:[1,0,0]
	v_mov_b32_e32 v73, v67
	v_pk_mul_f32 v[66:67], v[68:69], v[52:53] op_sel:[0,1]
	s_delay_alu instid0(VALU_DEP_1) | instskip(SKIP_1) | instid1(VALU_DEP_1)
	v_pk_fma_f32 v[70:71], v[68:69], v[50:51], v[66:67] op_sel:[0,0,1] op_sel_hi:[1,1,0] neg_lo:[0,0,1] neg_hi:[0,0,1]
	v_pk_fma_f32 v[66:67], v[68:69], v[50:51], v[66:67] op_sel:[0,0,1] op_sel_hi:[1,0,0]
	v_mov_b32_e32 v71, v67
	ds_load_2addr_b64 v[66:69], v182 offset0:35 offset1:36
	v_pk_add_f32 v[142:143], v[142:143], v[72:73] neg_lo:[0,1] neg_hi:[0,1]
	v_pk_add_f32 v[144:145], v[144:145], v[70:71] neg_lo:[0,1] neg_hi:[0,1]
	s_wait_dscnt 0x0
	v_dual_mul_f32 v70, v67, v53 :: v_dual_mul_f32 v72, v67, v50
	s_delay_alu instid0(VALU_DEP_1) | instskip(NEXT) | instid1(VALU_DEP_2)
	v_pk_fma_f32 v[70:71], v[66:67], v[112:113], v[70:71] op_sel_hi:[1,1,0] neg_lo:[0,0,1] neg_hi:[0,0,1]
	v_pk_fma_f32 v[66:67], v[66:67], v[112:113], v[72:73] op_sel:[1,0,0] op_sel_hi:[0,1,0]
	s_delay_alu instid0(VALU_DEP_1) | instskip(SKIP_1) | instid1(VALU_DEP_2)
	v_mov_b32_e32 v71, v67
	v_pk_mul_f32 v[66:67], v[68:69], v[52:53] op_sel:[0,1]
	v_pk_add_f32 v[140:141], v[140:141], v[70:71] neg_lo:[0,1] neg_hi:[0,1]
	s_delay_alu instid0(VALU_DEP_2) | instskip(SKIP_1) | instid1(VALU_DEP_1)
	v_pk_fma_f32 v[70:71], v[68:69], v[50:51], v[66:67] op_sel:[0,0,1] op_sel_hi:[1,1,0] neg_lo:[0,0,1] neg_hi:[0,0,1]
	v_pk_fma_f32 v[66:67], v[68:69], v[50:51], v[66:67] op_sel:[0,0,1] op_sel_hi:[1,0,0]
	v_mov_b32_e32 v71, v67
	ds_load_2addr_b64 v[66:69], v182 offset0:37 offset1:38
	v_pk_add_f32 v[162:163], v[162:163], v[70:71] neg_lo:[0,1] neg_hi:[0,1]
	s_wait_dscnt 0x0
	v_pk_mul_f32 v[70:71], v[66:67], v[52:53] op_sel:[0,1]
	s_delay_alu instid0(VALU_DEP_1) | instskip(SKIP_1) | instid1(VALU_DEP_1)
	v_pk_fma_f32 v[72:73], v[66:67], v[50:51], v[70:71] op_sel:[0,0,1] op_sel_hi:[1,1,0] neg_lo:[0,0,1] neg_hi:[0,0,1]
	v_pk_fma_f32 v[66:67], v[66:67], v[50:51], v[70:71] op_sel:[0,0,1] op_sel_hi:[1,0,0]
	v_mov_b32_e32 v73, v67
	v_pk_mul_f32 v[66:67], v[68:69], v[52:53] op_sel:[0,1]
	s_delay_alu instid0(VALU_DEP_2) | instskip(NEXT) | instid1(VALU_DEP_2)
	v_pk_add_f32 v[158:159], v[158:159], v[72:73] neg_lo:[0,1] neg_hi:[0,1]
	v_pk_fma_f32 v[70:71], v[68:69], v[50:51], v[66:67] op_sel:[0,0,1] op_sel_hi:[1,1,0] neg_lo:[0,0,1] neg_hi:[0,0,1]
	v_pk_fma_f32 v[66:67], v[68:69], v[50:51], v[66:67] op_sel:[0,0,1] op_sel_hi:[1,0,0]
	s_delay_alu instid0(VALU_DEP_1) | instskip(SKIP_4) | instid1(VALU_DEP_1)
	v_mov_b32_e32 v71, v67
	ds_load_2addr_b64 v[66:69], v182 offset0:39 offset1:40
	v_pk_add_f32 v[160:161], v[160:161], v[70:71] neg_lo:[0,1] neg_hi:[0,1]
	s_wait_dscnt 0x0
	v_pk_mul_f32 v[70:71], v[66:67], v[52:53] op_sel:[0,1]
	v_pk_fma_f32 v[72:73], v[66:67], v[50:51], v[70:71] op_sel:[0,0,1] op_sel_hi:[1,1,0] neg_lo:[0,0,1] neg_hi:[0,0,1]
	v_pk_fma_f32 v[66:67], v[66:67], v[50:51], v[70:71] op_sel:[0,0,1] op_sel_hi:[1,0,0]
	v_dual_mul_f32 v70, v69, v53 :: v_dual_mov_b32 v66, v69
	s_delay_alu instid0(VALU_DEP_2) | instskip(NEXT) | instid1(VALU_DEP_2)
	v_dual_mov_b32 v73, v67 :: v_dual_mov_b32 v67, v68
	v_pk_fma_f32 v[70:71], v[68:69], v[112:113], v[70:71] op_sel_hi:[1,1,0] neg_lo:[0,0,1] neg_hi:[0,0,1]
	v_mul_f32_e32 v68, v69, v50
	s_delay_alu instid0(VALU_DEP_3) | instskip(NEXT) | instid1(VALU_DEP_2)
	v_pk_add_f32 v[156:157], v[156:157], v[72:73] neg_lo:[0,1] neg_hi:[0,1]
	v_pk_fma_f32 v[66:67], v[66:67], v[112:113], v[68:69] op_sel_hi:[1,1,0]
	s_delay_alu instid0(VALU_DEP_1) | instskip(SKIP_4) | instid1(VALU_DEP_1)
	v_mov_b32_e32 v71, v67
	ds_load_2addr_b64 v[66:69], v182 offset0:41 offset1:42
	v_pk_add_f32 v[178:179], v[178:179], v[70:71] neg_lo:[0,1] neg_hi:[0,1]
	s_wait_dscnt 0x0
	v_pk_mul_f32 v[70:71], v[66:67], v[52:53] op_sel:[0,1]
	v_pk_fma_f32 v[72:73], v[66:67], v[50:51], v[70:71] op_sel:[0,0,1] op_sel_hi:[1,1,0] neg_lo:[0,0,1] neg_hi:[0,0,1]
	v_pk_fma_f32 v[66:67], v[66:67], v[50:51], v[70:71] op_sel:[0,0,1] op_sel_hi:[1,0,0]
	s_delay_alu instid0(VALU_DEP_1) | instskip(SKIP_1) | instid1(VALU_DEP_1)
	v_mov_b32_e32 v73, v67
	v_pk_mul_f32 v[66:67], v[68:69], v[52:53] op_sel:[0,1]
	v_pk_fma_f32 v[70:71], v[68:69], v[50:51], v[66:67] op_sel:[0,0,1] op_sel_hi:[1,1,0] neg_lo:[0,0,1] neg_hi:[0,0,1]
	v_pk_fma_f32 v[66:67], v[68:69], v[50:51], v[66:67] op_sel:[0,0,1] op_sel_hi:[1,0,0]
	s_delay_alu instid0(VALU_DEP_1)
	v_mov_b32_e32 v71, v67
	ds_load_2addr_b64 v[66:69], v182 offset0:43 offset1:44
	v_pk_add_f32 v[174:175], v[174:175], v[72:73] neg_lo:[0,1] neg_hi:[0,1]
	v_pk_add_f32 v[176:177], v[176:177], v[70:71] neg_lo:[0,1] neg_hi:[0,1]
	s_wait_dscnt 0x0
	v_pk_mul_f32 v[70:71], v[66:67], v[52:53] op_sel:[0,1]
	s_delay_alu instid0(VALU_DEP_1) | instskip(SKIP_1) | instid1(VALU_DEP_1)
	v_pk_fma_f32 v[72:73], v[66:67], v[50:51], v[70:71] op_sel:[0,0,1] op_sel_hi:[1,1,0] neg_lo:[0,0,1] neg_hi:[0,0,1]
	v_pk_fma_f32 v[66:67], v[66:67], v[50:51], v[70:71] op_sel:[0,0,1] op_sel_hi:[1,0,0]
	v_mov_b32_e32 v73, v67
	v_pk_mul_f32 v[66:67], v[68:69], v[52:53] op_sel:[0,1]
	s_delay_alu instid0(VALU_DEP_1) | instskip(SKIP_1) | instid1(VALU_DEP_1)
	v_pk_fma_f32 v[70:71], v[68:69], v[50:51], v[66:67] op_sel:[0,0,1] op_sel_hi:[1,1,0] neg_lo:[0,0,1] neg_hi:[0,0,1]
	v_pk_fma_f32 v[66:67], v[68:69], v[50:51], v[66:67] op_sel:[0,0,1] op_sel_hi:[1,0,0]
	v_mov_b32_e32 v71, v67
	ds_load_2addr_b64 v[66:69], v182 offset0:45 offset1:46
	v_pk_add_f32 v[172:173], v[172:173], v[72:73] neg_lo:[0,1] neg_hi:[0,1]
	v_pk_add_f32 v[200:201], v[200:201], v[70:71] neg_lo:[0,1] neg_hi:[0,1]
	s_wait_dscnt 0x0
	v_dual_mul_f32 v70, v67, v53 :: v_dual_mul_f32 v72, v67, v50
	s_delay_alu instid0(VALU_DEP_1) | instskip(NEXT) | instid1(VALU_DEP_2)
	v_pk_fma_f32 v[70:71], v[66:67], v[112:113], v[70:71] op_sel_hi:[1,1,0] neg_lo:[0,0,1] neg_hi:[0,0,1]
	v_pk_fma_f32 v[66:67], v[66:67], v[112:113], v[72:73] op_sel:[1,0,0] op_sel_hi:[0,1,0]
	s_delay_alu instid0(VALU_DEP_1) | instskip(SKIP_1) | instid1(VALU_DEP_2)
	v_mov_b32_e32 v71, v67
	v_pk_mul_f32 v[66:67], v[68:69], v[52:53] op_sel:[0,1]
	v_pk_add_f32 v[196:197], v[196:197], v[70:71] neg_lo:[0,1] neg_hi:[0,1]
	s_delay_alu instid0(VALU_DEP_2) | instskip(SKIP_1) | instid1(VALU_DEP_1)
	v_pk_fma_f32 v[70:71], v[68:69], v[50:51], v[66:67] op_sel:[0,0,1] op_sel_hi:[1,1,0] neg_lo:[0,0,1] neg_hi:[0,0,1]
	v_pk_fma_f32 v[66:67], v[68:69], v[50:51], v[66:67] op_sel:[0,0,1] op_sel_hi:[1,0,0]
	v_mov_b32_e32 v71, v67
	ds_load_2addr_b64 v[66:69], v182 offset0:47 offset1:48
	v_pk_add_f32 v[198:199], v[198:199], v[70:71] neg_lo:[0,1] neg_hi:[0,1]
	s_wait_dscnt 0x0
	v_pk_mul_f32 v[70:71], v[66:67], v[52:53] op_sel:[0,1]
	s_delay_alu instid0(VALU_DEP_1) | instskip(SKIP_1) | instid1(VALU_DEP_1)
	v_pk_fma_f32 v[72:73], v[66:67], v[50:51], v[70:71] op_sel:[0,0,1] op_sel_hi:[1,1,0] neg_lo:[0,0,1] neg_hi:[0,0,1]
	v_pk_fma_f32 v[66:67], v[66:67], v[50:51], v[70:71] op_sel:[0,0,1] op_sel_hi:[1,0,0]
	v_mov_b32_e32 v73, v67
	v_pk_mul_f32 v[66:67], v[68:69], v[52:53] op_sel:[0,1]
	s_delay_alu instid0(VALU_DEP_2) | instskip(NEXT) | instid1(VALU_DEP_2)
	v_pk_add_f32 v[194:195], v[194:195], v[72:73] neg_lo:[0,1] neg_hi:[0,1]
	v_pk_fma_f32 v[70:71], v[68:69], v[50:51], v[66:67] op_sel:[0,0,1] op_sel_hi:[1,1,0] neg_lo:[0,0,1] neg_hi:[0,0,1]
	v_pk_fma_f32 v[66:67], v[68:69], v[50:51], v[66:67] op_sel:[0,0,1] op_sel_hi:[1,0,0]
	s_delay_alu instid0(VALU_DEP_1) | instskip(SKIP_4) | instid1(VALU_DEP_1)
	v_mov_b32_e32 v71, v67
	ds_load_2addr_b64 v[66:69], v182 offset0:49 offset1:50
	v_pk_add_f32 v[224:225], v[224:225], v[70:71] neg_lo:[0,1] neg_hi:[0,1]
	s_wait_dscnt 0x0
	v_pk_mul_f32 v[70:71], v[66:67], v[52:53] op_sel:[0,1]
	v_pk_fma_f32 v[72:73], v[66:67], v[50:51], v[70:71] op_sel:[0,0,1] op_sel_hi:[1,1,0] neg_lo:[0,0,1] neg_hi:[0,0,1]
	v_pk_fma_f32 v[66:67], v[66:67], v[50:51], v[70:71] op_sel:[0,0,1] op_sel_hi:[1,0,0]
	v_dual_mul_f32 v70, v69, v53 :: v_dual_mov_b32 v66, v69
	s_delay_alu instid0(VALU_DEP_2) | instskip(NEXT) | instid1(VALU_DEP_2)
	v_dual_mov_b32 v73, v67 :: v_dual_mov_b32 v67, v68
	v_pk_fma_f32 v[70:71], v[68:69], v[112:113], v[70:71] op_sel_hi:[1,1,0] neg_lo:[0,0,1] neg_hi:[0,0,1]
	v_mul_f32_e32 v68, v69, v50
	s_delay_alu instid0(VALU_DEP_3) | instskip(NEXT) | instid1(VALU_DEP_2)
	v_pk_add_f32 v[216:217], v[216:217], v[72:73] neg_lo:[0,1] neg_hi:[0,1]
	v_pk_fma_f32 v[66:67], v[66:67], v[112:113], v[68:69] op_sel_hi:[1,1,0]
	s_delay_alu instid0(VALU_DEP_1) | instskip(SKIP_4) | instid1(VALU_DEP_1)
	v_mov_b32_e32 v71, v67
	ds_load_2addr_b64 v[66:69], v182 offset0:51 offset1:52
	v_pk_add_f32 v[222:223], v[222:223], v[70:71] neg_lo:[0,1] neg_hi:[0,1]
	s_wait_dscnt 0x0
	v_pk_mul_f32 v[70:71], v[66:67], v[52:53] op_sel:[0,1]
	v_pk_fma_f32 v[72:73], v[66:67], v[50:51], v[70:71] op_sel:[0,0,1] op_sel_hi:[1,1,0] neg_lo:[0,0,1] neg_hi:[0,0,1]
	v_pk_fma_f32 v[66:67], v[66:67], v[50:51], v[70:71] op_sel:[0,0,1] op_sel_hi:[1,0,0]
	s_delay_alu instid0(VALU_DEP_1) | instskip(SKIP_1) | instid1(VALU_DEP_1)
	v_mov_b32_e32 v73, v67
	v_pk_mul_f32 v[66:67], v[68:69], v[52:53] op_sel:[0,1]
	v_pk_fma_f32 v[70:71], v[68:69], v[50:51], v[66:67] op_sel:[0,0,1] op_sel_hi:[1,1,0] neg_lo:[0,0,1] neg_hi:[0,0,1]
	v_pk_fma_f32 v[66:67], v[68:69], v[50:51], v[66:67] op_sel:[0,0,1] op_sel_hi:[1,0,0]
	s_delay_alu instid0(VALU_DEP_1)
	v_mov_b32_e32 v71, v67
	ds_load_2addr_b64 v[66:69], v182 offset0:53 offset1:54
	v_pk_add_f32 v[214:215], v[214:215], v[72:73] neg_lo:[0,1] neg_hi:[0,1]
	v_pk_add_f32 v[220:221], v[220:221], v[70:71] neg_lo:[0,1] neg_hi:[0,1]
	s_wait_dscnt 0x0
	v_pk_mul_f32 v[70:71], v[66:67], v[52:53] op_sel:[0,1]
	s_delay_alu instid0(VALU_DEP_1) | instskip(SKIP_1) | instid1(VALU_DEP_1)
	v_pk_fma_f32 v[72:73], v[66:67], v[50:51], v[70:71] op_sel:[0,0,1] op_sel_hi:[1,1,0] neg_lo:[0,0,1] neg_hi:[0,0,1]
	v_pk_fma_f32 v[66:67], v[66:67], v[50:51], v[70:71] op_sel:[0,0,1] op_sel_hi:[1,0,0]
	v_mov_b32_e32 v73, v67
	v_pk_mul_f32 v[66:67], v[68:69], v[52:53] op_sel:[0,1]
	s_delay_alu instid0(VALU_DEP_1) | instskip(SKIP_1) | instid1(VALU_DEP_1)
	v_pk_fma_f32 v[70:71], v[68:69], v[50:51], v[66:67] op_sel:[0,0,1] op_sel_hi:[1,1,0] neg_lo:[0,0,1] neg_hi:[0,0,1]
	v_pk_fma_f32 v[66:67], v[68:69], v[50:51], v[66:67] op_sel:[0,0,1] op_sel_hi:[1,0,0]
	v_mov_b32_e32 v71, v67
	ds_load_2addr_b64 v[66:69], v182 offset0:55 offset1:56
	v_pk_add_f32 v[212:213], v[212:213], v[72:73] neg_lo:[0,1] neg_hi:[0,1]
	v_pk_add_f32 v[218:219], v[218:219], v[70:71] neg_lo:[0,1] neg_hi:[0,1]
	s_wait_dscnt 0x0
	v_mul_f32_e32 v52, v67, v53
	s_delay_alu instid0(VALU_DEP_1) | instskip(SKIP_1) | instid1(VALU_DEP_1)
	v_pk_fma_f32 v[70:71], v[66:67], v[112:113], v[52:53] op_sel_hi:[1,1,0] neg_lo:[0,0,1] neg_hi:[0,0,1]
	v_dual_mul_f32 v52, v67, v50 :: v_dual_mul_f32 v50, v69, v50
	v_pk_fma_f32 v[66:67], v[66:67], v[112:113], v[52:53] op_sel:[1,0,0] op_sel_hi:[0,1,0]
	v_dual_mov_b32 v66, v69 :: v_dual_mul_f32 v52, v69, v53
	s_delay_alu instid0(VALU_DEP_2) | instskip(NEXT) | instid1(VALU_DEP_2)
	v_dual_mov_b32 v71, v67 :: v_dual_mov_b32 v67, v68
	v_pk_fma_f32 v[52:53], v[68:69], v[112:113], v[52:53] op_sel_hi:[1,1,0] neg_lo:[0,0,1] neg_hi:[0,0,1]
	s_delay_alu instid0(VALU_DEP_2) | instskip(NEXT) | instid1(VALU_DEP_3)
	v_pk_add_f32 v[226:227], v[226:227], v[70:71] neg_lo:[0,1] neg_hi:[0,1]
	v_pk_fma_f32 v[50:51], v[66:67], v[112:113], v[50:51] op_sel_hi:[1,1,0]
	s_delay_alu instid0(VALU_DEP_1) | instskip(NEXT) | instid1(VALU_DEP_1)
	v_mov_b32_e32 v53, v51
	v_pk_add_f32 v[228:229], v[228:229], v[52:53] neg_lo:[0,1] neg_hi:[0,1]
.LBB113_244:
	s_or_b32 exec_lo, exec_lo, s1
	s_delay_alu instid0(SALU_CYCLE_1)
	s_mov_b32 s2, exec_lo
	s_wait_dscnt 0x0
	s_barrier_signal -1
	s_barrier_wait -1
	v_cmpx_eq_u32_e32 27, v180
	s_cbranch_execz .LBB113_251
; %bb.245:
	v_dual_mov_b32 v50, v130 :: v_dual_mov_b32 v51, v131
	v_dual_mov_b32 v52, v126 :: v_dual_mov_b32 v53, v127
	ds_store_b64 v181, v[108:109]
	ds_store_2addr_b64 v182, v[50:51], v[52:53] offset0:28 offset1:29
	v_dual_mov_b32 v50, v128 :: v_dual_mov_b32 v51, v129
	v_dual_mov_b32 v52, v124 :: v_dual_mov_b32 v53, v125
	ds_store_2addr_b64 v182, v[50:51], v[52:53] offset0:30 offset1:31
	v_dual_mov_b32 v50, v146 :: v_dual_mov_b32 v51, v147
	v_dual_mov_b32 v52, v142 :: v_dual_mov_b32 v53, v143
	;; [unrolled: 3-line block ×13, first 2 shown]
	ds_store_2addr_b64 v182, v[50:51], v[52:53] offset0:54 offset1:55
	ds_store_b64 v182, v[228:229] offset:448
	ds_load_b64 v[50:51], v181
	s_wait_dscnt 0x0
	v_cmp_neq_f32_e32 vcc_lo, 0, v50
	v_cmp_neq_f32_e64 s1, 0, v51
	s_or_b32 s1, vcc_lo, s1
	s_delay_alu instid0(SALU_CYCLE_1)
	s_and_b32 exec_lo, exec_lo, s1
	s_cbranch_execz .LBB113_251
; %bb.246:
	v_cmp_ngt_f32_e64 s1, |v50|, |v51|
                                        ; implicit-def: $vgpr52_vgpr53
	s_and_saveexec_b32 s4, s1
	s_delay_alu instid0(SALU_CYCLE_1)
	s_xor_b32 s1, exec_lo, s4
	s_cbranch_execz .LBB113_248
; %bb.247:
	v_div_scale_f32 v52, null, v51, v51, v50
	v_div_scale_f32 v67, vcc_lo, v50, v51, v50
	s_delay_alu instid0(VALU_DEP_2) | instskip(SKIP_1) | instid1(TRANS32_DEP_1)
	v_rcp_f32_e32 v53, v52
	v_nop
	v_fma_f32 v66, -v52, v53, 1.0
	s_delay_alu instid0(VALU_DEP_1) | instskip(NEXT) | instid1(VALU_DEP_1)
	v_fmac_f32_e32 v53, v66, v53
	v_mul_f32_e32 v66, v67, v53
	s_delay_alu instid0(VALU_DEP_1) | instskip(NEXT) | instid1(VALU_DEP_1)
	v_fma_f32 v68, -v52, v66, v67
	v_fmac_f32_e32 v66, v68, v53
	s_delay_alu instid0(VALU_DEP_1) | instskip(NEXT) | instid1(VALU_DEP_1)
	v_fma_f32 v52, -v52, v66, v67
	v_div_fmas_f32 v52, v52, v53, v66
	s_delay_alu instid0(VALU_DEP_1) | instskip(NEXT) | instid1(VALU_DEP_1)
	v_div_fixup_f32 v52, v52, v51, v50
	v_fmac_f32_e32 v51, v50, v52
	s_delay_alu instid0(VALU_DEP_1) | instskip(SKIP_1) | instid1(VALU_DEP_2)
	v_div_scale_f32 v50, null, v51, v51, 1.0
	v_div_scale_f32 v67, vcc_lo, 1.0, v51, 1.0
	v_rcp_f32_e32 v53, v50
	v_nop
	s_delay_alu instid0(TRANS32_DEP_1) | instskip(NEXT) | instid1(VALU_DEP_1)
	v_fma_f32 v66, -v50, v53, 1.0
	v_fmac_f32_e32 v53, v66, v53
	s_delay_alu instid0(VALU_DEP_1) | instskip(NEXT) | instid1(VALU_DEP_1)
	v_mul_f32_e32 v66, v67, v53
	v_fma_f32 v68, -v50, v66, v67
	s_delay_alu instid0(VALU_DEP_1) | instskip(NEXT) | instid1(VALU_DEP_1)
	v_fmac_f32_e32 v66, v68, v53
	v_fma_f32 v50, -v50, v66, v67
	s_delay_alu instid0(VALU_DEP_1) | instskip(NEXT) | instid1(VALU_DEP_1)
	v_div_fmas_f32 v50, v50, v53, v66
	v_div_fixup_f32 v50, v50, v51, 1.0
	s_delay_alu instid0(VALU_DEP_1)
	v_mul_f32_e32 v52, v52, v50
	v_xor_b32_e32 v53, 0x80000000, v50
                                        ; implicit-def: $vgpr50_vgpr51
.LBB113_248:
	s_and_not1_saveexec_b32 s1, s1
	s_cbranch_execz .LBB113_250
; %bb.249:
	v_div_scale_f32 v52, null, v50, v50, v51
	v_div_scale_f32 v67, vcc_lo, v51, v50, v51
	s_delay_alu instid0(VALU_DEP_2) | instskip(SKIP_1) | instid1(TRANS32_DEP_1)
	v_rcp_f32_e32 v53, v52
	v_nop
	v_fma_f32 v66, -v52, v53, 1.0
	s_delay_alu instid0(VALU_DEP_1) | instskip(NEXT) | instid1(VALU_DEP_1)
	v_fmac_f32_e32 v53, v66, v53
	v_mul_f32_e32 v66, v67, v53
	s_delay_alu instid0(VALU_DEP_1) | instskip(NEXT) | instid1(VALU_DEP_1)
	v_fma_f32 v68, -v52, v66, v67
	v_fmac_f32_e32 v66, v68, v53
	s_delay_alu instid0(VALU_DEP_1) | instskip(NEXT) | instid1(VALU_DEP_1)
	v_fma_f32 v52, -v52, v66, v67
	v_div_fmas_f32 v52, v52, v53, v66
	s_delay_alu instid0(VALU_DEP_1) | instskip(NEXT) | instid1(VALU_DEP_1)
	v_div_fixup_f32 v53, v52, v50, v51
	v_fmac_f32_e32 v50, v51, v53
	s_delay_alu instid0(VALU_DEP_1) | instskip(NEXT) | instid1(VALU_DEP_1)
	v_div_scale_f32 v51, null, v50, v50, 1.0
	v_rcp_f32_e32 v52, v51
	v_nop
	s_delay_alu instid0(TRANS32_DEP_1) | instskip(NEXT) | instid1(VALU_DEP_1)
	v_fma_f32 v66, -v51, v52, 1.0
	v_fmac_f32_e32 v52, v66, v52
	v_div_scale_f32 v66, vcc_lo, 1.0, v50, 1.0
	s_delay_alu instid0(VALU_DEP_1) | instskip(NEXT) | instid1(VALU_DEP_1)
	v_mul_f32_e32 v67, v66, v52
	v_fma_f32 v68, -v51, v67, v66
	s_delay_alu instid0(VALU_DEP_1) | instskip(NEXT) | instid1(VALU_DEP_1)
	v_fmac_f32_e32 v67, v68, v52
	v_fma_f32 v51, -v51, v67, v66
	s_delay_alu instid0(VALU_DEP_1) | instskip(NEXT) | instid1(VALU_DEP_1)
	v_div_fmas_f32 v51, v51, v52, v67
	v_div_fixup_f32 v52, v51, v50, 1.0
	s_delay_alu instid0(VALU_DEP_1)
	v_mul_f32_e64 v53, v53, -v52
.LBB113_250:
	s_or_b32 exec_lo, exec_lo, s1
	ds_store_b64 v181, v[52:53]
.LBB113_251:
	s_or_b32 exec_lo, exec_lo, s2
	s_wait_dscnt 0x0
	s_barrier_signal -1
	s_barrier_wait -1
	ds_load_b64 v[50:51], v181
	s_mov_b32 s1, exec_lo
	v_cmpx_lt_u32_e32 27, v180
	s_cbranch_execz .LBB113_253
; %bb.252:
	ds_load_2addr_b64 v[68:71], v182 offset0:28 offset1:29
	s_wait_dscnt 0x1
	v_pk_mul_f32 v[66:67], v[50:51], v[108:109] op_sel:[1,1] op_sel_hi:[0,1]
	s_delay_alu instid0(VALU_DEP_1) | instskip(SKIP_1) | instid1(VALU_DEP_1)
	v_pk_fma_f32 v[52:53], v[50:51], v[108:109], v[66:67] op_sel_hi:[1,0,1] neg_lo:[0,0,1] neg_hi:[0,0,1]
	v_pk_fma_f32 v[66:67], v[50:51], v[108:109], v[66:67] op_sel_hi:[1,0,1]
	v_dual_mov_b32 v108, v52 :: v_dual_mov_b32 v109, v67
	s_wait_dscnt 0x0
	s_delay_alu instid0(VALU_DEP_2) | instskip(NEXT) | instid1(VALU_DEP_1)
	v_pk_mul_f32 v[72:73], v[68:69], v[66:67] op_sel:[0,1]
	v_pk_fma_f32 v[82:83], v[68:69], v[52:53], v[72:73] op_sel:[0,0,1] op_sel_hi:[1,1,0] neg_lo:[0,0,1] neg_hi:[0,0,1]
	v_pk_fma_f32 v[68:69], v[68:69], v[52:53], v[72:73] op_sel:[0,0,1] op_sel_hi:[1,0,0]
	s_delay_alu instid0(VALU_DEP_1) | instskip(SKIP_1) | instid1(VALU_DEP_1)
	v_mov_b32_e32 v83, v69
	v_pk_mul_f32 v[68:69], v[70:71], v[66:67] op_sel:[0,1]
	v_pk_fma_f32 v[72:73], v[70:71], v[52:53], v[68:69] op_sel:[0,0,1] op_sel_hi:[1,1,0] neg_lo:[0,0,1] neg_hi:[0,0,1]
	v_pk_fma_f32 v[68:69], v[70:71], v[52:53], v[68:69] op_sel:[0,0,1] op_sel_hi:[1,0,0]
	s_delay_alu instid0(VALU_DEP_1)
	v_mov_b32_e32 v73, v69
	ds_load_2addr_b64 v[68:71], v182 offset0:30 offset1:31
	v_pk_add_f32 v[130:131], v[130:131], v[82:83] neg_lo:[0,1] neg_hi:[0,1]
	v_pk_add_f32 v[126:127], v[126:127], v[72:73] neg_lo:[0,1] neg_hi:[0,1]
	s_wait_dscnt 0x0
	v_pk_mul_f32 v[72:73], v[68:69], v[66:67] op_sel:[0,1]
	s_delay_alu instid0(VALU_DEP_1) | instskip(SKIP_2) | instid1(VALU_DEP_2)
	v_pk_fma_f32 v[82:83], v[68:69], v[52:53], v[72:73] op_sel:[0,0,1] op_sel_hi:[1,1,0] neg_lo:[0,0,1] neg_hi:[0,0,1]
	v_pk_fma_f32 v[68:69], v[68:69], v[52:53], v[72:73] op_sel:[0,0,1] op_sel_hi:[1,0,0]
	v_dual_mul_f32 v72, v71, v67 :: v_dual_mov_b32 v68, v71
	v_dual_mov_b32 v83, v69 :: v_dual_mov_b32 v69, v70
	s_delay_alu instid0(VALU_DEP_2) | instskip(SKIP_1) | instid1(VALU_DEP_3)
	v_pk_fma_f32 v[72:73], v[70:71], v[108:109], v[72:73] op_sel_hi:[1,1,0] neg_lo:[0,0,1] neg_hi:[0,0,1]
	v_mul_f32_e32 v70, v71, v52
	v_pk_add_f32 v[128:129], v[128:129], v[82:83] neg_lo:[0,1] neg_hi:[0,1]
	s_delay_alu instid0(VALU_DEP_2) | instskip(NEXT) | instid1(VALU_DEP_1)
	v_pk_fma_f32 v[68:69], v[68:69], v[108:109], v[70:71] op_sel_hi:[1,1,0]
	v_mov_b32_e32 v73, v69
	ds_load_2addr_b64 v[68:71], v182 offset0:32 offset1:33
	v_pk_add_f32 v[124:125], v[124:125], v[72:73] neg_lo:[0,1] neg_hi:[0,1]
	s_wait_dscnt 0x0
	v_pk_mul_f32 v[72:73], v[68:69], v[66:67] op_sel:[0,1]
	s_delay_alu instid0(VALU_DEP_1) | instskip(SKIP_1) | instid1(VALU_DEP_1)
	v_pk_fma_f32 v[82:83], v[68:69], v[52:53], v[72:73] op_sel:[0,0,1] op_sel_hi:[1,1,0] neg_lo:[0,0,1] neg_hi:[0,0,1]
	v_pk_fma_f32 v[68:69], v[68:69], v[52:53], v[72:73] op_sel:[0,0,1] op_sel_hi:[1,0,0]
	v_mov_b32_e32 v83, v69
	v_pk_mul_f32 v[68:69], v[70:71], v[66:67] op_sel:[0,1]
	s_delay_alu instid0(VALU_DEP_1) | instskip(SKIP_1) | instid1(VALU_DEP_1)
	v_pk_fma_f32 v[72:73], v[70:71], v[52:53], v[68:69] op_sel:[0,0,1] op_sel_hi:[1,1,0] neg_lo:[0,0,1] neg_hi:[0,0,1]
	v_pk_fma_f32 v[68:69], v[70:71], v[52:53], v[68:69] op_sel:[0,0,1] op_sel_hi:[1,0,0]
	v_mov_b32_e32 v73, v69
	ds_load_2addr_b64 v[68:71], v182 offset0:34 offset1:35
	v_pk_add_f32 v[146:147], v[146:147], v[82:83] neg_lo:[0,1] neg_hi:[0,1]
	v_pk_add_f32 v[142:143], v[142:143], v[72:73] neg_lo:[0,1] neg_hi:[0,1]
	s_wait_dscnt 0x0
	v_pk_mul_f32 v[72:73], v[68:69], v[66:67] op_sel:[0,1]
	s_delay_alu instid0(VALU_DEP_1) | instskip(SKIP_1) | instid1(VALU_DEP_1)
	v_pk_fma_f32 v[82:83], v[68:69], v[52:53], v[72:73] op_sel:[0,0,1] op_sel_hi:[1,1,0] neg_lo:[0,0,1] neg_hi:[0,0,1]
	v_pk_fma_f32 v[68:69], v[68:69], v[52:53], v[72:73] op_sel:[0,0,1] op_sel_hi:[1,0,0]
	v_mov_b32_e32 v83, v69
	v_pk_mul_f32 v[68:69], v[70:71], v[66:67] op_sel:[0,1]
	s_delay_alu instid0(VALU_DEP_1) | instskip(SKIP_1) | instid1(VALU_DEP_1)
	v_pk_fma_f32 v[72:73], v[70:71], v[52:53], v[68:69] op_sel:[0,0,1] op_sel_hi:[1,1,0] neg_lo:[0,0,1] neg_hi:[0,0,1]
	v_pk_fma_f32 v[68:69], v[70:71], v[52:53], v[68:69] op_sel:[0,0,1] op_sel_hi:[1,0,0]
	v_mov_b32_e32 v73, v69
	ds_load_2addr_b64 v[68:71], v182 offset0:36 offset1:37
	v_pk_add_f32 v[144:145], v[144:145], v[82:83] neg_lo:[0,1] neg_hi:[0,1]
	v_pk_add_f32 v[140:141], v[140:141], v[72:73] neg_lo:[0,1] neg_hi:[0,1]
	s_wait_dscnt 0x0
	v_dual_mul_f32 v72, v69, v67 :: v_dual_mul_f32 v82, v69, v52
	s_delay_alu instid0(VALU_DEP_1) | instskip(NEXT) | instid1(VALU_DEP_2)
	v_pk_fma_f32 v[72:73], v[68:69], v[108:109], v[72:73] op_sel_hi:[1,1,0] neg_lo:[0,0,1] neg_hi:[0,0,1]
	v_pk_fma_f32 v[68:69], v[68:69], v[108:109], v[82:83] op_sel:[1,0,0] op_sel_hi:[0,1,0]
	s_delay_alu instid0(VALU_DEP_1) | instskip(SKIP_1) | instid1(VALU_DEP_2)
	v_mov_b32_e32 v73, v69
	v_pk_mul_f32 v[68:69], v[70:71], v[66:67] op_sel:[0,1]
	v_pk_add_f32 v[162:163], v[162:163], v[72:73] neg_lo:[0,1] neg_hi:[0,1]
	s_delay_alu instid0(VALU_DEP_2) | instskip(SKIP_1) | instid1(VALU_DEP_1)
	v_pk_fma_f32 v[72:73], v[70:71], v[52:53], v[68:69] op_sel:[0,0,1] op_sel_hi:[1,1,0] neg_lo:[0,0,1] neg_hi:[0,0,1]
	v_pk_fma_f32 v[68:69], v[70:71], v[52:53], v[68:69] op_sel:[0,0,1] op_sel_hi:[1,0,0]
	v_mov_b32_e32 v73, v69
	ds_load_2addr_b64 v[68:71], v182 offset0:38 offset1:39
	v_pk_add_f32 v[158:159], v[158:159], v[72:73] neg_lo:[0,1] neg_hi:[0,1]
	s_wait_dscnt 0x0
	v_pk_mul_f32 v[72:73], v[68:69], v[66:67] op_sel:[0,1]
	s_delay_alu instid0(VALU_DEP_1) | instskip(SKIP_1) | instid1(VALU_DEP_1)
	v_pk_fma_f32 v[82:83], v[68:69], v[52:53], v[72:73] op_sel:[0,0,1] op_sel_hi:[1,1,0] neg_lo:[0,0,1] neg_hi:[0,0,1]
	v_pk_fma_f32 v[68:69], v[68:69], v[52:53], v[72:73] op_sel:[0,0,1] op_sel_hi:[1,0,0]
	v_mov_b32_e32 v83, v69
	v_pk_mul_f32 v[68:69], v[70:71], v[66:67] op_sel:[0,1]
	s_delay_alu instid0(VALU_DEP_2) | instskip(NEXT) | instid1(VALU_DEP_2)
	v_pk_add_f32 v[160:161], v[160:161], v[82:83] neg_lo:[0,1] neg_hi:[0,1]
	v_pk_fma_f32 v[72:73], v[70:71], v[52:53], v[68:69] op_sel:[0,0,1] op_sel_hi:[1,1,0] neg_lo:[0,0,1] neg_hi:[0,0,1]
	v_pk_fma_f32 v[68:69], v[70:71], v[52:53], v[68:69] op_sel:[0,0,1] op_sel_hi:[1,0,0]
	s_delay_alu instid0(VALU_DEP_1) | instskip(SKIP_4) | instid1(VALU_DEP_1)
	v_mov_b32_e32 v73, v69
	ds_load_2addr_b64 v[68:71], v182 offset0:40 offset1:41
	v_pk_add_f32 v[156:157], v[156:157], v[72:73] neg_lo:[0,1] neg_hi:[0,1]
	s_wait_dscnt 0x0
	v_pk_mul_f32 v[72:73], v[68:69], v[66:67] op_sel:[0,1]
	v_pk_fma_f32 v[82:83], v[68:69], v[52:53], v[72:73] op_sel:[0,0,1] op_sel_hi:[1,1,0] neg_lo:[0,0,1] neg_hi:[0,0,1]
	v_pk_fma_f32 v[68:69], v[68:69], v[52:53], v[72:73] op_sel:[0,0,1] op_sel_hi:[1,0,0]
	v_dual_mul_f32 v72, v71, v67 :: v_dual_mov_b32 v68, v71
	s_delay_alu instid0(VALU_DEP_2) | instskip(NEXT) | instid1(VALU_DEP_2)
	v_dual_mov_b32 v83, v69 :: v_dual_mov_b32 v69, v70
	v_pk_fma_f32 v[72:73], v[70:71], v[108:109], v[72:73] op_sel_hi:[1,1,0] neg_lo:[0,0,1] neg_hi:[0,0,1]
	v_mul_f32_e32 v70, v71, v52
	s_delay_alu instid0(VALU_DEP_3) | instskip(NEXT) | instid1(VALU_DEP_2)
	v_pk_add_f32 v[178:179], v[178:179], v[82:83] neg_lo:[0,1] neg_hi:[0,1]
	v_pk_fma_f32 v[68:69], v[68:69], v[108:109], v[70:71] op_sel_hi:[1,1,0]
	s_delay_alu instid0(VALU_DEP_1) | instskip(SKIP_4) | instid1(VALU_DEP_1)
	v_mov_b32_e32 v73, v69
	ds_load_2addr_b64 v[68:71], v182 offset0:42 offset1:43
	v_pk_add_f32 v[174:175], v[174:175], v[72:73] neg_lo:[0,1] neg_hi:[0,1]
	s_wait_dscnt 0x0
	v_pk_mul_f32 v[72:73], v[68:69], v[66:67] op_sel:[0,1]
	v_pk_fma_f32 v[82:83], v[68:69], v[52:53], v[72:73] op_sel:[0,0,1] op_sel_hi:[1,1,0] neg_lo:[0,0,1] neg_hi:[0,0,1]
	v_pk_fma_f32 v[68:69], v[68:69], v[52:53], v[72:73] op_sel:[0,0,1] op_sel_hi:[1,0,0]
	s_delay_alu instid0(VALU_DEP_1) | instskip(SKIP_1) | instid1(VALU_DEP_1)
	v_mov_b32_e32 v83, v69
	v_pk_mul_f32 v[68:69], v[70:71], v[66:67] op_sel:[0,1]
	v_pk_fma_f32 v[72:73], v[70:71], v[52:53], v[68:69] op_sel:[0,0,1] op_sel_hi:[1,1,0] neg_lo:[0,0,1] neg_hi:[0,0,1]
	v_pk_fma_f32 v[68:69], v[70:71], v[52:53], v[68:69] op_sel:[0,0,1] op_sel_hi:[1,0,0]
	s_delay_alu instid0(VALU_DEP_1)
	v_mov_b32_e32 v73, v69
	ds_load_2addr_b64 v[68:71], v182 offset0:44 offset1:45
	v_pk_add_f32 v[176:177], v[176:177], v[82:83] neg_lo:[0,1] neg_hi:[0,1]
	v_pk_add_f32 v[172:173], v[172:173], v[72:73] neg_lo:[0,1] neg_hi:[0,1]
	s_wait_dscnt 0x0
	v_pk_mul_f32 v[72:73], v[68:69], v[66:67] op_sel:[0,1]
	s_delay_alu instid0(VALU_DEP_1) | instskip(SKIP_1) | instid1(VALU_DEP_1)
	v_pk_fma_f32 v[82:83], v[68:69], v[52:53], v[72:73] op_sel:[0,0,1] op_sel_hi:[1,1,0] neg_lo:[0,0,1] neg_hi:[0,0,1]
	v_pk_fma_f32 v[68:69], v[68:69], v[52:53], v[72:73] op_sel:[0,0,1] op_sel_hi:[1,0,0]
	v_mov_b32_e32 v83, v69
	v_pk_mul_f32 v[68:69], v[70:71], v[66:67] op_sel:[0,1]
	s_delay_alu instid0(VALU_DEP_1) | instskip(SKIP_1) | instid1(VALU_DEP_1)
	v_pk_fma_f32 v[72:73], v[70:71], v[52:53], v[68:69] op_sel:[0,0,1] op_sel_hi:[1,1,0] neg_lo:[0,0,1] neg_hi:[0,0,1]
	v_pk_fma_f32 v[68:69], v[70:71], v[52:53], v[68:69] op_sel:[0,0,1] op_sel_hi:[1,0,0]
	v_mov_b32_e32 v73, v69
	ds_load_2addr_b64 v[68:71], v182 offset0:46 offset1:47
	v_pk_add_f32 v[200:201], v[200:201], v[82:83] neg_lo:[0,1] neg_hi:[0,1]
	v_pk_add_f32 v[196:197], v[196:197], v[72:73] neg_lo:[0,1] neg_hi:[0,1]
	s_wait_dscnt 0x0
	v_dual_mul_f32 v72, v69, v67 :: v_dual_mul_f32 v82, v69, v52
	s_delay_alu instid0(VALU_DEP_1) | instskip(NEXT) | instid1(VALU_DEP_2)
	v_pk_fma_f32 v[72:73], v[68:69], v[108:109], v[72:73] op_sel_hi:[1,1,0] neg_lo:[0,0,1] neg_hi:[0,0,1]
	v_pk_fma_f32 v[68:69], v[68:69], v[108:109], v[82:83] op_sel:[1,0,0] op_sel_hi:[0,1,0]
	s_delay_alu instid0(VALU_DEP_1) | instskip(SKIP_1) | instid1(VALU_DEP_2)
	v_mov_b32_e32 v73, v69
	v_pk_mul_f32 v[68:69], v[70:71], v[66:67] op_sel:[0,1]
	v_pk_add_f32 v[198:199], v[198:199], v[72:73] neg_lo:[0,1] neg_hi:[0,1]
	s_delay_alu instid0(VALU_DEP_2) | instskip(SKIP_1) | instid1(VALU_DEP_1)
	v_pk_fma_f32 v[72:73], v[70:71], v[52:53], v[68:69] op_sel:[0,0,1] op_sel_hi:[1,1,0] neg_lo:[0,0,1] neg_hi:[0,0,1]
	v_pk_fma_f32 v[68:69], v[70:71], v[52:53], v[68:69] op_sel:[0,0,1] op_sel_hi:[1,0,0]
	v_mov_b32_e32 v73, v69
	ds_load_2addr_b64 v[68:71], v182 offset0:48 offset1:49
	v_pk_add_f32 v[194:195], v[194:195], v[72:73] neg_lo:[0,1] neg_hi:[0,1]
	s_wait_dscnt 0x0
	v_pk_mul_f32 v[72:73], v[68:69], v[66:67] op_sel:[0,1]
	s_delay_alu instid0(VALU_DEP_1) | instskip(SKIP_1) | instid1(VALU_DEP_1)
	v_pk_fma_f32 v[82:83], v[68:69], v[52:53], v[72:73] op_sel:[0,0,1] op_sel_hi:[1,1,0] neg_lo:[0,0,1] neg_hi:[0,0,1]
	v_pk_fma_f32 v[68:69], v[68:69], v[52:53], v[72:73] op_sel:[0,0,1] op_sel_hi:[1,0,0]
	v_mov_b32_e32 v83, v69
	v_pk_mul_f32 v[68:69], v[70:71], v[66:67] op_sel:[0,1]
	s_delay_alu instid0(VALU_DEP_2) | instskip(NEXT) | instid1(VALU_DEP_2)
	v_pk_add_f32 v[224:225], v[224:225], v[82:83] neg_lo:[0,1] neg_hi:[0,1]
	v_pk_fma_f32 v[72:73], v[70:71], v[52:53], v[68:69] op_sel:[0,0,1] op_sel_hi:[1,1,0] neg_lo:[0,0,1] neg_hi:[0,0,1]
	v_pk_fma_f32 v[68:69], v[70:71], v[52:53], v[68:69] op_sel:[0,0,1] op_sel_hi:[1,0,0]
	s_delay_alu instid0(VALU_DEP_1) | instskip(SKIP_4) | instid1(VALU_DEP_1)
	v_mov_b32_e32 v73, v69
	ds_load_2addr_b64 v[68:71], v182 offset0:50 offset1:51
	v_pk_add_f32 v[216:217], v[216:217], v[72:73] neg_lo:[0,1] neg_hi:[0,1]
	s_wait_dscnt 0x0
	v_pk_mul_f32 v[72:73], v[68:69], v[66:67] op_sel:[0,1]
	v_pk_fma_f32 v[82:83], v[68:69], v[52:53], v[72:73] op_sel:[0,0,1] op_sel_hi:[1,1,0] neg_lo:[0,0,1] neg_hi:[0,0,1]
	v_pk_fma_f32 v[68:69], v[68:69], v[52:53], v[72:73] op_sel:[0,0,1] op_sel_hi:[1,0,0]
	v_dual_mul_f32 v72, v71, v67 :: v_dual_mov_b32 v68, v71
	s_delay_alu instid0(VALU_DEP_2) | instskip(NEXT) | instid1(VALU_DEP_2)
	v_dual_mov_b32 v83, v69 :: v_dual_mov_b32 v69, v70
	v_pk_fma_f32 v[72:73], v[70:71], v[108:109], v[72:73] op_sel_hi:[1,1,0] neg_lo:[0,0,1] neg_hi:[0,0,1]
	v_mul_f32_e32 v70, v71, v52
	s_delay_alu instid0(VALU_DEP_3) | instskip(NEXT) | instid1(VALU_DEP_2)
	v_pk_add_f32 v[222:223], v[222:223], v[82:83] neg_lo:[0,1] neg_hi:[0,1]
	v_pk_fma_f32 v[68:69], v[68:69], v[108:109], v[70:71] op_sel_hi:[1,1,0]
	s_delay_alu instid0(VALU_DEP_1) | instskip(SKIP_4) | instid1(VALU_DEP_1)
	v_mov_b32_e32 v73, v69
	ds_load_2addr_b64 v[68:71], v182 offset0:52 offset1:53
	v_pk_add_f32 v[214:215], v[214:215], v[72:73] neg_lo:[0,1] neg_hi:[0,1]
	s_wait_dscnt 0x0
	v_pk_mul_f32 v[72:73], v[68:69], v[66:67] op_sel:[0,1]
	v_pk_fma_f32 v[82:83], v[68:69], v[52:53], v[72:73] op_sel:[0,0,1] op_sel_hi:[1,1,0] neg_lo:[0,0,1] neg_hi:[0,0,1]
	v_pk_fma_f32 v[68:69], v[68:69], v[52:53], v[72:73] op_sel:[0,0,1] op_sel_hi:[1,0,0]
	s_delay_alu instid0(VALU_DEP_1) | instskip(SKIP_1) | instid1(VALU_DEP_1)
	v_mov_b32_e32 v83, v69
	v_pk_mul_f32 v[68:69], v[70:71], v[66:67] op_sel:[0,1]
	v_pk_fma_f32 v[72:73], v[70:71], v[52:53], v[68:69] op_sel:[0,0,1] op_sel_hi:[1,1,0] neg_lo:[0,0,1] neg_hi:[0,0,1]
	v_pk_fma_f32 v[68:69], v[70:71], v[52:53], v[68:69] op_sel:[0,0,1] op_sel_hi:[1,0,0]
	s_delay_alu instid0(VALU_DEP_1)
	v_mov_b32_e32 v73, v69
	ds_load_2addr_b64 v[68:71], v182 offset0:54 offset1:55
	v_pk_add_f32 v[220:221], v[220:221], v[82:83] neg_lo:[0,1] neg_hi:[0,1]
	v_pk_add_f32 v[212:213], v[212:213], v[72:73] neg_lo:[0,1] neg_hi:[0,1]
	s_wait_dscnt 0x0
	v_pk_mul_f32 v[72:73], v[68:69], v[66:67] op_sel:[0,1]
	s_delay_alu instid0(VALU_DEP_1) | instskip(SKIP_1) | instid1(VALU_DEP_1)
	v_pk_fma_f32 v[82:83], v[68:69], v[52:53], v[72:73] op_sel:[0,0,1] op_sel_hi:[1,1,0] neg_lo:[0,0,1] neg_hi:[0,0,1]
	v_pk_fma_f32 v[68:69], v[68:69], v[52:53], v[72:73] op_sel:[0,0,1] op_sel_hi:[1,0,0]
	v_mov_b32_e32 v83, v69
	v_pk_mul_f32 v[68:69], v[70:71], v[66:67] op_sel:[0,1]
	s_delay_alu instid0(VALU_DEP_1) | instskip(SKIP_1) | instid1(VALU_DEP_1)
	v_pk_fma_f32 v[72:73], v[70:71], v[52:53], v[68:69] op_sel:[0,0,1] op_sel_hi:[1,1,0] neg_lo:[0,0,1] neg_hi:[0,0,1]
	v_pk_fma_f32 v[68:69], v[70:71], v[52:53], v[68:69] op_sel:[0,0,1] op_sel_hi:[1,0,0]
	v_mov_b32_e32 v73, v69
	ds_load_b64 v[68:69], v182 offset:448
	v_pk_add_f32 v[218:219], v[218:219], v[82:83] neg_lo:[0,1] neg_hi:[0,1]
	v_pk_add_f32 v[226:227], v[226:227], v[72:73] neg_lo:[0,1] neg_hi:[0,1]
	s_wait_dscnt 0x0
	v_pk_mul_f32 v[66:67], v[68:69], v[66:67] op_sel:[0,1]
	s_delay_alu instid0(VALU_DEP_1) | instskip(SKIP_1) | instid1(VALU_DEP_1)
	v_pk_fma_f32 v[70:71], v[68:69], v[52:53], v[66:67] op_sel:[0,0,1] op_sel_hi:[1,1,0] neg_lo:[0,0,1] neg_hi:[0,0,1]
	v_pk_fma_f32 v[52:53], v[68:69], v[52:53], v[66:67] op_sel:[0,0,1] op_sel_hi:[1,0,0]
	v_mov_b32_e32 v71, v53
	s_delay_alu instid0(VALU_DEP_1)
	v_pk_add_f32 v[228:229], v[228:229], v[70:71] neg_lo:[0,1] neg_hi:[0,1]
.LBB113_253:
	s_or_b32 exec_lo, exec_lo, s1
	s_delay_alu instid0(SALU_CYCLE_1)
	s_mov_b32 s2, exec_lo
	s_wait_dscnt 0x0
	s_barrier_signal -1
	s_barrier_wait -1
	v_cmpx_eq_u32_e32 28, v180
	s_cbranch_execz .LBB113_260
; %bb.254:
	ds_store_b64 v181, v[130:131]
	ds_store_2addr_b64 v182, v[126:127], v[128:129] offset0:29 offset1:30
	ds_store_2addr_b64 v182, v[124:125], v[146:147] offset0:31 offset1:32
	;; [unrolled: 1-line block ×14, first 2 shown]
	ds_load_b64 v[52:53], v181
	s_wait_dscnt 0x0
	v_cmp_neq_f32_e32 vcc_lo, 0, v52
	v_cmp_neq_f32_e64 s1, 0, v53
	s_or_b32 s1, vcc_lo, s1
	s_delay_alu instid0(SALU_CYCLE_1)
	s_and_b32 exec_lo, exec_lo, s1
	s_cbranch_execz .LBB113_260
; %bb.255:
	v_cmp_ngt_f32_e64 s1, |v52|, |v53|
                                        ; implicit-def: $vgpr66_vgpr67
	s_and_saveexec_b32 s4, s1
	s_delay_alu instid0(SALU_CYCLE_1)
	s_xor_b32 s1, exec_lo, s4
	s_cbranch_execz .LBB113_257
; %bb.256:
	v_div_scale_f32 v66, null, v53, v53, v52
	v_div_scale_f32 v69, vcc_lo, v52, v53, v52
	s_delay_alu instid0(VALU_DEP_2) | instskip(SKIP_1) | instid1(TRANS32_DEP_1)
	v_rcp_f32_e32 v67, v66
	v_nop
	v_fma_f32 v68, -v66, v67, 1.0
	s_delay_alu instid0(VALU_DEP_1) | instskip(NEXT) | instid1(VALU_DEP_1)
	v_fmac_f32_e32 v67, v68, v67
	v_mul_f32_e32 v68, v69, v67
	s_delay_alu instid0(VALU_DEP_1) | instskip(NEXT) | instid1(VALU_DEP_1)
	v_fma_f32 v70, -v66, v68, v69
	v_fmac_f32_e32 v68, v70, v67
	s_delay_alu instid0(VALU_DEP_1) | instskip(NEXT) | instid1(VALU_DEP_1)
	v_fma_f32 v66, -v66, v68, v69
	v_div_fmas_f32 v66, v66, v67, v68
	s_delay_alu instid0(VALU_DEP_1) | instskip(NEXT) | instid1(VALU_DEP_1)
	v_div_fixup_f32 v66, v66, v53, v52
	v_fmac_f32_e32 v53, v52, v66
	s_delay_alu instid0(VALU_DEP_1) | instskip(SKIP_1) | instid1(VALU_DEP_2)
	v_div_scale_f32 v52, null, v53, v53, 1.0
	v_div_scale_f32 v69, vcc_lo, 1.0, v53, 1.0
	v_rcp_f32_e32 v67, v52
	v_nop
	s_delay_alu instid0(TRANS32_DEP_1) | instskip(NEXT) | instid1(VALU_DEP_1)
	v_fma_f32 v68, -v52, v67, 1.0
	v_fmac_f32_e32 v67, v68, v67
	s_delay_alu instid0(VALU_DEP_1) | instskip(NEXT) | instid1(VALU_DEP_1)
	v_mul_f32_e32 v68, v69, v67
	v_fma_f32 v70, -v52, v68, v69
	s_delay_alu instid0(VALU_DEP_1) | instskip(NEXT) | instid1(VALU_DEP_1)
	v_fmac_f32_e32 v68, v70, v67
	v_fma_f32 v52, -v52, v68, v69
	s_delay_alu instid0(VALU_DEP_1) | instskip(NEXT) | instid1(VALU_DEP_1)
	v_div_fmas_f32 v52, v52, v67, v68
	v_div_fixup_f32 v52, v52, v53, 1.0
	s_delay_alu instid0(VALU_DEP_1)
	v_mul_f32_e32 v66, v66, v52
	v_xor_b32_e32 v67, 0x80000000, v52
                                        ; implicit-def: $vgpr52_vgpr53
.LBB113_257:
	s_and_not1_saveexec_b32 s1, s1
	s_cbranch_execz .LBB113_259
; %bb.258:
	v_div_scale_f32 v66, null, v52, v52, v53
	v_div_scale_f32 v69, vcc_lo, v53, v52, v53
	s_delay_alu instid0(VALU_DEP_2) | instskip(SKIP_1) | instid1(TRANS32_DEP_1)
	v_rcp_f32_e32 v67, v66
	v_nop
	v_fma_f32 v68, -v66, v67, 1.0
	s_delay_alu instid0(VALU_DEP_1) | instskip(NEXT) | instid1(VALU_DEP_1)
	v_fmac_f32_e32 v67, v68, v67
	v_mul_f32_e32 v68, v69, v67
	s_delay_alu instid0(VALU_DEP_1) | instskip(NEXT) | instid1(VALU_DEP_1)
	v_fma_f32 v70, -v66, v68, v69
	v_fmac_f32_e32 v68, v70, v67
	s_delay_alu instid0(VALU_DEP_1) | instskip(NEXT) | instid1(VALU_DEP_1)
	v_fma_f32 v66, -v66, v68, v69
	v_div_fmas_f32 v66, v66, v67, v68
	s_delay_alu instid0(VALU_DEP_1) | instskip(NEXT) | instid1(VALU_DEP_1)
	v_div_fixup_f32 v67, v66, v52, v53
	v_fmac_f32_e32 v52, v53, v67
	s_delay_alu instid0(VALU_DEP_1) | instskip(NEXT) | instid1(VALU_DEP_1)
	v_div_scale_f32 v53, null, v52, v52, 1.0
	v_rcp_f32_e32 v66, v53
	v_nop
	s_delay_alu instid0(TRANS32_DEP_1) | instskip(NEXT) | instid1(VALU_DEP_1)
	v_fma_f32 v68, -v53, v66, 1.0
	v_fmac_f32_e32 v66, v68, v66
	v_div_scale_f32 v68, vcc_lo, 1.0, v52, 1.0
	s_delay_alu instid0(VALU_DEP_1) | instskip(NEXT) | instid1(VALU_DEP_1)
	v_mul_f32_e32 v69, v68, v66
	v_fma_f32 v70, -v53, v69, v68
	s_delay_alu instid0(VALU_DEP_1) | instskip(NEXT) | instid1(VALU_DEP_1)
	v_fmac_f32_e32 v69, v70, v66
	v_fma_f32 v53, -v53, v69, v68
	s_delay_alu instid0(VALU_DEP_1) | instskip(NEXT) | instid1(VALU_DEP_1)
	v_div_fmas_f32 v53, v53, v66, v69
	v_div_fixup_f32 v66, v53, v52, 1.0
	s_delay_alu instid0(VALU_DEP_1)
	v_mul_f32_e64 v67, v67, -v66
.LBB113_259:
	s_or_b32 exec_lo, exec_lo, s1
	ds_store_b64 v181, v[66:67]
.LBB113_260:
	s_or_b32 exec_lo, exec_lo, s2
	s_wait_dscnt 0x0
	s_barrier_signal -1
	s_barrier_wait -1
	ds_load_b64 v[52:53], v181
	s_mov_b32 s1, exec_lo
	v_cmpx_lt_u32_e32 28, v180
	s_cbranch_execz .LBB113_262
; %bb.261:
	ds_load_2addr_b64 v[70:73], v182 offset0:29 offset1:30
	s_wait_dscnt 0x1
	v_pk_mul_f32 v[68:69], v[52:53], v[130:131] op_sel:[1,1] op_sel_hi:[0,1]
	s_delay_alu instid0(VALU_DEP_1) | instskip(SKIP_1) | instid1(VALU_DEP_1)
	v_pk_fma_f32 v[66:67], v[52:53], v[130:131], v[68:69] op_sel_hi:[1,0,1] neg_lo:[0,0,1] neg_hi:[0,0,1]
	v_pk_fma_f32 v[68:69], v[52:53], v[130:131], v[68:69] op_sel_hi:[1,0,1]
	v_dual_mov_b32 v130, v66 :: v_dual_mov_b32 v131, v69
	s_wait_dscnt 0x0
	s_delay_alu instid0(VALU_DEP_2) | instskip(NEXT) | instid1(VALU_DEP_1)
	v_pk_mul_f32 v[82:83], v[70:71], v[68:69] op_sel:[0,1]
	v_pk_fma_f32 v[86:87], v[70:71], v[66:67], v[82:83] op_sel:[0,0,1] op_sel_hi:[1,1,0] neg_lo:[0,0,1] neg_hi:[0,0,1]
	v_pk_fma_f32 v[70:71], v[70:71], v[66:67], v[82:83] op_sel:[0,0,1] op_sel_hi:[1,0,0]
	s_delay_alu instid0(VALU_DEP_1) | instskip(SKIP_1) | instid1(VALU_DEP_1)
	v_mov_b32_e32 v87, v71
	v_pk_mul_f32 v[70:71], v[72:73], v[68:69] op_sel:[0,1]
	v_pk_fma_f32 v[82:83], v[72:73], v[66:67], v[70:71] op_sel:[0,0,1] op_sel_hi:[1,1,0] neg_lo:[0,0,1] neg_hi:[0,0,1]
	v_pk_fma_f32 v[70:71], v[72:73], v[66:67], v[70:71] op_sel:[0,0,1] op_sel_hi:[1,0,0]
	s_delay_alu instid0(VALU_DEP_1)
	v_mov_b32_e32 v83, v71
	ds_load_2addr_b64 v[70:73], v182 offset0:31 offset1:32
	v_pk_add_f32 v[126:127], v[126:127], v[86:87] neg_lo:[0,1] neg_hi:[0,1]
	v_pk_add_f32 v[128:129], v[128:129], v[82:83] neg_lo:[0,1] neg_hi:[0,1]
	s_wait_dscnt 0x0
	v_pk_mul_f32 v[82:83], v[70:71], v[68:69] op_sel:[0,1]
	s_delay_alu instid0(VALU_DEP_1) | instskip(SKIP_2) | instid1(VALU_DEP_2)
	v_pk_fma_f32 v[86:87], v[70:71], v[66:67], v[82:83] op_sel:[0,0,1] op_sel_hi:[1,1,0] neg_lo:[0,0,1] neg_hi:[0,0,1]
	v_pk_fma_f32 v[70:71], v[70:71], v[66:67], v[82:83] op_sel:[0,0,1] op_sel_hi:[1,0,0]
	v_dual_mul_f32 v82, v73, v69 :: v_dual_mov_b32 v70, v73
	v_dual_mov_b32 v87, v71 :: v_dual_mov_b32 v71, v72
	s_delay_alu instid0(VALU_DEP_2) | instskip(SKIP_1) | instid1(VALU_DEP_3)
	v_pk_fma_f32 v[82:83], v[72:73], v[130:131], v[82:83] op_sel_hi:[1,1,0] neg_lo:[0,0,1] neg_hi:[0,0,1]
	v_mul_f32_e32 v72, v73, v66
	v_pk_add_f32 v[124:125], v[124:125], v[86:87] neg_lo:[0,1] neg_hi:[0,1]
	s_delay_alu instid0(VALU_DEP_2) | instskip(NEXT) | instid1(VALU_DEP_1)
	v_pk_fma_f32 v[70:71], v[70:71], v[130:131], v[72:73] op_sel_hi:[1,1,0]
	v_mov_b32_e32 v83, v71
	ds_load_2addr_b64 v[70:73], v182 offset0:33 offset1:34
	v_pk_add_f32 v[146:147], v[146:147], v[82:83] neg_lo:[0,1] neg_hi:[0,1]
	s_wait_dscnt 0x0
	v_pk_mul_f32 v[82:83], v[70:71], v[68:69] op_sel:[0,1]
	s_delay_alu instid0(VALU_DEP_1) | instskip(SKIP_1) | instid1(VALU_DEP_1)
	v_pk_fma_f32 v[86:87], v[70:71], v[66:67], v[82:83] op_sel:[0,0,1] op_sel_hi:[1,1,0] neg_lo:[0,0,1] neg_hi:[0,0,1]
	v_pk_fma_f32 v[70:71], v[70:71], v[66:67], v[82:83] op_sel:[0,0,1] op_sel_hi:[1,0,0]
	v_mov_b32_e32 v87, v71
	v_pk_mul_f32 v[70:71], v[72:73], v[68:69] op_sel:[0,1]
	s_delay_alu instid0(VALU_DEP_1) | instskip(SKIP_1) | instid1(VALU_DEP_1)
	v_pk_fma_f32 v[82:83], v[72:73], v[66:67], v[70:71] op_sel:[0,0,1] op_sel_hi:[1,1,0] neg_lo:[0,0,1] neg_hi:[0,0,1]
	v_pk_fma_f32 v[70:71], v[72:73], v[66:67], v[70:71] op_sel:[0,0,1] op_sel_hi:[1,0,0]
	v_mov_b32_e32 v83, v71
	ds_load_2addr_b64 v[70:73], v182 offset0:35 offset1:36
	v_pk_add_f32 v[142:143], v[142:143], v[86:87] neg_lo:[0,1] neg_hi:[0,1]
	v_pk_add_f32 v[144:145], v[144:145], v[82:83] neg_lo:[0,1] neg_hi:[0,1]
	s_wait_dscnt 0x0
	v_pk_mul_f32 v[82:83], v[70:71], v[68:69] op_sel:[0,1]
	s_delay_alu instid0(VALU_DEP_1) | instskip(SKIP_1) | instid1(VALU_DEP_1)
	v_pk_fma_f32 v[86:87], v[70:71], v[66:67], v[82:83] op_sel:[0,0,1] op_sel_hi:[1,1,0] neg_lo:[0,0,1] neg_hi:[0,0,1]
	v_pk_fma_f32 v[70:71], v[70:71], v[66:67], v[82:83] op_sel:[0,0,1] op_sel_hi:[1,0,0]
	v_mov_b32_e32 v87, v71
	v_pk_mul_f32 v[70:71], v[72:73], v[68:69] op_sel:[0,1]
	s_delay_alu instid0(VALU_DEP_1) | instskip(SKIP_1) | instid1(VALU_DEP_1)
	v_pk_fma_f32 v[82:83], v[72:73], v[66:67], v[70:71] op_sel:[0,0,1] op_sel_hi:[1,1,0] neg_lo:[0,0,1] neg_hi:[0,0,1]
	v_pk_fma_f32 v[70:71], v[72:73], v[66:67], v[70:71] op_sel:[0,0,1] op_sel_hi:[1,0,0]
	v_mov_b32_e32 v83, v71
	ds_load_2addr_b64 v[70:73], v182 offset0:37 offset1:38
	v_pk_add_f32 v[140:141], v[140:141], v[86:87] neg_lo:[0,1] neg_hi:[0,1]
	v_pk_add_f32 v[162:163], v[162:163], v[82:83] neg_lo:[0,1] neg_hi:[0,1]
	s_wait_dscnt 0x0
	v_dual_mul_f32 v82, v71, v69 :: v_dual_mul_f32 v86, v71, v66
	s_delay_alu instid0(VALU_DEP_1) | instskip(NEXT) | instid1(VALU_DEP_2)
	v_pk_fma_f32 v[82:83], v[70:71], v[130:131], v[82:83] op_sel_hi:[1,1,0] neg_lo:[0,0,1] neg_hi:[0,0,1]
	v_pk_fma_f32 v[70:71], v[70:71], v[130:131], v[86:87] op_sel:[1,0,0] op_sel_hi:[0,1,0]
	s_delay_alu instid0(VALU_DEP_1) | instskip(SKIP_1) | instid1(VALU_DEP_2)
	v_mov_b32_e32 v83, v71
	v_pk_mul_f32 v[70:71], v[72:73], v[68:69] op_sel:[0,1]
	v_pk_add_f32 v[158:159], v[158:159], v[82:83] neg_lo:[0,1] neg_hi:[0,1]
	s_delay_alu instid0(VALU_DEP_2) | instskip(SKIP_1) | instid1(VALU_DEP_1)
	v_pk_fma_f32 v[82:83], v[72:73], v[66:67], v[70:71] op_sel:[0,0,1] op_sel_hi:[1,1,0] neg_lo:[0,0,1] neg_hi:[0,0,1]
	v_pk_fma_f32 v[70:71], v[72:73], v[66:67], v[70:71] op_sel:[0,0,1] op_sel_hi:[1,0,0]
	v_mov_b32_e32 v83, v71
	ds_load_2addr_b64 v[70:73], v182 offset0:39 offset1:40
	v_pk_add_f32 v[160:161], v[160:161], v[82:83] neg_lo:[0,1] neg_hi:[0,1]
	s_wait_dscnt 0x0
	v_pk_mul_f32 v[82:83], v[70:71], v[68:69] op_sel:[0,1]
	s_delay_alu instid0(VALU_DEP_1) | instskip(SKIP_1) | instid1(VALU_DEP_1)
	v_pk_fma_f32 v[86:87], v[70:71], v[66:67], v[82:83] op_sel:[0,0,1] op_sel_hi:[1,1,0] neg_lo:[0,0,1] neg_hi:[0,0,1]
	v_pk_fma_f32 v[70:71], v[70:71], v[66:67], v[82:83] op_sel:[0,0,1] op_sel_hi:[1,0,0]
	v_mov_b32_e32 v87, v71
	v_pk_mul_f32 v[70:71], v[72:73], v[68:69] op_sel:[0,1]
	s_delay_alu instid0(VALU_DEP_2) | instskip(NEXT) | instid1(VALU_DEP_2)
	v_pk_add_f32 v[156:157], v[156:157], v[86:87] neg_lo:[0,1] neg_hi:[0,1]
	v_pk_fma_f32 v[82:83], v[72:73], v[66:67], v[70:71] op_sel:[0,0,1] op_sel_hi:[1,1,0] neg_lo:[0,0,1] neg_hi:[0,0,1]
	v_pk_fma_f32 v[70:71], v[72:73], v[66:67], v[70:71] op_sel:[0,0,1] op_sel_hi:[1,0,0]
	s_delay_alu instid0(VALU_DEP_1) | instskip(SKIP_4) | instid1(VALU_DEP_1)
	v_mov_b32_e32 v83, v71
	ds_load_2addr_b64 v[70:73], v182 offset0:41 offset1:42
	v_pk_add_f32 v[178:179], v[178:179], v[82:83] neg_lo:[0,1] neg_hi:[0,1]
	s_wait_dscnt 0x0
	v_pk_mul_f32 v[82:83], v[70:71], v[68:69] op_sel:[0,1]
	v_pk_fma_f32 v[86:87], v[70:71], v[66:67], v[82:83] op_sel:[0,0,1] op_sel_hi:[1,1,0] neg_lo:[0,0,1] neg_hi:[0,0,1]
	v_pk_fma_f32 v[70:71], v[70:71], v[66:67], v[82:83] op_sel:[0,0,1] op_sel_hi:[1,0,0]
	v_dual_mul_f32 v82, v73, v69 :: v_dual_mov_b32 v70, v73
	s_delay_alu instid0(VALU_DEP_2) | instskip(NEXT) | instid1(VALU_DEP_2)
	v_dual_mov_b32 v87, v71 :: v_dual_mov_b32 v71, v72
	v_pk_fma_f32 v[82:83], v[72:73], v[130:131], v[82:83] op_sel_hi:[1,1,0] neg_lo:[0,0,1] neg_hi:[0,0,1]
	v_mul_f32_e32 v72, v73, v66
	s_delay_alu instid0(VALU_DEP_3) | instskip(NEXT) | instid1(VALU_DEP_2)
	v_pk_add_f32 v[174:175], v[174:175], v[86:87] neg_lo:[0,1] neg_hi:[0,1]
	v_pk_fma_f32 v[70:71], v[70:71], v[130:131], v[72:73] op_sel_hi:[1,1,0]
	s_delay_alu instid0(VALU_DEP_1) | instskip(SKIP_4) | instid1(VALU_DEP_1)
	v_mov_b32_e32 v83, v71
	ds_load_2addr_b64 v[70:73], v182 offset0:43 offset1:44
	v_pk_add_f32 v[176:177], v[176:177], v[82:83] neg_lo:[0,1] neg_hi:[0,1]
	s_wait_dscnt 0x0
	v_pk_mul_f32 v[82:83], v[70:71], v[68:69] op_sel:[0,1]
	v_pk_fma_f32 v[86:87], v[70:71], v[66:67], v[82:83] op_sel:[0,0,1] op_sel_hi:[1,1,0] neg_lo:[0,0,1] neg_hi:[0,0,1]
	v_pk_fma_f32 v[70:71], v[70:71], v[66:67], v[82:83] op_sel:[0,0,1] op_sel_hi:[1,0,0]
	s_delay_alu instid0(VALU_DEP_1) | instskip(SKIP_1) | instid1(VALU_DEP_1)
	v_mov_b32_e32 v87, v71
	v_pk_mul_f32 v[70:71], v[72:73], v[68:69] op_sel:[0,1]
	v_pk_fma_f32 v[82:83], v[72:73], v[66:67], v[70:71] op_sel:[0,0,1] op_sel_hi:[1,1,0] neg_lo:[0,0,1] neg_hi:[0,0,1]
	v_pk_fma_f32 v[70:71], v[72:73], v[66:67], v[70:71] op_sel:[0,0,1] op_sel_hi:[1,0,0]
	s_delay_alu instid0(VALU_DEP_1)
	v_mov_b32_e32 v83, v71
	ds_load_2addr_b64 v[70:73], v182 offset0:45 offset1:46
	v_pk_add_f32 v[172:173], v[172:173], v[86:87] neg_lo:[0,1] neg_hi:[0,1]
	v_pk_add_f32 v[200:201], v[200:201], v[82:83] neg_lo:[0,1] neg_hi:[0,1]
	s_wait_dscnt 0x0
	v_pk_mul_f32 v[82:83], v[70:71], v[68:69] op_sel:[0,1]
	s_delay_alu instid0(VALU_DEP_1) | instskip(SKIP_1) | instid1(VALU_DEP_1)
	v_pk_fma_f32 v[86:87], v[70:71], v[66:67], v[82:83] op_sel:[0,0,1] op_sel_hi:[1,1,0] neg_lo:[0,0,1] neg_hi:[0,0,1]
	v_pk_fma_f32 v[70:71], v[70:71], v[66:67], v[82:83] op_sel:[0,0,1] op_sel_hi:[1,0,0]
	v_mov_b32_e32 v87, v71
	v_pk_mul_f32 v[70:71], v[72:73], v[68:69] op_sel:[0,1]
	s_delay_alu instid0(VALU_DEP_1) | instskip(SKIP_1) | instid1(VALU_DEP_1)
	v_pk_fma_f32 v[82:83], v[72:73], v[66:67], v[70:71] op_sel:[0,0,1] op_sel_hi:[1,1,0] neg_lo:[0,0,1] neg_hi:[0,0,1]
	v_pk_fma_f32 v[70:71], v[72:73], v[66:67], v[70:71] op_sel:[0,0,1] op_sel_hi:[1,0,0]
	v_mov_b32_e32 v83, v71
	ds_load_2addr_b64 v[70:73], v182 offset0:47 offset1:48
	v_pk_add_f32 v[196:197], v[196:197], v[86:87] neg_lo:[0,1] neg_hi:[0,1]
	v_pk_add_f32 v[198:199], v[198:199], v[82:83] neg_lo:[0,1] neg_hi:[0,1]
	s_wait_dscnt 0x0
	v_dual_mul_f32 v82, v71, v69 :: v_dual_mul_f32 v86, v71, v66
	s_delay_alu instid0(VALU_DEP_1) | instskip(NEXT) | instid1(VALU_DEP_2)
	v_pk_fma_f32 v[82:83], v[70:71], v[130:131], v[82:83] op_sel_hi:[1,1,0] neg_lo:[0,0,1] neg_hi:[0,0,1]
	v_pk_fma_f32 v[70:71], v[70:71], v[130:131], v[86:87] op_sel:[1,0,0] op_sel_hi:[0,1,0]
	s_delay_alu instid0(VALU_DEP_1) | instskip(SKIP_1) | instid1(VALU_DEP_2)
	v_mov_b32_e32 v83, v71
	v_pk_mul_f32 v[70:71], v[72:73], v[68:69] op_sel:[0,1]
	v_pk_add_f32 v[194:195], v[194:195], v[82:83] neg_lo:[0,1] neg_hi:[0,1]
	s_delay_alu instid0(VALU_DEP_2) | instskip(SKIP_1) | instid1(VALU_DEP_1)
	v_pk_fma_f32 v[82:83], v[72:73], v[66:67], v[70:71] op_sel:[0,0,1] op_sel_hi:[1,1,0] neg_lo:[0,0,1] neg_hi:[0,0,1]
	v_pk_fma_f32 v[70:71], v[72:73], v[66:67], v[70:71] op_sel:[0,0,1] op_sel_hi:[1,0,0]
	v_mov_b32_e32 v83, v71
	ds_load_2addr_b64 v[70:73], v182 offset0:49 offset1:50
	v_pk_add_f32 v[224:225], v[224:225], v[82:83] neg_lo:[0,1] neg_hi:[0,1]
	s_wait_dscnt 0x0
	v_pk_mul_f32 v[82:83], v[70:71], v[68:69] op_sel:[0,1]
	s_delay_alu instid0(VALU_DEP_1) | instskip(SKIP_1) | instid1(VALU_DEP_1)
	v_pk_fma_f32 v[86:87], v[70:71], v[66:67], v[82:83] op_sel:[0,0,1] op_sel_hi:[1,1,0] neg_lo:[0,0,1] neg_hi:[0,0,1]
	v_pk_fma_f32 v[70:71], v[70:71], v[66:67], v[82:83] op_sel:[0,0,1] op_sel_hi:[1,0,0]
	v_mov_b32_e32 v87, v71
	v_pk_mul_f32 v[70:71], v[72:73], v[68:69] op_sel:[0,1]
	s_delay_alu instid0(VALU_DEP_2) | instskip(NEXT) | instid1(VALU_DEP_2)
	v_pk_add_f32 v[216:217], v[216:217], v[86:87] neg_lo:[0,1] neg_hi:[0,1]
	v_pk_fma_f32 v[82:83], v[72:73], v[66:67], v[70:71] op_sel:[0,0,1] op_sel_hi:[1,1,0] neg_lo:[0,0,1] neg_hi:[0,0,1]
	v_pk_fma_f32 v[70:71], v[72:73], v[66:67], v[70:71] op_sel:[0,0,1] op_sel_hi:[1,0,0]
	s_delay_alu instid0(VALU_DEP_1) | instskip(SKIP_4) | instid1(VALU_DEP_1)
	v_mov_b32_e32 v83, v71
	ds_load_2addr_b64 v[70:73], v182 offset0:51 offset1:52
	v_pk_add_f32 v[222:223], v[222:223], v[82:83] neg_lo:[0,1] neg_hi:[0,1]
	s_wait_dscnt 0x0
	v_pk_mul_f32 v[82:83], v[70:71], v[68:69] op_sel:[0,1]
	v_pk_fma_f32 v[86:87], v[70:71], v[66:67], v[82:83] op_sel:[0,0,1] op_sel_hi:[1,1,0] neg_lo:[0,0,1] neg_hi:[0,0,1]
	v_pk_fma_f32 v[70:71], v[70:71], v[66:67], v[82:83] op_sel:[0,0,1] op_sel_hi:[1,0,0]
	v_dual_mul_f32 v82, v73, v69 :: v_dual_mov_b32 v70, v73
	s_delay_alu instid0(VALU_DEP_2) | instskip(NEXT) | instid1(VALU_DEP_2)
	v_dual_mov_b32 v87, v71 :: v_dual_mov_b32 v71, v72
	v_pk_fma_f32 v[82:83], v[72:73], v[130:131], v[82:83] op_sel_hi:[1,1,0] neg_lo:[0,0,1] neg_hi:[0,0,1]
	v_mul_f32_e32 v72, v73, v66
	s_delay_alu instid0(VALU_DEP_3) | instskip(NEXT) | instid1(VALU_DEP_2)
	v_pk_add_f32 v[214:215], v[214:215], v[86:87] neg_lo:[0,1] neg_hi:[0,1]
	v_pk_fma_f32 v[70:71], v[70:71], v[130:131], v[72:73] op_sel_hi:[1,1,0]
	s_delay_alu instid0(VALU_DEP_1) | instskip(SKIP_4) | instid1(VALU_DEP_1)
	v_mov_b32_e32 v83, v71
	ds_load_2addr_b64 v[70:73], v182 offset0:53 offset1:54
	v_pk_add_f32 v[220:221], v[220:221], v[82:83] neg_lo:[0,1] neg_hi:[0,1]
	s_wait_dscnt 0x0
	v_pk_mul_f32 v[82:83], v[70:71], v[68:69] op_sel:[0,1]
	v_pk_fma_f32 v[86:87], v[70:71], v[66:67], v[82:83] op_sel:[0,0,1] op_sel_hi:[1,1,0] neg_lo:[0,0,1] neg_hi:[0,0,1]
	v_pk_fma_f32 v[70:71], v[70:71], v[66:67], v[82:83] op_sel:[0,0,1] op_sel_hi:[1,0,0]
	s_delay_alu instid0(VALU_DEP_1) | instskip(SKIP_1) | instid1(VALU_DEP_1)
	v_mov_b32_e32 v87, v71
	v_pk_mul_f32 v[70:71], v[72:73], v[68:69] op_sel:[0,1]
	v_pk_fma_f32 v[82:83], v[72:73], v[66:67], v[70:71] op_sel:[0,0,1] op_sel_hi:[1,1,0] neg_lo:[0,0,1] neg_hi:[0,0,1]
	v_pk_fma_f32 v[70:71], v[72:73], v[66:67], v[70:71] op_sel:[0,0,1] op_sel_hi:[1,0,0]
	s_delay_alu instid0(VALU_DEP_1)
	v_mov_b32_e32 v83, v71
	ds_load_2addr_b64 v[70:73], v182 offset0:55 offset1:56
	v_pk_add_f32 v[212:213], v[212:213], v[86:87] neg_lo:[0,1] neg_hi:[0,1]
	v_pk_add_f32 v[218:219], v[218:219], v[82:83] neg_lo:[0,1] neg_hi:[0,1]
	s_wait_dscnt 0x0
	v_pk_mul_f32 v[82:83], v[70:71], v[68:69] op_sel:[0,1]
	v_pk_mul_f32 v[68:69], v[72:73], v[68:69] op_sel:[0,1]
	s_delay_alu instid0(VALU_DEP_2) | instskip(SKIP_1) | instid1(VALU_DEP_1)
	v_pk_fma_f32 v[86:87], v[70:71], v[66:67], v[82:83] op_sel:[0,0,1] op_sel_hi:[1,1,0] neg_lo:[0,0,1] neg_hi:[0,0,1]
	v_pk_fma_f32 v[70:71], v[70:71], v[66:67], v[82:83] op_sel:[0,0,1] op_sel_hi:[1,0,0]
	v_mov_b32_e32 v87, v71
	s_delay_alu instid0(VALU_DEP_4) | instskip(SKIP_1) | instid1(VALU_DEP_1)
	v_pk_fma_f32 v[70:71], v[72:73], v[66:67], v[68:69] op_sel:[0,0,1] op_sel_hi:[1,1,0] neg_lo:[0,0,1] neg_hi:[0,0,1]
	v_pk_fma_f32 v[66:67], v[72:73], v[66:67], v[68:69] op_sel:[0,0,1] op_sel_hi:[1,0,0]
	v_mov_b32_e32 v71, v67
	s_delay_alu instid0(VALU_DEP_4) | instskip(NEXT) | instid1(VALU_DEP_2)
	v_pk_add_f32 v[226:227], v[226:227], v[86:87] neg_lo:[0,1] neg_hi:[0,1]
	v_pk_add_f32 v[228:229], v[228:229], v[70:71] neg_lo:[0,1] neg_hi:[0,1]
.LBB113_262:
	s_or_b32 exec_lo, exec_lo, s1
	s_delay_alu instid0(SALU_CYCLE_1)
	s_mov_b32 s2, exec_lo
	s_wait_dscnt 0x0
	s_barrier_signal -1
	s_barrier_wait -1
	v_cmpx_eq_u32_e32 29, v180
	s_cbranch_execz .LBB113_269
; %bb.263:
	v_dual_mov_b32 v66, v128 :: v_dual_mov_b32 v67, v129
	v_dual_mov_b32 v68, v124 :: v_dual_mov_b32 v69, v125
	ds_store_b64 v181, v[126:127]
	ds_store_2addr_b64 v182, v[66:67], v[68:69] offset0:30 offset1:31
	v_dual_mov_b32 v66, v146 :: v_dual_mov_b32 v67, v147
	v_dual_mov_b32 v68, v142 :: v_dual_mov_b32 v69, v143
	ds_store_2addr_b64 v182, v[66:67], v[68:69] offset0:32 offset1:33
	v_dual_mov_b32 v66, v144 :: v_dual_mov_b32 v67, v145
	v_dual_mov_b32 v68, v140 :: v_dual_mov_b32 v69, v141
	;; [unrolled: 3-line block ×12, first 2 shown]
	ds_store_2addr_b64 v182, v[66:67], v[68:69] offset0:54 offset1:55
	ds_store_b64 v182, v[228:229] offset:448
	ds_load_b64 v[66:67], v181
	s_wait_dscnt 0x0
	v_cmp_neq_f32_e32 vcc_lo, 0, v66
	v_cmp_neq_f32_e64 s1, 0, v67
	s_or_b32 s1, vcc_lo, s1
	s_delay_alu instid0(SALU_CYCLE_1)
	s_and_b32 exec_lo, exec_lo, s1
	s_cbranch_execz .LBB113_269
; %bb.264:
	v_cmp_ngt_f32_e64 s1, |v66|, |v67|
                                        ; implicit-def: $vgpr68_vgpr69
	s_and_saveexec_b32 s4, s1
	s_delay_alu instid0(SALU_CYCLE_1)
	s_xor_b32 s1, exec_lo, s4
	s_cbranch_execz .LBB113_266
; %bb.265:
	v_div_scale_f32 v68, null, v67, v67, v66
	v_div_scale_f32 v71, vcc_lo, v66, v67, v66
	s_delay_alu instid0(VALU_DEP_2) | instskip(SKIP_1) | instid1(TRANS32_DEP_1)
	v_rcp_f32_e32 v69, v68
	v_nop
	v_fma_f32 v70, -v68, v69, 1.0
	s_delay_alu instid0(VALU_DEP_1) | instskip(NEXT) | instid1(VALU_DEP_1)
	v_fmac_f32_e32 v69, v70, v69
	v_mul_f32_e32 v70, v71, v69
	s_delay_alu instid0(VALU_DEP_1) | instskip(NEXT) | instid1(VALU_DEP_1)
	v_fma_f32 v72, -v68, v70, v71
	v_fmac_f32_e32 v70, v72, v69
	s_delay_alu instid0(VALU_DEP_1) | instskip(NEXT) | instid1(VALU_DEP_1)
	v_fma_f32 v68, -v68, v70, v71
	v_div_fmas_f32 v68, v68, v69, v70
	s_delay_alu instid0(VALU_DEP_1) | instskip(NEXT) | instid1(VALU_DEP_1)
	v_div_fixup_f32 v68, v68, v67, v66
	v_fmac_f32_e32 v67, v66, v68
	s_delay_alu instid0(VALU_DEP_1) | instskip(SKIP_1) | instid1(VALU_DEP_2)
	v_div_scale_f32 v66, null, v67, v67, 1.0
	v_div_scale_f32 v71, vcc_lo, 1.0, v67, 1.0
	v_rcp_f32_e32 v69, v66
	v_nop
	s_delay_alu instid0(TRANS32_DEP_1) | instskip(NEXT) | instid1(VALU_DEP_1)
	v_fma_f32 v70, -v66, v69, 1.0
	v_fmac_f32_e32 v69, v70, v69
	s_delay_alu instid0(VALU_DEP_1) | instskip(NEXT) | instid1(VALU_DEP_1)
	v_mul_f32_e32 v70, v71, v69
	v_fma_f32 v72, -v66, v70, v71
	s_delay_alu instid0(VALU_DEP_1) | instskip(NEXT) | instid1(VALU_DEP_1)
	v_fmac_f32_e32 v70, v72, v69
	v_fma_f32 v66, -v66, v70, v71
	s_delay_alu instid0(VALU_DEP_1) | instskip(NEXT) | instid1(VALU_DEP_1)
	v_div_fmas_f32 v66, v66, v69, v70
	v_div_fixup_f32 v66, v66, v67, 1.0
	s_delay_alu instid0(VALU_DEP_1)
	v_mul_f32_e32 v68, v68, v66
	v_xor_b32_e32 v69, 0x80000000, v66
                                        ; implicit-def: $vgpr66_vgpr67
.LBB113_266:
	s_and_not1_saveexec_b32 s1, s1
	s_cbranch_execz .LBB113_268
; %bb.267:
	v_div_scale_f32 v68, null, v66, v66, v67
	v_div_scale_f32 v71, vcc_lo, v67, v66, v67
	s_delay_alu instid0(VALU_DEP_2) | instskip(SKIP_1) | instid1(TRANS32_DEP_1)
	v_rcp_f32_e32 v69, v68
	v_nop
	v_fma_f32 v70, -v68, v69, 1.0
	s_delay_alu instid0(VALU_DEP_1) | instskip(NEXT) | instid1(VALU_DEP_1)
	v_fmac_f32_e32 v69, v70, v69
	v_mul_f32_e32 v70, v71, v69
	s_delay_alu instid0(VALU_DEP_1) | instskip(NEXT) | instid1(VALU_DEP_1)
	v_fma_f32 v72, -v68, v70, v71
	v_fmac_f32_e32 v70, v72, v69
	s_delay_alu instid0(VALU_DEP_1) | instskip(NEXT) | instid1(VALU_DEP_1)
	v_fma_f32 v68, -v68, v70, v71
	v_div_fmas_f32 v68, v68, v69, v70
	s_delay_alu instid0(VALU_DEP_1) | instskip(NEXT) | instid1(VALU_DEP_1)
	v_div_fixup_f32 v69, v68, v66, v67
	v_fmac_f32_e32 v66, v67, v69
	s_delay_alu instid0(VALU_DEP_1) | instskip(NEXT) | instid1(VALU_DEP_1)
	v_div_scale_f32 v67, null, v66, v66, 1.0
	v_rcp_f32_e32 v68, v67
	v_nop
	s_delay_alu instid0(TRANS32_DEP_1) | instskip(NEXT) | instid1(VALU_DEP_1)
	v_fma_f32 v70, -v67, v68, 1.0
	v_fmac_f32_e32 v68, v70, v68
	v_div_scale_f32 v70, vcc_lo, 1.0, v66, 1.0
	s_delay_alu instid0(VALU_DEP_1) | instskip(NEXT) | instid1(VALU_DEP_1)
	v_mul_f32_e32 v71, v70, v68
	v_fma_f32 v72, -v67, v71, v70
	s_delay_alu instid0(VALU_DEP_1) | instskip(NEXT) | instid1(VALU_DEP_1)
	v_fmac_f32_e32 v71, v72, v68
	v_fma_f32 v67, -v67, v71, v70
	s_delay_alu instid0(VALU_DEP_1) | instskip(NEXT) | instid1(VALU_DEP_1)
	v_div_fmas_f32 v67, v67, v68, v71
	v_div_fixup_f32 v68, v67, v66, 1.0
	s_delay_alu instid0(VALU_DEP_1)
	v_mul_f32_e64 v69, v69, -v68
.LBB113_268:
	s_or_b32 exec_lo, exec_lo, s1
	ds_store_b64 v181, v[68:69]
.LBB113_269:
	s_or_b32 exec_lo, exec_lo, s2
	s_wait_dscnt 0x0
	s_barrier_signal -1
	s_barrier_wait -1
	ds_load_b64 v[66:67], v181
	s_mov_b32 s1, exec_lo
	v_cmpx_lt_u32_e32 29, v180
	s_cbranch_execz .LBB113_271
; %bb.270:
	ds_load_2addr_b64 v[86:89], v182 offset0:30 offset1:31
	s_wait_dscnt 0x1
	v_pk_mul_f32 v[70:71], v[66:67], v[126:127] op_sel:[1,1] op_sel_hi:[0,1]
	s_delay_alu instid0(VALU_DEP_1) | instskip(SKIP_1) | instid1(VALU_DEP_1)
	v_pk_fma_f32 v[68:69], v[66:67], v[126:127], v[70:71] op_sel_hi:[1,0,1] neg_lo:[0,0,1] neg_hi:[0,0,1]
	v_pk_fma_f32 v[70:71], v[66:67], v[126:127], v[70:71] op_sel_hi:[1,0,1]
	v_dual_mov_b32 v126, v68 :: v_dual_mov_b32 v127, v71
	s_wait_dscnt 0x0
	s_delay_alu instid0(VALU_DEP_2) | instskip(NEXT) | instid1(VALU_DEP_1)
	v_pk_mul_f32 v[72:73], v[86:87], v[70:71] op_sel:[0,1]
	v_pk_fma_f32 v[82:83], v[86:87], v[68:69], v[72:73] op_sel:[0,0,1] op_sel_hi:[1,1,0] neg_lo:[0,0,1] neg_hi:[0,0,1]
	v_pk_fma_f32 v[72:73], v[86:87], v[68:69], v[72:73] op_sel:[0,0,1] op_sel_hi:[1,0,0]
	s_delay_alu instid0(VALU_DEP_1) | instskip(SKIP_1) | instid1(VALU_DEP_2)
	v_mov_b32_e32 v83, v73
	v_pk_mul_f32 v[72:73], v[88:89], v[70:71] op_sel:[0,1]
	v_pk_add_f32 v[128:129], v[128:129], v[82:83] neg_lo:[0,1] neg_hi:[0,1]
	s_delay_alu instid0(VALU_DEP_2) | instskip(SKIP_3) | instid1(VALU_DEP_1)
	v_pk_fma_f32 v[82:83], v[88:89], v[68:69], v[72:73] op_sel:[0,0,1] op_sel_hi:[1,1,0] neg_lo:[0,0,1] neg_hi:[0,0,1]
	v_pk_fma_f32 v[72:73], v[88:89], v[68:69], v[72:73] op_sel:[0,0,1] op_sel_hi:[1,0,0]
	ds_load_2addr_b64 v[86:89], v182 offset0:32 offset1:33
	v_mov_b32_e32 v83, v73
	v_pk_add_f32 v[124:125], v[124:125], v[82:83] neg_lo:[0,1] neg_hi:[0,1]
	s_wait_dscnt 0x0
	v_pk_mul_f32 v[72:73], v[86:87], v[70:71] op_sel:[0,1]
	s_delay_alu instid0(VALU_DEP_1) | instskip(SKIP_2) | instid1(VALU_DEP_2)
	v_pk_fma_f32 v[82:83], v[86:87], v[68:69], v[72:73] op_sel:[0,0,1] op_sel_hi:[1,1,0] neg_lo:[0,0,1] neg_hi:[0,0,1]
	v_pk_fma_f32 v[72:73], v[86:87], v[68:69], v[72:73] op_sel:[0,0,1] op_sel_hi:[1,0,0]
	v_dual_mov_b32 v72, v89 :: v_dual_mul_f32 v86, v89, v68
	v_dual_mov_b32 v83, v73 :: v_dual_mov_b32 v73, v88
	s_delay_alu instid0(VALU_DEP_1) | instskip(SKIP_1) | instid1(VALU_DEP_3)
	v_pk_add_f32 v[146:147], v[146:147], v[82:83] neg_lo:[0,1] neg_hi:[0,1]
	v_mul_f32_e32 v82, v89, v71
	v_pk_fma_f32 v[72:73], v[72:73], v[126:127], v[86:87] op_sel_hi:[1,1,0]
	s_delay_alu instid0(VALU_DEP_2) | instskip(SKIP_2) | instid1(VALU_DEP_1)
	v_pk_fma_f32 v[82:83], v[88:89], v[126:127], v[82:83] op_sel_hi:[1,1,0] neg_lo:[0,0,1] neg_hi:[0,0,1]
	ds_load_2addr_b64 v[86:89], v182 offset0:34 offset1:35
	v_mov_b32_e32 v83, v73
	v_pk_add_f32 v[142:143], v[142:143], v[82:83] neg_lo:[0,1] neg_hi:[0,1]
	s_wait_dscnt 0x0
	v_pk_mul_f32 v[72:73], v[86:87], v[70:71] op_sel:[0,1]
	s_delay_alu instid0(VALU_DEP_1) | instskip(SKIP_1) | instid1(VALU_DEP_1)
	v_pk_fma_f32 v[82:83], v[86:87], v[68:69], v[72:73] op_sel:[0,0,1] op_sel_hi:[1,1,0] neg_lo:[0,0,1] neg_hi:[0,0,1]
	v_pk_fma_f32 v[72:73], v[86:87], v[68:69], v[72:73] op_sel:[0,0,1] op_sel_hi:[1,0,0]
	v_mov_b32_e32 v83, v73
	v_pk_mul_f32 v[72:73], v[88:89], v[70:71] op_sel:[0,1]
	s_delay_alu instid0(VALU_DEP_2) | instskip(NEXT) | instid1(VALU_DEP_2)
	v_pk_add_f32 v[144:145], v[144:145], v[82:83] neg_lo:[0,1] neg_hi:[0,1]
	v_pk_fma_f32 v[82:83], v[88:89], v[68:69], v[72:73] op_sel:[0,0,1] op_sel_hi:[1,1,0] neg_lo:[0,0,1] neg_hi:[0,0,1]
	v_pk_fma_f32 v[72:73], v[88:89], v[68:69], v[72:73] op_sel:[0,0,1] op_sel_hi:[1,0,0]
	ds_load_2addr_b64 v[86:89], v182 offset0:36 offset1:37
	v_mov_b32_e32 v83, v73
	s_delay_alu instid0(VALU_DEP_1) | instskip(SKIP_2) | instid1(VALU_DEP_1)
	v_pk_add_f32 v[140:141], v[140:141], v[82:83] neg_lo:[0,1] neg_hi:[0,1]
	s_wait_dscnt 0x0
	v_pk_mul_f32 v[72:73], v[86:87], v[70:71] op_sel:[0,1]
	v_pk_fma_f32 v[82:83], v[86:87], v[68:69], v[72:73] op_sel:[0,0,1] op_sel_hi:[1,1,0] neg_lo:[0,0,1] neg_hi:[0,0,1]
	v_pk_fma_f32 v[72:73], v[86:87], v[68:69], v[72:73] op_sel:[0,0,1] op_sel_hi:[1,0,0]
	s_delay_alu instid0(VALU_DEP_1) | instskip(SKIP_1) | instid1(VALU_DEP_2)
	v_mov_b32_e32 v83, v73
	v_pk_mul_f32 v[72:73], v[88:89], v[70:71] op_sel:[0,1]
	v_pk_add_f32 v[162:163], v[162:163], v[82:83] neg_lo:[0,1] neg_hi:[0,1]
	s_delay_alu instid0(VALU_DEP_2) | instskip(SKIP_3) | instid1(VALU_DEP_1)
	v_pk_fma_f32 v[82:83], v[88:89], v[68:69], v[72:73] op_sel:[0,0,1] op_sel_hi:[1,1,0] neg_lo:[0,0,1] neg_hi:[0,0,1]
	v_pk_fma_f32 v[72:73], v[88:89], v[68:69], v[72:73] op_sel:[0,0,1] op_sel_hi:[1,0,0]
	ds_load_2addr_b64 v[86:89], v182 offset0:38 offset1:39
	v_mov_b32_e32 v83, v73
	v_pk_add_f32 v[158:159], v[158:159], v[82:83] neg_lo:[0,1] neg_hi:[0,1]
	s_wait_dscnt 0x0
	v_dual_mul_f32 v82, v87, v68 :: v_dual_mul_f32 v72, v87, v71
	s_delay_alu instid0(VALU_DEP_1) | instskip(NEXT) | instid1(VALU_DEP_2)
	v_pk_fma_f32 v[82:83], v[86:87], v[126:127], v[82:83] op_sel:[1,0,0] op_sel_hi:[0,1,0]
	v_pk_fma_f32 v[72:73], v[86:87], v[126:127], v[72:73] op_sel_hi:[1,1,0] neg_lo:[0,0,1] neg_hi:[0,0,1]
	s_delay_alu instid0(VALU_DEP_2) | instskip(NEXT) | instid1(VALU_DEP_1)
	v_mov_b32_e32 v73, v83
	v_pk_add_f32 v[160:161], v[160:161], v[72:73] neg_lo:[0,1] neg_hi:[0,1]
	v_pk_mul_f32 v[72:73], v[88:89], v[70:71] op_sel:[0,1]
	s_delay_alu instid0(VALU_DEP_1) | instskip(SKIP_3) | instid1(VALU_DEP_1)
	v_pk_fma_f32 v[82:83], v[88:89], v[68:69], v[72:73] op_sel:[0,0,1] op_sel_hi:[1,1,0] neg_lo:[0,0,1] neg_hi:[0,0,1]
	v_pk_fma_f32 v[72:73], v[88:89], v[68:69], v[72:73] op_sel:[0,0,1] op_sel_hi:[1,0,0]
	ds_load_2addr_b64 v[86:89], v182 offset0:40 offset1:41
	v_mov_b32_e32 v83, v73
	v_pk_add_f32 v[156:157], v[156:157], v[82:83] neg_lo:[0,1] neg_hi:[0,1]
	s_wait_dscnt 0x0
	v_pk_mul_f32 v[72:73], v[86:87], v[70:71] op_sel:[0,1]
	s_delay_alu instid0(VALU_DEP_1) | instskip(SKIP_1) | instid1(VALU_DEP_1)
	v_pk_fma_f32 v[82:83], v[86:87], v[68:69], v[72:73] op_sel:[0,0,1] op_sel_hi:[1,1,0] neg_lo:[0,0,1] neg_hi:[0,0,1]
	v_pk_fma_f32 v[72:73], v[86:87], v[68:69], v[72:73] op_sel:[0,0,1] op_sel_hi:[1,0,0]
	v_mov_b32_e32 v83, v73
	v_pk_mul_f32 v[72:73], v[88:89], v[70:71] op_sel:[0,1]
	s_delay_alu instid0(VALU_DEP_2) | instskip(NEXT) | instid1(VALU_DEP_2)
	v_pk_add_f32 v[178:179], v[178:179], v[82:83] neg_lo:[0,1] neg_hi:[0,1]
	v_pk_fma_f32 v[82:83], v[88:89], v[68:69], v[72:73] op_sel:[0,0,1] op_sel_hi:[1,1,0] neg_lo:[0,0,1] neg_hi:[0,0,1]
	v_pk_fma_f32 v[72:73], v[88:89], v[68:69], v[72:73] op_sel:[0,0,1] op_sel_hi:[1,0,0]
	ds_load_2addr_b64 v[86:89], v182 offset0:42 offset1:43
	v_mov_b32_e32 v83, v73
	s_delay_alu instid0(VALU_DEP_1) | instskip(SKIP_2) | instid1(VALU_DEP_1)
	v_pk_add_f32 v[174:175], v[174:175], v[82:83] neg_lo:[0,1] neg_hi:[0,1]
	s_wait_dscnt 0x0
	v_pk_mul_f32 v[72:73], v[86:87], v[70:71] op_sel:[0,1]
	v_pk_fma_f32 v[82:83], v[86:87], v[68:69], v[72:73] op_sel:[0,0,1] op_sel_hi:[1,1,0] neg_lo:[0,0,1] neg_hi:[0,0,1]
	v_pk_fma_f32 v[72:73], v[86:87], v[68:69], v[72:73] op_sel:[0,0,1] op_sel_hi:[1,0,0]
	v_dual_mov_b32 v72, v89 :: v_dual_mul_f32 v86, v89, v68
	s_delay_alu instid0(VALU_DEP_2) | instskip(NEXT) | instid1(VALU_DEP_1)
	v_dual_mov_b32 v83, v73 :: v_dual_mov_b32 v73, v88
	v_pk_add_f32 v[176:177], v[176:177], v[82:83] neg_lo:[0,1] neg_hi:[0,1]
	v_mul_f32_e32 v82, v89, v71
	s_delay_alu instid0(VALU_DEP_3) | instskip(NEXT) | instid1(VALU_DEP_2)
	v_pk_fma_f32 v[72:73], v[72:73], v[126:127], v[86:87] op_sel_hi:[1,1,0]
	v_pk_fma_f32 v[82:83], v[88:89], v[126:127], v[82:83] op_sel_hi:[1,1,0] neg_lo:[0,0,1] neg_hi:[0,0,1]
	ds_load_2addr_b64 v[86:89], v182 offset0:44 offset1:45
	v_mov_b32_e32 v83, v73
	s_delay_alu instid0(VALU_DEP_1) | instskip(SKIP_2) | instid1(VALU_DEP_1)
	v_pk_add_f32 v[172:173], v[172:173], v[82:83] neg_lo:[0,1] neg_hi:[0,1]
	s_wait_dscnt 0x0
	v_pk_mul_f32 v[72:73], v[86:87], v[70:71] op_sel:[0,1]
	v_pk_fma_f32 v[82:83], v[86:87], v[68:69], v[72:73] op_sel:[0,0,1] op_sel_hi:[1,1,0] neg_lo:[0,0,1] neg_hi:[0,0,1]
	v_pk_fma_f32 v[72:73], v[86:87], v[68:69], v[72:73] op_sel:[0,0,1] op_sel_hi:[1,0,0]
	s_delay_alu instid0(VALU_DEP_1) | instskip(SKIP_1) | instid1(VALU_DEP_2)
	v_mov_b32_e32 v83, v73
	v_pk_mul_f32 v[72:73], v[88:89], v[70:71] op_sel:[0,1]
	v_pk_add_f32 v[200:201], v[200:201], v[82:83] neg_lo:[0,1] neg_hi:[0,1]
	s_delay_alu instid0(VALU_DEP_2) | instskip(SKIP_3) | instid1(VALU_DEP_1)
	v_pk_fma_f32 v[82:83], v[88:89], v[68:69], v[72:73] op_sel:[0,0,1] op_sel_hi:[1,1,0] neg_lo:[0,0,1] neg_hi:[0,0,1]
	v_pk_fma_f32 v[72:73], v[88:89], v[68:69], v[72:73] op_sel:[0,0,1] op_sel_hi:[1,0,0]
	ds_load_2addr_b64 v[86:89], v182 offset0:46 offset1:47
	v_mov_b32_e32 v83, v73
	v_pk_add_f32 v[196:197], v[196:197], v[82:83] neg_lo:[0,1] neg_hi:[0,1]
	s_wait_dscnt 0x0
	v_pk_mul_f32 v[72:73], v[86:87], v[70:71] op_sel:[0,1]
	s_delay_alu instid0(VALU_DEP_1) | instskip(SKIP_1) | instid1(VALU_DEP_1)
	v_pk_fma_f32 v[82:83], v[86:87], v[68:69], v[72:73] op_sel:[0,0,1] op_sel_hi:[1,1,0] neg_lo:[0,0,1] neg_hi:[0,0,1]
	v_pk_fma_f32 v[72:73], v[86:87], v[68:69], v[72:73] op_sel:[0,0,1] op_sel_hi:[1,0,0]
	v_mov_b32_e32 v83, v73
	v_pk_mul_f32 v[72:73], v[88:89], v[70:71] op_sel:[0,1]
	s_delay_alu instid0(VALU_DEP_2) | instskip(NEXT) | instid1(VALU_DEP_2)
	v_pk_add_f32 v[198:199], v[198:199], v[82:83] neg_lo:[0,1] neg_hi:[0,1]
	v_pk_fma_f32 v[82:83], v[88:89], v[68:69], v[72:73] op_sel:[0,0,1] op_sel_hi:[1,1,0] neg_lo:[0,0,1] neg_hi:[0,0,1]
	v_pk_fma_f32 v[72:73], v[88:89], v[68:69], v[72:73] op_sel:[0,0,1] op_sel_hi:[1,0,0]
	ds_load_2addr_b64 v[86:89], v182 offset0:48 offset1:49
	v_mov_b32_e32 v83, v73
	s_delay_alu instid0(VALU_DEP_1) | instskip(SKIP_2) | instid1(VALU_DEP_1)
	v_pk_add_f32 v[194:195], v[194:195], v[82:83] neg_lo:[0,1] neg_hi:[0,1]
	s_wait_dscnt 0x0
	v_dual_mul_f32 v82, v87, v68 :: v_dual_mul_f32 v72, v87, v71
	v_pk_fma_f32 v[82:83], v[86:87], v[126:127], v[82:83] op_sel:[1,0,0] op_sel_hi:[0,1,0]
	s_delay_alu instid0(VALU_DEP_2) | instskip(NEXT) | instid1(VALU_DEP_2)
	v_pk_fma_f32 v[72:73], v[86:87], v[126:127], v[72:73] op_sel_hi:[1,1,0] neg_lo:[0,0,1] neg_hi:[0,0,1]
	v_mov_b32_e32 v73, v83
	s_delay_alu instid0(VALU_DEP_1) | instskip(SKIP_1) | instid1(VALU_DEP_1)
	v_pk_add_f32 v[224:225], v[224:225], v[72:73] neg_lo:[0,1] neg_hi:[0,1]
	v_pk_mul_f32 v[72:73], v[88:89], v[70:71] op_sel:[0,1]
	v_pk_fma_f32 v[82:83], v[88:89], v[68:69], v[72:73] op_sel:[0,0,1] op_sel_hi:[1,1,0] neg_lo:[0,0,1] neg_hi:[0,0,1]
	v_pk_fma_f32 v[72:73], v[88:89], v[68:69], v[72:73] op_sel:[0,0,1] op_sel_hi:[1,0,0]
	ds_load_2addr_b64 v[86:89], v182 offset0:50 offset1:51
	v_mov_b32_e32 v83, v73
	s_delay_alu instid0(VALU_DEP_1) | instskip(SKIP_2) | instid1(VALU_DEP_1)
	v_pk_add_f32 v[216:217], v[216:217], v[82:83] neg_lo:[0,1] neg_hi:[0,1]
	s_wait_dscnt 0x0
	v_pk_mul_f32 v[72:73], v[86:87], v[70:71] op_sel:[0,1]
	v_pk_fma_f32 v[82:83], v[86:87], v[68:69], v[72:73] op_sel:[0,0,1] op_sel_hi:[1,1,0] neg_lo:[0,0,1] neg_hi:[0,0,1]
	v_pk_fma_f32 v[72:73], v[86:87], v[68:69], v[72:73] op_sel:[0,0,1] op_sel_hi:[1,0,0]
	s_delay_alu instid0(VALU_DEP_1) | instskip(SKIP_1) | instid1(VALU_DEP_2)
	v_mov_b32_e32 v83, v73
	v_pk_mul_f32 v[72:73], v[88:89], v[70:71] op_sel:[0,1]
	v_pk_add_f32 v[222:223], v[222:223], v[82:83] neg_lo:[0,1] neg_hi:[0,1]
	s_delay_alu instid0(VALU_DEP_2) | instskip(SKIP_3) | instid1(VALU_DEP_1)
	v_pk_fma_f32 v[82:83], v[88:89], v[68:69], v[72:73] op_sel:[0,0,1] op_sel_hi:[1,1,0] neg_lo:[0,0,1] neg_hi:[0,0,1]
	v_pk_fma_f32 v[72:73], v[88:89], v[68:69], v[72:73] op_sel:[0,0,1] op_sel_hi:[1,0,0]
	ds_load_2addr_b64 v[86:89], v182 offset0:52 offset1:53
	v_mov_b32_e32 v83, v73
	v_pk_add_f32 v[214:215], v[214:215], v[82:83] neg_lo:[0,1] neg_hi:[0,1]
	s_wait_dscnt 0x0
	v_pk_mul_f32 v[72:73], v[86:87], v[70:71] op_sel:[0,1]
	s_delay_alu instid0(VALU_DEP_1) | instskip(SKIP_2) | instid1(VALU_DEP_2)
	v_pk_fma_f32 v[82:83], v[86:87], v[68:69], v[72:73] op_sel:[0,0,1] op_sel_hi:[1,1,0] neg_lo:[0,0,1] neg_hi:[0,0,1]
	v_pk_fma_f32 v[72:73], v[86:87], v[68:69], v[72:73] op_sel:[0,0,1] op_sel_hi:[1,0,0]
	v_dual_mov_b32 v72, v89 :: v_dual_mul_f32 v86, v89, v68
	v_dual_mov_b32 v83, v73 :: v_dual_mov_b32 v73, v88
	s_delay_alu instid0(VALU_DEP_1) | instskip(SKIP_1) | instid1(VALU_DEP_3)
	v_pk_add_f32 v[220:221], v[220:221], v[82:83] neg_lo:[0,1] neg_hi:[0,1]
	v_mul_f32_e32 v82, v89, v71
	v_pk_fma_f32 v[72:73], v[72:73], v[126:127], v[86:87] op_sel_hi:[1,1,0]
	s_delay_alu instid0(VALU_DEP_2) | instskip(SKIP_2) | instid1(VALU_DEP_1)
	v_pk_fma_f32 v[82:83], v[88:89], v[126:127], v[82:83] op_sel_hi:[1,1,0] neg_lo:[0,0,1] neg_hi:[0,0,1]
	ds_load_2addr_b64 v[86:89], v182 offset0:54 offset1:55
	v_mov_b32_e32 v83, v73
	v_pk_add_f32 v[212:213], v[212:213], v[82:83] neg_lo:[0,1] neg_hi:[0,1]
	s_wait_dscnt 0x0
	v_pk_mul_f32 v[72:73], v[86:87], v[70:71] op_sel:[0,1]
	s_delay_alu instid0(VALU_DEP_1) | instskip(SKIP_1) | instid1(VALU_DEP_1)
	v_pk_fma_f32 v[82:83], v[86:87], v[68:69], v[72:73] op_sel:[0,0,1] op_sel_hi:[1,1,0] neg_lo:[0,0,1] neg_hi:[0,0,1]
	v_pk_fma_f32 v[72:73], v[86:87], v[68:69], v[72:73] op_sel:[0,0,1] op_sel_hi:[1,0,0]
	v_mov_b32_e32 v83, v73
	v_pk_mul_f32 v[72:73], v[88:89], v[70:71] op_sel:[0,1]
	s_delay_alu instid0(VALU_DEP_2) | instskip(NEXT) | instid1(VALU_DEP_2)
	v_pk_add_f32 v[218:219], v[218:219], v[82:83] neg_lo:[0,1] neg_hi:[0,1]
	v_pk_fma_f32 v[82:83], v[88:89], v[68:69], v[72:73] op_sel:[0,0,1] op_sel_hi:[1,1,0] neg_lo:[0,0,1] neg_hi:[0,0,1]
	v_pk_fma_f32 v[72:73], v[88:89], v[68:69], v[72:73] op_sel:[0,0,1] op_sel_hi:[1,0,0]
	s_delay_alu instid0(VALU_DEP_1) | instskip(SKIP_4) | instid1(VALU_DEP_1)
	v_mov_b32_e32 v83, v73
	ds_load_b64 v[72:73], v182 offset:448
	v_pk_add_f32 v[226:227], v[226:227], v[82:83] neg_lo:[0,1] neg_hi:[0,1]
	s_wait_dscnt 0x0
	v_pk_mul_f32 v[70:71], v[72:73], v[70:71] op_sel:[0,1]
	v_pk_fma_f32 v[82:83], v[72:73], v[68:69], v[70:71] op_sel:[0,0,1] op_sel_hi:[1,1,0] neg_lo:[0,0,1] neg_hi:[0,0,1]
	v_pk_fma_f32 v[68:69], v[72:73], v[68:69], v[70:71] op_sel:[0,0,1] op_sel_hi:[1,0,0]
	s_delay_alu instid0(VALU_DEP_1) | instskip(NEXT) | instid1(VALU_DEP_1)
	v_mov_b32_e32 v83, v69
	v_pk_add_f32 v[228:229], v[228:229], v[82:83] neg_lo:[0,1] neg_hi:[0,1]
.LBB113_271:
	s_or_b32 exec_lo, exec_lo, s1
	s_delay_alu instid0(SALU_CYCLE_1)
	s_mov_b32 s2, exec_lo
	s_wait_dscnt 0x0
	s_barrier_signal -1
	s_barrier_wait -1
	v_cmpx_eq_u32_e32 30, v180
	s_cbranch_execz .LBB113_278
; %bb.272:
	ds_store_b64 v181, v[128:129]
	ds_store_2addr_b64 v182, v[124:125], v[146:147] offset0:31 offset1:32
	ds_store_2addr_b64 v182, v[142:143], v[144:145] offset0:33 offset1:34
	;; [unrolled: 1-line block ×13, first 2 shown]
	ds_load_b64 v[68:69], v181
	s_wait_dscnt 0x0
	v_cmp_neq_f32_e32 vcc_lo, 0, v68
	v_cmp_neq_f32_e64 s1, 0, v69
	s_or_b32 s1, vcc_lo, s1
	s_delay_alu instid0(SALU_CYCLE_1)
	s_and_b32 exec_lo, exec_lo, s1
	s_cbranch_execz .LBB113_278
; %bb.273:
	v_cmp_ngt_f32_e64 s1, |v68|, |v69|
                                        ; implicit-def: $vgpr70_vgpr71
	s_and_saveexec_b32 s4, s1
	s_delay_alu instid0(SALU_CYCLE_1)
	s_xor_b32 s1, exec_lo, s4
	s_cbranch_execz .LBB113_275
; %bb.274:
	v_div_scale_f32 v70, null, v69, v69, v68
	v_div_scale_f32 v73, vcc_lo, v68, v69, v68
	s_delay_alu instid0(VALU_DEP_2) | instskip(SKIP_1) | instid1(TRANS32_DEP_1)
	v_rcp_f32_e32 v71, v70
	v_nop
	v_fma_f32 v72, -v70, v71, 1.0
	s_delay_alu instid0(VALU_DEP_1) | instskip(NEXT) | instid1(VALU_DEP_1)
	v_fmac_f32_e32 v71, v72, v71
	v_mul_f32_e32 v72, v73, v71
	s_delay_alu instid0(VALU_DEP_1) | instskip(NEXT) | instid1(VALU_DEP_1)
	v_fma_f32 v82, -v70, v72, v73
	v_fmac_f32_e32 v72, v82, v71
	s_delay_alu instid0(VALU_DEP_1) | instskip(NEXT) | instid1(VALU_DEP_1)
	v_fma_f32 v70, -v70, v72, v73
	v_div_fmas_f32 v70, v70, v71, v72
	s_delay_alu instid0(VALU_DEP_1) | instskip(NEXT) | instid1(VALU_DEP_1)
	v_div_fixup_f32 v70, v70, v69, v68
	v_fmac_f32_e32 v69, v68, v70
	s_delay_alu instid0(VALU_DEP_1) | instskip(SKIP_1) | instid1(VALU_DEP_2)
	v_div_scale_f32 v68, null, v69, v69, 1.0
	v_div_scale_f32 v73, vcc_lo, 1.0, v69, 1.0
	v_rcp_f32_e32 v71, v68
	v_nop
	s_delay_alu instid0(TRANS32_DEP_1) | instskip(NEXT) | instid1(VALU_DEP_1)
	v_fma_f32 v72, -v68, v71, 1.0
	v_fmac_f32_e32 v71, v72, v71
	s_delay_alu instid0(VALU_DEP_1) | instskip(NEXT) | instid1(VALU_DEP_1)
	v_mul_f32_e32 v72, v73, v71
	v_fma_f32 v82, -v68, v72, v73
	s_delay_alu instid0(VALU_DEP_1) | instskip(NEXT) | instid1(VALU_DEP_1)
	v_fmac_f32_e32 v72, v82, v71
	v_fma_f32 v68, -v68, v72, v73
	s_delay_alu instid0(VALU_DEP_1) | instskip(NEXT) | instid1(VALU_DEP_1)
	v_div_fmas_f32 v68, v68, v71, v72
	v_div_fixup_f32 v68, v68, v69, 1.0
	s_delay_alu instid0(VALU_DEP_1)
	v_mul_f32_e32 v70, v70, v68
	v_xor_b32_e32 v71, 0x80000000, v68
                                        ; implicit-def: $vgpr68_vgpr69
.LBB113_275:
	s_and_not1_saveexec_b32 s1, s1
	s_cbranch_execz .LBB113_277
; %bb.276:
	v_div_scale_f32 v70, null, v68, v68, v69
	v_div_scale_f32 v73, vcc_lo, v69, v68, v69
	s_delay_alu instid0(VALU_DEP_2) | instskip(SKIP_1) | instid1(TRANS32_DEP_1)
	v_rcp_f32_e32 v71, v70
	v_nop
	v_fma_f32 v72, -v70, v71, 1.0
	s_delay_alu instid0(VALU_DEP_1) | instskip(NEXT) | instid1(VALU_DEP_1)
	v_fmac_f32_e32 v71, v72, v71
	v_mul_f32_e32 v72, v73, v71
	s_delay_alu instid0(VALU_DEP_1) | instskip(NEXT) | instid1(VALU_DEP_1)
	v_fma_f32 v82, -v70, v72, v73
	v_fmac_f32_e32 v72, v82, v71
	s_delay_alu instid0(VALU_DEP_1) | instskip(NEXT) | instid1(VALU_DEP_1)
	v_fma_f32 v70, -v70, v72, v73
	v_div_fmas_f32 v70, v70, v71, v72
	s_delay_alu instid0(VALU_DEP_1) | instskip(NEXT) | instid1(VALU_DEP_1)
	v_div_fixup_f32 v71, v70, v68, v69
	v_fmac_f32_e32 v68, v69, v71
	s_delay_alu instid0(VALU_DEP_1) | instskip(NEXT) | instid1(VALU_DEP_1)
	v_div_scale_f32 v69, null, v68, v68, 1.0
	v_rcp_f32_e32 v70, v69
	v_nop
	s_delay_alu instid0(TRANS32_DEP_1) | instskip(NEXT) | instid1(VALU_DEP_1)
	v_fma_f32 v72, -v69, v70, 1.0
	v_fmac_f32_e32 v70, v72, v70
	v_div_scale_f32 v72, vcc_lo, 1.0, v68, 1.0
	s_delay_alu instid0(VALU_DEP_1) | instskip(NEXT) | instid1(VALU_DEP_1)
	v_mul_f32_e32 v73, v72, v70
	v_fma_f32 v82, -v69, v73, v72
	s_delay_alu instid0(VALU_DEP_1) | instskip(NEXT) | instid1(VALU_DEP_1)
	v_fmac_f32_e32 v73, v82, v70
	v_fma_f32 v69, -v69, v73, v72
	s_delay_alu instid0(VALU_DEP_1) | instskip(NEXT) | instid1(VALU_DEP_1)
	v_div_fmas_f32 v69, v69, v70, v73
	v_div_fixup_f32 v70, v69, v68, 1.0
	s_delay_alu instid0(VALU_DEP_1)
	v_mul_f32_e64 v71, v71, -v70
.LBB113_277:
	s_or_b32 exec_lo, exec_lo, s1
	ds_store_b64 v181, v[70:71]
.LBB113_278:
	s_or_b32 exec_lo, exec_lo, s2
	s_wait_dscnt 0x0
	s_barrier_signal -1
	s_barrier_wait -1
	ds_load_b64 v[68:69], v181
	s_mov_b32 s1, exec_lo
	v_cmpx_lt_u32_e32 30, v180
	s_cbranch_execz .LBB113_280
; %bb.279:
	ds_load_2addr_b64 v[86:89], v182 offset0:31 offset1:32
	s_wait_dscnt 0x1
	v_pk_mul_f32 v[72:73], v[68:69], v[128:129] op_sel:[1,1] op_sel_hi:[0,1]
	s_delay_alu instid0(VALU_DEP_1) | instskip(SKIP_1) | instid1(VALU_DEP_1)
	v_pk_fma_f32 v[70:71], v[68:69], v[128:129], v[72:73] op_sel_hi:[1,0,1] neg_lo:[0,0,1] neg_hi:[0,0,1]
	v_pk_fma_f32 v[72:73], v[68:69], v[128:129], v[72:73] op_sel_hi:[1,0,1]
	v_dual_mov_b32 v128, v70 :: v_dual_mov_b32 v129, v73
	s_wait_dscnt 0x0
	s_delay_alu instid0(VALU_DEP_2) | instskip(NEXT) | instid1(VALU_DEP_1)
	v_pk_mul_f32 v[82:83], v[86:87], v[72:73] op_sel:[0,1]
	v_pk_fma_f32 v[90:91], v[86:87], v[70:71], v[82:83] op_sel:[0,0,1] op_sel_hi:[1,1,0] neg_lo:[0,0,1] neg_hi:[0,0,1]
	v_pk_fma_f32 v[82:83], v[86:87], v[70:71], v[82:83] op_sel:[0,0,1] op_sel_hi:[1,0,0]
	s_delay_alu instid0(VALU_DEP_1) | instskip(SKIP_1) | instid1(VALU_DEP_1)
	v_mov_b32_e32 v91, v83
	v_pk_mul_f32 v[82:83], v[88:89], v[72:73] op_sel:[0,1]
	v_pk_fma_f32 v[86:87], v[88:89], v[70:71], v[82:83] op_sel:[0,0,1] op_sel_hi:[1,1,0] neg_lo:[0,0,1] neg_hi:[0,0,1]
	v_pk_fma_f32 v[82:83], v[88:89], v[70:71], v[82:83] op_sel:[0,0,1] op_sel_hi:[1,0,0]
	s_delay_alu instid0(VALU_DEP_1) | instskip(SKIP_1) | instid1(VALU_DEP_2)
	v_mov_b32_e32 v87, v83
	v_pk_add_f32 v[124:125], v[124:125], v[90:91] neg_lo:[0,1] neg_hi:[0,1]
	v_pk_add_f32 v[146:147], v[146:147], v[86:87] neg_lo:[0,1] neg_hi:[0,1]
	ds_load_2addr_b64 v[86:89], v182 offset0:33 offset1:34
	s_wait_dscnt 0x0
	v_pk_mul_f32 v[82:83], v[86:87], v[72:73] op_sel:[0,1]
	s_delay_alu instid0(VALU_DEP_1) | instskip(SKIP_2) | instid1(VALU_DEP_2)
	v_pk_fma_f32 v[90:91], v[86:87], v[70:71], v[82:83] op_sel:[0,0,1] op_sel_hi:[1,1,0] neg_lo:[0,0,1] neg_hi:[0,0,1]
	v_pk_fma_f32 v[82:83], v[86:87], v[70:71], v[82:83] op_sel:[0,0,1] op_sel_hi:[1,0,0]
	v_dual_mul_f32 v86, v89, v73 :: v_dual_mov_b32 v82, v89
	v_dual_mov_b32 v91, v83 :: v_dual_mov_b32 v83, v88
	s_delay_alu instid0(VALU_DEP_2) | instskip(SKIP_1) | instid1(VALU_DEP_3)
	v_pk_fma_f32 v[86:87], v[88:89], v[128:129], v[86:87] op_sel_hi:[1,1,0] neg_lo:[0,0,1] neg_hi:[0,0,1]
	v_mul_f32_e32 v88, v89, v70
	v_pk_add_f32 v[142:143], v[142:143], v[90:91] neg_lo:[0,1] neg_hi:[0,1]
	s_delay_alu instid0(VALU_DEP_2) | instskip(NEXT) | instid1(VALU_DEP_1)
	v_pk_fma_f32 v[82:83], v[82:83], v[128:129], v[88:89] op_sel_hi:[1,1,0]
	v_mov_b32_e32 v87, v83
	s_delay_alu instid0(VALU_DEP_1) | instskip(SKIP_3) | instid1(VALU_DEP_1)
	v_pk_add_f32 v[144:145], v[144:145], v[86:87] neg_lo:[0,1] neg_hi:[0,1]
	ds_load_2addr_b64 v[86:89], v182 offset0:35 offset1:36
	s_wait_dscnt 0x0
	v_pk_mul_f32 v[82:83], v[86:87], v[72:73] op_sel:[0,1]
	v_pk_fma_f32 v[90:91], v[86:87], v[70:71], v[82:83] op_sel:[0,0,1] op_sel_hi:[1,1,0] neg_lo:[0,0,1] neg_hi:[0,0,1]
	v_pk_fma_f32 v[82:83], v[86:87], v[70:71], v[82:83] op_sel:[0,0,1] op_sel_hi:[1,0,0]
	s_delay_alu instid0(VALU_DEP_1) | instskip(SKIP_1) | instid1(VALU_DEP_1)
	v_mov_b32_e32 v91, v83
	v_pk_mul_f32 v[82:83], v[88:89], v[72:73] op_sel:[0,1]
	v_pk_fma_f32 v[86:87], v[88:89], v[70:71], v[82:83] op_sel:[0,0,1] op_sel_hi:[1,1,0] neg_lo:[0,0,1] neg_hi:[0,0,1]
	v_pk_fma_f32 v[82:83], v[88:89], v[70:71], v[82:83] op_sel:[0,0,1] op_sel_hi:[1,0,0]
	s_delay_alu instid0(VALU_DEP_1) | instskip(SKIP_1) | instid1(VALU_DEP_2)
	v_mov_b32_e32 v87, v83
	v_pk_add_f32 v[140:141], v[140:141], v[90:91] neg_lo:[0,1] neg_hi:[0,1]
	v_pk_add_f32 v[162:163], v[162:163], v[86:87] neg_lo:[0,1] neg_hi:[0,1]
	ds_load_2addr_b64 v[86:89], v182 offset0:37 offset1:38
	s_wait_dscnt 0x0
	v_pk_mul_f32 v[82:83], v[86:87], v[72:73] op_sel:[0,1]
	s_delay_alu instid0(VALU_DEP_1) | instskip(SKIP_1) | instid1(VALU_DEP_1)
	v_pk_fma_f32 v[90:91], v[86:87], v[70:71], v[82:83] op_sel:[0,0,1] op_sel_hi:[1,1,0] neg_lo:[0,0,1] neg_hi:[0,0,1]
	v_pk_fma_f32 v[82:83], v[86:87], v[70:71], v[82:83] op_sel:[0,0,1] op_sel_hi:[1,0,0]
	v_mov_b32_e32 v91, v83
	v_pk_mul_f32 v[82:83], v[88:89], v[72:73] op_sel:[0,1]
	s_delay_alu instid0(VALU_DEP_1) | instskip(SKIP_1) | instid1(VALU_DEP_1)
	v_pk_fma_f32 v[86:87], v[88:89], v[70:71], v[82:83] op_sel:[0,0,1] op_sel_hi:[1,1,0] neg_lo:[0,0,1] neg_hi:[0,0,1]
	v_pk_fma_f32 v[82:83], v[88:89], v[70:71], v[82:83] op_sel:[0,0,1] op_sel_hi:[1,0,0]
	v_mov_b32_e32 v87, v83
	v_pk_add_f32 v[158:159], v[158:159], v[90:91] neg_lo:[0,1] neg_hi:[0,1]
	s_delay_alu instid0(VALU_DEP_2) | instskip(SKIP_3) | instid1(VALU_DEP_1)
	v_pk_add_f32 v[160:161], v[160:161], v[86:87] neg_lo:[0,1] neg_hi:[0,1]
	ds_load_2addr_b64 v[86:89], v182 offset0:39 offset1:40
	s_wait_dscnt 0x0
	v_dual_mul_f32 v82, v87, v73 :: v_dual_mul_f32 v90, v87, v70
	v_pk_fma_f32 v[82:83], v[86:87], v[128:129], v[82:83] op_sel_hi:[1,1,0] neg_lo:[0,0,1] neg_hi:[0,0,1]
	s_delay_alu instid0(VALU_DEP_2) | instskip(NEXT) | instid1(VALU_DEP_1)
	v_pk_fma_f32 v[86:87], v[86:87], v[128:129], v[90:91] op_sel:[1,0,0] op_sel_hi:[0,1,0]
	v_mov_b32_e32 v83, v87
	s_delay_alu instid0(VALU_DEP_1) | instskip(SKIP_1) | instid1(VALU_DEP_1)
	v_pk_add_f32 v[156:157], v[156:157], v[82:83] neg_lo:[0,1] neg_hi:[0,1]
	v_pk_mul_f32 v[82:83], v[88:89], v[72:73] op_sel:[0,1]
	v_pk_fma_f32 v[86:87], v[88:89], v[70:71], v[82:83] op_sel:[0,0,1] op_sel_hi:[1,1,0] neg_lo:[0,0,1] neg_hi:[0,0,1]
	v_pk_fma_f32 v[82:83], v[88:89], v[70:71], v[82:83] op_sel:[0,0,1] op_sel_hi:[1,0,0]
	s_delay_alu instid0(VALU_DEP_1) | instskip(NEXT) | instid1(VALU_DEP_1)
	v_mov_b32_e32 v87, v83
	v_pk_add_f32 v[178:179], v[178:179], v[86:87] neg_lo:[0,1] neg_hi:[0,1]
	ds_load_2addr_b64 v[86:89], v182 offset0:41 offset1:42
	s_wait_dscnt 0x0
	v_pk_mul_f32 v[82:83], v[86:87], v[72:73] op_sel:[0,1]
	s_delay_alu instid0(VALU_DEP_1) | instskip(SKIP_1) | instid1(VALU_DEP_1)
	v_pk_fma_f32 v[90:91], v[86:87], v[70:71], v[82:83] op_sel:[0,0,1] op_sel_hi:[1,1,0] neg_lo:[0,0,1] neg_hi:[0,0,1]
	v_pk_fma_f32 v[82:83], v[86:87], v[70:71], v[82:83] op_sel:[0,0,1] op_sel_hi:[1,0,0]
	v_mov_b32_e32 v91, v83
	v_pk_mul_f32 v[82:83], v[88:89], v[72:73] op_sel:[0,1]
	s_delay_alu instid0(VALU_DEP_2) | instskip(NEXT) | instid1(VALU_DEP_2)
	v_pk_add_f32 v[174:175], v[174:175], v[90:91] neg_lo:[0,1] neg_hi:[0,1]
	v_pk_fma_f32 v[86:87], v[88:89], v[70:71], v[82:83] op_sel:[0,0,1] op_sel_hi:[1,1,0] neg_lo:[0,0,1] neg_hi:[0,0,1]
	v_pk_fma_f32 v[82:83], v[88:89], v[70:71], v[82:83] op_sel:[0,0,1] op_sel_hi:[1,0,0]
	s_delay_alu instid0(VALU_DEP_1) | instskip(NEXT) | instid1(VALU_DEP_1)
	v_mov_b32_e32 v87, v83
	v_pk_add_f32 v[176:177], v[176:177], v[86:87] neg_lo:[0,1] neg_hi:[0,1]
	ds_load_2addr_b64 v[86:89], v182 offset0:43 offset1:44
	s_wait_dscnt 0x0
	v_pk_mul_f32 v[82:83], v[86:87], v[72:73] op_sel:[0,1]
	s_delay_alu instid0(VALU_DEP_1) | instskip(SKIP_2) | instid1(VALU_DEP_2)
	v_pk_fma_f32 v[90:91], v[86:87], v[70:71], v[82:83] op_sel:[0,0,1] op_sel_hi:[1,1,0] neg_lo:[0,0,1] neg_hi:[0,0,1]
	v_pk_fma_f32 v[82:83], v[86:87], v[70:71], v[82:83] op_sel:[0,0,1] op_sel_hi:[1,0,0]
	v_dual_mul_f32 v86, v89, v73 :: v_dual_mov_b32 v82, v89
	v_dual_mov_b32 v91, v83 :: v_dual_mov_b32 v83, v88
	s_delay_alu instid0(VALU_DEP_2) | instskip(SKIP_1) | instid1(VALU_DEP_3)
	v_pk_fma_f32 v[86:87], v[88:89], v[128:129], v[86:87] op_sel_hi:[1,1,0] neg_lo:[0,0,1] neg_hi:[0,0,1]
	v_mul_f32_e32 v88, v89, v70
	v_pk_add_f32 v[172:173], v[172:173], v[90:91] neg_lo:[0,1] neg_hi:[0,1]
	s_delay_alu instid0(VALU_DEP_2) | instskip(NEXT) | instid1(VALU_DEP_1)
	v_pk_fma_f32 v[82:83], v[82:83], v[128:129], v[88:89] op_sel_hi:[1,1,0]
	v_mov_b32_e32 v87, v83
	s_delay_alu instid0(VALU_DEP_1) | instskip(SKIP_3) | instid1(VALU_DEP_1)
	v_pk_add_f32 v[200:201], v[200:201], v[86:87] neg_lo:[0,1] neg_hi:[0,1]
	ds_load_2addr_b64 v[86:89], v182 offset0:45 offset1:46
	s_wait_dscnt 0x0
	v_pk_mul_f32 v[82:83], v[86:87], v[72:73] op_sel:[0,1]
	v_pk_fma_f32 v[90:91], v[86:87], v[70:71], v[82:83] op_sel:[0,0,1] op_sel_hi:[1,1,0] neg_lo:[0,0,1] neg_hi:[0,0,1]
	v_pk_fma_f32 v[82:83], v[86:87], v[70:71], v[82:83] op_sel:[0,0,1] op_sel_hi:[1,0,0]
	s_delay_alu instid0(VALU_DEP_1) | instskip(SKIP_1) | instid1(VALU_DEP_1)
	v_mov_b32_e32 v91, v83
	v_pk_mul_f32 v[82:83], v[88:89], v[72:73] op_sel:[0,1]
	v_pk_fma_f32 v[86:87], v[88:89], v[70:71], v[82:83] op_sel:[0,0,1] op_sel_hi:[1,1,0] neg_lo:[0,0,1] neg_hi:[0,0,1]
	v_pk_fma_f32 v[82:83], v[88:89], v[70:71], v[82:83] op_sel:[0,0,1] op_sel_hi:[1,0,0]
	s_delay_alu instid0(VALU_DEP_1) | instskip(SKIP_1) | instid1(VALU_DEP_2)
	v_mov_b32_e32 v87, v83
	v_pk_add_f32 v[196:197], v[196:197], v[90:91] neg_lo:[0,1] neg_hi:[0,1]
	v_pk_add_f32 v[198:199], v[198:199], v[86:87] neg_lo:[0,1] neg_hi:[0,1]
	ds_load_2addr_b64 v[86:89], v182 offset0:47 offset1:48
	s_wait_dscnt 0x0
	v_pk_mul_f32 v[82:83], v[86:87], v[72:73] op_sel:[0,1]
	s_delay_alu instid0(VALU_DEP_1) | instskip(SKIP_1) | instid1(VALU_DEP_1)
	v_pk_fma_f32 v[90:91], v[86:87], v[70:71], v[82:83] op_sel:[0,0,1] op_sel_hi:[1,1,0] neg_lo:[0,0,1] neg_hi:[0,0,1]
	v_pk_fma_f32 v[82:83], v[86:87], v[70:71], v[82:83] op_sel:[0,0,1] op_sel_hi:[1,0,0]
	v_mov_b32_e32 v91, v83
	v_pk_mul_f32 v[82:83], v[88:89], v[72:73] op_sel:[0,1]
	s_delay_alu instid0(VALU_DEP_1) | instskip(SKIP_1) | instid1(VALU_DEP_1)
	v_pk_fma_f32 v[86:87], v[88:89], v[70:71], v[82:83] op_sel:[0,0,1] op_sel_hi:[1,1,0] neg_lo:[0,0,1] neg_hi:[0,0,1]
	v_pk_fma_f32 v[82:83], v[88:89], v[70:71], v[82:83] op_sel:[0,0,1] op_sel_hi:[1,0,0]
	v_mov_b32_e32 v87, v83
	v_pk_add_f32 v[194:195], v[194:195], v[90:91] neg_lo:[0,1] neg_hi:[0,1]
	s_delay_alu instid0(VALU_DEP_2) | instskip(SKIP_3) | instid1(VALU_DEP_1)
	v_pk_add_f32 v[224:225], v[224:225], v[86:87] neg_lo:[0,1] neg_hi:[0,1]
	ds_load_2addr_b64 v[86:89], v182 offset0:49 offset1:50
	s_wait_dscnt 0x0
	v_dual_mul_f32 v82, v87, v73 :: v_dual_mul_f32 v90, v87, v70
	v_pk_fma_f32 v[82:83], v[86:87], v[128:129], v[82:83] op_sel_hi:[1,1,0] neg_lo:[0,0,1] neg_hi:[0,0,1]
	s_delay_alu instid0(VALU_DEP_2) | instskip(NEXT) | instid1(VALU_DEP_1)
	v_pk_fma_f32 v[86:87], v[86:87], v[128:129], v[90:91] op_sel:[1,0,0] op_sel_hi:[0,1,0]
	v_mov_b32_e32 v83, v87
	s_delay_alu instid0(VALU_DEP_1) | instskip(SKIP_1) | instid1(VALU_DEP_1)
	v_pk_add_f32 v[216:217], v[216:217], v[82:83] neg_lo:[0,1] neg_hi:[0,1]
	v_pk_mul_f32 v[82:83], v[88:89], v[72:73] op_sel:[0,1]
	v_pk_fma_f32 v[86:87], v[88:89], v[70:71], v[82:83] op_sel:[0,0,1] op_sel_hi:[1,1,0] neg_lo:[0,0,1] neg_hi:[0,0,1]
	v_pk_fma_f32 v[82:83], v[88:89], v[70:71], v[82:83] op_sel:[0,0,1] op_sel_hi:[1,0,0]
	s_delay_alu instid0(VALU_DEP_1) | instskip(NEXT) | instid1(VALU_DEP_1)
	v_mov_b32_e32 v87, v83
	v_pk_add_f32 v[222:223], v[222:223], v[86:87] neg_lo:[0,1] neg_hi:[0,1]
	ds_load_2addr_b64 v[86:89], v182 offset0:51 offset1:52
	s_wait_dscnt 0x0
	v_pk_mul_f32 v[82:83], v[86:87], v[72:73] op_sel:[0,1]
	s_delay_alu instid0(VALU_DEP_1) | instskip(SKIP_1) | instid1(VALU_DEP_1)
	v_pk_fma_f32 v[90:91], v[86:87], v[70:71], v[82:83] op_sel:[0,0,1] op_sel_hi:[1,1,0] neg_lo:[0,0,1] neg_hi:[0,0,1]
	v_pk_fma_f32 v[82:83], v[86:87], v[70:71], v[82:83] op_sel:[0,0,1] op_sel_hi:[1,0,0]
	v_mov_b32_e32 v91, v83
	v_pk_mul_f32 v[82:83], v[88:89], v[72:73] op_sel:[0,1]
	s_delay_alu instid0(VALU_DEP_2) | instskip(NEXT) | instid1(VALU_DEP_2)
	v_pk_add_f32 v[214:215], v[214:215], v[90:91] neg_lo:[0,1] neg_hi:[0,1]
	v_pk_fma_f32 v[86:87], v[88:89], v[70:71], v[82:83] op_sel:[0,0,1] op_sel_hi:[1,1,0] neg_lo:[0,0,1] neg_hi:[0,0,1]
	v_pk_fma_f32 v[82:83], v[88:89], v[70:71], v[82:83] op_sel:[0,0,1] op_sel_hi:[1,0,0]
	s_delay_alu instid0(VALU_DEP_1) | instskip(NEXT) | instid1(VALU_DEP_1)
	v_mov_b32_e32 v87, v83
	v_pk_add_f32 v[220:221], v[220:221], v[86:87] neg_lo:[0,1] neg_hi:[0,1]
	ds_load_2addr_b64 v[86:89], v182 offset0:53 offset1:54
	s_wait_dscnt 0x0
	v_pk_mul_f32 v[82:83], v[86:87], v[72:73] op_sel:[0,1]
	s_delay_alu instid0(VALU_DEP_1) | instskip(SKIP_2) | instid1(VALU_DEP_2)
	v_pk_fma_f32 v[90:91], v[86:87], v[70:71], v[82:83] op_sel:[0,0,1] op_sel_hi:[1,1,0] neg_lo:[0,0,1] neg_hi:[0,0,1]
	v_pk_fma_f32 v[82:83], v[86:87], v[70:71], v[82:83] op_sel:[0,0,1] op_sel_hi:[1,0,0]
	v_dual_mul_f32 v86, v89, v73 :: v_dual_mov_b32 v82, v89
	v_dual_mov_b32 v91, v83 :: v_dual_mov_b32 v83, v88
	s_delay_alu instid0(VALU_DEP_2) | instskip(SKIP_1) | instid1(VALU_DEP_3)
	v_pk_fma_f32 v[86:87], v[88:89], v[128:129], v[86:87] op_sel_hi:[1,1,0] neg_lo:[0,0,1] neg_hi:[0,0,1]
	v_mul_f32_e32 v88, v89, v70
	v_pk_add_f32 v[212:213], v[212:213], v[90:91] neg_lo:[0,1] neg_hi:[0,1]
	s_delay_alu instid0(VALU_DEP_2) | instskip(NEXT) | instid1(VALU_DEP_1)
	v_pk_fma_f32 v[82:83], v[82:83], v[128:129], v[88:89] op_sel_hi:[1,1,0]
	v_mov_b32_e32 v87, v83
	s_delay_alu instid0(VALU_DEP_1) | instskip(SKIP_4) | instid1(VALU_DEP_2)
	v_pk_add_f32 v[218:219], v[218:219], v[86:87] neg_lo:[0,1] neg_hi:[0,1]
	ds_load_2addr_b64 v[86:89], v182 offset0:55 offset1:56
	s_wait_dscnt 0x0
	v_pk_mul_f32 v[82:83], v[86:87], v[72:73] op_sel:[0,1]
	v_pk_mul_f32 v[72:73], v[88:89], v[72:73] op_sel:[0,1]
	v_pk_fma_f32 v[90:91], v[86:87], v[70:71], v[82:83] op_sel:[0,0,1] op_sel_hi:[1,1,0] neg_lo:[0,0,1] neg_hi:[0,0,1]
	v_pk_fma_f32 v[82:83], v[86:87], v[70:71], v[82:83] op_sel:[0,0,1] op_sel_hi:[1,0,0]
	s_delay_alu instid0(VALU_DEP_1) | instskip(NEXT) | instid1(VALU_DEP_4)
	v_mov_b32_e32 v91, v83
	v_pk_fma_f32 v[82:83], v[88:89], v[70:71], v[72:73] op_sel:[0,0,1] op_sel_hi:[1,1,0] neg_lo:[0,0,1] neg_hi:[0,0,1]
	v_pk_fma_f32 v[70:71], v[88:89], v[70:71], v[72:73] op_sel:[0,0,1] op_sel_hi:[1,0,0]
	s_delay_alu instid0(VALU_DEP_1) | instskip(NEXT) | instid1(VALU_DEP_4)
	v_mov_b32_e32 v83, v71
	v_pk_add_f32 v[226:227], v[226:227], v[90:91] neg_lo:[0,1] neg_hi:[0,1]
	s_delay_alu instid0(VALU_DEP_2)
	v_pk_add_f32 v[228:229], v[228:229], v[82:83] neg_lo:[0,1] neg_hi:[0,1]
.LBB113_280:
	s_or_b32 exec_lo, exec_lo, s1
	s_delay_alu instid0(SALU_CYCLE_1)
	s_mov_b32 s2, exec_lo
	s_wait_dscnt 0x0
	s_barrier_signal -1
	s_barrier_wait -1
	v_cmpx_eq_u32_e32 31, v180
	s_cbranch_execz .LBB113_287
; %bb.281:
	v_dual_mov_b32 v70, v146 :: v_dual_mov_b32 v71, v147
	v_dual_mov_b32 v72, v142 :: v_dual_mov_b32 v73, v143
	ds_store_b64 v181, v[124:125]
	ds_store_2addr_b64 v182, v[70:71], v[72:73] offset0:32 offset1:33
	v_dual_mov_b32 v70, v144 :: v_dual_mov_b32 v71, v145
	v_dual_mov_b32 v72, v140 :: v_dual_mov_b32 v73, v141
	ds_store_2addr_b64 v182, v[70:71], v[72:73] offset0:34 offset1:35
	v_dual_mov_b32 v70, v162 :: v_dual_mov_b32 v71, v163
	v_dual_mov_b32 v72, v158 :: v_dual_mov_b32 v73, v159
	;; [unrolled: 3-line block ×11, first 2 shown]
	ds_store_2addr_b64 v182, v[70:71], v[72:73] offset0:54 offset1:55
	ds_store_b64 v182, v[228:229] offset:448
	ds_load_b64 v[70:71], v181
	s_wait_dscnt 0x0
	v_cmp_neq_f32_e32 vcc_lo, 0, v70
	v_cmp_neq_f32_e64 s1, 0, v71
	s_or_b32 s1, vcc_lo, s1
	s_delay_alu instid0(SALU_CYCLE_1)
	s_and_b32 exec_lo, exec_lo, s1
	s_cbranch_execz .LBB113_287
; %bb.282:
	v_cmp_ngt_f32_e64 s1, |v70|, |v71|
                                        ; implicit-def: $vgpr72_vgpr73
	s_and_saveexec_b32 s4, s1
	s_delay_alu instid0(SALU_CYCLE_1)
	s_xor_b32 s1, exec_lo, s4
	s_cbranch_execz .LBB113_284
; %bb.283:
	v_div_scale_f32 v72, null, v71, v71, v70
	v_div_scale_f32 v83, vcc_lo, v70, v71, v70
	s_delay_alu instid0(VALU_DEP_2) | instskip(SKIP_1) | instid1(TRANS32_DEP_1)
	v_rcp_f32_e32 v73, v72
	v_nop
	v_fma_f32 v82, -v72, v73, 1.0
	s_delay_alu instid0(VALU_DEP_1) | instskip(NEXT) | instid1(VALU_DEP_1)
	v_fmac_f32_e32 v73, v82, v73
	v_mul_f32_e32 v82, v83, v73
	s_delay_alu instid0(VALU_DEP_1) | instskip(NEXT) | instid1(VALU_DEP_1)
	v_fma_f32 v86, -v72, v82, v83
	v_fmac_f32_e32 v82, v86, v73
	s_delay_alu instid0(VALU_DEP_1) | instskip(NEXT) | instid1(VALU_DEP_1)
	v_fma_f32 v72, -v72, v82, v83
	v_div_fmas_f32 v72, v72, v73, v82
	s_delay_alu instid0(VALU_DEP_1) | instskip(NEXT) | instid1(VALU_DEP_1)
	v_div_fixup_f32 v72, v72, v71, v70
	v_fmac_f32_e32 v71, v70, v72
	s_delay_alu instid0(VALU_DEP_1) | instskip(SKIP_1) | instid1(VALU_DEP_2)
	v_div_scale_f32 v70, null, v71, v71, 1.0
	v_div_scale_f32 v83, vcc_lo, 1.0, v71, 1.0
	v_rcp_f32_e32 v73, v70
	v_nop
	s_delay_alu instid0(TRANS32_DEP_1) | instskip(NEXT) | instid1(VALU_DEP_1)
	v_fma_f32 v82, -v70, v73, 1.0
	v_fmac_f32_e32 v73, v82, v73
	s_delay_alu instid0(VALU_DEP_1) | instskip(NEXT) | instid1(VALU_DEP_1)
	v_mul_f32_e32 v82, v83, v73
	v_fma_f32 v86, -v70, v82, v83
	s_delay_alu instid0(VALU_DEP_1) | instskip(NEXT) | instid1(VALU_DEP_1)
	v_fmac_f32_e32 v82, v86, v73
	v_fma_f32 v70, -v70, v82, v83
	s_delay_alu instid0(VALU_DEP_1) | instskip(NEXT) | instid1(VALU_DEP_1)
	v_div_fmas_f32 v70, v70, v73, v82
	v_div_fixup_f32 v70, v70, v71, 1.0
	s_delay_alu instid0(VALU_DEP_1)
	v_mul_f32_e32 v72, v72, v70
	v_xor_b32_e32 v73, 0x80000000, v70
                                        ; implicit-def: $vgpr70_vgpr71
.LBB113_284:
	s_and_not1_saveexec_b32 s1, s1
	s_cbranch_execz .LBB113_286
; %bb.285:
	v_div_scale_f32 v72, null, v70, v70, v71
	v_div_scale_f32 v83, vcc_lo, v71, v70, v71
	s_delay_alu instid0(VALU_DEP_2) | instskip(SKIP_1) | instid1(TRANS32_DEP_1)
	v_rcp_f32_e32 v73, v72
	v_nop
	v_fma_f32 v82, -v72, v73, 1.0
	s_delay_alu instid0(VALU_DEP_1) | instskip(NEXT) | instid1(VALU_DEP_1)
	v_fmac_f32_e32 v73, v82, v73
	v_mul_f32_e32 v82, v83, v73
	s_delay_alu instid0(VALU_DEP_1) | instskip(NEXT) | instid1(VALU_DEP_1)
	v_fma_f32 v86, -v72, v82, v83
	v_fmac_f32_e32 v82, v86, v73
	s_delay_alu instid0(VALU_DEP_1) | instskip(NEXT) | instid1(VALU_DEP_1)
	v_fma_f32 v72, -v72, v82, v83
	v_div_fmas_f32 v72, v72, v73, v82
	s_delay_alu instid0(VALU_DEP_1) | instskip(NEXT) | instid1(VALU_DEP_1)
	v_div_fixup_f32 v73, v72, v70, v71
	v_fmac_f32_e32 v70, v71, v73
	s_delay_alu instid0(VALU_DEP_1) | instskip(NEXT) | instid1(VALU_DEP_1)
	v_div_scale_f32 v71, null, v70, v70, 1.0
	v_rcp_f32_e32 v72, v71
	v_nop
	s_delay_alu instid0(TRANS32_DEP_1) | instskip(NEXT) | instid1(VALU_DEP_1)
	v_fma_f32 v82, -v71, v72, 1.0
	v_fmac_f32_e32 v72, v82, v72
	v_div_scale_f32 v82, vcc_lo, 1.0, v70, 1.0
	s_delay_alu instid0(VALU_DEP_1) | instskip(NEXT) | instid1(VALU_DEP_1)
	v_mul_f32_e32 v83, v82, v72
	v_fma_f32 v86, -v71, v83, v82
	s_delay_alu instid0(VALU_DEP_1) | instskip(NEXT) | instid1(VALU_DEP_1)
	v_fmac_f32_e32 v83, v86, v72
	v_fma_f32 v71, -v71, v83, v82
	s_delay_alu instid0(VALU_DEP_1) | instskip(NEXT) | instid1(VALU_DEP_1)
	v_div_fmas_f32 v71, v71, v72, v83
	v_div_fixup_f32 v72, v71, v70, 1.0
	s_delay_alu instid0(VALU_DEP_1)
	v_mul_f32_e64 v73, v73, -v72
.LBB113_286:
	s_or_b32 exec_lo, exec_lo, s1
	ds_store_b64 v181, v[72:73]
.LBB113_287:
	s_or_b32 exec_lo, exec_lo, s2
	s_wait_dscnt 0x0
	s_barrier_signal -1
	s_barrier_wait -1
	ds_load_b64 v[70:71], v181
	s_mov_b32 s1, exec_lo
	v_cmpx_lt_u32_e32 31, v180
	s_cbranch_execz .LBB113_289
; %bb.288:
	ds_load_2addr_b64 v[86:89], v182 offset0:32 offset1:33
	s_wait_dscnt 0x1
	v_pk_mul_f32 v[82:83], v[70:71], v[124:125] op_sel:[1,1] op_sel_hi:[0,1]
	s_delay_alu instid0(VALU_DEP_1) | instskip(SKIP_1) | instid1(VALU_DEP_1)
	v_pk_fma_f32 v[72:73], v[70:71], v[124:125], v[82:83] op_sel_hi:[1,0,1] neg_lo:[0,0,1] neg_hi:[0,0,1]
	v_pk_fma_f32 v[82:83], v[70:71], v[124:125], v[82:83] op_sel_hi:[1,0,1]
	v_dual_mov_b32 v124, v72 :: v_dual_mov_b32 v125, v83
	s_wait_dscnt 0x0
	s_delay_alu instid0(VALU_DEP_2) | instskip(NEXT) | instid1(VALU_DEP_1)
	v_pk_mul_f32 v[90:91], v[86:87], v[82:83] op_sel:[0,1]
	v_pk_fma_f32 v[100:101], v[86:87], v[72:73], v[90:91] op_sel:[0,0,1] op_sel_hi:[1,1,0] neg_lo:[0,0,1] neg_hi:[0,0,1]
	v_pk_fma_f32 v[86:87], v[86:87], v[72:73], v[90:91] op_sel:[0,0,1] op_sel_hi:[1,0,0]
	s_delay_alu instid0(VALU_DEP_1) | instskip(SKIP_1) | instid1(VALU_DEP_1)
	v_mov_b32_e32 v101, v87
	v_pk_mul_f32 v[86:87], v[88:89], v[82:83] op_sel:[0,1]
	v_pk_fma_f32 v[90:91], v[88:89], v[72:73], v[86:87] op_sel:[0,0,1] op_sel_hi:[1,1,0] neg_lo:[0,0,1] neg_hi:[0,0,1]
	v_pk_fma_f32 v[86:87], v[88:89], v[72:73], v[86:87] op_sel:[0,0,1] op_sel_hi:[1,0,0]
	s_delay_alu instid0(VALU_DEP_1)
	v_mov_b32_e32 v91, v87
	ds_load_2addr_b64 v[86:89], v182 offset0:34 offset1:35
	v_pk_add_f32 v[146:147], v[146:147], v[100:101] neg_lo:[0,1] neg_hi:[0,1]
	v_pk_add_f32 v[142:143], v[142:143], v[90:91] neg_lo:[0,1] neg_hi:[0,1]
	s_wait_dscnt 0x0
	v_pk_mul_f32 v[90:91], v[86:87], v[82:83] op_sel:[0,1]
	s_delay_alu instid0(VALU_DEP_1) | instskip(SKIP_2) | instid1(VALU_DEP_2)
	v_pk_fma_f32 v[100:101], v[86:87], v[72:73], v[90:91] op_sel:[0,0,1] op_sel_hi:[1,1,0] neg_lo:[0,0,1] neg_hi:[0,0,1]
	v_pk_fma_f32 v[86:87], v[86:87], v[72:73], v[90:91] op_sel:[0,0,1] op_sel_hi:[1,0,0]
	v_dual_mul_f32 v90, v89, v83 :: v_dual_mov_b32 v86, v89
	v_dual_mov_b32 v101, v87 :: v_dual_mov_b32 v87, v88
	s_delay_alu instid0(VALU_DEP_2) | instskip(SKIP_1) | instid1(VALU_DEP_3)
	v_pk_fma_f32 v[90:91], v[88:89], v[124:125], v[90:91] op_sel_hi:[1,1,0] neg_lo:[0,0,1] neg_hi:[0,0,1]
	v_mul_f32_e32 v88, v89, v72
	v_pk_add_f32 v[144:145], v[144:145], v[100:101] neg_lo:[0,1] neg_hi:[0,1]
	s_delay_alu instid0(VALU_DEP_2) | instskip(NEXT) | instid1(VALU_DEP_1)
	v_pk_fma_f32 v[86:87], v[86:87], v[124:125], v[88:89] op_sel_hi:[1,1,0]
	v_mov_b32_e32 v91, v87
	ds_load_2addr_b64 v[86:89], v182 offset0:36 offset1:37
	v_pk_add_f32 v[140:141], v[140:141], v[90:91] neg_lo:[0,1] neg_hi:[0,1]
	s_wait_dscnt 0x0
	v_pk_mul_f32 v[90:91], v[86:87], v[82:83] op_sel:[0,1]
	s_delay_alu instid0(VALU_DEP_1) | instskip(SKIP_1) | instid1(VALU_DEP_1)
	v_pk_fma_f32 v[100:101], v[86:87], v[72:73], v[90:91] op_sel:[0,0,1] op_sel_hi:[1,1,0] neg_lo:[0,0,1] neg_hi:[0,0,1]
	v_pk_fma_f32 v[86:87], v[86:87], v[72:73], v[90:91] op_sel:[0,0,1] op_sel_hi:[1,0,0]
	v_mov_b32_e32 v101, v87
	v_pk_mul_f32 v[86:87], v[88:89], v[82:83] op_sel:[0,1]
	s_delay_alu instid0(VALU_DEP_1) | instskip(SKIP_1) | instid1(VALU_DEP_1)
	v_pk_fma_f32 v[90:91], v[88:89], v[72:73], v[86:87] op_sel:[0,0,1] op_sel_hi:[1,1,0] neg_lo:[0,0,1] neg_hi:[0,0,1]
	v_pk_fma_f32 v[86:87], v[88:89], v[72:73], v[86:87] op_sel:[0,0,1] op_sel_hi:[1,0,0]
	v_mov_b32_e32 v91, v87
	ds_load_2addr_b64 v[86:89], v182 offset0:38 offset1:39
	v_pk_add_f32 v[162:163], v[162:163], v[100:101] neg_lo:[0,1] neg_hi:[0,1]
	v_pk_add_f32 v[158:159], v[158:159], v[90:91] neg_lo:[0,1] neg_hi:[0,1]
	s_wait_dscnt 0x0
	v_pk_mul_f32 v[90:91], v[86:87], v[82:83] op_sel:[0,1]
	s_delay_alu instid0(VALU_DEP_1) | instskip(SKIP_1) | instid1(VALU_DEP_1)
	v_pk_fma_f32 v[100:101], v[86:87], v[72:73], v[90:91] op_sel:[0,0,1] op_sel_hi:[1,1,0] neg_lo:[0,0,1] neg_hi:[0,0,1]
	v_pk_fma_f32 v[86:87], v[86:87], v[72:73], v[90:91] op_sel:[0,0,1] op_sel_hi:[1,0,0]
	v_mov_b32_e32 v101, v87
	v_pk_mul_f32 v[86:87], v[88:89], v[82:83] op_sel:[0,1]
	s_delay_alu instid0(VALU_DEP_1) | instskip(SKIP_1) | instid1(VALU_DEP_1)
	v_pk_fma_f32 v[90:91], v[88:89], v[72:73], v[86:87] op_sel:[0,0,1] op_sel_hi:[1,1,0] neg_lo:[0,0,1] neg_hi:[0,0,1]
	v_pk_fma_f32 v[86:87], v[88:89], v[72:73], v[86:87] op_sel:[0,0,1] op_sel_hi:[1,0,0]
	v_mov_b32_e32 v91, v87
	ds_load_2addr_b64 v[86:89], v182 offset0:40 offset1:41
	v_pk_add_f32 v[160:161], v[160:161], v[100:101] neg_lo:[0,1] neg_hi:[0,1]
	v_pk_add_f32 v[156:157], v[156:157], v[90:91] neg_lo:[0,1] neg_hi:[0,1]
	s_wait_dscnt 0x0
	v_dual_mul_f32 v90, v87, v83 :: v_dual_mul_f32 v100, v87, v72
	s_delay_alu instid0(VALU_DEP_1) | instskip(NEXT) | instid1(VALU_DEP_2)
	v_pk_fma_f32 v[90:91], v[86:87], v[124:125], v[90:91] op_sel_hi:[1,1,0] neg_lo:[0,0,1] neg_hi:[0,0,1]
	v_pk_fma_f32 v[86:87], v[86:87], v[124:125], v[100:101] op_sel:[1,0,0] op_sel_hi:[0,1,0]
	s_delay_alu instid0(VALU_DEP_1) | instskip(SKIP_1) | instid1(VALU_DEP_2)
	v_mov_b32_e32 v91, v87
	v_pk_mul_f32 v[86:87], v[88:89], v[82:83] op_sel:[0,1]
	v_pk_add_f32 v[178:179], v[178:179], v[90:91] neg_lo:[0,1] neg_hi:[0,1]
	s_delay_alu instid0(VALU_DEP_2) | instskip(SKIP_1) | instid1(VALU_DEP_1)
	v_pk_fma_f32 v[90:91], v[88:89], v[72:73], v[86:87] op_sel:[0,0,1] op_sel_hi:[1,1,0] neg_lo:[0,0,1] neg_hi:[0,0,1]
	v_pk_fma_f32 v[86:87], v[88:89], v[72:73], v[86:87] op_sel:[0,0,1] op_sel_hi:[1,0,0]
	v_mov_b32_e32 v91, v87
	ds_load_2addr_b64 v[86:89], v182 offset0:42 offset1:43
	v_pk_add_f32 v[174:175], v[174:175], v[90:91] neg_lo:[0,1] neg_hi:[0,1]
	s_wait_dscnt 0x0
	v_pk_mul_f32 v[90:91], v[86:87], v[82:83] op_sel:[0,1]
	s_delay_alu instid0(VALU_DEP_1) | instskip(SKIP_1) | instid1(VALU_DEP_1)
	v_pk_fma_f32 v[100:101], v[86:87], v[72:73], v[90:91] op_sel:[0,0,1] op_sel_hi:[1,1,0] neg_lo:[0,0,1] neg_hi:[0,0,1]
	v_pk_fma_f32 v[86:87], v[86:87], v[72:73], v[90:91] op_sel:[0,0,1] op_sel_hi:[1,0,0]
	v_mov_b32_e32 v101, v87
	v_pk_mul_f32 v[86:87], v[88:89], v[82:83] op_sel:[0,1]
	s_delay_alu instid0(VALU_DEP_2) | instskip(NEXT) | instid1(VALU_DEP_2)
	v_pk_add_f32 v[176:177], v[176:177], v[100:101] neg_lo:[0,1] neg_hi:[0,1]
	v_pk_fma_f32 v[90:91], v[88:89], v[72:73], v[86:87] op_sel:[0,0,1] op_sel_hi:[1,1,0] neg_lo:[0,0,1] neg_hi:[0,0,1]
	v_pk_fma_f32 v[86:87], v[88:89], v[72:73], v[86:87] op_sel:[0,0,1] op_sel_hi:[1,0,0]
	s_delay_alu instid0(VALU_DEP_1) | instskip(SKIP_4) | instid1(VALU_DEP_1)
	v_mov_b32_e32 v91, v87
	ds_load_2addr_b64 v[86:89], v182 offset0:44 offset1:45
	v_pk_add_f32 v[172:173], v[172:173], v[90:91] neg_lo:[0,1] neg_hi:[0,1]
	s_wait_dscnt 0x0
	v_pk_mul_f32 v[90:91], v[86:87], v[82:83] op_sel:[0,1]
	v_pk_fma_f32 v[100:101], v[86:87], v[72:73], v[90:91] op_sel:[0,0,1] op_sel_hi:[1,1,0] neg_lo:[0,0,1] neg_hi:[0,0,1]
	v_pk_fma_f32 v[86:87], v[86:87], v[72:73], v[90:91] op_sel:[0,0,1] op_sel_hi:[1,0,0]
	v_dual_mul_f32 v90, v89, v83 :: v_dual_mov_b32 v86, v89
	s_delay_alu instid0(VALU_DEP_2) | instskip(NEXT) | instid1(VALU_DEP_2)
	v_dual_mov_b32 v101, v87 :: v_dual_mov_b32 v87, v88
	v_pk_fma_f32 v[90:91], v[88:89], v[124:125], v[90:91] op_sel_hi:[1,1,0] neg_lo:[0,0,1] neg_hi:[0,0,1]
	v_mul_f32_e32 v88, v89, v72
	s_delay_alu instid0(VALU_DEP_3) | instskip(NEXT) | instid1(VALU_DEP_2)
	v_pk_add_f32 v[200:201], v[200:201], v[100:101] neg_lo:[0,1] neg_hi:[0,1]
	v_pk_fma_f32 v[86:87], v[86:87], v[124:125], v[88:89] op_sel_hi:[1,1,0]
	s_delay_alu instid0(VALU_DEP_1) | instskip(SKIP_4) | instid1(VALU_DEP_1)
	v_mov_b32_e32 v91, v87
	ds_load_2addr_b64 v[86:89], v182 offset0:46 offset1:47
	v_pk_add_f32 v[196:197], v[196:197], v[90:91] neg_lo:[0,1] neg_hi:[0,1]
	s_wait_dscnt 0x0
	v_pk_mul_f32 v[90:91], v[86:87], v[82:83] op_sel:[0,1]
	v_pk_fma_f32 v[100:101], v[86:87], v[72:73], v[90:91] op_sel:[0,0,1] op_sel_hi:[1,1,0] neg_lo:[0,0,1] neg_hi:[0,0,1]
	v_pk_fma_f32 v[86:87], v[86:87], v[72:73], v[90:91] op_sel:[0,0,1] op_sel_hi:[1,0,0]
	s_delay_alu instid0(VALU_DEP_1) | instskip(SKIP_1) | instid1(VALU_DEP_1)
	v_mov_b32_e32 v101, v87
	v_pk_mul_f32 v[86:87], v[88:89], v[82:83] op_sel:[0,1]
	v_pk_fma_f32 v[90:91], v[88:89], v[72:73], v[86:87] op_sel:[0,0,1] op_sel_hi:[1,1,0] neg_lo:[0,0,1] neg_hi:[0,0,1]
	v_pk_fma_f32 v[86:87], v[88:89], v[72:73], v[86:87] op_sel:[0,0,1] op_sel_hi:[1,0,0]
	s_delay_alu instid0(VALU_DEP_1)
	v_mov_b32_e32 v91, v87
	ds_load_2addr_b64 v[86:89], v182 offset0:48 offset1:49
	v_pk_add_f32 v[198:199], v[198:199], v[100:101] neg_lo:[0,1] neg_hi:[0,1]
	v_pk_add_f32 v[194:195], v[194:195], v[90:91] neg_lo:[0,1] neg_hi:[0,1]
	s_wait_dscnt 0x0
	v_pk_mul_f32 v[90:91], v[86:87], v[82:83] op_sel:[0,1]
	s_delay_alu instid0(VALU_DEP_1) | instskip(SKIP_1) | instid1(VALU_DEP_1)
	v_pk_fma_f32 v[100:101], v[86:87], v[72:73], v[90:91] op_sel:[0,0,1] op_sel_hi:[1,1,0] neg_lo:[0,0,1] neg_hi:[0,0,1]
	v_pk_fma_f32 v[86:87], v[86:87], v[72:73], v[90:91] op_sel:[0,0,1] op_sel_hi:[1,0,0]
	v_mov_b32_e32 v101, v87
	v_pk_mul_f32 v[86:87], v[88:89], v[82:83] op_sel:[0,1]
	s_delay_alu instid0(VALU_DEP_1) | instskip(SKIP_1) | instid1(VALU_DEP_1)
	v_pk_fma_f32 v[90:91], v[88:89], v[72:73], v[86:87] op_sel:[0,0,1] op_sel_hi:[1,1,0] neg_lo:[0,0,1] neg_hi:[0,0,1]
	v_pk_fma_f32 v[86:87], v[88:89], v[72:73], v[86:87] op_sel:[0,0,1] op_sel_hi:[1,0,0]
	v_mov_b32_e32 v91, v87
	ds_load_2addr_b64 v[86:89], v182 offset0:50 offset1:51
	v_pk_add_f32 v[224:225], v[224:225], v[100:101] neg_lo:[0,1] neg_hi:[0,1]
	v_pk_add_f32 v[216:217], v[216:217], v[90:91] neg_lo:[0,1] neg_hi:[0,1]
	s_wait_dscnt 0x0
	v_dual_mul_f32 v90, v87, v83 :: v_dual_mul_f32 v100, v87, v72
	s_delay_alu instid0(VALU_DEP_1) | instskip(NEXT) | instid1(VALU_DEP_2)
	v_pk_fma_f32 v[90:91], v[86:87], v[124:125], v[90:91] op_sel_hi:[1,1,0] neg_lo:[0,0,1] neg_hi:[0,0,1]
	v_pk_fma_f32 v[86:87], v[86:87], v[124:125], v[100:101] op_sel:[1,0,0] op_sel_hi:[0,1,0]
	s_delay_alu instid0(VALU_DEP_1) | instskip(SKIP_1) | instid1(VALU_DEP_2)
	v_mov_b32_e32 v91, v87
	v_pk_mul_f32 v[86:87], v[88:89], v[82:83] op_sel:[0,1]
	v_pk_add_f32 v[222:223], v[222:223], v[90:91] neg_lo:[0,1] neg_hi:[0,1]
	s_delay_alu instid0(VALU_DEP_2) | instskip(SKIP_1) | instid1(VALU_DEP_1)
	v_pk_fma_f32 v[90:91], v[88:89], v[72:73], v[86:87] op_sel:[0,0,1] op_sel_hi:[1,1,0] neg_lo:[0,0,1] neg_hi:[0,0,1]
	v_pk_fma_f32 v[86:87], v[88:89], v[72:73], v[86:87] op_sel:[0,0,1] op_sel_hi:[1,0,0]
	v_mov_b32_e32 v91, v87
	ds_load_2addr_b64 v[86:89], v182 offset0:52 offset1:53
	v_pk_add_f32 v[214:215], v[214:215], v[90:91] neg_lo:[0,1] neg_hi:[0,1]
	s_wait_dscnt 0x0
	v_pk_mul_f32 v[90:91], v[86:87], v[82:83] op_sel:[0,1]
	s_delay_alu instid0(VALU_DEP_1) | instskip(SKIP_1) | instid1(VALU_DEP_1)
	v_pk_fma_f32 v[100:101], v[86:87], v[72:73], v[90:91] op_sel:[0,0,1] op_sel_hi:[1,1,0] neg_lo:[0,0,1] neg_hi:[0,0,1]
	v_pk_fma_f32 v[86:87], v[86:87], v[72:73], v[90:91] op_sel:[0,0,1] op_sel_hi:[1,0,0]
	v_mov_b32_e32 v101, v87
	v_pk_mul_f32 v[86:87], v[88:89], v[82:83] op_sel:[0,1]
	s_delay_alu instid0(VALU_DEP_2) | instskip(NEXT) | instid1(VALU_DEP_2)
	v_pk_add_f32 v[220:221], v[220:221], v[100:101] neg_lo:[0,1] neg_hi:[0,1]
	v_pk_fma_f32 v[90:91], v[88:89], v[72:73], v[86:87] op_sel:[0,0,1] op_sel_hi:[1,1,0] neg_lo:[0,0,1] neg_hi:[0,0,1]
	v_pk_fma_f32 v[86:87], v[88:89], v[72:73], v[86:87] op_sel:[0,0,1] op_sel_hi:[1,0,0]
	s_delay_alu instid0(VALU_DEP_1) | instskip(SKIP_4) | instid1(VALU_DEP_1)
	v_mov_b32_e32 v91, v87
	ds_load_2addr_b64 v[86:89], v182 offset0:54 offset1:55
	v_pk_add_f32 v[212:213], v[212:213], v[90:91] neg_lo:[0,1] neg_hi:[0,1]
	s_wait_dscnt 0x0
	v_pk_mul_f32 v[90:91], v[86:87], v[82:83] op_sel:[0,1]
	v_pk_fma_f32 v[100:101], v[86:87], v[72:73], v[90:91] op_sel:[0,0,1] op_sel_hi:[1,1,0] neg_lo:[0,0,1] neg_hi:[0,0,1]
	v_pk_fma_f32 v[86:87], v[86:87], v[72:73], v[90:91] op_sel:[0,0,1] op_sel_hi:[1,0,0]
	v_dual_mul_f32 v90, v89, v83 :: v_dual_mov_b32 v86, v89
	s_delay_alu instid0(VALU_DEP_2) | instskip(NEXT) | instid1(VALU_DEP_2)
	v_dual_mov_b32 v101, v87 :: v_dual_mov_b32 v87, v88
	v_pk_fma_f32 v[90:91], v[88:89], v[124:125], v[90:91] op_sel_hi:[1,1,0] neg_lo:[0,0,1] neg_hi:[0,0,1]
	v_mul_f32_e32 v88, v89, v72
	s_delay_alu instid0(VALU_DEP_3) | instskip(NEXT) | instid1(VALU_DEP_2)
	v_pk_add_f32 v[218:219], v[218:219], v[100:101] neg_lo:[0,1] neg_hi:[0,1]
	v_pk_fma_f32 v[86:87], v[86:87], v[124:125], v[88:89] op_sel_hi:[1,1,0]
	s_delay_alu instid0(VALU_DEP_1) | instskip(SKIP_4) | instid1(VALU_DEP_1)
	v_mov_b32_e32 v91, v87
	ds_load_b64 v[86:87], v182 offset:448
	v_pk_add_f32 v[226:227], v[226:227], v[90:91] neg_lo:[0,1] neg_hi:[0,1]
	s_wait_dscnt 0x0
	v_pk_mul_f32 v[82:83], v[86:87], v[82:83] op_sel:[0,1]
	v_pk_fma_f32 v[88:89], v[86:87], v[72:73], v[82:83] op_sel:[0,0,1] op_sel_hi:[1,1,0] neg_lo:[0,0,1] neg_hi:[0,0,1]
	v_pk_fma_f32 v[72:73], v[86:87], v[72:73], v[82:83] op_sel:[0,0,1] op_sel_hi:[1,0,0]
	s_delay_alu instid0(VALU_DEP_1) | instskip(NEXT) | instid1(VALU_DEP_1)
	v_mov_b32_e32 v89, v73
	v_pk_add_f32 v[228:229], v[228:229], v[88:89] neg_lo:[0,1] neg_hi:[0,1]
.LBB113_289:
	s_or_b32 exec_lo, exec_lo, s1
	s_delay_alu instid0(SALU_CYCLE_1)
	s_mov_b32 s2, exec_lo
	s_wait_dscnt 0x0
	s_barrier_signal -1
	s_barrier_wait -1
	v_cmpx_eq_u32_e32 32, v180
	s_cbranch_execz .LBB113_296
; %bb.290:
	ds_store_b64 v181, v[146:147]
	ds_store_2addr_b64 v182, v[142:143], v[144:145] offset0:33 offset1:34
	ds_store_2addr_b64 v182, v[140:141], v[162:163] offset0:35 offset1:36
	;; [unrolled: 1-line block ×12, first 2 shown]
	ds_load_b64 v[72:73], v181
	s_wait_dscnt 0x0
	v_cmp_neq_f32_e32 vcc_lo, 0, v72
	v_cmp_neq_f32_e64 s1, 0, v73
	s_or_b32 s1, vcc_lo, s1
	s_delay_alu instid0(SALU_CYCLE_1)
	s_and_b32 exec_lo, exec_lo, s1
	s_cbranch_execz .LBB113_296
; %bb.291:
	v_cmp_ngt_f32_e64 s1, |v72|, |v73|
                                        ; implicit-def: $vgpr82_vgpr83
	s_and_saveexec_b32 s4, s1
	s_delay_alu instid0(SALU_CYCLE_1)
	s_xor_b32 s1, exec_lo, s4
	s_cbranch_execz .LBB113_293
; %bb.292:
	v_div_scale_f32 v82, null, v73, v73, v72
	v_div_scale_f32 v87, vcc_lo, v72, v73, v72
	s_delay_alu instid0(VALU_DEP_2) | instskip(SKIP_1) | instid1(TRANS32_DEP_1)
	v_rcp_f32_e32 v83, v82
	v_nop
	v_fma_f32 v86, -v82, v83, 1.0
	s_delay_alu instid0(VALU_DEP_1) | instskip(NEXT) | instid1(VALU_DEP_1)
	v_fmac_f32_e32 v83, v86, v83
	v_mul_f32_e32 v86, v87, v83
	s_delay_alu instid0(VALU_DEP_1) | instskip(NEXT) | instid1(VALU_DEP_1)
	v_fma_f32 v88, -v82, v86, v87
	v_fmac_f32_e32 v86, v88, v83
	s_delay_alu instid0(VALU_DEP_1) | instskip(NEXT) | instid1(VALU_DEP_1)
	v_fma_f32 v82, -v82, v86, v87
	v_div_fmas_f32 v82, v82, v83, v86
	s_delay_alu instid0(VALU_DEP_1) | instskip(NEXT) | instid1(VALU_DEP_1)
	v_div_fixup_f32 v82, v82, v73, v72
	v_fmac_f32_e32 v73, v72, v82
	s_delay_alu instid0(VALU_DEP_1) | instskip(SKIP_1) | instid1(VALU_DEP_2)
	v_div_scale_f32 v72, null, v73, v73, 1.0
	v_div_scale_f32 v87, vcc_lo, 1.0, v73, 1.0
	v_rcp_f32_e32 v83, v72
	v_nop
	s_delay_alu instid0(TRANS32_DEP_1) | instskip(NEXT) | instid1(VALU_DEP_1)
	v_fma_f32 v86, -v72, v83, 1.0
	v_fmac_f32_e32 v83, v86, v83
	s_delay_alu instid0(VALU_DEP_1) | instskip(NEXT) | instid1(VALU_DEP_1)
	v_mul_f32_e32 v86, v87, v83
	v_fma_f32 v88, -v72, v86, v87
	s_delay_alu instid0(VALU_DEP_1) | instskip(NEXT) | instid1(VALU_DEP_1)
	v_fmac_f32_e32 v86, v88, v83
	v_fma_f32 v72, -v72, v86, v87
	s_delay_alu instid0(VALU_DEP_1) | instskip(NEXT) | instid1(VALU_DEP_1)
	v_div_fmas_f32 v72, v72, v83, v86
	v_div_fixup_f32 v72, v72, v73, 1.0
	s_delay_alu instid0(VALU_DEP_1)
	v_mul_f32_e32 v82, v82, v72
	v_xor_b32_e32 v83, 0x80000000, v72
                                        ; implicit-def: $vgpr72_vgpr73
.LBB113_293:
	s_and_not1_saveexec_b32 s1, s1
	s_cbranch_execz .LBB113_295
; %bb.294:
	v_div_scale_f32 v82, null, v72, v72, v73
	v_div_scale_f32 v87, vcc_lo, v73, v72, v73
	s_delay_alu instid0(VALU_DEP_2) | instskip(SKIP_1) | instid1(TRANS32_DEP_1)
	v_rcp_f32_e32 v83, v82
	v_nop
	v_fma_f32 v86, -v82, v83, 1.0
	s_delay_alu instid0(VALU_DEP_1) | instskip(NEXT) | instid1(VALU_DEP_1)
	v_fmac_f32_e32 v83, v86, v83
	v_mul_f32_e32 v86, v87, v83
	s_delay_alu instid0(VALU_DEP_1) | instskip(NEXT) | instid1(VALU_DEP_1)
	v_fma_f32 v88, -v82, v86, v87
	v_fmac_f32_e32 v86, v88, v83
	s_delay_alu instid0(VALU_DEP_1) | instskip(NEXT) | instid1(VALU_DEP_1)
	v_fma_f32 v82, -v82, v86, v87
	v_div_fmas_f32 v82, v82, v83, v86
	s_delay_alu instid0(VALU_DEP_1) | instskip(NEXT) | instid1(VALU_DEP_1)
	v_div_fixup_f32 v83, v82, v72, v73
	v_fmac_f32_e32 v72, v73, v83
	s_delay_alu instid0(VALU_DEP_1) | instskip(NEXT) | instid1(VALU_DEP_1)
	v_div_scale_f32 v73, null, v72, v72, 1.0
	v_rcp_f32_e32 v82, v73
	v_nop
	s_delay_alu instid0(TRANS32_DEP_1) | instskip(NEXT) | instid1(VALU_DEP_1)
	v_fma_f32 v86, -v73, v82, 1.0
	v_fmac_f32_e32 v82, v86, v82
	v_div_scale_f32 v86, vcc_lo, 1.0, v72, 1.0
	s_delay_alu instid0(VALU_DEP_1) | instskip(NEXT) | instid1(VALU_DEP_1)
	v_mul_f32_e32 v87, v86, v82
	v_fma_f32 v88, -v73, v87, v86
	s_delay_alu instid0(VALU_DEP_1) | instskip(NEXT) | instid1(VALU_DEP_1)
	v_fmac_f32_e32 v87, v88, v82
	v_fma_f32 v73, -v73, v87, v86
	s_delay_alu instid0(VALU_DEP_1) | instskip(NEXT) | instid1(VALU_DEP_1)
	v_div_fmas_f32 v73, v73, v82, v87
	v_div_fixup_f32 v82, v73, v72, 1.0
	s_delay_alu instid0(VALU_DEP_1)
	v_mul_f32_e64 v83, v83, -v82
.LBB113_295:
	s_or_b32 exec_lo, exec_lo, s1
	ds_store_b64 v181, v[82:83]
.LBB113_296:
	s_or_b32 exec_lo, exec_lo, s2
	s_wait_dscnt 0x0
	s_barrier_signal -1
	s_barrier_wait -1
	ds_load_b64 v[72:73], v181
	s_mov_b32 s1, exec_lo
	v_cmpx_lt_u32_e32 32, v180
	s_cbranch_execz .LBB113_298
; %bb.297:
	ds_load_2addr_b64 v[88:91], v182 offset0:33 offset1:34
	s_wait_dscnt 0x1
	v_pk_mul_f32 v[86:87], v[72:73], v[146:147] op_sel:[1,1] op_sel_hi:[0,1]
	s_delay_alu instid0(VALU_DEP_1) | instskip(SKIP_1) | instid1(VALU_DEP_1)
	v_pk_fma_f32 v[82:83], v[72:73], v[146:147], v[86:87] op_sel_hi:[1,0,1] neg_lo:[0,0,1] neg_hi:[0,0,1]
	v_pk_fma_f32 v[86:87], v[72:73], v[146:147], v[86:87] op_sel_hi:[1,0,1]
	v_dual_mov_b32 v146, v82 :: v_dual_mov_b32 v147, v87
	s_wait_dscnt 0x0
	s_delay_alu instid0(VALU_DEP_2) | instskip(NEXT) | instid1(VALU_DEP_1)
	v_pk_mul_f32 v[100:101], v[88:89], v[86:87] op_sel:[0,1]
	v_pk_fma_f32 v[102:103], v[88:89], v[82:83], v[100:101] op_sel:[0,0,1] op_sel_hi:[1,1,0] neg_lo:[0,0,1] neg_hi:[0,0,1]
	v_pk_fma_f32 v[88:89], v[88:89], v[82:83], v[100:101] op_sel:[0,0,1] op_sel_hi:[1,0,0]
	s_delay_alu instid0(VALU_DEP_1) | instskip(SKIP_1) | instid1(VALU_DEP_1)
	v_mov_b32_e32 v103, v89
	v_pk_mul_f32 v[88:89], v[90:91], v[86:87] op_sel:[0,1]
	v_pk_fma_f32 v[100:101], v[90:91], v[82:83], v[88:89] op_sel:[0,0,1] op_sel_hi:[1,1,0] neg_lo:[0,0,1] neg_hi:[0,0,1]
	v_pk_fma_f32 v[88:89], v[90:91], v[82:83], v[88:89] op_sel:[0,0,1] op_sel_hi:[1,0,0]
	s_delay_alu instid0(VALU_DEP_1)
	v_mov_b32_e32 v101, v89
	ds_load_2addr_b64 v[88:91], v182 offset0:35 offset1:36
	v_pk_add_f32 v[142:143], v[142:143], v[102:103] neg_lo:[0,1] neg_hi:[0,1]
	v_pk_add_f32 v[144:145], v[144:145], v[100:101] neg_lo:[0,1] neg_hi:[0,1]
	s_wait_dscnt 0x0
	v_pk_mul_f32 v[100:101], v[88:89], v[86:87] op_sel:[0,1]
	s_delay_alu instid0(VALU_DEP_1) | instskip(SKIP_2) | instid1(VALU_DEP_2)
	v_pk_fma_f32 v[102:103], v[88:89], v[82:83], v[100:101] op_sel:[0,0,1] op_sel_hi:[1,1,0] neg_lo:[0,0,1] neg_hi:[0,0,1]
	v_pk_fma_f32 v[88:89], v[88:89], v[82:83], v[100:101] op_sel:[0,0,1] op_sel_hi:[1,0,0]
	v_dual_mul_f32 v100, v91, v87 :: v_dual_mov_b32 v88, v91
	v_dual_mov_b32 v103, v89 :: v_dual_mov_b32 v89, v90
	s_delay_alu instid0(VALU_DEP_2) | instskip(SKIP_1) | instid1(VALU_DEP_3)
	v_pk_fma_f32 v[100:101], v[90:91], v[146:147], v[100:101] op_sel_hi:[1,1,0] neg_lo:[0,0,1] neg_hi:[0,0,1]
	v_mul_f32_e32 v90, v91, v82
	v_pk_add_f32 v[140:141], v[140:141], v[102:103] neg_lo:[0,1] neg_hi:[0,1]
	s_delay_alu instid0(VALU_DEP_2) | instskip(NEXT) | instid1(VALU_DEP_1)
	v_pk_fma_f32 v[88:89], v[88:89], v[146:147], v[90:91] op_sel_hi:[1,1,0]
	v_mov_b32_e32 v101, v89
	ds_load_2addr_b64 v[88:91], v182 offset0:37 offset1:38
	v_pk_add_f32 v[162:163], v[162:163], v[100:101] neg_lo:[0,1] neg_hi:[0,1]
	s_wait_dscnt 0x0
	v_pk_mul_f32 v[100:101], v[88:89], v[86:87] op_sel:[0,1]
	s_delay_alu instid0(VALU_DEP_1) | instskip(SKIP_1) | instid1(VALU_DEP_1)
	v_pk_fma_f32 v[102:103], v[88:89], v[82:83], v[100:101] op_sel:[0,0,1] op_sel_hi:[1,1,0] neg_lo:[0,0,1] neg_hi:[0,0,1]
	v_pk_fma_f32 v[88:89], v[88:89], v[82:83], v[100:101] op_sel:[0,0,1] op_sel_hi:[1,0,0]
	v_mov_b32_e32 v103, v89
	v_pk_mul_f32 v[88:89], v[90:91], v[86:87] op_sel:[0,1]
	s_delay_alu instid0(VALU_DEP_1) | instskip(SKIP_1) | instid1(VALU_DEP_1)
	v_pk_fma_f32 v[100:101], v[90:91], v[82:83], v[88:89] op_sel:[0,0,1] op_sel_hi:[1,1,0] neg_lo:[0,0,1] neg_hi:[0,0,1]
	v_pk_fma_f32 v[88:89], v[90:91], v[82:83], v[88:89] op_sel:[0,0,1] op_sel_hi:[1,0,0]
	v_mov_b32_e32 v101, v89
	ds_load_2addr_b64 v[88:91], v182 offset0:39 offset1:40
	v_pk_add_f32 v[158:159], v[158:159], v[102:103] neg_lo:[0,1] neg_hi:[0,1]
	v_pk_add_f32 v[160:161], v[160:161], v[100:101] neg_lo:[0,1] neg_hi:[0,1]
	s_wait_dscnt 0x0
	v_pk_mul_f32 v[100:101], v[88:89], v[86:87] op_sel:[0,1]
	s_delay_alu instid0(VALU_DEP_1) | instskip(SKIP_1) | instid1(VALU_DEP_1)
	v_pk_fma_f32 v[102:103], v[88:89], v[82:83], v[100:101] op_sel:[0,0,1] op_sel_hi:[1,1,0] neg_lo:[0,0,1] neg_hi:[0,0,1]
	v_pk_fma_f32 v[88:89], v[88:89], v[82:83], v[100:101] op_sel:[0,0,1] op_sel_hi:[1,0,0]
	v_mov_b32_e32 v103, v89
	v_pk_mul_f32 v[88:89], v[90:91], v[86:87] op_sel:[0,1]
	s_delay_alu instid0(VALU_DEP_1) | instskip(SKIP_1) | instid1(VALU_DEP_1)
	v_pk_fma_f32 v[100:101], v[90:91], v[82:83], v[88:89] op_sel:[0,0,1] op_sel_hi:[1,1,0] neg_lo:[0,0,1] neg_hi:[0,0,1]
	v_pk_fma_f32 v[88:89], v[90:91], v[82:83], v[88:89] op_sel:[0,0,1] op_sel_hi:[1,0,0]
	v_mov_b32_e32 v101, v89
	ds_load_2addr_b64 v[88:91], v182 offset0:41 offset1:42
	v_pk_add_f32 v[156:157], v[156:157], v[102:103] neg_lo:[0,1] neg_hi:[0,1]
	v_pk_add_f32 v[178:179], v[178:179], v[100:101] neg_lo:[0,1] neg_hi:[0,1]
	s_wait_dscnt 0x0
	v_dual_mul_f32 v100, v89, v87 :: v_dual_mul_f32 v102, v89, v82
	s_delay_alu instid0(VALU_DEP_1) | instskip(NEXT) | instid1(VALU_DEP_2)
	v_pk_fma_f32 v[100:101], v[88:89], v[146:147], v[100:101] op_sel_hi:[1,1,0] neg_lo:[0,0,1] neg_hi:[0,0,1]
	v_pk_fma_f32 v[88:89], v[88:89], v[146:147], v[102:103] op_sel:[1,0,0] op_sel_hi:[0,1,0]
	s_delay_alu instid0(VALU_DEP_1) | instskip(SKIP_1) | instid1(VALU_DEP_2)
	v_mov_b32_e32 v101, v89
	v_pk_mul_f32 v[88:89], v[90:91], v[86:87] op_sel:[0,1]
	v_pk_add_f32 v[174:175], v[174:175], v[100:101] neg_lo:[0,1] neg_hi:[0,1]
	s_delay_alu instid0(VALU_DEP_2) | instskip(SKIP_1) | instid1(VALU_DEP_1)
	v_pk_fma_f32 v[100:101], v[90:91], v[82:83], v[88:89] op_sel:[0,0,1] op_sel_hi:[1,1,0] neg_lo:[0,0,1] neg_hi:[0,0,1]
	v_pk_fma_f32 v[88:89], v[90:91], v[82:83], v[88:89] op_sel:[0,0,1] op_sel_hi:[1,0,0]
	v_mov_b32_e32 v101, v89
	ds_load_2addr_b64 v[88:91], v182 offset0:43 offset1:44
	v_pk_add_f32 v[176:177], v[176:177], v[100:101] neg_lo:[0,1] neg_hi:[0,1]
	s_wait_dscnt 0x0
	v_pk_mul_f32 v[100:101], v[88:89], v[86:87] op_sel:[0,1]
	s_delay_alu instid0(VALU_DEP_1) | instskip(SKIP_1) | instid1(VALU_DEP_1)
	v_pk_fma_f32 v[102:103], v[88:89], v[82:83], v[100:101] op_sel:[0,0,1] op_sel_hi:[1,1,0] neg_lo:[0,0,1] neg_hi:[0,0,1]
	v_pk_fma_f32 v[88:89], v[88:89], v[82:83], v[100:101] op_sel:[0,0,1] op_sel_hi:[1,0,0]
	v_mov_b32_e32 v103, v89
	v_pk_mul_f32 v[88:89], v[90:91], v[86:87] op_sel:[0,1]
	s_delay_alu instid0(VALU_DEP_2) | instskip(NEXT) | instid1(VALU_DEP_2)
	v_pk_add_f32 v[172:173], v[172:173], v[102:103] neg_lo:[0,1] neg_hi:[0,1]
	v_pk_fma_f32 v[100:101], v[90:91], v[82:83], v[88:89] op_sel:[0,0,1] op_sel_hi:[1,1,0] neg_lo:[0,0,1] neg_hi:[0,0,1]
	v_pk_fma_f32 v[88:89], v[90:91], v[82:83], v[88:89] op_sel:[0,0,1] op_sel_hi:[1,0,0]
	s_delay_alu instid0(VALU_DEP_1) | instskip(SKIP_4) | instid1(VALU_DEP_1)
	v_mov_b32_e32 v101, v89
	ds_load_2addr_b64 v[88:91], v182 offset0:45 offset1:46
	v_pk_add_f32 v[200:201], v[200:201], v[100:101] neg_lo:[0,1] neg_hi:[0,1]
	s_wait_dscnt 0x0
	v_pk_mul_f32 v[100:101], v[88:89], v[86:87] op_sel:[0,1]
	v_pk_fma_f32 v[102:103], v[88:89], v[82:83], v[100:101] op_sel:[0,0,1] op_sel_hi:[1,1,0] neg_lo:[0,0,1] neg_hi:[0,0,1]
	v_pk_fma_f32 v[88:89], v[88:89], v[82:83], v[100:101] op_sel:[0,0,1] op_sel_hi:[1,0,0]
	v_dual_mul_f32 v100, v91, v87 :: v_dual_mov_b32 v88, v91
	s_delay_alu instid0(VALU_DEP_2) | instskip(NEXT) | instid1(VALU_DEP_2)
	v_dual_mov_b32 v103, v89 :: v_dual_mov_b32 v89, v90
	v_pk_fma_f32 v[100:101], v[90:91], v[146:147], v[100:101] op_sel_hi:[1,1,0] neg_lo:[0,0,1] neg_hi:[0,0,1]
	v_mul_f32_e32 v90, v91, v82
	s_delay_alu instid0(VALU_DEP_3) | instskip(NEXT) | instid1(VALU_DEP_2)
	v_pk_add_f32 v[196:197], v[196:197], v[102:103] neg_lo:[0,1] neg_hi:[0,1]
	v_pk_fma_f32 v[88:89], v[88:89], v[146:147], v[90:91] op_sel_hi:[1,1,0]
	s_delay_alu instid0(VALU_DEP_1) | instskip(SKIP_4) | instid1(VALU_DEP_1)
	v_mov_b32_e32 v101, v89
	ds_load_2addr_b64 v[88:91], v182 offset0:47 offset1:48
	v_pk_add_f32 v[198:199], v[198:199], v[100:101] neg_lo:[0,1] neg_hi:[0,1]
	s_wait_dscnt 0x0
	v_pk_mul_f32 v[100:101], v[88:89], v[86:87] op_sel:[0,1]
	v_pk_fma_f32 v[102:103], v[88:89], v[82:83], v[100:101] op_sel:[0,0,1] op_sel_hi:[1,1,0] neg_lo:[0,0,1] neg_hi:[0,0,1]
	v_pk_fma_f32 v[88:89], v[88:89], v[82:83], v[100:101] op_sel:[0,0,1] op_sel_hi:[1,0,0]
	s_delay_alu instid0(VALU_DEP_1) | instskip(SKIP_1) | instid1(VALU_DEP_1)
	v_mov_b32_e32 v103, v89
	v_pk_mul_f32 v[88:89], v[90:91], v[86:87] op_sel:[0,1]
	v_pk_fma_f32 v[100:101], v[90:91], v[82:83], v[88:89] op_sel:[0,0,1] op_sel_hi:[1,1,0] neg_lo:[0,0,1] neg_hi:[0,0,1]
	v_pk_fma_f32 v[88:89], v[90:91], v[82:83], v[88:89] op_sel:[0,0,1] op_sel_hi:[1,0,0]
	s_delay_alu instid0(VALU_DEP_1)
	v_mov_b32_e32 v101, v89
	ds_load_2addr_b64 v[88:91], v182 offset0:49 offset1:50
	v_pk_add_f32 v[194:195], v[194:195], v[102:103] neg_lo:[0,1] neg_hi:[0,1]
	v_pk_add_f32 v[224:225], v[224:225], v[100:101] neg_lo:[0,1] neg_hi:[0,1]
	s_wait_dscnt 0x0
	v_pk_mul_f32 v[100:101], v[88:89], v[86:87] op_sel:[0,1]
	s_delay_alu instid0(VALU_DEP_1) | instskip(SKIP_1) | instid1(VALU_DEP_1)
	v_pk_fma_f32 v[102:103], v[88:89], v[82:83], v[100:101] op_sel:[0,0,1] op_sel_hi:[1,1,0] neg_lo:[0,0,1] neg_hi:[0,0,1]
	v_pk_fma_f32 v[88:89], v[88:89], v[82:83], v[100:101] op_sel:[0,0,1] op_sel_hi:[1,0,0]
	v_mov_b32_e32 v103, v89
	v_pk_mul_f32 v[88:89], v[90:91], v[86:87] op_sel:[0,1]
	s_delay_alu instid0(VALU_DEP_1) | instskip(SKIP_1) | instid1(VALU_DEP_1)
	v_pk_fma_f32 v[100:101], v[90:91], v[82:83], v[88:89] op_sel:[0,0,1] op_sel_hi:[1,1,0] neg_lo:[0,0,1] neg_hi:[0,0,1]
	v_pk_fma_f32 v[88:89], v[90:91], v[82:83], v[88:89] op_sel:[0,0,1] op_sel_hi:[1,0,0]
	v_mov_b32_e32 v101, v89
	ds_load_2addr_b64 v[88:91], v182 offset0:51 offset1:52
	v_pk_add_f32 v[216:217], v[216:217], v[102:103] neg_lo:[0,1] neg_hi:[0,1]
	v_pk_add_f32 v[222:223], v[222:223], v[100:101] neg_lo:[0,1] neg_hi:[0,1]
	s_wait_dscnt 0x0
	v_dual_mul_f32 v100, v89, v87 :: v_dual_mul_f32 v102, v89, v82
	s_delay_alu instid0(VALU_DEP_1) | instskip(NEXT) | instid1(VALU_DEP_2)
	v_pk_fma_f32 v[100:101], v[88:89], v[146:147], v[100:101] op_sel_hi:[1,1,0] neg_lo:[0,0,1] neg_hi:[0,0,1]
	v_pk_fma_f32 v[88:89], v[88:89], v[146:147], v[102:103] op_sel:[1,0,0] op_sel_hi:[0,1,0]
	s_delay_alu instid0(VALU_DEP_1) | instskip(SKIP_1) | instid1(VALU_DEP_2)
	v_mov_b32_e32 v101, v89
	v_pk_mul_f32 v[88:89], v[90:91], v[86:87] op_sel:[0,1]
	v_pk_add_f32 v[214:215], v[214:215], v[100:101] neg_lo:[0,1] neg_hi:[0,1]
	s_delay_alu instid0(VALU_DEP_2) | instskip(SKIP_1) | instid1(VALU_DEP_1)
	v_pk_fma_f32 v[100:101], v[90:91], v[82:83], v[88:89] op_sel:[0,0,1] op_sel_hi:[1,1,0] neg_lo:[0,0,1] neg_hi:[0,0,1]
	v_pk_fma_f32 v[88:89], v[90:91], v[82:83], v[88:89] op_sel:[0,0,1] op_sel_hi:[1,0,0]
	v_mov_b32_e32 v101, v89
	ds_load_2addr_b64 v[88:91], v182 offset0:53 offset1:54
	v_pk_add_f32 v[220:221], v[220:221], v[100:101] neg_lo:[0,1] neg_hi:[0,1]
	s_wait_dscnt 0x0
	v_pk_mul_f32 v[100:101], v[88:89], v[86:87] op_sel:[0,1]
	s_delay_alu instid0(VALU_DEP_1) | instskip(SKIP_1) | instid1(VALU_DEP_1)
	v_pk_fma_f32 v[102:103], v[88:89], v[82:83], v[100:101] op_sel:[0,0,1] op_sel_hi:[1,1,0] neg_lo:[0,0,1] neg_hi:[0,0,1]
	v_pk_fma_f32 v[88:89], v[88:89], v[82:83], v[100:101] op_sel:[0,0,1] op_sel_hi:[1,0,0]
	v_mov_b32_e32 v103, v89
	v_pk_mul_f32 v[88:89], v[90:91], v[86:87] op_sel:[0,1]
	s_delay_alu instid0(VALU_DEP_2) | instskip(NEXT) | instid1(VALU_DEP_2)
	v_pk_add_f32 v[212:213], v[212:213], v[102:103] neg_lo:[0,1] neg_hi:[0,1]
	v_pk_fma_f32 v[100:101], v[90:91], v[82:83], v[88:89] op_sel:[0,0,1] op_sel_hi:[1,1,0] neg_lo:[0,0,1] neg_hi:[0,0,1]
	v_pk_fma_f32 v[88:89], v[90:91], v[82:83], v[88:89] op_sel:[0,0,1] op_sel_hi:[1,0,0]
	s_delay_alu instid0(VALU_DEP_1)
	v_mov_b32_e32 v101, v89
	ds_load_2addr_b64 v[88:91], v182 offset0:55 offset1:56
	v_pk_add_f32 v[218:219], v[218:219], v[100:101] neg_lo:[0,1] neg_hi:[0,1]
	s_wait_dscnt 0x0
	v_pk_mul_f32 v[100:101], v[88:89], v[86:87] op_sel:[0,1]
	v_mul_f32_e32 v86, v91, v87
	s_delay_alu instid0(VALU_DEP_2) | instskip(SKIP_2) | instid1(VALU_DEP_4)
	v_pk_fma_f32 v[102:103], v[88:89], v[82:83], v[100:101] op_sel:[0,0,1] op_sel_hi:[1,1,0] neg_lo:[0,0,1] neg_hi:[0,0,1]
	v_pk_fma_f32 v[88:89], v[88:89], v[82:83], v[100:101] op_sel:[0,0,1] op_sel_hi:[1,0,0]
	v_dual_mov_b32 v88, v91 :: v_dual_mul_f32 v82, v91, v82
	v_pk_fma_f32 v[86:87], v[90:91], v[146:147], v[86:87] op_sel_hi:[1,1,0] neg_lo:[0,0,1] neg_hi:[0,0,1]
	s_delay_alu instid0(VALU_DEP_3) | instskip(NEXT) | instid1(VALU_DEP_1)
	v_dual_mov_b32 v103, v89 :: v_dual_mov_b32 v89, v90
	v_pk_add_f32 v[226:227], v[226:227], v[102:103] neg_lo:[0,1] neg_hi:[0,1]
	s_delay_alu instid0(VALU_DEP_2) | instskip(NEXT) | instid1(VALU_DEP_1)
	v_pk_fma_f32 v[82:83], v[88:89], v[146:147], v[82:83] op_sel_hi:[1,1,0]
	v_mov_b32_e32 v87, v83
	s_delay_alu instid0(VALU_DEP_1)
	v_pk_add_f32 v[228:229], v[228:229], v[86:87] neg_lo:[0,1] neg_hi:[0,1]
.LBB113_298:
	s_or_b32 exec_lo, exec_lo, s1
	s_delay_alu instid0(SALU_CYCLE_1)
	s_mov_b32 s2, exec_lo
	s_wait_dscnt 0x0
	s_barrier_signal -1
	s_barrier_wait -1
	v_cmpx_eq_u32_e32 33, v180
	s_cbranch_execz .LBB113_305
; %bb.299:
	v_dual_mov_b32 v82, v144 :: v_dual_mov_b32 v83, v145
	v_dual_mov_b32 v86, v140 :: v_dual_mov_b32 v87, v141
	ds_store_b64 v181, v[142:143]
	ds_store_2addr_b64 v182, v[82:83], v[86:87] offset0:34 offset1:35
	v_dual_mov_b32 v82, v162 :: v_dual_mov_b32 v83, v163
	v_dual_mov_b32 v86, v158 :: v_dual_mov_b32 v87, v159
	ds_store_2addr_b64 v182, v[82:83], v[86:87] offset0:36 offset1:37
	v_dual_mov_b32 v82, v160 :: v_dual_mov_b32 v83, v161
	v_dual_mov_b32 v86, v156 :: v_dual_mov_b32 v87, v157
	ds_store_2addr_b64 v182, v[82:83], v[86:87] offset0:38 offset1:39
	v_dual_mov_b32 v82, v178 :: v_dual_mov_b32 v83, v179
	v_dual_mov_b32 v86, v174 :: v_dual_mov_b32 v87, v175
	ds_store_2addr_b64 v182, v[82:83], v[86:87] offset0:40 offset1:41
	v_dual_mov_b32 v82, v176 :: v_dual_mov_b32 v83, v177
	v_dual_mov_b32 v86, v172 :: v_dual_mov_b32 v87, v173
	ds_store_2addr_b64 v182, v[82:83], v[86:87] offset0:42 offset1:43
	v_dual_mov_b32 v82, v200 :: v_dual_mov_b32 v83, v201
	v_dual_mov_b32 v86, v196 :: v_dual_mov_b32 v87, v197
	ds_store_2addr_b64 v182, v[82:83], v[86:87] offset0:44 offset1:45
	v_dual_mov_b32 v82, v198 :: v_dual_mov_b32 v83, v199
	v_dual_mov_b32 v86, v194 :: v_dual_mov_b32 v87, v195
	ds_store_2addr_b64 v182, v[82:83], v[86:87] offset0:46 offset1:47
	v_dual_mov_b32 v82, v224 :: v_dual_mov_b32 v83, v225
	v_dual_mov_b32 v86, v216 :: v_dual_mov_b32 v87, v217
	ds_store_2addr_b64 v182, v[82:83], v[86:87] offset0:48 offset1:49
	v_dual_mov_b32 v82, v222 :: v_dual_mov_b32 v83, v223
	v_dual_mov_b32 v86, v214 :: v_dual_mov_b32 v87, v215
	ds_store_2addr_b64 v182, v[82:83], v[86:87] offset0:50 offset1:51
	v_dual_mov_b32 v82, v220 :: v_dual_mov_b32 v83, v221
	v_dual_mov_b32 v86, v212 :: v_dual_mov_b32 v87, v213
	ds_store_2addr_b64 v182, v[82:83], v[86:87] offset0:52 offset1:53
	v_dual_mov_b32 v82, v218 :: v_dual_mov_b32 v83, v219
	v_dual_mov_b32 v86, v226 :: v_dual_mov_b32 v87, v227
	ds_store_2addr_b64 v182, v[82:83], v[86:87] offset0:54 offset1:55
	ds_store_b64 v182, v[228:229] offset:448
	ds_load_b64 v[82:83], v181
	s_wait_dscnt 0x0
	v_cmp_neq_f32_e32 vcc_lo, 0, v82
	v_cmp_neq_f32_e64 s1, 0, v83
	s_or_b32 s1, vcc_lo, s1
	s_delay_alu instid0(SALU_CYCLE_1)
	s_and_b32 exec_lo, exec_lo, s1
	s_cbranch_execz .LBB113_305
; %bb.300:
	v_cmp_ngt_f32_e64 s1, |v82|, |v83|
                                        ; implicit-def: $vgpr86_vgpr87
	s_and_saveexec_b32 s4, s1
	s_delay_alu instid0(SALU_CYCLE_1)
	s_xor_b32 s1, exec_lo, s4
	s_cbranch_execz .LBB113_302
; %bb.301:
	v_div_scale_f32 v86, null, v83, v83, v82
	v_div_scale_f32 v89, vcc_lo, v82, v83, v82
	s_delay_alu instid0(VALU_DEP_2) | instskip(SKIP_1) | instid1(TRANS32_DEP_1)
	v_rcp_f32_e32 v87, v86
	v_nop
	v_fma_f32 v88, -v86, v87, 1.0
	s_delay_alu instid0(VALU_DEP_1) | instskip(NEXT) | instid1(VALU_DEP_1)
	v_fmac_f32_e32 v87, v88, v87
	v_mul_f32_e32 v88, v89, v87
	s_delay_alu instid0(VALU_DEP_1) | instskip(NEXT) | instid1(VALU_DEP_1)
	v_fma_f32 v90, -v86, v88, v89
	v_fmac_f32_e32 v88, v90, v87
	s_delay_alu instid0(VALU_DEP_1) | instskip(NEXT) | instid1(VALU_DEP_1)
	v_fma_f32 v86, -v86, v88, v89
	v_div_fmas_f32 v86, v86, v87, v88
	s_delay_alu instid0(VALU_DEP_1) | instskip(NEXT) | instid1(VALU_DEP_1)
	v_div_fixup_f32 v86, v86, v83, v82
	v_fmac_f32_e32 v83, v82, v86
	s_delay_alu instid0(VALU_DEP_1) | instskip(SKIP_1) | instid1(VALU_DEP_2)
	v_div_scale_f32 v82, null, v83, v83, 1.0
	v_div_scale_f32 v89, vcc_lo, 1.0, v83, 1.0
	v_rcp_f32_e32 v87, v82
	v_nop
	s_delay_alu instid0(TRANS32_DEP_1) | instskip(NEXT) | instid1(VALU_DEP_1)
	v_fma_f32 v88, -v82, v87, 1.0
	v_fmac_f32_e32 v87, v88, v87
	s_delay_alu instid0(VALU_DEP_1) | instskip(NEXT) | instid1(VALU_DEP_1)
	v_mul_f32_e32 v88, v89, v87
	v_fma_f32 v90, -v82, v88, v89
	s_delay_alu instid0(VALU_DEP_1) | instskip(NEXT) | instid1(VALU_DEP_1)
	v_fmac_f32_e32 v88, v90, v87
	v_fma_f32 v82, -v82, v88, v89
	s_delay_alu instid0(VALU_DEP_1) | instskip(NEXT) | instid1(VALU_DEP_1)
	v_div_fmas_f32 v82, v82, v87, v88
	v_div_fixup_f32 v82, v82, v83, 1.0
	s_delay_alu instid0(VALU_DEP_1)
	v_mul_f32_e32 v86, v86, v82
	v_xor_b32_e32 v87, 0x80000000, v82
                                        ; implicit-def: $vgpr82_vgpr83
.LBB113_302:
	s_and_not1_saveexec_b32 s1, s1
	s_cbranch_execz .LBB113_304
; %bb.303:
	v_div_scale_f32 v86, null, v82, v82, v83
	v_div_scale_f32 v89, vcc_lo, v83, v82, v83
	s_delay_alu instid0(VALU_DEP_2) | instskip(SKIP_1) | instid1(TRANS32_DEP_1)
	v_rcp_f32_e32 v87, v86
	v_nop
	v_fma_f32 v88, -v86, v87, 1.0
	s_delay_alu instid0(VALU_DEP_1) | instskip(NEXT) | instid1(VALU_DEP_1)
	v_fmac_f32_e32 v87, v88, v87
	v_mul_f32_e32 v88, v89, v87
	s_delay_alu instid0(VALU_DEP_1) | instskip(NEXT) | instid1(VALU_DEP_1)
	v_fma_f32 v90, -v86, v88, v89
	v_fmac_f32_e32 v88, v90, v87
	s_delay_alu instid0(VALU_DEP_1) | instskip(NEXT) | instid1(VALU_DEP_1)
	v_fma_f32 v86, -v86, v88, v89
	v_div_fmas_f32 v86, v86, v87, v88
	s_delay_alu instid0(VALU_DEP_1) | instskip(NEXT) | instid1(VALU_DEP_1)
	v_div_fixup_f32 v87, v86, v82, v83
	v_fmac_f32_e32 v82, v83, v87
	s_delay_alu instid0(VALU_DEP_1) | instskip(NEXT) | instid1(VALU_DEP_1)
	v_div_scale_f32 v83, null, v82, v82, 1.0
	v_rcp_f32_e32 v86, v83
	v_nop
	s_delay_alu instid0(TRANS32_DEP_1) | instskip(NEXT) | instid1(VALU_DEP_1)
	v_fma_f32 v88, -v83, v86, 1.0
	v_fmac_f32_e32 v86, v88, v86
	v_div_scale_f32 v88, vcc_lo, 1.0, v82, 1.0
	s_delay_alu instid0(VALU_DEP_1) | instskip(NEXT) | instid1(VALU_DEP_1)
	v_mul_f32_e32 v89, v88, v86
	v_fma_f32 v90, -v83, v89, v88
	s_delay_alu instid0(VALU_DEP_1) | instskip(NEXT) | instid1(VALU_DEP_1)
	v_fmac_f32_e32 v89, v90, v86
	v_fma_f32 v83, -v83, v89, v88
	s_delay_alu instid0(VALU_DEP_1) | instskip(NEXT) | instid1(VALU_DEP_1)
	v_div_fmas_f32 v83, v83, v86, v89
	v_div_fixup_f32 v86, v83, v82, 1.0
	s_delay_alu instid0(VALU_DEP_1)
	v_mul_f32_e64 v87, v87, -v86
.LBB113_304:
	s_or_b32 exec_lo, exec_lo, s1
	ds_store_b64 v181, v[86:87]
.LBB113_305:
	s_or_b32 exec_lo, exec_lo, s2
	s_wait_dscnt 0x0
	s_barrier_signal -1
	s_barrier_wait -1
	ds_load_b64 v[82:83], v181
	s_mov_b32 s1, exec_lo
	v_cmpx_lt_u32_e32 33, v180
	s_cbranch_execz .LBB113_307
; %bb.306:
	ds_load_2addr_b64 v[100:103], v182 offset0:34 offset1:35
	s_wait_dscnt 0x1
	v_pk_mul_f32 v[88:89], v[82:83], v[142:143] op_sel:[1,1] op_sel_hi:[0,1]
	s_delay_alu instid0(VALU_DEP_1) | instskip(SKIP_1) | instid1(VALU_DEP_1)
	v_pk_fma_f32 v[86:87], v[82:83], v[142:143], v[88:89] op_sel_hi:[1,0,1] neg_lo:[0,0,1] neg_hi:[0,0,1]
	v_pk_fma_f32 v[88:89], v[82:83], v[142:143], v[88:89] op_sel_hi:[1,0,1]
	v_dual_mov_b32 v142, v86 :: v_dual_mov_b32 v143, v89
	s_wait_dscnt 0x0
	s_delay_alu instid0(VALU_DEP_2) | instskip(NEXT) | instid1(VALU_DEP_1)
	v_pk_mul_f32 v[90:91], v[100:101], v[88:89] op_sel:[0,1]
	v_pk_fma_f32 v[104:105], v[100:101], v[86:87], v[90:91] op_sel:[0,0,1] op_sel_hi:[1,1,0] neg_lo:[0,0,1] neg_hi:[0,0,1]
	v_pk_fma_f32 v[90:91], v[100:101], v[86:87], v[90:91] op_sel:[0,0,1] op_sel_hi:[1,0,0]
	s_delay_alu instid0(VALU_DEP_1) | instskip(SKIP_1) | instid1(VALU_DEP_1)
	v_mov_b32_e32 v105, v91
	v_pk_mul_f32 v[90:91], v[102:103], v[88:89] op_sel:[0,1]
	v_pk_fma_f32 v[100:101], v[102:103], v[86:87], v[90:91] op_sel:[0,0,1] op_sel_hi:[1,1,0] neg_lo:[0,0,1] neg_hi:[0,0,1]
	v_pk_fma_f32 v[90:91], v[102:103], v[86:87], v[90:91] op_sel:[0,0,1] op_sel_hi:[1,0,0]
	s_delay_alu instid0(VALU_DEP_1) | instskip(SKIP_1) | instid1(VALU_DEP_2)
	v_mov_b32_e32 v101, v91
	v_pk_add_f32 v[144:145], v[144:145], v[104:105] neg_lo:[0,1] neg_hi:[0,1]
	v_pk_add_f32 v[140:141], v[140:141], v[100:101] neg_lo:[0,1] neg_hi:[0,1]
	ds_load_2addr_b64 v[100:103], v182 offset0:36 offset1:37
	s_wait_dscnt 0x0
	v_pk_mul_f32 v[90:91], v[100:101], v[88:89] op_sel:[0,1]
	s_delay_alu instid0(VALU_DEP_1) | instskip(SKIP_2) | instid1(VALU_DEP_2)
	v_pk_fma_f32 v[104:105], v[100:101], v[86:87], v[90:91] op_sel:[0,0,1] op_sel_hi:[1,1,0] neg_lo:[0,0,1] neg_hi:[0,0,1]
	v_pk_fma_f32 v[90:91], v[100:101], v[86:87], v[90:91] op_sel:[0,0,1] op_sel_hi:[1,0,0]
	v_dual_mul_f32 v100, v103, v89 :: v_dual_mov_b32 v90, v103
	v_dual_mov_b32 v105, v91 :: v_dual_mov_b32 v91, v102
	s_delay_alu instid0(VALU_DEP_2) | instskip(SKIP_1) | instid1(VALU_DEP_3)
	v_pk_fma_f32 v[100:101], v[102:103], v[142:143], v[100:101] op_sel_hi:[1,1,0] neg_lo:[0,0,1] neg_hi:[0,0,1]
	v_mul_f32_e32 v102, v103, v86
	v_pk_add_f32 v[162:163], v[162:163], v[104:105] neg_lo:[0,1] neg_hi:[0,1]
	s_delay_alu instid0(VALU_DEP_2) | instskip(NEXT) | instid1(VALU_DEP_1)
	v_pk_fma_f32 v[90:91], v[90:91], v[142:143], v[102:103] op_sel_hi:[1,1,0]
	v_mov_b32_e32 v101, v91
	s_delay_alu instid0(VALU_DEP_1) | instskip(SKIP_3) | instid1(VALU_DEP_1)
	v_pk_add_f32 v[158:159], v[158:159], v[100:101] neg_lo:[0,1] neg_hi:[0,1]
	ds_load_2addr_b64 v[100:103], v182 offset0:38 offset1:39
	s_wait_dscnt 0x0
	v_pk_mul_f32 v[90:91], v[100:101], v[88:89] op_sel:[0,1]
	v_pk_fma_f32 v[104:105], v[100:101], v[86:87], v[90:91] op_sel:[0,0,1] op_sel_hi:[1,1,0] neg_lo:[0,0,1] neg_hi:[0,0,1]
	v_pk_fma_f32 v[90:91], v[100:101], v[86:87], v[90:91] op_sel:[0,0,1] op_sel_hi:[1,0,0]
	s_delay_alu instid0(VALU_DEP_1) | instskip(SKIP_1) | instid1(VALU_DEP_2)
	v_mov_b32_e32 v105, v91
	v_pk_mul_f32 v[90:91], v[102:103], v[88:89] op_sel:[0,1]
	v_pk_add_f32 v[160:161], v[160:161], v[104:105] neg_lo:[0,1] neg_hi:[0,1]
	s_delay_alu instid0(VALU_DEP_2) | instskip(SKIP_1) | instid1(VALU_DEP_1)
	v_pk_fma_f32 v[100:101], v[102:103], v[86:87], v[90:91] op_sel:[0,0,1] op_sel_hi:[1,1,0] neg_lo:[0,0,1] neg_hi:[0,0,1]
	v_pk_fma_f32 v[90:91], v[102:103], v[86:87], v[90:91] op_sel:[0,0,1] op_sel_hi:[1,0,0]
	v_mov_b32_e32 v101, v91
	s_delay_alu instid0(VALU_DEP_1) | instskip(SKIP_3) | instid1(VALU_DEP_1)
	v_pk_add_f32 v[156:157], v[156:157], v[100:101] neg_lo:[0,1] neg_hi:[0,1]
	ds_load_2addr_b64 v[100:103], v182 offset0:40 offset1:41
	s_wait_dscnt 0x0
	v_pk_mul_f32 v[90:91], v[100:101], v[88:89] op_sel:[0,1]
	v_pk_fma_f32 v[104:105], v[100:101], v[86:87], v[90:91] op_sel:[0,0,1] op_sel_hi:[1,1,0] neg_lo:[0,0,1] neg_hi:[0,0,1]
	v_pk_fma_f32 v[90:91], v[100:101], v[86:87], v[90:91] op_sel:[0,0,1] op_sel_hi:[1,0,0]
	s_delay_alu instid0(VALU_DEP_1) | instskip(SKIP_1) | instid1(VALU_DEP_2)
	v_mov_b32_e32 v105, v91
	v_pk_mul_f32 v[90:91], v[102:103], v[88:89] op_sel:[0,1]
	v_pk_add_f32 v[178:179], v[178:179], v[104:105] neg_lo:[0,1] neg_hi:[0,1]
	s_delay_alu instid0(VALU_DEP_2) | instskip(SKIP_1) | instid1(VALU_DEP_1)
	v_pk_fma_f32 v[100:101], v[102:103], v[86:87], v[90:91] op_sel:[0,0,1] op_sel_hi:[1,1,0] neg_lo:[0,0,1] neg_hi:[0,0,1]
	v_pk_fma_f32 v[90:91], v[102:103], v[86:87], v[90:91] op_sel:[0,0,1] op_sel_hi:[1,0,0]
	v_mov_b32_e32 v101, v91
	s_delay_alu instid0(VALU_DEP_1) | instskip(SKIP_3) | instid1(VALU_DEP_1)
	v_pk_add_f32 v[174:175], v[174:175], v[100:101] neg_lo:[0,1] neg_hi:[0,1]
	ds_load_2addr_b64 v[100:103], v182 offset0:42 offset1:43
	s_wait_dscnt 0x0
	v_dual_mul_f32 v90, v101, v89 :: v_dual_mul_f32 v104, v101, v86
	v_pk_fma_f32 v[90:91], v[100:101], v[142:143], v[90:91] op_sel_hi:[1,1,0] neg_lo:[0,0,1] neg_hi:[0,0,1]
	s_delay_alu instid0(VALU_DEP_2) | instskip(NEXT) | instid1(VALU_DEP_1)
	v_pk_fma_f32 v[100:101], v[100:101], v[142:143], v[104:105] op_sel:[1,0,0] op_sel_hi:[0,1,0]
	v_mov_b32_e32 v91, v101
	s_delay_alu instid0(VALU_DEP_1) | instskip(SKIP_1) | instid1(VALU_DEP_1)
	v_pk_add_f32 v[176:177], v[176:177], v[90:91] neg_lo:[0,1] neg_hi:[0,1]
	v_pk_mul_f32 v[90:91], v[102:103], v[88:89] op_sel:[0,1]
	v_pk_fma_f32 v[100:101], v[102:103], v[86:87], v[90:91] op_sel:[0,0,1] op_sel_hi:[1,1,0] neg_lo:[0,0,1] neg_hi:[0,0,1]
	v_pk_fma_f32 v[90:91], v[102:103], v[86:87], v[90:91] op_sel:[0,0,1] op_sel_hi:[1,0,0]
	s_delay_alu instid0(VALU_DEP_1) | instskip(NEXT) | instid1(VALU_DEP_1)
	v_mov_b32_e32 v101, v91
	v_pk_add_f32 v[172:173], v[172:173], v[100:101] neg_lo:[0,1] neg_hi:[0,1]
	ds_load_2addr_b64 v[100:103], v182 offset0:44 offset1:45
	s_wait_dscnt 0x0
	v_pk_mul_f32 v[90:91], v[100:101], v[88:89] op_sel:[0,1]
	s_delay_alu instid0(VALU_DEP_1) | instskip(SKIP_1) | instid1(VALU_DEP_1)
	v_pk_fma_f32 v[104:105], v[100:101], v[86:87], v[90:91] op_sel:[0,0,1] op_sel_hi:[1,1,0] neg_lo:[0,0,1] neg_hi:[0,0,1]
	v_pk_fma_f32 v[90:91], v[100:101], v[86:87], v[90:91] op_sel:[0,0,1] op_sel_hi:[1,0,0]
	v_mov_b32_e32 v105, v91
	v_pk_mul_f32 v[90:91], v[102:103], v[88:89] op_sel:[0,1]
	s_delay_alu instid0(VALU_DEP_2) | instskip(NEXT) | instid1(VALU_DEP_2)
	v_pk_add_f32 v[200:201], v[200:201], v[104:105] neg_lo:[0,1] neg_hi:[0,1]
	v_pk_fma_f32 v[100:101], v[102:103], v[86:87], v[90:91] op_sel:[0,0,1] op_sel_hi:[1,1,0] neg_lo:[0,0,1] neg_hi:[0,0,1]
	v_pk_fma_f32 v[90:91], v[102:103], v[86:87], v[90:91] op_sel:[0,0,1] op_sel_hi:[1,0,0]
	s_delay_alu instid0(VALU_DEP_1) | instskip(NEXT) | instid1(VALU_DEP_1)
	v_mov_b32_e32 v101, v91
	v_pk_add_f32 v[196:197], v[196:197], v[100:101] neg_lo:[0,1] neg_hi:[0,1]
	ds_load_2addr_b64 v[100:103], v182 offset0:46 offset1:47
	s_wait_dscnt 0x0
	v_pk_mul_f32 v[90:91], v[100:101], v[88:89] op_sel:[0,1]
	s_delay_alu instid0(VALU_DEP_1) | instskip(SKIP_2) | instid1(VALU_DEP_2)
	v_pk_fma_f32 v[104:105], v[100:101], v[86:87], v[90:91] op_sel:[0,0,1] op_sel_hi:[1,1,0] neg_lo:[0,0,1] neg_hi:[0,0,1]
	v_pk_fma_f32 v[90:91], v[100:101], v[86:87], v[90:91] op_sel:[0,0,1] op_sel_hi:[1,0,0]
	v_dual_mul_f32 v100, v103, v89 :: v_dual_mov_b32 v90, v103
	v_dual_mov_b32 v105, v91 :: v_dual_mov_b32 v91, v102
	s_delay_alu instid0(VALU_DEP_2) | instskip(SKIP_1) | instid1(VALU_DEP_3)
	v_pk_fma_f32 v[100:101], v[102:103], v[142:143], v[100:101] op_sel_hi:[1,1,0] neg_lo:[0,0,1] neg_hi:[0,0,1]
	v_mul_f32_e32 v102, v103, v86
	v_pk_add_f32 v[198:199], v[198:199], v[104:105] neg_lo:[0,1] neg_hi:[0,1]
	s_delay_alu instid0(VALU_DEP_2) | instskip(NEXT) | instid1(VALU_DEP_1)
	v_pk_fma_f32 v[90:91], v[90:91], v[142:143], v[102:103] op_sel_hi:[1,1,0]
	v_mov_b32_e32 v101, v91
	s_delay_alu instid0(VALU_DEP_1) | instskip(SKIP_3) | instid1(VALU_DEP_1)
	v_pk_add_f32 v[194:195], v[194:195], v[100:101] neg_lo:[0,1] neg_hi:[0,1]
	ds_load_2addr_b64 v[100:103], v182 offset0:48 offset1:49
	s_wait_dscnt 0x0
	v_pk_mul_f32 v[90:91], v[100:101], v[88:89] op_sel:[0,1]
	v_pk_fma_f32 v[104:105], v[100:101], v[86:87], v[90:91] op_sel:[0,0,1] op_sel_hi:[1,1,0] neg_lo:[0,0,1] neg_hi:[0,0,1]
	v_pk_fma_f32 v[90:91], v[100:101], v[86:87], v[90:91] op_sel:[0,0,1] op_sel_hi:[1,0,0]
	s_delay_alu instid0(VALU_DEP_1) | instskip(SKIP_1) | instid1(VALU_DEP_2)
	v_mov_b32_e32 v105, v91
	v_pk_mul_f32 v[90:91], v[102:103], v[88:89] op_sel:[0,1]
	v_pk_add_f32 v[224:225], v[224:225], v[104:105] neg_lo:[0,1] neg_hi:[0,1]
	s_delay_alu instid0(VALU_DEP_2) | instskip(SKIP_1) | instid1(VALU_DEP_1)
	v_pk_fma_f32 v[100:101], v[102:103], v[86:87], v[90:91] op_sel:[0,0,1] op_sel_hi:[1,1,0] neg_lo:[0,0,1] neg_hi:[0,0,1]
	v_pk_fma_f32 v[90:91], v[102:103], v[86:87], v[90:91] op_sel:[0,0,1] op_sel_hi:[1,0,0]
	v_mov_b32_e32 v101, v91
	s_delay_alu instid0(VALU_DEP_1) | instskip(SKIP_3) | instid1(VALU_DEP_1)
	v_pk_add_f32 v[216:217], v[216:217], v[100:101] neg_lo:[0,1] neg_hi:[0,1]
	ds_load_2addr_b64 v[100:103], v182 offset0:50 offset1:51
	s_wait_dscnt 0x0
	v_pk_mul_f32 v[90:91], v[100:101], v[88:89] op_sel:[0,1]
	v_pk_fma_f32 v[104:105], v[100:101], v[86:87], v[90:91] op_sel:[0,0,1] op_sel_hi:[1,1,0] neg_lo:[0,0,1] neg_hi:[0,0,1]
	v_pk_fma_f32 v[90:91], v[100:101], v[86:87], v[90:91] op_sel:[0,0,1] op_sel_hi:[1,0,0]
	s_delay_alu instid0(VALU_DEP_1) | instskip(SKIP_1) | instid1(VALU_DEP_2)
	v_mov_b32_e32 v105, v91
	v_pk_mul_f32 v[90:91], v[102:103], v[88:89] op_sel:[0,1]
	v_pk_add_f32 v[222:223], v[222:223], v[104:105] neg_lo:[0,1] neg_hi:[0,1]
	s_delay_alu instid0(VALU_DEP_2) | instskip(SKIP_1) | instid1(VALU_DEP_1)
	v_pk_fma_f32 v[100:101], v[102:103], v[86:87], v[90:91] op_sel:[0,0,1] op_sel_hi:[1,1,0] neg_lo:[0,0,1] neg_hi:[0,0,1]
	v_pk_fma_f32 v[90:91], v[102:103], v[86:87], v[90:91] op_sel:[0,0,1] op_sel_hi:[1,0,0]
	v_mov_b32_e32 v101, v91
	s_delay_alu instid0(VALU_DEP_1) | instskip(SKIP_3) | instid1(VALU_DEP_1)
	v_pk_add_f32 v[214:215], v[214:215], v[100:101] neg_lo:[0,1] neg_hi:[0,1]
	ds_load_2addr_b64 v[100:103], v182 offset0:52 offset1:53
	s_wait_dscnt 0x0
	v_dual_mul_f32 v90, v101, v89 :: v_dual_mul_f32 v104, v101, v86
	v_pk_fma_f32 v[90:91], v[100:101], v[142:143], v[90:91] op_sel_hi:[1,1,0] neg_lo:[0,0,1] neg_hi:[0,0,1]
	s_delay_alu instid0(VALU_DEP_2) | instskip(NEXT) | instid1(VALU_DEP_1)
	v_pk_fma_f32 v[100:101], v[100:101], v[142:143], v[104:105] op_sel:[1,0,0] op_sel_hi:[0,1,0]
	v_mov_b32_e32 v91, v101
	s_delay_alu instid0(VALU_DEP_1) | instskip(SKIP_1) | instid1(VALU_DEP_1)
	v_pk_add_f32 v[220:221], v[220:221], v[90:91] neg_lo:[0,1] neg_hi:[0,1]
	v_pk_mul_f32 v[90:91], v[102:103], v[88:89] op_sel:[0,1]
	v_pk_fma_f32 v[100:101], v[102:103], v[86:87], v[90:91] op_sel:[0,0,1] op_sel_hi:[1,1,0] neg_lo:[0,0,1] neg_hi:[0,0,1]
	v_pk_fma_f32 v[90:91], v[102:103], v[86:87], v[90:91] op_sel:[0,0,1] op_sel_hi:[1,0,0]
	s_delay_alu instid0(VALU_DEP_1) | instskip(NEXT) | instid1(VALU_DEP_1)
	v_mov_b32_e32 v101, v91
	v_pk_add_f32 v[212:213], v[212:213], v[100:101] neg_lo:[0,1] neg_hi:[0,1]
	ds_load_2addr_b64 v[100:103], v182 offset0:54 offset1:55
	s_wait_dscnt 0x0
	v_pk_mul_f32 v[90:91], v[100:101], v[88:89] op_sel:[0,1]
	s_delay_alu instid0(VALU_DEP_1) | instskip(SKIP_1) | instid1(VALU_DEP_1)
	v_pk_fma_f32 v[104:105], v[100:101], v[86:87], v[90:91] op_sel:[0,0,1] op_sel_hi:[1,1,0] neg_lo:[0,0,1] neg_hi:[0,0,1]
	v_pk_fma_f32 v[90:91], v[100:101], v[86:87], v[90:91] op_sel:[0,0,1] op_sel_hi:[1,0,0]
	v_mov_b32_e32 v105, v91
	v_pk_mul_f32 v[90:91], v[102:103], v[88:89] op_sel:[0,1]
	s_delay_alu instid0(VALU_DEP_2) | instskip(NEXT) | instid1(VALU_DEP_2)
	v_pk_add_f32 v[218:219], v[218:219], v[104:105] neg_lo:[0,1] neg_hi:[0,1]
	v_pk_fma_f32 v[100:101], v[102:103], v[86:87], v[90:91] op_sel:[0,0,1] op_sel_hi:[1,1,0] neg_lo:[0,0,1] neg_hi:[0,0,1]
	v_pk_fma_f32 v[90:91], v[102:103], v[86:87], v[90:91] op_sel:[0,0,1] op_sel_hi:[1,0,0]
	s_delay_alu instid0(VALU_DEP_1) | instskip(SKIP_4) | instid1(VALU_DEP_1)
	v_mov_b32_e32 v101, v91
	ds_load_b64 v[90:91], v182 offset:448
	v_pk_add_f32 v[226:227], v[226:227], v[100:101] neg_lo:[0,1] neg_hi:[0,1]
	s_wait_dscnt 0x0
	v_pk_mul_f32 v[88:89], v[90:91], v[88:89] op_sel:[0,1]
	v_pk_fma_f32 v[100:101], v[90:91], v[86:87], v[88:89] op_sel:[0,0,1] op_sel_hi:[1,1,0] neg_lo:[0,0,1] neg_hi:[0,0,1]
	v_pk_fma_f32 v[86:87], v[90:91], v[86:87], v[88:89] op_sel:[0,0,1] op_sel_hi:[1,0,0]
	s_delay_alu instid0(VALU_DEP_1) | instskip(NEXT) | instid1(VALU_DEP_1)
	v_mov_b32_e32 v101, v87
	v_pk_add_f32 v[228:229], v[228:229], v[100:101] neg_lo:[0,1] neg_hi:[0,1]
.LBB113_307:
	s_or_b32 exec_lo, exec_lo, s1
	s_delay_alu instid0(SALU_CYCLE_1)
	s_mov_b32 s2, exec_lo
	s_wait_dscnt 0x0
	s_barrier_signal -1
	s_barrier_wait -1
	v_cmpx_eq_u32_e32 34, v180
	s_cbranch_execz .LBB113_314
; %bb.308:
	ds_store_b64 v181, v[144:145]
	ds_store_2addr_b64 v182, v[140:141], v[162:163] offset0:35 offset1:36
	ds_store_2addr_b64 v182, v[158:159], v[160:161] offset0:37 offset1:38
	;; [unrolled: 1-line block ×11, first 2 shown]
	ds_load_b64 v[86:87], v181
	s_wait_dscnt 0x0
	v_cmp_neq_f32_e32 vcc_lo, 0, v86
	v_cmp_neq_f32_e64 s1, 0, v87
	s_or_b32 s1, vcc_lo, s1
	s_delay_alu instid0(SALU_CYCLE_1)
	s_and_b32 exec_lo, exec_lo, s1
	s_cbranch_execz .LBB113_314
; %bb.309:
	v_cmp_ngt_f32_e64 s1, |v86|, |v87|
                                        ; implicit-def: $vgpr88_vgpr89
	s_and_saveexec_b32 s4, s1
	s_delay_alu instid0(SALU_CYCLE_1)
	s_xor_b32 s1, exec_lo, s4
	s_cbranch_execz .LBB113_311
; %bb.310:
	v_div_scale_f32 v88, null, v87, v87, v86
	v_div_scale_f32 v91, vcc_lo, v86, v87, v86
	s_delay_alu instid0(VALU_DEP_2) | instskip(SKIP_1) | instid1(TRANS32_DEP_1)
	v_rcp_f32_e32 v89, v88
	v_nop
	v_fma_f32 v90, -v88, v89, 1.0
	s_delay_alu instid0(VALU_DEP_1) | instskip(NEXT) | instid1(VALU_DEP_1)
	v_fmac_f32_e32 v89, v90, v89
	v_mul_f32_e32 v90, v91, v89
	s_delay_alu instid0(VALU_DEP_1) | instskip(NEXT) | instid1(VALU_DEP_1)
	v_fma_f32 v100, -v88, v90, v91
	v_fmac_f32_e32 v90, v100, v89
	s_delay_alu instid0(VALU_DEP_1) | instskip(NEXT) | instid1(VALU_DEP_1)
	v_fma_f32 v88, -v88, v90, v91
	v_div_fmas_f32 v88, v88, v89, v90
	s_delay_alu instid0(VALU_DEP_1) | instskip(NEXT) | instid1(VALU_DEP_1)
	v_div_fixup_f32 v88, v88, v87, v86
	v_fmac_f32_e32 v87, v86, v88
	s_delay_alu instid0(VALU_DEP_1) | instskip(SKIP_1) | instid1(VALU_DEP_2)
	v_div_scale_f32 v86, null, v87, v87, 1.0
	v_div_scale_f32 v91, vcc_lo, 1.0, v87, 1.0
	v_rcp_f32_e32 v89, v86
	v_nop
	s_delay_alu instid0(TRANS32_DEP_1) | instskip(NEXT) | instid1(VALU_DEP_1)
	v_fma_f32 v90, -v86, v89, 1.0
	v_fmac_f32_e32 v89, v90, v89
	s_delay_alu instid0(VALU_DEP_1) | instskip(NEXT) | instid1(VALU_DEP_1)
	v_mul_f32_e32 v90, v91, v89
	v_fma_f32 v100, -v86, v90, v91
	s_delay_alu instid0(VALU_DEP_1) | instskip(NEXT) | instid1(VALU_DEP_1)
	v_fmac_f32_e32 v90, v100, v89
	v_fma_f32 v86, -v86, v90, v91
	s_delay_alu instid0(VALU_DEP_1) | instskip(NEXT) | instid1(VALU_DEP_1)
	v_div_fmas_f32 v86, v86, v89, v90
	v_div_fixup_f32 v86, v86, v87, 1.0
	s_delay_alu instid0(VALU_DEP_1)
	v_mul_f32_e32 v88, v88, v86
	v_xor_b32_e32 v89, 0x80000000, v86
                                        ; implicit-def: $vgpr86_vgpr87
.LBB113_311:
	s_and_not1_saveexec_b32 s1, s1
	s_cbranch_execz .LBB113_313
; %bb.312:
	v_div_scale_f32 v88, null, v86, v86, v87
	v_div_scale_f32 v91, vcc_lo, v87, v86, v87
	s_delay_alu instid0(VALU_DEP_2) | instskip(SKIP_1) | instid1(TRANS32_DEP_1)
	v_rcp_f32_e32 v89, v88
	v_nop
	v_fma_f32 v90, -v88, v89, 1.0
	s_delay_alu instid0(VALU_DEP_1) | instskip(NEXT) | instid1(VALU_DEP_1)
	v_fmac_f32_e32 v89, v90, v89
	v_mul_f32_e32 v90, v91, v89
	s_delay_alu instid0(VALU_DEP_1) | instskip(NEXT) | instid1(VALU_DEP_1)
	v_fma_f32 v100, -v88, v90, v91
	v_fmac_f32_e32 v90, v100, v89
	s_delay_alu instid0(VALU_DEP_1) | instskip(NEXT) | instid1(VALU_DEP_1)
	v_fma_f32 v88, -v88, v90, v91
	v_div_fmas_f32 v88, v88, v89, v90
	s_delay_alu instid0(VALU_DEP_1) | instskip(NEXT) | instid1(VALU_DEP_1)
	v_div_fixup_f32 v89, v88, v86, v87
	v_fmac_f32_e32 v86, v87, v89
	s_delay_alu instid0(VALU_DEP_1) | instskip(NEXT) | instid1(VALU_DEP_1)
	v_div_scale_f32 v87, null, v86, v86, 1.0
	v_rcp_f32_e32 v88, v87
	v_nop
	s_delay_alu instid0(TRANS32_DEP_1) | instskip(NEXT) | instid1(VALU_DEP_1)
	v_fma_f32 v90, -v87, v88, 1.0
	v_fmac_f32_e32 v88, v90, v88
	v_div_scale_f32 v90, vcc_lo, 1.0, v86, 1.0
	s_delay_alu instid0(VALU_DEP_1) | instskip(NEXT) | instid1(VALU_DEP_1)
	v_mul_f32_e32 v91, v90, v88
	v_fma_f32 v100, -v87, v91, v90
	s_delay_alu instid0(VALU_DEP_1) | instskip(NEXT) | instid1(VALU_DEP_1)
	v_fmac_f32_e32 v91, v100, v88
	v_fma_f32 v87, -v87, v91, v90
	s_delay_alu instid0(VALU_DEP_1) | instskip(NEXT) | instid1(VALU_DEP_1)
	v_div_fmas_f32 v87, v87, v88, v91
	v_div_fixup_f32 v88, v87, v86, 1.0
	s_delay_alu instid0(VALU_DEP_1)
	v_mul_f32_e64 v89, v89, -v88
.LBB113_313:
	s_or_b32 exec_lo, exec_lo, s1
	ds_store_b64 v181, v[88:89]
.LBB113_314:
	s_or_b32 exec_lo, exec_lo, s2
	s_wait_dscnt 0x0
	s_barrier_signal -1
	s_barrier_wait -1
	ds_load_b64 v[86:87], v181
	s_mov_b32 s1, exec_lo
	v_cmpx_lt_u32_e32 34, v180
	s_cbranch_execz .LBB113_316
; %bb.315:
	ds_load_2addr_b64 v[100:103], v182 offset0:35 offset1:36
	s_wait_dscnt 0x1
	v_pk_mul_f32 v[90:91], v[86:87], v[144:145] op_sel:[1,1] op_sel_hi:[0,1]
	s_delay_alu instid0(VALU_DEP_1) | instskip(SKIP_1) | instid1(VALU_DEP_1)
	v_pk_fma_f32 v[88:89], v[86:87], v[144:145], v[90:91] op_sel_hi:[1,0,1] neg_lo:[0,0,1] neg_hi:[0,0,1]
	v_pk_fma_f32 v[90:91], v[86:87], v[144:145], v[90:91] op_sel_hi:[1,0,1]
	v_dual_mov_b32 v144, v88 :: v_dual_mov_b32 v145, v91
	s_wait_dscnt 0x0
	s_delay_alu instid0(VALU_DEP_2) | instskip(NEXT) | instid1(VALU_DEP_1)
	v_pk_mul_f32 v[104:105], v[100:101], v[90:91] op_sel:[0,1]
	v_pk_fma_f32 v[106:107], v[100:101], v[88:89], v[104:105] op_sel:[0,0,1] op_sel_hi:[1,1,0] neg_lo:[0,0,1] neg_hi:[0,0,1]
	v_pk_fma_f32 v[100:101], v[100:101], v[88:89], v[104:105] op_sel:[0,0,1] op_sel_hi:[1,0,0]
	s_delay_alu instid0(VALU_DEP_1) | instskip(SKIP_1) | instid1(VALU_DEP_1)
	v_mov_b32_e32 v107, v101
	v_pk_mul_f32 v[100:101], v[102:103], v[90:91] op_sel:[0,1]
	v_pk_fma_f32 v[104:105], v[102:103], v[88:89], v[100:101] op_sel:[0,0,1] op_sel_hi:[1,1,0] neg_lo:[0,0,1] neg_hi:[0,0,1]
	v_pk_fma_f32 v[100:101], v[102:103], v[88:89], v[100:101] op_sel:[0,0,1] op_sel_hi:[1,0,0]
	s_delay_alu instid0(VALU_DEP_1)
	v_mov_b32_e32 v105, v101
	ds_load_2addr_b64 v[100:103], v182 offset0:37 offset1:38
	v_pk_add_f32 v[140:141], v[140:141], v[106:107] neg_lo:[0,1] neg_hi:[0,1]
	v_pk_add_f32 v[162:163], v[162:163], v[104:105] neg_lo:[0,1] neg_hi:[0,1]
	s_wait_dscnt 0x0
	v_pk_mul_f32 v[104:105], v[100:101], v[90:91] op_sel:[0,1]
	s_delay_alu instid0(VALU_DEP_1) | instskip(SKIP_2) | instid1(VALU_DEP_2)
	v_pk_fma_f32 v[106:107], v[100:101], v[88:89], v[104:105] op_sel:[0,0,1] op_sel_hi:[1,1,0] neg_lo:[0,0,1] neg_hi:[0,0,1]
	v_pk_fma_f32 v[100:101], v[100:101], v[88:89], v[104:105] op_sel:[0,0,1] op_sel_hi:[1,0,0]
	v_dual_mul_f32 v104, v103, v91 :: v_dual_mov_b32 v100, v103
	v_dual_mov_b32 v107, v101 :: v_dual_mov_b32 v101, v102
	s_delay_alu instid0(VALU_DEP_2) | instskip(SKIP_1) | instid1(VALU_DEP_3)
	v_pk_fma_f32 v[104:105], v[102:103], v[144:145], v[104:105] op_sel_hi:[1,1,0] neg_lo:[0,0,1] neg_hi:[0,0,1]
	v_mul_f32_e32 v102, v103, v88
	v_pk_add_f32 v[158:159], v[158:159], v[106:107] neg_lo:[0,1] neg_hi:[0,1]
	s_delay_alu instid0(VALU_DEP_2) | instskip(NEXT) | instid1(VALU_DEP_1)
	v_pk_fma_f32 v[100:101], v[100:101], v[144:145], v[102:103] op_sel_hi:[1,1,0]
	v_mov_b32_e32 v105, v101
	ds_load_2addr_b64 v[100:103], v182 offset0:39 offset1:40
	v_pk_add_f32 v[160:161], v[160:161], v[104:105] neg_lo:[0,1] neg_hi:[0,1]
	s_wait_dscnt 0x0
	v_pk_mul_f32 v[104:105], v[100:101], v[90:91] op_sel:[0,1]
	s_delay_alu instid0(VALU_DEP_1) | instskip(SKIP_1) | instid1(VALU_DEP_1)
	v_pk_fma_f32 v[106:107], v[100:101], v[88:89], v[104:105] op_sel:[0,0,1] op_sel_hi:[1,1,0] neg_lo:[0,0,1] neg_hi:[0,0,1]
	v_pk_fma_f32 v[100:101], v[100:101], v[88:89], v[104:105] op_sel:[0,0,1] op_sel_hi:[1,0,0]
	v_mov_b32_e32 v107, v101
	v_pk_mul_f32 v[100:101], v[102:103], v[90:91] op_sel:[0,1]
	s_delay_alu instid0(VALU_DEP_1) | instskip(SKIP_1) | instid1(VALU_DEP_1)
	v_pk_fma_f32 v[104:105], v[102:103], v[88:89], v[100:101] op_sel:[0,0,1] op_sel_hi:[1,1,0] neg_lo:[0,0,1] neg_hi:[0,0,1]
	v_pk_fma_f32 v[100:101], v[102:103], v[88:89], v[100:101] op_sel:[0,0,1] op_sel_hi:[1,0,0]
	v_mov_b32_e32 v105, v101
	ds_load_2addr_b64 v[100:103], v182 offset0:41 offset1:42
	v_pk_add_f32 v[156:157], v[156:157], v[106:107] neg_lo:[0,1] neg_hi:[0,1]
	v_pk_add_f32 v[178:179], v[178:179], v[104:105] neg_lo:[0,1] neg_hi:[0,1]
	s_wait_dscnt 0x0
	v_pk_mul_f32 v[104:105], v[100:101], v[90:91] op_sel:[0,1]
	s_delay_alu instid0(VALU_DEP_1) | instskip(SKIP_1) | instid1(VALU_DEP_1)
	v_pk_fma_f32 v[106:107], v[100:101], v[88:89], v[104:105] op_sel:[0,0,1] op_sel_hi:[1,1,0] neg_lo:[0,0,1] neg_hi:[0,0,1]
	v_pk_fma_f32 v[100:101], v[100:101], v[88:89], v[104:105] op_sel:[0,0,1] op_sel_hi:[1,0,0]
	v_mov_b32_e32 v107, v101
	v_pk_mul_f32 v[100:101], v[102:103], v[90:91] op_sel:[0,1]
	s_delay_alu instid0(VALU_DEP_1) | instskip(SKIP_1) | instid1(VALU_DEP_1)
	v_pk_fma_f32 v[104:105], v[102:103], v[88:89], v[100:101] op_sel:[0,0,1] op_sel_hi:[1,1,0] neg_lo:[0,0,1] neg_hi:[0,0,1]
	v_pk_fma_f32 v[100:101], v[102:103], v[88:89], v[100:101] op_sel:[0,0,1] op_sel_hi:[1,0,0]
	v_mov_b32_e32 v105, v101
	ds_load_2addr_b64 v[100:103], v182 offset0:43 offset1:44
	v_pk_add_f32 v[174:175], v[174:175], v[106:107] neg_lo:[0,1] neg_hi:[0,1]
	v_pk_add_f32 v[176:177], v[176:177], v[104:105] neg_lo:[0,1] neg_hi:[0,1]
	s_wait_dscnt 0x0
	v_dual_mul_f32 v104, v101, v91 :: v_dual_mul_f32 v106, v101, v88
	s_delay_alu instid0(VALU_DEP_1) | instskip(NEXT) | instid1(VALU_DEP_2)
	v_pk_fma_f32 v[104:105], v[100:101], v[144:145], v[104:105] op_sel_hi:[1,1,0] neg_lo:[0,0,1] neg_hi:[0,0,1]
	v_pk_fma_f32 v[100:101], v[100:101], v[144:145], v[106:107] op_sel:[1,0,0] op_sel_hi:[0,1,0]
	s_delay_alu instid0(VALU_DEP_1) | instskip(SKIP_1) | instid1(VALU_DEP_2)
	v_mov_b32_e32 v105, v101
	v_pk_mul_f32 v[100:101], v[102:103], v[90:91] op_sel:[0,1]
	v_pk_add_f32 v[172:173], v[172:173], v[104:105] neg_lo:[0,1] neg_hi:[0,1]
	s_delay_alu instid0(VALU_DEP_2) | instskip(SKIP_1) | instid1(VALU_DEP_1)
	v_pk_fma_f32 v[104:105], v[102:103], v[88:89], v[100:101] op_sel:[0,0,1] op_sel_hi:[1,1,0] neg_lo:[0,0,1] neg_hi:[0,0,1]
	v_pk_fma_f32 v[100:101], v[102:103], v[88:89], v[100:101] op_sel:[0,0,1] op_sel_hi:[1,0,0]
	v_mov_b32_e32 v105, v101
	ds_load_2addr_b64 v[100:103], v182 offset0:45 offset1:46
	v_pk_add_f32 v[200:201], v[200:201], v[104:105] neg_lo:[0,1] neg_hi:[0,1]
	s_wait_dscnt 0x0
	v_pk_mul_f32 v[104:105], v[100:101], v[90:91] op_sel:[0,1]
	s_delay_alu instid0(VALU_DEP_1) | instskip(SKIP_1) | instid1(VALU_DEP_1)
	v_pk_fma_f32 v[106:107], v[100:101], v[88:89], v[104:105] op_sel:[0,0,1] op_sel_hi:[1,1,0] neg_lo:[0,0,1] neg_hi:[0,0,1]
	v_pk_fma_f32 v[100:101], v[100:101], v[88:89], v[104:105] op_sel:[0,0,1] op_sel_hi:[1,0,0]
	v_mov_b32_e32 v107, v101
	v_pk_mul_f32 v[100:101], v[102:103], v[90:91] op_sel:[0,1]
	s_delay_alu instid0(VALU_DEP_2) | instskip(NEXT) | instid1(VALU_DEP_2)
	v_pk_add_f32 v[196:197], v[196:197], v[106:107] neg_lo:[0,1] neg_hi:[0,1]
	v_pk_fma_f32 v[104:105], v[102:103], v[88:89], v[100:101] op_sel:[0,0,1] op_sel_hi:[1,1,0] neg_lo:[0,0,1] neg_hi:[0,0,1]
	v_pk_fma_f32 v[100:101], v[102:103], v[88:89], v[100:101] op_sel:[0,0,1] op_sel_hi:[1,0,0]
	s_delay_alu instid0(VALU_DEP_1) | instskip(SKIP_4) | instid1(VALU_DEP_1)
	v_mov_b32_e32 v105, v101
	ds_load_2addr_b64 v[100:103], v182 offset0:47 offset1:48
	v_pk_add_f32 v[198:199], v[198:199], v[104:105] neg_lo:[0,1] neg_hi:[0,1]
	s_wait_dscnt 0x0
	v_pk_mul_f32 v[104:105], v[100:101], v[90:91] op_sel:[0,1]
	v_pk_fma_f32 v[106:107], v[100:101], v[88:89], v[104:105] op_sel:[0,0,1] op_sel_hi:[1,1,0] neg_lo:[0,0,1] neg_hi:[0,0,1]
	v_pk_fma_f32 v[100:101], v[100:101], v[88:89], v[104:105] op_sel:[0,0,1] op_sel_hi:[1,0,0]
	v_dual_mul_f32 v104, v103, v91 :: v_dual_mov_b32 v100, v103
	s_delay_alu instid0(VALU_DEP_2) | instskip(NEXT) | instid1(VALU_DEP_2)
	v_dual_mov_b32 v107, v101 :: v_dual_mov_b32 v101, v102
	v_pk_fma_f32 v[104:105], v[102:103], v[144:145], v[104:105] op_sel_hi:[1,1,0] neg_lo:[0,0,1] neg_hi:[0,0,1]
	v_mul_f32_e32 v102, v103, v88
	s_delay_alu instid0(VALU_DEP_3) | instskip(NEXT) | instid1(VALU_DEP_2)
	v_pk_add_f32 v[194:195], v[194:195], v[106:107] neg_lo:[0,1] neg_hi:[0,1]
	v_pk_fma_f32 v[100:101], v[100:101], v[144:145], v[102:103] op_sel_hi:[1,1,0]
	s_delay_alu instid0(VALU_DEP_1) | instskip(SKIP_4) | instid1(VALU_DEP_1)
	v_mov_b32_e32 v105, v101
	ds_load_2addr_b64 v[100:103], v182 offset0:49 offset1:50
	v_pk_add_f32 v[224:225], v[224:225], v[104:105] neg_lo:[0,1] neg_hi:[0,1]
	s_wait_dscnt 0x0
	v_pk_mul_f32 v[104:105], v[100:101], v[90:91] op_sel:[0,1]
	v_pk_fma_f32 v[106:107], v[100:101], v[88:89], v[104:105] op_sel:[0,0,1] op_sel_hi:[1,1,0] neg_lo:[0,0,1] neg_hi:[0,0,1]
	v_pk_fma_f32 v[100:101], v[100:101], v[88:89], v[104:105] op_sel:[0,0,1] op_sel_hi:[1,0,0]
	s_delay_alu instid0(VALU_DEP_1) | instskip(SKIP_1) | instid1(VALU_DEP_1)
	v_mov_b32_e32 v107, v101
	v_pk_mul_f32 v[100:101], v[102:103], v[90:91] op_sel:[0,1]
	v_pk_fma_f32 v[104:105], v[102:103], v[88:89], v[100:101] op_sel:[0,0,1] op_sel_hi:[1,1,0] neg_lo:[0,0,1] neg_hi:[0,0,1]
	v_pk_fma_f32 v[100:101], v[102:103], v[88:89], v[100:101] op_sel:[0,0,1] op_sel_hi:[1,0,0]
	s_delay_alu instid0(VALU_DEP_1)
	v_mov_b32_e32 v105, v101
	ds_load_2addr_b64 v[100:103], v182 offset0:51 offset1:52
	v_pk_add_f32 v[216:217], v[216:217], v[106:107] neg_lo:[0,1] neg_hi:[0,1]
	v_pk_add_f32 v[222:223], v[222:223], v[104:105] neg_lo:[0,1] neg_hi:[0,1]
	s_wait_dscnt 0x0
	v_pk_mul_f32 v[104:105], v[100:101], v[90:91] op_sel:[0,1]
	s_delay_alu instid0(VALU_DEP_1) | instskip(SKIP_1) | instid1(VALU_DEP_1)
	v_pk_fma_f32 v[106:107], v[100:101], v[88:89], v[104:105] op_sel:[0,0,1] op_sel_hi:[1,1,0] neg_lo:[0,0,1] neg_hi:[0,0,1]
	v_pk_fma_f32 v[100:101], v[100:101], v[88:89], v[104:105] op_sel:[0,0,1] op_sel_hi:[1,0,0]
	v_mov_b32_e32 v107, v101
	v_pk_mul_f32 v[100:101], v[102:103], v[90:91] op_sel:[0,1]
	s_delay_alu instid0(VALU_DEP_1) | instskip(SKIP_1) | instid1(VALU_DEP_1)
	v_pk_fma_f32 v[104:105], v[102:103], v[88:89], v[100:101] op_sel:[0,0,1] op_sel_hi:[1,1,0] neg_lo:[0,0,1] neg_hi:[0,0,1]
	v_pk_fma_f32 v[100:101], v[102:103], v[88:89], v[100:101] op_sel:[0,0,1] op_sel_hi:[1,0,0]
	v_mov_b32_e32 v105, v101
	ds_load_2addr_b64 v[100:103], v182 offset0:53 offset1:54
	v_pk_add_f32 v[214:215], v[214:215], v[106:107] neg_lo:[0,1] neg_hi:[0,1]
	v_pk_add_f32 v[220:221], v[220:221], v[104:105] neg_lo:[0,1] neg_hi:[0,1]
	s_wait_dscnt 0x0
	v_dual_mul_f32 v104, v101, v91 :: v_dual_mul_f32 v106, v101, v88
	s_delay_alu instid0(VALU_DEP_1) | instskip(NEXT) | instid1(VALU_DEP_2)
	v_pk_fma_f32 v[104:105], v[100:101], v[144:145], v[104:105] op_sel_hi:[1,1,0] neg_lo:[0,0,1] neg_hi:[0,0,1]
	v_pk_fma_f32 v[100:101], v[100:101], v[144:145], v[106:107] op_sel:[1,0,0] op_sel_hi:[0,1,0]
	s_delay_alu instid0(VALU_DEP_1) | instskip(SKIP_1) | instid1(VALU_DEP_2)
	v_mov_b32_e32 v105, v101
	v_pk_mul_f32 v[100:101], v[102:103], v[90:91] op_sel:[0,1]
	v_pk_add_f32 v[212:213], v[212:213], v[104:105] neg_lo:[0,1] neg_hi:[0,1]
	s_delay_alu instid0(VALU_DEP_2) | instskip(SKIP_1) | instid1(VALU_DEP_1)
	v_pk_fma_f32 v[104:105], v[102:103], v[88:89], v[100:101] op_sel:[0,0,1] op_sel_hi:[1,1,0] neg_lo:[0,0,1] neg_hi:[0,0,1]
	v_pk_fma_f32 v[100:101], v[102:103], v[88:89], v[100:101] op_sel:[0,0,1] op_sel_hi:[1,0,0]
	v_mov_b32_e32 v105, v101
	ds_load_2addr_b64 v[100:103], v182 offset0:55 offset1:56
	v_pk_add_f32 v[218:219], v[218:219], v[104:105] neg_lo:[0,1] neg_hi:[0,1]
	s_wait_dscnt 0x0
	v_pk_mul_f32 v[104:105], v[100:101], v[90:91] op_sel:[0,1]
	v_pk_mul_f32 v[90:91], v[102:103], v[90:91] op_sel:[0,1]
	s_delay_alu instid0(VALU_DEP_2) | instskip(SKIP_1) | instid1(VALU_DEP_1)
	v_pk_fma_f32 v[106:107], v[100:101], v[88:89], v[104:105] op_sel:[0,0,1] op_sel_hi:[1,1,0] neg_lo:[0,0,1] neg_hi:[0,0,1]
	v_pk_fma_f32 v[100:101], v[100:101], v[88:89], v[104:105] op_sel:[0,0,1] op_sel_hi:[1,0,0]
	v_mov_b32_e32 v107, v101
	s_delay_alu instid0(VALU_DEP_4) | instskip(SKIP_1) | instid1(VALU_DEP_3)
	v_pk_fma_f32 v[100:101], v[102:103], v[88:89], v[90:91] op_sel:[0,0,1] op_sel_hi:[1,1,0] neg_lo:[0,0,1] neg_hi:[0,0,1]
	v_pk_fma_f32 v[88:89], v[102:103], v[88:89], v[90:91] op_sel:[0,0,1] op_sel_hi:[1,0,0]
	v_pk_add_f32 v[226:227], v[226:227], v[106:107] neg_lo:[0,1] neg_hi:[0,1]
	s_delay_alu instid0(VALU_DEP_2) | instskip(NEXT) | instid1(VALU_DEP_1)
	v_mov_b32_e32 v101, v89
	v_pk_add_f32 v[228:229], v[228:229], v[100:101] neg_lo:[0,1] neg_hi:[0,1]
.LBB113_316:
	s_or_b32 exec_lo, exec_lo, s1
	s_delay_alu instid0(SALU_CYCLE_1)
	s_mov_b32 s2, exec_lo
	s_wait_dscnt 0x0
	s_barrier_signal -1
	s_barrier_wait -1
	v_cmpx_eq_u32_e32 35, v180
	s_cbranch_execz .LBB113_323
; %bb.317:
	v_dual_mov_b32 v88, v162 :: v_dual_mov_b32 v89, v163
	v_dual_mov_b32 v90, v158 :: v_dual_mov_b32 v91, v159
	ds_store_b64 v181, v[140:141]
	ds_store_2addr_b64 v182, v[88:89], v[90:91] offset0:36 offset1:37
	v_dual_mov_b32 v88, v160 :: v_dual_mov_b32 v89, v161
	v_dual_mov_b32 v90, v156 :: v_dual_mov_b32 v91, v157
	ds_store_2addr_b64 v182, v[88:89], v[90:91] offset0:38 offset1:39
	v_dual_mov_b32 v88, v178 :: v_dual_mov_b32 v89, v179
	v_dual_mov_b32 v90, v174 :: v_dual_mov_b32 v91, v175
	;; [unrolled: 3-line block ×9, first 2 shown]
	ds_store_2addr_b64 v182, v[88:89], v[90:91] offset0:54 offset1:55
	ds_store_b64 v182, v[228:229] offset:448
	ds_load_b64 v[88:89], v181
	s_wait_dscnt 0x0
	v_cmp_neq_f32_e32 vcc_lo, 0, v88
	v_cmp_neq_f32_e64 s1, 0, v89
	s_or_b32 s1, vcc_lo, s1
	s_delay_alu instid0(SALU_CYCLE_1)
	s_and_b32 exec_lo, exec_lo, s1
	s_cbranch_execz .LBB113_323
; %bb.318:
	v_cmp_ngt_f32_e64 s1, |v88|, |v89|
                                        ; implicit-def: $vgpr90_vgpr91
	s_and_saveexec_b32 s4, s1
	s_delay_alu instid0(SALU_CYCLE_1)
	s_xor_b32 s1, exec_lo, s4
	s_cbranch_execz .LBB113_320
; %bb.319:
	v_div_scale_f32 v90, null, v89, v89, v88
	v_div_scale_f32 v101, vcc_lo, v88, v89, v88
	s_delay_alu instid0(VALU_DEP_2) | instskip(SKIP_1) | instid1(TRANS32_DEP_1)
	v_rcp_f32_e32 v91, v90
	v_nop
	v_fma_f32 v100, -v90, v91, 1.0
	s_delay_alu instid0(VALU_DEP_1) | instskip(NEXT) | instid1(VALU_DEP_1)
	v_fmac_f32_e32 v91, v100, v91
	v_mul_f32_e32 v100, v101, v91
	s_delay_alu instid0(VALU_DEP_1) | instskip(NEXT) | instid1(VALU_DEP_1)
	v_fma_f32 v102, -v90, v100, v101
	v_fmac_f32_e32 v100, v102, v91
	s_delay_alu instid0(VALU_DEP_1) | instskip(NEXT) | instid1(VALU_DEP_1)
	v_fma_f32 v90, -v90, v100, v101
	v_div_fmas_f32 v90, v90, v91, v100
	s_delay_alu instid0(VALU_DEP_1) | instskip(NEXT) | instid1(VALU_DEP_1)
	v_div_fixup_f32 v90, v90, v89, v88
	v_fmac_f32_e32 v89, v88, v90
	s_delay_alu instid0(VALU_DEP_1) | instskip(SKIP_1) | instid1(VALU_DEP_2)
	v_div_scale_f32 v88, null, v89, v89, 1.0
	v_div_scale_f32 v101, vcc_lo, 1.0, v89, 1.0
	v_rcp_f32_e32 v91, v88
	v_nop
	s_delay_alu instid0(TRANS32_DEP_1) | instskip(NEXT) | instid1(VALU_DEP_1)
	v_fma_f32 v100, -v88, v91, 1.0
	v_fmac_f32_e32 v91, v100, v91
	s_delay_alu instid0(VALU_DEP_1) | instskip(NEXT) | instid1(VALU_DEP_1)
	v_mul_f32_e32 v100, v101, v91
	v_fma_f32 v102, -v88, v100, v101
	s_delay_alu instid0(VALU_DEP_1) | instskip(NEXT) | instid1(VALU_DEP_1)
	v_fmac_f32_e32 v100, v102, v91
	v_fma_f32 v88, -v88, v100, v101
	s_delay_alu instid0(VALU_DEP_1) | instskip(NEXT) | instid1(VALU_DEP_1)
	v_div_fmas_f32 v88, v88, v91, v100
	v_div_fixup_f32 v88, v88, v89, 1.0
	s_delay_alu instid0(VALU_DEP_1)
	v_mul_f32_e32 v90, v90, v88
	v_xor_b32_e32 v91, 0x80000000, v88
                                        ; implicit-def: $vgpr88_vgpr89
.LBB113_320:
	s_and_not1_saveexec_b32 s1, s1
	s_cbranch_execz .LBB113_322
; %bb.321:
	v_div_scale_f32 v90, null, v88, v88, v89
	v_div_scale_f32 v101, vcc_lo, v89, v88, v89
	s_delay_alu instid0(VALU_DEP_2) | instskip(SKIP_1) | instid1(TRANS32_DEP_1)
	v_rcp_f32_e32 v91, v90
	v_nop
	v_fma_f32 v100, -v90, v91, 1.0
	s_delay_alu instid0(VALU_DEP_1) | instskip(NEXT) | instid1(VALU_DEP_1)
	v_fmac_f32_e32 v91, v100, v91
	v_mul_f32_e32 v100, v101, v91
	s_delay_alu instid0(VALU_DEP_1) | instskip(NEXT) | instid1(VALU_DEP_1)
	v_fma_f32 v102, -v90, v100, v101
	v_fmac_f32_e32 v100, v102, v91
	s_delay_alu instid0(VALU_DEP_1) | instskip(NEXT) | instid1(VALU_DEP_1)
	v_fma_f32 v90, -v90, v100, v101
	v_div_fmas_f32 v90, v90, v91, v100
	s_delay_alu instid0(VALU_DEP_1) | instskip(NEXT) | instid1(VALU_DEP_1)
	v_div_fixup_f32 v91, v90, v88, v89
	v_fmac_f32_e32 v88, v89, v91
	s_delay_alu instid0(VALU_DEP_1) | instskip(NEXT) | instid1(VALU_DEP_1)
	v_div_scale_f32 v89, null, v88, v88, 1.0
	v_rcp_f32_e32 v90, v89
	v_nop
	s_delay_alu instid0(TRANS32_DEP_1) | instskip(NEXT) | instid1(VALU_DEP_1)
	v_fma_f32 v100, -v89, v90, 1.0
	v_fmac_f32_e32 v90, v100, v90
	v_div_scale_f32 v100, vcc_lo, 1.0, v88, 1.0
	s_delay_alu instid0(VALU_DEP_1) | instskip(NEXT) | instid1(VALU_DEP_1)
	v_mul_f32_e32 v101, v100, v90
	v_fma_f32 v102, -v89, v101, v100
	s_delay_alu instid0(VALU_DEP_1) | instskip(NEXT) | instid1(VALU_DEP_1)
	v_fmac_f32_e32 v101, v102, v90
	v_fma_f32 v89, -v89, v101, v100
	s_delay_alu instid0(VALU_DEP_1) | instskip(NEXT) | instid1(VALU_DEP_1)
	v_div_fmas_f32 v89, v89, v90, v101
	v_div_fixup_f32 v90, v89, v88, 1.0
	s_delay_alu instid0(VALU_DEP_1)
	v_mul_f32_e64 v91, v91, -v90
.LBB113_322:
	s_or_b32 exec_lo, exec_lo, s1
	ds_store_b64 v181, v[90:91]
.LBB113_323:
	s_or_b32 exec_lo, exec_lo, s2
	s_wait_dscnt 0x0
	s_barrier_signal -1
	s_barrier_wait -1
	ds_load_b64 v[88:89], v181
	s_mov_b32 s1, exec_lo
	v_cmpx_lt_u32_e32 35, v180
	s_cbranch_execz .LBB113_325
; %bb.324:
	ds_load_2addr_b64 v[102:105], v182 offset0:36 offset1:37
	s_wait_dscnt 0x1
	v_pk_mul_f32 v[100:101], v[88:89], v[140:141] op_sel:[1,1] op_sel_hi:[0,1]
	s_delay_alu instid0(VALU_DEP_1) | instskip(SKIP_1) | instid1(VALU_DEP_1)
	v_pk_fma_f32 v[90:91], v[88:89], v[140:141], v[100:101] op_sel_hi:[1,0,1] neg_lo:[0,0,1] neg_hi:[0,0,1]
	v_pk_fma_f32 v[100:101], v[88:89], v[140:141], v[100:101] op_sel_hi:[1,0,1]
	v_dual_mov_b32 v140, v90 :: v_dual_mov_b32 v141, v101
	s_wait_dscnt 0x0
	s_delay_alu instid0(VALU_DEP_2) | instskip(NEXT) | instid1(VALU_DEP_1)
	v_pk_mul_f32 v[106:107], v[102:103], v[100:101] op_sel:[0,1]
	v_pk_fma_f32 v[116:117], v[102:103], v[90:91], v[106:107] op_sel:[0,0,1] op_sel_hi:[1,1,0] neg_lo:[0,0,1] neg_hi:[0,0,1]
	v_pk_fma_f32 v[102:103], v[102:103], v[90:91], v[106:107] op_sel:[0,0,1] op_sel_hi:[1,0,0]
	s_delay_alu instid0(VALU_DEP_1) | instskip(SKIP_1) | instid1(VALU_DEP_1)
	v_mov_b32_e32 v117, v103
	v_pk_mul_f32 v[102:103], v[104:105], v[100:101] op_sel:[0,1]
	v_pk_fma_f32 v[106:107], v[104:105], v[90:91], v[102:103] op_sel:[0,0,1] op_sel_hi:[1,1,0] neg_lo:[0,0,1] neg_hi:[0,0,1]
	v_pk_fma_f32 v[102:103], v[104:105], v[90:91], v[102:103] op_sel:[0,0,1] op_sel_hi:[1,0,0]
	s_delay_alu instid0(VALU_DEP_1)
	v_mov_b32_e32 v107, v103
	ds_load_2addr_b64 v[102:105], v182 offset0:38 offset1:39
	v_pk_add_f32 v[162:163], v[162:163], v[116:117] neg_lo:[0,1] neg_hi:[0,1]
	v_pk_add_f32 v[158:159], v[158:159], v[106:107] neg_lo:[0,1] neg_hi:[0,1]
	s_wait_dscnt 0x0
	v_pk_mul_f32 v[106:107], v[102:103], v[100:101] op_sel:[0,1]
	s_delay_alu instid0(VALU_DEP_1) | instskip(SKIP_2) | instid1(VALU_DEP_2)
	v_pk_fma_f32 v[116:117], v[102:103], v[90:91], v[106:107] op_sel:[0,0,1] op_sel_hi:[1,1,0] neg_lo:[0,0,1] neg_hi:[0,0,1]
	v_pk_fma_f32 v[102:103], v[102:103], v[90:91], v[106:107] op_sel:[0,0,1] op_sel_hi:[1,0,0]
	v_dual_mul_f32 v106, v105, v101 :: v_dual_mov_b32 v102, v105
	v_dual_mov_b32 v117, v103 :: v_dual_mov_b32 v103, v104
	s_delay_alu instid0(VALU_DEP_2) | instskip(SKIP_1) | instid1(VALU_DEP_3)
	v_pk_fma_f32 v[106:107], v[104:105], v[140:141], v[106:107] op_sel_hi:[1,1,0] neg_lo:[0,0,1] neg_hi:[0,0,1]
	v_mul_f32_e32 v104, v105, v90
	v_pk_add_f32 v[160:161], v[160:161], v[116:117] neg_lo:[0,1] neg_hi:[0,1]
	s_delay_alu instid0(VALU_DEP_2) | instskip(NEXT) | instid1(VALU_DEP_1)
	v_pk_fma_f32 v[102:103], v[102:103], v[140:141], v[104:105] op_sel_hi:[1,1,0]
	v_mov_b32_e32 v107, v103
	ds_load_2addr_b64 v[102:105], v182 offset0:40 offset1:41
	v_pk_add_f32 v[156:157], v[156:157], v[106:107] neg_lo:[0,1] neg_hi:[0,1]
	s_wait_dscnt 0x0
	v_pk_mul_f32 v[106:107], v[102:103], v[100:101] op_sel:[0,1]
	s_delay_alu instid0(VALU_DEP_1) | instskip(SKIP_1) | instid1(VALU_DEP_1)
	v_pk_fma_f32 v[116:117], v[102:103], v[90:91], v[106:107] op_sel:[0,0,1] op_sel_hi:[1,1,0] neg_lo:[0,0,1] neg_hi:[0,0,1]
	v_pk_fma_f32 v[102:103], v[102:103], v[90:91], v[106:107] op_sel:[0,0,1] op_sel_hi:[1,0,0]
	v_mov_b32_e32 v117, v103
	v_pk_mul_f32 v[102:103], v[104:105], v[100:101] op_sel:[0,1]
	s_delay_alu instid0(VALU_DEP_1) | instskip(SKIP_1) | instid1(VALU_DEP_1)
	v_pk_fma_f32 v[106:107], v[104:105], v[90:91], v[102:103] op_sel:[0,0,1] op_sel_hi:[1,1,0] neg_lo:[0,0,1] neg_hi:[0,0,1]
	v_pk_fma_f32 v[102:103], v[104:105], v[90:91], v[102:103] op_sel:[0,0,1] op_sel_hi:[1,0,0]
	v_mov_b32_e32 v107, v103
	ds_load_2addr_b64 v[102:105], v182 offset0:42 offset1:43
	v_pk_add_f32 v[178:179], v[178:179], v[116:117] neg_lo:[0,1] neg_hi:[0,1]
	v_pk_add_f32 v[174:175], v[174:175], v[106:107] neg_lo:[0,1] neg_hi:[0,1]
	s_wait_dscnt 0x0
	v_pk_mul_f32 v[106:107], v[102:103], v[100:101] op_sel:[0,1]
	s_delay_alu instid0(VALU_DEP_1) | instskip(SKIP_1) | instid1(VALU_DEP_1)
	v_pk_fma_f32 v[116:117], v[102:103], v[90:91], v[106:107] op_sel:[0,0,1] op_sel_hi:[1,1,0] neg_lo:[0,0,1] neg_hi:[0,0,1]
	v_pk_fma_f32 v[102:103], v[102:103], v[90:91], v[106:107] op_sel:[0,0,1] op_sel_hi:[1,0,0]
	v_mov_b32_e32 v117, v103
	v_pk_mul_f32 v[102:103], v[104:105], v[100:101] op_sel:[0,1]
	s_delay_alu instid0(VALU_DEP_1) | instskip(SKIP_1) | instid1(VALU_DEP_1)
	v_pk_fma_f32 v[106:107], v[104:105], v[90:91], v[102:103] op_sel:[0,0,1] op_sel_hi:[1,1,0] neg_lo:[0,0,1] neg_hi:[0,0,1]
	v_pk_fma_f32 v[102:103], v[104:105], v[90:91], v[102:103] op_sel:[0,0,1] op_sel_hi:[1,0,0]
	v_mov_b32_e32 v107, v103
	ds_load_2addr_b64 v[102:105], v182 offset0:44 offset1:45
	v_pk_add_f32 v[176:177], v[176:177], v[116:117] neg_lo:[0,1] neg_hi:[0,1]
	v_pk_add_f32 v[172:173], v[172:173], v[106:107] neg_lo:[0,1] neg_hi:[0,1]
	s_wait_dscnt 0x0
	v_dual_mul_f32 v106, v103, v101 :: v_dual_mul_f32 v116, v103, v90
	s_delay_alu instid0(VALU_DEP_1) | instskip(NEXT) | instid1(VALU_DEP_2)
	v_pk_fma_f32 v[106:107], v[102:103], v[140:141], v[106:107] op_sel_hi:[1,1,0] neg_lo:[0,0,1] neg_hi:[0,0,1]
	v_pk_fma_f32 v[102:103], v[102:103], v[140:141], v[116:117] op_sel:[1,0,0] op_sel_hi:[0,1,0]
	s_delay_alu instid0(VALU_DEP_1) | instskip(SKIP_1) | instid1(VALU_DEP_2)
	v_mov_b32_e32 v107, v103
	v_pk_mul_f32 v[102:103], v[104:105], v[100:101] op_sel:[0,1]
	v_pk_add_f32 v[200:201], v[200:201], v[106:107] neg_lo:[0,1] neg_hi:[0,1]
	s_delay_alu instid0(VALU_DEP_2) | instskip(SKIP_1) | instid1(VALU_DEP_1)
	v_pk_fma_f32 v[106:107], v[104:105], v[90:91], v[102:103] op_sel:[0,0,1] op_sel_hi:[1,1,0] neg_lo:[0,0,1] neg_hi:[0,0,1]
	v_pk_fma_f32 v[102:103], v[104:105], v[90:91], v[102:103] op_sel:[0,0,1] op_sel_hi:[1,0,0]
	v_mov_b32_e32 v107, v103
	ds_load_2addr_b64 v[102:105], v182 offset0:46 offset1:47
	v_pk_add_f32 v[196:197], v[196:197], v[106:107] neg_lo:[0,1] neg_hi:[0,1]
	s_wait_dscnt 0x0
	v_pk_mul_f32 v[106:107], v[102:103], v[100:101] op_sel:[0,1]
	s_delay_alu instid0(VALU_DEP_1) | instskip(SKIP_1) | instid1(VALU_DEP_1)
	v_pk_fma_f32 v[116:117], v[102:103], v[90:91], v[106:107] op_sel:[0,0,1] op_sel_hi:[1,1,0] neg_lo:[0,0,1] neg_hi:[0,0,1]
	v_pk_fma_f32 v[102:103], v[102:103], v[90:91], v[106:107] op_sel:[0,0,1] op_sel_hi:[1,0,0]
	v_mov_b32_e32 v117, v103
	v_pk_mul_f32 v[102:103], v[104:105], v[100:101] op_sel:[0,1]
	s_delay_alu instid0(VALU_DEP_2) | instskip(NEXT) | instid1(VALU_DEP_2)
	v_pk_add_f32 v[198:199], v[198:199], v[116:117] neg_lo:[0,1] neg_hi:[0,1]
	v_pk_fma_f32 v[106:107], v[104:105], v[90:91], v[102:103] op_sel:[0,0,1] op_sel_hi:[1,1,0] neg_lo:[0,0,1] neg_hi:[0,0,1]
	v_pk_fma_f32 v[102:103], v[104:105], v[90:91], v[102:103] op_sel:[0,0,1] op_sel_hi:[1,0,0]
	s_delay_alu instid0(VALU_DEP_1) | instskip(SKIP_4) | instid1(VALU_DEP_1)
	v_mov_b32_e32 v107, v103
	ds_load_2addr_b64 v[102:105], v182 offset0:48 offset1:49
	v_pk_add_f32 v[194:195], v[194:195], v[106:107] neg_lo:[0,1] neg_hi:[0,1]
	s_wait_dscnt 0x0
	v_pk_mul_f32 v[106:107], v[102:103], v[100:101] op_sel:[0,1]
	v_pk_fma_f32 v[116:117], v[102:103], v[90:91], v[106:107] op_sel:[0,0,1] op_sel_hi:[1,1,0] neg_lo:[0,0,1] neg_hi:[0,0,1]
	v_pk_fma_f32 v[102:103], v[102:103], v[90:91], v[106:107] op_sel:[0,0,1] op_sel_hi:[1,0,0]
	v_dual_mul_f32 v106, v105, v101 :: v_dual_mov_b32 v102, v105
	s_delay_alu instid0(VALU_DEP_2) | instskip(NEXT) | instid1(VALU_DEP_2)
	v_dual_mov_b32 v117, v103 :: v_dual_mov_b32 v103, v104
	v_pk_fma_f32 v[106:107], v[104:105], v[140:141], v[106:107] op_sel_hi:[1,1,0] neg_lo:[0,0,1] neg_hi:[0,0,1]
	v_mul_f32_e32 v104, v105, v90
	s_delay_alu instid0(VALU_DEP_3) | instskip(NEXT) | instid1(VALU_DEP_2)
	v_pk_add_f32 v[224:225], v[224:225], v[116:117] neg_lo:[0,1] neg_hi:[0,1]
	v_pk_fma_f32 v[102:103], v[102:103], v[140:141], v[104:105] op_sel_hi:[1,1,0]
	s_delay_alu instid0(VALU_DEP_1) | instskip(SKIP_4) | instid1(VALU_DEP_1)
	v_mov_b32_e32 v107, v103
	ds_load_2addr_b64 v[102:105], v182 offset0:50 offset1:51
	v_pk_add_f32 v[216:217], v[216:217], v[106:107] neg_lo:[0,1] neg_hi:[0,1]
	s_wait_dscnt 0x0
	v_pk_mul_f32 v[106:107], v[102:103], v[100:101] op_sel:[0,1]
	v_pk_fma_f32 v[116:117], v[102:103], v[90:91], v[106:107] op_sel:[0,0,1] op_sel_hi:[1,1,0] neg_lo:[0,0,1] neg_hi:[0,0,1]
	v_pk_fma_f32 v[102:103], v[102:103], v[90:91], v[106:107] op_sel:[0,0,1] op_sel_hi:[1,0,0]
	s_delay_alu instid0(VALU_DEP_1) | instskip(SKIP_1) | instid1(VALU_DEP_1)
	v_mov_b32_e32 v117, v103
	v_pk_mul_f32 v[102:103], v[104:105], v[100:101] op_sel:[0,1]
	v_pk_fma_f32 v[106:107], v[104:105], v[90:91], v[102:103] op_sel:[0,0,1] op_sel_hi:[1,1,0] neg_lo:[0,0,1] neg_hi:[0,0,1]
	v_pk_fma_f32 v[102:103], v[104:105], v[90:91], v[102:103] op_sel:[0,0,1] op_sel_hi:[1,0,0]
	s_delay_alu instid0(VALU_DEP_1)
	v_mov_b32_e32 v107, v103
	ds_load_2addr_b64 v[102:105], v182 offset0:52 offset1:53
	v_pk_add_f32 v[222:223], v[222:223], v[116:117] neg_lo:[0,1] neg_hi:[0,1]
	v_pk_add_f32 v[214:215], v[214:215], v[106:107] neg_lo:[0,1] neg_hi:[0,1]
	s_wait_dscnt 0x0
	v_pk_mul_f32 v[106:107], v[102:103], v[100:101] op_sel:[0,1]
	s_delay_alu instid0(VALU_DEP_1) | instskip(SKIP_1) | instid1(VALU_DEP_1)
	v_pk_fma_f32 v[116:117], v[102:103], v[90:91], v[106:107] op_sel:[0,0,1] op_sel_hi:[1,1,0] neg_lo:[0,0,1] neg_hi:[0,0,1]
	v_pk_fma_f32 v[102:103], v[102:103], v[90:91], v[106:107] op_sel:[0,0,1] op_sel_hi:[1,0,0]
	v_mov_b32_e32 v117, v103
	v_pk_mul_f32 v[102:103], v[104:105], v[100:101] op_sel:[0,1]
	s_delay_alu instid0(VALU_DEP_1) | instskip(SKIP_1) | instid1(VALU_DEP_1)
	v_pk_fma_f32 v[106:107], v[104:105], v[90:91], v[102:103] op_sel:[0,0,1] op_sel_hi:[1,1,0] neg_lo:[0,0,1] neg_hi:[0,0,1]
	v_pk_fma_f32 v[102:103], v[104:105], v[90:91], v[102:103] op_sel:[0,0,1] op_sel_hi:[1,0,0]
	v_mov_b32_e32 v107, v103
	ds_load_2addr_b64 v[102:105], v182 offset0:54 offset1:55
	v_pk_add_f32 v[220:221], v[220:221], v[116:117] neg_lo:[0,1] neg_hi:[0,1]
	v_pk_add_f32 v[212:213], v[212:213], v[106:107] neg_lo:[0,1] neg_hi:[0,1]
	s_wait_dscnt 0x0
	v_dual_mul_f32 v106, v103, v101 :: v_dual_mul_f32 v116, v103, v90
	s_delay_alu instid0(VALU_DEP_1) | instskip(NEXT) | instid1(VALU_DEP_2)
	v_pk_fma_f32 v[106:107], v[102:103], v[140:141], v[106:107] op_sel_hi:[1,1,0] neg_lo:[0,0,1] neg_hi:[0,0,1]
	v_pk_fma_f32 v[102:103], v[102:103], v[140:141], v[116:117] op_sel:[1,0,0] op_sel_hi:[0,1,0]
	s_delay_alu instid0(VALU_DEP_1) | instskip(SKIP_1) | instid1(VALU_DEP_2)
	v_mov_b32_e32 v107, v103
	v_pk_mul_f32 v[102:103], v[104:105], v[100:101] op_sel:[0,1]
	v_pk_add_f32 v[218:219], v[218:219], v[106:107] neg_lo:[0,1] neg_hi:[0,1]
	s_delay_alu instid0(VALU_DEP_2) | instskip(SKIP_1) | instid1(VALU_DEP_1)
	v_pk_fma_f32 v[106:107], v[104:105], v[90:91], v[102:103] op_sel:[0,0,1] op_sel_hi:[1,1,0] neg_lo:[0,0,1] neg_hi:[0,0,1]
	v_pk_fma_f32 v[102:103], v[104:105], v[90:91], v[102:103] op_sel:[0,0,1] op_sel_hi:[1,0,0]
	v_mov_b32_e32 v107, v103
	ds_load_b64 v[102:103], v182 offset:448
	v_pk_add_f32 v[226:227], v[226:227], v[106:107] neg_lo:[0,1] neg_hi:[0,1]
	s_wait_dscnt 0x0
	v_pk_mul_f32 v[100:101], v[102:103], v[100:101] op_sel:[0,1]
	s_delay_alu instid0(VALU_DEP_1) | instskip(SKIP_1) | instid1(VALU_DEP_1)
	v_pk_fma_f32 v[104:105], v[102:103], v[90:91], v[100:101] op_sel:[0,0,1] op_sel_hi:[1,1,0] neg_lo:[0,0,1] neg_hi:[0,0,1]
	v_pk_fma_f32 v[90:91], v[102:103], v[90:91], v[100:101] op_sel:[0,0,1] op_sel_hi:[1,0,0]
	v_mov_b32_e32 v105, v91
	s_delay_alu instid0(VALU_DEP_1)
	v_pk_add_f32 v[228:229], v[228:229], v[104:105] neg_lo:[0,1] neg_hi:[0,1]
.LBB113_325:
	s_or_b32 exec_lo, exec_lo, s1
	s_delay_alu instid0(SALU_CYCLE_1)
	s_mov_b32 s2, exec_lo
	s_wait_dscnt 0x0
	s_barrier_signal -1
	s_barrier_wait -1
	v_cmpx_eq_u32_e32 36, v180
	s_cbranch_execz .LBB113_332
; %bb.326:
	ds_store_b64 v181, v[162:163]
	ds_store_2addr_b64 v182, v[158:159], v[160:161] offset0:37 offset1:38
	ds_store_2addr_b64 v182, v[156:157], v[178:179] offset0:39 offset1:40
	;; [unrolled: 1-line block ×10, first 2 shown]
	ds_load_b64 v[90:91], v181
	s_wait_dscnt 0x0
	v_cmp_neq_f32_e32 vcc_lo, 0, v90
	v_cmp_neq_f32_e64 s1, 0, v91
	s_or_b32 s1, vcc_lo, s1
	s_delay_alu instid0(SALU_CYCLE_1)
	s_and_b32 exec_lo, exec_lo, s1
	s_cbranch_execz .LBB113_332
; %bb.327:
	v_cmp_ngt_f32_e64 s1, |v90|, |v91|
                                        ; implicit-def: $vgpr100_vgpr101
	s_and_saveexec_b32 s4, s1
	s_delay_alu instid0(SALU_CYCLE_1)
	s_xor_b32 s1, exec_lo, s4
	s_cbranch_execz .LBB113_329
; %bb.328:
	v_div_scale_f32 v100, null, v91, v91, v90
	v_div_scale_f32 v103, vcc_lo, v90, v91, v90
	s_delay_alu instid0(VALU_DEP_2) | instskip(SKIP_1) | instid1(TRANS32_DEP_1)
	v_rcp_f32_e32 v101, v100
	v_nop
	v_fma_f32 v102, -v100, v101, 1.0
	s_delay_alu instid0(VALU_DEP_1) | instskip(NEXT) | instid1(VALU_DEP_1)
	v_fmac_f32_e32 v101, v102, v101
	v_mul_f32_e32 v102, v103, v101
	s_delay_alu instid0(VALU_DEP_1) | instskip(NEXT) | instid1(VALU_DEP_1)
	v_fma_f32 v104, -v100, v102, v103
	v_fmac_f32_e32 v102, v104, v101
	s_delay_alu instid0(VALU_DEP_1) | instskip(NEXT) | instid1(VALU_DEP_1)
	v_fma_f32 v100, -v100, v102, v103
	v_div_fmas_f32 v100, v100, v101, v102
	s_delay_alu instid0(VALU_DEP_1) | instskip(NEXT) | instid1(VALU_DEP_1)
	v_div_fixup_f32 v100, v100, v91, v90
	v_fmac_f32_e32 v91, v90, v100
	s_delay_alu instid0(VALU_DEP_1) | instskip(SKIP_1) | instid1(VALU_DEP_2)
	v_div_scale_f32 v90, null, v91, v91, 1.0
	v_div_scale_f32 v103, vcc_lo, 1.0, v91, 1.0
	v_rcp_f32_e32 v101, v90
	v_nop
	s_delay_alu instid0(TRANS32_DEP_1) | instskip(NEXT) | instid1(VALU_DEP_1)
	v_fma_f32 v102, -v90, v101, 1.0
	v_fmac_f32_e32 v101, v102, v101
	s_delay_alu instid0(VALU_DEP_1) | instskip(NEXT) | instid1(VALU_DEP_1)
	v_mul_f32_e32 v102, v103, v101
	v_fma_f32 v104, -v90, v102, v103
	s_delay_alu instid0(VALU_DEP_1) | instskip(NEXT) | instid1(VALU_DEP_1)
	v_fmac_f32_e32 v102, v104, v101
	v_fma_f32 v90, -v90, v102, v103
	s_delay_alu instid0(VALU_DEP_1) | instskip(NEXT) | instid1(VALU_DEP_1)
	v_div_fmas_f32 v90, v90, v101, v102
	v_div_fixup_f32 v90, v90, v91, 1.0
	s_delay_alu instid0(VALU_DEP_1)
	v_mul_f32_e32 v100, v100, v90
	v_xor_b32_e32 v101, 0x80000000, v90
                                        ; implicit-def: $vgpr90_vgpr91
.LBB113_329:
	s_and_not1_saveexec_b32 s1, s1
	s_cbranch_execz .LBB113_331
; %bb.330:
	v_div_scale_f32 v100, null, v90, v90, v91
	v_div_scale_f32 v103, vcc_lo, v91, v90, v91
	s_delay_alu instid0(VALU_DEP_2) | instskip(SKIP_1) | instid1(TRANS32_DEP_1)
	v_rcp_f32_e32 v101, v100
	v_nop
	v_fma_f32 v102, -v100, v101, 1.0
	s_delay_alu instid0(VALU_DEP_1) | instskip(NEXT) | instid1(VALU_DEP_1)
	v_fmac_f32_e32 v101, v102, v101
	v_mul_f32_e32 v102, v103, v101
	s_delay_alu instid0(VALU_DEP_1) | instskip(NEXT) | instid1(VALU_DEP_1)
	v_fma_f32 v104, -v100, v102, v103
	v_fmac_f32_e32 v102, v104, v101
	s_delay_alu instid0(VALU_DEP_1) | instskip(NEXT) | instid1(VALU_DEP_1)
	v_fma_f32 v100, -v100, v102, v103
	v_div_fmas_f32 v100, v100, v101, v102
	s_delay_alu instid0(VALU_DEP_1) | instskip(NEXT) | instid1(VALU_DEP_1)
	v_div_fixup_f32 v101, v100, v90, v91
	v_fmac_f32_e32 v90, v91, v101
	s_delay_alu instid0(VALU_DEP_1) | instskip(NEXT) | instid1(VALU_DEP_1)
	v_div_scale_f32 v91, null, v90, v90, 1.0
	v_rcp_f32_e32 v100, v91
	v_nop
	s_delay_alu instid0(TRANS32_DEP_1) | instskip(NEXT) | instid1(VALU_DEP_1)
	v_fma_f32 v102, -v91, v100, 1.0
	v_fmac_f32_e32 v100, v102, v100
	v_div_scale_f32 v102, vcc_lo, 1.0, v90, 1.0
	s_delay_alu instid0(VALU_DEP_1) | instskip(NEXT) | instid1(VALU_DEP_1)
	v_mul_f32_e32 v103, v102, v100
	v_fma_f32 v104, -v91, v103, v102
	s_delay_alu instid0(VALU_DEP_1) | instskip(NEXT) | instid1(VALU_DEP_1)
	v_fmac_f32_e32 v103, v104, v100
	v_fma_f32 v91, -v91, v103, v102
	s_delay_alu instid0(VALU_DEP_1) | instskip(NEXT) | instid1(VALU_DEP_1)
	v_div_fmas_f32 v91, v91, v100, v103
	v_div_fixup_f32 v100, v91, v90, 1.0
	s_delay_alu instid0(VALU_DEP_1)
	v_mul_f32_e64 v101, v101, -v100
.LBB113_331:
	s_or_b32 exec_lo, exec_lo, s1
	ds_store_b64 v181, v[100:101]
.LBB113_332:
	s_or_b32 exec_lo, exec_lo, s2
	s_wait_dscnt 0x0
	s_barrier_signal -1
	s_barrier_wait -1
	ds_load_b64 v[90:91], v181
	s_mov_b32 s1, exec_lo
	v_cmpx_lt_u32_e32 36, v180
	s_cbranch_execz .LBB113_334
; %bb.333:
	ds_load_2addr_b64 v[104:107], v182 offset0:37 offset1:38
	s_wait_dscnt 0x1
	v_pk_mul_f32 v[102:103], v[90:91], v[162:163] op_sel:[1,1] op_sel_hi:[0,1]
	s_delay_alu instid0(VALU_DEP_1) | instskip(SKIP_1) | instid1(VALU_DEP_1)
	v_pk_fma_f32 v[100:101], v[90:91], v[162:163], v[102:103] op_sel_hi:[1,0,1] neg_lo:[0,0,1] neg_hi:[0,0,1]
	v_pk_fma_f32 v[102:103], v[90:91], v[162:163], v[102:103] op_sel_hi:[1,0,1]
	v_dual_mov_b32 v162, v100 :: v_dual_mov_b32 v163, v103
	s_wait_dscnt 0x0
	s_delay_alu instid0(VALU_DEP_2) | instskip(NEXT) | instid1(VALU_DEP_1)
	v_pk_mul_f32 v[116:117], v[104:105], v[102:103] op_sel:[0,1]
	v_pk_fma_f32 v[118:119], v[104:105], v[100:101], v[116:117] op_sel:[0,0,1] op_sel_hi:[1,1,0] neg_lo:[0,0,1] neg_hi:[0,0,1]
	v_pk_fma_f32 v[104:105], v[104:105], v[100:101], v[116:117] op_sel:[0,0,1] op_sel_hi:[1,0,0]
	s_delay_alu instid0(VALU_DEP_1) | instskip(SKIP_1) | instid1(VALU_DEP_1)
	v_mov_b32_e32 v119, v105
	v_pk_mul_f32 v[104:105], v[106:107], v[102:103] op_sel:[0,1]
	v_pk_fma_f32 v[116:117], v[106:107], v[100:101], v[104:105] op_sel:[0,0,1] op_sel_hi:[1,1,0] neg_lo:[0,0,1] neg_hi:[0,0,1]
	v_pk_fma_f32 v[104:105], v[106:107], v[100:101], v[104:105] op_sel:[0,0,1] op_sel_hi:[1,0,0]
	s_delay_alu instid0(VALU_DEP_1)
	v_mov_b32_e32 v117, v105
	ds_load_2addr_b64 v[104:107], v182 offset0:39 offset1:40
	v_pk_add_f32 v[158:159], v[158:159], v[118:119] neg_lo:[0,1] neg_hi:[0,1]
	v_pk_add_f32 v[160:161], v[160:161], v[116:117] neg_lo:[0,1] neg_hi:[0,1]
	s_wait_dscnt 0x0
	v_pk_mul_f32 v[116:117], v[104:105], v[102:103] op_sel:[0,1]
	s_delay_alu instid0(VALU_DEP_1) | instskip(SKIP_2) | instid1(VALU_DEP_2)
	v_pk_fma_f32 v[118:119], v[104:105], v[100:101], v[116:117] op_sel:[0,0,1] op_sel_hi:[1,1,0] neg_lo:[0,0,1] neg_hi:[0,0,1]
	v_pk_fma_f32 v[104:105], v[104:105], v[100:101], v[116:117] op_sel:[0,0,1] op_sel_hi:[1,0,0]
	v_dual_mul_f32 v116, v107, v103 :: v_dual_mov_b32 v104, v107
	v_dual_mov_b32 v119, v105 :: v_dual_mov_b32 v105, v106
	s_delay_alu instid0(VALU_DEP_2) | instskip(SKIP_1) | instid1(VALU_DEP_3)
	v_pk_fma_f32 v[116:117], v[106:107], v[162:163], v[116:117] op_sel_hi:[1,1,0] neg_lo:[0,0,1] neg_hi:[0,0,1]
	v_mul_f32_e32 v106, v107, v100
	v_pk_add_f32 v[156:157], v[156:157], v[118:119] neg_lo:[0,1] neg_hi:[0,1]
	s_delay_alu instid0(VALU_DEP_2) | instskip(NEXT) | instid1(VALU_DEP_1)
	v_pk_fma_f32 v[104:105], v[104:105], v[162:163], v[106:107] op_sel_hi:[1,1,0]
	v_mov_b32_e32 v117, v105
	ds_load_2addr_b64 v[104:107], v182 offset0:41 offset1:42
	v_pk_add_f32 v[178:179], v[178:179], v[116:117] neg_lo:[0,1] neg_hi:[0,1]
	s_wait_dscnt 0x0
	v_pk_mul_f32 v[116:117], v[104:105], v[102:103] op_sel:[0,1]
	s_delay_alu instid0(VALU_DEP_1) | instskip(SKIP_1) | instid1(VALU_DEP_1)
	v_pk_fma_f32 v[118:119], v[104:105], v[100:101], v[116:117] op_sel:[0,0,1] op_sel_hi:[1,1,0] neg_lo:[0,0,1] neg_hi:[0,0,1]
	v_pk_fma_f32 v[104:105], v[104:105], v[100:101], v[116:117] op_sel:[0,0,1] op_sel_hi:[1,0,0]
	v_mov_b32_e32 v119, v105
	v_pk_mul_f32 v[104:105], v[106:107], v[102:103] op_sel:[0,1]
	s_delay_alu instid0(VALU_DEP_1) | instskip(SKIP_1) | instid1(VALU_DEP_1)
	v_pk_fma_f32 v[116:117], v[106:107], v[100:101], v[104:105] op_sel:[0,0,1] op_sel_hi:[1,1,0] neg_lo:[0,0,1] neg_hi:[0,0,1]
	v_pk_fma_f32 v[104:105], v[106:107], v[100:101], v[104:105] op_sel:[0,0,1] op_sel_hi:[1,0,0]
	v_mov_b32_e32 v117, v105
	ds_load_2addr_b64 v[104:107], v182 offset0:43 offset1:44
	v_pk_add_f32 v[174:175], v[174:175], v[118:119] neg_lo:[0,1] neg_hi:[0,1]
	v_pk_add_f32 v[176:177], v[176:177], v[116:117] neg_lo:[0,1] neg_hi:[0,1]
	s_wait_dscnt 0x0
	v_pk_mul_f32 v[116:117], v[104:105], v[102:103] op_sel:[0,1]
	s_delay_alu instid0(VALU_DEP_1) | instskip(SKIP_1) | instid1(VALU_DEP_1)
	v_pk_fma_f32 v[118:119], v[104:105], v[100:101], v[116:117] op_sel:[0,0,1] op_sel_hi:[1,1,0] neg_lo:[0,0,1] neg_hi:[0,0,1]
	v_pk_fma_f32 v[104:105], v[104:105], v[100:101], v[116:117] op_sel:[0,0,1] op_sel_hi:[1,0,0]
	v_mov_b32_e32 v119, v105
	v_pk_mul_f32 v[104:105], v[106:107], v[102:103] op_sel:[0,1]
	s_delay_alu instid0(VALU_DEP_1) | instskip(SKIP_1) | instid1(VALU_DEP_1)
	v_pk_fma_f32 v[116:117], v[106:107], v[100:101], v[104:105] op_sel:[0,0,1] op_sel_hi:[1,1,0] neg_lo:[0,0,1] neg_hi:[0,0,1]
	v_pk_fma_f32 v[104:105], v[106:107], v[100:101], v[104:105] op_sel:[0,0,1] op_sel_hi:[1,0,0]
	v_mov_b32_e32 v117, v105
	ds_load_2addr_b64 v[104:107], v182 offset0:45 offset1:46
	v_pk_add_f32 v[172:173], v[172:173], v[118:119] neg_lo:[0,1] neg_hi:[0,1]
	v_pk_add_f32 v[200:201], v[200:201], v[116:117] neg_lo:[0,1] neg_hi:[0,1]
	s_wait_dscnt 0x0
	v_dual_mul_f32 v116, v105, v103 :: v_dual_mul_f32 v118, v105, v100
	s_delay_alu instid0(VALU_DEP_1) | instskip(NEXT) | instid1(VALU_DEP_2)
	v_pk_fma_f32 v[116:117], v[104:105], v[162:163], v[116:117] op_sel_hi:[1,1,0] neg_lo:[0,0,1] neg_hi:[0,0,1]
	v_pk_fma_f32 v[104:105], v[104:105], v[162:163], v[118:119] op_sel:[1,0,0] op_sel_hi:[0,1,0]
	s_delay_alu instid0(VALU_DEP_1) | instskip(SKIP_1) | instid1(VALU_DEP_2)
	v_mov_b32_e32 v117, v105
	v_pk_mul_f32 v[104:105], v[106:107], v[102:103] op_sel:[0,1]
	v_pk_add_f32 v[196:197], v[196:197], v[116:117] neg_lo:[0,1] neg_hi:[0,1]
	s_delay_alu instid0(VALU_DEP_2) | instskip(SKIP_1) | instid1(VALU_DEP_1)
	v_pk_fma_f32 v[116:117], v[106:107], v[100:101], v[104:105] op_sel:[0,0,1] op_sel_hi:[1,1,0] neg_lo:[0,0,1] neg_hi:[0,0,1]
	v_pk_fma_f32 v[104:105], v[106:107], v[100:101], v[104:105] op_sel:[0,0,1] op_sel_hi:[1,0,0]
	v_mov_b32_e32 v117, v105
	ds_load_2addr_b64 v[104:107], v182 offset0:47 offset1:48
	v_pk_add_f32 v[198:199], v[198:199], v[116:117] neg_lo:[0,1] neg_hi:[0,1]
	s_wait_dscnt 0x0
	v_pk_mul_f32 v[116:117], v[104:105], v[102:103] op_sel:[0,1]
	s_delay_alu instid0(VALU_DEP_1) | instskip(SKIP_1) | instid1(VALU_DEP_1)
	v_pk_fma_f32 v[118:119], v[104:105], v[100:101], v[116:117] op_sel:[0,0,1] op_sel_hi:[1,1,0] neg_lo:[0,0,1] neg_hi:[0,0,1]
	v_pk_fma_f32 v[104:105], v[104:105], v[100:101], v[116:117] op_sel:[0,0,1] op_sel_hi:[1,0,0]
	v_mov_b32_e32 v119, v105
	v_pk_mul_f32 v[104:105], v[106:107], v[102:103] op_sel:[0,1]
	s_delay_alu instid0(VALU_DEP_2) | instskip(NEXT) | instid1(VALU_DEP_2)
	v_pk_add_f32 v[194:195], v[194:195], v[118:119] neg_lo:[0,1] neg_hi:[0,1]
	v_pk_fma_f32 v[116:117], v[106:107], v[100:101], v[104:105] op_sel:[0,0,1] op_sel_hi:[1,1,0] neg_lo:[0,0,1] neg_hi:[0,0,1]
	v_pk_fma_f32 v[104:105], v[106:107], v[100:101], v[104:105] op_sel:[0,0,1] op_sel_hi:[1,0,0]
	s_delay_alu instid0(VALU_DEP_1) | instskip(SKIP_4) | instid1(VALU_DEP_1)
	v_mov_b32_e32 v117, v105
	ds_load_2addr_b64 v[104:107], v182 offset0:49 offset1:50
	v_pk_add_f32 v[224:225], v[224:225], v[116:117] neg_lo:[0,1] neg_hi:[0,1]
	s_wait_dscnt 0x0
	v_pk_mul_f32 v[116:117], v[104:105], v[102:103] op_sel:[0,1]
	v_pk_fma_f32 v[118:119], v[104:105], v[100:101], v[116:117] op_sel:[0,0,1] op_sel_hi:[1,1,0] neg_lo:[0,0,1] neg_hi:[0,0,1]
	v_pk_fma_f32 v[104:105], v[104:105], v[100:101], v[116:117] op_sel:[0,0,1] op_sel_hi:[1,0,0]
	v_dual_mul_f32 v116, v107, v103 :: v_dual_mov_b32 v104, v107
	s_delay_alu instid0(VALU_DEP_2) | instskip(NEXT) | instid1(VALU_DEP_2)
	v_dual_mov_b32 v119, v105 :: v_dual_mov_b32 v105, v106
	v_pk_fma_f32 v[116:117], v[106:107], v[162:163], v[116:117] op_sel_hi:[1,1,0] neg_lo:[0,0,1] neg_hi:[0,0,1]
	v_mul_f32_e32 v106, v107, v100
	s_delay_alu instid0(VALU_DEP_3) | instskip(NEXT) | instid1(VALU_DEP_2)
	v_pk_add_f32 v[216:217], v[216:217], v[118:119] neg_lo:[0,1] neg_hi:[0,1]
	v_pk_fma_f32 v[104:105], v[104:105], v[162:163], v[106:107] op_sel_hi:[1,1,0]
	s_delay_alu instid0(VALU_DEP_1) | instskip(SKIP_4) | instid1(VALU_DEP_1)
	v_mov_b32_e32 v117, v105
	ds_load_2addr_b64 v[104:107], v182 offset0:51 offset1:52
	v_pk_add_f32 v[222:223], v[222:223], v[116:117] neg_lo:[0,1] neg_hi:[0,1]
	s_wait_dscnt 0x0
	v_pk_mul_f32 v[116:117], v[104:105], v[102:103] op_sel:[0,1]
	v_pk_fma_f32 v[118:119], v[104:105], v[100:101], v[116:117] op_sel:[0,0,1] op_sel_hi:[1,1,0] neg_lo:[0,0,1] neg_hi:[0,0,1]
	v_pk_fma_f32 v[104:105], v[104:105], v[100:101], v[116:117] op_sel:[0,0,1] op_sel_hi:[1,0,0]
	s_delay_alu instid0(VALU_DEP_1) | instskip(SKIP_1) | instid1(VALU_DEP_1)
	v_mov_b32_e32 v119, v105
	v_pk_mul_f32 v[104:105], v[106:107], v[102:103] op_sel:[0,1]
	v_pk_fma_f32 v[116:117], v[106:107], v[100:101], v[104:105] op_sel:[0,0,1] op_sel_hi:[1,1,0] neg_lo:[0,0,1] neg_hi:[0,0,1]
	v_pk_fma_f32 v[104:105], v[106:107], v[100:101], v[104:105] op_sel:[0,0,1] op_sel_hi:[1,0,0]
	s_delay_alu instid0(VALU_DEP_1)
	v_mov_b32_e32 v117, v105
	ds_load_2addr_b64 v[104:107], v182 offset0:53 offset1:54
	v_pk_add_f32 v[214:215], v[214:215], v[118:119] neg_lo:[0,1] neg_hi:[0,1]
	v_pk_add_f32 v[220:221], v[220:221], v[116:117] neg_lo:[0,1] neg_hi:[0,1]
	s_wait_dscnt 0x0
	v_pk_mul_f32 v[116:117], v[104:105], v[102:103] op_sel:[0,1]
	s_delay_alu instid0(VALU_DEP_1) | instskip(SKIP_1) | instid1(VALU_DEP_1)
	v_pk_fma_f32 v[118:119], v[104:105], v[100:101], v[116:117] op_sel:[0,0,1] op_sel_hi:[1,1,0] neg_lo:[0,0,1] neg_hi:[0,0,1]
	v_pk_fma_f32 v[104:105], v[104:105], v[100:101], v[116:117] op_sel:[0,0,1] op_sel_hi:[1,0,0]
	v_mov_b32_e32 v119, v105
	v_pk_mul_f32 v[104:105], v[106:107], v[102:103] op_sel:[0,1]
	s_delay_alu instid0(VALU_DEP_1) | instskip(SKIP_1) | instid1(VALU_DEP_1)
	v_pk_fma_f32 v[116:117], v[106:107], v[100:101], v[104:105] op_sel:[0,0,1] op_sel_hi:[1,1,0] neg_lo:[0,0,1] neg_hi:[0,0,1]
	v_pk_fma_f32 v[104:105], v[106:107], v[100:101], v[104:105] op_sel:[0,0,1] op_sel_hi:[1,0,0]
	v_mov_b32_e32 v117, v105
	ds_load_2addr_b64 v[104:107], v182 offset0:55 offset1:56
	v_pk_add_f32 v[212:213], v[212:213], v[118:119] neg_lo:[0,1] neg_hi:[0,1]
	v_pk_add_f32 v[218:219], v[218:219], v[116:117] neg_lo:[0,1] neg_hi:[0,1]
	s_wait_dscnt 0x0
	v_dual_mul_f32 v116, v105, v103 :: v_dual_mul_f32 v118, v105, v100
	v_pk_mul_f32 v[102:103], v[106:107], v[102:103] op_sel:[0,1]
	s_delay_alu instid0(VALU_DEP_2) | instskip(NEXT) | instid1(VALU_DEP_3)
	v_pk_fma_f32 v[116:117], v[104:105], v[162:163], v[116:117] op_sel_hi:[1,1,0] neg_lo:[0,0,1] neg_hi:[0,0,1]
	v_pk_fma_f32 v[104:105], v[104:105], v[162:163], v[118:119] op_sel:[1,0,0] op_sel_hi:[0,1,0]
	s_delay_alu instid0(VALU_DEP_1) | instskip(NEXT) | instid1(VALU_DEP_4)
	v_mov_b32_e32 v117, v105
	v_pk_fma_f32 v[104:105], v[106:107], v[100:101], v[102:103] op_sel:[0,0,1] op_sel_hi:[1,1,0] neg_lo:[0,0,1] neg_hi:[0,0,1]
	v_pk_fma_f32 v[100:101], v[106:107], v[100:101], v[102:103] op_sel:[0,0,1] op_sel_hi:[1,0,0]
	s_delay_alu instid0(VALU_DEP_1) | instskip(NEXT) | instid1(VALU_DEP_4)
	v_mov_b32_e32 v105, v101
	v_pk_add_f32 v[226:227], v[226:227], v[116:117] neg_lo:[0,1] neg_hi:[0,1]
	s_delay_alu instid0(VALU_DEP_2)
	v_pk_add_f32 v[228:229], v[228:229], v[104:105] neg_lo:[0,1] neg_hi:[0,1]
.LBB113_334:
	s_or_b32 exec_lo, exec_lo, s1
	s_delay_alu instid0(SALU_CYCLE_1)
	s_mov_b32 s2, exec_lo
	s_wait_dscnt 0x0
	s_barrier_signal -1
	s_barrier_wait -1
	v_cmpx_eq_u32_e32 37, v180
	s_cbranch_execz .LBB113_341
; %bb.335:
	v_dual_mov_b32 v100, v160 :: v_dual_mov_b32 v101, v161
	v_dual_mov_b32 v102, v156 :: v_dual_mov_b32 v103, v157
	ds_store_b64 v181, v[158:159]
	ds_store_2addr_b64 v182, v[100:101], v[102:103] offset0:38 offset1:39
	v_dual_mov_b32 v100, v178 :: v_dual_mov_b32 v101, v179
	v_dual_mov_b32 v102, v174 :: v_dual_mov_b32 v103, v175
	ds_store_2addr_b64 v182, v[100:101], v[102:103] offset0:40 offset1:41
	v_dual_mov_b32 v100, v176 :: v_dual_mov_b32 v101, v177
	v_dual_mov_b32 v102, v172 :: v_dual_mov_b32 v103, v173
	;; [unrolled: 3-line block ×8, first 2 shown]
	ds_store_2addr_b64 v182, v[100:101], v[102:103] offset0:54 offset1:55
	ds_store_b64 v182, v[228:229] offset:448
	ds_load_b64 v[100:101], v181
	s_wait_dscnt 0x0
	v_cmp_neq_f32_e32 vcc_lo, 0, v100
	v_cmp_neq_f32_e64 s1, 0, v101
	s_or_b32 s1, vcc_lo, s1
	s_delay_alu instid0(SALU_CYCLE_1)
	s_and_b32 exec_lo, exec_lo, s1
	s_cbranch_execz .LBB113_341
; %bb.336:
	v_cmp_ngt_f32_e64 s1, |v100|, |v101|
                                        ; implicit-def: $vgpr102_vgpr103
	s_and_saveexec_b32 s4, s1
	s_delay_alu instid0(SALU_CYCLE_1)
	s_xor_b32 s1, exec_lo, s4
	s_cbranch_execz .LBB113_338
; %bb.337:
	v_div_scale_f32 v102, null, v101, v101, v100
	v_div_scale_f32 v105, vcc_lo, v100, v101, v100
	s_delay_alu instid0(VALU_DEP_2) | instskip(SKIP_1) | instid1(TRANS32_DEP_1)
	v_rcp_f32_e32 v103, v102
	v_nop
	v_fma_f32 v104, -v102, v103, 1.0
	s_delay_alu instid0(VALU_DEP_1) | instskip(NEXT) | instid1(VALU_DEP_1)
	v_fmac_f32_e32 v103, v104, v103
	v_mul_f32_e32 v104, v105, v103
	s_delay_alu instid0(VALU_DEP_1) | instskip(NEXT) | instid1(VALU_DEP_1)
	v_fma_f32 v106, -v102, v104, v105
	v_fmac_f32_e32 v104, v106, v103
	s_delay_alu instid0(VALU_DEP_1) | instskip(NEXT) | instid1(VALU_DEP_1)
	v_fma_f32 v102, -v102, v104, v105
	v_div_fmas_f32 v102, v102, v103, v104
	s_delay_alu instid0(VALU_DEP_1) | instskip(NEXT) | instid1(VALU_DEP_1)
	v_div_fixup_f32 v102, v102, v101, v100
	v_fmac_f32_e32 v101, v100, v102
	s_delay_alu instid0(VALU_DEP_1) | instskip(SKIP_1) | instid1(VALU_DEP_2)
	v_div_scale_f32 v100, null, v101, v101, 1.0
	v_div_scale_f32 v105, vcc_lo, 1.0, v101, 1.0
	v_rcp_f32_e32 v103, v100
	v_nop
	s_delay_alu instid0(TRANS32_DEP_1) | instskip(NEXT) | instid1(VALU_DEP_1)
	v_fma_f32 v104, -v100, v103, 1.0
	v_fmac_f32_e32 v103, v104, v103
	s_delay_alu instid0(VALU_DEP_1) | instskip(NEXT) | instid1(VALU_DEP_1)
	v_mul_f32_e32 v104, v105, v103
	v_fma_f32 v106, -v100, v104, v105
	s_delay_alu instid0(VALU_DEP_1) | instskip(NEXT) | instid1(VALU_DEP_1)
	v_fmac_f32_e32 v104, v106, v103
	v_fma_f32 v100, -v100, v104, v105
	s_delay_alu instid0(VALU_DEP_1) | instskip(NEXT) | instid1(VALU_DEP_1)
	v_div_fmas_f32 v100, v100, v103, v104
	v_div_fixup_f32 v100, v100, v101, 1.0
	s_delay_alu instid0(VALU_DEP_1)
	v_mul_f32_e32 v102, v102, v100
	v_xor_b32_e32 v103, 0x80000000, v100
                                        ; implicit-def: $vgpr100_vgpr101
.LBB113_338:
	s_and_not1_saveexec_b32 s1, s1
	s_cbranch_execz .LBB113_340
; %bb.339:
	v_div_scale_f32 v102, null, v100, v100, v101
	v_div_scale_f32 v105, vcc_lo, v101, v100, v101
	s_delay_alu instid0(VALU_DEP_2) | instskip(SKIP_1) | instid1(TRANS32_DEP_1)
	v_rcp_f32_e32 v103, v102
	v_nop
	v_fma_f32 v104, -v102, v103, 1.0
	s_delay_alu instid0(VALU_DEP_1) | instskip(NEXT) | instid1(VALU_DEP_1)
	v_fmac_f32_e32 v103, v104, v103
	v_mul_f32_e32 v104, v105, v103
	s_delay_alu instid0(VALU_DEP_1) | instskip(NEXT) | instid1(VALU_DEP_1)
	v_fma_f32 v106, -v102, v104, v105
	v_fmac_f32_e32 v104, v106, v103
	s_delay_alu instid0(VALU_DEP_1) | instskip(NEXT) | instid1(VALU_DEP_1)
	v_fma_f32 v102, -v102, v104, v105
	v_div_fmas_f32 v102, v102, v103, v104
	s_delay_alu instid0(VALU_DEP_1) | instskip(NEXT) | instid1(VALU_DEP_1)
	v_div_fixup_f32 v103, v102, v100, v101
	v_fmac_f32_e32 v100, v101, v103
	s_delay_alu instid0(VALU_DEP_1) | instskip(NEXT) | instid1(VALU_DEP_1)
	v_div_scale_f32 v101, null, v100, v100, 1.0
	v_rcp_f32_e32 v102, v101
	v_nop
	s_delay_alu instid0(TRANS32_DEP_1) | instskip(NEXT) | instid1(VALU_DEP_1)
	v_fma_f32 v104, -v101, v102, 1.0
	v_fmac_f32_e32 v102, v104, v102
	v_div_scale_f32 v104, vcc_lo, 1.0, v100, 1.0
	s_delay_alu instid0(VALU_DEP_1) | instskip(NEXT) | instid1(VALU_DEP_1)
	v_mul_f32_e32 v105, v104, v102
	v_fma_f32 v106, -v101, v105, v104
	s_delay_alu instid0(VALU_DEP_1) | instskip(NEXT) | instid1(VALU_DEP_1)
	v_fmac_f32_e32 v105, v106, v102
	v_fma_f32 v101, -v101, v105, v104
	s_delay_alu instid0(VALU_DEP_1) | instskip(NEXT) | instid1(VALU_DEP_1)
	v_div_fmas_f32 v101, v101, v102, v105
	v_div_fixup_f32 v102, v101, v100, 1.0
	s_delay_alu instid0(VALU_DEP_1)
	v_mul_f32_e64 v103, v103, -v102
.LBB113_340:
	s_or_b32 exec_lo, exec_lo, s1
	ds_store_b64 v181, v[102:103]
.LBB113_341:
	s_or_b32 exec_lo, exec_lo, s2
	s_wait_dscnt 0x0
	s_barrier_signal -1
	s_barrier_wait -1
	ds_load_b64 v[100:101], v181
	s_mov_b32 s1, exec_lo
	v_cmpx_lt_u32_e32 37, v180
	s_cbranch_execz .LBB113_343
; %bb.342:
	ds_load_2addr_b64 v[116:119], v182 offset0:38 offset1:39
	s_wait_dscnt 0x1
	v_pk_mul_f32 v[104:105], v[100:101], v[158:159] op_sel:[1,1] op_sel_hi:[0,1]
	s_delay_alu instid0(VALU_DEP_1) | instskip(SKIP_1) | instid1(VALU_DEP_1)
	v_pk_fma_f32 v[102:103], v[100:101], v[158:159], v[104:105] op_sel_hi:[1,0,1] neg_lo:[0,0,1] neg_hi:[0,0,1]
	v_pk_fma_f32 v[104:105], v[100:101], v[158:159], v[104:105] op_sel_hi:[1,0,1]
	v_dual_mov_b32 v158, v102 :: v_dual_mov_b32 v159, v105
	s_wait_dscnt 0x0
	s_delay_alu instid0(VALU_DEP_2) | instskip(NEXT) | instid1(VALU_DEP_1)
	v_pk_mul_f32 v[106:107], v[116:117], v[104:105] op_sel:[0,1]
	v_pk_fma_f32 v[120:121], v[116:117], v[102:103], v[106:107] op_sel:[0,0,1] op_sel_hi:[1,1,0] neg_lo:[0,0,1] neg_hi:[0,0,1]
	v_pk_fma_f32 v[106:107], v[116:117], v[102:103], v[106:107] op_sel:[0,0,1] op_sel_hi:[1,0,0]
	s_delay_alu instid0(VALU_DEP_1) | instskip(SKIP_1) | instid1(VALU_DEP_1)
	v_mov_b32_e32 v121, v107
	v_pk_mul_f32 v[106:107], v[118:119], v[104:105] op_sel:[0,1]
	v_pk_fma_f32 v[116:117], v[118:119], v[102:103], v[106:107] op_sel:[0,0,1] op_sel_hi:[1,1,0] neg_lo:[0,0,1] neg_hi:[0,0,1]
	v_pk_fma_f32 v[106:107], v[118:119], v[102:103], v[106:107] op_sel:[0,0,1] op_sel_hi:[1,0,0]
	s_delay_alu instid0(VALU_DEP_1) | instskip(SKIP_1) | instid1(VALU_DEP_2)
	v_mov_b32_e32 v117, v107
	v_pk_add_f32 v[160:161], v[160:161], v[120:121] neg_lo:[0,1] neg_hi:[0,1]
	v_pk_add_f32 v[156:157], v[156:157], v[116:117] neg_lo:[0,1] neg_hi:[0,1]
	ds_load_2addr_b64 v[116:119], v182 offset0:40 offset1:41
	s_wait_dscnt 0x0
	v_pk_mul_f32 v[106:107], v[116:117], v[104:105] op_sel:[0,1]
	s_delay_alu instid0(VALU_DEP_1) | instskip(SKIP_2) | instid1(VALU_DEP_2)
	v_pk_fma_f32 v[120:121], v[116:117], v[102:103], v[106:107] op_sel:[0,0,1] op_sel_hi:[1,1,0] neg_lo:[0,0,1] neg_hi:[0,0,1]
	v_pk_fma_f32 v[106:107], v[116:117], v[102:103], v[106:107] op_sel:[0,0,1] op_sel_hi:[1,0,0]
	v_dual_mul_f32 v116, v119, v105 :: v_dual_mov_b32 v106, v119
	v_dual_mov_b32 v121, v107 :: v_dual_mov_b32 v107, v118
	s_delay_alu instid0(VALU_DEP_2) | instskip(SKIP_1) | instid1(VALU_DEP_3)
	v_pk_fma_f32 v[116:117], v[118:119], v[158:159], v[116:117] op_sel_hi:[1,1,0] neg_lo:[0,0,1] neg_hi:[0,0,1]
	v_mul_f32_e32 v118, v119, v102
	v_pk_add_f32 v[178:179], v[178:179], v[120:121] neg_lo:[0,1] neg_hi:[0,1]
	s_delay_alu instid0(VALU_DEP_2) | instskip(NEXT) | instid1(VALU_DEP_1)
	v_pk_fma_f32 v[106:107], v[106:107], v[158:159], v[118:119] op_sel_hi:[1,1,0]
	v_mov_b32_e32 v117, v107
	s_delay_alu instid0(VALU_DEP_1) | instskip(SKIP_3) | instid1(VALU_DEP_1)
	v_pk_add_f32 v[174:175], v[174:175], v[116:117] neg_lo:[0,1] neg_hi:[0,1]
	ds_load_2addr_b64 v[116:119], v182 offset0:42 offset1:43
	s_wait_dscnt 0x0
	v_pk_mul_f32 v[106:107], v[116:117], v[104:105] op_sel:[0,1]
	v_pk_fma_f32 v[120:121], v[116:117], v[102:103], v[106:107] op_sel:[0,0,1] op_sel_hi:[1,1,0] neg_lo:[0,0,1] neg_hi:[0,0,1]
	v_pk_fma_f32 v[106:107], v[116:117], v[102:103], v[106:107] op_sel:[0,0,1] op_sel_hi:[1,0,0]
	s_delay_alu instid0(VALU_DEP_1) | instskip(SKIP_1) | instid1(VALU_DEP_2)
	v_mov_b32_e32 v121, v107
	v_pk_mul_f32 v[106:107], v[118:119], v[104:105] op_sel:[0,1]
	v_pk_add_f32 v[176:177], v[176:177], v[120:121] neg_lo:[0,1] neg_hi:[0,1]
	s_delay_alu instid0(VALU_DEP_2) | instskip(SKIP_1) | instid1(VALU_DEP_1)
	v_pk_fma_f32 v[116:117], v[118:119], v[102:103], v[106:107] op_sel:[0,0,1] op_sel_hi:[1,1,0] neg_lo:[0,0,1] neg_hi:[0,0,1]
	v_pk_fma_f32 v[106:107], v[118:119], v[102:103], v[106:107] op_sel:[0,0,1] op_sel_hi:[1,0,0]
	v_mov_b32_e32 v117, v107
	s_delay_alu instid0(VALU_DEP_1) | instskip(SKIP_3) | instid1(VALU_DEP_1)
	v_pk_add_f32 v[172:173], v[172:173], v[116:117] neg_lo:[0,1] neg_hi:[0,1]
	ds_load_2addr_b64 v[116:119], v182 offset0:44 offset1:45
	s_wait_dscnt 0x0
	v_pk_mul_f32 v[106:107], v[116:117], v[104:105] op_sel:[0,1]
	v_pk_fma_f32 v[120:121], v[116:117], v[102:103], v[106:107] op_sel:[0,0,1] op_sel_hi:[1,1,0] neg_lo:[0,0,1] neg_hi:[0,0,1]
	v_pk_fma_f32 v[106:107], v[116:117], v[102:103], v[106:107] op_sel:[0,0,1] op_sel_hi:[1,0,0]
	s_delay_alu instid0(VALU_DEP_1) | instskip(SKIP_1) | instid1(VALU_DEP_2)
	v_mov_b32_e32 v121, v107
	v_pk_mul_f32 v[106:107], v[118:119], v[104:105] op_sel:[0,1]
	v_pk_add_f32 v[200:201], v[200:201], v[120:121] neg_lo:[0,1] neg_hi:[0,1]
	s_delay_alu instid0(VALU_DEP_2) | instskip(SKIP_1) | instid1(VALU_DEP_1)
	v_pk_fma_f32 v[116:117], v[118:119], v[102:103], v[106:107] op_sel:[0,0,1] op_sel_hi:[1,1,0] neg_lo:[0,0,1] neg_hi:[0,0,1]
	v_pk_fma_f32 v[106:107], v[118:119], v[102:103], v[106:107] op_sel:[0,0,1] op_sel_hi:[1,0,0]
	v_mov_b32_e32 v117, v107
	s_delay_alu instid0(VALU_DEP_1) | instskip(SKIP_3) | instid1(VALU_DEP_1)
	v_pk_add_f32 v[196:197], v[196:197], v[116:117] neg_lo:[0,1] neg_hi:[0,1]
	ds_load_2addr_b64 v[116:119], v182 offset0:46 offset1:47
	s_wait_dscnt 0x0
	v_dual_mul_f32 v106, v117, v105 :: v_dual_mul_f32 v120, v117, v102
	v_pk_fma_f32 v[106:107], v[116:117], v[158:159], v[106:107] op_sel_hi:[1,1,0] neg_lo:[0,0,1] neg_hi:[0,0,1]
	s_delay_alu instid0(VALU_DEP_2) | instskip(NEXT) | instid1(VALU_DEP_1)
	v_pk_fma_f32 v[116:117], v[116:117], v[158:159], v[120:121] op_sel:[1,0,0] op_sel_hi:[0,1,0]
	v_mov_b32_e32 v107, v117
	s_delay_alu instid0(VALU_DEP_1) | instskip(SKIP_1) | instid1(VALU_DEP_1)
	v_pk_add_f32 v[198:199], v[198:199], v[106:107] neg_lo:[0,1] neg_hi:[0,1]
	v_pk_mul_f32 v[106:107], v[118:119], v[104:105] op_sel:[0,1]
	v_pk_fma_f32 v[116:117], v[118:119], v[102:103], v[106:107] op_sel:[0,0,1] op_sel_hi:[1,1,0] neg_lo:[0,0,1] neg_hi:[0,0,1]
	v_pk_fma_f32 v[106:107], v[118:119], v[102:103], v[106:107] op_sel:[0,0,1] op_sel_hi:[1,0,0]
	s_delay_alu instid0(VALU_DEP_1) | instskip(NEXT) | instid1(VALU_DEP_1)
	v_mov_b32_e32 v117, v107
	v_pk_add_f32 v[194:195], v[194:195], v[116:117] neg_lo:[0,1] neg_hi:[0,1]
	ds_load_2addr_b64 v[116:119], v182 offset0:48 offset1:49
	s_wait_dscnt 0x0
	v_pk_mul_f32 v[106:107], v[116:117], v[104:105] op_sel:[0,1]
	s_delay_alu instid0(VALU_DEP_1) | instskip(SKIP_1) | instid1(VALU_DEP_1)
	v_pk_fma_f32 v[120:121], v[116:117], v[102:103], v[106:107] op_sel:[0,0,1] op_sel_hi:[1,1,0] neg_lo:[0,0,1] neg_hi:[0,0,1]
	v_pk_fma_f32 v[106:107], v[116:117], v[102:103], v[106:107] op_sel:[0,0,1] op_sel_hi:[1,0,0]
	v_mov_b32_e32 v121, v107
	v_pk_mul_f32 v[106:107], v[118:119], v[104:105] op_sel:[0,1]
	s_delay_alu instid0(VALU_DEP_2) | instskip(NEXT) | instid1(VALU_DEP_2)
	v_pk_add_f32 v[224:225], v[224:225], v[120:121] neg_lo:[0,1] neg_hi:[0,1]
	v_pk_fma_f32 v[116:117], v[118:119], v[102:103], v[106:107] op_sel:[0,0,1] op_sel_hi:[1,1,0] neg_lo:[0,0,1] neg_hi:[0,0,1]
	v_pk_fma_f32 v[106:107], v[118:119], v[102:103], v[106:107] op_sel:[0,0,1] op_sel_hi:[1,0,0]
	s_delay_alu instid0(VALU_DEP_1) | instskip(NEXT) | instid1(VALU_DEP_1)
	v_mov_b32_e32 v117, v107
	v_pk_add_f32 v[216:217], v[216:217], v[116:117] neg_lo:[0,1] neg_hi:[0,1]
	ds_load_2addr_b64 v[116:119], v182 offset0:50 offset1:51
	s_wait_dscnt 0x0
	v_pk_mul_f32 v[106:107], v[116:117], v[104:105] op_sel:[0,1]
	s_delay_alu instid0(VALU_DEP_1) | instskip(SKIP_2) | instid1(VALU_DEP_2)
	v_pk_fma_f32 v[120:121], v[116:117], v[102:103], v[106:107] op_sel:[0,0,1] op_sel_hi:[1,1,0] neg_lo:[0,0,1] neg_hi:[0,0,1]
	v_pk_fma_f32 v[106:107], v[116:117], v[102:103], v[106:107] op_sel:[0,0,1] op_sel_hi:[1,0,0]
	v_dual_mul_f32 v116, v119, v105 :: v_dual_mov_b32 v106, v119
	v_dual_mov_b32 v121, v107 :: v_dual_mov_b32 v107, v118
	s_delay_alu instid0(VALU_DEP_2) | instskip(SKIP_1) | instid1(VALU_DEP_3)
	v_pk_fma_f32 v[116:117], v[118:119], v[158:159], v[116:117] op_sel_hi:[1,1,0] neg_lo:[0,0,1] neg_hi:[0,0,1]
	v_mul_f32_e32 v118, v119, v102
	v_pk_add_f32 v[222:223], v[222:223], v[120:121] neg_lo:[0,1] neg_hi:[0,1]
	s_delay_alu instid0(VALU_DEP_2) | instskip(NEXT) | instid1(VALU_DEP_1)
	v_pk_fma_f32 v[106:107], v[106:107], v[158:159], v[118:119] op_sel_hi:[1,1,0]
	v_mov_b32_e32 v117, v107
	s_delay_alu instid0(VALU_DEP_1) | instskip(SKIP_3) | instid1(VALU_DEP_1)
	v_pk_add_f32 v[214:215], v[214:215], v[116:117] neg_lo:[0,1] neg_hi:[0,1]
	ds_load_2addr_b64 v[116:119], v182 offset0:52 offset1:53
	s_wait_dscnt 0x0
	v_pk_mul_f32 v[106:107], v[116:117], v[104:105] op_sel:[0,1]
	v_pk_fma_f32 v[120:121], v[116:117], v[102:103], v[106:107] op_sel:[0,0,1] op_sel_hi:[1,1,0] neg_lo:[0,0,1] neg_hi:[0,0,1]
	v_pk_fma_f32 v[106:107], v[116:117], v[102:103], v[106:107] op_sel:[0,0,1] op_sel_hi:[1,0,0]
	s_delay_alu instid0(VALU_DEP_1) | instskip(SKIP_1) | instid1(VALU_DEP_2)
	v_mov_b32_e32 v121, v107
	v_pk_mul_f32 v[106:107], v[118:119], v[104:105] op_sel:[0,1]
	v_pk_add_f32 v[220:221], v[220:221], v[120:121] neg_lo:[0,1] neg_hi:[0,1]
	s_delay_alu instid0(VALU_DEP_2) | instskip(SKIP_1) | instid1(VALU_DEP_1)
	v_pk_fma_f32 v[116:117], v[118:119], v[102:103], v[106:107] op_sel:[0,0,1] op_sel_hi:[1,1,0] neg_lo:[0,0,1] neg_hi:[0,0,1]
	v_pk_fma_f32 v[106:107], v[118:119], v[102:103], v[106:107] op_sel:[0,0,1] op_sel_hi:[1,0,0]
	v_mov_b32_e32 v117, v107
	s_delay_alu instid0(VALU_DEP_1) | instskip(SKIP_3) | instid1(VALU_DEP_1)
	v_pk_add_f32 v[212:213], v[212:213], v[116:117] neg_lo:[0,1] neg_hi:[0,1]
	ds_load_2addr_b64 v[116:119], v182 offset0:54 offset1:55
	s_wait_dscnt 0x0
	v_pk_mul_f32 v[106:107], v[116:117], v[104:105] op_sel:[0,1]
	v_pk_fma_f32 v[120:121], v[116:117], v[102:103], v[106:107] op_sel:[0,0,1] op_sel_hi:[1,1,0] neg_lo:[0,0,1] neg_hi:[0,0,1]
	v_pk_fma_f32 v[106:107], v[116:117], v[102:103], v[106:107] op_sel:[0,0,1] op_sel_hi:[1,0,0]
	s_delay_alu instid0(VALU_DEP_1) | instskip(SKIP_1) | instid1(VALU_DEP_2)
	v_mov_b32_e32 v121, v107
	v_pk_mul_f32 v[106:107], v[118:119], v[104:105] op_sel:[0,1]
	v_pk_add_f32 v[218:219], v[218:219], v[120:121] neg_lo:[0,1] neg_hi:[0,1]
	s_delay_alu instid0(VALU_DEP_2) | instskip(SKIP_1) | instid1(VALU_DEP_1)
	v_pk_fma_f32 v[116:117], v[118:119], v[102:103], v[106:107] op_sel:[0,0,1] op_sel_hi:[1,1,0] neg_lo:[0,0,1] neg_hi:[0,0,1]
	v_pk_fma_f32 v[106:107], v[118:119], v[102:103], v[106:107] op_sel:[0,0,1] op_sel_hi:[1,0,0]
	v_mov_b32_e32 v117, v107
	ds_load_b64 v[106:107], v182 offset:448
	v_pk_add_f32 v[226:227], v[226:227], v[116:117] neg_lo:[0,1] neg_hi:[0,1]
	s_wait_dscnt 0x0
	v_pk_mul_f32 v[104:105], v[106:107], v[104:105] op_sel:[0,1]
	s_delay_alu instid0(VALU_DEP_1) | instskip(SKIP_1) | instid1(VALU_DEP_1)
	v_pk_fma_f32 v[116:117], v[106:107], v[102:103], v[104:105] op_sel:[0,0,1] op_sel_hi:[1,1,0] neg_lo:[0,0,1] neg_hi:[0,0,1]
	v_pk_fma_f32 v[102:103], v[106:107], v[102:103], v[104:105] op_sel:[0,0,1] op_sel_hi:[1,0,0]
	v_mov_b32_e32 v117, v103
	s_delay_alu instid0(VALU_DEP_1)
	v_pk_add_f32 v[228:229], v[228:229], v[116:117] neg_lo:[0,1] neg_hi:[0,1]
.LBB113_343:
	s_or_b32 exec_lo, exec_lo, s1
	s_delay_alu instid0(SALU_CYCLE_1)
	s_mov_b32 s2, exec_lo
	s_wait_dscnt 0x0
	s_barrier_signal -1
	s_barrier_wait -1
	v_cmpx_eq_u32_e32 38, v180
	s_cbranch_execz .LBB113_350
; %bb.344:
	ds_store_b64 v181, v[160:161]
	ds_store_2addr_b64 v182, v[156:157], v[178:179] offset0:39 offset1:40
	ds_store_2addr_b64 v182, v[174:175], v[176:177] offset0:41 offset1:42
	;; [unrolled: 1-line block ×9, first 2 shown]
	ds_load_b64 v[102:103], v181
	s_wait_dscnt 0x0
	v_cmp_neq_f32_e32 vcc_lo, 0, v102
	v_cmp_neq_f32_e64 s1, 0, v103
	s_or_b32 s1, vcc_lo, s1
	s_delay_alu instid0(SALU_CYCLE_1)
	s_and_b32 exec_lo, exec_lo, s1
	s_cbranch_execz .LBB113_350
; %bb.345:
	v_cmp_ngt_f32_e64 s1, |v102|, |v103|
                                        ; implicit-def: $vgpr104_vgpr105
	s_and_saveexec_b32 s4, s1
	s_delay_alu instid0(SALU_CYCLE_1)
	s_xor_b32 s1, exec_lo, s4
	s_cbranch_execz .LBB113_347
; %bb.346:
	v_div_scale_f32 v104, null, v103, v103, v102
	v_div_scale_f32 v107, vcc_lo, v102, v103, v102
	s_delay_alu instid0(VALU_DEP_2) | instskip(SKIP_1) | instid1(TRANS32_DEP_1)
	v_rcp_f32_e32 v105, v104
	v_nop
	v_fma_f32 v106, -v104, v105, 1.0
	s_delay_alu instid0(VALU_DEP_1) | instskip(NEXT) | instid1(VALU_DEP_1)
	v_fmac_f32_e32 v105, v106, v105
	v_mul_f32_e32 v106, v107, v105
	s_delay_alu instid0(VALU_DEP_1) | instskip(NEXT) | instid1(VALU_DEP_1)
	v_fma_f32 v116, -v104, v106, v107
	v_fmac_f32_e32 v106, v116, v105
	s_delay_alu instid0(VALU_DEP_1) | instskip(NEXT) | instid1(VALU_DEP_1)
	v_fma_f32 v104, -v104, v106, v107
	v_div_fmas_f32 v104, v104, v105, v106
	s_delay_alu instid0(VALU_DEP_1) | instskip(NEXT) | instid1(VALU_DEP_1)
	v_div_fixup_f32 v104, v104, v103, v102
	v_fmac_f32_e32 v103, v102, v104
	s_delay_alu instid0(VALU_DEP_1) | instskip(SKIP_1) | instid1(VALU_DEP_2)
	v_div_scale_f32 v102, null, v103, v103, 1.0
	v_div_scale_f32 v107, vcc_lo, 1.0, v103, 1.0
	v_rcp_f32_e32 v105, v102
	v_nop
	s_delay_alu instid0(TRANS32_DEP_1) | instskip(NEXT) | instid1(VALU_DEP_1)
	v_fma_f32 v106, -v102, v105, 1.0
	v_fmac_f32_e32 v105, v106, v105
	s_delay_alu instid0(VALU_DEP_1) | instskip(NEXT) | instid1(VALU_DEP_1)
	v_mul_f32_e32 v106, v107, v105
	v_fma_f32 v116, -v102, v106, v107
	s_delay_alu instid0(VALU_DEP_1) | instskip(NEXT) | instid1(VALU_DEP_1)
	v_fmac_f32_e32 v106, v116, v105
	v_fma_f32 v102, -v102, v106, v107
	s_delay_alu instid0(VALU_DEP_1) | instskip(NEXT) | instid1(VALU_DEP_1)
	v_div_fmas_f32 v102, v102, v105, v106
	v_div_fixup_f32 v102, v102, v103, 1.0
	s_delay_alu instid0(VALU_DEP_1)
	v_mul_f32_e32 v104, v104, v102
	v_xor_b32_e32 v105, 0x80000000, v102
                                        ; implicit-def: $vgpr102_vgpr103
.LBB113_347:
	s_and_not1_saveexec_b32 s1, s1
	s_cbranch_execz .LBB113_349
; %bb.348:
	v_div_scale_f32 v104, null, v102, v102, v103
	v_div_scale_f32 v107, vcc_lo, v103, v102, v103
	s_delay_alu instid0(VALU_DEP_2) | instskip(SKIP_1) | instid1(TRANS32_DEP_1)
	v_rcp_f32_e32 v105, v104
	v_nop
	v_fma_f32 v106, -v104, v105, 1.0
	s_delay_alu instid0(VALU_DEP_1) | instskip(NEXT) | instid1(VALU_DEP_1)
	v_fmac_f32_e32 v105, v106, v105
	v_mul_f32_e32 v106, v107, v105
	s_delay_alu instid0(VALU_DEP_1) | instskip(NEXT) | instid1(VALU_DEP_1)
	v_fma_f32 v116, -v104, v106, v107
	v_fmac_f32_e32 v106, v116, v105
	s_delay_alu instid0(VALU_DEP_1) | instskip(NEXT) | instid1(VALU_DEP_1)
	v_fma_f32 v104, -v104, v106, v107
	v_div_fmas_f32 v104, v104, v105, v106
	s_delay_alu instid0(VALU_DEP_1) | instskip(NEXT) | instid1(VALU_DEP_1)
	v_div_fixup_f32 v105, v104, v102, v103
	v_fmac_f32_e32 v102, v103, v105
	s_delay_alu instid0(VALU_DEP_1) | instskip(NEXT) | instid1(VALU_DEP_1)
	v_div_scale_f32 v103, null, v102, v102, 1.0
	v_rcp_f32_e32 v104, v103
	v_nop
	s_delay_alu instid0(TRANS32_DEP_1) | instskip(NEXT) | instid1(VALU_DEP_1)
	v_fma_f32 v106, -v103, v104, 1.0
	v_fmac_f32_e32 v104, v106, v104
	v_div_scale_f32 v106, vcc_lo, 1.0, v102, 1.0
	s_delay_alu instid0(VALU_DEP_1) | instskip(NEXT) | instid1(VALU_DEP_1)
	v_mul_f32_e32 v107, v106, v104
	v_fma_f32 v116, -v103, v107, v106
	s_delay_alu instid0(VALU_DEP_1) | instskip(NEXT) | instid1(VALU_DEP_1)
	v_fmac_f32_e32 v107, v116, v104
	v_fma_f32 v103, -v103, v107, v106
	s_delay_alu instid0(VALU_DEP_1) | instskip(NEXT) | instid1(VALU_DEP_1)
	v_div_fmas_f32 v103, v103, v104, v107
	v_div_fixup_f32 v104, v103, v102, 1.0
	s_delay_alu instid0(VALU_DEP_1)
	v_mul_f32_e64 v105, v105, -v104
.LBB113_349:
	s_or_b32 exec_lo, exec_lo, s1
	ds_store_b64 v181, v[104:105]
.LBB113_350:
	s_or_b32 exec_lo, exec_lo, s2
	s_wait_dscnt 0x0
	s_barrier_signal -1
	s_barrier_wait -1
	ds_load_b64 v[102:103], v181
	s_mov_b32 s1, exec_lo
	v_cmpx_lt_u32_e32 38, v180
	s_cbranch_execz .LBB113_352
; %bb.351:
	ds_load_2addr_b64 v[116:119], v182 offset0:39 offset1:40
	s_wait_dscnt 0x1
	v_pk_mul_f32 v[106:107], v[102:103], v[160:161] op_sel:[1,1] op_sel_hi:[0,1]
	s_delay_alu instid0(VALU_DEP_1) | instskip(SKIP_1) | instid1(VALU_DEP_1)
	v_pk_fma_f32 v[104:105], v[102:103], v[160:161], v[106:107] op_sel_hi:[1,0,1] neg_lo:[0,0,1] neg_hi:[0,0,1]
	v_pk_fma_f32 v[106:107], v[102:103], v[160:161], v[106:107] op_sel_hi:[1,0,1]
	v_dual_mov_b32 v160, v104 :: v_dual_mov_b32 v161, v107
	s_wait_dscnt 0x0
	s_delay_alu instid0(VALU_DEP_2) | instskip(NEXT) | instid1(VALU_DEP_1)
	v_pk_mul_f32 v[120:121], v[116:117], v[106:107] op_sel:[0,1]
	v_pk_fma_f32 v[122:123], v[116:117], v[104:105], v[120:121] op_sel:[0,0,1] op_sel_hi:[1,1,0] neg_lo:[0,0,1] neg_hi:[0,0,1]
	v_pk_fma_f32 v[116:117], v[116:117], v[104:105], v[120:121] op_sel:[0,0,1] op_sel_hi:[1,0,0]
	s_delay_alu instid0(VALU_DEP_1) | instskip(SKIP_1) | instid1(VALU_DEP_1)
	v_mov_b32_e32 v123, v117
	v_pk_mul_f32 v[116:117], v[118:119], v[106:107] op_sel:[0,1]
	v_pk_fma_f32 v[120:121], v[118:119], v[104:105], v[116:117] op_sel:[0,0,1] op_sel_hi:[1,1,0] neg_lo:[0,0,1] neg_hi:[0,0,1]
	v_pk_fma_f32 v[116:117], v[118:119], v[104:105], v[116:117] op_sel:[0,0,1] op_sel_hi:[1,0,0]
	s_delay_alu instid0(VALU_DEP_1)
	v_mov_b32_e32 v121, v117
	ds_load_2addr_b64 v[116:119], v182 offset0:41 offset1:42
	v_pk_add_f32 v[156:157], v[156:157], v[122:123] neg_lo:[0,1] neg_hi:[0,1]
	v_pk_add_f32 v[178:179], v[178:179], v[120:121] neg_lo:[0,1] neg_hi:[0,1]
	s_wait_dscnt 0x0
	v_pk_mul_f32 v[120:121], v[116:117], v[106:107] op_sel:[0,1]
	s_delay_alu instid0(VALU_DEP_1) | instskip(SKIP_2) | instid1(VALU_DEP_2)
	v_pk_fma_f32 v[122:123], v[116:117], v[104:105], v[120:121] op_sel:[0,0,1] op_sel_hi:[1,1,0] neg_lo:[0,0,1] neg_hi:[0,0,1]
	v_pk_fma_f32 v[116:117], v[116:117], v[104:105], v[120:121] op_sel:[0,0,1] op_sel_hi:[1,0,0]
	v_dual_mul_f32 v120, v119, v107 :: v_dual_mov_b32 v116, v119
	v_dual_mov_b32 v123, v117 :: v_dual_mov_b32 v117, v118
	s_delay_alu instid0(VALU_DEP_2) | instskip(SKIP_1) | instid1(VALU_DEP_3)
	v_pk_fma_f32 v[120:121], v[118:119], v[160:161], v[120:121] op_sel_hi:[1,1,0] neg_lo:[0,0,1] neg_hi:[0,0,1]
	v_mul_f32_e32 v118, v119, v104
	v_pk_add_f32 v[174:175], v[174:175], v[122:123] neg_lo:[0,1] neg_hi:[0,1]
	s_delay_alu instid0(VALU_DEP_2) | instskip(NEXT) | instid1(VALU_DEP_1)
	v_pk_fma_f32 v[116:117], v[116:117], v[160:161], v[118:119] op_sel_hi:[1,1,0]
	v_mov_b32_e32 v121, v117
	ds_load_2addr_b64 v[116:119], v182 offset0:43 offset1:44
	v_pk_add_f32 v[176:177], v[176:177], v[120:121] neg_lo:[0,1] neg_hi:[0,1]
	s_wait_dscnt 0x0
	v_pk_mul_f32 v[120:121], v[116:117], v[106:107] op_sel:[0,1]
	s_delay_alu instid0(VALU_DEP_1) | instskip(SKIP_1) | instid1(VALU_DEP_1)
	v_pk_fma_f32 v[122:123], v[116:117], v[104:105], v[120:121] op_sel:[0,0,1] op_sel_hi:[1,1,0] neg_lo:[0,0,1] neg_hi:[0,0,1]
	v_pk_fma_f32 v[116:117], v[116:117], v[104:105], v[120:121] op_sel:[0,0,1] op_sel_hi:[1,0,0]
	v_mov_b32_e32 v123, v117
	v_pk_mul_f32 v[116:117], v[118:119], v[106:107] op_sel:[0,1]
	s_delay_alu instid0(VALU_DEP_1) | instskip(SKIP_1) | instid1(VALU_DEP_1)
	v_pk_fma_f32 v[120:121], v[118:119], v[104:105], v[116:117] op_sel:[0,0,1] op_sel_hi:[1,1,0] neg_lo:[0,0,1] neg_hi:[0,0,1]
	v_pk_fma_f32 v[116:117], v[118:119], v[104:105], v[116:117] op_sel:[0,0,1] op_sel_hi:[1,0,0]
	v_mov_b32_e32 v121, v117
	ds_load_2addr_b64 v[116:119], v182 offset0:45 offset1:46
	v_pk_add_f32 v[172:173], v[172:173], v[122:123] neg_lo:[0,1] neg_hi:[0,1]
	v_pk_add_f32 v[200:201], v[200:201], v[120:121] neg_lo:[0,1] neg_hi:[0,1]
	s_wait_dscnt 0x0
	v_pk_mul_f32 v[120:121], v[116:117], v[106:107] op_sel:[0,1]
	s_delay_alu instid0(VALU_DEP_1) | instskip(SKIP_1) | instid1(VALU_DEP_1)
	v_pk_fma_f32 v[122:123], v[116:117], v[104:105], v[120:121] op_sel:[0,0,1] op_sel_hi:[1,1,0] neg_lo:[0,0,1] neg_hi:[0,0,1]
	v_pk_fma_f32 v[116:117], v[116:117], v[104:105], v[120:121] op_sel:[0,0,1] op_sel_hi:[1,0,0]
	v_mov_b32_e32 v123, v117
	v_pk_mul_f32 v[116:117], v[118:119], v[106:107] op_sel:[0,1]
	s_delay_alu instid0(VALU_DEP_1) | instskip(SKIP_1) | instid1(VALU_DEP_1)
	v_pk_fma_f32 v[120:121], v[118:119], v[104:105], v[116:117] op_sel:[0,0,1] op_sel_hi:[1,1,0] neg_lo:[0,0,1] neg_hi:[0,0,1]
	v_pk_fma_f32 v[116:117], v[118:119], v[104:105], v[116:117] op_sel:[0,0,1] op_sel_hi:[1,0,0]
	v_mov_b32_e32 v121, v117
	ds_load_2addr_b64 v[116:119], v182 offset0:47 offset1:48
	v_pk_add_f32 v[196:197], v[196:197], v[122:123] neg_lo:[0,1] neg_hi:[0,1]
	v_pk_add_f32 v[198:199], v[198:199], v[120:121] neg_lo:[0,1] neg_hi:[0,1]
	s_wait_dscnt 0x0
	v_dual_mul_f32 v120, v117, v107 :: v_dual_mul_f32 v122, v117, v104
	s_delay_alu instid0(VALU_DEP_1) | instskip(NEXT) | instid1(VALU_DEP_2)
	v_pk_fma_f32 v[120:121], v[116:117], v[160:161], v[120:121] op_sel_hi:[1,1,0] neg_lo:[0,0,1] neg_hi:[0,0,1]
	v_pk_fma_f32 v[116:117], v[116:117], v[160:161], v[122:123] op_sel:[1,0,0] op_sel_hi:[0,1,0]
	s_delay_alu instid0(VALU_DEP_1) | instskip(SKIP_1) | instid1(VALU_DEP_2)
	v_mov_b32_e32 v121, v117
	v_pk_mul_f32 v[116:117], v[118:119], v[106:107] op_sel:[0,1]
	v_pk_add_f32 v[194:195], v[194:195], v[120:121] neg_lo:[0,1] neg_hi:[0,1]
	s_delay_alu instid0(VALU_DEP_2) | instskip(SKIP_1) | instid1(VALU_DEP_1)
	v_pk_fma_f32 v[120:121], v[118:119], v[104:105], v[116:117] op_sel:[0,0,1] op_sel_hi:[1,1,0] neg_lo:[0,0,1] neg_hi:[0,0,1]
	v_pk_fma_f32 v[116:117], v[118:119], v[104:105], v[116:117] op_sel:[0,0,1] op_sel_hi:[1,0,0]
	v_mov_b32_e32 v121, v117
	ds_load_2addr_b64 v[116:119], v182 offset0:49 offset1:50
	v_pk_add_f32 v[224:225], v[224:225], v[120:121] neg_lo:[0,1] neg_hi:[0,1]
	s_wait_dscnt 0x0
	v_pk_mul_f32 v[120:121], v[116:117], v[106:107] op_sel:[0,1]
	s_delay_alu instid0(VALU_DEP_1) | instskip(SKIP_1) | instid1(VALU_DEP_1)
	v_pk_fma_f32 v[122:123], v[116:117], v[104:105], v[120:121] op_sel:[0,0,1] op_sel_hi:[1,1,0] neg_lo:[0,0,1] neg_hi:[0,0,1]
	v_pk_fma_f32 v[116:117], v[116:117], v[104:105], v[120:121] op_sel:[0,0,1] op_sel_hi:[1,0,0]
	v_mov_b32_e32 v123, v117
	v_pk_mul_f32 v[116:117], v[118:119], v[106:107] op_sel:[0,1]
	s_delay_alu instid0(VALU_DEP_2) | instskip(NEXT) | instid1(VALU_DEP_2)
	v_pk_add_f32 v[216:217], v[216:217], v[122:123] neg_lo:[0,1] neg_hi:[0,1]
	v_pk_fma_f32 v[120:121], v[118:119], v[104:105], v[116:117] op_sel:[0,0,1] op_sel_hi:[1,1,0] neg_lo:[0,0,1] neg_hi:[0,0,1]
	v_pk_fma_f32 v[116:117], v[118:119], v[104:105], v[116:117] op_sel:[0,0,1] op_sel_hi:[1,0,0]
	s_delay_alu instid0(VALU_DEP_1) | instskip(SKIP_4) | instid1(VALU_DEP_1)
	v_mov_b32_e32 v121, v117
	ds_load_2addr_b64 v[116:119], v182 offset0:51 offset1:52
	v_pk_add_f32 v[222:223], v[222:223], v[120:121] neg_lo:[0,1] neg_hi:[0,1]
	s_wait_dscnt 0x0
	v_pk_mul_f32 v[120:121], v[116:117], v[106:107] op_sel:[0,1]
	v_pk_fma_f32 v[122:123], v[116:117], v[104:105], v[120:121] op_sel:[0,0,1] op_sel_hi:[1,1,0] neg_lo:[0,0,1] neg_hi:[0,0,1]
	v_pk_fma_f32 v[116:117], v[116:117], v[104:105], v[120:121] op_sel:[0,0,1] op_sel_hi:[1,0,0]
	v_dual_mul_f32 v120, v119, v107 :: v_dual_mov_b32 v116, v119
	s_delay_alu instid0(VALU_DEP_2) | instskip(NEXT) | instid1(VALU_DEP_2)
	v_dual_mov_b32 v123, v117 :: v_dual_mov_b32 v117, v118
	v_pk_fma_f32 v[120:121], v[118:119], v[160:161], v[120:121] op_sel_hi:[1,1,0] neg_lo:[0,0,1] neg_hi:[0,0,1]
	v_mul_f32_e32 v118, v119, v104
	s_delay_alu instid0(VALU_DEP_3) | instskip(NEXT) | instid1(VALU_DEP_2)
	v_pk_add_f32 v[214:215], v[214:215], v[122:123] neg_lo:[0,1] neg_hi:[0,1]
	v_pk_fma_f32 v[116:117], v[116:117], v[160:161], v[118:119] op_sel_hi:[1,1,0]
	s_delay_alu instid0(VALU_DEP_1) | instskip(SKIP_4) | instid1(VALU_DEP_1)
	v_mov_b32_e32 v121, v117
	ds_load_2addr_b64 v[116:119], v182 offset0:53 offset1:54
	v_pk_add_f32 v[220:221], v[220:221], v[120:121] neg_lo:[0,1] neg_hi:[0,1]
	s_wait_dscnt 0x0
	v_pk_mul_f32 v[120:121], v[116:117], v[106:107] op_sel:[0,1]
	v_pk_fma_f32 v[122:123], v[116:117], v[104:105], v[120:121] op_sel:[0,0,1] op_sel_hi:[1,1,0] neg_lo:[0,0,1] neg_hi:[0,0,1]
	v_pk_fma_f32 v[116:117], v[116:117], v[104:105], v[120:121] op_sel:[0,0,1] op_sel_hi:[1,0,0]
	s_delay_alu instid0(VALU_DEP_1) | instskip(SKIP_1) | instid1(VALU_DEP_1)
	v_mov_b32_e32 v123, v117
	v_pk_mul_f32 v[116:117], v[118:119], v[106:107] op_sel:[0,1]
	v_pk_fma_f32 v[120:121], v[118:119], v[104:105], v[116:117] op_sel:[0,0,1] op_sel_hi:[1,1,0] neg_lo:[0,0,1] neg_hi:[0,0,1]
	v_pk_fma_f32 v[116:117], v[118:119], v[104:105], v[116:117] op_sel:[0,0,1] op_sel_hi:[1,0,0]
	s_delay_alu instid0(VALU_DEP_1)
	v_mov_b32_e32 v121, v117
	ds_load_2addr_b64 v[116:119], v182 offset0:55 offset1:56
	v_pk_add_f32 v[212:213], v[212:213], v[122:123] neg_lo:[0,1] neg_hi:[0,1]
	v_pk_add_f32 v[218:219], v[218:219], v[120:121] neg_lo:[0,1] neg_hi:[0,1]
	s_wait_dscnt 0x0
	v_pk_mul_f32 v[120:121], v[116:117], v[106:107] op_sel:[0,1]
	v_mul_f32_e32 v106, v119, v107
	s_delay_alu instid0(VALU_DEP_2) | instskip(SKIP_2) | instid1(VALU_DEP_4)
	v_pk_fma_f32 v[122:123], v[116:117], v[104:105], v[120:121] op_sel:[0,0,1] op_sel_hi:[1,1,0] neg_lo:[0,0,1] neg_hi:[0,0,1]
	v_pk_fma_f32 v[116:117], v[116:117], v[104:105], v[120:121] op_sel:[0,0,1] op_sel_hi:[1,0,0]
	v_dual_mov_b32 v116, v119 :: v_dual_mul_f32 v104, v119, v104
	v_pk_fma_f32 v[106:107], v[118:119], v[160:161], v[106:107] op_sel_hi:[1,1,0] neg_lo:[0,0,1] neg_hi:[0,0,1]
	s_delay_alu instid0(VALU_DEP_3) | instskip(NEXT) | instid1(VALU_DEP_1)
	v_dual_mov_b32 v123, v117 :: v_dual_mov_b32 v117, v118
	v_pk_add_f32 v[226:227], v[226:227], v[122:123] neg_lo:[0,1] neg_hi:[0,1]
	s_delay_alu instid0(VALU_DEP_2) | instskip(NEXT) | instid1(VALU_DEP_1)
	v_pk_fma_f32 v[104:105], v[116:117], v[160:161], v[104:105] op_sel_hi:[1,1,0]
	v_mov_b32_e32 v107, v105
	s_delay_alu instid0(VALU_DEP_1)
	v_pk_add_f32 v[228:229], v[228:229], v[106:107] neg_lo:[0,1] neg_hi:[0,1]
.LBB113_352:
	s_or_b32 exec_lo, exec_lo, s1
	s_delay_alu instid0(SALU_CYCLE_1)
	s_mov_b32 s2, exec_lo
	s_wait_dscnt 0x0
	s_barrier_signal -1
	s_barrier_wait -1
	v_cmpx_eq_u32_e32 39, v180
	s_cbranch_execz .LBB113_359
; %bb.353:
	v_dual_mov_b32 v104, v178 :: v_dual_mov_b32 v105, v179
	v_dual_mov_b32 v106, v174 :: v_dual_mov_b32 v107, v175
	ds_store_b64 v181, v[156:157]
	ds_store_2addr_b64 v182, v[104:105], v[106:107] offset0:40 offset1:41
	v_dual_mov_b32 v104, v176 :: v_dual_mov_b32 v105, v177
	v_dual_mov_b32 v106, v172 :: v_dual_mov_b32 v107, v173
	ds_store_2addr_b64 v182, v[104:105], v[106:107] offset0:42 offset1:43
	v_dual_mov_b32 v104, v200 :: v_dual_mov_b32 v105, v201
	v_dual_mov_b32 v106, v196 :: v_dual_mov_b32 v107, v197
	;; [unrolled: 3-line block ×7, first 2 shown]
	ds_store_2addr_b64 v182, v[104:105], v[106:107] offset0:54 offset1:55
	ds_store_b64 v182, v[228:229] offset:448
	ds_load_b64 v[104:105], v181
	s_wait_dscnt 0x0
	v_cmp_neq_f32_e32 vcc_lo, 0, v104
	v_cmp_neq_f32_e64 s1, 0, v105
	s_or_b32 s1, vcc_lo, s1
	s_delay_alu instid0(SALU_CYCLE_1)
	s_and_b32 exec_lo, exec_lo, s1
	s_cbranch_execz .LBB113_359
; %bb.354:
	v_cmp_ngt_f32_e64 s1, |v104|, |v105|
                                        ; implicit-def: $vgpr106_vgpr107
	s_and_saveexec_b32 s4, s1
	s_delay_alu instid0(SALU_CYCLE_1)
	s_xor_b32 s1, exec_lo, s4
	s_cbranch_execz .LBB113_356
; %bb.355:
	v_div_scale_f32 v106, null, v105, v105, v104
	v_div_scale_f32 v117, vcc_lo, v104, v105, v104
	s_delay_alu instid0(VALU_DEP_2) | instskip(SKIP_1) | instid1(TRANS32_DEP_1)
	v_rcp_f32_e32 v107, v106
	v_nop
	v_fma_f32 v116, -v106, v107, 1.0
	s_delay_alu instid0(VALU_DEP_1) | instskip(NEXT) | instid1(VALU_DEP_1)
	v_fmac_f32_e32 v107, v116, v107
	v_mul_f32_e32 v116, v117, v107
	s_delay_alu instid0(VALU_DEP_1) | instskip(NEXT) | instid1(VALU_DEP_1)
	v_fma_f32 v118, -v106, v116, v117
	v_fmac_f32_e32 v116, v118, v107
	s_delay_alu instid0(VALU_DEP_1) | instskip(NEXT) | instid1(VALU_DEP_1)
	v_fma_f32 v106, -v106, v116, v117
	v_div_fmas_f32 v106, v106, v107, v116
	s_delay_alu instid0(VALU_DEP_1) | instskip(NEXT) | instid1(VALU_DEP_1)
	v_div_fixup_f32 v106, v106, v105, v104
	v_fmac_f32_e32 v105, v104, v106
	s_delay_alu instid0(VALU_DEP_1) | instskip(SKIP_1) | instid1(VALU_DEP_2)
	v_div_scale_f32 v104, null, v105, v105, 1.0
	v_div_scale_f32 v117, vcc_lo, 1.0, v105, 1.0
	v_rcp_f32_e32 v107, v104
	v_nop
	s_delay_alu instid0(TRANS32_DEP_1) | instskip(NEXT) | instid1(VALU_DEP_1)
	v_fma_f32 v116, -v104, v107, 1.0
	v_fmac_f32_e32 v107, v116, v107
	s_delay_alu instid0(VALU_DEP_1) | instskip(NEXT) | instid1(VALU_DEP_1)
	v_mul_f32_e32 v116, v117, v107
	v_fma_f32 v118, -v104, v116, v117
	s_delay_alu instid0(VALU_DEP_1) | instskip(NEXT) | instid1(VALU_DEP_1)
	v_fmac_f32_e32 v116, v118, v107
	v_fma_f32 v104, -v104, v116, v117
	s_delay_alu instid0(VALU_DEP_1) | instskip(NEXT) | instid1(VALU_DEP_1)
	v_div_fmas_f32 v104, v104, v107, v116
	v_div_fixup_f32 v104, v104, v105, 1.0
	s_delay_alu instid0(VALU_DEP_1)
	v_mul_f32_e32 v106, v106, v104
	v_xor_b32_e32 v107, 0x80000000, v104
                                        ; implicit-def: $vgpr104_vgpr105
.LBB113_356:
	s_and_not1_saveexec_b32 s1, s1
	s_cbranch_execz .LBB113_358
; %bb.357:
	v_div_scale_f32 v106, null, v104, v104, v105
	v_div_scale_f32 v117, vcc_lo, v105, v104, v105
	s_delay_alu instid0(VALU_DEP_2) | instskip(SKIP_1) | instid1(TRANS32_DEP_1)
	v_rcp_f32_e32 v107, v106
	v_nop
	v_fma_f32 v116, -v106, v107, 1.0
	s_delay_alu instid0(VALU_DEP_1) | instskip(NEXT) | instid1(VALU_DEP_1)
	v_fmac_f32_e32 v107, v116, v107
	v_mul_f32_e32 v116, v117, v107
	s_delay_alu instid0(VALU_DEP_1) | instskip(NEXT) | instid1(VALU_DEP_1)
	v_fma_f32 v118, -v106, v116, v117
	v_fmac_f32_e32 v116, v118, v107
	s_delay_alu instid0(VALU_DEP_1) | instskip(NEXT) | instid1(VALU_DEP_1)
	v_fma_f32 v106, -v106, v116, v117
	v_div_fmas_f32 v106, v106, v107, v116
	s_delay_alu instid0(VALU_DEP_1) | instskip(NEXT) | instid1(VALU_DEP_1)
	v_div_fixup_f32 v107, v106, v104, v105
	v_fmac_f32_e32 v104, v105, v107
	s_delay_alu instid0(VALU_DEP_1) | instskip(NEXT) | instid1(VALU_DEP_1)
	v_div_scale_f32 v105, null, v104, v104, 1.0
	v_rcp_f32_e32 v106, v105
	v_nop
	s_delay_alu instid0(TRANS32_DEP_1) | instskip(NEXT) | instid1(VALU_DEP_1)
	v_fma_f32 v116, -v105, v106, 1.0
	v_fmac_f32_e32 v106, v116, v106
	v_div_scale_f32 v116, vcc_lo, 1.0, v104, 1.0
	s_delay_alu instid0(VALU_DEP_1) | instskip(NEXT) | instid1(VALU_DEP_1)
	v_mul_f32_e32 v117, v116, v106
	v_fma_f32 v118, -v105, v117, v116
	s_delay_alu instid0(VALU_DEP_1) | instskip(NEXT) | instid1(VALU_DEP_1)
	v_fmac_f32_e32 v117, v118, v106
	v_fma_f32 v105, -v105, v117, v116
	s_delay_alu instid0(VALU_DEP_1) | instskip(NEXT) | instid1(VALU_DEP_1)
	v_div_fmas_f32 v105, v105, v106, v117
	v_div_fixup_f32 v106, v105, v104, 1.0
	s_delay_alu instid0(VALU_DEP_1)
	v_mul_f32_e64 v107, v107, -v106
.LBB113_358:
	s_or_b32 exec_lo, exec_lo, s1
	ds_store_b64 v181, v[106:107]
.LBB113_359:
	s_or_b32 exec_lo, exec_lo, s2
	s_wait_dscnt 0x0
	s_barrier_signal -1
	s_barrier_wait -1
	ds_load_b64 v[104:105], v181
	s_mov_b32 s1, exec_lo
	v_cmpx_lt_u32_e32 39, v180
	s_cbranch_execz .LBB113_361
; %bb.360:
	ds_load_2addr_b64 v[118:121], v182 offset0:40 offset1:41
	s_wait_dscnt 0x1
	v_pk_mul_f32 v[116:117], v[104:105], v[156:157] op_sel:[1,1] op_sel_hi:[0,1]
	s_delay_alu instid0(VALU_DEP_1) | instskip(SKIP_1) | instid1(VALU_DEP_1)
	v_pk_fma_f32 v[106:107], v[104:105], v[156:157], v[116:117] op_sel_hi:[1,0,1] neg_lo:[0,0,1] neg_hi:[0,0,1]
	v_pk_fma_f32 v[116:117], v[104:105], v[156:157], v[116:117] op_sel_hi:[1,0,1]
	v_dual_mov_b32 v156, v106 :: v_dual_mov_b32 v157, v117
	s_wait_dscnt 0x0
	s_delay_alu instid0(VALU_DEP_2) | instskip(NEXT) | instid1(VALU_DEP_1)
	v_pk_mul_f32 v[122:123], v[118:119], v[116:117] op_sel:[0,1]
	v_pk_fma_f32 v[132:133], v[118:119], v[106:107], v[122:123] op_sel:[0,0,1] op_sel_hi:[1,1,0] neg_lo:[0,0,1] neg_hi:[0,0,1]
	v_pk_fma_f32 v[118:119], v[118:119], v[106:107], v[122:123] op_sel:[0,0,1] op_sel_hi:[1,0,0]
	s_delay_alu instid0(VALU_DEP_1) | instskip(SKIP_1) | instid1(VALU_DEP_1)
	v_mov_b32_e32 v133, v119
	v_pk_mul_f32 v[118:119], v[120:121], v[116:117] op_sel:[0,1]
	v_pk_fma_f32 v[122:123], v[120:121], v[106:107], v[118:119] op_sel:[0,0,1] op_sel_hi:[1,1,0] neg_lo:[0,0,1] neg_hi:[0,0,1]
	v_pk_fma_f32 v[118:119], v[120:121], v[106:107], v[118:119] op_sel:[0,0,1] op_sel_hi:[1,0,0]
	s_delay_alu instid0(VALU_DEP_1)
	v_mov_b32_e32 v123, v119
	ds_load_2addr_b64 v[118:121], v182 offset0:42 offset1:43
	v_pk_add_f32 v[178:179], v[178:179], v[132:133] neg_lo:[0,1] neg_hi:[0,1]
	v_pk_add_f32 v[174:175], v[174:175], v[122:123] neg_lo:[0,1] neg_hi:[0,1]
	s_wait_dscnt 0x0
	v_pk_mul_f32 v[122:123], v[118:119], v[116:117] op_sel:[0,1]
	s_delay_alu instid0(VALU_DEP_1) | instskip(SKIP_2) | instid1(VALU_DEP_2)
	v_pk_fma_f32 v[132:133], v[118:119], v[106:107], v[122:123] op_sel:[0,0,1] op_sel_hi:[1,1,0] neg_lo:[0,0,1] neg_hi:[0,0,1]
	v_pk_fma_f32 v[118:119], v[118:119], v[106:107], v[122:123] op_sel:[0,0,1] op_sel_hi:[1,0,0]
	v_dual_mul_f32 v122, v121, v117 :: v_dual_mov_b32 v118, v121
	v_dual_mov_b32 v133, v119 :: v_dual_mov_b32 v119, v120
	s_delay_alu instid0(VALU_DEP_2) | instskip(SKIP_1) | instid1(VALU_DEP_3)
	v_pk_fma_f32 v[122:123], v[120:121], v[156:157], v[122:123] op_sel_hi:[1,1,0] neg_lo:[0,0,1] neg_hi:[0,0,1]
	v_mul_f32_e32 v120, v121, v106
	v_pk_add_f32 v[176:177], v[176:177], v[132:133] neg_lo:[0,1] neg_hi:[0,1]
	s_delay_alu instid0(VALU_DEP_2) | instskip(NEXT) | instid1(VALU_DEP_1)
	v_pk_fma_f32 v[118:119], v[118:119], v[156:157], v[120:121] op_sel_hi:[1,1,0]
	v_mov_b32_e32 v123, v119
	ds_load_2addr_b64 v[118:121], v182 offset0:44 offset1:45
	v_pk_add_f32 v[172:173], v[172:173], v[122:123] neg_lo:[0,1] neg_hi:[0,1]
	s_wait_dscnt 0x0
	v_pk_mul_f32 v[122:123], v[118:119], v[116:117] op_sel:[0,1]
	s_delay_alu instid0(VALU_DEP_1) | instskip(SKIP_1) | instid1(VALU_DEP_1)
	v_pk_fma_f32 v[132:133], v[118:119], v[106:107], v[122:123] op_sel:[0,0,1] op_sel_hi:[1,1,0] neg_lo:[0,0,1] neg_hi:[0,0,1]
	v_pk_fma_f32 v[118:119], v[118:119], v[106:107], v[122:123] op_sel:[0,0,1] op_sel_hi:[1,0,0]
	v_mov_b32_e32 v133, v119
	v_pk_mul_f32 v[118:119], v[120:121], v[116:117] op_sel:[0,1]
	s_delay_alu instid0(VALU_DEP_1) | instskip(SKIP_1) | instid1(VALU_DEP_1)
	v_pk_fma_f32 v[122:123], v[120:121], v[106:107], v[118:119] op_sel:[0,0,1] op_sel_hi:[1,1,0] neg_lo:[0,0,1] neg_hi:[0,0,1]
	v_pk_fma_f32 v[118:119], v[120:121], v[106:107], v[118:119] op_sel:[0,0,1] op_sel_hi:[1,0,0]
	v_mov_b32_e32 v123, v119
	ds_load_2addr_b64 v[118:121], v182 offset0:46 offset1:47
	v_pk_add_f32 v[200:201], v[200:201], v[132:133] neg_lo:[0,1] neg_hi:[0,1]
	v_pk_add_f32 v[196:197], v[196:197], v[122:123] neg_lo:[0,1] neg_hi:[0,1]
	s_wait_dscnt 0x0
	v_pk_mul_f32 v[122:123], v[118:119], v[116:117] op_sel:[0,1]
	s_delay_alu instid0(VALU_DEP_1) | instskip(SKIP_1) | instid1(VALU_DEP_1)
	v_pk_fma_f32 v[132:133], v[118:119], v[106:107], v[122:123] op_sel:[0,0,1] op_sel_hi:[1,1,0] neg_lo:[0,0,1] neg_hi:[0,0,1]
	v_pk_fma_f32 v[118:119], v[118:119], v[106:107], v[122:123] op_sel:[0,0,1] op_sel_hi:[1,0,0]
	v_mov_b32_e32 v133, v119
	v_pk_mul_f32 v[118:119], v[120:121], v[116:117] op_sel:[0,1]
	s_delay_alu instid0(VALU_DEP_1) | instskip(SKIP_1) | instid1(VALU_DEP_1)
	v_pk_fma_f32 v[122:123], v[120:121], v[106:107], v[118:119] op_sel:[0,0,1] op_sel_hi:[1,1,0] neg_lo:[0,0,1] neg_hi:[0,0,1]
	v_pk_fma_f32 v[118:119], v[120:121], v[106:107], v[118:119] op_sel:[0,0,1] op_sel_hi:[1,0,0]
	v_mov_b32_e32 v123, v119
	ds_load_2addr_b64 v[118:121], v182 offset0:48 offset1:49
	v_pk_add_f32 v[198:199], v[198:199], v[132:133] neg_lo:[0,1] neg_hi:[0,1]
	v_pk_add_f32 v[194:195], v[194:195], v[122:123] neg_lo:[0,1] neg_hi:[0,1]
	s_wait_dscnt 0x0
	v_dual_mul_f32 v122, v119, v117 :: v_dual_mul_f32 v132, v119, v106
	s_delay_alu instid0(VALU_DEP_1) | instskip(NEXT) | instid1(VALU_DEP_2)
	v_pk_fma_f32 v[122:123], v[118:119], v[156:157], v[122:123] op_sel_hi:[1,1,0] neg_lo:[0,0,1] neg_hi:[0,0,1]
	v_pk_fma_f32 v[118:119], v[118:119], v[156:157], v[132:133] op_sel:[1,0,0] op_sel_hi:[0,1,0]
	s_delay_alu instid0(VALU_DEP_1) | instskip(SKIP_1) | instid1(VALU_DEP_2)
	v_mov_b32_e32 v123, v119
	v_pk_mul_f32 v[118:119], v[120:121], v[116:117] op_sel:[0,1]
	v_pk_add_f32 v[224:225], v[224:225], v[122:123] neg_lo:[0,1] neg_hi:[0,1]
	s_delay_alu instid0(VALU_DEP_2) | instskip(SKIP_1) | instid1(VALU_DEP_1)
	v_pk_fma_f32 v[122:123], v[120:121], v[106:107], v[118:119] op_sel:[0,0,1] op_sel_hi:[1,1,0] neg_lo:[0,0,1] neg_hi:[0,0,1]
	v_pk_fma_f32 v[118:119], v[120:121], v[106:107], v[118:119] op_sel:[0,0,1] op_sel_hi:[1,0,0]
	v_mov_b32_e32 v123, v119
	ds_load_2addr_b64 v[118:121], v182 offset0:50 offset1:51
	v_pk_add_f32 v[216:217], v[216:217], v[122:123] neg_lo:[0,1] neg_hi:[0,1]
	s_wait_dscnt 0x0
	v_pk_mul_f32 v[122:123], v[118:119], v[116:117] op_sel:[0,1]
	s_delay_alu instid0(VALU_DEP_1) | instskip(SKIP_1) | instid1(VALU_DEP_1)
	v_pk_fma_f32 v[132:133], v[118:119], v[106:107], v[122:123] op_sel:[0,0,1] op_sel_hi:[1,1,0] neg_lo:[0,0,1] neg_hi:[0,0,1]
	v_pk_fma_f32 v[118:119], v[118:119], v[106:107], v[122:123] op_sel:[0,0,1] op_sel_hi:[1,0,0]
	v_mov_b32_e32 v133, v119
	v_pk_mul_f32 v[118:119], v[120:121], v[116:117] op_sel:[0,1]
	s_delay_alu instid0(VALU_DEP_2) | instskip(NEXT) | instid1(VALU_DEP_2)
	v_pk_add_f32 v[222:223], v[222:223], v[132:133] neg_lo:[0,1] neg_hi:[0,1]
	v_pk_fma_f32 v[122:123], v[120:121], v[106:107], v[118:119] op_sel:[0,0,1] op_sel_hi:[1,1,0] neg_lo:[0,0,1] neg_hi:[0,0,1]
	v_pk_fma_f32 v[118:119], v[120:121], v[106:107], v[118:119] op_sel:[0,0,1] op_sel_hi:[1,0,0]
	s_delay_alu instid0(VALU_DEP_1) | instskip(SKIP_4) | instid1(VALU_DEP_1)
	v_mov_b32_e32 v123, v119
	ds_load_2addr_b64 v[118:121], v182 offset0:52 offset1:53
	v_pk_add_f32 v[214:215], v[214:215], v[122:123] neg_lo:[0,1] neg_hi:[0,1]
	s_wait_dscnt 0x0
	v_pk_mul_f32 v[122:123], v[118:119], v[116:117] op_sel:[0,1]
	v_pk_fma_f32 v[132:133], v[118:119], v[106:107], v[122:123] op_sel:[0,0,1] op_sel_hi:[1,1,0] neg_lo:[0,0,1] neg_hi:[0,0,1]
	v_pk_fma_f32 v[118:119], v[118:119], v[106:107], v[122:123] op_sel:[0,0,1] op_sel_hi:[1,0,0]
	v_dual_mul_f32 v122, v121, v117 :: v_dual_mov_b32 v118, v121
	s_delay_alu instid0(VALU_DEP_2) | instskip(NEXT) | instid1(VALU_DEP_2)
	v_dual_mov_b32 v133, v119 :: v_dual_mov_b32 v119, v120
	v_pk_fma_f32 v[122:123], v[120:121], v[156:157], v[122:123] op_sel_hi:[1,1,0] neg_lo:[0,0,1] neg_hi:[0,0,1]
	v_mul_f32_e32 v120, v121, v106
	s_delay_alu instid0(VALU_DEP_3) | instskip(NEXT) | instid1(VALU_DEP_2)
	v_pk_add_f32 v[220:221], v[220:221], v[132:133] neg_lo:[0,1] neg_hi:[0,1]
	v_pk_fma_f32 v[118:119], v[118:119], v[156:157], v[120:121] op_sel_hi:[1,1,0]
	s_delay_alu instid0(VALU_DEP_1) | instskip(SKIP_4) | instid1(VALU_DEP_1)
	v_mov_b32_e32 v123, v119
	ds_load_2addr_b64 v[118:121], v182 offset0:54 offset1:55
	v_pk_add_f32 v[212:213], v[212:213], v[122:123] neg_lo:[0,1] neg_hi:[0,1]
	s_wait_dscnt 0x0
	v_pk_mul_f32 v[122:123], v[118:119], v[116:117] op_sel:[0,1]
	v_pk_fma_f32 v[132:133], v[118:119], v[106:107], v[122:123] op_sel:[0,0,1] op_sel_hi:[1,1,0] neg_lo:[0,0,1] neg_hi:[0,0,1]
	v_pk_fma_f32 v[118:119], v[118:119], v[106:107], v[122:123] op_sel:[0,0,1] op_sel_hi:[1,0,0]
	s_delay_alu instid0(VALU_DEP_1) | instskip(SKIP_1) | instid1(VALU_DEP_1)
	v_mov_b32_e32 v133, v119
	v_pk_mul_f32 v[118:119], v[120:121], v[116:117] op_sel:[0,1]
	v_pk_fma_f32 v[122:123], v[120:121], v[106:107], v[118:119] op_sel:[0,0,1] op_sel_hi:[1,1,0] neg_lo:[0,0,1] neg_hi:[0,0,1]
	v_pk_fma_f32 v[118:119], v[120:121], v[106:107], v[118:119] op_sel:[0,0,1] op_sel_hi:[1,0,0]
	s_delay_alu instid0(VALU_DEP_1)
	v_mov_b32_e32 v123, v119
	ds_load_b64 v[118:119], v182 offset:448
	v_pk_add_f32 v[218:219], v[218:219], v[132:133] neg_lo:[0,1] neg_hi:[0,1]
	v_pk_add_f32 v[226:227], v[226:227], v[122:123] neg_lo:[0,1] neg_hi:[0,1]
	s_wait_dscnt 0x0
	v_pk_mul_f32 v[116:117], v[118:119], v[116:117] op_sel:[0,1]
	s_delay_alu instid0(VALU_DEP_1) | instskip(SKIP_1) | instid1(VALU_DEP_1)
	v_pk_fma_f32 v[120:121], v[118:119], v[106:107], v[116:117] op_sel:[0,0,1] op_sel_hi:[1,1,0] neg_lo:[0,0,1] neg_hi:[0,0,1]
	v_pk_fma_f32 v[106:107], v[118:119], v[106:107], v[116:117] op_sel:[0,0,1] op_sel_hi:[1,0,0]
	v_mov_b32_e32 v121, v107
	s_delay_alu instid0(VALU_DEP_1)
	v_pk_add_f32 v[228:229], v[228:229], v[120:121] neg_lo:[0,1] neg_hi:[0,1]
.LBB113_361:
	s_or_b32 exec_lo, exec_lo, s1
	s_delay_alu instid0(SALU_CYCLE_1)
	s_mov_b32 s2, exec_lo
	s_wait_dscnt 0x0
	s_barrier_signal -1
	s_barrier_wait -1
	v_cmpx_eq_u32_e32 40, v180
	s_cbranch_execz .LBB113_368
; %bb.362:
	ds_store_b64 v181, v[178:179]
	ds_store_2addr_b64 v182, v[174:175], v[176:177] offset0:41 offset1:42
	ds_store_2addr_b64 v182, v[172:173], v[200:201] offset0:43 offset1:44
	;; [unrolled: 1-line block ×8, first 2 shown]
	ds_load_b64 v[106:107], v181
	s_wait_dscnt 0x0
	v_cmp_neq_f32_e32 vcc_lo, 0, v106
	v_cmp_neq_f32_e64 s1, 0, v107
	s_or_b32 s1, vcc_lo, s1
	s_delay_alu instid0(SALU_CYCLE_1)
	s_and_b32 exec_lo, exec_lo, s1
	s_cbranch_execz .LBB113_368
; %bb.363:
	v_cmp_ngt_f32_e64 s1, |v106|, |v107|
                                        ; implicit-def: $vgpr116_vgpr117
	s_and_saveexec_b32 s4, s1
	s_delay_alu instid0(SALU_CYCLE_1)
	s_xor_b32 s1, exec_lo, s4
	s_cbranch_execz .LBB113_365
; %bb.364:
	v_div_scale_f32 v116, null, v107, v107, v106
	v_div_scale_f32 v119, vcc_lo, v106, v107, v106
	s_delay_alu instid0(VALU_DEP_2) | instskip(SKIP_1) | instid1(TRANS32_DEP_1)
	v_rcp_f32_e32 v117, v116
	v_nop
	v_fma_f32 v118, -v116, v117, 1.0
	s_delay_alu instid0(VALU_DEP_1) | instskip(NEXT) | instid1(VALU_DEP_1)
	v_fmac_f32_e32 v117, v118, v117
	v_mul_f32_e32 v118, v119, v117
	s_delay_alu instid0(VALU_DEP_1) | instskip(NEXT) | instid1(VALU_DEP_1)
	v_fma_f32 v120, -v116, v118, v119
	v_fmac_f32_e32 v118, v120, v117
	s_delay_alu instid0(VALU_DEP_1) | instskip(NEXT) | instid1(VALU_DEP_1)
	v_fma_f32 v116, -v116, v118, v119
	v_div_fmas_f32 v116, v116, v117, v118
	s_delay_alu instid0(VALU_DEP_1) | instskip(NEXT) | instid1(VALU_DEP_1)
	v_div_fixup_f32 v116, v116, v107, v106
	v_fmac_f32_e32 v107, v106, v116
	s_delay_alu instid0(VALU_DEP_1) | instskip(SKIP_1) | instid1(VALU_DEP_2)
	v_div_scale_f32 v106, null, v107, v107, 1.0
	v_div_scale_f32 v119, vcc_lo, 1.0, v107, 1.0
	v_rcp_f32_e32 v117, v106
	v_nop
	s_delay_alu instid0(TRANS32_DEP_1) | instskip(NEXT) | instid1(VALU_DEP_1)
	v_fma_f32 v118, -v106, v117, 1.0
	v_fmac_f32_e32 v117, v118, v117
	s_delay_alu instid0(VALU_DEP_1) | instskip(NEXT) | instid1(VALU_DEP_1)
	v_mul_f32_e32 v118, v119, v117
	v_fma_f32 v120, -v106, v118, v119
	s_delay_alu instid0(VALU_DEP_1) | instskip(NEXT) | instid1(VALU_DEP_1)
	v_fmac_f32_e32 v118, v120, v117
	v_fma_f32 v106, -v106, v118, v119
	s_delay_alu instid0(VALU_DEP_1) | instskip(NEXT) | instid1(VALU_DEP_1)
	v_div_fmas_f32 v106, v106, v117, v118
	v_div_fixup_f32 v106, v106, v107, 1.0
	s_delay_alu instid0(VALU_DEP_1)
	v_mul_f32_e32 v116, v116, v106
	v_xor_b32_e32 v117, 0x80000000, v106
                                        ; implicit-def: $vgpr106_vgpr107
.LBB113_365:
	s_and_not1_saveexec_b32 s1, s1
	s_cbranch_execz .LBB113_367
; %bb.366:
	v_div_scale_f32 v116, null, v106, v106, v107
	v_div_scale_f32 v119, vcc_lo, v107, v106, v107
	s_delay_alu instid0(VALU_DEP_2) | instskip(SKIP_1) | instid1(TRANS32_DEP_1)
	v_rcp_f32_e32 v117, v116
	v_nop
	v_fma_f32 v118, -v116, v117, 1.0
	s_delay_alu instid0(VALU_DEP_1) | instskip(NEXT) | instid1(VALU_DEP_1)
	v_fmac_f32_e32 v117, v118, v117
	v_mul_f32_e32 v118, v119, v117
	s_delay_alu instid0(VALU_DEP_1) | instskip(NEXT) | instid1(VALU_DEP_1)
	v_fma_f32 v120, -v116, v118, v119
	v_fmac_f32_e32 v118, v120, v117
	s_delay_alu instid0(VALU_DEP_1) | instskip(NEXT) | instid1(VALU_DEP_1)
	v_fma_f32 v116, -v116, v118, v119
	v_div_fmas_f32 v116, v116, v117, v118
	s_delay_alu instid0(VALU_DEP_1) | instskip(NEXT) | instid1(VALU_DEP_1)
	v_div_fixup_f32 v117, v116, v106, v107
	v_fmac_f32_e32 v106, v107, v117
	s_delay_alu instid0(VALU_DEP_1) | instskip(NEXT) | instid1(VALU_DEP_1)
	v_div_scale_f32 v107, null, v106, v106, 1.0
	v_rcp_f32_e32 v116, v107
	v_nop
	s_delay_alu instid0(TRANS32_DEP_1) | instskip(NEXT) | instid1(VALU_DEP_1)
	v_fma_f32 v118, -v107, v116, 1.0
	v_fmac_f32_e32 v116, v118, v116
	v_div_scale_f32 v118, vcc_lo, 1.0, v106, 1.0
	s_delay_alu instid0(VALU_DEP_1) | instskip(NEXT) | instid1(VALU_DEP_1)
	v_mul_f32_e32 v119, v118, v116
	v_fma_f32 v120, -v107, v119, v118
	s_delay_alu instid0(VALU_DEP_1) | instskip(NEXT) | instid1(VALU_DEP_1)
	v_fmac_f32_e32 v119, v120, v116
	v_fma_f32 v107, -v107, v119, v118
	s_delay_alu instid0(VALU_DEP_1) | instskip(NEXT) | instid1(VALU_DEP_1)
	v_div_fmas_f32 v107, v107, v116, v119
	v_div_fixup_f32 v116, v107, v106, 1.0
	s_delay_alu instid0(VALU_DEP_1)
	v_mul_f32_e64 v117, v117, -v116
.LBB113_367:
	s_or_b32 exec_lo, exec_lo, s1
	ds_store_b64 v181, v[116:117]
.LBB113_368:
	s_or_b32 exec_lo, exec_lo, s2
	s_wait_dscnt 0x0
	s_barrier_signal -1
	s_barrier_wait -1
	ds_load_b64 v[106:107], v181
	s_mov_b32 s1, exec_lo
	v_cmpx_lt_u32_e32 40, v180
	s_cbranch_execz .LBB113_370
; %bb.369:
	ds_load_2addr_b64 v[120:123], v182 offset0:41 offset1:42
	s_wait_dscnt 0x1
	v_pk_mul_f32 v[118:119], v[106:107], v[178:179] op_sel:[1,1] op_sel_hi:[0,1]
	s_delay_alu instid0(VALU_DEP_1) | instskip(SKIP_1) | instid1(VALU_DEP_1)
	v_pk_fma_f32 v[116:117], v[106:107], v[178:179], v[118:119] op_sel_hi:[1,0,1] neg_lo:[0,0,1] neg_hi:[0,0,1]
	v_pk_fma_f32 v[118:119], v[106:107], v[178:179], v[118:119] op_sel_hi:[1,0,1]
	v_dual_mov_b32 v178, v116 :: v_dual_mov_b32 v179, v119
	s_wait_dscnt 0x0
	s_delay_alu instid0(VALU_DEP_2) | instskip(NEXT) | instid1(VALU_DEP_1)
	v_pk_mul_f32 v[132:133], v[120:121], v[118:119] op_sel:[0,1]
	v_pk_fma_f32 v[134:135], v[120:121], v[116:117], v[132:133] op_sel:[0,0,1] op_sel_hi:[1,1,0] neg_lo:[0,0,1] neg_hi:[0,0,1]
	v_pk_fma_f32 v[120:121], v[120:121], v[116:117], v[132:133] op_sel:[0,0,1] op_sel_hi:[1,0,0]
	s_delay_alu instid0(VALU_DEP_1) | instskip(SKIP_1) | instid1(VALU_DEP_1)
	v_mov_b32_e32 v135, v121
	v_pk_mul_f32 v[120:121], v[122:123], v[118:119] op_sel:[0,1]
	v_pk_fma_f32 v[132:133], v[122:123], v[116:117], v[120:121] op_sel:[0,0,1] op_sel_hi:[1,1,0] neg_lo:[0,0,1] neg_hi:[0,0,1]
	v_pk_fma_f32 v[120:121], v[122:123], v[116:117], v[120:121] op_sel:[0,0,1] op_sel_hi:[1,0,0]
	s_delay_alu instid0(VALU_DEP_1)
	v_mov_b32_e32 v133, v121
	ds_load_2addr_b64 v[120:123], v182 offset0:43 offset1:44
	v_pk_add_f32 v[174:175], v[174:175], v[134:135] neg_lo:[0,1] neg_hi:[0,1]
	v_pk_add_f32 v[176:177], v[176:177], v[132:133] neg_lo:[0,1] neg_hi:[0,1]
	s_wait_dscnt 0x0
	v_pk_mul_f32 v[132:133], v[120:121], v[118:119] op_sel:[0,1]
	s_delay_alu instid0(VALU_DEP_1) | instskip(SKIP_2) | instid1(VALU_DEP_2)
	v_pk_fma_f32 v[134:135], v[120:121], v[116:117], v[132:133] op_sel:[0,0,1] op_sel_hi:[1,1,0] neg_lo:[0,0,1] neg_hi:[0,0,1]
	v_pk_fma_f32 v[120:121], v[120:121], v[116:117], v[132:133] op_sel:[0,0,1] op_sel_hi:[1,0,0]
	v_dual_mul_f32 v132, v123, v119 :: v_dual_mov_b32 v120, v123
	v_dual_mov_b32 v135, v121 :: v_dual_mov_b32 v121, v122
	s_delay_alu instid0(VALU_DEP_2) | instskip(SKIP_1) | instid1(VALU_DEP_3)
	v_pk_fma_f32 v[132:133], v[122:123], v[178:179], v[132:133] op_sel_hi:[1,1,0] neg_lo:[0,0,1] neg_hi:[0,0,1]
	v_mul_f32_e32 v122, v123, v116
	v_pk_add_f32 v[172:173], v[172:173], v[134:135] neg_lo:[0,1] neg_hi:[0,1]
	s_delay_alu instid0(VALU_DEP_2) | instskip(NEXT) | instid1(VALU_DEP_1)
	v_pk_fma_f32 v[120:121], v[120:121], v[178:179], v[122:123] op_sel_hi:[1,1,0]
	v_mov_b32_e32 v133, v121
	ds_load_2addr_b64 v[120:123], v182 offset0:45 offset1:46
	v_pk_add_f32 v[200:201], v[200:201], v[132:133] neg_lo:[0,1] neg_hi:[0,1]
	s_wait_dscnt 0x0
	v_pk_mul_f32 v[132:133], v[120:121], v[118:119] op_sel:[0,1]
	s_delay_alu instid0(VALU_DEP_1) | instskip(SKIP_1) | instid1(VALU_DEP_1)
	v_pk_fma_f32 v[134:135], v[120:121], v[116:117], v[132:133] op_sel:[0,0,1] op_sel_hi:[1,1,0] neg_lo:[0,0,1] neg_hi:[0,0,1]
	v_pk_fma_f32 v[120:121], v[120:121], v[116:117], v[132:133] op_sel:[0,0,1] op_sel_hi:[1,0,0]
	v_mov_b32_e32 v135, v121
	v_pk_mul_f32 v[120:121], v[122:123], v[118:119] op_sel:[0,1]
	s_delay_alu instid0(VALU_DEP_1) | instskip(SKIP_1) | instid1(VALU_DEP_1)
	v_pk_fma_f32 v[132:133], v[122:123], v[116:117], v[120:121] op_sel:[0,0,1] op_sel_hi:[1,1,0] neg_lo:[0,0,1] neg_hi:[0,0,1]
	v_pk_fma_f32 v[120:121], v[122:123], v[116:117], v[120:121] op_sel:[0,0,1] op_sel_hi:[1,0,0]
	v_mov_b32_e32 v133, v121
	ds_load_2addr_b64 v[120:123], v182 offset0:47 offset1:48
	v_pk_add_f32 v[196:197], v[196:197], v[134:135] neg_lo:[0,1] neg_hi:[0,1]
	v_pk_add_f32 v[198:199], v[198:199], v[132:133] neg_lo:[0,1] neg_hi:[0,1]
	s_wait_dscnt 0x0
	v_pk_mul_f32 v[132:133], v[120:121], v[118:119] op_sel:[0,1]
	s_delay_alu instid0(VALU_DEP_1) | instskip(SKIP_1) | instid1(VALU_DEP_1)
	v_pk_fma_f32 v[134:135], v[120:121], v[116:117], v[132:133] op_sel:[0,0,1] op_sel_hi:[1,1,0] neg_lo:[0,0,1] neg_hi:[0,0,1]
	v_pk_fma_f32 v[120:121], v[120:121], v[116:117], v[132:133] op_sel:[0,0,1] op_sel_hi:[1,0,0]
	v_mov_b32_e32 v135, v121
	v_pk_mul_f32 v[120:121], v[122:123], v[118:119] op_sel:[0,1]
	s_delay_alu instid0(VALU_DEP_1) | instskip(SKIP_1) | instid1(VALU_DEP_1)
	v_pk_fma_f32 v[132:133], v[122:123], v[116:117], v[120:121] op_sel:[0,0,1] op_sel_hi:[1,1,0] neg_lo:[0,0,1] neg_hi:[0,0,1]
	v_pk_fma_f32 v[120:121], v[122:123], v[116:117], v[120:121] op_sel:[0,0,1] op_sel_hi:[1,0,0]
	v_mov_b32_e32 v133, v121
	ds_load_2addr_b64 v[120:123], v182 offset0:49 offset1:50
	v_pk_add_f32 v[194:195], v[194:195], v[134:135] neg_lo:[0,1] neg_hi:[0,1]
	v_pk_add_f32 v[224:225], v[224:225], v[132:133] neg_lo:[0,1] neg_hi:[0,1]
	s_wait_dscnt 0x0
	v_dual_mul_f32 v132, v121, v119 :: v_dual_mul_f32 v134, v121, v116
	s_delay_alu instid0(VALU_DEP_1) | instskip(NEXT) | instid1(VALU_DEP_2)
	v_pk_fma_f32 v[132:133], v[120:121], v[178:179], v[132:133] op_sel_hi:[1,1,0] neg_lo:[0,0,1] neg_hi:[0,0,1]
	v_pk_fma_f32 v[120:121], v[120:121], v[178:179], v[134:135] op_sel:[1,0,0] op_sel_hi:[0,1,0]
	s_delay_alu instid0(VALU_DEP_1) | instskip(SKIP_1) | instid1(VALU_DEP_2)
	v_mov_b32_e32 v133, v121
	v_pk_mul_f32 v[120:121], v[122:123], v[118:119] op_sel:[0,1]
	v_pk_add_f32 v[216:217], v[216:217], v[132:133] neg_lo:[0,1] neg_hi:[0,1]
	s_delay_alu instid0(VALU_DEP_2) | instskip(SKIP_1) | instid1(VALU_DEP_1)
	v_pk_fma_f32 v[132:133], v[122:123], v[116:117], v[120:121] op_sel:[0,0,1] op_sel_hi:[1,1,0] neg_lo:[0,0,1] neg_hi:[0,0,1]
	v_pk_fma_f32 v[120:121], v[122:123], v[116:117], v[120:121] op_sel:[0,0,1] op_sel_hi:[1,0,0]
	v_mov_b32_e32 v133, v121
	ds_load_2addr_b64 v[120:123], v182 offset0:51 offset1:52
	v_pk_add_f32 v[222:223], v[222:223], v[132:133] neg_lo:[0,1] neg_hi:[0,1]
	s_wait_dscnt 0x0
	v_pk_mul_f32 v[132:133], v[120:121], v[118:119] op_sel:[0,1]
	s_delay_alu instid0(VALU_DEP_1) | instskip(SKIP_1) | instid1(VALU_DEP_1)
	v_pk_fma_f32 v[134:135], v[120:121], v[116:117], v[132:133] op_sel:[0,0,1] op_sel_hi:[1,1,0] neg_lo:[0,0,1] neg_hi:[0,0,1]
	v_pk_fma_f32 v[120:121], v[120:121], v[116:117], v[132:133] op_sel:[0,0,1] op_sel_hi:[1,0,0]
	v_mov_b32_e32 v135, v121
	v_pk_mul_f32 v[120:121], v[122:123], v[118:119] op_sel:[0,1]
	s_delay_alu instid0(VALU_DEP_2) | instskip(NEXT) | instid1(VALU_DEP_2)
	v_pk_add_f32 v[214:215], v[214:215], v[134:135] neg_lo:[0,1] neg_hi:[0,1]
	v_pk_fma_f32 v[132:133], v[122:123], v[116:117], v[120:121] op_sel:[0,0,1] op_sel_hi:[1,1,0] neg_lo:[0,0,1] neg_hi:[0,0,1]
	v_pk_fma_f32 v[120:121], v[122:123], v[116:117], v[120:121] op_sel:[0,0,1] op_sel_hi:[1,0,0]
	s_delay_alu instid0(VALU_DEP_1) | instskip(SKIP_4) | instid1(VALU_DEP_1)
	v_mov_b32_e32 v133, v121
	ds_load_2addr_b64 v[120:123], v182 offset0:53 offset1:54
	v_pk_add_f32 v[220:221], v[220:221], v[132:133] neg_lo:[0,1] neg_hi:[0,1]
	s_wait_dscnt 0x0
	v_pk_mul_f32 v[132:133], v[120:121], v[118:119] op_sel:[0,1]
	v_pk_fma_f32 v[134:135], v[120:121], v[116:117], v[132:133] op_sel:[0,0,1] op_sel_hi:[1,1,0] neg_lo:[0,0,1] neg_hi:[0,0,1]
	v_pk_fma_f32 v[120:121], v[120:121], v[116:117], v[132:133] op_sel:[0,0,1] op_sel_hi:[1,0,0]
	v_dual_mul_f32 v132, v123, v119 :: v_dual_mov_b32 v120, v123
	s_delay_alu instid0(VALU_DEP_2) | instskip(NEXT) | instid1(VALU_DEP_2)
	v_dual_mov_b32 v135, v121 :: v_dual_mov_b32 v121, v122
	v_pk_fma_f32 v[132:133], v[122:123], v[178:179], v[132:133] op_sel_hi:[1,1,0] neg_lo:[0,0,1] neg_hi:[0,0,1]
	v_mul_f32_e32 v122, v123, v116
	s_delay_alu instid0(VALU_DEP_3) | instskip(NEXT) | instid1(VALU_DEP_2)
	v_pk_add_f32 v[212:213], v[212:213], v[134:135] neg_lo:[0,1] neg_hi:[0,1]
	v_pk_fma_f32 v[120:121], v[120:121], v[178:179], v[122:123] op_sel_hi:[1,1,0]
	s_delay_alu instid0(VALU_DEP_1)
	v_mov_b32_e32 v133, v121
	ds_load_2addr_b64 v[120:123], v182 offset0:55 offset1:56
	v_pk_add_f32 v[218:219], v[218:219], v[132:133] neg_lo:[0,1] neg_hi:[0,1]
	s_wait_dscnt 0x0
	v_pk_mul_f32 v[132:133], v[120:121], v[118:119] op_sel:[0,1]
	v_pk_mul_f32 v[118:119], v[122:123], v[118:119] op_sel:[0,1]
	s_delay_alu instid0(VALU_DEP_2) | instskip(SKIP_1) | instid1(VALU_DEP_1)
	v_pk_fma_f32 v[134:135], v[120:121], v[116:117], v[132:133] op_sel:[0,0,1] op_sel_hi:[1,1,0] neg_lo:[0,0,1] neg_hi:[0,0,1]
	v_pk_fma_f32 v[120:121], v[120:121], v[116:117], v[132:133] op_sel:[0,0,1] op_sel_hi:[1,0,0]
	v_mov_b32_e32 v135, v121
	s_delay_alu instid0(VALU_DEP_4) | instskip(SKIP_1) | instid1(VALU_DEP_1)
	v_pk_fma_f32 v[120:121], v[122:123], v[116:117], v[118:119] op_sel:[0,0,1] op_sel_hi:[1,1,0] neg_lo:[0,0,1] neg_hi:[0,0,1]
	v_pk_fma_f32 v[116:117], v[122:123], v[116:117], v[118:119] op_sel:[0,0,1] op_sel_hi:[1,0,0]
	v_mov_b32_e32 v121, v117
	s_delay_alu instid0(VALU_DEP_4) | instskip(NEXT) | instid1(VALU_DEP_2)
	v_pk_add_f32 v[226:227], v[226:227], v[134:135] neg_lo:[0,1] neg_hi:[0,1]
	v_pk_add_f32 v[228:229], v[228:229], v[120:121] neg_lo:[0,1] neg_hi:[0,1]
.LBB113_370:
	s_or_b32 exec_lo, exec_lo, s1
	s_delay_alu instid0(SALU_CYCLE_1)
	s_mov_b32 s2, exec_lo
	s_wait_dscnt 0x0
	s_barrier_signal -1
	s_barrier_wait -1
	v_cmpx_eq_u32_e32 41, v180
	s_cbranch_execz .LBB113_377
; %bb.371:
	v_dual_mov_b32 v116, v176 :: v_dual_mov_b32 v117, v177
	v_dual_mov_b32 v118, v172 :: v_dual_mov_b32 v119, v173
	ds_store_b64 v181, v[174:175]
	ds_store_2addr_b64 v182, v[116:117], v[118:119] offset0:42 offset1:43
	v_dual_mov_b32 v116, v200 :: v_dual_mov_b32 v117, v201
	v_dual_mov_b32 v118, v196 :: v_dual_mov_b32 v119, v197
	ds_store_2addr_b64 v182, v[116:117], v[118:119] offset0:44 offset1:45
	v_dual_mov_b32 v116, v198 :: v_dual_mov_b32 v117, v199
	v_dual_mov_b32 v118, v194 :: v_dual_mov_b32 v119, v195
	;; [unrolled: 3-line block ×6, first 2 shown]
	ds_store_2addr_b64 v182, v[116:117], v[118:119] offset0:54 offset1:55
	ds_store_b64 v182, v[228:229] offset:448
	ds_load_b64 v[116:117], v181
	s_wait_dscnt 0x0
	v_cmp_neq_f32_e32 vcc_lo, 0, v116
	v_cmp_neq_f32_e64 s1, 0, v117
	s_or_b32 s1, vcc_lo, s1
	s_delay_alu instid0(SALU_CYCLE_1)
	s_and_b32 exec_lo, exec_lo, s1
	s_cbranch_execz .LBB113_377
; %bb.372:
	v_cmp_ngt_f32_e64 s1, |v116|, |v117|
                                        ; implicit-def: $vgpr118_vgpr119
	s_and_saveexec_b32 s4, s1
	s_delay_alu instid0(SALU_CYCLE_1)
	s_xor_b32 s1, exec_lo, s4
	s_cbranch_execz .LBB113_374
; %bb.373:
	v_div_scale_f32 v118, null, v117, v117, v116
	v_div_scale_f32 v121, vcc_lo, v116, v117, v116
	s_delay_alu instid0(VALU_DEP_2) | instskip(SKIP_1) | instid1(TRANS32_DEP_1)
	v_rcp_f32_e32 v119, v118
	v_nop
	v_fma_f32 v120, -v118, v119, 1.0
	s_delay_alu instid0(VALU_DEP_1) | instskip(NEXT) | instid1(VALU_DEP_1)
	v_fmac_f32_e32 v119, v120, v119
	v_mul_f32_e32 v120, v121, v119
	s_delay_alu instid0(VALU_DEP_1) | instskip(NEXT) | instid1(VALU_DEP_1)
	v_fma_f32 v122, -v118, v120, v121
	v_fmac_f32_e32 v120, v122, v119
	s_delay_alu instid0(VALU_DEP_1) | instskip(NEXT) | instid1(VALU_DEP_1)
	v_fma_f32 v118, -v118, v120, v121
	v_div_fmas_f32 v118, v118, v119, v120
	s_delay_alu instid0(VALU_DEP_1) | instskip(NEXT) | instid1(VALU_DEP_1)
	v_div_fixup_f32 v118, v118, v117, v116
	v_fmac_f32_e32 v117, v116, v118
	s_delay_alu instid0(VALU_DEP_1) | instskip(SKIP_1) | instid1(VALU_DEP_2)
	v_div_scale_f32 v116, null, v117, v117, 1.0
	v_div_scale_f32 v121, vcc_lo, 1.0, v117, 1.0
	v_rcp_f32_e32 v119, v116
	v_nop
	s_delay_alu instid0(TRANS32_DEP_1) | instskip(NEXT) | instid1(VALU_DEP_1)
	v_fma_f32 v120, -v116, v119, 1.0
	v_fmac_f32_e32 v119, v120, v119
	s_delay_alu instid0(VALU_DEP_1) | instskip(NEXT) | instid1(VALU_DEP_1)
	v_mul_f32_e32 v120, v121, v119
	v_fma_f32 v122, -v116, v120, v121
	s_delay_alu instid0(VALU_DEP_1) | instskip(NEXT) | instid1(VALU_DEP_1)
	v_fmac_f32_e32 v120, v122, v119
	v_fma_f32 v116, -v116, v120, v121
	s_delay_alu instid0(VALU_DEP_1) | instskip(NEXT) | instid1(VALU_DEP_1)
	v_div_fmas_f32 v116, v116, v119, v120
	v_div_fixup_f32 v116, v116, v117, 1.0
	s_delay_alu instid0(VALU_DEP_1)
	v_mul_f32_e32 v118, v118, v116
	v_xor_b32_e32 v119, 0x80000000, v116
                                        ; implicit-def: $vgpr116_vgpr117
.LBB113_374:
	s_and_not1_saveexec_b32 s1, s1
	s_cbranch_execz .LBB113_376
; %bb.375:
	v_div_scale_f32 v118, null, v116, v116, v117
	v_div_scale_f32 v121, vcc_lo, v117, v116, v117
	s_delay_alu instid0(VALU_DEP_2) | instskip(SKIP_1) | instid1(TRANS32_DEP_1)
	v_rcp_f32_e32 v119, v118
	v_nop
	v_fma_f32 v120, -v118, v119, 1.0
	s_delay_alu instid0(VALU_DEP_1) | instskip(NEXT) | instid1(VALU_DEP_1)
	v_fmac_f32_e32 v119, v120, v119
	v_mul_f32_e32 v120, v121, v119
	s_delay_alu instid0(VALU_DEP_1) | instskip(NEXT) | instid1(VALU_DEP_1)
	v_fma_f32 v122, -v118, v120, v121
	v_fmac_f32_e32 v120, v122, v119
	s_delay_alu instid0(VALU_DEP_1) | instskip(NEXT) | instid1(VALU_DEP_1)
	v_fma_f32 v118, -v118, v120, v121
	v_div_fmas_f32 v118, v118, v119, v120
	s_delay_alu instid0(VALU_DEP_1) | instskip(NEXT) | instid1(VALU_DEP_1)
	v_div_fixup_f32 v119, v118, v116, v117
	v_fmac_f32_e32 v116, v117, v119
	s_delay_alu instid0(VALU_DEP_1) | instskip(NEXT) | instid1(VALU_DEP_1)
	v_div_scale_f32 v117, null, v116, v116, 1.0
	v_rcp_f32_e32 v118, v117
	v_nop
	s_delay_alu instid0(TRANS32_DEP_1) | instskip(NEXT) | instid1(VALU_DEP_1)
	v_fma_f32 v120, -v117, v118, 1.0
	v_fmac_f32_e32 v118, v120, v118
	v_div_scale_f32 v120, vcc_lo, 1.0, v116, 1.0
	s_delay_alu instid0(VALU_DEP_1) | instskip(NEXT) | instid1(VALU_DEP_1)
	v_mul_f32_e32 v121, v120, v118
	v_fma_f32 v122, -v117, v121, v120
	s_delay_alu instid0(VALU_DEP_1) | instskip(NEXT) | instid1(VALU_DEP_1)
	v_fmac_f32_e32 v121, v122, v118
	v_fma_f32 v117, -v117, v121, v120
	s_delay_alu instid0(VALU_DEP_1) | instskip(NEXT) | instid1(VALU_DEP_1)
	v_div_fmas_f32 v117, v117, v118, v121
	v_div_fixup_f32 v118, v117, v116, 1.0
	s_delay_alu instid0(VALU_DEP_1)
	v_mul_f32_e64 v119, v119, -v118
.LBB113_376:
	s_or_b32 exec_lo, exec_lo, s1
	ds_store_b64 v181, v[118:119]
.LBB113_377:
	s_or_b32 exec_lo, exec_lo, s2
	s_wait_dscnt 0x0
	s_barrier_signal -1
	s_barrier_wait -1
	ds_load_b64 v[116:117], v181
	s_mov_b32 s1, exec_lo
	v_cmpx_lt_u32_e32 41, v180
	s_cbranch_execz .LBB113_379
; %bb.378:
	ds_load_2addr_b64 v[132:135], v182 offset0:42 offset1:43
	s_wait_dscnt 0x1
	v_pk_mul_f32 v[120:121], v[116:117], v[174:175] op_sel:[1,1] op_sel_hi:[0,1]
	s_delay_alu instid0(VALU_DEP_1) | instskip(SKIP_1) | instid1(VALU_DEP_1)
	v_pk_fma_f32 v[118:119], v[116:117], v[174:175], v[120:121] op_sel_hi:[1,0,1] neg_lo:[0,0,1] neg_hi:[0,0,1]
	v_pk_fma_f32 v[120:121], v[116:117], v[174:175], v[120:121] op_sel_hi:[1,0,1]
	v_dual_mov_b32 v174, v118 :: v_dual_mov_b32 v175, v121
	s_wait_dscnt 0x0
	s_delay_alu instid0(VALU_DEP_2) | instskip(NEXT) | instid1(VALU_DEP_1)
	v_pk_mul_f32 v[122:123], v[132:133], v[120:121] op_sel:[0,1]
	v_pk_fma_f32 v[136:137], v[132:133], v[118:119], v[122:123] op_sel:[0,0,1] op_sel_hi:[1,1,0] neg_lo:[0,0,1] neg_hi:[0,0,1]
	v_pk_fma_f32 v[122:123], v[132:133], v[118:119], v[122:123] op_sel:[0,0,1] op_sel_hi:[1,0,0]
	s_delay_alu instid0(VALU_DEP_1) | instskip(SKIP_1) | instid1(VALU_DEP_1)
	v_mov_b32_e32 v137, v123
	v_pk_mul_f32 v[122:123], v[134:135], v[120:121] op_sel:[0,1]
	v_pk_fma_f32 v[132:133], v[134:135], v[118:119], v[122:123] op_sel:[0,0,1] op_sel_hi:[1,1,0] neg_lo:[0,0,1] neg_hi:[0,0,1]
	v_pk_fma_f32 v[122:123], v[134:135], v[118:119], v[122:123] op_sel:[0,0,1] op_sel_hi:[1,0,0]
	s_delay_alu instid0(VALU_DEP_1) | instskip(SKIP_1) | instid1(VALU_DEP_2)
	v_mov_b32_e32 v133, v123
	v_pk_add_f32 v[176:177], v[176:177], v[136:137] neg_lo:[0,1] neg_hi:[0,1]
	v_pk_add_f32 v[172:173], v[172:173], v[132:133] neg_lo:[0,1] neg_hi:[0,1]
	ds_load_2addr_b64 v[132:135], v182 offset0:44 offset1:45
	s_wait_dscnt 0x0
	v_pk_mul_f32 v[122:123], v[132:133], v[120:121] op_sel:[0,1]
	s_delay_alu instid0(VALU_DEP_1) | instskip(SKIP_2) | instid1(VALU_DEP_2)
	v_pk_fma_f32 v[136:137], v[132:133], v[118:119], v[122:123] op_sel:[0,0,1] op_sel_hi:[1,1,0] neg_lo:[0,0,1] neg_hi:[0,0,1]
	v_pk_fma_f32 v[122:123], v[132:133], v[118:119], v[122:123] op_sel:[0,0,1] op_sel_hi:[1,0,0]
	v_dual_mul_f32 v132, v135, v121 :: v_dual_mov_b32 v122, v135
	v_dual_mov_b32 v137, v123 :: v_dual_mov_b32 v123, v134
	s_delay_alu instid0(VALU_DEP_2) | instskip(SKIP_1) | instid1(VALU_DEP_3)
	v_pk_fma_f32 v[132:133], v[134:135], v[174:175], v[132:133] op_sel_hi:[1,1,0] neg_lo:[0,0,1] neg_hi:[0,0,1]
	v_mul_f32_e32 v134, v135, v118
	v_pk_add_f32 v[200:201], v[200:201], v[136:137] neg_lo:[0,1] neg_hi:[0,1]
	s_delay_alu instid0(VALU_DEP_2) | instskip(NEXT) | instid1(VALU_DEP_1)
	v_pk_fma_f32 v[122:123], v[122:123], v[174:175], v[134:135] op_sel_hi:[1,1,0]
	v_mov_b32_e32 v133, v123
	s_delay_alu instid0(VALU_DEP_1) | instskip(SKIP_3) | instid1(VALU_DEP_1)
	v_pk_add_f32 v[196:197], v[196:197], v[132:133] neg_lo:[0,1] neg_hi:[0,1]
	ds_load_2addr_b64 v[132:135], v182 offset0:46 offset1:47
	s_wait_dscnt 0x0
	v_pk_mul_f32 v[122:123], v[132:133], v[120:121] op_sel:[0,1]
	v_pk_fma_f32 v[136:137], v[132:133], v[118:119], v[122:123] op_sel:[0,0,1] op_sel_hi:[1,1,0] neg_lo:[0,0,1] neg_hi:[0,0,1]
	v_pk_fma_f32 v[122:123], v[132:133], v[118:119], v[122:123] op_sel:[0,0,1] op_sel_hi:[1,0,0]
	s_delay_alu instid0(VALU_DEP_1) | instskip(SKIP_1) | instid1(VALU_DEP_2)
	v_mov_b32_e32 v137, v123
	v_pk_mul_f32 v[122:123], v[134:135], v[120:121] op_sel:[0,1]
	v_pk_add_f32 v[198:199], v[198:199], v[136:137] neg_lo:[0,1] neg_hi:[0,1]
	s_delay_alu instid0(VALU_DEP_2) | instskip(SKIP_1) | instid1(VALU_DEP_1)
	v_pk_fma_f32 v[132:133], v[134:135], v[118:119], v[122:123] op_sel:[0,0,1] op_sel_hi:[1,1,0] neg_lo:[0,0,1] neg_hi:[0,0,1]
	v_pk_fma_f32 v[122:123], v[134:135], v[118:119], v[122:123] op_sel:[0,0,1] op_sel_hi:[1,0,0]
	v_mov_b32_e32 v133, v123
	s_delay_alu instid0(VALU_DEP_1) | instskip(SKIP_3) | instid1(VALU_DEP_1)
	v_pk_add_f32 v[194:195], v[194:195], v[132:133] neg_lo:[0,1] neg_hi:[0,1]
	ds_load_2addr_b64 v[132:135], v182 offset0:48 offset1:49
	s_wait_dscnt 0x0
	v_pk_mul_f32 v[122:123], v[132:133], v[120:121] op_sel:[0,1]
	v_pk_fma_f32 v[136:137], v[132:133], v[118:119], v[122:123] op_sel:[0,0,1] op_sel_hi:[1,1,0] neg_lo:[0,0,1] neg_hi:[0,0,1]
	v_pk_fma_f32 v[122:123], v[132:133], v[118:119], v[122:123] op_sel:[0,0,1] op_sel_hi:[1,0,0]
	s_delay_alu instid0(VALU_DEP_1) | instskip(SKIP_1) | instid1(VALU_DEP_2)
	v_mov_b32_e32 v137, v123
	v_pk_mul_f32 v[122:123], v[134:135], v[120:121] op_sel:[0,1]
	v_pk_add_f32 v[224:225], v[224:225], v[136:137] neg_lo:[0,1] neg_hi:[0,1]
	s_delay_alu instid0(VALU_DEP_2) | instskip(SKIP_1) | instid1(VALU_DEP_1)
	v_pk_fma_f32 v[132:133], v[134:135], v[118:119], v[122:123] op_sel:[0,0,1] op_sel_hi:[1,1,0] neg_lo:[0,0,1] neg_hi:[0,0,1]
	v_pk_fma_f32 v[122:123], v[134:135], v[118:119], v[122:123] op_sel:[0,0,1] op_sel_hi:[1,0,0]
	v_mov_b32_e32 v133, v123
	s_delay_alu instid0(VALU_DEP_1) | instskip(SKIP_3) | instid1(VALU_DEP_1)
	v_pk_add_f32 v[216:217], v[216:217], v[132:133] neg_lo:[0,1] neg_hi:[0,1]
	ds_load_2addr_b64 v[132:135], v182 offset0:50 offset1:51
	s_wait_dscnt 0x0
	v_dual_mul_f32 v122, v133, v121 :: v_dual_mul_f32 v136, v133, v118
	v_pk_fma_f32 v[122:123], v[132:133], v[174:175], v[122:123] op_sel_hi:[1,1,0] neg_lo:[0,0,1] neg_hi:[0,0,1]
	s_delay_alu instid0(VALU_DEP_2) | instskip(NEXT) | instid1(VALU_DEP_1)
	v_pk_fma_f32 v[132:133], v[132:133], v[174:175], v[136:137] op_sel:[1,0,0] op_sel_hi:[0,1,0]
	v_mov_b32_e32 v123, v133
	s_delay_alu instid0(VALU_DEP_1) | instskip(SKIP_1) | instid1(VALU_DEP_1)
	v_pk_add_f32 v[222:223], v[222:223], v[122:123] neg_lo:[0,1] neg_hi:[0,1]
	v_pk_mul_f32 v[122:123], v[134:135], v[120:121] op_sel:[0,1]
	v_pk_fma_f32 v[132:133], v[134:135], v[118:119], v[122:123] op_sel:[0,0,1] op_sel_hi:[1,1,0] neg_lo:[0,0,1] neg_hi:[0,0,1]
	v_pk_fma_f32 v[122:123], v[134:135], v[118:119], v[122:123] op_sel:[0,0,1] op_sel_hi:[1,0,0]
	s_delay_alu instid0(VALU_DEP_1) | instskip(NEXT) | instid1(VALU_DEP_1)
	v_mov_b32_e32 v133, v123
	v_pk_add_f32 v[214:215], v[214:215], v[132:133] neg_lo:[0,1] neg_hi:[0,1]
	ds_load_2addr_b64 v[132:135], v182 offset0:52 offset1:53
	s_wait_dscnt 0x0
	v_pk_mul_f32 v[122:123], v[132:133], v[120:121] op_sel:[0,1]
	s_delay_alu instid0(VALU_DEP_1) | instskip(SKIP_1) | instid1(VALU_DEP_1)
	v_pk_fma_f32 v[136:137], v[132:133], v[118:119], v[122:123] op_sel:[0,0,1] op_sel_hi:[1,1,0] neg_lo:[0,0,1] neg_hi:[0,0,1]
	v_pk_fma_f32 v[122:123], v[132:133], v[118:119], v[122:123] op_sel:[0,0,1] op_sel_hi:[1,0,0]
	v_mov_b32_e32 v137, v123
	v_pk_mul_f32 v[122:123], v[134:135], v[120:121] op_sel:[0,1]
	s_delay_alu instid0(VALU_DEP_2) | instskip(NEXT) | instid1(VALU_DEP_2)
	v_pk_add_f32 v[220:221], v[220:221], v[136:137] neg_lo:[0,1] neg_hi:[0,1]
	v_pk_fma_f32 v[132:133], v[134:135], v[118:119], v[122:123] op_sel:[0,0,1] op_sel_hi:[1,1,0] neg_lo:[0,0,1] neg_hi:[0,0,1]
	v_pk_fma_f32 v[122:123], v[134:135], v[118:119], v[122:123] op_sel:[0,0,1] op_sel_hi:[1,0,0]
	s_delay_alu instid0(VALU_DEP_1) | instskip(NEXT) | instid1(VALU_DEP_1)
	v_mov_b32_e32 v133, v123
	v_pk_add_f32 v[212:213], v[212:213], v[132:133] neg_lo:[0,1] neg_hi:[0,1]
	ds_load_2addr_b64 v[132:135], v182 offset0:54 offset1:55
	s_wait_dscnt 0x0
	v_pk_mul_f32 v[122:123], v[132:133], v[120:121] op_sel:[0,1]
	s_delay_alu instid0(VALU_DEP_1) | instskip(SKIP_2) | instid1(VALU_DEP_2)
	v_pk_fma_f32 v[136:137], v[132:133], v[118:119], v[122:123] op_sel:[0,0,1] op_sel_hi:[1,1,0] neg_lo:[0,0,1] neg_hi:[0,0,1]
	v_pk_fma_f32 v[122:123], v[132:133], v[118:119], v[122:123] op_sel:[0,0,1] op_sel_hi:[1,0,0]
	v_dual_mul_f32 v132, v135, v121 :: v_dual_mov_b32 v122, v135
	v_dual_mov_b32 v137, v123 :: v_dual_mov_b32 v123, v134
	s_delay_alu instid0(VALU_DEP_2) | instskip(SKIP_1) | instid1(VALU_DEP_3)
	v_pk_fma_f32 v[132:133], v[134:135], v[174:175], v[132:133] op_sel_hi:[1,1,0] neg_lo:[0,0,1] neg_hi:[0,0,1]
	v_mul_f32_e32 v134, v135, v118
	v_pk_add_f32 v[218:219], v[218:219], v[136:137] neg_lo:[0,1] neg_hi:[0,1]
	s_delay_alu instid0(VALU_DEP_2) | instskip(NEXT) | instid1(VALU_DEP_1)
	v_pk_fma_f32 v[122:123], v[122:123], v[174:175], v[134:135] op_sel_hi:[1,1,0]
	v_mov_b32_e32 v133, v123
	ds_load_b64 v[122:123], v182 offset:448
	v_pk_add_f32 v[226:227], v[226:227], v[132:133] neg_lo:[0,1] neg_hi:[0,1]
	s_wait_dscnt 0x0
	v_pk_mul_f32 v[120:121], v[122:123], v[120:121] op_sel:[0,1]
	s_delay_alu instid0(VALU_DEP_1) | instskip(SKIP_1) | instid1(VALU_DEP_1)
	v_pk_fma_f32 v[132:133], v[122:123], v[118:119], v[120:121] op_sel:[0,0,1] op_sel_hi:[1,1,0] neg_lo:[0,0,1] neg_hi:[0,0,1]
	v_pk_fma_f32 v[118:119], v[122:123], v[118:119], v[120:121] op_sel:[0,0,1] op_sel_hi:[1,0,0]
	v_mov_b32_e32 v133, v119
	s_delay_alu instid0(VALU_DEP_1)
	v_pk_add_f32 v[228:229], v[228:229], v[132:133] neg_lo:[0,1] neg_hi:[0,1]
.LBB113_379:
	s_or_b32 exec_lo, exec_lo, s1
	s_delay_alu instid0(SALU_CYCLE_1)
	s_mov_b32 s2, exec_lo
	s_wait_dscnt 0x0
	s_barrier_signal -1
	s_barrier_wait -1
	v_cmpx_eq_u32_e32 42, v180
	s_cbranch_execz .LBB113_386
; %bb.380:
	ds_store_b64 v181, v[176:177]
	ds_store_2addr_b64 v182, v[172:173], v[200:201] offset0:43 offset1:44
	ds_store_2addr_b64 v182, v[196:197], v[198:199] offset0:45 offset1:46
	;; [unrolled: 1-line block ×7, first 2 shown]
	ds_load_b64 v[118:119], v181
	s_wait_dscnt 0x0
	v_cmp_neq_f32_e32 vcc_lo, 0, v118
	v_cmp_neq_f32_e64 s1, 0, v119
	s_or_b32 s1, vcc_lo, s1
	s_delay_alu instid0(SALU_CYCLE_1)
	s_and_b32 exec_lo, exec_lo, s1
	s_cbranch_execz .LBB113_386
; %bb.381:
	v_cmp_ngt_f32_e64 s1, |v118|, |v119|
                                        ; implicit-def: $vgpr120_vgpr121
	s_and_saveexec_b32 s4, s1
	s_delay_alu instid0(SALU_CYCLE_1)
	s_xor_b32 s1, exec_lo, s4
	s_cbranch_execz .LBB113_383
; %bb.382:
	v_div_scale_f32 v120, null, v119, v119, v118
	v_div_scale_f32 v123, vcc_lo, v118, v119, v118
	s_delay_alu instid0(VALU_DEP_2) | instskip(SKIP_1) | instid1(TRANS32_DEP_1)
	v_rcp_f32_e32 v121, v120
	v_nop
	v_fma_f32 v122, -v120, v121, 1.0
	s_delay_alu instid0(VALU_DEP_1) | instskip(NEXT) | instid1(VALU_DEP_1)
	v_fmac_f32_e32 v121, v122, v121
	v_mul_f32_e32 v122, v123, v121
	s_delay_alu instid0(VALU_DEP_1) | instskip(NEXT) | instid1(VALU_DEP_1)
	v_fma_f32 v132, -v120, v122, v123
	v_fmac_f32_e32 v122, v132, v121
	s_delay_alu instid0(VALU_DEP_1) | instskip(NEXT) | instid1(VALU_DEP_1)
	v_fma_f32 v120, -v120, v122, v123
	v_div_fmas_f32 v120, v120, v121, v122
	s_delay_alu instid0(VALU_DEP_1) | instskip(NEXT) | instid1(VALU_DEP_1)
	v_div_fixup_f32 v120, v120, v119, v118
	v_fmac_f32_e32 v119, v118, v120
	s_delay_alu instid0(VALU_DEP_1) | instskip(SKIP_1) | instid1(VALU_DEP_2)
	v_div_scale_f32 v118, null, v119, v119, 1.0
	v_div_scale_f32 v123, vcc_lo, 1.0, v119, 1.0
	v_rcp_f32_e32 v121, v118
	v_nop
	s_delay_alu instid0(TRANS32_DEP_1) | instskip(NEXT) | instid1(VALU_DEP_1)
	v_fma_f32 v122, -v118, v121, 1.0
	v_fmac_f32_e32 v121, v122, v121
	s_delay_alu instid0(VALU_DEP_1) | instskip(NEXT) | instid1(VALU_DEP_1)
	v_mul_f32_e32 v122, v123, v121
	v_fma_f32 v132, -v118, v122, v123
	s_delay_alu instid0(VALU_DEP_1) | instskip(NEXT) | instid1(VALU_DEP_1)
	v_fmac_f32_e32 v122, v132, v121
	v_fma_f32 v118, -v118, v122, v123
	s_delay_alu instid0(VALU_DEP_1) | instskip(NEXT) | instid1(VALU_DEP_1)
	v_div_fmas_f32 v118, v118, v121, v122
	v_div_fixup_f32 v118, v118, v119, 1.0
	s_delay_alu instid0(VALU_DEP_1)
	v_mul_f32_e32 v120, v120, v118
	v_xor_b32_e32 v121, 0x80000000, v118
                                        ; implicit-def: $vgpr118_vgpr119
.LBB113_383:
	s_and_not1_saveexec_b32 s1, s1
	s_cbranch_execz .LBB113_385
; %bb.384:
	v_div_scale_f32 v120, null, v118, v118, v119
	v_div_scale_f32 v123, vcc_lo, v119, v118, v119
	s_delay_alu instid0(VALU_DEP_2) | instskip(SKIP_1) | instid1(TRANS32_DEP_1)
	v_rcp_f32_e32 v121, v120
	v_nop
	v_fma_f32 v122, -v120, v121, 1.0
	s_delay_alu instid0(VALU_DEP_1) | instskip(NEXT) | instid1(VALU_DEP_1)
	v_fmac_f32_e32 v121, v122, v121
	v_mul_f32_e32 v122, v123, v121
	s_delay_alu instid0(VALU_DEP_1) | instskip(NEXT) | instid1(VALU_DEP_1)
	v_fma_f32 v132, -v120, v122, v123
	v_fmac_f32_e32 v122, v132, v121
	s_delay_alu instid0(VALU_DEP_1) | instskip(NEXT) | instid1(VALU_DEP_1)
	v_fma_f32 v120, -v120, v122, v123
	v_div_fmas_f32 v120, v120, v121, v122
	s_delay_alu instid0(VALU_DEP_1) | instskip(NEXT) | instid1(VALU_DEP_1)
	v_div_fixup_f32 v121, v120, v118, v119
	v_fmac_f32_e32 v118, v119, v121
	s_delay_alu instid0(VALU_DEP_1) | instskip(NEXT) | instid1(VALU_DEP_1)
	v_div_scale_f32 v119, null, v118, v118, 1.0
	v_rcp_f32_e32 v120, v119
	v_nop
	s_delay_alu instid0(TRANS32_DEP_1) | instskip(NEXT) | instid1(VALU_DEP_1)
	v_fma_f32 v122, -v119, v120, 1.0
	v_fmac_f32_e32 v120, v122, v120
	v_div_scale_f32 v122, vcc_lo, 1.0, v118, 1.0
	s_delay_alu instid0(VALU_DEP_1) | instskip(NEXT) | instid1(VALU_DEP_1)
	v_mul_f32_e32 v123, v122, v120
	v_fma_f32 v132, -v119, v123, v122
	s_delay_alu instid0(VALU_DEP_1) | instskip(NEXT) | instid1(VALU_DEP_1)
	v_fmac_f32_e32 v123, v132, v120
	v_fma_f32 v119, -v119, v123, v122
	s_delay_alu instid0(VALU_DEP_1) | instskip(NEXT) | instid1(VALU_DEP_1)
	v_div_fmas_f32 v119, v119, v120, v123
	v_div_fixup_f32 v120, v119, v118, 1.0
	s_delay_alu instid0(VALU_DEP_1)
	v_mul_f32_e64 v121, v121, -v120
.LBB113_385:
	s_or_b32 exec_lo, exec_lo, s1
	ds_store_b64 v181, v[120:121]
.LBB113_386:
	s_or_b32 exec_lo, exec_lo, s2
	s_wait_dscnt 0x0
	s_barrier_signal -1
	s_barrier_wait -1
	ds_load_b64 v[118:119], v181
	s_mov_b32 s1, exec_lo
	v_cmpx_lt_u32_e32 42, v180
	s_cbranch_execz .LBB113_388
; %bb.387:
	ds_load_2addr_b64 v[132:135], v182 offset0:43 offset1:44
	s_wait_dscnt 0x1
	v_pk_mul_f32 v[122:123], v[118:119], v[176:177] op_sel:[1,1] op_sel_hi:[0,1]
	s_delay_alu instid0(VALU_DEP_1) | instskip(SKIP_1) | instid1(VALU_DEP_1)
	v_pk_fma_f32 v[120:121], v[118:119], v[176:177], v[122:123] op_sel_hi:[1,0,1] neg_lo:[0,0,1] neg_hi:[0,0,1]
	v_pk_fma_f32 v[122:123], v[118:119], v[176:177], v[122:123] op_sel_hi:[1,0,1]
	v_dual_mov_b32 v176, v120 :: v_dual_mov_b32 v177, v123
	s_wait_dscnt 0x0
	s_delay_alu instid0(VALU_DEP_2) | instskip(NEXT) | instid1(VALU_DEP_1)
	v_pk_mul_f32 v[136:137], v[132:133], v[122:123] op_sel:[0,1]
	v_pk_fma_f32 v[138:139], v[132:133], v[120:121], v[136:137] op_sel:[0,0,1] op_sel_hi:[1,1,0] neg_lo:[0,0,1] neg_hi:[0,0,1]
	v_pk_fma_f32 v[132:133], v[132:133], v[120:121], v[136:137] op_sel:[0,0,1] op_sel_hi:[1,0,0]
	s_delay_alu instid0(VALU_DEP_1) | instskip(SKIP_1) | instid1(VALU_DEP_1)
	v_mov_b32_e32 v139, v133
	v_pk_mul_f32 v[132:133], v[134:135], v[122:123] op_sel:[0,1]
	v_pk_fma_f32 v[136:137], v[134:135], v[120:121], v[132:133] op_sel:[0,0,1] op_sel_hi:[1,1,0] neg_lo:[0,0,1] neg_hi:[0,0,1]
	v_pk_fma_f32 v[132:133], v[134:135], v[120:121], v[132:133] op_sel:[0,0,1] op_sel_hi:[1,0,0]
	s_delay_alu instid0(VALU_DEP_1)
	v_mov_b32_e32 v137, v133
	ds_load_2addr_b64 v[132:135], v182 offset0:45 offset1:46
	v_pk_add_f32 v[172:173], v[172:173], v[138:139] neg_lo:[0,1] neg_hi:[0,1]
	v_pk_add_f32 v[200:201], v[200:201], v[136:137] neg_lo:[0,1] neg_hi:[0,1]
	s_wait_dscnt 0x0
	v_pk_mul_f32 v[136:137], v[132:133], v[122:123] op_sel:[0,1]
	s_delay_alu instid0(VALU_DEP_1) | instskip(SKIP_2) | instid1(VALU_DEP_2)
	v_pk_fma_f32 v[138:139], v[132:133], v[120:121], v[136:137] op_sel:[0,0,1] op_sel_hi:[1,1,0] neg_lo:[0,0,1] neg_hi:[0,0,1]
	v_pk_fma_f32 v[132:133], v[132:133], v[120:121], v[136:137] op_sel:[0,0,1] op_sel_hi:[1,0,0]
	v_dual_mul_f32 v136, v135, v123 :: v_dual_mov_b32 v132, v135
	v_dual_mov_b32 v139, v133 :: v_dual_mov_b32 v133, v134
	s_delay_alu instid0(VALU_DEP_2) | instskip(SKIP_1) | instid1(VALU_DEP_3)
	v_pk_fma_f32 v[136:137], v[134:135], v[176:177], v[136:137] op_sel_hi:[1,1,0] neg_lo:[0,0,1] neg_hi:[0,0,1]
	v_mul_f32_e32 v134, v135, v120
	v_pk_add_f32 v[196:197], v[196:197], v[138:139] neg_lo:[0,1] neg_hi:[0,1]
	s_delay_alu instid0(VALU_DEP_2) | instskip(NEXT) | instid1(VALU_DEP_1)
	v_pk_fma_f32 v[132:133], v[132:133], v[176:177], v[134:135] op_sel_hi:[1,1,0]
	v_mov_b32_e32 v137, v133
	ds_load_2addr_b64 v[132:135], v182 offset0:47 offset1:48
	v_pk_add_f32 v[198:199], v[198:199], v[136:137] neg_lo:[0,1] neg_hi:[0,1]
	s_wait_dscnt 0x0
	v_pk_mul_f32 v[136:137], v[132:133], v[122:123] op_sel:[0,1]
	s_delay_alu instid0(VALU_DEP_1) | instskip(SKIP_1) | instid1(VALU_DEP_1)
	v_pk_fma_f32 v[138:139], v[132:133], v[120:121], v[136:137] op_sel:[0,0,1] op_sel_hi:[1,1,0] neg_lo:[0,0,1] neg_hi:[0,0,1]
	v_pk_fma_f32 v[132:133], v[132:133], v[120:121], v[136:137] op_sel:[0,0,1] op_sel_hi:[1,0,0]
	v_mov_b32_e32 v139, v133
	v_pk_mul_f32 v[132:133], v[134:135], v[122:123] op_sel:[0,1]
	s_delay_alu instid0(VALU_DEP_1) | instskip(SKIP_1) | instid1(VALU_DEP_1)
	v_pk_fma_f32 v[136:137], v[134:135], v[120:121], v[132:133] op_sel:[0,0,1] op_sel_hi:[1,1,0] neg_lo:[0,0,1] neg_hi:[0,0,1]
	v_pk_fma_f32 v[132:133], v[134:135], v[120:121], v[132:133] op_sel:[0,0,1] op_sel_hi:[1,0,0]
	v_mov_b32_e32 v137, v133
	ds_load_2addr_b64 v[132:135], v182 offset0:49 offset1:50
	v_pk_add_f32 v[194:195], v[194:195], v[138:139] neg_lo:[0,1] neg_hi:[0,1]
	v_pk_add_f32 v[224:225], v[224:225], v[136:137] neg_lo:[0,1] neg_hi:[0,1]
	s_wait_dscnt 0x0
	v_pk_mul_f32 v[136:137], v[132:133], v[122:123] op_sel:[0,1]
	s_delay_alu instid0(VALU_DEP_1) | instskip(SKIP_1) | instid1(VALU_DEP_1)
	v_pk_fma_f32 v[138:139], v[132:133], v[120:121], v[136:137] op_sel:[0,0,1] op_sel_hi:[1,1,0] neg_lo:[0,0,1] neg_hi:[0,0,1]
	v_pk_fma_f32 v[132:133], v[132:133], v[120:121], v[136:137] op_sel:[0,0,1] op_sel_hi:[1,0,0]
	v_mov_b32_e32 v139, v133
	v_pk_mul_f32 v[132:133], v[134:135], v[122:123] op_sel:[0,1]
	s_delay_alu instid0(VALU_DEP_1) | instskip(SKIP_1) | instid1(VALU_DEP_1)
	v_pk_fma_f32 v[136:137], v[134:135], v[120:121], v[132:133] op_sel:[0,0,1] op_sel_hi:[1,1,0] neg_lo:[0,0,1] neg_hi:[0,0,1]
	v_pk_fma_f32 v[132:133], v[134:135], v[120:121], v[132:133] op_sel:[0,0,1] op_sel_hi:[1,0,0]
	v_mov_b32_e32 v137, v133
	ds_load_2addr_b64 v[132:135], v182 offset0:51 offset1:52
	v_pk_add_f32 v[216:217], v[216:217], v[138:139] neg_lo:[0,1] neg_hi:[0,1]
	v_pk_add_f32 v[222:223], v[222:223], v[136:137] neg_lo:[0,1] neg_hi:[0,1]
	s_wait_dscnt 0x0
	v_dual_mul_f32 v136, v133, v123 :: v_dual_mul_f32 v138, v133, v120
	s_delay_alu instid0(VALU_DEP_1) | instskip(NEXT) | instid1(VALU_DEP_2)
	v_pk_fma_f32 v[136:137], v[132:133], v[176:177], v[136:137] op_sel_hi:[1,1,0] neg_lo:[0,0,1] neg_hi:[0,0,1]
	v_pk_fma_f32 v[132:133], v[132:133], v[176:177], v[138:139] op_sel:[1,0,0] op_sel_hi:[0,1,0]
	s_delay_alu instid0(VALU_DEP_1) | instskip(SKIP_1) | instid1(VALU_DEP_2)
	v_mov_b32_e32 v137, v133
	v_pk_mul_f32 v[132:133], v[134:135], v[122:123] op_sel:[0,1]
	v_pk_add_f32 v[214:215], v[214:215], v[136:137] neg_lo:[0,1] neg_hi:[0,1]
	s_delay_alu instid0(VALU_DEP_2) | instskip(SKIP_1) | instid1(VALU_DEP_1)
	v_pk_fma_f32 v[136:137], v[134:135], v[120:121], v[132:133] op_sel:[0,0,1] op_sel_hi:[1,1,0] neg_lo:[0,0,1] neg_hi:[0,0,1]
	v_pk_fma_f32 v[132:133], v[134:135], v[120:121], v[132:133] op_sel:[0,0,1] op_sel_hi:[1,0,0]
	v_mov_b32_e32 v137, v133
	ds_load_2addr_b64 v[132:135], v182 offset0:53 offset1:54
	v_pk_add_f32 v[220:221], v[220:221], v[136:137] neg_lo:[0,1] neg_hi:[0,1]
	s_wait_dscnt 0x0
	v_pk_mul_f32 v[136:137], v[132:133], v[122:123] op_sel:[0,1]
	s_delay_alu instid0(VALU_DEP_1) | instskip(SKIP_1) | instid1(VALU_DEP_1)
	v_pk_fma_f32 v[138:139], v[132:133], v[120:121], v[136:137] op_sel:[0,0,1] op_sel_hi:[1,1,0] neg_lo:[0,0,1] neg_hi:[0,0,1]
	v_pk_fma_f32 v[132:133], v[132:133], v[120:121], v[136:137] op_sel:[0,0,1] op_sel_hi:[1,0,0]
	v_mov_b32_e32 v139, v133
	v_pk_mul_f32 v[132:133], v[134:135], v[122:123] op_sel:[0,1]
	s_delay_alu instid0(VALU_DEP_2) | instskip(NEXT) | instid1(VALU_DEP_2)
	v_pk_add_f32 v[212:213], v[212:213], v[138:139] neg_lo:[0,1] neg_hi:[0,1]
	v_pk_fma_f32 v[136:137], v[134:135], v[120:121], v[132:133] op_sel:[0,0,1] op_sel_hi:[1,1,0] neg_lo:[0,0,1] neg_hi:[0,0,1]
	v_pk_fma_f32 v[132:133], v[134:135], v[120:121], v[132:133] op_sel:[0,0,1] op_sel_hi:[1,0,0]
	s_delay_alu instid0(VALU_DEP_1)
	v_mov_b32_e32 v137, v133
	ds_load_2addr_b64 v[132:135], v182 offset0:55 offset1:56
	v_pk_add_f32 v[218:219], v[218:219], v[136:137] neg_lo:[0,1] neg_hi:[0,1]
	s_wait_dscnt 0x0
	v_pk_mul_f32 v[136:137], v[132:133], v[122:123] op_sel:[0,1]
	v_pk_mul_f32 v[122:123], v[134:135], v[122:123] op_sel:[0,1]
	s_delay_alu instid0(VALU_DEP_2) | instskip(SKIP_1) | instid1(VALU_DEP_1)
	v_pk_fma_f32 v[138:139], v[132:133], v[120:121], v[136:137] op_sel:[0,0,1] op_sel_hi:[1,1,0] neg_lo:[0,0,1] neg_hi:[0,0,1]
	v_pk_fma_f32 v[132:133], v[132:133], v[120:121], v[136:137] op_sel:[0,0,1] op_sel_hi:[1,0,0]
	v_mov_b32_e32 v139, v133
	s_delay_alu instid0(VALU_DEP_4) | instskip(SKIP_1) | instid1(VALU_DEP_3)
	v_pk_fma_f32 v[132:133], v[134:135], v[120:121], v[122:123] op_sel:[0,0,1] op_sel_hi:[1,1,0] neg_lo:[0,0,1] neg_hi:[0,0,1]
	v_pk_fma_f32 v[120:121], v[134:135], v[120:121], v[122:123] op_sel:[0,0,1] op_sel_hi:[1,0,0]
	v_pk_add_f32 v[226:227], v[226:227], v[138:139] neg_lo:[0,1] neg_hi:[0,1]
	s_delay_alu instid0(VALU_DEP_2) | instskip(NEXT) | instid1(VALU_DEP_1)
	v_mov_b32_e32 v133, v121
	v_pk_add_f32 v[228:229], v[228:229], v[132:133] neg_lo:[0,1] neg_hi:[0,1]
.LBB113_388:
	s_or_b32 exec_lo, exec_lo, s1
	s_delay_alu instid0(SALU_CYCLE_1)
	s_mov_b32 s2, exec_lo
	s_wait_dscnt 0x0
	s_barrier_signal -1
	s_barrier_wait -1
	v_cmpx_eq_u32_e32 43, v180
	s_cbranch_execz .LBB113_395
; %bb.389:
	v_dual_mov_b32 v120, v200 :: v_dual_mov_b32 v121, v201
	v_dual_mov_b32 v122, v196 :: v_dual_mov_b32 v123, v197
	ds_store_b64 v181, v[172:173]
	ds_store_2addr_b64 v182, v[120:121], v[122:123] offset0:44 offset1:45
	v_dual_mov_b32 v120, v198 :: v_dual_mov_b32 v121, v199
	v_dual_mov_b32 v122, v194 :: v_dual_mov_b32 v123, v195
	ds_store_2addr_b64 v182, v[120:121], v[122:123] offset0:46 offset1:47
	v_dual_mov_b32 v120, v224 :: v_dual_mov_b32 v121, v225
	v_dual_mov_b32 v122, v216 :: v_dual_mov_b32 v123, v217
	;; [unrolled: 3-line block ×5, first 2 shown]
	ds_store_2addr_b64 v182, v[120:121], v[122:123] offset0:54 offset1:55
	ds_store_b64 v182, v[228:229] offset:448
	ds_load_b64 v[120:121], v181
	s_wait_dscnt 0x0
	v_cmp_neq_f32_e32 vcc_lo, 0, v120
	v_cmp_neq_f32_e64 s1, 0, v121
	s_or_b32 s1, vcc_lo, s1
	s_delay_alu instid0(SALU_CYCLE_1)
	s_and_b32 exec_lo, exec_lo, s1
	s_cbranch_execz .LBB113_395
; %bb.390:
	v_cmp_ngt_f32_e64 s1, |v120|, |v121|
                                        ; implicit-def: $vgpr122_vgpr123
	s_and_saveexec_b32 s4, s1
	s_delay_alu instid0(SALU_CYCLE_1)
	s_xor_b32 s1, exec_lo, s4
	s_cbranch_execz .LBB113_392
; %bb.391:
	v_div_scale_f32 v122, null, v121, v121, v120
	v_div_scale_f32 v133, vcc_lo, v120, v121, v120
	s_delay_alu instid0(VALU_DEP_2) | instskip(SKIP_1) | instid1(TRANS32_DEP_1)
	v_rcp_f32_e32 v123, v122
	v_nop
	v_fma_f32 v132, -v122, v123, 1.0
	s_delay_alu instid0(VALU_DEP_1) | instskip(NEXT) | instid1(VALU_DEP_1)
	v_fmac_f32_e32 v123, v132, v123
	v_mul_f32_e32 v132, v133, v123
	s_delay_alu instid0(VALU_DEP_1) | instskip(NEXT) | instid1(VALU_DEP_1)
	v_fma_f32 v134, -v122, v132, v133
	v_fmac_f32_e32 v132, v134, v123
	s_delay_alu instid0(VALU_DEP_1) | instskip(NEXT) | instid1(VALU_DEP_1)
	v_fma_f32 v122, -v122, v132, v133
	v_div_fmas_f32 v122, v122, v123, v132
	s_delay_alu instid0(VALU_DEP_1) | instskip(NEXT) | instid1(VALU_DEP_1)
	v_div_fixup_f32 v122, v122, v121, v120
	v_fmac_f32_e32 v121, v120, v122
	s_delay_alu instid0(VALU_DEP_1) | instskip(SKIP_1) | instid1(VALU_DEP_2)
	v_div_scale_f32 v120, null, v121, v121, 1.0
	v_div_scale_f32 v133, vcc_lo, 1.0, v121, 1.0
	v_rcp_f32_e32 v123, v120
	v_nop
	s_delay_alu instid0(TRANS32_DEP_1) | instskip(NEXT) | instid1(VALU_DEP_1)
	v_fma_f32 v132, -v120, v123, 1.0
	v_fmac_f32_e32 v123, v132, v123
	s_delay_alu instid0(VALU_DEP_1) | instskip(NEXT) | instid1(VALU_DEP_1)
	v_mul_f32_e32 v132, v133, v123
	v_fma_f32 v134, -v120, v132, v133
	s_delay_alu instid0(VALU_DEP_1) | instskip(NEXT) | instid1(VALU_DEP_1)
	v_fmac_f32_e32 v132, v134, v123
	v_fma_f32 v120, -v120, v132, v133
	s_delay_alu instid0(VALU_DEP_1) | instskip(NEXT) | instid1(VALU_DEP_1)
	v_div_fmas_f32 v120, v120, v123, v132
	v_div_fixup_f32 v120, v120, v121, 1.0
	s_delay_alu instid0(VALU_DEP_1)
	v_mul_f32_e32 v122, v122, v120
	v_xor_b32_e32 v123, 0x80000000, v120
                                        ; implicit-def: $vgpr120_vgpr121
.LBB113_392:
	s_and_not1_saveexec_b32 s1, s1
	s_cbranch_execz .LBB113_394
; %bb.393:
	v_div_scale_f32 v122, null, v120, v120, v121
	v_div_scale_f32 v133, vcc_lo, v121, v120, v121
	s_delay_alu instid0(VALU_DEP_2) | instskip(SKIP_1) | instid1(TRANS32_DEP_1)
	v_rcp_f32_e32 v123, v122
	v_nop
	v_fma_f32 v132, -v122, v123, 1.0
	s_delay_alu instid0(VALU_DEP_1) | instskip(NEXT) | instid1(VALU_DEP_1)
	v_fmac_f32_e32 v123, v132, v123
	v_mul_f32_e32 v132, v133, v123
	s_delay_alu instid0(VALU_DEP_1) | instskip(NEXT) | instid1(VALU_DEP_1)
	v_fma_f32 v134, -v122, v132, v133
	v_fmac_f32_e32 v132, v134, v123
	s_delay_alu instid0(VALU_DEP_1) | instskip(NEXT) | instid1(VALU_DEP_1)
	v_fma_f32 v122, -v122, v132, v133
	v_div_fmas_f32 v122, v122, v123, v132
	s_delay_alu instid0(VALU_DEP_1) | instskip(NEXT) | instid1(VALU_DEP_1)
	v_div_fixup_f32 v123, v122, v120, v121
	v_fmac_f32_e32 v120, v121, v123
	s_delay_alu instid0(VALU_DEP_1) | instskip(NEXT) | instid1(VALU_DEP_1)
	v_div_scale_f32 v121, null, v120, v120, 1.0
	v_rcp_f32_e32 v122, v121
	v_nop
	s_delay_alu instid0(TRANS32_DEP_1) | instskip(NEXT) | instid1(VALU_DEP_1)
	v_fma_f32 v132, -v121, v122, 1.0
	v_fmac_f32_e32 v122, v132, v122
	v_div_scale_f32 v132, vcc_lo, 1.0, v120, 1.0
	s_delay_alu instid0(VALU_DEP_1) | instskip(NEXT) | instid1(VALU_DEP_1)
	v_mul_f32_e32 v133, v132, v122
	v_fma_f32 v134, -v121, v133, v132
	s_delay_alu instid0(VALU_DEP_1) | instskip(NEXT) | instid1(VALU_DEP_1)
	v_fmac_f32_e32 v133, v134, v122
	v_fma_f32 v121, -v121, v133, v132
	s_delay_alu instid0(VALU_DEP_1) | instskip(NEXT) | instid1(VALU_DEP_1)
	v_div_fmas_f32 v121, v121, v122, v133
	v_div_fixup_f32 v122, v121, v120, 1.0
	s_delay_alu instid0(VALU_DEP_1)
	v_mul_f32_e64 v123, v123, -v122
.LBB113_394:
	s_or_b32 exec_lo, exec_lo, s1
	ds_store_b64 v181, v[122:123]
.LBB113_395:
	s_or_b32 exec_lo, exec_lo, s2
	s_wait_dscnt 0x0
	s_barrier_signal -1
	s_barrier_wait -1
	ds_load_b64 v[120:121], v181
	s_mov_b32 s1, exec_lo
	v_cmpx_lt_u32_e32 43, v180
	s_cbranch_execz .LBB113_397
; %bb.396:
	ds_load_2addr_b64 v[134:137], v182 offset0:44 offset1:45
	s_wait_dscnt 0x1
	v_pk_mul_f32 v[132:133], v[120:121], v[172:173] op_sel:[1,1] op_sel_hi:[0,1]
	s_delay_alu instid0(VALU_DEP_1) | instskip(SKIP_1) | instid1(VALU_DEP_1)
	v_pk_fma_f32 v[122:123], v[120:121], v[172:173], v[132:133] op_sel_hi:[1,0,1] neg_lo:[0,0,1] neg_hi:[0,0,1]
	v_pk_fma_f32 v[132:133], v[120:121], v[172:173], v[132:133] op_sel_hi:[1,0,1]
	v_dual_mov_b32 v172, v122 :: v_dual_mov_b32 v173, v133
	s_wait_dscnt 0x0
	s_delay_alu instid0(VALU_DEP_2) | instskip(NEXT) | instid1(VALU_DEP_1)
	v_pk_mul_f32 v[138:139], v[134:135], v[132:133] op_sel:[0,1]
	v_pk_fma_f32 v[148:149], v[134:135], v[122:123], v[138:139] op_sel:[0,0,1] op_sel_hi:[1,1,0] neg_lo:[0,0,1] neg_hi:[0,0,1]
	v_pk_fma_f32 v[134:135], v[134:135], v[122:123], v[138:139] op_sel:[0,0,1] op_sel_hi:[1,0,0]
	s_delay_alu instid0(VALU_DEP_1) | instskip(SKIP_1) | instid1(VALU_DEP_1)
	v_mov_b32_e32 v149, v135
	v_pk_mul_f32 v[134:135], v[136:137], v[132:133] op_sel:[0,1]
	v_pk_fma_f32 v[138:139], v[136:137], v[122:123], v[134:135] op_sel:[0,0,1] op_sel_hi:[1,1,0] neg_lo:[0,0,1] neg_hi:[0,0,1]
	v_pk_fma_f32 v[134:135], v[136:137], v[122:123], v[134:135] op_sel:[0,0,1] op_sel_hi:[1,0,0]
	s_delay_alu instid0(VALU_DEP_1)
	v_mov_b32_e32 v139, v135
	ds_load_2addr_b64 v[134:137], v182 offset0:46 offset1:47
	v_pk_add_f32 v[200:201], v[200:201], v[148:149] neg_lo:[0,1] neg_hi:[0,1]
	v_pk_add_f32 v[196:197], v[196:197], v[138:139] neg_lo:[0,1] neg_hi:[0,1]
	s_wait_dscnt 0x0
	v_pk_mul_f32 v[138:139], v[134:135], v[132:133] op_sel:[0,1]
	s_delay_alu instid0(VALU_DEP_1) | instskip(SKIP_2) | instid1(VALU_DEP_2)
	v_pk_fma_f32 v[148:149], v[134:135], v[122:123], v[138:139] op_sel:[0,0,1] op_sel_hi:[1,1,0] neg_lo:[0,0,1] neg_hi:[0,0,1]
	v_pk_fma_f32 v[134:135], v[134:135], v[122:123], v[138:139] op_sel:[0,0,1] op_sel_hi:[1,0,0]
	v_dual_mul_f32 v138, v137, v133 :: v_dual_mov_b32 v134, v137
	v_dual_mov_b32 v149, v135 :: v_dual_mov_b32 v135, v136
	s_delay_alu instid0(VALU_DEP_2) | instskip(SKIP_1) | instid1(VALU_DEP_3)
	v_pk_fma_f32 v[138:139], v[136:137], v[172:173], v[138:139] op_sel_hi:[1,1,0] neg_lo:[0,0,1] neg_hi:[0,0,1]
	v_mul_f32_e32 v136, v137, v122
	v_pk_add_f32 v[198:199], v[198:199], v[148:149] neg_lo:[0,1] neg_hi:[0,1]
	s_delay_alu instid0(VALU_DEP_2) | instskip(NEXT) | instid1(VALU_DEP_1)
	v_pk_fma_f32 v[134:135], v[134:135], v[172:173], v[136:137] op_sel_hi:[1,1,0]
	v_mov_b32_e32 v139, v135
	ds_load_2addr_b64 v[134:137], v182 offset0:48 offset1:49
	v_pk_add_f32 v[194:195], v[194:195], v[138:139] neg_lo:[0,1] neg_hi:[0,1]
	s_wait_dscnt 0x0
	v_pk_mul_f32 v[138:139], v[134:135], v[132:133] op_sel:[0,1]
	s_delay_alu instid0(VALU_DEP_1) | instskip(SKIP_1) | instid1(VALU_DEP_1)
	v_pk_fma_f32 v[148:149], v[134:135], v[122:123], v[138:139] op_sel:[0,0,1] op_sel_hi:[1,1,0] neg_lo:[0,0,1] neg_hi:[0,0,1]
	v_pk_fma_f32 v[134:135], v[134:135], v[122:123], v[138:139] op_sel:[0,0,1] op_sel_hi:[1,0,0]
	v_mov_b32_e32 v149, v135
	v_pk_mul_f32 v[134:135], v[136:137], v[132:133] op_sel:[0,1]
	s_delay_alu instid0(VALU_DEP_1) | instskip(SKIP_1) | instid1(VALU_DEP_1)
	v_pk_fma_f32 v[138:139], v[136:137], v[122:123], v[134:135] op_sel:[0,0,1] op_sel_hi:[1,1,0] neg_lo:[0,0,1] neg_hi:[0,0,1]
	v_pk_fma_f32 v[134:135], v[136:137], v[122:123], v[134:135] op_sel:[0,0,1] op_sel_hi:[1,0,0]
	v_mov_b32_e32 v139, v135
	ds_load_2addr_b64 v[134:137], v182 offset0:50 offset1:51
	v_pk_add_f32 v[224:225], v[224:225], v[148:149] neg_lo:[0,1] neg_hi:[0,1]
	v_pk_add_f32 v[216:217], v[216:217], v[138:139] neg_lo:[0,1] neg_hi:[0,1]
	s_wait_dscnt 0x0
	v_pk_mul_f32 v[138:139], v[134:135], v[132:133] op_sel:[0,1]
	s_delay_alu instid0(VALU_DEP_1) | instskip(SKIP_1) | instid1(VALU_DEP_1)
	v_pk_fma_f32 v[148:149], v[134:135], v[122:123], v[138:139] op_sel:[0,0,1] op_sel_hi:[1,1,0] neg_lo:[0,0,1] neg_hi:[0,0,1]
	v_pk_fma_f32 v[134:135], v[134:135], v[122:123], v[138:139] op_sel:[0,0,1] op_sel_hi:[1,0,0]
	v_mov_b32_e32 v149, v135
	v_pk_mul_f32 v[134:135], v[136:137], v[132:133] op_sel:[0,1]
	s_delay_alu instid0(VALU_DEP_1) | instskip(SKIP_1) | instid1(VALU_DEP_1)
	v_pk_fma_f32 v[138:139], v[136:137], v[122:123], v[134:135] op_sel:[0,0,1] op_sel_hi:[1,1,0] neg_lo:[0,0,1] neg_hi:[0,0,1]
	v_pk_fma_f32 v[134:135], v[136:137], v[122:123], v[134:135] op_sel:[0,0,1] op_sel_hi:[1,0,0]
	v_mov_b32_e32 v139, v135
	ds_load_2addr_b64 v[134:137], v182 offset0:52 offset1:53
	v_pk_add_f32 v[222:223], v[222:223], v[148:149] neg_lo:[0,1] neg_hi:[0,1]
	v_pk_add_f32 v[214:215], v[214:215], v[138:139] neg_lo:[0,1] neg_hi:[0,1]
	s_wait_dscnt 0x0
	v_dual_mul_f32 v138, v135, v133 :: v_dual_mul_f32 v148, v135, v122
	s_delay_alu instid0(VALU_DEP_1) | instskip(NEXT) | instid1(VALU_DEP_2)
	v_pk_fma_f32 v[138:139], v[134:135], v[172:173], v[138:139] op_sel_hi:[1,1,0] neg_lo:[0,0,1] neg_hi:[0,0,1]
	v_pk_fma_f32 v[134:135], v[134:135], v[172:173], v[148:149] op_sel:[1,0,0] op_sel_hi:[0,1,0]
	s_delay_alu instid0(VALU_DEP_1) | instskip(SKIP_1) | instid1(VALU_DEP_2)
	v_mov_b32_e32 v139, v135
	v_pk_mul_f32 v[134:135], v[136:137], v[132:133] op_sel:[0,1]
	v_pk_add_f32 v[220:221], v[220:221], v[138:139] neg_lo:[0,1] neg_hi:[0,1]
	s_delay_alu instid0(VALU_DEP_2) | instskip(SKIP_1) | instid1(VALU_DEP_1)
	v_pk_fma_f32 v[138:139], v[136:137], v[122:123], v[134:135] op_sel:[0,0,1] op_sel_hi:[1,1,0] neg_lo:[0,0,1] neg_hi:[0,0,1]
	v_pk_fma_f32 v[134:135], v[136:137], v[122:123], v[134:135] op_sel:[0,0,1] op_sel_hi:[1,0,0]
	v_mov_b32_e32 v139, v135
	ds_load_2addr_b64 v[134:137], v182 offset0:54 offset1:55
	v_pk_add_f32 v[212:213], v[212:213], v[138:139] neg_lo:[0,1] neg_hi:[0,1]
	s_wait_dscnt 0x0
	v_pk_mul_f32 v[138:139], v[134:135], v[132:133] op_sel:[0,1]
	s_delay_alu instid0(VALU_DEP_1) | instskip(SKIP_1) | instid1(VALU_DEP_1)
	v_pk_fma_f32 v[148:149], v[134:135], v[122:123], v[138:139] op_sel:[0,0,1] op_sel_hi:[1,1,0] neg_lo:[0,0,1] neg_hi:[0,0,1]
	v_pk_fma_f32 v[134:135], v[134:135], v[122:123], v[138:139] op_sel:[0,0,1] op_sel_hi:[1,0,0]
	v_mov_b32_e32 v149, v135
	v_pk_mul_f32 v[134:135], v[136:137], v[132:133] op_sel:[0,1]
	s_delay_alu instid0(VALU_DEP_2) | instskip(NEXT) | instid1(VALU_DEP_2)
	v_pk_add_f32 v[218:219], v[218:219], v[148:149] neg_lo:[0,1] neg_hi:[0,1]
	v_pk_fma_f32 v[138:139], v[136:137], v[122:123], v[134:135] op_sel:[0,0,1] op_sel_hi:[1,1,0] neg_lo:[0,0,1] neg_hi:[0,0,1]
	v_pk_fma_f32 v[134:135], v[136:137], v[122:123], v[134:135] op_sel:[0,0,1] op_sel_hi:[1,0,0]
	s_delay_alu instid0(VALU_DEP_1) | instskip(SKIP_4) | instid1(VALU_DEP_1)
	v_mov_b32_e32 v139, v135
	ds_load_b64 v[134:135], v182 offset:448
	v_pk_add_f32 v[226:227], v[226:227], v[138:139] neg_lo:[0,1] neg_hi:[0,1]
	s_wait_dscnt 0x0
	v_pk_mul_f32 v[132:133], v[134:135], v[132:133] op_sel:[0,1]
	v_pk_fma_f32 v[136:137], v[134:135], v[122:123], v[132:133] op_sel:[0,0,1] op_sel_hi:[1,1,0] neg_lo:[0,0,1] neg_hi:[0,0,1]
	v_pk_fma_f32 v[122:123], v[134:135], v[122:123], v[132:133] op_sel:[0,0,1] op_sel_hi:[1,0,0]
	s_delay_alu instid0(VALU_DEP_1) | instskip(NEXT) | instid1(VALU_DEP_1)
	v_mov_b32_e32 v137, v123
	v_pk_add_f32 v[228:229], v[228:229], v[136:137] neg_lo:[0,1] neg_hi:[0,1]
.LBB113_397:
	s_or_b32 exec_lo, exec_lo, s1
	s_delay_alu instid0(SALU_CYCLE_1)
	s_mov_b32 s2, exec_lo
	s_wait_dscnt 0x0
	s_barrier_signal -1
	s_barrier_wait -1
	v_cmpx_eq_u32_e32 44, v180
	s_cbranch_execz .LBB113_404
; %bb.398:
	ds_store_b64 v181, v[200:201]
	ds_store_2addr_b64 v182, v[196:197], v[198:199] offset0:45 offset1:46
	ds_store_2addr_b64 v182, v[194:195], v[224:225] offset0:47 offset1:48
	;; [unrolled: 1-line block ×6, first 2 shown]
	ds_load_b64 v[122:123], v181
	s_wait_dscnt 0x0
	v_cmp_neq_f32_e32 vcc_lo, 0, v122
	v_cmp_neq_f32_e64 s1, 0, v123
	s_or_b32 s1, vcc_lo, s1
	s_delay_alu instid0(SALU_CYCLE_1)
	s_and_b32 exec_lo, exec_lo, s1
	s_cbranch_execz .LBB113_404
; %bb.399:
	v_cmp_ngt_f32_e64 s1, |v122|, |v123|
                                        ; implicit-def: $vgpr132_vgpr133
	s_and_saveexec_b32 s4, s1
	s_delay_alu instid0(SALU_CYCLE_1)
	s_xor_b32 s1, exec_lo, s4
	s_cbranch_execz .LBB113_401
; %bb.400:
	v_div_scale_f32 v132, null, v123, v123, v122
	v_div_scale_f32 v135, vcc_lo, v122, v123, v122
	s_delay_alu instid0(VALU_DEP_2) | instskip(SKIP_1) | instid1(TRANS32_DEP_1)
	v_rcp_f32_e32 v133, v132
	v_nop
	v_fma_f32 v134, -v132, v133, 1.0
	s_delay_alu instid0(VALU_DEP_1) | instskip(NEXT) | instid1(VALU_DEP_1)
	v_fmac_f32_e32 v133, v134, v133
	v_mul_f32_e32 v134, v135, v133
	s_delay_alu instid0(VALU_DEP_1) | instskip(NEXT) | instid1(VALU_DEP_1)
	v_fma_f32 v136, -v132, v134, v135
	v_fmac_f32_e32 v134, v136, v133
	s_delay_alu instid0(VALU_DEP_1) | instskip(NEXT) | instid1(VALU_DEP_1)
	v_fma_f32 v132, -v132, v134, v135
	v_div_fmas_f32 v132, v132, v133, v134
	s_delay_alu instid0(VALU_DEP_1) | instskip(NEXT) | instid1(VALU_DEP_1)
	v_div_fixup_f32 v132, v132, v123, v122
	v_fmac_f32_e32 v123, v122, v132
	s_delay_alu instid0(VALU_DEP_1) | instskip(SKIP_1) | instid1(VALU_DEP_2)
	v_div_scale_f32 v122, null, v123, v123, 1.0
	v_div_scale_f32 v135, vcc_lo, 1.0, v123, 1.0
	v_rcp_f32_e32 v133, v122
	v_nop
	s_delay_alu instid0(TRANS32_DEP_1) | instskip(NEXT) | instid1(VALU_DEP_1)
	v_fma_f32 v134, -v122, v133, 1.0
	v_fmac_f32_e32 v133, v134, v133
	s_delay_alu instid0(VALU_DEP_1) | instskip(NEXT) | instid1(VALU_DEP_1)
	v_mul_f32_e32 v134, v135, v133
	v_fma_f32 v136, -v122, v134, v135
	s_delay_alu instid0(VALU_DEP_1) | instskip(NEXT) | instid1(VALU_DEP_1)
	v_fmac_f32_e32 v134, v136, v133
	v_fma_f32 v122, -v122, v134, v135
	s_delay_alu instid0(VALU_DEP_1) | instskip(NEXT) | instid1(VALU_DEP_1)
	v_div_fmas_f32 v122, v122, v133, v134
	v_div_fixup_f32 v122, v122, v123, 1.0
	s_delay_alu instid0(VALU_DEP_1)
	v_mul_f32_e32 v132, v132, v122
	v_xor_b32_e32 v133, 0x80000000, v122
                                        ; implicit-def: $vgpr122_vgpr123
.LBB113_401:
	s_and_not1_saveexec_b32 s1, s1
	s_cbranch_execz .LBB113_403
; %bb.402:
	v_div_scale_f32 v132, null, v122, v122, v123
	v_div_scale_f32 v135, vcc_lo, v123, v122, v123
	s_delay_alu instid0(VALU_DEP_2) | instskip(SKIP_1) | instid1(TRANS32_DEP_1)
	v_rcp_f32_e32 v133, v132
	v_nop
	v_fma_f32 v134, -v132, v133, 1.0
	s_delay_alu instid0(VALU_DEP_1) | instskip(NEXT) | instid1(VALU_DEP_1)
	v_fmac_f32_e32 v133, v134, v133
	v_mul_f32_e32 v134, v135, v133
	s_delay_alu instid0(VALU_DEP_1) | instskip(NEXT) | instid1(VALU_DEP_1)
	v_fma_f32 v136, -v132, v134, v135
	v_fmac_f32_e32 v134, v136, v133
	s_delay_alu instid0(VALU_DEP_1) | instskip(NEXT) | instid1(VALU_DEP_1)
	v_fma_f32 v132, -v132, v134, v135
	v_div_fmas_f32 v132, v132, v133, v134
	s_delay_alu instid0(VALU_DEP_1) | instskip(NEXT) | instid1(VALU_DEP_1)
	v_div_fixup_f32 v133, v132, v122, v123
	v_fmac_f32_e32 v122, v123, v133
	s_delay_alu instid0(VALU_DEP_1) | instskip(NEXT) | instid1(VALU_DEP_1)
	v_div_scale_f32 v123, null, v122, v122, 1.0
	v_rcp_f32_e32 v132, v123
	v_nop
	s_delay_alu instid0(TRANS32_DEP_1) | instskip(NEXT) | instid1(VALU_DEP_1)
	v_fma_f32 v134, -v123, v132, 1.0
	v_fmac_f32_e32 v132, v134, v132
	v_div_scale_f32 v134, vcc_lo, 1.0, v122, 1.0
	s_delay_alu instid0(VALU_DEP_1) | instskip(NEXT) | instid1(VALU_DEP_1)
	v_mul_f32_e32 v135, v134, v132
	v_fma_f32 v136, -v123, v135, v134
	s_delay_alu instid0(VALU_DEP_1) | instskip(NEXT) | instid1(VALU_DEP_1)
	v_fmac_f32_e32 v135, v136, v132
	v_fma_f32 v123, -v123, v135, v134
	s_delay_alu instid0(VALU_DEP_1) | instskip(NEXT) | instid1(VALU_DEP_1)
	v_div_fmas_f32 v123, v123, v132, v135
	v_div_fixup_f32 v132, v123, v122, 1.0
	s_delay_alu instid0(VALU_DEP_1)
	v_mul_f32_e64 v133, v133, -v132
.LBB113_403:
	s_or_b32 exec_lo, exec_lo, s1
	ds_store_b64 v181, v[132:133]
.LBB113_404:
	s_or_b32 exec_lo, exec_lo, s2
	s_wait_dscnt 0x0
	s_barrier_signal -1
	s_barrier_wait -1
	ds_load_b64 v[122:123], v181
	s_mov_b32 s1, exec_lo
	v_cmpx_lt_u32_e32 44, v180
	s_cbranch_execz .LBB113_406
; %bb.405:
	ds_load_2addr_b64 v[136:139], v182 offset0:45 offset1:46
	s_wait_dscnt 0x1
	v_pk_mul_f32 v[134:135], v[122:123], v[200:201] op_sel:[1,1] op_sel_hi:[0,1]
	s_delay_alu instid0(VALU_DEP_1) | instskip(SKIP_1) | instid1(VALU_DEP_1)
	v_pk_fma_f32 v[132:133], v[122:123], v[200:201], v[134:135] op_sel_hi:[1,0,1] neg_lo:[0,0,1] neg_hi:[0,0,1]
	v_pk_fma_f32 v[134:135], v[122:123], v[200:201], v[134:135] op_sel_hi:[1,0,1]
	v_dual_mov_b32 v200, v132 :: v_dual_mov_b32 v201, v135
	s_wait_dscnt 0x0
	s_delay_alu instid0(VALU_DEP_2) | instskip(NEXT) | instid1(VALU_DEP_1)
	v_pk_mul_f32 v[148:149], v[136:137], v[134:135] op_sel:[0,1]
	v_pk_fma_f32 v[150:151], v[136:137], v[132:133], v[148:149] op_sel:[0,0,1] op_sel_hi:[1,1,0] neg_lo:[0,0,1] neg_hi:[0,0,1]
	v_pk_fma_f32 v[136:137], v[136:137], v[132:133], v[148:149] op_sel:[0,0,1] op_sel_hi:[1,0,0]
	s_delay_alu instid0(VALU_DEP_1) | instskip(SKIP_1) | instid1(VALU_DEP_1)
	v_mov_b32_e32 v151, v137
	v_pk_mul_f32 v[136:137], v[138:139], v[134:135] op_sel:[0,1]
	v_pk_fma_f32 v[148:149], v[138:139], v[132:133], v[136:137] op_sel:[0,0,1] op_sel_hi:[1,1,0] neg_lo:[0,0,1] neg_hi:[0,0,1]
	v_pk_fma_f32 v[136:137], v[138:139], v[132:133], v[136:137] op_sel:[0,0,1] op_sel_hi:[1,0,0]
	s_delay_alu instid0(VALU_DEP_1)
	v_mov_b32_e32 v149, v137
	ds_load_2addr_b64 v[136:139], v182 offset0:47 offset1:48
	v_pk_add_f32 v[196:197], v[196:197], v[150:151] neg_lo:[0,1] neg_hi:[0,1]
	v_pk_add_f32 v[198:199], v[198:199], v[148:149] neg_lo:[0,1] neg_hi:[0,1]
	s_wait_dscnt 0x0
	v_pk_mul_f32 v[148:149], v[136:137], v[134:135] op_sel:[0,1]
	s_delay_alu instid0(VALU_DEP_1) | instskip(SKIP_2) | instid1(VALU_DEP_2)
	v_pk_fma_f32 v[150:151], v[136:137], v[132:133], v[148:149] op_sel:[0,0,1] op_sel_hi:[1,1,0] neg_lo:[0,0,1] neg_hi:[0,0,1]
	v_pk_fma_f32 v[136:137], v[136:137], v[132:133], v[148:149] op_sel:[0,0,1] op_sel_hi:[1,0,0]
	v_dual_mul_f32 v148, v139, v135 :: v_dual_mov_b32 v136, v139
	v_dual_mov_b32 v151, v137 :: v_dual_mov_b32 v137, v138
	s_delay_alu instid0(VALU_DEP_2) | instskip(SKIP_1) | instid1(VALU_DEP_3)
	v_pk_fma_f32 v[148:149], v[138:139], v[200:201], v[148:149] op_sel_hi:[1,1,0] neg_lo:[0,0,1] neg_hi:[0,0,1]
	v_mul_f32_e32 v138, v139, v132
	v_pk_add_f32 v[194:195], v[194:195], v[150:151] neg_lo:[0,1] neg_hi:[0,1]
	s_delay_alu instid0(VALU_DEP_2) | instskip(NEXT) | instid1(VALU_DEP_1)
	v_pk_fma_f32 v[136:137], v[136:137], v[200:201], v[138:139] op_sel_hi:[1,1,0]
	v_mov_b32_e32 v149, v137
	ds_load_2addr_b64 v[136:139], v182 offset0:49 offset1:50
	v_pk_add_f32 v[224:225], v[224:225], v[148:149] neg_lo:[0,1] neg_hi:[0,1]
	s_wait_dscnt 0x0
	v_pk_mul_f32 v[148:149], v[136:137], v[134:135] op_sel:[0,1]
	s_delay_alu instid0(VALU_DEP_1) | instskip(SKIP_1) | instid1(VALU_DEP_1)
	v_pk_fma_f32 v[150:151], v[136:137], v[132:133], v[148:149] op_sel:[0,0,1] op_sel_hi:[1,1,0] neg_lo:[0,0,1] neg_hi:[0,0,1]
	v_pk_fma_f32 v[136:137], v[136:137], v[132:133], v[148:149] op_sel:[0,0,1] op_sel_hi:[1,0,0]
	v_mov_b32_e32 v151, v137
	v_pk_mul_f32 v[136:137], v[138:139], v[134:135] op_sel:[0,1]
	s_delay_alu instid0(VALU_DEP_1) | instskip(SKIP_1) | instid1(VALU_DEP_1)
	v_pk_fma_f32 v[148:149], v[138:139], v[132:133], v[136:137] op_sel:[0,0,1] op_sel_hi:[1,1,0] neg_lo:[0,0,1] neg_hi:[0,0,1]
	v_pk_fma_f32 v[136:137], v[138:139], v[132:133], v[136:137] op_sel:[0,0,1] op_sel_hi:[1,0,0]
	v_mov_b32_e32 v149, v137
	ds_load_2addr_b64 v[136:139], v182 offset0:51 offset1:52
	v_pk_add_f32 v[216:217], v[216:217], v[150:151] neg_lo:[0,1] neg_hi:[0,1]
	v_pk_add_f32 v[222:223], v[222:223], v[148:149] neg_lo:[0,1] neg_hi:[0,1]
	s_wait_dscnt 0x0
	v_pk_mul_f32 v[148:149], v[136:137], v[134:135] op_sel:[0,1]
	s_delay_alu instid0(VALU_DEP_1) | instskip(SKIP_1) | instid1(VALU_DEP_1)
	v_pk_fma_f32 v[150:151], v[136:137], v[132:133], v[148:149] op_sel:[0,0,1] op_sel_hi:[1,1,0] neg_lo:[0,0,1] neg_hi:[0,0,1]
	v_pk_fma_f32 v[136:137], v[136:137], v[132:133], v[148:149] op_sel:[0,0,1] op_sel_hi:[1,0,0]
	v_mov_b32_e32 v151, v137
	v_pk_mul_f32 v[136:137], v[138:139], v[134:135] op_sel:[0,1]
	s_delay_alu instid0(VALU_DEP_1) | instskip(SKIP_1) | instid1(VALU_DEP_1)
	v_pk_fma_f32 v[148:149], v[138:139], v[132:133], v[136:137] op_sel:[0,0,1] op_sel_hi:[1,1,0] neg_lo:[0,0,1] neg_hi:[0,0,1]
	v_pk_fma_f32 v[136:137], v[138:139], v[132:133], v[136:137] op_sel:[0,0,1] op_sel_hi:[1,0,0]
	v_mov_b32_e32 v149, v137
	ds_load_2addr_b64 v[136:139], v182 offset0:53 offset1:54
	v_pk_add_f32 v[214:215], v[214:215], v[150:151] neg_lo:[0,1] neg_hi:[0,1]
	v_pk_add_f32 v[220:221], v[220:221], v[148:149] neg_lo:[0,1] neg_hi:[0,1]
	s_wait_dscnt 0x0
	v_dual_mul_f32 v148, v137, v135 :: v_dual_mul_f32 v150, v137, v132
	s_delay_alu instid0(VALU_DEP_1) | instskip(NEXT) | instid1(VALU_DEP_2)
	v_pk_fma_f32 v[148:149], v[136:137], v[200:201], v[148:149] op_sel_hi:[1,1,0] neg_lo:[0,0,1] neg_hi:[0,0,1]
	v_pk_fma_f32 v[136:137], v[136:137], v[200:201], v[150:151] op_sel:[1,0,0] op_sel_hi:[0,1,0]
	s_delay_alu instid0(VALU_DEP_1) | instskip(SKIP_1) | instid1(VALU_DEP_2)
	v_mov_b32_e32 v149, v137
	v_pk_mul_f32 v[136:137], v[138:139], v[134:135] op_sel:[0,1]
	v_pk_add_f32 v[212:213], v[212:213], v[148:149] neg_lo:[0,1] neg_hi:[0,1]
	s_delay_alu instid0(VALU_DEP_2) | instskip(SKIP_1) | instid1(VALU_DEP_1)
	v_pk_fma_f32 v[148:149], v[138:139], v[132:133], v[136:137] op_sel:[0,0,1] op_sel_hi:[1,1,0] neg_lo:[0,0,1] neg_hi:[0,0,1]
	v_pk_fma_f32 v[136:137], v[138:139], v[132:133], v[136:137] op_sel:[0,0,1] op_sel_hi:[1,0,0]
	v_mov_b32_e32 v149, v137
	ds_load_2addr_b64 v[136:139], v182 offset0:55 offset1:56
	v_pk_add_f32 v[218:219], v[218:219], v[148:149] neg_lo:[0,1] neg_hi:[0,1]
	s_wait_dscnt 0x0
	v_pk_mul_f32 v[148:149], v[136:137], v[134:135] op_sel:[0,1]
	v_mul_f32_e32 v134, v139, v135
	s_delay_alu instid0(VALU_DEP_2) | instskip(SKIP_2) | instid1(VALU_DEP_4)
	v_pk_fma_f32 v[150:151], v[136:137], v[132:133], v[148:149] op_sel:[0,0,1] op_sel_hi:[1,1,0] neg_lo:[0,0,1] neg_hi:[0,0,1]
	v_pk_fma_f32 v[136:137], v[136:137], v[132:133], v[148:149] op_sel:[0,0,1] op_sel_hi:[1,0,0]
	v_dual_mov_b32 v136, v139 :: v_dual_mul_f32 v132, v139, v132
	v_pk_fma_f32 v[134:135], v[138:139], v[200:201], v[134:135] op_sel_hi:[1,1,0] neg_lo:[0,0,1] neg_hi:[0,0,1]
	s_delay_alu instid0(VALU_DEP_3) | instskip(NEXT) | instid1(VALU_DEP_1)
	v_dual_mov_b32 v151, v137 :: v_dual_mov_b32 v137, v138
	v_pk_add_f32 v[226:227], v[226:227], v[150:151] neg_lo:[0,1] neg_hi:[0,1]
	s_delay_alu instid0(VALU_DEP_2) | instskip(NEXT) | instid1(VALU_DEP_1)
	v_pk_fma_f32 v[132:133], v[136:137], v[200:201], v[132:133] op_sel_hi:[1,1,0]
	v_mov_b32_e32 v135, v133
	s_delay_alu instid0(VALU_DEP_1)
	v_pk_add_f32 v[228:229], v[228:229], v[134:135] neg_lo:[0,1] neg_hi:[0,1]
.LBB113_406:
	s_or_b32 exec_lo, exec_lo, s1
	s_delay_alu instid0(SALU_CYCLE_1)
	s_mov_b32 s2, exec_lo
	s_wait_dscnt 0x0
	s_barrier_signal -1
	s_barrier_wait -1
	v_cmpx_eq_u32_e32 45, v180
	s_cbranch_execz .LBB113_413
; %bb.407:
	v_dual_mov_b32 v132, v198 :: v_dual_mov_b32 v133, v199
	v_dual_mov_b32 v134, v194 :: v_dual_mov_b32 v135, v195
	ds_store_b64 v181, v[196:197]
	ds_store_2addr_b64 v182, v[132:133], v[134:135] offset0:46 offset1:47
	v_dual_mov_b32 v132, v224 :: v_dual_mov_b32 v133, v225
	v_dual_mov_b32 v134, v216 :: v_dual_mov_b32 v135, v217
	ds_store_2addr_b64 v182, v[132:133], v[134:135] offset0:48 offset1:49
	v_dual_mov_b32 v132, v222 :: v_dual_mov_b32 v133, v223
	v_dual_mov_b32 v134, v214 :: v_dual_mov_b32 v135, v215
	;; [unrolled: 3-line block ×4, first 2 shown]
	ds_store_2addr_b64 v182, v[132:133], v[134:135] offset0:54 offset1:55
	ds_store_b64 v182, v[228:229] offset:448
	ds_load_b64 v[132:133], v181
	s_wait_dscnt 0x0
	v_cmp_neq_f32_e32 vcc_lo, 0, v132
	v_cmp_neq_f32_e64 s1, 0, v133
	s_or_b32 s1, vcc_lo, s1
	s_delay_alu instid0(SALU_CYCLE_1)
	s_and_b32 exec_lo, exec_lo, s1
	s_cbranch_execz .LBB113_413
; %bb.408:
	v_cmp_ngt_f32_e64 s1, |v132|, |v133|
                                        ; implicit-def: $vgpr134_vgpr135
	s_and_saveexec_b32 s4, s1
	s_delay_alu instid0(SALU_CYCLE_1)
	s_xor_b32 s1, exec_lo, s4
	s_cbranch_execz .LBB113_410
; %bb.409:
	v_div_scale_f32 v134, null, v133, v133, v132
	v_div_scale_f32 v137, vcc_lo, v132, v133, v132
	s_delay_alu instid0(VALU_DEP_2) | instskip(SKIP_1) | instid1(TRANS32_DEP_1)
	v_rcp_f32_e32 v135, v134
	v_nop
	v_fma_f32 v136, -v134, v135, 1.0
	s_delay_alu instid0(VALU_DEP_1) | instskip(NEXT) | instid1(VALU_DEP_1)
	v_fmac_f32_e32 v135, v136, v135
	v_mul_f32_e32 v136, v137, v135
	s_delay_alu instid0(VALU_DEP_1) | instskip(NEXT) | instid1(VALU_DEP_1)
	v_fma_f32 v138, -v134, v136, v137
	v_fmac_f32_e32 v136, v138, v135
	s_delay_alu instid0(VALU_DEP_1) | instskip(NEXT) | instid1(VALU_DEP_1)
	v_fma_f32 v134, -v134, v136, v137
	v_div_fmas_f32 v134, v134, v135, v136
	s_delay_alu instid0(VALU_DEP_1) | instskip(NEXT) | instid1(VALU_DEP_1)
	v_div_fixup_f32 v134, v134, v133, v132
	v_fmac_f32_e32 v133, v132, v134
	s_delay_alu instid0(VALU_DEP_1) | instskip(SKIP_1) | instid1(VALU_DEP_2)
	v_div_scale_f32 v132, null, v133, v133, 1.0
	v_div_scale_f32 v137, vcc_lo, 1.0, v133, 1.0
	v_rcp_f32_e32 v135, v132
	v_nop
	s_delay_alu instid0(TRANS32_DEP_1) | instskip(NEXT) | instid1(VALU_DEP_1)
	v_fma_f32 v136, -v132, v135, 1.0
	v_fmac_f32_e32 v135, v136, v135
	s_delay_alu instid0(VALU_DEP_1) | instskip(NEXT) | instid1(VALU_DEP_1)
	v_mul_f32_e32 v136, v137, v135
	v_fma_f32 v138, -v132, v136, v137
	s_delay_alu instid0(VALU_DEP_1) | instskip(NEXT) | instid1(VALU_DEP_1)
	v_fmac_f32_e32 v136, v138, v135
	v_fma_f32 v132, -v132, v136, v137
	s_delay_alu instid0(VALU_DEP_1) | instskip(NEXT) | instid1(VALU_DEP_1)
	v_div_fmas_f32 v132, v132, v135, v136
	v_div_fixup_f32 v132, v132, v133, 1.0
	s_delay_alu instid0(VALU_DEP_1)
	v_mul_f32_e32 v134, v134, v132
	v_xor_b32_e32 v135, 0x80000000, v132
                                        ; implicit-def: $vgpr132_vgpr133
.LBB113_410:
	s_and_not1_saveexec_b32 s1, s1
	s_cbranch_execz .LBB113_412
; %bb.411:
	v_div_scale_f32 v134, null, v132, v132, v133
	v_div_scale_f32 v137, vcc_lo, v133, v132, v133
	s_delay_alu instid0(VALU_DEP_2) | instskip(SKIP_1) | instid1(TRANS32_DEP_1)
	v_rcp_f32_e32 v135, v134
	v_nop
	v_fma_f32 v136, -v134, v135, 1.0
	s_delay_alu instid0(VALU_DEP_1) | instskip(NEXT) | instid1(VALU_DEP_1)
	v_fmac_f32_e32 v135, v136, v135
	v_mul_f32_e32 v136, v137, v135
	s_delay_alu instid0(VALU_DEP_1) | instskip(NEXT) | instid1(VALU_DEP_1)
	v_fma_f32 v138, -v134, v136, v137
	v_fmac_f32_e32 v136, v138, v135
	s_delay_alu instid0(VALU_DEP_1) | instskip(NEXT) | instid1(VALU_DEP_1)
	v_fma_f32 v134, -v134, v136, v137
	v_div_fmas_f32 v134, v134, v135, v136
	s_delay_alu instid0(VALU_DEP_1) | instskip(NEXT) | instid1(VALU_DEP_1)
	v_div_fixup_f32 v135, v134, v132, v133
	v_fmac_f32_e32 v132, v133, v135
	s_delay_alu instid0(VALU_DEP_1) | instskip(NEXT) | instid1(VALU_DEP_1)
	v_div_scale_f32 v133, null, v132, v132, 1.0
	v_rcp_f32_e32 v134, v133
	v_nop
	s_delay_alu instid0(TRANS32_DEP_1) | instskip(NEXT) | instid1(VALU_DEP_1)
	v_fma_f32 v136, -v133, v134, 1.0
	v_fmac_f32_e32 v134, v136, v134
	v_div_scale_f32 v136, vcc_lo, 1.0, v132, 1.0
	s_delay_alu instid0(VALU_DEP_1) | instskip(NEXT) | instid1(VALU_DEP_1)
	v_mul_f32_e32 v137, v136, v134
	v_fma_f32 v138, -v133, v137, v136
	s_delay_alu instid0(VALU_DEP_1) | instskip(NEXT) | instid1(VALU_DEP_1)
	v_fmac_f32_e32 v137, v138, v134
	v_fma_f32 v133, -v133, v137, v136
	s_delay_alu instid0(VALU_DEP_1) | instskip(NEXT) | instid1(VALU_DEP_1)
	v_div_fmas_f32 v133, v133, v134, v137
	v_div_fixup_f32 v134, v133, v132, 1.0
	s_delay_alu instid0(VALU_DEP_1)
	v_mul_f32_e64 v135, v135, -v134
.LBB113_412:
	s_or_b32 exec_lo, exec_lo, s1
	ds_store_b64 v181, v[134:135]
.LBB113_413:
	s_or_b32 exec_lo, exec_lo, s2
	s_wait_dscnt 0x0
	s_barrier_signal -1
	s_barrier_wait -1
	ds_load_b64 v[132:133], v181
	s_mov_b32 s1, exec_lo
	v_cmpx_lt_u32_e32 45, v180
	s_cbranch_execz .LBB113_415
; %bb.414:
	ds_load_2addr_b64 v[148:151], v182 offset0:46 offset1:47
	s_wait_dscnt 0x1
	v_pk_mul_f32 v[136:137], v[132:133], v[196:197] op_sel:[1,1] op_sel_hi:[0,1]
	s_delay_alu instid0(VALU_DEP_1) | instskip(SKIP_1) | instid1(VALU_DEP_1)
	v_pk_fma_f32 v[134:135], v[132:133], v[196:197], v[136:137] op_sel_hi:[1,0,1] neg_lo:[0,0,1] neg_hi:[0,0,1]
	v_pk_fma_f32 v[136:137], v[132:133], v[196:197], v[136:137] op_sel_hi:[1,0,1]
	v_dual_mov_b32 v196, v134 :: v_dual_mov_b32 v197, v137
	s_wait_dscnt 0x0
	s_delay_alu instid0(VALU_DEP_2) | instskip(NEXT) | instid1(VALU_DEP_1)
	v_pk_mul_f32 v[138:139], v[148:149], v[136:137] op_sel:[0,1]
	v_pk_fma_f32 v[152:153], v[148:149], v[134:135], v[138:139] op_sel:[0,0,1] op_sel_hi:[1,1,0] neg_lo:[0,0,1] neg_hi:[0,0,1]
	v_pk_fma_f32 v[138:139], v[148:149], v[134:135], v[138:139] op_sel:[0,0,1] op_sel_hi:[1,0,0]
	s_delay_alu instid0(VALU_DEP_1) | instskip(SKIP_1) | instid1(VALU_DEP_1)
	v_mov_b32_e32 v153, v139
	v_pk_mul_f32 v[138:139], v[150:151], v[136:137] op_sel:[0,1]
	v_pk_fma_f32 v[148:149], v[150:151], v[134:135], v[138:139] op_sel:[0,0,1] op_sel_hi:[1,1,0] neg_lo:[0,0,1] neg_hi:[0,0,1]
	v_pk_fma_f32 v[138:139], v[150:151], v[134:135], v[138:139] op_sel:[0,0,1] op_sel_hi:[1,0,0]
	s_delay_alu instid0(VALU_DEP_1) | instskip(SKIP_1) | instid1(VALU_DEP_2)
	v_mov_b32_e32 v149, v139
	v_pk_add_f32 v[198:199], v[198:199], v[152:153] neg_lo:[0,1] neg_hi:[0,1]
	v_pk_add_f32 v[194:195], v[194:195], v[148:149] neg_lo:[0,1] neg_hi:[0,1]
	ds_load_2addr_b64 v[148:151], v182 offset0:48 offset1:49
	s_wait_dscnt 0x0
	v_pk_mul_f32 v[138:139], v[148:149], v[136:137] op_sel:[0,1]
	s_delay_alu instid0(VALU_DEP_1) | instskip(SKIP_2) | instid1(VALU_DEP_2)
	v_pk_fma_f32 v[152:153], v[148:149], v[134:135], v[138:139] op_sel:[0,0,1] op_sel_hi:[1,1,0] neg_lo:[0,0,1] neg_hi:[0,0,1]
	v_pk_fma_f32 v[138:139], v[148:149], v[134:135], v[138:139] op_sel:[0,0,1] op_sel_hi:[1,0,0]
	v_dual_mul_f32 v148, v151, v137 :: v_dual_mov_b32 v138, v151
	v_dual_mov_b32 v153, v139 :: v_dual_mov_b32 v139, v150
	s_delay_alu instid0(VALU_DEP_2) | instskip(SKIP_1) | instid1(VALU_DEP_3)
	v_pk_fma_f32 v[148:149], v[150:151], v[196:197], v[148:149] op_sel_hi:[1,1,0] neg_lo:[0,0,1] neg_hi:[0,0,1]
	v_mul_f32_e32 v150, v151, v134
	v_pk_add_f32 v[224:225], v[224:225], v[152:153] neg_lo:[0,1] neg_hi:[0,1]
	s_delay_alu instid0(VALU_DEP_2) | instskip(NEXT) | instid1(VALU_DEP_1)
	v_pk_fma_f32 v[138:139], v[138:139], v[196:197], v[150:151] op_sel_hi:[1,1,0]
	v_mov_b32_e32 v149, v139
	s_delay_alu instid0(VALU_DEP_1) | instskip(SKIP_3) | instid1(VALU_DEP_1)
	v_pk_add_f32 v[216:217], v[216:217], v[148:149] neg_lo:[0,1] neg_hi:[0,1]
	ds_load_2addr_b64 v[148:151], v182 offset0:50 offset1:51
	s_wait_dscnt 0x0
	v_pk_mul_f32 v[138:139], v[148:149], v[136:137] op_sel:[0,1]
	v_pk_fma_f32 v[152:153], v[148:149], v[134:135], v[138:139] op_sel:[0,0,1] op_sel_hi:[1,1,0] neg_lo:[0,0,1] neg_hi:[0,0,1]
	v_pk_fma_f32 v[138:139], v[148:149], v[134:135], v[138:139] op_sel:[0,0,1] op_sel_hi:[1,0,0]
	s_delay_alu instid0(VALU_DEP_1) | instskip(SKIP_1) | instid1(VALU_DEP_2)
	v_mov_b32_e32 v153, v139
	v_pk_mul_f32 v[138:139], v[150:151], v[136:137] op_sel:[0,1]
	v_pk_add_f32 v[222:223], v[222:223], v[152:153] neg_lo:[0,1] neg_hi:[0,1]
	s_delay_alu instid0(VALU_DEP_2) | instskip(SKIP_1) | instid1(VALU_DEP_1)
	v_pk_fma_f32 v[148:149], v[150:151], v[134:135], v[138:139] op_sel:[0,0,1] op_sel_hi:[1,1,0] neg_lo:[0,0,1] neg_hi:[0,0,1]
	v_pk_fma_f32 v[138:139], v[150:151], v[134:135], v[138:139] op_sel:[0,0,1] op_sel_hi:[1,0,0]
	v_mov_b32_e32 v149, v139
	s_delay_alu instid0(VALU_DEP_1) | instskip(SKIP_3) | instid1(VALU_DEP_1)
	v_pk_add_f32 v[214:215], v[214:215], v[148:149] neg_lo:[0,1] neg_hi:[0,1]
	ds_load_2addr_b64 v[148:151], v182 offset0:52 offset1:53
	s_wait_dscnt 0x0
	v_pk_mul_f32 v[138:139], v[148:149], v[136:137] op_sel:[0,1]
	v_pk_fma_f32 v[152:153], v[148:149], v[134:135], v[138:139] op_sel:[0,0,1] op_sel_hi:[1,1,0] neg_lo:[0,0,1] neg_hi:[0,0,1]
	v_pk_fma_f32 v[138:139], v[148:149], v[134:135], v[138:139] op_sel:[0,0,1] op_sel_hi:[1,0,0]
	s_delay_alu instid0(VALU_DEP_1) | instskip(SKIP_1) | instid1(VALU_DEP_2)
	v_mov_b32_e32 v153, v139
	v_pk_mul_f32 v[138:139], v[150:151], v[136:137] op_sel:[0,1]
	v_pk_add_f32 v[220:221], v[220:221], v[152:153] neg_lo:[0,1] neg_hi:[0,1]
	s_delay_alu instid0(VALU_DEP_2) | instskip(SKIP_1) | instid1(VALU_DEP_1)
	v_pk_fma_f32 v[148:149], v[150:151], v[134:135], v[138:139] op_sel:[0,0,1] op_sel_hi:[1,1,0] neg_lo:[0,0,1] neg_hi:[0,0,1]
	v_pk_fma_f32 v[138:139], v[150:151], v[134:135], v[138:139] op_sel:[0,0,1] op_sel_hi:[1,0,0]
	v_mov_b32_e32 v149, v139
	s_delay_alu instid0(VALU_DEP_1) | instskip(SKIP_3) | instid1(VALU_DEP_1)
	v_pk_add_f32 v[212:213], v[212:213], v[148:149] neg_lo:[0,1] neg_hi:[0,1]
	ds_load_2addr_b64 v[148:151], v182 offset0:54 offset1:55
	s_wait_dscnt 0x0
	v_dual_mul_f32 v138, v149, v137 :: v_dual_mul_f32 v152, v149, v134
	v_pk_fma_f32 v[138:139], v[148:149], v[196:197], v[138:139] op_sel_hi:[1,1,0] neg_lo:[0,0,1] neg_hi:[0,0,1]
	s_delay_alu instid0(VALU_DEP_2) | instskip(NEXT) | instid1(VALU_DEP_1)
	v_pk_fma_f32 v[148:149], v[148:149], v[196:197], v[152:153] op_sel:[1,0,0] op_sel_hi:[0,1,0]
	v_mov_b32_e32 v139, v149
	s_delay_alu instid0(VALU_DEP_1) | instskip(SKIP_1) | instid1(VALU_DEP_1)
	v_pk_add_f32 v[218:219], v[218:219], v[138:139] neg_lo:[0,1] neg_hi:[0,1]
	v_pk_mul_f32 v[138:139], v[150:151], v[136:137] op_sel:[0,1]
	v_pk_fma_f32 v[148:149], v[150:151], v[134:135], v[138:139] op_sel:[0,0,1] op_sel_hi:[1,1,0] neg_lo:[0,0,1] neg_hi:[0,0,1]
	v_pk_fma_f32 v[138:139], v[150:151], v[134:135], v[138:139] op_sel:[0,0,1] op_sel_hi:[1,0,0]
	s_delay_alu instid0(VALU_DEP_1) | instskip(SKIP_4) | instid1(VALU_DEP_1)
	v_mov_b32_e32 v149, v139
	ds_load_b64 v[138:139], v182 offset:448
	v_pk_add_f32 v[226:227], v[226:227], v[148:149] neg_lo:[0,1] neg_hi:[0,1]
	s_wait_dscnt 0x0
	v_pk_mul_f32 v[136:137], v[138:139], v[136:137] op_sel:[0,1]
	v_pk_fma_f32 v[148:149], v[138:139], v[134:135], v[136:137] op_sel:[0,0,1] op_sel_hi:[1,1,0] neg_lo:[0,0,1] neg_hi:[0,0,1]
	v_pk_fma_f32 v[134:135], v[138:139], v[134:135], v[136:137] op_sel:[0,0,1] op_sel_hi:[1,0,0]
	s_delay_alu instid0(VALU_DEP_1) | instskip(NEXT) | instid1(VALU_DEP_1)
	v_mov_b32_e32 v149, v135
	v_pk_add_f32 v[228:229], v[228:229], v[148:149] neg_lo:[0,1] neg_hi:[0,1]
.LBB113_415:
	s_or_b32 exec_lo, exec_lo, s1
	s_delay_alu instid0(SALU_CYCLE_1)
	s_mov_b32 s2, exec_lo
	s_wait_dscnt 0x0
	s_barrier_signal -1
	s_barrier_wait -1
	v_cmpx_eq_u32_e32 46, v180
	s_cbranch_execz .LBB113_422
; %bb.416:
	ds_store_b64 v181, v[198:199]
	ds_store_2addr_b64 v182, v[194:195], v[224:225] offset0:47 offset1:48
	ds_store_2addr_b64 v182, v[216:217], v[222:223] offset0:49 offset1:50
	;; [unrolled: 1-line block ×5, first 2 shown]
	ds_load_b64 v[134:135], v181
	s_wait_dscnt 0x0
	v_cmp_neq_f32_e32 vcc_lo, 0, v134
	v_cmp_neq_f32_e64 s1, 0, v135
	s_or_b32 s1, vcc_lo, s1
	s_delay_alu instid0(SALU_CYCLE_1)
	s_and_b32 exec_lo, exec_lo, s1
	s_cbranch_execz .LBB113_422
; %bb.417:
	v_cmp_ngt_f32_e64 s1, |v134|, |v135|
                                        ; implicit-def: $vgpr136_vgpr137
	s_and_saveexec_b32 s4, s1
	s_delay_alu instid0(SALU_CYCLE_1)
	s_xor_b32 s1, exec_lo, s4
	s_cbranch_execz .LBB113_419
; %bb.418:
	v_div_scale_f32 v136, null, v135, v135, v134
	v_div_scale_f32 v139, vcc_lo, v134, v135, v134
	s_delay_alu instid0(VALU_DEP_2) | instskip(SKIP_1) | instid1(TRANS32_DEP_1)
	v_rcp_f32_e32 v137, v136
	v_nop
	v_fma_f32 v138, -v136, v137, 1.0
	s_delay_alu instid0(VALU_DEP_1) | instskip(NEXT) | instid1(VALU_DEP_1)
	v_fmac_f32_e32 v137, v138, v137
	v_mul_f32_e32 v138, v139, v137
	s_delay_alu instid0(VALU_DEP_1) | instskip(NEXT) | instid1(VALU_DEP_1)
	v_fma_f32 v148, -v136, v138, v139
	v_fmac_f32_e32 v138, v148, v137
	s_delay_alu instid0(VALU_DEP_1) | instskip(NEXT) | instid1(VALU_DEP_1)
	v_fma_f32 v136, -v136, v138, v139
	v_div_fmas_f32 v136, v136, v137, v138
	s_delay_alu instid0(VALU_DEP_1) | instskip(NEXT) | instid1(VALU_DEP_1)
	v_div_fixup_f32 v136, v136, v135, v134
	v_fmac_f32_e32 v135, v134, v136
	s_delay_alu instid0(VALU_DEP_1) | instskip(SKIP_1) | instid1(VALU_DEP_2)
	v_div_scale_f32 v134, null, v135, v135, 1.0
	v_div_scale_f32 v139, vcc_lo, 1.0, v135, 1.0
	v_rcp_f32_e32 v137, v134
	v_nop
	s_delay_alu instid0(TRANS32_DEP_1) | instskip(NEXT) | instid1(VALU_DEP_1)
	v_fma_f32 v138, -v134, v137, 1.0
	v_fmac_f32_e32 v137, v138, v137
	s_delay_alu instid0(VALU_DEP_1) | instskip(NEXT) | instid1(VALU_DEP_1)
	v_mul_f32_e32 v138, v139, v137
	v_fma_f32 v148, -v134, v138, v139
	s_delay_alu instid0(VALU_DEP_1) | instskip(NEXT) | instid1(VALU_DEP_1)
	v_fmac_f32_e32 v138, v148, v137
	v_fma_f32 v134, -v134, v138, v139
	s_delay_alu instid0(VALU_DEP_1) | instskip(NEXT) | instid1(VALU_DEP_1)
	v_div_fmas_f32 v134, v134, v137, v138
	v_div_fixup_f32 v134, v134, v135, 1.0
	s_delay_alu instid0(VALU_DEP_1)
	v_mul_f32_e32 v136, v136, v134
	v_xor_b32_e32 v137, 0x80000000, v134
                                        ; implicit-def: $vgpr134_vgpr135
.LBB113_419:
	s_and_not1_saveexec_b32 s1, s1
	s_cbranch_execz .LBB113_421
; %bb.420:
	v_div_scale_f32 v136, null, v134, v134, v135
	v_div_scale_f32 v139, vcc_lo, v135, v134, v135
	s_delay_alu instid0(VALU_DEP_2) | instskip(SKIP_1) | instid1(TRANS32_DEP_1)
	v_rcp_f32_e32 v137, v136
	v_nop
	v_fma_f32 v138, -v136, v137, 1.0
	s_delay_alu instid0(VALU_DEP_1) | instskip(NEXT) | instid1(VALU_DEP_1)
	v_fmac_f32_e32 v137, v138, v137
	v_mul_f32_e32 v138, v139, v137
	s_delay_alu instid0(VALU_DEP_1) | instskip(NEXT) | instid1(VALU_DEP_1)
	v_fma_f32 v148, -v136, v138, v139
	v_fmac_f32_e32 v138, v148, v137
	s_delay_alu instid0(VALU_DEP_1) | instskip(NEXT) | instid1(VALU_DEP_1)
	v_fma_f32 v136, -v136, v138, v139
	v_div_fmas_f32 v136, v136, v137, v138
	s_delay_alu instid0(VALU_DEP_1) | instskip(NEXT) | instid1(VALU_DEP_1)
	v_div_fixup_f32 v137, v136, v134, v135
	v_fmac_f32_e32 v134, v135, v137
	s_delay_alu instid0(VALU_DEP_1) | instskip(NEXT) | instid1(VALU_DEP_1)
	v_div_scale_f32 v135, null, v134, v134, 1.0
	v_rcp_f32_e32 v136, v135
	v_nop
	s_delay_alu instid0(TRANS32_DEP_1) | instskip(NEXT) | instid1(VALU_DEP_1)
	v_fma_f32 v138, -v135, v136, 1.0
	v_fmac_f32_e32 v136, v138, v136
	v_div_scale_f32 v138, vcc_lo, 1.0, v134, 1.0
	s_delay_alu instid0(VALU_DEP_1) | instskip(NEXT) | instid1(VALU_DEP_1)
	v_mul_f32_e32 v139, v138, v136
	v_fma_f32 v148, -v135, v139, v138
	s_delay_alu instid0(VALU_DEP_1) | instskip(NEXT) | instid1(VALU_DEP_1)
	v_fmac_f32_e32 v139, v148, v136
	v_fma_f32 v135, -v135, v139, v138
	s_delay_alu instid0(VALU_DEP_1) | instskip(NEXT) | instid1(VALU_DEP_1)
	v_div_fmas_f32 v135, v135, v136, v139
	v_div_fixup_f32 v136, v135, v134, 1.0
	s_delay_alu instid0(VALU_DEP_1)
	v_mul_f32_e64 v137, v137, -v136
.LBB113_421:
	s_or_b32 exec_lo, exec_lo, s1
	ds_store_b64 v181, v[136:137]
.LBB113_422:
	s_or_b32 exec_lo, exec_lo, s2
	s_wait_dscnt 0x0
	s_barrier_signal -1
	s_barrier_wait -1
	ds_load_b64 v[134:135], v181
	s_mov_b32 s1, exec_lo
	v_cmpx_lt_u32_e32 46, v180
	s_cbranch_execz .LBB113_424
; %bb.423:
	ds_load_2addr_b64 v[148:151], v182 offset0:47 offset1:48
	s_wait_dscnt 0x1
	v_pk_mul_f32 v[138:139], v[134:135], v[198:199] op_sel:[1,1] op_sel_hi:[0,1]
	s_delay_alu instid0(VALU_DEP_1) | instskip(SKIP_1) | instid1(VALU_DEP_1)
	v_pk_fma_f32 v[136:137], v[134:135], v[198:199], v[138:139] op_sel_hi:[1,0,1] neg_lo:[0,0,1] neg_hi:[0,0,1]
	v_pk_fma_f32 v[138:139], v[134:135], v[198:199], v[138:139] op_sel_hi:[1,0,1]
	v_dual_mov_b32 v198, v136 :: v_dual_mov_b32 v199, v139
	s_wait_dscnt 0x0
	s_delay_alu instid0(VALU_DEP_2) | instskip(NEXT) | instid1(VALU_DEP_1)
	v_pk_mul_f32 v[152:153], v[148:149], v[138:139] op_sel:[0,1]
	v_pk_fma_f32 v[154:155], v[148:149], v[136:137], v[152:153] op_sel:[0,0,1] op_sel_hi:[1,1,0] neg_lo:[0,0,1] neg_hi:[0,0,1]
	v_pk_fma_f32 v[148:149], v[148:149], v[136:137], v[152:153] op_sel:[0,0,1] op_sel_hi:[1,0,0]
	s_delay_alu instid0(VALU_DEP_1) | instskip(SKIP_1) | instid1(VALU_DEP_1)
	v_mov_b32_e32 v155, v149
	v_pk_mul_f32 v[148:149], v[150:151], v[138:139] op_sel:[0,1]
	v_pk_fma_f32 v[152:153], v[150:151], v[136:137], v[148:149] op_sel:[0,0,1] op_sel_hi:[1,1,0] neg_lo:[0,0,1] neg_hi:[0,0,1]
	v_pk_fma_f32 v[148:149], v[150:151], v[136:137], v[148:149] op_sel:[0,0,1] op_sel_hi:[1,0,0]
	s_delay_alu instid0(VALU_DEP_1)
	v_mov_b32_e32 v153, v149
	ds_load_2addr_b64 v[148:151], v182 offset0:49 offset1:50
	v_pk_add_f32 v[194:195], v[194:195], v[154:155] neg_lo:[0,1] neg_hi:[0,1]
	v_pk_add_f32 v[224:225], v[224:225], v[152:153] neg_lo:[0,1] neg_hi:[0,1]
	s_wait_dscnt 0x0
	v_pk_mul_f32 v[152:153], v[148:149], v[138:139] op_sel:[0,1]
	s_delay_alu instid0(VALU_DEP_1) | instskip(SKIP_2) | instid1(VALU_DEP_2)
	v_pk_fma_f32 v[154:155], v[148:149], v[136:137], v[152:153] op_sel:[0,0,1] op_sel_hi:[1,1,0] neg_lo:[0,0,1] neg_hi:[0,0,1]
	v_pk_fma_f32 v[148:149], v[148:149], v[136:137], v[152:153] op_sel:[0,0,1] op_sel_hi:[1,0,0]
	v_dual_mul_f32 v152, v151, v139 :: v_dual_mov_b32 v148, v151
	v_dual_mov_b32 v155, v149 :: v_dual_mov_b32 v149, v150
	s_delay_alu instid0(VALU_DEP_2) | instskip(SKIP_1) | instid1(VALU_DEP_3)
	v_pk_fma_f32 v[152:153], v[150:151], v[198:199], v[152:153] op_sel_hi:[1,1,0] neg_lo:[0,0,1] neg_hi:[0,0,1]
	v_mul_f32_e32 v150, v151, v136
	v_pk_add_f32 v[216:217], v[216:217], v[154:155] neg_lo:[0,1] neg_hi:[0,1]
	s_delay_alu instid0(VALU_DEP_2) | instskip(NEXT) | instid1(VALU_DEP_1)
	v_pk_fma_f32 v[148:149], v[148:149], v[198:199], v[150:151] op_sel_hi:[1,1,0]
	v_mov_b32_e32 v153, v149
	ds_load_2addr_b64 v[148:151], v182 offset0:51 offset1:52
	v_pk_add_f32 v[222:223], v[222:223], v[152:153] neg_lo:[0,1] neg_hi:[0,1]
	s_wait_dscnt 0x0
	v_pk_mul_f32 v[152:153], v[148:149], v[138:139] op_sel:[0,1]
	s_delay_alu instid0(VALU_DEP_1) | instskip(SKIP_1) | instid1(VALU_DEP_1)
	v_pk_fma_f32 v[154:155], v[148:149], v[136:137], v[152:153] op_sel:[0,0,1] op_sel_hi:[1,1,0] neg_lo:[0,0,1] neg_hi:[0,0,1]
	v_pk_fma_f32 v[148:149], v[148:149], v[136:137], v[152:153] op_sel:[0,0,1] op_sel_hi:[1,0,0]
	v_mov_b32_e32 v155, v149
	v_pk_mul_f32 v[148:149], v[150:151], v[138:139] op_sel:[0,1]
	s_delay_alu instid0(VALU_DEP_1) | instskip(SKIP_1) | instid1(VALU_DEP_1)
	v_pk_fma_f32 v[152:153], v[150:151], v[136:137], v[148:149] op_sel:[0,0,1] op_sel_hi:[1,1,0] neg_lo:[0,0,1] neg_hi:[0,0,1]
	v_pk_fma_f32 v[148:149], v[150:151], v[136:137], v[148:149] op_sel:[0,0,1] op_sel_hi:[1,0,0]
	v_mov_b32_e32 v153, v149
	ds_load_2addr_b64 v[148:151], v182 offset0:53 offset1:54
	v_pk_add_f32 v[214:215], v[214:215], v[154:155] neg_lo:[0,1] neg_hi:[0,1]
	v_pk_add_f32 v[220:221], v[220:221], v[152:153] neg_lo:[0,1] neg_hi:[0,1]
	s_wait_dscnt 0x0
	v_pk_mul_f32 v[152:153], v[148:149], v[138:139] op_sel:[0,1]
	s_delay_alu instid0(VALU_DEP_1) | instskip(SKIP_1) | instid1(VALU_DEP_1)
	v_pk_fma_f32 v[154:155], v[148:149], v[136:137], v[152:153] op_sel:[0,0,1] op_sel_hi:[1,1,0] neg_lo:[0,0,1] neg_hi:[0,0,1]
	v_pk_fma_f32 v[148:149], v[148:149], v[136:137], v[152:153] op_sel:[0,0,1] op_sel_hi:[1,0,0]
	v_mov_b32_e32 v155, v149
	v_pk_mul_f32 v[148:149], v[150:151], v[138:139] op_sel:[0,1]
	s_delay_alu instid0(VALU_DEP_1) | instskip(SKIP_1) | instid1(VALU_DEP_1)
	v_pk_fma_f32 v[152:153], v[150:151], v[136:137], v[148:149] op_sel:[0,0,1] op_sel_hi:[1,1,0] neg_lo:[0,0,1] neg_hi:[0,0,1]
	v_pk_fma_f32 v[148:149], v[150:151], v[136:137], v[148:149] op_sel:[0,0,1] op_sel_hi:[1,0,0]
	v_mov_b32_e32 v153, v149
	ds_load_2addr_b64 v[148:151], v182 offset0:55 offset1:56
	v_pk_add_f32 v[212:213], v[212:213], v[154:155] neg_lo:[0,1] neg_hi:[0,1]
	v_pk_add_f32 v[218:219], v[218:219], v[152:153] neg_lo:[0,1] neg_hi:[0,1]
	s_wait_dscnt 0x0
	v_dual_mul_f32 v152, v149, v139 :: v_dual_mul_f32 v154, v149, v136
	v_pk_mul_f32 v[138:139], v[150:151], v[138:139] op_sel:[0,1]
	s_delay_alu instid0(VALU_DEP_2) | instskip(NEXT) | instid1(VALU_DEP_3)
	v_pk_fma_f32 v[152:153], v[148:149], v[198:199], v[152:153] op_sel_hi:[1,1,0] neg_lo:[0,0,1] neg_hi:[0,0,1]
	v_pk_fma_f32 v[148:149], v[148:149], v[198:199], v[154:155] op_sel:[1,0,0] op_sel_hi:[0,1,0]
	s_delay_alu instid0(VALU_DEP_1) | instskip(NEXT) | instid1(VALU_DEP_4)
	v_mov_b32_e32 v153, v149
	v_pk_fma_f32 v[148:149], v[150:151], v[136:137], v[138:139] op_sel:[0,0,1] op_sel_hi:[1,1,0] neg_lo:[0,0,1] neg_hi:[0,0,1]
	v_pk_fma_f32 v[136:137], v[150:151], v[136:137], v[138:139] op_sel:[0,0,1] op_sel_hi:[1,0,0]
	s_delay_alu instid0(VALU_DEP_1) | instskip(NEXT) | instid1(VALU_DEP_4)
	v_mov_b32_e32 v149, v137
	v_pk_add_f32 v[226:227], v[226:227], v[152:153] neg_lo:[0,1] neg_hi:[0,1]
	s_delay_alu instid0(VALU_DEP_2)
	v_pk_add_f32 v[228:229], v[228:229], v[148:149] neg_lo:[0,1] neg_hi:[0,1]
.LBB113_424:
	s_or_b32 exec_lo, exec_lo, s1
	s_delay_alu instid0(SALU_CYCLE_1)
	s_mov_b32 s2, exec_lo
	s_wait_dscnt 0x0
	s_barrier_signal -1
	s_barrier_wait -1
	v_cmpx_eq_u32_e32 47, v180
	s_cbranch_execz .LBB113_431
; %bb.425:
	v_dual_mov_b32 v136, v224 :: v_dual_mov_b32 v137, v225
	v_dual_mov_b32 v138, v216 :: v_dual_mov_b32 v139, v217
	ds_store_b64 v181, v[194:195]
	ds_store_2addr_b64 v182, v[136:137], v[138:139] offset0:48 offset1:49
	v_dual_mov_b32 v136, v222 :: v_dual_mov_b32 v137, v223
	v_dual_mov_b32 v138, v214 :: v_dual_mov_b32 v139, v215
	ds_store_2addr_b64 v182, v[136:137], v[138:139] offset0:50 offset1:51
	v_dual_mov_b32 v136, v220 :: v_dual_mov_b32 v137, v221
	v_dual_mov_b32 v138, v212 :: v_dual_mov_b32 v139, v213
	;; [unrolled: 3-line block ×3, first 2 shown]
	ds_store_2addr_b64 v182, v[136:137], v[138:139] offset0:54 offset1:55
	ds_store_b64 v182, v[228:229] offset:448
	ds_load_b64 v[136:137], v181
	s_wait_dscnt 0x0
	v_cmp_neq_f32_e32 vcc_lo, 0, v136
	v_cmp_neq_f32_e64 s1, 0, v137
	s_or_b32 s1, vcc_lo, s1
	s_delay_alu instid0(SALU_CYCLE_1)
	s_and_b32 exec_lo, exec_lo, s1
	s_cbranch_execz .LBB113_431
; %bb.426:
	v_cmp_ngt_f32_e64 s1, |v136|, |v137|
                                        ; implicit-def: $vgpr138_vgpr139
	s_and_saveexec_b32 s4, s1
	s_delay_alu instid0(SALU_CYCLE_1)
	s_xor_b32 s1, exec_lo, s4
	s_cbranch_execz .LBB113_428
; %bb.427:
	v_div_scale_f32 v138, null, v137, v137, v136
	v_div_scale_f32 v149, vcc_lo, v136, v137, v136
	s_delay_alu instid0(VALU_DEP_2) | instskip(SKIP_1) | instid1(TRANS32_DEP_1)
	v_rcp_f32_e32 v139, v138
	v_nop
	v_fma_f32 v148, -v138, v139, 1.0
	s_delay_alu instid0(VALU_DEP_1) | instskip(NEXT) | instid1(VALU_DEP_1)
	v_fmac_f32_e32 v139, v148, v139
	v_mul_f32_e32 v148, v149, v139
	s_delay_alu instid0(VALU_DEP_1) | instskip(NEXT) | instid1(VALU_DEP_1)
	v_fma_f32 v150, -v138, v148, v149
	v_fmac_f32_e32 v148, v150, v139
	s_delay_alu instid0(VALU_DEP_1) | instskip(NEXT) | instid1(VALU_DEP_1)
	v_fma_f32 v138, -v138, v148, v149
	v_div_fmas_f32 v138, v138, v139, v148
	s_delay_alu instid0(VALU_DEP_1) | instskip(NEXT) | instid1(VALU_DEP_1)
	v_div_fixup_f32 v138, v138, v137, v136
	v_fmac_f32_e32 v137, v136, v138
	s_delay_alu instid0(VALU_DEP_1) | instskip(SKIP_1) | instid1(VALU_DEP_2)
	v_div_scale_f32 v136, null, v137, v137, 1.0
	v_div_scale_f32 v149, vcc_lo, 1.0, v137, 1.0
	v_rcp_f32_e32 v139, v136
	v_nop
	s_delay_alu instid0(TRANS32_DEP_1) | instskip(NEXT) | instid1(VALU_DEP_1)
	v_fma_f32 v148, -v136, v139, 1.0
	v_fmac_f32_e32 v139, v148, v139
	s_delay_alu instid0(VALU_DEP_1) | instskip(NEXT) | instid1(VALU_DEP_1)
	v_mul_f32_e32 v148, v149, v139
	v_fma_f32 v150, -v136, v148, v149
	s_delay_alu instid0(VALU_DEP_1) | instskip(NEXT) | instid1(VALU_DEP_1)
	v_fmac_f32_e32 v148, v150, v139
	v_fma_f32 v136, -v136, v148, v149
	s_delay_alu instid0(VALU_DEP_1) | instskip(NEXT) | instid1(VALU_DEP_1)
	v_div_fmas_f32 v136, v136, v139, v148
	v_div_fixup_f32 v136, v136, v137, 1.0
	s_delay_alu instid0(VALU_DEP_1)
	v_mul_f32_e32 v138, v138, v136
	v_xor_b32_e32 v139, 0x80000000, v136
                                        ; implicit-def: $vgpr136_vgpr137
.LBB113_428:
	s_and_not1_saveexec_b32 s1, s1
	s_cbranch_execz .LBB113_430
; %bb.429:
	v_div_scale_f32 v138, null, v136, v136, v137
	v_div_scale_f32 v149, vcc_lo, v137, v136, v137
	s_delay_alu instid0(VALU_DEP_2) | instskip(SKIP_1) | instid1(TRANS32_DEP_1)
	v_rcp_f32_e32 v139, v138
	v_nop
	v_fma_f32 v148, -v138, v139, 1.0
	s_delay_alu instid0(VALU_DEP_1) | instskip(NEXT) | instid1(VALU_DEP_1)
	v_fmac_f32_e32 v139, v148, v139
	v_mul_f32_e32 v148, v149, v139
	s_delay_alu instid0(VALU_DEP_1) | instskip(NEXT) | instid1(VALU_DEP_1)
	v_fma_f32 v150, -v138, v148, v149
	v_fmac_f32_e32 v148, v150, v139
	s_delay_alu instid0(VALU_DEP_1) | instskip(NEXT) | instid1(VALU_DEP_1)
	v_fma_f32 v138, -v138, v148, v149
	v_div_fmas_f32 v138, v138, v139, v148
	s_delay_alu instid0(VALU_DEP_1) | instskip(NEXT) | instid1(VALU_DEP_1)
	v_div_fixup_f32 v139, v138, v136, v137
	v_fmac_f32_e32 v136, v137, v139
	s_delay_alu instid0(VALU_DEP_1) | instskip(NEXT) | instid1(VALU_DEP_1)
	v_div_scale_f32 v137, null, v136, v136, 1.0
	v_rcp_f32_e32 v138, v137
	v_nop
	s_delay_alu instid0(TRANS32_DEP_1) | instskip(NEXT) | instid1(VALU_DEP_1)
	v_fma_f32 v148, -v137, v138, 1.0
	v_fmac_f32_e32 v138, v148, v138
	v_div_scale_f32 v148, vcc_lo, 1.0, v136, 1.0
	s_delay_alu instid0(VALU_DEP_1) | instskip(NEXT) | instid1(VALU_DEP_1)
	v_mul_f32_e32 v149, v148, v138
	v_fma_f32 v150, -v137, v149, v148
	s_delay_alu instid0(VALU_DEP_1) | instskip(NEXT) | instid1(VALU_DEP_1)
	v_fmac_f32_e32 v149, v150, v138
	v_fma_f32 v137, -v137, v149, v148
	s_delay_alu instid0(VALU_DEP_1) | instskip(NEXT) | instid1(VALU_DEP_1)
	v_div_fmas_f32 v137, v137, v138, v149
	v_div_fixup_f32 v138, v137, v136, 1.0
	s_delay_alu instid0(VALU_DEP_1)
	v_mul_f32_e64 v139, v139, -v138
.LBB113_430:
	s_or_b32 exec_lo, exec_lo, s1
	ds_store_b64 v181, v[138:139]
.LBB113_431:
	s_or_b32 exec_lo, exec_lo, s2
	s_wait_dscnt 0x0
	s_barrier_signal -1
	s_barrier_wait -1
	ds_load_b64 v[136:137], v181
	s_mov_b32 s1, exec_lo
	v_cmpx_lt_u32_e32 47, v180
	s_cbranch_execz .LBB113_433
; %bb.432:
	ds_load_2addr_b64 v[150:153], v182 offset0:48 offset1:49
	s_wait_dscnt 0x1
	v_pk_mul_f32 v[148:149], v[136:137], v[194:195] op_sel:[1,1] op_sel_hi:[0,1]
	s_delay_alu instid0(VALU_DEP_1) | instskip(SKIP_1) | instid1(VALU_DEP_1)
	v_pk_fma_f32 v[138:139], v[136:137], v[194:195], v[148:149] op_sel_hi:[1,0,1] neg_lo:[0,0,1] neg_hi:[0,0,1]
	v_pk_fma_f32 v[148:149], v[136:137], v[194:195], v[148:149] op_sel_hi:[1,0,1]
	v_dual_mov_b32 v194, v138 :: v_dual_mov_b32 v195, v149
	s_wait_dscnt 0x0
	s_delay_alu instid0(VALU_DEP_2) | instskip(NEXT) | instid1(VALU_DEP_1)
	v_pk_mul_f32 v[154:155], v[150:151], v[148:149] op_sel:[0,1]
	v_pk_fma_f32 v[164:165], v[150:151], v[138:139], v[154:155] op_sel:[0,0,1] op_sel_hi:[1,1,0] neg_lo:[0,0,1] neg_hi:[0,0,1]
	v_pk_fma_f32 v[150:151], v[150:151], v[138:139], v[154:155] op_sel:[0,0,1] op_sel_hi:[1,0,0]
	s_delay_alu instid0(VALU_DEP_1) | instskip(SKIP_1) | instid1(VALU_DEP_1)
	v_mov_b32_e32 v165, v151
	v_pk_mul_f32 v[150:151], v[152:153], v[148:149] op_sel:[0,1]
	v_pk_fma_f32 v[154:155], v[152:153], v[138:139], v[150:151] op_sel:[0,0,1] op_sel_hi:[1,1,0] neg_lo:[0,0,1] neg_hi:[0,0,1]
	v_pk_fma_f32 v[150:151], v[152:153], v[138:139], v[150:151] op_sel:[0,0,1] op_sel_hi:[1,0,0]
	s_delay_alu instid0(VALU_DEP_1)
	v_mov_b32_e32 v155, v151
	ds_load_2addr_b64 v[150:153], v182 offset0:50 offset1:51
	v_pk_add_f32 v[224:225], v[224:225], v[164:165] neg_lo:[0,1] neg_hi:[0,1]
	v_pk_add_f32 v[216:217], v[216:217], v[154:155] neg_lo:[0,1] neg_hi:[0,1]
	s_wait_dscnt 0x0
	v_pk_mul_f32 v[154:155], v[150:151], v[148:149] op_sel:[0,1]
	s_delay_alu instid0(VALU_DEP_1) | instskip(SKIP_2) | instid1(VALU_DEP_2)
	v_pk_fma_f32 v[164:165], v[150:151], v[138:139], v[154:155] op_sel:[0,0,1] op_sel_hi:[1,1,0] neg_lo:[0,0,1] neg_hi:[0,0,1]
	v_pk_fma_f32 v[150:151], v[150:151], v[138:139], v[154:155] op_sel:[0,0,1] op_sel_hi:[1,0,0]
	v_dual_mul_f32 v154, v153, v149 :: v_dual_mov_b32 v150, v153
	v_dual_mov_b32 v165, v151 :: v_dual_mov_b32 v151, v152
	s_delay_alu instid0(VALU_DEP_2) | instskip(SKIP_1) | instid1(VALU_DEP_3)
	v_pk_fma_f32 v[154:155], v[152:153], v[194:195], v[154:155] op_sel_hi:[1,1,0] neg_lo:[0,0,1] neg_hi:[0,0,1]
	v_mul_f32_e32 v152, v153, v138
	v_pk_add_f32 v[222:223], v[222:223], v[164:165] neg_lo:[0,1] neg_hi:[0,1]
	s_delay_alu instid0(VALU_DEP_2) | instskip(NEXT) | instid1(VALU_DEP_1)
	v_pk_fma_f32 v[150:151], v[150:151], v[194:195], v[152:153] op_sel_hi:[1,1,0]
	v_mov_b32_e32 v155, v151
	ds_load_2addr_b64 v[150:153], v182 offset0:52 offset1:53
	v_pk_add_f32 v[214:215], v[214:215], v[154:155] neg_lo:[0,1] neg_hi:[0,1]
	s_wait_dscnt 0x0
	v_pk_mul_f32 v[154:155], v[150:151], v[148:149] op_sel:[0,1]
	s_delay_alu instid0(VALU_DEP_1) | instskip(SKIP_1) | instid1(VALU_DEP_1)
	v_pk_fma_f32 v[164:165], v[150:151], v[138:139], v[154:155] op_sel:[0,0,1] op_sel_hi:[1,1,0] neg_lo:[0,0,1] neg_hi:[0,0,1]
	v_pk_fma_f32 v[150:151], v[150:151], v[138:139], v[154:155] op_sel:[0,0,1] op_sel_hi:[1,0,0]
	v_mov_b32_e32 v165, v151
	v_pk_mul_f32 v[150:151], v[152:153], v[148:149] op_sel:[0,1]
	s_delay_alu instid0(VALU_DEP_1) | instskip(SKIP_1) | instid1(VALU_DEP_1)
	v_pk_fma_f32 v[154:155], v[152:153], v[138:139], v[150:151] op_sel:[0,0,1] op_sel_hi:[1,1,0] neg_lo:[0,0,1] neg_hi:[0,0,1]
	v_pk_fma_f32 v[150:151], v[152:153], v[138:139], v[150:151] op_sel:[0,0,1] op_sel_hi:[1,0,0]
	v_mov_b32_e32 v155, v151
	ds_load_2addr_b64 v[150:153], v182 offset0:54 offset1:55
	v_pk_add_f32 v[220:221], v[220:221], v[164:165] neg_lo:[0,1] neg_hi:[0,1]
	v_pk_add_f32 v[212:213], v[212:213], v[154:155] neg_lo:[0,1] neg_hi:[0,1]
	s_wait_dscnt 0x0
	v_pk_mul_f32 v[154:155], v[150:151], v[148:149] op_sel:[0,1]
	s_delay_alu instid0(VALU_DEP_1) | instskip(SKIP_1) | instid1(VALU_DEP_1)
	v_pk_fma_f32 v[164:165], v[150:151], v[138:139], v[154:155] op_sel:[0,0,1] op_sel_hi:[1,1,0] neg_lo:[0,0,1] neg_hi:[0,0,1]
	v_pk_fma_f32 v[150:151], v[150:151], v[138:139], v[154:155] op_sel:[0,0,1] op_sel_hi:[1,0,0]
	v_mov_b32_e32 v165, v151
	v_pk_mul_f32 v[150:151], v[152:153], v[148:149] op_sel:[0,1]
	s_delay_alu instid0(VALU_DEP_1) | instskip(SKIP_1) | instid1(VALU_DEP_1)
	v_pk_fma_f32 v[154:155], v[152:153], v[138:139], v[150:151] op_sel:[0,0,1] op_sel_hi:[1,1,0] neg_lo:[0,0,1] neg_hi:[0,0,1]
	v_pk_fma_f32 v[150:151], v[152:153], v[138:139], v[150:151] op_sel:[0,0,1] op_sel_hi:[1,0,0]
	v_mov_b32_e32 v155, v151
	ds_load_b64 v[150:151], v182 offset:448
	v_pk_add_f32 v[218:219], v[218:219], v[164:165] neg_lo:[0,1] neg_hi:[0,1]
	v_pk_add_f32 v[226:227], v[226:227], v[154:155] neg_lo:[0,1] neg_hi:[0,1]
	s_wait_dscnt 0x0
	v_pk_mul_f32 v[148:149], v[150:151], v[148:149] op_sel:[0,1]
	s_delay_alu instid0(VALU_DEP_1) | instskip(SKIP_1) | instid1(VALU_DEP_1)
	v_pk_fma_f32 v[152:153], v[150:151], v[138:139], v[148:149] op_sel:[0,0,1] op_sel_hi:[1,1,0] neg_lo:[0,0,1] neg_hi:[0,0,1]
	v_pk_fma_f32 v[138:139], v[150:151], v[138:139], v[148:149] op_sel:[0,0,1] op_sel_hi:[1,0,0]
	v_mov_b32_e32 v153, v139
	s_delay_alu instid0(VALU_DEP_1)
	v_pk_add_f32 v[228:229], v[228:229], v[152:153] neg_lo:[0,1] neg_hi:[0,1]
.LBB113_433:
	s_or_b32 exec_lo, exec_lo, s1
	s_delay_alu instid0(SALU_CYCLE_1)
	s_mov_b32 s2, exec_lo
	s_wait_dscnt 0x0
	s_barrier_signal -1
	s_barrier_wait -1
	v_cmpx_eq_u32_e32 48, v180
	s_cbranch_execz .LBB113_440
; %bb.434:
	ds_store_b64 v181, v[224:225]
	ds_store_2addr_b64 v182, v[216:217], v[222:223] offset0:49 offset1:50
	ds_store_2addr_b64 v182, v[214:215], v[220:221] offset0:51 offset1:52
	;; [unrolled: 1-line block ×4, first 2 shown]
	ds_load_b64 v[138:139], v181
	s_wait_dscnt 0x0
	v_cmp_neq_f32_e32 vcc_lo, 0, v138
	v_cmp_neq_f32_e64 s1, 0, v139
	s_or_b32 s1, vcc_lo, s1
	s_delay_alu instid0(SALU_CYCLE_1)
	s_and_b32 exec_lo, exec_lo, s1
	s_cbranch_execz .LBB113_440
; %bb.435:
	v_cmp_ngt_f32_e64 s1, |v138|, |v139|
                                        ; implicit-def: $vgpr148_vgpr149
	s_and_saveexec_b32 s4, s1
	s_delay_alu instid0(SALU_CYCLE_1)
	s_xor_b32 s1, exec_lo, s4
	s_cbranch_execz .LBB113_437
; %bb.436:
	v_div_scale_f32 v148, null, v139, v139, v138
	v_div_scale_f32 v151, vcc_lo, v138, v139, v138
	s_delay_alu instid0(VALU_DEP_2) | instskip(SKIP_1) | instid1(TRANS32_DEP_1)
	v_rcp_f32_e32 v149, v148
	v_nop
	v_fma_f32 v150, -v148, v149, 1.0
	s_delay_alu instid0(VALU_DEP_1) | instskip(NEXT) | instid1(VALU_DEP_1)
	v_fmac_f32_e32 v149, v150, v149
	v_mul_f32_e32 v150, v151, v149
	s_delay_alu instid0(VALU_DEP_1) | instskip(NEXT) | instid1(VALU_DEP_1)
	v_fma_f32 v152, -v148, v150, v151
	v_fmac_f32_e32 v150, v152, v149
	s_delay_alu instid0(VALU_DEP_1) | instskip(NEXT) | instid1(VALU_DEP_1)
	v_fma_f32 v148, -v148, v150, v151
	v_div_fmas_f32 v148, v148, v149, v150
	s_delay_alu instid0(VALU_DEP_1) | instskip(NEXT) | instid1(VALU_DEP_1)
	v_div_fixup_f32 v148, v148, v139, v138
	v_fmac_f32_e32 v139, v138, v148
	s_delay_alu instid0(VALU_DEP_1) | instskip(SKIP_1) | instid1(VALU_DEP_2)
	v_div_scale_f32 v138, null, v139, v139, 1.0
	v_div_scale_f32 v151, vcc_lo, 1.0, v139, 1.0
	v_rcp_f32_e32 v149, v138
	v_nop
	s_delay_alu instid0(TRANS32_DEP_1) | instskip(NEXT) | instid1(VALU_DEP_1)
	v_fma_f32 v150, -v138, v149, 1.0
	v_fmac_f32_e32 v149, v150, v149
	s_delay_alu instid0(VALU_DEP_1) | instskip(NEXT) | instid1(VALU_DEP_1)
	v_mul_f32_e32 v150, v151, v149
	v_fma_f32 v152, -v138, v150, v151
	s_delay_alu instid0(VALU_DEP_1) | instskip(NEXT) | instid1(VALU_DEP_1)
	v_fmac_f32_e32 v150, v152, v149
	v_fma_f32 v138, -v138, v150, v151
	s_delay_alu instid0(VALU_DEP_1) | instskip(NEXT) | instid1(VALU_DEP_1)
	v_div_fmas_f32 v138, v138, v149, v150
	v_div_fixup_f32 v138, v138, v139, 1.0
	s_delay_alu instid0(VALU_DEP_1)
	v_mul_f32_e32 v148, v148, v138
	v_xor_b32_e32 v149, 0x80000000, v138
                                        ; implicit-def: $vgpr138_vgpr139
.LBB113_437:
	s_and_not1_saveexec_b32 s1, s1
	s_cbranch_execz .LBB113_439
; %bb.438:
	v_div_scale_f32 v148, null, v138, v138, v139
	v_div_scale_f32 v151, vcc_lo, v139, v138, v139
	s_delay_alu instid0(VALU_DEP_2) | instskip(SKIP_1) | instid1(TRANS32_DEP_1)
	v_rcp_f32_e32 v149, v148
	v_nop
	v_fma_f32 v150, -v148, v149, 1.0
	s_delay_alu instid0(VALU_DEP_1) | instskip(NEXT) | instid1(VALU_DEP_1)
	v_fmac_f32_e32 v149, v150, v149
	v_mul_f32_e32 v150, v151, v149
	s_delay_alu instid0(VALU_DEP_1) | instskip(NEXT) | instid1(VALU_DEP_1)
	v_fma_f32 v152, -v148, v150, v151
	v_fmac_f32_e32 v150, v152, v149
	s_delay_alu instid0(VALU_DEP_1) | instskip(NEXT) | instid1(VALU_DEP_1)
	v_fma_f32 v148, -v148, v150, v151
	v_div_fmas_f32 v148, v148, v149, v150
	s_delay_alu instid0(VALU_DEP_1) | instskip(NEXT) | instid1(VALU_DEP_1)
	v_div_fixup_f32 v149, v148, v138, v139
	v_fmac_f32_e32 v138, v139, v149
	s_delay_alu instid0(VALU_DEP_1) | instskip(NEXT) | instid1(VALU_DEP_1)
	v_div_scale_f32 v139, null, v138, v138, 1.0
	v_rcp_f32_e32 v148, v139
	v_nop
	s_delay_alu instid0(TRANS32_DEP_1) | instskip(NEXT) | instid1(VALU_DEP_1)
	v_fma_f32 v150, -v139, v148, 1.0
	v_fmac_f32_e32 v148, v150, v148
	v_div_scale_f32 v150, vcc_lo, 1.0, v138, 1.0
	s_delay_alu instid0(VALU_DEP_1) | instskip(NEXT) | instid1(VALU_DEP_1)
	v_mul_f32_e32 v151, v150, v148
	v_fma_f32 v152, -v139, v151, v150
	s_delay_alu instid0(VALU_DEP_1) | instskip(NEXT) | instid1(VALU_DEP_1)
	v_fmac_f32_e32 v151, v152, v148
	v_fma_f32 v139, -v139, v151, v150
	s_delay_alu instid0(VALU_DEP_1) | instskip(NEXT) | instid1(VALU_DEP_1)
	v_div_fmas_f32 v139, v139, v148, v151
	v_div_fixup_f32 v148, v139, v138, 1.0
	s_delay_alu instid0(VALU_DEP_1)
	v_mul_f32_e64 v149, v149, -v148
.LBB113_439:
	s_or_b32 exec_lo, exec_lo, s1
	ds_store_b64 v181, v[148:149]
.LBB113_440:
	s_or_b32 exec_lo, exec_lo, s2
	s_wait_dscnt 0x0
	s_barrier_signal -1
	s_barrier_wait -1
	ds_load_b64 v[138:139], v181
	s_mov_b32 s1, exec_lo
	v_cmpx_lt_u32_e32 48, v180
	s_cbranch_execz .LBB113_442
; %bb.441:
	ds_load_2addr_b64 v[152:155], v182 offset0:49 offset1:50
	s_wait_dscnt 0x1
	v_pk_mul_f32 v[150:151], v[138:139], v[224:225] op_sel:[1,1] op_sel_hi:[0,1]
	s_delay_alu instid0(VALU_DEP_1) | instskip(SKIP_1) | instid1(VALU_DEP_1)
	v_pk_fma_f32 v[148:149], v[138:139], v[224:225], v[150:151] op_sel_hi:[1,0,1] neg_lo:[0,0,1] neg_hi:[0,0,1]
	v_pk_fma_f32 v[150:151], v[138:139], v[224:225], v[150:151] op_sel_hi:[1,0,1]
	v_dual_mov_b32 v224, v148 :: v_dual_mov_b32 v225, v151
	s_wait_dscnt 0x0
	s_delay_alu instid0(VALU_DEP_2) | instskip(NEXT) | instid1(VALU_DEP_1)
	v_pk_mul_f32 v[164:165], v[152:153], v[150:151] op_sel:[0,1]
	v_pk_fma_f32 v[166:167], v[152:153], v[148:149], v[164:165] op_sel:[0,0,1] op_sel_hi:[1,1,0] neg_lo:[0,0,1] neg_hi:[0,0,1]
	v_pk_fma_f32 v[152:153], v[152:153], v[148:149], v[164:165] op_sel:[0,0,1] op_sel_hi:[1,0,0]
	s_delay_alu instid0(VALU_DEP_1) | instskip(SKIP_1) | instid1(VALU_DEP_1)
	v_mov_b32_e32 v167, v153
	v_pk_mul_f32 v[152:153], v[154:155], v[150:151] op_sel:[0,1]
	v_pk_fma_f32 v[164:165], v[154:155], v[148:149], v[152:153] op_sel:[0,0,1] op_sel_hi:[1,1,0] neg_lo:[0,0,1] neg_hi:[0,0,1]
	v_pk_fma_f32 v[152:153], v[154:155], v[148:149], v[152:153] op_sel:[0,0,1] op_sel_hi:[1,0,0]
	s_delay_alu instid0(VALU_DEP_1)
	v_mov_b32_e32 v165, v153
	ds_load_2addr_b64 v[152:155], v182 offset0:51 offset1:52
	v_pk_add_f32 v[216:217], v[216:217], v[166:167] neg_lo:[0,1] neg_hi:[0,1]
	v_pk_add_f32 v[222:223], v[222:223], v[164:165] neg_lo:[0,1] neg_hi:[0,1]
	s_wait_dscnt 0x0
	v_pk_mul_f32 v[164:165], v[152:153], v[150:151] op_sel:[0,1]
	s_delay_alu instid0(VALU_DEP_1) | instskip(SKIP_2) | instid1(VALU_DEP_2)
	v_pk_fma_f32 v[166:167], v[152:153], v[148:149], v[164:165] op_sel:[0,0,1] op_sel_hi:[1,1,0] neg_lo:[0,0,1] neg_hi:[0,0,1]
	v_pk_fma_f32 v[152:153], v[152:153], v[148:149], v[164:165] op_sel:[0,0,1] op_sel_hi:[1,0,0]
	v_dual_mul_f32 v164, v155, v151 :: v_dual_mov_b32 v152, v155
	v_dual_mov_b32 v167, v153 :: v_dual_mov_b32 v153, v154
	s_delay_alu instid0(VALU_DEP_2) | instskip(SKIP_1) | instid1(VALU_DEP_3)
	v_pk_fma_f32 v[164:165], v[154:155], v[224:225], v[164:165] op_sel_hi:[1,1,0] neg_lo:[0,0,1] neg_hi:[0,0,1]
	v_mul_f32_e32 v154, v155, v148
	v_pk_add_f32 v[214:215], v[214:215], v[166:167] neg_lo:[0,1] neg_hi:[0,1]
	s_delay_alu instid0(VALU_DEP_2) | instskip(NEXT) | instid1(VALU_DEP_1)
	v_pk_fma_f32 v[152:153], v[152:153], v[224:225], v[154:155] op_sel_hi:[1,1,0]
	v_mov_b32_e32 v165, v153
	ds_load_2addr_b64 v[152:155], v182 offset0:53 offset1:54
	v_pk_add_f32 v[220:221], v[220:221], v[164:165] neg_lo:[0,1] neg_hi:[0,1]
	s_wait_dscnt 0x0
	v_pk_mul_f32 v[164:165], v[152:153], v[150:151] op_sel:[0,1]
	s_delay_alu instid0(VALU_DEP_1) | instskip(SKIP_1) | instid1(VALU_DEP_1)
	v_pk_fma_f32 v[166:167], v[152:153], v[148:149], v[164:165] op_sel:[0,0,1] op_sel_hi:[1,1,0] neg_lo:[0,0,1] neg_hi:[0,0,1]
	v_pk_fma_f32 v[152:153], v[152:153], v[148:149], v[164:165] op_sel:[0,0,1] op_sel_hi:[1,0,0]
	v_mov_b32_e32 v167, v153
	v_pk_mul_f32 v[152:153], v[154:155], v[150:151] op_sel:[0,1]
	s_delay_alu instid0(VALU_DEP_1) | instskip(SKIP_1) | instid1(VALU_DEP_1)
	v_pk_fma_f32 v[164:165], v[154:155], v[148:149], v[152:153] op_sel:[0,0,1] op_sel_hi:[1,1,0] neg_lo:[0,0,1] neg_hi:[0,0,1]
	v_pk_fma_f32 v[152:153], v[154:155], v[148:149], v[152:153] op_sel:[0,0,1] op_sel_hi:[1,0,0]
	v_mov_b32_e32 v165, v153
	ds_load_2addr_b64 v[152:155], v182 offset0:55 offset1:56
	v_pk_add_f32 v[212:213], v[212:213], v[166:167] neg_lo:[0,1] neg_hi:[0,1]
	v_pk_add_f32 v[218:219], v[218:219], v[164:165] neg_lo:[0,1] neg_hi:[0,1]
	s_wait_dscnt 0x0
	v_pk_mul_f32 v[164:165], v[152:153], v[150:151] op_sel:[0,1]
	v_pk_mul_f32 v[150:151], v[154:155], v[150:151] op_sel:[0,1]
	s_delay_alu instid0(VALU_DEP_2) | instskip(SKIP_1) | instid1(VALU_DEP_1)
	v_pk_fma_f32 v[166:167], v[152:153], v[148:149], v[164:165] op_sel:[0,0,1] op_sel_hi:[1,1,0] neg_lo:[0,0,1] neg_hi:[0,0,1]
	v_pk_fma_f32 v[152:153], v[152:153], v[148:149], v[164:165] op_sel:[0,0,1] op_sel_hi:[1,0,0]
	v_mov_b32_e32 v167, v153
	s_delay_alu instid0(VALU_DEP_4) | instskip(SKIP_1) | instid1(VALU_DEP_1)
	v_pk_fma_f32 v[152:153], v[154:155], v[148:149], v[150:151] op_sel:[0,0,1] op_sel_hi:[1,1,0] neg_lo:[0,0,1] neg_hi:[0,0,1]
	v_pk_fma_f32 v[148:149], v[154:155], v[148:149], v[150:151] op_sel:[0,0,1] op_sel_hi:[1,0,0]
	v_mov_b32_e32 v153, v149
	s_delay_alu instid0(VALU_DEP_4) | instskip(NEXT) | instid1(VALU_DEP_2)
	v_pk_add_f32 v[226:227], v[226:227], v[166:167] neg_lo:[0,1] neg_hi:[0,1]
	v_pk_add_f32 v[228:229], v[228:229], v[152:153] neg_lo:[0,1] neg_hi:[0,1]
.LBB113_442:
	s_or_b32 exec_lo, exec_lo, s1
	s_delay_alu instid0(SALU_CYCLE_1)
	s_mov_b32 s2, exec_lo
	s_wait_dscnt 0x0
	s_barrier_signal -1
	s_barrier_wait -1
	v_cmpx_eq_u32_e32 49, v180
	s_cbranch_execz .LBB113_449
; %bb.443:
	v_dual_mov_b32 v148, v222 :: v_dual_mov_b32 v149, v223
	v_dual_mov_b32 v150, v214 :: v_dual_mov_b32 v151, v215
	ds_store_b64 v181, v[216:217]
	ds_store_2addr_b64 v182, v[148:149], v[150:151] offset0:50 offset1:51
	v_dual_mov_b32 v148, v220 :: v_dual_mov_b32 v149, v221
	v_dual_mov_b32 v150, v212 :: v_dual_mov_b32 v151, v213
	ds_store_2addr_b64 v182, v[148:149], v[150:151] offset0:52 offset1:53
	v_dual_mov_b32 v148, v218 :: v_dual_mov_b32 v149, v219
	v_dual_mov_b32 v150, v226 :: v_dual_mov_b32 v151, v227
	ds_store_2addr_b64 v182, v[148:149], v[150:151] offset0:54 offset1:55
	ds_store_b64 v182, v[228:229] offset:448
	ds_load_b64 v[148:149], v181
	s_wait_dscnt 0x0
	v_cmp_neq_f32_e32 vcc_lo, 0, v148
	v_cmp_neq_f32_e64 s1, 0, v149
	s_or_b32 s1, vcc_lo, s1
	s_delay_alu instid0(SALU_CYCLE_1)
	s_and_b32 exec_lo, exec_lo, s1
	s_cbranch_execz .LBB113_449
; %bb.444:
	v_cmp_ngt_f32_e64 s1, |v148|, |v149|
                                        ; implicit-def: $vgpr150_vgpr151
	s_and_saveexec_b32 s4, s1
	s_delay_alu instid0(SALU_CYCLE_1)
	s_xor_b32 s1, exec_lo, s4
	s_cbranch_execz .LBB113_446
; %bb.445:
	v_div_scale_f32 v150, null, v149, v149, v148
	v_div_scale_f32 v153, vcc_lo, v148, v149, v148
	s_delay_alu instid0(VALU_DEP_2) | instskip(SKIP_1) | instid1(TRANS32_DEP_1)
	v_rcp_f32_e32 v151, v150
	v_nop
	v_fma_f32 v152, -v150, v151, 1.0
	s_delay_alu instid0(VALU_DEP_1) | instskip(NEXT) | instid1(VALU_DEP_1)
	v_fmac_f32_e32 v151, v152, v151
	v_mul_f32_e32 v152, v153, v151
	s_delay_alu instid0(VALU_DEP_1) | instskip(NEXT) | instid1(VALU_DEP_1)
	v_fma_f32 v154, -v150, v152, v153
	v_fmac_f32_e32 v152, v154, v151
	s_delay_alu instid0(VALU_DEP_1) | instskip(NEXT) | instid1(VALU_DEP_1)
	v_fma_f32 v150, -v150, v152, v153
	v_div_fmas_f32 v150, v150, v151, v152
	s_delay_alu instid0(VALU_DEP_1) | instskip(NEXT) | instid1(VALU_DEP_1)
	v_div_fixup_f32 v150, v150, v149, v148
	v_fmac_f32_e32 v149, v148, v150
	s_delay_alu instid0(VALU_DEP_1) | instskip(SKIP_1) | instid1(VALU_DEP_2)
	v_div_scale_f32 v148, null, v149, v149, 1.0
	v_div_scale_f32 v153, vcc_lo, 1.0, v149, 1.0
	v_rcp_f32_e32 v151, v148
	v_nop
	s_delay_alu instid0(TRANS32_DEP_1) | instskip(NEXT) | instid1(VALU_DEP_1)
	v_fma_f32 v152, -v148, v151, 1.0
	v_fmac_f32_e32 v151, v152, v151
	s_delay_alu instid0(VALU_DEP_1) | instskip(NEXT) | instid1(VALU_DEP_1)
	v_mul_f32_e32 v152, v153, v151
	v_fma_f32 v154, -v148, v152, v153
	s_delay_alu instid0(VALU_DEP_1) | instskip(NEXT) | instid1(VALU_DEP_1)
	v_fmac_f32_e32 v152, v154, v151
	v_fma_f32 v148, -v148, v152, v153
	s_delay_alu instid0(VALU_DEP_1) | instskip(NEXT) | instid1(VALU_DEP_1)
	v_div_fmas_f32 v148, v148, v151, v152
	v_div_fixup_f32 v148, v148, v149, 1.0
	s_delay_alu instid0(VALU_DEP_1)
	v_mul_f32_e32 v150, v150, v148
	v_xor_b32_e32 v151, 0x80000000, v148
                                        ; implicit-def: $vgpr148_vgpr149
.LBB113_446:
	s_and_not1_saveexec_b32 s1, s1
	s_cbranch_execz .LBB113_448
; %bb.447:
	v_div_scale_f32 v150, null, v148, v148, v149
	v_div_scale_f32 v153, vcc_lo, v149, v148, v149
	s_delay_alu instid0(VALU_DEP_2) | instskip(SKIP_1) | instid1(TRANS32_DEP_1)
	v_rcp_f32_e32 v151, v150
	v_nop
	v_fma_f32 v152, -v150, v151, 1.0
	s_delay_alu instid0(VALU_DEP_1) | instskip(NEXT) | instid1(VALU_DEP_1)
	v_fmac_f32_e32 v151, v152, v151
	v_mul_f32_e32 v152, v153, v151
	s_delay_alu instid0(VALU_DEP_1) | instskip(NEXT) | instid1(VALU_DEP_1)
	v_fma_f32 v154, -v150, v152, v153
	v_fmac_f32_e32 v152, v154, v151
	s_delay_alu instid0(VALU_DEP_1) | instskip(NEXT) | instid1(VALU_DEP_1)
	v_fma_f32 v150, -v150, v152, v153
	v_div_fmas_f32 v150, v150, v151, v152
	s_delay_alu instid0(VALU_DEP_1) | instskip(NEXT) | instid1(VALU_DEP_1)
	v_div_fixup_f32 v151, v150, v148, v149
	v_fmac_f32_e32 v148, v149, v151
	s_delay_alu instid0(VALU_DEP_1) | instskip(NEXT) | instid1(VALU_DEP_1)
	v_div_scale_f32 v149, null, v148, v148, 1.0
	v_rcp_f32_e32 v150, v149
	v_nop
	s_delay_alu instid0(TRANS32_DEP_1) | instskip(NEXT) | instid1(VALU_DEP_1)
	v_fma_f32 v152, -v149, v150, 1.0
	v_fmac_f32_e32 v150, v152, v150
	v_div_scale_f32 v152, vcc_lo, 1.0, v148, 1.0
	s_delay_alu instid0(VALU_DEP_1) | instskip(NEXT) | instid1(VALU_DEP_1)
	v_mul_f32_e32 v153, v152, v150
	v_fma_f32 v154, -v149, v153, v152
	s_delay_alu instid0(VALU_DEP_1) | instskip(NEXT) | instid1(VALU_DEP_1)
	v_fmac_f32_e32 v153, v154, v150
	v_fma_f32 v149, -v149, v153, v152
	s_delay_alu instid0(VALU_DEP_1) | instskip(NEXT) | instid1(VALU_DEP_1)
	v_div_fmas_f32 v149, v149, v150, v153
	v_div_fixup_f32 v150, v149, v148, 1.0
	s_delay_alu instid0(VALU_DEP_1)
	v_mul_f32_e64 v151, v151, -v150
.LBB113_448:
	s_or_b32 exec_lo, exec_lo, s1
	ds_store_b64 v181, v[150:151]
.LBB113_449:
	s_or_b32 exec_lo, exec_lo, s2
	s_wait_dscnt 0x0
	s_barrier_signal -1
	s_barrier_wait -1
	ds_load_b64 v[148:149], v181
	s_mov_b32 s1, exec_lo
	v_cmpx_lt_u32_e32 49, v180
	s_cbranch_execz .LBB113_451
; %bb.450:
	s_wait_dscnt 0x0
	v_pk_mul_f32 v[152:153], v[148:149], v[216:217] op_sel:[1,1] op_sel_hi:[0,1]
	s_delay_alu instid0(VALU_DEP_1)
	v_pk_fma_f32 v[150:151], v[148:149], v[216:217], v[152:153] op_sel_hi:[1,0,1] neg_lo:[0,0,1] neg_hi:[0,0,1]
	v_pk_fma_f32 v[164:165], v[148:149], v[216:217], v[152:153] op_sel_hi:[1,0,1]
	ds_load_2addr_b64 v[152:155], v182 offset0:50 offset1:51
	v_dual_mov_b32 v216, v150 :: v_dual_mov_b32 v217, v165
	s_wait_dscnt 0x0
	v_pk_mul_f32 v[166:167], v[152:153], v[164:165] op_sel:[0,1]
	s_delay_alu instid0(VALU_DEP_1) | instskip(SKIP_1) | instid1(VALU_DEP_1)
	v_pk_fma_f32 v[168:169], v[152:153], v[150:151], v[166:167] op_sel:[0,0,1] op_sel_hi:[1,1,0] neg_lo:[0,0,1] neg_hi:[0,0,1]
	v_pk_fma_f32 v[152:153], v[152:153], v[150:151], v[166:167] op_sel:[0,0,1] op_sel_hi:[1,0,0]
	v_mov_b32_e32 v169, v153
	v_pk_mul_f32 v[152:153], v[154:155], v[164:165] op_sel:[0,1]
	s_delay_alu instid0(VALU_DEP_1) | instskip(SKIP_1) | instid1(VALU_DEP_1)
	v_pk_fma_f32 v[166:167], v[154:155], v[150:151], v[152:153] op_sel:[0,0,1] op_sel_hi:[1,1,0] neg_lo:[0,0,1] neg_hi:[0,0,1]
	v_pk_fma_f32 v[152:153], v[154:155], v[150:151], v[152:153] op_sel:[0,0,1] op_sel_hi:[1,0,0]
	v_mov_b32_e32 v167, v153
	ds_load_2addr_b64 v[152:155], v182 offset0:52 offset1:53
	v_pk_add_f32 v[222:223], v[222:223], v[168:169] neg_lo:[0,1] neg_hi:[0,1]
	v_pk_add_f32 v[214:215], v[214:215], v[166:167] neg_lo:[0,1] neg_hi:[0,1]
	s_wait_dscnt 0x0
	v_pk_mul_f32 v[166:167], v[152:153], v[164:165] op_sel:[0,1]
	s_delay_alu instid0(VALU_DEP_1) | instskip(SKIP_2) | instid1(VALU_DEP_2)
	v_pk_fma_f32 v[168:169], v[152:153], v[150:151], v[166:167] op_sel:[0,0,1] op_sel_hi:[1,1,0] neg_lo:[0,0,1] neg_hi:[0,0,1]
	v_pk_fma_f32 v[152:153], v[152:153], v[150:151], v[166:167] op_sel:[0,0,1] op_sel_hi:[1,0,0]
	v_dual_mul_f32 v166, v155, v165 :: v_dual_mov_b32 v152, v155
	v_dual_mov_b32 v169, v153 :: v_dual_mov_b32 v153, v154
	s_delay_alu instid0(VALU_DEP_2) | instskip(SKIP_1) | instid1(VALU_DEP_3)
	v_pk_fma_f32 v[166:167], v[154:155], v[216:217], v[166:167] op_sel_hi:[1,1,0] neg_lo:[0,0,1] neg_hi:[0,0,1]
	v_mul_f32_e32 v154, v155, v150
	v_pk_add_f32 v[220:221], v[220:221], v[168:169] neg_lo:[0,1] neg_hi:[0,1]
	s_delay_alu instid0(VALU_DEP_2) | instskip(NEXT) | instid1(VALU_DEP_1)
	v_pk_fma_f32 v[152:153], v[152:153], v[216:217], v[154:155] op_sel_hi:[1,1,0]
	v_mov_b32_e32 v167, v153
	ds_load_2addr_b64 v[152:155], v182 offset0:54 offset1:55
	v_pk_add_f32 v[212:213], v[212:213], v[166:167] neg_lo:[0,1] neg_hi:[0,1]
	s_wait_dscnt 0x0
	v_pk_mul_f32 v[166:167], v[152:153], v[164:165] op_sel:[0,1]
	s_delay_alu instid0(VALU_DEP_1) | instskip(SKIP_1) | instid1(VALU_DEP_1)
	v_pk_fma_f32 v[168:169], v[152:153], v[150:151], v[166:167] op_sel:[0,0,1] op_sel_hi:[1,1,0] neg_lo:[0,0,1] neg_hi:[0,0,1]
	v_pk_fma_f32 v[152:153], v[152:153], v[150:151], v[166:167] op_sel:[0,0,1] op_sel_hi:[1,0,0]
	v_mov_b32_e32 v169, v153
	v_pk_mul_f32 v[152:153], v[154:155], v[164:165] op_sel:[0,1]
	s_delay_alu instid0(VALU_DEP_1) | instskip(SKIP_1) | instid1(VALU_DEP_1)
	v_pk_fma_f32 v[166:167], v[154:155], v[150:151], v[152:153] op_sel:[0,0,1] op_sel_hi:[1,1,0] neg_lo:[0,0,1] neg_hi:[0,0,1]
	v_pk_fma_f32 v[152:153], v[154:155], v[150:151], v[152:153] op_sel:[0,0,1] op_sel_hi:[1,0,0]
	v_mov_b32_e32 v167, v153
	ds_load_b64 v[152:153], v182 offset:448
	v_pk_add_f32 v[218:219], v[218:219], v[168:169] neg_lo:[0,1] neg_hi:[0,1]
	v_pk_add_f32 v[226:227], v[226:227], v[166:167] neg_lo:[0,1] neg_hi:[0,1]
	s_wait_dscnt 0x0
	v_pk_mul_f32 v[154:155], v[152:153], v[164:165] op_sel:[0,1]
	s_delay_alu instid0(VALU_DEP_1) | instskip(SKIP_1) | instid1(VALU_DEP_1)
	v_pk_fma_f32 v[164:165], v[152:153], v[150:151], v[154:155] op_sel:[0,0,1] op_sel_hi:[1,1,0] neg_lo:[0,0,1] neg_hi:[0,0,1]
	v_pk_fma_f32 v[150:151], v[152:153], v[150:151], v[154:155] op_sel:[0,0,1] op_sel_hi:[1,0,0]
	v_mov_b32_e32 v165, v151
	s_delay_alu instid0(VALU_DEP_1)
	v_pk_add_f32 v[228:229], v[228:229], v[164:165] neg_lo:[0,1] neg_hi:[0,1]
.LBB113_451:
	s_or_b32 exec_lo, exec_lo, s1
	s_delay_alu instid0(SALU_CYCLE_1)
	s_mov_b32 s2, exec_lo
	s_wait_dscnt 0x0
	s_barrier_signal -1
	s_barrier_wait -1
	v_cmpx_eq_u32_e32 50, v180
	s_cbranch_execz .LBB113_458
; %bb.452:
	ds_store_b64 v181, v[222:223]
	ds_store_2addr_b64 v182, v[214:215], v[220:221] offset0:51 offset1:52
	ds_store_2addr_b64 v182, v[212:213], v[218:219] offset0:53 offset1:54
	;; [unrolled: 1-line block ×3, first 2 shown]
	ds_load_b64 v[150:151], v181
	s_wait_dscnt 0x0
	v_cmp_neq_f32_e32 vcc_lo, 0, v150
	v_cmp_neq_f32_e64 s1, 0, v151
	s_or_b32 s1, vcc_lo, s1
	s_delay_alu instid0(SALU_CYCLE_1)
	s_and_b32 exec_lo, exec_lo, s1
	s_cbranch_execz .LBB113_458
; %bb.453:
	v_cmp_ngt_f32_e64 s1, |v150|, |v151|
                                        ; implicit-def: $vgpr152_vgpr153
	s_and_saveexec_b32 s4, s1
	s_delay_alu instid0(SALU_CYCLE_1)
	s_xor_b32 s1, exec_lo, s4
	s_cbranch_execz .LBB113_455
; %bb.454:
	v_div_scale_f32 v152, null, v151, v151, v150
	v_div_scale_f32 v155, vcc_lo, v150, v151, v150
	s_delay_alu instid0(VALU_DEP_2) | instskip(SKIP_1) | instid1(TRANS32_DEP_1)
	v_rcp_f32_e32 v153, v152
	v_nop
	v_fma_f32 v154, -v152, v153, 1.0
	s_delay_alu instid0(VALU_DEP_1) | instskip(NEXT) | instid1(VALU_DEP_1)
	v_fmac_f32_e32 v153, v154, v153
	v_mul_f32_e32 v154, v155, v153
	s_delay_alu instid0(VALU_DEP_1) | instskip(NEXT) | instid1(VALU_DEP_1)
	v_fma_f32 v164, -v152, v154, v155
	v_fmac_f32_e32 v154, v164, v153
	s_delay_alu instid0(VALU_DEP_1) | instskip(NEXT) | instid1(VALU_DEP_1)
	v_fma_f32 v152, -v152, v154, v155
	v_div_fmas_f32 v152, v152, v153, v154
	s_delay_alu instid0(VALU_DEP_1) | instskip(NEXT) | instid1(VALU_DEP_1)
	v_div_fixup_f32 v152, v152, v151, v150
	v_fmac_f32_e32 v151, v150, v152
	s_delay_alu instid0(VALU_DEP_1) | instskip(SKIP_1) | instid1(VALU_DEP_2)
	v_div_scale_f32 v150, null, v151, v151, 1.0
	v_div_scale_f32 v155, vcc_lo, 1.0, v151, 1.0
	v_rcp_f32_e32 v153, v150
	v_nop
	s_delay_alu instid0(TRANS32_DEP_1) | instskip(NEXT) | instid1(VALU_DEP_1)
	v_fma_f32 v154, -v150, v153, 1.0
	v_fmac_f32_e32 v153, v154, v153
	s_delay_alu instid0(VALU_DEP_1) | instskip(NEXT) | instid1(VALU_DEP_1)
	v_mul_f32_e32 v154, v155, v153
	v_fma_f32 v164, -v150, v154, v155
	s_delay_alu instid0(VALU_DEP_1) | instskip(NEXT) | instid1(VALU_DEP_1)
	v_fmac_f32_e32 v154, v164, v153
	v_fma_f32 v150, -v150, v154, v155
	s_delay_alu instid0(VALU_DEP_1) | instskip(NEXT) | instid1(VALU_DEP_1)
	v_div_fmas_f32 v150, v150, v153, v154
	v_div_fixup_f32 v150, v150, v151, 1.0
	s_delay_alu instid0(VALU_DEP_1)
	v_mul_f32_e32 v152, v152, v150
	v_xor_b32_e32 v153, 0x80000000, v150
                                        ; implicit-def: $vgpr150_vgpr151
.LBB113_455:
	s_and_not1_saveexec_b32 s1, s1
	s_cbranch_execz .LBB113_457
; %bb.456:
	v_div_scale_f32 v152, null, v150, v150, v151
	v_div_scale_f32 v155, vcc_lo, v151, v150, v151
	s_delay_alu instid0(VALU_DEP_2) | instskip(SKIP_1) | instid1(TRANS32_DEP_1)
	v_rcp_f32_e32 v153, v152
	v_nop
	v_fma_f32 v154, -v152, v153, 1.0
	s_delay_alu instid0(VALU_DEP_1) | instskip(NEXT) | instid1(VALU_DEP_1)
	v_fmac_f32_e32 v153, v154, v153
	v_mul_f32_e32 v154, v155, v153
	s_delay_alu instid0(VALU_DEP_1) | instskip(NEXT) | instid1(VALU_DEP_1)
	v_fma_f32 v164, -v152, v154, v155
	v_fmac_f32_e32 v154, v164, v153
	s_delay_alu instid0(VALU_DEP_1) | instskip(NEXT) | instid1(VALU_DEP_1)
	v_fma_f32 v152, -v152, v154, v155
	v_div_fmas_f32 v152, v152, v153, v154
	s_delay_alu instid0(VALU_DEP_1) | instskip(NEXT) | instid1(VALU_DEP_1)
	v_div_fixup_f32 v153, v152, v150, v151
	v_fmac_f32_e32 v150, v151, v153
	s_delay_alu instid0(VALU_DEP_1) | instskip(NEXT) | instid1(VALU_DEP_1)
	v_div_scale_f32 v151, null, v150, v150, 1.0
	v_rcp_f32_e32 v152, v151
	v_nop
	s_delay_alu instid0(TRANS32_DEP_1) | instskip(NEXT) | instid1(VALU_DEP_1)
	v_fma_f32 v154, -v151, v152, 1.0
	v_fmac_f32_e32 v152, v154, v152
	v_div_scale_f32 v154, vcc_lo, 1.0, v150, 1.0
	s_delay_alu instid0(VALU_DEP_1) | instskip(NEXT) | instid1(VALU_DEP_1)
	v_mul_f32_e32 v155, v154, v152
	v_fma_f32 v164, -v151, v155, v154
	s_delay_alu instid0(VALU_DEP_1) | instskip(NEXT) | instid1(VALU_DEP_1)
	v_fmac_f32_e32 v155, v164, v152
	v_fma_f32 v151, -v151, v155, v154
	s_delay_alu instid0(VALU_DEP_1) | instskip(NEXT) | instid1(VALU_DEP_1)
	v_div_fmas_f32 v151, v151, v152, v155
	v_div_fixup_f32 v152, v151, v150, 1.0
	s_delay_alu instid0(VALU_DEP_1)
	v_mul_f32_e64 v153, v153, -v152
.LBB113_457:
	s_or_b32 exec_lo, exec_lo, s1
	ds_store_b64 v181, v[152:153]
.LBB113_458:
	s_or_b32 exec_lo, exec_lo, s2
	s_wait_dscnt 0x0
	s_barrier_signal -1
	s_barrier_wait -1
	ds_load_b64 v[150:151], v181
	s_mov_b32 s1, exec_lo
	v_cmpx_lt_u32_e32 50, v180
	s_cbranch_execz .LBB113_460
; %bb.459:
	s_wait_dscnt 0x0
	v_pk_mul_f32 v[152:153], v[150:151], v[222:223] op_sel:[1,1] op_sel_hi:[0,1]
	s_delay_alu instid0(VALU_DEP_1)
	v_pk_fma_f32 v[164:165], v[150:151], v[222:223], v[152:153] op_sel_hi:[1,0,1] neg_lo:[0,0,1] neg_hi:[0,0,1]
	v_pk_fma_f32 v[166:167], v[150:151], v[222:223], v[152:153] op_sel_hi:[1,0,1]
	ds_load_2addr_b64 v[152:155], v182 offset0:51 offset1:52
	v_dual_mov_b32 v222, v164 :: v_dual_mov_b32 v223, v167
	s_wait_dscnt 0x0
	v_pk_mul_f32 v[168:169], v[152:153], v[166:167] op_sel:[0,1]
	s_delay_alu instid0(VALU_DEP_1) | instskip(SKIP_1) | instid1(VALU_DEP_1)
	v_pk_fma_f32 v[170:171], v[152:153], v[164:165], v[168:169] op_sel:[0,0,1] op_sel_hi:[1,1,0] neg_lo:[0,0,1] neg_hi:[0,0,1]
	v_pk_fma_f32 v[152:153], v[152:153], v[164:165], v[168:169] op_sel:[0,0,1] op_sel_hi:[1,0,0]
	v_mov_b32_e32 v171, v153
	v_pk_mul_f32 v[152:153], v[154:155], v[166:167] op_sel:[0,1]
	s_delay_alu instid0(VALU_DEP_1) | instskip(SKIP_1) | instid1(VALU_DEP_1)
	v_pk_fma_f32 v[168:169], v[154:155], v[164:165], v[152:153] op_sel:[0,0,1] op_sel_hi:[1,1,0] neg_lo:[0,0,1] neg_hi:[0,0,1]
	v_pk_fma_f32 v[152:153], v[154:155], v[164:165], v[152:153] op_sel:[0,0,1] op_sel_hi:[1,0,0]
	v_mov_b32_e32 v169, v153
	ds_load_2addr_b64 v[152:155], v182 offset0:53 offset1:54
	v_pk_add_f32 v[214:215], v[214:215], v[170:171] neg_lo:[0,1] neg_hi:[0,1]
	v_pk_add_f32 v[220:221], v[220:221], v[168:169] neg_lo:[0,1] neg_hi:[0,1]
	s_wait_dscnt 0x0
	v_pk_mul_f32 v[168:169], v[152:153], v[166:167] op_sel:[0,1]
	s_delay_alu instid0(VALU_DEP_1) | instskip(SKIP_2) | instid1(VALU_DEP_2)
	v_pk_fma_f32 v[170:171], v[152:153], v[164:165], v[168:169] op_sel:[0,0,1] op_sel_hi:[1,1,0] neg_lo:[0,0,1] neg_hi:[0,0,1]
	v_pk_fma_f32 v[152:153], v[152:153], v[164:165], v[168:169] op_sel:[0,0,1] op_sel_hi:[1,0,0]
	v_dual_mul_f32 v168, v155, v167 :: v_dual_mov_b32 v152, v155
	v_dual_mov_b32 v171, v153 :: v_dual_mov_b32 v153, v154
	s_delay_alu instid0(VALU_DEP_2) | instskip(SKIP_1) | instid1(VALU_DEP_3)
	v_pk_fma_f32 v[168:169], v[154:155], v[222:223], v[168:169] op_sel_hi:[1,1,0] neg_lo:[0,0,1] neg_hi:[0,0,1]
	v_mul_f32_e32 v154, v155, v164
	v_pk_add_f32 v[212:213], v[212:213], v[170:171] neg_lo:[0,1] neg_hi:[0,1]
	s_delay_alu instid0(VALU_DEP_2) | instskip(NEXT) | instid1(VALU_DEP_1)
	v_pk_fma_f32 v[152:153], v[152:153], v[222:223], v[154:155] op_sel_hi:[1,1,0]
	v_mov_b32_e32 v169, v153
	ds_load_2addr_b64 v[152:155], v182 offset0:55 offset1:56
	v_pk_add_f32 v[218:219], v[218:219], v[168:169] neg_lo:[0,1] neg_hi:[0,1]
	s_wait_dscnt 0x0
	v_pk_mul_f32 v[168:169], v[152:153], v[166:167] op_sel:[0,1]
	v_mul_f32_e32 v166, v155, v167
	s_delay_alu instid0(VALU_DEP_2) | instskip(SKIP_2) | instid1(VALU_DEP_4)
	v_pk_fma_f32 v[170:171], v[152:153], v[164:165], v[168:169] op_sel:[0,0,1] op_sel_hi:[1,1,0] neg_lo:[0,0,1] neg_hi:[0,0,1]
	v_pk_fma_f32 v[152:153], v[152:153], v[164:165], v[168:169] op_sel:[0,0,1] op_sel_hi:[1,0,0]
	v_mov_b32_e32 v152, v155
	v_pk_fma_f32 v[166:167], v[154:155], v[222:223], v[166:167] op_sel_hi:[1,1,0] neg_lo:[0,0,1] neg_hi:[0,0,1]
	s_delay_alu instid0(VALU_DEP_3) | instskip(SKIP_1) | instid1(VALU_DEP_2)
	v_dual_mov_b32 v171, v153 :: v_dual_mov_b32 v153, v154
	v_mul_f32_e32 v154, v155, v164
	v_pk_add_f32 v[226:227], v[226:227], v[170:171] neg_lo:[0,1] neg_hi:[0,1]
	s_delay_alu instid0(VALU_DEP_2) | instskip(NEXT) | instid1(VALU_DEP_1)
	v_pk_fma_f32 v[152:153], v[152:153], v[222:223], v[154:155] op_sel_hi:[1,1,0]
	v_mov_b32_e32 v167, v153
	s_delay_alu instid0(VALU_DEP_1)
	v_pk_add_f32 v[228:229], v[228:229], v[166:167] neg_lo:[0,1] neg_hi:[0,1]
.LBB113_460:
	s_or_b32 exec_lo, exec_lo, s1
	s_delay_alu instid0(SALU_CYCLE_1)
	s_mov_b32 s2, exec_lo
	s_wait_dscnt 0x0
	s_barrier_signal -1
	s_barrier_wait -1
	v_cmpx_eq_u32_e32 51, v180
	s_cbranch_execz .LBB113_467
; %bb.461:
	v_dual_mov_b32 v152, v220 :: v_dual_mov_b32 v153, v221
	v_dual_mov_b32 v154, v212 :: v_dual_mov_b32 v155, v213
	ds_store_b64 v181, v[214:215]
	ds_store_2addr_b64 v182, v[152:153], v[154:155] offset0:52 offset1:53
	v_dual_mov_b32 v152, v218 :: v_dual_mov_b32 v153, v219
	v_dual_mov_b32 v154, v226 :: v_dual_mov_b32 v155, v227
	ds_store_2addr_b64 v182, v[152:153], v[154:155] offset0:54 offset1:55
	ds_store_b64 v182, v[228:229] offset:448
	ds_load_b64 v[152:153], v181
	s_wait_dscnt 0x0
	v_cmp_neq_f32_e32 vcc_lo, 0, v152
	v_cmp_neq_f32_e64 s1, 0, v153
	s_or_b32 s1, vcc_lo, s1
	s_delay_alu instid0(SALU_CYCLE_1)
	s_and_b32 exec_lo, exec_lo, s1
	s_cbranch_execz .LBB113_467
; %bb.462:
	v_cmp_ngt_f32_e64 s1, |v152|, |v153|
                                        ; implicit-def: $vgpr154_vgpr155
	s_and_saveexec_b32 s4, s1
	s_delay_alu instid0(SALU_CYCLE_1)
	s_xor_b32 s1, exec_lo, s4
	s_cbranch_execz .LBB113_464
; %bb.463:
	v_div_scale_f32 v154, null, v153, v153, v152
	v_div_scale_f32 v165, vcc_lo, v152, v153, v152
	s_delay_alu instid0(VALU_DEP_2) | instskip(SKIP_1) | instid1(TRANS32_DEP_1)
	v_rcp_f32_e32 v155, v154
	v_nop
	v_fma_f32 v164, -v154, v155, 1.0
	s_delay_alu instid0(VALU_DEP_1) | instskip(NEXT) | instid1(VALU_DEP_1)
	v_fmac_f32_e32 v155, v164, v155
	v_mul_f32_e32 v164, v165, v155
	s_delay_alu instid0(VALU_DEP_1) | instskip(NEXT) | instid1(VALU_DEP_1)
	v_fma_f32 v166, -v154, v164, v165
	v_fmac_f32_e32 v164, v166, v155
	s_delay_alu instid0(VALU_DEP_1) | instskip(NEXT) | instid1(VALU_DEP_1)
	v_fma_f32 v154, -v154, v164, v165
	v_div_fmas_f32 v154, v154, v155, v164
	s_delay_alu instid0(VALU_DEP_1) | instskip(NEXT) | instid1(VALU_DEP_1)
	v_div_fixup_f32 v154, v154, v153, v152
	v_fmac_f32_e32 v153, v152, v154
	s_delay_alu instid0(VALU_DEP_1) | instskip(SKIP_1) | instid1(VALU_DEP_2)
	v_div_scale_f32 v152, null, v153, v153, 1.0
	v_div_scale_f32 v165, vcc_lo, 1.0, v153, 1.0
	v_rcp_f32_e32 v155, v152
	v_nop
	s_delay_alu instid0(TRANS32_DEP_1) | instskip(NEXT) | instid1(VALU_DEP_1)
	v_fma_f32 v164, -v152, v155, 1.0
	v_fmac_f32_e32 v155, v164, v155
	s_delay_alu instid0(VALU_DEP_1) | instskip(NEXT) | instid1(VALU_DEP_1)
	v_mul_f32_e32 v164, v165, v155
	v_fma_f32 v166, -v152, v164, v165
	s_delay_alu instid0(VALU_DEP_1) | instskip(NEXT) | instid1(VALU_DEP_1)
	v_fmac_f32_e32 v164, v166, v155
	v_fma_f32 v152, -v152, v164, v165
	s_delay_alu instid0(VALU_DEP_1) | instskip(NEXT) | instid1(VALU_DEP_1)
	v_div_fmas_f32 v152, v152, v155, v164
	v_div_fixup_f32 v152, v152, v153, 1.0
	s_delay_alu instid0(VALU_DEP_1)
	v_mul_f32_e32 v154, v154, v152
	v_xor_b32_e32 v155, 0x80000000, v152
                                        ; implicit-def: $vgpr152_vgpr153
.LBB113_464:
	s_and_not1_saveexec_b32 s1, s1
	s_cbranch_execz .LBB113_466
; %bb.465:
	v_div_scale_f32 v154, null, v152, v152, v153
	v_div_scale_f32 v165, vcc_lo, v153, v152, v153
	s_delay_alu instid0(VALU_DEP_2) | instskip(SKIP_1) | instid1(TRANS32_DEP_1)
	v_rcp_f32_e32 v155, v154
	v_nop
	v_fma_f32 v164, -v154, v155, 1.0
	s_delay_alu instid0(VALU_DEP_1) | instskip(NEXT) | instid1(VALU_DEP_1)
	v_fmac_f32_e32 v155, v164, v155
	v_mul_f32_e32 v164, v165, v155
	s_delay_alu instid0(VALU_DEP_1) | instskip(NEXT) | instid1(VALU_DEP_1)
	v_fma_f32 v166, -v154, v164, v165
	v_fmac_f32_e32 v164, v166, v155
	s_delay_alu instid0(VALU_DEP_1) | instskip(NEXT) | instid1(VALU_DEP_1)
	v_fma_f32 v154, -v154, v164, v165
	v_div_fmas_f32 v154, v154, v155, v164
	s_delay_alu instid0(VALU_DEP_1) | instskip(NEXT) | instid1(VALU_DEP_1)
	v_div_fixup_f32 v155, v154, v152, v153
	v_fmac_f32_e32 v152, v153, v155
	s_delay_alu instid0(VALU_DEP_1) | instskip(NEXT) | instid1(VALU_DEP_1)
	v_div_scale_f32 v153, null, v152, v152, 1.0
	v_rcp_f32_e32 v154, v153
	v_nop
	s_delay_alu instid0(TRANS32_DEP_1) | instskip(NEXT) | instid1(VALU_DEP_1)
	v_fma_f32 v164, -v153, v154, 1.0
	v_fmac_f32_e32 v154, v164, v154
	v_div_scale_f32 v164, vcc_lo, 1.0, v152, 1.0
	s_delay_alu instid0(VALU_DEP_1) | instskip(NEXT) | instid1(VALU_DEP_1)
	v_mul_f32_e32 v165, v164, v154
	v_fma_f32 v166, -v153, v165, v164
	s_delay_alu instid0(VALU_DEP_1) | instskip(NEXT) | instid1(VALU_DEP_1)
	v_fmac_f32_e32 v165, v166, v154
	v_fma_f32 v153, -v153, v165, v164
	s_delay_alu instid0(VALU_DEP_1) | instskip(NEXT) | instid1(VALU_DEP_1)
	v_div_fmas_f32 v153, v153, v154, v165
	v_div_fixup_f32 v154, v153, v152, 1.0
	s_delay_alu instid0(VALU_DEP_1)
	v_mul_f32_e64 v155, v155, -v154
.LBB113_466:
	s_or_b32 exec_lo, exec_lo, s1
	ds_store_b64 v181, v[154:155]
.LBB113_467:
	s_or_b32 exec_lo, exec_lo, s2
	s_wait_dscnt 0x0
	s_barrier_signal -1
	s_barrier_wait -1
	ds_load_b64 v[152:153], v181
	s_mov_b32 s1, exec_lo
	v_cmpx_lt_u32_e32 51, v180
	s_cbranch_execz .LBB113_469
; %bb.468:
	ds_load_2addr_b64 v[164:167], v182 offset0:52 offset1:53
	s_wait_dscnt 0x1
	v_pk_mul_f32 v[154:155], v[152:153], v[214:215] op_sel:[1,1] op_sel_hi:[0,1]
	s_delay_alu instid0(VALU_DEP_1) | instskip(SKIP_1) | instid1(VALU_DEP_1)
	v_pk_fma_f32 v[168:169], v[152:153], v[214:215], v[154:155] op_sel_hi:[1,0,1] neg_lo:[0,0,1] neg_hi:[0,0,1]
	v_pk_fma_f32 v[154:155], v[152:153], v[214:215], v[154:155] op_sel_hi:[1,0,1]
	v_dual_mov_b32 v214, v168 :: v_dual_mov_b32 v215, v155
	s_wait_dscnt 0x0
	s_delay_alu instid0(VALU_DEP_2) | instskip(NEXT) | instid1(VALU_DEP_1)
	v_pk_mul_f32 v[170:171], v[164:165], v[154:155] op_sel:[0,1]
	v_pk_fma_f32 v[184:185], v[164:165], v[168:169], v[170:171] op_sel:[0,0,1] op_sel_hi:[1,1,0] neg_lo:[0,0,1] neg_hi:[0,0,1]
	v_pk_fma_f32 v[164:165], v[164:165], v[168:169], v[170:171] op_sel:[0,0,1] op_sel_hi:[1,0,0]
	s_delay_alu instid0(VALU_DEP_1) | instskip(SKIP_1) | instid1(VALU_DEP_1)
	v_mov_b32_e32 v185, v165
	v_pk_mul_f32 v[164:165], v[166:167], v[154:155] op_sel:[0,1]
	v_pk_fma_f32 v[170:171], v[166:167], v[168:169], v[164:165] op_sel:[0,0,1] op_sel_hi:[1,1,0] neg_lo:[0,0,1] neg_hi:[0,0,1]
	v_pk_fma_f32 v[164:165], v[166:167], v[168:169], v[164:165] op_sel:[0,0,1] op_sel_hi:[1,0,0]
	s_delay_alu instid0(VALU_DEP_1)
	v_mov_b32_e32 v171, v165
	ds_load_2addr_b64 v[164:167], v182 offset0:54 offset1:55
	v_pk_add_f32 v[220:221], v[220:221], v[184:185] neg_lo:[0,1] neg_hi:[0,1]
	v_pk_add_f32 v[212:213], v[212:213], v[170:171] neg_lo:[0,1] neg_hi:[0,1]
	s_wait_dscnt 0x0
	v_pk_mul_f32 v[170:171], v[164:165], v[154:155] op_sel:[0,1]
	s_delay_alu instid0(VALU_DEP_1) | instskip(SKIP_2) | instid1(VALU_DEP_2)
	v_pk_fma_f32 v[184:185], v[164:165], v[168:169], v[170:171] op_sel:[0,0,1] op_sel_hi:[1,1,0] neg_lo:[0,0,1] neg_hi:[0,0,1]
	v_pk_fma_f32 v[164:165], v[164:165], v[168:169], v[170:171] op_sel:[0,0,1] op_sel_hi:[1,0,0]
	v_dual_mul_f32 v170, v167, v155 :: v_dual_mov_b32 v164, v167
	v_dual_mov_b32 v185, v165 :: v_dual_mov_b32 v165, v166
	s_delay_alu instid0(VALU_DEP_2) | instskip(SKIP_1) | instid1(VALU_DEP_3)
	v_pk_fma_f32 v[170:171], v[166:167], v[214:215], v[170:171] op_sel_hi:[1,1,0] neg_lo:[0,0,1] neg_hi:[0,0,1]
	v_mul_f32_e32 v166, v167, v168
	v_pk_add_f32 v[218:219], v[218:219], v[184:185] neg_lo:[0,1] neg_hi:[0,1]
	s_delay_alu instid0(VALU_DEP_2) | instskip(NEXT) | instid1(VALU_DEP_1)
	v_pk_fma_f32 v[164:165], v[164:165], v[214:215], v[166:167] op_sel_hi:[1,1,0]
	v_mov_b32_e32 v171, v165
	ds_load_b64 v[164:165], v182 offset:448
	v_pk_add_f32 v[226:227], v[226:227], v[170:171] neg_lo:[0,1] neg_hi:[0,1]
	s_wait_dscnt 0x0
	v_pk_mul_f32 v[154:155], v[164:165], v[154:155] op_sel:[0,1]
	s_delay_alu instid0(VALU_DEP_1) | instskip(SKIP_1) | instid1(VALU_DEP_1)
	v_pk_fma_f32 v[166:167], v[164:165], v[168:169], v[154:155] op_sel:[0,0,1] op_sel_hi:[1,1,0] neg_lo:[0,0,1] neg_hi:[0,0,1]
	v_pk_fma_f32 v[154:155], v[164:165], v[168:169], v[154:155] op_sel:[0,0,1] op_sel_hi:[1,0,0]
	v_mov_b32_e32 v167, v155
	s_delay_alu instid0(VALU_DEP_1)
	v_pk_add_f32 v[228:229], v[228:229], v[166:167] neg_lo:[0,1] neg_hi:[0,1]
.LBB113_469:
	s_or_b32 exec_lo, exec_lo, s1
	s_delay_alu instid0(SALU_CYCLE_1)
	s_mov_b32 s2, exec_lo
	s_wait_dscnt 0x0
	s_barrier_signal -1
	s_barrier_wait -1
	v_cmpx_eq_u32_e32 52, v180
	s_cbranch_execz .LBB113_476
; %bb.470:
	ds_store_b64 v181, v[220:221]
	ds_store_2addr_b64 v182, v[212:213], v[218:219] offset0:53 offset1:54
	ds_store_2addr_b64 v182, v[226:227], v[228:229] offset0:55 offset1:56
	ds_load_b64 v[154:155], v181
	s_wait_dscnt 0x0
	v_cmp_neq_f32_e32 vcc_lo, 0, v154
	v_cmp_neq_f32_e64 s1, 0, v155
	s_or_b32 s1, vcc_lo, s1
	s_delay_alu instid0(SALU_CYCLE_1)
	s_and_b32 exec_lo, exec_lo, s1
	s_cbranch_execz .LBB113_476
; %bb.471:
	v_cmp_ngt_f32_e64 s1, |v154|, |v155|
                                        ; implicit-def: $vgpr164_vgpr165
	s_and_saveexec_b32 s4, s1
	s_delay_alu instid0(SALU_CYCLE_1)
	s_xor_b32 s1, exec_lo, s4
	s_cbranch_execz .LBB113_473
; %bb.472:
	v_div_scale_f32 v164, null, v155, v155, v154
	v_div_scale_f32 v167, vcc_lo, v154, v155, v154
	s_delay_alu instid0(VALU_DEP_2) | instskip(SKIP_1) | instid1(TRANS32_DEP_1)
	v_rcp_f32_e32 v165, v164
	v_nop
	v_fma_f32 v166, -v164, v165, 1.0
	s_delay_alu instid0(VALU_DEP_1) | instskip(NEXT) | instid1(VALU_DEP_1)
	v_fmac_f32_e32 v165, v166, v165
	v_mul_f32_e32 v166, v167, v165
	s_delay_alu instid0(VALU_DEP_1) | instskip(NEXT) | instid1(VALU_DEP_1)
	v_fma_f32 v168, -v164, v166, v167
	v_fmac_f32_e32 v166, v168, v165
	s_delay_alu instid0(VALU_DEP_1) | instskip(NEXT) | instid1(VALU_DEP_1)
	v_fma_f32 v164, -v164, v166, v167
	v_div_fmas_f32 v164, v164, v165, v166
	s_delay_alu instid0(VALU_DEP_1) | instskip(NEXT) | instid1(VALU_DEP_1)
	v_div_fixup_f32 v164, v164, v155, v154
	v_fmac_f32_e32 v155, v154, v164
	s_delay_alu instid0(VALU_DEP_1) | instskip(SKIP_1) | instid1(VALU_DEP_2)
	v_div_scale_f32 v154, null, v155, v155, 1.0
	v_div_scale_f32 v167, vcc_lo, 1.0, v155, 1.0
	v_rcp_f32_e32 v165, v154
	v_nop
	s_delay_alu instid0(TRANS32_DEP_1) | instskip(NEXT) | instid1(VALU_DEP_1)
	v_fma_f32 v166, -v154, v165, 1.0
	v_fmac_f32_e32 v165, v166, v165
	s_delay_alu instid0(VALU_DEP_1) | instskip(NEXT) | instid1(VALU_DEP_1)
	v_mul_f32_e32 v166, v167, v165
	v_fma_f32 v168, -v154, v166, v167
	s_delay_alu instid0(VALU_DEP_1) | instskip(NEXT) | instid1(VALU_DEP_1)
	v_fmac_f32_e32 v166, v168, v165
	v_fma_f32 v154, -v154, v166, v167
	s_delay_alu instid0(VALU_DEP_1) | instskip(NEXT) | instid1(VALU_DEP_1)
	v_div_fmas_f32 v154, v154, v165, v166
	v_div_fixup_f32 v154, v154, v155, 1.0
	s_delay_alu instid0(VALU_DEP_1)
	v_mul_f32_e32 v164, v164, v154
	v_xor_b32_e32 v165, 0x80000000, v154
                                        ; implicit-def: $vgpr154_vgpr155
.LBB113_473:
	s_and_not1_saveexec_b32 s1, s1
	s_cbranch_execz .LBB113_475
; %bb.474:
	v_div_scale_f32 v164, null, v154, v154, v155
	v_div_scale_f32 v167, vcc_lo, v155, v154, v155
	s_delay_alu instid0(VALU_DEP_2) | instskip(SKIP_1) | instid1(TRANS32_DEP_1)
	v_rcp_f32_e32 v165, v164
	v_nop
	v_fma_f32 v166, -v164, v165, 1.0
	s_delay_alu instid0(VALU_DEP_1) | instskip(NEXT) | instid1(VALU_DEP_1)
	v_fmac_f32_e32 v165, v166, v165
	v_mul_f32_e32 v166, v167, v165
	s_delay_alu instid0(VALU_DEP_1) | instskip(NEXT) | instid1(VALU_DEP_1)
	v_fma_f32 v168, -v164, v166, v167
	v_fmac_f32_e32 v166, v168, v165
	s_delay_alu instid0(VALU_DEP_1) | instskip(NEXT) | instid1(VALU_DEP_1)
	v_fma_f32 v164, -v164, v166, v167
	v_div_fmas_f32 v164, v164, v165, v166
	s_delay_alu instid0(VALU_DEP_1) | instskip(NEXT) | instid1(VALU_DEP_1)
	v_div_fixup_f32 v165, v164, v154, v155
	v_fmac_f32_e32 v154, v155, v165
	s_delay_alu instid0(VALU_DEP_1) | instskip(NEXT) | instid1(VALU_DEP_1)
	v_div_scale_f32 v155, null, v154, v154, 1.0
	v_rcp_f32_e32 v164, v155
	v_nop
	s_delay_alu instid0(TRANS32_DEP_1) | instskip(NEXT) | instid1(VALU_DEP_1)
	v_fma_f32 v166, -v155, v164, 1.0
	v_fmac_f32_e32 v164, v166, v164
	v_div_scale_f32 v166, vcc_lo, 1.0, v154, 1.0
	s_delay_alu instid0(VALU_DEP_1) | instskip(NEXT) | instid1(VALU_DEP_1)
	v_mul_f32_e32 v167, v166, v164
	v_fma_f32 v168, -v155, v167, v166
	s_delay_alu instid0(VALU_DEP_1) | instskip(NEXT) | instid1(VALU_DEP_1)
	v_fmac_f32_e32 v167, v168, v164
	v_fma_f32 v155, -v155, v167, v166
	s_delay_alu instid0(VALU_DEP_1) | instskip(NEXT) | instid1(VALU_DEP_1)
	v_div_fmas_f32 v155, v155, v164, v167
	v_div_fixup_f32 v164, v155, v154, 1.0
	s_delay_alu instid0(VALU_DEP_1)
	v_mul_f32_e64 v165, v165, -v164
.LBB113_475:
	s_or_b32 exec_lo, exec_lo, s1
	ds_store_b64 v181, v[164:165]
.LBB113_476:
	s_or_b32 exec_lo, exec_lo, s2
	s_wait_dscnt 0x0
	s_barrier_signal -1
	s_barrier_wait -1
	ds_load_b64 v[164:165], v181
	s_mov_b32 s1, exec_lo
	v_cmpx_lt_u32_e32 52, v180
	s_cbranch_execz .LBB113_478
; %bb.477:
	ds_load_2addr_b64 v[166:169], v182 offset0:53 offset1:54
	s_wait_dscnt 0x1
	v_pk_mul_f32 v[154:155], v[164:165], v[220:221] op_sel:[1,1] op_sel_hi:[0,1]
	s_delay_alu instid0(VALU_DEP_1) | instskip(SKIP_1) | instid1(VALU_DEP_1)
	v_pk_fma_f32 v[170:171], v[164:165], v[220:221], v[154:155] op_sel_hi:[1,0,1] neg_lo:[0,0,1] neg_hi:[0,0,1]
	v_pk_fma_f32 v[154:155], v[164:165], v[220:221], v[154:155] op_sel_hi:[1,0,1]
	v_dual_mov_b32 v220, v170 :: v_dual_mov_b32 v221, v155
	s_wait_dscnt 0x0
	s_delay_alu instid0(VALU_DEP_2) | instskip(NEXT) | instid1(VALU_DEP_1)
	v_pk_mul_f32 v[184:185], v[166:167], v[154:155] op_sel:[0,1]
	v_pk_fma_f32 v[186:187], v[166:167], v[170:171], v[184:185] op_sel:[0,0,1] op_sel_hi:[1,1,0] neg_lo:[0,0,1] neg_hi:[0,0,1]
	v_pk_fma_f32 v[166:167], v[166:167], v[170:171], v[184:185] op_sel:[0,0,1] op_sel_hi:[1,0,0]
	s_delay_alu instid0(VALU_DEP_1) | instskip(SKIP_1) | instid1(VALU_DEP_1)
	v_mov_b32_e32 v187, v167
	v_pk_mul_f32 v[166:167], v[168:169], v[154:155] op_sel:[0,1]
	v_pk_fma_f32 v[184:185], v[168:169], v[170:171], v[166:167] op_sel:[0,0,1] op_sel_hi:[1,1,0] neg_lo:[0,0,1] neg_hi:[0,0,1]
	v_pk_fma_f32 v[166:167], v[168:169], v[170:171], v[166:167] op_sel:[0,0,1] op_sel_hi:[1,0,0]
	s_delay_alu instid0(VALU_DEP_1)
	v_mov_b32_e32 v185, v167
	ds_load_2addr_b64 v[166:169], v182 offset0:55 offset1:56
	v_pk_add_f32 v[212:213], v[212:213], v[186:187] neg_lo:[0,1] neg_hi:[0,1]
	v_pk_add_f32 v[218:219], v[218:219], v[184:185] neg_lo:[0,1] neg_hi:[0,1]
	s_wait_dscnt 0x0
	v_pk_mul_f32 v[184:185], v[166:167], v[154:155] op_sel:[0,1]
	s_delay_alu instid0(VALU_DEP_1) | instskip(SKIP_1) | instid1(VALU_DEP_1)
	v_pk_fma_f32 v[186:187], v[166:167], v[170:171], v[184:185] op_sel:[0,0,1] op_sel_hi:[1,1,0] neg_lo:[0,0,1] neg_hi:[0,0,1]
	v_pk_fma_f32 v[166:167], v[166:167], v[170:171], v[184:185] op_sel:[0,0,1] op_sel_hi:[1,0,0]
	v_dual_mov_b32 v166, v169 :: v_dual_mov_b32 v187, v167
	v_mov_b32_e32 v167, v168
	s_delay_alu instid0(VALU_DEP_2) | instskip(NEXT) | instid1(VALU_DEP_2)
	v_pk_add_f32 v[226:227], v[226:227], v[186:187] neg_lo:[0,1] neg_hi:[0,1]
	v_pk_mul_f32 v[154:155], v[166:167], v[154:155] op_sel:[0,1]
	s_delay_alu instid0(VALU_DEP_1) | instskip(SKIP_1) | instid1(VALU_DEP_1)
	v_pk_fma_f32 v[166:167], v[168:169], v[170:171], v[154:155] neg_lo:[0,0,1] neg_hi:[0,0,1]
	v_pk_fma_f32 v[154:155], v[168:169], v[170:171], v[154:155] op_sel_hi:[1,0,1]
	v_mov_b32_e32 v167, v155
	s_delay_alu instid0(VALU_DEP_1)
	v_pk_add_f32 v[228:229], v[228:229], v[166:167] neg_lo:[0,1] neg_hi:[0,1]
.LBB113_478:
	s_or_b32 exec_lo, exec_lo, s1
	s_delay_alu instid0(SALU_CYCLE_1)
	s_mov_b32 s2, exec_lo
	s_wait_dscnt 0x0
	s_barrier_signal -1
	s_barrier_wait -1
	v_cmpx_eq_u32_e32 53, v180
	s_cbranch_execz .LBB113_485
; %bb.479:
	v_dual_mov_b32 v154, v218 :: v_dual_mov_b32 v155, v219
	v_dual_mov_b32 v166, v226 :: v_dual_mov_b32 v167, v227
	ds_store_b64 v181, v[212:213]
	ds_store_2addr_b64 v182, v[154:155], v[166:167] offset0:54 offset1:55
	ds_store_b64 v182, v[228:229] offset:448
	ds_load_b64 v[154:155], v181
	s_wait_dscnt 0x0
	v_cmp_neq_f32_e32 vcc_lo, 0, v154
	v_cmp_neq_f32_e64 s1, 0, v155
	s_or_b32 s1, vcc_lo, s1
	s_delay_alu instid0(SALU_CYCLE_1)
	s_and_b32 exec_lo, exec_lo, s1
	s_cbranch_execz .LBB113_485
; %bb.480:
	v_cmp_ngt_f32_e64 s1, |v154|, |v155|
                                        ; implicit-def: $vgpr166_vgpr167
	s_and_saveexec_b32 s4, s1
	s_delay_alu instid0(SALU_CYCLE_1)
	s_xor_b32 s1, exec_lo, s4
	s_cbranch_execz .LBB113_482
; %bb.481:
	v_div_scale_f32 v166, null, v155, v155, v154
	v_div_scale_f32 v169, vcc_lo, v154, v155, v154
	s_delay_alu instid0(VALU_DEP_2) | instskip(SKIP_1) | instid1(TRANS32_DEP_1)
	v_rcp_f32_e32 v167, v166
	v_nop
	v_fma_f32 v168, -v166, v167, 1.0
	s_delay_alu instid0(VALU_DEP_1) | instskip(NEXT) | instid1(VALU_DEP_1)
	v_fmac_f32_e32 v167, v168, v167
	v_mul_f32_e32 v168, v169, v167
	s_delay_alu instid0(VALU_DEP_1) | instskip(NEXT) | instid1(VALU_DEP_1)
	v_fma_f32 v170, -v166, v168, v169
	v_fmac_f32_e32 v168, v170, v167
	s_delay_alu instid0(VALU_DEP_1) | instskip(NEXT) | instid1(VALU_DEP_1)
	v_fma_f32 v166, -v166, v168, v169
	v_div_fmas_f32 v166, v166, v167, v168
	s_delay_alu instid0(VALU_DEP_1) | instskip(NEXT) | instid1(VALU_DEP_1)
	v_div_fixup_f32 v166, v166, v155, v154
	v_fmac_f32_e32 v155, v154, v166
	s_delay_alu instid0(VALU_DEP_1) | instskip(SKIP_1) | instid1(VALU_DEP_2)
	v_div_scale_f32 v154, null, v155, v155, 1.0
	v_div_scale_f32 v169, vcc_lo, 1.0, v155, 1.0
	v_rcp_f32_e32 v167, v154
	v_nop
	s_delay_alu instid0(TRANS32_DEP_1) | instskip(NEXT) | instid1(VALU_DEP_1)
	v_fma_f32 v168, -v154, v167, 1.0
	v_fmac_f32_e32 v167, v168, v167
	s_delay_alu instid0(VALU_DEP_1) | instskip(NEXT) | instid1(VALU_DEP_1)
	v_mul_f32_e32 v168, v169, v167
	v_fma_f32 v170, -v154, v168, v169
	s_delay_alu instid0(VALU_DEP_1) | instskip(NEXT) | instid1(VALU_DEP_1)
	v_fmac_f32_e32 v168, v170, v167
	v_fma_f32 v154, -v154, v168, v169
	s_delay_alu instid0(VALU_DEP_1) | instskip(NEXT) | instid1(VALU_DEP_1)
	v_div_fmas_f32 v154, v154, v167, v168
	v_div_fixup_f32 v154, v154, v155, 1.0
	s_delay_alu instid0(VALU_DEP_1)
	v_mul_f32_e32 v166, v166, v154
	v_xor_b32_e32 v167, 0x80000000, v154
                                        ; implicit-def: $vgpr154_vgpr155
.LBB113_482:
	s_and_not1_saveexec_b32 s1, s1
	s_cbranch_execz .LBB113_484
; %bb.483:
	v_div_scale_f32 v166, null, v154, v154, v155
	v_div_scale_f32 v169, vcc_lo, v155, v154, v155
	s_delay_alu instid0(VALU_DEP_2) | instskip(SKIP_1) | instid1(TRANS32_DEP_1)
	v_rcp_f32_e32 v167, v166
	v_nop
	v_fma_f32 v168, -v166, v167, 1.0
	s_delay_alu instid0(VALU_DEP_1) | instskip(NEXT) | instid1(VALU_DEP_1)
	v_fmac_f32_e32 v167, v168, v167
	v_mul_f32_e32 v168, v169, v167
	s_delay_alu instid0(VALU_DEP_1) | instskip(NEXT) | instid1(VALU_DEP_1)
	v_fma_f32 v170, -v166, v168, v169
	v_fmac_f32_e32 v168, v170, v167
	s_delay_alu instid0(VALU_DEP_1) | instskip(NEXT) | instid1(VALU_DEP_1)
	v_fma_f32 v166, -v166, v168, v169
	v_div_fmas_f32 v166, v166, v167, v168
	s_delay_alu instid0(VALU_DEP_1) | instskip(NEXT) | instid1(VALU_DEP_1)
	v_div_fixup_f32 v167, v166, v154, v155
	v_fmac_f32_e32 v154, v155, v167
	s_delay_alu instid0(VALU_DEP_1) | instskip(NEXT) | instid1(VALU_DEP_1)
	v_div_scale_f32 v155, null, v154, v154, 1.0
	v_rcp_f32_e32 v166, v155
	v_nop
	s_delay_alu instid0(TRANS32_DEP_1) | instskip(NEXT) | instid1(VALU_DEP_1)
	v_fma_f32 v168, -v155, v166, 1.0
	v_fmac_f32_e32 v166, v168, v166
	v_div_scale_f32 v168, vcc_lo, 1.0, v154, 1.0
	s_delay_alu instid0(VALU_DEP_1) | instskip(NEXT) | instid1(VALU_DEP_1)
	v_mul_f32_e32 v169, v168, v166
	v_fma_f32 v170, -v155, v169, v168
	s_delay_alu instid0(VALU_DEP_1) | instskip(NEXT) | instid1(VALU_DEP_1)
	v_fmac_f32_e32 v169, v170, v166
	v_fma_f32 v155, -v155, v169, v168
	s_delay_alu instid0(VALU_DEP_1) | instskip(NEXT) | instid1(VALU_DEP_1)
	v_div_fmas_f32 v155, v155, v166, v169
	v_div_fixup_f32 v166, v155, v154, 1.0
	s_delay_alu instid0(VALU_DEP_1)
	v_mul_f32_e64 v167, v167, -v166
.LBB113_484:
	s_or_b32 exec_lo, exec_lo, s1
	ds_store_b64 v181, v[166:167]
.LBB113_485:
	s_or_b32 exec_lo, exec_lo, s2
	s_wait_dscnt 0x0
	s_barrier_signal -1
	s_barrier_wait -1
	ds_load_b64 v[166:167], v181
	s_mov_b32 s1, exec_lo
	v_cmpx_lt_u32_e32 53, v180
	s_cbranch_execz .LBB113_487
; %bb.486:
	ds_load_2addr_b64 v[168:171], v182 offset0:54 offset1:55
	s_wait_dscnt 0x1
	v_pk_mul_f32 v[154:155], v[166:167], v[212:213] op_sel:[1,1] op_sel_hi:[0,1]
	s_delay_alu instid0(VALU_DEP_1) | instskip(SKIP_1) | instid1(VALU_DEP_1)
	v_pk_fma_f32 v[184:185], v[166:167], v[212:213], v[154:155] op_sel_hi:[1,0,1] neg_lo:[0,0,1] neg_hi:[0,0,1]
	v_pk_fma_f32 v[154:155], v[166:167], v[212:213], v[154:155] op_sel_hi:[1,0,1]
	v_dual_mov_b32 v212, v184 :: v_dual_mov_b32 v213, v155
	s_wait_dscnt 0x0
	s_delay_alu instid0(VALU_DEP_2) | instskip(NEXT) | instid1(VALU_DEP_1)
	v_pk_mul_f32 v[186:187], v[168:169], v[154:155] op_sel:[0,1]
	v_pk_fma_f32 v[188:189], v[168:169], v[184:185], v[186:187] op_sel:[0,0,1] op_sel_hi:[1,1,0] neg_lo:[0,0,1] neg_hi:[0,0,1]
	v_pk_fma_f32 v[168:169], v[168:169], v[184:185], v[186:187] op_sel:[0,0,1] op_sel_hi:[1,0,0]
	s_delay_alu instid0(VALU_DEP_1) | instskip(SKIP_1) | instid1(VALU_DEP_1)
	v_mov_b32_e32 v189, v169
	v_pk_mul_f32 v[168:169], v[170:171], v[154:155] op_sel:[0,1]
	v_pk_fma_f32 v[186:187], v[170:171], v[184:185], v[168:169] op_sel:[0,0,1] op_sel_hi:[1,1,0] neg_lo:[0,0,1] neg_hi:[0,0,1]
	v_pk_fma_f32 v[168:169], v[170:171], v[184:185], v[168:169] op_sel:[0,0,1] op_sel_hi:[1,0,0]
	s_delay_alu instid0(VALU_DEP_1)
	v_mov_b32_e32 v187, v169
	ds_load_b64 v[168:169], v182 offset:448
	v_pk_add_f32 v[218:219], v[218:219], v[188:189] neg_lo:[0,1] neg_hi:[0,1]
	v_pk_add_f32 v[226:227], v[226:227], v[186:187] neg_lo:[0,1] neg_hi:[0,1]
	s_wait_dscnt 0x0
	v_pk_mul_f32 v[154:155], v[168:169], v[154:155] op_sel:[1,1] op_sel_hi:[0,1]
	s_delay_alu instid0(VALU_DEP_1) | instskip(SKIP_1) | instid1(VALU_DEP_1)
	v_pk_fma_f32 v[170:171], v[168:169], v[184:185], v[154:155] neg_lo:[0,0,1] neg_hi:[0,0,1]
	v_pk_fma_f32 v[154:155], v[168:169], v[184:185], v[154:155] op_sel_hi:[1,0,1]
	v_mov_b32_e32 v171, v155
	s_delay_alu instid0(VALU_DEP_1)
	v_pk_add_f32 v[228:229], v[228:229], v[170:171] neg_lo:[0,1] neg_hi:[0,1]
.LBB113_487:
	s_or_b32 exec_lo, exec_lo, s1
	s_delay_alu instid0(SALU_CYCLE_1)
	s_mov_b32 s2, exec_lo
	s_wait_dscnt 0x0
	s_barrier_signal -1
	s_barrier_wait -1
	v_cmpx_eq_u32_e32 54, v180
	s_cbranch_execz .LBB113_494
; %bb.488:
	ds_store_b64 v181, v[218:219]
	ds_store_2addr_b64 v182, v[226:227], v[228:229] offset0:55 offset1:56
	ds_load_b64 v[154:155], v181
	s_wait_dscnt 0x0
	v_cmp_neq_f32_e32 vcc_lo, 0, v154
	v_cmp_neq_f32_e64 s1, 0, v155
	s_or_b32 s1, vcc_lo, s1
	s_delay_alu instid0(SALU_CYCLE_1)
	s_and_b32 exec_lo, exec_lo, s1
	s_cbranch_execz .LBB113_494
; %bb.489:
	v_cmp_ngt_f32_e64 s1, |v154|, |v155|
                                        ; implicit-def: $vgpr168_vgpr169
	s_and_saveexec_b32 s4, s1
	s_delay_alu instid0(SALU_CYCLE_1)
	s_xor_b32 s1, exec_lo, s4
	s_cbranch_execz .LBB113_491
; %bb.490:
	v_div_scale_f32 v168, null, v155, v155, v154
	v_div_scale_f32 v171, vcc_lo, v154, v155, v154
	s_delay_alu instid0(VALU_DEP_2) | instskip(SKIP_1) | instid1(TRANS32_DEP_1)
	v_rcp_f32_e32 v169, v168
	v_nop
	v_fma_f32 v170, -v168, v169, 1.0
	s_delay_alu instid0(VALU_DEP_1) | instskip(NEXT) | instid1(VALU_DEP_1)
	v_fmac_f32_e32 v169, v170, v169
	v_mul_f32_e32 v170, v171, v169
	s_delay_alu instid0(VALU_DEP_1) | instskip(NEXT) | instid1(VALU_DEP_1)
	v_fma_f32 v183, -v168, v170, v171
	v_fmac_f32_e32 v170, v183, v169
	s_delay_alu instid0(VALU_DEP_1) | instskip(NEXT) | instid1(VALU_DEP_1)
	v_fma_f32 v168, -v168, v170, v171
	v_div_fmas_f32 v168, v168, v169, v170
	s_delay_alu instid0(VALU_DEP_1) | instskip(NEXT) | instid1(VALU_DEP_1)
	v_div_fixup_f32 v168, v168, v155, v154
	v_fmac_f32_e32 v155, v154, v168
	s_delay_alu instid0(VALU_DEP_1) | instskip(SKIP_1) | instid1(VALU_DEP_2)
	v_div_scale_f32 v154, null, v155, v155, 1.0
	v_div_scale_f32 v171, vcc_lo, 1.0, v155, 1.0
	v_rcp_f32_e32 v169, v154
	v_nop
	s_delay_alu instid0(TRANS32_DEP_1) | instskip(NEXT) | instid1(VALU_DEP_1)
	v_fma_f32 v170, -v154, v169, 1.0
	v_fmac_f32_e32 v169, v170, v169
	s_delay_alu instid0(VALU_DEP_1) | instskip(NEXT) | instid1(VALU_DEP_1)
	v_mul_f32_e32 v170, v171, v169
	v_fma_f32 v183, -v154, v170, v171
	s_delay_alu instid0(VALU_DEP_1) | instskip(NEXT) | instid1(VALU_DEP_1)
	v_fmac_f32_e32 v170, v183, v169
	v_fma_f32 v154, -v154, v170, v171
	s_delay_alu instid0(VALU_DEP_1) | instskip(NEXT) | instid1(VALU_DEP_1)
	v_div_fmas_f32 v154, v154, v169, v170
	v_div_fixup_f32 v154, v154, v155, 1.0
	s_delay_alu instid0(VALU_DEP_1)
	v_mul_f32_e32 v168, v168, v154
	v_xor_b32_e32 v169, 0x80000000, v154
                                        ; implicit-def: $vgpr154_vgpr155
.LBB113_491:
	s_and_not1_saveexec_b32 s1, s1
	s_cbranch_execz .LBB113_493
; %bb.492:
	v_div_scale_f32 v168, null, v154, v154, v155
	v_div_scale_f32 v171, vcc_lo, v155, v154, v155
	s_delay_alu instid0(VALU_DEP_2) | instskip(SKIP_1) | instid1(TRANS32_DEP_1)
	v_rcp_f32_e32 v169, v168
	v_nop
	v_fma_f32 v170, -v168, v169, 1.0
	s_delay_alu instid0(VALU_DEP_1) | instskip(NEXT) | instid1(VALU_DEP_1)
	v_fmac_f32_e32 v169, v170, v169
	v_mul_f32_e32 v170, v171, v169
	s_delay_alu instid0(VALU_DEP_1) | instskip(NEXT) | instid1(VALU_DEP_1)
	v_fma_f32 v183, -v168, v170, v171
	v_fmac_f32_e32 v170, v183, v169
	s_delay_alu instid0(VALU_DEP_1) | instskip(NEXT) | instid1(VALU_DEP_1)
	v_fma_f32 v168, -v168, v170, v171
	v_div_fmas_f32 v168, v168, v169, v170
	s_delay_alu instid0(VALU_DEP_1) | instskip(NEXT) | instid1(VALU_DEP_1)
	v_div_fixup_f32 v169, v168, v154, v155
	v_fmac_f32_e32 v154, v155, v169
	s_delay_alu instid0(VALU_DEP_1) | instskip(NEXT) | instid1(VALU_DEP_1)
	v_div_scale_f32 v155, null, v154, v154, 1.0
	v_rcp_f32_e32 v168, v155
	v_nop
	s_delay_alu instid0(TRANS32_DEP_1) | instskip(NEXT) | instid1(VALU_DEP_1)
	v_fma_f32 v170, -v155, v168, 1.0
	v_fmac_f32_e32 v168, v170, v168
	v_div_scale_f32 v170, vcc_lo, 1.0, v154, 1.0
	s_delay_alu instid0(VALU_DEP_1) | instskip(NEXT) | instid1(VALU_DEP_1)
	v_mul_f32_e32 v171, v170, v168
	v_fma_f32 v183, -v155, v171, v170
	s_delay_alu instid0(VALU_DEP_1) | instskip(NEXT) | instid1(VALU_DEP_1)
	v_fmac_f32_e32 v171, v183, v168
	v_fma_f32 v155, -v155, v171, v170
	s_delay_alu instid0(VALU_DEP_1) | instskip(NEXT) | instid1(VALU_DEP_1)
	v_div_fmas_f32 v155, v155, v168, v171
	v_div_fixup_f32 v168, v155, v154, 1.0
	s_delay_alu instid0(VALU_DEP_1)
	v_mul_f32_e64 v169, v169, -v168
.LBB113_493:
	s_or_b32 exec_lo, exec_lo, s1
	ds_store_b64 v181, v[168:169]
.LBB113_494:
	s_or_b32 exec_lo, exec_lo, s2
	s_wait_dscnt 0x0
	s_barrier_signal -1
	s_barrier_wait -1
	ds_load_b64 v[168:169], v181
	s_mov_b32 s1, exec_lo
	v_cmpx_lt_u32_e32 54, v180
	s_cbranch_execz .LBB113_496
; %bb.495:
	ds_load_2addr_b64 v[184:187], v182 offset0:55 offset1:56
	s_wait_dscnt 0x1
	v_pk_mul_f32 v[154:155], v[168:169], v[218:219] op_sel:[1,1] op_sel_hi:[0,1]
	v_mov_b64_e32 v[0:1], v[254:255]
	v_mov_b64_e32 v[254:255], v[252:253]
	;; [unrolled: 1-line block ×4, first 2 shown]
	v_pk_fma_f32 v[170:171], v[168:169], v[218:219], v[154:155] op_sel_hi:[1,0,1] neg_lo:[0,0,1] neg_hi:[0,0,1]
	v_pk_fma_f32 v[154:155], v[168:169], v[218:219], v[154:155] op_sel_hi:[1,0,1]
	v_mov_b64_e32 v[248:249], v[246:247]
	v_mov_b64_e32 v[246:247], v[244:245]
	v_mov_b64_e32 v[244:245], v[242:243]
	v_mov_b64_e32 v[242:243], v[240:241]
	v_mov_b64_e32 v[240:241], v[238:239]
	v_mov_b64_e32 v[238:239], v[16:17]
	v_mov_b64_e32 v[16:17], v[236:237]
	v_mov_b64_e32 v[236:237], v[234:235]
	v_mov_b64_e32 v[234:235], v[232:233]
	v_mov_b64_e32 v[232:233], v[230:231]
	v_mov_b64_e32 v[230:231], v[210:211]
	v_mov_b64_e32 v[210:211], v[208:209]
	s_wait_dscnt 0x0
	v_pk_mul_f32 v[188:189], v[184:185], v[154:155] op_sel:[0,1]
	v_mov_b64_e32 v[208:209], v[206:207]
	v_mov_b64_e32 v[206:207], v[204:205]
	v_mov_b64_e32 v[204:205], v[202:203]
	v_mov_b64_e32 v[202:203], v[192:193]
	v_mov_b64_e32 v[192:193], v[190:191]
	v_pk_fma_f32 v[190:191], v[184:185], v[170:171], v[188:189] op_sel:[0,0,1] op_sel_hi:[1,1,0] neg_lo:[0,0,1] neg_hi:[0,0,1]
	v_pk_fma_f32 v[184:185], v[184:185], v[170:171], v[188:189] op_sel:[0,0,1] op_sel_hi:[1,0,0]
	v_dual_mov_b32 v218, v170 :: v_dual_mov_b32 v219, v155
	s_delay_alu instid0(VALU_DEP_2) | instskip(SKIP_1) | instid1(VALU_DEP_2)
	v_dual_mov_b32 v184, v187 :: v_dual_mov_b32 v191, v185
	v_mov_b32_e32 v185, v186
	v_pk_add_f32 v[226:227], v[226:227], v[190:191] neg_lo:[0,1] neg_hi:[0,1]
	s_delay_alu instid0(VALU_DEP_2)
	v_pk_mul_f32 v[154:155], v[184:185], v[154:155] op_sel:[0,1]
	v_mov_b64_e32 v[190:191], v[192:193]
	v_mov_b64_e32 v[192:193], v[202:203]
	;; [unrolled: 1-line block ×4, first 2 shown]
	v_pk_fma_f32 v[184:185], v[186:187], v[170:171], v[154:155] neg_lo:[0,0,1] neg_hi:[0,0,1]
	v_pk_fma_f32 v[154:155], v[186:187], v[170:171], v[154:155] op_sel_hi:[1,0,1]
	v_mov_b64_e32 v[206:207], v[208:209]
	v_mov_b64_e32 v[208:209], v[210:211]
	;; [unrolled: 1-line block ×4, first 2 shown]
	v_mov_b32_e32 v185, v155
	v_mov_b64_e32 v[232:233], v[234:235]
	v_mov_b64_e32 v[234:235], v[236:237]
	;; [unrolled: 1-line block ×13, first 2 shown]
	v_pk_add_f32 v[228:229], v[228:229], v[184:185] neg_lo:[0,1] neg_hi:[0,1]
.LBB113_496:
	s_or_b32 exec_lo, exec_lo, s1
	s_delay_alu instid0(SALU_CYCLE_1)
	s_mov_b32 s2, exec_lo
	s_wait_dscnt 0x0
	s_barrier_signal -1
	s_barrier_wait -1
	v_cmpx_eq_u32_e32 55, v180
	s_cbranch_execz .LBB113_503
; %bb.497:
	ds_store_b64 v181, v[226:227]
	ds_store_b64 v182, v[228:229] offset:448
	ds_load_b64 v[154:155], v181
	s_wait_dscnt 0x0
	v_cmp_neq_f32_e32 vcc_lo, 0, v154
	v_cmp_neq_f32_e64 s1, 0, v155
	s_or_b32 s1, vcc_lo, s1
	s_delay_alu instid0(SALU_CYCLE_1)
	s_and_b32 exec_lo, exec_lo, s1
	s_cbranch_execz .LBB113_503
; %bb.498:
	v_cmp_ngt_f32_e64 s1, |v154|, |v155|
                                        ; implicit-def: $vgpr170_vgpr171
	s_and_saveexec_b32 s4, s1
	s_delay_alu instid0(SALU_CYCLE_1)
	s_xor_b32 s1, exec_lo, s4
	s_cbranch_execz .LBB113_500
; %bb.499:
	v_div_scale_f32 v170, null, v155, v155, v154
	v_div_scale_f32 v184, vcc_lo, v154, v155, v154
	s_delay_alu instid0(VALU_DEP_2) | instskip(SKIP_1) | instid1(TRANS32_DEP_1)
	v_rcp_f32_e32 v171, v170
	v_nop
	v_fma_f32 v183, -v170, v171, 1.0
	s_delay_alu instid0(VALU_DEP_1) | instskip(NEXT) | instid1(VALU_DEP_1)
	v_fmac_f32_e32 v171, v183, v171
	v_mul_f32_e32 v183, v184, v171
	s_delay_alu instid0(VALU_DEP_1) | instskip(NEXT) | instid1(VALU_DEP_1)
	v_fma_f32 v185, -v170, v183, v184
	v_fmac_f32_e32 v183, v185, v171
	s_delay_alu instid0(VALU_DEP_1) | instskip(NEXT) | instid1(VALU_DEP_1)
	v_fma_f32 v170, -v170, v183, v184
	v_div_fmas_f32 v170, v170, v171, v183
	s_delay_alu instid0(VALU_DEP_1) | instskip(NEXT) | instid1(VALU_DEP_1)
	v_div_fixup_f32 v170, v170, v155, v154
	v_fmac_f32_e32 v155, v154, v170
	s_delay_alu instid0(VALU_DEP_1) | instskip(SKIP_1) | instid1(VALU_DEP_2)
	v_div_scale_f32 v154, null, v155, v155, 1.0
	v_div_scale_f32 v184, vcc_lo, 1.0, v155, 1.0
	v_rcp_f32_e32 v171, v154
	v_nop
	s_delay_alu instid0(TRANS32_DEP_1) | instskip(NEXT) | instid1(VALU_DEP_1)
	v_fma_f32 v183, -v154, v171, 1.0
	v_fmac_f32_e32 v171, v183, v171
	s_delay_alu instid0(VALU_DEP_1) | instskip(NEXT) | instid1(VALU_DEP_1)
	v_mul_f32_e32 v183, v184, v171
	v_fma_f32 v185, -v154, v183, v184
	s_delay_alu instid0(VALU_DEP_1) | instskip(NEXT) | instid1(VALU_DEP_1)
	v_fmac_f32_e32 v183, v185, v171
	v_fma_f32 v154, -v154, v183, v184
	s_delay_alu instid0(VALU_DEP_1) | instskip(NEXT) | instid1(VALU_DEP_1)
	v_div_fmas_f32 v154, v154, v171, v183
	v_div_fixup_f32 v154, v154, v155, 1.0
	s_delay_alu instid0(VALU_DEP_1)
	v_mul_f32_e32 v170, v170, v154
	v_xor_b32_e32 v171, 0x80000000, v154
                                        ; implicit-def: $vgpr154_vgpr155
.LBB113_500:
	s_and_not1_saveexec_b32 s1, s1
	s_cbranch_execz .LBB113_502
; %bb.501:
	v_div_scale_f32 v170, null, v154, v154, v155
	v_div_scale_f32 v184, vcc_lo, v155, v154, v155
	s_delay_alu instid0(VALU_DEP_2) | instskip(SKIP_1) | instid1(TRANS32_DEP_1)
	v_rcp_f32_e32 v171, v170
	v_nop
	v_fma_f32 v183, -v170, v171, 1.0
	s_delay_alu instid0(VALU_DEP_1) | instskip(NEXT) | instid1(VALU_DEP_1)
	v_fmac_f32_e32 v171, v183, v171
	v_mul_f32_e32 v183, v184, v171
	s_delay_alu instid0(VALU_DEP_1) | instskip(NEXT) | instid1(VALU_DEP_1)
	v_fma_f32 v185, -v170, v183, v184
	v_fmac_f32_e32 v183, v185, v171
	s_delay_alu instid0(VALU_DEP_1) | instskip(NEXT) | instid1(VALU_DEP_1)
	v_fma_f32 v170, -v170, v183, v184
	v_div_fmas_f32 v170, v170, v171, v183
	s_delay_alu instid0(VALU_DEP_1) | instskip(NEXT) | instid1(VALU_DEP_1)
	v_div_fixup_f32 v171, v170, v154, v155
	v_fmac_f32_e32 v154, v155, v171
	s_delay_alu instid0(VALU_DEP_1) | instskip(NEXT) | instid1(VALU_DEP_1)
	v_div_scale_f32 v155, null, v154, v154, 1.0
	v_rcp_f32_e32 v170, v155
	v_nop
	s_delay_alu instid0(TRANS32_DEP_1) | instskip(NEXT) | instid1(VALU_DEP_1)
	v_fma_f32 v183, -v155, v170, 1.0
	v_fmac_f32_e32 v170, v183, v170
	v_div_scale_f32 v183, vcc_lo, 1.0, v154, 1.0
	s_delay_alu instid0(VALU_DEP_1) | instskip(NEXT) | instid1(VALU_DEP_1)
	v_mul_f32_e32 v184, v183, v170
	v_fma_f32 v185, -v155, v184, v183
	s_delay_alu instid0(VALU_DEP_1) | instskip(NEXT) | instid1(VALU_DEP_1)
	v_fmac_f32_e32 v184, v185, v170
	v_fma_f32 v155, -v155, v184, v183
	s_delay_alu instid0(VALU_DEP_1) | instskip(NEXT) | instid1(VALU_DEP_1)
	v_div_fmas_f32 v155, v155, v170, v184
	v_div_fixup_f32 v170, v155, v154, 1.0
	s_delay_alu instid0(VALU_DEP_1)
	v_mul_f32_e64 v171, v171, -v170
.LBB113_502:
	s_or_b32 exec_lo, exec_lo, s1
	ds_store_b64 v181, v[170:171]
.LBB113_503:
	s_or_b32 exec_lo, exec_lo, s2
	s_wait_dscnt 0x0
	s_barrier_signal -1
	s_barrier_wait -1
	ds_load_b64 v[170:171], v181
	s_mov_b32 s1, exec_lo
	v_cmpx_lt_u32_e32 55, v180
	s_cbranch_execz .LBB113_505
; %bb.504:
	ds_load_b64 v[154:155], v182 offset:448
	s_wait_dscnt 0x1
	v_pk_mul_f32 v[182:183], v[170:171], v[226:227] op_sel:[1,1] op_sel_hi:[0,1]
	s_delay_alu instid0(VALU_DEP_1) | instskip(SKIP_2) | instid1(VALU_DEP_2)
	v_pk_fma_f32 v[184:185], v[170:171], v[226:227], v[182:183] op_sel_hi:[1,0,1]
	v_pk_fma_f32 v[226:227], v[170:171], v[226:227], v[182:183] op_sel_hi:[1,0,1] neg_lo:[0,0,1] neg_hi:[0,0,1]
	s_wait_dscnt 0x0
	v_pk_mul_f32 v[182:183], v[154:155], v[184:185] op_sel:[1,1] op_sel_hi:[0,1]
	s_delay_alu instid0(VALU_DEP_1) | instskip(SKIP_1) | instid1(VALU_DEP_2)
	v_pk_fma_f32 v[186:187], v[154:155], v[226:227], v[182:183] op_sel_hi:[1,0,1]
	v_pk_fma_f32 v[154:155], v[154:155], v[226:227], v[182:183] neg_lo:[0,0,1] neg_hi:[0,0,1]
	v_dual_mov_b32 v227, v185 :: v_dual_mov_b32 v155, v187
	s_delay_alu instid0(VALU_DEP_1)
	v_pk_add_f32 v[228:229], v[228:229], v[154:155] neg_lo:[0,1] neg_hi:[0,1]
.LBB113_505:
	s_or_b32 exec_lo, exec_lo, s1
	s_delay_alu instid0(SALU_CYCLE_1)
	s_mov_b32 s2, exec_lo
	s_wait_dscnt 0x0
	s_barrier_signal -1
	s_barrier_wait -1
	v_cmpx_eq_u32_e32 56, v180
	s_cbranch_execz .LBB113_512
; %bb.506:
	v_cmp_neq_f32_e32 vcc_lo, 0, v228
	v_cmp_neq_f32_e64 s1, 0, v229
	ds_store_b64 v181, v[228:229]
	s_or_b32 s1, vcc_lo, s1
	s_delay_alu instid0(SALU_CYCLE_1)
	s_and_b32 exec_lo, exec_lo, s1
	s_cbranch_execz .LBB113_512
; %bb.507:
	v_cmp_ngt_f32_e64 s1, |v228|, |v229|
                                        ; implicit-def: $vgpr154_vgpr155
	s_and_saveexec_b32 s4, s1
	s_delay_alu instid0(SALU_CYCLE_1)
	s_xor_b32 s1, exec_lo, s4
	s_cbranch_execz .LBB113_509
; %bb.508:
	v_div_scale_f32 v154, null, v229, v229, v228
	v_div_scale_f32 v183, vcc_lo, v228, v229, v228
	s_delay_alu instid0(VALU_DEP_2) | instskip(SKIP_1) | instid1(TRANS32_DEP_1)
	v_rcp_f32_e32 v155, v154
	v_nop
	v_fma_f32 v182, -v154, v155, 1.0
	s_delay_alu instid0(VALU_DEP_1) | instskip(NEXT) | instid1(VALU_DEP_1)
	v_fmac_f32_e32 v155, v182, v155
	v_mul_f32_e32 v182, v183, v155
	s_delay_alu instid0(VALU_DEP_1) | instskip(NEXT) | instid1(VALU_DEP_1)
	v_fma_f32 v184, -v154, v182, v183
	v_fmac_f32_e32 v182, v184, v155
	s_delay_alu instid0(VALU_DEP_1) | instskip(NEXT) | instid1(VALU_DEP_1)
	v_fma_f32 v154, -v154, v182, v183
	v_div_fmas_f32 v154, v154, v155, v182
	s_delay_alu instid0(VALU_DEP_1) | instskip(NEXT) | instid1(VALU_DEP_1)
	v_div_fixup_f32 v154, v154, v229, v228
	v_fma_f32 v155, v228, v154, v229
	s_delay_alu instid0(VALU_DEP_1) | instskip(SKIP_1) | instid1(VALU_DEP_2)
	v_div_scale_f32 v182, null, v155, v155, 1.0
	v_div_scale_f32 v185, vcc_lo, 1.0, v155, 1.0
	v_rcp_f32_e32 v183, v182
	v_nop
	s_delay_alu instid0(TRANS32_DEP_1) | instskip(NEXT) | instid1(VALU_DEP_1)
	v_fma_f32 v184, -v182, v183, 1.0
	v_fmac_f32_e32 v183, v184, v183
	s_delay_alu instid0(VALU_DEP_1) | instskip(NEXT) | instid1(VALU_DEP_1)
	v_mul_f32_e32 v184, v185, v183
	v_fma_f32 v186, -v182, v184, v185
	s_delay_alu instid0(VALU_DEP_1) | instskip(NEXT) | instid1(VALU_DEP_1)
	v_fmac_f32_e32 v184, v186, v183
	v_fma_f32 v182, -v182, v184, v185
	s_delay_alu instid0(VALU_DEP_1) | instskip(NEXT) | instid1(VALU_DEP_1)
	v_div_fmas_f32 v182, v182, v183, v184
	v_div_fixup_f32 v155, v182, v155, 1.0
	s_delay_alu instid0(VALU_DEP_1)
	v_mul_f32_e32 v154, v154, v155
	v_xor_b32_e32 v155, 0x80000000, v155
.LBB113_509:
	s_and_not1_saveexec_b32 s1, s1
	s_cbranch_execz .LBB113_511
; %bb.510:
	v_div_scale_f32 v154, null, v228, v228, v229
	v_div_scale_f32 v183, vcc_lo, v229, v228, v229
	s_delay_alu instid0(VALU_DEP_2) | instskip(SKIP_1) | instid1(TRANS32_DEP_1)
	v_rcp_f32_e32 v155, v154
	v_nop
	v_fma_f32 v182, -v154, v155, 1.0
	s_delay_alu instid0(VALU_DEP_1) | instskip(NEXT) | instid1(VALU_DEP_1)
	v_fmac_f32_e32 v155, v182, v155
	v_mul_f32_e32 v182, v183, v155
	s_delay_alu instid0(VALU_DEP_1) | instskip(NEXT) | instid1(VALU_DEP_1)
	v_fma_f32 v184, -v154, v182, v183
	v_fmac_f32_e32 v182, v184, v155
	s_delay_alu instid0(VALU_DEP_1) | instskip(NEXT) | instid1(VALU_DEP_1)
	v_fma_f32 v154, -v154, v182, v183
	v_div_fmas_f32 v154, v154, v155, v182
	s_delay_alu instid0(VALU_DEP_1) | instskip(NEXT) | instid1(VALU_DEP_1)
	v_div_fixup_f32 v155, v154, v228, v229
	v_fma_f32 v154, v229, v155, v228
	s_delay_alu instid0(VALU_DEP_1) | instskip(NEXT) | instid1(VALU_DEP_1)
	v_div_scale_f32 v182, null, v154, v154, 1.0
	v_rcp_f32_e32 v183, v182
	v_nop
	s_delay_alu instid0(TRANS32_DEP_1) | instskip(NEXT) | instid1(VALU_DEP_1)
	v_fma_f32 v184, -v182, v183, 1.0
	v_fmac_f32_e32 v183, v184, v183
	v_div_scale_f32 v184, vcc_lo, 1.0, v154, 1.0
	s_delay_alu instid0(VALU_DEP_1) | instskip(NEXT) | instid1(VALU_DEP_1)
	v_mul_f32_e32 v185, v184, v183
	v_fma_f32 v186, -v182, v185, v184
	s_delay_alu instid0(VALU_DEP_1) | instskip(NEXT) | instid1(VALU_DEP_1)
	v_fmac_f32_e32 v185, v186, v183
	v_fma_f32 v182, -v182, v185, v184
	s_delay_alu instid0(VALU_DEP_1) | instskip(NEXT) | instid1(VALU_DEP_1)
	v_div_fmas_f32 v182, v182, v183, v185
	v_div_fixup_f32 v154, v182, v154, 1.0
	s_delay_alu instid0(VALU_DEP_1)
	v_mul_f32_e64 v155, v155, -v154
.LBB113_511:
	s_or_b32 exec_lo, exec_lo, s1
	ds_store_b64 v181, v[154:155]
.LBB113_512:
	s_or_b32 exec_lo, exec_lo, s2
	s_wait_dscnt 0x0
	s_barrier_signal -1
	s_barrier_wait -1
	ds_load_b64 v[154:155], v181
	s_wait_dscnt 0x0
	s_barrier_signal -1
	s_barrier_wait -1
	s_and_saveexec_b32 s2, s0
	s_cbranch_execz .LBB113_515
; %bb.513:
	scratch_load_b64 v[0:1], off, off offset:288 th:TH_LOAD_LU ; 8-byte Folded Reload
	s_wait_loadcnt 0x0
	v_cmp_eq_f32_e32 vcc_lo, 0, v0
	v_cmp_eq_f32_e64 s0, 0, v1
	scratch_load_b64 v[0:1], off, off offset:296 th:TH_LOAD_LU ; 8-byte Folded Reload
	s_and_b32 s1, vcc_lo, s0
	s_delay_alu instid0(SALU_CYCLE_1)
	v_cndmask_b32_e64 v181, 0, 1, s1
	s_wait_loadcnt 0x0
	v_cmp_neq_f32_e32 vcc_lo, 0, v0
	v_cmp_neq_f32_e64 s0, 0, v1
	scratch_load_b64 v[0:1], off, off offset:304 th:TH_LOAD_LU ; 8-byte Folded Reload
	s_or_b32 s0, vcc_lo, s0
	s_delay_alu instid0(SALU_CYCLE_1)
	s_or_b32 vcc_lo, s0, s1
	v_cmp_eq_f32_e64 s1, 0, v155
	v_cndmask_b32_e32 v181, 2, v181, vcc_lo
	s_wait_loadcnt 0x0
	v_cmp_eq_f32_e32 vcc_lo, 0, v0
	v_cmp_eq_f32_e64 s0, 0, v1
	scratch_load_b64 v[0:1], off, off offset:312 th:TH_LOAD_LU ; 8-byte Folded Reload
	s_and_b32 s0, vcc_lo, s0
	v_cmp_eq_u32_e32 vcc_lo, 0, v181
	s_and_b32 s0, s0, vcc_lo
	s_delay_alu instid0(SALU_CYCLE_1)
	v_cndmask_b32_e64 v181, v181, 3, s0
	s_wait_loadcnt 0x0
	v_cmp_eq_f32_e32 vcc_lo, 0, v0
	v_cmp_eq_f32_e64 s0, 0, v1
	scratch_load_b64 v[0:1], off, off offset:320 th:TH_LOAD_LU ; 8-byte Folded Reload
	s_and_b32 s0, vcc_lo, s0
	v_cmp_eq_u32_e32 vcc_lo, 0, v181
	s_and_b32 s0, s0, vcc_lo
	s_delay_alu instid0(SALU_CYCLE_1)
	v_cndmask_b32_e64 v181, v181, 4, s0
	;; [unrolled: 9-line block ×11, first 2 shown]
	s_wait_loadcnt 0x0
	v_cmp_eq_f32_e32 vcc_lo, 0, v0
	v_cmp_eq_f32_e64 s0, 0, v1
	s_and_b32 s0, vcc_lo, s0
	v_cmp_eq_u32_e32 vcc_lo, 0, v181
	s_and_b32 s0, s0, vcc_lo
	v_cmp_eq_f32_e32 vcc_lo, 0, v2
	v_cndmask_b32_e64 v0, v181, 14, s0
	v_cmp_eq_f32_e64 s0, 0, v3
	s_and_b32 s0, vcc_lo, s0
	v_cmp_eq_u32_e32 vcc_lo, 0, v0
	s_and_b32 s0, s0, vcc_lo
	v_cmp_eq_f32_e32 vcc_lo, 0, v4
	v_cndmask_b32_e64 v0, v0, 15, s0
	;; [unrolled: 6-line block ×42, first 2 shown]
	v_cmp_eq_f32_e64 s0, 0, v171
	s_and_b32 s0, vcc_lo, s0
	v_cmp_eq_u32_e32 vcc_lo, 0, v0
	s_and_b32 s0, s0, vcc_lo
	s_delay_alu instid0(SALU_CYCLE_1) | instskip(SKIP_1) | instid1(VALU_DEP_2)
	v_cndmask_b32_e64 v0, v0, 56, s0
	v_cmp_eq_f32_e64 s0, 0, v154
	v_cmp_eq_u32_e32 vcc_lo, 0, v0
	s_and_b32 s0, s0, s1
	s_delay_alu instid0(SALU_CYCLE_1) | instskip(NEXT) | instid1(SALU_CYCLE_1)
	s_and_b32 s0, s0, vcc_lo
	v_cndmask_b32_e64 v2, v0, 57, s0
	v_lshl_add_u64 v[0:1], v[84:85], 2, s[6:7]
	s_delay_alu instid0(VALU_DEP_2) | instskip(SKIP_4) | instid1(SALU_CYCLE_1)
	v_cmp_ne_u32_e64 s0, 0, v2
	global_load_b32 v3, v[0:1], off
	s_wait_loadcnt 0x0
	v_cmp_eq_u32_e32 vcc_lo, 0, v3
	s_and_b32 s0, vcc_lo, s0
	s_and_b32 exec_lo, exec_lo, s0
	s_cbranch_execz .LBB113_515
; %bb.514:
	v_add_nc_u32_e32 v2, s3, v2
	global_store_b32 v[0:1], v2, off
.LBB113_515:
	s_wait_xcnt 0x0
	s_or_b32 exec_lo, exec_lo, s2
	v_pk_mul_f32 v[0:1], v[154:155], v[228:229] op_sel:[1,1] op_sel_hi:[0,1]
	v_cmp_lt_u32_e32 vcc_lo, 56, v180
	s_clause 0x14
	global_store_b64 v[16:17], v[54:55], off
	global_store_b64 v[238:239], v[56:57], off
	;; [unrolled: 1-line block ×21, first 2 shown]
	v_pk_fma_f32 v[2:3], v[154:155], v[228:229], v[0:1] op_sel_hi:[1,0,1]
	v_pk_fma_f32 v[0:1], v[154:155], v[228:229], v[0:1] neg_lo:[0,0,1] neg_hi:[0,0,1]
	s_delay_alu instid0(VALU_DEP_1)
	v_dual_cndmask_b32 v1, v229, v3 :: v_dual_cndmask_b32 v0, v228, v0
	scratch_load_b64 v[2:3], off, off th:TH_LOAD_LU ; 8-byte Folded Reload
	s_wait_loadcnt 0x0
	global_store_b64 v[2:3], v[94:95], off
	scratch_load_b64 v[2:3], off, off offset:8 th:TH_LOAD_LU ; 8-byte Folded Reload
	s_wait_loadcnt 0x0
	global_store_b64 v[2:3], v[96:97], off
	scratch_load_b64 v[2:3], off, off offset:16 th:TH_LOAD_LU ; 8-byte Folded Reload
	;; [unrolled: 3-line block ×35, first 2 shown]
	s_wait_loadcnt 0x0
	global_store_b64 v[2:3], v[0:1], off
.LBB113_516:
	s_sendmsg sendmsg(MSG_DEALLOC_VGPRS)
	s_endpgm
	.section	.rodata,"a",@progbits
	.p2align	6, 0x0
	.amdhsa_kernel _ZN9rocsolver6v33100L23getf2_npvt_small_kernelILi57E19rocblas_complex_numIfEiiPS3_EEvT1_T3_lS5_lPT2_S5_S5_
		.amdhsa_group_segment_fixed_size 0
		.amdhsa_private_segment_fixed_size 404
		.amdhsa_kernarg_size 312
		.amdhsa_user_sgpr_count 2
		.amdhsa_user_sgpr_dispatch_ptr 0
		.amdhsa_user_sgpr_queue_ptr 0
		.amdhsa_user_sgpr_kernarg_segment_ptr 1
		.amdhsa_user_sgpr_dispatch_id 0
		.amdhsa_user_sgpr_kernarg_preload_length 0
		.amdhsa_user_sgpr_kernarg_preload_offset 0
		.amdhsa_user_sgpr_private_segment_size 0
		.amdhsa_wavefront_size32 1
		.amdhsa_uses_dynamic_stack 0
		.amdhsa_enable_private_segment 1
		.amdhsa_system_sgpr_workgroup_id_x 1
		.amdhsa_system_sgpr_workgroup_id_y 1
		.amdhsa_system_sgpr_workgroup_id_z 0
		.amdhsa_system_sgpr_workgroup_info 0
		.amdhsa_system_vgpr_workitem_id 1
		.amdhsa_next_free_vgpr 256
		.amdhsa_next_free_sgpr 15
		.amdhsa_named_barrier_count 0
		.amdhsa_reserve_vcc 1
		.amdhsa_float_round_mode_32 0
		.amdhsa_float_round_mode_16_64 0
		.amdhsa_float_denorm_mode_32 3
		.amdhsa_float_denorm_mode_16_64 3
		.amdhsa_fp16_overflow 0
		.amdhsa_memory_ordered 1
		.amdhsa_forward_progress 1
		.amdhsa_inst_pref_size 255
		.amdhsa_round_robin_scheduling 0
		.amdhsa_exception_fp_ieee_invalid_op 0
		.amdhsa_exception_fp_denorm_src 0
		.amdhsa_exception_fp_ieee_div_zero 0
		.amdhsa_exception_fp_ieee_overflow 0
		.amdhsa_exception_fp_ieee_underflow 0
		.amdhsa_exception_fp_ieee_inexact 0
		.amdhsa_exception_int_div_zero 0
	.end_amdhsa_kernel
	.section	.text._ZN9rocsolver6v33100L23getf2_npvt_small_kernelILi57E19rocblas_complex_numIfEiiPS3_EEvT1_T3_lS5_lPT2_S5_S5_,"axG",@progbits,_ZN9rocsolver6v33100L23getf2_npvt_small_kernelILi57E19rocblas_complex_numIfEiiPS3_EEvT1_T3_lS5_lPT2_S5_S5_,comdat
.Lfunc_end113:
	.size	_ZN9rocsolver6v33100L23getf2_npvt_small_kernelILi57E19rocblas_complex_numIfEiiPS3_EEvT1_T3_lS5_lPT2_S5_S5_, .Lfunc_end113-_ZN9rocsolver6v33100L23getf2_npvt_small_kernelILi57E19rocblas_complex_numIfEiiPS3_EEvT1_T3_lS5_lPT2_S5_S5_
                                        ; -- End function
	.set _ZN9rocsolver6v33100L23getf2_npvt_small_kernelILi57E19rocblas_complex_numIfEiiPS3_EEvT1_T3_lS5_lPT2_S5_S5_.num_vgpr, 256
	.set _ZN9rocsolver6v33100L23getf2_npvt_small_kernelILi57E19rocblas_complex_numIfEiiPS3_EEvT1_T3_lS5_lPT2_S5_S5_.num_agpr, 0
	.set _ZN9rocsolver6v33100L23getf2_npvt_small_kernelILi57E19rocblas_complex_numIfEiiPS3_EEvT1_T3_lS5_lPT2_S5_S5_.numbered_sgpr, 15
	.set _ZN9rocsolver6v33100L23getf2_npvt_small_kernelILi57E19rocblas_complex_numIfEiiPS3_EEvT1_T3_lS5_lPT2_S5_S5_.num_named_barrier, 0
	.set _ZN9rocsolver6v33100L23getf2_npvt_small_kernelILi57E19rocblas_complex_numIfEiiPS3_EEvT1_T3_lS5_lPT2_S5_S5_.private_seg_size, 404
	.set _ZN9rocsolver6v33100L23getf2_npvt_small_kernelILi57E19rocblas_complex_numIfEiiPS3_EEvT1_T3_lS5_lPT2_S5_S5_.uses_vcc, 1
	.set _ZN9rocsolver6v33100L23getf2_npvt_small_kernelILi57E19rocblas_complex_numIfEiiPS3_EEvT1_T3_lS5_lPT2_S5_S5_.uses_flat_scratch, 1
	.set _ZN9rocsolver6v33100L23getf2_npvt_small_kernelILi57E19rocblas_complex_numIfEiiPS3_EEvT1_T3_lS5_lPT2_S5_S5_.has_dyn_sized_stack, 0
	.set _ZN9rocsolver6v33100L23getf2_npvt_small_kernelILi57E19rocblas_complex_numIfEiiPS3_EEvT1_T3_lS5_lPT2_S5_S5_.has_recursion, 0
	.set _ZN9rocsolver6v33100L23getf2_npvt_small_kernelILi57E19rocblas_complex_numIfEiiPS3_EEvT1_T3_lS5_lPT2_S5_S5_.has_indirect_call, 0
	.section	.AMDGPU.csdata,"",@progbits
; Kernel info:
; codeLenInByte = 133740
; TotalNumSgprs: 17
; NumVgprs: 256
; ScratchSize: 404
; MemoryBound: 0
; FloatMode: 240
; IeeeMode: 1
; LDSByteSize: 0 bytes/workgroup (compile time only)
; SGPRBlocks: 0
; VGPRBlocks: 15
; NumSGPRsForWavesPerEU: 17
; NumVGPRsForWavesPerEU: 256
; NamedBarCnt: 0
; Occupancy: 4
; WaveLimiterHint : 0
; COMPUTE_PGM_RSRC2:SCRATCH_EN: 1
; COMPUTE_PGM_RSRC2:USER_SGPR: 2
; COMPUTE_PGM_RSRC2:TRAP_HANDLER: 0
; COMPUTE_PGM_RSRC2:TGID_X_EN: 1
; COMPUTE_PGM_RSRC2:TGID_Y_EN: 1
; COMPUTE_PGM_RSRC2:TGID_Z_EN: 0
; COMPUTE_PGM_RSRC2:TIDIG_COMP_CNT: 1
	.section	.text._ZN9rocsolver6v33100L18getf2_small_kernelILi58E19rocblas_complex_numIfEiiPS3_EEvT1_T3_lS5_lPS5_llPT2_S5_S5_S7_l,"axG",@progbits,_ZN9rocsolver6v33100L18getf2_small_kernelILi58E19rocblas_complex_numIfEiiPS3_EEvT1_T3_lS5_lPS5_llPT2_S5_S5_S7_l,comdat
	.globl	_ZN9rocsolver6v33100L18getf2_small_kernelILi58E19rocblas_complex_numIfEiiPS3_EEvT1_T3_lS5_lPS5_llPT2_S5_S5_S7_l ; -- Begin function _ZN9rocsolver6v33100L18getf2_small_kernelILi58E19rocblas_complex_numIfEiiPS3_EEvT1_T3_lS5_lPS5_llPT2_S5_S5_S7_l
	.p2align	8
	.type	_ZN9rocsolver6v33100L18getf2_small_kernelILi58E19rocblas_complex_numIfEiiPS3_EEvT1_T3_lS5_lPS5_llPT2_S5_S5_S7_l,@function
_ZN9rocsolver6v33100L18getf2_small_kernelILi58E19rocblas_complex_numIfEiiPS3_EEvT1_T3_lS5_lPS5_llPT2_S5_S5_S7_l: ; @_ZN9rocsolver6v33100L18getf2_small_kernelILi58E19rocblas_complex_numIfEiiPS3_EEvT1_T3_lS5_lPS5_llPT2_S5_S5_S7_l
; %bb.0:
	s_clause 0x1
	s_load_u16 s2, s[0:1], 0x6e
	s_load_b64 s[16:17], s[0:1], 0x48
	s_bfe_u32 s3, ttmp6, 0x40010
	s_bfe_u32 s4, ttmp6, 0x40004
	s_add_co_i32 s3, s3, 1
	s_getreg_b32 s5, hwreg(HW_REG_IB_STS2, 6, 4)
	s_mul_i32 s3, ttmp7, s3
	v_bfe_u32 v124, v0, 10, 10
	s_add_co_i32 s4, s4, s3
	s_cmp_eq_u32 s5, 0
	s_cselect_b32 s3, ttmp7, s4
	s_wait_kmcnt 0x0
	v_mad_u32 v2, s3, s2, v124
	s_mov_b32 s2, exec_lo
	s_delay_alu instid0(VALU_DEP_1)
	v_cmpx_gt_i32_e64 s16, v2
	s_cbranch_execnz .LBB114_1
; %bb.1220:
	s_add_pc_i64 .LBB114_1219-.Lpost_addpc6
.Lpost_addpc6:
.LBB114_1:
	s_load_b128 s[4:7], s[0:1], 0x50
	v_mov_b64_e32 v[4:5], 0
	v_ashrrev_i32_e32 v3, 31, v2
	s_wait_kmcnt 0x0
	s_cmp_eq_u64 s[4:5], 0
	s_cselect_b32 s16, -1, 0
	s_delay_alu instid0(SALU_CYCLE_1)
	s_and_b32 vcc_lo, exec_lo, s16
	s_cbranch_vccnz .LBB114_3
; %bb.2:
	v_mul_u64_e32 v[4:5], s[6:7], v[2:3]
	s_delay_alu instid0(VALU_DEP_1)
	v_lshl_add_u64 v[4:5], v[4:5], 2, s[4:5]
.LBB114_3:
	s_clause 0x2
	s_load_b32 s2, s[0:1], 0x18
	s_load_b128 s[12:15], s[0:1], 0x8
	s_load_b32 s18, s[0:1], 0x0
	v_and_b32_e32 v129, 0x3ff, v0
	s_load_b256 s[4:11], s[0:1], 0x20
	s_delay_alu instid0(VALU_DEP_1) | instskip(SKIP_4) | instid1(VALU_DEP_2)
	v_dual_mov_b32 v123, 0 :: v_dual_lshlrev_b32 v122, 3, v129
	s_wait_kmcnt 0x0
	v_add3_u32 v6, s2, s2, v129
	s_ashr_i32 s3, s2, 31
	v_mul_u64_e32 v[0:1], s[4:5], v[2:3]
	v_add_nc_u32_e32 v8, s2, v6
	s_max_i32 s4, s18, 58
	s_cmp_lt_i32 s18, 2
	s_delay_alu instid0(VALU_DEP_1) | instskip(NEXT) | instid1(VALU_DEP_1)
	v_add_nc_u32_e32 v10, s2, v8
	v_add_nc_u32_e32 v12, s2, v10
	s_delay_alu instid0(VALU_DEP_1) | instskip(NEXT) | instid1(VALU_DEP_1)
	v_add_nc_u32_e32 v14, s2, v12
	v_dual_ashrrev_i32 v9, 31, v8 :: v_dual_add_nc_u32 v16, s2, v14
	s_delay_alu instid0(VALU_DEP_1) | instskip(SKIP_1) | instid1(VALU_DEP_1)
	v_dual_ashrrev_i32 v15, 31, v14 :: v_dual_ashrrev_i32 v17, 31, v16
	v_dual_add_nc_u32 v18, s2, v16 :: v_dual_ashrrev_i32 v11, 31, v10
	v_dual_ashrrev_i32 v13, 31, v12 :: v_dual_add_nc_u32 v20, s2, v18
	v_lshl_add_u64 v[0:1], v[0:1], 3, s[12:13]
	s_delay_alu instid0(VALU_DEP_2) | instskip(NEXT) | instid1(VALU_DEP_2)
	v_add_nc_u32_e32 v22, s2, v20
	v_lshl_add_u64 v[0:1], s[14:15], 3, v[0:1]
	s_delay_alu instid0(VALU_DEP_2) | instskip(NEXT) | instid1(VALU_DEP_2)
	v_add_nc_u32_e32 v24, s2, v22
	v_lshl_add_u64 v[10:11], v[10:11], 3, v[0:1]
	v_add_nc_u64_e32 v[46:47], v[0:1], v[122:123]
	v_lshl_add_u64 v[12:13], v[12:13], 3, v[0:1]
	v_lshl_add_u64 v[14:15], v[14:15], 3, v[0:1]
	v_add_nc_u32_e32 v26, s2, v24
	v_lshl_add_u64 v[16:17], v[16:17], 3, v[0:1]
	s_clause 0x3
	global_load_b64 v[110:111], v[10:11], off
	global_load_b64 v[98:99], v[12:13], off
	;; [unrolled: 1-line block ×4, first 2 shown]
	s_wait_xcnt 0x3
	v_lshl_add_u64 v[10:11], s[2:3], 3, v[46:47]
	v_add_nc_u32_e32 v28, s2, v26
	v_lshl_add_u64 v[8:9], v[8:9], 3, v[0:1]
	v_dual_ashrrev_i32 v21, 31, v20 :: v_dual_ashrrev_i32 v23, 31, v22
	s_delay_alu instid0(VALU_DEP_3) | instskip(SKIP_1) | instid1(VALU_DEP_3)
	v_dual_ashrrev_i32 v27, 31, v26 :: v_dual_add_nc_u32 v30, s2, v28
	v_ashrrev_i32_e32 v25, 31, v24
	v_lshl_add_u64 v[20:21], v[20:21], 3, v[0:1]
	s_wait_xcnt 0x2
	v_lshl_add_u64 v[12:13], v[22:23], 3, v[0:1]
	v_dual_ashrrev_i32 v29, 31, v28 :: v_dual_add_nc_u32 v32, s2, v30
	v_ashrrev_i32_e32 v31, 31, v30
	s_wait_xcnt 0x0
	s_delay_alu instid0(VALU_DEP_2) | instskip(NEXT) | instid1(VALU_DEP_3)
	v_lshl_add_u64 v[16:17], v[28:29], 3, v[0:1]
	v_add_nc_u32_e32 v34, s2, v32
	s_delay_alu instid0(VALU_DEP_1) | instskip(NEXT) | instid1(VALU_DEP_1)
	v_add_nc_u32_e32 v36, s2, v34
	v_dual_add_nc_u32 v38, s2, v36 :: v_dual_ashrrev_i32 v37, 31, v36
	s_delay_alu instid0(VALU_DEP_1) | instskip(SKIP_1) | instid1(VALU_DEP_2)
	v_add_nc_u32_e32 v40, s2, v38
	v_ashrrev_i32_e32 v7, 31, v6
	v_dual_ashrrev_i32 v39, 31, v38 :: v_dual_ashrrev_i32 v41, 31, v40
	v_add_nc_u32_e32 v42, s2, v40
	s_delay_alu instid0(VALU_DEP_3)
	v_lshl_add_u64 v[6:7], v[6:7], 3, v[0:1]
	s_clause 0x3
	global_load_b64 v[114:115], v[6:7], off
	global_load_b64 v[112:113], v[8:9], off
	;; [unrolled: 1-line block ×4, first 2 shown]
	v_add_nc_u32_e32 v44, s2, v42
	v_ashrrev_i32_e32 v19, 31, v18
	s_wait_xcnt 0x3
	v_lshl_add_u64 v[6:7], v[24:25], 3, v[0:1]
	s_wait_xcnt 0x0
	v_lshl_add_u64 v[10:11], v[26:27], 3, v[0:1]
	v_lshl_add_u64 v[24:25], v[38:39], 3, v[0:1]
	v_add_nc_u32_e32 v48, s2, v44
	v_lshl_add_u64 v[18:19], v[18:19], 3, v[0:1]
	s_clause 0x3
	global_load_b64 v[108:109], v[18:19], off
	global_load_b64 v[80:81], v[20:21], off
	global_load_b64 v[82:83], v[12:13], off
	global_load_b64 v[78:79], v[6:7], off
	v_add_nc_u32_e32 v50, s2, v48
	s_wait_xcnt 0x3
	v_lshl_add_u64 v[18:19], v[30:31], 3, v[0:1]
	v_lshl_add_u64 v[26:27], v[40:41], 3, v[0:1]
	v_dual_ashrrev_i32 v43, 31, v42 :: v_dual_ashrrev_i32 v45, 31, v44
	v_dual_add_nc_u32 v52, s2, v50 :: v_dual_ashrrev_i32 v49, 31, v48
	s_delay_alu instid0(VALU_DEP_1) | instskip(NEXT) | instid1(VALU_DEP_2)
	v_add_nc_u32_e32 v14, s2, v52
	v_lshl_add_u64 v[30:31], v[48:49], 3, v[0:1]
	s_delay_alu instid0(VALU_DEP_2) | instskip(SKIP_1) | instid1(VALU_DEP_1)
	v_dual_add_nc_u32 v8, s2, v14 :: v_dual_ashrrev_i32 v15, 31, v14
	s_wait_xcnt 0x0
	v_add_nc_u32_e32 v6, s2, v8
	v_ashrrev_i32_e32 v33, 31, v32
	v_ashrrev_i32_e32 v9, 31, v8
	v_lshl_add_u64 v[14:15], v[14:15], 3, v[0:1]
	s_delay_alu instid0(VALU_DEP_4)
	v_add_nc_u32_e32 v12, s2, v6
	v_ashrrev_i32_e32 v35, 31, v34
	v_lshl_add_u64 v[20:21], v[32:33], 3, v[0:1]
	s_clause 0x3
	global_load_b64 v[106:107], v[10:11], off
	global_load_b64 v[74:75], v[16:17], off
	;; [unrolled: 1-line block ×4, first 2 shown]
	v_add_nc_u32_e32 v22, s2, v12
	s_wait_xcnt 0x2
	v_lshl_add_u64 v[16:17], v[34:35], 3, v[0:1]
	s_wait_xcnt 0x0
	v_lshl_add_u64 v[20:21], v[36:37], 3, v[0:1]
	s_clause 0x3
	global_load_b64 v[104:105], v[16:17], off
	global_load_b64 v[66:67], v[20:21], off
	;; [unrolled: 1-line block ×4, first 2 shown]
	v_add_nc_u32_e32 v10, s2, v22
	s_wait_xcnt 0x2
	v_lshl_add_u64 v[20:21], v[42:43], 3, v[0:1]
	s_wait_xcnt 0x0
	v_lshl_add_u64 v[26:27], v[44:45], 3, v[0:1]
	v_ashrrev_i32_e32 v7, 31, v6
	v_lshl_add_u64 v[8:9], v[8:9], 3, v[0:1]
	v_add_nc_u32_e32 v18, s2, v10
	v_ashrrev_i32_e32 v23, 31, v22
	v_ashrrev_i32_e32 v11, 31, v10
	v_lshl_add_u64 v[6:7], v[6:7], 3, v[0:1]
	s_delay_alu instid0(VALU_DEP_4) | instskip(NEXT) | instid1(VALU_DEP_3)
	v_add_nc_u32_e32 v28, s2, v18
	v_lshl_add_u64 v[10:11], v[10:11], 3, v[0:1]
	s_delay_alu instid0(VALU_DEP_2) | instskip(SKIP_1) | instid1(VALU_DEP_2)
	v_dual_add_nc_u32 v16, s2, v28 :: v_dual_ashrrev_i32 v51, 31, v50
	v_dual_ashrrev_i32 v19, 31, v18 :: v_dual_ashrrev_i32 v29, 31, v28
	v_add_nc_u32_e32 v24, s2, v16
	s_delay_alu instid0(VALU_DEP_3)
	v_lshl_add_u64 v[32:33], v[50:51], 3, v[0:1]
	s_clause 0x3
	global_load_b64 v[102:103], v[20:21], off
	global_load_b64 v[58:59], v[26:27], off
	;; [unrolled: 1-line block ×4, first 2 shown]
	v_ashrrev_i32_e32 v17, 31, v16
	v_add_nc_u32_e32 v34, s2, v24
	v_ashrrev_i32_e32 v53, 31, v52
	v_lshl_add_u64 v[18:19], v[18:19], 3, v[0:1]
	v_ashrrev_i32_e32 v25, 31, v24
	v_lshl_add_u64 v[16:17], v[16:17], 3, v[0:1]
	s_wait_xcnt 0x3
	v_add_nc_u32_e32 v20, s2, v34
	s_wait_xcnt 0x2
	v_lshl_add_u64 v[26:27], v[52:53], 3, v[0:1]
	s_clause 0x3
	global_load_b64 v[100:101], v[26:27], off
	global_load_b64 v[52:53], v[14:15], off
	;; [unrolled: 1-line block ×4, first 2 shown]
	s_wait_xcnt 0x5
	v_add_nc_u32_e32 v30, s2, v20
	v_ashrrev_i32_e32 v13, 31, v12
	s_wait_xcnt 0x2
	v_lshl_add_u64 v[14:15], v[22:23], 3, v[0:1]
	v_ashrrev_i32_e32 v35, 31, v34
	v_add_nc_u32_e32 v32, s2, v30
	s_wait_xcnt 0x1
	v_lshl_add_u64 v[8:9], v[12:13], 3, v[0:1]
	s_clause 0x3
	global_load_b64 v[96:97], v[8:9], off
	global_load_b64 v[46:47], v[14:15], off
	;; [unrolled: 1-line block ×4, first 2 shown]
	s_wait_xcnt 0x4
	v_add_nc_u32_e32 v6, s2, v32
	s_wait_xcnt 0x1
	v_lshl_add_u64 v[10:11], v[28:29], 3, v[0:1]
	v_ashrrev_i32_e32 v31, 31, v30
	s_wait_xcnt 0x0
	v_lshl_add_u64 v[18:19], v[24:25], 3, v[0:1]
	v_lshl_add_u64 v[24:25], v[34:35], 3, v[0:1]
	v_add_nc_u32_e32 v12, s2, v6
	s_clause 0x3
	global_load_b64 v[94:95], v[10:11], off
	global_load_b64 v[38:39], v[16:17], off
	;; [unrolled: 1-line block ×4, first 2 shown]
	v_dual_ashrrev_i32 v7, 31, v6 :: v_dual_add_nc_u32 v22, s2, v12
	s_delay_alu instid0(VALU_DEP_1) | instskip(NEXT) | instid1(VALU_DEP_2)
	v_lshl_add_u64 v[6:7], v[6:7], 3, v[0:1]
	v_add_nc_u32_e32 v8, s2, v22
	s_delay_alu instid0(VALU_DEP_1) | instskip(SKIP_1) | instid1(VALU_DEP_2)
	v_add_nc_u32_e32 v14, s2, v8
	v_ashrrev_i32_e32 v21, 31, v20
	v_dual_ashrrev_i32 v9, 31, v8 :: v_dual_add_nc_u32 v28, s2, v14
	s_wait_xcnt 0x2
	s_delay_alu instid0(VALU_DEP_2)
	v_lshl_add_u64 v[16:17], v[20:21], 3, v[0:1]
	v_lshl_add_u64 v[20:21], v[30:31], 3, v[0:1]
	v_ashrrev_i32_e32 v23, 31, v22
	v_lshl_add_u64 v[8:9], v[8:9], 3, v[0:1]
	v_add_nc_u32_e32 v10, s2, v28
	v_ashrrev_i32_e32 v33, 31, v32
	s_wait_xcnt 0x1
	s_delay_alu instid0(VALU_DEP_2)
	v_dual_ashrrev_i32 v29, 31, v28 :: v_dual_add_nc_u32 v18, s2, v10
	v_ashrrev_i32_e32 v13, 31, v12
	s_wait_xcnt 0x0
	v_lshl_add_u64 v[24:25], v[32:33], 3, v[0:1]
	s_clause 0x3
	global_load_b64 v[92:93], v[16:17], off
	global_load_b64 v[32:33], v[20:21], off
	;; [unrolled: 1-line block ×4, first 2 shown]
	v_add_nc_u32_e32 v42, s2, v18
	v_lshl_add_u64 v[12:13], v[12:13], 3, v[0:1]
	s_wait_xcnt 0x3
	v_lshl_add_u64 v[16:17], v[22:23], 3, v[0:1]
	s_wait_xcnt 0x0
	v_add_nc_u32_e32 v6, s2, v42
	s_delay_alu instid0(VALU_DEP_1) | instskip(NEXT) | instid1(VALU_DEP_1)
	v_add_nc_u32_e32 v60, s2, v6
	v_dual_ashrrev_i32 v15, 31, v14 :: v_dual_add_nc_u32 v84, s2, v60
	s_delay_alu instid0(VALU_DEP_1)
	v_lshl_add_u64 v[14:15], v[14:15], 3, v[0:1]
	s_clause 0x3
	global_load_b64 v[90:91], v[12:13], off
	global_load_b64 v[24:25], v[16:17], off
	;; [unrolled: 1-line block ×4, first 2 shown]
	s_wait_xcnt 0x3
	v_lshl_add_u64 v[12:13], v[28:29], 3, v[0:1]
	s_wait_xcnt 0x1
	v_dual_add_nc_u32 v8, s2, v84 :: v_dual_ashrrev_i32 v11, 31, v10
	v_dual_ashrrev_i32 v43, 31, v42 :: v_dual_ashrrev_i32 v61, 31, v60
	v_dual_ashrrev_i32 v7, 31, v6 :: v_dual_ashrrev_i32 v85, 31, v84
	s_wait_xcnt 0x0
	s_delay_alu instid0(VALU_DEP_3) | instskip(SKIP_3) | instid1(VALU_DEP_4)
	v_dual_add_nc_u32 v14, s2, v8 :: v_dual_ashrrev_i32 v9, 31, v8
	v_lshl_add_u64 v[10:11], v[10:11], 3, v[0:1]
	v_lshl_add_u64 v[42:43], v[42:43], 3, v[0:1]
	;; [unrolled: 1-line block ×3, first 2 shown]
	v_add_nc_u32_e32 v120, s2, v14
	v_ashrrev_i32_e32 v19, 31, v18
	v_ashrrev_i32_e32 v15, 31, v14
	v_lshl_add_u64 v[60:61], v[60:61], 3, v[0:1]
	v_lshl_add_u64 v[126:127], v[84:85], 3, v[0:1]
	;; [unrolled: 1-line block ×4, first 2 shown]
	s_clause 0x3
	global_load_b64 v[88:89], v[12:13], off
	global_load_b64 v[18:19], v[10:11], off
	;; [unrolled: 1-line block ×4, first 2 shown]
	s_wait_xcnt 0x1
	v_add_nc_u32_e32 v28, s2, v120
	s_clause 0x3
	global_load_b64 v[84:85], v[6:7], off
	global_load_b64 v[10:11], v[60:61], off
	;; [unrolled: 1-line block ×4, first 2 shown]
	s_wait_xcnt 0x3
	v_lshl_add_u64 v[6:7], v[14:15], 3, v[0:1]
	v_ashrrev_i32_e32 v121, 31, v120
	v_add_nc_u32_e32 v42, s2, v28
	s_delay_alu instid0(VALU_DEP_2) | instskip(NEXT) | instid1(VALU_DEP_2)
	v_lshl_add_u64 v[120:121], v[120:121], 3, v[0:1]
	v_dual_add_nc_u32 v132, s2, v42 :: v_dual_ashrrev_i32 v43, 31, v42
	s_delay_alu instid0(VALU_DEP_1)
	v_add_nc_u32_e32 v14, s2, v132
	v_ashrrev_i32_e32 v29, 31, v28
	v_ashrrev_i32_e32 v133, 31, v132
	s_wait_xcnt 0x1
	v_lshl_add_u64 v[126:127], v[42:43], 3, v[0:1]
	v_ashrrev_i32_e32 v15, 31, v14
	v_lshl_add_u64 v[28:29], v[28:29], 3, v[0:1]
	s_wait_xcnt 0x0
	v_lshl_add_u64 v[130:131], v[132:133], 3, v[0:1]
	s_delay_alu instid0(VALU_DEP_3)
	v_lshl_add_u64 v[132:133], v[14:15], 3, v[0:1]
	s_clause 0x5
	global_load_b64 v[60:61], v[6:7], off
	global_load_b64 v[6:7], v[120:121], off
	;; [unrolled: 1-line block ×6, first 2 shown]
	s_wait_xcnt 0x2
	v_mul_lo_u32 v127, s4, v124
	s_load_b64 s[4:5], s[0:1], 0x40
	s_delay_alu instid0(VALU_DEP_1) | instskip(NEXT) | instid1(VALU_DEP_1)
	v_lshl_add_u32 v126, v127, 3, 0
	v_dual_lshlrev_b32 v127, 3, v127 :: v_dual_add_nc_u32 v122, v126, v122
	s_wait_loadcnt 0x33
	ds_store_b64 v122, v[118:119]
	s_wait_loadcnt_dscnt 0x0
	s_barrier_signal -1
	s_barrier_wait -1
	ds_load_b64 v[124:125], v126
	s_cbranch_scc1 .LBB114_6
; %bb.4:
	v_add3_u32 v122, v127, 0, 8
	v_mov_b32_e32 v123, 0
	s_wait_xcnt 0x0
	s_mov_b32 s0, 1
.LBB114_5:                              ; =>This Inner Loop Header: Depth=1
	ds_load_b64 v[130:131], v122
	s_wait_dscnt 0x1
	v_cmp_gt_f32_e32 vcc_lo, 0, v124
	v_cndmask_b32_e64 v132, v124, -v124, vcc_lo
	v_cmp_gt_f32_e32 vcc_lo, 0, v125
	v_cndmask_b32_e64 v134, v125, -v125, vcc_lo
	s_wait_dscnt 0x0
	v_cmp_gt_f32_e32 vcc_lo, 0, v130
	v_cndmask_b32_e64 v133, v130, -v130, vcc_lo
	v_cmp_gt_f32_e32 vcc_lo, 0, v131
	v_cndmask_b32_e64 v135, v131, -v131, vcc_lo
	s_delay_alu instid0(VALU_DEP_1) | instskip(NEXT) | instid1(VALU_DEP_1)
	v_pk_add_f32 v[132:133], v[132:133], v[134:135]
	v_cmp_lt_f32_e32 vcc_lo, v132, v133
	v_dual_cndmask_b32 v125, v125, v131 :: v_dual_add_nc_u32 v122, 8, v122
	v_cndmask_b32_e32 v124, v124, v130, vcc_lo
	v_cndmask_b32_e64 v123, v123, s0, vcc_lo
	s_add_co_i32 s0, s0, 1
	s_delay_alu instid0(SALU_CYCLE_1)
	s_cmp_eq_u32 s18, s0
	s_cbranch_scc0 .LBB114_5
.LBB114_6:
	s_wait_dscnt 0x0
	v_cmp_neq_f32_e32 vcc_lo, 0, v124
	s_wait_xcnt 0x0
	v_cmp_neq_f32_e64 s0, 0, v125
	v_dual_mov_b32 v128, 1 :: v_dual_mov_b32 v131, 1
	s_or_b32 s1, vcc_lo, s0
	s_delay_alu instid0(SALU_CYCLE_1)
	s_and_saveexec_b32 s0, s1
	s_cbranch_execz .LBB114_12
; %bb.7:
	v_cmp_ngt_f32_e64 s1, |v124|, |v125|
	s_and_saveexec_b32 s12, s1
	s_delay_alu instid0(SALU_CYCLE_1)
	s_xor_b32 s1, exec_lo, s12
	s_cbranch_execz .LBB114_9
; %bb.8:
	v_div_scale_f32 v122, null, v125, v125, v124
	v_div_scale_f32 v131, vcc_lo, v124, v125, v124
	s_delay_alu instid0(VALU_DEP_2) | instskip(SKIP_1) | instid1(TRANS32_DEP_1)
	v_rcp_f32_e32 v128, v122
	v_nop
	v_fma_f32 v130, -v122, v128, 1.0
	s_delay_alu instid0(VALU_DEP_1) | instskip(NEXT) | instid1(VALU_DEP_1)
	v_fmac_f32_e32 v128, v130, v128
	v_mul_f32_e32 v130, v131, v128
	s_delay_alu instid0(VALU_DEP_1) | instskip(NEXT) | instid1(VALU_DEP_1)
	v_fma_f32 v132, -v122, v130, v131
	v_fmac_f32_e32 v130, v132, v128
	s_delay_alu instid0(VALU_DEP_1) | instskip(NEXT) | instid1(VALU_DEP_1)
	v_fma_f32 v122, -v122, v130, v131
	v_div_fmas_f32 v122, v122, v128, v130
	s_delay_alu instid0(VALU_DEP_1) | instskip(NEXT) | instid1(VALU_DEP_1)
	v_div_fixup_f32 v122, v122, v125, v124
	v_fmac_f32_e32 v125, v124, v122
	s_delay_alu instid0(VALU_DEP_1) | instskip(SKIP_1) | instid1(VALU_DEP_2)
	v_div_scale_f32 v124, null, v125, v125, 1.0
	v_div_scale_f32 v131, vcc_lo, 1.0, v125, 1.0
	v_rcp_f32_e32 v128, v124
	v_nop
	s_delay_alu instid0(TRANS32_DEP_1) | instskip(NEXT) | instid1(VALU_DEP_1)
	v_fma_f32 v130, -v124, v128, 1.0
	v_fmac_f32_e32 v128, v130, v128
	s_delay_alu instid0(VALU_DEP_1) | instskip(NEXT) | instid1(VALU_DEP_1)
	v_mul_f32_e32 v130, v131, v128
	v_fma_f32 v132, -v124, v130, v131
	s_delay_alu instid0(VALU_DEP_1) | instskip(NEXT) | instid1(VALU_DEP_1)
	v_fmac_f32_e32 v130, v132, v128
	v_fma_f32 v124, -v124, v130, v131
	s_delay_alu instid0(VALU_DEP_1) | instskip(NEXT) | instid1(VALU_DEP_1)
	v_div_fmas_f32 v124, v124, v128, v130
	v_div_fixup_f32 v125, v124, v125, 1.0
	s_delay_alu instid0(VALU_DEP_1)
	v_mul_f32_e32 v124, v122, v125
	v_xor_b32_e32 v125, 0x80000000, v125
.LBB114_9:
	s_and_not1_saveexec_b32 s1, s1
	s_cbranch_execz .LBB114_11
; %bb.10:
	s_delay_alu instid0(VALU_DEP_1) | instskip(SKIP_1) | instid1(VALU_DEP_2)
	v_div_scale_f32 v122, null, v124, v124, v125
	v_div_scale_f32 v131, vcc_lo, v125, v124, v125
	v_rcp_f32_e32 v128, v122
	v_nop
	s_delay_alu instid0(TRANS32_DEP_1) | instskip(NEXT) | instid1(VALU_DEP_1)
	v_fma_f32 v130, -v122, v128, 1.0
	v_fmac_f32_e32 v128, v130, v128
	s_delay_alu instid0(VALU_DEP_1) | instskip(NEXT) | instid1(VALU_DEP_1)
	v_mul_f32_e32 v130, v131, v128
	v_fma_f32 v132, -v122, v130, v131
	s_delay_alu instid0(VALU_DEP_1) | instskip(NEXT) | instid1(VALU_DEP_1)
	v_fmac_f32_e32 v130, v132, v128
	v_fma_f32 v122, -v122, v130, v131
	s_delay_alu instid0(VALU_DEP_1) | instskip(NEXT) | instid1(VALU_DEP_1)
	v_div_fmas_f32 v122, v122, v128, v130
	v_div_fixup_f32 v122, v122, v124, v125
	s_delay_alu instid0(VALU_DEP_1) | instskip(NEXT) | instid1(VALU_DEP_1)
	v_fmac_f32_e32 v124, v125, v122
	v_div_scale_f32 v125, null, v124, v124, 1.0
	s_delay_alu instid0(VALU_DEP_1) | instskip(SKIP_1) | instid1(TRANS32_DEP_1)
	v_rcp_f32_e32 v128, v125
	v_nop
	v_fma_f32 v130, -v125, v128, 1.0
	s_delay_alu instid0(VALU_DEP_1) | instskip(SKIP_1) | instid1(VALU_DEP_1)
	v_fmac_f32_e32 v128, v130, v128
	v_div_scale_f32 v130, vcc_lo, 1.0, v124, 1.0
	v_mul_f32_e32 v131, v130, v128
	s_delay_alu instid0(VALU_DEP_1) | instskip(NEXT) | instid1(VALU_DEP_1)
	v_fma_f32 v132, -v125, v131, v130
	v_fmac_f32_e32 v131, v132, v128
	s_delay_alu instid0(VALU_DEP_1) | instskip(NEXT) | instid1(VALU_DEP_1)
	v_fma_f32 v125, -v125, v131, v130
	v_div_fmas_f32 v125, v125, v128, v131
	s_delay_alu instid0(VALU_DEP_1) | instskip(NEXT) | instid1(VALU_DEP_1)
	v_div_fixup_f32 v124, v125, v124, 1.0
	v_mul_f32_e64 v125, v122, -v124
.LBB114_11:
	s_or_b32 exec_lo, exec_lo, s1
	v_dual_mov_b32 v131, 0 :: v_dual_mov_b32 v128, 2
.LBB114_12:
	s_or_b32 exec_lo, exec_lo, s0
	s_delay_alu instid0(SALU_CYCLE_1)
	s_mov_b32 s0, exec_lo
	v_cmpx_ne_u32_e64 v129, v123
	s_xor_b32 s0, exec_lo, s0
	s_cbranch_execz .LBB114_18
; %bb.13:
	s_mov_b32 s1, exec_lo
	v_cmpx_eq_u32_e32 0, v129
	s_cbranch_execz .LBB114_17
; %bb.14:
	v_cmp_ne_u32_e32 vcc_lo, 0, v123
	s_xor_b32 s12, s16, -1
	s_delay_alu instid0(SALU_CYCLE_1) | instskip(NEXT) | instid1(SALU_CYCLE_1)
	s_and_b32 s13, s12, vcc_lo
	s_and_saveexec_b32 s12, s13
	s_cbranch_execz .LBB114_16
; %bb.15:
	v_dual_mov_b32 v132, v123 :: v_dual_ashrrev_i32 v133, 31, v123
	s_delay_alu instid0(VALU_DEP_1)
	v_lshl_add_u64 v[132:133], v[132:133], 2, v[4:5]
	s_clause 0x1
	global_load_b32 v122, v[132:133], off
	global_load_b32 v129, v[4:5], off
	s_wait_loadcnt 0x1
	global_store_b32 v[4:5], v122, off
	s_wait_loadcnt 0x0
	global_store_b32 v[132:133], v129, off
.LBB114_16:
	s_wait_xcnt 0x0
	s_or_b32 exec_lo, exec_lo, s12
	v_mov_b32_e32 v129, v123
.LBB114_17:
	s_or_b32 exec_lo, exec_lo, s1
.LBB114_18:
	s_or_saveexec_b32 s0, s0
	s_delay_alu instid0(VALU_DEP_1)
	v_mov_b32_e32 v130, v129
	s_xor_b32 exec_lo, exec_lo, s0
	s_cbranch_execz .LBB114_20
; %bb.19:
	v_mov_b32_e32 v130, 0
	ds_store_2addr_b64 v126, v[116:117], v[114:115] offset0:1 offset1:2
	ds_store_2addr_b64 v126, v[112:113], v[110:111] offset0:3 offset1:4
	;; [unrolled: 1-line block ×28, first 2 shown]
	ds_store_b64 v126, v[120:121] offset:456
.LBB114_20:
	s_or_b32 exec_lo, exec_lo, s0
	s_delay_alu instid0(SALU_CYCLE_1)
	s_mov_b32 s0, exec_lo
	s_wait_storecnt_dscnt 0x0
	s_barrier_signal -1
	s_barrier_wait -1
	v_cmpx_lt_i32_e32 0, v130
	s_cbranch_execz .LBB114_22
; %bb.21:
	v_pk_mul_f32 v[132:133], v[124:125], v[118:119] op_sel:[1,1] op_sel_hi:[0,1]
	s_delay_alu instid0(VALU_DEP_1)
	v_pk_fma_f32 v[122:123], v[124:125], v[118:119], v[132:133] op_sel_hi:[1,0,1] neg_lo:[0,0,1] neg_hi:[0,0,1]
	v_pk_fma_f32 v[124:125], v[124:125], v[118:119], v[132:133] op_sel_hi:[1,0,1]
	ds_load_2addr_b64 v[132:135], v126 offset0:1 offset1:2
	v_dual_mov_b32 v118, v122 :: v_dual_mov_b32 v119, v125
	s_wait_dscnt 0x0
	v_pk_mul_f32 v[136:137], v[132:133], v[124:125] op_sel:[0,1]
	s_delay_alu instid0(VALU_DEP_1) | instskip(SKIP_1) | instid1(VALU_DEP_1)
	v_pk_fma_f32 v[138:139], v[132:133], v[122:123], v[136:137] op_sel:[0,0,1] op_sel_hi:[1,1,0] neg_lo:[0,0,1] neg_hi:[0,0,1]
	v_pk_fma_f32 v[132:133], v[132:133], v[122:123], v[136:137] op_sel:[0,0,1] op_sel_hi:[1,0,0]
	v_mov_b32_e32 v139, v133
	v_pk_mul_f32 v[132:133], v[134:135], v[124:125] op_sel:[0,1]
	s_delay_alu instid0(VALU_DEP_1) | instskip(SKIP_1) | instid1(VALU_DEP_1)
	v_pk_fma_f32 v[136:137], v[134:135], v[122:123], v[132:133] op_sel:[0,0,1] op_sel_hi:[1,1,0] neg_lo:[0,0,1] neg_hi:[0,0,1]
	v_pk_fma_f32 v[132:133], v[134:135], v[122:123], v[132:133] op_sel:[0,0,1] op_sel_hi:[1,0,0]
	v_mov_b32_e32 v137, v133
	ds_load_2addr_b64 v[132:135], v126 offset0:3 offset1:4
	v_pk_add_f32 v[116:117], v[116:117], v[138:139] neg_lo:[0,1] neg_hi:[0,1]
	v_pk_add_f32 v[114:115], v[114:115], v[136:137] neg_lo:[0,1] neg_hi:[0,1]
	s_wait_dscnt 0x0
	v_pk_mul_f32 v[136:137], v[132:133], v[124:125] op_sel:[0,1]
	s_delay_alu instid0(VALU_DEP_1) | instskip(SKIP_2) | instid1(VALU_DEP_2)
	v_pk_fma_f32 v[138:139], v[132:133], v[122:123], v[136:137] op_sel:[0,0,1] op_sel_hi:[1,1,0] neg_lo:[0,0,1] neg_hi:[0,0,1]
	v_pk_fma_f32 v[132:133], v[132:133], v[122:123], v[136:137] op_sel:[0,0,1] op_sel_hi:[1,0,0]
	v_dual_mul_f32 v136, v135, v125 :: v_dual_mov_b32 v132, v135
	v_dual_mov_b32 v139, v133 :: v_dual_mov_b32 v133, v134
	s_delay_alu instid0(VALU_DEP_2) | instskip(SKIP_1) | instid1(VALU_DEP_3)
	v_pk_fma_f32 v[136:137], v[134:135], v[118:119], v[136:137] op_sel_hi:[1,1,0] neg_lo:[0,0,1] neg_hi:[0,0,1]
	v_mul_f32_e32 v134, v135, v122
	v_pk_add_f32 v[112:113], v[112:113], v[138:139] neg_lo:[0,1] neg_hi:[0,1]
	s_delay_alu instid0(VALU_DEP_2) | instskip(NEXT) | instid1(VALU_DEP_1)
	v_pk_fma_f32 v[132:133], v[132:133], v[118:119], v[134:135] op_sel_hi:[1,1,0]
	v_mov_b32_e32 v137, v133
	ds_load_2addr_b64 v[132:135], v126 offset0:5 offset1:6
	v_pk_add_f32 v[110:111], v[110:111], v[136:137] neg_lo:[0,1] neg_hi:[0,1]
	s_wait_dscnt 0x0
	v_pk_mul_f32 v[136:137], v[132:133], v[124:125] op_sel:[0,1]
	s_delay_alu instid0(VALU_DEP_1) | instskip(SKIP_1) | instid1(VALU_DEP_1)
	v_pk_fma_f32 v[138:139], v[132:133], v[122:123], v[136:137] op_sel:[0,0,1] op_sel_hi:[1,1,0] neg_lo:[0,0,1] neg_hi:[0,0,1]
	v_pk_fma_f32 v[132:133], v[132:133], v[122:123], v[136:137] op_sel:[0,0,1] op_sel_hi:[1,0,0]
	v_mov_b32_e32 v139, v133
	v_pk_mul_f32 v[132:133], v[134:135], v[124:125] op_sel:[0,1]
	s_delay_alu instid0(VALU_DEP_1) | instskip(SKIP_1) | instid1(VALU_DEP_1)
	v_pk_fma_f32 v[136:137], v[134:135], v[122:123], v[132:133] op_sel:[0,0,1] op_sel_hi:[1,1,0] neg_lo:[0,0,1] neg_hi:[0,0,1]
	v_pk_fma_f32 v[132:133], v[134:135], v[122:123], v[132:133] op_sel:[0,0,1] op_sel_hi:[1,0,0]
	v_mov_b32_e32 v137, v133
	ds_load_2addr_b64 v[132:135], v126 offset0:7 offset1:8
	v_pk_add_f32 v[98:99], v[98:99], v[138:139] neg_lo:[0,1] neg_hi:[0,1]
	v_pk_add_f32 v[86:87], v[86:87], v[136:137] neg_lo:[0,1] neg_hi:[0,1]
	s_wait_dscnt 0x0
	v_pk_mul_f32 v[136:137], v[132:133], v[124:125] op_sel:[0,1]
	s_delay_alu instid0(VALU_DEP_1) | instskip(SKIP_1) | instid1(VALU_DEP_1)
	v_pk_fma_f32 v[138:139], v[132:133], v[122:123], v[136:137] op_sel:[0,0,1] op_sel_hi:[1,1,0] neg_lo:[0,0,1] neg_hi:[0,0,1]
	v_pk_fma_f32 v[132:133], v[132:133], v[122:123], v[136:137] op_sel:[0,0,1] op_sel_hi:[1,0,0]
	v_mov_b32_e32 v139, v133
	v_pk_mul_f32 v[132:133], v[134:135], v[124:125] op_sel:[0,1]
	s_delay_alu instid0(VALU_DEP_1) | instskip(SKIP_1) | instid1(VALU_DEP_1)
	v_pk_fma_f32 v[136:137], v[134:135], v[122:123], v[132:133] op_sel:[0,0,1] op_sel_hi:[1,1,0] neg_lo:[0,0,1] neg_hi:[0,0,1]
	v_pk_fma_f32 v[132:133], v[134:135], v[122:123], v[132:133] op_sel:[0,0,1] op_sel_hi:[1,0,0]
	v_mov_b32_e32 v137, v133
	ds_load_2addr_b64 v[132:135], v126 offset0:9 offset1:10
	v_pk_add_f32 v[70:71], v[70:71], v[138:139] neg_lo:[0,1] neg_hi:[0,1]
	v_pk_add_f32 v[108:109], v[108:109], v[136:137] neg_lo:[0,1] neg_hi:[0,1]
	s_wait_dscnt 0x0
	v_dual_mul_f32 v136, v133, v125 :: v_dual_mul_f32 v138, v133, v122
	s_delay_alu instid0(VALU_DEP_1) | instskip(NEXT) | instid1(VALU_DEP_2)
	v_pk_fma_f32 v[136:137], v[132:133], v[118:119], v[136:137] op_sel_hi:[1,1,0] neg_lo:[0,0,1] neg_hi:[0,0,1]
	v_pk_fma_f32 v[132:133], v[132:133], v[118:119], v[138:139] op_sel:[1,0,0] op_sel_hi:[0,1,0]
	s_delay_alu instid0(VALU_DEP_1) | instskip(SKIP_1) | instid1(VALU_DEP_2)
	v_mov_b32_e32 v137, v133
	v_pk_mul_f32 v[132:133], v[134:135], v[124:125] op_sel:[0,1]
	v_pk_add_f32 v[80:81], v[80:81], v[136:137] neg_lo:[0,1] neg_hi:[0,1]
	s_delay_alu instid0(VALU_DEP_2) | instskip(SKIP_1) | instid1(VALU_DEP_1)
	v_pk_fma_f32 v[136:137], v[134:135], v[122:123], v[132:133] op_sel:[0,0,1] op_sel_hi:[1,1,0] neg_lo:[0,0,1] neg_hi:[0,0,1]
	v_pk_fma_f32 v[132:133], v[134:135], v[122:123], v[132:133] op_sel:[0,0,1] op_sel_hi:[1,0,0]
	v_mov_b32_e32 v137, v133
	ds_load_2addr_b64 v[132:135], v126 offset0:11 offset1:12
	v_pk_add_f32 v[82:83], v[82:83], v[136:137] neg_lo:[0,1] neg_hi:[0,1]
	s_wait_dscnt 0x0
	v_pk_mul_f32 v[136:137], v[132:133], v[124:125] op_sel:[0,1]
	s_delay_alu instid0(VALU_DEP_1) | instskip(SKIP_1) | instid1(VALU_DEP_1)
	v_pk_fma_f32 v[138:139], v[132:133], v[122:123], v[136:137] op_sel:[0,0,1] op_sel_hi:[1,1,0] neg_lo:[0,0,1] neg_hi:[0,0,1]
	v_pk_fma_f32 v[132:133], v[132:133], v[122:123], v[136:137] op_sel:[0,0,1] op_sel_hi:[1,0,0]
	v_mov_b32_e32 v139, v133
	v_pk_mul_f32 v[132:133], v[134:135], v[124:125] op_sel:[0,1]
	s_delay_alu instid0(VALU_DEP_2) | instskip(NEXT) | instid1(VALU_DEP_2)
	v_pk_add_f32 v[78:79], v[78:79], v[138:139] neg_lo:[0,1] neg_hi:[0,1]
	v_pk_fma_f32 v[136:137], v[134:135], v[122:123], v[132:133] op_sel:[0,0,1] op_sel_hi:[1,1,0] neg_lo:[0,0,1] neg_hi:[0,0,1]
	v_pk_fma_f32 v[132:133], v[134:135], v[122:123], v[132:133] op_sel:[0,0,1] op_sel_hi:[1,0,0]
	s_delay_alu instid0(VALU_DEP_1) | instskip(SKIP_4) | instid1(VALU_DEP_1)
	v_mov_b32_e32 v137, v133
	ds_load_2addr_b64 v[132:135], v126 offset0:13 offset1:14
	v_pk_add_f32 v[106:107], v[106:107], v[136:137] neg_lo:[0,1] neg_hi:[0,1]
	s_wait_dscnt 0x0
	v_pk_mul_f32 v[136:137], v[132:133], v[124:125] op_sel:[0,1]
	v_pk_fma_f32 v[138:139], v[132:133], v[122:123], v[136:137] op_sel:[0,0,1] op_sel_hi:[1,1,0] neg_lo:[0,0,1] neg_hi:[0,0,1]
	v_pk_fma_f32 v[132:133], v[132:133], v[122:123], v[136:137] op_sel:[0,0,1] op_sel_hi:[1,0,0]
	v_dual_mul_f32 v136, v135, v125 :: v_dual_mov_b32 v132, v135
	s_delay_alu instid0(VALU_DEP_2) | instskip(NEXT) | instid1(VALU_DEP_2)
	v_dual_mov_b32 v139, v133 :: v_dual_mov_b32 v133, v134
	v_pk_fma_f32 v[136:137], v[134:135], v[118:119], v[136:137] op_sel_hi:[1,1,0] neg_lo:[0,0,1] neg_hi:[0,0,1]
	v_mul_f32_e32 v134, v135, v122
	s_delay_alu instid0(VALU_DEP_3) | instskip(NEXT) | instid1(VALU_DEP_2)
	v_pk_add_f32 v[74:75], v[74:75], v[138:139] neg_lo:[0,1] neg_hi:[0,1]
	v_pk_fma_f32 v[132:133], v[132:133], v[118:119], v[134:135] op_sel_hi:[1,1,0]
	s_delay_alu instid0(VALU_DEP_1) | instskip(SKIP_4) | instid1(VALU_DEP_1)
	v_mov_b32_e32 v137, v133
	ds_load_2addr_b64 v[132:135], v126 offset0:15 offset1:16
	v_pk_add_f32 v[76:77], v[76:77], v[136:137] neg_lo:[0,1] neg_hi:[0,1]
	s_wait_dscnt 0x0
	v_pk_mul_f32 v[136:137], v[132:133], v[124:125] op_sel:[0,1]
	v_pk_fma_f32 v[138:139], v[132:133], v[122:123], v[136:137] op_sel:[0,0,1] op_sel_hi:[1,1,0] neg_lo:[0,0,1] neg_hi:[0,0,1]
	v_pk_fma_f32 v[132:133], v[132:133], v[122:123], v[136:137] op_sel:[0,0,1] op_sel_hi:[1,0,0]
	s_delay_alu instid0(VALU_DEP_1) | instskip(SKIP_1) | instid1(VALU_DEP_1)
	v_mov_b32_e32 v139, v133
	v_pk_mul_f32 v[132:133], v[134:135], v[124:125] op_sel:[0,1]
	v_pk_fma_f32 v[136:137], v[134:135], v[122:123], v[132:133] op_sel:[0,0,1] op_sel_hi:[1,1,0] neg_lo:[0,0,1] neg_hi:[0,0,1]
	v_pk_fma_f32 v[132:133], v[134:135], v[122:123], v[132:133] op_sel:[0,0,1] op_sel_hi:[1,0,0]
	s_delay_alu instid0(VALU_DEP_1)
	v_mov_b32_e32 v137, v133
	ds_load_2addr_b64 v[132:135], v126 offset0:17 offset1:18
	v_pk_add_f32 v[72:73], v[72:73], v[138:139] neg_lo:[0,1] neg_hi:[0,1]
	v_pk_add_f32 v[104:105], v[104:105], v[136:137] neg_lo:[0,1] neg_hi:[0,1]
	s_wait_dscnt 0x0
	v_pk_mul_f32 v[136:137], v[132:133], v[124:125] op_sel:[0,1]
	s_delay_alu instid0(VALU_DEP_1) | instskip(SKIP_1) | instid1(VALU_DEP_1)
	v_pk_fma_f32 v[138:139], v[132:133], v[122:123], v[136:137] op_sel:[0,0,1] op_sel_hi:[1,1,0] neg_lo:[0,0,1] neg_hi:[0,0,1]
	v_pk_fma_f32 v[132:133], v[132:133], v[122:123], v[136:137] op_sel:[0,0,1] op_sel_hi:[1,0,0]
	v_mov_b32_e32 v139, v133
	v_pk_mul_f32 v[132:133], v[134:135], v[124:125] op_sel:[0,1]
	s_delay_alu instid0(VALU_DEP_1) | instskip(SKIP_1) | instid1(VALU_DEP_1)
	v_pk_fma_f32 v[136:137], v[134:135], v[122:123], v[132:133] op_sel:[0,0,1] op_sel_hi:[1,1,0] neg_lo:[0,0,1] neg_hi:[0,0,1]
	v_pk_fma_f32 v[132:133], v[134:135], v[122:123], v[132:133] op_sel:[0,0,1] op_sel_hi:[1,0,0]
	v_mov_b32_e32 v137, v133
	ds_load_2addr_b64 v[132:135], v126 offset0:19 offset1:20
	v_pk_add_f32 v[66:67], v[66:67], v[138:139] neg_lo:[0,1] neg_hi:[0,1]
	v_pk_add_f32 v[68:69], v[68:69], v[136:137] neg_lo:[0,1] neg_hi:[0,1]
	s_wait_dscnt 0x0
	v_dual_mul_f32 v136, v133, v125 :: v_dual_mul_f32 v138, v133, v122
	s_delay_alu instid0(VALU_DEP_1) | instskip(NEXT) | instid1(VALU_DEP_2)
	v_pk_fma_f32 v[136:137], v[132:133], v[118:119], v[136:137] op_sel_hi:[1,1,0] neg_lo:[0,0,1] neg_hi:[0,0,1]
	v_pk_fma_f32 v[132:133], v[132:133], v[118:119], v[138:139] op_sel:[1,0,0] op_sel_hi:[0,1,0]
	s_delay_alu instid0(VALU_DEP_1) | instskip(SKIP_1) | instid1(VALU_DEP_2)
	v_mov_b32_e32 v137, v133
	v_pk_mul_f32 v[132:133], v[134:135], v[124:125] op_sel:[0,1]
	v_pk_add_f32 v[64:65], v[64:65], v[136:137] neg_lo:[0,1] neg_hi:[0,1]
	s_delay_alu instid0(VALU_DEP_2) | instskip(SKIP_1) | instid1(VALU_DEP_1)
	v_pk_fma_f32 v[136:137], v[134:135], v[122:123], v[132:133] op_sel:[0,0,1] op_sel_hi:[1,1,0] neg_lo:[0,0,1] neg_hi:[0,0,1]
	v_pk_fma_f32 v[132:133], v[134:135], v[122:123], v[132:133] op_sel:[0,0,1] op_sel_hi:[1,0,0]
	v_mov_b32_e32 v137, v133
	ds_load_2addr_b64 v[132:135], v126 offset0:21 offset1:22
	v_pk_add_f32 v[102:103], v[102:103], v[136:137] neg_lo:[0,1] neg_hi:[0,1]
	s_wait_dscnt 0x0
	v_pk_mul_f32 v[136:137], v[132:133], v[124:125] op_sel:[0,1]
	s_delay_alu instid0(VALU_DEP_1) | instskip(SKIP_1) | instid1(VALU_DEP_1)
	v_pk_fma_f32 v[138:139], v[132:133], v[122:123], v[136:137] op_sel:[0,0,1] op_sel_hi:[1,1,0] neg_lo:[0,0,1] neg_hi:[0,0,1]
	v_pk_fma_f32 v[132:133], v[132:133], v[122:123], v[136:137] op_sel:[0,0,1] op_sel_hi:[1,0,0]
	v_mov_b32_e32 v139, v133
	v_pk_mul_f32 v[132:133], v[134:135], v[124:125] op_sel:[0,1]
	s_delay_alu instid0(VALU_DEP_2) | instskip(NEXT) | instid1(VALU_DEP_2)
	v_pk_add_f32 v[58:59], v[58:59], v[138:139] neg_lo:[0,1] neg_hi:[0,1]
	v_pk_fma_f32 v[136:137], v[134:135], v[122:123], v[132:133] op_sel:[0,0,1] op_sel_hi:[1,1,0] neg_lo:[0,0,1] neg_hi:[0,0,1]
	v_pk_fma_f32 v[132:133], v[134:135], v[122:123], v[132:133] op_sel:[0,0,1] op_sel_hi:[1,0,0]
	s_delay_alu instid0(VALU_DEP_1) | instskip(SKIP_4) | instid1(VALU_DEP_1)
	v_mov_b32_e32 v137, v133
	ds_load_2addr_b64 v[132:135], v126 offset0:23 offset1:24
	v_pk_add_f32 v[62:63], v[62:63], v[136:137] neg_lo:[0,1] neg_hi:[0,1]
	s_wait_dscnt 0x0
	v_pk_mul_f32 v[136:137], v[132:133], v[124:125] op_sel:[0,1]
	v_pk_fma_f32 v[138:139], v[132:133], v[122:123], v[136:137] op_sel:[0,0,1] op_sel_hi:[1,1,0] neg_lo:[0,0,1] neg_hi:[0,0,1]
	v_pk_fma_f32 v[132:133], v[132:133], v[122:123], v[136:137] op_sel:[0,0,1] op_sel_hi:[1,0,0]
	v_dual_mul_f32 v136, v135, v125 :: v_dual_mov_b32 v132, v135
	s_delay_alu instid0(VALU_DEP_2) | instskip(NEXT) | instid1(VALU_DEP_2)
	v_dual_mov_b32 v139, v133 :: v_dual_mov_b32 v133, v134
	v_pk_fma_f32 v[136:137], v[134:135], v[118:119], v[136:137] op_sel_hi:[1,1,0] neg_lo:[0,0,1] neg_hi:[0,0,1]
	v_mul_f32_e32 v134, v135, v122
	s_delay_alu instid0(VALU_DEP_3) | instskip(NEXT) | instid1(VALU_DEP_2)
	v_pk_add_f32 v[56:57], v[56:57], v[138:139] neg_lo:[0,1] neg_hi:[0,1]
	v_pk_fma_f32 v[132:133], v[132:133], v[118:119], v[134:135] op_sel_hi:[1,1,0]
	s_delay_alu instid0(VALU_DEP_1) | instskip(SKIP_4) | instid1(VALU_DEP_1)
	v_mov_b32_e32 v137, v133
	ds_load_2addr_b64 v[132:135], v126 offset0:25 offset1:26
	v_pk_add_f32 v[100:101], v[100:101], v[136:137] neg_lo:[0,1] neg_hi:[0,1]
	s_wait_dscnt 0x0
	v_pk_mul_f32 v[136:137], v[132:133], v[124:125] op_sel:[0,1]
	v_pk_fma_f32 v[138:139], v[132:133], v[122:123], v[136:137] op_sel:[0,0,1] op_sel_hi:[1,1,0] neg_lo:[0,0,1] neg_hi:[0,0,1]
	v_pk_fma_f32 v[132:133], v[132:133], v[122:123], v[136:137] op_sel:[0,0,1] op_sel_hi:[1,0,0]
	s_delay_alu instid0(VALU_DEP_1) | instskip(SKIP_1) | instid1(VALU_DEP_1)
	v_mov_b32_e32 v139, v133
	v_pk_mul_f32 v[132:133], v[134:135], v[124:125] op_sel:[0,1]
	v_pk_fma_f32 v[136:137], v[134:135], v[122:123], v[132:133] op_sel:[0,0,1] op_sel_hi:[1,1,0] neg_lo:[0,0,1] neg_hi:[0,0,1]
	v_pk_fma_f32 v[132:133], v[134:135], v[122:123], v[132:133] op_sel:[0,0,1] op_sel_hi:[1,0,0]
	s_delay_alu instid0(VALU_DEP_1)
	v_mov_b32_e32 v137, v133
	ds_load_2addr_b64 v[132:135], v126 offset0:27 offset1:28
	v_pk_add_f32 v[52:53], v[52:53], v[138:139] neg_lo:[0,1] neg_hi:[0,1]
	v_pk_add_f32 v[54:55], v[54:55], v[136:137] neg_lo:[0,1] neg_hi:[0,1]
	s_wait_dscnt 0x0
	v_pk_mul_f32 v[136:137], v[132:133], v[124:125] op_sel:[0,1]
	s_delay_alu instid0(VALU_DEP_1) | instskip(SKIP_1) | instid1(VALU_DEP_1)
	v_pk_fma_f32 v[138:139], v[132:133], v[122:123], v[136:137] op_sel:[0,0,1] op_sel_hi:[1,1,0] neg_lo:[0,0,1] neg_hi:[0,0,1]
	v_pk_fma_f32 v[132:133], v[132:133], v[122:123], v[136:137] op_sel:[0,0,1] op_sel_hi:[1,0,0]
	v_mov_b32_e32 v139, v133
	v_pk_mul_f32 v[132:133], v[134:135], v[124:125] op_sel:[0,1]
	s_delay_alu instid0(VALU_DEP_1) | instskip(SKIP_1) | instid1(VALU_DEP_1)
	v_pk_fma_f32 v[136:137], v[134:135], v[122:123], v[132:133] op_sel:[0,0,1] op_sel_hi:[1,1,0] neg_lo:[0,0,1] neg_hi:[0,0,1]
	v_pk_fma_f32 v[132:133], v[134:135], v[122:123], v[132:133] op_sel:[0,0,1] op_sel_hi:[1,0,0]
	v_mov_b32_e32 v137, v133
	ds_load_2addr_b64 v[132:135], v126 offset0:29 offset1:30
	v_pk_add_f32 v[50:51], v[50:51], v[138:139] neg_lo:[0,1] neg_hi:[0,1]
	v_pk_add_f32 v[96:97], v[96:97], v[136:137] neg_lo:[0,1] neg_hi:[0,1]
	s_wait_dscnt 0x0
	v_dual_mul_f32 v136, v133, v125 :: v_dual_mul_f32 v138, v133, v122
	s_delay_alu instid0(VALU_DEP_1) | instskip(NEXT) | instid1(VALU_DEP_2)
	v_pk_fma_f32 v[136:137], v[132:133], v[118:119], v[136:137] op_sel_hi:[1,1,0] neg_lo:[0,0,1] neg_hi:[0,0,1]
	v_pk_fma_f32 v[132:133], v[132:133], v[118:119], v[138:139] op_sel:[1,0,0] op_sel_hi:[0,1,0]
	s_delay_alu instid0(VALU_DEP_1) | instskip(SKIP_1) | instid1(VALU_DEP_2)
	v_mov_b32_e32 v137, v133
	v_pk_mul_f32 v[132:133], v[134:135], v[124:125] op_sel:[0,1]
	v_pk_add_f32 v[46:47], v[46:47], v[136:137] neg_lo:[0,1] neg_hi:[0,1]
	s_delay_alu instid0(VALU_DEP_2) | instskip(SKIP_1) | instid1(VALU_DEP_1)
	v_pk_fma_f32 v[136:137], v[134:135], v[122:123], v[132:133] op_sel:[0,0,1] op_sel_hi:[1,1,0] neg_lo:[0,0,1] neg_hi:[0,0,1]
	v_pk_fma_f32 v[132:133], v[134:135], v[122:123], v[132:133] op_sel:[0,0,1] op_sel_hi:[1,0,0]
	v_mov_b32_e32 v137, v133
	ds_load_2addr_b64 v[132:135], v126 offset0:31 offset1:32
	v_pk_add_f32 v[48:49], v[48:49], v[136:137] neg_lo:[0,1] neg_hi:[0,1]
	s_wait_dscnt 0x0
	v_pk_mul_f32 v[136:137], v[132:133], v[124:125] op_sel:[0,1]
	s_delay_alu instid0(VALU_DEP_1) | instskip(SKIP_1) | instid1(VALU_DEP_1)
	v_pk_fma_f32 v[138:139], v[132:133], v[122:123], v[136:137] op_sel:[0,0,1] op_sel_hi:[1,1,0] neg_lo:[0,0,1] neg_hi:[0,0,1]
	v_pk_fma_f32 v[132:133], v[132:133], v[122:123], v[136:137] op_sel:[0,0,1] op_sel_hi:[1,0,0]
	v_mov_b32_e32 v139, v133
	v_pk_mul_f32 v[132:133], v[134:135], v[124:125] op_sel:[0,1]
	s_delay_alu instid0(VALU_DEP_2) | instskip(NEXT) | instid1(VALU_DEP_2)
	v_pk_add_f32 v[44:45], v[44:45], v[138:139] neg_lo:[0,1] neg_hi:[0,1]
	v_pk_fma_f32 v[136:137], v[134:135], v[122:123], v[132:133] op_sel:[0,0,1] op_sel_hi:[1,1,0] neg_lo:[0,0,1] neg_hi:[0,0,1]
	v_pk_fma_f32 v[132:133], v[134:135], v[122:123], v[132:133] op_sel:[0,0,1] op_sel_hi:[1,0,0]
	s_delay_alu instid0(VALU_DEP_1) | instskip(SKIP_4) | instid1(VALU_DEP_1)
	v_mov_b32_e32 v137, v133
	ds_load_2addr_b64 v[132:135], v126 offset0:33 offset1:34
	v_pk_add_f32 v[94:95], v[94:95], v[136:137] neg_lo:[0,1] neg_hi:[0,1]
	s_wait_dscnt 0x0
	v_pk_mul_f32 v[136:137], v[132:133], v[124:125] op_sel:[0,1]
	v_pk_fma_f32 v[138:139], v[132:133], v[122:123], v[136:137] op_sel:[0,0,1] op_sel_hi:[1,1,0] neg_lo:[0,0,1] neg_hi:[0,0,1]
	v_pk_fma_f32 v[132:133], v[132:133], v[122:123], v[136:137] op_sel:[0,0,1] op_sel_hi:[1,0,0]
	v_dual_mul_f32 v136, v135, v125 :: v_dual_mov_b32 v132, v135
	s_delay_alu instid0(VALU_DEP_2) | instskip(NEXT) | instid1(VALU_DEP_2)
	v_dual_mov_b32 v139, v133 :: v_dual_mov_b32 v133, v134
	v_pk_fma_f32 v[136:137], v[134:135], v[118:119], v[136:137] op_sel_hi:[1,1,0] neg_lo:[0,0,1] neg_hi:[0,0,1]
	v_mul_f32_e32 v134, v135, v122
	s_delay_alu instid0(VALU_DEP_3) | instskip(NEXT) | instid1(VALU_DEP_2)
	v_pk_add_f32 v[38:39], v[38:39], v[138:139] neg_lo:[0,1] neg_hi:[0,1]
	v_pk_fma_f32 v[132:133], v[132:133], v[118:119], v[134:135] op_sel_hi:[1,1,0]
	s_delay_alu instid0(VALU_DEP_1) | instskip(SKIP_4) | instid1(VALU_DEP_1)
	v_mov_b32_e32 v137, v133
	ds_load_2addr_b64 v[132:135], v126 offset0:35 offset1:36
	v_pk_add_f32 v[40:41], v[40:41], v[136:137] neg_lo:[0,1] neg_hi:[0,1]
	s_wait_dscnt 0x0
	v_pk_mul_f32 v[136:137], v[132:133], v[124:125] op_sel:[0,1]
	v_pk_fma_f32 v[138:139], v[132:133], v[122:123], v[136:137] op_sel:[0,0,1] op_sel_hi:[1,1,0] neg_lo:[0,0,1] neg_hi:[0,0,1]
	v_pk_fma_f32 v[132:133], v[132:133], v[122:123], v[136:137] op_sel:[0,0,1] op_sel_hi:[1,0,0]
	s_delay_alu instid0(VALU_DEP_1) | instskip(SKIP_1) | instid1(VALU_DEP_1)
	v_mov_b32_e32 v139, v133
	v_pk_mul_f32 v[132:133], v[134:135], v[124:125] op_sel:[0,1]
	v_pk_fma_f32 v[136:137], v[134:135], v[122:123], v[132:133] op_sel:[0,0,1] op_sel_hi:[1,1,0] neg_lo:[0,0,1] neg_hi:[0,0,1]
	v_pk_fma_f32 v[132:133], v[134:135], v[122:123], v[132:133] op_sel:[0,0,1] op_sel_hi:[1,0,0]
	s_delay_alu instid0(VALU_DEP_1)
	v_mov_b32_e32 v137, v133
	ds_load_2addr_b64 v[132:135], v126 offset0:37 offset1:38
	v_pk_add_f32 v[36:37], v[36:37], v[138:139] neg_lo:[0,1] neg_hi:[0,1]
	v_pk_add_f32 v[92:93], v[92:93], v[136:137] neg_lo:[0,1] neg_hi:[0,1]
	s_wait_dscnt 0x0
	v_pk_mul_f32 v[136:137], v[132:133], v[124:125] op_sel:[0,1]
	s_delay_alu instid0(VALU_DEP_1) | instskip(SKIP_1) | instid1(VALU_DEP_1)
	v_pk_fma_f32 v[138:139], v[132:133], v[122:123], v[136:137] op_sel:[0,0,1] op_sel_hi:[1,1,0] neg_lo:[0,0,1] neg_hi:[0,0,1]
	v_pk_fma_f32 v[132:133], v[132:133], v[122:123], v[136:137] op_sel:[0,0,1] op_sel_hi:[1,0,0]
	v_mov_b32_e32 v139, v133
	v_pk_mul_f32 v[132:133], v[134:135], v[124:125] op_sel:[0,1]
	s_delay_alu instid0(VALU_DEP_1) | instskip(SKIP_1) | instid1(VALU_DEP_1)
	v_pk_fma_f32 v[136:137], v[134:135], v[122:123], v[132:133] op_sel:[0,0,1] op_sel_hi:[1,1,0] neg_lo:[0,0,1] neg_hi:[0,0,1]
	v_pk_fma_f32 v[132:133], v[134:135], v[122:123], v[132:133] op_sel:[0,0,1] op_sel_hi:[1,0,0]
	v_mov_b32_e32 v137, v133
	ds_load_2addr_b64 v[132:135], v126 offset0:39 offset1:40
	v_pk_add_f32 v[32:33], v[32:33], v[138:139] neg_lo:[0,1] neg_hi:[0,1]
	v_pk_add_f32 v[34:35], v[34:35], v[136:137] neg_lo:[0,1] neg_hi:[0,1]
	s_wait_dscnt 0x0
	v_dual_mul_f32 v136, v133, v125 :: v_dual_mul_f32 v138, v133, v122
	s_delay_alu instid0(VALU_DEP_1) | instskip(NEXT) | instid1(VALU_DEP_2)
	v_pk_fma_f32 v[136:137], v[132:133], v[118:119], v[136:137] op_sel_hi:[1,1,0] neg_lo:[0,0,1] neg_hi:[0,0,1]
	v_pk_fma_f32 v[132:133], v[132:133], v[118:119], v[138:139] op_sel:[1,0,0] op_sel_hi:[0,1,0]
	s_delay_alu instid0(VALU_DEP_1) | instskip(SKIP_1) | instid1(VALU_DEP_2)
	v_mov_b32_e32 v137, v133
	v_pk_mul_f32 v[132:133], v[134:135], v[124:125] op_sel:[0,1]
	v_pk_add_f32 v[30:31], v[30:31], v[136:137] neg_lo:[0,1] neg_hi:[0,1]
	s_delay_alu instid0(VALU_DEP_2) | instskip(SKIP_1) | instid1(VALU_DEP_1)
	v_pk_fma_f32 v[136:137], v[134:135], v[122:123], v[132:133] op_sel:[0,0,1] op_sel_hi:[1,1,0] neg_lo:[0,0,1] neg_hi:[0,0,1]
	v_pk_fma_f32 v[132:133], v[134:135], v[122:123], v[132:133] op_sel:[0,0,1] op_sel_hi:[1,0,0]
	v_mov_b32_e32 v137, v133
	ds_load_2addr_b64 v[132:135], v126 offset0:41 offset1:42
	v_pk_add_f32 v[90:91], v[90:91], v[136:137] neg_lo:[0,1] neg_hi:[0,1]
	s_wait_dscnt 0x0
	v_pk_mul_f32 v[136:137], v[132:133], v[124:125] op_sel:[0,1]
	s_delay_alu instid0(VALU_DEP_1) | instskip(SKIP_1) | instid1(VALU_DEP_1)
	v_pk_fma_f32 v[138:139], v[132:133], v[122:123], v[136:137] op_sel:[0,0,1] op_sel_hi:[1,1,0] neg_lo:[0,0,1] neg_hi:[0,0,1]
	v_pk_fma_f32 v[132:133], v[132:133], v[122:123], v[136:137] op_sel:[0,0,1] op_sel_hi:[1,0,0]
	v_mov_b32_e32 v139, v133
	v_pk_mul_f32 v[132:133], v[134:135], v[124:125] op_sel:[0,1]
	s_delay_alu instid0(VALU_DEP_2) | instskip(NEXT) | instid1(VALU_DEP_2)
	v_pk_add_f32 v[24:25], v[24:25], v[138:139] neg_lo:[0,1] neg_hi:[0,1]
	v_pk_fma_f32 v[136:137], v[134:135], v[122:123], v[132:133] op_sel:[0,0,1] op_sel_hi:[1,1,0] neg_lo:[0,0,1] neg_hi:[0,0,1]
	v_pk_fma_f32 v[132:133], v[134:135], v[122:123], v[132:133] op_sel:[0,0,1] op_sel_hi:[1,0,0]
	s_delay_alu instid0(VALU_DEP_1) | instskip(SKIP_4) | instid1(VALU_DEP_1)
	v_mov_b32_e32 v137, v133
	ds_load_2addr_b64 v[132:135], v126 offset0:43 offset1:44
	v_pk_add_f32 v[26:27], v[26:27], v[136:137] neg_lo:[0,1] neg_hi:[0,1]
	s_wait_dscnt 0x0
	v_pk_mul_f32 v[136:137], v[132:133], v[124:125] op_sel:[0,1]
	v_pk_fma_f32 v[138:139], v[132:133], v[122:123], v[136:137] op_sel:[0,0,1] op_sel_hi:[1,1,0] neg_lo:[0,0,1] neg_hi:[0,0,1]
	v_pk_fma_f32 v[132:133], v[132:133], v[122:123], v[136:137] op_sel:[0,0,1] op_sel_hi:[1,0,0]
	v_dual_mul_f32 v136, v135, v125 :: v_dual_mov_b32 v132, v135
	s_delay_alu instid0(VALU_DEP_2) | instskip(NEXT) | instid1(VALU_DEP_2)
	v_dual_mov_b32 v139, v133 :: v_dual_mov_b32 v133, v134
	v_pk_fma_f32 v[136:137], v[134:135], v[118:119], v[136:137] op_sel_hi:[1,1,0] neg_lo:[0,0,1] neg_hi:[0,0,1]
	v_mul_f32_e32 v134, v135, v122
	s_delay_alu instid0(VALU_DEP_3) | instskip(NEXT) | instid1(VALU_DEP_2)
	v_pk_add_f32 v[22:23], v[22:23], v[138:139] neg_lo:[0,1] neg_hi:[0,1]
	v_pk_fma_f32 v[132:133], v[132:133], v[118:119], v[134:135] op_sel_hi:[1,1,0]
	s_delay_alu instid0(VALU_DEP_1) | instskip(SKIP_4) | instid1(VALU_DEP_1)
	v_mov_b32_e32 v137, v133
	ds_load_2addr_b64 v[132:135], v126 offset0:45 offset1:46
	v_pk_add_f32 v[88:89], v[88:89], v[136:137] neg_lo:[0,1] neg_hi:[0,1]
	s_wait_dscnt 0x0
	v_pk_mul_f32 v[136:137], v[132:133], v[124:125] op_sel:[0,1]
	v_pk_fma_f32 v[138:139], v[132:133], v[122:123], v[136:137] op_sel:[0,0,1] op_sel_hi:[1,1,0] neg_lo:[0,0,1] neg_hi:[0,0,1]
	v_pk_fma_f32 v[132:133], v[132:133], v[122:123], v[136:137] op_sel:[0,0,1] op_sel_hi:[1,0,0]
	s_delay_alu instid0(VALU_DEP_1) | instskip(SKIP_1) | instid1(VALU_DEP_1)
	v_mov_b32_e32 v139, v133
	v_pk_mul_f32 v[132:133], v[134:135], v[124:125] op_sel:[0,1]
	v_pk_fma_f32 v[136:137], v[134:135], v[122:123], v[132:133] op_sel:[0,0,1] op_sel_hi:[1,1,0] neg_lo:[0,0,1] neg_hi:[0,0,1]
	v_pk_fma_f32 v[132:133], v[134:135], v[122:123], v[132:133] op_sel:[0,0,1] op_sel_hi:[1,0,0]
	s_delay_alu instid0(VALU_DEP_1)
	v_mov_b32_e32 v137, v133
	ds_load_2addr_b64 v[132:135], v126 offset0:47 offset1:48
	v_pk_add_f32 v[18:19], v[18:19], v[138:139] neg_lo:[0,1] neg_hi:[0,1]
	v_pk_add_f32 v[20:21], v[20:21], v[136:137] neg_lo:[0,1] neg_hi:[0,1]
	s_wait_dscnt 0x0
	v_pk_mul_f32 v[136:137], v[132:133], v[124:125] op_sel:[0,1]
	s_delay_alu instid0(VALU_DEP_1) | instskip(SKIP_1) | instid1(VALU_DEP_1)
	v_pk_fma_f32 v[138:139], v[132:133], v[122:123], v[136:137] op_sel:[0,0,1] op_sel_hi:[1,1,0] neg_lo:[0,0,1] neg_hi:[0,0,1]
	v_pk_fma_f32 v[132:133], v[132:133], v[122:123], v[136:137] op_sel:[0,0,1] op_sel_hi:[1,0,0]
	v_mov_b32_e32 v139, v133
	v_pk_mul_f32 v[132:133], v[134:135], v[124:125] op_sel:[0,1]
	s_delay_alu instid0(VALU_DEP_1) | instskip(SKIP_1) | instid1(VALU_DEP_1)
	v_pk_fma_f32 v[136:137], v[134:135], v[122:123], v[132:133] op_sel:[0,0,1] op_sel_hi:[1,1,0] neg_lo:[0,0,1] neg_hi:[0,0,1]
	v_pk_fma_f32 v[132:133], v[134:135], v[122:123], v[132:133] op_sel:[0,0,1] op_sel_hi:[1,0,0]
	v_mov_b32_e32 v137, v133
	ds_load_2addr_b64 v[132:135], v126 offset0:49 offset1:50
	v_pk_add_f32 v[16:17], v[16:17], v[138:139] neg_lo:[0,1] neg_hi:[0,1]
	v_pk_add_f32 v[84:85], v[84:85], v[136:137] neg_lo:[0,1] neg_hi:[0,1]
	s_wait_dscnt 0x0
	v_dual_mul_f32 v136, v133, v125 :: v_dual_mul_f32 v138, v133, v122
	s_delay_alu instid0(VALU_DEP_1) | instskip(NEXT) | instid1(VALU_DEP_2)
	v_pk_fma_f32 v[136:137], v[132:133], v[118:119], v[136:137] op_sel_hi:[1,1,0] neg_lo:[0,0,1] neg_hi:[0,0,1]
	v_pk_fma_f32 v[132:133], v[132:133], v[118:119], v[138:139] op_sel:[1,0,0] op_sel_hi:[0,1,0]
	s_delay_alu instid0(VALU_DEP_1) | instskip(SKIP_1) | instid1(VALU_DEP_2)
	v_mov_b32_e32 v137, v133
	v_pk_mul_f32 v[132:133], v[134:135], v[124:125] op_sel:[0,1]
	v_pk_add_f32 v[10:11], v[10:11], v[136:137] neg_lo:[0,1] neg_hi:[0,1]
	s_delay_alu instid0(VALU_DEP_2) | instskip(SKIP_1) | instid1(VALU_DEP_1)
	v_pk_fma_f32 v[136:137], v[134:135], v[122:123], v[132:133] op_sel:[0,0,1] op_sel_hi:[1,1,0] neg_lo:[0,0,1] neg_hi:[0,0,1]
	v_pk_fma_f32 v[132:133], v[134:135], v[122:123], v[132:133] op_sel:[0,0,1] op_sel_hi:[1,0,0]
	v_mov_b32_e32 v137, v133
	ds_load_2addr_b64 v[132:135], v126 offset0:51 offset1:52
	v_pk_add_f32 v[12:13], v[12:13], v[136:137] neg_lo:[0,1] neg_hi:[0,1]
	s_wait_dscnt 0x0
	v_pk_mul_f32 v[136:137], v[132:133], v[124:125] op_sel:[0,1]
	s_delay_alu instid0(VALU_DEP_1) | instskip(SKIP_1) | instid1(VALU_DEP_1)
	v_pk_fma_f32 v[138:139], v[132:133], v[122:123], v[136:137] op_sel:[0,0,1] op_sel_hi:[1,1,0] neg_lo:[0,0,1] neg_hi:[0,0,1]
	v_pk_fma_f32 v[132:133], v[132:133], v[122:123], v[136:137] op_sel:[0,0,1] op_sel_hi:[1,0,0]
	v_mov_b32_e32 v139, v133
	v_pk_mul_f32 v[132:133], v[134:135], v[124:125] op_sel:[0,1]
	s_delay_alu instid0(VALU_DEP_2) | instskip(NEXT) | instid1(VALU_DEP_2)
	v_pk_add_f32 v[8:9], v[8:9], v[138:139] neg_lo:[0,1] neg_hi:[0,1]
	v_pk_fma_f32 v[136:137], v[134:135], v[122:123], v[132:133] op_sel:[0,0,1] op_sel_hi:[1,1,0] neg_lo:[0,0,1] neg_hi:[0,0,1]
	v_pk_fma_f32 v[132:133], v[134:135], v[122:123], v[132:133] op_sel:[0,0,1] op_sel_hi:[1,0,0]
	s_delay_alu instid0(VALU_DEP_1) | instskip(SKIP_4) | instid1(VALU_DEP_1)
	v_mov_b32_e32 v137, v133
	ds_load_2addr_b64 v[132:135], v126 offset0:53 offset1:54
	v_pk_add_f32 v[60:61], v[60:61], v[136:137] neg_lo:[0,1] neg_hi:[0,1]
	s_wait_dscnt 0x0
	v_pk_mul_f32 v[136:137], v[132:133], v[124:125] op_sel:[0,1]
	v_pk_fma_f32 v[138:139], v[132:133], v[122:123], v[136:137] op_sel:[0,0,1] op_sel_hi:[1,1,0] neg_lo:[0,0,1] neg_hi:[0,0,1]
	v_pk_fma_f32 v[132:133], v[132:133], v[122:123], v[136:137] op_sel:[0,0,1] op_sel_hi:[1,0,0]
	v_dual_mul_f32 v136, v135, v125 :: v_dual_mov_b32 v132, v135
	s_delay_alu instid0(VALU_DEP_2) | instskip(NEXT) | instid1(VALU_DEP_2)
	v_dual_mov_b32 v139, v133 :: v_dual_mov_b32 v133, v134
	v_pk_fma_f32 v[136:137], v[134:135], v[118:119], v[136:137] op_sel_hi:[1,1,0] neg_lo:[0,0,1] neg_hi:[0,0,1]
	v_mul_f32_e32 v134, v135, v122
	s_delay_alu instid0(VALU_DEP_3) | instskip(NEXT) | instid1(VALU_DEP_2)
	v_pk_add_f32 v[6:7], v[6:7], v[138:139] neg_lo:[0,1] neg_hi:[0,1]
	v_pk_fma_f32 v[132:133], v[132:133], v[118:119], v[134:135] op_sel_hi:[1,1,0]
	s_delay_alu instid0(VALU_DEP_1) | instskip(SKIP_4) | instid1(VALU_DEP_1)
	v_mov_b32_e32 v137, v133
	ds_load_2addr_b64 v[132:135], v126 offset0:55 offset1:56
	v_pk_add_f32 v[42:43], v[42:43], v[136:137] neg_lo:[0,1] neg_hi:[0,1]
	s_wait_dscnt 0x0
	v_pk_mul_f32 v[136:137], v[132:133], v[124:125] op_sel:[0,1]
	v_pk_fma_f32 v[138:139], v[132:133], v[122:123], v[136:137] op_sel:[0,0,1] op_sel_hi:[1,1,0] neg_lo:[0,0,1] neg_hi:[0,0,1]
	v_pk_fma_f32 v[132:133], v[132:133], v[122:123], v[136:137] op_sel:[0,0,1] op_sel_hi:[1,0,0]
	s_delay_alu instid0(VALU_DEP_1) | instskip(SKIP_1) | instid1(VALU_DEP_1)
	v_mov_b32_e32 v139, v133
	v_pk_mul_f32 v[132:133], v[134:135], v[124:125] op_sel:[0,1]
	v_pk_fma_f32 v[136:137], v[134:135], v[122:123], v[132:133] op_sel:[0,0,1] op_sel_hi:[1,1,0] neg_lo:[0,0,1] neg_hi:[0,0,1]
	v_pk_fma_f32 v[132:133], v[134:135], v[122:123], v[132:133] op_sel:[0,0,1] op_sel_hi:[1,0,0]
	s_delay_alu instid0(VALU_DEP_1)
	v_mov_b32_e32 v137, v133
	ds_load_b64 v[132:133], v126 offset:456
	v_pk_add_f32 v[28:29], v[28:29], v[138:139] neg_lo:[0,1] neg_hi:[0,1]
	v_pk_add_f32 v[14:15], v[14:15], v[136:137] neg_lo:[0,1] neg_hi:[0,1]
	s_wait_dscnt 0x0
	v_pk_mul_f32 v[124:125], v[132:133], v[124:125] op_sel:[0,1]
	s_delay_alu instid0(VALU_DEP_1) | instskip(SKIP_1) | instid1(VALU_DEP_1)
	v_pk_fma_f32 v[134:135], v[132:133], v[122:123], v[124:125] op_sel:[0,0,1] op_sel_hi:[1,1,0] neg_lo:[0,0,1] neg_hi:[0,0,1]
	v_pk_fma_f32 v[122:123], v[132:133], v[122:123], v[124:125] op_sel:[0,0,1] op_sel_hi:[1,0,0]
	v_mov_b32_e32 v135, v123
	s_delay_alu instid0(VALU_DEP_1)
	v_pk_add_f32 v[120:121], v[120:121], v[134:135] neg_lo:[0,1] neg_hi:[0,1]
.LBB114_22:
	s_or_b32 exec_lo, exec_lo, s0
	v_lshl_add_u32 v122, v130, 3, v126
	s_barrier_signal -1
	s_barrier_wait -1
	ds_store_b64 v122, v[116:117]
	s_wait_dscnt 0x0
	s_barrier_signal -1
	s_barrier_wait -1
	ds_load_b64 v[124:125], v126 offset:8
	v_mov_b32_e32 v122, 1
	s_cmp_lt_i32 s18, 3
	s_cbranch_scc1 .LBB114_25
; %bb.23:
	v_add3_u32 v123, v127, 0, 16
	v_mov_b32_e32 v122, 1
	s_mov_b32 s0, 2
.LBB114_24:                             ; =>This Inner Loop Header: Depth=1
	ds_load_b64 v[132:133], v123
	s_wait_dscnt 0x1
	v_cmp_gt_f32_e32 vcc_lo, 0, v124
	v_cndmask_b32_e64 v134, v124, -v124, vcc_lo
	v_cmp_gt_f32_e32 vcc_lo, 0, v125
	v_cndmask_b32_e64 v136, v125, -v125, vcc_lo
	s_wait_dscnt 0x0
	v_cmp_gt_f32_e32 vcc_lo, 0, v132
	v_cndmask_b32_e64 v135, v132, -v132, vcc_lo
	v_cmp_gt_f32_e32 vcc_lo, 0, v133
	v_cndmask_b32_e64 v137, v133, -v133, vcc_lo
	s_delay_alu instid0(VALU_DEP_1) | instskip(NEXT) | instid1(VALU_DEP_1)
	v_pk_add_f32 v[134:135], v[134:135], v[136:137]
	v_cmp_lt_f32_e32 vcc_lo, v134, v135
	v_dual_add_nc_u32 v123, 8, v123 :: v_dual_cndmask_b32 v125, v125, v133, vcc_lo
	v_cndmask_b32_e32 v124, v124, v132, vcc_lo
	v_cndmask_b32_e64 v122, v122, s0, vcc_lo
	s_add_co_i32 s0, s0, 1
	s_delay_alu instid0(SALU_CYCLE_1)
	s_cmp_lg_u32 s18, s0
	s_cbranch_scc1 .LBB114_24
.LBB114_25:
	s_wait_dscnt 0x0
	v_cmp_neq_f32_e32 vcc_lo, 0, v124
	v_cmp_neq_f32_e64 s0, 0, v125
	s_or_b32 s1, vcc_lo, s0
	s_delay_alu instid0(SALU_CYCLE_1)
	s_and_saveexec_b32 s0, s1
	s_cbranch_execz .LBB114_31
; %bb.26:
	v_cmp_ngt_f32_e64 s1, |v124|, |v125|
	s_and_saveexec_b32 s12, s1
	s_delay_alu instid0(SALU_CYCLE_1)
	s_xor_b32 s1, exec_lo, s12
	s_cbranch_execz .LBB114_28
; %bb.27:
	v_div_scale_f32 v123, null, v125, v125, v124
	v_div_scale_f32 v133, vcc_lo, v124, v125, v124
	s_delay_alu instid0(VALU_DEP_2) | instskip(SKIP_1) | instid1(TRANS32_DEP_1)
	v_rcp_f32_e32 v128, v123
	v_nop
	v_fma_f32 v132, -v123, v128, 1.0
	s_delay_alu instid0(VALU_DEP_1) | instskip(NEXT) | instid1(VALU_DEP_1)
	v_fmac_f32_e32 v128, v132, v128
	v_mul_f32_e32 v132, v133, v128
	s_delay_alu instid0(VALU_DEP_1) | instskip(NEXT) | instid1(VALU_DEP_1)
	v_fma_f32 v134, -v123, v132, v133
	v_fmac_f32_e32 v132, v134, v128
	s_delay_alu instid0(VALU_DEP_1) | instskip(NEXT) | instid1(VALU_DEP_1)
	v_fma_f32 v123, -v123, v132, v133
	v_div_fmas_f32 v123, v123, v128, v132
	s_delay_alu instid0(VALU_DEP_1) | instskip(NEXT) | instid1(VALU_DEP_1)
	v_div_fixup_f32 v123, v123, v125, v124
	v_fmac_f32_e32 v125, v124, v123
	s_delay_alu instid0(VALU_DEP_1) | instskip(SKIP_1) | instid1(VALU_DEP_2)
	v_div_scale_f32 v124, null, v125, v125, 1.0
	v_div_scale_f32 v133, vcc_lo, 1.0, v125, 1.0
	v_rcp_f32_e32 v128, v124
	v_nop
	s_delay_alu instid0(TRANS32_DEP_1) | instskip(NEXT) | instid1(VALU_DEP_1)
	v_fma_f32 v132, -v124, v128, 1.0
	v_fmac_f32_e32 v128, v132, v128
	s_delay_alu instid0(VALU_DEP_1) | instskip(NEXT) | instid1(VALU_DEP_1)
	v_mul_f32_e32 v132, v133, v128
	v_fma_f32 v134, -v124, v132, v133
	s_delay_alu instid0(VALU_DEP_1) | instskip(NEXT) | instid1(VALU_DEP_1)
	v_fmac_f32_e32 v132, v134, v128
	v_fma_f32 v124, -v124, v132, v133
	s_delay_alu instid0(VALU_DEP_1) | instskip(NEXT) | instid1(VALU_DEP_1)
	v_div_fmas_f32 v124, v124, v128, v132
	v_div_fixup_f32 v125, v124, v125, 1.0
	s_delay_alu instid0(VALU_DEP_1)
	v_mul_f32_e32 v124, v123, v125
	v_xor_b32_e32 v125, 0x80000000, v125
.LBB114_28:
	s_and_not1_saveexec_b32 s1, s1
	s_cbranch_execz .LBB114_30
; %bb.29:
	s_delay_alu instid0(VALU_DEP_1) | instskip(SKIP_1) | instid1(VALU_DEP_2)
	v_div_scale_f32 v123, null, v124, v124, v125
	v_div_scale_f32 v133, vcc_lo, v125, v124, v125
	v_rcp_f32_e32 v128, v123
	v_nop
	s_delay_alu instid0(TRANS32_DEP_1) | instskip(NEXT) | instid1(VALU_DEP_1)
	v_fma_f32 v132, -v123, v128, 1.0
	v_fmac_f32_e32 v128, v132, v128
	s_delay_alu instid0(VALU_DEP_1) | instskip(NEXT) | instid1(VALU_DEP_1)
	v_mul_f32_e32 v132, v133, v128
	v_fma_f32 v134, -v123, v132, v133
	s_delay_alu instid0(VALU_DEP_1) | instskip(NEXT) | instid1(VALU_DEP_1)
	v_fmac_f32_e32 v132, v134, v128
	v_fma_f32 v123, -v123, v132, v133
	s_delay_alu instid0(VALU_DEP_1) | instskip(NEXT) | instid1(VALU_DEP_1)
	v_div_fmas_f32 v123, v123, v128, v132
	v_div_fixup_f32 v123, v123, v124, v125
	s_delay_alu instid0(VALU_DEP_1) | instskip(NEXT) | instid1(VALU_DEP_1)
	v_fmac_f32_e32 v124, v125, v123
	v_div_scale_f32 v125, null, v124, v124, 1.0
	s_delay_alu instid0(VALU_DEP_1) | instskip(SKIP_1) | instid1(TRANS32_DEP_1)
	v_rcp_f32_e32 v128, v125
	v_nop
	v_fma_f32 v132, -v125, v128, 1.0
	s_delay_alu instid0(VALU_DEP_1) | instskip(SKIP_1) | instid1(VALU_DEP_1)
	v_fmac_f32_e32 v128, v132, v128
	v_div_scale_f32 v132, vcc_lo, 1.0, v124, 1.0
	v_mul_f32_e32 v133, v132, v128
	s_delay_alu instid0(VALU_DEP_1) | instskip(NEXT) | instid1(VALU_DEP_1)
	v_fma_f32 v134, -v125, v133, v132
	v_fmac_f32_e32 v133, v134, v128
	s_delay_alu instid0(VALU_DEP_1) | instskip(NEXT) | instid1(VALU_DEP_1)
	v_fma_f32 v125, -v125, v133, v132
	v_div_fmas_f32 v125, v125, v128, v133
	s_delay_alu instid0(VALU_DEP_1) | instskip(NEXT) | instid1(VALU_DEP_1)
	v_div_fixup_f32 v124, v125, v124, 1.0
	v_mul_f32_e64 v125, v123, -v124
.LBB114_30:
	s_or_b32 exec_lo, exec_lo, s1
	v_mov_b32_e32 v128, v131
.LBB114_31:
	s_or_b32 exec_lo, exec_lo, s0
	s_delay_alu instid0(SALU_CYCLE_1)
	s_mov_b32 s0, exec_lo
	v_cmpx_ne_u32_e64 v130, v122
	s_xor_b32 s0, exec_lo, s0
	s_cbranch_execz .LBB114_37
; %bb.32:
	s_mov_b32 s1, exec_lo
	v_cmpx_eq_u32_e32 1, v130
	s_cbranch_execz .LBB114_36
; %bb.33:
	v_cmp_ne_u32_e32 vcc_lo, 1, v122
	s_xor_b32 s12, s16, -1
	s_delay_alu instid0(SALU_CYCLE_1) | instskip(NEXT) | instid1(SALU_CYCLE_1)
	s_and_b32 s13, s12, vcc_lo
	s_and_saveexec_b32 s12, s13
	s_cbranch_execz .LBB114_35
; %bb.34:
	v_ashrrev_i32_e32 v123, 31, v122
	s_delay_alu instid0(VALU_DEP_1)
	v_lshl_add_u64 v[130:131], v[122:123], 2, v[4:5]
	s_clause 0x1
	global_load_b32 v123, v[130:131], off
	global_load_b32 v129, v[4:5], off offset:4
	s_wait_loadcnt 0x1
	global_store_b32 v[4:5], v123, off offset:4
	s_wait_loadcnt 0x0
	global_store_b32 v[130:131], v129, off
.LBB114_35:
	s_wait_xcnt 0x0
	s_or_b32 exec_lo, exec_lo, s12
	v_dual_mov_b32 v130, v122 :: v_dual_mov_b32 v129, v122
.LBB114_36:
	s_or_b32 exec_lo, exec_lo, s1
.LBB114_37:
	s_and_not1_saveexec_b32 s0, s0
	s_cbranch_execz .LBB114_39
; %bb.38:
	v_dual_mov_b32 v122, v114 :: v_dual_mov_b32 v123, v115
	v_dual_mov_b32 v130, v112 :: v_dual_mov_b32 v131, v113
	ds_store_2addr_b64 v126, v[122:123], v[130:131] offset0:2 offset1:3
	v_dual_mov_b32 v122, v110 :: v_dual_mov_b32 v123, v111
	v_dual_mov_b32 v130, v98 :: v_dual_mov_b32 v131, v99
	ds_store_2addr_b64 v126, v[122:123], v[130:131] offset0:4 offset1:5
	;; [unrolled: 3-line block ×27, first 2 shown]
	v_dual_mov_b32 v122, v14 :: v_dual_mov_b32 v123, v15
	v_mov_b32_e32 v130, 1
	ds_store_2addr_b64 v126, v[122:123], v[120:121] offset0:56 offset1:57
.LBB114_39:
	s_or_b32 exec_lo, exec_lo, s0
	s_delay_alu instid0(SALU_CYCLE_1)
	s_mov_b32 s0, exec_lo
	s_wait_storecnt_dscnt 0x0
	s_barrier_signal -1
	s_barrier_wait -1
	v_cmpx_lt_i32_e32 1, v130
	s_cbranch_execz .LBB114_41
; %bb.40:
	v_pk_mul_f32 v[132:133], v[124:125], v[116:117] op_sel:[1,1] op_sel_hi:[0,1]
	s_delay_alu instid0(VALU_DEP_1)
	v_pk_fma_f32 v[122:123], v[124:125], v[116:117], v[132:133] op_sel_hi:[1,0,1] neg_lo:[0,0,1] neg_hi:[0,0,1]
	v_pk_fma_f32 v[124:125], v[124:125], v[116:117], v[132:133] op_sel_hi:[1,0,1]
	ds_load_2addr_b64 v[132:135], v126 offset0:2 offset1:3
	v_dual_mov_b32 v116, v122 :: v_dual_mov_b32 v117, v125
	s_wait_dscnt 0x0
	v_pk_mul_f32 v[136:137], v[132:133], v[124:125] op_sel:[0,1]
	s_delay_alu instid0(VALU_DEP_1) | instskip(SKIP_1) | instid1(VALU_DEP_1)
	v_pk_fma_f32 v[138:139], v[132:133], v[122:123], v[136:137] op_sel:[0,0,1] op_sel_hi:[1,1,0] neg_lo:[0,0,1] neg_hi:[0,0,1]
	v_pk_fma_f32 v[132:133], v[132:133], v[122:123], v[136:137] op_sel:[0,0,1] op_sel_hi:[1,0,0]
	v_mov_b32_e32 v139, v133
	v_pk_mul_f32 v[132:133], v[134:135], v[124:125] op_sel:[0,1]
	s_delay_alu instid0(VALU_DEP_1) | instskip(SKIP_1) | instid1(VALU_DEP_1)
	v_pk_fma_f32 v[136:137], v[134:135], v[122:123], v[132:133] op_sel:[0,0,1] op_sel_hi:[1,1,0] neg_lo:[0,0,1] neg_hi:[0,0,1]
	v_pk_fma_f32 v[132:133], v[134:135], v[122:123], v[132:133] op_sel:[0,0,1] op_sel_hi:[1,0,0]
	v_mov_b32_e32 v137, v133
	ds_load_2addr_b64 v[132:135], v126 offset0:4 offset1:5
	v_pk_add_f32 v[114:115], v[114:115], v[138:139] neg_lo:[0,1] neg_hi:[0,1]
	v_pk_add_f32 v[112:113], v[112:113], v[136:137] neg_lo:[0,1] neg_hi:[0,1]
	s_wait_dscnt 0x0
	v_pk_mul_f32 v[136:137], v[132:133], v[124:125] op_sel:[0,1]
	s_delay_alu instid0(VALU_DEP_1) | instskip(SKIP_2) | instid1(VALU_DEP_2)
	v_pk_fma_f32 v[138:139], v[132:133], v[122:123], v[136:137] op_sel:[0,0,1] op_sel_hi:[1,1,0] neg_lo:[0,0,1] neg_hi:[0,0,1]
	v_pk_fma_f32 v[132:133], v[132:133], v[122:123], v[136:137] op_sel:[0,0,1] op_sel_hi:[1,0,0]
	v_dual_mul_f32 v136, v135, v125 :: v_dual_mov_b32 v132, v135
	v_dual_mov_b32 v139, v133 :: v_dual_mov_b32 v133, v134
	s_delay_alu instid0(VALU_DEP_2) | instskip(SKIP_1) | instid1(VALU_DEP_3)
	v_pk_fma_f32 v[136:137], v[134:135], v[116:117], v[136:137] op_sel_hi:[1,1,0] neg_lo:[0,0,1] neg_hi:[0,0,1]
	v_mul_f32_e32 v134, v135, v122
	v_pk_add_f32 v[110:111], v[110:111], v[138:139] neg_lo:[0,1] neg_hi:[0,1]
	s_delay_alu instid0(VALU_DEP_2) | instskip(NEXT) | instid1(VALU_DEP_1)
	v_pk_fma_f32 v[132:133], v[132:133], v[116:117], v[134:135] op_sel_hi:[1,1,0]
	v_mov_b32_e32 v137, v133
	ds_load_2addr_b64 v[132:135], v126 offset0:6 offset1:7
	v_pk_add_f32 v[98:99], v[98:99], v[136:137] neg_lo:[0,1] neg_hi:[0,1]
	s_wait_dscnt 0x0
	v_pk_mul_f32 v[136:137], v[132:133], v[124:125] op_sel:[0,1]
	s_delay_alu instid0(VALU_DEP_1) | instskip(SKIP_1) | instid1(VALU_DEP_1)
	v_pk_fma_f32 v[138:139], v[132:133], v[122:123], v[136:137] op_sel:[0,0,1] op_sel_hi:[1,1,0] neg_lo:[0,0,1] neg_hi:[0,0,1]
	v_pk_fma_f32 v[132:133], v[132:133], v[122:123], v[136:137] op_sel:[0,0,1] op_sel_hi:[1,0,0]
	v_mov_b32_e32 v139, v133
	v_pk_mul_f32 v[132:133], v[134:135], v[124:125] op_sel:[0,1]
	s_delay_alu instid0(VALU_DEP_1) | instskip(SKIP_1) | instid1(VALU_DEP_1)
	v_pk_fma_f32 v[136:137], v[134:135], v[122:123], v[132:133] op_sel:[0,0,1] op_sel_hi:[1,1,0] neg_lo:[0,0,1] neg_hi:[0,0,1]
	v_pk_fma_f32 v[132:133], v[134:135], v[122:123], v[132:133] op_sel:[0,0,1] op_sel_hi:[1,0,0]
	v_mov_b32_e32 v137, v133
	ds_load_2addr_b64 v[132:135], v126 offset0:8 offset1:9
	v_pk_add_f32 v[86:87], v[86:87], v[138:139] neg_lo:[0,1] neg_hi:[0,1]
	v_pk_add_f32 v[70:71], v[70:71], v[136:137] neg_lo:[0,1] neg_hi:[0,1]
	s_wait_dscnt 0x0
	v_pk_mul_f32 v[136:137], v[132:133], v[124:125] op_sel:[0,1]
	s_delay_alu instid0(VALU_DEP_1) | instskip(SKIP_1) | instid1(VALU_DEP_1)
	v_pk_fma_f32 v[138:139], v[132:133], v[122:123], v[136:137] op_sel:[0,0,1] op_sel_hi:[1,1,0] neg_lo:[0,0,1] neg_hi:[0,0,1]
	v_pk_fma_f32 v[132:133], v[132:133], v[122:123], v[136:137] op_sel:[0,0,1] op_sel_hi:[1,0,0]
	v_mov_b32_e32 v139, v133
	v_pk_mul_f32 v[132:133], v[134:135], v[124:125] op_sel:[0,1]
	s_delay_alu instid0(VALU_DEP_1) | instskip(SKIP_1) | instid1(VALU_DEP_1)
	v_pk_fma_f32 v[136:137], v[134:135], v[122:123], v[132:133] op_sel:[0,0,1] op_sel_hi:[1,1,0] neg_lo:[0,0,1] neg_hi:[0,0,1]
	v_pk_fma_f32 v[132:133], v[134:135], v[122:123], v[132:133] op_sel:[0,0,1] op_sel_hi:[1,0,0]
	v_mov_b32_e32 v137, v133
	ds_load_2addr_b64 v[132:135], v126 offset0:10 offset1:11
	v_pk_add_f32 v[108:109], v[108:109], v[138:139] neg_lo:[0,1] neg_hi:[0,1]
	v_pk_add_f32 v[80:81], v[80:81], v[136:137] neg_lo:[0,1] neg_hi:[0,1]
	s_wait_dscnt 0x0
	v_dual_mul_f32 v136, v133, v125 :: v_dual_mul_f32 v138, v133, v122
	s_delay_alu instid0(VALU_DEP_1) | instskip(NEXT) | instid1(VALU_DEP_2)
	v_pk_fma_f32 v[136:137], v[132:133], v[116:117], v[136:137] op_sel_hi:[1,1,0] neg_lo:[0,0,1] neg_hi:[0,0,1]
	v_pk_fma_f32 v[132:133], v[132:133], v[116:117], v[138:139] op_sel:[1,0,0] op_sel_hi:[0,1,0]
	s_delay_alu instid0(VALU_DEP_1) | instskip(SKIP_1) | instid1(VALU_DEP_2)
	v_mov_b32_e32 v137, v133
	v_pk_mul_f32 v[132:133], v[134:135], v[124:125] op_sel:[0,1]
	v_pk_add_f32 v[82:83], v[82:83], v[136:137] neg_lo:[0,1] neg_hi:[0,1]
	s_delay_alu instid0(VALU_DEP_2) | instskip(SKIP_1) | instid1(VALU_DEP_1)
	v_pk_fma_f32 v[136:137], v[134:135], v[122:123], v[132:133] op_sel:[0,0,1] op_sel_hi:[1,1,0] neg_lo:[0,0,1] neg_hi:[0,0,1]
	v_pk_fma_f32 v[132:133], v[134:135], v[122:123], v[132:133] op_sel:[0,0,1] op_sel_hi:[1,0,0]
	v_mov_b32_e32 v137, v133
	ds_load_2addr_b64 v[132:135], v126 offset0:12 offset1:13
	v_pk_add_f32 v[78:79], v[78:79], v[136:137] neg_lo:[0,1] neg_hi:[0,1]
	s_wait_dscnt 0x0
	v_pk_mul_f32 v[136:137], v[132:133], v[124:125] op_sel:[0,1]
	s_delay_alu instid0(VALU_DEP_1) | instskip(SKIP_1) | instid1(VALU_DEP_1)
	v_pk_fma_f32 v[138:139], v[132:133], v[122:123], v[136:137] op_sel:[0,0,1] op_sel_hi:[1,1,0] neg_lo:[0,0,1] neg_hi:[0,0,1]
	v_pk_fma_f32 v[132:133], v[132:133], v[122:123], v[136:137] op_sel:[0,0,1] op_sel_hi:[1,0,0]
	v_mov_b32_e32 v139, v133
	v_pk_mul_f32 v[132:133], v[134:135], v[124:125] op_sel:[0,1]
	s_delay_alu instid0(VALU_DEP_2) | instskip(NEXT) | instid1(VALU_DEP_2)
	v_pk_add_f32 v[106:107], v[106:107], v[138:139] neg_lo:[0,1] neg_hi:[0,1]
	v_pk_fma_f32 v[136:137], v[134:135], v[122:123], v[132:133] op_sel:[0,0,1] op_sel_hi:[1,1,0] neg_lo:[0,0,1] neg_hi:[0,0,1]
	v_pk_fma_f32 v[132:133], v[134:135], v[122:123], v[132:133] op_sel:[0,0,1] op_sel_hi:[1,0,0]
	s_delay_alu instid0(VALU_DEP_1) | instskip(SKIP_4) | instid1(VALU_DEP_1)
	v_mov_b32_e32 v137, v133
	ds_load_2addr_b64 v[132:135], v126 offset0:14 offset1:15
	v_pk_add_f32 v[74:75], v[74:75], v[136:137] neg_lo:[0,1] neg_hi:[0,1]
	s_wait_dscnt 0x0
	v_pk_mul_f32 v[136:137], v[132:133], v[124:125] op_sel:[0,1]
	v_pk_fma_f32 v[138:139], v[132:133], v[122:123], v[136:137] op_sel:[0,0,1] op_sel_hi:[1,1,0] neg_lo:[0,0,1] neg_hi:[0,0,1]
	v_pk_fma_f32 v[132:133], v[132:133], v[122:123], v[136:137] op_sel:[0,0,1] op_sel_hi:[1,0,0]
	v_dual_mul_f32 v136, v135, v125 :: v_dual_mov_b32 v132, v135
	s_delay_alu instid0(VALU_DEP_2) | instskip(NEXT) | instid1(VALU_DEP_2)
	v_dual_mov_b32 v139, v133 :: v_dual_mov_b32 v133, v134
	v_pk_fma_f32 v[136:137], v[134:135], v[116:117], v[136:137] op_sel_hi:[1,1,0] neg_lo:[0,0,1] neg_hi:[0,0,1]
	v_mul_f32_e32 v134, v135, v122
	s_delay_alu instid0(VALU_DEP_3) | instskip(NEXT) | instid1(VALU_DEP_2)
	v_pk_add_f32 v[76:77], v[76:77], v[138:139] neg_lo:[0,1] neg_hi:[0,1]
	v_pk_fma_f32 v[132:133], v[132:133], v[116:117], v[134:135] op_sel_hi:[1,1,0]
	s_delay_alu instid0(VALU_DEP_1) | instskip(SKIP_4) | instid1(VALU_DEP_1)
	v_mov_b32_e32 v137, v133
	ds_load_2addr_b64 v[132:135], v126 offset0:16 offset1:17
	v_pk_add_f32 v[72:73], v[72:73], v[136:137] neg_lo:[0,1] neg_hi:[0,1]
	s_wait_dscnt 0x0
	v_pk_mul_f32 v[136:137], v[132:133], v[124:125] op_sel:[0,1]
	v_pk_fma_f32 v[138:139], v[132:133], v[122:123], v[136:137] op_sel:[0,0,1] op_sel_hi:[1,1,0] neg_lo:[0,0,1] neg_hi:[0,0,1]
	v_pk_fma_f32 v[132:133], v[132:133], v[122:123], v[136:137] op_sel:[0,0,1] op_sel_hi:[1,0,0]
	s_delay_alu instid0(VALU_DEP_1) | instskip(SKIP_1) | instid1(VALU_DEP_1)
	v_mov_b32_e32 v139, v133
	v_pk_mul_f32 v[132:133], v[134:135], v[124:125] op_sel:[0,1]
	v_pk_fma_f32 v[136:137], v[134:135], v[122:123], v[132:133] op_sel:[0,0,1] op_sel_hi:[1,1,0] neg_lo:[0,0,1] neg_hi:[0,0,1]
	v_pk_fma_f32 v[132:133], v[134:135], v[122:123], v[132:133] op_sel:[0,0,1] op_sel_hi:[1,0,0]
	s_delay_alu instid0(VALU_DEP_1)
	v_mov_b32_e32 v137, v133
	ds_load_2addr_b64 v[132:135], v126 offset0:18 offset1:19
	v_pk_add_f32 v[104:105], v[104:105], v[138:139] neg_lo:[0,1] neg_hi:[0,1]
	v_pk_add_f32 v[66:67], v[66:67], v[136:137] neg_lo:[0,1] neg_hi:[0,1]
	s_wait_dscnt 0x0
	v_pk_mul_f32 v[136:137], v[132:133], v[124:125] op_sel:[0,1]
	s_delay_alu instid0(VALU_DEP_1) | instskip(SKIP_1) | instid1(VALU_DEP_1)
	v_pk_fma_f32 v[138:139], v[132:133], v[122:123], v[136:137] op_sel:[0,0,1] op_sel_hi:[1,1,0] neg_lo:[0,0,1] neg_hi:[0,0,1]
	v_pk_fma_f32 v[132:133], v[132:133], v[122:123], v[136:137] op_sel:[0,0,1] op_sel_hi:[1,0,0]
	v_mov_b32_e32 v139, v133
	v_pk_mul_f32 v[132:133], v[134:135], v[124:125] op_sel:[0,1]
	s_delay_alu instid0(VALU_DEP_1) | instskip(SKIP_1) | instid1(VALU_DEP_1)
	v_pk_fma_f32 v[136:137], v[134:135], v[122:123], v[132:133] op_sel:[0,0,1] op_sel_hi:[1,1,0] neg_lo:[0,0,1] neg_hi:[0,0,1]
	v_pk_fma_f32 v[132:133], v[134:135], v[122:123], v[132:133] op_sel:[0,0,1] op_sel_hi:[1,0,0]
	v_mov_b32_e32 v137, v133
	ds_load_2addr_b64 v[132:135], v126 offset0:20 offset1:21
	v_pk_add_f32 v[68:69], v[68:69], v[138:139] neg_lo:[0,1] neg_hi:[0,1]
	v_pk_add_f32 v[64:65], v[64:65], v[136:137] neg_lo:[0,1] neg_hi:[0,1]
	s_wait_dscnt 0x0
	v_dual_mul_f32 v136, v133, v125 :: v_dual_mul_f32 v138, v133, v122
	s_delay_alu instid0(VALU_DEP_1) | instskip(NEXT) | instid1(VALU_DEP_2)
	v_pk_fma_f32 v[136:137], v[132:133], v[116:117], v[136:137] op_sel_hi:[1,1,0] neg_lo:[0,0,1] neg_hi:[0,0,1]
	v_pk_fma_f32 v[132:133], v[132:133], v[116:117], v[138:139] op_sel:[1,0,0] op_sel_hi:[0,1,0]
	s_delay_alu instid0(VALU_DEP_1) | instskip(SKIP_1) | instid1(VALU_DEP_2)
	v_mov_b32_e32 v137, v133
	v_pk_mul_f32 v[132:133], v[134:135], v[124:125] op_sel:[0,1]
	v_pk_add_f32 v[102:103], v[102:103], v[136:137] neg_lo:[0,1] neg_hi:[0,1]
	s_delay_alu instid0(VALU_DEP_2) | instskip(SKIP_1) | instid1(VALU_DEP_1)
	v_pk_fma_f32 v[136:137], v[134:135], v[122:123], v[132:133] op_sel:[0,0,1] op_sel_hi:[1,1,0] neg_lo:[0,0,1] neg_hi:[0,0,1]
	v_pk_fma_f32 v[132:133], v[134:135], v[122:123], v[132:133] op_sel:[0,0,1] op_sel_hi:[1,0,0]
	v_mov_b32_e32 v137, v133
	ds_load_2addr_b64 v[132:135], v126 offset0:22 offset1:23
	v_pk_add_f32 v[58:59], v[58:59], v[136:137] neg_lo:[0,1] neg_hi:[0,1]
	s_wait_dscnt 0x0
	v_pk_mul_f32 v[136:137], v[132:133], v[124:125] op_sel:[0,1]
	s_delay_alu instid0(VALU_DEP_1) | instskip(SKIP_1) | instid1(VALU_DEP_1)
	v_pk_fma_f32 v[138:139], v[132:133], v[122:123], v[136:137] op_sel:[0,0,1] op_sel_hi:[1,1,0] neg_lo:[0,0,1] neg_hi:[0,0,1]
	v_pk_fma_f32 v[132:133], v[132:133], v[122:123], v[136:137] op_sel:[0,0,1] op_sel_hi:[1,0,0]
	v_mov_b32_e32 v139, v133
	v_pk_mul_f32 v[132:133], v[134:135], v[124:125] op_sel:[0,1]
	s_delay_alu instid0(VALU_DEP_2) | instskip(NEXT) | instid1(VALU_DEP_2)
	v_pk_add_f32 v[62:63], v[62:63], v[138:139] neg_lo:[0,1] neg_hi:[0,1]
	v_pk_fma_f32 v[136:137], v[134:135], v[122:123], v[132:133] op_sel:[0,0,1] op_sel_hi:[1,1,0] neg_lo:[0,0,1] neg_hi:[0,0,1]
	v_pk_fma_f32 v[132:133], v[134:135], v[122:123], v[132:133] op_sel:[0,0,1] op_sel_hi:[1,0,0]
	s_delay_alu instid0(VALU_DEP_1) | instskip(SKIP_4) | instid1(VALU_DEP_1)
	v_mov_b32_e32 v137, v133
	ds_load_2addr_b64 v[132:135], v126 offset0:24 offset1:25
	v_pk_add_f32 v[56:57], v[56:57], v[136:137] neg_lo:[0,1] neg_hi:[0,1]
	s_wait_dscnt 0x0
	v_pk_mul_f32 v[136:137], v[132:133], v[124:125] op_sel:[0,1]
	v_pk_fma_f32 v[138:139], v[132:133], v[122:123], v[136:137] op_sel:[0,0,1] op_sel_hi:[1,1,0] neg_lo:[0,0,1] neg_hi:[0,0,1]
	v_pk_fma_f32 v[132:133], v[132:133], v[122:123], v[136:137] op_sel:[0,0,1] op_sel_hi:[1,0,0]
	v_dual_mul_f32 v136, v135, v125 :: v_dual_mov_b32 v132, v135
	s_delay_alu instid0(VALU_DEP_2) | instskip(NEXT) | instid1(VALU_DEP_2)
	v_dual_mov_b32 v139, v133 :: v_dual_mov_b32 v133, v134
	v_pk_fma_f32 v[136:137], v[134:135], v[116:117], v[136:137] op_sel_hi:[1,1,0] neg_lo:[0,0,1] neg_hi:[0,0,1]
	v_mul_f32_e32 v134, v135, v122
	s_delay_alu instid0(VALU_DEP_3) | instskip(NEXT) | instid1(VALU_DEP_2)
	v_pk_add_f32 v[100:101], v[100:101], v[138:139] neg_lo:[0,1] neg_hi:[0,1]
	v_pk_fma_f32 v[132:133], v[132:133], v[116:117], v[134:135] op_sel_hi:[1,1,0]
	s_delay_alu instid0(VALU_DEP_1) | instskip(SKIP_4) | instid1(VALU_DEP_1)
	v_mov_b32_e32 v137, v133
	ds_load_2addr_b64 v[132:135], v126 offset0:26 offset1:27
	v_pk_add_f32 v[52:53], v[52:53], v[136:137] neg_lo:[0,1] neg_hi:[0,1]
	s_wait_dscnt 0x0
	v_pk_mul_f32 v[136:137], v[132:133], v[124:125] op_sel:[0,1]
	v_pk_fma_f32 v[138:139], v[132:133], v[122:123], v[136:137] op_sel:[0,0,1] op_sel_hi:[1,1,0] neg_lo:[0,0,1] neg_hi:[0,0,1]
	v_pk_fma_f32 v[132:133], v[132:133], v[122:123], v[136:137] op_sel:[0,0,1] op_sel_hi:[1,0,0]
	s_delay_alu instid0(VALU_DEP_1) | instskip(SKIP_1) | instid1(VALU_DEP_1)
	v_mov_b32_e32 v139, v133
	v_pk_mul_f32 v[132:133], v[134:135], v[124:125] op_sel:[0,1]
	v_pk_fma_f32 v[136:137], v[134:135], v[122:123], v[132:133] op_sel:[0,0,1] op_sel_hi:[1,1,0] neg_lo:[0,0,1] neg_hi:[0,0,1]
	v_pk_fma_f32 v[132:133], v[134:135], v[122:123], v[132:133] op_sel:[0,0,1] op_sel_hi:[1,0,0]
	s_delay_alu instid0(VALU_DEP_1)
	v_mov_b32_e32 v137, v133
	ds_load_2addr_b64 v[132:135], v126 offset0:28 offset1:29
	v_pk_add_f32 v[54:55], v[54:55], v[138:139] neg_lo:[0,1] neg_hi:[0,1]
	v_pk_add_f32 v[50:51], v[50:51], v[136:137] neg_lo:[0,1] neg_hi:[0,1]
	s_wait_dscnt 0x0
	v_pk_mul_f32 v[136:137], v[132:133], v[124:125] op_sel:[0,1]
	s_delay_alu instid0(VALU_DEP_1) | instskip(SKIP_1) | instid1(VALU_DEP_1)
	v_pk_fma_f32 v[138:139], v[132:133], v[122:123], v[136:137] op_sel:[0,0,1] op_sel_hi:[1,1,0] neg_lo:[0,0,1] neg_hi:[0,0,1]
	v_pk_fma_f32 v[132:133], v[132:133], v[122:123], v[136:137] op_sel:[0,0,1] op_sel_hi:[1,0,0]
	v_mov_b32_e32 v139, v133
	v_pk_mul_f32 v[132:133], v[134:135], v[124:125] op_sel:[0,1]
	s_delay_alu instid0(VALU_DEP_1) | instskip(SKIP_1) | instid1(VALU_DEP_1)
	v_pk_fma_f32 v[136:137], v[134:135], v[122:123], v[132:133] op_sel:[0,0,1] op_sel_hi:[1,1,0] neg_lo:[0,0,1] neg_hi:[0,0,1]
	v_pk_fma_f32 v[132:133], v[134:135], v[122:123], v[132:133] op_sel:[0,0,1] op_sel_hi:[1,0,0]
	v_mov_b32_e32 v137, v133
	ds_load_2addr_b64 v[132:135], v126 offset0:30 offset1:31
	v_pk_add_f32 v[96:97], v[96:97], v[138:139] neg_lo:[0,1] neg_hi:[0,1]
	v_pk_add_f32 v[46:47], v[46:47], v[136:137] neg_lo:[0,1] neg_hi:[0,1]
	s_wait_dscnt 0x0
	v_dual_mul_f32 v136, v133, v125 :: v_dual_mul_f32 v138, v133, v122
	s_delay_alu instid0(VALU_DEP_1) | instskip(NEXT) | instid1(VALU_DEP_2)
	v_pk_fma_f32 v[136:137], v[132:133], v[116:117], v[136:137] op_sel_hi:[1,1,0] neg_lo:[0,0,1] neg_hi:[0,0,1]
	v_pk_fma_f32 v[132:133], v[132:133], v[116:117], v[138:139] op_sel:[1,0,0] op_sel_hi:[0,1,0]
	s_delay_alu instid0(VALU_DEP_1) | instskip(SKIP_1) | instid1(VALU_DEP_2)
	v_mov_b32_e32 v137, v133
	v_pk_mul_f32 v[132:133], v[134:135], v[124:125] op_sel:[0,1]
	v_pk_add_f32 v[48:49], v[48:49], v[136:137] neg_lo:[0,1] neg_hi:[0,1]
	s_delay_alu instid0(VALU_DEP_2) | instskip(SKIP_1) | instid1(VALU_DEP_1)
	v_pk_fma_f32 v[136:137], v[134:135], v[122:123], v[132:133] op_sel:[0,0,1] op_sel_hi:[1,1,0] neg_lo:[0,0,1] neg_hi:[0,0,1]
	v_pk_fma_f32 v[132:133], v[134:135], v[122:123], v[132:133] op_sel:[0,0,1] op_sel_hi:[1,0,0]
	v_mov_b32_e32 v137, v133
	ds_load_2addr_b64 v[132:135], v126 offset0:32 offset1:33
	v_pk_add_f32 v[44:45], v[44:45], v[136:137] neg_lo:[0,1] neg_hi:[0,1]
	s_wait_dscnt 0x0
	v_pk_mul_f32 v[136:137], v[132:133], v[124:125] op_sel:[0,1]
	s_delay_alu instid0(VALU_DEP_1) | instskip(SKIP_1) | instid1(VALU_DEP_1)
	v_pk_fma_f32 v[138:139], v[132:133], v[122:123], v[136:137] op_sel:[0,0,1] op_sel_hi:[1,1,0] neg_lo:[0,0,1] neg_hi:[0,0,1]
	v_pk_fma_f32 v[132:133], v[132:133], v[122:123], v[136:137] op_sel:[0,0,1] op_sel_hi:[1,0,0]
	v_mov_b32_e32 v139, v133
	v_pk_mul_f32 v[132:133], v[134:135], v[124:125] op_sel:[0,1]
	s_delay_alu instid0(VALU_DEP_2) | instskip(NEXT) | instid1(VALU_DEP_2)
	v_pk_add_f32 v[94:95], v[94:95], v[138:139] neg_lo:[0,1] neg_hi:[0,1]
	v_pk_fma_f32 v[136:137], v[134:135], v[122:123], v[132:133] op_sel:[0,0,1] op_sel_hi:[1,1,0] neg_lo:[0,0,1] neg_hi:[0,0,1]
	v_pk_fma_f32 v[132:133], v[134:135], v[122:123], v[132:133] op_sel:[0,0,1] op_sel_hi:[1,0,0]
	s_delay_alu instid0(VALU_DEP_1) | instskip(SKIP_4) | instid1(VALU_DEP_1)
	v_mov_b32_e32 v137, v133
	ds_load_2addr_b64 v[132:135], v126 offset0:34 offset1:35
	v_pk_add_f32 v[38:39], v[38:39], v[136:137] neg_lo:[0,1] neg_hi:[0,1]
	s_wait_dscnt 0x0
	v_pk_mul_f32 v[136:137], v[132:133], v[124:125] op_sel:[0,1]
	v_pk_fma_f32 v[138:139], v[132:133], v[122:123], v[136:137] op_sel:[0,0,1] op_sel_hi:[1,1,0] neg_lo:[0,0,1] neg_hi:[0,0,1]
	v_pk_fma_f32 v[132:133], v[132:133], v[122:123], v[136:137] op_sel:[0,0,1] op_sel_hi:[1,0,0]
	v_dual_mul_f32 v136, v135, v125 :: v_dual_mov_b32 v132, v135
	s_delay_alu instid0(VALU_DEP_2) | instskip(NEXT) | instid1(VALU_DEP_2)
	v_dual_mov_b32 v139, v133 :: v_dual_mov_b32 v133, v134
	v_pk_fma_f32 v[136:137], v[134:135], v[116:117], v[136:137] op_sel_hi:[1,1,0] neg_lo:[0,0,1] neg_hi:[0,0,1]
	v_mul_f32_e32 v134, v135, v122
	s_delay_alu instid0(VALU_DEP_3) | instskip(NEXT) | instid1(VALU_DEP_2)
	v_pk_add_f32 v[40:41], v[40:41], v[138:139] neg_lo:[0,1] neg_hi:[0,1]
	v_pk_fma_f32 v[132:133], v[132:133], v[116:117], v[134:135] op_sel_hi:[1,1,0]
	s_delay_alu instid0(VALU_DEP_1) | instskip(SKIP_4) | instid1(VALU_DEP_1)
	v_mov_b32_e32 v137, v133
	ds_load_2addr_b64 v[132:135], v126 offset0:36 offset1:37
	v_pk_add_f32 v[36:37], v[36:37], v[136:137] neg_lo:[0,1] neg_hi:[0,1]
	s_wait_dscnt 0x0
	v_pk_mul_f32 v[136:137], v[132:133], v[124:125] op_sel:[0,1]
	v_pk_fma_f32 v[138:139], v[132:133], v[122:123], v[136:137] op_sel:[0,0,1] op_sel_hi:[1,1,0] neg_lo:[0,0,1] neg_hi:[0,0,1]
	v_pk_fma_f32 v[132:133], v[132:133], v[122:123], v[136:137] op_sel:[0,0,1] op_sel_hi:[1,0,0]
	s_delay_alu instid0(VALU_DEP_1) | instskip(SKIP_1) | instid1(VALU_DEP_1)
	v_mov_b32_e32 v139, v133
	v_pk_mul_f32 v[132:133], v[134:135], v[124:125] op_sel:[0,1]
	v_pk_fma_f32 v[136:137], v[134:135], v[122:123], v[132:133] op_sel:[0,0,1] op_sel_hi:[1,1,0] neg_lo:[0,0,1] neg_hi:[0,0,1]
	v_pk_fma_f32 v[132:133], v[134:135], v[122:123], v[132:133] op_sel:[0,0,1] op_sel_hi:[1,0,0]
	s_delay_alu instid0(VALU_DEP_1)
	v_mov_b32_e32 v137, v133
	ds_load_2addr_b64 v[132:135], v126 offset0:38 offset1:39
	v_pk_add_f32 v[92:93], v[92:93], v[138:139] neg_lo:[0,1] neg_hi:[0,1]
	v_pk_add_f32 v[32:33], v[32:33], v[136:137] neg_lo:[0,1] neg_hi:[0,1]
	s_wait_dscnt 0x0
	v_pk_mul_f32 v[136:137], v[132:133], v[124:125] op_sel:[0,1]
	s_delay_alu instid0(VALU_DEP_1) | instskip(SKIP_1) | instid1(VALU_DEP_1)
	v_pk_fma_f32 v[138:139], v[132:133], v[122:123], v[136:137] op_sel:[0,0,1] op_sel_hi:[1,1,0] neg_lo:[0,0,1] neg_hi:[0,0,1]
	v_pk_fma_f32 v[132:133], v[132:133], v[122:123], v[136:137] op_sel:[0,0,1] op_sel_hi:[1,0,0]
	v_mov_b32_e32 v139, v133
	v_pk_mul_f32 v[132:133], v[134:135], v[124:125] op_sel:[0,1]
	s_delay_alu instid0(VALU_DEP_1) | instskip(SKIP_1) | instid1(VALU_DEP_1)
	v_pk_fma_f32 v[136:137], v[134:135], v[122:123], v[132:133] op_sel:[0,0,1] op_sel_hi:[1,1,0] neg_lo:[0,0,1] neg_hi:[0,0,1]
	v_pk_fma_f32 v[132:133], v[134:135], v[122:123], v[132:133] op_sel:[0,0,1] op_sel_hi:[1,0,0]
	v_mov_b32_e32 v137, v133
	ds_load_2addr_b64 v[132:135], v126 offset0:40 offset1:41
	v_pk_add_f32 v[34:35], v[34:35], v[138:139] neg_lo:[0,1] neg_hi:[0,1]
	v_pk_add_f32 v[30:31], v[30:31], v[136:137] neg_lo:[0,1] neg_hi:[0,1]
	s_wait_dscnt 0x0
	v_dual_mul_f32 v136, v133, v125 :: v_dual_mul_f32 v138, v133, v122
	s_delay_alu instid0(VALU_DEP_1) | instskip(NEXT) | instid1(VALU_DEP_2)
	v_pk_fma_f32 v[136:137], v[132:133], v[116:117], v[136:137] op_sel_hi:[1,1,0] neg_lo:[0,0,1] neg_hi:[0,0,1]
	v_pk_fma_f32 v[132:133], v[132:133], v[116:117], v[138:139] op_sel:[1,0,0] op_sel_hi:[0,1,0]
	s_delay_alu instid0(VALU_DEP_1) | instskip(SKIP_1) | instid1(VALU_DEP_2)
	v_mov_b32_e32 v137, v133
	v_pk_mul_f32 v[132:133], v[134:135], v[124:125] op_sel:[0,1]
	v_pk_add_f32 v[90:91], v[90:91], v[136:137] neg_lo:[0,1] neg_hi:[0,1]
	s_delay_alu instid0(VALU_DEP_2) | instskip(SKIP_1) | instid1(VALU_DEP_1)
	v_pk_fma_f32 v[136:137], v[134:135], v[122:123], v[132:133] op_sel:[0,0,1] op_sel_hi:[1,1,0] neg_lo:[0,0,1] neg_hi:[0,0,1]
	v_pk_fma_f32 v[132:133], v[134:135], v[122:123], v[132:133] op_sel:[0,0,1] op_sel_hi:[1,0,0]
	v_mov_b32_e32 v137, v133
	ds_load_2addr_b64 v[132:135], v126 offset0:42 offset1:43
	v_pk_add_f32 v[24:25], v[24:25], v[136:137] neg_lo:[0,1] neg_hi:[0,1]
	s_wait_dscnt 0x0
	v_pk_mul_f32 v[136:137], v[132:133], v[124:125] op_sel:[0,1]
	s_delay_alu instid0(VALU_DEP_1) | instskip(SKIP_1) | instid1(VALU_DEP_1)
	v_pk_fma_f32 v[138:139], v[132:133], v[122:123], v[136:137] op_sel:[0,0,1] op_sel_hi:[1,1,0] neg_lo:[0,0,1] neg_hi:[0,0,1]
	v_pk_fma_f32 v[132:133], v[132:133], v[122:123], v[136:137] op_sel:[0,0,1] op_sel_hi:[1,0,0]
	v_mov_b32_e32 v139, v133
	v_pk_mul_f32 v[132:133], v[134:135], v[124:125] op_sel:[0,1]
	s_delay_alu instid0(VALU_DEP_2) | instskip(NEXT) | instid1(VALU_DEP_2)
	v_pk_add_f32 v[26:27], v[26:27], v[138:139] neg_lo:[0,1] neg_hi:[0,1]
	v_pk_fma_f32 v[136:137], v[134:135], v[122:123], v[132:133] op_sel:[0,0,1] op_sel_hi:[1,1,0] neg_lo:[0,0,1] neg_hi:[0,0,1]
	v_pk_fma_f32 v[132:133], v[134:135], v[122:123], v[132:133] op_sel:[0,0,1] op_sel_hi:[1,0,0]
	s_delay_alu instid0(VALU_DEP_1) | instskip(SKIP_4) | instid1(VALU_DEP_1)
	v_mov_b32_e32 v137, v133
	ds_load_2addr_b64 v[132:135], v126 offset0:44 offset1:45
	v_pk_add_f32 v[22:23], v[22:23], v[136:137] neg_lo:[0,1] neg_hi:[0,1]
	s_wait_dscnt 0x0
	v_pk_mul_f32 v[136:137], v[132:133], v[124:125] op_sel:[0,1]
	v_pk_fma_f32 v[138:139], v[132:133], v[122:123], v[136:137] op_sel:[0,0,1] op_sel_hi:[1,1,0] neg_lo:[0,0,1] neg_hi:[0,0,1]
	v_pk_fma_f32 v[132:133], v[132:133], v[122:123], v[136:137] op_sel:[0,0,1] op_sel_hi:[1,0,0]
	v_dual_mul_f32 v136, v135, v125 :: v_dual_mov_b32 v132, v135
	s_delay_alu instid0(VALU_DEP_2) | instskip(NEXT) | instid1(VALU_DEP_2)
	v_dual_mov_b32 v139, v133 :: v_dual_mov_b32 v133, v134
	v_pk_fma_f32 v[136:137], v[134:135], v[116:117], v[136:137] op_sel_hi:[1,1,0] neg_lo:[0,0,1] neg_hi:[0,0,1]
	v_mul_f32_e32 v134, v135, v122
	s_delay_alu instid0(VALU_DEP_3) | instskip(NEXT) | instid1(VALU_DEP_2)
	v_pk_add_f32 v[88:89], v[88:89], v[138:139] neg_lo:[0,1] neg_hi:[0,1]
	v_pk_fma_f32 v[132:133], v[132:133], v[116:117], v[134:135] op_sel_hi:[1,1,0]
	s_delay_alu instid0(VALU_DEP_1) | instskip(SKIP_4) | instid1(VALU_DEP_1)
	v_mov_b32_e32 v137, v133
	ds_load_2addr_b64 v[132:135], v126 offset0:46 offset1:47
	v_pk_add_f32 v[18:19], v[18:19], v[136:137] neg_lo:[0,1] neg_hi:[0,1]
	s_wait_dscnt 0x0
	v_pk_mul_f32 v[136:137], v[132:133], v[124:125] op_sel:[0,1]
	v_pk_fma_f32 v[138:139], v[132:133], v[122:123], v[136:137] op_sel:[0,0,1] op_sel_hi:[1,1,0] neg_lo:[0,0,1] neg_hi:[0,0,1]
	v_pk_fma_f32 v[132:133], v[132:133], v[122:123], v[136:137] op_sel:[0,0,1] op_sel_hi:[1,0,0]
	s_delay_alu instid0(VALU_DEP_1) | instskip(SKIP_1) | instid1(VALU_DEP_1)
	v_mov_b32_e32 v139, v133
	v_pk_mul_f32 v[132:133], v[134:135], v[124:125] op_sel:[0,1]
	v_pk_fma_f32 v[136:137], v[134:135], v[122:123], v[132:133] op_sel:[0,0,1] op_sel_hi:[1,1,0] neg_lo:[0,0,1] neg_hi:[0,0,1]
	v_pk_fma_f32 v[132:133], v[134:135], v[122:123], v[132:133] op_sel:[0,0,1] op_sel_hi:[1,0,0]
	s_delay_alu instid0(VALU_DEP_1)
	v_mov_b32_e32 v137, v133
	ds_load_2addr_b64 v[132:135], v126 offset0:48 offset1:49
	v_pk_add_f32 v[20:21], v[20:21], v[138:139] neg_lo:[0,1] neg_hi:[0,1]
	v_pk_add_f32 v[16:17], v[16:17], v[136:137] neg_lo:[0,1] neg_hi:[0,1]
	s_wait_dscnt 0x0
	v_pk_mul_f32 v[136:137], v[132:133], v[124:125] op_sel:[0,1]
	s_delay_alu instid0(VALU_DEP_1) | instskip(SKIP_1) | instid1(VALU_DEP_1)
	v_pk_fma_f32 v[138:139], v[132:133], v[122:123], v[136:137] op_sel:[0,0,1] op_sel_hi:[1,1,0] neg_lo:[0,0,1] neg_hi:[0,0,1]
	v_pk_fma_f32 v[132:133], v[132:133], v[122:123], v[136:137] op_sel:[0,0,1] op_sel_hi:[1,0,0]
	v_mov_b32_e32 v139, v133
	v_pk_mul_f32 v[132:133], v[134:135], v[124:125] op_sel:[0,1]
	s_delay_alu instid0(VALU_DEP_1) | instskip(SKIP_1) | instid1(VALU_DEP_1)
	v_pk_fma_f32 v[136:137], v[134:135], v[122:123], v[132:133] op_sel:[0,0,1] op_sel_hi:[1,1,0] neg_lo:[0,0,1] neg_hi:[0,0,1]
	v_pk_fma_f32 v[132:133], v[134:135], v[122:123], v[132:133] op_sel:[0,0,1] op_sel_hi:[1,0,0]
	v_mov_b32_e32 v137, v133
	ds_load_2addr_b64 v[132:135], v126 offset0:50 offset1:51
	v_pk_add_f32 v[84:85], v[84:85], v[138:139] neg_lo:[0,1] neg_hi:[0,1]
	v_pk_add_f32 v[10:11], v[10:11], v[136:137] neg_lo:[0,1] neg_hi:[0,1]
	s_wait_dscnt 0x0
	v_dual_mul_f32 v136, v133, v125 :: v_dual_mul_f32 v138, v133, v122
	s_delay_alu instid0(VALU_DEP_1) | instskip(NEXT) | instid1(VALU_DEP_2)
	v_pk_fma_f32 v[136:137], v[132:133], v[116:117], v[136:137] op_sel_hi:[1,1,0] neg_lo:[0,0,1] neg_hi:[0,0,1]
	v_pk_fma_f32 v[132:133], v[132:133], v[116:117], v[138:139] op_sel:[1,0,0] op_sel_hi:[0,1,0]
	s_delay_alu instid0(VALU_DEP_1) | instskip(SKIP_1) | instid1(VALU_DEP_2)
	v_mov_b32_e32 v137, v133
	v_pk_mul_f32 v[132:133], v[134:135], v[124:125] op_sel:[0,1]
	v_pk_add_f32 v[12:13], v[12:13], v[136:137] neg_lo:[0,1] neg_hi:[0,1]
	s_delay_alu instid0(VALU_DEP_2) | instskip(SKIP_1) | instid1(VALU_DEP_1)
	v_pk_fma_f32 v[136:137], v[134:135], v[122:123], v[132:133] op_sel:[0,0,1] op_sel_hi:[1,1,0] neg_lo:[0,0,1] neg_hi:[0,0,1]
	v_pk_fma_f32 v[132:133], v[134:135], v[122:123], v[132:133] op_sel:[0,0,1] op_sel_hi:[1,0,0]
	v_mov_b32_e32 v137, v133
	ds_load_2addr_b64 v[132:135], v126 offset0:52 offset1:53
	v_pk_add_f32 v[8:9], v[8:9], v[136:137] neg_lo:[0,1] neg_hi:[0,1]
	s_wait_dscnt 0x0
	v_pk_mul_f32 v[136:137], v[132:133], v[124:125] op_sel:[0,1]
	s_delay_alu instid0(VALU_DEP_1) | instskip(SKIP_1) | instid1(VALU_DEP_1)
	v_pk_fma_f32 v[138:139], v[132:133], v[122:123], v[136:137] op_sel:[0,0,1] op_sel_hi:[1,1,0] neg_lo:[0,0,1] neg_hi:[0,0,1]
	v_pk_fma_f32 v[132:133], v[132:133], v[122:123], v[136:137] op_sel:[0,0,1] op_sel_hi:[1,0,0]
	v_mov_b32_e32 v139, v133
	v_pk_mul_f32 v[132:133], v[134:135], v[124:125] op_sel:[0,1]
	s_delay_alu instid0(VALU_DEP_2) | instskip(NEXT) | instid1(VALU_DEP_2)
	v_pk_add_f32 v[60:61], v[60:61], v[138:139] neg_lo:[0,1] neg_hi:[0,1]
	v_pk_fma_f32 v[136:137], v[134:135], v[122:123], v[132:133] op_sel:[0,0,1] op_sel_hi:[1,1,0] neg_lo:[0,0,1] neg_hi:[0,0,1]
	v_pk_fma_f32 v[132:133], v[134:135], v[122:123], v[132:133] op_sel:[0,0,1] op_sel_hi:[1,0,0]
	s_delay_alu instid0(VALU_DEP_1) | instskip(SKIP_4) | instid1(VALU_DEP_1)
	v_mov_b32_e32 v137, v133
	ds_load_2addr_b64 v[132:135], v126 offset0:54 offset1:55
	v_pk_add_f32 v[6:7], v[6:7], v[136:137] neg_lo:[0,1] neg_hi:[0,1]
	s_wait_dscnt 0x0
	v_pk_mul_f32 v[136:137], v[132:133], v[124:125] op_sel:[0,1]
	v_pk_fma_f32 v[138:139], v[132:133], v[122:123], v[136:137] op_sel:[0,0,1] op_sel_hi:[1,1,0] neg_lo:[0,0,1] neg_hi:[0,0,1]
	v_pk_fma_f32 v[132:133], v[132:133], v[122:123], v[136:137] op_sel:[0,0,1] op_sel_hi:[1,0,0]
	v_dual_mul_f32 v136, v135, v125 :: v_dual_mov_b32 v132, v135
	s_delay_alu instid0(VALU_DEP_2) | instskip(NEXT) | instid1(VALU_DEP_2)
	v_dual_mov_b32 v139, v133 :: v_dual_mov_b32 v133, v134
	v_pk_fma_f32 v[136:137], v[134:135], v[116:117], v[136:137] op_sel_hi:[1,1,0] neg_lo:[0,0,1] neg_hi:[0,0,1]
	v_mul_f32_e32 v134, v135, v122
	s_delay_alu instid0(VALU_DEP_3) | instskip(NEXT) | instid1(VALU_DEP_2)
	v_pk_add_f32 v[42:43], v[42:43], v[138:139] neg_lo:[0,1] neg_hi:[0,1]
	v_pk_fma_f32 v[132:133], v[132:133], v[116:117], v[134:135] op_sel_hi:[1,1,0]
	s_delay_alu instid0(VALU_DEP_1)
	v_mov_b32_e32 v137, v133
	ds_load_2addr_b64 v[132:135], v126 offset0:56 offset1:57
	v_pk_add_f32 v[28:29], v[28:29], v[136:137] neg_lo:[0,1] neg_hi:[0,1]
	s_wait_dscnt 0x0
	v_pk_mul_f32 v[136:137], v[132:133], v[124:125] op_sel:[0,1]
	v_pk_mul_f32 v[124:125], v[134:135], v[124:125] op_sel:[0,1]
	s_delay_alu instid0(VALU_DEP_2) | instskip(SKIP_1) | instid1(VALU_DEP_1)
	v_pk_fma_f32 v[138:139], v[132:133], v[122:123], v[136:137] op_sel:[0,0,1] op_sel_hi:[1,1,0] neg_lo:[0,0,1] neg_hi:[0,0,1]
	v_pk_fma_f32 v[132:133], v[132:133], v[122:123], v[136:137] op_sel:[0,0,1] op_sel_hi:[1,0,0]
	v_mov_b32_e32 v139, v133
	s_delay_alu instid0(VALU_DEP_4) | instskip(SKIP_1) | instid1(VALU_DEP_1)
	v_pk_fma_f32 v[132:133], v[134:135], v[122:123], v[124:125] op_sel:[0,0,1] op_sel_hi:[1,1,0] neg_lo:[0,0,1] neg_hi:[0,0,1]
	v_pk_fma_f32 v[122:123], v[134:135], v[122:123], v[124:125] op_sel:[0,0,1] op_sel_hi:[1,0,0]
	v_mov_b32_e32 v133, v123
	s_delay_alu instid0(VALU_DEP_4) | instskip(NEXT) | instid1(VALU_DEP_2)
	v_pk_add_f32 v[14:15], v[14:15], v[138:139] neg_lo:[0,1] neg_hi:[0,1]
	v_pk_add_f32 v[120:121], v[120:121], v[132:133] neg_lo:[0,1] neg_hi:[0,1]
.LBB114_41:
	s_or_b32 exec_lo, exec_lo, s0
	v_lshl_add_u32 v122, v130, 3, v126
	s_barrier_signal -1
	s_barrier_wait -1
	ds_store_b64 v122, v[114:115]
	s_wait_dscnt 0x0
	s_barrier_signal -1
	s_barrier_wait -1
	ds_load_b64 v[124:125], v126 offset:16
	v_mov_b32_e32 v122, 2
	s_cmp_lt_i32 s18, 4
	s_mov_b32 s0, 3
	s_cbranch_scc1 .LBB114_44
; %bb.42:
	v_add3_u32 v123, v127, 0, 24
	v_mov_b32_e32 v122, 2
.LBB114_43:                             ; =>This Inner Loop Header: Depth=1
	ds_load_b64 v[132:133], v123
	s_wait_dscnt 0x1
	v_cmp_gt_f32_e32 vcc_lo, 0, v124
	v_cndmask_b32_e64 v134, v124, -v124, vcc_lo
	v_cmp_gt_f32_e32 vcc_lo, 0, v125
	v_cndmask_b32_e64 v136, v125, -v125, vcc_lo
	s_wait_dscnt 0x0
	v_cmp_gt_f32_e32 vcc_lo, 0, v132
	v_cndmask_b32_e64 v135, v132, -v132, vcc_lo
	v_cmp_gt_f32_e32 vcc_lo, 0, v133
	v_cndmask_b32_e64 v137, v133, -v133, vcc_lo
	s_delay_alu instid0(VALU_DEP_1) | instskip(NEXT) | instid1(VALU_DEP_1)
	v_pk_add_f32 v[134:135], v[134:135], v[136:137]
	v_cmp_lt_f32_e32 vcc_lo, v134, v135
	v_dual_add_nc_u32 v123, 8, v123 :: v_dual_cndmask_b32 v125, v125, v133, vcc_lo
	v_cndmask_b32_e32 v124, v124, v132, vcc_lo
	v_cndmask_b32_e64 v122, v122, s0, vcc_lo
	s_add_co_i32 s0, s0, 1
	s_delay_alu instid0(SALU_CYCLE_1)
	s_cmp_lg_u32 s18, s0
	s_cbranch_scc1 .LBB114_43
.LBB114_44:
	s_wait_dscnt 0x0
	v_cmp_eq_f32_e32 vcc_lo, 0, v124
	v_cmp_eq_f32_e64 s0, 0, v125
	s_and_b32 s0, vcc_lo, s0
	s_delay_alu instid0(SALU_CYCLE_1) | instskip(NEXT) | instid1(SALU_CYCLE_1)
	s_and_saveexec_b32 s1, s0
	s_xor_b32 s0, exec_lo, s1
; %bb.45:
	v_cmp_ne_u32_e32 vcc_lo, 0, v128
	v_cndmask_b32_e32 v128, 3, v128, vcc_lo
; %bb.46:
	s_and_not1_saveexec_b32 s0, s0
	s_cbranch_execz .LBB114_52
; %bb.47:
	v_cmp_ngt_f32_e64 s1, |v124|, |v125|
	s_and_saveexec_b32 s12, s1
	s_delay_alu instid0(SALU_CYCLE_1)
	s_xor_b32 s1, exec_lo, s12
	s_cbranch_execz .LBB114_49
; %bb.48:
	v_div_scale_f32 v123, null, v125, v125, v124
	v_div_scale_f32 v133, vcc_lo, v124, v125, v124
	s_delay_alu instid0(VALU_DEP_2) | instskip(SKIP_1) | instid1(TRANS32_DEP_1)
	v_rcp_f32_e32 v131, v123
	v_nop
	v_fma_f32 v132, -v123, v131, 1.0
	s_delay_alu instid0(VALU_DEP_1) | instskip(NEXT) | instid1(VALU_DEP_1)
	v_fmac_f32_e32 v131, v132, v131
	v_mul_f32_e32 v132, v133, v131
	s_delay_alu instid0(VALU_DEP_1) | instskip(NEXT) | instid1(VALU_DEP_1)
	v_fma_f32 v134, -v123, v132, v133
	v_fmac_f32_e32 v132, v134, v131
	s_delay_alu instid0(VALU_DEP_1) | instskip(NEXT) | instid1(VALU_DEP_1)
	v_fma_f32 v123, -v123, v132, v133
	v_div_fmas_f32 v123, v123, v131, v132
	s_delay_alu instid0(VALU_DEP_1) | instskip(NEXT) | instid1(VALU_DEP_1)
	v_div_fixup_f32 v123, v123, v125, v124
	v_fmac_f32_e32 v125, v124, v123
	s_delay_alu instid0(VALU_DEP_1) | instskip(SKIP_1) | instid1(VALU_DEP_2)
	v_div_scale_f32 v124, null, v125, v125, 1.0
	v_div_scale_f32 v133, vcc_lo, 1.0, v125, 1.0
	v_rcp_f32_e32 v131, v124
	v_nop
	s_delay_alu instid0(TRANS32_DEP_1) | instskip(NEXT) | instid1(VALU_DEP_1)
	v_fma_f32 v132, -v124, v131, 1.0
	v_fmac_f32_e32 v131, v132, v131
	s_delay_alu instid0(VALU_DEP_1) | instskip(NEXT) | instid1(VALU_DEP_1)
	v_mul_f32_e32 v132, v133, v131
	v_fma_f32 v134, -v124, v132, v133
	s_delay_alu instid0(VALU_DEP_1) | instskip(NEXT) | instid1(VALU_DEP_1)
	v_fmac_f32_e32 v132, v134, v131
	v_fma_f32 v124, -v124, v132, v133
	s_delay_alu instid0(VALU_DEP_1) | instskip(NEXT) | instid1(VALU_DEP_1)
	v_div_fmas_f32 v124, v124, v131, v132
	v_div_fixup_f32 v125, v124, v125, 1.0
	s_delay_alu instid0(VALU_DEP_1)
	v_mul_f32_e32 v124, v123, v125
	v_xor_b32_e32 v125, 0x80000000, v125
.LBB114_49:
	s_and_not1_saveexec_b32 s1, s1
	s_cbranch_execz .LBB114_51
; %bb.50:
	s_delay_alu instid0(VALU_DEP_1) | instskip(SKIP_1) | instid1(VALU_DEP_2)
	v_div_scale_f32 v123, null, v124, v124, v125
	v_div_scale_f32 v133, vcc_lo, v125, v124, v125
	v_rcp_f32_e32 v131, v123
	v_nop
	s_delay_alu instid0(TRANS32_DEP_1) | instskip(NEXT) | instid1(VALU_DEP_1)
	v_fma_f32 v132, -v123, v131, 1.0
	v_fmac_f32_e32 v131, v132, v131
	s_delay_alu instid0(VALU_DEP_1) | instskip(NEXT) | instid1(VALU_DEP_1)
	v_mul_f32_e32 v132, v133, v131
	v_fma_f32 v134, -v123, v132, v133
	s_delay_alu instid0(VALU_DEP_1) | instskip(NEXT) | instid1(VALU_DEP_1)
	v_fmac_f32_e32 v132, v134, v131
	v_fma_f32 v123, -v123, v132, v133
	s_delay_alu instid0(VALU_DEP_1) | instskip(NEXT) | instid1(VALU_DEP_1)
	v_div_fmas_f32 v123, v123, v131, v132
	v_div_fixup_f32 v123, v123, v124, v125
	s_delay_alu instid0(VALU_DEP_1) | instskip(NEXT) | instid1(VALU_DEP_1)
	v_fmac_f32_e32 v124, v125, v123
	v_div_scale_f32 v125, null, v124, v124, 1.0
	s_delay_alu instid0(VALU_DEP_1) | instskip(SKIP_1) | instid1(TRANS32_DEP_1)
	v_rcp_f32_e32 v131, v125
	v_nop
	v_fma_f32 v132, -v125, v131, 1.0
	s_delay_alu instid0(VALU_DEP_1) | instskip(SKIP_1) | instid1(VALU_DEP_1)
	v_fmac_f32_e32 v131, v132, v131
	v_div_scale_f32 v132, vcc_lo, 1.0, v124, 1.0
	v_mul_f32_e32 v133, v132, v131
	s_delay_alu instid0(VALU_DEP_1) | instskip(NEXT) | instid1(VALU_DEP_1)
	v_fma_f32 v134, -v125, v133, v132
	v_fmac_f32_e32 v133, v134, v131
	s_delay_alu instid0(VALU_DEP_1) | instskip(NEXT) | instid1(VALU_DEP_1)
	v_fma_f32 v125, -v125, v133, v132
	v_div_fmas_f32 v125, v125, v131, v133
	s_delay_alu instid0(VALU_DEP_1) | instskip(NEXT) | instid1(VALU_DEP_1)
	v_div_fixup_f32 v124, v125, v124, 1.0
	v_mul_f32_e64 v125, v123, -v124
.LBB114_51:
	s_or_b32 exec_lo, exec_lo, s1
.LBB114_52:
	s_delay_alu instid0(SALU_CYCLE_1) | instskip(NEXT) | instid1(SALU_CYCLE_1)
	s_or_b32 exec_lo, exec_lo, s0
	s_mov_b32 s0, exec_lo
	v_cmpx_ne_u32_e64 v130, v122
	s_xor_b32 s0, exec_lo, s0
	s_cbranch_execz .LBB114_58
; %bb.53:
	s_mov_b32 s1, exec_lo
	v_cmpx_eq_u32_e32 2, v130
	s_cbranch_execz .LBB114_57
; %bb.54:
	v_cmp_ne_u32_e32 vcc_lo, 2, v122
	s_xor_b32 s12, s16, -1
	s_delay_alu instid0(SALU_CYCLE_1) | instskip(NEXT) | instid1(SALU_CYCLE_1)
	s_and_b32 s13, s12, vcc_lo
	s_and_saveexec_b32 s12, s13
	s_cbranch_execz .LBB114_56
; %bb.55:
	v_ashrrev_i32_e32 v123, 31, v122
	s_delay_alu instid0(VALU_DEP_1)
	v_lshl_add_u64 v[130:131], v[122:123], 2, v[4:5]
	s_clause 0x1
	global_load_b32 v123, v[130:131], off
	global_load_b32 v129, v[4:5], off offset:8
	s_wait_loadcnt 0x1
	global_store_b32 v[4:5], v123, off offset:8
	s_wait_loadcnt 0x0
	global_store_b32 v[130:131], v129, off
.LBB114_56:
	s_wait_xcnt 0x0
	s_or_b32 exec_lo, exec_lo, s12
	v_dual_mov_b32 v130, v122 :: v_dual_mov_b32 v129, v122
.LBB114_57:
	s_or_b32 exec_lo, exec_lo, s1
.LBB114_58:
	s_and_not1_saveexec_b32 s0, s0
	s_cbranch_execz .LBB114_60
; %bb.59:
	v_mov_b32_e32 v130, 2
	ds_store_2addr_b64 v126, v[112:113], v[110:111] offset0:3 offset1:4
	ds_store_2addr_b64 v126, v[98:99], v[86:87] offset0:5 offset1:6
	;; [unrolled: 1-line block ×27, first 2 shown]
	ds_store_b64 v126, v[120:121] offset:456
.LBB114_60:
	s_or_b32 exec_lo, exec_lo, s0
	s_delay_alu instid0(SALU_CYCLE_1)
	s_mov_b32 s0, exec_lo
	s_wait_storecnt_dscnt 0x0
	s_barrier_signal -1
	s_barrier_wait -1
	v_cmpx_lt_i32_e32 2, v130
	s_cbranch_execz .LBB114_62
; %bb.61:
	v_pk_mul_f32 v[132:133], v[124:125], v[114:115] op_sel:[1,1] op_sel_hi:[0,1]
	s_delay_alu instid0(VALU_DEP_1)
	v_pk_fma_f32 v[122:123], v[124:125], v[114:115], v[132:133] op_sel_hi:[1,0,1] neg_lo:[0,0,1] neg_hi:[0,0,1]
	v_pk_fma_f32 v[124:125], v[124:125], v[114:115], v[132:133] op_sel_hi:[1,0,1]
	ds_load_2addr_b64 v[132:135], v126 offset0:3 offset1:4
	v_dual_mov_b32 v114, v122 :: v_dual_mov_b32 v115, v125
	s_wait_dscnt 0x0
	v_pk_mul_f32 v[136:137], v[132:133], v[124:125] op_sel:[0,1]
	s_delay_alu instid0(VALU_DEP_1) | instskip(SKIP_1) | instid1(VALU_DEP_1)
	v_pk_fma_f32 v[138:139], v[132:133], v[122:123], v[136:137] op_sel:[0,0,1] op_sel_hi:[1,1,0] neg_lo:[0,0,1] neg_hi:[0,0,1]
	v_pk_fma_f32 v[132:133], v[132:133], v[122:123], v[136:137] op_sel:[0,0,1] op_sel_hi:[1,0,0]
	v_mov_b32_e32 v139, v133
	v_pk_mul_f32 v[132:133], v[134:135], v[124:125] op_sel:[0,1]
	s_delay_alu instid0(VALU_DEP_1) | instskip(SKIP_1) | instid1(VALU_DEP_1)
	v_pk_fma_f32 v[136:137], v[134:135], v[122:123], v[132:133] op_sel:[0,0,1] op_sel_hi:[1,1,0] neg_lo:[0,0,1] neg_hi:[0,0,1]
	v_pk_fma_f32 v[132:133], v[134:135], v[122:123], v[132:133] op_sel:[0,0,1] op_sel_hi:[1,0,0]
	v_mov_b32_e32 v137, v133
	ds_load_2addr_b64 v[132:135], v126 offset0:5 offset1:6
	v_pk_add_f32 v[112:113], v[112:113], v[138:139] neg_lo:[0,1] neg_hi:[0,1]
	v_pk_add_f32 v[110:111], v[110:111], v[136:137] neg_lo:[0,1] neg_hi:[0,1]
	s_wait_dscnt 0x0
	v_pk_mul_f32 v[136:137], v[132:133], v[124:125] op_sel:[0,1]
	s_delay_alu instid0(VALU_DEP_1) | instskip(SKIP_2) | instid1(VALU_DEP_2)
	v_pk_fma_f32 v[138:139], v[132:133], v[122:123], v[136:137] op_sel:[0,0,1] op_sel_hi:[1,1,0] neg_lo:[0,0,1] neg_hi:[0,0,1]
	v_pk_fma_f32 v[132:133], v[132:133], v[122:123], v[136:137] op_sel:[0,0,1] op_sel_hi:[1,0,0]
	v_dual_mul_f32 v136, v135, v125 :: v_dual_mov_b32 v132, v135
	v_dual_mov_b32 v139, v133 :: v_dual_mov_b32 v133, v134
	s_delay_alu instid0(VALU_DEP_2) | instskip(SKIP_1) | instid1(VALU_DEP_3)
	v_pk_fma_f32 v[136:137], v[134:135], v[114:115], v[136:137] op_sel_hi:[1,1,0] neg_lo:[0,0,1] neg_hi:[0,0,1]
	v_mul_f32_e32 v134, v135, v122
	v_pk_add_f32 v[98:99], v[98:99], v[138:139] neg_lo:[0,1] neg_hi:[0,1]
	s_delay_alu instid0(VALU_DEP_2) | instskip(NEXT) | instid1(VALU_DEP_1)
	v_pk_fma_f32 v[132:133], v[132:133], v[114:115], v[134:135] op_sel_hi:[1,1,0]
	v_mov_b32_e32 v137, v133
	ds_load_2addr_b64 v[132:135], v126 offset0:7 offset1:8
	v_pk_add_f32 v[86:87], v[86:87], v[136:137] neg_lo:[0,1] neg_hi:[0,1]
	s_wait_dscnt 0x0
	v_pk_mul_f32 v[136:137], v[132:133], v[124:125] op_sel:[0,1]
	s_delay_alu instid0(VALU_DEP_1) | instskip(SKIP_1) | instid1(VALU_DEP_1)
	v_pk_fma_f32 v[138:139], v[132:133], v[122:123], v[136:137] op_sel:[0,0,1] op_sel_hi:[1,1,0] neg_lo:[0,0,1] neg_hi:[0,0,1]
	v_pk_fma_f32 v[132:133], v[132:133], v[122:123], v[136:137] op_sel:[0,0,1] op_sel_hi:[1,0,0]
	v_mov_b32_e32 v139, v133
	v_pk_mul_f32 v[132:133], v[134:135], v[124:125] op_sel:[0,1]
	s_delay_alu instid0(VALU_DEP_1) | instskip(SKIP_1) | instid1(VALU_DEP_1)
	v_pk_fma_f32 v[136:137], v[134:135], v[122:123], v[132:133] op_sel:[0,0,1] op_sel_hi:[1,1,0] neg_lo:[0,0,1] neg_hi:[0,0,1]
	v_pk_fma_f32 v[132:133], v[134:135], v[122:123], v[132:133] op_sel:[0,0,1] op_sel_hi:[1,0,0]
	v_mov_b32_e32 v137, v133
	ds_load_2addr_b64 v[132:135], v126 offset0:9 offset1:10
	v_pk_add_f32 v[70:71], v[70:71], v[138:139] neg_lo:[0,1] neg_hi:[0,1]
	v_pk_add_f32 v[108:109], v[108:109], v[136:137] neg_lo:[0,1] neg_hi:[0,1]
	s_wait_dscnt 0x0
	v_pk_mul_f32 v[136:137], v[132:133], v[124:125] op_sel:[0,1]
	s_delay_alu instid0(VALU_DEP_1) | instskip(SKIP_1) | instid1(VALU_DEP_1)
	v_pk_fma_f32 v[138:139], v[132:133], v[122:123], v[136:137] op_sel:[0,0,1] op_sel_hi:[1,1,0] neg_lo:[0,0,1] neg_hi:[0,0,1]
	v_pk_fma_f32 v[132:133], v[132:133], v[122:123], v[136:137] op_sel:[0,0,1] op_sel_hi:[1,0,0]
	v_mov_b32_e32 v139, v133
	v_pk_mul_f32 v[132:133], v[134:135], v[124:125] op_sel:[0,1]
	s_delay_alu instid0(VALU_DEP_1) | instskip(SKIP_1) | instid1(VALU_DEP_1)
	v_pk_fma_f32 v[136:137], v[134:135], v[122:123], v[132:133] op_sel:[0,0,1] op_sel_hi:[1,1,0] neg_lo:[0,0,1] neg_hi:[0,0,1]
	v_pk_fma_f32 v[132:133], v[134:135], v[122:123], v[132:133] op_sel:[0,0,1] op_sel_hi:[1,0,0]
	v_mov_b32_e32 v137, v133
	ds_load_2addr_b64 v[132:135], v126 offset0:11 offset1:12
	v_pk_add_f32 v[80:81], v[80:81], v[138:139] neg_lo:[0,1] neg_hi:[0,1]
	v_pk_add_f32 v[82:83], v[82:83], v[136:137] neg_lo:[0,1] neg_hi:[0,1]
	s_wait_dscnt 0x0
	v_dual_mul_f32 v136, v133, v125 :: v_dual_mul_f32 v138, v133, v122
	s_delay_alu instid0(VALU_DEP_1) | instskip(NEXT) | instid1(VALU_DEP_2)
	v_pk_fma_f32 v[136:137], v[132:133], v[114:115], v[136:137] op_sel_hi:[1,1,0] neg_lo:[0,0,1] neg_hi:[0,0,1]
	v_pk_fma_f32 v[132:133], v[132:133], v[114:115], v[138:139] op_sel:[1,0,0] op_sel_hi:[0,1,0]
	s_delay_alu instid0(VALU_DEP_1) | instskip(SKIP_1) | instid1(VALU_DEP_2)
	v_mov_b32_e32 v137, v133
	v_pk_mul_f32 v[132:133], v[134:135], v[124:125] op_sel:[0,1]
	v_pk_add_f32 v[78:79], v[78:79], v[136:137] neg_lo:[0,1] neg_hi:[0,1]
	s_delay_alu instid0(VALU_DEP_2) | instskip(SKIP_1) | instid1(VALU_DEP_1)
	v_pk_fma_f32 v[136:137], v[134:135], v[122:123], v[132:133] op_sel:[0,0,1] op_sel_hi:[1,1,0] neg_lo:[0,0,1] neg_hi:[0,0,1]
	v_pk_fma_f32 v[132:133], v[134:135], v[122:123], v[132:133] op_sel:[0,0,1] op_sel_hi:[1,0,0]
	v_mov_b32_e32 v137, v133
	ds_load_2addr_b64 v[132:135], v126 offset0:13 offset1:14
	v_pk_add_f32 v[106:107], v[106:107], v[136:137] neg_lo:[0,1] neg_hi:[0,1]
	s_wait_dscnt 0x0
	v_pk_mul_f32 v[136:137], v[132:133], v[124:125] op_sel:[0,1]
	s_delay_alu instid0(VALU_DEP_1) | instskip(SKIP_1) | instid1(VALU_DEP_1)
	v_pk_fma_f32 v[138:139], v[132:133], v[122:123], v[136:137] op_sel:[0,0,1] op_sel_hi:[1,1,0] neg_lo:[0,0,1] neg_hi:[0,0,1]
	v_pk_fma_f32 v[132:133], v[132:133], v[122:123], v[136:137] op_sel:[0,0,1] op_sel_hi:[1,0,0]
	v_mov_b32_e32 v139, v133
	v_pk_mul_f32 v[132:133], v[134:135], v[124:125] op_sel:[0,1]
	s_delay_alu instid0(VALU_DEP_2) | instskip(NEXT) | instid1(VALU_DEP_2)
	v_pk_add_f32 v[74:75], v[74:75], v[138:139] neg_lo:[0,1] neg_hi:[0,1]
	v_pk_fma_f32 v[136:137], v[134:135], v[122:123], v[132:133] op_sel:[0,0,1] op_sel_hi:[1,1,0] neg_lo:[0,0,1] neg_hi:[0,0,1]
	v_pk_fma_f32 v[132:133], v[134:135], v[122:123], v[132:133] op_sel:[0,0,1] op_sel_hi:[1,0,0]
	s_delay_alu instid0(VALU_DEP_1) | instskip(SKIP_4) | instid1(VALU_DEP_1)
	v_mov_b32_e32 v137, v133
	ds_load_2addr_b64 v[132:135], v126 offset0:15 offset1:16
	v_pk_add_f32 v[76:77], v[76:77], v[136:137] neg_lo:[0,1] neg_hi:[0,1]
	s_wait_dscnt 0x0
	v_pk_mul_f32 v[136:137], v[132:133], v[124:125] op_sel:[0,1]
	v_pk_fma_f32 v[138:139], v[132:133], v[122:123], v[136:137] op_sel:[0,0,1] op_sel_hi:[1,1,0] neg_lo:[0,0,1] neg_hi:[0,0,1]
	v_pk_fma_f32 v[132:133], v[132:133], v[122:123], v[136:137] op_sel:[0,0,1] op_sel_hi:[1,0,0]
	v_dual_mul_f32 v136, v135, v125 :: v_dual_mov_b32 v132, v135
	s_delay_alu instid0(VALU_DEP_2) | instskip(NEXT) | instid1(VALU_DEP_2)
	v_dual_mov_b32 v139, v133 :: v_dual_mov_b32 v133, v134
	v_pk_fma_f32 v[136:137], v[134:135], v[114:115], v[136:137] op_sel_hi:[1,1,0] neg_lo:[0,0,1] neg_hi:[0,0,1]
	v_mul_f32_e32 v134, v135, v122
	s_delay_alu instid0(VALU_DEP_3) | instskip(NEXT) | instid1(VALU_DEP_2)
	v_pk_add_f32 v[72:73], v[72:73], v[138:139] neg_lo:[0,1] neg_hi:[0,1]
	v_pk_fma_f32 v[132:133], v[132:133], v[114:115], v[134:135] op_sel_hi:[1,1,0]
	s_delay_alu instid0(VALU_DEP_1) | instskip(SKIP_4) | instid1(VALU_DEP_1)
	v_mov_b32_e32 v137, v133
	ds_load_2addr_b64 v[132:135], v126 offset0:17 offset1:18
	v_pk_add_f32 v[104:105], v[104:105], v[136:137] neg_lo:[0,1] neg_hi:[0,1]
	s_wait_dscnt 0x0
	v_pk_mul_f32 v[136:137], v[132:133], v[124:125] op_sel:[0,1]
	v_pk_fma_f32 v[138:139], v[132:133], v[122:123], v[136:137] op_sel:[0,0,1] op_sel_hi:[1,1,0] neg_lo:[0,0,1] neg_hi:[0,0,1]
	v_pk_fma_f32 v[132:133], v[132:133], v[122:123], v[136:137] op_sel:[0,0,1] op_sel_hi:[1,0,0]
	s_delay_alu instid0(VALU_DEP_1) | instskip(SKIP_1) | instid1(VALU_DEP_1)
	v_mov_b32_e32 v139, v133
	v_pk_mul_f32 v[132:133], v[134:135], v[124:125] op_sel:[0,1]
	v_pk_fma_f32 v[136:137], v[134:135], v[122:123], v[132:133] op_sel:[0,0,1] op_sel_hi:[1,1,0] neg_lo:[0,0,1] neg_hi:[0,0,1]
	v_pk_fma_f32 v[132:133], v[134:135], v[122:123], v[132:133] op_sel:[0,0,1] op_sel_hi:[1,0,0]
	s_delay_alu instid0(VALU_DEP_1)
	v_mov_b32_e32 v137, v133
	ds_load_2addr_b64 v[132:135], v126 offset0:19 offset1:20
	v_pk_add_f32 v[66:67], v[66:67], v[138:139] neg_lo:[0,1] neg_hi:[0,1]
	v_pk_add_f32 v[68:69], v[68:69], v[136:137] neg_lo:[0,1] neg_hi:[0,1]
	s_wait_dscnt 0x0
	v_pk_mul_f32 v[136:137], v[132:133], v[124:125] op_sel:[0,1]
	s_delay_alu instid0(VALU_DEP_1) | instskip(SKIP_1) | instid1(VALU_DEP_1)
	v_pk_fma_f32 v[138:139], v[132:133], v[122:123], v[136:137] op_sel:[0,0,1] op_sel_hi:[1,1,0] neg_lo:[0,0,1] neg_hi:[0,0,1]
	v_pk_fma_f32 v[132:133], v[132:133], v[122:123], v[136:137] op_sel:[0,0,1] op_sel_hi:[1,0,0]
	v_mov_b32_e32 v139, v133
	v_pk_mul_f32 v[132:133], v[134:135], v[124:125] op_sel:[0,1]
	s_delay_alu instid0(VALU_DEP_1) | instskip(SKIP_1) | instid1(VALU_DEP_1)
	v_pk_fma_f32 v[136:137], v[134:135], v[122:123], v[132:133] op_sel:[0,0,1] op_sel_hi:[1,1,0] neg_lo:[0,0,1] neg_hi:[0,0,1]
	v_pk_fma_f32 v[132:133], v[134:135], v[122:123], v[132:133] op_sel:[0,0,1] op_sel_hi:[1,0,0]
	v_mov_b32_e32 v137, v133
	ds_load_2addr_b64 v[132:135], v126 offset0:21 offset1:22
	v_pk_add_f32 v[64:65], v[64:65], v[138:139] neg_lo:[0,1] neg_hi:[0,1]
	v_pk_add_f32 v[102:103], v[102:103], v[136:137] neg_lo:[0,1] neg_hi:[0,1]
	s_wait_dscnt 0x0
	v_dual_mul_f32 v136, v133, v125 :: v_dual_mul_f32 v138, v133, v122
	s_delay_alu instid0(VALU_DEP_1) | instskip(NEXT) | instid1(VALU_DEP_2)
	v_pk_fma_f32 v[136:137], v[132:133], v[114:115], v[136:137] op_sel_hi:[1,1,0] neg_lo:[0,0,1] neg_hi:[0,0,1]
	v_pk_fma_f32 v[132:133], v[132:133], v[114:115], v[138:139] op_sel:[1,0,0] op_sel_hi:[0,1,0]
	s_delay_alu instid0(VALU_DEP_1) | instskip(SKIP_1) | instid1(VALU_DEP_2)
	v_mov_b32_e32 v137, v133
	v_pk_mul_f32 v[132:133], v[134:135], v[124:125] op_sel:[0,1]
	v_pk_add_f32 v[58:59], v[58:59], v[136:137] neg_lo:[0,1] neg_hi:[0,1]
	s_delay_alu instid0(VALU_DEP_2) | instskip(SKIP_1) | instid1(VALU_DEP_1)
	v_pk_fma_f32 v[136:137], v[134:135], v[122:123], v[132:133] op_sel:[0,0,1] op_sel_hi:[1,1,0] neg_lo:[0,0,1] neg_hi:[0,0,1]
	v_pk_fma_f32 v[132:133], v[134:135], v[122:123], v[132:133] op_sel:[0,0,1] op_sel_hi:[1,0,0]
	v_mov_b32_e32 v137, v133
	ds_load_2addr_b64 v[132:135], v126 offset0:23 offset1:24
	v_pk_add_f32 v[62:63], v[62:63], v[136:137] neg_lo:[0,1] neg_hi:[0,1]
	s_wait_dscnt 0x0
	v_pk_mul_f32 v[136:137], v[132:133], v[124:125] op_sel:[0,1]
	s_delay_alu instid0(VALU_DEP_1) | instskip(SKIP_1) | instid1(VALU_DEP_1)
	v_pk_fma_f32 v[138:139], v[132:133], v[122:123], v[136:137] op_sel:[0,0,1] op_sel_hi:[1,1,0] neg_lo:[0,0,1] neg_hi:[0,0,1]
	v_pk_fma_f32 v[132:133], v[132:133], v[122:123], v[136:137] op_sel:[0,0,1] op_sel_hi:[1,0,0]
	v_mov_b32_e32 v139, v133
	v_pk_mul_f32 v[132:133], v[134:135], v[124:125] op_sel:[0,1]
	s_delay_alu instid0(VALU_DEP_2) | instskip(NEXT) | instid1(VALU_DEP_2)
	v_pk_add_f32 v[56:57], v[56:57], v[138:139] neg_lo:[0,1] neg_hi:[0,1]
	v_pk_fma_f32 v[136:137], v[134:135], v[122:123], v[132:133] op_sel:[0,0,1] op_sel_hi:[1,1,0] neg_lo:[0,0,1] neg_hi:[0,0,1]
	v_pk_fma_f32 v[132:133], v[134:135], v[122:123], v[132:133] op_sel:[0,0,1] op_sel_hi:[1,0,0]
	s_delay_alu instid0(VALU_DEP_1) | instskip(SKIP_4) | instid1(VALU_DEP_1)
	v_mov_b32_e32 v137, v133
	ds_load_2addr_b64 v[132:135], v126 offset0:25 offset1:26
	v_pk_add_f32 v[100:101], v[100:101], v[136:137] neg_lo:[0,1] neg_hi:[0,1]
	s_wait_dscnt 0x0
	v_pk_mul_f32 v[136:137], v[132:133], v[124:125] op_sel:[0,1]
	v_pk_fma_f32 v[138:139], v[132:133], v[122:123], v[136:137] op_sel:[0,0,1] op_sel_hi:[1,1,0] neg_lo:[0,0,1] neg_hi:[0,0,1]
	v_pk_fma_f32 v[132:133], v[132:133], v[122:123], v[136:137] op_sel:[0,0,1] op_sel_hi:[1,0,0]
	v_dual_mul_f32 v136, v135, v125 :: v_dual_mov_b32 v132, v135
	s_delay_alu instid0(VALU_DEP_2) | instskip(NEXT) | instid1(VALU_DEP_2)
	v_dual_mov_b32 v139, v133 :: v_dual_mov_b32 v133, v134
	v_pk_fma_f32 v[136:137], v[134:135], v[114:115], v[136:137] op_sel_hi:[1,1,0] neg_lo:[0,0,1] neg_hi:[0,0,1]
	v_mul_f32_e32 v134, v135, v122
	s_delay_alu instid0(VALU_DEP_3) | instskip(NEXT) | instid1(VALU_DEP_2)
	v_pk_add_f32 v[52:53], v[52:53], v[138:139] neg_lo:[0,1] neg_hi:[0,1]
	v_pk_fma_f32 v[132:133], v[132:133], v[114:115], v[134:135] op_sel_hi:[1,1,0]
	s_delay_alu instid0(VALU_DEP_1) | instskip(SKIP_4) | instid1(VALU_DEP_1)
	v_mov_b32_e32 v137, v133
	ds_load_2addr_b64 v[132:135], v126 offset0:27 offset1:28
	v_pk_add_f32 v[54:55], v[54:55], v[136:137] neg_lo:[0,1] neg_hi:[0,1]
	s_wait_dscnt 0x0
	v_pk_mul_f32 v[136:137], v[132:133], v[124:125] op_sel:[0,1]
	v_pk_fma_f32 v[138:139], v[132:133], v[122:123], v[136:137] op_sel:[0,0,1] op_sel_hi:[1,1,0] neg_lo:[0,0,1] neg_hi:[0,0,1]
	v_pk_fma_f32 v[132:133], v[132:133], v[122:123], v[136:137] op_sel:[0,0,1] op_sel_hi:[1,0,0]
	s_delay_alu instid0(VALU_DEP_1) | instskip(SKIP_1) | instid1(VALU_DEP_1)
	v_mov_b32_e32 v139, v133
	v_pk_mul_f32 v[132:133], v[134:135], v[124:125] op_sel:[0,1]
	v_pk_fma_f32 v[136:137], v[134:135], v[122:123], v[132:133] op_sel:[0,0,1] op_sel_hi:[1,1,0] neg_lo:[0,0,1] neg_hi:[0,0,1]
	v_pk_fma_f32 v[132:133], v[134:135], v[122:123], v[132:133] op_sel:[0,0,1] op_sel_hi:[1,0,0]
	s_delay_alu instid0(VALU_DEP_1)
	v_mov_b32_e32 v137, v133
	ds_load_2addr_b64 v[132:135], v126 offset0:29 offset1:30
	v_pk_add_f32 v[50:51], v[50:51], v[138:139] neg_lo:[0,1] neg_hi:[0,1]
	v_pk_add_f32 v[96:97], v[96:97], v[136:137] neg_lo:[0,1] neg_hi:[0,1]
	s_wait_dscnt 0x0
	v_pk_mul_f32 v[136:137], v[132:133], v[124:125] op_sel:[0,1]
	s_delay_alu instid0(VALU_DEP_1) | instskip(SKIP_1) | instid1(VALU_DEP_1)
	v_pk_fma_f32 v[138:139], v[132:133], v[122:123], v[136:137] op_sel:[0,0,1] op_sel_hi:[1,1,0] neg_lo:[0,0,1] neg_hi:[0,0,1]
	v_pk_fma_f32 v[132:133], v[132:133], v[122:123], v[136:137] op_sel:[0,0,1] op_sel_hi:[1,0,0]
	v_mov_b32_e32 v139, v133
	v_pk_mul_f32 v[132:133], v[134:135], v[124:125] op_sel:[0,1]
	s_delay_alu instid0(VALU_DEP_1) | instskip(SKIP_1) | instid1(VALU_DEP_1)
	v_pk_fma_f32 v[136:137], v[134:135], v[122:123], v[132:133] op_sel:[0,0,1] op_sel_hi:[1,1,0] neg_lo:[0,0,1] neg_hi:[0,0,1]
	v_pk_fma_f32 v[132:133], v[134:135], v[122:123], v[132:133] op_sel:[0,0,1] op_sel_hi:[1,0,0]
	v_mov_b32_e32 v137, v133
	ds_load_2addr_b64 v[132:135], v126 offset0:31 offset1:32
	v_pk_add_f32 v[46:47], v[46:47], v[138:139] neg_lo:[0,1] neg_hi:[0,1]
	v_pk_add_f32 v[48:49], v[48:49], v[136:137] neg_lo:[0,1] neg_hi:[0,1]
	s_wait_dscnt 0x0
	v_dual_mul_f32 v136, v133, v125 :: v_dual_mul_f32 v138, v133, v122
	s_delay_alu instid0(VALU_DEP_1) | instskip(NEXT) | instid1(VALU_DEP_2)
	v_pk_fma_f32 v[136:137], v[132:133], v[114:115], v[136:137] op_sel_hi:[1,1,0] neg_lo:[0,0,1] neg_hi:[0,0,1]
	v_pk_fma_f32 v[132:133], v[132:133], v[114:115], v[138:139] op_sel:[1,0,0] op_sel_hi:[0,1,0]
	s_delay_alu instid0(VALU_DEP_1) | instskip(SKIP_1) | instid1(VALU_DEP_2)
	v_mov_b32_e32 v137, v133
	v_pk_mul_f32 v[132:133], v[134:135], v[124:125] op_sel:[0,1]
	v_pk_add_f32 v[44:45], v[44:45], v[136:137] neg_lo:[0,1] neg_hi:[0,1]
	s_delay_alu instid0(VALU_DEP_2) | instskip(SKIP_1) | instid1(VALU_DEP_1)
	v_pk_fma_f32 v[136:137], v[134:135], v[122:123], v[132:133] op_sel:[0,0,1] op_sel_hi:[1,1,0] neg_lo:[0,0,1] neg_hi:[0,0,1]
	v_pk_fma_f32 v[132:133], v[134:135], v[122:123], v[132:133] op_sel:[0,0,1] op_sel_hi:[1,0,0]
	v_mov_b32_e32 v137, v133
	ds_load_2addr_b64 v[132:135], v126 offset0:33 offset1:34
	v_pk_add_f32 v[94:95], v[94:95], v[136:137] neg_lo:[0,1] neg_hi:[0,1]
	s_wait_dscnt 0x0
	v_pk_mul_f32 v[136:137], v[132:133], v[124:125] op_sel:[0,1]
	s_delay_alu instid0(VALU_DEP_1) | instskip(SKIP_1) | instid1(VALU_DEP_1)
	v_pk_fma_f32 v[138:139], v[132:133], v[122:123], v[136:137] op_sel:[0,0,1] op_sel_hi:[1,1,0] neg_lo:[0,0,1] neg_hi:[0,0,1]
	v_pk_fma_f32 v[132:133], v[132:133], v[122:123], v[136:137] op_sel:[0,0,1] op_sel_hi:[1,0,0]
	v_mov_b32_e32 v139, v133
	v_pk_mul_f32 v[132:133], v[134:135], v[124:125] op_sel:[0,1]
	s_delay_alu instid0(VALU_DEP_2) | instskip(NEXT) | instid1(VALU_DEP_2)
	v_pk_add_f32 v[38:39], v[38:39], v[138:139] neg_lo:[0,1] neg_hi:[0,1]
	v_pk_fma_f32 v[136:137], v[134:135], v[122:123], v[132:133] op_sel:[0,0,1] op_sel_hi:[1,1,0] neg_lo:[0,0,1] neg_hi:[0,0,1]
	v_pk_fma_f32 v[132:133], v[134:135], v[122:123], v[132:133] op_sel:[0,0,1] op_sel_hi:[1,0,0]
	s_delay_alu instid0(VALU_DEP_1) | instskip(SKIP_4) | instid1(VALU_DEP_1)
	v_mov_b32_e32 v137, v133
	ds_load_2addr_b64 v[132:135], v126 offset0:35 offset1:36
	v_pk_add_f32 v[40:41], v[40:41], v[136:137] neg_lo:[0,1] neg_hi:[0,1]
	s_wait_dscnt 0x0
	v_pk_mul_f32 v[136:137], v[132:133], v[124:125] op_sel:[0,1]
	v_pk_fma_f32 v[138:139], v[132:133], v[122:123], v[136:137] op_sel:[0,0,1] op_sel_hi:[1,1,0] neg_lo:[0,0,1] neg_hi:[0,0,1]
	v_pk_fma_f32 v[132:133], v[132:133], v[122:123], v[136:137] op_sel:[0,0,1] op_sel_hi:[1,0,0]
	v_dual_mul_f32 v136, v135, v125 :: v_dual_mov_b32 v132, v135
	s_delay_alu instid0(VALU_DEP_2) | instskip(NEXT) | instid1(VALU_DEP_2)
	v_dual_mov_b32 v139, v133 :: v_dual_mov_b32 v133, v134
	v_pk_fma_f32 v[136:137], v[134:135], v[114:115], v[136:137] op_sel_hi:[1,1,0] neg_lo:[0,0,1] neg_hi:[0,0,1]
	v_mul_f32_e32 v134, v135, v122
	s_delay_alu instid0(VALU_DEP_3) | instskip(NEXT) | instid1(VALU_DEP_2)
	v_pk_add_f32 v[36:37], v[36:37], v[138:139] neg_lo:[0,1] neg_hi:[0,1]
	v_pk_fma_f32 v[132:133], v[132:133], v[114:115], v[134:135] op_sel_hi:[1,1,0]
	s_delay_alu instid0(VALU_DEP_1) | instskip(SKIP_4) | instid1(VALU_DEP_1)
	v_mov_b32_e32 v137, v133
	ds_load_2addr_b64 v[132:135], v126 offset0:37 offset1:38
	v_pk_add_f32 v[92:93], v[92:93], v[136:137] neg_lo:[0,1] neg_hi:[0,1]
	s_wait_dscnt 0x0
	v_pk_mul_f32 v[136:137], v[132:133], v[124:125] op_sel:[0,1]
	v_pk_fma_f32 v[138:139], v[132:133], v[122:123], v[136:137] op_sel:[0,0,1] op_sel_hi:[1,1,0] neg_lo:[0,0,1] neg_hi:[0,0,1]
	v_pk_fma_f32 v[132:133], v[132:133], v[122:123], v[136:137] op_sel:[0,0,1] op_sel_hi:[1,0,0]
	s_delay_alu instid0(VALU_DEP_1) | instskip(SKIP_1) | instid1(VALU_DEP_1)
	v_mov_b32_e32 v139, v133
	v_pk_mul_f32 v[132:133], v[134:135], v[124:125] op_sel:[0,1]
	v_pk_fma_f32 v[136:137], v[134:135], v[122:123], v[132:133] op_sel:[0,0,1] op_sel_hi:[1,1,0] neg_lo:[0,0,1] neg_hi:[0,0,1]
	v_pk_fma_f32 v[132:133], v[134:135], v[122:123], v[132:133] op_sel:[0,0,1] op_sel_hi:[1,0,0]
	s_delay_alu instid0(VALU_DEP_1)
	v_mov_b32_e32 v137, v133
	ds_load_2addr_b64 v[132:135], v126 offset0:39 offset1:40
	v_pk_add_f32 v[32:33], v[32:33], v[138:139] neg_lo:[0,1] neg_hi:[0,1]
	v_pk_add_f32 v[34:35], v[34:35], v[136:137] neg_lo:[0,1] neg_hi:[0,1]
	s_wait_dscnt 0x0
	v_pk_mul_f32 v[136:137], v[132:133], v[124:125] op_sel:[0,1]
	s_delay_alu instid0(VALU_DEP_1) | instskip(SKIP_1) | instid1(VALU_DEP_1)
	v_pk_fma_f32 v[138:139], v[132:133], v[122:123], v[136:137] op_sel:[0,0,1] op_sel_hi:[1,1,0] neg_lo:[0,0,1] neg_hi:[0,0,1]
	v_pk_fma_f32 v[132:133], v[132:133], v[122:123], v[136:137] op_sel:[0,0,1] op_sel_hi:[1,0,0]
	v_mov_b32_e32 v139, v133
	v_pk_mul_f32 v[132:133], v[134:135], v[124:125] op_sel:[0,1]
	s_delay_alu instid0(VALU_DEP_1) | instskip(SKIP_1) | instid1(VALU_DEP_1)
	v_pk_fma_f32 v[136:137], v[134:135], v[122:123], v[132:133] op_sel:[0,0,1] op_sel_hi:[1,1,0] neg_lo:[0,0,1] neg_hi:[0,0,1]
	v_pk_fma_f32 v[132:133], v[134:135], v[122:123], v[132:133] op_sel:[0,0,1] op_sel_hi:[1,0,0]
	v_mov_b32_e32 v137, v133
	ds_load_2addr_b64 v[132:135], v126 offset0:41 offset1:42
	v_pk_add_f32 v[30:31], v[30:31], v[138:139] neg_lo:[0,1] neg_hi:[0,1]
	v_pk_add_f32 v[90:91], v[90:91], v[136:137] neg_lo:[0,1] neg_hi:[0,1]
	s_wait_dscnt 0x0
	v_dual_mul_f32 v136, v133, v125 :: v_dual_mul_f32 v138, v133, v122
	s_delay_alu instid0(VALU_DEP_1) | instskip(NEXT) | instid1(VALU_DEP_2)
	v_pk_fma_f32 v[136:137], v[132:133], v[114:115], v[136:137] op_sel_hi:[1,1,0] neg_lo:[0,0,1] neg_hi:[0,0,1]
	v_pk_fma_f32 v[132:133], v[132:133], v[114:115], v[138:139] op_sel:[1,0,0] op_sel_hi:[0,1,0]
	s_delay_alu instid0(VALU_DEP_1) | instskip(SKIP_1) | instid1(VALU_DEP_2)
	v_mov_b32_e32 v137, v133
	v_pk_mul_f32 v[132:133], v[134:135], v[124:125] op_sel:[0,1]
	v_pk_add_f32 v[24:25], v[24:25], v[136:137] neg_lo:[0,1] neg_hi:[0,1]
	s_delay_alu instid0(VALU_DEP_2) | instskip(SKIP_1) | instid1(VALU_DEP_1)
	v_pk_fma_f32 v[136:137], v[134:135], v[122:123], v[132:133] op_sel:[0,0,1] op_sel_hi:[1,1,0] neg_lo:[0,0,1] neg_hi:[0,0,1]
	v_pk_fma_f32 v[132:133], v[134:135], v[122:123], v[132:133] op_sel:[0,0,1] op_sel_hi:[1,0,0]
	v_mov_b32_e32 v137, v133
	ds_load_2addr_b64 v[132:135], v126 offset0:43 offset1:44
	v_pk_add_f32 v[26:27], v[26:27], v[136:137] neg_lo:[0,1] neg_hi:[0,1]
	s_wait_dscnt 0x0
	v_pk_mul_f32 v[136:137], v[132:133], v[124:125] op_sel:[0,1]
	s_delay_alu instid0(VALU_DEP_1) | instskip(SKIP_1) | instid1(VALU_DEP_1)
	v_pk_fma_f32 v[138:139], v[132:133], v[122:123], v[136:137] op_sel:[0,0,1] op_sel_hi:[1,1,0] neg_lo:[0,0,1] neg_hi:[0,0,1]
	v_pk_fma_f32 v[132:133], v[132:133], v[122:123], v[136:137] op_sel:[0,0,1] op_sel_hi:[1,0,0]
	v_mov_b32_e32 v139, v133
	v_pk_mul_f32 v[132:133], v[134:135], v[124:125] op_sel:[0,1]
	s_delay_alu instid0(VALU_DEP_2) | instskip(NEXT) | instid1(VALU_DEP_2)
	v_pk_add_f32 v[22:23], v[22:23], v[138:139] neg_lo:[0,1] neg_hi:[0,1]
	v_pk_fma_f32 v[136:137], v[134:135], v[122:123], v[132:133] op_sel:[0,0,1] op_sel_hi:[1,1,0] neg_lo:[0,0,1] neg_hi:[0,0,1]
	v_pk_fma_f32 v[132:133], v[134:135], v[122:123], v[132:133] op_sel:[0,0,1] op_sel_hi:[1,0,0]
	s_delay_alu instid0(VALU_DEP_1) | instskip(SKIP_4) | instid1(VALU_DEP_1)
	v_mov_b32_e32 v137, v133
	ds_load_2addr_b64 v[132:135], v126 offset0:45 offset1:46
	v_pk_add_f32 v[88:89], v[88:89], v[136:137] neg_lo:[0,1] neg_hi:[0,1]
	s_wait_dscnt 0x0
	v_pk_mul_f32 v[136:137], v[132:133], v[124:125] op_sel:[0,1]
	v_pk_fma_f32 v[138:139], v[132:133], v[122:123], v[136:137] op_sel:[0,0,1] op_sel_hi:[1,1,0] neg_lo:[0,0,1] neg_hi:[0,0,1]
	v_pk_fma_f32 v[132:133], v[132:133], v[122:123], v[136:137] op_sel:[0,0,1] op_sel_hi:[1,0,0]
	v_dual_mul_f32 v136, v135, v125 :: v_dual_mov_b32 v132, v135
	s_delay_alu instid0(VALU_DEP_2) | instskip(NEXT) | instid1(VALU_DEP_2)
	v_dual_mov_b32 v139, v133 :: v_dual_mov_b32 v133, v134
	v_pk_fma_f32 v[136:137], v[134:135], v[114:115], v[136:137] op_sel_hi:[1,1,0] neg_lo:[0,0,1] neg_hi:[0,0,1]
	v_mul_f32_e32 v134, v135, v122
	s_delay_alu instid0(VALU_DEP_3) | instskip(NEXT) | instid1(VALU_DEP_2)
	v_pk_add_f32 v[18:19], v[18:19], v[138:139] neg_lo:[0,1] neg_hi:[0,1]
	v_pk_fma_f32 v[132:133], v[132:133], v[114:115], v[134:135] op_sel_hi:[1,1,0]
	s_delay_alu instid0(VALU_DEP_1) | instskip(SKIP_4) | instid1(VALU_DEP_1)
	v_mov_b32_e32 v137, v133
	ds_load_2addr_b64 v[132:135], v126 offset0:47 offset1:48
	v_pk_add_f32 v[20:21], v[20:21], v[136:137] neg_lo:[0,1] neg_hi:[0,1]
	s_wait_dscnt 0x0
	v_pk_mul_f32 v[136:137], v[132:133], v[124:125] op_sel:[0,1]
	v_pk_fma_f32 v[138:139], v[132:133], v[122:123], v[136:137] op_sel:[0,0,1] op_sel_hi:[1,1,0] neg_lo:[0,0,1] neg_hi:[0,0,1]
	v_pk_fma_f32 v[132:133], v[132:133], v[122:123], v[136:137] op_sel:[0,0,1] op_sel_hi:[1,0,0]
	s_delay_alu instid0(VALU_DEP_1) | instskip(SKIP_1) | instid1(VALU_DEP_1)
	v_mov_b32_e32 v139, v133
	v_pk_mul_f32 v[132:133], v[134:135], v[124:125] op_sel:[0,1]
	v_pk_fma_f32 v[136:137], v[134:135], v[122:123], v[132:133] op_sel:[0,0,1] op_sel_hi:[1,1,0] neg_lo:[0,0,1] neg_hi:[0,0,1]
	v_pk_fma_f32 v[132:133], v[134:135], v[122:123], v[132:133] op_sel:[0,0,1] op_sel_hi:[1,0,0]
	s_delay_alu instid0(VALU_DEP_1)
	v_mov_b32_e32 v137, v133
	ds_load_2addr_b64 v[132:135], v126 offset0:49 offset1:50
	v_pk_add_f32 v[16:17], v[16:17], v[138:139] neg_lo:[0,1] neg_hi:[0,1]
	v_pk_add_f32 v[84:85], v[84:85], v[136:137] neg_lo:[0,1] neg_hi:[0,1]
	s_wait_dscnt 0x0
	v_pk_mul_f32 v[136:137], v[132:133], v[124:125] op_sel:[0,1]
	s_delay_alu instid0(VALU_DEP_1) | instskip(SKIP_1) | instid1(VALU_DEP_1)
	v_pk_fma_f32 v[138:139], v[132:133], v[122:123], v[136:137] op_sel:[0,0,1] op_sel_hi:[1,1,0] neg_lo:[0,0,1] neg_hi:[0,0,1]
	v_pk_fma_f32 v[132:133], v[132:133], v[122:123], v[136:137] op_sel:[0,0,1] op_sel_hi:[1,0,0]
	v_mov_b32_e32 v139, v133
	v_pk_mul_f32 v[132:133], v[134:135], v[124:125] op_sel:[0,1]
	s_delay_alu instid0(VALU_DEP_1) | instskip(SKIP_1) | instid1(VALU_DEP_1)
	v_pk_fma_f32 v[136:137], v[134:135], v[122:123], v[132:133] op_sel:[0,0,1] op_sel_hi:[1,1,0] neg_lo:[0,0,1] neg_hi:[0,0,1]
	v_pk_fma_f32 v[132:133], v[134:135], v[122:123], v[132:133] op_sel:[0,0,1] op_sel_hi:[1,0,0]
	v_mov_b32_e32 v137, v133
	ds_load_2addr_b64 v[132:135], v126 offset0:51 offset1:52
	v_pk_add_f32 v[10:11], v[10:11], v[138:139] neg_lo:[0,1] neg_hi:[0,1]
	v_pk_add_f32 v[12:13], v[12:13], v[136:137] neg_lo:[0,1] neg_hi:[0,1]
	s_wait_dscnt 0x0
	v_dual_mul_f32 v136, v133, v125 :: v_dual_mul_f32 v138, v133, v122
	s_delay_alu instid0(VALU_DEP_1) | instskip(NEXT) | instid1(VALU_DEP_2)
	v_pk_fma_f32 v[136:137], v[132:133], v[114:115], v[136:137] op_sel_hi:[1,1,0] neg_lo:[0,0,1] neg_hi:[0,0,1]
	v_pk_fma_f32 v[132:133], v[132:133], v[114:115], v[138:139] op_sel:[1,0,0] op_sel_hi:[0,1,0]
	s_delay_alu instid0(VALU_DEP_1) | instskip(SKIP_1) | instid1(VALU_DEP_2)
	v_mov_b32_e32 v137, v133
	v_pk_mul_f32 v[132:133], v[134:135], v[124:125] op_sel:[0,1]
	v_pk_add_f32 v[8:9], v[8:9], v[136:137] neg_lo:[0,1] neg_hi:[0,1]
	s_delay_alu instid0(VALU_DEP_2) | instskip(SKIP_1) | instid1(VALU_DEP_1)
	v_pk_fma_f32 v[136:137], v[134:135], v[122:123], v[132:133] op_sel:[0,0,1] op_sel_hi:[1,1,0] neg_lo:[0,0,1] neg_hi:[0,0,1]
	v_pk_fma_f32 v[132:133], v[134:135], v[122:123], v[132:133] op_sel:[0,0,1] op_sel_hi:[1,0,0]
	v_mov_b32_e32 v137, v133
	ds_load_2addr_b64 v[132:135], v126 offset0:53 offset1:54
	v_pk_add_f32 v[60:61], v[60:61], v[136:137] neg_lo:[0,1] neg_hi:[0,1]
	s_wait_dscnt 0x0
	v_pk_mul_f32 v[136:137], v[132:133], v[124:125] op_sel:[0,1]
	s_delay_alu instid0(VALU_DEP_1) | instskip(SKIP_1) | instid1(VALU_DEP_1)
	v_pk_fma_f32 v[138:139], v[132:133], v[122:123], v[136:137] op_sel:[0,0,1] op_sel_hi:[1,1,0] neg_lo:[0,0,1] neg_hi:[0,0,1]
	v_pk_fma_f32 v[132:133], v[132:133], v[122:123], v[136:137] op_sel:[0,0,1] op_sel_hi:[1,0,0]
	v_mov_b32_e32 v139, v133
	v_pk_mul_f32 v[132:133], v[134:135], v[124:125] op_sel:[0,1]
	s_delay_alu instid0(VALU_DEP_2) | instskip(NEXT) | instid1(VALU_DEP_2)
	v_pk_add_f32 v[6:7], v[6:7], v[138:139] neg_lo:[0,1] neg_hi:[0,1]
	v_pk_fma_f32 v[136:137], v[134:135], v[122:123], v[132:133] op_sel:[0,0,1] op_sel_hi:[1,1,0] neg_lo:[0,0,1] neg_hi:[0,0,1]
	v_pk_fma_f32 v[132:133], v[134:135], v[122:123], v[132:133] op_sel:[0,0,1] op_sel_hi:[1,0,0]
	s_delay_alu instid0(VALU_DEP_1) | instskip(SKIP_4) | instid1(VALU_DEP_1)
	v_mov_b32_e32 v137, v133
	ds_load_2addr_b64 v[132:135], v126 offset0:55 offset1:56
	v_pk_add_f32 v[42:43], v[42:43], v[136:137] neg_lo:[0,1] neg_hi:[0,1]
	s_wait_dscnt 0x0
	v_pk_mul_f32 v[136:137], v[132:133], v[124:125] op_sel:[0,1]
	v_pk_fma_f32 v[138:139], v[132:133], v[122:123], v[136:137] op_sel:[0,0,1] op_sel_hi:[1,1,0] neg_lo:[0,0,1] neg_hi:[0,0,1]
	v_pk_fma_f32 v[132:133], v[132:133], v[122:123], v[136:137] op_sel:[0,0,1] op_sel_hi:[1,0,0]
	v_dual_mul_f32 v136, v135, v125 :: v_dual_mov_b32 v132, v135
	s_delay_alu instid0(VALU_DEP_2) | instskip(NEXT) | instid1(VALU_DEP_2)
	v_dual_mov_b32 v139, v133 :: v_dual_mov_b32 v133, v134
	v_pk_fma_f32 v[136:137], v[134:135], v[114:115], v[136:137] op_sel_hi:[1,1,0] neg_lo:[0,0,1] neg_hi:[0,0,1]
	v_mul_f32_e32 v134, v135, v122
	s_delay_alu instid0(VALU_DEP_3) | instskip(NEXT) | instid1(VALU_DEP_2)
	v_pk_add_f32 v[28:29], v[28:29], v[138:139] neg_lo:[0,1] neg_hi:[0,1]
	v_pk_fma_f32 v[132:133], v[132:133], v[114:115], v[134:135] op_sel_hi:[1,1,0]
	s_delay_alu instid0(VALU_DEP_1) | instskip(SKIP_4) | instid1(VALU_DEP_1)
	v_mov_b32_e32 v137, v133
	ds_load_b64 v[132:133], v126 offset:456
	v_pk_add_f32 v[14:15], v[14:15], v[136:137] neg_lo:[0,1] neg_hi:[0,1]
	s_wait_dscnt 0x0
	v_pk_mul_f32 v[124:125], v[132:133], v[124:125] op_sel:[0,1]
	v_pk_fma_f32 v[134:135], v[132:133], v[122:123], v[124:125] op_sel:[0,0,1] op_sel_hi:[1,1,0] neg_lo:[0,0,1] neg_hi:[0,0,1]
	v_pk_fma_f32 v[122:123], v[132:133], v[122:123], v[124:125] op_sel:[0,0,1] op_sel_hi:[1,0,0]
	s_delay_alu instid0(VALU_DEP_1) | instskip(NEXT) | instid1(VALU_DEP_1)
	v_mov_b32_e32 v135, v123
	v_pk_add_f32 v[120:121], v[120:121], v[134:135] neg_lo:[0,1] neg_hi:[0,1]
.LBB114_62:
	s_or_b32 exec_lo, exec_lo, s0
	v_lshl_add_u32 v122, v130, 3, v126
	s_barrier_signal -1
	s_barrier_wait -1
	ds_store_b64 v122, v[112:113]
	s_wait_dscnt 0x0
	s_barrier_signal -1
	s_barrier_wait -1
	ds_load_b64 v[124:125], v126 offset:24
	v_mov_b32_e32 v122, 3
	s_cmp_lt_i32 s18, 5
	s_cbranch_scc1 .LBB114_65
; %bb.63:
	v_mov_b32_e32 v122, 3
	v_add3_u32 v123, v127, 0, 32
	s_mov_b32 s0, 4
.LBB114_64:                             ; =>This Inner Loop Header: Depth=1
	ds_load_b64 v[132:133], v123
	s_wait_dscnt 0x1
	v_cmp_gt_f32_e32 vcc_lo, 0, v124
	v_cndmask_b32_e64 v134, v124, -v124, vcc_lo
	v_cmp_gt_f32_e32 vcc_lo, 0, v125
	v_cndmask_b32_e64 v136, v125, -v125, vcc_lo
	s_wait_dscnt 0x0
	v_cmp_gt_f32_e32 vcc_lo, 0, v132
	v_cndmask_b32_e64 v135, v132, -v132, vcc_lo
	v_cmp_gt_f32_e32 vcc_lo, 0, v133
	v_cndmask_b32_e64 v137, v133, -v133, vcc_lo
	s_delay_alu instid0(VALU_DEP_1) | instskip(NEXT) | instid1(VALU_DEP_1)
	v_pk_add_f32 v[134:135], v[134:135], v[136:137]
	v_cmp_lt_f32_e32 vcc_lo, v134, v135
	v_dual_add_nc_u32 v123, 8, v123 :: v_dual_cndmask_b32 v125, v125, v133, vcc_lo
	v_cndmask_b32_e32 v124, v124, v132, vcc_lo
	v_cndmask_b32_e64 v122, v122, s0, vcc_lo
	s_add_co_i32 s0, s0, 1
	s_delay_alu instid0(SALU_CYCLE_1)
	s_cmp_lg_u32 s18, s0
	s_cbranch_scc1 .LBB114_64
.LBB114_65:
	s_wait_dscnt 0x0
	v_cmp_eq_f32_e32 vcc_lo, 0, v124
	v_cmp_eq_f32_e64 s0, 0, v125
	s_and_b32 s0, vcc_lo, s0
	s_delay_alu instid0(SALU_CYCLE_1) | instskip(NEXT) | instid1(SALU_CYCLE_1)
	s_and_saveexec_b32 s1, s0
	s_xor_b32 s0, exec_lo, s1
; %bb.66:
	v_cmp_ne_u32_e32 vcc_lo, 0, v128
	v_cndmask_b32_e32 v128, 4, v128, vcc_lo
; %bb.67:
	s_and_not1_saveexec_b32 s0, s0
	s_cbranch_execz .LBB114_73
; %bb.68:
	v_cmp_ngt_f32_e64 s1, |v124|, |v125|
	s_and_saveexec_b32 s12, s1
	s_delay_alu instid0(SALU_CYCLE_1)
	s_xor_b32 s1, exec_lo, s12
	s_cbranch_execz .LBB114_70
; %bb.69:
	v_div_scale_f32 v123, null, v125, v125, v124
	v_div_scale_f32 v133, vcc_lo, v124, v125, v124
	s_delay_alu instid0(VALU_DEP_2) | instskip(SKIP_1) | instid1(TRANS32_DEP_1)
	v_rcp_f32_e32 v131, v123
	v_nop
	v_fma_f32 v132, -v123, v131, 1.0
	s_delay_alu instid0(VALU_DEP_1) | instskip(NEXT) | instid1(VALU_DEP_1)
	v_fmac_f32_e32 v131, v132, v131
	v_mul_f32_e32 v132, v133, v131
	s_delay_alu instid0(VALU_DEP_1) | instskip(NEXT) | instid1(VALU_DEP_1)
	v_fma_f32 v134, -v123, v132, v133
	v_fmac_f32_e32 v132, v134, v131
	s_delay_alu instid0(VALU_DEP_1) | instskip(NEXT) | instid1(VALU_DEP_1)
	v_fma_f32 v123, -v123, v132, v133
	v_div_fmas_f32 v123, v123, v131, v132
	s_delay_alu instid0(VALU_DEP_1) | instskip(NEXT) | instid1(VALU_DEP_1)
	v_div_fixup_f32 v123, v123, v125, v124
	v_fmac_f32_e32 v125, v124, v123
	s_delay_alu instid0(VALU_DEP_1) | instskip(SKIP_1) | instid1(VALU_DEP_2)
	v_div_scale_f32 v124, null, v125, v125, 1.0
	v_div_scale_f32 v133, vcc_lo, 1.0, v125, 1.0
	v_rcp_f32_e32 v131, v124
	v_nop
	s_delay_alu instid0(TRANS32_DEP_1) | instskip(NEXT) | instid1(VALU_DEP_1)
	v_fma_f32 v132, -v124, v131, 1.0
	v_fmac_f32_e32 v131, v132, v131
	s_delay_alu instid0(VALU_DEP_1) | instskip(NEXT) | instid1(VALU_DEP_1)
	v_mul_f32_e32 v132, v133, v131
	v_fma_f32 v134, -v124, v132, v133
	s_delay_alu instid0(VALU_DEP_1) | instskip(NEXT) | instid1(VALU_DEP_1)
	v_fmac_f32_e32 v132, v134, v131
	v_fma_f32 v124, -v124, v132, v133
	s_delay_alu instid0(VALU_DEP_1) | instskip(NEXT) | instid1(VALU_DEP_1)
	v_div_fmas_f32 v124, v124, v131, v132
	v_div_fixup_f32 v125, v124, v125, 1.0
	s_delay_alu instid0(VALU_DEP_1)
	v_mul_f32_e32 v124, v123, v125
	v_xor_b32_e32 v125, 0x80000000, v125
.LBB114_70:
	s_and_not1_saveexec_b32 s1, s1
	s_cbranch_execz .LBB114_72
; %bb.71:
	s_delay_alu instid0(VALU_DEP_1) | instskip(SKIP_1) | instid1(VALU_DEP_2)
	v_div_scale_f32 v123, null, v124, v124, v125
	v_div_scale_f32 v133, vcc_lo, v125, v124, v125
	v_rcp_f32_e32 v131, v123
	v_nop
	s_delay_alu instid0(TRANS32_DEP_1) | instskip(NEXT) | instid1(VALU_DEP_1)
	v_fma_f32 v132, -v123, v131, 1.0
	v_fmac_f32_e32 v131, v132, v131
	s_delay_alu instid0(VALU_DEP_1) | instskip(NEXT) | instid1(VALU_DEP_1)
	v_mul_f32_e32 v132, v133, v131
	v_fma_f32 v134, -v123, v132, v133
	s_delay_alu instid0(VALU_DEP_1) | instskip(NEXT) | instid1(VALU_DEP_1)
	v_fmac_f32_e32 v132, v134, v131
	v_fma_f32 v123, -v123, v132, v133
	s_delay_alu instid0(VALU_DEP_1) | instskip(NEXT) | instid1(VALU_DEP_1)
	v_div_fmas_f32 v123, v123, v131, v132
	v_div_fixup_f32 v123, v123, v124, v125
	s_delay_alu instid0(VALU_DEP_1) | instskip(NEXT) | instid1(VALU_DEP_1)
	v_fmac_f32_e32 v124, v125, v123
	v_div_scale_f32 v125, null, v124, v124, 1.0
	s_delay_alu instid0(VALU_DEP_1) | instskip(SKIP_1) | instid1(TRANS32_DEP_1)
	v_rcp_f32_e32 v131, v125
	v_nop
	v_fma_f32 v132, -v125, v131, 1.0
	s_delay_alu instid0(VALU_DEP_1) | instskip(SKIP_1) | instid1(VALU_DEP_1)
	v_fmac_f32_e32 v131, v132, v131
	v_div_scale_f32 v132, vcc_lo, 1.0, v124, 1.0
	v_mul_f32_e32 v133, v132, v131
	s_delay_alu instid0(VALU_DEP_1) | instskip(NEXT) | instid1(VALU_DEP_1)
	v_fma_f32 v134, -v125, v133, v132
	v_fmac_f32_e32 v133, v134, v131
	s_delay_alu instid0(VALU_DEP_1) | instskip(NEXT) | instid1(VALU_DEP_1)
	v_fma_f32 v125, -v125, v133, v132
	v_div_fmas_f32 v125, v125, v131, v133
	s_delay_alu instid0(VALU_DEP_1) | instskip(NEXT) | instid1(VALU_DEP_1)
	v_div_fixup_f32 v124, v125, v124, 1.0
	v_mul_f32_e64 v125, v123, -v124
.LBB114_72:
	s_or_b32 exec_lo, exec_lo, s1
.LBB114_73:
	s_delay_alu instid0(SALU_CYCLE_1) | instskip(NEXT) | instid1(SALU_CYCLE_1)
	s_or_b32 exec_lo, exec_lo, s0
	s_mov_b32 s0, exec_lo
	v_cmpx_ne_u32_e64 v130, v122
	s_xor_b32 s0, exec_lo, s0
	s_cbranch_execz .LBB114_79
; %bb.74:
	s_mov_b32 s1, exec_lo
	v_cmpx_eq_u32_e32 3, v130
	s_cbranch_execz .LBB114_78
; %bb.75:
	v_cmp_ne_u32_e32 vcc_lo, 3, v122
	s_xor_b32 s12, s16, -1
	s_delay_alu instid0(SALU_CYCLE_1) | instskip(NEXT) | instid1(SALU_CYCLE_1)
	s_and_b32 s13, s12, vcc_lo
	s_and_saveexec_b32 s12, s13
	s_cbranch_execz .LBB114_77
; %bb.76:
	v_ashrrev_i32_e32 v123, 31, v122
	s_delay_alu instid0(VALU_DEP_1)
	v_lshl_add_u64 v[130:131], v[122:123], 2, v[4:5]
	s_clause 0x1
	global_load_b32 v123, v[130:131], off
	global_load_b32 v129, v[4:5], off offset:12
	s_wait_loadcnt 0x1
	global_store_b32 v[4:5], v123, off offset:12
	s_wait_loadcnt 0x0
	global_store_b32 v[130:131], v129, off
.LBB114_77:
	s_wait_xcnt 0x0
	s_or_b32 exec_lo, exec_lo, s12
	v_dual_mov_b32 v130, v122 :: v_dual_mov_b32 v129, v122
.LBB114_78:
	s_or_b32 exec_lo, exec_lo, s1
.LBB114_79:
	s_and_not1_saveexec_b32 s0, s0
	s_cbranch_execz .LBB114_81
; %bb.80:
	v_dual_mov_b32 v122, v110 :: v_dual_mov_b32 v123, v111
	v_dual_mov_b32 v130, v98 :: v_dual_mov_b32 v131, v99
	ds_store_2addr_b64 v126, v[122:123], v[130:131] offset0:4 offset1:5
	v_dual_mov_b32 v122, v86 :: v_dual_mov_b32 v123, v87
	v_dual_mov_b32 v130, v70 :: v_dual_mov_b32 v131, v71
	ds_store_2addr_b64 v126, v[122:123], v[130:131] offset0:6 offset1:7
	v_dual_mov_b32 v122, v108 :: v_dual_mov_b32 v123, v109
	v_dual_mov_b32 v130, v80 :: v_dual_mov_b32 v131, v81
	ds_store_2addr_b64 v126, v[122:123], v[130:131] offset0:8 offset1:9
	v_dual_mov_b32 v122, v82 :: v_dual_mov_b32 v123, v83
	v_dual_mov_b32 v130, v78 :: v_dual_mov_b32 v131, v79
	ds_store_2addr_b64 v126, v[122:123], v[130:131] offset0:10 offset1:11
	v_dual_mov_b32 v122, v106 :: v_dual_mov_b32 v123, v107
	v_dual_mov_b32 v130, v74 :: v_dual_mov_b32 v131, v75
	ds_store_2addr_b64 v126, v[122:123], v[130:131] offset0:12 offset1:13
	v_dual_mov_b32 v122, v76 :: v_dual_mov_b32 v123, v77
	v_dual_mov_b32 v130, v72 :: v_dual_mov_b32 v131, v73
	ds_store_2addr_b64 v126, v[122:123], v[130:131] offset0:14 offset1:15
	v_dual_mov_b32 v122, v104 :: v_dual_mov_b32 v123, v105
	v_dual_mov_b32 v130, v66 :: v_dual_mov_b32 v131, v67
	ds_store_2addr_b64 v126, v[122:123], v[130:131] offset0:16 offset1:17
	v_dual_mov_b32 v122, v68 :: v_dual_mov_b32 v123, v69
	v_dual_mov_b32 v130, v64 :: v_dual_mov_b32 v131, v65
	ds_store_2addr_b64 v126, v[122:123], v[130:131] offset0:18 offset1:19
	v_dual_mov_b32 v122, v102 :: v_dual_mov_b32 v123, v103
	v_dual_mov_b32 v130, v58 :: v_dual_mov_b32 v131, v59
	ds_store_2addr_b64 v126, v[122:123], v[130:131] offset0:20 offset1:21
	v_dual_mov_b32 v122, v62 :: v_dual_mov_b32 v123, v63
	v_dual_mov_b32 v130, v56 :: v_dual_mov_b32 v131, v57
	ds_store_2addr_b64 v126, v[122:123], v[130:131] offset0:22 offset1:23
	v_dual_mov_b32 v122, v100 :: v_dual_mov_b32 v123, v101
	v_dual_mov_b32 v130, v52 :: v_dual_mov_b32 v131, v53
	ds_store_2addr_b64 v126, v[122:123], v[130:131] offset0:24 offset1:25
	v_dual_mov_b32 v122, v54 :: v_dual_mov_b32 v123, v55
	v_dual_mov_b32 v130, v50 :: v_dual_mov_b32 v131, v51
	ds_store_2addr_b64 v126, v[122:123], v[130:131] offset0:26 offset1:27
	v_dual_mov_b32 v122, v96 :: v_dual_mov_b32 v123, v97
	v_dual_mov_b32 v130, v46 :: v_dual_mov_b32 v131, v47
	ds_store_2addr_b64 v126, v[122:123], v[130:131] offset0:28 offset1:29
	v_dual_mov_b32 v122, v48 :: v_dual_mov_b32 v123, v49
	v_dual_mov_b32 v130, v44 :: v_dual_mov_b32 v131, v45
	ds_store_2addr_b64 v126, v[122:123], v[130:131] offset0:30 offset1:31
	v_dual_mov_b32 v122, v94 :: v_dual_mov_b32 v123, v95
	v_dual_mov_b32 v130, v38 :: v_dual_mov_b32 v131, v39
	ds_store_2addr_b64 v126, v[122:123], v[130:131] offset0:32 offset1:33
	v_dual_mov_b32 v122, v40 :: v_dual_mov_b32 v123, v41
	v_dual_mov_b32 v130, v36 :: v_dual_mov_b32 v131, v37
	ds_store_2addr_b64 v126, v[122:123], v[130:131] offset0:34 offset1:35
	v_dual_mov_b32 v122, v92 :: v_dual_mov_b32 v123, v93
	v_dual_mov_b32 v130, v32 :: v_dual_mov_b32 v131, v33
	ds_store_2addr_b64 v126, v[122:123], v[130:131] offset0:36 offset1:37
	v_dual_mov_b32 v122, v34 :: v_dual_mov_b32 v123, v35
	v_dual_mov_b32 v130, v30 :: v_dual_mov_b32 v131, v31
	ds_store_2addr_b64 v126, v[122:123], v[130:131] offset0:38 offset1:39
	v_dual_mov_b32 v122, v90 :: v_dual_mov_b32 v123, v91
	v_dual_mov_b32 v130, v24 :: v_dual_mov_b32 v131, v25
	ds_store_2addr_b64 v126, v[122:123], v[130:131] offset0:40 offset1:41
	v_dual_mov_b32 v122, v26 :: v_dual_mov_b32 v123, v27
	v_dual_mov_b32 v130, v22 :: v_dual_mov_b32 v131, v23
	ds_store_2addr_b64 v126, v[122:123], v[130:131] offset0:42 offset1:43
	v_dual_mov_b32 v122, v88 :: v_dual_mov_b32 v123, v89
	v_dual_mov_b32 v130, v18 :: v_dual_mov_b32 v131, v19
	ds_store_2addr_b64 v126, v[122:123], v[130:131] offset0:44 offset1:45
	v_dual_mov_b32 v122, v20 :: v_dual_mov_b32 v123, v21
	v_dual_mov_b32 v130, v16 :: v_dual_mov_b32 v131, v17
	ds_store_2addr_b64 v126, v[122:123], v[130:131] offset0:46 offset1:47
	v_dual_mov_b32 v122, v84 :: v_dual_mov_b32 v123, v85
	v_dual_mov_b32 v130, v10 :: v_dual_mov_b32 v131, v11
	ds_store_2addr_b64 v126, v[122:123], v[130:131] offset0:48 offset1:49
	v_dual_mov_b32 v122, v12 :: v_dual_mov_b32 v123, v13
	v_dual_mov_b32 v130, v8 :: v_dual_mov_b32 v131, v9
	ds_store_2addr_b64 v126, v[122:123], v[130:131] offset0:50 offset1:51
	v_dual_mov_b32 v122, v60 :: v_dual_mov_b32 v123, v61
	v_dual_mov_b32 v130, v6 :: v_dual_mov_b32 v131, v7
	ds_store_2addr_b64 v126, v[122:123], v[130:131] offset0:52 offset1:53
	v_dual_mov_b32 v122, v42 :: v_dual_mov_b32 v123, v43
	v_dual_mov_b32 v130, v28 :: v_dual_mov_b32 v131, v29
	ds_store_2addr_b64 v126, v[122:123], v[130:131] offset0:54 offset1:55
	v_dual_mov_b32 v122, v14 :: v_dual_mov_b32 v123, v15
	v_mov_b32_e32 v130, 3
	ds_store_2addr_b64 v126, v[122:123], v[120:121] offset0:56 offset1:57
.LBB114_81:
	s_or_b32 exec_lo, exec_lo, s0
	s_delay_alu instid0(SALU_CYCLE_1)
	s_mov_b32 s0, exec_lo
	s_wait_storecnt_dscnt 0x0
	s_barrier_signal -1
	s_barrier_wait -1
	v_cmpx_lt_i32_e32 3, v130
	s_cbranch_execz .LBB114_83
; %bb.82:
	v_pk_mul_f32 v[132:133], v[124:125], v[112:113] op_sel:[1,1] op_sel_hi:[0,1]
	s_delay_alu instid0(VALU_DEP_1)
	v_pk_fma_f32 v[122:123], v[124:125], v[112:113], v[132:133] op_sel_hi:[1,0,1] neg_lo:[0,0,1] neg_hi:[0,0,1]
	v_pk_fma_f32 v[124:125], v[124:125], v[112:113], v[132:133] op_sel_hi:[1,0,1]
	ds_load_2addr_b64 v[132:135], v126 offset0:4 offset1:5
	v_dual_mov_b32 v112, v122 :: v_dual_mov_b32 v113, v125
	s_wait_dscnt 0x0
	v_pk_mul_f32 v[136:137], v[132:133], v[124:125] op_sel:[0,1]
	s_delay_alu instid0(VALU_DEP_1) | instskip(SKIP_1) | instid1(VALU_DEP_1)
	v_pk_fma_f32 v[138:139], v[132:133], v[122:123], v[136:137] op_sel:[0,0,1] op_sel_hi:[1,1,0] neg_lo:[0,0,1] neg_hi:[0,0,1]
	v_pk_fma_f32 v[132:133], v[132:133], v[122:123], v[136:137] op_sel:[0,0,1] op_sel_hi:[1,0,0]
	v_mov_b32_e32 v139, v133
	v_pk_mul_f32 v[132:133], v[134:135], v[124:125] op_sel:[0,1]
	s_delay_alu instid0(VALU_DEP_1) | instskip(SKIP_1) | instid1(VALU_DEP_1)
	v_pk_fma_f32 v[136:137], v[134:135], v[122:123], v[132:133] op_sel:[0,0,1] op_sel_hi:[1,1,0] neg_lo:[0,0,1] neg_hi:[0,0,1]
	v_pk_fma_f32 v[132:133], v[134:135], v[122:123], v[132:133] op_sel:[0,0,1] op_sel_hi:[1,0,0]
	v_mov_b32_e32 v137, v133
	ds_load_2addr_b64 v[132:135], v126 offset0:6 offset1:7
	v_pk_add_f32 v[110:111], v[110:111], v[138:139] neg_lo:[0,1] neg_hi:[0,1]
	v_pk_add_f32 v[98:99], v[98:99], v[136:137] neg_lo:[0,1] neg_hi:[0,1]
	s_wait_dscnt 0x0
	v_pk_mul_f32 v[136:137], v[132:133], v[124:125] op_sel:[0,1]
	s_delay_alu instid0(VALU_DEP_1) | instskip(SKIP_2) | instid1(VALU_DEP_2)
	v_pk_fma_f32 v[138:139], v[132:133], v[122:123], v[136:137] op_sel:[0,0,1] op_sel_hi:[1,1,0] neg_lo:[0,0,1] neg_hi:[0,0,1]
	v_pk_fma_f32 v[132:133], v[132:133], v[122:123], v[136:137] op_sel:[0,0,1] op_sel_hi:[1,0,0]
	v_dual_mul_f32 v136, v135, v125 :: v_dual_mov_b32 v132, v135
	v_dual_mov_b32 v139, v133 :: v_dual_mov_b32 v133, v134
	s_delay_alu instid0(VALU_DEP_2) | instskip(SKIP_1) | instid1(VALU_DEP_3)
	v_pk_fma_f32 v[136:137], v[134:135], v[112:113], v[136:137] op_sel_hi:[1,1,0] neg_lo:[0,0,1] neg_hi:[0,0,1]
	v_mul_f32_e32 v134, v135, v122
	v_pk_add_f32 v[86:87], v[86:87], v[138:139] neg_lo:[0,1] neg_hi:[0,1]
	s_delay_alu instid0(VALU_DEP_2) | instskip(NEXT) | instid1(VALU_DEP_1)
	v_pk_fma_f32 v[132:133], v[132:133], v[112:113], v[134:135] op_sel_hi:[1,1,0]
	v_mov_b32_e32 v137, v133
	ds_load_2addr_b64 v[132:135], v126 offset0:8 offset1:9
	v_pk_add_f32 v[70:71], v[70:71], v[136:137] neg_lo:[0,1] neg_hi:[0,1]
	s_wait_dscnt 0x0
	v_pk_mul_f32 v[136:137], v[132:133], v[124:125] op_sel:[0,1]
	s_delay_alu instid0(VALU_DEP_1) | instskip(SKIP_1) | instid1(VALU_DEP_1)
	v_pk_fma_f32 v[138:139], v[132:133], v[122:123], v[136:137] op_sel:[0,0,1] op_sel_hi:[1,1,0] neg_lo:[0,0,1] neg_hi:[0,0,1]
	v_pk_fma_f32 v[132:133], v[132:133], v[122:123], v[136:137] op_sel:[0,0,1] op_sel_hi:[1,0,0]
	v_mov_b32_e32 v139, v133
	v_pk_mul_f32 v[132:133], v[134:135], v[124:125] op_sel:[0,1]
	s_delay_alu instid0(VALU_DEP_1) | instskip(SKIP_1) | instid1(VALU_DEP_1)
	v_pk_fma_f32 v[136:137], v[134:135], v[122:123], v[132:133] op_sel:[0,0,1] op_sel_hi:[1,1,0] neg_lo:[0,0,1] neg_hi:[0,0,1]
	v_pk_fma_f32 v[132:133], v[134:135], v[122:123], v[132:133] op_sel:[0,0,1] op_sel_hi:[1,0,0]
	v_mov_b32_e32 v137, v133
	ds_load_2addr_b64 v[132:135], v126 offset0:10 offset1:11
	v_pk_add_f32 v[108:109], v[108:109], v[138:139] neg_lo:[0,1] neg_hi:[0,1]
	v_pk_add_f32 v[80:81], v[80:81], v[136:137] neg_lo:[0,1] neg_hi:[0,1]
	s_wait_dscnt 0x0
	v_pk_mul_f32 v[136:137], v[132:133], v[124:125] op_sel:[0,1]
	s_delay_alu instid0(VALU_DEP_1) | instskip(SKIP_1) | instid1(VALU_DEP_1)
	v_pk_fma_f32 v[138:139], v[132:133], v[122:123], v[136:137] op_sel:[0,0,1] op_sel_hi:[1,1,0] neg_lo:[0,0,1] neg_hi:[0,0,1]
	v_pk_fma_f32 v[132:133], v[132:133], v[122:123], v[136:137] op_sel:[0,0,1] op_sel_hi:[1,0,0]
	v_mov_b32_e32 v139, v133
	v_pk_mul_f32 v[132:133], v[134:135], v[124:125] op_sel:[0,1]
	s_delay_alu instid0(VALU_DEP_1) | instskip(SKIP_1) | instid1(VALU_DEP_1)
	v_pk_fma_f32 v[136:137], v[134:135], v[122:123], v[132:133] op_sel:[0,0,1] op_sel_hi:[1,1,0] neg_lo:[0,0,1] neg_hi:[0,0,1]
	v_pk_fma_f32 v[132:133], v[134:135], v[122:123], v[132:133] op_sel:[0,0,1] op_sel_hi:[1,0,0]
	v_mov_b32_e32 v137, v133
	ds_load_2addr_b64 v[132:135], v126 offset0:12 offset1:13
	v_pk_add_f32 v[82:83], v[82:83], v[138:139] neg_lo:[0,1] neg_hi:[0,1]
	v_pk_add_f32 v[78:79], v[78:79], v[136:137] neg_lo:[0,1] neg_hi:[0,1]
	s_wait_dscnt 0x0
	v_dual_mul_f32 v136, v133, v125 :: v_dual_mul_f32 v138, v133, v122
	s_delay_alu instid0(VALU_DEP_1) | instskip(NEXT) | instid1(VALU_DEP_2)
	v_pk_fma_f32 v[136:137], v[132:133], v[112:113], v[136:137] op_sel_hi:[1,1,0] neg_lo:[0,0,1] neg_hi:[0,0,1]
	v_pk_fma_f32 v[132:133], v[132:133], v[112:113], v[138:139] op_sel:[1,0,0] op_sel_hi:[0,1,0]
	s_delay_alu instid0(VALU_DEP_1) | instskip(SKIP_1) | instid1(VALU_DEP_2)
	v_mov_b32_e32 v137, v133
	v_pk_mul_f32 v[132:133], v[134:135], v[124:125] op_sel:[0,1]
	v_pk_add_f32 v[106:107], v[106:107], v[136:137] neg_lo:[0,1] neg_hi:[0,1]
	s_delay_alu instid0(VALU_DEP_2) | instskip(SKIP_1) | instid1(VALU_DEP_1)
	v_pk_fma_f32 v[136:137], v[134:135], v[122:123], v[132:133] op_sel:[0,0,1] op_sel_hi:[1,1,0] neg_lo:[0,0,1] neg_hi:[0,0,1]
	v_pk_fma_f32 v[132:133], v[134:135], v[122:123], v[132:133] op_sel:[0,0,1] op_sel_hi:[1,0,0]
	v_mov_b32_e32 v137, v133
	ds_load_2addr_b64 v[132:135], v126 offset0:14 offset1:15
	v_pk_add_f32 v[74:75], v[74:75], v[136:137] neg_lo:[0,1] neg_hi:[0,1]
	s_wait_dscnt 0x0
	v_pk_mul_f32 v[136:137], v[132:133], v[124:125] op_sel:[0,1]
	s_delay_alu instid0(VALU_DEP_1) | instskip(SKIP_1) | instid1(VALU_DEP_1)
	v_pk_fma_f32 v[138:139], v[132:133], v[122:123], v[136:137] op_sel:[0,0,1] op_sel_hi:[1,1,0] neg_lo:[0,0,1] neg_hi:[0,0,1]
	v_pk_fma_f32 v[132:133], v[132:133], v[122:123], v[136:137] op_sel:[0,0,1] op_sel_hi:[1,0,0]
	v_mov_b32_e32 v139, v133
	v_pk_mul_f32 v[132:133], v[134:135], v[124:125] op_sel:[0,1]
	s_delay_alu instid0(VALU_DEP_2) | instskip(NEXT) | instid1(VALU_DEP_2)
	v_pk_add_f32 v[76:77], v[76:77], v[138:139] neg_lo:[0,1] neg_hi:[0,1]
	v_pk_fma_f32 v[136:137], v[134:135], v[122:123], v[132:133] op_sel:[0,0,1] op_sel_hi:[1,1,0] neg_lo:[0,0,1] neg_hi:[0,0,1]
	v_pk_fma_f32 v[132:133], v[134:135], v[122:123], v[132:133] op_sel:[0,0,1] op_sel_hi:[1,0,0]
	s_delay_alu instid0(VALU_DEP_1) | instskip(SKIP_4) | instid1(VALU_DEP_1)
	v_mov_b32_e32 v137, v133
	ds_load_2addr_b64 v[132:135], v126 offset0:16 offset1:17
	v_pk_add_f32 v[72:73], v[72:73], v[136:137] neg_lo:[0,1] neg_hi:[0,1]
	s_wait_dscnt 0x0
	v_pk_mul_f32 v[136:137], v[132:133], v[124:125] op_sel:[0,1]
	v_pk_fma_f32 v[138:139], v[132:133], v[122:123], v[136:137] op_sel:[0,0,1] op_sel_hi:[1,1,0] neg_lo:[0,0,1] neg_hi:[0,0,1]
	v_pk_fma_f32 v[132:133], v[132:133], v[122:123], v[136:137] op_sel:[0,0,1] op_sel_hi:[1,0,0]
	v_dual_mul_f32 v136, v135, v125 :: v_dual_mov_b32 v132, v135
	s_delay_alu instid0(VALU_DEP_2) | instskip(NEXT) | instid1(VALU_DEP_2)
	v_dual_mov_b32 v139, v133 :: v_dual_mov_b32 v133, v134
	v_pk_fma_f32 v[136:137], v[134:135], v[112:113], v[136:137] op_sel_hi:[1,1,0] neg_lo:[0,0,1] neg_hi:[0,0,1]
	v_mul_f32_e32 v134, v135, v122
	s_delay_alu instid0(VALU_DEP_3) | instskip(NEXT) | instid1(VALU_DEP_2)
	v_pk_add_f32 v[104:105], v[104:105], v[138:139] neg_lo:[0,1] neg_hi:[0,1]
	v_pk_fma_f32 v[132:133], v[132:133], v[112:113], v[134:135] op_sel_hi:[1,1,0]
	s_delay_alu instid0(VALU_DEP_1) | instskip(SKIP_4) | instid1(VALU_DEP_1)
	v_mov_b32_e32 v137, v133
	ds_load_2addr_b64 v[132:135], v126 offset0:18 offset1:19
	v_pk_add_f32 v[66:67], v[66:67], v[136:137] neg_lo:[0,1] neg_hi:[0,1]
	s_wait_dscnt 0x0
	v_pk_mul_f32 v[136:137], v[132:133], v[124:125] op_sel:[0,1]
	v_pk_fma_f32 v[138:139], v[132:133], v[122:123], v[136:137] op_sel:[0,0,1] op_sel_hi:[1,1,0] neg_lo:[0,0,1] neg_hi:[0,0,1]
	v_pk_fma_f32 v[132:133], v[132:133], v[122:123], v[136:137] op_sel:[0,0,1] op_sel_hi:[1,0,0]
	s_delay_alu instid0(VALU_DEP_1) | instskip(SKIP_1) | instid1(VALU_DEP_1)
	v_mov_b32_e32 v139, v133
	v_pk_mul_f32 v[132:133], v[134:135], v[124:125] op_sel:[0,1]
	v_pk_fma_f32 v[136:137], v[134:135], v[122:123], v[132:133] op_sel:[0,0,1] op_sel_hi:[1,1,0] neg_lo:[0,0,1] neg_hi:[0,0,1]
	v_pk_fma_f32 v[132:133], v[134:135], v[122:123], v[132:133] op_sel:[0,0,1] op_sel_hi:[1,0,0]
	s_delay_alu instid0(VALU_DEP_1)
	v_mov_b32_e32 v137, v133
	ds_load_2addr_b64 v[132:135], v126 offset0:20 offset1:21
	v_pk_add_f32 v[68:69], v[68:69], v[138:139] neg_lo:[0,1] neg_hi:[0,1]
	v_pk_add_f32 v[64:65], v[64:65], v[136:137] neg_lo:[0,1] neg_hi:[0,1]
	s_wait_dscnt 0x0
	v_pk_mul_f32 v[136:137], v[132:133], v[124:125] op_sel:[0,1]
	s_delay_alu instid0(VALU_DEP_1) | instskip(SKIP_1) | instid1(VALU_DEP_1)
	v_pk_fma_f32 v[138:139], v[132:133], v[122:123], v[136:137] op_sel:[0,0,1] op_sel_hi:[1,1,0] neg_lo:[0,0,1] neg_hi:[0,0,1]
	v_pk_fma_f32 v[132:133], v[132:133], v[122:123], v[136:137] op_sel:[0,0,1] op_sel_hi:[1,0,0]
	v_mov_b32_e32 v139, v133
	v_pk_mul_f32 v[132:133], v[134:135], v[124:125] op_sel:[0,1]
	s_delay_alu instid0(VALU_DEP_1) | instskip(SKIP_1) | instid1(VALU_DEP_1)
	v_pk_fma_f32 v[136:137], v[134:135], v[122:123], v[132:133] op_sel:[0,0,1] op_sel_hi:[1,1,0] neg_lo:[0,0,1] neg_hi:[0,0,1]
	v_pk_fma_f32 v[132:133], v[134:135], v[122:123], v[132:133] op_sel:[0,0,1] op_sel_hi:[1,0,0]
	v_mov_b32_e32 v137, v133
	ds_load_2addr_b64 v[132:135], v126 offset0:22 offset1:23
	v_pk_add_f32 v[102:103], v[102:103], v[138:139] neg_lo:[0,1] neg_hi:[0,1]
	v_pk_add_f32 v[58:59], v[58:59], v[136:137] neg_lo:[0,1] neg_hi:[0,1]
	s_wait_dscnt 0x0
	v_dual_mul_f32 v136, v133, v125 :: v_dual_mul_f32 v138, v133, v122
	s_delay_alu instid0(VALU_DEP_1) | instskip(NEXT) | instid1(VALU_DEP_2)
	v_pk_fma_f32 v[136:137], v[132:133], v[112:113], v[136:137] op_sel_hi:[1,1,0] neg_lo:[0,0,1] neg_hi:[0,0,1]
	v_pk_fma_f32 v[132:133], v[132:133], v[112:113], v[138:139] op_sel:[1,0,0] op_sel_hi:[0,1,0]
	s_delay_alu instid0(VALU_DEP_1) | instskip(SKIP_1) | instid1(VALU_DEP_2)
	v_mov_b32_e32 v137, v133
	v_pk_mul_f32 v[132:133], v[134:135], v[124:125] op_sel:[0,1]
	v_pk_add_f32 v[62:63], v[62:63], v[136:137] neg_lo:[0,1] neg_hi:[0,1]
	s_delay_alu instid0(VALU_DEP_2) | instskip(SKIP_1) | instid1(VALU_DEP_1)
	v_pk_fma_f32 v[136:137], v[134:135], v[122:123], v[132:133] op_sel:[0,0,1] op_sel_hi:[1,1,0] neg_lo:[0,0,1] neg_hi:[0,0,1]
	v_pk_fma_f32 v[132:133], v[134:135], v[122:123], v[132:133] op_sel:[0,0,1] op_sel_hi:[1,0,0]
	v_mov_b32_e32 v137, v133
	ds_load_2addr_b64 v[132:135], v126 offset0:24 offset1:25
	v_pk_add_f32 v[56:57], v[56:57], v[136:137] neg_lo:[0,1] neg_hi:[0,1]
	s_wait_dscnt 0x0
	v_pk_mul_f32 v[136:137], v[132:133], v[124:125] op_sel:[0,1]
	s_delay_alu instid0(VALU_DEP_1) | instskip(SKIP_1) | instid1(VALU_DEP_1)
	v_pk_fma_f32 v[138:139], v[132:133], v[122:123], v[136:137] op_sel:[0,0,1] op_sel_hi:[1,1,0] neg_lo:[0,0,1] neg_hi:[0,0,1]
	v_pk_fma_f32 v[132:133], v[132:133], v[122:123], v[136:137] op_sel:[0,0,1] op_sel_hi:[1,0,0]
	v_mov_b32_e32 v139, v133
	v_pk_mul_f32 v[132:133], v[134:135], v[124:125] op_sel:[0,1]
	s_delay_alu instid0(VALU_DEP_2) | instskip(NEXT) | instid1(VALU_DEP_2)
	v_pk_add_f32 v[100:101], v[100:101], v[138:139] neg_lo:[0,1] neg_hi:[0,1]
	v_pk_fma_f32 v[136:137], v[134:135], v[122:123], v[132:133] op_sel:[0,0,1] op_sel_hi:[1,1,0] neg_lo:[0,0,1] neg_hi:[0,0,1]
	v_pk_fma_f32 v[132:133], v[134:135], v[122:123], v[132:133] op_sel:[0,0,1] op_sel_hi:[1,0,0]
	s_delay_alu instid0(VALU_DEP_1) | instskip(SKIP_4) | instid1(VALU_DEP_1)
	v_mov_b32_e32 v137, v133
	ds_load_2addr_b64 v[132:135], v126 offset0:26 offset1:27
	v_pk_add_f32 v[52:53], v[52:53], v[136:137] neg_lo:[0,1] neg_hi:[0,1]
	s_wait_dscnt 0x0
	v_pk_mul_f32 v[136:137], v[132:133], v[124:125] op_sel:[0,1]
	v_pk_fma_f32 v[138:139], v[132:133], v[122:123], v[136:137] op_sel:[0,0,1] op_sel_hi:[1,1,0] neg_lo:[0,0,1] neg_hi:[0,0,1]
	v_pk_fma_f32 v[132:133], v[132:133], v[122:123], v[136:137] op_sel:[0,0,1] op_sel_hi:[1,0,0]
	v_dual_mul_f32 v136, v135, v125 :: v_dual_mov_b32 v132, v135
	s_delay_alu instid0(VALU_DEP_2) | instskip(NEXT) | instid1(VALU_DEP_2)
	v_dual_mov_b32 v139, v133 :: v_dual_mov_b32 v133, v134
	v_pk_fma_f32 v[136:137], v[134:135], v[112:113], v[136:137] op_sel_hi:[1,1,0] neg_lo:[0,0,1] neg_hi:[0,0,1]
	v_mul_f32_e32 v134, v135, v122
	s_delay_alu instid0(VALU_DEP_3) | instskip(NEXT) | instid1(VALU_DEP_2)
	v_pk_add_f32 v[54:55], v[54:55], v[138:139] neg_lo:[0,1] neg_hi:[0,1]
	v_pk_fma_f32 v[132:133], v[132:133], v[112:113], v[134:135] op_sel_hi:[1,1,0]
	s_delay_alu instid0(VALU_DEP_1) | instskip(SKIP_4) | instid1(VALU_DEP_1)
	v_mov_b32_e32 v137, v133
	ds_load_2addr_b64 v[132:135], v126 offset0:28 offset1:29
	v_pk_add_f32 v[50:51], v[50:51], v[136:137] neg_lo:[0,1] neg_hi:[0,1]
	s_wait_dscnt 0x0
	v_pk_mul_f32 v[136:137], v[132:133], v[124:125] op_sel:[0,1]
	v_pk_fma_f32 v[138:139], v[132:133], v[122:123], v[136:137] op_sel:[0,0,1] op_sel_hi:[1,1,0] neg_lo:[0,0,1] neg_hi:[0,0,1]
	v_pk_fma_f32 v[132:133], v[132:133], v[122:123], v[136:137] op_sel:[0,0,1] op_sel_hi:[1,0,0]
	s_delay_alu instid0(VALU_DEP_1) | instskip(SKIP_1) | instid1(VALU_DEP_1)
	v_mov_b32_e32 v139, v133
	v_pk_mul_f32 v[132:133], v[134:135], v[124:125] op_sel:[0,1]
	v_pk_fma_f32 v[136:137], v[134:135], v[122:123], v[132:133] op_sel:[0,0,1] op_sel_hi:[1,1,0] neg_lo:[0,0,1] neg_hi:[0,0,1]
	v_pk_fma_f32 v[132:133], v[134:135], v[122:123], v[132:133] op_sel:[0,0,1] op_sel_hi:[1,0,0]
	s_delay_alu instid0(VALU_DEP_1)
	v_mov_b32_e32 v137, v133
	ds_load_2addr_b64 v[132:135], v126 offset0:30 offset1:31
	v_pk_add_f32 v[96:97], v[96:97], v[138:139] neg_lo:[0,1] neg_hi:[0,1]
	v_pk_add_f32 v[46:47], v[46:47], v[136:137] neg_lo:[0,1] neg_hi:[0,1]
	s_wait_dscnt 0x0
	v_pk_mul_f32 v[136:137], v[132:133], v[124:125] op_sel:[0,1]
	s_delay_alu instid0(VALU_DEP_1) | instskip(SKIP_1) | instid1(VALU_DEP_1)
	v_pk_fma_f32 v[138:139], v[132:133], v[122:123], v[136:137] op_sel:[0,0,1] op_sel_hi:[1,1,0] neg_lo:[0,0,1] neg_hi:[0,0,1]
	v_pk_fma_f32 v[132:133], v[132:133], v[122:123], v[136:137] op_sel:[0,0,1] op_sel_hi:[1,0,0]
	v_mov_b32_e32 v139, v133
	v_pk_mul_f32 v[132:133], v[134:135], v[124:125] op_sel:[0,1]
	s_delay_alu instid0(VALU_DEP_1) | instskip(SKIP_1) | instid1(VALU_DEP_1)
	v_pk_fma_f32 v[136:137], v[134:135], v[122:123], v[132:133] op_sel:[0,0,1] op_sel_hi:[1,1,0] neg_lo:[0,0,1] neg_hi:[0,0,1]
	v_pk_fma_f32 v[132:133], v[134:135], v[122:123], v[132:133] op_sel:[0,0,1] op_sel_hi:[1,0,0]
	v_mov_b32_e32 v137, v133
	ds_load_2addr_b64 v[132:135], v126 offset0:32 offset1:33
	v_pk_add_f32 v[48:49], v[48:49], v[138:139] neg_lo:[0,1] neg_hi:[0,1]
	v_pk_add_f32 v[44:45], v[44:45], v[136:137] neg_lo:[0,1] neg_hi:[0,1]
	s_wait_dscnt 0x0
	v_dual_mul_f32 v136, v133, v125 :: v_dual_mul_f32 v138, v133, v122
	s_delay_alu instid0(VALU_DEP_1) | instskip(NEXT) | instid1(VALU_DEP_2)
	v_pk_fma_f32 v[136:137], v[132:133], v[112:113], v[136:137] op_sel_hi:[1,1,0] neg_lo:[0,0,1] neg_hi:[0,0,1]
	v_pk_fma_f32 v[132:133], v[132:133], v[112:113], v[138:139] op_sel:[1,0,0] op_sel_hi:[0,1,0]
	s_delay_alu instid0(VALU_DEP_1) | instskip(SKIP_1) | instid1(VALU_DEP_2)
	v_mov_b32_e32 v137, v133
	v_pk_mul_f32 v[132:133], v[134:135], v[124:125] op_sel:[0,1]
	v_pk_add_f32 v[94:95], v[94:95], v[136:137] neg_lo:[0,1] neg_hi:[0,1]
	s_delay_alu instid0(VALU_DEP_2) | instskip(SKIP_1) | instid1(VALU_DEP_1)
	v_pk_fma_f32 v[136:137], v[134:135], v[122:123], v[132:133] op_sel:[0,0,1] op_sel_hi:[1,1,0] neg_lo:[0,0,1] neg_hi:[0,0,1]
	v_pk_fma_f32 v[132:133], v[134:135], v[122:123], v[132:133] op_sel:[0,0,1] op_sel_hi:[1,0,0]
	v_mov_b32_e32 v137, v133
	ds_load_2addr_b64 v[132:135], v126 offset0:34 offset1:35
	v_pk_add_f32 v[38:39], v[38:39], v[136:137] neg_lo:[0,1] neg_hi:[0,1]
	s_wait_dscnt 0x0
	v_pk_mul_f32 v[136:137], v[132:133], v[124:125] op_sel:[0,1]
	s_delay_alu instid0(VALU_DEP_1) | instskip(SKIP_1) | instid1(VALU_DEP_1)
	v_pk_fma_f32 v[138:139], v[132:133], v[122:123], v[136:137] op_sel:[0,0,1] op_sel_hi:[1,1,0] neg_lo:[0,0,1] neg_hi:[0,0,1]
	v_pk_fma_f32 v[132:133], v[132:133], v[122:123], v[136:137] op_sel:[0,0,1] op_sel_hi:[1,0,0]
	v_mov_b32_e32 v139, v133
	v_pk_mul_f32 v[132:133], v[134:135], v[124:125] op_sel:[0,1]
	s_delay_alu instid0(VALU_DEP_2) | instskip(NEXT) | instid1(VALU_DEP_2)
	v_pk_add_f32 v[40:41], v[40:41], v[138:139] neg_lo:[0,1] neg_hi:[0,1]
	v_pk_fma_f32 v[136:137], v[134:135], v[122:123], v[132:133] op_sel:[0,0,1] op_sel_hi:[1,1,0] neg_lo:[0,0,1] neg_hi:[0,0,1]
	v_pk_fma_f32 v[132:133], v[134:135], v[122:123], v[132:133] op_sel:[0,0,1] op_sel_hi:[1,0,0]
	s_delay_alu instid0(VALU_DEP_1) | instskip(SKIP_4) | instid1(VALU_DEP_1)
	v_mov_b32_e32 v137, v133
	ds_load_2addr_b64 v[132:135], v126 offset0:36 offset1:37
	v_pk_add_f32 v[36:37], v[36:37], v[136:137] neg_lo:[0,1] neg_hi:[0,1]
	s_wait_dscnt 0x0
	v_pk_mul_f32 v[136:137], v[132:133], v[124:125] op_sel:[0,1]
	v_pk_fma_f32 v[138:139], v[132:133], v[122:123], v[136:137] op_sel:[0,0,1] op_sel_hi:[1,1,0] neg_lo:[0,0,1] neg_hi:[0,0,1]
	v_pk_fma_f32 v[132:133], v[132:133], v[122:123], v[136:137] op_sel:[0,0,1] op_sel_hi:[1,0,0]
	v_dual_mul_f32 v136, v135, v125 :: v_dual_mov_b32 v132, v135
	s_delay_alu instid0(VALU_DEP_2) | instskip(NEXT) | instid1(VALU_DEP_2)
	v_dual_mov_b32 v139, v133 :: v_dual_mov_b32 v133, v134
	v_pk_fma_f32 v[136:137], v[134:135], v[112:113], v[136:137] op_sel_hi:[1,1,0] neg_lo:[0,0,1] neg_hi:[0,0,1]
	v_mul_f32_e32 v134, v135, v122
	s_delay_alu instid0(VALU_DEP_3) | instskip(NEXT) | instid1(VALU_DEP_2)
	v_pk_add_f32 v[92:93], v[92:93], v[138:139] neg_lo:[0,1] neg_hi:[0,1]
	v_pk_fma_f32 v[132:133], v[132:133], v[112:113], v[134:135] op_sel_hi:[1,1,0]
	s_delay_alu instid0(VALU_DEP_1) | instskip(SKIP_4) | instid1(VALU_DEP_1)
	v_mov_b32_e32 v137, v133
	ds_load_2addr_b64 v[132:135], v126 offset0:38 offset1:39
	v_pk_add_f32 v[32:33], v[32:33], v[136:137] neg_lo:[0,1] neg_hi:[0,1]
	s_wait_dscnt 0x0
	v_pk_mul_f32 v[136:137], v[132:133], v[124:125] op_sel:[0,1]
	v_pk_fma_f32 v[138:139], v[132:133], v[122:123], v[136:137] op_sel:[0,0,1] op_sel_hi:[1,1,0] neg_lo:[0,0,1] neg_hi:[0,0,1]
	v_pk_fma_f32 v[132:133], v[132:133], v[122:123], v[136:137] op_sel:[0,0,1] op_sel_hi:[1,0,0]
	s_delay_alu instid0(VALU_DEP_1) | instskip(SKIP_1) | instid1(VALU_DEP_1)
	v_mov_b32_e32 v139, v133
	v_pk_mul_f32 v[132:133], v[134:135], v[124:125] op_sel:[0,1]
	v_pk_fma_f32 v[136:137], v[134:135], v[122:123], v[132:133] op_sel:[0,0,1] op_sel_hi:[1,1,0] neg_lo:[0,0,1] neg_hi:[0,0,1]
	v_pk_fma_f32 v[132:133], v[134:135], v[122:123], v[132:133] op_sel:[0,0,1] op_sel_hi:[1,0,0]
	s_delay_alu instid0(VALU_DEP_1)
	v_mov_b32_e32 v137, v133
	ds_load_2addr_b64 v[132:135], v126 offset0:40 offset1:41
	v_pk_add_f32 v[34:35], v[34:35], v[138:139] neg_lo:[0,1] neg_hi:[0,1]
	v_pk_add_f32 v[30:31], v[30:31], v[136:137] neg_lo:[0,1] neg_hi:[0,1]
	s_wait_dscnt 0x0
	v_pk_mul_f32 v[136:137], v[132:133], v[124:125] op_sel:[0,1]
	s_delay_alu instid0(VALU_DEP_1) | instskip(SKIP_1) | instid1(VALU_DEP_1)
	v_pk_fma_f32 v[138:139], v[132:133], v[122:123], v[136:137] op_sel:[0,0,1] op_sel_hi:[1,1,0] neg_lo:[0,0,1] neg_hi:[0,0,1]
	v_pk_fma_f32 v[132:133], v[132:133], v[122:123], v[136:137] op_sel:[0,0,1] op_sel_hi:[1,0,0]
	v_mov_b32_e32 v139, v133
	v_pk_mul_f32 v[132:133], v[134:135], v[124:125] op_sel:[0,1]
	s_delay_alu instid0(VALU_DEP_1) | instskip(SKIP_1) | instid1(VALU_DEP_1)
	v_pk_fma_f32 v[136:137], v[134:135], v[122:123], v[132:133] op_sel:[0,0,1] op_sel_hi:[1,1,0] neg_lo:[0,0,1] neg_hi:[0,0,1]
	v_pk_fma_f32 v[132:133], v[134:135], v[122:123], v[132:133] op_sel:[0,0,1] op_sel_hi:[1,0,0]
	v_mov_b32_e32 v137, v133
	ds_load_2addr_b64 v[132:135], v126 offset0:42 offset1:43
	v_pk_add_f32 v[90:91], v[90:91], v[138:139] neg_lo:[0,1] neg_hi:[0,1]
	v_pk_add_f32 v[24:25], v[24:25], v[136:137] neg_lo:[0,1] neg_hi:[0,1]
	s_wait_dscnt 0x0
	v_dual_mul_f32 v136, v133, v125 :: v_dual_mul_f32 v138, v133, v122
	s_delay_alu instid0(VALU_DEP_1) | instskip(NEXT) | instid1(VALU_DEP_2)
	v_pk_fma_f32 v[136:137], v[132:133], v[112:113], v[136:137] op_sel_hi:[1,1,0] neg_lo:[0,0,1] neg_hi:[0,0,1]
	v_pk_fma_f32 v[132:133], v[132:133], v[112:113], v[138:139] op_sel:[1,0,0] op_sel_hi:[0,1,0]
	s_delay_alu instid0(VALU_DEP_1) | instskip(SKIP_1) | instid1(VALU_DEP_2)
	v_mov_b32_e32 v137, v133
	v_pk_mul_f32 v[132:133], v[134:135], v[124:125] op_sel:[0,1]
	v_pk_add_f32 v[26:27], v[26:27], v[136:137] neg_lo:[0,1] neg_hi:[0,1]
	s_delay_alu instid0(VALU_DEP_2) | instskip(SKIP_1) | instid1(VALU_DEP_1)
	v_pk_fma_f32 v[136:137], v[134:135], v[122:123], v[132:133] op_sel:[0,0,1] op_sel_hi:[1,1,0] neg_lo:[0,0,1] neg_hi:[0,0,1]
	v_pk_fma_f32 v[132:133], v[134:135], v[122:123], v[132:133] op_sel:[0,0,1] op_sel_hi:[1,0,0]
	v_mov_b32_e32 v137, v133
	ds_load_2addr_b64 v[132:135], v126 offset0:44 offset1:45
	v_pk_add_f32 v[22:23], v[22:23], v[136:137] neg_lo:[0,1] neg_hi:[0,1]
	s_wait_dscnt 0x0
	v_pk_mul_f32 v[136:137], v[132:133], v[124:125] op_sel:[0,1]
	s_delay_alu instid0(VALU_DEP_1) | instskip(SKIP_1) | instid1(VALU_DEP_1)
	v_pk_fma_f32 v[138:139], v[132:133], v[122:123], v[136:137] op_sel:[0,0,1] op_sel_hi:[1,1,0] neg_lo:[0,0,1] neg_hi:[0,0,1]
	v_pk_fma_f32 v[132:133], v[132:133], v[122:123], v[136:137] op_sel:[0,0,1] op_sel_hi:[1,0,0]
	v_mov_b32_e32 v139, v133
	v_pk_mul_f32 v[132:133], v[134:135], v[124:125] op_sel:[0,1]
	s_delay_alu instid0(VALU_DEP_2) | instskip(NEXT) | instid1(VALU_DEP_2)
	v_pk_add_f32 v[88:89], v[88:89], v[138:139] neg_lo:[0,1] neg_hi:[0,1]
	v_pk_fma_f32 v[136:137], v[134:135], v[122:123], v[132:133] op_sel:[0,0,1] op_sel_hi:[1,1,0] neg_lo:[0,0,1] neg_hi:[0,0,1]
	v_pk_fma_f32 v[132:133], v[134:135], v[122:123], v[132:133] op_sel:[0,0,1] op_sel_hi:[1,0,0]
	s_delay_alu instid0(VALU_DEP_1) | instskip(SKIP_4) | instid1(VALU_DEP_1)
	v_mov_b32_e32 v137, v133
	ds_load_2addr_b64 v[132:135], v126 offset0:46 offset1:47
	v_pk_add_f32 v[18:19], v[18:19], v[136:137] neg_lo:[0,1] neg_hi:[0,1]
	s_wait_dscnt 0x0
	v_pk_mul_f32 v[136:137], v[132:133], v[124:125] op_sel:[0,1]
	v_pk_fma_f32 v[138:139], v[132:133], v[122:123], v[136:137] op_sel:[0,0,1] op_sel_hi:[1,1,0] neg_lo:[0,0,1] neg_hi:[0,0,1]
	v_pk_fma_f32 v[132:133], v[132:133], v[122:123], v[136:137] op_sel:[0,0,1] op_sel_hi:[1,0,0]
	v_dual_mul_f32 v136, v135, v125 :: v_dual_mov_b32 v132, v135
	s_delay_alu instid0(VALU_DEP_2) | instskip(NEXT) | instid1(VALU_DEP_2)
	v_dual_mov_b32 v139, v133 :: v_dual_mov_b32 v133, v134
	v_pk_fma_f32 v[136:137], v[134:135], v[112:113], v[136:137] op_sel_hi:[1,1,0] neg_lo:[0,0,1] neg_hi:[0,0,1]
	v_mul_f32_e32 v134, v135, v122
	s_delay_alu instid0(VALU_DEP_3) | instskip(NEXT) | instid1(VALU_DEP_2)
	v_pk_add_f32 v[20:21], v[20:21], v[138:139] neg_lo:[0,1] neg_hi:[0,1]
	v_pk_fma_f32 v[132:133], v[132:133], v[112:113], v[134:135] op_sel_hi:[1,1,0]
	s_delay_alu instid0(VALU_DEP_1) | instskip(SKIP_4) | instid1(VALU_DEP_1)
	v_mov_b32_e32 v137, v133
	ds_load_2addr_b64 v[132:135], v126 offset0:48 offset1:49
	v_pk_add_f32 v[16:17], v[16:17], v[136:137] neg_lo:[0,1] neg_hi:[0,1]
	s_wait_dscnt 0x0
	v_pk_mul_f32 v[136:137], v[132:133], v[124:125] op_sel:[0,1]
	v_pk_fma_f32 v[138:139], v[132:133], v[122:123], v[136:137] op_sel:[0,0,1] op_sel_hi:[1,1,0] neg_lo:[0,0,1] neg_hi:[0,0,1]
	v_pk_fma_f32 v[132:133], v[132:133], v[122:123], v[136:137] op_sel:[0,0,1] op_sel_hi:[1,0,0]
	s_delay_alu instid0(VALU_DEP_1) | instskip(SKIP_1) | instid1(VALU_DEP_1)
	v_mov_b32_e32 v139, v133
	v_pk_mul_f32 v[132:133], v[134:135], v[124:125] op_sel:[0,1]
	v_pk_fma_f32 v[136:137], v[134:135], v[122:123], v[132:133] op_sel:[0,0,1] op_sel_hi:[1,1,0] neg_lo:[0,0,1] neg_hi:[0,0,1]
	v_pk_fma_f32 v[132:133], v[134:135], v[122:123], v[132:133] op_sel:[0,0,1] op_sel_hi:[1,0,0]
	s_delay_alu instid0(VALU_DEP_1)
	v_mov_b32_e32 v137, v133
	ds_load_2addr_b64 v[132:135], v126 offset0:50 offset1:51
	v_pk_add_f32 v[84:85], v[84:85], v[138:139] neg_lo:[0,1] neg_hi:[0,1]
	v_pk_add_f32 v[10:11], v[10:11], v[136:137] neg_lo:[0,1] neg_hi:[0,1]
	s_wait_dscnt 0x0
	v_pk_mul_f32 v[136:137], v[132:133], v[124:125] op_sel:[0,1]
	s_delay_alu instid0(VALU_DEP_1) | instskip(SKIP_1) | instid1(VALU_DEP_1)
	v_pk_fma_f32 v[138:139], v[132:133], v[122:123], v[136:137] op_sel:[0,0,1] op_sel_hi:[1,1,0] neg_lo:[0,0,1] neg_hi:[0,0,1]
	v_pk_fma_f32 v[132:133], v[132:133], v[122:123], v[136:137] op_sel:[0,0,1] op_sel_hi:[1,0,0]
	v_mov_b32_e32 v139, v133
	v_pk_mul_f32 v[132:133], v[134:135], v[124:125] op_sel:[0,1]
	s_delay_alu instid0(VALU_DEP_1) | instskip(SKIP_1) | instid1(VALU_DEP_1)
	v_pk_fma_f32 v[136:137], v[134:135], v[122:123], v[132:133] op_sel:[0,0,1] op_sel_hi:[1,1,0] neg_lo:[0,0,1] neg_hi:[0,0,1]
	v_pk_fma_f32 v[132:133], v[134:135], v[122:123], v[132:133] op_sel:[0,0,1] op_sel_hi:[1,0,0]
	v_mov_b32_e32 v137, v133
	ds_load_2addr_b64 v[132:135], v126 offset0:52 offset1:53
	v_pk_add_f32 v[12:13], v[12:13], v[138:139] neg_lo:[0,1] neg_hi:[0,1]
	v_pk_add_f32 v[8:9], v[8:9], v[136:137] neg_lo:[0,1] neg_hi:[0,1]
	s_wait_dscnt 0x0
	v_dual_mul_f32 v136, v133, v125 :: v_dual_mul_f32 v138, v133, v122
	s_delay_alu instid0(VALU_DEP_1) | instskip(NEXT) | instid1(VALU_DEP_2)
	v_pk_fma_f32 v[136:137], v[132:133], v[112:113], v[136:137] op_sel_hi:[1,1,0] neg_lo:[0,0,1] neg_hi:[0,0,1]
	v_pk_fma_f32 v[132:133], v[132:133], v[112:113], v[138:139] op_sel:[1,0,0] op_sel_hi:[0,1,0]
	s_delay_alu instid0(VALU_DEP_1) | instskip(SKIP_1) | instid1(VALU_DEP_2)
	v_mov_b32_e32 v137, v133
	v_pk_mul_f32 v[132:133], v[134:135], v[124:125] op_sel:[0,1]
	v_pk_add_f32 v[60:61], v[60:61], v[136:137] neg_lo:[0,1] neg_hi:[0,1]
	s_delay_alu instid0(VALU_DEP_2) | instskip(SKIP_1) | instid1(VALU_DEP_1)
	v_pk_fma_f32 v[136:137], v[134:135], v[122:123], v[132:133] op_sel:[0,0,1] op_sel_hi:[1,1,0] neg_lo:[0,0,1] neg_hi:[0,0,1]
	v_pk_fma_f32 v[132:133], v[134:135], v[122:123], v[132:133] op_sel:[0,0,1] op_sel_hi:[1,0,0]
	v_mov_b32_e32 v137, v133
	ds_load_2addr_b64 v[132:135], v126 offset0:54 offset1:55
	v_pk_add_f32 v[6:7], v[6:7], v[136:137] neg_lo:[0,1] neg_hi:[0,1]
	s_wait_dscnt 0x0
	v_pk_mul_f32 v[136:137], v[132:133], v[124:125] op_sel:[0,1]
	s_delay_alu instid0(VALU_DEP_1) | instskip(SKIP_1) | instid1(VALU_DEP_1)
	v_pk_fma_f32 v[138:139], v[132:133], v[122:123], v[136:137] op_sel:[0,0,1] op_sel_hi:[1,1,0] neg_lo:[0,0,1] neg_hi:[0,0,1]
	v_pk_fma_f32 v[132:133], v[132:133], v[122:123], v[136:137] op_sel:[0,0,1] op_sel_hi:[1,0,0]
	v_mov_b32_e32 v139, v133
	v_pk_mul_f32 v[132:133], v[134:135], v[124:125] op_sel:[0,1]
	s_delay_alu instid0(VALU_DEP_2) | instskip(NEXT) | instid1(VALU_DEP_2)
	v_pk_add_f32 v[42:43], v[42:43], v[138:139] neg_lo:[0,1] neg_hi:[0,1]
	v_pk_fma_f32 v[136:137], v[134:135], v[122:123], v[132:133] op_sel:[0,0,1] op_sel_hi:[1,1,0] neg_lo:[0,0,1] neg_hi:[0,0,1]
	v_pk_fma_f32 v[132:133], v[134:135], v[122:123], v[132:133] op_sel:[0,0,1] op_sel_hi:[1,0,0]
	s_delay_alu instid0(VALU_DEP_1)
	v_mov_b32_e32 v137, v133
	ds_load_2addr_b64 v[132:135], v126 offset0:56 offset1:57
	v_pk_add_f32 v[28:29], v[28:29], v[136:137] neg_lo:[0,1] neg_hi:[0,1]
	s_wait_dscnt 0x0
	v_pk_mul_f32 v[136:137], v[132:133], v[124:125] op_sel:[0,1]
	v_mul_f32_e32 v124, v135, v125
	s_delay_alu instid0(VALU_DEP_2) | instskip(SKIP_2) | instid1(VALU_DEP_4)
	v_pk_fma_f32 v[138:139], v[132:133], v[122:123], v[136:137] op_sel:[0,0,1] op_sel_hi:[1,1,0] neg_lo:[0,0,1] neg_hi:[0,0,1]
	v_pk_fma_f32 v[132:133], v[132:133], v[122:123], v[136:137] op_sel:[0,0,1] op_sel_hi:[1,0,0]
	v_dual_mov_b32 v132, v135 :: v_dual_mul_f32 v122, v135, v122
	v_pk_fma_f32 v[124:125], v[134:135], v[112:113], v[124:125] op_sel_hi:[1,1,0] neg_lo:[0,0,1] neg_hi:[0,0,1]
	s_delay_alu instid0(VALU_DEP_3) | instskip(NEXT) | instid1(VALU_DEP_1)
	v_dual_mov_b32 v139, v133 :: v_dual_mov_b32 v133, v134
	v_pk_add_f32 v[14:15], v[14:15], v[138:139] neg_lo:[0,1] neg_hi:[0,1]
	s_delay_alu instid0(VALU_DEP_2) | instskip(NEXT) | instid1(VALU_DEP_1)
	v_pk_fma_f32 v[122:123], v[132:133], v[112:113], v[122:123] op_sel_hi:[1,1,0]
	v_mov_b32_e32 v125, v123
	s_delay_alu instid0(VALU_DEP_1)
	v_pk_add_f32 v[120:121], v[120:121], v[124:125] neg_lo:[0,1] neg_hi:[0,1]
.LBB114_83:
	s_or_b32 exec_lo, exec_lo, s0
	v_lshl_add_u32 v122, v130, 3, v126
	s_barrier_signal -1
	s_barrier_wait -1
	ds_store_b64 v122, v[110:111]
	s_wait_dscnt 0x0
	s_barrier_signal -1
	s_barrier_wait -1
	ds_load_b64 v[124:125], v126 offset:32
	v_mov_b32_e32 v122, 4
	s_cmp_lt_i32 s18, 6
	s_cbranch_scc1 .LBB114_86
; %bb.84:
	v_add3_u32 v123, v127, 0, 40
	v_mov_b32_e32 v122, 4
	s_mov_b32 s0, 5
.LBB114_85:                             ; =>This Inner Loop Header: Depth=1
	ds_load_b64 v[132:133], v123
	s_wait_dscnt 0x1
	v_cmp_gt_f32_e32 vcc_lo, 0, v124
	v_cndmask_b32_e64 v134, v124, -v124, vcc_lo
	v_cmp_gt_f32_e32 vcc_lo, 0, v125
	v_cndmask_b32_e64 v136, v125, -v125, vcc_lo
	s_wait_dscnt 0x0
	v_cmp_gt_f32_e32 vcc_lo, 0, v132
	v_cndmask_b32_e64 v135, v132, -v132, vcc_lo
	v_cmp_gt_f32_e32 vcc_lo, 0, v133
	v_cndmask_b32_e64 v137, v133, -v133, vcc_lo
	s_delay_alu instid0(VALU_DEP_1) | instskip(NEXT) | instid1(VALU_DEP_1)
	v_pk_add_f32 v[134:135], v[134:135], v[136:137]
	v_cmp_lt_f32_e32 vcc_lo, v134, v135
	v_dual_add_nc_u32 v123, 8, v123 :: v_dual_cndmask_b32 v125, v125, v133, vcc_lo
	v_cndmask_b32_e32 v124, v124, v132, vcc_lo
	v_cndmask_b32_e64 v122, v122, s0, vcc_lo
	s_add_co_i32 s0, s0, 1
	s_delay_alu instid0(SALU_CYCLE_1)
	s_cmp_lg_u32 s18, s0
	s_cbranch_scc1 .LBB114_85
.LBB114_86:
	s_wait_dscnt 0x0
	v_cmp_eq_f32_e32 vcc_lo, 0, v124
	v_cmp_eq_f32_e64 s0, 0, v125
	s_and_b32 s0, vcc_lo, s0
	s_delay_alu instid0(SALU_CYCLE_1) | instskip(NEXT) | instid1(SALU_CYCLE_1)
	s_and_saveexec_b32 s1, s0
	s_xor_b32 s0, exec_lo, s1
; %bb.87:
	v_cmp_ne_u32_e32 vcc_lo, 0, v128
	v_cndmask_b32_e32 v128, 5, v128, vcc_lo
; %bb.88:
	s_and_not1_saveexec_b32 s0, s0
	s_cbranch_execz .LBB114_94
; %bb.89:
	v_cmp_ngt_f32_e64 s1, |v124|, |v125|
	s_and_saveexec_b32 s12, s1
	s_delay_alu instid0(SALU_CYCLE_1)
	s_xor_b32 s1, exec_lo, s12
	s_cbranch_execz .LBB114_91
; %bb.90:
	v_div_scale_f32 v123, null, v125, v125, v124
	v_div_scale_f32 v133, vcc_lo, v124, v125, v124
	s_delay_alu instid0(VALU_DEP_2) | instskip(SKIP_1) | instid1(TRANS32_DEP_1)
	v_rcp_f32_e32 v131, v123
	v_nop
	v_fma_f32 v132, -v123, v131, 1.0
	s_delay_alu instid0(VALU_DEP_1) | instskip(NEXT) | instid1(VALU_DEP_1)
	v_fmac_f32_e32 v131, v132, v131
	v_mul_f32_e32 v132, v133, v131
	s_delay_alu instid0(VALU_DEP_1) | instskip(NEXT) | instid1(VALU_DEP_1)
	v_fma_f32 v134, -v123, v132, v133
	v_fmac_f32_e32 v132, v134, v131
	s_delay_alu instid0(VALU_DEP_1) | instskip(NEXT) | instid1(VALU_DEP_1)
	v_fma_f32 v123, -v123, v132, v133
	v_div_fmas_f32 v123, v123, v131, v132
	s_delay_alu instid0(VALU_DEP_1) | instskip(NEXT) | instid1(VALU_DEP_1)
	v_div_fixup_f32 v123, v123, v125, v124
	v_fmac_f32_e32 v125, v124, v123
	s_delay_alu instid0(VALU_DEP_1) | instskip(SKIP_1) | instid1(VALU_DEP_2)
	v_div_scale_f32 v124, null, v125, v125, 1.0
	v_div_scale_f32 v133, vcc_lo, 1.0, v125, 1.0
	v_rcp_f32_e32 v131, v124
	v_nop
	s_delay_alu instid0(TRANS32_DEP_1) | instskip(NEXT) | instid1(VALU_DEP_1)
	v_fma_f32 v132, -v124, v131, 1.0
	v_fmac_f32_e32 v131, v132, v131
	s_delay_alu instid0(VALU_DEP_1) | instskip(NEXT) | instid1(VALU_DEP_1)
	v_mul_f32_e32 v132, v133, v131
	v_fma_f32 v134, -v124, v132, v133
	s_delay_alu instid0(VALU_DEP_1) | instskip(NEXT) | instid1(VALU_DEP_1)
	v_fmac_f32_e32 v132, v134, v131
	v_fma_f32 v124, -v124, v132, v133
	s_delay_alu instid0(VALU_DEP_1) | instskip(NEXT) | instid1(VALU_DEP_1)
	v_div_fmas_f32 v124, v124, v131, v132
	v_div_fixup_f32 v125, v124, v125, 1.0
	s_delay_alu instid0(VALU_DEP_1)
	v_mul_f32_e32 v124, v123, v125
	v_xor_b32_e32 v125, 0x80000000, v125
.LBB114_91:
	s_and_not1_saveexec_b32 s1, s1
	s_cbranch_execz .LBB114_93
; %bb.92:
	s_delay_alu instid0(VALU_DEP_1) | instskip(SKIP_1) | instid1(VALU_DEP_2)
	v_div_scale_f32 v123, null, v124, v124, v125
	v_div_scale_f32 v133, vcc_lo, v125, v124, v125
	v_rcp_f32_e32 v131, v123
	v_nop
	s_delay_alu instid0(TRANS32_DEP_1) | instskip(NEXT) | instid1(VALU_DEP_1)
	v_fma_f32 v132, -v123, v131, 1.0
	v_fmac_f32_e32 v131, v132, v131
	s_delay_alu instid0(VALU_DEP_1) | instskip(NEXT) | instid1(VALU_DEP_1)
	v_mul_f32_e32 v132, v133, v131
	v_fma_f32 v134, -v123, v132, v133
	s_delay_alu instid0(VALU_DEP_1) | instskip(NEXT) | instid1(VALU_DEP_1)
	v_fmac_f32_e32 v132, v134, v131
	v_fma_f32 v123, -v123, v132, v133
	s_delay_alu instid0(VALU_DEP_1) | instskip(NEXT) | instid1(VALU_DEP_1)
	v_div_fmas_f32 v123, v123, v131, v132
	v_div_fixup_f32 v123, v123, v124, v125
	s_delay_alu instid0(VALU_DEP_1) | instskip(NEXT) | instid1(VALU_DEP_1)
	v_fmac_f32_e32 v124, v125, v123
	v_div_scale_f32 v125, null, v124, v124, 1.0
	s_delay_alu instid0(VALU_DEP_1) | instskip(SKIP_1) | instid1(TRANS32_DEP_1)
	v_rcp_f32_e32 v131, v125
	v_nop
	v_fma_f32 v132, -v125, v131, 1.0
	s_delay_alu instid0(VALU_DEP_1) | instskip(SKIP_1) | instid1(VALU_DEP_1)
	v_fmac_f32_e32 v131, v132, v131
	v_div_scale_f32 v132, vcc_lo, 1.0, v124, 1.0
	v_mul_f32_e32 v133, v132, v131
	s_delay_alu instid0(VALU_DEP_1) | instskip(NEXT) | instid1(VALU_DEP_1)
	v_fma_f32 v134, -v125, v133, v132
	v_fmac_f32_e32 v133, v134, v131
	s_delay_alu instid0(VALU_DEP_1) | instskip(NEXT) | instid1(VALU_DEP_1)
	v_fma_f32 v125, -v125, v133, v132
	v_div_fmas_f32 v125, v125, v131, v133
	s_delay_alu instid0(VALU_DEP_1) | instskip(NEXT) | instid1(VALU_DEP_1)
	v_div_fixup_f32 v124, v125, v124, 1.0
	v_mul_f32_e64 v125, v123, -v124
.LBB114_93:
	s_or_b32 exec_lo, exec_lo, s1
.LBB114_94:
	s_delay_alu instid0(SALU_CYCLE_1) | instskip(NEXT) | instid1(SALU_CYCLE_1)
	s_or_b32 exec_lo, exec_lo, s0
	s_mov_b32 s0, exec_lo
	v_cmpx_ne_u32_e64 v130, v122
	s_xor_b32 s0, exec_lo, s0
	s_cbranch_execz .LBB114_100
; %bb.95:
	s_mov_b32 s1, exec_lo
	v_cmpx_eq_u32_e32 4, v130
	s_cbranch_execz .LBB114_99
; %bb.96:
	v_cmp_ne_u32_e32 vcc_lo, 4, v122
	s_xor_b32 s12, s16, -1
	s_delay_alu instid0(SALU_CYCLE_1) | instskip(NEXT) | instid1(SALU_CYCLE_1)
	s_and_b32 s13, s12, vcc_lo
	s_and_saveexec_b32 s12, s13
	s_cbranch_execz .LBB114_98
; %bb.97:
	v_ashrrev_i32_e32 v123, 31, v122
	s_delay_alu instid0(VALU_DEP_1)
	v_lshl_add_u64 v[130:131], v[122:123], 2, v[4:5]
	s_clause 0x1
	global_load_b32 v123, v[130:131], off
	global_load_b32 v129, v[4:5], off offset:16
	s_wait_loadcnt 0x1
	global_store_b32 v[4:5], v123, off offset:16
	s_wait_loadcnt 0x0
	global_store_b32 v[130:131], v129, off
.LBB114_98:
	s_wait_xcnt 0x0
	s_or_b32 exec_lo, exec_lo, s12
	v_dual_mov_b32 v130, v122 :: v_dual_mov_b32 v129, v122
.LBB114_99:
	s_or_b32 exec_lo, exec_lo, s1
.LBB114_100:
	s_and_not1_saveexec_b32 s0, s0
	s_cbranch_execz .LBB114_102
; %bb.101:
	v_mov_b32_e32 v130, 4
	ds_store_2addr_b64 v126, v[98:99], v[86:87] offset0:5 offset1:6
	ds_store_2addr_b64 v126, v[70:71], v[108:109] offset0:7 offset1:8
	;; [unrolled: 1-line block ×26, first 2 shown]
	ds_store_b64 v126, v[120:121] offset:456
.LBB114_102:
	s_or_b32 exec_lo, exec_lo, s0
	s_delay_alu instid0(SALU_CYCLE_1)
	s_mov_b32 s0, exec_lo
	s_wait_storecnt_dscnt 0x0
	s_barrier_signal -1
	s_barrier_wait -1
	v_cmpx_lt_i32_e32 4, v130
	s_cbranch_execz .LBB114_104
; %bb.103:
	v_pk_mul_f32 v[132:133], v[124:125], v[110:111] op_sel:[1,1] op_sel_hi:[0,1]
	s_delay_alu instid0(VALU_DEP_1)
	v_pk_fma_f32 v[122:123], v[124:125], v[110:111], v[132:133] op_sel_hi:[1,0,1] neg_lo:[0,0,1] neg_hi:[0,0,1]
	v_pk_fma_f32 v[124:125], v[124:125], v[110:111], v[132:133] op_sel_hi:[1,0,1]
	ds_load_2addr_b64 v[132:135], v126 offset0:5 offset1:6
	v_dual_mov_b32 v110, v122 :: v_dual_mov_b32 v111, v125
	s_wait_dscnt 0x0
	v_pk_mul_f32 v[136:137], v[132:133], v[124:125] op_sel:[0,1]
	s_delay_alu instid0(VALU_DEP_1) | instskip(SKIP_1) | instid1(VALU_DEP_1)
	v_pk_fma_f32 v[138:139], v[132:133], v[122:123], v[136:137] op_sel:[0,0,1] op_sel_hi:[1,1,0] neg_lo:[0,0,1] neg_hi:[0,0,1]
	v_pk_fma_f32 v[132:133], v[132:133], v[122:123], v[136:137] op_sel:[0,0,1] op_sel_hi:[1,0,0]
	v_mov_b32_e32 v139, v133
	v_pk_mul_f32 v[132:133], v[134:135], v[124:125] op_sel:[0,1]
	s_delay_alu instid0(VALU_DEP_1) | instskip(SKIP_1) | instid1(VALU_DEP_1)
	v_pk_fma_f32 v[136:137], v[134:135], v[122:123], v[132:133] op_sel:[0,0,1] op_sel_hi:[1,1,0] neg_lo:[0,0,1] neg_hi:[0,0,1]
	v_pk_fma_f32 v[132:133], v[134:135], v[122:123], v[132:133] op_sel:[0,0,1] op_sel_hi:[1,0,0]
	v_mov_b32_e32 v137, v133
	ds_load_2addr_b64 v[132:135], v126 offset0:7 offset1:8
	v_pk_add_f32 v[98:99], v[98:99], v[138:139] neg_lo:[0,1] neg_hi:[0,1]
	v_pk_add_f32 v[86:87], v[86:87], v[136:137] neg_lo:[0,1] neg_hi:[0,1]
	s_wait_dscnt 0x0
	v_pk_mul_f32 v[136:137], v[132:133], v[124:125] op_sel:[0,1]
	s_delay_alu instid0(VALU_DEP_1) | instskip(SKIP_2) | instid1(VALU_DEP_2)
	v_pk_fma_f32 v[138:139], v[132:133], v[122:123], v[136:137] op_sel:[0,0,1] op_sel_hi:[1,1,0] neg_lo:[0,0,1] neg_hi:[0,0,1]
	v_pk_fma_f32 v[132:133], v[132:133], v[122:123], v[136:137] op_sel:[0,0,1] op_sel_hi:[1,0,0]
	v_dual_mul_f32 v136, v135, v125 :: v_dual_mov_b32 v132, v135
	v_dual_mov_b32 v139, v133 :: v_dual_mov_b32 v133, v134
	s_delay_alu instid0(VALU_DEP_2) | instskip(SKIP_1) | instid1(VALU_DEP_3)
	v_pk_fma_f32 v[136:137], v[134:135], v[110:111], v[136:137] op_sel_hi:[1,1,0] neg_lo:[0,0,1] neg_hi:[0,0,1]
	v_mul_f32_e32 v134, v135, v122
	v_pk_add_f32 v[70:71], v[70:71], v[138:139] neg_lo:[0,1] neg_hi:[0,1]
	s_delay_alu instid0(VALU_DEP_2) | instskip(NEXT) | instid1(VALU_DEP_1)
	v_pk_fma_f32 v[132:133], v[132:133], v[110:111], v[134:135] op_sel_hi:[1,1,0]
	v_mov_b32_e32 v137, v133
	ds_load_2addr_b64 v[132:135], v126 offset0:9 offset1:10
	v_pk_add_f32 v[108:109], v[108:109], v[136:137] neg_lo:[0,1] neg_hi:[0,1]
	s_wait_dscnt 0x0
	v_pk_mul_f32 v[136:137], v[132:133], v[124:125] op_sel:[0,1]
	s_delay_alu instid0(VALU_DEP_1) | instskip(SKIP_1) | instid1(VALU_DEP_1)
	v_pk_fma_f32 v[138:139], v[132:133], v[122:123], v[136:137] op_sel:[0,0,1] op_sel_hi:[1,1,0] neg_lo:[0,0,1] neg_hi:[0,0,1]
	v_pk_fma_f32 v[132:133], v[132:133], v[122:123], v[136:137] op_sel:[0,0,1] op_sel_hi:[1,0,0]
	v_mov_b32_e32 v139, v133
	v_pk_mul_f32 v[132:133], v[134:135], v[124:125] op_sel:[0,1]
	s_delay_alu instid0(VALU_DEP_1) | instskip(SKIP_1) | instid1(VALU_DEP_1)
	v_pk_fma_f32 v[136:137], v[134:135], v[122:123], v[132:133] op_sel:[0,0,1] op_sel_hi:[1,1,0] neg_lo:[0,0,1] neg_hi:[0,0,1]
	v_pk_fma_f32 v[132:133], v[134:135], v[122:123], v[132:133] op_sel:[0,0,1] op_sel_hi:[1,0,0]
	v_mov_b32_e32 v137, v133
	ds_load_2addr_b64 v[132:135], v126 offset0:11 offset1:12
	v_pk_add_f32 v[80:81], v[80:81], v[138:139] neg_lo:[0,1] neg_hi:[0,1]
	v_pk_add_f32 v[82:83], v[82:83], v[136:137] neg_lo:[0,1] neg_hi:[0,1]
	s_wait_dscnt 0x0
	v_pk_mul_f32 v[136:137], v[132:133], v[124:125] op_sel:[0,1]
	s_delay_alu instid0(VALU_DEP_1) | instskip(SKIP_1) | instid1(VALU_DEP_1)
	v_pk_fma_f32 v[138:139], v[132:133], v[122:123], v[136:137] op_sel:[0,0,1] op_sel_hi:[1,1,0] neg_lo:[0,0,1] neg_hi:[0,0,1]
	v_pk_fma_f32 v[132:133], v[132:133], v[122:123], v[136:137] op_sel:[0,0,1] op_sel_hi:[1,0,0]
	v_mov_b32_e32 v139, v133
	v_pk_mul_f32 v[132:133], v[134:135], v[124:125] op_sel:[0,1]
	s_delay_alu instid0(VALU_DEP_1) | instskip(SKIP_1) | instid1(VALU_DEP_1)
	v_pk_fma_f32 v[136:137], v[134:135], v[122:123], v[132:133] op_sel:[0,0,1] op_sel_hi:[1,1,0] neg_lo:[0,0,1] neg_hi:[0,0,1]
	v_pk_fma_f32 v[132:133], v[134:135], v[122:123], v[132:133] op_sel:[0,0,1] op_sel_hi:[1,0,0]
	v_mov_b32_e32 v137, v133
	ds_load_2addr_b64 v[132:135], v126 offset0:13 offset1:14
	v_pk_add_f32 v[78:79], v[78:79], v[138:139] neg_lo:[0,1] neg_hi:[0,1]
	v_pk_add_f32 v[106:107], v[106:107], v[136:137] neg_lo:[0,1] neg_hi:[0,1]
	s_wait_dscnt 0x0
	v_dual_mul_f32 v136, v133, v125 :: v_dual_mul_f32 v138, v133, v122
	s_delay_alu instid0(VALU_DEP_1) | instskip(NEXT) | instid1(VALU_DEP_2)
	v_pk_fma_f32 v[136:137], v[132:133], v[110:111], v[136:137] op_sel_hi:[1,1,0] neg_lo:[0,0,1] neg_hi:[0,0,1]
	v_pk_fma_f32 v[132:133], v[132:133], v[110:111], v[138:139] op_sel:[1,0,0] op_sel_hi:[0,1,0]
	s_delay_alu instid0(VALU_DEP_1) | instskip(SKIP_1) | instid1(VALU_DEP_2)
	v_mov_b32_e32 v137, v133
	v_pk_mul_f32 v[132:133], v[134:135], v[124:125] op_sel:[0,1]
	v_pk_add_f32 v[74:75], v[74:75], v[136:137] neg_lo:[0,1] neg_hi:[0,1]
	s_delay_alu instid0(VALU_DEP_2) | instskip(SKIP_1) | instid1(VALU_DEP_1)
	v_pk_fma_f32 v[136:137], v[134:135], v[122:123], v[132:133] op_sel:[0,0,1] op_sel_hi:[1,1,0] neg_lo:[0,0,1] neg_hi:[0,0,1]
	v_pk_fma_f32 v[132:133], v[134:135], v[122:123], v[132:133] op_sel:[0,0,1] op_sel_hi:[1,0,0]
	v_mov_b32_e32 v137, v133
	ds_load_2addr_b64 v[132:135], v126 offset0:15 offset1:16
	v_pk_add_f32 v[76:77], v[76:77], v[136:137] neg_lo:[0,1] neg_hi:[0,1]
	s_wait_dscnt 0x0
	v_pk_mul_f32 v[136:137], v[132:133], v[124:125] op_sel:[0,1]
	s_delay_alu instid0(VALU_DEP_1) | instskip(SKIP_1) | instid1(VALU_DEP_1)
	v_pk_fma_f32 v[138:139], v[132:133], v[122:123], v[136:137] op_sel:[0,0,1] op_sel_hi:[1,1,0] neg_lo:[0,0,1] neg_hi:[0,0,1]
	v_pk_fma_f32 v[132:133], v[132:133], v[122:123], v[136:137] op_sel:[0,0,1] op_sel_hi:[1,0,0]
	v_mov_b32_e32 v139, v133
	v_pk_mul_f32 v[132:133], v[134:135], v[124:125] op_sel:[0,1]
	s_delay_alu instid0(VALU_DEP_2) | instskip(NEXT) | instid1(VALU_DEP_2)
	v_pk_add_f32 v[72:73], v[72:73], v[138:139] neg_lo:[0,1] neg_hi:[0,1]
	v_pk_fma_f32 v[136:137], v[134:135], v[122:123], v[132:133] op_sel:[0,0,1] op_sel_hi:[1,1,0] neg_lo:[0,0,1] neg_hi:[0,0,1]
	v_pk_fma_f32 v[132:133], v[134:135], v[122:123], v[132:133] op_sel:[0,0,1] op_sel_hi:[1,0,0]
	s_delay_alu instid0(VALU_DEP_1) | instskip(SKIP_4) | instid1(VALU_DEP_1)
	v_mov_b32_e32 v137, v133
	ds_load_2addr_b64 v[132:135], v126 offset0:17 offset1:18
	v_pk_add_f32 v[104:105], v[104:105], v[136:137] neg_lo:[0,1] neg_hi:[0,1]
	s_wait_dscnt 0x0
	v_pk_mul_f32 v[136:137], v[132:133], v[124:125] op_sel:[0,1]
	v_pk_fma_f32 v[138:139], v[132:133], v[122:123], v[136:137] op_sel:[0,0,1] op_sel_hi:[1,1,0] neg_lo:[0,0,1] neg_hi:[0,0,1]
	v_pk_fma_f32 v[132:133], v[132:133], v[122:123], v[136:137] op_sel:[0,0,1] op_sel_hi:[1,0,0]
	v_dual_mul_f32 v136, v135, v125 :: v_dual_mov_b32 v132, v135
	s_delay_alu instid0(VALU_DEP_2) | instskip(NEXT) | instid1(VALU_DEP_2)
	v_dual_mov_b32 v139, v133 :: v_dual_mov_b32 v133, v134
	v_pk_fma_f32 v[136:137], v[134:135], v[110:111], v[136:137] op_sel_hi:[1,1,0] neg_lo:[0,0,1] neg_hi:[0,0,1]
	v_mul_f32_e32 v134, v135, v122
	s_delay_alu instid0(VALU_DEP_3) | instskip(NEXT) | instid1(VALU_DEP_2)
	v_pk_add_f32 v[66:67], v[66:67], v[138:139] neg_lo:[0,1] neg_hi:[0,1]
	v_pk_fma_f32 v[132:133], v[132:133], v[110:111], v[134:135] op_sel_hi:[1,1,0]
	s_delay_alu instid0(VALU_DEP_1) | instskip(SKIP_4) | instid1(VALU_DEP_1)
	v_mov_b32_e32 v137, v133
	ds_load_2addr_b64 v[132:135], v126 offset0:19 offset1:20
	v_pk_add_f32 v[68:69], v[68:69], v[136:137] neg_lo:[0,1] neg_hi:[0,1]
	s_wait_dscnt 0x0
	v_pk_mul_f32 v[136:137], v[132:133], v[124:125] op_sel:[0,1]
	v_pk_fma_f32 v[138:139], v[132:133], v[122:123], v[136:137] op_sel:[0,0,1] op_sel_hi:[1,1,0] neg_lo:[0,0,1] neg_hi:[0,0,1]
	v_pk_fma_f32 v[132:133], v[132:133], v[122:123], v[136:137] op_sel:[0,0,1] op_sel_hi:[1,0,0]
	s_delay_alu instid0(VALU_DEP_1) | instskip(SKIP_1) | instid1(VALU_DEP_1)
	v_mov_b32_e32 v139, v133
	v_pk_mul_f32 v[132:133], v[134:135], v[124:125] op_sel:[0,1]
	v_pk_fma_f32 v[136:137], v[134:135], v[122:123], v[132:133] op_sel:[0,0,1] op_sel_hi:[1,1,0] neg_lo:[0,0,1] neg_hi:[0,0,1]
	v_pk_fma_f32 v[132:133], v[134:135], v[122:123], v[132:133] op_sel:[0,0,1] op_sel_hi:[1,0,0]
	s_delay_alu instid0(VALU_DEP_1)
	v_mov_b32_e32 v137, v133
	ds_load_2addr_b64 v[132:135], v126 offset0:21 offset1:22
	v_pk_add_f32 v[64:65], v[64:65], v[138:139] neg_lo:[0,1] neg_hi:[0,1]
	v_pk_add_f32 v[102:103], v[102:103], v[136:137] neg_lo:[0,1] neg_hi:[0,1]
	s_wait_dscnt 0x0
	v_pk_mul_f32 v[136:137], v[132:133], v[124:125] op_sel:[0,1]
	s_delay_alu instid0(VALU_DEP_1) | instskip(SKIP_1) | instid1(VALU_DEP_1)
	v_pk_fma_f32 v[138:139], v[132:133], v[122:123], v[136:137] op_sel:[0,0,1] op_sel_hi:[1,1,0] neg_lo:[0,0,1] neg_hi:[0,0,1]
	v_pk_fma_f32 v[132:133], v[132:133], v[122:123], v[136:137] op_sel:[0,0,1] op_sel_hi:[1,0,0]
	v_mov_b32_e32 v139, v133
	v_pk_mul_f32 v[132:133], v[134:135], v[124:125] op_sel:[0,1]
	s_delay_alu instid0(VALU_DEP_1) | instskip(SKIP_1) | instid1(VALU_DEP_1)
	v_pk_fma_f32 v[136:137], v[134:135], v[122:123], v[132:133] op_sel:[0,0,1] op_sel_hi:[1,1,0] neg_lo:[0,0,1] neg_hi:[0,0,1]
	v_pk_fma_f32 v[132:133], v[134:135], v[122:123], v[132:133] op_sel:[0,0,1] op_sel_hi:[1,0,0]
	v_mov_b32_e32 v137, v133
	ds_load_2addr_b64 v[132:135], v126 offset0:23 offset1:24
	v_pk_add_f32 v[58:59], v[58:59], v[138:139] neg_lo:[0,1] neg_hi:[0,1]
	v_pk_add_f32 v[62:63], v[62:63], v[136:137] neg_lo:[0,1] neg_hi:[0,1]
	s_wait_dscnt 0x0
	v_dual_mul_f32 v136, v133, v125 :: v_dual_mul_f32 v138, v133, v122
	s_delay_alu instid0(VALU_DEP_1) | instskip(NEXT) | instid1(VALU_DEP_2)
	v_pk_fma_f32 v[136:137], v[132:133], v[110:111], v[136:137] op_sel_hi:[1,1,0] neg_lo:[0,0,1] neg_hi:[0,0,1]
	v_pk_fma_f32 v[132:133], v[132:133], v[110:111], v[138:139] op_sel:[1,0,0] op_sel_hi:[0,1,0]
	s_delay_alu instid0(VALU_DEP_1) | instskip(SKIP_1) | instid1(VALU_DEP_2)
	v_mov_b32_e32 v137, v133
	v_pk_mul_f32 v[132:133], v[134:135], v[124:125] op_sel:[0,1]
	v_pk_add_f32 v[56:57], v[56:57], v[136:137] neg_lo:[0,1] neg_hi:[0,1]
	s_delay_alu instid0(VALU_DEP_2) | instskip(SKIP_1) | instid1(VALU_DEP_1)
	v_pk_fma_f32 v[136:137], v[134:135], v[122:123], v[132:133] op_sel:[0,0,1] op_sel_hi:[1,1,0] neg_lo:[0,0,1] neg_hi:[0,0,1]
	v_pk_fma_f32 v[132:133], v[134:135], v[122:123], v[132:133] op_sel:[0,0,1] op_sel_hi:[1,0,0]
	v_mov_b32_e32 v137, v133
	ds_load_2addr_b64 v[132:135], v126 offset0:25 offset1:26
	v_pk_add_f32 v[100:101], v[100:101], v[136:137] neg_lo:[0,1] neg_hi:[0,1]
	s_wait_dscnt 0x0
	v_pk_mul_f32 v[136:137], v[132:133], v[124:125] op_sel:[0,1]
	s_delay_alu instid0(VALU_DEP_1) | instskip(SKIP_1) | instid1(VALU_DEP_1)
	v_pk_fma_f32 v[138:139], v[132:133], v[122:123], v[136:137] op_sel:[0,0,1] op_sel_hi:[1,1,0] neg_lo:[0,0,1] neg_hi:[0,0,1]
	v_pk_fma_f32 v[132:133], v[132:133], v[122:123], v[136:137] op_sel:[0,0,1] op_sel_hi:[1,0,0]
	v_mov_b32_e32 v139, v133
	v_pk_mul_f32 v[132:133], v[134:135], v[124:125] op_sel:[0,1]
	s_delay_alu instid0(VALU_DEP_2) | instskip(NEXT) | instid1(VALU_DEP_2)
	v_pk_add_f32 v[52:53], v[52:53], v[138:139] neg_lo:[0,1] neg_hi:[0,1]
	v_pk_fma_f32 v[136:137], v[134:135], v[122:123], v[132:133] op_sel:[0,0,1] op_sel_hi:[1,1,0] neg_lo:[0,0,1] neg_hi:[0,0,1]
	v_pk_fma_f32 v[132:133], v[134:135], v[122:123], v[132:133] op_sel:[0,0,1] op_sel_hi:[1,0,0]
	s_delay_alu instid0(VALU_DEP_1) | instskip(SKIP_4) | instid1(VALU_DEP_1)
	v_mov_b32_e32 v137, v133
	ds_load_2addr_b64 v[132:135], v126 offset0:27 offset1:28
	v_pk_add_f32 v[54:55], v[54:55], v[136:137] neg_lo:[0,1] neg_hi:[0,1]
	s_wait_dscnt 0x0
	v_pk_mul_f32 v[136:137], v[132:133], v[124:125] op_sel:[0,1]
	v_pk_fma_f32 v[138:139], v[132:133], v[122:123], v[136:137] op_sel:[0,0,1] op_sel_hi:[1,1,0] neg_lo:[0,0,1] neg_hi:[0,0,1]
	v_pk_fma_f32 v[132:133], v[132:133], v[122:123], v[136:137] op_sel:[0,0,1] op_sel_hi:[1,0,0]
	v_dual_mul_f32 v136, v135, v125 :: v_dual_mov_b32 v132, v135
	s_delay_alu instid0(VALU_DEP_2) | instskip(NEXT) | instid1(VALU_DEP_2)
	v_dual_mov_b32 v139, v133 :: v_dual_mov_b32 v133, v134
	v_pk_fma_f32 v[136:137], v[134:135], v[110:111], v[136:137] op_sel_hi:[1,1,0] neg_lo:[0,0,1] neg_hi:[0,0,1]
	v_mul_f32_e32 v134, v135, v122
	s_delay_alu instid0(VALU_DEP_3) | instskip(NEXT) | instid1(VALU_DEP_2)
	v_pk_add_f32 v[50:51], v[50:51], v[138:139] neg_lo:[0,1] neg_hi:[0,1]
	v_pk_fma_f32 v[132:133], v[132:133], v[110:111], v[134:135] op_sel_hi:[1,1,0]
	s_delay_alu instid0(VALU_DEP_1) | instskip(SKIP_4) | instid1(VALU_DEP_1)
	v_mov_b32_e32 v137, v133
	ds_load_2addr_b64 v[132:135], v126 offset0:29 offset1:30
	v_pk_add_f32 v[96:97], v[96:97], v[136:137] neg_lo:[0,1] neg_hi:[0,1]
	s_wait_dscnt 0x0
	v_pk_mul_f32 v[136:137], v[132:133], v[124:125] op_sel:[0,1]
	v_pk_fma_f32 v[138:139], v[132:133], v[122:123], v[136:137] op_sel:[0,0,1] op_sel_hi:[1,1,0] neg_lo:[0,0,1] neg_hi:[0,0,1]
	v_pk_fma_f32 v[132:133], v[132:133], v[122:123], v[136:137] op_sel:[0,0,1] op_sel_hi:[1,0,0]
	s_delay_alu instid0(VALU_DEP_1) | instskip(SKIP_1) | instid1(VALU_DEP_1)
	v_mov_b32_e32 v139, v133
	v_pk_mul_f32 v[132:133], v[134:135], v[124:125] op_sel:[0,1]
	v_pk_fma_f32 v[136:137], v[134:135], v[122:123], v[132:133] op_sel:[0,0,1] op_sel_hi:[1,1,0] neg_lo:[0,0,1] neg_hi:[0,0,1]
	v_pk_fma_f32 v[132:133], v[134:135], v[122:123], v[132:133] op_sel:[0,0,1] op_sel_hi:[1,0,0]
	s_delay_alu instid0(VALU_DEP_1)
	v_mov_b32_e32 v137, v133
	ds_load_2addr_b64 v[132:135], v126 offset0:31 offset1:32
	v_pk_add_f32 v[46:47], v[46:47], v[138:139] neg_lo:[0,1] neg_hi:[0,1]
	v_pk_add_f32 v[48:49], v[48:49], v[136:137] neg_lo:[0,1] neg_hi:[0,1]
	s_wait_dscnt 0x0
	v_pk_mul_f32 v[136:137], v[132:133], v[124:125] op_sel:[0,1]
	s_delay_alu instid0(VALU_DEP_1) | instskip(SKIP_1) | instid1(VALU_DEP_1)
	v_pk_fma_f32 v[138:139], v[132:133], v[122:123], v[136:137] op_sel:[0,0,1] op_sel_hi:[1,1,0] neg_lo:[0,0,1] neg_hi:[0,0,1]
	v_pk_fma_f32 v[132:133], v[132:133], v[122:123], v[136:137] op_sel:[0,0,1] op_sel_hi:[1,0,0]
	v_mov_b32_e32 v139, v133
	v_pk_mul_f32 v[132:133], v[134:135], v[124:125] op_sel:[0,1]
	s_delay_alu instid0(VALU_DEP_1) | instskip(SKIP_1) | instid1(VALU_DEP_1)
	v_pk_fma_f32 v[136:137], v[134:135], v[122:123], v[132:133] op_sel:[0,0,1] op_sel_hi:[1,1,0] neg_lo:[0,0,1] neg_hi:[0,0,1]
	v_pk_fma_f32 v[132:133], v[134:135], v[122:123], v[132:133] op_sel:[0,0,1] op_sel_hi:[1,0,0]
	v_mov_b32_e32 v137, v133
	ds_load_2addr_b64 v[132:135], v126 offset0:33 offset1:34
	v_pk_add_f32 v[44:45], v[44:45], v[138:139] neg_lo:[0,1] neg_hi:[0,1]
	v_pk_add_f32 v[94:95], v[94:95], v[136:137] neg_lo:[0,1] neg_hi:[0,1]
	s_wait_dscnt 0x0
	v_dual_mul_f32 v136, v133, v125 :: v_dual_mul_f32 v138, v133, v122
	s_delay_alu instid0(VALU_DEP_1) | instskip(NEXT) | instid1(VALU_DEP_2)
	v_pk_fma_f32 v[136:137], v[132:133], v[110:111], v[136:137] op_sel_hi:[1,1,0] neg_lo:[0,0,1] neg_hi:[0,0,1]
	v_pk_fma_f32 v[132:133], v[132:133], v[110:111], v[138:139] op_sel:[1,0,0] op_sel_hi:[0,1,0]
	s_delay_alu instid0(VALU_DEP_1) | instskip(SKIP_1) | instid1(VALU_DEP_2)
	v_mov_b32_e32 v137, v133
	v_pk_mul_f32 v[132:133], v[134:135], v[124:125] op_sel:[0,1]
	v_pk_add_f32 v[38:39], v[38:39], v[136:137] neg_lo:[0,1] neg_hi:[0,1]
	s_delay_alu instid0(VALU_DEP_2) | instskip(SKIP_1) | instid1(VALU_DEP_1)
	v_pk_fma_f32 v[136:137], v[134:135], v[122:123], v[132:133] op_sel:[0,0,1] op_sel_hi:[1,1,0] neg_lo:[0,0,1] neg_hi:[0,0,1]
	v_pk_fma_f32 v[132:133], v[134:135], v[122:123], v[132:133] op_sel:[0,0,1] op_sel_hi:[1,0,0]
	v_mov_b32_e32 v137, v133
	ds_load_2addr_b64 v[132:135], v126 offset0:35 offset1:36
	v_pk_add_f32 v[40:41], v[40:41], v[136:137] neg_lo:[0,1] neg_hi:[0,1]
	s_wait_dscnt 0x0
	v_pk_mul_f32 v[136:137], v[132:133], v[124:125] op_sel:[0,1]
	s_delay_alu instid0(VALU_DEP_1) | instskip(SKIP_1) | instid1(VALU_DEP_1)
	v_pk_fma_f32 v[138:139], v[132:133], v[122:123], v[136:137] op_sel:[0,0,1] op_sel_hi:[1,1,0] neg_lo:[0,0,1] neg_hi:[0,0,1]
	v_pk_fma_f32 v[132:133], v[132:133], v[122:123], v[136:137] op_sel:[0,0,1] op_sel_hi:[1,0,0]
	v_mov_b32_e32 v139, v133
	v_pk_mul_f32 v[132:133], v[134:135], v[124:125] op_sel:[0,1]
	s_delay_alu instid0(VALU_DEP_2) | instskip(NEXT) | instid1(VALU_DEP_2)
	v_pk_add_f32 v[36:37], v[36:37], v[138:139] neg_lo:[0,1] neg_hi:[0,1]
	v_pk_fma_f32 v[136:137], v[134:135], v[122:123], v[132:133] op_sel:[0,0,1] op_sel_hi:[1,1,0] neg_lo:[0,0,1] neg_hi:[0,0,1]
	v_pk_fma_f32 v[132:133], v[134:135], v[122:123], v[132:133] op_sel:[0,0,1] op_sel_hi:[1,0,0]
	s_delay_alu instid0(VALU_DEP_1) | instskip(SKIP_4) | instid1(VALU_DEP_1)
	v_mov_b32_e32 v137, v133
	ds_load_2addr_b64 v[132:135], v126 offset0:37 offset1:38
	v_pk_add_f32 v[92:93], v[92:93], v[136:137] neg_lo:[0,1] neg_hi:[0,1]
	s_wait_dscnt 0x0
	v_pk_mul_f32 v[136:137], v[132:133], v[124:125] op_sel:[0,1]
	v_pk_fma_f32 v[138:139], v[132:133], v[122:123], v[136:137] op_sel:[0,0,1] op_sel_hi:[1,1,0] neg_lo:[0,0,1] neg_hi:[0,0,1]
	v_pk_fma_f32 v[132:133], v[132:133], v[122:123], v[136:137] op_sel:[0,0,1] op_sel_hi:[1,0,0]
	v_dual_mul_f32 v136, v135, v125 :: v_dual_mov_b32 v132, v135
	s_delay_alu instid0(VALU_DEP_2) | instskip(NEXT) | instid1(VALU_DEP_2)
	v_dual_mov_b32 v139, v133 :: v_dual_mov_b32 v133, v134
	v_pk_fma_f32 v[136:137], v[134:135], v[110:111], v[136:137] op_sel_hi:[1,1,0] neg_lo:[0,0,1] neg_hi:[0,0,1]
	v_mul_f32_e32 v134, v135, v122
	s_delay_alu instid0(VALU_DEP_3) | instskip(NEXT) | instid1(VALU_DEP_2)
	v_pk_add_f32 v[32:33], v[32:33], v[138:139] neg_lo:[0,1] neg_hi:[0,1]
	v_pk_fma_f32 v[132:133], v[132:133], v[110:111], v[134:135] op_sel_hi:[1,1,0]
	s_delay_alu instid0(VALU_DEP_1) | instskip(SKIP_4) | instid1(VALU_DEP_1)
	v_mov_b32_e32 v137, v133
	ds_load_2addr_b64 v[132:135], v126 offset0:39 offset1:40
	v_pk_add_f32 v[34:35], v[34:35], v[136:137] neg_lo:[0,1] neg_hi:[0,1]
	s_wait_dscnt 0x0
	v_pk_mul_f32 v[136:137], v[132:133], v[124:125] op_sel:[0,1]
	v_pk_fma_f32 v[138:139], v[132:133], v[122:123], v[136:137] op_sel:[0,0,1] op_sel_hi:[1,1,0] neg_lo:[0,0,1] neg_hi:[0,0,1]
	v_pk_fma_f32 v[132:133], v[132:133], v[122:123], v[136:137] op_sel:[0,0,1] op_sel_hi:[1,0,0]
	s_delay_alu instid0(VALU_DEP_1) | instskip(SKIP_1) | instid1(VALU_DEP_1)
	v_mov_b32_e32 v139, v133
	v_pk_mul_f32 v[132:133], v[134:135], v[124:125] op_sel:[0,1]
	v_pk_fma_f32 v[136:137], v[134:135], v[122:123], v[132:133] op_sel:[0,0,1] op_sel_hi:[1,1,0] neg_lo:[0,0,1] neg_hi:[0,0,1]
	v_pk_fma_f32 v[132:133], v[134:135], v[122:123], v[132:133] op_sel:[0,0,1] op_sel_hi:[1,0,0]
	s_delay_alu instid0(VALU_DEP_1)
	v_mov_b32_e32 v137, v133
	ds_load_2addr_b64 v[132:135], v126 offset0:41 offset1:42
	v_pk_add_f32 v[30:31], v[30:31], v[138:139] neg_lo:[0,1] neg_hi:[0,1]
	v_pk_add_f32 v[90:91], v[90:91], v[136:137] neg_lo:[0,1] neg_hi:[0,1]
	s_wait_dscnt 0x0
	v_pk_mul_f32 v[136:137], v[132:133], v[124:125] op_sel:[0,1]
	s_delay_alu instid0(VALU_DEP_1) | instskip(SKIP_1) | instid1(VALU_DEP_1)
	v_pk_fma_f32 v[138:139], v[132:133], v[122:123], v[136:137] op_sel:[0,0,1] op_sel_hi:[1,1,0] neg_lo:[0,0,1] neg_hi:[0,0,1]
	v_pk_fma_f32 v[132:133], v[132:133], v[122:123], v[136:137] op_sel:[0,0,1] op_sel_hi:[1,0,0]
	v_mov_b32_e32 v139, v133
	v_pk_mul_f32 v[132:133], v[134:135], v[124:125] op_sel:[0,1]
	s_delay_alu instid0(VALU_DEP_1) | instskip(SKIP_1) | instid1(VALU_DEP_1)
	v_pk_fma_f32 v[136:137], v[134:135], v[122:123], v[132:133] op_sel:[0,0,1] op_sel_hi:[1,1,0] neg_lo:[0,0,1] neg_hi:[0,0,1]
	v_pk_fma_f32 v[132:133], v[134:135], v[122:123], v[132:133] op_sel:[0,0,1] op_sel_hi:[1,0,0]
	v_mov_b32_e32 v137, v133
	ds_load_2addr_b64 v[132:135], v126 offset0:43 offset1:44
	v_pk_add_f32 v[24:25], v[24:25], v[138:139] neg_lo:[0,1] neg_hi:[0,1]
	v_pk_add_f32 v[26:27], v[26:27], v[136:137] neg_lo:[0,1] neg_hi:[0,1]
	s_wait_dscnt 0x0
	v_dual_mul_f32 v136, v133, v125 :: v_dual_mul_f32 v138, v133, v122
	s_delay_alu instid0(VALU_DEP_1) | instskip(NEXT) | instid1(VALU_DEP_2)
	v_pk_fma_f32 v[136:137], v[132:133], v[110:111], v[136:137] op_sel_hi:[1,1,0] neg_lo:[0,0,1] neg_hi:[0,0,1]
	v_pk_fma_f32 v[132:133], v[132:133], v[110:111], v[138:139] op_sel:[1,0,0] op_sel_hi:[0,1,0]
	s_delay_alu instid0(VALU_DEP_1) | instskip(SKIP_1) | instid1(VALU_DEP_2)
	v_mov_b32_e32 v137, v133
	v_pk_mul_f32 v[132:133], v[134:135], v[124:125] op_sel:[0,1]
	v_pk_add_f32 v[22:23], v[22:23], v[136:137] neg_lo:[0,1] neg_hi:[0,1]
	s_delay_alu instid0(VALU_DEP_2) | instskip(SKIP_1) | instid1(VALU_DEP_1)
	v_pk_fma_f32 v[136:137], v[134:135], v[122:123], v[132:133] op_sel:[0,0,1] op_sel_hi:[1,1,0] neg_lo:[0,0,1] neg_hi:[0,0,1]
	v_pk_fma_f32 v[132:133], v[134:135], v[122:123], v[132:133] op_sel:[0,0,1] op_sel_hi:[1,0,0]
	v_mov_b32_e32 v137, v133
	ds_load_2addr_b64 v[132:135], v126 offset0:45 offset1:46
	v_pk_add_f32 v[88:89], v[88:89], v[136:137] neg_lo:[0,1] neg_hi:[0,1]
	s_wait_dscnt 0x0
	v_pk_mul_f32 v[136:137], v[132:133], v[124:125] op_sel:[0,1]
	s_delay_alu instid0(VALU_DEP_1) | instskip(SKIP_1) | instid1(VALU_DEP_1)
	v_pk_fma_f32 v[138:139], v[132:133], v[122:123], v[136:137] op_sel:[0,0,1] op_sel_hi:[1,1,0] neg_lo:[0,0,1] neg_hi:[0,0,1]
	v_pk_fma_f32 v[132:133], v[132:133], v[122:123], v[136:137] op_sel:[0,0,1] op_sel_hi:[1,0,0]
	v_mov_b32_e32 v139, v133
	v_pk_mul_f32 v[132:133], v[134:135], v[124:125] op_sel:[0,1]
	s_delay_alu instid0(VALU_DEP_2) | instskip(NEXT) | instid1(VALU_DEP_2)
	v_pk_add_f32 v[18:19], v[18:19], v[138:139] neg_lo:[0,1] neg_hi:[0,1]
	v_pk_fma_f32 v[136:137], v[134:135], v[122:123], v[132:133] op_sel:[0,0,1] op_sel_hi:[1,1,0] neg_lo:[0,0,1] neg_hi:[0,0,1]
	v_pk_fma_f32 v[132:133], v[134:135], v[122:123], v[132:133] op_sel:[0,0,1] op_sel_hi:[1,0,0]
	s_delay_alu instid0(VALU_DEP_1) | instskip(SKIP_4) | instid1(VALU_DEP_1)
	v_mov_b32_e32 v137, v133
	ds_load_2addr_b64 v[132:135], v126 offset0:47 offset1:48
	v_pk_add_f32 v[20:21], v[20:21], v[136:137] neg_lo:[0,1] neg_hi:[0,1]
	s_wait_dscnt 0x0
	v_pk_mul_f32 v[136:137], v[132:133], v[124:125] op_sel:[0,1]
	v_pk_fma_f32 v[138:139], v[132:133], v[122:123], v[136:137] op_sel:[0,0,1] op_sel_hi:[1,1,0] neg_lo:[0,0,1] neg_hi:[0,0,1]
	v_pk_fma_f32 v[132:133], v[132:133], v[122:123], v[136:137] op_sel:[0,0,1] op_sel_hi:[1,0,0]
	v_dual_mul_f32 v136, v135, v125 :: v_dual_mov_b32 v132, v135
	s_delay_alu instid0(VALU_DEP_2) | instskip(NEXT) | instid1(VALU_DEP_2)
	v_dual_mov_b32 v139, v133 :: v_dual_mov_b32 v133, v134
	v_pk_fma_f32 v[136:137], v[134:135], v[110:111], v[136:137] op_sel_hi:[1,1,0] neg_lo:[0,0,1] neg_hi:[0,0,1]
	v_mul_f32_e32 v134, v135, v122
	s_delay_alu instid0(VALU_DEP_3) | instskip(NEXT) | instid1(VALU_DEP_2)
	v_pk_add_f32 v[16:17], v[16:17], v[138:139] neg_lo:[0,1] neg_hi:[0,1]
	v_pk_fma_f32 v[132:133], v[132:133], v[110:111], v[134:135] op_sel_hi:[1,1,0]
	s_delay_alu instid0(VALU_DEP_1) | instskip(SKIP_4) | instid1(VALU_DEP_1)
	v_mov_b32_e32 v137, v133
	ds_load_2addr_b64 v[132:135], v126 offset0:49 offset1:50
	v_pk_add_f32 v[84:85], v[84:85], v[136:137] neg_lo:[0,1] neg_hi:[0,1]
	s_wait_dscnt 0x0
	v_pk_mul_f32 v[136:137], v[132:133], v[124:125] op_sel:[0,1]
	v_pk_fma_f32 v[138:139], v[132:133], v[122:123], v[136:137] op_sel:[0,0,1] op_sel_hi:[1,1,0] neg_lo:[0,0,1] neg_hi:[0,0,1]
	v_pk_fma_f32 v[132:133], v[132:133], v[122:123], v[136:137] op_sel:[0,0,1] op_sel_hi:[1,0,0]
	s_delay_alu instid0(VALU_DEP_1) | instskip(SKIP_1) | instid1(VALU_DEP_1)
	v_mov_b32_e32 v139, v133
	v_pk_mul_f32 v[132:133], v[134:135], v[124:125] op_sel:[0,1]
	v_pk_fma_f32 v[136:137], v[134:135], v[122:123], v[132:133] op_sel:[0,0,1] op_sel_hi:[1,1,0] neg_lo:[0,0,1] neg_hi:[0,0,1]
	v_pk_fma_f32 v[132:133], v[134:135], v[122:123], v[132:133] op_sel:[0,0,1] op_sel_hi:[1,0,0]
	s_delay_alu instid0(VALU_DEP_1)
	v_mov_b32_e32 v137, v133
	ds_load_2addr_b64 v[132:135], v126 offset0:51 offset1:52
	v_pk_add_f32 v[10:11], v[10:11], v[138:139] neg_lo:[0,1] neg_hi:[0,1]
	v_pk_add_f32 v[12:13], v[12:13], v[136:137] neg_lo:[0,1] neg_hi:[0,1]
	s_wait_dscnt 0x0
	v_pk_mul_f32 v[136:137], v[132:133], v[124:125] op_sel:[0,1]
	s_delay_alu instid0(VALU_DEP_1) | instskip(SKIP_1) | instid1(VALU_DEP_1)
	v_pk_fma_f32 v[138:139], v[132:133], v[122:123], v[136:137] op_sel:[0,0,1] op_sel_hi:[1,1,0] neg_lo:[0,0,1] neg_hi:[0,0,1]
	v_pk_fma_f32 v[132:133], v[132:133], v[122:123], v[136:137] op_sel:[0,0,1] op_sel_hi:[1,0,0]
	v_mov_b32_e32 v139, v133
	v_pk_mul_f32 v[132:133], v[134:135], v[124:125] op_sel:[0,1]
	s_delay_alu instid0(VALU_DEP_1) | instskip(SKIP_1) | instid1(VALU_DEP_1)
	v_pk_fma_f32 v[136:137], v[134:135], v[122:123], v[132:133] op_sel:[0,0,1] op_sel_hi:[1,1,0] neg_lo:[0,0,1] neg_hi:[0,0,1]
	v_pk_fma_f32 v[132:133], v[134:135], v[122:123], v[132:133] op_sel:[0,0,1] op_sel_hi:[1,0,0]
	v_mov_b32_e32 v137, v133
	ds_load_2addr_b64 v[132:135], v126 offset0:53 offset1:54
	v_pk_add_f32 v[8:9], v[8:9], v[138:139] neg_lo:[0,1] neg_hi:[0,1]
	v_pk_add_f32 v[60:61], v[60:61], v[136:137] neg_lo:[0,1] neg_hi:[0,1]
	s_wait_dscnt 0x0
	v_dual_mul_f32 v136, v133, v125 :: v_dual_mul_f32 v138, v133, v122
	s_delay_alu instid0(VALU_DEP_1) | instskip(NEXT) | instid1(VALU_DEP_2)
	v_pk_fma_f32 v[136:137], v[132:133], v[110:111], v[136:137] op_sel_hi:[1,1,0] neg_lo:[0,0,1] neg_hi:[0,0,1]
	v_pk_fma_f32 v[132:133], v[132:133], v[110:111], v[138:139] op_sel:[1,0,0] op_sel_hi:[0,1,0]
	s_delay_alu instid0(VALU_DEP_1) | instskip(SKIP_1) | instid1(VALU_DEP_2)
	v_mov_b32_e32 v137, v133
	v_pk_mul_f32 v[132:133], v[134:135], v[124:125] op_sel:[0,1]
	v_pk_add_f32 v[6:7], v[6:7], v[136:137] neg_lo:[0,1] neg_hi:[0,1]
	s_delay_alu instid0(VALU_DEP_2) | instskip(SKIP_1) | instid1(VALU_DEP_1)
	v_pk_fma_f32 v[136:137], v[134:135], v[122:123], v[132:133] op_sel:[0,0,1] op_sel_hi:[1,1,0] neg_lo:[0,0,1] neg_hi:[0,0,1]
	v_pk_fma_f32 v[132:133], v[134:135], v[122:123], v[132:133] op_sel:[0,0,1] op_sel_hi:[1,0,0]
	v_mov_b32_e32 v137, v133
	ds_load_2addr_b64 v[132:135], v126 offset0:55 offset1:56
	v_pk_add_f32 v[42:43], v[42:43], v[136:137] neg_lo:[0,1] neg_hi:[0,1]
	s_wait_dscnt 0x0
	v_pk_mul_f32 v[136:137], v[132:133], v[124:125] op_sel:[0,1]
	s_delay_alu instid0(VALU_DEP_1) | instskip(SKIP_1) | instid1(VALU_DEP_1)
	v_pk_fma_f32 v[138:139], v[132:133], v[122:123], v[136:137] op_sel:[0,0,1] op_sel_hi:[1,1,0] neg_lo:[0,0,1] neg_hi:[0,0,1]
	v_pk_fma_f32 v[132:133], v[132:133], v[122:123], v[136:137] op_sel:[0,0,1] op_sel_hi:[1,0,0]
	v_mov_b32_e32 v139, v133
	v_pk_mul_f32 v[132:133], v[134:135], v[124:125] op_sel:[0,1]
	s_delay_alu instid0(VALU_DEP_2) | instskip(NEXT) | instid1(VALU_DEP_2)
	v_pk_add_f32 v[28:29], v[28:29], v[138:139] neg_lo:[0,1] neg_hi:[0,1]
	v_pk_fma_f32 v[136:137], v[134:135], v[122:123], v[132:133] op_sel:[0,0,1] op_sel_hi:[1,1,0] neg_lo:[0,0,1] neg_hi:[0,0,1]
	v_pk_fma_f32 v[132:133], v[134:135], v[122:123], v[132:133] op_sel:[0,0,1] op_sel_hi:[1,0,0]
	s_delay_alu instid0(VALU_DEP_1) | instskip(SKIP_4) | instid1(VALU_DEP_1)
	v_mov_b32_e32 v137, v133
	ds_load_b64 v[132:133], v126 offset:456
	v_pk_add_f32 v[14:15], v[14:15], v[136:137] neg_lo:[0,1] neg_hi:[0,1]
	s_wait_dscnt 0x0
	v_pk_mul_f32 v[124:125], v[132:133], v[124:125] op_sel:[0,1]
	v_pk_fma_f32 v[134:135], v[132:133], v[122:123], v[124:125] op_sel:[0,0,1] op_sel_hi:[1,1,0] neg_lo:[0,0,1] neg_hi:[0,0,1]
	v_pk_fma_f32 v[122:123], v[132:133], v[122:123], v[124:125] op_sel:[0,0,1] op_sel_hi:[1,0,0]
	s_delay_alu instid0(VALU_DEP_1) | instskip(NEXT) | instid1(VALU_DEP_1)
	v_mov_b32_e32 v135, v123
	v_pk_add_f32 v[120:121], v[120:121], v[134:135] neg_lo:[0,1] neg_hi:[0,1]
.LBB114_104:
	s_or_b32 exec_lo, exec_lo, s0
	v_lshl_add_u32 v122, v130, 3, v126
	s_barrier_signal -1
	s_barrier_wait -1
	ds_store_b64 v122, v[98:99]
	s_wait_dscnt 0x0
	s_barrier_signal -1
	s_barrier_wait -1
	ds_load_b64 v[124:125], v126 offset:40
	v_mov_b32_e32 v122, 5
	s_cmp_lt_i32 s18, 7
	s_cbranch_scc1 .LBB114_107
; %bb.105:
	v_add3_u32 v123, v127, 0, 48
	v_mov_b32_e32 v122, 5
	s_mov_b32 s0, 6
.LBB114_106:                            ; =>This Inner Loop Header: Depth=1
	ds_load_b64 v[132:133], v123
	s_wait_dscnt 0x1
	v_cmp_gt_f32_e32 vcc_lo, 0, v124
	v_cndmask_b32_e64 v134, v124, -v124, vcc_lo
	v_cmp_gt_f32_e32 vcc_lo, 0, v125
	v_cndmask_b32_e64 v136, v125, -v125, vcc_lo
	s_wait_dscnt 0x0
	v_cmp_gt_f32_e32 vcc_lo, 0, v132
	v_cndmask_b32_e64 v135, v132, -v132, vcc_lo
	v_cmp_gt_f32_e32 vcc_lo, 0, v133
	v_cndmask_b32_e64 v137, v133, -v133, vcc_lo
	s_delay_alu instid0(VALU_DEP_1) | instskip(NEXT) | instid1(VALU_DEP_1)
	v_pk_add_f32 v[134:135], v[134:135], v[136:137]
	v_cmp_lt_f32_e32 vcc_lo, v134, v135
	v_dual_add_nc_u32 v123, 8, v123 :: v_dual_cndmask_b32 v125, v125, v133, vcc_lo
	v_cndmask_b32_e32 v124, v124, v132, vcc_lo
	v_cndmask_b32_e64 v122, v122, s0, vcc_lo
	s_add_co_i32 s0, s0, 1
	s_delay_alu instid0(SALU_CYCLE_1)
	s_cmp_lg_u32 s18, s0
	s_cbranch_scc1 .LBB114_106
.LBB114_107:
	s_wait_dscnt 0x0
	v_cmp_eq_f32_e32 vcc_lo, 0, v124
	v_cmp_eq_f32_e64 s0, 0, v125
	s_and_b32 s0, vcc_lo, s0
	s_delay_alu instid0(SALU_CYCLE_1) | instskip(NEXT) | instid1(SALU_CYCLE_1)
	s_and_saveexec_b32 s1, s0
	s_xor_b32 s0, exec_lo, s1
; %bb.108:
	v_cmp_ne_u32_e32 vcc_lo, 0, v128
	v_cndmask_b32_e32 v128, 6, v128, vcc_lo
; %bb.109:
	s_and_not1_saveexec_b32 s0, s0
	s_cbranch_execz .LBB114_115
; %bb.110:
	v_cmp_ngt_f32_e64 s1, |v124|, |v125|
	s_and_saveexec_b32 s12, s1
	s_delay_alu instid0(SALU_CYCLE_1)
	s_xor_b32 s1, exec_lo, s12
	s_cbranch_execz .LBB114_112
; %bb.111:
	v_div_scale_f32 v123, null, v125, v125, v124
	v_div_scale_f32 v133, vcc_lo, v124, v125, v124
	s_delay_alu instid0(VALU_DEP_2) | instskip(SKIP_1) | instid1(TRANS32_DEP_1)
	v_rcp_f32_e32 v131, v123
	v_nop
	v_fma_f32 v132, -v123, v131, 1.0
	s_delay_alu instid0(VALU_DEP_1) | instskip(NEXT) | instid1(VALU_DEP_1)
	v_fmac_f32_e32 v131, v132, v131
	v_mul_f32_e32 v132, v133, v131
	s_delay_alu instid0(VALU_DEP_1) | instskip(NEXT) | instid1(VALU_DEP_1)
	v_fma_f32 v134, -v123, v132, v133
	v_fmac_f32_e32 v132, v134, v131
	s_delay_alu instid0(VALU_DEP_1) | instskip(NEXT) | instid1(VALU_DEP_1)
	v_fma_f32 v123, -v123, v132, v133
	v_div_fmas_f32 v123, v123, v131, v132
	s_delay_alu instid0(VALU_DEP_1) | instskip(NEXT) | instid1(VALU_DEP_1)
	v_div_fixup_f32 v123, v123, v125, v124
	v_fmac_f32_e32 v125, v124, v123
	s_delay_alu instid0(VALU_DEP_1) | instskip(SKIP_1) | instid1(VALU_DEP_2)
	v_div_scale_f32 v124, null, v125, v125, 1.0
	v_div_scale_f32 v133, vcc_lo, 1.0, v125, 1.0
	v_rcp_f32_e32 v131, v124
	v_nop
	s_delay_alu instid0(TRANS32_DEP_1) | instskip(NEXT) | instid1(VALU_DEP_1)
	v_fma_f32 v132, -v124, v131, 1.0
	v_fmac_f32_e32 v131, v132, v131
	s_delay_alu instid0(VALU_DEP_1) | instskip(NEXT) | instid1(VALU_DEP_1)
	v_mul_f32_e32 v132, v133, v131
	v_fma_f32 v134, -v124, v132, v133
	s_delay_alu instid0(VALU_DEP_1) | instskip(NEXT) | instid1(VALU_DEP_1)
	v_fmac_f32_e32 v132, v134, v131
	v_fma_f32 v124, -v124, v132, v133
	s_delay_alu instid0(VALU_DEP_1) | instskip(NEXT) | instid1(VALU_DEP_1)
	v_div_fmas_f32 v124, v124, v131, v132
	v_div_fixup_f32 v125, v124, v125, 1.0
	s_delay_alu instid0(VALU_DEP_1)
	v_mul_f32_e32 v124, v123, v125
	v_xor_b32_e32 v125, 0x80000000, v125
.LBB114_112:
	s_and_not1_saveexec_b32 s1, s1
	s_cbranch_execz .LBB114_114
; %bb.113:
	s_delay_alu instid0(VALU_DEP_1) | instskip(SKIP_1) | instid1(VALU_DEP_2)
	v_div_scale_f32 v123, null, v124, v124, v125
	v_div_scale_f32 v133, vcc_lo, v125, v124, v125
	v_rcp_f32_e32 v131, v123
	v_nop
	s_delay_alu instid0(TRANS32_DEP_1) | instskip(NEXT) | instid1(VALU_DEP_1)
	v_fma_f32 v132, -v123, v131, 1.0
	v_fmac_f32_e32 v131, v132, v131
	s_delay_alu instid0(VALU_DEP_1) | instskip(NEXT) | instid1(VALU_DEP_1)
	v_mul_f32_e32 v132, v133, v131
	v_fma_f32 v134, -v123, v132, v133
	s_delay_alu instid0(VALU_DEP_1) | instskip(NEXT) | instid1(VALU_DEP_1)
	v_fmac_f32_e32 v132, v134, v131
	v_fma_f32 v123, -v123, v132, v133
	s_delay_alu instid0(VALU_DEP_1) | instskip(NEXT) | instid1(VALU_DEP_1)
	v_div_fmas_f32 v123, v123, v131, v132
	v_div_fixup_f32 v123, v123, v124, v125
	s_delay_alu instid0(VALU_DEP_1) | instskip(NEXT) | instid1(VALU_DEP_1)
	v_fmac_f32_e32 v124, v125, v123
	v_div_scale_f32 v125, null, v124, v124, 1.0
	s_delay_alu instid0(VALU_DEP_1) | instskip(SKIP_1) | instid1(TRANS32_DEP_1)
	v_rcp_f32_e32 v131, v125
	v_nop
	v_fma_f32 v132, -v125, v131, 1.0
	s_delay_alu instid0(VALU_DEP_1) | instskip(SKIP_1) | instid1(VALU_DEP_1)
	v_fmac_f32_e32 v131, v132, v131
	v_div_scale_f32 v132, vcc_lo, 1.0, v124, 1.0
	v_mul_f32_e32 v133, v132, v131
	s_delay_alu instid0(VALU_DEP_1) | instskip(NEXT) | instid1(VALU_DEP_1)
	v_fma_f32 v134, -v125, v133, v132
	v_fmac_f32_e32 v133, v134, v131
	s_delay_alu instid0(VALU_DEP_1) | instskip(NEXT) | instid1(VALU_DEP_1)
	v_fma_f32 v125, -v125, v133, v132
	v_div_fmas_f32 v125, v125, v131, v133
	s_delay_alu instid0(VALU_DEP_1) | instskip(NEXT) | instid1(VALU_DEP_1)
	v_div_fixup_f32 v124, v125, v124, 1.0
	v_mul_f32_e64 v125, v123, -v124
.LBB114_114:
	s_or_b32 exec_lo, exec_lo, s1
.LBB114_115:
	s_delay_alu instid0(SALU_CYCLE_1) | instskip(NEXT) | instid1(SALU_CYCLE_1)
	s_or_b32 exec_lo, exec_lo, s0
	s_mov_b32 s0, exec_lo
	v_cmpx_ne_u32_e64 v130, v122
	s_xor_b32 s0, exec_lo, s0
	s_cbranch_execz .LBB114_121
; %bb.116:
	s_mov_b32 s1, exec_lo
	v_cmpx_eq_u32_e32 5, v130
	s_cbranch_execz .LBB114_120
; %bb.117:
	v_cmp_ne_u32_e32 vcc_lo, 5, v122
	s_xor_b32 s12, s16, -1
	s_delay_alu instid0(SALU_CYCLE_1) | instskip(NEXT) | instid1(SALU_CYCLE_1)
	s_and_b32 s13, s12, vcc_lo
	s_and_saveexec_b32 s12, s13
	s_cbranch_execz .LBB114_119
; %bb.118:
	v_ashrrev_i32_e32 v123, 31, v122
	s_delay_alu instid0(VALU_DEP_1)
	v_lshl_add_u64 v[130:131], v[122:123], 2, v[4:5]
	s_clause 0x1
	global_load_b32 v123, v[130:131], off
	global_load_b32 v129, v[4:5], off offset:20
	s_wait_loadcnt 0x1
	global_store_b32 v[4:5], v123, off offset:20
	s_wait_loadcnt 0x0
	global_store_b32 v[130:131], v129, off
.LBB114_119:
	s_wait_xcnt 0x0
	s_or_b32 exec_lo, exec_lo, s12
	v_dual_mov_b32 v130, v122 :: v_dual_mov_b32 v129, v122
.LBB114_120:
	s_or_b32 exec_lo, exec_lo, s1
.LBB114_121:
	s_and_not1_saveexec_b32 s0, s0
	s_cbranch_execz .LBB114_123
; %bb.122:
	v_dual_mov_b32 v122, v86 :: v_dual_mov_b32 v123, v87
	v_dual_mov_b32 v130, v70 :: v_dual_mov_b32 v131, v71
	ds_store_2addr_b64 v126, v[122:123], v[130:131] offset0:6 offset1:7
	v_dual_mov_b32 v122, v108 :: v_dual_mov_b32 v123, v109
	v_dual_mov_b32 v130, v80 :: v_dual_mov_b32 v131, v81
	ds_store_2addr_b64 v126, v[122:123], v[130:131] offset0:8 offset1:9
	;; [unrolled: 3-line block ×25, first 2 shown]
	v_dual_mov_b32 v122, v14 :: v_dual_mov_b32 v123, v15
	v_mov_b32_e32 v130, 5
	ds_store_2addr_b64 v126, v[122:123], v[120:121] offset0:56 offset1:57
.LBB114_123:
	s_or_b32 exec_lo, exec_lo, s0
	s_delay_alu instid0(SALU_CYCLE_1)
	s_mov_b32 s0, exec_lo
	s_wait_storecnt_dscnt 0x0
	s_barrier_signal -1
	s_barrier_wait -1
	v_cmpx_lt_i32_e32 5, v130
	s_cbranch_execz .LBB114_125
; %bb.124:
	v_pk_mul_f32 v[132:133], v[124:125], v[98:99] op_sel:[1,1] op_sel_hi:[0,1]
	s_delay_alu instid0(VALU_DEP_1)
	v_pk_fma_f32 v[122:123], v[124:125], v[98:99], v[132:133] op_sel_hi:[1,0,1] neg_lo:[0,0,1] neg_hi:[0,0,1]
	v_pk_fma_f32 v[124:125], v[124:125], v[98:99], v[132:133] op_sel_hi:[1,0,1]
	ds_load_2addr_b64 v[132:135], v126 offset0:6 offset1:7
	v_dual_mov_b32 v98, v122 :: v_dual_mov_b32 v99, v125
	s_wait_dscnt 0x0
	v_pk_mul_f32 v[136:137], v[132:133], v[124:125] op_sel:[0,1]
	s_delay_alu instid0(VALU_DEP_1) | instskip(SKIP_1) | instid1(VALU_DEP_1)
	v_pk_fma_f32 v[138:139], v[132:133], v[122:123], v[136:137] op_sel:[0,0,1] op_sel_hi:[1,1,0] neg_lo:[0,0,1] neg_hi:[0,0,1]
	v_pk_fma_f32 v[132:133], v[132:133], v[122:123], v[136:137] op_sel:[0,0,1] op_sel_hi:[1,0,0]
	v_mov_b32_e32 v139, v133
	v_pk_mul_f32 v[132:133], v[134:135], v[124:125] op_sel:[0,1]
	s_delay_alu instid0(VALU_DEP_1) | instskip(SKIP_1) | instid1(VALU_DEP_1)
	v_pk_fma_f32 v[136:137], v[134:135], v[122:123], v[132:133] op_sel:[0,0,1] op_sel_hi:[1,1,0] neg_lo:[0,0,1] neg_hi:[0,0,1]
	v_pk_fma_f32 v[132:133], v[134:135], v[122:123], v[132:133] op_sel:[0,0,1] op_sel_hi:[1,0,0]
	v_mov_b32_e32 v137, v133
	ds_load_2addr_b64 v[132:135], v126 offset0:8 offset1:9
	v_pk_add_f32 v[86:87], v[86:87], v[138:139] neg_lo:[0,1] neg_hi:[0,1]
	v_pk_add_f32 v[70:71], v[70:71], v[136:137] neg_lo:[0,1] neg_hi:[0,1]
	s_wait_dscnt 0x0
	v_pk_mul_f32 v[136:137], v[132:133], v[124:125] op_sel:[0,1]
	s_delay_alu instid0(VALU_DEP_1) | instskip(SKIP_2) | instid1(VALU_DEP_2)
	v_pk_fma_f32 v[138:139], v[132:133], v[122:123], v[136:137] op_sel:[0,0,1] op_sel_hi:[1,1,0] neg_lo:[0,0,1] neg_hi:[0,0,1]
	v_pk_fma_f32 v[132:133], v[132:133], v[122:123], v[136:137] op_sel:[0,0,1] op_sel_hi:[1,0,0]
	v_dual_mul_f32 v136, v135, v125 :: v_dual_mov_b32 v132, v135
	v_dual_mov_b32 v139, v133 :: v_dual_mov_b32 v133, v134
	s_delay_alu instid0(VALU_DEP_2) | instskip(SKIP_1) | instid1(VALU_DEP_3)
	v_pk_fma_f32 v[136:137], v[134:135], v[98:99], v[136:137] op_sel_hi:[1,1,0] neg_lo:[0,0,1] neg_hi:[0,0,1]
	v_mul_f32_e32 v134, v135, v122
	v_pk_add_f32 v[108:109], v[108:109], v[138:139] neg_lo:[0,1] neg_hi:[0,1]
	s_delay_alu instid0(VALU_DEP_2) | instskip(NEXT) | instid1(VALU_DEP_1)
	v_pk_fma_f32 v[132:133], v[132:133], v[98:99], v[134:135] op_sel_hi:[1,1,0]
	v_mov_b32_e32 v137, v133
	ds_load_2addr_b64 v[132:135], v126 offset0:10 offset1:11
	v_pk_add_f32 v[80:81], v[80:81], v[136:137] neg_lo:[0,1] neg_hi:[0,1]
	s_wait_dscnt 0x0
	v_pk_mul_f32 v[136:137], v[132:133], v[124:125] op_sel:[0,1]
	s_delay_alu instid0(VALU_DEP_1) | instskip(SKIP_1) | instid1(VALU_DEP_1)
	v_pk_fma_f32 v[138:139], v[132:133], v[122:123], v[136:137] op_sel:[0,0,1] op_sel_hi:[1,1,0] neg_lo:[0,0,1] neg_hi:[0,0,1]
	v_pk_fma_f32 v[132:133], v[132:133], v[122:123], v[136:137] op_sel:[0,0,1] op_sel_hi:[1,0,0]
	v_mov_b32_e32 v139, v133
	v_pk_mul_f32 v[132:133], v[134:135], v[124:125] op_sel:[0,1]
	s_delay_alu instid0(VALU_DEP_1) | instskip(SKIP_1) | instid1(VALU_DEP_1)
	v_pk_fma_f32 v[136:137], v[134:135], v[122:123], v[132:133] op_sel:[0,0,1] op_sel_hi:[1,1,0] neg_lo:[0,0,1] neg_hi:[0,0,1]
	v_pk_fma_f32 v[132:133], v[134:135], v[122:123], v[132:133] op_sel:[0,0,1] op_sel_hi:[1,0,0]
	v_mov_b32_e32 v137, v133
	ds_load_2addr_b64 v[132:135], v126 offset0:12 offset1:13
	v_pk_add_f32 v[82:83], v[82:83], v[138:139] neg_lo:[0,1] neg_hi:[0,1]
	v_pk_add_f32 v[78:79], v[78:79], v[136:137] neg_lo:[0,1] neg_hi:[0,1]
	s_wait_dscnt 0x0
	v_pk_mul_f32 v[136:137], v[132:133], v[124:125] op_sel:[0,1]
	s_delay_alu instid0(VALU_DEP_1) | instskip(SKIP_1) | instid1(VALU_DEP_1)
	v_pk_fma_f32 v[138:139], v[132:133], v[122:123], v[136:137] op_sel:[0,0,1] op_sel_hi:[1,1,0] neg_lo:[0,0,1] neg_hi:[0,0,1]
	v_pk_fma_f32 v[132:133], v[132:133], v[122:123], v[136:137] op_sel:[0,0,1] op_sel_hi:[1,0,0]
	v_mov_b32_e32 v139, v133
	v_pk_mul_f32 v[132:133], v[134:135], v[124:125] op_sel:[0,1]
	s_delay_alu instid0(VALU_DEP_1) | instskip(SKIP_1) | instid1(VALU_DEP_1)
	v_pk_fma_f32 v[136:137], v[134:135], v[122:123], v[132:133] op_sel:[0,0,1] op_sel_hi:[1,1,0] neg_lo:[0,0,1] neg_hi:[0,0,1]
	v_pk_fma_f32 v[132:133], v[134:135], v[122:123], v[132:133] op_sel:[0,0,1] op_sel_hi:[1,0,0]
	v_mov_b32_e32 v137, v133
	ds_load_2addr_b64 v[132:135], v126 offset0:14 offset1:15
	v_pk_add_f32 v[106:107], v[106:107], v[138:139] neg_lo:[0,1] neg_hi:[0,1]
	v_pk_add_f32 v[74:75], v[74:75], v[136:137] neg_lo:[0,1] neg_hi:[0,1]
	s_wait_dscnt 0x0
	v_dual_mul_f32 v136, v133, v125 :: v_dual_mul_f32 v138, v133, v122
	s_delay_alu instid0(VALU_DEP_1) | instskip(NEXT) | instid1(VALU_DEP_2)
	v_pk_fma_f32 v[136:137], v[132:133], v[98:99], v[136:137] op_sel_hi:[1,1,0] neg_lo:[0,0,1] neg_hi:[0,0,1]
	v_pk_fma_f32 v[132:133], v[132:133], v[98:99], v[138:139] op_sel:[1,0,0] op_sel_hi:[0,1,0]
	s_delay_alu instid0(VALU_DEP_1) | instskip(SKIP_1) | instid1(VALU_DEP_2)
	v_mov_b32_e32 v137, v133
	v_pk_mul_f32 v[132:133], v[134:135], v[124:125] op_sel:[0,1]
	v_pk_add_f32 v[76:77], v[76:77], v[136:137] neg_lo:[0,1] neg_hi:[0,1]
	s_delay_alu instid0(VALU_DEP_2) | instskip(SKIP_1) | instid1(VALU_DEP_1)
	v_pk_fma_f32 v[136:137], v[134:135], v[122:123], v[132:133] op_sel:[0,0,1] op_sel_hi:[1,1,0] neg_lo:[0,0,1] neg_hi:[0,0,1]
	v_pk_fma_f32 v[132:133], v[134:135], v[122:123], v[132:133] op_sel:[0,0,1] op_sel_hi:[1,0,0]
	v_mov_b32_e32 v137, v133
	ds_load_2addr_b64 v[132:135], v126 offset0:16 offset1:17
	v_pk_add_f32 v[72:73], v[72:73], v[136:137] neg_lo:[0,1] neg_hi:[0,1]
	s_wait_dscnt 0x0
	v_pk_mul_f32 v[136:137], v[132:133], v[124:125] op_sel:[0,1]
	s_delay_alu instid0(VALU_DEP_1) | instskip(SKIP_1) | instid1(VALU_DEP_1)
	v_pk_fma_f32 v[138:139], v[132:133], v[122:123], v[136:137] op_sel:[0,0,1] op_sel_hi:[1,1,0] neg_lo:[0,0,1] neg_hi:[0,0,1]
	v_pk_fma_f32 v[132:133], v[132:133], v[122:123], v[136:137] op_sel:[0,0,1] op_sel_hi:[1,0,0]
	v_mov_b32_e32 v139, v133
	v_pk_mul_f32 v[132:133], v[134:135], v[124:125] op_sel:[0,1]
	s_delay_alu instid0(VALU_DEP_2) | instskip(NEXT) | instid1(VALU_DEP_2)
	v_pk_add_f32 v[104:105], v[104:105], v[138:139] neg_lo:[0,1] neg_hi:[0,1]
	v_pk_fma_f32 v[136:137], v[134:135], v[122:123], v[132:133] op_sel:[0,0,1] op_sel_hi:[1,1,0] neg_lo:[0,0,1] neg_hi:[0,0,1]
	v_pk_fma_f32 v[132:133], v[134:135], v[122:123], v[132:133] op_sel:[0,0,1] op_sel_hi:[1,0,0]
	s_delay_alu instid0(VALU_DEP_1) | instskip(SKIP_4) | instid1(VALU_DEP_1)
	v_mov_b32_e32 v137, v133
	ds_load_2addr_b64 v[132:135], v126 offset0:18 offset1:19
	v_pk_add_f32 v[66:67], v[66:67], v[136:137] neg_lo:[0,1] neg_hi:[0,1]
	s_wait_dscnt 0x0
	v_pk_mul_f32 v[136:137], v[132:133], v[124:125] op_sel:[0,1]
	v_pk_fma_f32 v[138:139], v[132:133], v[122:123], v[136:137] op_sel:[0,0,1] op_sel_hi:[1,1,0] neg_lo:[0,0,1] neg_hi:[0,0,1]
	v_pk_fma_f32 v[132:133], v[132:133], v[122:123], v[136:137] op_sel:[0,0,1] op_sel_hi:[1,0,0]
	v_dual_mul_f32 v136, v135, v125 :: v_dual_mov_b32 v132, v135
	s_delay_alu instid0(VALU_DEP_2) | instskip(NEXT) | instid1(VALU_DEP_2)
	v_dual_mov_b32 v139, v133 :: v_dual_mov_b32 v133, v134
	v_pk_fma_f32 v[136:137], v[134:135], v[98:99], v[136:137] op_sel_hi:[1,1,0] neg_lo:[0,0,1] neg_hi:[0,0,1]
	v_mul_f32_e32 v134, v135, v122
	s_delay_alu instid0(VALU_DEP_3) | instskip(NEXT) | instid1(VALU_DEP_2)
	v_pk_add_f32 v[68:69], v[68:69], v[138:139] neg_lo:[0,1] neg_hi:[0,1]
	v_pk_fma_f32 v[132:133], v[132:133], v[98:99], v[134:135] op_sel_hi:[1,1,0]
	s_delay_alu instid0(VALU_DEP_1) | instskip(SKIP_4) | instid1(VALU_DEP_1)
	v_mov_b32_e32 v137, v133
	ds_load_2addr_b64 v[132:135], v126 offset0:20 offset1:21
	v_pk_add_f32 v[64:65], v[64:65], v[136:137] neg_lo:[0,1] neg_hi:[0,1]
	s_wait_dscnt 0x0
	v_pk_mul_f32 v[136:137], v[132:133], v[124:125] op_sel:[0,1]
	v_pk_fma_f32 v[138:139], v[132:133], v[122:123], v[136:137] op_sel:[0,0,1] op_sel_hi:[1,1,0] neg_lo:[0,0,1] neg_hi:[0,0,1]
	v_pk_fma_f32 v[132:133], v[132:133], v[122:123], v[136:137] op_sel:[0,0,1] op_sel_hi:[1,0,0]
	s_delay_alu instid0(VALU_DEP_1) | instskip(SKIP_1) | instid1(VALU_DEP_1)
	v_mov_b32_e32 v139, v133
	v_pk_mul_f32 v[132:133], v[134:135], v[124:125] op_sel:[0,1]
	v_pk_fma_f32 v[136:137], v[134:135], v[122:123], v[132:133] op_sel:[0,0,1] op_sel_hi:[1,1,0] neg_lo:[0,0,1] neg_hi:[0,0,1]
	v_pk_fma_f32 v[132:133], v[134:135], v[122:123], v[132:133] op_sel:[0,0,1] op_sel_hi:[1,0,0]
	s_delay_alu instid0(VALU_DEP_1)
	v_mov_b32_e32 v137, v133
	ds_load_2addr_b64 v[132:135], v126 offset0:22 offset1:23
	v_pk_add_f32 v[102:103], v[102:103], v[138:139] neg_lo:[0,1] neg_hi:[0,1]
	v_pk_add_f32 v[58:59], v[58:59], v[136:137] neg_lo:[0,1] neg_hi:[0,1]
	s_wait_dscnt 0x0
	v_pk_mul_f32 v[136:137], v[132:133], v[124:125] op_sel:[0,1]
	s_delay_alu instid0(VALU_DEP_1) | instskip(SKIP_1) | instid1(VALU_DEP_1)
	v_pk_fma_f32 v[138:139], v[132:133], v[122:123], v[136:137] op_sel:[0,0,1] op_sel_hi:[1,1,0] neg_lo:[0,0,1] neg_hi:[0,0,1]
	v_pk_fma_f32 v[132:133], v[132:133], v[122:123], v[136:137] op_sel:[0,0,1] op_sel_hi:[1,0,0]
	v_mov_b32_e32 v139, v133
	v_pk_mul_f32 v[132:133], v[134:135], v[124:125] op_sel:[0,1]
	s_delay_alu instid0(VALU_DEP_1) | instskip(SKIP_1) | instid1(VALU_DEP_1)
	v_pk_fma_f32 v[136:137], v[134:135], v[122:123], v[132:133] op_sel:[0,0,1] op_sel_hi:[1,1,0] neg_lo:[0,0,1] neg_hi:[0,0,1]
	v_pk_fma_f32 v[132:133], v[134:135], v[122:123], v[132:133] op_sel:[0,0,1] op_sel_hi:[1,0,0]
	v_mov_b32_e32 v137, v133
	ds_load_2addr_b64 v[132:135], v126 offset0:24 offset1:25
	v_pk_add_f32 v[62:63], v[62:63], v[138:139] neg_lo:[0,1] neg_hi:[0,1]
	v_pk_add_f32 v[56:57], v[56:57], v[136:137] neg_lo:[0,1] neg_hi:[0,1]
	s_wait_dscnt 0x0
	v_dual_mul_f32 v136, v133, v125 :: v_dual_mul_f32 v138, v133, v122
	s_delay_alu instid0(VALU_DEP_1) | instskip(NEXT) | instid1(VALU_DEP_2)
	v_pk_fma_f32 v[136:137], v[132:133], v[98:99], v[136:137] op_sel_hi:[1,1,0] neg_lo:[0,0,1] neg_hi:[0,0,1]
	v_pk_fma_f32 v[132:133], v[132:133], v[98:99], v[138:139] op_sel:[1,0,0] op_sel_hi:[0,1,0]
	s_delay_alu instid0(VALU_DEP_1) | instskip(SKIP_1) | instid1(VALU_DEP_2)
	v_mov_b32_e32 v137, v133
	v_pk_mul_f32 v[132:133], v[134:135], v[124:125] op_sel:[0,1]
	v_pk_add_f32 v[100:101], v[100:101], v[136:137] neg_lo:[0,1] neg_hi:[0,1]
	s_delay_alu instid0(VALU_DEP_2) | instskip(SKIP_1) | instid1(VALU_DEP_1)
	v_pk_fma_f32 v[136:137], v[134:135], v[122:123], v[132:133] op_sel:[0,0,1] op_sel_hi:[1,1,0] neg_lo:[0,0,1] neg_hi:[0,0,1]
	v_pk_fma_f32 v[132:133], v[134:135], v[122:123], v[132:133] op_sel:[0,0,1] op_sel_hi:[1,0,0]
	v_mov_b32_e32 v137, v133
	ds_load_2addr_b64 v[132:135], v126 offset0:26 offset1:27
	v_pk_add_f32 v[52:53], v[52:53], v[136:137] neg_lo:[0,1] neg_hi:[0,1]
	s_wait_dscnt 0x0
	v_pk_mul_f32 v[136:137], v[132:133], v[124:125] op_sel:[0,1]
	s_delay_alu instid0(VALU_DEP_1) | instskip(SKIP_1) | instid1(VALU_DEP_1)
	v_pk_fma_f32 v[138:139], v[132:133], v[122:123], v[136:137] op_sel:[0,0,1] op_sel_hi:[1,1,0] neg_lo:[0,0,1] neg_hi:[0,0,1]
	v_pk_fma_f32 v[132:133], v[132:133], v[122:123], v[136:137] op_sel:[0,0,1] op_sel_hi:[1,0,0]
	v_mov_b32_e32 v139, v133
	v_pk_mul_f32 v[132:133], v[134:135], v[124:125] op_sel:[0,1]
	s_delay_alu instid0(VALU_DEP_2) | instskip(NEXT) | instid1(VALU_DEP_2)
	v_pk_add_f32 v[54:55], v[54:55], v[138:139] neg_lo:[0,1] neg_hi:[0,1]
	v_pk_fma_f32 v[136:137], v[134:135], v[122:123], v[132:133] op_sel:[0,0,1] op_sel_hi:[1,1,0] neg_lo:[0,0,1] neg_hi:[0,0,1]
	v_pk_fma_f32 v[132:133], v[134:135], v[122:123], v[132:133] op_sel:[0,0,1] op_sel_hi:[1,0,0]
	s_delay_alu instid0(VALU_DEP_1) | instskip(SKIP_4) | instid1(VALU_DEP_1)
	v_mov_b32_e32 v137, v133
	ds_load_2addr_b64 v[132:135], v126 offset0:28 offset1:29
	v_pk_add_f32 v[50:51], v[50:51], v[136:137] neg_lo:[0,1] neg_hi:[0,1]
	s_wait_dscnt 0x0
	v_pk_mul_f32 v[136:137], v[132:133], v[124:125] op_sel:[0,1]
	v_pk_fma_f32 v[138:139], v[132:133], v[122:123], v[136:137] op_sel:[0,0,1] op_sel_hi:[1,1,0] neg_lo:[0,0,1] neg_hi:[0,0,1]
	v_pk_fma_f32 v[132:133], v[132:133], v[122:123], v[136:137] op_sel:[0,0,1] op_sel_hi:[1,0,0]
	v_dual_mul_f32 v136, v135, v125 :: v_dual_mov_b32 v132, v135
	s_delay_alu instid0(VALU_DEP_2) | instskip(NEXT) | instid1(VALU_DEP_2)
	v_dual_mov_b32 v139, v133 :: v_dual_mov_b32 v133, v134
	v_pk_fma_f32 v[136:137], v[134:135], v[98:99], v[136:137] op_sel_hi:[1,1,0] neg_lo:[0,0,1] neg_hi:[0,0,1]
	v_mul_f32_e32 v134, v135, v122
	s_delay_alu instid0(VALU_DEP_3) | instskip(NEXT) | instid1(VALU_DEP_2)
	v_pk_add_f32 v[96:97], v[96:97], v[138:139] neg_lo:[0,1] neg_hi:[0,1]
	v_pk_fma_f32 v[132:133], v[132:133], v[98:99], v[134:135] op_sel_hi:[1,1,0]
	s_delay_alu instid0(VALU_DEP_1) | instskip(SKIP_4) | instid1(VALU_DEP_1)
	v_mov_b32_e32 v137, v133
	ds_load_2addr_b64 v[132:135], v126 offset0:30 offset1:31
	v_pk_add_f32 v[46:47], v[46:47], v[136:137] neg_lo:[0,1] neg_hi:[0,1]
	s_wait_dscnt 0x0
	v_pk_mul_f32 v[136:137], v[132:133], v[124:125] op_sel:[0,1]
	v_pk_fma_f32 v[138:139], v[132:133], v[122:123], v[136:137] op_sel:[0,0,1] op_sel_hi:[1,1,0] neg_lo:[0,0,1] neg_hi:[0,0,1]
	v_pk_fma_f32 v[132:133], v[132:133], v[122:123], v[136:137] op_sel:[0,0,1] op_sel_hi:[1,0,0]
	s_delay_alu instid0(VALU_DEP_1) | instskip(SKIP_1) | instid1(VALU_DEP_1)
	v_mov_b32_e32 v139, v133
	v_pk_mul_f32 v[132:133], v[134:135], v[124:125] op_sel:[0,1]
	v_pk_fma_f32 v[136:137], v[134:135], v[122:123], v[132:133] op_sel:[0,0,1] op_sel_hi:[1,1,0] neg_lo:[0,0,1] neg_hi:[0,0,1]
	v_pk_fma_f32 v[132:133], v[134:135], v[122:123], v[132:133] op_sel:[0,0,1] op_sel_hi:[1,0,0]
	s_delay_alu instid0(VALU_DEP_1)
	v_mov_b32_e32 v137, v133
	ds_load_2addr_b64 v[132:135], v126 offset0:32 offset1:33
	v_pk_add_f32 v[48:49], v[48:49], v[138:139] neg_lo:[0,1] neg_hi:[0,1]
	v_pk_add_f32 v[44:45], v[44:45], v[136:137] neg_lo:[0,1] neg_hi:[0,1]
	s_wait_dscnt 0x0
	v_pk_mul_f32 v[136:137], v[132:133], v[124:125] op_sel:[0,1]
	s_delay_alu instid0(VALU_DEP_1) | instskip(SKIP_1) | instid1(VALU_DEP_1)
	v_pk_fma_f32 v[138:139], v[132:133], v[122:123], v[136:137] op_sel:[0,0,1] op_sel_hi:[1,1,0] neg_lo:[0,0,1] neg_hi:[0,0,1]
	v_pk_fma_f32 v[132:133], v[132:133], v[122:123], v[136:137] op_sel:[0,0,1] op_sel_hi:[1,0,0]
	v_mov_b32_e32 v139, v133
	v_pk_mul_f32 v[132:133], v[134:135], v[124:125] op_sel:[0,1]
	s_delay_alu instid0(VALU_DEP_1) | instskip(SKIP_1) | instid1(VALU_DEP_1)
	v_pk_fma_f32 v[136:137], v[134:135], v[122:123], v[132:133] op_sel:[0,0,1] op_sel_hi:[1,1,0] neg_lo:[0,0,1] neg_hi:[0,0,1]
	v_pk_fma_f32 v[132:133], v[134:135], v[122:123], v[132:133] op_sel:[0,0,1] op_sel_hi:[1,0,0]
	v_mov_b32_e32 v137, v133
	ds_load_2addr_b64 v[132:135], v126 offset0:34 offset1:35
	v_pk_add_f32 v[94:95], v[94:95], v[138:139] neg_lo:[0,1] neg_hi:[0,1]
	v_pk_add_f32 v[38:39], v[38:39], v[136:137] neg_lo:[0,1] neg_hi:[0,1]
	s_wait_dscnt 0x0
	v_dual_mul_f32 v136, v133, v125 :: v_dual_mul_f32 v138, v133, v122
	s_delay_alu instid0(VALU_DEP_1) | instskip(NEXT) | instid1(VALU_DEP_2)
	v_pk_fma_f32 v[136:137], v[132:133], v[98:99], v[136:137] op_sel_hi:[1,1,0] neg_lo:[0,0,1] neg_hi:[0,0,1]
	v_pk_fma_f32 v[132:133], v[132:133], v[98:99], v[138:139] op_sel:[1,0,0] op_sel_hi:[0,1,0]
	s_delay_alu instid0(VALU_DEP_1) | instskip(SKIP_1) | instid1(VALU_DEP_2)
	v_mov_b32_e32 v137, v133
	v_pk_mul_f32 v[132:133], v[134:135], v[124:125] op_sel:[0,1]
	v_pk_add_f32 v[40:41], v[40:41], v[136:137] neg_lo:[0,1] neg_hi:[0,1]
	s_delay_alu instid0(VALU_DEP_2) | instskip(SKIP_1) | instid1(VALU_DEP_1)
	v_pk_fma_f32 v[136:137], v[134:135], v[122:123], v[132:133] op_sel:[0,0,1] op_sel_hi:[1,1,0] neg_lo:[0,0,1] neg_hi:[0,0,1]
	v_pk_fma_f32 v[132:133], v[134:135], v[122:123], v[132:133] op_sel:[0,0,1] op_sel_hi:[1,0,0]
	v_mov_b32_e32 v137, v133
	ds_load_2addr_b64 v[132:135], v126 offset0:36 offset1:37
	v_pk_add_f32 v[36:37], v[36:37], v[136:137] neg_lo:[0,1] neg_hi:[0,1]
	s_wait_dscnt 0x0
	v_pk_mul_f32 v[136:137], v[132:133], v[124:125] op_sel:[0,1]
	s_delay_alu instid0(VALU_DEP_1) | instskip(SKIP_1) | instid1(VALU_DEP_1)
	v_pk_fma_f32 v[138:139], v[132:133], v[122:123], v[136:137] op_sel:[0,0,1] op_sel_hi:[1,1,0] neg_lo:[0,0,1] neg_hi:[0,0,1]
	v_pk_fma_f32 v[132:133], v[132:133], v[122:123], v[136:137] op_sel:[0,0,1] op_sel_hi:[1,0,0]
	v_mov_b32_e32 v139, v133
	v_pk_mul_f32 v[132:133], v[134:135], v[124:125] op_sel:[0,1]
	s_delay_alu instid0(VALU_DEP_2) | instskip(NEXT) | instid1(VALU_DEP_2)
	v_pk_add_f32 v[92:93], v[92:93], v[138:139] neg_lo:[0,1] neg_hi:[0,1]
	v_pk_fma_f32 v[136:137], v[134:135], v[122:123], v[132:133] op_sel:[0,0,1] op_sel_hi:[1,1,0] neg_lo:[0,0,1] neg_hi:[0,0,1]
	v_pk_fma_f32 v[132:133], v[134:135], v[122:123], v[132:133] op_sel:[0,0,1] op_sel_hi:[1,0,0]
	s_delay_alu instid0(VALU_DEP_1) | instskip(SKIP_4) | instid1(VALU_DEP_1)
	v_mov_b32_e32 v137, v133
	ds_load_2addr_b64 v[132:135], v126 offset0:38 offset1:39
	v_pk_add_f32 v[32:33], v[32:33], v[136:137] neg_lo:[0,1] neg_hi:[0,1]
	s_wait_dscnt 0x0
	v_pk_mul_f32 v[136:137], v[132:133], v[124:125] op_sel:[0,1]
	v_pk_fma_f32 v[138:139], v[132:133], v[122:123], v[136:137] op_sel:[0,0,1] op_sel_hi:[1,1,0] neg_lo:[0,0,1] neg_hi:[0,0,1]
	v_pk_fma_f32 v[132:133], v[132:133], v[122:123], v[136:137] op_sel:[0,0,1] op_sel_hi:[1,0,0]
	v_dual_mul_f32 v136, v135, v125 :: v_dual_mov_b32 v132, v135
	s_delay_alu instid0(VALU_DEP_2) | instskip(NEXT) | instid1(VALU_DEP_2)
	v_dual_mov_b32 v139, v133 :: v_dual_mov_b32 v133, v134
	v_pk_fma_f32 v[136:137], v[134:135], v[98:99], v[136:137] op_sel_hi:[1,1,0] neg_lo:[0,0,1] neg_hi:[0,0,1]
	v_mul_f32_e32 v134, v135, v122
	s_delay_alu instid0(VALU_DEP_3) | instskip(NEXT) | instid1(VALU_DEP_2)
	v_pk_add_f32 v[34:35], v[34:35], v[138:139] neg_lo:[0,1] neg_hi:[0,1]
	v_pk_fma_f32 v[132:133], v[132:133], v[98:99], v[134:135] op_sel_hi:[1,1,0]
	s_delay_alu instid0(VALU_DEP_1) | instskip(SKIP_4) | instid1(VALU_DEP_1)
	v_mov_b32_e32 v137, v133
	ds_load_2addr_b64 v[132:135], v126 offset0:40 offset1:41
	v_pk_add_f32 v[30:31], v[30:31], v[136:137] neg_lo:[0,1] neg_hi:[0,1]
	s_wait_dscnt 0x0
	v_pk_mul_f32 v[136:137], v[132:133], v[124:125] op_sel:[0,1]
	v_pk_fma_f32 v[138:139], v[132:133], v[122:123], v[136:137] op_sel:[0,0,1] op_sel_hi:[1,1,0] neg_lo:[0,0,1] neg_hi:[0,0,1]
	v_pk_fma_f32 v[132:133], v[132:133], v[122:123], v[136:137] op_sel:[0,0,1] op_sel_hi:[1,0,0]
	s_delay_alu instid0(VALU_DEP_1) | instskip(SKIP_1) | instid1(VALU_DEP_1)
	v_mov_b32_e32 v139, v133
	v_pk_mul_f32 v[132:133], v[134:135], v[124:125] op_sel:[0,1]
	v_pk_fma_f32 v[136:137], v[134:135], v[122:123], v[132:133] op_sel:[0,0,1] op_sel_hi:[1,1,0] neg_lo:[0,0,1] neg_hi:[0,0,1]
	v_pk_fma_f32 v[132:133], v[134:135], v[122:123], v[132:133] op_sel:[0,0,1] op_sel_hi:[1,0,0]
	s_delay_alu instid0(VALU_DEP_1)
	v_mov_b32_e32 v137, v133
	ds_load_2addr_b64 v[132:135], v126 offset0:42 offset1:43
	v_pk_add_f32 v[90:91], v[90:91], v[138:139] neg_lo:[0,1] neg_hi:[0,1]
	v_pk_add_f32 v[24:25], v[24:25], v[136:137] neg_lo:[0,1] neg_hi:[0,1]
	s_wait_dscnt 0x0
	v_pk_mul_f32 v[136:137], v[132:133], v[124:125] op_sel:[0,1]
	s_delay_alu instid0(VALU_DEP_1) | instskip(SKIP_1) | instid1(VALU_DEP_1)
	v_pk_fma_f32 v[138:139], v[132:133], v[122:123], v[136:137] op_sel:[0,0,1] op_sel_hi:[1,1,0] neg_lo:[0,0,1] neg_hi:[0,0,1]
	v_pk_fma_f32 v[132:133], v[132:133], v[122:123], v[136:137] op_sel:[0,0,1] op_sel_hi:[1,0,0]
	v_mov_b32_e32 v139, v133
	v_pk_mul_f32 v[132:133], v[134:135], v[124:125] op_sel:[0,1]
	s_delay_alu instid0(VALU_DEP_1) | instskip(SKIP_1) | instid1(VALU_DEP_1)
	v_pk_fma_f32 v[136:137], v[134:135], v[122:123], v[132:133] op_sel:[0,0,1] op_sel_hi:[1,1,0] neg_lo:[0,0,1] neg_hi:[0,0,1]
	v_pk_fma_f32 v[132:133], v[134:135], v[122:123], v[132:133] op_sel:[0,0,1] op_sel_hi:[1,0,0]
	v_mov_b32_e32 v137, v133
	ds_load_2addr_b64 v[132:135], v126 offset0:44 offset1:45
	v_pk_add_f32 v[26:27], v[26:27], v[138:139] neg_lo:[0,1] neg_hi:[0,1]
	v_pk_add_f32 v[22:23], v[22:23], v[136:137] neg_lo:[0,1] neg_hi:[0,1]
	s_wait_dscnt 0x0
	v_dual_mul_f32 v136, v133, v125 :: v_dual_mul_f32 v138, v133, v122
	s_delay_alu instid0(VALU_DEP_1) | instskip(NEXT) | instid1(VALU_DEP_2)
	v_pk_fma_f32 v[136:137], v[132:133], v[98:99], v[136:137] op_sel_hi:[1,1,0] neg_lo:[0,0,1] neg_hi:[0,0,1]
	v_pk_fma_f32 v[132:133], v[132:133], v[98:99], v[138:139] op_sel:[1,0,0] op_sel_hi:[0,1,0]
	s_delay_alu instid0(VALU_DEP_1) | instskip(SKIP_1) | instid1(VALU_DEP_2)
	v_mov_b32_e32 v137, v133
	v_pk_mul_f32 v[132:133], v[134:135], v[124:125] op_sel:[0,1]
	v_pk_add_f32 v[88:89], v[88:89], v[136:137] neg_lo:[0,1] neg_hi:[0,1]
	s_delay_alu instid0(VALU_DEP_2) | instskip(SKIP_1) | instid1(VALU_DEP_1)
	v_pk_fma_f32 v[136:137], v[134:135], v[122:123], v[132:133] op_sel:[0,0,1] op_sel_hi:[1,1,0] neg_lo:[0,0,1] neg_hi:[0,0,1]
	v_pk_fma_f32 v[132:133], v[134:135], v[122:123], v[132:133] op_sel:[0,0,1] op_sel_hi:[1,0,0]
	v_mov_b32_e32 v137, v133
	ds_load_2addr_b64 v[132:135], v126 offset0:46 offset1:47
	v_pk_add_f32 v[18:19], v[18:19], v[136:137] neg_lo:[0,1] neg_hi:[0,1]
	s_wait_dscnt 0x0
	v_pk_mul_f32 v[136:137], v[132:133], v[124:125] op_sel:[0,1]
	s_delay_alu instid0(VALU_DEP_1) | instskip(SKIP_1) | instid1(VALU_DEP_1)
	v_pk_fma_f32 v[138:139], v[132:133], v[122:123], v[136:137] op_sel:[0,0,1] op_sel_hi:[1,1,0] neg_lo:[0,0,1] neg_hi:[0,0,1]
	v_pk_fma_f32 v[132:133], v[132:133], v[122:123], v[136:137] op_sel:[0,0,1] op_sel_hi:[1,0,0]
	v_mov_b32_e32 v139, v133
	v_pk_mul_f32 v[132:133], v[134:135], v[124:125] op_sel:[0,1]
	s_delay_alu instid0(VALU_DEP_2) | instskip(NEXT) | instid1(VALU_DEP_2)
	v_pk_add_f32 v[20:21], v[20:21], v[138:139] neg_lo:[0,1] neg_hi:[0,1]
	v_pk_fma_f32 v[136:137], v[134:135], v[122:123], v[132:133] op_sel:[0,0,1] op_sel_hi:[1,1,0] neg_lo:[0,0,1] neg_hi:[0,0,1]
	v_pk_fma_f32 v[132:133], v[134:135], v[122:123], v[132:133] op_sel:[0,0,1] op_sel_hi:[1,0,0]
	s_delay_alu instid0(VALU_DEP_1) | instskip(SKIP_4) | instid1(VALU_DEP_1)
	v_mov_b32_e32 v137, v133
	ds_load_2addr_b64 v[132:135], v126 offset0:48 offset1:49
	v_pk_add_f32 v[16:17], v[16:17], v[136:137] neg_lo:[0,1] neg_hi:[0,1]
	s_wait_dscnt 0x0
	v_pk_mul_f32 v[136:137], v[132:133], v[124:125] op_sel:[0,1]
	v_pk_fma_f32 v[138:139], v[132:133], v[122:123], v[136:137] op_sel:[0,0,1] op_sel_hi:[1,1,0] neg_lo:[0,0,1] neg_hi:[0,0,1]
	v_pk_fma_f32 v[132:133], v[132:133], v[122:123], v[136:137] op_sel:[0,0,1] op_sel_hi:[1,0,0]
	v_dual_mul_f32 v136, v135, v125 :: v_dual_mov_b32 v132, v135
	s_delay_alu instid0(VALU_DEP_2) | instskip(NEXT) | instid1(VALU_DEP_2)
	v_dual_mov_b32 v139, v133 :: v_dual_mov_b32 v133, v134
	v_pk_fma_f32 v[136:137], v[134:135], v[98:99], v[136:137] op_sel_hi:[1,1,0] neg_lo:[0,0,1] neg_hi:[0,0,1]
	v_mul_f32_e32 v134, v135, v122
	s_delay_alu instid0(VALU_DEP_3) | instskip(NEXT) | instid1(VALU_DEP_2)
	v_pk_add_f32 v[84:85], v[84:85], v[138:139] neg_lo:[0,1] neg_hi:[0,1]
	v_pk_fma_f32 v[132:133], v[132:133], v[98:99], v[134:135] op_sel_hi:[1,1,0]
	s_delay_alu instid0(VALU_DEP_1) | instskip(SKIP_4) | instid1(VALU_DEP_1)
	v_mov_b32_e32 v137, v133
	ds_load_2addr_b64 v[132:135], v126 offset0:50 offset1:51
	v_pk_add_f32 v[10:11], v[10:11], v[136:137] neg_lo:[0,1] neg_hi:[0,1]
	s_wait_dscnt 0x0
	v_pk_mul_f32 v[136:137], v[132:133], v[124:125] op_sel:[0,1]
	v_pk_fma_f32 v[138:139], v[132:133], v[122:123], v[136:137] op_sel:[0,0,1] op_sel_hi:[1,1,0] neg_lo:[0,0,1] neg_hi:[0,0,1]
	v_pk_fma_f32 v[132:133], v[132:133], v[122:123], v[136:137] op_sel:[0,0,1] op_sel_hi:[1,0,0]
	s_delay_alu instid0(VALU_DEP_1) | instskip(SKIP_1) | instid1(VALU_DEP_1)
	v_mov_b32_e32 v139, v133
	v_pk_mul_f32 v[132:133], v[134:135], v[124:125] op_sel:[0,1]
	v_pk_fma_f32 v[136:137], v[134:135], v[122:123], v[132:133] op_sel:[0,0,1] op_sel_hi:[1,1,0] neg_lo:[0,0,1] neg_hi:[0,0,1]
	v_pk_fma_f32 v[132:133], v[134:135], v[122:123], v[132:133] op_sel:[0,0,1] op_sel_hi:[1,0,0]
	s_delay_alu instid0(VALU_DEP_1)
	v_mov_b32_e32 v137, v133
	ds_load_2addr_b64 v[132:135], v126 offset0:52 offset1:53
	v_pk_add_f32 v[12:13], v[12:13], v[138:139] neg_lo:[0,1] neg_hi:[0,1]
	v_pk_add_f32 v[8:9], v[8:9], v[136:137] neg_lo:[0,1] neg_hi:[0,1]
	s_wait_dscnt 0x0
	v_pk_mul_f32 v[136:137], v[132:133], v[124:125] op_sel:[0,1]
	s_delay_alu instid0(VALU_DEP_1) | instskip(SKIP_1) | instid1(VALU_DEP_1)
	v_pk_fma_f32 v[138:139], v[132:133], v[122:123], v[136:137] op_sel:[0,0,1] op_sel_hi:[1,1,0] neg_lo:[0,0,1] neg_hi:[0,0,1]
	v_pk_fma_f32 v[132:133], v[132:133], v[122:123], v[136:137] op_sel:[0,0,1] op_sel_hi:[1,0,0]
	v_mov_b32_e32 v139, v133
	v_pk_mul_f32 v[132:133], v[134:135], v[124:125] op_sel:[0,1]
	s_delay_alu instid0(VALU_DEP_1) | instskip(SKIP_1) | instid1(VALU_DEP_1)
	v_pk_fma_f32 v[136:137], v[134:135], v[122:123], v[132:133] op_sel:[0,0,1] op_sel_hi:[1,1,0] neg_lo:[0,0,1] neg_hi:[0,0,1]
	v_pk_fma_f32 v[132:133], v[134:135], v[122:123], v[132:133] op_sel:[0,0,1] op_sel_hi:[1,0,0]
	v_mov_b32_e32 v137, v133
	ds_load_2addr_b64 v[132:135], v126 offset0:54 offset1:55
	v_pk_add_f32 v[60:61], v[60:61], v[138:139] neg_lo:[0,1] neg_hi:[0,1]
	v_pk_add_f32 v[6:7], v[6:7], v[136:137] neg_lo:[0,1] neg_hi:[0,1]
	s_wait_dscnt 0x0
	v_dual_mul_f32 v136, v133, v125 :: v_dual_mul_f32 v138, v133, v122
	s_delay_alu instid0(VALU_DEP_1) | instskip(NEXT) | instid1(VALU_DEP_2)
	v_pk_fma_f32 v[136:137], v[132:133], v[98:99], v[136:137] op_sel_hi:[1,1,0] neg_lo:[0,0,1] neg_hi:[0,0,1]
	v_pk_fma_f32 v[132:133], v[132:133], v[98:99], v[138:139] op_sel:[1,0,0] op_sel_hi:[0,1,0]
	s_delay_alu instid0(VALU_DEP_1) | instskip(SKIP_1) | instid1(VALU_DEP_2)
	v_mov_b32_e32 v137, v133
	v_pk_mul_f32 v[132:133], v[134:135], v[124:125] op_sel:[0,1]
	v_pk_add_f32 v[42:43], v[42:43], v[136:137] neg_lo:[0,1] neg_hi:[0,1]
	s_delay_alu instid0(VALU_DEP_2) | instskip(SKIP_1) | instid1(VALU_DEP_1)
	v_pk_fma_f32 v[136:137], v[134:135], v[122:123], v[132:133] op_sel:[0,0,1] op_sel_hi:[1,1,0] neg_lo:[0,0,1] neg_hi:[0,0,1]
	v_pk_fma_f32 v[132:133], v[134:135], v[122:123], v[132:133] op_sel:[0,0,1] op_sel_hi:[1,0,0]
	v_mov_b32_e32 v137, v133
	ds_load_2addr_b64 v[132:135], v126 offset0:56 offset1:57
	v_pk_add_f32 v[28:29], v[28:29], v[136:137] neg_lo:[0,1] neg_hi:[0,1]
	s_wait_dscnt 0x0
	v_pk_mul_f32 v[136:137], v[132:133], v[124:125] op_sel:[0,1]
	v_pk_mul_f32 v[124:125], v[134:135], v[124:125] op_sel:[0,1]
	s_delay_alu instid0(VALU_DEP_2) | instskip(SKIP_1) | instid1(VALU_DEP_1)
	v_pk_fma_f32 v[138:139], v[132:133], v[122:123], v[136:137] op_sel:[0,0,1] op_sel_hi:[1,1,0] neg_lo:[0,0,1] neg_hi:[0,0,1]
	v_pk_fma_f32 v[132:133], v[132:133], v[122:123], v[136:137] op_sel:[0,0,1] op_sel_hi:[1,0,0]
	v_mov_b32_e32 v139, v133
	s_delay_alu instid0(VALU_DEP_4) | instskip(SKIP_1) | instid1(VALU_DEP_3)
	v_pk_fma_f32 v[132:133], v[134:135], v[122:123], v[124:125] op_sel:[0,0,1] op_sel_hi:[1,1,0] neg_lo:[0,0,1] neg_hi:[0,0,1]
	v_pk_fma_f32 v[122:123], v[134:135], v[122:123], v[124:125] op_sel:[0,0,1] op_sel_hi:[1,0,0]
	v_pk_add_f32 v[14:15], v[14:15], v[138:139] neg_lo:[0,1] neg_hi:[0,1]
	s_delay_alu instid0(VALU_DEP_2) | instskip(NEXT) | instid1(VALU_DEP_1)
	v_mov_b32_e32 v133, v123
	v_pk_add_f32 v[120:121], v[120:121], v[132:133] neg_lo:[0,1] neg_hi:[0,1]
.LBB114_125:
	s_or_b32 exec_lo, exec_lo, s0
	v_lshl_add_u32 v122, v130, 3, v126
	s_barrier_signal -1
	s_barrier_wait -1
	ds_store_b64 v122, v[86:87]
	s_wait_dscnt 0x0
	s_barrier_signal -1
	s_barrier_wait -1
	ds_load_b64 v[124:125], v126 offset:48
	v_mov_b32_e32 v122, 6
	s_cmp_lt_i32 s18, 8
	s_cbranch_scc1 .LBB114_128
; %bb.126:
	v_add3_u32 v123, v127, 0, 56
	v_mov_b32_e32 v122, 6
	s_mov_b32 s0, 7
.LBB114_127:                            ; =>This Inner Loop Header: Depth=1
	ds_load_b64 v[132:133], v123
	s_wait_dscnt 0x1
	v_cmp_gt_f32_e32 vcc_lo, 0, v124
	v_cndmask_b32_e64 v134, v124, -v124, vcc_lo
	v_cmp_gt_f32_e32 vcc_lo, 0, v125
	v_cndmask_b32_e64 v136, v125, -v125, vcc_lo
	s_wait_dscnt 0x0
	v_cmp_gt_f32_e32 vcc_lo, 0, v132
	v_cndmask_b32_e64 v135, v132, -v132, vcc_lo
	v_cmp_gt_f32_e32 vcc_lo, 0, v133
	v_cndmask_b32_e64 v137, v133, -v133, vcc_lo
	s_delay_alu instid0(VALU_DEP_1) | instskip(NEXT) | instid1(VALU_DEP_1)
	v_pk_add_f32 v[134:135], v[134:135], v[136:137]
	v_cmp_lt_f32_e32 vcc_lo, v134, v135
	v_dual_add_nc_u32 v123, 8, v123 :: v_dual_cndmask_b32 v125, v125, v133, vcc_lo
	v_cndmask_b32_e32 v124, v124, v132, vcc_lo
	v_cndmask_b32_e64 v122, v122, s0, vcc_lo
	s_add_co_i32 s0, s0, 1
	s_delay_alu instid0(SALU_CYCLE_1)
	s_cmp_lg_u32 s18, s0
	s_cbranch_scc1 .LBB114_127
.LBB114_128:
	s_wait_dscnt 0x0
	v_cmp_eq_f32_e32 vcc_lo, 0, v124
	v_cmp_eq_f32_e64 s0, 0, v125
	s_and_b32 s0, vcc_lo, s0
	s_delay_alu instid0(SALU_CYCLE_1) | instskip(NEXT) | instid1(SALU_CYCLE_1)
	s_and_saveexec_b32 s1, s0
	s_xor_b32 s0, exec_lo, s1
; %bb.129:
	v_cmp_ne_u32_e32 vcc_lo, 0, v128
	v_cndmask_b32_e32 v128, 7, v128, vcc_lo
; %bb.130:
	s_and_not1_saveexec_b32 s0, s0
	s_cbranch_execz .LBB114_136
; %bb.131:
	v_cmp_ngt_f32_e64 s1, |v124|, |v125|
	s_and_saveexec_b32 s12, s1
	s_delay_alu instid0(SALU_CYCLE_1)
	s_xor_b32 s1, exec_lo, s12
	s_cbranch_execz .LBB114_133
; %bb.132:
	v_div_scale_f32 v123, null, v125, v125, v124
	v_div_scale_f32 v133, vcc_lo, v124, v125, v124
	s_delay_alu instid0(VALU_DEP_2) | instskip(SKIP_1) | instid1(TRANS32_DEP_1)
	v_rcp_f32_e32 v131, v123
	v_nop
	v_fma_f32 v132, -v123, v131, 1.0
	s_delay_alu instid0(VALU_DEP_1) | instskip(NEXT) | instid1(VALU_DEP_1)
	v_fmac_f32_e32 v131, v132, v131
	v_mul_f32_e32 v132, v133, v131
	s_delay_alu instid0(VALU_DEP_1) | instskip(NEXT) | instid1(VALU_DEP_1)
	v_fma_f32 v134, -v123, v132, v133
	v_fmac_f32_e32 v132, v134, v131
	s_delay_alu instid0(VALU_DEP_1) | instskip(NEXT) | instid1(VALU_DEP_1)
	v_fma_f32 v123, -v123, v132, v133
	v_div_fmas_f32 v123, v123, v131, v132
	s_delay_alu instid0(VALU_DEP_1) | instskip(NEXT) | instid1(VALU_DEP_1)
	v_div_fixup_f32 v123, v123, v125, v124
	v_fmac_f32_e32 v125, v124, v123
	s_delay_alu instid0(VALU_DEP_1) | instskip(SKIP_1) | instid1(VALU_DEP_2)
	v_div_scale_f32 v124, null, v125, v125, 1.0
	v_div_scale_f32 v133, vcc_lo, 1.0, v125, 1.0
	v_rcp_f32_e32 v131, v124
	v_nop
	s_delay_alu instid0(TRANS32_DEP_1) | instskip(NEXT) | instid1(VALU_DEP_1)
	v_fma_f32 v132, -v124, v131, 1.0
	v_fmac_f32_e32 v131, v132, v131
	s_delay_alu instid0(VALU_DEP_1) | instskip(NEXT) | instid1(VALU_DEP_1)
	v_mul_f32_e32 v132, v133, v131
	v_fma_f32 v134, -v124, v132, v133
	s_delay_alu instid0(VALU_DEP_1) | instskip(NEXT) | instid1(VALU_DEP_1)
	v_fmac_f32_e32 v132, v134, v131
	v_fma_f32 v124, -v124, v132, v133
	s_delay_alu instid0(VALU_DEP_1) | instskip(NEXT) | instid1(VALU_DEP_1)
	v_div_fmas_f32 v124, v124, v131, v132
	v_div_fixup_f32 v125, v124, v125, 1.0
	s_delay_alu instid0(VALU_DEP_1)
	v_mul_f32_e32 v124, v123, v125
	v_xor_b32_e32 v125, 0x80000000, v125
.LBB114_133:
	s_and_not1_saveexec_b32 s1, s1
	s_cbranch_execz .LBB114_135
; %bb.134:
	s_delay_alu instid0(VALU_DEP_1) | instskip(SKIP_1) | instid1(VALU_DEP_2)
	v_div_scale_f32 v123, null, v124, v124, v125
	v_div_scale_f32 v133, vcc_lo, v125, v124, v125
	v_rcp_f32_e32 v131, v123
	v_nop
	s_delay_alu instid0(TRANS32_DEP_1) | instskip(NEXT) | instid1(VALU_DEP_1)
	v_fma_f32 v132, -v123, v131, 1.0
	v_fmac_f32_e32 v131, v132, v131
	s_delay_alu instid0(VALU_DEP_1) | instskip(NEXT) | instid1(VALU_DEP_1)
	v_mul_f32_e32 v132, v133, v131
	v_fma_f32 v134, -v123, v132, v133
	s_delay_alu instid0(VALU_DEP_1) | instskip(NEXT) | instid1(VALU_DEP_1)
	v_fmac_f32_e32 v132, v134, v131
	v_fma_f32 v123, -v123, v132, v133
	s_delay_alu instid0(VALU_DEP_1) | instskip(NEXT) | instid1(VALU_DEP_1)
	v_div_fmas_f32 v123, v123, v131, v132
	v_div_fixup_f32 v123, v123, v124, v125
	s_delay_alu instid0(VALU_DEP_1) | instskip(NEXT) | instid1(VALU_DEP_1)
	v_fmac_f32_e32 v124, v125, v123
	v_div_scale_f32 v125, null, v124, v124, 1.0
	s_delay_alu instid0(VALU_DEP_1) | instskip(SKIP_1) | instid1(TRANS32_DEP_1)
	v_rcp_f32_e32 v131, v125
	v_nop
	v_fma_f32 v132, -v125, v131, 1.0
	s_delay_alu instid0(VALU_DEP_1) | instskip(SKIP_1) | instid1(VALU_DEP_1)
	v_fmac_f32_e32 v131, v132, v131
	v_div_scale_f32 v132, vcc_lo, 1.0, v124, 1.0
	v_mul_f32_e32 v133, v132, v131
	s_delay_alu instid0(VALU_DEP_1) | instskip(NEXT) | instid1(VALU_DEP_1)
	v_fma_f32 v134, -v125, v133, v132
	v_fmac_f32_e32 v133, v134, v131
	s_delay_alu instid0(VALU_DEP_1) | instskip(NEXT) | instid1(VALU_DEP_1)
	v_fma_f32 v125, -v125, v133, v132
	v_div_fmas_f32 v125, v125, v131, v133
	s_delay_alu instid0(VALU_DEP_1) | instskip(NEXT) | instid1(VALU_DEP_1)
	v_div_fixup_f32 v124, v125, v124, 1.0
	v_mul_f32_e64 v125, v123, -v124
.LBB114_135:
	s_or_b32 exec_lo, exec_lo, s1
.LBB114_136:
	s_delay_alu instid0(SALU_CYCLE_1) | instskip(NEXT) | instid1(SALU_CYCLE_1)
	s_or_b32 exec_lo, exec_lo, s0
	s_mov_b32 s0, exec_lo
	v_cmpx_ne_u32_e64 v130, v122
	s_xor_b32 s0, exec_lo, s0
	s_cbranch_execz .LBB114_142
; %bb.137:
	s_mov_b32 s1, exec_lo
	v_cmpx_eq_u32_e32 6, v130
	s_cbranch_execz .LBB114_141
; %bb.138:
	v_cmp_ne_u32_e32 vcc_lo, 6, v122
	s_xor_b32 s12, s16, -1
	s_delay_alu instid0(SALU_CYCLE_1) | instskip(NEXT) | instid1(SALU_CYCLE_1)
	s_and_b32 s13, s12, vcc_lo
	s_and_saveexec_b32 s12, s13
	s_cbranch_execz .LBB114_140
; %bb.139:
	v_ashrrev_i32_e32 v123, 31, v122
	s_delay_alu instid0(VALU_DEP_1)
	v_lshl_add_u64 v[130:131], v[122:123], 2, v[4:5]
	s_clause 0x1
	global_load_b32 v123, v[130:131], off
	global_load_b32 v129, v[4:5], off offset:24
	s_wait_loadcnt 0x1
	global_store_b32 v[4:5], v123, off offset:24
	s_wait_loadcnt 0x0
	global_store_b32 v[130:131], v129, off
.LBB114_140:
	s_wait_xcnt 0x0
	s_or_b32 exec_lo, exec_lo, s12
	v_dual_mov_b32 v130, v122 :: v_dual_mov_b32 v129, v122
.LBB114_141:
	s_or_b32 exec_lo, exec_lo, s1
.LBB114_142:
	s_and_not1_saveexec_b32 s0, s0
	s_cbranch_execz .LBB114_144
; %bb.143:
	v_mov_b32_e32 v130, 6
	ds_store_2addr_b64 v126, v[70:71], v[108:109] offset0:7 offset1:8
	ds_store_2addr_b64 v126, v[80:81], v[82:83] offset0:9 offset1:10
	;; [unrolled: 1-line block ×25, first 2 shown]
	ds_store_b64 v126, v[120:121] offset:456
.LBB114_144:
	s_or_b32 exec_lo, exec_lo, s0
	s_delay_alu instid0(SALU_CYCLE_1)
	s_mov_b32 s0, exec_lo
	s_wait_storecnt_dscnt 0x0
	s_barrier_signal -1
	s_barrier_wait -1
	v_cmpx_lt_i32_e32 6, v130
	s_cbranch_execz .LBB114_146
; %bb.145:
	v_pk_mul_f32 v[132:133], v[124:125], v[86:87] op_sel:[1,1] op_sel_hi:[0,1]
	s_delay_alu instid0(VALU_DEP_1)
	v_pk_fma_f32 v[122:123], v[124:125], v[86:87], v[132:133] op_sel_hi:[1,0,1] neg_lo:[0,0,1] neg_hi:[0,0,1]
	v_pk_fma_f32 v[124:125], v[124:125], v[86:87], v[132:133] op_sel_hi:[1,0,1]
	ds_load_2addr_b64 v[132:135], v126 offset0:7 offset1:8
	v_dual_mov_b32 v86, v122 :: v_dual_mov_b32 v87, v125
	s_wait_dscnt 0x0
	v_pk_mul_f32 v[136:137], v[132:133], v[124:125] op_sel:[0,1]
	s_delay_alu instid0(VALU_DEP_1) | instskip(SKIP_1) | instid1(VALU_DEP_1)
	v_pk_fma_f32 v[138:139], v[132:133], v[122:123], v[136:137] op_sel:[0,0,1] op_sel_hi:[1,1,0] neg_lo:[0,0,1] neg_hi:[0,0,1]
	v_pk_fma_f32 v[132:133], v[132:133], v[122:123], v[136:137] op_sel:[0,0,1] op_sel_hi:[1,0,0]
	v_mov_b32_e32 v139, v133
	v_pk_mul_f32 v[132:133], v[134:135], v[124:125] op_sel:[0,1]
	s_delay_alu instid0(VALU_DEP_1) | instskip(SKIP_1) | instid1(VALU_DEP_1)
	v_pk_fma_f32 v[136:137], v[134:135], v[122:123], v[132:133] op_sel:[0,0,1] op_sel_hi:[1,1,0] neg_lo:[0,0,1] neg_hi:[0,0,1]
	v_pk_fma_f32 v[132:133], v[134:135], v[122:123], v[132:133] op_sel:[0,0,1] op_sel_hi:[1,0,0]
	v_mov_b32_e32 v137, v133
	ds_load_2addr_b64 v[132:135], v126 offset0:9 offset1:10
	v_pk_add_f32 v[70:71], v[70:71], v[138:139] neg_lo:[0,1] neg_hi:[0,1]
	v_pk_add_f32 v[108:109], v[108:109], v[136:137] neg_lo:[0,1] neg_hi:[0,1]
	s_wait_dscnt 0x0
	v_pk_mul_f32 v[136:137], v[132:133], v[124:125] op_sel:[0,1]
	s_delay_alu instid0(VALU_DEP_1) | instskip(SKIP_2) | instid1(VALU_DEP_2)
	v_pk_fma_f32 v[138:139], v[132:133], v[122:123], v[136:137] op_sel:[0,0,1] op_sel_hi:[1,1,0] neg_lo:[0,0,1] neg_hi:[0,0,1]
	v_pk_fma_f32 v[132:133], v[132:133], v[122:123], v[136:137] op_sel:[0,0,1] op_sel_hi:[1,0,0]
	v_dual_mul_f32 v136, v135, v125 :: v_dual_mov_b32 v132, v135
	v_dual_mov_b32 v139, v133 :: v_dual_mov_b32 v133, v134
	s_delay_alu instid0(VALU_DEP_2) | instskip(SKIP_1) | instid1(VALU_DEP_3)
	v_pk_fma_f32 v[136:137], v[134:135], v[86:87], v[136:137] op_sel_hi:[1,1,0] neg_lo:[0,0,1] neg_hi:[0,0,1]
	v_mul_f32_e32 v134, v135, v122
	v_pk_add_f32 v[80:81], v[80:81], v[138:139] neg_lo:[0,1] neg_hi:[0,1]
	s_delay_alu instid0(VALU_DEP_2) | instskip(NEXT) | instid1(VALU_DEP_1)
	v_pk_fma_f32 v[132:133], v[132:133], v[86:87], v[134:135] op_sel_hi:[1,1,0]
	v_mov_b32_e32 v137, v133
	ds_load_2addr_b64 v[132:135], v126 offset0:11 offset1:12
	v_pk_add_f32 v[82:83], v[82:83], v[136:137] neg_lo:[0,1] neg_hi:[0,1]
	s_wait_dscnt 0x0
	v_pk_mul_f32 v[136:137], v[132:133], v[124:125] op_sel:[0,1]
	s_delay_alu instid0(VALU_DEP_1) | instskip(SKIP_1) | instid1(VALU_DEP_1)
	v_pk_fma_f32 v[138:139], v[132:133], v[122:123], v[136:137] op_sel:[0,0,1] op_sel_hi:[1,1,0] neg_lo:[0,0,1] neg_hi:[0,0,1]
	v_pk_fma_f32 v[132:133], v[132:133], v[122:123], v[136:137] op_sel:[0,0,1] op_sel_hi:[1,0,0]
	v_mov_b32_e32 v139, v133
	v_pk_mul_f32 v[132:133], v[134:135], v[124:125] op_sel:[0,1]
	s_delay_alu instid0(VALU_DEP_1) | instskip(SKIP_1) | instid1(VALU_DEP_1)
	v_pk_fma_f32 v[136:137], v[134:135], v[122:123], v[132:133] op_sel:[0,0,1] op_sel_hi:[1,1,0] neg_lo:[0,0,1] neg_hi:[0,0,1]
	v_pk_fma_f32 v[132:133], v[134:135], v[122:123], v[132:133] op_sel:[0,0,1] op_sel_hi:[1,0,0]
	v_mov_b32_e32 v137, v133
	ds_load_2addr_b64 v[132:135], v126 offset0:13 offset1:14
	v_pk_add_f32 v[78:79], v[78:79], v[138:139] neg_lo:[0,1] neg_hi:[0,1]
	v_pk_add_f32 v[106:107], v[106:107], v[136:137] neg_lo:[0,1] neg_hi:[0,1]
	s_wait_dscnt 0x0
	v_pk_mul_f32 v[136:137], v[132:133], v[124:125] op_sel:[0,1]
	s_delay_alu instid0(VALU_DEP_1) | instskip(SKIP_1) | instid1(VALU_DEP_1)
	v_pk_fma_f32 v[138:139], v[132:133], v[122:123], v[136:137] op_sel:[0,0,1] op_sel_hi:[1,1,0] neg_lo:[0,0,1] neg_hi:[0,0,1]
	v_pk_fma_f32 v[132:133], v[132:133], v[122:123], v[136:137] op_sel:[0,0,1] op_sel_hi:[1,0,0]
	v_mov_b32_e32 v139, v133
	v_pk_mul_f32 v[132:133], v[134:135], v[124:125] op_sel:[0,1]
	s_delay_alu instid0(VALU_DEP_1) | instskip(SKIP_1) | instid1(VALU_DEP_1)
	v_pk_fma_f32 v[136:137], v[134:135], v[122:123], v[132:133] op_sel:[0,0,1] op_sel_hi:[1,1,0] neg_lo:[0,0,1] neg_hi:[0,0,1]
	v_pk_fma_f32 v[132:133], v[134:135], v[122:123], v[132:133] op_sel:[0,0,1] op_sel_hi:[1,0,0]
	v_mov_b32_e32 v137, v133
	ds_load_2addr_b64 v[132:135], v126 offset0:15 offset1:16
	v_pk_add_f32 v[74:75], v[74:75], v[138:139] neg_lo:[0,1] neg_hi:[0,1]
	v_pk_add_f32 v[76:77], v[76:77], v[136:137] neg_lo:[0,1] neg_hi:[0,1]
	s_wait_dscnt 0x0
	v_dual_mul_f32 v136, v133, v125 :: v_dual_mul_f32 v138, v133, v122
	s_delay_alu instid0(VALU_DEP_1) | instskip(NEXT) | instid1(VALU_DEP_2)
	v_pk_fma_f32 v[136:137], v[132:133], v[86:87], v[136:137] op_sel_hi:[1,1,0] neg_lo:[0,0,1] neg_hi:[0,0,1]
	v_pk_fma_f32 v[132:133], v[132:133], v[86:87], v[138:139] op_sel:[1,0,0] op_sel_hi:[0,1,0]
	s_delay_alu instid0(VALU_DEP_1) | instskip(SKIP_1) | instid1(VALU_DEP_2)
	v_mov_b32_e32 v137, v133
	v_pk_mul_f32 v[132:133], v[134:135], v[124:125] op_sel:[0,1]
	v_pk_add_f32 v[72:73], v[72:73], v[136:137] neg_lo:[0,1] neg_hi:[0,1]
	s_delay_alu instid0(VALU_DEP_2) | instskip(SKIP_1) | instid1(VALU_DEP_1)
	v_pk_fma_f32 v[136:137], v[134:135], v[122:123], v[132:133] op_sel:[0,0,1] op_sel_hi:[1,1,0] neg_lo:[0,0,1] neg_hi:[0,0,1]
	v_pk_fma_f32 v[132:133], v[134:135], v[122:123], v[132:133] op_sel:[0,0,1] op_sel_hi:[1,0,0]
	v_mov_b32_e32 v137, v133
	ds_load_2addr_b64 v[132:135], v126 offset0:17 offset1:18
	v_pk_add_f32 v[104:105], v[104:105], v[136:137] neg_lo:[0,1] neg_hi:[0,1]
	s_wait_dscnt 0x0
	v_pk_mul_f32 v[136:137], v[132:133], v[124:125] op_sel:[0,1]
	s_delay_alu instid0(VALU_DEP_1) | instskip(SKIP_1) | instid1(VALU_DEP_1)
	v_pk_fma_f32 v[138:139], v[132:133], v[122:123], v[136:137] op_sel:[0,0,1] op_sel_hi:[1,1,0] neg_lo:[0,0,1] neg_hi:[0,0,1]
	v_pk_fma_f32 v[132:133], v[132:133], v[122:123], v[136:137] op_sel:[0,0,1] op_sel_hi:[1,0,0]
	v_mov_b32_e32 v139, v133
	v_pk_mul_f32 v[132:133], v[134:135], v[124:125] op_sel:[0,1]
	s_delay_alu instid0(VALU_DEP_2) | instskip(NEXT) | instid1(VALU_DEP_2)
	v_pk_add_f32 v[66:67], v[66:67], v[138:139] neg_lo:[0,1] neg_hi:[0,1]
	v_pk_fma_f32 v[136:137], v[134:135], v[122:123], v[132:133] op_sel:[0,0,1] op_sel_hi:[1,1,0] neg_lo:[0,0,1] neg_hi:[0,0,1]
	v_pk_fma_f32 v[132:133], v[134:135], v[122:123], v[132:133] op_sel:[0,0,1] op_sel_hi:[1,0,0]
	s_delay_alu instid0(VALU_DEP_1) | instskip(SKIP_4) | instid1(VALU_DEP_1)
	v_mov_b32_e32 v137, v133
	ds_load_2addr_b64 v[132:135], v126 offset0:19 offset1:20
	v_pk_add_f32 v[68:69], v[68:69], v[136:137] neg_lo:[0,1] neg_hi:[0,1]
	s_wait_dscnt 0x0
	v_pk_mul_f32 v[136:137], v[132:133], v[124:125] op_sel:[0,1]
	v_pk_fma_f32 v[138:139], v[132:133], v[122:123], v[136:137] op_sel:[0,0,1] op_sel_hi:[1,1,0] neg_lo:[0,0,1] neg_hi:[0,0,1]
	v_pk_fma_f32 v[132:133], v[132:133], v[122:123], v[136:137] op_sel:[0,0,1] op_sel_hi:[1,0,0]
	v_dual_mul_f32 v136, v135, v125 :: v_dual_mov_b32 v132, v135
	s_delay_alu instid0(VALU_DEP_2) | instskip(NEXT) | instid1(VALU_DEP_2)
	v_dual_mov_b32 v139, v133 :: v_dual_mov_b32 v133, v134
	v_pk_fma_f32 v[136:137], v[134:135], v[86:87], v[136:137] op_sel_hi:[1,1,0] neg_lo:[0,0,1] neg_hi:[0,0,1]
	v_mul_f32_e32 v134, v135, v122
	s_delay_alu instid0(VALU_DEP_3) | instskip(NEXT) | instid1(VALU_DEP_2)
	v_pk_add_f32 v[64:65], v[64:65], v[138:139] neg_lo:[0,1] neg_hi:[0,1]
	v_pk_fma_f32 v[132:133], v[132:133], v[86:87], v[134:135] op_sel_hi:[1,1,0]
	s_delay_alu instid0(VALU_DEP_1) | instskip(SKIP_4) | instid1(VALU_DEP_1)
	v_mov_b32_e32 v137, v133
	ds_load_2addr_b64 v[132:135], v126 offset0:21 offset1:22
	v_pk_add_f32 v[102:103], v[102:103], v[136:137] neg_lo:[0,1] neg_hi:[0,1]
	s_wait_dscnt 0x0
	v_pk_mul_f32 v[136:137], v[132:133], v[124:125] op_sel:[0,1]
	v_pk_fma_f32 v[138:139], v[132:133], v[122:123], v[136:137] op_sel:[0,0,1] op_sel_hi:[1,1,0] neg_lo:[0,0,1] neg_hi:[0,0,1]
	v_pk_fma_f32 v[132:133], v[132:133], v[122:123], v[136:137] op_sel:[0,0,1] op_sel_hi:[1,0,0]
	s_delay_alu instid0(VALU_DEP_1) | instskip(SKIP_1) | instid1(VALU_DEP_1)
	v_mov_b32_e32 v139, v133
	v_pk_mul_f32 v[132:133], v[134:135], v[124:125] op_sel:[0,1]
	v_pk_fma_f32 v[136:137], v[134:135], v[122:123], v[132:133] op_sel:[0,0,1] op_sel_hi:[1,1,0] neg_lo:[0,0,1] neg_hi:[0,0,1]
	v_pk_fma_f32 v[132:133], v[134:135], v[122:123], v[132:133] op_sel:[0,0,1] op_sel_hi:[1,0,0]
	s_delay_alu instid0(VALU_DEP_1)
	v_mov_b32_e32 v137, v133
	ds_load_2addr_b64 v[132:135], v126 offset0:23 offset1:24
	v_pk_add_f32 v[58:59], v[58:59], v[138:139] neg_lo:[0,1] neg_hi:[0,1]
	v_pk_add_f32 v[62:63], v[62:63], v[136:137] neg_lo:[0,1] neg_hi:[0,1]
	s_wait_dscnt 0x0
	v_pk_mul_f32 v[136:137], v[132:133], v[124:125] op_sel:[0,1]
	s_delay_alu instid0(VALU_DEP_1) | instskip(SKIP_1) | instid1(VALU_DEP_1)
	v_pk_fma_f32 v[138:139], v[132:133], v[122:123], v[136:137] op_sel:[0,0,1] op_sel_hi:[1,1,0] neg_lo:[0,0,1] neg_hi:[0,0,1]
	v_pk_fma_f32 v[132:133], v[132:133], v[122:123], v[136:137] op_sel:[0,0,1] op_sel_hi:[1,0,0]
	v_mov_b32_e32 v139, v133
	v_pk_mul_f32 v[132:133], v[134:135], v[124:125] op_sel:[0,1]
	s_delay_alu instid0(VALU_DEP_1) | instskip(SKIP_1) | instid1(VALU_DEP_1)
	v_pk_fma_f32 v[136:137], v[134:135], v[122:123], v[132:133] op_sel:[0,0,1] op_sel_hi:[1,1,0] neg_lo:[0,0,1] neg_hi:[0,0,1]
	v_pk_fma_f32 v[132:133], v[134:135], v[122:123], v[132:133] op_sel:[0,0,1] op_sel_hi:[1,0,0]
	v_mov_b32_e32 v137, v133
	ds_load_2addr_b64 v[132:135], v126 offset0:25 offset1:26
	v_pk_add_f32 v[56:57], v[56:57], v[138:139] neg_lo:[0,1] neg_hi:[0,1]
	v_pk_add_f32 v[100:101], v[100:101], v[136:137] neg_lo:[0,1] neg_hi:[0,1]
	s_wait_dscnt 0x0
	v_dual_mul_f32 v136, v133, v125 :: v_dual_mul_f32 v138, v133, v122
	s_delay_alu instid0(VALU_DEP_1) | instskip(NEXT) | instid1(VALU_DEP_2)
	v_pk_fma_f32 v[136:137], v[132:133], v[86:87], v[136:137] op_sel_hi:[1,1,0] neg_lo:[0,0,1] neg_hi:[0,0,1]
	v_pk_fma_f32 v[132:133], v[132:133], v[86:87], v[138:139] op_sel:[1,0,0] op_sel_hi:[0,1,0]
	s_delay_alu instid0(VALU_DEP_1) | instskip(SKIP_1) | instid1(VALU_DEP_2)
	v_mov_b32_e32 v137, v133
	v_pk_mul_f32 v[132:133], v[134:135], v[124:125] op_sel:[0,1]
	v_pk_add_f32 v[52:53], v[52:53], v[136:137] neg_lo:[0,1] neg_hi:[0,1]
	s_delay_alu instid0(VALU_DEP_2) | instskip(SKIP_1) | instid1(VALU_DEP_1)
	v_pk_fma_f32 v[136:137], v[134:135], v[122:123], v[132:133] op_sel:[0,0,1] op_sel_hi:[1,1,0] neg_lo:[0,0,1] neg_hi:[0,0,1]
	v_pk_fma_f32 v[132:133], v[134:135], v[122:123], v[132:133] op_sel:[0,0,1] op_sel_hi:[1,0,0]
	v_mov_b32_e32 v137, v133
	ds_load_2addr_b64 v[132:135], v126 offset0:27 offset1:28
	v_pk_add_f32 v[54:55], v[54:55], v[136:137] neg_lo:[0,1] neg_hi:[0,1]
	s_wait_dscnt 0x0
	v_pk_mul_f32 v[136:137], v[132:133], v[124:125] op_sel:[0,1]
	s_delay_alu instid0(VALU_DEP_1) | instskip(SKIP_1) | instid1(VALU_DEP_1)
	v_pk_fma_f32 v[138:139], v[132:133], v[122:123], v[136:137] op_sel:[0,0,1] op_sel_hi:[1,1,0] neg_lo:[0,0,1] neg_hi:[0,0,1]
	v_pk_fma_f32 v[132:133], v[132:133], v[122:123], v[136:137] op_sel:[0,0,1] op_sel_hi:[1,0,0]
	v_mov_b32_e32 v139, v133
	v_pk_mul_f32 v[132:133], v[134:135], v[124:125] op_sel:[0,1]
	s_delay_alu instid0(VALU_DEP_2) | instskip(NEXT) | instid1(VALU_DEP_2)
	v_pk_add_f32 v[50:51], v[50:51], v[138:139] neg_lo:[0,1] neg_hi:[0,1]
	v_pk_fma_f32 v[136:137], v[134:135], v[122:123], v[132:133] op_sel:[0,0,1] op_sel_hi:[1,1,0] neg_lo:[0,0,1] neg_hi:[0,0,1]
	v_pk_fma_f32 v[132:133], v[134:135], v[122:123], v[132:133] op_sel:[0,0,1] op_sel_hi:[1,0,0]
	s_delay_alu instid0(VALU_DEP_1) | instskip(SKIP_4) | instid1(VALU_DEP_1)
	v_mov_b32_e32 v137, v133
	ds_load_2addr_b64 v[132:135], v126 offset0:29 offset1:30
	v_pk_add_f32 v[96:97], v[96:97], v[136:137] neg_lo:[0,1] neg_hi:[0,1]
	s_wait_dscnt 0x0
	v_pk_mul_f32 v[136:137], v[132:133], v[124:125] op_sel:[0,1]
	v_pk_fma_f32 v[138:139], v[132:133], v[122:123], v[136:137] op_sel:[0,0,1] op_sel_hi:[1,1,0] neg_lo:[0,0,1] neg_hi:[0,0,1]
	v_pk_fma_f32 v[132:133], v[132:133], v[122:123], v[136:137] op_sel:[0,0,1] op_sel_hi:[1,0,0]
	v_dual_mul_f32 v136, v135, v125 :: v_dual_mov_b32 v132, v135
	s_delay_alu instid0(VALU_DEP_2) | instskip(NEXT) | instid1(VALU_DEP_2)
	v_dual_mov_b32 v139, v133 :: v_dual_mov_b32 v133, v134
	v_pk_fma_f32 v[136:137], v[134:135], v[86:87], v[136:137] op_sel_hi:[1,1,0] neg_lo:[0,0,1] neg_hi:[0,0,1]
	v_mul_f32_e32 v134, v135, v122
	s_delay_alu instid0(VALU_DEP_3) | instskip(NEXT) | instid1(VALU_DEP_2)
	v_pk_add_f32 v[46:47], v[46:47], v[138:139] neg_lo:[0,1] neg_hi:[0,1]
	v_pk_fma_f32 v[132:133], v[132:133], v[86:87], v[134:135] op_sel_hi:[1,1,0]
	s_delay_alu instid0(VALU_DEP_1) | instskip(SKIP_4) | instid1(VALU_DEP_1)
	v_mov_b32_e32 v137, v133
	ds_load_2addr_b64 v[132:135], v126 offset0:31 offset1:32
	v_pk_add_f32 v[48:49], v[48:49], v[136:137] neg_lo:[0,1] neg_hi:[0,1]
	s_wait_dscnt 0x0
	v_pk_mul_f32 v[136:137], v[132:133], v[124:125] op_sel:[0,1]
	v_pk_fma_f32 v[138:139], v[132:133], v[122:123], v[136:137] op_sel:[0,0,1] op_sel_hi:[1,1,0] neg_lo:[0,0,1] neg_hi:[0,0,1]
	v_pk_fma_f32 v[132:133], v[132:133], v[122:123], v[136:137] op_sel:[0,0,1] op_sel_hi:[1,0,0]
	s_delay_alu instid0(VALU_DEP_1) | instskip(SKIP_1) | instid1(VALU_DEP_1)
	v_mov_b32_e32 v139, v133
	v_pk_mul_f32 v[132:133], v[134:135], v[124:125] op_sel:[0,1]
	v_pk_fma_f32 v[136:137], v[134:135], v[122:123], v[132:133] op_sel:[0,0,1] op_sel_hi:[1,1,0] neg_lo:[0,0,1] neg_hi:[0,0,1]
	v_pk_fma_f32 v[132:133], v[134:135], v[122:123], v[132:133] op_sel:[0,0,1] op_sel_hi:[1,0,0]
	s_delay_alu instid0(VALU_DEP_1)
	v_mov_b32_e32 v137, v133
	ds_load_2addr_b64 v[132:135], v126 offset0:33 offset1:34
	v_pk_add_f32 v[44:45], v[44:45], v[138:139] neg_lo:[0,1] neg_hi:[0,1]
	v_pk_add_f32 v[94:95], v[94:95], v[136:137] neg_lo:[0,1] neg_hi:[0,1]
	s_wait_dscnt 0x0
	v_pk_mul_f32 v[136:137], v[132:133], v[124:125] op_sel:[0,1]
	s_delay_alu instid0(VALU_DEP_1) | instskip(SKIP_1) | instid1(VALU_DEP_1)
	v_pk_fma_f32 v[138:139], v[132:133], v[122:123], v[136:137] op_sel:[0,0,1] op_sel_hi:[1,1,0] neg_lo:[0,0,1] neg_hi:[0,0,1]
	v_pk_fma_f32 v[132:133], v[132:133], v[122:123], v[136:137] op_sel:[0,0,1] op_sel_hi:[1,0,0]
	v_mov_b32_e32 v139, v133
	v_pk_mul_f32 v[132:133], v[134:135], v[124:125] op_sel:[0,1]
	s_delay_alu instid0(VALU_DEP_1) | instskip(SKIP_1) | instid1(VALU_DEP_1)
	v_pk_fma_f32 v[136:137], v[134:135], v[122:123], v[132:133] op_sel:[0,0,1] op_sel_hi:[1,1,0] neg_lo:[0,0,1] neg_hi:[0,0,1]
	v_pk_fma_f32 v[132:133], v[134:135], v[122:123], v[132:133] op_sel:[0,0,1] op_sel_hi:[1,0,0]
	v_mov_b32_e32 v137, v133
	ds_load_2addr_b64 v[132:135], v126 offset0:35 offset1:36
	v_pk_add_f32 v[38:39], v[38:39], v[138:139] neg_lo:[0,1] neg_hi:[0,1]
	v_pk_add_f32 v[40:41], v[40:41], v[136:137] neg_lo:[0,1] neg_hi:[0,1]
	s_wait_dscnt 0x0
	v_dual_mul_f32 v136, v133, v125 :: v_dual_mul_f32 v138, v133, v122
	s_delay_alu instid0(VALU_DEP_1) | instskip(NEXT) | instid1(VALU_DEP_2)
	v_pk_fma_f32 v[136:137], v[132:133], v[86:87], v[136:137] op_sel_hi:[1,1,0] neg_lo:[0,0,1] neg_hi:[0,0,1]
	v_pk_fma_f32 v[132:133], v[132:133], v[86:87], v[138:139] op_sel:[1,0,0] op_sel_hi:[0,1,0]
	s_delay_alu instid0(VALU_DEP_1) | instskip(SKIP_1) | instid1(VALU_DEP_2)
	v_mov_b32_e32 v137, v133
	v_pk_mul_f32 v[132:133], v[134:135], v[124:125] op_sel:[0,1]
	v_pk_add_f32 v[36:37], v[36:37], v[136:137] neg_lo:[0,1] neg_hi:[0,1]
	s_delay_alu instid0(VALU_DEP_2) | instskip(SKIP_1) | instid1(VALU_DEP_1)
	v_pk_fma_f32 v[136:137], v[134:135], v[122:123], v[132:133] op_sel:[0,0,1] op_sel_hi:[1,1,0] neg_lo:[0,0,1] neg_hi:[0,0,1]
	v_pk_fma_f32 v[132:133], v[134:135], v[122:123], v[132:133] op_sel:[0,0,1] op_sel_hi:[1,0,0]
	v_mov_b32_e32 v137, v133
	ds_load_2addr_b64 v[132:135], v126 offset0:37 offset1:38
	v_pk_add_f32 v[92:93], v[92:93], v[136:137] neg_lo:[0,1] neg_hi:[0,1]
	s_wait_dscnt 0x0
	v_pk_mul_f32 v[136:137], v[132:133], v[124:125] op_sel:[0,1]
	s_delay_alu instid0(VALU_DEP_1) | instskip(SKIP_1) | instid1(VALU_DEP_1)
	v_pk_fma_f32 v[138:139], v[132:133], v[122:123], v[136:137] op_sel:[0,0,1] op_sel_hi:[1,1,0] neg_lo:[0,0,1] neg_hi:[0,0,1]
	v_pk_fma_f32 v[132:133], v[132:133], v[122:123], v[136:137] op_sel:[0,0,1] op_sel_hi:[1,0,0]
	v_mov_b32_e32 v139, v133
	v_pk_mul_f32 v[132:133], v[134:135], v[124:125] op_sel:[0,1]
	s_delay_alu instid0(VALU_DEP_2) | instskip(NEXT) | instid1(VALU_DEP_2)
	v_pk_add_f32 v[32:33], v[32:33], v[138:139] neg_lo:[0,1] neg_hi:[0,1]
	v_pk_fma_f32 v[136:137], v[134:135], v[122:123], v[132:133] op_sel:[0,0,1] op_sel_hi:[1,1,0] neg_lo:[0,0,1] neg_hi:[0,0,1]
	v_pk_fma_f32 v[132:133], v[134:135], v[122:123], v[132:133] op_sel:[0,0,1] op_sel_hi:[1,0,0]
	s_delay_alu instid0(VALU_DEP_1) | instskip(SKIP_4) | instid1(VALU_DEP_1)
	v_mov_b32_e32 v137, v133
	ds_load_2addr_b64 v[132:135], v126 offset0:39 offset1:40
	v_pk_add_f32 v[34:35], v[34:35], v[136:137] neg_lo:[0,1] neg_hi:[0,1]
	s_wait_dscnt 0x0
	v_pk_mul_f32 v[136:137], v[132:133], v[124:125] op_sel:[0,1]
	v_pk_fma_f32 v[138:139], v[132:133], v[122:123], v[136:137] op_sel:[0,0,1] op_sel_hi:[1,1,0] neg_lo:[0,0,1] neg_hi:[0,0,1]
	v_pk_fma_f32 v[132:133], v[132:133], v[122:123], v[136:137] op_sel:[0,0,1] op_sel_hi:[1,0,0]
	v_dual_mul_f32 v136, v135, v125 :: v_dual_mov_b32 v132, v135
	s_delay_alu instid0(VALU_DEP_2) | instskip(NEXT) | instid1(VALU_DEP_2)
	v_dual_mov_b32 v139, v133 :: v_dual_mov_b32 v133, v134
	v_pk_fma_f32 v[136:137], v[134:135], v[86:87], v[136:137] op_sel_hi:[1,1,0] neg_lo:[0,0,1] neg_hi:[0,0,1]
	v_mul_f32_e32 v134, v135, v122
	s_delay_alu instid0(VALU_DEP_3) | instskip(NEXT) | instid1(VALU_DEP_2)
	v_pk_add_f32 v[30:31], v[30:31], v[138:139] neg_lo:[0,1] neg_hi:[0,1]
	v_pk_fma_f32 v[132:133], v[132:133], v[86:87], v[134:135] op_sel_hi:[1,1,0]
	s_delay_alu instid0(VALU_DEP_1) | instskip(SKIP_4) | instid1(VALU_DEP_1)
	v_mov_b32_e32 v137, v133
	ds_load_2addr_b64 v[132:135], v126 offset0:41 offset1:42
	v_pk_add_f32 v[90:91], v[90:91], v[136:137] neg_lo:[0,1] neg_hi:[0,1]
	s_wait_dscnt 0x0
	v_pk_mul_f32 v[136:137], v[132:133], v[124:125] op_sel:[0,1]
	v_pk_fma_f32 v[138:139], v[132:133], v[122:123], v[136:137] op_sel:[0,0,1] op_sel_hi:[1,1,0] neg_lo:[0,0,1] neg_hi:[0,0,1]
	v_pk_fma_f32 v[132:133], v[132:133], v[122:123], v[136:137] op_sel:[0,0,1] op_sel_hi:[1,0,0]
	s_delay_alu instid0(VALU_DEP_1) | instskip(SKIP_1) | instid1(VALU_DEP_1)
	v_mov_b32_e32 v139, v133
	v_pk_mul_f32 v[132:133], v[134:135], v[124:125] op_sel:[0,1]
	v_pk_fma_f32 v[136:137], v[134:135], v[122:123], v[132:133] op_sel:[0,0,1] op_sel_hi:[1,1,0] neg_lo:[0,0,1] neg_hi:[0,0,1]
	v_pk_fma_f32 v[132:133], v[134:135], v[122:123], v[132:133] op_sel:[0,0,1] op_sel_hi:[1,0,0]
	s_delay_alu instid0(VALU_DEP_1)
	v_mov_b32_e32 v137, v133
	ds_load_2addr_b64 v[132:135], v126 offset0:43 offset1:44
	v_pk_add_f32 v[24:25], v[24:25], v[138:139] neg_lo:[0,1] neg_hi:[0,1]
	v_pk_add_f32 v[26:27], v[26:27], v[136:137] neg_lo:[0,1] neg_hi:[0,1]
	s_wait_dscnt 0x0
	v_pk_mul_f32 v[136:137], v[132:133], v[124:125] op_sel:[0,1]
	s_delay_alu instid0(VALU_DEP_1) | instskip(SKIP_1) | instid1(VALU_DEP_1)
	v_pk_fma_f32 v[138:139], v[132:133], v[122:123], v[136:137] op_sel:[0,0,1] op_sel_hi:[1,1,0] neg_lo:[0,0,1] neg_hi:[0,0,1]
	v_pk_fma_f32 v[132:133], v[132:133], v[122:123], v[136:137] op_sel:[0,0,1] op_sel_hi:[1,0,0]
	v_mov_b32_e32 v139, v133
	v_pk_mul_f32 v[132:133], v[134:135], v[124:125] op_sel:[0,1]
	s_delay_alu instid0(VALU_DEP_1) | instskip(SKIP_1) | instid1(VALU_DEP_1)
	v_pk_fma_f32 v[136:137], v[134:135], v[122:123], v[132:133] op_sel:[0,0,1] op_sel_hi:[1,1,0] neg_lo:[0,0,1] neg_hi:[0,0,1]
	v_pk_fma_f32 v[132:133], v[134:135], v[122:123], v[132:133] op_sel:[0,0,1] op_sel_hi:[1,0,0]
	v_mov_b32_e32 v137, v133
	ds_load_2addr_b64 v[132:135], v126 offset0:45 offset1:46
	v_pk_add_f32 v[22:23], v[22:23], v[138:139] neg_lo:[0,1] neg_hi:[0,1]
	v_pk_add_f32 v[88:89], v[88:89], v[136:137] neg_lo:[0,1] neg_hi:[0,1]
	s_wait_dscnt 0x0
	v_dual_mul_f32 v136, v133, v125 :: v_dual_mul_f32 v138, v133, v122
	s_delay_alu instid0(VALU_DEP_1) | instskip(NEXT) | instid1(VALU_DEP_2)
	v_pk_fma_f32 v[136:137], v[132:133], v[86:87], v[136:137] op_sel_hi:[1,1,0] neg_lo:[0,0,1] neg_hi:[0,0,1]
	v_pk_fma_f32 v[132:133], v[132:133], v[86:87], v[138:139] op_sel:[1,0,0] op_sel_hi:[0,1,0]
	s_delay_alu instid0(VALU_DEP_1) | instskip(SKIP_1) | instid1(VALU_DEP_2)
	v_mov_b32_e32 v137, v133
	v_pk_mul_f32 v[132:133], v[134:135], v[124:125] op_sel:[0,1]
	v_pk_add_f32 v[18:19], v[18:19], v[136:137] neg_lo:[0,1] neg_hi:[0,1]
	s_delay_alu instid0(VALU_DEP_2) | instskip(SKIP_1) | instid1(VALU_DEP_1)
	v_pk_fma_f32 v[136:137], v[134:135], v[122:123], v[132:133] op_sel:[0,0,1] op_sel_hi:[1,1,0] neg_lo:[0,0,1] neg_hi:[0,0,1]
	v_pk_fma_f32 v[132:133], v[134:135], v[122:123], v[132:133] op_sel:[0,0,1] op_sel_hi:[1,0,0]
	v_mov_b32_e32 v137, v133
	ds_load_2addr_b64 v[132:135], v126 offset0:47 offset1:48
	v_pk_add_f32 v[20:21], v[20:21], v[136:137] neg_lo:[0,1] neg_hi:[0,1]
	s_wait_dscnt 0x0
	v_pk_mul_f32 v[136:137], v[132:133], v[124:125] op_sel:[0,1]
	s_delay_alu instid0(VALU_DEP_1) | instskip(SKIP_1) | instid1(VALU_DEP_1)
	v_pk_fma_f32 v[138:139], v[132:133], v[122:123], v[136:137] op_sel:[0,0,1] op_sel_hi:[1,1,0] neg_lo:[0,0,1] neg_hi:[0,0,1]
	v_pk_fma_f32 v[132:133], v[132:133], v[122:123], v[136:137] op_sel:[0,0,1] op_sel_hi:[1,0,0]
	v_mov_b32_e32 v139, v133
	v_pk_mul_f32 v[132:133], v[134:135], v[124:125] op_sel:[0,1]
	s_delay_alu instid0(VALU_DEP_2) | instskip(NEXT) | instid1(VALU_DEP_2)
	v_pk_add_f32 v[16:17], v[16:17], v[138:139] neg_lo:[0,1] neg_hi:[0,1]
	v_pk_fma_f32 v[136:137], v[134:135], v[122:123], v[132:133] op_sel:[0,0,1] op_sel_hi:[1,1,0] neg_lo:[0,0,1] neg_hi:[0,0,1]
	v_pk_fma_f32 v[132:133], v[134:135], v[122:123], v[132:133] op_sel:[0,0,1] op_sel_hi:[1,0,0]
	s_delay_alu instid0(VALU_DEP_1) | instskip(SKIP_4) | instid1(VALU_DEP_1)
	v_mov_b32_e32 v137, v133
	ds_load_2addr_b64 v[132:135], v126 offset0:49 offset1:50
	v_pk_add_f32 v[84:85], v[84:85], v[136:137] neg_lo:[0,1] neg_hi:[0,1]
	s_wait_dscnt 0x0
	v_pk_mul_f32 v[136:137], v[132:133], v[124:125] op_sel:[0,1]
	v_pk_fma_f32 v[138:139], v[132:133], v[122:123], v[136:137] op_sel:[0,0,1] op_sel_hi:[1,1,0] neg_lo:[0,0,1] neg_hi:[0,0,1]
	v_pk_fma_f32 v[132:133], v[132:133], v[122:123], v[136:137] op_sel:[0,0,1] op_sel_hi:[1,0,0]
	v_dual_mul_f32 v136, v135, v125 :: v_dual_mov_b32 v132, v135
	s_delay_alu instid0(VALU_DEP_2) | instskip(NEXT) | instid1(VALU_DEP_2)
	v_dual_mov_b32 v139, v133 :: v_dual_mov_b32 v133, v134
	v_pk_fma_f32 v[136:137], v[134:135], v[86:87], v[136:137] op_sel_hi:[1,1,0] neg_lo:[0,0,1] neg_hi:[0,0,1]
	v_mul_f32_e32 v134, v135, v122
	s_delay_alu instid0(VALU_DEP_3) | instskip(NEXT) | instid1(VALU_DEP_2)
	v_pk_add_f32 v[10:11], v[10:11], v[138:139] neg_lo:[0,1] neg_hi:[0,1]
	v_pk_fma_f32 v[132:133], v[132:133], v[86:87], v[134:135] op_sel_hi:[1,1,0]
	s_delay_alu instid0(VALU_DEP_1) | instskip(SKIP_4) | instid1(VALU_DEP_1)
	v_mov_b32_e32 v137, v133
	ds_load_2addr_b64 v[132:135], v126 offset0:51 offset1:52
	v_pk_add_f32 v[12:13], v[12:13], v[136:137] neg_lo:[0,1] neg_hi:[0,1]
	s_wait_dscnt 0x0
	v_pk_mul_f32 v[136:137], v[132:133], v[124:125] op_sel:[0,1]
	v_pk_fma_f32 v[138:139], v[132:133], v[122:123], v[136:137] op_sel:[0,0,1] op_sel_hi:[1,1,0] neg_lo:[0,0,1] neg_hi:[0,0,1]
	v_pk_fma_f32 v[132:133], v[132:133], v[122:123], v[136:137] op_sel:[0,0,1] op_sel_hi:[1,0,0]
	s_delay_alu instid0(VALU_DEP_1) | instskip(SKIP_1) | instid1(VALU_DEP_1)
	v_mov_b32_e32 v139, v133
	v_pk_mul_f32 v[132:133], v[134:135], v[124:125] op_sel:[0,1]
	v_pk_fma_f32 v[136:137], v[134:135], v[122:123], v[132:133] op_sel:[0,0,1] op_sel_hi:[1,1,0] neg_lo:[0,0,1] neg_hi:[0,0,1]
	v_pk_fma_f32 v[132:133], v[134:135], v[122:123], v[132:133] op_sel:[0,0,1] op_sel_hi:[1,0,0]
	s_delay_alu instid0(VALU_DEP_1)
	v_mov_b32_e32 v137, v133
	ds_load_2addr_b64 v[132:135], v126 offset0:53 offset1:54
	v_pk_add_f32 v[8:9], v[8:9], v[138:139] neg_lo:[0,1] neg_hi:[0,1]
	v_pk_add_f32 v[60:61], v[60:61], v[136:137] neg_lo:[0,1] neg_hi:[0,1]
	s_wait_dscnt 0x0
	v_pk_mul_f32 v[136:137], v[132:133], v[124:125] op_sel:[0,1]
	s_delay_alu instid0(VALU_DEP_1) | instskip(SKIP_1) | instid1(VALU_DEP_1)
	v_pk_fma_f32 v[138:139], v[132:133], v[122:123], v[136:137] op_sel:[0,0,1] op_sel_hi:[1,1,0] neg_lo:[0,0,1] neg_hi:[0,0,1]
	v_pk_fma_f32 v[132:133], v[132:133], v[122:123], v[136:137] op_sel:[0,0,1] op_sel_hi:[1,0,0]
	v_mov_b32_e32 v139, v133
	v_pk_mul_f32 v[132:133], v[134:135], v[124:125] op_sel:[0,1]
	s_delay_alu instid0(VALU_DEP_1) | instskip(SKIP_1) | instid1(VALU_DEP_1)
	v_pk_fma_f32 v[136:137], v[134:135], v[122:123], v[132:133] op_sel:[0,0,1] op_sel_hi:[1,1,0] neg_lo:[0,0,1] neg_hi:[0,0,1]
	v_pk_fma_f32 v[132:133], v[134:135], v[122:123], v[132:133] op_sel:[0,0,1] op_sel_hi:[1,0,0]
	v_mov_b32_e32 v137, v133
	ds_load_2addr_b64 v[132:135], v126 offset0:55 offset1:56
	v_pk_add_f32 v[6:7], v[6:7], v[138:139] neg_lo:[0,1] neg_hi:[0,1]
	v_pk_add_f32 v[42:43], v[42:43], v[136:137] neg_lo:[0,1] neg_hi:[0,1]
	s_wait_dscnt 0x0
	v_dual_mul_f32 v136, v133, v125 :: v_dual_mul_f32 v138, v133, v122
	s_delay_alu instid0(VALU_DEP_1) | instskip(NEXT) | instid1(VALU_DEP_2)
	v_pk_fma_f32 v[136:137], v[132:133], v[86:87], v[136:137] op_sel_hi:[1,1,0] neg_lo:[0,0,1] neg_hi:[0,0,1]
	v_pk_fma_f32 v[132:133], v[132:133], v[86:87], v[138:139] op_sel:[1,0,0] op_sel_hi:[0,1,0]
	s_delay_alu instid0(VALU_DEP_1) | instskip(SKIP_1) | instid1(VALU_DEP_2)
	v_mov_b32_e32 v137, v133
	v_pk_mul_f32 v[132:133], v[134:135], v[124:125] op_sel:[0,1]
	v_pk_add_f32 v[28:29], v[28:29], v[136:137] neg_lo:[0,1] neg_hi:[0,1]
	s_delay_alu instid0(VALU_DEP_2) | instskip(SKIP_1) | instid1(VALU_DEP_1)
	v_pk_fma_f32 v[136:137], v[134:135], v[122:123], v[132:133] op_sel:[0,0,1] op_sel_hi:[1,1,0] neg_lo:[0,0,1] neg_hi:[0,0,1]
	v_pk_fma_f32 v[132:133], v[134:135], v[122:123], v[132:133] op_sel:[0,0,1] op_sel_hi:[1,0,0]
	v_mov_b32_e32 v137, v133
	ds_load_b64 v[132:133], v126 offset:456
	v_pk_add_f32 v[14:15], v[14:15], v[136:137] neg_lo:[0,1] neg_hi:[0,1]
	s_wait_dscnt 0x0
	v_pk_mul_f32 v[124:125], v[132:133], v[124:125] op_sel:[0,1]
	s_delay_alu instid0(VALU_DEP_1) | instskip(SKIP_1) | instid1(VALU_DEP_1)
	v_pk_fma_f32 v[134:135], v[132:133], v[122:123], v[124:125] op_sel:[0,0,1] op_sel_hi:[1,1,0] neg_lo:[0,0,1] neg_hi:[0,0,1]
	v_pk_fma_f32 v[122:123], v[132:133], v[122:123], v[124:125] op_sel:[0,0,1] op_sel_hi:[1,0,0]
	v_mov_b32_e32 v135, v123
	s_delay_alu instid0(VALU_DEP_1)
	v_pk_add_f32 v[120:121], v[120:121], v[134:135] neg_lo:[0,1] neg_hi:[0,1]
.LBB114_146:
	s_or_b32 exec_lo, exec_lo, s0
	v_lshl_add_u32 v122, v130, 3, v126
	s_barrier_signal -1
	s_barrier_wait -1
	ds_store_b64 v122, v[70:71]
	s_wait_dscnt 0x0
	s_barrier_signal -1
	s_barrier_wait -1
	ds_load_b64 v[124:125], v126 offset:56
	v_mov_b32_e32 v122, 7
	s_cmp_lt_i32 s18, 9
	s_cbranch_scc1 .LBB114_149
; %bb.147:
	v_add3_u32 v123, v127, 0, 64
	v_mov_b32_e32 v122, 7
	s_mov_b32 s0, 8
.LBB114_148:                            ; =>This Inner Loop Header: Depth=1
	ds_load_b64 v[132:133], v123
	s_wait_dscnt 0x1
	v_cmp_gt_f32_e32 vcc_lo, 0, v124
	v_cndmask_b32_e64 v134, v124, -v124, vcc_lo
	v_cmp_gt_f32_e32 vcc_lo, 0, v125
	v_cndmask_b32_e64 v136, v125, -v125, vcc_lo
	s_wait_dscnt 0x0
	v_cmp_gt_f32_e32 vcc_lo, 0, v132
	v_cndmask_b32_e64 v135, v132, -v132, vcc_lo
	v_cmp_gt_f32_e32 vcc_lo, 0, v133
	v_cndmask_b32_e64 v137, v133, -v133, vcc_lo
	s_delay_alu instid0(VALU_DEP_1) | instskip(NEXT) | instid1(VALU_DEP_1)
	v_pk_add_f32 v[134:135], v[134:135], v[136:137]
	v_cmp_lt_f32_e32 vcc_lo, v134, v135
	v_dual_add_nc_u32 v123, 8, v123 :: v_dual_cndmask_b32 v125, v125, v133, vcc_lo
	v_cndmask_b32_e32 v124, v124, v132, vcc_lo
	v_cndmask_b32_e64 v122, v122, s0, vcc_lo
	s_add_co_i32 s0, s0, 1
	s_delay_alu instid0(SALU_CYCLE_1)
	s_cmp_lg_u32 s18, s0
	s_cbranch_scc1 .LBB114_148
.LBB114_149:
	s_wait_dscnt 0x0
	v_cmp_eq_f32_e32 vcc_lo, 0, v124
	v_cmp_eq_f32_e64 s0, 0, v125
	s_and_b32 s0, vcc_lo, s0
	s_delay_alu instid0(SALU_CYCLE_1) | instskip(NEXT) | instid1(SALU_CYCLE_1)
	s_and_saveexec_b32 s1, s0
	s_xor_b32 s0, exec_lo, s1
; %bb.150:
	v_cmp_ne_u32_e32 vcc_lo, 0, v128
	v_cndmask_b32_e32 v128, 8, v128, vcc_lo
; %bb.151:
	s_and_not1_saveexec_b32 s0, s0
	s_cbranch_execz .LBB114_157
; %bb.152:
	v_cmp_ngt_f32_e64 s1, |v124|, |v125|
	s_and_saveexec_b32 s12, s1
	s_delay_alu instid0(SALU_CYCLE_1)
	s_xor_b32 s1, exec_lo, s12
	s_cbranch_execz .LBB114_154
; %bb.153:
	v_div_scale_f32 v123, null, v125, v125, v124
	v_div_scale_f32 v133, vcc_lo, v124, v125, v124
	s_delay_alu instid0(VALU_DEP_2) | instskip(SKIP_1) | instid1(TRANS32_DEP_1)
	v_rcp_f32_e32 v131, v123
	v_nop
	v_fma_f32 v132, -v123, v131, 1.0
	s_delay_alu instid0(VALU_DEP_1) | instskip(NEXT) | instid1(VALU_DEP_1)
	v_fmac_f32_e32 v131, v132, v131
	v_mul_f32_e32 v132, v133, v131
	s_delay_alu instid0(VALU_DEP_1) | instskip(NEXT) | instid1(VALU_DEP_1)
	v_fma_f32 v134, -v123, v132, v133
	v_fmac_f32_e32 v132, v134, v131
	s_delay_alu instid0(VALU_DEP_1) | instskip(NEXT) | instid1(VALU_DEP_1)
	v_fma_f32 v123, -v123, v132, v133
	v_div_fmas_f32 v123, v123, v131, v132
	s_delay_alu instid0(VALU_DEP_1) | instskip(NEXT) | instid1(VALU_DEP_1)
	v_div_fixup_f32 v123, v123, v125, v124
	v_fmac_f32_e32 v125, v124, v123
	s_delay_alu instid0(VALU_DEP_1) | instskip(SKIP_1) | instid1(VALU_DEP_2)
	v_div_scale_f32 v124, null, v125, v125, 1.0
	v_div_scale_f32 v133, vcc_lo, 1.0, v125, 1.0
	v_rcp_f32_e32 v131, v124
	v_nop
	s_delay_alu instid0(TRANS32_DEP_1) | instskip(NEXT) | instid1(VALU_DEP_1)
	v_fma_f32 v132, -v124, v131, 1.0
	v_fmac_f32_e32 v131, v132, v131
	s_delay_alu instid0(VALU_DEP_1) | instskip(NEXT) | instid1(VALU_DEP_1)
	v_mul_f32_e32 v132, v133, v131
	v_fma_f32 v134, -v124, v132, v133
	s_delay_alu instid0(VALU_DEP_1) | instskip(NEXT) | instid1(VALU_DEP_1)
	v_fmac_f32_e32 v132, v134, v131
	v_fma_f32 v124, -v124, v132, v133
	s_delay_alu instid0(VALU_DEP_1) | instskip(NEXT) | instid1(VALU_DEP_1)
	v_div_fmas_f32 v124, v124, v131, v132
	v_div_fixup_f32 v125, v124, v125, 1.0
	s_delay_alu instid0(VALU_DEP_1)
	v_mul_f32_e32 v124, v123, v125
	v_xor_b32_e32 v125, 0x80000000, v125
.LBB114_154:
	s_and_not1_saveexec_b32 s1, s1
	s_cbranch_execz .LBB114_156
; %bb.155:
	s_delay_alu instid0(VALU_DEP_1) | instskip(SKIP_1) | instid1(VALU_DEP_2)
	v_div_scale_f32 v123, null, v124, v124, v125
	v_div_scale_f32 v133, vcc_lo, v125, v124, v125
	v_rcp_f32_e32 v131, v123
	v_nop
	s_delay_alu instid0(TRANS32_DEP_1) | instskip(NEXT) | instid1(VALU_DEP_1)
	v_fma_f32 v132, -v123, v131, 1.0
	v_fmac_f32_e32 v131, v132, v131
	s_delay_alu instid0(VALU_DEP_1) | instskip(NEXT) | instid1(VALU_DEP_1)
	v_mul_f32_e32 v132, v133, v131
	v_fma_f32 v134, -v123, v132, v133
	s_delay_alu instid0(VALU_DEP_1) | instskip(NEXT) | instid1(VALU_DEP_1)
	v_fmac_f32_e32 v132, v134, v131
	v_fma_f32 v123, -v123, v132, v133
	s_delay_alu instid0(VALU_DEP_1) | instskip(NEXT) | instid1(VALU_DEP_1)
	v_div_fmas_f32 v123, v123, v131, v132
	v_div_fixup_f32 v123, v123, v124, v125
	s_delay_alu instid0(VALU_DEP_1) | instskip(NEXT) | instid1(VALU_DEP_1)
	v_fmac_f32_e32 v124, v125, v123
	v_div_scale_f32 v125, null, v124, v124, 1.0
	s_delay_alu instid0(VALU_DEP_1) | instskip(SKIP_1) | instid1(TRANS32_DEP_1)
	v_rcp_f32_e32 v131, v125
	v_nop
	v_fma_f32 v132, -v125, v131, 1.0
	s_delay_alu instid0(VALU_DEP_1) | instskip(SKIP_1) | instid1(VALU_DEP_1)
	v_fmac_f32_e32 v131, v132, v131
	v_div_scale_f32 v132, vcc_lo, 1.0, v124, 1.0
	v_mul_f32_e32 v133, v132, v131
	s_delay_alu instid0(VALU_DEP_1) | instskip(NEXT) | instid1(VALU_DEP_1)
	v_fma_f32 v134, -v125, v133, v132
	v_fmac_f32_e32 v133, v134, v131
	s_delay_alu instid0(VALU_DEP_1) | instskip(NEXT) | instid1(VALU_DEP_1)
	v_fma_f32 v125, -v125, v133, v132
	v_div_fmas_f32 v125, v125, v131, v133
	s_delay_alu instid0(VALU_DEP_1) | instskip(NEXT) | instid1(VALU_DEP_1)
	v_div_fixup_f32 v124, v125, v124, 1.0
	v_mul_f32_e64 v125, v123, -v124
.LBB114_156:
	s_or_b32 exec_lo, exec_lo, s1
.LBB114_157:
	s_delay_alu instid0(SALU_CYCLE_1) | instskip(NEXT) | instid1(SALU_CYCLE_1)
	s_or_b32 exec_lo, exec_lo, s0
	s_mov_b32 s0, exec_lo
	v_cmpx_ne_u32_e64 v130, v122
	s_xor_b32 s0, exec_lo, s0
	s_cbranch_execz .LBB114_163
; %bb.158:
	s_mov_b32 s1, exec_lo
	v_cmpx_eq_u32_e32 7, v130
	s_cbranch_execz .LBB114_162
; %bb.159:
	v_cmp_ne_u32_e32 vcc_lo, 7, v122
	s_xor_b32 s12, s16, -1
	s_delay_alu instid0(SALU_CYCLE_1) | instskip(NEXT) | instid1(SALU_CYCLE_1)
	s_and_b32 s13, s12, vcc_lo
	s_and_saveexec_b32 s12, s13
	s_cbranch_execz .LBB114_161
; %bb.160:
	v_ashrrev_i32_e32 v123, 31, v122
	s_delay_alu instid0(VALU_DEP_1)
	v_lshl_add_u64 v[130:131], v[122:123], 2, v[4:5]
	s_clause 0x1
	global_load_b32 v123, v[130:131], off
	global_load_b32 v129, v[4:5], off offset:28
	s_wait_loadcnt 0x1
	global_store_b32 v[4:5], v123, off offset:28
	s_wait_loadcnt 0x0
	global_store_b32 v[130:131], v129, off
.LBB114_161:
	s_wait_xcnt 0x0
	s_or_b32 exec_lo, exec_lo, s12
	v_dual_mov_b32 v130, v122 :: v_dual_mov_b32 v129, v122
.LBB114_162:
	s_or_b32 exec_lo, exec_lo, s1
.LBB114_163:
	s_and_not1_saveexec_b32 s0, s0
	s_cbranch_execz .LBB114_165
; %bb.164:
	v_dual_mov_b32 v122, v108 :: v_dual_mov_b32 v123, v109
	v_dual_mov_b32 v130, v80 :: v_dual_mov_b32 v131, v81
	ds_store_2addr_b64 v126, v[122:123], v[130:131] offset0:8 offset1:9
	v_dual_mov_b32 v122, v82 :: v_dual_mov_b32 v123, v83
	v_dual_mov_b32 v130, v78 :: v_dual_mov_b32 v131, v79
	ds_store_2addr_b64 v126, v[122:123], v[130:131] offset0:10 offset1:11
	;; [unrolled: 3-line block ×24, first 2 shown]
	v_dual_mov_b32 v122, v14 :: v_dual_mov_b32 v123, v15
	v_mov_b32_e32 v130, 7
	ds_store_2addr_b64 v126, v[122:123], v[120:121] offset0:56 offset1:57
.LBB114_165:
	s_or_b32 exec_lo, exec_lo, s0
	s_delay_alu instid0(SALU_CYCLE_1)
	s_mov_b32 s0, exec_lo
	s_wait_storecnt_dscnt 0x0
	s_barrier_signal -1
	s_barrier_wait -1
	v_cmpx_lt_i32_e32 7, v130
	s_cbranch_execz .LBB114_167
; %bb.166:
	v_pk_mul_f32 v[132:133], v[124:125], v[70:71] op_sel:[1,1] op_sel_hi:[0,1]
	s_delay_alu instid0(VALU_DEP_1)
	v_pk_fma_f32 v[122:123], v[124:125], v[70:71], v[132:133] op_sel_hi:[1,0,1] neg_lo:[0,0,1] neg_hi:[0,0,1]
	v_pk_fma_f32 v[124:125], v[124:125], v[70:71], v[132:133] op_sel_hi:[1,0,1]
	ds_load_2addr_b64 v[132:135], v126 offset0:8 offset1:9
	v_dual_mov_b32 v70, v122 :: v_dual_mov_b32 v71, v125
	s_wait_dscnt 0x0
	v_pk_mul_f32 v[136:137], v[132:133], v[124:125] op_sel:[0,1]
	s_delay_alu instid0(VALU_DEP_1) | instskip(SKIP_1) | instid1(VALU_DEP_1)
	v_pk_fma_f32 v[138:139], v[132:133], v[122:123], v[136:137] op_sel:[0,0,1] op_sel_hi:[1,1,0] neg_lo:[0,0,1] neg_hi:[0,0,1]
	v_pk_fma_f32 v[132:133], v[132:133], v[122:123], v[136:137] op_sel:[0,0,1] op_sel_hi:[1,0,0]
	v_mov_b32_e32 v139, v133
	v_pk_mul_f32 v[132:133], v[134:135], v[124:125] op_sel:[0,1]
	s_delay_alu instid0(VALU_DEP_1) | instskip(SKIP_1) | instid1(VALU_DEP_1)
	v_pk_fma_f32 v[136:137], v[134:135], v[122:123], v[132:133] op_sel:[0,0,1] op_sel_hi:[1,1,0] neg_lo:[0,0,1] neg_hi:[0,0,1]
	v_pk_fma_f32 v[132:133], v[134:135], v[122:123], v[132:133] op_sel:[0,0,1] op_sel_hi:[1,0,0]
	v_mov_b32_e32 v137, v133
	ds_load_2addr_b64 v[132:135], v126 offset0:10 offset1:11
	v_pk_add_f32 v[108:109], v[108:109], v[138:139] neg_lo:[0,1] neg_hi:[0,1]
	v_pk_add_f32 v[80:81], v[80:81], v[136:137] neg_lo:[0,1] neg_hi:[0,1]
	s_wait_dscnt 0x0
	v_pk_mul_f32 v[136:137], v[132:133], v[124:125] op_sel:[0,1]
	s_delay_alu instid0(VALU_DEP_1) | instskip(SKIP_2) | instid1(VALU_DEP_2)
	v_pk_fma_f32 v[138:139], v[132:133], v[122:123], v[136:137] op_sel:[0,0,1] op_sel_hi:[1,1,0] neg_lo:[0,0,1] neg_hi:[0,0,1]
	v_pk_fma_f32 v[132:133], v[132:133], v[122:123], v[136:137] op_sel:[0,0,1] op_sel_hi:[1,0,0]
	v_dual_mul_f32 v136, v135, v125 :: v_dual_mov_b32 v132, v135
	v_dual_mov_b32 v139, v133 :: v_dual_mov_b32 v133, v134
	s_delay_alu instid0(VALU_DEP_2) | instskip(SKIP_1) | instid1(VALU_DEP_3)
	v_pk_fma_f32 v[136:137], v[134:135], v[70:71], v[136:137] op_sel_hi:[1,1,0] neg_lo:[0,0,1] neg_hi:[0,0,1]
	v_mul_f32_e32 v134, v135, v122
	v_pk_add_f32 v[82:83], v[82:83], v[138:139] neg_lo:[0,1] neg_hi:[0,1]
	s_delay_alu instid0(VALU_DEP_2) | instskip(NEXT) | instid1(VALU_DEP_1)
	v_pk_fma_f32 v[132:133], v[132:133], v[70:71], v[134:135] op_sel_hi:[1,1,0]
	v_mov_b32_e32 v137, v133
	ds_load_2addr_b64 v[132:135], v126 offset0:12 offset1:13
	v_pk_add_f32 v[78:79], v[78:79], v[136:137] neg_lo:[0,1] neg_hi:[0,1]
	s_wait_dscnt 0x0
	v_pk_mul_f32 v[136:137], v[132:133], v[124:125] op_sel:[0,1]
	s_delay_alu instid0(VALU_DEP_1) | instskip(SKIP_1) | instid1(VALU_DEP_1)
	v_pk_fma_f32 v[138:139], v[132:133], v[122:123], v[136:137] op_sel:[0,0,1] op_sel_hi:[1,1,0] neg_lo:[0,0,1] neg_hi:[0,0,1]
	v_pk_fma_f32 v[132:133], v[132:133], v[122:123], v[136:137] op_sel:[0,0,1] op_sel_hi:[1,0,0]
	v_mov_b32_e32 v139, v133
	v_pk_mul_f32 v[132:133], v[134:135], v[124:125] op_sel:[0,1]
	s_delay_alu instid0(VALU_DEP_1) | instskip(SKIP_1) | instid1(VALU_DEP_1)
	v_pk_fma_f32 v[136:137], v[134:135], v[122:123], v[132:133] op_sel:[0,0,1] op_sel_hi:[1,1,0] neg_lo:[0,0,1] neg_hi:[0,0,1]
	v_pk_fma_f32 v[132:133], v[134:135], v[122:123], v[132:133] op_sel:[0,0,1] op_sel_hi:[1,0,0]
	v_mov_b32_e32 v137, v133
	ds_load_2addr_b64 v[132:135], v126 offset0:14 offset1:15
	v_pk_add_f32 v[106:107], v[106:107], v[138:139] neg_lo:[0,1] neg_hi:[0,1]
	v_pk_add_f32 v[74:75], v[74:75], v[136:137] neg_lo:[0,1] neg_hi:[0,1]
	s_wait_dscnt 0x0
	v_pk_mul_f32 v[136:137], v[132:133], v[124:125] op_sel:[0,1]
	s_delay_alu instid0(VALU_DEP_1) | instskip(SKIP_1) | instid1(VALU_DEP_1)
	v_pk_fma_f32 v[138:139], v[132:133], v[122:123], v[136:137] op_sel:[0,0,1] op_sel_hi:[1,1,0] neg_lo:[0,0,1] neg_hi:[0,0,1]
	v_pk_fma_f32 v[132:133], v[132:133], v[122:123], v[136:137] op_sel:[0,0,1] op_sel_hi:[1,0,0]
	v_mov_b32_e32 v139, v133
	v_pk_mul_f32 v[132:133], v[134:135], v[124:125] op_sel:[0,1]
	s_delay_alu instid0(VALU_DEP_1) | instskip(SKIP_1) | instid1(VALU_DEP_1)
	v_pk_fma_f32 v[136:137], v[134:135], v[122:123], v[132:133] op_sel:[0,0,1] op_sel_hi:[1,1,0] neg_lo:[0,0,1] neg_hi:[0,0,1]
	v_pk_fma_f32 v[132:133], v[134:135], v[122:123], v[132:133] op_sel:[0,0,1] op_sel_hi:[1,0,0]
	v_mov_b32_e32 v137, v133
	ds_load_2addr_b64 v[132:135], v126 offset0:16 offset1:17
	v_pk_add_f32 v[76:77], v[76:77], v[138:139] neg_lo:[0,1] neg_hi:[0,1]
	v_pk_add_f32 v[72:73], v[72:73], v[136:137] neg_lo:[0,1] neg_hi:[0,1]
	s_wait_dscnt 0x0
	v_dual_mul_f32 v136, v133, v125 :: v_dual_mul_f32 v138, v133, v122
	s_delay_alu instid0(VALU_DEP_1) | instskip(NEXT) | instid1(VALU_DEP_2)
	v_pk_fma_f32 v[136:137], v[132:133], v[70:71], v[136:137] op_sel_hi:[1,1,0] neg_lo:[0,0,1] neg_hi:[0,0,1]
	v_pk_fma_f32 v[132:133], v[132:133], v[70:71], v[138:139] op_sel:[1,0,0] op_sel_hi:[0,1,0]
	s_delay_alu instid0(VALU_DEP_1) | instskip(SKIP_1) | instid1(VALU_DEP_2)
	v_mov_b32_e32 v137, v133
	v_pk_mul_f32 v[132:133], v[134:135], v[124:125] op_sel:[0,1]
	v_pk_add_f32 v[104:105], v[104:105], v[136:137] neg_lo:[0,1] neg_hi:[0,1]
	s_delay_alu instid0(VALU_DEP_2) | instskip(SKIP_1) | instid1(VALU_DEP_1)
	v_pk_fma_f32 v[136:137], v[134:135], v[122:123], v[132:133] op_sel:[0,0,1] op_sel_hi:[1,1,0] neg_lo:[0,0,1] neg_hi:[0,0,1]
	v_pk_fma_f32 v[132:133], v[134:135], v[122:123], v[132:133] op_sel:[0,0,1] op_sel_hi:[1,0,0]
	v_mov_b32_e32 v137, v133
	ds_load_2addr_b64 v[132:135], v126 offset0:18 offset1:19
	v_pk_add_f32 v[66:67], v[66:67], v[136:137] neg_lo:[0,1] neg_hi:[0,1]
	s_wait_dscnt 0x0
	v_pk_mul_f32 v[136:137], v[132:133], v[124:125] op_sel:[0,1]
	s_delay_alu instid0(VALU_DEP_1) | instskip(SKIP_1) | instid1(VALU_DEP_1)
	v_pk_fma_f32 v[138:139], v[132:133], v[122:123], v[136:137] op_sel:[0,0,1] op_sel_hi:[1,1,0] neg_lo:[0,0,1] neg_hi:[0,0,1]
	v_pk_fma_f32 v[132:133], v[132:133], v[122:123], v[136:137] op_sel:[0,0,1] op_sel_hi:[1,0,0]
	v_mov_b32_e32 v139, v133
	v_pk_mul_f32 v[132:133], v[134:135], v[124:125] op_sel:[0,1]
	s_delay_alu instid0(VALU_DEP_2) | instskip(NEXT) | instid1(VALU_DEP_2)
	v_pk_add_f32 v[68:69], v[68:69], v[138:139] neg_lo:[0,1] neg_hi:[0,1]
	v_pk_fma_f32 v[136:137], v[134:135], v[122:123], v[132:133] op_sel:[0,0,1] op_sel_hi:[1,1,0] neg_lo:[0,0,1] neg_hi:[0,0,1]
	v_pk_fma_f32 v[132:133], v[134:135], v[122:123], v[132:133] op_sel:[0,0,1] op_sel_hi:[1,0,0]
	s_delay_alu instid0(VALU_DEP_1) | instskip(SKIP_4) | instid1(VALU_DEP_1)
	v_mov_b32_e32 v137, v133
	ds_load_2addr_b64 v[132:135], v126 offset0:20 offset1:21
	v_pk_add_f32 v[64:65], v[64:65], v[136:137] neg_lo:[0,1] neg_hi:[0,1]
	s_wait_dscnt 0x0
	v_pk_mul_f32 v[136:137], v[132:133], v[124:125] op_sel:[0,1]
	v_pk_fma_f32 v[138:139], v[132:133], v[122:123], v[136:137] op_sel:[0,0,1] op_sel_hi:[1,1,0] neg_lo:[0,0,1] neg_hi:[0,0,1]
	v_pk_fma_f32 v[132:133], v[132:133], v[122:123], v[136:137] op_sel:[0,0,1] op_sel_hi:[1,0,0]
	v_dual_mul_f32 v136, v135, v125 :: v_dual_mov_b32 v132, v135
	s_delay_alu instid0(VALU_DEP_2) | instskip(NEXT) | instid1(VALU_DEP_2)
	v_dual_mov_b32 v139, v133 :: v_dual_mov_b32 v133, v134
	v_pk_fma_f32 v[136:137], v[134:135], v[70:71], v[136:137] op_sel_hi:[1,1,0] neg_lo:[0,0,1] neg_hi:[0,0,1]
	v_mul_f32_e32 v134, v135, v122
	s_delay_alu instid0(VALU_DEP_3) | instskip(NEXT) | instid1(VALU_DEP_2)
	v_pk_add_f32 v[102:103], v[102:103], v[138:139] neg_lo:[0,1] neg_hi:[0,1]
	v_pk_fma_f32 v[132:133], v[132:133], v[70:71], v[134:135] op_sel_hi:[1,1,0]
	s_delay_alu instid0(VALU_DEP_1) | instskip(SKIP_4) | instid1(VALU_DEP_1)
	v_mov_b32_e32 v137, v133
	ds_load_2addr_b64 v[132:135], v126 offset0:22 offset1:23
	v_pk_add_f32 v[58:59], v[58:59], v[136:137] neg_lo:[0,1] neg_hi:[0,1]
	s_wait_dscnt 0x0
	v_pk_mul_f32 v[136:137], v[132:133], v[124:125] op_sel:[0,1]
	v_pk_fma_f32 v[138:139], v[132:133], v[122:123], v[136:137] op_sel:[0,0,1] op_sel_hi:[1,1,0] neg_lo:[0,0,1] neg_hi:[0,0,1]
	v_pk_fma_f32 v[132:133], v[132:133], v[122:123], v[136:137] op_sel:[0,0,1] op_sel_hi:[1,0,0]
	s_delay_alu instid0(VALU_DEP_1) | instskip(SKIP_1) | instid1(VALU_DEP_1)
	v_mov_b32_e32 v139, v133
	v_pk_mul_f32 v[132:133], v[134:135], v[124:125] op_sel:[0,1]
	v_pk_fma_f32 v[136:137], v[134:135], v[122:123], v[132:133] op_sel:[0,0,1] op_sel_hi:[1,1,0] neg_lo:[0,0,1] neg_hi:[0,0,1]
	v_pk_fma_f32 v[132:133], v[134:135], v[122:123], v[132:133] op_sel:[0,0,1] op_sel_hi:[1,0,0]
	s_delay_alu instid0(VALU_DEP_1)
	v_mov_b32_e32 v137, v133
	ds_load_2addr_b64 v[132:135], v126 offset0:24 offset1:25
	v_pk_add_f32 v[62:63], v[62:63], v[138:139] neg_lo:[0,1] neg_hi:[0,1]
	v_pk_add_f32 v[56:57], v[56:57], v[136:137] neg_lo:[0,1] neg_hi:[0,1]
	s_wait_dscnt 0x0
	v_pk_mul_f32 v[136:137], v[132:133], v[124:125] op_sel:[0,1]
	s_delay_alu instid0(VALU_DEP_1) | instskip(SKIP_1) | instid1(VALU_DEP_1)
	v_pk_fma_f32 v[138:139], v[132:133], v[122:123], v[136:137] op_sel:[0,0,1] op_sel_hi:[1,1,0] neg_lo:[0,0,1] neg_hi:[0,0,1]
	v_pk_fma_f32 v[132:133], v[132:133], v[122:123], v[136:137] op_sel:[0,0,1] op_sel_hi:[1,0,0]
	v_mov_b32_e32 v139, v133
	v_pk_mul_f32 v[132:133], v[134:135], v[124:125] op_sel:[0,1]
	s_delay_alu instid0(VALU_DEP_1) | instskip(SKIP_1) | instid1(VALU_DEP_1)
	v_pk_fma_f32 v[136:137], v[134:135], v[122:123], v[132:133] op_sel:[0,0,1] op_sel_hi:[1,1,0] neg_lo:[0,0,1] neg_hi:[0,0,1]
	v_pk_fma_f32 v[132:133], v[134:135], v[122:123], v[132:133] op_sel:[0,0,1] op_sel_hi:[1,0,0]
	v_mov_b32_e32 v137, v133
	ds_load_2addr_b64 v[132:135], v126 offset0:26 offset1:27
	v_pk_add_f32 v[100:101], v[100:101], v[138:139] neg_lo:[0,1] neg_hi:[0,1]
	v_pk_add_f32 v[52:53], v[52:53], v[136:137] neg_lo:[0,1] neg_hi:[0,1]
	s_wait_dscnt 0x0
	v_dual_mul_f32 v136, v133, v125 :: v_dual_mul_f32 v138, v133, v122
	s_delay_alu instid0(VALU_DEP_1) | instskip(NEXT) | instid1(VALU_DEP_2)
	v_pk_fma_f32 v[136:137], v[132:133], v[70:71], v[136:137] op_sel_hi:[1,1,0] neg_lo:[0,0,1] neg_hi:[0,0,1]
	v_pk_fma_f32 v[132:133], v[132:133], v[70:71], v[138:139] op_sel:[1,0,0] op_sel_hi:[0,1,0]
	s_delay_alu instid0(VALU_DEP_1) | instskip(SKIP_1) | instid1(VALU_DEP_2)
	v_mov_b32_e32 v137, v133
	v_pk_mul_f32 v[132:133], v[134:135], v[124:125] op_sel:[0,1]
	v_pk_add_f32 v[54:55], v[54:55], v[136:137] neg_lo:[0,1] neg_hi:[0,1]
	s_delay_alu instid0(VALU_DEP_2) | instskip(SKIP_1) | instid1(VALU_DEP_1)
	v_pk_fma_f32 v[136:137], v[134:135], v[122:123], v[132:133] op_sel:[0,0,1] op_sel_hi:[1,1,0] neg_lo:[0,0,1] neg_hi:[0,0,1]
	v_pk_fma_f32 v[132:133], v[134:135], v[122:123], v[132:133] op_sel:[0,0,1] op_sel_hi:[1,0,0]
	v_mov_b32_e32 v137, v133
	ds_load_2addr_b64 v[132:135], v126 offset0:28 offset1:29
	v_pk_add_f32 v[50:51], v[50:51], v[136:137] neg_lo:[0,1] neg_hi:[0,1]
	s_wait_dscnt 0x0
	v_pk_mul_f32 v[136:137], v[132:133], v[124:125] op_sel:[0,1]
	s_delay_alu instid0(VALU_DEP_1) | instskip(SKIP_1) | instid1(VALU_DEP_1)
	v_pk_fma_f32 v[138:139], v[132:133], v[122:123], v[136:137] op_sel:[0,0,1] op_sel_hi:[1,1,0] neg_lo:[0,0,1] neg_hi:[0,0,1]
	v_pk_fma_f32 v[132:133], v[132:133], v[122:123], v[136:137] op_sel:[0,0,1] op_sel_hi:[1,0,0]
	v_mov_b32_e32 v139, v133
	v_pk_mul_f32 v[132:133], v[134:135], v[124:125] op_sel:[0,1]
	s_delay_alu instid0(VALU_DEP_2) | instskip(NEXT) | instid1(VALU_DEP_2)
	v_pk_add_f32 v[96:97], v[96:97], v[138:139] neg_lo:[0,1] neg_hi:[0,1]
	v_pk_fma_f32 v[136:137], v[134:135], v[122:123], v[132:133] op_sel:[0,0,1] op_sel_hi:[1,1,0] neg_lo:[0,0,1] neg_hi:[0,0,1]
	v_pk_fma_f32 v[132:133], v[134:135], v[122:123], v[132:133] op_sel:[0,0,1] op_sel_hi:[1,0,0]
	s_delay_alu instid0(VALU_DEP_1) | instskip(SKIP_4) | instid1(VALU_DEP_1)
	v_mov_b32_e32 v137, v133
	ds_load_2addr_b64 v[132:135], v126 offset0:30 offset1:31
	v_pk_add_f32 v[46:47], v[46:47], v[136:137] neg_lo:[0,1] neg_hi:[0,1]
	s_wait_dscnt 0x0
	v_pk_mul_f32 v[136:137], v[132:133], v[124:125] op_sel:[0,1]
	v_pk_fma_f32 v[138:139], v[132:133], v[122:123], v[136:137] op_sel:[0,0,1] op_sel_hi:[1,1,0] neg_lo:[0,0,1] neg_hi:[0,0,1]
	v_pk_fma_f32 v[132:133], v[132:133], v[122:123], v[136:137] op_sel:[0,0,1] op_sel_hi:[1,0,0]
	v_dual_mul_f32 v136, v135, v125 :: v_dual_mov_b32 v132, v135
	s_delay_alu instid0(VALU_DEP_2) | instskip(NEXT) | instid1(VALU_DEP_2)
	v_dual_mov_b32 v139, v133 :: v_dual_mov_b32 v133, v134
	v_pk_fma_f32 v[136:137], v[134:135], v[70:71], v[136:137] op_sel_hi:[1,1,0] neg_lo:[0,0,1] neg_hi:[0,0,1]
	v_mul_f32_e32 v134, v135, v122
	s_delay_alu instid0(VALU_DEP_3) | instskip(NEXT) | instid1(VALU_DEP_2)
	v_pk_add_f32 v[48:49], v[48:49], v[138:139] neg_lo:[0,1] neg_hi:[0,1]
	v_pk_fma_f32 v[132:133], v[132:133], v[70:71], v[134:135] op_sel_hi:[1,1,0]
	s_delay_alu instid0(VALU_DEP_1) | instskip(SKIP_4) | instid1(VALU_DEP_1)
	v_mov_b32_e32 v137, v133
	ds_load_2addr_b64 v[132:135], v126 offset0:32 offset1:33
	v_pk_add_f32 v[44:45], v[44:45], v[136:137] neg_lo:[0,1] neg_hi:[0,1]
	s_wait_dscnt 0x0
	v_pk_mul_f32 v[136:137], v[132:133], v[124:125] op_sel:[0,1]
	v_pk_fma_f32 v[138:139], v[132:133], v[122:123], v[136:137] op_sel:[0,0,1] op_sel_hi:[1,1,0] neg_lo:[0,0,1] neg_hi:[0,0,1]
	v_pk_fma_f32 v[132:133], v[132:133], v[122:123], v[136:137] op_sel:[0,0,1] op_sel_hi:[1,0,0]
	s_delay_alu instid0(VALU_DEP_1) | instskip(SKIP_1) | instid1(VALU_DEP_1)
	v_mov_b32_e32 v139, v133
	v_pk_mul_f32 v[132:133], v[134:135], v[124:125] op_sel:[0,1]
	v_pk_fma_f32 v[136:137], v[134:135], v[122:123], v[132:133] op_sel:[0,0,1] op_sel_hi:[1,1,0] neg_lo:[0,0,1] neg_hi:[0,0,1]
	v_pk_fma_f32 v[132:133], v[134:135], v[122:123], v[132:133] op_sel:[0,0,1] op_sel_hi:[1,0,0]
	s_delay_alu instid0(VALU_DEP_1)
	v_mov_b32_e32 v137, v133
	ds_load_2addr_b64 v[132:135], v126 offset0:34 offset1:35
	v_pk_add_f32 v[94:95], v[94:95], v[138:139] neg_lo:[0,1] neg_hi:[0,1]
	v_pk_add_f32 v[38:39], v[38:39], v[136:137] neg_lo:[0,1] neg_hi:[0,1]
	s_wait_dscnt 0x0
	v_pk_mul_f32 v[136:137], v[132:133], v[124:125] op_sel:[0,1]
	s_delay_alu instid0(VALU_DEP_1) | instskip(SKIP_1) | instid1(VALU_DEP_1)
	v_pk_fma_f32 v[138:139], v[132:133], v[122:123], v[136:137] op_sel:[0,0,1] op_sel_hi:[1,1,0] neg_lo:[0,0,1] neg_hi:[0,0,1]
	v_pk_fma_f32 v[132:133], v[132:133], v[122:123], v[136:137] op_sel:[0,0,1] op_sel_hi:[1,0,0]
	v_mov_b32_e32 v139, v133
	v_pk_mul_f32 v[132:133], v[134:135], v[124:125] op_sel:[0,1]
	s_delay_alu instid0(VALU_DEP_1) | instskip(SKIP_1) | instid1(VALU_DEP_1)
	v_pk_fma_f32 v[136:137], v[134:135], v[122:123], v[132:133] op_sel:[0,0,1] op_sel_hi:[1,1,0] neg_lo:[0,0,1] neg_hi:[0,0,1]
	v_pk_fma_f32 v[132:133], v[134:135], v[122:123], v[132:133] op_sel:[0,0,1] op_sel_hi:[1,0,0]
	v_mov_b32_e32 v137, v133
	ds_load_2addr_b64 v[132:135], v126 offset0:36 offset1:37
	v_pk_add_f32 v[40:41], v[40:41], v[138:139] neg_lo:[0,1] neg_hi:[0,1]
	v_pk_add_f32 v[36:37], v[36:37], v[136:137] neg_lo:[0,1] neg_hi:[0,1]
	s_wait_dscnt 0x0
	v_dual_mul_f32 v136, v133, v125 :: v_dual_mul_f32 v138, v133, v122
	s_delay_alu instid0(VALU_DEP_1) | instskip(NEXT) | instid1(VALU_DEP_2)
	v_pk_fma_f32 v[136:137], v[132:133], v[70:71], v[136:137] op_sel_hi:[1,1,0] neg_lo:[0,0,1] neg_hi:[0,0,1]
	v_pk_fma_f32 v[132:133], v[132:133], v[70:71], v[138:139] op_sel:[1,0,0] op_sel_hi:[0,1,0]
	s_delay_alu instid0(VALU_DEP_1) | instskip(SKIP_1) | instid1(VALU_DEP_2)
	v_mov_b32_e32 v137, v133
	v_pk_mul_f32 v[132:133], v[134:135], v[124:125] op_sel:[0,1]
	v_pk_add_f32 v[92:93], v[92:93], v[136:137] neg_lo:[0,1] neg_hi:[0,1]
	s_delay_alu instid0(VALU_DEP_2) | instskip(SKIP_1) | instid1(VALU_DEP_1)
	v_pk_fma_f32 v[136:137], v[134:135], v[122:123], v[132:133] op_sel:[0,0,1] op_sel_hi:[1,1,0] neg_lo:[0,0,1] neg_hi:[0,0,1]
	v_pk_fma_f32 v[132:133], v[134:135], v[122:123], v[132:133] op_sel:[0,0,1] op_sel_hi:[1,0,0]
	v_mov_b32_e32 v137, v133
	ds_load_2addr_b64 v[132:135], v126 offset0:38 offset1:39
	v_pk_add_f32 v[32:33], v[32:33], v[136:137] neg_lo:[0,1] neg_hi:[0,1]
	s_wait_dscnt 0x0
	v_pk_mul_f32 v[136:137], v[132:133], v[124:125] op_sel:[0,1]
	s_delay_alu instid0(VALU_DEP_1) | instskip(SKIP_1) | instid1(VALU_DEP_1)
	v_pk_fma_f32 v[138:139], v[132:133], v[122:123], v[136:137] op_sel:[0,0,1] op_sel_hi:[1,1,0] neg_lo:[0,0,1] neg_hi:[0,0,1]
	v_pk_fma_f32 v[132:133], v[132:133], v[122:123], v[136:137] op_sel:[0,0,1] op_sel_hi:[1,0,0]
	v_mov_b32_e32 v139, v133
	v_pk_mul_f32 v[132:133], v[134:135], v[124:125] op_sel:[0,1]
	s_delay_alu instid0(VALU_DEP_2) | instskip(NEXT) | instid1(VALU_DEP_2)
	v_pk_add_f32 v[34:35], v[34:35], v[138:139] neg_lo:[0,1] neg_hi:[0,1]
	v_pk_fma_f32 v[136:137], v[134:135], v[122:123], v[132:133] op_sel:[0,0,1] op_sel_hi:[1,1,0] neg_lo:[0,0,1] neg_hi:[0,0,1]
	v_pk_fma_f32 v[132:133], v[134:135], v[122:123], v[132:133] op_sel:[0,0,1] op_sel_hi:[1,0,0]
	s_delay_alu instid0(VALU_DEP_1) | instskip(SKIP_4) | instid1(VALU_DEP_1)
	v_mov_b32_e32 v137, v133
	ds_load_2addr_b64 v[132:135], v126 offset0:40 offset1:41
	v_pk_add_f32 v[30:31], v[30:31], v[136:137] neg_lo:[0,1] neg_hi:[0,1]
	s_wait_dscnt 0x0
	v_pk_mul_f32 v[136:137], v[132:133], v[124:125] op_sel:[0,1]
	v_pk_fma_f32 v[138:139], v[132:133], v[122:123], v[136:137] op_sel:[0,0,1] op_sel_hi:[1,1,0] neg_lo:[0,0,1] neg_hi:[0,0,1]
	v_pk_fma_f32 v[132:133], v[132:133], v[122:123], v[136:137] op_sel:[0,0,1] op_sel_hi:[1,0,0]
	v_dual_mul_f32 v136, v135, v125 :: v_dual_mov_b32 v132, v135
	s_delay_alu instid0(VALU_DEP_2) | instskip(NEXT) | instid1(VALU_DEP_2)
	v_dual_mov_b32 v139, v133 :: v_dual_mov_b32 v133, v134
	v_pk_fma_f32 v[136:137], v[134:135], v[70:71], v[136:137] op_sel_hi:[1,1,0] neg_lo:[0,0,1] neg_hi:[0,0,1]
	v_mul_f32_e32 v134, v135, v122
	s_delay_alu instid0(VALU_DEP_3) | instskip(NEXT) | instid1(VALU_DEP_2)
	v_pk_add_f32 v[90:91], v[90:91], v[138:139] neg_lo:[0,1] neg_hi:[0,1]
	v_pk_fma_f32 v[132:133], v[132:133], v[70:71], v[134:135] op_sel_hi:[1,1,0]
	s_delay_alu instid0(VALU_DEP_1) | instskip(SKIP_4) | instid1(VALU_DEP_1)
	v_mov_b32_e32 v137, v133
	ds_load_2addr_b64 v[132:135], v126 offset0:42 offset1:43
	v_pk_add_f32 v[24:25], v[24:25], v[136:137] neg_lo:[0,1] neg_hi:[0,1]
	s_wait_dscnt 0x0
	v_pk_mul_f32 v[136:137], v[132:133], v[124:125] op_sel:[0,1]
	v_pk_fma_f32 v[138:139], v[132:133], v[122:123], v[136:137] op_sel:[0,0,1] op_sel_hi:[1,1,0] neg_lo:[0,0,1] neg_hi:[0,0,1]
	v_pk_fma_f32 v[132:133], v[132:133], v[122:123], v[136:137] op_sel:[0,0,1] op_sel_hi:[1,0,0]
	s_delay_alu instid0(VALU_DEP_1) | instskip(SKIP_1) | instid1(VALU_DEP_1)
	v_mov_b32_e32 v139, v133
	v_pk_mul_f32 v[132:133], v[134:135], v[124:125] op_sel:[0,1]
	v_pk_fma_f32 v[136:137], v[134:135], v[122:123], v[132:133] op_sel:[0,0,1] op_sel_hi:[1,1,0] neg_lo:[0,0,1] neg_hi:[0,0,1]
	v_pk_fma_f32 v[132:133], v[134:135], v[122:123], v[132:133] op_sel:[0,0,1] op_sel_hi:[1,0,0]
	s_delay_alu instid0(VALU_DEP_1)
	v_mov_b32_e32 v137, v133
	ds_load_2addr_b64 v[132:135], v126 offset0:44 offset1:45
	v_pk_add_f32 v[26:27], v[26:27], v[138:139] neg_lo:[0,1] neg_hi:[0,1]
	v_pk_add_f32 v[22:23], v[22:23], v[136:137] neg_lo:[0,1] neg_hi:[0,1]
	s_wait_dscnt 0x0
	v_pk_mul_f32 v[136:137], v[132:133], v[124:125] op_sel:[0,1]
	s_delay_alu instid0(VALU_DEP_1) | instskip(SKIP_1) | instid1(VALU_DEP_1)
	v_pk_fma_f32 v[138:139], v[132:133], v[122:123], v[136:137] op_sel:[0,0,1] op_sel_hi:[1,1,0] neg_lo:[0,0,1] neg_hi:[0,0,1]
	v_pk_fma_f32 v[132:133], v[132:133], v[122:123], v[136:137] op_sel:[0,0,1] op_sel_hi:[1,0,0]
	v_mov_b32_e32 v139, v133
	v_pk_mul_f32 v[132:133], v[134:135], v[124:125] op_sel:[0,1]
	s_delay_alu instid0(VALU_DEP_1) | instskip(SKIP_1) | instid1(VALU_DEP_1)
	v_pk_fma_f32 v[136:137], v[134:135], v[122:123], v[132:133] op_sel:[0,0,1] op_sel_hi:[1,1,0] neg_lo:[0,0,1] neg_hi:[0,0,1]
	v_pk_fma_f32 v[132:133], v[134:135], v[122:123], v[132:133] op_sel:[0,0,1] op_sel_hi:[1,0,0]
	v_mov_b32_e32 v137, v133
	ds_load_2addr_b64 v[132:135], v126 offset0:46 offset1:47
	v_pk_add_f32 v[88:89], v[88:89], v[138:139] neg_lo:[0,1] neg_hi:[0,1]
	v_pk_add_f32 v[18:19], v[18:19], v[136:137] neg_lo:[0,1] neg_hi:[0,1]
	s_wait_dscnt 0x0
	v_dual_mul_f32 v136, v133, v125 :: v_dual_mul_f32 v138, v133, v122
	s_delay_alu instid0(VALU_DEP_1) | instskip(NEXT) | instid1(VALU_DEP_2)
	v_pk_fma_f32 v[136:137], v[132:133], v[70:71], v[136:137] op_sel_hi:[1,1,0] neg_lo:[0,0,1] neg_hi:[0,0,1]
	v_pk_fma_f32 v[132:133], v[132:133], v[70:71], v[138:139] op_sel:[1,0,0] op_sel_hi:[0,1,0]
	s_delay_alu instid0(VALU_DEP_1) | instskip(SKIP_1) | instid1(VALU_DEP_2)
	v_mov_b32_e32 v137, v133
	v_pk_mul_f32 v[132:133], v[134:135], v[124:125] op_sel:[0,1]
	v_pk_add_f32 v[20:21], v[20:21], v[136:137] neg_lo:[0,1] neg_hi:[0,1]
	s_delay_alu instid0(VALU_DEP_2) | instskip(SKIP_1) | instid1(VALU_DEP_1)
	v_pk_fma_f32 v[136:137], v[134:135], v[122:123], v[132:133] op_sel:[0,0,1] op_sel_hi:[1,1,0] neg_lo:[0,0,1] neg_hi:[0,0,1]
	v_pk_fma_f32 v[132:133], v[134:135], v[122:123], v[132:133] op_sel:[0,0,1] op_sel_hi:[1,0,0]
	v_mov_b32_e32 v137, v133
	ds_load_2addr_b64 v[132:135], v126 offset0:48 offset1:49
	v_pk_add_f32 v[16:17], v[16:17], v[136:137] neg_lo:[0,1] neg_hi:[0,1]
	s_wait_dscnt 0x0
	v_pk_mul_f32 v[136:137], v[132:133], v[124:125] op_sel:[0,1]
	s_delay_alu instid0(VALU_DEP_1) | instskip(SKIP_1) | instid1(VALU_DEP_1)
	v_pk_fma_f32 v[138:139], v[132:133], v[122:123], v[136:137] op_sel:[0,0,1] op_sel_hi:[1,1,0] neg_lo:[0,0,1] neg_hi:[0,0,1]
	v_pk_fma_f32 v[132:133], v[132:133], v[122:123], v[136:137] op_sel:[0,0,1] op_sel_hi:[1,0,0]
	v_mov_b32_e32 v139, v133
	v_pk_mul_f32 v[132:133], v[134:135], v[124:125] op_sel:[0,1]
	s_delay_alu instid0(VALU_DEP_2) | instskip(NEXT) | instid1(VALU_DEP_2)
	v_pk_add_f32 v[84:85], v[84:85], v[138:139] neg_lo:[0,1] neg_hi:[0,1]
	v_pk_fma_f32 v[136:137], v[134:135], v[122:123], v[132:133] op_sel:[0,0,1] op_sel_hi:[1,1,0] neg_lo:[0,0,1] neg_hi:[0,0,1]
	v_pk_fma_f32 v[132:133], v[134:135], v[122:123], v[132:133] op_sel:[0,0,1] op_sel_hi:[1,0,0]
	s_delay_alu instid0(VALU_DEP_1) | instskip(SKIP_4) | instid1(VALU_DEP_1)
	v_mov_b32_e32 v137, v133
	ds_load_2addr_b64 v[132:135], v126 offset0:50 offset1:51
	v_pk_add_f32 v[10:11], v[10:11], v[136:137] neg_lo:[0,1] neg_hi:[0,1]
	s_wait_dscnt 0x0
	v_pk_mul_f32 v[136:137], v[132:133], v[124:125] op_sel:[0,1]
	v_pk_fma_f32 v[138:139], v[132:133], v[122:123], v[136:137] op_sel:[0,0,1] op_sel_hi:[1,1,0] neg_lo:[0,0,1] neg_hi:[0,0,1]
	v_pk_fma_f32 v[132:133], v[132:133], v[122:123], v[136:137] op_sel:[0,0,1] op_sel_hi:[1,0,0]
	v_dual_mul_f32 v136, v135, v125 :: v_dual_mov_b32 v132, v135
	s_delay_alu instid0(VALU_DEP_2) | instskip(NEXT) | instid1(VALU_DEP_2)
	v_dual_mov_b32 v139, v133 :: v_dual_mov_b32 v133, v134
	v_pk_fma_f32 v[136:137], v[134:135], v[70:71], v[136:137] op_sel_hi:[1,1,0] neg_lo:[0,0,1] neg_hi:[0,0,1]
	v_mul_f32_e32 v134, v135, v122
	s_delay_alu instid0(VALU_DEP_3) | instskip(NEXT) | instid1(VALU_DEP_2)
	v_pk_add_f32 v[12:13], v[12:13], v[138:139] neg_lo:[0,1] neg_hi:[0,1]
	v_pk_fma_f32 v[132:133], v[132:133], v[70:71], v[134:135] op_sel_hi:[1,1,0]
	s_delay_alu instid0(VALU_DEP_1) | instskip(SKIP_4) | instid1(VALU_DEP_1)
	v_mov_b32_e32 v137, v133
	ds_load_2addr_b64 v[132:135], v126 offset0:52 offset1:53
	v_pk_add_f32 v[8:9], v[8:9], v[136:137] neg_lo:[0,1] neg_hi:[0,1]
	s_wait_dscnt 0x0
	v_pk_mul_f32 v[136:137], v[132:133], v[124:125] op_sel:[0,1]
	v_pk_fma_f32 v[138:139], v[132:133], v[122:123], v[136:137] op_sel:[0,0,1] op_sel_hi:[1,1,0] neg_lo:[0,0,1] neg_hi:[0,0,1]
	v_pk_fma_f32 v[132:133], v[132:133], v[122:123], v[136:137] op_sel:[0,0,1] op_sel_hi:[1,0,0]
	s_delay_alu instid0(VALU_DEP_1) | instskip(SKIP_1) | instid1(VALU_DEP_1)
	v_mov_b32_e32 v139, v133
	v_pk_mul_f32 v[132:133], v[134:135], v[124:125] op_sel:[0,1]
	v_pk_fma_f32 v[136:137], v[134:135], v[122:123], v[132:133] op_sel:[0,0,1] op_sel_hi:[1,1,0] neg_lo:[0,0,1] neg_hi:[0,0,1]
	v_pk_fma_f32 v[132:133], v[134:135], v[122:123], v[132:133] op_sel:[0,0,1] op_sel_hi:[1,0,0]
	s_delay_alu instid0(VALU_DEP_1)
	v_mov_b32_e32 v137, v133
	ds_load_2addr_b64 v[132:135], v126 offset0:54 offset1:55
	v_pk_add_f32 v[60:61], v[60:61], v[138:139] neg_lo:[0,1] neg_hi:[0,1]
	v_pk_add_f32 v[6:7], v[6:7], v[136:137] neg_lo:[0,1] neg_hi:[0,1]
	s_wait_dscnt 0x0
	v_pk_mul_f32 v[136:137], v[132:133], v[124:125] op_sel:[0,1]
	s_delay_alu instid0(VALU_DEP_1) | instskip(SKIP_1) | instid1(VALU_DEP_1)
	v_pk_fma_f32 v[138:139], v[132:133], v[122:123], v[136:137] op_sel:[0,0,1] op_sel_hi:[1,1,0] neg_lo:[0,0,1] neg_hi:[0,0,1]
	v_pk_fma_f32 v[132:133], v[132:133], v[122:123], v[136:137] op_sel:[0,0,1] op_sel_hi:[1,0,0]
	v_mov_b32_e32 v139, v133
	v_pk_mul_f32 v[132:133], v[134:135], v[124:125] op_sel:[0,1]
	s_delay_alu instid0(VALU_DEP_1) | instskip(SKIP_1) | instid1(VALU_DEP_1)
	v_pk_fma_f32 v[136:137], v[134:135], v[122:123], v[132:133] op_sel:[0,0,1] op_sel_hi:[1,1,0] neg_lo:[0,0,1] neg_hi:[0,0,1]
	v_pk_fma_f32 v[132:133], v[134:135], v[122:123], v[132:133] op_sel:[0,0,1] op_sel_hi:[1,0,0]
	v_mov_b32_e32 v137, v133
	ds_load_2addr_b64 v[132:135], v126 offset0:56 offset1:57
	v_pk_add_f32 v[42:43], v[42:43], v[138:139] neg_lo:[0,1] neg_hi:[0,1]
	v_pk_add_f32 v[28:29], v[28:29], v[136:137] neg_lo:[0,1] neg_hi:[0,1]
	s_wait_dscnt 0x0
	v_dual_mul_f32 v136, v133, v125 :: v_dual_mul_f32 v138, v133, v122
	v_pk_mul_f32 v[124:125], v[134:135], v[124:125] op_sel:[0,1]
	s_delay_alu instid0(VALU_DEP_2) | instskip(NEXT) | instid1(VALU_DEP_3)
	v_pk_fma_f32 v[136:137], v[132:133], v[70:71], v[136:137] op_sel_hi:[1,1,0] neg_lo:[0,0,1] neg_hi:[0,0,1]
	v_pk_fma_f32 v[132:133], v[132:133], v[70:71], v[138:139] op_sel:[1,0,0] op_sel_hi:[0,1,0]
	s_delay_alu instid0(VALU_DEP_1) | instskip(NEXT) | instid1(VALU_DEP_4)
	v_mov_b32_e32 v137, v133
	v_pk_fma_f32 v[132:133], v[134:135], v[122:123], v[124:125] op_sel:[0,0,1] op_sel_hi:[1,1,0] neg_lo:[0,0,1] neg_hi:[0,0,1]
	v_pk_fma_f32 v[122:123], v[134:135], v[122:123], v[124:125] op_sel:[0,0,1] op_sel_hi:[1,0,0]
	s_delay_alu instid0(VALU_DEP_1) | instskip(NEXT) | instid1(VALU_DEP_4)
	v_mov_b32_e32 v133, v123
	v_pk_add_f32 v[14:15], v[14:15], v[136:137] neg_lo:[0,1] neg_hi:[0,1]
	s_delay_alu instid0(VALU_DEP_2)
	v_pk_add_f32 v[120:121], v[120:121], v[132:133] neg_lo:[0,1] neg_hi:[0,1]
.LBB114_167:
	s_or_b32 exec_lo, exec_lo, s0
	v_lshl_add_u32 v122, v130, 3, v126
	s_barrier_signal -1
	s_barrier_wait -1
	ds_store_b64 v122, v[108:109]
	s_wait_dscnt 0x0
	s_barrier_signal -1
	s_barrier_wait -1
	ds_load_b64 v[124:125], v126 offset:64
	v_mov_b32_e32 v122, 8
	s_cmp_lt_i32 s18, 10
	s_cbranch_scc1 .LBB114_170
; %bb.168:
	v_add3_u32 v123, v127, 0, 0x48
	v_mov_b32_e32 v122, 8
	s_mov_b32 s0, 9
.LBB114_169:                            ; =>This Inner Loop Header: Depth=1
	ds_load_b64 v[132:133], v123
	s_wait_dscnt 0x1
	v_cmp_gt_f32_e32 vcc_lo, 0, v124
	v_cndmask_b32_e64 v134, v124, -v124, vcc_lo
	v_cmp_gt_f32_e32 vcc_lo, 0, v125
	v_cndmask_b32_e64 v136, v125, -v125, vcc_lo
	s_wait_dscnt 0x0
	v_cmp_gt_f32_e32 vcc_lo, 0, v132
	v_cndmask_b32_e64 v135, v132, -v132, vcc_lo
	v_cmp_gt_f32_e32 vcc_lo, 0, v133
	v_cndmask_b32_e64 v137, v133, -v133, vcc_lo
	s_delay_alu instid0(VALU_DEP_1) | instskip(NEXT) | instid1(VALU_DEP_1)
	v_pk_add_f32 v[134:135], v[134:135], v[136:137]
	v_cmp_lt_f32_e32 vcc_lo, v134, v135
	v_dual_add_nc_u32 v123, 8, v123 :: v_dual_cndmask_b32 v125, v125, v133, vcc_lo
	v_cndmask_b32_e32 v124, v124, v132, vcc_lo
	v_cndmask_b32_e64 v122, v122, s0, vcc_lo
	s_add_co_i32 s0, s0, 1
	s_delay_alu instid0(SALU_CYCLE_1)
	s_cmp_lg_u32 s18, s0
	s_cbranch_scc1 .LBB114_169
.LBB114_170:
	s_wait_dscnt 0x0
	v_cmp_eq_f32_e32 vcc_lo, 0, v124
	v_cmp_eq_f32_e64 s0, 0, v125
	s_and_b32 s0, vcc_lo, s0
	s_delay_alu instid0(SALU_CYCLE_1) | instskip(NEXT) | instid1(SALU_CYCLE_1)
	s_and_saveexec_b32 s1, s0
	s_xor_b32 s0, exec_lo, s1
; %bb.171:
	v_cmp_ne_u32_e32 vcc_lo, 0, v128
	v_cndmask_b32_e32 v128, 9, v128, vcc_lo
; %bb.172:
	s_and_not1_saveexec_b32 s0, s0
	s_cbranch_execz .LBB114_178
; %bb.173:
	v_cmp_ngt_f32_e64 s1, |v124|, |v125|
	s_and_saveexec_b32 s12, s1
	s_delay_alu instid0(SALU_CYCLE_1)
	s_xor_b32 s1, exec_lo, s12
	s_cbranch_execz .LBB114_175
; %bb.174:
	v_div_scale_f32 v123, null, v125, v125, v124
	v_div_scale_f32 v133, vcc_lo, v124, v125, v124
	s_delay_alu instid0(VALU_DEP_2) | instskip(SKIP_1) | instid1(TRANS32_DEP_1)
	v_rcp_f32_e32 v131, v123
	v_nop
	v_fma_f32 v132, -v123, v131, 1.0
	s_delay_alu instid0(VALU_DEP_1) | instskip(NEXT) | instid1(VALU_DEP_1)
	v_fmac_f32_e32 v131, v132, v131
	v_mul_f32_e32 v132, v133, v131
	s_delay_alu instid0(VALU_DEP_1) | instskip(NEXT) | instid1(VALU_DEP_1)
	v_fma_f32 v134, -v123, v132, v133
	v_fmac_f32_e32 v132, v134, v131
	s_delay_alu instid0(VALU_DEP_1) | instskip(NEXT) | instid1(VALU_DEP_1)
	v_fma_f32 v123, -v123, v132, v133
	v_div_fmas_f32 v123, v123, v131, v132
	s_delay_alu instid0(VALU_DEP_1) | instskip(NEXT) | instid1(VALU_DEP_1)
	v_div_fixup_f32 v123, v123, v125, v124
	v_fmac_f32_e32 v125, v124, v123
	s_delay_alu instid0(VALU_DEP_1) | instskip(SKIP_1) | instid1(VALU_DEP_2)
	v_div_scale_f32 v124, null, v125, v125, 1.0
	v_div_scale_f32 v133, vcc_lo, 1.0, v125, 1.0
	v_rcp_f32_e32 v131, v124
	v_nop
	s_delay_alu instid0(TRANS32_DEP_1) | instskip(NEXT) | instid1(VALU_DEP_1)
	v_fma_f32 v132, -v124, v131, 1.0
	v_fmac_f32_e32 v131, v132, v131
	s_delay_alu instid0(VALU_DEP_1) | instskip(NEXT) | instid1(VALU_DEP_1)
	v_mul_f32_e32 v132, v133, v131
	v_fma_f32 v134, -v124, v132, v133
	s_delay_alu instid0(VALU_DEP_1) | instskip(NEXT) | instid1(VALU_DEP_1)
	v_fmac_f32_e32 v132, v134, v131
	v_fma_f32 v124, -v124, v132, v133
	s_delay_alu instid0(VALU_DEP_1) | instskip(NEXT) | instid1(VALU_DEP_1)
	v_div_fmas_f32 v124, v124, v131, v132
	v_div_fixup_f32 v125, v124, v125, 1.0
	s_delay_alu instid0(VALU_DEP_1)
	v_mul_f32_e32 v124, v123, v125
	v_xor_b32_e32 v125, 0x80000000, v125
.LBB114_175:
	s_and_not1_saveexec_b32 s1, s1
	s_cbranch_execz .LBB114_177
; %bb.176:
	s_delay_alu instid0(VALU_DEP_1) | instskip(SKIP_1) | instid1(VALU_DEP_2)
	v_div_scale_f32 v123, null, v124, v124, v125
	v_div_scale_f32 v133, vcc_lo, v125, v124, v125
	v_rcp_f32_e32 v131, v123
	v_nop
	s_delay_alu instid0(TRANS32_DEP_1) | instskip(NEXT) | instid1(VALU_DEP_1)
	v_fma_f32 v132, -v123, v131, 1.0
	v_fmac_f32_e32 v131, v132, v131
	s_delay_alu instid0(VALU_DEP_1) | instskip(NEXT) | instid1(VALU_DEP_1)
	v_mul_f32_e32 v132, v133, v131
	v_fma_f32 v134, -v123, v132, v133
	s_delay_alu instid0(VALU_DEP_1) | instskip(NEXT) | instid1(VALU_DEP_1)
	v_fmac_f32_e32 v132, v134, v131
	v_fma_f32 v123, -v123, v132, v133
	s_delay_alu instid0(VALU_DEP_1) | instskip(NEXT) | instid1(VALU_DEP_1)
	v_div_fmas_f32 v123, v123, v131, v132
	v_div_fixup_f32 v123, v123, v124, v125
	s_delay_alu instid0(VALU_DEP_1) | instskip(NEXT) | instid1(VALU_DEP_1)
	v_fmac_f32_e32 v124, v125, v123
	v_div_scale_f32 v125, null, v124, v124, 1.0
	s_delay_alu instid0(VALU_DEP_1) | instskip(SKIP_1) | instid1(TRANS32_DEP_1)
	v_rcp_f32_e32 v131, v125
	v_nop
	v_fma_f32 v132, -v125, v131, 1.0
	s_delay_alu instid0(VALU_DEP_1) | instskip(SKIP_1) | instid1(VALU_DEP_1)
	v_fmac_f32_e32 v131, v132, v131
	v_div_scale_f32 v132, vcc_lo, 1.0, v124, 1.0
	v_mul_f32_e32 v133, v132, v131
	s_delay_alu instid0(VALU_DEP_1) | instskip(NEXT) | instid1(VALU_DEP_1)
	v_fma_f32 v134, -v125, v133, v132
	v_fmac_f32_e32 v133, v134, v131
	s_delay_alu instid0(VALU_DEP_1) | instskip(NEXT) | instid1(VALU_DEP_1)
	v_fma_f32 v125, -v125, v133, v132
	v_div_fmas_f32 v125, v125, v131, v133
	s_delay_alu instid0(VALU_DEP_1) | instskip(NEXT) | instid1(VALU_DEP_1)
	v_div_fixup_f32 v124, v125, v124, 1.0
	v_mul_f32_e64 v125, v123, -v124
.LBB114_177:
	s_or_b32 exec_lo, exec_lo, s1
.LBB114_178:
	s_delay_alu instid0(SALU_CYCLE_1) | instskip(NEXT) | instid1(SALU_CYCLE_1)
	s_or_b32 exec_lo, exec_lo, s0
	s_mov_b32 s0, exec_lo
	v_cmpx_ne_u32_e64 v130, v122
	s_xor_b32 s0, exec_lo, s0
	s_cbranch_execz .LBB114_184
; %bb.179:
	s_mov_b32 s1, exec_lo
	v_cmpx_eq_u32_e32 8, v130
	s_cbranch_execz .LBB114_183
; %bb.180:
	v_cmp_ne_u32_e32 vcc_lo, 8, v122
	s_xor_b32 s12, s16, -1
	s_delay_alu instid0(SALU_CYCLE_1) | instskip(NEXT) | instid1(SALU_CYCLE_1)
	s_and_b32 s13, s12, vcc_lo
	s_and_saveexec_b32 s12, s13
	s_cbranch_execz .LBB114_182
; %bb.181:
	v_ashrrev_i32_e32 v123, 31, v122
	s_delay_alu instid0(VALU_DEP_1)
	v_lshl_add_u64 v[130:131], v[122:123], 2, v[4:5]
	s_clause 0x1
	global_load_b32 v123, v[130:131], off
	global_load_b32 v129, v[4:5], off offset:32
	s_wait_loadcnt 0x1
	global_store_b32 v[4:5], v123, off offset:32
	s_wait_loadcnt 0x0
	global_store_b32 v[130:131], v129, off
.LBB114_182:
	s_wait_xcnt 0x0
	s_or_b32 exec_lo, exec_lo, s12
	v_dual_mov_b32 v130, v122 :: v_dual_mov_b32 v129, v122
.LBB114_183:
	s_or_b32 exec_lo, exec_lo, s1
.LBB114_184:
	s_and_not1_saveexec_b32 s0, s0
	s_cbranch_execz .LBB114_186
; %bb.185:
	v_mov_b32_e32 v130, 8
	ds_store_2addr_b64 v126, v[80:81], v[82:83] offset0:9 offset1:10
	ds_store_2addr_b64 v126, v[78:79], v[106:107] offset0:11 offset1:12
	;; [unrolled: 1-line block ×24, first 2 shown]
	ds_store_b64 v126, v[120:121] offset:456
.LBB114_186:
	s_or_b32 exec_lo, exec_lo, s0
	s_delay_alu instid0(SALU_CYCLE_1)
	s_mov_b32 s0, exec_lo
	s_wait_storecnt_dscnt 0x0
	s_barrier_signal -1
	s_barrier_wait -1
	v_cmpx_lt_i32_e32 8, v130
	s_cbranch_execz .LBB114_188
; %bb.187:
	v_pk_mul_f32 v[132:133], v[124:125], v[108:109] op_sel:[1,1] op_sel_hi:[0,1]
	s_delay_alu instid0(VALU_DEP_1)
	v_pk_fma_f32 v[122:123], v[124:125], v[108:109], v[132:133] op_sel_hi:[1,0,1] neg_lo:[0,0,1] neg_hi:[0,0,1]
	v_pk_fma_f32 v[124:125], v[124:125], v[108:109], v[132:133] op_sel_hi:[1,0,1]
	ds_load_2addr_b64 v[132:135], v126 offset0:9 offset1:10
	v_dual_mov_b32 v108, v122 :: v_dual_mov_b32 v109, v125
	s_wait_dscnt 0x0
	v_pk_mul_f32 v[136:137], v[132:133], v[124:125] op_sel:[0,1]
	s_delay_alu instid0(VALU_DEP_1) | instskip(SKIP_1) | instid1(VALU_DEP_1)
	v_pk_fma_f32 v[138:139], v[132:133], v[122:123], v[136:137] op_sel:[0,0,1] op_sel_hi:[1,1,0] neg_lo:[0,0,1] neg_hi:[0,0,1]
	v_pk_fma_f32 v[132:133], v[132:133], v[122:123], v[136:137] op_sel:[0,0,1] op_sel_hi:[1,0,0]
	v_mov_b32_e32 v139, v133
	v_pk_mul_f32 v[132:133], v[134:135], v[124:125] op_sel:[0,1]
	s_delay_alu instid0(VALU_DEP_1) | instskip(SKIP_1) | instid1(VALU_DEP_1)
	v_pk_fma_f32 v[136:137], v[134:135], v[122:123], v[132:133] op_sel:[0,0,1] op_sel_hi:[1,1,0] neg_lo:[0,0,1] neg_hi:[0,0,1]
	v_pk_fma_f32 v[132:133], v[134:135], v[122:123], v[132:133] op_sel:[0,0,1] op_sel_hi:[1,0,0]
	v_mov_b32_e32 v137, v133
	ds_load_2addr_b64 v[132:135], v126 offset0:11 offset1:12
	v_pk_add_f32 v[80:81], v[80:81], v[138:139] neg_lo:[0,1] neg_hi:[0,1]
	v_pk_add_f32 v[82:83], v[82:83], v[136:137] neg_lo:[0,1] neg_hi:[0,1]
	s_wait_dscnt 0x0
	v_pk_mul_f32 v[136:137], v[132:133], v[124:125] op_sel:[0,1]
	s_delay_alu instid0(VALU_DEP_1) | instskip(SKIP_2) | instid1(VALU_DEP_2)
	v_pk_fma_f32 v[138:139], v[132:133], v[122:123], v[136:137] op_sel:[0,0,1] op_sel_hi:[1,1,0] neg_lo:[0,0,1] neg_hi:[0,0,1]
	v_pk_fma_f32 v[132:133], v[132:133], v[122:123], v[136:137] op_sel:[0,0,1] op_sel_hi:[1,0,0]
	v_dual_mul_f32 v136, v135, v125 :: v_dual_mov_b32 v132, v135
	v_dual_mov_b32 v139, v133 :: v_dual_mov_b32 v133, v134
	s_delay_alu instid0(VALU_DEP_2) | instskip(SKIP_1) | instid1(VALU_DEP_3)
	v_pk_fma_f32 v[136:137], v[134:135], v[108:109], v[136:137] op_sel_hi:[1,1,0] neg_lo:[0,0,1] neg_hi:[0,0,1]
	v_mul_f32_e32 v134, v135, v122
	v_pk_add_f32 v[78:79], v[78:79], v[138:139] neg_lo:[0,1] neg_hi:[0,1]
	s_delay_alu instid0(VALU_DEP_2) | instskip(NEXT) | instid1(VALU_DEP_1)
	v_pk_fma_f32 v[132:133], v[132:133], v[108:109], v[134:135] op_sel_hi:[1,1,0]
	v_mov_b32_e32 v137, v133
	ds_load_2addr_b64 v[132:135], v126 offset0:13 offset1:14
	v_pk_add_f32 v[106:107], v[106:107], v[136:137] neg_lo:[0,1] neg_hi:[0,1]
	s_wait_dscnt 0x0
	v_pk_mul_f32 v[136:137], v[132:133], v[124:125] op_sel:[0,1]
	s_delay_alu instid0(VALU_DEP_1) | instskip(SKIP_1) | instid1(VALU_DEP_1)
	v_pk_fma_f32 v[138:139], v[132:133], v[122:123], v[136:137] op_sel:[0,0,1] op_sel_hi:[1,1,0] neg_lo:[0,0,1] neg_hi:[0,0,1]
	v_pk_fma_f32 v[132:133], v[132:133], v[122:123], v[136:137] op_sel:[0,0,1] op_sel_hi:[1,0,0]
	v_mov_b32_e32 v139, v133
	v_pk_mul_f32 v[132:133], v[134:135], v[124:125] op_sel:[0,1]
	s_delay_alu instid0(VALU_DEP_1) | instskip(SKIP_1) | instid1(VALU_DEP_1)
	v_pk_fma_f32 v[136:137], v[134:135], v[122:123], v[132:133] op_sel:[0,0,1] op_sel_hi:[1,1,0] neg_lo:[0,0,1] neg_hi:[0,0,1]
	v_pk_fma_f32 v[132:133], v[134:135], v[122:123], v[132:133] op_sel:[0,0,1] op_sel_hi:[1,0,0]
	v_mov_b32_e32 v137, v133
	ds_load_2addr_b64 v[132:135], v126 offset0:15 offset1:16
	v_pk_add_f32 v[74:75], v[74:75], v[138:139] neg_lo:[0,1] neg_hi:[0,1]
	v_pk_add_f32 v[76:77], v[76:77], v[136:137] neg_lo:[0,1] neg_hi:[0,1]
	s_wait_dscnt 0x0
	v_pk_mul_f32 v[136:137], v[132:133], v[124:125] op_sel:[0,1]
	s_delay_alu instid0(VALU_DEP_1) | instskip(SKIP_1) | instid1(VALU_DEP_1)
	v_pk_fma_f32 v[138:139], v[132:133], v[122:123], v[136:137] op_sel:[0,0,1] op_sel_hi:[1,1,0] neg_lo:[0,0,1] neg_hi:[0,0,1]
	v_pk_fma_f32 v[132:133], v[132:133], v[122:123], v[136:137] op_sel:[0,0,1] op_sel_hi:[1,0,0]
	v_mov_b32_e32 v139, v133
	v_pk_mul_f32 v[132:133], v[134:135], v[124:125] op_sel:[0,1]
	s_delay_alu instid0(VALU_DEP_1) | instskip(SKIP_1) | instid1(VALU_DEP_1)
	v_pk_fma_f32 v[136:137], v[134:135], v[122:123], v[132:133] op_sel:[0,0,1] op_sel_hi:[1,1,0] neg_lo:[0,0,1] neg_hi:[0,0,1]
	v_pk_fma_f32 v[132:133], v[134:135], v[122:123], v[132:133] op_sel:[0,0,1] op_sel_hi:[1,0,0]
	v_mov_b32_e32 v137, v133
	ds_load_2addr_b64 v[132:135], v126 offset0:17 offset1:18
	v_pk_add_f32 v[72:73], v[72:73], v[138:139] neg_lo:[0,1] neg_hi:[0,1]
	v_pk_add_f32 v[104:105], v[104:105], v[136:137] neg_lo:[0,1] neg_hi:[0,1]
	s_wait_dscnt 0x0
	v_dual_mul_f32 v136, v133, v125 :: v_dual_mul_f32 v138, v133, v122
	s_delay_alu instid0(VALU_DEP_1) | instskip(NEXT) | instid1(VALU_DEP_2)
	v_pk_fma_f32 v[136:137], v[132:133], v[108:109], v[136:137] op_sel_hi:[1,1,0] neg_lo:[0,0,1] neg_hi:[0,0,1]
	v_pk_fma_f32 v[132:133], v[132:133], v[108:109], v[138:139] op_sel:[1,0,0] op_sel_hi:[0,1,0]
	s_delay_alu instid0(VALU_DEP_1) | instskip(SKIP_1) | instid1(VALU_DEP_2)
	v_mov_b32_e32 v137, v133
	v_pk_mul_f32 v[132:133], v[134:135], v[124:125] op_sel:[0,1]
	v_pk_add_f32 v[66:67], v[66:67], v[136:137] neg_lo:[0,1] neg_hi:[0,1]
	s_delay_alu instid0(VALU_DEP_2) | instskip(SKIP_1) | instid1(VALU_DEP_1)
	v_pk_fma_f32 v[136:137], v[134:135], v[122:123], v[132:133] op_sel:[0,0,1] op_sel_hi:[1,1,0] neg_lo:[0,0,1] neg_hi:[0,0,1]
	v_pk_fma_f32 v[132:133], v[134:135], v[122:123], v[132:133] op_sel:[0,0,1] op_sel_hi:[1,0,0]
	v_mov_b32_e32 v137, v133
	ds_load_2addr_b64 v[132:135], v126 offset0:19 offset1:20
	v_pk_add_f32 v[68:69], v[68:69], v[136:137] neg_lo:[0,1] neg_hi:[0,1]
	s_wait_dscnt 0x0
	v_pk_mul_f32 v[136:137], v[132:133], v[124:125] op_sel:[0,1]
	s_delay_alu instid0(VALU_DEP_1) | instskip(SKIP_1) | instid1(VALU_DEP_1)
	v_pk_fma_f32 v[138:139], v[132:133], v[122:123], v[136:137] op_sel:[0,0,1] op_sel_hi:[1,1,0] neg_lo:[0,0,1] neg_hi:[0,0,1]
	v_pk_fma_f32 v[132:133], v[132:133], v[122:123], v[136:137] op_sel:[0,0,1] op_sel_hi:[1,0,0]
	v_mov_b32_e32 v139, v133
	v_pk_mul_f32 v[132:133], v[134:135], v[124:125] op_sel:[0,1]
	s_delay_alu instid0(VALU_DEP_2) | instskip(NEXT) | instid1(VALU_DEP_2)
	v_pk_add_f32 v[64:65], v[64:65], v[138:139] neg_lo:[0,1] neg_hi:[0,1]
	v_pk_fma_f32 v[136:137], v[134:135], v[122:123], v[132:133] op_sel:[0,0,1] op_sel_hi:[1,1,0] neg_lo:[0,0,1] neg_hi:[0,0,1]
	v_pk_fma_f32 v[132:133], v[134:135], v[122:123], v[132:133] op_sel:[0,0,1] op_sel_hi:[1,0,0]
	s_delay_alu instid0(VALU_DEP_1) | instskip(SKIP_4) | instid1(VALU_DEP_1)
	v_mov_b32_e32 v137, v133
	ds_load_2addr_b64 v[132:135], v126 offset0:21 offset1:22
	v_pk_add_f32 v[102:103], v[102:103], v[136:137] neg_lo:[0,1] neg_hi:[0,1]
	s_wait_dscnt 0x0
	v_pk_mul_f32 v[136:137], v[132:133], v[124:125] op_sel:[0,1]
	v_pk_fma_f32 v[138:139], v[132:133], v[122:123], v[136:137] op_sel:[0,0,1] op_sel_hi:[1,1,0] neg_lo:[0,0,1] neg_hi:[0,0,1]
	v_pk_fma_f32 v[132:133], v[132:133], v[122:123], v[136:137] op_sel:[0,0,1] op_sel_hi:[1,0,0]
	v_dual_mul_f32 v136, v135, v125 :: v_dual_mov_b32 v132, v135
	s_delay_alu instid0(VALU_DEP_2) | instskip(NEXT) | instid1(VALU_DEP_2)
	v_dual_mov_b32 v139, v133 :: v_dual_mov_b32 v133, v134
	v_pk_fma_f32 v[136:137], v[134:135], v[108:109], v[136:137] op_sel_hi:[1,1,0] neg_lo:[0,0,1] neg_hi:[0,0,1]
	v_mul_f32_e32 v134, v135, v122
	s_delay_alu instid0(VALU_DEP_3) | instskip(NEXT) | instid1(VALU_DEP_2)
	v_pk_add_f32 v[58:59], v[58:59], v[138:139] neg_lo:[0,1] neg_hi:[0,1]
	v_pk_fma_f32 v[132:133], v[132:133], v[108:109], v[134:135] op_sel_hi:[1,1,0]
	s_delay_alu instid0(VALU_DEP_1) | instskip(SKIP_4) | instid1(VALU_DEP_1)
	v_mov_b32_e32 v137, v133
	ds_load_2addr_b64 v[132:135], v126 offset0:23 offset1:24
	v_pk_add_f32 v[62:63], v[62:63], v[136:137] neg_lo:[0,1] neg_hi:[0,1]
	s_wait_dscnt 0x0
	v_pk_mul_f32 v[136:137], v[132:133], v[124:125] op_sel:[0,1]
	v_pk_fma_f32 v[138:139], v[132:133], v[122:123], v[136:137] op_sel:[0,0,1] op_sel_hi:[1,1,0] neg_lo:[0,0,1] neg_hi:[0,0,1]
	v_pk_fma_f32 v[132:133], v[132:133], v[122:123], v[136:137] op_sel:[0,0,1] op_sel_hi:[1,0,0]
	s_delay_alu instid0(VALU_DEP_1) | instskip(SKIP_1) | instid1(VALU_DEP_1)
	v_mov_b32_e32 v139, v133
	v_pk_mul_f32 v[132:133], v[134:135], v[124:125] op_sel:[0,1]
	v_pk_fma_f32 v[136:137], v[134:135], v[122:123], v[132:133] op_sel:[0,0,1] op_sel_hi:[1,1,0] neg_lo:[0,0,1] neg_hi:[0,0,1]
	v_pk_fma_f32 v[132:133], v[134:135], v[122:123], v[132:133] op_sel:[0,0,1] op_sel_hi:[1,0,0]
	s_delay_alu instid0(VALU_DEP_1)
	v_mov_b32_e32 v137, v133
	ds_load_2addr_b64 v[132:135], v126 offset0:25 offset1:26
	v_pk_add_f32 v[56:57], v[56:57], v[138:139] neg_lo:[0,1] neg_hi:[0,1]
	v_pk_add_f32 v[100:101], v[100:101], v[136:137] neg_lo:[0,1] neg_hi:[0,1]
	s_wait_dscnt 0x0
	v_pk_mul_f32 v[136:137], v[132:133], v[124:125] op_sel:[0,1]
	s_delay_alu instid0(VALU_DEP_1) | instskip(SKIP_1) | instid1(VALU_DEP_1)
	v_pk_fma_f32 v[138:139], v[132:133], v[122:123], v[136:137] op_sel:[0,0,1] op_sel_hi:[1,1,0] neg_lo:[0,0,1] neg_hi:[0,0,1]
	v_pk_fma_f32 v[132:133], v[132:133], v[122:123], v[136:137] op_sel:[0,0,1] op_sel_hi:[1,0,0]
	v_mov_b32_e32 v139, v133
	v_pk_mul_f32 v[132:133], v[134:135], v[124:125] op_sel:[0,1]
	s_delay_alu instid0(VALU_DEP_1) | instskip(SKIP_1) | instid1(VALU_DEP_1)
	v_pk_fma_f32 v[136:137], v[134:135], v[122:123], v[132:133] op_sel:[0,0,1] op_sel_hi:[1,1,0] neg_lo:[0,0,1] neg_hi:[0,0,1]
	v_pk_fma_f32 v[132:133], v[134:135], v[122:123], v[132:133] op_sel:[0,0,1] op_sel_hi:[1,0,0]
	v_mov_b32_e32 v137, v133
	ds_load_2addr_b64 v[132:135], v126 offset0:27 offset1:28
	v_pk_add_f32 v[52:53], v[52:53], v[138:139] neg_lo:[0,1] neg_hi:[0,1]
	v_pk_add_f32 v[54:55], v[54:55], v[136:137] neg_lo:[0,1] neg_hi:[0,1]
	s_wait_dscnt 0x0
	v_dual_mul_f32 v136, v133, v125 :: v_dual_mul_f32 v138, v133, v122
	s_delay_alu instid0(VALU_DEP_1) | instskip(NEXT) | instid1(VALU_DEP_2)
	v_pk_fma_f32 v[136:137], v[132:133], v[108:109], v[136:137] op_sel_hi:[1,1,0] neg_lo:[0,0,1] neg_hi:[0,0,1]
	v_pk_fma_f32 v[132:133], v[132:133], v[108:109], v[138:139] op_sel:[1,0,0] op_sel_hi:[0,1,0]
	s_delay_alu instid0(VALU_DEP_1) | instskip(SKIP_1) | instid1(VALU_DEP_2)
	v_mov_b32_e32 v137, v133
	v_pk_mul_f32 v[132:133], v[134:135], v[124:125] op_sel:[0,1]
	v_pk_add_f32 v[50:51], v[50:51], v[136:137] neg_lo:[0,1] neg_hi:[0,1]
	s_delay_alu instid0(VALU_DEP_2) | instskip(SKIP_1) | instid1(VALU_DEP_1)
	v_pk_fma_f32 v[136:137], v[134:135], v[122:123], v[132:133] op_sel:[0,0,1] op_sel_hi:[1,1,0] neg_lo:[0,0,1] neg_hi:[0,0,1]
	v_pk_fma_f32 v[132:133], v[134:135], v[122:123], v[132:133] op_sel:[0,0,1] op_sel_hi:[1,0,0]
	v_mov_b32_e32 v137, v133
	ds_load_2addr_b64 v[132:135], v126 offset0:29 offset1:30
	v_pk_add_f32 v[96:97], v[96:97], v[136:137] neg_lo:[0,1] neg_hi:[0,1]
	s_wait_dscnt 0x0
	v_pk_mul_f32 v[136:137], v[132:133], v[124:125] op_sel:[0,1]
	s_delay_alu instid0(VALU_DEP_1) | instskip(SKIP_1) | instid1(VALU_DEP_1)
	v_pk_fma_f32 v[138:139], v[132:133], v[122:123], v[136:137] op_sel:[0,0,1] op_sel_hi:[1,1,0] neg_lo:[0,0,1] neg_hi:[0,0,1]
	v_pk_fma_f32 v[132:133], v[132:133], v[122:123], v[136:137] op_sel:[0,0,1] op_sel_hi:[1,0,0]
	v_mov_b32_e32 v139, v133
	v_pk_mul_f32 v[132:133], v[134:135], v[124:125] op_sel:[0,1]
	s_delay_alu instid0(VALU_DEP_2) | instskip(NEXT) | instid1(VALU_DEP_2)
	v_pk_add_f32 v[46:47], v[46:47], v[138:139] neg_lo:[0,1] neg_hi:[0,1]
	v_pk_fma_f32 v[136:137], v[134:135], v[122:123], v[132:133] op_sel:[0,0,1] op_sel_hi:[1,1,0] neg_lo:[0,0,1] neg_hi:[0,0,1]
	v_pk_fma_f32 v[132:133], v[134:135], v[122:123], v[132:133] op_sel:[0,0,1] op_sel_hi:[1,0,0]
	s_delay_alu instid0(VALU_DEP_1) | instskip(SKIP_4) | instid1(VALU_DEP_1)
	v_mov_b32_e32 v137, v133
	ds_load_2addr_b64 v[132:135], v126 offset0:31 offset1:32
	v_pk_add_f32 v[48:49], v[48:49], v[136:137] neg_lo:[0,1] neg_hi:[0,1]
	s_wait_dscnt 0x0
	v_pk_mul_f32 v[136:137], v[132:133], v[124:125] op_sel:[0,1]
	v_pk_fma_f32 v[138:139], v[132:133], v[122:123], v[136:137] op_sel:[0,0,1] op_sel_hi:[1,1,0] neg_lo:[0,0,1] neg_hi:[0,0,1]
	v_pk_fma_f32 v[132:133], v[132:133], v[122:123], v[136:137] op_sel:[0,0,1] op_sel_hi:[1,0,0]
	v_dual_mul_f32 v136, v135, v125 :: v_dual_mov_b32 v132, v135
	s_delay_alu instid0(VALU_DEP_2) | instskip(NEXT) | instid1(VALU_DEP_2)
	v_dual_mov_b32 v139, v133 :: v_dual_mov_b32 v133, v134
	v_pk_fma_f32 v[136:137], v[134:135], v[108:109], v[136:137] op_sel_hi:[1,1,0] neg_lo:[0,0,1] neg_hi:[0,0,1]
	v_mul_f32_e32 v134, v135, v122
	s_delay_alu instid0(VALU_DEP_3) | instskip(NEXT) | instid1(VALU_DEP_2)
	v_pk_add_f32 v[44:45], v[44:45], v[138:139] neg_lo:[0,1] neg_hi:[0,1]
	v_pk_fma_f32 v[132:133], v[132:133], v[108:109], v[134:135] op_sel_hi:[1,1,0]
	s_delay_alu instid0(VALU_DEP_1) | instskip(SKIP_4) | instid1(VALU_DEP_1)
	v_mov_b32_e32 v137, v133
	ds_load_2addr_b64 v[132:135], v126 offset0:33 offset1:34
	v_pk_add_f32 v[94:95], v[94:95], v[136:137] neg_lo:[0,1] neg_hi:[0,1]
	s_wait_dscnt 0x0
	v_pk_mul_f32 v[136:137], v[132:133], v[124:125] op_sel:[0,1]
	v_pk_fma_f32 v[138:139], v[132:133], v[122:123], v[136:137] op_sel:[0,0,1] op_sel_hi:[1,1,0] neg_lo:[0,0,1] neg_hi:[0,0,1]
	v_pk_fma_f32 v[132:133], v[132:133], v[122:123], v[136:137] op_sel:[0,0,1] op_sel_hi:[1,0,0]
	s_delay_alu instid0(VALU_DEP_1) | instskip(SKIP_1) | instid1(VALU_DEP_1)
	v_mov_b32_e32 v139, v133
	v_pk_mul_f32 v[132:133], v[134:135], v[124:125] op_sel:[0,1]
	v_pk_fma_f32 v[136:137], v[134:135], v[122:123], v[132:133] op_sel:[0,0,1] op_sel_hi:[1,1,0] neg_lo:[0,0,1] neg_hi:[0,0,1]
	v_pk_fma_f32 v[132:133], v[134:135], v[122:123], v[132:133] op_sel:[0,0,1] op_sel_hi:[1,0,0]
	s_delay_alu instid0(VALU_DEP_1)
	v_mov_b32_e32 v137, v133
	ds_load_2addr_b64 v[132:135], v126 offset0:35 offset1:36
	v_pk_add_f32 v[38:39], v[38:39], v[138:139] neg_lo:[0,1] neg_hi:[0,1]
	v_pk_add_f32 v[40:41], v[40:41], v[136:137] neg_lo:[0,1] neg_hi:[0,1]
	s_wait_dscnt 0x0
	v_pk_mul_f32 v[136:137], v[132:133], v[124:125] op_sel:[0,1]
	s_delay_alu instid0(VALU_DEP_1) | instskip(SKIP_1) | instid1(VALU_DEP_1)
	v_pk_fma_f32 v[138:139], v[132:133], v[122:123], v[136:137] op_sel:[0,0,1] op_sel_hi:[1,1,0] neg_lo:[0,0,1] neg_hi:[0,0,1]
	v_pk_fma_f32 v[132:133], v[132:133], v[122:123], v[136:137] op_sel:[0,0,1] op_sel_hi:[1,0,0]
	v_mov_b32_e32 v139, v133
	v_pk_mul_f32 v[132:133], v[134:135], v[124:125] op_sel:[0,1]
	s_delay_alu instid0(VALU_DEP_1) | instskip(SKIP_1) | instid1(VALU_DEP_1)
	v_pk_fma_f32 v[136:137], v[134:135], v[122:123], v[132:133] op_sel:[0,0,1] op_sel_hi:[1,1,0] neg_lo:[0,0,1] neg_hi:[0,0,1]
	v_pk_fma_f32 v[132:133], v[134:135], v[122:123], v[132:133] op_sel:[0,0,1] op_sel_hi:[1,0,0]
	v_mov_b32_e32 v137, v133
	ds_load_2addr_b64 v[132:135], v126 offset0:37 offset1:38
	v_pk_add_f32 v[36:37], v[36:37], v[138:139] neg_lo:[0,1] neg_hi:[0,1]
	v_pk_add_f32 v[92:93], v[92:93], v[136:137] neg_lo:[0,1] neg_hi:[0,1]
	s_wait_dscnt 0x0
	v_dual_mul_f32 v136, v133, v125 :: v_dual_mul_f32 v138, v133, v122
	s_delay_alu instid0(VALU_DEP_1) | instskip(NEXT) | instid1(VALU_DEP_2)
	v_pk_fma_f32 v[136:137], v[132:133], v[108:109], v[136:137] op_sel_hi:[1,1,0] neg_lo:[0,0,1] neg_hi:[0,0,1]
	v_pk_fma_f32 v[132:133], v[132:133], v[108:109], v[138:139] op_sel:[1,0,0] op_sel_hi:[0,1,0]
	s_delay_alu instid0(VALU_DEP_1) | instskip(SKIP_1) | instid1(VALU_DEP_2)
	v_mov_b32_e32 v137, v133
	v_pk_mul_f32 v[132:133], v[134:135], v[124:125] op_sel:[0,1]
	v_pk_add_f32 v[32:33], v[32:33], v[136:137] neg_lo:[0,1] neg_hi:[0,1]
	s_delay_alu instid0(VALU_DEP_2) | instskip(SKIP_1) | instid1(VALU_DEP_1)
	v_pk_fma_f32 v[136:137], v[134:135], v[122:123], v[132:133] op_sel:[0,0,1] op_sel_hi:[1,1,0] neg_lo:[0,0,1] neg_hi:[0,0,1]
	v_pk_fma_f32 v[132:133], v[134:135], v[122:123], v[132:133] op_sel:[0,0,1] op_sel_hi:[1,0,0]
	v_mov_b32_e32 v137, v133
	ds_load_2addr_b64 v[132:135], v126 offset0:39 offset1:40
	v_pk_add_f32 v[34:35], v[34:35], v[136:137] neg_lo:[0,1] neg_hi:[0,1]
	s_wait_dscnt 0x0
	v_pk_mul_f32 v[136:137], v[132:133], v[124:125] op_sel:[0,1]
	s_delay_alu instid0(VALU_DEP_1) | instskip(SKIP_1) | instid1(VALU_DEP_1)
	v_pk_fma_f32 v[138:139], v[132:133], v[122:123], v[136:137] op_sel:[0,0,1] op_sel_hi:[1,1,0] neg_lo:[0,0,1] neg_hi:[0,0,1]
	v_pk_fma_f32 v[132:133], v[132:133], v[122:123], v[136:137] op_sel:[0,0,1] op_sel_hi:[1,0,0]
	v_mov_b32_e32 v139, v133
	v_pk_mul_f32 v[132:133], v[134:135], v[124:125] op_sel:[0,1]
	s_delay_alu instid0(VALU_DEP_2) | instskip(NEXT) | instid1(VALU_DEP_2)
	v_pk_add_f32 v[30:31], v[30:31], v[138:139] neg_lo:[0,1] neg_hi:[0,1]
	v_pk_fma_f32 v[136:137], v[134:135], v[122:123], v[132:133] op_sel:[0,0,1] op_sel_hi:[1,1,0] neg_lo:[0,0,1] neg_hi:[0,0,1]
	v_pk_fma_f32 v[132:133], v[134:135], v[122:123], v[132:133] op_sel:[0,0,1] op_sel_hi:[1,0,0]
	s_delay_alu instid0(VALU_DEP_1) | instskip(SKIP_4) | instid1(VALU_DEP_1)
	v_mov_b32_e32 v137, v133
	ds_load_2addr_b64 v[132:135], v126 offset0:41 offset1:42
	v_pk_add_f32 v[90:91], v[90:91], v[136:137] neg_lo:[0,1] neg_hi:[0,1]
	s_wait_dscnt 0x0
	v_pk_mul_f32 v[136:137], v[132:133], v[124:125] op_sel:[0,1]
	v_pk_fma_f32 v[138:139], v[132:133], v[122:123], v[136:137] op_sel:[0,0,1] op_sel_hi:[1,1,0] neg_lo:[0,0,1] neg_hi:[0,0,1]
	v_pk_fma_f32 v[132:133], v[132:133], v[122:123], v[136:137] op_sel:[0,0,1] op_sel_hi:[1,0,0]
	v_dual_mul_f32 v136, v135, v125 :: v_dual_mov_b32 v132, v135
	s_delay_alu instid0(VALU_DEP_2) | instskip(NEXT) | instid1(VALU_DEP_2)
	v_dual_mov_b32 v139, v133 :: v_dual_mov_b32 v133, v134
	v_pk_fma_f32 v[136:137], v[134:135], v[108:109], v[136:137] op_sel_hi:[1,1,0] neg_lo:[0,0,1] neg_hi:[0,0,1]
	v_mul_f32_e32 v134, v135, v122
	s_delay_alu instid0(VALU_DEP_3) | instskip(NEXT) | instid1(VALU_DEP_2)
	v_pk_add_f32 v[24:25], v[24:25], v[138:139] neg_lo:[0,1] neg_hi:[0,1]
	v_pk_fma_f32 v[132:133], v[132:133], v[108:109], v[134:135] op_sel_hi:[1,1,0]
	s_delay_alu instid0(VALU_DEP_1) | instskip(SKIP_4) | instid1(VALU_DEP_1)
	v_mov_b32_e32 v137, v133
	ds_load_2addr_b64 v[132:135], v126 offset0:43 offset1:44
	v_pk_add_f32 v[26:27], v[26:27], v[136:137] neg_lo:[0,1] neg_hi:[0,1]
	s_wait_dscnt 0x0
	v_pk_mul_f32 v[136:137], v[132:133], v[124:125] op_sel:[0,1]
	v_pk_fma_f32 v[138:139], v[132:133], v[122:123], v[136:137] op_sel:[0,0,1] op_sel_hi:[1,1,0] neg_lo:[0,0,1] neg_hi:[0,0,1]
	v_pk_fma_f32 v[132:133], v[132:133], v[122:123], v[136:137] op_sel:[0,0,1] op_sel_hi:[1,0,0]
	s_delay_alu instid0(VALU_DEP_1) | instskip(SKIP_1) | instid1(VALU_DEP_1)
	v_mov_b32_e32 v139, v133
	v_pk_mul_f32 v[132:133], v[134:135], v[124:125] op_sel:[0,1]
	v_pk_fma_f32 v[136:137], v[134:135], v[122:123], v[132:133] op_sel:[0,0,1] op_sel_hi:[1,1,0] neg_lo:[0,0,1] neg_hi:[0,0,1]
	v_pk_fma_f32 v[132:133], v[134:135], v[122:123], v[132:133] op_sel:[0,0,1] op_sel_hi:[1,0,0]
	s_delay_alu instid0(VALU_DEP_1)
	v_mov_b32_e32 v137, v133
	ds_load_2addr_b64 v[132:135], v126 offset0:45 offset1:46
	v_pk_add_f32 v[22:23], v[22:23], v[138:139] neg_lo:[0,1] neg_hi:[0,1]
	v_pk_add_f32 v[88:89], v[88:89], v[136:137] neg_lo:[0,1] neg_hi:[0,1]
	s_wait_dscnt 0x0
	v_pk_mul_f32 v[136:137], v[132:133], v[124:125] op_sel:[0,1]
	s_delay_alu instid0(VALU_DEP_1) | instskip(SKIP_1) | instid1(VALU_DEP_1)
	v_pk_fma_f32 v[138:139], v[132:133], v[122:123], v[136:137] op_sel:[0,0,1] op_sel_hi:[1,1,0] neg_lo:[0,0,1] neg_hi:[0,0,1]
	v_pk_fma_f32 v[132:133], v[132:133], v[122:123], v[136:137] op_sel:[0,0,1] op_sel_hi:[1,0,0]
	v_mov_b32_e32 v139, v133
	v_pk_mul_f32 v[132:133], v[134:135], v[124:125] op_sel:[0,1]
	s_delay_alu instid0(VALU_DEP_1) | instskip(SKIP_1) | instid1(VALU_DEP_1)
	v_pk_fma_f32 v[136:137], v[134:135], v[122:123], v[132:133] op_sel:[0,0,1] op_sel_hi:[1,1,0] neg_lo:[0,0,1] neg_hi:[0,0,1]
	v_pk_fma_f32 v[132:133], v[134:135], v[122:123], v[132:133] op_sel:[0,0,1] op_sel_hi:[1,0,0]
	v_mov_b32_e32 v137, v133
	ds_load_2addr_b64 v[132:135], v126 offset0:47 offset1:48
	v_pk_add_f32 v[18:19], v[18:19], v[138:139] neg_lo:[0,1] neg_hi:[0,1]
	v_pk_add_f32 v[20:21], v[20:21], v[136:137] neg_lo:[0,1] neg_hi:[0,1]
	s_wait_dscnt 0x0
	v_dual_mul_f32 v136, v133, v125 :: v_dual_mul_f32 v138, v133, v122
	s_delay_alu instid0(VALU_DEP_1) | instskip(NEXT) | instid1(VALU_DEP_2)
	v_pk_fma_f32 v[136:137], v[132:133], v[108:109], v[136:137] op_sel_hi:[1,1,0] neg_lo:[0,0,1] neg_hi:[0,0,1]
	v_pk_fma_f32 v[132:133], v[132:133], v[108:109], v[138:139] op_sel:[1,0,0] op_sel_hi:[0,1,0]
	s_delay_alu instid0(VALU_DEP_1) | instskip(SKIP_1) | instid1(VALU_DEP_2)
	v_mov_b32_e32 v137, v133
	v_pk_mul_f32 v[132:133], v[134:135], v[124:125] op_sel:[0,1]
	v_pk_add_f32 v[16:17], v[16:17], v[136:137] neg_lo:[0,1] neg_hi:[0,1]
	s_delay_alu instid0(VALU_DEP_2) | instskip(SKIP_1) | instid1(VALU_DEP_1)
	v_pk_fma_f32 v[136:137], v[134:135], v[122:123], v[132:133] op_sel:[0,0,1] op_sel_hi:[1,1,0] neg_lo:[0,0,1] neg_hi:[0,0,1]
	v_pk_fma_f32 v[132:133], v[134:135], v[122:123], v[132:133] op_sel:[0,0,1] op_sel_hi:[1,0,0]
	v_mov_b32_e32 v137, v133
	ds_load_2addr_b64 v[132:135], v126 offset0:49 offset1:50
	v_pk_add_f32 v[84:85], v[84:85], v[136:137] neg_lo:[0,1] neg_hi:[0,1]
	s_wait_dscnt 0x0
	v_pk_mul_f32 v[136:137], v[132:133], v[124:125] op_sel:[0,1]
	s_delay_alu instid0(VALU_DEP_1) | instskip(SKIP_1) | instid1(VALU_DEP_1)
	v_pk_fma_f32 v[138:139], v[132:133], v[122:123], v[136:137] op_sel:[0,0,1] op_sel_hi:[1,1,0] neg_lo:[0,0,1] neg_hi:[0,0,1]
	v_pk_fma_f32 v[132:133], v[132:133], v[122:123], v[136:137] op_sel:[0,0,1] op_sel_hi:[1,0,0]
	v_mov_b32_e32 v139, v133
	v_pk_mul_f32 v[132:133], v[134:135], v[124:125] op_sel:[0,1]
	s_delay_alu instid0(VALU_DEP_2) | instskip(NEXT) | instid1(VALU_DEP_2)
	v_pk_add_f32 v[10:11], v[10:11], v[138:139] neg_lo:[0,1] neg_hi:[0,1]
	v_pk_fma_f32 v[136:137], v[134:135], v[122:123], v[132:133] op_sel:[0,0,1] op_sel_hi:[1,1,0] neg_lo:[0,0,1] neg_hi:[0,0,1]
	v_pk_fma_f32 v[132:133], v[134:135], v[122:123], v[132:133] op_sel:[0,0,1] op_sel_hi:[1,0,0]
	s_delay_alu instid0(VALU_DEP_1) | instskip(SKIP_4) | instid1(VALU_DEP_1)
	v_mov_b32_e32 v137, v133
	ds_load_2addr_b64 v[132:135], v126 offset0:51 offset1:52
	v_pk_add_f32 v[12:13], v[12:13], v[136:137] neg_lo:[0,1] neg_hi:[0,1]
	s_wait_dscnt 0x0
	v_pk_mul_f32 v[136:137], v[132:133], v[124:125] op_sel:[0,1]
	v_pk_fma_f32 v[138:139], v[132:133], v[122:123], v[136:137] op_sel:[0,0,1] op_sel_hi:[1,1,0] neg_lo:[0,0,1] neg_hi:[0,0,1]
	v_pk_fma_f32 v[132:133], v[132:133], v[122:123], v[136:137] op_sel:[0,0,1] op_sel_hi:[1,0,0]
	v_dual_mul_f32 v136, v135, v125 :: v_dual_mov_b32 v132, v135
	s_delay_alu instid0(VALU_DEP_2) | instskip(NEXT) | instid1(VALU_DEP_2)
	v_dual_mov_b32 v139, v133 :: v_dual_mov_b32 v133, v134
	v_pk_fma_f32 v[136:137], v[134:135], v[108:109], v[136:137] op_sel_hi:[1,1,0] neg_lo:[0,0,1] neg_hi:[0,0,1]
	v_mul_f32_e32 v134, v135, v122
	s_delay_alu instid0(VALU_DEP_3) | instskip(NEXT) | instid1(VALU_DEP_2)
	v_pk_add_f32 v[8:9], v[8:9], v[138:139] neg_lo:[0,1] neg_hi:[0,1]
	v_pk_fma_f32 v[132:133], v[132:133], v[108:109], v[134:135] op_sel_hi:[1,1,0]
	s_delay_alu instid0(VALU_DEP_1) | instskip(SKIP_4) | instid1(VALU_DEP_1)
	v_mov_b32_e32 v137, v133
	ds_load_2addr_b64 v[132:135], v126 offset0:53 offset1:54
	v_pk_add_f32 v[60:61], v[60:61], v[136:137] neg_lo:[0,1] neg_hi:[0,1]
	s_wait_dscnt 0x0
	v_pk_mul_f32 v[136:137], v[132:133], v[124:125] op_sel:[0,1]
	v_pk_fma_f32 v[138:139], v[132:133], v[122:123], v[136:137] op_sel:[0,0,1] op_sel_hi:[1,1,0] neg_lo:[0,0,1] neg_hi:[0,0,1]
	v_pk_fma_f32 v[132:133], v[132:133], v[122:123], v[136:137] op_sel:[0,0,1] op_sel_hi:[1,0,0]
	s_delay_alu instid0(VALU_DEP_1) | instskip(SKIP_1) | instid1(VALU_DEP_1)
	v_mov_b32_e32 v139, v133
	v_pk_mul_f32 v[132:133], v[134:135], v[124:125] op_sel:[0,1]
	v_pk_fma_f32 v[136:137], v[134:135], v[122:123], v[132:133] op_sel:[0,0,1] op_sel_hi:[1,1,0] neg_lo:[0,0,1] neg_hi:[0,0,1]
	v_pk_fma_f32 v[132:133], v[134:135], v[122:123], v[132:133] op_sel:[0,0,1] op_sel_hi:[1,0,0]
	s_delay_alu instid0(VALU_DEP_1)
	v_mov_b32_e32 v137, v133
	ds_load_2addr_b64 v[132:135], v126 offset0:55 offset1:56
	v_pk_add_f32 v[6:7], v[6:7], v[138:139] neg_lo:[0,1] neg_hi:[0,1]
	v_pk_add_f32 v[42:43], v[42:43], v[136:137] neg_lo:[0,1] neg_hi:[0,1]
	s_wait_dscnt 0x0
	v_pk_mul_f32 v[136:137], v[132:133], v[124:125] op_sel:[0,1]
	s_delay_alu instid0(VALU_DEP_1) | instskip(SKIP_1) | instid1(VALU_DEP_1)
	v_pk_fma_f32 v[138:139], v[132:133], v[122:123], v[136:137] op_sel:[0,0,1] op_sel_hi:[1,1,0] neg_lo:[0,0,1] neg_hi:[0,0,1]
	v_pk_fma_f32 v[132:133], v[132:133], v[122:123], v[136:137] op_sel:[0,0,1] op_sel_hi:[1,0,0]
	v_mov_b32_e32 v139, v133
	v_pk_mul_f32 v[132:133], v[134:135], v[124:125] op_sel:[0,1]
	s_delay_alu instid0(VALU_DEP_1) | instskip(SKIP_1) | instid1(VALU_DEP_1)
	v_pk_fma_f32 v[136:137], v[134:135], v[122:123], v[132:133] op_sel:[0,0,1] op_sel_hi:[1,1,0] neg_lo:[0,0,1] neg_hi:[0,0,1]
	v_pk_fma_f32 v[132:133], v[134:135], v[122:123], v[132:133] op_sel:[0,0,1] op_sel_hi:[1,0,0]
	v_mov_b32_e32 v137, v133
	ds_load_b64 v[132:133], v126 offset:456
	v_pk_add_f32 v[28:29], v[28:29], v[138:139] neg_lo:[0,1] neg_hi:[0,1]
	v_pk_add_f32 v[14:15], v[14:15], v[136:137] neg_lo:[0,1] neg_hi:[0,1]
	s_wait_dscnt 0x0
	v_pk_mul_f32 v[124:125], v[132:133], v[124:125] op_sel:[0,1]
	s_delay_alu instid0(VALU_DEP_1) | instskip(SKIP_1) | instid1(VALU_DEP_1)
	v_pk_fma_f32 v[134:135], v[132:133], v[122:123], v[124:125] op_sel:[0,0,1] op_sel_hi:[1,1,0] neg_lo:[0,0,1] neg_hi:[0,0,1]
	v_pk_fma_f32 v[122:123], v[132:133], v[122:123], v[124:125] op_sel:[0,0,1] op_sel_hi:[1,0,0]
	v_mov_b32_e32 v135, v123
	s_delay_alu instid0(VALU_DEP_1)
	v_pk_add_f32 v[120:121], v[120:121], v[134:135] neg_lo:[0,1] neg_hi:[0,1]
.LBB114_188:
	s_or_b32 exec_lo, exec_lo, s0
	v_lshl_add_u32 v122, v130, 3, v126
	s_barrier_signal -1
	s_barrier_wait -1
	ds_store_b64 v122, v[80:81]
	s_wait_dscnt 0x0
	s_barrier_signal -1
	s_barrier_wait -1
	ds_load_b64 v[124:125], v126 offset:72
	v_mov_b32_e32 v122, 9
	s_cmp_lt_i32 s18, 11
	s_cbranch_scc1 .LBB114_191
; %bb.189:
	v_add3_u32 v123, v127, 0, 0x50
	v_mov_b32_e32 v122, 9
	s_mov_b32 s0, 10
.LBB114_190:                            ; =>This Inner Loop Header: Depth=1
	ds_load_b64 v[132:133], v123
	s_wait_dscnt 0x1
	v_cmp_gt_f32_e32 vcc_lo, 0, v124
	v_cndmask_b32_e64 v134, v124, -v124, vcc_lo
	v_cmp_gt_f32_e32 vcc_lo, 0, v125
	v_cndmask_b32_e64 v136, v125, -v125, vcc_lo
	s_wait_dscnt 0x0
	v_cmp_gt_f32_e32 vcc_lo, 0, v132
	v_cndmask_b32_e64 v135, v132, -v132, vcc_lo
	v_cmp_gt_f32_e32 vcc_lo, 0, v133
	v_cndmask_b32_e64 v137, v133, -v133, vcc_lo
	s_delay_alu instid0(VALU_DEP_1) | instskip(NEXT) | instid1(VALU_DEP_1)
	v_pk_add_f32 v[134:135], v[134:135], v[136:137]
	v_cmp_lt_f32_e32 vcc_lo, v134, v135
	v_dual_add_nc_u32 v123, 8, v123 :: v_dual_cndmask_b32 v125, v125, v133, vcc_lo
	v_cndmask_b32_e32 v124, v124, v132, vcc_lo
	v_cndmask_b32_e64 v122, v122, s0, vcc_lo
	s_add_co_i32 s0, s0, 1
	s_delay_alu instid0(SALU_CYCLE_1)
	s_cmp_lg_u32 s18, s0
	s_cbranch_scc1 .LBB114_190
.LBB114_191:
	s_wait_dscnt 0x0
	v_cmp_eq_f32_e32 vcc_lo, 0, v124
	v_cmp_eq_f32_e64 s0, 0, v125
	s_and_b32 s0, vcc_lo, s0
	s_delay_alu instid0(SALU_CYCLE_1) | instskip(NEXT) | instid1(SALU_CYCLE_1)
	s_and_saveexec_b32 s1, s0
	s_xor_b32 s0, exec_lo, s1
; %bb.192:
	v_cmp_ne_u32_e32 vcc_lo, 0, v128
	v_cndmask_b32_e32 v128, 10, v128, vcc_lo
; %bb.193:
	s_and_not1_saveexec_b32 s0, s0
	s_cbranch_execz .LBB114_199
; %bb.194:
	v_cmp_ngt_f32_e64 s1, |v124|, |v125|
	s_and_saveexec_b32 s12, s1
	s_delay_alu instid0(SALU_CYCLE_1)
	s_xor_b32 s1, exec_lo, s12
	s_cbranch_execz .LBB114_196
; %bb.195:
	v_div_scale_f32 v123, null, v125, v125, v124
	v_div_scale_f32 v133, vcc_lo, v124, v125, v124
	s_delay_alu instid0(VALU_DEP_2) | instskip(SKIP_1) | instid1(TRANS32_DEP_1)
	v_rcp_f32_e32 v131, v123
	v_nop
	v_fma_f32 v132, -v123, v131, 1.0
	s_delay_alu instid0(VALU_DEP_1) | instskip(NEXT) | instid1(VALU_DEP_1)
	v_fmac_f32_e32 v131, v132, v131
	v_mul_f32_e32 v132, v133, v131
	s_delay_alu instid0(VALU_DEP_1) | instskip(NEXT) | instid1(VALU_DEP_1)
	v_fma_f32 v134, -v123, v132, v133
	v_fmac_f32_e32 v132, v134, v131
	s_delay_alu instid0(VALU_DEP_1) | instskip(NEXT) | instid1(VALU_DEP_1)
	v_fma_f32 v123, -v123, v132, v133
	v_div_fmas_f32 v123, v123, v131, v132
	s_delay_alu instid0(VALU_DEP_1) | instskip(NEXT) | instid1(VALU_DEP_1)
	v_div_fixup_f32 v123, v123, v125, v124
	v_fmac_f32_e32 v125, v124, v123
	s_delay_alu instid0(VALU_DEP_1) | instskip(SKIP_1) | instid1(VALU_DEP_2)
	v_div_scale_f32 v124, null, v125, v125, 1.0
	v_div_scale_f32 v133, vcc_lo, 1.0, v125, 1.0
	v_rcp_f32_e32 v131, v124
	v_nop
	s_delay_alu instid0(TRANS32_DEP_1) | instskip(NEXT) | instid1(VALU_DEP_1)
	v_fma_f32 v132, -v124, v131, 1.0
	v_fmac_f32_e32 v131, v132, v131
	s_delay_alu instid0(VALU_DEP_1) | instskip(NEXT) | instid1(VALU_DEP_1)
	v_mul_f32_e32 v132, v133, v131
	v_fma_f32 v134, -v124, v132, v133
	s_delay_alu instid0(VALU_DEP_1) | instskip(NEXT) | instid1(VALU_DEP_1)
	v_fmac_f32_e32 v132, v134, v131
	v_fma_f32 v124, -v124, v132, v133
	s_delay_alu instid0(VALU_DEP_1) | instskip(NEXT) | instid1(VALU_DEP_1)
	v_div_fmas_f32 v124, v124, v131, v132
	v_div_fixup_f32 v125, v124, v125, 1.0
	s_delay_alu instid0(VALU_DEP_1)
	v_mul_f32_e32 v124, v123, v125
	v_xor_b32_e32 v125, 0x80000000, v125
.LBB114_196:
	s_and_not1_saveexec_b32 s1, s1
	s_cbranch_execz .LBB114_198
; %bb.197:
	s_delay_alu instid0(VALU_DEP_1) | instskip(SKIP_1) | instid1(VALU_DEP_2)
	v_div_scale_f32 v123, null, v124, v124, v125
	v_div_scale_f32 v133, vcc_lo, v125, v124, v125
	v_rcp_f32_e32 v131, v123
	v_nop
	s_delay_alu instid0(TRANS32_DEP_1) | instskip(NEXT) | instid1(VALU_DEP_1)
	v_fma_f32 v132, -v123, v131, 1.0
	v_fmac_f32_e32 v131, v132, v131
	s_delay_alu instid0(VALU_DEP_1) | instskip(NEXT) | instid1(VALU_DEP_1)
	v_mul_f32_e32 v132, v133, v131
	v_fma_f32 v134, -v123, v132, v133
	s_delay_alu instid0(VALU_DEP_1) | instskip(NEXT) | instid1(VALU_DEP_1)
	v_fmac_f32_e32 v132, v134, v131
	v_fma_f32 v123, -v123, v132, v133
	s_delay_alu instid0(VALU_DEP_1) | instskip(NEXT) | instid1(VALU_DEP_1)
	v_div_fmas_f32 v123, v123, v131, v132
	v_div_fixup_f32 v123, v123, v124, v125
	s_delay_alu instid0(VALU_DEP_1) | instskip(NEXT) | instid1(VALU_DEP_1)
	v_fmac_f32_e32 v124, v125, v123
	v_div_scale_f32 v125, null, v124, v124, 1.0
	s_delay_alu instid0(VALU_DEP_1) | instskip(SKIP_1) | instid1(TRANS32_DEP_1)
	v_rcp_f32_e32 v131, v125
	v_nop
	v_fma_f32 v132, -v125, v131, 1.0
	s_delay_alu instid0(VALU_DEP_1) | instskip(SKIP_1) | instid1(VALU_DEP_1)
	v_fmac_f32_e32 v131, v132, v131
	v_div_scale_f32 v132, vcc_lo, 1.0, v124, 1.0
	v_mul_f32_e32 v133, v132, v131
	s_delay_alu instid0(VALU_DEP_1) | instskip(NEXT) | instid1(VALU_DEP_1)
	v_fma_f32 v134, -v125, v133, v132
	v_fmac_f32_e32 v133, v134, v131
	s_delay_alu instid0(VALU_DEP_1) | instskip(NEXT) | instid1(VALU_DEP_1)
	v_fma_f32 v125, -v125, v133, v132
	v_div_fmas_f32 v125, v125, v131, v133
	s_delay_alu instid0(VALU_DEP_1) | instskip(NEXT) | instid1(VALU_DEP_1)
	v_div_fixup_f32 v124, v125, v124, 1.0
	v_mul_f32_e64 v125, v123, -v124
.LBB114_198:
	s_or_b32 exec_lo, exec_lo, s1
.LBB114_199:
	s_delay_alu instid0(SALU_CYCLE_1) | instskip(NEXT) | instid1(SALU_CYCLE_1)
	s_or_b32 exec_lo, exec_lo, s0
	s_mov_b32 s0, exec_lo
	v_cmpx_ne_u32_e64 v130, v122
	s_xor_b32 s0, exec_lo, s0
	s_cbranch_execz .LBB114_205
; %bb.200:
	s_mov_b32 s1, exec_lo
	v_cmpx_eq_u32_e32 9, v130
	s_cbranch_execz .LBB114_204
; %bb.201:
	v_cmp_ne_u32_e32 vcc_lo, 9, v122
	s_xor_b32 s12, s16, -1
	s_delay_alu instid0(SALU_CYCLE_1) | instskip(NEXT) | instid1(SALU_CYCLE_1)
	s_and_b32 s13, s12, vcc_lo
	s_and_saveexec_b32 s12, s13
	s_cbranch_execz .LBB114_203
; %bb.202:
	v_ashrrev_i32_e32 v123, 31, v122
	s_delay_alu instid0(VALU_DEP_1)
	v_lshl_add_u64 v[130:131], v[122:123], 2, v[4:5]
	s_clause 0x1
	global_load_b32 v123, v[130:131], off
	global_load_b32 v129, v[4:5], off offset:36
	s_wait_loadcnt 0x1
	global_store_b32 v[4:5], v123, off offset:36
	s_wait_loadcnt 0x0
	global_store_b32 v[130:131], v129, off
.LBB114_203:
	s_wait_xcnt 0x0
	s_or_b32 exec_lo, exec_lo, s12
	v_dual_mov_b32 v130, v122 :: v_dual_mov_b32 v129, v122
.LBB114_204:
	s_or_b32 exec_lo, exec_lo, s1
.LBB114_205:
	s_and_not1_saveexec_b32 s0, s0
	s_cbranch_execz .LBB114_207
; %bb.206:
	v_dual_mov_b32 v122, v82 :: v_dual_mov_b32 v123, v83
	v_dual_mov_b32 v130, v78 :: v_dual_mov_b32 v131, v79
	ds_store_2addr_b64 v126, v[122:123], v[130:131] offset0:10 offset1:11
	v_dual_mov_b32 v122, v106 :: v_dual_mov_b32 v123, v107
	v_dual_mov_b32 v130, v74 :: v_dual_mov_b32 v131, v75
	ds_store_2addr_b64 v126, v[122:123], v[130:131] offset0:12 offset1:13
	;; [unrolled: 3-line block ×23, first 2 shown]
	v_dual_mov_b32 v122, v14 :: v_dual_mov_b32 v123, v15
	v_mov_b32_e32 v130, 9
	ds_store_2addr_b64 v126, v[122:123], v[120:121] offset0:56 offset1:57
.LBB114_207:
	s_or_b32 exec_lo, exec_lo, s0
	s_delay_alu instid0(SALU_CYCLE_1)
	s_mov_b32 s0, exec_lo
	s_wait_storecnt_dscnt 0x0
	s_barrier_signal -1
	s_barrier_wait -1
	v_cmpx_lt_i32_e32 9, v130
	s_cbranch_execz .LBB114_209
; %bb.208:
	v_pk_mul_f32 v[132:133], v[124:125], v[80:81] op_sel:[1,1] op_sel_hi:[0,1]
	s_delay_alu instid0(VALU_DEP_1)
	v_pk_fma_f32 v[122:123], v[124:125], v[80:81], v[132:133] op_sel_hi:[1,0,1] neg_lo:[0,0,1] neg_hi:[0,0,1]
	v_pk_fma_f32 v[124:125], v[124:125], v[80:81], v[132:133] op_sel_hi:[1,0,1]
	ds_load_2addr_b64 v[132:135], v126 offset0:10 offset1:11
	v_dual_mov_b32 v80, v122 :: v_dual_mov_b32 v81, v125
	s_wait_dscnt 0x0
	v_pk_mul_f32 v[136:137], v[132:133], v[124:125] op_sel:[0,1]
	s_delay_alu instid0(VALU_DEP_1) | instskip(SKIP_1) | instid1(VALU_DEP_1)
	v_pk_fma_f32 v[138:139], v[132:133], v[122:123], v[136:137] op_sel:[0,0,1] op_sel_hi:[1,1,0] neg_lo:[0,0,1] neg_hi:[0,0,1]
	v_pk_fma_f32 v[132:133], v[132:133], v[122:123], v[136:137] op_sel:[0,0,1] op_sel_hi:[1,0,0]
	v_mov_b32_e32 v139, v133
	v_pk_mul_f32 v[132:133], v[134:135], v[124:125] op_sel:[0,1]
	s_delay_alu instid0(VALU_DEP_1) | instskip(SKIP_1) | instid1(VALU_DEP_1)
	v_pk_fma_f32 v[136:137], v[134:135], v[122:123], v[132:133] op_sel:[0,0,1] op_sel_hi:[1,1,0] neg_lo:[0,0,1] neg_hi:[0,0,1]
	v_pk_fma_f32 v[132:133], v[134:135], v[122:123], v[132:133] op_sel:[0,0,1] op_sel_hi:[1,0,0]
	v_mov_b32_e32 v137, v133
	ds_load_2addr_b64 v[132:135], v126 offset0:12 offset1:13
	v_pk_add_f32 v[82:83], v[82:83], v[138:139] neg_lo:[0,1] neg_hi:[0,1]
	v_pk_add_f32 v[78:79], v[78:79], v[136:137] neg_lo:[0,1] neg_hi:[0,1]
	s_wait_dscnt 0x0
	v_pk_mul_f32 v[136:137], v[132:133], v[124:125] op_sel:[0,1]
	s_delay_alu instid0(VALU_DEP_1) | instskip(SKIP_2) | instid1(VALU_DEP_2)
	v_pk_fma_f32 v[138:139], v[132:133], v[122:123], v[136:137] op_sel:[0,0,1] op_sel_hi:[1,1,0] neg_lo:[0,0,1] neg_hi:[0,0,1]
	v_pk_fma_f32 v[132:133], v[132:133], v[122:123], v[136:137] op_sel:[0,0,1] op_sel_hi:[1,0,0]
	v_dual_mul_f32 v136, v135, v125 :: v_dual_mov_b32 v132, v135
	v_dual_mov_b32 v139, v133 :: v_dual_mov_b32 v133, v134
	s_delay_alu instid0(VALU_DEP_2) | instskip(SKIP_1) | instid1(VALU_DEP_3)
	v_pk_fma_f32 v[136:137], v[134:135], v[80:81], v[136:137] op_sel_hi:[1,1,0] neg_lo:[0,0,1] neg_hi:[0,0,1]
	v_mul_f32_e32 v134, v135, v122
	v_pk_add_f32 v[106:107], v[106:107], v[138:139] neg_lo:[0,1] neg_hi:[0,1]
	s_delay_alu instid0(VALU_DEP_2) | instskip(NEXT) | instid1(VALU_DEP_1)
	v_pk_fma_f32 v[132:133], v[132:133], v[80:81], v[134:135] op_sel_hi:[1,1,0]
	v_mov_b32_e32 v137, v133
	ds_load_2addr_b64 v[132:135], v126 offset0:14 offset1:15
	v_pk_add_f32 v[74:75], v[74:75], v[136:137] neg_lo:[0,1] neg_hi:[0,1]
	s_wait_dscnt 0x0
	v_pk_mul_f32 v[136:137], v[132:133], v[124:125] op_sel:[0,1]
	s_delay_alu instid0(VALU_DEP_1) | instskip(SKIP_1) | instid1(VALU_DEP_1)
	v_pk_fma_f32 v[138:139], v[132:133], v[122:123], v[136:137] op_sel:[0,0,1] op_sel_hi:[1,1,0] neg_lo:[0,0,1] neg_hi:[0,0,1]
	v_pk_fma_f32 v[132:133], v[132:133], v[122:123], v[136:137] op_sel:[0,0,1] op_sel_hi:[1,0,0]
	v_mov_b32_e32 v139, v133
	v_pk_mul_f32 v[132:133], v[134:135], v[124:125] op_sel:[0,1]
	s_delay_alu instid0(VALU_DEP_1) | instskip(SKIP_1) | instid1(VALU_DEP_1)
	v_pk_fma_f32 v[136:137], v[134:135], v[122:123], v[132:133] op_sel:[0,0,1] op_sel_hi:[1,1,0] neg_lo:[0,0,1] neg_hi:[0,0,1]
	v_pk_fma_f32 v[132:133], v[134:135], v[122:123], v[132:133] op_sel:[0,0,1] op_sel_hi:[1,0,0]
	v_mov_b32_e32 v137, v133
	ds_load_2addr_b64 v[132:135], v126 offset0:16 offset1:17
	v_pk_add_f32 v[76:77], v[76:77], v[138:139] neg_lo:[0,1] neg_hi:[0,1]
	v_pk_add_f32 v[72:73], v[72:73], v[136:137] neg_lo:[0,1] neg_hi:[0,1]
	s_wait_dscnt 0x0
	v_pk_mul_f32 v[136:137], v[132:133], v[124:125] op_sel:[0,1]
	s_delay_alu instid0(VALU_DEP_1) | instskip(SKIP_1) | instid1(VALU_DEP_1)
	v_pk_fma_f32 v[138:139], v[132:133], v[122:123], v[136:137] op_sel:[0,0,1] op_sel_hi:[1,1,0] neg_lo:[0,0,1] neg_hi:[0,0,1]
	v_pk_fma_f32 v[132:133], v[132:133], v[122:123], v[136:137] op_sel:[0,0,1] op_sel_hi:[1,0,0]
	v_mov_b32_e32 v139, v133
	v_pk_mul_f32 v[132:133], v[134:135], v[124:125] op_sel:[0,1]
	s_delay_alu instid0(VALU_DEP_1) | instskip(SKIP_1) | instid1(VALU_DEP_1)
	v_pk_fma_f32 v[136:137], v[134:135], v[122:123], v[132:133] op_sel:[0,0,1] op_sel_hi:[1,1,0] neg_lo:[0,0,1] neg_hi:[0,0,1]
	v_pk_fma_f32 v[132:133], v[134:135], v[122:123], v[132:133] op_sel:[0,0,1] op_sel_hi:[1,0,0]
	v_mov_b32_e32 v137, v133
	ds_load_2addr_b64 v[132:135], v126 offset0:18 offset1:19
	v_pk_add_f32 v[104:105], v[104:105], v[138:139] neg_lo:[0,1] neg_hi:[0,1]
	v_pk_add_f32 v[66:67], v[66:67], v[136:137] neg_lo:[0,1] neg_hi:[0,1]
	s_wait_dscnt 0x0
	v_dual_mul_f32 v136, v133, v125 :: v_dual_mul_f32 v138, v133, v122
	s_delay_alu instid0(VALU_DEP_1) | instskip(NEXT) | instid1(VALU_DEP_2)
	v_pk_fma_f32 v[136:137], v[132:133], v[80:81], v[136:137] op_sel_hi:[1,1,0] neg_lo:[0,0,1] neg_hi:[0,0,1]
	v_pk_fma_f32 v[132:133], v[132:133], v[80:81], v[138:139] op_sel:[1,0,0] op_sel_hi:[0,1,0]
	s_delay_alu instid0(VALU_DEP_1) | instskip(SKIP_1) | instid1(VALU_DEP_2)
	v_mov_b32_e32 v137, v133
	v_pk_mul_f32 v[132:133], v[134:135], v[124:125] op_sel:[0,1]
	v_pk_add_f32 v[68:69], v[68:69], v[136:137] neg_lo:[0,1] neg_hi:[0,1]
	s_delay_alu instid0(VALU_DEP_2) | instskip(SKIP_1) | instid1(VALU_DEP_1)
	v_pk_fma_f32 v[136:137], v[134:135], v[122:123], v[132:133] op_sel:[0,0,1] op_sel_hi:[1,1,0] neg_lo:[0,0,1] neg_hi:[0,0,1]
	v_pk_fma_f32 v[132:133], v[134:135], v[122:123], v[132:133] op_sel:[0,0,1] op_sel_hi:[1,0,0]
	v_mov_b32_e32 v137, v133
	ds_load_2addr_b64 v[132:135], v126 offset0:20 offset1:21
	v_pk_add_f32 v[64:65], v[64:65], v[136:137] neg_lo:[0,1] neg_hi:[0,1]
	s_wait_dscnt 0x0
	v_pk_mul_f32 v[136:137], v[132:133], v[124:125] op_sel:[0,1]
	s_delay_alu instid0(VALU_DEP_1) | instskip(SKIP_1) | instid1(VALU_DEP_1)
	v_pk_fma_f32 v[138:139], v[132:133], v[122:123], v[136:137] op_sel:[0,0,1] op_sel_hi:[1,1,0] neg_lo:[0,0,1] neg_hi:[0,0,1]
	v_pk_fma_f32 v[132:133], v[132:133], v[122:123], v[136:137] op_sel:[0,0,1] op_sel_hi:[1,0,0]
	v_mov_b32_e32 v139, v133
	v_pk_mul_f32 v[132:133], v[134:135], v[124:125] op_sel:[0,1]
	s_delay_alu instid0(VALU_DEP_2) | instskip(NEXT) | instid1(VALU_DEP_2)
	v_pk_add_f32 v[102:103], v[102:103], v[138:139] neg_lo:[0,1] neg_hi:[0,1]
	v_pk_fma_f32 v[136:137], v[134:135], v[122:123], v[132:133] op_sel:[0,0,1] op_sel_hi:[1,1,0] neg_lo:[0,0,1] neg_hi:[0,0,1]
	v_pk_fma_f32 v[132:133], v[134:135], v[122:123], v[132:133] op_sel:[0,0,1] op_sel_hi:[1,0,0]
	s_delay_alu instid0(VALU_DEP_1) | instskip(SKIP_4) | instid1(VALU_DEP_1)
	v_mov_b32_e32 v137, v133
	ds_load_2addr_b64 v[132:135], v126 offset0:22 offset1:23
	v_pk_add_f32 v[58:59], v[58:59], v[136:137] neg_lo:[0,1] neg_hi:[0,1]
	s_wait_dscnt 0x0
	v_pk_mul_f32 v[136:137], v[132:133], v[124:125] op_sel:[0,1]
	v_pk_fma_f32 v[138:139], v[132:133], v[122:123], v[136:137] op_sel:[0,0,1] op_sel_hi:[1,1,0] neg_lo:[0,0,1] neg_hi:[0,0,1]
	v_pk_fma_f32 v[132:133], v[132:133], v[122:123], v[136:137] op_sel:[0,0,1] op_sel_hi:[1,0,0]
	v_dual_mul_f32 v136, v135, v125 :: v_dual_mov_b32 v132, v135
	s_delay_alu instid0(VALU_DEP_2) | instskip(NEXT) | instid1(VALU_DEP_2)
	v_dual_mov_b32 v139, v133 :: v_dual_mov_b32 v133, v134
	v_pk_fma_f32 v[136:137], v[134:135], v[80:81], v[136:137] op_sel_hi:[1,1,0] neg_lo:[0,0,1] neg_hi:[0,0,1]
	v_mul_f32_e32 v134, v135, v122
	s_delay_alu instid0(VALU_DEP_3) | instskip(NEXT) | instid1(VALU_DEP_2)
	v_pk_add_f32 v[62:63], v[62:63], v[138:139] neg_lo:[0,1] neg_hi:[0,1]
	v_pk_fma_f32 v[132:133], v[132:133], v[80:81], v[134:135] op_sel_hi:[1,1,0]
	s_delay_alu instid0(VALU_DEP_1) | instskip(SKIP_4) | instid1(VALU_DEP_1)
	v_mov_b32_e32 v137, v133
	ds_load_2addr_b64 v[132:135], v126 offset0:24 offset1:25
	v_pk_add_f32 v[56:57], v[56:57], v[136:137] neg_lo:[0,1] neg_hi:[0,1]
	s_wait_dscnt 0x0
	v_pk_mul_f32 v[136:137], v[132:133], v[124:125] op_sel:[0,1]
	v_pk_fma_f32 v[138:139], v[132:133], v[122:123], v[136:137] op_sel:[0,0,1] op_sel_hi:[1,1,0] neg_lo:[0,0,1] neg_hi:[0,0,1]
	v_pk_fma_f32 v[132:133], v[132:133], v[122:123], v[136:137] op_sel:[0,0,1] op_sel_hi:[1,0,0]
	s_delay_alu instid0(VALU_DEP_1) | instskip(SKIP_1) | instid1(VALU_DEP_1)
	v_mov_b32_e32 v139, v133
	v_pk_mul_f32 v[132:133], v[134:135], v[124:125] op_sel:[0,1]
	v_pk_fma_f32 v[136:137], v[134:135], v[122:123], v[132:133] op_sel:[0,0,1] op_sel_hi:[1,1,0] neg_lo:[0,0,1] neg_hi:[0,0,1]
	v_pk_fma_f32 v[132:133], v[134:135], v[122:123], v[132:133] op_sel:[0,0,1] op_sel_hi:[1,0,0]
	s_delay_alu instid0(VALU_DEP_1)
	v_mov_b32_e32 v137, v133
	ds_load_2addr_b64 v[132:135], v126 offset0:26 offset1:27
	v_pk_add_f32 v[100:101], v[100:101], v[138:139] neg_lo:[0,1] neg_hi:[0,1]
	v_pk_add_f32 v[52:53], v[52:53], v[136:137] neg_lo:[0,1] neg_hi:[0,1]
	s_wait_dscnt 0x0
	v_pk_mul_f32 v[136:137], v[132:133], v[124:125] op_sel:[0,1]
	s_delay_alu instid0(VALU_DEP_1) | instskip(SKIP_1) | instid1(VALU_DEP_1)
	v_pk_fma_f32 v[138:139], v[132:133], v[122:123], v[136:137] op_sel:[0,0,1] op_sel_hi:[1,1,0] neg_lo:[0,0,1] neg_hi:[0,0,1]
	v_pk_fma_f32 v[132:133], v[132:133], v[122:123], v[136:137] op_sel:[0,0,1] op_sel_hi:[1,0,0]
	v_mov_b32_e32 v139, v133
	v_pk_mul_f32 v[132:133], v[134:135], v[124:125] op_sel:[0,1]
	s_delay_alu instid0(VALU_DEP_1) | instskip(SKIP_1) | instid1(VALU_DEP_1)
	v_pk_fma_f32 v[136:137], v[134:135], v[122:123], v[132:133] op_sel:[0,0,1] op_sel_hi:[1,1,0] neg_lo:[0,0,1] neg_hi:[0,0,1]
	v_pk_fma_f32 v[132:133], v[134:135], v[122:123], v[132:133] op_sel:[0,0,1] op_sel_hi:[1,0,0]
	v_mov_b32_e32 v137, v133
	ds_load_2addr_b64 v[132:135], v126 offset0:28 offset1:29
	v_pk_add_f32 v[54:55], v[54:55], v[138:139] neg_lo:[0,1] neg_hi:[0,1]
	v_pk_add_f32 v[50:51], v[50:51], v[136:137] neg_lo:[0,1] neg_hi:[0,1]
	s_wait_dscnt 0x0
	v_dual_mul_f32 v136, v133, v125 :: v_dual_mul_f32 v138, v133, v122
	s_delay_alu instid0(VALU_DEP_1) | instskip(NEXT) | instid1(VALU_DEP_2)
	v_pk_fma_f32 v[136:137], v[132:133], v[80:81], v[136:137] op_sel_hi:[1,1,0] neg_lo:[0,0,1] neg_hi:[0,0,1]
	v_pk_fma_f32 v[132:133], v[132:133], v[80:81], v[138:139] op_sel:[1,0,0] op_sel_hi:[0,1,0]
	s_delay_alu instid0(VALU_DEP_1) | instskip(SKIP_1) | instid1(VALU_DEP_2)
	v_mov_b32_e32 v137, v133
	v_pk_mul_f32 v[132:133], v[134:135], v[124:125] op_sel:[0,1]
	v_pk_add_f32 v[96:97], v[96:97], v[136:137] neg_lo:[0,1] neg_hi:[0,1]
	s_delay_alu instid0(VALU_DEP_2) | instskip(SKIP_1) | instid1(VALU_DEP_1)
	v_pk_fma_f32 v[136:137], v[134:135], v[122:123], v[132:133] op_sel:[0,0,1] op_sel_hi:[1,1,0] neg_lo:[0,0,1] neg_hi:[0,0,1]
	v_pk_fma_f32 v[132:133], v[134:135], v[122:123], v[132:133] op_sel:[0,0,1] op_sel_hi:[1,0,0]
	v_mov_b32_e32 v137, v133
	ds_load_2addr_b64 v[132:135], v126 offset0:30 offset1:31
	v_pk_add_f32 v[46:47], v[46:47], v[136:137] neg_lo:[0,1] neg_hi:[0,1]
	s_wait_dscnt 0x0
	v_pk_mul_f32 v[136:137], v[132:133], v[124:125] op_sel:[0,1]
	s_delay_alu instid0(VALU_DEP_1) | instskip(SKIP_1) | instid1(VALU_DEP_1)
	v_pk_fma_f32 v[138:139], v[132:133], v[122:123], v[136:137] op_sel:[0,0,1] op_sel_hi:[1,1,0] neg_lo:[0,0,1] neg_hi:[0,0,1]
	v_pk_fma_f32 v[132:133], v[132:133], v[122:123], v[136:137] op_sel:[0,0,1] op_sel_hi:[1,0,0]
	v_mov_b32_e32 v139, v133
	v_pk_mul_f32 v[132:133], v[134:135], v[124:125] op_sel:[0,1]
	s_delay_alu instid0(VALU_DEP_2) | instskip(NEXT) | instid1(VALU_DEP_2)
	v_pk_add_f32 v[48:49], v[48:49], v[138:139] neg_lo:[0,1] neg_hi:[0,1]
	v_pk_fma_f32 v[136:137], v[134:135], v[122:123], v[132:133] op_sel:[0,0,1] op_sel_hi:[1,1,0] neg_lo:[0,0,1] neg_hi:[0,0,1]
	v_pk_fma_f32 v[132:133], v[134:135], v[122:123], v[132:133] op_sel:[0,0,1] op_sel_hi:[1,0,0]
	s_delay_alu instid0(VALU_DEP_1) | instskip(SKIP_4) | instid1(VALU_DEP_1)
	v_mov_b32_e32 v137, v133
	ds_load_2addr_b64 v[132:135], v126 offset0:32 offset1:33
	v_pk_add_f32 v[44:45], v[44:45], v[136:137] neg_lo:[0,1] neg_hi:[0,1]
	s_wait_dscnt 0x0
	v_pk_mul_f32 v[136:137], v[132:133], v[124:125] op_sel:[0,1]
	v_pk_fma_f32 v[138:139], v[132:133], v[122:123], v[136:137] op_sel:[0,0,1] op_sel_hi:[1,1,0] neg_lo:[0,0,1] neg_hi:[0,0,1]
	v_pk_fma_f32 v[132:133], v[132:133], v[122:123], v[136:137] op_sel:[0,0,1] op_sel_hi:[1,0,0]
	v_dual_mul_f32 v136, v135, v125 :: v_dual_mov_b32 v132, v135
	s_delay_alu instid0(VALU_DEP_2) | instskip(NEXT) | instid1(VALU_DEP_2)
	v_dual_mov_b32 v139, v133 :: v_dual_mov_b32 v133, v134
	v_pk_fma_f32 v[136:137], v[134:135], v[80:81], v[136:137] op_sel_hi:[1,1,0] neg_lo:[0,0,1] neg_hi:[0,0,1]
	v_mul_f32_e32 v134, v135, v122
	s_delay_alu instid0(VALU_DEP_3) | instskip(NEXT) | instid1(VALU_DEP_2)
	v_pk_add_f32 v[94:95], v[94:95], v[138:139] neg_lo:[0,1] neg_hi:[0,1]
	v_pk_fma_f32 v[132:133], v[132:133], v[80:81], v[134:135] op_sel_hi:[1,1,0]
	s_delay_alu instid0(VALU_DEP_1) | instskip(SKIP_4) | instid1(VALU_DEP_1)
	v_mov_b32_e32 v137, v133
	ds_load_2addr_b64 v[132:135], v126 offset0:34 offset1:35
	v_pk_add_f32 v[38:39], v[38:39], v[136:137] neg_lo:[0,1] neg_hi:[0,1]
	s_wait_dscnt 0x0
	v_pk_mul_f32 v[136:137], v[132:133], v[124:125] op_sel:[0,1]
	v_pk_fma_f32 v[138:139], v[132:133], v[122:123], v[136:137] op_sel:[0,0,1] op_sel_hi:[1,1,0] neg_lo:[0,0,1] neg_hi:[0,0,1]
	v_pk_fma_f32 v[132:133], v[132:133], v[122:123], v[136:137] op_sel:[0,0,1] op_sel_hi:[1,0,0]
	s_delay_alu instid0(VALU_DEP_1) | instskip(SKIP_1) | instid1(VALU_DEP_1)
	v_mov_b32_e32 v139, v133
	v_pk_mul_f32 v[132:133], v[134:135], v[124:125] op_sel:[0,1]
	v_pk_fma_f32 v[136:137], v[134:135], v[122:123], v[132:133] op_sel:[0,0,1] op_sel_hi:[1,1,0] neg_lo:[0,0,1] neg_hi:[0,0,1]
	v_pk_fma_f32 v[132:133], v[134:135], v[122:123], v[132:133] op_sel:[0,0,1] op_sel_hi:[1,0,0]
	s_delay_alu instid0(VALU_DEP_1)
	v_mov_b32_e32 v137, v133
	ds_load_2addr_b64 v[132:135], v126 offset0:36 offset1:37
	v_pk_add_f32 v[40:41], v[40:41], v[138:139] neg_lo:[0,1] neg_hi:[0,1]
	v_pk_add_f32 v[36:37], v[36:37], v[136:137] neg_lo:[0,1] neg_hi:[0,1]
	s_wait_dscnt 0x0
	v_pk_mul_f32 v[136:137], v[132:133], v[124:125] op_sel:[0,1]
	s_delay_alu instid0(VALU_DEP_1) | instskip(SKIP_1) | instid1(VALU_DEP_1)
	v_pk_fma_f32 v[138:139], v[132:133], v[122:123], v[136:137] op_sel:[0,0,1] op_sel_hi:[1,1,0] neg_lo:[0,0,1] neg_hi:[0,0,1]
	v_pk_fma_f32 v[132:133], v[132:133], v[122:123], v[136:137] op_sel:[0,0,1] op_sel_hi:[1,0,0]
	v_mov_b32_e32 v139, v133
	v_pk_mul_f32 v[132:133], v[134:135], v[124:125] op_sel:[0,1]
	s_delay_alu instid0(VALU_DEP_1) | instskip(SKIP_1) | instid1(VALU_DEP_1)
	v_pk_fma_f32 v[136:137], v[134:135], v[122:123], v[132:133] op_sel:[0,0,1] op_sel_hi:[1,1,0] neg_lo:[0,0,1] neg_hi:[0,0,1]
	v_pk_fma_f32 v[132:133], v[134:135], v[122:123], v[132:133] op_sel:[0,0,1] op_sel_hi:[1,0,0]
	v_mov_b32_e32 v137, v133
	ds_load_2addr_b64 v[132:135], v126 offset0:38 offset1:39
	v_pk_add_f32 v[92:93], v[92:93], v[138:139] neg_lo:[0,1] neg_hi:[0,1]
	v_pk_add_f32 v[32:33], v[32:33], v[136:137] neg_lo:[0,1] neg_hi:[0,1]
	s_wait_dscnt 0x0
	v_dual_mul_f32 v136, v133, v125 :: v_dual_mul_f32 v138, v133, v122
	s_delay_alu instid0(VALU_DEP_1) | instskip(NEXT) | instid1(VALU_DEP_2)
	v_pk_fma_f32 v[136:137], v[132:133], v[80:81], v[136:137] op_sel_hi:[1,1,0] neg_lo:[0,0,1] neg_hi:[0,0,1]
	v_pk_fma_f32 v[132:133], v[132:133], v[80:81], v[138:139] op_sel:[1,0,0] op_sel_hi:[0,1,0]
	s_delay_alu instid0(VALU_DEP_1) | instskip(SKIP_1) | instid1(VALU_DEP_2)
	v_mov_b32_e32 v137, v133
	v_pk_mul_f32 v[132:133], v[134:135], v[124:125] op_sel:[0,1]
	v_pk_add_f32 v[34:35], v[34:35], v[136:137] neg_lo:[0,1] neg_hi:[0,1]
	s_delay_alu instid0(VALU_DEP_2) | instskip(SKIP_1) | instid1(VALU_DEP_1)
	v_pk_fma_f32 v[136:137], v[134:135], v[122:123], v[132:133] op_sel:[0,0,1] op_sel_hi:[1,1,0] neg_lo:[0,0,1] neg_hi:[0,0,1]
	v_pk_fma_f32 v[132:133], v[134:135], v[122:123], v[132:133] op_sel:[0,0,1] op_sel_hi:[1,0,0]
	v_mov_b32_e32 v137, v133
	ds_load_2addr_b64 v[132:135], v126 offset0:40 offset1:41
	v_pk_add_f32 v[30:31], v[30:31], v[136:137] neg_lo:[0,1] neg_hi:[0,1]
	s_wait_dscnt 0x0
	v_pk_mul_f32 v[136:137], v[132:133], v[124:125] op_sel:[0,1]
	s_delay_alu instid0(VALU_DEP_1) | instskip(SKIP_1) | instid1(VALU_DEP_1)
	v_pk_fma_f32 v[138:139], v[132:133], v[122:123], v[136:137] op_sel:[0,0,1] op_sel_hi:[1,1,0] neg_lo:[0,0,1] neg_hi:[0,0,1]
	v_pk_fma_f32 v[132:133], v[132:133], v[122:123], v[136:137] op_sel:[0,0,1] op_sel_hi:[1,0,0]
	v_mov_b32_e32 v139, v133
	v_pk_mul_f32 v[132:133], v[134:135], v[124:125] op_sel:[0,1]
	s_delay_alu instid0(VALU_DEP_2) | instskip(NEXT) | instid1(VALU_DEP_2)
	v_pk_add_f32 v[90:91], v[90:91], v[138:139] neg_lo:[0,1] neg_hi:[0,1]
	v_pk_fma_f32 v[136:137], v[134:135], v[122:123], v[132:133] op_sel:[0,0,1] op_sel_hi:[1,1,0] neg_lo:[0,0,1] neg_hi:[0,0,1]
	v_pk_fma_f32 v[132:133], v[134:135], v[122:123], v[132:133] op_sel:[0,0,1] op_sel_hi:[1,0,0]
	s_delay_alu instid0(VALU_DEP_1) | instskip(SKIP_4) | instid1(VALU_DEP_1)
	v_mov_b32_e32 v137, v133
	ds_load_2addr_b64 v[132:135], v126 offset0:42 offset1:43
	v_pk_add_f32 v[24:25], v[24:25], v[136:137] neg_lo:[0,1] neg_hi:[0,1]
	s_wait_dscnt 0x0
	v_pk_mul_f32 v[136:137], v[132:133], v[124:125] op_sel:[0,1]
	v_pk_fma_f32 v[138:139], v[132:133], v[122:123], v[136:137] op_sel:[0,0,1] op_sel_hi:[1,1,0] neg_lo:[0,0,1] neg_hi:[0,0,1]
	v_pk_fma_f32 v[132:133], v[132:133], v[122:123], v[136:137] op_sel:[0,0,1] op_sel_hi:[1,0,0]
	v_dual_mul_f32 v136, v135, v125 :: v_dual_mov_b32 v132, v135
	s_delay_alu instid0(VALU_DEP_2) | instskip(NEXT) | instid1(VALU_DEP_2)
	v_dual_mov_b32 v139, v133 :: v_dual_mov_b32 v133, v134
	v_pk_fma_f32 v[136:137], v[134:135], v[80:81], v[136:137] op_sel_hi:[1,1,0] neg_lo:[0,0,1] neg_hi:[0,0,1]
	v_mul_f32_e32 v134, v135, v122
	s_delay_alu instid0(VALU_DEP_3) | instskip(NEXT) | instid1(VALU_DEP_2)
	v_pk_add_f32 v[26:27], v[26:27], v[138:139] neg_lo:[0,1] neg_hi:[0,1]
	v_pk_fma_f32 v[132:133], v[132:133], v[80:81], v[134:135] op_sel_hi:[1,1,0]
	s_delay_alu instid0(VALU_DEP_1) | instskip(SKIP_4) | instid1(VALU_DEP_1)
	v_mov_b32_e32 v137, v133
	ds_load_2addr_b64 v[132:135], v126 offset0:44 offset1:45
	v_pk_add_f32 v[22:23], v[22:23], v[136:137] neg_lo:[0,1] neg_hi:[0,1]
	s_wait_dscnt 0x0
	v_pk_mul_f32 v[136:137], v[132:133], v[124:125] op_sel:[0,1]
	v_pk_fma_f32 v[138:139], v[132:133], v[122:123], v[136:137] op_sel:[0,0,1] op_sel_hi:[1,1,0] neg_lo:[0,0,1] neg_hi:[0,0,1]
	v_pk_fma_f32 v[132:133], v[132:133], v[122:123], v[136:137] op_sel:[0,0,1] op_sel_hi:[1,0,0]
	s_delay_alu instid0(VALU_DEP_1) | instskip(SKIP_1) | instid1(VALU_DEP_1)
	v_mov_b32_e32 v139, v133
	v_pk_mul_f32 v[132:133], v[134:135], v[124:125] op_sel:[0,1]
	v_pk_fma_f32 v[136:137], v[134:135], v[122:123], v[132:133] op_sel:[0,0,1] op_sel_hi:[1,1,0] neg_lo:[0,0,1] neg_hi:[0,0,1]
	v_pk_fma_f32 v[132:133], v[134:135], v[122:123], v[132:133] op_sel:[0,0,1] op_sel_hi:[1,0,0]
	s_delay_alu instid0(VALU_DEP_1)
	v_mov_b32_e32 v137, v133
	ds_load_2addr_b64 v[132:135], v126 offset0:46 offset1:47
	v_pk_add_f32 v[88:89], v[88:89], v[138:139] neg_lo:[0,1] neg_hi:[0,1]
	v_pk_add_f32 v[18:19], v[18:19], v[136:137] neg_lo:[0,1] neg_hi:[0,1]
	s_wait_dscnt 0x0
	v_pk_mul_f32 v[136:137], v[132:133], v[124:125] op_sel:[0,1]
	s_delay_alu instid0(VALU_DEP_1) | instskip(SKIP_1) | instid1(VALU_DEP_1)
	v_pk_fma_f32 v[138:139], v[132:133], v[122:123], v[136:137] op_sel:[0,0,1] op_sel_hi:[1,1,0] neg_lo:[0,0,1] neg_hi:[0,0,1]
	v_pk_fma_f32 v[132:133], v[132:133], v[122:123], v[136:137] op_sel:[0,0,1] op_sel_hi:[1,0,0]
	v_mov_b32_e32 v139, v133
	v_pk_mul_f32 v[132:133], v[134:135], v[124:125] op_sel:[0,1]
	s_delay_alu instid0(VALU_DEP_1) | instskip(SKIP_1) | instid1(VALU_DEP_1)
	v_pk_fma_f32 v[136:137], v[134:135], v[122:123], v[132:133] op_sel:[0,0,1] op_sel_hi:[1,1,0] neg_lo:[0,0,1] neg_hi:[0,0,1]
	v_pk_fma_f32 v[132:133], v[134:135], v[122:123], v[132:133] op_sel:[0,0,1] op_sel_hi:[1,0,0]
	v_mov_b32_e32 v137, v133
	ds_load_2addr_b64 v[132:135], v126 offset0:48 offset1:49
	v_pk_add_f32 v[20:21], v[20:21], v[138:139] neg_lo:[0,1] neg_hi:[0,1]
	v_pk_add_f32 v[16:17], v[16:17], v[136:137] neg_lo:[0,1] neg_hi:[0,1]
	s_wait_dscnt 0x0
	v_dual_mul_f32 v136, v133, v125 :: v_dual_mul_f32 v138, v133, v122
	s_delay_alu instid0(VALU_DEP_1) | instskip(NEXT) | instid1(VALU_DEP_2)
	v_pk_fma_f32 v[136:137], v[132:133], v[80:81], v[136:137] op_sel_hi:[1,1,0] neg_lo:[0,0,1] neg_hi:[0,0,1]
	v_pk_fma_f32 v[132:133], v[132:133], v[80:81], v[138:139] op_sel:[1,0,0] op_sel_hi:[0,1,0]
	s_delay_alu instid0(VALU_DEP_1) | instskip(SKIP_1) | instid1(VALU_DEP_2)
	v_mov_b32_e32 v137, v133
	v_pk_mul_f32 v[132:133], v[134:135], v[124:125] op_sel:[0,1]
	v_pk_add_f32 v[84:85], v[84:85], v[136:137] neg_lo:[0,1] neg_hi:[0,1]
	s_delay_alu instid0(VALU_DEP_2) | instskip(SKIP_1) | instid1(VALU_DEP_1)
	v_pk_fma_f32 v[136:137], v[134:135], v[122:123], v[132:133] op_sel:[0,0,1] op_sel_hi:[1,1,0] neg_lo:[0,0,1] neg_hi:[0,0,1]
	v_pk_fma_f32 v[132:133], v[134:135], v[122:123], v[132:133] op_sel:[0,0,1] op_sel_hi:[1,0,0]
	v_mov_b32_e32 v137, v133
	ds_load_2addr_b64 v[132:135], v126 offset0:50 offset1:51
	v_pk_add_f32 v[10:11], v[10:11], v[136:137] neg_lo:[0,1] neg_hi:[0,1]
	s_wait_dscnt 0x0
	v_pk_mul_f32 v[136:137], v[132:133], v[124:125] op_sel:[0,1]
	s_delay_alu instid0(VALU_DEP_1) | instskip(SKIP_1) | instid1(VALU_DEP_1)
	v_pk_fma_f32 v[138:139], v[132:133], v[122:123], v[136:137] op_sel:[0,0,1] op_sel_hi:[1,1,0] neg_lo:[0,0,1] neg_hi:[0,0,1]
	v_pk_fma_f32 v[132:133], v[132:133], v[122:123], v[136:137] op_sel:[0,0,1] op_sel_hi:[1,0,0]
	v_mov_b32_e32 v139, v133
	v_pk_mul_f32 v[132:133], v[134:135], v[124:125] op_sel:[0,1]
	s_delay_alu instid0(VALU_DEP_2) | instskip(NEXT) | instid1(VALU_DEP_2)
	v_pk_add_f32 v[12:13], v[12:13], v[138:139] neg_lo:[0,1] neg_hi:[0,1]
	v_pk_fma_f32 v[136:137], v[134:135], v[122:123], v[132:133] op_sel:[0,0,1] op_sel_hi:[1,1,0] neg_lo:[0,0,1] neg_hi:[0,0,1]
	v_pk_fma_f32 v[132:133], v[134:135], v[122:123], v[132:133] op_sel:[0,0,1] op_sel_hi:[1,0,0]
	s_delay_alu instid0(VALU_DEP_1) | instskip(SKIP_4) | instid1(VALU_DEP_1)
	v_mov_b32_e32 v137, v133
	ds_load_2addr_b64 v[132:135], v126 offset0:52 offset1:53
	v_pk_add_f32 v[8:9], v[8:9], v[136:137] neg_lo:[0,1] neg_hi:[0,1]
	s_wait_dscnt 0x0
	v_pk_mul_f32 v[136:137], v[132:133], v[124:125] op_sel:[0,1]
	v_pk_fma_f32 v[138:139], v[132:133], v[122:123], v[136:137] op_sel:[0,0,1] op_sel_hi:[1,1,0] neg_lo:[0,0,1] neg_hi:[0,0,1]
	v_pk_fma_f32 v[132:133], v[132:133], v[122:123], v[136:137] op_sel:[0,0,1] op_sel_hi:[1,0,0]
	v_dual_mul_f32 v136, v135, v125 :: v_dual_mov_b32 v132, v135
	s_delay_alu instid0(VALU_DEP_2) | instskip(NEXT) | instid1(VALU_DEP_2)
	v_dual_mov_b32 v139, v133 :: v_dual_mov_b32 v133, v134
	v_pk_fma_f32 v[136:137], v[134:135], v[80:81], v[136:137] op_sel_hi:[1,1,0] neg_lo:[0,0,1] neg_hi:[0,0,1]
	v_mul_f32_e32 v134, v135, v122
	s_delay_alu instid0(VALU_DEP_3) | instskip(NEXT) | instid1(VALU_DEP_2)
	v_pk_add_f32 v[60:61], v[60:61], v[138:139] neg_lo:[0,1] neg_hi:[0,1]
	v_pk_fma_f32 v[132:133], v[132:133], v[80:81], v[134:135] op_sel_hi:[1,1,0]
	s_delay_alu instid0(VALU_DEP_1) | instskip(SKIP_4) | instid1(VALU_DEP_1)
	v_mov_b32_e32 v137, v133
	ds_load_2addr_b64 v[132:135], v126 offset0:54 offset1:55
	v_pk_add_f32 v[6:7], v[6:7], v[136:137] neg_lo:[0,1] neg_hi:[0,1]
	s_wait_dscnt 0x0
	v_pk_mul_f32 v[136:137], v[132:133], v[124:125] op_sel:[0,1]
	v_pk_fma_f32 v[138:139], v[132:133], v[122:123], v[136:137] op_sel:[0,0,1] op_sel_hi:[1,1,0] neg_lo:[0,0,1] neg_hi:[0,0,1]
	v_pk_fma_f32 v[132:133], v[132:133], v[122:123], v[136:137] op_sel:[0,0,1] op_sel_hi:[1,0,0]
	s_delay_alu instid0(VALU_DEP_1) | instskip(SKIP_1) | instid1(VALU_DEP_1)
	v_mov_b32_e32 v139, v133
	v_pk_mul_f32 v[132:133], v[134:135], v[124:125] op_sel:[0,1]
	v_pk_fma_f32 v[136:137], v[134:135], v[122:123], v[132:133] op_sel:[0,0,1] op_sel_hi:[1,1,0] neg_lo:[0,0,1] neg_hi:[0,0,1]
	v_pk_fma_f32 v[132:133], v[134:135], v[122:123], v[132:133] op_sel:[0,0,1] op_sel_hi:[1,0,0]
	s_delay_alu instid0(VALU_DEP_1)
	v_mov_b32_e32 v137, v133
	ds_load_2addr_b64 v[132:135], v126 offset0:56 offset1:57
	v_pk_add_f32 v[42:43], v[42:43], v[138:139] neg_lo:[0,1] neg_hi:[0,1]
	v_pk_add_f32 v[28:29], v[28:29], v[136:137] neg_lo:[0,1] neg_hi:[0,1]
	s_wait_dscnt 0x0
	v_pk_mul_f32 v[136:137], v[132:133], v[124:125] op_sel:[0,1]
	v_mul_f32_e32 v124, v135, v125
	s_delay_alu instid0(VALU_DEP_2) | instskip(SKIP_2) | instid1(VALU_DEP_4)
	v_pk_fma_f32 v[138:139], v[132:133], v[122:123], v[136:137] op_sel:[0,0,1] op_sel_hi:[1,1,0] neg_lo:[0,0,1] neg_hi:[0,0,1]
	v_pk_fma_f32 v[132:133], v[132:133], v[122:123], v[136:137] op_sel:[0,0,1] op_sel_hi:[1,0,0]
	v_dual_mov_b32 v132, v135 :: v_dual_mul_f32 v122, v135, v122
	v_pk_fma_f32 v[124:125], v[134:135], v[80:81], v[124:125] op_sel_hi:[1,1,0] neg_lo:[0,0,1] neg_hi:[0,0,1]
	s_delay_alu instid0(VALU_DEP_3) | instskip(NEXT) | instid1(VALU_DEP_1)
	v_dual_mov_b32 v139, v133 :: v_dual_mov_b32 v133, v134
	v_pk_add_f32 v[14:15], v[14:15], v[138:139] neg_lo:[0,1] neg_hi:[0,1]
	s_delay_alu instid0(VALU_DEP_2) | instskip(NEXT) | instid1(VALU_DEP_1)
	v_pk_fma_f32 v[122:123], v[132:133], v[80:81], v[122:123] op_sel_hi:[1,1,0]
	v_mov_b32_e32 v125, v123
	s_delay_alu instid0(VALU_DEP_1)
	v_pk_add_f32 v[120:121], v[120:121], v[124:125] neg_lo:[0,1] neg_hi:[0,1]
.LBB114_209:
	s_or_b32 exec_lo, exec_lo, s0
	v_lshl_add_u32 v122, v130, 3, v126
	s_barrier_signal -1
	s_barrier_wait -1
	ds_store_b64 v122, v[82:83]
	s_wait_dscnt 0x0
	s_barrier_signal -1
	s_barrier_wait -1
	ds_load_b64 v[124:125], v126 offset:80
	v_mov_b32_e32 v122, 10
	s_cmp_lt_i32 s18, 12
	s_cbranch_scc1 .LBB114_212
; %bb.210:
	v_add3_u32 v123, v127, 0, 0x58
	v_mov_b32_e32 v122, 10
	s_mov_b32 s0, 11
.LBB114_211:                            ; =>This Inner Loop Header: Depth=1
	ds_load_b64 v[132:133], v123
	s_wait_dscnt 0x1
	v_cmp_gt_f32_e32 vcc_lo, 0, v124
	v_cndmask_b32_e64 v134, v124, -v124, vcc_lo
	v_cmp_gt_f32_e32 vcc_lo, 0, v125
	v_cndmask_b32_e64 v136, v125, -v125, vcc_lo
	s_wait_dscnt 0x0
	v_cmp_gt_f32_e32 vcc_lo, 0, v132
	v_cndmask_b32_e64 v135, v132, -v132, vcc_lo
	v_cmp_gt_f32_e32 vcc_lo, 0, v133
	v_cndmask_b32_e64 v137, v133, -v133, vcc_lo
	s_delay_alu instid0(VALU_DEP_1) | instskip(NEXT) | instid1(VALU_DEP_1)
	v_pk_add_f32 v[134:135], v[134:135], v[136:137]
	v_cmp_lt_f32_e32 vcc_lo, v134, v135
	v_dual_add_nc_u32 v123, 8, v123 :: v_dual_cndmask_b32 v125, v125, v133, vcc_lo
	v_cndmask_b32_e32 v124, v124, v132, vcc_lo
	v_cndmask_b32_e64 v122, v122, s0, vcc_lo
	s_add_co_i32 s0, s0, 1
	s_delay_alu instid0(SALU_CYCLE_1)
	s_cmp_lg_u32 s18, s0
	s_cbranch_scc1 .LBB114_211
.LBB114_212:
	s_wait_dscnt 0x0
	v_cmp_eq_f32_e32 vcc_lo, 0, v124
	v_cmp_eq_f32_e64 s0, 0, v125
	s_and_b32 s0, vcc_lo, s0
	s_delay_alu instid0(SALU_CYCLE_1) | instskip(NEXT) | instid1(SALU_CYCLE_1)
	s_and_saveexec_b32 s1, s0
	s_xor_b32 s0, exec_lo, s1
; %bb.213:
	v_cmp_ne_u32_e32 vcc_lo, 0, v128
	v_cndmask_b32_e32 v128, 11, v128, vcc_lo
; %bb.214:
	s_and_not1_saveexec_b32 s0, s0
	s_cbranch_execz .LBB114_220
; %bb.215:
	v_cmp_ngt_f32_e64 s1, |v124|, |v125|
	s_and_saveexec_b32 s12, s1
	s_delay_alu instid0(SALU_CYCLE_1)
	s_xor_b32 s1, exec_lo, s12
	s_cbranch_execz .LBB114_217
; %bb.216:
	v_div_scale_f32 v123, null, v125, v125, v124
	v_div_scale_f32 v133, vcc_lo, v124, v125, v124
	s_delay_alu instid0(VALU_DEP_2) | instskip(SKIP_1) | instid1(TRANS32_DEP_1)
	v_rcp_f32_e32 v131, v123
	v_nop
	v_fma_f32 v132, -v123, v131, 1.0
	s_delay_alu instid0(VALU_DEP_1) | instskip(NEXT) | instid1(VALU_DEP_1)
	v_fmac_f32_e32 v131, v132, v131
	v_mul_f32_e32 v132, v133, v131
	s_delay_alu instid0(VALU_DEP_1) | instskip(NEXT) | instid1(VALU_DEP_1)
	v_fma_f32 v134, -v123, v132, v133
	v_fmac_f32_e32 v132, v134, v131
	s_delay_alu instid0(VALU_DEP_1) | instskip(NEXT) | instid1(VALU_DEP_1)
	v_fma_f32 v123, -v123, v132, v133
	v_div_fmas_f32 v123, v123, v131, v132
	s_delay_alu instid0(VALU_DEP_1) | instskip(NEXT) | instid1(VALU_DEP_1)
	v_div_fixup_f32 v123, v123, v125, v124
	v_fmac_f32_e32 v125, v124, v123
	s_delay_alu instid0(VALU_DEP_1) | instskip(SKIP_1) | instid1(VALU_DEP_2)
	v_div_scale_f32 v124, null, v125, v125, 1.0
	v_div_scale_f32 v133, vcc_lo, 1.0, v125, 1.0
	v_rcp_f32_e32 v131, v124
	v_nop
	s_delay_alu instid0(TRANS32_DEP_1) | instskip(NEXT) | instid1(VALU_DEP_1)
	v_fma_f32 v132, -v124, v131, 1.0
	v_fmac_f32_e32 v131, v132, v131
	s_delay_alu instid0(VALU_DEP_1) | instskip(NEXT) | instid1(VALU_DEP_1)
	v_mul_f32_e32 v132, v133, v131
	v_fma_f32 v134, -v124, v132, v133
	s_delay_alu instid0(VALU_DEP_1) | instskip(NEXT) | instid1(VALU_DEP_1)
	v_fmac_f32_e32 v132, v134, v131
	v_fma_f32 v124, -v124, v132, v133
	s_delay_alu instid0(VALU_DEP_1) | instskip(NEXT) | instid1(VALU_DEP_1)
	v_div_fmas_f32 v124, v124, v131, v132
	v_div_fixup_f32 v125, v124, v125, 1.0
	s_delay_alu instid0(VALU_DEP_1)
	v_mul_f32_e32 v124, v123, v125
	v_xor_b32_e32 v125, 0x80000000, v125
.LBB114_217:
	s_and_not1_saveexec_b32 s1, s1
	s_cbranch_execz .LBB114_219
; %bb.218:
	s_delay_alu instid0(VALU_DEP_1) | instskip(SKIP_1) | instid1(VALU_DEP_2)
	v_div_scale_f32 v123, null, v124, v124, v125
	v_div_scale_f32 v133, vcc_lo, v125, v124, v125
	v_rcp_f32_e32 v131, v123
	v_nop
	s_delay_alu instid0(TRANS32_DEP_1) | instskip(NEXT) | instid1(VALU_DEP_1)
	v_fma_f32 v132, -v123, v131, 1.0
	v_fmac_f32_e32 v131, v132, v131
	s_delay_alu instid0(VALU_DEP_1) | instskip(NEXT) | instid1(VALU_DEP_1)
	v_mul_f32_e32 v132, v133, v131
	v_fma_f32 v134, -v123, v132, v133
	s_delay_alu instid0(VALU_DEP_1) | instskip(NEXT) | instid1(VALU_DEP_1)
	v_fmac_f32_e32 v132, v134, v131
	v_fma_f32 v123, -v123, v132, v133
	s_delay_alu instid0(VALU_DEP_1) | instskip(NEXT) | instid1(VALU_DEP_1)
	v_div_fmas_f32 v123, v123, v131, v132
	v_div_fixup_f32 v123, v123, v124, v125
	s_delay_alu instid0(VALU_DEP_1) | instskip(NEXT) | instid1(VALU_DEP_1)
	v_fmac_f32_e32 v124, v125, v123
	v_div_scale_f32 v125, null, v124, v124, 1.0
	s_delay_alu instid0(VALU_DEP_1) | instskip(SKIP_1) | instid1(TRANS32_DEP_1)
	v_rcp_f32_e32 v131, v125
	v_nop
	v_fma_f32 v132, -v125, v131, 1.0
	s_delay_alu instid0(VALU_DEP_1) | instskip(SKIP_1) | instid1(VALU_DEP_1)
	v_fmac_f32_e32 v131, v132, v131
	v_div_scale_f32 v132, vcc_lo, 1.0, v124, 1.0
	v_mul_f32_e32 v133, v132, v131
	s_delay_alu instid0(VALU_DEP_1) | instskip(NEXT) | instid1(VALU_DEP_1)
	v_fma_f32 v134, -v125, v133, v132
	v_fmac_f32_e32 v133, v134, v131
	s_delay_alu instid0(VALU_DEP_1) | instskip(NEXT) | instid1(VALU_DEP_1)
	v_fma_f32 v125, -v125, v133, v132
	v_div_fmas_f32 v125, v125, v131, v133
	s_delay_alu instid0(VALU_DEP_1) | instskip(NEXT) | instid1(VALU_DEP_1)
	v_div_fixup_f32 v124, v125, v124, 1.0
	v_mul_f32_e64 v125, v123, -v124
.LBB114_219:
	s_or_b32 exec_lo, exec_lo, s1
.LBB114_220:
	s_delay_alu instid0(SALU_CYCLE_1) | instskip(NEXT) | instid1(SALU_CYCLE_1)
	s_or_b32 exec_lo, exec_lo, s0
	s_mov_b32 s0, exec_lo
	v_cmpx_ne_u32_e64 v130, v122
	s_xor_b32 s0, exec_lo, s0
	s_cbranch_execz .LBB114_226
; %bb.221:
	s_mov_b32 s1, exec_lo
	v_cmpx_eq_u32_e32 10, v130
	s_cbranch_execz .LBB114_225
; %bb.222:
	v_cmp_ne_u32_e32 vcc_lo, 10, v122
	s_xor_b32 s12, s16, -1
	s_delay_alu instid0(SALU_CYCLE_1) | instskip(NEXT) | instid1(SALU_CYCLE_1)
	s_and_b32 s13, s12, vcc_lo
	s_and_saveexec_b32 s12, s13
	s_cbranch_execz .LBB114_224
; %bb.223:
	v_ashrrev_i32_e32 v123, 31, v122
	s_delay_alu instid0(VALU_DEP_1)
	v_lshl_add_u64 v[130:131], v[122:123], 2, v[4:5]
	s_clause 0x1
	global_load_b32 v123, v[130:131], off
	global_load_b32 v129, v[4:5], off offset:40
	s_wait_loadcnt 0x1
	global_store_b32 v[4:5], v123, off offset:40
	s_wait_loadcnt 0x0
	global_store_b32 v[130:131], v129, off
.LBB114_224:
	s_wait_xcnt 0x0
	s_or_b32 exec_lo, exec_lo, s12
	v_dual_mov_b32 v130, v122 :: v_dual_mov_b32 v129, v122
.LBB114_225:
	s_or_b32 exec_lo, exec_lo, s1
.LBB114_226:
	s_and_not1_saveexec_b32 s0, s0
	s_cbranch_execz .LBB114_228
; %bb.227:
	v_mov_b32_e32 v130, 10
	ds_store_2addr_b64 v126, v[78:79], v[106:107] offset0:11 offset1:12
	ds_store_2addr_b64 v126, v[74:75], v[76:77] offset0:13 offset1:14
	;; [unrolled: 1-line block ×23, first 2 shown]
	ds_store_b64 v126, v[120:121] offset:456
.LBB114_228:
	s_or_b32 exec_lo, exec_lo, s0
	s_delay_alu instid0(SALU_CYCLE_1)
	s_mov_b32 s0, exec_lo
	s_wait_storecnt_dscnt 0x0
	s_barrier_signal -1
	s_barrier_wait -1
	v_cmpx_lt_i32_e32 10, v130
	s_cbranch_execz .LBB114_230
; %bb.229:
	v_pk_mul_f32 v[132:133], v[124:125], v[82:83] op_sel:[1,1] op_sel_hi:[0,1]
	s_delay_alu instid0(VALU_DEP_1)
	v_pk_fma_f32 v[122:123], v[124:125], v[82:83], v[132:133] op_sel_hi:[1,0,1] neg_lo:[0,0,1] neg_hi:[0,0,1]
	v_pk_fma_f32 v[124:125], v[124:125], v[82:83], v[132:133] op_sel_hi:[1,0,1]
	ds_load_2addr_b64 v[132:135], v126 offset0:11 offset1:12
	v_dual_mov_b32 v82, v122 :: v_dual_mov_b32 v83, v125
	s_wait_dscnt 0x0
	v_pk_mul_f32 v[136:137], v[132:133], v[124:125] op_sel:[0,1]
	s_delay_alu instid0(VALU_DEP_1) | instskip(SKIP_1) | instid1(VALU_DEP_1)
	v_pk_fma_f32 v[138:139], v[132:133], v[122:123], v[136:137] op_sel:[0,0,1] op_sel_hi:[1,1,0] neg_lo:[0,0,1] neg_hi:[0,0,1]
	v_pk_fma_f32 v[132:133], v[132:133], v[122:123], v[136:137] op_sel:[0,0,1] op_sel_hi:[1,0,0]
	v_mov_b32_e32 v139, v133
	v_pk_mul_f32 v[132:133], v[134:135], v[124:125] op_sel:[0,1]
	s_delay_alu instid0(VALU_DEP_1) | instskip(SKIP_1) | instid1(VALU_DEP_1)
	v_pk_fma_f32 v[136:137], v[134:135], v[122:123], v[132:133] op_sel:[0,0,1] op_sel_hi:[1,1,0] neg_lo:[0,0,1] neg_hi:[0,0,1]
	v_pk_fma_f32 v[132:133], v[134:135], v[122:123], v[132:133] op_sel:[0,0,1] op_sel_hi:[1,0,0]
	v_mov_b32_e32 v137, v133
	ds_load_2addr_b64 v[132:135], v126 offset0:13 offset1:14
	v_pk_add_f32 v[78:79], v[78:79], v[138:139] neg_lo:[0,1] neg_hi:[0,1]
	v_pk_add_f32 v[106:107], v[106:107], v[136:137] neg_lo:[0,1] neg_hi:[0,1]
	s_wait_dscnt 0x0
	v_pk_mul_f32 v[136:137], v[132:133], v[124:125] op_sel:[0,1]
	s_delay_alu instid0(VALU_DEP_1) | instskip(SKIP_2) | instid1(VALU_DEP_2)
	v_pk_fma_f32 v[138:139], v[132:133], v[122:123], v[136:137] op_sel:[0,0,1] op_sel_hi:[1,1,0] neg_lo:[0,0,1] neg_hi:[0,0,1]
	v_pk_fma_f32 v[132:133], v[132:133], v[122:123], v[136:137] op_sel:[0,0,1] op_sel_hi:[1,0,0]
	v_dual_mul_f32 v136, v135, v125 :: v_dual_mov_b32 v132, v135
	v_dual_mov_b32 v139, v133 :: v_dual_mov_b32 v133, v134
	s_delay_alu instid0(VALU_DEP_2) | instskip(SKIP_1) | instid1(VALU_DEP_3)
	v_pk_fma_f32 v[136:137], v[134:135], v[82:83], v[136:137] op_sel_hi:[1,1,0] neg_lo:[0,0,1] neg_hi:[0,0,1]
	v_mul_f32_e32 v134, v135, v122
	v_pk_add_f32 v[74:75], v[74:75], v[138:139] neg_lo:[0,1] neg_hi:[0,1]
	s_delay_alu instid0(VALU_DEP_2) | instskip(NEXT) | instid1(VALU_DEP_1)
	v_pk_fma_f32 v[132:133], v[132:133], v[82:83], v[134:135] op_sel_hi:[1,1,0]
	v_mov_b32_e32 v137, v133
	ds_load_2addr_b64 v[132:135], v126 offset0:15 offset1:16
	v_pk_add_f32 v[76:77], v[76:77], v[136:137] neg_lo:[0,1] neg_hi:[0,1]
	s_wait_dscnt 0x0
	v_pk_mul_f32 v[136:137], v[132:133], v[124:125] op_sel:[0,1]
	s_delay_alu instid0(VALU_DEP_1) | instskip(SKIP_1) | instid1(VALU_DEP_1)
	v_pk_fma_f32 v[138:139], v[132:133], v[122:123], v[136:137] op_sel:[0,0,1] op_sel_hi:[1,1,0] neg_lo:[0,0,1] neg_hi:[0,0,1]
	v_pk_fma_f32 v[132:133], v[132:133], v[122:123], v[136:137] op_sel:[0,0,1] op_sel_hi:[1,0,0]
	v_mov_b32_e32 v139, v133
	v_pk_mul_f32 v[132:133], v[134:135], v[124:125] op_sel:[0,1]
	s_delay_alu instid0(VALU_DEP_1) | instskip(SKIP_1) | instid1(VALU_DEP_1)
	v_pk_fma_f32 v[136:137], v[134:135], v[122:123], v[132:133] op_sel:[0,0,1] op_sel_hi:[1,1,0] neg_lo:[0,0,1] neg_hi:[0,0,1]
	v_pk_fma_f32 v[132:133], v[134:135], v[122:123], v[132:133] op_sel:[0,0,1] op_sel_hi:[1,0,0]
	v_mov_b32_e32 v137, v133
	ds_load_2addr_b64 v[132:135], v126 offset0:17 offset1:18
	v_pk_add_f32 v[72:73], v[72:73], v[138:139] neg_lo:[0,1] neg_hi:[0,1]
	v_pk_add_f32 v[104:105], v[104:105], v[136:137] neg_lo:[0,1] neg_hi:[0,1]
	s_wait_dscnt 0x0
	v_pk_mul_f32 v[136:137], v[132:133], v[124:125] op_sel:[0,1]
	s_delay_alu instid0(VALU_DEP_1) | instskip(SKIP_1) | instid1(VALU_DEP_1)
	v_pk_fma_f32 v[138:139], v[132:133], v[122:123], v[136:137] op_sel:[0,0,1] op_sel_hi:[1,1,0] neg_lo:[0,0,1] neg_hi:[0,0,1]
	v_pk_fma_f32 v[132:133], v[132:133], v[122:123], v[136:137] op_sel:[0,0,1] op_sel_hi:[1,0,0]
	v_mov_b32_e32 v139, v133
	v_pk_mul_f32 v[132:133], v[134:135], v[124:125] op_sel:[0,1]
	s_delay_alu instid0(VALU_DEP_1) | instskip(SKIP_1) | instid1(VALU_DEP_1)
	v_pk_fma_f32 v[136:137], v[134:135], v[122:123], v[132:133] op_sel:[0,0,1] op_sel_hi:[1,1,0] neg_lo:[0,0,1] neg_hi:[0,0,1]
	v_pk_fma_f32 v[132:133], v[134:135], v[122:123], v[132:133] op_sel:[0,0,1] op_sel_hi:[1,0,0]
	v_mov_b32_e32 v137, v133
	ds_load_2addr_b64 v[132:135], v126 offset0:19 offset1:20
	v_pk_add_f32 v[66:67], v[66:67], v[138:139] neg_lo:[0,1] neg_hi:[0,1]
	v_pk_add_f32 v[68:69], v[68:69], v[136:137] neg_lo:[0,1] neg_hi:[0,1]
	s_wait_dscnt 0x0
	v_dual_mul_f32 v136, v133, v125 :: v_dual_mul_f32 v138, v133, v122
	s_delay_alu instid0(VALU_DEP_1) | instskip(NEXT) | instid1(VALU_DEP_2)
	v_pk_fma_f32 v[136:137], v[132:133], v[82:83], v[136:137] op_sel_hi:[1,1,0] neg_lo:[0,0,1] neg_hi:[0,0,1]
	v_pk_fma_f32 v[132:133], v[132:133], v[82:83], v[138:139] op_sel:[1,0,0] op_sel_hi:[0,1,0]
	s_delay_alu instid0(VALU_DEP_1) | instskip(SKIP_1) | instid1(VALU_DEP_2)
	v_mov_b32_e32 v137, v133
	v_pk_mul_f32 v[132:133], v[134:135], v[124:125] op_sel:[0,1]
	v_pk_add_f32 v[64:65], v[64:65], v[136:137] neg_lo:[0,1] neg_hi:[0,1]
	s_delay_alu instid0(VALU_DEP_2) | instskip(SKIP_1) | instid1(VALU_DEP_1)
	v_pk_fma_f32 v[136:137], v[134:135], v[122:123], v[132:133] op_sel:[0,0,1] op_sel_hi:[1,1,0] neg_lo:[0,0,1] neg_hi:[0,0,1]
	v_pk_fma_f32 v[132:133], v[134:135], v[122:123], v[132:133] op_sel:[0,0,1] op_sel_hi:[1,0,0]
	v_mov_b32_e32 v137, v133
	ds_load_2addr_b64 v[132:135], v126 offset0:21 offset1:22
	v_pk_add_f32 v[102:103], v[102:103], v[136:137] neg_lo:[0,1] neg_hi:[0,1]
	s_wait_dscnt 0x0
	v_pk_mul_f32 v[136:137], v[132:133], v[124:125] op_sel:[0,1]
	s_delay_alu instid0(VALU_DEP_1) | instskip(SKIP_1) | instid1(VALU_DEP_1)
	v_pk_fma_f32 v[138:139], v[132:133], v[122:123], v[136:137] op_sel:[0,0,1] op_sel_hi:[1,1,0] neg_lo:[0,0,1] neg_hi:[0,0,1]
	v_pk_fma_f32 v[132:133], v[132:133], v[122:123], v[136:137] op_sel:[0,0,1] op_sel_hi:[1,0,0]
	v_mov_b32_e32 v139, v133
	v_pk_mul_f32 v[132:133], v[134:135], v[124:125] op_sel:[0,1]
	s_delay_alu instid0(VALU_DEP_2) | instskip(NEXT) | instid1(VALU_DEP_2)
	v_pk_add_f32 v[58:59], v[58:59], v[138:139] neg_lo:[0,1] neg_hi:[0,1]
	v_pk_fma_f32 v[136:137], v[134:135], v[122:123], v[132:133] op_sel:[0,0,1] op_sel_hi:[1,1,0] neg_lo:[0,0,1] neg_hi:[0,0,1]
	v_pk_fma_f32 v[132:133], v[134:135], v[122:123], v[132:133] op_sel:[0,0,1] op_sel_hi:[1,0,0]
	s_delay_alu instid0(VALU_DEP_1) | instskip(SKIP_4) | instid1(VALU_DEP_1)
	v_mov_b32_e32 v137, v133
	ds_load_2addr_b64 v[132:135], v126 offset0:23 offset1:24
	v_pk_add_f32 v[62:63], v[62:63], v[136:137] neg_lo:[0,1] neg_hi:[0,1]
	s_wait_dscnt 0x0
	v_pk_mul_f32 v[136:137], v[132:133], v[124:125] op_sel:[0,1]
	v_pk_fma_f32 v[138:139], v[132:133], v[122:123], v[136:137] op_sel:[0,0,1] op_sel_hi:[1,1,0] neg_lo:[0,0,1] neg_hi:[0,0,1]
	v_pk_fma_f32 v[132:133], v[132:133], v[122:123], v[136:137] op_sel:[0,0,1] op_sel_hi:[1,0,0]
	v_dual_mul_f32 v136, v135, v125 :: v_dual_mov_b32 v132, v135
	s_delay_alu instid0(VALU_DEP_2) | instskip(NEXT) | instid1(VALU_DEP_2)
	v_dual_mov_b32 v139, v133 :: v_dual_mov_b32 v133, v134
	v_pk_fma_f32 v[136:137], v[134:135], v[82:83], v[136:137] op_sel_hi:[1,1,0] neg_lo:[0,0,1] neg_hi:[0,0,1]
	v_mul_f32_e32 v134, v135, v122
	s_delay_alu instid0(VALU_DEP_3) | instskip(NEXT) | instid1(VALU_DEP_2)
	v_pk_add_f32 v[56:57], v[56:57], v[138:139] neg_lo:[0,1] neg_hi:[0,1]
	v_pk_fma_f32 v[132:133], v[132:133], v[82:83], v[134:135] op_sel_hi:[1,1,0]
	s_delay_alu instid0(VALU_DEP_1) | instskip(SKIP_4) | instid1(VALU_DEP_1)
	v_mov_b32_e32 v137, v133
	ds_load_2addr_b64 v[132:135], v126 offset0:25 offset1:26
	v_pk_add_f32 v[100:101], v[100:101], v[136:137] neg_lo:[0,1] neg_hi:[0,1]
	s_wait_dscnt 0x0
	v_pk_mul_f32 v[136:137], v[132:133], v[124:125] op_sel:[0,1]
	v_pk_fma_f32 v[138:139], v[132:133], v[122:123], v[136:137] op_sel:[0,0,1] op_sel_hi:[1,1,0] neg_lo:[0,0,1] neg_hi:[0,0,1]
	v_pk_fma_f32 v[132:133], v[132:133], v[122:123], v[136:137] op_sel:[0,0,1] op_sel_hi:[1,0,0]
	s_delay_alu instid0(VALU_DEP_1) | instskip(SKIP_1) | instid1(VALU_DEP_1)
	v_mov_b32_e32 v139, v133
	v_pk_mul_f32 v[132:133], v[134:135], v[124:125] op_sel:[0,1]
	v_pk_fma_f32 v[136:137], v[134:135], v[122:123], v[132:133] op_sel:[0,0,1] op_sel_hi:[1,1,0] neg_lo:[0,0,1] neg_hi:[0,0,1]
	v_pk_fma_f32 v[132:133], v[134:135], v[122:123], v[132:133] op_sel:[0,0,1] op_sel_hi:[1,0,0]
	s_delay_alu instid0(VALU_DEP_1)
	v_mov_b32_e32 v137, v133
	ds_load_2addr_b64 v[132:135], v126 offset0:27 offset1:28
	v_pk_add_f32 v[52:53], v[52:53], v[138:139] neg_lo:[0,1] neg_hi:[0,1]
	v_pk_add_f32 v[54:55], v[54:55], v[136:137] neg_lo:[0,1] neg_hi:[0,1]
	s_wait_dscnt 0x0
	v_pk_mul_f32 v[136:137], v[132:133], v[124:125] op_sel:[0,1]
	s_delay_alu instid0(VALU_DEP_1) | instskip(SKIP_1) | instid1(VALU_DEP_1)
	v_pk_fma_f32 v[138:139], v[132:133], v[122:123], v[136:137] op_sel:[0,0,1] op_sel_hi:[1,1,0] neg_lo:[0,0,1] neg_hi:[0,0,1]
	v_pk_fma_f32 v[132:133], v[132:133], v[122:123], v[136:137] op_sel:[0,0,1] op_sel_hi:[1,0,0]
	v_mov_b32_e32 v139, v133
	v_pk_mul_f32 v[132:133], v[134:135], v[124:125] op_sel:[0,1]
	s_delay_alu instid0(VALU_DEP_1) | instskip(SKIP_1) | instid1(VALU_DEP_1)
	v_pk_fma_f32 v[136:137], v[134:135], v[122:123], v[132:133] op_sel:[0,0,1] op_sel_hi:[1,1,0] neg_lo:[0,0,1] neg_hi:[0,0,1]
	v_pk_fma_f32 v[132:133], v[134:135], v[122:123], v[132:133] op_sel:[0,0,1] op_sel_hi:[1,0,0]
	v_mov_b32_e32 v137, v133
	ds_load_2addr_b64 v[132:135], v126 offset0:29 offset1:30
	v_pk_add_f32 v[50:51], v[50:51], v[138:139] neg_lo:[0,1] neg_hi:[0,1]
	v_pk_add_f32 v[96:97], v[96:97], v[136:137] neg_lo:[0,1] neg_hi:[0,1]
	s_wait_dscnt 0x0
	v_dual_mul_f32 v136, v133, v125 :: v_dual_mul_f32 v138, v133, v122
	s_delay_alu instid0(VALU_DEP_1) | instskip(NEXT) | instid1(VALU_DEP_2)
	v_pk_fma_f32 v[136:137], v[132:133], v[82:83], v[136:137] op_sel_hi:[1,1,0] neg_lo:[0,0,1] neg_hi:[0,0,1]
	v_pk_fma_f32 v[132:133], v[132:133], v[82:83], v[138:139] op_sel:[1,0,0] op_sel_hi:[0,1,0]
	s_delay_alu instid0(VALU_DEP_1) | instskip(SKIP_1) | instid1(VALU_DEP_2)
	v_mov_b32_e32 v137, v133
	v_pk_mul_f32 v[132:133], v[134:135], v[124:125] op_sel:[0,1]
	v_pk_add_f32 v[46:47], v[46:47], v[136:137] neg_lo:[0,1] neg_hi:[0,1]
	s_delay_alu instid0(VALU_DEP_2) | instskip(SKIP_1) | instid1(VALU_DEP_1)
	v_pk_fma_f32 v[136:137], v[134:135], v[122:123], v[132:133] op_sel:[0,0,1] op_sel_hi:[1,1,0] neg_lo:[0,0,1] neg_hi:[0,0,1]
	v_pk_fma_f32 v[132:133], v[134:135], v[122:123], v[132:133] op_sel:[0,0,1] op_sel_hi:[1,0,0]
	v_mov_b32_e32 v137, v133
	ds_load_2addr_b64 v[132:135], v126 offset0:31 offset1:32
	v_pk_add_f32 v[48:49], v[48:49], v[136:137] neg_lo:[0,1] neg_hi:[0,1]
	s_wait_dscnt 0x0
	v_pk_mul_f32 v[136:137], v[132:133], v[124:125] op_sel:[0,1]
	s_delay_alu instid0(VALU_DEP_1) | instskip(SKIP_1) | instid1(VALU_DEP_1)
	v_pk_fma_f32 v[138:139], v[132:133], v[122:123], v[136:137] op_sel:[0,0,1] op_sel_hi:[1,1,0] neg_lo:[0,0,1] neg_hi:[0,0,1]
	v_pk_fma_f32 v[132:133], v[132:133], v[122:123], v[136:137] op_sel:[0,0,1] op_sel_hi:[1,0,0]
	v_mov_b32_e32 v139, v133
	v_pk_mul_f32 v[132:133], v[134:135], v[124:125] op_sel:[0,1]
	s_delay_alu instid0(VALU_DEP_2) | instskip(NEXT) | instid1(VALU_DEP_2)
	v_pk_add_f32 v[44:45], v[44:45], v[138:139] neg_lo:[0,1] neg_hi:[0,1]
	v_pk_fma_f32 v[136:137], v[134:135], v[122:123], v[132:133] op_sel:[0,0,1] op_sel_hi:[1,1,0] neg_lo:[0,0,1] neg_hi:[0,0,1]
	v_pk_fma_f32 v[132:133], v[134:135], v[122:123], v[132:133] op_sel:[0,0,1] op_sel_hi:[1,0,0]
	s_delay_alu instid0(VALU_DEP_1) | instskip(SKIP_4) | instid1(VALU_DEP_1)
	v_mov_b32_e32 v137, v133
	ds_load_2addr_b64 v[132:135], v126 offset0:33 offset1:34
	v_pk_add_f32 v[94:95], v[94:95], v[136:137] neg_lo:[0,1] neg_hi:[0,1]
	s_wait_dscnt 0x0
	v_pk_mul_f32 v[136:137], v[132:133], v[124:125] op_sel:[0,1]
	v_pk_fma_f32 v[138:139], v[132:133], v[122:123], v[136:137] op_sel:[0,0,1] op_sel_hi:[1,1,0] neg_lo:[0,0,1] neg_hi:[0,0,1]
	v_pk_fma_f32 v[132:133], v[132:133], v[122:123], v[136:137] op_sel:[0,0,1] op_sel_hi:[1,0,0]
	v_dual_mul_f32 v136, v135, v125 :: v_dual_mov_b32 v132, v135
	s_delay_alu instid0(VALU_DEP_2) | instskip(NEXT) | instid1(VALU_DEP_2)
	v_dual_mov_b32 v139, v133 :: v_dual_mov_b32 v133, v134
	v_pk_fma_f32 v[136:137], v[134:135], v[82:83], v[136:137] op_sel_hi:[1,1,0] neg_lo:[0,0,1] neg_hi:[0,0,1]
	v_mul_f32_e32 v134, v135, v122
	s_delay_alu instid0(VALU_DEP_3) | instskip(NEXT) | instid1(VALU_DEP_2)
	v_pk_add_f32 v[38:39], v[38:39], v[138:139] neg_lo:[0,1] neg_hi:[0,1]
	v_pk_fma_f32 v[132:133], v[132:133], v[82:83], v[134:135] op_sel_hi:[1,1,0]
	s_delay_alu instid0(VALU_DEP_1) | instskip(SKIP_4) | instid1(VALU_DEP_1)
	v_mov_b32_e32 v137, v133
	ds_load_2addr_b64 v[132:135], v126 offset0:35 offset1:36
	v_pk_add_f32 v[40:41], v[40:41], v[136:137] neg_lo:[0,1] neg_hi:[0,1]
	s_wait_dscnt 0x0
	v_pk_mul_f32 v[136:137], v[132:133], v[124:125] op_sel:[0,1]
	v_pk_fma_f32 v[138:139], v[132:133], v[122:123], v[136:137] op_sel:[0,0,1] op_sel_hi:[1,1,0] neg_lo:[0,0,1] neg_hi:[0,0,1]
	v_pk_fma_f32 v[132:133], v[132:133], v[122:123], v[136:137] op_sel:[0,0,1] op_sel_hi:[1,0,0]
	s_delay_alu instid0(VALU_DEP_1) | instskip(SKIP_1) | instid1(VALU_DEP_1)
	v_mov_b32_e32 v139, v133
	v_pk_mul_f32 v[132:133], v[134:135], v[124:125] op_sel:[0,1]
	v_pk_fma_f32 v[136:137], v[134:135], v[122:123], v[132:133] op_sel:[0,0,1] op_sel_hi:[1,1,0] neg_lo:[0,0,1] neg_hi:[0,0,1]
	v_pk_fma_f32 v[132:133], v[134:135], v[122:123], v[132:133] op_sel:[0,0,1] op_sel_hi:[1,0,0]
	s_delay_alu instid0(VALU_DEP_1)
	v_mov_b32_e32 v137, v133
	ds_load_2addr_b64 v[132:135], v126 offset0:37 offset1:38
	v_pk_add_f32 v[36:37], v[36:37], v[138:139] neg_lo:[0,1] neg_hi:[0,1]
	v_pk_add_f32 v[92:93], v[92:93], v[136:137] neg_lo:[0,1] neg_hi:[0,1]
	s_wait_dscnt 0x0
	v_pk_mul_f32 v[136:137], v[132:133], v[124:125] op_sel:[0,1]
	s_delay_alu instid0(VALU_DEP_1) | instskip(SKIP_1) | instid1(VALU_DEP_1)
	v_pk_fma_f32 v[138:139], v[132:133], v[122:123], v[136:137] op_sel:[0,0,1] op_sel_hi:[1,1,0] neg_lo:[0,0,1] neg_hi:[0,0,1]
	v_pk_fma_f32 v[132:133], v[132:133], v[122:123], v[136:137] op_sel:[0,0,1] op_sel_hi:[1,0,0]
	v_mov_b32_e32 v139, v133
	v_pk_mul_f32 v[132:133], v[134:135], v[124:125] op_sel:[0,1]
	s_delay_alu instid0(VALU_DEP_1) | instskip(SKIP_1) | instid1(VALU_DEP_1)
	v_pk_fma_f32 v[136:137], v[134:135], v[122:123], v[132:133] op_sel:[0,0,1] op_sel_hi:[1,1,0] neg_lo:[0,0,1] neg_hi:[0,0,1]
	v_pk_fma_f32 v[132:133], v[134:135], v[122:123], v[132:133] op_sel:[0,0,1] op_sel_hi:[1,0,0]
	v_mov_b32_e32 v137, v133
	ds_load_2addr_b64 v[132:135], v126 offset0:39 offset1:40
	v_pk_add_f32 v[32:33], v[32:33], v[138:139] neg_lo:[0,1] neg_hi:[0,1]
	v_pk_add_f32 v[34:35], v[34:35], v[136:137] neg_lo:[0,1] neg_hi:[0,1]
	s_wait_dscnt 0x0
	v_dual_mul_f32 v136, v133, v125 :: v_dual_mul_f32 v138, v133, v122
	s_delay_alu instid0(VALU_DEP_1) | instskip(NEXT) | instid1(VALU_DEP_2)
	v_pk_fma_f32 v[136:137], v[132:133], v[82:83], v[136:137] op_sel_hi:[1,1,0] neg_lo:[0,0,1] neg_hi:[0,0,1]
	v_pk_fma_f32 v[132:133], v[132:133], v[82:83], v[138:139] op_sel:[1,0,0] op_sel_hi:[0,1,0]
	s_delay_alu instid0(VALU_DEP_1) | instskip(SKIP_1) | instid1(VALU_DEP_2)
	v_mov_b32_e32 v137, v133
	v_pk_mul_f32 v[132:133], v[134:135], v[124:125] op_sel:[0,1]
	v_pk_add_f32 v[30:31], v[30:31], v[136:137] neg_lo:[0,1] neg_hi:[0,1]
	s_delay_alu instid0(VALU_DEP_2) | instskip(SKIP_1) | instid1(VALU_DEP_1)
	v_pk_fma_f32 v[136:137], v[134:135], v[122:123], v[132:133] op_sel:[0,0,1] op_sel_hi:[1,1,0] neg_lo:[0,0,1] neg_hi:[0,0,1]
	v_pk_fma_f32 v[132:133], v[134:135], v[122:123], v[132:133] op_sel:[0,0,1] op_sel_hi:[1,0,0]
	v_mov_b32_e32 v137, v133
	ds_load_2addr_b64 v[132:135], v126 offset0:41 offset1:42
	v_pk_add_f32 v[90:91], v[90:91], v[136:137] neg_lo:[0,1] neg_hi:[0,1]
	s_wait_dscnt 0x0
	v_pk_mul_f32 v[136:137], v[132:133], v[124:125] op_sel:[0,1]
	s_delay_alu instid0(VALU_DEP_1) | instskip(SKIP_1) | instid1(VALU_DEP_1)
	v_pk_fma_f32 v[138:139], v[132:133], v[122:123], v[136:137] op_sel:[0,0,1] op_sel_hi:[1,1,0] neg_lo:[0,0,1] neg_hi:[0,0,1]
	v_pk_fma_f32 v[132:133], v[132:133], v[122:123], v[136:137] op_sel:[0,0,1] op_sel_hi:[1,0,0]
	v_mov_b32_e32 v139, v133
	v_pk_mul_f32 v[132:133], v[134:135], v[124:125] op_sel:[0,1]
	s_delay_alu instid0(VALU_DEP_2) | instskip(NEXT) | instid1(VALU_DEP_2)
	v_pk_add_f32 v[24:25], v[24:25], v[138:139] neg_lo:[0,1] neg_hi:[0,1]
	v_pk_fma_f32 v[136:137], v[134:135], v[122:123], v[132:133] op_sel:[0,0,1] op_sel_hi:[1,1,0] neg_lo:[0,0,1] neg_hi:[0,0,1]
	v_pk_fma_f32 v[132:133], v[134:135], v[122:123], v[132:133] op_sel:[0,0,1] op_sel_hi:[1,0,0]
	s_delay_alu instid0(VALU_DEP_1) | instskip(SKIP_4) | instid1(VALU_DEP_1)
	v_mov_b32_e32 v137, v133
	ds_load_2addr_b64 v[132:135], v126 offset0:43 offset1:44
	v_pk_add_f32 v[26:27], v[26:27], v[136:137] neg_lo:[0,1] neg_hi:[0,1]
	s_wait_dscnt 0x0
	v_pk_mul_f32 v[136:137], v[132:133], v[124:125] op_sel:[0,1]
	v_pk_fma_f32 v[138:139], v[132:133], v[122:123], v[136:137] op_sel:[0,0,1] op_sel_hi:[1,1,0] neg_lo:[0,0,1] neg_hi:[0,0,1]
	v_pk_fma_f32 v[132:133], v[132:133], v[122:123], v[136:137] op_sel:[0,0,1] op_sel_hi:[1,0,0]
	v_dual_mul_f32 v136, v135, v125 :: v_dual_mov_b32 v132, v135
	s_delay_alu instid0(VALU_DEP_2) | instskip(NEXT) | instid1(VALU_DEP_2)
	v_dual_mov_b32 v139, v133 :: v_dual_mov_b32 v133, v134
	v_pk_fma_f32 v[136:137], v[134:135], v[82:83], v[136:137] op_sel_hi:[1,1,0] neg_lo:[0,0,1] neg_hi:[0,0,1]
	v_mul_f32_e32 v134, v135, v122
	s_delay_alu instid0(VALU_DEP_3) | instskip(NEXT) | instid1(VALU_DEP_2)
	v_pk_add_f32 v[22:23], v[22:23], v[138:139] neg_lo:[0,1] neg_hi:[0,1]
	v_pk_fma_f32 v[132:133], v[132:133], v[82:83], v[134:135] op_sel_hi:[1,1,0]
	s_delay_alu instid0(VALU_DEP_1) | instskip(SKIP_4) | instid1(VALU_DEP_1)
	v_mov_b32_e32 v137, v133
	ds_load_2addr_b64 v[132:135], v126 offset0:45 offset1:46
	v_pk_add_f32 v[88:89], v[88:89], v[136:137] neg_lo:[0,1] neg_hi:[0,1]
	s_wait_dscnt 0x0
	v_pk_mul_f32 v[136:137], v[132:133], v[124:125] op_sel:[0,1]
	v_pk_fma_f32 v[138:139], v[132:133], v[122:123], v[136:137] op_sel:[0,0,1] op_sel_hi:[1,1,0] neg_lo:[0,0,1] neg_hi:[0,0,1]
	v_pk_fma_f32 v[132:133], v[132:133], v[122:123], v[136:137] op_sel:[0,0,1] op_sel_hi:[1,0,0]
	s_delay_alu instid0(VALU_DEP_1) | instskip(SKIP_1) | instid1(VALU_DEP_1)
	v_mov_b32_e32 v139, v133
	v_pk_mul_f32 v[132:133], v[134:135], v[124:125] op_sel:[0,1]
	v_pk_fma_f32 v[136:137], v[134:135], v[122:123], v[132:133] op_sel:[0,0,1] op_sel_hi:[1,1,0] neg_lo:[0,0,1] neg_hi:[0,0,1]
	v_pk_fma_f32 v[132:133], v[134:135], v[122:123], v[132:133] op_sel:[0,0,1] op_sel_hi:[1,0,0]
	s_delay_alu instid0(VALU_DEP_1)
	v_mov_b32_e32 v137, v133
	ds_load_2addr_b64 v[132:135], v126 offset0:47 offset1:48
	v_pk_add_f32 v[18:19], v[18:19], v[138:139] neg_lo:[0,1] neg_hi:[0,1]
	v_pk_add_f32 v[20:21], v[20:21], v[136:137] neg_lo:[0,1] neg_hi:[0,1]
	s_wait_dscnt 0x0
	v_pk_mul_f32 v[136:137], v[132:133], v[124:125] op_sel:[0,1]
	s_delay_alu instid0(VALU_DEP_1) | instskip(SKIP_1) | instid1(VALU_DEP_1)
	v_pk_fma_f32 v[138:139], v[132:133], v[122:123], v[136:137] op_sel:[0,0,1] op_sel_hi:[1,1,0] neg_lo:[0,0,1] neg_hi:[0,0,1]
	v_pk_fma_f32 v[132:133], v[132:133], v[122:123], v[136:137] op_sel:[0,0,1] op_sel_hi:[1,0,0]
	v_mov_b32_e32 v139, v133
	v_pk_mul_f32 v[132:133], v[134:135], v[124:125] op_sel:[0,1]
	s_delay_alu instid0(VALU_DEP_1) | instskip(SKIP_1) | instid1(VALU_DEP_1)
	v_pk_fma_f32 v[136:137], v[134:135], v[122:123], v[132:133] op_sel:[0,0,1] op_sel_hi:[1,1,0] neg_lo:[0,0,1] neg_hi:[0,0,1]
	v_pk_fma_f32 v[132:133], v[134:135], v[122:123], v[132:133] op_sel:[0,0,1] op_sel_hi:[1,0,0]
	v_mov_b32_e32 v137, v133
	ds_load_2addr_b64 v[132:135], v126 offset0:49 offset1:50
	v_pk_add_f32 v[16:17], v[16:17], v[138:139] neg_lo:[0,1] neg_hi:[0,1]
	v_pk_add_f32 v[84:85], v[84:85], v[136:137] neg_lo:[0,1] neg_hi:[0,1]
	s_wait_dscnt 0x0
	v_dual_mul_f32 v136, v133, v125 :: v_dual_mul_f32 v138, v133, v122
	s_delay_alu instid0(VALU_DEP_1) | instskip(NEXT) | instid1(VALU_DEP_2)
	v_pk_fma_f32 v[136:137], v[132:133], v[82:83], v[136:137] op_sel_hi:[1,1,0] neg_lo:[0,0,1] neg_hi:[0,0,1]
	v_pk_fma_f32 v[132:133], v[132:133], v[82:83], v[138:139] op_sel:[1,0,0] op_sel_hi:[0,1,0]
	s_delay_alu instid0(VALU_DEP_1) | instskip(SKIP_1) | instid1(VALU_DEP_2)
	v_mov_b32_e32 v137, v133
	v_pk_mul_f32 v[132:133], v[134:135], v[124:125] op_sel:[0,1]
	v_pk_add_f32 v[10:11], v[10:11], v[136:137] neg_lo:[0,1] neg_hi:[0,1]
	s_delay_alu instid0(VALU_DEP_2) | instskip(SKIP_1) | instid1(VALU_DEP_1)
	v_pk_fma_f32 v[136:137], v[134:135], v[122:123], v[132:133] op_sel:[0,0,1] op_sel_hi:[1,1,0] neg_lo:[0,0,1] neg_hi:[0,0,1]
	v_pk_fma_f32 v[132:133], v[134:135], v[122:123], v[132:133] op_sel:[0,0,1] op_sel_hi:[1,0,0]
	v_mov_b32_e32 v137, v133
	ds_load_2addr_b64 v[132:135], v126 offset0:51 offset1:52
	v_pk_add_f32 v[12:13], v[12:13], v[136:137] neg_lo:[0,1] neg_hi:[0,1]
	s_wait_dscnt 0x0
	v_pk_mul_f32 v[136:137], v[132:133], v[124:125] op_sel:[0,1]
	s_delay_alu instid0(VALU_DEP_1) | instskip(SKIP_1) | instid1(VALU_DEP_1)
	v_pk_fma_f32 v[138:139], v[132:133], v[122:123], v[136:137] op_sel:[0,0,1] op_sel_hi:[1,1,0] neg_lo:[0,0,1] neg_hi:[0,0,1]
	v_pk_fma_f32 v[132:133], v[132:133], v[122:123], v[136:137] op_sel:[0,0,1] op_sel_hi:[1,0,0]
	v_mov_b32_e32 v139, v133
	v_pk_mul_f32 v[132:133], v[134:135], v[124:125] op_sel:[0,1]
	s_delay_alu instid0(VALU_DEP_2) | instskip(NEXT) | instid1(VALU_DEP_2)
	v_pk_add_f32 v[8:9], v[8:9], v[138:139] neg_lo:[0,1] neg_hi:[0,1]
	v_pk_fma_f32 v[136:137], v[134:135], v[122:123], v[132:133] op_sel:[0,0,1] op_sel_hi:[1,1,0] neg_lo:[0,0,1] neg_hi:[0,0,1]
	v_pk_fma_f32 v[132:133], v[134:135], v[122:123], v[132:133] op_sel:[0,0,1] op_sel_hi:[1,0,0]
	s_delay_alu instid0(VALU_DEP_1) | instskip(SKIP_4) | instid1(VALU_DEP_1)
	v_mov_b32_e32 v137, v133
	ds_load_2addr_b64 v[132:135], v126 offset0:53 offset1:54
	v_pk_add_f32 v[60:61], v[60:61], v[136:137] neg_lo:[0,1] neg_hi:[0,1]
	s_wait_dscnt 0x0
	v_pk_mul_f32 v[136:137], v[132:133], v[124:125] op_sel:[0,1]
	v_pk_fma_f32 v[138:139], v[132:133], v[122:123], v[136:137] op_sel:[0,0,1] op_sel_hi:[1,1,0] neg_lo:[0,0,1] neg_hi:[0,0,1]
	v_pk_fma_f32 v[132:133], v[132:133], v[122:123], v[136:137] op_sel:[0,0,1] op_sel_hi:[1,0,0]
	v_dual_mul_f32 v136, v135, v125 :: v_dual_mov_b32 v132, v135
	s_delay_alu instid0(VALU_DEP_2) | instskip(NEXT) | instid1(VALU_DEP_2)
	v_dual_mov_b32 v139, v133 :: v_dual_mov_b32 v133, v134
	v_pk_fma_f32 v[136:137], v[134:135], v[82:83], v[136:137] op_sel_hi:[1,1,0] neg_lo:[0,0,1] neg_hi:[0,0,1]
	v_mul_f32_e32 v134, v135, v122
	s_delay_alu instid0(VALU_DEP_3) | instskip(NEXT) | instid1(VALU_DEP_2)
	v_pk_add_f32 v[6:7], v[6:7], v[138:139] neg_lo:[0,1] neg_hi:[0,1]
	v_pk_fma_f32 v[132:133], v[132:133], v[82:83], v[134:135] op_sel_hi:[1,1,0]
	s_delay_alu instid0(VALU_DEP_1) | instskip(SKIP_4) | instid1(VALU_DEP_1)
	v_mov_b32_e32 v137, v133
	ds_load_2addr_b64 v[132:135], v126 offset0:55 offset1:56
	v_pk_add_f32 v[42:43], v[42:43], v[136:137] neg_lo:[0,1] neg_hi:[0,1]
	s_wait_dscnt 0x0
	v_pk_mul_f32 v[136:137], v[132:133], v[124:125] op_sel:[0,1]
	v_pk_fma_f32 v[138:139], v[132:133], v[122:123], v[136:137] op_sel:[0,0,1] op_sel_hi:[1,1,0] neg_lo:[0,0,1] neg_hi:[0,0,1]
	v_pk_fma_f32 v[132:133], v[132:133], v[122:123], v[136:137] op_sel:[0,0,1] op_sel_hi:[1,0,0]
	s_delay_alu instid0(VALU_DEP_1) | instskip(SKIP_1) | instid1(VALU_DEP_1)
	v_mov_b32_e32 v139, v133
	v_pk_mul_f32 v[132:133], v[134:135], v[124:125] op_sel:[0,1]
	v_pk_fma_f32 v[136:137], v[134:135], v[122:123], v[132:133] op_sel:[0,0,1] op_sel_hi:[1,1,0] neg_lo:[0,0,1] neg_hi:[0,0,1]
	v_pk_fma_f32 v[132:133], v[134:135], v[122:123], v[132:133] op_sel:[0,0,1] op_sel_hi:[1,0,0]
	s_delay_alu instid0(VALU_DEP_1)
	v_mov_b32_e32 v137, v133
	ds_load_b64 v[132:133], v126 offset:456
	v_pk_add_f32 v[28:29], v[28:29], v[138:139] neg_lo:[0,1] neg_hi:[0,1]
	v_pk_add_f32 v[14:15], v[14:15], v[136:137] neg_lo:[0,1] neg_hi:[0,1]
	s_wait_dscnt 0x0
	v_pk_mul_f32 v[124:125], v[132:133], v[124:125] op_sel:[0,1]
	s_delay_alu instid0(VALU_DEP_1) | instskip(SKIP_1) | instid1(VALU_DEP_1)
	v_pk_fma_f32 v[134:135], v[132:133], v[122:123], v[124:125] op_sel:[0,0,1] op_sel_hi:[1,1,0] neg_lo:[0,0,1] neg_hi:[0,0,1]
	v_pk_fma_f32 v[122:123], v[132:133], v[122:123], v[124:125] op_sel:[0,0,1] op_sel_hi:[1,0,0]
	v_mov_b32_e32 v135, v123
	s_delay_alu instid0(VALU_DEP_1)
	v_pk_add_f32 v[120:121], v[120:121], v[134:135] neg_lo:[0,1] neg_hi:[0,1]
.LBB114_230:
	s_or_b32 exec_lo, exec_lo, s0
	v_lshl_add_u32 v122, v130, 3, v126
	s_barrier_signal -1
	s_barrier_wait -1
	ds_store_b64 v122, v[78:79]
	s_wait_dscnt 0x0
	s_barrier_signal -1
	s_barrier_wait -1
	ds_load_b64 v[124:125], v126 offset:88
	v_mov_b32_e32 v122, 11
	s_cmp_lt_i32 s18, 13
	s_cbranch_scc1 .LBB114_233
; %bb.231:
	v_add3_u32 v123, v127, 0, 0x60
	v_mov_b32_e32 v122, 11
	s_mov_b32 s0, 12
.LBB114_232:                            ; =>This Inner Loop Header: Depth=1
	ds_load_b64 v[132:133], v123
	s_wait_dscnt 0x1
	v_cmp_gt_f32_e32 vcc_lo, 0, v124
	v_cndmask_b32_e64 v134, v124, -v124, vcc_lo
	v_cmp_gt_f32_e32 vcc_lo, 0, v125
	v_cndmask_b32_e64 v136, v125, -v125, vcc_lo
	s_wait_dscnt 0x0
	v_cmp_gt_f32_e32 vcc_lo, 0, v132
	v_cndmask_b32_e64 v135, v132, -v132, vcc_lo
	v_cmp_gt_f32_e32 vcc_lo, 0, v133
	v_cndmask_b32_e64 v137, v133, -v133, vcc_lo
	s_delay_alu instid0(VALU_DEP_1) | instskip(NEXT) | instid1(VALU_DEP_1)
	v_pk_add_f32 v[134:135], v[134:135], v[136:137]
	v_cmp_lt_f32_e32 vcc_lo, v134, v135
	v_dual_add_nc_u32 v123, 8, v123 :: v_dual_cndmask_b32 v125, v125, v133, vcc_lo
	v_cndmask_b32_e32 v124, v124, v132, vcc_lo
	v_cndmask_b32_e64 v122, v122, s0, vcc_lo
	s_add_co_i32 s0, s0, 1
	s_delay_alu instid0(SALU_CYCLE_1)
	s_cmp_lg_u32 s18, s0
	s_cbranch_scc1 .LBB114_232
.LBB114_233:
	s_wait_dscnt 0x0
	v_cmp_eq_f32_e32 vcc_lo, 0, v124
	v_cmp_eq_f32_e64 s0, 0, v125
	s_and_b32 s0, vcc_lo, s0
	s_delay_alu instid0(SALU_CYCLE_1) | instskip(NEXT) | instid1(SALU_CYCLE_1)
	s_and_saveexec_b32 s1, s0
	s_xor_b32 s0, exec_lo, s1
; %bb.234:
	v_cmp_ne_u32_e32 vcc_lo, 0, v128
	v_cndmask_b32_e32 v128, 12, v128, vcc_lo
; %bb.235:
	s_and_not1_saveexec_b32 s0, s0
	s_cbranch_execz .LBB114_241
; %bb.236:
	v_cmp_ngt_f32_e64 s1, |v124|, |v125|
	s_and_saveexec_b32 s12, s1
	s_delay_alu instid0(SALU_CYCLE_1)
	s_xor_b32 s1, exec_lo, s12
	s_cbranch_execz .LBB114_238
; %bb.237:
	v_div_scale_f32 v123, null, v125, v125, v124
	v_div_scale_f32 v133, vcc_lo, v124, v125, v124
	s_delay_alu instid0(VALU_DEP_2) | instskip(SKIP_1) | instid1(TRANS32_DEP_1)
	v_rcp_f32_e32 v131, v123
	v_nop
	v_fma_f32 v132, -v123, v131, 1.0
	s_delay_alu instid0(VALU_DEP_1) | instskip(NEXT) | instid1(VALU_DEP_1)
	v_fmac_f32_e32 v131, v132, v131
	v_mul_f32_e32 v132, v133, v131
	s_delay_alu instid0(VALU_DEP_1) | instskip(NEXT) | instid1(VALU_DEP_1)
	v_fma_f32 v134, -v123, v132, v133
	v_fmac_f32_e32 v132, v134, v131
	s_delay_alu instid0(VALU_DEP_1) | instskip(NEXT) | instid1(VALU_DEP_1)
	v_fma_f32 v123, -v123, v132, v133
	v_div_fmas_f32 v123, v123, v131, v132
	s_delay_alu instid0(VALU_DEP_1) | instskip(NEXT) | instid1(VALU_DEP_1)
	v_div_fixup_f32 v123, v123, v125, v124
	v_fmac_f32_e32 v125, v124, v123
	s_delay_alu instid0(VALU_DEP_1) | instskip(SKIP_1) | instid1(VALU_DEP_2)
	v_div_scale_f32 v124, null, v125, v125, 1.0
	v_div_scale_f32 v133, vcc_lo, 1.0, v125, 1.0
	v_rcp_f32_e32 v131, v124
	v_nop
	s_delay_alu instid0(TRANS32_DEP_1) | instskip(NEXT) | instid1(VALU_DEP_1)
	v_fma_f32 v132, -v124, v131, 1.0
	v_fmac_f32_e32 v131, v132, v131
	s_delay_alu instid0(VALU_DEP_1) | instskip(NEXT) | instid1(VALU_DEP_1)
	v_mul_f32_e32 v132, v133, v131
	v_fma_f32 v134, -v124, v132, v133
	s_delay_alu instid0(VALU_DEP_1) | instskip(NEXT) | instid1(VALU_DEP_1)
	v_fmac_f32_e32 v132, v134, v131
	v_fma_f32 v124, -v124, v132, v133
	s_delay_alu instid0(VALU_DEP_1) | instskip(NEXT) | instid1(VALU_DEP_1)
	v_div_fmas_f32 v124, v124, v131, v132
	v_div_fixup_f32 v125, v124, v125, 1.0
	s_delay_alu instid0(VALU_DEP_1)
	v_mul_f32_e32 v124, v123, v125
	v_xor_b32_e32 v125, 0x80000000, v125
.LBB114_238:
	s_and_not1_saveexec_b32 s1, s1
	s_cbranch_execz .LBB114_240
; %bb.239:
	s_delay_alu instid0(VALU_DEP_1) | instskip(SKIP_1) | instid1(VALU_DEP_2)
	v_div_scale_f32 v123, null, v124, v124, v125
	v_div_scale_f32 v133, vcc_lo, v125, v124, v125
	v_rcp_f32_e32 v131, v123
	v_nop
	s_delay_alu instid0(TRANS32_DEP_1) | instskip(NEXT) | instid1(VALU_DEP_1)
	v_fma_f32 v132, -v123, v131, 1.0
	v_fmac_f32_e32 v131, v132, v131
	s_delay_alu instid0(VALU_DEP_1) | instskip(NEXT) | instid1(VALU_DEP_1)
	v_mul_f32_e32 v132, v133, v131
	v_fma_f32 v134, -v123, v132, v133
	s_delay_alu instid0(VALU_DEP_1) | instskip(NEXT) | instid1(VALU_DEP_1)
	v_fmac_f32_e32 v132, v134, v131
	v_fma_f32 v123, -v123, v132, v133
	s_delay_alu instid0(VALU_DEP_1) | instskip(NEXT) | instid1(VALU_DEP_1)
	v_div_fmas_f32 v123, v123, v131, v132
	v_div_fixup_f32 v123, v123, v124, v125
	s_delay_alu instid0(VALU_DEP_1) | instskip(NEXT) | instid1(VALU_DEP_1)
	v_fmac_f32_e32 v124, v125, v123
	v_div_scale_f32 v125, null, v124, v124, 1.0
	s_delay_alu instid0(VALU_DEP_1) | instskip(SKIP_1) | instid1(TRANS32_DEP_1)
	v_rcp_f32_e32 v131, v125
	v_nop
	v_fma_f32 v132, -v125, v131, 1.0
	s_delay_alu instid0(VALU_DEP_1) | instskip(SKIP_1) | instid1(VALU_DEP_1)
	v_fmac_f32_e32 v131, v132, v131
	v_div_scale_f32 v132, vcc_lo, 1.0, v124, 1.0
	v_mul_f32_e32 v133, v132, v131
	s_delay_alu instid0(VALU_DEP_1) | instskip(NEXT) | instid1(VALU_DEP_1)
	v_fma_f32 v134, -v125, v133, v132
	v_fmac_f32_e32 v133, v134, v131
	s_delay_alu instid0(VALU_DEP_1) | instskip(NEXT) | instid1(VALU_DEP_1)
	v_fma_f32 v125, -v125, v133, v132
	v_div_fmas_f32 v125, v125, v131, v133
	s_delay_alu instid0(VALU_DEP_1) | instskip(NEXT) | instid1(VALU_DEP_1)
	v_div_fixup_f32 v124, v125, v124, 1.0
	v_mul_f32_e64 v125, v123, -v124
.LBB114_240:
	s_or_b32 exec_lo, exec_lo, s1
.LBB114_241:
	s_delay_alu instid0(SALU_CYCLE_1) | instskip(NEXT) | instid1(SALU_CYCLE_1)
	s_or_b32 exec_lo, exec_lo, s0
	s_mov_b32 s0, exec_lo
	v_cmpx_ne_u32_e64 v130, v122
	s_xor_b32 s0, exec_lo, s0
	s_cbranch_execz .LBB114_247
; %bb.242:
	s_mov_b32 s1, exec_lo
	v_cmpx_eq_u32_e32 11, v130
	s_cbranch_execz .LBB114_246
; %bb.243:
	v_cmp_ne_u32_e32 vcc_lo, 11, v122
	s_xor_b32 s12, s16, -1
	s_delay_alu instid0(SALU_CYCLE_1) | instskip(NEXT) | instid1(SALU_CYCLE_1)
	s_and_b32 s13, s12, vcc_lo
	s_and_saveexec_b32 s12, s13
	s_cbranch_execz .LBB114_245
; %bb.244:
	v_ashrrev_i32_e32 v123, 31, v122
	s_delay_alu instid0(VALU_DEP_1)
	v_lshl_add_u64 v[130:131], v[122:123], 2, v[4:5]
	s_clause 0x1
	global_load_b32 v123, v[130:131], off
	global_load_b32 v129, v[4:5], off offset:44
	s_wait_loadcnt 0x1
	global_store_b32 v[4:5], v123, off offset:44
	s_wait_loadcnt 0x0
	global_store_b32 v[130:131], v129, off
.LBB114_245:
	s_wait_xcnt 0x0
	s_or_b32 exec_lo, exec_lo, s12
	v_dual_mov_b32 v130, v122 :: v_dual_mov_b32 v129, v122
.LBB114_246:
	s_or_b32 exec_lo, exec_lo, s1
.LBB114_247:
	s_and_not1_saveexec_b32 s0, s0
	s_cbranch_execz .LBB114_249
; %bb.248:
	v_dual_mov_b32 v122, v106 :: v_dual_mov_b32 v123, v107
	v_dual_mov_b32 v130, v74 :: v_dual_mov_b32 v131, v75
	ds_store_2addr_b64 v126, v[122:123], v[130:131] offset0:12 offset1:13
	v_dual_mov_b32 v122, v76 :: v_dual_mov_b32 v123, v77
	v_dual_mov_b32 v130, v72 :: v_dual_mov_b32 v131, v73
	ds_store_2addr_b64 v126, v[122:123], v[130:131] offset0:14 offset1:15
	;; [unrolled: 3-line block ×22, first 2 shown]
	v_dual_mov_b32 v122, v14 :: v_dual_mov_b32 v123, v15
	v_mov_b32_e32 v130, 11
	ds_store_2addr_b64 v126, v[122:123], v[120:121] offset0:56 offset1:57
.LBB114_249:
	s_or_b32 exec_lo, exec_lo, s0
	s_delay_alu instid0(SALU_CYCLE_1)
	s_mov_b32 s0, exec_lo
	s_wait_storecnt_dscnt 0x0
	s_barrier_signal -1
	s_barrier_wait -1
	v_cmpx_lt_i32_e32 11, v130
	s_cbranch_execz .LBB114_251
; %bb.250:
	v_pk_mul_f32 v[132:133], v[124:125], v[78:79] op_sel:[1,1] op_sel_hi:[0,1]
	s_delay_alu instid0(VALU_DEP_1)
	v_pk_fma_f32 v[122:123], v[124:125], v[78:79], v[132:133] op_sel_hi:[1,0,1] neg_lo:[0,0,1] neg_hi:[0,0,1]
	v_pk_fma_f32 v[124:125], v[124:125], v[78:79], v[132:133] op_sel_hi:[1,0,1]
	ds_load_2addr_b64 v[132:135], v126 offset0:12 offset1:13
	v_dual_mov_b32 v78, v122 :: v_dual_mov_b32 v79, v125
	s_wait_dscnt 0x0
	v_pk_mul_f32 v[136:137], v[132:133], v[124:125] op_sel:[0,1]
	s_delay_alu instid0(VALU_DEP_1) | instskip(SKIP_1) | instid1(VALU_DEP_1)
	v_pk_fma_f32 v[138:139], v[132:133], v[122:123], v[136:137] op_sel:[0,0,1] op_sel_hi:[1,1,0] neg_lo:[0,0,1] neg_hi:[0,0,1]
	v_pk_fma_f32 v[132:133], v[132:133], v[122:123], v[136:137] op_sel:[0,0,1] op_sel_hi:[1,0,0]
	v_mov_b32_e32 v139, v133
	v_pk_mul_f32 v[132:133], v[134:135], v[124:125] op_sel:[0,1]
	s_delay_alu instid0(VALU_DEP_1) | instskip(SKIP_1) | instid1(VALU_DEP_1)
	v_pk_fma_f32 v[136:137], v[134:135], v[122:123], v[132:133] op_sel:[0,0,1] op_sel_hi:[1,1,0] neg_lo:[0,0,1] neg_hi:[0,0,1]
	v_pk_fma_f32 v[132:133], v[134:135], v[122:123], v[132:133] op_sel:[0,0,1] op_sel_hi:[1,0,0]
	v_mov_b32_e32 v137, v133
	ds_load_2addr_b64 v[132:135], v126 offset0:14 offset1:15
	v_pk_add_f32 v[106:107], v[106:107], v[138:139] neg_lo:[0,1] neg_hi:[0,1]
	v_pk_add_f32 v[74:75], v[74:75], v[136:137] neg_lo:[0,1] neg_hi:[0,1]
	s_wait_dscnt 0x0
	v_pk_mul_f32 v[136:137], v[132:133], v[124:125] op_sel:[0,1]
	s_delay_alu instid0(VALU_DEP_1) | instskip(SKIP_2) | instid1(VALU_DEP_2)
	v_pk_fma_f32 v[138:139], v[132:133], v[122:123], v[136:137] op_sel:[0,0,1] op_sel_hi:[1,1,0] neg_lo:[0,0,1] neg_hi:[0,0,1]
	v_pk_fma_f32 v[132:133], v[132:133], v[122:123], v[136:137] op_sel:[0,0,1] op_sel_hi:[1,0,0]
	v_dual_mul_f32 v136, v135, v125 :: v_dual_mov_b32 v132, v135
	v_dual_mov_b32 v139, v133 :: v_dual_mov_b32 v133, v134
	s_delay_alu instid0(VALU_DEP_2) | instskip(SKIP_1) | instid1(VALU_DEP_3)
	v_pk_fma_f32 v[136:137], v[134:135], v[78:79], v[136:137] op_sel_hi:[1,1,0] neg_lo:[0,0,1] neg_hi:[0,0,1]
	v_mul_f32_e32 v134, v135, v122
	v_pk_add_f32 v[76:77], v[76:77], v[138:139] neg_lo:[0,1] neg_hi:[0,1]
	s_delay_alu instid0(VALU_DEP_2) | instskip(NEXT) | instid1(VALU_DEP_1)
	v_pk_fma_f32 v[132:133], v[132:133], v[78:79], v[134:135] op_sel_hi:[1,1,0]
	v_mov_b32_e32 v137, v133
	ds_load_2addr_b64 v[132:135], v126 offset0:16 offset1:17
	v_pk_add_f32 v[72:73], v[72:73], v[136:137] neg_lo:[0,1] neg_hi:[0,1]
	s_wait_dscnt 0x0
	v_pk_mul_f32 v[136:137], v[132:133], v[124:125] op_sel:[0,1]
	s_delay_alu instid0(VALU_DEP_1) | instskip(SKIP_1) | instid1(VALU_DEP_1)
	v_pk_fma_f32 v[138:139], v[132:133], v[122:123], v[136:137] op_sel:[0,0,1] op_sel_hi:[1,1,0] neg_lo:[0,0,1] neg_hi:[0,0,1]
	v_pk_fma_f32 v[132:133], v[132:133], v[122:123], v[136:137] op_sel:[0,0,1] op_sel_hi:[1,0,0]
	v_mov_b32_e32 v139, v133
	v_pk_mul_f32 v[132:133], v[134:135], v[124:125] op_sel:[0,1]
	s_delay_alu instid0(VALU_DEP_1) | instskip(SKIP_1) | instid1(VALU_DEP_1)
	v_pk_fma_f32 v[136:137], v[134:135], v[122:123], v[132:133] op_sel:[0,0,1] op_sel_hi:[1,1,0] neg_lo:[0,0,1] neg_hi:[0,0,1]
	v_pk_fma_f32 v[132:133], v[134:135], v[122:123], v[132:133] op_sel:[0,0,1] op_sel_hi:[1,0,0]
	v_mov_b32_e32 v137, v133
	ds_load_2addr_b64 v[132:135], v126 offset0:18 offset1:19
	v_pk_add_f32 v[104:105], v[104:105], v[138:139] neg_lo:[0,1] neg_hi:[0,1]
	v_pk_add_f32 v[66:67], v[66:67], v[136:137] neg_lo:[0,1] neg_hi:[0,1]
	s_wait_dscnt 0x0
	v_pk_mul_f32 v[136:137], v[132:133], v[124:125] op_sel:[0,1]
	s_delay_alu instid0(VALU_DEP_1) | instskip(SKIP_1) | instid1(VALU_DEP_1)
	v_pk_fma_f32 v[138:139], v[132:133], v[122:123], v[136:137] op_sel:[0,0,1] op_sel_hi:[1,1,0] neg_lo:[0,0,1] neg_hi:[0,0,1]
	v_pk_fma_f32 v[132:133], v[132:133], v[122:123], v[136:137] op_sel:[0,0,1] op_sel_hi:[1,0,0]
	v_mov_b32_e32 v139, v133
	v_pk_mul_f32 v[132:133], v[134:135], v[124:125] op_sel:[0,1]
	s_delay_alu instid0(VALU_DEP_1) | instskip(SKIP_1) | instid1(VALU_DEP_1)
	v_pk_fma_f32 v[136:137], v[134:135], v[122:123], v[132:133] op_sel:[0,0,1] op_sel_hi:[1,1,0] neg_lo:[0,0,1] neg_hi:[0,0,1]
	v_pk_fma_f32 v[132:133], v[134:135], v[122:123], v[132:133] op_sel:[0,0,1] op_sel_hi:[1,0,0]
	v_mov_b32_e32 v137, v133
	ds_load_2addr_b64 v[132:135], v126 offset0:20 offset1:21
	v_pk_add_f32 v[68:69], v[68:69], v[138:139] neg_lo:[0,1] neg_hi:[0,1]
	v_pk_add_f32 v[64:65], v[64:65], v[136:137] neg_lo:[0,1] neg_hi:[0,1]
	s_wait_dscnt 0x0
	v_dual_mul_f32 v136, v133, v125 :: v_dual_mul_f32 v138, v133, v122
	s_delay_alu instid0(VALU_DEP_1) | instskip(NEXT) | instid1(VALU_DEP_2)
	v_pk_fma_f32 v[136:137], v[132:133], v[78:79], v[136:137] op_sel_hi:[1,1,0] neg_lo:[0,0,1] neg_hi:[0,0,1]
	v_pk_fma_f32 v[132:133], v[132:133], v[78:79], v[138:139] op_sel:[1,0,0] op_sel_hi:[0,1,0]
	s_delay_alu instid0(VALU_DEP_1) | instskip(SKIP_1) | instid1(VALU_DEP_2)
	v_mov_b32_e32 v137, v133
	v_pk_mul_f32 v[132:133], v[134:135], v[124:125] op_sel:[0,1]
	v_pk_add_f32 v[102:103], v[102:103], v[136:137] neg_lo:[0,1] neg_hi:[0,1]
	s_delay_alu instid0(VALU_DEP_2) | instskip(SKIP_1) | instid1(VALU_DEP_1)
	v_pk_fma_f32 v[136:137], v[134:135], v[122:123], v[132:133] op_sel:[0,0,1] op_sel_hi:[1,1,0] neg_lo:[0,0,1] neg_hi:[0,0,1]
	v_pk_fma_f32 v[132:133], v[134:135], v[122:123], v[132:133] op_sel:[0,0,1] op_sel_hi:[1,0,0]
	v_mov_b32_e32 v137, v133
	ds_load_2addr_b64 v[132:135], v126 offset0:22 offset1:23
	v_pk_add_f32 v[58:59], v[58:59], v[136:137] neg_lo:[0,1] neg_hi:[0,1]
	s_wait_dscnt 0x0
	v_pk_mul_f32 v[136:137], v[132:133], v[124:125] op_sel:[0,1]
	s_delay_alu instid0(VALU_DEP_1) | instskip(SKIP_1) | instid1(VALU_DEP_1)
	v_pk_fma_f32 v[138:139], v[132:133], v[122:123], v[136:137] op_sel:[0,0,1] op_sel_hi:[1,1,0] neg_lo:[0,0,1] neg_hi:[0,0,1]
	v_pk_fma_f32 v[132:133], v[132:133], v[122:123], v[136:137] op_sel:[0,0,1] op_sel_hi:[1,0,0]
	v_mov_b32_e32 v139, v133
	v_pk_mul_f32 v[132:133], v[134:135], v[124:125] op_sel:[0,1]
	s_delay_alu instid0(VALU_DEP_2) | instskip(NEXT) | instid1(VALU_DEP_2)
	v_pk_add_f32 v[62:63], v[62:63], v[138:139] neg_lo:[0,1] neg_hi:[0,1]
	v_pk_fma_f32 v[136:137], v[134:135], v[122:123], v[132:133] op_sel:[0,0,1] op_sel_hi:[1,1,0] neg_lo:[0,0,1] neg_hi:[0,0,1]
	v_pk_fma_f32 v[132:133], v[134:135], v[122:123], v[132:133] op_sel:[0,0,1] op_sel_hi:[1,0,0]
	s_delay_alu instid0(VALU_DEP_1) | instskip(SKIP_4) | instid1(VALU_DEP_1)
	v_mov_b32_e32 v137, v133
	ds_load_2addr_b64 v[132:135], v126 offset0:24 offset1:25
	v_pk_add_f32 v[56:57], v[56:57], v[136:137] neg_lo:[0,1] neg_hi:[0,1]
	s_wait_dscnt 0x0
	v_pk_mul_f32 v[136:137], v[132:133], v[124:125] op_sel:[0,1]
	v_pk_fma_f32 v[138:139], v[132:133], v[122:123], v[136:137] op_sel:[0,0,1] op_sel_hi:[1,1,0] neg_lo:[0,0,1] neg_hi:[0,0,1]
	v_pk_fma_f32 v[132:133], v[132:133], v[122:123], v[136:137] op_sel:[0,0,1] op_sel_hi:[1,0,0]
	v_dual_mul_f32 v136, v135, v125 :: v_dual_mov_b32 v132, v135
	s_delay_alu instid0(VALU_DEP_2) | instskip(NEXT) | instid1(VALU_DEP_2)
	v_dual_mov_b32 v139, v133 :: v_dual_mov_b32 v133, v134
	v_pk_fma_f32 v[136:137], v[134:135], v[78:79], v[136:137] op_sel_hi:[1,1,0] neg_lo:[0,0,1] neg_hi:[0,0,1]
	v_mul_f32_e32 v134, v135, v122
	s_delay_alu instid0(VALU_DEP_3) | instskip(NEXT) | instid1(VALU_DEP_2)
	v_pk_add_f32 v[100:101], v[100:101], v[138:139] neg_lo:[0,1] neg_hi:[0,1]
	v_pk_fma_f32 v[132:133], v[132:133], v[78:79], v[134:135] op_sel_hi:[1,1,0]
	s_delay_alu instid0(VALU_DEP_1) | instskip(SKIP_4) | instid1(VALU_DEP_1)
	v_mov_b32_e32 v137, v133
	ds_load_2addr_b64 v[132:135], v126 offset0:26 offset1:27
	v_pk_add_f32 v[52:53], v[52:53], v[136:137] neg_lo:[0,1] neg_hi:[0,1]
	s_wait_dscnt 0x0
	v_pk_mul_f32 v[136:137], v[132:133], v[124:125] op_sel:[0,1]
	v_pk_fma_f32 v[138:139], v[132:133], v[122:123], v[136:137] op_sel:[0,0,1] op_sel_hi:[1,1,0] neg_lo:[0,0,1] neg_hi:[0,0,1]
	v_pk_fma_f32 v[132:133], v[132:133], v[122:123], v[136:137] op_sel:[0,0,1] op_sel_hi:[1,0,0]
	s_delay_alu instid0(VALU_DEP_1) | instskip(SKIP_1) | instid1(VALU_DEP_1)
	v_mov_b32_e32 v139, v133
	v_pk_mul_f32 v[132:133], v[134:135], v[124:125] op_sel:[0,1]
	v_pk_fma_f32 v[136:137], v[134:135], v[122:123], v[132:133] op_sel:[0,0,1] op_sel_hi:[1,1,0] neg_lo:[0,0,1] neg_hi:[0,0,1]
	v_pk_fma_f32 v[132:133], v[134:135], v[122:123], v[132:133] op_sel:[0,0,1] op_sel_hi:[1,0,0]
	s_delay_alu instid0(VALU_DEP_1)
	v_mov_b32_e32 v137, v133
	ds_load_2addr_b64 v[132:135], v126 offset0:28 offset1:29
	v_pk_add_f32 v[54:55], v[54:55], v[138:139] neg_lo:[0,1] neg_hi:[0,1]
	v_pk_add_f32 v[50:51], v[50:51], v[136:137] neg_lo:[0,1] neg_hi:[0,1]
	s_wait_dscnt 0x0
	v_pk_mul_f32 v[136:137], v[132:133], v[124:125] op_sel:[0,1]
	s_delay_alu instid0(VALU_DEP_1) | instskip(SKIP_1) | instid1(VALU_DEP_1)
	v_pk_fma_f32 v[138:139], v[132:133], v[122:123], v[136:137] op_sel:[0,0,1] op_sel_hi:[1,1,0] neg_lo:[0,0,1] neg_hi:[0,0,1]
	v_pk_fma_f32 v[132:133], v[132:133], v[122:123], v[136:137] op_sel:[0,0,1] op_sel_hi:[1,0,0]
	v_mov_b32_e32 v139, v133
	v_pk_mul_f32 v[132:133], v[134:135], v[124:125] op_sel:[0,1]
	s_delay_alu instid0(VALU_DEP_1) | instskip(SKIP_1) | instid1(VALU_DEP_1)
	v_pk_fma_f32 v[136:137], v[134:135], v[122:123], v[132:133] op_sel:[0,0,1] op_sel_hi:[1,1,0] neg_lo:[0,0,1] neg_hi:[0,0,1]
	v_pk_fma_f32 v[132:133], v[134:135], v[122:123], v[132:133] op_sel:[0,0,1] op_sel_hi:[1,0,0]
	v_mov_b32_e32 v137, v133
	ds_load_2addr_b64 v[132:135], v126 offset0:30 offset1:31
	v_pk_add_f32 v[96:97], v[96:97], v[138:139] neg_lo:[0,1] neg_hi:[0,1]
	v_pk_add_f32 v[46:47], v[46:47], v[136:137] neg_lo:[0,1] neg_hi:[0,1]
	s_wait_dscnt 0x0
	v_dual_mul_f32 v136, v133, v125 :: v_dual_mul_f32 v138, v133, v122
	s_delay_alu instid0(VALU_DEP_1) | instskip(NEXT) | instid1(VALU_DEP_2)
	v_pk_fma_f32 v[136:137], v[132:133], v[78:79], v[136:137] op_sel_hi:[1,1,0] neg_lo:[0,0,1] neg_hi:[0,0,1]
	v_pk_fma_f32 v[132:133], v[132:133], v[78:79], v[138:139] op_sel:[1,0,0] op_sel_hi:[0,1,0]
	s_delay_alu instid0(VALU_DEP_1) | instskip(SKIP_1) | instid1(VALU_DEP_2)
	v_mov_b32_e32 v137, v133
	v_pk_mul_f32 v[132:133], v[134:135], v[124:125] op_sel:[0,1]
	v_pk_add_f32 v[48:49], v[48:49], v[136:137] neg_lo:[0,1] neg_hi:[0,1]
	s_delay_alu instid0(VALU_DEP_2) | instskip(SKIP_1) | instid1(VALU_DEP_1)
	v_pk_fma_f32 v[136:137], v[134:135], v[122:123], v[132:133] op_sel:[0,0,1] op_sel_hi:[1,1,0] neg_lo:[0,0,1] neg_hi:[0,0,1]
	v_pk_fma_f32 v[132:133], v[134:135], v[122:123], v[132:133] op_sel:[0,0,1] op_sel_hi:[1,0,0]
	v_mov_b32_e32 v137, v133
	ds_load_2addr_b64 v[132:135], v126 offset0:32 offset1:33
	v_pk_add_f32 v[44:45], v[44:45], v[136:137] neg_lo:[0,1] neg_hi:[0,1]
	s_wait_dscnt 0x0
	v_pk_mul_f32 v[136:137], v[132:133], v[124:125] op_sel:[0,1]
	s_delay_alu instid0(VALU_DEP_1) | instskip(SKIP_1) | instid1(VALU_DEP_1)
	v_pk_fma_f32 v[138:139], v[132:133], v[122:123], v[136:137] op_sel:[0,0,1] op_sel_hi:[1,1,0] neg_lo:[0,0,1] neg_hi:[0,0,1]
	v_pk_fma_f32 v[132:133], v[132:133], v[122:123], v[136:137] op_sel:[0,0,1] op_sel_hi:[1,0,0]
	v_mov_b32_e32 v139, v133
	v_pk_mul_f32 v[132:133], v[134:135], v[124:125] op_sel:[0,1]
	s_delay_alu instid0(VALU_DEP_2) | instskip(NEXT) | instid1(VALU_DEP_2)
	v_pk_add_f32 v[94:95], v[94:95], v[138:139] neg_lo:[0,1] neg_hi:[0,1]
	v_pk_fma_f32 v[136:137], v[134:135], v[122:123], v[132:133] op_sel:[0,0,1] op_sel_hi:[1,1,0] neg_lo:[0,0,1] neg_hi:[0,0,1]
	v_pk_fma_f32 v[132:133], v[134:135], v[122:123], v[132:133] op_sel:[0,0,1] op_sel_hi:[1,0,0]
	s_delay_alu instid0(VALU_DEP_1) | instskip(SKIP_4) | instid1(VALU_DEP_1)
	v_mov_b32_e32 v137, v133
	ds_load_2addr_b64 v[132:135], v126 offset0:34 offset1:35
	v_pk_add_f32 v[38:39], v[38:39], v[136:137] neg_lo:[0,1] neg_hi:[0,1]
	s_wait_dscnt 0x0
	v_pk_mul_f32 v[136:137], v[132:133], v[124:125] op_sel:[0,1]
	v_pk_fma_f32 v[138:139], v[132:133], v[122:123], v[136:137] op_sel:[0,0,1] op_sel_hi:[1,1,0] neg_lo:[0,0,1] neg_hi:[0,0,1]
	v_pk_fma_f32 v[132:133], v[132:133], v[122:123], v[136:137] op_sel:[0,0,1] op_sel_hi:[1,0,0]
	v_dual_mul_f32 v136, v135, v125 :: v_dual_mov_b32 v132, v135
	s_delay_alu instid0(VALU_DEP_2) | instskip(NEXT) | instid1(VALU_DEP_2)
	v_dual_mov_b32 v139, v133 :: v_dual_mov_b32 v133, v134
	v_pk_fma_f32 v[136:137], v[134:135], v[78:79], v[136:137] op_sel_hi:[1,1,0] neg_lo:[0,0,1] neg_hi:[0,0,1]
	v_mul_f32_e32 v134, v135, v122
	s_delay_alu instid0(VALU_DEP_3) | instskip(NEXT) | instid1(VALU_DEP_2)
	v_pk_add_f32 v[40:41], v[40:41], v[138:139] neg_lo:[0,1] neg_hi:[0,1]
	v_pk_fma_f32 v[132:133], v[132:133], v[78:79], v[134:135] op_sel_hi:[1,1,0]
	s_delay_alu instid0(VALU_DEP_1) | instskip(SKIP_4) | instid1(VALU_DEP_1)
	v_mov_b32_e32 v137, v133
	ds_load_2addr_b64 v[132:135], v126 offset0:36 offset1:37
	v_pk_add_f32 v[36:37], v[36:37], v[136:137] neg_lo:[0,1] neg_hi:[0,1]
	s_wait_dscnt 0x0
	v_pk_mul_f32 v[136:137], v[132:133], v[124:125] op_sel:[0,1]
	v_pk_fma_f32 v[138:139], v[132:133], v[122:123], v[136:137] op_sel:[0,0,1] op_sel_hi:[1,1,0] neg_lo:[0,0,1] neg_hi:[0,0,1]
	v_pk_fma_f32 v[132:133], v[132:133], v[122:123], v[136:137] op_sel:[0,0,1] op_sel_hi:[1,0,0]
	s_delay_alu instid0(VALU_DEP_1) | instskip(SKIP_1) | instid1(VALU_DEP_1)
	v_mov_b32_e32 v139, v133
	v_pk_mul_f32 v[132:133], v[134:135], v[124:125] op_sel:[0,1]
	v_pk_fma_f32 v[136:137], v[134:135], v[122:123], v[132:133] op_sel:[0,0,1] op_sel_hi:[1,1,0] neg_lo:[0,0,1] neg_hi:[0,0,1]
	v_pk_fma_f32 v[132:133], v[134:135], v[122:123], v[132:133] op_sel:[0,0,1] op_sel_hi:[1,0,0]
	s_delay_alu instid0(VALU_DEP_1)
	v_mov_b32_e32 v137, v133
	ds_load_2addr_b64 v[132:135], v126 offset0:38 offset1:39
	v_pk_add_f32 v[92:93], v[92:93], v[138:139] neg_lo:[0,1] neg_hi:[0,1]
	v_pk_add_f32 v[32:33], v[32:33], v[136:137] neg_lo:[0,1] neg_hi:[0,1]
	s_wait_dscnt 0x0
	v_pk_mul_f32 v[136:137], v[132:133], v[124:125] op_sel:[0,1]
	s_delay_alu instid0(VALU_DEP_1) | instskip(SKIP_1) | instid1(VALU_DEP_1)
	v_pk_fma_f32 v[138:139], v[132:133], v[122:123], v[136:137] op_sel:[0,0,1] op_sel_hi:[1,1,0] neg_lo:[0,0,1] neg_hi:[0,0,1]
	v_pk_fma_f32 v[132:133], v[132:133], v[122:123], v[136:137] op_sel:[0,0,1] op_sel_hi:[1,0,0]
	v_mov_b32_e32 v139, v133
	v_pk_mul_f32 v[132:133], v[134:135], v[124:125] op_sel:[0,1]
	s_delay_alu instid0(VALU_DEP_1) | instskip(SKIP_1) | instid1(VALU_DEP_1)
	v_pk_fma_f32 v[136:137], v[134:135], v[122:123], v[132:133] op_sel:[0,0,1] op_sel_hi:[1,1,0] neg_lo:[0,0,1] neg_hi:[0,0,1]
	v_pk_fma_f32 v[132:133], v[134:135], v[122:123], v[132:133] op_sel:[0,0,1] op_sel_hi:[1,0,0]
	v_mov_b32_e32 v137, v133
	ds_load_2addr_b64 v[132:135], v126 offset0:40 offset1:41
	v_pk_add_f32 v[34:35], v[34:35], v[138:139] neg_lo:[0,1] neg_hi:[0,1]
	v_pk_add_f32 v[30:31], v[30:31], v[136:137] neg_lo:[0,1] neg_hi:[0,1]
	s_wait_dscnt 0x0
	v_dual_mul_f32 v136, v133, v125 :: v_dual_mul_f32 v138, v133, v122
	s_delay_alu instid0(VALU_DEP_1) | instskip(NEXT) | instid1(VALU_DEP_2)
	v_pk_fma_f32 v[136:137], v[132:133], v[78:79], v[136:137] op_sel_hi:[1,1,0] neg_lo:[0,0,1] neg_hi:[0,0,1]
	v_pk_fma_f32 v[132:133], v[132:133], v[78:79], v[138:139] op_sel:[1,0,0] op_sel_hi:[0,1,0]
	s_delay_alu instid0(VALU_DEP_1) | instskip(SKIP_1) | instid1(VALU_DEP_2)
	v_mov_b32_e32 v137, v133
	v_pk_mul_f32 v[132:133], v[134:135], v[124:125] op_sel:[0,1]
	v_pk_add_f32 v[90:91], v[90:91], v[136:137] neg_lo:[0,1] neg_hi:[0,1]
	s_delay_alu instid0(VALU_DEP_2) | instskip(SKIP_1) | instid1(VALU_DEP_1)
	v_pk_fma_f32 v[136:137], v[134:135], v[122:123], v[132:133] op_sel:[0,0,1] op_sel_hi:[1,1,0] neg_lo:[0,0,1] neg_hi:[0,0,1]
	v_pk_fma_f32 v[132:133], v[134:135], v[122:123], v[132:133] op_sel:[0,0,1] op_sel_hi:[1,0,0]
	v_mov_b32_e32 v137, v133
	ds_load_2addr_b64 v[132:135], v126 offset0:42 offset1:43
	v_pk_add_f32 v[24:25], v[24:25], v[136:137] neg_lo:[0,1] neg_hi:[0,1]
	s_wait_dscnt 0x0
	v_pk_mul_f32 v[136:137], v[132:133], v[124:125] op_sel:[0,1]
	s_delay_alu instid0(VALU_DEP_1) | instskip(SKIP_1) | instid1(VALU_DEP_1)
	v_pk_fma_f32 v[138:139], v[132:133], v[122:123], v[136:137] op_sel:[0,0,1] op_sel_hi:[1,1,0] neg_lo:[0,0,1] neg_hi:[0,0,1]
	v_pk_fma_f32 v[132:133], v[132:133], v[122:123], v[136:137] op_sel:[0,0,1] op_sel_hi:[1,0,0]
	v_mov_b32_e32 v139, v133
	v_pk_mul_f32 v[132:133], v[134:135], v[124:125] op_sel:[0,1]
	s_delay_alu instid0(VALU_DEP_2) | instskip(NEXT) | instid1(VALU_DEP_2)
	v_pk_add_f32 v[26:27], v[26:27], v[138:139] neg_lo:[0,1] neg_hi:[0,1]
	v_pk_fma_f32 v[136:137], v[134:135], v[122:123], v[132:133] op_sel:[0,0,1] op_sel_hi:[1,1,0] neg_lo:[0,0,1] neg_hi:[0,0,1]
	v_pk_fma_f32 v[132:133], v[134:135], v[122:123], v[132:133] op_sel:[0,0,1] op_sel_hi:[1,0,0]
	s_delay_alu instid0(VALU_DEP_1) | instskip(SKIP_4) | instid1(VALU_DEP_1)
	v_mov_b32_e32 v137, v133
	ds_load_2addr_b64 v[132:135], v126 offset0:44 offset1:45
	v_pk_add_f32 v[22:23], v[22:23], v[136:137] neg_lo:[0,1] neg_hi:[0,1]
	s_wait_dscnt 0x0
	v_pk_mul_f32 v[136:137], v[132:133], v[124:125] op_sel:[0,1]
	v_pk_fma_f32 v[138:139], v[132:133], v[122:123], v[136:137] op_sel:[0,0,1] op_sel_hi:[1,1,0] neg_lo:[0,0,1] neg_hi:[0,0,1]
	v_pk_fma_f32 v[132:133], v[132:133], v[122:123], v[136:137] op_sel:[0,0,1] op_sel_hi:[1,0,0]
	v_dual_mul_f32 v136, v135, v125 :: v_dual_mov_b32 v132, v135
	s_delay_alu instid0(VALU_DEP_2) | instskip(NEXT) | instid1(VALU_DEP_2)
	v_dual_mov_b32 v139, v133 :: v_dual_mov_b32 v133, v134
	v_pk_fma_f32 v[136:137], v[134:135], v[78:79], v[136:137] op_sel_hi:[1,1,0] neg_lo:[0,0,1] neg_hi:[0,0,1]
	v_mul_f32_e32 v134, v135, v122
	s_delay_alu instid0(VALU_DEP_3) | instskip(NEXT) | instid1(VALU_DEP_2)
	v_pk_add_f32 v[88:89], v[88:89], v[138:139] neg_lo:[0,1] neg_hi:[0,1]
	v_pk_fma_f32 v[132:133], v[132:133], v[78:79], v[134:135] op_sel_hi:[1,1,0]
	s_delay_alu instid0(VALU_DEP_1) | instskip(SKIP_4) | instid1(VALU_DEP_1)
	v_mov_b32_e32 v137, v133
	ds_load_2addr_b64 v[132:135], v126 offset0:46 offset1:47
	v_pk_add_f32 v[18:19], v[18:19], v[136:137] neg_lo:[0,1] neg_hi:[0,1]
	s_wait_dscnt 0x0
	v_pk_mul_f32 v[136:137], v[132:133], v[124:125] op_sel:[0,1]
	v_pk_fma_f32 v[138:139], v[132:133], v[122:123], v[136:137] op_sel:[0,0,1] op_sel_hi:[1,1,0] neg_lo:[0,0,1] neg_hi:[0,0,1]
	v_pk_fma_f32 v[132:133], v[132:133], v[122:123], v[136:137] op_sel:[0,0,1] op_sel_hi:[1,0,0]
	s_delay_alu instid0(VALU_DEP_1) | instskip(SKIP_1) | instid1(VALU_DEP_1)
	v_mov_b32_e32 v139, v133
	v_pk_mul_f32 v[132:133], v[134:135], v[124:125] op_sel:[0,1]
	v_pk_fma_f32 v[136:137], v[134:135], v[122:123], v[132:133] op_sel:[0,0,1] op_sel_hi:[1,1,0] neg_lo:[0,0,1] neg_hi:[0,0,1]
	v_pk_fma_f32 v[132:133], v[134:135], v[122:123], v[132:133] op_sel:[0,0,1] op_sel_hi:[1,0,0]
	s_delay_alu instid0(VALU_DEP_1)
	v_mov_b32_e32 v137, v133
	ds_load_2addr_b64 v[132:135], v126 offset0:48 offset1:49
	v_pk_add_f32 v[20:21], v[20:21], v[138:139] neg_lo:[0,1] neg_hi:[0,1]
	v_pk_add_f32 v[16:17], v[16:17], v[136:137] neg_lo:[0,1] neg_hi:[0,1]
	s_wait_dscnt 0x0
	v_pk_mul_f32 v[136:137], v[132:133], v[124:125] op_sel:[0,1]
	s_delay_alu instid0(VALU_DEP_1) | instskip(SKIP_1) | instid1(VALU_DEP_1)
	v_pk_fma_f32 v[138:139], v[132:133], v[122:123], v[136:137] op_sel:[0,0,1] op_sel_hi:[1,1,0] neg_lo:[0,0,1] neg_hi:[0,0,1]
	v_pk_fma_f32 v[132:133], v[132:133], v[122:123], v[136:137] op_sel:[0,0,1] op_sel_hi:[1,0,0]
	v_mov_b32_e32 v139, v133
	v_pk_mul_f32 v[132:133], v[134:135], v[124:125] op_sel:[0,1]
	s_delay_alu instid0(VALU_DEP_1) | instskip(SKIP_1) | instid1(VALU_DEP_1)
	v_pk_fma_f32 v[136:137], v[134:135], v[122:123], v[132:133] op_sel:[0,0,1] op_sel_hi:[1,1,0] neg_lo:[0,0,1] neg_hi:[0,0,1]
	v_pk_fma_f32 v[132:133], v[134:135], v[122:123], v[132:133] op_sel:[0,0,1] op_sel_hi:[1,0,0]
	v_mov_b32_e32 v137, v133
	ds_load_2addr_b64 v[132:135], v126 offset0:50 offset1:51
	v_pk_add_f32 v[84:85], v[84:85], v[138:139] neg_lo:[0,1] neg_hi:[0,1]
	v_pk_add_f32 v[10:11], v[10:11], v[136:137] neg_lo:[0,1] neg_hi:[0,1]
	s_wait_dscnt 0x0
	v_dual_mul_f32 v136, v133, v125 :: v_dual_mul_f32 v138, v133, v122
	s_delay_alu instid0(VALU_DEP_1) | instskip(NEXT) | instid1(VALU_DEP_2)
	v_pk_fma_f32 v[136:137], v[132:133], v[78:79], v[136:137] op_sel_hi:[1,1,0] neg_lo:[0,0,1] neg_hi:[0,0,1]
	v_pk_fma_f32 v[132:133], v[132:133], v[78:79], v[138:139] op_sel:[1,0,0] op_sel_hi:[0,1,0]
	s_delay_alu instid0(VALU_DEP_1) | instskip(SKIP_1) | instid1(VALU_DEP_2)
	v_mov_b32_e32 v137, v133
	v_pk_mul_f32 v[132:133], v[134:135], v[124:125] op_sel:[0,1]
	v_pk_add_f32 v[12:13], v[12:13], v[136:137] neg_lo:[0,1] neg_hi:[0,1]
	s_delay_alu instid0(VALU_DEP_2) | instskip(SKIP_1) | instid1(VALU_DEP_1)
	v_pk_fma_f32 v[136:137], v[134:135], v[122:123], v[132:133] op_sel:[0,0,1] op_sel_hi:[1,1,0] neg_lo:[0,0,1] neg_hi:[0,0,1]
	v_pk_fma_f32 v[132:133], v[134:135], v[122:123], v[132:133] op_sel:[0,0,1] op_sel_hi:[1,0,0]
	v_mov_b32_e32 v137, v133
	ds_load_2addr_b64 v[132:135], v126 offset0:52 offset1:53
	v_pk_add_f32 v[8:9], v[8:9], v[136:137] neg_lo:[0,1] neg_hi:[0,1]
	s_wait_dscnt 0x0
	v_pk_mul_f32 v[136:137], v[132:133], v[124:125] op_sel:[0,1]
	s_delay_alu instid0(VALU_DEP_1) | instskip(SKIP_1) | instid1(VALU_DEP_1)
	v_pk_fma_f32 v[138:139], v[132:133], v[122:123], v[136:137] op_sel:[0,0,1] op_sel_hi:[1,1,0] neg_lo:[0,0,1] neg_hi:[0,0,1]
	v_pk_fma_f32 v[132:133], v[132:133], v[122:123], v[136:137] op_sel:[0,0,1] op_sel_hi:[1,0,0]
	v_mov_b32_e32 v139, v133
	v_pk_mul_f32 v[132:133], v[134:135], v[124:125] op_sel:[0,1]
	s_delay_alu instid0(VALU_DEP_2) | instskip(NEXT) | instid1(VALU_DEP_2)
	v_pk_add_f32 v[60:61], v[60:61], v[138:139] neg_lo:[0,1] neg_hi:[0,1]
	v_pk_fma_f32 v[136:137], v[134:135], v[122:123], v[132:133] op_sel:[0,0,1] op_sel_hi:[1,1,0] neg_lo:[0,0,1] neg_hi:[0,0,1]
	v_pk_fma_f32 v[132:133], v[134:135], v[122:123], v[132:133] op_sel:[0,0,1] op_sel_hi:[1,0,0]
	s_delay_alu instid0(VALU_DEP_1) | instskip(SKIP_4) | instid1(VALU_DEP_1)
	v_mov_b32_e32 v137, v133
	ds_load_2addr_b64 v[132:135], v126 offset0:54 offset1:55
	v_pk_add_f32 v[6:7], v[6:7], v[136:137] neg_lo:[0,1] neg_hi:[0,1]
	s_wait_dscnt 0x0
	v_pk_mul_f32 v[136:137], v[132:133], v[124:125] op_sel:[0,1]
	v_pk_fma_f32 v[138:139], v[132:133], v[122:123], v[136:137] op_sel:[0,0,1] op_sel_hi:[1,1,0] neg_lo:[0,0,1] neg_hi:[0,0,1]
	v_pk_fma_f32 v[132:133], v[132:133], v[122:123], v[136:137] op_sel:[0,0,1] op_sel_hi:[1,0,0]
	v_dual_mul_f32 v136, v135, v125 :: v_dual_mov_b32 v132, v135
	s_delay_alu instid0(VALU_DEP_2) | instskip(NEXT) | instid1(VALU_DEP_2)
	v_dual_mov_b32 v139, v133 :: v_dual_mov_b32 v133, v134
	v_pk_fma_f32 v[136:137], v[134:135], v[78:79], v[136:137] op_sel_hi:[1,1,0] neg_lo:[0,0,1] neg_hi:[0,0,1]
	v_mul_f32_e32 v134, v135, v122
	s_delay_alu instid0(VALU_DEP_3) | instskip(NEXT) | instid1(VALU_DEP_2)
	v_pk_add_f32 v[42:43], v[42:43], v[138:139] neg_lo:[0,1] neg_hi:[0,1]
	v_pk_fma_f32 v[132:133], v[132:133], v[78:79], v[134:135] op_sel_hi:[1,1,0]
	s_delay_alu instid0(VALU_DEP_1)
	v_mov_b32_e32 v137, v133
	ds_load_2addr_b64 v[132:135], v126 offset0:56 offset1:57
	v_pk_add_f32 v[28:29], v[28:29], v[136:137] neg_lo:[0,1] neg_hi:[0,1]
	s_wait_dscnt 0x0
	v_pk_mul_f32 v[136:137], v[132:133], v[124:125] op_sel:[0,1]
	v_pk_mul_f32 v[124:125], v[134:135], v[124:125] op_sel:[0,1]
	s_delay_alu instid0(VALU_DEP_2) | instskip(SKIP_1) | instid1(VALU_DEP_1)
	v_pk_fma_f32 v[138:139], v[132:133], v[122:123], v[136:137] op_sel:[0,0,1] op_sel_hi:[1,1,0] neg_lo:[0,0,1] neg_hi:[0,0,1]
	v_pk_fma_f32 v[132:133], v[132:133], v[122:123], v[136:137] op_sel:[0,0,1] op_sel_hi:[1,0,0]
	v_mov_b32_e32 v139, v133
	s_delay_alu instid0(VALU_DEP_4) | instskip(SKIP_1) | instid1(VALU_DEP_1)
	v_pk_fma_f32 v[132:133], v[134:135], v[122:123], v[124:125] op_sel:[0,0,1] op_sel_hi:[1,1,0] neg_lo:[0,0,1] neg_hi:[0,0,1]
	v_pk_fma_f32 v[122:123], v[134:135], v[122:123], v[124:125] op_sel:[0,0,1] op_sel_hi:[1,0,0]
	v_mov_b32_e32 v133, v123
	s_delay_alu instid0(VALU_DEP_4) | instskip(NEXT) | instid1(VALU_DEP_2)
	v_pk_add_f32 v[14:15], v[14:15], v[138:139] neg_lo:[0,1] neg_hi:[0,1]
	v_pk_add_f32 v[120:121], v[120:121], v[132:133] neg_lo:[0,1] neg_hi:[0,1]
.LBB114_251:
	s_or_b32 exec_lo, exec_lo, s0
	v_lshl_add_u32 v122, v130, 3, v126
	s_barrier_signal -1
	s_barrier_wait -1
	ds_store_b64 v122, v[106:107]
	s_wait_dscnt 0x0
	s_barrier_signal -1
	s_barrier_wait -1
	ds_load_b64 v[124:125], v126 offset:96
	v_mov_b32_e32 v122, 12
	s_cmp_lt_i32 s18, 14
	s_cbranch_scc1 .LBB114_254
; %bb.252:
	v_add3_u32 v123, v127, 0, 0x68
	v_mov_b32_e32 v122, 12
	s_mov_b32 s0, 13
.LBB114_253:                            ; =>This Inner Loop Header: Depth=1
	ds_load_b64 v[132:133], v123
	s_wait_dscnt 0x1
	v_cmp_gt_f32_e32 vcc_lo, 0, v124
	v_cndmask_b32_e64 v134, v124, -v124, vcc_lo
	v_cmp_gt_f32_e32 vcc_lo, 0, v125
	v_cndmask_b32_e64 v136, v125, -v125, vcc_lo
	s_wait_dscnt 0x0
	v_cmp_gt_f32_e32 vcc_lo, 0, v132
	v_cndmask_b32_e64 v135, v132, -v132, vcc_lo
	v_cmp_gt_f32_e32 vcc_lo, 0, v133
	v_cndmask_b32_e64 v137, v133, -v133, vcc_lo
	s_delay_alu instid0(VALU_DEP_1) | instskip(NEXT) | instid1(VALU_DEP_1)
	v_pk_add_f32 v[134:135], v[134:135], v[136:137]
	v_cmp_lt_f32_e32 vcc_lo, v134, v135
	v_dual_add_nc_u32 v123, 8, v123 :: v_dual_cndmask_b32 v125, v125, v133, vcc_lo
	v_cndmask_b32_e32 v124, v124, v132, vcc_lo
	v_cndmask_b32_e64 v122, v122, s0, vcc_lo
	s_add_co_i32 s0, s0, 1
	s_delay_alu instid0(SALU_CYCLE_1)
	s_cmp_lg_u32 s18, s0
	s_cbranch_scc1 .LBB114_253
.LBB114_254:
	s_wait_dscnt 0x0
	v_cmp_eq_f32_e32 vcc_lo, 0, v124
	v_cmp_eq_f32_e64 s0, 0, v125
	s_and_b32 s0, vcc_lo, s0
	s_delay_alu instid0(SALU_CYCLE_1) | instskip(NEXT) | instid1(SALU_CYCLE_1)
	s_and_saveexec_b32 s1, s0
	s_xor_b32 s0, exec_lo, s1
; %bb.255:
	v_cmp_ne_u32_e32 vcc_lo, 0, v128
	v_cndmask_b32_e32 v128, 13, v128, vcc_lo
; %bb.256:
	s_and_not1_saveexec_b32 s0, s0
	s_cbranch_execz .LBB114_262
; %bb.257:
	v_cmp_ngt_f32_e64 s1, |v124|, |v125|
	s_and_saveexec_b32 s12, s1
	s_delay_alu instid0(SALU_CYCLE_1)
	s_xor_b32 s1, exec_lo, s12
	s_cbranch_execz .LBB114_259
; %bb.258:
	v_div_scale_f32 v123, null, v125, v125, v124
	v_div_scale_f32 v133, vcc_lo, v124, v125, v124
	s_delay_alu instid0(VALU_DEP_2) | instskip(SKIP_1) | instid1(TRANS32_DEP_1)
	v_rcp_f32_e32 v131, v123
	v_nop
	v_fma_f32 v132, -v123, v131, 1.0
	s_delay_alu instid0(VALU_DEP_1) | instskip(NEXT) | instid1(VALU_DEP_1)
	v_fmac_f32_e32 v131, v132, v131
	v_mul_f32_e32 v132, v133, v131
	s_delay_alu instid0(VALU_DEP_1) | instskip(NEXT) | instid1(VALU_DEP_1)
	v_fma_f32 v134, -v123, v132, v133
	v_fmac_f32_e32 v132, v134, v131
	s_delay_alu instid0(VALU_DEP_1) | instskip(NEXT) | instid1(VALU_DEP_1)
	v_fma_f32 v123, -v123, v132, v133
	v_div_fmas_f32 v123, v123, v131, v132
	s_delay_alu instid0(VALU_DEP_1) | instskip(NEXT) | instid1(VALU_DEP_1)
	v_div_fixup_f32 v123, v123, v125, v124
	v_fmac_f32_e32 v125, v124, v123
	s_delay_alu instid0(VALU_DEP_1) | instskip(SKIP_1) | instid1(VALU_DEP_2)
	v_div_scale_f32 v124, null, v125, v125, 1.0
	v_div_scale_f32 v133, vcc_lo, 1.0, v125, 1.0
	v_rcp_f32_e32 v131, v124
	v_nop
	s_delay_alu instid0(TRANS32_DEP_1) | instskip(NEXT) | instid1(VALU_DEP_1)
	v_fma_f32 v132, -v124, v131, 1.0
	v_fmac_f32_e32 v131, v132, v131
	s_delay_alu instid0(VALU_DEP_1) | instskip(NEXT) | instid1(VALU_DEP_1)
	v_mul_f32_e32 v132, v133, v131
	v_fma_f32 v134, -v124, v132, v133
	s_delay_alu instid0(VALU_DEP_1) | instskip(NEXT) | instid1(VALU_DEP_1)
	v_fmac_f32_e32 v132, v134, v131
	v_fma_f32 v124, -v124, v132, v133
	s_delay_alu instid0(VALU_DEP_1) | instskip(NEXT) | instid1(VALU_DEP_1)
	v_div_fmas_f32 v124, v124, v131, v132
	v_div_fixup_f32 v125, v124, v125, 1.0
	s_delay_alu instid0(VALU_DEP_1)
	v_mul_f32_e32 v124, v123, v125
	v_xor_b32_e32 v125, 0x80000000, v125
.LBB114_259:
	s_and_not1_saveexec_b32 s1, s1
	s_cbranch_execz .LBB114_261
; %bb.260:
	s_delay_alu instid0(VALU_DEP_1) | instskip(SKIP_1) | instid1(VALU_DEP_2)
	v_div_scale_f32 v123, null, v124, v124, v125
	v_div_scale_f32 v133, vcc_lo, v125, v124, v125
	v_rcp_f32_e32 v131, v123
	v_nop
	s_delay_alu instid0(TRANS32_DEP_1) | instskip(NEXT) | instid1(VALU_DEP_1)
	v_fma_f32 v132, -v123, v131, 1.0
	v_fmac_f32_e32 v131, v132, v131
	s_delay_alu instid0(VALU_DEP_1) | instskip(NEXT) | instid1(VALU_DEP_1)
	v_mul_f32_e32 v132, v133, v131
	v_fma_f32 v134, -v123, v132, v133
	s_delay_alu instid0(VALU_DEP_1) | instskip(NEXT) | instid1(VALU_DEP_1)
	v_fmac_f32_e32 v132, v134, v131
	v_fma_f32 v123, -v123, v132, v133
	s_delay_alu instid0(VALU_DEP_1) | instskip(NEXT) | instid1(VALU_DEP_1)
	v_div_fmas_f32 v123, v123, v131, v132
	v_div_fixup_f32 v123, v123, v124, v125
	s_delay_alu instid0(VALU_DEP_1) | instskip(NEXT) | instid1(VALU_DEP_1)
	v_fmac_f32_e32 v124, v125, v123
	v_div_scale_f32 v125, null, v124, v124, 1.0
	s_delay_alu instid0(VALU_DEP_1) | instskip(SKIP_1) | instid1(TRANS32_DEP_1)
	v_rcp_f32_e32 v131, v125
	v_nop
	v_fma_f32 v132, -v125, v131, 1.0
	s_delay_alu instid0(VALU_DEP_1) | instskip(SKIP_1) | instid1(VALU_DEP_1)
	v_fmac_f32_e32 v131, v132, v131
	v_div_scale_f32 v132, vcc_lo, 1.0, v124, 1.0
	v_mul_f32_e32 v133, v132, v131
	s_delay_alu instid0(VALU_DEP_1) | instskip(NEXT) | instid1(VALU_DEP_1)
	v_fma_f32 v134, -v125, v133, v132
	v_fmac_f32_e32 v133, v134, v131
	s_delay_alu instid0(VALU_DEP_1) | instskip(NEXT) | instid1(VALU_DEP_1)
	v_fma_f32 v125, -v125, v133, v132
	v_div_fmas_f32 v125, v125, v131, v133
	s_delay_alu instid0(VALU_DEP_1) | instskip(NEXT) | instid1(VALU_DEP_1)
	v_div_fixup_f32 v124, v125, v124, 1.0
	v_mul_f32_e64 v125, v123, -v124
.LBB114_261:
	s_or_b32 exec_lo, exec_lo, s1
.LBB114_262:
	s_delay_alu instid0(SALU_CYCLE_1) | instskip(NEXT) | instid1(SALU_CYCLE_1)
	s_or_b32 exec_lo, exec_lo, s0
	s_mov_b32 s0, exec_lo
	v_cmpx_ne_u32_e64 v130, v122
	s_xor_b32 s0, exec_lo, s0
	s_cbranch_execz .LBB114_268
; %bb.263:
	s_mov_b32 s1, exec_lo
	v_cmpx_eq_u32_e32 12, v130
	s_cbranch_execz .LBB114_267
; %bb.264:
	v_cmp_ne_u32_e32 vcc_lo, 12, v122
	s_xor_b32 s12, s16, -1
	s_delay_alu instid0(SALU_CYCLE_1) | instskip(NEXT) | instid1(SALU_CYCLE_1)
	s_and_b32 s13, s12, vcc_lo
	s_and_saveexec_b32 s12, s13
	s_cbranch_execz .LBB114_266
; %bb.265:
	v_ashrrev_i32_e32 v123, 31, v122
	s_delay_alu instid0(VALU_DEP_1)
	v_lshl_add_u64 v[130:131], v[122:123], 2, v[4:5]
	s_clause 0x1
	global_load_b32 v123, v[130:131], off
	global_load_b32 v129, v[4:5], off offset:48
	s_wait_loadcnt 0x1
	global_store_b32 v[4:5], v123, off offset:48
	s_wait_loadcnt 0x0
	global_store_b32 v[130:131], v129, off
.LBB114_266:
	s_wait_xcnt 0x0
	s_or_b32 exec_lo, exec_lo, s12
	v_dual_mov_b32 v130, v122 :: v_dual_mov_b32 v129, v122
.LBB114_267:
	s_or_b32 exec_lo, exec_lo, s1
.LBB114_268:
	s_and_not1_saveexec_b32 s0, s0
	s_cbranch_execz .LBB114_270
; %bb.269:
	v_mov_b32_e32 v130, 12
	ds_store_2addr_b64 v126, v[74:75], v[76:77] offset0:13 offset1:14
	ds_store_2addr_b64 v126, v[72:73], v[104:105] offset0:15 offset1:16
	;; [unrolled: 1-line block ×22, first 2 shown]
	ds_store_b64 v126, v[120:121] offset:456
.LBB114_270:
	s_or_b32 exec_lo, exec_lo, s0
	s_delay_alu instid0(SALU_CYCLE_1)
	s_mov_b32 s0, exec_lo
	s_wait_storecnt_dscnt 0x0
	s_barrier_signal -1
	s_barrier_wait -1
	v_cmpx_lt_i32_e32 12, v130
	s_cbranch_execz .LBB114_272
; %bb.271:
	v_pk_mul_f32 v[132:133], v[124:125], v[106:107] op_sel:[1,1] op_sel_hi:[0,1]
	s_delay_alu instid0(VALU_DEP_1)
	v_pk_fma_f32 v[122:123], v[124:125], v[106:107], v[132:133] op_sel_hi:[1,0,1] neg_lo:[0,0,1] neg_hi:[0,0,1]
	v_pk_fma_f32 v[124:125], v[124:125], v[106:107], v[132:133] op_sel_hi:[1,0,1]
	ds_load_2addr_b64 v[132:135], v126 offset0:13 offset1:14
	v_dual_mov_b32 v106, v122 :: v_dual_mov_b32 v107, v125
	s_wait_dscnt 0x0
	v_pk_mul_f32 v[136:137], v[132:133], v[124:125] op_sel:[0,1]
	s_delay_alu instid0(VALU_DEP_1) | instskip(SKIP_1) | instid1(VALU_DEP_1)
	v_pk_fma_f32 v[138:139], v[132:133], v[122:123], v[136:137] op_sel:[0,0,1] op_sel_hi:[1,1,0] neg_lo:[0,0,1] neg_hi:[0,0,1]
	v_pk_fma_f32 v[132:133], v[132:133], v[122:123], v[136:137] op_sel:[0,0,1] op_sel_hi:[1,0,0]
	v_mov_b32_e32 v139, v133
	v_pk_mul_f32 v[132:133], v[134:135], v[124:125] op_sel:[0,1]
	s_delay_alu instid0(VALU_DEP_1) | instskip(SKIP_1) | instid1(VALU_DEP_1)
	v_pk_fma_f32 v[136:137], v[134:135], v[122:123], v[132:133] op_sel:[0,0,1] op_sel_hi:[1,1,0] neg_lo:[0,0,1] neg_hi:[0,0,1]
	v_pk_fma_f32 v[132:133], v[134:135], v[122:123], v[132:133] op_sel:[0,0,1] op_sel_hi:[1,0,0]
	v_mov_b32_e32 v137, v133
	ds_load_2addr_b64 v[132:135], v126 offset0:15 offset1:16
	v_pk_add_f32 v[74:75], v[74:75], v[138:139] neg_lo:[0,1] neg_hi:[0,1]
	v_pk_add_f32 v[76:77], v[76:77], v[136:137] neg_lo:[0,1] neg_hi:[0,1]
	s_wait_dscnt 0x0
	v_pk_mul_f32 v[136:137], v[132:133], v[124:125] op_sel:[0,1]
	s_delay_alu instid0(VALU_DEP_1) | instskip(SKIP_2) | instid1(VALU_DEP_2)
	v_pk_fma_f32 v[138:139], v[132:133], v[122:123], v[136:137] op_sel:[0,0,1] op_sel_hi:[1,1,0] neg_lo:[0,0,1] neg_hi:[0,0,1]
	v_pk_fma_f32 v[132:133], v[132:133], v[122:123], v[136:137] op_sel:[0,0,1] op_sel_hi:[1,0,0]
	v_dual_mul_f32 v136, v135, v125 :: v_dual_mov_b32 v132, v135
	v_dual_mov_b32 v139, v133 :: v_dual_mov_b32 v133, v134
	s_delay_alu instid0(VALU_DEP_2) | instskip(SKIP_1) | instid1(VALU_DEP_3)
	v_pk_fma_f32 v[136:137], v[134:135], v[106:107], v[136:137] op_sel_hi:[1,1,0] neg_lo:[0,0,1] neg_hi:[0,0,1]
	v_mul_f32_e32 v134, v135, v122
	v_pk_add_f32 v[72:73], v[72:73], v[138:139] neg_lo:[0,1] neg_hi:[0,1]
	s_delay_alu instid0(VALU_DEP_2) | instskip(NEXT) | instid1(VALU_DEP_1)
	v_pk_fma_f32 v[132:133], v[132:133], v[106:107], v[134:135] op_sel_hi:[1,1,0]
	v_mov_b32_e32 v137, v133
	ds_load_2addr_b64 v[132:135], v126 offset0:17 offset1:18
	v_pk_add_f32 v[104:105], v[104:105], v[136:137] neg_lo:[0,1] neg_hi:[0,1]
	s_wait_dscnt 0x0
	v_pk_mul_f32 v[136:137], v[132:133], v[124:125] op_sel:[0,1]
	s_delay_alu instid0(VALU_DEP_1) | instskip(SKIP_1) | instid1(VALU_DEP_1)
	v_pk_fma_f32 v[138:139], v[132:133], v[122:123], v[136:137] op_sel:[0,0,1] op_sel_hi:[1,1,0] neg_lo:[0,0,1] neg_hi:[0,0,1]
	v_pk_fma_f32 v[132:133], v[132:133], v[122:123], v[136:137] op_sel:[0,0,1] op_sel_hi:[1,0,0]
	v_mov_b32_e32 v139, v133
	v_pk_mul_f32 v[132:133], v[134:135], v[124:125] op_sel:[0,1]
	s_delay_alu instid0(VALU_DEP_1) | instskip(SKIP_1) | instid1(VALU_DEP_1)
	v_pk_fma_f32 v[136:137], v[134:135], v[122:123], v[132:133] op_sel:[0,0,1] op_sel_hi:[1,1,0] neg_lo:[0,0,1] neg_hi:[0,0,1]
	v_pk_fma_f32 v[132:133], v[134:135], v[122:123], v[132:133] op_sel:[0,0,1] op_sel_hi:[1,0,0]
	v_mov_b32_e32 v137, v133
	ds_load_2addr_b64 v[132:135], v126 offset0:19 offset1:20
	v_pk_add_f32 v[66:67], v[66:67], v[138:139] neg_lo:[0,1] neg_hi:[0,1]
	v_pk_add_f32 v[68:69], v[68:69], v[136:137] neg_lo:[0,1] neg_hi:[0,1]
	s_wait_dscnt 0x0
	v_pk_mul_f32 v[136:137], v[132:133], v[124:125] op_sel:[0,1]
	s_delay_alu instid0(VALU_DEP_1) | instskip(SKIP_1) | instid1(VALU_DEP_1)
	v_pk_fma_f32 v[138:139], v[132:133], v[122:123], v[136:137] op_sel:[0,0,1] op_sel_hi:[1,1,0] neg_lo:[0,0,1] neg_hi:[0,0,1]
	v_pk_fma_f32 v[132:133], v[132:133], v[122:123], v[136:137] op_sel:[0,0,1] op_sel_hi:[1,0,0]
	v_mov_b32_e32 v139, v133
	v_pk_mul_f32 v[132:133], v[134:135], v[124:125] op_sel:[0,1]
	s_delay_alu instid0(VALU_DEP_1) | instskip(SKIP_1) | instid1(VALU_DEP_1)
	v_pk_fma_f32 v[136:137], v[134:135], v[122:123], v[132:133] op_sel:[0,0,1] op_sel_hi:[1,1,0] neg_lo:[0,0,1] neg_hi:[0,0,1]
	v_pk_fma_f32 v[132:133], v[134:135], v[122:123], v[132:133] op_sel:[0,0,1] op_sel_hi:[1,0,0]
	v_mov_b32_e32 v137, v133
	ds_load_2addr_b64 v[132:135], v126 offset0:21 offset1:22
	v_pk_add_f32 v[64:65], v[64:65], v[138:139] neg_lo:[0,1] neg_hi:[0,1]
	v_pk_add_f32 v[102:103], v[102:103], v[136:137] neg_lo:[0,1] neg_hi:[0,1]
	s_wait_dscnt 0x0
	v_dual_mul_f32 v136, v133, v125 :: v_dual_mul_f32 v138, v133, v122
	s_delay_alu instid0(VALU_DEP_1) | instskip(NEXT) | instid1(VALU_DEP_2)
	v_pk_fma_f32 v[136:137], v[132:133], v[106:107], v[136:137] op_sel_hi:[1,1,0] neg_lo:[0,0,1] neg_hi:[0,0,1]
	v_pk_fma_f32 v[132:133], v[132:133], v[106:107], v[138:139] op_sel:[1,0,0] op_sel_hi:[0,1,0]
	s_delay_alu instid0(VALU_DEP_1) | instskip(SKIP_1) | instid1(VALU_DEP_2)
	v_mov_b32_e32 v137, v133
	v_pk_mul_f32 v[132:133], v[134:135], v[124:125] op_sel:[0,1]
	v_pk_add_f32 v[58:59], v[58:59], v[136:137] neg_lo:[0,1] neg_hi:[0,1]
	s_delay_alu instid0(VALU_DEP_2) | instskip(SKIP_1) | instid1(VALU_DEP_1)
	v_pk_fma_f32 v[136:137], v[134:135], v[122:123], v[132:133] op_sel:[0,0,1] op_sel_hi:[1,1,0] neg_lo:[0,0,1] neg_hi:[0,0,1]
	v_pk_fma_f32 v[132:133], v[134:135], v[122:123], v[132:133] op_sel:[0,0,1] op_sel_hi:[1,0,0]
	v_mov_b32_e32 v137, v133
	ds_load_2addr_b64 v[132:135], v126 offset0:23 offset1:24
	v_pk_add_f32 v[62:63], v[62:63], v[136:137] neg_lo:[0,1] neg_hi:[0,1]
	s_wait_dscnt 0x0
	v_pk_mul_f32 v[136:137], v[132:133], v[124:125] op_sel:[0,1]
	s_delay_alu instid0(VALU_DEP_1) | instskip(SKIP_1) | instid1(VALU_DEP_1)
	v_pk_fma_f32 v[138:139], v[132:133], v[122:123], v[136:137] op_sel:[0,0,1] op_sel_hi:[1,1,0] neg_lo:[0,0,1] neg_hi:[0,0,1]
	v_pk_fma_f32 v[132:133], v[132:133], v[122:123], v[136:137] op_sel:[0,0,1] op_sel_hi:[1,0,0]
	v_mov_b32_e32 v139, v133
	v_pk_mul_f32 v[132:133], v[134:135], v[124:125] op_sel:[0,1]
	s_delay_alu instid0(VALU_DEP_2) | instskip(NEXT) | instid1(VALU_DEP_2)
	v_pk_add_f32 v[56:57], v[56:57], v[138:139] neg_lo:[0,1] neg_hi:[0,1]
	v_pk_fma_f32 v[136:137], v[134:135], v[122:123], v[132:133] op_sel:[0,0,1] op_sel_hi:[1,1,0] neg_lo:[0,0,1] neg_hi:[0,0,1]
	v_pk_fma_f32 v[132:133], v[134:135], v[122:123], v[132:133] op_sel:[0,0,1] op_sel_hi:[1,0,0]
	s_delay_alu instid0(VALU_DEP_1) | instskip(SKIP_4) | instid1(VALU_DEP_1)
	v_mov_b32_e32 v137, v133
	ds_load_2addr_b64 v[132:135], v126 offset0:25 offset1:26
	v_pk_add_f32 v[100:101], v[100:101], v[136:137] neg_lo:[0,1] neg_hi:[0,1]
	s_wait_dscnt 0x0
	v_pk_mul_f32 v[136:137], v[132:133], v[124:125] op_sel:[0,1]
	v_pk_fma_f32 v[138:139], v[132:133], v[122:123], v[136:137] op_sel:[0,0,1] op_sel_hi:[1,1,0] neg_lo:[0,0,1] neg_hi:[0,0,1]
	v_pk_fma_f32 v[132:133], v[132:133], v[122:123], v[136:137] op_sel:[0,0,1] op_sel_hi:[1,0,0]
	v_dual_mul_f32 v136, v135, v125 :: v_dual_mov_b32 v132, v135
	s_delay_alu instid0(VALU_DEP_2) | instskip(NEXT) | instid1(VALU_DEP_2)
	v_dual_mov_b32 v139, v133 :: v_dual_mov_b32 v133, v134
	v_pk_fma_f32 v[136:137], v[134:135], v[106:107], v[136:137] op_sel_hi:[1,1,0] neg_lo:[0,0,1] neg_hi:[0,0,1]
	v_mul_f32_e32 v134, v135, v122
	s_delay_alu instid0(VALU_DEP_3) | instskip(NEXT) | instid1(VALU_DEP_2)
	v_pk_add_f32 v[52:53], v[52:53], v[138:139] neg_lo:[0,1] neg_hi:[0,1]
	v_pk_fma_f32 v[132:133], v[132:133], v[106:107], v[134:135] op_sel_hi:[1,1,0]
	s_delay_alu instid0(VALU_DEP_1) | instskip(SKIP_4) | instid1(VALU_DEP_1)
	v_mov_b32_e32 v137, v133
	ds_load_2addr_b64 v[132:135], v126 offset0:27 offset1:28
	v_pk_add_f32 v[54:55], v[54:55], v[136:137] neg_lo:[0,1] neg_hi:[0,1]
	s_wait_dscnt 0x0
	v_pk_mul_f32 v[136:137], v[132:133], v[124:125] op_sel:[0,1]
	v_pk_fma_f32 v[138:139], v[132:133], v[122:123], v[136:137] op_sel:[0,0,1] op_sel_hi:[1,1,0] neg_lo:[0,0,1] neg_hi:[0,0,1]
	v_pk_fma_f32 v[132:133], v[132:133], v[122:123], v[136:137] op_sel:[0,0,1] op_sel_hi:[1,0,0]
	s_delay_alu instid0(VALU_DEP_1) | instskip(SKIP_1) | instid1(VALU_DEP_1)
	v_mov_b32_e32 v139, v133
	v_pk_mul_f32 v[132:133], v[134:135], v[124:125] op_sel:[0,1]
	v_pk_fma_f32 v[136:137], v[134:135], v[122:123], v[132:133] op_sel:[0,0,1] op_sel_hi:[1,1,0] neg_lo:[0,0,1] neg_hi:[0,0,1]
	v_pk_fma_f32 v[132:133], v[134:135], v[122:123], v[132:133] op_sel:[0,0,1] op_sel_hi:[1,0,0]
	s_delay_alu instid0(VALU_DEP_1)
	v_mov_b32_e32 v137, v133
	ds_load_2addr_b64 v[132:135], v126 offset0:29 offset1:30
	v_pk_add_f32 v[50:51], v[50:51], v[138:139] neg_lo:[0,1] neg_hi:[0,1]
	v_pk_add_f32 v[96:97], v[96:97], v[136:137] neg_lo:[0,1] neg_hi:[0,1]
	s_wait_dscnt 0x0
	v_pk_mul_f32 v[136:137], v[132:133], v[124:125] op_sel:[0,1]
	s_delay_alu instid0(VALU_DEP_1) | instskip(SKIP_1) | instid1(VALU_DEP_1)
	v_pk_fma_f32 v[138:139], v[132:133], v[122:123], v[136:137] op_sel:[0,0,1] op_sel_hi:[1,1,0] neg_lo:[0,0,1] neg_hi:[0,0,1]
	v_pk_fma_f32 v[132:133], v[132:133], v[122:123], v[136:137] op_sel:[0,0,1] op_sel_hi:[1,0,0]
	v_mov_b32_e32 v139, v133
	v_pk_mul_f32 v[132:133], v[134:135], v[124:125] op_sel:[0,1]
	s_delay_alu instid0(VALU_DEP_1) | instskip(SKIP_1) | instid1(VALU_DEP_1)
	v_pk_fma_f32 v[136:137], v[134:135], v[122:123], v[132:133] op_sel:[0,0,1] op_sel_hi:[1,1,0] neg_lo:[0,0,1] neg_hi:[0,0,1]
	v_pk_fma_f32 v[132:133], v[134:135], v[122:123], v[132:133] op_sel:[0,0,1] op_sel_hi:[1,0,0]
	v_mov_b32_e32 v137, v133
	ds_load_2addr_b64 v[132:135], v126 offset0:31 offset1:32
	v_pk_add_f32 v[46:47], v[46:47], v[138:139] neg_lo:[0,1] neg_hi:[0,1]
	v_pk_add_f32 v[48:49], v[48:49], v[136:137] neg_lo:[0,1] neg_hi:[0,1]
	s_wait_dscnt 0x0
	v_dual_mul_f32 v136, v133, v125 :: v_dual_mul_f32 v138, v133, v122
	s_delay_alu instid0(VALU_DEP_1) | instskip(NEXT) | instid1(VALU_DEP_2)
	v_pk_fma_f32 v[136:137], v[132:133], v[106:107], v[136:137] op_sel_hi:[1,1,0] neg_lo:[0,0,1] neg_hi:[0,0,1]
	v_pk_fma_f32 v[132:133], v[132:133], v[106:107], v[138:139] op_sel:[1,0,0] op_sel_hi:[0,1,0]
	s_delay_alu instid0(VALU_DEP_1) | instskip(SKIP_1) | instid1(VALU_DEP_2)
	v_mov_b32_e32 v137, v133
	v_pk_mul_f32 v[132:133], v[134:135], v[124:125] op_sel:[0,1]
	v_pk_add_f32 v[44:45], v[44:45], v[136:137] neg_lo:[0,1] neg_hi:[0,1]
	s_delay_alu instid0(VALU_DEP_2) | instskip(SKIP_1) | instid1(VALU_DEP_1)
	v_pk_fma_f32 v[136:137], v[134:135], v[122:123], v[132:133] op_sel:[0,0,1] op_sel_hi:[1,1,0] neg_lo:[0,0,1] neg_hi:[0,0,1]
	v_pk_fma_f32 v[132:133], v[134:135], v[122:123], v[132:133] op_sel:[0,0,1] op_sel_hi:[1,0,0]
	v_mov_b32_e32 v137, v133
	ds_load_2addr_b64 v[132:135], v126 offset0:33 offset1:34
	v_pk_add_f32 v[94:95], v[94:95], v[136:137] neg_lo:[0,1] neg_hi:[0,1]
	s_wait_dscnt 0x0
	v_pk_mul_f32 v[136:137], v[132:133], v[124:125] op_sel:[0,1]
	s_delay_alu instid0(VALU_DEP_1) | instskip(SKIP_1) | instid1(VALU_DEP_1)
	v_pk_fma_f32 v[138:139], v[132:133], v[122:123], v[136:137] op_sel:[0,0,1] op_sel_hi:[1,1,0] neg_lo:[0,0,1] neg_hi:[0,0,1]
	v_pk_fma_f32 v[132:133], v[132:133], v[122:123], v[136:137] op_sel:[0,0,1] op_sel_hi:[1,0,0]
	v_mov_b32_e32 v139, v133
	v_pk_mul_f32 v[132:133], v[134:135], v[124:125] op_sel:[0,1]
	s_delay_alu instid0(VALU_DEP_2) | instskip(NEXT) | instid1(VALU_DEP_2)
	v_pk_add_f32 v[38:39], v[38:39], v[138:139] neg_lo:[0,1] neg_hi:[0,1]
	v_pk_fma_f32 v[136:137], v[134:135], v[122:123], v[132:133] op_sel:[0,0,1] op_sel_hi:[1,1,0] neg_lo:[0,0,1] neg_hi:[0,0,1]
	v_pk_fma_f32 v[132:133], v[134:135], v[122:123], v[132:133] op_sel:[0,0,1] op_sel_hi:[1,0,0]
	s_delay_alu instid0(VALU_DEP_1) | instskip(SKIP_4) | instid1(VALU_DEP_1)
	v_mov_b32_e32 v137, v133
	ds_load_2addr_b64 v[132:135], v126 offset0:35 offset1:36
	v_pk_add_f32 v[40:41], v[40:41], v[136:137] neg_lo:[0,1] neg_hi:[0,1]
	s_wait_dscnt 0x0
	v_pk_mul_f32 v[136:137], v[132:133], v[124:125] op_sel:[0,1]
	v_pk_fma_f32 v[138:139], v[132:133], v[122:123], v[136:137] op_sel:[0,0,1] op_sel_hi:[1,1,0] neg_lo:[0,0,1] neg_hi:[0,0,1]
	v_pk_fma_f32 v[132:133], v[132:133], v[122:123], v[136:137] op_sel:[0,0,1] op_sel_hi:[1,0,0]
	v_dual_mul_f32 v136, v135, v125 :: v_dual_mov_b32 v132, v135
	s_delay_alu instid0(VALU_DEP_2) | instskip(NEXT) | instid1(VALU_DEP_2)
	v_dual_mov_b32 v139, v133 :: v_dual_mov_b32 v133, v134
	v_pk_fma_f32 v[136:137], v[134:135], v[106:107], v[136:137] op_sel_hi:[1,1,0] neg_lo:[0,0,1] neg_hi:[0,0,1]
	v_mul_f32_e32 v134, v135, v122
	s_delay_alu instid0(VALU_DEP_3) | instskip(NEXT) | instid1(VALU_DEP_2)
	v_pk_add_f32 v[36:37], v[36:37], v[138:139] neg_lo:[0,1] neg_hi:[0,1]
	v_pk_fma_f32 v[132:133], v[132:133], v[106:107], v[134:135] op_sel_hi:[1,1,0]
	s_delay_alu instid0(VALU_DEP_1) | instskip(SKIP_4) | instid1(VALU_DEP_1)
	v_mov_b32_e32 v137, v133
	ds_load_2addr_b64 v[132:135], v126 offset0:37 offset1:38
	v_pk_add_f32 v[92:93], v[92:93], v[136:137] neg_lo:[0,1] neg_hi:[0,1]
	s_wait_dscnt 0x0
	v_pk_mul_f32 v[136:137], v[132:133], v[124:125] op_sel:[0,1]
	v_pk_fma_f32 v[138:139], v[132:133], v[122:123], v[136:137] op_sel:[0,0,1] op_sel_hi:[1,1,0] neg_lo:[0,0,1] neg_hi:[0,0,1]
	v_pk_fma_f32 v[132:133], v[132:133], v[122:123], v[136:137] op_sel:[0,0,1] op_sel_hi:[1,0,0]
	s_delay_alu instid0(VALU_DEP_1) | instskip(SKIP_1) | instid1(VALU_DEP_1)
	v_mov_b32_e32 v139, v133
	v_pk_mul_f32 v[132:133], v[134:135], v[124:125] op_sel:[0,1]
	v_pk_fma_f32 v[136:137], v[134:135], v[122:123], v[132:133] op_sel:[0,0,1] op_sel_hi:[1,1,0] neg_lo:[0,0,1] neg_hi:[0,0,1]
	v_pk_fma_f32 v[132:133], v[134:135], v[122:123], v[132:133] op_sel:[0,0,1] op_sel_hi:[1,0,0]
	s_delay_alu instid0(VALU_DEP_1)
	v_mov_b32_e32 v137, v133
	ds_load_2addr_b64 v[132:135], v126 offset0:39 offset1:40
	v_pk_add_f32 v[32:33], v[32:33], v[138:139] neg_lo:[0,1] neg_hi:[0,1]
	v_pk_add_f32 v[34:35], v[34:35], v[136:137] neg_lo:[0,1] neg_hi:[0,1]
	s_wait_dscnt 0x0
	v_pk_mul_f32 v[136:137], v[132:133], v[124:125] op_sel:[0,1]
	s_delay_alu instid0(VALU_DEP_1) | instskip(SKIP_1) | instid1(VALU_DEP_1)
	v_pk_fma_f32 v[138:139], v[132:133], v[122:123], v[136:137] op_sel:[0,0,1] op_sel_hi:[1,1,0] neg_lo:[0,0,1] neg_hi:[0,0,1]
	v_pk_fma_f32 v[132:133], v[132:133], v[122:123], v[136:137] op_sel:[0,0,1] op_sel_hi:[1,0,0]
	v_mov_b32_e32 v139, v133
	v_pk_mul_f32 v[132:133], v[134:135], v[124:125] op_sel:[0,1]
	s_delay_alu instid0(VALU_DEP_1) | instskip(SKIP_1) | instid1(VALU_DEP_1)
	v_pk_fma_f32 v[136:137], v[134:135], v[122:123], v[132:133] op_sel:[0,0,1] op_sel_hi:[1,1,0] neg_lo:[0,0,1] neg_hi:[0,0,1]
	v_pk_fma_f32 v[132:133], v[134:135], v[122:123], v[132:133] op_sel:[0,0,1] op_sel_hi:[1,0,0]
	v_mov_b32_e32 v137, v133
	ds_load_2addr_b64 v[132:135], v126 offset0:41 offset1:42
	v_pk_add_f32 v[30:31], v[30:31], v[138:139] neg_lo:[0,1] neg_hi:[0,1]
	v_pk_add_f32 v[90:91], v[90:91], v[136:137] neg_lo:[0,1] neg_hi:[0,1]
	s_wait_dscnt 0x0
	v_dual_mul_f32 v136, v133, v125 :: v_dual_mul_f32 v138, v133, v122
	s_delay_alu instid0(VALU_DEP_1) | instskip(NEXT) | instid1(VALU_DEP_2)
	v_pk_fma_f32 v[136:137], v[132:133], v[106:107], v[136:137] op_sel_hi:[1,1,0] neg_lo:[0,0,1] neg_hi:[0,0,1]
	v_pk_fma_f32 v[132:133], v[132:133], v[106:107], v[138:139] op_sel:[1,0,0] op_sel_hi:[0,1,0]
	s_delay_alu instid0(VALU_DEP_1) | instskip(SKIP_1) | instid1(VALU_DEP_2)
	v_mov_b32_e32 v137, v133
	v_pk_mul_f32 v[132:133], v[134:135], v[124:125] op_sel:[0,1]
	v_pk_add_f32 v[24:25], v[24:25], v[136:137] neg_lo:[0,1] neg_hi:[0,1]
	s_delay_alu instid0(VALU_DEP_2) | instskip(SKIP_1) | instid1(VALU_DEP_1)
	v_pk_fma_f32 v[136:137], v[134:135], v[122:123], v[132:133] op_sel:[0,0,1] op_sel_hi:[1,1,0] neg_lo:[0,0,1] neg_hi:[0,0,1]
	v_pk_fma_f32 v[132:133], v[134:135], v[122:123], v[132:133] op_sel:[0,0,1] op_sel_hi:[1,0,0]
	v_mov_b32_e32 v137, v133
	ds_load_2addr_b64 v[132:135], v126 offset0:43 offset1:44
	v_pk_add_f32 v[26:27], v[26:27], v[136:137] neg_lo:[0,1] neg_hi:[0,1]
	s_wait_dscnt 0x0
	v_pk_mul_f32 v[136:137], v[132:133], v[124:125] op_sel:[0,1]
	s_delay_alu instid0(VALU_DEP_1) | instskip(SKIP_1) | instid1(VALU_DEP_1)
	v_pk_fma_f32 v[138:139], v[132:133], v[122:123], v[136:137] op_sel:[0,0,1] op_sel_hi:[1,1,0] neg_lo:[0,0,1] neg_hi:[0,0,1]
	v_pk_fma_f32 v[132:133], v[132:133], v[122:123], v[136:137] op_sel:[0,0,1] op_sel_hi:[1,0,0]
	v_mov_b32_e32 v139, v133
	v_pk_mul_f32 v[132:133], v[134:135], v[124:125] op_sel:[0,1]
	s_delay_alu instid0(VALU_DEP_2) | instskip(NEXT) | instid1(VALU_DEP_2)
	v_pk_add_f32 v[22:23], v[22:23], v[138:139] neg_lo:[0,1] neg_hi:[0,1]
	v_pk_fma_f32 v[136:137], v[134:135], v[122:123], v[132:133] op_sel:[0,0,1] op_sel_hi:[1,1,0] neg_lo:[0,0,1] neg_hi:[0,0,1]
	v_pk_fma_f32 v[132:133], v[134:135], v[122:123], v[132:133] op_sel:[0,0,1] op_sel_hi:[1,0,0]
	s_delay_alu instid0(VALU_DEP_1) | instskip(SKIP_4) | instid1(VALU_DEP_1)
	v_mov_b32_e32 v137, v133
	ds_load_2addr_b64 v[132:135], v126 offset0:45 offset1:46
	v_pk_add_f32 v[88:89], v[88:89], v[136:137] neg_lo:[0,1] neg_hi:[0,1]
	s_wait_dscnt 0x0
	v_pk_mul_f32 v[136:137], v[132:133], v[124:125] op_sel:[0,1]
	v_pk_fma_f32 v[138:139], v[132:133], v[122:123], v[136:137] op_sel:[0,0,1] op_sel_hi:[1,1,0] neg_lo:[0,0,1] neg_hi:[0,0,1]
	v_pk_fma_f32 v[132:133], v[132:133], v[122:123], v[136:137] op_sel:[0,0,1] op_sel_hi:[1,0,0]
	v_dual_mul_f32 v136, v135, v125 :: v_dual_mov_b32 v132, v135
	s_delay_alu instid0(VALU_DEP_2) | instskip(NEXT) | instid1(VALU_DEP_2)
	v_dual_mov_b32 v139, v133 :: v_dual_mov_b32 v133, v134
	v_pk_fma_f32 v[136:137], v[134:135], v[106:107], v[136:137] op_sel_hi:[1,1,0] neg_lo:[0,0,1] neg_hi:[0,0,1]
	v_mul_f32_e32 v134, v135, v122
	s_delay_alu instid0(VALU_DEP_3) | instskip(NEXT) | instid1(VALU_DEP_2)
	v_pk_add_f32 v[18:19], v[18:19], v[138:139] neg_lo:[0,1] neg_hi:[0,1]
	v_pk_fma_f32 v[132:133], v[132:133], v[106:107], v[134:135] op_sel_hi:[1,1,0]
	s_delay_alu instid0(VALU_DEP_1) | instskip(SKIP_4) | instid1(VALU_DEP_1)
	v_mov_b32_e32 v137, v133
	ds_load_2addr_b64 v[132:135], v126 offset0:47 offset1:48
	v_pk_add_f32 v[20:21], v[20:21], v[136:137] neg_lo:[0,1] neg_hi:[0,1]
	s_wait_dscnt 0x0
	v_pk_mul_f32 v[136:137], v[132:133], v[124:125] op_sel:[0,1]
	v_pk_fma_f32 v[138:139], v[132:133], v[122:123], v[136:137] op_sel:[0,0,1] op_sel_hi:[1,1,0] neg_lo:[0,0,1] neg_hi:[0,0,1]
	v_pk_fma_f32 v[132:133], v[132:133], v[122:123], v[136:137] op_sel:[0,0,1] op_sel_hi:[1,0,0]
	s_delay_alu instid0(VALU_DEP_1) | instskip(SKIP_1) | instid1(VALU_DEP_1)
	v_mov_b32_e32 v139, v133
	v_pk_mul_f32 v[132:133], v[134:135], v[124:125] op_sel:[0,1]
	v_pk_fma_f32 v[136:137], v[134:135], v[122:123], v[132:133] op_sel:[0,0,1] op_sel_hi:[1,1,0] neg_lo:[0,0,1] neg_hi:[0,0,1]
	v_pk_fma_f32 v[132:133], v[134:135], v[122:123], v[132:133] op_sel:[0,0,1] op_sel_hi:[1,0,0]
	s_delay_alu instid0(VALU_DEP_1)
	v_mov_b32_e32 v137, v133
	ds_load_2addr_b64 v[132:135], v126 offset0:49 offset1:50
	v_pk_add_f32 v[16:17], v[16:17], v[138:139] neg_lo:[0,1] neg_hi:[0,1]
	v_pk_add_f32 v[84:85], v[84:85], v[136:137] neg_lo:[0,1] neg_hi:[0,1]
	s_wait_dscnt 0x0
	v_pk_mul_f32 v[136:137], v[132:133], v[124:125] op_sel:[0,1]
	s_delay_alu instid0(VALU_DEP_1) | instskip(SKIP_1) | instid1(VALU_DEP_1)
	v_pk_fma_f32 v[138:139], v[132:133], v[122:123], v[136:137] op_sel:[0,0,1] op_sel_hi:[1,1,0] neg_lo:[0,0,1] neg_hi:[0,0,1]
	v_pk_fma_f32 v[132:133], v[132:133], v[122:123], v[136:137] op_sel:[0,0,1] op_sel_hi:[1,0,0]
	v_mov_b32_e32 v139, v133
	v_pk_mul_f32 v[132:133], v[134:135], v[124:125] op_sel:[0,1]
	s_delay_alu instid0(VALU_DEP_1) | instskip(SKIP_1) | instid1(VALU_DEP_1)
	v_pk_fma_f32 v[136:137], v[134:135], v[122:123], v[132:133] op_sel:[0,0,1] op_sel_hi:[1,1,0] neg_lo:[0,0,1] neg_hi:[0,0,1]
	v_pk_fma_f32 v[132:133], v[134:135], v[122:123], v[132:133] op_sel:[0,0,1] op_sel_hi:[1,0,0]
	v_mov_b32_e32 v137, v133
	ds_load_2addr_b64 v[132:135], v126 offset0:51 offset1:52
	v_pk_add_f32 v[10:11], v[10:11], v[138:139] neg_lo:[0,1] neg_hi:[0,1]
	v_pk_add_f32 v[12:13], v[12:13], v[136:137] neg_lo:[0,1] neg_hi:[0,1]
	s_wait_dscnt 0x0
	v_dual_mul_f32 v136, v133, v125 :: v_dual_mul_f32 v138, v133, v122
	s_delay_alu instid0(VALU_DEP_1) | instskip(NEXT) | instid1(VALU_DEP_2)
	v_pk_fma_f32 v[136:137], v[132:133], v[106:107], v[136:137] op_sel_hi:[1,1,0] neg_lo:[0,0,1] neg_hi:[0,0,1]
	v_pk_fma_f32 v[132:133], v[132:133], v[106:107], v[138:139] op_sel:[1,0,0] op_sel_hi:[0,1,0]
	s_delay_alu instid0(VALU_DEP_1) | instskip(SKIP_1) | instid1(VALU_DEP_2)
	v_mov_b32_e32 v137, v133
	v_pk_mul_f32 v[132:133], v[134:135], v[124:125] op_sel:[0,1]
	v_pk_add_f32 v[8:9], v[8:9], v[136:137] neg_lo:[0,1] neg_hi:[0,1]
	s_delay_alu instid0(VALU_DEP_2) | instskip(SKIP_1) | instid1(VALU_DEP_1)
	v_pk_fma_f32 v[136:137], v[134:135], v[122:123], v[132:133] op_sel:[0,0,1] op_sel_hi:[1,1,0] neg_lo:[0,0,1] neg_hi:[0,0,1]
	v_pk_fma_f32 v[132:133], v[134:135], v[122:123], v[132:133] op_sel:[0,0,1] op_sel_hi:[1,0,0]
	v_mov_b32_e32 v137, v133
	ds_load_2addr_b64 v[132:135], v126 offset0:53 offset1:54
	v_pk_add_f32 v[60:61], v[60:61], v[136:137] neg_lo:[0,1] neg_hi:[0,1]
	s_wait_dscnt 0x0
	v_pk_mul_f32 v[136:137], v[132:133], v[124:125] op_sel:[0,1]
	s_delay_alu instid0(VALU_DEP_1) | instskip(SKIP_1) | instid1(VALU_DEP_1)
	v_pk_fma_f32 v[138:139], v[132:133], v[122:123], v[136:137] op_sel:[0,0,1] op_sel_hi:[1,1,0] neg_lo:[0,0,1] neg_hi:[0,0,1]
	v_pk_fma_f32 v[132:133], v[132:133], v[122:123], v[136:137] op_sel:[0,0,1] op_sel_hi:[1,0,0]
	v_mov_b32_e32 v139, v133
	v_pk_mul_f32 v[132:133], v[134:135], v[124:125] op_sel:[0,1]
	s_delay_alu instid0(VALU_DEP_2) | instskip(NEXT) | instid1(VALU_DEP_2)
	v_pk_add_f32 v[6:7], v[6:7], v[138:139] neg_lo:[0,1] neg_hi:[0,1]
	v_pk_fma_f32 v[136:137], v[134:135], v[122:123], v[132:133] op_sel:[0,0,1] op_sel_hi:[1,1,0] neg_lo:[0,0,1] neg_hi:[0,0,1]
	v_pk_fma_f32 v[132:133], v[134:135], v[122:123], v[132:133] op_sel:[0,0,1] op_sel_hi:[1,0,0]
	s_delay_alu instid0(VALU_DEP_1) | instskip(SKIP_4) | instid1(VALU_DEP_1)
	v_mov_b32_e32 v137, v133
	ds_load_2addr_b64 v[132:135], v126 offset0:55 offset1:56
	v_pk_add_f32 v[42:43], v[42:43], v[136:137] neg_lo:[0,1] neg_hi:[0,1]
	s_wait_dscnt 0x0
	v_pk_mul_f32 v[136:137], v[132:133], v[124:125] op_sel:[0,1]
	v_pk_fma_f32 v[138:139], v[132:133], v[122:123], v[136:137] op_sel:[0,0,1] op_sel_hi:[1,1,0] neg_lo:[0,0,1] neg_hi:[0,0,1]
	v_pk_fma_f32 v[132:133], v[132:133], v[122:123], v[136:137] op_sel:[0,0,1] op_sel_hi:[1,0,0]
	v_dual_mul_f32 v136, v135, v125 :: v_dual_mov_b32 v132, v135
	s_delay_alu instid0(VALU_DEP_2) | instskip(NEXT) | instid1(VALU_DEP_2)
	v_dual_mov_b32 v139, v133 :: v_dual_mov_b32 v133, v134
	v_pk_fma_f32 v[136:137], v[134:135], v[106:107], v[136:137] op_sel_hi:[1,1,0] neg_lo:[0,0,1] neg_hi:[0,0,1]
	v_mul_f32_e32 v134, v135, v122
	s_delay_alu instid0(VALU_DEP_3) | instskip(NEXT) | instid1(VALU_DEP_2)
	v_pk_add_f32 v[28:29], v[28:29], v[138:139] neg_lo:[0,1] neg_hi:[0,1]
	v_pk_fma_f32 v[132:133], v[132:133], v[106:107], v[134:135] op_sel_hi:[1,1,0]
	s_delay_alu instid0(VALU_DEP_1) | instskip(SKIP_4) | instid1(VALU_DEP_1)
	v_mov_b32_e32 v137, v133
	ds_load_b64 v[132:133], v126 offset:456
	v_pk_add_f32 v[14:15], v[14:15], v[136:137] neg_lo:[0,1] neg_hi:[0,1]
	s_wait_dscnt 0x0
	v_pk_mul_f32 v[124:125], v[132:133], v[124:125] op_sel:[0,1]
	v_pk_fma_f32 v[134:135], v[132:133], v[122:123], v[124:125] op_sel:[0,0,1] op_sel_hi:[1,1,0] neg_lo:[0,0,1] neg_hi:[0,0,1]
	v_pk_fma_f32 v[122:123], v[132:133], v[122:123], v[124:125] op_sel:[0,0,1] op_sel_hi:[1,0,0]
	s_delay_alu instid0(VALU_DEP_1) | instskip(NEXT) | instid1(VALU_DEP_1)
	v_mov_b32_e32 v135, v123
	v_pk_add_f32 v[120:121], v[120:121], v[134:135] neg_lo:[0,1] neg_hi:[0,1]
.LBB114_272:
	s_or_b32 exec_lo, exec_lo, s0
	v_lshl_add_u32 v122, v130, 3, v126
	s_barrier_signal -1
	s_barrier_wait -1
	ds_store_b64 v122, v[74:75]
	s_wait_dscnt 0x0
	s_barrier_signal -1
	s_barrier_wait -1
	ds_load_b64 v[124:125], v126 offset:104
	v_mov_b32_e32 v122, 13
	s_cmp_lt_i32 s18, 15
	s_cbranch_scc1 .LBB114_275
; %bb.273:
	v_add3_u32 v123, v127, 0, 0x70
	v_mov_b32_e32 v122, 13
	s_mov_b32 s0, 14
.LBB114_274:                            ; =>This Inner Loop Header: Depth=1
	ds_load_b64 v[132:133], v123
	s_wait_dscnt 0x1
	v_cmp_gt_f32_e32 vcc_lo, 0, v124
	v_cndmask_b32_e64 v134, v124, -v124, vcc_lo
	v_cmp_gt_f32_e32 vcc_lo, 0, v125
	v_cndmask_b32_e64 v136, v125, -v125, vcc_lo
	s_wait_dscnt 0x0
	v_cmp_gt_f32_e32 vcc_lo, 0, v132
	v_cndmask_b32_e64 v135, v132, -v132, vcc_lo
	v_cmp_gt_f32_e32 vcc_lo, 0, v133
	v_cndmask_b32_e64 v137, v133, -v133, vcc_lo
	s_delay_alu instid0(VALU_DEP_1) | instskip(NEXT) | instid1(VALU_DEP_1)
	v_pk_add_f32 v[134:135], v[134:135], v[136:137]
	v_cmp_lt_f32_e32 vcc_lo, v134, v135
	v_dual_add_nc_u32 v123, 8, v123 :: v_dual_cndmask_b32 v125, v125, v133, vcc_lo
	v_cndmask_b32_e32 v124, v124, v132, vcc_lo
	v_cndmask_b32_e64 v122, v122, s0, vcc_lo
	s_add_co_i32 s0, s0, 1
	s_delay_alu instid0(SALU_CYCLE_1)
	s_cmp_lg_u32 s18, s0
	s_cbranch_scc1 .LBB114_274
.LBB114_275:
	s_wait_dscnt 0x0
	v_cmp_eq_f32_e32 vcc_lo, 0, v124
	v_cmp_eq_f32_e64 s0, 0, v125
	s_and_b32 s0, vcc_lo, s0
	s_delay_alu instid0(SALU_CYCLE_1) | instskip(NEXT) | instid1(SALU_CYCLE_1)
	s_and_saveexec_b32 s1, s0
	s_xor_b32 s0, exec_lo, s1
; %bb.276:
	v_cmp_ne_u32_e32 vcc_lo, 0, v128
	v_cndmask_b32_e32 v128, 14, v128, vcc_lo
; %bb.277:
	s_and_not1_saveexec_b32 s0, s0
	s_cbranch_execz .LBB114_283
; %bb.278:
	v_cmp_ngt_f32_e64 s1, |v124|, |v125|
	s_and_saveexec_b32 s12, s1
	s_delay_alu instid0(SALU_CYCLE_1)
	s_xor_b32 s1, exec_lo, s12
	s_cbranch_execz .LBB114_280
; %bb.279:
	v_div_scale_f32 v123, null, v125, v125, v124
	v_div_scale_f32 v133, vcc_lo, v124, v125, v124
	s_delay_alu instid0(VALU_DEP_2) | instskip(SKIP_1) | instid1(TRANS32_DEP_1)
	v_rcp_f32_e32 v131, v123
	v_nop
	v_fma_f32 v132, -v123, v131, 1.0
	s_delay_alu instid0(VALU_DEP_1) | instskip(NEXT) | instid1(VALU_DEP_1)
	v_fmac_f32_e32 v131, v132, v131
	v_mul_f32_e32 v132, v133, v131
	s_delay_alu instid0(VALU_DEP_1) | instskip(NEXT) | instid1(VALU_DEP_1)
	v_fma_f32 v134, -v123, v132, v133
	v_fmac_f32_e32 v132, v134, v131
	s_delay_alu instid0(VALU_DEP_1) | instskip(NEXT) | instid1(VALU_DEP_1)
	v_fma_f32 v123, -v123, v132, v133
	v_div_fmas_f32 v123, v123, v131, v132
	s_delay_alu instid0(VALU_DEP_1) | instskip(NEXT) | instid1(VALU_DEP_1)
	v_div_fixup_f32 v123, v123, v125, v124
	v_fmac_f32_e32 v125, v124, v123
	s_delay_alu instid0(VALU_DEP_1) | instskip(SKIP_1) | instid1(VALU_DEP_2)
	v_div_scale_f32 v124, null, v125, v125, 1.0
	v_div_scale_f32 v133, vcc_lo, 1.0, v125, 1.0
	v_rcp_f32_e32 v131, v124
	v_nop
	s_delay_alu instid0(TRANS32_DEP_1) | instskip(NEXT) | instid1(VALU_DEP_1)
	v_fma_f32 v132, -v124, v131, 1.0
	v_fmac_f32_e32 v131, v132, v131
	s_delay_alu instid0(VALU_DEP_1) | instskip(NEXT) | instid1(VALU_DEP_1)
	v_mul_f32_e32 v132, v133, v131
	v_fma_f32 v134, -v124, v132, v133
	s_delay_alu instid0(VALU_DEP_1) | instskip(NEXT) | instid1(VALU_DEP_1)
	v_fmac_f32_e32 v132, v134, v131
	v_fma_f32 v124, -v124, v132, v133
	s_delay_alu instid0(VALU_DEP_1) | instskip(NEXT) | instid1(VALU_DEP_1)
	v_div_fmas_f32 v124, v124, v131, v132
	v_div_fixup_f32 v125, v124, v125, 1.0
	s_delay_alu instid0(VALU_DEP_1)
	v_mul_f32_e32 v124, v123, v125
	v_xor_b32_e32 v125, 0x80000000, v125
.LBB114_280:
	s_and_not1_saveexec_b32 s1, s1
	s_cbranch_execz .LBB114_282
; %bb.281:
	s_delay_alu instid0(VALU_DEP_1) | instskip(SKIP_1) | instid1(VALU_DEP_2)
	v_div_scale_f32 v123, null, v124, v124, v125
	v_div_scale_f32 v133, vcc_lo, v125, v124, v125
	v_rcp_f32_e32 v131, v123
	v_nop
	s_delay_alu instid0(TRANS32_DEP_1) | instskip(NEXT) | instid1(VALU_DEP_1)
	v_fma_f32 v132, -v123, v131, 1.0
	v_fmac_f32_e32 v131, v132, v131
	s_delay_alu instid0(VALU_DEP_1) | instskip(NEXT) | instid1(VALU_DEP_1)
	v_mul_f32_e32 v132, v133, v131
	v_fma_f32 v134, -v123, v132, v133
	s_delay_alu instid0(VALU_DEP_1) | instskip(NEXT) | instid1(VALU_DEP_1)
	v_fmac_f32_e32 v132, v134, v131
	v_fma_f32 v123, -v123, v132, v133
	s_delay_alu instid0(VALU_DEP_1) | instskip(NEXT) | instid1(VALU_DEP_1)
	v_div_fmas_f32 v123, v123, v131, v132
	v_div_fixup_f32 v123, v123, v124, v125
	s_delay_alu instid0(VALU_DEP_1) | instskip(NEXT) | instid1(VALU_DEP_1)
	v_fmac_f32_e32 v124, v125, v123
	v_div_scale_f32 v125, null, v124, v124, 1.0
	s_delay_alu instid0(VALU_DEP_1) | instskip(SKIP_1) | instid1(TRANS32_DEP_1)
	v_rcp_f32_e32 v131, v125
	v_nop
	v_fma_f32 v132, -v125, v131, 1.0
	s_delay_alu instid0(VALU_DEP_1) | instskip(SKIP_1) | instid1(VALU_DEP_1)
	v_fmac_f32_e32 v131, v132, v131
	v_div_scale_f32 v132, vcc_lo, 1.0, v124, 1.0
	v_mul_f32_e32 v133, v132, v131
	s_delay_alu instid0(VALU_DEP_1) | instskip(NEXT) | instid1(VALU_DEP_1)
	v_fma_f32 v134, -v125, v133, v132
	v_fmac_f32_e32 v133, v134, v131
	s_delay_alu instid0(VALU_DEP_1) | instskip(NEXT) | instid1(VALU_DEP_1)
	v_fma_f32 v125, -v125, v133, v132
	v_div_fmas_f32 v125, v125, v131, v133
	s_delay_alu instid0(VALU_DEP_1) | instskip(NEXT) | instid1(VALU_DEP_1)
	v_div_fixup_f32 v124, v125, v124, 1.0
	v_mul_f32_e64 v125, v123, -v124
.LBB114_282:
	s_or_b32 exec_lo, exec_lo, s1
.LBB114_283:
	s_delay_alu instid0(SALU_CYCLE_1) | instskip(NEXT) | instid1(SALU_CYCLE_1)
	s_or_b32 exec_lo, exec_lo, s0
	s_mov_b32 s0, exec_lo
	v_cmpx_ne_u32_e64 v130, v122
	s_xor_b32 s0, exec_lo, s0
	s_cbranch_execz .LBB114_289
; %bb.284:
	s_mov_b32 s1, exec_lo
	v_cmpx_eq_u32_e32 13, v130
	s_cbranch_execz .LBB114_288
; %bb.285:
	v_cmp_ne_u32_e32 vcc_lo, 13, v122
	s_xor_b32 s12, s16, -1
	s_delay_alu instid0(SALU_CYCLE_1) | instskip(NEXT) | instid1(SALU_CYCLE_1)
	s_and_b32 s13, s12, vcc_lo
	s_and_saveexec_b32 s12, s13
	s_cbranch_execz .LBB114_287
; %bb.286:
	v_ashrrev_i32_e32 v123, 31, v122
	s_delay_alu instid0(VALU_DEP_1)
	v_lshl_add_u64 v[130:131], v[122:123], 2, v[4:5]
	s_clause 0x1
	global_load_b32 v123, v[130:131], off
	global_load_b32 v129, v[4:5], off offset:52
	s_wait_loadcnt 0x1
	global_store_b32 v[4:5], v123, off offset:52
	s_wait_loadcnt 0x0
	global_store_b32 v[130:131], v129, off
.LBB114_287:
	s_wait_xcnt 0x0
	s_or_b32 exec_lo, exec_lo, s12
	v_dual_mov_b32 v130, v122 :: v_dual_mov_b32 v129, v122
.LBB114_288:
	s_or_b32 exec_lo, exec_lo, s1
.LBB114_289:
	s_and_not1_saveexec_b32 s0, s0
	s_cbranch_execz .LBB114_291
; %bb.290:
	v_dual_mov_b32 v122, v76 :: v_dual_mov_b32 v123, v77
	v_dual_mov_b32 v130, v72 :: v_dual_mov_b32 v131, v73
	ds_store_2addr_b64 v126, v[122:123], v[130:131] offset0:14 offset1:15
	v_dual_mov_b32 v122, v104 :: v_dual_mov_b32 v123, v105
	v_dual_mov_b32 v130, v66 :: v_dual_mov_b32 v131, v67
	ds_store_2addr_b64 v126, v[122:123], v[130:131] offset0:16 offset1:17
	;; [unrolled: 3-line block ×21, first 2 shown]
	v_dual_mov_b32 v122, v14 :: v_dual_mov_b32 v123, v15
	v_mov_b32_e32 v130, 13
	ds_store_2addr_b64 v126, v[122:123], v[120:121] offset0:56 offset1:57
.LBB114_291:
	s_or_b32 exec_lo, exec_lo, s0
	s_delay_alu instid0(SALU_CYCLE_1)
	s_mov_b32 s0, exec_lo
	s_wait_storecnt_dscnt 0x0
	s_barrier_signal -1
	s_barrier_wait -1
	v_cmpx_lt_i32_e32 13, v130
	s_cbranch_execz .LBB114_293
; %bb.292:
	v_pk_mul_f32 v[132:133], v[124:125], v[74:75] op_sel:[1,1] op_sel_hi:[0,1]
	s_delay_alu instid0(VALU_DEP_1)
	v_pk_fma_f32 v[122:123], v[124:125], v[74:75], v[132:133] op_sel_hi:[1,0,1] neg_lo:[0,0,1] neg_hi:[0,0,1]
	v_pk_fma_f32 v[124:125], v[124:125], v[74:75], v[132:133] op_sel_hi:[1,0,1]
	ds_load_2addr_b64 v[132:135], v126 offset0:14 offset1:15
	v_dual_mov_b32 v74, v122 :: v_dual_mov_b32 v75, v125
	s_wait_dscnt 0x0
	v_pk_mul_f32 v[136:137], v[132:133], v[124:125] op_sel:[0,1]
	s_delay_alu instid0(VALU_DEP_1) | instskip(SKIP_1) | instid1(VALU_DEP_1)
	v_pk_fma_f32 v[138:139], v[132:133], v[122:123], v[136:137] op_sel:[0,0,1] op_sel_hi:[1,1,0] neg_lo:[0,0,1] neg_hi:[0,0,1]
	v_pk_fma_f32 v[132:133], v[132:133], v[122:123], v[136:137] op_sel:[0,0,1] op_sel_hi:[1,0,0]
	v_mov_b32_e32 v139, v133
	v_pk_mul_f32 v[132:133], v[134:135], v[124:125] op_sel:[0,1]
	s_delay_alu instid0(VALU_DEP_1) | instskip(SKIP_1) | instid1(VALU_DEP_1)
	v_pk_fma_f32 v[136:137], v[134:135], v[122:123], v[132:133] op_sel:[0,0,1] op_sel_hi:[1,1,0] neg_lo:[0,0,1] neg_hi:[0,0,1]
	v_pk_fma_f32 v[132:133], v[134:135], v[122:123], v[132:133] op_sel:[0,0,1] op_sel_hi:[1,0,0]
	v_mov_b32_e32 v137, v133
	ds_load_2addr_b64 v[132:135], v126 offset0:16 offset1:17
	v_pk_add_f32 v[76:77], v[76:77], v[138:139] neg_lo:[0,1] neg_hi:[0,1]
	v_pk_add_f32 v[72:73], v[72:73], v[136:137] neg_lo:[0,1] neg_hi:[0,1]
	s_wait_dscnt 0x0
	v_pk_mul_f32 v[136:137], v[132:133], v[124:125] op_sel:[0,1]
	s_delay_alu instid0(VALU_DEP_1) | instskip(SKIP_2) | instid1(VALU_DEP_2)
	v_pk_fma_f32 v[138:139], v[132:133], v[122:123], v[136:137] op_sel:[0,0,1] op_sel_hi:[1,1,0] neg_lo:[0,0,1] neg_hi:[0,0,1]
	v_pk_fma_f32 v[132:133], v[132:133], v[122:123], v[136:137] op_sel:[0,0,1] op_sel_hi:[1,0,0]
	v_dual_mul_f32 v136, v135, v125 :: v_dual_mov_b32 v132, v135
	v_dual_mov_b32 v139, v133 :: v_dual_mov_b32 v133, v134
	s_delay_alu instid0(VALU_DEP_2) | instskip(SKIP_1) | instid1(VALU_DEP_3)
	v_pk_fma_f32 v[136:137], v[134:135], v[74:75], v[136:137] op_sel_hi:[1,1,0] neg_lo:[0,0,1] neg_hi:[0,0,1]
	v_mul_f32_e32 v134, v135, v122
	v_pk_add_f32 v[104:105], v[104:105], v[138:139] neg_lo:[0,1] neg_hi:[0,1]
	s_delay_alu instid0(VALU_DEP_2) | instskip(NEXT) | instid1(VALU_DEP_1)
	v_pk_fma_f32 v[132:133], v[132:133], v[74:75], v[134:135] op_sel_hi:[1,1,0]
	v_mov_b32_e32 v137, v133
	ds_load_2addr_b64 v[132:135], v126 offset0:18 offset1:19
	v_pk_add_f32 v[66:67], v[66:67], v[136:137] neg_lo:[0,1] neg_hi:[0,1]
	s_wait_dscnt 0x0
	v_pk_mul_f32 v[136:137], v[132:133], v[124:125] op_sel:[0,1]
	s_delay_alu instid0(VALU_DEP_1) | instskip(SKIP_1) | instid1(VALU_DEP_1)
	v_pk_fma_f32 v[138:139], v[132:133], v[122:123], v[136:137] op_sel:[0,0,1] op_sel_hi:[1,1,0] neg_lo:[0,0,1] neg_hi:[0,0,1]
	v_pk_fma_f32 v[132:133], v[132:133], v[122:123], v[136:137] op_sel:[0,0,1] op_sel_hi:[1,0,0]
	v_mov_b32_e32 v139, v133
	v_pk_mul_f32 v[132:133], v[134:135], v[124:125] op_sel:[0,1]
	s_delay_alu instid0(VALU_DEP_1) | instskip(SKIP_1) | instid1(VALU_DEP_1)
	v_pk_fma_f32 v[136:137], v[134:135], v[122:123], v[132:133] op_sel:[0,0,1] op_sel_hi:[1,1,0] neg_lo:[0,0,1] neg_hi:[0,0,1]
	v_pk_fma_f32 v[132:133], v[134:135], v[122:123], v[132:133] op_sel:[0,0,1] op_sel_hi:[1,0,0]
	v_mov_b32_e32 v137, v133
	ds_load_2addr_b64 v[132:135], v126 offset0:20 offset1:21
	v_pk_add_f32 v[68:69], v[68:69], v[138:139] neg_lo:[0,1] neg_hi:[0,1]
	v_pk_add_f32 v[64:65], v[64:65], v[136:137] neg_lo:[0,1] neg_hi:[0,1]
	s_wait_dscnt 0x0
	v_pk_mul_f32 v[136:137], v[132:133], v[124:125] op_sel:[0,1]
	s_delay_alu instid0(VALU_DEP_1) | instskip(SKIP_1) | instid1(VALU_DEP_1)
	v_pk_fma_f32 v[138:139], v[132:133], v[122:123], v[136:137] op_sel:[0,0,1] op_sel_hi:[1,1,0] neg_lo:[0,0,1] neg_hi:[0,0,1]
	v_pk_fma_f32 v[132:133], v[132:133], v[122:123], v[136:137] op_sel:[0,0,1] op_sel_hi:[1,0,0]
	v_mov_b32_e32 v139, v133
	v_pk_mul_f32 v[132:133], v[134:135], v[124:125] op_sel:[0,1]
	s_delay_alu instid0(VALU_DEP_1) | instskip(SKIP_1) | instid1(VALU_DEP_1)
	v_pk_fma_f32 v[136:137], v[134:135], v[122:123], v[132:133] op_sel:[0,0,1] op_sel_hi:[1,1,0] neg_lo:[0,0,1] neg_hi:[0,0,1]
	v_pk_fma_f32 v[132:133], v[134:135], v[122:123], v[132:133] op_sel:[0,0,1] op_sel_hi:[1,0,0]
	v_mov_b32_e32 v137, v133
	ds_load_2addr_b64 v[132:135], v126 offset0:22 offset1:23
	v_pk_add_f32 v[102:103], v[102:103], v[138:139] neg_lo:[0,1] neg_hi:[0,1]
	v_pk_add_f32 v[58:59], v[58:59], v[136:137] neg_lo:[0,1] neg_hi:[0,1]
	s_wait_dscnt 0x0
	v_dual_mul_f32 v136, v133, v125 :: v_dual_mul_f32 v138, v133, v122
	s_delay_alu instid0(VALU_DEP_1) | instskip(NEXT) | instid1(VALU_DEP_2)
	v_pk_fma_f32 v[136:137], v[132:133], v[74:75], v[136:137] op_sel_hi:[1,1,0] neg_lo:[0,0,1] neg_hi:[0,0,1]
	v_pk_fma_f32 v[132:133], v[132:133], v[74:75], v[138:139] op_sel:[1,0,0] op_sel_hi:[0,1,0]
	s_delay_alu instid0(VALU_DEP_1) | instskip(SKIP_1) | instid1(VALU_DEP_2)
	v_mov_b32_e32 v137, v133
	v_pk_mul_f32 v[132:133], v[134:135], v[124:125] op_sel:[0,1]
	v_pk_add_f32 v[62:63], v[62:63], v[136:137] neg_lo:[0,1] neg_hi:[0,1]
	s_delay_alu instid0(VALU_DEP_2) | instskip(SKIP_1) | instid1(VALU_DEP_1)
	v_pk_fma_f32 v[136:137], v[134:135], v[122:123], v[132:133] op_sel:[0,0,1] op_sel_hi:[1,1,0] neg_lo:[0,0,1] neg_hi:[0,0,1]
	v_pk_fma_f32 v[132:133], v[134:135], v[122:123], v[132:133] op_sel:[0,0,1] op_sel_hi:[1,0,0]
	v_mov_b32_e32 v137, v133
	ds_load_2addr_b64 v[132:135], v126 offset0:24 offset1:25
	v_pk_add_f32 v[56:57], v[56:57], v[136:137] neg_lo:[0,1] neg_hi:[0,1]
	s_wait_dscnt 0x0
	v_pk_mul_f32 v[136:137], v[132:133], v[124:125] op_sel:[0,1]
	s_delay_alu instid0(VALU_DEP_1) | instskip(SKIP_1) | instid1(VALU_DEP_1)
	v_pk_fma_f32 v[138:139], v[132:133], v[122:123], v[136:137] op_sel:[0,0,1] op_sel_hi:[1,1,0] neg_lo:[0,0,1] neg_hi:[0,0,1]
	v_pk_fma_f32 v[132:133], v[132:133], v[122:123], v[136:137] op_sel:[0,0,1] op_sel_hi:[1,0,0]
	v_mov_b32_e32 v139, v133
	v_pk_mul_f32 v[132:133], v[134:135], v[124:125] op_sel:[0,1]
	s_delay_alu instid0(VALU_DEP_2) | instskip(NEXT) | instid1(VALU_DEP_2)
	v_pk_add_f32 v[100:101], v[100:101], v[138:139] neg_lo:[0,1] neg_hi:[0,1]
	v_pk_fma_f32 v[136:137], v[134:135], v[122:123], v[132:133] op_sel:[0,0,1] op_sel_hi:[1,1,0] neg_lo:[0,0,1] neg_hi:[0,0,1]
	v_pk_fma_f32 v[132:133], v[134:135], v[122:123], v[132:133] op_sel:[0,0,1] op_sel_hi:[1,0,0]
	s_delay_alu instid0(VALU_DEP_1) | instskip(SKIP_4) | instid1(VALU_DEP_1)
	v_mov_b32_e32 v137, v133
	ds_load_2addr_b64 v[132:135], v126 offset0:26 offset1:27
	v_pk_add_f32 v[52:53], v[52:53], v[136:137] neg_lo:[0,1] neg_hi:[0,1]
	s_wait_dscnt 0x0
	v_pk_mul_f32 v[136:137], v[132:133], v[124:125] op_sel:[0,1]
	v_pk_fma_f32 v[138:139], v[132:133], v[122:123], v[136:137] op_sel:[0,0,1] op_sel_hi:[1,1,0] neg_lo:[0,0,1] neg_hi:[0,0,1]
	v_pk_fma_f32 v[132:133], v[132:133], v[122:123], v[136:137] op_sel:[0,0,1] op_sel_hi:[1,0,0]
	v_dual_mul_f32 v136, v135, v125 :: v_dual_mov_b32 v132, v135
	s_delay_alu instid0(VALU_DEP_2) | instskip(NEXT) | instid1(VALU_DEP_2)
	v_dual_mov_b32 v139, v133 :: v_dual_mov_b32 v133, v134
	v_pk_fma_f32 v[136:137], v[134:135], v[74:75], v[136:137] op_sel_hi:[1,1,0] neg_lo:[0,0,1] neg_hi:[0,0,1]
	v_mul_f32_e32 v134, v135, v122
	s_delay_alu instid0(VALU_DEP_3) | instskip(NEXT) | instid1(VALU_DEP_2)
	v_pk_add_f32 v[54:55], v[54:55], v[138:139] neg_lo:[0,1] neg_hi:[0,1]
	v_pk_fma_f32 v[132:133], v[132:133], v[74:75], v[134:135] op_sel_hi:[1,1,0]
	s_delay_alu instid0(VALU_DEP_1) | instskip(SKIP_4) | instid1(VALU_DEP_1)
	v_mov_b32_e32 v137, v133
	ds_load_2addr_b64 v[132:135], v126 offset0:28 offset1:29
	v_pk_add_f32 v[50:51], v[50:51], v[136:137] neg_lo:[0,1] neg_hi:[0,1]
	s_wait_dscnt 0x0
	v_pk_mul_f32 v[136:137], v[132:133], v[124:125] op_sel:[0,1]
	v_pk_fma_f32 v[138:139], v[132:133], v[122:123], v[136:137] op_sel:[0,0,1] op_sel_hi:[1,1,0] neg_lo:[0,0,1] neg_hi:[0,0,1]
	v_pk_fma_f32 v[132:133], v[132:133], v[122:123], v[136:137] op_sel:[0,0,1] op_sel_hi:[1,0,0]
	s_delay_alu instid0(VALU_DEP_1) | instskip(SKIP_1) | instid1(VALU_DEP_1)
	v_mov_b32_e32 v139, v133
	v_pk_mul_f32 v[132:133], v[134:135], v[124:125] op_sel:[0,1]
	v_pk_fma_f32 v[136:137], v[134:135], v[122:123], v[132:133] op_sel:[0,0,1] op_sel_hi:[1,1,0] neg_lo:[0,0,1] neg_hi:[0,0,1]
	v_pk_fma_f32 v[132:133], v[134:135], v[122:123], v[132:133] op_sel:[0,0,1] op_sel_hi:[1,0,0]
	s_delay_alu instid0(VALU_DEP_1)
	v_mov_b32_e32 v137, v133
	ds_load_2addr_b64 v[132:135], v126 offset0:30 offset1:31
	v_pk_add_f32 v[96:97], v[96:97], v[138:139] neg_lo:[0,1] neg_hi:[0,1]
	v_pk_add_f32 v[46:47], v[46:47], v[136:137] neg_lo:[0,1] neg_hi:[0,1]
	s_wait_dscnt 0x0
	v_pk_mul_f32 v[136:137], v[132:133], v[124:125] op_sel:[0,1]
	s_delay_alu instid0(VALU_DEP_1) | instskip(SKIP_1) | instid1(VALU_DEP_1)
	v_pk_fma_f32 v[138:139], v[132:133], v[122:123], v[136:137] op_sel:[0,0,1] op_sel_hi:[1,1,0] neg_lo:[0,0,1] neg_hi:[0,0,1]
	v_pk_fma_f32 v[132:133], v[132:133], v[122:123], v[136:137] op_sel:[0,0,1] op_sel_hi:[1,0,0]
	v_mov_b32_e32 v139, v133
	v_pk_mul_f32 v[132:133], v[134:135], v[124:125] op_sel:[0,1]
	s_delay_alu instid0(VALU_DEP_1) | instskip(SKIP_1) | instid1(VALU_DEP_1)
	v_pk_fma_f32 v[136:137], v[134:135], v[122:123], v[132:133] op_sel:[0,0,1] op_sel_hi:[1,1,0] neg_lo:[0,0,1] neg_hi:[0,0,1]
	v_pk_fma_f32 v[132:133], v[134:135], v[122:123], v[132:133] op_sel:[0,0,1] op_sel_hi:[1,0,0]
	v_mov_b32_e32 v137, v133
	ds_load_2addr_b64 v[132:135], v126 offset0:32 offset1:33
	v_pk_add_f32 v[48:49], v[48:49], v[138:139] neg_lo:[0,1] neg_hi:[0,1]
	v_pk_add_f32 v[44:45], v[44:45], v[136:137] neg_lo:[0,1] neg_hi:[0,1]
	s_wait_dscnt 0x0
	v_dual_mul_f32 v136, v133, v125 :: v_dual_mul_f32 v138, v133, v122
	s_delay_alu instid0(VALU_DEP_1) | instskip(NEXT) | instid1(VALU_DEP_2)
	v_pk_fma_f32 v[136:137], v[132:133], v[74:75], v[136:137] op_sel_hi:[1,1,0] neg_lo:[0,0,1] neg_hi:[0,0,1]
	v_pk_fma_f32 v[132:133], v[132:133], v[74:75], v[138:139] op_sel:[1,0,0] op_sel_hi:[0,1,0]
	s_delay_alu instid0(VALU_DEP_1) | instskip(SKIP_1) | instid1(VALU_DEP_2)
	v_mov_b32_e32 v137, v133
	v_pk_mul_f32 v[132:133], v[134:135], v[124:125] op_sel:[0,1]
	v_pk_add_f32 v[94:95], v[94:95], v[136:137] neg_lo:[0,1] neg_hi:[0,1]
	s_delay_alu instid0(VALU_DEP_2) | instskip(SKIP_1) | instid1(VALU_DEP_1)
	v_pk_fma_f32 v[136:137], v[134:135], v[122:123], v[132:133] op_sel:[0,0,1] op_sel_hi:[1,1,0] neg_lo:[0,0,1] neg_hi:[0,0,1]
	v_pk_fma_f32 v[132:133], v[134:135], v[122:123], v[132:133] op_sel:[0,0,1] op_sel_hi:[1,0,0]
	v_mov_b32_e32 v137, v133
	ds_load_2addr_b64 v[132:135], v126 offset0:34 offset1:35
	v_pk_add_f32 v[38:39], v[38:39], v[136:137] neg_lo:[0,1] neg_hi:[0,1]
	s_wait_dscnt 0x0
	v_pk_mul_f32 v[136:137], v[132:133], v[124:125] op_sel:[0,1]
	s_delay_alu instid0(VALU_DEP_1) | instskip(SKIP_1) | instid1(VALU_DEP_1)
	v_pk_fma_f32 v[138:139], v[132:133], v[122:123], v[136:137] op_sel:[0,0,1] op_sel_hi:[1,1,0] neg_lo:[0,0,1] neg_hi:[0,0,1]
	v_pk_fma_f32 v[132:133], v[132:133], v[122:123], v[136:137] op_sel:[0,0,1] op_sel_hi:[1,0,0]
	v_mov_b32_e32 v139, v133
	v_pk_mul_f32 v[132:133], v[134:135], v[124:125] op_sel:[0,1]
	s_delay_alu instid0(VALU_DEP_2) | instskip(NEXT) | instid1(VALU_DEP_2)
	v_pk_add_f32 v[40:41], v[40:41], v[138:139] neg_lo:[0,1] neg_hi:[0,1]
	v_pk_fma_f32 v[136:137], v[134:135], v[122:123], v[132:133] op_sel:[0,0,1] op_sel_hi:[1,1,0] neg_lo:[0,0,1] neg_hi:[0,0,1]
	v_pk_fma_f32 v[132:133], v[134:135], v[122:123], v[132:133] op_sel:[0,0,1] op_sel_hi:[1,0,0]
	s_delay_alu instid0(VALU_DEP_1) | instskip(SKIP_4) | instid1(VALU_DEP_1)
	v_mov_b32_e32 v137, v133
	ds_load_2addr_b64 v[132:135], v126 offset0:36 offset1:37
	v_pk_add_f32 v[36:37], v[36:37], v[136:137] neg_lo:[0,1] neg_hi:[0,1]
	s_wait_dscnt 0x0
	v_pk_mul_f32 v[136:137], v[132:133], v[124:125] op_sel:[0,1]
	v_pk_fma_f32 v[138:139], v[132:133], v[122:123], v[136:137] op_sel:[0,0,1] op_sel_hi:[1,1,0] neg_lo:[0,0,1] neg_hi:[0,0,1]
	v_pk_fma_f32 v[132:133], v[132:133], v[122:123], v[136:137] op_sel:[0,0,1] op_sel_hi:[1,0,0]
	v_dual_mul_f32 v136, v135, v125 :: v_dual_mov_b32 v132, v135
	s_delay_alu instid0(VALU_DEP_2) | instskip(NEXT) | instid1(VALU_DEP_2)
	v_dual_mov_b32 v139, v133 :: v_dual_mov_b32 v133, v134
	v_pk_fma_f32 v[136:137], v[134:135], v[74:75], v[136:137] op_sel_hi:[1,1,0] neg_lo:[0,0,1] neg_hi:[0,0,1]
	v_mul_f32_e32 v134, v135, v122
	s_delay_alu instid0(VALU_DEP_3) | instskip(NEXT) | instid1(VALU_DEP_2)
	v_pk_add_f32 v[92:93], v[92:93], v[138:139] neg_lo:[0,1] neg_hi:[0,1]
	v_pk_fma_f32 v[132:133], v[132:133], v[74:75], v[134:135] op_sel_hi:[1,1,0]
	s_delay_alu instid0(VALU_DEP_1) | instskip(SKIP_4) | instid1(VALU_DEP_1)
	v_mov_b32_e32 v137, v133
	ds_load_2addr_b64 v[132:135], v126 offset0:38 offset1:39
	v_pk_add_f32 v[32:33], v[32:33], v[136:137] neg_lo:[0,1] neg_hi:[0,1]
	s_wait_dscnt 0x0
	v_pk_mul_f32 v[136:137], v[132:133], v[124:125] op_sel:[0,1]
	v_pk_fma_f32 v[138:139], v[132:133], v[122:123], v[136:137] op_sel:[0,0,1] op_sel_hi:[1,1,0] neg_lo:[0,0,1] neg_hi:[0,0,1]
	v_pk_fma_f32 v[132:133], v[132:133], v[122:123], v[136:137] op_sel:[0,0,1] op_sel_hi:[1,0,0]
	s_delay_alu instid0(VALU_DEP_1) | instskip(SKIP_1) | instid1(VALU_DEP_1)
	v_mov_b32_e32 v139, v133
	v_pk_mul_f32 v[132:133], v[134:135], v[124:125] op_sel:[0,1]
	v_pk_fma_f32 v[136:137], v[134:135], v[122:123], v[132:133] op_sel:[0,0,1] op_sel_hi:[1,1,0] neg_lo:[0,0,1] neg_hi:[0,0,1]
	v_pk_fma_f32 v[132:133], v[134:135], v[122:123], v[132:133] op_sel:[0,0,1] op_sel_hi:[1,0,0]
	s_delay_alu instid0(VALU_DEP_1)
	v_mov_b32_e32 v137, v133
	ds_load_2addr_b64 v[132:135], v126 offset0:40 offset1:41
	v_pk_add_f32 v[34:35], v[34:35], v[138:139] neg_lo:[0,1] neg_hi:[0,1]
	v_pk_add_f32 v[30:31], v[30:31], v[136:137] neg_lo:[0,1] neg_hi:[0,1]
	s_wait_dscnt 0x0
	v_pk_mul_f32 v[136:137], v[132:133], v[124:125] op_sel:[0,1]
	s_delay_alu instid0(VALU_DEP_1) | instskip(SKIP_1) | instid1(VALU_DEP_1)
	v_pk_fma_f32 v[138:139], v[132:133], v[122:123], v[136:137] op_sel:[0,0,1] op_sel_hi:[1,1,0] neg_lo:[0,0,1] neg_hi:[0,0,1]
	v_pk_fma_f32 v[132:133], v[132:133], v[122:123], v[136:137] op_sel:[0,0,1] op_sel_hi:[1,0,0]
	v_mov_b32_e32 v139, v133
	v_pk_mul_f32 v[132:133], v[134:135], v[124:125] op_sel:[0,1]
	s_delay_alu instid0(VALU_DEP_1) | instskip(SKIP_1) | instid1(VALU_DEP_1)
	v_pk_fma_f32 v[136:137], v[134:135], v[122:123], v[132:133] op_sel:[0,0,1] op_sel_hi:[1,1,0] neg_lo:[0,0,1] neg_hi:[0,0,1]
	v_pk_fma_f32 v[132:133], v[134:135], v[122:123], v[132:133] op_sel:[0,0,1] op_sel_hi:[1,0,0]
	v_mov_b32_e32 v137, v133
	ds_load_2addr_b64 v[132:135], v126 offset0:42 offset1:43
	v_pk_add_f32 v[90:91], v[90:91], v[138:139] neg_lo:[0,1] neg_hi:[0,1]
	v_pk_add_f32 v[24:25], v[24:25], v[136:137] neg_lo:[0,1] neg_hi:[0,1]
	s_wait_dscnt 0x0
	v_dual_mul_f32 v136, v133, v125 :: v_dual_mul_f32 v138, v133, v122
	s_delay_alu instid0(VALU_DEP_1) | instskip(NEXT) | instid1(VALU_DEP_2)
	v_pk_fma_f32 v[136:137], v[132:133], v[74:75], v[136:137] op_sel_hi:[1,1,0] neg_lo:[0,0,1] neg_hi:[0,0,1]
	v_pk_fma_f32 v[132:133], v[132:133], v[74:75], v[138:139] op_sel:[1,0,0] op_sel_hi:[0,1,0]
	s_delay_alu instid0(VALU_DEP_1) | instskip(SKIP_1) | instid1(VALU_DEP_2)
	v_mov_b32_e32 v137, v133
	v_pk_mul_f32 v[132:133], v[134:135], v[124:125] op_sel:[0,1]
	v_pk_add_f32 v[26:27], v[26:27], v[136:137] neg_lo:[0,1] neg_hi:[0,1]
	s_delay_alu instid0(VALU_DEP_2) | instskip(SKIP_1) | instid1(VALU_DEP_1)
	v_pk_fma_f32 v[136:137], v[134:135], v[122:123], v[132:133] op_sel:[0,0,1] op_sel_hi:[1,1,0] neg_lo:[0,0,1] neg_hi:[0,0,1]
	v_pk_fma_f32 v[132:133], v[134:135], v[122:123], v[132:133] op_sel:[0,0,1] op_sel_hi:[1,0,0]
	v_mov_b32_e32 v137, v133
	ds_load_2addr_b64 v[132:135], v126 offset0:44 offset1:45
	v_pk_add_f32 v[22:23], v[22:23], v[136:137] neg_lo:[0,1] neg_hi:[0,1]
	s_wait_dscnt 0x0
	v_pk_mul_f32 v[136:137], v[132:133], v[124:125] op_sel:[0,1]
	s_delay_alu instid0(VALU_DEP_1) | instskip(SKIP_1) | instid1(VALU_DEP_1)
	v_pk_fma_f32 v[138:139], v[132:133], v[122:123], v[136:137] op_sel:[0,0,1] op_sel_hi:[1,1,0] neg_lo:[0,0,1] neg_hi:[0,0,1]
	v_pk_fma_f32 v[132:133], v[132:133], v[122:123], v[136:137] op_sel:[0,0,1] op_sel_hi:[1,0,0]
	v_mov_b32_e32 v139, v133
	v_pk_mul_f32 v[132:133], v[134:135], v[124:125] op_sel:[0,1]
	s_delay_alu instid0(VALU_DEP_2) | instskip(NEXT) | instid1(VALU_DEP_2)
	v_pk_add_f32 v[88:89], v[88:89], v[138:139] neg_lo:[0,1] neg_hi:[0,1]
	v_pk_fma_f32 v[136:137], v[134:135], v[122:123], v[132:133] op_sel:[0,0,1] op_sel_hi:[1,1,0] neg_lo:[0,0,1] neg_hi:[0,0,1]
	v_pk_fma_f32 v[132:133], v[134:135], v[122:123], v[132:133] op_sel:[0,0,1] op_sel_hi:[1,0,0]
	s_delay_alu instid0(VALU_DEP_1) | instskip(SKIP_4) | instid1(VALU_DEP_1)
	v_mov_b32_e32 v137, v133
	ds_load_2addr_b64 v[132:135], v126 offset0:46 offset1:47
	v_pk_add_f32 v[18:19], v[18:19], v[136:137] neg_lo:[0,1] neg_hi:[0,1]
	s_wait_dscnt 0x0
	v_pk_mul_f32 v[136:137], v[132:133], v[124:125] op_sel:[0,1]
	v_pk_fma_f32 v[138:139], v[132:133], v[122:123], v[136:137] op_sel:[0,0,1] op_sel_hi:[1,1,0] neg_lo:[0,0,1] neg_hi:[0,0,1]
	v_pk_fma_f32 v[132:133], v[132:133], v[122:123], v[136:137] op_sel:[0,0,1] op_sel_hi:[1,0,0]
	v_dual_mul_f32 v136, v135, v125 :: v_dual_mov_b32 v132, v135
	s_delay_alu instid0(VALU_DEP_2) | instskip(NEXT) | instid1(VALU_DEP_2)
	v_dual_mov_b32 v139, v133 :: v_dual_mov_b32 v133, v134
	v_pk_fma_f32 v[136:137], v[134:135], v[74:75], v[136:137] op_sel_hi:[1,1,0] neg_lo:[0,0,1] neg_hi:[0,0,1]
	v_mul_f32_e32 v134, v135, v122
	s_delay_alu instid0(VALU_DEP_3) | instskip(NEXT) | instid1(VALU_DEP_2)
	v_pk_add_f32 v[20:21], v[20:21], v[138:139] neg_lo:[0,1] neg_hi:[0,1]
	v_pk_fma_f32 v[132:133], v[132:133], v[74:75], v[134:135] op_sel_hi:[1,1,0]
	s_delay_alu instid0(VALU_DEP_1) | instskip(SKIP_4) | instid1(VALU_DEP_1)
	v_mov_b32_e32 v137, v133
	ds_load_2addr_b64 v[132:135], v126 offset0:48 offset1:49
	v_pk_add_f32 v[16:17], v[16:17], v[136:137] neg_lo:[0,1] neg_hi:[0,1]
	s_wait_dscnt 0x0
	v_pk_mul_f32 v[136:137], v[132:133], v[124:125] op_sel:[0,1]
	v_pk_fma_f32 v[138:139], v[132:133], v[122:123], v[136:137] op_sel:[0,0,1] op_sel_hi:[1,1,0] neg_lo:[0,0,1] neg_hi:[0,0,1]
	v_pk_fma_f32 v[132:133], v[132:133], v[122:123], v[136:137] op_sel:[0,0,1] op_sel_hi:[1,0,0]
	s_delay_alu instid0(VALU_DEP_1) | instskip(SKIP_1) | instid1(VALU_DEP_1)
	v_mov_b32_e32 v139, v133
	v_pk_mul_f32 v[132:133], v[134:135], v[124:125] op_sel:[0,1]
	v_pk_fma_f32 v[136:137], v[134:135], v[122:123], v[132:133] op_sel:[0,0,1] op_sel_hi:[1,1,0] neg_lo:[0,0,1] neg_hi:[0,0,1]
	v_pk_fma_f32 v[132:133], v[134:135], v[122:123], v[132:133] op_sel:[0,0,1] op_sel_hi:[1,0,0]
	s_delay_alu instid0(VALU_DEP_1)
	v_mov_b32_e32 v137, v133
	ds_load_2addr_b64 v[132:135], v126 offset0:50 offset1:51
	v_pk_add_f32 v[84:85], v[84:85], v[138:139] neg_lo:[0,1] neg_hi:[0,1]
	v_pk_add_f32 v[10:11], v[10:11], v[136:137] neg_lo:[0,1] neg_hi:[0,1]
	s_wait_dscnt 0x0
	v_pk_mul_f32 v[136:137], v[132:133], v[124:125] op_sel:[0,1]
	s_delay_alu instid0(VALU_DEP_1) | instskip(SKIP_1) | instid1(VALU_DEP_1)
	v_pk_fma_f32 v[138:139], v[132:133], v[122:123], v[136:137] op_sel:[0,0,1] op_sel_hi:[1,1,0] neg_lo:[0,0,1] neg_hi:[0,0,1]
	v_pk_fma_f32 v[132:133], v[132:133], v[122:123], v[136:137] op_sel:[0,0,1] op_sel_hi:[1,0,0]
	v_mov_b32_e32 v139, v133
	v_pk_mul_f32 v[132:133], v[134:135], v[124:125] op_sel:[0,1]
	s_delay_alu instid0(VALU_DEP_1) | instskip(SKIP_1) | instid1(VALU_DEP_1)
	v_pk_fma_f32 v[136:137], v[134:135], v[122:123], v[132:133] op_sel:[0,0,1] op_sel_hi:[1,1,0] neg_lo:[0,0,1] neg_hi:[0,0,1]
	v_pk_fma_f32 v[132:133], v[134:135], v[122:123], v[132:133] op_sel:[0,0,1] op_sel_hi:[1,0,0]
	v_mov_b32_e32 v137, v133
	ds_load_2addr_b64 v[132:135], v126 offset0:52 offset1:53
	v_pk_add_f32 v[12:13], v[12:13], v[138:139] neg_lo:[0,1] neg_hi:[0,1]
	v_pk_add_f32 v[8:9], v[8:9], v[136:137] neg_lo:[0,1] neg_hi:[0,1]
	s_wait_dscnt 0x0
	v_dual_mul_f32 v136, v133, v125 :: v_dual_mul_f32 v138, v133, v122
	s_delay_alu instid0(VALU_DEP_1) | instskip(NEXT) | instid1(VALU_DEP_2)
	v_pk_fma_f32 v[136:137], v[132:133], v[74:75], v[136:137] op_sel_hi:[1,1,0] neg_lo:[0,0,1] neg_hi:[0,0,1]
	v_pk_fma_f32 v[132:133], v[132:133], v[74:75], v[138:139] op_sel:[1,0,0] op_sel_hi:[0,1,0]
	s_delay_alu instid0(VALU_DEP_1) | instskip(SKIP_1) | instid1(VALU_DEP_2)
	v_mov_b32_e32 v137, v133
	v_pk_mul_f32 v[132:133], v[134:135], v[124:125] op_sel:[0,1]
	v_pk_add_f32 v[60:61], v[60:61], v[136:137] neg_lo:[0,1] neg_hi:[0,1]
	s_delay_alu instid0(VALU_DEP_2) | instskip(SKIP_1) | instid1(VALU_DEP_1)
	v_pk_fma_f32 v[136:137], v[134:135], v[122:123], v[132:133] op_sel:[0,0,1] op_sel_hi:[1,1,0] neg_lo:[0,0,1] neg_hi:[0,0,1]
	v_pk_fma_f32 v[132:133], v[134:135], v[122:123], v[132:133] op_sel:[0,0,1] op_sel_hi:[1,0,0]
	v_mov_b32_e32 v137, v133
	ds_load_2addr_b64 v[132:135], v126 offset0:54 offset1:55
	v_pk_add_f32 v[6:7], v[6:7], v[136:137] neg_lo:[0,1] neg_hi:[0,1]
	s_wait_dscnt 0x0
	v_pk_mul_f32 v[136:137], v[132:133], v[124:125] op_sel:[0,1]
	s_delay_alu instid0(VALU_DEP_1) | instskip(SKIP_1) | instid1(VALU_DEP_1)
	v_pk_fma_f32 v[138:139], v[132:133], v[122:123], v[136:137] op_sel:[0,0,1] op_sel_hi:[1,1,0] neg_lo:[0,0,1] neg_hi:[0,0,1]
	v_pk_fma_f32 v[132:133], v[132:133], v[122:123], v[136:137] op_sel:[0,0,1] op_sel_hi:[1,0,0]
	v_mov_b32_e32 v139, v133
	v_pk_mul_f32 v[132:133], v[134:135], v[124:125] op_sel:[0,1]
	s_delay_alu instid0(VALU_DEP_2) | instskip(NEXT) | instid1(VALU_DEP_2)
	v_pk_add_f32 v[42:43], v[42:43], v[138:139] neg_lo:[0,1] neg_hi:[0,1]
	v_pk_fma_f32 v[136:137], v[134:135], v[122:123], v[132:133] op_sel:[0,0,1] op_sel_hi:[1,1,0] neg_lo:[0,0,1] neg_hi:[0,0,1]
	v_pk_fma_f32 v[132:133], v[134:135], v[122:123], v[132:133] op_sel:[0,0,1] op_sel_hi:[1,0,0]
	s_delay_alu instid0(VALU_DEP_1)
	v_mov_b32_e32 v137, v133
	ds_load_2addr_b64 v[132:135], v126 offset0:56 offset1:57
	v_pk_add_f32 v[28:29], v[28:29], v[136:137] neg_lo:[0,1] neg_hi:[0,1]
	s_wait_dscnt 0x0
	v_pk_mul_f32 v[136:137], v[132:133], v[124:125] op_sel:[0,1]
	v_pk_mul_f32 v[124:125], v[134:135], v[124:125] op_sel:[0,1]
	s_delay_alu instid0(VALU_DEP_2) | instskip(SKIP_1) | instid1(VALU_DEP_1)
	v_pk_fma_f32 v[138:139], v[132:133], v[122:123], v[136:137] op_sel:[0,0,1] op_sel_hi:[1,1,0] neg_lo:[0,0,1] neg_hi:[0,0,1]
	v_pk_fma_f32 v[132:133], v[132:133], v[122:123], v[136:137] op_sel:[0,0,1] op_sel_hi:[1,0,0]
	v_mov_b32_e32 v139, v133
	s_delay_alu instid0(VALU_DEP_4) | instskip(SKIP_1) | instid1(VALU_DEP_3)
	v_pk_fma_f32 v[132:133], v[134:135], v[122:123], v[124:125] op_sel:[0,0,1] op_sel_hi:[1,1,0] neg_lo:[0,0,1] neg_hi:[0,0,1]
	v_pk_fma_f32 v[122:123], v[134:135], v[122:123], v[124:125] op_sel:[0,0,1] op_sel_hi:[1,0,0]
	v_pk_add_f32 v[14:15], v[14:15], v[138:139] neg_lo:[0,1] neg_hi:[0,1]
	s_delay_alu instid0(VALU_DEP_2) | instskip(NEXT) | instid1(VALU_DEP_1)
	v_mov_b32_e32 v133, v123
	v_pk_add_f32 v[120:121], v[120:121], v[132:133] neg_lo:[0,1] neg_hi:[0,1]
.LBB114_293:
	s_or_b32 exec_lo, exec_lo, s0
	v_lshl_add_u32 v122, v130, 3, v126
	s_barrier_signal -1
	s_barrier_wait -1
	ds_store_b64 v122, v[76:77]
	s_wait_dscnt 0x0
	s_barrier_signal -1
	s_barrier_wait -1
	ds_load_b64 v[124:125], v126 offset:112
	v_mov_b32_e32 v122, 14
	s_cmp_lt_i32 s18, 16
	s_cbranch_scc1 .LBB114_296
; %bb.294:
	v_add3_u32 v123, v127, 0, 0x78
	v_mov_b32_e32 v122, 14
	s_mov_b32 s0, 15
.LBB114_295:                            ; =>This Inner Loop Header: Depth=1
	ds_load_b64 v[132:133], v123
	s_wait_dscnt 0x1
	v_cmp_gt_f32_e32 vcc_lo, 0, v124
	v_cndmask_b32_e64 v134, v124, -v124, vcc_lo
	v_cmp_gt_f32_e32 vcc_lo, 0, v125
	v_cndmask_b32_e64 v136, v125, -v125, vcc_lo
	s_wait_dscnt 0x0
	v_cmp_gt_f32_e32 vcc_lo, 0, v132
	v_cndmask_b32_e64 v135, v132, -v132, vcc_lo
	v_cmp_gt_f32_e32 vcc_lo, 0, v133
	v_cndmask_b32_e64 v137, v133, -v133, vcc_lo
	s_delay_alu instid0(VALU_DEP_1) | instskip(NEXT) | instid1(VALU_DEP_1)
	v_pk_add_f32 v[134:135], v[134:135], v[136:137]
	v_cmp_lt_f32_e32 vcc_lo, v134, v135
	v_dual_add_nc_u32 v123, 8, v123 :: v_dual_cndmask_b32 v125, v125, v133, vcc_lo
	v_cndmask_b32_e32 v124, v124, v132, vcc_lo
	v_cndmask_b32_e64 v122, v122, s0, vcc_lo
	s_add_co_i32 s0, s0, 1
	s_delay_alu instid0(SALU_CYCLE_1)
	s_cmp_lg_u32 s18, s0
	s_cbranch_scc1 .LBB114_295
.LBB114_296:
	s_wait_dscnt 0x0
	v_cmp_eq_f32_e32 vcc_lo, 0, v124
	v_cmp_eq_f32_e64 s0, 0, v125
	s_and_b32 s0, vcc_lo, s0
	s_delay_alu instid0(SALU_CYCLE_1) | instskip(NEXT) | instid1(SALU_CYCLE_1)
	s_and_saveexec_b32 s1, s0
	s_xor_b32 s0, exec_lo, s1
; %bb.297:
	v_cmp_ne_u32_e32 vcc_lo, 0, v128
	v_cndmask_b32_e32 v128, 15, v128, vcc_lo
; %bb.298:
	s_and_not1_saveexec_b32 s0, s0
	s_cbranch_execz .LBB114_304
; %bb.299:
	v_cmp_ngt_f32_e64 s1, |v124|, |v125|
	s_and_saveexec_b32 s12, s1
	s_delay_alu instid0(SALU_CYCLE_1)
	s_xor_b32 s1, exec_lo, s12
	s_cbranch_execz .LBB114_301
; %bb.300:
	v_div_scale_f32 v123, null, v125, v125, v124
	v_div_scale_f32 v133, vcc_lo, v124, v125, v124
	s_delay_alu instid0(VALU_DEP_2) | instskip(SKIP_1) | instid1(TRANS32_DEP_1)
	v_rcp_f32_e32 v131, v123
	v_nop
	v_fma_f32 v132, -v123, v131, 1.0
	s_delay_alu instid0(VALU_DEP_1) | instskip(NEXT) | instid1(VALU_DEP_1)
	v_fmac_f32_e32 v131, v132, v131
	v_mul_f32_e32 v132, v133, v131
	s_delay_alu instid0(VALU_DEP_1) | instskip(NEXT) | instid1(VALU_DEP_1)
	v_fma_f32 v134, -v123, v132, v133
	v_fmac_f32_e32 v132, v134, v131
	s_delay_alu instid0(VALU_DEP_1) | instskip(NEXT) | instid1(VALU_DEP_1)
	v_fma_f32 v123, -v123, v132, v133
	v_div_fmas_f32 v123, v123, v131, v132
	s_delay_alu instid0(VALU_DEP_1) | instskip(NEXT) | instid1(VALU_DEP_1)
	v_div_fixup_f32 v123, v123, v125, v124
	v_fmac_f32_e32 v125, v124, v123
	s_delay_alu instid0(VALU_DEP_1) | instskip(SKIP_1) | instid1(VALU_DEP_2)
	v_div_scale_f32 v124, null, v125, v125, 1.0
	v_div_scale_f32 v133, vcc_lo, 1.0, v125, 1.0
	v_rcp_f32_e32 v131, v124
	v_nop
	s_delay_alu instid0(TRANS32_DEP_1) | instskip(NEXT) | instid1(VALU_DEP_1)
	v_fma_f32 v132, -v124, v131, 1.0
	v_fmac_f32_e32 v131, v132, v131
	s_delay_alu instid0(VALU_DEP_1) | instskip(NEXT) | instid1(VALU_DEP_1)
	v_mul_f32_e32 v132, v133, v131
	v_fma_f32 v134, -v124, v132, v133
	s_delay_alu instid0(VALU_DEP_1) | instskip(NEXT) | instid1(VALU_DEP_1)
	v_fmac_f32_e32 v132, v134, v131
	v_fma_f32 v124, -v124, v132, v133
	s_delay_alu instid0(VALU_DEP_1) | instskip(NEXT) | instid1(VALU_DEP_1)
	v_div_fmas_f32 v124, v124, v131, v132
	v_div_fixup_f32 v125, v124, v125, 1.0
	s_delay_alu instid0(VALU_DEP_1)
	v_mul_f32_e32 v124, v123, v125
	v_xor_b32_e32 v125, 0x80000000, v125
.LBB114_301:
	s_and_not1_saveexec_b32 s1, s1
	s_cbranch_execz .LBB114_303
; %bb.302:
	s_delay_alu instid0(VALU_DEP_1) | instskip(SKIP_1) | instid1(VALU_DEP_2)
	v_div_scale_f32 v123, null, v124, v124, v125
	v_div_scale_f32 v133, vcc_lo, v125, v124, v125
	v_rcp_f32_e32 v131, v123
	v_nop
	s_delay_alu instid0(TRANS32_DEP_1) | instskip(NEXT) | instid1(VALU_DEP_1)
	v_fma_f32 v132, -v123, v131, 1.0
	v_fmac_f32_e32 v131, v132, v131
	s_delay_alu instid0(VALU_DEP_1) | instskip(NEXT) | instid1(VALU_DEP_1)
	v_mul_f32_e32 v132, v133, v131
	v_fma_f32 v134, -v123, v132, v133
	s_delay_alu instid0(VALU_DEP_1) | instskip(NEXT) | instid1(VALU_DEP_1)
	v_fmac_f32_e32 v132, v134, v131
	v_fma_f32 v123, -v123, v132, v133
	s_delay_alu instid0(VALU_DEP_1) | instskip(NEXT) | instid1(VALU_DEP_1)
	v_div_fmas_f32 v123, v123, v131, v132
	v_div_fixup_f32 v123, v123, v124, v125
	s_delay_alu instid0(VALU_DEP_1) | instskip(NEXT) | instid1(VALU_DEP_1)
	v_fmac_f32_e32 v124, v125, v123
	v_div_scale_f32 v125, null, v124, v124, 1.0
	s_delay_alu instid0(VALU_DEP_1) | instskip(SKIP_1) | instid1(TRANS32_DEP_1)
	v_rcp_f32_e32 v131, v125
	v_nop
	v_fma_f32 v132, -v125, v131, 1.0
	s_delay_alu instid0(VALU_DEP_1) | instskip(SKIP_1) | instid1(VALU_DEP_1)
	v_fmac_f32_e32 v131, v132, v131
	v_div_scale_f32 v132, vcc_lo, 1.0, v124, 1.0
	v_mul_f32_e32 v133, v132, v131
	s_delay_alu instid0(VALU_DEP_1) | instskip(NEXT) | instid1(VALU_DEP_1)
	v_fma_f32 v134, -v125, v133, v132
	v_fmac_f32_e32 v133, v134, v131
	s_delay_alu instid0(VALU_DEP_1) | instskip(NEXT) | instid1(VALU_DEP_1)
	v_fma_f32 v125, -v125, v133, v132
	v_div_fmas_f32 v125, v125, v131, v133
	s_delay_alu instid0(VALU_DEP_1) | instskip(NEXT) | instid1(VALU_DEP_1)
	v_div_fixup_f32 v124, v125, v124, 1.0
	v_mul_f32_e64 v125, v123, -v124
.LBB114_303:
	s_or_b32 exec_lo, exec_lo, s1
.LBB114_304:
	s_delay_alu instid0(SALU_CYCLE_1) | instskip(NEXT) | instid1(SALU_CYCLE_1)
	s_or_b32 exec_lo, exec_lo, s0
	s_mov_b32 s0, exec_lo
	v_cmpx_ne_u32_e64 v130, v122
	s_xor_b32 s0, exec_lo, s0
	s_cbranch_execz .LBB114_310
; %bb.305:
	s_mov_b32 s1, exec_lo
	v_cmpx_eq_u32_e32 14, v130
	s_cbranch_execz .LBB114_309
; %bb.306:
	v_cmp_ne_u32_e32 vcc_lo, 14, v122
	s_xor_b32 s12, s16, -1
	s_delay_alu instid0(SALU_CYCLE_1) | instskip(NEXT) | instid1(SALU_CYCLE_1)
	s_and_b32 s13, s12, vcc_lo
	s_and_saveexec_b32 s12, s13
	s_cbranch_execz .LBB114_308
; %bb.307:
	v_ashrrev_i32_e32 v123, 31, v122
	s_delay_alu instid0(VALU_DEP_1)
	v_lshl_add_u64 v[130:131], v[122:123], 2, v[4:5]
	s_clause 0x1
	global_load_b32 v123, v[130:131], off
	global_load_b32 v129, v[4:5], off offset:56
	s_wait_loadcnt 0x1
	global_store_b32 v[4:5], v123, off offset:56
	s_wait_loadcnt 0x0
	global_store_b32 v[130:131], v129, off
.LBB114_308:
	s_wait_xcnt 0x0
	s_or_b32 exec_lo, exec_lo, s12
	v_dual_mov_b32 v130, v122 :: v_dual_mov_b32 v129, v122
.LBB114_309:
	s_or_b32 exec_lo, exec_lo, s1
.LBB114_310:
	s_and_not1_saveexec_b32 s0, s0
	s_cbranch_execz .LBB114_312
; %bb.311:
	v_mov_b32_e32 v130, 14
	ds_store_2addr_b64 v126, v[72:73], v[104:105] offset0:15 offset1:16
	ds_store_2addr_b64 v126, v[66:67], v[68:69] offset0:17 offset1:18
	;; [unrolled: 1-line block ×21, first 2 shown]
	ds_store_b64 v126, v[120:121] offset:456
.LBB114_312:
	s_or_b32 exec_lo, exec_lo, s0
	s_delay_alu instid0(SALU_CYCLE_1)
	s_mov_b32 s0, exec_lo
	s_wait_storecnt_dscnt 0x0
	s_barrier_signal -1
	s_barrier_wait -1
	v_cmpx_lt_i32_e32 14, v130
	s_cbranch_execz .LBB114_314
; %bb.313:
	v_pk_mul_f32 v[132:133], v[124:125], v[76:77] op_sel:[1,1] op_sel_hi:[0,1]
	s_delay_alu instid0(VALU_DEP_1)
	v_pk_fma_f32 v[122:123], v[124:125], v[76:77], v[132:133] op_sel_hi:[1,0,1] neg_lo:[0,0,1] neg_hi:[0,0,1]
	v_pk_fma_f32 v[124:125], v[124:125], v[76:77], v[132:133] op_sel_hi:[1,0,1]
	ds_load_2addr_b64 v[132:135], v126 offset0:15 offset1:16
	v_dual_mov_b32 v76, v122 :: v_dual_mov_b32 v77, v125
	s_wait_dscnt 0x0
	v_pk_mul_f32 v[136:137], v[132:133], v[124:125] op_sel:[0,1]
	s_delay_alu instid0(VALU_DEP_1) | instskip(SKIP_1) | instid1(VALU_DEP_1)
	v_pk_fma_f32 v[138:139], v[132:133], v[122:123], v[136:137] op_sel:[0,0,1] op_sel_hi:[1,1,0] neg_lo:[0,0,1] neg_hi:[0,0,1]
	v_pk_fma_f32 v[132:133], v[132:133], v[122:123], v[136:137] op_sel:[0,0,1] op_sel_hi:[1,0,0]
	v_mov_b32_e32 v139, v133
	v_pk_mul_f32 v[132:133], v[134:135], v[124:125] op_sel:[0,1]
	s_delay_alu instid0(VALU_DEP_1) | instskip(SKIP_1) | instid1(VALU_DEP_1)
	v_pk_fma_f32 v[136:137], v[134:135], v[122:123], v[132:133] op_sel:[0,0,1] op_sel_hi:[1,1,0] neg_lo:[0,0,1] neg_hi:[0,0,1]
	v_pk_fma_f32 v[132:133], v[134:135], v[122:123], v[132:133] op_sel:[0,0,1] op_sel_hi:[1,0,0]
	v_mov_b32_e32 v137, v133
	ds_load_2addr_b64 v[132:135], v126 offset0:17 offset1:18
	v_pk_add_f32 v[72:73], v[72:73], v[138:139] neg_lo:[0,1] neg_hi:[0,1]
	v_pk_add_f32 v[104:105], v[104:105], v[136:137] neg_lo:[0,1] neg_hi:[0,1]
	s_wait_dscnt 0x0
	v_pk_mul_f32 v[136:137], v[132:133], v[124:125] op_sel:[0,1]
	s_delay_alu instid0(VALU_DEP_1) | instskip(SKIP_2) | instid1(VALU_DEP_2)
	v_pk_fma_f32 v[138:139], v[132:133], v[122:123], v[136:137] op_sel:[0,0,1] op_sel_hi:[1,1,0] neg_lo:[0,0,1] neg_hi:[0,0,1]
	v_pk_fma_f32 v[132:133], v[132:133], v[122:123], v[136:137] op_sel:[0,0,1] op_sel_hi:[1,0,0]
	v_dual_mul_f32 v136, v135, v125 :: v_dual_mov_b32 v132, v135
	v_dual_mov_b32 v139, v133 :: v_dual_mov_b32 v133, v134
	s_delay_alu instid0(VALU_DEP_2) | instskip(SKIP_1) | instid1(VALU_DEP_3)
	v_pk_fma_f32 v[136:137], v[134:135], v[76:77], v[136:137] op_sel_hi:[1,1,0] neg_lo:[0,0,1] neg_hi:[0,0,1]
	v_mul_f32_e32 v134, v135, v122
	v_pk_add_f32 v[66:67], v[66:67], v[138:139] neg_lo:[0,1] neg_hi:[0,1]
	s_delay_alu instid0(VALU_DEP_2) | instskip(NEXT) | instid1(VALU_DEP_1)
	v_pk_fma_f32 v[132:133], v[132:133], v[76:77], v[134:135] op_sel_hi:[1,1,0]
	v_mov_b32_e32 v137, v133
	ds_load_2addr_b64 v[132:135], v126 offset0:19 offset1:20
	v_pk_add_f32 v[68:69], v[68:69], v[136:137] neg_lo:[0,1] neg_hi:[0,1]
	s_wait_dscnt 0x0
	v_pk_mul_f32 v[136:137], v[132:133], v[124:125] op_sel:[0,1]
	s_delay_alu instid0(VALU_DEP_1) | instskip(SKIP_1) | instid1(VALU_DEP_1)
	v_pk_fma_f32 v[138:139], v[132:133], v[122:123], v[136:137] op_sel:[0,0,1] op_sel_hi:[1,1,0] neg_lo:[0,0,1] neg_hi:[0,0,1]
	v_pk_fma_f32 v[132:133], v[132:133], v[122:123], v[136:137] op_sel:[0,0,1] op_sel_hi:[1,0,0]
	v_mov_b32_e32 v139, v133
	v_pk_mul_f32 v[132:133], v[134:135], v[124:125] op_sel:[0,1]
	s_delay_alu instid0(VALU_DEP_1) | instskip(SKIP_1) | instid1(VALU_DEP_1)
	v_pk_fma_f32 v[136:137], v[134:135], v[122:123], v[132:133] op_sel:[0,0,1] op_sel_hi:[1,1,0] neg_lo:[0,0,1] neg_hi:[0,0,1]
	v_pk_fma_f32 v[132:133], v[134:135], v[122:123], v[132:133] op_sel:[0,0,1] op_sel_hi:[1,0,0]
	v_mov_b32_e32 v137, v133
	ds_load_2addr_b64 v[132:135], v126 offset0:21 offset1:22
	v_pk_add_f32 v[64:65], v[64:65], v[138:139] neg_lo:[0,1] neg_hi:[0,1]
	v_pk_add_f32 v[102:103], v[102:103], v[136:137] neg_lo:[0,1] neg_hi:[0,1]
	s_wait_dscnt 0x0
	v_pk_mul_f32 v[136:137], v[132:133], v[124:125] op_sel:[0,1]
	s_delay_alu instid0(VALU_DEP_1) | instskip(SKIP_1) | instid1(VALU_DEP_1)
	v_pk_fma_f32 v[138:139], v[132:133], v[122:123], v[136:137] op_sel:[0,0,1] op_sel_hi:[1,1,0] neg_lo:[0,0,1] neg_hi:[0,0,1]
	v_pk_fma_f32 v[132:133], v[132:133], v[122:123], v[136:137] op_sel:[0,0,1] op_sel_hi:[1,0,0]
	v_mov_b32_e32 v139, v133
	v_pk_mul_f32 v[132:133], v[134:135], v[124:125] op_sel:[0,1]
	s_delay_alu instid0(VALU_DEP_1) | instskip(SKIP_1) | instid1(VALU_DEP_1)
	v_pk_fma_f32 v[136:137], v[134:135], v[122:123], v[132:133] op_sel:[0,0,1] op_sel_hi:[1,1,0] neg_lo:[0,0,1] neg_hi:[0,0,1]
	v_pk_fma_f32 v[132:133], v[134:135], v[122:123], v[132:133] op_sel:[0,0,1] op_sel_hi:[1,0,0]
	v_mov_b32_e32 v137, v133
	ds_load_2addr_b64 v[132:135], v126 offset0:23 offset1:24
	v_pk_add_f32 v[58:59], v[58:59], v[138:139] neg_lo:[0,1] neg_hi:[0,1]
	v_pk_add_f32 v[62:63], v[62:63], v[136:137] neg_lo:[0,1] neg_hi:[0,1]
	s_wait_dscnt 0x0
	v_dual_mul_f32 v136, v133, v125 :: v_dual_mul_f32 v138, v133, v122
	s_delay_alu instid0(VALU_DEP_1) | instskip(NEXT) | instid1(VALU_DEP_2)
	v_pk_fma_f32 v[136:137], v[132:133], v[76:77], v[136:137] op_sel_hi:[1,1,0] neg_lo:[0,0,1] neg_hi:[0,0,1]
	v_pk_fma_f32 v[132:133], v[132:133], v[76:77], v[138:139] op_sel:[1,0,0] op_sel_hi:[0,1,0]
	s_delay_alu instid0(VALU_DEP_1) | instskip(SKIP_1) | instid1(VALU_DEP_2)
	v_mov_b32_e32 v137, v133
	v_pk_mul_f32 v[132:133], v[134:135], v[124:125] op_sel:[0,1]
	v_pk_add_f32 v[56:57], v[56:57], v[136:137] neg_lo:[0,1] neg_hi:[0,1]
	s_delay_alu instid0(VALU_DEP_2) | instskip(SKIP_1) | instid1(VALU_DEP_1)
	v_pk_fma_f32 v[136:137], v[134:135], v[122:123], v[132:133] op_sel:[0,0,1] op_sel_hi:[1,1,0] neg_lo:[0,0,1] neg_hi:[0,0,1]
	v_pk_fma_f32 v[132:133], v[134:135], v[122:123], v[132:133] op_sel:[0,0,1] op_sel_hi:[1,0,0]
	v_mov_b32_e32 v137, v133
	ds_load_2addr_b64 v[132:135], v126 offset0:25 offset1:26
	v_pk_add_f32 v[100:101], v[100:101], v[136:137] neg_lo:[0,1] neg_hi:[0,1]
	s_wait_dscnt 0x0
	v_pk_mul_f32 v[136:137], v[132:133], v[124:125] op_sel:[0,1]
	s_delay_alu instid0(VALU_DEP_1) | instskip(SKIP_1) | instid1(VALU_DEP_1)
	v_pk_fma_f32 v[138:139], v[132:133], v[122:123], v[136:137] op_sel:[0,0,1] op_sel_hi:[1,1,0] neg_lo:[0,0,1] neg_hi:[0,0,1]
	v_pk_fma_f32 v[132:133], v[132:133], v[122:123], v[136:137] op_sel:[0,0,1] op_sel_hi:[1,0,0]
	v_mov_b32_e32 v139, v133
	v_pk_mul_f32 v[132:133], v[134:135], v[124:125] op_sel:[0,1]
	s_delay_alu instid0(VALU_DEP_2) | instskip(NEXT) | instid1(VALU_DEP_2)
	v_pk_add_f32 v[52:53], v[52:53], v[138:139] neg_lo:[0,1] neg_hi:[0,1]
	v_pk_fma_f32 v[136:137], v[134:135], v[122:123], v[132:133] op_sel:[0,0,1] op_sel_hi:[1,1,0] neg_lo:[0,0,1] neg_hi:[0,0,1]
	v_pk_fma_f32 v[132:133], v[134:135], v[122:123], v[132:133] op_sel:[0,0,1] op_sel_hi:[1,0,0]
	s_delay_alu instid0(VALU_DEP_1) | instskip(SKIP_4) | instid1(VALU_DEP_1)
	v_mov_b32_e32 v137, v133
	ds_load_2addr_b64 v[132:135], v126 offset0:27 offset1:28
	v_pk_add_f32 v[54:55], v[54:55], v[136:137] neg_lo:[0,1] neg_hi:[0,1]
	s_wait_dscnt 0x0
	v_pk_mul_f32 v[136:137], v[132:133], v[124:125] op_sel:[0,1]
	v_pk_fma_f32 v[138:139], v[132:133], v[122:123], v[136:137] op_sel:[0,0,1] op_sel_hi:[1,1,0] neg_lo:[0,0,1] neg_hi:[0,0,1]
	v_pk_fma_f32 v[132:133], v[132:133], v[122:123], v[136:137] op_sel:[0,0,1] op_sel_hi:[1,0,0]
	v_dual_mul_f32 v136, v135, v125 :: v_dual_mov_b32 v132, v135
	s_delay_alu instid0(VALU_DEP_2) | instskip(NEXT) | instid1(VALU_DEP_2)
	v_dual_mov_b32 v139, v133 :: v_dual_mov_b32 v133, v134
	v_pk_fma_f32 v[136:137], v[134:135], v[76:77], v[136:137] op_sel_hi:[1,1,0] neg_lo:[0,0,1] neg_hi:[0,0,1]
	v_mul_f32_e32 v134, v135, v122
	s_delay_alu instid0(VALU_DEP_3) | instskip(NEXT) | instid1(VALU_DEP_2)
	v_pk_add_f32 v[50:51], v[50:51], v[138:139] neg_lo:[0,1] neg_hi:[0,1]
	v_pk_fma_f32 v[132:133], v[132:133], v[76:77], v[134:135] op_sel_hi:[1,1,0]
	s_delay_alu instid0(VALU_DEP_1) | instskip(SKIP_4) | instid1(VALU_DEP_1)
	v_mov_b32_e32 v137, v133
	ds_load_2addr_b64 v[132:135], v126 offset0:29 offset1:30
	v_pk_add_f32 v[96:97], v[96:97], v[136:137] neg_lo:[0,1] neg_hi:[0,1]
	s_wait_dscnt 0x0
	v_pk_mul_f32 v[136:137], v[132:133], v[124:125] op_sel:[0,1]
	v_pk_fma_f32 v[138:139], v[132:133], v[122:123], v[136:137] op_sel:[0,0,1] op_sel_hi:[1,1,0] neg_lo:[0,0,1] neg_hi:[0,0,1]
	v_pk_fma_f32 v[132:133], v[132:133], v[122:123], v[136:137] op_sel:[0,0,1] op_sel_hi:[1,0,0]
	s_delay_alu instid0(VALU_DEP_1) | instskip(SKIP_1) | instid1(VALU_DEP_1)
	v_mov_b32_e32 v139, v133
	v_pk_mul_f32 v[132:133], v[134:135], v[124:125] op_sel:[0,1]
	v_pk_fma_f32 v[136:137], v[134:135], v[122:123], v[132:133] op_sel:[0,0,1] op_sel_hi:[1,1,0] neg_lo:[0,0,1] neg_hi:[0,0,1]
	v_pk_fma_f32 v[132:133], v[134:135], v[122:123], v[132:133] op_sel:[0,0,1] op_sel_hi:[1,0,0]
	s_delay_alu instid0(VALU_DEP_1)
	v_mov_b32_e32 v137, v133
	ds_load_2addr_b64 v[132:135], v126 offset0:31 offset1:32
	v_pk_add_f32 v[46:47], v[46:47], v[138:139] neg_lo:[0,1] neg_hi:[0,1]
	v_pk_add_f32 v[48:49], v[48:49], v[136:137] neg_lo:[0,1] neg_hi:[0,1]
	s_wait_dscnt 0x0
	v_pk_mul_f32 v[136:137], v[132:133], v[124:125] op_sel:[0,1]
	s_delay_alu instid0(VALU_DEP_1) | instskip(SKIP_1) | instid1(VALU_DEP_1)
	v_pk_fma_f32 v[138:139], v[132:133], v[122:123], v[136:137] op_sel:[0,0,1] op_sel_hi:[1,1,0] neg_lo:[0,0,1] neg_hi:[0,0,1]
	v_pk_fma_f32 v[132:133], v[132:133], v[122:123], v[136:137] op_sel:[0,0,1] op_sel_hi:[1,0,0]
	v_mov_b32_e32 v139, v133
	v_pk_mul_f32 v[132:133], v[134:135], v[124:125] op_sel:[0,1]
	s_delay_alu instid0(VALU_DEP_1) | instskip(SKIP_1) | instid1(VALU_DEP_1)
	v_pk_fma_f32 v[136:137], v[134:135], v[122:123], v[132:133] op_sel:[0,0,1] op_sel_hi:[1,1,0] neg_lo:[0,0,1] neg_hi:[0,0,1]
	v_pk_fma_f32 v[132:133], v[134:135], v[122:123], v[132:133] op_sel:[0,0,1] op_sel_hi:[1,0,0]
	v_mov_b32_e32 v137, v133
	ds_load_2addr_b64 v[132:135], v126 offset0:33 offset1:34
	v_pk_add_f32 v[44:45], v[44:45], v[138:139] neg_lo:[0,1] neg_hi:[0,1]
	v_pk_add_f32 v[94:95], v[94:95], v[136:137] neg_lo:[0,1] neg_hi:[0,1]
	s_wait_dscnt 0x0
	v_dual_mul_f32 v136, v133, v125 :: v_dual_mul_f32 v138, v133, v122
	s_delay_alu instid0(VALU_DEP_1) | instskip(NEXT) | instid1(VALU_DEP_2)
	v_pk_fma_f32 v[136:137], v[132:133], v[76:77], v[136:137] op_sel_hi:[1,1,0] neg_lo:[0,0,1] neg_hi:[0,0,1]
	v_pk_fma_f32 v[132:133], v[132:133], v[76:77], v[138:139] op_sel:[1,0,0] op_sel_hi:[0,1,0]
	s_delay_alu instid0(VALU_DEP_1) | instskip(SKIP_1) | instid1(VALU_DEP_2)
	v_mov_b32_e32 v137, v133
	v_pk_mul_f32 v[132:133], v[134:135], v[124:125] op_sel:[0,1]
	v_pk_add_f32 v[38:39], v[38:39], v[136:137] neg_lo:[0,1] neg_hi:[0,1]
	s_delay_alu instid0(VALU_DEP_2) | instskip(SKIP_1) | instid1(VALU_DEP_1)
	v_pk_fma_f32 v[136:137], v[134:135], v[122:123], v[132:133] op_sel:[0,0,1] op_sel_hi:[1,1,0] neg_lo:[0,0,1] neg_hi:[0,0,1]
	v_pk_fma_f32 v[132:133], v[134:135], v[122:123], v[132:133] op_sel:[0,0,1] op_sel_hi:[1,0,0]
	v_mov_b32_e32 v137, v133
	ds_load_2addr_b64 v[132:135], v126 offset0:35 offset1:36
	v_pk_add_f32 v[40:41], v[40:41], v[136:137] neg_lo:[0,1] neg_hi:[0,1]
	s_wait_dscnt 0x0
	v_pk_mul_f32 v[136:137], v[132:133], v[124:125] op_sel:[0,1]
	s_delay_alu instid0(VALU_DEP_1) | instskip(SKIP_1) | instid1(VALU_DEP_1)
	v_pk_fma_f32 v[138:139], v[132:133], v[122:123], v[136:137] op_sel:[0,0,1] op_sel_hi:[1,1,0] neg_lo:[0,0,1] neg_hi:[0,0,1]
	v_pk_fma_f32 v[132:133], v[132:133], v[122:123], v[136:137] op_sel:[0,0,1] op_sel_hi:[1,0,0]
	v_mov_b32_e32 v139, v133
	v_pk_mul_f32 v[132:133], v[134:135], v[124:125] op_sel:[0,1]
	s_delay_alu instid0(VALU_DEP_2) | instskip(NEXT) | instid1(VALU_DEP_2)
	v_pk_add_f32 v[36:37], v[36:37], v[138:139] neg_lo:[0,1] neg_hi:[0,1]
	v_pk_fma_f32 v[136:137], v[134:135], v[122:123], v[132:133] op_sel:[0,0,1] op_sel_hi:[1,1,0] neg_lo:[0,0,1] neg_hi:[0,0,1]
	v_pk_fma_f32 v[132:133], v[134:135], v[122:123], v[132:133] op_sel:[0,0,1] op_sel_hi:[1,0,0]
	s_delay_alu instid0(VALU_DEP_1) | instskip(SKIP_4) | instid1(VALU_DEP_1)
	v_mov_b32_e32 v137, v133
	ds_load_2addr_b64 v[132:135], v126 offset0:37 offset1:38
	v_pk_add_f32 v[92:93], v[92:93], v[136:137] neg_lo:[0,1] neg_hi:[0,1]
	s_wait_dscnt 0x0
	v_pk_mul_f32 v[136:137], v[132:133], v[124:125] op_sel:[0,1]
	v_pk_fma_f32 v[138:139], v[132:133], v[122:123], v[136:137] op_sel:[0,0,1] op_sel_hi:[1,1,0] neg_lo:[0,0,1] neg_hi:[0,0,1]
	v_pk_fma_f32 v[132:133], v[132:133], v[122:123], v[136:137] op_sel:[0,0,1] op_sel_hi:[1,0,0]
	v_dual_mul_f32 v136, v135, v125 :: v_dual_mov_b32 v132, v135
	s_delay_alu instid0(VALU_DEP_2) | instskip(NEXT) | instid1(VALU_DEP_2)
	v_dual_mov_b32 v139, v133 :: v_dual_mov_b32 v133, v134
	v_pk_fma_f32 v[136:137], v[134:135], v[76:77], v[136:137] op_sel_hi:[1,1,0] neg_lo:[0,0,1] neg_hi:[0,0,1]
	v_mul_f32_e32 v134, v135, v122
	s_delay_alu instid0(VALU_DEP_3) | instskip(NEXT) | instid1(VALU_DEP_2)
	v_pk_add_f32 v[32:33], v[32:33], v[138:139] neg_lo:[0,1] neg_hi:[0,1]
	v_pk_fma_f32 v[132:133], v[132:133], v[76:77], v[134:135] op_sel_hi:[1,1,0]
	s_delay_alu instid0(VALU_DEP_1) | instskip(SKIP_4) | instid1(VALU_DEP_1)
	v_mov_b32_e32 v137, v133
	ds_load_2addr_b64 v[132:135], v126 offset0:39 offset1:40
	v_pk_add_f32 v[34:35], v[34:35], v[136:137] neg_lo:[0,1] neg_hi:[0,1]
	s_wait_dscnt 0x0
	v_pk_mul_f32 v[136:137], v[132:133], v[124:125] op_sel:[0,1]
	v_pk_fma_f32 v[138:139], v[132:133], v[122:123], v[136:137] op_sel:[0,0,1] op_sel_hi:[1,1,0] neg_lo:[0,0,1] neg_hi:[0,0,1]
	v_pk_fma_f32 v[132:133], v[132:133], v[122:123], v[136:137] op_sel:[0,0,1] op_sel_hi:[1,0,0]
	s_delay_alu instid0(VALU_DEP_1) | instskip(SKIP_1) | instid1(VALU_DEP_1)
	v_mov_b32_e32 v139, v133
	v_pk_mul_f32 v[132:133], v[134:135], v[124:125] op_sel:[0,1]
	v_pk_fma_f32 v[136:137], v[134:135], v[122:123], v[132:133] op_sel:[0,0,1] op_sel_hi:[1,1,0] neg_lo:[0,0,1] neg_hi:[0,0,1]
	v_pk_fma_f32 v[132:133], v[134:135], v[122:123], v[132:133] op_sel:[0,0,1] op_sel_hi:[1,0,0]
	s_delay_alu instid0(VALU_DEP_1)
	v_mov_b32_e32 v137, v133
	ds_load_2addr_b64 v[132:135], v126 offset0:41 offset1:42
	v_pk_add_f32 v[30:31], v[30:31], v[138:139] neg_lo:[0,1] neg_hi:[0,1]
	v_pk_add_f32 v[90:91], v[90:91], v[136:137] neg_lo:[0,1] neg_hi:[0,1]
	s_wait_dscnt 0x0
	v_pk_mul_f32 v[136:137], v[132:133], v[124:125] op_sel:[0,1]
	s_delay_alu instid0(VALU_DEP_1) | instskip(SKIP_1) | instid1(VALU_DEP_1)
	v_pk_fma_f32 v[138:139], v[132:133], v[122:123], v[136:137] op_sel:[0,0,1] op_sel_hi:[1,1,0] neg_lo:[0,0,1] neg_hi:[0,0,1]
	v_pk_fma_f32 v[132:133], v[132:133], v[122:123], v[136:137] op_sel:[0,0,1] op_sel_hi:[1,0,0]
	v_mov_b32_e32 v139, v133
	v_pk_mul_f32 v[132:133], v[134:135], v[124:125] op_sel:[0,1]
	s_delay_alu instid0(VALU_DEP_1) | instskip(SKIP_1) | instid1(VALU_DEP_1)
	v_pk_fma_f32 v[136:137], v[134:135], v[122:123], v[132:133] op_sel:[0,0,1] op_sel_hi:[1,1,0] neg_lo:[0,0,1] neg_hi:[0,0,1]
	v_pk_fma_f32 v[132:133], v[134:135], v[122:123], v[132:133] op_sel:[0,0,1] op_sel_hi:[1,0,0]
	v_mov_b32_e32 v137, v133
	ds_load_2addr_b64 v[132:135], v126 offset0:43 offset1:44
	v_pk_add_f32 v[24:25], v[24:25], v[138:139] neg_lo:[0,1] neg_hi:[0,1]
	v_pk_add_f32 v[26:27], v[26:27], v[136:137] neg_lo:[0,1] neg_hi:[0,1]
	s_wait_dscnt 0x0
	v_dual_mul_f32 v136, v133, v125 :: v_dual_mul_f32 v138, v133, v122
	s_delay_alu instid0(VALU_DEP_1) | instskip(NEXT) | instid1(VALU_DEP_2)
	v_pk_fma_f32 v[136:137], v[132:133], v[76:77], v[136:137] op_sel_hi:[1,1,0] neg_lo:[0,0,1] neg_hi:[0,0,1]
	v_pk_fma_f32 v[132:133], v[132:133], v[76:77], v[138:139] op_sel:[1,0,0] op_sel_hi:[0,1,0]
	s_delay_alu instid0(VALU_DEP_1) | instskip(SKIP_1) | instid1(VALU_DEP_2)
	v_mov_b32_e32 v137, v133
	v_pk_mul_f32 v[132:133], v[134:135], v[124:125] op_sel:[0,1]
	v_pk_add_f32 v[22:23], v[22:23], v[136:137] neg_lo:[0,1] neg_hi:[0,1]
	s_delay_alu instid0(VALU_DEP_2) | instskip(SKIP_1) | instid1(VALU_DEP_1)
	v_pk_fma_f32 v[136:137], v[134:135], v[122:123], v[132:133] op_sel:[0,0,1] op_sel_hi:[1,1,0] neg_lo:[0,0,1] neg_hi:[0,0,1]
	v_pk_fma_f32 v[132:133], v[134:135], v[122:123], v[132:133] op_sel:[0,0,1] op_sel_hi:[1,0,0]
	v_mov_b32_e32 v137, v133
	ds_load_2addr_b64 v[132:135], v126 offset0:45 offset1:46
	v_pk_add_f32 v[88:89], v[88:89], v[136:137] neg_lo:[0,1] neg_hi:[0,1]
	s_wait_dscnt 0x0
	v_pk_mul_f32 v[136:137], v[132:133], v[124:125] op_sel:[0,1]
	s_delay_alu instid0(VALU_DEP_1) | instskip(SKIP_1) | instid1(VALU_DEP_1)
	v_pk_fma_f32 v[138:139], v[132:133], v[122:123], v[136:137] op_sel:[0,0,1] op_sel_hi:[1,1,0] neg_lo:[0,0,1] neg_hi:[0,0,1]
	v_pk_fma_f32 v[132:133], v[132:133], v[122:123], v[136:137] op_sel:[0,0,1] op_sel_hi:[1,0,0]
	v_mov_b32_e32 v139, v133
	v_pk_mul_f32 v[132:133], v[134:135], v[124:125] op_sel:[0,1]
	s_delay_alu instid0(VALU_DEP_2) | instskip(NEXT) | instid1(VALU_DEP_2)
	v_pk_add_f32 v[18:19], v[18:19], v[138:139] neg_lo:[0,1] neg_hi:[0,1]
	v_pk_fma_f32 v[136:137], v[134:135], v[122:123], v[132:133] op_sel:[0,0,1] op_sel_hi:[1,1,0] neg_lo:[0,0,1] neg_hi:[0,0,1]
	v_pk_fma_f32 v[132:133], v[134:135], v[122:123], v[132:133] op_sel:[0,0,1] op_sel_hi:[1,0,0]
	s_delay_alu instid0(VALU_DEP_1) | instskip(SKIP_4) | instid1(VALU_DEP_1)
	v_mov_b32_e32 v137, v133
	ds_load_2addr_b64 v[132:135], v126 offset0:47 offset1:48
	v_pk_add_f32 v[20:21], v[20:21], v[136:137] neg_lo:[0,1] neg_hi:[0,1]
	s_wait_dscnt 0x0
	v_pk_mul_f32 v[136:137], v[132:133], v[124:125] op_sel:[0,1]
	v_pk_fma_f32 v[138:139], v[132:133], v[122:123], v[136:137] op_sel:[0,0,1] op_sel_hi:[1,1,0] neg_lo:[0,0,1] neg_hi:[0,0,1]
	v_pk_fma_f32 v[132:133], v[132:133], v[122:123], v[136:137] op_sel:[0,0,1] op_sel_hi:[1,0,0]
	v_dual_mul_f32 v136, v135, v125 :: v_dual_mov_b32 v132, v135
	s_delay_alu instid0(VALU_DEP_2) | instskip(NEXT) | instid1(VALU_DEP_2)
	v_dual_mov_b32 v139, v133 :: v_dual_mov_b32 v133, v134
	v_pk_fma_f32 v[136:137], v[134:135], v[76:77], v[136:137] op_sel_hi:[1,1,0] neg_lo:[0,0,1] neg_hi:[0,0,1]
	v_mul_f32_e32 v134, v135, v122
	s_delay_alu instid0(VALU_DEP_3) | instskip(NEXT) | instid1(VALU_DEP_2)
	v_pk_add_f32 v[16:17], v[16:17], v[138:139] neg_lo:[0,1] neg_hi:[0,1]
	v_pk_fma_f32 v[132:133], v[132:133], v[76:77], v[134:135] op_sel_hi:[1,1,0]
	s_delay_alu instid0(VALU_DEP_1) | instskip(SKIP_4) | instid1(VALU_DEP_1)
	v_mov_b32_e32 v137, v133
	ds_load_2addr_b64 v[132:135], v126 offset0:49 offset1:50
	v_pk_add_f32 v[84:85], v[84:85], v[136:137] neg_lo:[0,1] neg_hi:[0,1]
	s_wait_dscnt 0x0
	v_pk_mul_f32 v[136:137], v[132:133], v[124:125] op_sel:[0,1]
	v_pk_fma_f32 v[138:139], v[132:133], v[122:123], v[136:137] op_sel:[0,0,1] op_sel_hi:[1,1,0] neg_lo:[0,0,1] neg_hi:[0,0,1]
	v_pk_fma_f32 v[132:133], v[132:133], v[122:123], v[136:137] op_sel:[0,0,1] op_sel_hi:[1,0,0]
	s_delay_alu instid0(VALU_DEP_1) | instskip(SKIP_1) | instid1(VALU_DEP_1)
	v_mov_b32_e32 v139, v133
	v_pk_mul_f32 v[132:133], v[134:135], v[124:125] op_sel:[0,1]
	v_pk_fma_f32 v[136:137], v[134:135], v[122:123], v[132:133] op_sel:[0,0,1] op_sel_hi:[1,1,0] neg_lo:[0,0,1] neg_hi:[0,0,1]
	v_pk_fma_f32 v[132:133], v[134:135], v[122:123], v[132:133] op_sel:[0,0,1] op_sel_hi:[1,0,0]
	s_delay_alu instid0(VALU_DEP_1)
	v_mov_b32_e32 v137, v133
	ds_load_2addr_b64 v[132:135], v126 offset0:51 offset1:52
	v_pk_add_f32 v[10:11], v[10:11], v[138:139] neg_lo:[0,1] neg_hi:[0,1]
	v_pk_add_f32 v[12:13], v[12:13], v[136:137] neg_lo:[0,1] neg_hi:[0,1]
	s_wait_dscnt 0x0
	v_pk_mul_f32 v[136:137], v[132:133], v[124:125] op_sel:[0,1]
	s_delay_alu instid0(VALU_DEP_1) | instskip(SKIP_1) | instid1(VALU_DEP_1)
	v_pk_fma_f32 v[138:139], v[132:133], v[122:123], v[136:137] op_sel:[0,0,1] op_sel_hi:[1,1,0] neg_lo:[0,0,1] neg_hi:[0,0,1]
	v_pk_fma_f32 v[132:133], v[132:133], v[122:123], v[136:137] op_sel:[0,0,1] op_sel_hi:[1,0,0]
	v_mov_b32_e32 v139, v133
	v_pk_mul_f32 v[132:133], v[134:135], v[124:125] op_sel:[0,1]
	s_delay_alu instid0(VALU_DEP_1) | instskip(SKIP_1) | instid1(VALU_DEP_1)
	v_pk_fma_f32 v[136:137], v[134:135], v[122:123], v[132:133] op_sel:[0,0,1] op_sel_hi:[1,1,0] neg_lo:[0,0,1] neg_hi:[0,0,1]
	v_pk_fma_f32 v[132:133], v[134:135], v[122:123], v[132:133] op_sel:[0,0,1] op_sel_hi:[1,0,0]
	v_mov_b32_e32 v137, v133
	ds_load_2addr_b64 v[132:135], v126 offset0:53 offset1:54
	v_pk_add_f32 v[8:9], v[8:9], v[138:139] neg_lo:[0,1] neg_hi:[0,1]
	v_pk_add_f32 v[60:61], v[60:61], v[136:137] neg_lo:[0,1] neg_hi:[0,1]
	s_wait_dscnt 0x0
	v_dual_mul_f32 v136, v133, v125 :: v_dual_mul_f32 v138, v133, v122
	s_delay_alu instid0(VALU_DEP_1) | instskip(NEXT) | instid1(VALU_DEP_2)
	v_pk_fma_f32 v[136:137], v[132:133], v[76:77], v[136:137] op_sel_hi:[1,1,0] neg_lo:[0,0,1] neg_hi:[0,0,1]
	v_pk_fma_f32 v[132:133], v[132:133], v[76:77], v[138:139] op_sel:[1,0,0] op_sel_hi:[0,1,0]
	s_delay_alu instid0(VALU_DEP_1) | instskip(SKIP_1) | instid1(VALU_DEP_2)
	v_mov_b32_e32 v137, v133
	v_pk_mul_f32 v[132:133], v[134:135], v[124:125] op_sel:[0,1]
	v_pk_add_f32 v[6:7], v[6:7], v[136:137] neg_lo:[0,1] neg_hi:[0,1]
	s_delay_alu instid0(VALU_DEP_2) | instskip(SKIP_1) | instid1(VALU_DEP_1)
	v_pk_fma_f32 v[136:137], v[134:135], v[122:123], v[132:133] op_sel:[0,0,1] op_sel_hi:[1,1,0] neg_lo:[0,0,1] neg_hi:[0,0,1]
	v_pk_fma_f32 v[132:133], v[134:135], v[122:123], v[132:133] op_sel:[0,0,1] op_sel_hi:[1,0,0]
	v_mov_b32_e32 v137, v133
	ds_load_2addr_b64 v[132:135], v126 offset0:55 offset1:56
	v_pk_add_f32 v[42:43], v[42:43], v[136:137] neg_lo:[0,1] neg_hi:[0,1]
	s_wait_dscnt 0x0
	v_pk_mul_f32 v[136:137], v[132:133], v[124:125] op_sel:[0,1]
	s_delay_alu instid0(VALU_DEP_1) | instskip(SKIP_1) | instid1(VALU_DEP_1)
	v_pk_fma_f32 v[138:139], v[132:133], v[122:123], v[136:137] op_sel:[0,0,1] op_sel_hi:[1,1,0] neg_lo:[0,0,1] neg_hi:[0,0,1]
	v_pk_fma_f32 v[132:133], v[132:133], v[122:123], v[136:137] op_sel:[0,0,1] op_sel_hi:[1,0,0]
	v_mov_b32_e32 v139, v133
	v_pk_mul_f32 v[132:133], v[134:135], v[124:125] op_sel:[0,1]
	s_delay_alu instid0(VALU_DEP_2) | instskip(NEXT) | instid1(VALU_DEP_2)
	v_pk_add_f32 v[28:29], v[28:29], v[138:139] neg_lo:[0,1] neg_hi:[0,1]
	v_pk_fma_f32 v[136:137], v[134:135], v[122:123], v[132:133] op_sel:[0,0,1] op_sel_hi:[1,1,0] neg_lo:[0,0,1] neg_hi:[0,0,1]
	v_pk_fma_f32 v[132:133], v[134:135], v[122:123], v[132:133] op_sel:[0,0,1] op_sel_hi:[1,0,0]
	s_delay_alu instid0(VALU_DEP_1) | instskip(SKIP_4) | instid1(VALU_DEP_1)
	v_mov_b32_e32 v137, v133
	ds_load_b64 v[132:133], v126 offset:456
	v_pk_add_f32 v[14:15], v[14:15], v[136:137] neg_lo:[0,1] neg_hi:[0,1]
	s_wait_dscnt 0x0
	v_pk_mul_f32 v[124:125], v[132:133], v[124:125] op_sel:[0,1]
	v_pk_fma_f32 v[134:135], v[132:133], v[122:123], v[124:125] op_sel:[0,0,1] op_sel_hi:[1,1,0] neg_lo:[0,0,1] neg_hi:[0,0,1]
	v_pk_fma_f32 v[122:123], v[132:133], v[122:123], v[124:125] op_sel:[0,0,1] op_sel_hi:[1,0,0]
	s_delay_alu instid0(VALU_DEP_1) | instskip(NEXT) | instid1(VALU_DEP_1)
	v_mov_b32_e32 v135, v123
	v_pk_add_f32 v[120:121], v[120:121], v[134:135] neg_lo:[0,1] neg_hi:[0,1]
.LBB114_314:
	s_or_b32 exec_lo, exec_lo, s0
	v_lshl_add_u32 v122, v130, 3, v126
	s_barrier_signal -1
	s_barrier_wait -1
	ds_store_b64 v122, v[72:73]
	s_wait_dscnt 0x0
	s_barrier_signal -1
	s_barrier_wait -1
	ds_load_b64 v[124:125], v126 offset:120
	v_mov_b32_e32 v122, 15
	s_cmp_lt_i32 s18, 17
	s_cbranch_scc1 .LBB114_317
; %bb.315:
	v_add3_u32 v123, v127, 0, 0x80
	v_mov_b32_e32 v122, 15
	s_mov_b32 s0, 16
.LBB114_316:                            ; =>This Inner Loop Header: Depth=1
	ds_load_b64 v[132:133], v123
	s_wait_dscnt 0x1
	v_cmp_gt_f32_e32 vcc_lo, 0, v124
	v_cndmask_b32_e64 v134, v124, -v124, vcc_lo
	v_cmp_gt_f32_e32 vcc_lo, 0, v125
	v_cndmask_b32_e64 v136, v125, -v125, vcc_lo
	s_wait_dscnt 0x0
	v_cmp_gt_f32_e32 vcc_lo, 0, v132
	v_cndmask_b32_e64 v135, v132, -v132, vcc_lo
	v_cmp_gt_f32_e32 vcc_lo, 0, v133
	v_cndmask_b32_e64 v137, v133, -v133, vcc_lo
	s_delay_alu instid0(VALU_DEP_1) | instskip(NEXT) | instid1(VALU_DEP_1)
	v_pk_add_f32 v[134:135], v[134:135], v[136:137]
	v_cmp_lt_f32_e32 vcc_lo, v134, v135
	v_dual_add_nc_u32 v123, 8, v123 :: v_dual_cndmask_b32 v125, v125, v133, vcc_lo
	v_cndmask_b32_e32 v124, v124, v132, vcc_lo
	v_cndmask_b32_e64 v122, v122, s0, vcc_lo
	s_add_co_i32 s0, s0, 1
	s_delay_alu instid0(SALU_CYCLE_1)
	s_cmp_lg_u32 s18, s0
	s_cbranch_scc1 .LBB114_316
.LBB114_317:
	s_wait_dscnt 0x0
	v_cmp_eq_f32_e32 vcc_lo, 0, v124
	v_cmp_eq_f32_e64 s0, 0, v125
	s_and_b32 s0, vcc_lo, s0
	s_delay_alu instid0(SALU_CYCLE_1) | instskip(NEXT) | instid1(SALU_CYCLE_1)
	s_and_saveexec_b32 s1, s0
	s_xor_b32 s0, exec_lo, s1
; %bb.318:
	v_cmp_ne_u32_e32 vcc_lo, 0, v128
	v_cndmask_b32_e32 v128, 16, v128, vcc_lo
; %bb.319:
	s_and_not1_saveexec_b32 s0, s0
	s_cbranch_execz .LBB114_325
; %bb.320:
	v_cmp_ngt_f32_e64 s1, |v124|, |v125|
	s_and_saveexec_b32 s12, s1
	s_delay_alu instid0(SALU_CYCLE_1)
	s_xor_b32 s1, exec_lo, s12
	s_cbranch_execz .LBB114_322
; %bb.321:
	v_div_scale_f32 v123, null, v125, v125, v124
	v_div_scale_f32 v133, vcc_lo, v124, v125, v124
	s_delay_alu instid0(VALU_DEP_2) | instskip(SKIP_1) | instid1(TRANS32_DEP_1)
	v_rcp_f32_e32 v131, v123
	v_nop
	v_fma_f32 v132, -v123, v131, 1.0
	s_delay_alu instid0(VALU_DEP_1) | instskip(NEXT) | instid1(VALU_DEP_1)
	v_fmac_f32_e32 v131, v132, v131
	v_mul_f32_e32 v132, v133, v131
	s_delay_alu instid0(VALU_DEP_1) | instskip(NEXT) | instid1(VALU_DEP_1)
	v_fma_f32 v134, -v123, v132, v133
	v_fmac_f32_e32 v132, v134, v131
	s_delay_alu instid0(VALU_DEP_1) | instskip(NEXT) | instid1(VALU_DEP_1)
	v_fma_f32 v123, -v123, v132, v133
	v_div_fmas_f32 v123, v123, v131, v132
	s_delay_alu instid0(VALU_DEP_1) | instskip(NEXT) | instid1(VALU_DEP_1)
	v_div_fixup_f32 v123, v123, v125, v124
	v_fmac_f32_e32 v125, v124, v123
	s_delay_alu instid0(VALU_DEP_1) | instskip(SKIP_1) | instid1(VALU_DEP_2)
	v_div_scale_f32 v124, null, v125, v125, 1.0
	v_div_scale_f32 v133, vcc_lo, 1.0, v125, 1.0
	v_rcp_f32_e32 v131, v124
	v_nop
	s_delay_alu instid0(TRANS32_DEP_1) | instskip(NEXT) | instid1(VALU_DEP_1)
	v_fma_f32 v132, -v124, v131, 1.0
	v_fmac_f32_e32 v131, v132, v131
	s_delay_alu instid0(VALU_DEP_1) | instskip(NEXT) | instid1(VALU_DEP_1)
	v_mul_f32_e32 v132, v133, v131
	v_fma_f32 v134, -v124, v132, v133
	s_delay_alu instid0(VALU_DEP_1) | instskip(NEXT) | instid1(VALU_DEP_1)
	v_fmac_f32_e32 v132, v134, v131
	v_fma_f32 v124, -v124, v132, v133
	s_delay_alu instid0(VALU_DEP_1) | instskip(NEXT) | instid1(VALU_DEP_1)
	v_div_fmas_f32 v124, v124, v131, v132
	v_div_fixup_f32 v125, v124, v125, 1.0
	s_delay_alu instid0(VALU_DEP_1)
	v_mul_f32_e32 v124, v123, v125
	v_xor_b32_e32 v125, 0x80000000, v125
.LBB114_322:
	s_and_not1_saveexec_b32 s1, s1
	s_cbranch_execz .LBB114_324
; %bb.323:
	s_delay_alu instid0(VALU_DEP_1) | instskip(SKIP_1) | instid1(VALU_DEP_2)
	v_div_scale_f32 v123, null, v124, v124, v125
	v_div_scale_f32 v133, vcc_lo, v125, v124, v125
	v_rcp_f32_e32 v131, v123
	v_nop
	s_delay_alu instid0(TRANS32_DEP_1) | instskip(NEXT) | instid1(VALU_DEP_1)
	v_fma_f32 v132, -v123, v131, 1.0
	v_fmac_f32_e32 v131, v132, v131
	s_delay_alu instid0(VALU_DEP_1) | instskip(NEXT) | instid1(VALU_DEP_1)
	v_mul_f32_e32 v132, v133, v131
	v_fma_f32 v134, -v123, v132, v133
	s_delay_alu instid0(VALU_DEP_1) | instskip(NEXT) | instid1(VALU_DEP_1)
	v_fmac_f32_e32 v132, v134, v131
	v_fma_f32 v123, -v123, v132, v133
	s_delay_alu instid0(VALU_DEP_1) | instskip(NEXT) | instid1(VALU_DEP_1)
	v_div_fmas_f32 v123, v123, v131, v132
	v_div_fixup_f32 v123, v123, v124, v125
	s_delay_alu instid0(VALU_DEP_1) | instskip(NEXT) | instid1(VALU_DEP_1)
	v_fmac_f32_e32 v124, v125, v123
	v_div_scale_f32 v125, null, v124, v124, 1.0
	s_delay_alu instid0(VALU_DEP_1) | instskip(SKIP_1) | instid1(TRANS32_DEP_1)
	v_rcp_f32_e32 v131, v125
	v_nop
	v_fma_f32 v132, -v125, v131, 1.0
	s_delay_alu instid0(VALU_DEP_1) | instskip(SKIP_1) | instid1(VALU_DEP_1)
	v_fmac_f32_e32 v131, v132, v131
	v_div_scale_f32 v132, vcc_lo, 1.0, v124, 1.0
	v_mul_f32_e32 v133, v132, v131
	s_delay_alu instid0(VALU_DEP_1) | instskip(NEXT) | instid1(VALU_DEP_1)
	v_fma_f32 v134, -v125, v133, v132
	v_fmac_f32_e32 v133, v134, v131
	s_delay_alu instid0(VALU_DEP_1) | instskip(NEXT) | instid1(VALU_DEP_1)
	v_fma_f32 v125, -v125, v133, v132
	v_div_fmas_f32 v125, v125, v131, v133
	s_delay_alu instid0(VALU_DEP_1) | instskip(NEXT) | instid1(VALU_DEP_1)
	v_div_fixup_f32 v124, v125, v124, 1.0
	v_mul_f32_e64 v125, v123, -v124
.LBB114_324:
	s_or_b32 exec_lo, exec_lo, s1
.LBB114_325:
	s_delay_alu instid0(SALU_CYCLE_1) | instskip(NEXT) | instid1(SALU_CYCLE_1)
	s_or_b32 exec_lo, exec_lo, s0
	s_mov_b32 s0, exec_lo
	v_cmpx_ne_u32_e64 v130, v122
	s_xor_b32 s0, exec_lo, s0
	s_cbranch_execz .LBB114_331
; %bb.326:
	s_mov_b32 s1, exec_lo
	v_cmpx_eq_u32_e32 15, v130
	s_cbranch_execz .LBB114_330
; %bb.327:
	v_cmp_ne_u32_e32 vcc_lo, 15, v122
	s_xor_b32 s12, s16, -1
	s_delay_alu instid0(SALU_CYCLE_1) | instskip(NEXT) | instid1(SALU_CYCLE_1)
	s_and_b32 s13, s12, vcc_lo
	s_and_saveexec_b32 s12, s13
	s_cbranch_execz .LBB114_329
; %bb.328:
	v_ashrrev_i32_e32 v123, 31, v122
	s_delay_alu instid0(VALU_DEP_1)
	v_lshl_add_u64 v[130:131], v[122:123], 2, v[4:5]
	s_clause 0x1
	global_load_b32 v123, v[130:131], off
	global_load_b32 v129, v[4:5], off offset:60
	s_wait_loadcnt 0x1
	global_store_b32 v[4:5], v123, off offset:60
	s_wait_loadcnt 0x0
	global_store_b32 v[130:131], v129, off
.LBB114_329:
	s_wait_xcnt 0x0
	s_or_b32 exec_lo, exec_lo, s12
	v_dual_mov_b32 v130, v122 :: v_dual_mov_b32 v129, v122
.LBB114_330:
	s_or_b32 exec_lo, exec_lo, s1
.LBB114_331:
	s_and_not1_saveexec_b32 s0, s0
	s_cbranch_execz .LBB114_333
; %bb.332:
	v_dual_mov_b32 v122, v104 :: v_dual_mov_b32 v123, v105
	v_dual_mov_b32 v130, v66 :: v_dual_mov_b32 v131, v67
	ds_store_2addr_b64 v126, v[122:123], v[130:131] offset0:16 offset1:17
	v_dual_mov_b32 v122, v68 :: v_dual_mov_b32 v123, v69
	v_dual_mov_b32 v130, v64 :: v_dual_mov_b32 v131, v65
	ds_store_2addr_b64 v126, v[122:123], v[130:131] offset0:18 offset1:19
	;; [unrolled: 3-line block ×20, first 2 shown]
	v_dual_mov_b32 v122, v14 :: v_dual_mov_b32 v123, v15
	v_mov_b32_e32 v130, 15
	ds_store_2addr_b64 v126, v[122:123], v[120:121] offset0:56 offset1:57
.LBB114_333:
	s_or_b32 exec_lo, exec_lo, s0
	s_delay_alu instid0(SALU_CYCLE_1)
	s_mov_b32 s0, exec_lo
	s_wait_storecnt_dscnt 0x0
	s_barrier_signal -1
	s_barrier_wait -1
	v_cmpx_lt_i32_e32 15, v130
	s_cbranch_execz .LBB114_335
; %bb.334:
	v_pk_mul_f32 v[132:133], v[124:125], v[72:73] op_sel:[1,1] op_sel_hi:[0,1]
	s_delay_alu instid0(VALU_DEP_1)
	v_pk_fma_f32 v[122:123], v[124:125], v[72:73], v[132:133] op_sel_hi:[1,0,1] neg_lo:[0,0,1] neg_hi:[0,0,1]
	v_pk_fma_f32 v[124:125], v[124:125], v[72:73], v[132:133] op_sel_hi:[1,0,1]
	ds_load_2addr_b64 v[132:135], v126 offset0:16 offset1:17
	v_dual_mov_b32 v72, v122 :: v_dual_mov_b32 v73, v125
	s_wait_dscnt 0x0
	v_pk_mul_f32 v[136:137], v[132:133], v[124:125] op_sel:[0,1]
	s_delay_alu instid0(VALU_DEP_1) | instskip(SKIP_1) | instid1(VALU_DEP_1)
	v_pk_fma_f32 v[138:139], v[132:133], v[122:123], v[136:137] op_sel:[0,0,1] op_sel_hi:[1,1,0] neg_lo:[0,0,1] neg_hi:[0,0,1]
	v_pk_fma_f32 v[132:133], v[132:133], v[122:123], v[136:137] op_sel:[0,0,1] op_sel_hi:[1,0,0]
	v_mov_b32_e32 v139, v133
	v_pk_mul_f32 v[132:133], v[134:135], v[124:125] op_sel:[0,1]
	s_delay_alu instid0(VALU_DEP_1) | instskip(SKIP_1) | instid1(VALU_DEP_1)
	v_pk_fma_f32 v[136:137], v[134:135], v[122:123], v[132:133] op_sel:[0,0,1] op_sel_hi:[1,1,0] neg_lo:[0,0,1] neg_hi:[0,0,1]
	v_pk_fma_f32 v[132:133], v[134:135], v[122:123], v[132:133] op_sel:[0,0,1] op_sel_hi:[1,0,0]
	v_mov_b32_e32 v137, v133
	ds_load_2addr_b64 v[132:135], v126 offset0:18 offset1:19
	v_pk_add_f32 v[104:105], v[104:105], v[138:139] neg_lo:[0,1] neg_hi:[0,1]
	v_pk_add_f32 v[66:67], v[66:67], v[136:137] neg_lo:[0,1] neg_hi:[0,1]
	s_wait_dscnt 0x0
	v_pk_mul_f32 v[136:137], v[132:133], v[124:125] op_sel:[0,1]
	s_delay_alu instid0(VALU_DEP_1) | instskip(SKIP_2) | instid1(VALU_DEP_2)
	v_pk_fma_f32 v[138:139], v[132:133], v[122:123], v[136:137] op_sel:[0,0,1] op_sel_hi:[1,1,0] neg_lo:[0,0,1] neg_hi:[0,0,1]
	v_pk_fma_f32 v[132:133], v[132:133], v[122:123], v[136:137] op_sel:[0,0,1] op_sel_hi:[1,0,0]
	v_dual_mul_f32 v136, v135, v125 :: v_dual_mov_b32 v132, v135
	v_dual_mov_b32 v139, v133 :: v_dual_mov_b32 v133, v134
	s_delay_alu instid0(VALU_DEP_2) | instskip(SKIP_1) | instid1(VALU_DEP_3)
	v_pk_fma_f32 v[136:137], v[134:135], v[72:73], v[136:137] op_sel_hi:[1,1,0] neg_lo:[0,0,1] neg_hi:[0,0,1]
	v_mul_f32_e32 v134, v135, v122
	v_pk_add_f32 v[68:69], v[68:69], v[138:139] neg_lo:[0,1] neg_hi:[0,1]
	s_delay_alu instid0(VALU_DEP_2) | instskip(NEXT) | instid1(VALU_DEP_1)
	v_pk_fma_f32 v[132:133], v[132:133], v[72:73], v[134:135] op_sel_hi:[1,1,0]
	v_mov_b32_e32 v137, v133
	ds_load_2addr_b64 v[132:135], v126 offset0:20 offset1:21
	v_pk_add_f32 v[64:65], v[64:65], v[136:137] neg_lo:[0,1] neg_hi:[0,1]
	s_wait_dscnt 0x0
	v_pk_mul_f32 v[136:137], v[132:133], v[124:125] op_sel:[0,1]
	s_delay_alu instid0(VALU_DEP_1) | instskip(SKIP_1) | instid1(VALU_DEP_1)
	v_pk_fma_f32 v[138:139], v[132:133], v[122:123], v[136:137] op_sel:[0,0,1] op_sel_hi:[1,1,0] neg_lo:[0,0,1] neg_hi:[0,0,1]
	v_pk_fma_f32 v[132:133], v[132:133], v[122:123], v[136:137] op_sel:[0,0,1] op_sel_hi:[1,0,0]
	v_mov_b32_e32 v139, v133
	v_pk_mul_f32 v[132:133], v[134:135], v[124:125] op_sel:[0,1]
	s_delay_alu instid0(VALU_DEP_1) | instskip(SKIP_1) | instid1(VALU_DEP_1)
	v_pk_fma_f32 v[136:137], v[134:135], v[122:123], v[132:133] op_sel:[0,0,1] op_sel_hi:[1,1,0] neg_lo:[0,0,1] neg_hi:[0,0,1]
	v_pk_fma_f32 v[132:133], v[134:135], v[122:123], v[132:133] op_sel:[0,0,1] op_sel_hi:[1,0,0]
	v_mov_b32_e32 v137, v133
	ds_load_2addr_b64 v[132:135], v126 offset0:22 offset1:23
	v_pk_add_f32 v[102:103], v[102:103], v[138:139] neg_lo:[0,1] neg_hi:[0,1]
	v_pk_add_f32 v[58:59], v[58:59], v[136:137] neg_lo:[0,1] neg_hi:[0,1]
	s_wait_dscnt 0x0
	v_pk_mul_f32 v[136:137], v[132:133], v[124:125] op_sel:[0,1]
	s_delay_alu instid0(VALU_DEP_1) | instskip(SKIP_1) | instid1(VALU_DEP_1)
	v_pk_fma_f32 v[138:139], v[132:133], v[122:123], v[136:137] op_sel:[0,0,1] op_sel_hi:[1,1,0] neg_lo:[0,0,1] neg_hi:[0,0,1]
	v_pk_fma_f32 v[132:133], v[132:133], v[122:123], v[136:137] op_sel:[0,0,1] op_sel_hi:[1,0,0]
	v_mov_b32_e32 v139, v133
	v_pk_mul_f32 v[132:133], v[134:135], v[124:125] op_sel:[0,1]
	s_delay_alu instid0(VALU_DEP_1) | instskip(SKIP_1) | instid1(VALU_DEP_1)
	v_pk_fma_f32 v[136:137], v[134:135], v[122:123], v[132:133] op_sel:[0,0,1] op_sel_hi:[1,1,0] neg_lo:[0,0,1] neg_hi:[0,0,1]
	v_pk_fma_f32 v[132:133], v[134:135], v[122:123], v[132:133] op_sel:[0,0,1] op_sel_hi:[1,0,0]
	v_mov_b32_e32 v137, v133
	ds_load_2addr_b64 v[132:135], v126 offset0:24 offset1:25
	v_pk_add_f32 v[62:63], v[62:63], v[138:139] neg_lo:[0,1] neg_hi:[0,1]
	v_pk_add_f32 v[56:57], v[56:57], v[136:137] neg_lo:[0,1] neg_hi:[0,1]
	s_wait_dscnt 0x0
	v_dual_mul_f32 v136, v133, v125 :: v_dual_mul_f32 v138, v133, v122
	s_delay_alu instid0(VALU_DEP_1) | instskip(NEXT) | instid1(VALU_DEP_2)
	v_pk_fma_f32 v[136:137], v[132:133], v[72:73], v[136:137] op_sel_hi:[1,1,0] neg_lo:[0,0,1] neg_hi:[0,0,1]
	v_pk_fma_f32 v[132:133], v[132:133], v[72:73], v[138:139] op_sel:[1,0,0] op_sel_hi:[0,1,0]
	s_delay_alu instid0(VALU_DEP_1) | instskip(SKIP_1) | instid1(VALU_DEP_2)
	v_mov_b32_e32 v137, v133
	v_pk_mul_f32 v[132:133], v[134:135], v[124:125] op_sel:[0,1]
	v_pk_add_f32 v[100:101], v[100:101], v[136:137] neg_lo:[0,1] neg_hi:[0,1]
	s_delay_alu instid0(VALU_DEP_2) | instskip(SKIP_1) | instid1(VALU_DEP_1)
	v_pk_fma_f32 v[136:137], v[134:135], v[122:123], v[132:133] op_sel:[0,0,1] op_sel_hi:[1,1,0] neg_lo:[0,0,1] neg_hi:[0,0,1]
	v_pk_fma_f32 v[132:133], v[134:135], v[122:123], v[132:133] op_sel:[0,0,1] op_sel_hi:[1,0,0]
	v_mov_b32_e32 v137, v133
	ds_load_2addr_b64 v[132:135], v126 offset0:26 offset1:27
	v_pk_add_f32 v[52:53], v[52:53], v[136:137] neg_lo:[0,1] neg_hi:[0,1]
	s_wait_dscnt 0x0
	v_pk_mul_f32 v[136:137], v[132:133], v[124:125] op_sel:[0,1]
	s_delay_alu instid0(VALU_DEP_1) | instskip(SKIP_1) | instid1(VALU_DEP_1)
	v_pk_fma_f32 v[138:139], v[132:133], v[122:123], v[136:137] op_sel:[0,0,1] op_sel_hi:[1,1,0] neg_lo:[0,0,1] neg_hi:[0,0,1]
	v_pk_fma_f32 v[132:133], v[132:133], v[122:123], v[136:137] op_sel:[0,0,1] op_sel_hi:[1,0,0]
	v_mov_b32_e32 v139, v133
	v_pk_mul_f32 v[132:133], v[134:135], v[124:125] op_sel:[0,1]
	s_delay_alu instid0(VALU_DEP_2) | instskip(NEXT) | instid1(VALU_DEP_2)
	v_pk_add_f32 v[54:55], v[54:55], v[138:139] neg_lo:[0,1] neg_hi:[0,1]
	v_pk_fma_f32 v[136:137], v[134:135], v[122:123], v[132:133] op_sel:[0,0,1] op_sel_hi:[1,1,0] neg_lo:[0,0,1] neg_hi:[0,0,1]
	v_pk_fma_f32 v[132:133], v[134:135], v[122:123], v[132:133] op_sel:[0,0,1] op_sel_hi:[1,0,0]
	s_delay_alu instid0(VALU_DEP_1) | instskip(SKIP_4) | instid1(VALU_DEP_1)
	v_mov_b32_e32 v137, v133
	ds_load_2addr_b64 v[132:135], v126 offset0:28 offset1:29
	v_pk_add_f32 v[50:51], v[50:51], v[136:137] neg_lo:[0,1] neg_hi:[0,1]
	s_wait_dscnt 0x0
	v_pk_mul_f32 v[136:137], v[132:133], v[124:125] op_sel:[0,1]
	v_pk_fma_f32 v[138:139], v[132:133], v[122:123], v[136:137] op_sel:[0,0,1] op_sel_hi:[1,1,0] neg_lo:[0,0,1] neg_hi:[0,0,1]
	v_pk_fma_f32 v[132:133], v[132:133], v[122:123], v[136:137] op_sel:[0,0,1] op_sel_hi:[1,0,0]
	v_dual_mul_f32 v136, v135, v125 :: v_dual_mov_b32 v132, v135
	s_delay_alu instid0(VALU_DEP_2) | instskip(NEXT) | instid1(VALU_DEP_2)
	v_dual_mov_b32 v139, v133 :: v_dual_mov_b32 v133, v134
	v_pk_fma_f32 v[136:137], v[134:135], v[72:73], v[136:137] op_sel_hi:[1,1,0] neg_lo:[0,0,1] neg_hi:[0,0,1]
	v_mul_f32_e32 v134, v135, v122
	s_delay_alu instid0(VALU_DEP_3) | instskip(NEXT) | instid1(VALU_DEP_2)
	v_pk_add_f32 v[96:97], v[96:97], v[138:139] neg_lo:[0,1] neg_hi:[0,1]
	v_pk_fma_f32 v[132:133], v[132:133], v[72:73], v[134:135] op_sel_hi:[1,1,0]
	s_delay_alu instid0(VALU_DEP_1) | instskip(SKIP_4) | instid1(VALU_DEP_1)
	v_mov_b32_e32 v137, v133
	ds_load_2addr_b64 v[132:135], v126 offset0:30 offset1:31
	v_pk_add_f32 v[46:47], v[46:47], v[136:137] neg_lo:[0,1] neg_hi:[0,1]
	s_wait_dscnt 0x0
	v_pk_mul_f32 v[136:137], v[132:133], v[124:125] op_sel:[0,1]
	v_pk_fma_f32 v[138:139], v[132:133], v[122:123], v[136:137] op_sel:[0,0,1] op_sel_hi:[1,1,0] neg_lo:[0,0,1] neg_hi:[0,0,1]
	v_pk_fma_f32 v[132:133], v[132:133], v[122:123], v[136:137] op_sel:[0,0,1] op_sel_hi:[1,0,0]
	s_delay_alu instid0(VALU_DEP_1) | instskip(SKIP_1) | instid1(VALU_DEP_1)
	v_mov_b32_e32 v139, v133
	v_pk_mul_f32 v[132:133], v[134:135], v[124:125] op_sel:[0,1]
	v_pk_fma_f32 v[136:137], v[134:135], v[122:123], v[132:133] op_sel:[0,0,1] op_sel_hi:[1,1,0] neg_lo:[0,0,1] neg_hi:[0,0,1]
	v_pk_fma_f32 v[132:133], v[134:135], v[122:123], v[132:133] op_sel:[0,0,1] op_sel_hi:[1,0,0]
	s_delay_alu instid0(VALU_DEP_1)
	v_mov_b32_e32 v137, v133
	ds_load_2addr_b64 v[132:135], v126 offset0:32 offset1:33
	v_pk_add_f32 v[48:49], v[48:49], v[138:139] neg_lo:[0,1] neg_hi:[0,1]
	v_pk_add_f32 v[44:45], v[44:45], v[136:137] neg_lo:[0,1] neg_hi:[0,1]
	s_wait_dscnt 0x0
	v_pk_mul_f32 v[136:137], v[132:133], v[124:125] op_sel:[0,1]
	s_delay_alu instid0(VALU_DEP_1) | instskip(SKIP_1) | instid1(VALU_DEP_1)
	v_pk_fma_f32 v[138:139], v[132:133], v[122:123], v[136:137] op_sel:[0,0,1] op_sel_hi:[1,1,0] neg_lo:[0,0,1] neg_hi:[0,0,1]
	v_pk_fma_f32 v[132:133], v[132:133], v[122:123], v[136:137] op_sel:[0,0,1] op_sel_hi:[1,0,0]
	v_mov_b32_e32 v139, v133
	v_pk_mul_f32 v[132:133], v[134:135], v[124:125] op_sel:[0,1]
	s_delay_alu instid0(VALU_DEP_1) | instskip(SKIP_1) | instid1(VALU_DEP_1)
	v_pk_fma_f32 v[136:137], v[134:135], v[122:123], v[132:133] op_sel:[0,0,1] op_sel_hi:[1,1,0] neg_lo:[0,0,1] neg_hi:[0,0,1]
	v_pk_fma_f32 v[132:133], v[134:135], v[122:123], v[132:133] op_sel:[0,0,1] op_sel_hi:[1,0,0]
	v_mov_b32_e32 v137, v133
	ds_load_2addr_b64 v[132:135], v126 offset0:34 offset1:35
	v_pk_add_f32 v[94:95], v[94:95], v[138:139] neg_lo:[0,1] neg_hi:[0,1]
	v_pk_add_f32 v[38:39], v[38:39], v[136:137] neg_lo:[0,1] neg_hi:[0,1]
	s_wait_dscnt 0x0
	v_dual_mul_f32 v136, v133, v125 :: v_dual_mul_f32 v138, v133, v122
	s_delay_alu instid0(VALU_DEP_1) | instskip(NEXT) | instid1(VALU_DEP_2)
	v_pk_fma_f32 v[136:137], v[132:133], v[72:73], v[136:137] op_sel_hi:[1,1,0] neg_lo:[0,0,1] neg_hi:[0,0,1]
	v_pk_fma_f32 v[132:133], v[132:133], v[72:73], v[138:139] op_sel:[1,0,0] op_sel_hi:[0,1,0]
	s_delay_alu instid0(VALU_DEP_1) | instskip(SKIP_1) | instid1(VALU_DEP_2)
	v_mov_b32_e32 v137, v133
	v_pk_mul_f32 v[132:133], v[134:135], v[124:125] op_sel:[0,1]
	v_pk_add_f32 v[40:41], v[40:41], v[136:137] neg_lo:[0,1] neg_hi:[0,1]
	s_delay_alu instid0(VALU_DEP_2) | instskip(SKIP_1) | instid1(VALU_DEP_1)
	v_pk_fma_f32 v[136:137], v[134:135], v[122:123], v[132:133] op_sel:[0,0,1] op_sel_hi:[1,1,0] neg_lo:[0,0,1] neg_hi:[0,0,1]
	v_pk_fma_f32 v[132:133], v[134:135], v[122:123], v[132:133] op_sel:[0,0,1] op_sel_hi:[1,0,0]
	v_mov_b32_e32 v137, v133
	ds_load_2addr_b64 v[132:135], v126 offset0:36 offset1:37
	v_pk_add_f32 v[36:37], v[36:37], v[136:137] neg_lo:[0,1] neg_hi:[0,1]
	s_wait_dscnt 0x0
	v_pk_mul_f32 v[136:137], v[132:133], v[124:125] op_sel:[0,1]
	s_delay_alu instid0(VALU_DEP_1) | instskip(SKIP_1) | instid1(VALU_DEP_1)
	v_pk_fma_f32 v[138:139], v[132:133], v[122:123], v[136:137] op_sel:[0,0,1] op_sel_hi:[1,1,0] neg_lo:[0,0,1] neg_hi:[0,0,1]
	v_pk_fma_f32 v[132:133], v[132:133], v[122:123], v[136:137] op_sel:[0,0,1] op_sel_hi:[1,0,0]
	v_mov_b32_e32 v139, v133
	v_pk_mul_f32 v[132:133], v[134:135], v[124:125] op_sel:[0,1]
	s_delay_alu instid0(VALU_DEP_2) | instskip(NEXT) | instid1(VALU_DEP_2)
	v_pk_add_f32 v[92:93], v[92:93], v[138:139] neg_lo:[0,1] neg_hi:[0,1]
	v_pk_fma_f32 v[136:137], v[134:135], v[122:123], v[132:133] op_sel:[0,0,1] op_sel_hi:[1,1,0] neg_lo:[0,0,1] neg_hi:[0,0,1]
	v_pk_fma_f32 v[132:133], v[134:135], v[122:123], v[132:133] op_sel:[0,0,1] op_sel_hi:[1,0,0]
	s_delay_alu instid0(VALU_DEP_1) | instskip(SKIP_4) | instid1(VALU_DEP_1)
	v_mov_b32_e32 v137, v133
	ds_load_2addr_b64 v[132:135], v126 offset0:38 offset1:39
	v_pk_add_f32 v[32:33], v[32:33], v[136:137] neg_lo:[0,1] neg_hi:[0,1]
	s_wait_dscnt 0x0
	v_pk_mul_f32 v[136:137], v[132:133], v[124:125] op_sel:[0,1]
	v_pk_fma_f32 v[138:139], v[132:133], v[122:123], v[136:137] op_sel:[0,0,1] op_sel_hi:[1,1,0] neg_lo:[0,0,1] neg_hi:[0,0,1]
	v_pk_fma_f32 v[132:133], v[132:133], v[122:123], v[136:137] op_sel:[0,0,1] op_sel_hi:[1,0,0]
	v_dual_mul_f32 v136, v135, v125 :: v_dual_mov_b32 v132, v135
	s_delay_alu instid0(VALU_DEP_2) | instskip(NEXT) | instid1(VALU_DEP_2)
	v_dual_mov_b32 v139, v133 :: v_dual_mov_b32 v133, v134
	v_pk_fma_f32 v[136:137], v[134:135], v[72:73], v[136:137] op_sel_hi:[1,1,0] neg_lo:[0,0,1] neg_hi:[0,0,1]
	v_mul_f32_e32 v134, v135, v122
	s_delay_alu instid0(VALU_DEP_3) | instskip(NEXT) | instid1(VALU_DEP_2)
	v_pk_add_f32 v[34:35], v[34:35], v[138:139] neg_lo:[0,1] neg_hi:[0,1]
	v_pk_fma_f32 v[132:133], v[132:133], v[72:73], v[134:135] op_sel_hi:[1,1,0]
	s_delay_alu instid0(VALU_DEP_1) | instskip(SKIP_4) | instid1(VALU_DEP_1)
	v_mov_b32_e32 v137, v133
	ds_load_2addr_b64 v[132:135], v126 offset0:40 offset1:41
	v_pk_add_f32 v[30:31], v[30:31], v[136:137] neg_lo:[0,1] neg_hi:[0,1]
	s_wait_dscnt 0x0
	v_pk_mul_f32 v[136:137], v[132:133], v[124:125] op_sel:[0,1]
	v_pk_fma_f32 v[138:139], v[132:133], v[122:123], v[136:137] op_sel:[0,0,1] op_sel_hi:[1,1,0] neg_lo:[0,0,1] neg_hi:[0,0,1]
	v_pk_fma_f32 v[132:133], v[132:133], v[122:123], v[136:137] op_sel:[0,0,1] op_sel_hi:[1,0,0]
	s_delay_alu instid0(VALU_DEP_1) | instskip(SKIP_1) | instid1(VALU_DEP_1)
	v_mov_b32_e32 v139, v133
	v_pk_mul_f32 v[132:133], v[134:135], v[124:125] op_sel:[0,1]
	v_pk_fma_f32 v[136:137], v[134:135], v[122:123], v[132:133] op_sel:[0,0,1] op_sel_hi:[1,1,0] neg_lo:[0,0,1] neg_hi:[0,0,1]
	v_pk_fma_f32 v[132:133], v[134:135], v[122:123], v[132:133] op_sel:[0,0,1] op_sel_hi:[1,0,0]
	s_delay_alu instid0(VALU_DEP_1)
	v_mov_b32_e32 v137, v133
	ds_load_2addr_b64 v[132:135], v126 offset0:42 offset1:43
	v_pk_add_f32 v[90:91], v[90:91], v[138:139] neg_lo:[0,1] neg_hi:[0,1]
	v_pk_add_f32 v[24:25], v[24:25], v[136:137] neg_lo:[0,1] neg_hi:[0,1]
	s_wait_dscnt 0x0
	v_pk_mul_f32 v[136:137], v[132:133], v[124:125] op_sel:[0,1]
	s_delay_alu instid0(VALU_DEP_1) | instskip(SKIP_1) | instid1(VALU_DEP_1)
	v_pk_fma_f32 v[138:139], v[132:133], v[122:123], v[136:137] op_sel:[0,0,1] op_sel_hi:[1,1,0] neg_lo:[0,0,1] neg_hi:[0,0,1]
	v_pk_fma_f32 v[132:133], v[132:133], v[122:123], v[136:137] op_sel:[0,0,1] op_sel_hi:[1,0,0]
	v_mov_b32_e32 v139, v133
	v_pk_mul_f32 v[132:133], v[134:135], v[124:125] op_sel:[0,1]
	s_delay_alu instid0(VALU_DEP_1) | instskip(SKIP_1) | instid1(VALU_DEP_1)
	v_pk_fma_f32 v[136:137], v[134:135], v[122:123], v[132:133] op_sel:[0,0,1] op_sel_hi:[1,1,0] neg_lo:[0,0,1] neg_hi:[0,0,1]
	v_pk_fma_f32 v[132:133], v[134:135], v[122:123], v[132:133] op_sel:[0,0,1] op_sel_hi:[1,0,0]
	v_mov_b32_e32 v137, v133
	ds_load_2addr_b64 v[132:135], v126 offset0:44 offset1:45
	v_pk_add_f32 v[26:27], v[26:27], v[138:139] neg_lo:[0,1] neg_hi:[0,1]
	v_pk_add_f32 v[22:23], v[22:23], v[136:137] neg_lo:[0,1] neg_hi:[0,1]
	s_wait_dscnt 0x0
	v_dual_mul_f32 v136, v133, v125 :: v_dual_mul_f32 v138, v133, v122
	s_delay_alu instid0(VALU_DEP_1) | instskip(NEXT) | instid1(VALU_DEP_2)
	v_pk_fma_f32 v[136:137], v[132:133], v[72:73], v[136:137] op_sel_hi:[1,1,0] neg_lo:[0,0,1] neg_hi:[0,0,1]
	v_pk_fma_f32 v[132:133], v[132:133], v[72:73], v[138:139] op_sel:[1,0,0] op_sel_hi:[0,1,0]
	s_delay_alu instid0(VALU_DEP_1) | instskip(SKIP_1) | instid1(VALU_DEP_2)
	v_mov_b32_e32 v137, v133
	v_pk_mul_f32 v[132:133], v[134:135], v[124:125] op_sel:[0,1]
	v_pk_add_f32 v[88:89], v[88:89], v[136:137] neg_lo:[0,1] neg_hi:[0,1]
	s_delay_alu instid0(VALU_DEP_2) | instskip(SKIP_1) | instid1(VALU_DEP_1)
	v_pk_fma_f32 v[136:137], v[134:135], v[122:123], v[132:133] op_sel:[0,0,1] op_sel_hi:[1,1,0] neg_lo:[0,0,1] neg_hi:[0,0,1]
	v_pk_fma_f32 v[132:133], v[134:135], v[122:123], v[132:133] op_sel:[0,0,1] op_sel_hi:[1,0,0]
	v_mov_b32_e32 v137, v133
	ds_load_2addr_b64 v[132:135], v126 offset0:46 offset1:47
	v_pk_add_f32 v[18:19], v[18:19], v[136:137] neg_lo:[0,1] neg_hi:[0,1]
	s_wait_dscnt 0x0
	v_pk_mul_f32 v[136:137], v[132:133], v[124:125] op_sel:[0,1]
	s_delay_alu instid0(VALU_DEP_1) | instskip(SKIP_1) | instid1(VALU_DEP_1)
	v_pk_fma_f32 v[138:139], v[132:133], v[122:123], v[136:137] op_sel:[0,0,1] op_sel_hi:[1,1,0] neg_lo:[0,0,1] neg_hi:[0,0,1]
	v_pk_fma_f32 v[132:133], v[132:133], v[122:123], v[136:137] op_sel:[0,0,1] op_sel_hi:[1,0,0]
	v_mov_b32_e32 v139, v133
	v_pk_mul_f32 v[132:133], v[134:135], v[124:125] op_sel:[0,1]
	s_delay_alu instid0(VALU_DEP_2) | instskip(NEXT) | instid1(VALU_DEP_2)
	v_pk_add_f32 v[20:21], v[20:21], v[138:139] neg_lo:[0,1] neg_hi:[0,1]
	v_pk_fma_f32 v[136:137], v[134:135], v[122:123], v[132:133] op_sel:[0,0,1] op_sel_hi:[1,1,0] neg_lo:[0,0,1] neg_hi:[0,0,1]
	v_pk_fma_f32 v[132:133], v[134:135], v[122:123], v[132:133] op_sel:[0,0,1] op_sel_hi:[1,0,0]
	s_delay_alu instid0(VALU_DEP_1) | instskip(SKIP_4) | instid1(VALU_DEP_1)
	v_mov_b32_e32 v137, v133
	ds_load_2addr_b64 v[132:135], v126 offset0:48 offset1:49
	v_pk_add_f32 v[16:17], v[16:17], v[136:137] neg_lo:[0,1] neg_hi:[0,1]
	s_wait_dscnt 0x0
	v_pk_mul_f32 v[136:137], v[132:133], v[124:125] op_sel:[0,1]
	v_pk_fma_f32 v[138:139], v[132:133], v[122:123], v[136:137] op_sel:[0,0,1] op_sel_hi:[1,1,0] neg_lo:[0,0,1] neg_hi:[0,0,1]
	v_pk_fma_f32 v[132:133], v[132:133], v[122:123], v[136:137] op_sel:[0,0,1] op_sel_hi:[1,0,0]
	v_dual_mul_f32 v136, v135, v125 :: v_dual_mov_b32 v132, v135
	s_delay_alu instid0(VALU_DEP_2) | instskip(NEXT) | instid1(VALU_DEP_2)
	v_dual_mov_b32 v139, v133 :: v_dual_mov_b32 v133, v134
	v_pk_fma_f32 v[136:137], v[134:135], v[72:73], v[136:137] op_sel_hi:[1,1,0] neg_lo:[0,0,1] neg_hi:[0,0,1]
	v_mul_f32_e32 v134, v135, v122
	s_delay_alu instid0(VALU_DEP_3) | instskip(NEXT) | instid1(VALU_DEP_2)
	v_pk_add_f32 v[84:85], v[84:85], v[138:139] neg_lo:[0,1] neg_hi:[0,1]
	v_pk_fma_f32 v[132:133], v[132:133], v[72:73], v[134:135] op_sel_hi:[1,1,0]
	s_delay_alu instid0(VALU_DEP_1) | instskip(SKIP_4) | instid1(VALU_DEP_1)
	v_mov_b32_e32 v137, v133
	ds_load_2addr_b64 v[132:135], v126 offset0:50 offset1:51
	v_pk_add_f32 v[10:11], v[10:11], v[136:137] neg_lo:[0,1] neg_hi:[0,1]
	s_wait_dscnt 0x0
	v_pk_mul_f32 v[136:137], v[132:133], v[124:125] op_sel:[0,1]
	v_pk_fma_f32 v[138:139], v[132:133], v[122:123], v[136:137] op_sel:[0,0,1] op_sel_hi:[1,1,0] neg_lo:[0,0,1] neg_hi:[0,0,1]
	v_pk_fma_f32 v[132:133], v[132:133], v[122:123], v[136:137] op_sel:[0,0,1] op_sel_hi:[1,0,0]
	s_delay_alu instid0(VALU_DEP_1) | instskip(SKIP_1) | instid1(VALU_DEP_1)
	v_mov_b32_e32 v139, v133
	v_pk_mul_f32 v[132:133], v[134:135], v[124:125] op_sel:[0,1]
	v_pk_fma_f32 v[136:137], v[134:135], v[122:123], v[132:133] op_sel:[0,0,1] op_sel_hi:[1,1,0] neg_lo:[0,0,1] neg_hi:[0,0,1]
	v_pk_fma_f32 v[132:133], v[134:135], v[122:123], v[132:133] op_sel:[0,0,1] op_sel_hi:[1,0,0]
	s_delay_alu instid0(VALU_DEP_1)
	v_mov_b32_e32 v137, v133
	ds_load_2addr_b64 v[132:135], v126 offset0:52 offset1:53
	v_pk_add_f32 v[12:13], v[12:13], v[138:139] neg_lo:[0,1] neg_hi:[0,1]
	v_pk_add_f32 v[8:9], v[8:9], v[136:137] neg_lo:[0,1] neg_hi:[0,1]
	s_wait_dscnt 0x0
	v_pk_mul_f32 v[136:137], v[132:133], v[124:125] op_sel:[0,1]
	s_delay_alu instid0(VALU_DEP_1) | instskip(SKIP_1) | instid1(VALU_DEP_1)
	v_pk_fma_f32 v[138:139], v[132:133], v[122:123], v[136:137] op_sel:[0,0,1] op_sel_hi:[1,1,0] neg_lo:[0,0,1] neg_hi:[0,0,1]
	v_pk_fma_f32 v[132:133], v[132:133], v[122:123], v[136:137] op_sel:[0,0,1] op_sel_hi:[1,0,0]
	v_mov_b32_e32 v139, v133
	v_pk_mul_f32 v[132:133], v[134:135], v[124:125] op_sel:[0,1]
	s_delay_alu instid0(VALU_DEP_1) | instskip(SKIP_1) | instid1(VALU_DEP_1)
	v_pk_fma_f32 v[136:137], v[134:135], v[122:123], v[132:133] op_sel:[0,0,1] op_sel_hi:[1,1,0] neg_lo:[0,0,1] neg_hi:[0,0,1]
	v_pk_fma_f32 v[132:133], v[134:135], v[122:123], v[132:133] op_sel:[0,0,1] op_sel_hi:[1,0,0]
	v_mov_b32_e32 v137, v133
	ds_load_2addr_b64 v[132:135], v126 offset0:54 offset1:55
	v_pk_add_f32 v[60:61], v[60:61], v[138:139] neg_lo:[0,1] neg_hi:[0,1]
	v_pk_add_f32 v[6:7], v[6:7], v[136:137] neg_lo:[0,1] neg_hi:[0,1]
	s_wait_dscnt 0x0
	v_dual_mul_f32 v136, v133, v125 :: v_dual_mul_f32 v138, v133, v122
	s_delay_alu instid0(VALU_DEP_1) | instskip(NEXT) | instid1(VALU_DEP_2)
	v_pk_fma_f32 v[136:137], v[132:133], v[72:73], v[136:137] op_sel_hi:[1,1,0] neg_lo:[0,0,1] neg_hi:[0,0,1]
	v_pk_fma_f32 v[132:133], v[132:133], v[72:73], v[138:139] op_sel:[1,0,0] op_sel_hi:[0,1,0]
	s_delay_alu instid0(VALU_DEP_1) | instskip(SKIP_1) | instid1(VALU_DEP_2)
	v_mov_b32_e32 v137, v133
	v_pk_mul_f32 v[132:133], v[134:135], v[124:125] op_sel:[0,1]
	v_pk_add_f32 v[42:43], v[42:43], v[136:137] neg_lo:[0,1] neg_hi:[0,1]
	s_delay_alu instid0(VALU_DEP_2) | instskip(SKIP_1) | instid1(VALU_DEP_1)
	v_pk_fma_f32 v[136:137], v[134:135], v[122:123], v[132:133] op_sel:[0,0,1] op_sel_hi:[1,1,0] neg_lo:[0,0,1] neg_hi:[0,0,1]
	v_pk_fma_f32 v[132:133], v[134:135], v[122:123], v[132:133] op_sel:[0,0,1] op_sel_hi:[1,0,0]
	v_mov_b32_e32 v137, v133
	ds_load_2addr_b64 v[132:135], v126 offset0:56 offset1:57
	v_pk_add_f32 v[28:29], v[28:29], v[136:137] neg_lo:[0,1] neg_hi:[0,1]
	s_wait_dscnt 0x0
	v_pk_mul_f32 v[136:137], v[132:133], v[124:125] op_sel:[0,1]
	v_mul_f32_e32 v124, v135, v125
	s_delay_alu instid0(VALU_DEP_2) | instskip(SKIP_2) | instid1(VALU_DEP_4)
	v_pk_fma_f32 v[138:139], v[132:133], v[122:123], v[136:137] op_sel:[0,0,1] op_sel_hi:[1,1,0] neg_lo:[0,0,1] neg_hi:[0,0,1]
	v_pk_fma_f32 v[132:133], v[132:133], v[122:123], v[136:137] op_sel:[0,0,1] op_sel_hi:[1,0,0]
	v_dual_mov_b32 v132, v135 :: v_dual_mul_f32 v122, v135, v122
	v_pk_fma_f32 v[124:125], v[134:135], v[72:73], v[124:125] op_sel_hi:[1,1,0] neg_lo:[0,0,1] neg_hi:[0,0,1]
	s_delay_alu instid0(VALU_DEP_3) | instskip(NEXT) | instid1(VALU_DEP_1)
	v_dual_mov_b32 v139, v133 :: v_dual_mov_b32 v133, v134
	v_pk_add_f32 v[14:15], v[14:15], v[138:139] neg_lo:[0,1] neg_hi:[0,1]
	s_delay_alu instid0(VALU_DEP_2) | instskip(NEXT) | instid1(VALU_DEP_1)
	v_pk_fma_f32 v[122:123], v[132:133], v[72:73], v[122:123] op_sel_hi:[1,1,0]
	v_mov_b32_e32 v125, v123
	s_delay_alu instid0(VALU_DEP_1)
	v_pk_add_f32 v[120:121], v[120:121], v[124:125] neg_lo:[0,1] neg_hi:[0,1]
.LBB114_335:
	s_or_b32 exec_lo, exec_lo, s0
	v_lshl_add_u32 v122, v130, 3, v126
	s_barrier_signal -1
	s_barrier_wait -1
	ds_store_b64 v122, v[104:105]
	s_wait_dscnt 0x0
	s_barrier_signal -1
	s_barrier_wait -1
	ds_load_b64 v[124:125], v126 offset:128
	v_mov_b32_e32 v122, 16
	s_cmp_lt_i32 s18, 18
	s_cbranch_scc1 .LBB114_338
; %bb.336:
	v_add3_u32 v123, v127, 0, 0x88
	v_mov_b32_e32 v122, 16
	s_mov_b32 s0, 17
.LBB114_337:                            ; =>This Inner Loop Header: Depth=1
	ds_load_b64 v[132:133], v123
	s_wait_dscnt 0x1
	v_cmp_gt_f32_e32 vcc_lo, 0, v124
	v_cndmask_b32_e64 v134, v124, -v124, vcc_lo
	v_cmp_gt_f32_e32 vcc_lo, 0, v125
	v_cndmask_b32_e64 v136, v125, -v125, vcc_lo
	s_wait_dscnt 0x0
	v_cmp_gt_f32_e32 vcc_lo, 0, v132
	v_cndmask_b32_e64 v135, v132, -v132, vcc_lo
	v_cmp_gt_f32_e32 vcc_lo, 0, v133
	v_cndmask_b32_e64 v137, v133, -v133, vcc_lo
	s_delay_alu instid0(VALU_DEP_1) | instskip(NEXT) | instid1(VALU_DEP_1)
	v_pk_add_f32 v[134:135], v[134:135], v[136:137]
	v_cmp_lt_f32_e32 vcc_lo, v134, v135
	v_dual_add_nc_u32 v123, 8, v123 :: v_dual_cndmask_b32 v125, v125, v133, vcc_lo
	v_cndmask_b32_e32 v124, v124, v132, vcc_lo
	v_cndmask_b32_e64 v122, v122, s0, vcc_lo
	s_add_co_i32 s0, s0, 1
	s_delay_alu instid0(SALU_CYCLE_1)
	s_cmp_lg_u32 s18, s0
	s_cbranch_scc1 .LBB114_337
.LBB114_338:
	s_wait_dscnt 0x0
	v_cmp_eq_f32_e32 vcc_lo, 0, v124
	v_cmp_eq_f32_e64 s0, 0, v125
	s_and_b32 s0, vcc_lo, s0
	s_delay_alu instid0(SALU_CYCLE_1) | instskip(NEXT) | instid1(SALU_CYCLE_1)
	s_and_saveexec_b32 s1, s0
	s_xor_b32 s0, exec_lo, s1
; %bb.339:
	v_cmp_ne_u32_e32 vcc_lo, 0, v128
	v_cndmask_b32_e32 v128, 17, v128, vcc_lo
; %bb.340:
	s_and_not1_saveexec_b32 s0, s0
	s_cbranch_execz .LBB114_346
; %bb.341:
	v_cmp_ngt_f32_e64 s1, |v124|, |v125|
	s_and_saveexec_b32 s12, s1
	s_delay_alu instid0(SALU_CYCLE_1)
	s_xor_b32 s1, exec_lo, s12
	s_cbranch_execz .LBB114_343
; %bb.342:
	v_div_scale_f32 v123, null, v125, v125, v124
	v_div_scale_f32 v133, vcc_lo, v124, v125, v124
	s_delay_alu instid0(VALU_DEP_2) | instskip(SKIP_1) | instid1(TRANS32_DEP_1)
	v_rcp_f32_e32 v131, v123
	v_nop
	v_fma_f32 v132, -v123, v131, 1.0
	s_delay_alu instid0(VALU_DEP_1) | instskip(NEXT) | instid1(VALU_DEP_1)
	v_fmac_f32_e32 v131, v132, v131
	v_mul_f32_e32 v132, v133, v131
	s_delay_alu instid0(VALU_DEP_1) | instskip(NEXT) | instid1(VALU_DEP_1)
	v_fma_f32 v134, -v123, v132, v133
	v_fmac_f32_e32 v132, v134, v131
	s_delay_alu instid0(VALU_DEP_1) | instskip(NEXT) | instid1(VALU_DEP_1)
	v_fma_f32 v123, -v123, v132, v133
	v_div_fmas_f32 v123, v123, v131, v132
	s_delay_alu instid0(VALU_DEP_1) | instskip(NEXT) | instid1(VALU_DEP_1)
	v_div_fixup_f32 v123, v123, v125, v124
	v_fmac_f32_e32 v125, v124, v123
	s_delay_alu instid0(VALU_DEP_1) | instskip(SKIP_1) | instid1(VALU_DEP_2)
	v_div_scale_f32 v124, null, v125, v125, 1.0
	v_div_scale_f32 v133, vcc_lo, 1.0, v125, 1.0
	v_rcp_f32_e32 v131, v124
	v_nop
	s_delay_alu instid0(TRANS32_DEP_1) | instskip(NEXT) | instid1(VALU_DEP_1)
	v_fma_f32 v132, -v124, v131, 1.0
	v_fmac_f32_e32 v131, v132, v131
	s_delay_alu instid0(VALU_DEP_1) | instskip(NEXT) | instid1(VALU_DEP_1)
	v_mul_f32_e32 v132, v133, v131
	v_fma_f32 v134, -v124, v132, v133
	s_delay_alu instid0(VALU_DEP_1) | instskip(NEXT) | instid1(VALU_DEP_1)
	v_fmac_f32_e32 v132, v134, v131
	v_fma_f32 v124, -v124, v132, v133
	s_delay_alu instid0(VALU_DEP_1) | instskip(NEXT) | instid1(VALU_DEP_1)
	v_div_fmas_f32 v124, v124, v131, v132
	v_div_fixup_f32 v125, v124, v125, 1.0
	s_delay_alu instid0(VALU_DEP_1)
	v_mul_f32_e32 v124, v123, v125
	v_xor_b32_e32 v125, 0x80000000, v125
.LBB114_343:
	s_and_not1_saveexec_b32 s1, s1
	s_cbranch_execz .LBB114_345
; %bb.344:
	s_delay_alu instid0(VALU_DEP_1) | instskip(SKIP_1) | instid1(VALU_DEP_2)
	v_div_scale_f32 v123, null, v124, v124, v125
	v_div_scale_f32 v133, vcc_lo, v125, v124, v125
	v_rcp_f32_e32 v131, v123
	v_nop
	s_delay_alu instid0(TRANS32_DEP_1) | instskip(NEXT) | instid1(VALU_DEP_1)
	v_fma_f32 v132, -v123, v131, 1.0
	v_fmac_f32_e32 v131, v132, v131
	s_delay_alu instid0(VALU_DEP_1) | instskip(NEXT) | instid1(VALU_DEP_1)
	v_mul_f32_e32 v132, v133, v131
	v_fma_f32 v134, -v123, v132, v133
	s_delay_alu instid0(VALU_DEP_1) | instskip(NEXT) | instid1(VALU_DEP_1)
	v_fmac_f32_e32 v132, v134, v131
	v_fma_f32 v123, -v123, v132, v133
	s_delay_alu instid0(VALU_DEP_1) | instskip(NEXT) | instid1(VALU_DEP_1)
	v_div_fmas_f32 v123, v123, v131, v132
	v_div_fixup_f32 v123, v123, v124, v125
	s_delay_alu instid0(VALU_DEP_1) | instskip(NEXT) | instid1(VALU_DEP_1)
	v_fmac_f32_e32 v124, v125, v123
	v_div_scale_f32 v125, null, v124, v124, 1.0
	s_delay_alu instid0(VALU_DEP_1) | instskip(SKIP_1) | instid1(TRANS32_DEP_1)
	v_rcp_f32_e32 v131, v125
	v_nop
	v_fma_f32 v132, -v125, v131, 1.0
	s_delay_alu instid0(VALU_DEP_1) | instskip(SKIP_1) | instid1(VALU_DEP_1)
	v_fmac_f32_e32 v131, v132, v131
	v_div_scale_f32 v132, vcc_lo, 1.0, v124, 1.0
	v_mul_f32_e32 v133, v132, v131
	s_delay_alu instid0(VALU_DEP_1) | instskip(NEXT) | instid1(VALU_DEP_1)
	v_fma_f32 v134, -v125, v133, v132
	v_fmac_f32_e32 v133, v134, v131
	s_delay_alu instid0(VALU_DEP_1) | instskip(NEXT) | instid1(VALU_DEP_1)
	v_fma_f32 v125, -v125, v133, v132
	v_div_fmas_f32 v125, v125, v131, v133
	s_delay_alu instid0(VALU_DEP_1) | instskip(NEXT) | instid1(VALU_DEP_1)
	v_div_fixup_f32 v124, v125, v124, 1.0
	v_mul_f32_e64 v125, v123, -v124
.LBB114_345:
	s_or_b32 exec_lo, exec_lo, s1
.LBB114_346:
	s_delay_alu instid0(SALU_CYCLE_1) | instskip(NEXT) | instid1(SALU_CYCLE_1)
	s_or_b32 exec_lo, exec_lo, s0
	s_mov_b32 s0, exec_lo
	v_cmpx_ne_u32_e64 v130, v122
	s_xor_b32 s0, exec_lo, s0
	s_cbranch_execz .LBB114_352
; %bb.347:
	s_mov_b32 s1, exec_lo
	v_cmpx_eq_u32_e32 16, v130
	s_cbranch_execz .LBB114_351
; %bb.348:
	v_cmp_ne_u32_e32 vcc_lo, 16, v122
	s_xor_b32 s12, s16, -1
	s_delay_alu instid0(SALU_CYCLE_1) | instskip(NEXT) | instid1(SALU_CYCLE_1)
	s_and_b32 s13, s12, vcc_lo
	s_and_saveexec_b32 s12, s13
	s_cbranch_execz .LBB114_350
; %bb.349:
	v_ashrrev_i32_e32 v123, 31, v122
	s_delay_alu instid0(VALU_DEP_1)
	v_lshl_add_u64 v[130:131], v[122:123], 2, v[4:5]
	s_clause 0x1
	global_load_b32 v123, v[130:131], off
	global_load_b32 v129, v[4:5], off offset:64
	s_wait_loadcnt 0x1
	global_store_b32 v[4:5], v123, off offset:64
	s_wait_loadcnt 0x0
	global_store_b32 v[130:131], v129, off
.LBB114_350:
	s_wait_xcnt 0x0
	s_or_b32 exec_lo, exec_lo, s12
	v_dual_mov_b32 v130, v122 :: v_dual_mov_b32 v129, v122
.LBB114_351:
	s_or_b32 exec_lo, exec_lo, s1
.LBB114_352:
	s_and_not1_saveexec_b32 s0, s0
	s_cbranch_execz .LBB114_354
; %bb.353:
	v_mov_b32_e32 v130, 16
	ds_store_2addr_b64 v126, v[66:67], v[68:69] offset0:17 offset1:18
	ds_store_2addr_b64 v126, v[64:65], v[102:103] offset0:19 offset1:20
	;; [unrolled: 1-line block ×20, first 2 shown]
	ds_store_b64 v126, v[120:121] offset:456
.LBB114_354:
	s_or_b32 exec_lo, exec_lo, s0
	s_delay_alu instid0(SALU_CYCLE_1)
	s_mov_b32 s0, exec_lo
	s_wait_storecnt_dscnt 0x0
	s_barrier_signal -1
	s_barrier_wait -1
	v_cmpx_lt_i32_e32 16, v130
	s_cbranch_execz .LBB114_356
; %bb.355:
	v_pk_mul_f32 v[132:133], v[124:125], v[104:105] op_sel:[1,1] op_sel_hi:[0,1]
	s_delay_alu instid0(VALU_DEP_1)
	v_pk_fma_f32 v[122:123], v[124:125], v[104:105], v[132:133] op_sel_hi:[1,0,1] neg_lo:[0,0,1] neg_hi:[0,0,1]
	v_pk_fma_f32 v[124:125], v[124:125], v[104:105], v[132:133] op_sel_hi:[1,0,1]
	ds_load_2addr_b64 v[132:135], v126 offset0:17 offset1:18
	v_dual_mov_b32 v104, v122 :: v_dual_mov_b32 v105, v125
	s_wait_dscnt 0x0
	v_pk_mul_f32 v[136:137], v[132:133], v[124:125] op_sel:[0,1]
	s_delay_alu instid0(VALU_DEP_1) | instskip(SKIP_1) | instid1(VALU_DEP_1)
	v_pk_fma_f32 v[138:139], v[132:133], v[122:123], v[136:137] op_sel:[0,0,1] op_sel_hi:[1,1,0] neg_lo:[0,0,1] neg_hi:[0,0,1]
	v_pk_fma_f32 v[132:133], v[132:133], v[122:123], v[136:137] op_sel:[0,0,1] op_sel_hi:[1,0,0]
	v_mov_b32_e32 v139, v133
	v_pk_mul_f32 v[132:133], v[134:135], v[124:125] op_sel:[0,1]
	s_delay_alu instid0(VALU_DEP_1) | instskip(SKIP_1) | instid1(VALU_DEP_1)
	v_pk_fma_f32 v[136:137], v[134:135], v[122:123], v[132:133] op_sel:[0,0,1] op_sel_hi:[1,1,0] neg_lo:[0,0,1] neg_hi:[0,0,1]
	v_pk_fma_f32 v[132:133], v[134:135], v[122:123], v[132:133] op_sel:[0,0,1] op_sel_hi:[1,0,0]
	v_mov_b32_e32 v137, v133
	ds_load_2addr_b64 v[132:135], v126 offset0:19 offset1:20
	v_pk_add_f32 v[66:67], v[66:67], v[138:139] neg_lo:[0,1] neg_hi:[0,1]
	v_pk_add_f32 v[68:69], v[68:69], v[136:137] neg_lo:[0,1] neg_hi:[0,1]
	s_wait_dscnt 0x0
	v_pk_mul_f32 v[136:137], v[132:133], v[124:125] op_sel:[0,1]
	s_delay_alu instid0(VALU_DEP_1) | instskip(SKIP_2) | instid1(VALU_DEP_2)
	v_pk_fma_f32 v[138:139], v[132:133], v[122:123], v[136:137] op_sel:[0,0,1] op_sel_hi:[1,1,0] neg_lo:[0,0,1] neg_hi:[0,0,1]
	v_pk_fma_f32 v[132:133], v[132:133], v[122:123], v[136:137] op_sel:[0,0,1] op_sel_hi:[1,0,0]
	v_dual_mul_f32 v136, v135, v125 :: v_dual_mov_b32 v132, v135
	v_dual_mov_b32 v139, v133 :: v_dual_mov_b32 v133, v134
	s_delay_alu instid0(VALU_DEP_2) | instskip(SKIP_1) | instid1(VALU_DEP_3)
	v_pk_fma_f32 v[136:137], v[134:135], v[104:105], v[136:137] op_sel_hi:[1,1,0] neg_lo:[0,0,1] neg_hi:[0,0,1]
	v_mul_f32_e32 v134, v135, v122
	v_pk_add_f32 v[64:65], v[64:65], v[138:139] neg_lo:[0,1] neg_hi:[0,1]
	s_delay_alu instid0(VALU_DEP_2) | instskip(NEXT) | instid1(VALU_DEP_1)
	v_pk_fma_f32 v[132:133], v[132:133], v[104:105], v[134:135] op_sel_hi:[1,1,0]
	v_mov_b32_e32 v137, v133
	ds_load_2addr_b64 v[132:135], v126 offset0:21 offset1:22
	v_pk_add_f32 v[102:103], v[102:103], v[136:137] neg_lo:[0,1] neg_hi:[0,1]
	s_wait_dscnt 0x0
	v_pk_mul_f32 v[136:137], v[132:133], v[124:125] op_sel:[0,1]
	s_delay_alu instid0(VALU_DEP_1) | instskip(SKIP_1) | instid1(VALU_DEP_1)
	v_pk_fma_f32 v[138:139], v[132:133], v[122:123], v[136:137] op_sel:[0,0,1] op_sel_hi:[1,1,0] neg_lo:[0,0,1] neg_hi:[0,0,1]
	v_pk_fma_f32 v[132:133], v[132:133], v[122:123], v[136:137] op_sel:[0,0,1] op_sel_hi:[1,0,0]
	v_mov_b32_e32 v139, v133
	v_pk_mul_f32 v[132:133], v[134:135], v[124:125] op_sel:[0,1]
	s_delay_alu instid0(VALU_DEP_1) | instskip(SKIP_1) | instid1(VALU_DEP_1)
	v_pk_fma_f32 v[136:137], v[134:135], v[122:123], v[132:133] op_sel:[0,0,1] op_sel_hi:[1,1,0] neg_lo:[0,0,1] neg_hi:[0,0,1]
	v_pk_fma_f32 v[132:133], v[134:135], v[122:123], v[132:133] op_sel:[0,0,1] op_sel_hi:[1,0,0]
	v_mov_b32_e32 v137, v133
	ds_load_2addr_b64 v[132:135], v126 offset0:23 offset1:24
	v_pk_add_f32 v[58:59], v[58:59], v[138:139] neg_lo:[0,1] neg_hi:[0,1]
	v_pk_add_f32 v[62:63], v[62:63], v[136:137] neg_lo:[0,1] neg_hi:[0,1]
	s_wait_dscnt 0x0
	v_pk_mul_f32 v[136:137], v[132:133], v[124:125] op_sel:[0,1]
	s_delay_alu instid0(VALU_DEP_1) | instskip(SKIP_1) | instid1(VALU_DEP_1)
	v_pk_fma_f32 v[138:139], v[132:133], v[122:123], v[136:137] op_sel:[0,0,1] op_sel_hi:[1,1,0] neg_lo:[0,0,1] neg_hi:[0,0,1]
	v_pk_fma_f32 v[132:133], v[132:133], v[122:123], v[136:137] op_sel:[0,0,1] op_sel_hi:[1,0,0]
	v_mov_b32_e32 v139, v133
	v_pk_mul_f32 v[132:133], v[134:135], v[124:125] op_sel:[0,1]
	s_delay_alu instid0(VALU_DEP_1) | instskip(SKIP_1) | instid1(VALU_DEP_1)
	v_pk_fma_f32 v[136:137], v[134:135], v[122:123], v[132:133] op_sel:[0,0,1] op_sel_hi:[1,1,0] neg_lo:[0,0,1] neg_hi:[0,0,1]
	v_pk_fma_f32 v[132:133], v[134:135], v[122:123], v[132:133] op_sel:[0,0,1] op_sel_hi:[1,0,0]
	v_mov_b32_e32 v137, v133
	ds_load_2addr_b64 v[132:135], v126 offset0:25 offset1:26
	v_pk_add_f32 v[56:57], v[56:57], v[138:139] neg_lo:[0,1] neg_hi:[0,1]
	v_pk_add_f32 v[100:101], v[100:101], v[136:137] neg_lo:[0,1] neg_hi:[0,1]
	s_wait_dscnt 0x0
	v_dual_mul_f32 v136, v133, v125 :: v_dual_mul_f32 v138, v133, v122
	s_delay_alu instid0(VALU_DEP_1) | instskip(NEXT) | instid1(VALU_DEP_2)
	v_pk_fma_f32 v[136:137], v[132:133], v[104:105], v[136:137] op_sel_hi:[1,1,0] neg_lo:[0,0,1] neg_hi:[0,0,1]
	v_pk_fma_f32 v[132:133], v[132:133], v[104:105], v[138:139] op_sel:[1,0,0] op_sel_hi:[0,1,0]
	s_delay_alu instid0(VALU_DEP_1) | instskip(SKIP_1) | instid1(VALU_DEP_2)
	v_mov_b32_e32 v137, v133
	v_pk_mul_f32 v[132:133], v[134:135], v[124:125] op_sel:[0,1]
	v_pk_add_f32 v[52:53], v[52:53], v[136:137] neg_lo:[0,1] neg_hi:[0,1]
	s_delay_alu instid0(VALU_DEP_2) | instskip(SKIP_1) | instid1(VALU_DEP_1)
	v_pk_fma_f32 v[136:137], v[134:135], v[122:123], v[132:133] op_sel:[0,0,1] op_sel_hi:[1,1,0] neg_lo:[0,0,1] neg_hi:[0,0,1]
	v_pk_fma_f32 v[132:133], v[134:135], v[122:123], v[132:133] op_sel:[0,0,1] op_sel_hi:[1,0,0]
	v_mov_b32_e32 v137, v133
	ds_load_2addr_b64 v[132:135], v126 offset0:27 offset1:28
	v_pk_add_f32 v[54:55], v[54:55], v[136:137] neg_lo:[0,1] neg_hi:[0,1]
	s_wait_dscnt 0x0
	v_pk_mul_f32 v[136:137], v[132:133], v[124:125] op_sel:[0,1]
	s_delay_alu instid0(VALU_DEP_1) | instskip(SKIP_1) | instid1(VALU_DEP_1)
	v_pk_fma_f32 v[138:139], v[132:133], v[122:123], v[136:137] op_sel:[0,0,1] op_sel_hi:[1,1,0] neg_lo:[0,0,1] neg_hi:[0,0,1]
	v_pk_fma_f32 v[132:133], v[132:133], v[122:123], v[136:137] op_sel:[0,0,1] op_sel_hi:[1,0,0]
	v_mov_b32_e32 v139, v133
	v_pk_mul_f32 v[132:133], v[134:135], v[124:125] op_sel:[0,1]
	s_delay_alu instid0(VALU_DEP_2) | instskip(NEXT) | instid1(VALU_DEP_2)
	v_pk_add_f32 v[50:51], v[50:51], v[138:139] neg_lo:[0,1] neg_hi:[0,1]
	v_pk_fma_f32 v[136:137], v[134:135], v[122:123], v[132:133] op_sel:[0,0,1] op_sel_hi:[1,1,0] neg_lo:[0,0,1] neg_hi:[0,0,1]
	v_pk_fma_f32 v[132:133], v[134:135], v[122:123], v[132:133] op_sel:[0,0,1] op_sel_hi:[1,0,0]
	s_delay_alu instid0(VALU_DEP_1) | instskip(SKIP_4) | instid1(VALU_DEP_1)
	v_mov_b32_e32 v137, v133
	ds_load_2addr_b64 v[132:135], v126 offset0:29 offset1:30
	v_pk_add_f32 v[96:97], v[96:97], v[136:137] neg_lo:[0,1] neg_hi:[0,1]
	s_wait_dscnt 0x0
	v_pk_mul_f32 v[136:137], v[132:133], v[124:125] op_sel:[0,1]
	v_pk_fma_f32 v[138:139], v[132:133], v[122:123], v[136:137] op_sel:[0,0,1] op_sel_hi:[1,1,0] neg_lo:[0,0,1] neg_hi:[0,0,1]
	v_pk_fma_f32 v[132:133], v[132:133], v[122:123], v[136:137] op_sel:[0,0,1] op_sel_hi:[1,0,0]
	v_dual_mul_f32 v136, v135, v125 :: v_dual_mov_b32 v132, v135
	s_delay_alu instid0(VALU_DEP_2) | instskip(NEXT) | instid1(VALU_DEP_2)
	v_dual_mov_b32 v139, v133 :: v_dual_mov_b32 v133, v134
	v_pk_fma_f32 v[136:137], v[134:135], v[104:105], v[136:137] op_sel_hi:[1,1,0] neg_lo:[0,0,1] neg_hi:[0,0,1]
	v_mul_f32_e32 v134, v135, v122
	s_delay_alu instid0(VALU_DEP_3) | instskip(NEXT) | instid1(VALU_DEP_2)
	v_pk_add_f32 v[46:47], v[46:47], v[138:139] neg_lo:[0,1] neg_hi:[0,1]
	v_pk_fma_f32 v[132:133], v[132:133], v[104:105], v[134:135] op_sel_hi:[1,1,0]
	s_delay_alu instid0(VALU_DEP_1) | instskip(SKIP_4) | instid1(VALU_DEP_1)
	v_mov_b32_e32 v137, v133
	ds_load_2addr_b64 v[132:135], v126 offset0:31 offset1:32
	v_pk_add_f32 v[48:49], v[48:49], v[136:137] neg_lo:[0,1] neg_hi:[0,1]
	s_wait_dscnt 0x0
	v_pk_mul_f32 v[136:137], v[132:133], v[124:125] op_sel:[0,1]
	v_pk_fma_f32 v[138:139], v[132:133], v[122:123], v[136:137] op_sel:[0,0,1] op_sel_hi:[1,1,0] neg_lo:[0,0,1] neg_hi:[0,0,1]
	v_pk_fma_f32 v[132:133], v[132:133], v[122:123], v[136:137] op_sel:[0,0,1] op_sel_hi:[1,0,0]
	s_delay_alu instid0(VALU_DEP_1) | instskip(SKIP_1) | instid1(VALU_DEP_1)
	v_mov_b32_e32 v139, v133
	v_pk_mul_f32 v[132:133], v[134:135], v[124:125] op_sel:[0,1]
	v_pk_fma_f32 v[136:137], v[134:135], v[122:123], v[132:133] op_sel:[0,0,1] op_sel_hi:[1,1,0] neg_lo:[0,0,1] neg_hi:[0,0,1]
	v_pk_fma_f32 v[132:133], v[134:135], v[122:123], v[132:133] op_sel:[0,0,1] op_sel_hi:[1,0,0]
	s_delay_alu instid0(VALU_DEP_1)
	v_mov_b32_e32 v137, v133
	ds_load_2addr_b64 v[132:135], v126 offset0:33 offset1:34
	v_pk_add_f32 v[44:45], v[44:45], v[138:139] neg_lo:[0,1] neg_hi:[0,1]
	v_pk_add_f32 v[94:95], v[94:95], v[136:137] neg_lo:[0,1] neg_hi:[0,1]
	s_wait_dscnt 0x0
	v_pk_mul_f32 v[136:137], v[132:133], v[124:125] op_sel:[0,1]
	s_delay_alu instid0(VALU_DEP_1) | instskip(SKIP_1) | instid1(VALU_DEP_1)
	v_pk_fma_f32 v[138:139], v[132:133], v[122:123], v[136:137] op_sel:[0,0,1] op_sel_hi:[1,1,0] neg_lo:[0,0,1] neg_hi:[0,0,1]
	v_pk_fma_f32 v[132:133], v[132:133], v[122:123], v[136:137] op_sel:[0,0,1] op_sel_hi:[1,0,0]
	v_mov_b32_e32 v139, v133
	v_pk_mul_f32 v[132:133], v[134:135], v[124:125] op_sel:[0,1]
	s_delay_alu instid0(VALU_DEP_1) | instskip(SKIP_1) | instid1(VALU_DEP_1)
	v_pk_fma_f32 v[136:137], v[134:135], v[122:123], v[132:133] op_sel:[0,0,1] op_sel_hi:[1,1,0] neg_lo:[0,0,1] neg_hi:[0,0,1]
	v_pk_fma_f32 v[132:133], v[134:135], v[122:123], v[132:133] op_sel:[0,0,1] op_sel_hi:[1,0,0]
	v_mov_b32_e32 v137, v133
	ds_load_2addr_b64 v[132:135], v126 offset0:35 offset1:36
	v_pk_add_f32 v[38:39], v[38:39], v[138:139] neg_lo:[0,1] neg_hi:[0,1]
	v_pk_add_f32 v[40:41], v[40:41], v[136:137] neg_lo:[0,1] neg_hi:[0,1]
	s_wait_dscnt 0x0
	v_dual_mul_f32 v136, v133, v125 :: v_dual_mul_f32 v138, v133, v122
	s_delay_alu instid0(VALU_DEP_1) | instskip(NEXT) | instid1(VALU_DEP_2)
	v_pk_fma_f32 v[136:137], v[132:133], v[104:105], v[136:137] op_sel_hi:[1,1,0] neg_lo:[0,0,1] neg_hi:[0,0,1]
	v_pk_fma_f32 v[132:133], v[132:133], v[104:105], v[138:139] op_sel:[1,0,0] op_sel_hi:[0,1,0]
	s_delay_alu instid0(VALU_DEP_1) | instskip(SKIP_1) | instid1(VALU_DEP_2)
	v_mov_b32_e32 v137, v133
	v_pk_mul_f32 v[132:133], v[134:135], v[124:125] op_sel:[0,1]
	v_pk_add_f32 v[36:37], v[36:37], v[136:137] neg_lo:[0,1] neg_hi:[0,1]
	s_delay_alu instid0(VALU_DEP_2) | instskip(SKIP_1) | instid1(VALU_DEP_1)
	v_pk_fma_f32 v[136:137], v[134:135], v[122:123], v[132:133] op_sel:[0,0,1] op_sel_hi:[1,1,0] neg_lo:[0,0,1] neg_hi:[0,0,1]
	v_pk_fma_f32 v[132:133], v[134:135], v[122:123], v[132:133] op_sel:[0,0,1] op_sel_hi:[1,0,0]
	v_mov_b32_e32 v137, v133
	ds_load_2addr_b64 v[132:135], v126 offset0:37 offset1:38
	v_pk_add_f32 v[92:93], v[92:93], v[136:137] neg_lo:[0,1] neg_hi:[0,1]
	s_wait_dscnt 0x0
	v_pk_mul_f32 v[136:137], v[132:133], v[124:125] op_sel:[0,1]
	s_delay_alu instid0(VALU_DEP_1) | instskip(SKIP_1) | instid1(VALU_DEP_1)
	v_pk_fma_f32 v[138:139], v[132:133], v[122:123], v[136:137] op_sel:[0,0,1] op_sel_hi:[1,1,0] neg_lo:[0,0,1] neg_hi:[0,0,1]
	v_pk_fma_f32 v[132:133], v[132:133], v[122:123], v[136:137] op_sel:[0,0,1] op_sel_hi:[1,0,0]
	v_mov_b32_e32 v139, v133
	v_pk_mul_f32 v[132:133], v[134:135], v[124:125] op_sel:[0,1]
	s_delay_alu instid0(VALU_DEP_2) | instskip(NEXT) | instid1(VALU_DEP_2)
	v_pk_add_f32 v[32:33], v[32:33], v[138:139] neg_lo:[0,1] neg_hi:[0,1]
	v_pk_fma_f32 v[136:137], v[134:135], v[122:123], v[132:133] op_sel:[0,0,1] op_sel_hi:[1,1,0] neg_lo:[0,0,1] neg_hi:[0,0,1]
	v_pk_fma_f32 v[132:133], v[134:135], v[122:123], v[132:133] op_sel:[0,0,1] op_sel_hi:[1,0,0]
	s_delay_alu instid0(VALU_DEP_1) | instskip(SKIP_4) | instid1(VALU_DEP_1)
	v_mov_b32_e32 v137, v133
	ds_load_2addr_b64 v[132:135], v126 offset0:39 offset1:40
	v_pk_add_f32 v[34:35], v[34:35], v[136:137] neg_lo:[0,1] neg_hi:[0,1]
	s_wait_dscnt 0x0
	v_pk_mul_f32 v[136:137], v[132:133], v[124:125] op_sel:[0,1]
	v_pk_fma_f32 v[138:139], v[132:133], v[122:123], v[136:137] op_sel:[0,0,1] op_sel_hi:[1,1,0] neg_lo:[0,0,1] neg_hi:[0,0,1]
	v_pk_fma_f32 v[132:133], v[132:133], v[122:123], v[136:137] op_sel:[0,0,1] op_sel_hi:[1,0,0]
	v_dual_mul_f32 v136, v135, v125 :: v_dual_mov_b32 v132, v135
	s_delay_alu instid0(VALU_DEP_2) | instskip(NEXT) | instid1(VALU_DEP_2)
	v_dual_mov_b32 v139, v133 :: v_dual_mov_b32 v133, v134
	v_pk_fma_f32 v[136:137], v[134:135], v[104:105], v[136:137] op_sel_hi:[1,1,0] neg_lo:[0,0,1] neg_hi:[0,0,1]
	v_mul_f32_e32 v134, v135, v122
	s_delay_alu instid0(VALU_DEP_3) | instskip(NEXT) | instid1(VALU_DEP_2)
	v_pk_add_f32 v[30:31], v[30:31], v[138:139] neg_lo:[0,1] neg_hi:[0,1]
	v_pk_fma_f32 v[132:133], v[132:133], v[104:105], v[134:135] op_sel_hi:[1,1,0]
	s_delay_alu instid0(VALU_DEP_1) | instskip(SKIP_4) | instid1(VALU_DEP_1)
	v_mov_b32_e32 v137, v133
	ds_load_2addr_b64 v[132:135], v126 offset0:41 offset1:42
	v_pk_add_f32 v[90:91], v[90:91], v[136:137] neg_lo:[0,1] neg_hi:[0,1]
	s_wait_dscnt 0x0
	v_pk_mul_f32 v[136:137], v[132:133], v[124:125] op_sel:[0,1]
	v_pk_fma_f32 v[138:139], v[132:133], v[122:123], v[136:137] op_sel:[0,0,1] op_sel_hi:[1,1,0] neg_lo:[0,0,1] neg_hi:[0,0,1]
	v_pk_fma_f32 v[132:133], v[132:133], v[122:123], v[136:137] op_sel:[0,0,1] op_sel_hi:[1,0,0]
	s_delay_alu instid0(VALU_DEP_1) | instskip(SKIP_1) | instid1(VALU_DEP_1)
	v_mov_b32_e32 v139, v133
	v_pk_mul_f32 v[132:133], v[134:135], v[124:125] op_sel:[0,1]
	v_pk_fma_f32 v[136:137], v[134:135], v[122:123], v[132:133] op_sel:[0,0,1] op_sel_hi:[1,1,0] neg_lo:[0,0,1] neg_hi:[0,0,1]
	v_pk_fma_f32 v[132:133], v[134:135], v[122:123], v[132:133] op_sel:[0,0,1] op_sel_hi:[1,0,0]
	s_delay_alu instid0(VALU_DEP_1)
	v_mov_b32_e32 v137, v133
	ds_load_2addr_b64 v[132:135], v126 offset0:43 offset1:44
	v_pk_add_f32 v[24:25], v[24:25], v[138:139] neg_lo:[0,1] neg_hi:[0,1]
	v_pk_add_f32 v[26:27], v[26:27], v[136:137] neg_lo:[0,1] neg_hi:[0,1]
	s_wait_dscnt 0x0
	v_pk_mul_f32 v[136:137], v[132:133], v[124:125] op_sel:[0,1]
	s_delay_alu instid0(VALU_DEP_1) | instskip(SKIP_1) | instid1(VALU_DEP_1)
	v_pk_fma_f32 v[138:139], v[132:133], v[122:123], v[136:137] op_sel:[0,0,1] op_sel_hi:[1,1,0] neg_lo:[0,0,1] neg_hi:[0,0,1]
	v_pk_fma_f32 v[132:133], v[132:133], v[122:123], v[136:137] op_sel:[0,0,1] op_sel_hi:[1,0,0]
	v_mov_b32_e32 v139, v133
	v_pk_mul_f32 v[132:133], v[134:135], v[124:125] op_sel:[0,1]
	s_delay_alu instid0(VALU_DEP_1) | instskip(SKIP_1) | instid1(VALU_DEP_1)
	v_pk_fma_f32 v[136:137], v[134:135], v[122:123], v[132:133] op_sel:[0,0,1] op_sel_hi:[1,1,0] neg_lo:[0,0,1] neg_hi:[0,0,1]
	v_pk_fma_f32 v[132:133], v[134:135], v[122:123], v[132:133] op_sel:[0,0,1] op_sel_hi:[1,0,0]
	v_mov_b32_e32 v137, v133
	ds_load_2addr_b64 v[132:135], v126 offset0:45 offset1:46
	v_pk_add_f32 v[22:23], v[22:23], v[138:139] neg_lo:[0,1] neg_hi:[0,1]
	v_pk_add_f32 v[88:89], v[88:89], v[136:137] neg_lo:[0,1] neg_hi:[0,1]
	s_wait_dscnt 0x0
	v_dual_mul_f32 v136, v133, v125 :: v_dual_mul_f32 v138, v133, v122
	s_delay_alu instid0(VALU_DEP_1) | instskip(NEXT) | instid1(VALU_DEP_2)
	v_pk_fma_f32 v[136:137], v[132:133], v[104:105], v[136:137] op_sel_hi:[1,1,0] neg_lo:[0,0,1] neg_hi:[0,0,1]
	v_pk_fma_f32 v[132:133], v[132:133], v[104:105], v[138:139] op_sel:[1,0,0] op_sel_hi:[0,1,0]
	s_delay_alu instid0(VALU_DEP_1) | instskip(SKIP_1) | instid1(VALU_DEP_2)
	v_mov_b32_e32 v137, v133
	v_pk_mul_f32 v[132:133], v[134:135], v[124:125] op_sel:[0,1]
	v_pk_add_f32 v[18:19], v[18:19], v[136:137] neg_lo:[0,1] neg_hi:[0,1]
	s_delay_alu instid0(VALU_DEP_2) | instskip(SKIP_1) | instid1(VALU_DEP_1)
	v_pk_fma_f32 v[136:137], v[134:135], v[122:123], v[132:133] op_sel:[0,0,1] op_sel_hi:[1,1,0] neg_lo:[0,0,1] neg_hi:[0,0,1]
	v_pk_fma_f32 v[132:133], v[134:135], v[122:123], v[132:133] op_sel:[0,0,1] op_sel_hi:[1,0,0]
	v_mov_b32_e32 v137, v133
	ds_load_2addr_b64 v[132:135], v126 offset0:47 offset1:48
	v_pk_add_f32 v[20:21], v[20:21], v[136:137] neg_lo:[0,1] neg_hi:[0,1]
	s_wait_dscnt 0x0
	v_pk_mul_f32 v[136:137], v[132:133], v[124:125] op_sel:[0,1]
	s_delay_alu instid0(VALU_DEP_1) | instskip(SKIP_1) | instid1(VALU_DEP_1)
	v_pk_fma_f32 v[138:139], v[132:133], v[122:123], v[136:137] op_sel:[0,0,1] op_sel_hi:[1,1,0] neg_lo:[0,0,1] neg_hi:[0,0,1]
	v_pk_fma_f32 v[132:133], v[132:133], v[122:123], v[136:137] op_sel:[0,0,1] op_sel_hi:[1,0,0]
	v_mov_b32_e32 v139, v133
	v_pk_mul_f32 v[132:133], v[134:135], v[124:125] op_sel:[0,1]
	s_delay_alu instid0(VALU_DEP_2) | instskip(NEXT) | instid1(VALU_DEP_2)
	v_pk_add_f32 v[16:17], v[16:17], v[138:139] neg_lo:[0,1] neg_hi:[0,1]
	v_pk_fma_f32 v[136:137], v[134:135], v[122:123], v[132:133] op_sel:[0,0,1] op_sel_hi:[1,1,0] neg_lo:[0,0,1] neg_hi:[0,0,1]
	v_pk_fma_f32 v[132:133], v[134:135], v[122:123], v[132:133] op_sel:[0,0,1] op_sel_hi:[1,0,0]
	s_delay_alu instid0(VALU_DEP_1) | instskip(SKIP_4) | instid1(VALU_DEP_1)
	v_mov_b32_e32 v137, v133
	ds_load_2addr_b64 v[132:135], v126 offset0:49 offset1:50
	v_pk_add_f32 v[84:85], v[84:85], v[136:137] neg_lo:[0,1] neg_hi:[0,1]
	s_wait_dscnt 0x0
	v_pk_mul_f32 v[136:137], v[132:133], v[124:125] op_sel:[0,1]
	v_pk_fma_f32 v[138:139], v[132:133], v[122:123], v[136:137] op_sel:[0,0,1] op_sel_hi:[1,1,0] neg_lo:[0,0,1] neg_hi:[0,0,1]
	v_pk_fma_f32 v[132:133], v[132:133], v[122:123], v[136:137] op_sel:[0,0,1] op_sel_hi:[1,0,0]
	v_dual_mul_f32 v136, v135, v125 :: v_dual_mov_b32 v132, v135
	s_delay_alu instid0(VALU_DEP_2) | instskip(NEXT) | instid1(VALU_DEP_2)
	v_dual_mov_b32 v139, v133 :: v_dual_mov_b32 v133, v134
	v_pk_fma_f32 v[136:137], v[134:135], v[104:105], v[136:137] op_sel_hi:[1,1,0] neg_lo:[0,0,1] neg_hi:[0,0,1]
	v_mul_f32_e32 v134, v135, v122
	s_delay_alu instid0(VALU_DEP_3) | instskip(NEXT) | instid1(VALU_DEP_2)
	v_pk_add_f32 v[10:11], v[10:11], v[138:139] neg_lo:[0,1] neg_hi:[0,1]
	v_pk_fma_f32 v[132:133], v[132:133], v[104:105], v[134:135] op_sel_hi:[1,1,0]
	s_delay_alu instid0(VALU_DEP_1) | instskip(SKIP_4) | instid1(VALU_DEP_1)
	v_mov_b32_e32 v137, v133
	ds_load_2addr_b64 v[132:135], v126 offset0:51 offset1:52
	v_pk_add_f32 v[12:13], v[12:13], v[136:137] neg_lo:[0,1] neg_hi:[0,1]
	s_wait_dscnt 0x0
	v_pk_mul_f32 v[136:137], v[132:133], v[124:125] op_sel:[0,1]
	v_pk_fma_f32 v[138:139], v[132:133], v[122:123], v[136:137] op_sel:[0,0,1] op_sel_hi:[1,1,0] neg_lo:[0,0,1] neg_hi:[0,0,1]
	v_pk_fma_f32 v[132:133], v[132:133], v[122:123], v[136:137] op_sel:[0,0,1] op_sel_hi:[1,0,0]
	s_delay_alu instid0(VALU_DEP_1) | instskip(SKIP_1) | instid1(VALU_DEP_1)
	v_mov_b32_e32 v139, v133
	v_pk_mul_f32 v[132:133], v[134:135], v[124:125] op_sel:[0,1]
	v_pk_fma_f32 v[136:137], v[134:135], v[122:123], v[132:133] op_sel:[0,0,1] op_sel_hi:[1,1,0] neg_lo:[0,0,1] neg_hi:[0,0,1]
	v_pk_fma_f32 v[132:133], v[134:135], v[122:123], v[132:133] op_sel:[0,0,1] op_sel_hi:[1,0,0]
	s_delay_alu instid0(VALU_DEP_1)
	v_mov_b32_e32 v137, v133
	ds_load_2addr_b64 v[132:135], v126 offset0:53 offset1:54
	v_pk_add_f32 v[8:9], v[8:9], v[138:139] neg_lo:[0,1] neg_hi:[0,1]
	v_pk_add_f32 v[60:61], v[60:61], v[136:137] neg_lo:[0,1] neg_hi:[0,1]
	s_wait_dscnt 0x0
	v_pk_mul_f32 v[136:137], v[132:133], v[124:125] op_sel:[0,1]
	s_delay_alu instid0(VALU_DEP_1) | instskip(SKIP_1) | instid1(VALU_DEP_1)
	v_pk_fma_f32 v[138:139], v[132:133], v[122:123], v[136:137] op_sel:[0,0,1] op_sel_hi:[1,1,0] neg_lo:[0,0,1] neg_hi:[0,0,1]
	v_pk_fma_f32 v[132:133], v[132:133], v[122:123], v[136:137] op_sel:[0,0,1] op_sel_hi:[1,0,0]
	v_mov_b32_e32 v139, v133
	v_pk_mul_f32 v[132:133], v[134:135], v[124:125] op_sel:[0,1]
	s_delay_alu instid0(VALU_DEP_1) | instskip(SKIP_1) | instid1(VALU_DEP_1)
	v_pk_fma_f32 v[136:137], v[134:135], v[122:123], v[132:133] op_sel:[0,0,1] op_sel_hi:[1,1,0] neg_lo:[0,0,1] neg_hi:[0,0,1]
	v_pk_fma_f32 v[132:133], v[134:135], v[122:123], v[132:133] op_sel:[0,0,1] op_sel_hi:[1,0,0]
	v_mov_b32_e32 v137, v133
	ds_load_2addr_b64 v[132:135], v126 offset0:55 offset1:56
	v_pk_add_f32 v[6:7], v[6:7], v[138:139] neg_lo:[0,1] neg_hi:[0,1]
	v_pk_add_f32 v[42:43], v[42:43], v[136:137] neg_lo:[0,1] neg_hi:[0,1]
	s_wait_dscnt 0x0
	v_dual_mul_f32 v136, v133, v125 :: v_dual_mul_f32 v138, v133, v122
	s_delay_alu instid0(VALU_DEP_1) | instskip(NEXT) | instid1(VALU_DEP_2)
	v_pk_fma_f32 v[136:137], v[132:133], v[104:105], v[136:137] op_sel_hi:[1,1,0] neg_lo:[0,0,1] neg_hi:[0,0,1]
	v_pk_fma_f32 v[132:133], v[132:133], v[104:105], v[138:139] op_sel:[1,0,0] op_sel_hi:[0,1,0]
	s_delay_alu instid0(VALU_DEP_1) | instskip(SKIP_1) | instid1(VALU_DEP_2)
	v_mov_b32_e32 v137, v133
	v_pk_mul_f32 v[132:133], v[134:135], v[124:125] op_sel:[0,1]
	v_pk_add_f32 v[28:29], v[28:29], v[136:137] neg_lo:[0,1] neg_hi:[0,1]
	s_delay_alu instid0(VALU_DEP_2) | instskip(SKIP_1) | instid1(VALU_DEP_1)
	v_pk_fma_f32 v[136:137], v[134:135], v[122:123], v[132:133] op_sel:[0,0,1] op_sel_hi:[1,1,0] neg_lo:[0,0,1] neg_hi:[0,0,1]
	v_pk_fma_f32 v[132:133], v[134:135], v[122:123], v[132:133] op_sel:[0,0,1] op_sel_hi:[1,0,0]
	v_mov_b32_e32 v137, v133
	ds_load_b64 v[132:133], v126 offset:456
	v_pk_add_f32 v[14:15], v[14:15], v[136:137] neg_lo:[0,1] neg_hi:[0,1]
	s_wait_dscnt 0x0
	v_pk_mul_f32 v[124:125], v[132:133], v[124:125] op_sel:[0,1]
	s_delay_alu instid0(VALU_DEP_1) | instskip(SKIP_1) | instid1(VALU_DEP_1)
	v_pk_fma_f32 v[134:135], v[132:133], v[122:123], v[124:125] op_sel:[0,0,1] op_sel_hi:[1,1,0] neg_lo:[0,0,1] neg_hi:[0,0,1]
	v_pk_fma_f32 v[122:123], v[132:133], v[122:123], v[124:125] op_sel:[0,0,1] op_sel_hi:[1,0,0]
	v_mov_b32_e32 v135, v123
	s_delay_alu instid0(VALU_DEP_1)
	v_pk_add_f32 v[120:121], v[120:121], v[134:135] neg_lo:[0,1] neg_hi:[0,1]
.LBB114_356:
	s_or_b32 exec_lo, exec_lo, s0
	v_lshl_add_u32 v122, v130, 3, v126
	s_barrier_signal -1
	s_barrier_wait -1
	ds_store_b64 v122, v[66:67]
	s_wait_dscnt 0x0
	s_barrier_signal -1
	s_barrier_wait -1
	ds_load_b64 v[124:125], v126 offset:136
	v_mov_b32_e32 v122, 17
	s_cmp_lt_i32 s18, 19
	s_cbranch_scc1 .LBB114_359
; %bb.357:
	v_add3_u32 v123, v127, 0, 0x90
	v_mov_b32_e32 v122, 17
	s_mov_b32 s0, 18
.LBB114_358:                            ; =>This Inner Loop Header: Depth=1
	ds_load_b64 v[132:133], v123
	s_wait_dscnt 0x1
	v_cmp_gt_f32_e32 vcc_lo, 0, v124
	v_cndmask_b32_e64 v134, v124, -v124, vcc_lo
	v_cmp_gt_f32_e32 vcc_lo, 0, v125
	v_cndmask_b32_e64 v136, v125, -v125, vcc_lo
	s_wait_dscnt 0x0
	v_cmp_gt_f32_e32 vcc_lo, 0, v132
	v_cndmask_b32_e64 v135, v132, -v132, vcc_lo
	v_cmp_gt_f32_e32 vcc_lo, 0, v133
	v_cndmask_b32_e64 v137, v133, -v133, vcc_lo
	s_delay_alu instid0(VALU_DEP_1) | instskip(NEXT) | instid1(VALU_DEP_1)
	v_pk_add_f32 v[134:135], v[134:135], v[136:137]
	v_cmp_lt_f32_e32 vcc_lo, v134, v135
	v_dual_add_nc_u32 v123, 8, v123 :: v_dual_cndmask_b32 v125, v125, v133, vcc_lo
	v_cndmask_b32_e32 v124, v124, v132, vcc_lo
	v_cndmask_b32_e64 v122, v122, s0, vcc_lo
	s_add_co_i32 s0, s0, 1
	s_delay_alu instid0(SALU_CYCLE_1)
	s_cmp_lg_u32 s18, s0
	s_cbranch_scc1 .LBB114_358
.LBB114_359:
	s_wait_dscnt 0x0
	v_cmp_eq_f32_e32 vcc_lo, 0, v124
	v_cmp_eq_f32_e64 s0, 0, v125
	s_and_b32 s0, vcc_lo, s0
	s_delay_alu instid0(SALU_CYCLE_1) | instskip(NEXT) | instid1(SALU_CYCLE_1)
	s_and_saveexec_b32 s1, s0
	s_xor_b32 s0, exec_lo, s1
; %bb.360:
	v_cmp_ne_u32_e32 vcc_lo, 0, v128
	v_cndmask_b32_e32 v128, 18, v128, vcc_lo
; %bb.361:
	s_and_not1_saveexec_b32 s0, s0
	s_cbranch_execz .LBB114_367
; %bb.362:
	v_cmp_ngt_f32_e64 s1, |v124|, |v125|
	s_and_saveexec_b32 s12, s1
	s_delay_alu instid0(SALU_CYCLE_1)
	s_xor_b32 s1, exec_lo, s12
	s_cbranch_execz .LBB114_364
; %bb.363:
	v_div_scale_f32 v123, null, v125, v125, v124
	v_div_scale_f32 v133, vcc_lo, v124, v125, v124
	s_delay_alu instid0(VALU_DEP_2) | instskip(SKIP_1) | instid1(TRANS32_DEP_1)
	v_rcp_f32_e32 v131, v123
	v_nop
	v_fma_f32 v132, -v123, v131, 1.0
	s_delay_alu instid0(VALU_DEP_1) | instskip(NEXT) | instid1(VALU_DEP_1)
	v_fmac_f32_e32 v131, v132, v131
	v_mul_f32_e32 v132, v133, v131
	s_delay_alu instid0(VALU_DEP_1) | instskip(NEXT) | instid1(VALU_DEP_1)
	v_fma_f32 v134, -v123, v132, v133
	v_fmac_f32_e32 v132, v134, v131
	s_delay_alu instid0(VALU_DEP_1) | instskip(NEXT) | instid1(VALU_DEP_1)
	v_fma_f32 v123, -v123, v132, v133
	v_div_fmas_f32 v123, v123, v131, v132
	s_delay_alu instid0(VALU_DEP_1) | instskip(NEXT) | instid1(VALU_DEP_1)
	v_div_fixup_f32 v123, v123, v125, v124
	v_fmac_f32_e32 v125, v124, v123
	s_delay_alu instid0(VALU_DEP_1) | instskip(SKIP_1) | instid1(VALU_DEP_2)
	v_div_scale_f32 v124, null, v125, v125, 1.0
	v_div_scale_f32 v133, vcc_lo, 1.0, v125, 1.0
	v_rcp_f32_e32 v131, v124
	v_nop
	s_delay_alu instid0(TRANS32_DEP_1) | instskip(NEXT) | instid1(VALU_DEP_1)
	v_fma_f32 v132, -v124, v131, 1.0
	v_fmac_f32_e32 v131, v132, v131
	s_delay_alu instid0(VALU_DEP_1) | instskip(NEXT) | instid1(VALU_DEP_1)
	v_mul_f32_e32 v132, v133, v131
	v_fma_f32 v134, -v124, v132, v133
	s_delay_alu instid0(VALU_DEP_1) | instskip(NEXT) | instid1(VALU_DEP_1)
	v_fmac_f32_e32 v132, v134, v131
	v_fma_f32 v124, -v124, v132, v133
	s_delay_alu instid0(VALU_DEP_1) | instskip(NEXT) | instid1(VALU_DEP_1)
	v_div_fmas_f32 v124, v124, v131, v132
	v_div_fixup_f32 v125, v124, v125, 1.0
	s_delay_alu instid0(VALU_DEP_1)
	v_mul_f32_e32 v124, v123, v125
	v_xor_b32_e32 v125, 0x80000000, v125
.LBB114_364:
	s_and_not1_saveexec_b32 s1, s1
	s_cbranch_execz .LBB114_366
; %bb.365:
	s_delay_alu instid0(VALU_DEP_1) | instskip(SKIP_1) | instid1(VALU_DEP_2)
	v_div_scale_f32 v123, null, v124, v124, v125
	v_div_scale_f32 v133, vcc_lo, v125, v124, v125
	v_rcp_f32_e32 v131, v123
	v_nop
	s_delay_alu instid0(TRANS32_DEP_1) | instskip(NEXT) | instid1(VALU_DEP_1)
	v_fma_f32 v132, -v123, v131, 1.0
	v_fmac_f32_e32 v131, v132, v131
	s_delay_alu instid0(VALU_DEP_1) | instskip(NEXT) | instid1(VALU_DEP_1)
	v_mul_f32_e32 v132, v133, v131
	v_fma_f32 v134, -v123, v132, v133
	s_delay_alu instid0(VALU_DEP_1) | instskip(NEXT) | instid1(VALU_DEP_1)
	v_fmac_f32_e32 v132, v134, v131
	v_fma_f32 v123, -v123, v132, v133
	s_delay_alu instid0(VALU_DEP_1) | instskip(NEXT) | instid1(VALU_DEP_1)
	v_div_fmas_f32 v123, v123, v131, v132
	v_div_fixup_f32 v123, v123, v124, v125
	s_delay_alu instid0(VALU_DEP_1) | instskip(NEXT) | instid1(VALU_DEP_1)
	v_fmac_f32_e32 v124, v125, v123
	v_div_scale_f32 v125, null, v124, v124, 1.0
	s_delay_alu instid0(VALU_DEP_1) | instskip(SKIP_1) | instid1(TRANS32_DEP_1)
	v_rcp_f32_e32 v131, v125
	v_nop
	v_fma_f32 v132, -v125, v131, 1.0
	s_delay_alu instid0(VALU_DEP_1) | instskip(SKIP_1) | instid1(VALU_DEP_1)
	v_fmac_f32_e32 v131, v132, v131
	v_div_scale_f32 v132, vcc_lo, 1.0, v124, 1.0
	v_mul_f32_e32 v133, v132, v131
	s_delay_alu instid0(VALU_DEP_1) | instskip(NEXT) | instid1(VALU_DEP_1)
	v_fma_f32 v134, -v125, v133, v132
	v_fmac_f32_e32 v133, v134, v131
	s_delay_alu instid0(VALU_DEP_1) | instskip(NEXT) | instid1(VALU_DEP_1)
	v_fma_f32 v125, -v125, v133, v132
	v_div_fmas_f32 v125, v125, v131, v133
	s_delay_alu instid0(VALU_DEP_1) | instskip(NEXT) | instid1(VALU_DEP_1)
	v_div_fixup_f32 v124, v125, v124, 1.0
	v_mul_f32_e64 v125, v123, -v124
.LBB114_366:
	s_or_b32 exec_lo, exec_lo, s1
.LBB114_367:
	s_delay_alu instid0(SALU_CYCLE_1) | instskip(NEXT) | instid1(SALU_CYCLE_1)
	s_or_b32 exec_lo, exec_lo, s0
	s_mov_b32 s0, exec_lo
	v_cmpx_ne_u32_e64 v130, v122
	s_xor_b32 s0, exec_lo, s0
	s_cbranch_execz .LBB114_373
; %bb.368:
	s_mov_b32 s1, exec_lo
	v_cmpx_eq_u32_e32 17, v130
	s_cbranch_execz .LBB114_372
; %bb.369:
	v_cmp_ne_u32_e32 vcc_lo, 17, v122
	s_xor_b32 s12, s16, -1
	s_delay_alu instid0(SALU_CYCLE_1) | instskip(NEXT) | instid1(SALU_CYCLE_1)
	s_and_b32 s13, s12, vcc_lo
	s_and_saveexec_b32 s12, s13
	s_cbranch_execz .LBB114_371
; %bb.370:
	v_ashrrev_i32_e32 v123, 31, v122
	s_delay_alu instid0(VALU_DEP_1)
	v_lshl_add_u64 v[130:131], v[122:123], 2, v[4:5]
	s_clause 0x1
	global_load_b32 v123, v[130:131], off
	global_load_b32 v129, v[4:5], off offset:68
	s_wait_loadcnt 0x1
	global_store_b32 v[4:5], v123, off offset:68
	s_wait_loadcnt 0x0
	global_store_b32 v[130:131], v129, off
.LBB114_371:
	s_wait_xcnt 0x0
	s_or_b32 exec_lo, exec_lo, s12
	v_dual_mov_b32 v130, v122 :: v_dual_mov_b32 v129, v122
.LBB114_372:
	s_or_b32 exec_lo, exec_lo, s1
.LBB114_373:
	s_and_not1_saveexec_b32 s0, s0
	s_cbranch_execz .LBB114_375
; %bb.374:
	v_dual_mov_b32 v122, v68 :: v_dual_mov_b32 v123, v69
	v_dual_mov_b32 v130, v64 :: v_dual_mov_b32 v131, v65
	ds_store_2addr_b64 v126, v[122:123], v[130:131] offset0:18 offset1:19
	v_dual_mov_b32 v122, v102 :: v_dual_mov_b32 v123, v103
	v_dual_mov_b32 v130, v58 :: v_dual_mov_b32 v131, v59
	ds_store_2addr_b64 v126, v[122:123], v[130:131] offset0:20 offset1:21
	;; [unrolled: 3-line block ×19, first 2 shown]
	v_dual_mov_b32 v122, v14 :: v_dual_mov_b32 v123, v15
	v_mov_b32_e32 v130, 17
	ds_store_2addr_b64 v126, v[122:123], v[120:121] offset0:56 offset1:57
.LBB114_375:
	s_or_b32 exec_lo, exec_lo, s0
	s_delay_alu instid0(SALU_CYCLE_1)
	s_mov_b32 s0, exec_lo
	s_wait_storecnt_dscnt 0x0
	s_barrier_signal -1
	s_barrier_wait -1
	v_cmpx_lt_i32_e32 17, v130
	s_cbranch_execz .LBB114_377
; %bb.376:
	v_pk_mul_f32 v[132:133], v[124:125], v[66:67] op_sel:[1,1] op_sel_hi:[0,1]
	s_delay_alu instid0(VALU_DEP_1)
	v_pk_fma_f32 v[122:123], v[124:125], v[66:67], v[132:133] op_sel_hi:[1,0,1] neg_lo:[0,0,1] neg_hi:[0,0,1]
	v_pk_fma_f32 v[124:125], v[124:125], v[66:67], v[132:133] op_sel_hi:[1,0,1]
	ds_load_2addr_b64 v[132:135], v126 offset0:18 offset1:19
	v_dual_mov_b32 v66, v122 :: v_dual_mov_b32 v67, v125
	s_wait_dscnt 0x0
	v_pk_mul_f32 v[136:137], v[132:133], v[124:125] op_sel:[0,1]
	s_delay_alu instid0(VALU_DEP_1) | instskip(SKIP_1) | instid1(VALU_DEP_1)
	v_pk_fma_f32 v[138:139], v[132:133], v[122:123], v[136:137] op_sel:[0,0,1] op_sel_hi:[1,1,0] neg_lo:[0,0,1] neg_hi:[0,0,1]
	v_pk_fma_f32 v[132:133], v[132:133], v[122:123], v[136:137] op_sel:[0,0,1] op_sel_hi:[1,0,0]
	v_mov_b32_e32 v139, v133
	v_pk_mul_f32 v[132:133], v[134:135], v[124:125] op_sel:[0,1]
	s_delay_alu instid0(VALU_DEP_1) | instskip(SKIP_1) | instid1(VALU_DEP_1)
	v_pk_fma_f32 v[136:137], v[134:135], v[122:123], v[132:133] op_sel:[0,0,1] op_sel_hi:[1,1,0] neg_lo:[0,0,1] neg_hi:[0,0,1]
	v_pk_fma_f32 v[132:133], v[134:135], v[122:123], v[132:133] op_sel:[0,0,1] op_sel_hi:[1,0,0]
	v_mov_b32_e32 v137, v133
	ds_load_2addr_b64 v[132:135], v126 offset0:20 offset1:21
	v_pk_add_f32 v[68:69], v[68:69], v[138:139] neg_lo:[0,1] neg_hi:[0,1]
	v_pk_add_f32 v[64:65], v[64:65], v[136:137] neg_lo:[0,1] neg_hi:[0,1]
	s_wait_dscnt 0x0
	v_pk_mul_f32 v[136:137], v[132:133], v[124:125] op_sel:[0,1]
	s_delay_alu instid0(VALU_DEP_1) | instskip(SKIP_2) | instid1(VALU_DEP_2)
	v_pk_fma_f32 v[138:139], v[132:133], v[122:123], v[136:137] op_sel:[0,0,1] op_sel_hi:[1,1,0] neg_lo:[0,0,1] neg_hi:[0,0,1]
	v_pk_fma_f32 v[132:133], v[132:133], v[122:123], v[136:137] op_sel:[0,0,1] op_sel_hi:[1,0,0]
	v_dual_mul_f32 v136, v135, v125 :: v_dual_mov_b32 v132, v135
	v_dual_mov_b32 v139, v133 :: v_dual_mov_b32 v133, v134
	s_delay_alu instid0(VALU_DEP_2) | instskip(SKIP_1) | instid1(VALU_DEP_3)
	v_pk_fma_f32 v[136:137], v[134:135], v[66:67], v[136:137] op_sel_hi:[1,1,0] neg_lo:[0,0,1] neg_hi:[0,0,1]
	v_mul_f32_e32 v134, v135, v122
	v_pk_add_f32 v[102:103], v[102:103], v[138:139] neg_lo:[0,1] neg_hi:[0,1]
	s_delay_alu instid0(VALU_DEP_2) | instskip(NEXT) | instid1(VALU_DEP_1)
	v_pk_fma_f32 v[132:133], v[132:133], v[66:67], v[134:135] op_sel_hi:[1,1,0]
	v_mov_b32_e32 v137, v133
	ds_load_2addr_b64 v[132:135], v126 offset0:22 offset1:23
	v_pk_add_f32 v[58:59], v[58:59], v[136:137] neg_lo:[0,1] neg_hi:[0,1]
	s_wait_dscnt 0x0
	v_pk_mul_f32 v[136:137], v[132:133], v[124:125] op_sel:[0,1]
	s_delay_alu instid0(VALU_DEP_1) | instskip(SKIP_1) | instid1(VALU_DEP_1)
	v_pk_fma_f32 v[138:139], v[132:133], v[122:123], v[136:137] op_sel:[0,0,1] op_sel_hi:[1,1,0] neg_lo:[0,0,1] neg_hi:[0,0,1]
	v_pk_fma_f32 v[132:133], v[132:133], v[122:123], v[136:137] op_sel:[0,0,1] op_sel_hi:[1,0,0]
	v_mov_b32_e32 v139, v133
	v_pk_mul_f32 v[132:133], v[134:135], v[124:125] op_sel:[0,1]
	s_delay_alu instid0(VALU_DEP_1) | instskip(SKIP_1) | instid1(VALU_DEP_1)
	v_pk_fma_f32 v[136:137], v[134:135], v[122:123], v[132:133] op_sel:[0,0,1] op_sel_hi:[1,1,0] neg_lo:[0,0,1] neg_hi:[0,0,1]
	v_pk_fma_f32 v[132:133], v[134:135], v[122:123], v[132:133] op_sel:[0,0,1] op_sel_hi:[1,0,0]
	v_mov_b32_e32 v137, v133
	ds_load_2addr_b64 v[132:135], v126 offset0:24 offset1:25
	v_pk_add_f32 v[62:63], v[62:63], v[138:139] neg_lo:[0,1] neg_hi:[0,1]
	v_pk_add_f32 v[56:57], v[56:57], v[136:137] neg_lo:[0,1] neg_hi:[0,1]
	s_wait_dscnt 0x0
	v_pk_mul_f32 v[136:137], v[132:133], v[124:125] op_sel:[0,1]
	s_delay_alu instid0(VALU_DEP_1) | instskip(SKIP_1) | instid1(VALU_DEP_1)
	v_pk_fma_f32 v[138:139], v[132:133], v[122:123], v[136:137] op_sel:[0,0,1] op_sel_hi:[1,1,0] neg_lo:[0,0,1] neg_hi:[0,0,1]
	v_pk_fma_f32 v[132:133], v[132:133], v[122:123], v[136:137] op_sel:[0,0,1] op_sel_hi:[1,0,0]
	v_mov_b32_e32 v139, v133
	v_pk_mul_f32 v[132:133], v[134:135], v[124:125] op_sel:[0,1]
	s_delay_alu instid0(VALU_DEP_1) | instskip(SKIP_1) | instid1(VALU_DEP_1)
	v_pk_fma_f32 v[136:137], v[134:135], v[122:123], v[132:133] op_sel:[0,0,1] op_sel_hi:[1,1,0] neg_lo:[0,0,1] neg_hi:[0,0,1]
	v_pk_fma_f32 v[132:133], v[134:135], v[122:123], v[132:133] op_sel:[0,0,1] op_sel_hi:[1,0,0]
	v_mov_b32_e32 v137, v133
	ds_load_2addr_b64 v[132:135], v126 offset0:26 offset1:27
	v_pk_add_f32 v[100:101], v[100:101], v[138:139] neg_lo:[0,1] neg_hi:[0,1]
	v_pk_add_f32 v[52:53], v[52:53], v[136:137] neg_lo:[0,1] neg_hi:[0,1]
	s_wait_dscnt 0x0
	v_dual_mul_f32 v136, v133, v125 :: v_dual_mul_f32 v138, v133, v122
	s_delay_alu instid0(VALU_DEP_1) | instskip(NEXT) | instid1(VALU_DEP_2)
	v_pk_fma_f32 v[136:137], v[132:133], v[66:67], v[136:137] op_sel_hi:[1,1,0] neg_lo:[0,0,1] neg_hi:[0,0,1]
	v_pk_fma_f32 v[132:133], v[132:133], v[66:67], v[138:139] op_sel:[1,0,0] op_sel_hi:[0,1,0]
	s_delay_alu instid0(VALU_DEP_1) | instskip(SKIP_1) | instid1(VALU_DEP_2)
	v_mov_b32_e32 v137, v133
	v_pk_mul_f32 v[132:133], v[134:135], v[124:125] op_sel:[0,1]
	v_pk_add_f32 v[54:55], v[54:55], v[136:137] neg_lo:[0,1] neg_hi:[0,1]
	s_delay_alu instid0(VALU_DEP_2) | instskip(SKIP_1) | instid1(VALU_DEP_1)
	v_pk_fma_f32 v[136:137], v[134:135], v[122:123], v[132:133] op_sel:[0,0,1] op_sel_hi:[1,1,0] neg_lo:[0,0,1] neg_hi:[0,0,1]
	v_pk_fma_f32 v[132:133], v[134:135], v[122:123], v[132:133] op_sel:[0,0,1] op_sel_hi:[1,0,0]
	v_mov_b32_e32 v137, v133
	ds_load_2addr_b64 v[132:135], v126 offset0:28 offset1:29
	v_pk_add_f32 v[50:51], v[50:51], v[136:137] neg_lo:[0,1] neg_hi:[0,1]
	s_wait_dscnt 0x0
	v_pk_mul_f32 v[136:137], v[132:133], v[124:125] op_sel:[0,1]
	s_delay_alu instid0(VALU_DEP_1) | instskip(SKIP_1) | instid1(VALU_DEP_1)
	v_pk_fma_f32 v[138:139], v[132:133], v[122:123], v[136:137] op_sel:[0,0,1] op_sel_hi:[1,1,0] neg_lo:[0,0,1] neg_hi:[0,0,1]
	v_pk_fma_f32 v[132:133], v[132:133], v[122:123], v[136:137] op_sel:[0,0,1] op_sel_hi:[1,0,0]
	v_mov_b32_e32 v139, v133
	v_pk_mul_f32 v[132:133], v[134:135], v[124:125] op_sel:[0,1]
	s_delay_alu instid0(VALU_DEP_2) | instskip(NEXT) | instid1(VALU_DEP_2)
	v_pk_add_f32 v[96:97], v[96:97], v[138:139] neg_lo:[0,1] neg_hi:[0,1]
	v_pk_fma_f32 v[136:137], v[134:135], v[122:123], v[132:133] op_sel:[0,0,1] op_sel_hi:[1,1,0] neg_lo:[0,0,1] neg_hi:[0,0,1]
	v_pk_fma_f32 v[132:133], v[134:135], v[122:123], v[132:133] op_sel:[0,0,1] op_sel_hi:[1,0,0]
	s_delay_alu instid0(VALU_DEP_1) | instskip(SKIP_4) | instid1(VALU_DEP_1)
	v_mov_b32_e32 v137, v133
	ds_load_2addr_b64 v[132:135], v126 offset0:30 offset1:31
	v_pk_add_f32 v[46:47], v[46:47], v[136:137] neg_lo:[0,1] neg_hi:[0,1]
	s_wait_dscnt 0x0
	v_pk_mul_f32 v[136:137], v[132:133], v[124:125] op_sel:[0,1]
	v_pk_fma_f32 v[138:139], v[132:133], v[122:123], v[136:137] op_sel:[0,0,1] op_sel_hi:[1,1,0] neg_lo:[0,0,1] neg_hi:[0,0,1]
	v_pk_fma_f32 v[132:133], v[132:133], v[122:123], v[136:137] op_sel:[0,0,1] op_sel_hi:[1,0,0]
	v_dual_mul_f32 v136, v135, v125 :: v_dual_mov_b32 v132, v135
	s_delay_alu instid0(VALU_DEP_2) | instskip(NEXT) | instid1(VALU_DEP_2)
	v_dual_mov_b32 v139, v133 :: v_dual_mov_b32 v133, v134
	v_pk_fma_f32 v[136:137], v[134:135], v[66:67], v[136:137] op_sel_hi:[1,1,0] neg_lo:[0,0,1] neg_hi:[0,0,1]
	v_mul_f32_e32 v134, v135, v122
	s_delay_alu instid0(VALU_DEP_3) | instskip(NEXT) | instid1(VALU_DEP_2)
	v_pk_add_f32 v[48:49], v[48:49], v[138:139] neg_lo:[0,1] neg_hi:[0,1]
	v_pk_fma_f32 v[132:133], v[132:133], v[66:67], v[134:135] op_sel_hi:[1,1,0]
	s_delay_alu instid0(VALU_DEP_1) | instskip(SKIP_4) | instid1(VALU_DEP_1)
	v_mov_b32_e32 v137, v133
	ds_load_2addr_b64 v[132:135], v126 offset0:32 offset1:33
	v_pk_add_f32 v[44:45], v[44:45], v[136:137] neg_lo:[0,1] neg_hi:[0,1]
	s_wait_dscnt 0x0
	v_pk_mul_f32 v[136:137], v[132:133], v[124:125] op_sel:[0,1]
	v_pk_fma_f32 v[138:139], v[132:133], v[122:123], v[136:137] op_sel:[0,0,1] op_sel_hi:[1,1,0] neg_lo:[0,0,1] neg_hi:[0,0,1]
	v_pk_fma_f32 v[132:133], v[132:133], v[122:123], v[136:137] op_sel:[0,0,1] op_sel_hi:[1,0,0]
	s_delay_alu instid0(VALU_DEP_1) | instskip(SKIP_1) | instid1(VALU_DEP_1)
	v_mov_b32_e32 v139, v133
	v_pk_mul_f32 v[132:133], v[134:135], v[124:125] op_sel:[0,1]
	v_pk_fma_f32 v[136:137], v[134:135], v[122:123], v[132:133] op_sel:[0,0,1] op_sel_hi:[1,1,0] neg_lo:[0,0,1] neg_hi:[0,0,1]
	v_pk_fma_f32 v[132:133], v[134:135], v[122:123], v[132:133] op_sel:[0,0,1] op_sel_hi:[1,0,0]
	s_delay_alu instid0(VALU_DEP_1)
	v_mov_b32_e32 v137, v133
	ds_load_2addr_b64 v[132:135], v126 offset0:34 offset1:35
	v_pk_add_f32 v[94:95], v[94:95], v[138:139] neg_lo:[0,1] neg_hi:[0,1]
	v_pk_add_f32 v[38:39], v[38:39], v[136:137] neg_lo:[0,1] neg_hi:[0,1]
	s_wait_dscnt 0x0
	v_pk_mul_f32 v[136:137], v[132:133], v[124:125] op_sel:[0,1]
	s_delay_alu instid0(VALU_DEP_1) | instskip(SKIP_1) | instid1(VALU_DEP_1)
	v_pk_fma_f32 v[138:139], v[132:133], v[122:123], v[136:137] op_sel:[0,0,1] op_sel_hi:[1,1,0] neg_lo:[0,0,1] neg_hi:[0,0,1]
	v_pk_fma_f32 v[132:133], v[132:133], v[122:123], v[136:137] op_sel:[0,0,1] op_sel_hi:[1,0,0]
	v_mov_b32_e32 v139, v133
	v_pk_mul_f32 v[132:133], v[134:135], v[124:125] op_sel:[0,1]
	s_delay_alu instid0(VALU_DEP_1) | instskip(SKIP_1) | instid1(VALU_DEP_1)
	v_pk_fma_f32 v[136:137], v[134:135], v[122:123], v[132:133] op_sel:[0,0,1] op_sel_hi:[1,1,0] neg_lo:[0,0,1] neg_hi:[0,0,1]
	v_pk_fma_f32 v[132:133], v[134:135], v[122:123], v[132:133] op_sel:[0,0,1] op_sel_hi:[1,0,0]
	v_mov_b32_e32 v137, v133
	ds_load_2addr_b64 v[132:135], v126 offset0:36 offset1:37
	v_pk_add_f32 v[40:41], v[40:41], v[138:139] neg_lo:[0,1] neg_hi:[0,1]
	v_pk_add_f32 v[36:37], v[36:37], v[136:137] neg_lo:[0,1] neg_hi:[0,1]
	s_wait_dscnt 0x0
	v_dual_mul_f32 v136, v133, v125 :: v_dual_mul_f32 v138, v133, v122
	s_delay_alu instid0(VALU_DEP_1) | instskip(NEXT) | instid1(VALU_DEP_2)
	v_pk_fma_f32 v[136:137], v[132:133], v[66:67], v[136:137] op_sel_hi:[1,1,0] neg_lo:[0,0,1] neg_hi:[0,0,1]
	v_pk_fma_f32 v[132:133], v[132:133], v[66:67], v[138:139] op_sel:[1,0,0] op_sel_hi:[0,1,0]
	s_delay_alu instid0(VALU_DEP_1) | instskip(SKIP_1) | instid1(VALU_DEP_2)
	v_mov_b32_e32 v137, v133
	v_pk_mul_f32 v[132:133], v[134:135], v[124:125] op_sel:[0,1]
	v_pk_add_f32 v[92:93], v[92:93], v[136:137] neg_lo:[0,1] neg_hi:[0,1]
	s_delay_alu instid0(VALU_DEP_2) | instskip(SKIP_1) | instid1(VALU_DEP_1)
	v_pk_fma_f32 v[136:137], v[134:135], v[122:123], v[132:133] op_sel:[0,0,1] op_sel_hi:[1,1,0] neg_lo:[0,0,1] neg_hi:[0,0,1]
	v_pk_fma_f32 v[132:133], v[134:135], v[122:123], v[132:133] op_sel:[0,0,1] op_sel_hi:[1,0,0]
	v_mov_b32_e32 v137, v133
	ds_load_2addr_b64 v[132:135], v126 offset0:38 offset1:39
	v_pk_add_f32 v[32:33], v[32:33], v[136:137] neg_lo:[0,1] neg_hi:[0,1]
	s_wait_dscnt 0x0
	v_pk_mul_f32 v[136:137], v[132:133], v[124:125] op_sel:[0,1]
	s_delay_alu instid0(VALU_DEP_1) | instskip(SKIP_1) | instid1(VALU_DEP_1)
	v_pk_fma_f32 v[138:139], v[132:133], v[122:123], v[136:137] op_sel:[0,0,1] op_sel_hi:[1,1,0] neg_lo:[0,0,1] neg_hi:[0,0,1]
	v_pk_fma_f32 v[132:133], v[132:133], v[122:123], v[136:137] op_sel:[0,0,1] op_sel_hi:[1,0,0]
	v_mov_b32_e32 v139, v133
	v_pk_mul_f32 v[132:133], v[134:135], v[124:125] op_sel:[0,1]
	s_delay_alu instid0(VALU_DEP_2) | instskip(NEXT) | instid1(VALU_DEP_2)
	v_pk_add_f32 v[34:35], v[34:35], v[138:139] neg_lo:[0,1] neg_hi:[0,1]
	v_pk_fma_f32 v[136:137], v[134:135], v[122:123], v[132:133] op_sel:[0,0,1] op_sel_hi:[1,1,0] neg_lo:[0,0,1] neg_hi:[0,0,1]
	v_pk_fma_f32 v[132:133], v[134:135], v[122:123], v[132:133] op_sel:[0,0,1] op_sel_hi:[1,0,0]
	s_delay_alu instid0(VALU_DEP_1) | instskip(SKIP_4) | instid1(VALU_DEP_1)
	v_mov_b32_e32 v137, v133
	ds_load_2addr_b64 v[132:135], v126 offset0:40 offset1:41
	v_pk_add_f32 v[30:31], v[30:31], v[136:137] neg_lo:[0,1] neg_hi:[0,1]
	s_wait_dscnt 0x0
	v_pk_mul_f32 v[136:137], v[132:133], v[124:125] op_sel:[0,1]
	v_pk_fma_f32 v[138:139], v[132:133], v[122:123], v[136:137] op_sel:[0,0,1] op_sel_hi:[1,1,0] neg_lo:[0,0,1] neg_hi:[0,0,1]
	v_pk_fma_f32 v[132:133], v[132:133], v[122:123], v[136:137] op_sel:[0,0,1] op_sel_hi:[1,0,0]
	v_dual_mul_f32 v136, v135, v125 :: v_dual_mov_b32 v132, v135
	s_delay_alu instid0(VALU_DEP_2) | instskip(NEXT) | instid1(VALU_DEP_2)
	v_dual_mov_b32 v139, v133 :: v_dual_mov_b32 v133, v134
	v_pk_fma_f32 v[136:137], v[134:135], v[66:67], v[136:137] op_sel_hi:[1,1,0] neg_lo:[0,0,1] neg_hi:[0,0,1]
	v_mul_f32_e32 v134, v135, v122
	s_delay_alu instid0(VALU_DEP_3) | instskip(NEXT) | instid1(VALU_DEP_2)
	v_pk_add_f32 v[90:91], v[90:91], v[138:139] neg_lo:[0,1] neg_hi:[0,1]
	v_pk_fma_f32 v[132:133], v[132:133], v[66:67], v[134:135] op_sel_hi:[1,1,0]
	s_delay_alu instid0(VALU_DEP_1) | instskip(SKIP_4) | instid1(VALU_DEP_1)
	v_mov_b32_e32 v137, v133
	ds_load_2addr_b64 v[132:135], v126 offset0:42 offset1:43
	v_pk_add_f32 v[24:25], v[24:25], v[136:137] neg_lo:[0,1] neg_hi:[0,1]
	s_wait_dscnt 0x0
	v_pk_mul_f32 v[136:137], v[132:133], v[124:125] op_sel:[0,1]
	v_pk_fma_f32 v[138:139], v[132:133], v[122:123], v[136:137] op_sel:[0,0,1] op_sel_hi:[1,1,0] neg_lo:[0,0,1] neg_hi:[0,0,1]
	v_pk_fma_f32 v[132:133], v[132:133], v[122:123], v[136:137] op_sel:[0,0,1] op_sel_hi:[1,0,0]
	s_delay_alu instid0(VALU_DEP_1) | instskip(SKIP_1) | instid1(VALU_DEP_1)
	v_mov_b32_e32 v139, v133
	v_pk_mul_f32 v[132:133], v[134:135], v[124:125] op_sel:[0,1]
	v_pk_fma_f32 v[136:137], v[134:135], v[122:123], v[132:133] op_sel:[0,0,1] op_sel_hi:[1,1,0] neg_lo:[0,0,1] neg_hi:[0,0,1]
	v_pk_fma_f32 v[132:133], v[134:135], v[122:123], v[132:133] op_sel:[0,0,1] op_sel_hi:[1,0,0]
	s_delay_alu instid0(VALU_DEP_1)
	v_mov_b32_e32 v137, v133
	ds_load_2addr_b64 v[132:135], v126 offset0:44 offset1:45
	v_pk_add_f32 v[26:27], v[26:27], v[138:139] neg_lo:[0,1] neg_hi:[0,1]
	v_pk_add_f32 v[22:23], v[22:23], v[136:137] neg_lo:[0,1] neg_hi:[0,1]
	s_wait_dscnt 0x0
	v_pk_mul_f32 v[136:137], v[132:133], v[124:125] op_sel:[0,1]
	s_delay_alu instid0(VALU_DEP_1) | instskip(SKIP_1) | instid1(VALU_DEP_1)
	v_pk_fma_f32 v[138:139], v[132:133], v[122:123], v[136:137] op_sel:[0,0,1] op_sel_hi:[1,1,0] neg_lo:[0,0,1] neg_hi:[0,0,1]
	v_pk_fma_f32 v[132:133], v[132:133], v[122:123], v[136:137] op_sel:[0,0,1] op_sel_hi:[1,0,0]
	v_mov_b32_e32 v139, v133
	v_pk_mul_f32 v[132:133], v[134:135], v[124:125] op_sel:[0,1]
	s_delay_alu instid0(VALU_DEP_1) | instskip(SKIP_1) | instid1(VALU_DEP_1)
	v_pk_fma_f32 v[136:137], v[134:135], v[122:123], v[132:133] op_sel:[0,0,1] op_sel_hi:[1,1,0] neg_lo:[0,0,1] neg_hi:[0,0,1]
	v_pk_fma_f32 v[132:133], v[134:135], v[122:123], v[132:133] op_sel:[0,0,1] op_sel_hi:[1,0,0]
	v_mov_b32_e32 v137, v133
	ds_load_2addr_b64 v[132:135], v126 offset0:46 offset1:47
	v_pk_add_f32 v[88:89], v[88:89], v[138:139] neg_lo:[0,1] neg_hi:[0,1]
	v_pk_add_f32 v[18:19], v[18:19], v[136:137] neg_lo:[0,1] neg_hi:[0,1]
	s_wait_dscnt 0x0
	v_dual_mul_f32 v136, v133, v125 :: v_dual_mul_f32 v138, v133, v122
	s_delay_alu instid0(VALU_DEP_1) | instskip(NEXT) | instid1(VALU_DEP_2)
	v_pk_fma_f32 v[136:137], v[132:133], v[66:67], v[136:137] op_sel_hi:[1,1,0] neg_lo:[0,0,1] neg_hi:[0,0,1]
	v_pk_fma_f32 v[132:133], v[132:133], v[66:67], v[138:139] op_sel:[1,0,0] op_sel_hi:[0,1,0]
	s_delay_alu instid0(VALU_DEP_1) | instskip(SKIP_1) | instid1(VALU_DEP_2)
	v_mov_b32_e32 v137, v133
	v_pk_mul_f32 v[132:133], v[134:135], v[124:125] op_sel:[0,1]
	v_pk_add_f32 v[20:21], v[20:21], v[136:137] neg_lo:[0,1] neg_hi:[0,1]
	s_delay_alu instid0(VALU_DEP_2) | instskip(SKIP_1) | instid1(VALU_DEP_1)
	v_pk_fma_f32 v[136:137], v[134:135], v[122:123], v[132:133] op_sel:[0,0,1] op_sel_hi:[1,1,0] neg_lo:[0,0,1] neg_hi:[0,0,1]
	v_pk_fma_f32 v[132:133], v[134:135], v[122:123], v[132:133] op_sel:[0,0,1] op_sel_hi:[1,0,0]
	v_mov_b32_e32 v137, v133
	ds_load_2addr_b64 v[132:135], v126 offset0:48 offset1:49
	v_pk_add_f32 v[16:17], v[16:17], v[136:137] neg_lo:[0,1] neg_hi:[0,1]
	s_wait_dscnt 0x0
	v_pk_mul_f32 v[136:137], v[132:133], v[124:125] op_sel:[0,1]
	s_delay_alu instid0(VALU_DEP_1) | instskip(SKIP_1) | instid1(VALU_DEP_1)
	v_pk_fma_f32 v[138:139], v[132:133], v[122:123], v[136:137] op_sel:[0,0,1] op_sel_hi:[1,1,0] neg_lo:[0,0,1] neg_hi:[0,0,1]
	v_pk_fma_f32 v[132:133], v[132:133], v[122:123], v[136:137] op_sel:[0,0,1] op_sel_hi:[1,0,0]
	v_mov_b32_e32 v139, v133
	v_pk_mul_f32 v[132:133], v[134:135], v[124:125] op_sel:[0,1]
	s_delay_alu instid0(VALU_DEP_2) | instskip(NEXT) | instid1(VALU_DEP_2)
	v_pk_add_f32 v[84:85], v[84:85], v[138:139] neg_lo:[0,1] neg_hi:[0,1]
	v_pk_fma_f32 v[136:137], v[134:135], v[122:123], v[132:133] op_sel:[0,0,1] op_sel_hi:[1,1,0] neg_lo:[0,0,1] neg_hi:[0,0,1]
	v_pk_fma_f32 v[132:133], v[134:135], v[122:123], v[132:133] op_sel:[0,0,1] op_sel_hi:[1,0,0]
	s_delay_alu instid0(VALU_DEP_1) | instskip(SKIP_4) | instid1(VALU_DEP_1)
	v_mov_b32_e32 v137, v133
	ds_load_2addr_b64 v[132:135], v126 offset0:50 offset1:51
	v_pk_add_f32 v[10:11], v[10:11], v[136:137] neg_lo:[0,1] neg_hi:[0,1]
	s_wait_dscnt 0x0
	v_pk_mul_f32 v[136:137], v[132:133], v[124:125] op_sel:[0,1]
	v_pk_fma_f32 v[138:139], v[132:133], v[122:123], v[136:137] op_sel:[0,0,1] op_sel_hi:[1,1,0] neg_lo:[0,0,1] neg_hi:[0,0,1]
	v_pk_fma_f32 v[132:133], v[132:133], v[122:123], v[136:137] op_sel:[0,0,1] op_sel_hi:[1,0,0]
	v_dual_mul_f32 v136, v135, v125 :: v_dual_mov_b32 v132, v135
	s_delay_alu instid0(VALU_DEP_2) | instskip(NEXT) | instid1(VALU_DEP_2)
	v_dual_mov_b32 v139, v133 :: v_dual_mov_b32 v133, v134
	v_pk_fma_f32 v[136:137], v[134:135], v[66:67], v[136:137] op_sel_hi:[1,1,0] neg_lo:[0,0,1] neg_hi:[0,0,1]
	v_mul_f32_e32 v134, v135, v122
	s_delay_alu instid0(VALU_DEP_3) | instskip(NEXT) | instid1(VALU_DEP_2)
	v_pk_add_f32 v[12:13], v[12:13], v[138:139] neg_lo:[0,1] neg_hi:[0,1]
	v_pk_fma_f32 v[132:133], v[132:133], v[66:67], v[134:135] op_sel_hi:[1,1,0]
	s_delay_alu instid0(VALU_DEP_1) | instskip(SKIP_4) | instid1(VALU_DEP_1)
	v_mov_b32_e32 v137, v133
	ds_load_2addr_b64 v[132:135], v126 offset0:52 offset1:53
	v_pk_add_f32 v[8:9], v[8:9], v[136:137] neg_lo:[0,1] neg_hi:[0,1]
	s_wait_dscnt 0x0
	v_pk_mul_f32 v[136:137], v[132:133], v[124:125] op_sel:[0,1]
	v_pk_fma_f32 v[138:139], v[132:133], v[122:123], v[136:137] op_sel:[0,0,1] op_sel_hi:[1,1,0] neg_lo:[0,0,1] neg_hi:[0,0,1]
	v_pk_fma_f32 v[132:133], v[132:133], v[122:123], v[136:137] op_sel:[0,0,1] op_sel_hi:[1,0,0]
	s_delay_alu instid0(VALU_DEP_1) | instskip(SKIP_1) | instid1(VALU_DEP_1)
	v_mov_b32_e32 v139, v133
	v_pk_mul_f32 v[132:133], v[134:135], v[124:125] op_sel:[0,1]
	v_pk_fma_f32 v[136:137], v[134:135], v[122:123], v[132:133] op_sel:[0,0,1] op_sel_hi:[1,1,0] neg_lo:[0,0,1] neg_hi:[0,0,1]
	v_pk_fma_f32 v[132:133], v[134:135], v[122:123], v[132:133] op_sel:[0,0,1] op_sel_hi:[1,0,0]
	s_delay_alu instid0(VALU_DEP_1)
	v_mov_b32_e32 v137, v133
	ds_load_2addr_b64 v[132:135], v126 offset0:54 offset1:55
	v_pk_add_f32 v[60:61], v[60:61], v[138:139] neg_lo:[0,1] neg_hi:[0,1]
	v_pk_add_f32 v[6:7], v[6:7], v[136:137] neg_lo:[0,1] neg_hi:[0,1]
	s_wait_dscnt 0x0
	v_pk_mul_f32 v[136:137], v[132:133], v[124:125] op_sel:[0,1]
	s_delay_alu instid0(VALU_DEP_1) | instskip(SKIP_1) | instid1(VALU_DEP_1)
	v_pk_fma_f32 v[138:139], v[132:133], v[122:123], v[136:137] op_sel:[0,0,1] op_sel_hi:[1,1,0] neg_lo:[0,0,1] neg_hi:[0,0,1]
	v_pk_fma_f32 v[132:133], v[132:133], v[122:123], v[136:137] op_sel:[0,0,1] op_sel_hi:[1,0,0]
	v_mov_b32_e32 v139, v133
	v_pk_mul_f32 v[132:133], v[134:135], v[124:125] op_sel:[0,1]
	s_delay_alu instid0(VALU_DEP_1) | instskip(SKIP_1) | instid1(VALU_DEP_1)
	v_pk_fma_f32 v[136:137], v[134:135], v[122:123], v[132:133] op_sel:[0,0,1] op_sel_hi:[1,1,0] neg_lo:[0,0,1] neg_hi:[0,0,1]
	v_pk_fma_f32 v[132:133], v[134:135], v[122:123], v[132:133] op_sel:[0,0,1] op_sel_hi:[1,0,0]
	v_mov_b32_e32 v137, v133
	ds_load_2addr_b64 v[132:135], v126 offset0:56 offset1:57
	v_pk_add_f32 v[42:43], v[42:43], v[138:139] neg_lo:[0,1] neg_hi:[0,1]
	v_pk_add_f32 v[28:29], v[28:29], v[136:137] neg_lo:[0,1] neg_hi:[0,1]
	s_wait_dscnt 0x0
	v_dual_mul_f32 v136, v133, v125 :: v_dual_mul_f32 v138, v133, v122
	v_pk_mul_f32 v[124:125], v[134:135], v[124:125] op_sel:[0,1]
	s_delay_alu instid0(VALU_DEP_2) | instskip(NEXT) | instid1(VALU_DEP_3)
	v_pk_fma_f32 v[136:137], v[132:133], v[66:67], v[136:137] op_sel_hi:[1,1,0] neg_lo:[0,0,1] neg_hi:[0,0,1]
	v_pk_fma_f32 v[132:133], v[132:133], v[66:67], v[138:139] op_sel:[1,0,0] op_sel_hi:[0,1,0]
	s_delay_alu instid0(VALU_DEP_1) | instskip(NEXT) | instid1(VALU_DEP_4)
	v_mov_b32_e32 v137, v133
	v_pk_fma_f32 v[132:133], v[134:135], v[122:123], v[124:125] op_sel:[0,0,1] op_sel_hi:[1,1,0] neg_lo:[0,0,1] neg_hi:[0,0,1]
	v_pk_fma_f32 v[122:123], v[134:135], v[122:123], v[124:125] op_sel:[0,0,1] op_sel_hi:[1,0,0]
	s_delay_alu instid0(VALU_DEP_1) | instskip(NEXT) | instid1(VALU_DEP_4)
	v_mov_b32_e32 v133, v123
	v_pk_add_f32 v[14:15], v[14:15], v[136:137] neg_lo:[0,1] neg_hi:[0,1]
	s_delay_alu instid0(VALU_DEP_2)
	v_pk_add_f32 v[120:121], v[120:121], v[132:133] neg_lo:[0,1] neg_hi:[0,1]
.LBB114_377:
	s_or_b32 exec_lo, exec_lo, s0
	v_lshl_add_u32 v122, v130, 3, v126
	s_barrier_signal -1
	s_barrier_wait -1
	ds_store_b64 v122, v[68:69]
	s_wait_dscnt 0x0
	s_barrier_signal -1
	s_barrier_wait -1
	ds_load_b64 v[124:125], v126 offset:144
	v_mov_b32_e32 v122, 18
	s_cmp_lt_i32 s18, 20
	s_cbranch_scc1 .LBB114_380
; %bb.378:
	v_add3_u32 v123, v127, 0, 0x98
	v_mov_b32_e32 v122, 18
	s_mov_b32 s0, 19
.LBB114_379:                            ; =>This Inner Loop Header: Depth=1
	ds_load_b64 v[132:133], v123
	s_wait_dscnt 0x1
	v_cmp_gt_f32_e32 vcc_lo, 0, v124
	v_cndmask_b32_e64 v134, v124, -v124, vcc_lo
	v_cmp_gt_f32_e32 vcc_lo, 0, v125
	v_cndmask_b32_e64 v136, v125, -v125, vcc_lo
	s_wait_dscnt 0x0
	v_cmp_gt_f32_e32 vcc_lo, 0, v132
	v_cndmask_b32_e64 v135, v132, -v132, vcc_lo
	v_cmp_gt_f32_e32 vcc_lo, 0, v133
	v_cndmask_b32_e64 v137, v133, -v133, vcc_lo
	s_delay_alu instid0(VALU_DEP_1) | instskip(NEXT) | instid1(VALU_DEP_1)
	v_pk_add_f32 v[134:135], v[134:135], v[136:137]
	v_cmp_lt_f32_e32 vcc_lo, v134, v135
	v_dual_add_nc_u32 v123, 8, v123 :: v_dual_cndmask_b32 v125, v125, v133, vcc_lo
	v_cndmask_b32_e32 v124, v124, v132, vcc_lo
	v_cndmask_b32_e64 v122, v122, s0, vcc_lo
	s_add_co_i32 s0, s0, 1
	s_delay_alu instid0(SALU_CYCLE_1)
	s_cmp_lg_u32 s18, s0
	s_cbranch_scc1 .LBB114_379
.LBB114_380:
	s_wait_dscnt 0x0
	v_cmp_eq_f32_e32 vcc_lo, 0, v124
	v_cmp_eq_f32_e64 s0, 0, v125
	s_and_b32 s0, vcc_lo, s0
	s_delay_alu instid0(SALU_CYCLE_1) | instskip(NEXT) | instid1(SALU_CYCLE_1)
	s_and_saveexec_b32 s1, s0
	s_xor_b32 s0, exec_lo, s1
; %bb.381:
	v_cmp_ne_u32_e32 vcc_lo, 0, v128
	v_cndmask_b32_e32 v128, 19, v128, vcc_lo
; %bb.382:
	s_and_not1_saveexec_b32 s0, s0
	s_cbranch_execz .LBB114_388
; %bb.383:
	v_cmp_ngt_f32_e64 s1, |v124|, |v125|
	s_and_saveexec_b32 s12, s1
	s_delay_alu instid0(SALU_CYCLE_1)
	s_xor_b32 s1, exec_lo, s12
	s_cbranch_execz .LBB114_385
; %bb.384:
	v_div_scale_f32 v123, null, v125, v125, v124
	v_div_scale_f32 v133, vcc_lo, v124, v125, v124
	s_delay_alu instid0(VALU_DEP_2) | instskip(SKIP_1) | instid1(TRANS32_DEP_1)
	v_rcp_f32_e32 v131, v123
	v_nop
	v_fma_f32 v132, -v123, v131, 1.0
	s_delay_alu instid0(VALU_DEP_1) | instskip(NEXT) | instid1(VALU_DEP_1)
	v_fmac_f32_e32 v131, v132, v131
	v_mul_f32_e32 v132, v133, v131
	s_delay_alu instid0(VALU_DEP_1) | instskip(NEXT) | instid1(VALU_DEP_1)
	v_fma_f32 v134, -v123, v132, v133
	v_fmac_f32_e32 v132, v134, v131
	s_delay_alu instid0(VALU_DEP_1) | instskip(NEXT) | instid1(VALU_DEP_1)
	v_fma_f32 v123, -v123, v132, v133
	v_div_fmas_f32 v123, v123, v131, v132
	s_delay_alu instid0(VALU_DEP_1) | instskip(NEXT) | instid1(VALU_DEP_1)
	v_div_fixup_f32 v123, v123, v125, v124
	v_fmac_f32_e32 v125, v124, v123
	s_delay_alu instid0(VALU_DEP_1) | instskip(SKIP_1) | instid1(VALU_DEP_2)
	v_div_scale_f32 v124, null, v125, v125, 1.0
	v_div_scale_f32 v133, vcc_lo, 1.0, v125, 1.0
	v_rcp_f32_e32 v131, v124
	v_nop
	s_delay_alu instid0(TRANS32_DEP_1) | instskip(NEXT) | instid1(VALU_DEP_1)
	v_fma_f32 v132, -v124, v131, 1.0
	v_fmac_f32_e32 v131, v132, v131
	s_delay_alu instid0(VALU_DEP_1) | instskip(NEXT) | instid1(VALU_DEP_1)
	v_mul_f32_e32 v132, v133, v131
	v_fma_f32 v134, -v124, v132, v133
	s_delay_alu instid0(VALU_DEP_1) | instskip(NEXT) | instid1(VALU_DEP_1)
	v_fmac_f32_e32 v132, v134, v131
	v_fma_f32 v124, -v124, v132, v133
	s_delay_alu instid0(VALU_DEP_1) | instskip(NEXT) | instid1(VALU_DEP_1)
	v_div_fmas_f32 v124, v124, v131, v132
	v_div_fixup_f32 v125, v124, v125, 1.0
	s_delay_alu instid0(VALU_DEP_1)
	v_mul_f32_e32 v124, v123, v125
	v_xor_b32_e32 v125, 0x80000000, v125
.LBB114_385:
	s_and_not1_saveexec_b32 s1, s1
	s_cbranch_execz .LBB114_387
; %bb.386:
	s_delay_alu instid0(VALU_DEP_1) | instskip(SKIP_1) | instid1(VALU_DEP_2)
	v_div_scale_f32 v123, null, v124, v124, v125
	v_div_scale_f32 v133, vcc_lo, v125, v124, v125
	v_rcp_f32_e32 v131, v123
	v_nop
	s_delay_alu instid0(TRANS32_DEP_1) | instskip(NEXT) | instid1(VALU_DEP_1)
	v_fma_f32 v132, -v123, v131, 1.0
	v_fmac_f32_e32 v131, v132, v131
	s_delay_alu instid0(VALU_DEP_1) | instskip(NEXT) | instid1(VALU_DEP_1)
	v_mul_f32_e32 v132, v133, v131
	v_fma_f32 v134, -v123, v132, v133
	s_delay_alu instid0(VALU_DEP_1) | instskip(NEXT) | instid1(VALU_DEP_1)
	v_fmac_f32_e32 v132, v134, v131
	v_fma_f32 v123, -v123, v132, v133
	s_delay_alu instid0(VALU_DEP_1) | instskip(NEXT) | instid1(VALU_DEP_1)
	v_div_fmas_f32 v123, v123, v131, v132
	v_div_fixup_f32 v123, v123, v124, v125
	s_delay_alu instid0(VALU_DEP_1) | instskip(NEXT) | instid1(VALU_DEP_1)
	v_fmac_f32_e32 v124, v125, v123
	v_div_scale_f32 v125, null, v124, v124, 1.0
	s_delay_alu instid0(VALU_DEP_1) | instskip(SKIP_1) | instid1(TRANS32_DEP_1)
	v_rcp_f32_e32 v131, v125
	v_nop
	v_fma_f32 v132, -v125, v131, 1.0
	s_delay_alu instid0(VALU_DEP_1) | instskip(SKIP_1) | instid1(VALU_DEP_1)
	v_fmac_f32_e32 v131, v132, v131
	v_div_scale_f32 v132, vcc_lo, 1.0, v124, 1.0
	v_mul_f32_e32 v133, v132, v131
	s_delay_alu instid0(VALU_DEP_1) | instskip(NEXT) | instid1(VALU_DEP_1)
	v_fma_f32 v134, -v125, v133, v132
	v_fmac_f32_e32 v133, v134, v131
	s_delay_alu instid0(VALU_DEP_1) | instskip(NEXT) | instid1(VALU_DEP_1)
	v_fma_f32 v125, -v125, v133, v132
	v_div_fmas_f32 v125, v125, v131, v133
	s_delay_alu instid0(VALU_DEP_1) | instskip(NEXT) | instid1(VALU_DEP_1)
	v_div_fixup_f32 v124, v125, v124, 1.0
	v_mul_f32_e64 v125, v123, -v124
.LBB114_387:
	s_or_b32 exec_lo, exec_lo, s1
.LBB114_388:
	s_delay_alu instid0(SALU_CYCLE_1) | instskip(NEXT) | instid1(SALU_CYCLE_1)
	s_or_b32 exec_lo, exec_lo, s0
	s_mov_b32 s0, exec_lo
	v_cmpx_ne_u32_e64 v130, v122
	s_xor_b32 s0, exec_lo, s0
	s_cbranch_execz .LBB114_394
; %bb.389:
	s_mov_b32 s1, exec_lo
	v_cmpx_eq_u32_e32 18, v130
	s_cbranch_execz .LBB114_393
; %bb.390:
	v_cmp_ne_u32_e32 vcc_lo, 18, v122
	s_xor_b32 s12, s16, -1
	s_delay_alu instid0(SALU_CYCLE_1) | instskip(NEXT) | instid1(SALU_CYCLE_1)
	s_and_b32 s13, s12, vcc_lo
	s_and_saveexec_b32 s12, s13
	s_cbranch_execz .LBB114_392
; %bb.391:
	v_ashrrev_i32_e32 v123, 31, v122
	s_delay_alu instid0(VALU_DEP_1)
	v_lshl_add_u64 v[130:131], v[122:123], 2, v[4:5]
	s_clause 0x1
	global_load_b32 v123, v[130:131], off
	global_load_b32 v129, v[4:5], off offset:72
	s_wait_loadcnt 0x1
	global_store_b32 v[4:5], v123, off offset:72
	s_wait_loadcnt 0x0
	global_store_b32 v[130:131], v129, off
.LBB114_392:
	s_wait_xcnt 0x0
	s_or_b32 exec_lo, exec_lo, s12
	v_dual_mov_b32 v130, v122 :: v_dual_mov_b32 v129, v122
.LBB114_393:
	s_or_b32 exec_lo, exec_lo, s1
.LBB114_394:
	s_and_not1_saveexec_b32 s0, s0
	s_cbranch_execz .LBB114_396
; %bb.395:
	v_mov_b32_e32 v130, 18
	ds_store_2addr_b64 v126, v[64:65], v[102:103] offset0:19 offset1:20
	ds_store_2addr_b64 v126, v[58:59], v[62:63] offset0:21 offset1:22
	;; [unrolled: 1-line block ×19, first 2 shown]
	ds_store_b64 v126, v[120:121] offset:456
.LBB114_396:
	s_or_b32 exec_lo, exec_lo, s0
	s_delay_alu instid0(SALU_CYCLE_1)
	s_mov_b32 s0, exec_lo
	s_wait_storecnt_dscnt 0x0
	s_barrier_signal -1
	s_barrier_wait -1
	v_cmpx_lt_i32_e32 18, v130
	s_cbranch_execz .LBB114_398
; %bb.397:
	v_pk_mul_f32 v[132:133], v[124:125], v[68:69] op_sel:[1,1] op_sel_hi:[0,1]
	s_delay_alu instid0(VALU_DEP_1)
	v_pk_fma_f32 v[122:123], v[124:125], v[68:69], v[132:133] op_sel_hi:[1,0,1] neg_lo:[0,0,1] neg_hi:[0,0,1]
	v_pk_fma_f32 v[124:125], v[124:125], v[68:69], v[132:133] op_sel_hi:[1,0,1]
	ds_load_2addr_b64 v[132:135], v126 offset0:19 offset1:20
	v_dual_mov_b32 v68, v122 :: v_dual_mov_b32 v69, v125
	s_wait_dscnt 0x0
	v_pk_mul_f32 v[136:137], v[132:133], v[124:125] op_sel:[0,1]
	s_delay_alu instid0(VALU_DEP_1) | instskip(SKIP_1) | instid1(VALU_DEP_1)
	v_pk_fma_f32 v[138:139], v[132:133], v[122:123], v[136:137] op_sel:[0,0,1] op_sel_hi:[1,1,0] neg_lo:[0,0,1] neg_hi:[0,0,1]
	v_pk_fma_f32 v[132:133], v[132:133], v[122:123], v[136:137] op_sel:[0,0,1] op_sel_hi:[1,0,0]
	v_mov_b32_e32 v139, v133
	v_pk_mul_f32 v[132:133], v[134:135], v[124:125] op_sel:[0,1]
	s_delay_alu instid0(VALU_DEP_1) | instskip(SKIP_1) | instid1(VALU_DEP_1)
	v_pk_fma_f32 v[136:137], v[134:135], v[122:123], v[132:133] op_sel:[0,0,1] op_sel_hi:[1,1,0] neg_lo:[0,0,1] neg_hi:[0,0,1]
	v_pk_fma_f32 v[132:133], v[134:135], v[122:123], v[132:133] op_sel:[0,0,1] op_sel_hi:[1,0,0]
	v_mov_b32_e32 v137, v133
	ds_load_2addr_b64 v[132:135], v126 offset0:21 offset1:22
	v_pk_add_f32 v[64:65], v[64:65], v[138:139] neg_lo:[0,1] neg_hi:[0,1]
	v_pk_add_f32 v[102:103], v[102:103], v[136:137] neg_lo:[0,1] neg_hi:[0,1]
	s_wait_dscnt 0x0
	v_pk_mul_f32 v[136:137], v[132:133], v[124:125] op_sel:[0,1]
	s_delay_alu instid0(VALU_DEP_1) | instskip(SKIP_2) | instid1(VALU_DEP_2)
	v_pk_fma_f32 v[138:139], v[132:133], v[122:123], v[136:137] op_sel:[0,0,1] op_sel_hi:[1,1,0] neg_lo:[0,0,1] neg_hi:[0,0,1]
	v_pk_fma_f32 v[132:133], v[132:133], v[122:123], v[136:137] op_sel:[0,0,1] op_sel_hi:[1,0,0]
	v_dual_mul_f32 v136, v135, v125 :: v_dual_mov_b32 v132, v135
	v_dual_mov_b32 v139, v133 :: v_dual_mov_b32 v133, v134
	s_delay_alu instid0(VALU_DEP_2) | instskip(SKIP_1) | instid1(VALU_DEP_3)
	v_pk_fma_f32 v[136:137], v[134:135], v[68:69], v[136:137] op_sel_hi:[1,1,0] neg_lo:[0,0,1] neg_hi:[0,0,1]
	v_mul_f32_e32 v134, v135, v122
	v_pk_add_f32 v[58:59], v[58:59], v[138:139] neg_lo:[0,1] neg_hi:[0,1]
	s_delay_alu instid0(VALU_DEP_2) | instskip(NEXT) | instid1(VALU_DEP_1)
	v_pk_fma_f32 v[132:133], v[132:133], v[68:69], v[134:135] op_sel_hi:[1,1,0]
	v_mov_b32_e32 v137, v133
	ds_load_2addr_b64 v[132:135], v126 offset0:23 offset1:24
	v_pk_add_f32 v[62:63], v[62:63], v[136:137] neg_lo:[0,1] neg_hi:[0,1]
	s_wait_dscnt 0x0
	v_pk_mul_f32 v[136:137], v[132:133], v[124:125] op_sel:[0,1]
	s_delay_alu instid0(VALU_DEP_1) | instskip(SKIP_1) | instid1(VALU_DEP_1)
	v_pk_fma_f32 v[138:139], v[132:133], v[122:123], v[136:137] op_sel:[0,0,1] op_sel_hi:[1,1,0] neg_lo:[0,0,1] neg_hi:[0,0,1]
	v_pk_fma_f32 v[132:133], v[132:133], v[122:123], v[136:137] op_sel:[0,0,1] op_sel_hi:[1,0,0]
	v_mov_b32_e32 v139, v133
	v_pk_mul_f32 v[132:133], v[134:135], v[124:125] op_sel:[0,1]
	s_delay_alu instid0(VALU_DEP_1) | instskip(SKIP_1) | instid1(VALU_DEP_1)
	v_pk_fma_f32 v[136:137], v[134:135], v[122:123], v[132:133] op_sel:[0,0,1] op_sel_hi:[1,1,0] neg_lo:[0,0,1] neg_hi:[0,0,1]
	v_pk_fma_f32 v[132:133], v[134:135], v[122:123], v[132:133] op_sel:[0,0,1] op_sel_hi:[1,0,0]
	v_mov_b32_e32 v137, v133
	ds_load_2addr_b64 v[132:135], v126 offset0:25 offset1:26
	v_pk_add_f32 v[56:57], v[56:57], v[138:139] neg_lo:[0,1] neg_hi:[0,1]
	v_pk_add_f32 v[100:101], v[100:101], v[136:137] neg_lo:[0,1] neg_hi:[0,1]
	s_wait_dscnt 0x0
	v_pk_mul_f32 v[136:137], v[132:133], v[124:125] op_sel:[0,1]
	s_delay_alu instid0(VALU_DEP_1) | instskip(SKIP_1) | instid1(VALU_DEP_1)
	v_pk_fma_f32 v[138:139], v[132:133], v[122:123], v[136:137] op_sel:[0,0,1] op_sel_hi:[1,1,0] neg_lo:[0,0,1] neg_hi:[0,0,1]
	v_pk_fma_f32 v[132:133], v[132:133], v[122:123], v[136:137] op_sel:[0,0,1] op_sel_hi:[1,0,0]
	v_mov_b32_e32 v139, v133
	v_pk_mul_f32 v[132:133], v[134:135], v[124:125] op_sel:[0,1]
	s_delay_alu instid0(VALU_DEP_1) | instskip(SKIP_1) | instid1(VALU_DEP_1)
	v_pk_fma_f32 v[136:137], v[134:135], v[122:123], v[132:133] op_sel:[0,0,1] op_sel_hi:[1,1,0] neg_lo:[0,0,1] neg_hi:[0,0,1]
	v_pk_fma_f32 v[132:133], v[134:135], v[122:123], v[132:133] op_sel:[0,0,1] op_sel_hi:[1,0,0]
	v_mov_b32_e32 v137, v133
	ds_load_2addr_b64 v[132:135], v126 offset0:27 offset1:28
	v_pk_add_f32 v[52:53], v[52:53], v[138:139] neg_lo:[0,1] neg_hi:[0,1]
	v_pk_add_f32 v[54:55], v[54:55], v[136:137] neg_lo:[0,1] neg_hi:[0,1]
	s_wait_dscnt 0x0
	v_dual_mul_f32 v136, v133, v125 :: v_dual_mul_f32 v138, v133, v122
	s_delay_alu instid0(VALU_DEP_1) | instskip(NEXT) | instid1(VALU_DEP_2)
	v_pk_fma_f32 v[136:137], v[132:133], v[68:69], v[136:137] op_sel_hi:[1,1,0] neg_lo:[0,0,1] neg_hi:[0,0,1]
	v_pk_fma_f32 v[132:133], v[132:133], v[68:69], v[138:139] op_sel:[1,0,0] op_sel_hi:[0,1,0]
	s_delay_alu instid0(VALU_DEP_1) | instskip(SKIP_1) | instid1(VALU_DEP_2)
	v_mov_b32_e32 v137, v133
	v_pk_mul_f32 v[132:133], v[134:135], v[124:125] op_sel:[0,1]
	v_pk_add_f32 v[50:51], v[50:51], v[136:137] neg_lo:[0,1] neg_hi:[0,1]
	s_delay_alu instid0(VALU_DEP_2) | instskip(SKIP_1) | instid1(VALU_DEP_1)
	v_pk_fma_f32 v[136:137], v[134:135], v[122:123], v[132:133] op_sel:[0,0,1] op_sel_hi:[1,1,0] neg_lo:[0,0,1] neg_hi:[0,0,1]
	v_pk_fma_f32 v[132:133], v[134:135], v[122:123], v[132:133] op_sel:[0,0,1] op_sel_hi:[1,0,0]
	v_mov_b32_e32 v137, v133
	ds_load_2addr_b64 v[132:135], v126 offset0:29 offset1:30
	v_pk_add_f32 v[96:97], v[96:97], v[136:137] neg_lo:[0,1] neg_hi:[0,1]
	s_wait_dscnt 0x0
	v_pk_mul_f32 v[136:137], v[132:133], v[124:125] op_sel:[0,1]
	s_delay_alu instid0(VALU_DEP_1) | instskip(SKIP_1) | instid1(VALU_DEP_1)
	v_pk_fma_f32 v[138:139], v[132:133], v[122:123], v[136:137] op_sel:[0,0,1] op_sel_hi:[1,1,0] neg_lo:[0,0,1] neg_hi:[0,0,1]
	v_pk_fma_f32 v[132:133], v[132:133], v[122:123], v[136:137] op_sel:[0,0,1] op_sel_hi:[1,0,0]
	v_mov_b32_e32 v139, v133
	v_pk_mul_f32 v[132:133], v[134:135], v[124:125] op_sel:[0,1]
	s_delay_alu instid0(VALU_DEP_2) | instskip(NEXT) | instid1(VALU_DEP_2)
	v_pk_add_f32 v[46:47], v[46:47], v[138:139] neg_lo:[0,1] neg_hi:[0,1]
	v_pk_fma_f32 v[136:137], v[134:135], v[122:123], v[132:133] op_sel:[0,0,1] op_sel_hi:[1,1,0] neg_lo:[0,0,1] neg_hi:[0,0,1]
	v_pk_fma_f32 v[132:133], v[134:135], v[122:123], v[132:133] op_sel:[0,0,1] op_sel_hi:[1,0,0]
	s_delay_alu instid0(VALU_DEP_1) | instskip(SKIP_4) | instid1(VALU_DEP_1)
	v_mov_b32_e32 v137, v133
	ds_load_2addr_b64 v[132:135], v126 offset0:31 offset1:32
	v_pk_add_f32 v[48:49], v[48:49], v[136:137] neg_lo:[0,1] neg_hi:[0,1]
	s_wait_dscnt 0x0
	v_pk_mul_f32 v[136:137], v[132:133], v[124:125] op_sel:[0,1]
	v_pk_fma_f32 v[138:139], v[132:133], v[122:123], v[136:137] op_sel:[0,0,1] op_sel_hi:[1,1,0] neg_lo:[0,0,1] neg_hi:[0,0,1]
	v_pk_fma_f32 v[132:133], v[132:133], v[122:123], v[136:137] op_sel:[0,0,1] op_sel_hi:[1,0,0]
	v_dual_mul_f32 v136, v135, v125 :: v_dual_mov_b32 v132, v135
	s_delay_alu instid0(VALU_DEP_2) | instskip(NEXT) | instid1(VALU_DEP_2)
	v_dual_mov_b32 v139, v133 :: v_dual_mov_b32 v133, v134
	v_pk_fma_f32 v[136:137], v[134:135], v[68:69], v[136:137] op_sel_hi:[1,1,0] neg_lo:[0,0,1] neg_hi:[0,0,1]
	v_mul_f32_e32 v134, v135, v122
	s_delay_alu instid0(VALU_DEP_3) | instskip(NEXT) | instid1(VALU_DEP_2)
	v_pk_add_f32 v[44:45], v[44:45], v[138:139] neg_lo:[0,1] neg_hi:[0,1]
	v_pk_fma_f32 v[132:133], v[132:133], v[68:69], v[134:135] op_sel_hi:[1,1,0]
	s_delay_alu instid0(VALU_DEP_1) | instskip(SKIP_4) | instid1(VALU_DEP_1)
	v_mov_b32_e32 v137, v133
	ds_load_2addr_b64 v[132:135], v126 offset0:33 offset1:34
	v_pk_add_f32 v[94:95], v[94:95], v[136:137] neg_lo:[0,1] neg_hi:[0,1]
	s_wait_dscnt 0x0
	v_pk_mul_f32 v[136:137], v[132:133], v[124:125] op_sel:[0,1]
	v_pk_fma_f32 v[138:139], v[132:133], v[122:123], v[136:137] op_sel:[0,0,1] op_sel_hi:[1,1,0] neg_lo:[0,0,1] neg_hi:[0,0,1]
	v_pk_fma_f32 v[132:133], v[132:133], v[122:123], v[136:137] op_sel:[0,0,1] op_sel_hi:[1,0,0]
	s_delay_alu instid0(VALU_DEP_1) | instskip(SKIP_1) | instid1(VALU_DEP_1)
	v_mov_b32_e32 v139, v133
	v_pk_mul_f32 v[132:133], v[134:135], v[124:125] op_sel:[0,1]
	v_pk_fma_f32 v[136:137], v[134:135], v[122:123], v[132:133] op_sel:[0,0,1] op_sel_hi:[1,1,0] neg_lo:[0,0,1] neg_hi:[0,0,1]
	v_pk_fma_f32 v[132:133], v[134:135], v[122:123], v[132:133] op_sel:[0,0,1] op_sel_hi:[1,0,0]
	s_delay_alu instid0(VALU_DEP_1)
	v_mov_b32_e32 v137, v133
	ds_load_2addr_b64 v[132:135], v126 offset0:35 offset1:36
	v_pk_add_f32 v[38:39], v[38:39], v[138:139] neg_lo:[0,1] neg_hi:[0,1]
	v_pk_add_f32 v[40:41], v[40:41], v[136:137] neg_lo:[0,1] neg_hi:[0,1]
	s_wait_dscnt 0x0
	v_pk_mul_f32 v[136:137], v[132:133], v[124:125] op_sel:[0,1]
	s_delay_alu instid0(VALU_DEP_1) | instskip(SKIP_1) | instid1(VALU_DEP_1)
	v_pk_fma_f32 v[138:139], v[132:133], v[122:123], v[136:137] op_sel:[0,0,1] op_sel_hi:[1,1,0] neg_lo:[0,0,1] neg_hi:[0,0,1]
	v_pk_fma_f32 v[132:133], v[132:133], v[122:123], v[136:137] op_sel:[0,0,1] op_sel_hi:[1,0,0]
	v_mov_b32_e32 v139, v133
	v_pk_mul_f32 v[132:133], v[134:135], v[124:125] op_sel:[0,1]
	s_delay_alu instid0(VALU_DEP_1) | instskip(SKIP_1) | instid1(VALU_DEP_1)
	v_pk_fma_f32 v[136:137], v[134:135], v[122:123], v[132:133] op_sel:[0,0,1] op_sel_hi:[1,1,0] neg_lo:[0,0,1] neg_hi:[0,0,1]
	v_pk_fma_f32 v[132:133], v[134:135], v[122:123], v[132:133] op_sel:[0,0,1] op_sel_hi:[1,0,0]
	v_mov_b32_e32 v137, v133
	ds_load_2addr_b64 v[132:135], v126 offset0:37 offset1:38
	v_pk_add_f32 v[36:37], v[36:37], v[138:139] neg_lo:[0,1] neg_hi:[0,1]
	v_pk_add_f32 v[92:93], v[92:93], v[136:137] neg_lo:[0,1] neg_hi:[0,1]
	s_wait_dscnt 0x0
	v_dual_mul_f32 v136, v133, v125 :: v_dual_mul_f32 v138, v133, v122
	s_delay_alu instid0(VALU_DEP_1) | instskip(NEXT) | instid1(VALU_DEP_2)
	v_pk_fma_f32 v[136:137], v[132:133], v[68:69], v[136:137] op_sel_hi:[1,1,0] neg_lo:[0,0,1] neg_hi:[0,0,1]
	v_pk_fma_f32 v[132:133], v[132:133], v[68:69], v[138:139] op_sel:[1,0,0] op_sel_hi:[0,1,0]
	s_delay_alu instid0(VALU_DEP_1) | instskip(SKIP_1) | instid1(VALU_DEP_2)
	v_mov_b32_e32 v137, v133
	v_pk_mul_f32 v[132:133], v[134:135], v[124:125] op_sel:[0,1]
	v_pk_add_f32 v[32:33], v[32:33], v[136:137] neg_lo:[0,1] neg_hi:[0,1]
	s_delay_alu instid0(VALU_DEP_2) | instskip(SKIP_1) | instid1(VALU_DEP_1)
	v_pk_fma_f32 v[136:137], v[134:135], v[122:123], v[132:133] op_sel:[0,0,1] op_sel_hi:[1,1,0] neg_lo:[0,0,1] neg_hi:[0,0,1]
	v_pk_fma_f32 v[132:133], v[134:135], v[122:123], v[132:133] op_sel:[0,0,1] op_sel_hi:[1,0,0]
	v_mov_b32_e32 v137, v133
	ds_load_2addr_b64 v[132:135], v126 offset0:39 offset1:40
	v_pk_add_f32 v[34:35], v[34:35], v[136:137] neg_lo:[0,1] neg_hi:[0,1]
	s_wait_dscnt 0x0
	v_pk_mul_f32 v[136:137], v[132:133], v[124:125] op_sel:[0,1]
	s_delay_alu instid0(VALU_DEP_1) | instskip(SKIP_1) | instid1(VALU_DEP_1)
	v_pk_fma_f32 v[138:139], v[132:133], v[122:123], v[136:137] op_sel:[0,0,1] op_sel_hi:[1,1,0] neg_lo:[0,0,1] neg_hi:[0,0,1]
	v_pk_fma_f32 v[132:133], v[132:133], v[122:123], v[136:137] op_sel:[0,0,1] op_sel_hi:[1,0,0]
	v_mov_b32_e32 v139, v133
	v_pk_mul_f32 v[132:133], v[134:135], v[124:125] op_sel:[0,1]
	s_delay_alu instid0(VALU_DEP_2) | instskip(NEXT) | instid1(VALU_DEP_2)
	v_pk_add_f32 v[30:31], v[30:31], v[138:139] neg_lo:[0,1] neg_hi:[0,1]
	v_pk_fma_f32 v[136:137], v[134:135], v[122:123], v[132:133] op_sel:[0,0,1] op_sel_hi:[1,1,0] neg_lo:[0,0,1] neg_hi:[0,0,1]
	v_pk_fma_f32 v[132:133], v[134:135], v[122:123], v[132:133] op_sel:[0,0,1] op_sel_hi:[1,0,0]
	s_delay_alu instid0(VALU_DEP_1) | instskip(SKIP_4) | instid1(VALU_DEP_1)
	v_mov_b32_e32 v137, v133
	ds_load_2addr_b64 v[132:135], v126 offset0:41 offset1:42
	v_pk_add_f32 v[90:91], v[90:91], v[136:137] neg_lo:[0,1] neg_hi:[0,1]
	s_wait_dscnt 0x0
	v_pk_mul_f32 v[136:137], v[132:133], v[124:125] op_sel:[0,1]
	v_pk_fma_f32 v[138:139], v[132:133], v[122:123], v[136:137] op_sel:[0,0,1] op_sel_hi:[1,1,0] neg_lo:[0,0,1] neg_hi:[0,0,1]
	v_pk_fma_f32 v[132:133], v[132:133], v[122:123], v[136:137] op_sel:[0,0,1] op_sel_hi:[1,0,0]
	v_dual_mul_f32 v136, v135, v125 :: v_dual_mov_b32 v132, v135
	s_delay_alu instid0(VALU_DEP_2) | instskip(NEXT) | instid1(VALU_DEP_2)
	v_dual_mov_b32 v139, v133 :: v_dual_mov_b32 v133, v134
	v_pk_fma_f32 v[136:137], v[134:135], v[68:69], v[136:137] op_sel_hi:[1,1,0] neg_lo:[0,0,1] neg_hi:[0,0,1]
	v_mul_f32_e32 v134, v135, v122
	s_delay_alu instid0(VALU_DEP_3) | instskip(NEXT) | instid1(VALU_DEP_2)
	v_pk_add_f32 v[24:25], v[24:25], v[138:139] neg_lo:[0,1] neg_hi:[0,1]
	v_pk_fma_f32 v[132:133], v[132:133], v[68:69], v[134:135] op_sel_hi:[1,1,0]
	s_delay_alu instid0(VALU_DEP_1) | instskip(SKIP_4) | instid1(VALU_DEP_1)
	v_mov_b32_e32 v137, v133
	ds_load_2addr_b64 v[132:135], v126 offset0:43 offset1:44
	v_pk_add_f32 v[26:27], v[26:27], v[136:137] neg_lo:[0,1] neg_hi:[0,1]
	s_wait_dscnt 0x0
	v_pk_mul_f32 v[136:137], v[132:133], v[124:125] op_sel:[0,1]
	v_pk_fma_f32 v[138:139], v[132:133], v[122:123], v[136:137] op_sel:[0,0,1] op_sel_hi:[1,1,0] neg_lo:[0,0,1] neg_hi:[0,0,1]
	v_pk_fma_f32 v[132:133], v[132:133], v[122:123], v[136:137] op_sel:[0,0,1] op_sel_hi:[1,0,0]
	s_delay_alu instid0(VALU_DEP_1) | instskip(SKIP_1) | instid1(VALU_DEP_1)
	v_mov_b32_e32 v139, v133
	v_pk_mul_f32 v[132:133], v[134:135], v[124:125] op_sel:[0,1]
	v_pk_fma_f32 v[136:137], v[134:135], v[122:123], v[132:133] op_sel:[0,0,1] op_sel_hi:[1,1,0] neg_lo:[0,0,1] neg_hi:[0,0,1]
	v_pk_fma_f32 v[132:133], v[134:135], v[122:123], v[132:133] op_sel:[0,0,1] op_sel_hi:[1,0,0]
	s_delay_alu instid0(VALU_DEP_1)
	v_mov_b32_e32 v137, v133
	ds_load_2addr_b64 v[132:135], v126 offset0:45 offset1:46
	v_pk_add_f32 v[22:23], v[22:23], v[138:139] neg_lo:[0,1] neg_hi:[0,1]
	v_pk_add_f32 v[88:89], v[88:89], v[136:137] neg_lo:[0,1] neg_hi:[0,1]
	s_wait_dscnt 0x0
	v_pk_mul_f32 v[136:137], v[132:133], v[124:125] op_sel:[0,1]
	s_delay_alu instid0(VALU_DEP_1) | instskip(SKIP_1) | instid1(VALU_DEP_1)
	v_pk_fma_f32 v[138:139], v[132:133], v[122:123], v[136:137] op_sel:[0,0,1] op_sel_hi:[1,1,0] neg_lo:[0,0,1] neg_hi:[0,0,1]
	v_pk_fma_f32 v[132:133], v[132:133], v[122:123], v[136:137] op_sel:[0,0,1] op_sel_hi:[1,0,0]
	v_mov_b32_e32 v139, v133
	v_pk_mul_f32 v[132:133], v[134:135], v[124:125] op_sel:[0,1]
	s_delay_alu instid0(VALU_DEP_1) | instskip(SKIP_1) | instid1(VALU_DEP_1)
	v_pk_fma_f32 v[136:137], v[134:135], v[122:123], v[132:133] op_sel:[0,0,1] op_sel_hi:[1,1,0] neg_lo:[0,0,1] neg_hi:[0,0,1]
	v_pk_fma_f32 v[132:133], v[134:135], v[122:123], v[132:133] op_sel:[0,0,1] op_sel_hi:[1,0,0]
	v_mov_b32_e32 v137, v133
	ds_load_2addr_b64 v[132:135], v126 offset0:47 offset1:48
	v_pk_add_f32 v[18:19], v[18:19], v[138:139] neg_lo:[0,1] neg_hi:[0,1]
	v_pk_add_f32 v[20:21], v[20:21], v[136:137] neg_lo:[0,1] neg_hi:[0,1]
	s_wait_dscnt 0x0
	v_dual_mul_f32 v136, v133, v125 :: v_dual_mul_f32 v138, v133, v122
	s_delay_alu instid0(VALU_DEP_1) | instskip(NEXT) | instid1(VALU_DEP_2)
	v_pk_fma_f32 v[136:137], v[132:133], v[68:69], v[136:137] op_sel_hi:[1,1,0] neg_lo:[0,0,1] neg_hi:[0,0,1]
	v_pk_fma_f32 v[132:133], v[132:133], v[68:69], v[138:139] op_sel:[1,0,0] op_sel_hi:[0,1,0]
	s_delay_alu instid0(VALU_DEP_1) | instskip(SKIP_1) | instid1(VALU_DEP_2)
	v_mov_b32_e32 v137, v133
	v_pk_mul_f32 v[132:133], v[134:135], v[124:125] op_sel:[0,1]
	v_pk_add_f32 v[16:17], v[16:17], v[136:137] neg_lo:[0,1] neg_hi:[0,1]
	s_delay_alu instid0(VALU_DEP_2) | instskip(SKIP_1) | instid1(VALU_DEP_1)
	v_pk_fma_f32 v[136:137], v[134:135], v[122:123], v[132:133] op_sel:[0,0,1] op_sel_hi:[1,1,0] neg_lo:[0,0,1] neg_hi:[0,0,1]
	v_pk_fma_f32 v[132:133], v[134:135], v[122:123], v[132:133] op_sel:[0,0,1] op_sel_hi:[1,0,0]
	v_mov_b32_e32 v137, v133
	ds_load_2addr_b64 v[132:135], v126 offset0:49 offset1:50
	v_pk_add_f32 v[84:85], v[84:85], v[136:137] neg_lo:[0,1] neg_hi:[0,1]
	s_wait_dscnt 0x0
	v_pk_mul_f32 v[136:137], v[132:133], v[124:125] op_sel:[0,1]
	s_delay_alu instid0(VALU_DEP_1) | instskip(SKIP_1) | instid1(VALU_DEP_1)
	v_pk_fma_f32 v[138:139], v[132:133], v[122:123], v[136:137] op_sel:[0,0,1] op_sel_hi:[1,1,0] neg_lo:[0,0,1] neg_hi:[0,0,1]
	v_pk_fma_f32 v[132:133], v[132:133], v[122:123], v[136:137] op_sel:[0,0,1] op_sel_hi:[1,0,0]
	v_mov_b32_e32 v139, v133
	v_pk_mul_f32 v[132:133], v[134:135], v[124:125] op_sel:[0,1]
	s_delay_alu instid0(VALU_DEP_2) | instskip(NEXT) | instid1(VALU_DEP_2)
	v_pk_add_f32 v[10:11], v[10:11], v[138:139] neg_lo:[0,1] neg_hi:[0,1]
	v_pk_fma_f32 v[136:137], v[134:135], v[122:123], v[132:133] op_sel:[0,0,1] op_sel_hi:[1,1,0] neg_lo:[0,0,1] neg_hi:[0,0,1]
	v_pk_fma_f32 v[132:133], v[134:135], v[122:123], v[132:133] op_sel:[0,0,1] op_sel_hi:[1,0,0]
	s_delay_alu instid0(VALU_DEP_1) | instskip(SKIP_4) | instid1(VALU_DEP_1)
	v_mov_b32_e32 v137, v133
	ds_load_2addr_b64 v[132:135], v126 offset0:51 offset1:52
	v_pk_add_f32 v[12:13], v[12:13], v[136:137] neg_lo:[0,1] neg_hi:[0,1]
	s_wait_dscnt 0x0
	v_pk_mul_f32 v[136:137], v[132:133], v[124:125] op_sel:[0,1]
	v_pk_fma_f32 v[138:139], v[132:133], v[122:123], v[136:137] op_sel:[0,0,1] op_sel_hi:[1,1,0] neg_lo:[0,0,1] neg_hi:[0,0,1]
	v_pk_fma_f32 v[132:133], v[132:133], v[122:123], v[136:137] op_sel:[0,0,1] op_sel_hi:[1,0,0]
	v_dual_mul_f32 v136, v135, v125 :: v_dual_mov_b32 v132, v135
	s_delay_alu instid0(VALU_DEP_2) | instskip(NEXT) | instid1(VALU_DEP_2)
	v_dual_mov_b32 v139, v133 :: v_dual_mov_b32 v133, v134
	v_pk_fma_f32 v[136:137], v[134:135], v[68:69], v[136:137] op_sel_hi:[1,1,0] neg_lo:[0,0,1] neg_hi:[0,0,1]
	v_mul_f32_e32 v134, v135, v122
	s_delay_alu instid0(VALU_DEP_3) | instskip(NEXT) | instid1(VALU_DEP_2)
	v_pk_add_f32 v[8:9], v[8:9], v[138:139] neg_lo:[0,1] neg_hi:[0,1]
	v_pk_fma_f32 v[132:133], v[132:133], v[68:69], v[134:135] op_sel_hi:[1,1,0]
	s_delay_alu instid0(VALU_DEP_1) | instskip(SKIP_4) | instid1(VALU_DEP_1)
	v_mov_b32_e32 v137, v133
	ds_load_2addr_b64 v[132:135], v126 offset0:53 offset1:54
	v_pk_add_f32 v[60:61], v[60:61], v[136:137] neg_lo:[0,1] neg_hi:[0,1]
	s_wait_dscnt 0x0
	v_pk_mul_f32 v[136:137], v[132:133], v[124:125] op_sel:[0,1]
	v_pk_fma_f32 v[138:139], v[132:133], v[122:123], v[136:137] op_sel:[0,0,1] op_sel_hi:[1,1,0] neg_lo:[0,0,1] neg_hi:[0,0,1]
	v_pk_fma_f32 v[132:133], v[132:133], v[122:123], v[136:137] op_sel:[0,0,1] op_sel_hi:[1,0,0]
	s_delay_alu instid0(VALU_DEP_1) | instskip(SKIP_1) | instid1(VALU_DEP_1)
	v_mov_b32_e32 v139, v133
	v_pk_mul_f32 v[132:133], v[134:135], v[124:125] op_sel:[0,1]
	v_pk_fma_f32 v[136:137], v[134:135], v[122:123], v[132:133] op_sel:[0,0,1] op_sel_hi:[1,1,0] neg_lo:[0,0,1] neg_hi:[0,0,1]
	v_pk_fma_f32 v[132:133], v[134:135], v[122:123], v[132:133] op_sel:[0,0,1] op_sel_hi:[1,0,0]
	s_delay_alu instid0(VALU_DEP_1)
	v_mov_b32_e32 v137, v133
	ds_load_2addr_b64 v[132:135], v126 offset0:55 offset1:56
	v_pk_add_f32 v[6:7], v[6:7], v[138:139] neg_lo:[0,1] neg_hi:[0,1]
	v_pk_add_f32 v[42:43], v[42:43], v[136:137] neg_lo:[0,1] neg_hi:[0,1]
	s_wait_dscnt 0x0
	v_pk_mul_f32 v[136:137], v[132:133], v[124:125] op_sel:[0,1]
	s_delay_alu instid0(VALU_DEP_1) | instskip(SKIP_1) | instid1(VALU_DEP_1)
	v_pk_fma_f32 v[138:139], v[132:133], v[122:123], v[136:137] op_sel:[0,0,1] op_sel_hi:[1,1,0] neg_lo:[0,0,1] neg_hi:[0,0,1]
	v_pk_fma_f32 v[132:133], v[132:133], v[122:123], v[136:137] op_sel:[0,0,1] op_sel_hi:[1,0,0]
	v_mov_b32_e32 v139, v133
	v_pk_mul_f32 v[132:133], v[134:135], v[124:125] op_sel:[0,1]
	s_delay_alu instid0(VALU_DEP_1) | instskip(SKIP_1) | instid1(VALU_DEP_1)
	v_pk_fma_f32 v[136:137], v[134:135], v[122:123], v[132:133] op_sel:[0,0,1] op_sel_hi:[1,1,0] neg_lo:[0,0,1] neg_hi:[0,0,1]
	v_pk_fma_f32 v[132:133], v[134:135], v[122:123], v[132:133] op_sel:[0,0,1] op_sel_hi:[1,0,0]
	v_mov_b32_e32 v137, v133
	ds_load_b64 v[132:133], v126 offset:456
	v_pk_add_f32 v[28:29], v[28:29], v[138:139] neg_lo:[0,1] neg_hi:[0,1]
	v_pk_add_f32 v[14:15], v[14:15], v[136:137] neg_lo:[0,1] neg_hi:[0,1]
	s_wait_dscnt 0x0
	v_pk_mul_f32 v[124:125], v[132:133], v[124:125] op_sel:[0,1]
	s_delay_alu instid0(VALU_DEP_1) | instskip(SKIP_1) | instid1(VALU_DEP_1)
	v_pk_fma_f32 v[134:135], v[132:133], v[122:123], v[124:125] op_sel:[0,0,1] op_sel_hi:[1,1,0] neg_lo:[0,0,1] neg_hi:[0,0,1]
	v_pk_fma_f32 v[122:123], v[132:133], v[122:123], v[124:125] op_sel:[0,0,1] op_sel_hi:[1,0,0]
	v_mov_b32_e32 v135, v123
	s_delay_alu instid0(VALU_DEP_1)
	v_pk_add_f32 v[120:121], v[120:121], v[134:135] neg_lo:[0,1] neg_hi:[0,1]
.LBB114_398:
	s_or_b32 exec_lo, exec_lo, s0
	v_lshl_add_u32 v122, v130, 3, v126
	s_barrier_signal -1
	s_barrier_wait -1
	ds_store_b64 v122, v[64:65]
	s_wait_dscnt 0x0
	s_barrier_signal -1
	s_barrier_wait -1
	ds_load_b64 v[124:125], v126 offset:152
	v_mov_b32_e32 v122, 19
	s_cmp_lt_i32 s18, 21
	s_cbranch_scc1 .LBB114_401
; %bb.399:
	v_add3_u32 v123, v127, 0, 0xa0
	v_mov_b32_e32 v122, 19
	s_mov_b32 s0, 20
.LBB114_400:                            ; =>This Inner Loop Header: Depth=1
	ds_load_b64 v[132:133], v123
	s_wait_dscnt 0x1
	v_cmp_gt_f32_e32 vcc_lo, 0, v124
	v_cndmask_b32_e64 v134, v124, -v124, vcc_lo
	v_cmp_gt_f32_e32 vcc_lo, 0, v125
	v_cndmask_b32_e64 v136, v125, -v125, vcc_lo
	s_wait_dscnt 0x0
	v_cmp_gt_f32_e32 vcc_lo, 0, v132
	v_cndmask_b32_e64 v135, v132, -v132, vcc_lo
	v_cmp_gt_f32_e32 vcc_lo, 0, v133
	v_cndmask_b32_e64 v137, v133, -v133, vcc_lo
	s_delay_alu instid0(VALU_DEP_1) | instskip(NEXT) | instid1(VALU_DEP_1)
	v_pk_add_f32 v[134:135], v[134:135], v[136:137]
	v_cmp_lt_f32_e32 vcc_lo, v134, v135
	v_dual_add_nc_u32 v123, 8, v123 :: v_dual_cndmask_b32 v125, v125, v133, vcc_lo
	v_cndmask_b32_e32 v124, v124, v132, vcc_lo
	v_cndmask_b32_e64 v122, v122, s0, vcc_lo
	s_add_co_i32 s0, s0, 1
	s_delay_alu instid0(SALU_CYCLE_1)
	s_cmp_lg_u32 s18, s0
	s_cbranch_scc1 .LBB114_400
.LBB114_401:
	s_wait_dscnt 0x0
	v_cmp_eq_f32_e32 vcc_lo, 0, v124
	v_cmp_eq_f32_e64 s0, 0, v125
	s_and_b32 s0, vcc_lo, s0
	s_delay_alu instid0(SALU_CYCLE_1) | instskip(NEXT) | instid1(SALU_CYCLE_1)
	s_and_saveexec_b32 s1, s0
	s_xor_b32 s0, exec_lo, s1
; %bb.402:
	v_cmp_ne_u32_e32 vcc_lo, 0, v128
	v_cndmask_b32_e32 v128, 20, v128, vcc_lo
; %bb.403:
	s_and_not1_saveexec_b32 s0, s0
	s_cbranch_execz .LBB114_409
; %bb.404:
	v_cmp_ngt_f32_e64 s1, |v124|, |v125|
	s_and_saveexec_b32 s12, s1
	s_delay_alu instid0(SALU_CYCLE_1)
	s_xor_b32 s1, exec_lo, s12
	s_cbranch_execz .LBB114_406
; %bb.405:
	v_div_scale_f32 v123, null, v125, v125, v124
	v_div_scale_f32 v133, vcc_lo, v124, v125, v124
	s_delay_alu instid0(VALU_DEP_2) | instskip(SKIP_1) | instid1(TRANS32_DEP_1)
	v_rcp_f32_e32 v131, v123
	v_nop
	v_fma_f32 v132, -v123, v131, 1.0
	s_delay_alu instid0(VALU_DEP_1) | instskip(NEXT) | instid1(VALU_DEP_1)
	v_fmac_f32_e32 v131, v132, v131
	v_mul_f32_e32 v132, v133, v131
	s_delay_alu instid0(VALU_DEP_1) | instskip(NEXT) | instid1(VALU_DEP_1)
	v_fma_f32 v134, -v123, v132, v133
	v_fmac_f32_e32 v132, v134, v131
	s_delay_alu instid0(VALU_DEP_1) | instskip(NEXT) | instid1(VALU_DEP_1)
	v_fma_f32 v123, -v123, v132, v133
	v_div_fmas_f32 v123, v123, v131, v132
	s_delay_alu instid0(VALU_DEP_1) | instskip(NEXT) | instid1(VALU_DEP_1)
	v_div_fixup_f32 v123, v123, v125, v124
	v_fmac_f32_e32 v125, v124, v123
	s_delay_alu instid0(VALU_DEP_1) | instskip(SKIP_1) | instid1(VALU_DEP_2)
	v_div_scale_f32 v124, null, v125, v125, 1.0
	v_div_scale_f32 v133, vcc_lo, 1.0, v125, 1.0
	v_rcp_f32_e32 v131, v124
	v_nop
	s_delay_alu instid0(TRANS32_DEP_1) | instskip(NEXT) | instid1(VALU_DEP_1)
	v_fma_f32 v132, -v124, v131, 1.0
	v_fmac_f32_e32 v131, v132, v131
	s_delay_alu instid0(VALU_DEP_1) | instskip(NEXT) | instid1(VALU_DEP_1)
	v_mul_f32_e32 v132, v133, v131
	v_fma_f32 v134, -v124, v132, v133
	s_delay_alu instid0(VALU_DEP_1) | instskip(NEXT) | instid1(VALU_DEP_1)
	v_fmac_f32_e32 v132, v134, v131
	v_fma_f32 v124, -v124, v132, v133
	s_delay_alu instid0(VALU_DEP_1) | instskip(NEXT) | instid1(VALU_DEP_1)
	v_div_fmas_f32 v124, v124, v131, v132
	v_div_fixup_f32 v125, v124, v125, 1.0
	s_delay_alu instid0(VALU_DEP_1)
	v_mul_f32_e32 v124, v123, v125
	v_xor_b32_e32 v125, 0x80000000, v125
.LBB114_406:
	s_and_not1_saveexec_b32 s1, s1
	s_cbranch_execz .LBB114_408
; %bb.407:
	s_delay_alu instid0(VALU_DEP_1) | instskip(SKIP_1) | instid1(VALU_DEP_2)
	v_div_scale_f32 v123, null, v124, v124, v125
	v_div_scale_f32 v133, vcc_lo, v125, v124, v125
	v_rcp_f32_e32 v131, v123
	v_nop
	s_delay_alu instid0(TRANS32_DEP_1) | instskip(NEXT) | instid1(VALU_DEP_1)
	v_fma_f32 v132, -v123, v131, 1.0
	v_fmac_f32_e32 v131, v132, v131
	s_delay_alu instid0(VALU_DEP_1) | instskip(NEXT) | instid1(VALU_DEP_1)
	v_mul_f32_e32 v132, v133, v131
	v_fma_f32 v134, -v123, v132, v133
	s_delay_alu instid0(VALU_DEP_1) | instskip(NEXT) | instid1(VALU_DEP_1)
	v_fmac_f32_e32 v132, v134, v131
	v_fma_f32 v123, -v123, v132, v133
	s_delay_alu instid0(VALU_DEP_1) | instskip(NEXT) | instid1(VALU_DEP_1)
	v_div_fmas_f32 v123, v123, v131, v132
	v_div_fixup_f32 v123, v123, v124, v125
	s_delay_alu instid0(VALU_DEP_1) | instskip(NEXT) | instid1(VALU_DEP_1)
	v_fmac_f32_e32 v124, v125, v123
	v_div_scale_f32 v125, null, v124, v124, 1.0
	s_delay_alu instid0(VALU_DEP_1) | instskip(SKIP_1) | instid1(TRANS32_DEP_1)
	v_rcp_f32_e32 v131, v125
	v_nop
	v_fma_f32 v132, -v125, v131, 1.0
	s_delay_alu instid0(VALU_DEP_1) | instskip(SKIP_1) | instid1(VALU_DEP_1)
	v_fmac_f32_e32 v131, v132, v131
	v_div_scale_f32 v132, vcc_lo, 1.0, v124, 1.0
	v_mul_f32_e32 v133, v132, v131
	s_delay_alu instid0(VALU_DEP_1) | instskip(NEXT) | instid1(VALU_DEP_1)
	v_fma_f32 v134, -v125, v133, v132
	v_fmac_f32_e32 v133, v134, v131
	s_delay_alu instid0(VALU_DEP_1) | instskip(NEXT) | instid1(VALU_DEP_1)
	v_fma_f32 v125, -v125, v133, v132
	v_div_fmas_f32 v125, v125, v131, v133
	s_delay_alu instid0(VALU_DEP_1) | instskip(NEXT) | instid1(VALU_DEP_1)
	v_div_fixup_f32 v124, v125, v124, 1.0
	v_mul_f32_e64 v125, v123, -v124
.LBB114_408:
	s_or_b32 exec_lo, exec_lo, s1
.LBB114_409:
	s_delay_alu instid0(SALU_CYCLE_1) | instskip(NEXT) | instid1(SALU_CYCLE_1)
	s_or_b32 exec_lo, exec_lo, s0
	s_mov_b32 s0, exec_lo
	v_cmpx_ne_u32_e64 v130, v122
	s_xor_b32 s0, exec_lo, s0
	s_cbranch_execz .LBB114_415
; %bb.410:
	s_mov_b32 s1, exec_lo
	v_cmpx_eq_u32_e32 19, v130
	s_cbranch_execz .LBB114_414
; %bb.411:
	v_cmp_ne_u32_e32 vcc_lo, 19, v122
	s_xor_b32 s12, s16, -1
	s_delay_alu instid0(SALU_CYCLE_1) | instskip(NEXT) | instid1(SALU_CYCLE_1)
	s_and_b32 s13, s12, vcc_lo
	s_and_saveexec_b32 s12, s13
	s_cbranch_execz .LBB114_413
; %bb.412:
	v_ashrrev_i32_e32 v123, 31, v122
	s_delay_alu instid0(VALU_DEP_1)
	v_lshl_add_u64 v[130:131], v[122:123], 2, v[4:5]
	s_clause 0x1
	global_load_b32 v123, v[130:131], off
	global_load_b32 v129, v[4:5], off offset:76
	s_wait_loadcnt 0x1
	global_store_b32 v[4:5], v123, off offset:76
	s_wait_loadcnt 0x0
	global_store_b32 v[130:131], v129, off
.LBB114_413:
	s_wait_xcnt 0x0
	s_or_b32 exec_lo, exec_lo, s12
	v_dual_mov_b32 v130, v122 :: v_dual_mov_b32 v129, v122
.LBB114_414:
	s_or_b32 exec_lo, exec_lo, s1
.LBB114_415:
	s_and_not1_saveexec_b32 s0, s0
	s_cbranch_execz .LBB114_417
; %bb.416:
	v_dual_mov_b32 v122, v102 :: v_dual_mov_b32 v123, v103
	v_dual_mov_b32 v130, v58 :: v_dual_mov_b32 v131, v59
	ds_store_2addr_b64 v126, v[122:123], v[130:131] offset0:20 offset1:21
	v_dual_mov_b32 v122, v62 :: v_dual_mov_b32 v123, v63
	v_dual_mov_b32 v130, v56 :: v_dual_mov_b32 v131, v57
	ds_store_2addr_b64 v126, v[122:123], v[130:131] offset0:22 offset1:23
	;; [unrolled: 3-line block ×18, first 2 shown]
	v_dual_mov_b32 v122, v14 :: v_dual_mov_b32 v123, v15
	v_mov_b32_e32 v130, 19
	ds_store_2addr_b64 v126, v[122:123], v[120:121] offset0:56 offset1:57
.LBB114_417:
	s_or_b32 exec_lo, exec_lo, s0
	s_delay_alu instid0(SALU_CYCLE_1)
	s_mov_b32 s0, exec_lo
	s_wait_storecnt_dscnt 0x0
	s_barrier_signal -1
	s_barrier_wait -1
	v_cmpx_lt_i32_e32 19, v130
	s_cbranch_execz .LBB114_419
; %bb.418:
	v_pk_mul_f32 v[132:133], v[124:125], v[64:65] op_sel:[1,1] op_sel_hi:[0,1]
	s_delay_alu instid0(VALU_DEP_1)
	v_pk_fma_f32 v[122:123], v[124:125], v[64:65], v[132:133] op_sel_hi:[1,0,1] neg_lo:[0,0,1] neg_hi:[0,0,1]
	v_pk_fma_f32 v[124:125], v[124:125], v[64:65], v[132:133] op_sel_hi:[1,0,1]
	ds_load_2addr_b64 v[132:135], v126 offset0:20 offset1:21
	v_dual_mov_b32 v64, v122 :: v_dual_mov_b32 v65, v125
	s_wait_dscnt 0x0
	v_pk_mul_f32 v[136:137], v[132:133], v[124:125] op_sel:[0,1]
	s_delay_alu instid0(VALU_DEP_1) | instskip(SKIP_1) | instid1(VALU_DEP_1)
	v_pk_fma_f32 v[138:139], v[132:133], v[122:123], v[136:137] op_sel:[0,0,1] op_sel_hi:[1,1,0] neg_lo:[0,0,1] neg_hi:[0,0,1]
	v_pk_fma_f32 v[132:133], v[132:133], v[122:123], v[136:137] op_sel:[0,0,1] op_sel_hi:[1,0,0]
	v_mov_b32_e32 v139, v133
	v_pk_mul_f32 v[132:133], v[134:135], v[124:125] op_sel:[0,1]
	s_delay_alu instid0(VALU_DEP_1) | instskip(SKIP_1) | instid1(VALU_DEP_1)
	v_pk_fma_f32 v[136:137], v[134:135], v[122:123], v[132:133] op_sel:[0,0,1] op_sel_hi:[1,1,0] neg_lo:[0,0,1] neg_hi:[0,0,1]
	v_pk_fma_f32 v[132:133], v[134:135], v[122:123], v[132:133] op_sel:[0,0,1] op_sel_hi:[1,0,0]
	v_mov_b32_e32 v137, v133
	ds_load_2addr_b64 v[132:135], v126 offset0:22 offset1:23
	v_pk_add_f32 v[102:103], v[102:103], v[138:139] neg_lo:[0,1] neg_hi:[0,1]
	v_pk_add_f32 v[58:59], v[58:59], v[136:137] neg_lo:[0,1] neg_hi:[0,1]
	s_wait_dscnt 0x0
	v_pk_mul_f32 v[136:137], v[132:133], v[124:125] op_sel:[0,1]
	s_delay_alu instid0(VALU_DEP_1) | instskip(SKIP_2) | instid1(VALU_DEP_2)
	v_pk_fma_f32 v[138:139], v[132:133], v[122:123], v[136:137] op_sel:[0,0,1] op_sel_hi:[1,1,0] neg_lo:[0,0,1] neg_hi:[0,0,1]
	v_pk_fma_f32 v[132:133], v[132:133], v[122:123], v[136:137] op_sel:[0,0,1] op_sel_hi:[1,0,0]
	v_dual_mul_f32 v136, v135, v125 :: v_dual_mov_b32 v132, v135
	v_dual_mov_b32 v139, v133 :: v_dual_mov_b32 v133, v134
	s_delay_alu instid0(VALU_DEP_2) | instskip(SKIP_1) | instid1(VALU_DEP_3)
	v_pk_fma_f32 v[136:137], v[134:135], v[64:65], v[136:137] op_sel_hi:[1,1,0] neg_lo:[0,0,1] neg_hi:[0,0,1]
	v_mul_f32_e32 v134, v135, v122
	v_pk_add_f32 v[62:63], v[62:63], v[138:139] neg_lo:[0,1] neg_hi:[0,1]
	s_delay_alu instid0(VALU_DEP_2) | instskip(NEXT) | instid1(VALU_DEP_1)
	v_pk_fma_f32 v[132:133], v[132:133], v[64:65], v[134:135] op_sel_hi:[1,1,0]
	v_mov_b32_e32 v137, v133
	ds_load_2addr_b64 v[132:135], v126 offset0:24 offset1:25
	v_pk_add_f32 v[56:57], v[56:57], v[136:137] neg_lo:[0,1] neg_hi:[0,1]
	s_wait_dscnt 0x0
	v_pk_mul_f32 v[136:137], v[132:133], v[124:125] op_sel:[0,1]
	s_delay_alu instid0(VALU_DEP_1) | instskip(SKIP_1) | instid1(VALU_DEP_1)
	v_pk_fma_f32 v[138:139], v[132:133], v[122:123], v[136:137] op_sel:[0,0,1] op_sel_hi:[1,1,0] neg_lo:[0,0,1] neg_hi:[0,0,1]
	v_pk_fma_f32 v[132:133], v[132:133], v[122:123], v[136:137] op_sel:[0,0,1] op_sel_hi:[1,0,0]
	v_mov_b32_e32 v139, v133
	v_pk_mul_f32 v[132:133], v[134:135], v[124:125] op_sel:[0,1]
	s_delay_alu instid0(VALU_DEP_1) | instskip(SKIP_1) | instid1(VALU_DEP_1)
	v_pk_fma_f32 v[136:137], v[134:135], v[122:123], v[132:133] op_sel:[0,0,1] op_sel_hi:[1,1,0] neg_lo:[0,0,1] neg_hi:[0,0,1]
	v_pk_fma_f32 v[132:133], v[134:135], v[122:123], v[132:133] op_sel:[0,0,1] op_sel_hi:[1,0,0]
	v_mov_b32_e32 v137, v133
	ds_load_2addr_b64 v[132:135], v126 offset0:26 offset1:27
	v_pk_add_f32 v[100:101], v[100:101], v[138:139] neg_lo:[0,1] neg_hi:[0,1]
	v_pk_add_f32 v[52:53], v[52:53], v[136:137] neg_lo:[0,1] neg_hi:[0,1]
	s_wait_dscnt 0x0
	v_pk_mul_f32 v[136:137], v[132:133], v[124:125] op_sel:[0,1]
	s_delay_alu instid0(VALU_DEP_1) | instskip(SKIP_1) | instid1(VALU_DEP_1)
	v_pk_fma_f32 v[138:139], v[132:133], v[122:123], v[136:137] op_sel:[0,0,1] op_sel_hi:[1,1,0] neg_lo:[0,0,1] neg_hi:[0,0,1]
	v_pk_fma_f32 v[132:133], v[132:133], v[122:123], v[136:137] op_sel:[0,0,1] op_sel_hi:[1,0,0]
	v_mov_b32_e32 v139, v133
	v_pk_mul_f32 v[132:133], v[134:135], v[124:125] op_sel:[0,1]
	s_delay_alu instid0(VALU_DEP_1) | instskip(SKIP_1) | instid1(VALU_DEP_1)
	v_pk_fma_f32 v[136:137], v[134:135], v[122:123], v[132:133] op_sel:[0,0,1] op_sel_hi:[1,1,0] neg_lo:[0,0,1] neg_hi:[0,0,1]
	v_pk_fma_f32 v[132:133], v[134:135], v[122:123], v[132:133] op_sel:[0,0,1] op_sel_hi:[1,0,0]
	v_mov_b32_e32 v137, v133
	ds_load_2addr_b64 v[132:135], v126 offset0:28 offset1:29
	v_pk_add_f32 v[54:55], v[54:55], v[138:139] neg_lo:[0,1] neg_hi:[0,1]
	v_pk_add_f32 v[50:51], v[50:51], v[136:137] neg_lo:[0,1] neg_hi:[0,1]
	s_wait_dscnt 0x0
	v_dual_mul_f32 v136, v133, v125 :: v_dual_mul_f32 v138, v133, v122
	s_delay_alu instid0(VALU_DEP_1) | instskip(NEXT) | instid1(VALU_DEP_2)
	v_pk_fma_f32 v[136:137], v[132:133], v[64:65], v[136:137] op_sel_hi:[1,1,0] neg_lo:[0,0,1] neg_hi:[0,0,1]
	v_pk_fma_f32 v[132:133], v[132:133], v[64:65], v[138:139] op_sel:[1,0,0] op_sel_hi:[0,1,0]
	s_delay_alu instid0(VALU_DEP_1) | instskip(SKIP_1) | instid1(VALU_DEP_2)
	v_mov_b32_e32 v137, v133
	v_pk_mul_f32 v[132:133], v[134:135], v[124:125] op_sel:[0,1]
	v_pk_add_f32 v[96:97], v[96:97], v[136:137] neg_lo:[0,1] neg_hi:[0,1]
	s_delay_alu instid0(VALU_DEP_2) | instskip(SKIP_1) | instid1(VALU_DEP_1)
	v_pk_fma_f32 v[136:137], v[134:135], v[122:123], v[132:133] op_sel:[0,0,1] op_sel_hi:[1,1,0] neg_lo:[0,0,1] neg_hi:[0,0,1]
	v_pk_fma_f32 v[132:133], v[134:135], v[122:123], v[132:133] op_sel:[0,0,1] op_sel_hi:[1,0,0]
	v_mov_b32_e32 v137, v133
	ds_load_2addr_b64 v[132:135], v126 offset0:30 offset1:31
	v_pk_add_f32 v[46:47], v[46:47], v[136:137] neg_lo:[0,1] neg_hi:[0,1]
	s_wait_dscnt 0x0
	v_pk_mul_f32 v[136:137], v[132:133], v[124:125] op_sel:[0,1]
	s_delay_alu instid0(VALU_DEP_1) | instskip(SKIP_1) | instid1(VALU_DEP_1)
	v_pk_fma_f32 v[138:139], v[132:133], v[122:123], v[136:137] op_sel:[0,0,1] op_sel_hi:[1,1,0] neg_lo:[0,0,1] neg_hi:[0,0,1]
	v_pk_fma_f32 v[132:133], v[132:133], v[122:123], v[136:137] op_sel:[0,0,1] op_sel_hi:[1,0,0]
	v_mov_b32_e32 v139, v133
	v_pk_mul_f32 v[132:133], v[134:135], v[124:125] op_sel:[0,1]
	s_delay_alu instid0(VALU_DEP_2) | instskip(NEXT) | instid1(VALU_DEP_2)
	v_pk_add_f32 v[48:49], v[48:49], v[138:139] neg_lo:[0,1] neg_hi:[0,1]
	v_pk_fma_f32 v[136:137], v[134:135], v[122:123], v[132:133] op_sel:[0,0,1] op_sel_hi:[1,1,0] neg_lo:[0,0,1] neg_hi:[0,0,1]
	v_pk_fma_f32 v[132:133], v[134:135], v[122:123], v[132:133] op_sel:[0,0,1] op_sel_hi:[1,0,0]
	s_delay_alu instid0(VALU_DEP_1) | instskip(SKIP_4) | instid1(VALU_DEP_1)
	v_mov_b32_e32 v137, v133
	ds_load_2addr_b64 v[132:135], v126 offset0:32 offset1:33
	v_pk_add_f32 v[44:45], v[44:45], v[136:137] neg_lo:[0,1] neg_hi:[0,1]
	s_wait_dscnt 0x0
	v_pk_mul_f32 v[136:137], v[132:133], v[124:125] op_sel:[0,1]
	v_pk_fma_f32 v[138:139], v[132:133], v[122:123], v[136:137] op_sel:[0,0,1] op_sel_hi:[1,1,0] neg_lo:[0,0,1] neg_hi:[0,0,1]
	v_pk_fma_f32 v[132:133], v[132:133], v[122:123], v[136:137] op_sel:[0,0,1] op_sel_hi:[1,0,0]
	v_dual_mul_f32 v136, v135, v125 :: v_dual_mov_b32 v132, v135
	s_delay_alu instid0(VALU_DEP_2) | instskip(NEXT) | instid1(VALU_DEP_2)
	v_dual_mov_b32 v139, v133 :: v_dual_mov_b32 v133, v134
	v_pk_fma_f32 v[136:137], v[134:135], v[64:65], v[136:137] op_sel_hi:[1,1,0] neg_lo:[0,0,1] neg_hi:[0,0,1]
	v_mul_f32_e32 v134, v135, v122
	s_delay_alu instid0(VALU_DEP_3) | instskip(NEXT) | instid1(VALU_DEP_2)
	v_pk_add_f32 v[94:95], v[94:95], v[138:139] neg_lo:[0,1] neg_hi:[0,1]
	v_pk_fma_f32 v[132:133], v[132:133], v[64:65], v[134:135] op_sel_hi:[1,1,0]
	s_delay_alu instid0(VALU_DEP_1) | instskip(SKIP_4) | instid1(VALU_DEP_1)
	v_mov_b32_e32 v137, v133
	ds_load_2addr_b64 v[132:135], v126 offset0:34 offset1:35
	v_pk_add_f32 v[38:39], v[38:39], v[136:137] neg_lo:[0,1] neg_hi:[0,1]
	s_wait_dscnt 0x0
	v_pk_mul_f32 v[136:137], v[132:133], v[124:125] op_sel:[0,1]
	v_pk_fma_f32 v[138:139], v[132:133], v[122:123], v[136:137] op_sel:[0,0,1] op_sel_hi:[1,1,0] neg_lo:[0,0,1] neg_hi:[0,0,1]
	v_pk_fma_f32 v[132:133], v[132:133], v[122:123], v[136:137] op_sel:[0,0,1] op_sel_hi:[1,0,0]
	s_delay_alu instid0(VALU_DEP_1) | instskip(SKIP_1) | instid1(VALU_DEP_1)
	v_mov_b32_e32 v139, v133
	v_pk_mul_f32 v[132:133], v[134:135], v[124:125] op_sel:[0,1]
	v_pk_fma_f32 v[136:137], v[134:135], v[122:123], v[132:133] op_sel:[0,0,1] op_sel_hi:[1,1,0] neg_lo:[0,0,1] neg_hi:[0,0,1]
	v_pk_fma_f32 v[132:133], v[134:135], v[122:123], v[132:133] op_sel:[0,0,1] op_sel_hi:[1,0,0]
	s_delay_alu instid0(VALU_DEP_1)
	v_mov_b32_e32 v137, v133
	ds_load_2addr_b64 v[132:135], v126 offset0:36 offset1:37
	v_pk_add_f32 v[40:41], v[40:41], v[138:139] neg_lo:[0,1] neg_hi:[0,1]
	v_pk_add_f32 v[36:37], v[36:37], v[136:137] neg_lo:[0,1] neg_hi:[0,1]
	s_wait_dscnt 0x0
	v_pk_mul_f32 v[136:137], v[132:133], v[124:125] op_sel:[0,1]
	s_delay_alu instid0(VALU_DEP_1) | instskip(SKIP_1) | instid1(VALU_DEP_1)
	v_pk_fma_f32 v[138:139], v[132:133], v[122:123], v[136:137] op_sel:[0,0,1] op_sel_hi:[1,1,0] neg_lo:[0,0,1] neg_hi:[0,0,1]
	v_pk_fma_f32 v[132:133], v[132:133], v[122:123], v[136:137] op_sel:[0,0,1] op_sel_hi:[1,0,0]
	v_mov_b32_e32 v139, v133
	v_pk_mul_f32 v[132:133], v[134:135], v[124:125] op_sel:[0,1]
	s_delay_alu instid0(VALU_DEP_1) | instskip(SKIP_1) | instid1(VALU_DEP_1)
	v_pk_fma_f32 v[136:137], v[134:135], v[122:123], v[132:133] op_sel:[0,0,1] op_sel_hi:[1,1,0] neg_lo:[0,0,1] neg_hi:[0,0,1]
	v_pk_fma_f32 v[132:133], v[134:135], v[122:123], v[132:133] op_sel:[0,0,1] op_sel_hi:[1,0,0]
	v_mov_b32_e32 v137, v133
	ds_load_2addr_b64 v[132:135], v126 offset0:38 offset1:39
	v_pk_add_f32 v[92:93], v[92:93], v[138:139] neg_lo:[0,1] neg_hi:[0,1]
	v_pk_add_f32 v[32:33], v[32:33], v[136:137] neg_lo:[0,1] neg_hi:[0,1]
	s_wait_dscnt 0x0
	v_dual_mul_f32 v136, v133, v125 :: v_dual_mul_f32 v138, v133, v122
	s_delay_alu instid0(VALU_DEP_1) | instskip(NEXT) | instid1(VALU_DEP_2)
	v_pk_fma_f32 v[136:137], v[132:133], v[64:65], v[136:137] op_sel_hi:[1,1,0] neg_lo:[0,0,1] neg_hi:[0,0,1]
	v_pk_fma_f32 v[132:133], v[132:133], v[64:65], v[138:139] op_sel:[1,0,0] op_sel_hi:[0,1,0]
	s_delay_alu instid0(VALU_DEP_1) | instskip(SKIP_1) | instid1(VALU_DEP_2)
	v_mov_b32_e32 v137, v133
	v_pk_mul_f32 v[132:133], v[134:135], v[124:125] op_sel:[0,1]
	v_pk_add_f32 v[34:35], v[34:35], v[136:137] neg_lo:[0,1] neg_hi:[0,1]
	s_delay_alu instid0(VALU_DEP_2) | instskip(SKIP_1) | instid1(VALU_DEP_1)
	v_pk_fma_f32 v[136:137], v[134:135], v[122:123], v[132:133] op_sel:[0,0,1] op_sel_hi:[1,1,0] neg_lo:[0,0,1] neg_hi:[0,0,1]
	v_pk_fma_f32 v[132:133], v[134:135], v[122:123], v[132:133] op_sel:[0,0,1] op_sel_hi:[1,0,0]
	v_mov_b32_e32 v137, v133
	ds_load_2addr_b64 v[132:135], v126 offset0:40 offset1:41
	v_pk_add_f32 v[30:31], v[30:31], v[136:137] neg_lo:[0,1] neg_hi:[0,1]
	s_wait_dscnt 0x0
	v_pk_mul_f32 v[136:137], v[132:133], v[124:125] op_sel:[0,1]
	s_delay_alu instid0(VALU_DEP_1) | instskip(SKIP_1) | instid1(VALU_DEP_1)
	v_pk_fma_f32 v[138:139], v[132:133], v[122:123], v[136:137] op_sel:[0,0,1] op_sel_hi:[1,1,0] neg_lo:[0,0,1] neg_hi:[0,0,1]
	v_pk_fma_f32 v[132:133], v[132:133], v[122:123], v[136:137] op_sel:[0,0,1] op_sel_hi:[1,0,0]
	v_mov_b32_e32 v139, v133
	v_pk_mul_f32 v[132:133], v[134:135], v[124:125] op_sel:[0,1]
	s_delay_alu instid0(VALU_DEP_2) | instskip(NEXT) | instid1(VALU_DEP_2)
	v_pk_add_f32 v[90:91], v[90:91], v[138:139] neg_lo:[0,1] neg_hi:[0,1]
	v_pk_fma_f32 v[136:137], v[134:135], v[122:123], v[132:133] op_sel:[0,0,1] op_sel_hi:[1,1,0] neg_lo:[0,0,1] neg_hi:[0,0,1]
	v_pk_fma_f32 v[132:133], v[134:135], v[122:123], v[132:133] op_sel:[0,0,1] op_sel_hi:[1,0,0]
	s_delay_alu instid0(VALU_DEP_1) | instskip(SKIP_4) | instid1(VALU_DEP_1)
	v_mov_b32_e32 v137, v133
	ds_load_2addr_b64 v[132:135], v126 offset0:42 offset1:43
	v_pk_add_f32 v[24:25], v[24:25], v[136:137] neg_lo:[0,1] neg_hi:[0,1]
	s_wait_dscnt 0x0
	v_pk_mul_f32 v[136:137], v[132:133], v[124:125] op_sel:[0,1]
	v_pk_fma_f32 v[138:139], v[132:133], v[122:123], v[136:137] op_sel:[0,0,1] op_sel_hi:[1,1,0] neg_lo:[0,0,1] neg_hi:[0,0,1]
	v_pk_fma_f32 v[132:133], v[132:133], v[122:123], v[136:137] op_sel:[0,0,1] op_sel_hi:[1,0,0]
	v_dual_mul_f32 v136, v135, v125 :: v_dual_mov_b32 v132, v135
	s_delay_alu instid0(VALU_DEP_2) | instskip(NEXT) | instid1(VALU_DEP_2)
	v_dual_mov_b32 v139, v133 :: v_dual_mov_b32 v133, v134
	v_pk_fma_f32 v[136:137], v[134:135], v[64:65], v[136:137] op_sel_hi:[1,1,0] neg_lo:[0,0,1] neg_hi:[0,0,1]
	v_mul_f32_e32 v134, v135, v122
	s_delay_alu instid0(VALU_DEP_3) | instskip(NEXT) | instid1(VALU_DEP_2)
	v_pk_add_f32 v[26:27], v[26:27], v[138:139] neg_lo:[0,1] neg_hi:[0,1]
	v_pk_fma_f32 v[132:133], v[132:133], v[64:65], v[134:135] op_sel_hi:[1,1,0]
	s_delay_alu instid0(VALU_DEP_1) | instskip(SKIP_4) | instid1(VALU_DEP_1)
	v_mov_b32_e32 v137, v133
	ds_load_2addr_b64 v[132:135], v126 offset0:44 offset1:45
	v_pk_add_f32 v[22:23], v[22:23], v[136:137] neg_lo:[0,1] neg_hi:[0,1]
	s_wait_dscnt 0x0
	v_pk_mul_f32 v[136:137], v[132:133], v[124:125] op_sel:[0,1]
	v_pk_fma_f32 v[138:139], v[132:133], v[122:123], v[136:137] op_sel:[0,0,1] op_sel_hi:[1,1,0] neg_lo:[0,0,1] neg_hi:[0,0,1]
	v_pk_fma_f32 v[132:133], v[132:133], v[122:123], v[136:137] op_sel:[0,0,1] op_sel_hi:[1,0,0]
	s_delay_alu instid0(VALU_DEP_1) | instskip(SKIP_1) | instid1(VALU_DEP_1)
	v_mov_b32_e32 v139, v133
	v_pk_mul_f32 v[132:133], v[134:135], v[124:125] op_sel:[0,1]
	v_pk_fma_f32 v[136:137], v[134:135], v[122:123], v[132:133] op_sel:[0,0,1] op_sel_hi:[1,1,0] neg_lo:[0,0,1] neg_hi:[0,0,1]
	v_pk_fma_f32 v[132:133], v[134:135], v[122:123], v[132:133] op_sel:[0,0,1] op_sel_hi:[1,0,0]
	s_delay_alu instid0(VALU_DEP_1)
	v_mov_b32_e32 v137, v133
	ds_load_2addr_b64 v[132:135], v126 offset0:46 offset1:47
	v_pk_add_f32 v[88:89], v[88:89], v[138:139] neg_lo:[0,1] neg_hi:[0,1]
	v_pk_add_f32 v[18:19], v[18:19], v[136:137] neg_lo:[0,1] neg_hi:[0,1]
	s_wait_dscnt 0x0
	v_pk_mul_f32 v[136:137], v[132:133], v[124:125] op_sel:[0,1]
	s_delay_alu instid0(VALU_DEP_1) | instskip(SKIP_1) | instid1(VALU_DEP_1)
	v_pk_fma_f32 v[138:139], v[132:133], v[122:123], v[136:137] op_sel:[0,0,1] op_sel_hi:[1,1,0] neg_lo:[0,0,1] neg_hi:[0,0,1]
	v_pk_fma_f32 v[132:133], v[132:133], v[122:123], v[136:137] op_sel:[0,0,1] op_sel_hi:[1,0,0]
	v_mov_b32_e32 v139, v133
	v_pk_mul_f32 v[132:133], v[134:135], v[124:125] op_sel:[0,1]
	s_delay_alu instid0(VALU_DEP_1) | instskip(SKIP_1) | instid1(VALU_DEP_1)
	v_pk_fma_f32 v[136:137], v[134:135], v[122:123], v[132:133] op_sel:[0,0,1] op_sel_hi:[1,1,0] neg_lo:[0,0,1] neg_hi:[0,0,1]
	v_pk_fma_f32 v[132:133], v[134:135], v[122:123], v[132:133] op_sel:[0,0,1] op_sel_hi:[1,0,0]
	v_mov_b32_e32 v137, v133
	ds_load_2addr_b64 v[132:135], v126 offset0:48 offset1:49
	v_pk_add_f32 v[20:21], v[20:21], v[138:139] neg_lo:[0,1] neg_hi:[0,1]
	v_pk_add_f32 v[16:17], v[16:17], v[136:137] neg_lo:[0,1] neg_hi:[0,1]
	s_wait_dscnt 0x0
	v_dual_mul_f32 v136, v133, v125 :: v_dual_mul_f32 v138, v133, v122
	s_delay_alu instid0(VALU_DEP_1) | instskip(NEXT) | instid1(VALU_DEP_2)
	v_pk_fma_f32 v[136:137], v[132:133], v[64:65], v[136:137] op_sel_hi:[1,1,0] neg_lo:[0,0,1] neg_hi:[0,0,1]
	v_pk_fma_f32 v[132:133], v[132:133], v[64:65], v[138:139] op_sel:[1,0,0] op_sel_hi:[0,1,0]
	s_delay_alu instid0(VALU_DEP_1) | instskip(SKIP_1) | instid1(VALU_DEP_2)
	v_mov_b32_e32 v137, v133
	v_pk_mul_f32 v[132:133], v[134:135], v[124:125] op_sel:[0,1]
	v_pk_add_f32 v[84:85], v[84:85], v[136:137] neg_lo:[0,1] neg_hi:[0,1]
	s_delay_alu instid0(VALU_DEP_2) | instskip(SKIP_1) | instid1(VALU_DEP_1)
	v_pk_fma_f32 v[136:137], v[134:135], v[122:123], v[132:133] op_sel:[0,0,1] op_sel_hi:[1,1,0] neg_lo:[0,0,1] neg_hi:[0,0,1]
	v_pk_fma_f32 v[132:133], v[134:135], v[122:123], v[132:133] op_sel:[0,0,1] op_sel_hi:[1,0,0]
	v_mov_b32_e32 v137, v133
	ds_load_2addr_b64 v[132:135], v126 offset0:50 offset1:51
	v_pk_add_f32 v[10:11], v[10:11], v[136:137] neg_lo:[0,1] neg_hi:[0,1]
	s_wait_dscnt 0x0
	v_pk_mul_f32 v[136:137], v[132:133], v[124:125] op_sel:[0,1]
	s_delay_alu instid0(VALU_DEP_1) | instskip(SKIP_1) | instid1(VALU_DEP_1)
	v_pk_fma_f32 v[138:139], v[132:133], v[122:123], v[136:137] op_sel:[0,0,1] op_sel_hi:[1,1,0] neg_lo:[0,0,1] neg_hi:[0,0,1]
	v_pk_fma_f32 v[132:133], v[132:133], v[122:123], v[136:137] op_sel:[0,0,1] op_sel_hi:[1,0,0]
	v_mov_b32_e32 v139, v133
	v_pk_mul_f32 v[132:133], v[134:135], v[124:125] op_sel:[0,1]
	s_delay_alu instid0(VALU_DEP_2) | instskip(NEXT) | instid1(VALU_DEP_2)
	v_pk_add_f32 v[12:13], v[12:13], v[138:139] neg_lo:[0,1] neg_hi:[0,1]
	v_pk_fma_f32 v[136:137], v[134:135], v[122:123], v[132:133] op_sel:[0,0,1] op_sel_hi:[1,1,0] neg_lo:[0,0,1] neg_hi:[0,0,1]
	v_pk_fma_f32 v[132:133], v[134:135], v[122:123], v[132:133] op_sel:[0,0,1] op_sel_hi:[1,0,0]
	s_delay_alu instid0(VALU_DEP_1) | instskip(SKIP_4) | instid1(VALU_DEP_1)
	v_mov_b32_e32 v137, v133
	ds_load_2addr_b64 v[132:135], v126 offset0:52 offset1:53
	v_pk_add_f32 v[8:9], v[8:9], v[136:137] neg_lo:[0,1] neg_hi:[0,1]
	s_wait_dscnt 0x0
	v_pk_mul_f32 v[136:137], v[132:133], v[124:125] op_sel:[0,1]
	v_pk_fma_f32 v[138:139], v[132:133], v[122:123], v[136:137] op_sel:[0,0,1] op_sel_hi:[1,1,0] neg_lo:[0,0,1] neg_hi:[0,0,1]
	v_pk_fma_f32 v[132:133], v[132:133], v[122:123], v[136:137] op_sel:[0,0,1] op_sel_hi:[1,0,0]
	v_dual_mul_f32 v136, v135, v125 :: v_dual_mov_b32 v132, v135
	s_delay_alu instid0(VALU_DEP_2) | instskip(NEXT) | instid1(VALU_DEP_2)
	v_dual_mov_b32 v139, v133 :: v_dual_mov_b32 v133, v134
	v_pk_fma_f32 v[136:137], v[134:135], v[64:65], v[136:137] op_sel_hi:[1,1,0] neg_lo:[0,0,1] neg_hi:[0,0,1]
	v_mul_f32_e32 v134, v135, v122
	s_delay_alu instid0(VALU_DEP_3) | instskip(NEXT) | instid1(VALU_DEP_2)
	v_pk_add_f32 v[60:61], v[60:61], v[138:139] neg_lo:[0,1] neg_hi:[0,1]
	v_pk_fma_f32 v[132:133], v[132:133], v[64:65], v[134:135] op_sel_hi:[1,1,0]
	s_delay_alu instid0(VALU_DEP_1) | instskip(SKIP_4) | instid1(VALU_DEP_1)
	v_mov_b32_e32 v137, v133
	ds_load_2addr_b64 v[132:135], v126 offset0:54 offset1:55
	v_pk_add_f32 v[6:7], v[6:7], v[136:137] neg_lo:[0,1] neg_hi:[0,1]
	s_wait_dscnt 0x0
	v_pk_mul_f32 v[136:137], v[132:133], v[124:125] op_sel:[0,1]
	v_pk_fma_f32 v[138:139], v[132:133], v[122:123], v[136:137] op_sel:[0,0,1] op_sel_hi:[1,1,0] neg_lo:[0,0,1] neg_hi:[0,0,1]
	v_pk_fma_f32 v[132:133], v[132:133], v[122:123], v[136:137] op_sel:[0,0,1] op_sel_hi:[1,0,0]
	s_delay_alu instid0(VALU_DEP_1) | instskip(SKIP_1) | instid1(VALU_DEP_1)
	v_mov_b32_e32 v139, v133
	v_pk_mul_f32 v[132:133], v[134:135], v[124:125] op_sel:[0,1]
	v_pk_fma_f32 v[136:137], v[134:135], v[122:123], v[132:133] op_sel:[0,0,1] op_sel_hi:[1,1,0] neg_lo:[0,0,1] neg_hi:[0,0,1]
	v_pk_fma_f32 v[132:133], v[134:135], v[122:123], v[132:133] op_sel:[0,0,1] op_sel_hi:[1,0,0]
	s_delay_alu instid0(VALU_DEP_1)
	v_mov_b32_e32 v137, v133
	ds_load_2addr_b64 v[132:135], v126 offset0:56 offset1:57
	v_pk_add_f32 v[42:43], v[42:43], v[138:139] neg_lo:[0,1] neg_hi:[0,1]
	v_pk_add_f32 v[28:29], v[28:29], v[136:137] neg_lo:[0,1] neg_hi:[0,1]
	s_wait_dscnt 0x0
	v_pk_mul_f32 v[136:137], v[132:133], v[124:125] op_sel:[0,1]
	v_pk_mul_f32 v[124:125], v[134:135], v[124:125] op_sel:[0,1]
	s_delay_alu instid0(VALU_DEP_2) | instskip(SKIP_1) | instid1(VALU_DEP_1)
	v_pk_fma_f32 v[138:139], v[132:133], v[122:123], v[136:137] op_sel:[0,0,1] op_sel_hi:[1,1,0] neg_lo:[0,0,1] neg_hi:[0,0,1]
	v_pk_fma_f32 v[132:133], v[132:133], v[122:123], v[136:137] op_sel:[0,0,1] op_sel_hi:[1,0,0]
	v_mov_b32_e32 v139, v133
	s_delay_alu instid0(VALU_DEP_4) | instskip(SKIP_1) | instid1(VALU_DEP_1)
	v_pk_fma_f32 v[132:133], v[134:135], v[122:123], v[124:125] op_sel:[0,0,1] op_sel_hi:[1,1,0] neg_lo:[0,0,1] neg_hi:[0,0,1]
	v_pk_fma_f32 v[122:123], v[134:135], v[122:123], v[124:125] op_sel:[0,0,1] op_sel_hi:[1,0,0]
	v_mov_b32_e32 v133, v123
	s_delay_alu instid0(VALU_DEP_4) | instskip(NEXT) | instid1(VALU_DEP_2)
	v_pk_add_f32 v[14:15], v[14:15], v[138:139] neg_lo:[0,1] neg_hi:[0,1]
	v_pk_add_f32 v[120:121], v[120:121], v[132:133] neg_lo:[0,1] neg_hi:[0,1]
.LBB114_419:
	s_or_b32 exec_lo, exec_lo, s0
	v_lshl_add_u32 v122, v130, 3, v126
	s_barrier_signal -1
	s_barrier_wait -1
	ds_store_b64 v122, v[102:103]
	s_wait_dscnt 0x0
	s_barrier_signal -1
	s_barrier_wait -1
	ds_load_b64 v[124:125], v126 offset:160
	v_mov_b32_e32 v122, 20
	s_cmp_lt_i32 s18, 22
	s_cbranch_scc1 .LBB114_422
; %bb.420:
	v_add3_u32 v123, v127, 0, 0xa8
	v_mov_b32_e32 v122, 20
	s_mov_b32 s0, 21
.LBB114_421:                            ; =>This Inner Loop Header: Depth=1
	ds_load_b64 v[132:133], v123
	s_wait_dscnt 0x1
	v_cmp_gt_f32_e32 vcc_lo, 0, v124
	v_cndmask_b32_e64 v134, v124, -v124, vcc_lo
	v_cmp_gt_f32_e32 vcc_lo, 0, v125
	v_cndmask_b32_e64 v136, v125, -v125, vcc_lo
	s_wait_dscnt 0x0
	v_cmp_gt_f32_e32 vcc_lo, 0, v132
	v_cndmask_b32_e64 v135, v132, -v132, vcc_lo
	v_cmp_gt_f32_e32 vcc_lo, 0, v133
	v_cndmask_b32_e64 v137, v133, -v133, vcc_lo
	s_delay_alu instid0(VALU_DEP_1) | instskip(NEXT) | instid1(VALU_DEP_1)
	v_pk_add_f32 v[134:135], v[134:135], v[136:137]
	v_cmp_lt_f32_e32 vcc_lo, v134, v135
	v_dual_add_nc_u32 v123, 8, v123 :: v_dual_cndmask_b32 v125, v125, v133, vcc_lo
	v_cndmask_b32_e32 v124, v124, v132, vcc_lo
	v_cndmask_b32_e64 v122, v122, s0, vcc_lo
	s_add_co_i32 s0, s0, 1
	s_delay_alu instid0(SALU_CYCLE_1)
	s_cmp_lg_u32 s18, s0
	s_cbranch_scc1 .LBB114_421
.LBB114_422:
	s_wait_dscnt 0x0
	v_cmp_eq_f32_e32 vcc_lo, 0, v124
	v_cmp_eq_f32_e64 s0, 0, v125
	s_and_b32 s0, vcc_lo, s0
	s_delay_alu instid0(SALU_CYCLE_1) | instskip(NEXT) | instid1(SALU_CYCLE_1)
	s_and_saveexec_b32 s1, s0
	s_xor_b32 s0, exec_lo, s1
; %bb.423:
	v_cmp_ne_u32_e32 vcc_lo, 0, v128
	v_cndmask_b32_e32 v128, 21, v128, vcc_lo
; %bb.424:
	s_and_not1_saveexec_b32 s0, s0
	s_cbranch_execz .LBB114_430
; %bb.425:
	v_cmp_ngt_f32_e64 s1, |v124|, |v125|
	s_and_saveexec_b32 s12, s1
	s_delay_alu instid0(SALU_CYCLE_1)
	s_xor_b32 s1, exec_lo, s12
	s_cbranch_execz .LBB114_427
; %bb.426:
	v_div_scale_f32 v123, null, v125, v125, v124
	v_div_scale_f32 v133, vcc_lo, v124, v125, v124
	s_delay_alu instid0(VALU_DEP_2) | instskip(SKIP_1) | instid1(TRANS32_DEP_1)
	v_rcp_f32_e32 v131, v123
	v_nop
	v_fma_f32 v132, -v123, v131, 1.0
	s_delay_alu instid0(VALU_DEP_1) | instskip(NEXT) | instid1(VALU_DEP_1)
	v_fmac_f32_e32 v131, v132, v131
	v_mul_f32_e32 v132, v133, v131
	s_delay_alu instid0(VALU_DEP_1) | instskip(NEXT) | instid1(VALU_DEP_1)
	v_fma_f32 v134, -v123, v132, v133
	v_fmac_f32_e32 v132, v134, v131
	s_delay_alu instid0(VALU_DEP_1) | instskip(NEXT) | instid1(VALU_DEP_1)
	v_fma_f32 v123, -v123, v132, v133
	v_div_fmas_f32 v123, v123, v131, v132
	s_delay_alu instid0(VALU_DEP_1) | instskip(NEXT) | instid1(VALU_DEP_1)
	v_div_fixup_f32 v123, v123, v125, v124
	v_fmac_f32_e32 v125, v124, v123
	s_delay_alu instid0(VALU_DEP_1) | instskip(SKIP_1) | instid1(VALU_DEP_2)
	v_div_scale_f32 v124, null, v125, v125, 1.0
	v_div_scale_f32 v133, vcc_lo, 1.0, v125, 1.0
	v_rcp_f32_e32 v131, v124
	v_nop
	s_delay_alu instid0(TRANS32_DEP_1) | instskip(NEXT) | instid1(VALU_DEP_1)
	v_fma_f32 v132, -v124, v131, 1.0
	v_fmac_f32_e32 v131, v132, v131
	s_delay_alu instid0(VALU_DEP_1) | instskip(NEXT) | instid1(VALU_DEP_1)
	v_mul_f32_e32 v132, v133, v131
	v_fma_f32 v134, -v124, v132, v133
	s_delay_alu instid0(VALU_DEP_1) | instskip(NEXT) | instid1(VALU_DEP_1)
	v_fmac_f32_e32 v132, v134, v131
	v_fma_f32 v124, -v124, v132, v133
	s_delay_alu instid0(VALU_DEP_1) | instskip(NEXT) | instid1(VALU_DEP_1)
	v_div_fmas_f32 v124, v124, v131, v132
	v_div_fixup_f32 v125, v124, v125, 1.0
	s_delay_alu instid0(VALU_DEP_1)
	v_mul_f32_e32 v124, v123, v125
	v_xor_b32_e32 v125, 0x80000000, v125
.LBB114_427:
	s_and_not1_saveexec_b32 s1, s1
	s_cbranch_execz .LBB114_429
; %bb.428:
	s_delay_alu instid0(VALU_DEP_1) | instskip(SKIP_1) | instid1(VALU_DEP_2)
	v_div_scale_f32 v123, null, v124, v124, v125
	v_div_scale_f32 v133, vcc_lo, v125, v124, v125
	v_rcp_f32_e32 v131, v123
	v_nop
	s_delay_alu instid0(TRANS32_DEP_1) | instskip(NEXT) | instid1(VALU_DEP_1)
	v_fma_f32 v132, -v123, v131, 1.0
	v_fmac_f32_e32 v131, v132, v131
	s_delay_alu instid0(VALU_DEP_1) | instskip(NEXT) | instid1(VALU_DEP_1)
	v_mul_f32_e32 v132, v133, v131
	v_fma_f32 v134, -v123, v132, v133
	s_delay_alu instid0(VALU_DEP_1) | instskip(NEXT) | instid1(VALU_DEP_1)
	v_fmac_f32_e32 v132, v134, v131
	v_fma_f32 v123, -v123, v132, v133
	s_delay_alu instid0(VALU_DEP_1) | instskip(NEXT) | instid1(VALU_DEP_1)
	v_div_fmas_f32 v123, v123, v131, v132
	v_div_fixup_f32 v123, v123, v124, v125
	s_delay_alu instid0(VALU_DEP_1) | instskip(NEXT) | instid1(VALU_DEP_1)
	v_fmac_f32_e32 v124, v125, v123
	v_div_scale_f32 v125, null, v124, v124, 1.0
	s_delay_alu instid0(VALU_DEP_1) | instskip(SKIP_1) | instid1(TRANS32_DEP_1)
	v_rcp_f32_e32 v131, v125
	v_nop
	v_fma_f32 v132, -v125, v131, 1.0
	s_delay_alu instid0(VALU_DEP_1) | instskip(SKIP_1) | instid1(VALU_DEP_1)
	v_fmac_f32_e32 v131, v132, v131
	v_div_scale_f32 v132, vcc_lo, 1.0, v124, 1.0
	v_mul_f32_e32 v133, v132, v131
	s_delay_alu instid0(VALU_DEP_1) | instskip(NEXT) | instid1(VALU_DEP_1)
	v_fma_f32 v134, -v125, v133, v132
	v_fmac_f32_e32 v133, v134, v131
	s_delay_alu instid0(VALU_DEP_1) | instskip(NEXT) | instid1(VALU_DEP_1)
	v_fma_f32 v125, -v125, v133, v132
	v_div_fmas_f32 v125, v125, v131, v133
	s_delay_alu instid0(VALU_DEP_1) | instskip(NEXT) | instid1(VALU_DEP_1)
	v_div_fixup_f32 v124, v125, v124, 1.0
	v_mul_f32_e64 v125, v123, -v124
.LBB114_429:
	s_or_b32 exec_lo, exec_lo, s1
.LBB114_430:
	s_delay_alu instid0(SALU_CYCLE_1) | instskip(NEXT) | instid1(SALU_CYCLE_1)
	s_or_b32 exec_lo, exec_lo, s0
	s_mov_b32 s0, exec_lo
	v_cmpx_ne_u32_e64 v130, v122
	s_xor_b32 s0, exec_lo, s0
	s_cbranch_execz .LBB114_436
; %bb.431:
	s_mov_b32 s1, exec_lo
	v_cmpx_eq_u32_e32 20, v130
	s_cbranch_execz .LBB114_435
; %bb.432:
	v_cmp_ne_u32_e32 vcc_lo, 20, v122
	s_xor_b32 s12, s16, -1
	s_delay_alu instid0(SALU_CYCLE_1) | instskip(NEXT) | instid1(SALU_CYCLE_1)
	s_and_b32 s13, s12, vcc_lo
	s_and_saveexec_b32 s12, s13
	s_cbranch_execz .LBB114_434
; %bb.433:
	v_ashrrev_i32_e32 v123, 31, v122
	s_delay_alu instid0(VALU_DEP_1)
	v_lshl_add_u64 v[130:131], v[122:123], 2, v[4:5]
	s_clause 0x1
	global_load_b32 v123, v[130:131], off
	global_load_b32 v129, v[4:5], off offset:80
	s_wait_loadcnt 0x1
	global_store_b32 v[4:5], v123, off offset:80
	s_wait_loadcnt 0x0
	global_store_b32 v[130:131], v129, off
.LBB114_434:
	s_wait_xcnt 0x0
	s_or_b32 exec_lo, exec_lo, s12
	v_dual_mov_b32 v130, v122 :: v_dual_mov_b32 v129, v122
.LBB114_435:
	s_or_b32 exec_lo, exec_lo, s1
.LBB114_436:
	s_and_not1_saveexec_b32 s0, s0
	s_cbranch_execz .LBB114_438
; %bb.437:
	v_mov_b32_e32 v130, 20
	ds_store_2addr_b64 v126, v[58:59], v[62:63] offset0:21 offset1:22
	ds_store_2addr_b64 v126, v[56:57], v[100:101] offset0:23 offset1:24
	;; [unrolled: 1-line block ×18, first 2 shown]
	ds_store_b64 v126, v[120:121] offset:456
.LBB114_438:
	s_or_b32 exec_lo, exec_lo, s0
	s_delay_alu instid0(SALU_CYCLE_1)
	s_mov_b32 s0, exec_lo
	s_wait_storecnt_dscnt 0x0
	s_barrier_signal -1
	s_barrier_wait -1
	v_cmpx_lt_i32_e32 20, v130
	s_cbranch_execz .LBB114_440
; %bb.439:
	v_pk_mul_f32 v[132:133], v[124:125], v[102:103] op_sel:[1,1] op_sel_hi:[0,1]
	s_delay_alu instid0(VALU_DEP_1)
	v_pk_fma_f32 v[122:123], v[124:125], v[102:103], v[132:133] op_sel_hi:[1,0,1] neg_lo:[0,0,1] neg_hi:[0,0,1]
	v_pk_fma_f32 v[124:125], v[124:125], v[102:103], v[132:133] op_sel_hi:[1,0,1]
	ds_load_2addr_b64 v[132:135], v126 offset0:21 offset1:22
	v_dual_mov_b32 v102, v122 :: v_dual_mov_b32 v103, v125
	s_wait_dscnt 0x0
	v_pk_mul_f32 v[136:137], v[132:133], v[124:125] op_sel:[0,1]
	s_delay_alu instid0(VALU_DEP_1) | instskip(SKIP_1) | instid1(VALU_DEP_1)
	v_pk_fma_f32 v[138:139], v[132:133], v[122:123], v[136:137] op_sel:[0,0,1] op_sel_hi:[1,1,0] neg_lo:[0,0,1] neg_hi:[0,0,1]
	v_pk_fma_f32 v[132:133], v[132:133], v[122:123], v[136:137] op_sel:[0,0,1] op_sel_hi:[1,0,0]
	v_mov_b32_e32 v139, v133
	v_pk_mul_f32 v[132:133], v[134:135], v[124:125] op_sel:[0,1]
	s_delay_alu instid0(VALU_DEP_1) | instskip(SKIP_1) | instid1(VALU_DEP_1)
	v_pk_fma_f32 v[136:137], v[134:135], v[122:123], v[132:133] op_sel:[0,0,1] op_sel_hi:[1,1,0] neg_lo:[0,0,1] neg_hi:[0,0,1]
	v_pk_fma_f32 v[132:133], v[134:135], v[122:123], v[132:133] op_sel:[0,0,1] op_sel_hi:[1,0,0]
	v_mov_b32_e32 v137, v133
	ds_load_2addr_b64 v[132:135], v126 offset0:23 offset1:24
	v_pk_add_f32 v[58:59], v[58:59], v[138:139] neg_lo:[0,1] neg_hi:[0,1]
	v_pk_add_f32 v[62:63], v[62:63], v[136:137] neg_lo:[0,1] neg_hi:[0,1]
	s_wait_dscnt 0x0
	v_pk_mul_f32 v[136:137], v[132:133], v[124:125] op_sel:[0,1]
	s_delay_alu instid0(VALU_DEP_1) | instskip(SKIP_2) | instid1(VALU_DEP_2)
	v_pk_fma_f32 v[138:139], v[132:133], v[122:123], v[136:137] op_sel:[0,0,1] op_sel_hi:[1,1,0] neg_lo:[0,0,1] neg_hi:[0,0,1]
	v_pk_fma_f32 v[132:133], v[132:133], v[122:123], v[136:137] op_sel:[0,0,1] op_sel_hi:[1,0,0]
	v_dual_mul_f32 v136, v135, v125 :: v_dual_mov_b32 v132, v135
	v_dual_mov_b32 v139, v133 :: v_dual_mov_b32 v133, v134
	s_delay_alu instid0(VALU_DEP_2) | instskip(SKIP_1) | instid1(VALU_DEP_3)
	v_pk_fma_f32 v[136:137], v[134:135], v[102:103], v[136:137] op_sel_hi:[1,1,0] neg_lo:[0,0,1] neg_hi:[0,0,1]
	v_mul_f32_e32 v134, v135, v122
	v_pk_add_f32 v[56:57], v[56:57], v[138:139] neg_lo:[0,1] neg_hi:[0,1]
	s_delay_alu instid0(VALU_DEP_2) | instskip(NEXT) | instid1(VALU_DEP_1)
	v_pk_fma_f32 v[132:133], v[132:133], v[102:103], v[134:135] op_sel_hi:[1,1,0]
	v_mov_b32_e32 v137, v133
	ds_load_2addr_b64 v[132:135], v126 offset0:25 offset1:26
	v_pk_add_f32 v[100:101], v[100:101], v[136:137] neg_lo:[0,1] neg_hi:[0,1]
	s_wait_dscnt 0x0
	v_pk_mul_f32 v[136:137], v[132:133], v[124:125] op_sel:[0,1]
	s_delay_alu instid0(VALU_DEP_1) | instskip(SKIP_1) | instid1(VALU_DEP_1)
	v_pk_fma_f32 v[138:139], v[132:133], v[122:123], v[136:137] op_sel:[0,0,1] op_sel_hi:[1,1,0] neg_lo:[0,0,1] neg_hi:[0,0,1]
	v_pk_fma_f32 v[132:133], v[132:133], v[122:123], v[136:137] op_sel:[0,0,1] op_sel_hi:[1,0,0]
	v_mov_b32_e32 v139, v133
	v_pk_mul_f32 v[132:133], v[134:135], v[124:125] op_sel:[0,1]
	s_delay_alu instid0(VALU_DEP_1) | instskip(SKIP_1) | instid1(VALU_DEP_1)
	v_pk_fma_f32 v[136:137], v[134:135], v[122:123], v[132:133] op_sel:[0,0,1] op_sel_hi:[1,1,0] neg_lo:[0,0,1] neg_hi:[0,0,1]
	v_pk_fma_f32 v[132:133], v[134:135], v[122:123], v[132:133] op_sel:[0,0,1] op_sel_hi:[1,0,0]
	v_mov_b32_e32 v137, v133
	ds_load_2addr_b64 v[132:135], v126 offset0:27 offset1:28
	v_pk_add_f32 v[52:53], v[52:53], v[138:139] neg_lo:[0,1] neg_hi:[0,1]
	v_pk_add_f32 v[54:55], v[54:55], v[136:137] neg_lo:[0,1] neg_hi:[0,1]
	s_wait_dscnt 0x0
	v_pk_mul_f32 v[136:137], v[132:133], v[124:125] op_sel:[0,1]
	s_delay_alu instid0(VALU_DEP_1) | instskip(SKIP_1) | instid1(VALU_DEP_1)
	v_pk_fma_f32 v[138:139], v[132:133], v[122:123], v[136:137] op_sel:[0,0,1] op_sel_hi:[1,1,0] neg_lo:[0,0,1] neg_hi:[0,0,1]
	v_pk_fma_f32 v[132:133], v[132:133], v[122:123], v[136:137] op_sel:[0,0,1] op_sel_hi:[1,0,0]
	v_mov_b32_e32 v139, v133
	v_pk_mul_f32 v[132:133], v[134:135], v[124:125] op_sel:[0,1]
	s_delay_alu instid0(VALU_DEP_1) | instskip(SKIP_1) | instid1(VALU_DEP_1)
	v_pk_fma_f32 v[136:137], v[134:135], v[122:123], v[132:133] op_sel:[0,0,1] op_sel_hi:[1,1,0] neg_lo:[0,0,1] neg_hi:[0,0,1]
	v_pk_fma_f32 v[132:133], v[134:135], v[122:123], v[132:133] op_sel:[0,0,1] op_sel_hi:[1,0,0]
	v_mov_b32_e32 v137, v133
	ds_load_2addr_b64 v[132:135], v126 offset0:29 offset1:30
	v_pk_add_f32 v[50:51], v[50:51], v[138:139] neg_lo:[0,1] neg_hi:[0,1]
	v_pk_add_f32 v[96:97], v[96:97], v[136:137] neg_lo:[0,1] neg_hi:[0,1]
	s_wait_dscnt 0x0
	v_dual_mul_f32 v136, v133, v125 :: v_dual_mul_f32 v138, v133, v122
	s_delay_alu instid0(VALU_DEP_1) | instskip(NEXT) | instid1(VALU_DEP_2)
	v_pk_fma_f32 v[136:137], v[132:133], v[102:103], v[136:137] op_sel_hi:[1,1,0] neg_lo:[0,0,1] neg_hi:[0,0,1]
	v_pk_fma_f32 v[132:133], v[132:133], v[102:103], v[138:139] op_sel:[1,0,0] op_sel_hi:[0,1,0]
	s_delay_alu instid0(VALU_DEP_1) | instskip(SKIP_1) | instid1(VALU_DEP_2)
	v_mov_b32_e32 v137, v133
	v_pk_mul_f32 v[132:133], v[134:135], v[124:125] op_sel:[0,1]
	v_pk_add_f32 v[46:47], v[46:47], v[136:137] neg_lo:[0,1] neg_hi:[0,1]
	s_delay_alu instid0(VALU_DEP_2) | instskip(SKIP_1) | instid1(VALU_DEP_1)
	v_pk_fma_f32 v[136:137], v[134:135], v[122:123], v[132:133] op_sel:[0,0,1] op_sel_hi:[1,1,0] neg_lo:[0,0,1] neg_hi:[0,0,1]
	v_pk_fma_f32 v[132:133], v[134:135], v[122:123], v[132:133] op_sel:[0,0,1] op_sel_hi:[1,0,0]
	v_mov_b32_e32 v137, v133
	ds_load_2addr_b64 v[132:135], v126 offset0:31 offset1:32
	v_pk_add_f32 v[48:49], v[48:49], v[136:137] neg_lo:[0,1] neg_hi:[0,1]
	s_wait_dscnt 0x0
	v_pk_mul_f32 v[136:137], v[132:133], v[124:125] op_sel:[0,1]
	s_delay_alu instid0(VALU_DEP_1) | instskip(SKIP_1) | instid1(VALU_DEP_1)
	v_pk_fma_f32 v[138:139], v[132:133], v[122:123], v[136:137] op_sel:[0,0,1] op_sel_hi:[1,1,0] neg_lo:[0,0,1] neg_hi:[0,0,1]
	v_pk_fma_f32 v[132:133], v[132:133], v[122:123], v[136:137] op_sel:[0,0,1] op_sel_hi:[1,0,0]
	v_mov_b32_e32 v139, v133
	v_pk_mul_f32 v[132:133], v[134:135], v[124:125] op_sel:[0,1]
	s_delay_alu instid0(VALU_DEP_2) | instskip(NEXT) | instid1(VALU_DEP_2)
	v_pk_add_f32 v[44:45], v[44:45], v[138:139] neg_lo:[0,1] neg_hi:[0,1]
	v_pk_fma_f32 v[136:137], v[134:135], v[122:123], v[132:133] op_sel:[0,0,1] op_sel_hi:[1,1,0] neg_lo:[0,0,1] neg_hi:[0,0,1]
	v_pk_fma_f32 v[132:133], v[134:135], v[122:123], v[132:133] op_sel:[0,0,1] op_sel_hi:[1,0,0]
	s_delay_alu instid0(VALU_DEP_1) | instskip(SKIP_4) | instid1(VALU_DEP_1)
	v_mov_b32_e32 v137, v133
	ds_load_2addr_b64 v[132:135], v126 offset0:33 offset1:34
	v_pk_add_f32 v[94:95], v[94:95], v[136:137] neg_lo:[0,1] neg_hi:[0,1]
	s_wait_dscnt 0x0
	v_pk_mul_f32 v[136:137], v[132:133], v[124:125] op_sel:[0,1]
	v_pk_fma_f32 v[138:139], v[132:133], v[122:123], v[136:137] op_sel:[0,0,1] op_sel_hi:[1,1,0] neg_lo:[0,0,1] neg_hi:[0,0,1]
	v_pk_fma_f32 v[132:133], v[132:133], v[122:123], v[136:137] op_sel:[0,0,1] op_sel_hi:[1,0,0]
	v_dual_mul_f32 v136, v135, v125 :: v_dual_mov_b32 v132, v135
	s_delay_alu instid0(VALU_DEP_2) | instskip(NEXT) | instid1(VALU_DEP_2)
	v_dual_mov_b32 v139, v133 :: v_dual_mov_b32 v133, v134
	v_pk_fma_f32 v[136:137], v[134:135], v[102:103], v[136:137] op_sel_hi:[1,1,0] neg_lo:[0,0,1] neg_hi:[0,0,1]
	v_mul_f32_e32 v134, v135, v122
	s_delay_alu instid0(VALU_DEP_3) | instskip(NEXT) | instid1(VALU_DEP_2)
	v_pk_add_f32 v[38:39], v[38:39], v[138:139] neg_lo:[0,1] neg_hi:[0,1]
	v_pk_fma_f32 v[132:133], v[132:133], v[102:103], v[134:135] op_sel_hi:[1,1,0]
	s_delay_alu instid0(VALU_DEP_1) | instskip(SKIP_4) | instid1(VALU_DEP_1)
	v_mov_b32_e32 v137, v133
	ds_load_2addr_b64 v[132:135], v126 offset0:35 offset1:36
	v_pk_add_f32 v[40:41], v[40:41], v[136:137] neg_lo:[0,1] neg_hi:[0,1]
	s_wait_dscnt 0x0
	v_pk_mul_f32 v[136:137], v[132:133], v[124:125] op_sel:[0,1]
	v_pk_fma_f32 v[138:139], v[132:133], v[122:123], v[136:137] op_sel:[0,0,1] op_sel_hi:[1,1,0] neg_lo:[0,0,1] neg_hi:[0,0,1]
	v_pk_fma_f32 v[132:133], v[132:133], v[122:123], v[136:137] op_sel:[0,0,1] op_sel_hi:[1,0,0]
	s_delay_alu instid0(VALU_DEP_1) | instskip(SKIP_1) | instid1(VALU_DEP_1)
	v_mov_b32_e32 v139, v133
	v_pk_mul_f32 v[132:133], v[134:135], v[124:125] op_sel:[0,1]
	v_pk_fma_f32 v[136:137], v[134:135], v[122:123], v[132:133] op_sel:[0,0,1] op_sel_hi:[1,1,0] neg_lo:[0,0,1] neg_hi:[0,0,1]
	v_pk_fma_f32 v[132:133], v[134:135], v[122:123], v[132:133] op_sel:[0,0,1] op_sel_hi:[1,0,0]
	s_delay_alu instid0(VALU_DEP_1)
	v_mov_b32_e32 v137, v133
	ds_load_2addr_b64 v[132:135], v126 offset0:37 offset1:38
	v_pk_add_f32 v[36:37], v[36:37], v[138:139] neg_lo:[0,1] neg_hi:[0,1]
	v_pk_add_f32 v[92:93], v[92:93], v[136:137] neg_lo:[0,1] neg_hi:[0,1]
	s_wait_dscnt 0x0
	v_pk_mul_f32 v[136:137], v[132:133], v[124:125] op_sel:[0,1]
	s_delay_alu instid0(VALU_DEP_1) | instskip(SKIP_1) | instid1(VALU_DEP_1)
	v_pk_fma_f32 v[138:139], v[132:133], v[122:123], v[136:137] op_sel:[0,0,1] op_sel_hi:[1,1,0] neg_lo:[0,0,1] neg_hi:[0,0,1]
	v_pk_fma_f32 v[132:133], v[132:133], v[122:123], v[136:137] op_sel:[0,0,1] op_sel_hi:[1,0,0]
	v_mov_b32_e32 v139, v133
	v_pk_mul_f32 v[132:133], v[134:135], v[124:125] op_sel:[0,1]
	s_delay_alu instid0(VALU_DEP_1) | instskip(SKIP_1) | instid1(VALU_DEP_1)
	v_pk_fma_f32 v[136:137], v[134:135], v[122:123], v[132:133] op_sel:[0,0,1] op_sel_hi:[1,1,0] neg_lo:[0,0,1] neg_hi:[0,0,1]
	v_pk_fma_f32 v[132:133], v[134:135], v[122:123], v[132:133] op_sel:[0,0,1] op_sel_hi:[1,0,0]
	v_mov_b32_e32 v137, v133
	ds_load_2addr_b64 v[132:135], v126 offset0:39 offset1:40
	v_pk_add_f32 v[32:33], v[32:33], v[138:139] neg_lo:[0,1] neg_hi:[0,1]
	v_pk_add_f32 v[34:35], v[34:35], v[136:137] neg_lo:[0,1] neg_hi:[0,1]
	s_wait_dscnt 0x0
	v_dual_mul_f32 v136, v133, v125 :: v_dual_mul_f32 v138, v133, v122
	s_delay_alu instid0(VALU_DEP_1) | instskip(NEXT) | instid1(VALU_DEP_2)
	v_pk_fma_f32 v[136:137], v[132:133], v[102:103], v[136:137] op_sel_hi:[1,1,0] neg_lo:[0,0,1] neg_hi:[0,0,1]
	v_pk_fma_f32 v[132:133], v[132:133], v[102:103], v[138:139] op_sel:[1,0,0] op_sel_hi:[0,1,0]
	s_delay_alu instid0(VALU_DEP_1) | instskip(SKIP_1) | instid1(VALU_DEP_2)
	v_mov_b32_e32 v137, v133
	v_pk_mul_f32 v[132:133], v[134:135], v[124:125] op_sel:[0,1]
	v_pk_add_f32 v[30:31], v[30:31], v[136:137] neg_lo:[0,1] neg_hi:[0,1]
	s_delay_alu instid0(VALU_DEP_2) | instskip(SKIP_1) | instid1(VALU_DEP_1)
	v_pk_fma_f32 v[136:137], v[134:135], v[122:123], v[132:133] op_sel:[0,0,1] op_sel_hi:[1,1,0] neg_lo:[0,0,1] neg_hi:[0,0,1]
	v_pk_fma_f32 v[132:133], v[134:135], v[122:123], v[132:133] op_sel:[0,0,1] op_sel_hi:[1,0,0]
	v_mov_b32_e32 v137, v133
	ds_load_2addr_b64 v[132:135], v126 offset0:41 offset1:42
	v_pk_add_f32 v[90:91], v[90:91], v[136:137] neg_lo:[0,1] neg_hi:[0,1]
	s_wait_dscnt 0x0
	v_pk_mul_f32 v[136:137], v[132:133], v[124:125] op_sel:[0,1]
	s_delay_alu instid0(VALU_DEP_1) | instskip(SKIP_1) | instid1(VALU_DEP_1)
	v_pk_fma_f32 v[138:139], v[132:133], v[122:123], v[136:137] op_sel:[0,0,1] op_sel_hi:[1,1,0] neg_lo:[0,0,1] neg_hi:[0,0,1]
	v_pk_fma_f32 v[132:133], v[132:133], v[122:123], v[136:137] op_sel:[0,0,1] op_sel_hi:[1,0,0]
	v_mov_b32_e32 v139, v133
	v_pk_mul_f32 v[132:133], v[134:135], v[124:125] op_sel:[0,1]
	s_delay_alu instid0(VALU_DEP_2) | instskip(NEXT) | instid1(VALU_DEP_2)
	v_pk_add_f32 v[24:25], v[24:25], v[138:139] neg_lo:[0,1] neg_hi:[0,1]
	v_pk_fma_f32 v[136:137], v[134:135], v[122:123], v[132:133] op_sel:[0,0,1] op_sel_hi:[1,1,0] neg_lo:[0,0,1] neg_hi:[0,0,1]
	v_pk_fma_f32 v[132:133], v[134:135], v[122:123], v[132:133] op_sel:[0,0,1] op_sel_hi:[1,0,0]
	s_delay_alu instid0(VALU_DEP_1) | instskip(SKIP_4) | instid1(VALU_DEP_1)
	v_mov_b32_e32 v137, v133
	ds_load_2addr_b64 v[132:135], v126 offset0:43 offset1:44
	v_pk_add_f32 v[26:27], v[26:27], v[136:137] neg_lo:[0,1] neg_hi:[0,1]
	s_wait_dscnt 0x0
	v_pk_mul_f32 v[136:137], v[132:133], v[124:125] op_sel:[0,1]
	v_pk_fma_f32 v[138:139], v[132:133], v[122:123], v[136:137] op_sel:[0,0,1] op_sel_hi:[1,1,0] neg_lo:[0,0,1] neg_hi:[0,0,1]
	v_pk_fma_f32 v[132:133], v[132:133], v[122:123], v[136:137] op_sel:[0,0,1] op_sel_hi:[1,0,0]
	v_dual_mul_f32 v136, v135, v125 :: v_dual_mov_b32 v132, v135
	s_delay_alu instid0(VALU_DEP_2) | instskip(NEXT) | instid1(VALU_DEP_2)
	v_dual_mov_b32 v139, v133 :: v_dual_mov_b32 v133, v134
	v_pk_fma_f32 v[136:137], v[134:135], v[102:103], v[136:137] op_sel_hi:[1,1,0] neg_lo:[0,0,1] neg_hi:[0,0,1]
	v_mul_f32_e32 v134, v135, v122
	s_delay_alu instid0(VALU_DEP_3) | instskip(NEXT) | instid1(VALU_DEP_2)
	v_pk_add_f32 v[22:23], v[22:23], v[138:139] neg_lo:[0,1] neg_hi:[0,1]
	v_pk_fma_f32 v[132:133], v[132:133], v[102:103], v[134:135] op_sel_hi:[1,1,0]
	s_delay_alu instid0(VALU_DEP_1) | instskip(SKIP_4) | instid1(VALU_DEP_1)
	v_mov_b32_e32 v137, v133
	ds_load_2addr_b64 v[132:135], v126 offset0:45 offset1:46
	v_pk_add_f32 v[88:89], v[88:89], v[136:137] neg_lo:[0,1] neg_hi:[0,1]
	s_wait_dscnt 0x0
	v_pk_mul_f32 v[136:137], v[132:133], v[124:125] op_sel:[0,1]
	v_pk_fma_f32 v[138:139], v[132:133], v[122:123], v[136:137] op_sel:[0,0,1] op_sel_hi:[1,1,0] neg_lo:[0,0,1] neg_hi:[0,0,1]
	v_pk_fma_f32 v[132:133], v[132:133], v[122:123], v[136:137] op_sel:[0,0,1] op_sel_hi:[1,0,0]
	s_delay_alu instid0(VALU_DEP_1) | instskip(SKIP_1) | instid1(VALU_DEP_1)
	v_mov_b32_e32 v139, v133
	v_pk_mul_f32 v[132:133], v[134:135], v[124:125] op_sel:[0,1]
	v_pk_fma_f32 v[136:137], v[134:135], v[122:123], v[132:133] op_sel:[0,0,1] op_sel_hi:[1,1,0] neg_lo:[0,0,1] neg_hi:[0,0,1]
	v_pk_fma_f32 v[132:133], v[134:135], v[122:123], v[132:133] op_sel:[0,0,1] op_sel_hi:[1,0,0]
	s_delay_alu instid0(VALU_DEP_1)
	v_mov_b32_e32 v137, v133
	ds_load_2addr_b64 v[132:135], v126 offset0:47 offset1:48
	v_pk_add_f32 v[18:19], v[18:19], v[138:139] neg_lo:[0,1] neg_hi:[0,1]
	v_pk_add_f32 v[20:21], v[20:21], v[136:137] neg_lo:[0,1] neg_hi:[0,1]
	s_wait_dscnt 0x0
	v_pk_mul_f32 v[136:137], v[132:133], v[124:125] op_sel:[0,1]
	s_delay_alu instid0(VALU_DEP_1) | instskip(SKIP_1) | instid1(VALU_DEP_1)
	v_pk_fma_f32 v[138:139], v[132:133], v[122:123], v[136:137] op_sel:[0,0,1] op_sel_hi:[1,1,0] neg_lo:[0,0,1] neg_hi:[0,0,1]
	v_pk_fma_f32 v[132:133], v[132:133], v[122:123], v[136:137] op_sel:[0,0,1] op_sel_hi:[1,0,0]
	v_mov_b32_e32 v139, v133
	v_pk_mul_f32 v[132:133], v[134:135], v[124:125] op_sel:[0,1]
	s_delay_alu instid0(VALU_DEP_1) | instskip(SKIP_1) | instid1(VALU_DEP_1)
	v_pk_fma_f32 v[136:137], v[134:135], v[122:123], v[132:133] op_sel:[0,0,1] op_sel_hi:[1,1,0] neg_lo:[0,0,1] neg_hi:[0,0,1]
	v_pk_fma_f32 v[132:133], v[134:135], v[122:123], v[132:133] op_sel:[0,0,1] op_sel_hi:[1,0,0]
	v_mov_b32_e32 v137, v133
	ds_load_2addr_b64 v[132:135], v126 offset0:49 offset1:50
	v_pk_add_f32 v[16:17], v[16:17], v[138:139] neg_lo:[0,1] neg_hi:[0,1]
	v_pk_add_f32 v[84:85], v[84:85], v[136:137] neg_lo:[0,1] neg_hi:[0,1]
	s_wait_dscnt 0x0
	v_dual_mul_f32 v136, v133, v125 :: v_dual_mul_f32 v138, v133, v122
	s_delay_alu instid0(VALU_DEP_1) | instskip(NEXT) | instid1(VALU_DEP_2)
	v_pk_fma_f32 v[136:137], v[132:133], v[102:103], v[136:137] op_sel_hi:[1,1,0] neg_lo:[0,0,1] neg_hi:[0,0,1]
	v_pk_fma_f32 v[132:133], v[132:133], v[102:103], v[138:139] op_sel:[1,0,0] op_sel_hi:[0,1,0]
	s_delay_alu instid0(VALU_DEP_1) | instskip(SKIP_1) | instid1(VALU_DEP_2)
	v_mov_b32_e32 v137, v133
	v_pk_mul_f32 v[132:133], v[134:135], v[124:125] op_sel:[0,1]
	v_pk_add_f32 v[10:11], v[10:11], v[136:137] neg_lo:[0,1] neg_hi:[0,1]
	s_delay_alu instid0(VALU_DEP_2) | instskip(SKIP_1) | instid1(VALU_DEP_1)
	v_pk_fma_f32 v[136:137], v[134:135], v[122:123], v[132:133] op_sel:[0,0,1] op_sel_hi:[1,1,0] neg_lo:[0,0,1] neg_hi:[0,0,1]
	v_pk_fma_f32 v[132:133], v[134:135], v[122:123], v[132:133] op_sel:[0,0,1] op_sel_hi:[1,0,0]
	v_mov_b32_e32 v137, v133
	ds_load_2addr_b64 v[132:135], v126 offset0:51 offset1:52
	v_pk_add_f32 v[12:13], v[12:13], v[136:137] neg_lo:[0,1] neg_hi:[0,1]
	s_wait_dscnt 0x0
	v_pk_mul_f32 v[136:137], v[132:133], v[124:125] op_sel:[0,1]
	s_delay_alu instid0(VALU_DEP_1) | instskip(SKIP_1) | instid1(VALU_DEP_1)
	v_pk_fma_f32 v[138:139], v[132:133], v[122:123], v[136:137] op_sel:[0,0,1] op_sel_hi:[1,1,0] neg_lo:[0,0,1] neg_hi:[0,0,1]
	v_pk_fma_f32 v[132:133], v[132:133], v[122:123], v[136:137] op_sel:[0,0,1] op_sel_hi:[1,0,0]
	v_mov_b32_e32 v139, v133
	v_pk_mul_f32 v[132:133], v[134:135], v[124:125] op_sel:[0,1]
	s_delay_alu instid0(VALU_DEP_2) | instskip(NEXT) | instid1(VALU_DEP_2)
	v_pk_add_f32 v[8:9], v[8:9], v[138:139] neg_lo:[0,1] neg_hi:[0,1]
	v_pk_fma_f32 v[136:137], v[134:135], v[122:123], v[132:133] op_sel:[0,0,1] op_sel_hi:[1,1,0] neg_lo:[0,0,1] neg_hi:[0,0,1]
	v_pk_fma_f32 v[132:133], v[134:135], v[122:123], v[132:133] op_sel:[0,0,1] op_sel_hi:[1,0,0]
	s_delay_alu instid0(VALU_DEP_1) | instskip(SKIP_4) | instid1(VALU_DEP_1)
	v_mov_b32_e32 v137, v133
	ds_load_2addr_b64 v[132:135], v126 offset0:53 offset1:54
	v_pk_add_f32 v[60:61], v[60:61], v[136:137] neg_lo:[0,1] neg_hi:[0,1]
	s_wait_dscnt 0x0
	v_pk_mul_f32 v[136:137], v[132:133], v[124:125] op_sel:[0,1]
	v_pk_fma_f32 v[138:139], v[132:133], v[122:123], v[136:137] op_sel:[0,0,1] op_sel_hi:[1,1,0] neg_lo:[0,0,1] neg_hi:[0,0,1]
	v_pk_fma_f32 v[132:133], v[132:133], v[122:123], v[136:137] op_sel:[0,0,1] op_sel_hi:[1,0,0]
	v_dual_mul_f32 v136, v135, v125 :: v_dual_mov_b32 v132, v135
	s_delay_alu instid0(VALU_DEP_2) | instskip(NEXT) | instid1(VALU_DEP_2)
	v_dual_mov_b32 v139, v133 :: v_dual_mov_b32 v133, v134
	v_pk_fma_f32 v[136:137], v[134:135], v[102:103], v[136:137] op_sel_hi:[1,1,0] neg_lo:[0,0,1] neg_hi:[0,0,1]
	v_mul_f32_e32 v134, v135, v122
	s_delay_alu instid0(VALU_DEP_3) | instskip(NEXT) | instid1(VALU_DEP_2)
	v_pk_add_f32 v[6:7], v[6:7], v[138:139] neg_lo:[0,1] neg_hi:[0,1]
	v_pk_fma_f32 v[132:133], v[132:133], v[102:103], v[134:135] op_sel_hi:[1,1,0]
	s_delay_alu instid0(VALU_DEP_1) | instskip(SKIP_4) | instid1(VALU_DEP_1)
	v_mov_b32_e32 v137, v133
	ds_load_2addr_b64 v[132:135], v126 offset0:55 offset1:56
	v_pk_add_f32 v[42:43], v[42:43], v[136:137] neg_lo:[0,1] neg_hi:[0,1]
	s_wait_dscnt 0x0
	v_pk_mul_f32 v[136:137], v[132:133], v[124:125] op_sel:[0,1]
	v_pk_fma_f32 v[138:139], v[132:133], v[122:123], v[136:137] op_sel:[0,0,1] op_sel_hi:[1,1,0] neg_lo:[0,0,1] neg_hi:[0,0,1]
	v_pk_fma_f32 v[132:133], v[132:133], v[122:123], v[136:137] op_sel:[0,0,1] op_sel_hi:[1,0,0]
	s_delay_alu instid0(VALU_DEP_1) | instskip(SKIP_1) | instid1(VALU_DEP_1)
	v_mov_b32_e32 v139, v133
	v_pk_mul_f32 v[132:133], v[134:135], v[124:125] op_sel:[0,1]
	v_pk_fma_f32 v[136:137], v[134:135], v[122:123], v[132:133] op_sel:[0,0,1] op_sel_hi:[1,1,0] neg_lo:[0,0,1] neg_hi:[0,0,1]
	v_pk_fma_f32 v[132:133], v[134:135], v[122:123], v[132:133] op_sel:[0,0,1] op_sel_hi:[1,0,0]
	s_delay_alu instid0(VALU_DEP_1)
	v_mov_b32_e32 v137, v133
	ds_load_b64 v[132:133], v126 offset:456
	v_pk_add_f32 v[28:29], v[28:29], v[138:139] neg_lo:[0,1] neg_hi:[0,1]
	v_pk_add_f32 v[14:15], v[14:15], v[136:137] neg_lo:[0,1] neg_hi:[0,1]
	s_wait_dscnt 0x0
	v_pk_mul_f32 v[124:125], v[132:133], v[124:125] op_sel:[0,1]
	s_delay_alu instid0(VALU_DEP_1) | instskip(SKIP_1) | instid1(VALU_DEP_1)
	v_pk_fma_f32 v[134:135], v[132:133], v[122:123], v[124:125] op_sel:[0,0,1] op_sel_hi:[1,1,0] neg_lo:[0,0,1] neg_hi:[0,0,1]
	v_pk_fma_f32 v[122:123], v[132:133], v[122:123], v[124:125] op_sel:[0,0,1] op_sel_hi:[1,0,0]
	v_mov_b32_e32 v135, v123
	s_delay_alu instid0(VALU_DEP_1)
	v_pk_add_f32 v[120:121], v[120:121], v[134:135] neg_lo:[0,1] neg_hi:[0,1]
.LBB114_440:
	s_or_b32 exec_lo, exec_lo, s0
	v_lshl_add_u32 v122, v130, 3, v126
	s_barrier_signal -1
	s_barrier_wait -1
	ds_store_b64 v122, v[58:59]
	s_wait_dscnt 0x0
	s_barrier_signal -1
	s_barrier_wait -1
	ds_load_b64 v[124:125], v126 offset:168
	v_mov_b32_e32 v122, 21
	s_cmp_lt_i32 s18, 23
	s_cbranch_scc1 .LBB114_443
; %bb.441:
	v_add3_u32 v123, v127, 0, 0xb0
	v_mov_b32_e32 v122, 21
	s_mov_b32 s0, 22
.LBB114_442:                            ; =>This Inner Loop Header: Depth=1
	ds_load_b64 v[132:133], v123
	s_wait_dscnt 0x1
	v_cmp_gt_f32_e32 vcc_lo, 0, v124
	v_cndmask_b32_e64 v134, v124, -v124, vcc_lo
	v_cmp_gt_f32_e32 vcc_lo, 0, v125
	v_cndmask_b32_e64 v136, v125, -v125, vcc_lo
	s_wait_dscnt 0x0
	v_cmp_gt_f32_e32 vcc_lo, 0, v132
	v_cndmask_b32_e64 v135, v132, -v132, vcc_lo
	v_cmp_gt_f32_e32 vcc_lo, 0, v133
	v_cndmask_b32_e64 v137, v133, -v133, vcc_lo
	s_delay_alu instid0(VALU_DEP_1) | instskip(NEXT) | instid1(VALU_DEP_1)
	v_pk_add_f32 v[134:135], v[134:135], v[136:137]
	v_cmp_lt_f32_e32 vcc_lo, v134, v135
	v_dual_add_nc_u32 v123, 8, v123 :: v_dual_cndmask_b32 v125, v125, v133, vcc_lo
	v_cndmask_b32_e32 v124, v124, v132, vcc_lo
	v_cndmask_b32_e64 v122, v122, s0, vcc_lo
	s_add_co_i32 s0, s0, 1
	s_delay_alu instid0(SALU_CYCLE_1)
	s_cmp_lg_u32 s18, s0
	s_cbranch_scc1 .LBB114_442
.LBB114_443:
	s_wait_dscnt 0x0
	v_cmp_eq_f32_e32 vcc_lo, 0, v124
	v_cmp_eq_f32_e64 s0, 0, v125
	s_and_b32 s0, vcc_lo, s0
	s_delay_alu instid0(SALU_CYCLE_1) | instskip(NEXT) | instid1(SALU_CYCLE_1)
	s_and_saveexec_b32 s1, s0
	s_xor_b32 s0, exec_lo, s1
; %bb.444:
	v_cmp_ne_u32_e32 vcc_lo, 0, v128
	v_cndmask_b32_e32 v128, 22, v128, vcc_lo
; %bb.445:
	s_and_not1_saveexec_b32 s0, s0
	s_cbranch_execz .LBB114_451
; %bb.446:
	v_cmp_ngt_f32_e64 s1, |v124|, |v125|
	s_and_saveexec_b32 s12, s1
	s_delay_alu instid0(SALU_CYCLE_1)
	s_xor_b32 s1, exec_lo, s12
	s_cbranch_execz .LBB114_448
; %bb.447:
	v_div_scale_f32 v123, null, v125, v125, v124
	v_div_scale_f32 v133, vcc_lo, v124, v125, v124
	s_delay_alu instid0(VALU_DEP_2) | instskip(SKIP_1) | instid1(TRANS32_DEP_1)
	v_rcp_f32_e32 v131, v123
	v_nop
	v_fma_f32 v132, -v123, v131, 1.0
	s_delay_alu instid0(VALU_DEP_1) | instskip(NEXT) | instid1(VALU_DEP_1)
	v_fmac_f32_e32 v131, v132, v131
	v_mul_f32_e32 v132, v133, v131
	s_delay_alu instid0(VALU_DEP_1) | instskip(NEXT) | instid1(VALU_DEP_1)
	v_fma_f32 v134, -v123, v132, v133
	v_fmac_f32_e32 v132, v134, v131
	s_delay_alu instid0(VALU_DEP_1) | instskip(NEXT) | instid1(VALU_DEP_1)
	v_fma_f32 v123, -v123, v132, v133
	v_div_fmas_f32 v123, v123, v131, v132
	s_delay_alu instid0(VALU_DEP_1) | instskip(NEXT) | instid1(VALU_DEP_1)
	v_div_fixup_f32 v123, v123, v125, v124
	v_fmac_f32_e32 v125, v124, v123
	s_delay_alu instid0(VALU_DEP_1) | instskip(SKIP_1) | instid1(VALU_DEP_2)
	v_div_scale_f32 v124, null, v125, v125, 1.0
	v_div_scale_f32 v133, vcc_lo, 1.0, v125, 1.0
	v_rcp_f32_e32 v131, v124
	v_nop
	s_delay_alu instid0(TRANS32_DEP_1) | instskip(NEXT) | instid1(VALU_DEP_1)
	v_fma_f32 v132, -v124, v131, 1.0
	v_fmac_f32_e32 v131, v132, v131
	s_delay_alu instid0(VALU_DEP_1) | instskip(NEXT) | instid1(VALU_DEP_1)
	v_mul_f32_e32 v132, v133, v131
	v_fma_f32 v134, -v124, v132, v133
	s_delay_alu instid0(VALU_DEP_1) | instskip(NEXT) | instid1(VALU_DEP_1)
	v_fmac_f32_e32 v132, v134, v131
	v_fma_f32 v124, -v124, v132, v133
	s_delay_alu instid0(VALU_DEP_1) | instskip(NEXT) | instid1(VALU_DEP_1)
	v_div_fmas_f32 v124, v124, v131, v132
	v_div_fixup_f32 v125, v124, v125, 1.0
	s_delay_alu instid0(VALU_DEP_1)
	v_mul_f32_e32 v124, v123, v125
	v_xor_b32_e32 v125, 0x80000000, v125
.LBB114_448:
	s_and_not1_saveexec_b32 s1, s1
	s_cbranch_execz .LBB114_450
; %bb.449:
	s_delay_alu instid0(VALU_DEP_1) | instskip(SKIP_1) | instid1(VALU_DEP_2)
	v_div_scale_f32 v123, null, v124, v124, v125
	v_div_scale_f32 v133, vcc_lo, v125, v124, v125
	v_rcp_f32_e32 v131, v123
	v_nop
	s_delay_alu instid0(TRANS32_DEP_1) | instskip(NEXT) | instid1(VALU_DEP_1)
	v_fma_f32 v132, -v123, v131, 1.0
	v_fmac_f32_e32 v131, v132, v131
	s_delay_alu instid0(VALU_DEP_1) | instskip(NEXT) | instid1(VALU_DEP_1)
	v_mul_f32_e32 v132, v133, v131
	v_fma_f32 v134, -v123, v132, v133
	s_delay_alu instid0(VALU_DEP_1) | instskip(NEXT) | instid1(VALU_DEP_1)
	v_fmac_f32_e32 v132, v134, v131
	v_fma_f32 v123, -v123, v132, v133
	s_delay_alu instid0(VALU_DEP_1) | instskip(NEXT) | instid1(VALU_DEP_1)
	v_div_fmas_f32 v123, v123, v131, v132
	v_div_fixup_f32 v123, v123, v124, v125
	s_delay_alu instid0(VALU_DEP_1) | instskip(NEXT) | instid1(VALU_DEP_1)
	v_fmac_f32_e32 v124, v125, v123
	v_div_scale_f32 v125, null, v124, v124, 1.0
	s_delay_alu instid0(VALU_DEP_1) | instskip(SKIP_1) | instid1(TRANS32_DEP_1)
	v_rcp_f32_e32 v131, v125
	v_nop
	v_fma_f32 v132, -v125, v131, 1.0
	s_delay_alu instid0(VALU_DEP_1) | instskip(SKIP_1) | instid1(VALU_DEP_1)
	v_fmac_f32_e32 v131, v132, v131
	v_div_scale_f32 v132, vcc_lo, 1.0, v124, 1.0
	v_mul_f32_e32 v133, v132, v131
	s_delay_alu instid0(VALU_DEP_1) | instskip(NEXT) | instid1(VALU_DEP_1)
	v_fma_f32 v134, -v125, v133, v132
	v_fmac_f32_e32 v133, v134, v131
	s_delay_alu instid0(VALU_DEP_1) | instskip(NEXT) | instid1(VALU_DEP_1)
	v_fma_f32 v125, -v125, v133, v132
	v_div_fmas_f32 v125, v125, v131, v133
	s_delay_alu instid0(VALU_DEP_1) | instskip(NEXT) | instid1(VALU_DEP_1)
	v_div_fixup_f32 v124, v125, v124, 1.0
	v_mul_f32_e64 v125, v123, -v124
.LBB114_450:
	s_or_b32 exec_lo, exec_lo, s1
.LBB114_451:
	s_delay_alu instid0(SALU_CYCLE_1) | instskip(NEXT) | instid1(SALU_CYCLE_1)
	s_or_b32 exec_lo, exec_lo, s0
	s_mov_b32 s0, exec_lo
	v_cmpx_ne_u32_e64 v130, v122
	s_xor_b32 s0, exec_lo, s0
	s_cbranch_execz .LBB114_457
; %bb.452:
	s_mov_b32 s1, exec_lo
	v_cmpx_eq_u32_e32 21, v130
	s_cbranch_execz .LBB114_456
; %bb.453:
	v_cmp_ne_u32_e32 vcc_lo, 21, v122
	s_xor_b32 s12, s16, -1
	s_delay_alu instid0(SALU_CYCLE_1) | instskip(NEXT) | instid1(SALU_CYCLE_1)
	s_and_b32 s13, s12, vcc_lo
	s_and_saveexec_b32 s12, s13
	s_cbranch_execz .LBB114_455
; %bb.454:
	v_ashrrev_i32_e32 v123, 31, v122
	s_delay_alu instid0(VALU_DEP_1)
	v_lshl_add_u64 v[130:131], v[122:123], 2, v[4:5]
	s_clause 0x1
	global_load_b32 v123, v[130:131], off
	global_load_b32 v129, v[4:5], off offset:84
	s_wait_loadcnt 0x1
	global_store_b32 v[4:5], v123, off offset:84
	s_wait_loadcnt 0x0
	global_store_b32 v[130:131], v129, off
.LBB114_455:
	s_wait_xcnt 0x0
	s_or_b32 exec_lo, exec_lo, s12
	v_dual_mov_b32 v130, v122 :: v_dual_mov_b32 v129, v122
.LBB114_456:
	s_or_b32 exec_lo, exec_lo, s1
.LBB114_457:
	s_and_not1_saveexec_b32 s0, s0
	s_cbranch_execz .LBB114_459
; %bb.458:
	v_dual_mov_b32 v122, v62 :: v_dual_mov_b32 v123, v63
	v_dual_mov_b32 v130, v56 :: v_dual_mov_b32 v131, v57
	ds_store_2addr_b64 v126, v[122:123], v[130:131] offset0:22 offset1:23
	v_dual_mov_b32 v122, v100 :: v_dual_mov_b32 v123, v101
	v_dual_mov_b32 v130, v52 :: v_dual_mov_b32 v131, v53
	ds_store_2addr_b64 v126, v[122:123], v[130:131] offset0:24 offset1:25
	;; [unrolled: 3-line block ×17, first 2 shown]
	v_dual_mov_b32 v122, v14 :: v_dual_mov_b32 v123, v15
	v_mov_b32_e32 v130, 21
	ds_store_2addr_b64 v126, v[122:123], v[120:121] offset0:56 offset1:57
.LBB114_459:
	s_or_b32 exec_lo, exec_lo, s0
	s_delay_alu instid0(SALU_CYCLE_1)
	s_mov_b32 s0, exec_lo
	s_wait_storecnt_dscnt 0x0
	s_barrier_signal -1
	s_barrier_wait -1
	v_cmpx_lt_i32_e32 21, v130
	s_cbranch_execz .LBB114_461
; %bb.460:
	v_pk_mul_f32 v[132:133], v[124:125], v[58:59] op_sel:[1,1] op_sel_hi:[0,1]
	s_delay_alu instid0(VALU_DEP_1)
	v_pk_fma_f32 v[122:123], v[124:125], v[58:59], v[132:133] op_sel_hi:[1,0,1] neg_lo:[0,0,1] neg_hi:[0,0,1]
	v_pk_fma_f32 v[124:125], v[124:125], v[58:59], v[132:133] op_sel_hi:[1,0,1]
	ds_load_2addr_b64 v[132:135], v126 offset0:22 offset1:23
	v_dual_mov_b32 v58, v122 :: v_dual_mov_b32 v59, v125
	s_wait_dscnt 0x0
	v_pk_mul_f32 v[136:137], v[132:133], v[124:125] op_sel:[0,1]
	s_delay_alu instid0(VALU_DEP_1) | instskip(SKIP_1) | instid1(VALU_DEP_1)
	v_pk_fma_f32 v[138:139], v[132:133], v[122:123], v[136:137] op_sel:[0,0,1] op_sel_hi:[1,1,0] neg_lo:[0,0,1] neg_hi:[0,0,1]
	v_pk_fma_f32 v[132:133], v[132:133], v[122:123], v[136:137] op_sel:[0,0,1] op_sel_hi:[1,0,0]
	v_mov_b32_e32 v139, v133
	v_pk_mul_f32 v[132:133], v[134:135], v[124:125] op_sel:[0,1]
	s_delay_alu instid0(VALU_DEP_1) | instskip(SKIP_1) | instid1(VALU_DEP_1)
	v_pk_fma_f32 v[136:137], v[134:135], v[122:123], v[132:133] op_sel:[0,0,1] op_sel_hi:[1,1,0] neg_lo:[0,0,1] neg_hi:[0,0,1]
	v_pk_fma_f32 v[132:133], v[134:135], v[122:123], v[132:133] op_sel:[0,0,1] op_sel_hi:[1,0,0]
	v_mov_b32_e32 v137, v133
	ds_load_2addr_b64 v[132:135], v126 offset0:24 offset1:25
	v_pk_add_f32 v[62:63], v[62:63], v[138:139] neg_lo:[0,1] neg_hi:[0,1]
	v_pk_add_f32 v[56:57], v[56:57], v[136:137] neg_lo:[0,1] neg_hi:[0,1]
	s_wait_dscnt 0x0
	v_pk_mul_f32 v[136:137], v[132:133], v[124:125] op_sel:[0,1]
	s_delay_alu instid0(VALU_DEP_1) | instskip(SKIP_2) | instid1(VALU_DEP_2)
	v_pk_fma_f32 v[138:139], v[132:133], v[122:123], v[136:137] op_sel:[0,0,1] op_sel_hi:[1,1,0] neg_lo:[0,0,1] neg_hi:[0,0,1]
	v_pk_fma_f32 v[132:133], v[132:133], v[122:123], v[136:137] op_sel:[0,0,1] op_sel_hi:[1,0,0]
	v_dual_mul_f32 v136, v135, v125 :: v_dual_mov_b32 v132, v135
	v_dual_mov_b32 v139, v133 :: v_dual_mov_b32 v133, v134
	s_delay_alu instid0(VALU_DEP_2) | instskip(SKIP_1) | instid1(VALU_DEP_3)
	v_pk_fma_f32 v[136:137], v[134:135], v[58:59], v[136:137] op_sel_hi:[1,1,0] neg_lo:[0,0,1] neg_hi:[0,0,1]
	v_mul_f32_e32 v134, v135, v122
	v_pk_add_f32 v[100:101], v[100:101], v[138:139] neg_lo:[0,1] neg_hi:[0,1]
	s_delay_alu instid0(VALU_DEP_2) | instskip(NEXT) | instid1(VALU_DEP_1)
	v_pk_fma_f32 v[132:133], v[132:133], v[58:59], v[134:135] op_sel_hi:[1,1,0]
	v_mov_b32_e32 v137, v133
	ds_load_2addr_b64 v[132:135], v126 offset0:26 offset1:27
	v_pk_add_f32 v[52:53], v[52:53], v[136:137] neg_lo:[0,1] neg_hi:[0,1]
	s_wait_dscnt 0x0
	v_pk_mul_f32 v[136:137], v[132:133], v[124:125] op_sel:[0,1]
	s_delay_alu instid0(VALU_DEP_1) | instskip(SKIP_1) | instid1(VALU_DEP_1)
	v_pk_fma_f32 v[138:139], v[132:133], v[122:123], v[136:137] op_sel:[0,0,1] op_sel_hi:[1,1,0] neg_lo:[0,0,1] neg_hi:[0,0,1]
	v_pk_fma_f32 v[132:133], v[132:133], v[122:123], v[136:137] op_sel:[0,0,1] op_sel_hi:[1,0,0]
	v_mov_b32_e32 v139, v133
	v_pk_mul_f32 v[132:133], v[134:135], v[124:125] op_sel:[0,1]
	s_delay_alu instid0(VALU_DEP_1) | instskip(SKIP_1) | instid1(VALU_DEP_1)
	v_pk_fma_f32 v[136:137], v[134:135], v[122:123], v[132:133] op_sel:[0,0,1] op_sel_hi:[1,1,0] neg_lo:[0,0,1] neg_hi:[0,0,1]
	v_pk_fma_f32 v[132:133], v[134:135], v[122:123], v[132:133] op_sel:[0,0,1] op_sel_hi:[1,0,0]
	v_mov_b32_e32 v137, v133
	ds_load_2addr_b64 v[132:135], v126 offset0:28 offset1:29
	v_pk_add_f32 v[54:55], v[54:55], v[138:139] neg_lo:[0,1] neg_hi:[0,1]
	v_pk_add_f32 v[50:51], v[50:51], v[136:137] neg_lo:[0,1] neg_hi:[0,1]
	s_wait_dscnt 0x0
	v_pk_mul_f32 v[136:137], v[132:133], v[124:125] op_sel:[0,1]
	s_delay_alu instid0(VALU_DEP_1) | instskip(SKIP_1) | instid1(VALU_DEP_1)
	v_pk_fma_f32 v[138:139], v[132:133], v[122:123], v[136:137] op_sel:[0,0,1] op_sel_hi:[1,1,0] neg_lo:[0,0,1] neg_hi:[0,0,1]
	v_pk_fma_f32 v[132:133], v[132:133], v[122:123], v[136:137] op_sel:[0,0,1] op_sel_hi:[1,0,0]
	v_mov_b32_e32 v139, v133
	v_pk_mul_f32 v[132:133], v[134:135], v[124:125] op_sel:[0,1]
	s_delay_alu instid0(VALU_DEP_1) | instskip(SKIP_1) | instid1(VALU_DEP_1)
	v_pk_fma_f32 v[136:137], v[134:135], v[122:123], v[132:133] op_sel:[0,0,1] op_sel_hi:[1,1,0] neg_lo:[0,0,1] neg_hi:[0,0,1]
	v_pk_fma_f32 v[132:133], v[134:135], v[122:123], v[132:133] op_sel:[0,0,1] op_sel_hi:[1,0,0]
	v_mov_b32_e32 v137, v133
	ds_load_2addr_b64 v[132:135], v126 offset0:30 offset1:31
	v_pk_add_f32 v[96:97], v[96:97], v[138:139] neg_lo:[0,1] neg_hi:[0,1]
	v_pk_add_f32 v[46:47], v[46:47], v[136:137] neg_lo:[0,1] neg_hi:[0,1]
	s_wait_dscnt 0x0
	v_dual_mul_f32 v136, v133, v125 :: v_dual_mul_f32 v138, v133, v122
	s_delay_alu instid0(VALU_DEP_1) | instskip(NEXT) | instid1(VALU_DEP_2)
	v_pk_fma_f32 v[136:137], v[132:133], v[58:59], v[136:137] op_sel_hi:[1,1,0] neg_lo:[0,0,1] neg_hi:[0,0,1]
	v_pk_fma_f32 v[132:133], v[132:133], v[58:59], v[138:139] op_sel:[1,0,0] op_sel_hi:[0,1,0]
	s_delay_alu instid0(VALU_DEP_1) | instskip(SKIP_1) | instid1(VALU_DEP_2)
	v_mov_b32_e32 v137, v133
	v_pk_mul_f32 v[132:133], v[134:135], v[124:125] op_sel:[0,1]
	v_pk_add_f32 v[48:49], v[48:49], v[136:137] neg_lo:[0,1] neg_hi:[0,1]
	s_delay_alu instid0(VALU_DEP_2) | instskip(SKIP_1) | instid1(VALU_DEP_1)
	v_pk_fma_f32 v[136:137], v[134:135], v[122:123], v[132:133] op_sel:[0,0,1] op_sel_hi:[1,1,0] neg_lo:[0,0,1] neg_hi:[0,0,1]
	v_pk_fma_f32 v[132:133], v[134:135], v[122:123], v[132:133] op_sel:[0,0,1] op_sel_hi:[1,0,0]
	v_mov_b32_e32 v137, v133
	ds_load_2addr_b64 v[132:135], v126 offset0:32 offset1:33
	v_pk_add_f32 v[44:45], v[44:45], v[136:137] neg_lo:[0,1] neg_hi:[0,1]
	s_wait_dscnt 0x0
	v_pk_mul_f32 v[136:137], v[132:133], v[124:125] op_sel:[0,1]
	s_delay_alu instid0(VALU_DEP_1) | instskip(SKIP_1) | instid1(VALU_DEP_1)
	v_pk_fma_f32 v[138:139], v[132:133], v[122:123], v[136:137] op_sel:[0,0,1] op_sel_hi:[1,1,0] neg_lo:[0,0,1] neg_hi:[0,0,1]
	v_pk_fma_f32 v[132:133], v[132:133], v[122:123], v[136:137] op_sel:[0,0,1] op_sel_hi:[1,0,0]
	v_mov_b32_e32 v139, v133
	v_pk_mul_f32 v[132:133], v[134:135], v[124:125] op_sel:[0,1]
	s_delay_alu instid0(VALU_DEP_2) | instskip(NEXT) | instid1(VALU_DEP_2)
	v_pk_add_f32 v[94:95], v[94:95], v[138:139] neg_lo:[0,1] neg_hi:[0,1]
	v_pk_fma_f32 v[136:137], v[134:135], v[122:123], v[132:133] op_sel:[0,0,1] op_sel_hi:[1,1,0] neg_lo:[0,0,1] neg_hi:[0,0,1]
	v_pk_fma_f32 v[132:133], v[134:135], v[122:123], v[132:133] op_sel:[0,0,1] op_sel_hi:[1,0,0]
	s_delay_alu instid0(VALU_DEP_1) | instskip(SKIP_4) | instid1(VALU_DEP_1)
	v_mov_b32_e32 v137, v133
	ds_load_2addr_b64 v[132:135], v126 offset0:34 offset1:35
	v_pk_add_f32 v[38:39], v[38:39], v[136:137] neg_lo:[0,1] neg_hi:[0,1]
	s_wait_dscnt 0x0
	v_pk_mul_f32 v[136:137], v[132:133], v[124:125] op_sel:[0,1]
	v_pk_fma_f32 v[138:139], v[132:133], v[122:123], v[136:137] op_sel:[0,0,1] op_sel_hi:[1,1,0] neg_lo:[0,0,1] neg_hi:[0,0,1]
	v_pk_fma_f32 v[132:133], v[132:133], v[122:123], v[136:137] op_sel:[0,0,1] op_sel_hi:[1,0,0]
	v_dual_mul_f32 v136, v135, v125 :: v_dual_mov_b32 v132, v135
	s_delay_alu instid0(VALU_DEP_2) | instskip(NEXT) | instid1(VALU_DEP_2)
	v_dual_mov_b32 v139, v133 :: v_dual_mov_b32 v133, v134
	v_pk_fma_f32 v[136:137], v[134:135], v[58:59], v[136:137] op_sel_hi:[1,1,0] neg_lo:[0,0,1] neg_hi:[0,0,1]
	v_mul_f32_e32 v134, v135, v122
	s_delay_alu instid0(VALU_DEP_3) | instskip(NEXT) | instid1(VALU_DEP_2)
	v_pk_add_f32 v[40:41], v[40:41], v[138:139] neg_lo:[0,1] neg_hi:[0,1]
	v_pk_fma_f32 v[132:133], v[132:133], v[58:59], v[134:135] op_sel_hi:[1,1,0]
	s_delay_alu instid0(VALU_DEP_1) | instskip(SKIP_4) | instid1(VALU_DEP_1)
	v_mov_b32_e32 v137, v133
	ds_load_2addr_b64 v[132:135], v126 offset0:36 offset1:37
	v_pk_add_f32 v[36:37], v[36:37], v[136:137] neg_lo:[0,1] neg_hi:[0,1]
	s_wait_dscnt 0x0
	v_pk_mul_f32 v[136:137], v[132:133], v[124:125] op_sel:[0,1]
	v_pk_fma_f32 v[138:139], v[132:133], v[122:123], v[136:137] op_sel:[0,0,1] op_sel_hi:[1,1,0] neg_lo:[0,0,1] neg_hi:[0,0,1]
	v_pk_fma_f32 v[132:133], v[132:133], v[122:123], v[136:137] op_sel:[0,0,1] op_sel_hi:[1,0,0]
	s_delay_alu instid0(VALU_DEP_1) | instskip(SKIP_1) | instid1(VALU_DEP_1)
	v_mov_b32_e32 v139, v133
	v_pk_mul_f32 v[132:133], v[134:135], v[124:125] op_sel:[0,1]
	v_pk_fma_f32 v[136:137], v[134:135], v[122:123], v[132:133] op_sel:[0,0,1] op_sel_hi:[1,1,0] neg_lo:[0,0,1] neg_hi:[0,0,1]
	v_pk_fma_f32 v[132:133], v[134:135], v[122:123], v[132:133] op_sel:[0,0,1] op_sel_hi:[1,0,0]
	s_delay_alu instid0(VALU_DEP_1)
	v_mov_b32_e32 v137, v133
	ds_load_2addr_b64 v[132:135], v126 offset0:38 offset1:39
	v_pk_add_f32 v[92:93], v[92:93], v[138:139] neg_lo:[0,1] neg_hi:[0,1]
	v_pk_add_f32 v[32:33], v[32:33], v[136:137] neg_lo:[0,1] neg_hi:[0,1]
	s_wait_dscnt 0x0
	v_pk_mul_f32 v[136:137], v[132:133], v[124:125] op_sel:[0,1]
	s_delay_alu instid0(VALU_DEP_1) | instskip(SKIP_1) | instid1(VALU_DEP_1)
	v_pk_fma_f32 v[138:139], v[132:133], v[122:123], v[136:137] op_sel:[0,0,1] op_sel_hi:[1,1,0] neg_lo:[0,0,1] neg_hi:[0,0,1]
	v_pk_fma_f32 v[132:133], v[132:133], v[122:123], v[136:137] op_sel:[0,0,1] op_sel_hi:[1,0,0]
	v_mov_b32_e32 v139, v133
	v_pk_mul_f32 v[132:133], v[134:135], v[124:125] op_sel:[0,1]
	s_delay_alu instid0(VALU_DEP_1) | instskip(SKIP_1) | instid1(VALU_DEP_1)
	v_pk_fma_f32 v[136:137], v[134:135], v[122:123], v[132:133] op_sel:[0,0,1] op_sel_hi:[1,1,0] neg_lo:[0,0,1] neg_hi:[0,0,1]
	v_pk_fma_f32 v[132:133], v[134:135], v[122:123], v[132:133] op_sel:[0,0,1] op_sel_hi:[1,0,0]
	v_mov_b32_e32 v137, v133
	ds_load_2addr_b64 v[132:135], v126 offset0:40 offset1:41
	v_pk_add_f32 v[34:35], v[34:35], v[138:139] neg_lo:[0,1] neg_hi:[0,1]
	v_pk_add_f32 v[30:31], v[30:31], v[136:137] neg_lo:[0,1] neg_hi:[0,1]
	s_wait_dscnt 0x0
	v_dual_mul_f32 v136, v133, v125 :: v_dual_mul_f32 v138, v133, v122
	s_delay_alu instid0(VALU_DEP_1) | instskip(NEXT) | instid1(VALU_DEP_2)
	v_pk_fma_f32 v[136:137], v[132:133], v[58:59], v[136:137] op_sel_hi:[1,1,0] neg_lo:[0,0,1] neg_hi:[0,0,1]
	v_pk_fma_f32 v[132:133], v[132:133], v[58:59], v[138:139] op_sel:[1,0,0] op_sel_hi:[0,1,0]
	s_delay_alu instid0(VALU_DEP_1) | instskip(SKIP_1) | instid1(VALU_DEP_2)
	v_mov_b32_e32 v137, v133
	v_pk_mul_f32 v[132:133], v[134:135], v[124:125] op_sel:[0,1]
	v_pk_add_f32 v[90:91], v[90:91], v[136:137] neg_lo:[0,1] neg_hi:[0,1]
	s_delay_alu instid0(VALU_DEP_2) | instskip(SKIP_1) | instid1(VALU_DEP_1)
	v_pk_fma_f32 v[136:137], v[134:135], v[122:123], v[132:133] op_sel:[0,0,1] op_sel_hi:[1,1,0] neg_lo:[0,0,1] neg_hi:[0,0,1]
	v_pk_fma_f32 v[132:133], v[134:135], v[122:123], v[132:133] op_sel:[0,0,1] op_sel_hi:[1,0,0]
	v_mov_b32_e32 v137, v133
	ds_load_2addr_b64 v[132:135], v126 offset0:42 offset1:43
	v_pk_add_f32 v[24:25], v[24:25], v[136:137] neg_lo:[0,1] neg_hi:[0,1]
	s_wait_dscnt 0x0
	v_pk_mul_f32 v[136:137], v[132:133], v[124:125] op_sel:[0,1]
	s_delay_alu instid0(VALU_DEP_1) | instskip(SKIP_1) | instid1(VALU_DEP_1)
	v_pk_fma_f32 v[138:139], v[132:133], v[122:123], v[136:137] op_sel:[0,0,1] op_sel_hi:[1,1,0] neg_lo:[0,0,1] neg_hi:[0,0,1]
	v_pk_fma_f32 v[132:133], v[132:133], v[122:123], v[136:137] op_sel:[0,0,1] op_sel_hi:[1,0,0]
	v_mov_b32_e32 v139, v133
	v_pk_mul_f32 v[132:133], v[134:135], v[124:125] op_sel:[0,1]
	s_delay_alu instid0(VALU_DEP_2) | instskip(NEXT) | instid1(VALU_DEP_2)
	v_pk_add_f32 v[26:27], v[26:27], v[138:139] neg_lo:[0,1] neg_hi:[0,1]
	v_pk_fma_f32 v[136:137], v[134:135], v[122:123], v[132:133] op_sel:[0,0,1] op_sel_hi:[1,1,0] neg_lo:[0,0,1] neg_hi:[0,0,1]
	v_pk_fma_f32 v[132:133], v[134:135], v[122:123], v[132:133] op_sel:[0,0,1] op_sel_hi:[1,0,0]
	s_delay_alu instid0(VALU_DEP_1) | instskip(SKIP_4) | instid1(VALU_DEP_1)
	v_mov_b32_e32 v137, v133
	ds_load_2addr_b64 v[132:135], v126 offset0:44 offset1:45
	v_pk_add_f32 v[22:23], v[22:23], v[136:137] neg_lo:[0,1] neg_hi:[0,1]
	s_wait_dscnt 0x0
	v_pk_mul_f32 v[136:137], v[132:133], v[124:125] op_sel:[0,1]
	v_pk_fma_f32 v[138:139], v[132:133], v[122:123], v[136:137] op_sel:[0,0,1] op_sel_hi:[1,1,0] neg_lo:[0,0,1] neg_hi:[0,0,1]
	v_pk_fma_f32 v[132:133], v[132:133], v[122:123], v[136:137] op_sel:[0,0,1] op_sel_hi:[1,0,0]
	v_dual_mul_f32 v136, v135, v125 :: v_dual_mov_b32 v132, v135
	s_delay_alu instid0(VALU_DEP_2) | instskip(NEXT) | instid1(VALU_DEP_2)
	v_dual_mov_b32 v139, v133 :: v_dual_mov_b32 v133, v134
	v_pk_fma_f32 v[136:137], v[134:135], v[58:59], v[136:137] op_sel_hi:[1,1,0] neg_lo:[0,0,1] neg_hi:[0,0,1]
	v_mul_f32_e32 v134, v135, v122
	s_delay_alu instid0(VALU_DEP_3) | instskip(NEXT) | instid1(VALU_DEP_2)
	v_pk_add_f32 v[88:89], v[88:89], v[138:139] neg_lo:[0,1] neg_hi:[0,1]
	v_pk_fma_f32 v[132:133], v[132:133], v[58:59], v[134:135] op_sel_hi:[1,1,0]
	s_delay_alu instid0(VALU_DEP_1) | instskip(SKIP_4) | instid1(VALU_DEP_1)
	v_mov_b32_e32 v137, v133
	ds_load_2addr_b64 v[132:135], v126 offset0:46 offset1:47
	v_pk_add_f32 v[18:19], v[18:19], v[136:137] neg_lo:[0,1] neg_hi:[0,1]
	s_wait_dscnt 0x0
	v_pk_mul_f32 v[136:137], v[132:133], v[124:125] op_sel:[0,1]
	v_pk_fma_f32 v[138:139], v[132:133], v[122:123], v[136:137] op_sel:[0,0,1] op_sel_hi:[1,1,0] neg_lo:[0,0,1] neg_hi:[0,0,1]
	v_pk_fma_f32 v[132:133], v[132:133], v[122:123], v[136:137] op_sel:[0,0,1] op_sel_hi:[1,0,0]
	s_delay_alu instid0(VALU_DEP_1) | instskip(SKIP_1) | instid1(VALU_DEP_1)
	v_mov_b32_e32 v139, v133
	v_pk_mul_f32 v[132:133], v[134:135], v[124:125] op_sel:[0,1]
	v_pk_fma_f32 v[136:137], v[134:135], v[122:123], v[132:133] op_sel:[0,0,1] op_sel_hi:[1,1,0] neg_lo:[0,0,1] neg_hi:[0,0,1]
	v_pk_fma_f32 v[132:133], v[134:135], v[122:123], v[132:133] op_sel:[0,0,1] op_sel_hi:[1,0,0]
	s_delay_alu instid0(VALU_DEP_1)
	v_mov_b32_e32 v137, v133
	ds_load_2addr_b64 v[132:135], v126 offset0:48 offset1:49
	v_pk_add_f32 v[20:21], v[20:21], v[138:139] neg_lo:[0,1] neg_hi:[0,1]
	v_pk_add_f32 v[16:17], v[16:17], v[136:137] neg_lo:[0,1] neg_hi:[0,1]
	s_wait_dscnt 0x0
	v_pk_mul_f32 v[136:137], v[132:133], v[124:125] op_sel:[0,1]
	s_delay_alu instid0(VALU_DEP_1) | instskip(SKIP_1) | instid1(VALU_DEP_1)
	v_pk_fma_f32 v[138:139], v[132:133], v[122:123], v[136:137] op_sel:[0,0,1] op_sel_hi:[1,1,0] neg_lo:[0,0,1] neg_hi:[0,0,1]
	v_pk_fma_f32 v[132:133], v[132:133], v[122:123], v[136:137] op_sel:[0,0,1] op_sel_hi:[1,0,0]
	v_mov_b32_e32 v139, v133
	v_pk_mul_f32 v[132:133], v[134:135], v[124:125] op_sel:[0,1]
	s_delay_alu instid0(VALU_DEP_1) | instskip(SKIP_1) | instid1(VALU_DEP_1)
	v_pk_fma_f32 v[136:137], v[134:135], v[122:123], v[132:133] op_sel:[0,0,1] op_sel_hi:[1,1,0] neg_lo:[0,0,1] neg_hi:[0,0,1]
	v_pk_fma_f32 v[132:133], v[134:135], v[122:123], v[132:133] op_sel:[0,0,1] op_sel_hi:[1,0,0]
	v_mov_b32_e32 v137, v133
	ds_load_2addr_b64 v[132:135], v126 offset0:50 offset1:51
	v_pk_add_f32 v[84:85], v[84:85], v[138:139] neg_lo:[0,1] neg_hi:[0,1]
	v_pk_add_f32 v[10:11], v[10:11], v[136:137] neg_lo:[0,1] neg_hi:[0,1]
	s_wait_dscnt 0x0
	v_dual_mul_f32 v136, v133, v125 :: v_dual_mul_f32 v138, v133, v122
	s_delay_alu instid0(VALU_DEP_1) | instskip(NEXT) | instid1(VALU_DEP_2)
	v_pk_fma_f32 v[136:137], v[132:133], v[58:59], v[136:137] op_sel_hi:[1,1,0] neg_lo:[0,0,1] neg_hi:[0,0,1]
	v_pk_fma_f32 v[132:133], v[132:133], v[58:59], v[138:139] op_sel:[1,0,0] op_sel_hi:[0,1,0]
	s_delay_alu instid0(VALU_DEP_1) | instskip(SKIP_1) | instid1(VALU_DEP_2)
	v_mov_b32_e32 v137, v133
	v_pk_mul_f32 v[132:133], v[134:135], v[124:125] op_sel:[0,1]
	v_pk_add_f32 v[12:13], v[12:13], v[136:137] neg_lo:[0,1] neg_hi:[0,1]
	s_delay_alu instid0(VALU_DEP_2) | instskip(SKIP_1) | instid1(VALU_DEP_1)
	v_pk_fma_f32 v[136:137], v[134:135], v[122:123], v[132:133] op_sel:[0,0,1] op_sel_hi:[1,1,0] neg_lo:[0,0,1] neg_hi:[0,0,1]
	v_pk_fma_f32 v[132:133], v[134:135], v[122:123], v[132:133] op_sel:[0,0,1] op_sel_hi:[1,0,0]
	v_mov_b32_e32 v137, v133
	ds_load_2addr_b64 v[132:135], v126 offset0:52 offset1:53
	v_pk_add_f32 v[8:9], v[8:9], v[136:137] neg_lo:[0,1] neg_hi:[0,1]
	s_wait_dscnt 0x0
	v_pk_mul_f32 v[136:137], v[132:133], v[124:125] op_sel:[0,1]
	s_delay_alu instid0(VALU_DEP_1) | instskip(SKIP_1) | instid1(VALU_DEP_1)
	v_pk_fma_f32 v[138:139], v[132:133], v[122:123], v[136:137] op_sel:[0,0,1] op_sel_hi:[1,1,0] neg_lo:[0,0,1] neg_hi:[0,0,1]
	v_pk_fma_f32 v[132:133], v[132:133], v[122:123], v[136:137] op_sel:[0,0,1] op_sel_hi:[1,0,0]
	v_mov_b32_e32 v139, v133
	v_pk_mul_f32 v[132:133], v[134:135], v[124:125] op_sel:[0,1]
	s_delay_alu instid0(VALU_DEP_2) | instskip(NEXT) | instid1(VALU_DEP_2)
	v_pk_add_f32 v[60:61], v[60:61], v[138:139] neg_lo:[0,1] neg_hi:[0,1]
	v_pk_fma_f32 v[136:137], v[134:135], v[122:123], v[132:133] op_sel:[0,0,1] op_sel_hi:[1,1,0] neg_lo:[0,0,1] neg_hi:[0,0,1]
	v_pk_fma_f32 v[132:133], v[134:135], v[122:123], v[132:133] op_sel:[0,0,1] op_sel_hi:[1,0,0]
	s_delay_alu instid0(VALU_DEP_1) | instskip(SKIP_4) | instid1(VALU_DEP_1)
	v_mov_b32_e32 v137, v133
	ds_load_2addr_b64 v[132:135], v126 offset0:54 offset1:55
	v_pk_add_f32 v[6:7], v[6:7], v[136:137] neg_lo:[0,1] neg_hi:[0,1]
	s_wait_dscnt 0x0
	v_pk_mul_f32 v[136:137], v[132:133], v[124:125] op_sel:[0,1]
	v_pk_fma_f32 v[138:139], v[132:133], v[122:123], v[136:137] op_sel:[0,0,1] op_sel_hi:[1,1,0] neg_lo:[0,0,1] neg_hi:[0,0,1]
	v_pk_fma_f32 v[132:133], v[132:133], v[122:123], v[136:137] op_sel:[0,0,1] op_sel_hi:[1,0,0]
	v_dual_mul_f32 v136, v135, v125 :: v_dual_mov_b32 v132, v135
	s_delay_alu instid0(VALU_DEP_2) | instskip(NEXT) | instid1(VALU_DEP_2)
	v_dual_mov_b32 v139, v133 :: v_dual_mov_b32 v133, v134
	v_pk_fma_f32 v[136:137], v[134:135], v[58:59], v[136:137] op_sel_hi:[1,1,0] neg_lo:[0,0,1] neg_hi:[0,0,1]
	v_mul_f32_e32 v134, v135, v122
	s_delay_alu instid0(VALU_DEP_3) | instskip(NEXT) | instid1(VALU_DEP_2)
	v_pk_add_f32 v[42:43], v[42:43], v[138:139] neg_lo:[0,1] neg_hi:[0,1]
	v_pk_fma_f32 v[132:133], v[132:133], v[58:59], v[134:135] op_sel_hi:[1,1,0]
	s_delay_alu instid0(VALU_DEP_1)
	v_mov_b32_e32 v137, v133
	ds_load_2addr_b64 v[132:135], v126 offset0:56 offset1:57
	v_pk_add_f32 v[28:29], v[28:29], v[136:137] neg_lo:[0,1] neg_hi:[0,1]
	s_wait_dscnt 0x0
	v_pk_mul_f32 v[136:137], v[132:133], v[124:125] op_sel:[0,1]
	v_mul_f32_e32 v124, v135, v125
	s_delay_alu instid0(VALU_DEP_2) | instskip(SKIP_2) | instid1(VALU_DEP_4)
	v_pk_fma_f32 v[138:139], v[132:133], v[122:123], v[136:137] op_sel:[0,0,1] op_sel_hi:[1,1,0] neg_lo:[0,0,1] neg_hi:[0,0,1]
	v_pk_fma_f32 v[132:133], v[132:133], v[122:123], v[136:137] op_sel:[0,0,1] op_sel_hi:[1,0,0]
	v_dual_mov_b32 v132, v135 :: v_dual_mul_f32 v122, v135, v122
	v_pk_fma_f32 v[124:125], v[134:135], v[58:59], v[124:125] op_sel_hi:[1,1,0] neg_lo:[0,0,1] neg_hi:[0,0,1]
	s_delay_alu instid0(VALU_DEP_3) | instskip(NEXT) | instid1(VALU_DEP_1)
	v_dual_mov_b32 v139, v133 :: v_dual_mov_b32 v133, v134
	v_pk_add_f32 v[14:15], v[14:15], v[138:139] neg_lo:[0,1] neg_hi:[0,1]
	s_delay_alu instid0(VALU_DEP_2) | instskip(NEXT) | instid1(VALU_DEP_1)
	v_pk_fma_f32 v[122:123], v[132:133], v[58:59], v[122:123] op_sel_hi:[1,1,0]
	v_mov_b32_e32 v125, v123
	s_delay_alu instid0(VALU_DEP_1)
	v_pk_add_f32 v[120:121], v[120:121], v[124:125] neg_lo:[0,1] neg_hi:[0,1]
.LBB114_461:
	s_or_b32 exec_lo, exec_lo, s0
	v_lshl_add_u32 v122, v130, 3, v126
	s_barrier_signal -1
	s_barrier_wait -1
	ds_store_b64 v122, v[62:63]
	s_wait_dscnt 0x0
	s_barrier_signal -1
	s_barrier_wait -1
	ds_load_b64 v[124:125], v126 offset:176
	v_mov_b32_e32 v122, 22
	s_cmp_lt_i32 s18, 24
	s_cbranch_scc1 .LBB114_464
; %bb.462:
	v_add3_u32 v123, v127, 0, 0xb8
	v_mov_b32_e32 v122, 22
	s_mov_b32 s0, 23
.LBB114_463:                            ; =>This Inner Loop Header: Depth=1
	ds_load_b64 v[132:133], v123
	s_wait_dscnt 0x1
	v_cmp_gt_f32_e32 vcc_lo, 0, v124
	v_cndmask_b32_e64 v134, v124, -v124, vcc_lo
	v_cmp_gt_f32_e32 vcc_lo, 0, v125
	v_cndmask_b32_e64 v136, v125, -v125, vcc_lo
	s_wait_dscnt 0x0
	v_cmp_gt_f32_e32 vcc_lo, 0, v132
	v_cndmask_b32_e64 v135, v132, -v132, vcc_lo
	v_cmp_gt_f32_e32 vcc_lo, 0, v133
	v_cndmask_b32_e64 v137, v133, -v133, vcc_lo
	s_delay_alu instid0(VALU_DEP_1) | instskip(NEXT) | instid1(VALU_DEP_1)
	v_pk_add_f32 v[134:135], v[134:135], v[136:137]
	v_cmp_lt_f32_e32 vcc_lo, v134, v135
	v_dual_add_nc_u32 v123, 8, v123 :: v_dual_cndmask_b32 v125, v125, v133, vcc_lo
	v_cndmask_b32_e32 v124, v124, v132, vcc_lo
	v_cndmask_b32_e64 v122, v122, s0, vcc_lo
	s_add_co_i32 s0, s0, 1
	s_delay_alu instid0(SALU_CYCLE_1)
	s_cmp_lg_u32 s18, s0
	s_cbranch_scc1 .LBB114_463
.LBB114_464:
	s_wait_dscnt 0x0
	v_cmp_eq_f32_e32 vcc_lo, 0, v124
	v_cmp_eq_f32_e64 s0, 0, v125
	s_and_b32 s0, vcc_lo, s0
	s_delay_alu instid0(SALU_CYCLE_1) | instskip(NEXT) | instid1(SALU_CYCLE_1)
	s_and_saveexec_b32 s1, s0
	s_xor_b32 s0, exec_lo, s1
; %bb.465:
	v_cmp_ne_u32_e32 vcc_lo, 0, v128
	v_cndmask_b32_e32 v128, 23, v128, vcc_lo
; %bb.466:
	s_and_not1_saveexec_b32 s0, s0
	s_cbranch_execz .LBB114_472
; %bb.467:
	v_cmp_ngt_f32_e64 s1, |v124|, |v125|
	s_and_saveexec_b32 s12, s1
	s_delay_alu instid0(SALU_CYCLE_1)
	s_xor_b32 s1, exec_lo, s12
	s_cbranch_execz .LBB114_469
; %bb.468:
	v_div_scale_f32 v123, null, v125, v125, v124
	v_div_scale_f32 v133, vcc_lo, v124, v125, v124
	s_delay_alu instid0(VALU_DEP_2) | instskip(SKIP_1) | instid1(TRANS32_DEP_1)
	v_rcp_f32_e32 v131, v123
	v_nop
	v_fma_f32 v132, -v123, v131, 1.0
	s_delay_alu instid0(VALU_DEP_1) | instskip(NEXT) | instid1(VALU_DEP_1)
	v_fmac_f32_e32 v131, v132, v131
	v_mul_f32_e32 v132, v133, v131
	s_delay_alu instid0(VALU_DEP_1) | instskip(NEXT) | instid1(VALU_DEP_1)
	v_fma_f32 v134, -v123, v132, v133
	v_fmac_f32_e32 v132, v134, v131
	s_delay_alu instid0(VALU_DEP_1) | instskip(NEXT) | instid1(VALU_DEP_1)
	v_fma_f32 v123, -v123, v132, v133
	v_div_fmas_f32 v123, v123, v131, v132
	s_delay_alu instid0(VALU_DEP_1) | instskip(NEXT) | instid1(VALU_DEP_1)
	v_div_fixup_f32 v123, v123, v125, v124
	v_fmac_f32_e32 v125, v124, v123
	s_delay_alu instid0(VALU_DEP_1) | instskip(SKIP_1) | instid1(VALU_DEP_2)
	v_div_scale_f32 v124, null, v125, v125, 1.0
	v_div_scale_f32 v133, vcc_lo, 1.0, v125, 1.0
	v_rcp_f32_e32 v131, v124
	v_nop
	s_delay_alu instid0(TRANS32_DEP_1) | instskip(NEXT) | instid1(VALU_DEP_1)
	v_fma_f32 v132, -v124, v131, 1.0
	v_fmac_f32_e32 v131, v132, v131
	s_delay_alu instid0(VALU_DEP_1) | instskip(NEXT) | instid1(VALU_DEP_1)
	v_mul_f32_e32 v132, v133, v131
	v_fma_f32 v134, -v124, v132, v133
	s_delay_alu instid0(VALU_DEP_1) | instskip(NEXT) | instid1(VALU_DEP_1)
	v_fmac_f32_e32 v132, v134, v131
	v_fma_f32 v124, -v124, v132, v133
	s_delay_alu instid0(VALU_DEP_1) | instskip(NEXT) | instid1(VALU_DEP_1)
	v_div_fmas_f32 v124, v124, v131, v132
	v_div_fixup_f32 v125, v124, v125, 1.0
	s_delay_alu instid0(VALU_DEP_1)
	v_mul_f32_e32 v124, v123, v125
	v_xor_b32_e32 v125, 0x80000000, v125
.LBB114_469:
	s_and_not1_saveexec_b32 s1, s1
	s_cbranch_execz .LBB114_471
; %bb.470:
	s_delay_alu instid0(VALU_DEP_1) | instskip(SKIP_1) | instid1(VALU_DEP_2)
	v_div_scale_f32 v123, null, v124, v124, v125
	v_div_scale_f32 v133, vcc_lo, v125, v124, v125
	v_rcp_f32_e32 v131, v123
	v_nop
	s_delay_alu instid0(TRANS32_DEP_1) | instskip(NEXT) | instid1(VALU_DEP_1)
	v_fma_f32 v132, -v123, v131, 1.0
	v_fmac_f32_e32 v131, v132, v131
	s_delay_alu instid0(VALU_DEP_1) | instskip(NEXT) | instid1(VALU_DEP_1)
	v_mul_f32_e32 v132, v133, v131
	v_fma_f32 v134, -v123, v132, v133
	s_delay_alu instid0(VALU_DEP_1) | instskip(NEXT) | instid1(VALU_DEP_1)
	v_fmac_f32_e32 v132, v134, v131
	v_fma_f32 v123, -v123, v132, v133
	s_delay_alu instid0(VALU_DEP_1) | instskip(NEXT) | instid1(VALU_DEP_1)
	v_div_fmas_f32 v123, v123, v131, v132
	v_div_fixup_f32 v123, v123, v124, v125
	s_delay_alu instid0(VALU_DEP_1) | instskip(NEXT) | instid1(VALU_DEP_1)
	v_fmac_f32_e32 v124, v125, v123
	v_div_scale_f32 v125, null, v124, v124, 1.0
	s_delay_alu instid0(VALU_DEP_1) | instskip(SKIP_1) | instid1(TRANS32_DEP_1)
	v_rcp_f32_e32 v131, v125
	v_nop
	v_fma_f32 v132, -v125, v131, 1.0
	s_delay_alu instid0(VALU_DEP_1) | instskip(SKIP_1) | instid1(VALU_DEP_1)
	v_fmac_f32_e32 v131, v132, v131
	v_div_scale_f32 v132, vcc_lo, 1.0, v124, 1.0
	v_mul_f32_e32 v133, v132, v131
	s_delay_alu instid0(VALU_DEP_1) | instskip(NEXT) | instid1(VALU_DEP_1)
	v_fma_f32 v134, -v125, v133, v132
	v_fmac_f32_e32 v133, v134, v131
	s_delay_alu instid0(VALU_DEP_1) | instskip(NEXT) | instid1(VALU_DEP_1)
	v_fma_f32 v125, -v125, v133, v132
	v_div_fmas_f32 v125, v125, v131, v133
	s_delay_alu instid0(VALU_DEP_1) | instskip(NEXT) | instid1(VALU_DEP_1)
	v_div_fixup_f32 v124, v125, v124, 1.0
	v_mul_f32_e64 v125, v123, -v124
.LBB114_471:
	s_or_b32 exec_lo, exec_lo, s1
.LBB114_472:
	s_delay_alu instid0(SALU_CYCLE_1) | instskip(NEXT) | instid1(SALU_CYCLE_1)
	s_or_b32 exec_lo, exec_lo, s0
	s_mov_b32 s0, exec_lo
	v_cmpx_ne_u32_e64 v130, v122
	s_xor_b32 s0, exec_lo, s0
	s_cbranch_execz .LBB114_478
; %bb.473:
	s_mov_b32 s1, exec_lo
	v_cmpx_eq_u32_e32 22, v130
	s_cbranch_execz .LBB114_477
; %bb.474:
	v_cmp_ne_u32_e32 vcc_lo, 22, v122
	s_xor_b32 s12, s16, -1
	s_delay_alu instid0(SALU_CYCLE_1) | instskip(NEXT) | instid1(SALU_CYCLE_1)
	s_and_b32 s13, s12, vcc_lo
	s_and_saveexec_b32 s12, s13
	s_cbranch_execz .LBB114_476
; %bb.475:
	v_ashrrev_i32_e32 v123, 31, v122
	s_delay_alu instid0(VALU_DEP_1)
	v_lshl_add_u64 v[130:131], v[122:123], 2, v[4:5]
	s_clause 0x1
	global_load_b32 v123, v[130:131], off
	global_load_b32 v129, v[4:5], off offset:88
	s_wait_loadcnt 0x1
	global_store_b32 v[4:5], v123, off offset:88
	s_wait_loadcnt 0x0
	global_store_b32 v[130:131], v129, off
.LBB114_476:
	s_wait_xcnt 0x0
	s_or_b32 exec_lo, exec_lo, s12
	v_dual_mov_b32 v130, v122 :: v_dual_mov_b32 v129, v122
.LBB114_477:
	s_or_b32 exec_lo, exec_lo, s1
.LBB114_478:
	s_and_not1_saveexec_b32 s0, s0
	s_cbranch_execz .LBB114_480
; %bb.479:
	v_mov_b32_e32 v130, 22
	ds_store_2addr_b64 v126, v[56:57], v[100:101] offset0:23 offset1:24
	ds_store_2addr_b64 v126, v[52:53], v[54:55] offset0:25 offset1:26
	;; [unrolled: 1-line block ×17, first 2 shown]
	ds_store_b64 v126, v[120:121] offset:456
.LBB114_480:
	s_or_b32 exec_lo, exec_lo, s0
	s_delay_alu instid0(SALU_CYCLE_1)
	s_mov_b32 s0, exec_lo
	s_wait_storecnt_dscnt 0x0
	s_barrier_signal -1
	s_barrier_wait -1
	v_cmpx_lt_i32_e32 22, v130
	s_cbranch_execz .LBB114_482
; %bb.481:
	v_pk_mul_f32 v[132:133], v[124:125], v[62:63] op_sel:[1,1] op_sel_hi:[0,1]
	s_delay_alu instid0(VALU_DEP_1)
	v_pk_fma_f32 v[122:123], v[124:125], v[62:63], v[132:133] op_sel_hi:[1,0,1] neg_lo:[0,0,1] neg_hi:[0,0,1]
	v_pk_fma_f32 v[124:125], v[124:125], v[62:63], v[132:133] op_sel_hi:[1,0,1]
	ds_load_2addr_b64 v[132:135], v126 offset0:23 offset1:24
	v_dual_mov_b32 v62, v122 :: v_dual_mov_b32 v63, v125
	s_wait_dscnt 0x0
	v_pk_mul_f32 v[136:137], v[132:133], v[124:125] op_sel:[0,1]
	s_delay_alu instid0(VALU_DEP_1) | instskip(SKIP_1) | instid1(VALU_DEP_1)
	v_pk_fma_f32 v[138:139], v[132:133], v[122:123], v[136:137] op_sel:[0,0,1] op_sel_hi:[1,1,0] neg_lo:[0,0,1] neg_hi:[0,0,1]
	v_pk_fma_f32 v[132:133], v[132:133], v[122:123], v[136:137] op_sel:[0,0,1] op_sel_hi:[1,0,0]
	v_mov_b32_e32 v139, v133
	v_pk_mul_f32 v[132:133], v[134:135], v[124:125] op_sel:[0,1]
	s_delay_alu instid0(VALU_DEP_1) | instskip(SKIP_1) | instid1(VALU_DEP_1)
	v_pk_fma_f32 v[136:137], v[134:135], v[122:123], v[132:133] op_sel:[0,0,1] op_sel_hi:[1,1,0] neg_lo:[0,0,1] neg_hi:[0,0,1]
	v_pk_fma_f32 v[132:133], v[134:135], v[122:123], v[132:133] op_sel:[0,0,1] op_sel_hi:[1,0,0]
	v_mov_b32_e32 v137, v133
	ds_load_2addr_b64 v[132:135], v126 offset0:25 offset1:26
	v_pk_add_f32 v[56:57], v[56:57], v[138:139] neg_lo:[0,1] neg_hi:[0,1]
	v_pk_add_f32 v[100:101], v[100:101], v[136:137] neg_lo:[0,1] neg_hi:[0,1]
	s_wait_dscnt 0x0
	v_pk_mul_f32 v[136:137], v[132:133], v[124:125] op_sel:[0,1]
	s_delay_alu instid0(VALU_DEP_1) | instskip(SKIP_2) | instid1(VALU_DEP_2)
	v_pk_fma_f32 v[138:139], v[132:133], v[122:123], v[136:137] op_sel:[0,0,1] op_sel_hi:[1,1,0] neg_lo:[0,0,1] neg_hi:[0,0,1]
	v_pk_fma_f32 v[132:133], v[132:133], v[122:123], v[136:137] op_sel:[0,0,1] op_sel_hi:[1,0,0]
	v_dual_mul_f32 v136, v135, v125 :: v_dual_mov_b32 v132, v135
	v_dual_mov_b32 v139, v133 :: v_dual_mov_b32 v133, v134
	s_delay_alu instid0(VALU_DEP_2) | instskip(SKIP_1) | instid1(VALU_DEP_3)
	v_pk_fma_f32 v[136:137], v[134:135], v[62:63], v[136:137] op_sel_hi:[1,1,0] neg_lo:[0,0,1] neg_hi:[0,0,1]
	v_mul_f32_e32 v134, v135, v122
	v_pk_add_f32 v[52:53], v[52:53], v[138:139] neg_lo:[0,1] neg_hi:[0,1]
	s_delay_alu instid0(VALU_DEP_2) | instskip(NEXT) | instid1(VALU_DEP_1)
	v_pk_fma_f32 v[132:133], v[132:133], v[62:63], v[134:135] op_sel_hi:[1,1,0]
	v_mov_b32_e32 v137, v133
	ds_load_2addr_b64 v[132:135], v126 offset0:27 offset1:28
	v_pk_add_f32 v[54:55], v[54:55], v[136:137] neg_lo:[0,1] neg_hi:[0,1]
	s_wait_dscnt 0x0
	v_pk_mul_f32 v[136:137], v[132:133], v[124:125] op_sel:[0,1]
	s_delay_alu instid0(VALU_DEP_1) | instskip(SKIP_1) | instid1(VALU_DEP_1)
	v_pk_fma_f32 v[138:139], v[132:133], v[122:123], v[136:137] op_sel:[0,0,1] op_sel_hi:[1,1,0] neg_lo:[0,0,1] neg_hi:[0,0,1]
	v_pk_fma_f32 v[132:133], v[132:133], v[122:123], v[136:137] op_sel:[0,0,1] op_sel_hi:[1,0,0]
	v_mov_b32_e32 v139, v133
	v_pk_mul_f32 v[132:133], v[134:135], v[124:125] op_sel:[0,1]
	s_delay_alu instid0(VALU_DEP_1) | instskip(SKIP_1) | instid1(VALU_DEP_1)
	v_pk_fma_f32 v[136:137], v[134:135], v[122:123], v[132:133] op_sel:[0,0,1] op_sel_hi:[1,1,0] neg_lo:[0,0,1] neg_hi:[0,0,1]
	v_pk_fma_f32 v[132:133], v[134:135], v[122:123], v[132:133] op_sel:[0,0,1] op_sel_hi:[1,0,0]
	v_mov_b32_e32 v137, v133
	ds_load_2addr_b64 v[132:135], v126 offset0:29 offset1:30
	v_pk_add_f32 v[50:51], v[50:51], v[138:139] neg_lo:[0,1] neg_hi:[0,1]
	v_pk_add_f32 v[96:97], v[96:97], v[136:137] neg_lo:[0,1] neg_hi:[0,1]
	s_wait_dscnt 0x0
	v_pk_mul_f32 v[136:137], v[132:133], v[124:125] op_sel:[0,1]
	s_delay_alu instid0(VALU_DEP_1) | instskip(SKIP_1) | instid1(VALU_DEP_1)
	v_pk_fma_f32 v[138:139], v[132:133], v[122:123], v[136:137] op_sel:[0,0,1] op_sel_hi:[1,1,0] neg_lo:[0,0,1] neg_hi:[0,0,1]
	v_pk_fma_f32 v[132:133], v[132:133], v[122:123], v[136:137] op_sel:[0,0,1] op_sel_hi:[1,0,0]
	v_mov_b32_e32 v139, v133
	v_pk_mul_f32 v[132:133], v[134:135], v[124:125] op_sel:[0,1]
	s_delay_alu instid0(VALU_DEP_1) | instskip(SKIP_1) | instid1(VALU_DEP_1)
	v_pk_fma_f32 v[136:137], v[134:135], v[122:123], v[132:133] op_sel:[0,0,1] op_sel_hi:[1,1,0] neg_lo:[0,0,1] neg_hi:[0,0,1]
	v_pk_fma_f32 v[132:133], v[134:135], v[122:123], v[132:133] op_sel:[0,0,1] op_sel_hi:[1,0,0]
	v_mov_b32_e32 v137, v133
	ds_load_2addr_b64 v[132:135], v126 offset0:31 offset1:32
	v_pk_add_f32 v[46:47], v[46:47], v[138:139] neg_lo:[0,1] neg_hi:[0,1]
	v_pk_add_f32 v[48:49], v[48:49], v[136:137] neg_lo:[0,1] neg_hi:[0,1]
	s_wait_dscnt 0x0
	v_dual_mul_f32 v136, v133, v125 :: v_dual_mul_f32 v138, v133, v122
	s_delay_alu instid0(VALU_DEP_1) | instskip(NEXT) | instid1(VALU_DEP_2)
	v_pk_fma_f32 v[136:137], v[132:133], v[62:63], v[136:137] op_sel_hi:[1,1,0] neg_lo:[0,0,1] neg_hi:[0,0,1]
	v_pk_fma_f32 v[132:133], v[132:133], v[62:63], v[138:139] op_sel:[1,0,0] op_sel_hi:[0,1,0]
	s_delay_alu instid0(VALU_DEP_1) | instskip(SKIP_1) | instid1(VALU_DEP_2)
	v_mov_b32_e32 v137, v133
	v_pk_mul_f32 v[132:133], v[134:135], v[124:125] op_sel:[0,1]
	v_pk_add_f32 v[44:45], v[44:45], v[136:137] neg_lo:[0,1] neg_hi:[0,1]
	s_delay_alu instid0(VALU_DEP_2) | instskip(SKIP_1) | instid1(VALU_DEP_1)
	v_pk_fma_f32 v[136:137], v[134:135], v[122:123], v[132:133] op_sel:[0,0,1] op_sel_hi:[1,1,0] neg_lo:[0,0,1] neg_hi:[0,0,1]
	v_pk_fma_f32 v[132:133], v[134:135], v[122:123], v[132:133] op_sel:[0,0,1] op_sel_hi:[1,0,0]
	v_mov_b32_e32 v137, v133
	ds_load_2addr_b64 v[132:135], v126 offset0:33 offset1:34
	v_pk_add_f32 v[94:95], v[94:95], v[136:137] neg_lo:[0,1] neg_hi:[0,1]
	s_wait_dscnt 0x0
	v_pk_mul_f32 v[136:137], v[132:133], v[124:125] op_sel:[0,1]
	s_delay_alu instid0(VALU_DEP_1) | instskip(SKIP_1) | instid1(VALU_DEP_1)
	v_pk_fma_f32 v[138:139], v[132:133], v[122:123], v[136:137] op_sel:[0,0,1] op_sel_hi:[1,1,0] neg_lo:[0,0,1] neg_hi:[0,0,1]
	v_pk_fma_f32 v[132:133], v[132:133], v[122:123], v[136:137] op_sel:[0,0,1] op_sel_hi:[1,0,0]
	v_mov_b32_e32 v139, v133
	v_pk_mul_f32 v[132:133], v[134:135], v[124:125] op_sel:[0,1]
	s_delay_alu instid0(VALU_DEP_2) | instskip(NEXT) | instid1(VALU_DEP_2)
	v_pk_add_f32 v[38:39], v[38:39], v[138:139] neg_lo:[0,1] neg_hi:[0,1]
	v_pk_fma_f32 v[136:137], v[134:135], v[122:123], v[132:133] op_sel:[0,0,1] op_sel_hi:[1,1,0] neg_lo:[0,0,1] neg_hi:[0,0,1]
	v_pk_fma_f32 v[132:133], v[134:135], v[122:123], v[132:133] op_sel:[0,0,1] op_sel_hi:[1,0,0]
	s_delay_alu instid0(VALU_DEP_1) | instskip(SKIP_4) | instid1(VALU_DEP_1)
	v_mov_b32_e32 v137, v133
	ds_load_2addr_b64 v[132:135], v126 offset0:35 offset1:36
	v_pk_add_f32 v[40:41], v[40:41], v[136:137] neg_lo:[0,1] neg_hi:[0,1]
	s_wait_dscnt 0x0
	v_pk_mul_f32 v[136:137], v[132:133], v[124:125] op_sel:[0,1]
	v_pk_fma_f32 v[138:139], v[132:133], v[122:123], v[136:137] op_sel:[0,0,1] op_sel_hi:[1,1,0] neg_lo:[0,0,1] neg_hi:[0,0,1]
	v_pk_fma_f32 v[132:133], v[132:133], v[122:123], v[136:137] op_sel:[0,0,1] op_sel_hi:[1,0,0]
	v_dual_mul_f32 v136, v135, v125 :: v_dual_mov_b32 v132, v135
	s_delay_alu instid0(VALU_DEP_2) | instskip(NEXT) | instid1(VALU_DEP_2)
	v_dual_mov_b32 v139, v133 :: v_dual_mov_b32 v133, v134
	v_pk_fma_f32 v[136:137], v[134:135], v[62:63], v[136:137] op_sel_hi:[1,1,0] neg_lo:[0,0,1] neg_hi:[0,0,1]
	v_mul_f32_e32 v134, v135, v122
	s_delay_alu instid0(VALU_DEP_3) | instskip(NEXT) | instid1(VALU_DEP_2)
	v_pk_add_f32 v[36:37], v[36:37], v[138:139] neg_lo:[0,1] neg_hi:[0,1]
	v_pk_fma_f32 v[132:133], v[132:133], v[62:63], v[134:135] op_sel_hi:[1,1,0]
	s_delay_alu instid0(VALU_DEP_1) | instskip(SKIP_4) | instid1(VALU_DEP_1)
	v_mov_b32_e32 v137, v133
	ds_load_2addr_b64 v[132:135], v126 offset0:37 offset1:38
	v_pk_add_f32 v[92:93], v[92:93], v[136:137] neg_lo:[0,1] neg_hi:[0,1]
	s_wait_dscnt 0x0
	v_pk_mul_f32 v[136:137], v[132:133], v[124:125] op_sel:[0,1]
	v_pk_fma_f32 v[138:139], v[132:133], v[122:123], v[136:137] op_sel:[0,0,1] op_sel_hi:[1,1,0] neg_lo:[0,0,1] neg_hi:[0,0,1]
	v_pk_fma_f32 v[132:133], v[132:133], v[122:123], v[136:137] op_sel:[0,0,1] op_sel_hi:[1,0,0]
	s_delay_alu instid0(VALU_DEP_1) | instskip(SKIP_1) | instid1(VALU_DEP_1)
	v_mov_b32_e32 v139, v133
	v_pk_mul_f32 v[132:133], v[134:135], v[124:125] op_sel:[0,1]
	v_pk_fma_f32 v[136:137], v[134:135], v[122:123], v[132:133] op_sel:[0,0,1] op_sel_hi:[1,1,0] neg_lo:[0,0,1] neg_hi:[0,0,1]
	v_pk_fma_f32 v[132:133], v[134:135], v[122:123], v[132:133] op_sel:[0,0,1] op_sel_hi:[1,0,0]
	s_delay_alu instid0(VALU_DEP_1)
	v_mov_b32_e32 v137, v133
	ds_load_2addr_b64 v[132:135], v126 offset0:39 offset1:40
	v_pk_add_f32 v[32:33], v[32:33], v[138:139] neg_lo:[0,1] neg_hi:[0,1]
	v_pk_add_f32 v[34:35], v[34:35], v[136:137] neg_lo:[0,1] neg_hi:[0,1]
	s_wait_dscnt 0x0
	v_pk_mul_f32 v[136:137], v[132:133], v[124:125] op_sel:[0,1]
	s_delay_alu instid0(VALU_DEP_1) | instskip(SKIP_1) | instid1(VALU_DEP_1)
	v_pk_fma_f32 v[138:139], v[132:133], v[122:123], v[136:137] op_sel:[0,0,1] op_sel_hi:[1,1,0] neg_lo:[0,0,1] neg_hi:[0,0,1]
	v_pk_fma_f32 v[132:133], v[132:133], v[122:123], v[136:137] op_sel:[0,0,1] op_sel_hi:[1,0,0]
	v_mov_b32_e32 v139, v133
	v_pk_mul_f32 v[132:133], v[134:135], v[124:125] op_sel:[0,1]
	s_delay_alu instid0(VALU_DEP_1) | instskip(SKIP_1) | instid1(VALU_DEP_1)
	v_pk_fma_f32 v[136:137], v[134:135], v[122:123], v[132:133] op_sel:[0,0,1] op_sel_hi:[1,1,0] neg_lo:[0,0,1] neg_hi:[0,0,1]
	v_pk_fma_f32 v[132:133], v[134:135], v[122:123], v[132:133] op_sel:[0,0,1] op_sel_hi:[1,0,0]
	v_mov_b32_e32 v137, v133
	ds_load_2addr_b64 v[132:135], v126 offset0:41 offset1:42
	v_pk_add_f32 v[30:31], v[30:31], v[138:139] neg_lo:[0,1] neg_hi:[0,1]
	v_pk_add_f32 v[90:91], v[90:91], v[136:137] neg_lo:[0,1] neg_hi:[0,1]
	s_wait_dscnt 0x0
	v_dual_mul_f32 v136, v133, v125 :: v_dual_mul_f32 v138, v133, v122
	s_delay_alu instid0(VALU_DEP_1) | instskip(NEXT) | instid1(VALU_DEP_2)
	v_pk_fma_f32 v[136:137], v[132:133], v[62:63], v[136:137] op_sel_hi:[1,1,0] neg_lo:[0,0,1] neg_hi:[0,0,1]
	v_pk_fma_f32 v[132:133], v[132:133], v[62:63], v[138:139] op_sel:[1,0,0] op_sel_hi:[0,1,0]
	s_delay_alu instid0(VALU_DEP_1) | instskip(SKIP_1) | instid1(VALU_DEP_2)
	v_mov_b32_e32 v137, v133
	v_pk_mul_f32 v[132:133], v[134:135], v[124:125] op_sel:[0,1]
	v_pk_add_f32 v[24:25], v[24:25], v[136:137] neg_lo:[0,1] neg_hi:[0,1]
	s_delay_alu instid0(VALU_DEP_2) | instskip(SKIP_1) | instid1(VALU_DEP_1)
	v_pk_fma_f32 v[136:137], v[134:135], v[122:123], v[132:133] op_sel:[0,0,1] op_sel_hi:[1,1,0] neg_lo:[0,0,1] neg_hi:[0,0,1]
	v_pk_fma_f32 v[132:133], v[134:135], v[122:123], v[132:133] op_sel:[0,0,1] op_sel_hi:[1,0,0]
	v_mov_b32_e32 v137, v133
	ds_load_2addr_b64 v[132:135], v126 offset0:43 offset1:44
	v_pk_add_f32 v[26:27], v[26:27], v[136:137] neg_lo:[0,1] neg_hi:[0,1]
	s_wait_dscnt 0x0
	v_pk_mul_f32 v[136:137], v[132:133], v[124:125] op_sel:[0,1]
	s_delay_alu instid0(VALU_DEP_1) | instskip(SKIP_1) | instid1(VALU_DEP_1)
	v_pk_fma_f32 v[138:139], v[132:133], v[122:123], v[136:137] op_sel:[0,0,1] op_sel_hi:[1,1,0] neg_lo:[0,0,1] neg_hi:[0,0,1]
	v_pk_fma_f32 v[132:133], v[132:133], v[122:123], v[136:137] op_sel:[0,0,1] op_sel_hi:[1,0,0]
	v_mov_b32_e32 v139, v133
	v_pk_mul_f32 v[132:133], v[134:135], v[124:125] op_sel:[0,1]
	s_delay_alu instid0(VALU_DEP_2) | instskip(NEXT) | instid1(VALU_DEP_2)
	v_pk_add_f32 v[22:23], v[22:23], v[138:139] neg_lo:[0,1] neg_hi:[0,1]
	v_pk_fma_f32 v[136:137], v[134:135], v[122:123], v[132:133] op_sel:[0,0,1] op_sel_hi:[1,1,0] neg_lo:[0,0,1] neg_hi:[0,0,1]
	v_pk_fma_f32 v[132:133], v[134:135], v[122:123], v[132:133] op_sel:[0,0,1] op_sel_hi:[1,0,0]
	s_delay_alu instid0(VALU_DEP_1) | instskip(SKIP_4) | instid1(VALU_DEP_1)
	v_mov_b32_e32 v137, v133
	ds_load_2addr_b64 v[132:135], v126 offset0:45 offset1:46
	v_pk_add_f32 v[88:89], v[88:89], v[136:137] neg_lo:[0,1] neg_hi:[0,1]
	s_wait_dscnt 0x0
	v_pk_mul_f32 v[136:137], v[132:133], v[124:125] op_sel:[0,1]
	v_pk_fma_f32 v[138:139], v[132:133], v[122:123], v[136:137] op_sel:[0,0,1] op_sel_hi:[1,1,0] neg_lo:[0,0,1] neg_hi:[0,0,1]
	v_pk_fma_f32 v[132:133], v[132:133], v[122:123], v[136:137] op_sel:[0,0,1] op_sel_hi:[1,0,0]
	v_dual_mul_f32 v136, v135, v125 :: v_dual_mov_b32 v132, v135
	s_delay_alu instid0(VALU_DEP_2) | instskip(NEXT) | instid1(VALU_DEP_2)
	v_dual_mov_b32 v139, v133 :: v_dual_mov_b32 v133, v134
	v_pk_fma_f32 v[136:137], v[134:135], v[62:63], v[136:137] op_sel_hi:[1,1,0] neg_lo:[0,0,1] neg_hi:[0,0,1]
	v_mul_f32_e32 v134, v135, v122
	s_delay_alu instid0(VALU_DEP_3) | instskip(NEXT) | instid1(VALU_DEP_2)
	v_pk_add_f32 v[18:19], v[18:19], v[138:139] neg_lo:[0,1] neg_hi:[0,1]
	v_pk_fma_f32 v[132:133], v[132:133], v[62:63], v[134:135] op_sel_hi:[1,1,0]
	s_delay_alu instid0(VALU_DEP_1) | instskip(SKIP_4) | instid1(VALU_DEP_1)
	v_mov_b32_e32 v137, v133
	ds_load_2addr_b64 v[132:135], v126 offset0:47 offset1:48
	v_pk_add_f32 v[20:21], v[20:21], v[136:137] neg_lo:[0,1] neg_hi:[0,1]
	s_wait_dscnt 0x0
	v_pk_mul_f32 v[136:137], v[132:133], v[124:125] op_sel:[0,1]
	v_pk_fma_f32 v[138:139], v[132:133], v[122:123], v[136:137] op_sel:[0,0,1] op_sel_hi:[1,1,0] neg_lo:[0,0,1] neg_hi:[0,0,1]
	v_pk_fma_f32 v[132:133], v[132:133], v[122:123], v[136:137] op_sel:[0,0,1] op_sel_hi:[1,0,0]
	s_delay_alu instid0(VALU_DEP_1) | instskip(SKIP_1) | instid1(VALU_DEP_1)
	v_mov_b32_e32 v139, v133
	v_pk_mul_f32 v[132:133], v[134:135], v[124:125] op_sel:[0,1]
	v_pk_fma_f32 v[136:137], v[134:135], v[122:123], v[132:133] op_sel:[0,0,1] op_sel_hi:[1,1,0] neg_lo:[0,0,1] neg_hi:[0,0,1]
	v_pk_fma_f32 v[132:133], v[134:135], v[122:123], v[132:133] op_sel:[0,0,1] op_sel_hi:[1,0,0]
	s_delay_alu instid0(VALU_DEP_1)
	v_mov_b32_e32 v137, v133
	ds_load_2addr_b64 v[132:135], v126 offset0:49 offset1:50
	v_pk_add_f32 v[16:17], v[16:17], v[138:139] neg_lo:[0,1] neg_hi:[0,1]
	v_pk_add_f32 v[84:85], v[84:85], v[136:137] neg_lo:[0,1] neg_hi:[0,1]
	s_wait_dscnt 0x0
	v_pk_mul_f32 v[136:137], v[132:133], v[124:125] op_sel:[0,1]
	s_delay_alu instid0(VALU_DEP_1) | instskip(SKIP_1) | instid1(VALU_DEP_1)
	v_pk_fma_f32 v[138:139], v[132:133], v[122:123], v[136:137] op_sel:[0,0,1] op_sel_hi:[1,1,0] neg_lo:[0,0,1] neg_hi:[0,0,1]
	v_pk_fma_f32 v[132:133], v[132:133], v[122:123], v[136:137] op_sel:[0,0,1] op_sel_hi:[1,0,0]
	v_mov_b32_e32 v139, v133
	v_pk_mul_f32 v[132:133], v[134:135], v[124:125] op_sel:[0,1]
	s_delay_alu instid0(VALU_DEP_1) | instskip(SKIP_1) | instid1(VALU_DEP_1)
	v_pk_fma_f32 v[136:137], v[134:135], v[122:123], v[132:133] op_sel:[0,0,1] op_sel_hi:[1,1,0] neg_lo:[0,0,1] neg_hi:[0,0,1]
	v_pk_fma_f32 v[132:133], v[134:135], v[122:123], v[132:133] op_sel:[0,0,1] op_sel_hi:[1,0,0]
	v_mov_b32_e32 v137, v133
	ds_load_2addr_b64 v[132:135], v126 offset0:51 offset1:52
	v_pk_add_f32 v[10:11], v[10:11], v[138:139] neg_lo:[0,1] neg_hi:[0,1]
	v_pk_add_f32 v[12:13], v[12:13], v[136:137] neg_lo:[0,1] neg_hi:[0,1]
	s_wait_dscnt 0x0
	v_dual_mul_f32 v136, v133, v125 :: v_dual_mul_f32 v138, v133, v122
	s_delay_alu instid0(VALU_DEP_1) | instskip(NEXT) | instid1(VALU_DEP_2)
	v_pk_fma_f32 v[136:137], v[132:133], v[62:63], v[136:137] op_sel_hi:[1,1,0] neg_lo:[0,0,1] neg_hi:[0,0,1]
	v_pk_fma_f32 v[132:133], v[132:133], v[62:63], v[138:139] op_sel:[1,0,0] op_sel_hi:[0,1,0]
	s_delay_alu instid0(VALU_DEP_1) | instskip(SKIP_1) | instid1(VALU_DEP_2)
	v_mov_b32_e32 v137, v133
	v_pk_mul_f32 v[132:133], v[134:135], v[124:125] op_sel:[0,1]
	v_pk_add_f32 v[8:9], v[8:9], v[136:137] neg_lo:[0,1] neg_hi:[0,1]
	s_delay_alu instid0(VALU_DEP_2) | instskip(SKIP_1) | instid1(VALU_DEP_1)
	v_pk_fma_f32 v[136:137], v[134:135], v[122:123], v[132:133] op_sel:[0,0,1] op_sel_hi:[1,1,0] neg_lo:[0,0,1] neg_hi:[0,0,1]
	v_pk_fma_f32 v[132:133], v[134:135], v[122:123], v[132:133] op_sel:[0,0,1] op_sel_hi:[1,0,0]
	v_mov_b32_e32 v137, v133
	ds_load_2addr_b64 v[132:135], v126 offset0:53 offset1:54
	v_pk_add_f32 v[60:61], v[60:61], v[136:137] neg_lo:[0,1] neg_hi:[0,1]
	s_wait_dscnt 0x0
	v_pk_mul_f32 v[136:137], v[132:133], v[124:125] op_sel:[0,1]
	s_delay_alu instid0(VALU_DEP_1) | instskip(SKIP_1) | instid1(VALU_DEP_1)
	v_pk_fma_f32 v[138:139], v[132:133], v[122:123], v[136:137] op_sel:[0,0,1] op_sel_hi:[1,1,0] neg_lo:[0,0,1] neg_hi:[0,0,1]
	v_pk_fma_f32 v[132:133], v[132:133], v[122:123], v[136:137] op_sel:[0,0,1] op_sel_hi:[1,0,0]
	v_mov_b32_e32 v139, v133
	v_pk_mul_f32 v[132:133], v[134:135], v[124:125] op_sel:[0,1]
	s_delay_alu instid0(VALU_DEP_2) | instskip(NEXT) | instid1(VALU_DEP_2)
	v_pk_add_f32 v[6:7], v[6:7], v[138:139] neg_lo:[0,1] neg_hi:[0,1]
	v_pk_fma_f32 v[136:137], v[134:135], v[122:123], v[132:133] op_sel:[0,0,1] op_sel_hi:[1,1,0] neg_lo:[0,0,1] neg_hi:[0,0,1]
	v_pk_fma_f32 v[132:133], v[134:135], v[122:123], v[132:133] op_sel:[0,0,1] op_sel_hi:[1,0,0]
	s_delay_alu instid0(VALU_DEP_1) | instskip(SKIP_4) | instid1(VALU_DEP_1)
	v_mov_b32_e32 v137, v133
	ds_load_2addr_b64 v[132:135], v126 offset0:55 offset1:56
	v_pk_add_f32 v[42:43], v[42:43], v[136:137] neg_lo:[0,1] neg_hi:[0,1]
	s_wait_dscnt 0x0
	v_pk_mul_f32 v[136:137], v[132:133], v[124:125] op_sel:[0,1]
	v_pk_fma_f32 v[138:139], v[132:133], v[122:123], v[136:137] op_sel:[0,0,1] op_sel_hi:[1,1,0] neg_lo:[0,0,1] neg_hi:[0,0,1]
	v_pk_fma_f32 v[132:133], v[132:133], v[122:123], v[136:137] op_sel:[0,0,1] op_sel_hi:[1,0,0]
	v_dual_mul_f32 v136, v135, v125 :: v_dual_mov_b32 v132, v135
	s_delay_alu instid0(VALU_DEP_2) | instskip(NEXT) | instid1(VALU_DEP_2)
	v_dual_mov_b32 v139, v133 :: v_dual_mov_b32 v133, v134
	v_pk_fma_f32 v[136:137], v[134:135], v[62:63], v[136:137] op_sel_hi:[1,1,0] neg_lo:[0,0,1] neg_hi:[0,0,1]
	v_mul_f32_e32 v134, v135, v122
	s_delay_alu instid0(VALU_DEP_3) | instskip(NEXT) | instid1(VALU_DEP_2)
	v_pk_add_f32 v[28:29], v[28:29], v[138:139] neg_lo:[0,1] neg_hi:[0,1]
	v_pk_fma_f32 v[132:133], v[132:133], v[62:63], v[134:135] op_sel_hi:[1,1,0]
	s_delay_alu instid0(VALU_DEP_1) | instskip(SKIP_4) | instid1(VALU_DEP_1)
	v_mov_b32_e32 v137, v133
	ds_load_b64 v[132:133], v126 offset:456
	v_pk_add_f32 v[14:15], v[14:15], v[136:137] neg_lo:[0,1] neg_hi:[0,1]
	s_wait_dscnt 0x0
	v_pk_mul_f32 v[124:125], v[132:133], v[124:125] op_sel:[0,1]
	v_pk_fma_f32 v[134:135], v[132:133], v[122:123], v[124:125] op_sel:[0,0,1] op_sel_hi:[1,1,0] neg_lo:[0,0,1] neg_hi:[0,0,1]
	v_pk_fma_f32 v[122:123], v[132:133], v[122:123], v[124:125] op_sel:[0,0,1] op_sel_hi:[1,0,0]
	s_delay_alu instid0(VALU_DEP_1) | instskip(NEXT) | instid1(VALU_DEP_1)
	v_mov_b32_e32 v135, v123
	v_pk_add_f32 v[120:121], v[120:121], v[134:135] neg_lo:[0,1] neg_hi:[0,1]
.LBB114_482:
	s_or_b32 exec_lo, exec_lo, s0
	v_lshl_add_u32 v122, v130, 3, v126
	s_barrier_signal -1
	s_barrier_wait -1
	ds_store_b64 v122, v[56:57]
	s_wait_dscnt 0x0
	s_barrier_signal -1
	s_barrier_wait -1
	ds_load_b64 v[124:125], v126 offset:184
	v_mov_b32_e32 v122, 23
	s_cmp_lt_i32 s18, 25
	s_cbranch_scc1 .LBB114_485
; %bb.483:
	v_add3_u32 v123, v127, 0, 0xc0
	v_mov_b32_e32 v122, 23
	s_mov_b32 s0, 24
.LBB114_484:                            ; =>This Inner Loop Header: Depth=1
	ds_load_b64 v[132:133], v123
	s_wait_dscnt 0x1
	v_cmp_gt_f32_e32 vcc_lo, 0, v124
	v_cndmask_b32_e64 v134, v124, -v124, vcc_lo
	v_cmp_gt_f32_e32 vcc_lo, 0, v125
	v_cndmask_b32_e64 v136, v125, -v125, vcc_lo
	s_wait_dscnt 0x0
	v_cmp_gt_f32_e32 vcc_lo, 0, v132
	v_cndmask_b32_e64 v135, v132, -v132, vcc_lo
	v_cmp_gt_f32_e32 vcc_lo, 0, v133
	v_cndmask_b32_e64 v137, v133, -v133, vcc_lo
	s_delay_alu instid0(VALU_DEP_1) | instskip(NEXT) | instid1(VALU_DEP_1)
	v_pk_add_f32 v[134:135], v[134:135], v[136:137]
	v_cmp_lt_f32_e32 vcc_lo, v134, v135
	v_dual_add_nc_u32 v123, 8, v123 :: v_dual_cndmask_b32 v125, v125, v133, vcc_lo
	v_cndmask_b32_e32 v124, v124, v132, vcc_lo
	v_cndmask_b32_e64 v122, v122, s0, vcc_lo
	s_add_co_i32 s0, s0, 1
	s_delay_alu instid0(SALU_CYCLE_1)
	s_cmp_lg_u32 s18, s0
	s_cbranch_scc1 .LBB114_484
.LBB114_485:
	s_wait_dscnt 0x0
	v_cmp_eq_f32_e32 vcc_lo, 0, v124
	v_cmp_eq_f32_e64 s0, 0, v125
	s_and_b32 s0, vcc_lo, s0
	s_delay_alu instid0(SALU_CYCLE_1) | instskip(NEXT) | instid1(SALU_CYCLE_1)
	s_and_saveexec_b32 s1, s0
	s_xor_b32 s0, exec_lo, s1
; %bb.486:
	v_cmp_ne_u32_e32 vcc_lo, 0, v128
	v_cndmask_b32_e32 v128, 24, v128, vcc_lo
; %bb.487:
	s_and_not1_saveexec_b32 s0, s0
	s_cbranch_execz .LBB114_493
; %bb.488:
	v_cmp_ngt_f32_e64 s1, |v124|, |v125|
	s_and_saveexec_b32 s12, s1
	s_delay_alu instid0(SALU_CYCLE_1)
	s_xor_b32 s1, exec_lo, s12
	s_cbranch_execz .LBB114_490
; %bb.489:
	v_div_scale_f32 v123, null, v125, v125, v124
	v_div_scale_f32 v133, vcc_lo, v124, v125, v124
	s_delay_alu instid0(VALU_DEP_2) | instskip(SKIP_1) | instid1(TRANS32_DEP_1)
	v_rcp_f32_e32 v131, v123
	v_nop
	v_fma_f32 v132, -v123, v131, 1.0
	s_delay_alu instid0(VALU_DEP_1) | instskip(NEXT) | instid1(VALU_DEP_1)
	v_fmac_f32_e32 v131, v132, v131
	v_mul_f32_e32 v132, v133, v131
	s_delay_alu instid0(VALU_DEP_1) | instskip(NEXT) | instid1(VALU_DEP_1)
	v_fma_f32 v134, -v123, v132, v133
	v_fmac_f32_e32 v132, v134, v131
	s_delay_alu instid0(VALU_DEP_1) | instskip(NEXT) | instid1(VALU_DEP_1)
	v_fma_f32 v123, -v123, v132, v133
	v_div_fmas_f32 v123, v123, v131, v132
	s_delay_alu instid0(VALU_DEP_1) | instskip(NEXT) | instid1(VALU_DEP_1)
	v_div_fixup_f32 v123, v123, v125, v124
	v_fmac_f32_e32 v125, v124, v123
	s_delay_alu instid0(VALU_DEP_1) | instskip(SKIP_1) | instid1(VALU_DEP_2)
	v_div_scale_f32 v124, null, v125, v125, 1.0
	v_div_scale_f32 v133, vcc_lo, 1.0, v125, 1.0
	v_rcp_f32_e32 v131, v124
	v_nop
	s_delay_alu instid0(TRANS32_DEP_1) | instskip(NEXT) | instid1(VALU_DEP_1)
	v_fma_f32 v132, -v124, v131, 1.0
	v_fmac_f32_e32 v131, v132, v131
	s_delay_alu instid0(VALU_DEP_1) | instskip(NEXT) | instid1(VALU_DEP_1)
	v_mul_f32_e32 v132, v133, v131
	v_fma_f32 v134, -v124, v132, v133
	s_delay_alu instid0(VALU_DEP_1) | instskip(NEXT) | instid1(VALU_DEP_1)
	v_fmac_f32_e32 v132, v134, v131
	v_fma_f32 v124, -v124, v132, v133
	s_delay_alu instid0(VALU_DEP_1) | instskip(NEXT) | instid1(VALU_DEP_1)
	v_div_fmas_f32 v124, v124, v131, v132
	v_div_fixup_f32 v125, v124, v125, 1.0
	s_delay_alu instid0(VALU_DEP_1)
	v_mul_f32_e32 v124, v123, v125
	v_xor_b32_e32 v125, 0x80000000, v125
.LBB114_490:
	s_and_not1_saveexec_b32 s1, s1
	s_cbranch_execz .LBB114_492
; %bb.491:
	s_delay_alu instid0(VALU_DEP_1) | instskip(SKIP_1) | instid1(VALU_DEP_2)
	v_div_scale_f32 v123, null, v124, v124, v125
	v_div_scale_f32 v133, vcc_lo, v125, v124, v125
	v_rcp_f32_e32 v131, v123
	v_nop
	s_delay_alu instid0(TRANS32_DEP_1) | instskip(NEXT) | instid1(VALU_DEP_1)
	v_fma_f32 v132, -v123, v131, 1.0
	v_fmac_f32_e32 v131, v132, v131
	s_delay_alu instid0(VALU_DEP_1) | instskip(NEXT) | instid1(VALU_DEP_1)
	v_mul_f32_e32 v132, v133, v131
	v_fma_f32 v134, -v123, v132, v133
	s_delay_alu instid0(VALU_DEP_1) | instskip(NEXT) | instid1(VALU_DEP_1)
	v_fmac_f32_e32 v132, v134, v131
	v_fma_f32 v123, -v123, v132, v133
	s_delay_alu instid0(VALU_DEP_1) | instskip(NEXT) | instid1(VALU_DEP_1)
	v_div_fmas_f32 v123, v123, v131, v132
	v_div_fixup_f32 v123, v123, v124, v125
	s_delay_alu instid0(VALU_DEP_1) | instskip(NEXT) | instid1(VALU_DEP_1)
	v_fmac_f32_e32 v124, v125, v123
	v_div_scale_f32 v125, null, v124, v124, 1.0
	s_delay_alu instid0(VALU_DEP_1) | instskip(SKIP_1) | instid1(TRANS32_DEP_1)
	v_rcp_f32_e32 v131, v125
	v_nop
	v_fma_f32 v132, -v125, v131, 1.0
	s_delay_alu instid0(VALU_DEP_1) | instskip(SKIP_1) | instid1(VALU_DEP_1)
	v_fmac_f32_e32 v131, v132, v131
	v_div_scale_f32 v132, vcc_lo, 1.0, v124, 1.0
	v_mul_f32_e32 v133, v132, v131
	s_delay_alu instid0(VALU_DEP_1) | instskip(NEXT) | instid1(VALU_DEP_1)
	v_fma_f32 v134, -v125, v133, v132
	v_fmac_f32_e32 v133, v134, v131
	s_delay_alu instid0(VALU_DEP_1) | instskip(NEXT) | instid1(VALU_DEP_1)
	v_fma_f32 v125, -v125, v133, v132
	v_div_fmas_f32 v125, v125, v131, v133
	s_delay_alu instid0(VALU_DEP_1) | instskip(NEXT) | instid1(VALU_DEP_1)
	v_div_fixup_f32 v124, v125, v124, 1.0
	v_mul_f32_e64 v125, v123, -v124
.LBB114_492:
	s_or_b32 exec_lo, exec_lo, s1
.LBB114_493:
	s_delay_alu instid0(SALU_CYCLE_1) | instskip(NEXT) | instid1(SALU_CYCLE_1)
	s_or_b32 exec_lo, exec_lo, s0
	s_mov_b32 s0, exec_lo
	v_cmpx_ne_u32_e64 v130, v122
	s_xor_b32 s0, exec_lo, s0
	s_cbranch_execz .LBB114_499
; %bb.494:
	s_mov_b32 s1, exec_lo
	v_cmpx_eq_u32_e32 23, v130
	s_cbranch_execz .LBB114_498
; %bb.495:
	v_cmp_ne_u32_e32 vcc_lo, 23, v122
	s_xor_b32 s12, s16, -1
	s_delay_alu instid0(SALU_CYCLE_1) | instskip(NEXT) | instid1(SALU_CYCLE_1)
	s_and_b32 s13, s12, vcc_lo
	s_and_saveexec_b32 s12, s13
	s_cbranch_execz .LBB114_497
; %bb.496:
	v_ashrrev_i32_e32 v123, 31, v122
	s_delay_alu instid0(VALU_DEP_1)
	v_lshl_add_u64 v[130:131], v[122:123], 2, v[4:5]
	s_clause 0x1
	global_load_b32 v123, v[130:131], off
	global_load_b32 v129, v[4:5], off offset:92
	s_wait_loadcnt 0x1
	global_store_b32 v[4:5], v123, off offset:92
	s_wait_loadcnt 0x0
	global_store_b32 v[130:131], v129, off
.LBB114_497:
	s_wait_xcnt 0x0
	s_or_b32 exec_lo, exec_lo, s12
	v_dual_mov_b32 v130, v122 :: v_dual_mov_b32 v129, v122
.LBB114_498:
	s_or_b32 exec_lo, exec_lo, s1
.LBB114_499:
	s_and_not1_saveexec_b32 s0, s0
	s_cbranch_execz .LBB114_501
; %bb.500:
	v_dual_mov_b32 v122, v100 :: v_dual_mov_b32 v123, v101
	v_dual_mov_b32 v130, v52 :: v_dual_mov_b32 v131, v53
	ds_store_2addr_b64 v126, v[122:123], v[130:131] offset0:24 offset1:25
	v_dual_mov_b32 v122, v54 :: v_dual_mov_b32 v123, v55
	v_dual_mov_b32 v130, v50 :: v_dual_mov_b32 v131, v51
	ds_store_2addr_b64 v126, v[122:123], v[130:131] offset0:26 offset1:27
	;; [unrolled: 3-line block ×16, first 2 shown]
	v_dual_mov_b32 v122, v14 :: v_dual_mov_b32 v123, v15
	v_mov_b32_e32 v130, 23
	ds_store_2addr_b64 v126, v[122:123], v[120:121] offset0:56 offset1:57
.LBB114_501:
	s_or_b32 exec_lo, exec_lo, s0
	s_delay_alu instid0(SALU_CYCLE_1)
	s_mov_b32 s0, exec_lo
	s_wait_storecnt_dscnt 0x0
	s_barrier_signal -1
	s_barrier_wait -1
	v_cmpx_lt_i32_e32 23, v130
	s_cbranch_execz .LBB114_503
; %bb.502:
	v_pk_mul_f32 v[132:133], v[124:125], v[56:57] op_sel:[1,1] op_sel_hi:[0,1]
	s_delay_alu instid0(VALU_DEP_1)
	v_pk_fma_f32 v[122:123], v[124:125], v[56:57], v[132:133] op_sel_hi:[1,0,1] neg_lo:[0,0,1] neg_hi:[0,0,1]
	v_pk_fma_f32 v[124:125], v[124:125], v[56:57], v[132:133] op_sel_hi:[1,0,1]
	ds_load_2addr_b64 v[132:135], v126 offset0:24 offset1:25
	v_dual_mov_b32 v56, v122 :: v_dual_mov_b32 v57, v125
	s_wait_dscnt 0x0
	v_pk_mul_f32 v[136:137], v[132:133], v[124:125] op_sel:[0,1]
	s_delay_alu instid0(VALU_DEP_1) | instskip(SKIP_1) | instid1(VALU_DEP_1)
	v_pk_fma_f32 v[138:139], v[132:133], v[122:123], v[136:137] op_sel:[0,0,1] op_sel_hi:[1,1,0] neg_lo:[0,0,1] neg_hi:[0,0,1]
	v_pk_fma_f32 v[132:133], v[132:133], v[122:123], v[136:137] op_sel:[0,0,1] op_sel_hi:[1,0,0]
	v_mov_b32_e32 v139, v133
	v_pk_mul_f32 v[132:133], v[134:135], v[124:125] op_sel:[0,1]
	s_delay_alu instid0(VALU_DEP_1) | instskip(SKIP_1) | instid1(VALU_DEP_1)
	v_pk_fma_f32 v[136:137], v[134:135], v[122:123], v[132:133] op_sel:[0,0,1] op_sel_hi:[1,1,0] neg_lo:[0,0,1] neg_hi:[0,0,1]
	v_pk_fma_f32 v[132:133], v[134:135], v[122:123], v[132:133] op_sel:[0,0,1] op_sel_hi:[1,0,0]
	v_mov_b32_e32 v137, v133
	ds_load_2addr_b64 v[132:135], v126 offset0:26 offset1:27
	v_pk_add_f32 v[100:101], v[100:101], v[138:139] neg_lo:[0,1] neg_hi:[0,1]
	v_pk_add_f32 v[52:53], v[52:53], v[136:137] neg_lo:[0,1] neg_hi:[0,1]
	s_wait_dscnt 0x0
	v_pk_mul_f32 v[136:137], v[132:133], v[124:125] op_sel:[0,1]
	s_delay_alu instid0(VALU_DEP_1) | instskip(SKIP_2) | instid1(VALU_DEP_2)
	v_pk_fma_f32 v[138:139], v[132:133], v[122:123], v[136:137] op_sel:[0,0,1] op_sel_hi:[1,1,0] neg_lo:[0,0,1] neg_hi:[0,0,1]
	v_pk_fma_f32 v[132:133], v[132:133], v[122:123], v[136:137] op_sel:[0,0,1] op_sel_hi:[1,0,0]
	v_dual_mul_f32 v136, v135, v125 :: v_dual_mov_b32 v132, v135
	v_dual_mov_b32 v139, v133 :: v_dual_mov_b32 v133, v134
	s_delay_alu instid0(VALU_DEP_2) | instskip(SKIP_1) | instid1(VALU_DEP_3)
	v_pk_fma_f32 v[136:137], v[134:135], v[56:57], v[136:137] op_sel_hi:[1,1,0] neg_lo:[0,0,1] neg_hi:[0,0,1]
	v_mul_f32_e32 v134, v135, v122
	v_pk_add_f32 v[54:55], v[54:55], v[138:139] neg_lo:[0,1] neg_hi:[0,1]
	s_delay_alu instid0(VALU_DEP_2) | instskip(NEXT) | instid1(VALU_DEP_1)
	v_pk_fma_f32 v[132:133], v[132:133], v[56:57], v[134:135] op_sel_hi:[1,1,0]
	v_mov_b32_e32 v137, v133
	ds_load_2addr_b64 v[132:135], v126 offset0:28 offset1:29
	v_pk_add_f32 v[50:51], v[50:51], v[136:137] neg_lo:[0,1] neg_hi:[0,1]
	s_wait_dscnt 0x0
	v_pk_mul_f32 v[136:137], v[132:133], v[124:125] op_sel:[0,1]
	s_delay_alu instid0(VALU_DEP_1) | instskip(SKIP_1) | instid1(VALU_DEP_1)
	v_pk_fma_f32 v[138:139], v[132:133], v[122:123], v[136:137] op_sel:[0,0,1] op_sel_hi:[1,1,0] neg_lo:[0,0,1] neg_hi:[0,0,1]
	v_pk_fma_f32 v[132:133], v[132:133], v[122:123], v[136:137] op_sel:[0,0,1] op_sel_hi:[1,0,0]
	v_mov_b32_e32 v139, v133
	v_pk_mul_f32 v[132:133], v[134:135], v[124:125] op_sel:[0,1]
	s_delay_alu instid0(VALU_DEP_1) | instskip(SKIP_1) | instid1(VALU_DEP_1)
	v_pk_fma_f32 v[136:137], v[134:135], v[122:123], v[132:133] op_sel:[0,0,1] op_sel_hi:[1,1,0] neg_lo:[0,0,1] neg_hi:[0,0,1]
	v_pk_fma_f32 v[132:133], v[134:135], v[122:123], v[132:133] op_sel:[0,0,1] op_sel_hi:[1,0,0]
	v_mov_b32_e32 v137, v133
	ds_load_2addr_b64 v[132:135], v126 offset0:30 offset1:31
	v_pk_add_f32 v[96:97], v[96:97], v[138:139] neg_lo:[0,1] neg_hi:[0,1]
	v_pk_add_f32 v[46:47], v[46:47], v[136:137] neg_lo:[0,1] neg_hi:[0,1]
	s_wait_dscnt 0x0
	v_pk_mul_f32 v[136:137], v[132:133], v[124:125] op_sel:[0,1]
	s_delay_alu instid0(VALU_DEP_1) | instskip(SKIP_1) | instid1(VALU_DEP_1)
	v_pk_fma_f32 v[138:139], v[132:133], v[122:123], v[136:137] op_sel:[0,0,1] op_sel_hi:[1,1,0] neg_lo:[0,0,1] neg_hi:[0,0,1]
	v_pk_fma_f32 v[132:133], v[132:133], v[122:123], v[136:137] op_sel:[0,0,1] op_sel_hi:[1,0,0]
	v_mov_b32_e32 v139, v133
	v_pk_mul_f32 v[132:133], v[134:135], v[124:125] op_sel:[0,1]
	s_delay_alu instid0(VALU_DEP_1) | instskip(SKIP_1) | instid1(VALU_DEP_1)
	v_pk_fma_f32 v[136:137], v[134:135], v[122:123], v[132:133] op_sel:[0,0,1] op_sel_hi:[1,1,0] neg_lo:[0,0,1] neg_hi:[0,0,1]
	v_pk_fma_f32 v[132:133], v[134:135], v[122:123], v[132:133] op_sel:[0,0,1] op_sel_hi:[1,0,0]
	v_mov_b32_e32 v137, v133
	ds_load_2addr_b64 v[132:135], v126 offset0:32 offset1:33
	v_pk_add_f32 v[48:49], v[48:49], v[138:139] neg_lo:[0,1] neg_hi:[0,1]
	v_pk_add_f32 v[44:45], v[44:45], v[136:137] neg_lo:[0,1] neg_hi:[0,1]
	s_wait_dscnt 0x0
	v_dual_mul_f32 v136, v133, v125 :: v_dual_mul_f32 v138, v133, v122
	s_delay_alu instid0(VALU_DEP_1) | instskip(NEXT) | instid1(VALU_DEP_2)
	v_pk_fma_f32 v[136:137], v[132:133], v[56:57], v[136:137] op_sel_hi:[1,1,0] neg_lo:[0,0,1] neg_hi:[0,0,1]
	v_pk_fma_f32 v[132:133], v[132:133], v[56:57], v[138:139] op_sel:[1,0,0] op_sel_hi:[0,1,0]
	s_delay_alu instid0(VALU_DEP_1) | instskip(SKIP_1) | instid1(VALU_DEP_2)
	v_mov_b32_e32 v137, v133
	v_pk_mul_f32 v[132:133], v[134:135], v[124:125] op_sel:[0,1]
	v_pk_add_f32 v[94:95], v[94:95], v[136:137] neg_lo:[0,1] neg_hi:[0,1]
	s_delay_alu instid0(VALU_DEP_2) | instskip(SKIP_1) | instid1(VALU_DEP_1)
	v_pk_fma_f32 v[136:137], v[134:135], v[122:123], v[132:133] op_sel:[0,0,1] op_sel_hi:[1,1,0] neg_lo:[0,0,1] neg_hi:[0,0,1]
	v_pk_fma_f32 v[132:133], v[134:135], v[122:123], v[132:133] op_sel:[0,0,1] op_sel_hi:[1,0,0]
	v_mov_b32_e32 v137, v133
	ds_load_2addr_b64 v[132:135], v126 offset0:34 offset1:35
	v_pk_add_f32 v[38:39], v[38:39], v[136:137] neg_lo:[0,1] neg_hi:[0,1]
	s_wait_dscnt 0x0
	v_pk_mul_f32 v[136:137], v[132:133], v[124:125] op_sel:[0,1]
	s_delay_alu instid0(VALU_DEP_1) | instskip(SKIP_1) | instid1(VALU_DEP_1)
	v_pk_fma_f32 v[138:139], v[132:133], v[122:123], v[136:137] op_sel:[0,0,1] op_sel_hi:[1,1,0] neg_lo:[0,0,1] neg_hi:[0,0,1]
	v_pk_fma_f32 v[132:133], v[132:133], v[122:123], v[136:137] op_sel:[0,0,1] op_sel_hi:[1,0,0]
	v_mov_b32_e32 v139, v133
	v_pk_mul_f32 v[132:133], v[134:135], v[124:125] op_sel:[0,1]
	s_delay_alu instid0(VALU_DEP_2) | instskip(NEXT) | instid1(VALU_DEP_2)
	v_pk_add_f32 v[40:41], v[40:41], v[138:139] neg_lo:[0,1] neg_hi:[0,1]
	v_pk_fma_f32 v[136:137], v[134:135], v[122:123], v[132:133] op_sel:[0,0,1] op_sel_hi:[1,1,0] neg_lo:[0,0,1] neg_hi:[0,0,1]
	v_pk_fma_f32 v[132:133], v[134:135], v[122:123], v[132:133] op_sel:[0,0,1] op_sel_hi:[1,0,0]
	s_delay_alu instid0(VALU_DEP_1) | instskip(SKIP_4) | instid1(VALU_DEP_1)
	v_mov_b32_e32 v137, v133
	ds_load_2addr_b64 v[132:135], v126 offset0:36 offset1:37
	v_pk_add_f32 v[36:37], v[36:37], v[136:137] neg_lo:[0,1] neg_hi:[0,1]
	s_wait_dscnt 0x0
	v_pk_mul_f32 v[136:137], v[132:133], v[124:125] op_sel:[0,1]
	v_pk_fma_f32 v[138:139], v[132:133], v[122:123], v[136:137] op_sel:[0,0,1] op_sel_hi:[1,1,0] neg_lo:[0,0,1] neg_hi:[0,0,1]
	v_pk_fma_f32 v[132:133], v[132:133], v[122:123], v[136:137] op_sel:[0,0,1] op_sel_hi:[1,0,0]
	v_dual_mul_f32 v136, v135, v125 :: v_dual_mov_b32 v132, v135
	s_delay_alu instid0(VALU_DEP_2) | instskip(NEXT) | instid1(VALU_DEP_2)
	v_dual_mov_b32 v139, v133 :: v_dual_mov_b32 v133, v134
	v_pk_fma_f32 v[136:137], v[134:135], v[56:57], v[136:137] op_sel_hi:[1,1,0] neg_lo:[0,0,1] neg_hi:[0,0,1]
	v_mul_f32_e32 v134, v135, v122
	s_delay_alu instid0(VALU_DEP_3) | instskip(NEXT) | instid1(VALU_DEP_2)
	v_pk_add_f32 v[92:93], v[92:93], v[138:139] neg_lo:[0,1] neg_hi:[0,1]
	v_pk_fma_f32 v[132:133], v[132:133], v[56:57], v[134:135] op_sel_hi:[1,1,0]
	s_delay_alu instid0(VALU_DEP_1) | instskip(SKIP_4) | instid1(VALU_DEP_1)
	v_mov_b32_e32 v137, v133
	ds_load_2addr_b64 v[132:135], v126 offset0:38 offset1:39
	v_pk_add_f32 v[32:33], v[32:33], v[136:137] neg_lo:[0,1] neg_hi:[0,1]
	s_wait_dscnt 0x0
	v_pk_mul_f32 v[136:137], v[132:133], v[124:125] op_sel:[0,1]
	v_pk_fma_f32 v[138:139], v[132:133], v[122:123], v[136:137] op_sel:[0,0,1] op_sel_hi:[1,1,0] neg_lo:[0,0,1] neg_hi:[0,0,1]
	v_pk_fma_f32 v[132:133], v[132:133], v[122:123], v[136:137] op_sel:[0,0,1] op_sel_hi:[1,0,0]
	s_delay_alu instid0(VALU_DEP_1) | instskip(SKIP_1) | instid1(VALU_DEP_1)
	v_mov_b32_e32 v139, v133
	v_pk_mul_f32 v[132:133], v[134:135], v[124:125] op_sel:[0,1]
	v_pk_fma_f32 v[136:137], v[134:135], v[122:123], v[132:133] op_sel:[0,0,1] op_sel_hi:[1,1,0] neg_lo:[0,0,1] neg_hi:[0,0,1]
	v_pk_fma_f32 v[132:133], v[134:135], v[122:123], v[132:133] op_sel:[0,0,1] op_sel_hi:[1,0,0]
	s_delay_alu instid0(VALU_DEP_1)
	v_mov_b32_e32 v137, v133
	ds_load_2addr_b64 v[132:135], v126 offset0:40 offset1:41
	v_pk_add_f32 v[34:35], v[34:35], v[138:139] neg_lo:[0,1] neg_hi:[0,1]
	v_pk_add_f32 v[30:31], v[30:31], v[136:137] neg_lo:[0,1] neg_hi:[0,1]
	s_wait_dscnt 0x0
	v_pk_mul_f32 v[136:137], v[132:133], v[124:125] op_sel:[0,1]
	s_delay_alu instid0(VALU_DEP_1) | instskip(SKIP_1) | instid1(VALU_DEP_1)
	v_pk_fma_f32 v[138:139], v[132:133], v[122:123], v[136:137] op_sel:[0,0,1] op_sel_hi:[1,1,0] neg_lo:[0,0,1] neg_hi:[0,0,1]
	v_pk_fma_f32 v[132:133], v[132:133], v[122:123], v[136:137] op_sel:[0,0,1] op_sel_hi:[1,0,0]
	v_mov_b32_e32 v139, v133
	v_pk_mul_f32 v[132:133], v[134:135], v[124:125] op_sel:[0,1]
	s_delay_alu instid0(VALU_DEP_1) | instskip(SKIP_1) | instid1(VALU_DEP_1)
	v_pk_fma_f32 v[136:137], v[134:135], v[122:123], v[132:133] op_sel:[0,0,1] op_sel_hi:[1,1,0] neg_lo:[0,0,1] neg_hi:[0,0,1]
	v_pk_fma_f32 v[132:133], v[134:135], v[122:123], v[132:133] op_sel:[0,0,1] op_sel_hi:[1,0,0]
	v_mov_b32_e32 v137, v133
	ds_load_2addr_b64 v[132:135], v126 offset0:42 offset1:43
	v_pk_add_f32 v[90:91], v[90:91], v[138:139] neg_lo:[0,1] neg_hi:[0,1]
	v_pk_add_f32 v[24:25], v[24:25], v[136:137] neg_lo:[0,1] neg_hi:[0,1]
	s_wait_dscnt 0x0
	v_dual_mul_f32 v136, v133, v125 :: v_dual_mul_f32 v138, v133, v122
	s_delay_alu instid0(VALU_DEP_1) | instskip(NEXT) | instid1(VALU_DEP_2)
	v_pk_fma_f32 v[136:137], v[132:133], v[56:57], v[136:137] op_sel_hi:[1,1,0] neg_lo:[0,0,1] neg_hi:[0,0,1]
	v_pk_fma_f32 v[132:133], v[132:133], v[56:57], v[138:139] op_sel:[1,0,0] op_sel_hi:[0,1,0]
	s_delay_alu instid0(VALU_DEP_1) | instskip(SKIP_1) | instid1(VALU_DEP_2)
	v_mov_b32_e32 v137, v133
	v_pk_mul_f32 v[132:133], v[134:135], v[124:125] op_sel:[0,1]
	v_pk_add_f32 v[26:27], v[26:27], v[136:137] neg_lo:[0,1] neg_hi:[0,1]
	s_delay_alu instid0(VALU_DEP_2) | instskip(SKIP_1) | instid1(VALU_DEP_1)
	v_pk_fma_f32 v[136:137], v[134:135], v[122:123], v[132:133] op_sel:[0,0,1] op_sel_hi:[1,1,0] neg_lo:[0,0,1] neg_hi:[0,0,1]
	v_pk_fma_f32 v[132:133], v[134:135], v[122:123], v[132:133] op_sel:[0,0,1] op_sel_hi:[1,0,0]
	v_mov_b32_e32 v137, v133
	ds_load_2addr_b64 v[132:135], v126 offset0:44 offset1:45
	v_pk_add_f32 v[22:23], v[22:23], v[136:137] neg_lo:[0,1] neg_hi:[0,1]
	s_wait_dscnt 0x0
	v_pk_mul_f32 v[136:137], v[132:133], v[124:125] op_sel:[0,1]
	s_delay_alu instid0(VALU_DEP_1) | instskip(SKIP_1) | instid1(VALU_DEP_1)
	v_pk_fma_f32 v[138:139], v[132:133], v[122:123], v[136:137] op_sel:[0,0,1] op_sel_hi:[1,1,0] neg_lo:[0,0,1] neg_hi:[0,0,1]
	v_pk_fma_f32 v[132:133], v[132:133], v[122:123], v[136:137] op_sel:[0,0,1] op_sel_hi:[1,0,0]
	v_mov_b32_e32 v139, v133
	v_pk_mul_f32 v[132:133], v[134:135], v[124:125] op_sel:[0,1]
	s_delay_alu instid0(VALU_DEP_2) | instskip(NEXT) | instid1(VALU_DEP_2)
	v_pk_add_f32 v[88:89], v[88:89], v[138:139] neg_lo:[0,1] neg_hi:[0,1]
	v_pk_fma_f32 v[136:137], v[134:135], v[122:123], v[132:133] op_sel:[0,0,1] op_sel_hi:[1,1,0] neg_lo:[0,0,1] neg_hi:[0,0,1]
	v_pk_fma_f32 v[132:133], v[134:135], v[122:123], v[132:133] op_sel:[0,0,1] op_sel_hi:[1,0,0]
	s_delay_alu instid0(VALU_DEP_1) | instskip(SKIP_4) | instid1(VALU_DEP_1)
	v_mov_b32_e32 v137, v133
	ds_load_2addr_b64 v[132:135], v126 offset0:46 offset1:47
	v_pk_add_f32 v[18:19], v[18:19], v[136:137] neg_lo:[0,1] neg_hi:[0,1]
	s_wait_dscnt 0x0
	v_pk_mul_f32 v[136:137], v[132:133], v[124:125] op_sel:[0,1]
	v_pk_fma_f32 v[138:139], v[132:133], v[122:123], v[136:137] op_sel:[0,0,1] op_sel_hi:[1,1,0] neg_lo:[0,0,1] neg_hi:[0,0,1]
	v_pk_fma_f32 v[132:133], v[132:133], v[122:123], v[136:137] op_sel:[0,0,1] op_sel_hi:[1,0,0]
	v_dual_mul_f32 v136, v135, v125 :: v_dual_mov_b32 v132, v135
	s_delay_alu instid0(VALU_DEP_2) | instskip(NEXT) | instid1(VALU_DEP_2)
	v_dual_mov_b32 v139, v133 :: v_dual_mov_b32 v133, v134
	v_pk_fma_f32 v[136:137], v[134:135], v[56:57], v[136:137] op_sel_hi:[1,1,0] neg_lo:[0,0,1] neg_hi:[0,0,1]
	v_mul_f32_e32 v134, v135, v122
	s_delay_alu instid0(VALU_DEP_3) | instskip(NEXT) | instid1(VALU_DEP_2)
	v_pk_add_f32 v[20:21], v[20:21], v[138:139] neg_lo:[0,1] neg_hi:[0,1]
	v_pk_fma_f32 v[132:133], v[132:133], v[56:57], v[134:135] op_sel_hi:[1,1,0]
	s_delay_alu instid0(VALU_DEP_1) | instskip(SKIP_4) | instid1(VALU_DEP_1)
	v_mov_b32_e32 v137, v133
	ds_load_2addr_b64 v[132:135], v126 offset0:48 offset1:49
	v_pk_add_f32 v[16:17], v[16:17], v[136:137] neg_lo:[0,1] neg_hi:[0,1]
	s_wait_dscnt 0x0
	v_pk_mul_f32 v[136:137], v[132:133], v[124:125] op_sel:[0,1]
	v_pk_fma_f32 v[138:139], v[132:133], v[122:123], v[136:137] op_sel:[0,0,1] op_sel_hi:[1,1,0] neg_lo:[0,0,1] neg_hi:[0,0,1]
	v_pk_fma_f32 v[132:133], v[132:133], v[122:123], v[136:137] op_sel:[0,0,1] op_sel_hi:[1,0,0]
	s_delay_alu instid0(VALU_DEP_1) | instskip(SKIP_1) | instid1(VALU_DEP_1)
	v_mov_b32_e32 v139, v133
	v_pk_mul_f32 v[132:133], v[134:135], v[124:125] op_sel:[0,1]
	v_pk_fma_f32 v[136:137], v[134:135], v[122:123], v[132:133] op_sel:[0,0,1] op_sel_hi:[1,1,0] neg_lo:[0,0,1] neg_hi:[0,0,1]
	v_pk_fma_f32 v[132:133], v[134:135], v[122:123], v[132:133] op_sel:[0,0,1] op_sel_hi:[1,0,0]
	s_delay_alu instid0(VALU_DEP_1)
	v_mov_b32_e32 v137, v133
	ds_load_2addr_b64 v[132:135], v126 offset0:50 offset1:51
	v_pk_add_f32 v[84:85], v[84:85], v[138:139] neg_lo:[0,1] neg_hi:[0,1]
	v_pk_add_f32 v[10:11], v[10:11], v[136:137] neg_lo:[0,1] neg_hi:[0,1]
	s_wait_dscnt 0x0
	v_pk_mul_f32 v[136:137], v[132:133], v[124:125] op_sel:[0,1]
	s_delay_alu instid0(VALU_DEP_1) | instskip(SKIP_1) | instid1(VALU_DEP_1)
	v_pk_fma_f32 v[138:139], v[132:133], v[122:123], v[136:137] op_sel:[0,0,1] op_sel_hi:[1,1,0] neg_lo:[0,0,1] neg_hi:[0,0,1]
	v_pk_fma_f32 v[132:133], v[132:133], v[122:123], v[136:137] op_sel:[0,0,1] op_sel_hi:[1,0,0]
	v_mov_b32_e32 v139, v133
	v_pk_mul_f32 v[132:133], v[134:135], v[124:125] op_sel:[0,1]
	s_delay_alu instid0(VALU_DEP_1) | instskip(SKIP_1) | instid1(VALU_DEP_1)
	v_pk_fma_f32 v[136:137], v[134:135], v[122:123], v[132:133] op_sel:[0,0,1] op_sel_hi:[1,1,0] neg_lo:[0,0,1] neg_hi:[0,0,1]
	v_pk_fma_f32 v[132:133], v[134:135], v[122:123], v[132:133] op_sel:[0,0,1] op_sel_hi:[1,0,0]
	v_mov_b32_e32 v137, v133
	ds_load_2addr_b64 v[132:135], v126 offset0:52 offset1:53
	v_pk_add_f32 v[12:13], v[12:13], v[138:139] neg_lo:[0,1] neg_hi:[0,1]
	v_pk_add_f32 v[8:9], v[8:9], v[136:137] neg_lo:[0,1] neg_hi:[0,1]
	s_wait_dscnt 0x0
	v_dual_mul_f32 v136, v133, v125 :: v_dual_mul_f32 v138, v133, v122
	s_delay_alu instid0(VALU_DEP_1) | instskip(NEXT) | instid1(VALU_DEP_2)
	v_pk_fma_f32 v[136:137], v[132:133], v[56:57], v[136:137] op_sel_hi:[1,1,0] neg_lo:[0,0,1] neg_hi:[0,0,1]
	v_pk_fma_f32 v[132:133], v[132:133], v[56:57], v[138:139] op_sel:[1,0,0] op_sel_hi:[0,1,0]
	s_delay_alu instid0(VALU_DEP_1) | instskip(SKIP_1) | instid1(VALU_DEP_2)
	v_mov_b32_e32 v137, v133
	v_pk_mul_f32 v[132:133], v[134:135], v[124:125] op_sel:[0,1]
	v_pk_add_f32 v[60:61], v[60:61], v[136:137] neg_lo:[0,1] neg_hi:[0,1]
	s_delay_alu instid0(VALU_DEP_2) | instskip(SKIP_1) | instid1(VALU_DEP_1)
	v_pk_fma_f32 v[136:137], v[134:135], v[122:123], v[132:133] op_sel:[0,0,1] op_sel_hi:[1,1,0] neg_lo:[0,0,1] neg_hi:[0,0,1]
	v_pk_fma_f32 v[132:133], v[134:135], v[122:123], v[132:133] op_sel:[0,0,1] op_sel_hi:[1,0,0]
	v_mov_b32_e32 v137, v133
	ds_load_2addr_b64 v[132:135], v126 offset0:54 offset1:55
	v_pk_add_f32 v[6:7], v[6:7], v[136:137] neg_lo:[0,1] neg_hi:[0,1]
	s_wait_dscnt 0x0
	v_pk_mul_f32 v[136:137], v[132:133], v[124:125] op_sel:[0,1]
	s_delay_alu instid0(VALU_DEP_1) | instskip(SKIP_1) | instid1(VALU_DEP_1)
	v_pk_fma_f32 v[138:139], v[132:133], v[122:123], v[136:137] op_sel:[0,0,1] op_sel_hi:[1,1,0] neg_lo:[0,0,1] neg_hi:[0,0,1]
	v_pk_fma_f32 v[132:133], v[132:133], v[122:123], v[136:137] op_sel:[0,0,1] op_sel_hi:[1,0,0]
	v_mov_b32_e32 v139, v133
	v_pk_mul_f32 v[132:133], v[134:135], v[124:125] op_sel:[0,1]
	s_delay_alu instid0(VALU_DEP_2) | instskip(NEXT) | instid1(VALU_DEP_2)
	v_pk_add_f32 v[42:43], v[42:43], v[138:139] neg_lo:[0,1] neg_hi:[0,1]
	v_pk_fma_f32 v[136:137], v[134:135], v[122:123], v[132:133] op_sel:[0,0,1] op_sel_hi:[1,1,0] neg_lo:[0,0,1] neg_hi:[0,0,1]
	v_pk_fma_f32 v[132:133], v[134:135], v[122:123], v[132:133] op_sel:[0,0,1] op_sel_hi:[1,0,0]
	s_delay_alu instid0(VALU_DEP_1)
	v_mov_b32_e32 v137, v133
	ds_load_2addr_b64 v[132:135], v126 offset0:56 offset1:57
	v_pk_add_f32 v[28:29], v[28:29], v[136:137] neg_lo:[0,1] neg_hi:[0,1]
	s_wait_dscnt 0x0
	v_pk_mul_f32 v[136:137], v[132:133], v[124:125] op_sel:[0,1]
	v_pk_mul_f32 v[124:125], v[134:135], v[124:125] op_sel:[0,1]
	s_delay_alu instid0(VALU_DEP_2) | instskip(SKIP_1) | instid1(VALU_DEP_1)
	v_pk_fma_f32 v[138:139], v[132:133], v[122:123], v[136:137] op_sel:[0,0,1] op_sel_hi:[1,1,0] neg_lo:[0,0,1] neg_hi:[0,0,1]
	v_pk_fma_f32 v[132:133], v[132:133], v[122:123], v[136:137] op_sel:[0,0,1] op_sel_hi:[1,0,0]
	v_mov_b32_e32 v139, v133
	s_delay_alu instid0(VALU_DEP_4) | instskip(SKIP_1) | instid1(VALU_DEP_3)
	v_pk_fma_f32 v[132:133], v[134:135], v[122:123], v[124:125] op_sel:[0,0,1] op_sel_hi:[1,1,0] neg_lo:[0,0,1] neg_hi:[0,0,1]
	v_pk_fma_f32 v[122:123], v[134:135], v[122:123], v[124:125] op_sel:[0,0,1] op_sel_hi:[1,0,0]
	v_pk_add_f32 v[14:15], v[14:15], v[138:139] neg_lo:[0,1] neg_hi:[0,1]
	s_delay_alu instid0(VALU_DEP_2) | instskip(NEXT) | instid1(VALU_DEP_1)
	v_mov_b32_e32 v133, v123
	v_pk_add_f32 v[120:121], v[120:121], v[132:133] neg_lo:[0,1] neg_hi:[0,1]
.LBB114_503:
	s_or_b32 exec_lo, exec_lo, s0
	v_lshl_add_u32 v122, v130, 3, v126
	s_barrier_signal -1
	s_barrier_wait -1
	ds_store_b64 v122, v[100:101]
	s_wait_dscnt 0x0
	s_barrier_signal -1
	s_barrier_wait -1
	ds_load_b64 v[124:125], v126 offset:192
	v_mov_b32_e32 v122, 24
	s_cmp_lt_i32 s18, 26
	s_cbranch_scc1 .LBB114_506
; %bb.504:
	v_add3_u32 v123, v127, 0, 0xc8
	v_mov_b32_e32 v122, 24
	s_mov_b32 s0, 25
.LBB114_505:                            ; =>This Inner Loop Header: Depth=1
	ds_load_b64 v[132:133], v123
	s_wait_dscnt 0x1
	v_cmp_gt_f32_e32 vcc_lo, 0, v124
	v_cndmask_b32_e64 v134, v124, -v124, vcc_lo
	v_cmp_gt_f32_e32 vcc_lo, 0, v125
	v_cndmask_b32_e64 v136, v125, -v125, vcc_lo
	s_wait_dscnt 0x0
	v_cmp_gt_f32_e32 vcc_lo, 0, v132
	v_cndmask_b32_e64 v135, v132, -v132, vcc_lo
	v_cmp_gt_f32_e32 vcc_lo, 0, v133
	v_cndmask_b32_e64 v137, v133, -v133, vcc_lo
	s_delay_alu instid0(VALU_DEP_1) | instskip(NEXT) | instid1(VALU_DEP_1)
	v_pk_add_f32 v[134:135], v[134:135], v[136:137]
	v_cmp_lt_f32_e32 vcc_lo, v134, v135
	v_dual_add_nc_u32 v123, 8, v123 :: v_dual_cndmask_b32 v125, v125, v133, vcc_lo
	v_cndmask_b32_e32 v124, v124, v132, vcc_lo
	v_cndmask_b32_e64 v122, v122, s0, vcc_lo
	s_add_co_i32 s0, s0, 1
	s_delay_alu instid0(SALU_CYCLE_1)
	s_cmp_lg_u32 s18, s0
	s_cbranch_scc1 .LBB114_505
.LBB114_506:
	s_wait_dscnt 0x0
	v_cmp_eq_f32_e32 vcc_lo, 0, v124
	v_cmp_eq_f32_e64 s0, 0, v125
	s_and_b32 s0, vcc_lo, s0
	s_delay_alu instid0(SALU_CYCLE_1) | instskip(NEXT) | instid1(SALU_CYCLE_1)
	s_and_saveexec_b32 s1, s0
	s_xor_b32 s0, exec_lo, s1
; %bb.507:
	v_cmp_ne_u32_e32 vcc_lo, 0, v128
	v_cndmask_b32_e32 v128, 25, v128, vcc_lo
; %bb.508:
	s_and_not1_saveexec_b32 s0, s0
	s_cbranch_execz .LBB114_514
; %bb.509:
	v_cmp_ngt_f32_e64 s1, |v124|, |v125|
	s_and_saveexec_b32 s12, s1
	s_delay_alu instid0(SALU_CYCLE_1)
	s_xor_b32 s1, exec_lo, s12
	s_cbranch_execz .LBB114_511
; %bb.510:
	v_div_scale_f32 v123, null, v125, v125, v124
	v_div_scale_f32 v133, vcc_lo, v124, v125, v124
	s_delay_alu instid0(VALU_DEP_2) | instskip(SKIP_1) | instid1(TRANS32_DEP_1)
	v_rcp_f32_e32 v131, v123
	v_nop
	v_fma_f32 v132, -v123, v131, 1.0
	s_delay_alu instid0(VALU_DEP_1) | instskip(NEXT) | instid1(VALU_DEP_1)
	v_fmac_f32_e32 v131, v132, v131
	v_mul_f32_e32 v132, v133, v131
	s_delay_alu instid0(VALU_DEP_1) | instskip(NEXT) | instid1(VALU_DEP_1)
	v_fma_f32 v134, -v123, v132, v133
	v_fmac_f32_e32 v132, v134, v131
	s_delay_alu instid0(VALU_DEP_1) | instskip(NEXT) | instid1(VALU_DEP_1)
	v_fma_f32 v123, -v123, v132, v133
	v_div_fmas_f32 v123, v123, v131, v132
	s_delay_alu instid0(VALU_DEP_1) | instskip(NEXT) | instid1(VALU_DEP_1)
	v_div_fixup_f32 v123, v123, v125, v124
	v_fmac_f32_e32 v125, v124, v123
	s_delay_alu instid0(VALU_DEP_1) | instskip(SKIP_1) | instid1(VALU_DEP_2)
	v_div_scale_f32 v124, null, v125, v125, 1.0
	v_div_scale_f32 v133, vcc_lo, 1.0, v125, 1.0
	v_rcp_f32_e32 v131, v124
	v_nop
	s_delay_alu instid0(TRANS32_DEP_1) | instskip(NEXT) | instid1(VALU_DEP_1)
	v_fma_f32 v132, -v124, v131, 1.0
	v_fmac_f32_e32 v131, v132, v131
	s_delay_alu instid0(VALU_DEP_1) | instskip(NEXT) | instid1(VALU_DEP_1)
	v_mul_f32_e32 v132, v133, v131
	v_fma_f32 v134, -v124, v132, v133
	s_delay_alu instid0(VALU_DEP_1) | instskip(NEXT) | instid1(VALU_DEP_1)
	v_fmac_f32_e32 v132, v134, v131
	v_fma_f32 v124, -v124, v132, v133
	s_delay_alu instid0(VALU_DEP_1) | instskip(NEXT) | instid1(VALU_DEP_1)
	v_div_fmas_f32 v124, v124, v131, v132
	v_div_fixup_f32 v125, v124, v125, 1.0
	s_delay_alu instid0(VALU_DEP_1)
	v_mul_f32_e32 v124, v123, v125
	v_xor_b32_e32 v125, 0x80000000, v125
.LBB114_511:
	s_and_not1_saveexec_b32 s1, s1
	s_cbranch_execz .LBB114_513
; %bb.512:
	s_delay_alu instid0(VALU_DEP_1) | instskip(SKIP_1) | instid1(VALU_DEP_2)
	v_div_scale_f32 v123, null, v124, v124, v125
	v_div_scale_f32 v133, vcc_lo, v125, v124, v125
	v_rcp_f32_e32 v131, v123
	v_nop
	s_delay_alu instid0(TRANS32_DEP_1) | instskip(NEXT) | instid1(VALU_DEP_1)
	v_fma_f32 v132, -v123, v131, 1.0
	v_fmac_f32_e32 v131, v132, v131
	s_delay_alu instid0(VALU_DEP_1) | instskip(NEXT) | instid1(VALU_DEP_1)
	v_mul_f32_e32 v132, v133, v131
	v_fma_f32 v134, -v123, v132, v133
	s_delay_alu instid0(VALU_DEP_1) | instskip(NEXT) | instid1(VALU_DEP_1)
	v_fmac_f32_e32 v132, v134, v131
	v_fma_f32 v123, -v123, v132, v133
	s_delay_alu instid0(VALU_DEP_1) | instskip(NEXT) | instid1(VALU_DEP_1)
	v_div_fmas_f32 v123, v123, v131, v132
	v_div_fixup_f32 v123, v123, v124, v125
	s_delay_alu instid0(VALU_DEP_1) | instskip(NEXT) | instid1(VALU_DEP_1)
	v_fmac_f32_e32 v124, v125, v123
	v_div_scale_f32 v125, null, v124, v124, 1.0
	s_delay_alu instid0(VALU_DEP_1) | instskip(SKIP_1) | instid1(TRANS32_DEP_1)
	v_rcp_f32_e32 v131, v125
	v_nop
	v_fma_f32 v132, -v125, v131, 1.0
	s_delay_alu instid0(VALU_DEP_1) | instskip(SKIP_1) | instid1(VALU_DEP_1)
	v_fmac_f32_e32 v131, v132, v131
	v_div_scale_f32 v132, vcc_lo, 1.0, v124, 1.0
	v_mul_f32_e32 v133, v132, v131
	s_delay_alu instid0(VALU_DEP_1) | instskip(NEXT) | instid1(VALU_DEP_1)
	v_fma_f32 v134, -v125, v133, v132
	v_fmac_f32_e32 v133, v134, v131
	s_delay_alu instid0(VALU_DEP_1) | instskip(NEXT) | instid1(VALU_DEP_1)
	v_fma_f32 v125, -v125, v133, v132
	v_div_fmas_f32 v125, v125, v131, v133
	s_delay_alu instid0(VALU_DEP_1) | instskip(NEXT) | instid1(VALU_DEP_1)
	v_div_fixup_f32 v124, v125, v124, 1.0
	v_mul_f32_e64 v125, v123, -v124
.LBB114_513:
	s_or_b32 exec_lo, exec_lo, s1
.LBB114_514:
	s_delay_alu instid0(SALU_CYCLE_1) | instskip(NEXT) | instid1(SALU_CYCLE_1)
	s_or_b32 exec_lo, exec_lo, s0
	s_mov_b32 s0, exec_lo
	v_cmpx_ne_u32_e64 v130, v122
	s_xor_b32 s0, exec_lo, s0
	s_cbranch_execz .LBB114_520
; %bb.515:
	s_mov_b32 s1, exec_lo
	v_cmpx_eq_u32_e32 24, v130
	s_cbranch_execz .LBB114_519
; %bb.516:
	v_cmp_ne_u32_e32 vcc_lo, 24, v122
	s_xor_b32 s12, s16, -1
	s_delay_alu instid0(SALU_CYCLE_1) | instskip(NEXT) | instid1(SALU_CYCLE_1)
	s_and_b32 s13, s12, vcc_lo
	s_and_saveexec_b32 s12, s13
	s_cbranch_execz .LBB114_518
; %bb.517:
	v_ashrrev_i32_e32 v123, 31, v122
	s_delay_alu instid0(VALU_DEP_1)
	v_lshl_add_u64 v[130:131], v[122:123], 2, v[4:5]
	s_clause 0x1
	global_load_b32 v123, v[130:131], off
	global_load_b32 v129, v[4:5], off offset:96
	s_wait_loadcnt 0x1
	global_store_b32 v[4:5], v123, off offset:96
	s_wait_loadcnt 0x0
	global_store_b32 v[130:131], v129, off
.LBB114_518:
	s_wait_xcnt 0x0
	s_or_b32 exec_lo, exec_lo, s12
	v_dual_mov_b32 v130, v122 :: v_dual_mov_b32 v129, v122
.LBB114_519:
	s_or_b32 exec_lo, exec_lo, s1
.LBB114_520:
	s_and_not1_saveexec_b32 s0, s0
	s_cbranch_execz .LBB114_522
; %bb.521:
	v_mov_b32_e32 v130, 24
	ds_store_2addr_b64 v126, v[52:53], v[54:55] offset0:25 offset1:26
	ds_store_2addr_b64 v126, v[50:51], v[96:97] offset0:27 offset1:28
	;; [unrolled: 1-line block ×16, first 2 shown]
	ds_store_b64 v126, v[120:121] offset:456
.LBB114_522:
	s_or_b32 exec_lo, exec_lo, s0
	s_delay_alu instid0(SALU_CYCLE_1)
	s_mov_b32 s0, exec_lo
	s_wait_storecnt_dscnt 0x0
	s_barrier_signal -1
	s_barrier_wait -1
	v_cmpx_lt_i32_e32 24, v130
	s_cbranch_execz .LBB114_524
; %bb.523:
	v_pk_mul_f32 v[132:133], v[124:125], v[100:101] op_sel:[1,1] op_sel_hi:[0,1]
	s_delay_alu instid0(VALU_DEP_1)
	v_pk_fma_f32 v[122:123], v[124:125], v[100:101], v[132:133] op_sel_hi:[1,0,1] neg_lo:[0,0,1] neg_hi:[0,0,1]
	v_pk_fma_f32 v[124:125], v[124:125], v[100:101], v[132:133] op_sel_hi:[1,0,1]
	ds_load_2addr_b64 v[132:135], v126 offset0:25 offset1:26
	v_dual_mov_b32 v100, v122 :: v_dual_mov_b32 v101, v125
	s_wait_dscnt 0x0
	v_pk_mul_f32 v[136:137], v[132:133], v[124:125] op_sel:[0,1]
	s_delay_alu instid0(VALU_DEP_1) | instskip(SKIP_1) | instid1(VALU_DEP_1)
	v_pk_fma_f32 v[138:139], v[132:133], v[122:123], v[136:137] op_sel:[0,0,1] op_sel_hi:[1,1,0] neg_lo:[0,0,1] neg_hi:[0,0,1]
	v_pk_fma_f32 v[132:133], v[132:133], v[122:123], v[136:137] op_sel:[0,0,1] op_sel_hi:[1,0,0]
	v_mov_b32_e32 v139, v133
	v_pk_mul_f32 v[132:133], v[134:135], v[124:125] op_sel:[0,1]
	s_delay_alu instid0(VALU_DEP_1) | instskip(SKIP_1) | instid1(VALU_DEP_1)
	v_pk_fma_f32 v[136:137], v[134:135], v[122:123], v[132:133] op_sel:[0,0,1] op_sel_hi:[1,1,0] neg_lo:[0,0,1] neg_hi:[0,0,1]
	v_pk_fma_f32 v[132:133], v[134:135], v[122:123], v[132:133] op_sel:[0,0,1] op_sel_hi:[1,0,0]
	v_mov_b32_e32 v137, v133
	ds_load_2addr_b64 v[132:135], v126 offset0:27 offset1:28
	v_pk_add_f32 v[52:53], v[52:53], v[138:139] neg_lo:[0,1] neg_hi:[0,1]
	v_pk_add_f32 v[54:55], v[54:55], v[136:137] neg_lo:[0,1] neg_hi:[0,1]
	s_wait_dscnt 0x0
	v_pk_mul_f32 v[136:137], v[132:133], v[124:125] op_sel:[0,1]
	s_delay_alu instid0(VALU_DEP_1) | instskip(SKIP_2) | instid1(VALU_DEP_2)
	v_pk_fma_f32 v[138:139], v[132:133], v[122:123], v[136:137] op_sel:[0,0,1] op_sel_hi:[1,1,0] neg_lo:[0,0,1] neg_hi:[0,0,1]
	v_pk_fma_f32 v[132:133], v[132:133], v[122:123], v[136:137] op_sel:[0,0,1] op_sel_hi:[1,0,0]
	v_dual_mul_f32 v136, v135, v125 :: v_dual_mov_b32 v132, v135
	v_dual_mov_b32 v139, v133 :: v_dual_mov_b32 v133, v134
	s_delay_alu instid0(VALU_DEP_2) | instskip(SKIP_1) | instid1(VALU_DEP_3)
	v_pk_fma_f32 v[136:137], v[134:135], v[100:101], v[136:137] op_sel_hi:[1,1,0] neg_lo:[0,0,1] neg_hi:[0,0,1]
	v_mul_f32_e32 v134, v135, v122
	v_pk_add_f32 v[50:51], v[50:51], v[138:139] neg_lo:[0,1] neg_hi:[0,1]
	s_delay_alu instid0(VALU_DEP_2) | instskip(NEXT) | instid1(VALU_DEP_1)
	v_pk_fma_f32 v[132:133], v[132:133], v[100:101], v[134:135] op_sel_hi:[1,1,0]
	v_mov_b32_e32 v137, v133
	ds_load_2addr_b64 v[132:135], v126 offset0:29 offset1:30
	v_pk_add_f32 v[96:97], v[96:97], v[136:137] neg_lo:[0,1] neg_hi:[0,1]
	s_wait_dscnt 0x0
	v_pk_mul_f32 v[136:137], v[132:133], v[124:125] op_sel:[0,1]
	s_delay_alu instid0(VALU_DEP_1) | instskip(SKIP_1) | instid1(VALU_DEP_1)
	v_pk_fma_f32 v[138:139], v[132:133], v[122:123], v[136:137] op_sel:[0,0,1] op_sel_hi:[1,1,0] neg_lo:[0,0,1] neg_hi:[0,0,1]
	v_pk_fma_f32 v[132:133], v[132:133], v[122:123], v[136:137] op_sel:[0,0,1] op_sel_hi:[1,0,0]
	v_mov_b32_e32 v139, v133
	v_pk_mul_f32 v[132:133], v[134:135], v[124:125] op_sel:[0,1]
	s_delay_alu instid0(VALU_DEP_1) | instskip(SKIP_1) | instid1(VALU_DEP_1)
	v_pk_fma_f32 v[136:137], v[134:135], v[122:123], v[132:133] op_sel:[0,0,1] op_sel_hi:[1,1,0] neg_lo:[0,0,1] neg_hi:[0,0,1]
	v_pk_fma_f32 v[132:133], v[134:135], v[122:123], v[132:133] op_sel:[0,0,1] op_sel_hi:[1,0,0]
	v_mov_b32_e32 v137, v133
	ds_load_2addr_b64 v[132:135], v126 offset0:31 offset1:32
	v_pk_add_f32 v[46:47], v[46:47], v[138:139] neg_lo:[0,1] neg_hi:[0,1]
	v_pk_add_f32 v[48:49], v[48:49], v[136:137] neg_lo:[0,1] neg_hi:[0,1]
	s_wait_dscnt 0x0
	v_pk_mul_f32 v[136:137], v[132:133], v[124:125] op_sel:[0,1]
	s_delay_alu instid0(VALU_DEP_1) | instskip(SKIP_1) | instid1(VALU_DEP_1)
	v_pk_fma_f32 v[138:139], v[132:133], v[122:123], v[136:137] op_sel:[0,0,1] op_sel_hi:[1,1,0] neg_lo:[0,0,1] neg_hi:[0,0,1]
	v_pk_fma_f32 v[132:133], v[132:133], v[122:123], v[136:137] op_sel:[0,0,1] op_sel_hi:[1,0,0]
	v_mov_b32_e32 v139, v133
	v_pk_mul_f32 v[132:133], v[134:135], v[124:125] op_sel:[0,1]
	s_delay_alu instid0(VALU_DEP_1) | instskip(SKIP_1) | instid1(VALU_DEP_1)
	v_pk_fma_f32 v[136:137], v[134:135], v[122:123], v[132:133] op_sel:[0,0,1] op_sel_hi:[1,1,0] neg_lo:[0,0,1] neg_hi:[0,0,1]
	v_pk_fma_f32 v[132:133], v[134:135], v[122:123], v[132:133] op_sel:[0,0,1] op_sel_hi:[1,0,0]
	v_mov_b32_e32 v137, v133
	ds_load_2addr_b64 v[132:135], v126 offset0:33 offset1:34
	v_pk_add_f32 v[44:45], v[44:45], v[138:139] neg_lo:[0,1] neg_hi:[0,1]
	v_pk_add_f32 v[94:95], v[94:95], v[136:137] neg_lo:[0,1] neg_hi:[0,1]
	s_wait_dscnt 0x0
	v_dual_mul_f32 v136, v133, v125 :: v_dual_mul_f32 v138, v133, v122
	s_delay_alu instid0(VALU_DEP_1) | instskip(NEXT) | instid1(VALU_DEP_2)
	v_pk_fma_f32 v[136:137], v[132:133], v[100:101], v[136:137] op_sel_hi:[1,1,0] neg_lo:[0,0,1] neg_hi:[0,0,1]
	v_pk_fma_f32 v[132:133], v[132:133], v[100:101], v[138:139] op_sel:[1,0,0] op_sel_hi:[0,1,0]
	s_delay_alu instid0(VALU_DEP_1) | instskip(SKIP_1) | instid1(VALU_DEP_2)
	v_mov_b32_e32 v137, v133
	v_pk_mul_f32 v[132:133], v[134:135], v[124:125] op_sel:[0,1]
	v_pk_add_f32 v[38:39], v[38:39], v[136:137] neg_lo:[0,1] neg_hi:[0,1]
	s_delay_alu instid0(VALU_DEP_2) | instskip(SKIP_1) | instid1(VALU_DEP_1)
	v_pk_fma_f32 v[136:137], v[134:135], v[122:123], v[132:133] op_sel:[0,0,1] op_sel_hi:[1,1,0] neg_lo:[0,0,1] neg_hi:[0,0,1]
	v_pk_fma_f32 v[132:133], v[134:135], v[122:123], v[132:133] op_sel:[0,0,1] op_sel_hi:[1,0,0]
	v_mov_b32_e32 v137, v133
	ds_load_2addr_b64 v[132:135], v126 offset0:35 offset1:36
	v_pk_add_f32 v[40:41], v[40:41], v[136:137] neg_lo:[0,1] neg_hi:[0,1]
	s_wait_dscnt 0x0
	v_pk_mul_f32 v[136:137], v[132:133], v[124:125] op_sel:[0,1]
	s_delay_alu instid0(VALU_DEP_1) | instskip(SKIP_1) | instid1(VALU_DEP_1)
	v_pk_fma_f32 v[138:139], v[132:133], v[122:123], v[136:137] op_sel:[0,0,1] op_sel_hi:[1,1,0] neg_lo:[0,0,1] neg_hi:[0,0,1]
	v_pk_fma_f32 v[132:133], v[132:133], v[122:123], v[136:137] op_sel:[0,0,1] op_sel_hi:[1,0,0]
	v_mov_b32_e32 v139, v133
	v_pk_mul_f32 v[132:133], v[134:135], v[124:125] op_sel:[0,1]
	s_delay_alu instid0(VALU_DEP_2) | instskip(NEXT) | instid1(VALU_DEP_2)
	v_pk_add_f32 v[36:37], v[36:37], v[138:139] neg_lo:[0,1] neg_hi:[0,1]
	v_pk_fma_f32 v[136:137], v[134:135], v[122:123], v[132:133] op_sel:[0,0,1] op_sel_hi:[1,1,0] neg_lo:[0,0,1] neg_hi:[0,0,1]
	v_pk_fma_f32 v[132:133], v[134:135], v[122:123], v[132:133] op_sel:[0,0,1] op_sel_hi:[1,0,0]
	s_delay_alu instid0(VALU_DEP_1) | instskip(SKIP_4) | instid1(VALU_DEP_1)
	v_mov_b32_e32 v137, v133
	ds_load_2addr_b64 v[132:135], v126 offset0:37 offset1:38
	v_pk_add_f32 v[92:93], v[92:93], v[136:137] neg_lo:[0,1] neg_hi:[0,1]
	s_wait_dscnt 0x0
	v_pk_mul_f32 v[136:137], v[132:133], v[124:125] op_sel:[0,1]
	v_pk_fma_f32 v[138:139], v[132:133], v[122:123], v[136:137] op_sel:[0,0,1] op_sel_hi:[1,1,0] neg_lo:[0,0,1] neg_hi:[0,0,1]
	v_pk_fma_f32 v[132:133], v[132:133], v[122:123], v[136:137] op_sel:[0,0,1] op_sel_hi:[1,0,0]
	v_dual_mul_f32 v136, v135, v125 :: v_dual_mov_b32 v132, v135
	s_delay_alu instid0(VALU_DEP_2) | instskip(NEXT) | instid1(VALU_DEP_2)
	v_dual_mov_b32 v139, v133 :: v_dual_mov_b32 v133, v134
	v_pk_fma_f32 v[136:137], v[134:135], v[100:101], v[136:137] op_sel_hi:[1,1,0] neg_lo:[0,0,1] neg_hi:[0,0,1]
	v_mul_f32_e32 v134, v135, v122
	s_delay_alu instid0(VALU_DEP_3) | instskip(NEXT) | instid1(VALU_DEP_2)
	v_pk_add_f32 v[32:33], v[32:33], v[138:139] neg_lo:[0,1] neg_hi:[0,1]
	v_pk_fma_f32 v[132:133], v[132:133], v[100:101], v[134:135] op_sel_hi:[1,1,0]
	s_delay_alu instid0(VALU_DEP_1) | instskip(SKIP_4) | instid1(VALU_DEP_1)
	v_mov_b32_e32 v137, v133
	ds_load_2addr_b64 v[132:135], v126 offset0:39 offset1:40
	v_pk_add_f32 v[34:35], v[34:35], v[136:137] neg_lo:[0,1] neg_hi:[0,1]
	s_wait_dscnt 0x0
	v_pk_mul_f32 v[136:137], v[132:133], v[124:125] op_sel:[0,1]
	v_pk_fma_f32 v[138:139], v[132:133], v[122:123], v[136:137] op_sel:[0,0,1] op_sel_hi:[1,1,0] neg_lo:[0,0,1] neg_hi:[0,0,1]
	v_pk_fma_f32 v[132:133], v[132:133], v[122:123], v[136:137] op_sel:[0,0,1] op_sel_hi:[1,0,0]
	s_delay_alu instid0(VALU_DEP_1) | instskip(SKIP_1) | instid1(VALU_DEP_1)
	v_mov_b32_e32 v139, v133
	v_pk_mul_f32 v[132:133], v[134:135], v[124:125] op_sel:[0,1]
	v_pk_fma_f32 v[136:137], v[134:135], v[122:123], v[132:133] op_sel:[0,0,1] op_sel_hi:[1,1,0] neg_lo:[0,0,1] neg_hi:[0,0,1]
	v_pk_fma_f32 v[132:133], v[134:135], v[122:123], v[132:133] op_sel:[0,0,1] op_sel_hi:[1,0,0]
	s_delay_alu instid0(VALU_DEP_1)
	v_mov_b32_e32 v137, v133
	ds_load_2addr_b64 v[132:135], v126 offset0:41 offset1:42
	v_pk_add_f32 v[30:31], v[30:31], v[138:139] neg_lo:[0,1] neg_hi:[0,1]
	v_pk_add_f32 v[90:91], v[90:91], v[136:137] neg_lo:[0,1] neg_hi:[0,1]
	s_wait_dscnt 0x0
	v_pk_mul_f32 v[136:137], v[132:133], v[124:125] op_sel:[0,1]
	s_delay_alu instid0(VALU_DEP_1) | instskip(SKIP_1) | instid1(VALU_DEP_1)
	v_pk_fma_f32 v[138:139], v[132:133], v[122:123], v[136:137] op_sel:[0,0,1] op_sel_hi:[1,1,0] neg_lo:[0,0,1] neg_hi:[0,0,1]
	v_pk_fma_f32 v[132:133], v[132:133], v[122:123], v[136:137] op_sel:[0,0,1] op_sel_hi:[1,0,0]
	v_mov_b32_e32 v139, v133
	v_pk_mul_f32 v[132:133], v[134:135], v[124:125] op_sel:[0,1]
	s_delay_alu instid0(VALU_DEP_1) | instskip(SKIP_1) | instid1(VALU_DEP_1)
	v_pk_fma_f32 v[136:137], v[134:135], v[122:123], v[132:133] op_sel:[0,0,1] op_sel_hi:[1,1,0] neg_lo:[0,0,1] neg_hi:[0,0,1]
	v_pk_fma_f32 v[132:133], v[134:135], v[122:123], v[132:133] op_sel:[0,0,1] op_sel_hi:[1,0,0]
	v_mov_b32_e32 v137, v133
	ds_load_2addr_b64 v[132:135], v126 offset0:43 offset1:44
	v_pk_add_f32 v[24:25], v[24:25], v[138:139] neg_lo:[0,1] neg_hi:[0,1]
	v_pk_add_f32 v[26:27], v[26:27], v[136:137] neg_lo:[0,1] neg_hi:[0,1]
	s_wait_dscnt 0x0
	v_dual_mul_f32 v136, v133, v125 :: v_dual_mul_f32 v138, v133, v122
	s_delay_alu instid0(VALU_DEP_1) | instskip(NEXT) | instid1(VALU_DEP_2)
	v_pk_fma_f32 v[136:137], v[132:133], v[100:101], v[136:137] op_sel_hi:[1,1,0] neg_lo:[0,0,1] neg_hi:[0,0,1]
	v_pk_fma_f32 v[132:133], v[132:133], v[100:101], v[138:139] op_sel:[1,0,0] op_sel_hi:[0,1,0]
	s_delay_alu instid0(VALU_DEP_1) | instskip(SKIP_1) | instid1(VALU_DEP_2)
	v_mov_b32_e32 v137, v133
	v_pk_mul_f32 v[132:133], v[134:135], v[124:125] op_sel:[0,1]
	v_pk_add_f32 v[22:23], v[22:23], v[136:137] neg_lo:[0,1] neg_hi:[0,1]
	s_delay_alu instid0(VALU_DEP_2) | instskip(SKIP_1) | instid1(VALU_DEP_1)
	v_pk_fma_f32 v[136:137], v[134:135], v[122:123], v[132:133] op_sel:[0,0,1] op_sel_hi:[1,1,0] neg_lo:[0,0,1] neg_hi:[0,0,1]
	v_pk_fma_f32 v[132:133], v[134:135], v[122:123], v[132:133] op_sel:[0,0,1] op_sel_hi:[1,0,0]
	v_mov_b32_e32 v137, v133
	ds_load_2addr_b64 v[132:135], v126 offset0:45 offset1:46
	v_pk_add_f32 v[88:89], v[88:89], v[136:137] neg_lo:[0,1] neg_hi:[0,1]
	s_wait_dscnt 0x0
	v_pk_mul_f32 v[136:137], v[132:133], v[124:125] op_sel:[0,1]
	s_delay_alu instid0(VALU_DEP_1) | instskip(SKIP_1) | instid1(VALU_DEP_1)
	v_pk_fma_f32 v[138:139], v[132:133], v[122:123], v[136:137] op_sel:[0,0,1] op_sel_hi:[1,1,0] neg_lo:[0,0,1] neg_hi:[0,0,1]
	v_pk_fma_f32 v[132:133], v[132:133], v[122:123], v[136:137] op_sel:[0,0,1] op_sel_hi:[1,0,0]
	v_mov_b32_e32 v139, v133
	v_pk_mul_f32 v[132:133], v[134:135], v[124:125] op_sel:[0,1]
	s_delay_alu instid0(VALU_DEP_2) | instskip(NEXT) | instid1(VALU_DEP_2)
	v_pk_add_f32 v[18:19], v[18:19], v[138:139] neg_lo:[0,1] neg_hi:[0,1]
	v_pk_fma_f32 v[136:137], v[134:135], v[122:123], v[132:133] op_sel:[0,0,1] op_sel_hi:[1,1,0] neg_lo:[0,0,1] neg_hi:[0,0,1]
	v_pk_fma_f32 v[132:133], v[134:135], v[122:123], v[132:133] op_sel:[0,0,1] op_sel_hi:[1,0,0]
	s_delay_alu instid0(VALU_DEP_1) | instskip(SKIP_4) | instid1(VALU_DEP_1)
	v_mov_b32_e32 v137, v133
	ds_load_2addr_b64 v[132:135], v126 offset0:47 offset1:48
	v_pk_add_f32 v[20:21], v[20:21], v[136:137] neg_lo:[0,1] neg_hi:[0,1]
	s_wait_dscnt 0x0
	v_pk_mul_f32 v[136:137], v[132:133], v[124:125] op_sel:[0,1]
	v_pk_fma_f32 v[138:139], v[132:133], v[122:123], v[136:137] op_sel:[0,0,1] op_sel_hi:[1,1,0] neg_lo:[0,0,1] neg_hi:[0,0,1]
	v_pk_fma_f32 v[132:133], v[132:133], v[122:123], v[136:137] op_sel:[0,0,1] op_sel_hi:[1,0,0]
	v_dual_mul_f32 v136, v135, v125 :: v_dual_mov_b32 v132, v135
	s_delay_alu instid0(VALU_DEP_2) | instskip(NEXT) | instid1(VALU_DEP_2)
	v_dual_mov_b32 v139, v133 :: v_dual_mov_b32 v133, v134
	v_pk_fma_f32 v[136:137], v[134:135], v[100:101], v[136:137] op_sel_hi:[1,1,0] neg_lo:[0,0,1] neg_hi:[0,0,1]
	v_mul_f32_e32 v134, v135, v122
	s_delay_alu instid0(VALU_DEP_3) | instskip(NEXT) | instid1(VALU_DEP_2)
	v_pk_add_f32 v[16:17], v[16:17], v[138:139] neg_lo:[0,1] neg_hi:[0,1]
	v_pk_fma_f32 v[132:133], v[132:133], v[100:101], v[134:135] op_sel_hi:[1,1,0]
	s_delay_alu instid0(VALU_DEP_1) | instskip(SKIP_4) | instid1(VALU_DEP_1)
	v_mov_b32_e32 v137, v133
	ds_load_2addr_b64 v[132:135], v126 offset0:49 offset1:50
	v_pk_add_f32 v[84:85], v[84:85], v[136:137] neg_lo:[0,1] neg_hi:[0,1]
	s_wait_dscnt 0x0
	v_pk_mul_f32 v[136:137], v[132:133], v[124:125] op_sel:[0,1]
	v_pk_fma_f32 v[138:139], v[132:133], v[122:123], v[136:137] op_sel:[0,0,1] op_sel_hi:[1,1,0] neg_lo:[0,0,1] neg_hi:[0,0,1]
	v_pk_fma_f32 v[132:133], v[132:133], v[122:123], v[136:137] op_sel:[0,0,1] op_sel_hi:[1,0,0]
	s_delay_alu instid0(VALU_DEP_1) | instskip(SKIP_1) | instid1(VALU_DEP_1)
	v_mov_b32_e32 v139, v133
	v_pk_mul_f32 v[132:133], v[134:135], v[124:125] op_sel:[0,1]
	v_pk_fma_f32 v[136:137], v[134:135], v[122:123], v[132:133] op_sel:[0,0,1] op_sel_hi:[1,1,0] neg_lo:[0,0,1] neg_hi:[0,0,1]
	v_pk_fma_f32 v[132:133], v[134:135], v[122:123], v[132:133] op_sel:[0,0,1] op_sel_hi:[1,0,0]
	s_delay_alu instid0(VALU_DEP_1)
	v_mov_b32_e32 v137, v133
	ds_load_2addr_b64 v[132:135], v126 offset0:51 offset1:52
	v_pk_add_f32 v[10:11], v[10:11], v[138:139] neg_lo:[0,1] neg_hi:[0,1]
	v_pk_add_f32 v[12:13], v[12:13], v[136:137] neg_lo:[0,1] neg_hi:[0,1]
	s_wait_dscnt 0x0
	v_pk_mul_f32 v[136:137], v[132:133], v[124:125] op_sel:[0,1]
	s_delay_alu instid0(VALU_DEP_1) | instskip(SKIP_1) | instid1(VALU_DEP_1)
	v_pk_fma_f32 v[138:139], v[132:133], v[122:123], v[136:137] op_sel:[0,0,1] op_sel_hi:[1,1,0] neg_lo:[0,0,1] neg_hi:[0,0,1]
	v_pk_fma_f32 v[132:133], v[132:133], v[122:123], v[136:137] op_sel:[0,0,1] op_sel_hi:[1,0,0]
	v_mov_b32_e32 v139, v133
	v_pk_mul_f32 v[132:133], v[134:135], v[124:125] op_sel:[0,1]
	s_delay_alu instid0(VALU_DEP_1) | instskip(SKIP_1) | instid1(VALU_DEP_1)
	v_pk_fma_f32 v[136:137], v[134:135], v[122:123], v[132:133] op_sel:[0,0,1] op_sel_hi:[1,1,0] neg_lo:[0,0,1] neg_hi:[0,0,1]
	v_pk_fma_f32 v[132:133], v[134:135], v[122:123], v[132:133] op_sel:[0,0,1] op_sel_hi:[1,0,0]
	v_mov_b32_e32 v137, v133
	ds_load_2addr_b64 v[132:135], v126 offset0:53 offset1:54
	v_pk_add_f32 v[8:9], v[8:9], v[138:139] neg_lo:[0,1] neg_hi:[0,1]
	v_pk_add_f32 v[60:61], v[60:61], v[136:137] neg_lo:[0,1] neg_hi:[0,1]
	s_wait_dscnt 0x0
	v_dual_mul_f32 v136, v133, v125 :: v_dual_mul_f32 v138, v133, v122
	s_delay_alu instid0(VALU_DEP_1) | instskip(NEXT) | instid1(VALU_DEP_2)
	v_pk_fma_f32 v[136:137], v[132:133], v[100:101], v[136:137] op_sel_hi:[1,1,0] neg_lo:[0,0,1] neg_hi:[0,0,1]
	v_pk_fma_f32 v[132:133], v[132:133], v[100:101], v[138:139] op_sel:[1,0,0] op_sel_hi:[0,1,0]
	s_delay_alu instid0(VALU_DEP_1) | instskip(SKIP_1) | instid1(VALU_DEP_2)
	v_mov_b32_e32 v137, v133
	v_pk_mul_f32 v[132:133], v[134:135], v[124:125] op_sel:[0,1]
	v_pk_add_f32 v[6:7], v[6:7], v[136:137] neg_lo:[0,1] neg_hi:[0,1]
	s_delay_alu instid0(VALU_DEP_2) | instskip(SKIP_1) | instid1(VALU_DEP_1)
	v_pk_fma_f32 v[136:137], v[134:135], v[122:123], v[132:133] op_sel:[0,0,1] op_sel_hi:[1,1,0] neg_lo:[0,0,1] neg_hi:[0,0,1]
	v_pk_fma_f32 v[132:133], v[134:135], v[122:123], v[132:133] op_sel:[0,0,1] op_sel_hi:[1,0,0]
	v_mov_b32_e32 v137, v133
	ds_load_2addr_b64 v[132:135], v126 offset0:55 offset1:56
	v_pk_add_f32 v[42:43], v[42:43], v[136:137] neg_lo:[0,1] neg_hi:[0,1]
	s_wait_dscnt 0x0
	v_pk_mul_f32 v[136:137], v[132:133], v[124:125] op_sel:[0,1]
	s_delay_alu instid0(VALU_DEP_1) | instskip(SKIP_1) | instid1(VALU_DEP_1)
	v_pk_fma_f32 v[138:139], v[132:133], v[122:123], v[136:137] op_sel:[0,0,1] op_sel_hi:[1,1,0] neg_lo:[0,0,1] neg_hi:[0,0,1]
	v_pk_fma_f32 v[132:133], v[132:133], v[122:123], v[136:137] op_sel:[0,0,1] op_sel_hi:[1,0,0]
	v_mov_b32_e32 v139, v133
	v_pk_mul_f32 v[132:133], v[134:135], v[124:125] op_sel:[0,1]
	s_delay_alu instid0(VALU_DEP_2) | instskip(NEXT) | instid1(VALU_DEP_2)
	v_pk_add_f32 v[28:29], v[28:29], v[138:139] neg_lo:[0,1] neg_hi:[0,1]
	v_pk_fma_f32 v[136:137], v[134:135], v[122:123], v[132:133] op_sel:[0,0,1] op_sel_hi:[1,1,0] neg_lo:[0,0,1] neg_hi:[0,0,1]
	v_pk_fma_f32 v[132:133], v[134:135], v[122:123], v[132:133] op_sel:[0,0,1] op_sel_hi:[1,0,0]
	s_delay_alu instid0(VALU_DEP_1) | instskip(SKIP_4) | instid1(VALU_DEP_1)
	v_mov_b32_e32 v137, v133
	ds_load_b64 v[132:133], v126 offset:456
	v_pk_add_f32 v[14:15], v[14:15], v[136:137] neg_lo:[0,1] neg_hi:[0,1]
	s_wait_dscnt 0x0
	v_pk_mul_f32 v[124:125], v[132:133], v[124:125] op_sel:[0,1]
	v_pk_fma_f32 v[134:135], v[132:133], v[122:123], v[124:125] op_sel:[0,0,1] op_sel_hi:[1,1,0] neg_lo:[0,0,1] neg_hi:[0,0,1]
	v_pk_fma_f32 v[122:123], v[132:133], v[122:123], v[124:125] op_sel:[0,0,1] op_sel_hi:[1,0,0]
	s_delay_alu instid0(VALU_DEP_1) | instskip(NEXT) | instid1(VALU_DEP_1)
	v_mov_b32_e32 v135, v123
	v_pk_add_f32 v[120:121], v[120:121], v[134:135] neg_lo:[0,1] neg_hi:[0,1]
.LBB114_524:
	s_or_b32 exec_lo, exec_lo, s0
	v_lshl_add_u32 v122, v130, 3, v126
	s_barrier_signal -1
	s_barrier_wait -1
	ds_store_b64 v122, v[52:53]
	s_wait_dscnt 0x0
	s_barrier_signal -1
	s_barrier_wait -1
	ds_load_b64 v[124:125], v126 offset:200
	v_mov_b32_e32 v122, 25
	s_cmp_lt_i32 s18, 27
	s_cbranch_scc1 .LBB114_527
; %bb.525:
	v_add3_u32 v123, v127, 0, 0xd0
	v_mov_b32_e32 v122, 25
	s_mov_b32 s0, 26
.LBB114_526:                            ; =>This Inner Loop Header: Depth=1
	ds_load_b64 v[132:133], v123
	s_wait_dscnt 0x1
	v_cmp_gt_f32_e32 vcc_lo, 0, v124
	v_cndmask_b32_e64 v134, v124, -v124, vcc_lo
	v_cmp_gt_f32_e32 vcc_lo, 0, v125
	v_cndmask_b32_e64 v136, v125, -v125, vcc_lo
	s_wait_dscnt 0x0
	v_cmp_gt_f32_e32 vcc_lo, 0, v132
	v_cndmask_b32_e64 v135, v132, -v132, vcc_lo
	v_cmp_gt_f32_e32 vcc_lo, 0, v133
	v_cndmask_b32_e64 v137, v133, -v133, vcc_lo
	s_delay_alu instid0(VALU_DEP_1) | instskip(NEXT) | instid1(VALU_DEP_1)
	v_pk_add_f32 v[134:135], v[134:135], v[136:137]
	v_cmp_lt_f32_e32 vcc_lo, v134, v135
	v_dual_add_nc_u32 v123, 8, v123 :: v_dual_cndmask_b32 v125, v125, v133, vcc_lo
	v_cndmask_b32_e32 v124, v124, v132, vcc_lo
	v_cndmask_b32_e64 v122, v122, s0, vcc_lo
	s_add_co_i32 s0, s0, 1
	s_delay_alu instid0(SALU_CYCLE_1)
	s_cmp_lg_u32 s18, s0
	s_cbranch_scc1 .LBB114_526
.LBB114_527:
	s_wait_dscnt 0x0
	v_cmp_eq_f32_e32 vcc_lo, 0, v124
	v_cmp_eq_f32_e64 s0, 0, v125
	s_and_b32 s0, vcc_lo, s0
	s_delay_alu instid0(SALU_CYCLE_1) | instskip(NEXT) | instid1(SALU_CYCLE_1)
	s_and_saveexec_b32 s1, s0
	s_xor_b32 s0, exec_lo, s1
; %bb.528:
	v_cmp_ne_u32_e32 vcc_lo, 0, v128
	v_cndmask_b32_e32 v128, 26, v128, vcc_lo
; %bb.529:
	s_and_not1_saveexec_b32 s0, s0
	s_cbranch_execz .LBB114_535
; %bb.530:
	v_cmp_ngt_f32_e64 s1, |v124|, |v125|
	s_and_saveexec_b32 s12, s1
	s_delay_alu instid0(SALU_CYCLE_1)
	s_xor_b32 s1, exec_lo, s12
	s_cbranch_execz .LBB114_532
; %bb.531:
	v_div_scale_f32 v123, null, v125, v125, v124
	v_div_scale_f32 v133, vcc_lo, v124, v125, v124
	s_delay_alu instid0(VALU_DEP_2) | instskip(SKIP_1) | instid1(TRANS32_DEP_1)
	v_rcp_f32_e32 v131, v123
	v_nop
	v_fma_f32 v132, -v123, v131, 1.0
	s_delay_alu instid0(VALU_DEP_1) | instskip(NEXT) | instid1(VALU_DEP_1)
	v_fmac_f32_e32 v131, v132, v131
	v_mul_f32_e32 v132, v133, v131
	s_delay_alu instid0(VALU_DEP_1) | instskip(NEXT) | instid1(VALU_DEP_1)
	v_fma_f32 v134, -v123, v132, v133
	v_fmac_f32_e32 v132, v134, v131
	s_delay_alu instid0(VALU_DEP_1) | instskip(NEXT) | instid1(VALU_DEP_1)
	v_fma_f32 v123, -v123, v132, v133
	v_div_fmas_f32 v123, v123, v131, v132
	s_delay_alu instid0(VALU_DEP_1) | instskip(NEXT) | instid1(VALU_DEP_1)
	v_div_fixup_f32 v123, v123, v125, v124
	v_fmac_f32_e32 v125, v124, v123
	s_delay_alu instid0(VALU_DEP_1) | instskip(SKIP_1) | instid1(VALU_DEP_2)
	v_div_scale_f32 v124, null, v125, v125, 1.0
	v_div_scale_f32 v133, vcc_lo, 1.0, v125, 1.0
	v_rcp_f32_e32 v131, v124
	v_nop
	s_delay_alu instid0(TRANS32_DEP_1) | instskip(NEXT) | instid1(VALU_DEP_1)
	v_fma_f32 v132, -v124, v131, 1.0
	v_fmac_f32_e32 v131, v132, v131
	s_delay_alu instid0(VALU_DEP_1) | instskip(NEXT) | instid1(VALU_DEP_1)
	v_mul_f32_e32 v132, v133, v131
	v_fma_f32 v134, -v124, v132, v133
	s_delay_alu instid0(VALU_DEP_1) | instskip(NEXT) | instid1(VALU_DEP_1)
	v_fmac_f32_e32 v132, v134, v131
	v_fma_f32 v124, -v124, v132, v133
	s_delay_alu instid0(VALU_DEP_1) | instskip(NEXT) | instid1(VALU_DEP_1)
	v_div_fmas_f32 v124, v124, v131, v132
	v_div_fixup_f32 v125, v124, v125, 1.0
	s_delay_alu instid0(VALU_DEP_1)
	v_mul_f32_e32 v124, v123, v125
	v_xor_b32_e32 v125, 0x80000000, v125
.LBB114_532:
	s_and_not1_saveexec_b32 s1, s1
	s_cbranch_execz .LBB114_534
; %bb.533:
	s_delay_alu instid0(VALU_DEP_1) | instskip(SKIP_1) | instid1(VALU_DEP_2)
	v_div_scale_f32 v123, null, v124, v124, v125
	v_div_scale_f32 v133, vcc_lo, v125, v124, v125
	v_rcp_f32_e32 v131, v123
	v_nop
	s_delay_alu instid0(TRANS32_DEP_1) | instskip(NEXT) | instid1(VALU_DEP_1)
	v_fma_f32 v132, -v123, v131, 1.0
	v_fmac_f32_e32 v131, v132, v131
	s_delay_alu instid0(VALU_DEP_1) | instskip(NEXT) | instid1(VALU_DEP_1)
	v_mul_f32_e32 v132, v133, v131
	v_fma_f32 v134, -v123, v132, v133
	s_delay_alu instid0(VALU_DEP_1) | instskip(NEXT) | instid1(VALU_DEP_1)
	v_fmac_f32_e32 v132, v134, v131
	v_fma_f32 v123, -v123, v132, v133
	s_delay_alu instid0(VALU_DEP_1) | instskip(NEXT) | instid1(VALU_DEP_1)
	v_div_fmas_f32 v123, v123, v131, v132
	v_div_fixup_f32 v123, v123, v124, v125
	s_delay_alu instid0(VALU_DEP_1) | instskip(NEXT) | instid1(VALU_DEP_1)
	v_fmac_f32_e32 v124, v125, v123
	v_div_scale_f32 v125, null, v124, v124, 1.0
	s_delay_alu instid0(VALU_DEP_1) | instskip(SKIP_1) | instid1(TRANS32_DEP_1)
	v_rcp_f32_e32 v131, v125
	v_nop
	v_fma_f32 v132, -v125, v131, 1.0
	s_delay_alu instid0(VALU_DEP_1) | instskip(SKIP_1) | instid1(VALU_DEP_1)
	v_fmac_f32_e32 v131, v132, v131
	v_div_scale_f32 v132, vcc_lo, 1.0, v124, 1.0
	v_mul_f32_e32 v133, v132, v131
	s_delay_alu instid0(VALU_DEP_1) | instskip(NEXT) | instid1(VALU_DEP_1)
	v_fma_f32 v134, -v125, v133, v132
	v_fmac_f32_e32 v133, v134, v131
	s_delay_alu instid0(VALU_DEP_1) | instskip(NEXT) | instid1(VALU_DEP_1)
	v_fma_f32 v125, -v125, v133, v132
	v_div_fmas_f32 v125, v125, v131, v133
	s_delay_alu instid0(VALU_DEP_1) | instskip(NEXT) | instid1(VALU_DEP_1)
	v_div_fixup_f32 v124, v125, v124, 1.0
	v_mul_f32_e64 v125, v123, -v124
.LBB114_534:
	s_or_b32 exec_lo, exec_lo, s1
.LBB114_535:
	s_delay_alu instid0(SALU_CYCLE_1) | instskip(NEXT) | instid1(SALU_CYCLE_1)
	s_or_b32 exec_lo, exec_lo, s0
	s_mov_b32 s0, exec_lo
	v_cmpx_ne_u32_e64 v130, v122
	s_xor_b32 s0, exec_lo, s0
	s_cbranch_execz .LBB114_541
; %bb.536:
	s_mov_b32 s1, exec_lo
	v_cmpx_eq_u32_e32 25, v130
	s_cbranch_execz .LBB114_540
; %bb.537:
	v_cmp_ne_u32_e32 vcc_lo, 25, v122
	s_xor_b32 s12, s16, -1
	s_delay_alu instid0(SALU_CYCLE_1) | instskip(NEXT) | instid1(SALU_CYCLE_1)
	s_and_b32 s13, s12, vcc_lo
	s_and_saveexec_b32 s12, s13
	s_cbranch_execz .LBB114_539
; %bb.538:
	v_ashrrev_i32_e32 v123, 31, v122
	s_delay_alu instid0(VALU_DEP_1)
	v_lshl_add_u64 v[130:131], v[122:123], 2, v[4:5]
	s_clause 0x1
	global_load_b32 v123, v[130:131], off
	global_load_b32 v129, v[4:5], off offset:100
	s_wait_loadcnt 0x1
	global_store_b32 v[4:5], v123, off offset:100
	s_wait_loadcnt 0x0
	global_store_b32 v[130:131], v129, off
.LBB114_539:
	s_wait_xcnt 0x0
	s_or_b32 exec_lo, exec_lo, s12
	v_dual_mov_b32 v130, v122 :: v_dual_mov_b32 v129, v122
.LBB114_540:
	s_or_b32 exec_lo, exec_lo, s1
.LBB114_541:
	s_and_not1_saveexec_b32 s0, s0
	s_cbranch_execz .LBB114_543
; %bb.542:
	v_dual_mov_b32 v122, v54 :: v_dual_mov_b32 v123, v55
	v_dual_mov_b32 v130, v50 :: v_dual_mov_b32 v131, v51
	ds_store_2addr_b64 v126, v[122:123], v[130:131] offset0:26 offset1:27
	v_dual_mov_b32 v122, v96 :: v_dual_mov_b32 v123, v97
	v_dual_mov_b32 v130, v46 :: v_dual_mov_b32 v131, v47
	ds_store_2addr_b64 v126, v[122:123], v[130:131] offset0:28 offset1:29
	;; [unrolled: 3-line block ×15, first 2 shown]
	v_dual_mov_b32 v122, v14 :: v_dual_mov_b32 v123, v15
	v_mov_b32_e32 v130, 25
	ds_store_2addr_b64 v126, v[122:123], v[120:121] offset0:56 offset1:57
.LBB114_543:
	s_or_b32 exec_lo, exec_lo, s0
	s_delay_alu instid0(SALU_CYCLE_1)
	s_mov_b32 s0, exec_lo
	s_wait_storecnt_dscnt 0x0
	s_barrier_signal -1
	s_barrier_wait -1
	v_cmpx_lt_i32_e32 25, v130
	s_cbranch_execz .LBB114_545
; %bb.544:
	v_pk_mul_f32 v[132:133], v[124:125], v[52:53] op_sel:[1,1] op_sel_hi:[0,1]
	s_delay_alu instid0(VALU_DEP_1)
	v_pk_fma_f32 v[122:123], v[124:125], v[52:53], v[132:133] op_sel_hi:[1,0,1] neg_lo:[0,0,1] neg_hi:[0,0,1]
	v_pk_fma_f32 v[124:125], v[124:125], v[52:53], v[132:133] op_sel_hi:[1,0,1]
	ds_load_2addr_b64 v[132:135], v126 offset0:26 offset1:27
	v_dual_mov_b32 v52, v122 :: v_dual_mov_b32 v53, v125
	s_wait_dscnt 0x0
	v_pk_mul_f32 v[136:137], v[132:133], v[124:125] op_sel:[0,1]
	s_delay_alu instid0(VALU_DEP_1) | instskip(SKIP_1) | instid1(VALU_DEP_1)
	v_pk_fma_f32 v[138:139], v[132:133], v[122:123], v[136:137] op_sel:[0,0,1] op_sel_hi:[1,1,0] neg_lo:[0,0,1] neg_hi:[0,0,1]
	v_pk_fma_f32 v[132:133], v[132:133], v[122:123], v[136:137] op_sel:[0,0,1] op_sel_hi:[1,0,0]
	v_mov_b32_e32 v139, v133
	v_pk_mul_f32 v[132:133], v[134:135], v[124:125] op_sel:[0,1]
	s_delay_alu instid0(VALU_DEP_1) | instskip(SKIP_1) | instid1(VALU_DEP_1)
	v_pk_fma_f32 v[136:137], v[134:135], v[122:123], v[132:133] op_sel:[0,0,1] op_sel_hi:[1,1,0] neg_lo:[0,0,1] neg_hi:[0,0,1]
	v_pk_fma_f32 v[132:133], v[134:135], v[122:123], v[132:133] op_sel:[0,0,1] op_sel_hi:[1,0,0]
	v_mov_b32_e32 v137, v133
	ds_load_2addr_b64 v[132:135], v126 offset0:28 offset1:29
	v_pk_add_f32 v[54:55], v[54:55], v[138:139] neg_lo:[0,1] neg_hi:[0,1]
	v_pk_add_f32 v[50:51], v[50:51], v[136:137] neg_lo:[0,1] neg_hi:[0,1]
	s_wait_dscnt 0x0
	v_pk_mul_f32 v[136:137], v[132:133], v[124:125] op_sel:[0,1]
	s_delay_alu instid0(VALU_DEP_1) | instskip(SKIP_2) | instid1(VALU_DEP_2)
	v_pk_fma_f32 v[138:139], v[132:133], v[122:123], v[136:137] op_sel:[0,0,1] op_sel_hi:[1,1,0] neg_lo:[0,0,1] neg_hi:[0,0,1]
	v_pk_fma_f32 v[132:133], v[132:133], v[122:123], v[136:137] op_sel:[0,0,1] op_sel_hi:[1,0,0]
	v_dual_mul_f32 v136, v135, v125 :: v_dual_mov_b32 v132, v135
	v_dual_mov_b32 v139, v133 :: v_dual_mov_b32 v133, v134
	s_delay_alu instid0(VALU_DEP_2) | instskip(SKIP_1) | instid1(VALU_DEP_3)
	v_pk_fma_f32 v[136:137], v[134:135], v[52:53], v[136:137] op_sel_hi:[1,1,0] neg_lo:[0,0,1] neg_hi:[0,0,1]
	v_mul_f32_e32 v134, v135, v122
	v_pk_add_f32 v[96:97], v[96:97], v[138:139] neg_lo:[0,1] neg_hi:[0,1]
	s_delay_alu instid0(VALU_DEP_2) | instskip(NEXT) | instid1(VALU_DEP_1)
	v_pk_fma_f32 v[132:133], v[132:133], v[52:53], v[134:135] op_sel_hi:[1,1,0]
	v_mov_b32_e32 v137, v133
	ds_load_2addr_b64 v[132:135], v126 offset0:30 offset1:31
	v_pk_add_f32 v[46:47], v[46:47], v[136:137] neg_lo:[0,1] neg_hi:[0,1]
	s_wait_dscnt 0x0
	v_pk_mul_f32 v[136:137], v[132:133], v[124:125] op_sel:[0,1]
	s_delay_alu instid0(VALU_DEP_1) | instskip(SKIP_1) | instid1(VALU_DEP_1)
	v_pk_fma_f32 v[138:139], v[132:133], v[122:123], v[136:137] op_sel:[0,0,1] op_sel_hi:[1,1,0] neg_lo:[0,0,1] neg_hi:[0,0,1]
	v_pk_fma_f32 v[132:133], v[132:133], v[122:123], v[136:137] op_sel:[0,0,1] op_sel_hi:[1,0,0]
	v_mov_b32_e32 v139, v133
	v_pk_mul_f32 v[132:133], v[134:135], v[124:125] op_sel:[0,1]
	s_delay_alu instid0(VALU_DEP_1) | instskip(SKIP_1) | instid1(VALU_DEP_1)
	v_pk_fma_f32 v[136:137], v[134:135], v[122:123], v[132:133] op_sel:[0,0,1] op_sel_hi:[1,1,0] neg_lo:[0,0,1] neg_hi:[0,0,1]
	v_pk_fma_f32 v[132:133], v[134:135], v[122:123], v[132:133] op_sel:[0,0,1] op_sel_hi:[1,0,0]
	v_mov_b32_e32 v137, v133
	ds_load_2addr_b64 v[132:135], v126 offset0:32 offset1:33
	v_pk_add_f32 v[48:49], v[48:49], v[138:139] neg_lo:[0,1] neg_hi:[0,1]
	v_pk_add_f32 v[44:45], v[44:45], v[136:137] neg_lo:[0,1] neg_hi:[0,1]
	s_wait_dscnt 0x0
	v_pk_mul_f32 v[136:137], v[132:133], v[124:125] op_sel:[0,1]
	s_delay_alu instid0(VALU_DEP_1) | instskip(SKIP_1) | instid1(VALU_DEP_1)
	v_pk_fma_f32 v[138:139], v[132:133], v[122:123], v[136:137] op_sel:[0,0,1] op_sel_hi:[1,1,0] neg_lo:[0,0,1] neg_hi:[0,0,1]
	v_pk_fma_f32 v[132:133], v[132:133], v[122:123], v[136:137] op_sel:[0,0,1] op_sel_hi:[1,0,0]
	v_mov_b32_e32 v139, v133
	v_pk_mul_f32 v[132:133], v[134:135], v[124:125] op_sel:[0,1]
	s_delay_alu instid0(VALU_DEP_1) | instskip(SKIP_1) | instid1(VALU_DEP_1)
	v_pk_fma_f32 v[136:137], v[134:135], v[122:123], v[132:133] op_sel:[0,0,1] op_sel_hi:[1,1,0] neg_lo:[0,0,1] neg_hi:[0,0,1]
	v_pk_fma_f32 v[132:133], v[134:135], v[122:123], v[132:133] op_sel:[0,0,1] op_sel_hi:[1,0,0]
	v_mov_b32_e32 v137, v133
	ds_load_2addr_b64 v[132:135], v126 offset0:34 offset1:35
	v_pk_add_f32 v[94:95], v[94:95], v[138:139] neg_lo:[0,1] neg_hi:[0,1]
	v_pk_add_f32 v[38:39], v[38:39], v[136:137] neg_lo:[0,1] neg_hi:[0,1]
	s_wait_dscnt 0x0
	v_dual_mul_f32 v136, v133, v125 :: v_dual_mul_f32 v138, v133, v122
	s_delay_alu instid0(VALU_DEP_1) | instskip(NEXT) | instid1(VALU_DEP_2)
	v_pk_fma_f32 v[136:137], v[132:133], v[52:53], v[136:137] op_sel_hi:[1,1,0] neg_lo:[0,0,1] neg_hi:[0,0,1]
	v_pk_fma_f32 v[132:133], v[132:133], v[52:53], v[138:139] op_sel:[1,0,0] op_sel_hi:[0,1,0]
	s_delay_alu instid0(VALU_DEP_1) | instskip(SKIP_1) | instid1(VALU_DEP_2)
	v_mov_b32_e32 v137, v133
	v_pk_mul_f32 v[132:133], v[134:135], v[124:125] op_sel:[0,1]
	v_pk_add_f32 v[40:41], v[40:41], v[136:137] neg_lo:[0,1] neg_hi:[0,1]
	s_delay_alu instid0(VALU_DEP_2) | instskip(SKIP_1) | instid1(VALU_DEP_1)
	v_pk_fma_f32 v[136:137], v[134:135], v[122:123], v[132:133] op_sel:[0,0,1] op_sel_hi:[1,1,0] neg_lo:[0,0,1] neg_hi:[0,0,1]
	v_pk_fma_f32 v[132:133], v[134:135], v[122:123], v[132:133] op_sel:[0,0,1] op_sel_hi:[1,0,0]
	v_mov_b32_e32 v137, v133
	ds_load_2addr_b64 v[132:135], v126 offset0:36 offset1:37
	v_pk_add_f32 v[36:37], v[36:37], v[136:137] neg_lo:[0,1] neg_hi:[0,1]
	s_wait_dscnt 0x0
	v_pk_mul_f32 v[136:137], v[132:133], v[124:125] op_sel:[0,1]
	s_delay_alu instid0(VALU_DEP_1) | instskip(SKIP_1) | instid1(VALU_DEP_1)
	v_pk_fma_f32 v[138:139], v[132:133], v[122:123], v[136:137] op_sel:[0,0,1] op_sel_hi:[1,1,0] neg_lo:[0,0,1] neg_hi:[0,0,1]
	v_pk_fma_f32 v[132:133], v[132:133], v[122:123], v[136:137] op_sel:[0,0,1] op_sel_hi:[1,0,0]
	v_mov_b32_e32 v139, v133
	v_pk_mul_f32 v[132:133], v[134:135], v[124:125] op_sel:[0,1]
	s_delay_alu instid0(VALU_DEP_2) | instskip(NEXT) | instid1(VALU_DEP_2)
	v_pk_add_f32 v[92:93], v[92:93], v[138:139] neg_lo:[0,1] neg_hi:[0,1]
	v_pk_fma_f32 v[136:137], v[134:135], v[122:123], v[132:133] op_sel:[0,0,1] op_sel_hi:[1,1,0] neg_lo:[0,0,1] neg_hi:[0,0,1]
	v_pk_fma_f32 v[132:133], v[134:135], v[122:123], v[132:133] op_sel:[0,0,1] op_sel_hi:[1,0,0]
	s_delay_alu instid0(VALU_DEP_1) | instskip(SKIP_4) | instid1(VALU_DEP_1)
	v_mov_b32_e32 v137, v133
	ds_load_2addr_b64 v[132:135], v126 offset0:38 offset1:39
	v_pk_add_f32 v[32:33], v[32:33], v[136:137] neg_lo:[0,1] neg_hi:[0,1]
	s_wait_dscnt 0x0
	v_pk_mul_f32 v[136:137], v[132:133], v[124:125] op_sel:[0,1]
	v_pk_fma_f32 v[138:139], v[132:133], v[122:123], v[136:137] op_sel:[0,0,1] op_sel_hi:[1,1,0] neg_lo:[0,0,1] neg_hi:[0,0,1]
	v_pk_fma_f32 v[132:133], v[132:133], v[122:123], v[136:137] op_sel:[0,0,1] op_sel_hi:[1,0,0]
	v_dual_mul_f32 v136, v135, v125 :: v_dual_mov_b32 v132, v135
	s_delay_alu instid0(VALU_DEP_2) | instskip(NEXT) | instid1(VALU_DEP_2)
	v_dual_mov_b32 v139, v133 :: v_dual_mov_b32 v133, v134
	v_pk_fma_f32 v[136:137], v[134:135], v[52:53], v[136:137] op_sel_hi:[1,1,0] neg_lo:[0,0,1] neg_hi:[0,0,1]
	v_mul_f32_e32 v134, v135, v122
	s_delay_alu instid0(VALU_DEP_3) | instskip(NEXT) | instid1(VALU_DEP_2)
	v_pk_add_f32 v[34:35], v[34:35], v[138:139] neg_lo:[0,1] neg_hi:[0,1]
	v_pk_fma_f32 v[132:133], v[132:133], v[52:53], v[134:135] op_sel_hi:[1,1,0]
	s_delay_alu instid0(VALU_DEP_1) | instskip(SKIP_4) | instid1(VALU_DEP_1)
	v_mov_b32_e32 v137, v133
	ds_load_2addr_b64 v[132:135], v126 offset0:40 offset1:41
	v_pk_add_f32 v[30:31], v[30:31], v[136:137] neg_lo:[0,1] neg_hi:[0,1]
	s_wait_dscnt 0x0
	v_pk_mul_f32 v[136:137], v[132:133], v[124:125] op_sel:[0,1]
	v_pk_fma_f32 v[138:139], v[132:133], v[122:123], v[136:137] op_sel:[0,0,1] op_sel_hi:[1,1,0] neg_lo:[0,0,1] neg_hi:[0,0,1]
	v_pk_fma_f32 v[132:133], v[132:133], v[122:123], v[136:137] op_sel:[0,0,1] op_sel_hi:[1,0,0]
	s_delay_alu instid0(VALU_DEP_1) | instskip(SKIP_1) | instid1(VALU_DEP_1)
	v_mov_b32_e32 v139, v133
	v_pk_mul_f32 v[132:133], v[134:135], v[124:125] op_sel:[0,1]
	v_pk_fma_f32 v[136:137], v[134:135], v[122:123], v[132:133] op_sel:[0,0,1] op_sel_hi:[1,1,0] neg_lo:[0,0,1] neg_hi:[0,0,1]
	v_pk_fma_f32 v[132:133], v[134:135], v[122:123], v[132:133] op_sel:[0,0,1] op_sel_hi:[1,0,0]
	s_delay_alu instid0(VALU_DEP_1)
	v_mov_b32_e32 v137, v133
	ds_load_2addr_b64 v[132:135], v126 offset0:42 offset1:43
	v_pk_add_f32 v[90:91], v[90:91], v[138:139] neg_lo:[0,1] neg_hi:[0,1]
	v_pk_add_f32 v[24:25], v[24:25], v[136:137] neg_lo:[0,1] neg_hi:[0,1]
	s_wait_dscnt 0x0
	v_pk_mul_f32 v[136:137], v[132:133], v[124:125] op_sel:[0,1]
	s_delay_alu instid0(VALU_DEP_1) | instskip(SKIP_1) | instid1(VALU_DEP_1)
	v_pk_fma_f32 v[138:139], v[132:133], v[122:123], v[136:137] op_sel:[0,0,1] op_sel_hi:[1,1,0] neg_lo:[0,0,1] neg_hi:[0,0,1]
	v_pk_fma_f32 v[132:133], v[132:133], v[122:123], v[136:137] op_sel:[0,0,1] op_sel_hi:[1,0,0]
	v_mov_b32_e32 v139, v133
	v_pk_mul_f32 v[132:133], v[134:135], v[124:125] op_sel:[0,1]
	s_delay_alu instid0(VALU_DEP_1) | instskip(SKIP_1) | instid1(VALU_DEP_1)
	v_pk_fma_f32 v[136:137], v[134:135], v[122:123], v[132:133] op_sel:[0,0,1] op_sel_hi:[1,1,0] neg_lo:[0,0,1] neg_hi:[0,0,1]
	v_pk_fma_f32 v[132:133], v[134:135], v[122:123], v[132:133] op_sel:[0,0,1] op_sel_hi:[1,0,0]
	v_mov_b32_e32 v137, v133
	ds_load_2addr_b64 v[132:135], v126 offset0:44 offset1:45
	v_pk_add_f32 v[26:27], v[26:27], v[138:139] neg_lo:[0,1] neg_hi:[0,1]
	v_pk_add_f32 v[22:23], v[22:23], v[136:137] neg_lo:[0,1] neg_hi:[0,1]
	s_wait_dscnt 0x0
	v_dual_mul_f32 v136, v133, v125 :: v_dual_mul_f32 v138, v133, v122
	s_delay_alu instid0(VALU_DEP_1) | instskip(NEXT) | instid1(VALU_DEP_2)
	v_pk_fma_f32 v[136:137], v[132:133], v[52:53], v[136:137] op_sel_hi:[1,1,0] neg_lo:[0,0,1] neg_hi:[0,0,1]
	v_pk_fma_f32 v[132:133], v[132:133], v[52:53], v[138:139] op_sel:[1,0,0] op_sel_hi:[0,1,0]
	s_delay_alu instid0(VALU_DEP_1) | instskip(SKIP_1) | instid1(VALU_DEP_2)
	v_mov_b32_e32 v137, v133
	v_pk_mul_f32 v[132:133], v[134:135], v[124:125] op_sel:[0,1]
	v_pk_add_f32 v[88:89], v[88:89], v[136:137] neg_lo:[0,1] neg_hi:[0,1]
	s_delay_alu instid0(VALU_DEP_2) | instskip(SKIP_1) | instid1(VALU_DEP_1)
	v_pk_fma_f32 v[136:137], v[134:135], v[122:123], v[132:133] op_sel:[0,0,1] op_sel_hi:[1,1,0] neg_lo:[0,0,1] neg_hi:[0,0,1]
	v_pk_fma_f32 v[132:133], v[134:135], v[122:123], v[132:133] op_sel:[0,0,1] op_sel_hi:[1,0,0]
	v_mov_b32_e32 v137, v133
	ds_load_2addr_b64 v[132:135], v126 offset0:46 offset1:47
	v_pk_add_f32 v[18:19], v[18:19], v[136:137] neg_lo:[0,1] neg_hi:[0,1]
	s_wait_dscnt 0x0
	v_pk_mul_f32 v[136:137], v[132:133], v[124:125] op_sel:[0,1]
	s_delay_alu instid0(VALU_DEP_1) | instskip(SKIP_1) | instid1(VALU_DEP_1)
	v_pk_fma_f32 v[138:139], v[132:133], v[122:123], v[136:137] op_sel:[0,0,1] op_sel_hi:[1,1,0] neg_lo:[0,0,1] neg_hi:[0,0,1]
	v_pk_fma_f32 v[132:133], v[132:133], v[122:123], v[136:137] op_sel:[0,0,1] op_sel_hi:[1,0,0]
	v_mov_b32_e32 v139, v133
	v_pk_mul_f32 v[132:133], v[134:135], v[124:125] op_sel:[0,1]
	s_delay_alu instid0(VALU_DEP_2) | instskip(NEXT) | instid1(VALU_DEP_2)
	v_pk_add_f32 v[20:21], v[20:21], v[138:139] neg_lo:[0,1] neg_hi:[0,1]
	v_pk_fma_f32 v[136:137], v[134:135], v[122:123], v[132:133] op_sel:[0,0,1] op_sel_hi:[1,1,0] neg_lo:[0,0,1] neg_hi:[0,0,1]
	v_pk_fma_f32 v[132:133], v[134:135], v[122:123], v[132:133] op_sel:[0,0,1] op_sel_hi:[1,0,0]
	s_delay_alu instid0(VALU_DEP_1) | instskip(SKIP_4) | instid1(VALU_DEP_1)
	v_mov_b32_e32 v137, v133
	ds_load_2addr_b64 v[132:135], v126 offset0:48 offset1:49
	v_pk_add_f32 v[16:17], v[16:17], v[136:137] neg_lo:[0,1] neg_hi:[0,1]
	s_wait_dscnt 0x0
	v_pk_mul_f32 v[136:137], v[132:133], v[124:125] op_sel:[0,1]
	v_pk_fma_f32 v[138:139], v[132:133], v[122:123], v[136:137] op_sel:[0,0,1] op_sel_hi:[1,1,0] neg_lo:[0,0,1] neg_hi:[0,0,1]
	v_pk_fma_f32 v[132:133], v[132:133], v[122:123], v[136:137] op_sel:[0,0,1] op_sel_hi:[1,0,0]
	v_dual_mul_f32 v136, v135, v125 :: v_dual_mov_b32 v132, v135
	s_delay_alu instid0(VALU_DEP_2) | instskip(NEXT) | instid1(VALU_DEP_2)
	v_dual_mov_b32 v139, v133 :: v_dual_mov_b32 v133, v134
	v_pk_fma_f32 v[136:137], v[134:135], v[52:53], v[136:137] op_sel_hi:[1,1,0] neg_lo:[0,0,1] neg_hi:[0,0,1]
	v_mul_f32_e32 v134, v135, v122
	s_delay_alu instid0(VALU_DEP_3) | instskip(NEXT) | instid1(VALU_DEP_2)
	v_pk_add_f32 v[84:85], v[84:85], v[138:139] neg_lo:[0,1] neg_hi:[0,1]
	v_pk_fma_f32 v[132:133], v[132:133], v[52:53], v[134:135] op_sel_hi:[1,1,0]
	s_delay_alu instid0(VALU_DEP_1) | instskip(SKIP_4) | instid1(VALU_DEP_1)
	v_mov_b32_e32 v137, v133
	ds_load_2addr_b64 v[132:135], v126 offset0:50 offset1:51
	v_pk_add_f32 v[10:11], v[10:11], v[136:137] neg_lo:[0,1] neg_hi:[0,1]
	s_wait_dscnt 0x0
	v_pk_mul_f32 v[136:137], v[132:133], v[124:125] op_sel:[0,1]
	v_pk_fma_f32 v[138:139], v[132:133], v[122:123], v[136:137] op_sel:[0,0,1] op_sel_hi:[1,1,0] neg_lo:[0,0,1] neg_hi:[0,0,1]
	v_pk_fma_f32 v[132:133], v[132:133], v[122:123], v[136:137] op_sel:[0,0,1] op_sel_hi:[1,0,0]
	s_delay_alu instid0(VALU_DEP_1) | instskip(SKIP_1) | instid1(VALU_DEP_1)
	v_mov_b32_e32 v139, v133
	v_pk_mul_f32 v[132:133], v[134:135], v[124:125] op_sel:[0,1]
	v_pk_fma_f32 v[136:137], v[134:135], v[122:123], v[132:133] op_sel:[0,0,1] op_sel_hi:[1,1,0] neg_lo:[0,0,1] neg_hi:[0,0,1]
	v_pk_fma_f32 v[132:133], v[134:135], v[122:123], v[132:133] op_sel:[0,0,1] op_sel_hi:[1,0,0]
	s_delay_alu instid0(VALU_DEP_1)
	v_mov_b32_e32 v137, v133
	ds_load_2addr_b64 v[132:135], v126 offset0:52 offset1:53
	v_pk_add_f32 v[12:13], v[12:13], v[138:139] neg_lo:[0,1] neg_hi:[0,1]
	v_pk_add_f32 v[8:9], v[8:9], v[136:137] neg_lo:[0,1] neg_hi:[0,1]
	s_wait_dscnt 0x0
	v_pk_mul_f32 v[136:137], v[132:133], v[124:125] op_sel:[0,1]
	s_delay_alu instid0(VALU_DEP_1) | instskip(SKIP_1) | instid1(VALU_DEP_1)
	v_pk_fma_f32 v[138:139], v[132:133], v[122:123], v[136:137] op_sel:[0,0,1] op_sel_hi:[1,1,0] neg_lo:[0,0,1] neg_hi:[0,0,1]
	v_pk_fma_f32 v[132:133], v[132:133], v[122:123], v[136:137] op_sel:[0,0,1] op_sel_hi:[1,0,0]
	v_mov_b32_e32 v139, v133
	v_pk_mul_f32 v[132:133], v[134:135], v[124:125] op_sel:[0,1]
	s_delay_alu instid0(VALU_DEP_1) | instskip(SKIP_1) | instid1(VALU_DEP_1)
	v_pk_fma_f32 v[136:137], v[134:135], v[122:123], v[132:133] op_sel:[0,0,1] op_sel_hi:[1,1,0] neg_lo:[0,0,1] neg_hi:[0,0,1]
	v_pk_fma_f32 v[132:133], v[134:135], v[122:123], v[132:133] op_sel:[0,0,1] op_sel_hi:[1,0,0]
	v_mov_b32_e32 v137, v133
	ds_load_2addr_b64 v[132:135], v126 offset0:54 offset1:55
	v_pk_add_f32 v[60:61], v[60:61], v[138:139] neg_lo:[0,1] neg_hi:[0,1]
	v_pk_add_f32 v[6:7], v[6:7], v[136:137] neg_lo:[0,1] neg_hi:[0,1]
	s_wait_dscnt 0x0
	v_dual_mul_f32 v136, v133, v125 :: v_dual_mul_f32 v138, v133, v122
	s_delay_alu instid0(VALU_DEP_1) | instskip(NEXT) | instid1(VALU_DEP_2)
	v_pk_fma_f32 v[136:137], v[132:133], v[52:53], v[136:137] op_sel_hi:[1,1,0] neg_lo:[0,0,1] neg_hi:[0,0,1]
	v_pk_fma_f32 v[132:133], v[132:133], v[52:53], v[138:139] op_sel:[1,0,0] op_sel_hi:[0,1,0]
	s_delay_alu instid0(VALU_DEP_1) | instskip(SKIP_1) | instid1(VALU_DEP_2)
	v_mov_b32_e32 v137, v133
	v_pk_mul_f32 v[132:133], v[134:135], v[124:125] op_sel:[0,1]
	v_pk_add_f32 v[42:43], v[42:43], v[136:137] neg_lo:[0,1] neg_hi:[0,1]
	s_delay_alu instid0(VALU_DEP_2) | instskip(SKIP_1) | instid1(VALU_DEP_1)
	v_pk_fma_f32 v[136:137], v[134:135], v[122:123], v[132:133] op_sel:[0,0,1] op_sel_hi:[1,1,0] neg_lo:[0,0,1] neg_hi:[0,0,1]
	v_pk_fma_f32 v[132:133], v[134:135], v[122:123], v[132:133] op_sel:[0,0,1] op_sel_hi:[1,0,0]
	v_mov_b32_e32 v137, v133
	ds_load_2addr_b64 v[132:135], v126 offset0:56 offset1:57
	v_pk_add_f32 v[28:29], v[28:29], v[136:137] neg_lo:[0,1] neg_hi:[0,1]
	s_wait_dscnt 0x0
	v_pk_mul_f32 v[136:137], v[132:133], v[124:125] op_sel:[0,1]
	v_pk_mul_f32 v[124:125], v[134:135], v[124:125] op_sel:[0,1]
	s_delay_alu instid0(VALU_DEP_2) | instskip(SKIP_1) | instid1(VALU_DEP_1)
	v_pk_fma_f32 v[138:139], v[132:133], v[122:123], v[136:137] op_sel:[0,0,1] op_sel_hi:[1,1,0] neg_lo:[0,0,1] neg_hi:[0,0,1]
	v_pk_fma_f32 v[132:133], v[132:133], v[122:123], v[136:137] op_sel:[0,0,1] op_sel_hi:[1,0,0]
	v_mov_b32_e32 v139, v133
	s_delay_alu instid0(VALU_DEP_4) | instskip(SKIP_1) | instid1(VALU_DEP_3)
	v_pk_fma_f32 v[132:133], v[134:135], v[122:123], v[124:125] op_sel:[0,0,1] op_sel_hi:[1,1,0] neg_lo:[0,0,1] neg_hi:[0,0,1]
	v_pk_fma_f32 v[122:123], v[134:135], v[122:123], v[124:125] op_sel:[0,0,1] op_sel_hi:[1,0,0]
	v_pk_add_f32 v[14:15], v[14:15], v[138:139] neg_lo:[0,1] neg_hi:[0,1]
	s_delay_alu instid0(VALU_DEP_2) | instskip(NEXT) | instid1(VALU_DEP_1)
	v_mov_b32_e32 v133, v123
	v_pk_add_f32 v[120:121], v[120:121], v[132:133] neg_lo:[0,1] neg_hi:[0,1]
.LBB114_545:
	s_or_b32 exec_lo, exec_lo, s0
	v_lshl_add_u32 v122, v130, 3, v126
	s_barrier_signal -1
	s_barrier_wait -1
	ds_store_b64 v122, v[54:55]
	s_wait_dscnt 0x0
	s_barrier_signal -1
	s_barrier_wait -1
	ds_load_b64 v[124:125], v126 offset:208
	v_mov_b32_e32 v122, 26
	s_cmp_lt_i32 s18, 28
	s_cbranch_scc1 .LBB114_548
; %bb.546:
	v_add3_u32 v123, v127, 0, 0xd8
	v_mov_b32_e32 v122, 26
	s_mov_b32 s0, 27
.LBB114_547:                            ; =>This Inner Loop Header: Depth=1
	ds_load_b64 v[132:133], v123
	s_wait_dscnt 0x1
	v_cmp_gt_f32_e32 vcc_lo, 0, v124
	v_cndmask_b32_e64 v134, v124, -v124, vcc_lo
	v_cmp_gt_f32_e32 vcc_lo, 0, v125
	v_cndmask_b32_e64 v136, v125, -v125, vcc_lo
	s_wait_dscnt 0x0
	v_cmp_gt_f32_e32 vcc_lo, 0, v132
	v_cndmask_b32_e64 v135, v132, -v132, vcc_lo
	v_cmp_gt_f32_e32 vcc_lo, 0, v133
	v_cndmask_b32_e64 v137, v133, -v133, vcc_lo
	s_delay_alu instid0(VALU_DEP_1) | instskip(NEXT) | instid1(VALU_DEP_1)
	v_pk_add_f32 v[134:135], v[134:135], v[136:137]
	v_cmp_lt_f32_e32 vcc_lo, v134, v135
	v_dual_add_nc_u32 v123, 8, v123 :: v_dual_cndmask_b32 v125, v125, v133, vcc_lo
	v_cndmask_b32_e32 v124, v124, v132, vcc_lo
	v_cndmask_b32_e64 v122, v122, s0, vcc_lo
	s_add_co_i32 s0, s0, 1
	s_delay_alu instid0(SALU_CYCLE_1)
	s_cmp_lg_u32 s18, s0
	s_cbranch_scc1 .LBB114_547
.LBB114_548:
	s_wait_dscnt 0x0
	v_cmp_eq_f32_e32 vcc_lo, 0, v124
	v_cmp_eq_f32_e64 s0, 0, v125
	s_and_b32 s0, vcc_lo, s0
	s_delay_alu instid0(SALU_CYCLE_1) | instskip(NEXT) | instid1(SALU_CYCLE_1)
	s_and_saveexec_b32 s1, s0
	s_xor_b32 s0, exec_lo, s1
; %bb.549:
	v_cmp_ne_u32_e32 vcc_lo, 0, v128
	v_cndmask_b32_e32 v128, 27, v128, vcc_lo
; %bb.550:
	s_and_not1_saveexec_b32 s0, s0
	s_cbranch_execz .LBB114_556
; %bb.551:
	v_cmp_ngt_f32_e64 s1, |v124|, |v125|
	s_and_saveexec_b32 s12, s1
	s_delay_alu instid0(SALU_CYCLE_1)
	s_xor_b32 s1, exec_lo, s12
	s_cbranch_execz .LBB114_553
; %bb.552:
	v_div_scale_f32 v123, null, v125, v125, v124
	v_div_scale_f32 v133, vcc_lo, v124, v125, v124
	s_delay_alu instid0(VALU_DEP_2) | instskip(SKIP_1) | instid1(TRANS32_DEP_1)
	v_rcp_f32_e32 v131, v123
	v_nop
	v_fma_f32 v132, -v123, v131, 1.0
	s_delay_alu instid0(VALU_DEP_1) | instskip(NEXT) | instid1(VALU_DEP_1)
	v_fmac_f32_e32 v131, v132, v131
	v_mul_f32_e32 v132, v133, v131
	s_delay_alu instid0(VALU_DEP_1) | instskip(NEXT) | instid1(VALU_DEP_1)
	v_fma_f32 v134, -v123, v132, v133
	v_fmac_f32_e32 v132, v134, v131
	s_delay_alu instid0(VALU_DEP_1) | instskip(NEXT) | instid1(VALU_DEP_1)
	v_fma_f32 v123, -v123, v132, v133
	v_div_fmas_f32 v123, v123, v131, v132
	s_delay_alu instid0(VALU_DEP_1) | instskip(NEXT) | instid1(VALU_DEP_1)
	v_div_fixup_f32 v123, v123, v125, v124
	v_fmac_f32_e32 v125, v124, v123
	s_delay_alu instid0(VALU_DEP_1) | instskip(SKIP_1) | instid1(VALU_DEP_2)
	v_div_scale_f32 v124, null, v125, v125, 1.0
	v_div_scale_f32 v133, vcc_lo, 1.0, v125, 1.0
	v_rcp_f32_e32 v131, v124
	v_nop
	s_delay_alu instid0(TRANS32_DEP_1) | instskip(NEXT) | instid1(VALU_DEP_1)
	v_fma_f32 v132, -v124, v131, 1.0
	v_fmac_f32_e32 v131, v132, v131
	s_delay_alu instid0(VALU_DEP_1) | instskip(NEXT) | instid1(VALU_DEP_1)
	v_mul_f32_e32 v132, v133, v131
	v_fma_f32 v134, -v124, v132, v133
	s_delay_alu instid0(VALU_DEP_1) | instskip(NEXT) | instid1(VALU_DEP_1)
	v_fmac_f32_e32 v132, v134, v131
	v_fma_f32 v124, -v124, v132, v133
	s_delay_alu instid0(VALU_DEP_1) | instskip(NEXT) | instid1(VALU_DEP_1)
	v_div_fmas_f32 v124, v124, v131, v132
	v_div_fixup_f32 v125, v124, v125, 1.0
	s_delay_alu instid0(VALU_DEP_1)
	v_mul_f32_e32 v124, v123, v125
	v_xor_b32_e32 v125, 0x80000000, v125
.LBB114_553:
	s_and_not1_saveexec_b32 s1, s1
	s_cbranch_execz .LBB114_555
; %bb.554:
	s_delay_alu instid0(VALU_DEP_1) | instskip(SKIP_1) | instid1(VALU_DEP_2)
	v_div_scale_f32 v123, null, v124, v124, v125
	v_div_scale_f32 v133, vcc_lo, v125, v124, v125
	v_rcp_f32_e32 v131, v123
	v_nop
	s_delay_alu instid0(TRANS32_DEP_1) | instskip(NEXT) | instid1(VALU_DEP_1)
	v_fma_f32 v132, -v123, v131, 1.0
	v_fmac_f32_e32 v131, v132, v131
	s_delay_alu instid0(VALU_DEP_1) | instskip(NEXT) | instid1(VALU_DEP_1)
	v_mul_f32_e32 v132, v133, v131
	v_fma_f32 v134, -v123, v132, v133
	s_delay_alu instid0(VALU_DEP_1) | instskip(NEXT) | instid1(VALU_DEP_1)
	v_fmac_f32_e32 v132, v134, v131
	v_fma_f32 v123, -v123, v132, v133
	s_delay_alu instid0(VALU_DEP_1) | instskip(NEXT) | instid1(VALU_DEP_1)
	v_div_fmas_f32 v123, v123, v131, v132
	v_div_fixup_f32 v123, v123, v124, v125
	s_delay_alu instid0(VALU_DEP_1) | instskip(NEXT) | instid1(VALU_DEP_1)
	v_fmac_f32_e32 v124, v125, v123
	v_div_scale_f32 v125, null, v124, v124, 1.0
	s_delay_alu instid0(VALU_DEP_1) | instskip(SKIP_1) | instid1(TRANS32_DEP_1)
	v_rcp_f32_e32 v131, v125
	v_nop
	v_fma_f32 v132, -v125, v131, 1.0
	s_delay_alu instid0(VALU_DEP_1) | instskip(SKIP_1) | instid1(VALU_DEP_1)
	v_fmac_f32_e32 v131, v132, v131
	v_div_scale_f32 v132, vcc_lo, 1.0, v124, 1.0
	v_mul_f32_e32 v133, v132, v131
	s_delay_alu instid0(VALU_DEP_1) | instskip(NEXT) | instid1(VALU_DEP_1)
	v_fma_f32 v134, -v125, v133, v132
	v_fmac_f32_e32 v133, v134, v131
	s_delay_alu instid0(VALU_DEP_1) | instskip(NEXT) | instid1(VALU_DEP_1)
	v_fma_f32 v125, -v125, v133, v132
	v_div_fmas_f32 v125, v125, v131, v133
	s_delay_alu instid0(VALU_DEP_1) | instskip(NEXT) | instid1(VALU_DEP_1)
	v_div_fixup_f32 v124, v125, v124, 1.0
	v_mul_f32_e64 v125, v123, -v124
.LBB114_555:
	s_or_b32 exec_lo, exec_lo, s1
.LBB114_556:
	s_delay_alu instid0(SALU_CYCLE_1) | instskip(NEXT) | instid1(SALU_CYCLE_1)
	s_or_b32 exec_lo, exec_lo, s0
	s_mov_b32 s0, exec_lo
	v_cmpx_ne_u32_e64 v130, v122
	s_xor_b32 s0, exec_lo, s0
	s_cbranch_execz .LBB114_562
; %bb.557:
	s_mov_b32 s1, exec_lo
	v_cmpx_eq_u32_e32 26, v130
	s_cbranch_execz .LBB114_561
; %bb.558:
	v_cmp_ne_u32_e32 vcc_lo, 26, v122
	s_xor_b32 s12, s16, -1
	s_delay_alu instid0(SALU_CYCLE_1) | instskip(NEXT) | instid1(SALU_CYCLE_1)
	s_and_b32 s13, s12, vcc_lo
	s_and_saveexec_b32 s12, s13
	s_cbranch_execz .LBB114_560
; %bb.559:
	v_ashrrev_i32_e32 v123, 31, v122
	s_delay_alu instid0(VALU_DEP_1)
	v_lshl_add_u64 v[130:131], v[122:123], 2, v[4:5]
	s_clause 0x1
	global_load_b32 v123, v[130:131], off
	global_load_b32 v129, v[4:5], off offset:104
	s_wait_loadcnt 0x1
	global_store_b32 v[4:5], v123, off offset:104
	s_wait_loadcnt 0x0
	global_store_b32 v[130:131], v129, off
.LBB114_560:
	s_wait_xcnt 0x0
	s_or_b32 exec_lo, exec_lo, s12
	v_dual_mov_b32 v130, v122 :: v_dual_mov_b32 v129, v122
.LBB114_561:
	s_or_b32 exec_lo, exec_lo, s1
.LBB114_562:
	s_and_not1_saveexec_b32 s0, s0
	s_cbranch_execz .LBB114_564
; %bb.563:
	v_mov_b32_e32 v130, 26
	ds_store_2addr_b64 v126, v[50:51], v[96:97] offset0:27 offset1:28
	ds_store_2addr_b64 v126, v[46:47], v[48:49] offset0:29 offset1:30
	;; [unrolled: 1-line block ×15, first 2 shown]
	ds_store_b64 v126, v[120:121] offset:456
.LBB114_564:
	s_or_b32 exec_lo, exec_lo, s0
	s_delay_alu instid0(SALU_CYCLE_1)
	s_mov_b32 s0, exec_lo
	s_wait_storecnt_dscnt 0x0
	s_barrier_signal -1
	s_barrier_wait -1
	v_cmpx_lt_i32_e32 26, v130
	s_cbranch_execz .LBB114_566
; %bb.565:
	v_pk_mul_f32 v[132:133], v[124:125], v[54:55] op_sel:[1,1] op_sel_hi:[0,1]
	s_delay_alu instid0(VALU_DEP_1)
	v_pk_fma_f32 v[122:123], v[124:125], v[54:55], v[132:133] op_sel_hi:[1,0,1] neg_lo:[0,0,1] neg_hi:[0,0,1]
	v_pk_fma_f32 v[124:125], v[124:125], v[54:55], v[132:133] op_sel_hi:[1,0,1]
	ds_load_2addr_b64 v[132:135], v126 offset0:27 offset1:28
	v_dual_mov_b32 v54, v122 :: v_dual_mov_b32 v55, v125
	s_wait_dscnt 0x0
	v_pk_mul_f32 v[136:137], v[132:133], v[124:125] op_sel:[0,1]
	s_delay_alu instid0(VALU_DEP_1) | instskip(SKIP_1) | instid1(VALU_DEP_1)
	v_pk_fma_f32 v[138:139], v[132:133], v[122:123], v[136:137] op_sel:[0,0,1] op_sel_hi:[1,1,0] neg_lo:[0,0,1] neg_hi:[0,0,1]
	v_pk_fma_f32 v[132:133], v[132:133], v[122:123], v[136:137] op_sel:[0,0,1] op_sel_hi:[1,0,0]
	v_mov_b32_e32 v139, v133
	v_pk_mul_f32 v[132:133], v[134:135], v[124:125] op_sel:[0,1]
	s_delay_alu instid0(VALU_DEP_1) | instskip(SKIP_1) | instid1(VALU_DEP_1)
	v_pk_fma_f32 v[136:137], v[134:135], v[122:123], v[132:133] op_sel:[0,0,1] op_sel_hi:[1,1,0] neg_lo:[0,0,1] neg_hi:[0,0,1]
	v_pk_fma_f32 v[132:133], v[134:135], v[122:123], v[132:133] op_sel:[0,0,1] op_sel_hi:[1,0,0]
	v_mov_b32_e32 v137, v133
	ds_load_2addr_b64 v[132:135], v126 offset0:29 offset1:30
	v_pk_add_f32 v[50:51], v[50:51], v[138:139] neg_lo:[0,1] neg_hi:[0,1]
	v_pk_add_f32 v[96:97], v[96:97], v[136:137] neg_lo:[0,1] neg_hi:[0,1]
	s_wait_dscnt 0x0
	v_pk_mul_f32 v[136:137], v[132:133], v[124:125] op_sel:[0,1]
	s_delay_alu instid0(VALU_DEP_1) | instskip(SKIP_2) | instid1(VALU_DEP_2)
	v_pk_fma_f32 v[138:139], v[132:133], v[122:123], v[136:137] op_sel:[0,0,1] op_sel_hi:[1,1,0] neg_lo:[0,0,1] neg_hi:[0,0,1]
	v_pk_fma_f32 v[132:133], v[132:133], v[122:123], v[136:137] op_sel:[0,0,1] op_sel_hi:[1,0,0]
	v_dual_mul_f32 v136, v135, v125 :: v_dual_mov_b32 v132, v135
	v_dual_mov_b32 v139, v133 :: v_dual_mov_b32 v133, v134
	s_delay_alu instid0(VALU_DEP_2) | instskip(SKIP_1) | instid1(VALU_DEP_3)
	v_pk_fma_f32 v[136:137], v[134:135], v[54:55], v[136:137] op_sel_hi:[1,1,0] neg_lo:[0,0,1] neg_hi:[0,0,1]
	v_mul_f32_e32 v134, v135, v122
	v_pk_add_f32 v[46:47], v[46:47], v[138:139] neg_lo:[0,1] neg_hi:[0,1]
	s_delay_alu instid0(VALU_DEP_2) | instskip(NEXT) | instid1(VALU_DEP_1)
	v_pk_fma_f32 v[132:133], v[132:133], v[54:55], v[134:135] op_sel_hi:[1,1,0]
	v_mov_b32_e32 v137, v133
	ds_load_2addr_b64 v[132:135], v126 offset0:31 offset1:32
	v_pk_add_f32 v[48:49], v[48:49], v[136:137] neg_lo:[0,1] neg_hi:[0,1]
	s_wait_dscnt 0x0
	v_pk_mul_f32 v[136:137], v[132:133], v[124:125] op_sel:[0,1]
	s_delay_alu instid0(VALU_DEP_1) | instskip(SKIP_1) | instid1(VALU_DEP_1)
	v_pk_fma_f32 v[138:139], v[132:133], v[122:123], v[136:137] op_sel:[0,0,1] op_sel_hi:[1,1,0] neg_lo:[0,0,1] neg_hi:[0,0,1]
	v_pk_fma_f32 v[132:133], v[132:133], v[122:123], v[136:137] op_sel:[0,0,1] op_sel_hi:[1,0,0]
	v_mov_b32_e32 v139, v133
	v_pk_mul_f32 v[132:133], v[134:135], v[124:125] op_sel:[0,1]
	s_delay_alu instid0(VALU_DEP_1) | instskip(SKIP_1) | instid1(VALU_DEP_1)
	v_pk_fma_f32 v[136:137], v[134:135], v[122:123], v[132:133] op_sel:[0,0,1] op_sel_hi:[1,1,0] neg_lo:[0,0,1] neg_hi:[0,0,1]
	v_pk_fma_f32 v[132:133], v[134:135], v[122:123], v[132:133] op_sel:[0,0,1] op_sel_hi:[1,0,0]
	v_mov_b32_e32 v137, v133
	ds_load_2addr_b64 v[132:135], v126 offset0:33 offset1:34
	v_pk_add_f32 v[44:45], v[44:45], v[138:139] neg_lo:[0,1] neg_hi:[0,1]
	v_pk_add_f32 v[94:95], v[94:95], v[136:137] neg_lo:[0,1] neg_hi:[0,1]
	s_wait_dscnt 0x0
	v_pk_mul_f32 v[136:137], v[132:133], v[124:125] op_sel:[0,1]
	s_delay_alu instid0(VALU_DEP_1) | instskip(SKIP_1) | instid1(VALU_DEP_1)
	v_pk_fma_f32 v[138:139], v[132:133], v[122:123], v[136:137] op_sel:[0,0,1] op_sel_hi:[1,1,0] neg_lo:[0,0,1] neg_hi:[0,0,1]
	v_pk_fma_f32 v[132:133], v[132:133], v[122:123], v[136:137] op_sel:[0,0,1] op_sel_hi:[1,0,0]
	v_mov_b32_e32 v139, v133
	v_pk_mul_f32 v[132:133], v[134:135], v[124:125] op_sel:[0,1]
	s_delay_alu instid0(VALU_DEP_1) | instskip(SKIP_1) | instid1(VALU_DEP_1)
	v_pk_fma_f32 v[136:137], v[134:135], v[122:123], v[132:133] op_sel:[0,0,1] op_sel_hi:[1,1,0] neg_lo:[0,0,1] neg_hi:[0,0,1]
	v_pk_fma_f32 v[132:133], v[134:135], v[122:123], v[132:133] op_sel:[0,0,1] op_sel_hi:[1,0,0]
	v_mov_b32_e32 v137, v133
	ds_load_2addr_b64 v[132:135], v126 offset0:35 offset1:36
	v_pk_add_f32 v[38:39], v[38:39], v[138:139] neg_lo:[0,1] neg_hi:[0,1]
	v_pk_add_f32 v[40:41], v[40:41], v[136:137] neg_lo:[0,1] neg_hi:[0,1]
	s_wait_dscnt 0x0
	v_dual_mul_f32 v136, v133, v125 :: v_dual_mul_f32 v138, v133, v122
	s_delay_alu instid0(VALU_DEP_1) | instskip(NEXT) | instid1(VALU_DEP_2)
	v_pk_fma_f32 v[136:137], v[132:133], v[54:55], v[136:137] op_sel_hi:[1,1,0] neg_lo:[0,0,1] neg_hi:[0,0,1]
	v_pk_fma_f32 v[132:133], v[132:133], v[54:55], v[138:139] op_sel:[1,0,0] op_sel_hi:[0,1,0]
	s_delay_alu instid0(VALU_DEP_1) | instskip(SKIP_1) | instid1(VALU_DEP_2)
	v_mov_b32_e32 v137, v133
	v_pk_mul_f32 v[132:133], v[134:135], v[124:125] op_sel:[0,1]
	v_pk_add_f32 v[36:37], v[36:37], v[136:137] neg_lo:[0,1] neg_hi:[0,1]
	s_delay_alu instid0(VALU_DEP_2) | instskip(SKIP_1) | instid1(VALU_DEP_1)
	v_pk_fma_f32 v[136:137], v[134:135], v[122:123], v[132:133] op_sel:[0,0,1] op_sel_hi:[1,1,0] neg_lo:[0,0,1] neg_hi:[0,0,1]
	v_pk_fma_f32 v[132:133], v[134:135], v[122:123], v[132:133] op_sel:[0,0,1] op_sel_hi:[1,0,0]
	v_mov_b32_e32 v137, v133
	ds_load_2addr_b64 v[132:135], v126 offset0:37 offset1:38
	v_pk_add_f32 v[92:93], v[92:93], v[136:137] neg_lo:[0,1] neg_hi:[0,1]
	s_wait_dscnt 0x0
	v_pk_mul_f32 v[136:137], v[132:133], v[124:125] op_sel:[0,1]
	s_delay_alu instid0(VALU_DEP_1) | instskip(SKIP_1) | instid1(VALU_DEP_1)
	v_pk_fma_f32 v[138:139], v[132:133], v[122:123], v[136:137] op_sel:[0,0,1] op_sel_hi:[1,1,0] neg_lo:[0,0,1] neg_hi:[0,0,1]
	v_pk_fma_f32 v[132:133], v[132:133], v[122:123], v[136:137] op_sel:[0,0,1] op_sel_hi:[1,0,0]
	v_mov_b32_e32 v139, v133
	v_pk_mul_f32 v[132:133], v[134:135], v[124:125] op_sel:[0,1]
	s_delay_alu instid0(VALU_DEP_2) | instskip(NEXT) | instid1(VALU_DEP_2)
	v_pk_add_f32 v[32:33], v[32:33], v[138:139] neg_lo:[0,1] neg_hi:[0,1]
	v_pk_fma_f32 v[136:137], v[134:135], v[122:123], v[132:133] op_sel:[0,0,1] op_sel_hi:[1,1,0] neg_lo:[0,0,1] neg_hi:[0,0,1]
	v_pk_fma_f32 v[132:133], v[134:135], v[122:123], v[132:133] op_sel:[0,0,1] op_sel_hi:[1,0,0]
	s_delay_alu instid0(VALU_DEP_1) | instskip(SKIP_4) | instid1(VALU_DEP_1)
	v_mov_b32_e32 v137, v133
	ds_load_2addr_b64 v[132:135], v126 offset0:39 offset1:40
	v_pk_add_f32 v[34:35], v[34:35], v[136:137] neg_lo:[0,1] neg_hi:[0,1]
	s_wait_dscnt 0x0
	v_pk_mul_f32 v[136:137], v[132:133], v[124:125] op_sel:[0,1]
	v_pk_fma_f32 v[138:139], v[132:133], v[122:123], v[136:137] op_sel:[0,0,1] op_sel_hi:[1,1,0] neg_lo:[0,0,1] neg_hi:[0,0,1]
	v_pk_fma_f32 v[132:133], v[132:133], v[122:123], v[136:137] op_sel:[0,0,1] op_sel_hi:[1,0,0]
	v_dual_mul_f32 v136, v135, v125 :: v_dual_mov_b32 v132, v135
	s_delay_alu instid0(VALU_DEP_2) | instskip(NEXT) | instid1(VALU_DEP_2)
	v_dual_mov_b32 v139, v133 :: v_dual_mov_b32 v133, v134
	v_pk_fma_f32 v[136:137], v[134:135], v[54:55], v[136:137] op_sel_hi:[1,1,0] neg_lo:[0,0,1] neg_hi:[0,0,1]
	v_mul_f32_e32 v134, v135, v122
	s_delay_alu instid0(VALU_DEP_3) | instskip(NEXT) | instid1(VALU_DEP_2)
	v_pk_add_f32 v[30:31], v[30:31], v[138:139] neg_lo:[0,1] neg_hi:[0,1]
	v_pk_fma_f32 v[132:133], v[132:133], v[54:55], v[134:135] op_sel_hi:[1,1,0]
	s_delay_alu instid0(VALU_DEP_1) | instskip(SKIP_4) | instid1(VALU_DEP_1)
	v_mov_b32_e32 v137, v133
	ds_load_2addr_b64 v[132:135], v126 offset0:41 offset1:42
	v_pk_add_f32 v[90:91], v[90:91], v[136:137] neg_lo:[0,1] neg_hi:[0,1]
	s_wait_dscnt 0x0
	v_pk_mul_f32 v[136:137], v[132:133], v[124:125] op_sel:[0,1]
	v_pk_fma_f32 v[138:139], v[132:133], v[122:123], v[136:137] op_sel:[0,0,1] op_sel_hi:[1,1,0] neg_lo:[0,0,1] neg_hi:[0,0,1]
	v_pk_fma_f32 v[132:133], v[132:133], v[122:123], v[136:137] op_sel:[0,0,1] op_sel_hi:[1,0,0]
	s_delay_alu instid0(VALU_DEP_1) | instskip(SKIP_1) | instid1(VALU_DEP_1)
	v_mov_b32_e32 v139, v133
	v_pk_mul_f32 v[132:133], v[134:135], v[124:125] op_sel:[0,1]
	v_pk_fma_f32 v[136:137], v[134:135], v[122:123], v[132:133] op_sel:[0,0,1] op_sel_hi:[1,1,0] neg_lo:[0,0,1] neg_hi:[0,0,1]
	v_pk_fma_f32 v[132:133], v[134:135], v[122:123], v[132:133] op_sel:[0,0,1] op_sel_hi:[1,0,0]
	s_delay_alu instid0(VALU_DEP_1)
	v_mov_b32_e32 v137, v133
	ds_load_2addr_b64 v[132:135], v126 offset0:43 offset1:44
	v_pk_add_f32 v[24:25], v[24:25], v[138:139] neg_lo:[0,1] neg_hi:[0,1]
	v_pk_add_f32 v[26:27], v[26:27], v[136:137] neg_lo:[0,1] neg_hi:[0,1]
	s_wait_dscnt 0x0
	v_pk_mul_f32 v[136:137], v[132:133], v[124:125] op_sel:[0,1]
	s_delay_alu instid0(VALU_DEP_1) | instskip(SKIP_1) | instid1(VALU_DEP_1)
	v_pk_fma_f32 v[138:139], v[132:133], v[122:123], v[136:137] op_sel:[0,0,1] op_sel_hi:[1,1,0] neg_lo:[0,0,1] neg_hi:[0,0,1]
	v_pk_fma_f32 v[132:133], v[132:133], v[122:123], v[136:137] op_sel:[0,0,1] op_sel_hi:[1,0,0]
	v_mov_b32_e32 v139, v133
	v_pk_mul_f32 v[132:133], v[134:135], v[124:125] op_sel:[0,1]
	s_delay_alu instid0(VALU_DEP_1) | instskip(SKIP_1) | instid1(VALU_DEP_1)
	v_pk_fma_f32 v[136:137], v[134:135], v[122:123], v[132:133] op_sel:[0,0,1] op_sel_hi:[1,1,0] neg_lo:[0,0,1] neg_hi:[0,0,1]
	v_pk_fma_f32 v[132:133], v[134:135], v[122:123], v[132:133] op_sel:[0,0,1] op_sel_hi:[1,0,0]
	v_mov_b32_e32 v137, v133
	ds_load_2addr_b64 v[132:135], v126 offset0:45 offset1:46
	v_pk_add_f32 v[22:23], v[22:23], v[138:139] neg_lo:[0,1] neg_hi:[0,1]
	v_pk_add_f32 v[88:89], v[88:89], v[136:137] neg_lo:[0,1] neg_hi:[0,1]
	s_wait_dscnt 0x0
	v_dual_mul_f32 v136, v133, v125 :: v_dual_mul_f32 v138, v133, v122
	s_delay_alu instid0(VALU_DEP_1) | instskip(NEXT) | instid1(VALU_DEP_2)
	v_pk_fma_f32 v[136:137], v[132:133], v[54:55], v[136:137] op_sel_hi:[1,1,0] neg_lo:[0,0,1] neg_hi:[0,0,1]
	v_pk_fma_f32 v[132:133], v[132:133], v[54:55], v[138:139] op_sel:[1,0,0] op_sel_hi:[0,1,0]
	s_delay_alu instid0(VALU_DEP_1) | instskip(SKIP_1) | instid1(VALU_DEP_2)
	v_mov_b32_e32 v137, v133
	v_pk_mul_f32 v[132:133], v[134:135], v[124:125] op_sel:[0,1]
	v_pk_add_f32 v[18:19], v[18:19], v[136:137] neg_lo:[0,1] neg_hi:[0,1]
	s_delay_alu instid0(VALU_DEP_2) | instskip(SKIP_1) | instid1(VALU_DEP_1)
	v_pk_fma_f32 v[136:137], v[134:135], v[122:123], v[132:133] op_sel:[0,0,1] op_sel_hi:[1,1,0] neg_lo:[0,0,1] neg_hi:[0,0,1]
	v_pk_fma_f32 v[132:133], v[134:135], v[122:123], v[132:133] op_sel:[0,0,1] op_sel_hi:[1,0,0]
	v_mov_b32_e32 v137, v133
	ds_load_2addr_b64 v[132:135], v126 offset0:47 offset1:48
	v_pk_add_f32 v[20:21], v[20:21], v[136:137] neg_lo:[0,1] neg_hi:[0,1]
	s_wait_dscnt 0x0
	v_pk_mul_f32 v[136:137], v[132:133], v[124:125] op_sel:[0,1]
	s_delay_alu instid0(VALU_DEP_1) | instskip(SKIP_1) | instid1(VALU_DEP_1)
	v_pk_fma_f32 v[138:139], v[132:133], v[122:123], v[136:137] op_sel:[0,0,1] op_sel_hi:[1,1,0] neg_lo:[0,0,1] neg_hi:[0,0,1]
	v_pk_fma_f32 v[132:133], v[132:133], v[122:123], v[136:137] op_sel:[0,0,1] op_sel_hi:[1,0,0]
	v_mov_b32_e32 v139, v133
	v_pk_mul_f32 v[132:133], v[134:135], v[124:125] op_sel:[0,1]
	s_delay_alu instid0(VALU_DEP_2) | instskip(NEXT) | instid1(VALU_DEP_2)
	v_pk_add_f32 v[16:17], v[16:17], v[138:139] neg_lo:[0,1] neg_hi:[0,1]
	v_pk_fma_f32 v[136:137], v[134:135], v[122:123], v[132:133] op_sel:[0,0,1] op_sel_hi:[1,1,0] neg_lo:[0,0,1] neg_hi:[0,0,1]
	v_pk_fma_f32 v[132:133], v[134:135], v[122:123], v[132:133] op_sel:[0,0,1] op_sel_hi:[1,0,0]
	s_delay_alu instid0(VALU_DEP_1) | instskip(SKIP_4) | instid1(VALU_DEP_1)
	v_mov_b32_e32 v137, v133
	ds_load_2addr_b64 v[132:135], v126 offset0:49 offset1:50
	v_pk_add_f32 v[84:85], v[84:85], v[136:137] neg_lo:[0,1] neg_hi:[0,1]
	s_wait_dscnt 0x0
	v_pk_mul_f32 v[136:137], v[132:133], v[124:125] op_sel:[0,1]
	v_pk_fma_f32 v[138:139], v[132:133], v[122:123], v[136:137] op_sel:[0,0,1] op_sel_hi:[1,1,0] neg_lo:[0,0,1] neg_hi:[0,0,1]
	v_pk_fma_f32 v[132:133], v[132:133], v[122:123], v[136:137] op_sel:[0,0,1] op_sel_hi:[1,0,0]
	v_dual_mul_f32 v136, v135, v125 :: v_dual_mov_b32 v132, v135
	s_delay_alu instid0(VALU_DEP_2) | instskip(NEXT) | instid1(VALU_DEP_2)
	v_dual_mov_b32 v139, v133 :: v_dual_mov_b32 v133, v134
	v_pk_fma_f32 v[136:137], v[134:135], v[54:55], v[136:137] op_sel_hi:[1,1,0] neg_lo:[0,0,1] neg_hi:[0,0,1]
	v_mul_f32_e32 v134, v135, v122
	s_delay_alu instid0(VALU_DEP_3) | instskip(NEXT) | instid1(VALU_DEP_2)
	v_pk_add_f32 v[10:11], v[10:11], v[138:139] neg_lo:[0,1] neg_hi:[0,1]
	v_pk_fma_f32 v[132:133], v[132:133], v[54:55], v[134:135] op_sel_hi:[1,1,0]
	s_delay_alu instid0(VALU_DEP_1) | instskip(SKIP_4) | instid1(VALU_DEP_1)
	v_mov_b32_e32 v137, v133
	ds_load_2addr_b64 v[132:135], v126 offset0:51 offset1:52
	v_pk_add_f32 v[12:13], v[12:13], v[136:137] neg_lo:[0,1] neg_hi:[0,1]
	s_wait_dscnt 0x0
	v_pk_mul_f32 v[136:137], v[132:133], v[124:125] op_sel:[0,1]
	v_pk_fma_f32 v[138:139], v[132:133], v[122:123], v[136:137] op_sel:[0,0,1] op_sel_hi:[1,1,0] neg_lo:[0,0,1] neg_hi:[0,0,1]
	v_pk_fma_f32 v[132:133], v[132:133], v[122:123], v[136:137] op_sel:[0,0,1] op_sel_hi:[1,0,0]
	s_delay_alu instid0(VALU_DEP_1) | instskip(SKIP_1) | instid1(VALU_DEP_1)
	v_mov_b32_e32 v139, v133
	v_pk_mul_f32 v[132:133], v[134:135], v[124:125] op_sel:[0,1]
	v_pk_fma_f32 v[136:137], v[134:135], v[122:123], v[132:133] op_sel:[0,0,1] op_sel_hi:[1,1,0] neg_lo:[0,0,1] neg_hi:[0,0,1]
	v_pk_fma_f32 v[132:133], v[134:135], v[122:123], v[132:133] op_sel:[0,0,1] op_sel_hi:[1,0,0]
	s_delay_alu instid0(VALU_DEP_1)
	v_mov_b32_e32 v137, v133
	ds_load_2addr_b64 v[132:135], v126 offset0:53 offset1:54
	v_pk_add_f32 v[8:9], v[8:9], v[138:139] neg_lo:[0,1] neg_hi:[0,1]
	v_pk_add_f32 v[60:61], v[60:61], v[136:137] neg_lo:[0,1] neg_hi:[0,1]
	s_wait_dscnt 0x0
	v_pk_mul_f32 v[136:137], v[132:133], v[124:125] op_sel:[0,1]
	s_delay_alu instid0(VALU_DEP_1) | instskip(SKIP_1) | instid1(VALU_DEP_1)
	v_pk_fma_f32 v[138:139], v[132:133], v[122:123], v[136:137] op_sel:[0,0,1] op_sel_hi:[1,1,0] neg_lo:[0,0,1] neg_hi:[0,0,1]
	v_pk_fma_f32 v[132:133], v[132:133], v[122:123], v[136:137] op_sel:[0,0,1] op_sel_hi:[1,0,0]
	v_mov_b32_e32 v139, v133
	v_pk_mul_f32 v[132:133], v[134:135], v[124:125] op_sel:[0,1]
	s_delay_alu instid0(VALU_DEP_1) | instskip(SKIP_1) | instid1(VALU_DEP_1)
	v_pk_fma_f32 v[136:137], v[134:135], v[122:123], v[132:133] op_sel:[0,0,1] op_sel_hi:[1,1,0] neg_lo:[0,0,1] neg_hi:[0,0,1]
	v_pk_fma_f32 v[132:133], v[134:135], v[122:123], v[132:133] op_sel:[0,0,1] op_sel_hi:[1,0,0]
	v_mov_b32_e32 v137, v133
	ds_load_2addr_b64 v[132:135], v126 offset0:55 offset1:56
	v_pk_add_f32 v[6:7], v[6:7], v[138:139] neg_lo:[0,1] neg_hi:[0,1]
	v_pk_add_f32 v[42:43], v[42:43], v[136:137] neg_lo:[0,1] neg_hi:[0,1]
	s_wait_dscnt 0x0
	v_dual_mul_f32 v136, v133, v125 :: v_dual_mul_f32 v138, v133, v122
	s_delay_alu instid0(VALU_DEP_1) | instskip(NEXT) | instid1(VALU_DEP_2)
	v_pk_fma_f32 v[136:137], v[132:133], v[54:55], v[136:137] op_sel_hi:[1,1,0] neg_lo:[0,0,1] neg_hi:[0,0,1]
	v_pk_fma_f32 v[132:133], v[132:133], v[54:55], v[138:139] op_sel:[1,0,0] op_sel_hi:[0,1,0]
	s_delay_alu instid0(VALU_DEP_1) | instskip(SKIP_1) | instid1(VALU_DEP_2)
	v_mov_b32_e32 v137, v133
	v_pk_mul_f32 v[132:133], v[134:135], v[124:125] op_sel:[0,1]
	v_pk_add_f32 v[28:29], v[28:29], v[136:137] neg_lo:[0,1] neg_hi:[0,1]
	s_delay_alu instid0(VALU_DEP_2) | instskip(SKIP_1) | instid1(VALU_DEP_1)
	v_pk_fma_f32 v[136:137], v[134:135], v[122:123], v[132:133] op_sel:[0,0,1] op_sel_hi:[1,1,0] neg_lo:[0,0,1] neg_hi:[0,0,1]
	v_pk_fma_f32 v[132:133], v[134:135], v[122:123], v[132:133] op_sel:[0,0,1] op_sel_hi:[1,0,0]
	v_mov_b32_e32 v137, v133
	ds_load_b64 v[132:133], v126 offset:456
	v_pk_add_f32 v[14:15], v[14:15], v[136:137] neg_lo:[0,1] neg_hi:[0,1]
	s_wait_dscnt 0x0
	v_pk_mul_f32 v[124:125], v[132:133], v[124:125] op_sel:[0,1]
	s_delay_alu instid0(VALU_DEP_1) | instskip(SKIP_1) | instid1(VALU_DEP_1)
	v_pk_fma_f32 v[134:135], v[132:133], v[122:123], v[124:125] op_sel:[0,0,1] op_sel_hi:[1,1,0] neg_lo:[0,0,1] neg_hi:[0,0,1]
	v_pk_fma_f32 v[122:123], v[132:133], v[122:123], v[124:125] op_sel:[0,0,1] op_sel_hi:[1,0,0]
	v_mov_b32_e32 v135, v123
	s_delay_alu instid0(VALU_DEP_1)
	v_pk_add_f32 v[120:121], v[120:121], v[134:135] neg_lo:[0,1] neg_hi:[0,1]
.LBB114_566:
	s_or_b32 exec_lo, exec_lo, s0
	v_lshl_add_u32 v122, v130, 3, v126
	s_barrier_signal -1
	s_barrier_wait -1
	ds_store_b64 v122, v[50:51]
	s_wait_dscnt 0x0
	s_barrier_signal -1
	s_barrier_wait -1
	ds_load_b64 v[124:125], v126 offset:216
	v_mov_b32_e32 v122, 27
	s_cmp_lt_i32 s18, 29
	s_cbranch_scc1 .LBB114_569
; %bb.567:
	v_add3_u32 v123, v127, 0, 0xe0
	v_mov_b32_e32 v122, 27
	s_mov_b32 s0, 28
.LBB114_568:                            ; =>This Inner Loop Header: Depth=1
	ds_load_b64 v[132:133], v123
	s_wait_dscnt 0x1
	v_cmp_gt_f32_e32 vcc_lo, 0, v124
	v_cndmask_b32_e64 v134, v124, -v124, vcc_lo
	v_cmp_gt_f32_e32 vcc_lo, 0, v125
	v_cndmask_b32_e64 v136, v125, -v125, vcc_lo
	s_wait_dscnt 0x0
	v_cmp_gt_f32_e32 vcc_lo, 0, v132
	v_cndmask_b32_e64 v135, v132, -v132, vcc_lo
	v_cmp_gt_f32_e32 vcc_lo, 0, v133
	v_cndmask_b32_e64 v137, v133, -v133, vcc_lo
	s_delay_alu instid0(VALU_DEP_1) | instskip(NEXT) | instid1(VALU_DEP_1)
	v_pk_add_f32 v[134:135], v[134:135], v[136:137]
	v_cmp_lt_f32_e32 vcc_lo, v134, v135
	v_dual_add_nc_u32 v123, 8, v123 :: v_dual_cndmask_b32 v125, v125, v133, vcc_lo
	v_cndmask_b32_e32 v124, v124, v132, vcc_lo
	v_cndmask_b32_e64 v122, v122, s0, vcc_lo
	s_add_co_i32 s0, s0, 1
	s_delay_alu instid0(SALU_CYCLE_1)
	s_cmp_lg_u32 s18, s0
	s_cbranch_scc1 .LBB114_568
.LBB114_569:
	s_wait_dscnt 0x0
	v_cmp_eq_f32_e32 vcc_lo, 0, v124
	v_cmp_eq_f32_e64 s0, 0, v125
	s_and_b32 s0, vcc_lo, s0
	s_delay_alu instid0(SALU_CYCLE_1) | instskip(NEXT) | instid1(SALU_CYCLE_1)
	s_and_saveexec_b32 s1, s0
	s_xor_b32 s0, exec_lo, s1
; %bb.570:
	v_cmp_ne_u32_e32 vcc_lo, 0, v128
	v_cndmask_b32_e32 v128, 28, v128, vcc_lo
; %bb.571:
	s_and_not1_saveexec_b32 s0, s0
	s_cbranch_execz .LBB114_577
; %bb.572:
	v_cmp_ngt_f32_e64 s1, |v124|, |v125|
	s_and_saveexec_b32 s12, s1
	s_delay_alu instid0(SALU_CYCLE_1)
	s_xor_b32 s1, exec_lo, s12
	s_cbranch_execz .LBB114_574
; %bb.573:
	v_div_scale_f32 v123, null, v125, v125, v124
	v_div_scale_f32 v133, vcc_lo, v124, v125, v124
	s_delay_alu instid0(VALU_DEP_2) | instskip(SKIP_1) | instid1(TRANS32_DEP_1)
	v_rcp_f32_e32 v131, v123
	v_nop
	v_fma_f32 v132, -v123, v131, 1.0
	s_delay_alu instid0(VALU_DEP_1) | instskip(NEXT) | instid1(VALU_DEP_1)
	v_fmac_f32_e32 v131, v132, v131
	v_mul_f32_e32 v132, v133, v131
	s_delay_alu instid0(VALU_DEP_1) | instskip(NEXT) | instid1(VALU_DEP_1)
	v_fma_f32 v134, -v123, v132, v133
	v_fmac_f32_e32 v132, v134, v131
	s_delay_alu instid0(VALU_DEP_1) | instskip(NEXT) | instid1(VALU_DEP_1)
	v_fma_f32 v123, -v123, v132, v133
	v_div_fmas_f32 v123, v123, v131, v132
	s_delay_alu instid0(VALU_DEP_1) | instskip(NEXT) | instid1(VALU_DEP_1)
	v_div_fixup_f32 v123, v123, v125, v124
	v_fmac_f32_e32 v125, v124, v123
	s_delay_alu instid0(VALU_DEP_1) | instskip(SKIP_1) | instid1(VALU_DEP_2)
	v_div_scale_f32 v124, null, v125, v125, 1.0
	v_div_scale_f32 v133, vcc_lo, 1.0, v125, 1.0
	v_rcp_f32_e32 v131, v124
	v_nop
	s_delay_alu instid0(TRANS32_DEP_1) | instskip(NEXT) | instid1(VALU_DEP_1)
	v_fma_f32 v132, -v124, v131, 1.0
	v_fmac_f32_e32 v131, v132, v131
	s_delay_alu instid0(VALU_DEP_1) | instskip(NEXT) | instid1(VALU_DEP_1)
	v_mul_f32_e32 v132, v133, v131
	v_fma_f32 v134, -v124, v132, v133
	s_delay_alu instid0(VALU_DEP_1) | instskip(NEXT) | instid1(VALU_DEP_1)
	v_fmac_f32_e32 v132, v134, v131
	v_fma_f32 v124, -v124, v132, v133
	s_delay_alu instid0(VALU_DEP_1) | instskip(NEXT) | instid1(VALU_DEP_1)
	v_div_fmas_f32 v124, v124, v131, v132
	v_div_fixup_f32 v125, v124, v125, 1.0
	s_delay_alu instid0(VALU_DEP_1)
	v_mul_f32_e32 v124, v123, v125
	v_xor_b32_e32 v125, 0x80000000, v125
.LBB114_574:
	s_and_not1_saveexec_b32 s1, s1
	s_cbranch_execz .LBB114_576
; %bb.575:
	s_delay_alu instid0(VALU_DEP_1) | instskip(SKIP_1) | instid1(VALU_DEP_2)
	v_div_scale_f32 v123, null, v124, v124, v125
	v_div_scale_f32 v133, vcc_lo, v125, v124, v125
	v_rcp_f32_e32 v131, v123
	v_nop
	s_delay_alu instid0(TRANS32_DEP_1) | instskip(NEXT) | instid1(VALU_DEP_1)
	v_fma_f32 v132, -v123, v131, 1.0
	v_fmac_f32_e32 v131, v132, v131
	s_delay_alu instid0(VALU_DEP_1) | instskip(NEXT) | instid1(VALU_DEP_1)
	v_mul_f32_e32 v132, v133, v131
	v_fma_f32 v134, -v123, v132, v133
	s_delay_alu instid0(VALU_DEP_1) | instskip(NEXT) | instid1(VALU_DEP_1)
	v_fmac_f32_e32 v132, v134, v131
	v_fma_f32 v123, -v123, v132, v133
	s_delay_alu instid0(VALU_DEP_1) | instskip(NEXT) | instid1(VALU_DEP_1)
	v_div_fmas_f32 v123, v123, v131, v132
	v_div_fixup_f32 v123, v123, v124, v125
	s_delay_alu instid0(VALU_DEP_1) | instskip(NEXT) | instid1(VALU_DEP_1)
	v_fmac_f32_e32 v124, v125, v123
	v_div_scale_f32 v125, null, v124, v124, 1.0
	s_delay_alu instid0(VALU_DEP_1) | instskip(SKIP_1) | instid1(TRANS32_DEP_1)
	v_rcp_f32_e32 v131, v125
	v_nop
	v_fma_f32 v132, -v125, v131, 1.0
	s_delay_alu instid0(VALU_DEP_1) | instskip(SKIP_1) | instid1(VALU_DEP_1)
	v_fmac_f32_e32 v131, v132, v131
	v_div_scale_f32 v132, vcc_lo, 1.0, v124, 1.0
	v_mul_f32_e32 v133, v132, v131
	s_delay_alu instid0(VALU_DEP_1) | instskip(NEXT) | instid1(VALU_DEP_1)
	v_fma_f32 v134, -v125, v133, v132
	v_fmac_f32_e32 v133, v134, v131
	s_delay_alu instid0(VALU_DEP_1) | instskip(NEXT) | instid1(VALU_DEP_1)
	v_fma_f32 v125, -v125, v133, v132
	v_div_fmas_f32 v125, v125, v131, v133
	s_delay_alu instid0(VALU_DEP_1) | instskip(NEXT) | instid1(VALU_DEP_1)
	v_div_fixup_f32 v124, v125, v124, 1.0
	v_mul_f32_e64 v125, v123, -v124
.LBB114_576:
	s_or_b32 exec_lo, exec_lo, s1
.LBB114_577:
	s_delay_alu instid0(SALU_CYCLE_1) | instskip(NEXT) | instid1(SALU_CYCLE_1)
	s_or_b32 exec_lo, exec_lo, s0
	s_mov_b32 s0, exec_lo
	v_cmpx_ne_u32_e64 v130, v122
	s_xor_b32 s0, exec_lo, s0
	s_cbranch_execz .LBB114_583
; %bb.578:
	s_mov_b32 s1, exec_lo
	v_cmpx_eq_u32_e32 27, v130
	s_cbranch_execz .LBB114_582
; %bb.579:
	v_cmp_ne_u32_e32 vcc_lo, 27, v122
	s_xor_b32 s12, s16, -1
	s_delay_alu instid0(SALU_CYCLE_1) | instskip(NEXT) | instid1(SALU_CYCLE_1)
	s_and_b32 s13, s12, vcc_lo
	s_and_saveexec_b32 s12, s13
	s_cbranch_execz .LBB114_581
; %bb.580:
	v_ashrrev_i32_e32 v123, 31, v122
	s_delay_alu instid0(VALU_DEP_1)
	v_lshl_add_u64 v[130:131], v[122:123], 2, v[4:5]
	s_clause 0x1
	global_load_b32 v123, v[130:131], off
	global_load_b32 v129, v[4:5], off offset:108
	s_wait_loadcnt 0x1
	global_store_b32 v[4:5], v123, off offset:108
	s_wait_loadcnt 0x0
	global_store_b32 v[130:131], v129, off
.LBB114_581:
	s_wait_xcnt 0x0
	s_or_b32 exec_lo, exec_lo, s12
	v_dual_mov_b32 v130, v122 :: v_dual_mov_b32 v129, v122
.LBB114_582:
	s_or_b32 exec_lo, exec_lo, s1
.LBB114_583:
	s_and_not1_saveexec_b32 s0, s0
	s_cbranch_execz .LBB114_585
; %bb.584:
	v_dual_mov_b32 v122, v96 :: v_dual_mov_b32 v123, v97
	v_dual_mov_b32 v130, v46 :: v_dual_mov_b32 v131, v47
	ds_store_2addr_b64 v126, v[122:123], v[130:131] offset0:28 offset1:29
	v_dual_mov_b32 v122, v48 :: v_dual_mov_b32 v123, v49
	v_dual_mov_b32 v130, v44 :: v_dual_mov_b32 v131, v45
	ds_store_2addr_b64 v126, v[122:123], v[130:131] offset0:30 offset1:31
	;; [unrolled: 3-line block ×14, first 2 shown]
	v_dual_mov_b32 v122, v14 :: v_dual_mov_b32 v123, v15
	v_mov_b32_e32 v130, 27
	ds_store_2addr_b64 v126, v[122:123], v[120:121] offset0:56 offset1:57
.LBB114_585:
	s_or_b32 exec_lo, exec_lo, s0
	s_delay_alu instid0(SALU_CYCLE_1)
	s_mov_b32 s0, exec_lo
	s_wait_storecnt_dscnt 0x0
	s_barrier_signal -1
	s_barrier_wait -1
	v_cmpx_lt_i32_e32 27, v130
	s_cbranch_execz .LBB114_587
; %bb.586:
	v_pk_mul_f32 v[132:133], v[124:125], v[50:51] op_sel:[1,1] op_sel_hi:[0,1]
	s_delay_alu instid0(VALU_DEP_1)
	v_pk_fma_f32 v[122:123], v[124:125], v[50:51], v[132:133] op_sel_hi:[1,0,1] neg_lo:[0,0,1] neg_hi:[0,0,1]
	v_pk_fma_f32 v[124:125], v[124:125], v[50:51], v[132:133] op_sel_hi:[1,0,1]
	ds_load_2addr_b64 v[132:135], v126 offset0:28 offset1:29
	v_dual_mov_b32 v50, v122 :: v_dual_mov_b32 v51, v125
	s_wait_dscnt 0x0
	v_pk_mul_f32 v[136:137], v[132:133], v[124:125] op_sel:[0,1]
	s_delay_alu instid0(VALU_DEP_1) | instskip(SKIP_1) | instid1(VALU_DEP_1)
	v_pk_fma_f32 v[138:139], v[132:133], v[122:123], v[136:137] op_sel:[0,0,1] op_sel_hi:[1,1,0] neg_lo:[0,0,1] neg_hi:[0,0,1]
	v_pk_fma_f32 v[132:133], v[132:133], v[122:123], v[136:137] op_sel:[0,0,1] op_sel_hi:[1,0,0]
	v_mov_b32_e32 v139, v133
	v_pk_mul_f32 v[132:133], v[134:135], v[124:125] op_sel:[0,1]
	s_delay_alu instid0(VALU_DEP_1) | instskip(SKIP_1) | instid1(VALU_DEP_1)
	v_pk_fma_f32 v[136:137], v[134:135], v[122:123], v[132:133] op_sel:[0,0,1] op_sel_hi:[1,1,0] neg_lo:[0,0,1] neg_hi:[0,0,1]
	v_pk_fma_f32 v[132:133], v[134:135], v[122:123], v[132:133] op_sel:[0,0,1] op_sel_hi:[1,0,0]
	v_mov_b32_e32 v137, v133
	ds_load_2addr_b64 v[132:135], v126 offset0:30 offset1:31
	v_pk_add_f32 v[96:97], v[96:97], v[138:139] neg_lo:[0,1] neg_hi:[0,1]
	v_pk_add_f32 v[46:47], v[46:47], v[136:137] neg_lo:[0,1] neg_hi:[0,1]
	s_wait_dscnt 0x0
	v_pk_mul_f32 v[136:137], v[132:133], v[124:125] op_sel:[0,1]
	s_delay_alu instid0(VALU_DEP_1) | instskip(SKIP_2) | instid1(VALU_DEP_2)
	v_pk_fma_f32 v[138:139], v[132:133], v[122:123], v[136:137] op_sel:[0,0,1] op_sel_hi:[1,1,0] neg_lo:[0,0,1] neg_hi:[0,0,1]
	v_pk_fma_f32 v[132:133], v[132:133], v[122:123], v[136:137] op_sel:[0,0,1] op_sel_hi:[1,0,0]
	v_dual_mul_f32 v136, v135, v125 :: v_dual_mov_b32 v132, v135
	v_dual_mov_b32 v139, v133 :: v_dual_mov_b32 v133, v134
	s_delay_alu instid0(VALU_DEP_2) | instskip(SKIP_1) | instid1(VALU_DEP_3)
	v_pk_fma_f32 v[136:137], v[134:135], v[50:51], v[136:137] op_sel_hi:[1,1,0] neg_lo:[0,0,1] neg_hi:[0,0,1]
	v_mul_f32_e32 v134, v135, v122
	v_pk_add_f32 v[48:49], v[48:49], v[138:139] neg_lo:[0,1] neg_hi:[0,1]
	s_delay_alu instid0(VALU_DEP_2) | instskip(NEXT) | instid1(VALU_DEP_1)
	v_pk_fma_f32 v[132:133], v[132:133], v[50:51], v[134:135] op_sel_hi:[1,1,0]
	v_mov_b32_e32 v137, v133
	ds_load_2addr_b64 v[132:135], v126 offset0:32 offset1:33
	v_pk_add_f32 v[44:45], v[44:45], v[136:137] neg_lo:[0,1] neg_hi:[0,1]
	s_wait_dscnt 0x0
	v_pk_mul_f32 v[136:137], v[132:133], v[124:125] op_sel:[0,1]
	s_delay_alu instid0(VALU_DEP_1) | instskip(SKIP_1) | instid1(VALU_DEP_1)
	v_pk_fma_f32 v[138:139], v[132:133], v[122:123], v[136:137] op_sel:[0,0,1] op_sel_hi:[1,1,0] neg_lo:[0,0,1] neg_hi:[0,0,1]
	v_pk_fma_f32 v[132:133], v[132:133], v[122:123], v[136:137] op_sel:[0,0,1] op_sel_hi:[1,0,0]
	v_mov_b32_e32 v139, v133
	v_pk_mul_f32 v[132:133], v[134:135], v[124:125] op_sel:[0,1]
	s_delay_alu instid0(VALU_DEP_1) | instskip(SKIP_1) | instid1(VALU_DEP_1)
	v_pk_fma_f32 v[136:137], v[134:135], v[122:123], v[132:133] op_sel:[0,0,1] op_sel_hi:[1,1,0] neg_lo:[0,0,1] neg_hi:[0,0,1]
	v_pk_fma_f32 v[132:133], v[134:135], v[122:123], v[132:133] op_sel:[0,0,1] op_sel_hi:[1,0,0]
	v_mov_b32_e32 v137, v133
	ds_load_2addr_b64 v[132:135], v126 offset0:34 offset1:35
	v_pk_add_f32 v[94:95], v[94:95], v[138:139] neg_lo:[0,1] neg_hi:[0,1]
	v_pk_add_f32 v[38:39], v[38:39], v[136:137] neg_lo:[0,1] neg_hi:[0,1]
	s_wait_dscnt 0x0
	v_pk_mul_f32 v[136:137], v[132:133], v[124:125] op_sel:[0,1]
	s_delay_alu instid0(VALU_DEP_1) | instskip(SKIP_1) | instid1(VALU_DEP_1)
	v_pk_fma_f32 v[138:139], v[132:133], v[122:123], v[136:137] op_sel:[0,0,1] op_sel_hi:[1,1,0] neg_lo:[0,0,1] neg_hi:[0,0,1]
	v_pk_fma_f32 v[132:133], v[132:133], v[122:123], v[136:137] op_sel:[0,0,1] op_sel_hi:[1,0,0]
	v_mov_b32_e32 v139, v133
	v_pk_mul_f32 v[132:133], v[134:135], v[124:125] op_sel:[0,1]
	s_delay_alu instid0(VALU_DEP_1) | instskip(SKIP_1) | instid1(VALU_DEP_1)
	v_pk_fma_f32 v[136:137], v[134:135], v[122:123], v[132:133] op_sel:[0,0,1] op_sel_hi:[1,1,0] neg_lo:[0,0,1] neg_hi:[0,0,1]
	v_pk_fma_f32 v[132:133], v[134:135], v[122:123], v[132:133] op_sel:[0,0,1] op_sel_hi:[1,0,0]
	v_mov_b32_e32 v137, v133
	ds_load_2addr_b64 v[132:135], v126 offset0:36 offset1:37
	v_pk_add_f32 v[40:41], v[40:41], v[138:139] neg_lo:[0,1] neg_hi:[0,1]
	v_pk_add_f32 v[36:37], v[36:37], v[136:137] neg_lo:[0,1] neg_hi:[0,1]
	s_wait_dscnt 0x0
	v_dual_mul_f32 v136, v133, v125 :: v_dual_mul_f32 v138, v133, v122
	s_delay_alu instid0(VALU_DEP_1) | instskip(NEXT) | instid1(VALU_DEP_2)
	v_pk_fma_f32 v[136:137], v[132:133], v[50:51], v[136:137] op_sel_hi:[1,1,0] neg_lo:[0,0,1] neg_hi:[0,0,1]
	v_pk_fma_f32 v[132:133], v[132:133], v[50:51], v[138:139] op_sel:[1,0,0] op_sel_hi:[0,1,0]
	s_delay_alu instid0(VALU_DEP_1) | instskip(SKIP_1) | instid1(VALU_DEP_2)
	v_mov_b32_e32 v137, v133
	v_pk_mul_f32 v[132:133], v[134:135], v[124:125] op_sel:[0,1]
	v_pk_add_f32 v[92:93], v[92:93], v[136:137] neg_lo:[0,1] neg_hi:[0,1]
	s_delay_alu instid0(VALU_DEP_2) | instskip(SKIP_1) | instid1(VALU_DEP_1)
	v_pk_fma_f32 v[136:137], v[134:135], v[122:123], v[132:133] op_sel:[0,0,1] op_sel_hi:[1,1,0] neg_lo:[0,0,1] neg_hi:[0,0,1]
	v_pk_fma_f32 v[132:133], v[134:135], v[122:123], v[132:133] op_sel:[0,0,1] op_sel_hi:[1,0,0]
	v_mov_b32_e32 v137, v133
	ds_load_2addr_b64 v[132:135], v126 offset0:38 offset1:39
	v_pk_add_f32 v[32:33], v[32:33], v[136:137] neg_lo:[0,1] neg_hi:[0,1]
	s_wait_dscnt 0x0
	v_pk_mul_f32 v[136:137], v[132:133], v[124:125] op_sel:[0,1]
	s_delay_alu instid0(VALU_DEP_1) | instskip(SKIP_1) | instid1(VALU_DEP_1)
	v_pk_fma_f32 v[138:139], v[132:133], v[122:123], v[136:137] op_sel:[0,0,1] op_sel_hi:[1,1,0] neg_lo:[0,0,1] neg_hi:[0,0,1]
	v_pk_fma_f32 v[132:133], v[132:133], v[122:123], v[136:137] op_sel:[0,0,1] op_sel_hi:[1,0,0]
	v_mov_b32_e32 v139, v133
	v_pk_mul_f32 v[132:133], v[134:135], v[124:125] op_sel:[0,1]
	s_delay_alu instid0(VALU_DEP_2) | instskip(NEXT) | instid1(VALU_DEP_2)
	v_pk_add_f32 v[34:35], v[34:35], v[138:139] neg_lo:[0,1] neg_hi:[0,1]
	v_pk_fma_f32 v[136:137], v[134:135], v[122:123], v[132:133] op_sel:[0,0,1] op_sel_hi:[1,1,0] neg_lo:[0,0,1] neg_hi:[0,0,1]
	v_pk_fma_f32 v[132:133], v[134:135], v[122:123], v[132:133] op_sel:[0,0,1] op_sel_hi:[1,0,0]
	s_delay_alu instid0(VALU_DEP_1) | instskip(SKIP_4) | instid1(VALU_DEP_1)
	v_mov_b32_e32 v137, v133
	ds_load_2addr_b64 v[132:135], v126 offset0:40 offset1:41
	v_pk_add_f32 v[30:31], v[30:31], v[136:137] neg_lo:[0,1] neg_hi:[0,1]
	s_wait_dscnt 0x0
	v_pk_mul_f32 v[136:137], v[132:133], v[124:125] op_sel:[0,1]
	v_pk_fma_f32 v[138:139], v[132:133], v[122:123], v[136:137] op_sel:[0,0,1] op_sel_hi:[1,1,0] neg_lo:[0,0,1] neg_hi:[0,0,1]
	v_pk_fma_f32 v[132:133], v[132:133], v[122:123], v[136:137] op_sel:[0,0,1] op_sel_hi:[1,0,0]
	v_dual_mul_f32 v136, v135, v125 :: v_dual_mov_b32 v132, v135
	s_delay_alu instid0(VALU_DEP_2) | instskip(NEXT) | instid1(VALU_DEP_2)
	v_dual_mov_b32 v139, v133 :: v_dual_mov_b32 v133, v134
	v_pk_fma_f32 v[136:137], v[134:135], v[50:51], v[136:137] op_sel_hi:[1,1,0] neg_lo:[0,0,1] neg_hi:[0,0,1]
	v_mul_f32_e32 v134, v135, v122
	s_delay_alu instid0(VALU_DEP_3) | instskip(NEXT) | instid1(VALU_DEP_2)
	v_pk_add_f32 v[90:91], v[90:91], v[138:139] neg_lo:[0,1] neg_hi:[0,1]
	v_pk_fma_f32 v[132:133], v[132:133], v[50:51], v[134:135] op_sel_hi:[1,1,0]
	s_delay_alu instid0(VALU_DEP_1) | instskip(SKIP_4) | instid1(VALU_DEP_1)
	v_mov_b32_e32 v137, v133
	ds_load_2addr_b64 v[132:135], v126 offset0:42 offset1:43
	v_pk_add_f32 v[24:25], v[24:25], v[136:137] neg_lo:[0,1] neg_hi:[0,1]
	s_wait_dscnt 0x0
	v_pk_mul_f32 v[136:137], v[132:133], v[124:125] op_sel:[0,1]
	v_pk_fma_f32 v[138:139], v[132:133], v[122:123], v[136:137] op_sel:[0,0,1] op_sel_hi:[1,1,0] neg_lo:[0,0,1] neg_hi:[0,0,1]
	v_pk_fma_f32 v[132:133], v[132:133], v[122:123], v[136:137] op_sel:[0,0,1] op_sel_hi:[1,0,0]
	s_delay_alu instid0(VALU_DEP_1) | instskip(SKIP_1) | instid1(VALU_DEP_1)
	v_mov_b32_e32 v139, v133
	v_pk_mul_f32 v[132:133], v[134:135], v[124:125] op_sel:[0,1]
	v_pk_fma_f32 v[136:137], v[134:135], v[122:123], v[132:133] op_sel:[0,0,1] op_sel_hi:[1,1,0] neg_lo:[0,0,1] neg_hi:[0,0,1]
	v_pk_fma_f32 v[132:133], v[134:135], v[122:123], v[132:133] op_sel:[0,0,1] op_sel_hi:[1,0,0]
	s_delay_alu instid0(VALU_DEP_1)
	v_mov_b32_e32 v137, v133
	ds_load_2addr_b64 v[132:135], v126 offset0:44 offset1:45
	v_pk_add_f32 v[26:27], v[26:27], v[138:139] neg_lo:[0,1] neg_hi:[0,1]
	v_pk_add_f32 v[22:23], v[22:23], v[136:137] neg_lo:[0,1] neg_hi:[0,1]
	s_wait_dscnt 0x0
	v_pk_mul_f32 v[136:137], v[132:133], v[124:125] op_sel:[0,1]
	s_delay_alu instid0(VALU_DEP_1) | instskip(SKIP_1) | instid1(VALU_DEP_1)
	v_pk_fma_f32 v[138:139], v[132:133], v[122:123], v[136:137] op_sel:[0,0,1] op_sel_hi:[1,1,0] neg_lo:[0,0,1] neg_hi:[0,0,1]
	v_pk_fma_f32 v[132:133], v[132:133], v[122:123], v[136:137] op_sel:[0,0,1] op_sel_hi:[1,0,0]
	v_mov_b32_e32 v139, v133
	v_pk_mul_f32 v[132:133], v[134:135], v[124:125] op_sel:[0,1]
	s_delay_alu instid0(VALU_DEP_1) | instskip(SKIP_1) | instid1(VALU_DEP_1)
	v_pk_fma_f32 v[136:137], v[134:135], v[122:123], v[132:133] op_sel:[0,0,1] op_sel_hi:[1,1,0] neg_lo:[0,0,1] neg_hi:[0,0,1]
	v_pk_fma_f32 v[132:133], v[134:135], v[122:123], v[132:133] op_sel:[0,0,1] op_sel_hi:[1,0,0]
	v_mov_b32_e32 v137, v133
	ds_load_2addr_b64 v[132:135], v126 offset0:46 offset1:47
	v_pk_add_f32 v[88:89], v[88:89], v[138:139] neg_lo:[0,1] neg_hi:[0,1]
	v_pk_add_f32 v[18:19], v[18:19], v[136:137] neg_lo:[0,1] neg_hi:[0,1]
	s_wait_dscnt 0x0
	v_dual_mul_f32 v136, v133, v125 :: v_dual_mul_f32 v138, v133, v122
	s_delay_alu instid0(VALU_DEP_1) | instskip(NEXT) | instid1(VALU_DEP_2)
	v_pk_fma_f32 v[136:137], v[132:133], v[50:51], v[136:137] op_sel_hi:[1,1,0] neg_lo:[0,0,1] neg_hi:[0,0,1]
	v_pk_fma_f32 v[132:133], v[132:133], v[50:51], v[138:139] op_sel:[1,0,0] op_sel_hi:[0,1,0]
	s_delay_alu instid0(VALU_DEP_1) | instskip(SKIP_1) | instid1(VALU_DEP_2)
	v_mov_b32_e32 v137, v133
	v_pk_mul_f32 v[132:133], v[134:135], v[124:125] op_sel:[0,1]
	v_pk_add_f32 v[20:21], v[20:21], v[136:137] neg_lo:[0,1] neg_hi:[0,1]
	s_delay_alu instid0(VALU_DEP_2) | instskip(SKIP_1) | instid1(VALU_DEP_1)
	v_pk_fma_f32 v[136:137], v[134:135], v[122:123], v[132:133] op_sel:[0,0,1] op_sel_hi:[1,1,0] neg_lo:[0,0,1] neg_hi:[0,0,1]
	v_pk_fma_f32 v[132:133], v[134:135], v[122:123], v[132:133] op_sel:[0,0,1] op_sel_hi:[1,0,0]
	v_mov_b32_e32 v137, v133
	ds_load_2addr_b64 v[132:135], v126 offset0:48 offset1:49
	v_pk_add_f32 v[16:17], v[16:17], v[136:137] neg_lo:[0,1] neg_hi:[0,1]
	s_wait_dscnt 0x0
	v_pk_mul_f32 v[136:137], v[132:133], v[124:125] op_sel:[0,1]
	s_delay_alu instid0(VALU_DEP_1) | instskip(SKIP_1) | instid1(VALU_DEP_1)
	v_pk_fma_f32 v[138:139], v[132:133], v[122:123], v[136:137] op_sel:[0,0,1] op_sel_hi:[1,1,0] neg_lo:[0,0,1] neg_hi:[0,0,1]
	v_pk_fma_f32 v[132:133], v[132:133], v[122:123], v[136:137] op_sel:[0,0,1] op_sel_hi:[1,0,0]
	v_mov_b32_e32 v139, v133
	v_pk_mul_f32 v[132:133], v[134:135], v[124:125] op_sel:[0,1]
	s_delay_alu instid0(VALU_DEP_2) | instskip(NEXT) | instid1(VALU_DEP_2)
	v_pk_add_f32 v[84:85], v[84:85], v[138:139] neg_lo:[0,1] neg_hi:[0,1]
	v_pk_fma_f32 v[136:137], v[134:135], v[122:123], v[132:133] op_sel:[0,0,1] op_sel_hi:[1,1,0] neg_lo:[0,0,1] neg_hi:[0,0,1]
	v_pk_fma_f32 v[132:133], v[134:135], v[122:123], v[132:133] op_sel:[0,0,1] op_sel_hi:[1,0,0]
	s_delay_alu instid0(VALU_DEP_1) | instskip(SKIP_4) | instid1(VALU_DEP_1)
	v_mov_b32_e32 v137, v133
	ds_load_2addr_b64 v[132:135], v126 offset0:50 offset1:51
	v_pk_add_f32 v[10:11], v[10:11], v[136:137] neg_lo:[0,1] neg_hi:[0,1]
	s_wait_dscnt 0x0
	v_pk_mul_f32 v[136:137], v[132:133], v[124:125] op_sel:[0,1]
	v_pk_fma_f32 v[138:139], v[132:133], v[122:123], v[136:137] op_sel:[0,0,1] op_sel_hi:[1,1,0] neg_lo:[0,0,1] neg_hi:[0,0,1]
	v_pk_fma_f32 v[132:133], v[132:133], v[122:123], v[136:137] op_sel:[0,0,1] op_sel_hi:[1,0,0]
	v_dual_mul_f32 v136, v135, v125 :: v_dual_mov_b32 v132, v135
	s_delay_alu instid0(VALU_DEP_2) | instskip(NEXT) | instid1(VALU_DEP_2)
	v_dual_mov_b32 v139, v133 :: v_dual_mov_b32 v133, v134
	v_pk_fma_f32 v[136:137], v[134:135], v[50:51], v[136:137] op_sel_hi:[1,1,0] neg_lo:[0,0,1] neg_hi:[0,0,1]
	v_mul_f32_e32 v134, v135, v122
	s_delay_alu instid0(VALU_DEP_3) | instskip(NEXT) | instid1(VALU_DEP_2)
	v_pk_add_f32 v[12:13], v[12:13], v[138:139] neg_lo:[0,1] neg_hi:[0,1]
	v_pk_fma_f32 v[132:133], v[132:133], v[50:51], v[134:135] op_sel_hi:[1,1,0]
	s_delay_alu instid0(VALU_DEP_1) | instskip(SKIP_4) | instid1(VALU_DEP_1)
	v_mov_b32_e32 v137, v133
	ds_load_2addr_b64 v[132:135], v126 offset0:52 offset1:53
	v_pk_add_f32 v[8:9], v[8:9], v[136:137] neg_lo:[0,1] neg_hi:[0,1]
	s_wait_dscnt 0x0
	v_pk_mul_f32 v[136:137], v[132:133], v[124:125] op_sel:[0,1]
	v_pk_fma_f32 v[138:139], v[132:133], v[122:123], v[136:137] op_sel:[0,0,1] op_sel_hi:[1,1,0] neg_lo:[0,0,1] neg_hi:[0,0,1]
	v_pk_fma_f32 v[132:133], v[132:133], v[122:123], v[136:137] op_sel:[0,0,1] op_sel_hi:[1,0,0]
	s_delay_alu instid0(VALU_DEP_1) | instskip(SKIP_1) | instid1(VALU_DEP_1)
	v_mov_b32_e32 v139, v133
	v_pk_mul_f32 v[132:133], v[134:135], v[124:125] op_sel:[0,1]
	v_pk_fma_f32 v[136:137], v[134:135], v[122:123], v[132:133] op_sel:[0,0,1] op_sel_hi:[1,1,0] neg_lo:[0,0,1] neg_hi:[0,0,1]
	v_pk_fma_f32 v[132:133], v[134:135], v[122:123], v[132:133] op_sel:[0,0,1] op_sel_hi:[1,0,0]
	s_delay_alu instid0(VALU_DEP_1)
	v_mov_b32_e32 v137, v133
	ds_load_2addr_b64 v[132:135], v126 offset0:54 offset1:55
	v_pk_add_f32 v[60:61], v[60:61], v[138:139] neg_lo:[0,1] neg_hi:[0,1]
	v_pk_add_f32 v[6:7], v[6:7], v[136:137] neg_lo:[0,1] neg_hi:[0,1]
	s_wait_dscnt 0x0
	v_pk_mul_f32 v[136:137], v[132:133], v[124:125] op_sel:[0,1]
	s_delay_alu instid0(VALU_DEP_1) | instskip(SKIP_1) | instid1(VALU_DEP_1)
	v_pk_fma_f32 v[138:139], v[132:133], v[122:123], v[136:137] op_sel:[0,0,1] op_sel_hi:[1,1,0] neg_lo:[0,0,1] neg_hi:[0,0,1]
	v_pk_fma_f32 v[132:133], v[132:133], v[122:123], v[136:137] op_sel:[0,0,1] op_sel_hi:[1,0,0]
	v_mov_b32_e32 v139, v133
	v_pk_mul_f32 v[132:133], v[134:135], v[124:125] op_sel:[0,1]
	s_delay_alu instid0(VALU_DEP_1) | instskip(SKIP_1) | instid1(VALU_DEP_1)
	v_pk_fma_f32 v[136:137], v[134:135], v[122:123], v[132:133] op_sel:[0,0,1] op_sel_hi:[1,1,0] neg_lo:[0,0,1] neg_hi:[0,0,1]
	v_pk_fma_f32 v[132:133], v[134:135], v[122:123], v[132:133] op_sel:[0,0,1] op_sel_hi:[1,0,0]
	v_mov_b32_e32 v137, v133
	ds_load_2addr_b64 v[132:135], v126 offset0:56 offset1:57
	v_pk_add_f32 v[42:43], v[42:43], v[138:139] neg_lo:[0,1] neg_hi:[0,1]
	v_pk_add_f32 v[28:29], v[28:29], v[136:137] neg_lo:[0,1] neg_hi:[0,1]
	s_wait_dscnt 0x0
	v_mul_f32_e32 v124, v133, v125
	s_delay_alu instid0(VALU_DEP_1) | instskip(SKIP_1) | instid1(VALU_DEP_1)
	v_pk_fma_f32 v[136:137], v[132:133], v[50:51], v[124:125] op_sel_hi:[1,1,0] neg_lo:[0,0,1] neg_hi:[0,0,1]
	v_dual_mul_f32 v124, v133, v122 :: v_dual_mul_f32 v122, v135, v122
	v_pk_fma_f32 v[132:133], v[132:133], v[50:51], v[124:125] op_sel:[1,0,0] op_sel_hi:[0,1,0]
	v_dual_mov_b32 v132, v135 :: v_dual_mul_f32 v124, v135, v125
	s_delay_alu instid0(VALU_DEP_2) | instskip(NEXT) | instid1(VALU_DEP_2)
	v_dual_mov_b32 v137, v133 :: v_dual_mov_b32 v133, v134
	v_pk_fma_f32 v[124:125], v[134:135], v[50:51], v[124:125] op_sel_hi:[1,1,0] neg_lo:[0,0,1] neg_hi:[0,0,1]
	s_delay_alu instid0(VALU_DEP_2) | instskip(NEXT) | instid1(VALU_DEP_3)
	v_pk_add_f32 v[14:15], v[14:15], v[136:137] neg_lo:[0,1] neg_hi:[0,1]
	v_pk_fma_f32 v[122:123], v[132:133], v[50:51], v[122:123] op_sel_hi:[1,1,0]
	s_delay_alu instid0(VALU_DEP_1) | instskip(NEXT) | instid1(VALU_DEP_1)
	v_mov_b32_e32 v125, v123
	v_pk_add_f32 v[120:121], v[120:121], v[124:125] neg_lo:[0,1] neg_hi:[0,1]
.LBB114_587:
	s_or_b32 exec_lo, exec_lo, s0
	v_lshl_add_u32 v122, v130, 3, v126
	s_barrier_signal -1
	s_barrier_wait -1
	ds_store_b64 v122, v[96:97]
	s_wait_dscnt 0x0
	s_barrier_signal -1
	s_barrier_wait -1
	ds_load_b64 v[124:125], v126 offset:224
	v_mov_b32_e32 v122, 28
	s_cmp_lt_i32 s18, 30
	s_cbranch_scc1 .LBB114_590
; %bb.588:
	v_add3_u32 v123, v127, 0, 0xe8
	v_mov_b32_e32 v122, 28
	s_mov_b32 s0, 29
.LBB114_589:                            ; =>This Inner Loop Header: Depth=1
	ds_load_b64 v[132:133], v123
	s_wait_dscnt 0x1
	v_cmp_gt_f32_e32 vcc_lo, 0, v124
	v_cndmask_b32_e64 v134, v124, -v124, vcc_lo
	v_cmp_gt_f32_e32 vcc_lo, 0, v125
	v_cndmask_b32_e64 v136, v125, -v125, vcc_lo
	s_wait_dscnt 0x0
	v_cmp_gt_f32_e32 vcc_lo, 0, v132
	v_cndmask_b32_e64 v135, v132, -v132, vcc_lo
	v_cmp_gt_f32_e32 vcc_lo, 0, v133
	v_cndmask_b32_e64 v137, v133, -v133, vcc_lo
	s_delay_alu instid0(VALU_DEP_1) | instskip(NEXT) | instid1(VALU_DEP_1)
	v_pk_add_f32 v[134:135], v[134:135], v[136:137]
	v_cmp_lt_f32_e32 vcc_lo, v134, v135
	v_dual_add_nc_u32 v123, 8, v123 :: v_dual_cndmask_b32 v125, v125, v133, vcc_lo
	v_cndmask_b32_e32 v124, v124, v132, vcc_lo
	v_cndmask_b32_e64 v122, v122, s0, vcc_lo
	s_add_co_i32 s0, s0, 1
	s_delay_alu instid0(SALU_CYCLE_1)
	s_cmp_lg_u32 s18, s0
	s_cbranch_scc1 .LBB114_589
.LBB114_590:
	s_wait_dscnt 0x0
	v_cmp_eq_f32_e32 vcc_lo, 0, v124
	v_cmp_eq_f32_e64 s0, 0, v125
	s_and_b32 s0, vcc_lo, s0
	s_delay_alu instid0(SALU_CYCLE_1) | instskip(NEXT) | instid1(SALU_CYCLE_1)
	s_and_saveexec_b32 s1, s0
	s_xor_b32 s0, exec_lo, s1
; %bb.591:
	v_cmp_ne_u32_e32 vcc_lo, 0, v128
	v_cndmask_b32_e32 v128, 29, v128, vcc_lo
; %bb.592:
	s_and_not1_saveexec_b32 s0, s0
	s_cbranch_execz .LBB114_598
; %bb.593:
	v_cmp_ngt_f32_e64 s1, |v124|, |v125|
	s_and_saveexec_b32 s12, s1
	s_delay_alu instid0(SALU_CYCLE_1)
	s_xor_b32 s1, exec_lo, s12
	s_cbranch_execz .LBB114_595
; %bb.594:
	v_div_scale_f32 v123, null, v125, v125, v124
	v_div_scale_f32 v133, vcc_lo, v124, v125, v124
	s_delay_alu instid0(VALU_DEP_2) | instskip(SKIP_1) | instid1(TRANS32_DEP_1)
	v_rcp_f32_e32 v131, v123
	v_nop
	v_fma_f32 v132, -v123, v131, 1.0
	s_delay_alu instid0(VALU_DEP_1) | instskip(NEXT) | instid1(VALU_DEP_1)
	v_fmac_f32_e32 v131, v132, v131
	v_mul_f32_e32 v132, v133, v131
	s_delay_alu instid0(VALU_DEP_1) | instskip(NEXT) | instid1(VALU_DEP_1)
	v_fma_f32 v134, -v123, v132, v133
	v_fmac_f32_e32 v132, v134, v131
	s_delay_alu instid0(VALU_DEP_1) | instskip(NEXT) | instid1(VALU_DEP_1)
	v_fma_f32 v123, -v123, v132, v133
	v_div_fmas_f32 v123, v123, v131, v132
	s_delay_alu instid0(VALU_DEP_1) | instskip(NEXT) | instid1(VALU_DEP_1)
	v_div_fixup_f32 v123, v123, v125, v124
	v_fmac_f32_e32 v125, v124, v123
	s_delay_alu instid0(VALU_DEP_1) | instskip(SKIP_1) | instid1(VALU_DEP_2)
	v_div_scale_f32 v124, null, v125, v125, 1.0
	v_div_scale_f32 v133, vcc_lo, 1.0, v125, 1.0
	v_rcp_f32_e32 v131, v124
	v_nop
	s_delay_alu instid0(TRANS32_DEP_1) | instskip(NEXT) | instid1(VALU_DEP_1)
	v_fma_f32 v132, -v124, v131, 1.0
	v_fmac_f32_e32 v131, v132, v131
	s_delay_alu instid0(VALU_DEP_1) | instskip(NEXT) | instid1(VALU_DEP_1)
	v_mul_f32_e32 v132, v133, v131
	v_fma_f32 v134, -v124, v132, v133
	s_delay_alu instid0(VALU_DEP_1) | instskip(NEXT) | instid1(VALU_DEP_1)
	v_fmac_f32_e32 v132, v134, v131
	v_fma_f32 v124, -v124, v132, v133
	s_delay_alu instid0(VALU_DEP_1) | instskip(NEXT) | instid1(VALU_DEP_1)
	v_div_fmas_f32 v124, v124, v131, v132
	v_div_fixup_f32 v125, v124, v125, 1.0
	s_delay_alu instid0(VALU_DEP_1)
	v_mul_f32_e32 v124, v123, v125
	v_xor_b32_e32 v125, 0x80000000, v125
.LBB114_595:
	s_and_not1_saveexec_b32 s1, s1
	s_cbranch_execz .LBB114_597
; %bb.596:
	s_delay_alu instid0(VALU_DEP_1) | instskip(SKIP_1) | instid1(VALU_DEP_2)
	v_div_scale_f32 v123, null, v124, v124, v125
	v_div_scale_f32 v133, vcc_lo, v125, v124, v125
	v_rcp_f32_e32 v131, v123
	v_nop
	s_delay_alu instid0(TRANS32_DEP_1) | instskip(NEXT) | instid1(VALU_DEP_1)
	v_fma_f32 v132, -v123, v131, 1.0
	v_fmac_f32_e32 v131, v132, v131
	s_delay_alu instid0(VALU_DEP_1) | instskip(NEXT) | instid1(VALU_DEP_1)
	v_mul_f32_e32 v132, v133, v131
	v_fma_f32 v134, -v123, v132, v133
	s_delay_alu instid0(VALU_DEP_1) | instskip(NEXT) | instid1(VALU_DEP_1)
	v_fmac_f32_e32 v132, v134, v131
	v_fma_f32 v123, -v123, v132, v133
	s_delay_alu instid0(VALU_DEP_1) | instskip(NEXT) | instid1(VALU_DEP_1)
	v_div_fmas_f32 v123, v123, v131, v132
	v_div_fixup_f32 v123, v123, v124, v125
	s_delay_alu instid0(VALU_DEP_1) | instskip(NEXT) | instid1(VALU_DEP_1)
	v_fmac_f32_e32 v124, v125, v123
	v_div_scale_f32 v125, null, v124, v124, 1.0
	s_delay_alu instid0(VALU_DEP_1) | instskip(SKIP_1) | instid1(TRANS32_DEP_1)
	v_rcp_f32_e32 v131, v125
	v_nop
	v_fma_f32 v132, -v125, v131, 1.0
	s_delay_alu instid0(VALU_DEP_1) | instskip(SKIP_1) | instid1(VALU_DEP_1)
	v_fmac_f32_e32 v131, v132, v131
	v_div_scale_f32 v132, vcc_lo, 1.0, v124, 1.0
	v_mul_f32_e32 v133, v132, v131
	s_delay_alu instid0(VALU_DEP_1) | instskip(NEXT) | instid1(VALU_DEP_1)
	v_fma_f32 v134, -v125, v133, v132
	v_fmac_f32_e32 v133, v134, v131
	s_delay_alu instid0(VALU_DEP_1) | instskip(NEXT) | instid1(VALU_DEP_1)
	v_fma_f32 v125, -v125, v133, v132
	v_div_fmas_f32 v125, v125, v131, v133
	s_delay_alu instid0(VALU_DEP_1) | instskip(NEXT) | instid1(VALU_DEP_1)
	v_div_fixup_f32 v124, v125, v124, 1.0
	v_mul_f32_e64 v125, v123, -v124
.LBB114_597:
	s_or_b32 exec_lo, exec_lo, s1
.LBB114_598:
	s_delay_alu instid0(SALU_CYCLE_1) | instskip(NEXT) | instid1(SALU_CYCLE_1)
	s_or_b32 exec_lo, exec_lo, s0
	s_mov_b32 s0, exec_lo
	v_cmpx_ne_u32_e64 v130, v122
	s_xor_b32 s0, exec_lo, s0
	s_cbranch_execz .LBB114_604
; %bb.599:
	s_mov_b32 s1, exec_lo
	v_cmpx_eq_u32_e32 28, v130
	s_cbranch_execz .LBB114_603
; %bb.600:
	v_cmp_ne_u32_e32 vcc_lo, 28, v122
	s_xor_b32 s12, s16, -1
	s_delay_alu instid0(SALU_CYCLE_1) | instskip(NEXT) | instid1(SALU_CYCLE_1)
	s_and_b32 s13, s12, vcc_lo
	s_and_saveexec_b32 s12, s13
	s_cbranch_execz .LBB114_602
; %bb.601:
	v_ashrrev_i32_e32 v123, 31, v122
	s_delay_alu instid0(VALU_DEP_1)
	v_lshl_add_u64 v[130:131], v[122:123], 2, v[4:5]
	s_clause 0x1
	global_load_b32 v123, v[130:131], off
	global_load_b32 v129, v[4:5], off offset:112
	s_wait_loadcnt 0x1
	global_store_b32 v[4:5], v123, off offset:112
	s_wait_loadcnt 0x0
	global_store_b32 v[130:131], v129, off
.LBB114_602:
	s_wait_xcnt 0x0
	s_or_b32 exec_lo, exec_lo, s12
	v_dual_mov_b32 v130, v122 :: v_dual_mov_b32 v129, v122
.LBB114_603:
	s_or_b32 exec_lo, exec_lo, s1
.LBB114_604:
	s_and_not1_saveexec_b32 s0, s0
	s_cbranch_execz .LBB114_606
; %bb.605:
	v_mov_b32_e32 v130, 28
	ds_store_2addr_b64 v126, v[46:47], v[48:49] offset0:29 offset1:30
	ds_store_2addr_b64 v126, v[44:45], v[94:95] offset0:31 offset1:32
	;; [unrolled: 1-line block ×14, first 2 shown]
	ds_store_b64 v126, v[120:121] offset:456
.LBB114_606:
	s_or_b32 exec_lo, exec_lo, s0
	s_delay_alu instid0(SALU_CYCLE_1)
	s_mov_b32 s0, exec_lo
	s_wait_storecnt_dscnt 0x0
	s_barrier_signal -1
	s_barrier_wait -1
	v_cmpx_lt_i32_e32 28, v130
	s_cbranch_execz .LBB114_608
; %bb.607:
	v_pk_mul_f32 v[132:133], v[124:125], v[96:97] op_sel:[1,1] op_sel_hi:[0,1]
	s_delay_alu instid0(VALU_DEP_1)
	v_pk_fma_f32 v[122:123], v[124:125], v[96:97], v[132:133] op_sel_hi:[1,0,1] neg_lo:[0,0,1] neg_hi:[0,0,1]
	v_pk_fma_f32 v[124:125], v[124:125], v[96:97], v[132:133] op_sel_hi:[1,0,1]
	ds_load_2addr_b64 v[132:135], v126 offset0:29 offset1:30
	v_dual_mov_b32 v96, v122 :: v_dual_mov_b32 v97, v125
	s_wait_dscnt 0x0
	v_pk_mul_f32 v[136:137], v[132:133], v[124:125] op_sel:[0,1]
	s_delay_alu instid0(VALU_DEP_1) | instskip(SKIP_1) | instid1(VALU_DEP_1)
	v_pk_fma_f32 v[138:139], v[132:133], v[122:123], v[136:137] op_sel:[0,0,1] op_sel_hi:[1,1,0] neg_lo:[0,0,1] neg_hi:[0,0,1]
	v_pk_fma_f32 v[132:133], v[132:133], v[122:123], v[136:137] op_sel:[0,0,1] op_sel_hi:[1,0,0]
	v_mov_b32_e32 v139, v133
	v_pk_mul_f32 v[132:133], v[134:135], v[124:125] op_sel:[0,1]
	s_delay_alu instid0(VALU_DEP_1) | instskip(SKIP_1) | instid1(VALU_DEP_1)
	v_pk_fma_f32 v[136:137], v[134:135], v[122:123], v[132:133] op_sel:[0,0,1] op_sel_hi:[1,1,0] neg_lo:[0,0,1] neg_hi:[0,0,1]
	v_pk_fma_f32 v[132:133], v[134:135], v[122:123], v[132:133] op_sel:[0,0,1] op_sel_hi:[1,0,0]
	v_mov_b32_e32 v137, v133
	ds_load_2addr_b64 v[132:135], v126 offset0:31 offset1:32
	v_pk_add_f32 v[46:47], v[46:47], v[138:139] neg_lo:[0,1] neg_hi:[0,1]
	v_pk_add_f32 v[48:49], v[48:49], v[136:137] neg_lo:[0,1] neg_hi:[0,1]
	s_wait_dscnt 0x0
	v_pk_mul_f32 v[136:137], v[132:133], v[124:125] op_sel:[0,1]
	s_delay_alu instid0(VALU_DEP_1) | instskip(SKIP_2) | instid1(VALU_DEP_2)
	v_pk_fma_f32 v[138:139], v[132:133], v[122:123], v[136:137] op_sel:[0,0,1] op_sel_hi:[1,1,0] neg_lo:[0,0,1] neg_hi:[0,0,1]
	v_pk_fma_f32 v[132:133], v[132:133], v[122:123], v[136:137] op_sel:[0,0,1] op_sel_hi:[1,0,0]
	v_dual_mul_f32 v136, v135, v125 :: v_dual_mov_b32 v132, v135
	v_dual_mov_b32 v139, v133 :: v_dual_mov_b32 v133, v134
	s_delay_alu instid0(VALU_DEP_2) | instskip(SKIP_1) | instid1(VALU_DEP_3)
	v_pk_fma_f32 v[136:137], v[134:135], v[96:97], v[136:137] op_sel_hi:[1,1,0] neg_lo:[0,0,1] neg_hi:[0,0,1]
	v_mul_f32_e32 v134, v135, v122
	v_pk_add_f32 v[44:45], v[44:45], v[138:139] neg_lo:[0,1] neg_hi:[0,1]
	s_delay_alu instid0(VALU_DEP_2) | instskip(NEXT) | instid1(VALU_DEP_1)
	v_pk_fma_f32 v[132:133], v[132:133], v[96:97], v[134:135] op_sel_hi:[1,1,0]
	v_mov_b32_e32 v137, v133
	ds_load_2addr_b64 v[132:135], v126 offset0:33 offset1:34
	v_pk_add_f32 v[94:95], v[94:95], v[136:137] neg_lo:[0,1] neg_hi:[0,1]
	s_wait_dscnt 0x0
	v_pk_mul_f32 v[136:137], v[132:133], v[124:125] op_sel:[0,1]
	s_delay_alu instid0(VALU_DEP_1) | instskip(SKIP_1) | instid1(VALU_DEP_1)
	v_pk_fma_f32 v[138:139], v[132:133], v[122:123], v[136:137] op_sel:[0,0,1] op_sel_hi:[1,1,0] neg_lo:[0,0,1] neg_hi:[0,0,1]
	v_pk_fma_f32 v[132:133], v[132:133], v[122:123], v[136:137] op_sel:[0,0,1] op_sel_hi:[1,0,0]
	v_mov_b32_e32 v139, v133
	v_pk_mul_f32 v[132:133], v[134:135], v[124:125] op_sel:[0,1]
	s_delay_alu instid0(VALU_DEP_1) | instskip(SKIP_1) | instid1(VALU_DEP_1)
	v_pk_fma_f32 v[136:137], v[134:135], v[122:123], v[132:133] op_sel:[0,0,1] op_sel_hi:[1,1,0] neg_lo:[0,0,1] neg_hi:[0,0,1]
	v_pk_fma_f32 v[132:133], v[134:135], v[122:123], v[132:133] op_sel:[0,0,1] op_sel_hi:[1,0,0]
	v_mov_b32_e32 v137, v133
	ds_load_2addr_b64 v[132:135], v126 offset0:35 offset1:36
	v_pk_add_f32 v[38:39], v[38:39], v[138:139] neg_lo:[0,1] neg_hi:[0,1]
	v_pk_add_f32 v[40:41], v[40:41], v[136:137] neg_lo:[0,1] neg_hi:[0,1]
	s_wait_dscnt 0x0
	v_pk_mul_f32 v[136:137], v[132:133], v[124:125] op_sel:[0,1]
	s_delay_alu instid0(VALU_DEP_1) | instskip(SKIP_1) | instid1(VALU_DEP_1)
	v_pk_fma_f32 v[138:139], v[132:133], v[122:123], v[136:137] op_sel:[0,0,1] op_sel_hi:[1,1,0] neg_lo:[0,0,1] neg_hi:[0,0,1]
	v_pk_fma_f32 v[132:133], v[132:133], v[122:123], v[136:137] op_sel:[0,0,1] op_sel_hi:[1,0,0]
	v_mov_b32_e32 v139, v133
	v_pk_mul_f32 v[132:133], v[134:135], v[124:125] op_sel:[0,1]
	s_delay_alu instid0(VALU_DEP_1) | instskip(SKIP_1) | instid1(VALU_DEP_1)
	v_pk_fma_f32 v[136:137], v[134:135], v[122:123], v[132:133] op_sel:[0,0,1] op_sel_hi:[1,1,0] neg_lo:[0,0,1] neg_hi:[0,0,1]
	v_pk_fma_f32 v[132:133], v[134:135], v[122:123], v[132:133] op_sel:[0,0,1] op_sel_hi:[1,0,0]
	v_mov_b32_e32 v137, v133
	ds_load_2addr_b64 v[132:135], v126 offset0:37 offset1:38
	v_pk_add_f32 v[36:37], v[36:37], v[138:139] neg_lo:[0,1] neg_hi:[0,1]
	v_pk_add_f32 v[92:93], v[92:93], v[136:137] neg_lo:[0,1] neg_hi:[0,1]
	s_wait_dscnt 0x0
	v_dual_mul_f32 v136, v133, v125 :: v_dual_mul_f32 v138, v133, v122
	s_delay_alu instid0(VALU_DEP_1) | instskip(NEXT) | instid1(VALU_DEP_2)
	v_pk_fma_f32 v[136:137], v[132:133], v[96:97], v[136:137] op_sel_hi:[1,1,0] neg_lo:[0,0,1] neg_hi:[0,0,1]
	v_pk_fma_f32 v[132:133], v[132:133], v[96:97], v[138:139] op_sel:[1,0,0] op_sel_hi:[0,1,0]
	s_delay_alu instid0(VALU_DEP_1) | instskip(SKIP_1) | instid1(VALU_DEP_2)
	v_mov_b32_e32 v137, v133
	v_pk_mul_f32 v[132:133], v[134:135], v[124:125] op_sel:[0,1]
	v_pk_add_f32 v[32:33], v[32:33], v[136:137] neg_lo:[0,1] neg_hi:[0,1]
	s_delay_alu instid0(VALU_DEP_2) | instskip(SKIP_1) | instid1(VALU_DEP_1)
	v_pk_fma_f32 v[136:137], v[134:135], v[122:123], v[132:133] op_sel:[0,0,1] op_sel_hi:[1,1,0] neg_lo:[0,0,1] neg_hi:[0,0,1]
	v_pk_fma_f32 v[132:133], v[134:135], v[122:123], v[132:133] op_sel:[0,0,1] op_sel_hi:[1,0,0]
	v_mov_b32_e32 v137, v133
	ds_load_2addr_b64 v[132:135], v126 offset0:39 offset1:40
	v_pk_add_f32 v[34:35], v[34:35], v[136:137] neg_lo:[0,1] neg_hi:[0,1]
	s_wait_dscnt 0x0
	v_pk_mul_f32 v[136:137], v[132:133], v[124:125] op_sel:[0,1]
	s_delay_alu instid0(VALU_DEP_1) | instskip(SKIP_1) | instid1(VALU_DEP_1)
	v_pk_fma_f32 v[138:139], v[132:133], v[122:123], v[136:137] op_sel:[0,0,1] op_sel_hi:[1,1,0] neg_lo:[0,0,1] neg_hi:[0,0,1]
	v_pk_fma_f32 v[132:133], v[132:133], v[122:123], v[136:137] op_sel:[0,0,1] op_sel_hi:[1,0,0]
	v_mov_b32_e32 v139, v133
	v_pk_mul_f32 v[132:133], v[134:135], v[124:125] op_sel:[0,1]
	s_delay_alu instid0(VALU_DEP_2) | instskip(NEXT) | instid1(VALU_DEP_2)
	v_pk_add_f32 v[30:31], v[30:31], v[138:139] neg_lo:[0,1] neg_hi:[0,1]
	v_pk_fma_f32 v[136:137], v[134:135], v[122:123], v[132:133] op_sel:[0,0,1] op_sel_hi:[1,1,0] neg_lo:[0,0,1] neg_hi:[0,0,1]
	v_pk_fma_f32 v[132:133], v[134:135], v[122:123], v[132:133] op_sel:[0,0,1] op_sel_hi:[1,0,0]
	s_delay_alu instid0(VALU_DEP_1) | instskip(SKIP_4) | instid1(VALU_DEP_1)
	v_mov_b32_e32 v137, v133
	ds_load_2addr_b64 v[132:135], v126 offset0:41 offset1:42
	v_pk_add_f32 v[90:91], v[90:91], v[136:137] neg_lo:[0,1] neg_hi:[0,1]
	s_wait_dscnt 0x0
	v_pk_mul_f32 v[136:137], v[132:133], v[124:125] op_sel:[0,1]
	v_pk_fma_f32 v[138:139], v[132:133], v[122:123], v[136:137] op_sel:[0,0,1] op_sel_hi:[1,1,0] neg_lo:[0,0,1] neg_hi:[0,0,1]
	v_pk_fma_f32 v[132:133], v[132:133], v[122:123], v[136:137] op_sel:[0,0,1] op_sel_hi:[1,0,0]
	v_dual_mul_f32 v136, v135, v125 :: v_dual_mov_b32 v132, v135
	s_delay_alu instid0(VALU_DEP_2) | instskip(NEXT) | instid1(VALU_DEP_2)
	v_dual_mov_b32 v139, v133 :: v_dual_mov_b32 v133, v134
	v_pk_fma_f32 v[136:137], v[134:135], v[96:97], v[136:137] op_sel_hi:[1,1,0] neg_lo:[0,0,1] neg_hi:[0,0,1]
	v_mul_f32_e32 v134, v135, v122
	s_delay_alu instid0(VALU_DEP_3) | instskip(NEXT) | instid1(VALU_DEP_2)
	v_pk_add_f32 v[24:25], v[24:25], v[138:139] neg_lo:[0,1] neg_hi:[0,1]
	v_pk_fma_f32 v[132:133], v[132:133], v[96:97], v[134:135] op_sel_hi:[1,1,0]
	s_delay_alu instid0(VALU_DEP_1) | instskip(SKIP_4) | instid1(VALU_DEP_1)
	v_mov_b32_e32 v137, v133
	ds_load_2addr_b64 v[132:135], v126 offset0:43 offset1:44
	v_pk_add_f32 v[26:27], v[26:27], v[136:137] neg_lo:[0,1] neg_hi:[0,1]
	s_wait_dscnt 0x0
	v_pk_mul_f32 v[136:137], v[132:133], v[124:125] op_sel:[0,1]
	v_pk_fma_f32 v[138:139], v[132:133], v[122:123], v[136:137] op_sel:[0,0,1] op_sel_hi:[1,1,0] neg_lo:[0,0,1] neg_hi:[0,0,1]
	v_pk_fma_f32 v[132:133], v[132:133], v[122:123], v[136:137] op_sel:[0,0,1] op_sel_hi:[1,0,0]
	s_delay_alu instid0(VALU_DEP_1) | instskip(SKIP_1) | instid1(VALU_DEP_1)
	v_mov_b32_e32 v139, v133
	v_pk_mul_f32 v[132:133], v[134:135], v[124:125] op_sel:[0,1]
	v_pk_fma_f32 v[136:137], v[134:135], v[122:123], v[132:133] op_sel:[0,0,1] op_sel_hi:[1,1,0] neg_lo:[0,0,1] neg_hi:[0,0,1]
	v_pk_fma_f32 v[132:133], v[134:135], v[122:123], v[132:133] op_sel:[0,0,1] op_sel_hi:[1,0,0]
	s_delay_alu instid0(VALU_DEP_1)
	v_mov_b32_e32 v137, v133
	ds_load_2addr_b64 v[132:135], v126 offset0:45 offset1:46
	v_pk_add_f32 v[22:23], v[22:23], v[138:139] neg_lo:[0,1] neg_hi:[0,1]
	v_pk_add_f32 v[88:89], v[88:89], v[136:137] neg_lo:[0,1] neg_hi:[0,1]
	s_wait_dscnt 0x0
	v_pk_mul_f32 v[136:137], v[132:133], v[124:125] op_sel:[0,1]
	s_delay_alu instid0(VALU_DEP_1) | instskip(SKIP_1) | instid1(VALU_DEP_1)
	v_pk_fma_f32 v[138:139], v[132:133], v[122:123], v[136:137] op_sel:[0,0,1] op_sel_hi:[1,1,0] neg_lo:[0,0,1] neg_hi:[0,0,1]
	v_pk_fma_f32 v[132:133], v[132:133], v[122:123], v[136:137] op_sel:[0,0,1] op_sel_hi:[1,0,0]
	v_mov_b32_e32 v139, v133
	v_pk_mul_f32 v[132:133], v[134:135], v[124:125] op_sel:[0,1]
	s_delay_alu instid0(VALU_DEP_1) | instskip(SKIP_1) | instid1(VALU_DEP_1)
	v_pk_fma_f32 v[136:137], v[134:135], v[122:123], v[132:133] op_sel:[0,0,1] op_sel_hi:[1,1,0] neg_lo:[0,0,1] neg_hi:[0,0,1]
	v_pk_fma_f32 v[132:133], v[134:135], v[122:123], v[132:133] op_sel:[0,0,1] op_sel_hi:[1,0,0]
	v_mov_b32_e32 v137, v133
	ds_load_2addr_b64 v[132:135], v126 offset0:47 offset1:48
	v_pk_add_f32 v[18:19], v[18:19], v[138:139] neg_lo:[0,1] neg_hi:[0,1]
	v_pk_add_f32 v[20:21], v[20:21], v[136:137] neg_lo:[0,1] neg_hi:[0,1]
	s_wait_dscnt 0x0
	v_dual_mul_f32 v136, v133, v125 :: v_dual_mul_f32 v138, v133, v122
	s_delay_alu instid0(VALU_DEP_1) | instskip(NEXT) | instid1(VALU_DEP_2)
	v_pk_fma_f32 v[136:137], v[132:133], v[96:97], v[136:137] op_sel_hi:[1,1,0] neg_lo:[0,0,1] neg_hi:[0,0,1]
	v_pk_fma_f32 v[132:133], v[132:133], v[96:97], v[138:139] op_sel:[1,0,0] op_sel_hi:[0,1,0]
	s_delay_alu instid0(VALU_DEP_1) | instskip(SKIP_1) | instid1(VALU_DEP_2)
	v_mov_b32_e32 v137, v133
	v_pk_mul_f32 v[132:133], v[134:135], v[124:125] op_sel:[0,1]
	v_pk_add_f32 v[16:17], v[16:17], v[136:137] neg_lo:[0,1] neg_hi:[0,1]
	s_delay_alu instid0(VALU_DEP_2) | instskip(SKIP_1) | instid1(VALU_DEP_1)
	v_pk_fma_f32 v[136:137], v[134:135], v[122:123], v[132:133] op_sel:[0,0,1] op_sel_hi:[1,1,0] neg_lo:[0,0,1] neg_hi:[0,0,1]
	v_pk_fma_f32 v[132:133], v[134:135], v[122:123], v[132:133] op_sel:[0,0,1] op_sel_hi:[1,0,0]
	v_mov_b32_e32 v137, v133
	ds_load_2addr_b64 v[132:135], v126 offset0:49 offset1:50
	v_pk_add_f32 v[84:85], v[84:85], v[136:137] neg_lo:[0,1] neg_hi:[0,1]
	s_wait_dscnt 0x0
	v_pk_mul_f32 v[136:137], v[132:133], v[124:125] op_sel:[0,1]
	s_delay_alu instid0(VALU_DEP_1) | instskip(SKIP_1) | instid1(VALU_DEP_1)
	v_pk_fma_f32 v[138:139], v[132:133], v[122:123], v[136:137] op_sel:[0,0,1] op_sel_hi:[1,1,0] neg_lo:[0,0,1] neg_hi:[0,0,1]
	v_pk_fma_f32 v[132:133], v[132:133], v[122:123], v[136:137] op_sel:[0,0,1] op_sel_hi:[1,0,0]
	v_mov_b32_e32 v139, v133
	v_pk_mul_f32 v[132:133], v[134:135], v[124:125] op_sel:[0,1]
	s_delay_alu instid0(VALU_DEP_2) | instskip(NEXT) | instid1(VALU_DEP_2)
	v_pk_add_f32 v[10:11], v[10:11], v[138:139] neg_lo:[0,1] neg_hi:[0,1]
	v_pk_fma_f32 v[136:137], v[134:135], v[122:123], v[132:133] op_sel:[0,0,1] op_sel_hi:[1,1,0] neg_lo:[0,0,1] neg_hi:[0,0,1]
	v_pk_fma_f32 v[132:133], v[134:135], v[122:123], v[132:133] op_sel:[0,0,1] op_sel_hi:[1,0,0]
	s_delay_alu instid0(VALU_DEP_1) | instskip(SKIP_4) | instid1(VALU_DEP_1)
	v_mov_b32_e32 v137, v133
	ds_load_2addr_b64 v[132:135], v126 offset0:51 offset1:52
	v_pk_add_f32 v[12:13], v[12:13], v[136:137] neg_lo:[0,1] neg_hi:[0,1]
	s_wait_dscnt 0x0
	v_pk_mul_f32 v[136:137], v[132:133], v[124:125] op_sel:[0,1]
	v_pk_fma_f32 v[138:139], v[132:133], v[122:123], v[136:137] op_sel:[0,0,1] op_sel_hi:[1,1,0] neg_lo:[0,0,1] neg_hi:[0,0,1]
	v_pk_fma_f32 v[132:133], v[132:133], v[122:123], v[136:137] op_sel:[0,0,1] op_sel_hi:[1,0,0]
	v_dual_mul_f32 v136, v135, v125 :: v_dual_mov_b32 v132, v135
	s_delay_alu instid0(VALU_DEP_2) | instskip(NEXT) | instid1(VALU_DEP_2)
	v_dual_mov_b32 v139, v133 :: v_dual_mov_b32 v133, v134
	v_pk_fma_f32 v[136:137], v[134:135], v[96:97], v[136:137] op_sel_hi:[1,1,0] neg_lo:[0,0,1] neg_hi:[0,0,1]
	v_mul_f32_e32 v134, v135, v122
	s_delay_alu instid0(VALU_DEP_3) | instskip(NEXT) | instid1(VALU_DEP_2)
	v_pk_add_f32 v[8:9], v[8:9], v[138:139] neg_lo:[0,1] neg_hi:[0,1]
	v_pk_fma_f32 v[132:133], v[132:133], v[96:97], v[134:135] op_sel_hi:[1,1,0]
	s_delay_alu instid0(VALU_DEP_1) | instskip(SKIP_4) | instid1(VALU_DEP_1)
	v_mov_b32_e32 v137, v133
	ds_load_2addr_b64 v[132:135], v126 offset0:53 offset1:54
	v_pk_add_f32 v[60:61], v[60:61], v[136:137] neg_lo:[0,1] neg_hi:[0,1]
	s_wait_dscnt 0x0
	v_pk_mul_f32 v[136:137], v[132:133], v[124:125] op_sel:[0,1]
	v_pk_fma_f32 v[138:139], v[132:133], v[122:123], v[136:137] op_sel:[0,0,1] op_sel_hi:[1,1,0] neg_lo:[0,0,1] neg_hi:[0,0,1]
	v_pk_fma_f32 v[132:133], v[132:133], v[122:123], v[136:137] op_sel:[0,0,1] op_sel_hi:[1,0,0]
	s_delay_alu instid0(VALU_DEP_1) | instskip(SKIP_1) | instid1(VALU_DEP_1)
	v_mov_b32_e32 v139, v133
	v_pk_mul_f32 v[132:133], v[134:135], v[124:125] op_sel:[0,1]
	v_pk_fma_f32 v[136:137], v[134:135], v[122:123], v[132:133] op_sel:[0,0,1] op_sel_hi:[1,1,0] neg_lo:[0,0,1] neg_hi:[0,0,1]
	v_pk_fma_f32 v[132:133], v[134:135], v[122:123], v[132:133] op_sel:[0,0,1] op_sel_hi:[1,0,0]
	s_delay_alu instid0(VALU_DEP_1)
	v_mov_b32_e32 v137, v133
	ds_load_2addr_b64 v[132:135], v126 offset0:55 offset1:56
	v_pk_add_f32 v[6:7], v[6:7], v[138:139] neg_lo:[0,1] neg_hi:[0,1]
	v_pk_add_f32 v[42:43], v[42:43], v[136:137] neg_lo:[0,1] neg_hi:[0,1]
	s_wait_dscnt 0x0
	v_pk_mul_f32 v[136:137], v[132:133], v[124:125] op_sel:[0,1]
	s_delay_alu instid0(VALU_DEP_1) | instskip(SKIP_1) | instid1(VALU_DEP_1)
	v_pk_fma_f32 v[138:139], v[132:133], v[122:123], v[136:137] op_sel:[0,0,1] op_sel_hi:[1,1,0] neg_lo:[0,0,1] neg_hi:[0,0,1]
	v_pk_fma_f32 v[132:133], v[132:133], v[122:123], v[136:137] op_sel:[0,0,1] op_sel_hi:[1,0,0]
	v_mov_b32_e32 v139, v133
	v_pk_mul_f32 v[132:133], v[134:135], v[124:125] op_sel:[0,1]
	s_delay_alu instid0(VALU_DEP_1) | instskip(SKIP_1) | instid1(VALU_DEP_1)
	v_pk_fma_f32 v[136:137], v[134:135], v[122:123], v[132:133] op_sel:[0,0,1] op_sel_hi:[1,1,0] neg_lo:[0,0,1] neg_hi:[0,0,1]
	v_pk_fma_f32 v[132:133], v[134:135], v[122:123], v[132:133] op_sel:[0,0,1] op_sel_hi:[1,0,0]
	v_mov_b32_e32 v137, v133
	ds_load_b64 v[132:133], v126 offset:456
	v_pk_add_f32 v[28:29], v[28:29], v[138:139] neg_lo:[0,1] neg_hi:[0,1]
	v_pk_add_f32 v[14:15], v[14:15], v[136:137] neg_lo:[0,1] neg_hi:[0,1]
	s_wait_dscnt 0x0
	v_pk_mul_f32 v[124:125], v[132:133], v[124:125] op_sel:[0,1]
	s_delay_alu instid0(VALU_DEP_1) | instskip(SKIP_1) | instid1(VALU_DEP_1)
	v_pk_fma_f32 v[134:135], v[132:133], v[122:123], v[124:125] op_sel:[0,0,1] op_sel_hi:[1,1,0] neg_lo:[0,0,1] neg_hi:[0,0,1]
	v_pk_fma_f32 v[122:123], v[132:133], v[122:123], v[124:125] op_sel:[0,0,1] op_sel_hi:[1,0,0]
	v_mov_b32_e32 v135, v123
	s_delay_alu instid0(VALU_DEP_1)
	v_pk_add_f32 v[120:121], v[120:121], v[134:135] neg_lo:[0,1] neg_hi:[0,1]
.LBB114_608:
	s_or_b32 exec_lo, exec_lo, s0
	v_lshl_add_u32 v122, v130, 3, v126
	s_barrier_signal -1
	s_barrier_wait -1
	ds_store_b64 v122, v[46:47]
	s_wait_dscnt 0x0
	s_barrier_signal -1
	s_barrier_wait -1
	ds_load_b64 v[124:125], v126 offset:232
	v_mov_b32_e32 v122, 29
	s_cmp_lt_i32 s18, 31
	s_cbranch_scc1 .LBB114_611
; %bb.609:
	v_add3_u32 v123, v127, 0, 0xf0
	v_mov_b32_e32 v122, 29
	s_mov_b32 s0, 30
.LBB114_610:                            ; =>This Inner Loop Header: Depth=1
	ds_load_b64 v[132:133], v123
	s_wait_dscnt 0x1
	v_cmp_gt_f32_e32 vcc_lo, 0, v124
	v_cndmask_b32_e64 v134, v124, -v124, vcc_lo
	v_cmp_gt_f32_e32 vcc_lo, 0, v125
	v_cndmask_b32_e64 v136, v125, -v125, vcc_lo
	s_wait_dscnt 0x0
	v_cmp_gt_f32_e32 vcc_lo, 0, v132
	v_cndmask_b32_e64 v135, v132, -v132, vcc_lo
	v_cmp_gt_f32_e32 vcc_lo, 0, v133
	v_cndmask_b32_e64 v137, v133, -v133, vcc_lo
	s_delay_alu instid0(VALU_DEP_1) | instskip(NEXT) | instid1(VALU_DEP_1)
	v_pk_add_f32 v[134:135], v[134:135], v[136:137]
	v_cmp_lt_f32_e32 vcc_lo, v134, v135
	v_dual_add_nc_u32 v123, 8, v123 :: v_dual_cndmask_b32 v125, v125, v133, vcc_lo
	v_cndmask_b32_e32 v124, v124, v132, vcc_lo
	v_cndmask_b32_e64 v122, v122, s0, vcc_lo
	s_add_co_i32 s0, s0, 1
	s_delay_alu instid0(SALU_CYCLE_1)
	s_cmp_lg_u32 s18, s0
	s_cbranch_scc1 .LBB114_610
.LBB114_611:
	s_wait_dscnt 0x0
	v_cmp_eq_f32_e32 vcc_lo, 0, v124
	v_cmp_eq_f32_e64 s0, 0, v125
	s_and_b32 s0, vcc_lo, s0
	s_delay_alu instid0(SALU_CYCLE_1) | instskip(NEXT) | instid1(SALU_CYCLE_1)
	s_and_saveexec_b32 s1, s0
	s_xor_b32 s0, exec_lo, s1
; %bb.612:
	v_cmp_ne_u32_e32 vcc_lo, 0, v128
	v_cndmask_b32_e32 v128, 30, v128, vcc_lo
; %bb.613:
	s_and_not1_saveexec_b32 s0, s0
	s_cbranch_execz .LBB114_619
; %bb.614:
	v_cmp_ngt_f32_e64 s1, |v124|, |v125|
	s_and_saveexec_b32 s12, s1
	s_delay_alu instid0(SALU_CYCLE_1)
	s_xor_b32 s1, exec_lo, s12
	s_cbranch_execz .LBB114_616
; %bb.615:
	v_div_scale_f32 v123, null, v125, v125, v124
	v_div_scale_f32 v133, vcc_lo, v124, v125, v124
	s_delay_alu instid0(VALU_DEP_2) | instskip(SKIP_1) | instid1(TRANS32_DEP_1)
	v_rcp_f32_e32 v131, v123
	v_nop
	v_fma_f32 v132, -v123, v131, 1.0
	s_delay_alu instid0(VALU_DEP_1) | instskip(NEXT) | instid1(VALU_DEP_1)
	v_fmac_f32_e32 v131, v132, v131
	v_mul_f32_e32 v132, v133, v131
	s_delay_alu instid0(VALU_DEP_1) | instskip(NEXT) | instid1(VALU_DEP_1)
	v_fma_f32 v134, -v123, v132, v133
	v_fmac_f32_e32 v132, v134, v131
	s_delay_alu instid0(VALU_DEP_1) | instskip(NEXT) | instid1(VALU_DEP_1)
	v_fma_f32 v123, -v123, v132, v133
	v_div_fmas_f32 v123, v123, v131, v132
	s_delay_alu instid0(VALU_DEP_1) | instskip(NEXT) | instid1(VALU_DEP_1)
	v_div_fixup_f32 v123, v123, v125, v124
	v_fmac_f32_e32 v125, v124, v123
	s_delay_alu instid0(VALU_DEP_1) | instskip(SKIP_1) | instid1(VALU_DEP_2)
	v_div_scale_f32 v124, null, v125, v125, 1.0
	v_div_scale_f32 v133, vcc_lo, 1.0, v125, 1.0
	v_rcp_f32_e32 v131, v124
	v_nop
	s_delay_alu instid0(TRANS32_DEP_1) | instskip(NEXT) | instid1(VALU_DEP_1)
	v_fma_f32 v132, -v124, v131, 1.0
	v_fmac_f32_e32 v131, v132, v131
	s_delay_alu instid0(VALU_DEP_1) | instskip(NEXT) | instid1(VALU_DEP_1)
	v_mul_f32_e32 v132, v133, v131
	v_fma_f32 v134, -v124, v132, v133
	s_delay_alu instid0(VALU_DEP_1) | instskip(NEXT) | instid1(VALU_DEP_1)
	v_fmac_f32_e32 v132, v134, v131
	v_fma_f32 v124, -v124, v132, v133
	s_delay_alu instid0(VALU_DEP_1) | instskip(NEXT) | instid1(VALU_DEP_1)
	v_div_fmas_f32 v124, v124, v131, v132
	v_div_fixup_f32 v125, v124, v125, 1.0
	s_delay_alu instid0(VALU_DEP_1)
	v_mul_f32_e32 v124, v123, v125
	v_xor_b32_e32 v125, 0x80000000, v125
.LBB114_616:
	s_and_not1_saveexec_b32 s1, s1
	s_cbranch_execz .LBB114_618
; %bb.617:
	s_delay_alu instid0(VALU_DEP_1) | instskip(SKIP_1) | instid1(VALU_DEP_2)
	v_div_scale_f32 v123, null, v124, v124, v125
	v_div_scale_f32 v133, vcc_lo, v125, v124, v125
	v_rcp_f32_e32 v131, v123
	v_nop
	s_delay_alu instid0(TRANS32_DEP_1) | instskip(NEXT) | instid1(VALU_DEP_1)
	v_fma_f32 v132, -v123, v131, 1.0
	v_fmac_f32_e32 v131, v132, v131
	s_delay_alu instid0(VALU_DEP_1) | instskip(NEXT) | instid1(VALU_DEP_1)
	v_mul_f32_e32 v132, v133, v131
	v_fma_f32 v134, -v123, v132, v133
	s_delay_alu instid0(VALU_DEP_1) | instskip(NEXT) | instid1(VALU_DEP_1)
	v_fmac_f32_e32 v132, v134, v131
	v_fma_f32 v123, -v123, v132, v133
	s_delay_alu instid0(VALU_DEP_1) | instskip(NEXT) | instid1(VALU_DEP_1)
	v_div_fmas_f32 v123, v123, v131, v132
	v_div_fixup_f32 v123, v123, v124, v125
	s_delay_alu instid0(VALU_DEP_1) | instskip(NEXT) | instid1(VALU_DEP_1)
	v_fmac_f32_e32 v124, v125, v123
	v_div_scale_f32 v125, null, v124, v124, 1.0
	s_delay_alu instid0(VALU_DEP_1) | instskip(SKIP_1) | instid1(TRANS32_DEP_1)
	v_rcp_f32_e32 v131, v125
	v_nop
	v_fma_f32 v132, -v125, v131, 1.0
	s_delay_alu instid0(VALU_DEP_1) | instskip(SKIP_1) | instid1(VALU_DEP_1)
	v_fmac_f32_e32 v131, v132, v131
	v_div_scale_f32 v132, vcc_lo, 1.0, v124, 1.0
	v_mul_f32_e32 v133, v132, v131
	s_delay_alu instid0(VALU_DEP_1) | instskip(NEXT) | instid1(VALU_DEP_1)
	v_fma_f32 v134, -v125, v133, v132
	v_fmac_f32_e32 v133, v134, v131
	s_delay_alu instid0(VALU_DEP_1) | instskip(NEXT) | instid1(VALU_DEP_1)
	v_fma_f32 v125, -v125, v133, v132
	v_div_fmas_f32 v125, v125, v131, v133
	s_delay_alu instid0(VALU_DEP_1) | instskip(NEXT) | instid1(VALU_DEP_1)
	v_div_fixup_f32 v124, v125, v124, 1.0
	v_mul_f32_e64 v125, v123, -v124
.LBB114_618:
	s_or_b32 exec_lo, exec_lo, s1
.LBB114_619:
	s_delay_alu instid0(SALU_CYCLE_1) | instskip(NEXT) | instid1(SALU_CYCLE_1)
	s_or_b32 exec_lo, exec_lo, s0
	s_mov_b32 s0, exec_lo
	v_cmpx_ne_u32_e64 v130, v122
	s_xor_b32 s0, exec_lo, s0
	s_cbranch_execz .LBB114_625
; %bb.620:
	s_mov_b32 s1, exec_lo
	v_cmpx_eq_u32_e32 29, v130
	s_cbranch_execz .LBB114_624
; %bb.621:
	v_cmp_ne_u32_e32 vcc_lo, 29, v122
	s_xor_b32 s12, s16, -1
	s_delay_alu instid0(SALU_CYCLE_1) | instskip(NEXT) | instid1(SALU_CYCLE_1)
	s_and_b32 s13, s12, vcc_lo
	s_and_saveexec_b32 s12, s13
	s_cbranch_execz .LBB114_623
; %bb.622:
	v_ashrrev_i32_e32 v123, 31, v122
	s_delay_alu instid0(VALU_DEP_1)
	v_lshl_add_u64 v[130:131], v[122:123], 2, v[4:5]
	s_clause 0x1
	global_load_b32 v123, v[130:131], off
	global_load_b32 v129, v[4:5], off offset:116
	s_wait_loadcnt 0x1
	global_store_b32 v[4:5], v123, off offset:116
	s_wait_loadcnt 0x0
	global_store_b32 v[130:131], v129, off
.LBB114_623:
	s_wait_xcnt 0x0
	s_or_b32 exec_lo, exec_lo, s12
	v_dual_mov_b32 v130, v122 :: v_dual_mov_b32 v129, v122
.LBB114_624:
	s_or_b32 exec_lo, exec_lo, s1
.LBB114_625:
	s_and_not1_saveexec_b32 s0, s0
	s_cbranch_execz .LBB114_627
; %bb.626:
	v_dual_mov_b32 v122, v48 :: v_dual_mov_b32 v123, v49
	v_dual_mov_b32 v130, v44 :: v_dual_mov_b32 v131, v45
	ds_store_2addr_b64 v126, v[122:123], v[130:131] offset0:30 offset1:31
	v_dual_mov_b32 v122, v94 :: v_dual_mov_b32 v123, v95
	v_dual_mov_b32 v130, v38 :: v_dual_mov_b32 v131, v39
	ds_store_2addr_b64 v126, v[122:123], v[130:131] offset0:32 offset1:33
	v_dual_mov_b32 v122, v40 :: v_dual_mov_b32 v123, v41
	v_dual_mov_b32 v130, v36 :: v_dual_mov_b32 v131, v37
	ds_store_2addr_b64 v126, v[122:123], v[130:131] offset0:34 offset1:35
	v_dual_mov_b32 v122, v92 :: v_dual_mov_b32 v123, v93
	v_dual_mov_b32 v130, v32 :: v_dual_mov_b32 v131, v33
	ds_store_2addr_b64 v126, v[122:123], v[130:131] offset0:36 offset1:37
	v_dual_mov_b32 v122, v34 :: v_dual_mov_b32 v123, v35
	v_dual_mov_b32 v130, v30 :: v_dual_mov_b32 v131, v31
	ds_store_2addr_b64 v126, v[122:123], v[130:131] offset0:38 offset1:39
	v_dual_mov_b32 v122, v90 :: v_dual_mov_b32 v123, v91
	v_dual_mov_b32 v130, v24 :: v_dual_mov_b32 v131, v25
	ds_store_2addr_b64 v126, v[122:123], v[130:131] offset0:40 offset1:41
	v_dual_mov_b32 v122, v26 :: v_dual_mov_b32 v123, v27
	v_dual_mov_b32 v130, v22 :: v_dual_mov_b32 v131, v23
	ds_store_2addr_b64 v126, v[122:123], v[130:131] offset0:42 offset1:43
	v_dual_mov_b32 v122, v88 :: v_dual_mov_b32 v123, v89
	v_dual_mov_b32 v130, v18 :: v_dual_mov_b32 v131, v19
	ds_store_2addr_b64 v126, v[122:123], v[130:131] offset0:44 offset1:45
	v_dual_mov_b32 v122, v20 :: v_dual_mov_b32 v123, v21
	v_dual_mov_b32 v130, v16 :: v_dual_mov_b32 v131, v17
	ds_store_2addr_b64 v126, v[122:123], v[130:131] offset0:46 offset1:47
	v_dual_mov_b32 v122, v84 :: v_dual_mov_b32 v123, v85
	v_dual_mov_b32 v130, v10 :: v_dual_mov_b32 v131, v11
	ds_store_2addr_b64 v126, v[122:123], v[130:131] offset0:48 offset1:49
	v_dual_mov_b32 v122, v12 :: v_dual_mov_b32 v123, v13
	v_dual_mov_b32 v130, v8 :: v_dual_mov_b32 v131, v9
	ds_store_2addr_b64 v126, v[122:123], v[130:131] offset0:50 offset1:51
	v_dual_mov_b32 v122, v60 :: v_dual_mov_b32 v123, v61
	v_dual_mov_b32 v130, v6 :: v_dual_mov_b32 v131, v7
	ds_store_2addr_b64 v126, v[122:123], v[130:131] offset0:52 offset1:53
	v_dual_mov_b32 v122, v42 :: v_dual_mov_b32 v123, v43
	v_dual_mov_b32 v130, v28 :: v_dual_mov_b32 v131, v29
	ds_store_2addr_b64 v126, v[122:123], v[130:131] offset0:54 offset1:55
	v_dual_mov_b32 v122, v14 :: v_dual_mov_b32 v123, v15
	v_mov_b32_e32 v130, 29
	ds_store_2addr_b64 v126, v[122:123], v[120:121] offset0:56 offset1:57
.LBB114_627:
	s_or_b32 exec_lo, exec_lo, s0
	s_delay_alu instid0(SALU_CYCLE_1)
	s_mov_b32 s0, exec_lo
	s_wait_storecnt_dscnt 0x0
	s_barrier_signal -1
	s_barrier_wait -1
	v_cmpx_lt_i32_e32 29, v130
	s_cbranch_execz .LBB114_629
; %bb.628:
	v_pk_mul_f32 v[132:133], v[124:125], v[46:47] op_sel:[1,1] op_sel_hi:[0,1]
	s_delay_alu instid0(VALU_DEP_1)
	v_pk_fma_f32 v[122:123], v[124:125], v[46:47], v[132:133] op_sel_hi:[1,0,1] neg_lo:[0,0,1] neg_hi:[0,0,1]
	v_pk_fma_f32 v[124:125], v[124:125], v[46:47], v[132:133] op_sel_hi:[1,0,1]
	ds_load_2addr_b64 v[132:135], v126 offset0:30 offset1:31
	v_dual_mov_b32 v46, v122 :: v_dual_mov_b32 v47, v125
	s_wait_dscnt 0x0
	v_pk_mul_f32 v[136:137], v[132:133], v[124:125] op_sel:[0,1]
	s_delay_alu instid0(VALU_DEP_1) | instskip(SKIP_1) | instid1(VALU_DEP_1)
	v_pk_fma_f32 v[138:139], v[132:133], v[122:123], v[136:137] op_sel:[0,0,1] op_sel_hi:[1,1,0] neg_lo:[0,0,1] neg_hi:[0,0,1]
	v_pk_fma_f32 v[132:133], v[132:133], v[122:123], v[136:137] op_sel:[0,0,1] op_sel_hi:[1,0,0]
	v_mov_b32_e32 v139, v133
	v_pk_mul_f32 v[132:133], v[134:135], v[124:125] op_sel:[0,1]
	s_delay_alu instid0(VALU_DEP_1) | instskip(SKIP_1) | instid1(VALU_DEP_1)
	v_pk_fma_f32 v[136:137], v[134:135], v[122:123], v[132:133] op_sel:[0,0,1] op_sel_hi:[1,1,0] neg_lo:[0,0,1] neg_hi:[0,0,1]
	v_pk_fma_f32 v[132:133], v[134:135], v[122:123], v[132:133] op_sel:[0,0,1] op_sel_hi:[1,0,0]
	v_mov_b32_e32 v137, v133
	ds_load_2addr_b64 v[132:135], v126 offset0:32 offset1:33
	v_pk_add_f32 v[48:49], v[48:49], v[138:139] neg_lo:[0,1] neg_hi:[0,1]
	v_pk_add_f32 v[44:45], v[44:45], v[136:137] neg_lo:[0,1] neg_hi:[0,1]
	s_wait_dscnt 0x0
	v_pk_mul_f32 v[136:137], v[132:133], v[124:125] op_sel:[0,1]
	s_delay_alu instid0(VALU_DEP_1) | instskip(SKIP_2) | instid1(VALU_DEP_2)
	v_pk_fma_f32 v[138:139], v[132:133], v[122:123], v[136:137] op_sel:[0,0,1] op_sel_hi:[1,1,0] neg_lo:[0,0,1] neg_hi:[0,0,1]
	v_pk_fma_f32 v[132:133], v[132:133], v[122:123], v[136:137] op_sel:[0,0,1] op_sel_hi:[1,0,0]
	v_dual_mul_f32 v136, v135, v125 :: v_dual_mov_b32 v132, v135
	v_dual_mov_b32 v139, v133 :: v_dual_mov_b32 v133, v134
	s_delay_alu instid0(VALU_DEP_2) | instskip(SKIP_1) | instid1(VALU_DEP_3)
	v_pk_fma_f32 v[136:137], v[134:135], v[46:47], v[136:137] op_sel_hi:[1,1,0] neg_lo:[0,0,1] neg_hi:[0,0,1]
	v_mul_f32_e32 v134, v135, v122
	v_pk_add_f32 v[94:95], v[94:95], v[138:139] neg_lo:[0,1] neg_hi:[0,1]
	s_delay_alu instid0(VALU_DEP_2) | instskip(NEXT) | instid1(VALU_DEP_1)
	v_pk_fma_f32 v[132:133], v[132:133], v[46:47], v[134:135] op_sel_hi:[1,1,0]
	v_mov_b32_e32 v137, v133
	ds_load_2addr_b64 v[132:135], v126 offset0:34 offset1:35
	v_pk_add_f32 v[38:39], v[38:39], v[136:137] neg_lo:[0,1] neg_hi:[0,1]
	s_wait_dscnt 0x0
	v_pk_mul_f32 v[136:137], v[132:133], v[124:125] op_sel:[0,1]
	s_delay_alu instid0(VALU_DEP_1) | instskip(SKIP_1) | instid1(VALU_DEP_1)
	v_pk_fma_f32 v[138:139], v[132:133], v[122:123], v[136:137] op_sel:[0,0,1] op_sel_hi:[1,1,0] neg_lo:[0,0,1] neg_hi:[0,0,1]
	v_pk_fma_f32 v[132:133], v[132:133], v[122:123], v[136:137] op_sel:[0,0,1] op_sel_hi:[1,0,0]
	v_mov_b32_e32 v139, v133
	v_pk_mul_f32 v[132:133], v[134:135], v[124:125] op_sel:[0,1]
	s_delay_alu instid0(VALU_DEP_1) | instskip(SKIP_1) | instid1(VALU_DEP_1)
	v_pk_fma_f32 v[136:137], v[134:135], v[122:123], v[132:133] op_sel:[0,0,1] op_sel_hi:[1,1,0] neg_lo:[0,0,1] neg_hi:[0,0,1]
	v_pk_fma_f32 v[132:133], v[134:135], v[122:123], v[132:133] op_sel:[0,0,1] op_sel_hi:[1,0,0]
	v_mov_b32_e32 v137, v133
	ds_load_2addr_b64 v[132:135], v126 offset0:36 offset1:37
	v_pk_add_f32 v[40:41], v[40:41], v[138:139] neg_lo:[0,1] neg_hi:[0,1]
	v_pk_add_f32 v[36:37], v[36:37], v[136:137] neg_lo:[0,1] neg_hi:[0,1]
	s_wait_dscnt 0x0
	v_pk_mul_f32 v[136:137], v[132:133], v[124:125] op_sel:[0,1]
	s_delay_alu instid0(VALU_DEP_1) | instskip(SKIP_1) | instid1(VALU_DEP_1)
	v_pk_fma_f32 v[138:139], v[132:133], v[122:123], v[136:137] op_sel:[0,0,1] op_sel_hi:[1,1,0] neg_lo:[0,0,1] neg_hi:[0,0,1]
	v_pk_fma_f32 v[132:133], v[132:133], v[122:123], v[136:137] op_sel:[0,0,1] op_sel_hi:[1,0,0]
	v_mov_b32_e32 v139, v133
	v_pk_mul_f32 v[132:133], v[134:135], v[124:125] op_sel:[0,1]
	s_delay_alu instid0(VALU_DEP_1) | instskip(SKIP_1) | instid1(VALU_DEP_1)
	v_pk_fma_f32 v[136:137], v[134:135], v[122:123], v[132:133] op_sel:[0,0,1] op_sel_hi:[1,1,0] neg_lo:[0,0,1] neg_hi:[0,0,1]
	v_pk_fma_f32 v[132:133], v[134:135], v[122:123], v[132:133] op_sel:[0,0,1] op_sel_hi:[1,0,0]
	v_mov_b32_e32 v137, v133
	ds_load_2addr_b64 v[132:135], v126 offset0:38 offset1:39
	v_pk_add_f32 v[92:93], v[92:93], v[138:139] neg_lo:[0,1] neg_hi:[0,1]
	v_pk_add_f32 v[32:33], v[32:33], v[136:137] neg_lo:[0,1] neg_hi:[0,1]
	s_wait_dscnt 0x0
	v_dual_mul_f32 v136, v133, v125 :: v_dual_mul_f32 v138, v133, v122
	s_delay_alu instid0(VALU_DEP_1) | instskip(NEXT) | instid1(VALU_DEP_2)
	v_pk_fma_f32 v[136:137], v[132:133], v[46:47], v[136:137] op_sel_hi:[1,1,0] neg_lo:[0,0,1] neg_hi:[0,0,1]
	v_pk_fma_f32 v[132:133], v[132:133], v[46:47], v[138:139] op_sel:[1,0,0] op_sel_hi:[0,1,0]
	s_delay_alu instid0(VALU_DEP_1) | instskip(SKIP_1) | instid1(VALU_DEP_2)
	v_mov_b32_e32 v137, v133
	v_pk_mul_f32 v[132:133], v[134:135], v[124:125] op_sel:[0,1]
	v_pk_add_f32 v[34:35], v[34:35], v[136:137] neg_lo:[0,1] neg_hi:[0,1]
	s_delay_alu instid0(VALU_DEP_2) | instskip(SKIP_1) | instid1(VALU_DEP_1)
	v_pk_fma_f32 v[136:137], v[134:135], v[122:123], v[132:133] op_sel:[0,0,1] op_sel_hi:[1,1,0] neg_lo:[0,0,1] neg_hi:[0,0,1]
	v_pk_fma_f32 v[132:133], v[134:135], v[122:123], v[132:133] op_sel:[0,0,1] op_sel_hi:[1,0,0]
	v_mov_b32_e32 v137, v133
	ds_load_2addr_b64 v[132:135], v126 offset0:40 offset1:41
	v_pk_add_f32 v[30:31], v[30:31], v[136:137] neg_lo:[0,1] neg_hi:[0,1]
	s_wait_dscnt 0x0
	v_pk_mul_f32 v[136:137], v[132:133], v[124:125] op_sel:[0,1]
	s_delay_alu instid0(VALU_DEP_1) | instskip(SKIP_1) | instid1(VALU_DEP_1)
	v_pk_fma_f32 v[138:139], v[132:133], v[122:123], v[136:137] op_sel:[0,0,1] op_sel_hi:[1,1,0] neg_lo:[0,0,1] neg_hi:[0,0,1]
	v_pk_fma_f32 v[132:133], v[132:133], v[122:123], v[136:137] op_sel:[0,0,1] op_sel_hi:[1,0,0]
	v_mov_b32_e32 v139, v133
	v_pk_mul_f32 v[132:133], v[134:135], v[124:125] op_sel:[0,1]
	s_delay_alu instid0(VALU_DEP_2) | instskip(NEXT) | instid1(VALU_DEP_2)
	v_pk_add_f32 v[90:91], v[90:91], v[138:139] neg_lo:[0,1] neg_hi:[0,1]
	v_pk_fma_f32 v[136:137], v[134:135], v[122:123], v[132:133] op_sel:[0,0,1] op_sel_hi:[1,1,0] neg_lo:[0,0,1] neg_hi:[0,0,1]
	v_pk_fma_f32 v[132:133], v[134:135], v[122:123], v[132:133] op_sel:[0,0,1] op_sel_hi:[1,0,0]
	s_delay_alu instid0(VALU_DEP_1) | instskip(SKIP_4) | instid1(VALU_DEP_1)
	v_mov_b32_e32 v137, v133
	ds_load_2addr_b64 v[132:135], v126 offset0:42 offset1:43
	v_pk_add_f32 v[24:25], v[24:25], v[136:137] neg_lo:[0,1] neg_hi:[0,1]
	s_wait_dscnt 0x0
	v_pk_mul_f32 v[136:137], v[132:133], v[124:125] op_sel:[0,1]
	v_pk_fma_f32 v[138:139], v[132:133], v[122:123], v[136:137] op_sel:[0,0,1] op_sel_hi:[1,1,0] neg_lo:[0,0,1] neg_hi:[0,0,1]
	v_pk_fma_f32 v[132:133], v[132:133], v[122:123], v[136:137] op_sel:[0,0,1] op_sel_hi:[1,0,0]
	v_dual_mul_f32 v136, v135, v125 :: v_dual_mov_b32 v132, v135
	s_delay_alu instid0(VALU_DEP_2) | instskip(NEXT) | instid1(VALU_DEP_2)
	v_dual_mov_b32 v139, v133 :: v_dual_mov_b32 v133, v134
	v_pk_fma_f32 v[136:137], v[134:135], v[46:47], v[136:137] op_sel_hi:[1,1,0] neg_lo:[0,0,1] neg_hi:[0,0,1]
	v_mul_f32_e32 v134, v135, v122
	s_delay_alu instid0(VALU_DEP_3) | instskip(NEXT) | instid1(VALU_DEP_2)
	v_pk_add_f32 v[26:27], v[26:27], v[138:139] neg_lo:[0,1] neg_hi:[0,1]
	v_pk_fma_f32 v[132:133], v[132:133], v[46:47], v[134:135] op_sel_hi:[1,1,0]
	s_delay_alu instid0(VALU_DEP_1) | instskip(SKIP_4) | instid1(VALU_DEP_1)
	v_mov_b32_e32 v137, v133
	ds_load_2addr_b64 v[132:135], v126 offset0:44 offset1:45
	v_pk_add_f32 v[22:23], v[22:23], v[136:137] neg_lo:[0,1] neg_hi:[0,1]
	s_wait_dscnt 0x0
	v_pk_mul_f32 v[136:137], v[132:133], v[124:125] op_sel:[0,1]
	v_pk_fma_f32 v[138:139], v[132:133], v[122:123], v[136:137] op_sel:[0,0,1] op_sel_hi:[1,1,0] neg_lo:[0,0,1] neg_hi:[0,0,1]
	v_pk_fma_f32 v[132:133], v[132:133], v[122:123], v[136:137] op_sel:[0,0,1] op_sel_hi:[1,0,0]
	s_delay_alu instid0(VALU_DEP_1) | instskip(SKIP_1) | instid1(VALU_DEP_1)
	v_mov_b32_e32 v139, v133
	v_pk_mul_f32 v[132:133], v[134:135], v[124:125] op_sel:[0,1]
	v_pk_fma_f32 v[136:137], v[134:135], v[122:123], v[132:133] op_sel:[0,0,1] op_sel_hi:[1,1,0] neg_lo:[0,0,1] neg_hi:[0,0,1]
	v_pk_fma_f32 v[132:133], v[134:135], v[122:123], v[132:133] op_sel:[0,0,1] op_sel_hi:[1,0,0]
	s_delay_alu instid0(VALU_DEP_1)
	v_mov_b32_e32 v137, v133
	ds_load_2addr_b64 v[132:135], v126 offset0:46 offset1:47
	v_pk_add_f32 v[88:89], v[88:89], v[138:139] neg_lo:[0,1] neg_hi:[0,1]
	v_pk_add_f32 v[18:19], v[18:19], v[136:137] neg_lo:[0,1] neg_hi:[0,1]
	s_wait_dscnt 0x0
	v_pk_mul_f32 v[136:137], v[132:133], v[124:125] op_sel:[0,1]
	s_delay_alu instid0(VALU_DEP_1) | instskip(SKIP_1) | instid1(VALU_DEP_1)
	v_pk_fma_f32 v[138:139], v[132:133], v[122:123], v[136:137] op_sel:[0,0,1] op_sel_hi:[1,1,0] neg_lo:[0,0,1] neg_hi:[0,0,1]
	v_pk_fma_f32 v[132:133], v[132:133], v[122:123], v[136:137] op_sel:[0,0,1] op_sel_hi:[1,0,0]
	v_mov_b32_e32 v139, v133
	v_pk_mul_f32 v[132:133], v[134:135], v[124:125] op_sel:[0,1]
	s_delay_alu instid0(VALU_DEP_1) | instskip(SKIP_1) | instid1(VALU_DEP_1)
	v_pk_fma_f32 v[136:137], v[134:135], v[122:123], v[132:133] op_sel:[0,0,1] op_sel_hi:[1,1,0] neg_lo:[0,0,1] neg_hi:[0,0,1]
	v_pk_fma_f32 v[132:133], v[134:135], v[122:123], v[132:133] op_sel:[0,0,1] op_sel_hi:[1,0,0]
	v_mov_b32_e32 v137, v133
	ds_load_2addr_b64 v[132:135], v126 offset0:48 offset1:49
	v_pk_add_f32 v[20:21], v[20:21], v[138:139] neg_lo:[0,1] neg_hi:[0,1]
	v_pk_add_f32 v[16:17], v[16:17], v[136:137] neg_lo:[0,1] neg_hi:[0,1]
	s_wait_dscnt 0x0
	v_dual_mul_f32 v136, v133, v125 :: v_dual_mul_f32 v138, v133, v122
	s_delay_alu instid0(VALU_DEP_1) | instskip(NEXT) | instid1(VALU_DEP_2)
	v_pk_fma_f32 v[136:137], v[132:133], v[46:47], v[136:137] op_sel_hi:[1,1,0] neg_lo:[0,0,1] neg_hi:[0,0,1]
	v_pk_fma_f32 v[132:133], v[132:133], v[46:47], v[138:139] op_sel:[1,0,0] op_sel_hi:[0,1,0]
	s_delay_alu instid0(VALU_DEP_1) | instskip(SKIP_1) | instid1(VALU_DEP_2)
	v_mov_b32_e32 v137, v133
	v_pk_mul_f32 v[132:133], v[134:135], v[124:125] op_sel:[0,1]
	v_pk_add_f32 v[84:85], v[84:85], v[136:137] neg_lo:[0,1] neg_hi:[0,1]
	s_delay_alu instid0(VALU_DEP_2) | instskip(SKIP_1) | instid1(VALU_DEP_1)
	v_pk_fma_f32 v[136:137], v[134:135], v[122:123], v[132:133] op_sel:[0,0,1] op_sel_hi:[1,1,0] neg_lo:[0,0,1] neg_hi:[0,0,1]
	v_pk_fma_f32 v[132:133], v[134:135], v[122:123], v[132:133] op_sel:[0,0,1] op_sel_hi:[1,0,0]
	v_mov_b32_e32 v137, v133
	ds_load_2addr_b64 v[132:135], v126 offset0:50 offset1:51
	v_pk_add_f32 v[10:11], v[10:11], v[136:137] neg_lo:[0,1] neg_hi:[0,1]
	s_wait_dscnt 0x0
	v_pk_mul_f32 v[136:137], v[132:133], v[124:125] op_sel:[0,1]
	s_delay_alu instid0(VALU_DEP_1) | instskip(SKIP_1) | instid1(VALU_DEP_1)
	v_pk_fma_f32 v[138:139], v[132:133], v[122:123], v[136:137] op_sel:[0,0,1] op_sel_hi:[1,1,0] neg_lo:[0,0,1] neg_hi:[0,0,1]
	v_pk_fma_f32 v[132:133], v[132:133], v[122:123], v[136:137] op_sel:[0,0,1] op_sel_hi:[1,0,0]
	v_mov_b32_e32 v139, v133
	v_pk_mul_f32 v[132:133], v[134:135], v[124:125] op_sel:[0,1]
	s_delay_alu instid0(VALU_DEP_2) | instskip(NEXT) | instid1(VALU_DEP_2)
	v_pk_add_f32 v[12:13], v[12:13], v[138:139] neg_lo:[0,1] neg_hi:[0,1]
	v_pk_fma_f32 v[136:137], v[134:135], v[122:123], v[132:133] op_sel:[0,0,1] op_sel_hi:[1,1,0] neg_lo:[0,0,1] neg_hi:[0,0,1]
	v_pk_fma_f32 v[132:133], v[134:135], v[122:123], v[132:133] op_sel:[0,0,1] op_sel_hi:[1,0,0]
	s_delay_alu instid0(VALU_DEP_1) | instskip(SKIP_4) | instid1(VALU_DEP_1)
	v_mov_b32_e32 v137, v133
	ds_load_2addr_b64 v[132:135], v126 offset0:52 offset1:53
	v_pk_add_f32 v[8:9], v[8:9], v[136:137] neg_lo:[0,1] neg_hi:[0,1]
	s_wait_dscnt 0x0
	v_pk_mul_f32 v[136:137], v[132:133], v[124:125] op_sel:[0,1]
	v_pk_fma_f32 v[138:139], v[132:133], v[122:123], v[136:137] op_sel:[0,0,1] op_sel_hi:[1,1,0] neg_lo:[0,0,1] neg_hi:[0,0,1]
	v_pk_fma_f32 v[132:133], v[132:133], v[122:123], v[136:137] op_sel:[0,0,1] op_sel_hi:[1,0,0]
	v_dual_mul_f32 v136, v135, v125 :: v_dual_mov_b32 v132, v135
	s_delay_alu instid0(VALU_DEP_2) | instskip(NEXT) | instid1(VALU_DEP_2)
	v_dual_mov_b32 v139, v133 :: v_dual_mov_b32 v133, v134
	v_pk_fma_f32 v[136:137], v[134:135], v[46:47], v[136:137] op_sel_hi:[1,1,0] neg_lo:[0,0,1] neg_hi:[0,0,1]
	v_mul_f32_e32 v134, v135, v122
	s_delay_alu instid0(VALU_DEP_3) | instskip(NEXT) | instid1(VALU_DEP_2)
	v_pk_add_f32 v[60:61], v[60:61], v[138:139] neg_lo:[0,1] neg_hi:[0,1]
	v_pk_fma_f32 v[132:133], v[132:133], v[46:47], v[134:135] op_sel_hi:[1,1,0]
	s_delay_alu instid0(VALU_DEP_1) | instskip(SKIP_4) | instid1(VALU_DEP_1)
	v_mov_b32_e32 v137, v133
	ds_load_2addr_b64 v[132:135], v126 offset0:54 offset1:55
	v_pk_add_f32 v[6:7], v[6:7], v[136:137] neg_lo:[0,1] neg_hi:[0,1]
	s_wait_dscnt 0x0
	v_pk_mul_f32 v[136:137], v[132:133], v[124:125] op_sel:[0,1]
	v_pk_fma_f32 v[138:139], v[132:133], v[122:123], v[136:137] op_sel:[0,0,1] op_sel_hi:[1,1,0] neg_lo:[0,0,1] neg_hi:[0,0,1]
	v_pk_fma_f32 v[132:133], v[132:133], v[122:123], v[136:137] op_sel:[0,0,1] op_sel_hi:[1,0,0]
	s_delay_alu instid0(VALU_DEP_1) | instskip(SKIP_1) | instid1(VALU_DEP_1)
	v_mov_b32_e32 v139, v133
	v_pk_mul_f32 v[132:133], v[134:135], v[124:125] op_sel:[0,1]
	v_pk_fma_f32 v[136:137], v[134:135], v[122:123], v[132:133] op_sel:[0,0,1] op_sel_hi:[1,1,0] neg_lo:[0,0,1] neg_hi:[0,0,1]
	v_pk_fma_f32 v[132:133], v[134:135], v[122:123], v[132:133] op_sel:[0,0,1] op_sel_hi:[1,0,0]
	s_delay_alu instid0(VALU_DEP_1)
	v_mov_b32_e32 v137, v133
	ds_load_2addr_b64 v[132:135], v126 offset0:56 offset1:57
	v_pk_add_f32 v[42:43], v[42:43], v[138:139] neg_lo:[0,1] neg_hi:[0,1]
	v_pk_add_f32 v[28:29], v[28:29], v[136:137] neg_lo:[0,1] neg_hi:[0,1]
	s_wait_dscnt 0x0
	v_pk_mul_f32 v[136:137], v[132:133], v[124:125] op_sel:[0,1]
	v_pk_mul_f32 v[124:125], v[134:135], v[124:125] op_sel:[0,1]
	s_delay_alu instid0(VALU_DEP_2) | instskip(SKIP_1) | instid1(VALU_DEP_1)
	v_pk_fma_f32 v[138:139], v[132:133], v[122:123], v[136:137] op_sel:[0,0,1] op_sel_hi:[1,1,0] neg_lo:[0,0,1] neg_hi:[0,0,1]
	v_pk_fma_f32 v[132:133], v[132:133], v[122:123], v[136:137] op_sel:[0,0,1] op_sel_hi:[1,0,0]
	v_mov_b32_e32 v139, v133
	s_delay_alu instid0(VALU_DEP_4) | instskip(SKIP_1) | instid1(VALU_DEP_1)
	v_pk_fma_f32 v[132:133], v[134:135], v[122:123], v[124:125] op_sel:[0,0,1] op_sel_hi:[1,1,0] neg_lo:[0,0,1] neg_hi:[0,0,1]
	v_pk_fma_f32 v[122:123], v[134:135], v[122:123], v[124:125] op_sel:[0,0,1] op_sel_hi:[1,0,0]
	v_mov_b32_e32 v133, v123
	s_delay_alu instid0(VALU_DEP_4) | instskip(NEXT) | instid1(VALU_DEP_2)
	v_pk_add_f32 v[14:15], v[14:15], v[138:139] neg_lo:[0,1] neg_hi:[0,1]
	v_pk_add_f32 v[120:121], v[120:121], v[132:133] neg_lo:[0,1] neg_hi:[0,1]
.LBB114_629:
	s_or_b32 exec_lo, exec_lo, s0
	v_lshl_add_u32 v122, v130, 3, v126
	s_barrier_signal -1
	s_barrier_wait -1
	ds_store_b64 v122, v[48:49]
	s_wait_dscnt 0x0
	s_barrier_signal -1
	s_barrier_wait -1
	ds_load_b64 v[124:125], v126 offset:240
	v_mov_b32_e32 v122, 30
	s_cmp_lt_i32 s18, 32
	s_cbranch_scc1 .LBB114_632
; %bb.630:
	v_add3_u32 v123, v127, 0, 0xf8
	v_mov_b32_e32 v122, 30
	s_mov_b32 s0, 31
.LBB114_631:                            ; =>This Inner Loop Header: Depth=1
	ds_load_b64 v[132:133], v123
	s_wait_dscnt 0x1
	v_cmp_gt_f32_e32 vcc_lo, 0, v124
	v_cndmask_b32_e64 v134, v124, -v124, vcc_lo
	v_cmp_gt_f32_e32 vcc_lo, 0, v125
	v_cndmask_b32_e64 v136, v125, -v125, vcc_lo
	s_wait_dscnt 0x0
	v_cmp_gt_f32_e32 vcc_lo, 0, v132
	v_cndmask_b32_e64 v135, v132, -v132, vcc_lo
	v_cmp_gt_f32_e32 vcc_lo, 0, v133
	v_cndmask_b32_e64 v137, v133, -v133, vcc_lo
	s_delay_alu instid0(VALU_DEP_1) | instskip(NEXT) | instid1(VALU_DEP_1)
	v_pk_add_f32 v[134:135], v[134:135], v[136:137]
	v_cmp_lt_f32_e32 vcc_lo, v134, v135
	v_dual_add_nc_u32 v123, 8, v123 :: v_dual_cndmask_b32 v125, v125, v133, vcc_lo
	v_cndmask_b32_e32 v124, v124, v132, vcc_lo
	v_cndmask_b32_e64 v122, v122, s0, vcc_lo
	s_add_co_i32 s0, s0, 1
	s_delay_alu instid0(SALU_CYCLE_1)
	s_cmp_lg_u32 s18, s0
	s_cbranch_scc1 .LBB114_631
.LBB114_632:
	s_wait_dscnt 0x0
	v_cmp_eq_f32_e32 vcc_lo, 0, v124
	v_cmp_eq_f32_e64 s0, 0, v125
	s_and_b32 s0, vcc_lo, s0
	s_delay_alu instid0(SALU_CYCLE_1) | instskip(NEXT) | instid1(SALU_CYCLE_1)
	s_and_saveexec_b32 s1, s0
	s_xor_b32 s0, exec_lo, s1
; %bb.633:
	v_cmp_ne_u32_e32 vcc_lo, 0, v128
	v_cndmask_b32_e32 v128, 31, v128, vcc_lo
; %bb.634:
	s_and_not1_saveexec_b32 s0, s0
	s_cbranch_execz .LBB114_640
; %bb.635:
	v_cmp_ngt_f32_e64 s1, |v124|, |v125|
	s_and_saveexec_b32 s12, s1
	s_delay_alu instid0(SALU_CYCLE_1)
	s_xor_b32 s1, exec_lo, s12
	s_cbranch_execz .LBB114_637
; %bb.636:
	v_div_scale_f32 v123, null, v125, v125, v124
	v_div_scale_f32 v133, vcc_lo, v124, v125, v124
	s_delay_alu instid0(VALU_DEP_2) | instskip(SKIP_1) | instid1(TRANS32_DEP_1)
	v_rcp_f32_e32 v131, v123
	v_nop
	v_fma_f32 v132, -v123, v131, 1.0
	s_delay_alu instid0(VALU_DEP_1) | instskip(NEXT) | instid1(VALU_DEP_1)
	v_fmac_f32_e32 v131, v132, v131
	v_mul_f32_e32 v132, v133, v131
	s_delay_alu instid0(VALU_DEP_1) | instskip(NEXT) | instid1(VALU_DEP_1)
	v_fma_f32 v134, -v123, v132, v133
	v_fmac_f32_e32 v132, v134, v131
	s_delay_alu instid0(VALU_DEP_1) | instskip(NEXT) | instid1(VALU_DEP_1)
	v_fma_f32 v123, -v123, v132, v133
	v_div_fmas_f32 v123, v123, v131, v132
	s_delay_alu instid0(VALU_DEP_1) | instskip(NEXT) | instid1(VALU_DEP_1)
	v_div_fixup_f32 v123, v123, v125, v124
	v_fmac_f32_e32 v125, v124, v123
	s_delay_alu instid0(VALU_DEP_1) | instskip(SKIP_1) | instid1(VALU_DEP_2)
	v_div_scale_f32 v124, null, v125, v125, 1.0
	v_div_scale_f32 v133, vcc_lo, 1.0, v125, 1.0
	v_rcp_f32_e32 v131, v124
	v_nop
	s_delay_alu instid0(TRANS32_DEP_1) | instskip(NEXT) | instid1(VALU_DEP_1)
	v_fma_f32 v132, -v124, v131, 1.0
	v_fmac_f32_e32 v131, v132, v131
	s_delay_alu instid0(VALU_DEP_1) | instskip(NEXT) | instid1(VALU_DEP_1)
	v_mul_f32_e32 v132, v133, v131
	v_fma_f32 v134, -v124, v132, v133
	s_delay_alu instid0(VALU_DEP_1) | instskip(NEXT) | instid1(VALU_DEP_1)
	v_fmac_f32_e32 v132, v134, v131
	v_fma_f32 v124, -v124, v132, v133
	s_delay_alu instid0(VALU_DEP_1) | instskip(NEXT) | instid1(VALU_DEP_1)
	v_div_fmas_f32 v124, v124, v131, v132
	v_div_fixup_f32 v125, v124, v125, 1.0
	s_delay_alu instid0(VALU_DEP_1)
	v_mul_f32_e32 v124, v123, v125
	v_xor_b32_e32 v125, 0x80000000, v125
.LBB114_637:
	s_and_not1_saveexec_b32 s1, s1
	s_cbranch_execz .LBB114_639
; %bb.638:
	s_delay_alu instid0(VALU_DEP_1) | instskip(SKIP_1) | instid1(VALU_DEP_2)
	v_div_scale_f32 v123, null, v124, v124, v125
	v_div_scale_f32 v133, vcc_lo, v125, v124, v125
	v_rcp_f32_e32 v131, v123
	v_nop
	s_delay_alu instid0(TRANS32_DEP_1) | instskip(NEXT) | instid1(VALU_DEP_1)
	v_fma_f32 v132, -v123, v131, 1.0
	v_fmac_f32_e32 v131, v132, v131
	s_delay_alu instid0(VALU_DEP_1) | instskip(NEXT) | instid1(VALU_DEP_1)
	v_mul_f32_e32 v132, v133, v131
	v_fma_f32 v134, -v123, v132, v133
	s_delay_alu instid0(VALU_DEP_1) | instskip(NEXT) | instid1(VALU_DEP_1)
	v_fmac_f32_e32 v132, v134, v131
	v_fma_f32 v123, -v123, v132, v133
	s_delay_alu instid0(VALU_DEP_1) | instskip(NEXT) | instid1(VALU_DEP_1)
	v_div_fmas_f32 v123, v123, v131, v132
	v_div_fixup_f32 v123, v123, v124, v125
	s_delay_alu instid0(VALU_DEP_1) | instskip(NEXT) | instid1(VALU_DEP_1)
	v_fmac_f32_e32 v124, v125, v123
	v_div_scale_f32 v125, null, v124, v124, 1.0
	s_delay_alu instid0(VALU_DEP_1) | instskip(SKIP_1) | instid1(TRANS32_DEP_1)
	v_rcp_f32_e32 v131, v125
	v_nop
	v_fma_f32 v132, -v125, v131, 1.0
	s_delay_alu instid0(VALU_DEP_1) | instskip(SKIP_1) | instid1(VALU_DEP_1)
	v_fmac_f32_e32 v131, v132, v131
	v_div_scale_f32 v132, vcc_lo, 1.0, v124, 1.0
	v_mul_f32_e32 v133, v132, v131
	s_delay_alu instid0(VALU_DEP_1) | instskip(NEXT) | instid1(VALU_DEP_1)
	v_fma_f32 v134, -v125, v133, v132
	v_fmac_f32_e32 v133, v134, v131
	s_delay_alu instid0(VALU_DEP_1) | instskip(NEXT) | instid1(VALU_DEP_1)
	v_fma_f32 v125, -v125, v133, v132
	v_div_fmas_f32 v125, v125, v131, v133
	s_delay_alu instid0(VALU_DEP_1) | instskip(NEXT) | instid1(VALU_DEP_1)
	v_div_fixup_f32 v124, v125, v124, 1.0
	v_mul_f32_e64 v125, v123, -v124
.LBB114_639:
	s_or_b32 exec_lo, exec_lo, s1
.LBB114_640:
	s_delay_alu instid0(SALU_CYCLE_1) | instskip(NEXT) | instid1(SALU_CYCLE_1)
	s_or_b32 exec_lo, exec_lo, s0
	s_mov_b32 s0, exec_lo
	v_cmpx_ne_u32_e64 v130, v122
	s_xor_b32 s0, exec_lo, s0
	s_cbranch_execz .LBB114_646
; %bb.641:
	s_mov_b32 s1, exec_lo
	v_cmpx_eq_u32_e32 30, v130
	s_cbranch_execz .LBB114_645
; %bb.642:
	v_cmp_ne_u32_e32 vcc_lo, 30, v122
	s_xor_b32 s12, s16, -1
	s_delay_alu instid0(SALU_CYCLE_1) | instskip(NEXT) | instid1(SALU_CYCLE_1)
	s_and_b32 s13, s12, vcc_lo
	s_and_saveexec_b32 s12, s13
	s_cbranch_execz .LBB114_644
; %bb.643:
	v_ashrrev_i32_e32 v123, 31, v122
	s_delay_alu instid0(VALU_DEP_1)
	v_lshl_add_u64 v[130:131], v[122:123], 2, v[4:5]
	s_clause 0x1
	global_load_b32 v123, v[130:131], off
	global_load_b32 v129, v[4:5], off offset:120
	s_wait_loadcnt 0x1
	global_store_b32 v[4:5], v123, off offset:120
	s_wait_loadcnt 0x0
	global_store_b32 v[130:131], v129, off
.LBB114_644:
	s_wait_xcnt 0x0
	s_or_b32 exec_lo, exec_lo, s12
	v_dual_mov_b32 v130, v122 :: v_dual_mov_b32 v129, v122
.LBB114_645:
	s_or_b32 exec_lo, exec_lo, s1
.LBB114_646:
	s_and_not1_saveexec_b32 s0, s0
	s_cbranch_execz .LBB114_648
; %bb.647:
	v_mov_b32_e32 v130, 30
	ds_store_2addr_b64 v126, v[44:45], v[94:95] offset0:31 offset1:32
	ds_store_2addr_b64 v126, v[38:39], v[40:41] offset0:33 offset1:34
	;; [unrolled: 1-line block ×13, first 2 shown]
	ds_store_b64 v126, v[120:121] offset:456
.LBB114_648:
	s_or_b32 exec_lo, exec_lo, s0
	s_delay_alu instid0(SALU_CYCLE_1)
	s_mov_b32 s0, exec_lo
	s_wait_storecnt_dscnt 0x0
	s_barrier_signal -1
	s_barrier_wait -1
	v_cmpx_lt_i32_e32 30, v130
	s_cbranch_execz .LBB114_650
; %bb.649:
	v_pk_mul_f32 v[132:133], v[124:125], v[48:49] op_sel:[1,1] op_sel_hi:[0,1]
	s_delay_alu instid0(VALU_DEP_1)
	v_pk_fma_f32 v[122:123], v[124:125], v[48:49], v[132:133] op_sel_hi:[1,0,1] neg_lo:[0,0,1] neg_hi:[0,0,1]
	v_pk_fma_f32 v[124:125], v[124:125], v[48:49], v[132:133] op_sel_hi:[1,0,1]
	ds_load_2addr_b64 v[132:135], v126 offset0:31 offset1:32
	v_dual_mov_b32 v48, v122 :: v_dual_mov_b32 v49, v125
	s_wait_dscnt 0x0
	v_pk_mul_f32 v[136:137], v[132:133], v[124:125] op_sel:[0,1]
	s_delay_alu instid0(VALU_DEP_1) | instskip(SKIP_1) | instid1(VALU_DEP_1)
	v_pk_fma_f32 v[138:139], v[132:133], v[122:123], v[136:137] op_sel:[0,0,1] op_sel_hi:[1,1,0] neg_lo:[0,0,1] neg_hi:[0,0,1]
	v_pk_fma_f32 v[132:133], v[132:133], v[122:123], v[136:137] op_sel:[0,0,1] op_sel_hi:[1,0,0]
	v_mov_b32_e32 v139, v133
	v_pk_mul_f32 v[132:133], v[134:135], v[124:125] op_sel:[0,1]
	s_delay_alu instid0(VALU_DEP_1) | instskip(SKIP_1) | instid1(VALU_DEP_1)
	v_pk_fma_f32 v[136:137], v[134:135], v[122:123], v[132:133] op_sel:[0,0,1] op_sel_hi:[1,1,0] neg_lo:[0,0,1] neg_hi:[0,0,1]
	v_pk_fma_f32 v[132:133], v[134:135], v[122:123], v[132:133] op_sel:[0,0,1] op_sel_hi:[1,0,0]
	v_mov_b32_e32 v137, v133
	ds_load_2addr_b64 v[132:135], v126 offset0:33 offset1:34
	v_pk_add_f32 v[44:45], v[44:45], v[138:139] neg_lo:[0,1] neg_hi:[0,1]
	v_pk_add_f32 v[94:95], v[94:95], v[136:137] neg_lo:[0,1] neg_hi:[0,1]
	s_wait_dscnt 0x0
	v_pk_mul_f32 v[136:137], v[132:133], v[124:125] op_sel:[0,1]
	s_delay_alu instid0(VALU_DEP_1) | instskip(SKIP_2) | instid1(VALU_DEP_2)
	v_pk_fma_f32 v[138:139], v[132:133], v[122:123], v[136:137] op_sel:[0,0,1] op_sel_hi:[1,1,0] neg_lo:[0,0,1] neg_hi:[0,0,1]
	v_pk_fma_f32 v[132:133], v[132:133], v[122:123], v[136:137] op_sel:[0,0,1] op_sel_hi:[1,0,0]
	v_dual_mul_f32 v136, v135, v125 :: v_dual_mov_b32 v132, v135
	v_dual_mov_b32 v139, v133 :: v_dual_mov_b32 v133, v134
	s_delay_alu instid0(VALU_DEP_2) | instskip(SKIP_1) | instid1(VALU_DEP_3)
	v_pk_fma_f32 v[136:137], v[134:135], v[48:49], v[136:137] op_sel_hi:[1,1,0] neg_lo:[0,0,1] neg_hi:[0,0,1]
	v_mul_f32_e32 v134, v135, v122
	v_pk_add_f32 v[38:39], v[38:39], v[138:139] neg_lo:[0,1] neg_hi:[0,1]
	s_delay_alu instid0(VALU_DEP_2) | instskip(NEXT) | instid1(VALU_DEP_1)
	v_pk_fma_f32 v[132:133], v[132:133], v[48:49], v[134:135] op_sel_hi:[1,1,0]
	v_mov_b32_e32 v137, v133
	ds_load_2addr_b64 v[132:135], v126 offset0:35 offset1:36
	v_pk_add_f32 v[40:41], v[40:41], v[136:137] neg_lo:[0,1] neg_hi:[0,1]
	s_wait_dscnt 0x0
	v_pk_mul_f32 v[136:137], v[132:133], v[124:125] op_sel:[0,1]
	s_delay_alu instid0(VALU_DEP_1) | instskip(SKIP_1) | instid1(VALU_DEP_1)
	v_pk_fma_f32 v[138:139], v[132:133], v[122:123], v[136:137] op_sel:[0,0,1] op_sel_hi:[1,1,0] neg_lo:[0,0,1] neg_hi:[0,0,1]
	v_pk_fma_f32 v[132:133], v[132:133], v[122:123], v[136:137] op_sel:[0,0,1] op_sel_hi:[1,0,0]
	v_mov_b32_e32 v139, v133
	v_pk_mul_f32 v[132:133], v[134:135], v[124:125] op_sel:[0,1]
	s_delay_alu instid0(VALU_DEP_1) | instskip(SKIP_1) | instid1(VALU_DEP_1)
	v_pk_fma_f32 v[136:137], v[134:135], v[122:123], v[132:133] op_sel:[0,0,1] op_sel_hi:[1,1,0] neg_lo:[0,0,1] neg_hi:[0,0,1]
	v_pk_fma_f32 v[132:133], v[134:135], v[122:123], v[132:133] op_sel:[0,0,1] op_sel_hi:[1,0,0]
	v_mov_b32_e32 v137, v133
	ds_load_2addr_b64 v[132:135], v126 offset0:37 offset1:38
	v_pk_add_f32 v[36:37], v[36:37], v[138:139] neg_lo:[0,1] neg_hi:[0,1]
	v_pk_add_f32 v[92:93], v[92:93], v[136:137] neg_lo:[0,1] neg_hi:[0,1]
	s_wait_dscnt 0x0
	v_pk_mul_f32 v[136:137], v[132:133], v[124:125] op_sel:[0,1]
	s_delay_alu instid0(VALU_DEP_1) | instskip(SKIP_1) | instid1(VALU_DEP_1)
	v_pk_fma_f32 v[138:139], v[132:133], v[122:123], v[136:137] op_sel:[0,0,1] op_sel_hi:[1,1,0] neg_lo:[0,0,1] neg_hi:[0,0,1]
	v_pk_fma_f32 v[132:133], v[132:133], v[122:123], v[136:137] op_sel:[0,0,1] op_sel_hi:[1,0,0]
	v_mov_b32_e32 v139, v133
	v_pk_mul_f32 v[132:133], v[134:135], v[124:125] op_sel:[0,1]
	s_delay_alu instid0(VALU_DEP_1) | instskip(SKIP_1) | instid1(VALU_DEP_1)
	v_pk_fma_f32 v[136:137], v[134:135], v[122:123], v[132:133] op_sel:[0,0,1] op_sel_hi:[1,1,0] neg_lo:[0,0,1] neg_hi:[0,0,1]
	v_pk_fma_f32 v[132:133], v[134:135], v[122:123], v[132:133] op_sel:[0,0,1] op_sel_hi:[1,0,0]
	v_mov_b32_e32 v137, v133
	ds_load_2addr_b64 v[132:135], v126 offset0:39 offset1:40
	v_pk_add_f32 v[32:33], v[32:33], v[138:139] neg_lo:[0,1] neg_hi:[0,1]
	v_pk_add_f32 v[34:35], v[34:35], v[136:137] neg_lo:[0,1] neg_hi:[0,1]
	s_wait_dscnt 0x0
	v_dual_mul_f32 v136, v133, v125 :: v_dual_mul_f32 v138, v133, v122
	s_delay_alu instid0(VALU_DEP_1) | instskip(NEXT) | instid1(VALU_DEP_2)
	v_pk_fma_f32 v[136:137], v[132:133], v[48:49], v[136:137] op_sel_hi:[1,1,0] neg_lo:[0,0,1] neg_hi:[0,0,1]
	v_pk_fma_f32 v[132:133], v[132:133], v[48:49], v[138:139] op_sel:[1,0,0] op_sel_hi:[0,1,0]
	s_delay_alu instid0(VALU_DEP_1) | instskip(SKIP_1) | instid1(VALU_DEP_2)
	v_mov_b32_e32 v137, v133
	v_pk_mul_f32 v[132:133], v[134:135], v[124:125] op_sel:[0,1]
	v_pk_add_f32 v[30:31], v[30:31], v[136:137] neg_lo:[0,1] neg_hi:[0,1]
	s_delay_alu instid0(VALU_DEP_2) | instskip(SKIP_1) | instid1(VALU_DEP_1)
	v_pk_fma_f32 v[136:137], v[134:135], v[122:123], v[132:133] op_sel:[0,0,1] op_sel_hi:[1,1,0] neg_lo:[0,0,1] neg_hi:[0,0,1]
	v_pk_fma_f32 v[132:133], v[134:135], v[122:123], v[132:133] op_sel:[0,0,1] op_sel_hi:[1,0,0]
	v_mov_b32_e32 v137, v133
	ds_load_2addr_b64 v[132:135], v126 offset0:41 offset1:42
	v_pk_add_f32 v[90:91], v[90:91], v[136:137] neg_lo:[0,1] neg_hi:[0,1]
	s_wait_dscnt 0x0
	v_pk_mul_f32 v[136:137], v[132:133], v[124:125] op_sel:[0,1]
	s_delay_alu instid0(VALU_DEP_1) | instskip(SKIP_1) | instid1(VALU_DEP_1)
	v_pk_fma_f32 v[138:139], v[132:133], v[122:123], v[136:137] op_sel:[0,0,1] op_sel_hi:[1,1,0] neg_lo:[0,0,1] neg_hi:[0,0,1]
	v_pk_fma_f32 v[132:133], v[132:133], v[122:123], v[136:137] op_sel:[0,0,1] op_sel_hi:[1,0,0]
	v_mov_b32_e32 v139, v133
	v_pk_mul_f32 v[132:133], v[134:135], v[124:125] op_sel:[0,1]
	s_delay_alu instid0(VALU_DEP_2) | instskip(NEXT) | instid1(VALU_DEP_2)
	v_pk_add_f32 v[24:25], v[24:25], v[138:139] neg_lo:[0,1] neg_hi:[0,1]
	v_pk_fma_f32 v[136:137], v[134:135], v[122:123], v[132:133] op_sel:[0,0,1] op_sel_hi:[1,1,0] neg_lo:[0,0,1] neg_hi:[0,0,1]
	v_pk_fma_f32 v[132:133], v[134:135], v[122:123], v[132:133] op_sel:[0,0,1] op_sel_hi:[1,0,0]
	s_delay_alu instid0(VALU_DEP_1) | instskip(SKIP_4) | instid1(VALU_DEP_1)
	v_mov_b32_e32 v137, v133
	ds_load_2addr_b64 v[132:135], v126 offset0:43 offset1:44
	v_pk_add_f32 v[26:27], v[26:27], v[136:137] neg_lo:[0,1] neg_hi:[0,1]
	s_wait_dscnt 0x0
	v_pk_mul_f32 v[136:137], v[132:133], v[124:125] op_sel:[0,1]
	v_pk_fma_f32 v[138:139], v[132:133], v[122:123], v[136:137] op_sel:[0,0,1] op_sel_hi:[1,1,0] neg_lo:[0,0,1] neg_hi:[0,0,1]
	v_pk_fma_f32 v[132:133], v[132:133], v[122:123], v[136:137] op_sel:[0,0,1] op_sel_hi:[1,0,0]
	v_dual_mul_f32 v136, v135, v125 :: v_dual_mov_b32 v132, v135
	s_delay_alu instid0(VALU_DEP_2) | instskip(NEXT) | instid1(VALU_DEP_2)
	v_dual_mov_b32 v139, v133 :: v_dual_mov_b32 v133, v134
	v_pk_fma_f32 v[136:137], v[134:135], v[48:49], v[136:137] op_sel_hi:[1,1,0] neg_lo:[0,0,1] neg_hi:[0,0,1]
	v_mul_f32_e32 v134, v135, v122
	s_delay_alu instid0(VALU_DEP_3) | instskip(NEXT) | instid1(VALU_DEP_2)
	v_pk_add_f32 v[22:23], v[22:23], v[138:139] neg_lo:[0,1] neg_hi:[0,1]
	v_pk_fma_f32 v[132:133], v[132:133], v[48:49], v[134:135] op_sel_hi:[1,1,0]
	s_delay_alu instid0(VALU_DEP_1) | instskip(SKIP_4) | instid1(VALU_DEP_1)
	v_mov_b32_e32 v137, v133
	ds_load_2addr_b64 v[132:135], v126 offset0:45 offset1:46
	v_pk_add_f32 v[88:89], v[88:89], v[136:137] neg_lo:[0,1] neg_hi:[0,1]
	s_wait_dscnt 0x0
	v_pk_mul_f32 v[136:137], v[132:133], v[124:125] op_sel:[0,1]
	v_pk_fma_f32 v[138:139], v[132:133], v[122:123], v[136:137] op_sel:[0,0,1] op_sel_hi:[1,1,0] neg_lo:[0,0,1] neg_hi:[0,0,1]
	v_pk_fma_f32 v[132:133], v[132:133], v[122:123], v[136:137] op_sel:[0,0,1] op_sel_hi:[1,0,0]
	s_delay_alu instid0(VALU_DEP_1) | instskip(SKIP_1) | instid1(VALU_DEP_1)
	v_mov_b32_e32 v139, v133
	v_pk_mul_f32 v[132:133], v[134:135], v[124:125] op_sel:[0,1]
	v_pk_fma_f32 v[136:137], v[134:135], v[122:123], v[132:133] op_sel:[0,0,1] op_sel_hi:[1,1,0] neg_lo:[0,0,1] neg_hi:[0,0,1]
	v_pk_fma_f32 v[132:133], v[134:135], v[122:123], v[132:133] op_sel:[0,0,1] op_sel_hi:[1,0,0]
	s_delay_alu instid0(VALU_DEP_1)
	v_mov_b32_e32 v137, v133
	ds_load_2addr_b64 v[132:135], v126 offset0:47 offset1:48
	v_pk_add_f32 v[18:19], v[18:19], v[138:139] neg_lo:[0,1] neg_hi:[0,1]
	v_pk_add_f32 v[20:21], v[20:21], v[136:137] neg_lo:[0,1] neg_hi:[0,1]
	s_wait_dscnt 0x0
	v_pk_mul_f32 v[136:137], v[132:133], v[124:125] op_sel:[0,1]
	s_delay_alu instid0(VALU_DEP_1) | instskip(SKIP_1) | instid1(VALU_DEP_1)
	v_pk_fma_f32 v[138:139], v[132:133], v[122:123], v[136:137] op_sel:[0,0,1] op_sel_hi:[1,1,0] neg_lo:[0,0,1] neg_hi:[0,0,1]
	v_pk_fma_f32 v[132:133], v[132:133], v[122:123], v[136:137] op_sel:[0,0,1] op_sel_hi:[1,0,0]
	v_mov_b32_e32 v139, v133
	v_pk_mul_f32 v[132:133], v[134:135], v[124:125] op_sel:[0,1]
	s_delay_alu instid0(VALU_DEP_1) | instskip(SKIP_1) | instid1(VALU_DEP_1)
	v_pk_fma_f32 v[136:137], v[134:135], v[122:123], v[132:133] op_sel:[0,0,1] op_sel_hi:[1,1,0] neg_lo:[0,0,1] neg_hi:[0,0,1]
	v_pk_fma_f32 v[132:133], v[134:135], v[122:123], v[132:133] op_sel:[0,0,1] op_sel_hi:[1,0,0]
	v_mov_b32_e32 v137, v133
	ds_load_2addr_b64 v[132:135], v126 offset0:49 offset1:50
	v_pk_add_f32 v[16:17], v[16:17], v[138:139] neg_lo:[0,1] neg_hi:[0,1]
	v_pk_add_f32 v[84:85], v[84:85], v[136:137] neg_lo:[0,1] neg_hi:[0,1]
	s_wait_dscnt 0x0
	v_dual_mul_f32 v136, v133, v125 :: v_dual_mul_f32 v138, v133, v122
	s_delay_alu instid0(VALU_DEP_1) | instskip(NEXT) | instid1(VALU_DEP_2)
	v_pk_fma_f32 v[136:137], v[132:133], v[48:49], v[136:137] op_sel_hi:[1,1,0] neg_lo:[0,0,1] neg_hi:[0,0,1]
	v_pk_fma_f32 v[132:133], v[132:133], v[48:49], v[138:139] op_sel:[1,0,0] op_sel_hi:[0,1,0]
	s_delay_alu instid0(VALU_DEP_1) | instskip(SKIP_1) | instid1(VALU_DEP_2)
	v_mov_b32_e32 v137, v133
	v_pk_mul_f32 v[132:133], v[134:135], v[124:125] op_sel:[0,1]
	v_pk_add_f32 v[10:11], v[10:11], v[136:137] neg_lo:[0,1] neg_hi:[0,1]
	s_delay_alu instid0(VALU_DEP_2) | instskip(SKIP_1) | instid1(VALU_DEP_1)
	v_pk_fma_f32 v[136:137], v[134:135], v[122:123], v[132:133] op_sel:[0,0,1] op_sel_hi:[1,1,0] neg_lo:[0,0,1] neg_hi:[0,0,1]
	v_pk_fma_f32 v[132:133], v[134:135], v[122:123], v[132:133] op_sel:[0,0,1] op_sel_hi:[1,0,0]
	v_mov_b32_e32 v137, v133
	ds_load_2addr_b64 v[132:135], v126 offset0:51 offset1:52
	v_pk_add_f32 v[12:13], v[12:13], v[136:137] neg_lo:[0,1] neg_hi:[0,1]
	s_wait_dscnt 0x0
	v_pk_mul_f32 v[136:137], v[132:133], v[124:125] op_sel:[0,1]
	s_delay_alu instid0(VALU_DEP_1) | instskip(SKIP_1) | instid1(VALU_DEP_1)
	v_pk_fma_f32 v[138:139], v[132:133], v[122:123], v[136:137] op_sel:[0,0,1] op_sel_hi:[1,1,0] neg_lo:[0,0,1] neg_hi:[0,0,1]
	v_pk_fma_f32 v[132:133], v[132:133], v[122:123], v[136:137] op_sel:[0,0,1] op_sel_hi:[1,0,0]
	v_mov_b32_e32 v139, v133
	v_pk_mul_f32 v[132:133], v[134:135], v[124:125] op_sel:[0,1]
	s_delay_alu instid0(VALU_DEP_2) | instskip(NEXT) | instid1(VALU_DEP_2)
	v_pk_add_f32 v[8:9], v[8:9], v[138:139] neg_lo:[0,1] neg_hi:[0,1]
	v_pk_fma_f32 v[136:137], v[134:135], v[122:123], v[132:133] op_sel:[0,0,1] op_sel_hi:[1,1,0] neg_lo:[0,0,1] neg_hi:[0,0,1]
	v_pk_fma_f32 v[132:133], v[134:135], v[122:123], v[132:133] op_sel:[0,0,1] op_sel_hi:[1,0,0]
	s_delay_alu instid0(VALU_DEP_1) | instskip(SKIP_4) | instid1(VALU_DEP_1)
	v_mov_b32_e32 v137, v133
	ds_load_2addr_b64 v[132:135], v126 offset0:53 offset1:54
	v_pk_add_f32 v[60:61], v[60:61], v[136:137] neg_lo:[0,1] neg_hi:[0,1]
	s_wait_dscnt 0x0
	v_pk_mul_f32 v[136:137], v[132:133], v[124:125] op_sel:[0,1]
	v_pk_fma_f32 v[138:139], v[132:133], v[122:123], v[136:137] op_sel:[0,0,1] op_sel_hi:[1,1,0] neg_lo:[0,0,1] neg_hi:[0,0,1]
	v_pk_fma_f32 v[132:133], v[132:133], v[122:123], v[136:137] op_sel:[0,0,1] op_sel_hi:[1,0,0]
	v_dual_mul_f32 v136, v135, v125 :: v_dual_mov_b32 v132, v135
	s_delay_alu instid0(VALU_DEP_2) | instskip(NEXT) | instid1(VALU_DEP_2)
	v_dual_mov_b32 v139, v133 :: v_dual_mov_b32 v133, v134
	v_pk_fma_f32 v[136:137], v[134:135], v[48:49], v[136:137] op_sel_hi:[1,1,0] neg_lo:[0,0,1] neg_hi:[0,0,1]
	v_mul_f32_e32 v134, v135, v122
	s_delay_alu instid0(VALU_DEP_3) | instskip(NEXT) | instid1(VALU_DEP_2)
	v_pk_add_f32 v[6:7], v[6:7], v[138:139] neg_lo:[0,1] neg_hi:[0,1]
	v_pk_fma_f32 v[132:133], v[132:133], v[48:49], v[134:135] op_sel_hi:[1,1,0]
	s_delay_alu instid0(VALU_DEP_1) | instskip(SKIP_4) | instid1(VALU_DEP_1)
	v_mov_b32_e32 v137, v133
	ds_load_2addr_b64 v[132:135], v126 offset0:55 offset1:56
	v_pk_add_f32 v[42:43], v[42:43], v[136:137] neg_lo:[0,1] neg_hi:[0,1]
	s_wait_dscnt 0x0
	v_pk_mul_f32 v[136:137], v[132:133], v[124:125] op_sel:[0,1]
	v_pk_fma_f32 v[138:139], v[132:133], v[122:123], v[136:137] op_sel:[0,0,1] op_sel_hi:[1,1,0] neg_lo:[0,0,1] neg_hi:[0,0,1]
	v_pk_fma_f32 v[132:133], v[132:133], v[122:123], v[136:137] op_sel:[0,0,1] op_sel_hi:[1,0,0]
	s_delay_alu instid0(VALU_DEP_1) | instskip(SKIP_1) | instid1(VALU_DEP_1)
	v_mov_b32_e32 v139, v133
	v_pk_mul_f32 v[132:133], v[134:135], v[124:125] op_sel:[0,1]
	v_pk_fma_f32 v[136:137], v[134:135], v[122:123], v[132:133] op_sel:[0,0,1] op_sel_hi:[1,1,0] neg_lo:[0,0,1] neg_hi:[0,0,1]
	v_pk_fma_f32 v[132:133], v[134:135], v[122:123], v[132:133] op_sel:[0,0,1] op_sel_hi:[1,0,0]
	s_delay_alu instid0(VALU_DEP_1)
	v_mov_b32_e32 v137, v133
	ds_load_b64 v[132:133], v126 offset:456
	v_pk_add_f32 v[28:29], v[28:29], v[138:139] neg_lo:[0,1] neg_hi:[0,1]
	v_pk_add_f32 v[14:15], v[14:15], v[136:137] neg_lo:[0,1] neg_hi:[0,1]
	s_wait_dscnt 0x0
	v_pk_mul_f32 v[124:125], v[132:133], v[124:125] op_sel:[0,1]
	s_delay_alu instid0(VALU_DEP_1) | instskip(SKIP_1) | instid1(VALU_DEP_1)
	v_pk_fma_f32 v[134:135], v[132:133], v[122:123], v[124:125] op_sel:[0,0,1] op_sel_hi:[1,1,0] neg_lo:[0,0,1] neg_hi:[0,0,1]
	v_pk_fma_f32 v[122:123], v[132:133], v[122:123], v[124:125] op_sel:[0,0,1] op_sel_hi:[1,0,0]
	v_mov_b32_e32 v135, v123
	s_delay_alu instid0(VALU_DEP_1)
	v_pk_add_f32 v[120:121], v[120:121], v[134:135] neg_lo:[0,1] neg_hi:[0,1]
.LBB114_650:
	s_or_b32 exec_lo, exec_lo, s0
	v_lshl_add_u32 v122, v130, 3, v126
	s_barrier_signal -1
	s_barrier_wait -1
	ds_store_b64 v122, v[44:45]
	s_wait_dscnt 0x0
	s_barrier_signal -1
	s_barrier_wait -1
	ds_load_b64 v[124:125], v126 offset:248
	v_mov_b32_e32 v122, 31
	s_cmp_lt_i32 s18, 33
	s_cbranch_scc1 .LBB114_653
; %bb.651:
	v_add3_u32 v123, v127, 0, 0x100
	v_mov_b32_e32 v122, 31
	s_mov_b32 s0, 32
.LBB114_652:                            ; =>This Inner Loop Header: Depth=1
	ds_load_b64 v[132:133], v123
	s_wait_dscnt 0x1
	v_cmp_gt_f32_e32 vcc_lo, 0, v124
	v_cndmask_b32_e64 v134, v124, -v124, vcc_lo
	v_cmp_gt_f32_e32 vcc_lo, 0, v125
	v_cndmask_b32_e64 v136, v125, -v125, vcc_lo
	s_wait_dscnt 0x0
	v_cmp_gt_f32_e32 vcc_lo, 0, v132
	v_cndmask_b32_e64 v135, v132, -v132, vcc_lo
	v_cmp_gt_f32_e32 vcc_lo, 0, v133
	v_cndmask_b32_e64 v137, v133, -v133, vcc_lo
	s_delay_alu instid0(VALU_DEP_1) | instskip(NEXT) | instid1(VALU_DEP_1)
	v_pk_add_f32 v[134:135], v[134:135], v[136:137]
	v_cmp_lt_f32_e32 vcc_lo, v134, v135
	v_dual_add_nc_u32 v123, 8, v123 :: v_dual_cndmask_b32 v125, v125, v133, vcc_lo
	v_cndmask_b32_e32 v124, v124, v132, vcc_lo
	v_cndmask_b32_e64 v122, v122, s0, vcc_lo
	s_add_co_i32 s0, s0, 1
	s_delay_alu instid0(SALU_CYCLE_1)
	s_cmp_lg_u32 s18, s0
	s_cbranch_scc1 .LBB114_652
.LBB114_653:
	s_wait_dscnt 0x0
	v_cmp_eq_f32_e32 vcc_lo, 0, v124
	v_cmp_eq_f32_e64 s0, 0, v125
	s_and_b32 s0, vcc_lo, s0
	s_delay_alu instid0(SALU_CYCLE_1) | instskip(NEXT) | instid1(SALU_CYCLE_1)
	s_and_saveexec_b32 s1, s0
	s_xor_b32 s0, exec_lo, s1
; %bb.654:
	v_cmp_ne_u32_e32 vcc_lo, 0, v128
	v_cndmask_b32_e32 v128, 32, v128, vcc_lo
; %bb.655:
	s_and_not1_saveexec_b32 s0, s0
	s_cbranch_execz .LBB114_661
; %bb.656:
	v_cmp_ngt_f32_e64 s1, |v124|, |v125|
	s_and_saveexec_b32 s12, s1
	s_delay_alu instid0(SALU_CYCLE_1)
	s_xor_b32 s1, exec_lo, s12
	s_cbranch_execz .LBB114_658
; %bb.657:
	v_div_scale_f32 v123, null, v125, v125, v124
	v_div_scale_f32 v133, vcc_lo, v124, v125, v124
	s_delay_alu instid0(VALU_DEP_2) | instskip(SKIP_1) | instid1(TRANS32_DEP_1)
	v_rcp_f32_e32 v131, v123
	v_nop
	v_fma_f32 v132, -v123, v131, 1.0
	s_delay_alu instid0(VALU_DEP_1) | instskip(NEXT) | instid1(VALU_DEP_1)
	v_fmac_f32_e32 v131, v132, v131
	v_mul_f32_e32 v132, v133, v131
	s_delay_alu instid0(VALU_DEP_1) | instskip(NEXT) | instid1(VALU_DEP_1)
	v_fma_f32 v134, -v123, v132, v133
	v_fmac_f32_e32 v132, v134, v131
	s_delay_alu instid0(VALU_DEP_1) | instskip(NEXT) | instid1(VALU_DEP_1)
	v_fma_f32 v123, -v123, v132, v133
	v_div_fmas_f32 v123, v123, v131, v132
	s_delay_alu instid0(VALU_DEP_1) | instskip(NEXT) | instid1(VALU_DEP_1)
	v_div_fixup_f32 v123, v123, v125, v124
	v_fmac_f32_e32 v125, v124, v123
	s_delay_alu instid0(VALU_DEP_1) | instskip(SKIP_1) | instid1(VALU_DEP_2)
	v_div_scale_f32 v124, null, v125, v125, 1.0
	v_div_scale_f32 v133, vcc_lo, 1.0, v125, 1.0
	v_rcp_f32_e32 v131, v124
	v_nop
	s_delay_alu instid0(TRANS32_DEP_1) | instskip(NEXT) | instid1(VALU_DEP_1)
	v_fma_f32 v132, -v124, v131, 1.0
	v_fmac_f32_e32 v131, v132, v131
	s_delay_alu instid0(VALU_DEP_1) | instskip(NEXT) | instid1(VALU_DEP_1)
	v_mul_f32_e32 v132, v133, v131
	v_fma_f32 v134, -v124, v132, v133
	s_delay_alu instid0(VALU_DEP_1) | instskip(NEXT) | instid1(VALU_DEP_1)
	v_fmac_f32_e32 v132, v134, v131
	v_fma_f32 v124, -v124, v132, v133
	s_delay_alu instid0(VALU_DEP_1) | instskip(NEXT) | instid1(VALU_DEP_1)
	v_div_fmas_f32 v124, v124, v131, v132
	v_div_fixup_f32 v125, v124, v125, 1.0
	s_delay_alu instid0(VALU_DEP_1)
	v_mul_f32_e32 v124, v123, v125
	v_xor_b32_e32 v125, 0x80000000, v125
.LBB114_658:
	s_and_not1_saveexec_b32 s1, s1
	s_cbranch_execz .LBB114_660
; %bb.659:
	s_delay_alu instid0(VALU_DEP_1) | instskip(SKIP_1) | instid1(VALU_DEP_2)
	v_div_scale_f32 v123, null, v124, v124, v125
	v_div_scale_f32 v133, vcc_lo, v125, v124, v125
	v_rcp_f32_e32 v131, v123
	v_nop
	s_delay_alu instid0(TRANS32_DEP_1) | instskip(NEXT) | instid1(VALU_DEP_1)
	v_fma_f32 v132, -v123, v131, 1.0
	v_fmac_f32_e32 v131, v132, v131
	s_delay_alu instid0(VALU_DEP_1) | instskip(NEXT) | instid1(VALU_DEP_1)
	v_mul_f32_e32 v132, v133, v131
	v_fma_f32 v134, -v123, v132, v133
	s_delay_alu instid0(VALU_DEP_1) | instskip(NEXT) | instid1(VALU_DEP_1)
	v_fmac_f32_e32 v132, v134, v131
	v_fma_f32 v123, -v123, v132, v133
	s_delay_alu instid0(VALU_DEP_1) | instskip(NEXT) | instid1(VALU_DEP_1)
	v_div_fmas_f32 v123, v123, v131, v132
	v_div_fixup_f32 v123, v123, v124, v125
	s_delay_alu instid0(VALU_DEP_1) | instskip(NEXT) | instid1(VALU_DEP_1)
	v_fmac_f32_e32 v124, v125, v123
	v_div_scale_f32 v125, null, v124, v124, 1.0
	s_delay_alu instid0(VALU_DEP_1) | instskip(SKIP_1) | instid1(TRANS32_DEP_1)
	v_rcp_f32_e32 v131, v125
	v_nop
	v_fma_f32 v132, -v125, v131, 1.0
	s_delay_alu instid0(VALU_DEP_1) | instskip(SKIP_1) | instid1(VALU_DEP_1)
	v_fmac_f32_e32 v131, v132, v131
	v_div_scale_f32 v132, vcc_lo, 1.0, v124, 1.0
	v_mul_f32_e32 v133, v132, v131
	s_delay_alu instid0(VALU_DEP_1) | instskip(NEXT) | instid1(VALU_DEP_1)
	v_fma_f32 v134, -v125, v133, v132
	v_fmac_f32_e32 v133, v134, v131
	s_delay_alu instid0(VALU_DEP_1) | instskip(NEXT) | instid1(VALU_DEP_1)
	v_fma_f32 v125, -v125, v133, v132
	v_div_fmas_f32 v125, v125, v131, v133
	s_delay_alu instid0(VALU_DEP_1) | instskip(NEXT) | instid1(VALU_DEP_1)
	v_div_fixup_f32 v124, v125, v124, 1.0
	v_mul_f32_e64 v125, v123, -v124
.LBB114_660:
	s_or_b32 exec_lo, exec_lo, s1
.LBB114_661:
	s_delay_alu instid0(SALU_CYCLE_1) | instskip(NEXT) | instid1(SALU_CYCLE_1)
	s_or_b32 exec_lo, exec_lo, s0
	s_mov_b32 s0, exec_lo
	v_cmpx_ne_u32_e64 v130, v122
	s_xor_b32 s0, exec_lo, s0
	s_cbranch_execz .LBB114_667
; %bb.662:
	s_mov_b32 s1, exec_lo
	v_cmpx_eq_u32_e32 31, v130
	s_cbranch_execz .LBB114_666
; %bb.663:
	v_cmp_ne_u32_e32 vcc_lo, 31, v122
	s_xor_b32 s12, s16, -1
	s_delay_alu instid0(SALU_CYCLE_1) | instskip(NEXT) | instid1(SALU_CYCLE_1)
	s_and_b32 s13, s12, vcc_lo
	s_and_saveexec_b32 s12, s13
	s_cbranch_execz .LBB114_665
; %bb.664:
	v_ashrrev_i32_e32 v123, 31, v122
	s_delay_alu instid0(VALU_DEP_1)
	v_lshl_add_u64 v[130:131], v[122:123], 2, v[4:5]
	s_clause 0x1
	global_load_b32 v123, v[130:131], off
	global_load_b32 v129, v[4:5], off offset:124
	s_wait_loadcnt 0x1
	global_store_b32 v[4:5], v123, off offset:124
	s_wait_loadcnt 0x0
	global_store_b32 v[130:131], v129, off
.LBB114_665:
	s_wait_xcnt 0x0
	s_or_b32 exec_lo, exec_lo, s12
	v_dual_mov_b32 v130, v122 :: v_dual_mov_b32 v129, v122
.LBB114_666:
	s_or_b32 exec_lo, exec_lo, s1
.LBB114_667:
	s_and_not1_saveexec_b32 s0, s0
	s_cbranch_execz .LBB114_669
; %bb.668:
	v_dual_mov_b32 v122, v94 :: v_dual_mov_b32 v123, v95
	v_dual_mov_b32 v130, v38 :: v_dual_mov_b32 v131, v39
	ds_store_2addr_b64 v126, v[122:123], v[130:131] offset0:32 offset1:33
	v_dual_mov_b32 v122, v40 :: v_dual_mov_b32 v123, v41
	v_dual_mov_b32 v130, v36 :: v_dual_mov_b32 v131, v37
	ds_store_2addr_b64 v126, v[122:123], v[130:131] offset0:34 offset1:35
	;; [unrolled: 3-line block ×12, first 2 shown]
	v_dual_mov_b32 v122, v14 :: v_dual_mov_b32 v123, v15
	v_mov_b32_e32 v130, 31
	ds_store_2addr_b64 v126, v[122:123], v[120:121] offset0:56 offset1:57
.LBB114_669:
	s_or_b32 exec_lo, exec_lo, s0
	s_delay_alu instid0(SALU_CYCLE_1)
	s_mov_b32 s0, exec_lo
	s_wait_storecnt_dscnt 0x0
	s_barrier_signal -1
	s_barrier_wait -1
	v_cmpx_lt_i32_e32 31, v130
	s_cbranch_execz .LBB114_671
; %bb.670:
	v_pk_mul_f32 v[132:133], v[124:125], v[44:45] op_sel:[1,1] op_sel_hi:[0,1]
	s_delay_alu instid0(VALU_DEP_1)
	v_pk_fma_f32 v[122:123], v[124:125], v[44:45], v[132:133] op_sel_hi:[1,0,1] neg_lo:[0,0,1] neg_hi:[0,0,1]
	v_pk_fma_f32 v[124:125], v[124:125], v[44:45], v[132:133] op_sel_hi:[1,0,1]
	ds_load_2addr_b64 v[132:135], v126 offset0:32 offset1:33
	v_dual_mov_b32 v44, v122 :: v_dual_mov_b32 v45, v125
	s_wait_dscnt 0x0
	v_pk_mul_f32 v[136:137], v[132:133], v[124:125] op_sel:[0,1]
	s_delay_alu instid0(VALU_DEP_1) | instskip(SKIP_1) | instid1(VALU_DEP_1)
	v_pk_fma_f32 v[138:139], v[132:133], v[122:123], v[136:137] op_sel:[0,0,1] op_sel_hi:[1,1,0] neg_lo:[0,0,1] neg_hi:[0,0,1]
	v_pk_fma_f32 v[132:133], v[132:133], v[122:123], v[136:137] op_sel:[0,0,1] op_sel_hi:[1,0,0]
	v_mov_b32_e32 v139, v133
	v_pk_mul_f32 v[132:133], v[134:135], v[124:125] op_sel:[0,1]
	s_delay_alu instid0(VALU_DEP_1) | instskip(SKIP_1) | instid1(VALU_DEP_1)
	v_pk_fma_f32 v[136:137], v[134:135], v[122:123], v[132:133] op_sel:[0,0,1] op_sel_hi:[1,1,0] neg_lo:[0,0,1] neg_hi:[0,0,1]
	v_pk_fma_f32 v[132:133], v[134:135], v[122:123], v[132:133] op_sel:[0,0,1] op_sel_hi:[1,0,0]
	v_mov_b32_e32 v137, v133
	ds_load_2addr_b64 v[132:135], v126 offset0:34 offset1:35
	v_pk_add_f32 v[94:95], v[94:95], v[138:139] neg_lo:[0,1] neg_hi:[0,1]
	v_pk_add_f32 v[38:39], v[38:39], v[136:137] neg_lo:[0,1] neg_hi:[0,1]
	s_wait_dscnt 0x0
	v_pk_mul_f32 v[136:137], v[132:133], v[124:125] op_sel:[0,1]
	s_delay_alu instid0(VALU_DEP_1) | instskip(SKIP_2) | instid1(VALU_DEP_2)
	v_pk_fma_f32 v[138:139], v[132:133], v[122:123], v[136:137] op_sel:[0,0,1] op_sel_hi:[1,1,0] neg_lo:[0,0,1] neg_hi:[0,0,1]
	v_pk_fma_f32 v[132:133], v[132:133], v[122:123], v[136:137] op_sel:[0,0,1] op_sel_hi:[1,0,0]
	v_dual_mul_f32 v136, v135, v125 :: v_dual_mov_b32 v132, v135
	v_dual_mov_b32 v139, v133 :: v_dual_mov_b32 v133, v134
	s_delay_alu instid0(VALU_DEP_2) | instskip(SKIP_1) | instid1(VALU_DEP_3)
	v_pk_fma_f32 v[136:137], v[134:135], v[44:45], v[136:137] op_sel_hi:[1,1,0] neg_lo:[0,0,1] neg_hi:[0,0,1]
	v_mul_f32_e32 v134, v135, v122
	v_pk_add_f32 v[40:41], v[40:41], v[138:139] neg_lo:[0,1] neg_hi:[0,1]
	s_delay_alu instid0(VALU_DEP_2) | instskip(NEXT) | instid1(VALU_DEP_1)
	v_pk_fma_f32 v[132:133], v[132:133], v[44:45], v[134:135] op_sel_hi:[1,1,0]
	v_mov_b32_e32 v137, v133
	ds_load_2addr_b64 v[132:135], v126 offset0:36 offset1:37
	v_pk_add_f32 v[36:37], v[36:37], v[136:137] neg_lo:[0,1] neg_hi:[0,1]
	s_wait_dscnt 0x0
	v_pk_mul_f32 v[136:137], v[132:133], v[124:125] op_sel:[0,1]
	s_delay_alu instid0(VALU_DEP_1) | instskip(SKIP_1) | instid1(VALU_DEP_1)
	v_pk_fma_f32 v[138:139], v[132:133], v[122:123], v[136:137] op_sel:[0,0,1] op_sel_hi:[1,1,0] neg_lo:[0,0,1] neg_hi:[0,0,1]
	v_pk_fma_f32 v[132:133], v[132:133], v[122:123], v[136:137] op_sel:[0,0,1] op_sel_hi:[1,0,0]
	v_mov_b32_e32 v139, v133
	v_pk_mul_f32 v[132:133], v[134:135], v[124:125] op_sel:[0,1]
	s_delay_alu instid0(VALU_DEP_1) | instskip(SKIP_1) | instid1(VALU_DEP_1)
	v_pk_fma_f32 v[136:137], v[134:135], v[122:123], v[132:133] op_sel:[0,0,1] op_sel_hi:[1,1,0] neg_lo:[0,0,1] neg_hi:[0,0,1]
	v_pk_fma_f32 v[132:133], v[134:135], v[122:123], v[132:133] op_sel:[0,0,1] op_sel_hi:[1,0,0]
	v_mov_b32_e32 v137, v133
	ds_load_2addr_b64 v[132:135], v126 offset0:38 offset1:39
	v_pk_add_f32 v[92:93], v[92:93], v[138:139] neg_lo:[0,1] neg_hi:[0,1]
	v_pk_add_f32 v[32:33], v[32:33], v[136:137] neg_lo:[0,1] neg_hi:[0,1]
	s_wait_dscnt 0x0
	v_pk_mul_f32 v[136:137], v[132:133], v[124:125] op_sel:[0,1]
	s_delay_alu instid0(VALU_DEP_1) | instskip(SKIP_1) | instid1(VALU_DEP_1)
	v_pk_fma_f32 v[138:139], v[132:133], v[122:123], v[136:137] op_sel:[0,0,1] op_sel_hi:[1,1,0] neg_lo:[0,0,1] neg_hi:[0,0,1]
	v_pk_fma_f32 v[132:133], v[132:133], v[122:123], v[136:137] op_sel:[0,0,1] op_sel_hi:[1,0,0]
	v_mov_b32_e32 v139, v133
	v_pk_mul_f32 v[132:133], v[134:135], v[124:125] op_sel:[0,1]
	s_delay_alu instid0(VALU_DEP_1) | instskip(SKIP_1) | instid1(VALU_DEP_1)
	v_pk_fma_f32 v[136:137], v[134:135], v[122:123], v[132:133] op_sel:[0,0,1] op_sel_hi:[1,1,0] neg_lo:[0,0,1] neg_hi:[0,0,1]
	v_pk_fma_f32 v[132:133], v[134:135], v[122:123], v[132:133] op_sel:[0,0,1] op_sel_hi:[1,0,0]
	v_mov_b32_e32 v137, v133
	ds_load_2addr_b64 v[132:135], v126 offset0:40 offset1:41
	v_pk_add_f32 v[34:35], v[34:35], v[138:139] neg_lo:[0,1] neg_hi:[0,1]
	v_pk_add_f32 v[30:31], v[30:31], v[136:137] neg_lo:[0,1] neg_hi:[0,1]
	s_wait_dscnt 0x0
	v_dual_mul_f32 v136, v133, v125 :: v_dual_mul_f32 v138, v133, v122
	s_delay_alu instid0(VALU_DEP_1) | instskip(NEXT) | instid1(VALU_DEP_2)
	v_pk_fma_f32 v[136:137], v[132:133], v[44:45], v[136:137] op_sel_hi:[1,1,0] neg_lo:[0,0,1] neg_hi:[0,0,1]
	v_pk_fma_f32 v[132:133], v[132:133], v[44:45], v[138:139] op_sel:[1,0,0] op_sel_hi:[0,1,0]
	s_delay_alu instid0(VALU_DEP_1) | instskip(SKIP_1) | instid1(VALU_DEP_2)
	v_mov_b32_e32 v137, v133
	v_pk_mul_f32 v[132:133], v[134:135], v[124:125] op_sel:[0,1]
	v_pk_add_f32 v[90:91], v[90:91], v[136:137] neg_lo:[0,1] neg_hi:[0,1]
	s_delay_alu instid0(VALU_DEP_2) | instskip(SKIP_1) | instid1(VALU_DEP_1)
	v_pk_fma_f32 v[136:137], v[134:135], v[122:123], v[132:133] op_sel:[0,0,1] op_sel_hi:[1,1,0] neg_lo:[0,0,1] neg_hi:[0,0,1]
	v_pk_fma_f32 v[132:133], v[134:135], v[122:123], v[132:133] op_sel:[0,0,1] op_sel_hi:[1,0,0]
	v_mov_b32_e32 v137, v133
	ds_load_2addr_b64 v[132:135], v126 offset0:42 offset1:43
	v_pk_add_f32 v[24:25], v[24:25], v[136:137] neg_lo:[0,1] neg_hi:[0,1]
	s_wait_dscnt 0x0
	v_pk_mul_f32 v[136:137], v[132:133], v[124:125] op_sel:[0,1]
	s_delay_alu instid0(VALU_DEP_1) | instskip(SKIP_1) | instid1(VALU_DEP_1)
	v_pk_fma_f32 v[138:139], v[132:133], v[122:123], v[136:137] op_sel:[0,0,1] op_sel_hi:[1,1,0] neg_lo:[0,0,1] neg_hi:[0,0,1]
	v_pk_fma_f32 v[132:133], v[132:133], v[122:123], v[136:137] op_sel:[0,0,1] op_sel_hi:[1,0,0]
	v_mov_b32_e32 v139, v133
	v_pk_mul_f32 v[132:133], v[134:135], v[124:125] op_sel:[0,1]
	s_delay_alu instid0(VALU_DEP_2) | instskip(NEXT) | instid1(VALU_DEP_2)
	v_pk_add_f32 v[26:27], v[26:27], v[138:139] neg_lo:[0,1] neg_hi:[0,1]
	v_pk_fma_f32 v[136:137], v[134:135], v[122:123], v[132:133] op_sel:[0,0,1] op_sel_hi:[1,1,0] neg_lo:[0,0,1] neg_hi:[0,0,1]
	v_pk_fma_f32 v[132:133], v[134:135], v[122:123], v[132:133] op_sel:[0,0,1] op_sel_hi:[1,0,0]
	s_delay_alu instid0(VALU_DEP_1) | instskip(SKIP_4) | instid1(VALU_DEP_1)
	v_mov_b32_e32 v137, v133
	ds_load_2addr_b64 v[132:135], v126 offset0:44 offset1:45
	v_pk_add_f32 v[22:23], v[22:23], v[136:137] neg_lo:[0,1] neg_hi:[0,1]
	s_wait_dscnt 0x0
	v_pk_mul_f32 v[136:137], v[132:133], v[124:125] op_sel:[0,1]
	v_pk_fma_f32 v[138:139], v[132:133], v[122:123], v[136:137] op_sel:[0,0,1] op_sel_hi:[1,1,0] neg_lo:[0,0,1] neg_hi:[0,0,1]
	v_pk_fma_f32 v[132:133], v[132:133], v[122:123], v[136:137] op_sel:[0,0,1] op_sel_hi:[1,0,0]
	v_dual_mul_f32 v136, v135, v125 :: v_dual_mov_b32 v132, v135
	s_delay_alu instid0(VALU_DEP_2) | instskip(NEXT) | instid1(VALU_DEP_2)
	v_dual_mov_b32 v139, v133 :: v_dual_mov_b32 v133, v134
	v_pk_fma_f32 v[136:137], v[134:135], v[44:45], v[136:137] op_sel_hi:[1,1,0] neg_lo:[0,0,1] neg_hi:[0,0,1]
	v_mul_f32_e32 v134, v135, v122
	s_delay_alu instid0(VALU_DEP_3) | instskip(NEXT) | instid1(VALU_DEP_2)
	v_pk_add_f32 v[88:89], v[88:89], v[138:139] neg_lo:[0,1] neg_hi:[0,1]
	v_pk_fma_f32 v[132:133], v[132:133], v[44:45], v[134:135] op_sel_hi:[1,1,0]
	s_delay_alu instid0(VALU_DEP_1) | instskip(SKIP_4) | instid1(VALU_DEP_1)
	v_mov_b32_e32 v137, v133
	ds_load_2addr_b64 v[132:135], v126 offset0:46 offset1:47
	v_pk_add_f32 v[18:19], v[18:19], v[136:137] neg_lo:[0,1] neg_hi:[0,1]
	s_wait_dscnt 0x0
	v_pk_mul_f32 v[136:137], v[132:133], v[124:125] op_sel:[0,1]
	v_pk_fma_f32 v[138:139], v[132:133], v[122:123], v[136:137] op_sel:[0,0,1] op_sel_hi:[1,1,0] neg_lo:[0,0,1] neg_hi:[0,0,1]
	v_pk_fma_f32 v[132:133], v[132:133], v[122:123], v[136:137] op_sel:[0,0,1] op_sel_hi:[1,0,0]
	s_delay_alu instid0(VALU_DEP_1) | instskip(SKIP_1) | instid1(VALU_DEP_1)
	v_mov_b32_e32 v139, v133
	v_pk_mul_f32 v[132:133], v[134:135], v[124:125] op_sel:[0,1]
	v_pk_fma_f32 v[136:137], v[134:135], v[122:123], v[132:133] op_sel:[0,0,1] op_sel_hi:[1,1,0] neg_lo:[0,0,1] neg_hi:[0,0,1]
	v_pk_fma_f32 v[132:133], v[134:135], v[122:123], v[132:133] op_sel:[0,0,1] op_sel_hi:[1,0,0]
	s_delay_alu instid0(VALU_DEP_1)
	v_mov_b32_e32 v137, v133
	ds_load_2addr_b64 v[132:135], v126 offset0:48 offset1:49
	v_pk_add_f32 v[20:21], v[20:21], v[138:139] neg_lo:[0,1] neg_hi:[0,1]
	v_pk_add_f32 v[16:17], v[16:17], v[136:137] neg_lo:[0,1] neg_hi:[0,1]
	s_wait_dscnt 0x0
	v_pk_mul_f32 v[136:137], v[132:133], v[124:125] op_sel:[0,1]
	s_delay_alu instid0(VALU_DEP_1) | instskip(SKIP_1) | instid1(VALU_DEP_1)
	v_pk_fma_f32 v[138:139], v[132:133], v[122:123], v[136:137] op_sel:[0,0,1] op_sel_hi:[1,1,0] neg_lo:[0,0,1] neg_hi:[0,0,1]
	v_pk_fma_f32 v[132:133], v[132:133], v[122:123], v[136:137] op_sel:[0,0,1] op_sel_hi:[1,0,0]
	v_mov_b32_e32 v139, v133
	v_pk_mul_f32 v[132:133], v[134:135], v[124:125] op_sel:[0,1]
	s_delay_alu instid0(VALU_DEP_1) | instskip(SKIP_1) | instid1(VALU_DEP_1)
	v_pk_fma_f32 v[136:137], v[134:135], v[122:123], v[132:133] op_sel:[0,0,1] op_sel_hi:[1,1,0] neg_lo:[0,0,1] neg_hi:[0,0,1]
	v_pk_fma_f32 v[132:133], v[134:135], v[122:123], v[132:133] op_sel:[0,0,1] op_sel_hi:[1,0,0]
	v_mov_b32_e32 v137, v133
	ds_load_2addr_b64 v[132:135], v126 offset0:50 offset1:51
	v_pk_add_f32 v[84:85], v[84:85], v[138:139] neg_lo:[0,1] neg_hi:[0,1]
	v_pk_add_f32 v[10:11], v[10:11], v[136:137] neg_lo:[0,1] neg_hi:[0,1]
	s_wait_dscnt 0x0
	v_dual_mul_f32 v136, v133, v125 :: v_dual_mul_f32 v138, v133, v122
	s_delay_alu instid0(VALU_DEP_1) | instskip(NEXT) | instid1(VALU_DEP_2)
	v_pk_fma_f32 v[136:137], v[132:133], v[44:45], v[136:137] op_sel_hi:[1,1,0] neg_lo:[0,0,1] neg_hi:[0,0,1]
	v_pk_fma_f32 v[132:133], v[132:133], v[44:45], v[138:139] op_sel:[1,0,0] op_sel_hi:[0,1,0]
	s_delay_alu instid0(VALU_DEP_1) | instskip(SKIP_1) | instid1(VALU_DEP_2)
	v_mov_b32_e32 v137, v133
	v_pk_mul_f32 v[132:133], v[134:135], v[124:125] op_sel:[0,1]
	v_pk_add_f32 v[12:13], v[12:13], v[136:137] neg_lo:[0,1] neg_hi:[0,1]
	s_delay_alu instid0(VALU_DEP_2) | instskip(SKIP_1) | instid1(VALU_DEP_1)
	v_pk_fma_f32 v[136:137], v[134:135], v[122:123], v[132:133] op_sel:[0,0,1] op_sel_hi:[1,1,0] neg_lo:[0,0,1] neg_hi:[0,0,1]
	v_pk_fma_f32 v[132:133], v[134:135], v[122:123], v[132:133] op_sel:[0,0,1] op_sel_hi:[1,0,0]
	v_mov_b32_e32 v137, v133
	ds_load_2addr_b64 v[132:135], v126 offset0:52 offset1:53
	v_pk_add_f32 v[8:9], v[8:9], v[136:137] neg_lo:[0,1] neg_hi:[0,1]
	s_wait_dscnt 0x0
	v_pk_mul_f32 v[136:137], v[132:133], v[124:125] op_sel:[0,1]
	s_delay_alu instid0(VALU_DEP_1) | instskip(SKIP_1) | instid1(VALU_DEP_1)
	v_pk_fma_f32 v[138:139], v[132:133], v[122:123], v[136:137] op_sel:[0,0,1] op_sel_hi:[1,1,0] neg_lo:[0,0,1] neg_hi:[0,0,1]
	v_pk_fma_f32 v[132:133], v[132:133], v[122:123], v[136:137] op_sel:[0,0,1] op_sel_hi:[1,0,0]
	v_mov_b32_e32 v139, v133
	v_pk_mul_f32 v[132:133], v[134:135], v[124:125] op_sel:[0,1]
	s_delay_alu instid0(VALU_DEP_2) | instskip(NEXT) | instid1(VALU_DEP_2)
	v_pk_add_f32 v[60:61], v[60:61], v[138:139] neg_lo:[0,1] neg_hi:[0,1]
	v_pk_fma_f32 v[136:137], v[134:135], v[122:123], v[132:133] op_sel:[0,0,1] op_sel_hi:[1,1,0] neg_lo:[0,0,1] neg_hi:[0,0,1]
	v_pk_fma_f32 v[132:133], v[134:135], v[122:123], v[132:133] op_sel:[0,0,1] op_sel_hi:[1,0,0]
	s_delay_alu instid0(VALU_DEP_1) | instskip(SKIP_4) | instid1(VALU_DEP_1)
	v_mov_b32_e32 v137, v133
	ds_load_2addr_b64 v[132:135], v126 offset0:54 offset1:55
	v_pk_add_f32 v[6:7], v[6:7], v[136:137] neg_lo:[0,1] neg_hi:[0,1]
	s_wait_dscnt 0x0
	v_pk_mul_f32 v[136:137], v[132:133], v[124:125] op_sel:[0,1]
	v_pk_fma_f32 v[138:139], v[132:133], v[122:123], v[136:137] op_sel:[0,0,1] op_sel_hi:[1,1,0] neg_lo:[0,0,1] neg_hi:[0,0,1]
	v_pk_fma_f32 v[132:133], v[132:133], v[122:123], v[136:137] op_sel:[0,0,1] op_sel_hi:[1,0,0]
	v_dual_mul_f32 v136, v135, v125 :: v_dual_mov_b32 v132, v135
	s_delay_alu instid0(VALU_DEP_2) | instskip(NEXT) | instid1(VALU_DEP_2)
	v_dual_mov_b32 v139, v133 :: v_dual_mov_b32 v133, v134
	v_pk_fma_f32 v[136:137], v[134:135], v[44:45], v[136:137] op_sel_hi:[1,1,0] neg_lo:[0,0,1] neg_hi:[0,0,1]
	v_mul_f32_e32 v134, v135, v122
	s_delay_alu instid0(VALU_DEP_3) | instskip(NEXT) | instid1(VALU_DEP_2)
	v_pk_add_f32 v[42:43], v[42:43], v[138:139] neg_lo:[0,1] neg_hi:[0,1]
	v_pk_fma_f32 v[132:133], v[132:133], v[44:45], v[134:135] op_sel_hi:[1,1,0]
	s_delay_alu instid0(VALU_DEP_1)
	v_mov_b32_e32 v137, v133
	ds_load_2addr_b64 v[132:135], v126 offset0:56 offset1:57
	v_pk_add_f32 v[28:29], v[28:29], v[136:137] neg_lo:[0,1] neg_hi:[0,1]
	s_wait_dscnt 0x0
	v_pk_mul_f32 v[136:137], v[132:133], v[124:125] op_sel:[0,1]
	v_pk_mul_f32 v[124:125], v[134:135], v[124:125] op_sel:[0,1]
	s_delay_alu instid0(VALU_DEP_2) | instskip(SKIP_1) | instid1(VALU_DEP_1)
	v_pk_fma_f32 v[138:139], v[132:133], v[122:123], v[136:137] op_sel:[0,0,1] op_sel_hi:[1,1,0] neg_lo:[0,0,1] neg_hi:[0,0,1]
	v_pk_fma_f32 v[132:133], v[132:133], v[122:123], v[136:137] op_sel:[0,0,1] op_sel_hi:[1,0,0]
	v_mov_b32_e32 v139, v133
	s_delay_alu instid0(VALU_DEP_4) | instskip(SKIP_1) | instid1(VALU_DEP_1)
	v_pk_fma_f32 v[132:133], v[134:135], v[122:123], v[124:125] op_sel:[0,0,1] op_sel_hi:[1,1,0] neg_lo:[0,0,1] neg_hi:[0,0,1]
	v_pk_fma_f32 v[122:123], v[134:135], v[122:123], v[124:125] op_sel:[0,0,1] op_sel_hi:[1,0,0]
	v_mov_b32_e32 v133, v123
	s_delay_alu instid0(VALU_DEP_4) | instskip(NEXT) | instid1(VALU_DEP_2)
	v_pk_add_f32 v[14:15], v[14:15], v[138:139] neg_lo:[0,1] neg_hi:[0,1]
	v_pk_add_f32 v[120:121], v[120:121], v[132:133] neg_lo:[0,1] neg_hi:[0,1]
.LBB114_671:
	s_or_b32 exec_lo, exec_lo, s0
	v_lshl_add_u32 v122, v130, 3, v126
	s_barrier_signal -1
	s_barrier_wait -1
	ds_store_b64 v122, v[94:95]
	s_wait_dscnt 0x0
	s_barrier_signal -1
	s_barrier_wait -1
	ds_load_b64 v[124:125], v126 offset:256
	v_mov_b32_e32 v122, 32
	s_cmp_lt_i32 s18, 34
	s_cbranch_scc1 .LBB114_674
; %bb.672:
	v_add3_u32 v123, v127, 0, 0x108
	v_mov_b32_e32 v122, 32
	s_mov_b32 s0, 33
.LBB114_673:                            ; =>This Inner Loop Header: Depth=1
	ds_load_b64 v[132:133], v123
	s_wait_dscnt 0x1
	v_cmp_gt_f32_e32 vcc_lo, 0, v124
	v_cndmask_b32_e64 v134, v124, -v124, vcc_lo
	v_cmp_gt_f32_e32 vcc_lo, 0, v125
	v_cndmask_b32_e64 v136, v125, -v125, vcc_lo
	s_wait_dscnt 0x0
	v_cmp_gt_f32_e32 vcc_lo, 0, v132
	v_cndmask_b32_e64 v135, v132, -v132, vcc_lo
	v_cmp_gt_f32_e32 vcc_lo, 0, v133
	v_cndmask_b32_e64 v137, v133, -v133, vcc_lo
	s_delay_alu instid0(VALU_DEP_1) | instskip(NEXT) | instid1(VALU_DEP_1)
	v_pk_add_f32 v[134:135], v[134:135], v[136:137]
	v_cmp_lt_f32_e32 vcc_lo, v134, v135
	v_dual_add_nc_u32 v123, 8, v123 :: v_dual_cndmask_b32 v125, v125, v133, vcc_lo
	v_cndmask_b32_e32 v124, v124, v132, vcc_lo
	v_cndmask_b32_e64 v122, v122, s0, vcc_lo
	s_add_co_i32 s0, s0, 1
	s_delay_alu instid0(SALU_CYCLE_1)
	s_cmp_lg_u32 s18, s0
	s_cbranch_scc1 .LBB114_673
.LBB114_674:
	s_wait_dscnt 0x0
	v_cmp_eq_f32_e32 vcc_lo, 0, v124
	v_cmp_eq_f32_e64 s0, 0, v125
	s_and_b32 s0, vcc_lo, s0
	s_delay_alu instid0(SALU_CYCLE_1) | instskip(NEXT) | instid1(SALU_CYCLE_1)
	s_and_saveexec_b32 s1, s0
	s_xor_b32 s0, exec_lo, s1
; %bb.675:
	v_cmp_ne_u32_e32 vcc_lo, 0, v128
	v_cndmask_b32_e32 v128, 33, v128, vcc_lo
; %bb.676:
	s_and_not1_saveexec_b32 s0, s0
	s_cbranch_execz .LBB114_682
; %bb.677:
	v_cmp_ngt_f32_e64 s1, |v124|, |v125|
	s_and_saveexec_b32 s12, s1
	s_delay_alu instid0(SALU_CYCLE_1)
	s_xor_b32 s1, exec_lo, s12
	s_cbranch_execz .LBB114_679
; %bb.678:
	v_div_scale_f32 v123, null, v125, v125, v124
	v_div_scale_f32 v133, vcc_lo, v124, v125, v124
	s_delay_alu instid0(VALU_DEP_2) | instskip(SKIP_1) | instid1(TRANS32_DEP_1)
	v_rcp_f32_e32 v131, v123
	v_nop
	v_fma_f32 v132, -v123, v131, 1.0
	s_delay_alu instid0(VALU_DEP_1) | instskip(NEXT) | instid1(VALU_DEP_1)
	v_fmac_f32_e32 v131, v132, v131
	v_mul_f32_e32 v132, v133, v131
	s_delay_alu instid0(VALU_DEP_1) | instskip(NEXT) | instid1(VALU_DEP_1)
	v_fma_f32 v134, -v123, v132, v133
	v_fmac_f32_e32 v132, v134, v131
	s_delay_alu instid0(VALU_DEP_1) | instskip(NEXT) | instid1(VALU_DEP_1)
	v_fma_f32 v123, -v123, v132, v133
	v_div_fmas_f32 v123, v123, v131, v132
	s_delay_alu instid0(VALU_DEP_1) | instskip(NEXT) | instid1(VALU_DEP_1)
	v_div_fixup_f32 v123, v123, v125, v124
	v_fmac_f32_e32 v125, v124, v123
	s_delay_alu instid0(VALU_DEP_1) | instskip(SKIP_1) | instid1(VALU_DEP_2)
	v_div_scale_f32 v124, null, v125, v125, 1.0
	v_div_scale_f32 v133, vcc_lo, 1.0, v125, 1.0
	v_rcp_f32_e32 v131, v124
	v_nop
	s_delay_alu instid0(TRANS32_DEP_1) | instskip(NEXT) | instid1(VALU_DEP_1)
	v_fma_f32 v132, -v124, v131, 1.0
	v_fmac_f32_e32 v131, v132, v131
	s_delay_alu instid0(VALU_DEP_1) | instskip(NEXT) | instid1(VALU_DEP_1)
	v_mul_f32_e32 v132, v133, v131
	v_fma_f32 v134, -v124, v132, v133
	s_delay_alu instid0(VALU_DEP_1) | instskip(NEXT) | instid1(VALU_DEP_1)
	v_fmac_f32_e32 v132, v134, v131
	v_fma_f32 v124, -v124, v132, v133
	s_delay_alu instid0(VALU_DEP_1) | instskip(NEXT) | instid1(VALU_DEP_1)
	v_div_fmas_f32 v124, v124, v131, v132
	v_div_fixup_f32 v125, v124, v125, 1.0
	s_delay_alu instid0(VALU_DEP_1)
	v_mul_f32_e32 v124, v123, v125
	v_xor_b32_e32 v125, 0x80000000, v125
.LBB114_679:
	s_and_not1_saveexec_b32 s1, s1
	s_cbranch_execz .LBB114_681
; %bb.680:
	s_delay_alu instid0(VALU_DEP_1) | instskip(SKIP_1) | instid1(VALU_DEP_2)
	v_div_scale_f32 v123, null, v124, v124, v125
	v_div_scale_f32 v133, vcc_lo, v125, v124, v125
	v_rcp_f32_e32 v131, v123
	v_nop
	s_delay_alu instid0(TRANS32_DEP_1) | instskip(NEXT) | instid1(VALU_DEP_1)
	v_fma_f32 v132, -v123, v131, 1.0
	v_fmac_f32_e32 v131, v132, v131
	s_delay_alu instid0(VALU_DEP_1) | instskip(NEXT) | instid1(VALU_DEP_1)
	v_mul_f32_e32 v132, v133, v131
	v_fma_f32 v134, -v123, v132, v133
	s_delay_alu instid0(VALU_DEP_1) | instskip(NEXT) | instid1(VALU_DEP_1)
	v_fmac_f32_e32 v132, v134, v131
	v_fma_f32 v123, -v123, v132, v133
	s_delay_alu instid0(VALU_DEP_1) | instskip(NEXT) | instid1(VALU_DEP_1)
	v_div_fmas_f32 v123, v123, v131, v132
	v_div_fixup_f32 v123, v123, v124, v125
	s_delay_alu instid0(VALU_DEP_1) | instskip(NEXT) | instid1(VALU_DEP_1)
	v_fmac_f32_e32 v124, v125, v123
	v_div_scale_f32 v125, null, v124, v124, 1.0
	s_delay_alu instid0(VALU_DEP_1) | instskip(SKIP_1) | instid1(TRANS32_DEP_1)
	v_rcp_f32_e32 v131, v125
	v_nop
	v_fma_f32 v132, -v125, v131, 1.0
	s_delay_alu instid0(VALU_DEP_1) | instskip(SKIP_1) | instid1(VALU_DEP_1)
	v_fmac_f32_e32 v131, v132, v131
	v_div_scale_f32 v132, vcc_lo, 1.0, v124, 1.0
	v_mul_f32_e32 v133, v132, v131
	s_delay_alu instid0(VALU_DEP_1) | instskip(NEXT) | instid1(VALU_DEP_1)
	v_fma_f32 v134, -v125, v133, v132
	v_fmac_f32_e32 v133, v134, v131
	s_delay_alu instid0(VALU_DEP_1) | instskip(NEXT) | instid1(VALU_DEP_1)
	v_fma_f32 v125, -v125, v133, v132
	v_div_fmas_f32 v125, v125, v131, v133
	s_delay_alu instid0(VALU_DEP_1) | instskip(NEXT) | instid1(VALU_DEP_1)
	v_div_fixup_f32 v124, v125, v124, 1.0
	v_mul_f32_e64 v125, v123, -v124
.LBB114_681:
	s_or_b32 exec_lo, exec_lo, s1
.LBB114_682:
	s_delay_alu instid0(SALU_CYCLE_1) | instskip(NEXT) | instid1(SALU_CYCLE_1)
	s_or_b32 exec_lo, exec_lo, s0
	s_mov_b32 s0, exec_lo
	v_cmpx_ne_u32_e64 v130, v122
	s_xor_b32 s0, exec_lo, s0
	s_cbranch_execz .LBB114_688
; %bb.683:
	s_mov_b32 s1, exec_lo
	v_cmpx_eq_u32_e32 32, v130
	s_cbranch_execz .LBB114_687
; %bb.684:
	v_cmp_ne_u32_e32 vcc_lo, 32, v122
	s_xor_b32 s12, s16, -1
	s_delay_alu instid0(SALU_CYCLE_1) | instskip(NEXT) | instid1(SALU_CYCLE_1)
	s_and_b32 s13, s12, vcc_lo
	s_and_saveexec_b32 s12, s13
	s_cbranch_execz .LBB114_686
; %bb.685:
	v_ashrrev_i32_e32 v123, 31, v122
	s_delay_alu instid0(VALU_DEP_1)
	v_lshl_add_u64 v[130:131], v[122:123], 2, v[4:5]
	s_clause 0x1
	global_load_b32 v123, v[130:131], off
	global_load_b32 v129, v[4:5], off offset:128
	s_wait_loadcnt 0x1
	global_store_b32 v[4:5], v123, off offset:128
	s_wait_loadcnt 0x0
	global_store_b32 v[130:131], v129, off
.LBB114_686:
	s_wait_xcnt 0x0
	s_or_b32 exec_lo, exec_lo, s12
	v_dual_mov_b32 v130, v122 :: v_dual_mov_b32 v129, v122
.LBB114_687:
	s_or_b32 exec_lo, exec_lo, s1
.LBB114_688:
	s_and_not1_saveexec_b32 s0, s0
	s_cbranch_execz .LBB114_690
; %bb.689:
	v_mov_b32_e32 v130, 32
	ds_store_2addr_b64 v126, v[38:39], v[40:41] offset0:33 offset1:34
	ds_store_2addr_b64 v126, v[36:37], v[92:93] offset0:35 offset1:36
	;; [unrolled: 1-line block ×12, first 2 shown]
	ds_store_b64 v126, v[120:121] offset:456
.LBB114_690:
	s_or_b32 exec_lo, exec_lo, s0
	s_delay_alu instid0(SALU_CYCLE_1)
	s_mov_b32 s0, exec_lo
	s_wait_storecnt_dscnt 0x0
	s_barrier_signal -1
	s_barrier_wait -1
	v_cmpx_lt_i32_e32 32, v130
	s_cbranch_execz .LBB114_692
; %bb.691:
	v_pk_mul_f32 v[132:133], v[124:125], v[94:95] op_sel:[1,1] op_sel_hi:[0,1]
	s_delay_alu instid0(VALU_DEP_1)
	v_pk_fma_f32 v[122:123], v[124:125], v[94:95], v[132:133] op_sel_hi:[1,0,1] neg_lo:[0,0,1] neg_hi:[0,0,1]
	v_pk_fma_f32 v[124:125], v[124:125], v[94:95], v[132:133] op_sel_hi:[1,0,1]
	ds_load_2addr_b64 v[132:135], v126 offset0:33 offset1:34
	v_dual_mov_b32 v94, v122 :: v_dual_mov_b32 v95, v125
	s_wait_dscnt 0x0
	v_pk_mul_f32 v[136:137], v[132:133], v[124:125] op_sel:[0,1]
	s_delay_alu instid0(VALU_DEP_1) | instskip(SKIP_1) | instid1(VALU_DEP_1)
	v_pk_fma_f32 v[138:139], v[132:133], v[122:123], v[136:137] op_sel:[0,0,1] op_sel_hi:[1,1,0] neg_lo:[0,0,1] neg_hi:[0,0,1]
	v_pk_fma_f32 v[132:133], v[132:133], v[122:123], v[136:137] op_sel:[0,0,1] op_sel_hi:[1,0,0]
	v_mov_b32_e32 v139, v133
	v_pk_mul_f32 v[132:133], v[134:135], v[124:125] op_sel:[0,1]
	s_delay_alu instid0(VALU_DEP_1) | instskip(SKIP_1) | instid1(VALU_DEP_1)
	v_pk_fma_f32 v[136:137], v[134:135], v[122:123], v[132:133] op_sel:[0,0,1] op_sel_hi:[1,1,0] neg_lo:[0,0,1] neg_hi:[0,0,1]
	v_pk_fma_f32 v[132:133], v[134:135], v[122:123], v[132:133] op_sel:[0,0,1] op_sel_hi:[1,0,0]
	v_mov_b32_e32 v137, v133
	ds_load_2addr_b64 v[132:135], v126 offset0:35 offset1:36
	v_pk_add_f32 v[38:39], v[38:39], v[138:139] neg_lo:[0,1] neg_hi:[0,1]
	v_pk_add_f32 v[40:41], v[40:41], v[136:137] neg_lo:[0,1] neg_hi:[0,1]
	s_wait_dscnt 0x0
	v_pk_mul_f32 v[136:137], v[132:133], v[124:125] op_sel:[0,1]
	s_delay_alu instid0(VALU_DEP_1) | instskip(SKIP_2) | instid1(VALU_DEP_2)
	v_pk_fma_f32 v[138:139], v[132:133], v[122:123], v[136:137] op_sel:[0,0,1] op_sel_hi:[1,1,0] neg_lo:[0,0,1] neg_hi:[0,0,1]
	v_pk_fma_f32 v[132:133], v[132:133], v[122:123], v[136:137] op_sel:[0,0,1] op_sel_hi:[1,0,0]
	v_dual_mul_f32 v136, v135, v125 :: v_dual_mov_b32 v132, v135
	v_dual_mov_b32 v139, v133 :: v_dual_mov_b32 v133, v134
	s_delay_alu instid0(VALU_DEP_2) | instskip(SKIP_1) | instid1(VALU_DEP_3)
	v_pk_fma_f32 v[136:137], v[134:135], v[94:95], v[136:137] op_sel_hi:[1,1,0] neg_lo:[0,0,1] neg_hi:[0,0,1]
	v_mul_f32_e32 v134, v135, v122
	v_pk_add_f32 v[36:37], v[36:37], v[138:139] neg_lo:[0,1] neg_hi:[0,1]
	s_delay_alu instid0(VALU_DEP_2) | instskip(NEXT) | instid1(VALU_DEP_1)
	v_pk_fma_f32 v[132:133], v[132:133], v[94:95], v[134:135] op_sel_hi:[1,1,0]
	v_mov_b32_e32 v137, v133
	ds_load_2addr_b64 v[132:135], v126 offset0:37 offset1:38
	v_pk_add_f32 v[92:93], v[92:93], v[136:137] neg_lo:[0,1] neg_hi:[0,1]
	s_wait_dscnt 0x0
	v_pk_mul_f32 v[136:137], v[132:133], v[124:125] op_sel:[0,1]
	s_delay_alu instid0(VALU_DEP_1) | instskip(SKIP_1) | instid1(VALU_DEP_1)
	v_pk_fma_f32 v[138:139], v[132:133], v[122:123], v[136:137] op_sel:[0,0,1] op_sel_hi:[1,1,0] neg_lo:[0,0,1] neg_hi:[0,0,1]
	v_pk_fma_f32 v[132:133], v[132:133], v[122:123], v[136:137] op_sel:[0,0,1] op_sel_hi:[1,0,0]
	v_mov_b32_e32 v139, v133
	v_pk_mul_f32 v[132:133], v[134:135], v[124:125] op_sel:[0,1]
	s_delay_alu instid0(VALU_DEP_1) | instskip(SKIP_1) | instid1(VALU_DEP_1)
	v_pk_fma_f32 v[136:137], v[134:135], v[122:123], v[132:133] op_sel:[0,0,1] op_sel_hi:[1,1,0] neg_lo:[0,0,1] neg_hi:[0,0,1]
	v_pk_fma_f32 v[132:133], v[134:135], v[122:123], v[132:133] op_sel:[0,0,1] op_sel_hi:[1,0,0]
	v_mov_b32_e32 v137, v133
	ds_load_2addr_b64 v[132:135], v126 offset0:39 offset1:40
	v_pk_add_f32 v[32:33], v[32:33], v[138:139] neg_lo:[0,1] neg_hi:[0,1]
	v_pk_add_f32 v[34:35], v[34:35], v[136:137] neg_lo:[0,1] neg_hi:[0,1]
	s_wait_dscnt 0x0
	v_pk_mul_f32 v[136:137], v[132:133], v[124:125] op_sel:[0,1]
	s_delay_alu instid0(VALU_DEP_1) | instskip(SKIP_1) | instid1(VALU_DEP_1)
	v_pk_fma_f32 v[138:139], v[132:133], v[122:123], v[136:137] op_sel:[0,0,1] op_sel_hi:[1,1,0] neg_lo:[0,0,1] neg_hi:[0,0,1]
	v_pk_fma_f32 v[132:133], v[132:133], v[122:123], v[136:137] op_sel:[0,0,1] op_sel_hi:[1,0,0]
	v_mov_b32_e32 v139, v133
	v_pk_mul_f32 v[132:133], v[134:135], v[124:125] op_sel:[0,1]
	s_delay_alu instid0(VALU_DEP_1) | instskip(SKIP_1) | instid1(VALU_DEP_1)
	v_pk_fma_f32 v[136:137], v[134:135], v[122:123], v[132:133] op_sel:[0,0,1] op_sel_hi:[1,1,0] neg_lo:[0,0,1] neg_hi:[0,0,1]
	v_pk_fma_f32 v[132:133], v[134:135], v[122:123], v[132:133] op_sel:[0,0,1] op_sel_hi:[1,0,0]
	v_mov_b32_e32 v137, v133
	ds_load_2addr_b64 v[132:135], v126 offset0:41 offset1:42
	v_pk_add_f32 v[30:31], v[30:31], v[138:139] neg_lo:[0,1] neg_hi:[0,1]
	v_pk_add_f32 v[90:91], v[90:91], v[136:137] neg_lo:[0,1] neg_hi:[0,1]
	s_wait_dscnt 0x0
	v_dual_mul_f32 v136, v133, v125 :: v_dual_mul_f32 v138, v133, v122
	s_delay_alu instid0(VALU_DEP_1) | instskip(NEXT) | instid1(VALU_DEP_2)
	v_pk_fma_f32 v[136:137], v[132:133], v[94:95], v[136:137] op_sel_hi:[1,1,0] neg_lo:[0,0,1] neg_hi:[0,0,1]
	v_pk_fma_f32 v[132:133], v[132:133], v[94:95], v[138:139] op_sel:[1,0,0] op_sel_hi:[0,1,0]
	s_delay_alu instid0(VALU_DEP_1) | instskip(SKIP_1) | instid1(VALU_DEP_2)
	v_mov_b32_e32 v137, v133
	v_pk_mul_f32 v[132:133], v[134:135], v[124:125] op_sel:[0,1]
	v_pk_add_f32 v[24:25], v[24:25], v[136:137] neg_lo:[0,1] neg_hi:[0,1]
	s_delay_alu instid0(VALU_DEP_2) | instskip(SKIP_1) | instid1(VALU_DEP_1)
	v_pk_fma_f32 v[136:137], v[134:135], v[122:123], v[132:133] op_sel:[0,0,1] op_sel_hi:[1,1,0] neg_lo:[0,0,1] neg_hi:[0,0,1]
	v_pk_fma_f32 v[132:133], v[134:135], v[122:123], v[132:133] op_sel:[0,0,1] op_sel_hi:[1,0,0]
	v_mov_b32_e32 v137, v133
	ds_load_2addr_b64 v[132:135], v126 offset0:43 offset1:44
	v_pk_add_f32 v[26:27], v[26:27], v[136:137] neg_lo:[0,1] neg_hi:[0,1]
	s_wait_dscnt 0x0
	v_pk_mul_f32 v[136:137], v[132:133], v[124:125] op_sel:[0,1]
	s_delay_alu instid0(VALU_DEP_1) | instskip(SKIP_1) | instid1(VALU_DEP_1)
	v_pk_fma_f32 v[138:139], v[132:133], v[122:123], v[136:137] op_sel:[0,0,1] op_sel_hi:[1,1,0] neg_lo:[0,0,1] neg_hi:[0,0,1]
	v_pk_fma_f32 v[132:133], v[132:133], v[122:123], v[136:137] op_sel:[0,0,1] op_sel_hi:[1,0,0]
	v_mov_b32_e32 v139, v133
	v_pk_mul_f32 v[132:133], v[134:135], v[124:125] op_sel:[0,1]
	s_delay_alu instid0(VALU_DEP_2) | instskip(NEXT) | instid1(VALU_DEP_2)
	v_pk_add_f32 v[22:23], v[22:23], v[138:139] neg_lo:[0,1] neg_hi:[0,1]
	v_pk_fma_f32 v[136:137], v[134:135], v[122:123], v[132:133] op_sel:[0,0,1] op_sel_hi:[1,1,0] neg_lo:[0,0,1] neg_hi:[0,0,1]
	v_pk_fma_f32 v[132:133], v[134:135], v[122:123], v[132:133] op_sel:[0,0,1] op_sel_hi:[1,0,0]
	s_delay_alu instid0(VALU_DEP_1) | instskip(SKIP_4) | instid1(VALU_DEP_1)
	v_mov_b32_e32 v137, v133
	ds_load_2addr_b64 v[132:135], v126 offset0:45 offset1:46
	v_pk_add_f32 v[88:89], v[88:89], v[136:137] neg_lo:[0,1] neg_hi:[0,1]
	s_wait_dscnt 0x0
	v_pk_mul_f32 v[136:137], v[132:133], v[124:125] op_sel:[0,1]
	v_pk_fma_f32 v[138:139], v[132:133], v[122:123], v[136:137] op_sel:[0,0,1] op_sel_hi:[1,1,0] neg_lo:[0,0,1] neg_hi:[0,0,1]
	v_pk_fma_f32 v[132:133], v[132:133], v[122:123], v[136:137] op_sel:[0,0,1] op_sel_hi:[1,0,0]
	v_dual_mul_f32 v136, v135, v125 :: v_dual_mov_b32 v132, v135
	s_delay_alu instid0(VALU_DEP_2) | instskip(NEXT) | instid1(VALU_DEP_2)
	v_dual_mov_b32 v139, v133 :: v_dual_mov_b32 v133, v134
	v_pk_fma_f32 v[136:137], v[134:135], v[94:95], v[136:137] op_sel_hi:[1,1,0] neg_lo:[0,0,1] neg_hi:[0,0,1]
	v_mul_f32_e32 v134, v135, v122
	s_delay_alu instid0(VALU_DEP_3) | instskip(NEXT) | instid1(VALU_DEP_2)
	v_pk_add_f32 v[18:19], v[18:19], v[138:139] neg_lo:[0,1] neg_hi:[0,1]
	v_pk_fma_f32 v[132:133], v[132:133], v[94:95], v[134:135] op_sel_hi:[1,1,0]
	s_delay_alu instid0(VALU_DEP_1) | instskip(SKIP_4) | instid1(VALU_DEP_1)
	v_mov_b32_e32 v137, v133
	ds_load_2addr_b64 v[132:135], v126 offset0:47 offset1:48
	v_pk_add_f32 v[20:21], v[20:21], v[136:137] neg_lo:[0,1] neg_hi:[0,1]
	s_wait_dscnt 0x0
	v_pk_mul_f32 v[136:137], v[132:133], v[124:125] op_sel:[0,1]
	v_pk_fma_f32 v[138:139], v[132:133], v[122:123], v[136:137] op_sel:[0,0,1] op_sel_hi:[1,1,0] neg_lo:[0,0,1] neg_hi:[0,0,1]
	v_pk_fma_f32 v[132:133], v[132:133], v[122:123], v[136:137] op_sel:[0,0,1] op_sel_hi:[1,0,0]
	s_delay_alu instid0(VALU_DEP_1) | instskip(SKIP_1) | instid1(VALU_DEP_1)
	v_mov_b32_e32 v139, v133
	v_pk_mul_f32 v[132:133], v[134:135], v[124:125] op_sel:[0,1]
	v_pk_fma_f32 v[136:137], v[134:135], v[122:123], v[132:133] op_sel:[0,0,1] op_sel_hi:[1,1,0] neg_lo:[0,0,1] neg_hi:[0,0,1]
	v_pk_fma_f32 v[132:133], v[134:135], v[122:123], v[132:133] op_sel:[0,0,1] op_sel_hi:[1,0,0]
	s_delay_alu instid0(VALU_DEP_1)
	v_mov_b32_e32 v137, v133
	ds_load_2addr_b64 v[132:135], v126 offset0:49 offset1:50
	v_pk_add_f32 v[16:17], v[16:17], v[138:139] neg_lo:[0,1] neg_hi:[0,1]
	v_pk_add_f32 v[84:85], v[84:85], v[136:137] neg_lo:[0,1] neg_hi:[0,1]
	s_wait_dscnt 0x0
	v_pk_mul_f32 v[136:137], v[132:133], v[124:125] op_sel:[0,1]
	s_delay_alu instid0(VALU_DEP_1) | instskip(SKIP_1) | instid1(VALU_DEP_1)
	v_pk_fma_f32 v[138:139], v[132:133], v[122:123], v[136:137] op_sel:[0,0,1] op_sel_hi:[1,1,0] neg_lo:[0,0,1] neg_hi:[0,0,1]
	v_pk_fma_f32 v[132:133], v[132:133], v[122:123], v[136:137] op_sel:[0,0,1] op_sel_hi:[1,0,0]
	v_mov_b32_e32 v139, v133
	v_pk_mul_f32 v[132:133], v[134:135], v[124:125] op_sel:[0,1]
	s_delay_alu instid0(VALU_DEP_1) | instskip(SKIP_1) | instid1(VALU_DEP_1)
	v_pk_fma_f32 v[136:137], v[134:135], v[122:123], v[132:133] op_sel:[0,0,1] op_sel_hi:[1,1,0] neg_lo:[0,0,1] neg_hi:[0,0,1]
	v_pk_fma_f32 v[132:133], v[134:135], v[122:123], v[132:133] op_sel:[0,0,1] op_sel_hi:[1,0,0]
	v_mov_b32_e32 v137, v133
	ds_load_2addr_b64 v[132:135], v126 offset0:51 offset1:52
	v_pk_add_f32 v[10:11], v[10:11], v[138:139] neg_lo:[0,1] neg_hi:[0,1]
	v_pk_add_f32 v[12:13], v[12:13], v[136:137] neg_lo:[0,1] neg_hi:[0,1]
	s_wait_dscnt 0x0
	v_dual_mul_f32 v136, v133, v125 :: v_dual_mul_f32 v138, v133, v122
	s_delay_alu instid0(VALU_DEP_1) | instskip(NEXT) | instid1(VALU_DEP_2)
	v_pk_fma_f32 v[136:137], v[132:133], v[94:95], v[136:137] op_sel_hi:[1,1,0] neg_lo:[0,0,1] neg_hi:[0,0,1]
	v_pk_fma_f32 v[132:133], v[132:133], v[94:95], v[138:139] op_sel:[1,0,0] op_sel_hi:[0,1,0]
	s_delay_alu instid0(VALU_DEP_1) | instskip(SKIP_1) | instid1(VALU_DEP_2)
	v_mov_b32_e32 v137, v133
	v_pk_mul_f32 v[132:133], v[134:135], v[124:125] op_sel:[0,1]
	v_pk_add_f32 v[8:9], v[8:9], v[136:137] neg_lo:[0,1] neg_hi:[0,1]
	s_delay_alu instid0(VALU_DEP_2) | instskip(SKIP_1) | instid1(VALU_DEP_1)
	v_pk_fma_f32 v[136:137], v[134:135], v[122:123], v[132:133] op_sel:[0,0,1] op_sel_hi:[1,1,0] neg_lo:[0,0,1] neg_hi:[0,0,1]
	v_pk_fma_f32 v[132:133], v[134:135], v[122:123], v[132:133] op_sel:[0,0,1] op_sel_hi:[1,0,0]
	v_mov_b32_e32 v137, v133
	ds_load_2addr_b64 v[132:135], v126 offset0:53 offset1:54
	v_pk_add_f32 v[60:61], v[60:61], v[136:137] neg_lo:[0,1] neg_hi:[0,1]
	s_wait_dscnt 0x0
	v_pk_mul_f32 v[136:137], v[132:133], v[124:125] op_sel:[0,1]
	s_delay_alu instid0(VALU_DEP_1) | instskip(SKIP_1) | instid1(VALU_DEP_1)
	v_pk_fma_f32 v[138:139], v[132:133], v[122:123], v[136:137] op_sel:[0,0,1] op_sel_hi:[1,1,0] neg_lo:[0,0,1] neg_hi:[0,0,1]
	v_pk_fma_f32 v[132:133], v[132:133], v[122:123], v[136:137] op_sel:[0,0,1] op_sel_hi:[1,0,0]
	v_mov_b32_e32 v139, v133
	v_pk_mul_f32 v[132:133], v[134:135], v[124:125] op_sel:[0,1]
	s_delay_alu instid0(VALU_DEP_2) | instskip(NEXT) | instid1(VALU_DEP_2)
	v_pk_add_f32 v[6:7], v[6:7], v[138:139] neg_lo:[0,1] neg_hi:[0,1]
	v_pk_fma_f32 v[136:137], v[134:135], v[122:123], v[132:133] op_sel:[0,0,1] op_sel_hi:[1,1,0] neg_lo:[0,0,1] neg_hi:[0,0,1]
	v_pk_fma_f32 v[132:133], v[134:135], v[122:123], v[132:133] op_sel:[0,0,1] op_sel_hi:[1,0,0]
	s_delay_alu instid0(VALU_DEP_1) | instskip(SKIP_4) | instid1(VALU_DEP_1)
	v_mov_b32_e32 v137, v133
	ds_load_2addr_b64 v[132:135], v126 offset0:55 offset1:56
	v_pk_add_f32 v[42:43], v[42:43], v[136:137] neg_lo:[0,1] neg_hi:[0,1]
	s_wait_dscnt 0x0
	v_pk_mul_f32 v[136:137], v[132:133], v[124:125] op_sel:[0,1]
	v_pk_fma_f32 v[138:139], v[132:133], v[122:123], v[136:137] op_sel:[0,0,1] op_sel_hi:[1,1,0] neg_lo:[0,0,1] neg_hi:[0,0,1]
	v_pk_fma_f32 v[132:133], v[132:133], v[122:123], v[136:137] op_sel:[0,0,1] op_sel_hi:[1,0,0]
	v_dual_mul_f32 v136, v135, v125 :: v_dual_mov_b32 v132, v135
	s_delay_alu instid0(VALU_DEP_2) | instskip(NEXT) | instid1(VALU_DEP_2)
	v_dual_mov_b32 v139, v133 :: v_dual_mov_b32 v133, v134
	v_pk_fma_f32 v[136:137], v[134:135], v[94:95], v[136:137] op_sel_hi:[1,1,0] neg_lo:[0,0,1] neg_hi:[0,0,1]
	v_mul_f32_e32 v134, v135, v122
	s_delay_alu instid0(VALU_DEP_3) | instskip(NEXT) | instid1(VALU_DEP_2)
	v_pk_add_f32 v[28:29], v[28:29], v[138:139] neg_lo:[0,1] neg_hi:[0,1]
	v_pk_fma_f32 v[132:133], v[132:133], v[94:95], v[134:135] op_sel_hi:[1,1,0]
	s_delay_alu instid0(VALU_DEP_1) | instskip(SKIP_4) | instid1(VALU_DEP_1)
	v_mov_b32_e32 v137, v133
	ds_load_b64 v[132:133], v126 offset:456
	v_pk_add_f32 v[14:15], v[14:15], v[136:137] neg_lo:[0,1] neg_hi:[0,1]
	s_wait_dscnt 0x0
	v_pk_mul_f32 v[124:125], v[132:133], v[124:125] op_sel:[0,1]
	v_pk_fma_f32 v[134:135], v[132:133], v[122:123], v[124:125] op_sel:[0,0,1] op_sel_hi:[1,1,0] neg_lo:[0,0,1] neg_hi:[0,0,1]
	v_pk_fma_f32 v[122:123], v[132:133], v[122:123], v[124:125] op_sel:[0,0,1] op_sel_hi:[1,0,0]
	s_delay_alu instid0(VALU_DEP_1) | instskip(NEXT) | instid1(VALU_DEP_1)
	v_mov_b32_e32 v135, v123
	v_pk_add_f32 v[120:121], v[120:121], v[134:135] neg_lo:[0,1] neg_hi:[0,1]
.LBB114_692:
	s_or_b32 exec_lo, exec_lo, s0
	v_lshl_add_u32 v122, v130, 3, v126
	s_barrier_signal -1
	s_barrier_wait -1
	ds_store_b64 v122, v[38:39]
	s_wait_dscnt 0x0
	s_barrier_signal -1
	s_barrier_wait -1
	ds_load_b64 v[124:125], v126 offset:264
	v_mov_b32_e32 v122, 33
	s_cmp_lt_i32 s18, 35
	s_cbranch_scc1 .LBB114_695
; %bb.693:
	v_add3_u32 v123, v127, 0, 0x110
	v_mov_b32_e32 v122, 33
	s_mov_b32 s0, 34
.LBB114_694:                            ; =>This Inner Loop Header: Depth=1
	ds_load_b64 v[132:133], v123
	s_wait_dscnt 0x1
	v_cmp_gt_f32_e32 vcc_lo, 0, v124
	v_cndmask_b32_e64 v134, v124, -v124, vcc_lo
	v_cmp_gt_f32_e32 vcc_lo, 0, v125
	v_cndmask_b32_e64 v136, v125, -v125, vcc_lo
	s_wait_dscnt 0x0
	v_cmp_gt_f32_e32 vcc_lo, 0, v132
	v_cndmask_b32_e64 v135, v132, -v132, vcc_lo
	v_cmp_gt_f32_e32 vcc_lo, 0, v133
	v_cndmask_b32_e64 v137, v133, -v133, vcc_lo
	s_delay_alu instid0(VALU_DEP_1) | instskip(NEXT) | instid1(VALU_DEP_1)
	v_pk_add_f32 v[134:135], v[134:135], v[136:137]
	v_cmp_lt_f32_e32 vcc_lo, v134, v135
	v_dual_add_nc_u32 v123, 8, v123 :: v_dual_cndmask_b32 v125, v125, v133, vcc_lo
	v_cndmask_b32_e32 v124, v124, v132, vcc_lo
	v_cndmask_b32_e64 v122, v122, s0, vcc_lo
	s_add_co_i32 s0, s0, 1
	s_delay_alu instid0(SALU_CYCLE_1)
	s_cmp_lg_u32 s18, s0
	s_cbranch_scc1 .LBB114_694
.LBB114_695:
	s_wait_dscnt 0x0
	v_cmp_eq_f32_e32 vcc_lo, 0, v124
	v_cmp_eq_f32_e64 s0, 0, v125
	s_and_b32 s0, vcc_lo, s0
	s_delay_alu instid0(SALU_CYCLE_1) | instskip(NEXT) | instid1(SALU_CYCLE_1)
	s_and_saveexec_b32 s1, s0
	s_xor_b32 s0, exec_lo, s1
; %bb.696:
	v_cmp_ne_u32_e32 vcc_lo, 0, v128
	v_cndmask_b32_e32 v128, 34, v128, vcc_lo
; %bb.697:
	s_and_not1_saveexec_b32 s0, s0
	s_cbranch_execz .LBB114_703
; %bb.698:
	v_cmp_ngt_f32_e64 s1, |v124|, |v125|
	s_and_saveexec_b32 s12, s1
	s_delay_alu instid0(SALU_CYCLE_1)
	s_xor_b32 s1, exec_lo, s12
	s_cbranch_execz .LBB114_700
; %bb.699:
	v_div_scale_f32 v123, null, v125, v125, v124
	v_div_scale_f32 v133, vcc_lo, v124, v125, v124
	s_delay_alu instid0(VALU_DEP_2) | instskip(SKIP_1) | instid1(TRANS32_DEP_1)
	v_rcp_f32_e32 v131, v123
	v_nop
	v_fma_f32 v132, -v123, v131, 1.0
	s_delay_alu instid0(VALU_DEP_1) | instskip(NEXT) | instid1(VALU_DEP_1)
	v_fmac_f32_e32 v131, v132, v131
	v_mul_f32_e32 v132, v133, v131
	s_delay_alu instid0(VALU_DEP_1) | instskip(NEXT) | instid1(VALU_DEP_1)
	v_fma_f32 v134, -v123, v132, v133
	v_fmac_f32_e32 v132, v134, v131
	s_delay_alu instid0(VALU_DEP_1) | instskip(NEXT) | instid1(VALU_DEP_1)
	v_fma_f32 v123, -v123, v132, v133
	v_div_fmas_f32 v123, v123, v131, v132
	s_delay_alu instid0(VALU_DEP_1) | instskip(NEXT) | instid1(VALU_DEP_1)
	v_div_fixup_f32 v123, v123, v125, v124
	v_fmac_f32_e32 v125, v124, v123
	s_delay_alu instid0(VALU_DEP_1) | instskip(SKIP_1) | instid1(VALU_DEP_2)
	v_div_scale_f32 v124, null, v125, v125, 1.0
	v_div_scale_f32 v133, vcc_lo, 1.0, v125, 1.0
	v_rcp_f32_e32 v131, v124
	v_nop
	s_delay_alu instid0(TRANS32_DEP_1) | instskip(NEXT) | instid1(VALU_DEP_1)
	v_fma_f32 v132, -v124, v131, 1.0
	v_fmac_f32_e32 v131, v132, v131
	s_delay_alu instid0(VALU_DEP_1) | instskip(NEXT) | instid1(VALU_DEP_1)
	v_mul_f32_e32 v132, v133, v131
	v_fma_f32 v134, -v124, v132, v133
	s_delay_alu instid0(VALU_DEP_1) | instskip(NEXT) | instid1(VALU_DEP_1)
	v_fmac_f32_e32 v132, v134, v131
	v_fma_f32 v124, -v124, v132, v133
	s_delay_alu instid0(VALU_DEP_1) | instskip(NEXT) | instid1(VALU_DEP_1)
	v_div_fmas_f32 v124, v124, v131, v132
	v_div_fixup_f32 v125, v124, v125, 1.0
	s_delay_alu instid0(VALU_DEP_1)
	v_mul_f32_e32 v124, v123, v125
	v_xor_b32_e32 v125, 0x80000000, v125
.LBB114_700:
	s_and_not1_saveexec_b32 s1, s1
	s_cbranch_execz .LBB114_702
; %bb.701:
	s_delay_alu instid0(VALU_DEP_1) | instskip(SKIP_1) | instid1(VALU_DEP_2)
	v_div_scale_f32 v123, null, v124, v124, v125
	v_div_scale_f32 v133, vcc_lo, v125, v124, v125
	v_rcp_f32_e32 v131, v123
	v_nop
	s_delay_alu instid0(TRANS32_DEP_1) | instskip(NEXT) | instid1(VALU_DEP_1)
	v_fma_f32 v132, -v123, v131, 1.0
	v_fmac_f32_e32 v131, v132, v131
	s_delay_alu instid0(VALU_DEP_1) | instskip(NEXT) | instid1(VALU_DEP_1)
	v_mul_f32_e32 v132, v133, v131
	v_fma_f32 v134, -v123, v132, v133
	s_delay_alu instid0(VALU_DEP_1) | instskip(NEXT) | instid1(VALU_DEP_1)
	v_fmac_f32_e32 v132, v134, v131
	v_fma_f32 v123, -v123, v132, v133
	s_delay_alu instid0(VALU_DEP_1) | instskip(NEXT) | instid1(VALU_DEP_1)
	v_div_fmas_f32 v123, v123, v131, v132
	v_div_fixup_f32 v123, v123, v124, v125
	s_delay_alu instid0(VALU_DEP_1) | instskip(NEXT) | instid1(VALU_DEP_1)
	v_fmac_f32_e32 v124, v125, v123
	v_div_scale_f32 v125, null, v124, v124, 1.0
	s_delay_alu instid0(VALU_DEP_1) | instskip(SKIP_1) | instid1(TRANS32_DEP_1)
	v_rcp_f32_e32 v131, v125
	v_nop
	v_fma_f32 v132, -v125, v131, 1.0
	s_delay_alu instid0(VALU_DEP_1) | instskip(SKIP_1) | instid1(VALU_DEP_1)
	v_fmac_f32_e32 v131, v132, v131
	v_div_scale_f32 v132, vcc_lo, 1.0, v124, 1.0
	v_mul_f32_e32 v133, v132, v131
	s_delay_alu instid0(VALU_DEP_1) | instskip(NEXT) | instid1(VALU_DEP_1)
	v_fma_f32 v134, -v125, v133, v132
	v_fmac_f32_e32 v133, v134, v131
	s_delay_alu instid0(VALU_DEP_1) | instskip(NEXT) | instid1(VALU_DEP_1)
	v_fma_f32 v125, -v125, v133, v132
	v_div_fmas_f32 v125, v125, v131, v133
	s_delay_alu instid0(VALU_DEP_1) | instskip(NEXT) | instid1(VALU_DEP_1)
	v_div_fixup_f32 v124, v125, v124, 1.0
	v_mul_f32_e64 v125, v123, -v124
.LBB114_702:
	s_or_b32 exec_lo, exec_lo, s1
.LBB114_703:
	s_delay_alu instid0(SALU_CYCLE_1) | instskip(NEXT) | instid1(SALU_CYCLE_1)
	s_or_b32 exec_lo, exec_lo, s0
	s_mov_b32 s0, exec_lo
	v_cmpx_ne_u32_e64 v130, v122
	s_xor_b32 s0, exec_lo, s0
	s_cbranch_execz .LBB114_709
; %bb.704:
	s_mov_b32 s1, exec_lo
	v_cmpx_eq_u32_e32 33, v130
	s_cbranch_execz .LBB114_708
; %bb.705:
	v_cmp_ne_u32_e32 vcc_lo, 33, v122
	s_xor_b32 s12, s16, -1
	s_delay_alu instid0(SALU_CYCLE_1) | instskip(NEXT) | instid1(SALU_CYCLE_1)
	s_and_b32 s13, s12, vcc_lo
	s_and_saveexec_b32 s12, s13
	s_cbranch_execz .LBB114_707
; %bb.706:
	v_ashrrev_i32_e32 v123, 31, v122
	s_delay_alu instid0(VALU_DEP_1)
	v_lshl_add_u64 v[130:131], v[122:123], 2, v[4:5]
	s_clause 0x1
	global_load_b32 v123, v[130:131], off
	global_load_b32 v129, v[4:5], off offset:132
	s_wait_loadcnt 0x1
	global_store_b32 v[4:5], v123, off offset:132
	s_wait_loadcnt 0x0
	global_store_b32 v[130:131], v129, off
.LBB114_707:
	s_wait_xcnt 0x0
	s_or_b32 exec_lo, exec_lo, s12
	v_dual_mov_b32 v130, v122 :: v_dual_mov_b32 v129, v122
.LBB114_708:
	s_or_b32 exec_lo, exec_lo, s1
.LBB114_709:
	s_and_not1_saveexec_b32 s0, s0
	s_cbranch_execz .LBB114_711
; %bb.710:
	v_dual_mov_b32 v122, v40 :: v_dual_mov_b32 v123, v41
	v_dual_mov_b32 v130, v36 :: v_dual_mov_b32 v131, v37
	ds_store_2addr_b64 v126, v[122:123], v[130:131] offset0:34 offset1:35
	v_dual_mov_b32 v122, v92 :: v_dual_mov_b32 v123, v93
	v_dual_mov_b32 v130, v32 :: v_dual_mov_b32 v131, v33
	ds_store_2addr_b64 v126, v[122:123], v[130:131] offset0:36 offset1:37
	v_dual_mov_b32 v122, v34 :: v_dual_mov_b32 v123, v35
	v_dual_mov_b32 v130, v30 :: v_dual_mov_b32 v131, v31
	ds_store_2addr_b64 v126, v[122:123], v[130:131] offset0:38 offset1:39
	v_dual_mov_b32 v122, v90 :: v_dual_mov_b32 v123, v91
	v_dual_mov_b32 v130, v24 :: v_dual_mov_b32 v131, v25
	ds_store_2addr_b64 v126, v[122:123], v[130:131] offset0:40 offset1:41
	v_dual_mov_b32 v122, v26 :: v_dual_mov_b32 v123, v27
	v_dual_mov_b32 v130, v22 :: v_dual_mov_b32 v131, v23
	ds_store_2addr_b64 v126, v[122:123], v[130:131] offset0:42 offset1:43
	v_dual_mov_b32 v122, v88 :: v_dual_mov_b32 v123, v89
	v_dual_mov_b32 v130, v18 :: v_dual_mov_b32 v131, v19
	ds_store_2addr_b64 v126, v[122:123], v[130:131] offset0:44 offset1:45
	v_dual_mov_b32 v122, v20 :: v_dual_mov_b32 v123, v21
	v_dual_mov_b32 v130, v16 :: v_dual_mov_b32 v131, v17
	ds_store_2addr_b64 v126, v[122:123], v[130:131] offset0:46 offset1:47
	v_dual_mov_b32 v122, v84 :: v_dual_mov_b32 v123, v85
	v_dual_mov_b32 v130, v10 :: v_dual_mov_b32 v131, v11
	ds_store_2addr_b64 v126, v[122:123], v[130:131] offset0:48 offset1:49
	v_dual_mov_b32 v122, v12 :: v_dual_mov_b32 v123, v13
	v_dual_mov_b32 v130, v8 :: v_dual_mov_b32 v131, v9
	ds_store_2addr_b64 v126, v[122:123], v[130:131] offset0:50 offset1:51
	v_dual_mov_b32 v122, v60 :: v_dual_mov_b32 v123, v61
	v_dual_mov_b32 v130, v6 :: v_dual_mov_b32 v131, v7
	ds_store_2addr_b64 v126, v[122:123], v[130:131] offset0:52 offset1:53
	v_dual_mov_b32 v122, v42 :: v_dual_mov_b32 v123, v43
	v_dual_mov_b32 v130, v28 :: v_dual_mov_b32 v131, v29
	ds_store_2addr_b64 v126, v[122:123], v[130:131] offset0:54 offset1:55
	v_dual_mov_b32 v122, v14 :: v_dual_mov_b32 v123, v15
	v_mov_b32_e32 v130, 33
	ds_store_2addr_b64 v126, v[122:123], v[120:121] offset0:56 offset1:57
.LBB114_711:
	s_or_b32 exec_lo, exec_lo, s0
	s_delay_alu instid0(SALU_CYCLE_1)
	s_mov_b32 s0, exec_lo
	s_wait_storecnt_dscnt 0x0
	s_barrier_signal -1
	s_barrier_wait -1
	v_cmpx_lt_i32_e32 33, v130
	s_cbranch_execz .LBB114_713
; %bb.712:
	v_pk_mul_f32 v[132:133], v[124:125], v[38:39] op_sel:[1,1] op_sel_hi:[0,1]
	s_delay_alu instid0(VALU_DEP_1)
	v_pk_fma_f32 v[122:123], v[124:125], v[38:39], v[132:133] op_sel_hi:[1,0,1] neg_lo:[0,0,1] neg_hi:[0,0,1]
	v_pk_fma_f32 v[124:125], v[124:125], v[38:39], v[132:133] op_sel_hi:[1,0,1]
	ds_load_2addr_b64 v[132:135], v126 offset0:34 offset1:35
	v_dual_mov_b32 v38, v122 :: v_dual_mov_b32 v39, v125
	s_wait_dscnt 0x0
	v_pk_mul_f32 v[136:137], v[132:133], v[124:125] op_sel:[0,1]
	s_delay_alu instid0(VALU_DEP_1) | instskip(SKIP_1) | instid1(VALU_DEP_1)
	v_pk_fma_f32 v[138:139], v[132:133], v[122:123], v[136:137] op_sel:[0,0,1] op_sel_hi:[1,1,0] neg_lo:[0,0,1] neg_hi:[0,0,1]
	v_pk_fma_f32 v[132:133], v[132:133], v[122:123], v[136:137] op_sel:[0,0,1] op_sel_hi:[1,0,0]
	v_mov_b32_e32 v139, v133
	v_pk_mul_f32 v[132:133], v[134:135], v[124:125] op_sel:[0,1]
	s_delay_alu instid0(VALU_DEP_1) | instskip(SKIP_1) | instid1(VALU_DEP_1)
	v_pk_fma_f32 v[136:137], v[134:135], v[122:123], v[132:133] op_sel:[0,0,1] op_sel_hi:[1,1,0] neg_lo:[0,0,1] neg_hi:[0,0,1]
	v_pk_fma_f32 v[132:133], v[134:135], v[122:123], v[132:133] op_sel:[0,0,1] op_sel_hi:[1,0,0]
	v_mov_b32_e32 v137, v133
	ds_load_2addr_b64 v[132:135], v126 offset0:36 offset1:37
	v_pk_add_f32 v[40:41], v[40:41], v[138:139] neg_lo:[0,1] neg_hi:[0,1]
	v_pk_add_f32 v[36:37], v[36:37], v[136:137] neg_lo:[0,1] neg_hi:[0,1]
	s_wait_dscnt 0x0
	v_pk_mul_f32 v[136:137], v[132:133], v[124:125] op_sel:[0,1]
	s_delay_alu instid0(VALU_DEP_1) | instskip(SKIP_2) | instid1(VALU_DEP_2)
	v_pk_fma_f32 v[138:139], v[132:133], v[122:123], v[136:137] op_sel:[0,0,1] op_sel_hi:[1,1,0] neg_lo:[0,0,1] neg_hi:[0,0,1]
	v_pk_fma_f32 v[132:133], v[132:133], v[122:123], v[136:137] op_sel:[0,0,1] op_sel_hi:[1,0,0]
	v_dual_mul_f32 v136, v135, v125 :: v_dual_mov_b32 v132, v135
	v_dual_mov_b32 v139, v133 :: v_dual_mov_b32 v133, v134
	s_delay_alu instid0(VALU_DEP_2) | instskip(SKIP_1) | instid1(VALU_DEP_3)
	v_pk_fma_f32 v[136:137], v[134:135], v[38:39], v[136:137] op_sel_hi:[1,1,0] neg_lo:[0,0,1] neg_hi:[0,0,1]
	v_mul_f32_e32 v134, v135, v122
	v_pk_add_f32 v[92:93], v[92:93], v[138:139] neg_lo:[0,1] neg_hi:[0,1]
	s_delay_alu instid0(VALU_DEP_2) | instskip(NEXT) | instid1(VALU_DEP_1)
	v_pk_fma_f32 v[132:133], v[132:133], v[38:39], v[134:135] op_sel_hi:[1,1,0]
	v_mov_b32_e32 v137, v133
	ds_load_2addr_b64 v[132:135], v126 offset0:38 offset1:39
	v_pk_add_f32 v[32:33], v[32:33], v[136:137] neg_lo:[0,1] neg_hi:[0,1]
	s_wait_dscnt 0x0
	v_pk_mul_f32 v[136:137], v[132:133], v[124:125] op_sel:[0,1]
	s_delay_alu instid0(VALU_DEP_1) | instskip(SKIP_1) | instid1(VALU_DEP_1)
	v_pk_fma_f32 v[138:139], v[132:133], v[122:123], v[136:137] op_sel:[0,0,1] op_sel_hi:[1,1,0] neg_lo:[0,0,1] neg_hi:[0,0,1]
	v_pk_fma_f32 v[132:133], v[132:133], v[122:123], v[136:137] op_sel:[0,0,1] op_sel_hi:[1,0,0]
	v_mov_b32_e32 v139, v133
	v_pk_mul_f32 v[132:133], v[134:135], v[124:125] op_sel:[0,1]
	s_delay_alu instid0(VALU_DEP_1) | instskip(SKIP_1) | instid1(VALU_DEP_1)
	v_pk_fma_f32 v[136:137], v[134:135], v[122:123], v[132:133] op_sel:[0,0,1] op_sel_hi:[1,1,0] neg_lo:[0,0,1] neg_hi:[0,0,1]
	v_pk_fma_f32 v[132:133], v[134:135], v[122:123], v[132:133] op_sel:[0,0,1] op_sel_hi:[1,0,0]
	v_mov_b32_e32 v137, v133
	ds_load_2addr_b64 v[132:135], v126 offset0:40 offset1:41
	v_pk_add_f32 v[34:35], v[34:35], v[138:139] neg_lo:[0,1] neg_hi:[0,1]
	v_pk_add_f32 v[30:31], v[30:31], v[136:137] neg_lo:[0,1] neg_hi:[0,1]
	s_wait_dscnt 0x0
	v_pk_mul_f32 v[136:137], v[132:133], v[124:125] op_sel:[0,1]
	s_delay_alu instid0(VALU_DEP_1) | instskip(SKIP_1) | instid1(VALU_DEP_1)
	v_pk_fma_f32 v[138:139], v[132:133], v[122:123], v[136:137] op_sel:[0,0,1] op_sel_hi:[1,1,0] neg_lo:[0,0,1] neg_hi:[0,0,1]
	v_pk_fma_f32 v[132:133], v[132:133], v[122:123], v[136:137] op_sel:[0,0,1] op_sel_hi:[1,0,0]
	v_mov_b32_e32 v139, v133
	v_pk_mul_f32 v[132:133], v[134:135], v[124:125] op_sel:[0,1]
	s_delay_alu instid0(VALU_DEP_1) | instskip(SKIP_1) | instid1(VALU_DEP_1)
	v_pk_fma_f32 v[136:137], v[134:135], v[122:123], v[132:133] op_sel:[0,0,1] op_sel_hi:[1,1,0] neg_lo:[0,0,1] neg_hi:[0,0,1]
	v_pk_fma_f32 v[132:133], v[134:135], v[122:123], v[132:133] op_sel:[0,0,1] op_sel_hi:[1,0,0]
	v_mov_b32_e32 v137, v133
	ds_load_2addr_b64 v[132:135], v126 offset0:42 offset1:43
	v_pk_add_f32 v[90:91], v[90:91], v[138:139] neg_lo:[0,1] neg_hi:[0,1]
	v_pk_add_f32 v[24:25], v[24:25], v[136:137] neg_lo:[0,1] neg_hi:[0,1]
	s_wait_dscnt 0x0
	v_dual_mul_f32 v136, v133, v125 :: v_dual_mul_f32 v138, v133, v122
	s_delay_alu instid0(VALU_DEP_1) | instskip(NEXT) | instid1(VALU_DEP_2)
	v_pk_fma_f32 v[136:137], v[132:133], v[38:39], v[136:137] op_sel_hi:[1,1,0] neg_lo:[0,0,1] neg_hi:[0,0,1]
	v_pk_fma_f32 v[132:133], v[132:133], v[38:39], v[138:139] op_sel:[1,0,0] op_sel_hi:[0,1,0]
	s_delay_alu instid0(VALU_DEP_1) | instskip(SKIP_1) | instid1(VALU_DEP_2)
	v_mov_b32_e32 v137, v133
	v_pk_mul_f32 v[132:133], v[134:135], v[124:125] op_sel:[0,1]
	v_pk_add_f32 v[26:27], v[26:27], v[136:137] neg_lo:[0,1] neg_hi:[0,1]
	s_delay_alu instid0(VALU_DEP_2) | instskip(SKIP_1) | instid1(VALU_DEP_1)
	v_pk_fma_f32 v[136:137], v[134:135], v[122:123], v[132:133] op_sel:[0,0,1] op_sel_hi:[1,1,0] neg_lo:[0,0,1] neg_hi:[0,0,1]
	v_pk_fma_f32 v[132:133], v[134:135], v[122:123], v[132:133] op_sel:[0,0,1] op_sel_hi:[1,0,0]
	v_mov_b32_e32 v137, v133
	ds_load_2addr_b64 v[132:135], v126 offset0:44 offset1:45
	v_pk_add_f32 v[22:23], v[22:23], v[136:137] neg_lo:[0,1] neg_hi:[0,1]
	s_wait_dscnt 0x0
	v_pk_mul_f32 v[136:137], v[132:133], v[124:125] op_sel:[0,1]
	s_delay_alu instid0(VALU_DEP_1) | instskip(SKIP_1) | instid1(VALU_DEP_1)
	v_pk_fma_f32 v[138:139], v[132:133], v[122:123], v[136:137] op_sel:[0,0,1] op_sel_hi:[1,1,0] neg_lo:[0,0,1] neg_hi:[0,0,1]
	v_pk_fma_f32 v[132:133], v[132:133], v[122:123], v[136:137] op_sel:[0,0,1] op_sel_hi:[1,0,0]
	v_mov_b32_e32 v139, v133
	v_pk_mul_f32 v[132:133], v[134:135], v[124:125] op_sel:[0,1]
	s_delay_alu instid0(VALU_DEP_2) | instskip(NEXT) | instid1(VALU_DEP_2)
	v_pk_add_f32 v[88:89], v[88:89], v[138:139] neg_lo:[0,1] neg_hi:[0,1]
	v_pk_fma_f32 v[136:137], v[134:135], v[122:123], v[132:133] op_sel:[0,0,1] op_sel_hi:[1,1,0] neg_lo:[0,0,1] neg_hi:[0,0,1]
	v_pk_fma_f32 v[132:133], v[134:135], v[122:123], v[132:133] op_sel:[0,0,1] op_sel_hi:[1,0,0]
	s_delay_alu instid0(VALU_DEP_1) | instskip(SKIP_4) | instid1(VALU_DEP_1)
	v_mov_b32_e32 v137, v133
	ds_load_2addr_b64 v[132:135], v126 offset0:46 offset1:47
	v_pk_add_f32 v[18:19], v[18:19], v[136:137] neg_lo:[0,1] neg_hi:[0,1]
	s_wait_dscnt 0x0
	v_pk_mul_f32 v[136:137], v[132:133], v[124:125] op_sel:[0,1]
	v_pk_fma_f32 v[138:139], v[132:133], v[122:123], v[136:137] op_sel:[0,0,1] op_sel_hi:[1,1,0] neg_lo:[0,0,1] neg_hi:[0,0,1]
	v_pk_fma_f32 v[132:133], v[132:133], v[122:123], v[136:137] op_sel:[0,0,1] op_sel_hi:[1,0,0]
	v_dual_mul_f32 v136, v135, v125 :: v_dual_mov_b32 v132, v135
	s_delay_alu instid0(VALU_DEP_2) | instskip(NEXT) | instid1(VALU_DEP_2)
	v_dual_mov_b32 v139, v133 :: v_dual_mov_b32 v133, v134
	v_pk_fma_f32 v[136:137], v[134:135], v[38:39], v[136:137] op_sel_hi:[1,1,0] neg_lo:[0,0,1] neg_hi:[0,0,1]
	v_mul_f32_e32 v134, v135, v122
	s_delay_alu instid0(VALU_DEP_3) | instskip(NEXT) | instid1(VALU_DEP_2)
	v_pk_add_f32 v[20:21], v[20:21], v[138:139] neg_lo:[0,1] neg_hi:[0,1]
	v_pk_fma_f32 v[132:133], v[132:133], v[38:39], v[134:135] op_sel_hi:[1,1,0]
	s_delay_alu instid0(VALU_DEP_1) | instskip(SKIP_4) | instid1(VALU_DEP_1)
	v_mov_b32_e32 v137, v133
	ds_load_2addr_b64 v[132:135], v126 offset0:48 offset1:49
	v_pk_add_f32 v[16:17], v[16:17], v[136:137] neg_lo:[0,1] neg_hi:[0,1]
	s_wait_dscnt 0x0
	v_pk_mul_f32 v[136:137], v[132:133], v[124:125] op_sel:[0,1]
	v_pk_fma_f32 v[138:139], v[132:133], v[122:123], v[136:137] op_sel:[0,0,1] op_sel_hi:[1,1,0] neg_lo:[0,0,1] neg_hi:[0,0,1]
	v_pk_fma_f32 v[132:133], v[132:133], v[122:123], v[136:137] op_sel:[0,0,1] op_sel_hi:[1,0,0]
	s_delay_alu instid0(VALU_DEP_1) | instskip(SKIP_1) | instid1(VALU_DEP_1)
	v_mov_b32_e32 v139, v133
	v_pk_mul_f32 v[132:133], v[134:135], v[124:125] op_sel:[0,1]
	v_pk_fma_f32 v[136:137], v[134:135], v[122:123], v[132:133] op_sel:[0,0,1] op_sel_hi:[1,1,0] neg_lo:[0,0,1] neg_hi:[0,0,1]
	v_pk_fma_f32 v[132:133], v[134:135], v[122:123], v[132:133] op_sel:[0,0,1] op_sel_hi:[1,0,0]
	s_delay_alu instid0(VALU_DEP_1)
	v_mov_b32_e32 v137, v133
	ds_load_2addr_b64 v[132:135], v126 offset0:50 offset1:51
	v_pk_add_f32 v[84:85], v[84:85], v[138:139] neg_lo:[0,1] neg_hi:[0,1]
	v_pk_add_f32 v[10:11], v[10:11], v[136:137] neg_lo:[0,1] neg_hi:[0,1]
	s_wait_dscnt 0x0
	v_pk_mul_f32 v[136:137], v[132:133], v[124:125] op_sel:[0,1]
	s_delay_alu instid0(VALU_DEP_1) | instskip(SKIP_1) | instid1(VALU_DEP_1)
	v_pk_fma_f32 v[138:139], v[132:133], v[122:123], v[136:137] op_sel:[0,0,1] op_sel_hi:[1,1,0] neg_lo:[0,0,1] neg_hi:[0,0,1]
	v_pk_fma_f32 v[132:133], v[132:133], v[122:123], v[136:137] op_sel:[0,0,1] op_sel_hi:[1,0,0]
	v_mov_b32_e32 v139, v133
	v_pk_mul_f32 v[132:133], v[134:135], v[124:125] op_sel:[0,1]
	s_delay_alu instid0(VALU_DEP_1) | instskip(SKIP_1) | instid1(VALU_DEP_1)
	v_pk_fma_f32 v[136:137], v[134:135], v[122:123], v[132:133] op_sel:[0,0,1] op_sel_hi:[1,1,0] neg_lo:[0,0,1] neg_hi:[0,0,1]
	v_pk_fma_f32 v[132:133], v[134:135], v[122:123], v[132:133] op_sel:[0,0,1] op_sel_hi:[1,0,0]
	v_mov_b32_e32 v137, v133
	ds_load_2addr_b64 v[132:135], v126 offset0:52 offset1:53
	v_pk_add_f32 v[12:13], v[12:13], v[138:139] neg_lo:[0,1] neg_hi:[0,1]
	v_pk_add_f32 v[8:9], v[8:9], v[136:137] neg_lo:[0,1] neg_hi:[0,1]
	s_wait_dscnt 0x0
	v_dual_mul_f32 v136, v133, v125 :: v_dual_mul_f32 v138, v133, v122
	s_delay_alu instid0(VALU_DEP_1) | instskip(NEXT) | instid1(VALU_DEP_2)
	v_pk_fma_f32 v[136:137], v[132:133], v[38:39], v[136:137] op_sel_hi:[1,1,0] neg_lo:[0,0,1] neg_hi:[0,0,1]
	v_pk_fma_f32 v[132:133], v[132:133], v[38:39], v[138:139] op_sel:[1,0,0] op_sel_hi:[0,1,0]
	s_delay_alu instid0(VALU_DEP_1) | instskip(SKIP_1) | instid1(VALU_DEP_2)
	v_mov_b32_e32 v137, v133
	v_pk_mul_f32 v[132:133], v[134:135], v[124:125] op_sel:[0,1]
	v_pk_add_f32 v[60:61], v[60:61], v[136:137] neg_lo:[0,1] neg_hi:[0,1]
	s_delay_alu instid0(VALU_DEP_2) | instskip(SKIP_1) | instid1(VALU_DEP_1)
	v_pk_fma_f32 v[136:137], v[134:135], v[122:123], v[132:133] op_sel:[0,0,1] op_sel_hi:[1,1,0] neg_lo:[0,0,1] neg_hi:[0,0,1]
	v_pk_fma_f32 v[132:133], v[134:135], v[122:123], v[132:133] op_sel:[0,0,1] op_sel_hi:[1,0,0]
	v_mov_b32_e32 v137, v133
	ds_load_2addr_b64 v[132:135], v126 offset0:54 offset1:55
	v_pk_add_f32 v[6:7], v[6:7], v[136:137] neg_lo:[0,1] neg_hi:[0,1]
	s_wait_dscnt 0x0
	v_pk_mul_f32 v[136:137], v[132:133], v[124:125] op_sel:[0,1]
	s_delay_alu instid0(VALU_DEP_1) | instskip(SKIP_1) | instid1(VALU_DEP_1)
	v_pk_fma_f32 v[138:139], v[132:133], v[122:123], v[136:137] op_sel:[0,0,1] op_sel_hi:[1,1,0] neg_lo:[0,0,1] neg_hi:[0,0,1]
	v_pk_fma_f32 v[132:133], v[132:133], v[122:123], v[136:137] op_sel:[0,0,1] op_sel_hi:[1,0,0]
	v_mov_b32_e32 v139, v133
	v_pk_mul_f32 v[132:133], v[134:135], v[124:125] op_sel:[0,1]
	s_delay_alu instid0(VALU_DEP_2) | instskip(NEXT) | instid1(VALU_DEP_2)
	v_pk_add_f32 v[42:43], v[42:43], v[138:139] neg_lo:[0,1] neg_hi:[0,1]
	v_pk_fma_f32 v[136:137], v[134:135], v[122:123], v[132:133] op_sel:[0,0,1] op_sel_hi:[1,1,0] neg_lo:[0,0,1] neg_hi:[0,0,1]
	v_pk_fma_f32 v[132:133], v[134:135], v[122:123], v[132:133] op_sel:[0,0,1] op_sel_hi:[1,0,0]
	s_delay_alu instid0(VALU_DEP_1)
	v_mov_b32_e32 v137, v133
	ds_load_2addr_b64 v[132:135], v126 offset0:56 offset1:57
	v_pk_add_f32 v[28:29], v[28:29], v[136:137] neg_lo:[0,1] neg_hi:[0,1]
	s_wait_dscnt 0x0
	v_pk_mul_f32 v[136:137], v[132:133], v[124:125] op_sel:[0,1]
	v_mul_f32_e32 v124, v135, v125
	s_delay_alu instid0(VALU_DEP_2) | instskip(SKIP_2) | instid1(VALU_DEP_4)
	v_pk_fma_f32 v[138:139], v[132:133], v[122:123], v[136:137] op_sel:[0,0,1] op_sel_hi:[1,1,0] neg_lo:[0,0,1] neg_hi:[0,0,1]
	v_pk_fma_f32 v[132:133], v[132:133], v[122:123], v[136:137] op_sel:[0,0,1] op_sel_hi:[1,0,0]
	v_dual_mov_b32 v132, v135 :: v_dual_mul_f32 v122, v135, v122
	v_pk_fma_f32 v[124:125], v[134:135], v[38:39], v[124:125] op_sel_hi:[1,1,0] neg_lo:[0,0,1] neg_hi:[0,0,1]
	s_delay_alu instid0(VALU_DEP_3) | instskip(NEXT) | instid1(VALU_DEP_1)
	v_dual_mov_b32 v139, v133 :: v_dual_mov_b32 v133, v134
	v_pk_add_f32 v[14:15], v[14:15], v[138:139] neg_lo:[0,1] neg_hi:[0,1]
	s_delay_alu instid0(VALU_DEP_2) | instskip(NEXT) | instid1(VALU_DEP_1)
	v_pk_fma_f32 v[122:123], v[132:133], v[38:39], v[122:123] op_sel_hi:[1,1,0]
	v_mov_b32_e32 v125, v123
	s_delay_alu instid0(VALU_DEP_1)
	v_pk_add_f32 v[120:121], v[120:121], v[124:125] neg_lo:[0,1] neg_hi:[0,1]
.LBB114_713:
	s_or_b32 exec_lo, exec_lo, s0
	v_lshl_add_u32 v122, v130, 3, v126
	s_barrier_signal -1
	s_barrier_wait -1
	ds_store_b64 v122, v[40:41]
	s_wait_dscnt 0x0
	s_barrier_signal -1
	s_barrier_wait -1
	ds_load_b64 v[124:125], v126 offset:272
	v_mov_b32_e32 v122, 34
	s_cmp_lt_i32 s18, 36
	s_cbranch_scc1 .LBB114_716
; %bb.714:
	v_add3_u32 v123, v127, 0, 0x118
	v_mov_b32_e32 v122, 34
	s_mov_b32 s0, 35
.LBB114_715:                            ; =>This Inner Loop Header: Depth=1
	ds_load_b64 v[132:133], v123
	s_wait_dscnt 0x1
	v_cmp_gt_f32_e32 vcc_lo, 0, v124
	v_cndmask_b32_e64 v134, v124, -v124, vcc_lo
	v_cmp_gt_f32_e32 vcc_lo, 0, v125
	v_cndmask_b32_e64 v136, v125, -v125, vcc_lo
	s_wait_dscnt 0x0
	v_cmp_gt_f32_e32 vcc_lo, 0, v132
	v_cndmask_b32_e64 v135, v132, -v132, vcc_lo
	v_cmp_gt_f32_e32 vcc_lo, 0, v133
	v_cndmask_b32_e64 v137, v133, -v133, vcc_lo
	s_delay_alu instid0(VALU_DEP_1) | instskip(NEXT) | instid1(VALU_DEP_1)
	v_pk_add_f32 v[134:135], v[134:135], v[136:137]
	v_cmp_lt_f32_e32 vcc_lo, v134, v135
	v_dual_add_nc_u32 v123, 8, v123 :: v_dual_cndmask_b32 v125, v125, v133, vcc_lo
	v_cndmask_b32_e32 v124, v124, v132, vcc_lo
	v_cndmask_b32_e64 v122, v122, s0, vcc_lo
	s_add_co_i32 s0, s0, 1
	s_delay_alu instid0(SALU_CYCLE_1)
	s_cmp_lg_u32 s18, s0
	s_cbranch_scc1 .LBB114_715
.LBB114_716:
	s_wait_dscnt 0x0
	v_cmp_eq_f32_e32 vcc_lo, 0, v124
	v_cmp_eq_f32_e64 s0, 0, v125
	s_and_b32 s0, vcc_lo, s0
	s_delay_alu instid0(SALU_CYCLE_1) | instskip(NEXT) | instid1(SALU_CYCLE_1)
	s_and_saveexec_b32 s1, s0
	s_xor_b32 s0, exec_lo, s1
; %bb.717:
	v_cmp_ne_u32_e32 vcc_lo, 0, v128
	v_cndmask_b32_e32 v128, 35, v128, vcc_lo
; %bb.718:
	s_and_not1_saveexec_b32 s0, s0
	s_cbranch_execz .LBB114_724
; %bb.719:
	v_cmp_ngt_f32_e64 s1, |v124|, |v125|
	s_and_saveexec_b32 s12, s1
	s_delay_alu instid0(SALU_CYCLE_1)
	s_xor_b32 s1, exec_lo, s12
	s_cbranch_execz .LBB114_721
; %bb.720:
	v_div_scale_f32 v123, null, v125, v125, v124
	v_div_scale_f32 v133, vcc_lo, v124, v125, v124
	s_delay_alu instid0(VALU_DEP_2) | instskip(SKIP_1) | instid1(TRANS32_DEP_1)
	v_rcp_f32_e32 v131, v123
	v_nop
	v_fma_f32 v132, -v123, v131, 1.0
	s_delay_alu instid0(VALU_DEP_1) | instskip(NEXT) | instid1(VALU_DEP_1)
	v_fmac_f32_e32 v131, v132, v131
	v_mul_f32_e32 v132, v133, v131
	s_delay_alu instid0(VALU_DEP_1) | instskip(NEXT) | instid1(VALU_DEP_1)
	v_fma_f32 v134, -v123, v132, v133
	v_fmac_f32_e32 v132, v134, v131
	s_delay_alu instid0(VALU_DEP_1) | instskip(NEXT) | instid1(VALU_DEP_1)
	v_fma_f32 v123, -v123, v132, v133
	v_div_fmas_f32 v123, v123, v131, v132
	s_delay_alu instid0(VALU_DEP_1) | instskip(NEXT) | instid1(VALU_DEP_1)
	v_div_fixup_f32 v123, v123, v125, v124
	v_fmac_f32_e32 v125, v124, v123
	s_delay_alu instid0(VALU_DEP_1) | instskip(SKIP_1) | instid1(VALU_DEP_2)
	v_div_scale_f32 v124, null, v125, v125, 1.0
	v_div_scale_f32 v133, vcc_lo, 1.0, v125, 1.0
	v_rcp_f32_e32 v131, v124
	v_nop
	s_delay_alu instid0(TRANS32_DEP_1) | instskip(NEXT) | instid1(VALU_DEP_1)
	v_fma_f32 v132, -v124, v131, 1.0
	v_fmac_f32_e32 v131, v132, v131
	s_delay_alu instid0(VALU_DEP_1) | instskip(NEXT) | instid1(VALU_DEP_1)
	v_mul_f32_e32 v132, v133, v131
	v_fma_f32 v134, -v124, v132, v133
	s_delay_alu instid0(VALU_DEP_1) | instskip(NEXT) | instid1(VALU_DEP_1)
	v_fmac_f32_e32 v132, v134, v131
	v_fma_f32 v124, -v124, v132, v133
	s_delay_alu instid0(VALU_DEP_1) | instskip(NEXT) | instid1(VALU_DEP_1)
	v_div_fmas_f32 v124, v124, v131, v132
	v_div_fixup_f32 v125, v124, v125, 1.0
	s_delay_alu instid0(VALU_DEP_1)
	v_mul_f32_e32 v124, v123, v125
	v_xor_b32_e32 v125, 0x80000000, v125
.LBB114_721:
	s_and_not1_saveexec_b32 s1, s1
	s_cbranch_execz .LBB114_723
; %bb.722:
	s_delay_alu instid0(VALU_DEP_1) | instskip(SKIP_1) | instid1(VALU_DEP_2)
	v_div_scale_f32 v123, null, v124, v124, v125
	v_div_scale_f32 v133, vcc_lo, v125, v124, v125
	v_rcp_f32_e32 v131, v123
	v_nop
	s_delay_alu instid0(TRANS32_DEP_1) | instskip(NEXT) | instid1(VALU_DEP_1)
	v_fma_f32 v132, -v123, v131, 1.0
	v_fmac_f32_e32 v131, v132, v131
	s_delay_alu instid0(VALU_DEP_1) | instskip(NEXT) | instid1(VALU_DEP_1)
	v_mul_f32_e32 v132, v133, v131
	v_fma_f32 v134, -v123, v132, v133
	s_delay_alu instid0(VALU_DEP_1) | instskip(NEXT) | instid1(VALU_DEP_1)
	v_fmac_f32_e32 v132, v134, v131
	v_fma_f32 v123, -v123, v132, v133
	s_delay_alu instid0(VALU_DEP_1) | instskip(NEXT) | instid1(VALU_DEP_1)
	v_div_fmas_f32 v123, v123, v131, v132
	v_div_fixup_f32 v123, v123, v124, v125
	s_delay_alu instid0(VALU_DEP_1) | instskip(NEXT) | instid1(VALU_DEP_1)
	v_fmac_f32_e32 v124, v125, v123
	v_div_scale_f32 v125, null, v124, v124, 1.0
	s_delay_alu instid0(VALU_DEP_1) | instskip(SKIP_1) | instid1(TRANS32_DEP_1)
	v_rcp_f32_e32 v131, v125
	v_nop
	v_fma_f32 v132, -v125, v131, 1.0
	s_delay_alu instid0(VALU_DEP_1) | instskip(SKIP_1) | instid1(VALU_DEP_1)
	v_fmac_f32_e32 v131, v132, v131
	v_div_scale_f32 v132, vcc_lo, 1.0, v124, 1.0
	v_mul_f32_e32 v133, v132, v131
	s_delay_alu instid0(VALU_DEP_1) | instskip(NEXT) | instid1(VALU_DEP_1)
	v_fma_f32 v134, -v125, v133, v132
	v_fmac_f32_e32 v133, v134, v131
	s_delay_alu instid0(VALU_DEP_1) | instskip(NEXT) | instid1(VALU_DEP_1)
	v_fma_f32 v125, -v125, v133, v132
	v_div_fmas_f32 v125, v125, v131, v133
	s_delay_alu instid0(VALU_DEP_1) | instskip(NEXT) | instid1(VALU_DEP_1)
	v_div_fixup_f32 v124, v125, v124, 1.0
	v_mul_f32_e64 v125, v123, -v124
.LBB114_723:
	s_or_b32 exec_lo, exec_lo, s1
.LBB114_724:
	s_delay_alu instid0(SALU_CYCLE_1) | instskip(NEXT) | instid1(SALU_CYCLE_1)
	s_or_b32 exec_lo, exec_lo, s0
	s_mov_b32 s0, exec_lo
	v_cmpx_ne_u32_e64 v130, v122
	s_xor_b32 s0, exec_lo, s0
	s_cbranch_execz .LBB114_730
; %bb.725:
	s_mov_b32 s1, exec_lo
	v_cmpx_eq_u32_e32 34, v130
	s_cbranch_execz .LBB114_729
; %bb.726:
	v_cmp_ne_u32_e32 vcc_lo, 34, v122
	s_xor_b32 s12, s16, -1
	s_delay_alu instid0(SALU_CYCLE_1) | instskip(NEXT) | instid1(SALU_CYCLE_1)
	s_and_b32 s13, s12, vcc_lo
	s_and_saveexec_b32 s12, s13
	s_cbranch_execz .LBB114_728
; %bb.727:
	v_ashrrev_i32_e32 v123, 31, v122
	s_delay_alu instid0(VALU_DEP_1)
	v_lshl_add_u64 v[130:131], v[122:123], 2, v[4:5]
	s_clause 0x1
	global_load_b32 v123, v[130:131], off
	global_load_b32 v129, v[4:5], off offset:136
	s_wait_loadcnt 0x1
	global_store_b32 v[4:5], v123, off offset:136
	s_wait_loadcnt 0x0
	global_store_b32 v[130:131], v129, off
.LBB114_728:
	s_wait_xcnt 0x0
	s_or_b32 exec_lo, exec_lo, s12
	v_dual_mov_b32 v130, v122 :: v_dual_mov_b32 v129, v122
.LBB114_729:
	s_or_b32 exec_lo, exec_lo, s1
.LBB114_730:
	s_and_not1_saveexec_b32 s0, s0
	s_cbranch_execz .LBB114_732
; %bb.731:
	v_mov_b32_e32 v130, 34
	ds_store_2addr_b64 v126, v[36:37], v[92:93] offset0:35 offset1:36
	ds_store_2addr_b64 v126, v[32:33], v[34:35] offset0:37 offset1:38
	;; [unrolled: 1-line block ×11, first 2 shown]
	ds_store_b64 v126, v[120:121] offset:456
.LBB114_732:
	s_or_b32 exec_lo, exec_lo, s0
	s_delay_alu instid0(SALU_CYCLE_1)
	s_mov_b32 s0, exec_lo
	s_wait_storecnt_dscnt 0x0
	s_barrier_signal -1
	s_barrier_wait -1
	v_cmpx_lt_i32_e32 34, v130
	s_cbranch_execz .LBB114_734
; %bb.733:
	v_pk_mul_f32 v[132:133], v[124:125], v[40:41] op_sel:[1,1] op_sel_hi:[0,1]
	s_delay_alu instid0(VALU_DEP_1)
	v_pk_fma_f32 v[122:123], v[124:125], v[40:41], v[132:133] op_sel_hi:[1,0,1] neg_lo:[0,0,1] neg_hi:[0,0,1]
	v_pk_fma_f32 v[124:125], v[124:125], v[40:41], v[132:133] op_sel_hi:[1,0,1]
	ds_load_2addr_b64 v[132:135], v126 offset0:35 offset1:36
	v_dual_mov_b32 v40, v122 :: v_dual_mov_b32 v41, v125
	s_wait_dscnt 0x0
	v_pk_mul_f32 v[136:137], v[132:133], v[124:125] op_sel:[0,1]
	s_delay_alu instid0(VALU_DEP_1) | instskip(SKIP_1) | instid1(VALU_DEP_1)
	v_pk_fma_f32 v[138:139], v[132:133], v[122:123], v[136:137] op_sel:[0,0,1] op_sel_hi:[1,1,0] neg_lo:[0,0,1] neg_hi:[0,0,1]
	v_pk_fma_f32 v[132:133], v[132:133], v[122:123], v[136:137] op_sel:[0,0,1] op_sel_hi:[1,0,0]
	v_mov_b32_e32 v139, v133
	v_pk_mul_f32 v[132:133], v[134:135], v[124:125] op_sel:[0,1]
	s_delay_alu instid0(VALU_DEP_1) | instskip(SKIP_1) | instid1(VALU_DEP_1)
	v_pk_fma_f32 v[136:137], v[134:135], v[122:123], v[132:133] op_sel:[0,0,1] op_sel_hi:[1,1,0] neg_lo:[0,0,1] neg_hi:[0,0,1]
	v_pk_fma_f32 v[132:133], v[134:135], v[122:123], v[132:133] op_sel:[0,0,1] op_sel_hi:[1,0,0]
	v_mov_b32_e32 v137, v133
	ds_load_2addr_b64 v[132:135], v126 offset0:37 offset1:38
	v_pk_add_f32 v[36:37], v[36:37], v[138:139] neg_lo:[0,1] neg_hi:[0,1]
	v_pk_add_f32 v[92:93], v[92:93], v[136:137] neg_lo:[0,1] neg_hi:[0,1]
	s_wait_dscnt 0x0
	v_pk_mul_f32 v[136:137], v[132:133], v[124:125] op_sel:[0,1]
	s_delay_alu instid0(VALU_DEP_1) | instskip(SKIP_2) | instid1(VALU_DEP_2)
	v_pk_fma_f32 v[138:139], v[132:133], v[122:123], v[136:137] op_sel:[0,0,1] op_sel_hi:[1,1,0] neg_lo:[0,0,1] neg_hi:[0,0,1]
	v_pk_fma_f32 v[132:133], v[132:133], v[122:123], v[136:137] op_sel:[0,0,1] op_sel_hi:[1,0,0]
	v_dual_mul_f32 v136, v135, v125 :: v_dual_mov_b32 v132, v135
	v_dual_mov_b32 v139, v133 :: v_dual_mov_b32 v133, v134
	s_delay_alu instid0(VALU_DEP_2) | instskip(SKIP_1) | instid1(VALU_DEP_3)
	v_pk_fma_f32 v[136:137], v[134:135], v[40:41], v[136:137] op_sel_hi:[1,1,0] neg_lo:[0,0,1] neg_hi:[0,0,1]
	v_mul_f32_e32 v134, v135, v122
	v_pk_add_f32 v[32:33], v[32:33], v[138:139] neg_lo:[0,1] neg_hi:[0,1]
	s_delay_alu instid0(VALU_DEP_2) | instskip(NEXT) | instid1(VALU_DEP_1)
	v_pk_fma_f32 v[132:133], v[132:133], v[40:41], v[134:135] op_sel_hi:[1,1,0]
	v_mov_b32_e32 v137, v133
	ds_load_2addr_b64 v[132:135], v126 offset0:39 offset1:40
	v_pk_add_f32 v[34:35], v[34:35], v[136:137] neg_lo:[0,1] neg_hi:[0,1]
	s_wait_dscnt 0x0
	v_pk_mul_f32 v[136:137], v[132:133], v[124:125] op_sel:[0,1]
	s_delay_alu instid0(VALU_DEP_1) | instskip(SKIP_1) | instid1(VALU_DEP_1)
	v_pk_fma_f32 v[138:139], v[132:133], v[122:123], v[136:137] op_sel:[0,0,1] op_sel_hi:[1,1,0] neg_lo:[0,0,1] neg_hi:[0,0,1]
	v_pk_fma_f32 v[132:133], v[132:133], v[122:123], v[136:137] op_sel:[0,0,1] op_sel_hi:[1,0,0]
	v_mov_b32_e32 v139, v133
	v_pk_mul_f32 v[132:133], v[134:135], v[124:125] op_sel:[0,1]
	s_delay_alu instid0(VALU_DEP_1) | instskip(SKIP_1) | instid1(VALU_DEP_1)
	v_pk_fma_f32 v[136:137], v[134:135], v[122:123], v[132:133] op_sel:[0,0,1] op_sel_hi:[1,1,0] neg_lo:[0,0,1] neg_hi:[0,0,1]
	v_pk_fma_f32 v[132:133], v[134:135], v[122:123], v[132:133] op_sel:[0,0,1] op_sel_hi:[1,0,0]
	v_mov_b32_e32 v137, v133
	ds_load_2addr_b64 v[132:135], v126 offset0:41 offset1:42
	v_pk_add_f32 v[30:31], v[30:31], v[138:139] neg_lo:[0,1] neg_hi:[0,1]
	v_pk_add_f32 v[90:91], v[90:91], v[136:137] neg_lo:[0,1] neg_hi:[0,1]
	s_wait_dscnt 0x0
	v_pk_mul_f32 v[136:137], v[132:133], v[124:125] op_sel:[0,1]
	s_delay_alu instid0(VALU_DEP_1) | instskip(SKIP_1) | instid1(VALU_DEP_1)
	v_pk_fma_f32 v[138:139], v[132:133], v[122:123], v[136:137] op_sel:[0,0,1] op_sel_hi:[1,1,0] neg_lo:[0,0,1] neg_hi:[0,0,1]
	v_pk_fma_f32 v[132:133], v[132:133], v[122:123], v[136:137] op_sel:[0,0,1] op_sel_hi:[1,0,0]
	v_mov_b32_e32 v139, v133
	v_pk_mul_f32 v[132:133], v[134:135], v[124:125] op_sel:[0,1]
	s_delay_alu instid0(VALU_DEP_1) | instskip(SKIP_1) | instid1(VALU_DEP_1)
	v_pk_fma_f32 v[136:137], v[134:135], v[122:123], v[132:133] op_sel:[0,0,1] op_sel_hi:[1,1,0] neg_lo:[0,0,1] neg_hi:[0,0,1]
	v_pk_fma_f32 v[132:133], v[134:135], v[122:123], v[132:133] op_sel:[0,0,1] op_sel_hi:[1,0,0]
	v_mov_b32_e32 v137, v133
	ds_load_2addr_b64 v[132:135], v126 offset0:43 offset1:44
	v_pk_add_f32 v[24:25], v[24:25], v[138:139] neg_lo:[0,1] neg_hi:[0,1]
	v_pk_add_f32 v[26:27], v[26:27], v[136:137] neg_lo:[0,1] neg_hi:[0,1]
	s_wait_dscnt 0x0
	v_dual_mul_f32 v136, v133, v125 :: v_dual_mul_f32 v138, v133, v122
	s_delay_alu instid0(VALU_DEP_1) | instskip(NEXT) | instid1(VALU_DEP_2)
	v_pk_fma_f32 v[136:137], v[132:133], v[40:41], v[136:137] op_sel_hi:[1,1,0] neg_lo:[0,0,1] neg_hi:[0,0,1]
	v_pk_fma_f32 v[132:133], v[132:133], v[40:41], v[138:139] op_sel:[1,0,0] op_sel_hi:[0,1,0]
	s_delay_alu instid0(VALU_DEP_1) | instskip(SKIP_1) | instid1(VALU_DEP_2)
	v_mov_b32_e32 v137, v133
	v_pk_mul_f32 v[132:133], v[134:135], v[124:125] op_sel:[0,1]
	v_pk_add_f32 v[22:23], v[22:23], v[136:137] neg_lo:[0,1] neg_hi:[0,1]
	s_delay_alu instid0(VALU_DEP_2) | instskip(SKIP_1) | instid1(VALU_DEP_1)
	v_pk_fma_f32 v[136:137], v[134:135], v[122:123], v[132:133] op_sel:[0,0,1] op_sel_hi:[1,1,0] neg_lo:[0,0,1] neg_hi:[0,0,1]
	v_pk_fma_f32 v[132:133], v[134:135], v[122:123], v[132:133] op_sel:[0,0,1] op_sel_hi:[1,0,0]
	v_mov_b32_e32 v137, v133
	ds_load_2addr_b64 v[132:135], v126 offset0:45 offset1:46
	v_pk_add_f32 v[88:89], v[88:89], v[136:137] neg_lo:[0,1] neg_hi:[0,1]
	s_wait_dscnt 0x0
	v_pk_mul_f32 v[136:137], v[132:133], v[124:125] op_sel:[0,1]
	s_delay_alu instid0(VALU_DEP_1) | instskip(SKIP_1) | instid1(VALU_DEP_1)
	v_pk_fma_f32 v[138:139], v[132:133], v[122:123], v[136:137] op_sel:[0,0,1] op_sel_hi:[1,1,0] neg_lo:[0,0,1] neg_hi:[0,0,1]
	v_pk_fma_f32 v[132:133], v[132:133], v[122:123], v[136:137] op_sel:[0,0,1] op_sel_hi:[1,0,0]
	v_mov_b32_e32 v139, v133
	v_pk_mul_f32 v[132:133], v[134:135], v[124:125] op_sel:[0,1]
	s_delay_alu instid0(VALU_DEP_2) | instskip(NEXT) | instid1(VALU_DEP_2)
	v_pk_add_f32 v[18:19], v[18:19], v[138:139] neg_lo:[0,1] neg_hi:[0,1]
	v_pk_fma_f32 v[136:137], v[134:135], v[122:123], v[132:133] op_sel:[0,0,1] op_sel_hi:[1,1,0] neg_lo:[0,0,1] neg_hi:[0,0,1]
	v_pk_fma_f32 v[132:133], v[134:135], v[122:123], v[132:133] op_sel:[0,0,1] op_sel_hi:[1,0,0]
	s_delay_alu instid0(VALU_DEP_1) | instskip(SKIP_4) | instid1(VALU_DEP_1)
	v_mov_b32_e32 v137, v133
	ds_load_2addr_b64 v[132:135], v126 offset0:47 offset1:48
	v_pk_add_f32 v[20:21], v[20:21], v[136:137] neg_lo:[0,1] neg_hi:[0,1]
	s_wait_dscnt 0x0
	v_pk_mul_f32 v[136:137], v[132:133], v[124:125] op_sel:[0,1]
	v_pk_fma_f32 v[138:139], v[132:133], v[122:123], v[136:137] op_sel:[0,0,1] op_sel_hi:[1,1,0] neg_lo:[0,0,1] neg_hi:[0,0,1]
	v_pk_fma_f32 v[132:133], v[132:133], v[122:123], v[136:137] op_sel:[0,0,1] op_sel_hi:[1,0,0]
	v_dual_mul_f32 v136, v135, v125 :: v_dual_mov_b32 v132, v135
	s_delay_alu instid0(VALU_DEP_2) | instskip(NEXT) | instid1(VALU_DEP_2)
	v_dual_mov_b32 v139, v133 :: v_dual_mov_b32 v133, v134
	v_pk_fma_f32 v[136:137], v[134:135], v[40:41], v[136:137] op_sel_hi:[1,1,0] neg_lo:[0,0,1] neg_hi:[0,0,1]
	v_mul_f32_e32 v134, v135, v122
	s_delay_alu instid0(VALU_DEP_3) | instskip(NEXT) | instid1(VALU_DEP_2)
	v_pk_add_f32 v[16:17], v[16:17], v[138:139] neg_lo:[0,1] neg_hi:[0,1]
	v_pk_fma_f32 v[132:133], v[132:133], v[40:41], v[134:135] op_sel_hi:[1,1,0]
	s_delay_alu instid0(VALU_DEP_1) | instskip(SKIP_4) | instid1(VALU_DEP_1)
	v_mov_b32_e32 v137, v133
	ds_load_2addr_b64 v[132:135], v126 offset0:49 offset1:50
	v_pk_add_f32 v[84:85], v[84:85], v[136:137] neg_lo:[0,1] neg_hi:[0,1]
	s_wait_dscnt 0x0
	v_pk_mul_f32 v[136:137], v[132:133], v[124:125] op_sel:[0,1]
	v_pk_fma_f32 v[138:139], v[132:133], v[122:123], v[136:137] op_sel:[0,0,1] op_sel_hi:[1,1,0] neg_lo:[0,0,1] neg_hi:[0,0,1]
	v_pk_fma_f32 v[132:133], v[132:133], v[122:123], v[136:137] op_sel:[0,0,1] op_sel_hi:[1,0,0]
	s_delay_alu instid0(VALU_DEP_1) | instskip(SKIP_1) | instid1(VALU_DEP_1)
	v_mov_b32_e32 v139, v133
	v_pk_mul_f32 v[132:133], v[134:135], v[124:125] op_sel:[0,1]
	v_pk_fma_f32 v[136:137], v[134:135], v[122:123], v[132:133] op_sel:[0,0,1] op_sel_hi:[1,1,0] neg_lo:[0,0,1] neg_hi:[0,0,1]
	v_pk_fma_f32 v[132:133], v[134:135], v[122:123], v[132:133] op_sel:[0,0,1] op_sel_hi:[1,0,0]
	s_delay_alu instid0(VALU_DEP_1)
	v_mov_b32_e32 v137, v133
	ds_load_2addr_b64 v[132:135], v126 offset0:51 offset1:52
	v_pk_add_f32 v[10:11], v[10:11], v[138:139] neg_lo:[0,1] neg_hi:[0,1]
	v_pk_add_f32 v[12:13], v[12:13], v[136:137] neg_lo:[0,1] neg_hi:[0,1]
	s_wait_dscnt 0x0
	v_pk_mul_f32 v[136:137], v[132:133], v[124:125] op_sel:[0,1]
	s_delay_alu instid0(VALU_DEP_1) | instskip(SKIP_1) | instid1(VALU_DEP_1)
	v_pk_fma_f32 v[138:139], v[132:133], v[122:123], v[136:137] op_sel:[0,0,1] op_sel_hi:[1,1,0] neg_lo:[0,0,1] neg_hi:[0,0,1]
	v_pk_fma_f32 v[132:133], v[132:133], v[122:123], v[136:137] op_sel:[0,0,1] op_sel_hi:[1,0,0]
	v_mov_b32_e32 v139, v133
	v_pk_mul_f32 v[132:133], v[134:135], v[124:125] op_sel:[0,1]
	s_delay_alu instid0(VALU_DEP_1) | instskip(SKIP_1) | instid1(VALU_DEP_1)
	v_pk_fma_f32 v[136:137], v[134:135], v[122:123], v[132:133] op_sel:[0,0,1] op_sel_hi:[1,1,0] neg_lo:[0,0,1] neg_hi:[0,0,1]
	v_pk_fma_f32 v[132:133], v[134:135], v[122:123], v[132:133] op_sel:[0,0,1] op_sel_hi:[1,0,0]
	v_mov_b32_e32 v137, v133
	ds_load_2addr_b64 v[132:135], v126 offset0:53 offset1:54
	v_pk_add_f32 v[8:9], v[8:9], v[138:139] neg_lo:[0,1] neg_hi:[0,1]
	v_pk_add_f32 v[60:61], v[60:61], v[136:137] neg_lo:[0,1] neg_hi:[0,1]
	s_wait_dscnt 0x0
	v_dual_mul_f32 v136, v133, v125 :: v_dual_mul_f32 v138, v133, v122
	s_delay_alu instid0(VALU_DEP_1) | instskip(NEXT) | instid1(VALU_DEP_2)
	v_pk_fma_f32 v[136:137], v[132:133], v[40:41], v[136:137] op_sel_hi:[1,1,0] neg_lo:[0,0,1] neg_hi:[0,0,1]
	v_pk_fma_f32 v[132:133], v[132:133], v[40:41], v[138:139] op_sel:[1,0,0] op_sel_hi:[0,1,0]
	s_delay_alu instid0(VALU_DEP_1) | instskip(SKIP_1) | instid1(VALU_DEP_2)
	v_mov_b32_e32 v137, v133
	v_pk_mul_f32 v[132:133], v[134:135], v[124:125] op_sel:[0,1]
	v_pk_add_f32 v[6:7], v[6:7], v[136:137] neg_lo:[0,1] neg_hi:[0,1]
	s_delay_alu instid0(VALU_DEP_2) | instskip(SKIP_1) | instid1(VALU_DEP_1)
	v_pk_fma_f32 v[136:137], v[134:135], v[122:123], v[132:133] op_sel:[0,0,1] op_sel_hi:[1,1,0] neg_lo:[0,0,1] neg_hi:[0,0,1]
	v_pk_fma_f32 v[132:133], v[134:135], v[122:123], v[132:133] op_sel:[0,0,1] op_sel_hi:[1,0,0]
	v_mov_b32_e32 v137, v133
	ds_load_2addr_b64 v[132:135], v126 offset0:55 offset1:56
	v_pk_add_f32 v[42:43], v[42:43], v[136:137] neg_lo:[0,1] neg_hi:[0,1]
	s_wait_dscnt 0x0
	v_pk_mul_f32 v[136:137], v[132:133], v[124:125] op_sel:[0,1]
	s_delay_alu instid0(VALU_DEP_1) | instskip(SKIP_1) | instid1(VALU_DEP_1)
	v_pk_fma_f32 v[138:139], v[132:133], v[122:123], v[136:137] op_sel:[0,0,1] op_sel_hi:[1,1,0] neg_lo:[0,0,1] neg_hi:[0,0,1]
	v_pk_fma_f32 v[132:133], v[132:133], v[122:123], v[136:137] op_sel:[0,0,1] op_sel_hi:[1,0,0]
	v_mov_b32_e32 v139, v133
	v_pk_mul_f32 v[132:133], v[134:135], v[124:125] op_sel:[0,1]
	s_delay_alu instid0(VALU_DEP_2) | instskip(NEXT) | instid1(VALU_DEP_2)
	v_pk_add_f32 v[28:29], v[28:29], v[138:139] neg_lo:[0,1] neg_hi:[0,1]
	v_pk_fma_f32 v[136:137], v[134:135], v[122:123], v[132:133] op_sel:[0,0,1] op_sel_hi:[1,1,0] neg_lo:[0,0,1] neg_hi:[0,0,1]
	v_pk_fma_f32 v[132:133], v[134:135], v[122:123], v[132:133] op_sel:[0,0,1] op_sel_hi:[1,0,0]
	s_delay_alu instid0(VALU_DEP_1) | instskip(SKIP_4) | instid1(VALU_DEP_1)
	v_mov_b32_e32 v137, v133
	ds_load_b64 v[132:133], v126 offset:456
	v_pk_add_f32 v[14:15], v[14:15], v[136:137] neg_lo:[0,1] neg_hi:[0,1]
	s_wait_dscnt 0x0
	v_pk_mul_f32 v[124:125], v[132:133], v[124:125] op_sel:[0,1]
	v_pk_fma_f32 v[134:135], v[132:133], v[122:123], v[124:125] op_sel:[0,0,1] op_sel_hi:[1,1,0] neg_lo:[0,0,1] neg_hi:[0,0,1]
	v_pk_fma_f32 v[122:123], v[132:133], v[122:123], v[124:125] op_sel:[0,0,1] op_sel_hi:[1,0,0]
	s_delay_alu instid0(VALU_DEP_1) | instskip(NEXT) | instid1(VALU_DEP_1)
	v_mov_b32_e32 v135, v123
	v_pk_add_f32 v[120:121], v[120:121], v[134:135] neg_lo:[0,1] neg_hi:[0,1]
.LBB114_734:
	s_or_b32 exec_lo, exec_lo, s0
	v_lshl_add_u32 v122, v130, 3, v126
	s_barrier_signal -1
	s_barrier_wait -1
	ds_store_b64 v122, v[36:37]
	s_wait_dscnt 0x0
	s_barrier_signal -1
	s_barrier_wait -1
	ds_load_b64 v[124:125], v126 offset:280
	v_mov_b32_e32 v122, 35
	s_cmp_lt_i32 s18, 37
	s_cbranch_scc1 .LBB114_737
; %bb.735:
	v_add3_u32 v123, v127, 0, 0x120
	v_mov_b32_e32 v122, 35
	s_mov_b32 s0, 36
.LBB114_736:                            ; =>This Inner Loop Header: Depth=1
	ds_load_b64 v[132:133], v123
	s_wait_dscnt 0x1
	v_cmp_gt_f32_e32 vcc_lo, 0, v124
	v_cndmask_b32_e64 v134, v124, -v124, vcc_lo
	v_cmp_gt_f32_e32 vcc_lo, 0, v125
	v_cndmask_b32_e64 v136, v125, -v125, vcc_lo
	s_wait_dscnt 0x0
	v_cmp_gt_f32_e32 vcc_lo, 0, v132
	v_cndmask_b32_e64 v135, v132, -v132, vcc_lo
	v_cmp_gt_f32_e32 vcc_lo, 0, v133
	v_cndmask_b32_e64 v137, v133, -v133, vcc_lo
	s_delay_alu instid0(VALU_DEP_1) | instskip(NEXT) | instid1(VALU_DEP_1)
	v_pk_add_f32 v[134:135], v[134:135], v[136:137]
	v_cmp_lt_f32_e32 vcc_lo, v134, v135
	v_dual_add_nc_u32 v123, 8, v123 :: v_dual_cndmask_b32 v125, v125, v133, vcc_lo
	v_cndmask_b32_e32 v124, v124, v132, vcc_lo
	v_cndmask_b32_e64 v122, v122, s0, vcc_lo
	s_add_co_i32 s0, s0, 1
	s_delay_alu instid0(SALU_CYCLE_1)
	s_cmp_lg_u32 s18, s0
	s_cbranch_scc1 .LBB114_736
.LBB114_737:
	s_wait_dscnt 0x0
	v_cmp_eq_f32_e32 vcc_lo, 0, v124
	v_cmp_eq_f32_e64 s0, 0, v125
	s_and_b32 s0, vcc_lo, s0
	s_delay_alu instid0(SALU_CYCLE_1) | instskip(NEXT) | instid1(SALU_CYCLE_1)
	s_and_saveexec_b32 s1, s0
	s_xor_b32 s0, exec_lo, s1
; %bb.738:
	v_cmp_ne_u32_e32 vcc_lo, 0, v128
	v_cndmask_b32_e32 v128, 36, v128, vcc_lo
; %bb.739:
	s_and_not1_saveexec_b32 s0, s0
	s_cbranch_execz .LBB114_745
; %bb.740:
	v_cmp_ngt_f32_e64 s1, |v124|, |v125|
	s_and_saveexec_b32 s12, s1
	s_delay_alu instid0(SALU_CYCLE_1)
	s_xor_b32 s1, exec_lo, s12
	s_cbranch_execz .LBB114_742
; %bb.741:
	v_div_scale_f32 v123, null, v125, v125, v124
	v_div_scale_f32 v133, vcc_lo, v124, v125, v124
	s_delay_alu instid0(VALU_DEP_2) | instskip(SKIP_1) | instid1(TRANS32_DEP_1)
	v_rcp_f32_e32 v131, v123
	v_nop
	v_fma_f32 v132, -v123, v131, 1.0
	s_delay_alu instid0(VALU_DEP_1) | instskip(NEXT) | instid1(VALU_DEP_1)
	v_fmac_f32_e32 v131, v132, v131
	v_mul_f32_e32 v132, v133, v131
	s_delay_alu instid0(VALU_DEP_1) | instskip(NEXT) | instid1(VALU_DEP_1)
	v_fma_f32 v134, -v123, v132, v133
	v_fmac_f32_e32 v132, v134, v131
	s_delay_alu instid0(VALU_DEP_1) | instskip(NEXT) | instid1(VALU_DEP_1)
	v_fma_f32 v123, -v123, v132, v133
	v_div_fmas_f32 v123, v123, v131, v132
	s_delay_alu instid0(VALU_DEP_1) | instskip(NEXT) | instid1(VALU_DEP_1)
	v_div_fixup_f32 v123, v123, v125, v124
	v_fmac_f32_e32 v125, v124, v123
	s_delay_alu instid0(VALU_DEP_1) | instskip(SKIP_1) | instid1(VALU_DEP_2)
	v_div_scale_f32 v124, null, v125, v125, 1.0
	v_div_scale_f32 v133, vcc_lo, 1.0, v125, 1.0
	v_rcp_f32_e32 v131, v124
	v_nop
	s_delay_alu instid0(TRANS32_DEP_1) | instskip(NEXT) | instid1(VALU_DEP_1)
	v_fma_f32 v132, -v124, v131, 1.0
	v_fmac_f32_e32 v131, v132, v131
	s_delay_alu instid0(VALU_DEP_1) | instskip(NEXT) | instid1(VALU_DEP_1)
	v_mul_f32_e32 v132, v133, v131
	v_fma_f32 v134, -v124, v132, v133
	s_delay_alu instid0(VALU_DEP_1) | instskip(NEXT) | instid1(VALU_DEP_1)
	v_fmac_f32_e32 v132, v134, v131
	v_fma_f32 v124, -v124, v132, v133
	s_delay_alu instid0(VALU_DEP_1) | instskip(NEXT) | instid1(VALU_DEP_1)
	v_div_fmas_f32 v124, v124, v131, v132
	v_div_fixup_f32 v125, v124, v125, 1.0
	s_delay_alu instid0(VALU_DEP_1)
	v_mul_f32_e32 v124, v123, v125
	v_xor_b32_e32 v125, 0x80000000, v125
.LBB114_742:
	s_and_not1_saveexec_b32 s1, s1
	s_cbranch_execz .LBB114_744
; %bb.743:
	s_delay_alu instid0(VALU_DEP_1) | instskip(SKIP_1) | instid1(VALU_DEP_2)
	v_div_scale_f32 v123, null, v124, v124, v125
	v_div_scale_f32 v133, vcc_lo, v125, v124, v125
	v_rcp_f32_e32 v131, v123
	v_nop
	s_delay_alu instid0(TRANS32_DEP_1) | instskip(NEXT) | instid1(VALU_DEP_1)
	v_fma_f32 v132, -v123, v131, 1.0
	v_fmac_f32_e32 v131, v132, v131
	s_delay_alu instid0(VALU_DEP_1) | instskip(NEXT) | instid1(VALU_DEP_1)
	v_mul_f32_e32 v132, v133, v131
	v_fma_f32 v134, -v123, v132, v133
	s_delay_alu instid0(VALU_DEP_1) | instskip(NEXT) | instid1(VALU_DEP_1)
	v_fmac_f32_e32 v132, v134, v131
	v_fma_f32 v123, -v123, v132, v133
	s_delay_alu instid0(VALU_DEP_1) | instskip(NEXT) | instid1(VALU_DEP_1)
	v_div_fmas_f32 v123, v123, v131, v132
	v_div_fixup_f32 v123, v123, v124, v125
	s_delay_alu instid0(VALU_DEP_1) | instskip(NEXT) | instid1(VALU_DEP_1)
	v_fmac_f32_e32 v124, v125, v123
	v_div_scale_f32 v125, null, v124, v124, 1.0
	s_delay_alu instid0(VALU_DEP_1) | instskip(SKIP_1) | instid1(TRANS32_DEP_1)
	v_rcp_f32_e32 v131, v125
	v_nop
	v_fma_f32 v132, -v125, v131, 1.0
	s_delay_alu instid0(VALU_DEP_1) | instskip(SKIP_1) | instid1(VALU_DEP_1)
	v_fmac_f32_e32 v131, v132, v131
	v_div_scale_f32 v132, vcc_lo, 1.0, v124, 1.0
	v_mul_f32_e32 v133, v132, v131
	s_delay_alu instid0(VALU_DEP_1) | instskip(NEXT) | instid1(VALU_DEP_1)
	v_fma_f32 v134, -v125, v133, v132
	v_fmac_f32_e32 v133, v134, v131
	s_delay_alu instid0(VALU_DEP_1) | instskip(NEXT) | instid1(VALU_DEP_1)
	v_fma_f32 v125, -v125, v133, v132
	v_div_fmas_f32 v125, v125, v131, v133
	s_delay_alu instid0(VALU_DEP_1) | instskip(NEXT) | instid1(VALU_DEP_1)
	v_div_fixup_f32 v124, v125, v124, 1.0
	v_mul_f32_e64 v125, v123, -v124
.LBB114_744:
	s_or_b32 exec_lo, exec_lo, s1
.LBB114_745:
	s_delay_alu instid0(SALU_CYCLE_1) | instskip(NEXT) | instid1(SALU_CYCLE_1)
	s_or_b32 exec_lo, exec_lo, s0
	s_mov_b32 s0, exec_lo
	v_cmpx_ne_u32_e64 v130, v122
	s_xor_b32 s0, exec_lo, s0
	s_cbranch_execz .LBB114_751
; %bb.746:
	s_mov_b32 s1, exec_lo
	v_cmpx_eq_u32_e32 35, v130
	s_cbranch_execz .LBB114_750
; %bb.747:
	v_cmp_ne_u32_e32 vcc_lo, 35, v122
	s_xor_b32 s12, s16, -1
	s_delay_alu instid0(SALU_CYCLE_1) | instskip(NEXT) | instid1(SALU_CYCLE_1)
	s_and_b32 s13, s12, vcc_lo
	s_and_saveexec_b32 s12, s13
	s_cbranch_execz .LBB114_749
; %bb.748:
	v_ashrrev_i32_e32 v123, 31, v122
	s_delay_alu instid0(VALU_DEP_1)
	v_lshl_add_u64 v[130:131], v[122:123], 2, v[4:5]
	s_clause 0x1
	global_load_b32 v123, v[130:131], off
	global_load_b32 v129, v[4:5], off offset:140
	s_wait_loadcnt 0x1
	global_store_b32 v[4:5], v123, off offset:140
	s_wait_loadcnt 0x0
	global_store_b32 v[130:131], v129, off
.LBB114_749:
	s_wait_xcnt 0x0
	s_or_b32 exec_lo, exec_lo, s12
	v_dual_mov_b32 v130, v122 :: v_dual_mov_b32 v129, v122
.LBB114_750:
	s_or_b32 exec_lo, exec_lo, s1
.LBB114_751:
	s_and_not1_saveexec_b32 s0, s0
	s_cbranch_execz .LBB114_753
; %bb.752:
	v_dual_mov_b32 v122, v92 :: v_dual_mov_b32 v123, v93
	v_dual_mov_b32 v130, v32 :: v_dual_mov_b32 v131, v33
	ds_store_2addr_b64 v126, v[122:123], v[130:131] offset0:36 offset1:37
	v_dual_mov_b32 v122, v34 :: v_dual_mov_b32 v123, v35
	v_dual_mov_b32 v130, v30 :: v_dual_mov_b32 v131, v31
	ds_store_2addr_b64 v126, v[122:123], v[130:131] offset0:38 offset1:39
	;; [unrolled: 3-line block ×10, first 2 shown]
	v_dual_mov_b32 v122, v14 :: v_dual_mov_b32 v123, v15
	v_mov_b32_e32 v130, 35
	ds_store_2addr_b64 v126, v[122:123], v[120:121] offset0:56 offset1:57
.LBB114_753:
	s_or_b32 exec_lo, exec_lo, s0
	s_delay_alu instid0(SALU_CYCLE_1)
	s_mov_b32 s0, exec_lo
	s_wait_storecnt_dscnt 0x0
	s_barrier_signal -1
	s_barrier_wait -1
	v_cmpx_lt_i32_e32 35, v130
	s_cbranch_execz .LBB114_755
; %bb.754:
	v_pk_mul_f32 v[132:133], v[124:125], v[36:37] op_sel:[1,1] op_sel_hi:[0,1]
	s_delay_alu instid0(VALU_DEP_1)
	v_pk_fma_f32 v[122:123], v[124:125], v[36:37], v[132:133] op_sel_hi:[1,0,1] neg_lo:[0,0,1] neg_hi:[0,0,1]
	v_pk_fma_f32 v[124:125], v[124:125], v[36:37], v[132:133] op_sel_hi:[1,0,1]
	ds_load_2addr_b64 v[132:135], v126 offset0:36 offset1:37
	v_dual_mov_b32 v36, v122 :: v_dual_mov_b32 v37, v125
	s_wait_dscnt 0x0
	v_pk_mul_f32 v[136:137], v[132:133], v[124:125] op_sel:[0,1]
	s_delay_alu instid0(VALU_DEP_1) | instskip(SKIP_1) | instid1(VALU_DEP_1)
	v_pk_fma_f32 v[138:139], v[132:133], v[122:123], v[136:137] op_sel:[0,0,1] op_sel_hi:[1,1,0] neg_lo:[0,0,1] neg_hi:[0,0,1]
	v_pk_fma_f32 v[132:133], v[132:133], v[122:123], v[136:137] op_sel:[0,0,1] op_sel_hi:[1,0,0]
	v_mov_b32_e32 v139, v133
	v_pk_mul_f32 v[132:133], v[134:135], v[124:125] op_sel:[0,1]
	s_delay_alu instid0(VALU_DEP_1) | instskip(SKIP_1) | instid1(VALU_DEP_1)
	v_pk_fma_f32 v[136:137], v[134:135], v[122:123], v[132:133] op_sel:[0,0,1] op_sel_hi:[1,1,0] neg_lo:[0,0,1] neg_hi:[0,0,1]
	v_pk_fma_f32 v[132:133], v[134:135], v[122:123], v[132:133] op_sel:[0,0,1] op_sel_hi:[1,0,0]
	v_mov_b32_e32 v137, v133
	ds_load_2addr_b64 v[132:135], v126 offset0:38 offset1:39
	v_pk_add_f32 v[92:93], v[92:93], v[138:139] neg_lo:[0,1] neg_hi:[0,1]
	v_pk_add_f32 v[32:33], v[32:33], v[136:137] neg_lo:[0,1] neg_hi:[0,1]
	s_wait_dscnt 0x0
	v_pk_mul_f32 v[136:137], v[132:133], v[124:125] op_sel:[0,1]
	s_delay_alu instid0(VALU_DEP_1) | instskip(SKIP_2) | instid1(VALU_DEP_2)
	v_pk_fma_f32 v[138:139], v[132:133], v[122:123], v[136:137] op_sel:[0,0,1] op_sel_hi:[1,1,0] neg_lo:[0,0,1] neg_hi:[0,0,1]
	v_pk_fma_f32 v[132:133], v[132:133], v[122:123], v[136:137] op_sel:[0,0,1] op_sel_hi:[1,0,0]
	v_dual_mul_f32 v136, v135, v125 :: v_dual_mov_b32 v132, v135
	v_dual_mov_b32 v139, v133 :: v_dual_mov_b32 v133, v134
	s_delay_alu instid0(VALU_DEP_2) | instskip(SKIP_1) | instid1(VALU_DEP_3)
	v_pk_fma_f32 v[136:137], v[134:135], v[36:37], v[136:137] op_sel_hi:[1,1,0] neg_lo:[0,0,1] neg_hi:[0,0,1]
	v_mul_f32_e32 v134, v135, v122
	v_pk_add_f32 v[34:35], v[34:35], v[138:139] neg_lo:[0,1] neg_hi:[0,1]
	s_delay_alu instid0(VALU_DEP_2) | instskip(NEXT) | instid1(VALU_DEP_1)
	v_pk_fma_f32 v[132:133], v[132:133], v[36:37], v[134:135] op_sel_hi:[1,1,0]
	v_mov_b32_e32 v137, v133
	ds_load_2addr_b64 v[132:135], v126 offset0:40 offset1:41
	v_pk_add_f32 v[30:31], v[30:31], v[136:137] neg_lo:[0,1] neg_hi:[0,1]
	s_wait_dscnt 0x0
	v_pk_mul_f32 v[136:137], v[132:133], v[124:125] op_sel:[0,1]
	s_delay_alu instid0(VALU_DEP_1) | instskip(SKIP_1) | instid1(VALU_DEP_1)
	v_pk_fma_f32 v[138:139], v[132:133], v[122:123], v[136:137] op_sel:[0,0,1] op_sel_hi:[1,1,0] neg_lo:[0,0,1] neg_hi:[0,0,1]
	v_pk_fma_f32 v[132:133], v[132:133], v[122:123], v[136:137] op_sel:[0,0,1] op_sel_hi:[1,0,0]
	v_mov_b32_e32 v139, v133
	v_pk_mul_f32 v[132:133], v[134:135], v[124:125] op_sel:[0,1]
	s_delay_alu instid0(VALU_DEP_1) | instskip(SKIP_1) | instid1(VALU_DEP_1)
	v_pk_fma_f32 v[136:137], v[134:135], v[122:123], v[132:133] op_sel:[0,0,1] op_sel_hi:[1,1,0] neg_lo:[0,0,1] neg_hi:[0,0,1]
	v_pk_fma_f32 v[132:133], v[134:135], v[122:123], v[132:133] op_sel:[0,0,1] op_sel_hi:[1,0,0]
	v_mov_b32_e32 v137, v133
	ds_load_2addr_b64 v[132:135], v126 offset0:42 offset1:43
	v_pk_add_f32 v[90:91], v[90:91], v[138:139] neg_lo:[0,1] neg_hi:[0,1]
	v_pk_add_f32 v[24:25], v[24:25], v[136:137] neg_lo:[0,1] neg_hi:[0,1]
	s_wait_dscnt 0x0
	v_pk_mul_f32 v[136:137], v[132:133], v[124:125] op_sel:[0,1]
	s_delay_alu instid0(VALU_DEP_1) | instskip(SKIP_1) | instid1(VALU_DEP_1)
	v_pk_fma_f32 v[138:139], v[132:133], v[122:123], v[136:137] op_sel:[0,0,1] op_sel_hi:[1,1,0] neg_lo:[0,0,1] neg_hi:[0,0,1]
	v_pk_fma_f32 v[132:133], v[132:133], v[122:123], v[136:137] op_sel:[0,0,1] op_sel_hi:[1,0,0]
	v_mov_b32_e32 v139, v133
	v_pk_mul_f32 v[132:133], v[134:135], v[124:125] op_sel:[0,1]
	s_delay_alu instid0(VALU_DEP_1) | instskip(SKIP_1) | instid1(VALU_DEP_1)
	v_pk_fma_f32 v[136:137], v[134:135], v[122:123], v[132:133] op_sel:[0,0,1] op_sel_hi:[1,1,0] neg_lo:[0,0,1] neg_hi:[0,0,1]
	v_pk_fma_f32 v[132:133], v[134:135], v[122:123], v[132:133] op_sel:[0,0,1] op_sel_hi:[1,0,0]
	v_mov_b32_e32 v137, v133
	ds_load_2addr_b64 v[132:135], v126 offset0:44 offset1:45
	v_pk_add_f32 v[26:27], v[26:27], v[138:139] neg_lo:[0,1] neg_hi:[0,1]
	v_pk_add_f32 v[22:23], v[22:23], v[136:137] neg_lo:[0,1] neg_hi:[0,1]
	s_wait_dscnt 0x0
	v_dual_mul_f32 v136, v133, v125 :: v_dual_mul_f32 v138, v133, v122
	s_delay_alu instid0(VALU_DEP_1) | instskip(NEXT) | instid1(VALU_DEP_2)
	v_pk_fma_f32 v[136:137], v[132:133], v[36:37], v[136:137] op_sel_hi:[1,1,0] neg_lo:[0,0,1] neg_hi:[0,0,1]
	v_pk_fma_f32 v[132:133], v[132:133], v[36:37], v[138:139] op_sel:[1,0,0] op_sel_hi:[0,1,0]
	s_delay_alu instid0(VALU_DEP_1) | instskip(SKIP_1) | instid1(VALU_DEP_2)
	v_mov_b32_e32 v137, v133
	v_pk_mul_f32 v[132:133], v[134:135], v[124:125] op_sel:[0,1]
	v_pk_add_f32 v[88:89], v[88:89], v[136:137] neg_lo:[0,1] neg_hi:[0,1]
	s_delay_alu instid0(VALU_DEP_2) | instskip(SKIP_1) | instid1(VALU_DEP_1)
	v_pk_fma_f32 v[136:137], v[134:135], v[122:123], v[132:133] op_sel:[0,0,1] op_sel_hi:[1,1,0] neg_lo:[0,0,1] neg_hi:[0,0,1]
	v_pk_fma_f32 v[132:133], v[134:135], v[122:123], v[132:133] op_sel:[0,0,1] op_sel_hi:[1,0,0]
	v_mov_b32_e32 v137, v133
	ds_load_2addr_b64 v[132:135], v126 offset0:46 offset1:47
	v_pk_add_f32 v[18:19], v[18:19], v[136:137] neg_lo:[0,1] neg_hi:[0,1]
	s_wait_dscnt 0x0
	v_pk_mul_f32 v[136:137], v[132:133], v[124:125] op_sel:[0,1]
	s_delay_alu instid0(VALU_DEP_1) | instskip(SKIP_1) | instid1(VALU_DEP_1)
	v_pk_fma_f32 v[138:139], v[132:133], v[122:123], v[136:137] op_sel:[0,0,1] op_sel_hi:[1,1,0] neg_lo:[0,0,1] neg_hi:[0,0,1]
	v_pk_fma_f32 v[132:133], v[132:133], v[122:123], v[136:137] op_sel:[0,0,1] op_sel_hi:[1,0,0]
	v_mov_b32_e32 v139, v133
	v_pk_mul_f32 v[132:133], v[134:135], v[124:125] op_sel:[0,1]
	s_delay_alu instid0(VALU_DEP_2) | instskip(NEXT) | instid1(VALU_DEP_2)
	v_pk_add_f32 v[20:21], v[20:21], v[138:139] neg_lo:[0,1] neg_hi:[0,1]
	v_pk_fma_f32 v[136:137], v[134:135], v[122:123], v[132:133] op_sel:[0,0,1] op_sel_hi:[1,1,0] neg_lo:[0,0,1] neg_hi:[0,0,1]
	v_pk_fma_f32 v[132:133], v[134:135], v[122:123], v[132:133] op_sel:[0,0,1] op_sel_hi:[1,0,0]
	s_delay_alu instid0(VALU_DEP_1) | instskip(SKIP_4) | instid1(VALU_DEP_1)
	v_mov_b32_e32 v137, v133
	ds_load_2addr_b64 v[132:135], v126 offset0:48 offset1:49
	v_pk_add_f32 v[16:17], v[16:17], v[136:137] neg_lo:[0,1] neg_hi:[0,1]
	s_wait_dscnt 0x0
	v_pk_mul_f32 v[136:137], v[132:133], v[124:125] op_sel:[0,1]
	v_pk_fma_f32 v[138:139], v[132:133], v[122:123], v[136:137] op_sel:[0,0,1] op_sel_hi:[1,1,0] neg_lo:[0,0,1] neg_hi:[0,0,1]
	v_pk_fma_f32 v[132:133], v[132:133], v[122:123], v[136:137] op_sel:[0,0,1] op_sel_hi:[1,0,0]
	v_dual_mul_f32 v136, v135, v125 :: v_dual_mov_b32 v132, v135
	s_delay_alu instid0(VALU_DEP_2) | instskip(NEXT) | instid1(VALU_DEP_2)
	v_dual_mov_b32 v139, v133 :: v_dual_mov_b32 v133, v134
	v_pk_fma_f32 v[136:137], v[134:135], v[36:37], v[136:137] op_sel_hi:[1,1,0] neg_lo:[0,0,1] neg_hi:[0,0,1]
	v_mul_f32_e32 v134, v135, v122
	s_delay_alu instid0(VALU_DEP_3) | instskip(NEXT) | instid1(VALU_DEP_2)
	v_pk_add_f32 v[84:85], v[84:85], v[138:139] neg_lo:[0,1] neg_hi:[0,1]
	v_pk_fma_f32 v[132:133], v[132:133], v[36:37], v[134:135] op_sel_hi:[1,1,0]
	s_delay_alu instid0(VALU_DEP_1) | instskip(SKIP_4) | instid1(VALU_DEP_1)
	v_mov_b32_e32 v137, v133
	ds_load_2addr_b64 v[132:135], v126 offset0:50 offset1:51
	v_pk_add_f32 v[10:11], v[10:11], v[136:137] neg_lo:[0,1] neg_hi:[0,1]
	s_wait_dscnt 0x0
	v_pk_mul_f32 v[136:137], v[132:133], v[124:125] op_sel:[0,1]
	v_pk_fma_f32 v[138:139], v[132:133], v[122:123], v[136:137] op_sel:[0,0,1] op_sel_hi:[1,1,0] neg_lo:[0,0,1] neg_hi:[0,0,1]
	v_pk_fma_f32 v[132:133], v[132:133], v[122:123], v[136:137] op_sel:[0,0,1] op_sel_hi:[1,0,0]
	s_delay_alu instid0(VALU_DEP_1) | instskip(SKIP_1) | instid1(VALU_DEP_1)
	v_mov_b32_e32 v139, v133
	v_pk_mul_f32 v[132:133], v[134:135], v[124:125] op_sel:[0,1]
	v_pk_fma_f32 v[136:137], v[134:135], v[122:123], v[132:133] op_sel:[0,0,1] op_sel_hi:[1,1,0] neg_lo:[0,0,1] neg_hi:[0,0,1]
	v_pk_fma_f32 v[132:133], v[134:135], v[122:123], v[132:133] op_sel:[0,0,1] op_sel_hi:[1,0,0]
	s_delay_alu instid0(VALU_DEP_1)
	v_mov_b32_e32 v137, v133
	ds_load_2addr_b64 v[132:135], v126 offset0:52 offset1:53
	v_pk_add_f32 v[12:13], v[12:13], v[138:139] neg_lo:[0,1] neg_hi:[0,1]
	v_pk_add_f32 v[8:9], v[8:9], v[136:137] neg_lo:[0,1] neg_hi:[0,1]
	s_wait_dscnt 0x0
	v_pk_mul_f32 v[136:137], v[132:133], v[124:125] op_sel:[0,1]
	s_delay_alu instid0(VALU_DEP_1) | instskip(SKIP_1) | instid1(VALU_DEP_1)
	v_pk_fma_f32 v[138:139], v[132:133], v[122:123], v[136:137] op_sel:[0,0,1] op_sel_hi:[1,1,0] neg_lo:[0,0,1] neg_hi:[0,0,1]
	v_pk_fma_f32 v[132:133], v[132:133], v[122:123], v[136:137] op_sel:[0,0,1] op_sel_hi:[1,0,0]
	v_mov_b32_e32 v139, v133
	v_pk_mul_f32 v[132:133], v[134:135], v[124:125] op_sel:[0,1]
	s_delay_alu instid0(VALU_DEP_1) | instskip(SKIP_1) | instid1(VALU_DEP_1)
	v_pk_fma_f32 v[136:137], v[134:135], v[122:123], v[132:133] op_sel:[0,0,1] op_sel_hi:[1,1,0] neg_lo:[0,0,1] neg_hi:[0,0,1]
	v_pk_fma_f32 v[132:133], v[134:135], v[122:123], v[132:133] op_sel:[0,0,1] op_sel_hi:[1,0,0]
	v_mov_b32_e32 v137, v133
	ds_load_2addr_b64 v[132:135], v126 offset0:54 offset1:55
	v_pk_add_f32 v[60:61], v[60:61], v[138:139] neg_lo:[0,1] neg_hi:[0,1]
	v_pk_add_f32 v[6:7], v[6:7], v[136:137] neg_lo:[0,1] neg_hi:[0,1]
	s_wait_dscnt 0x0
	v_dual_mul_f32 v136, v133, v125 :: v_dual_mul_f32 v138, v133, v122
	s_delay_alu instid0(VALU_DEP_1) | instskip(NEXT) | instid1(VALU_DEP_2)
	v_pk_fma_f32 v[136:137], v[132:133], v[36:37], v[136:137] op_sel_hi:[1,1,0] neg_lo:[0,0,1] neg_hi:[0,0,1]
	v_pk_fma_f32 v[132:133], v[132:133], v[36:37], v[138:139] op_sel:[1,0,0] op_sel_hi:[0,1,0]
	s_delay_alu instid0(VALU_DEP_1) | instskip(SKIP_1) | instid1(VALU_DEP_2)
	v_mov_b32_e32 v137, v133
	v_pk_mul_f32 v[132:133], v[134:135], v[124:125] op_sel:[0,1]
	v_pk_add_f32 v[42:43], v[42:43], v[136:137] neg_lo:[0,1] neg_hi:[0,1]
	s_delay_alu instid0(VALU_DEP_2) | instskip(SKIP_1) | instid1(VALU_DEP_1)
	v_pk_fma_f32 v[136:137], v[134:135], v[122:123], v[132:133] op_sel:[0,0,1] op_sel_hi:[1,1,0] neg_lo:[0,0,1] neg_hi:[0,0,1]
	v_pk_fma_f32 v[132:133], v[134:135], v[122:123], v[132:133] op_sel:[0,0,1] op_sel_hi:[1,0,0]
	v_mov_b32_e32 v137, v133
	ds_load_2addr_b64 v[132:135], v126 offset0:56 offset1:57
	v_pk_add_f32 v[28:29], v[28:29], v[136:137] neg_lo:[0,1] neg_hi:[0,1]
	s_wait_dscnt 0x0
	v_pk_mul_f32 v[136:137], v[132:133], v[124:125] op_sel:[0,1]
	v_pk_mul_f32 v[124:125], v[134:135], v[124:125] op_sel:[0,1]
	s_delay_alu instid0(VALU_DEP_2) | instskip(SKIP_1) | instid1(VALU_DEP_1)
	v_pk_fma_f32 v[138:139], v[132:133], v[122:123], v[136:137] op_sel:[0,0,1] op_sel_hi:[1,1,0] neg_lo:[0,0,1] neg_hi:[0,0,1]
	v_pk_fma_f32 v[132:133], v[132:133], v[122:123], v[136:137] op_sel:[0,0,1] op_sel_hi:[1,0,0]
	v_mov_b32_e32 v139, v133
	s_delay_alu instid0(VALU_DEP_4) | instskip(SKIP_1) | instid1(VALU_DEP_3)
	v_pk_fma_f32 v[132:133], v[134:135], v[122:123], v[124:125] op_sel:[0,0,1] op_sel_hi:[1,1,0] neg_lo:[0,0,1] neg_hi:[0,0,1]
	v_pk_fma_f32 v[122:123], v[134:135], v[122:123], v[124:125] op_sel:[0,0,1] op_sel_hi:[1,0,0]
	v_pk_add_f32 v[14:15], v[14:15], v[138:139] neg_lo:[0,1] neg_hi:[0,1]
	s_delay_alu instid0(VALU_DEP_2) | instskip(NEXT) | instid1(VALU_DEP_1)
	v_mov_b32_e32 v133, v123
	v_pk_add_f32 v[120:121], v[120:121], v[132:133] neg_lo:[0,1] neg_hi:[0,1]
.LBB114_755:
	s_or_b32 exec_lo, exec_lo, s0
	v_lshl_add_u32 v122, v130, 3, v126
	s_barrier_signal -1
	s_barrier_wait -1
	ds_store_b64 v122, v[92:93]
	s_wait_dscnt 0x0
	s_barrier_signal -1
	s_barrier_wait -1
	ds_load_b64 v[124:125], v126 offset:288
	v_mov_b32_e32 v122, 36
	s_cmp_lt_i32 s18, 38
	s_cbranch_scc1 .LBB114_758
; %bb.756:
	v_add3_u32 v123, v127, 0, 0x128
	v_mov_b32_e32 v122, 36
	s_mov_b32 s0, 37
.LBB114_757:                            ; =>This Inner Loop Header: Depth=1
	ds_load_b64 v[132:133], v123
	s_wait_dscnt 0x1
	v_cmp_gt_f32_e32 vcc_lo, 0, v124
	v_cndmask_b32_e64 v134, v124, -v124, vcc_lo
	v_cmp_gt_f32_e32 vcc_lo, 0, v125
	v_cndmask_b32_e64 v136, v125, -v125, vcc_lo
	s_wait_dscnt 0x0
	v_cmp_gt_f32_e32 vcc_lo, 0, v132
	v_cndmask_b32_e64 v135, v132, -v132, vcc_lo
	v_cmp_gt_f32_e32 vcc_lo, 0, v133
	v_cndmask_b32_e64 v137, v133, -v133, vcc_lo
	s_delay_alu instid0(VALU_DEP_1) | instskip(NEXT) | instid1(VALU_DEP_1)
	v_pk_add_f32 v[134:135], v[134:135], v[136:137]
	v_cmp_lt_f32_e32 vcc_lo, v134, v135
	v_dual_add_nc_u32 v123, 8, v123 :: v_dual_cndmask_b32 v125, v125, v133, vcc_lo
	v_cndmask_b32_e32 v124, v124, v132, vcc_lo
	v_cndmask_b32_e64 v122, v122, s0, vcc_lo
	s_add_co_i32 s0, s0, 1
	s_delay_alu instid0(SALU_CYCLE_1)
	s_cmp_lg_u32 s18, s0
	s_cbranch_scc1 .LBB114_757
.LBB114_758:
	s_wait_dscnt 0x0
	v_cmp_eq_f32_e32 vcc_lo, 0, v124
	v_cmp_eq_f32_e64 s0, 0, v125
	s_and_b32 s0, vcc_lo, s0
	s_delay_alu instid0(SALU_CYCLE_1) | instskip(NEXT) | instid1(SALU_CYCLE_1)
	s_and_saveexec_b32 s1, s0
	s_xor_b32 s0, exec_lo, s1
; %bb.759:
	v_cmp_ne_u32_e32 vcc_lo, 0, v128
	v_cndmask_b32_e32 v128, 37, v128, vcc_lo
; %bb.760:
	s_and_not1_saveexec_b32 s0, s0
	s_cbranch_execz .LBB114_766
; %bb.761:
	v_cmp_ngt_f32_e64 s1, |v124|, |v125|
	s_and_saveexec_b32 s12, s1
	s_delay_alu instid0(SALU_CYCLE_1)
	s_xor_b32 s1, exec_lo, s12
	s_cbranch_execz .LBB114_763
; %bb.762:
	v_div_scale_f32 v123, null, v125, v125, v124
	v_div_scale_f32 v133, vcc_lo, v124, v125, v124
	s_delay_alu instid0(VALU_DEP_2) | instskip(SKIP_1) | instid1(TRANS32_DEP_1)
	v_rcp_f32_e32 v131, v123
	v_nop
	v_fma_f32 v132, -v123, v131, 1.0
	s_delay_alu instid0(VALU_DEP_1) | instskip(NEXT) | instid1(VALU_DEP_1)
	v_fmac_f32_e32 v131, v132, v131
	v_mul_f32_e32 v132, v133, v131
	s_delay_alu instid0(VALU_DEP_1) | instskip(NEXT) | instid1(VALU_DEP_1)
	v_fma_f32 v134, -v123, v132, v133
	v_fmac_f32_e32 v132, v134, v131
	s_delay_alu instid0(VALU_DEP_1) | instskip(NEXT) | instid1(VALU_DEP_1)
	v_fma_f32 v123, -v123, v132, v133
	v_div_fmas_f32 v123, v123, v131, v132
	s_delay_alu instid0(VALU_DEP_1) | instskip(NEXT) | instid1(VALU_DEP_1)
	v_div_fixup_f32 v123, v123, v125, v124
	v_fmac_f32_e32 v125, v124, v123
	s_delay_alu instid0(VALU_DEP_1) | instskip(SKIP_1) | instid1(VALU_DEP_2)
	v_div_scale_f32 v124, null, v125, v125, 1.0
	v_div_scale_f32 v133, vcc_lo, 1.0, v125, 1.0
	v_rcp_f32_e32 v131, v124
	v_nop
	s_delay_alu instid0(TRANS32_DEP_1) | instskip(NEXT) | instid1(VALU_DEP_1)
	v_fma_f32 v132, -v124, v131, 1.0
	v_fmac_f32_e32 v131, v132, v131
	s_delay_alu instid0(VALU_DEP_1) | instskip(NEXT) | instid1(VALU_DEP_1)
	v_mul_f32_e32 v132, v133, v131
	v_fma_f32 v134, -v124, v132, v133
	s_delay_alu instid0(VALU_DEP_1) | instskip(NEXT) | instid1(VALU_DEP_1)
	v_fmac_f32_e32 v132, v134, v131
	v_fma_f32 v124, -v124, v132, v133
	s_delay_alu instid0(VALU_DEP_1) | instskip(NEXT) | instid1(VALU_DEP_1)
	v_div_fmas_f32 v124, v124, v131, v132
	v_div_fixup_f32 v125, v124, v125, 1.0
	s_delay_alu instid0(VALU_DEP_1)
	v_mul_f32_e32 v124, v123, v125
	v_xor_b32_e32 v125, 0x80000000, v125
.LBB114_763:
	s_and_not1_saveexec_b32 s1, s1
	s_cbranch_execz .LBB114_765
; %bb.764:
	s_delay_alu instid0(VALU_DEP_1) | instskip(SKIP_1) | instid1(VALU_DEP_2)
	v_div_scale_f32 v123, null, v124, v124, v125
	v_div_scale_f32 v133, vcc_lo, v125, v124, v125
	v_rcp_f32_e32 v131, v123
	v_nop
	s_delay_alu instid0(TRANS32_DEP_1) | instskip(NEXT) | instid1(VALU_DEP_1)
	v_fma_f32 v132, -v123, v131, 1.0
	v_fmac_f32_e32 v131, v132, v131
	s_delay_alu instid0(VALU_DEP_1) | instskip(NEXT) | instid1(VALU_DEP_1)
	v_mul_f32_e32 v132, v133, v131
	v_fma_f32 v134, -v123, v132, v133
	s_delay_alu instid0(VALU_DEP_1) | instskip(NEXT) | instid1(VALU_DEP_1)
	v_fmac_f32_e32 v132, v134, v131
	v_fma_f32 v123, -v123, v132, v133
	s_delay_alu instid0(VALU_DEP_1) | instskip(NEXT) | instid1(VALU_DEP_1)
	v_div_fmas_f32 v123, v123, v131, v132
	v_div_fixup_f32 v123, v123, v124, v125
	s_delay_alu instid0(VALU_DEP_1) | instskip(NEXT) | instid1(VALU_DEP_1)
	v_fmac_f32_e32 v124, v125, v123
	v_div_scale_f32 v125, null, v124, v124, 1.0
	s_delay_alu instid0(VALU_DEP_1) | instskip(SKIP_1) | instid1(TRANS32_DEP_1)
	v_rcp_f32_e32 v131, v125
	v_nop
	v_fma_f32 v132, -v125, v131, 1.0
	s_delay_alu instid0(VALU_DEP_1) | instskip(SKIP_1) | instid1(VALU_DEP_1)
	v_fmac_f32_e32 v131, v132, v131
	v_div_scale_f32 v132, vcc_lo, 1.0, v124, 1.0
	v_mul_f32_e32 v133, v132, v131
	s_delay_alu instid0(VALU_DEP_1) | instskip(NEXT) | instid1(VALU_DEP_1)
	v_fma_f32 v134, -v125, v133, v132
	v_fmac_f32_e32 v133, v134, v131
	s_delay_alu instid0(VALU_DEP_1) | instskip(NEXT) | instid1(VALU_DEP_1)
	v_fma_f32 v125, -v125, v133, v132
	v_div_fmas_f32 v125, v125, v131, v133
	s_delay_alu instid0(VALU_DEP_1) | instskip(NEXT) | instid1(VALU_DEP_1)
	v_div_fixup_f32 v124, v125, v124, 1.0
	v_mul_f32_e64 v125, v123, -v124
.LBB114_765:
	s_or_b32 exec_lo, exec_lo, s1
.LBB114_766:
	s_delay_alu instid0(SALU_CYCLE_1) | instskip(NEXT) | instid1(SALU_CYCLE_1)
	s_or_b32 exec_lo, exec_lo, s0
	s_mov_b32 s0, exec_lo
	v_cmpx_ne_u32_e64 v130, v122
	s_xor_b32 s0, exec_lo, s0
	s_cbranch_execz .LBB114_772
; %bb.767:
	s_mov_b32 s1, exec_lo
	v_cmpx_eq_u32_e32 36, v130
	s_cbranch_execz .LBB114_771
; %bb.768:
	v_cmp_ne_u32_e32 vcc_lo, 36, v122
	s_xor_b32 s12, s16, -1
	s_delay_alu instid0(SALU_CYCLE_1) | instskip(NEXT) | instid1(SALU_CYCLE_1)
	s_and_b32 s13, s12, vcc_lo
	s_and_saveexec_b32 s12, s13
	s_cbranch_execz .LBB114_770
; %bb.769:
	v_ashrrev_i32_e32 v123, 31, v122
	s_delay_alu instid0(VALU_DEP_1)
	v_lshl_add_u64 v[130:131], v[122:123], 2, v[4:5]
	s_clause 0x1
	global_load_b32 v123, v[130:131], off
	global_load_b32 v129, v[4:5], off offset:144
	s_wait_loadcnt 0x1
	global_store_b32 v[4:5], v123, off offset:144
	s_wait_loadcnt 0x0
	global_store_b32 v[130:131], v129, off
.LBB114_770:
	s_wait_xcnt 0x0
	s_or_b32 exec_lo, exec_lo, s12
	v_dual_mov_b32 v130, v122 :: v_dual_mov_b32 v129, v122
.LBB114_771:
	s_or_b32 exec_lo, exec_lo, s1
.LBB114_772:
	s_and_not1_saveexec_b32 s0, s0
	s_cbranch_execz .LBB114_774
; %bb.773:
	v_mov_b32_e32 v130, 36
	ds_store_2addr_b64 v126, v[32:33], v[34:35] offset0:37 offset1:38
	ds_store_2addr_b64 v126, v[30:31], v[90:91] offset0:39 offset1:40
	;; [unrolled: 1-line block ×10, first 2 shown]
	ds_store_b64 v126, v[120:121] offset:456
.LBB114_774:
	s_or_b32 exec_lo, exec_lo, s0
	s_delay_alu instid0(SALU_CYCLE_1)
	s_mov_b32 s0, exec_lo
	s_wait_storecnt_dscnt 0x0
	s_barrier_signal -1
	s_barrier_wait -1
	v_cmpx_lt_i32_e32 36, v130
	s_cbranch_execz .LBB114_776
; %bb.775:
	v_pk_mul_f32 v[132:133], v[124:125], v[92:93] op_sel:[1,1] op_sel_hi:[0,1]
	s_delay_alu instid0(VALU_DEP_1)
	v_pk_fma_f32 v[122:123], v[124:125], v[92:93], v[132:133] op_sel_hi:[1,0,1] neg_lo:[0,0,1] neg_hi:[0,0,1]
	v_pk_fma_f32 v[124:125], v[124:125], v[92:93], v[132:133] op_sel_hi:[1,0,1]
	ds_load_2addr_b64 v[132:135], v126 offset0:37 offset1:38
	v_dual_mov_b32 v92, v122 :: v_dual_mov_b32 v93, v125
	s_wait_dscnt 0x0
	v_pk_mul_f32 v[136:137], v[132:133], v[124:125] op_sel:[0,1]
	s_delay_alu instid0(VALU_DEP_1) | instskip(SKIP_1) | instid1(VALU_DEP_1)
	v_pk_fma_f32 v[138:139], v[132:133], v[122:123], v[136:137] op_sel:[0,0,1] op_sel_hi:[1,1,0] neg_lo:[0,0,1] neg_hi:[0,0,1]
	v_pk_fma_f32 v[132:133], v[132:133], v[122:123], v[136:137] op_sel:[0,0,1] op_sel_hi:[1,0,0]
	v_mov_b32_e32 v139, v133
	v_pk_mul_f32 v[132:133], v[134:135], v[124:125] op_sel:[0,1]
	s_delay_alu instid0(VALU_DEP_1) | instskip(SKIP_1) | instid1(VALU_DEP_1)
	v_pk_fma_f32 v[136:137], v[134:135], v[122:123], v[132:133] op_sel:[0,0,1] op_sel_hi:[1,1,0] neg_lo:[0,0,1] neg_hi:[0,0,1]
	v_pk_fma_f32 v[132:133], v[134:135], v[122:123], v[132:133] op_sel:[0,0,1] op_sel_hi:[1,0,0]
	v_mov_b32_e32 v137, v133
	ds_load_2addr_b64 v[132:135], v126 offset0:39 offset1:40
	v_pk_add_f32 v[32:33], v[32:33], v[138:139] neg_lo:[0,1] neg_hi:[0,1]
	v_pk_add_f32 v[34:35], v[34:35], v[136:137] neg_lo:[0,1] neg_hi:[0,1]
	s_wait_dscnt 0x0
	v_pk_mul_f32 v[136:137], v[132:133], v[124:125] op_sel:[0,1]
	s_delay_alu instid0(VALU_DEP_1) | instskip(SKIP_2) | instid1(VALU_DEP_2)
	v_pk_fma_f32 v[138:139], v[132:133], v[122:123], v[136:137] op_sel:[0,0,1] op_sel_hi:[1,1,0] neg_lo:[0,0,1] neg_hi:[0,0,1]
	v_pk_fma_f32 v[132:133], v[132:133], v[122:123], v[136:137] op_sel:[0,0,1] op_sel_hi:[1,0,0]
	v_dual_mul_f32 v136, v135, v125 :: v_dual_mov_b32 v132, v135
	v_dual_mov_b32 v139, v133 :: v_dual_mov_b32 v133, v134
	s_delay_alu instid0(VALU_DEP_2) | instskip(SKIP_1) | instid1(VALU_DEP_3)
	v_pk_fma_f32 v[136:137], v[134:135], v[92:93], v[136:137] op_sel_hi:[1,1,0] neg_lo:[0,0,1] neg_hi:[0,0,1]
	v_mul_f32_e32 v134, v135, v122
	v_pk_add_f32 v[30:31], v[30:31], v[138:139] neg_lo:[0,1] neg_hi:[0,1]
	s_delay_alu instid0(VALU_DEP_2) | instskip(NEXT) | instid1(VALU_DEP_1)
	v_pk_fma_f32 v[132:133], v[132:133], v[92:93], v[134:135] op_sel_hi:[1,1,0]
	v_mov_b32_e32 v137, v133
	ds_load_2addr_b64 v[132:135], v126 offset0:41 offset1:42
	v_pk_add_f32 v[90:91], v[90:91], v[136:137] neg_lo:[0,1] neg_hi:[0,1]
	s_wait_dscnt 0x0
	v_pk_mul_f32 v[136:137], v[132:133], v[124:125] op_sel:[0,1]
	s_delay_alu instid0(VALU_DEP_1) | instskip(SKIP_1) | instid1(VALU_DEP_1)
	v_pk_fma_f32 v[138:139], v[132:133], v[122:123], v[136:137] op_sel:[0,0,1] op_sel_hi:[1,1,0] neg_lo:[0,0,1] neg_hi:[0,0,1]
	v_pk_fma_f32 v[132:133], v[132:133], v[122:123], v[136:137] op_sel:[0,0,1] op_sel_hi:[1,0,0]
	v_mov_b32_e32 v139, v133
	v_pk_mul_f32 v[132:133], v[134:135], v[124:125] op_sel:[0,1]
	s_delay_alu instid0(VALU_DEP_1) | instskip(SKIP_1) | instid1(VALU_DEP_1)
	v_pk_fma_f32 v[136:137], v[134:135], v[122:123], v[132:133] op_sel:[0,0,1] op_sel_hi:[1,1,0] neg_lo:[0,0,1] neg_hi:[0,0,1]
	v_pk_fma_f32 v[132:133], v[134:135], v[122:123], v[132:133] op_sel:[0,0,1] op_sel_hi:[1,0,0]
	v_mov_b32_e32 v137, v133
	ds_load_2addr_b64 v[132:135], v126 offset0:43 offset1:44
	v_pk_add_f32 v[24:25], v[24:25], v[138:139] neg_lo:[0,1] neg_hi:[0,1]
	v_pk_add_f32 v[26:27], v[26:27], v[136:137] neg_lo:[0,1] neg_hi:[0,1]
	s_wait_dscnt 0x0
	v_pk_mul_f32 v[136:137], v[132:133], v[124:125] op_sel:[0,1]
	s_delay_alu instid0(VALU_DEP_1) | instskip(SKIP_1) | instid1(VALU_DEP_1)
	v_pk_fma_f32 v[138:139], v[132:133], v[122:123], v[136:137] op_sel:[0,0,1] op_sel_hi:[1,1,0] neg_lo:[0,0,1] neg_hi:[0,0,1]
	v_pk_fma_f32 v[132:133], v[132:133], v[122:123], v[136:137] op_sel:[0,0,1] op_sel_hi:[1,0,0]
	v_mov_b32_e32 v139, v133
	v_pk_mul_f32 v[132:133], v[134:135], v[124:125] op_sel:[0,1]
	s_delay_alu instid0(VALU_DEP_1) | instskip(SKIP_1) | instid1(VALU_DEP_1)
	v_pk_fma_f32 v[136:137], v[134:135], v[122:123], v[132:133] op_sel:[0,0,1] op_sel_hi:[1,1,0] neg_lo:[0,0,1] neg_hi:[0,0,1]
	v_pk_fma_f32 v[132:133], v[134:135], v[122:123], v[132:133] op_sel:[0,0,1] op_sel_hi:[1,0,0]
	v_mov_b32_e32 v137, v133
	ds_load_2addr_b64 v[132:135], v126 offset0:45 offset1:46
	v_pk_add_f32 v[22:23], v[22:23], v[138:139] neg_lo:[0,1] neg_hi:[0,1]
	v_pk_add_f32 v[88:89], v[88:89], v[136:137] neg_lo:[0,1] neg_hi:[0,1]
	s_wait_dscnt 0x0
	v_dual_mul_f32 v136, v133, v125 :: v_dual_mul_f32 v138, v133, v122
	s_delay_alu instid0(VALU_DEP_1) | instskip(NEXT) | instid1(VALU_DEP_2)
	v_pk_fma_f32 v[136:137], v[132:133], v[92:93], v[136:137] op_sel_hi:[1,1,0] neg_lo:[0,0,1] neg_hi:[0,0,1]
	v_pk_fma_f32 v[132:133], v[132:133], v[92:93], v[138:139] op_sel:[1,0,0] op_sel_hi:[0,1,0]
	s_delay_alu instid0(VALU_DEP_1) | instskip(SKIP_1) | instid1(VALU_DEP_2)
	v_mov_b32_e32 v137, v133
	v_pk_mul_f32 v[132:133], v[134:135], v[124:125] op_sel:[0,1]
	v_pk_add_f32 v[18:19], v[18:19], v[136:137] neg_lo:[0,1] neg_hi:[0,1]
	s_delay_alu instid0(VALU_DEP_2) | instskip(SKIP_1) | instid1(VALU_DEP_1)
	v_pk_fma_f32 v[136:137], v[134:135], v[122:123], v[132:133] op_sel:[0,0,1] op_sel_hi:[1,1,0] neg_lo:[0,0,1] neg_hi:[0,0,1]
	v_pk_fma_f32 v[132:133], v[134:135], v[122:123], v[132:133] op_sel:[0,0,1] op_sel_hi:[1,0,0]
	v_mov_b32_e32 v137, v133
	ds_load_2addr_b64 v[132:135], v126 offset0:47 offset1:48
	v_pk_add_f32 v[20:21], v[20:21], v[136:137] neg_lo:[0,1] neg_hi:[0,1]
	s_wait_dscnt 0x0
	v_pk_mul_f32 v[136:137], v[132:133], v[124:125] op_sel:[0,1]
	s_delay_alu instid0(VALU_DEP_1) | instskip(SKIP_1) | instid1(VALU_DEP_1)
	v_pk_fma_f32 v[138:139], v[132:133], v[122:123], v[136:137] op_sel:[0,0,1] op_sel_hi:[1,1,0] neg_lo:[0,0,1] neg_hi:[0,0,1]
	v_pk_fma_f32 v[132:133], v[132:133], v[122:123], v[136:137] op_sel:[0,0,1] op_sel_hi:[1,0,0]
	v_mov_b32_e32 v139, v133
	v_pk_mul_f32 v[132:133], v[134:135], v[124:125] op_sel:[0,1]
	s_delay_alu instid0(VALU_DEP_2) | instskip(NEXT) | instid1(VALU_DEP_2)
	v_pk_add_f32 v[16:17], v[16:17], v[138:139] neg_lo:[0,1] neg_hi:[0,1]
	v_pk_fma_f32 v[136:137], v[134:135], v[122:123], v[132:133] op_sel:[0,0,1] op_sel_hi:[1,1,0] neg_lo:[0,0,1] neg_hi:[0,0,1]
	v_pk_fma_f32 v[132:133], v[134:135], v[122:123], v[132:133] op_sel:[0,0,1] op_sel_hi:[1,0,0]
	s_delay_alu instid0(VALU_DEP_1) | instskip(SKIP_4) | instid1(VALU_DEP_1)
	v_mov_b32_e32 v137, v133
	ds_load_2addr_b64 v[132:135], v126 offset0:49 offset1:50
	v_pk_add_f32 v[84:85], v[84:85], v[136:137] neg_lo:[0,1] neg_hi:[0,1]
	s_wait_dscnt 0x0
	v_pk_mul_f32 v[136:137], v[132:133], v[124:125] op_sel:[0,1]
	v_pk_fma_f32 v[138:139], v[132:133], v[122:123], v[136:137] op_sel:[0,0,1] op_sel_hi:[1,1,0] neg_lo:[0,0,1] neg_hi:[0,0,1]
	v_pk_fma_f32 v[132:133], v[132:133], v[122:123], v[136:137] op_sel:[0,0,1] op_sel_hi:[1,0,0]
	v_dual_mul_f32 v136, v135, v125 :: v_dual_mov_b32 v132, v135
	s_delay_alu instid0(VALU_DEP_2) | instskip(NEXT) | instid1(VALU_DEP_2)
	v_dual_mov_b32 v139, v133 :: v_dual_mov_b32 v133, v134
	v_pk_fma_f32 v[136:137], v[134:135], v[92:93], v[136:137] op_sel_hi:[1,1,0] neg_lo:[0,0,1] neg_hi:[0,0,1]
	v_mul_f32_e32 v134, v135, v122
	s_delay_alu instid0(VALU_DEP_3) | instskip(NEXT) | instid1(VALU_DEP_2)
	v_pk_add_f32 v[10:11], v[10:11], v[138:139] neg_lo:[0,1] neg_hi:[0,1]
	v_pk_fma_f32 v[132:133], v[132:133], v[92:93], v[134:135] op_sel_hi:[1,1,0]
	s_delay_alu instid0(VALU_DEP_1) | instskip(SKIP_4) | instid1(VALU_DEP_1)
	v_mov_b32_e32 v137, v133
	ds_load_2addr_b64 v[132:135], v126 offset0:51 offset1:52
	v_pk_add_f32 v[12:13], v[12:13], v[136:137] neg_lo:[0,1] neg_hi:[0,1]
	s_wait_dscnt 0x0
	v_pk_mul_f32 v[136:137], v[132:133], v[124:125] op_sel:[0,1]
	v_pk_fma_f32 v[138:139], v[132:133], v[122:123], v[136:137] op_sel:[0,0,1] op_sel_hi:[1,1,0] neg_lo:[0,0,1] neg_hi:[0,0,1]
	v_pk_fma_f32 v[132:133], v[132:133], v[122:123], v[136:137] op_sel:[0,0,1] op_sel_hi:[1,0,0]
	s_delay_alu instid0(VALU_DEP_1) | instskip(SKIP_1) | instid1(VALU_DEP_1)
	v_mov_b32_e32 v139, v133
	v_pk_mul_f32 v[132:133], v[134:135], v[124:125] op_sel:[0,1]
	v_pk_fma_f32 v[136:137], v[134:135], v[122:123], v[132:133] op_sel:[0,0,1] op_sel_hi:[1,1,0] neg_lo:[0,0,1] neg_hi:[0,0,1]
	v_pk_fma_f32 v[132:133], v[134:135], v[122:123], v[132:133] op_sel:[0,0,1] op_sel_hi:[1,0,0]
	s_delay_alu instid0(VALU_DEP_1)
	v_mov_b32_e32 v137, v133
	ds_load_2addr_b64 v[132:135], v126 offset0:53 offset1:54
	v_pk_add_f32 v[8:9], v[8:9], v[138:139] neg_lo:[0,1] neg_hi:[0,1]
	v_pk_add_f32 v[60:61], v[60:61], v[136:137] neg_lo:[0,1] neg_hi:[0,1]
	s_wait_dscnt 0x0
	v_pk_mul_f32 v[136:137], v[132:133], v[124:125] op_sel:[0,1]
	s_delay_alu instid0(VALU_DEP_1) | instskip(SKIP_1) | instid1(VALU_DEP_1)
	v_pk_fma_f32 v[138:139], v[132:133], v[122:123], v[136:137] op_sel:[0,0,1] op_sel_hi:[1,1,0] neg_lo:[0,0,1] neg_hi:[0,0,1]
	v_pk_fma_f32 v[132:133], v[132:133], v[122:123], v[136:137] op_sel:[0,0,1] op_sel_hi:[1,0,0]
	v_mov_b32_e32 v139, v133
	v_pk_mul_f32 v[132:133], v[134:135], v[124:125] op_sel:[0,1]
	s_delay_alu instid0(VALU_DEP_1) | instskip(SKIP_1) | instid1(VALU_DEP_1)
	v_pk_fma_f32 v[136:137], v[134:135], v[122:123], v[132:133] op_sel:[0,0,1] op_sel_hi:[1,1,0] neg_lo:[0,0,1] neg_hi:[0,0,1]
	v_pk_fma_f32 v[132:133], v[134:135], v[122:123], v[132:133] op_sel:[0,0,1] op_sel_hi:[1,0,0]
	v_mov_b32_e32 v137, v133
	ds_load_2addr_b64 v[132:135], v126 offset0:55 offset1:56
	v_pk_add_f32 v[6:7], v[6:7], v[138:139] neg_lo:[0,1] neg_hi:[0,1]
	v_pk_add_f32 v[42:43], v[42:43], v[136:137] neg_lo:[0,1] neg_hi:[0,1]
	s_wait_dscnt 0x0
	v_dual_mul_f32 v136, v133, v125 :: v_dual_mul_f32 v138, v133, v122
	s_delay_alu instid0(VALU_DEP_1) | instskip(NEXT) | instid1(VALU_DEP_2)
	v_pk_fma_f32 v[136:137], v[132:133], v[92:93], v[136:137] op_sel_hi:[1,1,0] neg_lo:[0,0,1] neg_hi:[0,0,1]
	v_pk_fma_f32 v[132:133], v[132:133], v[92:93], v[138:139] op_sel:[1,0,0] op_sel_hi:[0,1,0]
	s_delay_alu instid0(VALU_DEP_1) | instskip(SKIP_1) | instid1(VALU_DEP_2)
	v_mov_b32_e32 v137, v133
	v_pk_mul_f32 v[132:133], v[134:135], v[124:125] op_sel:[0,1]
	v_pk_add_f32 v[28:29], v[28:29], v[136:137] neg_lo:[0,1] neg_hi:[0,1]
	s_delay_alu instid0(VALU_DEP_2) | instskip(SKIP_1) | instid1(VALU_DEP_1)
	v_pk_fma_f32 v[136:137], v[134:135], v[122:123], v[132:133] op_sel:[0,0,1] op_sel_hi:[1,1,0] neg_lo:[0,0,1] neg_hi:[0,0,1]
	v_pk_fma_f32 v[132:133], v[134:135], v[122:123], v[132:133] op_sel:[0,0,1] op_sel_hi:[1,0,0]
	v_mov_b32_e32 v137, v133
	ds_load_b64 v[132:133], v126 offset:456
	v_pk_add_f32 v[14:15], v[14:15], v[136:137] neg_lo:[0,1] neg_hi:[0,1]
	s_wait_dscnt 0x0
	v_pk_mul_f32 v[124:125], v[132:133], v[124:125] op_sel:[0,1]
	s_delay_alu instid0(VALU_DEP_1) | instskip(SKIP_1) | instid1(VALU_DEP_1)
	v_pk_fma_f32 v[134:135], v[132:133], v[122:123], v[124:125] op_sel:[0,0,1] op_sel_hi:[1,1,0] neg_lo:[0,0,1] neg_hi:[0,0,1]
	v_pk_fma_f32 v[122:123], v[132:133], v[122:123], v[124:125] op_sel:[0,0,1] op_sel_hi:[1,0,0]
	v_mov_b32_e32 v135, v123
	s_delay_alu instid0(VALU_DEP_1)
	v_pk_add_f32 v[120:121], v[120:121], v[134:135] neg_lo:[0,1] neg_hi:[0,1]
.LBB114_776:
	s_or_b32 exec_lo, exec_lo, s0
	v_lshl_add_u32 v122, v130, 3, v126
	s_barrier_signal -1
	s_barrier_wait -1
	ds_store_b64 v122, v[32:33]
	s_wait_dscnt 0x0
	s_barrier_signal -1
	s_barrier_wait -1
	ds_load_b64 v[124:125], v126 offset:296
	v_mov_b32_e32 v122, 37
	s_cmp_lt_i32 s18, 39
	s_cbranch_scc1 .LBB114_779
; %bb.777:
	v_add3_u32 v123, v127, 0, 0x130
	v_mov_b32_e32 v122, 37
	s_mov_b32 s0, 38
.LBB114_778:                            ; =>This Inner Loop Header: Depth=1
	ds_load_b64 v[132:133], v123
	s_wait_dscnt 0x1
	v_cmp_gt_f32_e32 vcc_lo, 0, v124
	v_cndmask_b32_e64 v134, v124, -v124, vcc_lo
	v_cmp_gt_f32_e32 vcc_lo, 0, v125
	v_cndmask_b32_e64 v136, v125, -v125, vcc_lo
	s_wait_dscnt 0x0
	v_cmp_gt_f32_e32 vcc_lo, 0, v132
	v_cndmask_b32_e64 v135, v132, -v132, vcc_lo
	v_cmp_gt_f32_e32 vcc_lo, 0, v133
	v_cndmask_b32_e64 v137, v133, -v133, vcc_lo
	s_delay_alu instid0(VALU_DEP_1) | instskip(NEXT) | instid1(VALU_DEP_1)
	v_pk_add_f32 v[134:135], v[134:135], v[136:137]
	v_cmp_lt_f32_e32 vcc_lo, v134, v135
	v_dual_add_nc_u32 v123, 8, v123 :: v_dual_cndmask_b32 v125, v125, v133, vcc_lo
	v_cndmask_b32_e32 v124, v124, v132, vcc_lo
	v_cndmask_b32_e64 v122, v122, s0, vcc_lo
	s_add_co_i32 s0, s0, 1
	s_delay_alu instid0(SALU_CYCLE_1)
	s_cmp_lg_u32 s18, s0
	s_cbranch_scc1 .LBB114_778
.LBB114_779:
	s_wait_dscnt 0x0
	v_cmp_eq_f32_e32 vcc_lo, 0, v124
	v_cmp_eq_f32_e64 s0, 0, v125
	s_and_b32 s0, vcc_lo, s0
	s_delay_alu instid0(SALU_CYCLE_1) | instskip(NEXT) | instid1(SALU_CYCLE_1)
	s_and_saveexec_b32 s1, s0
	s_xor_b32 s0, exec_lo, s1
; %bb.780:
	v_cmp_ne_u32_e32 vcc_lo, 0, v128
	v_cndmask_b32_e32 v128, 38, v128, vcc_lo
; %bb.781:
	s_and_not1_saveexec_b32 s0, s0
	s_cbranch_execz .LBB114_787
; %bb.782:
	v_cmp_ngt_f32_e64 s1, |v124|, |v125|
	s_and_saveexec_b32 s12, s1
	s_delay_alu instid0(SALU_CYCLE_1)
	s_xor_b32 s1, exec_lo, s12
	s_cbranch_execz .LBB114_784
; %bb.783:
	v_div_scale_f32 v123, null, v125, v125, v124
	v_div_scale_f32 v133, vcc_lo, v124, v125, v124
	s_delay_alu instid0(VALU_DEP_2) | instskip(SKIP_1) | instid1(TRANS32_DEP_1)
	v_rcp_f32_e32 v131, v123
	v_nop
	v_fma_f32 v132, -v123, v131, 1.0
	s_delay_alu instid0(VALU_DEP_1) | instskip(NEXT) | instid1(VALU_DEP_1)
	v_fmac_f32_e32 v131, v132, v131
	v_mul_f32_e32 v132, v133, v131
	s_delay_alu instid0(VALU_DEP_1) | instskip(NEXT) | instid1(VALU_DEP_1)
	v_fma_f32 v134, -v123, v132, v133
	v_fmac_f32_e32 v132, v134, v131
	s_delay_alu instid0(VALU_DEP_1) | instskip(NEXT) | instid1(VALU_DEP_1)
	v_fma_f32 v123, -v123, v132, v133
	v_div_fmas_f32 v123, v123, v131, v132
	s_delay_alu instid0(VALU_DEP_1) | instskip(NEXT) | instid1(VALU_DEP_1)
	v_div_fixup_f32 v123, v123, v125, v124
	v_fmac_f32_e32 v125, v124, v123
	s_delay_alu instid0(VALU_DEP_1) | instskip(SKIP_1) | instid1(VALU_DEP_2)
	v_div_scale_f32 v124, null, v125, v125, 1.0
	v_div_scale_f32 v133, vcc_lo, 1.0, v125, 1.0
	v_rcp_f32_e32 v131, v124
	v_nop
	s_delay_alu instid0(TRANS32_DEP_1) | instskip(NEXT) | instid1(VALU_DEP_1)
	v_fma_f32 v132, -v124, v131, 1.0
	v_fmac_f32_e32 v131, v132, v131
	s_delay_alu instid0(VALU_DEP_1) | instskip(NEXT) | instid1(VALU_DEP_1)
	v_mul_f32_e32 v132, v133, v131
	v_fma_f32 v134, -v124, v132, v133
	s_delay_alu instid0(VALU_DEP_1) | instskip(NEXT) | instid1(VALU_DEP_1)
	v_fmac_f32_e32 v132, v134, v131
	v_fma_f32 v124, -v124, v132, v133
	s_delay_alu instid0(VALU_DEP_1) | instskip(NEXT) | instid1(VALU_DEP_1)
	v_div_fmas_f32 v124, v124, v131, v132
	v_div_fixup_f32 v125, v124, v125, 1.0
	s_delay_alu instid0(VALU_DEP_1)
	v_mul_f32_e32 v124, v123, v125
	v_xor_b32_e32 v125, 0x80000000, v125
.LBB114_784:
	s_and_not1_saveexec_b32 s1, s1
	s_cbranch_execz .LBB114_786
; %bb.785:
	s_delay_alu instid0(VALU_DEP_1) | instskip(SKIP_1) | instid1(VALU_DEP_2)
	v_div_scale_f32 v123, null, v124, v124, v125
	v_div_scale_f32 v133, vcc_lo, v125, v124, v125
	v_rcp_f32_e32 v131, v123
	v_nop
	s_delay_alu instid0(TRANS32_DEP_1) | instskip(NEXT) | instid1(VALU_DEP_1)
	v_fma_f32 v132, -v123, v131, 1.0
	v_fmac_f32_e32 v131, v132, v131
	s_delay_alu instid0(VALU_DEP_1) | instskip(NEXT) | instid1(VALU_DEP_1)
	v_mul_f32_e32 v132, v133, v131
	v_fma_f32 v134, -v123, v132, v133
	s_delay_alu instid0(VALU_DEP_1) | instskip(NEXT) | instid1(VALU_DEP_1)
	v_fmac_f32_e32 v132, v134, v131
	v_fma_f32 v123, -v123, v132, v133
	s_delay_alu instid0(VALU_DEP_1) | instskip(NEXT) | instid1(VALU_DEP_1)
	v_div_fmas_f32 v123, v123, v131, v132
	v_div_fixup_f32 v123, v123, v124, v125
	s_delay_alu instid0(VALU_DEP_1) | instskip(NEXT) | instid1(VALU_DEP_1)
	v_fmac_f32_e32 v124, v125, v123
	v_div_scale_f32 v125, null, v124, v124, 1.0
	s_delay_alu instid0(VALU_DEP_1) | instskip(SKIP_1) | instid1(TRANS32_DEP_1)
	v_rcp_f32_e32 v131, v125
	v_nop
	v_fma_f32 v132, -v125, v131, 1.0
	s_delay_alu instid0(VALU_DEP_1) | instskip(SKIP_1) | instid1(VALU_DEP_1)
	v_fmac_f32_e32 v131, v132, v131
	v_div_scale_f32 v132, vcc_lo, 1.0, v124, 1.0
	v_mul_f32_e32 v133, v132, v131
	s_delay_alu instid0(VALU_DEP_1) | instskip(NEXT) | instid1(VALU_DEP_1)
	v_fma_f32 v134, -v125, v133, v132
	v_fmac_f32_e32 v133, v134, v131
	s_delay_alu instid0(VALU_DEP_1) | instskip(NEXT) | instid1(VALU_DEP_1)
	v_fma_f32 v125, -v125, v133, v132
	v_div_fmas_f32 v125, v125, v131, v133
	s_delay_alu instid0(VALU_DEP_1) | instskip(NEXT) | instid1(VALU_DEP_1)
	v_div_fixup_f32 v124, v125, v124, 1.0
	v_mul_f32_e64 v125, v123, -v124
.LBB114_786:
	s_or_b32 exec_lo, exec_lo, s1
.LBB114_787:
	s_delay_alu instid0(SALU_CYCLE_1) | instskip(NEXT) | instid1(SALU_CYCLE_1)
	s_or_b32 exec_lo, exec_lo, s0
	s_mov_b32 s0, exec_lo
	v_cmpx_ne_u32_e64 v130, v122
	s_xor_b32 s0, exec_lo, s0
	s_cbranch_execz .LBB114_793
; %bb.788:
	s_mov_b32 s1, exec_lo
	v_cmpx_eq_u32_e32 37, v130
	s_cbranch_execz .LBB114_792
; %bb.789:
	v_cmp_ne_u32_e32 vcc_lo, 37, v122
	s_xor_b32 s12, s16, -1
	s_delay_alu instid0(SALU_CYCLE_1) | instskip(NEXT) | instid1(SALU_CYCLE_1)
	s_and_b32 s13, s12, vcc_lo
	s_and_saveexec_b32 s12, s13
	s_cbranch_execz .LBB114_791
; %bb.790:
	v_ashrrev_i32_e32 v123, 31, v122
	s_delay_alu instid0(VALU_DEP_1)
	v_lshl_add_u64 v[130:131], v[122:123], 2, v[4:5]
	s_clause 0x1
	global_load_b32 v123, v[130:131], off
	global_load_b32 v129, v[4:5], off offset:148
	s_wait_loadcnt 0x1
	global_store_b32 v[4:5], v123, off offset:148
	s_wait_loadcnt 0x0
	global_store_b32 v[130:131], v129, off
.LBB114_791:
	s_wait_xcnt 0x0
	s_or_b32 exec_lo, exec_lo, s12
	v_dual_mov_b32 v130, v122 :: v_dual_mov_b32 v129, v122
.LBB114_792:
	s_or_b32 exec_lo, exec_lo, s1
.LBB114_793:
	s_and_not1_saveexec_b32 s0, s0
	s_cbranch_execz .LBB114_795
; %bb.794:
	v_dual_mov_b32 v122, v34 :: v_dual_mov_b32 v123, v35
	v_dual_mov_b32 v130, v30 :: v_dual_mov_b32 v131, v31
	ds_store_2addr_b64 v126, v[122:123], v[130:131] offset0:38 offset1:39
	v_dual_mov_b32 v122, v90 :: v_dual_mov_b32 v123, v91
	v_dual_mov_b32 v130, v24 :: v_dual_mov_b32 v131, v25
	ds_store_2addr_b64 v126, v[122:123], v[130:131] offset0:40 offset1:41
	;; [unrolled: 3-line block ×9, first 2 shown]
	v_dual_mov_b32 v122, v14 :: v_dual_mov_b32 v123, v15
	v_mov_b32_e32 v130, 37
	ds_store_2addr_b64 v126, v[122:123], v[120:121] offset0:56 offset1:57
.LBB114_795:
	s_or_b32 exec_lo, exec_lo, s0
	s_delay_alu instid0(SALU_CYCLE_1)
	s_mov_b32 s0, exec_lo
	s_wait_storecnt_dscnt 0x0
	s_barrier_signal -1
	s_barrier_wait -1
	v_cmpx_lt_i32_e32 37, v130
	s_cbranch_execz .LBB114_797
; %bb.796:
	v_pk_mul_f32 v[132:133], v[124:125], v[32:33] op_sel:[1,1] op_sel_hi:[0,1]
	s_delay_alu instid0(VALU_DEP_1)
	v_pk_fma_f32 v[122:123], v[124:125], v[32:33], v[132:133] op_sel_hi:[1,0,1] neg_lo:[0,0,1] neg_hi:[0,0,1]
	v_pk_fma_f32 v[124:125], v[124:125], v[32:33], v[132:133] op_sel_hi:[1,0,1]
	ds_load_2addr_b64 v[132:135], v126 offset0:38 offset1:39
	v_dual_mov_b32 v32, v122 :: v_dual_mov_b32 v33, v125
	s_wait_dscnt 0x0
	v_pk_mul_f32 v[136:137], v[132:133], v[124:125] op_sel:[0,1]
	s_delay_alu instid0(VALU_DEP_1) | instskip(SKIP_1) | instid1(VALU_DEP_1)
	v_pk_fma_f32 v[138:139], v[132:133], v[122:123], v[136:137] op_sel:[0,0,1] op_sel_hi:[1,1,0] neg_lo:[0,0,1] neg_hi:[0,0,1]
	v_pk_fma_f32 v[132:133], v[132:133], v[122:123], v[136:137] op_sel:[0,0,1] op_sel_hi:[1,0,0]
	v_mov_b32_e32 v139, v133
	v_pk_mul_f32 v[132:133], v[134:135], v[124:125] op_sel:[0,1]
	s_delay_alu instid0(VALU_DEP_1) | instskip(SKIP_1) | instid1(VALU_DEP_1)
	v_pk_fma_f32 v[136:137], v[134:135], v[122:123], v[132:133] op_sel:[0,0,1] op_sel_hi:[1,1,0] neg_lo:[0,0,1] neg_hi:[0,0,1]
	v_pk_fma_f32 v[132:133], v[134:135], v[122:123], v[132:133] op_sel:[0,0,1] op_sel_hi:[1,0,0]
	v_mov_b32_e32 v137, v133
	ds_load_2addr_b64 v[132:135], v126 offset0:40 offset1:41
	v_pk_add_f32 v[34:35], v[34:35], v[138:139] neg_lo:[0,1] neg_hi:[0,1]
	v_pk_add_f32 v[30:31], v[30:31], v[136:137] neg_lo:[0,1] neg_hi:[0,1]
	s_wait_dscnt 0x0
	v_pk_mul_f32 v[136:137], v[132:133], v[124:125] op_sel:[0,1]
	s_delay_alu instid0(VALU_DEP_1) | instskip(SKIP_2) | instid1(VALU_DEP_2)
	v_pk_fma_f32 v[138:139], v[132:133], v[122:123], v[136:137] op_sel:[0,0,1] op_sel_hi:[1,1,0] neg_lo:[0,0,1] neg_hi:[0,0,1]
	v_pk_fma_f32 v[132:133], v[132:133], v[122:123], v[136:137] op_sel:[0,0,1] op_sel_hi:[1,0,0]
	v_dual_mul_f32 v136, v135, v125 :: v_dual_mov_b32 v132, v135
	v_dual_mov_b32 v139, v133 :: v_dual_mov_b32 v133, v134
	s_delay_alu instid0(VALU_DEP_2) | instskip(SKIP_1) | instid1(VALU_DEP_3)
	v_pk_fma_f32 v[136:137], v[134:135], v[32:33], v[136:137] op_sel_hi:[1,1,0] neg_lo:[0,0,1] neg_hi:[0,0,1]
	v_mul_f32_e32 v134, v135, v122
	v_pk_add_f32 v[90:91], v[90:91], v[138:139] neg_lo:[0,1] neg_hi:[0,1]
	s_delay_alu instid0(VALU_DEP_2) | instskip(NEXT) | instid1(VALU_DEP_1)
	v_pk_fma_f32 v[132:133], v[132:133], v[32:33], v[134:135] op_sel_hi:[1,1,0]
	v_mov_b32_e32 v137, v133
	ds_load_2addr_b64 v[132:135], v126 offset0:42 offset1:43
	v_pk_add_f32 v[24:25], v[24:25], v[136:137] neg_lo:[0,1] neg_hi:[0,1]
	s_wait_dscnt 0x0
	v_pk_mul_f32 v[136:137], v[132:133], v[124:125] op_sel:[0,1]
	s_delay_alu instid0(VALU_DEP_1) | instskip(SKIP_1) | instid1(VALU_DEP_1)
	v_pk_fma_f32 v[138:139], v[132:133], v[122:123], v[136:137] op_sel:[0,0,1] op_sel_hi:[1,1,0] neg_lo:[0,0,1] neg_hi:[0,0,1]
	v_pk_fma_f32 v[132:133], v[132:133], v[122:123], v[136:137] op_sel:[0,0,1] op_sel_hi:[1,0,0]
	v_mov_b32_e32 v139, v133
	v_pk_mul_f32 v[132:133], v[134:135], v[124:125] op_sel:[0,1]
	s_delay_alu instid0(VALU_DEP_1) | instskip(SKIP_1) | instid1(VALU_DEP_1)
	v_pk_fma_f32 v[136:137], v[134:135], v[122:123], v[132:133] op_sel:[0,0,1] op_sel_hi:[1,1,0] neg_lo:[0,0,1] neg_hi:[0,0,1]
	v_pk_fma_f32 v[132:133], v[134:135], v[122:123], v[132:133] op_sel:[0,0,1] op_sel_hi:[1,0,0]
	v_mov_b32_e32 v137, v133
	ds_load_2addr_b64 v[132:135], v126 offset0:44 offset1:45
	v_pk_add_f32 v[26:27], v[26:27], v[138:139] neg_lo:[0,1] neg_hi:[0,1]
	v_pk_add_f32 v[22:23], v[22:23], v[136:137] neg_lo:[0,1] neg_hi:[0,1]
	s_wait_dscnt 0x0
	v_pk_mul_f32 v[136:137], v[132:133], v[124:125] op_sel:[0,1]
	s_delay_alu instid0(VALU_DEP_1) | instskip(SKIP_1) | instid1(VALU_DEP_1)
	v_pk_fma_f32 v[138:139], v[132:133], v[122:123], v[136:137] op_sel:[0,0,1] op_sel_hi:[1,1,0] neg_lo:[0,0,1] neg_hi:[0,0,1]
	v_pk_fma_f32 v[132:133], v[132:133], v[122:123], v[136:137] op_sel:[0,0,1] op_sel_hi:[1,0,0]
	v_mov_b32_e32 v139, v133
	v_pk_mul_f32 v[132:133], v[134:135], v[124:125] op_sel:[0,1]
	s_delay_alu instid0(VALU_DEP_1) | instskip(SKIP_1) | instid1(VALU_DEP_1)
	v_pk_fma_f32 v[136:137], v[134:135], v[122:123], v[132:133] op_sel:[0,0,1] op_sel_hi:[1,1,0] neg_lo:[0,0,1] neg_hi:[0,0,1]
	v_pk_fma_f32 v[132:133], v[134:135], v[122:123], v[132:133] op_sel:[0,0,1] op_sel_hi:[1,0,0]
	v_mov_b32_e32 v137, v133
	ds_load_2addr_b64 v[132:135], v126 offset0:46 offset1:47
	v_pk_add_f32 v[88:89], v[88:89], v[138:139] neg_lo:[0,1] neg_hi:[0,1]
	v_pk_add_f32 v[18:19], v[18:19], v[136:137] neg_lo:[0,1] neg_hi:[0,1]
	s_wait_dscnt 0x0
	v_dual_mul_f32 v136, v133, v125 :: v_dual_mul_f32 v138, v133, v122
	s_delay_alu instid0(VALU_DEP_1) | instskip(NEXT) | instid1(VALU_DEP_2)
	v_pk_fma_f32 v[136:137], v[132:133], v[32:33], v[136:137] op_sel_hi:[1,1,0] neg_lo:[0,0,1] neg_hi:[0,0,1]
	v_pk_fma_f32 v[132:133], v[132:133], v[32:33], v[138:139] op_sel:[1,0,0] op_sel_hi:[0,1,0]
	s_delay_alu instid0(VALU_DEP_1) | instskip(SKIP_1) | instid1(VALU_DEP_2)
	v_mov_b32_e32 v137, v133
	v_pk_mul_f32 v[132:133], v[134:135], v[124:125] op_sel:[0,1]
	v_pk_add_f32 v[20:21], v[20:21], v[136:137] neg_lo:[0,1] neg_hi:[0,1]
	s_delay_alu instid0(VALU_DEP_2) | instskip(SKIP_1) | instid1(VALU_DEP_1)
	v_pk_fma_f32 v[136:137], v[134:135], v[122:123], v[132:133] op_sel:[0,0,1] op_sel_hi:[1,1,0] neg_lo:[0,0,1] neg_hi:[0,0,1]
	v_pk_fma_f32 v[132:133], v[134:135], v[122:123], v[132:133] op_sel:[0,0,1] op_sel_hi:[1,0,0]
	v_mov_b32_e32 v137, v133
	ds_load_2addr_b64 v[132:135], v126 offset0:48 offset1:49
	v_pk_add_f32 v[16:17], v[16:17], v[136:137] neg_lo:[0,1] neg_hi:[0,1]
	s_wait_dscnt 0x0
	v_pk_mul_f32 v[136:137], v[132:133], v[124:125] op_sel:[0,1]
	s_delay_alu instid0(VALU_DEP_1) | instskip(SKIP_1) | instid1(VALU_DEP_1)
	v_pk_fma_f32 v[138:139], v[132:133], v[122:123], v[136:137] op_sel:[0,0,1] op_sel_hi:[1,1,0] neg_lo:[0,0,1] neg_hi:[0,0,1]
	v_pk_fma_f32 v[132:133], v[132:133], v[122:123], v[136:137] op_sel:[0,0,1] op_sel_hi:[1,0,0]
	v_mov_b32_e32 v139, v133
	v_pk_mul_f32 v[132:133], v[134:135], v[124:125] op_sel:[0,1]
	s_delay_alu instid0(VALU_DEP_2) | instskip(NEXT) | instid1(VALU_DEP_2)
	v_pk_add_f32 v[84:85], v[84:85], v[138:139] neg_lo:[0,1] neg_hi:[0,1]
	v_pk_fma_f32 v[136:137], v[134:135], v[122:123], v[132:133] op_sel:[0,0,1] op_sel_hi:[1,1,0] neg_lo:[0,0,1] neg_hi:[0,0,1]
	v_pk_fma_f32 v[132:133], v[134:135], v[122:123], v[132:133] op_sel:[0,0,1] op_sel_hi:[1,0,0]
	s_delay_alu instid0(VALU_DEP_1) | instskip(SKIP_4) | instid1(VALU_DEP_1)
	v_mov_b32_e32 v137, v133
	ds_load_2addr_b64 v[132:135], v126 offset0:50 offset1:51
	v_pk_add_f32 v[10:11], v[10:11], v[136:137] neg_lo:[0,1] neg_hi:[0,1]
	s_wait_dscnt 0x0
	v_pk_mul_f32 v[136:137], v[132:133], v[124:125] op_sel:[0,1]
	v_pk_fma_f32 v[138:139], v[132:133], v[122:123], v[136:137] op_sel:[0,0,1] op_sel_hi:[1,1,0] neg_lo:[0,0,1] neg_hi:[0,0,1]
	v_pk_fma_f32 v[132:133], v[132:133], v[122:123], v[136:137] op_sel:[0,0,1] op_sel_hi:[1,0,0]
	v_dual_mul_f32 v136, v135, v125 :: v_dual_mov_b32 v132, v135
	s_delay_alu instid0(VALU_DEP_2) | instskip(NEXT) | instid1(VALU_DEP_2)
	v_dual_mov_b32 v139, v133 :: v_dual_mov_b32 v133, v134
	v_pk_fma_f32 v[136:137], v[134:135], v[32:33], v[136:137] op_sel_hi:[1,1,0] neg_lo:[0,0,1] neg_hi:[0,0,1]
	v_mul_f32_e32 v134, v135, v122
	s_delay_alu instid0(VALU_DEP_3) | instskip(NEXT) | instid1(VALU_DEP_2)
	v_pk_add_f32 v[12:13], v[12:13], v[138:139] neg_lo:[0,1] neg_hi:[0,1]
	v_pk_fma_f32 v[132:133], v[132:133], v[32:33], v[134:135] op_sel_hi:[1,1,0]
	s_delay_alu instid0(VALU_DEP_1) | instskip(SKIP_4) | instid1(VALU_DEP_1)
	v_mov_b32_e32 v137, v133
	ds_load_2addr_b64 v[132:135], v126 offset0:52 offset1:53
	v_pk_add_f32 v[8:9], v[8:9], v[136:137] neg_lo:[0,1] neg_hi:[0,1]
	s_wait_dscnt 0x0
	v_pk_mul_f32 v[136:137], v[132:133], v[124:125] op_sel:[0,1]
	v_pk_fma_f32 v[138:139], v[132:133], v[122:123], v[136:137] op_sel:[0,0,1] op_sel_hi:[1,1,0] neg_lo:[0,0,1] neg_hi:[0,0,1]
	v_pk_fma_f32 v[132:133], v[132:133], v[122:123], v[136:137] op_sel:[0,0,1] op_sel_hi:[1,0,0]
	s_delay_alu instid0(VALU_DEP_1) | instskip(SKIP_1) | instid1(VALU_DEP_1)
	v_mov_b32_e32 v139, v133
	v_pk_mul_f32 v[132:133], v[134:135], v[124:125] op_sel:[0,1]
	v_pk_fma_f32 v[136:137], v[134:135], v[122:123], v[132:133] op_sel:[0,0,1] op_sel_hi:[1,1,0] neg_lo:[0,0,1] neg_hi:[0,0,1]
	v_pk_fma_f32 v[132:133], v[134:135], v[122:123], v[132:133] op_sel:[0,0,1] op_sel_hi:[1,0,0]
	s_delay_alu instid0(VALU_DEP_1)
	v_mov_b32_e32 v137, v133
	ds_load_2addr_b64 v[132:135], v126 offset0:54 offset1:55
	v_pk_add_f32 v[60:61], v[60:61], v[138:139] neg_lo:[0,1] neg_hi:[0,1]
	v_pk_add_f32 v[6:7], v[6:7], v[136:137] neg_lo:[0,1] neg_hi:[0,1]
	s_wait_dscnt 0x0
	v_pk_mul_f32 v[136:137], v[132:133], v[124:125] op_sel:[0,1]
	s_delay_alu instid0(VALU_DEP_1) | instskip(SKIP_1) | instid1(VALU_DEP_1)
	v_pk_fma_f32 v[138:139], v[132:133], v[122:123], v[136:137] op_sel:[0,0,1] op_sel_hi:[1,1,0] neg_lo:[0,0,1] neg_hi:[0,0,1]
	v_pk_fma_f32 v[132:133], v[132:133], v[122:123], v[136:137] op_sel:[0,0,1] op_sel_hi:[1,0,0]
	v_mov_b32_e32 v139, v133
	v_pk_mul_f32 v[132:133], v[134:135], v[124:125] op_sel:[0,1]
	s_delay_alu instid0(VALU_DEP_1) | instskip(SKIP_1) | instid1(VALU_DEP_1)
	v_pk_fma_f32 v[136:137], v[134:135], v[122:123], v[132:133] op_sel:[0,0,1] op_sel_hi:[1,1,0] neg_lo:[0,0,1] neg_hi:[0,0,1]
	v_pk_fma_f32 v[132:133], v[134:135], v[122:123], v[132:133] op_sel:[0,0,1] op_sel_hi:[1,0,0]
	v_mov_b32_e32 v137, v133
	ds_load_2addr_b64 v[132:135], v126 offset0:56 offset1:57
	v_pk_add_f32 v[42:43], v[42:43], v[138:139] neg_lo:[0,1] neg_hi:[0,1]
	v_pk_add_f32 v[28:29], v[28:29], v[136:137] neg_lo:[0,1] neg_hi:[0,1]
	s_wait_dscnt 0x0
	v_dual_mul_f32 v136, v133, v125 :: v_dual_mul_f32 v138, v133, v122
	v_pk_mul_f32 v[124:125], v[134:135], v[124:125] op_sel:[0,1]
	s_delay_alu instid0(VALU_DEP_2) | instskip(NEXT) | instid1(VALU_DEP_3)
	v_pk_fma_f32 v[136:137], v[132:133], v[32:33], v[136:137] op_sel_hi:[1,1,0] neg_lo:[0,0,1] neg_hi:[0,0,1]
	v_pk_fma_f32 v[132:133], v[132:133], v[32:33], v[138:139] op_sel:[1,0,0] op_sel_hi:[0,1,0]
	s_delay_alu instid0(VALU_DEP_1) | instskip(NEXT) | instid1(VALU_DEP_4)
	v_mov_b32_e32 v137, v133
	v_pk_fma_f32 v[132:133], v[134:135], v[122:123], v[124:125] op_sel:[0,0,1] op_sel_hi:[1,1,0] neg_lo:[0,0,1] neg_hi:[0,0,1]
	v_pk_fma_f32 v[122:123], v[134:135], v[122:123], v[124:125] op_sel:[0,0,1] op_sel_hi:[1,0,0]
	s_delay_alu instid0(VALU_DEP_1) | instskip(NEXT) | instid1(VALU_DEP_4)
	v_mov_b32_e32 v133, v123
	v_pk_add_f32 v[14:15], v[14:15], v[136:137] neg_lo:[0,1] neg_hi:[0,1]
	s_delay_alu instid0(VALU_DEP_2)
	v_pk_add_f32 v[120:121], v[120:121], v[132:133] neg_lo:[0,1] neg_hi:[0,1]
.LBB114_797:
	s_or_b32 exec_lo, exec_lo, s0
	v_lshl_add_u32 v122, v130, 3, v126
	s_barrier_signal -1
	s_barrier_wait -1
	ds_store_b64 v122, v[34:35]
	s_wait_dscnt 0x0
	s_barrier_signal -1
	s_barrier_wait -1
	ds_load_b64 v[124:125], v126 offset:304
	v_mov_b32_e32 v122, 38
	s_cmp_lt_i32 s18, 40
	s_cbranch_scc1 .LBB114_800
; %bb.798:
	v_add3_u32 v123, v127, 0, 0x138
	v_mov_b32_e32 v122, 38
	s_mov_b32 s0, 39
.LBB114_799:                            ; =>This Inner Loop Header: Depth=1
	ds_load_b64 v[132:133], v123
	s_wait_dscnt 0x1
	v_cmp_gt_f32_e32 vcc_lo, 0, v124
	v_cndmask_b32_e64 v134, v124, -v124, vcc_lo
	v_cmp_gt_f32_e32 vcc_lo, 0, v125
	v_cndmask_b32_e64 v136, v125, -v125, vcc_lo
	s_wait_dscnt 0x0
	v_cmp_gt_f32_e32 vcc_lo, 0, v132
	v_cndmask_b32_e64 v135, v132, -v132, vcc_lo
	v_cmp_gt_f32_e32 vcc_lo, 0, v133
	v_cndmask_b32_e64 v137, v133, -v133, vcc_lo
	s_delay_alu instid0(VALU_DEP_1) | instskip(NEXT) | instid1(VALU_DEP_1)
	v_pk_add_f32 v[134:135], v[134:135], v[136:137]
	v_cmp_lt_f32_e32 vcc_lo, v134, v135
	v_dual_add_nc_u32 v123, 8, v123 :: v_dual_cndmask_b32 v125, v125, v133, vcc_lo
	v_cndmask_b32_e32 v124, v124, v132, vcc_lo
	v_cndmask_b32_e64 v122, v122, s0, vcc_lo
	s_add_co_i32 s0, s0, 1
	s_delay_alu instid0(SALU_CYCLE_1)
	s_cmp_lg_u32 s18, s0
	s_cbranch_scc1 .LBB114_799
.LBB114_800:
	s_wait_dscnt 0x0
	v_cmp_eq_f32_e32 vcc_lo, 0, v124
	v_cmp_eq_f32_e64 s0, 0, v125
	s_and_b32 s0, vcc_lo, s0
	s_delay_alu instid0(SALU_CYCLE_1) | instskip(NEXT) | instid1(SALU_CYCLE_1)
	s_and_saveexec_b32 s1, s0
	s_xor_b32 s0, exec_lo, s1
; %bb.801:
	v_cmp_ne_u32_e32 vcc_lo, 0, v128
	v_cndmask_b32_e32 v128, 39, v128, vcc_lo
; %bb.802:
	s_and_not1_saveexec_b32 s0, s0
	s_cbranch_execz .LBB114_808
; %bb.803:
	v_cmp_ngt_f32_e64 s1, |v124|, |v125|
	s_and_saveexec_b32 s12, s1
	s_delay_alu instid0(SALU_CYCLE_1)
	s_xor_b32 s1, exec_lo, s12
	s_cbranch_execz .LBB114_805
; %bb.804:
	v_div_scale_f32 v123, null, v125, v125, v124
	v_div_scale_f32 v133, vcc_lo, v124, v125, v124
	s_delay_alu instid0(VALU_DEP_2) | instskip(SKIP_1) | instid1(TRANS32_DEP_1)
	v_rcp_f32_e32 v131, v123
	v_nop
	v_fma_f32 v132, -v123, v131, 1.0
	s_delay_alu instid0(VALU_DEP_1) | instskip(NEXT) | instid1(VALU_DEP_1)
	v_fmac_f32_e32 v131, v132, v131
	v_mul_f32_e32 v132, v133, v131
	s_delay_alu instid0(VALU_DEP_1) | instskip(NEXT) | instid1(VALU_DEP_1)
	v_fma_f32 v134, -v123, v132, v133
	v_fmac_f32_e32 v132, v134, v131
	s_delay_alu instid0(VALU_DEP_1) | instskip(NEXT) | instid1(VALU_DEP_1)
	v_fma_f32 v123, -v123, v132, v133
	v_div_fmas_f32 v123, v123, v131, v132
	s_delay_alu instid0(VALU_DEP_1) | instskip(NEXT) | instid1(VALU_DEP_1)
	v_div_fixup_f32 v123, v123, v125, v124
	v_fmac_f32_e32 v125, v124, v123
	s_delay_alu instid0(VALU_DEP_1) | instskip(SKIP_1) | instid1(VALU_DEP_2)
	v_div_scale_f32 v124, null, v125, v125, 1.0
	v_div_scale_f32 v133, vcc_lo, 1.0, v125, 1.0
	v_rcp_f32_e32 v131, v124
	v_nop
	s_delay_alu instid0(TRANS32_DEP_1) | instskip(NEXT) | instid1(VALU_DEP_1)
	v_fma_f32 v132, -v124, v131, 1.0
	v_fmac_f32_e32 v131, v132, v131
	s_delay_alu instid0(VALU_DEP_1) | instskip(NEXT) | instid1(VALU_DEP_1)
	v_mul_f32_e32 v132, v133, v131
	v_fma_f32 v134, -v124, v132, v133
	s_delay_alu instid0(VALU_DEP_1) | instskip(NEXT) | instid1(VALU_DEP_1)
	v_fmac_f32_e32 v132, v134, v131
	v_fma_f32 v124, -v124, v132, v133
	s_delay_alu instid0(VALU_DEP_1) | instskip(NEXT) | instid1(VALU_DEP_1)
	v_div_fmas_f32 v124, v124, v131, v132
	v_div_fixup_f32 v125, v124, v125, 1.0
	s_delay_alu instid0(VALU_DEP_1)
	v_mul_f32_e32 v124, v123, v125
	v_xor_b32_e32 v125, 0x80000000, v125
.LBB114_805:
	s_and_not1_saveexec_b32 s1, s1
	s_cbranch_execz .LBB114_807
; %bb.806:
	s_delay_alu instid0(VALU_DEP_1) | instskip(SKIP_1) | instid1(VALU_DEP_2)
	v_div_scale_f32 v123, null, v124, v124, v125
	v_div_scale_f32 v133, vcc_lo, v125, v124, v125
	v_rcp_f32_e32 v131, v123
	v_nop
	s_delay_alu instid0(TRANS32_DEP_1) | instskip(NEXT) | instid1(VALU_DEP_1)
	v_fma_f32 v132, -v123, v131, 1.0
	v_fmac_f32_e32 v131, v132, v131
	s_delay_alu instid0(VALU_DEP_1) | instskip(NEXT) | instid1(VALU_DEP_1)
	v_mul_f32_e32 v132, v133, v131
	v_fma_f32 v134, -v123, v132, v133
	s_delay_alu instid0(VALU_DEP_1) | instskip(NEXT) | instid1(VALU_DEP_1)
	v_fmac_f32_e32 v132, v134, v131
	v_fma_f32 v123, -v123, v132, v133
	s_delay_alu instid0(VALU_DEP_1) | instskip(NEXT) | instid1(VALU_DEP_1)
	v_div_fmas_f32 v123, v123, v131, v132
	v_div_fixup_f32 v123, v123, v124, v125
	s_delay_alu instid0(VALU_DEP_1) | instskip(NEXT) | instid1(VALU_DEP_1)
	v_fmac_f32_e32 v124, v125, v123
	v_div_scale_f32 v125, null, v124, v124, 1.0
	s_delay_alu instid0(VALU_DEP_1) | instskip(SKIP_1) | instid1(TRANS32_DEP_1)
	v_rcp_f32_e32 v131, v125
	v_nop
	v_fma_f32 v132, -v125, v131, 1.0
	s_delay_alu instid0(VALU_DEP_1) | instskip(SKIP_1) | instid1(VALU_DEP_1)
	v_fmac_f32_e32 v131, v132, v131
	v_div_scale_f32 v132, vcc_lo, 1.0, v124, 1.0
	v_mul_f32_e32 v133, v132, v131
	s_delay_alu instid0(VALU_DEP_1) | instskip(NEXT) | instid1(VALU_DEP_1)
	v_fma_f32 v134, -v125, v133, v132
	v_fmac_f32_e32 v133, v134, v131
	s_delay_alu instid0(VALU_DEP_1) | instskip(NEXT) | instid1(VALU_DEP_1)
	v_fma_f32 v125, -v125, v133, v132
	v_div_fmas_f32 v125, v125, v131, v133
	s_delay_alu instid0(VALU_DEP_1) | instskip(NEXT) | instid1(VALU_DEP_1)
	v_div_fixup_f32 v124, v125, v124, 1.0
	v_mul_f32_e64 v125, v123, -v124
.LBB114_807:
	s_or_b32 exec_lo, exec_lo, s1
.LBB114_808:
	s_delay_alu instid0(SALU_CYCLE_1) | instskip(NEXT) | instid1(SALU_CYCLE_1)
	s_or_b32 exec_lo, exec_lo, s0
	s_mov_b32 s0, exec_lo
	v_cmpx_ne_u32_e64 v130, v122
	s_xor_b32 s0, exec_lo, s0
	s_cbranch_execz .LBB114_814
; %bb.809:
	s_mov_b32 s1, exec_lo
	v_cmpx_eq_u32_e32 38, v130
	s_cbranch_execz .LBB114_813
; %bb.810:
	v_cmp_ne_u32_e32 vcc_lo, 38, v122
	s_xor_b32 s12, s16, -1
	s_delay_alu instid0(SALU_CYCLE_1) | instskip(NEXT) | instid1(SALU_CYCLE_1)
	s_and_b32 s13, s12, vcc_lo
	s_and_saveexec_b32 s12, s13
	s_cbranch_execz .LBB114_812
; %bb.811:
	v_ashrrev_i32_e32 v123, 31, v122
	s_delay_alu instid0(VALU_DEP_1)
	v_lshl_add_u64 v[130:131], v[122:123], 2, v[4:5]
	s_clause 0x1
	global_load_b32 v123, v[130:131], off
	global_load_b32 v129, v[4:5], off offset:152
	s_wait_loadcnt 0x1
	global_store_b32 v[4:5], v123, off offset:152
	s_wait_loadcnt 0x0
	global_store_b32 v[130:131], v129, off
.LBB114_812:
	s_wait_xcnt 0x0
	s_or_b32 exec_lo, exec_lo, s12
	v_dual_mov_b32 v130, v122 :: v_dual_mov_b32 v129, v122
.LBB114_813:
	s_or_b32 exec_lo, exec_lo, s1
.LBB114_814:
	s_and_not1_saveexec_b32 s0, s0
	s_cbranch_execz .LBB114_816
; %bb.815:
	v_mov_b32_e32 v130, 38
	ds_store_2addr_b64 v126, v[30:31], v[90:91] offset0:39 offset1:40
	ds_store_2addr_b64 v126, v[24:25], v[26:27] offset0:41 offset1:42
	ds_store_2addr_b64 v126, v[22:23], v[88:89] offset0:43 offset1:44
	ds_store_2addr_b64 v126, v[18:19], v[20:21] offset0:45 offset1:46
	ds_store_2addr_b64 v126, v[16:17], v[84:85] offset0:47 offset1:48
	ds_store_2addr_b64 v126, v[10:11], v[12:13] offset0:49 offset1:50
	ds_store_2addr_b64 v126, v[8:9], v[60:61] offset0:51 offset1:52
	ds_store_2addr_b64 v126, v[6:7], v[42:43] offset0:53 offset1:54
	ds_store_2addr_b64 v126, v[28:29], v[14:15] offset0:55 offset1:56
	ds_store_b64 v126, v[120:121] offset:456
.LBB114_816:
	s_or_b32 exec_lo, exec_lo, s0
	s_delay_alu instid0(SALU_CYCLE_1)
	s_mov_b32 s0, exec_lo
	s_wait_storecnt_dscnt 0x0
	s_barrier_signal -1
	s_barrier_wait -1
	v_cmpx_lt_i32_e32 38, v130
	s_cbranch_execz .LBB114_818
; %bb.817:
	v_pk_mul_f32 v[132:133], v[124:125], v[34:35] op_sel:[1,1] op_sel_hi:[0,1]
	s_delay_alu instid0(VALU_DEP_1)
	v_pk_fma_f32 v[122:123], v[124:125], v[34:35], v[132:133] op_sel_hi:[1,0,1] neg_lo:[0,0,1] neg_hi:[0,0,1]
	v_pk_fma_f32 v[124:125], v[124:125], v[34:35], v[132:133] op_sel_hi:[1,0,1]
	ds_load_2addr_b64 v[132:135], v126 offset0:39 offset1:40
	v_dual_mov_b32 v34, v122 :: v_dual_mov_b32 v35, v125
	s_wait_dscnt 0x0
	v_pk_mul_f32 v[136:137], v[132:133], v[124:125] op_sel:[0,1]
	s_delay_alu instid0(VALU_DEP_1) | instskip(SKIP_1) | instid1(VALU_DEP_1)
	v_pk_fma_f32 v[138:139], v[132:133], v[122:123], v[136:137] op_sel:[0,0,1] op_sel_hi:[1,1,0] neg_lo:[0,0,1] neg_hi:[0,0,1]
	v_pk_fma_f32 v[132:133], v[132:133], v[122:123], v[136:137] op_sel:[0,0,1] op_sel_hi:[1,0,0]
	v_mov_b32_e32 v139, v133
	v_pk_mul_f32 v[132:133], v[134:135], v[124:125] op_sel:[0,1]
	s_delay_alu instid0(VALU_DEP_1) | instskip(SKIP_1) | instid1(VALU_DEP_1)
	v_pk_fma_f32 v[136:137], v[134:135], v[122:123], v[132:133] op_sel:[0,0,1] op_sel_hi:[1,1,0] neg_lo:[0,0,1] neg_hi:[0,0,1]
	v_pk_fma_f32 v[132:133], v[134:135], v[122:123], v[132:133] op_sel:[0,0,1] op_sel_hi:[1,0,0]
	v_mov_b32_e32 v137, v133
	ds_load_2addr_b64 v[132:135], v126 offset0:41 offset1:42
	v_pk_add_f32 v[30:31], v[30:31], v[138:139] neg_lo:[0,1] neg_hi:[0,1]
	v_pk_add_f32 v[90:91], v[90:91], v[136:137] neg_lo:[0,1] neg_hi:[0,1]
	s_wait_dscnt 0x0
	v_pk_mul_f32 v[136:137], v[132:133], v[124:125] op_sel:[0,1]
	s_delay_alu instid0(VALU_DEP_1) | instskip(SKIP_2) | instid1(VALU_DEP_2)
	v_pk_fma_f32 v[138:139], v[132:133], v[122:123], v[136:137] op_sel:[0,0,1] op_sel_hi:[1,1,0] neg_lo:[0,0,1] neg_hi:[0,0,1]
	v_pk_fma_f32 v[132:133], v[132:133], v[122:123], v[136:137] op_sel:[0,0,1] op_sel_hi:[1,0,0]
	v_dual_mul_f32 v136, v135, v125 :: v_dual_mov_b32 v132, v135
	v_dual_mov_b32 v139, v133 :: v_dual_mov_b32 v133, v134
	s_delay_alu instid0(VALU_DEP_2) | instskip(SKIP_1) | instid1(VALU_DEP_3)
	v_pk_fma_f32 v[136:137], v[134:135], v[34:35], v[136:137] op_sel_hi:[1,1,0] neg_lo:[0,0,1] neg_hi:[0,0,1]
	v_mul_f32_e32 v134, v135, v122
	v_pk_add_f32 v[24:25], v[24:25], v[138:139] neg_lo:[0,1] neg_hi:[0,1]
	s_delay_alu instid0(VALU_DEP_2) | instskip(NEXT) | instid1(VALU_DEP_1)
	v_pk_fma_f32 v[132:133], v[132:133], v[34:35], v[134:135] op_sel_hi:[1,1,0]
	v_mov_b32_e32 v137, v133
	ds_load_2addr_b64 v[132:135], v126 offset0:43 offset1:44
	v_pk_add_f32 v[26:27], v[26:27], v[136:137] neg_lo:[0,1] neg_hi:[0,1]
	s_wait_dscnt 0x0
	v_pk_mul_f32 v[136:137], v[132:133], v[124:125] op_sel:[0,1]
	s_delay_alu instid0(VALU_DEP_1) | instskip(SKIP_1) | instid1(VALU_DEP_1)
	v_pk_fma_f32 v[138:139], v[132:133], v[122:123], v[136:137] op_sel:[0,0,1] op_sel_hi:[1,1,0] neg_lo:[0,0,1] neg_hi:[0,0,1]
	v_pk_fma_f32 v[132:133], v[132:133], v[122:123], v[136:137] op_sel:[0,0,1] op_sel_hi:[1,0,0]
	v_mov_b32_e32 v139, v133
	v_pk_mul_f32 v[132:133], v[134:135], v[124:125] op_sel:[0,1]
	s_delay_alu instid0(VALU_DEP_1) | instskip(SKIP_1) | instid1(VALU_DEP_1)
	v_pk_fma_f32 v[136:137], v[134:135], v[122:123], v[132:133] op_sel:[0,0,1] op_sel_hi:[1,1,0] neg_lo:[0,0,1] neg_hi:[0,0,1]
	v_pk_fma_f32 v[132:133], v[134:135], v[122:123], v[132:133] op_sel:[0,0,1] op_sel_hi:[1,0,0]
	v_mov_b32_e32 v137, v133
	ds_load_2addr_b64 v[132:135], v126 offset0:45 offset1:46
	v_pk_add_f32 v[22:23], v[22:23], v[138:139] neg_lo:[0,1] neg_hi:[0,1]
	v_pk_add_f32 v[88:89], v[88:89], v[136:137] neg_lo:[0,1] neg_hi:[0,1]
	s_wait_dscnt 0x0
	v_pk_mul_f32 v[136:137], v[132:133], v[124:125] op_sel:[0,1]
	s_delay_alu instid0(VALU_DEP_1) | instskip(SKIP_1) | instid1(VALU_DEP_1)
	v_pk_fma_f32 v[138:139], v[132:133], v[122:123], v[136:137] op_sel:[0,0,1] op_sel_hi:[1,1,0] neg_lo:[0,0,1] neg_hi:[0,0,1]
	v_pk_fma_f32 v[132:133], v[132:133], v[122:123], v[136:137] op_sel:[0,0,1] op_sel_hi:[1,0,0]
	v_mov_b32_e32 v139, v133
	v_pk_mul_f32 v[132:133], v[134:135], v[124:125] op_sel:[0,1]
	s_delay_alu instid0(VALU_DEP_1) | instskip(SKIP_1) | instid1(VALU_DEP_1)
	v_pk_fma_f32 v[136:137], v[134:135], v[122:123], v[132:133] op_sel:[0,0,1] op_sel_hi:[1,1,0] neg_lo:[0,0,1] neg_hi:[0,0,1]
	v_pk_fma_f32 v[132:133], v[134:135], v[122:123], v[132:133] op_sel:[0,0,1] op_sel_hi:[1,0,0]
	v_mov_b32_e32 v137, v133
	ds_load_2addr_b64 v[132:135], v126 offset0:47 offset1:48
	v_pk_add_f32 v[18:19], v[18:19], v[138:139] neg_lo:[0,1] neg_hi:[0,1]
	v_pk_add_f32 v[20:21], v[20:21], v[136:137] neg_lo:[0,1] neg_hi:[0,1]
	s_wait_dscnt 0x0
	v_dual_mul_f32 v136, v133, v125 :: v_dual_mul_f32 v138, v133, v122
	s_delay_alu instid0(VALU_DEP_1) | instskip(NEXT) | instid1(VALU_DEP_2)
	v_pk_fma_f32 v[136:137], v[132:133], v[34:35], v[136:137] op_sel_hi:[1,1,0] neg_lo:[0,0,1] neg_hi:[0,0,1]
	v_pk_fma_f32 v[132:133], v[132:133], v[34:35], v[138:139] op_sel:[1,0,0] op_sel_hi:[0,1,0]
	s_delay_alu instid0(VALU_DEP_1) | instskip(SKIP_1) | instid1(VALU_DEP_2)
	v_mov_b32_e32 v137, v133
	v_pk_mul_f32 v[132:133], v[134:135], v[124:125] op_sel:[0,1]
	v_pk_add_f32 v[16:17], v[16:17], v[136:137] neg_lo:[0,1] neg_hi:[0,1]
	s_delay_alu instid0(VALU_DEP_2) | instskip(SKIP_1) | instid1(VALU_DEP_1)
	v_pk_fma_f32 v[136:137], v[134:135], v[122:123], v[132:133] op_sel:[0,0,1] op_sel_hi:[1,1,0] neg_lo:[0,0,1] neg_hi:[0,0,1]
	v_pk_fma_f32 v[132:133], v[134:135], v[122:123], v[132:133] op_sel:[0,0,1] op_sel_hi:[1,0,0]
	v_mov_b32_e32 v137, v133
	ds_load_2addr_b64 v[132:135], v126 offset0:49 offset1:50
	v_pk_add_f32 v[84:85], v[84:85], v[136:137] neg_lo:[0,1] neg_hi:[0,1]
	s_wait_dscnt 0x0
	v_pk_mul_f32 v[136:137], v[132:133], v[124:125] op_sel:[0,1]
	s_delay_alu instid0(VALU_DEP_1) | instskip(SKIP_1) | instid1(VALU_DEP_1)
	v_pk_fma_f32 v[138:139], v[132:133], v[122:123], v[136:137] op_sel:[0,0,1] op_sel_hi:[1,1,0] neg_lo:[0,0,1] neg_hi:[0,0,1]
	v_pk_fma_f32 v[132:133], v[132:133], v[122:123], v[136:137] op_sel:[0,0,1] op_sel_hi:[1,0,0]
	v_mov_b32_e32 v139, v133
	v_pk_mul_f32 v[132:133], v[134:135], v[124:125] op_sel:[0,1]
	s_delay_alu instid0(VALU_DEP_2) | instskip(NEXT) | instid1(VALU_DEP_2)
	v_pk_add_f32 v[10:11], v[10:11], v[138:139] neg_lo:[0,1] neg_hi:[0,1]
	v_pk_fma_f32 v[136:137], v[134:135], v[122:123], v[132:133] op_sel:[0,0,1] op_sel_hi:[1,1,0] neg_lo:[0,0,1] neg_hi:[0,0,1]
	v_pk_fma_f32 v[132:133], v[134:135], v[122:123], v[132:133] op_sel:[0,0,1] op_sel_hi:[1,0,0]
	s_delay_alu instid0(VALU_DEP_1) | instskip(SKIP_4) | instid1(VALU_DEP_1)
	v_mov_b32_e32 v137, v133
	ds_load_2addr_b64 v[132:135], v126 offset0:51 offset1:52
	v_pk_add_f32 v[12:13], v[12:13], v[136:137] neg_lo:[0,1] neg_hi:[0,1]
	s_wait_dscnt 0x0
	v_pk_mul_f32 v[136:137], v[132:133], v[124:125] op_sel:[0,1]
	v_pk_fma_f32 v[138:139], v[132:133], v[122:123], v[136:137] op_sel:[0,0,1] op_sel_hi:[1,1,0] neg_lo:[0,0,1] neg_hi:[0,0,1]
	v_pk_fma_f32 v[132:133], v[132:133], v[122:123], v[136:137] op_sel:[0,0,1] op_sel_hi:[1,0,0]
	v_dual_mul_f32 v136, v135, v125 :: v_dual_mov_b32 v132, v135
	s_delay_alu instid0(VALU_DEP_2) | instskip(NEXT) | instid1(VALU_DEP_2)
	v_dual_mov_b32 v139, v133 :: v_dual_mov_b32 v133, v134
	v_pk_fma_f32 v[136:137], v[134:135], v[34:35], v[136:137] op_sel_hi:[1,1,0] neg_lo:[0,0,1] neg_hi:[0,0,1]
	v_mul_f32_e32 v134, v135, v122
	s_delay_alu instid0(VALU_DEP_3) | instskip(NEXT) | instid1(VALU_DEP_2)
	v_pk_add_f32 v[8:9], v[8:9], v[138:139] neg_lo:[0,1] neg_hi:[0,1]
	v_pk_fma_f32 v[132:133], v[132:133], v[34:35], v[134:135] op_sel_hi:[1,1,0]
	s_delay_alu instid0(VALU_DEP_1) | instskip(SKIP_4) | instid1(VALU_DEP_1)
	v_mov_b32_e32 v137, v133
	ds_load_2addr_b64 v[132:135], v126 offset0:53 offset1:54
	v_pk_add_f32 v[60:61], v[60:61], v[136:137] neg_lo:[0,1] neg_hi:[0,1]
	s_wait_dscnt 0x0
	v_pk_mul_f32 v[136:137], v[132:133], v[124:125] op_sel:[0,1]
	v_pk_fma_f32 v[138:139], v[132:133], v[122:123], v[136:137] op_sel:[0,0,1] op_sel_hi:[1,1,0] neg_lo:[0,0,1] neg_hi:[0,0,1]
	v_pk_fma_f32 v[132:133], v[132:133], v[122:123], v[136:137] op_sel:[0,0,1] op_sel_hi:[1,0,0]
	s_delay_alu instid0(VALU_DEP_1) | instskip(SKIP_1) | instid1(VALU_DEP_1)
	v_mov_b32_e32 v139, v133
	v_pk_mul_f32 v[132:133], v[134:135], v[124:125] op_sel:[0,1]
	v_pk_fma_f32 v[136:137], v[134:135], v[122:123], v[132:133] op_sel:[0,0,1] op_sel_hi:[1,1,0] neg_lo:[0,0,1] neg_hi:[0,0,1]
	v_pk_fma_f32 v[132:133], v[134:135], v[122:123], v[132:133] op_sel:[0,0,1] op_sel_hi:[1,0,0]
	s_delay_alu instid0(VALU_DEP_1)
	v_mov_b32_e32 v137, v133
	ds_load_2addr_b64 v[132:135], v126 offset0:55 offset1:56
	v_pk_add_f32 v[6:7], v[6:7], v[138:139] neg_lo:[0,1] neg_hi:[0,1]
	v_pk_add_f32 v[42:43], v[42:43], v[136:137] neg_lo:[0,1] neg_hi:[0,1]
	s_wait_dscnt 0x0
	v_pk_mul_f32 v[136:137], v[132:133], v[124:125] op_sel:[0,1]
	s_delay_alu instid0(VALU_DEP_1) | instskip(SKIP_1) | instid1(VALU_DEP_1)
	v_pk_fma_f32 v[138:139], v[132:133], v[122:123], v[136:137] op_sel:[0,0,1] op_sel_hi:[1,1,0] neg_lo:[0,0,1] neg_hi:[0,0,1]
	v_pk_fma_f32 v[132:133], v[132:133], v[122:123], v[136:137] op_sel:[0,0,1] op_sel_hi:[1,0,0]
	v_mov_b32_e32 v139, v133
	v_pk_mul_f32 v[132:133], v[134:135], v[124:125] op_sel:[0,1]
	s_delay_alu instid0(VALU_DEP_1) | instskip(SKIP_1) | instid1(VALU_DEP_1)
	v_pk_fma_f32 v[136:137], v[134:135], v[122:123], v[132:133] op_sel:[0,0,1] op_sel_hi:[1,1,0] neg_lo:[0,0,1] neg_hi:[0,0,1]
	v_pk_fma_f32 v[132:133], v[134:135], v[122:123], v[132:133] op_sel:[0,0,1] op_sel_hi:[1,0,0]
	v_mov_b32_e32 v137, v133
	ds_load_b64 v[132:133], v126 offset:456
	v_pk_add_f32 v[28:29], v[28:29], v[138:139] neg_lo:[0,1] neg_hi:[0,1]
	v_pk_add_f32 v[14:15], v[14:15], v[136:137] neg_lo:[0,1] neg_hi:[0,1]
	s_wait_dscnt 0x0
	v_pk_mul_f32 v[124:125], v[132:133], v[124:125] op_sel:[0,1]
	s_delay_alu instid0(VALU_DEP_1) | instskip(SKIP_1) | instid1(VALU_DEP_1)
	v_pk_fma_f32 v[134:135], v[132:133], v[122:123], v[124:125] op_sel:[0,0,1] op_sel_hi:[1,1,0] neg_lo:[0,0,1] neg_hi:[0,0,1]
	v_pk_fma_f32 v[122:123], v[132:133], v[122:123], v[124:125] op_sel:[0,0,1] op_sel_hi:[1,0,0]
	v_mov_b32_e32 v135, v123
	s_delay_alu instid0(VALU_DEP_1)
	v_pk_add_f32 v[120:121], v[120:121], v[134:135] neg_lo:[0,1] neg_hi:[0,1]
.LBB114_818:
	s_or_b32 exec_lo, exec_lo, s0
	v_lshl_add_u32 v122, v130, 3, v126
	s_barrier_signal -1
	s_barrier_wait -1
	ds_store_b64 v122, v[30:31]
	s_wait_dscnt 0x0
	s_barrier_signal -1
	s_barrier_wait -1
	ds_load_b64 v[122:123], v126 offset:312
	v_mov_b32_e32 v124, 39
	s_cmp_lt_i32 s18, 41
	s_cbranch_scc1 .LBB114_821
; %bb.819:
	v_add3_u32 v125, v127, 0, 0x140
	v_mov_b32_e32 v124, 39
	s_mov_b32 s0, 40
.LBB114_820:                            ; =>This Inner Loop Header: Depth=1
	ds_load_b64 v[132:133], v125
	s_wait_dscnt 0x1
	v_cmp_gt_f32_e32 vcc_lo, 0, v122
	v_cndmask_b32_e64 v134, v122, -v122, vcc_lo
	v_cmp_gt_f32_e32 vcc_lo, 0, v123
	v_cndmask_b32_e64 v136, v123, -v123, vcc_lo
	s_wait_dscnt 0x0
	v_cmp_gt_f32_e32 vcc_lo, 0, v132
	v_cndmask_b32_e64 v135, v132, -v132, vcc_lo
	v_cmp_gt_f32_e32 vcc_lo, 0, v133
	v_cndmask_b32_e64 v137, v133, -v133, vcc_lo
	s_delay_alu instid0(VALU_DEP_1) | instskip(NEXT) | instid1(VALU_DEP_1)
	v_pk_add_f32 v[134:135], v[134:135], v[136:137]
	v_cmp_lt_f32_e32 vcc_lo, v134, v135
	v_dual_cndmask_b32 v122, v122, v132 :: v_dual_add_nc_u32 v125, 8, v125
	v_cndmask_b32_e32 v123, v123, v133, vcc_lo
	v_cndmask_b32_e64 v124, v124, s0, vcc_lo
	s_add_co_i32 s0, s0, 1
	s_delay_alu instid0(SALU_CYCLE_1)
	s_cmp_lg_u32 s18, s0
	s_cbranch_scc1 .LBB114_820
.LBB114_821:
	s_wait_dscnt 0x0
	v_cmp_eq_f32_e32 vcc_lo, 0, v122
	v_cmp_eq_f32_e64 s0, 0, v123
	s_and_b32 s0, vcc_lo, s0
	s_delay_alu instid0(SALU_CYCLE_1) | instskip(NEXT) | instid1(SALU_CYCLE_1)
	s_and_saveexec_b32 s1, s0
	s_xor_b32 s0, exec_lo, s1
; %bb.822:
	v_cmp_ne_u32_e32 vcc_lo, 0, v128
	v_cndmask_b32_e32 v128, 40, v128, vcc_lo
; %bb.823:
	s_and_not1_saveexec_b32 s0, s0
	s_cbranch_execz .LBB114_829
; %bb.824:
	v_cmp_ngt_f32_e64 s1, |v122|, |v123|
	s_and_saveexec_b32 s12, s1
	s_delay_alu instid0(SALU_CYCLE_1)
	s_xor_b32 s1, exec_lo, s12
	s_cbranch_execz .LBB114_826
; %bb.825:
	v_div_scale_f32 v125, null, v123, v123, v122
	v_div_scale_f32 v133, vcc_lo, v122, v123, v122
	s_delay_alu instid0(VALU_DEP_2) | instskip(SKIP_1) | instid1(TRANS32_DEP_1)
	v_rcp_f32_e32 v131, v125
	v_nop
	v_fma_f32 v132, -v125, v131, 1.0
	s_delay_alu instid0(VALU_DEP_1) | instskip(NEXT) | instid1(VALU_DEP_1)
	v_fmac_f32_e32 v131, v132, v131
	v_mul_f32_e32 v132, v133, v131
	s_delay_alu instid0(VALU_DEP_1) | instskip(NEXT) | instid1(VALU_DEP_1)
	v_fma_f32 v134, -v125, v132, v133
	v_fmac_f32_e32 v132, v134, v131
	s_delay_alu instid0(VALU_DEP_1) | instskip(NEXT) | instid1(VALU_DEP_1)
	v_fma_f32 v125, -v125, v132, v133
	v_div_fmas_f32 v125, v125, v131, v132
	s_delay_alu instid0(VALU_DEP_1) | instskip(NEXT) | instid1(VALU_DEP_1)
	v_div_fixup_f32 v125, v125, v123, v122
	v_fmac_f32_e32 v123, v122, v125
	s_delay_alu instid0(VALU_DEP_1) | instskip(SKIP_1) | instid1(VALU_DEP_2)
	v_div_scale_f32 v122, null, v123, v123, 1.0
	v_div_scale_f32 v133, vcc_lo, 1.0, v123, 1.0
	v_rcp_f32_e32 v131, v122
	v_nop
	s_delay_alu instid0(TRANS32_DEP_1) | instskip(NEXT) | instid1(VALU_DEP_1)
	v_fma_f32 v132, -v122, v131, 1.0
	v_fmac_f32_e32 v131, v132, v131
	s_delay_alu instid0(VALU_DEP_1) | instskip(NEXT) | instid1(VALU_DEP_1)
	v_mul_f32_e32 v132, v133, v131
	v_fma_f32 v134, -v122, v132, v133
	s_delay_alu instid0(VALU_DEP_1) | instskip(NEXT) | instid1(VALU_DEP_1)
	v_fmac_f32_e32 v132, v134, v131
	v_fma_f32 v122, -v122, v132, v133
	s_delay_alu instid0(VALU_DEP_1) | instskip(NEXT) | instid1(VALU_DEP_1)
	v_div_fmas_f32 v122, v122, v131, v132
	v_div_fixup_f32 v123, v122, v123, 1.0
	s_delay_alu instid0(VALU_DEP_1)
	v_mul_f32_e32 v122, v125, v123
	v_xor_b32_e32 v123, 0x80000000, v123
.LBB114_826:
	s_and_not1_saveexec_b32 s1, s1
	s_cbranch_execz .LBB114_828
; %bb.827:
	s_delay_alu instid0(VALU_DEP_1) | instskip(SKIP_1) | instid1(VALU_DEP_2)
	v_div_scale_f32 v125, null, v122, v122, v123
	v_div_scale_f32 v133, vcc_lo, v123, v122, v123
	v_rcp_f32_e32 v131, v125
	v_nop
	s_delay_alu instid0(TRANS32_DEP_1) | instskip(NEXT) | instid1(VALU_DEP_1)
	v_fma_f32 v132, -v125, v131, 1.0
	v_fmac_f32_e32 v131, v132, v131
	s_delay_alu instid0(VALU_DEP_1) | instskip(NEXT) | instid1(VALU_DEP_1)
	v_mul_f32_e32 v132, v133, v131
	v_fma_f32 v134, -v125, v132, v133
	s_delay_alu instid0(VALU_DEP_1) | instskip(NEXT) | instid1(VALU_DEP_1)
	v_fmac_f32_e32 v132, v134, v131
	v_fma_f32 v125, -v125, v132, v133
	s_delay_alu instid0(VALU_DEP_1) | instskip(NEXT) | instid1(VALU_DEP_1)
	v_div_fmas_f32 v125, v125, v131, v132
	v_div_fixup_f32 v125, v125, v122, v123
	s_delay_alu instid0(VALU_DEP_1) | instskip(NEXT) | instid1(VALU_DEP_1)
	v_fmac_f32_e32 v122, v123, v125
	v_div_scale_f32 v123, null, v122, v122, 1.0
	s_delay_alu instid0(VALU_DEP_1) | instskip(SKIP_1) | instid1(TRANS32_DEP_1)
	v_rcp_f32_e32 v131, v123
	v_nop
	v_fma_f32 v132, -v123, v131, 1.0
	s_delay_alu instid0(VALU_DEP_1) | instskip(SKIP_1) | instid1(VALU_DEP_1)
	v_fmac_f32_e32 v131, v132, v131
	v_div_scale_f32 v132, vcc_lo, 1.0, v122, 1.0
	v_mul_f32_e32 v133, v132, v131
	s_delay_alu instid0(VALU_DEP_1) | instskip(NEXT) | instid1(VALU_DEP_1)
	v_fma_f32 v134, -v123, v133, v132
	v_fmac_f32_e32 v133, v134, v131
	s_delay_alu instid0(VALU_DEP_1) | instskip(NEXT) | instid1(VALU_DEP_1)
	v_fma_f32 v123, -v123, v133, v132
	v_div_fmas_f32 v123, v123, v131, v133
	s_delay_alu instid0(VALU_DEP_1) | instskip(NEXT) | instid1(VALU_DEP_1)
	v_div_fixup_f32 v122, v123, v122, 1.0
	v_mul_f32_e64 v123, v125, -v122
.LBB114_828:
	s_or_b32 exec_lo, exec_lo, s1
.LBB114_829:
	s_delay_alu instid0(SALU_CYCLE_1) | instskip(NEXT) | instid1(SALU_CYCLE_1)
	s_or_b32 exec_lo, exec_lo, s0
	s_mov_b32 s0, exec_lo
	v_cmpx_ne_u32_e64 v130, v124
	s_xor_b32 s0, exec_lo, s0
	s_cbranch_execz .LBB114_835
; %bb.830:
	s_mov_b32 s1, exec_lo
	v_cmpx_eq_u32_e32 39, v130
	s_cbranch_execz .LBB114_834
; %bb.831:
	v_cmp_ne_u32_e32 vcc_lo, 39, v124
	s_xor_b32 s12, s16, -1
	s_delay_alu instid0(SALU_CYCLE_1) | instskip(NEXT) | instid1(SALU_CYCLE_1)
	s_and_b32 s13, s12, vcc_lo
	s_and_saveexec_b32 s12, s13
	s_cbranch_execz .LBB114_833
; %bb.832:
	v_ashrrev_i32_e32 v125, 31, v124
	s_delay_alu instid0(VALU_DEP_1)
	v_lshl_add_u64 v[130:131], v[124:125], 2, v[4:5]
	s_clause 0x1
	global_load_b32 v125, v[130:131], off
	global_load_b32 v129, v[4:5], off offset:156
	s_wait_loadcnt 0x1
	global_store_b32 v[4:5], v125, off offset:156
	s_wait_loadcnt 0x0
	global_store_b32 v[130:131], v129, off
.LBB114_833:
	s_wait_xcnt 0x0
	s_or_b32 exec_lo, exec_lo, s12
	v_dual_mov_b32 v130, v124 :: v_dual_mov_b32 v129, v124
.LBB114_834:
	s_or_b32 exec_lo, exec_lo, s1
.LBB114_835:
	s_and_not1_saveexec_b32 s0, s0
	s_cbranch_execz .LBB114_837
; %bb.836:
	v_dual_mov_b32 v124, v90 :: v_dual_mov_b32 v125, v91
	v_dual_mov_b32 v130, v24 :: v_dual_mov_b32 v131, v25
	ds_store_2addr_b64 v126, v[124:125], v[130:131] offset0:40 offset1:41
	v_dual_mov_b32 v124, v26 :: v_dual_mov_b32 v125, v27
	v_dual_mov_b32 v130, v22 :: v_dual_mov_b32 v131, v23
	ds_store_2addr_b64 v126, v[124:125], v[130:131] offset0:42 offset1:43
	;; [unrolled: 3-line block ×8, first 2 shown]
	v_dual_mov_b32 v124, v14 :: v_dual_mov_b32 v125, v15
	v_mov_b32_e32 v130, 39
	ds_store_2addr_b64 v126, v[124:125], v[120:121] offset0:56 offset1:57
.LBB114_837:
	s_or_b32 exec_lo, exec_lo, s0
	s_delay_alu instid0(SALU_CYCLE_1)
	s_mov_b32 s0, exec_lo
	s_wait_storecnt_dscnt 0x0
	s_barrier_signal -1
	s_barrier_wait -1
	v_cmpx_lt_i32_e32 39, v130
	s_cbranch_execz .LBB114_839
; %bb.838:
	v_pk_mul_f32 v[132:133], v[122:123], v[30:31] op_sel:[1,1] op_sel_hi:[0,1]
	s_delay_alu instid0(VALU_DEP_1)
	v_pk_fma_f32 v[124:125], v[122:123], v[30:31], v[132:133] op_sel_hi:[1,0,1] neg_lo:[0,0,1] neg_hi:[0,0,1]
	v_pk_fma_f32 v[122:123], v[122:123], v[30:31], v[132:133] op_sel_hi:[1,0,1]
	ds_load_2addr_b64 v[132:135], v126 offset0:40 offset1:41
	v_dual_mov_b32 v30, v124 :: v_dual_mov_b32 v31, v123
	s_wait_dscnt 0x0
	v_pk_mul_f32 v[136:137], v[132:133], v[122:123] op_sel:[0,1]
	s_delay_alu instid0(VALU_DEP_1) | instskip(SKIP_1) | instid1(VALU_DEP_1)
	v_pk_fma_f32 v[138:139], v[132:133], v[124:125], v[136:137] op_sel:[0,0,1] op_sel_hi:[1,1,0] neg_lo:[0,0,1] neg_hi:[0,0,1]
	v_pk_fma_f32 v[132:133], v[132:133], v[124:125], v[136:137] op_sel:[0,0,1] op_sel_hi:[1,0,0]
	v_mov_b32_e32 v139, v133
	v_pk_mul_f32 v[132:133], v[134:135], v[122:123] op_sel:[0,1]
	s_delay_alu instid0(VALU_DEP_1) | instskip(SKIP_1) | instid1(VALU_DEP_1)
	v_pk_fma_f32 v[136:137], v[134:135], v[124:125], v[132:133] op_sel:[0,0,1] op_sel_hi:[1,1,0] neg_lo:[0,0,1] neg_hi:[0,0,1]
	v_pk_fma_f32 v[132:133], v[134:135], v[124:125], v[132:133] op_sel:[0,0,1] op_sel_hi:[1,0,0]
	v_mov_b32_e32 v137, v133
	ds_load_2addr_b64 v[132:135], v126 offset0:42 offset1:43
	v_pk_add_f32 v[90:91], v[90:91], v[138:139] neg_lo:[0,1] neg_hi:[0,1]
	v_pk_add_f32 v[24:25], v[24:25], v[136:137] neg_lo:[0,1] neg_hi:[0,1]
	s_wait_dscnt 0x0
	v_pk_mul_f32 v[136:137], v[132:133], v[122:123] op_sel:[0,1]
	s_delay_alu instid0(VALU_DEP_1) | instskip(SKIP_2) | instid1(VALU_DEP_2)
	v_pk_fma_f32 v[138:139], v[132:133], v[124:125], v[136:137] op_sel:[0,0,1] op_sel_hi:[1,1,0] neg_lo:[0,0,1] neg_hi:[0,0,1]
	v_pk_fma_f32 v[132:133], v[132:133], v[124:125], v[136:137] op_sel:[0,0,1] op_sel_hi:[1,0,0]
	v_dual_mul_f32 v136, v135, v123 :: v_dual_mov_b32 v132, v135
	v_dual_mov_b32 v139, v133 :: v_dual_mov_b32 v133, v134
	s_delay_alu instid0(VALU_DEP_2) | instskip(SKIP_1) | instid1(VALU_DEP_3)
	v_pk_fma_f32 v[136:137], v[134:135], v[30:31], v[136:137] op_sel_hi:[1,1,0] neg_lo:[0,0,1] neg_hi:[0,0,1]
	v_mul_f32_e32 v134, v135, v124
	v_pk_add_f32 v[26:27], v[26:27], v[138:139] neg_lo:[0,1] neg_hi:[0,1]
	s_delay_alu instid0(VALU_DEP_2) | instskip(NEXT) | instid1(VALU_DEP_1)
	v_pk_fma_f32 v[132:133], v[132:133], v[30:31], v[134:135] op_sel_hi:[1,1,0]
	v_mov_b32_e32 v137, v133
	ds_load_2addr_b64 v[132:135], v126 offset0:44 offset1:45
	v_pk_add_f32 v[22:23], v[22:23], v[136:137] neg_lo:[0,1] neg_hi:[0,1]
	s_wait_dscnt 0x0
	v_pk_mul_f32 v[136:137], v[132:133], v[122:123] op_sel:[0,1]
	s_delay_alu instid0(VALU_DEP_1) | instskip(SKIP_1) | instid1(VALU_DEP_1)
	v_pk_fma_f32 v[138:139], v[132:133], v[124:125], v[136:137] op_sel:[0,0,1] op_sel_hi:[1,1,0] neg_lo:[0,0,1] neg_hi:[0,0,1]
	v_pk_fma_f32 v[132:133], v[132:133], v[124:125], v[136:137] op_sel:[0,0,1] op_sel_hi:[1,0,0]
	v_mov_b32_e32 v139, v133
	v_pk_mul_f32 v[132:133], v[134:135], v[122:123] op_sel:[0,1]
	s_delay_alu instid0(VALU_DEP_1) | instskip(SKIP_1) | instid1(VALU_DEP_1)
	v_pk_fma_f32 v[136:137], v[134:135], v[124:125], v[132:133] op_sel:[0,0,1] op_sel_hi:[1,1,0] neg_lo:[0,0,1] neg_hi:[0,0,1]
	v_pk_fma_f32 v[132:133], v[134:135], v[124:125], v[132:133] op_sel:[0,0,1] op_sel_hi:[1,0,0]
	v_mov_b32_e32 v137, v133
	ds_load_2addr_b64 v[132:135], v126 offset0:46 offset1:47
	v_pk_add_f32 v[88:89], v[88:89], v[138:139] neg_lo:[0,1] neg_hi:[0,1]
	v_pk_add_f32 v[18:19], v[18:19], v[136:137] neg_lo:[0,1] neg_hi:[0,1]
	s_wait_dscnt 0x0
	v_pk_mul_f32 v[136:137], v[132:133], v[122:123] op_sel:[0,1]
	s_delay_alu instid0(VALU_DEP_1) | instskip(SKIP_1) | instid1(VALU_DEP_1)
	v_pk_fma_f32 v[138:139], v[132:133], v[124:125], v[136:137] op_sel:[0,0,1] op_sel_hi:[1,1,0] neg_lo:[0,0,1] neg_hi:[0,0,1]
	v_pk_fma_f32 v[132:133], v[132:133], v[124:125], v[136:137] op_sel:[0,0,1] op_sel_hi:[1,0,0]
	v_mov_b32_e32 v139, v133
	v_pk_mul_f32 v[132:133], v[134:135], v[122:123] op_sel:[0,1]
	s_delay_alu instid0(VALU_DEP_1) | instskip(SKIP_1) | instid1(VALU_DEP_1)
	v_pk_fma_f32 v[136:137], v[134:135], v[124:125], v[132:133] op_sel:[0,0,1] op_sel_hi:[1,1,0] neg_lo:[0,0,1] neg_hi:[0,0,1]
	v_pk_fma_f32 v[132:133], v[134:135], v[124:125], v[132:133] op_sel:[0,0,1] op_sel_hi:[1,0,0]
	v_mov_b32_e32 v137, v133
	ds_load_2addr_b64 v[132:135], v126 offset0:48 offset1:49
	v_pk_add_f32 v[20:21], v[20:21], v[138:139] neg_lo:[0,1] neg_hi:[0,1]
	v_pk_add_f32 v[16:17], v[16:17], v[136:137] neg_lo:[0,1] neg_hi:[0,1]
	s_wait_dscnt 0x0
	v_dual_mul_f32 v136, v133, v123 :: v_dual_mul_f32 v138, v133, v124
	s_delay_alu instid0(VALU_DEP_1) | instskip(NEXT) | instid1(VALU_DEP_2)
	v_pk_fma_f32 v[136:137], v[132:133], v[30:31], v[136:137] op_sel_hi:[1,1,0] neg_lo:[0,0,1] neg_hi:[0,0,1]
	v_pk_fma_f32 v[132:133], v[132:133], v[30:31], v[138:139] op_sel:[1,0,0] op_sel_hi:[0,1,0]
	s_delay_alu instid0(VALU_DEP_1) | instskip(SKIP_1) | instid1(VALU_DEP_2)
	v_mov_b32_e32 v137, v133
	v_pk_mul_f32 v[132:133], v[134:135], v[122:123] op_sel:[0,1]
	v_pk_add_f32 v[84:85], v[84:85], v[136:137] neg_lo:[0,1] neg_hi:[0,1]
	s_delay_alu instid0(VALU_DEP_2) | instskip(SKIP_1) | instid1(VALU_DEP_1)
	v_pk_fma_f32 v[136:137], v[134:135], v[124:125], v[132:133] op_sel:[0,0,1] op_sel_hi:[1,1,0] neg_lo:[0,0,1] neg_hi:[0,0,1]
	v_pk_fma_f32 v[132:133], v[134:135], v[124:125], v[132:133] op_sel:[0,0,1] op_sel_hi:[1,0,0]
	v_mov_b32_e32 v137, v133
	ds_load_2addr_b64 v[132:135], v126 offset0:50 offset1:51
	v_pk_add_f32 v[10:11], v[10:11], v[136:137] neg_lo:[0,1] neg_hi:[0,1]
	s_wait_dscnt 0x0
	v_pk_mul_f32 v[136:137], v[132:133], v[122:123] op_sel:[0,1]
	s_delay_alu instid0(VALU_DEP_1) | instskip(SKIP_1) | instid1(VALU_DEP_1)
	v_pk_fma_f32 v[138:139], v[132:133], v[124:125], v[136:137] op_sel:[0,0,1] op_sel_hi:[1,1,0] neg_lo:[0,0,1] neg_hi:[0,0,1]
	v_pk_fma_f32 v[132:133], v[132:133], v[124:125], v[136:137] op_sel:[0,0,1] op_sel_hi:[1,0,0]
	v_mov_b32_e32 v139, v133
	v_pk_mul_f32 v[132:133], v[134:135], v[122:123] op_sel:[0,1]
	s_delay_alu instid0(VALU_DEP_2) | instskip(NEXT) | instid1(VALU_DEP_2)
	v_pk_add_f32 v[12:13], v[12:13], v[138:139] neg_lo:[0,1] neg_hi:[0,1]
	v_pk_fma_f32 v[136:137], v[134:135], v[124:125], v[132:133] op_sel:[0,0,1] op_sel_hi:[1,1,0] neg_lo:[0,0,1] neg_hi:[0,0,1]
	v_pk_fma_f32 v[132:133], v[134:135], v[124:125], v[132:133] op_sel:[0,0,1] op_sel_hi:[1,0,0]
	s_delay_alu instid0(VALU_DEP_1) | instskip(SKIP_4) | instid1(VALU_DEP_1)
	v_mov_b32_e32 v137, v133
	ds_load_2addr_b64 v[132:135], v126 offset0:52 offset1:53
	v_pk_add_f32 v[8:9], v[8:9], v[136:137] neg_lo:[0,1] neg_hi:[0,1]
	s_wait_dscnt 0x0
	v_pk_mul_f32 v[136:137], v[132:133], v[122:123] op_sel:[0,1]
	v_pk_fma_f32 v[138:139], v[132:133], v[124:125], v[136:137] op_sel:[0,0,1] op_sel_hi:[1,1,0] neg_lo:[0,0,1] neg_hi:[0,0,1]
	v_pk_fma_f32 v[132:133], v[132:133], v[124:125], v[136:137] op_sel:[0,0,1] op_sel_hi:[1,0,0]
	v_dual_mul_f32 v136, v135, v123 :: v_dual_mov_b32 v132, v135
	s_delay_alu instid0(VALU_DEP_2) | instskip(NEXT) | instid1(VALU_DEP_2)
	v_dual_mov_b32 v139, v133 :: v_dual_mov_b32 v133, v134
	v_pk_fma_f32 v[136:137], v[134:135], v[30:31], v[136:137] op_sel_hi:[1,1,0] neg_lo:[0,0,1] neg_hi:[0,0,1]
	v_mul_f32_e32 v134, v135, v124
	s_delay_alu instid0(VALU_DEP_3) | instskip(NEXT) | instid1(VALU_DEP_2)
	v_pk_add_f32 v[60:61], v[60:61], v[138:139] neg_lo:[0,1] neg_hi:[0,1]
	v_pk_fma_f32 v[132:133], v[132:133], v[30:31], v[134:135] op_sel_hi:[1,1,0]
	s_delay_alu instid0(VALU_DEP_1) | instskip(SKIP_4) | instid1(VALU_DEP_1)
	v_mov_b32_e32 v137, v133
	ds_load_2addr_b64 v[132:135], v126 offset0:54 offset1:55
	v_pk_add_f32 v[6:7], v[6:7], v[136:137] neg_lo:[0,1] neg_hi:[0,1]
	s_wait_dscnt 0x0
	v_pk_mul_f32 v[136:137], v[132:133], v[122:123] op_sel:[0,1]
	v_pk_fma_f32 v[138:139], v[132:133], v[124:125], v[136:137] op_sel:[0,0,1] op_sel_hi:[1,1,0] neg_lo:[0,0,1] neg_hi:[0,0,1]
	v_pk_fma_f32 v[132:133], v[132:133], v[124:125], v[136:137] op_sel:[0,0,1] op_sel_hi:[1,0,0]
	s_delay_alu instid0(VALU_DEP_1) | instskip(SKIP_1) | instid1(VALU_DEP_1)
	v_mov_b32_e32 v139, v133
	v_pk_mul_f32 v[132:133], v[134:135], v[122:123] op_sel:[0,1]
	v_pk_fma_f32 v[136:137], v[134:135], v[124:125], v[132:133] op_sel:[0,0,1] op_sel_hi:[1,1,0] neg_lo:[0,0,1] neg_hi:[0,0,1]
	v_pk_fma_f32 v[132:133], v[134:135], v[124:125], v[132:133] op_sel:[0,0,1] op_sel_hi:[1,0,0]
	s_delay_alu instid0(VALU_DEP_1)
	v_mov_b32_e32 v137, v133
	ds_load_2addr_b64 v[132:135], v126 offset0:56 offset1:57
	v_pk_add_f32 v[42:43], v[42:43], v[138:139] neg_lo:[0,1] neg_hi:[0,1]
	v_pk_add_f32 v[28:29], v[28:29], v[136:137] neg_lo:[0,1] neg_hi:[0,1]
	s_wait_dscnt 0x0
	v_pk_mul_f32 v[136:137], v[132:133], v[122:123] op_sel:[0,1]
	v_mul_f32_e32 v122, v135, v123
	s_delay_alu instid0(VALU_DEP_2) | instskip(SKIP_2) | instid1(VALU_DEP_4)
	v_pk_fma_f32 v[138:139], v[132:133], v[124:125], v[136:137] op_sel:[0,0,1] op_sel_hi:[1,1,0] neg_lo:[0,0,1] neg_hi:[0,0,1]
	v_pk_fma_f32 v[132:133], v[132:133], v[124:125], v[136:137] op_sel:[0,0,1] op_sel_hi:[1,0,0]
	v_dual_mov_b32 v132, v135 :: v_dual_mul_f32 v124, v135, v124
	v_pk_fma_f32 v[122:123], v[134:135], v[30:31], v[122:123] op_sel_hi:[1,1,0] neg_lo:[0,0,1] neg_hi:[0,0,1]
	s_delay_alu instid0(VALU_DEP_3) | instskip(NEXT) | instid1(VALU_DEP_1)
	v_dual_mov_b32 v139, v133 :: v_dual_mov_b32 v133, v134
	v_pk_add_f32 v[14:15], v[14:15], v[138:139] neg_lo:[0,1] neg_hi:[0,1]
	s_delay_alu instid0(VALU_DEP_2) | instskip(NEXT) | instid1(VALU_DEP_1)
	v_pk_fma_f32 v[124:125], v[132:133], v[30:31], v[124:125] op_sel_hi:[1,1,0]
	v_mov_b32_e32 v123, v125
	s_delay_alu instid0(VALU_DEP_1)
	v_pk_add_f32 v[120:121], v[120:121], v[122:123] neg_lo:[0,1] neg_hi:[0,1]
.LBB114_839:
	s_or_b32 exec_lo, exec_lo, s0
	v_lshl_add_u32 v122, v130, 3, v126
	s_barrier_signal -1
	s_barrier_wait -1
	ds_store_b64 v122, v[90:91]
	s_wait_dscnt 0x0
	s_barrier_signal -1
	s_barrier_wait -1
	ds_load_b64 v[122:123], v126 offset:320
	v_mov_b32_e32 v124, 40
	s_cmp_lt_i32 s18, 42
	s_cbranch_scc1 .LBB114_842
; %bb.840:
	v_add3_u32 v125, v127, 0, 0x148
	v_mov_b32_e32 v124, 40
	s_mov_b32 s0, 41
.LBB114_841:                            ; =>This Inner Loop Header: Depth=1
	ds_load_b64 v[132:133], v125
	s_wait_dscnt 0x1
	v_cmp_gt_f32_e32 vcc_lo, 0, v122
	v_cndmask_b32_e64 v134, v122, -v122, vcc_lo
	v_cmp_gt_f32_e32 vcc_lo, 0, v123
	v_cndmask_b32_e64 v136, v123, -v123, vcc_lo
	s_wait_dscnt 0x0
	v_cmp_gt_f32_e32 vcc_lo, 0, v132
	v_cndmask_b32_e64 v135, v132, -v132, vcc_lo
	v_cmp_gt_f32_e32 vcc_lo, 0, v133
	v_cndmask_b32_e64 v137, v133, -v133, vcc_lo
	s_delay_alu instid0(VALU_DEP_1) | instskip(NEXT) | instid1(VALU_DEP_1)
	v_pk_add_f32 v[134:135], v[134:135], v[136:137]
	v_cmp_lt_f32_e32 vcc_lo, v134, v135
	v_dual_cndmask_b32 v122, v122, v132 :: v_dual_add_nc_u32 v125, 8, v125
	v_cndmask_b32_e32 v123, v123, v133, vcc_lo
	v_cndmask_b32_e64 v124, v124, s0, vcc_lo
	s_add_co_i32 s0, s0, 1
	s_delay_alu instid0(SALU_CYCLE_1)
	s_cmp_lg_u32 s18, s0
	s_cbranch_scc1 .LBB114_841
.LBB114_842:
	s_wait_dscnt 0x0
	v_cmp_eq_f32_e32 vcc_lo, 0, v122
	v_cmp_eq_f32_e64 s0, 0, v123
	s_and_b32 s0, vcc_lo, s0
	s_delay_alu instid0(SALU_CYCLE_1) | instskip(NEXT) | instid1(SALU_CYCLE_1)
	s_and_saveexec_b32 s1, s0
	s_xor_b32 s0, exec_lo, s1
; %bb.843:
	v_cmp_ne_u32_e32 vcc_lo, 0, v128
	v_cndmask_b32_e32 v128, 41, v128, vcc_lo
; %bb.844:
	s_and_not1_saveexec_b32 s0, s0
	s_cbranch_execz .LBB114_850
; %bb.845:
	v_cmp_ngt_f32_e64 s1, |v122|, |v123|
	s_and_saveexec_b32 s12, s1
	s_delay_alu instid0(SALU_CYCLE_1)
	s_xor_b32 s1, exec_lo, s12
	s_cbranch_execz .LBB114_847
; %bb.846:
	v_div_scale_f32 v125, null, v123, v123, v122
	v_div_scale_f32 v133, vcc_lo, v122, v123, v122
	s_delay_alu instid0(VALU_DEP_2) | instskip(SKIP_1) | instid1(TRANS32_DEP_1)
	v_rcp_f32_e32 v131, v125
	v_nop
	v_fma_f32 v132, -v125, v131, 1.0
	s_delay_alu instid0(VALU_DEP_1) | instskip(NEXT) | instid1(VALU_DEP_1)
	v_fmac_f32_e32 v131, v132, v131
	v_mul_f32_e32 v132, v133, v131
	s_delay_alu instid0(VALU_DEP_1) | instskip(NEXT) | instid1(VALU_DEP_1)
	v_fma_f32 v134, -v125, v132, v133
	v_fmac_f32_e32 v132, v134, v131
	s_delay_alu instid0(VALU_DEP_1) | instskip(NEXT) | instid1(VALU_DEP_1)
	v_fma_f32 v125, -v125, v132, v133
	v_div_fmas_f32 v125, v125, v131, v132
	s_delay_alu instid0(VALU_DEP_1) | instskip(NEXT) | instid1(VALU_DEP_1)
	v_div_fixup_f32 v125, v125, v123, v122
	v_fmac_f32_e32 v123, v122, v125
	s_delay_alu instid0(VALU_DEP_1) | instskip(SKIP_1) | instid1(VALU_DEP_2)
	v_div_scale_f32 v122, null, v123, v123, 1.0
	v_div_scale_f32 v133, vcc_lo, 1.0, v123, 1.0
	v_rcp_f32_e32 v131, v122
	v_nop
	s_delay_alu instid0(TRANS32_DEP_1) | instskip(NEXT) | instid1(VALU_DEP_1)
	v_fma_f32 v132, -v122, v131, 1.0
	v_fmac_f32_e32 v131, v132, v131
	s_delay_alu instid0(VALU_DEP_1) | instskip(NEXT) | instid1(VALU_DEP_1)
	v_mul_f32_e32 v132, v133, v131
	v_fma_f32 v134, -v122, v132, v133
	s_delay_alu instid0(VALU_DEP_1) | instskip(NEXT) | instid1(VALU_DEP_1)
	v_fmac_f32_e32 v132, v134, v131
	v_fma_f32 v122, -v122, v132, v133
	s_delay_alu instid0(VALU_DEP_1) | instskip(NEXT) | instid1(VALU_DEP_1)
	v_div_fmas_f32 v122, v122, v131, v132
	v_div_fixup_f32 v123, v122, v123, 1.0
	s_delay_alu instid0(VALU_DEP_1)
	v_mul_f32_e32 v122, v125, v123
	v_xor_b32_e32 v123, 0x80000000, v123
.LBB114_847:
	s_and_not1_saveexec_b32 s1, s1
	s_cbranch_execz .LBB114_849
; %bb.848:
	s_delay_alu instid0(VALU_DEP_1) | instskip(SKIP_1) | instid1(VALU_DEP_2)
	v_div_scale_f32 v125, null, v122, v122, v123
	v_div_scale_f32 v133, vcc_lo, v123, v122, v123
	v_rcp_f32_e32 v131, v125
	v_nop
	s_delay_alu instid0(TRANS32_DEP_1) | instskip(NEXT) | instid1(VALU_DEP_1)
	v_fma_f32 v132, -v125, v131, 1.0
	v_fmac_f32_e32 v131, v132, v131
	s_delay_alu instid0(VALU_DEP_1) | instskip(NEXT) | instid1(VALU_DEP_1)
	v_mul_f32_e32 v132, v133, v131
	v_fma_f32 v134, -v125, v132, v133
	s_delay_alu instid0(VALU_DEP_1) | instskip(NEXT) | instid1(VALU_DEP_1)
	v_fmac_f32_e32 v132, v134, v131
	v_fma_f32 v125, -v125, v132, v133
	s_delay_alu instid0(VALU_DEP_1) | instskip(NEXT) | instid1(VALU_DEP_1)
	v_div_fmas_f32 v125, v125, v131, v132
	v_div_fixup_f32 v125, v125, v122, v123
	s_delay_alu instid0(VALU_DEP_1) | instskip(NEXT) | instid1(VALU_DEP_1)
	v_fmac_f32_e32 v122, v123, v125
	v_div_scale_f32 v123, null, v122, v122, 1.0
	s_delay_alu instid0(VALU_DEP_1) | instskip(SKIP_1) | instid1(TRANS32_DEP_1)
	v_rcp_f32_e32 v131, v123
	v_nop
	v_fma_f32 v132, -v123, v131, 1.0
	s_delay_alu instid0(VALU_DEP_1) | instskip(SKIP_1) | instid1(VALU_DEP_1)
	v_fmac_f32_e32 v131, v132, v131
	v_div_scale_f32 v132, vcc_lo, 1.0, v122, 1.0
	v_mul_f32_e32 v133, v132, v131
	s_delay_alu instid0(VALU_DEP_1) | instskip(NEXT) | instid1(VALU_DEP_1)
	v_fma_f32 v134, -v123, v133, v132
	v_fmac_f32_e32 v133, v134, v131
	s_delay_alu instid0(VALU_DEP_1) | instskip(NEXT) | instid1(VALU_DEP_1)
	v_fma_f32 v123, -v123, v133, v132
	v_div_fmas_f32 v123, v123, v131, v133
	s_delay_alu instid0(VALU_DEP_1) | instskip(NEXT) | instid1(VALU_DEP_1)
	v_div_fixup_f32 v122, v123, v122, 1.0
	v_mul_f32_e64 v123, v125, -v122
.LBB114_849:
	s_or_b32 exec_lo, exec_lo, s1
.LBB114_850:
	s_delay_alu instid0(SALU_CYCLE_1) | instskip(NEXT) | instid1(SALU_CYCLE_1)
	s_or_b32 exec_lo, exec_lo, s0
	s_mov_b32 s0, exec_lo
	v_cmpx_ne_u32_e64 v130, v124
	s_xor_b32 s0, exec_lo, s0
	s_cbranch_execz .LBB114_856
; %bb.851:
	s_mov_b32 s1, exec_lo
	v_cmpx_eq_u32_e32 40, v130
	s_cbranch_execz .LBB114_855
; %bb.852:
	v_cmp_ne_u32_e32 vcc_lo, 40, v124
	s_xor_b32 s12, s16, -1
	s_delay_alu instid0(SALU_CYCLE_1) | instskip(NEXT) | instid1(SALU_CYCLE_1)
	s_and_b32 s13, s12, vcc_lo
	s_and_saveexec_b32 s12, s13
	s_cbranch_execz .LBB114_854
; %bb.853:
	v_ashrrev_i32_e32 v125, 31, v124
	s_delay_alu instid0(VALU_DEP_1)
	v_lshl_add_u64 v[130:131], v[124:125], 2, v[4:5]
	s_clause 0x1
	global_load_b32 v125, v[130:131], off
	global_load_b32 v129, v[4:5], off offset:160
	s_wait_loadcnt 0x1
	global_store_b32 v[4:5], v125, off offset:160
	s_wait_loadcnt 0x0
	global_store_b32 v[130:131], v129, off
.LBB114_854:
	s_wait_xcnt 0x0
	s_or_b32 exec_lo, exec_lo, s12
	v_dual_mov_b32 v130, v124 :: v_dual_mov_b32 v129, v124
.LBB114_855:
	s_or_b32 exec_lo, exec_lo, s1
.LBB114_856:
	s_and_not1_saveexec_b32 s0, s0
	s_cbranch_execz .LBB114_858
; %bb.857:
	v_mov_b32_e32 v130, 40
	ds_store_2addr_b64 v126, v[24:25], v[26:27] offset0:41 offset1:42
	ds_store_2addr_b64 v126, v[22:23], v[88:89] offset0:43 offset1:44
	;; [unrolled: 1-line block ×8, first 2 shown]
	ds_store_b64 v126, v[120:121] offset:456
.LBB114_858:
	s_or_b32 exec_lo, exec_lo, s0
	s_delay_alu instid0(SALU_CYCLE_1)
	s_mov_b32 s0, exec_lo
	s_wait_storecnt_dscnt 0x0
	s_barrier_signal -1
	s_barrier_wait -1
	v_cmpx_lt_i32_e32 40, v130
	s_cbranch_execz .LBB114_860
; %bb.859:
	v_pk_mul_f32 v[132:133], v[122:123], v[90:91] op_sel:[1,1] op_sel_hi:[0,1]
	s_delay_alu instid0(VALU_DEP_1)
	v_pk_fma_f32 v[124:125], v[122:123], v[90:91], v[132:133] op_sel_hi:[1,0,1] neg_lo:[0,0,1] neg_hi:[0,0,1]
	v_pk_fma_f32 v[122:123], v[122:123], v[90:91], v[132:133] op_sel_hi:[1,0,1]
	ds_load_2addr_b64 v[132:135], v126 offset0:41 offset1:42
	v_dual_mov_b32 v90, v124 :: v_dual_mov_b32 v91, v123
	s_wait_dscnt 0x0
	v_pk_mul_f32 v[136:137], v[132:133], v[122:123] op_sel:[0,1]
	s_delay_alu instid0(VALU_DEP_1) | instskip(SKIP_1) | instid1(VALU_DEP_1)
	v_pk_fma_f32 v[138:139], v[132:133], v[124:125], v[136:137] op_sel:[0,0,1] op_sel_hi:[1,1,0] neg_lo:[0,0,1] neg_hi:[0,0,1]
	v_pk_fma_f32 v[132:133], v[132:133], v[124:125], v[136:137] op_sel:[0,0,1] op_sel_hi:[1,0,0]
	v_mov_b32_e32 v139, v133
	v_pk_mul_f32 v[132:133], v[134:135], v[122:123] op_sel:[0,1]
	s_delay_alu instid0(VALU_DEP_1) | instskip(SKIP_1) | instid1(VALU_DEP_1)
	v_pk_fma_f32 v[136:137], v[134:135], v[124:125], v[132:133] op_sel:[0,0,1] op_sel_hi:[1,1,0] neg_lo:[0,0,1] neg_hi:[0,0,1]
	v_pk_fma_f32 v[132:133], v[134:135], v[124:125], v[132:133] op_sel:[0,0,1] op_sel_hi:[1,0,0]
	v_mov_b32_e32 v137, v133
	ds_load_2addr_b64 v[132:135], v126 offset0:43 offset1:44
	v_pk_add_f32 v[24:25], v[24:25], v[138:139] neg_lo:[0,1] neg_hi:[0,1]
	v_pk_add_f32 v[26:27], v[26:27], v[136:137] neg_lo:[0,1] neg_hi:[0,1]
	s_wait_dscnt 0x0
	v_pk_mul_f32 v[136:137], v[132:133], v[122:123] op_sel:[0,1]
	s_delay_alu instid0(VALU_DEP_1) | instskip(SKIP_2) | instid1(VALU_DEP_2)
	v_pk_fma_f32 v[138:139], v[132:133], v[124:125], v[136:137] op_sel:[0,0,1] op_sel_hi:[1,1,0] neg_lo:[0,0,1] neg_hi:[0,0,1]
	v_pk_fma_f32 v[132:133], v[132:133], v[124:125], v[136:137] op_sel:[0,0,1] op_sel_hi:[1,0,0]
	v_dual_mul_f32 v136, v135, v123 :: v_dual_mov_b32 v132, v135
	v_dual_mov_b32 v139, v133 :: v_dual_mov_b32 v133, v134
	s_delay_alu instid0(VALU_DEP_2) | instskip(SKIP_1) | instid1(VALU_DEP_3)
	v_pk_fma_f32 v[136:137], v[134:135], v[90:91], v[136:137] op_sel_hi:[1,1,0] neg_lo:[0,0,1] neg_hi:[0,0,1]
	v_mul_f32_e32 v134, v135, v124
	v_pk_add_f32 v[22:23], v[22:23], v[138:139] neg_lo:[0,1] neg_hi:[0,1]
	s_delay_alu instid0(VALU_DEP_2) | instskip(NEXT) | instid1(VALU_DEP_1)
	v_pk_fma_f32 v[132:133], v[132:133], v[90:91], v[134:135] op_sel_hi:[1,1,0]
	v_mov_b32_e32 v137, v133
	ds_load_2addr_b64 v[132:135], v126 offset0:45 offset1:46
	v_pk_add_f32 v[88:89], v[88:89], v[136:137] neg_lo:[0,1] neg_hi:[0,1]
	s_wait_dscnt 0x0
	v_pk_mul_f32 v[136:137], v[132:133], v[122:123] op_sel:[0,1]
	s_delay_alu instid0(VALU_DEP_1) | instskip(SKIP_1) | instid1(VALU_DEP_1)
	v_pk_fma_f32 v[138:139], v[132:133], v[124:125], v[136:137] op_sel:[0,0,1] op_sel_hi:[1,1,0] neg_lo:[0,0,1] neg_hi:[0,0,1]
	v_pk_fma_f32 v[132:133], v[132:133], v[124:125], v[136:137] op_sel:[0,0,1] op_sel_hi:[1,0,0]
	v_mov_b32_e32 v139, v133
	v_pk_mul_f32 v[132:133], v[134:135], v[122:123] op_sel:[0,1]
	s_delay_alu instid0(VALU_DEP_1) | instskip(SKIP_1) | instid1(VALU_DEP_1)
	v_pk_fma_f32 v[136:137], v[134:135], v[124:125], v[132:133] op_sel:[0,0,1] op_sel_hi:[1,1,0] neg_lo:[0,0,1] neg_hi:[0,0,1]
	v_pk_fma_f32 v[132:133], v[134:135], v[124:125], v[132:133] op_sel:[0,0,1] op_sel_hi:[1,0,0]
	v_mov_b32_e32 v137, v133
	ds_load_2addr_b64 v[132:135], v126 offset0:47 offset1:48
	v_pk_add_f32 v[18:19], v[18:19], v[138:139] neg_lo:[0,1] neg_hi:[0,1]
	v_pk_add_f32 v[20:21], v[20:21], v[136:137] neg_lo:[0,1] neg_hi:[0,1]
	s_wait_dscnt 0x0
	v_pk_mul_f32 v[136:137], v[132:133], v[122:123] op_sel:[0,1]
	s_delay_alu instid0(VALU_DEP_1) | instskip(SKIP_1) | instid1(VALU_DEP_1)
	v_pk_fma_f32 v[138:139], v[132:133], v[124:125], v[136:137] op_sel:[0,0,1] op_sel_hi:[1,1,0] neg_lo:[0,0,1] neg_hi:[0,0,1]
	v_pk_fma_f32 v[132:133], v[132:133], v[124:125], v[136:137] op_sel:[0,0,1] op_sel_hi:[1,0,0]
	v_mov_b32_e32 v139, v133
	v_pk_mul_f32 v[132:133], v[134:135], v[122:123] op_sel:[0,1]
	s_delay_alu instid0(VALU_DEP_1) | instskip(SKIP_1) | instid1(VALU_DEP_1)
	v_pk_fma_f32 v[136:137], v[134:135], v[124:125], v[132:133] op_sel:[0,0,1] op_sel_hi:[1,1,0] neg_lo:[0,0,1] neg_hi:[0,0,1]
	v_pk_fma_f32 v[132:133], v[134:135], v[124:125], v[132:133] op_sel:[0,0,1] op_sel_hi:[1,0,0]
	v_mov_b32_e32 v137, v133
	ds_load_2addr_b64 v[132:135], v126 offset0:49 offset1:50
	v_pk_add_f32 v[16:17], v[16:17], v[138:139] neg_lo:[0,1] neg_hi:[0,1]
	v_pk_add_f32 v[84:85], v[84:85], v[136:137] neg_lo:[0,1] neg_hi:[0,1]
	s_wait_dscnt 0x0
	v_dual_mul_f32 v136, v133, v123 :: v_dual_mul_f32 v138, v133, v124
	s_delay_alu instid0(VALU_DEP_1) | instskip(NEXT) | instid1(VALU_DEP_2)
	v_pk_fma_f32 v[136:137], v[132:133], v[90:91], v[136:137] op_sel_hi:[1,1,0] neg_lo:[0,0,1] neg_hi:[0,0,1]
	v_pk_fma_f32 v[132:133], v[132:133], v[90:91], v[138:139] op_sel:[1,0,0] op_sel_hi:[0,1,0]
	s_delay_alu instid0(VALU_DEP_1) | instskip(SKIP_1) | instid1(VALU_DEP_2)
	v_mov_b32_e32 v137, v133
	v_pk_mul_f32 v[132:133], v[134:135], v[122:123] op_sel:[0,1]
	v_pk_add_f32 v[10:11], v[10:11], v[136:137] neg_lo:[0,1] neg_hi:[0,1]
	s_delay_alu instid0(VALU_DEP_2) | instskip(SKIP_1) | instid1(VALU_DEP_1)
	v_pk_fma_f32 v[136:137], v[134:135], v[124:125], v[132:133] op_sel:[0,0,1] op_sel_hi:[1,1,0] neg_lo:[0,0,1] neg_hi:[0,0,1]
	v_pk_fma_f32 v[132:133], v[134:135], v[124:125], v[132:133] op_sel:[0,0,1] op_sel_hi:[1,0,0]
	v_mov_b32_e32 v137, v133
	ds_load_2addr_b64 v[132:135], v126 offset0:51 offset1:52
	v_pk_add_f32 v[12:13], v[12:13], v[136:137] neg_lo:[0,1] neg_hi:[0,1]
	s_wait_dscnt 0x0
	v_pk_mul_f32 v[136:137], v[132:133], v[122:123] op_sel:[0,1]
	s_delay_alu instid0(VALU_DEP_1) | instskip(SKIP_1) | instid1(VALU_DEP_1)
	v_pk_fma_f32 v[138:139], v[132:133], v[124:125], v[136:137] op_sel:[0,0,1] op_sel_hi:[1,1,0] neg_lo:[0,0,1] neg_hi:[0,0,1]
	v_pk_fma_f32 v[132:133], v[132:133], v[124:125], v[136:137] op_sel:[0,0,1] op_sel_hi:[1,0,0]
	v_mov_b32_e32 v139, v133
	v_pk_mul_f32 v[132:133], v[134:135], v[122:123] op_sel:[0,1]
	s_delay_alu instid0(VALU_DEP_2) | instskip(NEXT) | instid1(VALU_DEP_2)
	v_pk_add_f32 v[8:9], v[8:9], v[138:139] neg_lo:[0,1] neg_hi:[0,1]
	v_pk_fma_f32 v[136:137], v[134:135], v[124:125], v[132:133] op_sel:[0,0,1] op_sel_hi:[1,1,0] neg_lo:[0,0,1] neg_hi:[0,0,1]
	v_pk_fma_f32 v[132:133], v[134:135], v[124:125], v[132:133] op_sel:[0,0,1] op_sel_hi:[1,0,0]
	s_delay_alu instid0(VALU_DEP_1) | instskip(SKIP_4) | instid1(VALU_DEP_1)
	v_mov_b32_e32 v137, v133
	ds_load_2addr_b64 v[132:135], v126 offset0:53 offset1:54
	v_pk_add_f32 v[60:61], v[60:61], v[136:137] neg_lo:[0,1] neg_hi:[0,1]
	s_wait_dscnt 0x0
	v_pk_mul_f32 v[136:137], v[132:133], v[122:123] op_sel:[0,1]
	v_pk_fma_f32 v[138:139], v[132:133], v[124:125], v[136:137] op_sel:[0,0,1] op_sel_hi:[1,1,0] neg_lo:[0,0,1] neg_hi:[0,0,1]
	v_pk_fma_f32 v[132:133], v[132:133], v[124:125], v[136:137] op_sel:[0,0,1] op_sel_hi:[1,0,0]
	v_dual_mul_f32 v136, v135, v123 :: v_dual_mov_b32 v132, v135
	s_delay_alu instid0(VALU_DEP_2) | instskip(NEXT) | instid1(VALU_DEP_2)
	v_dual_mov_b32 v139, v133 :: v_dual_mov_b32 v133, v134
	v_pk_fma_f32 v[136:137], v[134:135], v[90:91], v[136:137] op_sel_hi:[1,1,0] neg_lo:[0,0,1] neg_hi:[0,0,1]
	v_mul_f32_e32 v134, v135, v124
	s_delay_alu instid0(VALU_DEP_3) | instskip(NEXT) | instid1(VALU_DEP_2)
	v_pk_add_f32 v[6:7], v[6:7], v[138:139] neg_lo:[0,1] neg_hi:[0,1]
	v_pk_fma_f32 v[132:133], v[132:133], v[90:91], v[134:135] op_sel_hi:[1,1,0]
	s_delay_alu instid0(VALU_DEP_1) | instskip(SKIP_4) | instid1(VALU_DEP_1)
	v_mov_b32_e32 v137, v133
	ds_load_2addr_b64 v[132:135], v126 offset0:55 offset1:56
	v_pk_add_f32 v[42:43], v[42:43], v[136:137] neg_lo:[0,1] neg_hi:[0,1]
	s_wait_dscnt 0x0
	v_pk_mul_f32 v[136:137], v[132:133], v[122:123] op_sel:[0,1]
	v_pk_fma_f32 v[138:139], v[132:133], v[124:125], v[136:137] op_sel:[0,0,1] op_sel_hi:[1,1,0] neg_lo:[0,0,1] neg_hi:[0,0,1]
	v_pk_fma_f32 v[132:133], v[132:133], v[124:125], v[136:137] op_sel:[0,0,1] op_sel_hi:[1,0,0]
	s_delay_alu instid0(VALU_DEP_1) | instskip(SKIP_1) | instid1(VALU_DEP_1)
	v_mov_b32_e32 v139, v133
	v_pk_mul_f32 v[132:133], v[134:135], v[122:123] op_sel:[0,1]
	v_pk_fma_f32 v[136:137], v[134:135], v[124:125], v[132:133] op_sel:[0,0,1] op_sel_hi:[1,1,0] neg_lo:[0,0,1] neg_hi:[0,0,1]
	v_pk_fma_f32 v[132:133], v[134:135], v[124:125], v[132:133] op_sel:[0,0,1] op_sel_hi:[1,0,0]
	s_delay_alu instid0(VALU_DEP_1)
	v_mov_b32_e32 v137, v133
	ds_load_b64 v[132:133], v126 offset:456
	v_pk_add_f32 v[28:29], v[28:29], v[138:139] neg_lo:[0,1] neg_hi:[0,1]
	v_pk_add_f32 v[14:15], v[14:15], v[136:137] neg_lo:[0,1] neg_hi:[0,1]
	s_wait_dscnt 0x0
	v_pk_mul_f32 v[122:123], v[132:133], v[122:123] op_sel:[0,1]
	s_delay_alu instid0(VALU_DEP_1) | instskip(SKIP_1) | instid1(VALU_DEP_1)
	v_pk_fma_f32 v[134:135], v[132:133], v[124:125], v[122:123] op_sel:[0,0,1] op_sel_hi:[1,1,0] neg_lo:[0,0,1] neg_hi:[0,0,1]
	v_pk_fma_f32 v[122:123], v[132:133], v[124:125], v[122:123] op_sel:[0,0,1] op_sel_hi:[1,0,0]
	v_mov_b32_e32 v135, v123
	s_delay_alu instid0(VALU_DEP_1)
	v_pk_add_f32 v[120:121], v[120:121], v[134:135] neg_lo:[0,1] neg_hi:[0,1]
.LBB114_860:
	s_or_b32 exec_lo, exec_lo, s0
	v_lshl_add_u32 v122, v130, 3, v126
	s_barrier_signal -1
	s_barrier_wait -1
	ds_store_b64 v122, v[24:25]
	s_wait_dscnt 0x0
	s_barrier_signal -1
	s_barrier_wait -1
	ds_load_b64 v[122:123], v126 offset:328
	v_mov_b32_e32 v124, 41
	s_cmp_lt_i32 s18, 43
	s_cbranch_scc1 .LBB114_863
; %bb.861:
	v_add3_u32 v125, v127, 0, 0x150
	v_mov_b32_e32 v124, 41
	s_mov_b32 s0, 42
.LBB114_862:                            ; =>This Inner Loop Header: Depth=1
	ds_load_b64 v[132:133], v125
	s_wait_dscnt 0x1
	v_cmp_gt_f32_e32 vcc_lo, 0, v122
	v_cndmask_b32_e64 v134, v122, -v122, vcc_lo
	v_cmp_gt_f32_e32 vcc_lo, 0, v123
	v_cndmask_b32_e64 v136, v123, -v123, vcc_lo
	s_wait_dscnt 0x0
	v_cmp_gt_f32_e32 vcc_lo, 0, v132
	v_cndmask_b32_e64 v135, v132, -v132, vcc_lo
	v_cmp_gt_f32_e32 vcc_lo, 0, v133
	v_cndmask_b32_e64 v137, v133, -v133, vcc_lo
	s_delay_alu instid0(VALU_DEP_1) | instskip(NEXT) | instid1(VALU_DEP_1)
	v_pk_add_f32 v[134:135], v[134:135], v[136:137]
	v_cmp_lt_f32_e32 vcc_lo, v134, v135
	v_dual_cndmask_b32 v122, v122, v132 :: v_dual_add_nc_u32 v125, 8, v125
	v_cndmask_b32_e32 v123, v123, v133, vcc_lo
	v_cndmask_b32_e64 v124, v124, s0, vcc_lo
	s_add_co_i32 s0, s0, 1
	s_delay_alu instid0(SALU_CYCLE_1)
	s_cmp_lg_u32 s18, s0
	s_cbranch_scc1 .LBB114_862
.LBB114_863:
	s_wait_dscnt 0x0
	v_cmp_eq_f32_e32 vcc_lo, 0, v122
	v_cmp_eq_f32_e64 s0, 0, v123
	s_and_b32 s0, vcc_lo, s0
	s_delay_alu instid0(SALU_CYCLE_1) | instskip(NEXT) | instid1(SALU_CYCLE_1)
	s_and_saveexec_b32 s1, s0
	s_xor_b32 s0, exec_lo, s1
; %bb.864:
	v_cmp_ne_u32_e32 vcc_lo, 0, v128
	v_cndmask_b32_e32 v128, 42, v128, vcc_lo
; %bb.865:
	s_and_not1_saveexec_b32 s0, s0
	s_cbranch_execz .LBB114_871
; %bb.866:
	v_cmp_ngt_f32_e64 s1, |v122|, |v123|
	s_and_saveexec_b32 s12, s1
	s_delay_alu instid0(SALU_CYCLE_1)
	s_xor_b32 s1, exec_lo, s12
	s_cbranch_execz .LBB114_868
; %bb.867:
	v_div_scale_f32 v125, null, v123, v123, v122
	v_div_scale_f32 v133, vcc_lo, v122, v123, v122
	s_delay_alu instid0(VALU_DEP_2) | instskip(SKIP_1) | instid1(TRANS32_DEP_1)
	v_rcp_f32_e32 v131, v125
	v_nop
	v_fma_f32 v132, -v125, v131, 1.0
	s_delay_alu instid0(VALU_DEP_1) | instskip(NEXT) | instid1(VALU_DEP_1)
	v_fmac_f32_e32 v131, v132, v131
	v_mul_f32_e32 v132, v133, v131
	s_delay_alu instid0(VALU_DEP_1) | instskip(NEXT) | instid1(VALU_DEP_1)
	v_fma_f32 v134, -v125, v132, v133
	v_fmac_f32_e32 v132, v134, v131
	s_delay_alu instid0(VALU_DEP_1) | instskip(NEXT) | instid1(VALU_DEP_1)
	v_fma_f32 v125, -v125, v132, v133
	v_div_fmas_f32 v125, v125, v131, v132
	s_delay_alu instid0(VALU_DEP_1) | instskip(NEXT) | instid1(VALU_DEP_1)
	v_div_fixup_f32 v125, v125, v123, v122
	v_fmac_f32_e32 v123, v122, v125
	s_delay_alu instid0(VALU_DEP_1) | instskip(SKIP_1) | instid1(VALU_DEP_2)
	v_div_scale_f32 v122, null, v123, v123, 1.0
	v_div_scale_f32 v133, vcc_lo, 1.0, v123, 1.0
	v_rcp_f32_e32 v131, v122
	v_nop
	s_delay_alu instid0(TRANS32_DEP_1) | instskip(NEXT) | instid1(VALU_DEP_1)
	v_fma_f32 v132, -v122, v131, 1.0
	v_fmac_f32_e32 v131, v132, v131
	s_delay_alu instid0(VALU_DEP_1) | instskip(NEXT) | instid1(VALU_DEP_1)
	v_mul_f32_e32 v132, v133, v131
	v_fma_f32 v134, -v122, v132, v133
	s_delay_alu instid0(VALU_DEP_1) | instskip(NEXT) | instid1(VALU_DEP_1)
	v_fmac_f32_e32 v132, v134, v131
	v_fma_f32 v122, -v122, v132, v133
	s_delay_alu instid0(VALU_DEP_1) | instskip(NEXT) | instid1(VALU_DEP_1)
	v_div_fmas_f32 v122, v122, v131, v132
	v_div_fixup_f32 v123, v122, v123, 1.0
	s_delay_alu instid0(VALU_DEP_1)
	v_mul_f32_e32 v122, v125, v123
	v_xor_b32_e32 v123, 0x80000000, v123
.LBB114_868:
	s_and_not1_saveexec_b32 s1, s1
	s_cbranch_execz .LBB114_870
; %bb.869:
	s_delay_alu instid0(VALU_DEP_1) | instskip(SKIP_1) | instid1(VALU_DEP_2)
	v_div_scale_f32 v125, null, v122, v122, v123
	v_div_scale_f32 v133, vcc_lo, v123, v122, v123
	v_rcp_f32_e32 v131, v125
	v_nop
	s_delay_alu instid0(TRANS32_DEP_1) | instskip(NEXT) | instid1(VALU_DEP_1)
	v_fma_f32 v132, -v125, v131, 1.0
	v_fmac_f32_e32 v131, v132, v131
	s_delay_alu instid0(VALU_DEP_1) | instskip(NEXT) | instid1(VALU_DEP_1)
	v_mul_f32_e32 v132, v133, v131
	v_fma_f32 v134, -v125, v132, v133
	s_delay_alu instid0(VALU_DEP_1) | instskip(NEXT) | instid1(VALU_DEP_1)
	v_fmac_f32_e32 v132, v134, v131
	v_fma_f32 v125, -v125, v132, v133
	s_delay_alu instid0(VALU_DEP_1) | instskip(NEXT) | instid1(VALU_DEP_1)
	v_div_fmas_f32 v125, v125, v131, v132
	v_div_fixup_f32 v125, v125, v122, v123
	s_delay_alu instid0(VALU_DEP_1) | instskip(NEXT) | instid1(VALU_DEP_1)
	v_fmac_f32_e32 v122, v123, v125
	v_div_scale_f32 v123, null, v122, v122, 1.0
	s_delay_alu instid0(VALU_DEP_1) | instskip(SKIP_1) | instid1(TRANS32_DEP_1)
	v_rcp_f32_e32 v131, v123
	v_nop
	v_fma_f32 v132, -v123, v131, 1.0
	s_delay_alu instid0(VALU_DEP_1) | instskip(SKIP_1) | instid1(VALU_DEP_1)
	v_fmac_f32_e32 v131, v132, v131
	v_div_scale_f32 v132, vcc_lo, 1.0, v122, 1.0
	v_mul_f32_e32 v133, v132, v131
	s_delay_alu instid0(VALU_DEP_1) | instskip(NEXT) | instid1(VALU_DEP_1)
	v_fma_f32 v134, -v123, v133, v132
	v_fmac_f32_e32 v133, v134, v131
	s_delay_alu instid0(VALU_DEP_1) | instskip(NEXT) | instid1(VALU_DEP_1)
	v_fma_f32 v123, -v123, v133, v132
	v_div_fmas_f32 v123, v123, v131, v133
	s_delay_alu instid0(VALU_DEP_1) | instskip(NEXT) | instid1(VALU_DEP_1)
	v_div_fixup_f32 v122, v123, v122, 1.0
	v_mul_f32_e64 v123, v125, -v122
.LBB114_870:
	s_or_b32 exec_lo, exec_lo, s1
.LBB114_871:
	s_delay_alu instid0(SALU_CYCLE_1) | instskip(NEXT) | instid1(SALU_CYCLE_1)
	s_or_b32 exec_lo, exec_lo, s0
	s_mov_b32 s0, exec_lo
	v_cmpx_ne_u32_e64 v130, v124
	s_xor_b32 s0, exec_lo, s0
	s_cbranch_execz .LBB114_877
; %bb.872:
	s_mov_b32 s1, exec_lo
	v_cmpx_eq_u32_e32 41, v130
	s_cbranch_execz .LBB114_876
; %bb.873:
	v_cmp_ne_u32_e32 vcc_lo, 41, v124
	s_xor_b32 s12, s16, -1
	s_delay_alu instid0(SALU_CYCLE_1) | instskip(NEXT) | instid1(SALU_CYCLE_1)
	s_and_b32 s13, s12, vcc_lo
	s_and_saveexec_b32 s12, s13
	s_cbranch_execz .LBB114_875
; %bb.874:
	v_ashrrev_i32_e32 v125, 31, v124
	s_delay_alu instid0(VALU_DEP_1)
	v_lshl_add_u64 v[130:131], v[124:125], 2, v[4:5]
	s_clause 0x1
	global_load_b32 v125, v[130:131], off
	global_load_b32 v129, v[4:5], off offset:164
	s_wait_loadcnt 0x1
	global_store_b32 v[4:5], v125, off offset:164
	s_wait_loadcnt 0x0
	global_store_b32 v[130:131], v129, off
.LBB114_875:
	s_wait_xcnt 0x0
	s_or_b32 exec_lo, exec_lo, s12
	v_dual_mov_b32 v130, v124 :: v_dual_mov_b32 v129, v124
.LBB114_876:
	s_or_b32 exec_lo, exec_lo, s1
.LBB114_877:
	s_and_not1_saveexec_b32 s0, s0
	s_cbranch_execz .LBB114_879
; %bb.878:
	v_dual_mov_b32 v124, v26 :: v_dual_mov_b32 v125, v27
	v_dual_mov_b32 v130, v22 :: v_dual_mov_b32 v131, v23
	;; [unrolled: 1-line block ×8, first 2 shown]
	ds_store_2addr_b64 v126, v[124:125], v[130:131] offset0:42 offset1:43
	ds_store_2addr_b64 v126, v[132:133], v[134:135] offset0:44 offset1:45
	;; [unrolled: 1-line block ×4, first 2 shown]
	v_dual_mov_b32 v124, v12 :: v_dual_mov_b32 v125, v13
	v_dual_mov_b32 v132, v8 :: v_dual_mov_b32 v133, v9
	;; [unrolled: 1-line block ×7, first 2 shown]
	v_mov_b32_e32 v143, v15
	ds_store_2addr_b64 v126, v[124:125], v[132:133] offset0:50 offset1:51
	ds_store_2addr_b64 v126, v[134:135], v[136:137] offset0:52 offset1:53
	;; [unrolled: 1-line block ×4, first 2 shown]
.LBB114_879:
	s_or_b32 exec_lo, exec_lo, s0
	s_delay_alu instid0(SALU_CYCLE_1)
	s_mov_b32 s0, exec_lo
	s_wait_storecnt_dscnt 0x0
	s_barrier_signal -1
	s_barrier_wait -1
	v_cmpx_lt_i32_e32 41, v130
	s_cbranch_execz .LBB114_881
; %bb.880:
	v_pk_mul_f32 v[132:133], v[122:123], v[24:25] op_sel:[1,1] op_sel_hi:[0,1]
	s_delay_alu instid0(VALU_DEP_1)
	v_pk_fma_f32 v[124:125], v[122:123], v[24:25], v[132:133] op_sel_hi:[1,0,1] neg_lo:[0,0,1] neg_hi:[0,0,1]
	v_pk_fma_f32 v[122:123], v[122:123], v[24:25], v[132:133] op_sel_hi:[1,0,1]
	ds_load_2addr_b64 v[132:135], v126 offset0:42 offset1:43
	v_dual_mov_b32 v24, v124 :: v_dual_mov_b32 v25, v123
	s_wait_dscnt 0x0
	v_pk_mul_f32 v[136:137], v[132:133], v[122:123] op_sel:[0,1]
	s_delay_alu instid0(VALU_DEP_1) | instskip(SKIP_1) | instid1(VALU_DEP_1)
	v_pk_fma_f32 v[138:139], v[132:133], v[124:125], v[136:137] op_sel:[0,0,1] op_sel_hi:[1,1,0] neg_lo:[0,0,1] neg_hi:[0,0,1]
	v_pk_fma_f32 v[132:133], v[132:133], v[124:125], v[136:137] op_sel:[0,0,1] op_sel_hi:[1,0,0]
	v_mov_b32_e32 v139, v133
	v_pk_mul_f32 v[132:133], v[134:135], v[122:123] op_sel:[0,1]
	s_delay_alu instid0(VALU_DEP_1) | instskip(SKIP_1) | instid1(VALU_DEP_1)
	v_pk_fma_f32 v[136:137], v[134:135], v[124:125], v[132:133] op_sel:[0,0,1] op_sel_hi:[1,1,0] neg_lo:[0,0,1] neg_hi:[0,0,1]
	v_pk_fma_f32 v[132:133], v[134:135], v[124:125], v[132:133] op_sel:[0,0,1] op_sel_hi:[1,0,0]
	v_mov_b32_e32 v137, v133
	ds_load_2addr_b64 v[132:135], v126 offset0:44 offset1:45
	v_pk_add_f32 v[26:27], v[26:27], v[138:139] neg_lo:[0,1] neg_hi:[0,1]
	v_pk_add_f32 v[22:23], v[22:23], v[136:137] neg_lo:[0,1] neg_hi:[0,1]
	s_wait_dscnt 0x0
	v_pk_mul_f32 v[136:137], v[132:133], v[122:123] op_sel:[0,1]
	s_delay_alu instid0(VALU_DEP_1) | instskip(SKIP_2) | instid1(VALU_DEP_2)
	v_pk_fma_f32 v[138:139], v[132:133], v[124:125], v[136:137] op_sel:[0,0,1] op_sel_hi:[1,1,0] neg_lo:[0,0,1] neg_hi:[0,0,1]
	v_pk_fma_f32 v[132:133], v[132:133], v[124:125], v[136:137] op_sel:[0,0,1] op_sel_hi:[1,0,0]
	v_dual_mul_f32 v136, v135, v123 :: v_dual_mov_b32 v132, v135
	v_dual_mov_b32 v139, v133 :: v_dual_mov_b32 v133, v134
	s_delay_alu instid0(VALU_DEP_2) | instskip(SKIP_1) | instid1(VALU_DEP_3)
	v_pk_fma_f32 v[136:137], v[134:135], v[24:25], v[136:137] op_sel_hi:[1,1,0] neg_lo:[0,0,1] neg_hi:[0,0,1]
	v_mul_f32_e32 v134, v135, v124
	v_pk_add_f32 v[88:89], v[88:89], v[138:139] neg_lo:[0,1] neg_hi:[0,1]
	s_delay_alu instid0(VALU_DEP_2) | instskip(NEXT) | instid1(VALU_DEP_1)
	v_pk_fma_f32 v[132:133], v[132:133], v[24:25], v[134:135] op_sel_hi:[1,1,0]
	v_mov_b32_e32 v137, v133
	ds_load_2addr_b64 v[132:135], v126 offset0:46 offset1:47
	v_pk_add_f32 v[18:19], v[18:19], v[136:137] neg_lo:[0,1] neg_hi:[0,1]
	s_wait_dscnt 0x0
	v_pk_mul_f32 v[136:137], v[132:133], v[122:123] op_sel:[0,1]
	s_delay_alu instid0(VALU_DEP_1) | instskip(SKIP_1) | instid1(VALU_DEP_1)
	v_pk_fma_f32 v[138:139], v[132:133], v[124:125], v[136:137] op_sel:[0,0,1] op_sel_hi:[1,1,0] neg_lo:[0,0,1] neg_hi:[0,0,1]
	v_pk_fma_f32 v[132:133], v[132:133], v[124:125], v[136:137] op_sel:[0,0,1] op_sel_hi:[1,0,0]
	v_mov_b32_e32 v139, v133
	v_pk_mul_f32 v[132:133], v[134:135], v[122:123] op_sel:[0,1]
	s_delay_alu instid0(VALU_DEP_1) | instskip(SKIP_1) | instid1(VALU_DEP_1)
	v_pk_fma_f32 v[136:137], v[134:135], v[124:125], v[132:133] op_sel:[0,0,1] op_sel_hi:[1,1,0] neg_lo:[0,0,1] neg_hi:[0,0,1]
	v_pk_fma_f32 v[132:133], v[134:135], v[124:125], v[132:133] op_sel:[0,0,1] op_sel_hi:[1,0,0]
	v_mov_b32_e32 v137, v133
	ds_load_2addr_b64 v[132:135], v126 offset0:48 offset1:49
	v_pk_add_f32 v[20:21], v[20:21], v[138:139] neg_lo:[0,1] neg_hi:[0,1]
	v_pk_add_f32 v[16:17], v[16:17], v[136:137] neg_lo:[0,1] neg_hi:[0,1]
	s_wait_dscnt 0x0
	v_pk_mul_f32 v[136:137], v[132:133], v[122:123] op_sel:[0,1]
	s_delay_alu instid0(VALU_DEP_1) | instskip(SKIP_1) | instid1(VALU_DEP_1)
	v_pk_fma_f32 v[138:139], v[132:133], v[124:125], v[136:137] op_sel:[0,0,1] op_sel_hi:[1,1,0] neg_lo:[0,0,1] neg_hi:[0,0,1]
	v_pk_fma_f32 v[132:133], v[132:133], v[124:125], v[136:137] op_sel:[0,0,1] op_sel_hi:[1,0,0]
	v_mov_b32_e32 v139, v133
	v_pk_mul_f32 v[132:133], v[134:135], v[122:123] op_sel:[0,1]
	s_delay_alu instid0(VALU_DEP_1) | instskip(SKIP_1) | instid1(VALU_DEP_1)
	v_pk_fma_f32 v[136:137], v[134:135], v[124:125], v[132:133] op_sel:[0,0,1] op_sel_hi:[1,1,0] neg_lo:[0,0,1] neg_hi:[0,0,1]
	v_pk_fma_f32 v[132:133], v[134:135], v[124:125], v[132:133] op_sel:[0,0,1] op_sel_hi:[1,0,0]
	v_mov_b32_e32 v137, v133
	ds_load_2addr_b64 v[132:135], v126 offset0:50 offset1:51
	v_pk_add_f32 v[84:85], v[84:85], v[138:139] neg_lo:[0,1] neg_hi:[0,1]
	v_pk_add_f32 v[10:11], v[10:11], v[136:137] neg_lo:[0,1] neg_hi:[0,1]
	s_wait_dscnt 0x0
	v_dual_mul_f32 v136, v133, v123 :: v_dual_mul_f32 v138, v133, v124
	s_delay_alu instid0(VALU_DEP_1) | instskip(NEXT) | instid1(VALU_DEP_2)
	v_pk_fma_f32 v[136:137], v[132:133], v[24:25], v[136:137] op_sel_hi:[1,1,0] neg_lo:[0,0,1] neg_hi:[0,0,1]
	v_pk_fma_f32 v[132:133], v[132:133], v[24:25], v[138:139] op_sel:[1,0,0] op_sel_hi:[0,1,0]
	s_delay_alu instid0(VALU_DEP_1) | instskip(SKIP_1) | instid1(VALU_DEP_2)
	v_mov_b32_e32 v137, v133
	v_pk_mul_f32 v[132:133], v[134:135], v[122:123] op_sel:[0,1]
	v_pk_add_f32 v[12:13], v[12:13], v[136:137] neg_lo:[0,1] neg_hi:[0,1]
	s_delay_alu instid0(VALU_DEP_2) | instskip(SKIP_1) | instid1(VALU_DEP_1)
	v_pk_fma_f32 v[136:137], v[134:135], v[124:125], v[132:133] op_sel:[0,0,1] op_sel_hi:[1,1,0] neg_lo:[0,0,1] neg_hi:[0,0,1]
	v_pk_fma_f32 v[132:133], v[134:135], v[124:125], v[132:133] op_sel:[0,0,1] op_sel_hi:[1,0,0]
	v_mov_b32_e32 v137, v133
	ds_load_2addr_b64 v[132:135], v126 offset0:52 offset1:53
	v_pk_add_f32 v[8:9], v[8:9], v[136:137] neg_lo:[0,1] neg_hi:[0,1]
	s_wait_dscnt 0x0
	v_pk_mul_f32 v[136:137], v[132:133], v[122:123] op_sel:[0,1]
	s_delay_alu instid0(VALU_DEP_1) | instskip(SKIP_1) | instid1(VALU_DEP_1)
	v_pk_fma_f32 v[138:139], v[132:133], v[124:125], v[136:137] op_sel:[0,0,1] op_sel_hi:[1,1,0] neg_lo:[0,0,1] neg_hi:[0,0,1]
	v_pk_fma_f32 v[132:133], v[132:133], v[124:125], v[136:137] op_sel:[0,0,1] op_sel_hi:[1,0,0]
	v_mov_b32_e32 v139, v133
	v_pk_mul_f32 v[132:133], v[134:135], v[122:123] op_sel:[0,1]
	s_delay_alu instid0(VALU_DEP_2) | instskip(NEXT) | instid1(VALU_DEP_2)
	v_pk_add_f32 v[60:61], v[60:61], v[138:139] neg_lo:[0,1] neg_hi:[0,1]
	v_pk_fma_f32 v[136:137], v[134:135], v[124:125], v[132:133] op_sel:[0,0,1] op_sel_hi:[1,1,0] neg_lo:[0,0,1] neg_hi:[0,0,1]
	v_pk_fma_f32 v[132:133], v[134:135], v[124:125], v[132:133] op_sel:[0,0,1] op_sel_hi:[1,0,0]
	s_delay_alu instid0(VALU_DEP_1) | instskip(SKIP_4) | instid1(VALU_DEP_1)
	v_mov_b32_e32 v137, v133
	ds_load_2addr_b64 v[132:135], v126 offset0:54 offset1:55
	v_pk_add_f32 v[6:7], v[6:7], v[136:137] neg_lo:[0,1] neg_hi:[0,1]
	s_wait_dscnt 0x0
	v_pk_mul_f32 v[136:137], v[132:133], v[122:123] op_sel:[0,1]
	v_pk_fma_f32 v[138:139], v[132:133], v[124:125], v[136:137] op_sel:[0,0,1] op_sel_hi:[1,1,0] neg_lo:[0,0,1] neg_hi:[0,0,1]
	v_pk_fma_f32 v[132:133], v[132:133], v[124:125], v[136:137] op_sel:[0,0,1] op_sel_hi:[1,0,0]
	v_dual_mul_f32 v136, v135, v123 :: v_dual_mov_b32 v132, v135
	s_delay_alu instid0(VALU_DEP_2) | instskip(NEXT) | instid1(VALU_DEP_2)
	v_dual_mov_b32 v139, v133 :: v_dual_mov_b32 v133, v134
	v_pk_fma_f32 v[136:137], v[134:135], v[24:25], v[136:137] op_sel_hi:[1,1,0] neg_lo:[0,0,1] neg_hi:[0,0,1]
	v_mul_f32_e32 v134, v135, v124
	s_delay_alu instid0(VALU_DEP_3) | instskip(NEXT) | instid1(VALU_DEP_2)
	v_pk_add_f32 v[42:43], v[42:43], v[138:139] neg_lo:[0,1] neg_hi:[0,1]
	v_pk_fma_f32 v[132:133], v[132:133], v[24:25], v[134:135] op_sel_hi:[1,1,0]
	s_delay_alu instid0(VALU_DEP_1)
	v_mov_b32_e32 v137, v133
	ds_load_2addr_b64 v[132:135], v126 offset0:56 offset1:57
	v_pk_add_f32 v[28:29], v[28:29], v[136:137] neg_lo:[0,1] neg_hi:[0,1]
	s_wait_dscnt 0x0
	v_pk_mul_f32 v[136:137], v[132:133], v[122:123] op_sel:[0,1]
	v_pk_mul_f32 v[122:123], v[134:135], v[122:123] op_sel:[0,1]
	s_delay_alu instid0(VALU_DEP_2) | instskip(SKIP_1) | instid1(VALU_DEP_1)
	v_pk_fma_f32 v[138:139], v[132:133], v[124:125], v[136:137] op_sel:[0,0,1] op_sel_hi:[1,1,0] neg_lo:[0,0,1] neg_hi:[0,0,1]
	v_pk_fma_f32 v[132:133], v[132:133], v[124:125], v[136:137] op_sel:[0,0,1] op_sel_hi:[1,0,0]
	v_mov_b32_e32 v139, v133
	s_delay_alu instid0(VALU_DEP_4) | instskip(SKIP_1) | instid1(VALU_DEP_1)
	v_pk_fma_f32 v[132:133], v[134:135], v[124:125], v[122:123] op_sel:[0,0,1] op_sel_hi:[1,1,0] neg_lo:[0,0,1] neg_hi:[0,0,1]
	v_pk_fma_f32 v[122:123], v[134:135], v[124:125], v[122:123] op_sel:[0,0,1] op_sel_hi:[1,0,0]
	v_mov_b32_e32 v133, v123
	s_delay_alu instid0(VALU_DEP_4) | instskip(NEXT) | instid1(VALU_DEP_2)
	v_pk_add_f32 v[14:15], v[14:15], v[138:139] neg_lo:[0,1] neg_hi:[0,1]
	v_pk_add_f32 v[120:121], v[120:121], v[132:133] neg_lo:[0,1] neg_hi:[0,1]
.LBB114_881:
	s_or_b32 exec_lo, exec_lo, s0
	v_lshl_add_u32 v122, v130, 3, v126
	s_barrier_signal -1
	s_barrier_wait -1
	ds_store_b64 v122, v[26:27]
	s_wait_dscnt 0x0
	s_barrier_signal -1
	s_barrier_wait -1
	ds_load_b64 v[122:123], v126 offset:336
	v_mov_b32_e32 v124, 42
	s_cmp_lt_i32 s18, 44
	s_cbranch_scc1 .LBB114_884
; %bb.882:
	v_add3_u32 v125, v127, 0, 0x158
	v_mov_b32_e32 v124, 42
	s_mov_b32 s0, 43
.LBB114_883:                            ; =>This Inner Loop Header: Depth=1
	ds_load_b64 v[132:133], v125
	s_wait_dscnt 0x1
	v_cmp_gt_f32_e32 vcc_lo, 0, v122
	v_cndmask_b32_e64 v134, v122, -v122, vcc_lo
	v_cmp_gt_f32_e32 vcc_lo, 0, v123
	v_cndmask_b32_e64 v136, v123, -v123, vcc_lo
	s_wait_dscnt 0x0
	v_cmp_gt_f32_e32 vcc_lo, 0, v132
	v_cndmask_b32_e64 v135, v132, -v132, vcc_lo
	v_cmp_gt_f32_e32 vcc_lo, 0, v133
	v_cndmask_b32_e64 v137, v133, -v133, vcc_lo
	s_delay_alu instid0(VALU_DEP_1) | instskip(NEXT) | instid1(VALU_DEP_1)
	v_pk_add_f32 v[134:135], v[134:135], v[136:137]
	v_cmp_lt_f32_e32 vcc_lo, v134, v135
	v_dual_cndmask_b32 v122, v122, v132 :: v_dual_add_nc_u32 v125, 8, v125
	v_cndmask_b32_e32 v123, v123, v133, vcc_lo
	v_cndmask_b32_e64 v124, v124, s0, vcc_lo
	s_add_co_i32 s0, s0, 1
	s_delay_alu instid0(SALU_CYCLE_1)
	s_cmp_lg_u32 s18, s0
	s_cbranch_scc1 .LBB114_883
.LBB114_884:
	s_wait_dscnt 0x0
	v_cmp_eq_f32_e32 vcc_lo, 0, v122
	v_cmp_eq_f32_e64 s0, 0, v123
	s_and_b32 s0, vcc_lo, s0
	s_delay_alu instid0(SALU_CYCLE_1) | instskip(NEXT) | instid1(SALU_CYCLE_1)
	s_and_saveexec_b32 s1, s0
	s_xor_b32 s0, exec_lo, s1
; %bb.885:
	v_cmp_ne_u32_e32 vcc_lo, 0, v128
	v_cndmask_b32_e32 v128, 43, v128, vcc_lo
; %bb.886:
	s_and_not1_saveexec_b32 s0, s0
	s_cbranch_execz .LBB114_892
; %bb.887:
	v_cmp_ngt_f32_e64 s1, |v122|, |v123|
	s_and_saveexec_b32 s12, s1
	s_delay_alu instid0(SALU_CYCLE_1)
	s_xor_b32 s1, exec_lo, s12
	s_cbranch_execz .LBB114_889
; %bb.888:
	v_div_scale_f32 v125, null, v123, v123, v122
	v_div_scale_f32 v133, vcc_lo, v122, v123, v122
	s_delay_alu instid0(VALU_DEP_2) | instskip(SKIP_1) | instid1(TRANS32_DEP_1)
	v_rcp_f32_e32 v131, v125
	v_nop
	v_fma_f32 v132, -v125, v131, 1.0
	s_delay_alu instid0(VALU_DEP_1) | instskip(NEXT) | instid1(VALU_DEP_1)
	v_fmac_f32_e32 v131, v132, v131
	v_mul_f32_e32 v132, v133, v131
	s_delay_alu instid0(VALU_DEP_1) | instskip(NEXT) | instid1(VALU_DEP_1)
	v_fma_f32 v134, -v125, v132, v133
	v_fmac_f32_e32 v132, v134, v131
	s_delay_alu instid0(VALU_DEP_1) | instskip(NEXT) | instid1(VALU_DEP_1)
	v_fma_f32 v125, -v125, v132, v133
	v_div_fmas_f32 v125, v125, v131, v132
	s_delay_alu instid0(VALU_DEP_1) | instskip(NEXT) | instid1(VALU_DEP_1)
	v_div_fixup_f32 v125, v125, v123, v122
	v_fmac_f32_e32 v123, v122, v125
	s_delay_alu instid0(VALU_DEP_1) | instskip(SKIP_1) | instid1(VALU_DEP_2)
	v_div_scale_f32 v122, null, v123, v123, 1.0
	v_div_scale_f32 v133, vcc_lo, 1.0, v123, 1.0
	v_rcp_f32_e32 v131, v122
	v_nop
	s_delay_alu instid0(TRANS32_DEP_1) | instskip(NEXT) | instid1(VALU_DEP_1)
	v_fma_f32 v132, -v122, v131, 1.0
	v_fmac_f32_e32 v131, v132, v131
	s_delay_alu instid0(VALU_DEP_1) | instskip(NEXT) | instid1(VALU_DEP_1)
	v_mul_f32_e32 v132, v133, v131
	v_fma_f32 v134, -v122, v132, v133
	s_delay_alu instid0(VALU_DEP_1) | instskip(NEXT) | instid1(VALU_DEP_1)
	v_fmac_f32_e32 v132, v134, v131
	v_fma_f32 v122, -v122, v132, v133
	s_delay_alu instid0(VALU_DEP_1) | instskip(NEXT) | instid1(VALU_DEP_1)
	v_div_fmas_f32 v122, v122, v131, v132
	v_div_fixup_f32 v123, v122, v123, 1.0
	s_delay_alu instid0(VALU_DEP_1)
	v_mul_f32_e32 v122, v125, v123
	v_xor_b32_e32 v123, 0x80000000, v123
.LBB114_889:
	s_and_not1_saveexec_b32 s1, s1
	s_cbranch_execz .LBB114_891
; %bb.890:
	s_delay_alu instid0(VALU_DEP_1) | instskip(SKIP_1) | instid1(VALU_DEP_2)
	v_div_scale_f32 v125, null, v122, v122, v123
	v_div_scale_f32 v133, vcc_lo, v123, v122, v123
	v_rcp_f32_e32 v131, v125
	v_nop
	s_delay_alu instid0(TRANS32_DEP_1) | instskip(NEXT) | instid1(VALU_DEP_1)
	v_fma_f32 v132, -v125, v131, 1.0
	v_fmac_f32_e32 v131, v132, v131
	s_delay_alu instid0(VALU_DEP_1) | instskip(NEXT) | instid1(VALU_DEP_1)
	v_mul_f32_e32 v132, v133, v131
	v_fma_f32 v134, -v125, v132, v133
	s_delay_alu instid0(VALU_DEP_1) | instskip(NEXT) | instid1(VALU_DEP_1)
	v_fmac_f32_e32 v132, v134, v131
	v_fma_f32 v125, -v125, v132, v133
	s_delay_alu instid0(VALU_DEP_1) | instskip(NEXT) | instid1(VALU_DEP_1)
	v_div_fmas_f32 v125, v125, v131, v132
	v_div_fixup_f32 v125, v125, v122, v123
	s_delay_alu instid0(VALU_DEP_1) | instskip(NEXT) | instid1(VALU_DEP_1)
	v_fmac_f32_e32 v122, v123, v125
	v_div_scale_f32 v123, null, v122, v122, 1.0
	s_delay_alu instid0(VALU_DEP_1) | instskip(SKIP_1) | instid1(TRANS32_DEP_1)
	v_rcp_f32_e32 v131, v123
	v_nop
	v_fma_f32 v132, -v123, v131, 1.0
	s_delay_alu instid0(VALU_DEP_1) | instskip(SKIP_1) | instid1(VALU_DEP_1)
	v_fmac_f32_e32 v131, v132, v131
	v_div_scale_f32 v132, vcc_lo, 1.0, v122, 1.0
	v_mul_f32_e32 v133, v132, v131
	s_delay_alu instid0(VALU_DEP_1) | instskip(NEXT) | instid1(VALU_DEP_1)
	v_fma_f32 v134, -v123, v133, v132
	v_fmac_f32_e32 v133, v134, v131
	s_delay_alu instid0(VALU_DEP_1) | instskip(NEXT) | instid1(VALU_DEP_1)
	v_fma_f32 v123, -v123, v133, v132
	v_div_fmas_f32 v123, v123, v131, v133
	s_delay_alu instid0(VALU_DEP_1) | instskip(NEXT) | instid1(VALU_DEP_1)
	v_div_fixup_f32 v122, v123, v122, 1.0
	v_mul_f32_e64 v123, v125, -v122
.LBB114_891:
	s_or_b32 exec_lo, exec_lo, s1
.LBB114_892:
	s_delay_alu instid0(SALU_CYCLE_1) | instskip(NEXT) | instid1(SALU_CYCLE_1)
	s_or_b32 exec_lo, exec_lo, s0
	s_mov_b32 s0, exec_lo
	v_cmpx_ne_u32_e64 v130, v124
	s_xor_b32 s0, exec_lo, s0
	s_cbranch_execz .LBB114_898
; %bb.893:
	s_mov_b32 s1, exec_lo
	v_cmpx_eq_u32_e32 42, v130
	s_cbranch_execz .LBB114_897
; %bb.894:
	v_cmp_ne_u32_e32 vcc_lo, 42, v124
	s_xor_b32 s12, s16, -1
	s_delay_alu instid0(SALU_CYCLE_1) | instskip(NEXT) | instid1(SALU_CYCLE_1)
	s_and_b32 s13, s12, vcc_lo
	s_and_saveexec_b32 s12, s13
	s_cbranch_execz .LBB114_896
; %bb.895:
	v_ashrrev_i32_e32 v125, 31, v124
	s_delay_alu instid0(VALU_DEP_1)
	v_lshl_add_u64 v[130:131], v[124:125], 2, v[4:5]
	s_clause 0x1
	global_load_b32 v125, v[130:131], off
	global_load_b32 v129, v[4:5], off offset:168
	s_wait_loadcnt 0x1
	global_store_b32 v[4:5], v125, off offset:168
	s_wait_loadcnt 0x0
	global_store_b32 v[130:131], v129, off
.LBB114_896:
	s_wait_xcnt 0x0
	s_or_b32 exec_lo, exec_lo, s12
	v_dual_mov_b32 v130, v124 :: v_dual_mov_b32 v129, v124
.LBB114_897:
	s_or_b32 exec_lo, exec_lo, s1
.LBB114_898:
	s_and_not1_saveexec_b32 s0, s0
	s_cbranch_execz .LBB114_900
; %bb.899:
	v_mov_b32_e32 v130, 42
	ds_store_2addr_b64 v126, v[22:23], v[88:89] offset0:43 offset1:44
	ds_store_2addr_b64 v126, v[18:19], v[20:21] offset0:45 offset1:46
	;; [unrolled: 1-line block ×7, first 2 shown]
	ds_store_b64 v126, v[120:121] offset:456
.LBB114_900:
	s_or_b32 exec_lo, exec_lo, s0
	s_delay_alu instid0(SALU_CYCLE_1)
	s_mov_b32 s0, exec_lo
	s_wait_storecnt_dscnt 0x0
	s_barrier_signal -1
	s_barrier_wait -1
	v_cmpx_lt_i32_e32 42, v130
	s_cbranch_execz .LBB114_902
; %bb.901:
	v_pk_mul_f32 v[132:133], v[122:123], v[26:27] op_sel:[1,1] op_sel_hi:[0,1]
	s_delay_alu instid0(VALU_DEP_1)
	v_pk_fma_f32 v[124:125], v[122:123], v[26:27], v[132:133] op_sel_hi:[1,0,1] neg_lo:[0,0,1] neg_hi:[0,0,1]
	v_pk_fma_f32 v[122:123], v[122:123], v[26:27], v[132:133] op_sel_hi:[1,0,1]
	ds_load_2addr_b64 v[132:135], v126 offset0:43 offset1:44
	v_dual_mov_b32 v26, v124 :: v_dual_mov_b32 v27, v123
	s_wait_dscnt 0x0
	v_pk_mul_f32 v[136:137], v[132:133], v[122:123] op_sel:[0,1]
	s_delay_alu instid0(VALU_DEP_1) | instskip(SKIP_1) | instid1(VALU_DEP_1)
	v_pk_fma_f32 v[138:139], v[132:133], v[124:125], v[136:137] op_sel:[0,0,1] op_sel_hi:[1,1,0] neg_lo:[0,0,1] neg_hi:[0,0,1]
	v_pk_fma_f32 v[132:133], v[132:133], v[124:125], v[136:137] op_sel:[0,0,1] op_sel_hi:[1,0,0]
	v_mov_b32_e32 v139, v133
	v_pk_mul_f32 v[132:133], v[134:135], v[122:123] op_sel:[0,1]
	s_delay_alu instid0(VALU_DEP_1) | instskip(SKIP_1) | instid1(VALU_DEP_1)
	v_pk_fma_f32 v[136:137], v[134:135], v[124:125], v[132:133] op_sel:[0,0,1] op_sel_hi:[1,1,0] neg_lo:[0,0,1] neg_hi:[0,0,1]
	v_pk_fma_f32 v[132:133], v[134:135], v[124:125], v[132:133] op_sel:[0,0,1] op_sel_hi:[1,0,0]
	v_mov_b32_e32 v137, v133
	ds_load_2addr_b64 v[132:135], v126 offset0:45 offset1:46
	v_pk_add_f32 v[22:23], v[22:23], v[138:139] neg_lo:[0,1] neg_hi:[0,1]
	v_pk_add_f32 v[88:89], v[88:89], v[136:137] neg_lo:[0,1] neg_hi:[0,1]
	s_wait_dscnt 0x0
	v_pk_mul_f32 v[136:137], v[132:133], v[122:123] op_sel:[0,1]
	s_delay_alu instid0(VALU_DEP_1) | instskip(SKIP_2) | instid1(VALU_DEP_2)
	v_pk_fma_f32 v[138:139], v[132:133], v[124:125], v[136:137] op_sel:[0,0,1] op_sel_hi:[1,1,0] neg_lo:[0,0,1] neg_hi:[0,0,1]
	v_pk_fma_f32 v[132:133], v[132:133], v[124:125], v[136:137] op_sel:[0,0,1] op_sel_hi:[1,0,0]
	v_dual_mul_f32 v136, v135, v123 :: v_dual_mov_b32 v132, v135
	v_dual_mov_b32 v139, v133 :: v_dual_mov_b32 v133, v134
	s_delay_alu instid0(VALU_DEP_2) | instskip(SKIP_1) | instid1(VALU_DEP_3)
	v_pk_fma_f32 v[136:137], v[134:135], v[26:27], v[136:137] op_sel_hi:[1,1,0] neg_lo:[0,0,1] neg_hi:[0,0,1]
	v_mul_f32_e32 v134, v135, v124
	v_pk_add_f32 v[18:19], v[18:19], v[138:139] neg_lo:[0,1] neg_hi:[0,1]
	s_delay_alu instid0(VALU_DEP_2) | instskip(NEXT) | instid1(VALU_DEP_1)
	v_pk_fma_f32 v[132:133], v[132:133], v[26:27], v[134:135] op_sel_hi:[1,1,0]
	v_mov_b32_e32 v137, v133
	ds_load_2addr_b64 v[132:135], v126 offset0:47 offset1:48
	v_pk_add_f32 v[20:21], v[20:21], v[136:137] neg_lo:[0,1] neg_hi:[0,1]
	s_wait_dscnt 0x0
	v_pk_mul_f32 v[136:137], v[132:133], v[122:123] op_sel:[0,1]
	s_delay_alu instid0(VALU_DEP_1) | instskip(SKIP_1) | instid1(VALU_DEP_1)
	v_pk_fma_f32 v[138:139], v[132:133], v[124:125], v[136:137] op_sel:[0,0,1] op_sel_hi:[1,1,0] neg_lo:[0,0,1] neg_hi:[0,0,1]
	v_pk_fma_f32 v[132:133], v[132:133], v[124:125], v[136:137] op_sel:[0,0,1] op_sel_hi:[1,0,0]
	v_mov_b32_e32 v139, v133
	v_pk_mul_f32 v[132:133], v[134:135], v[122:123] op_sel:[0,1]
	s_delay_alu instid0(VALU_DEP_1) | instskip(SKIP_1) | instid1(VALU_DEP_1)
	v_pk_fma_f32 v[136:137], v[134:135], v[124:125], v[132:133] op_sel:[0,0,1] op_sel_hi:[1,1,0] neg_lo:[0,0,1] neg_hi:[0,0,1]
	v_pk_fma_f32 v[132:133], v[134:135], v[124:125], v[132:133] op_sel:[0,0,1] op_sel_hi:[1,0,0]
	v_mov_b32_e32 v137, v133
	ds_load_2addr_b64 v[132:135], v126 offset0:49 offset1:50
	v_pk_add_f32 v[16:17], v[16:17], v[138:139] neg_lo:[0,1] neg_hi:[0,1]
	v_pk_add_f32 v[84:85], v[84:85], v[136:137] neg_lo:[0,1] neg_hi:[0,1]
	s_wait_dscnt 0x0
	v_pk_mul_f32 v[136:137], v[132:133], v[122:123] op_sel:[0,1]
	s_delay_alu instid0(VALU_DEP_1) | instskip(SKIP_1) | instid1(VALU_DEP_1)
	v_pk_fma_f32 v[138:139], v[132:133], v[124:125], v[136:137] op_sel:[0,0,1] op_sel_hi:[1,1,0] neg_lo:[0,0,1] neg_hi:[0,0,1]
	v_pk_fma_f32 v[132:133], v[132:133], v[124:125], v[136:137] op_sel:[0,0,1] op_sel_hi:[1,0,0]
	v_mov_b32_e32 v139, v133
	v_pk_mul_f32 v[132:133], v[134:135], v[122:123] op_sel:[0,1]
	s_delay_alu instid0(VALU_DEP_1) | instskip(SKIP_1) | instid1(VALU_DEP_1)
	v_pk_fma_f32 v[136:137], v[134:135], v[124:125], v[132:133] op_sel:[0,0,1] op_sel_hi:[1,1,0] neg_lo:[0,0,1] neg_hi:[0,0,1]
	v_pk_fma_f32 v[132:133], v[134:135], v[124:125], v[132:133] op_sel:[0,0,1] op_sel_hi:[1,0,0]
	v_mov_b32_e32 v137, v133
	ds_load_2addr_b64 v[132:135], v126 offset0:51 offset1:52
	v_pk_add_f32 v[10:11], v[10:11], v[138:139] neg_lo:[0,1] neg_hi:[0,1]
	v_pk_add_f32 v[12:13], v[12:13], v[136:137] neg_lo:[0,1] neg_hi:[0,1]
	s_wait_dscnt 0x0
	v_dual_mul_f32 v136, v133, v123 :: v_dual_mul_f32 v138, v133, v124
	s_delay_alu instid0(VALU_DEP_1) | instskip(NEXT) | instid1(VALU_DEP_2)
	v_pk_fma_f32 v[136:137], v[132:133], v[26:27], v[136:137] op_sel_hi:[1,1,0] neg_lo:[0,0,1] neg_hi:[0,0,1]
	v_pk_fma_f32 v[132:133], v[132:133], v[26:27], v[138:139] op_sel:[1,0,0] op_sel_hi:[0,1,0]
	s_delay_alu instid0(VALU_DEP_1) | instskip(SKIP_1) | instid1(VALU_DEP_2)
	v_mov_b32_e32 v137, v133
	v_pk_mul_f32 v[132:133], v[134:135], v[122:123] op_sel:[0,1]
	v_pk_add_f32 v[8:9], v[8:9], v[136:137] neg_lo:[0,1] neg_hi:[0,1]
	s_delay_alu instid0(VALU_DEP_2) | instskip(SKIP_1) | instid1(VALU_DEP_1)
	v_pk_fma_f32 v[136:137], v[134:135], v[124:125], v[132:133] op_sel:[0,0,1] op_sel_hi:[1,1,0] neg_lo:[0,0,1] neg_hi:[0,0,1]
	v_pk_fma_f32 v[132:133], v[134:135], v[124:125], v[132:133] op_sel:[0,0,1] op_sel_hi:[1,0,0]
	v_mov_b32_e32 v137, v133
	ds_load_2addr_b64 v[132:135], v126 offset0:53 offset1:54
	v_pk_add_f32 v[60:61], v[60:61], v[136:137] neg_lo:[0,1] neg_hi:[0,1]
	s_wait_dscnt 0x0
	v_pk_mul_f32 v[136:137], v[132:133], v[122:123] op_sel:[0,1]
	s_delay_alu instid0(VALU_DEP_1) | instskip(SKIP_1) | instid1(VALU_DEP_1)
	v_pk_fma_f32 v[138:139], v[132:133], v[124:125], v[136:137] op_sel:[0,0,1] op_sel_hi:[1,1,0] neg_lo:[0,0,1] neg_hi:[0,0,1]
	v_pk_fma_f32 v[132:133], v[132:133], v[124:125], v[136:137] op_sel:[0,0,1] op_sel_hi:[1,0,0]
	v_mov_b32_e32 v139, v133
	v_pk_mul_f32 v[132:133], v[134:135], v[122:123] op_sel:[0,1]
	s_delay_alu instid0(VALU_DEP_2) | instskip(NEXT) | instid1(VALU_DEP_2)
	v_pk_add_f32 v[6:7], v[6:7], v[138:139] neg_lo:[0,1] neg_hi:[0,1]
	v_pk_fma_f32 v[136:137], v[134:135], v[124:125], v[132:133] op_sel:[0,0,1] op_sel_hi:[1,1,0] neg_lo:[0,0,1] neg_hi:[0,0,1]
	v_pk_fma_f32 v[132:133], v[134:135], v[124:125], v[132:133] op_sel:[0,0,1] op_sel_hi:[1,0,0]
	s_delay_alu instid0(VALU_DEP_1) | instskip(SKIP_4) | instid1(VALU_DEP_1)
	v_mov_b32_e32 v137, v133
	ds_load_2addr_b64 v[132:135], v126 offset0:55 offset1:56
	v_pk_add_f32 v[42:43], v[42:43], v[136:137] neg_lo:[0,1] neg_hi:[0,1]
	s_wait_dscnt 0x0
	v_pk_mul_f32 v[136:137], v[132:133], v[122:123] op_sel:[0,1]
	v_pk_fma_f32 v[138:139], v[132:133], v[124:125], v[136:137] op_sel:[0,0,1] op_sel_hi:[1,1,0] neg_lo:[0,0,1] neg_hi:[0,0,1]
	v_pk_fma_f32 v[132:133], v[132:133], v[124:125], v[136:137] op_sel:[0,0,1] op_sel_hi:[1,0,0]
	v_dual_mul_f32 v136, v135, v123 :: v_dual_mov_b32 v132, v135
	s_delay_alu instid0(VALU_DEP_2) | instskip(NEXT) | instid1(VALU_DEP_2)
	v_dual_mov_b32 v139, v133 :: v_dual_mov_b32 v133, v134
	v_pk_fma_f32 v[136:137], v[134:135], v[26:27], v[136:137] op_sel_hi:[1,1,0] neg_lo:[0,0,1] neg_hi:[0,0,1]
	v_mul_f32_e32 v134, v135, v124
	s_delay_alu instid0(VALU_DEP_3) | instskip(NEXT) | instid1(VALU_DEP_2)
	v_pk_add_f32 v[28:29], v[28:29], v[138:139] neg_lo:[0,1] neg_hi:[0,1]
	v_pk_fma_f32 v[132:133], v[132:133], v[26:27], v[134:135] op_sel_hi:[1,1,0]
	s_delay_alu instid0(VALU_DEP_1) | instskip(SKIP_4) | instid1(VALU_DEP_1)
	v_mov_b32_e32 v137, v133
	ds_load_b64 v[132:133], v126 offset:456
	v_pk_add_f32 v[14:15], v[14:15], v[136:137] neg_lo:[0,1] neg_hi:[0,1]
	s_wait_dscnt 0x0
	v_pk_mul_f32 v[122:123], v[132:133], v[122:123] op_sel:[0,1]
	v_pk_fma_f32 v[134:135], v[132:133], v[124:125], v[122:123] op_sel:[0,0,1] op_sel_hi:[1,1,0] neg_lo:[0,0,1] neg_hi:[0,0,1]
	v_pk_fma_f32 v[122:123], v[132:133], v[124:125], v[122:123] op_sel:[0,0,1] op_sel_hi:[1,0,0]
	s_delay_alu instid0(VALU_DEP_1) | instskip(NEXT) | instid1(VALU_DEP_1)
	v_mov_b32_e32 v135, v123
	v_pk_add_f32 v[120:121], v[120:121], v[134:135] neg_lo:[0,1] neg_hi:[0,1]
.LBB114_902:
	s_or_b32 exec_lo, exec_lo, s0
	v_lshl_add_u32 v122, v130, 3, v126
	s_barrier_signal -1
	s_barrier_wait -1
	ds_store_b64 v122, v[22:23]
	s_wait_dscnt 0x0
	s_barrier_signal -1
	s_barrier_wait -1
	ds_load_b64 v[122:123], v126 offset:344
	v_mov_b32_e32 v124, 43
	s_cmp_lt_i32 s18, 45
	s_cbranch_scc1 .LBB114_905
; %bb.903:
	v_add3_u32 v125, v127, 0, 0x160
	v_mov_b32_e32 v124, 43
	s_mov_b32 s0, 44
.LBB114_904:                            ; =>This Inner Loop Header: Depth=1
	ds_load_b64 v[132:133], v125
	s_wait_dscnt 0x1
	v_cmp_gt_f32_e32 vcc_lo, 0, v122
	v_cndmask_b32_e64 v134, v122, -v122, vcc_lo
	v_cmp_gt_f32_e32 vcc_lo, 0, v123
	v_cndmask_b32_e64 v136, v123, -v123, vcc_lo
	s_wait_dscnt 0x0
	v_cmp_gt_f32_e32 vcc_lo, 0, v132
	v_cndmask_b32_e64 v135, v132, -v132, vcc_lo
	v_cmp_gt_f32_e32 vcc_lo, 0, v133
	v_cndmask_b32_e64 v137, v133, -v133, vcc_lo
	s_delay_alu instid0(VALU_DEP_1) | instskip(NEXT) | instid1(VALU_DEP_1)
	v_pk_add_f32 v[134:135], v[134:135], v[136:137]
	v_cmp_lt_f32_e32 vcc_lo, v134, v135
	v_dual_cndmask_b32 v122, v122, v132 :: v_dual_add_nc_u32 v125, 8, v125
	v_cndmask_b32_e32 v123, v123, v133, vcc_lo
	v_cndmask_b32_e64 v124, v124, s0, vcc_lo
	s_add_co_i32 s0, s0, 1
	s_delay_alu instid0(SALU_CYCLE_1)
	s_cmp_lg_u32 s18, s0
	s_cbranch_scc1 .LBB114_904
.LBB114_905:
	s_wait_dscnt 0x0
	v_cmp_eq_f32_e32 vcc_lo, 0, v122
	v_cmp_eq_f32_e64 s0, 0, v123
	s_and_b32 s0, vcc_lo, s0
	s_delay_alu instid0(SALU_CYCLE_1) | instskip(NEXT) | instid1(SALU_CYCLE_1)
	s_and_saveexec_b32 s1, s0
	s_xor_b32 s0, exec_lo, s1
; %bb.906:
	v_cmp_ne_u32_e32 vcc_lo, 0, v128
	v_cndmask_b32_e32 v128, 44, v128, vcc_lo
; %bb.907:
	s_and_not1_saveexec_b32 s0, s0
	s_cbranch_execz .LBB114_913
; %bb.908:
	v_cmp_ngt_f32_e64 s1, |v122|, |v123|
	s_and_saveexec_b32 s12, s1
	s_delay_alu instid0(SALU_CYCLE_1)
	s_xor_b32 s1, exec_lo, s12
	s_cbranch_execz .LBB114_910
; %bb.909:
	v_div_scale_f32 v125, null, v123, v123, v122
	v_div_scale_f32 v133, vcc_lo, v122, v123, v122
	s_delay_alu instid0(VALU_DEP_2) | instskip(SKIP_1) | instid1(TRANS32_DEP_1)
	v_rcp_f32_e32 v131, v125
	v_nop
	v_fma_f32 v132, -v125, v131, 1.0
	s_delay_alu instid0(VALU_DEP_1) | instskip(NEXT) | instid1(VALU_DEP_1)
	v_fmac_f32_e32 v131, v132, v131
	v_mul_f32_e32 v132, v133, v131
	s_delay_alu instid0(VALU_DEP_1) | instskip(NEXT) | instid1(VALU_DEP_1)
	v_fma_f32 v134, -v125, v132, v133
	v_fmac_f32_e32 v132, v134, v131
	s_delay_alu instid0(VALU_DEP_1) | instskip(NEXT) | instid1(VALU_DEP_1)
	v_fma_f32 v125, -v125, v132, v133
	v_div_fmas_f32 v125, v125, v131, v132
	s_delay_alu instid0(VALU_DEP_1) | instskip(NEXT) | instid1(VALU_DEP_1)
	v_div_fixup_f32 v125, v125, v123, v122
	v_fmac_f32_e32 v123, v122, v125
	s_delay_alu instid0(VALU_DEP_1) | instskip(SKIP_1) | instid1(VALU_DEP_2)
	v_div_scale_f32 v122, null, v123, v123, 1.0
	v_div_scale_f32 v133, vcc_lo, 1.0, v123, 1.0
	v_rcp_f32_e32 v131, v122
	v_nop
	s_delay_alu instid0(TRANS32_DEP_1) | instskip(NEXT) | instid1(VALU_DEP_1)
	v_fma_f32 v132, -v122, v131, 1.0
	v_fmac_f32_e32 v131, v132, v131
	s_delay_alu instid0(VALU_DEP_1) | instskip(NEXT) | instid1(VALU_DEP_1)
	v_mul_f32_e32 v132, v133, v131
	v_fma_f32 v134, -v122, v132, v133
	s_delay_alu instid0(VALU_DEP_1) | instskip(NEXT) | instid1(VALU_DEP_1)
	v_fmac_f32_e32 v132, v134, v131
	v_fma_f32 v122, -v122, v132, v133
	s_delay_alu instid0(VALU_DEP_1) | instskip(NEXT) | instid1(VALU_DEP_1)
	v_div_fmas_f32 v122, v122, v131, v132
	v_div_fixup_f32 v123, v122, v123, 1.0
	s_delay_alu instid0(VALU_DEP_1)
	v_mul_f32_e32 v122, v125, v123
	v_xor_b32_e32 v123, 0x80000000, v123
.LBB114_910:
	s_and_not1_saveexec_b32 s1, s1
	s_cbranch_execz .LBB114_912
; %bb.911:
	s_delay_alu instid0(VALU_DEP_1) | instskip(SKIP_1) | instid1(VALU_DEP_2)
	v_div_scale_f32 v125, null, v122, v122, v123
	v_div_scale_f32 v133, vcc_lo, v123, v122, v123
	v_rcp_f32_e32 v131, v125
	v_nop
	s_delay_alu instid0(TRANS32_DEP_1) | instskip(NEXT) | instid1(VALU_DEP_1)
	v_fma_f32 v132, -v125, v131, 1.0
	v_fmac_f32_e32 v131, v132, v131
	s_delay_alu instid0(VALU_DEP_1) | instskip(NEXT) | instid1(VALU_DEP_1)
	v_mul_f32_e32 v132, v133, v131
	v_fma_f32 v134, -v125, v132, v133
	s_delay_alu instid0(VALU_DEP_1) | instskip(NEXT) | instid1(VALU_DEP_1)
	v_fmac_f32_e32 v132, v134, v131
	v_fma_f32 v125, -v125, v132, v133
	s_delay_alu instid0(VALU_DEP_1) | instskip(NEXT) | instid1(VALU_DEP_1)
	v_div_fmas_f32 v125, v125, v131, v132
	v_div_fixup_f32 v125, v125, v122, v123
	s_delay_alu instid0(VALU_DEP_1) | instskip(NEXT) | instid1(VALU_DEP_1)
	v_fmac_f32_e32 v122, v123, v125
	v_div_scale_f32 v123, null, v122, v122, 1.0
	s_delay_alu instid0(VALU_DEP_1) | instskip(SKIP_1) | instid1(TRANS32_DEP_1)
	v_rcp_f32_e32 v131, v123
	v_nop
	v_fma_f32 v132, -v123, v131, 1.0
	s_delay_alu instid0(VALU_DEP_1) | instskip(SKIP_1) | instid1(VALU_DEP_1)
	v_fmac_f32_e32 v131, v132, v131
	v_div_scale_f32 v132, vcc_lo, 1.0, v122, 1.0
	v_mul_f32_e32 v133, v132, v131
	s_delay_alu instid0(VALU_DEP_1) | instskip(NEXT) | instid1(VALU_DEP_1)
	v_fma_f32 v134, -v123, v133, v132
	v_fmac_f32_e32 v133, v134, v131
	s_delay_alu instid0(VALU_DEP_1) | instskip(NEXT) | instid1(VALU_DEP_1)
	v_fma_f32 v123, -v123, v133, v132
	v_div_fmas_f32 v123, v123, v131, v133
	s_delay_alu instid0(VALU_DEP_1) | instskip(NEXT) | instid1(VALU_DEP_1)
	v_div_fixup_f32 v122, v123, v122, 1.0
	v_mul_f32_e64 v123, v125, -v122
.LBB114_912:
	s_or_b32 exec_lo, exec_lo, s1
.LBB114_913:
	s_delay_alu instid0(SALU_CYCLE_1) | instskip(NEXT) | instid1(SALU_CYCLE_1)
	s_or_b32 exec_lo, exec_lo, s0
	s_mov_b32 s0, exec_lo
	v_cmpx_ne_u32_e64 v130, v124
	s_xor_b32 s0, exec_lo, s0
	s_cbranch_execz .LBB114_919
; %bb.914:
	s_mov_b32 s1, exec_lo
	v_cmpx_eq_u32_e32 43, v130
	s_cbranch_execz .LBB114_918
; %bb.915:
	v_cmp_ne_u32_e32 vcc_lo, 43, v124
	s_xor_b32 s12, s16, -1
	s_delay_alu instid0(SALU_CYCLE_1) | instskip(NEXT) | instid1(SALU_CYCLE_1)
	s_and_b32 s13, s12, vcc_lo
	s_and_saveexec_b32 s12, s13
	s_cbranch_execz .LBB114_917
; %bb.916:
	v_ashrrev_i32_e32 v125, 31, v124
	s_delay_alu instid0(VALU_DEP_1)
	v_lshl_add_u64 v[130:131], v[124:125], 2, v[4:5]
	s_clause 0x1
	global_load_b32 v125, v[130:131], off
	global_load_b32 v129, v[4:5], off offset:172
	s_wait_loadcnt 0x1
	global_store_b32 v[4:5], v125, off offset:172
	s_wait_loadcnt 0x0
	global_store_b32 v[130:131], v129, off
.LBB114_917:
	s_wait_xcnt 0x0
	s_or_b32 exec_lo, exec_lo, s12
	v_dual_mov_b32 v130, v124 :: v_dual_mov_b32 v129, v124
.LBB114_918:
	s_or_b32 exec_lo, exec_lo, s1
.LBB114_919:
	s_and_not1_saveexec_b32 s0, s0
	s_cbranch_execz .LBB114_921
; %bb.920:
	v_dual_mov_b32 v124, v88 :: v_dual_mov_b32 v125, v89
	v_dual_mov_b32 v130, v18 :: v_dual_mov_b32 v131, v19
	ds_store_2addr_b64 v126, v[124:125], v[130:131] offset0:44 offset1:45
	v_dual_mov_b32 v124, v20 :: v_dual_mov_b32 v125, v21
	v_dual_mov_b32 v130, v16 :: v_dual_mov_b32 v131, v17
	ds_store_2addr_b64 v126, v[124:125], v[130:131] offset0:46 offset1:47
	;; [unrolled: 3-line block ×6, first 2 shown]
	v_dual_mov_b32 v124, v14 :: v_dual_mov_b32 v125, v15
	v_mov_b32_e32 v130, 43
	ds_store_2addr_b64 v126, v[124:125], v[120:121] offset0:56 offset1:57
.LBB114_921:
	s_or_b32 exec_lo, exec_lo, s0
	s_delay_alu instid0(SALU_CYCLE_1)
	s_mov_b32 s0, exec_lo
	s_wait_storecnt_dscnt 0x0
	s_barrier_signal -1
	s_barrier_wait -1
	v_cmpx_lt_i32_e32 43, v130
	s_cbranch_execz .LBB114_923
; %bb.922:
	v_pk_mul_f32 v[124:125], v[122:123], v[22:23] op_sel:[1,1] op_sel_hi:[0,1]
	s_delay_alu instid0(VALU_DEP_1)
	v_pk_fma_f32 v[132:133], v[122:123], v[22:23], v[124:125] op_sel_hi:[1,0,1] neg_lo:[0,0,1] neg_hi:[0,0,1]
	v_pk_fma_f32 v[134:135], v[122:123], v[22:23], v[124:125] op_sel_hi:[1,0,1]
	ds_load_2addr_b64 v[122:125], v126 offset0:44 offset1:45
	v_dual_mov_b32 v22, v132 :: v_dual_mov_b32 v23, v135
	s_wait_dscnt 0x0
	v_pk_mul_f32 v[136:137], v[122:123], v[134:135] op_sel:[0,1]
	s_delay_alu instid0(VALU_DEP_1) | instskip(SKIP_1) | instid1(VALU_DEP_1)
	v_pk_fma_f32 v[138:139], v[122:123], v[132:133], v[136:137] op_sel:[0,0,1] op_sel_hi:[1,1,0] neg_lo:[0,0,1] neg_hi:[0,0,1]
	v_pk_fma_f32 v[122:123], v[122:123], v[132:133], v[136:137] op_sel:[0,0,1] op_sel_hi:[1,0,0]
	v_mov_b32_e32 v139, v123
	v_pk_mul_f32 v[122:123], v[124:125], v[134:135] op_sel:[0,1]
	s_delay_alu instid0(VALU_DEP_1) | instskip(SKIP_1) | instid1(VALU_DEP_1)
	v_pk_fma_f32 v[136:137], v[124:125], v[132:133], v[122:123] op_sel:[0,0,1] op_sel_hi:[1,1,0] neg_lo:[0,0,1] neg_hi:[0,0,1]
	v_pk_fma_f32 v[122:123], v[124:125], v[132:133], v[122:123] op_sel:[0,0,1] op_sel_hi:[1,0,0]
	v_mov_b32_e32 v137, v123
	ds_load_2addr_b64 v[122:125], v126 offset0:46 offset1:47
	v_pk_add_f32 v[88:89], v[88:89], v[138:139] neg_lo:[0,1] neg_hi:[0,1]
	v_pk_add_f32 v[18:19], v[18:19], v[136:137] neg_lo:[0,1] neg_hi:[0,1]
	s_wait_dscnt 0x0
	v_pk_mul_f32 v[136:137], v[122:123], v[134:135] op_sel:[0,1]
	s_delay_alu instid0(VALU_DEP_1) | instskip(SKIP_2) | instid1(VALU_DEP_2)
	v_pk_fma_f32 v[138:139], v[122:123], v[132:133], v[136:137] op_sel:[0,0,1] op_sel_hi:[1,1,0] neg_lo:[0,0,1] neg_hi:[0,0,1]
	v_pk_fma_f32 v[122:123], v[122:123], v[132:133], v[136:137] op_sel:[0,0,1] op_sel_hi:[1,0,0]
	v_dual_mul_f32 v136, v125, v135 :: v_dual_mov_b32 v122, v125
	v_dual_mov_b32 v139, v123 :: v_dual_mov_b32 v123, v124
	s_delay_alu instid0(VALU_DEP_2) | instskip(SKIP_1) | instid1(VALU_DEP_3)
	v_pk_fma_f32 v[136:137], v[124:125], v[22:23], v[136:137] op_sel_hi:[1,1,0] neg_lo:[0,0,1] neg_hi:[0,0,1]
	v_mul_f32_e32 v124, v125, v132
	v_pk_add_f32 v[20:21], v[20:21], v[138:139] neg_lo:[0,1] neg_hi:[0,1]
	s_delay_alu instid0(VALU_DEP_2) | instskip(NEXT) | instid1(VALU_DEP_1)
	v_pk_fma_f32 v[122:123], v[122:123], v[22:23], v[124:125] op_sel_hi:[1,1,0]
	v_mov_b32_e32 v137, v123
	ds_load_2addr_b64 v[122:125], v126 offset0:48 offset1:49
	v_pk_add_f32 v[16:17], v[16:17], v[136:137] neg_lo:[0,1] neg_hi:[0,1]
	s_wait_dscnt 0x0
	v_pk_mul_f32 v[136:137], v[122:123], v[134:135] op_sel:[0,1]
	s_delay_alu instid0(VALU_DEP_1) | instskip(SKIP_1) | instid1(VALU_DEP_1)
	v_pk_fma_f32 v[138:139], v[122:123], v[132:133], v[136:137] op_sel:[0,0,1] op_sel_hi:[1,1,0] neg_lo:[0,0,1] neg_hi:[0,0,1]
	v_pk_fma_f32 v[122:123], v[122:123], v[132:133], v[136:137] op_sel:[0,0,1] op_sel_hi:[1,0,0]
	v_mov_b32_e32 v139, v123
	v_pk_mul_f32 v[122:123], v[124:125], v[134:135] op_sel:[0,1]
	s_delay_alu instid0(VALU_DEP_1) | instskip(SKIP_1) | instid1(VALU_DEP_1)
	v_pk_fma_f32 v[136:137], v[124:125], v[132:133], v[122:123] op_sel:[0,0,1] op_sel_hi:[1,1,0] neg_lo:[0,0,1] neg_hi:[0,0,1]
	v_pk_fma_f32 v[122:123], v[124:125], v[132:133], v[122:123] op_sel:[0,0,1] op_sel_hi:[1,0,0]
	v_mov_b32_e32 v137, v123
	ds_load_2addr_b64 v[122:125], v126 offset0:50 offset1:51
	v_pk_add_f32 v[84:85], v[84:85], v[138:139] neg_lo:[0,1] neg_hi:[0,1]
	v_pk_add_f32 v[10:11], v[10:11], v[136:137] neg_lo:[0,1] neg_hi:[0,1]
	s_wait_dscnt 0x0
	v_pk_mul_f32 v[136:137], v[122:123], v[134:135] op_sel:[0,1]
	s_delay_alu instid0(VALU_DEP_1) | instskip(SKIP_1) | instid1(VALU_DEP_1)
	v_pk_fma_f32 v[138:139], v[122:123], v[132:133], v[136:137] op_sel:[0,0,1] op_sel_hi:[1,1,0] neg_lo:[0,0,1] neg_hi:[0,0,1]
	v_pk_fma_f32 v[122:123], v[122:123], v[132:133], v[136:137] op_sel:[0,0,1] op_sel_hi:[1,0,0]
	v_mov_b32_e32 v139, v123
	v_pk_mul_f32 v[122:123], v[124:125], v[134:135] op_sel:[0,1]
	s_delay_alu instid0(VALU_DEP_1) | instskip(SKIP_1) | instid1(VALU_DEP_1)
	v_pk_fma_f32 v[136:137], v[124:125], v[132:133], v[122:123] op_sel:[0,0,1] op_sel_hi:[1,1,0] neg_lo:[0,0,1] neg_hi:[0,0,1]
	v_pk_fma_f32 v[122:123], v[124:125], v[132:133], v[122:123] op_sel:[0,0,1] op_sel_hi:[1,0,0]
	v_mov_b32_e32 v137, v123
	ds_load_2addr_b64 v[122:125], v126 offset0:52 offset1:53
	v_pk_add_f32 v[12:13], v[12:13], v[138:139] neg_lo:[0,1] neg_hi:[0,1]
	v_pk_add_f32 v[8:9], v[8:9], v[136:137] neg_lo:[0,1] neg_hi:[0,1]
	s_wait_dscnt 0x0
	v_dual_mul_f32 v136, v123, v135 :: v_dual_mul_f32 v138, v123, v132
	s_delay_alu instid0(VALU_DEP_1) | instskip(NEXT) | instid1(VALU_DEP_2)
	v_pk_fma_f32 v[136:137], v[122:123], v[22:23], v[136:137] op_sel_hi:[1,1,0] neg_lo:[0,0,1] neg_hi:[0,0,1]
	v_pk_fma_f32 v[122:123], v[122:123], v[22:23], v[138:139] op_sel:[1,0,0] op_sel_hi:[0,1,0]
	s_delay_alu instid0(VALU_DEP_1) | instskip(SKIP_1) | instid1(VALU_DEP_2)
	v_mov_b32_e32 v137, v123
	v_pk_mul_f32 v[122:123], v[124:125], v[134:135] op_sel:[0,1]
	v_pk_add_f32 v[60:61], v[60:61], v[136:137] neg_lo:[0,1] neg_hi:[0,1]
	s_delay_alu instid0(VALU_DEP_2) | instskip(SKIP_1) | instid1(VALU_DEP_1)
	v_pk_fma_f32 v[136:137], v[124:125], v[132:133], v[122:123] op_sel:[0,0,1] op_sel_hi:[1,1,0] neg_lo:[0,0,1] neg_hi:[0,0,1]
	v_pk_fma_f32 v[122:123], v[124:125], v[132:133], v[122:123] op_sel:[0,0,1] op_sel_hi:[1,0,0]
	v_mov_b32_e32 v137, v123
	ds_load_2addr_b64 v[122:125], v126 offset0:54 offset1:55
	v_pk_add_f32 v[6:7], v[6:7], v[136:137] neg_lo:[0,1] neg_hi:[0,1]
	s_wait_dscnt 0x0
	v_pk_mul_f32 v[136:137], v[122:123], v[134:135] op_sel:[0,1]
	s_delay_alu instid0(VALU_DEP_1) | instskip(SKIP_1) | instid1(VALU_DEP_1)
	v_pk_fma_f32 v[138:139], v[122:123], v[132:133], v[136:137] op_sel:[0,0,1] op_sel_hi:[1,1,0] neg_lo:[0,0,1] neg_hi:[0,0,1]
	v_pk_fma_f32 v[122:123], v[122:123], v[132:133], v[136:137] op_sel:[0,0,1] op_sel_hi:[1,0,0]
	v_mov_b32_e32 v139, v123
	v_pk_mul_f32 v[122:123], v[124:125], v[134:135] op_sel:[0,1]
	s_delay_alu instid0(VALU_DEP_2) | instskip(NEXT) | instid1(VALU_DEP_2)
	v_pk_add_f32 v[42:43], v[42:43], v[138:139] neg_lo:[0,1] neg_hi:[0,1]
	v_pk_fma_f32 v[136:137], v[124:125], v[132:133], v[122:123] op_sel:[0,0,1] op_sel_hi:[1,1,0] neg_lo:[0,0,1] neg_hi:[0,0,1]
	v_pk_fma_f32 v[122:123], v[124:125], v[132:133], v[122:123] op_sel:[0,0,1] op_sel_hi:[1,0,0]
	s_delay_alu instid0(VALU_DEP_1) | instskip(SKIP_4) | instid1(VALU_DEP_1)
	v_mov_b32_e32 v137, v123
	ds_load_2addr_b64 v[122:125], v126 offset0:56 offset1:57
	v_pk_add_f32 v[28:29], v[28:29], v[136:137] neg_lo:[0,1] neg_hi:[0,1]
	s_wait_dscnt 0x0
	v_pk_mul_f32 v[136:137], v[122:123], v[134:135] op_sel:[0,1]
	v_pk_fma_f32 v[138:139], v[122:123], v[132:133], v[136:137] op_sel:[0,0,1] op_sel_hi:[1,1,0] neg_lo:[0,0,1] neg_hi:[0,0,1]
	v_pk_fma_f32 v[122:123], v[122:123], v[132:133], v[136:137] op_sel:[0,0,1] op_sel_hi:[1,0,0]
	s_delay_alu instid0(VALU_DEP_1) | instskip(SKIP_1) | instid1(VALU_DEP_2)
	v_mov_b32_e32 v139, v123
	v_pk_mul_f32 v[122:123], v[124:125], v[134:135] op_sel:[0,1]
	v_pk_add_f32 v[14:15], v[14:15], v[138:139] neg_lo:[0,1] neg_hi:[0,1]
	s_delay_alu instid0(VALU_DEP_2) | instskip(SKIP_1) | instid1(VALU_DEP_1)
	v_pk_fma_f32 v[134:135], v[124:125], v[132:133], v[122:123] op_sel:[0,0,1] op_sel_hi:[1,1,0] neg_lo:[0,0,1] neg_hi:[0,0,1]
	v_pk_fma_f32 v[122:123], v[124:125], v[132:133], v[122:123] op_sel:[0,0,1] op_sel_hi:[1,0,0]
	v_mov_b32_e32 v135, v123
	s_delay_alu instid0(VALU_DEP_1)
	v_pk_add_f32 v[120:121], v[120:121], v[134:135] neg_lo:[0,1] neg_hi:[0,1]
.LBB114_923:
	s_or_b32 exec_lo, exec_lo, s0
	v_lshl_add_u32 v122, v130, 3, v126
	s_barrier_signal -1
	s_barrier_wait -1
	ds_store_b64 v122, v[88:89]
	s_wait_dscnt 0x0
	s_barrier_signal -1
	s_barrier_wait -1
	ds_load_b64 v[122:123], v126 offset:352
	v_mov_b32_e32 v124, 44
	s_cmp_lt_i32 s18, 46
	s_cbranch_scc1 .LBB114_926
; %bb.924:
	v_add3_u32 v125, v127, 0, 0x168
	v_mov_b32_e32 v124, 44
	s_mov_b32 s0, 45
.LBB114_925:                            ; =>This Inner Loop Header: Depth=1
	ds_load_b64 v[132:133], v125
	s_wait_dscnt 0x1
	v_cmp_gt_f32_e32 vcc_lo, 0, v122
	v_cndmask_b32_e64 v134, v122, -v122, vcc_lo
	v_cmp_gt_f32_e32 vcc_lo, 0, v123
	v_cndmask_b32_e64 v136, v123, -v123, vcc_lo
	s_wait_dscnt 0x0
	v_cmp_gt_f32_e32 vcc_lo, 0, v132
	v_cndmask_b32_e64 v135, v132, -v132, vcc_lo
	v_cmp_gt_f32_e32 vcc_lo, 0, v133
	v_cndmask_b32_e64 v137, v133, -v133, vcc_lo
	s_delay_alu instid0(VALU_DEP_1) | instskip(NEXT) | instid1(VALU_DEP_1)
	v_pk_add_f32 v[134:135], v[134:135], v[136:137]
	v_cmp_lt_f32_e32 vcc_lo, v134, v135
	v_dual_cndmask_b32 v122, v122, v132 :: v_dual_add_nc_u32 v125, 8, v125
	v_cndmask_b32_e32 v123, v123, v133, vcc_lo
	v_cndmask_b32_e64 v124, v124, s0, vcc_lo
	s_add_co_i32 s0, s0, 1
	s_delay_alu instid0(SALU_CYCLE_1)
	s_cmp_lg_u32 s18, s0
	s_cbranch_scc1 .LBB114_925
.LBB114_926:
	s_wait_dscnt 0x0
	v_cmp_eq_f32_e32 vcc_lo, 0, v122
	v_cmp_eq_f32_e64 s0, 0, v123
	s_and_b32 s0, vcc_lo, s0
	s_delay_alu instid0(SALU_CYCLE_1) | instskip(NEXT) | instid1(SALU_CYCLE_1)
	s_and_saveexec_b32 s1, s0
	s_xor_b32 s0, exec_lo, s1
; %bb.927:
	v_cmp_ne_u32_e32 vcc_lo, 0, v128
	v_cndmask_b32_e32 v128, 45, v128, vcc_lo
; %bb.928:
	s_and_not1_saveexec_b32 s0, s0
	s_cbranch_execz .LBB114_934
; %bb.929:
	v_cmp_ngt_f32_e64 s1, |v122|, |v123|
	s_and_saveexec_b32 s12, s1
	s_delay_alu instid0(SALU_CYCLE_1)
	s_xor_b32 s1, exec_lo, s12
	s_cbranch_execz .LBB114_931
; %bb.930:
	v_div_scale_f32 v125, null, v123, v123, v122
	v_div_scale_f32 v133, vcc_lo, v122, v123, v122
	s_delay_alu instid0(VALU_DEP_2) | instskip(SKIP_1) | instid1(TRANS32_DEP_1)
	v_rcp_f32_e32 v131, v125
	v_nop
	v_fma_f32 v132, -v125, v131, 1.0
	s_delay_alu instid0(VALU_DEP_1) | instskip(NEXT) | instid1(VALU_DEP_1)
	v_fmac_f32_e32 v131, v132, v131
	v_mul_f32_e32 v132, v133, v131
	s_delay_alu instid0(VALU_DEP_1) | instskip(NEXT) | instid1(VALU_DEP_1)
	v_fma_f32 v134, -v125, v132, v133
	v_fmac_f32_e32 v132, v134, v131
	s_delay_alu instid0(VALU_DEP_1) | instskip(NEXT) | instid1(VALU_DEP_1)
	v_fma_f32 v125, -v125, v132, v133
	v_div_fmas_f32 v125, v125, v131, v132
	s_delay_alu instid0(VALU_DEP_1) | instskip(NEXT) | instid1(VALU_DEP_1)
	v_div_fixup_f32 v125, v125, v123, v122
	v_fmac_f32_e32 v123, v122, v125
	s_delay_alu instid0(VALU_DEP_1) | instskip(SKIP_1) | instid1(VALU_DEP_2)
	v_div_scale_f32 v122, null, v123, v123, 1.0
	v_div_scale_f32 v133, vcc_lo, 1.0, v123, 1.0
	v_rcp_f32_e32 v131, v122
	v_nop
	s_delay_alu instid0(TRANS32_DEP_1) | instskip(NEXT) | instid1(VALU_DEP_1)
	v_fma_f32 v132, -v122, v131, 1.0
	v_fmac_f32_e32 v131, v132, v131
	s_delay_alu instid0(VALU_DEP_1) | instskip(NEXT) | instid1(VALU_DEP_1)
	v_mul_f32_e32 v132, v133, v131
	v_fma_f32 v134, -v122, v132, v133
	s_delay_alu instid0(VALU_DEP_1) | instskip(NEXT) | instid1(VALU_DEP_1)
	v_fmac_f32_e32 v132, v134, v131
	v_fma_f32 v122, -v122, v132, v133
	s_delay_alu instid0(VALU_DEP_1) | instskip(NEXT) | instid1(VALU_DEP_1)
	v_div_fmas_f32 v122, v122, v131, v132
	v_div_fixup_f32 v123, v122, v123, 1.0
	s_delay_alu instid0(VALU_DEP_1)
	v_mul_f32_e32 v122, v125, v123
	v_xor_b32_e32 v123, 0x80000000, v123
.LBB114_931:
	s_and_not1_saveexec_b32 s1, s1
	s_cbranch_execz .LBB114_933
; %bb.932:
	s_delay_alu instid0(VALU_DEP_1) | instskip(SKIP_1) | instid1(VALU_DEP_2)
	v_div_scale_f32 v125, null, v122, v122, v123
	v_div_scale_f32 v133, vcc_lo, v123, v122, v123
	v_rcp_f32_e32 v131, v125
	v_nop
	s_delay_alu instid0(TRANS32_DEP_1) | instskip(NEXT) | instid1(VALU_DEP_1)
	v_fma_f32 v132, -v125, v131, 1.0
	v_fmac_f32_e32 v131, v132, v131
	s_delay_alu instid0(VALU_DEP_1) | instskip(NEXT) | instid1(VALU_DEP_1)
	v_mul_f32_e32 v132, v133, v131
	v_fma_f32 v134, -v125, v132, v133
	s_delay_alu instid0(VALU_DEP_1) | instskip(NEXT) | instid1(VALU_DEP_1)
	v_fmac_f32_e32 v132, v134, v131
	v_fma_f32 v125, -v125, v132, v133
	s_delay_alu instid0(VALU_DEP_1) | instskip(NEXT) | instid1(VALU_DEP_1)
	v_div_fmas_f32 v125, v125, v131, v132
	v_div_fixup_f32 v125, v125, v122, v123
	s_delay_alu instid0(VALU_DEP_1) | instskip(NEXT) | instid1(VALU_DEP_1)
	v_fmac_f32_e32 v122, v123, v125
	v_div_scale_f32 v123, null, v122, v122, 1.0
	s_delay_alu instid0(VALU_DEP_1) | instskip(SKIP_1) | instid1(TRANS32_DEP_1)
	v_rcp_f32_e32 v131, v123
	v_nop
	v_fma_f32 v132, -v123, v131, 1.0
	s_delay_alu instid0(VALU_DEP_1) | instskip(SKIP_1) | instid1(VALU_DEP_1)
	v_fmac_f32_e32 v131, v132, v131
	v_div_scale_f32 v132, vcc_lo, 1.0, v122, 1.0
	v_mul_f32_e32 v133, v132, v131
	s_delay_alu instid0(VALU_DEP_1) | instskip(NEXT) | instid1(VALU_DEP_1)
	v_fma_f32 v134, -v123, v133, v132
	v_fmac_f32_e32 v133, v134, v131
	s_delay_alu instid0(VALU_DEP_1) | instskip(NEXT) | instid1(VALU_DEP_1)
	v_fma_f32 v123, -v123, v133, v132
	v_div_fmas_f32 v123, v123, v131, v133
	s_delay_alu instid0(VALU_DEP_1) | instskip(NEXT) | instid1(VALU_DEP_1)
	v_div_fixup_f32 v122, v123, v122, 1.0
	v_mul_f32_e64 v123, v125, -v122
.LBB114_933:
	s_or_b32 exec_lo, exec_lo, s1
.LBB114_934:
	s_delay_alu instid0(SALU_CYCLE_1) | instskip(NEXT) | instid1(SALU_CYCLE_1)
	s_or_b32 exec_lo, exec_lo, s0
	s_mov_b32 s0, exec_lo
	v_cmpx_ne_u32_e64 v130, v124
	s_xor_b32 s0, exec_lo, s0
	s_cbranch_execz .LBB114_940
; %bb.935:
	s_mov_b32 s1, exec_lo
	v_cmpx_eq_u32_e32 44, v130
	s_cbranch_execz .LBB114_939
; %bb.936:
	v_cmp_ne_u32_e32 vcc_lo, 44, v124
	s_xor_b32 s12, s16, -1
	s_delay_alu instid0(SALU_CYCLE_1) | instskip(NEXT) | instid1(SALU_CYCLE_1)
	s_and_b32 s13, s12, vcc_lo
	s_and_saveexec_b32 s12, s13
	s_cbranch_execz .LBB114_938
; %bb.937:
	v_ashrrev_i32_e32 v125, 31, v124
	s_delay_alu instid0(VALU_DEP_1)
	v_lshl_add_u64 v[130:131], v[124:125], 2, v[4:5]
	s_clause 0x1
	global_load_b32 v125, v[130:131], off
	global_load_b32 v129, v[4:5], off offset:176
	s_wait_loadcnt 0x1
	global_store_b32 v[4:5], v125, off offset:176
	s_wait_loadcnt 0x0
	global_store_b32 v[130:131], v129, off
.LBB114_938:
	s_wait_xcnt 0x0
	s_or_b32 exec_lo, exec_lo, s12
	v_dual_mov_b32 v130, v124 :: v_dual_mov_b32 v129, v124
.LBB114_939:
	s_or_b32 exec_lo, exec_lo, s1
.LBB114_940:
	s_and_not1_saveexec_b32 s0, s0
	s_cbranch_execz .LBB114_942
; %bb.941:
	v_mov_b32_e32 v130, 44
	ds_store_2addr_b64 v126, v[18:19], v[20:21] offset0:45 offset1:46
	ds_store_2addr_b64 v126, v[16:17], v[84:85] offset0:47 offset1:48
	;; [unrolled: 1-line block ×6, first 2 shown]
	ds_store_b64 v126, v[120:121] offset:456
.LBB114_942:
	s_or_b32 exec_lo, exec_lo, s0
	s_delay_alu instid0(SALU_CYCLE_1)
	s_mov_b32 s0, exec_lo
	s_wait_storecnt_dscnt 0x0
	s_barrier_signal -1
	s_barrier_wait -1
	v_cmpx_lt_i32_e32 44, v130
	s_cbranch_execz .LBB114_944
; %bb.943:
	v_pk_mul_f32 v[124:125], v[122:123], v[88:89] op_sel:[1,1] op_sel_hi:[0,1]
	s_delay_alu instid0(VALU_DEP_1)
	v_pk_fma_f32 v[132:133], v[122:123], v[88:89], v[124:125] op_sel_hi:[1,0,1] neg_lo:[0,0,1] neg_hi:[0,0,1]
	v_pk_fma_f32 v[134:135], v[122:123], v[88:89], v[124:125] op_sel_hi:[1,0,1]
	ds_load_2addr_b64 v[122:125], v126 offset0:45 offset1:46
	v_dual_mov_b32 v88, v132 :: v_dual_mov_b32 v89, v135
	s_wait_dscnt 0x0
	v_pk_mul_f32 v[136:137], v[122:123], v[134:135] op_sel:[0,1]
	s_delay_alu instid0(VALU_DEP_1) | instskip(SKIP_1) | instid1(VALU_DEP_1)
	v_pk_fma_f32 v[138:139], v[122:123], v[132:133], v[136:137] op_sel:[0,0,1] op_sel_hi:[1,1,0] neg_lo:[0,0,1] neg_hi:[0,0,1]
	v_pk_fma_f32 v[122:123], v[122:123], v[132:133], v[136:137] op_sel:[0,0,1] op_sel_hi:[1,0,0]
	v_mov_b32_e32 v139, v123
	v_pk_mul_f32 v[122:123], v[124:125], v[134:135] op_sel:[0,1]
	s_delay_alu instid0(VALU_DEP_1) | instskip(SKIP_1) | instid1(VALU_DEP_1)
	v_pk_fma_f32 v[136:137], v[124:125], v[132:133], v[122:123] op_sel:[0,0,1] op_sel_hi:[1,1,0] neg_lo:[0,0,1] neg_hi:[0,0,1]
	v_pk_fma_f32 v[122:123], v[124:125], v[132:133], v[122:123] op_sel:[0,0,1] op_sel_hi:[1,0,0]
	v_mov_b32_e32 v137, v123
	ds_load_2addr_b64 v[122:125], v126 offset0:47 offset1:48
	v_pk_add_f32 v[18:19], v[18:19], v[138:139] neg_lo:[0,1] neg_hi:[0,1]
	v_pk_add_f32 v[20:21], v[20:21], v[136:137] neg_lo:[0,1] neg_hi:[0,1]
	s_wait_dscnt 0x0
	v_pk_mul_f32 v[136:137], v[122:123], v[134:135] op_sel:[0,1]
	s_delay_alu instid0(VALU_DEP_1) | instskip(SKIP_2) | instid1(VALU_DEP_2)
	v_pk_fma_f32 v[138:139], v[122:123], v[132:133], v[136:137] op_sel:[0,0,1] op_sel_hi:[1,1,0] neg_lo:[0,0,1] neg_hi:[0,0,1]
	v_pk_fma_f32 v[122:123], v[122:123], v[132:133], v[136:137] op_sel:[0,0,1] op_sel_hi:[1,0,0]
	v_dual_mul_f32 v136, v125, v135 :: v_dual_mov_b32 v122, v125
	v_dual_mov_b32 v139, v123 :: v_dual_mov_b32 v123, v124
	s_delay_alu instid0(VALU_DEP_2) | instskip(SKIP_1) | instid1(VALU_DEP_3)
	v_pk_fma_f32 v[136:137], v[124:125], v[88:89], v[136:137] op_sel_hi:[1,1,0] neg_lo:[0,0,1] neg_hi:[0,0,1]
	v_mul_f32_e32 v124, v125, v132
	v_pk_add_f32 v[16:17], v[16:17], v[138:139] neg_lo:[0,1] neg_hi:[0,1]
	s_delay_alu instid0(VALU_DEP_2) | instskip(NEXT) | instid1(VALU_DEP_1)
	v_pk_fma_f32 v[122:123], v[122:123], v[88:89], v[124:125] op_sel_hi:[1,1,0]
	v_mov_b32_e32 v137, v123
	ds_load_2addr_b64 v[122:125], v126 offset0:49 offset1:50
	v_pk_add_f32 v[84:85], v[84:85], v[136:137] neg_lo:[0,1] neg_hi:[0,1]
	s_wait_dscnt 0x0
	v_pk_mul_f32 v[136:137], v[122:123], v[134:135] op_sel:[0,1]
	s_delay_alu instid0(VALU_DEP_1) | instskip(SKIP_1) | instid1(VALU_DEP_1)
	v_pk_fma_f32 v[138:139], v[122:123], v[132:133], v[136:137] op_sel:[0,0,1] op_sel_hi:[1,1,0] neg_lo:[0,0,1] neg_hi:[0,0,1]
	v_pk_fma_f32 v[122:123], v[122:123], v[132:133], v[136:137] op_sel:[0,0,1] op_sel_hi:[1,0,0]
	v_mov_b32_e32 v139, v123
	v_pk_mul_f32 v[122:123], v[124:125], v[134:135] op_sel:[0,1]
	s_delay_alu instid0(VALU_DEP_1) | instskip(SKIP_1) | instid1(VALU_DEP_1)
	v_pk_fma_f32 v[136:137], v[124:125], v[132:133], v[122:123] op_sel:[0,0,1] op_sel_hi:[1,1,0] neg_lo:[0,0,1] neg_hi:[0,0,1]
	v_pk_fma_f32 v[122:123], v[124:125], v[132:133], v[122:123] op_sel:[0,0,1] op_sel_hi:[1,0,0]
	v_mov_b32_e32 v137, v123
	ds_load_2addr_b64 v[122:125], v126 offset0:51 offset1:52
	v_pk_add_f32 v[10:11], v[10:11], v[138:139] neg_lo:[0,1] neg_hi:[0,1]
	v_pk_add_f32 v[12:13], v[12:13], v[136:137] neg_lo:[0,1] neg_hi:[0,1]
	s_wait_dscnt 0x0
	v_pk_mul_f32 v[136:137], v[122:123], v[134:135] op_sel:[0,1]
	s_delay_alu instid0(VALU_DEP_1) | instskip(SKIP_1) | instid1(VALU_DEP_1)
	v_pk_fma_f32 v[138:139], v[122:123], v[132:133], v[136:137] op_sel:[0,0,1] op_sel_hi:[1,1,0] neg_lo:[0,0,1] neg_hi:[0,0,1]
	v_pk_fma_f32 v[122:123], v[122:123], v[132:133], v[136:137] op_sel:[0,0,1] op_sel_hi:[1,0,0]
	v_mov_b32_e32 v139, v123
	v_pk_mul_f32 v[122:123], v[124:125], v[134:135] op_sel:[0,1]
	s_delay_alu instid0(VALU_DEP_1) | instskip(SKIP_1) | instid1(VALU_DEP_1)
	v_pk_fma_f32 v[136:137], v[124:125], v[132:133], v[122:123] op_sel:[0,0,1] op_sel_hi:[1,1,0] neg_lo:[0,0,1] neg_hi:[0,0,1]
	v_pk_fma_f32 v[122:123], v[124:125], v[132:133], v[122:123] op_sel:[0,0,1] op_sel_hi:[1,0,0]
	v_mov_b32_e32 v137, v123
	ds_load_2addr_b64 v[122:125], v126 offset0:53 offset1:54
	v_pk_add_f32 v[8:9], v[8:9], v[138:139] neg_lo:[0,1] neg_hi:[0,1]
	v_pk_add_f32 v[60:61], v[60:61], v[136:137] neg_lo:[0,1] neg_hi:[0,1]
	s_wait_dscnt 0x0
	v_dual_mul_f32 v136, v123, v135 :: v_dual_mul_f32 v138, v123, v132
	s_delay_alu instid0(VALU_DEP_1) | instskip(NEXT) | instid1(VALU_DEP_2)
	v_pk_fma_f32 v[136:137], v[122:123], v[88:89], v[136:137] op_sel_hi:[1,1,0] neg_lo:[0,0,1] neg_hi:[0,0,1]
	v_pk_fma_f32 v[122:123], v[122:123], v[88:89], v[138:139] op_sel:[1,0,0] op_sel_hi:[0,1,0]
	s_delay_alu instid0(VALU_DEP_1) | instskip(SKIP_1) | instid1(VALU_DEP_2)
	v_mov_b32_e32 v137, v123
	v_pk_mul_f32 v[122:123], v[124:125], v[134:135] op_sel:[0,1]
	v_pk_add_f32 v[6:7], v[6:7], v[136:137] neg_lo:[0,1] neg_hi:[0,1]
	s_delay_alu instid0(VALU_DEP_2) | instskip(SKIP_1) | instid1(VALU_DEP_1)
	v_pk_fma_f32 v[136:137], v[124:125], v[132:133], v[122:123] op_sel:[0,0,1] op_sel_hi:[1,1,0] neg_lo:[0,0,1] neg_hi:[0,0,1]
	v_pk_fma_f32 v[122:123], v[124:125], v[132:133], v[122:123] op_sel:[0,0,1] op_sel_hi:[1,0,0]
	v_mov_b32_e32 v137, v123
	ds_load_2addr_b64 v[122:125], v126 offset0:55 offset1:56
	v_pk_add_f32 v[42:43], v[42:43], v[136:137] neg_lo:[0,1] neg_hi:[0,1]
	s_wait_dscnt 0x0
	v_pk_mul_f32 v[136:137], v[122:123], v[134:135] op_sel:[0,1]
	s_delay_alu instid0(VALU_DEP_1) | instskip(SKIP_1) | instid1(VALU_DEP_1)
	v_pk_fma_f32 v[138:139], v[122:123], v[132:133], v[136:137] op_sel:[0,0,1] op_sel_hi:[1,1,0] neg_lo:[0,0,1] neg_hi:[0,0,1]
	v_pk_fma_f32 v[122:123], v[122:123], v[132:133], v[136:137] op_sel:[0,0,1] op_sel_hi:[1,0,0]
	v_mov_b32_e32 v139, v123
	v_pk_mul_f32 v[122:123], v[124:125], v[134:135] op_sel:[0,1]
	s_delay_alu instid0(VALU_DEP_2) | instskip(NEXT) | instid1(VALU_DEP_2)
	v_pk_add_f32 v[28:29], v[28:29], v[138:139] neg_lo:[0,1] neg_hi:[0,1]
	v_pk_fma_f32 v[136:137], v[124:125], v[132:133], v[122:123] op_sel:[0,0,1] op_sel_hi:[1,1,0] neg_lo:[0,0,1] neg_hi:[0,0,1]
	v_pk_fma_f32 v[122:123], v[124:125], v[132:133], v[122:123] op_sel:[0,0,1] op_sel_hi:[1,0,0]
	s_delay_alu instid0(VALU_DEP_1) | instskip(SKIP_4) | instid1(VALU_DEP_1)
	v_mov_b32_e32 v137, v123
	ds_load_b64 v[122:123], v126 offset:456
	v_pk_add_f32 v[14:15], v[14:15], v[136:137] neg_lo:[0,1] neg_hi:[0,1]
	s_wait_dscnt 0x0
	v_pk_mul_f32 v[124:125], v[122:123], v[134:135] op_sel:[0,1]
	v_pk_fma_f32 v[134:135], v[122:123], v[132:133], v[124:125] op_sel:[0,0,1] op_sel_hi:[1,1,0] neg_lo:[0,0,1] neg_hi:[0,0,1]
	v_pk_fma_f32 v[122:123], v[122:123], v[132:133], v[124:125] op_sel:[0,0,1] op_sel_hi:[1,0,0]
	s_delay_alu instid0(VALU_DEP_1) | instskip(NEXT) | instid1(VALU_DEP_1)
	v_mov_b32_e32 v135, v123
	v_pk_add_f32 v[120:121], v[120:121], v[134:135] neg_lo:[0,1] neg_hi:[0,1]
.LBB114_944:
	s_or_b32 exec_lo, exec_lo, s0
	v_lshl_add_u32 v122, v130, 3, v126
	s_barrier_signal -1
	s_barrier_wait -1
	ds_store_b64 v122, v[18:19]
	s_wait_dscnt 0x0
	s_barrier_signal -1
	s_barrier_wait -1
	ds_load_b64 v[122:123], v126 offset:360
	v_mov_b32_e32 v124, 45
	s_cmp_lt_i32 s18, 47
	s_cbranch_scc1 .LBB114_947
; %bb.945:
	v_add3_u32 v125, v127, 0, 0x170
	v_mov_b32_e32 v124, 45
	s_mov_b32 s0, 46
.LBB114_946:                            ; =>This Inner Loop Header: Depth=1
	ds_load_b64 v[132:133], v125
	s_wait_dscnt 0x1
	v_cmp_gt_f32_e32 vcc_lo, 0, v122
	v_cndmask_b32_e64 v134, v122, -v122, vcc_lo
	v_cmp_gt_f32_e32 vcc_lo, 0, v123
	v_cndmask_b32_e64 v136, v123, -v123, vcc_lo
	s_wait_dscnt 0x0
	v_cmp_gt_f32_e32 vcc_lo, 0, v132
	v_cndmask_b32_e64 v135, v132, -v132, vcc_lo
	v_cmp_gt_f32_e32 vcc_lo, 0, v133
	v_cndmask_b32_e64 v137, v133, -v133, vcc_lo
	s_delay_alu instid0(VALU_DEP_1) | instskip(NEXT) | instid1(VALU_DEP_1)
	v_pk_add_f32 v[134:135], v[134:135], v[136:137]
	v_cmp_lt_f32_e32 vcc_lo, v134, v135
	v_dual_cndmask_b32 v122, v122, v132 :: v_dual_add_nc_u32 v125, 8, v125
	v_cndmask_b32_e32 v123, v123, v133, vcc_lo
	v_cndmask_b32_e64 v124, v124, s0, vcc_lo
	s_add_co_i32 s0, s0, 1
	s_delay_alu instid0(SALU_CYCLE_1)
	s_cmp_lg_u32 s18, s0
	s_cbranch_scc1 .LBB114_946
.LBB114_947:
	s_wait_dscnt 0x0
	v_cmp_eq_f32_e32 vcc_lo, 0, v122
	v_cmp_eq_f32_e64 s0, 0, v123
	s_and_b32 s0, vcc_lo, s0
	s_delay_alu instid0(SALU_CYCLE_1) | instskip(NEXT) | instid1(SALU_CYCLE_1)
	s_and_saveexec_b32 s1, s0
	s_xor_b32 s0, exec_lo, s1
; %bb.948:
	v_cmp_ne_u32_e32 vcc_lo, 0, v128
	v_cndmask_b32_e32 v128, 46, v128, vcc_lo
; %bb.949:
	s_and_not1_saveexec_b32 s0, s0
	s_cbranch_execz .LBB114_955
; %bb.950:
	v_cmp_ngt_f32_e64 s1, |v122|, |v123|
	s_and_saveexec_b32 s12, s1
	s_delay_alu instid0(SALU_CYCLE_1)
	s_xor_b32 s1, exec_lo, s12
	s_cbranch_execz .LBB114_952
; %bb.951:
	v_div_scale_f32 v125, null, v123, v123, v122
	v_div_scale_f32 v133, vcc_lo, v122, v123, v122
	s_delay_alu instid0(VALU_DEP_2) | instskip(SKIP_1) | instid1(TRANS32_DEP_1)
	v_rcp_f32_e32 v131, v125
	v_nop
	v_fma_f32 v132, -v125, v131, 1.0
	s_delay_alu instid0(VALU_DEP_1) | instskip(NEXT) | instid1(VALU_DEP_1)
	v_fmac_f32_e32 v131, v132, v131
	v_mul_f32_e32 v132, v133, v131
	s_delay_alu instid0(VALU_DEP_1) | instskip(NEXT) | instid1(VALU_DEP_1)
	v_fma_f32 v134, -v125, v132, v133
	v_fmac_f32_e32 v132, v134, v131
	s_delay_alu instid0(VALU_DEP_1) | instskip(NEXT) | instid1(VALU_DEP_1)
	v_fma_f32 v125, -v125, v132, v133
	v_div_fmas_f32 v125, v125, v131, v132
	s_delay_alu instid0(VALU_DEP_1) | instskip(NEXT) | instid1(VALU_DEP_1)
	v_div_fixup_f32 v125, v125, v123, v122
	v_fmac_f32_e32 v123, v122, v125
	s_delay_alu instid0(VALU_DEP_1) | instskip(SKIP_1) | instid1(VALU_DEP_2)
	v_div_scale_f32 v122, null, v123, v123, 1.0
	v_div_scale_f32 v133, vcc_lo, 1.0, v123, 1.0
	v_rcp_f32_e32 v131, v122
	v_nop
	s_delay_alu instid0(TRANS32_DEP_1) | instskip(NEXT) | instid1(VALU_DEP_1)
	v_fma_f32 v132, -v122, v131, 1.0
	v_fmac_f32_e32 v131, v132, v131
	s_delay_alu instid0(VALU_DEP_1) | instskip(NEXT) | instid1(VALU_DEP_1)
	v_mul_f32_e32 v132, v133, v131
	v_fma_f32 v134, -v122, v132, v133
	s_delay_alu instid0(VALU_DEP_1) | instskip(NEXT) | instid1(VALU_DEP_1)
	v_fmac_f32_e32 v132, v134, v131
	v_fma_f32 v122, -v122, v132, v133
	s_delay_alu instid0(VALU_DEP_1) | instskip(NEXT) | instid1(VALU_DEP_1)
	v_div_fmas_f32 v122, v122, v131, v132
	v_div_fixup_f32 v123, v122, v123, 1.0
	s_delay_alu instid0(VALU_DEP_1)
	v_mul_f32_e32 v122, v125, v123
	v_xor_b32_e32 v123, 0x80000000, v123
.LBB114_952:
	s_and_not1_saveexec_b32 s1, s1
	s_cbranch_execz .LBB114_954
; %bb.953:
	s_delay_alu instid0(VALU_DEP_1) | instskip(SKIP_1) | instid1(VALU_DEP_2)
	v_div_scale_f32 v125, null, v122, v122, v123
	v_div_scale_f32 v133, vcc_lo, v123, v122, v123
	v_rcp_f32_e32 v131, v125
	v_nop
	s_delay_alu instid0(TRANS32_DEP_1) | instskip(NEXT) | instid1(VALU_DEP_1)
	v_fma_f32 v132, -v125, v131, 1.0
	v_fmac_f32_e32 v131, v132, v131
	s_delay_alu instid0(VALU_DEP_1) | instskip(NEXT) | instid1(VALU_DEP_1)
	v_mul_f32_e32 v132, v133, v131
	v_fma_f32 v134, -v125, v132, v133
	s_delay_alu instid0(VALU_DEP_1) | instskip(NEXT) | instid1(VALU_DEP_1)
	v_fmac_f32_e32 v132, v134, v131
	v_fma_f32 v125, -v125, v132, v133
	s_delay_alu instid0(VALU_DEP_1) | instskip(NEXT) | instid1(VALU_DEP_1)
	v_div_fmas_f32 v125, v125, v131, v132
	v_div_fixup_f32 v125, v125, v122, v123
	s_delay_alu instid0(VALU_DEP_1) | instskip(NEXT) | instid1(VALU_DEP_1)
	v_fmac_f32_e32 v122, v123, v125
	v_div_scale_f32 v123, null, v122, v122, 1.0
	s_delay_alu instid0(VALU_DEP_1) | instskip(SKIP_1) | instid1(TRANS32_DEP_1)
	v_rcp_f32_e32 v131, v123
	v_nop
	v_fma_f32 v132, -v123, v131, 1.0
	s_delay_alu instid0(VALU_DEP_1) | instskip(SKIP_1) | instid1(VALU_DEP_1)
	v_fmac_f32_e32 v131, v132, v131
	v_div_scale_f32 v132, vcc_lo, 1.0, v122, 1.0
	v_mul_f32_e32 v133, v132, v131
	s_delay_alu instid0(VALU_DEP_1) | instskip(NEXT) | instid1(VALU_DEP_1)
	v_fma_f32 v134, -v123, v133, v132
	v_fmac_f32_e32 v133, v134, v131
	s_delay_alu instid0(VALU_DEP_1) | instskip(NEXT) | instid1(VALU_DEP_1)
	v_fma_f32 v123, -v123, v133, v132
	v_div_fmas_f32 v123, v123, v131, v133
	s_delay_alu instid0(VALU_DEP_1) | instskip(NEXT) | instid1(VALU_DEP_1)
	v_div_fixup_f32 v122, v123, v122, 1.0
	v_mul_f32_e64 v123, v125, -v122
.LBB114_954:
	s_or_b32 exec_lo, exec_lo, s1
.LBB114_955:
	s_delay_alu instid0(SALU_CYCLE_1) | instskip(NEXT) | instid1(SALU_CYCLE_1)
	s_or_b32 exec_lo, exec_lo, s0
	s_mov_b32 s0, exec_lo
	v_cmpx_ne_u32_e64 v130, v124
	s_xor_b32 s0, exec_lo, s0
	s_cbranch_execz .LBB114_961
; %bb.956:
	s_mov_b32 s1, exec_lo
	v_cmpx_eq_u32_e32 45, v130
	s_cbranch_execz .LBB114_960
; %bb.957:
	v_cmp_ne_u32_e32 vcc_lo, 45, v124
	s_xor_b32 s12, s16, -1
	s_delay_alu instid0(SALU_CYCLE_1) | instskip(NEXT) | instid1(SALU_CYCLE_1)
	s_and_b32 s13, s12, vcc_lo
	s_and_saveexec_b32 s12, s13
	s_cbranch_execz .LBB114_959
; %bb.958:
	v_ashrrev_i32_e32 v125, 31, v124
	s_delay_alu instid0(VALU_DEP_1)
	v_lshl_add_u64 v[130:131], v[124:125], 2, v[4:5]
	s_clause 0x1
	global_load_b32 v125, v[130:131], off
	global_load_b32 v129, v[4:5], off offset:180
	s_wait_loadcnt 0x1
	global_store_b32 v[4:5], v125, off offset:180
	s_wait_loadcnt 0x0
	global_store_b32 v[130:131], v129, off
.LBB114_959:
	s_wait_xcnt 0x0
	s_or_b32 exec_lo, exec_lo, s12
	v_dual_mov_b32 v130, v124 :: v_dual_mov_b32 v129, v124
.LBB114_960:
	s_or_b32 exec_lo, exec_lo, s1
.LBB114_961:
	s_and_not1_saveexec_b32 s0, s0
	s_cbranch_execz .LBB114_963
; %bb.962:
	v_dual_mov_b32 v124, v20 :: v_dual_mov_b32 v125, v21
	v_dual_mov_b32 v130, v16 :: v_dual_mov_b32 v131, v17
	;; [unrolled: 1-line block ×4, first 2 shown]
	ds_store_2addr_b64 v126, v[124:125], v[130:131] offset0:46 offset1:47
	ds_store_2addr_b64 v126, v[132:133], v[134:135] offset0:48 offset1:49
	v_dual_mov_b32 v124, v12 :: v_dual_mov_b32 v125, v13
	v_dual_mov_b32 v132, v8 :: v_dual_mov_b32 v133, v9
	;; [unrolled: 1-line block ×7, first 2 shown]
	v_mov_b32_e32 v143, v15
	ds_store_2addr_b64 v126, v[124:125], v[132:133] offset0:50 offset1:51
	ds_store_2addr_b64 v126, v[134:135], v[136:137] offset0:52 offset1:53
	;; [unrolled: 1-line block ×4, first 2 shown]
.LBB114_963:
	s_or_b32 exec_lo, exec_lo, s0
	s_delay_alu instid0(SALU_CYCLE_1)
	s_mov_b32 s0, exec_lo
	s_wait_storecnt_dscnt 0x0
	s_barrier_signal -1
	s_barrier_wait -1
	v_cmpx_lt_i32_e32 45, v130
	s_cbranch_execz .LBB114_965
; %bb.964:
	v_pk_mul_f32 v[124:125], v[122:123], v[18:19] op_sel:[1,1] op_sel_hi:[0,1]
	s_delay_alu instid0(VALU_DEP_1)
	v_pk_fma_f32 v[132:133], v[122:123], v[18:19], v[124:125] op_sel_hi:[1,0,1] neg_lo:[0,0,1] neg_hi:[0,0,1]
	v_pk_fma_f32 v[134:135], v[122:123], v[18:19], v[124:125] op_sel_hi:[1,0,1]
	ds_load_2addr_b64 v[122:125], v126 offset0:46 offset1:47
	v_dual_mov_b32 v18, v132 :: v_dual_mov_b32 v19, v135
	s_wait_dscnt 0x0
	v_pk_mul_f32 v[136:137], v[122:123], v[134:135] op_sel:[0,1]
	s_delay_alu instid0(VALU_DEP_1) | instskip(SKIP_1) | instid1(VALU_DEP_1)
	v_pk_fma_f32 v[138:139], v[122:123], v[132:133], v[136:137] op_sel:[0,0,1] op_sel_hi:[1,1,0] neg_lo:[0,0,1] neg_hi:[0,0,1]
	v_pk_fma_f32 v[122:123], v[122:123], v[132:133], v[136:137] op_sel:[0,0,1] op_sel_hi:[1,0,0]
	v_mov_b32_e32 v139, v123
	v_pk_mul_f32 v[122:123], v[124:125], v[134:135] op_sel:[0,1]
	s_delay_alu instid0(VALU_DEP_1) | instskip(SKIP_1) | instid1(VALU_DEP_1)
	v_pk_fma_f32 v[136:137], v[124:125], v[132:133], v[122:123] op_sel:[0,0,1] op_sel_hi:[1,1,0] neg_lo:[0,0,1] neg_hi:[0,0,1]
	v_pk_fma_f32 v[122:123], v[124:125], v[132:133], v[122:123] op_sel:[0,0,1] op_sel_hi:[1,0,0]
	v_mov_b32_e32 v137, v123
	ds_load_2addr_b64 v[122:125], v126 offset0:48 offset1:49
	v_pk_add_f32 v[20:21], v[20:21], v[138:139] neg_lo:[0,1] neg_hi:[0,1]
	v_pk_add_f32 v[16:17], v[16:17], v[136:137] neg_lo:[0,1] neg_hi:[0,1]
	s_wait_dscnt 0x0
	v_pk_mul_f32 v[136:137], v[122:123], v[134:135] op_sel:[0,1]
	s_delay_alu instid0(VALU_DEP_1) | instskip(SKIP_2) | instid1(VALU_DEP_2)
	v_pk_fma_f32 v[138:139], v[122:123], v[132:133], v[136:137] op_sel:[0,0,1] op_sel_hi:[1,1,0] neg_lo:[0,0,1] neg_hi:[0,0,1]
	v_pk_fma_f32 v[122:123], v[122:123], v[132:133], v[136:137] op_sel:[0,0,1] op_sel_hi:[1,0,0]
	v_dual_mul_f32 v136, v125, v135 :: v_dual_mov_b32 v122, v125
	v_dual_mov_b32 v139, v123 :: v_dual_mov_b32 v123, v124
	s_delay_alu instid0(VALU_DEP_2) | instskip(SKIP_1) | instid1(VALU_DEP_3)
	v_pk_fma_f32 v[136:137], v[124:125], v[18:19], v[136:137] op_sel_hi:[1,1,0] neg_lo:[0,0,1] neg_hi:[0,0,1]
	v_mul_f32_e32 v124, v125, v132
	v_pk_add_f32 v[84:85], v[84:85], v[138:139] neg_lo:[0,1] neg_hi:[0,1]
	s_delay_alu instid0(VALU_DEP_2) | instskip(NEXT) | instid1(VALU_DEP_1)
	v_pk_fma_f32 v[122:123], v[122:123], v[18:19], v[124:125] op_sel_hi:[1,1,0]
	v_mov_b32_e32 v137, v123
	ds_load_2addr_b64 v[122:125], v126 offset0:50 offset1:51
	v_pk_add_f32 v[10:11], v[10:11], v[136:137] neg_lo:[0,1] neg_hi:[0,1]
	s_wait_dscnt 0x0
	v_pk_mul_f32 v[136:137], v[122:123], v[134:135] op_sel:[0,1]
	s_delay_alu instid0(VALU_DEP_1) | instskip(SKIP_1) | instid1(VALU_DEP_1)
	v_pk_fma_f32 v[138:139], v[122:123], v[132:133], v[136:137] op_sel:[0,0,1] op_sel_hi:[1,1,0] neg_lo:[0,0,1] neg_hi:[0,0,1]
	v_pk_fma_f32 v[122:123], v[122:123], v[132:133], v[136:137] op_sel:[0,0,1] op_sel_hi:[1,0,0]
	v_mov_b32_e32 v139, v123
	v_pk_mul_f32 v[122:123], v[124:125], v[134:135] op_sel:[0,1]
	s_delay_alu instid0(VALU_DEP_1) | instskip(SKIP_1) | instid1(VALU_DEP_1)
	v_pk_fma_f32 v[136:137], v[124:125], v[132:133], v[122:123] op_sel:[0,0,1] op_sel_hi:[1,1,0] neg_lo:[0,0,1] neg_hi:[0,0,1]
	v_pk_fma_f32 v[122:123], v[124:125], v[132:133], v[122:123] op_sel:[0,0,1] op_sel_hi:[1,0,0]
	v_mov_b32_e32 v137, v123
	ds_load_2addr_b64 v[122:125], v126 offset0:52 offset1:53
	v_pk_add_f32 v[12:13], v[12:13], v[138:139] neg_lo:[0,1] neg_hi:[0,1]
	v_pk_add_f32 v[8:9], v[8:9], v[136:137] neg_lo:[0,1] neg_hi:[0,1]
	s_wait_dscnt 0x0
	v_pk_mul_f32 v[136:137], v[122:123], v[134:135] op_sel:[0,1]
	s_delay_alu instid0(VALU_DEP_1) | instskip(SKIP_1) | instid1(VALU_DEP_1)
	v_pk_fma_f32 v[138:139], v[122:123], v[132:133], v[136:137] op_sel:[0,0,1] op_sel_hi:[1,1,0] neg_lo:[0,0,1] neg_hi:[0,0,1]
	v_pk_fma_f32 v[122:123], v[122:123], v[132:133], v[136:137] op_sel:[0,0,1] op_sel_hi:[1,0,0]
	v_mov_b32_e32 v139, v123
	v_pk_mul_f32 v[122:123], v[124:125], v[134:135] op_sel:[0,1]
	s_delay_alu instid0(VALU_DEP_1) | instskip(SKIP_1) | instid1(VALU_DEP_1)
	v_pk_fma_f32 v[136:137], v[124:125], v[132:133], v[122:123] op_sel:[0,0,1] op_sel_hi:[1,1,0] neg_lo:[0,0,1] neg_hi:[0,0,1]
	v_pk_fma_f32 v[122:123], v[124:125], v[132:133], v[122:123] op_sel:[0,0,1] op_sel_hi:[1,0,0]
	v_mov_b32_e32 v137, v123
	ds_load_2addr_b64 v[122:125], v126 offset0:54 offset1:55
	v_pk_add_f32 v[60:61], v[60:61], v[138:139] neg_lo:[0,1] neg_hi:[0,1]
	v_pk_add_f32 v[6:7], v[6:7], v[136:137] neg_lo:[0,1] neg_hi:[0,1]
	s_wait_dscnt 0x0
	v_dual_mul_f32 v136, v123, v135 :: v_dual_mul_f32 v138, v123, v132
	s_delay_alu instid0(VALU_DEP_1) | instskip(NEXT) | instid1(VALU_DEP_2)
	v_pk_fma_f32 v[136:137], v[122:123], v[18:19], v[136:137] op_sel_hi:[1,1,0] neg_lo:[0,0,1] neg_hi:[0,0,1]
	v_pk_fma_f32 v[122:123], v[122:123], v[18:19], v[138:139] op_sel:[1,0,0] op_sel_hi:[0,1,0]
	s_delay_alu instid0(VALU_DEP_1) | instskip(SKIP_1) | instid1(VALU_DEP_2)
	v_mov_b32_e32 v137, v123
	v_pk_mul_f32 v[122:123], v[124:125], v[134:135] op_sel:[0,1]
	v_pk_add_f32 v[42:43], v[42:43], v[136:137] neg_lo:[0,1] neg_hi:[0,1]
	s_delay_alu instid0(VALU_DEP_2) | instskip(SKIP_1) | instid1(VALU_DEP_1)
	v_pk_fma_f32 v[136:137], v[124:125], v[132:133], v[122:123] op_sel:[0,0,1] op_sel_hi:[1,1,0] neg_lo:[0,0,1] neg_hi:[0,0,1]
	v_pk_fma_f32 v[122:123], v[124:125], v[132:133], v[122:123] op_sel:[0,0,1] op_sel_hi:[1,0,0]
	v_mov_b32_e32 v137, v123
	ds_load_2addr_b64 v[122:125], v126 offset0:56 offset1:57
	v_pk_add_f32 v[28:29], v[28:29], v[136:137] neg_lo:[0,1] neg_hi:[0,1]
	s_wait_dscnt 0x0
	v_pk_mul_f32 v[136:137], v[122:123], v[134:135] op_sel:[0,1]
	v_mul_f32_e32 v134, v125, v135
	s_delay_alu instid0(VALU_DEP_2) | instskip(SKIP_2) | instid1(VALU_DEP_4)
	v_pk_fma_f32 v[138:139], v[122:123], v[132:133], v[136:137] op_sel:[0,0,1] op_sel_hi:[1,1,0] neg_lo:[0,0,1] neg_hi:[0,0,1]
	v_pk_fma_f32 v[122:123], v[122:123], v[132:133], v[136:137] op_sel:[0,0,1] op_sel_hi:[1,0,0]
	v_mov_b32_e32 v122, v125
	v_pk_fma_f32 v[134:135], v[124:125], v[18:19], v[134:135] op_sel_hi:[1,1,0] neg_lo:[0,0,1] neg_hi:[0,0,1]
	s_delay_alu instid0(VALU_DEP_3) | instskip(SKIP_1) | instid1(VALU_DEP_2)
	v_dual_mov_b32 v139, v123 :: v_dual_mov_b32 v123, v124
	v_mul_f32_e32 v124, v125, v132
	v_pk_add_f32 v[14:15], v[14:15], v[138:139] neg_lo:[0,1] neg_hi:[0,1]
	s_delay_alu instid0(VALU_DEP_2) | instskip(NEXT) | instid1(VALU_DEP_1)
	v_pk_fma_f32 v[122:123], v[122:123], v[18:19], v[124:125] op_sel_hi:[1,1,0]
	v_mov_b32_e32 v135, v123
	s_delay_alu instid0(VALU_DEP_1)
	v_pk_add_f32 v[120:121], v[120:121], v[134:135] neg_lo:[0,1] neg_hi:[0,1]
.LBB114_965:
	s_or_b32 exec_lo, exec_lo, s0
	v_lshl_add_u32 v122, v130, 3, v126
	s_barrier_signal -1
	s_barrier_wait -1
	ds_store_b64 v122, v[20:21]
	s_wait_dscnt 0x0
	s_barrier_signal -1
	s_barrier_wait -1
	ds_load_b64 v[122:123], v126 offset:368
	v_mov_b32_e32 v124, 46
	s_cmp_lt_i32 s18, 48
	s_cbranch_scc1 .LBB114_968
; %bb.966:
	v_add3_u32 v125, v127, 0, 0x178
	v_mov_b32_e32 v124, 46
	s_mov_b32 s0, 47
.LBB114_967:                            ; =>This Inner Loop Header: Depth=1
	ds_load_b64 v[132:133], v125
	s_wait_dscnt 0x1
	v_cmp_gt_f32_e32 vcc_lo, 0, v122
	v_cndmask_b32_e64 v134, v122, -v122, vcc_lo
	v_cmp_gt_f32_e32 vcc_lo, 0, v123
	v_cndmask_b32_e64 v136, v123, -v123, vcc_lo
	s_wait_dscnt 0x0
	v_cmp_gt_f32_e32 vcc_lo, 0, v132
	v_cndmask_b32_e64 v135, v132, -v132, vcc_lo
	v_cmp_gt_f32_e32 vcc_lo, 0, v133
	v_cndmask_b32_e64 v137, v133, -v133, vcc_lo
	s_delay_alu instid0(VALU_DEP_1) | instskip(NEXT) | instid1(VALU_DEP_1)
	v_pk_add_f32 v[134:135], v[134:135], v[136:137]
	v_cmp_lt_f32_e32 vcc_lo, v134, v135
	v_dual_cndmask_b32 v122, v122, v132 :: v_dual_add_nc_u32 v125, 8, v125
	v_cndmask_b32_e32 v123, v123, v133, vcc_lo
	v_cndmask_b32_e64 v124, v124, s0, vcc_lo
	s_add_co_i32 s0, s0, 1
	s_delay_alu instid0(SALU_CYCLE_1)
	s_cmp_lg_u32 s18, s0
	s_cbranch_scc1 .LBB114_967
.LBB114_968:
	s_wait_dscnt 0x0
	v_cmp_eq_f32_e32 vcc_lo, 0, v122
	v_cmp_eq_f32_e64 s0, 0, v123
	s_and_b32 s0, vcc_lo, s0
	s_delay_alu instid0(SALU_CYCLE_1) | instskip(NEXT) | instid1(SALU_CYCLE_1)
	s_and_saveexec_b32 s1, s0
	s_xor_b32 s0, exec_lo, s1
; %bb.969:
	v_cmp_ne_u32_e32 vcc_lo, 0, v128
	v_cndmask_b32_e32 v128, 47, v128, vcc_lo
; %bb.970:
	s_and_not1_saveexec_b32 s0, s0
	s_cbranch_execz .LBB114_976
; %bb.971:
	v_cmp_ngt_f32_e64 s1, |v122|, |v123|
	s_and_saveexec_b32 s12, s1
	s_delay_alu instid0(SALU_CYCLE_1)
	s_xor_b32 s1, exec_lo, s12
	s_cbranch_execz .LBB114_973
; %bb.972:
	v_div_scale_f32 v125, null, v123, v123, v122
	v_div_scale_f32 v133, vcc_lo, v122, v123, v122
	s_delay_alu instid0(VALU_DEP_2) | instskip(SKIP_1) | instid1(TRANS32_DEP_1)
	v_rcp_f32_e32 v131, v125
	v_nop
	v_fma_f32 v132, -v125, v131, 1.0
	s_delay_alu instid0(VALU_DEP_1) | instskip(NEXT) | instid1(VALU_DEP_1)
	v_fmac_f32_e32 v131, v132, v131
	v_mul_f32_e32 v132, v133, v131
	s_delay_alu instid0(VALU_DEP_1) | instskip(NEXT) | instid1(VALU_DEP_1)
	v_fma_f32 v134, -v125, v132, v133
	v_fmac_f32_e32 v132, v134, v131
	s_delay_alu instid0(VALU_DEP_1) | instskip(NEXT) | instid1(VALU_DEP_1)
	v_fma_f32 v125, -v125, v132, v133
	v_div_fmas_f32 v125, v125, v131, v132
	s_delay_alu instid0(VALU_DEP_1) | instskip(NEXT) | instid1(VALU_DEP_1)
	v_div_fixup_f32 v125, v125, v123, v122
	v_fmac_f32_e32 v123, v122, v125
	s_delay_alu instid0(VALU_DEP_1) | instskip(SKIP_1) | instid1(VALU_DEP_2)
	v_div_scale_f32 v122, null, v123, v123, 1.0
	v_div_scale_f32 v133, vcc_lo, 1.0, v123, 1.0
	v_rcp_f32_e32 v131, v122
	v_nop
	s_delay_alu instid0(TRANS32_DEP_1) | instskip(NEXT) | instid1(VALU_DEP_1)
	v_fma_f32 v132, -v122, v131, 1.0
	v_fmac_f32_e32 v131, v132, v131
	s_delay_alu instid0(VALU_DEP_1) | instskip(NEXT) | instid1(VALU_DEP_1)
	v_mul_f32_e32 v132, v133, v131
	v_fma_f32 v134, -v122, v132, v133
	s_delay_alu instid0(VALU_DEP_1) | instskip(NEXT) | instid1(VALU_DEP_1)
	v_fmac_f32_e32 v132, v134, v131
	v_fma_f32 v122, -v122, v132, v133
	s_delay_alu instid0(VALU_DEP_1) | instskip(NEXT) | instid1(VALU_DEP_1)
	v_div_fmas_f32 v122, v122, v131, v132
	v_div_fixup_f32 v123, v122, v123, 1.0
	s_delay_alu instid0(VALU_DEP_1)
	v_mul_f32_e32 v122, v125, v123
	v_xor_b32_e32 v123, 0x80000000, v123
.LBB114_973:
	s_and_not1_saveexec_b32 s1, s1
	s_cbranch_execz .LBB114_975
; %bb.974:
	s_delay_alu instid0(VALU_DEP_1) | instskip(SKIP_1) | instid1(VALU_DEP_2)
	v_div_scale_f32 v125, null, v122, v122, v123
	v_div_scale_f32 v133, vcc_lo, v123, v122, v123
	v_rcp_f32_e32 v131, v125
	v_nop
	s_delay_alu instid0(TRANS32_DEP_1) | instskip(NEXT) | instid1(VALU_DEP_1)
	v_fma_f32 v132, -v125, v131, 1.0
	v_fmac_f32_e32 v131, v132, v131
	s_delay_alu instid0(VALU_DEP_1) | instskip(NEXT) | instid1(VALU_DEP_1)
	v_mul_f32_e32 v132, v133, v131
	v_fma_f32 v134, -v125, v132, v133
	s_delay_alu instid0(VALU_DEP_1) | instskip(NEXT) | instid1(VALU_DEP_1)
	v_fmac_f32_e32 v132, v134, v131
	v_fma_f32 v125, -v125, v132, v133
	s_delay_alu instid0(VALU_DEP_1) | instskip(NEXT) | instid1(VALU_DEP_1)
	v_div_fmas_f32 v125, v125, v131, v132
	v_div_fixup_f32 v125, v125, v122, v123
	s_delay_alu instid0(VALU_DEP_1) | instskip(NEXT) | instid1(VALU_DEP_1)
	v_fmac_f32_e32 v122, v123, v125
	v_div_scale_f32 v123, null, v122, v122, 1.0
	s_delay_alu instid0(VALU_DEP_1) | instskip(SKIP_1) | instid1(TRANS32_DEP_1)
	v_rcp_f32_e32 v131, v123
	v_nop
	v_fma_f32 v132, -v123, v131, 1.0
	s_delay_alu instid0(VALU_DEP_1) | instskip(SKIP_1) | instid1(VALU_DEP_1)
	v_fmac_f32_e32 v131, v132, v131
	v_div_scale_f32 v132, vcc_lo, 1.0, v122, 1.0
	v_mul_f32_e32 v133, v132, v131
	s_delay_alu instid0(VALU_DEP_1) | instskip(NEXT) | instid1(VALU_DEP_1)
	v_fma_f32 v134, -v123, v133, v132
	v_fmac_f32_e32 v133, v134, v131
	s_delay_alu instid0(VALU_DEP_1) | instskip(NEXT) | instid1(VALU_DEP_1)
	v_fma_f32 v123, -v123, v133, v132
	v_div_fmas_f32 v123, v123, v131, v133
	s_delay_alu instid0(VALU_DEP_1) | instskip(NEXT) | instid1(VALU_DEP_1)
	v_div_fixup_f32 v122, v123, v122, 1.0
	v_mul_f32_e64 v123, v125, -v122
.LBB114_975:
	s_or_b32 exec_lo, exec_lo, s1
.LBB114_976:
	s_delay_alu instid0(SALU_CYCLE_1) | instskip(NEXT) | instid1(SALU_CYCLE_1)
	s_or_b32 exec_lo, exec_lo, s0
	s_mov_b32 s0, exec_lo
	v_cmpx_ne_u32_e64 v130, v124
	s_xor_b32 s0, exec_lo, s0
	s_cbranch_execz .LBB114_982
; %bb.977:
	s_mov_b32 s1, exec_lo
	v_cmpx_eq_u32_e32 46, v130
	s_cbranch_execz .LBB114_981
; %bb.978:
	v_cmp_ne_u32_e32 vcc_lo, 46, v124
	s_xor_b32 s12, s16, -1
	s_delay_alu instid0(SALU_CYCLE_1) | instskip(NEXT) | instid1(SALU_CYCLE_1)
	s_and_b32 s13, s12, vcc_lo
	s_and_saveexec_b32 s12, s13
	s_cbranch_execz .LBB114_980
; %bb.979:
	v_ashrrev_i32_e32 v125, 31, v124
	s_delay_alu instid0(VALU_DEP_1)
	v_lshl_add_u64 v[130:131], v[124:125], 2, v[4:5]
	s_clause 0x1
	global_load_b32 v125, v[130:131], off
	global_load_b32 v129, v[4:5], off offset:184
	s_wait_loadcnt 0x1
	global_store_b32 v[4:5], v125, off offset:184
	s_wait_loadcnt 0x0
	global_store_b32 v[130:131], v129, off
.LBB114_980:
	s_wait_xcnt 0x0
	s_or_b32 exec_lo, exec_lo, s12
	v_dual_mov_b32 v130, v124 :: v_dual_mov_b32 v129, v124
.LBB114_981:
	s_or_b32 exec_lo, exec_lo, s1
.LBB114_982:
	s_and_not1_saveexec_b32 s0, s0
	s_cbranch_execz .LBB114_984
; %bb.983:
	v_mov_b32_e32 v130, 46
	ds_store_2addr_b64 v126, v[16:17], v[84:85] offset0:47 offset1:48
	ds_store_2addr_b64 v126, v[10:11], v[12:13] offset0:49 offset1:50
	;; [unrolled: 1-line block ×5, first 2 shown]
	ds_store_b64 v126, v[120:121] offset:456
.LBB114_984:
	s_or_b32 exec_lo, exec_lo, s0
	s_delay_alu instid0(SALU_CYCLE_1)
	s_mov_b32 s0, exec_lo
	s_wait_storecnt_dscnt 0x0
	s_barrier_signal -1
	s_barrier_wait -1
	v_cmpx_lt_i32_e32 46, v130
	s_cbranch_execz .LBB114_986
; %bb.985:
	v_pk_mul_f32 v[124:125], v[122:123], v[20:21] op_sel:[1,1] op_sel_hi:[0,1]
	s_delay_alu instid0(VALU_DEP_1)
	v_pk_fma_f32 v[132:133], v[122:123], v[20:21], v[124:125] op_sel_hi:[1,0,1] neg_lo:[0,0,1] neg_hi:[0,0,1]
	v_pk_fma_f32 v[134:135], v[122:123], v[20:21], v[124:125] op_sel_hi:[1,0,1]
	ds_load_2addr_b64 v[122:125], v126 offset0:47 offset1:48
	v_dual_mov_b32 v20, v132 :: v_dual_mov_b32 v21, v135
	s_wait_dscnt 0x0
	v_pk_mul_f32 v[136:137], v[122:123], v[134:135] op_sel:[0,1]
	s_delay_alu instid0(VALU_DEP_1) | instskip(SKIP_1) | instid1(VALU_DEP_1)
	v_pk_fma_f32 v[138:139], v[122:123], v[132:133], v[136:137] op_sel:[0,0,1] op_sel_hi:[1,1,0] neg_lo:[0,0,1] neg_hi:[0,0,1]
	v_pk_fma_f32 v[122:123], v[122:123], v[132:133], v[136:137] op_sel:[0,0,1] op_sel_hi:[1,0,0]
	v_mov_b32_e32 v139, v123
	v_pk_mul_f32 v[122:123], v[124:125], v[134:135] op_sel:[0,1]
	s_delay_alu instid0(VALU_DEP_1) | instskip(SKIP_1) | instid1(VALU_DEP_1)
	v_pk_fma_f32 v[136:137], v[124:125], v[132:133], v[122:123] op_sel:[0,0,1] op_sel_hi:[1,1,0] neg_lo:[0,0,1] neg_hi:[0,0,1]
	v_pk_fma_f32 v[122:123], v[124:125], v[132:133], v[122:123] op_sel:[0,0,1] op_sel_hi:[1,0,0]
	v_mov_b32_e32 v137, v123
	ds_load_2addr_b64 v[122:125], v126 offset0:49 offset1:50
	v_pk_add_f32 v[16:17], v[16:17], v[138:139] neg_lo:[0,1] neg_hi:[0,1]
	v_pk_add_f32 v[84:85], v[84:85], v[136:137] neg_lo:[0,1] neg_hi:[0,1]
	s_wait_dscnt 0x0
	v_pk_mul_f32 v[136:137], v[122:123], v[134:135] op_sel:[0,1]
	s_delay_alu instid0(VALU_DEP_1) | instskip(SKIP_2) | instid1(VALU_DEP_2)
	v_pk_fma_f32 v[138:139], v[122:123], v[132:133], v[136:137] op_sel:[0,0,1] op_sel_hi:[1,1,0] neg_lo:[0,0,1] neg_hi:[0,0,1]
	v_pk_fma_f32 v[122:123], v[122:123], v[132:133], v[136:137] op_sel:[0,0,1] op_sel_hi:[1,0,0]
	v_dual_mul_f32 v136, v125, v135 :: v_dual_mov_b32 v122, v125
	v_dual_mov_b32 v139, v123 :: v_dual_mov_b32 v123, v124
	s_delay_alu instid0(VALU_DEP_2) | instskip(SKIP_1) | instid1(VALU_DEP_3)
	v_pk_fma_f32 v[136:137], v[124:125], v[20:21], v[136:137] op_sel_hi:[1,1,0] neg_lo:[0,0,1] neg_hi:[0,0,1]
	v_mul_f32_e32 v124, v125, v132
	v_pk_add_f32 v[10:11], v[10:11], v[138:139] neg_lo:[0,1] neg_hi:[0,1]
	s_delay_alu instid0(VALU_DEP_2) | instskip(NEXT) | instid1(VALU_DEP_1)
	v_pk_fma_f32 v[122:123], v[122:123], v[20:21], v[124:125] op_sel_hi:[1,1,0]
	v_mov_b32_e32 v137, v123
	ds_load_2addr_b64 v[122:125], v126 offset0:51 offset1:52
	v_pk_add_f32 v[12:13], v[12:13], v[136:137] neg_lo:[0,1] neg_hi:[0,1]
	s_wait_dscnt 0x0
	v_pk_mul_f32 v[136:137], v[122:123], v[134:135] op_sel:[0,1]
	s_delay_alu instid0(VALU_DEP_1) | instskip(SKIP_1) | instid1(VALU_DEP_1)
	v_pk_fma_f32 v[138:139], v[122:123], v[132:133], v[136:137] op_sel:[0,0,1] op_sel_hi:[1,1,0] neg_lo:[0,0,1] neg_hi:[0,0,1]
	v_pk_fma_f32 v[122:123], v[122:123], v[132:133], v[136:137] op_sel:[0,0,1] op_sel_hi:[1,0,0]
	v_mov_b32_e32 v139, v123
	v_pk_mul_f32 v[122:123], v[124:125], v[134:135] op_sel:[0,1]
	s_delay_alu instid0(VALU_DEP_1) | instskip(SKIP_1) | instid1(VALU_DEP_1)
	v_pk_fma_f32 v[136:137], v[124:125], v[132:133], v[122:123] op_sel:[0,0,1] op_sel_hi:[1,1,0] neg_lo:[0,0,1] neg_hi:[0,0,1]
	v_pk_fma_f32 v[122:123], v[124:125], v[132:133], v[122:123] op_sel:[0,0,1] op_sel_hi:[1,0,0]
	v_mov_b32_e32 v137, v123
	ds_load_2addr_b64 v[122:125], v126 offset0:53 offset1:54
	v_pk_add_f32 v[8:9], v[8:9], v[138:139] neg_lo:[0,1] neg_hi:[0,1]
	v_pk_add_f32 v[60:61], v[60:61], v[136:137] neg_lo:[0,1] neg_hi:[0,1]
	s_wait_dscnt 0x0
	v_pk_mul_f32 v[136:137], v[122:123], v[134:135] op_sel:[0,1]
	s_delay_alu instid0(VALU_DEP_1) | instskip(SKIP_1) | instid1(VALU_DEP_1)
	v_pk_fma_f32 v[138:139], v[122:123], v[132:133], v[136:137] op_sel:[0,0,1] op_sel_hi:[1,1,0] neg_lo:[0,0,1] neg_hi:[0,0,1]
	v_pk_fma_f32 v[122:123], v[122:123], v[132:133], v[136:137] op_sel:[0,0,1] op_sel_hi:[1,0,0]
	v_mov_b32_e32 v139, v123
	v_pk_mul_f32 v[122:123], v[124:125], v[134:135] op_sel:[0,1]
	s_delay_alu instid0(VALU_DEP_1) | instskip(SKIP_1) | instid1(VALU_DEP_1)
	v_pk_fma_f32 v[136:137], v[124:125], v[132:133], v[122:123] op_sel:[0,0,1] op_sel_hi:[1,1,0] neg_lo:[0,0,1] neg_hi:[0,0,1]
	v_pk_fma_f32 v[122:123], v[124:125], v[132:133], v[122:123] op_sel:[0,0,1] op_sel_hi:[1,0,0]
	v_mov_b32_e32 v137, v123
	ds_load_2addr_b64 v[122:125], v126 offset0:55 offset1:56
	v_pk_add_f32 v[6:7], v[6:7], v[138:139] neg_lo:[0,1] neg_hi:[0,1]
	v_pk_add_f32 v[42:43], v[42:43], v[136:137] neg_lo:[0,1] neg_hi:[0,1]
	s_wait_dscnt 0x0
	v_dual_mul_f32 v136, v123, v135 :: v_dual_mul_f32 v138, v123, v132
	s_delay_alu instid0(VALU_DEP_1) | instskip(NEXT) | instid1(VALU_DEP_2)
	v_pk_fma_f32 v[136:137], v[122:123], v[20:21], v[136:137] op_sel_hi:[1,1,0] neg_lo:[0,0,1] neg_hi:[0,0,1]
	v_pk_fma_f32 v[122:123], v[122:123], v[20:21], v[138:139] op_sel:[1,0,0] op_sel_hi:[0,1,0]
	s_delay_alu instid0(VALU_DEP_1) | instskip(SKIP_1) | instid1(VALU_DEP_2)
	v_mov_b32_e32 v137, v123
	v_pk_mul_f32 v[122:123], v[124:125], v[134:135] op_sel:[0,1]
	v_pk_add_f32 v[28:29], v[28:29], v[136:137] neg_lo:[0,1] neg_hi:[0,1]
	s_delay_alu instid0(VALU_DEP_2) | instskip(SKIP_1) | instid1(VALU_DEP_1)
	v_pk_fma_f32 v[136:137], v[124:125], v[132:133], v[122:123] op_sel:[0,0,1] op_sel_hi:[1,1,0] neg_lo:[0,0,1] neg_hi:[0,0,1]
	v_pk_fma_f32 v[122:123], v[124:125], v[132:133], v[122:123] op_sel:[0,0,1] op_sel_hi:[1,0,0]
	v_mov_b32_e32 v137, v123
	ds_load_b64 v[122:123], v126 offset:456
	v_pk_add_f32 v[14:15], v[14:15], v[136:137] neg_lo:[0,1] neg_hi:[0,1]
	s_wait_dscnt 0x0
	v_pk_mul_f32 v[124:125], v[122:123], v[134:135] op_sel:[0,1]
	s_delay_alu instid0(VALU_DEP_1) | instskip(SKIP_1) | instid1(VALU_DEP_1)
	v_pk_fma_f32 v[134:135], v[122:123], v[132:133], v[124:125] op_sel:[0,0,1] op_sel_hi:[1,1,0] neg_lo:[0,0,1] neg_hi:[0,0,1]
	v_pk_fma_f32 v[122:123], v[122:123], v[132:133], v[124:125] op_sel:[0,0,1] op_sel_hi:[1,0,0]
	v_mov_b32_e32 v135, v123
	s_delay_alu instid0(VALU_DEP_1)
	v_pk_add_f32 v[120:121], v[120:121], v[134:135] neg_lo:[0,1] neg_hi:[0,1]
.LBB114_986:
	s_or_b32 exec_lo, exec_lo, s0
	v_lshl_add_u32 v122, v130, 3, v126
	s_barrier_signal -1
	s_barrier_wait -1
	ds_store_b64 v122, v[16:17]
	s_wait_dscnt 0x0
	s_barrier_signal -1
	s_barrier_wait -1
	ds_load_b64 v[122:123], v126 offset:376
	v_mov_b32_e32 v124, 47
	s_cmp_lt_i32 s18, 49
	s_cbranch_scc1 .LBB114_989
; %bb.987:
	v_add3_u32 v125, v127, 0, 0x180
	v_mov_b32_e32 v124, 47
	s_mov_b32 s0, 48
.LBB114_988:                            ; =>This Inner Loop Header: Depth=1
	ds_load_b64 v[132:133], v125
	s_wait_dscnt 0x1
	v_cmp_gt_f32_e32 vcc_lo, 0, v122
	v_cndmask_b32_e64 v134, v122, -v122, vcc_lo
	v_cmp_gt_f32_e32 vcc_lo, 0, v123
	v_cndmask_b32_e64 v136, v123, -v123, vcc_lo
	s_wait_dscnt 0x0
	v_cmp_gt_f32_e32 vcc_lo, 0, v132
	v_cndmask_b32_e64 v135, v132, -v132, vcc_lo
	v_cmp_gt_f32_e32 vcc_lo, 0, v133
	v_cndmask_b32_e64 v137, v133, -v133, vcc_lo
	s_delay_alu instid0(VALU_DEP_1) | instskip(NEXT) | instid1(VALU_DEP_1)
	v_pk_add_f32 v[134:135], v[134:135], v[136:137]
	v_cmp_lt_f32_e32 vcc_lo, v134, v135
	v_dual_cndmask_b32 v122, v122, v132 :: v_dual_add_nc_u32 v125, 8, v125
	v_cndmask_b32_e32 v123, v123, v133, vcc_lo
	v_cndmask_b32_e64 v124, v124, s0, vcc_lo
	s_add_co_i32 s0, s0, 1
	s_delay_alu instid0(SALU_CYCLE_1)
	s_cmp_lg_u32 s18, s0
	s_cbranch_scc1 .LBB114_988
.LBB114_989:
	s_wait_dscnt 0x0
	v_cmp_eq_f32_e32 vcc_lo, 0, v122
	v_cmp_eq_f32_e64 s0, 0, v123
	s_and_b32 s0, vcc_lo, s0
	s_delay_alu instid0(SALU_CYCLE_1) | instskip(NEXT) | instid1(SALU_CYCLE_1)
	s_and_saveexec_b32 s1, s0
	s_xor_b32 s0, exec_lo, s1
; %bb.990:
	v_cmp_ne_u32_e32 vcc_lo, 0, v128
	v_cndmask_b32_e32 v128, 48, v128, vcc_lo
; %bb.991:
	s_and_not1_saveexec_b32 s0, s0
	s_cbranch_execz .LBB114_997
; %bb.992:
	v_cmp_ngt_f32_e64 s1, |v122|, |v123|
	s_and_saveexec_b32 s12, s1
	s_delay_alu instid0(SALU_CYCLE_1)
	s_xor_b32 s1, exec_lo, s12
	s_cbranch_execz .LBB114_994
; %bb.993:
	v_div_scale_f32 v125, null, v123, v123, v122
	v_div_scale_f32 v133, vcc_lo, v122, v123, v122
	s_delay_alu instid0(VALU_DEP_2) | instskip(SKIP_1) | instid1(TRANS32_DEP_1)
	v_rcp_f32_e32 v131, v125
	v_nop
	v_fma_f32 v132, -v125, v131, 1.0
	s_delay_alu instid0(VALU_DEP_1) | instskip(NEXT) | instid1(VALU_DEP_1)
	v_fmac_f32_e32 v131, v132, v131
	v_mul_f32_e32 v132, v133, v131
	s_delay_alu instid0(VALU_DEP_1) | instskip(NEXT) | instid1(VALU_DEP_1)
	v_fma_f32 v134, -v125, v132, v133
	v_fmac_f32_e32 v132, v134, v131
	s_delay_alu instid0(VALU_DEP_1) | instskip(NEXT) | instid1(VALU_DEP_1)
	v_fma_f32 v125, -v125, v132, v133
	v_div_fmas_f32 v125, v125, v131, v132
	s_delay_alu instid0(VALU_DEP_1) | instskip(NEXT) | instid1(VALU_DEP_1)
	v_div_fixup_f32 v125, v125, v123, v122
	v_fmac_f32_e32 v123, v122, v125
	s_delay_alu instid0(VALU_DEP_1) | instskip(SKIP_1) | instid1(VALU_DEP_2)
	v_div_scale_f32 v122, null, v123, v123, 1.0
	v_div_scale_f32 v133, vcc_lo, 1.0, v123, 1.0
	v_rcp_f32_e32 v131, v122
	v_nop
	s_delay_alu instid0(TRANS32_DEP_1) | instskip(NEXT) | instid1(VALU_DEP_1)
	v_fma_f32 v132, -v122, v131, 1.0
	v_fmac_f32_e32 v131, v132, v131
	s_delay_alu instid0(VALU_DEP_1) | instskip(NEXT) | instid1(VALU_DEP_1)
	v_mul_f32_e32 v132, v133, v131
	v_fma_f32 v134, -v122, v132, v133
	s_delay_alu instid0(VALU_DEP_1) | instskip(NEXT) | instid1(VALU_DEP_1)
	v_fmac_f32_e32 v132, v134, v131
	v_fma_f32 v122, -v122, v132, v133
	s_delay_alu instid0(VALU_DEP_1) | instskip(NEXT) | instid1(VALU_DEP_1)
	v_div_fmas_f32 v122, v122, v131, v132
	v_div_fixup_f32 v123, v122, v123, 1.0
	s_delay_alu instid0(VALU_DEP_1)
	v_mul_f32_e32 v122, v125, v123
	v_xor_b32_e32 v123, 0x80000000, v123
.LBB114_994:
	s_and_not1_saveexec_b32 s1, s1
	s_cbranch_execz .LBB114_996
; %bb.995:
	s_delay_alu instid0(VALU_DEP_1) | instskip(SKIP_1) | instid1(VALU_DEP_2)
	v_div_scale_f32 v125, null, v122, v122, v123
	v_div_scale_f32 v133, vcc_lo, v123, v122, v123
	v_rcp_f32_e32 v131, v125
	v_nop
	s_delay_alu instid0(TRANS32_DEP_1) | instskip(NEXT) | instid1(VALU_DEP_1)
	v_fma_f32 v132, -v125, v131, 1.0
	v_fmac_f32_e32 v131, v132, v131
	s_delay_alu instid0(VALU_DEP_1) | instskip(NEXT) | instid1(VALU_DEP_1)
	v_mul_f32_e32 v132, v133, v131
	v_fma_f32 v134, -v125, v132, v133
	s_delay_alu instid0(VALU_DEP_1) | instskip(NEXT) | instid1(VALU_DEP_1)
	v_fmac_f32_e32 v132, v134, v131
	v_fma_f32 v125, -v125, v132, v133
	s_delay_alu instid0(VALU_DEP_1) | instskip(NEXT) | instid1(VALU_DEP_1)
	v_div_fmas_f32 v125, v125, v131, v132
	v_div_fixup_f32 v125, v125, v122, v123
	s_delay_alu instid0(VALU_DEP_1) | instskip(NEXT) | instid1(VALU_DEP_1)
	v_fmac_f32_e32 v122, v123, v125
	v_div_scale_f32 v123, null, v122, v122, 1.0
	s_delay_alu instid0(VALU_DEP_1) | instskip(SKIP_1) | instid1(TRANS32_DEP_1)
	v_rcp_f32_e32 v131, v123
	v_nop
	v_fma_f32 v132, -v123, v131, 1.0
	s_delay_alu instid0(VALU_DEP_1) | instskip(SKIP_1) | instid1(VALU_DEP_1)
	v_fmac_f32_e32 v131, v132, v131
	v_div_scale_f32 v132, vcc_lo, 1.0, v122, 1.0
	v_mul_f32_e32 v133, v132, v131
	s_delay_alu instid0(VALU_DEP_1) | instskip(NEXT) | instid1(VALU_DEP_1)
	v_fma_f32 v134, -v123, v133, v132
	v_fmac_f32_e32 v133, v134, v131
	s_delay_alu instid0(VALU_DEP_1) | instskip(NEXT) | instid1(VALU_DEP_1)
	v_fma_f32 v123, -v123, v133, v132
	v_div_fmas_f32 v123, v123, v131, v133
	s_delay_alu instid0(VALU_DEP_1) | instskip(NEXT) | instid1(VALU_DEP_1)
	v_div_fixup_f32 v122, v123, v122, 1.0
	v_mul_f32_e64 v123, v125, -v122
.LBB114_996:
	s_or_b32 exec_lo, exec_lo, s1
.LBB114_997:
	s_delay_alu instid0(SALU_CYCLE_1) | instskip(NEXT) | instid1(SALU_CYCLE_1)
	s_or_b32 exec_lo, exec_lo, s0
	s_mov_b32 s0, exec_lo
	v_cmpx_ne_u32_e64 v130, v124
	s_xor_b32 s0, exec_lo, s0
	s_cbranch_execz .LBB114_1003
; %bb.998:
	s_mov_b32 s1, exec_lo
	v_cmpx_eq_u32_e32 47, v130
	s_cbranch_execz .LBB114_1002
; %bb.999:
	v_cmp_ne_u32_e32 vcc_lo, 47, v124
	s_xor_b32 s12, s16, -1
	s_delay_alu instid0(SALU_CYCLE_1) | instskip(NEXT) | instid1(SALU_CYCLE_1)
	s_and_b32 s13, s12, vcc_lo
	s_and_saveexec_b32 s12, s13
	s_cbranch_execz .LBB114_1001
; %bb.1000:
	v_ashrrev_i32_e32 v125, 31, v124
	s_delay_alu instid0(VALU_DEP_1)
	v_lshl_add_u64 v[130:131], v[124:125], 2, v[4:5]
	s_clause 0x1
	global_load_b32 v125, v[130:131], off
	global_load_b32 v129, v[4:5], off offset:188
	s_wait_loadcnt 0x1
	global_store_b32 v[4:5], v125, off offset:188
	s_wait_loadcnt 0x0
	global_store_b32 v[130:131], v129, off
.LBB114_1001:
	s_wait_xcnt 0x0
	s_or_b32 exec_lo, exec_lo, s12
	v_dual_mov_b32 v130, v124 :: v_dual_mov_b32 v129, v124
.LBB114_1002:
	s_or_b32 exec_lo, exec_lo, s1
.LBB114_1003:
	s_and_not1_saveexec_b32 s0, s0
	s_cbranch_execz .LBB114_1005
; %bb.1004:
	v_dual_mov_b32 v124, v84 :: v_dual_mov_b32 v125, v85
	v_dual_mov_b32 v130, v10 :: v_dual_mov_b32 v131, v11
	ds_store_2addr_b64 v126, v[124:125], v[130:131] offset0:48 offset1:49
	v_dual_mov_b32 v124, v12 :: v_dual_mov_b32 v125, v13
	v_dual_mov_b32 v130, v8 :: v_dual_mov_b32 v131, v9
	ds_store_2addr_b64 v126, v[124:125], v[130:131] offset0:50 offset1:51
	;; [unrolled: 3-line block ×4, first 2 shown]
	v_dual_mov_b32 v124, v14 :: v_dual_mov_b32 v125, v15
	v_mov_b32_e32 v130, 47
	ds_store_2addr_b64 v126, v[124:125], v[120:121] offset0:56 offset1:57
.LBB114_1005:
	s_or_b32 exec_lo, exec_lo, s0
	s_delay_alu instid0(SALU_CYCLE_1)
	s_mov_b32 s0, exec_lo
	s_wait_storecnt_dscnt 0x0
	s_barrier_signal -1
	s_barrier_wait -1
	v_cmpx_lt_i32_e32 47, v130
	s_cbranch_execz .LBB114_1007
; %bb.1006:
	v_pk_mul_f32 v[124:125], v[122:123], v[16:17] op_sel:[1,1] op_sel_hi:[0,1]
	s_delay_alu instid0(VALU_DEP_1)
	v_pk_fma_f32 v[132:133], v[122:123], v[16:17], v[124:125] op_sel_hi:[1,0,1] neg_lo:[0,0,1] neg_hi:[0,0,1]
	v_pk_fma_f32 v[134:135], v[122:123], v[16:17], v[124:125] op_sel_hi:[1,0,1]
	ds_load_2addr_b64 v[122:125], v126 offset0:48 offset1:49
	v_dual_mov_b32 v16, v132 :: v_dual_mov_b32 v17, v135
	s_wait_dscnt 0x0
	v_pk_mul_f32 v[136:137], v[122:123], v[134:135] op_sel:[0,1]
	s_delay_alu instid0(VALU_DEP_1) | instskip(SKIP_1) | instid1(VALU_DEP_1)
	v_pk_fma_f32 v[138:139], v[122:123], v[132:133], v[136:137] op_sel:[0,0,1] op_sel_hi:[1,1,0] neg_lo:[0,0,1] neg_hi:[0,0,1]
	v_pk_fma_f32 v[122:123], v[122:123], v[132:133], v[136:137] op_sel:[0,0,1] op_sel_hi:[1,0,0]
	v_mov_b32_e32 v139, v123
	v_pk_mul_f32 v[122:123], v[124:125], v[134:135] op_sel:[0,1]
	s_delay_alu instid0(VALU_DEP_1) | instskip(SKIP_1) | instid1(VALU_DEP_1)
	v_pk_fma_f32 v[136:137], v[124:125], v[132:133], v[122:123] op_sel:[0,0,1] op_sel_hi:[1,1,0] neg_lo:[0,0,1] neg_hi:[0,0,1]
	v_pk_fma_f32 v[122:123], v[124:125], v[132:133], v[122:123] op_sel:[0,0,1] op_sel_hi:[1,0,0]
	v_mov_b32_e32 v137, v123
	ds_load_2addr_b64 v[122:125], v126 offset0:50 offset1:51
	v_pk_add_f32 v[84:85], v[84:85], v[138:139] neg_lo:[0,1] neg_hi:[0,1]
	v_pk_add_f32 v[10:11], v[10:11], v[136:137] neg_lo:[0,1] neg_hi:[0,1]
	s_wait_dscnt 0x0
	v_pk_mul_f32 v[136:137], v[122:123], v[134:135] op_sel:[0,1]
	s_delay_alu instid0(VALU_DEP_1) | instskip(SKIP_2) | instid1(VALU_DEP_2)
	v_pk_fma_f32 v[138:139], v[122:123], v[132:133], v[136:137] op_sel:[0,0,1] op_sel_hi:[1,1,0] neg_lo:[0,0,1] neg_hi:[0,0,1]
	v_pk_fma_f32 v[122:123], v[122:123], v[132:133], v[136:137] op_sel:[0,0,1] op_sel_hi:[1,0,0]
	v_dual_mul_f32 v136, v125, v135 :: v_dual_mov_b32 v122, v125
	v_dual_mov_b32 v139, v123 :: v_dual_mov_b32 v123, v124
	s_delay_alu instid0(VALU_DEP_2) | instskip(SKIP_1) | instid1(VALU_DEP_3)
	v_pk_fma_f32 v[136:137], v[124:125], v[16:17], v[136:137] op_sel_hi:[1,1,0] neg_lo:[0,0,1] neg_hi:[0,0,1]
	v_mul_f32_e32 v124, v125, v132
	v_pk_add_f32 v[12:13], v[12:13], v[138:139] neg_lo:[0,1] neg_hi:[0,1]
	s_delay_alu instid0(VALU_DEP_2) | instskip(NEXT) | instid1(VALU_DEP_1)
	v_pk_fma_f32 v[122:123], v[122:123], v[16:17], v[124:125] op_sel_hi:[1,1,0]
	v_mov_b32_e32 v137, v123
	ds_load_2addr_b64 v[122:125], v126 offset0:52 offset1:53
	v_pk_add_f32 v[8:9], v[8:9], v[136:137] neg_lo:[0,1] neg_hi:[0,1]
	s_wait_dscnt 0x0
	v_pk_mul_f32 v[136:137], v[122:123], v[134:135] op_sel:[0,1]
	s_delay_alu instid0(VALU_DEP_1) | instskip(SKIP_1) | instid1(VALU_DEP_1)
	v_pk_fma_f32 v[138:139], v[122:123], v[132:133], v[136:137] op_sel:[0,0,1] op_sel_hi:[1,1,0] neg_lo:[0,0,1] neg_hi:[0,0,1]
	v_pk_fma_f32 v[122:123], v[122:123], v[132:133], v[136:137] op_sel:[0,0,1] op_sel_hi:[1,0,0]
	v_mov_b32_e32 v139, v123
	v_pk_mul_f32 v[122:123], v[124:125], v[134:135] op_sel:[0,1]
	s_delay_alu instid0(VALU_DEP_1) | instskip(SKIP_1) | instid1(VALU_DEP_1)
	v_pk_fma_f32 v[136:137], v[124:125], v[132:133], v[122:123] op_sel:[0,0,1] op_sel_hi:[1,1,0] neg_lo:[0,0,1] neg_hi:[0,0,1]
	v_pk_fma_f32 v[122:123], v[124:125], v[132:133], v[122:123] op_sel:[0,0,1] op_sel_hi:[1,0,0]
	v_mov_b32_e32 v137, v123
	ds_load_2addr_b64 v[122:125], v126 offset0:54 offset1:55
	v_pk_add_f32 v[60:61], v[60:61], v[138:139] neg_lo:[0,1] neg_hi:[0,1]
	v_pk_add_f32 v[6:7], v[6:7], v[136:137] neg_lo:[0,1] neg_hi:[0,1]
	s_wait_dscnt 0x0
	v_pk_mul_f32 v[136:137], v[122:123], v[134:135] op_sel:[0,1]
	s_delay_alu instid0(VALU_DEP_1) | instskip(SKIP_1) | instid1(VALU_DEP_1)
	v_pk_fma_f32 v[138:139], v[122:123], v[132:133], v[136:137] op_sel:[0,0,1] op_sel_hi:[1,1,0] neg_lo:[0,0,1] neg_hi:[0,0,1]
	v_pk_fma_f32 v[122:123], v[122:123], v[132:133], v[136:137] op_sel:[0,0,1] op_sel_hi:[1,0,0]
	v_mov_b32_e32 v139, v123
	v_pk_mul_f32 v[122:123], v[124:125], v[134:135] op_sel:[0,1]
	s_delay_alu instid0(VALU_DEP_1) | instskip(SKIP_1) | instid1(VALU_DEP_1)
	v_pk_fma_f32 v[136:137], v[124:125], v[132:133], v[122:123] op_sel:[0,0,1] op_sel_hi:[1,1,0] neg_lo:[0,0,1] neg_hi:[0,0,1]
	v_pk_fma_f32 v[122:123], v[124:125], v[132:133], v[122:123] op_sel:[0,0,1] op_sel_hi:[1,0,0]
	v_mov_b32_e32 v137, v123
	ds_load_2addr_b64 v[122:125], v126 offset0:56 offset1:57
	v_pk_add_f32 v[42:43], v[42:43], v[138:139] neg_lo:[0,1] neg_hi:[0,1]
	v_pk_add_f32 v[28:29], v[28:29], v[136:137] neg_lo:[0,1] neg_hi:[0,1]
	s_wait_dscnt 0x0
	v_dual_mul_f32 v136, v123, v135 :: v_dual_mul_f32 v138, v123, v132
	s_delay_alu instid0(VALU_DEP_1) | instskip(NEXT) | instid1(VALU_DEP_2)
	v_pk_fma_f32 v[136:137], v[122:123], v[16:17], v[136:137] op_sel_hi:[1,1,0] neg_lo:[0,0,1] neg_hi:[0,0,1]
	v_pk_fma_f32 v[122:123], v[122:123], v[16:17], v[138:139] op_sel:[1,0,0] op_sel_hi:[0,1,0]
	s_delay_alu instid0(VALU_DEP_1) | instskip(SKIP_1) | instid1(VALU_DEP_1)
	v_mov_b32_e32 v137, v123
	v_pk_mul_f32 v[122:123], v[124:125], v[134:135] op_sel:[0,1]
	v_pk_fma_f32 v[134:135], v[124:125], v[132:133], v[122:123] op_sel:[0,0,1] op_sel_hi:[1,1,0] neg_lo:[0,0,1] neg_hi:[0,0,1]
	v_pk_fma_f32 v[122:123], v[124:125], v[132:133], v[122:123] op_sel:[0,0,1] op_sel_hi:[1,0,0]
	s_delay_alu instid0(VALU_DEP_1) | instskip(SKIP_1) | instid1(VALU_DEP_2)
	v_mov_b32_e32 v135, v123
	v_pk_add_f32 v[14:15], v[14:15], v[136:137] neg_lo:[0,1] neg_hi:[0,1]
	v_pk_add_f32 v[120:121], v[120:121], v[134:135] neg_lo:[0,1] neg_hi:[0,1]
.LBB114_1007:
	s_or_b32 exec_lo, exec_lo, s0
	v_lshl_add_u32 v122, v130, 3, v126
	s_barrier_signal -1
	s_barrier_wait -1
	ds_store_b64 v122, v[84:85]
	s_wait_dscnt 0x0
	s_barrier_signal -1
	s_barrier_wait -1
	ds_load_b64 v[122:123], v126 offset:384
	v_mov_b32_e32 v124, 48
	s_cmp_lt_i32 s18, 50
	s_cbranch_scc1 .LBB114_1010
; %bb.1008:
	v_add3_u32 v125, v127, 0, 0x188
	v_mov_b32_e32 v124, 48
	s_mov_b32 s0, 49
.LBB114_1009:                           ; =>This Inner Loop Header: Depth=1
	ds_load_b64 v[132:133], v125
	s_wait_dscnt 0x1
	v_cmp_gt_f32_e32 vcc_lo, 0, v122
	v_cndmask_b32_e64 v134, v122, -v122, vcc_lo
	v_cmp_gt_f32_e32 vcc_lo, 0, v123
	v_cndmask_b32_e64 v136, v123, -v123, vcc_lo
	s_wait_dscnt 0x0
	v_cmp_gt_f32_e32 vcc_lo, 0, v132
	v_cndmask_b32_e64 v135, v132, -v132, vcc_lo
	v_cmp_gt_f32_e32 vcc_lo, 0, v133
	v_cndmask_b32_e64 v137, v133, -v133, vcc_lo
	s_delay_alu instid0(VALU_DEP_1) | instskip(NEXT) | instid1(VALU_DEP_1)
	v_pk_add_f32 v[134:135], v[134:135], v[136:137]
	v_cmp_lt_f32_e32 vcc_lo, v134, v135
	v_dual_cndmask_b32 v122, v122, v132 :: v_dual_add_nc_u32 v125, 8, v125
	v_cndmask_b32_e32 v123, v123, v133, vcc_lo
	v_cndmask_b32_e64 v124, v124, s0, vcc_lo
	s_add_co_i32 s0, s0, 1
	s_delay_alu instid0(SALU_CYCLE_1)
	s_cmp_lg_u32 s18, s0
	s_cbranch_scc1 .LBB114_1009
.LBB114_1010:
	s_wait_dscnt 0x0
	v_cmp_eq_f32_e32 vcc_lo, 0, v122
	v_cmp_eq_f32_e64 s0, 0, v123
	s_and_b32 s0, vcc_lo, s0
	s_delay_alu instid0(SALU_CYCLE_1) | instskip(NEXT) | instid1(SALU_CYCLE_1)
	s_and_saveexec_b32 s1, s0
	s_xor_b32 s0, exec_lo, s1
; %bb.1011:
	v_cmp_ne_u32_e32 vcc_lo, 0, v128
	v_cndmask_b32_e32 v128, 49, v128, vcc_lo
; %bb.1012:
	s_and_not1_saveexec_b32 s0, s0
	s_cbranch_execz .LBB114_1018
; %bb.1013:
	v_cmp_ngt_f32_e64 s1, |v122|, |v123|
	s_and_saveexec_b32 s12, s1
	s_delay_alu instid0(SALU_CYCLE_1)
	s_xor_b32 s1, exec_lo, s12
	s_cbranch_execz .LBB114_1015
; %bb.1014:
	v_div_scale_f32 v125, null, v123, v123, v122
	v_div_scale_f32 v133, vcc_lo, v122, v123, v122
	s_delay_alu instid0(VALU_DEP_2) | instskip(SKIP_1) | instid1(TRANS32_DEP_1)
	v_rcp_f32_e32 v131, v125
	v_nop
	v_fma_f32 v132, -v125, v131, 1.0
	s_delay_alu instid0(VALU_DEP_1) | instskip(NEXT) | instid1(VALU_DEP_1)
	v_fmac_f32_e32 v131, v132, v131
	v_mul_f32_e32 v132, v133, v131
	s_delay_alu instid0(VALU_DEP_1) | instskip(NEXT) | instid1(VALU_DEP_1)
	v_fma_f32 v134, -v125, v132, v133
	v_fmac_f32_e32 v132, v134, v131
	s_delay_alu instid0(VALU_DEP_1) | instskip(NEXT) | instid1(VALU_DEP_1)
	v_fma_f32 v125, -v125, v132, v133
	v_div_fmas_f32 v125, v125, v131, v132
	s_delay_alu instid0(VALU_DEP_1) | instskip(NEXT) | instid1(VALU_DEP_1)
	v_div_fixup_f32 v125, v125, v123, v122
	v_fmac_f32_e32 v123, v122, v125
	s_delay_alu instid0(VALU_DEP_1) | instskip(SKIP_1) | instid1(VALU_DEP_2)
	v_div_scale_f32 v122, null, v123, v123, 1.0
	v_div_scale_f32 v133, vcc_lo, 1.0, v123, 1.0
	v_rcp_f32_e32 v131, v122
	v_nop
	s_delay_alu instid0(TRANS32_DEP_1) | instskip(NEXT) | instid1(VALU_DEP_1)
	v_fma_f32 v132, -v122, v131, 1.0
	v_fmac_f32_e32 v131, v132, v131
	s_delay_alu instid0(VALU_DEP_1) | instskip(NEXT) | instid1(VALU_DEP_1)
	v_mul_f32_e32 v132, v133, v131
	v_fma_f32 v134, -v122, v132, v133
	s_delay_alu instid0(VALU_DEP_1) | instskip(NEXT) | instid1(VALU_DEP_1)
	v_fmac_f32_e32 v132, v134, v131
	v_fma_f32 v122, -v122, v132, v133
	s_delay_alu instid0(VALU_DEP_1) | instskip(NEXT) | instid1(VALU_DEP_1)
	v_div_fmas_f32 v122, v122, v131, v132
	v_div_fixup_f32 v123, v122, v123, 1.0
	s_delay_alu instid0(VALU_DEP_1)
	v_mul_f32_e32 v122, v125, v123
	v_xor_b32_e32 v123, 0x80000000, v123
.LBB114_1015:
	s_and_not1_saveexec_b32 s1, s1
	s_cbranch_execz .LBB114_1017
; %bb.1016:
	s_delay_alu instid0(VALU_DEP_1) | instskip(SKIP_1) | instid1(VALU_DEP_2)
	v_div_scale_f32 v125, null, v122, v122, v123
	v_div_scale_f32 v133, vcc_lo, v123, v122, v123
	v_rcp_f32_e32 v131, v125
	v_nop
	s_delay_alu instid0(TRANS32_DEP_1) | instskip(NEXT) | instid1(VALU_DEP_1)
	v_fma_f32 v132, -v125, v131, 1.0
	v_fmac_f32_e32 v131, v132, v131
	s_delay_alu instid0(VALU_DEP_1) | instskip(NEXT) | instid1(VALU_DEP_1)
	v_mul_f32_e32 v132, v133, v131
	v_fma_f32 v134, -v125, v132, v133
	s_delay_alu instid0(VALU_DEP_1) | instskip(NEXT) | instid1(VALU_DEP_1)
	v_fmac_f32_e32 v132, v134, v131
	v_fma_f32 v125, -v125, v132, v133
	s_delay_alu instid0(VALU_DEP_1) | instskip(NEXT) | instid1(VALU_DEP_1)
	v_div_fmas_f32 v125, v125, v131, v132
	v_div_fixup_f32 v125, v125, v122, v123
	s_delay_alu instid0(VALU_DEP_1) | instskip(NEXT) | instid1(VALU_DEP_1)
	v_fmac_f32_e32 v122, v123, v125
	v_div_scale_f32 v123, null, v122, v122, 1.0
	s_delay_alu instid0(VALU_DEP_1) | instskip(SKIP_1) | instid1(TRANS32_DEP_1)
	v_rcp_f32_e32 v131, v123
	v_nop
	v_fma_f32 v132, -v123, v131, 1.0
	s_delay_alu instid0(VALU_DEP_1) | instskip(SKIP_1) | instid1(VALU_DEP_1)
	v_fmac_f32_e32 v131, v132, v131
	v_div_scale_f32 v132, vcc_lo, 1.0, v122, 1.0
	v_mul_f32_e32 v133, v132, v131
	s_delay_alu instid0(VALU_DEP_1) | instskip(NEXT) | instid1(VALU_DEP_1)
	v_fma_f32 v134, -v123, v133, v132
	v_fmac_f32_e32 v133, v134, v131
	s_delay_alu instid0(VALU_DEP_1) | instskip(NEXT) | instid1(VALU_DEP_1)
	v_fma_f32 v123, -v123, v133, v132
	v_div_fmas_f32 v123, v123, v131, v133
	s_delay_alu instid0(VALU_DEP_1) | instskip(NEXT) | instid1(VALU_DEP_1)
	v_div_fixup_f32 v122, v123, v122, 1.0
	v_mul_f32_e64 v123, v125, -v122
.LBB114_1017:
	s_or_b32 exec_lo, exec_lo, s1
.LBB114_1018:
	s_delay_alu instid0(SALU_CYCLE_1) | instskip(NEXT) | instid1(SALU_CYCLE_1)
	s_or_b32 exec_lo, exec_lo, s0
	s_mov_b32 s0, exec_lo
	v_cmpx_ne_u32_e64 v130, v124
	s_xor_b32 s0, exec_lo, s0
	s_cbranch_execz .LBB114_1024
; %bb.1019:
	s_mov_b32 s1, exec_lo
	v_cmpx_eq_u32_e32 48, v130
	s_cbranch_execz .LBB114_1023
; %bb.1020:
	v_cmp_ne_u32_e32 vcc_lo, 48, v124
	s_xor_b32 s12, s16, -1
	s_delay_alu instid0(SALU_CYCLE_1) | instskip(NEXT) | instid1(SALU_CYCLE_1)
	s_and_b32 s13, s12, vcc_lo
	s_and_saveexec_b32 s12, s13
	s_cbranch_execz .LBB114_1022
; %bb.1021:
	v_ashrrev_i32_e32 v125, 31, v124
	s_delay_alu instid0(VALU_DEP_1)
	v_lshl_add_u64 v[130:131], v[124:125], 2, v[4:5]
	s_clause 0x1
	global_load_b32 v125, v[130:131], off
	global_load_b32 v129, v[4:5], off offset:192
	s_wait_loadcnt 0x1
	global_store_b32 v[4:5], v125, off offset:192
	s_wait_loadcnt 0x0
	global_store_b32 v[130:131], v129, off
.LBB114_1022:
	s_wait_xcnt 0x0
	s_or_b32 exec_lo, exec_lo, s12
	v_dual_mov_b32 v130, v124 :: v_dual_mov_b32 v129, v124
.LBB114_1023:
	s_or_b32 exec_lo, exec_lo, s1
.LBB114_1024:
	s_and_not1_saveexec_b32 s0, s0
	s_cbranch_execz .LBB114_1026
; %bb.1025:
	v_mov_b32_e32 v130, 48
	ds_store_2addr_b64 v126, v[10:11], v[12:13] offset0:49 offset1:50
	ds_store_2addr_b64 v126, v[8:9], v[60:61] offset0:51 offset1:52
	;; [unrolled: 1-line block ×4, first 2 shown]
	ds_store_b64 v126, v[120:121] offset:456
.LBB114_1026:
	s_or_b32 exec_lo, exec_lo, s0
	s_delay_alu instid0(SALU_CYCLE_1)
	s_mov_b32 s0, exec_lo
	s_wait_storecnt_dscnt 0x0
	s_barrier_signal -1
	s_barrier_wait -1
	v_cmpx_lt_i32_e32 48, v130
	s_cbranch_execz .LBB114_1028
; %bb.1027:
	v_pk_mul_f32 v[124:125], v[122:123], v[84:85] op_sel:[1,1] op_sel_hi:[0,1]
	s_delay_alu instid0(VALU_DEP_1)
	v_pk_fma_f32 v[132:133], v[122:123], v[84:85], v[124:125] op_sel_hi:[1,0,1] neg_lo:[0,0,1] neg_hi:[0,0,1]
	v_pk_fma_f32 v[134:135], v[122:123], v[84:85], v[124:125] op_sel_hi:[1,0,1]
	ds_load_2addr_b64 v[122:125], v126 offset0:49 offset1:50
	v_dual_mov_b32 v84, v132 :: v_dual_mov_b32 v85, v135
	s_wait_dscnt 0x0
	v_pk_mul_f32 v[136:137], v[122:123], v[134:135] op_sel:[0,1]
	s_delay_alu instid0(VALU_DEP_1) | instskip(SKIP_1) | instid1(VALU_DEP_1)
	v_pk_fma_f32 v[138:139], v[122:123], v[132:133], v[136:137] op_sel:[0,0,1] op_sel_hi:[1,1,0] neg_lo:[0,0,1] neg_hi:[0,0,1]
	v_pk_fma_f32 v[122:123], v[122:123], v[132:133], v[136:137] op_sel:[0,0,1] op_sel_hi:[1,0,0]
	v_mov_b32_e32 v139, v123
	v_pk_mul_f32 v[122:123], v[124:125], v[134:135] op_sel:[0,1]
	s_delay_alu instid0(VALU_DEP_1) | instskip(SKIP_1) | instid1(VALU_DEP_1)
	v_pk_fma_f32 v[136:137], v[124:125], v[132:133], v[122:123] op_sel:[0,0,1] op_sel_hi:[1,1,0] neg_lo:[0,0,1] neg_hi:[0,0,1]
	v_pk_fma_f32 v[122:123], v[124:125], v[132:133], v[122:123] op_sel:[0,0,1] op_sel_hi:[1,0,0]
	v_mov_b32_e32 v137, v123
	ds_load_2addr_b64 v[122:125], v126 offset0:51 offset1:52
	v_pk_add_f32 v[10:11], v[10:11], v[138:139] neg_lo:[0,1] neg_hi:[0,1]
	v_pk_add_f32 v[12:13], v[12:13], v[136:137] neg_lo:[0,1] neg_hi:[0,1]
	s_wait_dscnt 0x0
	v_pk_mul_f32 v[136:137], v[122:123], v[134:135] op_sel:[0,1]
	s_delay_alu instid0(VALU_DEP_1) | instskip(SKIP_2) | instid1(VALU_DEP_2)
	v_pk_fma_f32 v[138:139], v[122:123], v[132:133], v[136:137] op_sel:[0,0,1] op_sel_hi:[1,1,0] neg_lo:[0,0,1] neg_hi:[0,0,1]
	v_pk_fma_f32 v[122:123], v[122:123], v[132:133], v[136:137] op_sel:[0,0,1] op_sel_hi:[1,0,0]
	v_dual_mul_f32 v136, v125, v135 :: v_dual_mov_b32 v122, v125
	v_dual_mov_b32 v139, v123 :: v_dual_mov_b32 v123, v124
	s_delay_alu instid0(VALU_DEP_2) | instskip(SKIP_1) | instid1(VALU_DEP_3)
	v_pk_fma_f32 v[136:137], v[124:125], v[84:85], v[136:137] op_sel_hi:[1,1,0] neg_lo:[0,0,1] neg_hi:[0,0,1]
	v_mul_f32_e32 v124, v125, v132
	v_pk_add_f32 v[8:9], v[8:9], v[138:139] neg_lo:[0,1] neg_hi:[0,1]
	s_delay_alu instid0(VALU_DEP_2) | instskip(NEXT) | instid1(VALU_DEP_1)
	v_pk_fma_f32 v[122:123], v[122:123], v[84:85], v[124:125] op_sel_hi:[1,1,0]
	v_mov_b32_e32 v137, v123
	ds_load_2addr_b64 v[122:125], v126 offset0:53 offset1:54
	v_pk_add_f32 v[60:61], v[60:61], v[136:137] neg_lo:[0,1] neg_hi:[0,1]
	s_wait_dscnt 0x0
	v_pk_mul_f32 v[136:137], v[122:123], v[134:135] op_sel:[0,1]
	s_delay_alu instid0(VALU_DEP_1) | instskip(SKIP_1) | instid1(VALU_DEP_1)
	v_pk_fma_f32 v[138:139], v[122:123], v[132:133], v[136:137] op_sel:[0,0,1] op_sel_hi:[1,1,0] neg_lo:[0,0,1] neg_hi:[0,0,1]
	v_pk_fma_f32 v[122:123], v[122:123], v[132:133], v[136:137] op_sel:[0,0,1] op_sel_hi:[1,0,0]
	v_mov_b32_e32 v139, v123
	v_pk_mul_f32 v[122:123], v[124:125], v[134:135] op_sel:[0,1]
	s_delay_alu instid0(VALU_DEP_1) | instskip(SKIP_1) | instid1(VALU_DEP_1)
	v_pk_fma_f32 v[136:137], v[124:125], v[132:133], v[122:123] op_sel:[0,0,1] op_sel_hi:[1,1,0] neg_lo:[0,0,1] neg_hi:[0,0,1]
	v_pk_fma_f32 v[122:123], v[124:125], v[132:133], v[122:123] op_sel:[0,0,1] op_sel_hi:[1,0,0]
	v_mov_b32_e32 v137, v123
	ds_load_2addr_b64 v[122:125], v126 offset0:55 offset1:56
	v_pk_add_f32 v[6:7], v[6:7], v[138:139] neg_lo:[0,1] neg_hi:[0,1]
	v_pk_add_f32 v[42:43], v[42:43], v[136:137] neg_lo:[0,1] neg_hi:[0,1]
	s_wait_dscnt 0x0
	v_pk_mul_f32 v[136:137], v[122:123], v[134:135] op_sel:[0,1]
	s_delay_alu instid0(VALU_DEP_1) | instskip(SKIP_1) | instid1(VALU_DEP_1)
	v_pk_fma_f32 v[138:139], v[122:123], v[132:133], v[136:137] op_sel:[0,0,1] op_sel_hi:[1,1,0] neg_lo:[0,0,1] neg_hi:[0,0,1]
	v_pk_fma_f32 v[122:123], v[122:123], v[132:133], v[136:137] op_sel:[0,0,1] op_sel_hi:[1,0,0]
	v_mov_b32_e32 v139, v123
	v_pk_mul_f32 v[122:123], v[124:125], v[134:135] op_sel:[0,1]
	s_delay_alu instid0(VALU_DEP_1) | instskip(SKIP_1) | instid1(VALU_DEP_1)
	v_pk_fma_f32 v[136:137], v[124:125], v[132:133], v[122:123] op_sel:[0,0,1] op_sel_hi:[1,1,0] neg_lo:[0,0,1] neg_hi:[0,0,1]
	v_pk_fma_f32 v[122:123], v[124:125], v[132:133], v[122:123] op_sel:[0,0,1] op_sel_hi:[1,0,0]
	v_mov_b32_e32 v137, v123
	ds_load_b64 v[122:123], v126 offset:456
	v_pk_add_f32 v[28:29], v[28:29], v[138:139] neg_lo:[0,1] neg_hi:[0,1]
	v_pk_add_f32 v[14:15], v[14:15], v[136:137] neg_lo:[0,1] neg_hi:[0,1]
	s_wait_dscnt 0x0
	v_pk_mul_f32 v[124:125], v[122:123], v[134:135] op_sel:[0,1]
	s_delay_alu instid0(VALU_DEP_1) | instskip(SKIP_1) | instid1(VALU_DEP_1)
	v_pk_fma_f32 v[134:135], v[122:123], v[132:133], v[124:125] op_sel:[0,0,1] op_sel_hi:[1,1,0] neg_lo:[0,0,1] neg_hi:[0,0,1]
	v_pk_fma_f32 v[122:123], v[122:123], v[132:133], v[124:125] op_sel:[0,0,1] op_sel_hi:[1,0,0]
	v_mov_b32_e32 v135, v123
	s_delay_alu instid0(VALU_DEP_1)
	v_pk_add_f32 v[120:121], v[120:121], v[134:135] neg_lo:[0,1] neg_hi:[0,1]
.LBB114_1028:
	s_or_b32 exec_lo, exec_lo, s0
	v_lshl_add_u32 v122, v130, 3, v126
	s_barrier_signal -1
	s_barrier_wait -1
	ds_store_b64 v122, v[10:11]
	s_wait_dscnt 0x0
	s_barrier_signal -1
	s_barrier_wait -1
	ds_load_b64 v[122:123], v126 offset:392
	v_mov_b32_e32 v124, 49
	s_cmp_lt_i32 s18, 51
	s_cbranch_scc1 .LBB114_1031
; %bb.1029:
	v_add3_u32 v125, v127, 0, 0x190
	v_mov_b32_e32 v124, 49
	s_mov_b32 s0, 50
.LBB114_1030:                           ; =>This Inner Loop Header: Depth=1
	ds_load_b64 v[132:133], v125
	s_wait_dscnt 0x1
	v_cmp_gt_f32_e32 vcc_lo, 0, v122
	v_cndmask_b32_e64 v134, v122, -v122, vcc_lo
	v_cmp_gt_f32_e32 vcc_lo, 0, v123
	v_cndmask_b32_e64 v136, v123, -v123, vcc_lo
	s_wait_dscnt 0x0
	v_cmp_gt_f32_e32 vcc_lo, 0, v132
	v_cndmask_b32_e64 v135, v132, -v132, vcc_lo
	v_cmp_gt_f32_e32 vcc_lo, 0, v133
	v_cndmask_b32_e64 v137, v133, -v133, vcc_lo
	s_delay_alu instid0(VALU_DEP_1) | instskip(NEXT) | instid1(VALU_DEP_1)
	v_pk_add_f32 v[134:135], v[134:135], v[136:137]
	v_cmp_lt_f32_e32 vcc_lo, v134, v135
	v_dual_cndmask_b32 v122, v122, v132 :: v_dual_add_nc_u32 v125, 8, v125
	v_cndmask_b32_e32 v123, v123, v133, vcc_lo
	v_cndmask_b32_e64 v124, v124, s0, vcc_lo
	s_add_co_i32 s0, s0, 1
	s_delay_alu instid0(SALU_CYCLE_1)
	s_cmp_lg_u32 s18, s0
	s_cbranch_scc1 .LBB114_1030
.LBB114_1031:
	s_wait_dscnt 0x0
	v_cmp_eq_f32_e32 vcc_lo, 0, v122
	v_cmp_eq_f32_e64 s0, 0, v123
	s_and_b32 s0, vcc_lo, s0
	s_delay_alu instid0(SALU_CYCLE_1) | instskip(NEXT) | instid1(SALU_CYCLE_1)
	s_and_saveexec_b32 s1, s0
	s_xor_b32 s0, exec_lo, s1
; %bb.1032:
	v_cmp_ne_u32_e32 vcc_lo, 0, v128
	v_cndmask_b32_e32 v128, 50, v128, vcc_lo
; %bb.1033:
	s_and_not1_saveexec_b32 s0, s0
	s_cbranch_execz .LBB114_1039
; %bb.1034:
	v_cmp_ngt_f32_e64 s1, |v122|, |v123|
	s_and_saveexec_b32 s12, s1
	s_delay_alu instid0(SALU_CYCLE_1)
	s_xor_b32 s1, exec_lo, s12
	s_cbranch_execz .LBB114_1036
; %bb.1035:
	v_div_scale_f32 v125, null, v123, v123, v122
	v_div_scale_f32 v133, vcc_lo, v122, v123, v122
	s_delay_alu instid0(VALU_DEP_2) | instskip(SKIP_1) | instid1(TRANS32_DEP_1)
	v_rcp_f32_e32 v131, v125
	v_nop
	v_fma_f32 v132, -v125, v131, 1.0
	s_delay_alu instid0(VALU_DEP_1) | instskip(NEXT) | instid1(VALU_DEP_1)
	v_fmac_f32_e32 v131, v132, v131
	v_mul_f32_e32 v132, v133, v131
	s_delay_alu instid0(VALU_DEP_1) | instskip(NEXT) | instid1(VALU_DEP_1)
	v_fma_f32 v134, -v125, v132, v133
	v_fmac_f32_e32 v132, v134, v131
	s_delay_alu instid0(VALU_DEP_1) | instskip(NEXT) | instid1(VALU_DEP_1)
	v_fma_f32 v125, -v125, v132, v133
	v_div_fmas_f32 v125, v125, v131, v132
	s_delay_alu instid0(VALU_DEP_1) | instskip(NEXT) | instid1(VALU_DEP_1)
	v_div_fixup_f32 v125, v125, v123, v122
	v_fmac_f32_e32 v123, v122, v125
	s_delay_alu instid0(VALU_DEP_1) | instskip(SKIP_1) | instid1(VALU_DEP_2)
	v_div_scale_f32 v122, null, v123, v123, 1.0
	v_div_scale_f32 v133, vcc_lo, 1.0, v123, 1.0
	v_rcp_f32_e32 v131, v122
	v_nop
	s_delay_alu instid0(TRANS32_DEP_1) | instskip(NEXT) | instid1(VALU_DEP_1)
	v_fma_f32 v132, -v122, v131, 1.0
	v_fmac_f32_e32 v131, v132, v131
	s_delay_alu instid0(VALU_DEP_1) | instskip(NEXT) | instid1(VALU_DEP_1)
	v_mul_f32_e32 v132, v133, v131
	v_fma_f32 v134, -v122, v132, v133
	s_delay_alu instid0(VALU_DEP_1) | instskip(NEXT) | instid1(VALU_DEP_1)
	v_fmac_f32_e32 v132, v134, v131
	v_fma_f32 v122, -v122, v132, v133
	s_delay_alu instid0(VALU_DEP_1) | instskip(NEXT) | instid1(VALU_DEP_1)
	v_div_fmas_f32 v122, v122, v131, v132
	v_div_fixup_f32 v123, v122, v123, 1.0
	s_delay_alu instid0(VALU_DEP_1)
	v_mul_f32_e32 v122, v125, v123
	v_xor_b32_e32 v123, 0x80000000, v123
.LBB114_1036:
	s_and_not1_saveexec_b32 s1, s1
	s_cbranch_execz .LBB114_1038
; %bb.1037:
	s_delay_alu instid0(VALU_DEP_1) | instskip(SKIP_1) | instid1(VALU_DEP_2)
	v_div_scale_f32 v125, null, v122, v122, v123
	v_div_scale_f32 v133, vcc_lo, v123, v122, v123
	v_rcp_f32_e32 v131, v125
	v_nop
	s_delay_alu instid0(TRANS32_DEP_1) | instskip(NEXT) | instid1(VALU_DEP_1)
	v_fma_f32 v132, -v125, v131, 1.0
	v_fmac_f32_e32 v131, v132, v131
	s_delay_alu instid0(VALU_DEP_1) | instskip(NEXT) | instid1(VALU_DEP_1)
	v_mul_f32_e32 v132, v133, v131
	v_fma_f32 v134, -v125, v132, v133
	s_delay_alu instid0(VALU_DEP_1) | instskip(NEXT) | instid1(VALU_DEP_1)
	v_fmac_f32_e32 v132, v134, v131
	v_fma_f32 v125, -v125, v132, v133
	s_delay_alu instid0(VALU_DEP_1) | instskip(NEXT) | instid1(VALU_DEP_1)
	v_div_fmas_f32 v125, v125, v131, v132
	v_div_fixup_f32 v125, v125, v122, v123
	s_delay_alu instid0(VALU_DEP_1) | instskip(NEXT) | instid1(VALU_DEP_1)
	v_fmac_f32_e32 v122, v123, v125
	v_div_scale_f32 v123, null, v122, v122, 1.0
	s_delay_alu instid0(VALU_DEP_1) | instskip(SKIP_1) | instid1(TRANS32_DEP_1)
	v_rcp_f32_e32 v131, v123
	v_nop
	v_fma_f32 v132, -v123, v131, 1.0
	s_delay_alu instid0(VALU_DEP_1) | instskip(SKIP_1) | instid1(VALU_DEP_1)
	v_fmac_f32_e32 v131, v132, v131
	v_div_scale_f32 v132, vcc_lo, 1.0, v122, 1.0
	v_mul_f32_e32 v133, v132, v131
	s_delay_alu instid0(VALU_DEP_1) | instskip(NEXT) | instid1(VALU_DEP_1)
	v_fma_f32 v134, -v123, v133, v132
	v_fmac_f32_e32 v133, v134, v131
	s_delay_alu instid0(VALU_DEP_1) | instskip(NEXT) | instid1(VALU_DEP_1)
	v_fma_f32 v123, -v123, v133, v132
	v_div_fmas_f32 v123, v123, v131, v133
	s_delay_alu instid0(VALU_DEP_1) | instskip(NEXT) | instid1(VALU_DEP_1)
	v_div_fixup_f32 v122, v123, v122, 1.0
	v_mul_f32_e64 v123, v125, -v122
.LBB114_1038:
	s_or_b32 exec_lo, exec_lo, s1
.LBB114_1039:
	s_delay_alu instid0(SALU_CYCLE_1) | instskip(NEXT) | instid1(SALU_CYCLE_1)
	s_or_b32 exec_lo, exec_lo, s0
	s_mov_b32 s0, exec_lo
	v_cmpx_ne_u32_e64 v130, v124
	s_xor_b32 s0, exec_lo, s0
	s_cbranch_execz .LBB114_1045
; %bb.1040:
	s_mov_b32 s1, exec_lo
	v_cmpx_eq_u32_e32 49, v130
	s_cbranch_execz .LBB114_1044
; %bb.1041:
	v_cmp_ne_u32_e32 vcc_lo, 49, v124
	s_xor_b32 s12, s16, -1
	s_delay_alu instid0(SALU_CYCLE_1) | instskip(NEXT) | instid1(SALU_CYCLE_1)
	s_and_b32 s13, s12, vcc_lo
	s_and_saveexec_b32 s12, s13
	s_cbranch_execz .LBB114_1043
; %bb.1042:
	v_ashrrev_i32_e32 v125, 31, v124
	s_delay_alu instid0(VALU_DEP_1)
	v_lshl_add_u64 v[130:131], v[124:125], 2, v[4:5]
	s_clause 0x1
	global_load_b32 v125, v[130:131], off
	global_load_b32 v129, v[4:5], off offset:196
	s_wait_loadcnt 0x1
	global_store_b32 v[4:5], v125, off offset:196
	s_wait_loadcnt 0x0
	global_store_b32 v[130:131], v129, off
.LBB114_1043:
	s_wait_xcnt 0x0
	s_or_b32 exec_lo, exec_lo, s12
	v_dual_mov_b32 v130, v124 :: v_dual_mov_b32 v129, v124
.LBB114_1044:
	s_or_b32 exec_lo, exec_lo, s1
.LBB114_1045:
	s_and_not1_saveexec_b32 s0, s0
	s_cbranch_execz .LBB114_1047
; %bb.1046:
	v_dual_mov_b32 v124, v12 :: v_dual_mov_b32 v125, v13
	v_dual_mov_b32 v132, v8 :: v_dual_mov_b32 v133, v9
	;; [unrolled: 1-line block ×7, first 2 shown]
	v_mov_b32_e32 v143, v15
	ds_store_2addr_b64 v126, v[124:125], v[132:133] offset0:50 offset1:51
	ds_store_2addr_b64 v126, v[134:135], v[136:137] offset0:52 offset1:53
	;; [unrolled: 1-line block ×4, first 2 shown]
.LBB114_1047:
	s_or_b32 exec_lo, exec_lo, s0
	s_delay_alu instid0(SALU_CYCLE_1)
	s_mov_b32 s0, exec_lo
	s_wait_storecnt_dscnt 0x0
	s_barrier_signal -1
	s_barrier_wait -1
	v_cmpx_lt_i32_e32 49, v130
	s_cbranch_execz .LBB114_1049
; %bb.1048:
	v_pk_mul_f32 v[124:125], v[122:123], v[10:11] op_sel:[1,1] op_sel_hi:[0,1]
	s_delay_alu instid0(VALU_DEP_1)
	v_pk_fma_f32 v[132:133], v[122:123], v[10:11], v[124:125] op_sel_hi:[1,0,1] neg_lo:[0,0,1] neg_hi:[0,0,1]
	v_pk_fma_f32 v[134:135], v[122:123], v[10:11], v[124:125] op_sel_hi:[1,0,1]
	ds_load_2addr_b64 v[122:125], v126 offset0:50 offset1:51
	v_dual_mov_b32 v10, v132 :: v_dual_mov_b32 v11, v135
	s_wait_dscnt 0x0
	v_pk_mul_f32 v[136:137], v[122:123], v[134:135] op_sel:[0,1]
	s_delay_alu instid0(VALU_DEP_1) | instskip(SKIP_1) | instid1(VALU_DEP_1)
	v_pk_fma_f32 v[138:139], v[122:123], v[132:133], v[136:137] op_sel:[0,0,1] op_sel_hi:[1,1,0] neg_lo:[0,0,1] neg_hi:[0,0,1]
	v_pk_fma_f32 v[122:123], v[122:123], v[132:133], v[136:137] op_sel:[0,0,1] op_sel_hi:[1,0,0]
	v_mov_b32_e32 v139, v123
	v_pk_mul_f32 v[122:123], v[124:125], v[134:135] op_sel:[0,1]
	s_delay_alu instid0(VALU_DEP_1) | instskip(SKIP_1) | instid1(VALU_DEP_1)
	v_pk_fma_f32 v[136:137], v[124:125], v[132:133], v[122:123] op_sel:[0,0,1] op_sel_hi:[1,1,0] neg_lo:[0,0,1] neg_hi:[0,0,1]
	v_pk_fma_f32 v[122:123], v[124:125], v[132:133], v[122:123] op_sel:[0,0,1] op_sel_hi:[1,0,0]
	v_mov_b32_e32 v137, v123
	ds_load_2addr_b64 v[122:125], v126 offset0:52 offset1:53
	v_pk_add_f32 v[12:13], v[12:13], v[138:139] neg_lo:[0,1] neg_hi:[0,1]
	v_pk_add_f32 v[8:9], v[8:9], v[136:137] neg_lo:[0,1] neg_hi:[0,1]
	s_wait_dscnt 0x0
	v_pk_mul_f32 v[136:137], v[122:123], v[134:135] op_sel:[0,1]
	s_delay_alu instid0(VALU_DEP_1) | instskip(SKIP_2) | instid1(VALU_DEP_2)
	v_pk_fma_f32 v[138:139], v[122:123], v[132:133], v[136:137] op_sel:[0,0,1] op_sel_hi:[1,1,0] neg_lo:[0,0,1] neg_hi:[0,0,1]
	v_pk_fma_f32 v[122:123], v[122:123], v[132:133], v[136:137] op_sel:[0,0,1] op_sel_hi:[1,0,0]
	v_dual_mul_f32 v136, v125, v135 :: v_dual_mov_b32 v122, v125
	v_dual_mov_b32 v139, v123 :: v_dual_mov_b32 v123, v124
	s_delay_alu instid0(VALU_DEP_2) | instskip(SKIP_1) | instid1(VALU_DEP_3)
	v_pk_fma_f32 v[136:137], v[124:125], v[10:11], v[136:137] op_sel_hi:[1,1,0] neg_lo:[0,0,1] neg_hi:[0,0,1]
	v_mul_f32_e32 v124, v125, v132
	v_pk_add_f32 v[60:61], v[60:61], v[138:139] neg_lo:[0,1] neg_hi:[0,1]
	s_delay_alu instid0(VALU_DEP_2) | instskip(NEXT) | instid1(VALU_DEP_1)
	v_pk_fma_f32 v[122:123], v[122:123], v[10:11], v[124:125] op_sel_hi:[1,1,0]
	v_mov_b32_e32 v137, v123
	ds_load_2addr_b64 v[122:125], v126 offset0:54 offset1:55
	v_pk_add_f32 v[6:7], v[6:7], v[136:137] neg_lo:[0,1] neg_hi:[0,1]
	s_wait_dscnt 0x0
	v_pk_mul_f32 v[136:137], v[122:123], v[134:135] op_sel:[0,1]
	s_delay_alu instid0(VALU_DEP_1) | instskip(SKIP_1) | instid1(VALU_DEP_1)
	v_pk_fma_f32 v[138:139], v[122:123], v[132:133], v[136:137] op_sel:[0,0,1] op_sel_hi:[1,1,0] neg_lo:[0,0,1] neg_hi:[0,0,1]
	v_pk_fma_f32 v[122:123], v[122:123], v[132:133], v[136:137] op_sel:[0,0,1] op_sel_hi:[1,0,0]
	v_mov_b32_e32 v139, v123
	v_pk_mul_f32 v[122:123], v[124:125], v[134:135] op_sel:[0,1]
	s_delay_alu instid0(VALU_DEP_1) | instskip(SKIP_1) | instid1(VALU_DEP_1)
	v_pk_fma_f32 v[136:137], v[124:125], v[132:133], v[122:123] op_sel:[0,0,1] op_sel_hi:[1,1,0] neg_lo:[0,0,1] neg_hi:[0,0,1]
	v_pk_fma_f32 v[122:123], v[124:125], v[132:133], v[122:123] op_sel:[0,0,1] op_sel_hi:[1,0,0]
	v_mov_b32_e32 v137, v123
	ds_load_2addr_b64 v[122:125], v126 offset0:56 offset1:57
	v_pk_add_f32 v[42:43], v[42:43], v[138:139] neg_lo:[0,1] neg_hi:[0,1]
	v_pk_add_f32 v[28:29], v[28:29], v[136:137] neg_lo:[0,1] neg_hi:[0,1]
	s_wait_dscnt 0x0
	v_pk_mul_f32 v[136:137], v[122:123], v[134:135] op_sel:[0,1]
	s_delay_alu instid0(VALU_DEP_1) | instskip(SKIP_1) | instid1(VALU_DEP_1)
	v_pk_fma_f32 v[138:139], v[122:123], v[132:133], v[136:137] op_sel:[0,0,1] op_sel_hi:[1,1,0] neg_lo:[0,0,1] neg_hi:[0,0,1]
	v_pk_fma_f32 v[122:123], v[122:123], v[132:133], v[136:137] op_sel:[0,0,1] op_sel_hi:[1,0,0]
	v_mov_b32_e32 v139, v123
	v_pk_mul_f32 v[122:123], v[124:125], v[134:135] op_sel:[0,1]
	s_delay_alu instid0(VALU_DEP_1) | instskip(SKIP_1) | instid1(VALU_DEP_1)
	v_pk_fma_f32 v[134:135], v[124:125], v[132:133], v[122:123] op_sel:[0,0,1] op_sel_hi:[1,1,0] neg_lo:[0,0,1] neg_hi:[0,0,1]
	v_pk_fma_f32 v[122:123], v[124:125], v[132:133], v[122:123] op_sel:[0,0,1] op_sel_hi:[1,0,0]
	v_mov_b32_e32 v135, v123
	v_pk_add_f32 v[14:15], v[14:15], v[138:139] neg_lo:[0,1] neg_hi:[0,1]
	s_delay_alu instid0(VALU_DEP_2)
	v_pk_add_f32 v[120:121], v[120:121], v[134:135] neg_lo:[0,1] neg_hi:[0,1]
.LBB114_1049:
	s_or_b32 exec_lo, exec_lo, s0
	v_lshl_add_u32 v122, v130, 3, v126
	s_barrier_signal -1
	s_barrier_wait -1
	ds_store_b64 v122, v[12:13]
	s_wait_dscnt 0x0
	s_barrier_signal -1
	s_barrier_wait -1
	ds_load_b64 v[122:123], v126 offset:400
	v_mov_b32_e32 v124, 50
	s_cmp_lt_i32 s18, 52
	s_cbranch_scc1 .LBB114_1052
; %bb.1050:
	v_add3_u32 v125, v127, 0, 0x198
	v_mov_b32_e32 v124, 50
	s_mov_b32 s0, 51
.LBB114_1051:                           ; =>This Inner Loop Header: Depth=1
	ds_load_b64 v[132:133], v125
	s_wait_dscnt 0x1
	v_cmp_gt_f32_e32 vcc_lo, 0, v122
	v_cndmask_b32_e64 v134, v122, -v122, vcc_lo
	v_cmp_gt_f32_e32 vcc_lo, 0, v123
	v_cndmask_b32_e64 v136, v123, -v123, vcc_lo
	s_wait_dscnt 0x0
	v_cmp_gt_f32_e32 vcc_lo, 0, v132
	v_cndmask_b32_e64 v135, v132, -v132, vcc_lo
	v_cmp_gt_f32_e32 vcc_lo, 0, v133
	v_cndmask_b32_e64 v137, v133, -v133, vcc_lo
	s_delay_alu instid0(VALU_DEP_1) | instskip(NEXT) | instid1(VALU_DEP_1)
	v_pk_add_f32 v[134:135], v[134:135], v[136:137]
	v_cmp_lt_f32_e32 vcc_lo, v134, v135
	v_dual_cndmask_b32 v122, v122, v132 :: v_dual_add_nc_u32 v125, 8, v125
	v_cndmask_b32_e32 v123, v123, v133, vcc_lo
	v_cndmask_b32_e64 v124, v124, s0, vcc_lo
	s_add_co_i32 s0, s0, 1
	s_delay_alu instid0(SALU_CYCLE_1)
	s_cmp_lg_u32 s18, s0
	s_cbranch_scc1 .LBB114_1051
.LBB114_1052:
	s_wait_dscnt 0x0
	v_cmp_eq_f32_e32 vcc_lo, 0, v122
	v_cmp_eq_f32_e64 s0, 0, v123
	s_and_b32 s0, vcc_lo, s0
	s_delay_alu instid0(SALU_CYCLE_1) | instskip(NEXT) | instid1(SALU_CYCLE_1)
	s_and_saveexec_b32 s1, s0
	s_xor_b32 s0, exec_lo, s1
; %bb.1053:
	v_cmp_ne_u32_e32 vcc_lo, 0, v128
	v_cndmask_b32_e32 v128, 51, v128, vcc_lo
; %bb.1054:
	s_and_not1_saveexec_b32 s0, s0
	s_cbranch_execz .LBB114_1060
; %bb.1055:
	v_cmp_ngt_f32_e64 s1, |v122|, |v123|
	s_and_saveexec_b32 s12, s1
	s_delay_alu instid0(SALU_CYCLE_1)
	s_xor_b32 s1, exec_lo, s12
	s_cbranch_execz .LBB114_1057
; %bb.1056:
	v_div_scale_f32 v125, null, v123, v123, v122
	v_div_scale_f32 v133, vcc_lo, v122, v123, v122
	s_delay_alu instid0(VALU_DEP_2) | instskip(SKIP_1) | instid1(TRANS32_DEP_1)
	v_rcp_f32_e32 v131, v125
	v_nop
	v_fma_f32 v132, -v125, v131, 1.0
	s_delay_alu instid0(VALU_DEP_1) | instskip(NEXT) | instid1(VALU_DEP_1)
	v_fmac_f32_e32 v131, v132, v131
	v_mul_f32_e32 v132, v133, v131
	s_delay_alu instid0(VALU_DEP_1) | instskip(NEXT) | instid1(VALU_DEP_1)
	v_fma_f32 v134, -v125, v132, v133
	v_fmac_f32_e32 v132, v134, v131
	s_delay_alu instid0(VALU_DEP_1) | instskip(NEXT) | instid1(VALU_DEP_1)
	v_fma_f32 v125, -v125, v132, v133
	v_div_fmas_f32 v125, v125, v131, v132
	s_delay_alu instid0(VALU_DEP_1) | instskip(NEXT) | instid1(VALU_DEP_1)
	v_div_fixup_f32 v125, v125, v123, v122
	v_fmac_f32_e32 v123, v122, v125
	s_delay_alu instid0(VALU_DEP_1) | instskip(SKIP_1) | instid1(VALU_DEP_2)
	v_div_scale_f32 v122, null, v123, v123, 1.0
	v_div_scale_f32 v133, vcc_lo, 1.0, v123, 1.0
	v_rcp_f32_e32 v131, v122
	v_nop
	s_delay_alu instid0(TRANS32_DEP_1) | instskip(NEXT) | instid1(VALU_DEP_1)
	v_fma_f32 v132, -v122, v131, 1.0
	v_fmac_f32_e32 v131, v132, v131
	s_delay_alu instid0(VALU_DEP_1) | instskip(NEXT) | instid1(VALU_DEP_1)
	v_mul_f32_e32 v132, v133, v131
	v_fma_f32 v134, -v122, v132, v133
	s_delay_alu instid0(VALU_DEP_1) | instskip(NEXT) | instid1(VALU_DEP_1)
	v_fmac_f32_e32 v132, v134, v131
	v_fma_f32 v122, -v122, v132, v133
	s_delay_alu instid0(VALU_DEP_1) | instskip(NEXT) | instid1(VALU_DEP_1)
	v_div_fmas_f32 v122, v122, v131, v132
	v_div_fixup_f32 v123, v122, v123, 1.0
	s_delay_alu instid0(VALU_DEP_1)
	v_mul_f32_e32 v122, v125, v123
	v_xor_b32_e32 v123, 0x80000000, v123
.LBB114_1057:
	s_and_not1_saveexec_b32 s1, s1
	s_cbranch_execz .LBB114_1059
; %bb.1058:
	s_delay_alu instid0(VALU_DEP_1) | instskip(SKIP_1) | instid1(VALU_DEP_2)
	v_div_scale_f32 v125, null, v122, v122, v123
	v_div_scale_f32 v133, vcc_lo, v123, v122, v123
	v_rcp_f32_e32 v131, v125
	v_nop
	s_delay_alu instid0(TRANS32_DEP_1) | instskip(NEXT) | instid1(VALU_DEP_1)
	v_fma_f32 v132, -v125, v131, 1.0
	v_fmac_f32_e32 v131, v132, v131
	s_delay_alu instid0(VALU_DEP_1) | instskip(NEXT) | instid1(VALU_DEP_1)
	v_mul_f32_e32 v132, v133, v131
	v_fma_f32 v134, -v125, v132, v133
	s_delay_alu instid0(VALU_DEP_1) | instskip(NEXT) | instid1(VALU_DEP_1)
	v_fmac_f32_e32 v132, v134, v131
	v_fma_f32 v125, -v125, v132, v133
	s_delay_alu instid0(VALU_DEP_1) | instskip(NEXT) | instid1(VALU_DEP_1)
	v_div_fmas_f32 v125, v125, v131, v132
	v_div_fixup_f32 v125, v125, v122, v123
	s_delay_alu instid0(VALU_DEP_1) | instskip(NEXT) | instid1(VALU_DEP_1)
	v_fmac_f32_e32 v122, v123, v125
	v_div_scale_f32 v123, null, v122, v122, 1.0
	s_delay_alu instid0(VALU_DEP_1) | instskip(SKIP_1) | instid1(TRANS32_DEP_1)
	v_rcp_f32_e32 v131, v123
	v_nop
	v_fma_f32 v132, -v123, v131, 1.0
	s_delay_alu instid0(VALU_DEP_1) | instskip(SKIP_1) | instid1(VALU_DEP_1)
	v_fmac_f32_e32 v131, v132, v131
	v_div_scale_f32 v132, vcc_lo, 1.0, v122, 1.0
	v_mul_f32_e32 v133, v132, v131
	s_delay_alu instid0(VALU_DEP_1) | instskip(NEXT) | instid1(VALU_DEP_1)
	v_fma_f32 v134, -v123, v133, v132
	v_fmac_f32_e32 v133, v134, v131
	s_delay_alu instid0(VALU_DEP_1) | instskip(NEXT) | instid1(VALU_DEP_1)
	v_fma_f32 v123, -v123, v133, v132
	v_div_fmas_f32 v123, v123, v131, v133
	s_delay_alu instid0(VALU_DEP_1) | instskip(NEXT) | instid1(VALU_DEP_1)
	v_div_fixup_f32 v122, v123, v122, 1.0
	v_mul_f32_e64 v123, v125, -v122
.LBB114_1059:
	s_or_b32 exec_lo, exec_lo, s1
.LBB114_1060:
	s_delay_alu instid0(SALU_CYCLE_1) | instskip(NEXT) | instid1(SALU_CYCLE_1)
	s_or_b32 exec_lo, exec_lo, s0
	s_mov_b32 s0, exec_lo
	v_cmpx_ne_u32_e64 v130, v124
	s_xor_b32 s0, exec_lo, s0
	s_cbranch_execz .LBB114_1066
; %bb.1061:
	s_mov_b32 s1, exec_lo
	v_cmpx_eq_u32_e32 50, v130
	s_cbranch_execz .LBB114_1065
; %bb.1062:
	v_cmp_ne_u32_e32 vcc_lo, 50, v124
	s_xor_b32 s12, s16, -1
	s_delay_alu instid0(SALU_CYCLE_1) | instskip(NEXT) | instid1(SALU_CYCLE_1)
	s_and_b32 s13, s12, vcc_lo
	s_and_saveexec_b32 s12, s13
	s_cbranch_execz .LBB114_1064
; %bb.1063:
	v_ashrrev_i32_e32 v125, 31, v124
	s_delay_alu instid0(VALU_DEP_1)
	v_lshl_add_u64 v[130:131], v[124:125], 2, v[4:5]
	s_clause 0x1
	global_load_b32 v125, v[130:131], off
	global_load_b32 v129, v[4:5], off offset:200
	s_wait_loadcnt 0x1
	global_store_b32 v[4:5], v125, off offset:200
	s_wait_loadcnt 0x0
	global_store_b32 v[130:131], v129, off
.LBB114_1064:
	s_wait_xcnt 0x0
	s_or_b32 exec_lo, exec_lo, s12
	v_dual_mov_b32 v130, v124 :: v_dual_mov_b32 v129, v124
.LBB114_1065:
	s_or_b32 exec_lo, exec_lo, s1
.LBB114_1066:
	s_and_not1_saveexec_b32 s0, s0
	s_cbranch_execz .LBB114_1068
; %bb.1067:
	v_mov_b32_e32 v130, 50
	ds_store_2addr_b64 v126, v[8:9], v[60:61] offset0:51 offset1:52
	ds_store_2addr_b64 v126, v[6:7], v[42:43] offset0:53 offset1:54
	;; [unrolled: 1-line block ×3, first 2 shown]
	ds_store_b64 v126, v[120:121] offset:456
.LBB114_1068:
	s_or_b32 exec_lo, exec_lo, s0
	s_delay_alu instid0(SALU_CYCLE_1)
	s_mov_b32 s0, exec_lo
	s_wait_storecnt_dscnt 0x0
	s_barrier_signal -1
	s_barrier_wait -1
	v_cmpx_lt_i32_e32 50, v130
	s_cbranch_execz .LBB114_1070
; %bb.1069:
	v_pk_mul_f32 v[124:125], v[122:123], v[12:13] op_sel:[1,1] op_sel_hi:[0,1]
	s_delay_alu instid0(VALU_DEP_1)
	v_pk_fma_f32 v[132:133], v[122:123], v[12:13], v[124:125] op_sel_hi:[1,0,1] neg_lo:[0,0,1] neg_hi:[0,0,1]
	v_pk_fma_f32 v[134:135], v[122:123], v[12:13], v[124:125] op_sel_hi:[1,0,1]
	ds_load_2addr_b64 v[122:125], v126 offset0:51 offset1:52
	v_dual_mov_b32 v12, v132 :: v_dual_mov_b32 v13, v135
	s_wait_dscnt 0x0
	v_pk_mul_f32 v[136:137], v[122:123], v[134:135] op_sel:[0,1]
	s_delay_alu instid0(VALU_DEP_1) | instskip(SKIP_1) | instid1(VALU_DEP_1)
	v_pk_fma_f32 v[138:139], v[122:123], v[132:133], v[136:137] op_sel:[0,0,1] op_sel_hi:[1,1,0] neg_lo:[0,0,1] neg_hi:[0,0,1]
	v_pk_fma_f32 v[122:123], v[122:123], v[132:133], v[136:137] op_sel:[0,0,1] op_sel_hi:[1,0,0]
	v_mov_b32_e32 v139, v123
	v_pk_mul_f32 v[122:123], v[124:125], v[134:135] op_sel:[0,1]
	s_delay_alu instid0(VALU_DEP_1) | instskip(SKIP_1) | instid1(VALU_DEP_1)
	v_pk_fma_f32 v[136:137], v[124:125], v[132:133], v[122:123] op_sel:[0,0,1] op_sel_hi:[1,1,0] neg_lo:[0,0,1] neg_hi:[0,0,1]
	v_pk_fma_f32 v[122:123], v[124:125], v[132:133], v[122:123] op_sel:[0,0,1] op_sel_hi:[1,0,0]
	v_mov_b32_e32 v137, v123
	ds_load_2addr_b64 v[122:125], v126 offset0:53 offset1:54
	v_pk_add_f32 v[8:9], v[8:9], v[138:139] neg_lo:[0,1] neg_hi:[0,1]
	v_pk_add_f32 v[60:61], v[60:61], v[136:137] neg_lo:[0,1] neg_hi:[0,1]
	s_wait_dscnt 0x0
	v_pk_mul_f32 v[136:137], v[122:123], v[134:135] op_sel:[0,1]
	s_delay_alu instid0(VALU_DEP_1) | instskip(SKIP_2) | instid1(VALU_DEP_2)
	v_pk_fma_f32 v[138:139], v[122:123], v[132:133], v[136:137] op_sel:[0,0,1] op_sel_hi:[1,1,0] neg_lo:[0,0,1] neg_hi:[0,0,1]
	v_pk_fma_f32 v[122:123], v[122:123], v[132:133], v[136:137] op_sel:[0,0,1] op_sel_hi:[1,0,0]
	v_dual_mul_f32 v136, v125, v135 :: v_dual_mov_b32 v122, v125
	v_dual_mov_b32 v139, v123 :: v_dual_mov_b32 v123, v124
	s_delay_alu instid0(VALU_DEP_2) | instskip(SKIP_1) | instid1(VALU_DEP_3)
	v_pk_fma_f32 v[136:137], v[124:125], v[12:13], v[136:137] op_sel_hi:[1,1,0] neg_lo:[0,0,1] neg_hi:[0,0,1]
	v_mul_f32_e32 v124, v125, v132
	v_pk_add_f32 v[6:7], v[6:7], v[138:139] neg_lo:[0,1] neg_hi:[0,1]
	s_delay_alu instid0(VALU_DEP_2) | instskip(NEXT) | instid1(VALU_DEP_1)
	v_pk_fma_f32 v[122:123], v[122:123], v[12:13], v[124:125] op_sel_hi:[1,1,0]
	v_mov_b32_e32 v137, v123
	ds_load_2addr_b64 v[122:125], v126 offset0:55 offset1:56
	v_pk_add_f32 v[42:43], v[42:43], v[136:137] neg_lo:[0,1] neg_hi:[0,1]
	s_wait_dscnt 0x0
	v_pk_mul_f32 v[136:137], v[122:123], v[134:135] op_sel:[0,1]
	s_delay_alu instid0(VALU_DEP_1) | instskip(SKIP_1) | instid1(VALU_DEP_1)
	v_pk_fma_f32 v[138:139], v[122:123], v[132:133], v[136:137] op_sel:[0,0,1] op_sel_hi:[1,1,0] neg_lo:[0,0,1] neg_hi:[0,0,1]
	v_pk_fma_f32 v[122:123], v[122:123], v[132:133], v[136:137] op_sel:[0,0,1] op_sel_hi:[1,0,0]
	v_mov_b32_e32 v139, v123
	v_pk_mul_f32 v[122:123], v[124:125], v[134:135] op_sel:[0,1]
	s_delay_alu instid0(VALU_DEP_1) | instskip(SKIP_1) | instid1(VALU_DEP_1)
	v_pk_fma_f32 v[136:137], v[124:125], v[132:133], v[122:123] op_sel:[0,0,1] op_sel_hi:[1,1,0] neg_lo:[0,0,1] neg_hi:[0,0,1]
	v_pk_fma_f32 v[122:123], v[124:125], v[132:133], v[122:123] op_sel:[0,0,1] op_sel_hi:[1,0,0]
	v_mov_b32_e32 v137, v123
	ds_load_b64 v[122:123], v126 offset:456
	v_pk_add_f32 v[28:29], v[28:29], v[138:139] neg_lo:[0,1] neg_hi:[0,1]
	v_pk_add_f32 v[14:15], v[14:15], v[136:137] neg_lo:[0,1] neg_hi:[0,1]
	s_wait_dscnt 0x0
	v_pk_mul_f32 v[124:125], v[122:123], v[134:135] op_sel:[0,1]
	s_delay_alu instid0(VALU_DEP_1) | instskip(SKIP_1) | instid1(VALU_DEP_1)
	v_pk_fma_f32 v[134:135], v[122:123], v[132:133], v[124:125] op_sel:[0,0,1] op_sel_hi:[1,1,0] neg_lo:[0,0,1] neg_hi:[0,0,1]
	v_pk_fma_f32 v[122:123], v[122:123], v[132:133], v[124:125] op_sel:[0,0,1] op_sel_hi:[1,0,0]
	v_mov_b32_e32 v135, v123
	s_delay_alu instid0(VALU_DEP_1)
	v_pk_add_f32 v[120:121], v[120:121], v[134:135] neg_lo:[0,1] neg_hi:[0,1]
.LBB114_1070:
	s_or_b32 exec_lo, exec_lo, s0
	v_lshl_add_u32 v122, v130, 3, v126
	s_barrier_signal -1
	s_barrier_wait -1
	ds_store_b64 v122, v[8:9]
	s_wait_dscnt 0x0
	s_barrier_signal -1
	s_barrier_wait -1
	ds_load_b64 v[122:123], v126 offset:408
	v_mov_b32_e32 v124, 51
	s_cmp_lt_i32 s18, 53
	s_cbranch_scc1 .LBB114_1073
; %bb.1071:
	v_add3_u32 v125, v127, 0, 0x1a0
	v_mov_b32_e32 v124, 51
	s_mov_b32 s0, 52
.LBB114_1072:                           ; =>This Inner Loop Header: Depth=1
	ds_load_b64 v[132:133], v125
	s_wait_dscnt 0x1
	v_cmp_gt_f32_e32 vcc_lo, 0, v122
	v_cndmask_b32_e64 v134, v122, -v122, vcc_lo
	v_cmp_gt_f32_e32 vcc_lo, 0, v123
	v_cndmask_b32_e64 v136, v123, -v123, vcc_lo
	s_wait_dscnt 0x0
	v_cmp_gt_f32_e32 vcc_lo, 0, v132
	v_cndmask_b32_e64 v135, v132, -v132, vcc_lo
	v_cmp_gt_f32_e32 vcc_lo, 0, v133
	v_cndmask_b32_e64 v137, v133, -v133, vcc_lo
	s_delay_alu instid0(VALU_DEP_1) | instskip(NEXT) | instid1(VALU_DEP_1)
	v_pk_add_f32 v[134:135], v[134:135], v[136:137]
	v_cmp_lt_f32_e32 vcc_lo, v134, v135
	v_dual_cndmask_b32 v122, v122, v132 :: v_dual_add_nc_u32 v125, 8, v125
	v_cndmask_b32_e32 v123, v123, v133, vcc_lo
	v_cndmask_b32_e64 v124, v124, s0, vcc_lo
	s_add_co_i32 s0, s0, 1
	s_delay_alu instid0(SALU_CYCLE_1)
	s_cmp_lg_u32 s18, s0
	s_cbranch_scc1 .LBB114_1072
.LBB114_1073:
	s_wait_dscnt 0x0
	v_cmp_eq_f32_e32 vcc_lo, 0, v122
	v_cmp_eq_f32_e64 s0, 0, v123
	s_and_b32 s0, vcc_lo, s0
	s_delay_alu instid0(SALU_CYCLE_1) | instskip(NEXT) | instid1(SALU_CYCLE_1)
	s_and_saveexec_b32 s1, s0
	s_xor_b32 s0, exec_lo, s1
; %bb.1074:
	v_cmp_ne_u32_e32 vcc_lo, 0, v128
	v_cndmask_b32_e32 v128, 52, v128, vcc_lo
; %bb.1075:
	s_and_not1_saveexec_b32 s0, s0
	s_cbranch_execz .LBB114_1081
; %bb.1076:
	v_cmp_ngt_f32_e64 s1, |v122|, |v123|
	s_and_saveexec_b32 s12, s1
	s_delay_alu instid0(SALU_CYCLE_1)
	s_xor_b32 s1, exec_lo, s12
	s_cbranch_execz .LBB114_1078
; %bb.1077:
	v_div_scale_f32 v125, null, v123, v123, v122
	v_div_scale_f32 v133, vcc_lo, v122, v123, v122
	s_delay_alu instid0(VALU_DEP_2) | instskip(SKIP_1) | instid1(TRANS32_DEP_1)
	v_rcp_f32_e32 v131, v125
	v_nop
	v_fma_f32 v132, -v125, v131, 1.0
	s_delay_alu instid0(VALU_DEP_1) | instskip(NEXT) | instid1(VALU_DEP_1)
	v_fmac_f32_e32 v131, v132, v131
	v_mul_f32_e32 v132, v133, v131
	s_delay_alu instid0(VALU_DEP_1) | instskip(NEXT) | instid1(VALU_DEP_1)
	v_fma_f32 v134, -v125, v132, v133
	v_fmac_f32_e32 v132, v134, v131
	s_delay_alu instid0(VALU_DEP_1) | instskip(NEXT) | instid1(VALU_DEP_1)
	v_fma_f32 v125, -v125, v132, v133
	v_div_fmas_f32 v125, v125, v131, v132
	s_delay_alu instid0(VALU_DEP_1) | instskip(NEXT) | instid1(VALU_DEP_1)
	v_div_fixup_f32 v125, v125, v123, v122
	v_fmac_f32_e32 v123, v122, v125
	s_delay_alu instid0(VALU_DEP_1) | instskip(SKIP_1) | instid1(VALU_DEP_2)
	v_div_scale_f32 v122, null, v123, v123, 1.0
	v_div_scale_f32 v133, vcc_lo, 1.0, v123, 1.0
	v_rcp_f32_e32 v131, v122
	v_nop
	s_delay_alu instid0(TRANS32_DEP_1) | instskip(NEXT) | instid1(VALU_DEP_1)
	v_fma_f32 v132, -v122, v131, 1.0
	v_fmac_f32_e32 v131, v132, v131
	s_delay_alu instid0(VALU_DEP_1) | instskip(NEXT) | instid1(VALU_DEP_1)
	v_mul_f32_e32 v132, v133, v131
	v_fma_f32 v134, -v122, v132, v133
	s_delay_alu instid0(VALU_DEP_1) | instskip(NEXT) | instid1(VALU_DEP_1)
	v_fmac_f32_e32 v132, v134, v131
	v_fma_f32 v122, -v122, v132, v133
	s_delay_alu instid0(VALU_DEP_1) | instskip(NEXT) | instid1(VALU_DEP_1)
	v_div_fmas_f32 v122, v122, v131, v132
	v_div_fixup_f32 v123, v122, v123, 1.0
	s_delay_alu instid0(VALU_DEP_1)
	v_mul_f32_e32 v122, v125, v123
	v_xor_b32_e32 v123, 0x80000000, v123
.LBB114_1078:
	s_and_not1_saveexec_b32 s1, s1
	s_cbranch_execz .LBB114_1080
; %bb.1079:
	s_delay_alu instid0(VALU_DEP_1) | instskip(SKIP_1) | instid1(VALU_DEP_2)
	v_div_scale_f32 v125, null, v122, v122, v123
	v_div_scale_f32 v133, vcc_lo, v123, v122, v123
	v_rcp_f32_e32 v131, v125
	v_nop
	s_delay_alu instid0(TRANS32_DEP_1) | instskip(NEXT) | instid1(VALU_DEP_1)
	v_fma_f32 v132, -v125, v131, 1.0
	v_fmac_f32_e32 v131, v132, v131
	s_delay_alu instid0(VALU_DEP_1) | instskip(NEXT) | instid1(VALU_DEP_1)
	v_mul_f32_e32 v132, v133, v131
	v_fma_f32 v134, -v125, v132, v133
	s_delay_alu instid0(VALU_DEP_1) | instskip(NEXT) | instid1(VALU_DEP_1)
	v_fmac_f32_e32 v132, v134, v131
	v_fma_f32 v125, -v125, v132, v133
	s_delay_alu instid0(VALU_DEP_1) | instskip(NEXT) | instid1(VALU_DEP_1)
	v_div_fmas_f32 v125, v125, v131, v132
	v_div_fixup_f32 v125, v125, v122, v123
	s_delay_alu instid0(VALU_DEP_1) | instskip(NEXT) | instid1(VALU_DEP_1)
	v_fmac_f32_e32 v122, v123, v125
	v_div_scale_f32 v123, null, v122, v122, 1.0
	s_delay_alu instid0(VALU_DEP_1) | instskip(SKIP_1) | instid1(TRANS32_DEP_1)
	v_rcp_f32_e32 v131, v123
	v_nop
	v_fma_f32 v132, -v123, v131, 1.0
	s_delay_alu instid0(VALU_DEP_1) | instskip(SKIP_1) | instid1(VALU_DEP_1)
	v_fmac_f32_e32 v131, v132, v131
	v_div_scale_f32 v132, vcc_lo, 1.0, v122, 1.0
	v_mul_f32_e32 v133, v132, v131
	s_delay_alu instid0(VALU_DEP_1) | instskip(NEXT) | instid1(VALU_DEP_1)
	v_fma_f32 v134, -v123, v133, v132
	v_fmac_f32_e32 v133, v134, v131
	s_delay_alu instid0(VALU_DEP_1) | instskip(NEXT) | instid1(VALU_DEP_1)
	v_fma_f32 v123, -v123, v133, v132
	v_div_fmas_f32 v123, v123, v131, v133
	s_delay_alu instid0(VALU_DEP_1) | instskip(NEXT) | instid1(VALU_DEP_1)
	v_div_fixup_f32 v122, v123, v122, 1.0
	v_mul_f32_e64 v123, v125, -v122
.LBB114_1080:
	s_or_b32 exec_lo, exec_lo, s1
.LBB114_1081:
	s_delay_alu instid0(SALU_CYCLE_1) | instskip(NEXT) | instid1(SALU_CYCLE_1)
	s_or_b32 exec_lo, exec_lo, s0
	s_mov_b32 s0, exec_lo
	v_cmpx_ne_u32_e64 v130, v124
	s_xor_b32 s0, exec_lo, s0
	s_cbranch_execz .LBB114_1087
; %bb.1082:
	s_mov_b32 s1, exec_lo
	v_cmpx_eq_u32_e32 51, v130
	s_cbranch_execz .LBB114_1086
; %bb.1083:
	v_cmp_ne_u32_e32 vcc_lo, 51, v124
	s_xor_b32 s12, s16, -1
	s_delay_alu instid0(SALU_CYCLE_1) | instskip(NEXT) | instid1(SALU_CYCLE_1)
	s_and_b32 s13, s12, vcc_lo
	s_and_saveexec_b32 s12, s13
	s_cbranch_execz .LBB114_1085
; %bb.1084:
	v_ashrrev_i32_e32 v125, 31, v124
	s_delay_alu instid0(VALU_DEP_1)
	v_lshl_add_u64 v[130:131], v[124:125], 2, v[4:5]
	s_clause 0x1
	global_load_b32 v125, v[130:131], off
	global_load_b32 v129, v[4:5], off offset:204
	s_wait_loadcnt 0x1
	global_store_b32 v[4:5], v125, off offset:204
	s_wait_loadcnt 0x0
	global_store_b32 v[130:131], v129, off
.LBB114_1085:
	s_wait_xcnt 0x0
	s_or_b32 exec_lo, exec_lo, s12
	v_dual_mov_b32 v130, v124 :: v_dual_mov_b32 v129, v124
.LBB114_1086:
	s_or_b32 exec_lo, exec_lo, s1
.LBB114_1087:
	s_and_not1_saveexec_b32 s0, s0
	s_cbranch_execz .LBB114_1089
; %bb.1088:
	v_dual_mov_b32 v124, v60 :: v_dual_mov_b32 v125, v61
	v_dual_mov_b32 v132, v6 :: v_dual_mov_b32 v133, v7
	;; [unrolled: 1-line block ×5, first 2 shown]
	v_mov_b32_e32 v139, v15
	ds_store_2addr_b64 v126, v[124:125], v[132:133] offset0:52 offset1:53
	ds_store_2addr_b64 v126, v[134:135], v[136:137] offset0:54 offset1:55
	;; [unrolled: 1-line block ×3, first 2 shown]
.LBB114_1089:
	s_or_b32 exec_lo, exec_lo, s0
	s_delay_alu instid0(SALU_CYCLE_1)
	s_mov_b32 s0, exec_lo
	s_wait_storecnt_dscnt 0x0
	s_barrier_signal -1
	s_barrier_wait -1
	v_cmpx_lt_i32_e32 51, v130
	s_cbranch_execz .LBB114_1091
; %bb.1090:
	v_pk_mul_f32 v[124:125], v[122:123], v[8:9] op_sel:[1,1] op_sel_hi:[0,1]
	s_delay_alu instid0(VALU_DEP_1)
	v_pk_fma_f32 v[132:133], v[122:123], v[8:9], v[124:125] op_sel_hi:[1,0,1] neg_lo:[0,0,1] neg_hi:[0,0,1]
	v_pk_fma_f32 v[134:135], v[122:123], v[8:9], v[124:125] op_sel_hi:[1,0,1]
	ds_load_2addr_b64 v[122:125], v126 offset0:52 offset1:53
	v_dual_mov_b32 v8, v132 :: v_dual_mov_b32 v9, v135
	s_wait_dscnt 0x0
	v_pk_mul_f32 v[136:137], v[122:123], v[134:135] op_sel:[0,1]
	s_delay_alu instid0(VALU_DEP_1) | instskip(SKIP_1) | instid1(VALU_DEP_1)
	v_pk_fma_f32 v[138:139], v[122:123], v[132:133], v[136:137] op_sel:[0,0,1] op_sel_hi:[1,1,0] neg_lo:[0,0,1] neg_hi:[0,0,1]
	v_pk_fma_f32 v[122:123], v[122:123], v[132:133], v[136:137] op_sel:[0,0,1] op_sel_hi:[1,0,0]
	v_mov_b32_e32 v139, v123
	v_pk_mul_f32 v[122:123], v[124:125], v[134:135] op_sel:[0,1]
	s_delay_alu instid0(VALU_DEP_1) | instskip(SKIP_1) | instid1(VALU_DEP_1)
	v_pk_fma_f32 v[136:137], v[124:125], v[132:133], v[122:123] op_sel:[0,0,1] op_sel_hi:[1,1,0] neg_lo:[0,0,1] neg_hi:[0,0,1]
	v_pk_fma_f32 v[122:123], v[124:125], v[132:133], v[122:123] op_sel:[0,0,1] op_sel_hi:[1,0,0]
	v_mov_b32_e32 v137, v123
	ds_load_2addr_b64 v[122:125], v126 offset0:54 offset1:55
	v_pk_add_f32 v[60:61], v[60:61], v[138:139] neg_lo:[0,1] neg_hi:[0,1]
	v_pk_add_f32 v[6:7], v[6:7], v[136:137] neg_lo:[0,1] neg_hi:[0,1]
	s_wait_dscnt 0x0
	v_pk_mul_f32 v[136:137], v[122:123], v[134:135] op_sel:[0,1]
	s_delay_alu instid0(VALU_DEP_1) | instskip(SKIP_2) | instid1(VALU_DEP_2)
	v_pk_fma_f32 v[138:139], v[122:123], v[132:133], v[136:137] op_sel:[0,0,1] op_sel_hi:[1,1,0] neg_lo:[0,0,1] neg_hi:[0,0,1]
	v_pk_fma_f32 v[122:123], v[122:123], v[132:133], v[136:137] op_sel:[0,0,1] op_sel_hi:[1,0,0]
	v_dual_mul_f32 v136, v125, v135 :: v_dual_mov_b32 v122, v125
	v_dual_mov_b32 v139, v123 :: v_dual_mov_b32 v123, v124
	s_delay_alu instid0(VALU_DEP_2) | instskip(SKIP_1) | instid1(VALU_DEP_3)
	v_pk_fma_f32 v[136:137], v[124:125], v[8:9], v[136:137] op_sel_hi:[1,1,0] neg_lo:[0,0,1] neg_hi:[0,0,1]
	v_mul_f32_e32 v124, v125, v132
	v_pk_add_f32 v[42:43], v[42:43], v[138:139] neg_lo:[0,1] neg_hi:[0,1]
	s_delay_alu instid0(VALU_DEP_2) | instskip(NEXT) | instid1(VALU_DEP_1)
	v_pk_fma_f32 v[122:123], v[122:123], v[8:9], v[124:125] op_sel_hi:[1,1,0]
	v_mov_b32_e32 v137, v123
	ds_load_2addr_b64 v[122:125], v126 offset0:56 offset1:57
	v_pk_add_f32 v[28:29], v[28:29], v[136:137] neg_lo:[0,1] neg_hi:[0,1]
	s_wait_dscnt 0x0
	v_pk_mul_f32 v[136:137], v[122:123], v[134:135] op_sel:[0,1]
	v_mul_f32_e32 v134, v125, v135
	s_delay_alu instid0(VALU_DEP_2) | instskip(SKIP_2) | instid1(VALU_DEP_4)
	v_pk_fma_f32 v[138:139], v[122:123], v[132:133], v[136:137] op_sel:[0,0,1] op_sel_hi:[1,1,0] neg_lo:[0,0,1] neg_hi:[0,0,1]
	v_pk_fma_f32 v[122:123], v[122:123], v[132:133], v[136:137] op_sel:[0,0,1] op_sel_hi:[1,0,0]
	v_mov_b32_e32 v122, v125
	v_pk_fma_f32 v[134:135], v[124:125], v[8:9], v[134:135] op_sel_hi:[1,1,0] neg_lo:[0,0,1] neg_hi:[0,0,1]
	s_delay_alu instid0(VALU_DEP_3) | instskip(SKIP_1) | instid1(VALU_DEP_2)
	v_dual_mov_b32 v139, v123 :: v_dual_mov_b32 v123, v124
	v_mul_f32_e32 v124, v125, v132
	v_pk_add_f32 v[14:15], v[14:15], v[138:139] neg_lo:[0,1] neg_hi:[0,1]
	s_delay_alu instid0(VALU_DEP_2) | instskip(NEXT) | instid1(VALU_DEP_1)
	v_pk_fma_f32 v[122:123], v[122:123], v[8:9], v[124:125] op_sel_hi:[1,1,0]
	v_mov_b32_e32 v135, v123
	s_delay_alu instid0(VALU_DEP_1)
	v_pk_add_f32 v[120:121], v[120:121], v[134:135] neg_lo:[0,1] neg_hi:[0,1]
.LBB114_1091:
	s_or_b32 exec_lo, exec_lo, s0
	v_lshl_add_u32 v122, v130, 3, v126
	s_barrier_signal -1
	s_barrier_wait -1
	ds_store_b64 v122, v[60:61]
	s_wait_dscnt 0x0
	s_barrier_signal -1
	s_barrier_wait -1
	ds_load_b64 v[122:123], v126 offset:416
	v_mov_b32_e32 v124, 52
	s_cmp_lt_i32 s18, 54
	s_cbranch_scc1 .LBB114_1094
; %bb.1092:
	v_add3_u32 v125, v127, 0, 0x1a8
	v_mov_b32_e32 v124, 52
	s_mov_b32 s0, 53
.LBB114_1093:                           ; =>This Inner Loop Header: Depth=1
	ds_load_b64 v[132:133], v125
	s_wait_dscnt 0x1
	v_cmp_gt_f32_e32 vcc_lo, 0, v122
	v_cndmask_b32_e64 v134, v122, -v122, vcc_lo
	v_cmp_gt_f32_e32 vcc_lo, 0, v123
	v_cndmask_b32_e64 v136, v123, -v123, vcc_lo
	s_wait_dscnt 0x0
	v_cmp_gt_f32_e32 vcc_lo, 0, v132
	v_cndmask_b32_e64 v135, v132, -v132, vcc_lo
	v_cmp_gt_f32_e32 vcc_lo, 0, v133
	v_cndmask_b32_e64 v137, v133, -v133, vcc_lo
	s_delay_alu instid0(VALU_DEP_1) | instskip(NEXT) | instid1(VALU_DEP_1)
	v_pk_add_f32 v[134:135], v[134:135], v[136:137]
	v_cmp_lt_f32_e32 vcc_lo, v134, v135
	v_dual_cndmask_b32 v122, v122, v132 :: v_dual_add_nc_u32 v125, 8, v125
	v_cndmask_b32_e32 v123, v123, v133, vcc_lo
	v_cndmask_b32_e64 v124, v124, s0, vcc_lo
	s_add_co_i32 s0, s0, 1
	s_delay_alu instid0(SALU_CYCLE_1)
	s_cmp_lg_u32 s18, s0
	s_cbranch_scc1 .LBB114_1093
.LBB114_1094:
	s_wait_dscnt 0x0
	v_cmp_eq_f32_e32 vcc_lo, 0, v122
	v_cmp_eq_f32_e64 s0, 0, v123
	s_and_b32 s0, vcc_lo, s0
	s_delay_alu instid0(SALU_CYCLE_1) | instskip(NEXT) | instid1(SALU_CYCLE_1)
	s_and_saveexec_b32 s1, s0
	s_xor_b32 s0, exec_lo, s1
; %bb.1095:
	v_cmp_ne_u32_e32 vcc_lo, 0, v128
	v_cndmask_b32_e32 v128, 53, v128, vcc_lo
; %bb.1096:
	s_and_not1_saveexec_b32 s0, s0
	s_cbranch_execz .LBB114_1102
; %bb.1097:
	v_cmp_ngt_f32_e64 s1, |v122|, |v123|
	s_and_saveexec_b32 s12, s1
	s_delay_alu instid0(SALU_CYCLE_1)
	s_xor_b32 s1, exec_lo, s12
	s_cbranch_execz .LBB114_1099
; %bb.1098:
	v_div_scale_f32 v125, null, v123, v123, v122
	v_div_scale_f32 v133, vcc_lo, v122, v123, v122
	s_delay_alu instid0(VALU_DEP_2) | instskip(SKIP_1) | instid1(TRANS32_DEP_1)
	v_rcp_f32_e32 v131, v125
	v_nop
	v_fma_f32 v132, -v125, v131, 1.0
	s_delay_alu instid0(VALU_DEP_1) | instskip(NEXT) | instid1(VALU_DEP_1)
	v_fmac_f32_e32 v131, v132, v131
	v_mul_f32_e32 v132, v133, v131
	s_delay_alu instid0(VALU_DEP_1) | instskip(NEXT) | instid1(VALU_DEP_1)
	v_fma_f32 v134, -v125, v132, v133
	v_fmac_f32_e32 v132, v134, v131
	s_delay_alu instid0(VALU_DEP_1) | instskip(NEXT) | instid1(VALU_DEP_1)
	v_fma_f32 v125, -v125, v132, v133
	v_div_fmas_f32 v125, v125, v131, v132
	s_delay_alu instid0(VALU_DEP_1) | instskip(NEXT) | instid1(VALU_DEP_1)
	v_div_fixup_f32 v125, v125, v123, v122
	v_fmac_f32_e32 v123, v122, v125
	s_delay_alu instid0(VALU_DEP_1) | instskip(SKIP_1) | instid1(VALU_DEP_2)
	v_div_scale_f32 v122, null, v123, v123, 1.0
	v_div_scale_f32 v133, vcc_lo, 1.0, v123, 1.0
	v_rcp_f32_e32 v131, v122
	v_nop
	s_delay_alu instid0(TRANS32_DEP_1) | instskip(NEXT) | instid1(VALU_DEP_1)
	v_fma_f32 v132, -v122, v131, 1.0
	v_fmac_f32_e32 v131, v132, v131
	s_delay_alu instid0(VALU_DEP_1) | instskip(NEXT) | instid1(VALU_DEP_1)
	v_mul_f32_e32 v132, v133, v131
	v_fma_f32 v134, -v122, v132, v133
	s_delay_alu instid0(VALU_DEP_1) | instskip(NEXT) | instid1(VALU_DEP_1)
	v_fmac_f32_e32 v132, v134, v131
	v_fma_f32 v122, -v122, v132, v133
	s_delay_alu instid0(VALU_DEP_1) | instskip(NEXT) | instid1(VALU_DEP_1)
	v_div_fmas_f32 v122, v122, v131, v132
	v_div_fixup_f32 v123, v122, v123, 1.0
	s_delay_alu instid0(VALU_DEP_1)
	v_mul_f32_e32 v122, v125, v123
	v_xor_b32_e32 v123, 0x80000000, v123
.LBB114_1099:
	s_and_not1_saveexec_b32 s1, s1
	s_cbranch_execz .LBB114_1101
; %bb.1100:
	s_delay_alu instid0(VALU_DEP_1) | instskip(SKIP_1) | instid1(VALU_DEP_2)
	v_div_scale_f32 v125, null, v122, v122, v123
	v_div_scale_f32 v133, vcc_lo, v123, v122, v123
	v_rcp_f32_e32 v131, v125
	v_nop
	s_delay_alu instid0(TRANS32_DEP_1) | instskip(NEXT) | instid1(VALU_DEP_1)
	v_fma_f32 v132, -v125, v131, 1.0
	v_fmac_f32_e32 v131, v132, v131
	s_delay_alu instid0(VALU_DEP_1) | instskip(NEXT) | instid1(VALU_DEP_1)
	v_mul_f32_e32 v132, v133, v131
	v_fma_f32 v134, -v125, v132, v133
	s_delay_alu instid0(VALU_DEP_1) | instskip(NEXT) | instid1(VALU_DEP_1)
	v_fmac_f32_e32 v132, v134, v131
	v_fma_f32 v125, -v125, v132, v133
	s_delay_alu instid0(VALU_DEP_1) | instskip(NEXT) | instid1(VALU_DEP_1)
	v_div_fmas_f32 v125, v125, v131, v132
	v_div_fixup_f32 v125, v125, v122, v123
	s_delay_alu instid0(VALU_DEP_1) | instskip(NEXT) | instid1(VALU_DEP_1)
	v_fmac_f32_e32 v122, v123, v125
	v_div_scale_f32 v123, null, v122, v122, 1.0
	s_delay_alu instid0(VALU_DEP_1) | instskip(SKIP_1) | instid1(TRANS32_DEP_1)
	v_rcp_f32_e32 v131, v123
	v_nop
	v_fma_f32 v132, -v123, v131, 1.0
	s_delay_alu instid0(VALU_DEP_1) | instskip(SKIP_1) | instid1(VALU_DEP_1)
	v_fmac_f32_e32 v131, v132, v131
	v_div_scale_f32 v132, vcc_lo, 1.0, v122, 1.0
	v_mul_f32_e32 v133, v132, v131
	s_delay_alu instid0(VALU_DEP_1) | instskip(NEXT) | instid1(VALU_DEP_1)
	v_fma_f32 v134, -v123, v133, v132
	v_fmac_f32_e32 v133, v134, v131
	s_delay_alu instid0(VALU_DEP_1) | instskip(NEXT) | instid1(VALU_DEP_1)
	v_fma_f32 v123, -v123, v133, v132
	v_div_fmas_f32 v123, v123, v131, v133
	s_delay_alu instid0(VALU_DEP_1) | instskip(NEXT) | instid1(VALU_DEP_1)
	v_div_fixup_f32 v122, v123, v122, 1.0
	v_mul_f32_e64 v123, v125, -v122
.LBB114_1101:
	s_or_b32 exec_lo, exec_lo, s1
.LBB114_1102:
	s_delay_alu instid0(SALU_CYCLE_1) | instskip(NEXT) | instid1(SALU_CYCLE_1)
	s_or_b32 exec_lo, exec_lo, s0
	s_mov_b32 s0, exec_lo
	v_cmpx_ne_u32_e64 v130, v124
	s_xor_b32 s0, exec_lo, s0
	s_cbranch_execz .LBB114_1108
; %bb.1103:
	s_mov_b32 s1, exec_lo
	v_cmpx_eq_u32_e32 52, v130
	s_cbranch_execz .LBB114_1107
; %bb.1104:
	v_cmp_ne_u32_e32 vcc_lo, 52, v124
	s_xor_b32 s12, s16, -1
	s_delay_alu instid0(SALU_CYCLE_1) | instskip(NEXT) | instid1(SALU_CYCLE_1)
	s_and_b32 s13, s12, vcc_lo
	s_and_saveexec_b32 s12, s13
	s_cbranch_execz .LBB114_1106
; %bb.1105:
	v_ashrrev_i32_e32 v125, 31, v124
	s_delay_alu instid0(VALU_DEP_1)
	v_lshl_add_u64 v[130:131], v[124:125], 2, v[4:5]
	s_clause 0x1
	global_load_b32 v125, v[130:131], off
	global_load_b32 v129, v[4:5], off offset:208
	s_wait_loadcnt 0x1
	global_store_b32 v[4:5], v125, off offset:208
	s_wait_loadcnt 0x0
	global_store_b32 v[130:131], v129, off
.LBB114_1106:
	s_wait_xcnt 0x0
	s_or_b32 exec_lo, exec_lo, s12
	v_dual_mov_b32 v130, v124 :: v_dual_mov_b32 v129, v124
.LBB114_1107:
	s_or_b32 exec_lo, exec_lo, s1
.LBB114_1108:
	s_and_not1_saveexec_b32 s0, s0
	s_cbranch_execz .LBB114_1110
; %bb.1109:
	v_mov_b32_e32 v130, 52
	ds_store_2addr_b64 v126, v[6:7], v[42:43] offset0:53 offset1:54
	ds_store_2addr_b64 v126, v[28:29], v[14:15] offset0:55 offset1:56
	ds_store_b64 v126, v[120:121] offset:456
.LBB114_1110:
	s_or_b32 exec_lo, exec_lo, s0
	s_delay_alu instid0(SALU_CYCLE_1)
	s_mov_b32 s0, exec_lo
	s_wait_storecnt_dscnt 0x0
	s_barrier_signal -1
	s_barrier_wait -1
	v_cmpx_lt_i32_e32 52, v130
	s_cbranch_execz .LBB114_1112
; %bb.1111:
	v_pk_mul_f32 v[124:125], v[122:123], v[60:61] op_sel:[1,1] op_sel_hi:[0,1]
	s_delay_alu instid0(VALU_DEP_1)
	v_pk_fma_f32 v[132:133], v[122:123], v[60:61], v[124:125] op_sel_hi:[1,0,1] neg_lo:[0,0,1] neg_hi:[0,0,1]
	v_pk_fma_f32 v[134:135], v[122:123], v[60:61], v[124:125] op_sel_hi:[1,0,1]
	ds_load_2addr_b64 v[122:125], v126 offset0:53 offset1:54
	v_dual_mov_b32 v60, v132 :: v_dual_mov_b32 v61, v135
	s_wait_dscnt 0x0
	v_pk_mul_f32 v[136:137], v[122:123], v[134:135] op_sel:[0,1]
	s_delay_alu instid0(VALU_DEP_1) | instskip(SKIP_1) | instid1(VALU_DEP_1)
	v_pk_fma_f32 v[138:139], v[122:123], v[132:133], v[136:137] op_sel:[0,0,1] op_sel_hi:[1,1,0] neg_lo:[0,0,1] neg_hi:[0,0,1]
	v_pk_fma_f32 v[122:123], v[122:123], v[132:133], v[136:137] op_sel:[0,0,1] op_sel_hi:[1,0,0]
	v_mov_b32_e32 v139, v123
	v_pk_mul_f32 v[122:123], v[124:125], v[134:135] op_sel:[0,1]
	s_delay_alu instid0(VALU_DEP_1) | instskip(SKIP_1) | instid1(VALU_DEP_1)
	v_pk_fma_f32 v[136:137], v[124:125], v[132:133], v[122:123] op_sel:[0,0,1] op_sel_hi:[1,1,0] neg_lo:[0,0,1] neg_hi:[0,0,1]
	v_pk_fma_f32 v[122:123], v[124:125], v[132:133], v[122:123] op_sel:[0,0,1] op_sel_hi:[1,0,0]
	v_mov_b32_e32 v137, v123
	ds_load_2addr_b64 v[122:125], v126 offset0:55 offset1:56
	v_pk_add_f32 v[6:7], v[6:7], v[138:139] neg_lo:[0,1] neg_hi:[0,1]
	v_pk_add_f32 v[42:43], v[42:43], v[136:137] neg_lo:[0,1] neg_hi:[0,1]
	s_wait_dscnt 0x0
	v_pk_mul_f32 v[136:137], v[122:123], v[134:135] op_sel:[0,1]
	s_delay_alu instid0(VALU_DEP_1) | instskip(SKIP_2) | instid1(VALU_DEP_2)
	v_pk_fma_f32 v[138:139], v[122:123], v[132:133], v[136:137] op_sel:[0,0,1] op_sel_hi:[1,1,0] neg_lo:[0,0,1] neg_hi:[0,0,1]
	v_pk_fma_f32 v[122:123], v[122:123], v[132:133], v[136:137] op_sel:[0,0,1] op_sel_hi:[1,0,0]
	v_dual_mul_f32 v136, v125, v135 :: v_dual_mov_b32 v122, v125
	v_dual_mov_b32 v139, v123 :: v_dual_mov_b32 v123, v124
	s_delay_alu instid0(VALU_DEP_2) | instskip(SKIP_1) | instid1(VALU_DEP_3)
	v_pk_fma_f32 v[136:137], v[124:125], v[60:61], v[136:137] op_sel_hi:[1,1,0] neg_lo:[0,0,1] neg_hi:[0,0,1]
	v_mul_f32_e32 v124, v125, v132
	v_pk_add_f32 v[28:29], v[28:29], v[138:139] neg_lo:[0,1] neg_hi:[0,1]
	s_delay_alu instid0(VALU_DEP_2) | instskip(NEXT) | instid1(VALU_DEP_1)
	v_pk_fma_f32 v[122:123], v[122:123], v[60:61], v[124:125] op_sel_hi:[1,1,0]
	v_mov_b32_e32 v137, v123
	ds_load_b64 v[122:123], v126 offset:456
	v_pk_add_f32 v[14:15], v[14:15], v[136:137] neg_lo:[0,1] neg_hi:[0,1]
	s_wait_dscnt 0x0
	v_pk_mul_f32 v[124:125], v[122:123], v[134:135] op_sel:[0,1]
	s_delay_alu instid0(VALU_DEP_1) | instskip(SKIP_1) | instid1(VALU_DEP_1)
	v_pk_fma_f32 v[134:135], v[122:123], v[132:133], v[124:125] op_sel:[0,0,1] op_sel_hi:[1,1,0] neg_lo:[0,0,1] neg_hi:[0,0,1]
	v_pk_fma_f32 v[122:123], v[122:123], v[132:133], v[124:125] op_sel:[0,0,1] op_sel_hi:[1,0,0]
	v_mov_b32_e32 v135, v123
	s_delay_alu instid0(VALU_DEP_1)
	v_pk_add_f32 v[120:121], v[120:121], v[134:135] neg_lo:[0,1] neg_hi:[0,1]
.LBB114_1112:
	s_or_b32 exec_lo, exec_lo, s0
	v_lshl_add_u32 v122, v130, 3, v126
	s_barrier_signal -1
	s_barrier_wait -1
	ds_store_b64 v122, v[6:7]
	s_wait_dscnt 0x0
	s_barrier_signal -1
	s_barrier_wait -1
	ds_load_b64 v[122:123], v126 offset:424
	v_mov_b32_e32 v124, 53
	s_cmp_lt_i32 s18, 55
	s_cbranch_scc1 .LBB114_1115
; %bb.1113:
	v_add3_u32 v125, v127, 0, 0x1b0
	v_mov_b32_e32 v124, 53
	s_mov_b32 s0, 54
.LBB114_1114:                           ; =>This Inner Loop Header: Depth=1
	ds_load_b64 v[132:133], v125
	s_wait_dscnt 0x1
	v_cmp_gt_f32_e32 vcc_lo, 0, v122
	v_cndmask_b32_e64 v134, v122, -v122, vcc_lo
	v_cmp_gt_f32_e32 vcc_lo, 0, v123
	v_cndmask_b32_e64 v136, v123, -v123, vcc_lo
	s_wait_dscnt 0x0
	v_cmp_gt_f32_e32 vcc_lo, 0, v132
	v_cndmask_b32_e64 v135, v132, -v132, vcc_lo
	v_cmp_gt_f32_e32 vcc_lo, 0, v133
	v_cndmask_b32_e64 v137, v133, -v133, vcc_lo
	s_delay_alu instid0(VALU_DEP_1) | instskip(NEXT) | instid1(VALU_DEP_1)
	v_pk_add_f32 v[134:135], v[134:135], v[136:137]
	v_cmp_lt_f32_e32 vcc_lo, v134, v135
	v_dual_cndmask_b32 v122, v122, v132 :: v_dual_add_nc_u32 v125, 8, v125
	v_cndmask_b32_e32 v123, v123, v133, vcc_lo
	v_cndmask_b32_e64 v124, v124, s0, vcc_lo
	s_add_co_i32 s0, s0, 1
	s_delay_alu instid0(SALU_CYCLE_1)
	s_cmp_lg_u32 s18, s0
	s_cbranch_scc1 .LBB114_1114
.LBB114_1115:
	s_wait_dscnt 0x0
	v_cmp_eq_f32_e32 vcc_lo, 0, v122
	v_cmp_eq_f32_e64 s0, 0, v123
	s_and_b32 s0, vcc_lo, s0
	s_delay_alu instid0(SALU_CYCLE_1) | instskip(NEXT) | instid1(SALU_CYCLE_1)
	s_and_saveexec_b32 s1, s0
	s_xor_b32 s0, exec_lo, s1
; %bb.1116:
	v_cmp_ne_u32_e32 vcc_lo, 0, v128
	v_cndmask_b32_e32 v128, 54, v128, vcc_lo
; %bb.1117:
	s_and_not1_saveexec_b32 s0, s0
	s_cbranch_execz .LBB114_1123
; %bb.1118:
	v_cmp_ngt_f32_e64 s1, |v122|, |v123|
	s_and_saveexec_b32 s12, s1
	s_delay_alu instid0(SALU_CYCLE_1)
	s_xor_b32 s1, exec_lo, s12
	s_cbranch_execz .LBB114_1120
; %bb.1119:
	v_div_scale_f32 v125, null, v123, v123, v122
	v_div_scale_f32 v133, vcc_lo, v122, v123, v122
	s_delay_alu instid0(VALU_DEP_2) | instskip(SKIP_1) | instid1(TRANS32_DEP_1)
	v_rcp_f32_e32 v131, v125
	v_nop
	v_fma_f32 v132, -v125, v131, 1.0
	s_delay_alu instid0(VALU_DEP_1) | instskip(NEXT) | instid1(VALU_DEP_1)
	v_fmac_f32_e32 v131, v132, v131
	v_mul_f32_e32 v132, v133, v131
	s_delay_alu instid0(VALU_DEP_1) | instskip(NEXT) | instid1(VALU_DEP_1)
	v_fma_f32 v134, -v125, v132, v133
	v_fmac_f32_e32 v132, v134, v131
	s_delay_alu instid0(VALU_DEP_1) | instskip(NEXT) | instid1(VALU_DEP_1)
	v_fma_f32 v125, -v125, v132, v133
	v_div_fmas_f32 v125, v125, v131, v132
	s_delay_alu instid0(VALU_DEP_1) | instskip(NEXT) | instid1(VALU_DEP_1)
	v_div_fixup_f32 v125, v125, v123, v122
	v_fmac_f32_e32 v123, v122, v125
	s_delay_alu instid0(VALU_DEP_1) | instskip(SKIP_1) | instid1(VALU_DEP_2)
	v_div_scale_f32 v122, null, v123, v123, 1.0
	v_div_scale_f32 v133, vcc_lo, 1.0, v123, 1.0
	v_rcp_f32_e32 v131, v122
	v_nop
	s_delay_alu instid0(TRANS32_DEP_1) | instskip(NEXT) | instid1(VALU_DEP_1)
	v_fma_f32 v132, -v122, v131, 1.0
	v_fmac_f32_e32 v131, v132, v131
	s_delay_alu instid0(VALU_DEP_1) | instskip(NEXT) | instid1(VALU_DEP_1)
	v_mul_f32_e32 v132, v133, v131
	v_fma_f32 v134, -v122, v132, v133
	s_delay_alu instid0(VALU_DEP_1) | instskip(NEXT) | instid1(VALU_DEP_1)
	v_fmac_f32_e32 v132, v134, v131
	v_fma_f32 v122, -v122, v132, v133
	s_delay_alu instid0(VALU_DEP_1) | instskip(NEXT) | instid1(VALU_DEP_1)
	v_div_fmas_f32 v122, v122, v131, v132
	v_div_fixup_f32 v123, v122, v123, 1.0
	s_delay_alu instid0(VALU_DEP_1)
	v_mul_f32_e32 v122, v125, v123
	v_xor_b32_e32 v123, 0x80000000, v123
.LBB114_1120:
	s_and_not1_saveexec_b32 s1, s1
	s_cbranch_execz .LBB114_1122
; %bb.1121:
	s_delay_alu instid0(VALU_DEP_1) | instskip(SKIP_1) | instid1(VALU_DEP_2)
	v_div_scale_f32 v125, null, v122, v122, v123
	v_div_scale_f32 v133, vcc_lo, v123, v122, v123
	v_rcp_f32_e32 v131, v125
	v_nop
	s_delay_alu instid0(TRANS32_DEP_1) | instskip(NEXT) | instid1(VALU_DEP_1)
	v_fma_f32 v132, -v125, v131, 1.0
	v_fmac_f32_e32 v131, v132, v131
	s_delay_alu instid0(VALU_DEP_1) | instskip(NEXT) | instid1(VALU_DEP_1)
	v_mul_f32_e32 v132, v133, v131
	v_fma_f32 v134, -v125, v132, v133
	s_delay_alu instid0(VALU_DEP_1) | instskip(NEXT) | instid1(VALU_DEP_1)
	v_fmac_f32_e32 v132, v134, v131
	v_fma_f32 v125, -v125, v132, v133
	s_delay_alu instid0(VALU_DEP_1) | instskip(NEXT) | instid1(VALU_DEP_1)
	v_div_fmas_f32 v125, v125, v131, v132
	v_div_fixup_f32 v125, v125, v122, v123
	s_delay_alu instid0(VALU_DEP_1) | instskip(NEXT) | instid1(VALU_DEP_1)
	v_fmac_f32_e32 v122, v123, v125
	v_div_scale_f32 v123, null, v122, v122, 1.0
	s_delay_alu instid0(VALU_DEP_1) | instskip(SKIP_1) | instid1(TRANS32_DEP_1)
	v_rcp_f32_e32 v131, v123
	v_nop
	v_fma_f32 v132, -v123, v131, 1.0
	s_delay_alu instid0(VALU_DEP_1) | instskip(SKIP_1) | instid1(VALU_DEP_1)
	v_fmac_f32_e32 v131, v132, v131
	v_div_scale_f32 v132, vcc_lo, 1.0, v122, 1.0
	v_mul_f32_e32 v133, v132, v131
	s_delay_alu instid0(VALU_DEP_1) | instskip(NEXT) | instid1(VALU_DEP_1)
	v_fma_f32 v134, -v123, v133, v132
	v_fmac_f32_e32 v133, v134, v131
	s_delay_alu instid0(VALU_DEP_1) | instskip(NEXT) | instid1(VALU_DEP_1)
	v_fma_f32 v123, -v123, v133, v132
	v_div_fmas_f32 v123, v123, v131, v133
	s_delay_alu instid0(VALU_DEP_1) | instskip(NEXT) | instid1(VALU_DEP_1)
	v_div_fixup_f32 v122, v123, v122, 1.0
	v_mul_f32_e64 v123, v125, -v122
.LBB114_1122:
	s_or_b32 exec_lo, exec_lo, s1
.LBB114_1123:
	s_delay_alu instid0(SALU_CYCLE_1) | instskip(NEXT) | instid1(SALU_CYCLE_1)
	s_or_b32 exec_lo, exec_lo, s0
	s_mov_b32 s0, exec_lo
	v_cmpx_ne_u32_e64 v130, v124
	s_xor_b32 s0, exec_lo, s0
	s_cbranch_execz .LBB114_1129
; %bb.1124:
	s_mov_b32 s1, exec_lo
	v_cmpx_eq_u32_e32 53, v130
	s_cbranch_execz .LBB114_1128
; %bb.1125:
	v_cmp_ne_u32_e32 vcc_lo, 53, v124
	s_xor_b32 s12, s16, -1
	s_delay_alu instid0(SALU_CYCLE_1) | instskip(NEXT) | instid1(SALU_CYCLE_1)
	s_and_b32 s13, s12, vcc_lo
	s_and_saveexec_b32 s12, s13
	s_cbranch_execz .LBB114_1127
; %bb.1126:
	v_ashrrev_i32_e32 v125, 31, v124
	s_delay_alu instid0(VALU_DEP_1)
	v_lshl_add_u64 v[130:131], v[124:125], 2, v[4:5]
	s_clause 0x1
	global_load_b32 v125, v[130:131], off
	global_load_b32 v129, v[4:5], off offset:212
	s_wait_loadcnt 0x1
	global_store_b32 v[4:5], v125, off offset:212
	s_wait_loadcnt 0x0
	global_store_b32 v[130:131], v129, off
.LBB114_1127:
	s_wait_xcnt 0x0
	s_or_b32 exec_lo, exec_lo, s12
	v_dual_mov_b32 v130, v124 :: v_dual_mov_b32 v129, v124
.LBB114_1128:
	s_or_b32 exec_lo, exec_lo, s1
.LBB114_1129:
	s_and_not1_saveexec_b32 s0, s0
	s_cbranch_execz .LBB114_1131
; %bb.1130:
	v_dual_mov_b32 v124, v42 :: v_dual_mov_b32 v125, v43
	v_dual_mov_b32 v132, v28 :: v_dual_mov_b32 v133, v29
	;; [unrolled: 1-line block ×3, first 2 shown]
	v_mov_b32_e32 v135, v15
	ds_store_2addr_b64 v126, v[124:125], v[132:133] offset0:54 offset1:55
	ds_store_2addr_b64 v126, v[134:135], v[120:121] offset0:56 offset1:57
.LBB114_1131:
	s_or_b32 exec_lo, exec_lo, s0
	s_delay_alu instid0(SALU_CYCLE_1)
	s_mov_b32 s0, exec_lo
	s_wait_storecnt_dscnt 0x0
	s_barrier_signal -1
	s_barrier_wait -1
	v_cmpx_lt_i32_e32 53, v130
	s_cbranch_execz .LBB114_1133
; %bb.1132:
	v_pk_mul_f32 v[124:125], v[122:123], v[6:7] op_sel:[1,1] op_sel_hi:[0,1]
	s_delay_alu instid0(VALU_DEP_1)
	v_pk_fma_f32 v[132:133], v[122:123], v[6:7], v[124:125] op_sel_hi:[1,0,1] neg_lo:[0,0,1] neg_hi:[0,0,1]
	v_pk_fma_f32 v[134:135], v[122:123], v[6:7], v[124:125] op_sel_hi:[1,0,1]
	ds_load_2addr_b64 v[122:125], v126 offset0:54 offset1:55
	v_dual_mov_b32 v6, v132 :: v_dual_mov_b32 v7, v135
	s_wait_dscnt 0x0
	v_pk_mul_f32 v[136:137], v[122:123], v[134:135] op_sel:[0,1]
	s_delay_alu instid0(VALU_DEP_1) | instskip(SKIP_1) | instid1(VALU_DEP_1)
	v_pk_fma_f32 v[138:139], v[122:123], v[132:133], v[136:137] op_sel:[0,0,1] op_sel_hi:[1,1,0] neg_lo:[0,0,1] neg_hi:[0,0,1]
	v_pk_fma_f32 v[122:123], v[122:123], v[132:133], v[136:137] op_sel:[0,0,1] op_sel_hi:[1,0,0]
	v_mov_b32_e32 v139, v123
	v_pk_mul_f32 v[122:123], v[124:125], v[134:135] op_sel:[0,1]
	s_delay_alu instid0(VALU_DEP_1) | instskip(SKIP_1) | instid1(VALU_DEP_1)
	v_pk_fma_f32 v[136:137], v[124:125], v[132:133], v[122:123] op_sel:[0,0,1] op_sel_hi:[1,1,0] neg_lo:[0,0,1] neg_hi:[0,0,1]
	v_pk_fma_f32 v[122:123], v[124:125], v[132:133], v[122:123] op_sel:[0,0,1] op_sel_hi:[1,0,0]
	v_mov_b32_e32 v137, v123
	ds_load_2addr_b64 v[122:125], v126 offset0:56 offset1:57
	v_pk_add_f32 v[42:43], v[42:43], v[138:139] neg_lo:[0,1] neg_hi:[0,1]
	v_pk_add_f32 v[28:29], v[28:29], v[136:137] neg_lo:[0,1] neg_hi:[0,1]
	s_wait_dscnt 0x0
	v_pk_mul_f32 v[136:137], v[122:123], v[134:135] op_sel:[0,1]
	s_delay_alu instid0(VALU_DEP_1) | instskip(SKIP_1) | instid1(VALU_DEP_1)
	v_pk_fma_f32 v[138:139], v[122:123], v[132:133], v[136:137] op_sel:[0,0,1] op_sel_hi:[1,1,0] neg_lo:[0,0,1] neg_hi:[0,0,1]
	v_pk_fma_f32 v[122:123], v[122:123], v[132:133], v[136:137] op_sel:[0,0,1] op_sel_hi:[1,0,0]
	v_dual_mov_b32 v122, v125 :: v_dual_mov_b32 v139, v123
	v_mov_b32_e32 v123, v124
	s_delay_alu instid0(VALU_DEP_2) | instskip(NEXT) | instid1(VALU_DEP_2)
	v_pk_add_f32 v[14:15], v[14:15], v[138:139] neg_lo:[0,1] neg_hi:[0,1]
	v_pk_mul_f32 v[122:123], v[122:123], v[134:135] op_sel:[0,1]
	s_delay_alu instid0(VALU_DEP_1) | instskip(SKIP_1) | instid1(VALU_DEP_1)
	v_pk_fma_f32 v[134:135], v[124:125], v[132:133], v[122:123] neg_lo:[0,0,1] neg_hi:[0,0,1]
	v_pk_fma_f32 v[122:123], v[124:125], v[132:133], v[122:123] op_sel_hi:[1,0,1]
	v_mov_b32_e32 v135, v123
	s_delay_alu instid0(VALU_DEP_1)
	v_pk_add_f32 v[120:121], v[120:121], v[134:135] neg_lo:[0,1] neg_hi:[0,1]
.LBB114_1133:
	s_or_b32 exec_lo, exec_lo, s0
	v_lshl_add_u32 v122, v130, 3, v126
	s_barrier_signal -1
	s_barrier_wait -1
	ds_store_b64 v122, v[42:43]
	s_wait_dscnt 0x0
	s_barrier_signal -1
	s_barrier_wait -1
	ds_load_b64 v[122:123], v126 offset:432
	v_mov_b32_e32 v124, 54
	s_cmp_lt_i32 s18, 56
	s_cbranch_scc1 .LBB114_1136
; %bb.1134:
	v_add3_u32 v125, v127, 0, 0x1b8
	v_mov_b32_e32 v124, 54
	s_mov_b32 s0, 55
.LBB114_1135:                           ; =>This Inner Loop Header: Depth=1
	ds_load_b64 v[132:133], v125
	s_wait_dscnt 0x1
	v_cmp_gt_f32_e32 vcc_lo, 0, v122
	v_cndmask_b32_e64 v134, v122, -v122, vcc_lo
	v_cmp_gt_f32_e32 vcc_lo, 0, v123
	v_cndmask_b32_e64 v136, v123, -v123, vcc_lo
	s_wait_dscnt 0x0
	v_cmp_gt_f32_e32 vcc_lo, 0, v132
	v_cndmask_b32_e64 v135, v132, -v132, vcc_lo
	v_cmp_gt_f32_e32 vcc_lo, 0, v133
	v_cndmask_b32_e64 v137, v133, -v133, vcc_lo
	s_delay_alu instid0(VALU_DEP_1) | instskip(NEXT) | instid1(VALU_DEP_1)
	v_pk_add_f32 v[134:135], v[134:135], v[136:137]
	v_cmp_lt_f32_e32 vcc_lo, v134, v135
	v_dual_cndmask_b32 v122, v122, v132 :: v_dual_add_nc_u32 v125, 8, v125
	v_cndmask_b32_e32 v123, v123, v133, vcc_lo
	v_cndmask_b32_e64 v124, v124, s0, vcc_lo
	s_add_co_i32 s0, s0, 1
	s_delay_alu instid0(SALU_CYCLE_1)
	s_cmp_lg_u32 s18, s0
	s_cbranch_scc1 .LBB114_1135
.LBB114_1136:
	s_wait_dscnt 0x0
	v_cmp_eq_f32_e32 vcc_lo, 0, v122
	v_cmp_eq_f32_e64 s0, 0, v123
	s_and_b32 s0, vcc_lo, s0
	s_delay_alu instid0(SALU_CYCLE_1) | instskip(NEXT) | instid1(SALU_CYCLE_1)
	s_and_saveexec_b32 s1, s0
	s_xor_b32 s0, exec_lo, s1
; %bb.1137:
	v_cmp_ne_u32_e32 vcc_lo, 0, v128
	v_cndmask_b32_e32 v128, 55, v128, vcc_lo
; %bb.1138:
	s_and_not1_saveexec_b32 s0, s0
	s_cbranch_execz .LBB114_1144
; %bb.1139:
	v_cmp_ngt_f32_e64 s1, |v122|, |v123|
	s_and_saveexec_b32 s12, s1
	s_delay_alu instid0(SALU_CYCLE_1)
	s_xor_b32 s1, exec_lo, s12
	s_cbranch_execz .LBB114_1141
; %bb.1140:
	v_div_scale_f32 v125, null, v123, v123, v122
	v_div_scale_f32 v133, vcc_lo, v122, v123, v122
	s_delay_alu instid0(VALU_DEP_2) | instskip(SKIP_1) | instid1(TRANS32_DEP_1)
	v_rcp_f32_e32 v131, v125
	v_nop
	v_fma_f32 v132, -v125, v131, 1.0
	s_delay_alu instid0(VALU_DEP_1) | instskip(NEXT) | instid1(VALU_DEP_1)
	v_fmac_f32_e32 v131, v132, v131
	v_mul_f32_e32 v132, v133, v131
	s_delay_alu instid0(VALU_DEP_1) | instskip(NEXT) | instid1(VALU_DEP_1)
	v_fma_f32 v134, -v125, v132, v133
	v_fmac_f32_e32 v132, v134, v131
	s_delay_alu instid0(VALU_DEP_1) | instskip(NEXT) | instid1(VALU_DEP_1)
	v_fma_f32 v125, -v125, v132, v133
	v_div_fmas_f32 v125, v125, v131, v132
	s_delay_alu instid0(VALU_DEP_1) | instskip(NEXT) | instid1(VALU_DEP_1)
	v_div_fixup_f32 v125, v125, v123, v122
	v_fmac_f32_e32 v123, v122, v125
	s_delay_alu instid0(VALU_DEP_1) | instskip(SKIP_1) | instid1(VALU_DEP_2)
	v_div_scale_f32 v122, null, v123, v123, 1.0
	v_div_scale_f32 v133, vcc_lo, 1.0, v123, 1.0
	v_rcp_f32_e32 v131, v122
	v_nop
	s_delay_alu instid0(TRANS32_DEP_1) | instskip(NEXT) | instid1(VALU_DEP_1)
	v_fma_f32 v132, -v122, v131, 1.0
	v_fmac_f32_e32 v131, v132, v131
	s_delay_alu instid0(VALU_DEP_1) | instskip(NEXT) | instid1(VALU_DEP_1)
	v_mul_f32_e32 v132, v133, v131
	v_fma_f32 v134, -v122, v132, v133
	s_delay_alu instid0(VALU_DEP_1) | instskip(NEXT) | instid1(VALU_DEP_1)
	v_fmac_f32_e32 v132, v134, v131
	v_fma_f32 v122, -v122, v132, v133
	s_delay_alu instid0(VALU_DEP_1) | instskip(NEXT) | instid1(VALU_DEP_1)
	v_div_fmas_f32 v122, v122, v131, v132
	v_div_fixup_f32 v123, v122, v123, 1.0
	s_delay_alu instid0(VALU_DEP_1)
	v_mul_f32_e32 v122, v125, v123
	v_xor_b32_e32 v123, 0x80000000, v123
.LBB114_1141:
	s_and_not1_saveexec_b32 s1, s1
	s_cbranch_execz .LBB114_1143
; %bb.1142:
	s_delay_alu instid0(VALU_DEP_1) | instskip(SKIP_1) | instid1(VALU_DEP_2)
	v_div_scale_f32 v125, null, v122, v122, v123
	v_div_scale_f32 v133, vcc_lo, v123, v122, v123
	v_rcp_f32_e32 v131, v125
	v_nop
	s_delay_alu instid0(TRANS32_DEP_1) | instskip(NEXT) | instid1(VALU_DEP_1)
	v_fma_f32 v132, -v125, v131, 1.0
	v_fmac_f32_e32 v131, v132, v131
	s_delay_alu instid0(VALU_DEP_1) | instskip(NEXT) | instid1(VALU_DEP_1)
	v_mul_f32_e32 v132, v133, v131
	v_fma_f32 v134, -v125, v132, v133
	s_delay_alu instid0(VALU_DEP_1) | instskip(NEXT) | instid1(VALU_DEP_1)
	v_fmac_f32_e32 v132, v134, v131
	v_fma_f32 v125, -v125, v132, v133
	s_delay_alu instid0(VALU_DEP_1) | instskip(NEXT) | instid1(VALU_DEP_1)
	v_div_fmas_f32 v125, v125, v131, v132
	v_div_fixup_f32 v125, v125, v122, v123
	s_delay_alu instid0(VALU_DEP_1) | instskip(NEXT) | instid1(VALU_DEP_1)
	v_fmac_f32_e32 v122, v123, v125
	v_div_scale_f32 v123, null, v122, v122, 1.0
	s_delay_alu instid0(VALU_DEP_1) | instskip(SKIP_1) | instid1(TRANS32_DEP_1)
	v_rcp_f32_e32 v131, v123
	v_nop
	v_fma_f32 v132, -v123, v131, 1.0
	s_delay_alu instid0(VALU_DEP_1) | instskip(SKIP_1) | instid1(VALU_DEP_1)
	v_fmac_f32_e32 v131, v132, v131
	v_div_scale_f32 v132, vcc_lo, 1.0, v122, 1.0
	v_mul_f32_e32 v133, v132, v131
	s_delay_alu instid0(VALU_DEP_1) | instskip(NEXT) | instid1(VALU_DEP_1)
	v_fma_f32 v134, -v123, v133, v132
	v_fmac_f32_e32 v133, v134, v131
	s_delay_alu instid0(VALU_DEP_1) | instskip(NEXT) | instid1(VALU_DEP_1)
	v_fma_f32 v123, -v123, v133, v132
	v_div_fmas_f32 v123, v123, v131, v133
	s_delay_alu instid0(VALU_DEP_1) | instskip(NEXT) | instid1(VALU_DEP_1)
	v_div_fixup_f32 v122, v123, v122, 1.0
	v_mul_f32_e64 v123, v125, -v122
.LBB114_1143:
	s_or_b32 exec_lo, exec_lo, s1
.LBB114_1144:
	s_delay_alu instid0(SALU_CYCLE_1) | instskip(NEXT) | instid1(SALU_CYCLE_1)
	s_or_b32 exec_lo, exec_lo, s0
	s_mov_b32 s0, exec_lo
	v_cmpx_ne_u32_e64 v130, v124
	s_xor_b32 s0, exec_lo, s0
	s_cbranch_execz .LBB114_1150
; %bb.1145:
	s_mov_b32 s1, exec_lo
	v_cmpx_eq_u32_e32 54, v130
	s_cbranch_execz .LBB114_1149
; %bb.1146:
	v_cmp_ne_u32_e32 vcc_lo, 54, v124
	s_xor_b32 s12, s16, -1
	s_delay_alu instid0(SALU_CYCLE_1) | instskip(NEXT) | instid1(SALU_CYCLE_1)
	s_and_b32 s13, s12, vcc_lo
	s_and_saveexec_b32 s12, s13
	s_cbranch_execz .LBB114_1148
; %bb.1147:
	v_ashrrev_i32_e32 v125, 31, v124
	s_delay_alu instid0(VALU_DEP_1)
	v_lshl_add_u64 v[130:131], v[124:125], 2, v[4:5]
	s_clause 0x1
	global_load_b32 v125, v[130:131], off
	global_load_b32 v129, v[4:5], off offset:216
	s_wait_loadcnt 0x1
	global_store_b32 v[4:5], v125, off offset:216
	s_wait_loadcnt 0x0
	global_store_b32 v[130:131], v129, off
.LBB114_1148:
	s_wait_xcnt 0x0
	s_or_b32 exec_lo, exec_lo, s12
	v_dual_mov_b32 v130, v124 :: v_dual_mov_b32 v129, v124
.LBB114_1149:
	s_or_b32 exec_lo, exec_lo, s1
.LBB114_1150:
	s_and_not1_saveexec_b32 s0, s0
	s_cbranch_execz .LBB114_1152
; %bb.1151:
	v_mov_b32_e32 v130, 54
	ds_store_2addr_b64 v126, v[28:29], v[14:15] offset0:55 offset1:56
	ds_store_b64 v126, v[120:121] offset:456
.LBB114_1152:
	s_or_b32 exec_lo, exec_lo, s0
	s_delay_alu instid0(SALU_CYCLE_1)
	s_mov_b32 s0, exec_lo
	s_wait_storecnt_dscnt 0x0
	s_barrier_signal -1
	s_barrier_wait -1
	v_cmpx_lt_i32_e32 54, v130
	s_cbranch_execz .LBB114_1154
; %bb.1153:
	ds_load_2addr_b64 v[132:135], v126 offset0:55 offset1:56
	ds_load_b64 v[124:125], v126 offset:456
	v_pk_mul_f32 v[136:137], v[122:123], v[42:43] op_sel:[1,1] op_sel_hi:[0,1]
	s_delay_alu instid0(VALU_DEP_1) | instskip(SKIP_2) | instid1(VALU_DEP_2)
	v_pk_fma_f32 v[138:139], v[122:123], v[42:43], v[136:137] op_sel_hi:[1,0,1]
	v_pk_fma_f32 v[42:43], v[122:123], v[42:43], v[136:137] op_sel_hi:[1,0,1] neg_lo:[0,0,1] neg_hi:[0,0,1]
	s_wait_dscnt 0x1
	v_pk_mul_f32 v[122:123], v[132:133], v[138:139] op_sel:[0,1]
	v_pk_mul_f32 v[136:137], v[134:135], v[138:139] op_sel:[0,1]
	s_wait_dscnt 0x0
	v_pk_mul_f32 v[140:141], v[124:125], v[138:139] op_sel:[1,1] op_sel_hi:[0,1]
	s_delay_alu instid0(VALU_DEP_3) | instskip(SKIP_2) | instid1(VALU_DEP_4)
	v_pk_fma_f32 v[142:143], v[132:133], v[42:43], v[122:123] op_sel:[0,0,1] op_sel_hi:[1,1,0] neg_lo:[0,0,1] neg_hi:[0,0,1]
	v_pk_fma_f32 v[122:123], v[132:133], v[42:43], v[122:123] op_sel:[0,0,1] op_sel_hi:[1,0,0]
	v_pk_fma_f32 v[132:133], v[134:135], v[42:43], v[136:137] op_sel:[0,0,1] op_sel_hi:[1,0,0]
	v_pk_fma_f32 v[144:145], v[124:125], v[42:43], v[140:141] op_sel_hi:[1,0,1]
	v_pk_fma_f32 v[134:135], v[134:135], v[42:43], v[136:137] op_sel:[0,0,1] op_sel_hi:[1,1,0] neg_lo:[0,0,1] neg_hi:[0,0,1]
	v_pk_fma_f32 v[124:125], v[124:125], v[42:43], v[140:141] neg_lo:[0,0,1] neg_hi:[0,0,1]
	s_delay_alu instid0(VALU_DEP_4) | instskip(NEXT) | instid1(VALU_DEP_4)
	v_dual_mov_b32 v143, v123 :: v_dual_mov_b32 v135, v133
	v_dual_mov_b32 v125, v145 :: v_dual_mov_b32 v43, v139
	s_delay_alu instid0(VALU_DEP_2) | instskip(NEXT) | instid1(VALU_DEP_3)
	v_pk_add_f32 v[28:29], v[28:29], v[142:143] neg_lo:[0,1] neg_hi:[0,1]
	v_pk_add_f32 v[14:15], v[14:15], v[134:135] neg_lo:[0,1] neg_hi:[0,1]
	s_delay_alu instid0(VALU_DEP_3)
	v_pk_add_f32 v[120:121], v[120:121], v[124:125] neg_lo:[0,1] neg_hi:[0,1]
.LBB114_1154:
	s_or_b32 exec_lo, exec_lo, s0
	v_lshl_add_u32 v122, v130, 3, v126
	s_barrier_signal -1
	s_barrier_wait -1
	ds_store_b64 v122, v[28:29]
	s_wait_dscnt 0x0
	s_barrier_signal -1
	s_barrier_wait -1
	ds_load_b64 v[122:123], v126 offset:440
	v_mov_b32_e32 v124, 55
	s_cmp_lt_i32 s18, 57
	s_cbranch_scc1 .LBB114_1157
; %bb.1155:
	v_add3_u32 v125, v127, 0, 0x1c0
	v_mov_b32_e32 v124, 55
	s_mov_b32 s0, 56
.LBB114_1156:                           ; =>This Inner Loop Header: Depth=1
	ds_load_b64 v[132:133], v125
	s_wait_dscnt 0x1
	v_cmp_gt_f32_e32 vcc_lo, 0, v122
	v_cndmask_b32_e64 v134, v122, -v122, vcc_lo
	v_cmp_gt_f32_e32 vcc_lo, 0, v123
	v_cndmask_b32_e64 v136, v123, -v123, vcc_lo
	s_wait_dscnt 0x0
	v_cmp_gt_f32_e32 vcc_lo, 0, v132
	v_cndmask_b32_e64 v135, v132, -v132, vcc_lo
	v_cmp_gt_f32_e32 vcc_lo, 0, v133
	v_cndmask_b32_e64 v137, v133, -v133, vcc_lo
	s_delay_alu instid0(VALU_DEP_1) | instskip(NEXT) | instid1(VALU_DEP_1)
	v_pk_add_f32 v[134:135], v[134:135], v[136:137]
	v_cmp_lt_f32_e32 vcc_lo, v134, v135
	v_dual_cndmask_b32 v122, v122, v132 :: v_dual_add_nc_u32 v125, 8, v125
	v_cndmask_b32_e32 v123, v123, v133, vcc_lo
	v_cndmask_b32_e64 v124, v124, s0, vcc_lo
	s_add_co_i32 s0, s0, 1
	s_delay_alu instid0(SALU_CYCLE_1)
	s_cmp_lg_u32 s18, s0
	s_cbranch_scc1 .LBB114_1156
.LBB114_1157:
	s_wait_dscnt 0x0
	v_cmp_eq_f32_e32 vcc_lo, 0, v122
	v_cmp_eq_f32_e64 s0, 0, v123
	s_and_b32 s0, vcc_lo, s0
	s_delay_alu instid0(SALU_CYCLE_1) | instskip(NEXT) | instid1(SALU_CYCLE_1)
	s_and_saveexec_b32 s1, s0
	s_xor_b32 s0, exec_lo, s1
; %bb.1158:
	v_cmp_ne_u32_e32 vcc_lo, 0, v128
	v_cndmask_b32_e32 v128, 56, v128, vcc_lo
; %bb.1159:
	s_and_not1_saveexec_b32 s0, s0
	s_cbranch_execz .LBB114_1165
; %bb.1160:
	v_cmp_ngt_f32_e64 s1, |v122|, |v123|
	s_and_saveexec_b32 s12, s1
	s_delay_alu instid0(SALU_CYCLE_1)
	s_xor_b32 s1, exec_lo, s12
	s_cbranch_execz .LBB114_1162
; %bb.1161:
	v_div_scale_f32 v125, null, v123, v123, v122
	v_div_scale_f32 v133, vcc_lo, v122, v123, v122
	s_delay_alu instid0(VALU_DEP_2) | instskip(SKIP_1) | instid1(TRANS32_DEP_1)
	v_rcp_f32_e32 v131, v125
	v_nop
	v_fma_f32 v132, -v125, v131, 1.0
	s_delay_alu instid0(VALU_DEP_1) | instskip(NEXT) | instid1(VALU_DEP_1)
	v_fmac_f32_e32 v131, v132, v131
	v_mul_f32_e32 v132, v133, v131
	s_delay_alu instid0(VALU_DEP_1) | instskip(NEXT) | instid1(VALU_DEP_1)
	v_fma_f32 v134, -v125, v132, v133
	v_fmac_f32_e32 v132, v134, v131
	s_delay_alu instid0(VALU_DEP_1) | instskip(NEXT) | instid1(VALU_DEP_1)
	v_fma_f32 v125, -v125, v132, v133
	v_div_fmas_f32 v125, v125, v131, v132
	s_delay_alu instid0(VALU_DEP_1) | instskip(NEXT) | instid1(VALU_DEP_1)
	v_div_fixup_f32 v125, v125, v123, v122
	v_fmac_f32_e32 v123, v122, v125
	s_delay_alu instid0(VALU_DEP_1) | instskip(SKIP_1) | instid1(VALU_DEP_2)
	v_div_scale_f32 v122, null, v123, v123, 1.0
	v_div_scale_f32 v133, vcc_lo, 1.0, v123, 1.0
	v_rcp_f32_e32 v131, v122
	v_nop
	s_delay_alu instid0(TRANS32_DEP_1) | instskip(NEXT) | instid1(VALU_DEP_1)
	v_fma_f32 v132, -v122, v131, 1.0
	v_fmac_f32_e32 v131, v132, v131
	s_delay_alu instid0(VALU_DEP_1) | instskip(NEXT) | instid1(VALU_DEP_1)
	v_mul_f32_e32 v132, v133, v131
	v_fma_f32 v134, -v122, v132, v133
	s_delay_alu instid0(VALU_DEP_1) | instskip(NEXT) | instid1(VALU_DEP_1)
	v_fmac_f32_e32 v132, v134, v131
	v_fma_f32 v122, -v122, v132, v133
	s_delay_alu instid0(VALU_DEP_1) | instskip(NEXT) | instid1(VALU_DEP_1)
	v_div_fmas_f32 v122, v122, v131, v132
	v_div_fixup_f32 v123, v122, v123, 1.0
	s_delay_alu instid0(VALU_DEP_1)
	v_mul_f32_e32 v122, v125, v123
	v_xor_b32_e32 v123, 0x80000000, v123
.LBB114_1162:
	s_and_not1_saveexec_b32 s1, s1
	s_cbranch_execz .LBB114_1164
; %bb.1163:
	s_delay_alu instid0(VALU_DEP_1) | instskip(SKIP_1) | instid1(VALU_DEP_2)
	v_div_scale_f32 v125, null, v122, v122, v123
	v_div_scale_f32 v133, vcc_lo, v123, v122, v123
	v_rcp_f32_e32 v131, v125
	v_nop
	s_delay_alu instid0(TRANS32_DEP_1) | instskip(NEXT) | instid1(VALU_DEP_1)
	v_fma_f32 v132, -v125, v131, 1.0
	v_fmac_f32_e32 v131, v132, v131
	s_delay_alu instid0(VALU_DEP_1) | instskip(NEXT) | instid1(VALU_DEP_1)
	v_mul_f32_e32 v132, v133, v131
	v_fma_f32 v134, -v125, v132, v133
	s_delay_alu instid0(VALU_DEP_1) | instskip(NEXT) | instid1(VALU_DEP_1)
	v_fmac_f32_e32 v132, v134, v131
	v_fma_f32 v125, -v125, v132, v133
	s_delay_alu instid0(VALU_DEP_1) | instskip(NEXT) | instid1(VALU_DEP_1)
	v_div_fmas_f32 v125, v125, v131, v132
	v_div_fixup_f32 v125, v125, v122, v123
	s_delay_alu instid0(VALU_DEP_1) | instskip(NEXT) | instid1(VALU_DEP_1)
	v_fmac_f32_e32 v122, v123, v125
	v_div_scale_f32 v123, null, v122, v122, 1.0
	s_delay_alu instid0(VALU_DEP_1) | instskip(SKIP_1) | instid1(TRANS32_DEP_1)
	v_rcp_f32_e32 v131, v123
	v_nop
	v_fma_f32 v132, -v123, v131, 1.0
	s_delay_alu instid0(VALU_DEP_1) | instskip(SKIP_1) | instid1(VALU_DEP_1)
	v_fmac_f32_e32 v131, v132, v131
	v_div_scale_f32 v132, vcc_lo, 1.0, v122, 1.0
	v_mul_f32_e32 v133, v132, v131
	s_delay_alu instid0(VALU_DEP_1) | instskip(NEXT) | instid1(VALU_DEP_1)
	v_fma_f32 v134, -v123, v133, v132
	v_fmac_f32_e32 v133, v134, v131
	s_delay_alu instid0(VALU_DEP_1) | instskip(NEXT) | instid1(VALU_DEP_1)
	v_fma_f32 v123, -v123, v133, v132
	v_div_fmas_f32 v123, v123, v131, v133
	s_delay_alu instid0(VALU_DEP_1) | instskip(NEXT) | instid1(VALU_DEP_1)
	v_div_fixup_f32 v122, v123, v122, 1.0
	v_mul_f32_e64 v123, v125, -v122
.LBB114_1164:
	s_or_b32 exec_lo, exec_lo, s1
.LBB114_1165:
	s_delay_alu instid0(SALU_CYCLE_1) | instskip(NEXT) | instid1(SALU_CYCLE_1)
	s_or_b32 exec_lo, exec_lo, s0
	s_mov_b32 s0, exec_lo
	v_cmpx_ne_u32_e64 v130, v124
	s_xor_b32 s0, exec_lo, s0
	s_cbranch_execz .LBB114_1171
; %bb.1166:
	s_mov_b32 s1, exec_lo
	v_cmpx_eq_u32_e32 55, v130
	s_cbranch_execz .LBB114_1170
; %bb.1167:
	v_cmp_ne_u32_e32 vcc_lo, 55, v124
	s_xor_b32 s12, s16, -1
	s_delay_alu instid0(SALU_CYCLE_1) | instskip(NEXT) | instid1(SALU_CYCLE_1)
	s_and_b32 s13, s12, vcc_lo
	s_and_saveexec_b32 s12, s13
	s_cbranch_execz .LBB114_1169
; %bb.1168:
	v_ashrrev_i32_e32 v125, 31, v124
	s_delay_alu instid0(VALU_DEP_1)
	v_lshl_add_u64 v[130:131], v[124:125], 2, v[4:5]
	s_clause 0x1
	global_load_b32 v125, v[130:131], off
	global_load_b32 v129, v[4:5], off offset:220
	s_wait_loadcnt 0x1
	global_store_b32 v[4:5], v125, off offset:220
	s_wait_loadcnt 0x0
	global_store_b32 v[130:131], v129, off
.LBB114_1169:
	s_wait_xcnt 0x0
	s_or_b32 exec_lo, exec_lo, s12
	v_dual_mov_b32 v130, v124 :: v_dual_mov_b32 v129, v124
.LBB114_1170:
	s_or_b32 exec_lo, exec_lo, s1
.LBB114_1171:
	s_and_not1_saveexec_b32 s0, s0
; %bb.1172:
	v_dual_mov_b32 v124, v14 :: v_dual_mov_b32 v125, v15
	v_mov_b32_e32 v130, 55
	ds_store_2addr_b64 v126, v[124:125], v[120:121] offset0:56 offset1:57
; %bb.1173:
	s_or_b32 exec_lo, exec_lo, s0
	s_delay_alu instid0(SALU_CYCLE_1)
	s_mov_b32 s0, exec_lo
	s_wait_storecnt_dscnt 0x0
	s_barrier_signal -1
	s_barrier_wait -1
	v_cmpx_lt_i32_e32 55, v130
	s_cbranch_execz .LBB114_1175
; %bb.1174:
	ds_load_2addr_b64 v[132:135], v126 offset0:56 offset1:57
	v_pk_mul_f32 v[124:125], v[122:123], v[28:29] op_sel:[1,1] op_sel_hi:[0,1]
	s_delay_alu instid0(VALU_DEP_1) | instskip(SKIP_3) | instid1(VALU_DEP_3)
	v_pk_fma_f32 v[136:137], v[122:123], v[28:29], v[124:125] op_sel_hi:[1,0,1]
	v_pk_fma_f32 v[28:29], v[122:123], v[28:29], v[124:125] op_sel_hi:[1,0,1] neg_lo:[0,0,1] neg_hi:[0,0,1]
	s_wait_dscnt 0x0
	v_dual_mov_b32 v138, v135 :: v_dual_mov_b32 v139, v134
	v_pk_mul_f32 v[122:123], v[132:133], v[136:137] op_sel:[0,1]
	s_delay_alu instid0(VALU_DEP_2) | instskip(NEXT) | instid1(VALU_DEP_2)
	v_pk_mul_f32 v[124:125], v[138:139], v[136:137] op_sel:[0,1]
	v_pk_fma_f32 v[138:139], v[132:133], v[28:29], v[122:123] op_sel:[0,0,1] op_sel_hi:[1,0,0]
	v_pk_fma_f32 v[122:123], v[132:133], v[28:29], v[122:123] op_sel:[0,0,1] op_sel_hi:[1,1,0] neg_lo:[0,0,1] neg_hi:[0,0,1]
	s_delay_alu instid0(VALU_DEP_3) | instskip(SKIP_1) | instid1(VALU_DEP_4)
	v_pk_fma_f32 v[140:141], v[134:135], v[28:29], v[124:125] op_sel_hi:[1,0,1]
	v_pk_fma_f32 v[124:125], v[134:135], v[28:29], v[124:125] neg_lo:[0,0,1] neg_hi:[0,0,1]
	v_dual_mov_b32 v123, v139 :: v_dual_mov_b32 v29, v137
	s_delay_alu instid0(VALU_DEP_3) | instskip(NEXT) | instid1(VALU_DEP_2)
	v_mov_b32_e32 v125, v141
	v_pk_add_f32 v[14:15], v[14:15], v[122:123] neg_lo:[0,1] neg_hi:[0,1]
	s_delay_alu instid0(VALU_DEP_2)
	v_pk_add_f32 v[120:121], v[120:121], v[124:125] neg_lo:[0,1] neg_hi:[0,1]
.LBB114_1175:
	s_or_b32 exec_lo, exec_lo, s0
	v_lshl_add_u32 v122, v130, 3, v126
	s_barrier_signal -1
	s_barrier_wait -1
	ds_store_b64 v122, v[14:15]
	s_wait_dscnt 0x0
	s_barrier_signal -1
	s_barrier_wait -1
	ds_load_b64 v[122:123], v126 offset:448
	v_mov_b32_e32 v124, 56
	s_cmp_lt_i32 s18, 58
	s_cbranch_scc1 .LBB114_1178
; %bb.1176:
	v_add3_u32 v125, v127, 0, 0x1c8
	v_mov_b32_e32 v124, 56
	s_mov_b32 s0, 57
.LBB114_1177:                           ; =>This Inner Loop Header: Depth=1
	ds_load_b64 v[132:133], v125
	s_wait_dscnt 0x1
	v_cmp_gt_f32_e32 vcc_lo, 0, v122
	v_cndmask_b32_e64 v134, v122, -v122, vcc_lo
	v_cmp_gt_f32_e32 vcc_lo, 0, v123
	v_cndmask_b32_e64 v136, v123, -v123, vcc_lo
	s_wait_dscnt 0x0
	v_cmp_gt_f32_e32 vcc_lo, 0, v132
	v_cndmask_b32_e64 v135, v132, -v132, vcc_lo
	v_cmp_gt_f32_e32 vcc_lo, 0, v133
	v_cndmask_b32_e64 v137, v133, -v133, vcc_lo
	s_delay_alu instid0(VALU_DEP_1) | instskip(NEXT) | instid1(VALU_DEP_1)
	v_pk_add_f32 v[134:135], v[134:135], v[136:137]
	v_cmp_lt_f32_e32 vcc_lo, v134, v135
	v_dual_cndmask_b32 v122, v122, v132 :: v_dual_add_nc_u32 v125, 8, v125
	v_cndmask_b32_e32 v123, v123, v133, vcc_lo
	v_cndmask_b32_e64 v124, v124, s0, vcc_lo
	s_add_co_i32 s0, s0, 1
	s_delay_alu instid0(SALU_CYCLE_1)
	s_cmp_lg_u32 s18, s0
	s_cbranch_scc1 .LBB114_1177
.LBB114_1178:
	s_wait_dscnt 0x0
	v_cmp_eq_f32_e32 vcc_lo, 0, v122
	v_cmp_eq_f32_e64 s0, 0, v123
	s_and_b32 s0, vcc_lo, s0
	s_delay_alu instid0(SALU_CYCLE_1) | instskip(NEXT) | instid1(SALU_CYCLE_1)
	s_and_saveexec_b32 s1, s0
	s_xor_b32 s0, exec_lo, s1
; %bb.1179:
	v_cmp_ne_u32_e32 vcc_lo, 0, v128
	v_cndmask_b32_e32 v128, 57, v128, vcc_lo
; %bb.1180:
	s_and_not1_saveexec_b32 s0, s0
	s_cbranch_execz .LBB114_1186
; %bb.1181:
	v_cmp_ngt_f32_e64 s1, |v122|, |v123|
	s_and_saveexec_b32 s12, s1
	s_delay_alu instid0(SALU_CYCLE_1)
	s_xor_b32 s1, exec_lo, s12
	s_cbranch_execz .LBB114_1183
; %bb.1182:
	v_div_scale_f32 v125, null, v123, v123, v122
	v_div_scale_f32 v133, vcc_lo, v122, v123, v122
	s_delay_alu instid0(VALU_DEP_2) | instskip(SKIP_1) | instid1(TRANS32_DEP_1)
	v_rcp_f32_e32 v131, v125
	v_nop
	v_fma_f32 v132, -v125, v131, 1.0
	s_delay_alu instid0(VALU_DEP_1) | instskip(NEXT) | instid1(VALU_DEP_1)
	v_fmac_f32_e32 v131, v132, v131
	v_mul_f32_e32 v132, v133, v131
	s_delay_alu instid0(VALU_DEP_1) | instskip(NEXT) | instid1(VALU_DEP_1)
	v_fma_f32 v134, -v125, v132, v133
	v_fmac_f32_e32 v132, v134, v131
	s_delay_alu instid0(VALU_DEP_1) | instskip(NEXT) | instid1(VALU_DEP_1)
	v_fma_f32 v125, -v125, v132, v133
	v_div_fmas_f32 v125, v125, v131, v132
	s_delay_alu instid0(VALU_DEP_1) | instskip(NEXT) | instid1(VALU_DEP_1)
	v_div_fixup_f32 v125, v125, v123, v122
	v_fmac_f32_e32 v123, v122, v125
	s_delay_alu instid0(VALU_DEP_1) | instskip(SKIP_1) | instid1(VALU_DEP_2)
	v_div_scale_f32 v122, null, v123, v123, 1.0
	v_div_scale_f32 v133, vcc_lo, 1.0, v123, 1.0
	v_rcp_f32_e32 v131, v122
	v_nop
	s_delay_alu instid0(TRANS32_DEP_1) | instskip(NEXT) | instid1(VALU_DEP_1)
	v_fma_f32 v132, -v122, v131, 1.0
	v_fmac_f32_e32 v131, v132, v131
	s_delay_alu instid0(VALU_DEP_1) | instskip(NEXT) | instid1(VALU_DEP_1)
	v_mul_f32_e32 v132, v133, v131
	v_fma_f32 v134, -v122, v132, v133
	s_delay_alu instid0(VALU_DEP_1) | instskip(NEXT) | instid1(VALU_DEP_1)
	v_fmac_f32_e32 v132, v134, v131
	v_fma_f32 v122, -v122, v132, v133
	s_delay_alu instid0(VALU_DEP_1) | instskip(NEXT) | instid1(VALU_DEP_1)
	v_div_fmas_f32 v122, v122, v131, v132
	v_div_fixup_f32 v123, v122, v123, 1.0
	s_delay_alu instid0(VALU_DEP_1)
	v_mul_f32_e32 v122, v125, v123
	v_xor_b32_e32 v123, 0x80000000, v123
.LBB114_1183:
	s_and_not1_saveexec_b32 s1, s1
	s_cbranch_execz .LBB114_1185
; %bb.1184:
	s_delay_alu instid0(VALU_DEP_1) | instskip(SKIP_1) | instid1(VALU_DEP_2)
	v_div_scale_f32 v125, null, v122, v122, v123
	v_div_scale_f32 v133, vcc_lo, v123, v122, v123
	v_rcp_f32_e32 v131, v125
	v_nop
	s_delay_alu instid0(TRANS32_DEP_1) | instskip(NEXT) | instid1(VALU_DEP_1)
	v_fma_f32 v132, -v125, v131, 1.0
	v_fmac_f32_e32 v131, v132, v131
	s_delay_alu instid0(VALU_DEP_1) | instskip(NEXT) | instid1(VALU_DEP_1)
	v_mul_f32_e32 v132, v133, v131
	v_fma_f32 v134, -v125, v132, v133
	s_delay_alu instid0(VALU_DEP_1) | instskip(NEXT) | instid1(VALU_DEP_1)
	v_fmac_f32_e32 v132, v134, v131
	v_fma_f32 v125, -v125, v132, v133
	s_delay_alu instid0(VALU_DEP_1) | instskip(NEXT) | instid1(VALU_DEP_1)
	v_div_fmas_f32 v125, v125, v131, v132
	v_div_fixup_f32 v125, v125, v122, v123
	s_delay_alu instid0(VALU_DEP_1) | instskip(NEXT) | instid1(VALU_DEP_1)
	v_fmac_f32_e32 v122, v123, v125
	v_div_scale_f32 v123, null, v122, v122, 1.0
	s_delay_alu instid0(VALU_DEP_1) | instskip(SKIP_1) | instid1(TRANS32_DEP_1)
	v_rcp_f32_e32 v131, v123
	v_nop
	v_fma_f32 v132, -v123, v131, 1.0
	s_delay_alu instid0(VALU_DEP_1) | instskip(SKIP_1) | instid1(VALU_DEP_1)
	v_fmac_f32_e32 v131, v132, v131
	v_div_scale_f32 v132, vcc_lo, 1.0, v122, 1.0
	v_mul_f32_e32 v133, v132, v131
	s_delay_alu instid0(VALU_DEP_1) | instskip(NEXT) | instid1(VALU_DEP_1)
	v_fma_f32 v134, -v123, v133, v132
	v_fmac_f32_e32 v133, v134, v131
	s_delay_alu instid0(VALU_DEP_1) | instskip(NEXT) | instid1(VALU_DEP_1)
	v_fma_f32 v123, -v123, v133, v132
	v_div_fmas_f32 v123, v123, v131, v133
	s_delay_alu instid0(VALU_DEP_1) | instskip(NEXT) | instid1(VALU_DEP_1)
	v_div_fixup_f32 v122, v123, v122, 1.0
	v_mul_f32_e64 v123, v125, -v122
.LBB114_1185:
	s_or_b32 exec_lo, exec_lo, s1
.LBB114_1186:
	s_delay_alu instid0(SALU_CYCLE_1) | instskip(NEXT) | instid1(SALU_CYCLE_1)
	s_or_b32 exec_lo, exec_lo, s0
	s_mov_b32 s0, exec_lo
	v_cmpx_ne_u32_e64 v130, v124
	s_xor_b32 s0, exec_lo, s0
	s_cbranch_execz .LBB114_1192
; %bb.1187:
	s_mov_b32 s1, exec_lo
	v_cmpx_eq_u32_e32 56, v130
	s_cbranch_execz .LBB114_1191
; %bb.1188:
	v_cmp_ne_u32_e32 vcc_lo, 56, v124
	s_xor_b32 s12, s16, -1
	s_delay_alu instid0(SALU_CYCLE_1) | instskip(NEXT) | instid1(SALU_CYCLE_1)
	s_and_b32 s13, s12, vcc_lo
	s_and_saveexec_b32 s12, s13
	s_cbranch_execz .LBB114_1190
; %bb.1189:
	v_ashrrev_i32_e32 v125, 31, v124
	s_delay_alu instid0(VALU_DEP_1)
	v_lshl_add_u64 v[130:131], v[124:125], 2, v[4:5]
	s_clause 0x1
	global_load_b32 v125, v[130:131], off
	global_load_b32 v129, v[4:5], off offset:224
	s_wait_loadcnt 0x1
	global_store_b32 v[4:5], v125, off offset:224
	s_wait_loadcnt 0x0
	global_store_b32 v[130:131], v129, off
.LBB114_1190:
	s_wait_xcnt 0x0
	s_or_b32 exec_lo, exec_lo, s12
	v_dual_mov_b32 v130, v124 :: v_dual_mov_b32 v129, v124
.LBB114_1191:
	s_or_b32 exec_lo, exec_lo, s1
.LBB114_1192:
	s_and_not1_saveexec_b32 s0, s0
; %bb.1193:
	v_mov_b32_e32 v130, 56
	ds_store_b64 v126, v[120:121] offset:456
; %bb.1194:
	s_or_b32 exec_lo, exec_lo, s0
	s_delay_alu instid0(SALU_CYCLE_1)
	s_mov_b32 s0, exec_lo
	s_wait_storecnt_dscnt 0x0
	s_barrier_signal -1
	s_barrier_wait -1
	v_cmpx_lt_i32_e32 56, v130
	s_cbranch_execz .LBB114_1196
; %bb.1195:
	ds_load_b64 v[124:125], v126 offset:456
	v_pk_mul_f32 v[132:133], v[122:123], v[14:15] op_sel:[1,1] op_sel_hi:[0,1]
	s_delay_alu instid0(VALU_DEP_1) | instskip(SKIP_2) | instid1(VALU_DEP_2)
	v_pk_fma_f32 v[134:135], v[122:123], v[14:15], v[132:133] op_sel_hi:[1,0,1]
	v_pk_fma_f32 v[14:15], v[122:123], v[14:15], v[132:133] op_sel_hi:[1,0,1] neg_lo:[0,0,1] neg_hi:[0,0,1]
	s_wait_dscnt 0x0
	v_pk_mul_f32 v[122:123], v[124:125], v[134:135] op_sel:[1,1] op_sel_hi:[0,1]
	s_delay_alu instid0(VALU_DEP_1) | instskip(SKIP_1) | instid1(VALU_DEP_2)
	v_pk_fma_f32 v[132:133], v[124:125], v[14:15], v[122:123] op_sel_hi:[1,0,1]
	v_pk_fma_f32 v[122:123], v[124:125], v[14:15], v[122:123] neg_lo:[0,0,1] neg_hi:[0,0,1]
	v_dual_mov_b32 v15, v135 :: v_dual_mov_b32 v123, v133
	s_delay_alu instid0(VALU_DEP_1)
	v_pk_add_f32 v[120:121], v[120:121], v[122:123] neg_lo:[0,1] neg_hi:[0,1]
.LBB114_1196:
	s_or_b32 exec_lo, exec_lo, s0
	v_lshl_add_u32 v122, v130, 3, v126
	s_barrier_signal -1
	s_barrier_wait -1
	ds_store_b64 v122, v[120:121]
	s_wait_dscnt 0x0
	s_barrier_signal -1
	s_barrier_wait -1
	ds_load_b64 v[122:123], v126 offset:456
	v_mov_b32_e32 v124, 57
	s_cmp_lt_i32 s18, 59
	s_cbranch_scc1 .LBB114_1199
; %bb.1197:
	v_add3_u32 v125, v127, 0, 0x1d0
	v_mov_b32_e32 v124, 57
	s_mov_b32 s0, 58
.LBB114_1198:                           ; =>This Inner Loop Header: Depth=1
	ds_load_b64 v[126:127], v125
	s_wait_dscnt 0x1
	v_cmp_gt_f32_e32 vcc_lo, 0, v122
	v_cndmask_b32_e64 v132, v122, -v122, vcc_lo
	v_cmp_gt_f32_e32 vcc_lo, 0, v123
	v_cndmask_b32_e64 v134, v123, -v123, vcc_lo
	s_wait_dscnt 0x0
	v_cmp_gt_f32_e32 vcc_lo, 0, v126
	v_cndmask_b32_e64 v133, v126, -v126, vcc_lo
	v_cmp_gt_f32_e32 vcc_lo, 0, v127
	v_cndmask_b32_e64 v135, v127, -v127, vcc_lo
	s_delay_alu instid0(VALU_DEP_1) | instskip(NEXT) | instid1(VALU_DEP_1)
	v_pk_add_f32 v[132:133], v[132:133], v[134:135]
	v_cmp_lt_f32_e32 vcc_lo, v132, v133
	v_dual_add_nc_u32 v125, 8, v125 :: v_dual_cndmask_b32 v123, v123, v127, vcc_lo
	v_cndmask_b32_e32 v122, v122, v126, vcc_lo
	v_cndmask_b32_e64 v124, v124, s0, vcc_lo
	s_add_co_i32 s0, s0, 1
	s_delay_alu instid0(SALU_CYCLE_1)
	s_cmp_lg_u32 s18, s0
	s_cbranch_scc1 .LBB114_1198
.LBB114_1199:
	s_wait_dscnt 0x0
	v_cmp_eq_f32_e32 vcc_lo, 0, v122
	v_cmp_eq_f32_e64 s0, 0, v123
	s_and_b32 s0, vcc_lo, s0
	s_delay_alu instid0(SALU_CYCLE_1) | instskip(NEXT) | instid1(SALU_CYCLE_1)
	s_and_saveexec_b32 s1, s0
	s_xor_b32 s0, exec_lo, s1
; %bb.1200:
	v_cmp_ne_u32_e32 vcc_lo, 0, v128
	v_cndmask_b32_e32 v128, 58, v128, vcc_lo
; %bb.1201:
	s_and_not1_saveexec_b32 s0, s0
	s_cbranch_execz .LBB114_1207
; %bb.1202:
	v_cmp_ngt_f32_e64 s1, |v122|, |v123|
	s_and_saveexec_b32 s12, s1
	s_delay_alu instid0(SALU_CYCLE_1)
	s_xor_b32 s1, exec_lo, s12
	s_cbranch_execz .LBB114_1204
; %bb.1203:
	v_div_scale_f32 v125, null, v123, v123, v122
	v_div_scale_f32 v131, vcc_lo, v122, v123, v122
	s_delay_alu instid0(VALU_DEP_2) | instskip(SKIP_1) | instid1(TRANS32_DEP_1)
	v_rcp_f32_e32 v126, v125
	v_nop
	v_fma_f32 v127, -v125, v126, 1.0
	s_delay_alu instid0(VALU_DEP_1) | instskip(NEXT) | instid1(VALU_DEP_1)
	v_fmac_f32_e32 v126, v127, v126
	v_mul_f32_e32 v127, v131, v126
	s_delay_alu instid0(VALU_DEP_1) | instskip(NEXT) | instid1(VALU_DEP_1)
	v_fma_f32 v132, -v125, v127, v131
	v_fmac_f32_e32 v127, v132, v126
	s_delay_alu instid0(VALU_DEP_1) | instskip(NEXT) | instid1(VALU_DEP_1)
	v_fma_f32 v125, -v125, v127, v131
	v_div_fmas_f32 v125, v125, v126, v127
	s_delay_alu instid0(VALU_DEP_1) | instskip(NEXT) | instid1(VALU_DEP_1)
	v_div_fixup_f32 v125, v125, v123, v122
	v_fmac_f32_e32 v123, v122, v125
	s_delay_alu instid0(VALU_DEP_1) | instskip(SKIP_1) | instid1(VALU_DEP_2)
	v_div_scale_f32 v122, null, v123, v123, 1.0
	v_div_scale_f32 v131, vcc_lo, 1.0, v123, 1.0
	v_rcp_f32_e32 v126, v122
	v_nop
	s_delay_alu instid0(TRANS32_DEP_1) | instskip(NEXT) | instid1(VALU_DEP_1)
	v_fma_f32 v127, -v122, v126, 1.0
	v_fmac_f32_e32 v126, v127, v126
	s_delay_alu instid0(VALU_DEP_1) | instskip(NEXT) | instid1(VALU_DEP_1)
	v_mul_f32_e32 v127, v131, v126
	v_fma_f32 v132, -v122, v127, v131
	s_delay_alu instid0(VALU_DEP_1) | instskip(NEXT) | instid1(VALU_DEP_1)
	v_fmac_f32_e32 v127, v132, v126
	v_fma_f32 v122, -v122, v127, v131
	s_delay_alu instid0(VALU_DEP_1) | instskip(NEXT) | instid1(VALU_DEP_1)
	v_div_fmas_f32 v122, v122, v126, v127
	v_div_fixup_f32 v123, v122, v123, 1.0
	s_delay_alu instid0(VALU_DEP_1)
	v_mul_f32_e32 v122, v125, v123
	v_xor_b32_e32 v123, 0x80000000, v123
.LBB114_1204:
	s_and_not1_saveexec_b32 s1, s1
	s_cbranch_execz .LBB114_1206
; %bb.1205:
	s_delay_alu instid0(VALU_DEP_1) | instskip(SKIP_1) | instid1(VALU_DEP_2)
	v_div_scale_f32 v125, null, v122, v122, v123
	v_div_scale_f32 v131, vcc_lo, v123, v122, v123
	v_rcp_f32_e32 v126, v125
	v_nop
	s_delay_alu instid0(TRANS32_DEP_1) | instskip(NEXT) | instid1(VALU_DEP_1)
	v_fma_f32 v127, -v125, v126, 1.0
	v_fmac_f32_e32 v126, v127, v126
	s_delay_alu instid0(VALU_DEP_1) | instskip(NEXT) | instid1(VALU_DEP_1)
	v_mul_f32_e32 v127, v131, v126
	v_fma_f32 v132, -v125, v127, v131
	s_delay_alu instid0(VALU_DEP_1) | instskip(NEXT) | instid1(VALU_DEP_1)
	v_fmac_f32_e32 v127, v132, v126
	v_fma_f32 v125, -v125, v127, v131
	s_delay_alu instid0(VALU_DEP_1) | instskip(NEXT) | instid1(VALU_DEP_1)
	v_div_fmas_f32 v125, v125, v126, v127
	v_div_fixup_f32 v125, v125, v122, v123
	s_delay_alu instid0(VALU_DEP_1) | instskip(NEXT) | instid1(VALU_DEP_1)
	v_fmac_f32_e32 v122, v123, v125
	v_div_scale_f32 v123, null, v122, v122, 1.0
	s_delay_alu instid0(VALU_DEP_1) | instskip(SKIP_1) | instid1(TRANS32_DEP_1)
	v_rcp_f32_e32 v126, v123
	v_nop
	v_fma_f32 v127, -v123, v126, 1.0
	s_delay_alu instid0(VALU_DEP_1) | instskip(SKIP_1) | instid1(VALU_DEP_1)
	v_fmac_f32_e32 v126, v127, v126
	v_div_scale_f32 v127, vcc_lo, 1.0, v122, 1.0
	v_mul_f32_e32 v131, v127, v126
	s_delay_alu instid0(VALU_DEP_1) | instskip(NEXT) | instid1(VALU_DEP_1)
	v_fma_f32 v132, -v123, v131, v127
	v_fmac_f32_e32 v131, v132, v126
	s_delay_alu instid0(VALU_DEP_1) | instskip(NEXT) | instid1(VALU_DEP_1)
	v_fma_f32 v123, -v123, v131, v127
	v_div_fmas_f32 v123, v123, v126, v131
	s_delay_alu instid0(VALU_DEP_1) | instskip(NEXT) | instid1(VALU_DEP_1)
	v_div_fixup_f32 v122, v123, v122, 1.0
	v_mul_f32_e64 v123, v125, -v122
.LBB114_1206:
	s_or_b32 exec_lo, exec_lo, s1
.LBB114_1207:
	s_delay_alu instid0(SALU_CYCLE_1)
	s_or_b32 exec_lo, exec_lo, s0
	v_mov_b32_e32 v126, 57
	s_mov_b32 s0, exec_lo
	v_cmpx_ne_u32_e64 v130, v124
	s_cbranch_execz .LBB114_1213
; %bb.1208:
	s_mov_b32 s1, exec_lo
	v_cmpx_eq_u32_e32 57, v130
	s_cbranch_execz .LBB114_1212
; %bb.1209:
	v_cmp_ne_u32_e32 vcc_lo, 57, v124
	s_xor_b32 s12, s16, -1
	s_delay_alu instid0(SALU_CYCLE_1) | instskip(NEXT) | instid1(SALU_CYCLE_1)
	s_and_b32 s13, s12, vcc_lo
	s_and_saveexec_b32 s12, s13
	s_cbranch_execz .LBB114_1211
; %bb.1210:
	v_ashrrev_i32_e32 v125, 31, v124
	s_delay_alu instid0(VALU_DEP_1)
	v_lshl_add_u64 v[126:127], v[124:125], 2, v[4:5]
	s_clause 0x1
	global_load_b32 v125, v[126:127], off
	global_load_b32 v129, v[4:5], off offset:228
	s_wait_loadcnt 0x1
	global_store_b32 v[4:5], v125, off offset:228
	s_wait_loadcnt 0x0
	global_store_b32 v[126:127], v129, off
.LBB114_1211:
	s_wait_xcnt 0x0
	s_or_b32 exec_lo, exec_lo, s12
	v_dual_mov_b32 v130, v124 :: v_dual_mov_b32 v129, v124
.LBB114_1212:
	s_or_b32 exec_lo, exec_lo, s1
	s_delay_alu instid0(VALU_DEP_1)
	v_mov_b32_e32 v126, v130
.LBB114_1213:
	s_or_b32 exec_lo, exec_lo, s0
	s_delay_alu instid0(VALU_DEP_1)
	v_ashrrev_i32_e32 v127, 31, v126
	s_mov_b32 s0, exec_lo
	s_wait_storecnt 0x0
	s_barrier_signal -1
	s_barrier_wait -1
	s_barrier_signal -1
	s_barrier_wait -1
	v_cmpx_gt_i32_e32 58, v126
	s_cbranch_execz .LBB114_1215
; %bb.1214:
	v_mul_u64_e32 v[4:5], s[10:11], v[2:3]
	v_add3_u32 v124, v129, s17, 1
	s_delay_alu instid0(VALU_DEP_2) | instskip(NEXT) | instid1(VALU_DEP_1)
	v_lshl_add_u64 v[4:5], v[4:5], 2, s[6:7]
	v_lshl_add_u64 v[4:5], s[8:9], 2, v[4:5]
	s_delay_alu instid0(VALU_DEP_1)
	v_lshl_add_u64 v[4:5], v[126:127], 2, v[4:5]
	global_store_b32 v[4:5], v124, off
.LBB114_1215:
	s_wait_xcnt 0x0
	s_or_b32 exec_lo, exec_lo, s0
	s_delay_alu instid0(SALU_CYCLE_1)
	s_mov_b32 s1, exec_lo
	v_cmpx_eq_u32_e32 0, v126
	s_cbranch_execz .LBB114_1218
; %bb.1216:
	s_wait_kmcnt 0x0
	v_lshl_add_u64 v[2:3], v[2:3], 2, s[4:5]
	v_cmp_ne_u32_e64 s0, 0, v128
	global_load_b32 v4, v[2:3], off
	s_wait_loadcnt 0x0
	v_cmp_eq_u32_e32 vcc_lo, 0, v4
	s_and_b32 s0, vcc_lo, s0
	s_wait_xcnt 0x0
	s_and_b32 exec_lo, exec_lo, s0
	s_cbranch_execz .LBB114_1218
; %bb.1217:
	v_add_nc_u32_e32 v4, s17, v128
	global_store_b32 v[2:3], v4, off
.LBB114_1218:
	s_wait_xcnt 0x0
	s_or_b32 exec_lo, exec_lo, s1
	v_add3_u32 v4, s2, s2, v126
	v_pk_mul_f32 v[2:3], v[122:123], v[120:121] op_sel:[1,1] op_sel_hi:[0,1]
	v_cmp_lt_i32_e32 vcc_lo, 57, v126
	v_lshl_add_u64 v[126:127], v[126:127], 3, v[0:1]
	s_delay_alu instid0(VALU_DEP_4) | instskip(NEXT) | instid1(VALU_DEP_4)
	v_add_nc_u32_e32 v124, s2, v4
	v_pk_fma_f32 v[138:139], v[122:123], v[120:121], v[2:3] op_sel_hi:[1,0,1]
	v_pk_fma_f32 v[2:3], v[122:123], v[120:121], v[2:3] neg_lo:[0,0,1] neg_hi:[0,0,1]
	global_store_b64 v[126:127], v[118:119], off
	s_wait_xcnt 0x0
	v_lshl_add_u64 v[118:119], s[2:3], 3, v[126:127]
	v_dual_cndmask_b32 v3, v121, v139 :: v_dual_add_nc_u32 v128, s2, v124
	v_dual_cndmask_b32 v2, v120, v2 :: v_dual_ashrrev_i32 v5, 31, v4
	global_store_b64 v[118:119], v[116:117], off
	v_add_nc_u32_e32 v130, s2, v128
	v_lshl_add_u64 v[4:5], v[4:5], 3, v[0:1]
	s_delay_alu instid0(VALU_DEP_2) | instskip(SKIP_2) | instid1(VALU_DEP_1)
	v_dual_add_nc_u32 v132, s2, v130 :: v_dual_ashrrev_i32 v131, 31, v130
	global_store_b64 v[4:5], v[114:115], off
	v_add_nc_u32_e32 v134, s2, v132
	v_dual_add_nc_u32 v136, s2, v134 :: v_dual_ashrrev_i32 v129, 31, v128
	s_delay_alu instid0(VALU_DEP_1) | instskip(NEXT) | instid1(VALU_DEP_1)
	v_dual_ashrrev_i32 v135, 31, v134 :: v_dual_add_nc_u32 v122, s2, v136
	v_add_nc_u32_e32 v120, s2, v122
	s_delay_alu instid0(VALU_DEP_1) | instskip(NEXT) | instid1(VALU_DEP_1)
	v_add_nc_u32_e32 v138, s2, v120
	v_add_nc_u32_e32 v126, s2, v138
	v_ashrrev_i32_e32 v123, 31, v122
	s_wait_xcnt 0x1
	s_delay_alu instid0(VALU_DEP_2) | instskip(SKIP_1) | instid1(VALU_DEP_2)
	v_dual_add_nc_u32 v116, s2, v126 :: v_dual_ashrrev_i32 v127, 31, v126
	v_dual_ashrrev_i32 v121, 31, v120 :: v_dual_ashrrev_i32 v139, 31, v138
	v_add_nc_u32_e32 v118, s2, v116
	v_ashrrev_i32_e32 v125, 31, v124
	s_wait_xcnt 0x0
	s_delay_alu instid0(VALU_DEP_2) | instskip(NEXT) | instid1(VALU_DEP_2)
	v_dual_ashrrev_i32 v117, 31, v116 :: v_dual_add_nc_u32 v4, s2, v118
	v_lshl_add_u64 v[114:115], v[124:125], 3, v[0:1]
	s_delay_alu instid0(VALU_DEP_2)
	v_add_nc_u32_e32 v124, s2, v4
	global_store_b64 v[114:115], v[112:113], off
	s_wait_xcnt 0x0
	v_lshl_add_u64 v[114:115], v[128:129], 3, v[0:1]
	v_ashrrev_i32_e32 v5, 31, v4
	v_add_nc_u32_e32 v112, s2, v124
	global_store_b64 v[114:115], v[110:111], off
	s_wait_xcnt 0x0
	v_lshl_add_u64 v[114:115], v[130:131], 3, v[0:1]
	v_lshl_add_u64 v[4:5], v[4:5], 3, v[0:1]
	v_add_nc_u32_e32 v128, s2, v112
	global_store_b64 v[114:115], v[98:99], off
	v_dual_add_nc_u32 v110, s2, v128 :: v_dual_ashrrev_i32 v129, 31, v128
	s_delay_alu instid0(VALU_DEP_1) | instskip(SKIP_3) | instid1(VALU_DEP_3)
	v_add_nc_u32_e32 v130, s2, v110
	v_dual_ashrrev_i32 v119, 31, v118 :: v_dual_ashrrev_i32 v125, 31, v124
	v_ashrrev_i32_e32 v111, 31, v110
	s_wait_xcnt 0x0
	v_dual_add_nc_u32 v98, s2, v130 :: v_dual_ashrrev_i32 v133, 31, v132
	s_delay_alu instid0(VALU_DEP_1) | instskip(NEXT) | instid1(VALU_DEP_2)
	v_dual_ashrrev_i32 v113, 31, v112 :: v_dual_ashrrev_i32 v99, 31, v98
	v_lshl_add_u64 v[114:115], v[132:133], 3, v[0:1]
	v_add_nc_u32_e32 v132, s2, v98
	global_store_b64 v[114:115], v[86:87], off
	s_wait_xcnt 0x0
	v_lshl_add_u64 v[86:87], v[134:135], 3, v[0:1]
	v_add_nc_u32_e32 v134, s2, v132
	v_ashrrev_i32_e32 v137, 31, v136
	v_ashrrev_i32_e32 v133, 31, v132
	s_delay_alu instid0(VALU_DEP_2)
	v_lshl_add_u64 v[114:115], v[136:137], 3, v[0:1]
	s_clause 0x1
	global_store_b64 v[86:87], v[70:71], off
	global_store_b64 v[114:115], v[108:109], off
	s_wait_xcnt 0x1
	v_add_nc_u32_e32 v70, s2, v134
	s_wait_xcnt 0x0
	v_lshl_add_u64 v[108:109], v[122:123], 3, v[0:1]
	v_lshl_add_u64 v[122:123], v[126:127], 3, v[0:1]
	;; [unrolled: 1-line block ×4, first 2 shown]
	v_add_nc_u32_e32 v86, s2, v70
	s_clause 0x3
	global_store_b64 v[108:109], v[80:81], off
	global_store_b64 v[114:115], v[82:83], off
	;; [unrolled: 1-line block ×4, first 2 shown]
	s_wait_xcnt 0x2
	v_lshl_add_u64 v[82:83], v[116:117], 3, v[0:1]
	s_wait_xcnt 0x0
	v_lshl_add_u64 v[106:107], v[118:119], 3, v[0:1]
	v_add_nc_u32_e32 v126, s2, v86
	v_lshl_add_u64 v[108:109], v[124:125], 3, v[0:1]
	s_clause 0x3
	global_store_b64 v[82:83], v[74:75], off
	global_store_b64 v[106:107], v[76:77], off
	;; [unrolled: 1-line block ×4, first 2 shown]
	s_wait_xcnt 0x3
	v_lshl_add_u64 v[74:75], v[112:113], 3, v[0:1]
	v_add_nc_u32_e32 v78, s2, v126
	s_wait_xcnt 0x2
	v_lshl_add_u64 v[76:77], v[128:129], 3, v[0:1]
	v_lshl_add_u64 v[82:83], v[110:111], 3, v[0:1]
	s_delay_alu instid0(VALU_DEP_3) | instskip(SKIP_1) | instid1(VALU_DEP_2)
	v_add_nc_u32_e32 v80, s2, v78
	v_ashrrev_i32_e32 v71, 31, v70
	v_dual_ashrrev_i32 v79, 31, v78 :: v_dual_add_nc_u32 v114, s2, v80
	v_ashrrev_i32_e32 v81, 31, v80
	s_delay_alu instid0(VALU_DEP_3) | instskip(SKIP_1) | instid1(VALU_DEP_3)
	v_lshl_add_u64 v[70:71], v[70:71], 3, v[0:1]
	s_wait_xcnt 0x1
	v_add_nc_u32_e32 v4, s2, v114
	v_ashrrev_i32_e32 v131, 31, v130
	s_delay_alu instid0(VALU_DEP_2) | instskip(SKIP_2) | instid1(VALU_DEP_3)
	v_dual_ashrrev_i32 v87, 31, v86 :: v_dual_ashrrev_i32 v5, 31, v4
	v_add_nc_u32_e32 v72, s2, v4
	s_wait_xcnt 0x0
	v_lshl_add_u64 v[104:105], v[130:131], 3, v[0:1]
	s_clause 0x3
	global_store_b64 v[74:75], v[66:67], off
	global_store_b64 v[76:77], v[68:69], off
	;; [unrolled: 1-line block ×4, first 2 shown]
	s_wait_xcnt 0x2
	v_lshl_add_u64 v[68:69], v[98:99], 3, v[0:1]
	v_dual_add_nc_u32 v106, s2, v72 :: v_dual_ashrrev_i32 v127, 31, v126
	v_ashrrev_i32_e32 v73, 31, v72
	v_lshl_add_u64 v[4:5], v[4:5], 3, v[0:1]
	v_lshl_add_u64 v[74:75], v[132:133], 3, v[0:1]
	s_wait_xcnt 0x1
	v_add_nc_u32_e32 v64, s2, v106
	v_ashrrev_i32_e32 v135, 31, v134
	s_delay_alu instid0(VALU_DEP_2) | instskip(NEXT) | instid1(VALU_DEP_2)
	v_dual_ashrrev_i32 v107, 31, v106 :: v_dual_add_nc_u32 v66, s2, v64
	v_lshl_add_u64 v[76:77], v[134:135], 3, v[0:1]
	s_clause 0x3
	global_store_b64 v[68:69], v[58:59], off
	global_store_b64 v[74:75], v[62:63], off
	;; [unrolled: 1-line block ×4, first 2 shown]
	v_add_nc_u32_e32 v82, s2, v66
	s_wait_xcnt 0x2
	v_lshl_add_u64 v[62:63], v[86:87], 3, v[0:1]
	v_lshl_add_u64 v[68:69], v[126:127], 3, v[0:1]
	s_wait_xcnt 0x0
	v_lshl_add_u64 v[70:71], v[78:79], 3, v[0:1]
	v_lshl_add_u64 v[74:75], v[80:81], 3, v[0:1]
	v_add_nc_u32_e32 v56, s2, v82
	s_clause 0x3
	global_store_b64 v[62:63], v[52:53], off
	global_store_b64 v[68:69], v[54:55], off
	;; [unrolled: 1-line block ×4, first 2 shown]
	s_wait_xcnt 0x3
	v_lshl_add_u64 v[62:63], v[72:73], 3, v[0:1]
	s_wait_xcnt 0x2
	v_lshl_add_u64 v[68:69], v[106:107], 3, v[0:1]
	v_ashrrev_i32_e32 v65, 31, v64
	v_dual_add_nc_u32 v58, s2, v56 :: v_dual_ashrrev_i32 v83, 31, v82
	s_delay_alu instid0(VALU_DEP_1) | instskip(SKIP_1) | instid1(VALU_DEP_1)
	v_add_nc_u32_e32 v76, s2, v58
	s_wait_xcnt 0x1
	v_dual_add_nc_u32 v50, s2, v76 :: v_dual_ashrrev_i32 v115, 31, v114
	v_ashrrev_i32_e32 v57, 31, v56
	s_delay_alu instid0(VALU_DEP_2) | instskip(NEXT) | instid1(VALU_DEP_3)
	v_dual_ashrrev_i32 v77, 31, v76 :: v_dual_add_nc_u32 v52, s2, v50
	v_lshl_add_u64 v[54:55], v[114:115], 3, v[0:1]
	s_clause 0x3
	global_store_b64 v[54:55], v[46:47], off
	global_store_b64 v[4:5], v[48:49], off
	;; [unrolled: 1-line block ×4, first 2 shown]
	v_add_nc_u32_e32 v70, s2, v52
	s_wait_xcnt 0x3
	v_lshl_add_u64 v[46:47], v[64:65], 3, v[0:1]
	v_lshl_add_u64 v[54:55], v[82:83], 3, v[0:1]
	;; [unrolled: 1-line block ×3, first 2 shown]
	s_wait_xcnt 0x2
	v_add_nc_u32_e32 v4, s2, v70
	s_delay_alu instid0(VALU_DEP_1) | instskip(SKIP_2) | instid1(VALU_DEP_2)
	v_dual_ashrrev_i32 v59, 31, v58 :: v_dual_ashrrev_i32 v5, 31, v4
	s_wait_xcnt 0x1
	v_dual_add_nc_u32 v44, s2, v4 :: v_dual_ashrrev_i32 v51, 31, v50
	v_lshl_add_u64 v[4:5], v[4:5], 3, v[0:1]
	s_delay_alu instid0(VALU_DEP_2) | instskip(SKIP_2) | instid1(VALU_DEP_3)
	v_dual_add_nc_u32 v62, s2, v44 :: v_dual_ashrrev_i32 v67, 31, v66
	v_ashrrev_i32_e32 v53, 31, v52
	v_ashrrev_i32_e32 v45, 31, v44
	v_lshl_add_u64 v[48:49], v[66:67], 3, v[0:1]
	s_clause 0x3
	global_store_b64 v[46:47], v[38:39], off
	global_store_b64 v[48:49], v[40:41], off
	;; [unrolled: 1-line block ×4, first 2 shown]
	s_wait_xcnt 0x1
	v_add_nc_u32_e32 v36, s2, v62
	v_lshl_add_u64 v[40:41], v[58:59], 3, v[0:1]
	v_lshl_add_u64 v[48:49], v[50:51], 3, v[0:1]
	;; [unrolled: 1-line block ×4, first 2 shown]
	v_add_nc_u32_e32 v38, s2, v36
	s_clause 0x3
	global_store_b64 v[40:41], v[32:33], off
	global_store_b64 v[46:47], v[34:35], off
	;; [unrolled: 1-line block ×4, first 2 shown]
	s_wait_xcnt 0x3
	v_lshl_add_u64 v[40:41], v[44:45], 3, v[0:1]
	v_add_nc_u32_e32 v52, s2, v38
	s_wait_xcnt 0x1
	s_delay_alu instid0(VALU_DEP_1) | instskip(NEXT) | instid1(VALU_DEP_1)
	v_dual_add_nc_u32 v30, s2, v52 :: v_dual_ashrrev_i32 v71, 31, v70
	v_dual_ashrrev_i32 v37, 31, v36 :: v_dual_add_nc_u32 v32, s2, v30
	v_ashrrev_i32_e32 v31, 31, v30
	s_delay_alu instid0(VALU_DEP_3) | instskip(NEXT) | instid1(VALU_DEP_3)
	v_lshl_add_u64 v[34:35], v[70:71], 3, v[0:1]
	v_dual_add_nc_u32 v46, s2, v32 :: v_dual_ashrrev_i32 v63, 31, v62
	v_ashrrev_i32_e32 v53, 31, v52
	s_delay_alu instid0(VALU_DEP_4) | instskip(SKIP_1) | instid1(VALU_DEP_4)
	v_lshl_add_u64 v[30:31], v[30:31], 3, v[0:1]
	v_ashrrev_i32_e32 v33, 31, v32
	v_lshl_add_u64 v[44:45], v[62:63], 3, v[0:1]
	s_clause 0x3
	global_store_b64 v[34:35], v[24:25], off
	global_store_b64 v[4:5], v[26:27], off
	;; [unrolled: 1-line block ×4, first 2 shown]
	s_wait_xcnt 0x2
	v_add_nc_u32_e32 v4, s2, v46
	v_ashrrev_i32_e32 v39, 31, v38
	v_lshl_add_u64 v[24:25], v[36:37], 3, v[0:1]
	v_lshl_add_u64 v[34:35], v[52:53], 3, v[0:1]
	s_wait_xcnt 0x1
	v_add_nc_u32_e32 v22, s2, v4
	v_lshl_add_u64 v[26:27], v[38:39], 3, v[0:1]
	s_clause 0x3
	global_store_b64 v[24:25], v[18:19], off
	global_store_b64 v[26:27], v[20:21], off
	;; [unrolled: 1-line block ×4, first 2 shown]
	v_add_nc_u32_e32 v36, s2, v22
	s_wait_xcnt 0x2
	v_lshl_add_u64 v[20:21], v[32:33], 3, v[0:1]
	s_wait_xcnt 0x1
	s_delay_alu instid0(VALU_DEP_2) | instskip(SKIP_2) | instid1(VALU_DEP_3)
	v_dual_add_nc_u32 v16, s2, v36 :: v_dual_ashrrev_i32 v23, 31, v22
	v_dual_ashrrev_i32 v47, 31, v46 :: v_dual_ashrrev_i32 v5, 31, v4
	v_ashrrev_i32_e32 v37, 31, v36
	v_add_nc_u32_e32 v18, s2, v16
	s_delay_alu instid0(VALU_DEP_4) | instskip(NEXT) | instid1(VALU_DEP_4)
	v_lshl_add_u64 v[22:23], v[22:23], 3, v[0:1]
	v_lshl_add_u64 v[24:25], v[46:47], 3, v[0:1]
	;; [unrolled: 1-line block ×3, first 2 shown]
	s_clause 0x3
	global_store_b64 v[20:21], v[10:11], off
	global_store_b64 v[24:25], v[12:13], off
	;; [unrolled: 1-line block ×4, first 2 shown]
	v_dual_add_nc_u32 v26, s2, v18 :: v_dual_ashrrev_i32 v17, 31, v16
	s_wait_xcnt 0x1
	v_lshl_add_u64 v[8:9], v[36:37], 3, v[0:1]
	s_delay_alu instid0(VALU_DEP_2) | instskip(SKIP_3) | instid1(VALU_DEP_4)
	v_add_nc_u32_e32 v4, s2, v26
	v_ashrrev_i32_e32 v19, 31, v18
	v_ashrrev_i32_e32 v27, 31, v26
	v_lshl_add_u64 v[10:11], v[16:17], 3, v[0:1]
	v_ashrrev_i32_e32 v5, 31, v4
	s_delay_alu instid0(VALU_DEP_4) | instskip(NEXT) | instid1(VALU_DEP_4)
	v_lshl_add_u64 v[12:13], v[18:19], 3, v[0:1]
	v_lshl_add_u64 v[16:17], v[26:27], 3, v[0:1]
	s_delay_alu instid0(VALU_DEP_3)
	v_lshl_add_u64 v[0:1], v[4:5], 3, v[0:1]
	s_clause 0x4
	global_store_b64 v[8:9], v[6:7], off
	global_store_b64 v[10:11], v[42:43], off
	;; [unrolled: 1-line block ×5, first 2 shown]
.LBB114_1219:
	s_sendmsg sendmsg(MSG_DEALLOC_VGPRS)
	s_endpgm
	.section	.rodata,"a",@progbits
	.p2align	6, 0x0
	.amdhsa_kernel _ZN9rocsolver6v33100L18getf2_small_kernelILi58E19rocblas_complex_numIfEiiPS3_EEvT1_T3_lS5_lPS5_llPT2_S5_S5_S7_l
		.amdhsa_group_segment_fixed_size 0
		.amdhsa_private_segment_fixed_size 0
		.amdhsa_kernarg_size 352
		.amdhsa_user_sgpr_count 2
		.amdhsa_user_sgpr_dispatch_ptr 0
		.amdhsa_user_sgpr_queue_ptr 0
		.amdhsa_user_sgpr_kernarg_segment_ptr 1
		.amdhsa_user_sgpr_dispatch_id 0
		.amdhsa_user_sgpr_kernarg_preload_length 0
		.amdhsa_user_sgpr_kernarg_preload_offset 0
		.amdhsa_user_sgpr_private_segment_size 0
		.amdhsa_wavefront_size32 1
		.amdhsa_uses_dynamic_stack 0
		.amdhsa_enable_private_segment 0
		.amdhsa_system_sgpr_workgroup_id_x 1
		.amdhsa_system_sgpr_workgroup_id_y 1
		.amdhsa_system_sgpr_workgroup_id_z 0
		.amdhsa_system_sgpr_workgroup_info 0
		.amdhsa_system_vgpr_workitem_id 1
		.amdhsa_next_free_vgpr 146
		.amdhsa_next_free_sgpr 19
		.amdhsa_named_barrier_count 0
		.amdhsa_reserve_vcc 1
		.amdhsa_float_round_mode_32 0
		.amdhsa_float_round_mode_16_64 0
		.amdhsa_float_denorm_mode_32 3
		.amdhsa_float_denorm_mode_16_64 3
		.amdhsa_fp16_overflow 0
		.amdhsa_memory_ordered 1
		.amdhsa_forward_progress 1
		.amdhsa_inst_pref_size 255
		.amdhsa_round_robin_scheduling 0
		.amdhsa_exception_fp_ieee_invalid_op 0
		.amdhsa_exception_fp_denorm_src 0
		.amdhsa_exception_fp_ieee_div_zero 0
		.amdhsa_exception_fp_ieee_overflow 0
		.amdhsa_exception_fp_ieee_underflow 0
		.amdhsa_exception_fp_ieee_inexact 0
		.amdhsa_exception_int_div_zero 0
	.end_amdhsa_kernel
	.section	.text._ZN9rocsolver6v33100L18getf2_small_kernelILi58E19rocblas_complex_numIfEiiPS3_EEvT1_T3_lS5_lPS5_llPT2_S5_S5_S7_l,"axG",@progbits,_ZN9rocsolver6v33100L18getf2_small_kernelILi58E19rocblas_complex_numIfEiiPS3_EEvT1_T3_lS5_lPS5_llPT2_S5_S5_S7_l,comdat
.Lfunc_end114:
	.size	_ZN9rocsolver6v33100L18getf2_small_kernelILi58E19rocblas_complex_numIfEiiPS3_EEvT1_T3_lS5_lPS5_llPT2_S5_S5_S7_l, .Lfunc_end114-_ZN9rocsolver6v33100L18getf2_small_kernelILi58E19rocblas_complex_numIfEiiPS3_EEvT1_T3_lS5_lPS5_llPT2_S5_S5_S7_l
                                        ; -- End function
	.set _ZN9rocsolver6v33100L18getf2_small_kernelILi58E19rocblas_complex_numIfEiiPS3_EEvT1_T3_lS5_lPS5_llPT2_S5_S5_S7_l.num_vgpr, 146
	.set _ZN9rocsolver6v33100L18getf2_small_kernelILi58E19rocblas_complex_numIfEiiPS3_EEvT1_T3_lS5_lPS5_llPT2_S5_S5_S7_l.num_agpr, 0
	.set _ZN9rocsolver6v33100L18getf2_small_kernelILi58E19rocblas_complex_numIfEiiPS3_EEvT1_T3_lS5_lPS5_llPT2_S5_S5_S7_l.numbered_sgpr, 19
	.set _ZN9rocsolver6v33100L18getf2_small_kernelILi58E19rocblas_complex_numIfEiiPS3_EEvT1_T3_lS5_lPS5_llPT2_S5_S5_S7_l.num_named_barrier, 0
	.set _ZN9rocsolver6v33100L18getf2_small_kernelILi58E19rocblas_complex_numIfEiiPS3_EEvT1_T3_lS5_lPS5_llPT2_S5_S5_S7_l.private_seg_size, 0
	.set _ZN9rocsolver6v33100L18getf2_small_kernelILi58E19rocblas_complex_numIfEiiPS3_EEvT1_T3_lS5_lPS5_llPT2_S5_S5_S7_l.uses_vcc, 1
	.set _ZN9rocsolver6v33100L18getf2_small_kernelILi58E19rocblas_complex_numIfEiiPS3_EEvT1_T3_lS5_lPS5_llPT2_S5_S5_S7_l.uses_flat_scratch, 0
	.set _ZN9rocsolver6v33100L18getf2_small_kernelILi58E19rocblas_complex_numIfEiiPS3_EEvT1_T3_lS5_lPS5_llPT2_S5_S5_S7_l.has_dyn_sized_stack, 0
	.set _ZN9rocsolver6v33100L18getf2_small_kernelILi58E19rocblas_complex_numIfEiiPS3_EEvT1_T3_lS5_lPS5_llPT2_S5_S5_S7_l.has_recursion, 0
	.set _ZN9rocsolver6v33100L18getf2_small_kernelILi58E19rocblas_complex_numIfEiiPS3_EEvT1_T3_lS5_lPS5_llPT2_S5_S5_S7_l.has_indirect_call, 0
	.section	.AMDGPU.csdata,"",@progbits
; Kernel info:
; codeLenInByte = 153680
; TotalNumSgprs: 21
; NumVgprs: 146
; ScratchSize: 0
; MemoryBound: 0
; FloatMode: 240
; IeeeMode: 1
; LDSByteSize: 0 bytes/workgroup (compile time only)
; SGPRBlocks: 0
; VGPRBlocks: 9
; NumSGPRsForWavesPerEU: 21
; NumVGPRsForWavesPerEU: 146
; NamedBarCnt: 0
; Occupancy: 6
; WaveLimiterHint : 0
; COMPUTE_PGM_RSRC2:SCRATCH_EN: 0
; COMPUTE_PGM_RSRC2:USER_SGPR: 2
; COMPUTE_PGM_RSRC2:TRAP_HANDLER: 0
; COMPUTE_PGM_RSRC2:TGID_X_EN: 1
; COMPUTE_PGM_RSRC2:TGID_Y_EN: 1
; COMPUTE_PGM_RSRC2:TGID_Z_EN: 0
; COMPUTE_PGM_RSRC2:TIDIG_COMP_CNT: 1
	.section	.text._ZN9rocsolver6v33100L23getf2_npvt_small_kernelILi58E19rocblas_complex_numIfEiiPS3_EEvT1_T3_lS5_lPT2_S5_S5_,"axG",@progbits,_ZN9rocsolver6v33100L23getf2_npvt_small_kernelILi58E19rocblas_complex_numIfEiiPS3_EEvT1_T3_lS5_lPT2_S5_S5_,comdat
	.globl	_ZN9rocsolver6v33100L23getf2_npvt_small_kernelILi58E19rocblas_complex_numIfEiiPS3_EEvT1_T3_lS5_lPT2_S5_S5_ ; -- Begin function _ZN9rocsolver6v33100L23getf2_npvt_small_kernelILi58E19rocblas_complex_numIfEiiPS3_EEvT1_T3_lS5_lPT2_S5_S5_
	.p2align	8
	.type	_ZN9rocsolver6v33100L23getf2_npvt_small_kernelILi58E19rocblas_complex_numIfEiiPS3_EEvT1_T3_lS5_lPT2_S5_S5_,@function
_ZN9rocsolver6v33100L23getf2_npvt_small_kernelILi58E19rocblas_complex_numIfEiiPS3_EEvT1_T3_lS5_lPT2_S5_S5_: ; @_ZN9rocsolver6v33100L23getf2_npvt_small_kernelILi58E19rocblas_complex_numIfEiiPS3_EEvT1_T3_lS5_lPT2_S5_S5_
; %bb.0:
	s_clause 0x1
	s_load_u16 s14, s[0:1], 0x46
	s_load_b64 s[2:3], s[0:1], 0x30
	s_bfe_u32 s4, ttmp6, 0x40010
	s_bfe_u32 s5, ttmp6, 0x40004
	s_add_co_i32 s4, s4, 1
	s_getreg_b32 s6, hwreg(HW_REG_IB_STS2, 6, 4)
	s_mul_i32 s4, ttmp7, s4
	v_bfe_u32 v48, v0, 10, 10
	s_add_co_i32 s5, s5, s4
	s_cmp_eq_u32 s6, 0
	s_cselect_b32 s4, ttmp7, s5
	s_wait_kmcnt 0x0
	v_mad_u32 v74, s4, s14, v48
	s_delay_alu instid0(VALU_DEP_1)
	v_cmp_gt_i32_e32 vcc_lo, s2, v74
	s_and_saveexec_b32 s2, vcc_lo
	s_cbranch_execnz .LBB115_1
; %bb.526:
	s_add_pc_i64 .LBB115_525-.Lpost_addpc7
.Lpost_addpc7:
.LBB115_1:
	s_clause 0x1
	s_load_b32 s12, s[0:1], 0x18
	s_load_b128 s[8:11], s[0:1], 0x8
	v_and_b32_e32 v186, 0x3ff, v0
	s_load_b128 s[4:7], s[0:1], 0x20
	s_mulk_i32 s14, 0x1d0
	v_mad_u32_u24 v196, 0x1d0, v48, 0
	v_ashrrev_i32_e32 v75, 31, v74
	s_wait_xcnt 0x0
	v_cmp_ne_u32_e64 s1, 0, v186
	v_cmp_eq_u32_e64 s0, 0, v186
	v_mov_b32_e32 v35, 0
	s_wait_kmcnt 0x0
	v_add3_u32 v28, s12, s12, v186
	v_lshlrev_b32_e32 v34, 3, v186
	s_ashr_i32 s13, s12, 31
	v_mul_u64_e32 v[16:17], s[4:5], v[74:75]
	s_delay_alu instid0(VALU_DEP_3) | instskip(NEXT) | instid1(VALU_DEP_1)
	v_dual_add_nc_u32 v20, s12, v28 :: v_dual_ashrrev_i32 v29, 31, v28
	v_add_nc_u32_e32 v22, s12, v20
	s_delay_alu instid0(VALU_DEP_1) | instskip(NEXT) | instid1(VALU_DEP_1)
	v_dual_add_nc_u32 v24, s12, v22 :: v_dual_ashrrev_i32 v21, 31, v20
	v_dual_add_nc_u32 v26, s12, v24 :: v_dual_ashrrev_i32 v25, 31, v24
	s_delay_alu instid0(VALU_DEP_1) | instskip(SKIP_1) | instid1(VALU_DEP_2)
	v_add_nc_u32_e32 v14, s12, v26
	v_ashrrev_i32_e32 v23, 31, v22
	v_add_nc_u32_e32 v18, s12, v14
	s_delay_alu instid0(VALU_DEP_1) | instskip(SKIP_1) | instid1(VALU_DEP_2)
	v_add_nc_u32_e32 v12, s12, v18
	v_lshl_add_u64 v[16:17], v[16:17], 3, s[8:9]
	v_add_nc_u32_e32 v8, s12, v12
	s_delay_alu instid0(VALU_DEP_2) | instskip(NEXT) | instid1(VALU_DEP_2)
	v_lshl_add_u64 v[66:67], s[10:11], 3, v[16:17]
	v_add_nc_u32_e32 v0, s12, v8
	s_delay_alu instid0(VALU_DEP_2)
	v_lshl_add_u64 v[216:217], v[28:29], 3, v[66:67]
	v_add_nc_u64_e32 v[16:17], v[66:67], v[34:35]
	v_lshl_add_u64 v[236:237], v[22:23], 3, v[66:67]
	v_lshl_add_u64 v[204:205], v[24:25], 3, v[66:67]
	v_add_nc_u32_e32 v4, s12, v0
	v_ashrrev_i32_e32 v13, 31, v12
	v_lshl_add_u64 v[234:235], v[20:21], 3, v[66:67]
	v_lshl_add_u64 v[246:247], s[12:13], 3, v[16:17]
	s_delay_alu instid0(VALU_DEP_4) | instskip(NEXT) | instid1(VALU_DEP_4)
	v_add_nc_u32_e32 v2, s12, v4
	v_lshl_add_u64 v[238:239], v[12:13], 3, v[66:67]
	s_delay_alu instid0(VALU_DEP_2) | instskip(NEXT) | instid1(VALU_DEP_1)
	v_dual_add_nc_u32 v6, s12, v2 :: v_dual_ashrrev_i32 v5, 31, v4
	v_dual_ashrrev_i32 v7, 31, v6 :: v_dual_add_nc_u32 v10, s12, v6
	s_delay_alu instid0(VALU_DEP_2) | instskip(SKIP_1) | instid1(VALU_DEP_3)
	v_lshl_add_u64 v[244:245], v[4:5], 3, v[66:67]
	v_ashrrev_i32_e32 v3, 31, v2
	v_lshl_add_u64 v[250:251], v[6:7], 3, v[66:67]
	s_delay_alu instid0(VALU_DEP_4) | instskip(NEXT) | instid1(VALU_DEP_3)
	v_dual_add_nc_u32 v30, s12, v10 :: v_dual_ashrrev_i32 v11, 31, v10
	v_lshl_add_u64 v[248:249], v[2:3], 3, v[66:67]
	s_delay_alu instid0(VALU_DEP_2) | instskip(NEXT) | instid1(VALU_DEP_3)
	v_add_nc_u32_e32 v32, s12, v30
	v_lshl_add_u64 v[252:253], v[10:11], 3, v[66:67]
	s_delay_alu instid0(VALU_DEP_2) | instskip(NEXT) | instid1(VALU_DEP_1)
	v_dual_add_nc_u32 v42, s12, v32 :: v_dual_ashrrev_i32 v31, 31, v30
	v_add_nc_u32_e32 v50, s12, v42
	s_delay_alu instid0(VALU_DEP_2) | instskip(NEXT) | instid1(VALU_DEP_2)
	v_lshl_add_u64 v[254:255], v[30:31], 3, v[66:67]
	v_add_nc_u32_e32 v52, s12, v50
	v_ashrrev_i32_e32 v27, 31, v26
	s_delay_alu instid0(VALU_DEP_2) | instskip(SKIP_2) | instid1(VALU_DEP_3)
	v_dual_ashrrev_i32 v43, 31, v42 :: v_dual_ashrrev_i32 v53, 31, v52
	v_dual_add_nc_u32 v68, s12, v52 :: v_dual_ashrrev_i32 v15, 31, v14
	v_ashrrev_i32_e32 v51, 31, v50
	v_lshl_add_u64 v[42:43], v[42:43], 3, v[66:67]
	s_delay_alu instid0(VALU_DEP_4) | instskip(NEXT) | instid1(VALU_DEP_4)
	v_lshl_add_u64 v[52:53], v[52:53], 3, v[66:67]
	v_dual_add_nc_u32 v28, s12, v68 :: v_dual_ashrrev_i32 v19, 31, v18
	v_lshl_add_u64 v[218:219], v[14:15], 3, v[66:67]
	v_ashrrev_i32_e32 v69, 31, v68
	v_lshl_add_u64 v[50:51], v[50:51], 3, v[66:67]
	s_delay_alu instid0(VALU_DEP_4)
	v_add_nc_u32_e32 v70, s12, v28
	v_ashrrev_i32_e32 v9, 31, v8
	v_lshl_add_u64 v[220:221], v[18:19], 3, v[66:67]
	v_lshl_add_u64 v[214:215], v[26:27], 3, v[66:67]
	s_clause 0x3
	global_load_b64 v[26:27], v[236:237], off
	global_load_b64 v[22:23], v[204:205], off
	;; [unrolled: 1-line block ×4, first 2 shown]
	v_add_nc_u32_e32 v12, s12, v70
	v_lshl_add_u64 v[240:241], v[8:9], 3, v[66:67]
	s_clause 0x3
	global_load_b64 v[54:55], v[16:17], off
	global_load_b64 v[56:57], v[246:247], off
	;; [unrolled: 1-line block ×4, first 2 shown]
	v_ashrrev_i32_e32 v29, 31, v28
	v_add_nc_u32_e32 v14, s12, v12
	v_ashrrev_i32_e32 v1, 31, v0
	v_ashrrev_i32_e32 v13, 31, v12
	s_delay_alu instid0(VALU_DEP_4) | instskip(NEXT) | instid1(VALU_DEP_4)
	v_lshl_add_u64 v[28:29], v[28:29], 3, v[66:67]
	v_add_nc_u32_e32 v8, s12, v14
	s_delay_alu instid0(VALU_DEP_4)
	v_lshl_add_u64 v[242:243], v[0:1], 3, v[66:67]
	s_clause 0x7
	global_load_b64 v[40:41], v[220:221], off
	global_load_b64 v[36:37], v[238:239], off
	;; [unrolled: 1-line block ×8, first 2 shown]
	v_add_nc_u32_e32 v0, s12, v8
	s_clause 0x2
	global_load_b64 v[80:81], v[42:43], off
	global_load_b64 v[76:77], v[50:51], off
	;; [unrolled: 1-line block ×3, first 2 shown]
	v_dual_ashrrev_i32 v15, 31, v14 :: v_dual_ashrrev_i32 v9, 31, v8
	v_add_nc_u32_e32 v4, s12, v0
	s_clause 0x2
	scratch_store_b64 off, v[42:43], off offset:8
	scratch_store_b64 off, v[50:51], off offset:16
	;; [unrolled: 1-line block ×3, first 2 shown]
	v_lshl_add_u64 v[8:9], v[8:9], 3, v[66:67]
	v_add_nc_u32_e32 v2, s12, v4
	v_ashrrev_i32_e32 v33, 31, v32
	s_wait_xcnt 0x1
	v_lshl_add_u64 v[50:51], v[68:69], 3, v[66:67]
	s_clause 0x2
	global_load_b64 v[82:83], v[254:255], off
	global_load_b64 v[112:113], v[8:9], off
	;; [unrolled: 1-line block ×3, first 2 shown]
	v_add_nc_u32_e32 v6, s12, v2
	v_lshl_add_u64 v[32:33], v[32:33], 3, v[66:67]
	scratch_store_b64 off, v[50:51], off offset:32 ; 8-byte Folded Spill
	global_load_b64 v[94:95], v[50:51], off
	v_dual_ashrrev_i32 v1, 31, v0 :: v_dual_add_nc_u32 v10, s12, v6
	global_load_b64 v[78:79], v[32:33], off
	scratch_store_b64 off, v[32:33], off    ; 8-byte Folded Spill
	v_dual_ashrrev_i32 v5, 31, v4 :: v_dual_ashrrev_i32 v3, 31, v2
	v_dual_add_nc_u32 v18, s12, v10 :: v_dual_ashrrev_i32 v11, 31, v10
	s_wait_xcnt 0x7
	v_lshl_add_u64 v[52:53], v[0:1], 3, v[66:67]
	v_ashrrev_i32_e32 v7, 31, v6
	scratch_store_b64 off, v[8:9], off offset:72 ; 8-byte Folded Spill
	v_dual_ashrrev_i32 v19, 31, v18 :: v_dual_add_nc_u32 v30, s12, v18
	v_lshl_add_u64 v[10:11], v[10:11], 3, v[66:67]
	global_load_b64 v[108:109], v[52:53], off
	s_wait_xcnt 0x4
	v_lshl_add_u64 v[50:51], v[14:15], 3, v[66:67]
	v_lshl_add_u64 v[18:19], v[18:19], 3, v[66:67]
	v_ashrrev_i32_e32 v31, 31, v30
	global_load_b64 v[124:125], v[10:11], off
	scratch_store_b64 off, v[10:11], off offset:112 ; 8-byte Folded Spill
	s_clause 0x1
	global_load_b64 v[110:111], v[50:51], off
	global_load_b64 v[146:147], v[18:19], off
	s_wait_xcnt 0x6
	v_add_nc_u32_e32 v32, s12, v30
	v_ashrrev_i32_e32 v71, 31, v70
	scratch_store_b64 off, v[50:51], off offset:64 ; 8-byte Folded Spill
	s_wait_xcnt 0x6
	v_lshl_add_u64 v[8:9], v[2:3], 3, v[66:67]
	s_wait_xcnt 0x0
	v_lshl_add_u64 v[50:51], v[6:7], 3, v[66:67]
	v_add_nc_u32_e32 v42, s12, v32
	v_lshl_add_u64 v[68:69], v[70:71], 3, v[66:67]
	v_lshl_add_u64 v[70:71], v[12:13], 3, v[66:67]
	s_clause 0x3
	scratch_store_b64 off, v[28:29], off offset:40
	scratch_store_b64 off, v[8:9], off offset:96
	;; [unrolled: 1-line block ×4, first 2 shown]
	v_add_nc_u32_e32 v12, s12, v42
	s_clause 0x1
	scratch_store_b64 off, v[68:69], off offset:48
	scratch_store_b64 off, v[70:71], off offset:56
	global_load_b64 v[92:93], v[68:69], off
	s_wait_xcnt 0x0
	v_lshl_add_u64 v[68:69], v[4:5], 3, v[66:67]
	v_add_nc_u32_e32 v28, s12, v12
	v_ashrrev_i32_e32 v33, 31, v32
	global_load_b64 v[126:127], v[8:9], off
	v_ashrrev_i32_e32 v13, 31, v12
	s_clause 0x1
	global_load_b64 v[130:131], v[68:69], off
	global_load_b64 v[128:129], v[50:51], off
	v_add_nc_u32_e32 v14, s12, v28
	v_lshl_add_u64 v[32:33], v[32:33], 3, v[66:67]
	s_wait_xcnt 0x0
	v_lshl_add_u64 v[50:51], v[12:13], 3, v[66:67]
	global_load_b64 v[114:115], v[70:71], off
	s_clause 0x1
	scratch_store_b64 off, v[52:53], off offset:80
	scratch_store_b64 off, v[68:69], off offset:88
	v_add_nc_u32_e32 v0, s12, v14
	v_lshl_add_u64 v[30:31], v[30:31], 3, v[66:67]
	s_clause 0x1
	global_load_b64 v[162:163], v[50:51], off
	global_load_b64 v[144:145], v[32:33], off
	v_ashrrev_i32_e32 v29, 31, v28
	v_dual_add_nc_u32 v4, s12, v0 :: v_dual_ashrrev_i32 v15, 31, v14
	global_load_b64 v[142:143], v[30:31], off
	s_clause 0x1
	scratch_store_b64 off, v[30:31], off offset:128
	scratch_store_b64 off, v[50:51], off offset:152
	v_dual_add_nc_u32 v2, s12, v4 :: v_dual_ashrrev_i32 v5, 31, v4
	v_lshl_add_u64 v[14:15], v[14:15], 3, v[66:67]
	s_delay_alu instid0(VALU_DEP_2)
	v_dual_ashrrev_i32 v1, 31, v0 :: v_dual_add_nc_u32 v6, s12, v2
	global_load_b64 v[160:161], v[14:15], off
	s_wait_xcnt 0x2
	v_lshl_add_u64 v[30:31], v[28:29], 3, v[66:67]
	v_add_nc_u32_e32 v8, s12, v6
	scratch_store_b64 off, v[30:31], off offset:160 ; 8-byte Folded Spill
	global_load_b64 v[158:159], v[30:31], off
	v_dual_add_nc_u32 v10, s12, v8 :: v_dual_ashrrev_i32 v7, 31, v6
	s_delay_alu instid0(VALU_DEP_1) | instskip(SKIP_1) | instid1(VALU_DEP_2)
	v_dual_ashrrev_i32 v9, 31, v8 :: v_dual_add_nc_u32 v12, s12, v10
	v_ashrrev_i32_e32 v43, 31, v42
	v_lshl_add_u64 v[8:9], v[8:9], 3, v[66:67]
	s_delay_alu instid0(VALU_DEP_3) | instskip(NEXT) | instid1(VALU_DEP_3)
	v_dual_ashrrev_i32 v11, 31, v10 :: v_dual_add_nc_u32 v18, s12, v12
	v_lshl_add_u64 v[42:43], v[42:43], 3, v[66:67]
	scratch_store_b64 off, v[32:33], off offset:136 ; 8-byte Folded Spill
	s_wait_xcnt 0x0
	v_lshl_add_u64 v[32:33], v[0:1], 3, v[66:67]
	v_dual_ashrrev_i32 v13, 31, v12 :: v_dual_add_nc_u32 v28, s12, v18
	v_ashrrev_i32_e32 v3, 31, v2
	scratch_store_b64 off, v[14:15], off offset:168 ; 8-byte Folded Spill
	v_ashrrev_i32_e32 v19, 31, v18
	v_lshl_add_u64 v[12:13], v[12:13], 3, v[66:67]
	v_add_nc_u32_e32 v0, s12, v28
	s_wait_xcnt 0x0
	v_lshl_add_u64 v[14:15], v[2:3], 3, v[66:67]
	v_ashrrev_i32_e32 v29, 31, v28
	scratch_store_b64 off, v[32:33], off offset:176 ; 8-byte Folded Spill
	s_clause 0x2
	global_load_b64 v[172:173], v[8:9], off
	global_load_b64 v[190:191], v[12:13], off
	;; [unrolled: 1-line block ×3, first 2 shown]
	v_ashrrev_i32_e32 v1, 31, v0
	scratch_store_b64 off, v[14:15], off offset:192 ; 8-byte Folded Spill
	s_wait_xcnt 0x0
	v_lshl_add_u64 v[14:15], v[18:19], 3, v[66:67]
	v_lshl_add_u64 v[18:19], v[28:29], 3, v[66:67]
	global_load_b64 v[156:157], v[32:33], off
	v_lshl_add_u64 v[28:29], v[0:1], 3, v[66:67]
	v_lshl_add_u64 v[30:31], v[6:7], 3, v[66:67]
	s_clause 0x1
	global_load_b64 v[192:193], v[14:15], off
	global_load_b64 v[188:189], v[18:19], off
	scratch_store_b64 off, v[42:43], off offset:144 ; 8-byte Folded Spill
	global_load_b64 v[212:213], v[28:29], off
	s_wait_xcnt 0x4
	v_lshl_add_u64 v[32:33], v[10:11], 3, v[66:67]
	s_clause 0x1
	global_load_b64 v[140:141], v[42:43], off
	global_load_b64 v[176:177], v[30:31], off
	s_clause 0x2
	scratch_store_b64 off, v[30:31], off offset:200
	scratch_store_b64 off, v[8:9], off offset:208
	;; [unrolled: 1-line block ×3, first 2 shown]
	global_load_b64 v[194:195], v[32:33], off
	s_wait_xcnt 0x5
	v_lshl_add_u64 v[42:43], v[4:5], 3, v[66:67]
	v_add_nc_u32_e32 v4, s12, v0
	s_clause 0x3
	scratch_store_b64 off, v[12:13], off offset:224
	scratch_store_b64 off, v[14:15], off offset:232
	;; [unrolled: 1-line block ×4, first 2 shown]
	v_add_nc_u32_e32 v2, s12, v4
	scratch_store_b64 off, v[42:43], off offset:184 ; 8-byte Folded Spill
	v_ashrrev_i32_e32 v5, 31, v4
	global_load_b64 v[178:179], v[42:43], off
	v_dual_add_nc_u32 v6, s12, v2 :: v_dual_ashrrev_i32 v3, 31, v2
	s_wait_xcnt 0x4
	v_lshl_add_u64 v[14:15], v[4:5], 3, v[66:67]
	s_delay_alu instid0(VALU_DEP_2)
	v_dual_add_nc_u32 v8, s12, v6 :: v_dual_ashrrev_i32 v7, 31, v6
	s_wait_xcnt 0x3
	v_lshl_add_u64 v[18:19], v[2:3], 3, v[66:67]
	scratch_store_b64 off, v[14:15], off offset:256 ; 8-byte Folded Spill
	global_load_b64 v[208:209], v[14:15], off
	v_dual_add_nc_u32 v10, s12, v8 :: v_dual_ashrrev_i32 v9, 31, v8
	v_lshl_add_u64 v[6:7], v[6:7], 3, v[66:67]
	scratch_store_b64 off, v[18:19], off offset:264 ; 8-byte Folded Spill
	global_load_b64 v[210:211], v[18:19], off
	v_dual_add_nc_u32 v0, s12, v10 :: v_dual_ashrrev_i32 v11, 31, v10
	v_lshl_add_u64 v[8:9], v[8:9], 3, v[66:67]
	scratch_store_b64 off, v[6:7], off offset:272 ; 8-byte Folded Spill
	global_load_b64 v[206:207], v[6:7], off
	v_add_nc_u32_e32 v12, s12, v0
	global_load_b64 v[228:229], v[8:9], off
	scratch_store_b64 off, v[8:9], off offset:280 ; 8-byte Folded Spill
	v_dual_add_nc_u32 v4, s12, v12 :: v_dual_ashrrev_i32 v13, 31, v12
	s_delay_alu instid0(VALU_DEP_1) | instskip(SKIP_1) | instid1(VALU_DEP_3)
	v_dual_add_nc_u32 v2, s12, v4 :: v_dual_ashrrev_i32 v5, 31, v4
	v_ashrrev_i32_e32 v1, 31, v0
	v_lshl_add_u64 v[12:13], v[12:13], 3, v[66:67]
	s_delay_alu instid0(VALU_DEP_3) | instskip(NEXT) | instid1(VALU_DEP_4)
	v_ashrrev_i32_e32 v3, 31, v2
	v_lshl_add_u64 v[4:5], v[4:5], 3, v[66:67]
	global_load_b64 v[222:223], v[12:13], off
	scratch_store_b64 off, v[12:13], off offset:312 ; 8-byte Folded Spill
	global_load_b64 v[230:231], v[4:5], off
	s_wait_xcnt 0x5
	v_lshl_add_u64 v[6:7], v[10:11], 3, v[66:67]
	v_lshl_add_u64 v[10:11], v[0:1], 3, v[66:67]
	;; [unrolled: 1-line block ×3, first 2 shown]
	scratch_store_b64 off, v[4:5], off offset:320 ; 8-byte Folded Spill
	s_clause 0x2
	global_load_b64 v[224:225], v[6:7], off
	global_load_b64 v[226:227], v[10:11], off
	;; [unrolled: 1-line block ×3, first 2 shown]
	s_clause 0x2
	scratch_store_b64 off, v[6:7], off offset:296
	scratch_store_b64 off, v[0:1], off offset:288
	;; [unrolled: 1-line block ×3, first 2 shown]
	s_wait_xcnt 0x1
	v_lshlrev_b32_e32 v0, 3, v48
	s_delay_alu instid0(VALU_DEP_1)
	v_add3_u32 v187, 0, s14, v0
	s_wait_xcnt 0x0
	s_and_saveexec_b32 s4, s0
	s_cbranch_execz .LBB115_8
; %bb.2:
	s_wait_loadcnt 0x35
	ds_store_b64 v187, v[54:55]
	s_wait_loadcnt 0x33
	ds_store_2addr_b64 v196, v[56:57], v[46:47] offset0:1 offset1:2
	s_wait_loadcnt 0x32
	ds_store_2addr_b64 v196, v[44:45], v[26:27] offset0:3 offset1:4
	ds_store_2addr_b64 v196, v[22:23], v[24:25] offset0:5 offset1:6
	s_wait_loadcnt 0x31
	ds_store_2addr_b64 v196, v[20:21], v[40:41] offset0:7 offset1:8
	s_wait_loadcnt 0x2f
	;; [unrolled: 2-line block ×6, first 2 shown]
	ds_store_2addr_b64 v196, v[78:79], v[80:81] offset0:17 offset1:18
	ds_store_2addr_b64 v196, v[76:77], v[98:99] offset0:19 offset1:20
	;; [unrolled: 1-line block ×3, first 2 shown]
	s_wait_loadcnt 0x19
	ds_store_2addr_b64 v196, v[92:93], v[114:115] offset0:23 offset1:24
	ds_store_2addr_b64 v196, v[110:111], v[112:113] offset0:25 offset1:26
	;; [unrolled: 1-line block ×5, first 2 shown]
	s_wait_loadcnt 0x16
	ds_store_2addr_b64 v196, v[142:143], v[144:145] offset0:33 offset1:34
	s_wait_loadcnt 0xc
	ds_store_2addr_b64 v196, v[140:141], v[162:163] offset0:35 offset1:36
	ds_store_2addr_b64 v196, v[158:159], v[160:161] offset0:37 offset1:38
	s_wait_loadcnt 0x9
	ds_store_2addr_b64 v196, v[156:157], v[178:179] offset0:39 offset1:40
	ds_store_2addr_b64 v196, v[174:175], v[176:177] offset0:41 offset1:42
	;; [unrolled: 1-line block ×5, first 2 shown]
	s_wait_loadcnt 0x7
	ds_store_2addr_b64 v196, v[208:209], v[210:211] offset0:49 offset1:50
	s_wait_loadcnt 0x5
	ds_store_2addr_b64 v196, v[206:207], v[228:229] offset0:51 offset1:52
	;; [unrolled: 2-line block ×3, first 2 shown]
	ds_store_2addr_b64 v196, v[222:223], v[230:231] offset0:55 offset1:56
	s_wait_loadcnt 0x0
	ds_store_b64 v196, v[232:233] offset:456
	ds_load_b64 v[0:1], v187
	s_wait_dscnt 0x0
	v_cmp_neq_f32_e32 vcc_lo, 0, v0
	v_cmp_neq_f32_e64 s2, 0, v1
	s_or_b32 s2, vcc_lo, s2
	s_delay_alu instid0(SALU_CYCLE_1)
	s_and_b32 exec_lo, exec_lo, s2
	s_cbranch_execz .LBB115_8
; %bb.3:
	v_cmp_ngt_f32_e64 s2, |v0|, |v1|
                                        ; implicit-def: $vgpr2_vgpr3
	s_and_saveexec_b32 s5, s2
	s_delay_alu instid0(SALU_CYCLE_1)
	s_xor_b32 s2, exec_lo, s5
	s_cbranch_execz .LBB115_5
; %bb.4:
	v_div_scale_f32 v2, null, v1, v1, v0
	v_div_scale_f32 v5, vcc_lo, v0, v1, v0
	s_delay_alu instid0(VALU_DEP_2) | instskip(SKIP_1) | instid1(TRANS32_DEP_1)
	v_rcp_f32_e32 v3, v2
	v_nop
	v_fma_f32 v4, -v2, v3, 1.0
	s_delay_alu instid0(VALU_DEP_1) | instskip(NEXT) | instid1(VALU_DEP_1)
	v_fmac_f32_e32 v3, v4, v3
	v_mul_f32_e32 v4, v5, v3
	s_delay_alu instid0(VALU_DEP_1) | instskip(NEXT) | instid1(VALU_DEP_1)
	v_fma_f32 v6, -v2, v4, v5
	v_fmac_f32_e32 v4, v6, v3
	s_delay_alu instid0(VALU_DEP_1) | instskip(NEXT) | instid1(VALU_DEP_1)
	v_fma_f32 v2, -v2, v4, v5
	v_div_fmas_f32 v2, v2, v3, v4
	s_delay_alu instid0(VALU_DEP_1) | instskip(NEXT) | instid1(VALU_DEP_1)
	v_div_fixup_f32 v2, v2, v1, v0
	v_fmac_f32_e32 v1, v0, v2
	s_delay_alu instid0(VALU_DEP_1) | instskip(SKIP_1) | instid1(VALU_DEP_2)
	v_div_scale_f32 v0, null, v1, v1, 1.0
	v_div_scale_f32 v5, vcc_lo, 1.0, v1, 1.0
	v_rcp_f32_e32 v3, v0
	v_nop
	s_delay_alu instid0(TRANS32_DEP_1) | instskip(NEXT) | instid1(VALU_DEP_1)
	v_fma_f32 v4, -v0, v3, 1.0
	v_fmac_f32_e32 v3, v4, v3
	s_delay_alu instid0(VALU_DEP_1) | instskip(NEXT) | instid1(VALU_DEP_1)
	v_mul_f32_e32 v4, v5, v3
	v_fma_f32 v6, -v0, v4, v5
	s_delay_alu instid0(VALU_DEP_1) | instskip(NEXT) | instid1(VALU_DEP_1)
	v_fmac_f32_e32 v4, v6, v3
	v_fma_f32 v0, -v0, v4, v5
	s_delay_alu instid0(VALU_DEP_1) | instskip(NEXT) | instid1(VALU_DEP_1)
	v_div_fmas_f32 v0, v0, v3, v4
	v_div_fixup_f32 v0, v0, v1, 1.0
	s_delay_alu instid0(VALU_DEP_1)
	v_mul_f32_e32 v2, v2, v0
	v_xor_b32_e32 v3, 0x80000000, v0
                                        ; implicit-def: $vgpr0_vgpr1
.LBB115_5:
	s_and_not1_saveexec_b32 s2, s2
	s_cbranch_execz .LBB115_7
; %bb.6:
	v_div_scale_f32 v2, null, v0, v0, v1
	v_div_scale_f32 v5, vcc_lo, v1, v0, v1
	s_delay_alu instid0(VALU_DEP_2) | instskip(SKIP_1) | instid1(TRANS32_DEP_1)
	v_rcp_f32_e32 v3, v2
	v_nop
	v_fma_f32 v4, -v2, v3, 1.0
	s_delay_alu instid0(VALU_DEP_1) | instskip(NEXT) | instid1(VALU_DEP_1)
	v_fmac_f32_e32 v3, v4, v3
	v_mul_f32_e32 v4, v5, v3
	s_delay_alu instid0(VALU_DEP_1) | instskip(NEXT) | instid1(VALU_DEP_1)
	v_fma_f32 v6, -v2, v4, v5
	v_fmac_f32_e32 v4, v6, v3
	s_delay_alu instid0(VALU_DEP_1) | instskip(NEXT) | instid1(VALU_DEP_1)
	v_fma_f32 v2, -v2, v4, v5
	v_div_fmas_f32 v2, v2, v3, v4
	s_delay_alu instid0(VALU_DEP_1) | instskip(NEXT) | instid1(VALU_DEP_1)
	v_div_fixup_f32 v3, v2, v0, v1
	v_fmac_f32_e32 v0, v1, v3
	s_delay_alu instid0(VALU_DEP_1) | instskip(NEXT) | instid1(VALU_DEP_1)
	v_div_scale_f32 v1, null, v0, v0, 1.0
	v_rcp_f32_e32 v2, v1
	v_nop
	s_delay_alu instid0(TRANS32_DEP_1) | instskip(NEXT) | instid1(VALU_DEP_1)
	v_fma_f32 v4, -v1, v2, 1.0
	v_fmac_f32_e32 v2, v4, v2
	v_div_scale_f32 v4, vcc_lo, 1.0, v0, 1.0
	s_delay_alu instid0(VALU_DEP_1) | instskip(NEXT) | instid1(VALU_DEP_1)
	v_mul_f32_e32 v5, v4, v2
	v_fma_f32 v6, -v1, v5, v4
	s_delay_alu instid0(VALU_DEP_1) | instskip(NEXT) | instid1(VALU_DEP_1)
	v_fmac_f32_e32 v5, v6, v2
	v_fma_f32 v1, -v1, v5, v4
	s_delay_alu instid0(VALU_DEP_1) | instskip(NEXT) | instid1(VALU_DEP_1)
	v_div_fmas_f32 v1, v1, v2, v5
	v_div_fixup_f32 v2, v1, v0, 1.0
	s_delay_alu instid0(VALU_DEP_1)
	v_mul_f32_e64 v3, v3, -v2
.LBB115_7:
	s_or_b32 exec_lo, exec_lo, s2
	ds_store_b64 v187, v[2:3]
.LBB115_8:
	s_or_b32 exec_lo, exec_lo, s4
	s_wait_storecnt 0x0
	s_wait_loadcnt_dscnt 0x0
	s_barrier_signal -1
	s_barrier_wait -1
	ds_load_b64 v[0:1], v187
	s_wait_dscnt 0x0
	scratch_store_b64 off, v[0:1], off offset:328 ; 8-byte Folded Spill
	s_wait_xcnt 0x0
	s_and_saveexec_b32 s2, s1
	s_cbranch_execz .LBB115_10
; %bb.9:
	scratch_load_b64 v[4:5], off, off offset:328 ; 8-byte Folded Reload
	s_wait_loadcnt 0x0
	v_pk_mul_f32 v[2:3], v[4:5], v[54:55] op_sel:[1,1] op_sel_hi:[0,1]
	s_delay_alu instid0(VALU_DEP_1)
	v_pk_fma_f32 v[0:1], v[4:5], v[54:55], v[2:3] op_sel_hi:[1,0,1] neg_lo:[0,0,1] neg_hi:[0,0,1]
	v_pk_fma_f32 v[2:3], v[4:5], v[54:55], v[2:3] op_sel_hi:[1,0,1]
	ds_load_2addr_b64 v[4:7], v196 offset0:1 offset1:2
	v_dual_mov_b32 v54, v0 :: v_dual_mov_b32 v55, v3
	s_wait_dscnt 0x0
	v_pk_mul_f32 v[8:9], v[4:5], v[2:3] op_sel:[0,1]
	s_delay_alu instid0(VALU_DEP_1) | instskip(SKIP_1) | instid1(VALU_DEP_1)
	v_pk_fma_f32 v[10:11], v[4:5], v[0:1], v[8:9] op_sel:[0,0,1] op_sel_hi:[1,1,0] neg_lo:[0,0,1] neg_hi:[0,0,1]
	v_pk_fma_f32 v[4:5], v[4:5], v[0:1], v[8:9] op_sel:[0,0,1] op_sel_hi:[1,0,0]
	v_mov_b32_e32 v11, v5
	v_pk_mul_f32 v[4:5], v[6:7], v[2:3] op_sel:[0,1]
	s_delay_alu instid0(VALU_DEP_1) | instskip(SKIP_1) | instid1(VALU_DEP_1)
	v_pk_fma_f32 v[8:9], v[6:7], v[0:1], v[4:5] op_sel:[0,0,1] op_sel_hi:[1,1,0] neg_lo:[0,0,1] neg_hi:[0,0,1]
	v_pk_fma_f32 v[4:5], v[6:7], v[0:1], v[4:5] op_sel:[0,0,1] op_sel_hi:[1,0,0]
	v_mov_b32_e32 v9, v5
	ds_load_2addr_b64 v[4:7], v196 offset0:3 offset1:4
	v_pk_add_f32 v[56:57], v[56:57], v[10:11] neg_lo:[0,1] neg_hi:[0,1]
	v_pk_add_f32 v[46:47], v[46:47], v[8:9] neg_lo:[0,1] neg_hi:[0,1]
	s_wait_dscnt 0x0
	v_pk_mul_f32 v[8:9], v[4:5], v[2:3] op_sel:[0,1]
	s_delay_alu instid0(VALU_DEP_1) | instskip(SKIP_2) | instid1(VALU_DEP_2)
	v_pk_fma_f32 v[10:11], v[4:5], v[0:1], v[8:9] op_sel:[0,0,1] op_sel_hi:[1,1,0] neg_lo:[0,0,1] neg_hi:[0,0,1]
	v_pk_fma_f32 v[4:5], v[4:5], v[0:1], v[8:9] op_sel:[0,0,1] op_sel_hi:[1,0,0]
	v_dual_mul_f32 v8, v7, v3 :: v_dual_mov_b32 v4, v7
	v_dual_mov_b32 v11, v5 :: v_dual_mov_b32 v5, v6
	s_delay_alu instid0(VALU_DEP_2) | instskip(SKIP_1) | instid1(VALU_DEP_3)
	v_pk_fma_f32 v[8:9], v[6:7], v[54:55], v[8:9] op_sel_hi:[1,1,0] neg_lo:[0,0,1] neg_hi:[0,0,1]
	v_mul_f32_e32 v6, v7, v0
	v_pk_add_f32 v[44:45], v[44:45], v[10:11] neg_lo:[0,1] neg_hi:[0,1]
	s_delay_alu instid0(VALU_DEP_2) | instskip(NEXT) | instid1(VALU_DEP_1)
	v_pk_fma_f32 v[4:5], v[4:5], v[54:55], v[6:7] op_sel_hi:[1,1,0]
	v_mov_b32_e32 v9, v5
	ds_load_2addr_b64 v[4:7], v196 offset0:5 offset1:6
	v_pk_add_f32 v[26:27], v[26:27], v[8:9] neg_lo:[0,1] neg_hi:[0,1]
	s_wait_dscnt 0x0
	v_pk_mul_f32 v[8:9], v[4:5], v[2:3] op_sel:[0,1]
	s_delay_alu instid0(VALU_DEP_1) | instskip(SKIP_1) | instid1(VALU_DEP_1)
	v_pk_fma_f32 v[10:11], v[4:5], v[0:1], v[8:9] op_sel:[0,0,1] op_sel_hi:[1,1,0] neg_lo:[0,0,1] neg_hi:[0,0,1]
	v_pk_fma_f32 v[4:5], v[4:5], v[0:1], v[8:9] op_sel:[0,0,1] op_sel_hi:[1,0,0]
	v_mov_b32_e32 v11, v5
	v_pk_mul_f32 v[4:5], v[6:7], v[2:3] op_sel:[0,1]
	s_delay_alu instid0(VALU_DEP_1) | instskip(SKIP_1) | instid1(VALU_DEP_1)
	v_pk_fma_f32 v[8:9], v[6:7], v[0:1], v[4:5] op_sel:[0,0,1] op_sel_hi:[1,1,0] neg_lo:[0,0,1] neg_hi:[0,0,1]
	v_pk_fma_f32 v[4:5], v[6:7], v[0:1], v[4:5] op_sel:[0,0,1] op_sel_hi:[1,0,0]
	v_mov_b32_e32 v9, v5
	ds_load_2addr_b64 v[4:7], v196 offset0:7 offset1:8
	v_pk_add_f32 v[22:23], v[22:23], v[10:11] neg_lo:[0,1] neg_hi:[0,1]
	v_pk_add_f32 v[24:25], v[24:25], v[8:9] neg_lo:[0,1] neg_hi:[0,1]
	s_wait_dscnt 0x0
	v_pk_mul_f32 v[8:9], v[4:5], v[2:3] op_sel:[0,1]
	s_delay_alu instid0(VALU_DEP_1) | instskip(SKIP_1) | instid1(VALU_DEP_1)
	v_pk_fma_f32 v[10:11], v[4:5], v[0:1], v[8:9] op_sel:[0,0,1] op_sel_hi:[1,1,0] neg_lo:[0,0,1] neg_hi:[0,0,1]
	v_pk_fma_f32 v[4:5], v[4:5], v[0:1], v[8:9] op_sel:[0,0,1] op_sel_hi:[1,0,0]
	v_mov_b32_e32 v11, v5
	v_pk_mul_f32 v[4:5], v[6:7], v[2:3] op_sel:[0,1]
	s_delay_alu instid0(VALU_DEP_1) | instskip(SKIP_1) | instid1(VALU_DEP_1)
	v_pk_fma_f32 v[8:9], v[6:7], v[0:1], v[4:5] op_sel:[0,0,1] op_sel_hi:[1,1,0] neg_lo:[0,0,1] neg_hi:[0,0,1]
	v_pk_fma_f32 v[4:5], v[6:7], v[0:1], v[4:5] op_sel:[0,0,1] op_sel_hi:[1,0,0]
	v_mov_b32_e32 v9, v5
	ds_load_2addr_b64 v[4:7], v196 offset0:9 offset1:10
	v_pk_add_f32 v[20:21], v[20:21], v[10:11] neg_lo:[0,1] neg_hi:[0,1]
	v_pk_add_f32 v[40:41], v[40:41], v[8:9] neg_lo:[0,1] neg_hi:[0,1]
	s_wait_dscnt 0x0
	v_dual_mul_f32 v8, v5, v3 :: v_dual_mul_f32 v10, v5, v0
	s_delay_alu instid0(VALU_DEP_1) | instskip(NEXT) | instid1(VALU_DEP_2)
	v_pk_fma_f32 v[8:9], v[4:5], v[54:55], v[8:9] op_sel_hi:[1,1,0] neg_lo:[0,0,1] neg_hi:[0,0,1]
	v_pk_fma_f32 v[4:5], v[4:5], v[54:55], v[10:11] op_sel:[1,0,0] op_sel_hi:[0,1,0]
	s_delay_alu instid0(VALU_DEP_1) | instskip(SKIP_1) | instid1(VALU_DEP_2)
	v_mov_b32_e32 v9, v5
	v_pk_mul_f32 v[4:5], v[6:7], v[2:3] op_sel:[0,1]
	v_pk_add_f32 v[36:37], v[36:37], v[8:9] neg_lo:[0,1] neg_hi:[0,1]
	s_delay_alu instid0(VALU_DEP_2) | instskip(SKIP_1) | instid1(VALU_DEP_1)
	v_pk_fma_f32 v[8:9], v[6:7], v[0:1], v[4:5] op_sel:[0,0,1] op_sel_hi:[1,1,0] neg_lo:[0,0,1] neg_hi:[0,0,1]
	v_pk_fma_f32 v[4:5], v[6:7], v[0:1], v[4:5] op_sel:[0,0,1] op_sel_hi:[1,0,0]
	v_mov_b32_e32 v9, v5
	ds_load_2addr_b64 v[4:7], v196 offset0:11 offset1:12
	v_pk_add_f32 v[38:39], v[38:39], v[8:9] neg_lo:[0,1] neg_hi:[0,1]
	s_wait_dscnt 0x0
	v_pk_mul_f32 v[8:9], v[4:5], v[2:3] op_sel:[0,1]
	s_delay_alu instid0(VALU_DEP_1) | instskip(SKIP_1) | instid1(VALU_DEP_1)
	v_pk_fma_f32 v[10:11], v[4:5], v[0:1], v[8:9] op_sel:[0,0,1] op_sel_hi:[1,1,0] neg_lo:[0,0,1] neg_hi:[0,0,1]
	v_pk_fma_f32 v[4:5], v[4:5], v[0:1], v[8:9] op_sel:[0,0,1] op_sel_hi:[1,0,0]
	v_mov_b32_e32 v11, v5
	v_pk_mul_f32 v[4:5], v[6:7], v[2:3] op_sel:[0,1]
	s_delay_alu instid0(VALU_DEP_2) | instskip(NEXT) | instid1(VALU_DEP_2)
	v_pk_add_f32 v[34:35], v[34:35], v[10:11] neg_lo:[0,1] neg_hi:[0,1]
	v_pk_fma_f32 v[8:9], v[6:7], v[0:1], v[4:5] op_sel:[0,0,1] op_sel_hi:[1,1,0] neg_lo:[0,0,1] neg_hi:[0,0,1]
	v_pk_fma_f32 v[4:5], v[6:7], v[0:1], v[4:5] op_sel:[0,0,1] op_sel_hi:[1,0,0]
	s_delay_alu instid0(VALU_DEP_1) | instskip(SKIP_4) | instid1(VALU_DEP_1)
	v_mov_b32_e32 v9, v5
	ds_load_2addr_b64 v[4:7], v196 offset0:13 offset1:14
	v_pk_add_f32 v[64:65], v[64:65], v[8:9] neg_lo:[0,1] neg_hi:[0,1]
	s_wait_dscnt 0x0
	v_pk_mul_f32 v[8:9], v[4:5], v[2:3] op_sel:[0,1]
	v_pk_fma_f32 v[10:11], v[4:5], v[0:1], v[8:9] op_sel:[0,0,1] op_sel_hi:[1,1,0] neg_lo:[0,0,1] neg_hi:[0,0,1]
	v_pk_fma_f32 v[4:5], v[4:5], v[0:1], v[8:9] op_sel:[0,0,1] op_sel_hi:[1,0,0]
	v_dual_mul_f32 v8, v7, v3 :: v_dual_mov_b32 v4, v7
	s_delay_alu instid0(VALU_DEP_2) | instskip(NEXT) | instid1(VALU_DEP_2)
	v_dual_mov_b32 v11, v5 :: v_dual_mov_b32 v5, v6
	v_pk_fma_f32 v[8:9], v[6:7], v[54:55], v[8:9] op_sel_hi:[1,1,0] neg_lo:[0,0,1] neg_hi:[0,0,1]
	v_mul_f32_e32 v6, v7, v0
	s_delay_alu instid0(VALU_DEP_3) | instskip(NEXT) | instid1(VALU_DEP_2)
	v_pk_add_f32 v[60:61], v[60:61], v[10:11] neg_lo:[0,1] neg_hi:[0,1]
	v_pk_fma_f32 v[4:5], v[4:5], v[54:55], v[6:7] op_sel_hi:[1,1,0]
	s_delay_alu instid0(VALU_DEP_1) | instskip(SKIP_4) | instid1(VALU_DEP_1)
	v_mov_b32_e32 v9, v5
	ds_load_2addr_b64 v[4:7], v196 offset0:15 offset1:16
	v_pk_add_f32 v[62:63], v[62:63], v[8:9] neg_lo:[0,1] neg_hi:[0,1]
	s_wait_dscnt 0x0
	v_pk_mul_f32 v[8:9], v[4:5], v[2:3] op_sel:[0,1]
	v_pk_fma_f32 v[10:11], v[4:5], v[0:1], v[8:9] op_sel:[0,0,1] op_sel_hi:[1,1,0] neg_lo:[0,0,1] neg_hi:[0,0,1]
	v_pk_fma_f32 v[4:5], v[4:5], v[0:1], v[8:9] op_sel:[0,0,1] op_sel_hi:[1,0,0]
	s_delay_alu instid0(VALU_DEP_1) | instskip(SKIP_1) | instid1(VALU_DEP_1)
	v_mov_b32_e32 v11, v5
	v_pk_mul_f32 v[4:5], v[6:7], v[2:3] op_sel:[0,1]
	v_pk_fma_f32 v[8:9], v[6:7], v[0:1], v[4:5] op_sel:[0,0,1] op_sel_hi:[1,1,0] neg_lo:[0,0,1] neg_hi:[0,0,1]
	v_pk_fma_f32 v[4:5], v[6:7], v[0:1], v[4:5] op_sel:[0,0,1] op_sel_hi:[1,0,0]
	s_delay_alu instid0(VALU_DEP_1)
	v_mov_b32_e32 v9, v5
	ds_load_2addr_b64 v[4:7], v196 offset0:17 offset1:18
	v_pk_add_f32 v[58:59], v[58:59], v[10:11] neg_lo:[0,1] neg_hi:[0,1]
	v_pk_add_f32 v[82:83], v[82:83], v[8:9] neg_lo:[0,1] neg_hi:[0,1]
	s_wait_dscnt 0x0
	v_pk_mul_f32 v[8:9], v[4:5], v[2:3] op_sel:[0,1]
	s_delay_alu instid0(VALU_DEP_1) | instskip(SKIP_1) | instid1(VALU_DEP_1)
	v_pk_fma_f32 v[10:11], v[4:5], v[0:1], v[8:9] op_sel:[0,0,1] op_sel_hi:[1,1,0] neg_lo:[0,0,1] neg_hi:[0,0,1]
	v_pk_fma_f32 v[4:5], v[4:5], v[0:1], v[8:9] op_sel:[0,0,1] op_sel_hi:[1,0,0]
	v_mov_b32_e32 v11, v5
	v_pk_mul_f32 v[4:5], v[6:7], v[2:3] op_sel:[0,1]
	s_delay_alu instid0(VALU_DEP_1) | instskip(SKIP_1) | instid1(VALU_DEP_1)
	v_pk_fma_f32 v[8:9], v[6:7], v[0:1], v[4:5] op_sel:[0,0,1] op_sel_hi:[1,1,0] neg_lo:[0,0,1] neg_hi:[0,0,1]
	v_pk_fma_f32 v[4:5], v[6:7], v[0:1], v[4:5] op_sel:[0,0,1] op_sel_hi:[1,0,0]
	v_mov_b32_e32 v9, v5
	ds_load_2addr_b64 v[4:7], v196 offset0:19 offset1:20
	v_pk_add_f32 v[78:79], v[78:79], v[10:11] neg_lo:[0,1] neg_hi:[0,1]
	v_pk_add_f32 v[80:81], v[80:81], v[8:9] neg_lo:[0,1] neg_hi:[0,1]
	s_wait_dscnt 0x0
	v_dual_mul_f32 v8, v5, v3 :: v_dual_mul_f32 v10, v5, v0
	s_delay_alu instid0(VALU_DEP_1) | instskip(NEXT) | instid1(VALU_DEP_2)
	v_pk_fma_f32 v[8:9], v[4:5], v[54:55], v[8:9] op_sel_hi:[1,1,0] neg_lo:[0,0,1] neg_hi:[0,0,1]
	v_pk_fma_f32 v[4:5], v[4:5], v[54:55], v[10:11] op_sel:[1,0,0] op_sel_hi:[0,1,0]
	s_delay_alu instid0(VALU_DEP_1) | instskip(SKIP_1) | instid1(VALU_DEP_2)
	v_mov_b32_e32 v9, v5
	v_pk_mul_f32 v[4:5], v[6:7], v[2:3] op_sel:[0,1]
	v_pk_add_f32 v[76:77], v[76:77], v[8:9] neg_lo:[0,1] neg_hi:[0,1]
	s_delay_alu instid0(VALU_DEP_2) | instskip(SKIP_1) | instid1(VALU_DEP_1)
	v_pk_fma_f32 v[8:9], v[6:7], v[0:1], v[4:5] op_sel:[0,0,1] op_sel_hi:[1,1,0] neg_lo:[0,0,1] neg_hi:[0,0,1]
	v_pk_fma_f32 v[4:5], v[6:7], v[0:1], v[4:5] op_sel:[0,0,1] op_sel_hi:[1,0,0]
	v_mov_b32_e32 v9, v5
	ds_load_2addr_b64 v[4:7], v196 offset0:21 offset1:22
	v_pk_add_f32 v[98:99], v[98:99], v[8:9] neg_lo:[0,1] neg_hi:[0,1]
	s_wait_dscnt 0x0
	v_pk_mul_f32 v[8:9], v[4:5], v[2:3] op_sel:[0,1]
	s_delay_alu instid0(VALU_DEP_1) | instskip(SKIP_1) | instid1(VALU_DEP_1)
	v_pk_fma_f32 v[10:11], v[4:5], v[0:1], v[8:9] op_sel:[0,0,1] op_sel_hi:[1,1,0] neg_lo:[0,0,1] neg_hi:[0,0,1]
	v_pk_fma_f32 v[4:5], v[4:5], v[0:1], v[8:9] op_sel:[0,0,1] op_sel_hi:[1,0,0]
	v_mov_b32_e32 v11, v5
	v_pk_mul_f32 v[4:5], v[6:7], v[2:3] op_sel:[0,1]
	s_delay_alu instid0(VALU_DEP_2) | instskip(NEXT) | instid1(VALU_DEP_2)
	v_pk_add_f32 v[94:95], v[94:95], v[10:11] neg_lo:[0,1] neg_hi:[0,1]
	v_pk_fma_f32 v[8:9], v[6:7], v[0:1], v[4:5] op_sel:[0,0,1] op_sel_hi:[1,1,0] neg_lo:[0,0,1] neg_hi:[0,0,1]
	v_pk_fma_f32 v[4:5], v[6:7], v[0:1], v[4:5] op_sel:[0,0,1] op_sel_hi:[1,0,0]
	s_delay_alu instid0(VALU_DEP_1) | instskip(SKIP_4) | instid1(VALU_DEP_1)
	v_mov_b32_e32 v9, v5
	ds_load_2addr_b64 v[4:7], v196 offset0:23 offset1:24
	v_pk_add_f32 v[96:97], v[96:97], v[8:9] neg_lo:[0,1] neg_hi:[0,1]
	s_wait_dscnt 0x0
	v_pk_mul_f32 v[8:9], v[4:5], v[2:3] op_sel:[0,1]
	v_pk_fma_f32 v[10:11], v[4:5], v[0:1], v[8:9] op_sel:[0,0,1] op_sel_hi:[1,1,0] neg_lo:[0,0,1] neg_hi:[0,0,1]
	v_pk_fma_f32 v[4:5], v[4:5], v[0:1], v[8:9] op_sel:[0,0,1] op_sel_hi:[1,0,0]
	v_dual_mul_f32 v8, v7, v3 :: v_dual_mov_b32 v4, v7
	s_delay_alu instid0(VALU_DEP_2) | instskip(NEXT) | instid1(VALU_DEP_2)
	v_dual_mov_b32 v11, v5 :: v_dual_mov_b32 v5, v6
	v_pk_fma_f32 v[8:9], v[6:7], v[54:55], v[8:9] op_sel_hi:[1,1,0] neg_lo:[0,0,1] neg_hi:[0,0,1]
	v_mul_f32_e32 v6, v7, v0
	s_delay_alu instid0(VALU_DEP_3) | instskip(NEXT) | instid1(VALU_DEP_2)
	v_pk_add_f32 v[92:93], v[92:93], v[10:11] neg_lo:[0,1] neg_hi:[0,1]
	v_pk_fma_f32 v[4:5], v[4:5], v[54:55], v[6:7] op_sel_hi:[1,1,0]
	s_delay_alu instid0(VALU_DEP_1) | instskip(SKIP_4) | instid1(VALU_DEP_1)
	v_mov_b32_e32 v9, v5
	ds_load_2addr_b64 v[4:7], v196 offset0:25 offset1:26
	v_pk_add_f32 v[114:115], v[114:115], v[8:9] neg_lo:[0,1] neg_hi:[0,1]
	s_wait_dscnt 0x0
	v_pk_mul_f32 v[8:9], v[4:5], v[2:3] op_sel:[0,1]
	v_pk_fma_f32 v[10:11], v[4:5], v[0:1], v[8:9] op_sel:[0,0,1] op_sel_hi:[1,1,0] neg_lo:[0,0,1] neg_hi:[0,0,1]
	v_pk_fma_f32 v[4:5], v[4:5], v[0:1], v[8:9] op_sel:[0,0,1] op_sel_hi:[1,0,0]
	s_delay_alu instid0(VALU_DEP_1) | instskip(SKIP_1) | instid1(VALU_DEP_1)
	v_mov_b32_e32 v11, v5
	v_pk_mul_f32 v[4:5], v[6:7], v[2:3] op_sel:[0,1]
	v_pk_fma_f32 v[8:9], v[6:7], v[0:1], v[4:5] op_sel:[0,0,1] op_sel_hi:[1,1,0] neg_lo:[0,0,1] neg_hi:[0,0,1]
	v_pk_fma_f32 v[4:5], v[6:7], v[0:1], v[4:5] op_sel:[0,0,1] op_sel_hi:[1,0,0]
	s_delay_alu instid0(VALU_DEP_1)
	v_mov_b32_e32 v9, v5
	ds_load_2addr_b64 v[4:7], v196 offset0:27 offset1:28
	v_pk_add_f32 v[110:111], v[110:111], v[10:11] neg_lo:[0,1] neg_hi:[0,1]
	v_pk_add_f32 v[112:113], v[112:113], v[8:9] neg_lo:[0,1] neg_hi:[0,1]
	s_wait_dscnt 0x0
	v_pk_mul_f32 v[8:9], v[4:5], v[2:3] op_sel:[0,1]
	s_delay_alu instid0(VALU_DEP_1) | instskip(SKIP_1) | instid1(VALU_DEP_1)
	v_pk_fma_f32 v[10:11], v[4:5], v[0:1], v[8:9] op_sel:[0,0,1] op_sel_hi:[1,1,0] neg_lo:[0,0,1] neg_hi:[0,0,1]
	v_pk_fma_f32 v[4:5], v[4:5], v[0:1], v[8:9] op_sel:[0,0,1] op_sel_hi:[1,0,0]
	v_mov_b32_e32 v11, v5
	v_pk_mul_f32 v[4:5], v[6:7], v[2:3] op_sel:[0,1]
	s_delay_alu instid0(VALU_DEP_1) | instskip(SKIP_1) | instid1(VALU_DEP_1)
	v_pk_fma_f32 v[8:9], v[6:7], v[0:1], v[4:5] op_sel:[0,0,1] op_sel_hi:[1,1,0] neg_lo:[0,0,1] neg_hi:[0,0,1]
	v_pk_fma_f32 v[4:5], v[6:7], v[0:1], v[4:5] op_sel:[0,0,1] op_sel_hi:[1,0,0]
	v_mov_b32_e32 v9, v5
	ds_load_2addr_b64 v[4:7], v196 offset0:29 offset1:30
	v_pk_add_f32 v[108:109], v[108:109], v[10:11] neg_lo:[0,1] neg_hi:[0,1]
	v_pk_add_f32 v[130:131], v[130:131], v[8:9] neg_lo:[0,1] neg_hi:[0,1]
	s_wait_dscnt 0x0
	v_dual_mul_f32 v8, v5, v3 :: v_dual_mul_f32 v10, v5, v0
	s_delay_alu instid0(VALU_DEP_1) | instskip(NEXT) | instid1(VALU_DEP_2)
	v_pk_fma_f32 v[8:9], v[4:5], v[54:55], v[8:9] op_sel_hi:[1,1,0] neg_lo:[0,0,1] neg_hi:[0,0,1]
	v_pk_fma_f32 v[4:5], v[4:5], v[54:55], v[10:11] op_sel:[1,0,0] op_sel_hi:[0,1,0]
	s_delay_alu instid0(VALU_DEP_1) | instskip(SKIP_1) | instid1(VALU_DEP_2)
	v_mov_b32_e32 v9, v5
	v_pk_mul_f32 v[4:5], v[6:7], v[2:3] op_sel:[0,1]
	v_pk_add_f32 v[126:127], v[126:127], v[8:9] neg_lo:[0,1] neg_hi:[0,1]
	s_delay_alu instid0(VALU_DEP_2) | instskip(SKIP_1) | instid1(VALU_DEP_1)
	v_pk_fma_f32 v[8:9], v[6:7], v[0:1], v[4:5] op_sel:[0,0,1] op_sel_hi:[1,1,0] neg_lo:[0,0,1] neg_hi:[0,0,1]
	v_pk_fma_f32 v[4:5], v[6:7], v[0:1], v[4:5] op_sel:[0,0,1] op_sel_hi:[1,0,0]
	v_mov_b32_e32 v9, v5
	ds_load_2addr_b64 v[4:7], v196 offset0:31 offset1:32
	v_pk_add_f32 v[128:129], v[128:129], v[8:9] neg_lo:[0,1] neg_hi:[0,1]
	s_wait_dscnt 0x0
	v_pk_mul_f32 v[8:9], v[4:5], v[2:3] op_sel:[0,1]
	s_delay_alu instid0(VALU_DEP_1) | instskip(SKIP_1) | instid1(VALU_DEP_1)
	v_pk_fma_f32 v[10:11], v[4:5], v[0:1], v[8:9] op_sel:[0,0,1] op_sel_hi:[1,1,0] neg_lo:[0,0,1] neg_hi:[0,0,1]
	v_pk_fma_f32 v[4:5], v[4:5], v[0:1], v[8:9] op_sel:[0,0,1] op_sel_hi:[1,0,0]
	v_mov_b32_e32 v11, v5
	v_pk_mul_f32 v[4:5], v[6:7], v[2:3] op_sel:[0,1]
	s_delay_alu instid0(VALU_DEP_2) | instskip(NEXT) | instid1(VALU_DEP_2)
	v_pk_add_f32 v[124:125], v[124:125], v[10:11] neg_lo:[0,1] neg_hi:[0,1]
	v_pk_fma_f32 v[8:9], v[6:7], v[0:1], v[4:5] op_sel:[0,0,1] op_sel_hi:[1,1,0] neg_lo:[0,0,1] neg_hi:[0,0,1]
	v_pk_fma_f32 v[4:5], v[6:7], v[0:1], v[4:5] op_sel:[0,0,1] op_sel_hi:[1,0,0]
	s_delay_alu instid0(VALU_DEP_1) | instskip(SKIP_4) | instid1(VALU_DEP_1)
	v_mov_b32_e32 v9, v5
	ds_load_2addr_b64 v[4:7], v196 offset0:33 offset1:34
	v_pk_add_f32 v[146:147], v[146:147], v[8:9] neg_lo:[0,1] neg_hi:[0,1]
	s_wait_dscnt 0x0
	v_pk_mul_f32 v[8:9], v[4:5], v[2:3] op_sel:[0,1]
	v_pk_fma_f32 v[10:11], v[4:5], v[0:1], v[8:9] op_sel:[0,0,1] op_sel_hi:[1,1,0] neg_lo:[0,0,1] neg_hi:[0,0,1]
	v_pk_fma_f32 v[4:5], v[4:5], v[0:1], v[8:9] op_sel:[0,0,1] op_sel_hi:[1,0,0]
	v_dual_mul_f32 v8, v7, v3 :: v_dual_mov_b32 v4, v7
	s_delay_alu instid0(VALU_DEP_2) | instskip(NEXT) | instid1(VALU_DEP_2)
	v_dual_mov_b32 v11, v5 :: v_dual_mov_b32 v5, v6
	v_pk_fma_f32 v[8:9], v[6:7], v[54:55], v[8:9] op_sel_hi:[1,1,0] neg_lo:[0,0,1] neg_hi:[0,0,1]
	v_mul_f32_e32 v6, v7, v0
	s_delay_alu instid0(VALU_DEP_3) | instskip(NEXT) | instid1(VALU_DEP_2)
	v_pk_add_f32 v[142:143], v[142:143], v[10:11] neg_lo:[0,1] neg_hi:[0,1]
	v_pk_fma_f32 v[4:5], v[4:5], v[54:55], v[6:7] op_sel_hi:[1,1,0]
	s_delay_alu instid0(VALU_DEP_1) | instskip(SKIP_4) | instid1(VALU_DEP_1)
	v_mov_b32_e32 v9, v5
	ds_load_2addr_b64 v[4:7], v196 offset0:35 offset1:36
	v_pk_add_f32 v[144:145], v[144:145], v[8:9] neg_lo:[0,1] neg_hi:[0,1]
	s_wait_dscnt 0x0
	v_pk_mul_f32 v[8:9], v[4:5], v[2:3] op_sel:[0,1]
	v_pk_fma_f32 v[10:11], v[4:5], v[0:1], v[8:9] op_sel:[0,0,1] op_sel_hi:[1,1,0] neg_lo:[0,0,1] neg_hi:[0,0,1]
	v_pk_fma_f32 v[4:5], v[4:5], v[0:1], v[8:9] op_sel:[0,0,1] op_sel_hi:[1,0,0]
	s_delay_alu instid0(VALU_DEP_1) | instskip(SKIP_1) | instid1(VALU_DEP_1)
	v_mov_b32_e32 v11, v5
	v_pk_mul_f32 v[4:5], v[6:7], v[2:3] op_sel:[0,1]
	v_pk_fma_f32 v[8:9], v[6:7], v[0:1], v[4:5] op_sel:[0,0,1] op_sel_hi:[1,1,0] neg_lo:[0,0,1] neg_hi:[0,0,1]
	v_pk_fma_f32 v[4:5], v[6:7], v[0:1], v[4:5] op_sel:[0,0,1] op_sel_hi:[1,0,0]
	s_delay_alu instid0(VALU_DEP_1)
	v_mov_b32_e32 v9, v5
	ds_load_2addr_b64 v[4:7], v196 offset0:37 offset1:38
	v_pk_add_f32 v[140:141], v[140:141], v[10:11] neg_lo:[0,1] neg_hi:[0,1]
	v_pk_add_f32 v[162:163], v[162:163], v[8:9] neg_lo:[0,1] neg_hi:[0,1]
	s_wait_dscnt 0x0
	v_pk_mul_f32 v[8:9], v[4:5], v[2:3] op_sel:[0,1]
	s_delay_alu instid0(VALU_DEP_1) | instskip(SKIP_1) | instid1(VALU_DEP_1)
	v_pk_fma_f32 v[10:11], v[4:5], v[0:1], v[8:9] op_sel:[0,0,1] op_sel_hi:[1,1,0] neg_lo:[0,0,1] neg_hi:[0,0,1]
	v_pk_fma_f32 v[4:5], v[4:5], v[0:1], v[8:9] op_sel:[0,0,1] op_sel_hi:[1,0,0]
	v_mov_b32_e32 v11, v5
	v_pk_mul_f32 v[4:5], v[6:7], v[2:3] op_sel:[0,1]
	s_delay_alu instid0(VALU_DEP_1) | instskip(SKIP_1) | instid1(VALU_DEP_1)
	v_pk_fma_f32 v[8:9], v[6:7], v[0:1], v[4:5] op_sel:[0,0,1] op_sel_hi:[1,1,0] neg_lo:[0,0,1] neg_hi:[0,0,1]
	v_pk_fma_f32 v[4:5], v[6:7], v[0:1], v[4:5] op_sel:[0,0,1] op_sel_hi:[1,0,0]
	v_mov_b32_e32 v9, v5
	ds_load_2addr_b64 v[4:7], v196 offset0:39 offset1:40
	v_pk_add_f32 v[158:159], v[158:159], v[10:11] neg_lo:[0,1] neg_hi:[0,1]
	v_pk_add_f32 v[160:161], v[160:161], v[8:9] neg_lo:[0,1] neg_hi:[0,1]
	s_wait_dscnt 0x0
	v_dual_mul_f32 v8, v5, v3 :: v_dual_mul_f32 v10, v5, v0
	s_delay_alu instid0(VALU_DEP_1) | instskip(NEXT) | instid1(VALU_DEP_2)
	v_pk_fma_f32 v[8:9], v[4:5], v[54:55], v[8:9] op_sel_hi:[1,1,0] neg_lo:[0,0,1] neg_hi:[0,0,1]
	v_pk_fma_f32 v[4:5], v[4:5], v[54:55], v[10:11] op_sel:[1,0,0] op_sel_hi:[0,1,0]
	s_delay_alu instid0(VALU_DEP_1) | instskip(SKIP_1) | instid1(VALU_DEP_2)
	v_mov_b32_e32 v9, v5
	v_pk_mul_f32 v[4:5], v[6:7], v[2:3] op_sel:[0,1]
	v_pk_add_f32 v[156:157], v[156:157], v[8:9] neg_lo:[0,1] neg_hi:[0,1]
	s_delay_alu instid0(VALU_DEP_2) | instskip(SKIP_1) | instid1(VALU_DEP_1)
	v_pk_fma_f32 v[8:9], v[6:7], v[0:1], v[4:5] op_sel:[0,0,1] op_sel_hi:[1,1,0] neg_lo:[0,0,1] neg_hi:[0,0,1]
	v_pk_fma_f32 v[4:5], v[6:7], v[0:1], v[4:5] op_sel:[0,0,1] op_sel_hi:[1,0,0]
	v_mov_b32_e32 v9, v5
	ds_load_2addr_b64 v[4:7], v196 offset0:41 offset1:42
	v_pk_add_f32 v[178:179], v[178:179], v[8:9] neg_lo:[0,1] neg_hi:[0,1]
	s_wait_dscnt 0x0
	v_pk_mul_f32 v[8:9], v[4:5], v[2:3] op_sel:[0,1]
	s_delay_alu instid0(VALU_DEP_1) | instskip(SKIP_1) | instid1(VALU_DEP_1)
	v_pk_fma_f32 v[10:11], v[4:5], v[0:1], v[8:9] op_sel:[0,0,1] op_sel_hi:[1,1,0] neg_lo:[0,0,1] neg_hi:[0,0,1]
	v_pk_fma_f32 v[4:5], v[4:5], v[0:1], v[8:9] op_sel:[0,0,1] op_sel_hi:[1,0,0]
	v_mov_b32_e32 v11, v5
	v_pk_mul_f32 v[4:5], v[6:7], v[2:3] op_sel:[0,1]
	s_delay_alu instid0(VALU_DEP_2) | instskip(NEXT) | instid1(VALU_DEP_2)
	v_pk_add_f32 v[174:175], v[174:175], v[10:11] neg_lo:[0,1] neg_hi:[0,1]
	v_pk_fma_f32 v[8:9], v[6:7], v[0:1], v[4:5] op_sel:[0,0,1] op_sel_hi:[1,1,0] neg_lo:[0,0,1] neg_hi:[0,0,1]
	v_pk_fma_f32 v[4:5], v[6:7], v[0:1], v[4:5] op_sel:[0,0,1] op_sel_hi:[1,0,0]
	s_delay_alu instid0(VALU_DEP_1) | instskip(SKIP_4) | instid1(VALU_DEP_1)
	v_mov_b32_e32 v9, v5
	ds_load_2addr_b64 v[4:7], v196 offset0:43 offset1:44
	v_pk_add_f32 v[176:177], v[176:177], v[8:9] neg_lo:[0,1] neg_hi:[0,1]
	s_wait_dscnt 0x0
	v_pk_mul_f32 v[8:9], v[4:5], v[2:3] op_sel:[0,1]
	v_pk_fma_f32 v[10:11], v[4:5], v[0:1], v[8:9] op_sel:[0,0,1] op_sel_hi:[1,1,0] neg_lo:[0,0,1] neg_hi:[0,0,1]
	v_pk_fma_f32 v[4:5], v[4:5], v[0:1], v[8:9] op_sel:[0,0,1] op_sel_hi:[1,0,0]
	v_dual_mul_f32 v8, v7, v3 :: v_dual_mov_b32 v4, v7
	s_delay_alu instid0(VALU_DEP_2) | instskip(NEXT) | instid1(VALU_DEP_2)
	v_dual_mov_b32 v11, v5 :: v_dual_mov_b32 v5, v6
	v_pk_fma_f32 v[8:9], v[6:7], v[54:55], v[8:9] op_sel_hi:[1,1,0] neg_lo:[0,0,1] neg_hi:[0,0,1]
	v_mul_f32_e32 v6, v7, v0
	s_delay_alu instid0(VALU_DEP_3) | instskip(NEXT) | instid1(VALU_DEP_2)
	v_pk_add_f32 v[172:173], v[172:173], v[10:11] neg_lo:[0,1] neg_hi:[0,1]
	v_pk_fma_f32 v[4:5], v[4:5], v[54:55], v[6:7] op_sel_hi:[1,1,0]
	s_delay_alu instid0(VALU_DEP_1) | instskip(SKIP_4) | instid1(VALU_DEP_1)
	v_mov_b32_e32 v9, v5
	ds_load_2addr_b64 v[4:7], v196 offset0:45 offset1:46
	v_pk_add_f32 v[194:195], v[194:195], v[8:9] neg_lo:[0,1] neg_hi:[0,1]
	s_wait_dscnt 0x0
	v_pk_mul_f32 v[8:9], v[4:5], v[2:3] op_sel:[0,1]
	v_pk_fma_f32 v[10:11], v[4:5], v[0:1], v[8:9] op_sel:[0,0,1] op_sel_hi:[1,1,0] neg_lo:[0,0,1] neg_hi:[0,0,1]
	v_pk_fma_f32 v[4:5], v[4:5], v[0:1], v[8:9] op_sel:[0,0,1] op_sel_hi:[1,0,0]
	s_delay_alu instid0(VALU_DEP_1) | instskip(SKIP_1) | instid1(VALU_DEP_1)
	v_mov_b32_e32 v11, v5
	v_pk_mul_f32 v[4:5], v[6:7], v[2:3] op_sel:[0,1]
	v_pk_fma_f32 v[8:9], v[6:7], v[0:1], v[4:5] op_sel:[0,0,1] op_sel_hi:[1,1,0] neg_lo:[0,0,1] neg_hi:[0,0,1]
	v_pk_fma_f32 v[4:5], v[6:7], v[0:1], v[4:5] op_sel:[0,0,1] op_sel_hi:[1,0,0]
	s_delay_alu instid0(VALU_DEP_1)
	v_mov_b32_e32 v9, v5
	ds_load_2addr_b64 v[4:7], v196 offset0:47 offset1:48
	v_pk_add_f32 v[190:191], v[190:191], v[10:11] neg_lo:[0,1] neg_hi:[0,1]
	v_pk_add_f32 v[192:193], v[192:193], v[8:9] neg_lo:[0,1] neg_hi:[0,1]
	s_wait_dscnt 0x0
	v_pk_mul_f32 v[8:9], v[4:5], v[2:3] op_sel:[0,1]
	s_delay_alu instid0(VALU_DEP_1) | instskip(SKIP_1) | instid1(VALU_DEP_1)
	v_pk_fma_f32 v[10:11], v[4:5], v[0:1], v[8:9] op_sel:[0,0,1] op_sel_hi:[1,1,0] neg_lo:[0,0,1] neg_hi:[0,0,1]
	v_pk_fma_f32 v[4:5], v[4:5], v[0:1], v[8:9] op_sel:[0,0,1] op_sel_hi:[1,0,0]
	v_mov_b32_e32 v11, v5
	v_pk_mul_f32 v[4:5], v[6:7], v[2:3] op_sel:[0,1]
	s_delay_alu instid0(VALU_DEP_1) | instskip(SKIP_1) | instid1(VALU_DEP_1)
	v_pk_fma_f32 v[8:9], v[6:7], v[0:1], v[4:5] op_sel:[0,0,1] op_sel_hi:[1,1,0] neg_lo:[0,0,1] neg_hi:[0,0,1]
	v_pk_fma_f32 v[4:5], v[6:7], v[0:1], v[4:5] op_sel:[0,0,1] op_sel_hi:[1,0,0]
	v_mov_b32_e32 v9, v5
	ds_load_2addr_b64 v[4:7], v196 offset0:49 offset1:50
	v_pk_add_f32 v[188:189], v[188:189], v[10:11] neg_lo:[0,1] neg_hi:[0,1]
	v_pk_add_f32 v[212:213], v[212:213], v[8:9] neg_lo:[0,1] neg_hi:[0,1]
	s_wait_dscnt 0x0
	v_dual_mul_f32 v8, v5, v3 :: v_dual_mul_f32 v10, v5, v0
	s_delay_alu instid0(VALU_DEP_1) | instskip(NEXT) | instid1(VALU_DEP_2)
	v_pk_fma_f32 v[8:9], v[4:5], v[54:55], v[8:9] op_sel_hi:[1,1,0] neg_lo:[0,0,1] neg_hi:[0,0,1]
	v_pk_fma_f32 v[4:5], v[4:5], v[54:55], v[10:11] op_sel:[1,0,0] op_sel_hi:[0,1,0]
	s_delay_alu instid0(VALU_DEP_1) | instskip(SKIP_1) | instid1(VALU_DEP_2)
	v_mov_b32_e32 v9, v5
	v_pk_mul_f32 v[4:5], v[6:7], v[2:3] op_sel:[0,1]
	v_pk_add_f32 v[208:209], v[208:209], v[8:9] neg_lo:[0,1] neg_hi:[0,1]
	s_delay_alu instid0(VALU_DEP_2) | instskip(SKIP_1) | instid1(VALU_DEP_1)
	v_pk_fma_f32 v[8:9], v[6:7], v[0:1], v[4:5] op_sel:[0,0,1] op_sel_hi:[1,1,0] neg_lo:[0,0,1] neg_hi:[0,0,1]
	v_pk_fma_f32 v[4:5], v[6:7], v[0:1], v[4:5] op_sel:[0,0,1] op_sel_hi:[1,0,0]
	v_mov_b32_e32 v9, v5
	ds_load_2addr_b64 v[4:7], v196 offset0:51 offset1:52
	v_pk_add_f32 v[210:211], v[210:211], v[8:9] neg_lo:[0,1] neg_hi:[0,1]
	s_wait_dscnt 0x0
	v_pk_mul_f32 v[8:9], v[4:5], v[2:3] op_sel:[0,1]
	s_delay_alu instid0(VALU_DEP_1) | instskip(SKIP_1) | instid1(VALU_DEP_1)
	v_pk_fma_f32 v[10:11], v[4:5], v[0:1], v[8:9] op_sel:[0,0,1] op_sel_hi:[1,1,0] neg_lo:[0,0,1] neg_hi:[0,0,1]
	v_pk_fma_f32 v[4:5], v[4:5], v[0:1], v[8:9] op_sel:[0,0,1] op_sel_hi:[1,0,0]
	v_mov_b32_e32 v11, v5
	v_pk_mul_f32 v[4:5], v[6:7], v[2:3] op_sel:[0,1]
	s_delay_alu instid0(VALU_DEP_2) | instskip(NEXT) | instid1(VALU_DEP_2)
	v_pk_add_f32 v[206:207], v[206:207], v[10:11] neg_lo:[0,1] neg_hi:[0,1]
	v_pk_fma_f32 v[8:9], v[6:7], v[0:1], v[4:5] op_sel:[0,0,1] op_sel_hi:[1,1,0] neg_lo:[0,0,1] neg_hi:[0,0,1]
	v_pk_fma_f32 v[4:5], v[6:7], v[0:1], v[4:5] op_sel:[0,0,1] op_sel_hi:[1,0,0]
	s_delay_alu instid0(VALU_DEP_1) | instskip(SKIP_4) | instid1(VALU_DEP_1)
	v_mov_b32_e32 v9, v5
	ds_load_2addr_b64 v[4:7], v196 offset0:53 offset1:54
	v_pk_add_f32 v[228:229], v[228:229], v[8:9] neg_lo:[0,1] neg_hi:[0,1]
	s_wait_dscnt 0x0
	v_pk_mul_f32 v[8:9], v[4:5], v[2:3] op_sel:[0,1]
	v_pk_fma_f32 v[10:11], v[4:5], v[0:1], v[8:9] op_sel:[0,0,1] op_sel_hi:[1,1,0] neg_lo:[0,0,1] neg_hi:[0,0,1]
	v_pk_fma_f32 v[4:5], v[4:5], v[0:1], v[8:9] op_sel:[0,0,1] op_sel_hi:[1,0,0]
	v_dual_mul_f32 v8, v7, v3 :: v_dual_mov_b32 v4, v7
	s_delay_alu instid0(VALU_DEP_2) | instskip(NEXT) | instid1(VALU_DEP_2)
	v_dual_mov_b32 v11, v5 :: v_dual_mov_b32 v5, v6
	v_pk_fma_f32 v[8:9], v[6:7], v[54:55], v[8:9] op_sel_hi:[1,1,0] neg_lo:[0,0,1] neg_hi:[0,0,1]
	v_mul_f32_e32 v6, v7, v0
	s_delay_alu instid0(VALU_DEP_3) | instskip(NEXT) | instid1(VALU_DEP_2)
	v_pk_add_f32 v[224:225], v[224:225], v[10:11] neg_lo:[0,1] neg_hi:[0,1]
	v_pk_fma_f32 v[4:5], v[4:5], v[54:55], v[6:7] op_sel_hi:[1,1,0]
	s_delay_alu instid0(VALU_DEP_1) | instskip(SKIP_4) | instid1(VALU_DEP_1)
	v_mov_b32_e32 v9, v5
	ds_load_2addr_b64 v[4:7], v196 offset0:55 offset1:56
	v_pk_add_f32 v[226:227], v[226:227], v[8:9] neg_lo:[0,1] neg_hi:[0,1]
	s_wait_dscnt 0x0
	v_pk_mul_f32 v[8:9], v[4:5], v[2:3] op_sel:[0,1]
	v_pk_fma_f32 v[10:11], v[4:5], v[0:1], v[8:9] op_sel:[0,0,1] op_sel_hi:[1,1,0] neg_lo:[0,0,1] neg_hi:[0,0,1]
	v_pk_fma_f32 v[4:5], v[4:5], v[0:1], v[8:9] op_sel:[0,0,1] op_sel_hi:[1,0,0]
	s_delay_alu instid0(VALU_DEP_1) | instskip(SKIP_1) | instid1(VALU_DEP_1)
	v_mov_b32_e32 v11, v5
	v_pk_mul_f32 v[4:5], v[6:7], v[2:3] op_sel:[0,1]
	v_pk_fma_f32 v[8:9], v[6:7], v[0:1], v[4:5] op_sel:[0,0,1] op_sel_hi:[1,1,0] neg_lo:[0,0,1] neg_hi:[0,0,1]
	v_pk_fma_f32 v[4:5], v[6:7], v[0:1], v[4:5] op_sel:[0,0,1] op_sel_hi:[1,0,0]
	s_delay_alu instid0(VALU_DEP_1)
	v_mov_b32_e32 v9, v5
	ds_load_b64 v[4:5], v196 offset:456
	v_pk_add_f32 v[222:223], v[222:223], v[10:11] neg_lo:[0,1] neg_hi:[0,1]
	v_pk_add_f32 v[230:231], v[230:231], v[8:9] neg_lo:[0,1] neg_hi:[0,1]
	s_wait_dscnt 0x0
	v_pk_mul_f32 v[2:3], v[4:5], v[2:3] op_sel:[0,1]
	s_delay_alu instid0(VALU_DEP_1) | instskip(SKIP_1) | instid1(VALU_DEP_1)
	v_pk_fma_f32 v[6:7], v[4:5], v[0:1], v[2:3] op_sel:[0,0,1] op_sel_hi:[1,1,0] neg_lo:[0,0,1] neg_hi:[0,0,1]
	v_pk_fma_f32 v[0:1], v[4:5], v[0:1], v[2:3] op_sel:[0,0,1] op_sel_hi:[1,0,0]
	v_mov_b32_e32 v7, v1
	s_delay_alu instid0(VALU_DEP_1)
	v_pk_add_f32 v[232:233], v[232:233], v[6:7] neg_lo:[0,1] neg_hi:[0,1]
.LBB115_10:
	s_wait_xcnt 0x0
	s_or_b32 exec_lo, exec_lo, s2
	s_delay_alu instid0(SALU_CYCLE_1)
	s_mov_b32 s2, exec_lo
	s_wait_storecnt 0x0
	s_barrier_signal -1
	s_barrier_wait -1
	v_cmpx_eq_u32_e32 1, v186
	s_cbranch_execz .LBB115_17
; %bb.11:
	v_dual_mov_b32 v0, v46 :: v_dual_mov_b32 v1, v47
	v_dual_mov_b32 v2, v44 :: v_dual_mov_b32 v3, v45
	ds_store_b64 v187, v[56:57]
	ds_store_2addr_b64 v196, v[0:1], v[2:3] offset0:2 offset1:3
	v_dual_mov_b32 v0, v26 :: v_dual_mov_b32 v1, v27
	v_dual_mov_b32 v2, v22 :: v_dual_mov_b32 v3, v23
	ds_store_2addr_b64 v196, v[0:1], v[2:3] offset0:4 offset1:5
	v_dual_mov_b32 v0, v24 :: v_dual_mov_b32 v1, v25
	v_dual_mov_b32 v2, v20 :: v_dual_mov_b32 v3, v21
	;; [unrolled: 3-line block ×26, first 2 shown]
	ds_store_2addr_b64 v196, v[0:1], v[2:3] offset0:54 offset1:55
	v_dual_mov_b32 v0, v230 :: v_dual_mov_b32 v1, v231
	ds_store_2addr_b64 v196, v[0:1], v[232:233] offset0:56 offset1:57
	ds_load_b64 v[0:1], v187
	s_wait_dscnt 0x0
	v_cmp_neq_f32_e32 vcc_lo, 0, v0
	v_cmp_neq_f32_e64 s1, 0, v1
	s_or_b32 s1, vcc_lo, s1
	s_delay_alu instid0(SALU_CYCLE_1)
	s_and_b32 exec_lo, exec_lo, s1
	s_cbranch_execz .LBB115_17
; %bb.12:
	v_cmp_ngt_f32_e64 s1, |v0|, |v1|
                                        ; implicit-def: $vgpr2_vgpr3
	s_and_saveexec_b32 s4, s1
	s_delay_alu instid0(SALU_CYCLE_1)
	s_xor_b32 s1, exec_lo, s4
	s_cbranch_execz .LBB115_14
; %bb.13:
	v_div_scale_f32 v2, null, v1, v1, v0
	v_div_scale_f32 v5, vcc_lo, v0, v1, v0
	s_delay_alu instid0(VALU_DEP_2) | instskip(SKIP_1) | instid1(TRANS32_DEP_1)
	v_rcp_f32_e32 v3, v2
	v_nop
	v_fma_f32 v4, -v2, v3, 1.0
	s_delay_alu instid0(VALU_DEP_1) | instskip(NEXT) | instid1(VALU_DEP_1)
	v_fmac_f32_e32 v3, v4, v3
	v_mul_f32_e32 v4, v5, v3
	s_delay_alu instid0(VALU_DEP_1) | instskip(NEXT) | instid1(VALU_DEP_1)
	v_fma_f32 v6, -v2, v4, v5
	v_fmac_f32_e32 v4, v6, v3
	s_delay_alu instid0(VALU_DEP_1) | instskip(NEXT) | instid1(VALU_DEP_1)
	v_fma_f32 v2, -v2, v4, v5
	v_div_fmas_f32 v2, v2, v3, v4
	s_delay_alu instid0(VALU_DEP_1) | instskip(NEXT) | instid1(VALU_DEP_1)
	v_div_fixup_f32 v2, v2, v1, v0
	v_fmac_f32_e32 v1, v0, v2
	s_delay_alu instid0(VALU_DEP_1) | instskip(SKIP_1) | instid1(VALU_DEP_2)
	v_div_scale_f32 v0, null, v1, v1, 1.0
	v_div_scale_f32 v5, vcc_lo, 1.0, v1, 1.0
	v_rcp_f32_e32 v3, v0
	v_nop
	s_delay_alu instid0(TRANS32_DEP_1) | instskip(NEXT) | instid1(VALU_DEP_1)
	v_fma_f32 v4, -v0, v3, 1.0
	v_fmac_f32_e32 v3, v4, v3
	s_delay_alu instid0(VALU_DEP_1) | instskip(NEXT) | instid1(VALU_DEP_1)
	v_mul_f32_e32 v4, v5, v3
	v_fma_f32 v6, -v0, v4, v5
	s_delay_alu instid0(VALU_DEP_1) | instskip(NEXT) | instid1(VALU_DEP_1)
	v_fmac_f32_e32 v4, v6, v3
	v_fma_f32 v0, -v0, v4, v5
	s_delay_alu instid0(VALU_DEP_1) | instskip(NEXT) | instid1(VALU_DEP_1)
	v_div_fmas_f32 v0, v0, v3, v4
	v_div_fixup_f32 v0, v0, v1, 1.0
	s_delay_alu instid0(VALU_DEP_1)
	v_mul_f32_e32 v2, v2, v0
	v_xor_b32_e32 v3, 0x80000000, v0
                                        ; implicit-def: $vgpr0_vgpr1
.LBB115_14:
	s_and_not1_saveexec_b32 s1, s1
	s_cbranch_execz .LBB115_16
; %bb.15:
	v_div_scale_f32 v2, null, v0, v0, v1
	v_div_scale_f32 v5, vcc_lo, v1, v0, v1
	s_delay_alu instid0(VALU_DEP_2) | instskip(SKIP_1) | instid1(TRANS32_DEP_1)
	v_rcp_f32_e32 v3, v2
	v_nop
	v_fma_f32 v4, -v2, v3, 1.0
	s_delay_alu instid0(VALU_DEP_1) | instskip(NEXT) | instid1(VALU_DEP_1)
	v_fmac_f32_e32 v3, v4, v3
	v_mul_f32_e32 v4, v5, v3
	s_delay_alu instid0(VALU_DEP_1) | instskip(NEXT) | instid1(VALU_DEP_1)
	v_fma_f32 v6, -v2, v4, v5
	v_fmac_f32_e32 v4, v6, v3
	s_delay_alu instid0(VALU_DEP_1) | instskip(NEXT) | instid1(VALU_DEP_1)
	v_fma_f32 v2, -v2, v4, v5
	v_div_fmas_f32 v2, v2, v3, v4
	s_delay_alu instid0(VALU_DEP_1) | instskip(NEXT) | instid1(VALU_DEP_1)
	v_div_fixup_f32 v3, v2, v0, v1
	v_fmac_f32_e32 v0, v1, v3
	s_delay_alu instid0(VALU_DEP_1) | instskip(NEXT) | instid1(VALU_DEP_1)
	v_div_scale_f32 v1, null, v0, v0, 1.0
	v_rcp_f32_e32 v2, v1
	v_nop
	s_delay_alu instid0(TRANS32_DEP_1) | instskip(NEXT) | instid1(VALU_DEP_1)
	v_fma_f32 v4, -v1, v2, 1.0
	v_fmac_f32_e32 v2, v4, v2
	v_div_scale_f32 v4, vcc_lo, 1.0, v0, 1.0
	s_delay_alu instid0(VALU_DEP_1) | instskip(NEXT) | instid1(VALU_DEP_1)
	v_mul_f32_e32 v5, v4, v2
	v_fma_f32 v6, -v1, v5, v4
	s_delay_alu instid0(VALU_DEP_1) | instskip(NEXT) | instid1(VALU_DEP_1)
	v_fmac_f32_e32 v5, v6, v2
	v_fma_f32 v1, -v1, v5, v4
	s_delay_alu instid0(VALU_DEP_1) | instskip(NEXT) | instid1(VALU_DEP_1)
	v_div_fmas_f32 v1, v1, v2, v5
	v_div_fixup_f32 v2, v1, v0, 1.0
	s_delay_alu instid0(VALU_DEP_1)
	v_mul_f32_e64 v3, v3, -v2
.LBB115_16:
	s_or_b32 exec_lo, exec_lo, s1
	ds_store_b64 v187, v[2:3]
.LBB115_17:
	s_or_b32 exec_lo, exec_lo, s2
	s_wait_dscnt 0x0
	s_barrier_signal -1
	s_barrier_wait -1
	ds_load_b64 v[0:1], v187
	s_mov_b32 s1, exec_lo
	s_wait_dscnt 0x0
	scratch_store_b64 off, v[0:1], off offset:336 ; 8-byte Folded Spill
	s_wait_xcnt 0x0
	v_cmpx_lt_u32_e32 1, v186
	s_cbranch_execz .LBB115_19
; %bb.18:
	scratch_load_b64 v[4:5], off, off offset:336 ; 8-byte Folded Reload
	s_wait_loadcnt 0x0
	v_pk_mul_f32 v[2:3], v[4:5], v[56:57] op_sel:[1,1] op_sel_hi:[0,1]
	s_delay_alu instid0(VALU_DEP_1)
	v_pk_fma_f32 v[0:1], v[4:5], v[56:57], v[2:3] op_sel_hi:[1,0,1] neg_lo:[0,0,1] neg_hi:[0,0,1]
	v_pk_fma_f32 v[2:3], v[4:5], v[56:57], v[2:3] op_sel_hi:[1,0,1]
	ds_load_2addr_b64 v[4:7], v196 offset0:2 offset1:3
	v_dual_mov_b32 v56, v0 :: v_dual_mov_b32 v57, v3
	s_wait_dscnt 0x0
	v_pk_mul_f32 v[8:9], v[4:5], v[2:3] op_sel:[0,1]
	s_delay_alu instid0(VALU_DEP_1) | instskip(SKIP_1) | instid1(VALU_DEP_1)
	v_pk_fma_f32 v[10:11], v[4:5], v[0:1], v[8:9] op_sel:[0,0,1] op_sel_hi:[1,1,0] neg_lo:[0,0,1] neg_hi:[0,0,1]
	v_pk_fma_f32 v[4:5], v[4:5], v[0:1], v[8:9] op_sel:[0,0,1] op_sel_hi:[1,0,0]
	v_mov_b32_e32 v11, v5
	v_pk_mul_f32 v[4:5], v[6:7], v[2:3] op_sel:[0,1]
	s_delay_alu instid0(VALU_DEP_1) | instskip(SKIP_1) | instid1(VALU_DEP_1)
	v_pk_fma_f32 v[8:9], v[6:7], v[0:1], v[4:5] op_sel:[0,0,1] op_sel_hi:[1,1,0] neg_lo:[0,0,1] neg_hi:[0,0,1]
	v_pk_fma_f32 v[4:5], v[6:7], v[0:1], v[4:5] op_sel:[0,0,1] op_sel_hi:[1,0,0]
	v_mov_b32_e32 v9, v5
	ds_load_2addr_b64 v[4:7], v196 offset0:4 offset1:5
	v_pk_add_f32 v[46:47], v[46:47], v[10:11] neg_lo:[0,1] neg_hi:[0,1]
	v_pk_add_f32 v[44:45], v[44:45], v[8:9] neg_lo:[0,1] neg_hi:[0,1]
	s_wait_dscnt 0x0
	v_pk_mul_f32 v[8:9], v[4:5], v[2:3] op_sel:[0,1]
	s_delay_alu instid0(VALU_DEP_1) | instskip(SKIP_2) | instid1(VALU_DEP_2)
	v_pk_fma_f32 v[10:11], v[4:5], v[0:1], v[8:9] op_sel:[0,0,1] op_sel_hi:[1,1,0] neg_lo:[0,0,1] neg_hi:[0,0,1]
	v_pk_fma_f32 v[4:5], v[4:5], v[0:1], v[8:9] op_sel:[0,0,1] op_sel_hi:[1,0,0]
	v_dual_mul_f32 v8, v7, v3 :: v_dual_mov_b32 v4, v7
	v_dual_mov_b32 v11, v5 :: v_dual_mov_b32 v5, v6
	s_delay_alu instid0(VALU_DEP_2) | instskip(SKIP_1) | instid1(VALU_DEP_3)
	v_pk_fma_f32 v[8:9], v[6:7], v[56:57], v[8:9] op_sel_hi:[1,1,0] neg_lo:[0,0,1] neg_hi:[0,0,1]
	v_mul_f32_e32 v6, v7, v0
	v_pk_add_f32 v[26:27], v[26:27], v[10:11] neg_lo:[0,1] neg_hi:[0,1]
	s_delay_alu instid0(VALU_DEP_2) | instskip(NEXT) | instid1(VALU_DEP_1)
	v_pk_fma_f32 v[4:5], v[4:5], v[56:57], v[6:7] op_sel_hi:[1,1,0]
	v_mov_b32_e32 v9, v5
	ds_load_2addr_b64 v[4:7], v196 offset0:6 offset1:7
	v_pk_add_f32 v[22:23], v[22:23], v[8:9] neg_lo:[0,1] neg_hi:[0,1]
	s_wait_dscnt 0x0
	v_pk_mul_f32 v[8:9], v[4:5], v[2:3] op_sel:[0,1]
	s_delay_alu instid0(VALU_DEP_1) | instskip(SKIP_1) | instid1(VALU_DEP_1)
	v_pk_fma_f32 v[10:11], v[4:5], v[0:1], v[8:9] op_sel:[0,0,1] op_sel_hi:[1,1,0] neg_lo:[0,0,1] neg_hi:[0,0,1]
	v_pk_fma_f32 v[4:5], v[4:5], v[0:1], v[8:9] op_sel:[0,0,1] op_sel_hi:[1,0,0]
	v_mov_b32_e32 v11, v5
	v_pk_mul_f32 v[4:5], v[6:7], v[2:3] op_sel:[0,1]
	s_delay_alu instid0(VALU_DEP_1) | instskip(SKIP_1) | instid1(VALU_DEP_1)
	v_pk_fma_f32 v[8:9], v[6:7], v[0:1], v[4:5] op_sel:[0,0,1] op_sel_hi:[1,1,0] neg_lo:[0,0,1] neg_hi:[0,0,1]
	v_pk_fma_f32 v[4:5], v[6:7], v[0:1], v[4:5] op_sel:[0,0,1] op_sel_hi:[1,0,0]
	v_mov_b32_e32 v9, v5
	ds_load_2addr_b64 v[4:7], v196 offset0:8 offset1:9
	v_pk_add_f32 v[24:25], v[24:25], v[10:11] neg_lo:[0,1] neg_hi:[0,1]
	v_pk_add_f32 v[20:21], v[20:21], v[8:9] neg_lo:[0,1] neg_hi:[0,1]
	s_wait_dscnt 0x0
	v_pk_mul_f32 v[8:9], v[4:5], v[2:3] op_sel:[0,1]
	s_delay_alu instid0(VALU_DEP_1) | instskip(SKIP_1) | instid1(VALU_DEP_1)
	v_pk_fma_f32 v[10:11], v[4:5], v[0:1], v[8:9] op_sel:[0,0,1] op_sel_hi:[1,1,0] neg_lo:[0,0,1] neg_hi:[0,0,1]
	v_pk_fma_f32 v[4:5], v[4:5], v[0:1], v[8:9] op_sel:[0,0,1] op_sel_hi:[1,0,0]
	v_mov_b32_e32 v11, v5
	v_pk_mul_f32 v[4:5], v[6:7], v[2:3] op_sel:[0,1]
	s_delay_alu instid0(VALU_DEP_1) | instskip(SKIP_1) | instid1(VALU_DEP_1)
	v_pk_fma_f32 v[8:9], v[6:7], v[0:1], v[4:5] op_sel:[0,0,1] op_sel_hi:[1,1,0] neg_lo:[0,0,1] neg_hi:[0,0,1]
	v_pk_fma_f32 v[4:5], v[6:7], v[0:1], v[4:5] op_sel:[0,0,1] op_sel_hi:[1,0,0]
	v_mov_b32_e32 v9, v5
	ds_load_2addr_b64 v[4:7], v196 offset0:10 offset1:11
	v_pk_add_f32 v[40:41], v[40:41], v[10:11] neg_lo:[0,1] neg_hi:[0,1]
	v_pk_add_f32 v[36:37], v[36:37], v[8:9] neg_lo:[0,1] neg_hi:[0,1]
	s_wait_dscnt 0x0
	v_dual_mul_f32 v8, v5, v3 :: v_dual_mul_f32 v10, v5, v0
	s_delay_alu instid0(VALU_DEP_1) | instskip(NEXT) | instid1(VALU_DEP_2)
	v_pk_fma_f32 v[8:9], v[4:5], v[56:57], v[8:9] op_sel_hi:[1,1,0] neg_lo:[0,0,1] neg_hi:[0,0,1]
	v_pk_fma_f32 v[4:5], v[4:5], v[56:57], v[10:11] op_sel:[1,0,0] op_sel_hi:[0,1,0]
	s_delay_alu instid0(VALU_DEP_1) | instskip(SKIP_1) | instid1(VALU_DEP_2)
	v_mov_b32_e32 v9, v5
	v_pk_mul_f32 v[4:5], v[6:7], v[2:3] op_sel:[0,1]
	v_pk_add_f32 v[38:39], v[38:39], v[8:9] neg_lo:[0,1] neg_hi:[0,1]
	s_delay_alu instid0(VALU_DEP_2) | instskip(SKIP_1) | instid1(VALU_DEP_1)
	v_pk_fma_f32 v[8:9], v[6:7], v[0:1], v[4:5] op_sel:[0,0,1] op_sel_hi:[1,1,0] neg_lo:[0,0,1] neg_hi:[0,0,1]
	v_pk_fma_f32 v[4:5], v[6:7], v[0:1], v[4:5] op_sel:[0,0,1] op_sel_hi:[1,0,0]
	v_mov_b32_e32 v9, v5
	ds_load_2addr_b64 v[4:7], v196 offset0:12 offset1:13
	v_pk_add_f32 v[34:35], v[34:35], v[8:9] neg_lo:[0,1] neg_hi:[0,1]
	s_wait_dscnt 0x0
	v_pk_mul_f32 v[8:9], v[4:5], v[2:3] op_sel:[0,1]
	s_delay_alu instid0(VALU_DEP_1) | instskip(SKIP_1) | instid1(VALU_DEP_1)
	v_pk_fma_f32 v[10:11], v[4:5], v[0:1], v[8:9] op_sel:[0,0,1] op_sel_hi:[1,1,0] neg_lo:[0,0,1] neg_hi:[0,0,1]
	v_pk_fma_f32 v[4:5], v[4:5], v[0:1], v[8:9] op_sel:[0,0,1] op_sel_hi:[1,0,0]
	v_mov_b32_e32 v11, v5
	v_pk_mul_f32 v[4:5], v[6:7], v[2:3] op_sel:[0,1]
	s_delay_alu instid0(VALU_DEP_2) | instskip(NEXT) | instid1(VALU_DEP_2)
	v_pk_add_f32 v[64:65], v[64:65], v[10:11] neg_lo:[0,1] neg_hi:[0,1]
	v_pk_fma_f32 v[8:9], v[6:7], v[0:1], v[4:5] op_sel:[0,0,1] op_sel_hi:[1,1,0] neg_lo:[0,0,1] neg_hi:[0,0,1]
	v_pk_fma_f32 v[4:5], v[6:7], v[0:1], v[4:5] op_sel:[0,0,1] op_sel_hi:[1,0,0]
	s_delay_alu instid0(VALU_DEP_1) | instskip(SKIP_4) | instid1(VALU_DEP_1)
	v_mov_b32_e32 v9, v5
	ds_load_2addr_b64 v[4:7], v196 offset0:14 offset1:15
	v_pk_add_f32 v[60:61], v[60:61], v[8:9] neg_lo:[0,1] neg_hi:[0,1]
	s_wait_dscnt 0x0
	v_pk_mul_f32 v[8:9], v[4:5], v[2:3] op_sel:[0,1]
	v_pk_fma_f32 v[10:11], v[4:5], v[0:1], v[8:9] op_sel:[0,0,1] op_sel_hi:[1,1,0] neg_lo:[0,0,1] neg_hi:[0,0,1]
	v_pk_fma_f32 v[4:5], v[4:5], v[0:1], v[8:9] op_sel:[0,0,1] op_sel_hi:[1,0,0]
	v_dual_mul_f32 v8, v7, v3 :: v_dual_mov_b32 v4, v7
	s_delay_alu instid0(VALU_DEP_2) | instskip(NEXT) | instid1(VALU_DEP_2)
	v_dual_mov_b32 v11, v5 :: v_dual_mov_b32 v5, v6
	v_pk_fma_f32 v[8:9], v[6:7], v[56:57], v[8:9] op_sel_hi:[1,1,0] neg_lo:[0,0,1] neg_hi:[0,0,1]
	v_mul_f32_e32 v6, v7, v0
	s_delay_alu instid0(VALU_DEP_3) | instskip(NEXT) | instid1(VALU_DEP_2)
	v_pk_add_f32 v[62:63], v[62:63], v[10:11] neg_lo:[0,1] neg_hi:[0,1]
	v_pk_fma_f32 v[4:5], v[4:5], v[56:57], v[6:7] op_sel_hi:[1,1,0]
	s_delay_alu instid0(VALU_DEP_1) | instskip(SKIP_4) | instid1(VALU_DEP_1)
	v_mov_b32_e32 v9, v5
	ds_load_2addr_b64 v[4:7], v196 offset0:16 offset1:17
	v_pk_add_f32 v[58:59], v[58:59], v[8:9] neg_lo:[0,1] neg_hi:[0,1]
	s_wait_dscnt 0x0
	v_pk_mul_f32 v[8:9], v[4:5], v[2:3] op_sel:[0,1]
	v_pk_fma_f32 v[10:11], v[4:5], v[0:1], v[8:9] op_sel:[0,0,1] op_sel_hi:[1,1,0] neg_lo:[0,0,1] neg_hi:[0,0,1]
	v_pk_fma_f32 v[4:5], v[4:5], v[0:1], v[8:9] op_sel:[0,0,1] op_sel_hi:[1,0,0]
	s_delay_alu instid0(VALU_DEP_1) | instskip(SKIP_1) | instid1(VALU_DEP_1)
	v_mov_b32_e32 v11, v5
	v_pk_mul_f32 v[4:5], v[6:7], v[2:3] op_sel:[0,1]
	v_pk_fma_f32 v[8:9], v[6:7], v[0:1], v[4:5] op_sel:[0,0,1] op_sel_hi:[1,1,0] neg_lo:[0,0,1] neg_hi:[0,0,1]
	v_pk_fma_f32 v[4:5], v[6:7], v[0:1], v[4:5] op_sel:[0,0,1] op_sel_hi:[1,0,0]
	s_delay_alu instid0(VALU_DEP_1)
	v_mov_b32_e32 v9, v5
	ds_load_2addr_b64 v[4:7], v196 offset0:18 offset1:19
	v_pk_add_f32 v[82:83], v[82:83], v[10:11] neg_lo:[0,1] neg_hi:[0,1]
	v_pk_add_f32 v[78:79], v[78:79], v[8:9] neg_lo:[0,1] neg_hi:[0,1]
	s_wait_dscnt 0x0
	v_pk_mul_f32 v[8:9], v[4:5], v[2:3] op_sel:[0,1]
	s_delay_alu instid0(VALU_DEP_1) | instskip(SKIP_1) | instid1(VALU_DEP_1)
	v_pk_fma_f32 v[10:11], v[4:5], v[0:1], v[8:9] op_sel:[0,0,1] op_sel_hi:[1,1,0] neg_lo:[0,0,1] neg_hi:[0,0,1]
	v_pk_fma_f32 v[4:5], v[4:5], v[0:1], v[8:9] op_sel:[0,0,1] op_sel_hi:[1,0,0]
	v_mov_b32_e32 v11, v5
	v_pk_mul_f32 v[4:5], v[6:7], v[2:3] op_sel:[0,1]
	s_delay_alu instid0(VALU_DEP_1) | instskip(SKIP_1) | instid1(VALU_DEP_1)
	v_pk_fma_f32 v[8:9], v[6:7], v[0:1], v[4:5] op_sel:[0,0,1] op_sel_hi:[1,1,0] neg_lo:[0,0,1] neg_hi:[0,0,1]
	v_pk_fma_f32 v[4:5], v[6:7], v[0:1], v[4:5] op_sel:[0,0,1] op_sel_hi:[1,0,0]
	v_mov_b32_e32 v9, v5
	ds_load_2addr_b64 v[4:7], v196 offset0:20 offset1:21
	v_pk_add_f32 v[80:81], v[80:81], v[10:11] neg_lo:[0,1] neg_hi:[0,1]
	v_pk_add_f32 v[76:77], v[76:77], v[8:9] neg_lo:[0,1] neg_hi:[0,1]
	s_wait_dscnt 0x0
	v_dual_mul_f32 v8, v5, v3 :: v_dual_mul_f32 v10, v5, v0
	s_delay_alu instid0(VALU_DEP_1) | instskip(NEXT) | instid1(VALU_DEP_2)
	v_pk_fma_f32 v[8:9], v[4:5], v[56:57], v[8:9] op_sel_hi:[1,1,0] neg_lo:[0,0,1] neg_hi:[0,0,1]
	v_pk_fma_f32 v[4:5], v[4:5], v[56:57], v[10:11] op_sel:[1,0,0] op_sel_hi:[0,1,0]
	s_delay_alu instid0(VALU_DEP_1) | instskip(SKIP_1) | instid1(VALU_DEP_2)
	v_mov_b32_e32 v9, v5
	v_pk_mul_f32 v[4:5], v[6:7], v[2:3] op_sel:[0,1]
	v_pk_add_f32 v[98:99], v[98:99], v[8:9] neg_lo:[0,1] neg_hi:[0,1]
	s_delay_alu instid0(VALU_DEP_2) | instskip(SKIP_1) | instid1(VALU_DEP_1)
	v_pk_fma_f32 v[8:9], v[6:7], v[0:1], v[4:5] op_sel:[0,0,1] op_sel_hi:[1,1,0] neg_lo:[0,0,1] neg_hi:[0,0,1]
	v_pk_fma_f32 v[4:5], v[6:7], v[0:1], v[4:5] op_sel:[0,0,1] op_sel_hi:[1,0,0]
	v_mov_b32_e32 v9, v5
	ds_load_2addr_b64 v[4:7], v196 offset0:22 offset1:23
	v_pk_add_f32 v[94:95], v[94:95], v[8:9] neg_lo:[0,1] neg_hi:[0,1]
	s_wait_dscnt 0x0
	v_pk_mul_f32 v[8:9], v[4:5], v[2:3] op_sel:[0,1]
	s_delay_alu instid0(VALU_DEP_1) | instskip(SKIP_1) | instid1(VALU_DEP_1)
	v_pk_fma_f32 v[10:11], v[4:5], v[0:1], v[8:9] op_sel:[0,0,1] op_sel_hi:[1,1,0] neg_lo:[0,0,1] neg_hi:[0,0,1]
	v_pk_fma_f32 v[4:5], v[4:5], v[0:1], v[8:9] op_sel:[0,0,1] op_sel_hi:[1,0,0]
	v_mov_b32_e32 v11, v5
	v_pk_mul_f32 v[4:5], v[6:7], v[2:3] op_sel:[0,1]
	s_delay_alu instid0(VALU_DEP_2) | instskip(NEXT) | instid1(VALU_DEP_2)
	v_pk_add_f32 v[96:97], v[96:97], v[10:11] neg_lo:[0,1] neg_hi:[0,1]
	v_pk_fma_f32 v[8:9], v[6:7], v[0:1], v[4:5] op_sel:[0,0,1] op_sel_hi:[1,1,0] neg_lo:[0,0,1] neg_hi:[0,0,1]
	v_pk_fma_f32 v[4:5], v[6:7], v[0:1], v[4:5] op_sel:[0,0,1] op_sel_hi:[1,0,0]
	s_delay_alu instid0(VALU_DEP_1) | instskip(SKIP_4) | instid1(VALU_DEP_1)
	v_mov_b32_e32 v9, v5
	ds_load_2addr_b64 v[4:7], v196 offset0:24 offset1:25
	v_pk_add_f32 v[92:93], v[92:93], v[8:9] neg_lo:[0,1] neg_hi:[0,1]
	s_wait_dscnt 0x0
	v_pk_mul_f32 v[8:9], v[4:5], v[2:3] op_sel:[0,1]
	v_pk_fma_f32 v[10:11], v[4:5], v[0:1], v[8:9] op_sel:[0,0,1] op_sel_hi:[1,1,0] neg_lo:[0,0,1] neg_hi:[0,0,1]
	v_pk_fma_f32 v[4:5], v[4:5], v[0:1], v[8:9] op_sel:[0,0,1] op_sel_hi:[1,0,0]
	v_dual_mul_f32 v8, v7, v3 :: v_dual_mov_b32 v4, v7
	s_delay_alu instid0(VALU_DEP_2) | instskip(NEXT) | instid1(VALU_DEP_2)
	v_dual_mov_b32 v11, v5 :: v_dual_mov_b32 v5, v6
	v_pk_fma_f32 v[8:9], v[6:7], v[56:57], v[8:9] op_sel_hi:[1,1,0] neg_lo:[0,0,1] neg_hi:[0,0,1]
	v_mul_f32_e32 v6, v7, v0
	s_delay_alu instid0(VALU_DEP_3) | instskip(NEXT) | instid1(VALU_DEP_2)
	v_pk_add_f32 v[114:115], v[114:115], v[10:11] neg_lo:[0,1] neg_hi:[0,1]
	v_pk_fma_f32 v[4:5], v[4:5], v[56:57], v[6:7] op_sel_hi:[1,1,0]
	s_delay_alu instid0(VALU_DEP_1) | instskip(SKIP_4) | instid1(VALU_DEP_1)
	v_mov_b32_e32 v9, v5
	ds_load_2addr_b64 v[4:7], v196 offset0:26 offset1:27
	v_pk_add_f32 v[110:111], v[110:111], v[8:9] neg_lo:[0,1] neg_hi:[0,1]
	s_wait_dscnt 0x0
	v_pk_mul_f32 v[8:9], v[4:5], v[2:3] op_sel:[0,1]
	v_pk_fma_f32 v[10:11], v[4:5], v[0:1], v[8:9] op_sel:[0,0,1] op_sel_hi:[1,1,0] neg_lo:[0,0,1] neg_hi:[0,0,1]
	v_pk_fma_f32 v[4:5], v[4:5], v[0:1], v[8:9] op_sel:[0,0,1] op_sel_hi:[1,0,0]
	s_delay_alu instid0(VALU_DEP_1) | instskip(SKIP_1) | instid1(VALU_DEP_1)
	v_mov_b32_e32 v11, v5
	v_pk_mul_f32 v[4:5], v[6:7], v[2:3] op_sel:[0,1]
	v_pk_fma_f32 v[8:9], v[6:7], v[0:1], v[4:5] op_sel:[0,0,1] op_sel_hi:[1,1,0] neg_lo:[0,0,1] neg_hi:[0,0,1]
	v_pk_fma_f32 v[4:5], v[6:7], v[0:1], v[4:5] op_sel:[0,0,1] op_sel_hi:[1,0,0]
	s_delay_alu instid0(VALU_DEP_1)
	v_mov_b32_e32 v9, v5
	ds_load_2addr_b64 v[4:7], v196 offset0:28 offset1:29
	v_pk_add_f32 v[112:113], v[112:113], v[10:11] neg_lo:[0,1] neg_hi:[0,1]
	v_pk_add_f32 v[108:109], v[108:109], v[8:9] neg_lo:[0,1] neg_hi:[0,1]
	s_wait_dscnt 0x0
	v_pk_mul_f32 v[8:9], v[4:5], v[2:3] op_sel:[0,1]
	s_delay_alu instid0(VALU_DEP_1) | instskip(SKIP_1) | instid1(VALU_DEP_1)
	v_pk_fma_f32 v[10:11], v[4:5], v[0:1], v[8:9] op_sel:[0,0,1] op_sel_hi:[1,1,0] neg_lo:[0,0,1] neg_hi:[0,0,1]
	v_pk_fma_f32 v[4:5], v[4:5], v[0:1], v[8:9] op_sel:[0,0,1] op_sel_hi:[1,0,0]
	v_mov_b32_e32 v11, v5
	v_pk_mul_f32 v[4:5], v[6:7], v[2:3] op_sel:[0,1]
	s_delay_alu instid0(VALU_DEP_1) | instskip(SKIP_1) | instid1(VALU_DEP_1)
	v_pk_fma_f32 v[8:9], v[6:7], v[0:1], v[4:5] op_sel:[0,0,1] op_sel_hi:[1,1,0] neg_lo:[0,0,1] neg_hi:[0,0,1]
	v_pk_fma_f32 v[4:5], v[6:7], v[0:1], v[4:5] op_sel:[0,0,1] op_sel_hi:[1,0,0]
	v_mov_b32_e32 v9, v5
	ds_load_2addr_b64 v[4:7], v196 offset0:30 offset1:31
	v_pk_add_f32 v[130:131], v[130:131], v[10:11] neg_lo:[0,1] neg_hi:[0,1]
	v_pk_add_f32 v[126:127], v[126:127], v[8:9] neg_lo:[0,1] neg_hi:[0,1]
	s_wait_dscnt 0x0
	v_dual_mul_f32 v8, v5, v3 :: v_dual_mul_f32 v10, v5, v0
	s_delay_alu instid0(VALU_DEP_1) | instskip(NEXT) | instid1(VALU_DEP_2)
	v_pk_fma_f32 v[8:9], v[4:5], v[56:57], v[8:9] op_sel_hi:[1,1,0] neg_lo:[0,0,1] neg_hi:[0,0,1]
	v_pk_fma_f32 v[4:5], v[4:5], v[56:57], v[10:11] op_sel:[1,0,0] op_sel_hi:[0,1,0]
	s_delay_alu instid0(VALU_DEP_1) | instskip(SKIP_1) | instid1(VALU_DEP_2)
	v_mov_b32_e32 v9, v5
	v_pk_mul_f32 v[4:5], v[6:7], v[2:3] op_sel:[0,1]
	v_pk_add_f32 v[128:129], v[128:129], v[8:9] neg_lo:[0,1] neg_hi:[0,1]
	s_delay_alu instid0(VALU_DEP_2) | instskip(SKIP_1) | instid1(VALU_DEP_1)
	v_pk_fma_f32 v[8:9], v[6:7], v[0:1], v[4:5] op_sel:[0,0,1] op_sel_hi:[1,1,0] neg_lo:[0,0,1] neg_hi:[0,0,1]
	v_pk_fma_f32 v[4:5], v[6:7], v[0:1], v[4:5] op_sel:[0,0,1] op_sel_hi:[1,0,0]
	v_mov_b32_e32 v9, v5
	ds_load_2addr_b64 v[4:7], v196 offset0:32 offset1:33
	v_pk_add_f32 v[124:125], v[124:125], v[8:9] neg_lo:[0,1] neg_hi:[0,1]
	s_wait_dscnt 0x0
	v_pk_mul_f32 v[8:9], v[4:5], v[2:3] op_sel:[0,1]
	s_delay_alu instid0(VALU_DEP_1) | instskip(SKIP_1) | instid1(VALU_DEP_1)
	v_pk_fma_f32 v[10:11], v[4:5], v[0:1], v[8:9] op_sel:[0,0,1] op_sel_hi:[1,1,0] neg_lo:[0,0,1] neg_hi:[0,0,1]
	v_pk_fma_f32 v[4:5], v[4:5], v[0:1], v[8:9] op_sel:[0,0,1] op_sel_hi:[1,0,0]
	v_mov_b32_e32 v11, v5
	v_pk_mul_f32 v[4:5], v[6:7], v[2:3] op_sel:[0,1]
	s_delay_alu instid0(VALU_DEP_2) | instskip(NEXT) | instid1(VALU_DEP_2)
	v_pk_add_f32 v[146:147], v[146:147], v[10:11] neg_lo:[0,1] neg_hi:[0,1]
	v_pk_fma_f32 v[8:9], v[6:7], v[0:1], v[4:5] op_sel:[0,0,1] op_sel_hi:[1,1,0] neg_lo:[0,0,1] neg_hi:[0,0,1]
	v_pk_fma_f32 v[4:5], v[6:7], v[0:1], v[4:5] op_sel:[0,0,1] op_sel_hi:[1,0,0]
	s_delay_alu instid0(VALU_DEP_1) | instskip(SKIP_4) | instid1(VALU_DEP_1)
	v_mov_b32_e32 v9, v5
	ds_load_2addr_b64 v[4:7], v196 offset0:34 offset1:35
	v_pk_add_f32 v[142:143], v[142:143], v[8:9] neg_lo:[0,1] neg_hi:[0,1]
	s_wait_dscnt 0x0
	v_pk_mul_f32 v[8:9], v[4:5], v[2:3] op_sel:[0,1]
	v_pk_fma_f32 v[10:11], v[4:5], v[0:1], v[8:9] op_sel:[0,0,1] op_sel_hi:[1,1,0] neg_lo:[0,0,1] neg_hi:[0,0,1]
	v_pk_fma_f32 v[4:5], v[4:5], v[0:1], v[8:9] op_sel:[0,0,1] op_sel_hi:[1,0,0]
	v_dual_mul_f32 v8, v7, v3 :: v_dual_mov_b32 v4, v7
	s_delay_alu instid0(VALU_DEP_2) | instskip(NEXT) | instid1(VALU_DEP_2)
	v_dual_mov_b32 v11, v5 :: v_dual_mov_b32 v5, v6
	v_pk_fma_f32 v[8:9], v[6:7], v[56:57], v[8:9] op_sel_hi:[1,1,0] neg_lo:[0,0,1] neg_hi:[0,0,1]
	v_mul_f32_e32 v6, v7, v0
	s_delay_alu instid0(VALU_DEP_3) | instskip(NEXT) | instid1(VALU_DEP_2)
	v_pk_add_f32 v[144:145], v[144:145], v[10:11] neg_lo:[0,1] neg_hi:[0,1]
	v_pk_fma_f32 v[4:5], v[4:5], v[56:57], v[6:7] op_sel_hi:[1,1,0]
	s_delay_alu instid0(VALU_DEP_1) | instskip(SKIP_4) | instid1(VALU_DEP_1)
	v_mov_b32_e32 v9, v5
	ds_load_2addr_b64 v[4:7], v196 offset0:36 offset1:37
	v_pk_add_f32 v[140:141], v[140:141], v[8:9] neg_lo:[0,1] neg_hi:[0,1]
	s_wait_dscnt 0x0
	v_pk_mul_f32 v[8:9], v[4:5], v[2:3] op_sel:[0,1]
	v_pk_fma_f32 v[10:11], v[4:5], v[0:1], v[8:9] op_sel:[0,0,1] op_sel_hi:[1,1,0] neg_lo:[0,0,1] neg_hi:[0,0,1]
	v_pk_fma_f32 v[4:5], v[4:5], v[0:1], v[8:9] op_sel:[0,0,1] op_sel_hi:[1,0,0]
	s_delay_alu instid0(VALU_DEP_1) | instskip(SKIP_1) | instid1(VALU_DEP_1)
	v_mov_b32_e32 v11, v5
	v_pk_mul_f32 v[4:5], v[6:7], v[2:3] op_sel:[0,1]
	v_pk_fma_f32 v[8:9], v[6:7], v[0:1], v[4:5] op_sel:[0,0,1] op_sel_hi:[1,1,0] neg_lo:[0,0,1] neg_hi:[0,0,1]
	v_pk_fma_f32 v[4:5], v[6:7], v[0:1], v[4:5] op_sel:[0,0,1] op_sel_hi:[1,0,0]
	s_delay_alu instid0(VALU_DEP_1)
	v_mov_b32_e32 v9, v5
	ds_load_2addr_b64 v[4:7], v196 offset0:38 offset1:39
	v_pk_add_f32 v[162:163], v[162:163], v[10:11] neg_lo:[0,1] neg_hi:[0,1]
	v_pk_add_f32 v[158:159], v[158:159], v[8:9] neg_lo:[0,1] neg_hi:[0,1]
	s_wait_dscnt 0x0
	v_pk_mul_f32 v[8:9], v[4:5], v[2:3] op_sel:[0,1]
	s_delay_alu instid0(VALU_DEP_1) | instskip(SKIP_1) | instid1(VALU_DEP_1)
	v_pk_fma_f32 v[10:11], v[4:5], v[0:1], v[8:9] op_sel:[0,0,1] op_sel_hi:[1,1,0] neg_lo:[0,0,1] neg_hi:[0,0,1]
	v_pk_fma_f32 v[4:5], v[4:5], v[0:1], v[8:9] op_sel:[0,0,1] op_sel_hi:[1,0,0]
	v_mov_b32_e32 v11, v5
	v_pk_mul_f32 v[4:5], v[6:7], v[2:3] op_sel:[0,1]
	s_delay_alu instid0(VALU_DEP_1) | instskip(SKIP_1) | instid1(VALU_DEP_1)
	v_pk_fma_f32 v[8:9], v[6:7], v[0:1], v[4:5] op_sel:[0,0,1] op_sel_hi:[1,1,0] neg_lo:[0,0,1] neg_hi:[0,0,1]
	v_pk_fma_f32 v[4:5], v[6:7], v[0:1], v[4:5] op_sel:[0,0,1] op_sel_hi:[1,0,0]
	v_mov_b32_e32 v9, v5
	ds_load_2addr_b64 v[4:7], v196 offset0:40 offset1:41
	v_pk_add_f32 v[160:161], v[160:161], v[10:11] neg_lo:[0,1] neg_hi:[0,1]
	v_pk_add_f32 v[156:157], v[156:157], v[8:9] neg_lo:[0,1] neg_hi:[0,1]
	s_wait_dscnt 0x0
	v_dual_mul_f32 v8, v5, v3 :: v_dual_mul_f32 v10, v5, v0
	s_delay_alu instid0(VALU_DEP_1) | instskip(NEXT) | instid1(VALU_DEP_2)
	v_pk_fma_f32 v[8:9], v[4:5], v[56:57], v[8:9] op_sel_hi:[1,1,0] neg_lo:[0,0,1] neg_hi:[0,0,1]
	v_pk_fma_f32 v[4:5], v[4:5], v[56:57], v[10:11] op_sel:[1,0,0] op_sel_hi:[0,1,0]
	s_delay_alu instid0(VALU_DEP_1) | instskip(SKIP_1) | instid1(VALU_DEP_2)
	v_mov_b32_e32 v9, v5
	v_pk_mul_f32 v[4:5], v[6:7], v[2:3] op_sel:[0,1]
	v_pk_add_f32 v[178:179], v[178:179], v[8:9] neg_lo:[0,1] neg_hi:[0,1]
	s_delay_alu instid0(VALU_DEP_2) | instskip(SKIP_1) | instid1(VALU_DEP_1)
	v_pk_fma_f32 v[8:9], v[6:7], v[0:1], v[4:5] op_sel:[0,0,1] op_sel_hi:[1,1,0] neg_lo:[0,0,1] neg_hi:[0,0,1]
	v_pk_fma_f32 v[4:5], v[6:7], v[0:1], v[4:5] op_sel:[0,0,1] op_sel_hi:[1,0,0]
	v_mov_b32_e32 v9, v5
	ds_load_2addr_b64 v[4:7], v196 offset0:42 offset1:43
	v_pk_add_f32 v[174:175], v[174:175], v[8:9] neg_lo:[0,1] neg_hi:[0,1]
	s_wait_dscnt 0x0
	v_pk_mul_f32 v[8:9], v[4:5], v[2:3] op_sel:[0,1]
	s_delay_alu instid0(VALU_DEP_1) | instskip(SKIP_1) | instid1(VALU_DEP_1)
	v_pk_fma_f32 v[10:11], v[4:5], v[0:1], v[8:9] op_sel:[0,0,1] op_sel_hi:[1,1,0] neg_lo:[0,0,1] neg_hi:[0,0,1]
	v_pk_fma_f32 v[4:5], v[4:5], v[0:1], v[8:9] op_sel:[0,0,1] op_sel_hi:[1,0,0]
	v_mov_b32_e32 v11, v5
	v_pk_mul_f32 v[4:5], v[6:7], v[2:3] op_sel:[0,1]
	s_delay_alu instid0(VALU_DEP_2) | instskip(NEXT) | instid1(VALU_DEP_2)
	v_pk_add_f32 v[176:177], v[176:177], v[10:11] neg_lo:[0,1] neg_hi:[0,1]
	v_pk_fma_f32 v[8:9], v[6:7], v[0:1], v[4:5] op_sel:[0,0,1] op_sel_hi:[1,1,0] neg_lo:[0,0,1] neg_hi:[0,0,1]
	v_pk_fma_f32 v[4:5], v[6:7], v[0:1], v[4:5] op_sel:[0,0,1] op_sel_hi:[1,0,0]
	s_delay_alu instid0(VALU_DEP_1) | instskip(SKIP_4) | instid1(VALU_DEP_1)
	v_mov_b32_e32 v9, v5
	ds_load_2addr_b64 v[4:7], v196 offset0:44 offset1:45
	v_pk_add_f32 v[172:173], v[172:173], v[8:9] neg_lo:[0,1] neg_hi:[0,1]
	s_wait_dscnt 0x0
	v_pk_mul_f32 v[8:9], v[4:5], v[2:3] op_sel:[0,1]
	v_pk_fma_f32 v[10:11], v[4:5], v[0:1], v[8:9] op_sel:[0,0,1] op_sel_hi:[1,1,0] neg_lo:[0,0,1] neg_hi:[0,0,1]
	v_pk_fma_f32 v[4:5], v[4:5], v[0:1], v[8:9] op_sel:[0,0,1] op_sel_hi:[1,0,0]
	v_dual_mul_f32 v8, v7, v3 :: v_dual_mov_b32 v4, v7
	s_delay_alu instid0(VALU_DEP_2) | instskip(NEXT) | instid1(VALU_DEP_2)
	v_dual_mov_b32 v11, v5 :: v_dual_mov_b32 v5, v6
	v_pk_fma_f32 v[8:9], v[6:7], v[56:57], v[8:9] op_sel_hi:[1,1,0] neg_lo:[0,0,1] neg_hi:[0,0,1]
	v_mul_f32_e32 v6, v7, v0
	s_delay_alu instid0(VALU_DEP_3) | instskip(NEXT) | instid1(VALU_DEP_2)
	v_pk_add_f32 v[194:195], v[194:195], v[10:11] neg_lo:[0,1] neg_hi:[0,1]
	v_pk_fma_f32 v[4:5], v[4:5], v[56:57], v[6:7] op_sel_hi:[1,1,0]
	s_delay_alu instid0(VALU_DEP_1) | instskip(SKIP_4) | instid1(VALU_DEP_1)
	v_mov_b32_e32 v9, v5
	ds_load_2addr_b64 v[4:7], v196 offset0:46 offset1:47
	v_pk_add_f32 v[190:191], v[190:191], v[8:9] neg_lo:[0,1] neg_hi:[0,1]
	s_wait_dscnt 0x0
	v_pk_mul_f32 v[8:9], v[4:5], v[2:3] op_sel:[0,1]
	v_pk_fma_f32 v[10:11], v[4:5], v[0:1], v[8:9] op_sel:[0,0,1] op_sel_hi:[1,1,0] neg_lo:[0,0,1] neg_hi:[0,0,1]
	v_pk_fma_f32 v[4:5], v[4:5], v[0:1], v[8:9] op_sel:[0,0,1] op_sel_hi:[1,0,0]
	s_delay_alu instid0(VALU_DEP_1) | instskip(SKIP_1) | instid1(VALU_DEP_1)
	v_mov_b32_e32 v11, v5
	v_pk_mul_f32 v[4:5], v[6:7], v[2:3] op_sel:[0,1]
	v_pk_fma_f32 v[8:9], v[6:7], v[0:1], v[4:5] op_sel:[0,0,1] op_sel_hi:[1,1,0] neg_lo:[0,0,1] neg_hi:[0,0,1]
	v_pk_fma_f32 v[4:5], v[6:7], v[0:1], v[4:5] op_sel:[0,0,1] op_sel_hi:[1,0,0]
	s_delay_alu instid0(VALU_DEP_1)
	v_mov_b32_e32 v9, v5
	ds_load_2addr_b64 v[4:7], v196 offset0:48 offset1:49
	v_pk_add_f32 v[192:193], v[192:193], v[10:11] neg_lo:[0,1] neg_hi:[0,1]
	v_pk_add_f32 v[188:189], v[188:189], v[8:9] neg_lo:[0,1] neg_hi:[0,1]
	s_wait_dscnt 0x0
	v_pk_mul_f32 v[8:9], v[4:5], v[2:3] op_sel:[0,1]
	s_delay_alu instid0(VALU_DEP_1) | instskip(SKIP_1) | instid1(VALU_DEP_1)
	v_pk_fma_f32 v[10:11], v[4:5], v[0:1], v[8:9] op_sel:[0,0,1] op_sel_hi:[1,1,0] neg_lo:[0,0,1] neg_hi:[0,0,1]
	v_pk_fma_f32 v[4:5], v[4:5], v[0:1], v[8:9] op_sel:[0,0,1] op_sel_hi:[1,0,0]
	v_mov_b32_e32 v11, v5
	v_pk_mul_f32 v[4:5], v[6:7], v[2:3] op_sel:[0,1]
	s_delay_alu instid0(VALU_DEP_1) | instskip(SKIP_1) | instid1(VALU_DEP_1)
	v_pk_fma_f32 v[8:9], v[6:7], v[0:1], v[4:5] op_sel:[0,0,1] op_sel_hi:[1,1,0] neg_lo:[0,0,1] neg_hi:[0,0,1]
	v_pk_fma_f32 v[4:5], v[6:7], v[0:1], v[4:5] op_sel:[0,0,1] op_sel_hi:[1,0,0]
	v_mov_b32_e32 v9, v5
	ds_load_2addr_b64 v[4:7], v196 offset0:50 offset1:51
	v_pk_add_f32 v[212:213], v[212:213], v[10:11] neg_lo:[0,1] neg_hi:[0,1]
	v_pk_add_f32 v[208:209], v[208:209], v[8:9] neg_lo:[0,1] neg_hi:[0,1]
	s_wait_dscnt 0x0
	v_dual_mul_f32 v8, v5, v3 :: v_dual_mul_f32 v10, v5, v0
	s_delay_alu instid0(VALU_DEP_1) | instskip(NEXT) | instid1(VALU_DEP_2)
	v_pk_fma_f32 v[8:9], v[4:5], v[56:57], v[8:9] op_sel_hi:[1,1,0] neg_lo:[0,0,1] neg_hi:[0,0,1]
	v_pk_fma_f32 v[4:5], v[4:5], v[56:57], v[10:11] op_sel:[1,0,0] op_sel_hi:[0,1,0]
	s_delay_alu instid0(VALU_DEP_1) | instskip(SKIP_1) | instid1(VALU_DEP_2)
	v_mov_b32_e32 v9, v5
	v_pk_mul_f32 v[4:5], v[6:7], v[2:3] op_sel:[0,1]
	v_pk_add_f32 v[210:211], v[210:211], v[8:9] neg_lo:[0,1] neg_hi:[0,1]
	s_delay_alu instid0(VALU_DEP_2) | instskip(SKIP_1) | instid1(VALU_DEP_1)
	v_pk_fma_f32 v[8:9], v[6:7], v[0:1], v[4:5] op_sel:[0,0,1] op_sel_hi:[1,1,0] neg_lo:[0,0,1] neg_hi:[0,0,1]
	v_pk_fma_f32 v[4:5], v[6:7], v[0:1], v[4:5] op_sel:[0,0,1] op_sel_hi:[1,0,0]
	v_mov_b32_e32 v9, v5
	ds_load_2addr_b64 v[4:7], v196 offset0:52 offset1:53
	v_pk_add_f32 v[206:207], v[206:207], v[8:9] neg_lo:[0,1] neg_hi:[0,1]
	s_wait_dscnt 0x0
	v_pk_mul_f32 v[8:9], v[4:5], v[2:3] op_sel:[0,1]
	s_delay_alu instid0(VALU_DEP_1) | instskip(SKIP_1) | instid1(VALU_DEP_1)
	v_pk_fma_f32 v[10:11], v[4:5], v[0:1], v[8:9] op_sel:[0,0,1] op_sel_hi:[1,1,0] neg_lo:[0,0,1] neg_hi:[0,0,1]
	v_pk_fma_f32 v[4:5], v[4:5], v[0:1], v[8:9] op_sel:[0,0,1] op_sel_hi:[1,0,0]
	v_mov_b32_e32 v11, v5
	v_pk_mul_f32 v[4:5], v[6:7], v[2:3] op_sel:[0,1]
	s_delay_alu instid0(VALU_DEP_2) | instskip(NEXT) | instid1(VALU_DEP_2)
	v_pk_add_f32 v[228:229], v[228:229], v[10:11] neg_lo:[0,1] neg_hi:[0,1]
	v_pk_fma_f32 v[8:9], v[6:7], v[0:1], v[4:5] op_sel:[0,0,1] op_sel_hi:[1,1,0] neg_lo:[0,0,1] neg_hi:[0,0,1]
	v_pk_fma_f32 v[4:5], v[6:7], v[0:1], v[4:5] op_sel:[0,0,1] op_sel_hi:[1,0,0]
	s_delay_alu instid0(VALU_DEP_1) | instskip(SKIP_4) | instid1(VALU_DEP_1)
	v_mov_b32_e32 v9, v5
	ds_load_2addr_b64 v[4:7], v196 offset0:54 offset1:55
	v_pk_add_f32 v[224:225], v[224:225], v[8:9] neg_lo:[0,1] neg_hi:[0,1]
	s_wait_dscnt 0x0
	v_pk_mul_f32 v[8:9], v[4:5], v[2:3] op_sel:[0,1]
	v_pk_fma_f32 v[10:11], v[4:5], v[0:1], v[8:9] op_sel:[0,0,1] op_sel_hi:[1,1,0] neg_lo:[0,0,1] neg_hi:[0,0,1]
	v_pk_fma_f32 v[4:5], v[4:5], v[0:1], v[8:9] op_sel:[0,0,1] op_sel_hi:[1,0,0]
	v_dual_mul_f32 v8, v7, v3 :: v_dual_mov_b32 v4, v7
	s_delay_alu instid0(VALU_DEP_2) | instskip(NEXT) | instid1(VALU_DEP_2)
	v_dual_mov_b32 v11, v5 :: v_dual_mov_b32 v5, v6
	v_pk_fma_f32 v[8:9], v[6:7], v[56:57], v[8:9] op_sel_hi:[1,1,0] neg_lo:[0,0,1] neg_hi:[0,0,1]
	v_mul_f32_e32 v6, v7, v0
	s_delay_alu instid0(VALU_DEP_3) | instskip(NEXT) | instid1(VALU_DEP_2)
	v_pk_add_f32 v[226:227], v[226:227], v[10:11] neg_lo:[0,1] neg_hi:[0,1]
	v_pk_fma_f32 v[4:5], v[4:5], v[56:57], v[6:7] op_sel_hi:[1,1,0]
	s_delay_alu instid0(VALU_DEP_1)
	v_mov_b32_e32 v9, v5
	ds_load_2addr_b64 v[4:7], v196 offset0:56 offset1:57
	v_pk_add_f32 v[222:223], v[222:223], v[8:9] neg_lo:[0,1] neg_hi:[0,1]
	s_wait_dscnt 0x0
	v_pk_mul_f32 v[8:9], v[4:5], v[2:3] op_sel:[0,1]
	v_pk_mul_f32 v[2:3], v[6:7], v[2:3] op_sel:[0,1]
	s_delay_alu instid0(VALU_DEP_2) | instskip(SKIP_1) | instid1(VALU_DEP_1)
	v_pk_fma_f32 v[10:11], v[4:5], v[0:1], v[8:9] op_sel:[0,0,1] op_sel_hi:[1,1,0] neg_lo:[0,0,1] neg_hi:[0,0,1]
	v_pk_fma_f32 v[4:5], v[4:5], v[0:1], v[8:9] op_sel:[0,0,1] op_sel_hi:[1,0,0]
	v_mov_b32_e32 v11, v5
	s_delay_alu instid0(VALU_DEP_4) | instskip(SKIP_1) | instid1(VALU_DEP_1)
	v_pk_fma_f32 v[4:5], v[6:7], v[0:1], v[2:3] op_sel:[0,0,1] op_sel_hi:[1,1,0] neg_lo:[0,0,1] neg_hi:[0,0,1]
	v_pk_fma_f32 v[0:1], v[6:7], v[0:1], v[2:3] op_sel:[0,0,1] op_sel_hi:[1,0,0]
	v_mov_b32_e32 v5, v1
	s_delay_alu instid0(VALU_DEP_4) | instskip(NEXT) | instid1(VALU_DEP_2)
	v_pk_add_f32 v[230:231], v[230:231], v[10:11] neg_lo:[0,1] neg_hi:[0,1]
	v_pk_add_f32 v[232:233], v[232:233], v[4:5] neg_lo:[0,1] neg_hi:[0,1]
.LBB115_19:
	s_wait_xcnt 0x0
	s_or_b32 exec_lo, exec_lo, s1
	s_delay_alu instid0(SALU_CYCLE_1)
	s_mov_b32 s2, exec_lo
	s_wait_storecnt 0x0
	s_barrier_signal -1
	s_barrier_wait -1
	v_cmpx_eq_u32_e32 2, v186
	s_cbranch_execz .LBB115_26
; %bb.20:
	ds_store_b64 v187, v[46:47]
	ds_store_2addr_b64 v196, v[44:45], v[26:27] offset0:3 offset1:4
	ds_store_2addr_b64 v196, v[22:23], v[24:25] offset0:5 offset1:6
	;; [unrolled: 1-line block ×27, first 2 shown]
	ds_store_b64 v196, v[232:233] offset:456
	ds_load_b64 v[0:1], v187
	s_wait_dscnt 0x0
	v_cmp_neq_f32_e32 vcc_lo, 0, v0
	v_cmp_neq_f32_e64 s1, 0, v1
	s_or_b32 s1, vcc_lo, s1
	s_delay_alu instid0(SALU_CYCLE_1)
	s_and_b32 exec_lo, exec_lo, s1
	s_cbranch_execz .LBB115_26
; %bb.21:
	v_cmp_ngt_f32_e64 s1, |v0|, |v1|
                                        ; implicit-def: $vgpr2_vgpr3
	s_and_saveexec_b32 s4, s1
	s_delay_alu instid0(SALU_CYCLE_1)
	s_xor_b32 s1, exec_lo, s4
	s_cbranch_execz .LBB115_23
; %bb.22:
	v_div_scale_f32 v2, null, v1, v1, v0
	v_div_scale_f32 v5, vcc_lo, v0, v1, v0
	s_delay_alu instid0(VALU_DEP_2) | instskip(SKIP_1) | instid1(TRANS32_DEP_1)
	v_rcp_f32_e32 v3, v2
	v_nop
	v_fma_f32 v4, -v2, v3, 1.0
	s_delay_alu instid0(VALU_DEP_1) | instskip(NEXT) | instid1(VALU_DEP_1)
	v_fmac_f32_e32 v3, v4, v3
	v_mul_f32_e32 v4, v5, v3
	s_delay_alu instid0(VALU_DEP_1) | instskip(NEXT) | instid1(VALU_DEP_1)
	v_fma_f32 v6, -v2, v4, v5
	v_fmac_f32_e32 v4, v6, v3
	s_delay_alu instid0(VALU_DEP_1) | instskip(NEXT) | instid1(VALU_DEP_1)
	v_fma_f32 v2, -v2, v4, v5
	v_div_fmas_f32 v2, v2, v3, v4
	s_delay_alu instid0(VALU_DEP_1) | instskip(NEXT) | instid1(VALU_DEP_1)
	v_div_fixup_f32 v2, v2, v1, v0
	v_fmac_f32_e32 v1, v0, v2
	s_delay_alu instid0(VALU_DEP_1) | instskip(SKIP_1) | instid1(VALU_DEP_2)
	v_div_scale_f32 v0, null, v1, v1, 1.0
	v_div_scale_f32 v5, vcc_lo, 1.0, v1, 1.0
	v_rcp_f32_e32 v3, v0
	v_nop
	s_delay_alu instid0(TRANS32_DEP_1) | instskip(NEXT) | instid1(VALU_DEP_1)
	v_fma_f32 v4, -v0, v3, 1.0
	v_fmac_f32_e32 v3, v4, v3
	s_delay_alu instid0(VALU_DEP_1) | instskip(NEXT) | instid1(VALU_DEP_1)
	v_mul_f32_e32 v4, v5, v3
	v_fma_f32 v6, -v0, v4, v5
	s_delay_alu instid0(VALU_DEP_1) | instskip(NEXT) | instid1(VALU_DEP_1)
	v_fmac_f32_e32 v4, v6, v3
	v_fma_f32 v0, -v0, v4, v5
	s_delay_alu instid0(VALU_DEP_1) | instskip(NEXT) | instid1(VALU_DEP_1)
	v_div_fmas_f32 v0, v0, v3, v4
	v_div_fixup_f32 v0, v0, v1, 1.0
	s_delay_alu instid0(VALU_DEP_1)
	v_mul_f32_e32 v2, v2, v0
	v_xor_b32_e32 v3, 0x80000000, v0
                                        ; implicit-def: $vgpr0_vgpr1
.LBB115_23:
	s_and_not1_saveexec_b32 s1, s1
	s_cbranch_execz .LBB115_25
; %bb.24:
	v_div_scale_f32 v2, null, v0, v0, v1
	v_div_scale_f32 v5, vcc_lo, v1, v0, v1
	s_delay_alu instid0(VALU_DEP_2) | instskip(SKIP_1) | instid1(TRANS32_DEP_1)
	v_rcp_f32_e32 v3, v2
	v_nop
	v_fma_f32 v4, -v2, v3, 1.0
	s_delay_alu instid0(VALU_DEP_1) | instskip(NEXT) | instid1(VALU_DEP_1)
	v_fmac_f32_e32 v3, v4, v3
	v_mul_f32_e32 v4, v5, v3
	s_delay_alu instid0(VALU_DEP_1) | instskip(NEXT) | instid1(VALU_DEP_1)
	v_fma_f32 v6, -v2, v4, v5
	v_fmac_f32_e32 v4, v6, v3
	s_delay_alu instid0(VALU_DEP_1) | instskip(NEXT) | instid1(VALU_DEP_1)
	v_fma_f32 v2, -v2, v4, v5
	v_div_fmas_f32 v2, v2, v3, v4
	s_delay_alu instid0(VALU_DEP_1) | instskip(NEXT) | instid1(VALU_DEP_1)
	v_div_fixup_f32 v3, v2, v0, v1
	v_fmac_f32_e32 v0, v1, v3
	s_delay_alu instid0(VALU_DEP_1) | instskip(NEXT) | instid1(VALU_DEP_1)
	v_div_scale_f32 v1, null, v0, v0, 1.0
	v_rcp_f32_e32 v2, v1
	v_nop
	s_delay_alu instid0(TRANS32_DEP_1) | instskip(NEXT) | instid1(VALU_DEP_1)
	v_fma_f32 v4, -v1, v2, 1.0
	v_fmac_f32_e32 v2, v4, v2
	v_div_scale_f32 v4, vcc_lo, 1.0, v0, 1.0
	s_delay_alu instid0(VALU_DEP_1) | instskip(NEXT) | instid1(VALU_DEP_1)
	v_mul_f32_e32 v5, v4, v2
	v_fma_f32 v6, -v1, v5, v4
	s_delay_alu instid0(VALU_DEP_1) | instskip(NEXT) | instid1(VALU_DEP_1)
	v_fmac_f32_e32 v5, v6, v2
	v_fma_f32 v1, -v1, v5, v4
	s_delay_alu instid0(VALU_DEP_1) | instskip(NEXT) | instid1(VALU_DEP_1)
	v_div_fmas_f32 v1, v1, v2, v5
	v_div_fixup_f32 v2, v1, v0, 1.0
	s_delay_alu instid0(VALU_DEP_1)
	v_mul_f32_e64 v3, v3, -v2
.LBB115_25:
	s_or_b32 exec_lo, exec_lo, s1
	ds_store_b64 v187, v[2:3]
.LBB115_26:
	s_or_b32 exec_lo, exec_lo, s2
	s_wait_dscnt 0x0
	s_barrier_signal -1
	s_barrier_wait -1
	ds_load_b64 v[0:1], v187
	s_mov_b32 s1, exec_lo
	s_wait_dscnt 0x0
	scratch_store_b64 off, v[0:1], off offset:344 ; 8-byte Folded Spill
	s_wait_xcnt 0x0
	v_cmpx_lt_u32_e32 2, v186
	s_cbranch_execz .LBB115_28
; %bb.27:
	scratch_load_b64 v[4:5], off, off offset:344 ; 8-byte Folded Reload
	s_wait_loadcnt 0x0
	v_pk_mul_f32 v[2:3], v[4:5], v[46:47] op_sel:[1,1] op_sel_hi:[0,1]
	s_delay_alu instid0(VALU_DEP_1)
	v_pk_fma_f32 v[0:1], v[4:5], v[46:47], v[2:3] op_sel_hi:[1,0,1] neg_lo:[0,0,1] neg_hi:[0,0,1]
	v_pk_fma_f32 v[2:3], v[4:5], v[46:47], v[2:3] op_sel_hi:[1,0,1]
	ds_load_2addr_b64 v[4:7], v196 offset0:3 offset1:4
	v_dual_mov_b32 v46, v0 :: v_dual_mov_b32 v47, v3
	s_wait_dscnt 0x0
	v_pk_mul_f32 v[8:9], v[4:5], v[2:3] op_sel:[0,1]
	s_delay_alu instid0(VALU_DEP_1) | instskip(SKIP_1) | instid1(VALU_DEP_1)
	v_pk_fma_f32 v[10:11], v[4:5], v[0:1], v[8:9] op_sel:[0,0,1] op_sel_hi:[1,1,0] neg_lo:[0,0,1] neg_hi:[0,0,1]
	v_pk_fma_f32 v[4:5], v[4:5], v[0:1], v[8:9] op_sel:[0,0,1] op_sel_hi:[1,0,0]
	v_mov_b32_e32 v11, v5
	v_pk_mul_f32 v[4:5], v[6:7], v[2:3] op_sel:[0,1]
	s_delay_alu instid0(VALU_DEP_1) | instskip(SKIP_1) | instid1(VALU_DEP_1)
	v_pk_fma_f32 v[8:9], v[6:7], v[0:1], v[4:5] op_sel:[0,0,1] op_sel_hi:[1,1,0] neg_lo:[0,0,1] neg_hi:[0,0,1]
	v_pk_fma_f32 v[4:5], v[6:7], v[0:1], v[4:5] op_sel:[0,0,1] op_sel_hi:[1,0,0]
	v_mov_b32_e32 v9, v5
	ds_load_2addr_b64 v[4:7], v196 offset0:5 offset1:6
	v_pk_add_f32 v[44:45], v[44:45], v[10:11] neg_lo:[0,1] neg_hi:[0,1]
	v_pk_add_f32 v[26:27], v[26:27], v[8:9] neg_lo:[0,1] neg_hi:[0,1]
	s_wait_dscnt 0x0
	v_pk_mul_f32 v[8:9], v[4:5], v[2:3] op_sel:[0,1]
	s_delay_alu instid0(VALU_DEP_1) | instskip(SKIP_2) | instid1(VALU_DEP_2)
	v_pk_fma_f32 v[10:11], v[4:5], v[0:1], v[8:9] op_sel:[0,0,1] op_sel_hi:[1,1,0] neg_lo:[0,0,1] neg_hi:[0,0,1]
	v_pk_fma_f32 v[4:5], v[4:5], v[0:1], v[8:9] op_sel:[0,0,1] op_sel_hi:[1,0,0]
	v_dual_mul_f32 v8, v7, v3 :: v_dual_mov_b32 v4, v7
	v_dual_mov_b32 v11, v5 :: v_dual_mov_b32 v5, v6
	s_delay_alu instid0(VALU_DEP_2) | instskip(SKIP_1) | instid1(VALU_DEP_3)
	v_pk_fma_f32 v[8:9], v[6:7], v[46:47], v[8:9] op_sel_hi:[1,1,0] neg_lo:[0,0,1] neg_hi:[0,0,1]
	v_mul_f32_e32 v6, v7, v0
	v_pk_add_f32 v[22:23], v[22:23], v[10:11] neg_lo:[0,1] neg_hi:[0,1]
	s_delay_alu instid0(VALU_DEP_2) | instskip(NEXT) | instid1(VALU_DEP_1)
	v_pk_fma_f32 v[4:5], v[4:5], v[46:47], v[6:7] op_sel_hi:[1,1,0]
	v_mov_b32_e32 v9, v5
	ds_load_2addr_b64 v[4:7], v196 offset0:7 offset1:8
	v_pk_add_f32 v[24:25], v[24:25], v[8:9] neg_lo:[0,1] neg_hi:[0,1]
	s_wait_dscnt 0x0
	v_pk_mul_f32 v[8:9], v[4:5], v[2:3] op_sel:[0,1]
	s_delay_alu instid0(VALU_DEP_1) | instskip(SKIP_1) | instid1(VALU_DEP_1)
	v_pk_fma_f32 v[10:11], v[4:5], v[0:1], v[8:9] op_sel:[0,0,1] op_sel_hi:[1,1,0] neg_lo:[0,0,1] neg_hi:[0,0,1]
	v_pk_fma_f32 v[4:5], v[4:5], v[0:1], v[8:9] op_sel:[0,0,1] op_sel_hi:[1,0,0]
	v_mov_b32_e32 v11, v5
	v_pk_mul_f32 v[4:5], v[6:7], v[2:3] op_sel:[0,1]
	s_delay_alu instid0(VALU_DEP_1) | instskip(SKIP_1) | instid1(VALU_DEP_1)
	v_pk_fma_f32 v[8:9], v[6:7], v[0:1], v[4:5] op_sel:[0,0,1] op_sel_hi:[1,1,0] neg_lo:[0,0,1] neg_hi:[0,0,1]
	v_pk_fma_f32 v[4:5], v[6:7], v[0:1], v[4:5] op_sel:[0,0,1] op_sel_hi:[1,0,0]
	v_mov_b32_e32 v9, v5
	ds_load_2addr_b64 v[4:7], v196 offset0:9 offset1:10
	v_pk_add_f32 v[20:21], v[20:21], v[10:11] neg_lo:[0,1] neg_hi:[0,1]
	v_pk_add_f32 v[40:41], v[40:41], v[8:9] neg_lo:[0,1] neg_hi:[0,1]
	s_wait_dscnt 0x0
	v_pk_mul_f32 v[8:9], v[4:5], v[2:3] op_sel:[0,1]
	s_delay_alu instid0(VALU_DEP_1) | instskip(SKIP_1) | instid1(VALU_DEP_1)
	v_pk_fma_f32 v[10:11], v[4:5], v[0:1], v[8:9] op_sel:[0,0,1] op_sel_hi:[1,1,0] neg_lo:[0,0,1] neg_hi:[0,0,1]
	v_pk_fma_f32 v[4:5], v[4:5], v[0:1], v[8:9] op_sel:[0,0,1] op_sel_hi:[1,0,0]
	v_mov_b32_e32 v11, v5
	v_pk_mul_f32 v[4:5], v[6:7], v[2:3] op_sel:[0,1]
	s_delay_alu instid0(VALU_DEP_1) | instskip(SKIP_1) | instid1(VALU_DEP_1)
	v_pk_fma_f32 v[8:9], v[6:7], v[0:1], v[4:5] op_sel:[0,0,1] op_sel_hi:[1,1,0] neg_lo:[0,0,1] neg_hi:[0,0,1]
	v_pk_fma_f32 v[4:5], v[6:7], v[0:1], v[4:5] op_sel:[0,0,1] op_sel_hi:[1,0,0]
	v_mov_b32_e32 v9, v5
	ds_load_2addr_b64 v[4:7], v196 offset0:11 offset1:12
	v_pk_add_f32 v[36:37], v[36:37], v[10:11] neg_lo:[0,1] neg_hi:[0,1]
	v_pk_add_f32 v[38:39], v[38:39], v[8:9] neg_lo:[0,1] neg_hi:[0,1]
	s_wait_dscnt 0x0
	v_dual_mul_f32 v8, v5, v3 :: v_dual_mul_f32 v10, v5, v0
	s_delay_alu instid0(VALU_DEP_1) | instskip(NEXT) | instid1(VALU_DEP_2)
	v_pk_fma_f32 v[8:9], v[4:5], v[46:47], v[8:9] op_sel_hi:[1,1,0] neg_lo:[0,0,1] neg_hi:[0,0,1]
	v_pk_fma_f32 v[4:5], v[4:5], v[46:47], v[10:11] op_sel:[1,0,0] op_sel_hi:[0,1,0]
	s_delay_alu instid0(VALU_DEP_1) | instskip(SKIP_1) | instid1(VALU_DEP_2)
	v_mov_b32_e32 v9, v5
	v_pk_mul_f32 v[4:5], v[6:7], v[2:3] op_sel:[0,1]
	v_pk_add_f32 v[34:35], v[34:35], v[8:9] neg_lo:[0,1] neg_hi:[0,1]
	s_delay_alu instid0(VALU_DEP_2) | instskip(SKIP_1) | instid1(VALU_DEP_1)
	v_pk_fma_f32 v[8:9], v[6:7], v[0:1], v[4:5] op_sel:[0,0,1] op_sel_hi:[1,1,0] neg_lo:[0,0,1] neg_hi:[0,0,1]
	v_pk_fma_f32 v[4:5], v[6:7], v[0:1], v[4:5] op_sel:[0,0,1] op_sel_hi:[1,0,0]
	v_mov_b32_e32 v9, v5
	ds_load_2addr_b64 v[4:7], v196 offset0:13 offset1:14
	v_pk_add_f32 v[64:65], v[64:65], v[8:9] neg_lo:[0,1] neg_hi:[0,1]
	s_wait_dscnt 0x0
	v_pk_mul_f32 v[8:9], v[4:5], v[2:3] op_sel:[0,1]
	s_delay_alu instid0(VALU_DEP_1) | instskip(SKIP_1) | instid1(VALU_DEP_1)
	v_pk_fma_f32 v[10:11], v[4:5], v[0:1], v[8:9] op_sel:[0,0,1] op_sel_hi:[1,1,0] neg_lo:[0,0,1] neg_hi:[0,0,1]
	v_pk_fma_f32 v[4:5], v[4:5], v[0:1], v[8:9] op_sel:[0,0,1] op_sel_hi:[1,0,0]
	v_mov_b32_e32 v11, v5
	v_pk_mul_f32 v[4:5], v[6:7], v[2:3] op_sel:[0,1]
	s_delay_alu instid0(VALU_DEP_2) | instskip(NEXT) | instid1(VALU_DEP_2)
	v_pk_add_f32 v[60:61], v[60:61], v[10:11] neg_lo:[0,1] neg_hi:[0,1]
	v_pk_fma_f32 v[8:9], v[6:7], v[0:1], v[4:5] op_sel:[0,0,1] op_sel_hi:[1,1,0] neg_lo:[0,0,1] neg_hi:[0,0,1]
	v_pk_fma_f32 v[4:5], v[6:7], v[0:1], v[4:5] op_sel:[0,0,1] op_sel_hi:[1,0,0]
	s_delay_alu instid0(VALU_DEP_1) | instskip(SKIP_4) | instid1(VALU_DEP_1)
	v_mov_b32_e32 v9, v5
	ds_load_2addr_b64 v[4:7], v196 offset0:15 offset1:16
	v_pk_add_f32 v[62:63], v[62:63], v[8:9] neg_lo:[0,1] neg_hi:[0,1]
	s_wait_dscnt 0x0
	v_pk_mul_f32 v[8:9], v[4:5], v[2:3] op_sel:[0,1]
	v_pk_fma_f32 v[10:11], v[4:5], v[0:1], v[8:9] op_sel:[0,0,1] op_sel_hi:[1,1,0] neg_lo:[0,0,1] neg_hi:[0,0,1]
	v_pk_fma_f32 v[4:5], v[4:5], v[0:1], v[8:9] op_sel:[0,0,1] op_sel_hi:[1,0,0]
	v_dual_mul_f32 v8, v7, v3 :: v_dual_mov_b32 v4, v7
	s_delay_alu instid0(VALU_DEP_2) | instskip(NEXT) | instid1(VALU_DEP_2)
	v_dual_mov_b32 v11, v5 :: v_dual_mov_b32 v5, v6
	v_pk_fma_f32 v[8:9], v[6:7], v[46:47], v[8:9] op_sel_hi:[1,1,0] neg_lo:[0,0,1] neg_hi:[0,0,1]
	v_mul_f32_e32 v6, v7, v0
	s_delay_alu instid0(VALU_DEP_3) | instskip(NEXT) | instid1(VALU_DEP_2)
	v_pk_add_f32 v[58:59], v[58:59], v[10:11] neg_lo:[0,1] neg_hi:[0,1]
	v_pk_fma_f32 v[4:5], v[4:5], v[46:47], v[6:7] op_sel_hi:[1,1,0]
	s_delay_alu instid0(VALU_DEP_1) | instskip(SKIP_4) | instid1(VALU_DEP_1)
	v_mov_b32_e32 v9, v5
	ds_load_2addr_b64 v[4:7], v196 offset0:17 offset1:18
	v_pk_add_f32 v[82:83], v[82:83], v[8:9] neg_lo:[0,1] neg_hi:[0,1]
	s_wait_dscnt 0x0
	v_pk_mul_f32 v[8:9], v[4:5], v[2:3] op_sel:[0,1]
	v_pk_fma_f32 v[10:11], v[4:5], v[0:1], v[8:9] op_sel:[0,0,1] op_sel_hi:[1,1,0] neg_lo:[0,0,1] neg_hi:[0,0,1]
	v_pk_fma_f32 v[4:5], v[4:5], v[0:1], v[8:9] op_sel:[0,0,1] op_sel_hi:[1,0,0]
	s_delay_alu instid0(VALU_DEP_1) | instskip(SKIP_1) | instid1(VALU_DEP_1)
	v_mov_b32_e32 v11, v5
	v_pk_mul_f32 v[4:5], v[6:7], v[2:3] op_sel:[0,1]
	v_pk_fma_f32 v[8:9], v[6:7], v[0:1], v[4:5] op_sel:[0,0,1] op_sel_hi:[1,1,0] neg_lo:[0,0,1] neg_hi:[0,0,1]
	v_pk_fma_f32 v[4:5], v[6:7], v[0:1], v[4:5] op_sel:[0,0,1] op_sel_hi:[1,0,0]
	s_delay_alu instid0(VALU_DEP_1)
	v_mov_b32_e32 v9, v5
	ds_load_2addr_b64 v[4:7], v196 offset0:19 offset1:20
	v_pk_add_f32 v[78:79], v[78:79], v[10:11] neg_lo:[0,1] neg_hi:[0,1]
	v_pk_add_f32 v[80:81], v[80:81], v[8:9] neg_lo:[0,1] neg_hi:[0,1]
	s_wait_dscnt 0x0
	v_pk_mul_f32 v[8:9], v[4:5], v[2:3] op_sel:[0,1]
	s_delay_alu instid0(VALU_DEP_1) | instskip(SKIP_1) | instid1(VALU_DEP_1)
	v_pk_fma_f32 v[10:11], v[4:5], v[0:1], v[8:9] op_sel:[0,0,1] op_sel_hi:[1,1,0] neg_lo:[0,0,1] neg_hi:[0,0,1]
	v_pk_fma_f32 v[4:5], v[4:5], v[0:1], v[8:9] op_sel:[0,0,1] op_sel_hi:[1,0,0]
	v_mov_b32_e32 v11, v5
	v_pk_mul_f32 v[4:5], v[6:7], v[2:3] op_sel:[0,1]
	s_delay_alu instid0(VALU_DEP_1) | instskip(SKIP_1) | instid1(VALU_DEP_1)
	v_pk_fma_f32 v[8:9], v[6:7], v[0:1], v[4:5] op_sel:[0,0,1] op_sel_hi:[1,1,0] neg_lo:[0,0,1] neg_hi:[0,0,1]
	v_pk_fma_f32 v[4:5], v[6:7], v[0:1], v[4:5] op_sel:[0,0,1] op_sel_hi:[1,0,0]
	v_mov_b32_e32 v9, v5
	ds_load_2addr_b64 v[4:7], v196 offset0:21 offset1:22
	v_pk_add_f32 v[76:77], v[76:77], v[10:11] neg_lo:[0,1] neg_hi:[0,1]
	v_pk_add_f32 v[98:99], v[98:99], v[8:9] neg_lo:[0,1] neg_hi:[0,1]
	s_wait_dscnt 0x0
	v_dual_mul_f32 v8, v5, v3 :: v_dual_mul_f32 v10, v5, v0
	s_delay_alu instid0(VALU_DEP_1) | instskip(NEXT) | instid1(VALU_DEP_2)
	v_pk_fma_f32 v[8:9], v[4:5], v[46:47], v[8:9] op_sel_hi:[1,1,0] neg_lo:[0,0,1] neg_hi:[0,0,1]
	v_pk_fma_f32 v[4:5], v[4:5], v[46:47], v[10:11] op_sel:[1,0,0] op_sel_hi:[0,1,0]
	s_delay_alu instid0(VALU_DEP_1) | instskip(SKIP_1) | instid1(VALU_DEP_2)
	v_mov_b32_e32 v9, v5
	v_pk_mul_f32 v[4:5], v[6:7], v[2:3] op_sel:[0,1]
	v_pk_add_f32 v[94:95], v[94:95], v[8:9] neg_lo:[0,1] neg_hi:[0,1]
	s_delay_alu instid0(VALU_DEP_2) | instskip(SKIP_1) | instid1(VALU_DEP_1)
	v_pk_fma_f32 v[8:9], v[6:7], v[0:1], v[4:5] op_sel:[0,0,1] op_sel_hi:[1,1,0] neg_lo:[0,0,1] neg_hi:[0,0,1]
	v_pk_fma_f32 v[4:5], v[6:7], v[0:1], v[4:5] op_sel:[0,0,1] op_sel_hi:[1,0,0]
	v_mov_b32_e32 v9, v5
	ds_load_2addr_b64 v[4:7], v196 offset0:23 offset1:24
	v_pk_add_f32 v[96:97], v[96:97], v[8:9] neg_lo:[0,1] neg_hi:[0,1]
	s_wait_dscnt 0x0
	v_pk_mul_f32 v[8:9], v[4:5], v[2:3] op_sel:[0,1]
	s_delay_alu instid0(VALU_DEP_1) | instskip(SKIP_1) | instid1(VALU_DEP_1)
	v_pk_fma_f32 v[10:11], v[4:5], v[0:1], v[8:9] op_sel:[0,0,1] op_sel_hi:[1,1,0] neg_lo:[0,0,1] neg_hi:[0,0,1]
	v_pk_fma_f32 v[4:5], v[4:5], v[0:1], v[8:9] op_sel:[0,0,1] op_sel_hi:[1,0,0]
	v_mov_b32_e32 v11, v5
	v_pk_mul_f32 v[4:5], v[6:7], v[2:3] op_sel:[0,1]
	s_delay_alu instid0(VALU_DEP_2) | instskip(NEXT) | instid1(VALU_DEP_2)
	v_pk_add_f32 v[92:93], v[92:93], v[10:11] neg_lo:[0,1] neg_hi:[0,1]
	v_pk_fma_f32 v[8:9], v[6:7], v[0:1], v[4:5] op_sel:[0,0,1] op_sel_hi:[1,1,0] neg_lo:[0,0,1] neg_hi:[0,0,1]
	v_pk_fma_f32 v[4:5], v[6:7], v[0:1], v[4:5] op_sel:[0,0,1] op_sel_hi:[1,0,0]
	s_delay_alu instid0(VALU_DEP_1) | instskip(SKIP_4) | instid1(VALU_DEP_1)
	v_mov_b32_e32 v9, v5
	ds_load_2addr_b64 v[4:7], v196 offset0:25 offset1:26
	v_pk_add_f32 v[114:115], v[114:115], v[8:9] neg_lo:[0,1] neg_hi:[0,1]
	s_wait_dscnt 0x0
	v_pk_mul_f32 v[8:9], v[4:5], v[2:3] op_sel:[0,1]
	v_pk_fma_f32 v[10:11], v[4:5], v[0:1], v[8:9] op_sel:[0,0,1] op_sel_hi:[1,1,0] neg_lo:[0,0,1] neg_hi:[0,0,1]
	v_pk_fma_f32 v[4:5], v[4:5], v[0:1], v[8:9] op_sel:[0,0,1] op_sel_hi:[1,0,0]
	v_dual_mul_f32 v8, v7, v3 :: v_dual_mov_b32 v4, v7
	s_delay_alu instid0(VALU_DEP_2) | instskip(NEXT) | instid1(VALU_DEP_2)
	v_dual_mov_b32 v11, v5 :: v_dual_mov_b32 v5, v6
	v_pk_fma_f32 v[8:9], v[6:7], v[46:47], v[8:9] op_sel_hi:[1,1,0] neg_lo:[0,0,1] neg_hi:[0,0,1]
	v_mul_f32_e32 v6, v7, v0
	s_delay_alu instid0(VALU_DEP_3) | instskip(NEXT) | instid1(VALU_DEP_2)
	v_pk_add_f32 v[110:111], v[110:111], v[10:11] neg_lo:[0,1] neg_hi:[0,1]
	v_pk_fma_f32 v[4:5], v[4:5], v[46:47], v[6:7] op_sel_hi:[1,1,0]
	s_delay_alu instid0(VALU_DEP_1) | instskip(SKIP_4) | instid1(VALU_DEP_1)
	v_mov_b32_e32 v9, v5
	ds_load_2addr_b64 v[4:7], v196 offset0:27 offset1:28
	v_pk_add_f32 v[112:113], v[112:113], v[8:9] neg_lo:[0,1] neg_hi:[0,1]
	s_wait_dscnt 0x0
	v_pk_mul_f32 v[8:9], v[4:5], v[2:3] op_sel:[0,1]
	v_pk_fma_f32 v[10:11], v[4:5], v[0:1], v[8:9] op_sel:[0,0,1] op_sel_hi:[1,1,0] neg_lo:[0,0,1] neg_hi:[0,0,1]
	v_pk_fma_f32 v[4:5], v[4:5], v[0:1], v[8:9] op_sel:[0,0,1] op_sel_hi:[1,0,0]
	s_delay_alu instid0(VALU_DEP_1) | instskip(SKIP_1) | instid1(VALU_DEP_1)
	v_mov_b32_e32 v11, v5
	v_pk_mul_f32 v[4:5], v[6:7], v[2:3] op_sel:[0,1]
	v_pk_fma_f32 v[8:9], v[6:7], v[0:1], v[4:5] op_sel:[0,0,1] op_sel_hi:[1,1,0] neg_lo:[0,0,1] neg_hi:[0,0,1]
	v_pk_fma_f32 v[4:5], v[6:7], v[0:1], v[4:5] op_sel:[0,0,1] op_sel_hi:[1,0,0]
	s_delay_alu instid0(VALU_DEP_1)
	v_mov_b32_e32 v9, v5
	ds_load_2addr_b64 v[4:7], v196 offset0:29 offset1:30
	v_pk_add_f32 v[108:109], v[108:109], v[10:11] neg_lo:[0,1] neg_hi:[0,1]
	v_pk_add_f32 v[130:131], v[130:131], v[8:9] neg_lo:[0,1] neg_hi:[0,1]
	s_wait_dscnt 0x0
	v_pk_mul_f32 v[8:9], v[4:5], v[2:3] op_sel:[0,1]
	s_delay_alu instid0(VALU_DEP_1) | instskip(SKIP_1) | instid1(VALU_DEP_1)
	v_pk_fma_f32 v[10:11], v[4:5], v[0:1], v[8:9] op_sel:[0,0,1] op_sel_hi:[1,1,0] neg_lo:[0,0,1] neg_hi:[0,0,1]
	v_pk_fma_f32 v[4:5], v[4:5], v[0:1], v[8:9] op_sel:[0,0,1] op_sel_hi:[1,0,0]
	v_mov_b32_e32 v11, v5
	v_pk_mul_f32 v[4:5], v[6:7], v[2:3] op_sel:[0,1]
	s_delay_alu instid0(VALU_DEP_1) | instskip(SKIP_1) | instid1(VALU_DEP_1)
	v_pk_fma_f32 v[8:9], v[6:7], v[0:1], v[4:5] op_sel:[0,0,1] op_sel_hi:[1,1,0] neg_lo:[0,0,1] neg_hi:[0,0,1]
	v_pk_fma_f32 v[4:5], v[6:7], v[0:1], v[4:5] op_sel:[0,0,1] op_sel_hi:[1,0,0]
	v_mov_b32_e32 v9, v5
	ds_load_2addr_b64 v[4:7], v196 offset0:31 offset1:32
	v_pk_add_f32 v[126:127], v[126:127], v[10:11] neg_lo:[0,1] neg_hi:[0,1]
	v_pk_add_f32 v[128:129], v[128:129], v[8:9] neg_lo:[0,1] neg_hi:[0,1]
	s_wait_dscnt 0x0
	v_dual_mul_f32 v8, v5, v3 :: v_dual_mul_f32 v10, v5, v0
	s_delay_alu instid0(VALU_DEP_1) | instskip(NEXT) | instid1(VALU_DEP_2)
	v_pk_fma_f32 v[8:9], v[4:5], v[46:47], v[8:9] op_sel_hi:[1,1,0] neg_lo:[0,0,1] neg_hi:[0,0,1]
	v_pk_fma_f32 v[4:5], v[4:5], v[46:47], v[10:11] op_sel:[1,0,0] op_sel_hi:[0,1,0]
	s_delay_alu instid0(VALU_DEP_1) | instskip(SKIP_1) | instid1(VALU_DEP_2)
	v_mov_b32_e32 v9, v5
	v_pk_mul_f32 v[4:5], v[6:7], v[2:3] op_sel:[0,1]
	v_pk_add_f32 v[124:125], v[124:125], v[8:9] neg_lo:[0,1] neg_hi:[0,1]
	s_delay_alu instid0(VALU_DEP_2) | instskip(SKIP_1) | instid1(VALU_DEP_1)
	v_pk_fma_f32 v[8:9], v[6:7], v[0:1], v[4:5] op_sel:[0,0,1] op_sel_hi:[1,1,0] neg_lo:[0,0,1] neg_hi:[0,0,1]
	v_pk_fma_f32 v[4:5], v[6:7], v[0:1], v[4:5] op_sel:[0,0,1] op_sel_hi:[1,0,0]
	v_mov_b32_e32 v9, v5
	ds_load_2addr_b64 v[4:7], v196 offset0:33 offset1:34
	v_pk_add_f32 v[146:147], v[146:147], v[8:9] neg_lo:[0,1] neg_hi:[0,1]
	s_wait_dscnt 0x0
	v_pk_mul_f32 v[8:9], v[4:5], v[2:3] op_sel:[0,1]
	s_delay_alu instid0(VALU_DEP_1) | instskip(SKIP_1) | instid1(VALU_DEP_1)
	v_pk_fma_f32 v[10:11], v[4:5], v[0:1], v[8:9] op_sel:[0,0,1] op_sel_hi:[1,1,0] neg_lo:[0,0,1] neg_hi:[0,0,1]
	v_pk_fma_f32 v[4:5], v[4:5], v[0:1], v[8:9] op_sel:[0,0,1] op_sel_hi:[1,0,0]
	v_mov_b32_e32 v11, v5
	v_pk_mul_f32 v[4:5], v[6:7], v[2:3] op_sel:[0,1]
	s_delay_alu instid0(VALU_DEP_2) | instskip(NEXT) | instid1(VALU_DEP_2)
	v_pk_add_f32 v[142:143], v[142:143], v[10:11] neg_lo:[0,1] neg_hi:[0,1]
	v_pk_fma_f32 v[8:9], v[6:7], v[0:1], v[4:5] op_sel:[0,0,1] op_sel_hi:[1,1,0] neg_lo:[0,0,1] neg_hi:[0,0,1]
	v_pk_fma_f32 v[4:5], v[6:7], v[0:1], v[4:5] op_sel:[0,0,1] op_sel_hi:[1,0,0]
	s_delay_alu instid0(VALU_DEP_1) | instskip(SKIP_4) | instid1(VALU_DEP_1)
	v_mov_b32_e32 v9, v5
	ds_load_2addr_b64 v[4:7], v196 offset0:35 offset1:36
	v_pk_add_f32 v[144:145], v[144:145], v[8:9] neg_lo:[0,1] neg_hi:[0,1]
	s_wait_dscnt 0x0
	v_pk_mul_f32 v[8:9], v[4:5], v[2:3] op_sel:[0,1]
	v_pk_fma_f32 v[10:11], v[4:5], v[0:1], v[8:9] op_sel:[0,0,1] op_sel_hi:[1,1,0] neg_lo:[0,0,1] neg_hi:[0,0,1]
	v_pk_fma_f32 v[4:5], v[4:5], v[0:1], v[8:9] op_sel:[0,0,1] op_sel_hi:[1,0,0]
	v_dual_mul_f32 v8, v7, v3 :: v_dual_mov_b32 v4, v7
	s_delay_alu instid0(VALU_DEP_2) | instskip(NEXT) | instid1(VALU_DEP_2)
	v_dual_mov_b32 v11, v5 :: v_dual_mov_b32 v5, v6
	v_pk_fma_f32 v[8:9], v[6:7], v[46:47], v[8:9] op_sel_hi:[1,1,0] neg_lo:[0,0,1] neg_hi:[0,0,1]
	v_mul_f32_e32 v6, v7, v0
	s_delay_alu instid0(VALU_DEP_3) | instskip(NEXT) | instid1(VALU_DEP_2)
	v_pk_add_f32 v[140:141], v[140:141], v[10:11] neg_lo:[0,1] neg_hi:[0,1]
	v_pk_fma_f32 v[4:5], v[4:5], v[46:47], v[6:7] op_sel_hi:[1,1,0]
	s_delay_alu instid0(VALU_DEP_1) | instskip(SKIP_4) | instid1(VALU_DEP_1)
	v_mov_b32_e32 v9, v5
	ds_load_2addr_b64 v[4:7], v196 offset0:37 offset1:38
	v_pk_add_f32 v[162:163], v[162:163], v[8:9] neg_lo:[0,1] neg_hi:[0,1]
	s_wait_dscnt 0x0
	v_pk_mul_f32 v[8:9], v[4:5], v[2:3] op_sel:[0,1]
	v_pk_fma_f32 v[10:11], v[4:5], v[0:1], v[8:9] op_sel:[0,0,1] op_sel_hi:[1,1,0] neg_lo:[0,0,1] neg_hi:[0,0,1]
	v_pk_fma_f32 v[4:5], v[4:5], v[0:1], v[8:9] op_sel:[0,0,1] op_sel_hi:[1,0,0]
	s_delay_alu instid0(VALU_DEP_1) | instskip(SKIP_1) | instid1(VALU_DEP_1)
	v_mov_b32_e32 v11, v5
	v_pk_mul_f32 v[4:5], v[6:7], v[2:3] op_sel:[0,1]
	v_pk_fma_f32 v[8:9], v[6:7], v[0:1], v[4:5] op_sel:[0,0,1] op_sel_hi:[1,1,0] neg_lo:[0,0,1] neg_hi:[0,0,1]
	v_pk_fma_f32 v[4:5], v[6:7], v[0:1], v[4:5] op_sel:[0,0,1] op_sel_hi:[1,0,0]
	s_delay_alu instid0(VALU_DEP_1)
	v_mov_b32_e32 v9, v5
	ds_load_2addr_b64 v[4:7], v196 offset0:39 offset1:40
	v_pk_add_f32 v[158:159], v[158:159], v[10:11] neg_lo:[0,1] neg_hi:[0,1]
	v_pk_add_f32 v[160:161], v[160:161], v[8:9] neg_lo:[0,1] neg_hi:[0,1]
	s_wait_dscnt 0x0
	v_pk_mul_f32 v[8:9], v[4:5], v[2:3] op_sel:[0,1]
	s_delay_alu instid0(VALU_DEP_1) | instskip(SKIP_1) | instid1(VALU_DEP_1)
	v_pk_fma_f32 v[10:11], v[4:5], v[0:1], v[8:9] op_sel:[0,0,1] op_sel_hi:[1,1,0] neg_lo:[0,0,1] neg_hi:[0,0,1]
	v_pk_fma_f32 v[4:5], v[4:5], v[0:1], v[8:9] op_sel:[0,0,1] op_sel_hi:[1,0,0]
	v_mov_b32_e32 v11, v5
	v_pk_mul_f32 v[4:5], v[6:7], v[2:3] op_sel:[0,1]
	s_delay_alu instid0(VALU_DEP_1) | instskip(SKIP_1) | instid1(VALU_DEP_1)
	v_pk_fma_f32 v[8:9], v[6:7], v[0:1], v[4:5] op_sel:[0,0,1] op_sel_hi:[1,1,0] neg_lo:[0,0,1] neg_hi:[0,0,1]
	v_pk_fma_f32 v[4:5], v[6:7], v[0:1], v[4:5] op_sel:[0,0,1] op_sel_hi:[1,0,0]
	v_mov_b32_e32 v9, v5
	ds_load_2addr_b64 v[4:7], v196 offset0:41 offset1:42
	v_pk_add_f32 v[156:157], v[156:157], v[10:11] neg_lo:[0,1] neg_hi:[0,1]
	v_pk_add_f32 v[178:179], v[178:179], v[8:9] neg_lo:[0,1] neg_hi:[0,1]
	s_wait_dscnt 0x0
	v_dual_mul_f32 v8, v5, v3 :: v_dual_mul_f32 v10, v5, v0
	s_delay_alu instid0(VALU_DEP_1) | instskip(NEXT) | instid1(VALU_DEP_2)
	v_pk_fma_f32 v[8:9], v[4:5], v[46:47], v[8:9] op_sel_hi:[1,1,0] neg_lo:[0,0,1] neg_hi:[0,0,1]
	v_pk_fma_f32 v[4:5], v[4:5], v[46:47], v[10:11] op_sel:[1,0,0] op_sel_hi:[0,1,0]
	s_delay_alu instid0(VALU_DEP_1) | instskip(SKIP_1) | instid1(VALU_DEP_2)
	v_mov_b32_e32 v9, v5
	v_pk_mul_f32 v[4:5], v[6:7], v[2:3] op_sel:[0,1]
	v_pk_add_f32 v[174:175], v[174:175], v[8:9] neg_lo:[0,1] neg_hi:[0,1]
	s_delay_alu instid0(VALU_DEP_2) | instskip(SKIP_1) | instid1(VALU_DEP_1)
	v_pk_fma_f32 v[8:9], v[6:7], v[0:1], v[4:5] op_sel:[0,0,1] op_sel_hi:[1,1,0] neg_lo:[0,0,1] neg_hi:[0,0,1]
	v_pk_fma_f32 v[4:5], v[6:7], v[0:1], v[4:5] op_sel:[0,0,1] op_sel_hi:[1,0,0]
	v_mov_b32_e32 v9, v5
	ds_load_2addr_b64 v[4:7], v196 offset0:43 offset1:44
	v_pk_add_f32 v[176:177], v[176:177], v[8:9] neg_lo:[0,1] neg_hi:[0,1]
	s_wait_dscnt 0x0
	v_pk_mul_f32 v[8:9], v[4:5], v[2:3] op_sel:[0,1]
	s_delay_alu instid0(VALU_DEP_1) | instskip(SKIP_1) | instid1(VALU_DEP_1)
	v_pk_fma_f32 v[10:11], v[4:5], v[0:1], v[8:9] op_sel:[0,0,1] op_sel_hi:[1,1,0] neg_lo:[0,0,1] neg_hi:[0,0,1]
	v_pk_fma_f32 v[4:5], v[4:5], v[0:1], v[8:9] op_sel:[0,0,1] op_sel_hi:[1,0,0]
	v_mov_b32_e32 v11, v5
	v_pk_mul_f32 v[4:5], v[6:7], v[2:3] op_sel:[0,1]
	s_delay_alu instid0(VALU_DEP_2) | instskip(NEXT) | instid1(VALU_DEP_2)
	v_pk_add_f32 v[172:173], v[172:173], v[10:11] neg_lo:[0,1] neg_hi:[0,1]
	v_pk_fma_f32 v[8:9], v[6:7], v[0:1], v[4:5] op_sel:[0,0,1] op_sel_hi:[1,1,0] neg_lo:[0,0,1] neg_hi:[0,0,1]
	v_pk_fma_f32 v[4:5], v[6:7], v[0:1], v[4:5] op_sel:[0,0,1] op_sel_hi:[1,0,0]
	s_delay_alu instid0(VALU_DEP_1) | instskip(SKIP_4) | instid1(VALU_DEP_1)
	v_mov_b32_e32 v9, v5
	ds_load_2addr_b64 v[4:7], v196 offset0:45 offset1:46
	v_pk_add_f32 v[194:195], v[194:195], v[8:9] neg_lo:[0,1] neg_hi:[0,1]
	s_wait_dscnt 0x0
	v_pk_mul_f32 v[8:9], v[4:5], v[2:3] op_sel:[0,1]
	v_pk_fma_f32 v[10:11], v[4:5], v[0:1], v[8:9] op_sel:[0,0,1] op_sel_hi:[1,1,0] neg_lo:[0,0,1] neg_hi:[0,0,1]
	v_pk_fma_f32 v[4:5], v[4:5], v[0:1], v[8:9] op_sel:[0,0,1] op_sel_hi:[1,0,0]
	v_dual_mul_f32 v8, v7, v3 :: v_dual_mov_b32 v4, v7
	s_delay_alu instid0(VALU_DEP_2) | instskip(NEXT) | instid1(VALU_DEP_2)
	v_dual_mov_b32 v11, v5 :: v_dual_mov_b32 v5, v6
	v_pk_fma_f32 v[8:9], v[6:7], v[46:47], v[8:9] op_sel_hi:[1,1,0] neg_lo:[0,0,1] neg_hi:[0,0,1]
	v_mul_f32_e32 v6, v7, v0
	s_delay_alu instid0(VALU_DEP_3) | instskip(NEXT) | instid1(VALU_DEP_2)
	v_pk_add_f32 v[190:191], v[190:191], v[10:11] neg_lo:[0,1] neg_hi:[0,1]
	v_pk_fma_f32 v[4:5], v[4:5], v[46:47], v[6:7] op_sel_hi:[1,1,0]
	s_delay_alu instid0(VALU_DEP_1) | instskip(SKIP_4) | instid1(VALU_DEP_1)
	v_mov_b32_e32 v9, v5
	ds_load_2addr_b64 v[4:7], v196 offset0:47 offset1:48
	v_pk_add_f32 v[192:193], v[192:193], v[8:9] neg_lo:[0,1] neg_hi:[0,1]
	s_wait_dscnt 0x0
	v_pk_mul_f32 v[8:9], v[4:5], v[2:3] op_sel:[0,1]
	v_pk_fma_f32 v[10:11], v[4:5], v[0:1], v[8:9] op_sel:[0,0,1] op_sel_hi:[1,1,0] neg_lo:[0,0,1] neg_hi:[0,0,1]
	v_pk_fma_f32 v[4:5], v[4:5], v[0:1], v[8:9] op_sel:[0,0,1] op_sel_hi:[1,0,0]
	s_delay_alu instid0(VALU_DEP_1) | instskip(SKIP_1) | instid1(VALU_DEP_1)
	v_mov_b32_e32 v11, v5
	v_pk_mul_f32 v[4:5], v[6:7], v[2:3] op_sel:[0,1]
	v_pk_fma_f32 v[8:9], v[6:7], v[0:1], v[4:5] op_sel:[0,0,1] op_sel_hi:[1,1,0] neg_lo:[0,0,1] neg_hi:[0,0,1]
	v_pk_fma_f32 v[4:5], v[6:7], v[0:1], v[4:5] op_sel:[0,0,1] op_sel_hi:[1,0,0]
	s_delay_alu instid0(VALU_DEP_1)
	v_mov_b32_e32 v9, v5
	ds_load_2addr_b64 v[4:7], v196 offset0:49 offset1:50
	v_pk_add_f32 v[188:189], v[188:189], v[10:11] neg_lo:[0,1] neg_hi:[0,1]
	v_pk_add_f32 v[212:213], v[212:213], v[8:9] neg_lo:[0,1] neg_hi:[0,1]
	s_wait_dscnt 0x0
	v_pk_mul_f32 v[8:9], v[4:5], v[2:3] op_sel:[0,1]
	s_delay_alu instid0(VALU_DEP_1) | instskip(SKIP_1) | instid1(VALU_DEP_1)
	v_pk_fma_f32 v[10:11], v[4:5], v[0:1], v[8:9] op_sel:[0,0,1] op_sel_hi:[1,1,0] neg_lo:[0,0,1] neg_hi:[0,0,1]
	v_pk_fma_f32 v[4:5], v[4:5], v[0:1], v[8:9] op_sel:[0,0,1] op_sel_hi:[1,0,0]
	v_mov_b32_e32 v11, v5
	v_pk_mul_f32 v[4:5], v[6:7], v[2:3] op_sel:[0,1]
	s_delay_alu instid0(VALU_DEP_1) | instskip(SKIP_1) | instid1(VALU_DEP_1)
	v_pk_fma_f32 v[8:9], v[6:7], v[0:1], v[4:5] op_sel:[0,0,1] op_sel_hi:[1,1,0] neg_lo:[0,0,1] neg_hi:[0,0,1]
	v_pk_fma_f32 v[4:5], v[6:7], v[0:1], v[4:5] op_sel:[0,0,1] op_sel_hi:[1,0,0]
	v_mov_b32_e32 v9, v5
	ds_load_2addr_b64 v[4:7], v196 offset0:51 offset1:52
	v_pk_add_f32 v[208:209], v[208:209], v[10:11] neg_lo:[0,1] neg_hi:[0,1]
	v_pk_add_f32 v[210:211], v[210:211], v[8:9] neg_lo:[0,1] neg_hi:[0,1]
	s_wait_dscnt 0x0
	v_dual_mul_f32 v8, v5, v3 :: v_dual_mul_f32 v10, v5, v0
	s_delay_alu instid0(VALU_DEP_1) | instskip(NEXT) | instid1(VALU_DEP_2)
	v_pk_fma_f32 v[8:9], v[4:5], v[46:47], v[8:9] op_sel_hi:[1,1,0] neg_lo:[0,0,1] neg_hi:[0,0,1]
	v_pk_fma_f32 v[4:5], v[4:5], v[46:47], v[10:11] op_sel:[1,0,0] op_sel_hi:[0,1,0]
	s_delay_alu instid0(VALU_DEP_1) | instskip(SKIP_1) | instid1(VALU_DEP_2)
	v_mov_b32_e32 v9, v5
	v_pk_mul_f32 v[4:5], v[6:7], v[2:3] op_sel:[0,1]
	v_pk_add_f32 v[206:207], v[206:207], v[8:9] neg_lo:[0,1] neg_hi:[0,1]
	s_delay_alu instid0(VALU_DEP_2) | instskip(SKIP_1) | instid1(VALU_DEP_1)
	v_pk_fma_f32 v[8:9], v[6:7], v[0:1], v[4:5] op_sel:[0,0,1] op_sel_hi:[1,1,0] neg_lo:[0,0,1] neg_hi:[0,0,1]
	v_pk_fma_f32 v[4:5], v[6:7], v[0:1], v[4:5] op_sel:[0,0,1] op_sel_hi:[1,0,0]
	v_mov_b32_e32 v9, v5
	ds_load_2addr_b64 v[4:7], v196 offset0:53 offset1:54
	v_pk_add_f32 v[228:229], v[228:229], v[8:9] neg_lo:[0,1] neg_hi:[0,1]
	s_wait_dscnt 0x0
	v_pk_mul_f32 v[8:9], v[4:5], v[2:3] op_sel:[0,1]
	s_delay_alu instid0(VALU_DEP_1) | instskip(SKIP_1) | instid1(VALU_DEP_1)
	v_pk_fma_f32 v[10:11], v[4:5], v[0:1], v[8:9] op_sel:[0,0,1] op_sel_hi:[1,1,0] neg_lo:[0,0,1] neg_hi:[0,0,1]
	v_pk_fma_f32 v[4:5], v[4:5], v[0:1], v[8:9] op_sel:[0,0,1] op_sel_hi:[1,0,0]
	v_mov_b32_e32 v11, v5
	v_pk_mul_f32 v[4:5], v[6:7], v[2:3] op_sel:[0,1]
	s_delay_alu instid0(VALU_DEP_2) | instskip(NEXT) | instid1(VALU_DEP_2)
	v_pk_add_f32 v[224:225], v[224:225], v[10:11] neg_lo:[0,1] neg_hi:[0,1]
	v_pk_fma_f32 v[8:9], v[6:7], v[0:1], v[4:5] op_sel:[0,0,1] op_sel_hi:[1,1,0] neg_lo:[0,0,1] neg_hi:[0,0,1]
	v_pk_fma_f32 v[4:5], v[6:7], v[0:1], v[4:5] op_sel:[0,0,1] op_sel_hi:[1,0,0]
	s_delay_alu instid0(VALU_DEP_1) | instskip(SKIP_4) | instid1(VALU_DEP_1)
	v_mov_b32_e32 v9, v5
	ds_load_2addr_b64 v[4:7], v196 offset0:55 offset1:56
	v_pk_add_f32 v[226:227], v[226:227], v[8:9] neg_lo:[0,1] neg_hi:[0,1]
	s_wait_dscnt 0x0
	v_pk_mul_f32 v[8:9], v[4:5], v[2:3] op_sel:[0,1]
	v_pk_fma_f32 v[10:11], v[4:5], v[0:1], v[8:9] op_sel:[0,0,1] op_sel_hi:[1,1,0] neg_lo:[0,0,1] neg_hi:[0,0,1]
	v_pk_fma_f32 v[4:5], v[4:5], v[0:1], v[8:9] op_sel:[0,0,1] op_sel_hi:[1,0,0]
	v_dual_mul_f32 v8, v7, v3 :: v_dual_mov_b32 v4, v7
	s_delay_alu instid0(VALU_DEP_2) | instskip(NEXT) | instid1(VALU_DEP_2)
	v_dual_mov_b32 v11, v5 :: v_dual_mov_b32 v5, v6
	v_pk_fma_f32 v[8:9], v[6:7], v[46:47], v[8:9] op_sel_hi:[1,1,0] neg_lo:[0,0,1] neg_hi:[0,0,1]
	v_mul_f32_e32 v6, v7, v0
	s_delay_alu instid0(VALU_DEP_3) | instskip(NEXT) | instid1(VALU_DEP_2)
	v_pk_add_f32 v[222:223], v[222:223], v[10:11] neg_lo:[0,1] neg_hi:[0,1]
	v_pk_fma_f32 v[4:5], v[4:5], v[46:47], v[6:7] op_sel_hi:[1,1,0]
	s_delay_alu instid0(VALU_DEP_1) | instskip(SKIP_4) | instid1(VALU_DEP_1)
	v_mov_b32_e32 v9, v5
	ds_load_b64 v[4:5], v196 offset:456
	v_pk_add_f32 v[230:231], v[230:231], v[8:9] neg_lo:[0,1] neg_hi:[0,1]
	s_wait_dscnt 0x0
	v_pk_mul_f32 v[2:3], v[4:5], v[2:3] op_sel:[0,1]
	v_pk_fma_f32 v[6:7], v[4:5], v[0:1], v[2:3] op_sel:[0,0,1] op_sel_hi:[1,1,0] neg_lo:[0,0,1] neg_hi:[0,0,1]
	v_pk_fma_f32 v[0:1], v[4:5], v[0:1], v[2:3] op_sel:[0,0,1] op_sel_hi:[1,0,0]
	s_delay_alu instid0(VALU_DEP_1) | instskip(NEXT) | instid1(VALU_DEP_1)
	v_mov_b32_e32 v7, v1
	v_pk_add_f32 v[232:233], v[232:233], v[6:7] neg_lo:[0,1] neg_hi:[0,1]
.LBB115_28:
	s_wait_xcnt 0x0
	s_or_b32 exec_lo, exec_lo, s1
	s_delay_alu instid0(SALU_CYCLE_1)
	s_mov_b32 s2, exec_lo
	s_wait_storecnt 0x0
	s_barrier_signal -1
	s_barrier_wait -1
	v_cmpx_eq_u32_e32 3, v186
	s_cbranch_execz .LBB115_35
; %bb.29:
	v_dual_mov_b32 v0, v26 :: v_dual_mov_b32 v1, v27
	v_dual_mov_b32 v2, v22 :: v_dual_mov_b32 v3, v23
	ds_store_b64 v187, v[44:45]
	ds_store_2addr_b64 v196, v[0:1], v[2:3] offset0:4 offset1:5
	v_dual_mov_b32 v0, v24 :: v_dual_mov_b32 v1, v25
	v_dual_mov_b32 v2, v20 :: v_dual_mov_b32 v3, v21
	ds_store_2addr_b64 v196, v[0:1], v[2:3] offset0:6 offset1:7
	v_dual_mov_b32 v0, v40 :: v_dual_mov_b32 v1, v41
	v_dual_mov_b32 v2, v36 :: v_dual_mov_b32 v3, v37
	;; [unrolled: 3-line block ×25, first 2 shown]
	ds_store_2addr_b64 v196, v[0:1], v[2:3] offset0:54 offset1:55
	v_dual_mov_b32 v0, v230 :: v_dual_mov_b32 v1, v231
	ds_store_2addr_b64 v196, v[0:1], v[232:233] offset0:56 offset1:57
	ds_load_b64 v[0:1], v187
	s_wait_dscnt 0x0
	v_cmp_neq_f32_e32 vcc_lo, 0, v0
	v_cmp_neq_f32_e64 s1, 0, v1
	s_or_b32 s1, vcc_lo, s1
	s_delay_alu instid0(SALU_CYCLE_1)
	s_and_b32 exec_lo, exec_lo, s1
	s_cbranch_execz .LBB115_35
; %bb.30:
	v_cmp_ngt_f32_e64 s1, |v0|, |v1|
                                        ; implicit-def: $vgpr2_vgpr3
	s_and_saveexec_b32 s4, s1
	s_delay_alu instid0(SALU_CYCLE_1)
	s_xor_b32 s1, exec_lo, s4
	s_cbranch_execz .LBB115_32
; %bb.31:
	v_div_scale_f32 v2, null, v1, v1, v0
	v_div_scale_f32 v5, vcc_lo, v0, v1, v0
	s_delay_alu instid0(VALU_DEP_2) | instskip(SKIP_1) | instid1(TRANS32_DEP_1)
	v_rcp_f32_e32 v3, v2
	v_nop
	v_fma_f32 v4, -v2, v3, 1.0
	s_delay_alu instid0(VALU_DEP_1) | instskip(NEXT) | instid1(VALU_DEP_1)
	v_fmac_f32_e32 v3, v4, v3
	v_mul_f32_e32 v4, v5, v3
	s_delay_alu instid0(VALU_DEP_1) | instskip(NEXT) | instid1(VALU_DEP_1)
	v_fma_f32 v6, -v2, v4, v5
	v_fmac_f32_e32 v4, v6, v3
	s_delay_alu instid0(VALU_DEP_1) | instskip(NEXT) | instid1(VALU_DEP_1)
	v_fma_f32 v2, -v2, v4, v5
	v_div_fmas_f32 v2, v2, v3, v4
	s_delay_alu instid0(VALU_DEP_1) | instskip(NEXT) | instid1(VALU_DEP_1)
	v_div_fixup_f32 v2, v2, v1, v0
	v_fmac_f32_e32 v1, v0, v2
	s_delay_alu instid0(VALU_DEP_1) | instskip(SKIP_1) | instid1(VALU_DEP_2)
	v_div_scale_f32 v0, null, v1, v1, 1.0
	v_div_scale_f32 v5, vcc_lo, 1.0, v1, 1.0
	v_rcp_f32_e32 v3, v0
	v_nop
	s_delay_alu instid0(TRANS32_DEP_1) | instskip(NEXT) | instid1(VALU_DEP_1)
	v_fma_f32 v4, -v0, v3, 1.0
	v_fmac_f32_e32 v3, v4, v3
	s_delay_alu instid0(VALU_DEP_1) | instskip(NEXT) | instid1(VALU_DEP_1)
	v_mul_f32_e32 v4, v5, v3
	v_fma_f32 v6, -v0, v4, v5
	s_delay_alu instid0(VALU_DEP_1) | instskip(NEXT) | instid1(VALU_DEP_1)
	v_fmac_f32_e32 v4, v6, v3
	v_fma_f32 v0, -v0, v4, v5
	s_delay_alu instid0(VALU_DEP_1) | instskip(NEXT) | instid1(VALU_DEP_1)
	v_div_fmas_f32 v0, v0, v3, v4
	v_div_fixup_f32 v0, v0, v1, 1.0
	s_delay_alu instid0(VALU_DEP_1)
	v_mul_f32_e32 v2, v2, v0
	v_xor_b32_e32 v3, 0x80000000, v0
                                        ; implicit-def: $vgpr0_vgpr1
.LBB115_32:
	s_and_not1_saveexec_b32 s1, s1
	s_cbranch_execz .LBB115_34
; %bb.33:
	v_div_scale_f32 v2, null, v0, v0, v1
	v_div_scale_f32 v5, vcc_lo, v1, v0, v1
	s_delay_alu instid0(VALU_DEP_2) | instskip(SKIP_1) | instid1(TRANS32_DEP_1)
	v_rcp_f32_e32 v3, v2
	v_nop
	v_fma_f32 v4, -v2, v3, 1.0
	s_delay_alu instid0(VALU_DEP_1) | instskip(NEXT) | instid1(VALU_DEP_1)
	v_fmac_f32_e32 v3, v4, v3
	v_mul_f32_e32 v4, v5, v3
	s_delay_alu instid0(VALU_DEP_1) | instskip(NEXT) | instid1(VALU_DEP_1)
	v_fma_f32 v6, -v2, v4, v5
	v_fmac_f32_e32 v4, v6, v3
	s_delay_alu instid0(VALU_DEP_1) | instskip(NEXT) | instid1(VALU_DEP_1)
	v_fma_f32 v2, -v2, v4, v5
	v_div_fmas_f32 v2, v2, v3, v4
	s_delay_alu instid0(VALU_DEP_1) | instskip(NEXT) | instid1(VALU_DEP_1)
	v_div_fixup_f32 v3, v2, v0, v1
	v_fmac_f32_e32 v0, v1, v3
	s_delay_alu instid0(VALU_DEP_1) | instskip(NEXT) | instid1(VALU_DEP_1)
	v_div_scale_f32 v1, null, v0, v0, 1.0
	v_rcp_f32_e32 v2, v1
	v_nop
	s_delay_alu instid0(TRANS32_DEP_1) | instskip(NEXT) | instid1(VALU_DEP_1)
	v_fma_f32 v4, -v1, v2, 1.0
	v_fmac_f32_e32 v2, v4, v2
	v_div_scale_f32 v4, vcc_lo, 1.0, v0, 1.0
	s_delay_alu instid0(VALU_DEP_1) | instskip(NEXT) | instid1(VALU_DEP_1)
	v_mul_f32_e32 v5, v4, v2
	v_fma_f32 v6, -v1, v5, v4
	s_delay_alu instid0(VALU_DEP_1) | instskip(NEXT) | instid1(VALU_DEP_1)
	v_fmac_f32_e32 v5, v6, v2
	v_fma_f32 v1, -v1, v5, v4
	s_delay_alu instid0(VALU_DEP_1) | instskip(NEXT) | instid1(VALU_DEP_1)
	v_div_fmas_f32 v1, v1, v2, v5
	v_div_fixup_f32 v2, v1, v0, 1.0
	s_delay_alu instid0(VALU_DEP_1)
	v_mul_f32_e64 v3, v3, -v2
.LBB115_34:
	s_or_b32 exec_lo, exec_lo, s1
	ds_store_b64 v187, v[2:3]
.LBB115_35:
	s_or_b32 exec_lo, exec_lo, s2
	s_wait_dscnt 0x0
	s_barrier_signal -1
	s_barrier_wait -1
	ds_load_b64 v[0:1], v187
	s_mov_b32 s1, exec_lo
	s_wait_dscnt 0x0
	scratch_store_b64 off, v[0:1], off offset:352 ; 8-byte Folded Spill
	s_wait_xcnt 0x0
	v_cmpx_lt_u32_e32 3, v186
	s_cbranch_execz .LBB115_37
; %bb.36:
	scratch_load_b64 v[4:5], off, off offset:352 ; 8-byte Folded Reload
	s_wait_loadcnt 0x0
	v_pk_mul_f32 v[2:3], v[4:5], v[44:45] op_sel:[1,1] op_sel_hi:[0,1]
	s_delay_alu instid0(VALU_DEP_1)
	v_pk_fma_f32 v[0:1], v[4:5], v[44:45], v[2:3] op_sel_hi:[1,0,1] neg_lo:[0,0,1] neg_hi:[0,0,1]
	v_pk_fma_f32 v[2:3], v[4:5], v[44:45], v[2:3] op_sel_hi:[1,0,1]
	ds_load_2addr_b64 v[4:7], v196 offset0:4 offset1:5
	v_dual_mov_b32 v44, v0 :: v_dual_mov_b32 v45, v3
	s_wait_dscnt 0x0
	v_pk_mul_f32 v[8:9], v[4:5], v[2:3] op_sel:[0,1]
	s_delay_alu instid0(VALU_DEP_1) | instskip(SKIP_1) | instid1(VALU_DEP_1)
	v_pk_fma_f32 v[10:11], v[4:5], v[0:1], v[8:9] op_sel:[0,0,1] op_sel_hi:[1,1,0] neg_lo:[0,0,1] neg_hi:[0,0,1]
	v_pk_fma_f32 v[4:5], v[4:5], v[0:1], v[8:9] op_sel:[0,0,1] op_sel_hi:[1,0,0]
	v_mov_b32_e32 v11, v5
	v_pk_mul_f32 v[4:5], v[6:7], v[2:3] op_sel:[0,1]
	s_delay_alu instid0(VALU_DEP_1) | instskip(SKIP_1) | instid1(VALU_DEP_1)
	v_pk_fma_f32 v[8:9], v[6:7], v[0:1], v[4:5] op_sel:[0,0,1] op_sel_hi:[1,1,0] neg_lo:[0,0,1] neg_hi:[0,0,1]
	v_pk_fma_f32 v[4:5], v[6:7], v[0:1], v[4:5] op_sel:[0,0,1] op_sel_hi:[1,0,0]
	v_mov_b32_e32 v9, v5
	ds_load_2addr_b64 v[4:7], v196 offset0:6 offset1:7
	v_pk_add_f32 v[26:27], v[26:27], v[10:11] neg_lo:[0,1] neg_hi:[0,1]
	v_pk_add_f32 v[22:23], v[22:23], v[8:9] neg_lo:[0,1] neg_hi:[0,1]
	s_wait_dscnt 0x0
	v_pk_mul_f32 v[8:9], v[4:5], v[2:3] op_sel:[0,1]
	s_delay_alu instid0(VALU_DEP_1) | instskip(SKIP_2) | instid1(VALU_DEP_2)
	v_pk_fma_f32 v[10:11], v[4:5], v[0:1], v[8:9] op_sel:[0,0,1] op_sel_hi:[1,1,0] neg_lo:[0,0,1] neg_hi:[0,0,1]
	v_pk_fma_f32 v[4:5], v[4:5], v[0:1], v[8:9] op_sel:[0,0,1] op_sel_hi:[1,0,0]
	v_dual_mul_f32 v8, v7, v3 :: v_dual_mov_b32 v4, v7
	v_dual_mov_b32 v11, v5 :: v_dual_mov_b32 v5, v6
	s_delay_alu instid0(VALU_DEP_2) | instskip(SKIP_1) | instid1(VALU_DEP_3)
	v_pk_fma_f32 v[8:9], v[6:7], v[44:45], v[8:9] op_sel_hi:[1,1,0] neg_lo:[0,0,1] neg_hi:[0,0,1]
	v_mul_f32_e32 v6, v7, v0
	v_pk_add_f32 v[24:25], v[24:25], v[10:11] neg_lo:[0,1] neg_hi:[0,1]
	s_delay_alu instid0(VALU_DEP_2) | instskip(NEXT) | instid1(VALU_DEP_1)
	v_pk_fma_f32 v[4:5], v[4:5], v[44:45], v[6:7] op_sel_hi:[1,1,0]
	v_mov_b32_e32 v9, v5
	ds_load_2addr_b64 v[4:7], v196 offset0:8 offset1:9
	v_pk_add_f32 v[20:21], v[20:21], v[8:9] neg_lo:[0,1] neg_hi:[0,1]
	s_wait_dscnt 0x0
	v_pk_mul_f32 v[8:9], v[4:5], v[2:3] op_sel:[0,1]
	s_delay_alu instid0(VALU_DEP_1) | instskip(SKIP_1) | instid1(VALU_DEP_1)
	v_pk_fma_f32 v[10:11], v[4:5], v[0:1], v[8:9] op_sel:[0,0,1] op_sel_hi:[1,1,0] neg_lo:[0,0,1] neg_hi:[0,0,1]
	v_pk_fma_f32 v[4:5], v[4:5], v[0:1], v[8:9] op_sel:[0,0,1] op_sel_hi:[1,0,0]
	v_mov_b32_e32 v11, v5
	v_pk_mul_f32 v[4:5], v[6:7], v[2:3] op_sel:[0,1]
	s_delay_alu instid0(VALU_DEP_1) | instskip(SKIP_1) | instid1(VALU_DEP_1)
	v_pk_fma_f32 v[8:9], v[6:7], v[0:1], v[4:5] op_sel:[0,0,1] op_sel_hi:[1,1,0] neg_lo:[0,0,1] neg_hi:[0,0,1]
	v_pk_fma_f32 v[4:5], v[6:7], v[0:1], v[4:5] op_sel:[0,0,1] op_sel_hi:[1,0,0]
	v_mov_b32_e32 v9, v5
	ds_load_2addr_b64 v[4:7], v196 offset0:10 offset1:11
	v_pk_add_f32 v[40:41], v[40:41], v[10:11] neg_lo:[0,1] neg_hi:[0,1]
	v_pk_add_f32 v[36:37], v[36:37], v[8:9] neg_lo:[0,1] neg_hi:[0,1]
	s_wait_dscnt 0x0
	v_pk_mul_f32 v[8:9], v[4:5], v[2:3] op_sel:[0,1]
	s_delay_alu instid0(VALU_DEP_1) | instskip(SKIP_1) | instid1(VALU_DEP_1)
	v_pk_fma_f32 v[10:11], v[4:5], v[0:1], v[8:9] op_sel:[0,0,1] op_sel_hi:[1,1,0] neg_lo:[0,0,1] neg_hi:[0,0,1]
	v_pk_fma_f32 v[4:5], v[4:5], v[0:1], v[8:9] op_sel:[0,0,1] op_sel_hi:[1,0,0]
	v_mov_b32_e32 v11, v5
	v_pk_mul_f32 v[4:5], v[6:7], v[2:3] op_sel:[0,1]
	s_delay_alu instid0(VALU_DEP_1) | instskip(SKIP_1) | instid1(VALU_DEP_1)
	v_pk_fma_f32 v[8:9], v[6:7], v[0:1], v[4:5] op_sel:[0,0,1] op_sel_hi:[1,1,0] neg_lo:[0,0,1] neg_hi:[0,0,1]
	v_pk_fma_f32 v[4:5], v[6:7], v[0:1], v[4:5] op_sel:[0,0,1] op_sel_hi:[1,0,0]
	v_mov_b32_e32 v9, v5
	ds_load_2addr_b64 v[4:7], v196 offset0:12 offset1:13
	v_pk_add_f32 v[38:39], v[38:39], v[10:11] neg_lo:[0,1] neg_hi:[0,1]
	v_pk_add_f32 v[34:35], v[34:35], v[8:9] neg_lo:[0,1] neg_hi:[0,1]
	s_wait_dscnt 0x0
	v_dual_mul_f32 v8, v5, v3 :: v_dual_mul_f32 v10, v5, v0
	s_delay_alu instid0(VALU_DEP_1) | instskip(NEXT) | instid1(VALU_DEP_2)
	v_pk_fma_f32 v[8:9], v[4:5], v[44:45], v[8:9] op_sel_hi:[1,1,0] neg_lo:[0,0,1] neg_hi:[0,0,1]
	v_pk_fma_f32 v[4:5], v[4:5], v[44:45], v[10:11] op_sel:[1,0,0] op_sel_hi:[0,1,0]
	s_delay_alu instid0(VALU_DEP_1) | instskip(SKIP_1) | instid1(VALU_DEP_2)
	v_mov_b32_e32 v9, v5
	v_pk_mul_f32 v[4:5], v[6:7], v[2:3] op_sel:[0,1]
	v_pk_add_f32 v[64:65], v[64:65], v[8:9] neg_lo:[0,1] neg_hi:[0,1]
	s_delay_alu instid0(VALU_DEP_2) | instskip(SKIP_1) | instid1(VALU_DEP_1)
	v_pk_fma_f32 v[8:9], v[6:7], v[0:1], v[4:5] op_sel:[0,0,1] op_sel_hi:[1,1,0] neg_lo:[0,0,1] neg_hi:[0,0,1]
	v_pk_fma_f32 v[4:5], v[6:7], v[0:1], v[4:5] op_sel:[0,0,1] op_sel_hi:[1,0,0]
	v_mov_b32_e32 v9, v5
	ds_load_2addr_b64 v[4:7], v196 offset0:14 offset1:15
	v_pk_add_f32 v[60:61], v[60:61], v[8:9] neg_lo:[0,1] neg_hi:[0,1]
	s_wait_dscnt 0x0
	v_pk_mul_f32 v[8:9], v[4:5], v[2:3] op_sel:[0,1]
	s_delay_alu instid0(VALU_DEP_1) | instskip(SKIP_1) | instid1(VALU_DEP_1)
	v_pk_fma_f32 v[10:11], v[4:5], v[0:1], v[8:9] op_sel:[0,0,1] op_sel_hi:[1,1,0] neg_lo:[0,0,1] neg_hi:[0,0,1]
	v_pk_fma_f32 v[4:5], v[4:5], v[0:1], v[8:9] op_sel:[0,0,1] op_sel_hi:[1,0,0]
	v_mov_b32_e32 v11, v5
	v_pk_mul_f32 v[4:5], v[6:7], v[2:3] op_sel:[0,1]
	s_delay_alu instid0(VALU_DEP_2) | instskip(NEXT) | instid1(VALU_DEP_2)
	v_pk_add_f32 v[62:63], v[62:63], v[10:11] neg_lo:[0,1] neg_hi:[0,1]
	v_pk_fma_f32 v[8:9], v[6:7], v[0:1], v[4:5] op_sel:[0,0,1] op_sel_hi:[1,1,0] neg_lo:[0,0,1] neg_hi:[0,0,1]
	v_pk_fma_f32 v[4:5], v[6:7], v[0:1], v[4:5] op_sel:[0,0,1] op_sel_hi:[1,0,0]
	s_delay_alu instid0(VALU_DEP_1) | instskip(SKIP_4) | instid1(VALU_DEP_1)
	v_mov_b32_e32 v9, v5
	ds_load_2addr_b64 v[4:7], v196 offset0:16 offset1:17
	v_pk_add_f32 v[58:59], v[58:59], v[8:9] neg_lo:[0,1] neg_hi:[0,1]
	s_wait_dscnt 0x0
	v_pk_mul_f32 v[8:9], v[4:5], v[2:3] op_sel:[0,1]
	v_pk_fma_f32 v[10:11], v[4:5], v[0:1], v[8:9] op_sel:[0,0,1] op_sel_hi:[1,1,0] neg_lo:[0,0,1] neg_hi:[0,0,1]
	v_pk_fma_f32 v[4:5], v[4:5], v[0:1], v[8:9] op_sel:[0,0,1] op_sel_hi:[1,0,0]
	v_dual_mul_f32 v8, v7, v3 :: v_dual_mov_b32 v4, v7
	s_delay_alu instid0(VALU_DEP_2) | instskip(NEXT) | instid1(VALU_DEP_2)
	v_dual_mov_b32 v11, v5 :: v_dual_mov_b32 v5, v6
	v_pk_fma_f32 v[8:9], v[6:7], v[44:45], v[8:9] op_sel_hi:[1,1,0] neg_lo:[0,0,1] neg_hi:[0,0,1]
	v_mul_f32_e32 v6, v7, v0
	s_delay_alu instid0(VALU_DEP_3) | instskip(NEXT) | instid1(VALU_DEP_2)
	v_pk_add_f32 v[82:83], v[82:83], v[10:11] neg_lo:[0,1] neg_hi:[0,1]
	v_pk_fma_f32 v[4:5], v[4:5], v[44:45], v[6:7] op_sel_hi:[1,1,0]
	s_delay_alu instid0(VALU_DEP_1) | instskip(SKIP_4) | instid1(VALU_DEP_1)
	v_mov_b32_e32 v9, v5
	ds_load_2addr_b64 v[4:7], v196 offset0:18 offset1:19
	v_pk_add_f32 v[78:79], v[78:79], v[8:9] neg_lo:[0,1] neg_hi:[0,1]
	s_wait_dscnt 0x0
	v_pk_mul_f32 v[8:9], v[4:5], v[2:3] op_sel:[0,1]
	v_pk_fma_f32 v[10:11], v[4:5], v[0:1], v[8:9] op_sel:[0,0,1] op_sel_hi:[1,1,0] neg_lo:[0,0,1] neg_hi:[0,0,1]
	v_pk_fma_f32 v[4:5], v[4:5], v[0:1], v[8:9] op_sel:[0,0,1] op_sel_hi:[1,0,0]
	s_delay_alu instid0(VALU_DEP_1) | instskip(SKIP_1) | instid1(VALU_DEP_1)
	v_mov_b32_e32 v11, v5
	v_pk_mul_f32 v[4:5], v[6:7], v[2:3] op_sel:[0,1]
	v_pk_fma_f32 v[8:9], v[6:7], v[0:1], v[4:5] op_sel:[0,0,1] op_sel_hi:[1,1,0] neg_lo:[0,0,1] neg_hi:[0,0,1]
	v_pk_fma_f32 v[4:5], v[6:7], v[0:1], v[4:5] op_sel:[0,0,1] op_sel_hi:[1,0,0]
	s_delay_alu instid0(VALU_DEP_1)
	v_mov_b32_e32 v9, v5
	ds_load_2addr_b64 v[4:7], v196 offset0:20 offset1:21
	v_pk_add_f32 v[80:81], v[80:81], v[10:11] neg_lo:[0,1] neg_hi:[0,1]
	v_pk_add_f32 v[76:77], v[76:77], v[8:9] neg_lo:[0,1] neg_hi:[0,1]
	s_wait_dscnt 0x0
	v_pk_mul_f32 v[8:9], v[4:5], v[2:3] op_sel:[0,1]
	s_delay_alu instid0(VALU_DEP_1) | instskip(SKIP_1) | instid1(VALU_DEP_1)
	v_pk_fma_f32 v[10:11], v[4:5], v[0:1], v[8:9] op_sel:[0,0,1] op_sel_hi:[1,1,0] neg_lo:[0,0,1] neg_hi:[0,0,1]
	v_pk_fma_f32 v[4:5], v[4:5], v[0:1], v[8:9] op_sel:[0,0,1] op_sel_hi:[1,0,0]
	v_mov_b32_e32 v11, v5
	v_pk_mul_f32 v[4:5], v[6:7], v[2:3] op_sel:[0,1]
	s_delay_alu instid0(VALU_DEP_1) | instskip(SKIP_1) | instid1(VALU_DEP_1)
	v_pk_fma_f32 v[8:9], v[6:7], v[0:1], v[4:5] op_sel:[0,0,1] op_sel_hi:[1,1,0] neg_lo:[0,0,1] neg_hi:[0,0,1]
	v_pk_fma_f32 v[4:5], v[6:7], v[0:1], v[4:5] op_sel:[0,0,1] op_sel_hi:[1,0,0]
	v_mov_b32_e32 v9, v5
	ds_load_2addr_b64 v[4:7], v196 offset0:22 offset1:23
	v_pk_add_f32 v[98:99], v[98:99], v[10:11] neg_lo:[0,1] neg_hi:[0,1]
	v_pk_add_f32 v[94:95], v[94:95], v[8:9] neg_lo:[0,1] neg_hi:[0,1]
	s_wait_dscnt 0x0
	v_dual_mul_f32 v8, v5, v3 :: v_dual_mul_f32 v10, v5, v0
	s_delay_alu instid0(VALU_DEP_1) | instskip(NEXT) | instid1(VALU_DEP_2)
	v_pk_fma_f32 v[8:9], v[4:5], v[44:45], v[8:9] op_sel_hi:[1,1,0] neg_lo:[0,0,1] neg_hi:[0,0,1]
	v_pk_fma_f32 v[4:5], v[4:5], v[44:45], v[10:11] op_sel:[1,0,0] op_sel_hi:[0,1,0]
	s_delay_alu instid0(VALU_DEP_1) | instskip(SKIP_1) | instid1(VALU_DEP_2)
	v_mov_b32_e32 v9, v5
	v_pk_mul_f32 v[4:5], v[6:7], v[2:3] op_sel:[0,1]
	v_pk_add_f32 v[96:97], v[96:97], v[8:9] neg_lo:[0,1] neg_hi:[0,1]
	s_delay_alu instid0(VALU_DEP_2) | instskip(SKIP_1) | instid1(VALU_DEP_1)
	v_pk_fma_f32 v[8:9], v[6:7], v[0:1], v[4:5] op_sel:[0,0,1] op_sel_hi:[1,1,0] neg_lo:[0,0,1] neg_hi:[0,0,1]
	v_pk_fma_f32 v[4:5], v[6:7], v[0:1], v[4:5] op_sel:[0,0,1] op_sel_hi:[1,0,0]
	v_mov_b32_e32 v9, v5
	ds_load_2addr_b64 v[4:7], v196 offset0:24 offset1:25
	v_pk_add_f32 v[92:93], v[92:93], v[8:9] neg_lo:[0,1] neg_hi:[0,1]
	s_wait_dscnt 0x0
	v_pk_mul_f32 v[8:9], v[4:5], v[2:3] op_sel:[0,1]
	s_delay_alu instid0(VALU_DEP_1) | instskip(SKIP_1) | instid1(VALU_DEP_1)
	v_pk_fma_f32 v[10:11], v[4:5], v[0:1], v[8:9] op_sel:[0,0,1] op_sel_hi:[1,1,0] neg_lo:[0,0,1] neg_hi:[0,0,1]
	v_pk_fma_f32 v[4:5], v[4:5], v[0:1], v[8:9] op_sel:[0,0,1] op_sel_hi:[1,0,0]
	v_mov_b32_e32 v11, v5
	v_pk_mul_f32 v[4:5], v[6:7], v[2:3] op_sel:[0,1]
	s_delay_alu instid0(VALU_DEP_2) | instskip(NEXT) | instid1(VALU_DEP_2)
	v_pk_add_f32 v[114:115], v[114:115], v[10:11] neg_lo:[0,1] neg_hi:[0,1]
	v_pk_fma_f32 v[8:9], v[6:7], v[0:1], v[4:5] op_sel:[0,0,1] op_sel_hi:[1,1,0] neg_lo:[0,0,1] neg_hi:[0,0,1]
	v_pk_fma_f32 v[4:5], v[6:7], v[0:1], v[4:5] op_sel:[0,0,1] op_sel_hi:[1,0,0]
	s_delay_alu instid0(VALU_DEP_1) | instskip(SKIP_4) | instid1(VALU_DEP_1)
	v_mov_b32_e32 v9, v5
	ds_load_2addr_b64 v[4:7], v196 offset0:26 offset1:27
	v_pk_add_f32 v[110:111], v[110:111], v[8:9] neg_lo:[0,1] neg_hi:[0,1]
	s_wait_dscnt 0x0
	v_pk_mul_f32 v[8:9], v[4:5], v[2:3] op_sel:[0,1]
	v_pk_fma_f32 v[10:11], v[4:5], v[0:1], v[8:9] op_sel:[0,0,1] op_sel_hi:[1,1,0] neg_lo:[0,0,1] neg_hi:[0,0,1]
	v_pk_fma_f32 v[4:5], v[4:5], v[0:1], v[8:9] op_sel:[0,0,1] op_sel_hi:[1,0,0]
	v_dual_mul_f32 v8, v7, v3 :: v_dual_mov_b32 v4, v7
	s_delay_alu instid0(VALU_DEP_2) | instskip(NEXT) | instid1(VALU_DEP_2)
	v_dual_mov_b32 v11, v5 :: v_dual_mov_b32 v5, v6
	v_pk_fma_f32 v[8:9], v[6:7], v[44:45], v[8:9] op_sel_hi:[1,1,0] neg_lo:[0,0,1] neg_hi:[0,0,1]
	v_mul_f32_e32 v6, v7, v0
	s_delay_alu instid0(VALU_DEP_3) | instskip(NEXT) | instid1(VALU_DEP_2)
	v_pk_add_f32 v[112:113], v[112:113], v[10:11] neg_lo:[0,1] neg_hi:[0,1]
	v_pk_fma_f32 v[4:5], v[4:5], v[44:45], v[6:7] op_sel_hi:[1,1,0]
	s_delay_alu instid0(VALU_DEP_1) | instskip(SKIP_4) | instid1(VALU_DEP_1)
	v_mov_b32_e32 v9, v5
	ds_load_2addr_b64 v[4:7], v196 offset0:28 offset1:29
	v_pk_add_f32 v[108:109], v[108:109], v[8:9] neg_lo:[0,1] neg_hi:[0,1]
	s_wait_dscnt 0x0
	v_pk_mul_f32 v[8:9], v[4:5], v[2:3] op_sel:[0,1]
	v_pk_fma_f32 v[10:11], v[4:5], v[0:1], v[8:9] op_sel:[0,0,1] op_sel_hi:[1,1,0] neg_lo:[0,0,1] neg_hi:[0,0,1]
	v_pk_fma_f32 v[4:5], v[4:5], v[0:1], v[8:9] op_sel:[0,0,1] op_sel_hi:[1,0,0]
	s_delay_alu instid0(VALU_DEP_1) | instskip(SKIP_1) | instid1(VALU_DEP_1)
	v_mov_b32_e32 v11, v5
	v_pk_mul_f32 v[4:5], v[6:7], v[2:3] op_sel:[0,1]
	v_pk_fma_f32 v[8:9], v[6:7], v[0:1], v[4:5] op_sel:[0,0,1] op_sel_hi:[1,1,0] neg_lo:[0,0,1] neg_hi:[0,0,1]
	v_pk_fma_f32 v[4:5], v[6:7], v[0:1], v[4:5] op_sel:[0,0,1] op_sel_hi:[1,0,0]
	s_delay_alu instid0(VALU_DEP_1)
	v_mov_b32_e32 v9, v5
	ds_load_2addr_b64 v[4:7], v196 offset0:30 offset1:31
	v_pk_add_f32 v[130:131], v[130:131], v[10:11] neg_lo:[0,1] neg_hi:[0,1]
	v_pk_add_f32 v[126:127], v[126:127], v[8:9] neg_lo:[0,1] neg_hi:[0,1]
	s_wait_dscnt 0x0
	v_pk_mul_f32 v[8:9], v[4:5], v[2:3] op_sel:[0,1]
	s_delay_alu instid0(VALU_DEP_1) | instskip(SKIP_1) | instid1(VALU_DEP_1)
	v_pk_fma_f32 v[10:11], v[4:5], v[0:1], v[8:9] op_sel:[0,0,1] op_sel_hi:[1,1,0] neg_lo:[0,0,1] neg_hi:[0,0,1]
	v_pk_fma_f32 v[4:5], v[4:5], v[0:1], v[8:9] op_sel:[0,0,1] op_sel_hi:[1,0,0]
	v_mov_b32_e32 v11, v5
	v_pk_mul_f32 v[4:5], v[6:7], v[2:3] op_sel:[0,1]
	s_delay_alu instid0(VALU_DEP_1) | instskip(SKIP_1) | instid1(VALU_DEP_1)
	v_pk_fma_f32 v[8:9], v[6:7], v[0:1], v[4:5] op_sel:[0,0,1] op_sel_hi:[1,1,0] neg_lo:[0,0,1] neg_hi:[0,0,1]
	v_pk_fma_f32 v[4:5], v[6:7], v[0:1], v[4:5] op_sel:[0,0,1] op_sel_hi:[1,0,0]
	v_mov_b32_e32 v9, v5
	ds_load_2addr_b64 v[4:7], v196 offset0:32 offset1:33
	v_pk_add_f32 v[128:129], v[128:129], v[10:11] neg_lo:[0,1] neg_hi:[0,1]
	v_pk_add_f32 v[124:125], v[124:125], v[8:9] neg_lo:[0,1] neg_hi:[0,1]
	s_wait_dscnt 0x0
	v_dual_mul_f32 v8, v5, v3 :: v_dual_mul_f32 v10, v5, v0
	s_delay_alu instid0(VALU_DEP_1) | instskip(NEXT) | instid1(VALU_DEP_2)
	v_pk_fma_f32 v[8:9], v[4:5], v[44:45], v[8:9] op_sel_hi:[1,1,0] neg_lo:[0,0,1] neg_hi:[0,0,1]
	v_pk_fma_f32 v[4:5], v[4:5], v[44:45], v[10:11] op_sel:[1,0,0] op_sel_hi:[0,1,0]
	s_delay_alu instid0(VALU_DEP_1) | instskip(SKIP_1) | instid1(VALU_DEP_2)
	v_mov_b32_e32 v9, v5
	v_pk_mul_f32 v[4:5], v[6:7], v[2:3] op_sel:[0,1]
	v_pk_add_f32 v[146:147], v[146:147], v[8:9] neg_lo:[0,1] neg_hi:[0,1]
	s_delay_alu instid0(VALU_DEP_2) | instskip(SKIP_1) | instid1(VALU_DEP_1)
	v_pk_fma_f32 v[8:9], v[6:7], v[0:1], v[4:5] op_sel:[0,0,1] op_sel_hi:[1,1,0] neg_lo:[0,0,1] neg_hi:[0,0,1]
	v_pk_fma_f32 v[4:5], v[6:7], v[0:1], v[4:5] op_sel:[0,0,1] op_sel_hi:[1,0,0]
	v_mov_b32_e32 v9, v5
	ds_load_2addr_b64 v[4:7], v196 offset0:34 offset1:35
	v_pk_add_f32 v[142:143], v[142:143], v[8:9] neg_lo:[0,1] neg_hi:[0,1]
	s_wait_dscnt 0x0
	v_pk_mul_f32 v[8:9], v[4:5], v[2:3] op_sel:[0,1]
	s_delay_alu instid0(VALU_DEP_1) | instskip(SKIP_1) | instid1(VALU_DEP_1)
	v_pk_fma_f32 v[10:11], v[4:5], v[0:1], v[8:9] op_sel:[0,0,1] op_sel_hi:[1,1,0] neg_lo:[0,0,1] neg_hi:[0,0,1]
	v_pk_fma_f32 v[4:5], v[4:5], v[0:1], v[8:9] op_sel:[0,0,1] op_sel_hi:[1,0,0]
	v_mov_b32_e32 v11, v5
	v_pk_mul_f32 v[4:5], v[6:7], v[2:3] op_sel:[0,1]
	s_delay_alu instid0(VALU_DEP_2) | instskip(NEXT) | instid1(VALU_DEP_2)
	v_pk_add_f32 v[144:145], v[144:145], v[10:11] neg_lo:[0,1] neg_hi:[0,1]
	v_pk_fma_f32 v[8:9], v[6:7], v[0:1], v[4:5] op_sel:[0,0,1] op_sel_hi:[1,1,0] neg_lo:[0,0,1] neg_hi:[0,0,1]
	v_pk_fma_f32 v[4:5], v[6:7], v[0:1], v[4:5] op_sel:[0,0,1] op_sel_hi:[1,0,0]
	s_delay_alu instid0(VALU_DEP_1) | instskip(SKIP_4) | instid1(VALU_DEP_1)
	v_mov_b32_e32 v9, v5
	ds_load_2addr_b64 v[4:7], v196 offset0:36 offset1:37
	v_pk_add_f32 v[140:141], v[140:141], v[8:9] neg_lo:[0,1] neg_hi:[0,1]
	s_wait_dscnt 0x0
	v_pk_mul_f32 v[8:9], v[4:5], v[2:3] op_sel:[0,1]
	v_pk_fma_f32 v[10:11], v[4:5], v[0:1], v[8:9] op_sel:[0,0,1] op_sel_hi:[1,1,0] neg_lo:[0,0,1] neg_hi:[0,0,1]
	v_pk_fma_f32 v[4:5], v[4:5], v[0:1], v[8:9] op_sel:[0,0,1] op_sel_hi:[1,0,0]
	v_dual_mul_f32 v8, v7, v3 :: v_dual_mov_b32 v4, v7
	s_delay_alu instid0(VALU_DEP_2) | instskip(NEXT) | instid1(VALU_DEP_2)
	v_dual_mov_b32 v11, v5 :: v_dual_mov_b32 v5, v6
	v_pk_fma_f32 v[8:9], v[6:7], v[44:45], v[8:9] op_sel_hi:[1,1,0] neg_lo:[0,0,1] neg_hi:[0,0,1]
	v_mul_f32_e32 v6, v7, v0
	s_delay_alu instid0(VALU_DEP_3) | instskip(NEXT) | instid1(VALU_DEP_2)
	v_pk_add_f32 v[162:163], v[162:163], v[10:11] neg_lo:[0,1] neg_hi:[0,1]
	v_pk_fma_f32 v[4:5], v[4:5], v[44:45], v[6:7] op_sel_hi:[1,1,0]
	s_delay_alu instid0(VALU_DEP_1) | instskip(SKIP_4) | instid1(VALU_DEP_1)
	v_mov_b32_e32 v9, v5
	ds_load_2addr_b64 v[4:7], v196 offset0:38 offset1:39
	v_pk_add_f32 v[158:159], v[158:159], v[8:9] neg_lo:[0,1] neg_hi:[0,1]
	s_wait_dscnt 0x0
	v_pk_mul_f32 v[8:9], v[4:5], v[2:3] op_sel:[0,1]
	v_pk_fma_f32 v[10:11], v[4:5], v[0:1], v[8:9] op_sel:[0,0,1] op_sel_hi:[1,1,0] neg_lo:[0,0,1] neg_hi:[0,0,1]
	v_pk_fma_f32 v[4:5], v[4:5], v[0:1], v[8:9] op_sel:[0,0,1] op_sel_hi:[1,0,0]
	s_delay_alu instid0(VALU_DEP_1) | instskip(SKIP_1) | instid1(VALU_DEP_1)
	v_mov_b32_e32 v11, v5
	v_pk_mul_f32 v[4:5], v[6:7], v[2:3] op_sel:[0,1]
	v_pk_fma_f32 v[8:9], v[6:7], v[0:1], v[4:5] op_sel:[0,0,1] op_sel_hi:[1,1,0] neg_lo:[0,0,1] neg_hi:[0,0,1]
	v_pk_fma_f32 v[4:5], v[6:7], v[0:1], v[4:5] op_sel:[0,0,1] op_sel_hi:[1,0,0]
	s_delay_alu instid0(VALU_DEP_1)
	v_mov_b32_e32 v9, v5
	ds_load_2addr_b64 v[4:7], v196 offset0:40 offset1:41
	v_pk_add_f32 v[160:161], v[160:161], v[10:11] neg_lo:[0,1] neg_hi:[0,1]
	v_pk_add_f32 v[156:157], v[156:157], v[8:9] neg_lo:[0,1] neg_hi:[0,1]
	s_wait_dscnt 0x0
	v_pk_mul_f32 v[8:9], v[4:5], v[2:3] op_sel:[0,1]
	s_delay_alu instid0(VALU_DEP_1) | instskip(SKIP_1) | instid1(VALU_DEP_1)
	v_pk_fma_f32 v[10:11], v[4:5], v[0:1], v[8:9] op_sel:[0,0,1] op_sel_hi:[1,1,0] neg_lo:[0,0,1] neg_hi:[0,0,1]
	v_pk_fma_f32 v[4:5], v[4:5], v[0:1], v[8:9] op_sel:[0,0,1] op_sel_hi:[1,0,0]
	v_mov_b32_e32 v11, v5
	v_pk_mul_f32 v[4:5], v[6:7], v[2:3] op_sel:[0,1]
	s_delay_alu instid0(VALU_DEP_1) | instskip(SKIP_1) | instid1(VALU_DEP_1)
	v_pk_fma_f32 v[8:9], v[6:7], v[0:1], v[4:5] op_sel:[0,0,1] op_sel_hi:[1,1,0] neg_lo:[0,0,1] neg_hi:[0,0,1]
	v_pk_fma_f32 v[4:5], v[6:7], v[0:1], v[4:5] op_sel:[0,0,1] op_sel_hi:[1,0,0]
	v_mov_b32_e32 v9, v5
	ds_load_2addr_b64 v[4:7], v196 offset0:42 offset1:43
	v_pk_add_f32 v[178:179], v[178:179], v[10:11] neg_lo:[0,1] neg_hi:[0,1]
	v_pk_add_f32 v[174:175], v[174:175], v[8:9] neg_lo:[0,1] neg_hi:[0,1]
	s_wait_dscnt 0x0
	v_dual_mul_f32 v8, v5, v3 :: v_dual_mul_f32 v10, v5, v0
	s_delay_alu instid0(VALU_DEP_1) | instskip(NEXT) | instid1(VALU_DEP_2)
	v_pk_fma_f32 v[8:9], v[4:5], v[44:45], v[8:9] op_sel_hi:[1,1,0] neg_lo:[0,0,1] neg_hi:[0,0,1]
	v_pk_fma_f32 v[4:5], v[4:5], v[44:45], v[10:11] op_sel:[1,0,0] op_sel_hi:[0,1,0]
	s_delay_alu instid0(VALU_DEP_1) | instskip(SKIP_1) | instid1(VALU_DEP_2)
	v_mov_b32_e32 v9, v5
	v_pk_mul_f32 v[4:5], v[6:7], v[2:3] op_sel:[0,1]
	v_pk_add_f32 v[176:177], v[176:177], v[8:9] neg_lo:[0,1] neg_hi:[0,1]
	s_delay_alu instid0(VALU_DEP_2) | instskip(SKIP_1) | instid1(VALU_DEP_1)
	v_pk_fma_f32 v[8:9], v[6:7], v[0:1], v[4:5] op_sel:[0,0,1] op_sel_hi:[1,1,0] neg_lo:[0,0,1] neg_hi:[0,0,1]
	v_pk_fma_f32 v[4:5], v[6:7], v[0:1], v[4:5] op_sel:[0,0,1] op_sel_hi:[1,0,0]
	v_mov_b32_e32 v9, v5
	ds_load_2addr_b64 v[4:7], v196 offset0:44 offset1:45
	v_pk_add_f32 v[172:173], v[172:173], v[8:9] neg_lo:[0,1] neg_hi:[0,1]
	s_wait_dscnt 0x0
	v_pk_mul_f32 v[8:9], v[4:5], v[2:3] op_sel:[0,1]
	s_delay_alu instid0(VALU_DEP_1) | instskip(SKIP_1) | instid1(VALU_DEP_1)
	v_pk_fma_f32 v[10:11], v[4:5], v[0:1], v[8:9] op_sel:[0,0,1] op_sel_hi:[1,1,0] neg_lo:[0,0,1] neg_hi:[0,0,1]
	v_pk_fma_f32 v[4:5], v[4:5], v[0:1], v[8:9] op_sel:[0,0,1] op_sel_hi:[1,0,0]
	v_mov_b32_e32 v11, v5
	v_pk_mul_f32 v[4:5], v[6:7], v[2:3] op_sel:[0,1]
	s_delay_alu instid0(VALU_DEP_2) | instskip(NEXT) | instid1(VALU_DEP_2)
	v_pk_add_f32 v[194:195], v[194:195], v[10:11] neg_lo:[0,1] neg_hi:[0,1]
	v_pk_fma_f32 v[8:9], v[6:7], v[0:1], v[4:5] op_sel:[0,0,1] op_sel_hi:[1,1,0] neg_lo:[0,0,1] neg_hi:[0,0,1]
	v_pk_fma_f32 v[4:5], v[6:7], v[0:1], v[4:5] op_sel:[0,0,1] op_sel_hi:[1,0,0]
	s_delay_alu instid0(VALU_DEP_1) | instskip(SKIP_4) | instid1(VALU_DEP_1)
	v_mov_b32_e32 v9, v5
	ds_load_2addr_b64 v[4:7], v196 offset0:46 offset1:47
	v_pk_add_f32 v[190:191], v[190:191], v[8:9] neg_lo:[0,1] neg_hi:[0,1]
	s_wait_dscnt 0x0
	v_pk_mul_f32 v[8:9], v[4:5], v[2:3] op_sel:[0,1]
	v_pk_fma_f32 v[10:11], v[4:5], v[0:1], v[8:9] op_sel:[0,0,1] op_sel_hi:[1,1,0] neg_lo:[0,0,1] neg_hi:[0,0,1]
	v_pk_fma_f32 v[4:5], v[4:5], v[0:1], v[8:9] op_sel:[0,0,1] op_sel_hi:[1,0,0]
	v_dual_mul_f32 v8, v7, v3 :: v_dual_mov_b32 v4, v7
	s_delay_alu instid0(VALU_DEP_2) | instskip(NEXT) | instid1(VALU_DEP_2)
	v_dual_mov_b32 v11, v5 :: v_dual_mov_b32 v5, v6
	v_pk_fma_f32 v[8:9], v[6:7], v[44:45], v[8:9] op_sel_hi:[1,1,0] neg_lo:[0,0,1] neg_hi:[0,0,1]
	v_mul_f32_e32 v6, v7, v0
	s_delay_alu instid0(VALU_DEP_3) | instskip(NEXT) | instid1(VALU_DEP_2)
	v_pk_add_f32 v[192:193], v[192:193], v[10:11] neg_lo:[0,1] neg_hi:[0,1]
	v_pk_fma_f32 v[4:5], v[4:5], v[44:45], v[6:7] op_sel_hi:[1,1,0]
	s_delay_alu instid0(VALU_DEP_1) | instskip(SKIP_4) | instid1(VALU_DEP_1)
	v_mov_b32_e32 v9, v5
	ds_load_2addr_b64 v[4:7], v196 offset0:48 offset1:49
	v_pk_add_f32 v[188:189], v[188:189], v[8:9] neg_lo:[0,1] neg_hi:[0,1]
	s_wait_dscnt 0x0
	v_pk_mul_f32 v[8:9], v[4:5], v[2:3] op_sel:[0,1]
	v_pk_fma_f32 v[10:11], v[4:5], v[0:1], v[8:9] op_sel:[0,0,1] op_sel_hi:[1,1,0] neg_lo:[0,0,1] neg_hi:[0,0,1]
	v_pk_fma_f32 v[4:5], v[4:5], v[0:1], v[8:9] op_sel:[0,0,1] op_sel_hi:[1,0,0]
	s_delay_alu instid0(VALU_DEP_1) | instskip(SKIP_1) | instid1(VALU_DEP_1)
	v_mov_b32_e32 v11, v5
	v_pk_mul_f32 v[4:5], v[6:7], v[2:3] op_sel:[0,1]
	v_pk_fma_f32 v[8:9], v[6:7], v[0:1], v[4:5] op_sel:[0,0,1] op_sel_hi:[1,1,0] neg_lo:[0,0,1] neg_hi:[0,0,1]
	v_pk_fma_f32 v[4:5], v[6:7], v[0:1], v[4:5] op_sel:[0,0,1] op_sel_hi:[1,0,0]
	s_delay_alu instid0(VALU_DEP_1)
	v_mov_b32_e32 v9, v5
	ds_load_2addr_b64 v[4:7], v196 offset0:50 offset1:51
	v_pk_add_f32 v[212:213], v[212:213], v[10:11] neg_lo:[0,1] neg_hi:[0,1]
	v_pk_add_f32 v[208:209], v[208:209], v[8:9] neg_lo:[0,1] neg_hi:[0,1]
	s_wait_dscnt 0x0
	v_pk_mul_f32 v[8:9], v[4:5], v[2:3] op_sel:[0,1]
	s_delay_alu instid0(VALU_DEP_1) | instskip(SKIP_1) | instid1(VALU_DEP_1)
	v_pk_fma_f32 v[10:11], v[4:5], v[0:1], v[8:9] op_sel:[0,0,1] op_sel_hi:[1,1,0] neg_lo:[0,0,1] neg_hi:[0,0,1]
	v_pk_fma_f32 v[4:5], v[4:5], v[0:1], v[8:9] op_sel:[0,0,1] op_sel_hi:[1,0,0]
	v_mov_b32_e32 v11, v5
	v_pk_mul_f32 v[4:5], v[6:7], v[2:3] op_sel:[0,1]
	s_delay_alu instid0(VALU_DEP_1) | instskip(SKIP_1) | instid1(VALU_DEP_1)
	v_pk_fma_f32 v[8:9], v[6:7], v[0:1], v[4:5] op_sel:[0,0,1] op_sel_hi:[1,1,0] neg_lo:[0,0,1] neg_hi:[0,0,1]
	v_pk_fma_f32 v[4:5], v[6:7], v[0:1], v[4:5] op_sel:[0,0,1] op_sel_hi:[1,0,0]
	v_mov_b32_e32 v9, v5
	ds_load_2addr_b64 v[4:7], v196 offset0:52 offset1:53
	v_pk_add_f32 v[210:211], v[210:211], v[10:11] neg_lo:[0,1] neg_hi:[0,1]
	v_pk_add_f32 v[206:207], v[206:207], v[8:9] neg_lo:[0,1] neg_hi:[0,1]
	s_wait_dscnt 0x0
	v_dual_mul_f32 v8, v5, v3 :: v_dual_mul_f32 v10, v5, v0
	s_delay_alu instid0(VALU_DEP_1) | instskip(NEXT) | instid1(VALU_DEP_2)
	v_pk_fma_f32 v[8:9], v[4:5], v[44:45], v[8:9] op_sel_hi:[1,1,0] neg_lo:[0,0,1] neg_hi:[0,0,1]
	v_pk_fma_f32 v[4:5], v[4:5], v[44:45], v[10:11] op_sel:[1,0,0] op_sel_hi:[0,1,0]
	s_delay_alu instid0(VALU_DEP_1) | instskip(SKIP_1) | instid1(VALU_DEP_2)
	v_mov_b32_e32 v9, v5
	v_pk_mul_f32 v[4:5], v[6:7], v[2:3] op_sel:[0,1]
	v_pk_add_f32 v[228:229], v[228:229], v[8:9] neg_lo:[0,1] neg_hi:[0,1]
	s_delay_alu instid0(VALU_DEP_2) | instskip(SKIP_1) | instid1(VALU_DEP_1)
	v_pk_fma_f32 v[8:9], v[6:7], v[0:1], v[4:5] op_sel:[0,0,1] op_sel_hi:[1,1,0] neg_lo:[0,0,1] neg_hi:[0,0,1]
	v_pk_fma_f32 v[4:5], v[6:7], v[0:1], v[4:5] op_sel:[0,0,1] op_sel_hi:[1,0,0]
	v_mov_b32_e32 v9, v5
	ds_load_2addr_b64 v[4:7], v196 offset0:54 offset1:55
	v_pk_add_f32 v[224:225], v[224:225], v[8:9] neg_lo:[0,1] neg_hi:[0,1]
	s_wait_dscnt 0x0
	v_pk_mul_f32 v[8:9], v[4:5], v[2:3] op_sel:[0,1]
	s_delay_alu instid0(VALU_DEP_1) | instskip(SKIP_1) | instid1(VALU_DEP_1)
	v_pk_fma_f32 v[10:11], v[4:5], v[0:1], v[8:9] op_sel:[0,0,1] op_sel_hi:[1,1,0] neg_lo:[0,0,1] neg_hi:[0,0,1]
	v_pk_fma_f32 v[4:5], v[4:5], v[0:1], v[8:9] op_sel:[0,0,1] op_sel_hi:[1,0,0]
	v_mov_b32_e32 v11, v5
	v_pk_mul_f32 v[4:5], v[6:7], v[2:3] op_sel:[0,1]
	s_delay_alu instid0(VALU_DEP_2) | instskip(NEXT) | instid1(VALU_DEP_2)
	v_pk_add_f32 v[226:227], v[226:227], v[10:11] neg_lo:[0,1] neg_hi:[0,1]
	v_pk_fma_f32 v[8:9], v[6:7], v[0:1], v[4:5] op_sel:[0,0,1] op_sel_hi:[1,1,0] neg_lo:[0,0,1] neg_hi:[0,0,1]
	v_pk_fma_f32 v[4:5], v[6:7], v[0:1], v[4:5] op_sel:[0,0,1] op_sel_hi:[1,0,0]
	s_delay_alu instid0(VALU_DEP_1)
	v_mov_b32_e32 v9, v5
	ds_load_2addr_b64 v[4:7], v196 offset0:56 offset1:57
	v_pk_add_f32 v[222:223], v[222:223], v[8:9] neg_lo:[0,1] neg_hi:[0,1]
	s_wait_dscnt 0x0
	v_pk_mul_f32 v[8:9], v[4:5], v[2:3] op_sel:[0,1]
	v_mul_f32_e32 v2, v7, v3
	s_delay_alu instid0(VALU_DEP_2) | instskip(SKIP_2) | instid1(VALU_DEP_4)
	v_pk_fma_f32 v[10:11], v[4:5], v[0:1], v[8:9] op_sel:[0,0,1] op_sel_hi:[1,1,0] neg_lo:[0,0,1] neg_hi:[0,0,1]
	v_pk_fma_f32 v[4:5], v[4:5], v[0:1], v[8:9] op_sel:[0,0,1] op_sel_hi:[1,0,0]
	v_dual_mov_b32 v4, v7 :: v_dual_mul_f32 v0, v7, v0
	v_pk_fma_f32 v[2:3], v[6:7], v[44:45], v[2:3] op_sel_hi:[1,1,0] neg_lo:[0,0,1] neg_hi:[0,0,1]
	s_delay_alu instid0(VALU_DEP_3) | instskip(NEXT) | instid1(VALU_DEP_1)
	v_dual_mov_b32 v11, v5 :: v_dual_mov_b32 v5, v6
	v_pk_add_f32 v[230:231], v[230:231], v[10:11] neg_lo:[0,1] neg_hi:[0,1]
	s_delay_alu instid0(VALU_DEP_2) | instskip(NEXT) | instid1(VALU_DEP_1)
	v_pk_fma_f32 v[0:1], v[4:5], v[44:45], v[0:1] op_sel_hi:[1,1,0]
	v_mov_b32_e32 v3, v1
	s_delay_alu instid0(VALU_DEP_1)
	v_pk_add_f32 v[232:233], v[232:233], v[2:3] neg_lo:[0,1] neg_hi:[0,1]
.LBB115_37:
	s_wait_xcnt 0x0
	s_or_b32 exec_lo, exec_lo, s1
	s_delay_alu instid0(SALU_CYCLE_1)
	s_mov_b32 s2, exec_lo
	s_wait_storecnt 0x0
	s_barrier_signal -1
	s_barrier_wait -1
	v_cmpx_eq_u32_e32 4, v186
	s_cbranch_execz .LBB115_44
; %bb.38:
	ds_store_b64 v187, v[26:27]
	ds_store_2addr_b64 v196, v[22:23], v[24:25] offset0:5 offset1:6
	ds_store_2addr_b64 v196, v[20:21], v[40:41] offset0:7 offset1:8
	;; [unrolled: 1-line block ×26, first 2 shown]
	ds_store_b64 v196, v[232:233] offset:456
	ds_load_b64 v[0:1], v187
	s_wait_dscnt 0x0
	v_cmp_neq_f32_e32 vcc_lo, 0, v0
	v_cmp_neq_f32_e64 s1, 0, v1
	s_or_b32 s1, vcc_lo, s1
	s_delay_alu instid0(SALU_CYCLE_1)
	s_and_b32 exec_lo, exec_lo, s1
	s_cbranch_execz .LBB115_44
; %bb.39:
	v_cmp_ngt_f32_e64 s1, |v0|, |v1|
                                        ; implicit-def: $vgpr2_vgpr3
	s_and_saveexec_b32 s4, s1
	s_delay_alu instid0(SALU_CYCLE_1)
	s_xor_b32 s1, exec_lo, s4
	s_cbranch_execz .LBB115_41
; %bb.40:
	v_div_scale_f32 v2, null, v1, v1, v0
	v_div_scale_f32 v5, vcc_lo, v0, v1, v0
	s_delay_alu instid0(VALU_DEP_2) | instskip(SKIP_1) | instid1(TRANS32_DEP_1)
	v_rcp_f32_e32 v3, v2
	v_nop
	v_fma_f32 v4, -v2, v3, 1.0
	s_delay_alu instid0(VALU_DEP_1) | instskip(NEXT) | instid1(VALU_DEP_1)
	v_fmac_f32_e32 v3, v4, v3
	v_mul_f32_e32 v4, v5, v3
	s_delay_alu instid0(VALU_DEP_1) | instskip(NEXT) | instid1(VALU_DEP_1)
	v_fma_f32 v6, -v2, v4, v5
	v_fmac_f32_e32 v4, v6, v3
	s_delay_alu instid0(VALU_DEP_1) | instskip(NEXT) | instid1(VALU_DEP_1)
	v_fma_f32 v2, -v2, v4, v5
	v_div_fmas_f32 v2, v2, v3, v4
	s_delay_alu instid0(VALU_DEP_1) | instskip(NEXT) | instid1(VALU_DEP_1)
	v_div_fixup_f32 v2, v2, v1, v0
	v_fmac_f32_e32 v1, v0, v2
	s_delay_alu instid0(VALU_DEP_1) | instskip(SKIP_1) | instid1(VALU_DEP_2)
	v_div_scale_f32 v0, null, v1, v1, 1.0
	v_div_scale_f32 v5, vcc_lo, 1.0, v1, 1.0
	v_rcp_f32_e32 v3, v0
	v_nop
	s_delay_alu instid0(TRANS32_DEP_1) | instskip(NEXT) | instid1(VALU_DEP_1)
	v_fma_f32 v4, -v0, v3, 1.0
	v_fmac_f32_e32 v3, v4, v3
	s_delay_alu instid0(VALU_DEP_1) | instskip(NEXT) | instid1(VALU_DEP_1)
	v_mul_f32_e32 v4, v5, v3
	v_fma_f32 v6, -v0, v4, v5
	s_delay_alu instid0(VALU_DEP_1) | instskip(NEXT) | instid1(VALU_DEP_1)
	v_fmac_f32_e32 v4, v6, v3
	v_fma_f32 v0, -v0, v4, v5
	s_delay_alu instid0(VALU_DEP_1) | instskip(NEXT) | instid1(VALU_DEP_1)
	v_div_fmas_f32 v0, v0, v3, v4
	v_div_fixup_f32 v0, v0, v1, 1.0
	s_delay_alu instid0(VALU_DEP_1)
	v_mul_f32_e32 v2, v2, v0
	v_xor_b32_e32 v3, 0x80000000, v0
                                        ; implicit-def: $vgpr0_vgpr1
.LBB115_41:
	s_and_not1_saveexec_b32 s1, s1
	s_cbranch_execz .LBB115_43
; %bb.42:
	v_div_scale_f32 v2, null, v0, v0, v1
	v_div_scale_f32 v5, vcc_lo, v1, v0, v1
	s_delay_alu instid0(VALU_DEP_2) | instskip(SKIP_1) | instid1(TRANS32_DEP_1)
	v_rcp_f32_e32 v3, v2
	v_nop
	v_fma_f32 v4, -v2, v3, 1.0
	s_delay_alu instid0(VALU_DEP_1) | instskip(NEXT) | instid1(VALU_DEP_1)
	v_fmac_f32_e32 v3, v4, v3
	v_mul_f32_e32 v4, v5, v3
	s_delay_alu instid0(VALU_DEP_1) | instskip(NEXT) | instid1(VALU_DEP_1)
	v_fma_f32 v6, -v2, v4, v5
	v_fmac_f32_e32 v4, v6, v3
	s_delay_alu instid0(VALU_DEP_1) | instskip(NEXT) | instid1(VALU_DEP_1)
	v_fma_f32 v2, -v2, v4, v5
	v_div_fmas_f32 v2, v2, v3, v4
	s_delay_alu instid0(VALU_DEP_1) | instskip(NEXT) | instid1(VALU_DEP_1)
	v_div_fixup_f32 v3, v2, v0, v1
	v_fmac_f32_e32 v0, v1, v3
	s_delay_alu instid0(VALU_DEP_1) | instskip(NEXT) | instid1(VALU_DEP_1)
	v_div_scale_f32 v1, null, v0, v0, 1.0
	v_rcp_f32_e32 v2, v1
	v_nop
	s_delay_alu instid0(TRANS32_DEP_1) | instskip(NEXT) | instid1(VALU_DEP_1)
	v_fma_f32 v4, -v1, v2, 1.0
	v_fmac_f32_e32 v2, v4, v2
	v_div_scale_f32 v4, vcc_lo, 1.0, v0, 1.0
	s_delay_alu instid0(VALU_DEP_1) | instskip(NEXT) | instid1(VALU_DEP_1)
	v_mul_f32_e32 v5, v4, v2
	v_fma_f32 v6, -v1, v5, v4
	s_delay_alu instid0(VALU_DEP_1) | instskip(NEXT) | instid1(VALU_DEP_1)
	v_fmac_f32_e32 v5, v6, v2
	v_fma_f32 v1, -v1, v5, v4
	s_delay_alu instid0(VALU_DEP_1) | instskip(NEXT) | instid1(VALU_DEP_1)
	v_div_fmas_f32 v1, v1, v2, v5
	v_div_fixup_f32 v2, v1, v0, 1.0
	s_delay_alu instid0(VALU_DEP_1)
	v_mul_f32_e64 v3, v3, -v2
.LBB115_43:
	s_or_b32 exec_lo, exec_lo, s1
	ds_store_b64 v187, v[2:3]
.LBB115_44:
	s_or_b32 exec_lo, exec_lo, s2
	s_wait_dscnt 0x0
	s_barrier_signal -1
	s_barrier_wait -1
	ds_load_b64 v[0:1], v187
	s_mov_b32 s1, exec_lo
	s_wait_dscnt 0x0
	scratch_store_b64 off, v[0:1], off offset:360 ; 8-byte Folded Spill
	s_wait_xcnt 0x0
	v_cmpx_lt_u32_e32 4, v186
	s_cbranch_execz .LBB115_46
; %bb.45:
	scratch_load_b64 v[4:5], off, off offset:360 ; 8-byte Folded Reload
	s_wait_loadcnt 0x0
	v_pk_mul_f32 v[2:3], v[4:5], v[26:27] op_sel:[1,1] op_sel_hi:[0,1]
	s_delay_alu instid0(VALU_DEP_1)
	v_pk_fma_f32 v[0:1], v[4:5], v[26:27], v[2:3] op_sel_hi:[1,0,1] neg_lo:[0,0,1] neg_hi:[0,0,1]
	v_pk_fma_f32 v[2:3], v[4:5], v[26:27], v[2:3] op_sel_hi:[1,0,1]
	ds_load_2addr_b64 v[4:7], v196 offset0:5 offset1:6
	v_dual_mov_b32 v26, v0 :: v_dual_mov_b32 v27, v3
	s_wait_dscnt 0x0
	v_pk_mul_f32 v[8:9], v[4:5], v[2:3] op_sel:[0,1]
	s_delay_alu instid0(VALU_DEP_1) | instskip(SKIP_1) | instid1(VALU_DEP_1)
	v_pk_fma_f32 v[10:11], v[4:5], v[0:1], v[8:9] op_sel:[0,0,1] op_sel_hi:[1,1,0] neg_lo:[0,0,1] neg_hi:[0,0,1]
	v_pk_fma_f32 v[4:5], v[4:5], v[0:1], v[8:9] op_sel:[0,0,1] op_sel_hi:[1,0,0]
	v_mov_b32_e32 v11, v5
	v_pk_mul_f32 v[4:5], v[6:7], v[2:3] op_sel:[0,1]
	s_delay_alu instid0(VALU_DEP_1) | instskip(SKIP_1) | instid1(VALU_DEP_1)
	v_pk_fma_f32 v[8:9], v[6:7], v[0:1], v[4:5] op_sel:[0,0,1] op_sel_hi:[1,1,0] neg_lo:[0,0,1] neg_hi:[0,0,1]
	v_pk_fma_f32 v[4:5], v[6:7], v[0:1], v[4:5] op_sel:[0,0,1] op_sel_hi:[1,0,0]
	v_mov_b32_e32 v9, v5
	ds_load_2addr_b64 v[4:7], v196 offset0:7 offset1:8
	v_pk_add_f32 v[22:23], v[22:23], v[10:11] neg_lo:[0,1] neg_hi:[0,1]
	v_pk_add_f32 v[24:25], v[24:25], v[8:9] neg_lo:[0,1] neg_hi:[0,1]
	s_wait_dscnt 0x0
	v_pk_mul_f32 v[8:9], v[4:5], v[2:3] op_sel:[0,1]
	s_delay_alu instid0(VALU_DEP_1) | instskip(SKIP_2) | instid1(VALU_DEP_2)
	v_pk_fma_f32 v[10:11], v[4:5], v[0:1], v[8:9] op_sel:[0,0,1] op_sel_hi:[1,1,0] neg_lo:[0,0,1] neg_hi:[0,0,1]
	v_pk_fma_f32 v[4:5], v[4:5], v[0:1], v[8:9] op_sel:[0,0,1] op_sel_hi:[1,0,0]
	v_dual_mul_f32 v8, v7, v3 :: v_dual_mov_b32 v4, v7
	v_dual_mov_b32 v11, v5 :: v_dual_mov_b32 v5, v6
	s_delay_alu instid0(VALU_DEP_2) | instskip(SKIP_1) | instid1(VALU_DEP_3)
	v_pk_fma_f32 v[8:9], v[6:7], v[26:27], v[8:9] op_sel_hi:[1,1,0] neg_lo:[0,0,1] neg_hi:[0,0,1]
	v_mul_f32_e32 v6, v7, v0
	v_pk_add_f32 v[20:21], v[20:21], v[10:11] neg_lo:[0,1] neg_hi:[0,1]
	s_delay_alu instid0(VALU_DEP_2) | instskip(NEXT) | instid1(VALU_DEP_1)
	v_pk_fma_f32 v[4:5], v[4:5], v[26:27], v[6:7] op_sel_hi:[1,1,0]
	v_mov_b32_e32 v9, v5
	ds_load_2addr_b64 v[4:7], v196 offset0:9 offset1:10
	v_pk_add_f32 v[40:41], v[40:41], v[8:9] neg_lo:[0,1] neg_hi:[0,1]
	s_wait_dscnt 0x0
	v_pk_mul_f32 v[8:9], v[4:5], v[2:3] op_sel:[0,1]
	s_delay_alu instid0(VALU_DEP_1) | instskip(SKIP_1) | instid1(VALU_DEP_1)
	v_pk_fma_f32 v[10:11], v[4:5], v[0:1], v[8:9] op_sel:[0,0,1] op_sel_hi:[1,1,0] neg_lo:[0,0,1] neg_hi:[0,0,1]
	v_pk_fma_f32 v[4:5], v[4:5], v[0:1], v[8:9] op_sel:[0,0,1] op_sel_hi:[1,0,0]
	v_mov_b32_e32 v11, v5
	v_pk_mul_f32 v[4:5], v[6:7], v[2:3] op_sel:[0,1]
	s_delay_alu instid0(VALU_DEP_1) | instskip(SKIP_1) | instid1(VALU_DEP_1)
	v_pk_fma_f32 v[8:9], v[6:7], v[0:1], v[4:5] op_sel:[0,0,1] op_sel_hi:[1,1,0] neg_lo:[0,0,1] neg_hi:[0,0,1]
	v_pk_fma_f32 v[4:5], v[6:7], v[0:1], v[4:5] op_sel:[0,0,1] op_sel_hi:[1,0,0]
	v_mov_b32_e32 v9, v5
	ds_load_2addr_b64 v[4:7], v196 offset0:11 offset1:12
	v_pk_add_f32 v[36:37], v[36:37], v[10:11] neg_lo:[0,1] neg_hi:[0,1]
	v_pk_add_f32 v[38:39], v[38:39], v[8:9] neg_lo:[0,1] neg_hi:[0,1]
	s_wait_dscnt 0x0
	v_pk_mul_f32 v[8:9], v[4:5], v[2:3] op_sel:[0,1]
	s_delay_alu instid0(VALU_DEP_1) | instskip(SKIP_1) | instid1(VALU_DEP_1)
	v_pk_fma_f32 v[10:11], v[4:5], v[0:1], v[8:9] op_sel:[0,0,1] op_sel_hi:[1,1,0] neg_lo:[0,0,1] neg_hi:[0,0,1]
	v_pk_fma_f32 v[4:5], v[4:5], v[0:1], v[8:9] op_sel:[0,0,1] op_sel_hi:[1,0,0]
	v_mov_b32_e32 v11, v5
	v_pk_mul_f32 v[4:5], v[6:7], v[2:3] op_sel:[0,1]
	s_delay_alu instid0(VALU_DEP_1) | instskip(SKIP_1) | instid1(VALU_DEP_1)
	v_pk_fma_f32 v[8:9], v[6:7], v[0:1], v[4:5] op_sel:[0,0,1] op_sel_hi:[1,1,0] neg_lo:[0,0,1] neg_hi:[0,0,1]
	v_pk_fma_f32 v[4:5], v[6:7], v[0:1], v[4:5] op_sel:[0,0,1] op_sel_hi:[1,0,0]
	v_mov_b32_e32 v9, v5
	ds_load_2addr_b64 v[4:7], v196 offset0:13 offset1:14
	v_pk_add_f32 v[34:35], v[34:35], v[10:11] neg_lo:[0,1] neg_hi:[0,1]
	v_pk_add_f32 v[64:65], v[64:65], v[8:9] neg_lo:[0,1] neg_hi:[0,1]
	s_wait_dscnt 0x0
	v_dual_mul_f32 v8, v5, v3 :: v_dual_mul_f32 v10, v5, v0
	s_delay_alu instid0(VALU_DEP_1) | instskip(NEXT) | instid1(VALU_DEP_2)
	v_pk_fma_f32 v[8:9], v[4:5], v[26:27], v[8:9] op_sel_hi:[1,1,0] neg_lo:[0,0,1] neg_hi:[0,0,1]
	v_pk_fma_f32 v[4:5], v[4:5], v[26:27], v[10:11] op_sel:[1,0,0] op_sel_hi:[0,1,0]
	s_delay_alu instid0(VALU_DEP_1) | instskip(SKIP_1) | instid1(VALU_DEP_2)
	v_mov_b32_e32 v9, v5
	v_pk_mul_f32 v[4:5], v[6:7], v[2:3] op_sel:[0,1]
	v_pk_add_f32 v[60:61], v[60:61], v[8:9] neg_lo:[0,1] neg_hi:[0,1]
	s_delay_alu instid0(VALU_DEP_2) | instskip(SKIP_1) | instid1(VALU_DEP_1)
	v_pk_fma_f32 v[8:9], v[6:7], v[0:1], v[4:5] op_sel:[0,0,1] op_sel_hi:[1,1,0] neg_lo:[0,0,1] neg_hi:[0,0,1]
	v_pk_fma_f32 v[4:5], v[6:7], v[0:1], v[4:5] op_sel:[0,0,1] op_sel_hi:[1,0,0]
	v_mov_b32_e32 v9, v5
	ds_load_2addr_b64 v[4:7], v196 offset0:15 offset1:16
	v_pk_add_f32 v[62:63], v[62:63], v[8:9] neg_lo:[0,1] neg_hi:[0,1]
	s_wait_dscnt 0x0
	v_pk_mul_f32 v[8:9], v[4:5], v[2:3] op_sel:[0,1]
	s_delay_alu instid0(VALU_DEP_1) | instskip(SKIP_1) | instid1(VALU_DEP_1)
	v_pk_fma_f32 v[10:11], v[4:5], v[0:1], v[8:9] op_sel:[0,0,1] op_sel_hi:[1,1,0] neg_lo:[0,0,1] neg_hi:[0,0,1]
	v_pk_fma_f32 v[4:5], v[4:5], v[0:1], v[8:9] op_sel:[0,0,1] op_sel_hi:[1,0,0]
	v_mov_b32_e32 v11, v5
	v_pk_mul_f32 v[4:5], v[6:7], v[2:3] op_sel:[0,1]
	s_delay_alu instid0(VALU_DEP_2) | instskip(NEXT) | instid1(VALU_DEP_2)
	v_pk_add_f32 v[58:59], v[58:59], v[10:11] neg_lo:[0,1] neg_hi:[0,1]
	v_pk_fma_f32 v[8:9], v[6:7], v[0:1], v[4:5] op_sel:[0,0,1] op_sel_hi:[1,1,0] neg_lo:[0,0,1] neg_hi:[0,0,1]
	v_pk_fma_f32 v[4:5], v[6:7], v[0:1], v[4:5] op_sel:[0,0,1] op_sel_hi:[1,0,0]
	s_delay_alu instid0(VALU_DEP_1) | instskip(SKIP_4) | instid1(VALU_DEP_1)
	v_mov_b32_e32 v9, v5
	ds_load_2addr_b64 v[4:7], v196 offset0:17 offset1:18
	v_pk_add_f32 v[82:83], v[82:83], v[8:9] neg_lo:[0,1] neg_hi:[0,1]
	s_wait_dscnt 0x0
	v_pk_mul_f32 v[8:9], v[4:5], v[2:3] op_sel:[0,1]
	v_pk_fma_f32 v[10:11], v[4:5], v[0:1], v[8:9] op_sel:[0,0,1] op_sel_hi:[1,1,0] neg_lo:[0,0,1] neg_hi:[0,0,1]
	v_pk_fma_f32 v[4:5], v[4:5], v[0:1], v[8:9] op_sel:[0,0,1] op_sel_hi:[1,0,0]
	v_dual_mul_f32 v8, v7, v3 :: v_dual_mov_b32 v4, v7
	s_delay_alu instid0(VALU_DEP_2) | instskip(NEXT) | instid1(VALU_DEP_2)
	v_dual_mov_b32 v11, v5 :: v_dual_mov_b32 v5, v6
	v_pk_fma_f32 v[8:9], v[6:7], v[26:27], v[8:9] op_sel_hi:[1,1,0] neg_lo:[0,0,1] neg_hi:[0,0,1]
	v_mul_f32_e32 v6, v7, v0
	s_delay_alu instid0(VALU_DEP_3) | instskip(NEXT) | instid1(VALU_DEP_2)
	v_pk_add_f32 v[78:79], v[78:79], v[10:11] neg_lo:[0,1] neg_hi:[0,1]
	v_pk_fma_f32 v[4:5], v[4:5], v[26:27], v[6:7] op_sel_hi:[1,1,0]
	s_delay_alu instid0(VALU_DEP_1) | instskip(SKIP_4) | instid1(VALU_DEP_1)
	v_mov_b32_e32 v9, v5
	ds_load_2addr_b64 v[4:7], v196 offset0:19 offset1:20
	v_pk_add_f32 v[80:81], v[80:81], v[8:9] neg_lo:[0,1] neg_hi:[0,1]
	s_wait_dscnt 0x0
	v_pk_mul_f32 v[8:9], v[4:5], v[2:3] op_sel:[0,1]
	v_pk_fma_f32 v[10:11], v[4:5], v[0:1], v[8:9] op_sel:[0,0,1] op_sel_hi:[1,1,0] neg_lo:[0,0,1] neg_hi:[0,0,1]
	v_pk_fma_f32 v[4:5], v[4:5], v[0:1], v[8:9] op_sel:[0,0,1] op_sel_hi:[1,0,0]
	s_delay_alu instid0(VALU_DEP_1) | instskip(SKIP_1) | instid1(VALU_DEP_1)
	v_mov_b32_e32 v11, v5
	v_pk_mul_f32 v[4:5], v[6:7], v[2:3] op_sel:[0,1]
	v_pk_fma_f32 v[8:9], v[6:7], v[0:1], v[4:5] op_sel:[0,0,1] op_sel_hi:[1,1,0] neg_lo:[0,0,1] neg_hi:[0,0,1]
	v_pk_fma_f32 v[4:5], v[6:7], v[0:1], v[4:5] op_sel:[0,0,1] op_sel_hi:[1,0,0]
	s_delay_alu instid0(VALU_DEP_1)
	v_mov_b32_e32 v9, v5
	ds_load_2addr_b64 v[4:7], v196 offset0:21 offset1:22
	v_pk_add_f32 v[76:77], v[76:77], v[10:11] neg_lo:[0,1] neg_hi:[0,1]
	v_pk_add_f32 v[98:99], v[98:99], v[8:9] neg_lo:[0,1] neg_hi:[0,1]
	s_wait_dscnt 0x0
	v_pk_mul_f32 v[8:9], v[4:5], v[2:3] op_sel:[0,1]
	s_delay_alu instid0(VALU_DEP_1) | instskip(SKIP_1) | instid1(VALU_DEP_1)
	v_pk_fma_f32 v[10:11], v[4:5], v[0:1], v[8:9] op_sel:[0,0,1] op_sel_hi:[1,1,0] neg_lo:[0,0,1] neg_hi:[0,0,1]
	v_pk_fma_f32 v[4:5], v[4:5], v[0:1], v[8:9] op_sel:[0,0,1] op_sel_hi:[1,0,0]
	v_mov_b32_e32 v11, v5
	v_pk_mul_f32 v[4:5], v[6:7], v[2:3] op_sel:[0,1]
	s_delay_alu instid0(VALU_DEP_1) | instskip(SKIP_1) | instid1(VALU_DEP_1)
	v_pk_fma_f32 v[8:9], v[6:7], v[0:1], v[4:5] op_sel:[0,0,1] op_sel_hi:[1,1,0] neg_lo:[0,0,1] neg_hi:[0,0,1]
	v_pk_fma_f32 v[4:5], v[6:7], v[0:1], v[4:5] op_sel:[0,0,1] op_sel_hi:[1,0,0]
	v_mov_b32_e32 v9, v5
	ds_load_2addr_b64 v[4:7], v196 offset0:23 offset1:24
	v_pk_add_f32 v[94:95], v[94:95], v[10:11] neg_lo:[0,1] neg_hi:[0,1]
	v_pk_add_f32 v[96:97], v[96:97], v[8:9] neg_lo:[0,1] neg_hi:[0,1]
	s_wait_dscnt 0x0
	v_dual_mul_f32 v8, v5, v3 :: v_dual_mul_f32 v10, v5, v0
	s_delay_alu instid0(VALU_DEP_1) | instskip(NEXT) | instid1(VALU_DEP_2)
	v_pk_fma_f32 v[8:9], v[4:5], v[26:27], v[8:9] op_sel_hi:[1,1,0] neg_lo:[0,0,1] neg_hi:[0,0,1]
	v_pk_fma_f32 v[4:5], v[4:5], v[26:27], v[10:11] op_sel:[1,0,0] op_sel_hi:[0,1,0]
	s_delay_alu instid0(VALU_DEP_1) | instskip(SKIP_1) | instid1(VALU_DEP_2)
	v_mov_b32_e32 v9, v5
	v_pk_mul_f32 v[4:5], v[6:7], v[2:3] op_sel:[0,1]
	v_pk_add_f32 v[92:93], v[92:93], v[8:9] neg_lo:[0,1] neg_hi:[0,1]
	s_delay_alu instid0(VALU_DEP_2) | instskip(SKIP_1) | instid1(VALU_DEP_1)
	v_pk_fma_f32 v[8:9], v[6:7], v[0:1], v[4:5] op_sel:[0,0,1] op_sel_hi:[1,1,0] neg_lo:[0,0,1] neg_hi:[0,0,1]
	v_pk_fma_f32 v[4:5], v[6:7], v[0:1], v[4:5] op_sel:[0,0,1] op_sel_hi:[1,0,0]
	v_mov_b32_e32 v9, v5
	ds_load_2addr_b64 v[4:7], v196 offset0:25 offset1:26
	v_pk_add_f32 v[114:115], v[114:115], v[8:9] neg_lo:[0,1] neg_hi:[0,1]
	s_wait_dscnt 0x0
	v_pk_mul_f32 v[8:9], v[4:5], v[2:3] op_sel:[0,1]
	s_delay_alu instid0(VALU_DEP_1) | instskip(SKIP_1) | instid1(VALU_DEP_1)
	v_pk_fma_f32 v[10:11], v[4:5], v[0:1], v[8:9] op_sel:[0,0,1] op_sel_hi:[1,1,0] neg_lo:[0,0,1] neg_hi:[0,0,1]
	v_pk_fma_f32 v[4:5], v[4:5], v[0:1], v[8:9] op_sel:[0,0,1] op_sel_hi:[1,0,0]
	v_mov_b32_e32 v11, v5
	v_pk_mul_f32 v[4:5], v[6:7], v[2:3] op_sel:[0,1]
	s_delay_alu instid0(VALU_DEP_2) | instskip(NEXT) | instid1(VALU_DEP_2)
	v_pk_add_f32 v[110:111], v[110:111], v[10:11] neg_lo:[0,1] neg_hi:[0,1]
	v_pk_fma_f32 v[8:9], v[6:7], v[0:1], v[4:5] op_sel:[0,0,1] op_sel_hi:[1,1,0] neg_lo:[0,0,1] neg_hi:[0,0,1]
	v_pk_fma_f32 v[4:5], v[6:7], v[0:1], v[4:5] op_sel:[0,0,1] op_sel_hi:[1,0,0]
	s_delay_alu instid0(VALU_DEP_1) | instskip(SKIP_4) | instid1(VALU_DEP_1)
	v_mov_b32_e32 v9, v5
	ds_load_2addr_b64 v[4:7], v196 offset0:27 offset1:28
	v_pk_add_f32 v[112:113], v[112:113], v[8:9] neg_lo:[0,1] neg_hi:[0,1]
	s_wait_dscnt 0x0
	v_pk_mul_f32 v[8:9], v[4:5], v[2:3] op_sel:[0,1]
	v_pk_fma_f32 v[10:11], v[4:5], v[0:1], v[8:9] op_sel:[0,0,1] op_sel_hi:[1,1,0] neg_lo:[0,0,1] neg_hi:[0,0,1]
	v_pk_fma_f32 v[4:5], v[4:5], v[0:1], v[8:9] op_sel:[0,0,1] op_sel_hi:[1,0,0]
	v_dual_mul_f32 v8, v7, v3 :: v_dual_mov_b32 v4, v7
	s_delay_alu instid0(VALU_DEP_2) | instskip(NEXT) | instid1(VALU_DEP_2)
	v_dual_mov_b32 v11, v5 :: v_dual_mov_b32 v5, v6
	v_pk_fma_f32 v[8:9], v[6:7], v[26:27], v[8:9] op_sel_hi:[1,1,0] neg_lo:[0,0,1] neg_hi:[0,0,1]
	v_mul_f32_e32 v6, v7, v0
	s_delay_alu instid0(VALU_DEP_3) | instskip(NEXT) | instid1(VALU_DEP_2)
	v_pk_add_f32 v[108:109], v[108:109], v[10:11] neg_lo:[0,1] neg_hi:[0,1]
	v_pk_fma_f32 v[4:5], v[4:5], v[26:27], v[6:7] op_sel_hi:[1,1,0]
	s_delay_alu instid0(VALU_DEP_1) | instskip(SKIP_4) | instid1(VALU_DEP_1)
	v_mov_b32_e32 v9, v5
	ds_load_2addr_b64 v[4:7], v196 offset0:29 offset1:30
	v_pk_add_f32 v[130:131], v[130:131], v[8:9] neg_lo:[0,1] neg_hi:[0,1]
	s_wait_dscnt 0x0
	v_pk_mul_f32 v[8:9], v[4:5], v[2:3] op_sel:[0,1]
	v_pk_fma_f32 v[10:11], v[4:5], v[0:1], v[8:9] op_sel:[0,0,1] op_sel_hi:[1,1,0] neg_lo:[0,0,1] neg_hi:[0,0,1]
	v_pk_fma_f32 v[4:5], v[4:5], v[0:1], v[8:9] op_sel:[0,0,1] op_sel_hi:[1,0,0]
	s_delay_alu instid0(VALU_DEP_1) | instskip(SKIP_1) | instid1(VALU_DEP_1)
	v_mov_b32_e32 v11, v5
	v_pk_mul_f32 v[4:5], v[6:7], v[2:3] op_sel:[0,1]
	v_pk_fma_f32 v[8:9], v[6:7], v[0:1], v[4:5] op_sel:[0,0,1] op_sel_hi:[1,1,0] neg_lo:[0,0,1] neg_hi:[0,0,1]
	v_pk_fma_f32 v[4:5], v[6:7], v[0:1], v[4:5] op_sel:[0,0,1] op_sel_hi:[1,0,0]
	s_delay_alu instid0(VALU_DEP_1)
	v_mov_b32_e32 v9, v5
	ds_load_2addr_b64 v[4:7], v196 offset0:31 offset1:32
	v_pk_add_f32 v[126:127], v[126:127], v[10:11] neg_lo:[0,1] neg_hi:[0,1]
	v_pk_add_f32 v[128:129], v[128:129], v[8:9] neg_lo:[0,1] neg_hi:[0,1]
	s_wait_dscnt 0x0
	v_pk_mul_f32 v[8:9], v[4:5], v[2:3] op_sel:[0,1]
	s_delay_alu instid0(VALU_DEP_1) | instskip(SKIP_1) | instid1(VALU_DEP_1)
	v_pk_fma_f32 v[10:11], v[4:5], v[0:1], v[8:9] op_sel:[0,0,1] op_sel_hi:[1,1,0] neg_lo:[0,0,1] neg_hi:[0,0,1]
	v_pk_fma_f32 v[4:5], v[4:5], v[0:1], v[8:9] op_sel:[0,0,1] op_sel_hi:[1,0,0]
	v_mov_b32_e32 v11, v5
	v_pk_mul_f32 v[4:5], v[6:7], v[2:3] op_sel:[0,1]
	s_delay_alu instid0(VALU_DEP_1) | instskip(SKIP_1) | instid1(VALU_DEP_1)
	v_pk_fma_f32 v[8:9], v[6:7], v[0:1], v[4:5] op_sel:[0,0,1] op_sel_hi:[1,1,0] neg_lo:[0,0,1] neg_hi:[0,0,1]
	v_pk_fma_f32 v[4:5], v[6:7], v[0:1], v[4:5] op_sel:[0,0,1] op_sel_hi:[1,0,0]
	v_mov_b32_e32 v9, v5
	ds_load_2addr_b64 v[4:7], v196 offset0:33 offset1:34
	v_pk_add_f32 v[124:125], v[124:125], v[10:11] neg_lo:[0,1] neg_hi:[0,1]
	v_pk_add_f32 v[146:147], v[146:147], v[8:9] neg_lo:[0,1] neg_hi:[0,1]
	s_wait_dscnt 0x0
	v_dual_mul_f32 v8, v5, v3 :: v_dual_mul_f32 v10, v5, v0
	s_delay_alu instid0(VALU_DEP_1) | instskip(NEXT) | instid1(VALU_DEP_2)
	v_pk_fma_f32 v[8:9], v[4:5], v[26:27], v[8:9] op_sel_hi:[1,1,0] neg_lo:[0,0,1] neg_hi:[0,0,1]
	v_pk_fma_f32 v[4:5], v[4:5], v[26:27], v[10:11] op_sel:[1,0,0] op_sel_hi:[0,1,0]
	s_delay_alu instid0(VALU_DEP_1) | instskip(SKIP_1) | instid1(VALU_DEP_2)
	v_mov_b32_e32 v9, v5
	v_pk_mul_f32 v[4:5], v[6:7], v[2:3] op_sel:[0,1]
	v_pk_add_f32 v[142:143], v[142:143], v[8:9] neg_lo:[0,1] neg_hi:[0,1]
	s_delay_alu instid0(VALU_DEP_2) | instskip(SKIP_1) | instid1(VALU_DEP_1)
	v_pk_fma_f32 v[8:9], v[6:7], v[0:1], v[4:5] op_sel:[0,0,1] op_sel_hi:[1,1,0] neg_lo:[0,0,1] neg_hi:[0,0,1]
	v_pk_fma_f32 v[4:5], v[6:7], v[0:1], v[4:5] op_sel:[0,0,1] op_sel_hi:[1,0,0]
	v_mov_b32_e32 v9, v5
	ds_load_2addr_b64 v[4:7], v196 offset0:35 offset1:36
	v_pk_add_f32 v[144:145], v[144:145], v[8:9] neg_lo:[0,1] neg_hi:[0,1]
	s_wait_dscnt 0x0
	v_pk_mul_f32 v[8:9], v[4:5], v[2:3] op_sel:[0,1]
	s_delay_alu instid0(VALU_DEP_1) | instskip(SKIP_1) | instid1(VALU_DEP_1)
	v_pk_fma_f32 v[10:11], v[4:5], v[0:1], v[8:9] op_sel:[0,0,1] op_sel_hi:[1,1,0] neg_lo:[0,0,1] neg_hi:[0,0,1]
	v_pk_fma_f32 v[4:5], v[4:5], v[0:1], v[8:9] op_sel:[0,0,1] op_sel_hi:[1,0,0]
	v_mov_b32_e32 v11, v5
	v_pk_mul_f32 v[4:5], v[6:7], v[2:3] op_sel:[0,1]
	s_delay_alu instid0(VALU_DEP_2) | instskip(NEXT) | instid1(VALU_DEP_2)
	v_pk_add_f32 v[140:141], v[140:141], v[10:11] neg_lo:[0,1] neg_hi:[0,1]
	v_pk_fma_f32 v[8:9], v[6:7], v[0:1], v[4:5] op_sel:[0,0,1] op_sel_hi:[1,1,0] neg_lo:[0,0,1] neg_hi:[0,0,1]
	v_pk_fma_f32 v[4:5], v[6:7], v[0:1], v[4:5] op_sel:[0,0,1] op_sel_hi:[1,0,0]
	s_delay_alu instid0(VALU_DEP_1) | instskip(SKIP_4) | instid1(VALU_DEP_1)
	v_mov_b32_e32 v9, v5
	ds_load_2addr_b64 v[4:7], v196 offset0:37 offset1:38
	v_pk_add_f32 v[162:163], v[162:163], v[8:9] neg_lo:[0,1] neg_hi:[0,1]
	s_wait_dscnt 0x0
	v_pk_mul_f32 v[8:9], v[4:5], v[2:3] op_sel:[0,1]
	v_pk_fma_f32 v[10:11], v[4:5], v[0:1], v[8:9] op_sel:[0,0,1] op_sel_hi:[1,1,0] neg_lo:[0,0,1] neg_hi:[0,0,1]
	v_pk_fma_f32 v[4:5], v[4:5], v[0:1], v[8:9] op_sel:[0,0,1] op_sel_hi:[1,0,0]
	v_dual_mul_f32 v8, v7, v3 :: v_dual_mov_b32 v4, v7
	s_delay_alu instid0(VALU_DEP_2) | instskip(NEXT) | instid1(VALU_DEP_2)
	v_dual_mov_b32 v11, v5 :: v_dual_mov_b32 v5, v6
	v_pk_fma_f32 v[8:9], v[6:7], v[26:27], v[8:9] op_sel_hi:[1,1,0] neg_lo:[0,0,1] neg_hi:[0,0,1]
	v_mul_f32_e32 v6, v7, v0
	s_delay_alu instid0(VALU_DEP_3) | instskip(NEXT) | instid1(VALU_DEP_2)
	v_pk_add_f32 v[158:159], v[158:159], v[10:11] neg_lo:[0,1] neg_hi:[0,1]
	v_pk_fma_f32 v[4:5], v[4:5], v[26:27], v[6:7] op_sel_hi:[1,1,0]
	s_delay_alu instid0(VALU_DEP_1) | instskip(SKIP_4) | instid1(VALU_DEP_1)
	v_mov_b32_e32 v9, v5
	ds_load_2addr_b64 v[4:7], v196 offset0:39 offset1:40
	v_pk_add_f32 v[160:161], v[160:161], v[8:9] neg_lo:[0,1] neg_hi:[0,1]
	s_wait_dscnt 0x0
	v_pk_mul_f32 v[8:9], v[4:5], v[2:3] op_sel:[0,1]
	v_pk_fma_f32 v[10:11], v[4:5], v[0:1], v[8:9] op_sel:[0,0,1] op_sel_hi:[1,1,0] neg_lo:[0,0,1] neg_hi:[0,0,1]
	v_pk_fma_f32 v[4:5], v[4:5], v[0:1], v[8:9] op_sel:[0,0,1] op_sel_hi:[1,0,0]
	s_delay_alu instid0(VALU_DEP_1) | instskip(SKIP_1) | instid1(VALU_DEP_1)
	v_mov_b32_e32 v11, v5
	v_pk_mul_f32 v[4:5], v[6:7], v[2:3] op_sel:[0,1]
	v_pk_fma_f32 v[8:9], v[6:7], v[0:1], v[4:5] op_sel:[0,0,1] op_sel_hi:[1,1,0] neg_lo:[0,0,1] neg_hi:[0,0,1]
	v_pk_fma_f32 v[4:5], v[6:7], v[0:1], v[4:5] op_sel:[0,0,1] op_sel_hi:[1,0,0]
	s_delay_alu instid0(VALU_DEP_1)
	v_mov_b32_e32 v9, v5
	ds_load_2addr_b64 v[4:7], v196 offset0:41 offset1:42
	v_pk_add_f32 v[156:157], v[156:157], v[10:11] neg_lo:[0,1] neg_hi:[0,1]
	v_pk_add_f32 v[178:179], v[178:179], v[8:9] neg_lo:[0,1] neg_hi:[0,1]
	s_wait_dscnt 0x0
	v_pk_mul_f32 v[8:9], v[4:5], v[2:3] op_sel:[0,1]
	s_delay_alu instid0(VALU_DEP_1) | instskip(SKIP_1) | instid1(VALU_DEP_1)
	v_pk_fma_f32 v[10:11], v[4:5], v[0:1], v[8:9] op_sel:[0,0,1] op_sel_hi:[1,1,0] neg_lo:[0,0,1] neg_hi:[0,0,1]
	v_pk_fma_f32 v[4:5], v[4:5], v[0:1], v[8:9] op_sel:[0,0,1] op_sel_hi:[1,0,0]
	v_mov_b32_e32 v11, v5
	v_pk_mul_f32 v[4:5], v[6:7], v[2:3] op_sel:[0,1]
	s_delay_alu instid0(VALU_DEP_1) | instskip(SKIP_1) | instid1(VALU_DEP_1)
	v_pk_fma_f32 v[8:9], v[6:7], v[0:1], v[4:5] op_sel:[0,0,1] op_sel_hi:[1,1,0] neg_lo:[0,0,1] neg_hi:[0,0,1]
	v_pk_fma_f32 v[4:5], v[6:7], v[0:1], v[4:5] op_sel:[0,0,1] op_sel_hi:[1,0,0]
	v_mov_b32_e32 v9, v5
	ds_load_2addr_b64 v[4:7], v196 offset0:43 offset1:44
	v_pk_add_f32 v[174:175], v[174:175], v[10:11] neg_lo:[0,1] neg_hi:[0,1]
	v_pk_add_f32 v[176:177], v[176:177], v[8:9] neg_lo:[0,1] neg_hi:[0,1]
	s_wait_dscnt 0x0
	v_dual_mul_f32 v8, v5, v3 :: v_dual_mul_f32 v10, v5, v0
	s_delay_alu instid0(VALU_DEP_1) | instskip(NEXT) | instid1(VALU_DEP_2)
	v_pk_fma_f32 v[8:9], v[4:5], v[26:27], v[8:9] op_sel_hi:[1,1,0] neg_lo:[0,0,1] neg_hi:[0,0,1]
	v_pk_fma_f32 v[4:5], v[4:5], v[26:27], v[10:11] op_sel:[1,0,0] op_sel_hi:[0,1,0]
	s_delay_alu instid0(VALU_DEP_1) | instskip(SKIP_1) | instid1(VALU_DEP_2)
	v_mov_b32_e32 v9, v5
	v_pk_mul_f32 v[4:5], v[6:7], v[2:3] op_sel:[0,1]
	v_pk_add_f32 v[172:173], v[172:173], v[8:9] neg_lo:[0,1] neg_hi:[0,1]
	s_delay_alu instid0(VALU_DEP_2) | instskip(SKIP_1) | instid1(VALU_DEP_1)
	v_pk_fma_f32 v[8:9], v[6:7], v[0:1], v[4:5] op_sel:[0,0,1] op_sel_hi:[1,1,0] neg_lo:[0,0,1] neg_hi:[0,0,1]
	v_pk_fma_f32 v[4:5], v[6:7], v[0:1], v[4:5] op_sel:[0,0,1] op_sel_hi:[1,0,0]
	v_mov_b32_e32 v9, v5
	ds_load_2addr_b64 v[4:7], v196 offset0:45 offset1:46
	v_pk_add_f32 v[194:195], v[194:195], v[8:9] neg_lo:[0,1] neg_hi:[0,1]
	s_wait_dscnt 0x0
	v_pk_mul_f32 v[8:9], v[4:5], v[2:3] op_sel:[0,1]
	s_delay_alu instid0(VALU_DEP_1) | instskip(SKIP_1) | instid1(VALU_DEP_1)
	v_pk_fma_f32 v[10:11], v[4:5], v[0:1], v[8:9] op_sel:[0,0,1] op_sel_hi:[1,1,0] neg_lo:[0,0,1] neg_hi:[0,0,1]
	v_pk_fma_f32 v[4:5], v[4:5], v[0:1], v[8:9] op_sel:[0,0,1] op_sel_hi:[1,0,0]
	v_mov_b32_e32 v11, v5
	v_pk_mul_f32 v[4:5], v[6:7], v[2:3] op_sel:[0,1]
	s_delay_alu instid0(VALU_DEP_2) | instskip(NEXT) | instid1(VALU_DEP_2)
	v_pk_add_f32 v[190:191], v[190:191], v[10:11] neg_lo:[0,1] neg_hi:[0,1]
	v_pk_fma_f32 v[8:9], v[6:7], v[0:1], v[4:5] op_sel:[0,0,1] op_sel_hi:[1,1,0] neg_lo:[0,0,1] neg_hi:[0,0,1]
	v_pk_fma_f32 v[4:5], v[6:7], v[0:1], v[4:5] op_sel:[0,0,1] op_sel_hi:[1,0,0]
	s_delay_alu instid0(VALU_DEP_1) | instskip(SKIP_4) | instid1(VALU_DEP_1)
	v_mov_b32_e32 v9, v5
	ds_load_2addr_b64 v[4:7], v196 offset0:47 offset1:48
	v_pk_add_f32 v[192:193], v[192:193], v[8:9] neg_lo:[0,1] neg_hi:[0,1]
	s_wait_dscnt 0x0
	v_pk_mul_f32 v[8:9], v[4:5], v[2:3] op_sel:[0,1]
	v_pk_fma_f32 v[10:11], v[4:5], v[0:1], v[8:9] op_sel:[0,0,1] op_sel_hi:[1,1,0] neg_lo:[0,0,1] neg_hi:[0,0,1]
	v_pk_fma_f32 v[4:5], v[4:5], v[0:1], v[8:9] op_sel:[0,0,1] op_sel_hi:[1,0,0]
	v_dual_mul_f32 v8, v7, v3 :: v_dual_mov_b32 v4, v7
	s_delay_alu instid0(VALU_DEP_2) | instskip(NEXT) | instid1(VALU_DEP_2)
	v_dual_mov_b32 v11, v5 :: v_dual_mov_b32 v5, v6
	v_pk_fma_f32 v[8:9], v[6:7], v[26:27], v[8:9] op_sel_hi:[1,1,0] neg_lo:[0,0,1] neg_hi:[0,0,1]
	v_mul_f32_e32 v6, v7, v0
	s_delay_alu instid0(VALU_DEP_3) | instskip(NEXT) | instid1(VALU_DEP_2)
	v_pk_add_f32 v[188:189], v[188:189], v[10:11] neg_lo:[0,1] neg_hi:[0,1]
	v_pk_fma_f32 v[4:5], v[4:5], v[26:27], v[6:7] op_sel_hi:[1,1,0]
	s_delay_alu instid0(VALU_DEP_1) | instskip(SKIP_4) | instid1(VALU_DEP_1)
	v_mov_b32_e32 v9, v5
	ds_load_2addr_b64 v[4:7], v196 offset0:49 offset1:50
	v_pk_add_f32 v[212:213], v[212:213], v[8:9] neg_lo:[0,1] neg_hi:[0,1]
	s_wait_dscnt 0x0
	v_pk_mul_f32 v[8:9], v[4:5], v[2:3] op_sel:[0,1]
	v_pk_fma_f32 v[10:11], v[4:5], v[0:1], v[8:9] op_sel:[0,0,1] op_sel_hi:[1,1,0] neg_lo:[0,0,1] neg_hi:[0,0,1]
	v_pk_fma_f32 v[4:5], v[4:5], v[0:1], v[8:9] op_sel:[0,0,1] op_sel_hi:[1,0,0]
	s_delay_alu instid0(VALU_DEP_1) | instskip(SKIP_1) | instid1(VALU_DEP_1)
	v_mov_b32_e32 v11, v5
	v_pk_mul_f32 v[4:5], v[6:7], v[2:3] op_sel:[0,1]
	v_pk_fma_f32 v[8:9], v[6:7], v[0:1], v[4:5] op_sel:[0,0,1] op_sel_hi:[1,1,0] neg_lo:[0,0,1] neg_hi:[0,0,1]
	v_pk_fma_f32 v[4:5], v[6:7], v[0:1], v[4:5] op_sel:[0,0,1] op_sel_hi:[1,0,0]
	s_delay_alu instid0(VALU_DEP_1)
	v_mov_b32_e32 v9, v5
	ds_load_2addr_b64 v[4:7], v196 offset0:51 offset1:52
	v_pk_add_f32 v[208:209], v[208:209], v[10:11] neg_lo:[0,1] neg_hi:[0,1]
	v_pk_add_f32 v[210:211], v[210:211], v[8:9] neg_lo:[0,1] neg_hi:[0,1]
	s_wait_dscnt 0x0
	v_pk_mul_f32 v[8:9], v[4:5], v[2:3] op_sel:[0,1]
	s_delay_alu instid0(VALU_DEP_1) | instskip(SKIP_1) | instid1(VALU_DEP_1)
	v_pk_fma_f32 v[10:11], v[4:5], v[0:1], v[8:9] op_sel:[0,0,1] op_sel_hi:[1,1,0] neg_lo:[0,0,1] neg_hi:[0,0,1]
	v_pk_fma_f32 v[4:5], v[4:5], v[0:1], v[8:9] op_sel:[0,0,1] op_sel_hi:[1,0,0]
	v_mov_b32_e32 v11, v5
	v_pk_mul_f32 v[4:5], v[6:7], v[2:3] op_sel:[0,1]
	s_delay_alu instid0(VALU_DEP_1) | instskip(SKIP_1) | instid1(VALU_DEP_1)
	v_pk_fma_f32 v[8:9], v[6:7], v[0:1], v[4:5] op_sel:[0,0,1] op_sel_hi:[1,1,0] neg_lo:[0,0,1] neg_hi:[0,0,1]
	v_pk_fma_f32 v[4:5], v[6:7], v[0:1], v[4:5] op_sel:[0,0,1] op_sel_hi:[1,0,0]
	v_mov_b32_e32 v9, v5
	ds_load_2addr_b64 v[4:7], v196 offset0:53 offset1:54
	v_pk_add_f32 v[206:207], v[206:207], v[10:11] neg_lo:[0,1] neg_hi:[0,1]
	v_pk_add_f32 v[228:229], v[228:229], v[8:9] neg_lo:[0,1] neg_hi:[0,1]
	s_wait_dscnt 0x0
	v_dual_mul_f32 v8, v5, v3 :: v_dual_mul_f32 v10, v5, v0
	s_delay_alu instid0(VALU_DEP_1) | instskip(NEXT) | instid1(VALU_DEP_2)
	v_pk_fma_f32 v[8:9], v[4:5], v[26:27], v[8:9] op_sel_hi:[1,1,0] neg_lo:[0,0,1] neg_hi:[0,0,1]
	v_pk_fma_f32 v[4:5], v[4:5], v[26:27], v[10:11] op_sel:[1,0,0] op_sel_hi:[0,1,0]
	s_delay_alu instid0(VALU_DEP_1) | instskip(SKIP_1) | instid1(VALU_DEP_2)
	v_mov_b32_e32 v9, v5
	v_pk_mul_f32 v[4:5], v[6:7], v[2:3] op_sel:[0,1]
	v_pk_add_f32 v[224:225], v[224:225], v[8:9] neg_lo:[0,1] neg_hi:[0,1]
	s_delay_alu instid0(VALU_DEP_2) | instskip(SKIP_1) | instid1(VALU_DEP_1)
	v_pk_fma_f32 v[8:9], v[6:7], v[0:1], v[4:5] op_sel:[0,0,1] op_sel_hi:[1,1,0] neg_lo:[0,0,1] neg_hi:[0,0,1]
	v_pk_fma_f32 v[4:5], v[6:7], v[0:1], v[4:5] op_sel:[0,0,1] op_sel_hi:[1,0,0]
	v_mov_b32_e32 v9, v5
	ds_load_2addr_b64 v[4:7], v196 offset0:55 offset1:56
	v_pk_add_f32 v[226:227], v[226:227], v[8:9] neg_lo:[0,1] neg_hi:[0,1]
	s_wait_dscnt 0x0
	v_pk_mul_f32 v[8:9], v[4:5], v[2:3] op_sel:[0,1]
	s_delay_alu instid0(VALU_DEP_1) | instskip(SKIP_1) | instid1(VALU_DEP_1)
	v_pk_fma_f32 v[10:11], v[4:5], v[0:1], v[8:9] op_sel:[0,0,1] op_sel_hi:[1,1,0] neg_lo:[0,0,1] neg_hi:[0,0,1]
	v_pk_fma_f32 v[4:5], v[4:5], v[0:1], v[8:9] op_sel:[0,0,1] op_sel_hi:[1,0,0]
	v_mov_b32_e32 v11, v5
	v_pk_mul_f32 v[4:5], v[6:7], v[2:3] op_sel:[0,1]
	s_delay_alu instid0(VALU_DEP_2) | instskip(NEXT) | instid1(VALU_DEP_2)
	v_pk_add_f32 v[222:223], v[222:223], v[10:11] neg_lo:[0,1] neg_hi:[0,1]
	v_pk_fma_f32 v[8:9], v[6:7], v[0:1], v[4:5] op_sel:[0,0,1] op_sel_hi:[1,1,0] neg_lo:[0,0,1] neg_hi:[0,0,1]
	v_pk_fma_f32 v[4:5], v[6:7], v[0:1], v[4:5] op_sel:[0,0,1] op_sel_hi:[1,0,0]
	s_delay_alu instid0(VALU_DEP_1) | instskip(SKIP_4) | instid1(VALU_DEP_1)
	v_mov_b32_e32 v9, v5
	ds_load_b64 v[4:5], v196 offset:456
	v_pk_add_f32 v[230:231], v[230:231], v[8:9] neg_lo:[0,1] neg_hi:[0,1]
	s_wait_dscnt 0x0
	v_pk_mul_f32 v[2:3], v[4:5], v[2:3] op_sel:[0,1]
	v_pk_fma_f32 v[6:7], v[4:5], v[0:1], v[2:3] op_sel:[0,0,1] op_sel_hi:[1,1,0] neg_lo:[0,0,1] neg_hi:[0,0,1]
	v_pk_fma_f32 v[0:1], v[4:5], v[0:1], v[2:3] op_sel:[0,0,1] op_sel_hi:[1,0,0]
	s_delay_alu instid0(VALU_DEP_1) | instskip(NEXT) | instid1(VALU_DEP_1)
	v_mov_b32_e32 v7, v1
	v_pk_add_f32 v[232:233], v[232:233], v[6:7] neg_lo:[0,1] neg_hi:[0,1]
.LBB115_46:
	s_wait_xcnt 0x0
	s_or_b32 exec_lo, exec_lo, s1
	s_delay_alu instid0(SALU_CYCLE_1)
	s_mov_b32 s2, exec_lo
	s_wait_storecnt 0x0
	s_barrier_signal -1
	s_barrier_wait -1
	v_cmpx_eq_u32_e32 5, v186
	s_cbranch_execz .LBB115_53
; %bb.47:
	v_dual_mov_b32 v0, v24 :: v_dual_mov_b32 v1, v25
	v_dual_mov_b32 v2, v20 :: v_dual_mov_b32 v3, v21
	ds_store_b64 v187, v[22:23]
	ds_store_2addr_b64 v196, v[0:1], v[2:3] offset0:6 offset1:7
	v_dual_mov_b32 v0, v40 :: v_dual_mov_b32 v1, v41
	v_dual_mov_b32 v2, v36 :: v_dual_mov_b32 v3, v37
	ds_store_2addr_b64 v196, v[0:1], v[2:3] offset0:8 offset1:9
	v_dual_mov_b32 v0, v38 :: v_dual_mov_b32 v1, v39
	v_dual_mov_b32 v2, v34 :: v_dual_mov_b32 v3, v35
	;; [unrolled: 3-line block ×24, first 2 shown]
	ds_store_2addr_b64 v196, v[0:1], v[2:3] offset0:54 offset1:55
	v_dual_mov_b32 v0, v230 :: v_dual_mov_b32 v1, v231
	ds_store_2addr_b64 v196, v[0:1], v[232:233] offset0:56 offset1:57
	ds_load_b64 v[0:1], v187
	s_wait_dscnt 0x0
	v_cmp_neq_f32_e32 vcc_lo, 0, v0
	v_cmp_neq_f32_e64 s1, 0, v1
	s_or_b32 s1, vcc_lo, s1
	s_delay_alu instid0(SALU_CYCLE_1)
	s_and_b32 exec_lo, exec_lo, s1
	s_cbranch_execz .LBB115_53
; %bb.48:
	v_cmp_ngt_f32_e64 s1, |v0|, |v1|
                                        ; implicit-def: $vgpr2_vgpr3
	s_and_saveexec_b32 s4, s1
	s_delay_alu instid0(SALU_CYCLE_1)
	s_xor_b32 s1, exec_lo, s4
	s_cbranch_execz .LBB115_50
; %bb.49:
	v_div_scale_f32 v2, null, v1, v1, v0
	v_div_scale_f32 v5, vcc_lo, v0, v1, v0
	s_delay_alu instid0(VALU_DEP_2) | instskip(SKIP_1) | instid1(TRANS32_DEP_1)
	v_rcp_f32_e32 v3, v2
	v_nop
	v_fma_f32 v4, -v2, v3, 1.0
	s_delay_alu instid0(VALU_DEP_1) | instskip(NEXT) | instid1(VALU_DEP_1)
	v_fmac_f32_e32 v3, v4, v3
	v_mul_f32_e32 v4, v5, v3
	s_delay_alu instid0(VALU_DEP_1) | instskip(NEXT) | instid1(VALU_DEP_1)
	v_fma_f32 v6, -v2, v4, v5
	v_fmac_f32_e32 v4, v6, v3
	s_delay_alu instid0(VALU_DEP_1) | instskip(NEXT) | instid1(VALU_DEP_1)
	v_fma_f32 v2, -v2, v4, v5
	v_div_fmas_f32 v2, v2, v3, v4
	s_delay_alu instid0(VALU_DEP_1) | instskip(NEXT) | instid1(VALU_DEP_1)
	v_div_fixup_f32 v2, v2, v1, v0
	v_fmac_f32_e32 v1, v0, v2
	s_delay_alu instid0(VALU_DEP_1) | instskip(SKIP_1) | instid1(VALU_DEP_2)
	v_div_scale_f32 v0, null, v1, v1, 1.0
	v_div_scale_f32 v5, vcc_lo, 1.0, v1, 1.0
	v_rcp_f32_e32 v3, v0
	v_nop
	s_delay_alu instid0(TRANS32_DEP_1) | instskip(NEXT) | instid1(VALU_DEP_1)
	v_fma_f32 v4, -v0, v3, 1.0
	v_fmac_f32_e32 v3, v4, v3
	s_delay_alu instid0(VALU_DEP_1) | instskip(NEXT) | instid1(VALU_DEP_1)
	v_mul_f32_e32 v4, v5, v3
	v_fma_f32 v6, -v0, v4, v5
	s_delay_alu instid0(VALU_DEP_1) | instskip(NEXT) | instid1(VALU_DEP_1)
	v_fmac_f32_e32 v4, v6, v3
	v_fma_f32 v0, -v0, v4, v5
	s_delay_alu instid0(VALU_DEP_1) | instskip(NEXT) | instid1(VALU_DEP_1)
	v_div_fmas_f32 v0, v0, v3, v4
	v_div_fixup_f32 v0, v0, v1, 1.0
	s_delay_alu instid0(VALU_DEP_1)
	v_mul_f32_e32 v2, v2, v0
	v_xor_b32_e32 v3, 0x80000000, v0
                                        ; implicit-def: $vgpr0_vgpr1
.LBB115_50:
	s_and_not1_saveexec_b32 s1, s1
	s_cbranch_execz .LBB115_52
; %bb.51:
	v_div_scale_f32 v2, null, v0, v0, v1
	v_div_scale_f32 v5, vcc_lo, v1, v0, v1
	s_delay_alu instid0(VALU_DEP_2) | instskip(SKIP_1) | instid1(TRANS32_DEP_1)
	v_rcp_f32_e32 v3, v2
	v_nop
	v_fma_f32 v4, -v2, v3, 1.0
	s_delay_alu instid0(VALU_DEP_1) | instskip(NEXT) | instid1(VALU_DEP_1)
	v_fmac_f32_e32 v3, v4, v3
	v_mul_f32_e32 v4, v5, v3
	s_delay_alu instid0(VALU_DEP_1) | instskip(NEXT) | instid1(VALU_DEP_1)
	v_fma_f32 v6, -v2, v4, v5
	v_fmac_f32_e32 v4, v6, v3
	s_delay_alu instid0(VALU_DEP_1) | instskip(NEXT) | instid1(VALU_DEP_1)
	v_fma_f32 v2, -v2, v4, v5
	v_div_fmas_f32 v2, v2, v3, v4
	s_delay_alu instid0(VALU_DEP_1) | instskip(NEXT) | instid1(VALU_DEP_1)
	v_div_fixup_f32 v3, v2, v0, v1
	v_fmac_f32_e32 v0, v1, v3
	s_delay_alu instid0(VALU_DEP_1) | instskip(NEXT) | instid1(VALU_DEP_1)
	v_div_scale_f32 v1, null, v0, v0, 1.0
	v_rcp_f32_e32 v2, v1
	v_nop
	s_delay_alu instid0(TRANS32_DEP_1) | instskip(NEXT) | instid1(VALU_DEP_1)
	v_fma_f32 v4, -v1, v2, 1.0
	v_fmac_f32_e32 v2, v4, v2
	v_div_scale_f32 v4, vcc_lo, 1.0, v0, 1.0
	s_delay_alu instid0(VALU_DEP_1) | instskip(NEXT) | instid1(VALU_DEP_1)
	v_mul_f32_e32 v5, v4, v2
	v_fma_f32 v6, -v1, v5, v4
	s_delay_alu instid0(VALU_DEP_1) | instskip(NEXT) | instid1(VALU_DEP_1)
	v_fmac_f32_e32 v5, v6, v2
	v_fma_f32 v1, -v1, v5, v4
	s_delay_alu instid0(VALU_DEP_1) | instskip(NEXT) | instid1(VALU_DEP_1)
	v_div_fmas_f32 v1, v1, v2, v5
	v_div_fixup_f32 v2, v1, v0, 1.0
	s_delay_alu instid0(VALU_DEP_1)
	v_mul_f32_e64 v3, v3, -v2
.LBB115_52:
	s_or_b32 exec_lo, exec_lo, s1
	ds_store_b64 v187, v[2:3]
.LBB115_53:
	s_or_b32 exec_lo, exec_lo, s2
	s_wait_dscnt 0x0
	s_barrier_signal -1
	s_barrier_wait -1
	ds_load_b64 v[0:1], v187
	s_mov_b32 s1, exec_lo
	s_wait_dscnt 0x0
	scratch_store_b64 off, v[0:1], off offset:368 ; 8-byte Folded Spill
	s_wait_xcnt 0x0
	v_cmpx_lt_u32_e32 5, v186
	s_cbranch_execz .LBB115_55
; %bb.54:
	scratch_load_b64 v[4:5], off, off offset:368 ; 8-byte Folded Reload
	s_wait_loadcnt 0x0
	v_pk_mul_f32 v[2:3], v[4:5], v[22:23] op_sel:[1,1] op_sel_hi:[0,1]
	s_delay_alu instid0(VALU_DEP_1)
	v_pk_fma_f32 v[0:1], v[4:5], v[22:23], v[2:3] op_sel_hi:[1,0,1] neg_lo:[0,0,1] neg_hi:[0,0,1]
	v_pk_fma_f32 v[2:3], v[4:5], v[22:23], v[2:3] op_sel_hi:[1,0,1]
	ds_load_2addr_b64 v[4:7], v196 offset0:6 offset1:7
	v_dual_mov_b32 v22, v0 :: v_dual_mov_b32 v23, v3
	s_wait_dscnt 0x0
	v_pk_mul_f32 v[8:9], v[4:5], v[2:3] op_sel:[0,1]
	s_delay_alu instid0(VALU_DEP_1) | instskip(SKIP_1) | instid1(VALU_DEP_1)
	v_pk_fma_f32 v[10:11], v[4:5], v[0:1], v[8:9] op_sel:[0,0,1] op_sel_hi:[1,1,0] neg_lo:[0,0,1] neg_hi:[0,0,1]
	v_pk_fma_f32 v[4:5], v[4:5], v[0:1], v[8:9] op_sel:[0,0,1] op_sel_hi:[1,0,0]
	v_mov_b32_e32 v11, v5
	v_pk_mul_f32 v[4:5], v[6:7], v[2:3] op_sel:[0,1]
	s_delay_alu instid0(VALU_DEP_1) | instskip(SKIP_1) | instid1(VALU_DEP_1)
	v_pk_fma_f32 v[8:9], v[6:7], v[0:1], v[4:5] op_sel:[0,0,1] op_sel_hi:[1,1,0] neg_lo:[0,0,1] neg_hi:[0,0,1]
	v_pk_fma_f32 v[4:5], v[6:7], v[0:1], v[4:5] op_sel:[0,0,1] op_sel_hi:[1,0,0]
	v_mov_b32_e32 v9, v5
	ds_load_2addr_b64 v[4:7], v196 offset0:8 offset1:9
	v_pk_add_f32 v[24:25], v[24:25], v[10:11] neg_lo:[0,1] neg_hi:[0,1]
	v_pk_add_f32 v[20:21], v[20:21], v[8:9] neg_lo:[0,1] neg_hi:[0,1]
	s_wait_dscnt 0x0
	v_pk_mul_f32 v[8:9], v[4:5], v[2:3] op_sel:[0,1]
	s_delay_alu instid0(VALU_DEP_1) | instskip(SKIP_2) | instid1(VALU_DEP_2)
	v_pk_fma_f32 v[10:11], v[4:5], v[0:1], v[8:9] op_sel:[0,0,1] op_sel_hi:[1,1,0] neg_lo:[0,0,1] neg_hi:[0,0,1]
	v_pk_fma_f32 v[4:5], v[4:5], v[0:1], v[8:9] op_sel:[0,0,1] op_sel_hi:[1,0,0]
	v_dual_mul_f32 v8, v7, v3 :: v_dual_mov_b32 v4, v7
	v_dual_mov_b32 v11, v5 :: v_dual_mov_b32 v5, v6
	s_delay_alu instid0(VALU_DEP_2) | instskip(SKIP_1) | instid1(VALU_DEP_3)
	v_pk_fma_f32 v[8:9], v[6:7], v[22:23], v[8:9] op_sel_hi:[1,1,0] neg_lo:[0,0,1] neg_hi:[0,0,1]
	v_mul_f32_e32 v6, v7, v0
	v_pk_add_f32 v[40:41], v[40:41], v[10:11] neg_lo:[0,1] neg_hi:[0,1]
	s_delay_alu instid0(VALU_DEP_2) | instskip(NEXT) | instid1(VALU_DEP_1)
	v_pk_fma_f32 v[4:5], v[4:5], v[22:23], v[6:7] op_sel_hi:[1,1,0]
	v_mov_b32_e32 v9, v5
	ds_load_2addr_b64 v[4:7], v196 offset0:10 offset1:11
	v_pk_add_f32 v[36:37], v[36:37], v[8:9] neg_lo:[0,1] neg_hi:[0,1]
	s_wait_dscnt 0x0
	v_pk_mul_f32 v[8:9], v[4:5], v[2:3] op_sel:[0,1]
	s_delay_alu instid0(VALU_DEP_1) | instskip(SKIP_1) | instid1(VALU_DEP_1)
	v_pk_fma_f32 v[10:11], v[4:5], v[0:1], v[8:9] op_sel:[0,0,1] op_sel_hi:[1,1,0] neg_lo:[0,0,1] neg_hi:[0,0,1]
	v_pk_fma_f32 v[4:5], v[4:5], v[0:1], v[8:9] op_sel:[0,0,1] op_sel_hi:[1,0,0]
	v_mov_b32_e32 v11, v5
	v_pk_mul_f32 v[4:5], v[6:7], v[2:3] op_sel:[0,1]
	s_delay_alu instid0(VALU_DEP_1) | instskip(SKIP_1) | instid1(VALU_DEP_1)
	v_pk_fma_f32 v[8:9], v[6:7], v[0:1], v[4:5] op_sel:[0,0,1] op_sel_hi:[1,1,0] neg_lo:[0,0,1] neg_hi:[0,0,1]
	v_pk_fma_f32 v[4:5], v[6:7], v[0:1], v[4:5] op_sel:[0,0,1] op_sel_hi:[1,0,0]
	v_mov_b32_e32 v9, v5
	ds_load_2addr_b64 v[4:7], v196 offset0:12 offset1:13
	v_pk_add_f32 v[38:39], v[38:39], v[10:11] neg_lo:[0,1] neg_hi:[0,1]
	v_pk_add_f32 v[34:35], v[34:35], v[8:9] neg_lo:[0,1] neg_hi:[0,1]
	s_wait_dscnt 0x0
	v_pk_mul_f32 v[8:9], v[4:5], v[2:3] op_sel:[0,1]
	s_delay_alu instid0(VALU_DEP_1) | instskip(SKIP_1) | instid1(VALU_DEP_1)
	v_pk_fma_f32 v[10:11], v[4:5], v[0:1], v[8:9] op_sel:[0,0,1] op_sel_hi:[1,1,0] neg_lo:[0,0,1] neg_hi:[0,0,1]
	v_pk_fma_f32 v[4:5], v[4:5], v[0:1], v[8:9] op_sel:[0,0,1] op_sel_hi:[1,0,0]
	v_mov_b32_e32 v11, v5
	v_pk_mul_f32 v[4:5], v[6:7], v[2:3] op_sel:[0,1]
	s_delay_alu instid0(VALU_DEP_1) | instskip(SKIP_1) | instid1(VALU_DEP_1)
	v_pk_fma_f32 v[8:9], v[6:7], v[0:1], v[4:5] op_sel:[0,0,1] op_sel_hi:[1,1,0] neg_lo:[0,0,1] neg_hi:[0,0,1]
	v_pk_fma_f32 v[4:5], v[6:7], v[0:1], v[4:5] op_sel:[0,0,1] op_sel_hi:[1,0,0]
	v_mov_b32_e32 v9, v5
	ds_load_2addr_b64 v[4:7], v196 offset0:14 offset1:15
	v_pk_add_f32 v[64:65], v[64:65], v[10:11] neg_lo:[0,1] neg_hi:[0,1]
	v_pk_add_f32 v[60:61], v[60:61], v[8:9] neg_lo:[0,1] neg_hi:[0,1]
	s_wait_dscnt 0x0
	v_dual_mul_f32 v8, v5, v3 :: v_dual_mul_f32 v10, v5, v0
	s_delay_alu instid0(VALU_DEP_1) | instskip(NEXT) | instid1(VALU_DEP_2)
	v_pk_fma_f32 v[8:9], v[4:5], v[22:23], v[8:9] op_sel_hi:[1,1,0] neg_lo:[0,0,1] neg_hi:[0,0,1]
	v_pk_fma_f32 v[4:5], v[4:5], v[22:23], v[10:11] op_sel:[1,0,0] op_sel_hi:[0,1,0]
	s_delay_alu instid0(VALU_DEP_1) | instskip(SKIP_1) | instid1(VALU_DEP_2)
	v_mov_b32_e32 v9, v5
	v_pk_mul_f32 v[4:5], v[6:7], v[2:3] op_sel:[0,1]
	v_pk_add_f32 v[62:63], v[62:63], v[8:9] neg_lo:[0,1] neg_hi:[0,1]
	s_delay_alu instid0(VALU_DEP_2) | instskip(SKIP_1) | instid1(VALU_DEP_1)
	v_pk_fma_f32 v[8:9], v[6:7], v[0:1], v[4:5] op_sel:[0,0,1] op_sel_hi:[1,1,0] neg_lo:[0,0,1] neg_hi:[0,0,1]
	v_pk_fma_f32 v[4:5], v[6:7], v[0:1], v[4:5] op_sel:[0,0,1] op_sel_hi:[1,0,0]
	v_mov_b32_e32 v9, v5
	ds_load_2addr_b64 v[4:7], v196 offset0:16 offset1:17
	v_pk_add_f32 v[58:59], v[58:59], v[8:9] neg_lo:[0,1] neg_hi:[0,1]
	s_wait_dscnt 0x0
	v_pk_mul_f32 v[8:9], v[4:5], v[2:3] op_sel:[0,1]
	s_delay_alu instid0(VALU_DEP_1) | instskip(SKIP_1) | instid1(VALU_DEP_1)
	v_pk_fma_f32 v[10:11], v[4:5], v[0:1], v[8:9] op_sel:[0,0,1] op_sel_hi:[1,1,0] neg_lo:[0,0,1] neg_hi:[0,0,1]
	v_pk_fma_f32 v[4:5], v[4:5], v[0:1], v[8:9] op_sel:[0,0,1] op_sel_hi:[1,0,0]
	v_mov_b32_e32 v11, v5
	v_pk_mul_f32 v[4:5], v[6:7], v[2:3] op_sel:[0,1]
	s_delay_alu instid0(VALU_DEP_2) | instskip(NEXT) | instid1(VALU_DEP_2)
	v_pk_add_f32 v[82:83], v[82:83], v[10:11] neg_lo:[0,1] neg_hi:[0,1]
	v_pk_fma_f32 v[8:9], v[6:7], v[0:1], v[4:5] op_sel:[0,0,1] op_sel_hi:[1,1,0] neg_lo:[0,0,1] neg_hi:[0,0,1]
	v_pk_fma_f32 v[4:5], v[6:7], v[0:1], v[4:5] op_sel:[0,0,1] op_sel_hi:[1,0,0]
	s_delay_alu instid0(VALU_DEP_1) | instskip(SKIP_4) | instid1(VALU_DEP_1)
	v_mov_b32_e32 v9, v5
	ds_load_2addr_b64 v[4:7], v196 offset0:18 offset1:19
	v_pk_add_f32 v[78:79], v[78:79], v[8:9] neg_lo:[0,1] neg_hi:[0,1]
	s_wait_dscnt 0x0
	v_pk_mul_f32 v[8:9], v[4:5], v[2:3] op_sel:[0,1]
	v_pk_fma_f32 v[10:11], v[4:5], v[0:1], v[8:9] op_sel:[0,0,1] op_sel_hi:[1,1,0] neg_lo:[0,0,1] neg_hi:[0,0,1]
	v_pk_fma_f32 v[4:5], v[4:5], v[0:1], v[8:9] op_sel:[0,0,1] op_sel_hi:[1,0,0]
	v_dual_mul_f32 v8, v7, v3 :: v_dual_mov_b32 v4, v7
	s_delay_alu instid0(VALU_DEP_2) | instskip(NEXT) | instid1(VALU_DEP_2)
	v_dual_mov_b32 v11, v5 :: v_dual_mov_b32 v5, v6
	v_pk_fma_f32 v[8:9], v[6:7], v[22:23], v[8:9] op_sel_hi:[1,1,0] neg_lo:[0,0,1] neg_hi:[0,0,1]
	v_mul_f32_e32 v6, v7, v0
	s_delay_alu instid0(VALU_DEP_3) | instskip(NEXT) | instid1(VALU_DEP_2)
	v_pk_add_f32 v[80:81], v[80:81], v[10:11] neg_lo:[0,1] neg_hi:[0,1]
	v_pk_fma_f32 v[4:5], v[4:5], v[22:23], v[6:7] op_sel_hi:[1,1,0]
	s_delay_alu instid0(VALU_DEP_1) | instskip(SKIP_4) | instid1(VALU_DEP_1)
	v_mov_b32_e32 v9, v5
	ds_load_2addr_b64 v[4:7], v196 offset0:20 offset1:21
	v_pk_add_f32 v[76:77], v[76:77], v[8:9] neg_lo:[0,1] neg_hi:[0,1]
	s_wait_dscnt 0x0
	v_pk_mul_f32 v[8:9], v[4:5], v[2:3] op_sel:[0,1]
	v_pk_fma_f32 v[10:11], v[4:5], v[0:1], v[8:9] op_sel:[0,0,1] op_sel_hi:[1,1,0] neg_lo:[0,0,1] neg_hi:[0,0,1]
	v_pk_fma_f32 v[4:5], v[4:5], v[0:1], v[8:9] op_sel:[0,0,1] op_sel_hi:[1,0,0]
	s_delay_alu instid0(VALU_DEP_1) | instskip(SKIP_1) | instid1(VALU_DEP_1)
	v_mov_b32_e32 v11, v5
	v_pk_mul_f32 v[4:5], v[6:7], v[2:3] op_sel:[0,1]
	v_pk_fma_f32 v[8:9], v[6:7], v[0:1], v[4:5] op_sel:[0,0,1] op_sel_hi:[1,1,0] neg_lo:[0,0,1] neg_hi:[0,0,1]
	v_pk_fma_f32 v[4:5], v[6:7], v[0:1], v[4:5] op_sel:[0,0,1] op_sel_hi:[1,0,0]
	s_delay_alu instid0(VALU_DEP_1)
	v_mov_b32_e32 v9, v5
	ds_load_2addr_b64 v[4:7], v196 offset0:22 offset1:23
	v_pk_add_f32 v[98:99], v[98:99], v[10:11] neg_lo:[0,1] neg_hi:[0,1]
	v_pk_add_f32 v[94:95], v[94:95], v[8:9] neg_lo:[0,1] neg_hi:[0,1]
	s_wait_dscnt 0x0
	v_pk_mul_f32 v[8:9], v[4:5], v[2:3] op_sel:[0,1]
	s_delay_alu instid0(VALU_DEP_1) | instskip(SKIP_1) | instid1(VALU_DEP_1)
	v_pk_fma_f32 v[10:11], v[4:5], v[0:1], v[8:9] op_sel:[0,0,1] op_sel_hi:[1,1,0] neg_lo:[0,0,1] neg_hi:[0,0,1]
	v_pk_fma_f32 v[4:5], v[4:5], v[0:1], v[8:9] op_sel:[0,0,1] op_sel_hi:[1,0,0]
	v_mov_b32_e32 v11, v5
	v_pk_mul_f32 v[4:5], v[6:7], v[2:3] op_sel:[0,1]
	s_delay_alu instid0(VALU_DEP_1) | instskip(SKIP_1) | instid1(VALU_DEP_1)
	v_pk_fma_f32 v[8:9], v[6:7], v[0:1], v[4:5] op_sel:[0,0,1] op_sel_hi:[1,1,0] neg_lo:[0,0,1] neg_hi:[0,0,1]
	v_pk_fma_f32 v[4:5], v[6:7], v[0:1], v[4:5] op_sel:[0,0,1] op_sel_hi:[1,0,0]
	v_mov_b32_e32 v9, v5
	ds_load_2addr_b64 v[4:7], v196 offset0:24 offset1:25
	v_pk_add_f32 v[96:97], v[96:97], v[10:11] neg_lo:[0,1] neg_hi:[0,1]
	v_pk_add_f32 v[92:93], v[92:93], v[8:9] neg_lo:[0,1] neg_hi:[0,1]
	s_wait_dscnt 0x0
	v_dual_mul_f32 v8, v5, v3 :: v_dual_mul_f32 v10, v5, v0
	s_delay_alu instid0(VALU_DEP_1) | instskip(NEXT) | instid1(VALU_DEP_2)
	v_pk_fma_f32 v[8:9], v[4:5], v[22:23], v[8:9] op_sel_hi:[1,1,0] neg_lo:[0,0,1] neg_hi:[0,0,1]
	v_pk_fma_f32 v[4:5], v[4:5], v[22:23], v[10:11] op_sel:[1,0,0] op_sel_hi:[0,1,0]
	s_delay_alu instid0(VALU_DEP_1) | instskip(SKIP_1) | instid1(VALU_DEP_2)
	v_mov_b32_e32 v9, v5
	v_pk_mul_f32 v[4:5], v[6:7], v[2:3] op_sel:[0,1]
	v_pk_add_f32 v[114:115], v[114:115], v[8:9] neg_lo:[0,1] neg_hi:[0,1]
	s_delay_alu instid0(VALU_DEP_2) | instskip(SKIP_1) | instid1(VALU_DEP_1)
	v_pk_fma_f32 v[8:9], v[6:7], v[0:1], v[4:5] op_sel:[0,0,1] op_sel_hi:[1,1,0] neg_lo:[0,0,1] neg_hi:[0,0,1]
	v_pk_fma_f32 v[4:5], v[6:7], v[0:1], v[4:5] op_sel:[0,0,1] op_sel_hi:[1,0,0]
	v_mov_b32_e32 v9, v5
	ds_load_2addr_b64 v[4:7], v196 offset0:26 offset1:27
	v_pk_add_f32 v[110:111], v[110:111], v[8:9] neg_lo:[0,1] neg_hi:[0,1]
	s_wait_dscnt 0x0
	v_pk_mul_f32 v[8:9], v[4:5], v[2:3] op_sel:[0,1]
	s_delay_alu instid0(VALU_DEP_1) | instskip(SKIP_1) | instid1(VALU_DEP_1)
	v_pk_fma_f32 v[10:11], v[4:5], v[0:1], v[8:9] op_sel:[0,0,1] op_sel_hi:[1,1,0] neg_lo:[0,0,1] neg_hi:[0,0,1]
	v_pk_fma_f32 v[4:5], v[4:5], v[0:1], v[8:9] op_sel:[0,0,1] op_sel_hi:[1,0,0]
	v_mov_b32_e32 v11, v5
	v_pk_mul_f32 v[4:5], v[6:7], v[2:3] op_sel:[0,1]
	s_delay_alu instid0(VALU_DEP_2) | instskip(NEXT) | instid1(VALU_DEP_2)
	v_pk_add_f32 v[112:113], v[112:113], v[10:11] neg_lo:[0,1] neg_hi:[0,1]
	v_pk_fma_f32 v[8:9], v[6:7], v[0:1], v[4:5] op_sel:[0,0,1] op_sel_hi:[1,1,0] neg_lo:[0,0,1] neg_hi:[0,0,1]
	v_pk_fma_f32 v[4:5], v[6:7], v[0:1], v[4:5] op_sel:[0,0,1] op_sel_hi:[1,0,0]
	s_delay_alu instid0(VALU_DEP_1) | instskip(SKIP_4) | instid1(VALU_DEP_1)
	v_mov_b32_e32 v9, v5
	ds_load_2addr_b64 v[4:7], v196 offset0:28 offset1:29
	v_pk_add_f32 v[108:109], v[108:109], v[8:9] neg_lo:[0,1] neg_hi:[0,1]
	s_wait_dscnt 0x0
	v_pk_mul_f32 v[8:9], v[4:5], v[2:3] op_sel:[0,1]
	v_pk_fma_f32 v[10:11], v[4:5], v[0:1], v[8:9] op_sel:[0,0,1] op_sel_hi:[1,1,0] neg_lo:[0,0,1] neg_hi:[0,0,1]
	v_pk_fma_f32 v[4:5], v[4:5], v[0:1], v[8:9] op_sel:[0,0,1] op_sel_hi:[1,0,0]
	v_dual_mul_f32 v8, v7, v3 :: v_dual_mov_b32 v4, v7
	s_delay_alu instid0(VALU_DEP_2) | instskip(NEXT) | instid1(VALU_DEP_2)
	v_dual_mov_b32 v11, v5 :: v_dual_mov_b32 v5, v6
	v_pk_fma_f32 v[8:9], v[6:7], v[22:23], v[8:9] op_sel_hi:[1,1,0] neg_lo:[0,0,1] neg_hi:[0,0,1]
	v_mul_f32_e32 v6, v7, v0
	s_delay_alu instid0(VALU_DEP_3) | instskip(NEXT) | instid1(VALU_DEP_2)
	v_pk_add_f32 v[130:131], v[130:131], v[10:11] neg_lo:[0,1] neg_hi:[0,1]
	v_pk_fma_f32 v[4:5], v[4:5], v[22:23], v[6:7] op_sel_hi:[1,1,0]
	s_delay_alu instid0(VALU_DEP_1) | instskip(SKIP_4) | instid1(VALU_DEP_1)
	v_mov_b32_e32 v9, v5
	ds_load_2addr_b64 v[4:7], v196 offset0:30 offset1:31
	v_pk_add_f32 v[126:127], v[126:127], v[8:9] neg_lo:[0,1] neg_hi:[0,1]
	s_wait_dscnt 0x0
	v_pk_mul_f32 v[8:9], v[4:5], v[2:3] op_sel:[0,1]
	v_pk_fma_f32 v[10:11], v[4:5], v[0:1], v[8:9] op_sel:[0,0,1] op_sel_hi:[1,1,0] neg_lo:[0,0,1] neg_hi:[0,0,1]
	v_pk_fma_f32 v[4:5], v[4:5], v[0:1], v[8:9] op_sel:[0,0,1] op_sel_hi:[1,0,0]
	s_delay_alu instid0(VALU_DEP_1) | instskip(SKIP_1) | instid1(VALU_DEP_1)
	v_mov_b32_e32 v11, v5
	v_pk_mul_f32 v[4:5], v[6:7], v[2:3] op_sel:[0,1]
	v_pk_fma_f32 v[8:9], v[6:7], v[0:1], v[4:5] op_sel:[0,0,1] op_sel_hi:[1,1,0] neg_lo:[0,0,1] neg_hi:[0,0,1]
	v_pk_fma_f32 v[4:5], v[6:7], v[0:1], v[4:5] op_sel:[0,0,1] op_sel_hi:[1,0,0]
	s_delay_alu instid0(VALU_DEP_1)
	v_mov_b32_e32 v9, v5
	ds_load_2addr_b64 v[4:7], v196 offset0:32 offset1:33
	v_pk_add_f32 v[128:129], v[128:129], v[10:11] neg_lo:[0,1] neg_hi:[0,1]
	v_pk_add_f32 v[124:125], v[124:125], v[8:9] neg_lo:[0,1] neg_hi:[0,1]
	s_wait_dscnt 0x0
	v_pk_mul_f32 v[8:9], v[4:5], v[2:3] op_sel:[0,1]
	s_delay_alu instid0(VALU_DEP_1) | instskip(SKIP_1) | instid1(VALU_DEP_1)
	v_pk_fma_f32 v[10:11], v[4:5], v[0:1], v[8:9] op_sel:[0,0,1] op_sel_hi:[1,1,0] neg_lo:[0,0,1] neg_hi:[0,0,1]
	v_pk_fma_f32 v[4:5], v[4:5], v[0:1], v[8:9] op_sel:[0,0,1] op_sel_hi:[1,0,0]
	v_mov_b32_e32 v11, v5
	v_pk_mul_f32 v[4:5], v[6:7], v[2:3] op_sel:[0,1]
	s_delay_alu instid0(VALU_DEP_1) | instskip(SKIP_1) | instid1(VALU_DEP_1)
	v_pk_fma_f32 v[8:9], v[6:7], v[0:1], v[4:5] op_sel:[0,0,1] op_sel_hi:[1,1,0] neg_lo:[0,0,1] neg_hi:[0,0,1]
	v_pk_fma_f32 v[4:5], v[6:7], v[0:1], v[4:5] op_sel:[0,0,1] op_sel_hi:[1,0,0]
	v_mov_b32_e32 v9, v5
	ds_load_2addr_b64 v[4:7], v196 offset0:34 offset1:35
	v_pk_add_f32 v[146:147], v[146:147], v[10:11] neg_lo:[0,1] neg_hi:[0,1]
	v_pk_add_f32 v[142:143], v[142:143], v[8:9] neg_lo:[0,1] neg_hi:[0,1]
	s_wait_dscnt 0x0
	v_dual_mul_f32 v8, v5, v3 :: v_dual_mul_f32 v10, v5, v0
	s_delay_alu instid0(VALU_DEP_1) | instskip(NEXT) | instid1(VALU_DEP_2)
	v_pk_fma_f32 v[8:9], v[4:5], v[22:23], v[8:9] op_sel_hi:[1,1,0] neg_lo:[0,0,1] neg_hi:[0,0,1]
	v_pk_fma_f32 v[4:5], v[4:5], v[22:23], v[10:11] op_sel:[1,0,0] op_sel_hi:[0,1,0]
	s_delay_alu instid0(VALU_DEP_1) | instskip(SKIP_1) | instid1(VALU_DEP_2)
	v_mov_b32_e32 v9, v5
	v_pk_mul_f32 v[4:5], v[6:7], v[2:3] op_sel:[0,1]
	v_pk_add_f32 v[144:145], v[144:145], v[8:9] neg_lo:[0,1] neg_hi:[0,1]
	s_delay_alu instid0(VALU_DEP_2) | instskip(SKIP_1) | instid1(VALU_DEP_1)
	v_pk_fma_f32 v[8:9], v[6:7], v[0:1], v[4:5] op_sel:[0,0,1] op_sel_hi:[1,1,0] neg_lo:[0,0,1] neg_hi:[0,0,1]
	v_pk_fma_f32 v[4:5], v[6:7], v[0:1], v[4:5] op_sel:[0,0,1] op_sel_hi:[1,0,0]
	v_mov_b32_e32 v9, v5
	ds_load_2addr_b64 v[4:7], v196 offset0:36 offset1:37
	v_pk_add_f32 v[140:141], v[140:141], v[8:9] neg_lo:[0,1] neg_hi:[0,1]
	s_wait_dscnt 0x0
	v_pk_mul_f32 v[8:9], v[4:5], v[2:3] op_sel:[0,1]
	s_delay_alu instid0(VALU_DEP_1) | instskip(SKIP_1) | instid1(VALU_DEP_1)
	v_pk_fma_f32 v[10:11], v[4:5], v[0:1], v[8:9] op_sel:[0,0,1] op_sel_hi:[1,1,0] neg_lo:[0,0,1] neg_hi:[0,0,1]
	v_pk_fma_f32 v[4:5], v[4:5], v[0:1], v[8:9] op_sel:[0,0,1] op_sel_hi:[1,0,0]
	v_mov_b32_e32 v11, v5
	v_pk_mul_f32 v[4:5], v[6:7], v[2:3] op_sel:[0,1]
	s_delay_alu instid0(VALU_DEP_2) | instskip(NEXT) | instid1(VALU_DEP_2)
	v_pk_add_f32 v[162:163], v[162:163], v[10:11] neg_lo:[0,1] neg_hi:[0,1]
	v_pk_fma_f32 v[8:9], v[6:7], v[0:1], v[4:5] op_sel:[0,0,1] op_sel_hi:[1,1,0] neg_lo:[0,0,1] neg_hi:[0,0,1]
	v_pk_fma_f32 v[4:5], v[6:7], v[0:1], v[4:5] op_sel:[0,0,1] op_sel_hi:[1,0,0]
	s_delay_alu instid0(VALU_DEP_1) | instskip(SKIP_4) | instid1(VALU_DEP_1)
	v_mov_b32_e32 v9, v5
	ds_load_2addr_b64 v[4:7], v196 offset0:38 offset1:39
	v_pk_add_f32 v[158:159], v[158:159], v[8:9] neg_lo:[0,1] neg_hi:[0,1]
	s_wait_dscnt 0x0
	v_pk_mul_f32 v[8:9], v[4:5], v[2:3] op_sel:[0,1]
	v_pk_fma_f32 v[10:11], v[4:5], v[0:1], v[8:9] op_sel:[0,0,1] op_sel_hi:[1,1,0] neg_lo:[0,0,1] neg_hi:[0,0,1]
	v_pk_fma_f32 v[4:5], v[4:5], v[0:1], v[8:9] op_sel:[0,0,1] op_sel_hi:[1,0,0]
	v_dual_mul_f32 v8, v7, v3 :: v_dual_mov_b32 v4, v7
	s_delay_alu instid0(VALU_DEP_2) | instskip(NEXT) | instid1(VALU_DEP_2)
	v_dual_mov_b32 v11, v5 :: v_dual_mov_b32 v5, v6
	v_pk_fma_f32 v[8:9], v[6:7], v[22:23], v[8:9] op_sel_hi:[1,1,0] neg_lo:[0,0,1] neg_hi:[0,0,1]
	v_mul_f32_e32 v6, v7, v0
	s_delay_alu instid0(VALU_DEP_3) | instskip(NEXT) | instid1(VALU_DEP_2)
	v_pk_add_f32 v[160:161], v[160:161], v[10:11] neg_lo:[0,1] neg_hi:[0,1]
	v_pk_fma_f32 v[4:5], v[4:5], v[22:23], v[6:7] op_sel_hi:[1,1,0]
	s_delay_alu instid0(VALU_DEP_1) | instskip(SKIP_4) | instid1(VALU_DEP_1)
	v_mov_b32_e32 v9, v5
	ds_load_2addr_b64 v[4:7], v196 offset0:40 offset1:41
	v_pk_add_f32 v[156:157], v[156:157], v[8:9] neg_lo:[0,1] neg_hi:[0,1]
	s_wait_dscnt 0x0
	v_pk_mul_f32 v[8:9], v[4:5], v[2:3] op_sel:[0,1]
	v_pk_fma_f32 v[10:11], v[4:5], v[0:1], v[8:9] op_sel:[0,0,1] op_sel_hi:[1,1,0] neg_lo:[0,0,1] neg_hi:[0,0,1]
	v_pk_fma_f32 v[4:5], v[4:5], v[0:1], v[8:9] op_sel:[0,0,1] op_sel_hi:[1,0,0]
	s_delay_alu instid0(VALU_DEP_1) | instskip(SKIP_1) | instid1(VALU_DEP_1)
	v_mov_b32_e32 v11, v5
	v_pk_mul_f32 v[4:5], v[6:7], v[2:3] op_sel:[0,1]
	v_pk_fma_f32 v[8:9], v[6:7], v[0:1], v[4:5] op_sel:[0,0,1] op_sel_hi:[1,1,0] neg_lo:[0,0,1] neg_hi:[0,0,1]
	v_pk_fma_f32 v[4:5], v[6:7], v[0:1], v[4:5] op_sel:[0,0,1] op_sel_hi:[1,0,0]
	s_delay_alu instid0(VALU_DEP_1)
	v_mov_b32_e32 v9, v5
	ds_load_2addr_b64 v[4:7], v196 offset0:42 offset1:43
	v_pk_add_f32 v[178:179], v[178:179], v[10:11] neg_lo:[0,1] neg_hi:[0,1]
	v_pk_add_f32 v[174:175], v[174:175], v[8:9] neg_lo:[0,1] neg_hi:[0,1]
	s_wait_dscnt 0x0
	v_pk_mul_f32 v[8:9], v[4:5], v[2:3] op_sel:[0,1]
	s_delay_alu instid0(VALU_DEP_1) | instskip(SKIP_1) | instid1(VALU_DEP_1)
	v_pk_fma_f32 v[10:11], v[4:5], v[0:1], v[8:9] op_sel:[0,0,1] op_sel_hi:[1,1,0] neg_lo:[0,0,1] neg_hi:[0,0,1]
	v_pk_fma_f32 v[4:5], v[4:5], v[0:1], v[8:9] op_sel:[0,0,1] op_sel_hi:[1,0,0]
	v_mov_b32_e32 v11, v5
	v_pk_mul_f32 v[4:5], v[6:7], v[2:3] op_sel:[0,1]
	s_delay_alu instid0(VALU_DEP_1) | instskip(SKIP_1) | instid1(VALU_DEP_1)
	v_pk_fma_f32 v[8:9], v[6:7], v[0:1], v[4:5] op_sel:[0,0,1] op_sel_hi:[1,1,0] neg_lo:[0,0,1] neg_hi:[0,0,1]
	v_pk_fma_f32 v[4:5], v[6:7], v[0:1], v[4:5] op_sel:[0,0,1] op_sel_hi:[1,0,0]
	v_mov_b32_e32 v9, v5
	ds_load_2addr_b64 v[4:7], v196 offset0:44 offset1:45
	v_pk_add_f32 v[176:177], v[176:177], v[10:11] neg_lo:[0,1] neg_hi:[0,1]
	v_pk_add_f32 v[172:173], v[172:173], v[8:9] neg_lo:[0,1] neg_hi:[0,1]
	s_wait_dscnt 0x0
	v_dual_mul_f32 v8, v5, v3 :: v_dual_mul_f32 v10, v5, v0
	s_delay_alu instid0(VALU_DEP_1) | instskip(NEXT) | instid1(VALU_DEP_2)
	v_pk_fma_f32 v[8:9], v[4:5], v[22:23], v[8:9] op_sel_hi:[1,1,0] neg_lo:[0,0,1] neg_hi:[0,0,1]
	v_pk_fma_f32 v[4:5], v[4:5], v[22:23], v[10:11] op_sel:[1,0,0] op_sel_hi:[0,1,0]
	s_delay_alu instid0(VALU_DEP_1) | instskip(SKIP_1) | instid1(VALU_DEP_2)
	v_mov_b32_e32 v9, v5
	v_pk_mul_f32 v[4:5], v[6:7], v[2:3] op_sel:[0,1]
	v_pk_add_f32 v[194:195], v[194:195], v[8:9] neg_lo:[0,1] neg_hi:[0,1]
	s_delay_alu instid0(VALU_DEP_2) | instskip(SKIP_1) | instid1(VALU_DEP_1)
	v_pk_fma_f32 v[8:9], v[6:7], v[0:1], v[4:5] op_sel:[0,0,1] op_sel_hi:[1,1,0] neg_lo:[0,0,1] neg_hi:[0,0,1]
	v_pk_fma_f32 v[4:5], v[6:7], v[0:1], v[4:5] op_sel:[0,0,1] op_sel_hi:[1,0,0]
	v_mov_b32_e32 v9, v5
	ds_load_2addr_b64 v[4:7], v196 offset0:46 offset1:47
	v_pk_add_f32 v[190:191], v[190:191], v[8:9] neg_lo:[0,1] neg_hi:[0,1]
	s_wait_dscnt 0x0
	v_pk_mul_f32 v[8:9], v[4:5], v[2:3] op_sel:[0,1]
	s_delay_alu instid0(VALU_DEP_1) | instskip(SKIP_1) | instid1(VALU_DEP_1)
	v_pk_fma_f32 v[10:11], v[4:5], v[0:1], v[8:9] op_sel:[0,0,1] op_sel_hi:[1,1,0] neg_lo:[0,0,1] neg_hi:[0,0,1]
	v_pk_fma_f32 v[4:5], v[4:5], v[0:1], v[8:9] op_sel:[0,0,1] op_sel_hi:[1,0,0]
	v_mov_b32_e32 v11, v5
	v_pk_mul_f32 v[4:5], v[6:7], v[2:3] op_sel:[0,1]
	s_delay_alu instid0(VALU_DEP_2) | instskip(NEXT) | instid1(VALU_DEP_2)
	v_pk_add_f32 v[192:193], v[192:193], v[10:11] neg_lo:[0,1] neg_hi:[0,1]
	v_pk_fma_f32 v[8:9], v[6:7], v[0:1], v[4:5] op_sel:[0,0,1] op_sel_hi:[1,1,0] neg_lo:[0,0,1] neg_hi:[0,0,1]
	v_pk_fma_f32 v[4:5], v[6:7], v[0:1], v[4:5] op_sel:[0,0,1] op_sel_hi:[1,0,0]
	s_delay_alu instid0(VALU_DEP_1) | instskip(SKIP_4) | instid1(VALU_DEP_1)
	v_mov_b32_e32 v9, v5
	ds_load_2addr_b64 v[4:7], v196 offset0:48 offset1:49
	v_pk_add_f32 v[188:189], v[188:189], v[8:9] neg_lo:[0,1] neg_hi:[0,1]
	s_wait_dscnt 0x0
	v_pk_mul_f32 v[8:9], v[4:5], v[2:3] op_sel:[0,1]
	v_pk_fma_f32 v[10:11], v[4:5], v[0:1], v[8:9] op_sel:[0,0,1] op_sel_hi:[1,1,0] neg_lo:[0,0,1] neg_hi:[0,0,1]
	v_pk_fma_f32 v[4:5], v[4:5], v[0:1], v[8:9] op_sel:[0,0,1] op_sel_hi:[1,0,0]
	v_dual_mul_f32 v8, v7, v3 :: v_dual_mov_b32 v4, v7
	s_delay_alu instid0(VALU_DEP_2) | instskip(NEXT) | instid1(VALU_DEP_2)
	v_dual_mov_b32 v11, v5 :: v_dual_mov_b32 v5, v6
	v_pk_fma_f32 v[8:9], v[6:7], v[22:23], v[8:9] op_sel_hi:[1,1,0] neg_lo:[0,0,1] neg_hi:[0,0,1]
	v_mul_f32_e32 v6, v7, v0
	s_delay_alu instid0(VALU_DEP_3) | instskip(NEXT) | instid1(VALU_DEP_2)
	v_pk_add_f32 v[212:213], v[212:213], v[10:11] neg_lo:[0,1] neg_hi:[0,1]
	v_pk_fma_f32 v[4:5], v[4:5], v[22:23], v[6:7] op_sel_hi:[1,1,0]
	s_delay_alu instid0(VALU_DEP_1) | instskip(SKIP_4) | instid1(VALU_DEP_1)
	v_mov_b32_e32 v9, v5
	ds_load_2addr_b64 v[4:7], v196 offset0:50 offset1:51
	v_pk_add_f32 v[208:209], v[208:209], v[8:9] neg_lo:[0,1] neg_hi:[0,1]
	s_wait_dscnt 0x0
	v_pk_mul_f32 v[8:9], v[4:5], v[2:3] op_sel:[0,1]
	v_pk_fma_f32 v[10:11], v[4:5], v[0:1], v[8:9] op_sel:[0,0,1] op_sel_hi:[1,1,0] neg_lo:[0,0,1] neg_hi:[0,0,1]
	v_pk_fma_f32 v[4:5], v[4:5], v[0:1], v[8:9] op_sel:[0,0,1] op_sel_hi:[1,0,0]
	s_delay_alu instid0(VALU_DEP_1) | instskip(SKIP_1) | instid1(VALU_DEP_1)
	v_mov_b32_e32 v11, v5
	v_pk_mul_f32 v[4:5], v[6:7], v[2:3] op_sel:[0,1]
	v_pk_fma_f32 v[8:9], v[6:7], v[0:1], v[4:5] op_sel:[0,0,1] op_sel_hi:[1,1,0] neg_lo:[0,0,1] neg_hi:[0,0,1]
	v_pk_fma_f32 v[4:5], v[6:7], v[0:1], v[4:5] op_sel:[0,0,1] op_sel_hi:[1,0,0]
	s_delay_alu instid0(VALU_DEP_1)
	v_mov_b32_e32 v9, v5
	ds_load_2addr_b64 v[4:7], v196 offset0:52 offset1:53
	v_pk_add_f32 v[210:211], v[210:211], v[10:11] neg_lo:[0,1] neg_hi:[0,1]
	v_pk_add_f32 v[206:207], v[206:207], v[8:9] neg_lo:[0,1] neg_hi:[0,1]
	s_wait_dscnt 0x0
	v_pk_mul_f32 v[8:9], v[4:5], v[2:3] op_sel:[0,1]
	s_delay_alu instid0(VALU_DEP_1) | instskip(SKIP_1) | instid1(VALU_DEP_1)
	v_pk_fma_f32 v[10:11], v[4:5], v[0:1], v[8:9] op_sel:[0,0,1] op_sel_hi:[1,1,0] neg_lo:[0,0,1] neg_hi:[0,0,1]
	v_pk_fma_f32 v[4:5], v[4:5], v[0:1], v[8:9] op_sel:[0,0,1] op_sel_hi:[1,0,0]
	v_mov_b32_e32 v11, v5
	v_pk_mul_f32 v[4:5], v[6:7], v[2:3] op_sel:[0,1]
	s_delay_alu instid0(VALU_DEP_1) | instskip(SKIP_1) | instid1(VALU_DEP_1)
	v_pk_fma_f32 v[8:9], v[6:7], v[0:1], v[4:5] op_sel:[0,0,1] op_sel_hi:[1,1,0] neg_lo:[0,0,1] neg_hi:[0,0,1]
	v_pk_fma_f32 v[4:5], v[6:7], v[0:1], v[4:5] op_sel:[0,0,1] op_sel_hi:[1,0,0]
	v_mov_b32_e32 v9, v5
	ds_load_2addr_b64 v[4:7], v196 offset0:54 offset1:55
	v_pk_add_f32 v[228:229], v[228:229], v[10:11] neg_lo:[0,1] neg_hi:[0,1]
	v_pk_add_f32 v[224:225], v[224:225], v[8:9] neg_lo:[0,1] neg_hi:[0,1]
	s_wait_dscnt 0x0
	v_dual_mul_f32 v8, v5, v3 :: v_dual_mul_f32 v10, v5, v0
	s_delay_alu instid0(VALU_DEP_1) | instskip(NEXT) | instid1(VALU_DEP_2)
	v_pk_fma_f32 v[8:9], v[4:5], v[22:23], v[8:9] op_sel_hi:[1,1,0] neg_lo:[0,0,1] neg_hi:[0,0,1]
	v_pk_fma_f32 v[4:5], v[4:5], v[22:23], v[10:11] op_sel:[1,0,0] op_sel_hi:[0,1,0]
	s_delay_alu instid0(VALU_DEP_1) | instskip(SKIP_1) | instid1(VALU_DEP_2)
	v_mov_b32_e32 v9, v5
	v_pk_mul_f32 v[4:5], v[6:7], v[2:3] op_sel:[0,1]
	v_pk_add_f32 v[226:227], v[226:227], v[8:9] neg_lo:[0,1] neg_hi:[0,1]
	s_delay_alu instid0(VALU_DEP_2) | instskip(SKIP_1) | instid1(VALU_DEP_1)
	v_pk_fma_f32 v[8:9], v[6:7], v[0:1], v[4:5] op_sel:[0,0,1] op_sel_hi:[1,1,0] neg_lo:[0,0,1] neg_hi:[0,0,1]
	v_pk_fma_f32 v[4:5], v[6:7], v[0:1], v[4:5] op_sel:[0,0,1] op_sel_hi:[1,0,0]
	v_mov_b32_e32 v9, v5
	ds_load_2addr_b64 v[4:7], v196 offset0:56 offset1:57
	v_pk_add_f32 v[222:223], v[222:223], v[8:9] neg_lo:[0,1] neg_hi:[0,1]
	s_wait_dscnt 0x0
	v_pk_mul_f32 v[8:9], v[4:5], v[2:3] op_sel:[0,1]
	v_pk_mul_f32 v[2:3], v[6:7], v[2:3] op_sel:[0,1]
	s_delay_alu instid0(VALU_DEP_2) | instskip(SKIP_1) | instid1(VALU_DEP_1)
	v_pk_fma_f32 v[10:11], v[4:5], v[0:1], v[8:9] op_sel:[0,0,1] op_sel_hi:[1,1,0] neg_lo:[0,0,1] neg_hi:[0,0,1]
	v_pk_fma_f32 v[4:5], v[4:5], v[0:1], v[8:9] op_sel:[0,0,1] op_sel_hi:[1,0,0]
	v_mov_b32_e32 v11, v5
	s_delay_alu instid0(VALU_DEP_4) | instskip(SKIP_1) | instid1(VALU_DEP_3)
	v_pk_fma_f32 v[4:5], v[6:7], v[0:1], v[2:3] op_sel:[0,0,1] op_sel_hi:[1,1,0] neg_lo:[0,0,1] neg_hi:[0,0,1]
	v_pk_fma_f32 v[0:1], v[6:7], v[0:1], v[2:3] op_sel:[0,0,1] op_sel_hi:[1,0,0]
	v_pk_add_f32 v[230:231], v[230:231], v[10:11] neg_lo:[0,1] neg_hi:[0,1]
	s_delay_alu instid0(VALU_DEP_2) | instskip(NEXT) | instid1(VALU_DEP_1)
	v_mov_b32_e32 v5, v1
	v_pk_add_f32 v[232:233], v[232:233], v[4:5] neg_lo:[0,1] neg_hi:[0,1]
.LBB115_55:
	s_wait_xcnt 0x0
	s_or_b32 exec_lo, exec_lo, s1
	s_delay_alu instid0(SALU_CYCLE_1)
	s_mov_b32 s2, exec_lo
	s_wait_storecnt 0x0
	s_barrier_signal -1
	s_barrier_wait -1
	v_cmpx_eq_u32_e32 6, v186
	s_cbranch_execz .LBB115_62
; %bb.56:
	ds_store_b64 v187, v[24:25]
	ds_store_2addr_b64 v196, v[20:21], v[40:41] offset0:7 offset1:8
	ds_store_2addr_b64 v196, v[36:37], v[38:39] offset0:9 offset1:10
	;; [unrolled: 1-line block ×25, first 2 shown]
	ds_store_b64 v196, v[232:233] offset:456
	ds_load_b64 v[0:1], v187
	s_wait_dscnt 0x0
	v_cmp_neq_f32_e32 vcc_lo, 0, v0
	v_cmp_neq_f32_e64 s1, 0, v1
	s_or_b32 s1, vcc_lo, s1
	s_delay_alu instid0(SALU_CYCLE_1)
	s_and_b32 exec_lo, exec_lo, s1
	s_cbranch_execz .LBB115_62
; %bb.57:
	v_cmp_ngt_f32_e64 s1, |v0|, |v1|
                                        ; implicit-def: $vgpr2_vgpr3
	s_and_saveexec_b32 s4, s1
	s_delay_alu instid0(SALU_CYCLE_1)
	s_xor_b32 s1, exec_lo, s4
	s_cbranch_execz .LBB115_59
; %bb.58:
	v_div_scale_f32 v2, null, v1, v1, v0
	v_div_scale_f32 v5, vcc_lo, v0, v1, v0
	s_delay_alu instid0(VALU_DEP_2) | instskip(SKIP_1) | instid1(TRANS32_DEP_1)
	v_rcp_f32_e32 v3, v2
	v_nop
	v_fma_f32 v4, -v2, v3, 1.0
	s_delay_alu instid0(VALU_DEP_1) | instskip(NEXT) | instid1(VALU_DEP_1)
	v_fmac_f32_e32 v3, v4, v3
	v_mul_f32_e32 v4, v5, v3
	s_delay_alu instid0(VALU_DEP_1) | instskip(NEXT) | instid1(VALU_DEP_1)
	v_fma_f32 v6, -v2, v4, v5
	v_fmac_f32_e32 v4, v6, v3
	s_delay_alu instid0(VALU_DEP_1) | instskip(NEXT) | instid1(VALU_DEP_1)
	v_fma_f32 v2, -v2, v4, v5
	v_div_fmas_f32 v2, v2, v3, v4
	s_delay_alu instid0(VALU_DEP_1) | instskip(NEXT) | instid1(VALU_DEP_1)
	v_div_fixup_f32 v2, v2, v1, v0
	v_fmac_f32_e32 v1, v0, v2
	s_delay_alu instid0(VALU_DEP_1) | instskip(SKIP_1) | instid1(VALU_DEP_2)
	v_div_scale_f32 v0, null, v1, v1, 1.0
	v_div_scale_f32 v5, vcc_lo, 1.0, v1, 1.0
	v_rcp_f32_e32 v3, v0
	v_nop
	s_delay_alu instid0(TRANS32_DEP_1) | instskip(NEXT) | instid1(VALU_DEP_1)
	v_fma_f32 v4, -v0, v3, 1.0
	v_fmac_f32_e32 v3, v4, v3
	s_delay_alu instid0(VALU_DEP_1) | instskip(NEXT) | instid1(VALU_DEP_1)
	v_mul_f32_e32 v4, v5, v3
	v_fma_f32 v6, -v0, v4, v5
	s_delay_alu instid0(VALU_DEP_1) | instskip(NEXT) | instid1(VALU_DEP_1)
	v_fmac_f32_e32 v4, v6, v3
	v_fma_f32 v0, -v0, v4, v5
	s_delay_alu instid0(VALU_DEP_1) | instskip(NEXT) | instid1(VALU_DEP_1)
	v_div_fmas_f32 v0, v0, v3, v4
	v_div_fixup_f32 v0, v0, v1, 1.0
	s_delay_alu instid0(VALU_DEP_1)
	v_mul_f32_e32 v2, v2, v0
	v_xor_b32_e32 v3, 0x80000000, v0
                                        ; implicit-def: $vgpr0_vgpr1
.LBB115_59:
	s_and_not1_saveexec_b32 s1, s1
	s_cbranch_execz .LBB115_61
; %bb.60:
	v_div_scale_f32 v2, null, v0, v0, v1
	v_div_scale_f32 v5, vcc_lo, v1, v0, v1
	s_delay_alu instid0(VALU_DEP_2) | instskip(SKIP_1) | instid1(TRANS32_DEP_1)
	v_rcp_f32_e32 v3, v2
	v_nop
	v_fma_f32 v4, -v2, v3, 1.0
	s_delay_alu instid0(VALU_DEP_1) | instskip(NEXT) | instid1(VALU_DEP_1)
	v_fmac_f32_e32 v3, v4, v3
	v_mul_f32_e32 v4, v5, v3
	s_delay_alu instid0(VALU_DEP_1) | instskip(NEXT) | instid1(VALU_DEP_1)
	v_fma_f32 v6, -v2, v4, v5
	v_fmac_f32_e32 v4, v6, v3
	s_delay_alu instid0(VALU_DEP_1) | instskip(NEXT) | instid1(VALU_DEP_1)
	v_fma_f32 v2, -v2, v4, v5
	v_div_fmas_f32 v2, v2, v3, v4
	s_delay_alu instid0(VALU_DEP_1) | instskip(NEXT) | instid1(VALU_DEP_1)
	v_div_fixup_f32 v3, v2, v0, v1
	v_fmac_f32_e32 v0, v1, v3
	s_delay_alu instid0(VALU_DEP_1) | instskip(NEXT) | instid1(VALU_DEP_1)
	v_div_scale_f32 v1, null, v0, v0, 1.0
	v_rcp_f32_e32 v2, v1
	v_nop
	s_delay_alu instid0(TRANS32_DEP_1) | instskip(NEXT) | instid1(VALU_DEP_1)
	v_fma_f32 v4, -v1, v2, 1.0
	v_fmac_f32_e32 v2, v4, v2
	v_div_scale_f32 v4, vcc_lo, 1.0, v0, 1.0
	s_delay_alu instid0(VALU_DEP_1) | instskip(NEXT) | instid1(VALU_DEP_1)
	v_mul_f32_e32 v5, v4, v2
	v_fma_f32 v6, -v1, v5, v4
	s_delay_alu instid0(VALU_DEP_1) | instskip(NEXT) | instid1(VALU_DEP_1)
	v_fmac_f32_e32 v5, v6, v2
	v_fma_f32 v1, -v1, v5, v4
	s_delay_alu instid0(VALU_DEP_1) | instskip(NEXT) | instid1(VALU_DEP_1)
	v_div_fmas_f32 v1, v1, v2, v5
	v_div_fixup_f32 v2, v1, v0, 1.0
	s_delay_alu instid0(VALU_DEP_1)
	v_mul_f32_e64 v3, v3, -v2
.LBB115_61:
	s_or_b32 exec_lo, exec_lo, s1
	ds_store_b64 v187, v[2:3]
.LBB115_62:
	s_or_b32 exec_lo, exec_lo, s2
	s_wait_dscnt 0x0
	s_barrier_signal -1
	s_barrier_wait -1
	ds_load_b64 v[0:1], v187
	s_mov_b32 s1, exec_lo
	s_wait_dscnt 0x0
	scratch_store_b64 off, v[0:1], off offset:376 ; 8-byte Folded Spill
	s_wait_xcnt 0x0
	v_cmpx_lt_u32_e32 6, v186
	s_cbranch_execz .LBB115_64
; %bb.63:
	scratch_load_b64 v[4:5], off, off offset:376 ; 8-byte Folded Reload
	s_wait_loadcnt 0x0
	v_pk_mul_f32 v[2:3], v[4:5], v[24:25] op_sel:[1,1] op_sel_hi:[0,1]
	s_delay_alu instid0(VALU_DEP_1)
	v_pk_fma_f32 v[0:1], v[4:5], v[24:25], v[2:3] op_sel_hi:[1,0,1] neg_lo:[0,0,1] neg_hi:[0,0,1]
	v_pk_fma_f32 v[2:3], v[4:5], v[24:25], v[2:3] op_sel_hi:[1,0,1]
	ds_load_2addr_b64 v[4:7], v196 offset0:7 offset1:8
	v_dual_mov_b32 v24, v0 :: v_dual_mov_b32 v25, v3
	s_wait_dscnt 0x0
	v_pk_mul_f32 v[8:9], v[4:5], v[2:3] op_sel:[0,1]
	s_delay_alu instid0(VALU_DEP_1) | instskip(SKIP_1) | instid1(VALU_DEP_1)
	v_pk_fma_f32 v[10:11], v[4:5], v[0:1], v[8:9] op_sel:[0,0,1] op_sel_hi:[1,1,0] neg_lo:[0,0,1] neg_hi:[0,0,1]
	v_pk_fma_f32 v[4:5], v[4:5], v[0:1], v[8:9] op_sel:[0,0,1] op_sel_hi:[1,0,0]
	v_mov_b32_e32 v11, v5
	v_pk_mul_f32 v[4:5], v[6:7], v[2:3] op_sel:[0,1]
	s_delay_alu instid0(VALU_DEP_1) | instskip(SKIP_1) | instid1(VALU_DEP_1)
	v_pk_fma_f32 v[8:9], v[6:7], v[0:1], v[4:5] op_sel:[0,0,1] op_sel_hi:[1,1,0] neg_lo:[0,0,1] neg_hi:[0,0,1]
	v_pk_fma_f32 v[4:5], v[6:7], v[0:1], v[4:5] op_sel:[0,0,1] op_sel_hi:[1,0,0]
	v_mov_b32_e32 v9, v5
	ds_load_2addr_b64 v[4:7], v196 offset0:9 offset1:10
	v_pk_add_f32 v[20:21], v[20:21], v[10:11] neg_lo:[0,1] neg_hi:[0,1]
	v_pk_add_f32 v[40:41], v[40:41], v[8:9] neg_lo:[0,1] neg_hi:[0,1]
	s_wait_dscnt 0x0
	v_pk_mul_f32 v[8:9], v[4:5], v[2:3] op_sel:[0,1]
	s_delay_alu instid0(VALU_DEP_1) | instskip(SKIP_2) | instid1(VALU_DEP_2)
	v_pk_fma_f32 v[10:11], v[4:5], v[0:1], v[8:9] op_sel:[0,0,1] op_sel_hi:[1,1,0] neg_lo:[0,0,1] neg_hi:[0,0,1]
	v_pk_fma_f32 v[4:5], v[4:5], v[0:1], v[8:9] op_sel:[0,0,1] op_sel_hi:[1,0,0]
	v_dual_mul_f32 v8, v7, v3 :: v_dual_mov_b32 v4, v7
	v_dual_mov_b32 v11, v5 :: v_dual_mov_b32 v5, v6
	s_delay_alu instid0(VALU_DEP_2) | instskip(SKIP_1) | instid1(VALU_DEP_3)
	v_pk_fma_f32 v[8:9], v[6:7], v[24:25], v[8:9] op_sel_hi:[1,1,0] neg_lo:[0,0,1] neg_hi:[0,0,1]
	v_mul_f32_e32 v6, v7, v0
	v_pk_add_f32 v[36:37], v[36:37], v[10:11] neg_lo:[0,1] neg_hi:[0,1]
	s_delay_alu instid0(VALU_DEP_2) | instskip(NEXT) | instid1(VALU_DEP_1)
	v_pk_fma_f32 v[4:5], v[4:5], v[24:25], v[6:7] op_sel_hi:[1,1,0]
	v_mov_b32_e32 v9, v5
	ds_load_2addr_b64 v[4:7], v196 offset0:11 offset1:12
	v_pk_add_f32 v[38:39], v[38:39], v[8:9] neg_lo:[0,1] neg_hi:[0,1]
	s_wait_dscnt 0x0
	v_pk_mul_f32 v[8:9], v[4:5], v[2:3] op_sel:[0,1]
	s_delay_alu instid0(VALU_DEP_1) | instskip(SKIP_1) | instid1(VALU_DEP_1)
	v_pk_fma_f32 v[10:11], v[4:5], v[0:1], v[8:9] op_sel:[0,0,1] op_sel_hi:[1,1,0] neg_lo:[0,0,1] neg_hi:[0,0,1]
	v_pk_fma_f32 v[4:5], v[4:5], v[0:1], v[8:9] op_sel:[0,0,1] op_sel_hi:[1,0,0]
	v_mov_b32_e32 v11, v5
	v_pk_mul_f32 v[4:5], v[6:7], v[2:3] op_sel:[0,1]
	s_delay_alu instid0(VALU_DEP_1) | instskip(SKIP_1) | instid1(VALU_DEP_1)
	v_pk_fma_f32 v[8:9], v[6:7], v[0:1], v[4:5] op_sel:[0,0,1] op_sel_hi:[1,1,0] neg_lo:[0,0,1] neg_hi:[0,0,1]
	v_pk_fma_f32 v[4:5], v[6:7], v[0:1], v[4:5] op_sel:[0,0,1] op_sel_hi:[1,0,0]
	v_mov_b32_e32 v9, v5
	ds_load_2addr_b64 v[4:7], v196 offset0:13 offset1:14
	v_pk_add_f32 v[34:35], v[34:35], v[10:11] neg_lo:[0,1] neg_hi:[0,1]
	v_pk_add_f32 v[64:65], v[64:65], v[8:9] neg_lo:[0,1] neg_hi:[0,1]
	s_wait_dscnt 0x0
	v_pk_mul_f32 v[8:9], v[4:5], v[2:3] op_sel:[0,1]
	s_delay_alu instid0(VALU_DEP_1) | instskip(SKIP_1) | instid1(VALU_DEP_1)
	v_pk_fma_f32 v[10:11], v[4:5], v[0:1], v[8:9] op_sel:[0,0,1] op_sel_hi:[1,1,0] neg_lo:[0,0,1] neg_hi:[0,0,1]
	v_pk_fma_f32 v[4:5], v[4:5], v[0:1], v[8:9] op_sel:[0,0,1] op_sel_hi:[1,0,0]
	v_mov_b32_e32 v11, v5
	v_pk_mul_f32 v[4:5], v[6:7], v[2:3] op_sel:[0,1]
	s_delay_alu instid0(VALU_DEP_1) | instskip(SKIP_1) | instid1(VALU_DEP_1)
	v_pk_fma_f32 v[8:9], v[6:7], v[0:1], v[4:5] op_sel:[0,0,1] op_sel_hi:[1,1,0] neg_lo:[0,0,1] neg_hi:[0,0,1]
	v_pk_fma_f32 v[4:5], v[6:7], v[0:1], v[4:5] op_sel:[0,0,1] op_sel_hi:[1,0,0]
	v_mov_b32_e32 v9, v5
	ds_load_2addr_b64 v[4:7], v196 offset0:15 offset1:16
	v_pk_add_f32 v[60:61], v[60:61], v[10:11] neg_lo:[0,1] neg_hi:[0,1]
	v_pk_add_f32 v[62:63], v[62:63], v[8:9] neg_lo:[0,1] neg_hi:[0,1]
	s_wait_dscnt 0x0
	v_dual_mul_f32 v8, v5, v3 :: v_dual_mul_f32 v10, v5, v0
	s_delay_alu instid0(VALU_DEP_1) | instskip(NEXT) | instid1(VALU_DEP_2)
	v_pk_fma_f32 v[8:9], v[4:5], v[24:25], v[8:9] op_sel_hi:[1,1,0] neg_lo:[0,0,1] neg_hi:[0,0,1]
	v_pk_fma_f32 v[4:5], v[4:5], v[24:25], v[10:11] op_sel:[1,0,0] op_sel_hi:[0,1,0]
	s_delay_alu instid0(VALU_DEP_1) | instskip(SKIP_1) | instid1(VALU_DEP_2)
	v_mov_b32_e32 v9, v5
	v_pk_mul_f32 v[4:5], v[6:7], v[2:3] op_sel:[0,1]
	v_pk_add_f32 v[58:59], v[58:59], v[8:9] neg_lo:[0,1] neg_hi:[0,1]
	s_delay_alu instid0(VALU_DEP_2) | instskip(SKIP_1) | instid1(VALU_DEP_1)
	v_pk_fma_f32 v[8:9], v[6:7], v[0:1], v[4:5] op_sel:[0,0,1] op_sel_hi:[1,1,0] neg_lo:[0,0,1] neg_hi:[0,0,1]
	v_pk_fma_f32 v[4:5], v[6:7], v[0:1], v[4:5] op_sel:[0,0,1] op_sel_hi:[1,0,0]
	v_mov_b32_e32 v9, v5
	ds_load_2addr_b64 v[4:7], v196 offset0:17 offset1:18
	v_pk_add_f32 v[82:83], v[82:83], v[8:9] neg_lo:[0,1] neg_hi:[0,1]
	s_wait_dscnt 0x0
	v_pk_mul_f32 v[8:9], v[4:5], v[2:3] op_sel:[0,1]
	s_delay_alu instid0(VALU_DEP_1) | instskip(SKIP_1) | instid1(VALU_DEP_1)
	v_pk_fma_f32 v[10:11], v[4:5], v[0:1], v[8:9] op_sel:[0,0,1] op_sel_hi:[1,1,0] neg_lo:[0,0,1] neg_hi:[0,0,1]
	v_pk_fma_f32 v[4:5], v[4:5], v[0:1], v[8:9] op_sel:[0,0,1] op_sel_hi:[1,0,0]
	v_mov_b32_e32 v11, v5
	v_pk_mul_f32 v[4:5], v[6:7], v[2:3] op_sel:[0,1]
	s_delay_alu instid0(VALU_DEP_2) | instskip(NEXT) | instid1(VALU_DEP_2)
	v_pk_add_f32 v[78:79], v[78:79], v[10:11] neg_lo:[0,1] neg_hi:[0,1]
	v_pk_fma_f32 v[8:9], v[6:7], v[0:1], v[4:5] op_sel:[0,0,1] op_sel_hi:[1,1,0] neg_lo:[0,0,1] neg_hi:[0,0,1]
	v_pk_fma_f32 v[4:5], v[6:7], v[0:1], v[4:5] op_sel:[0,0,1] op_sel_hi:[1,0,0]
	s_delay_alu instid0(VALU_DEP_1) | instskip(SKIP_4) | instid1(VALU_DEP_1)
	v_mov_b32_e32 v9, v5
	ds_load_2addr_b64 v[4:7], v196 offset0:19 offset1:20
	v_pk_add_f32 v[80:81], v[80:81], v[8:9] neg_lo:[0,1] neg_hi:[0,1]
	s_wait_dscnt 0x0
	v_pk_mul_f32 v[8:9], v[4:5], v[2:3] op_sel:[0,1]
	v_pk_fma_f32 v[10:11], v[4:5], v[0:1], v[8:9] op_sel:[0,0,1] op_sel_hi:[1,1,0] neg_lo:[0,0,1] neg_hi:[0,0,1]
	v_pk_fma_f32 v[4:5], v[4:5], v[0:1], v[8:9] op_sel:[0,0,1] op_sel_hi:[1,0,0]
	v_dual_mul_f32 v8, v7, v3 :: v_dual_mov_b32 v4, v7
	s_delay_alu instid0(VALU_DEP_2) | instskip(NEXT) | instid1(VALU_DEP_2)
	v_dual_mov_b32 v11, v5 :: v_dual_mov_b32 v5, v6
	v_pk_fma_f32 v[8:9], v[6:7], v[24:25], v[8:9] op_sel_hi:[1,1,0] neg_lo:[0,0,1] neg_hi:[0,0,1]
	v_mul_f32_e32 v6, v7, v0
	s_delay_alu instid0(VALU_DEP_3) | instskip(NEXT) | instid1(VALU_DEP_2)
	v_pk_add_f32 v[76:77], v[76:77], v[10:11] neg_lo:[0,1] neg_hi:[0,1]
	v_pk_fma_f32 v[4:5], v[4:5], v[24:25], v[6:7] op_sel_hi:[1,1,0]
	s_delay_alu instid0(VALU_DEP_1) | instskip(SKIP_4) | instid1(VALU_DEP_1)
	v_mov_b32_e32 v9, v5
	ds_load_2addr_b64 v[4:7], v196 offset0:21 offset1:22
	v_pk_add_f32 v[98:99], v[98:99], v[8:9] neg_lo:[0,1] neg_hi:[0,1]
	s_wait_dscnt 0x0
	v_pk_mul_f32 v[8:9], v[4:5], v[2:3] op_sel:[0,1]
	v_pk_fma_f32 v[10:11], v[4:5], v[0:1], v[8:9] op_sel:[0,0,1] op_sel_hi:[1,1,0] neg_lo:[0,0,1] neg_hi:[0,0,1]
	v_pk_fma_f32 v[4:5], v[4:5], v[0:1], v[8:9] op_sel:[0,0,1] op_sel_hi:[1,0,0]
	s_delay_alu instid0(VALU_DEP_1) | instskip(SKIP_1) | instid1(VALU_DEP_1)
	v_mov_b32_e32 v11, v5
	v_pk_mul_f32 v[4:5], v[6:7], v[2:3] op_sel:[0,1]
	v_pk_fma_f32 v[8:9], v[6:7], v[0:1], v[4:5] op_sel:[0,0,1] op_sel_hi:[1,1,0] neg_lo:[0,0,1] neg_hi:[0,0,1]
	v_pk_fma_f32 v[4:5], v[6:7], v[0:1], v[4:5] op_sel:[0,0,1] op_sel_hi:[1,0,0]
	s_delay_alu instid0(VALU_DEP_1)
	v_mov_b32_e32 v9, v5
	ds_load_2addr_b64 v[4:7], v196 offset0:23 offset1:24
	v_pk_add_f32 v[94:95], v[94:95], v[10:11] neg_lo:[0,1] neg_hi:[0,1]
	v_pk_add_f32 v[96:97], v[96:97], v[8:9] neg_lo:[0,1] neg_hi:[0,1]
	s_wait_dscnt 0x0
	v_pk_mul_f32 v[8:9], v[4:5], v[2:3] op_sel:[0,1]
	s_delay_alu instid0(VALU_DEP_1) | instskip(SKIP_1) | instid1(VALU_DEP_1)
	v_pk_fma_f32 v[10:11], v[4:5], v[0:1], v[8:9] op_sel:[0,0,1] op_sel_hi:[1,1,0] neg_lo:[0,0,1] neg_hi:[0,0,1]
	v_pk_fma_f32 v[4:5], v[4:5], v[0:1], v[8:9] op_sel:[0,0,1] op_sel_hi:[1,0,0]
	v_mov_b32_e32 v11, v5
	v_pk_mul_f32 v[4:5], v[6:7], v[2:3] op_sel:[0,1]
	s_delay_alu instid0(VALU_DEP_1) | instskip(SKIP_1) | instid1(VALU_DEP_1)
	v_pk_fma_f32 v[8:9], v[6:7], v[0:1], v[4:5] op_sel:[0,0,1] op_sel_hi:[1,1,0] neg_lo:[0,0,1] neg_hi:[0,0,1]
	v_pk_fma_f32 v[4:5], v[6:7], v[0:1], v[4:5] op_sel:[0,0,1] op_sel_hi:[1,0,0]
	v_mov_b32_e32 v9, v5
	ds_load_2addr_b64 v[4:7], v196 offset0:25 offset1:26
	v_pk_add_f32 v[92:93], v[92:93], v[10:11] neg_lo:[0,1] neg_hi:[0,1]
	v_pk_add_f32 v[114:115], v[114:115], v[8:9] neg_lo:[0,1] neg_hi:[0,1]
	s_wait_dscnt 0x0
	v_dual_mul_f32 v8, v5, v3 :: v_dual_mul_f32 v10, v5, v0
	s_delay_alu instid0(VALU_DEP_1) | instskip(NEXT) | instid1(VALU_DEP_2)
	v_pk_fma_f32 v[8:9], v[4:5], v[24:25], v[8:9] op_sel_hi:[1,1,0] neg_lo:[0,0,1] neg_hi:[0,0,1]
	v_pk_fma_f32 v[4:5], v[4:5], v[24:25], v[10:11] op_sel:[1,0,0] op_sel_hi:[0,1,0]
	s_delay_alu instid0(VALU_DEP_1) | instskip(SKIP_1) | instid1(VALU_DEP_2)
	v_mov_b32_e32 v9, v5
	v_pk_mul_f32 v[4:5], v[6:7], v[2:3] op_sel:[0,1]
	v_pk_add_f32 v[110:111], v[110:111], v[8:9] neg_lo:[0,1] neg_hi:[0,1]
	s_delay_alu instid0(VALU_DEP_2) | instskip(SKIP_1) | instid1(VALU_DEP_1)
	v_pk_fma_f32 v[8:9], v[6:7], v[0:1], v[4:5] op_sel:[0,0,1] op_sel_hi:[1,1,0] neg_lo:[0,0,1] neg_hi:[0,0,1]
	v_pk_fma_f32 v[4:5], v[6:7], v[0:1], v[4:5] op_sel:[0,0,1] op_sel_hi:[1,0,0]
	v_mov_b32_e32 v9, v5
	ds_load_2addr_b64 v[4:7], v196 offset0:27 offset1:28
	v_pk_add_f32 v[112:113], v[112:113], v[8:9] neg_lo:[0,1] neg_hi:[0,1]
	s_wait_dscnt 0x0
	v_pk_mul_f32 v[8:9], v[4:5], v[2:3] op_sel:[0,1]
	s_delay_alu instid0(VALU_DEP_1) | instskip(SKIP_1) | instid1(VALU_DEP_1)
	v_pk_fma_f32 v[10:11], v[4:5], v[0:1], v[8:9] op_sel:[0,0,1] op_sel_hi:[1,1,0] neg_lo:[0,0,1] neg_hi:[0,0,1]
	v_pk_fma_f32 v[4:5], v[4:5], v[0:1], v[8:9] op_sel:[0,0,1] op_sel_hi:[1,0,0]
	v_mov_b32_e32 v11, v5
	v_pk_mul_f32 v[4:5], v[6:7], v[2:3] op_sel:[0,1]
	s_delay_alu instid0(VALU_DEP_2) | instskip(NEXT) | instid1(VALU_DEP_2)
	v_pk_add_f32 v[108:109], v[108:109], v[10:11] neg_lo:[0,1] neg_hi:[0,1]
	v_pk_fma_f32 v[8:9], v[6:7], v[0:1], v[4:5] op_sel:[0,0,1] op_sel_hi:[1,1,0] neg_lo:[0,0,1] neg_hi:[0,0,1]
	v_pk_fma_f32 v[4:5], v[6:7], v[0:1], v[4:5] op_sel:[0,0,1] op_sel_hi:[1,0,0]
	s_delay_alu instid0(VALU_DEP_1) | instskip(SKIP_4) | instid1(VALU_DEP_1)
	v_mov_b32_e32 v9, v5
	ds_load_2addr_b64 v[4:7], v196 offset0:29 offset1:30
	v_pk_add_f32 v[130:131], v[130:131], v[8:9] neg_lo:[0,1] neg_hi:[0,1]
	s_wait_dscnt 0x0
	v_pk_mul_f32 v[8:9], v[4:5], v[2:3] op_sel:[0,1]
	v_pk_fma_f32 v[10:11], v[4:5], v[0:1], v[8:9] op_sel:[0,0,1] op_sel_hi:[1,1,0] neg_lo:[0,0,1] neg_hi:[0,0,1]
	v_pk_fma_f32 v[4:5], v[4:5], v[0:1], v[8:9] op_sel:[0,0,1] op_sel_hi:[1,0,0]
	v_dual_mul_f32 v8, v7, v3 :: v_dual_mov_b32 v4, v7
	s_delay_alu instid0(VALU_DEP_2) | instskip(NEXT) | instid1(VALU_DEP_2)
	v_dual_mov_b32 v11, v5 :: v_dual_mov_b32 v5, v6
	v_pk_fma_f32 v[8:9], v[6:7], v[24:25], v[8:9] op_sel_hi:[1,1,0] neg_lo:[0,0,1] neg_hi:[0,0,1]
	v_mul_f32_e32 v6, v7, v0
	s_delay_alu instid0(VALU_DEP_3) | instskip(NEXT) | instid1(VALU_DEP_2)
	v_pk_add_f32 v[126:127], v[126:127], v[10:11] neg_lo:[0,1] neg_hi:[0,1]
	v_pk_fma_f32 v[4:5], v[4:5], v[24:25], v[6:7] op_sel_hi:[1,1,0]
	s_delay_alu instid0(VALU_DEP_1) | instskip(SKIP_4) | instid1(VALU_DEP_1)
	v_mov_b32_e32 v9, v5
	ds_load_2addr_b64 v[4:7], v196 offset0:31 offset1:32
	v_pk_add_f32 v[128:129], v[128:129], v[8:9] neg_lo:[0,1] neg_hi:[0,1]
	s_wait_dscnt 0x0
	v_pk_mul_f32 v[8:9], v[4:5], v[2:3] op_sel:[0,1]
	v_pk_fma_f32 v[10:11], v[4:5], v[0:1], v[8:9] op_sel:[0,0,1] op_sel_hi:[1,1,0] neg_lo:[0,0,1] neg_hi:[0,0,1]
	v_pk_fma_f32 v[4:5], v[4:5], v[0:1], v[8:9] op_sel:[0,0,1] op_sel_hi:[1,0,0]
	s_delay_alu instid0(VALU_DEP_1) | instskip(SKIP_1) | instid1(VALU_DEP_1)
	v_mov_b32_e32 v11, v5
	v_pk_mul_f32 v[4:5], v[6:7], v[2:3] op_sel:[0,1]
	v_pk_fma_f32 v[8:9], v[6:7], v[0:1], v[4:5] op_sel:[0,0,1] op_sel_hi:[1,1,0] neg_lo:[0,0,1] neg_hi:[0,0,1]
	v_pk_fma_f32 v[4:5], v[6:7], v[0:1], v[4:5] op_sel:[0,0,1] op_sel_hi:[1,0,0]
	s_delay_alu instid0(VALU_DEP_1)
	v_mov_b32_e32 v9, v5
	ds_load_2addr_b64 v[4:7], v196 offset0:33 offset1:34
	v_pk_add_f32 v[124:125], v[124:125], v[10:11] neg_lo:[0,1] neg_hi:[0,1]
	v_pk_add_f32 v[146:147], v[146:147], v[8:9] neg_lo:[0,1] neg_hi:[0,1]
	s_wait_dscnt 0x0
	v_pk_mul_f32 v[8:9], v[4:5], v[2:3] op_sel:[0,1]
	s_delay_alu instid0(VALU_DEP_1) | instskip(SKIP_1) | instid1(VALU_DEP_1)
	v_pk_fma_f32 v[10:11], v[4:5], v[0:1], v[8:9] op_sel:[0,0,1] op_sel_hi:[1,1,0] neg_lo:[0,0,1] neg_hi:[0,0,1]
	v_pk_fma_f32 v[4:5], v[4:5], v[0:1], v[8:9] op_sel:[0,0,1] op_sel_hi:[1,0,0]
	v_mov_b32_e32 v11, v5
	v_pk_mul_f32 v[4:5], v[6:7], v[2:3] op_sel:[0,1]
	s_delay_alu instid0(VALU_DEP_1) | instskip(SKIP_1) | instid1(VALU_DEP_1)
	v_pk_fma_f32 v[8:9], v[6:7], v[0:1], v[4:5] op_sel:[0,0,1] op_sel_hi:[1,1,0] neg_lo:[0,0,1] neg_hi:[0,0,1]
	v_pk_fma_f32 v[4:5], v[6:7], v[0:1], v[4:5] op_sel:[0,0,1] op_sel_hi:[1,0,0]
	v_mov_b32_e32 v9, v5
	ds_load_2addr_b64 v[4:7], v196 offset0:35 offset1:36
	v_pk_add_f32 v[142:143], v[142:143], v[10:11] neg_lo:[0,1] neg_hi:[0,1]
	v_pk_add_f32 v[144:145], v[144:145], v[8:9] neg_lo:[0,1] neg_hi:[0,1]
	s_wait_dscnt 0x0
	v_dual_mul_f32 v8, v5, v3 :: v_dual_mul_f32 v10, v5, v0
	s_delay_alu instid0(VALU_DEP_1) | instskip(NEXT) | instid1(VALU_DEP_2)
	v_pk_fma_f32 v[8:9], v[4:5], v[24:25], v[8:9] op_sel_hi:[1,1,0] neg_lo:[0,0,1] neg_hi:[0,0,1]
	v_pk_fma_f32 v[4:5], v[4:5], v[24:25], v[10:11] op_sel:[1,0,0] op_sel_hi:[0,1,0]
	s_delay_alu instid0(VALU_DEP_1) | instskip(SKIP_1) | instid1(VALU_DEP_2)
	v_mov_b32_e32 v9, v5
	v_pk_mul_f32 v[4:5], v[6:7], v[2:3] op_sel:[0,1]
	v_pk_add_f32 v[140:141], v[140:141], v[8:9] neg_lo:[0,1] neg_hi:[0,1]
	s_delay_alu instid0(VALU_DEP_2) | instskip(SKIP_1) | instid1(VALU_DEP_1)
	v_pk_fma_f32 v[8:9], v[6:7], v[0:1], v[4:5] op_sel:[0,0,1] op_sel_hi:[1,1,0] neg_lo:[0,0,1] neg_hi:[0,0,1]
	v_pk_fma_f32 v[4:5], v[6:7], v[0:1], v[4:5] op_sel:[0,0,1] op_sel_hi:[1,0,0]
	v_mov_b32_e32 v9, v5
	ds_load_2addr_b64 v[4:7], v196 offset0:37 offset1:38
	v_pk_add_f32 v[162:163], v[162:163], v[8:9] neg_lo:[0,1] neg_hi:[0,1]
	s_wait_dscnt 0x0
	v_pk_mul_f32 v[8:9], v[4:5], v[2:3] op_sel:[0,1]
	s_delay_alu instid0(VALU_DEP_1) | instskip(SKIP_1) | instid1(VALU_DEP_1)
	v_pk_fma_f32 v[10:11], v[4:5], v[0:1], v[8:9] op_sel:[0,0,1] op_sel_hi:[1,1,0] neg_lo:[0,0,1] neg_hi:[0,0,1]
	v_pk_fma_f32 v[4:5], v[4:5], v[0:1], v[8:9] op_sel:[0,0,1] op_sel_hi:[1,0,0]
	v_mov_b32_e32 v11, v5
	v_pk_mul_f32 v[4:5], v[6:7], v[2:3] op_sel:[0,1]
	s_delay_alu instid0(VALU_DEP_2) | instskip(NEXT) | instid1(VALU_DEP_2)
	v_pk_add_f32 v[158:159], v[158:159], v[10:11] neg_lo:[0,1] neg_hi:[0,1]
	v_pk_fma_f32 v[8:9], v[6:7], v[0:1], v[4:5] op_sel:[0,0,1] op_sel_hi:[1,1,0] neg_lo:[0,0,1] neg_hi:[0,0,1]
	v_pk_fma_f32 v[4:5], v[6:7], v[0:1], v[4:5] op_sel:[0,0,1] op_sel_hi:[1,0,0]
	s_delay_alu instid0(VALU_DEP_1) | instskip(SKIP_4) | instid1(VALU_DEP_1)
	v_mov_b32_e32 v9, v5
	ds_load_2addr_b64 v[4:7], v196 offset0:39 offset1:40
	v_pk_add_f32 v[160:161], v[160:161], v[8:9] neg_lo:[0,1] neg_hi:[0,1]
	s_wait_dscnt 0x0
	v_pk_mul_f32 v[8:9], v[4:5], v[2:3] op_sel:[0,1]
	v_pk_fma_f32 v[10:11], v[4:5], v[0:1], v[8:9] op_sel:[0,0,1] op_sel_hi:[1,1,0] neg_lo:[0,0,1] neg_hi:[0,0,1]
	v_pk_fma_f32 v[4:5], v[4:5], v[0:1], v[8:9] op_sel:[0,0,1] op_sel_hi:[1,0,0]
	v_dual_mul_f32 v8, v7, v3 :: v_dual_mov_b32 v4, v7
	s_delay_alu instid0(VALU_DEP_2) | instskip(NEXT) | instid1(VALU_DEP_2)
	v_dual_mov_b32 v11, v5 :: v_dual_mov_b32 v5, v6
	v_pk_fma_f32 v[8:9], v[6:7], v[24:25], v[8:9] op_sel_hi:[1,1,0] neg_lo:[0,0,1] neg_hi:[0,0,1]
	v_mul_f32_e32 v6, v7, v0
	s_delay_alu instid0(VALU_DEP_3) | instskip(NEXT) | instid1(VALU_DEP_2)
	v_pk_add_f32 v[156:157], v[156:157], v[10:11] neg_lo:[0,1] neg_hi:[0,1]
	v_pk_fma_f32 v[4:5], v[4:5], v[24:25], v[6:7] op_sel_hi:[1,1,0]
	s_delay_alu instid0(VALU_DEP_1) | instskip(SKIP_4) | instid1(VALU_DEP_1)
	v_mov_b32_e32 v9, v5
	ds_load_2addr_b64 v[4:7], v196 offset0:41 offset1:42
	v_pk_add_f32 v[178:179], v[178:179], v[8:9] neg_lo:[0,1] neg_hi:[0,1]
	s_wait_dscnt 0x0
	v_pk_mul_f32 v[8:9], v[4:5], v[2:3] op_sel:[0,1]
	v_pk_fma_f32 v[10:11], v[4:5], v[0:1], v[8:9] op_sel:[0,0,1] op_sel_hi:[1,1,0] neg_lo:[0,0,1] neg_hi:[0,0,1]
	v_pk_fma_f32 v[4:5], v[4:5], v[0:1], v[8:9] op_sel:[0,0,1] op_sel_hi:[1,0,0]
	s_delay_alu instid0(VALU_DEP_1) | instskip(SKIP_1) | instid1(VALU_DEP_1)
	v_mov_b32_e32 v11, v5
	v_pk_mul_f32 v[4:5], v[6:7], v[2:3] op_sel:[0,1]
	v_pk_fma_f32 v[8:9], v[6:7], v[0:1], v[4:5] op_sel:[0,0,1] op_sel_hi:[1,1,0] neg_lo:[0,0,1] neg_hi:[0,0,1]
	v_pk_fma_f32 v[4:5], v[6:7], v[0:1], v[4:5] op_sel:[0,0,1] op_sel_hi:[1,0,0]
	s_delay_alu instid0(VALU_DEP_1)
	v_mov_b32_e32 v9, v5
	ds_load_2addr_b64 v[4:7], v196 offset0:43 offset1:44
	v_pk_add_f32 v[174:175], v[174:175], v[10:11] neg_lo:[0,1] neg_hi:[0,1]
	v_pk_add_f32 v[176:177], v[176:177], v[8:9] neg_lo:[0,1] neg_hi:[0,1]
	s_wait_dscnt 0x0
	v_pk_mul_f32 v[8:9], v[4:5], v[2:3] op_sel:[0,1]
	s_delay_alu instid0(VALU_DEP_1) | instskip(SKIP_1) | instid1(VALU_DEP_1)
	v_pk_fma_f32 v[10:11], v[4:5], v[0:1], v[8:9] op_sel:[0,0,1] op_sel_hi:[1,1,0] neg_lo:[0,0,1] neg_hi:[0,0,1]
	v_pk_fma_f32 v[4:5], v[4:5], v[0:1], v[8:9] op_sel:[0,0,1] op_sel_hi:[1,0,0]
	v_mov_b32_e32 v11, v5
	v_pk_mul_f32 v[4:5], v[6:7], v[2:3] op_sel:[0,1]
	s_delay_alu instid0(VALU_DEP_1) | instskip(SKIP_1) | instid1(VALU_DEP_1)
	v_pk_fma_f32 v[8:9], v[6:7], v[0:1], v[4:5] op_sel:[0,0,1] op_sel_hi:[1,1,0] neg_lo:[0,0,1] neg_hi:[0,0,1]
	v_pk_fma_f32 v[4:5], v[6:7], v[0:1], v[4:5] op_sel:[0,0,1] op_sel_hi:[1,0,0]
	v_mov_b32_e32 v9, v5
	ds_load_2addr_b64 v[4:7], v196 offset0:45 offset1:46
	v_pk_add_f32 v[172:173], v[172:173], v[10:11] neg_lo:[0,1] neg_hi:[0,1]
	v_pk_add_f32 v[194:195], v[194:195], v[8:9] neg_lo:[0,1] neg_hi:[0,1]
	s_wait_dscnt 0x0
	v_dual_mul_f32 v8, v5, v3 :: v_dual_mul_f32 v10, v5, v0
	s_delay_alu instid0(VALU_DEP_1) | instskip(NEXT) | instid1(VALU_DEP_2)
	v_pk_fma_f32 v[8:9], v[4:5], v[24:25], v[8:9] op_sel_hi:[1,1,0] neg_lo:[0,0,1] neg_hi:[0,0,1]
	v_pk_fma_f32 v[4:5], v[4:5], v[24:25], v[10:11] op_sel:[1,0,0] op_sel_hi:[0,1,0]
	s_delay_alu instid0(VALU_DEP_1) | instskip(SKIP_1) | instid1(VALU_DEP_2)
	v_mov_b32_e32 v9, v5
	v_pk_mul_f32 v[4:5], v[6:7], v[2:3] op_sel:[0,1]
	v_pk_add_f32 v[190:191], v[190:191], v[8:9] neg_lo:[0,1] neg_hi:[0,1]
	s_delay_alu instid0(VALU_DEP_2) | instskip(SKIP_1) | instid1(VALU_DEP_1)
	v_pk_fma_f32 v[8:9], v[6:7], v[0:1], v[4:5] op_sel:[0,0,1] op_sel_hi:[1,1,0] neg_lo:[0,0,1] neg_hi:[0,0,1]
	v_pk_fma_f32 v[4:5], v[6:7], v[0:1], v[4:5] op_sel:[0,0,1] op_sel_hi:[1,0,0]
	v_mov_b32_e32 v9, v5
	ds_load_2addr_b64 v[4:7], v196 offset0:47 offset1:48
	v_pk_add_f32 v[192:193], v[192:193], v[8:9] neg_lo:[0,1] neg_hi:[0,1]
	s_wait_dscnt 0x0
	v_pk_mul_f32 v[8:9], v[4:5], v[2:3] op_sel:[0,1]
	s_delay_alu instid0(VALU_DEP_1) | instskip(SKIP_1) | instid1(VALU_DEP_1)
	v_pk_fma_f32 v[10:11], v[4:5], v[0:1], v[8:9] op_sel:[0,0,1] op_sel_hi:[1,1,0] neg_lo:[0,0,1] neg_hi:[0,0,1]
	v_pk_fma_f32 v[4:5], v[4:5], v[0:1], v[8:9] op_sel:[0,0,1] op_sel_hi:[1,0,0]
	v_mov_b32_e32 v11, v5
	v_pk_mul_f32 v[4:5], v[6:7], v[2:3] op_sel:[0,1]
	s_delay_alu instid0(VALU_DEP_2) | instskip(NEXT) | instid1(VALU_DEP_2)
	v_pk_add_f32 v[188:189], v[188:189], v[10:11] neg_lo:[0,1] neg_hi:[0,1]
	v_pk_fma_f32 v[8:9], v[6:7], v[0:1], v[4:5] op_sel:[0,0,1] op_sel_hi:[1,1,0] neg_lo:[0,0,1] neg_hi:[0,0,1]
	v_pk_fma_f32 v[4:5], v[6:7], v[0:1], v[4:5] op_sel:[0,0,1] op_sel_hi:[1,0,0]
	s_delay_alu instid0(VALU_DEP_1) | instskip(SKIP_4) | instid1(VALU_DEP_1)
	v_mov_b32_e32 v9, v5
	ds_load_2addr_b64 v[4:7], v196 offset0:49 offset1:50
	v_pk_add_f32 v[212:213], v[212:213], v[8:9] neg_lo:[0,1] neg_hi:[0,1]
	s_wait_dscnt 0x0
	v_pk_mul_f32 v[8:9], v[4:5], v[2:3] op_sel:[0,1]
	v_pk_fma_f32 v[10:11], v[4:5], v[0:1], v[8:9] op_sel:[0,0,1] op_sel_hi:[1,1,0] neg_lo:[0,0,1] neg_hi:[0,0,1]
	v_pk_fma_f32 v[4:5], v[4:5], v[0:1], v[8:9] op_sel:[0,0,1] op_sel_hi:[1,0,0]
	v_dual_mul_f32 v8, v7, v3 :: v_dual_mov_b32 v4, v7
	s_delay_alu instid0(VALU_DEP_2) | instskip(NEXT) | instid1(VALU_DEP_2)
	v_dual_mov_b32 v11, v5 :: v_dual_mov_b32 v5, v6
	v_pk_fma_f32 v[8:9], v[6:7], v[24:25], v[8:9] op_sel_hi:[1,1,0] neg_lo:[0,0,1] neg_hi:[0,0,1]
	v_mul_f32_e32 v6, v7, v0
	s_delay_alu instid0(VALU_DEP_3) | instskip(NEXT) | instid1(VALU_DEP_2)
	v_pk_add_f32 v[208:209], v[208:209], v[10:11] neg_lo:[0,1] neg_hi:[0,1]
	v_pk_fma_f32 v[4:5], v[4:5], v[24:25], v[6:7] op_sel_hi:[1,1,0]
	s_delay_alu instid0(VALU_DEP_1) | instskip(SKIP_4) | instid1(VALU_DEP_1)
	v_mov_b32_e32 v9, v5
	ds_load_2addr_b64 v[4:7], v196 offset0:51 offset1:52
	v_pk_add_f32 v[210:211], v[210:211], v[8:9] neg_lo:[0,1] neg_hi:[0,1]
	s_wait_dscnt 0x0
	v_pk_mul_f32 v[8:9], v[4:5], v[2:3] op_sel:[0,1]
	v_pk_fma_f32 v[10:11], v[4:5], v[0:1], v[8:9] op_sel:[0,0,1] op_sel_hi:[1,1,0] neg_lo:[0,0,1] neg_hi:[0,0,1]
	v_pk_fma_f32 v[4:5], v[4:5], v[0:1], v[8:9] op_sel:[0,0,1] op_sel_hi:[1,0,0]
	s_delay_alu instid0(VALU_DEP_1) | instskip(SKIP_1) | instid1(VALU_DEP_1)
	v_mov_b32_e32 v11, v5
	v_pk_mul_f32 v[4:5], v[6:7], v[2:3] op_sel:[0,1]
	v_pk_fma_f32 v[8:9], v[6:7], v[0:1], v[4:5] op_sel:[0,0,1] op_sel_hi:[1,1,0] neg_lo:[0,0,1] neg_hi:[0,0,1]
	v_pk_fma_f32 v[4:5], v[6:7], v[0:1], v[4:5] op_sel:[0,0,1] op_sel_hi:[1,0,0]
	s_delay_alu instid0(VALU_DEP_1)
	v_mov_b32_e32 v9, v5
	ds_load_2addr_b64 v[4:7], v196 offset0:53 offset1:54
	v_pk_add_f32 v[206:207], v[206:207], v[10:11] neg_lo:[0,1] neg_hi:[0,1]
	v_pk_add_f32 v[228:229], v[228:229], v[8:9] neg_lo:[0,1] neg_hi:[0,1]
	s_wait_dscnt 0x0
	v_pk_mul_f32 v[8:9], v[4:5], v[2:3] op_sel:[0,1]
	s_delay_alu instid0(VALU_DEP_1) | instskip(SKIP_1) | instid1(VALU_DEP_1)
	v_pk_fma_f32 v[10:11], v[4:5], v[0:1], v[8:9] op_sel:[0,0,1] op_sel_hi:[1,1,0] neg_lo:[0,0,1] neg_hi:[0,0,1]
	v_pk_fma_f32 v[4:5], v[4:5], v[0:1], v[8:9] op_sel:[0,0,1] op_sel_hi:[1,0,0]
	v_mov_b32_e32 v11, v5
	v_pk_mul_f32 v[4:5], v[6:7], v[2:3] op_sel:[0,1]
	s_delay_alu instid0(VALU_DEP_1) | instskip(SKIP_1) | instid1(VALU_DEP_1)
	v_pk_fma_f32 v[8:9], v[6:7], v[0:1], v[4:5] op_sel:[0,0,1] op_sel_hi:[1,1,0] neg_lo:[0,0,1] neg_hi:[0,0,1]
	v_pk_fma_f32 v[4:5], v[6:7], v[0:1], v[4:5] op_sel:[0,0,1] op_sel_hi:[1,0,0]
	v_mov_b32_e32 v9, v5
	ds_load_2addr_b64 v[4:7], v196 offset0:55 offset1:56
	v_pk_add_f32 v[224:225], v[224:225], v[10:11] neg_lo:[0,1] neg_hi:[0,1]
	v_pk_add_f32 v[226:227], v[226:227], v[8:9] neg_lo:[0,1] neg_hi:[0,1]
	s_wait_dscnt 0x0
	v_dual_mul_f32 v8, v5, v3 :: v_dual_mul_f32 v10, v5, v0
	s_delay_alu instid0(VALU_DEP_1) | instskip(NEXT) | instid1(VALU_DEP_2)
	v_pk_fma_f32 v[8:9], v[4:5], v[24:25], v[8:9] op_sel_hi:[1,1,0] neg_lo:[0,0,1] neg_hi:[0,0,1]
	v_pk_fma_f32 v[4:5], v[4:5], v[24:25], v[10:11] op_sel:[1,0,0] op_sel_hi:[0,1,0]
	s_delay_alu instid0(VALU_DEP_1) | instskip(SKIP_1) | instid1(VALU_DEP_2)
	v_mov_b32_e32 v9, v5
	v_pk_mul_f32 v[4:5], v[6:7], v[2:3] op_sel:[0,1]
	v_pk_add_f32 v[222:223], v[222:223], v[8:9] neg_lo:[0,1] neg_hi:[0,1]
	s_delay_alu instid0(VALU_DEP_2) | instskip(SKIP_1) | instid1(VALU_DEP_1)
	v_pk_fma_f32 v[8:9], v[6:7], v[0:1], v[4:5] op_sel:[0,0,1] op_sel_hi:[1,1,0] neg_lo:[0,0,1] neg_hi:[0,0,1]
	v_pk_fma_f32 v[4:5], v[6:7], v[0:1], v[4:5] op_sel:[0,0,1] op_sel_hi:[1,0,0]
	v_mov_b32_e32 v9, v5
	ds_load_b64 v[4:5], v196 offset:456
	v_pk_add_f32 v[230:231], v[230:231], v[8:9] neg_lo:[0,1] neg_hi:[0,1]
	s_wait_dscnt 0x0
	v_pk_mul_f32 v[2:3], v[4:5], v[2:3] op_sel:[0,1]
	s_delay_alu instid0(VALU_DEP_1) | instskip(SKIP_1) | instid1(VALU_DEP_1)
	v_pk_fma_f32 v[6:7], v[4:5], v[0:1], v[2:3] op_sel:[0,0,1] op_sel_hi:[1,1,0] neg_lo:[0,0,1] neg_hi:[0,0,1]
	v_pk_fma_f32 v[0:1], v[4:5], v[0:1], v[2:3] op_sel:[0,0,1] op_sel_hi:[1,0,0]
	v_mov_b32_e32 v7, v1
	s_delay_alu instid0(VALU_DEP_1)
	v_pk_add_f32 v[232:233], v[232:233], v[6:7] neg_lo:[0,1] neg_hi:[0,1]
.LBB115_64:
	s_wait_xcnt 0x0
	s_or_b32 exec_lo, exec_lo, s1
	s_delay_alu instid0(SALU_CYCLE_1)
	s_mov_b32 s2, exec_lo
	s_wait_storecnt 0x0
	s_barrier_signal -1
	s_barrier_wait -1
	v_cmpx_eq_u32_e32 7, v186
	s_cbranch_execz .LBB115_71
; %bb.65:
	v_dual_mov_b32 v0, v40 :: v_dual_mov_b32 v1, v41
	v_dual_mov_b32 v2, v36 :: v_dual_mov_b32 v3, v37
	ds_store_b64 v187, v[20:21]
	ds_store_2addr_b64 v196, v[0:1], v[2:3] offset0:8 offset1:9
	v_dual_mov_b32 v0, v38 :: v_dual_mov_b32 v1, v39
	v_dual_mov_b32 v2, v34 :: v_dual_mov_b32 v3, v35
	ds_store_2addr_b64 v196, v[0:1], v[2:3] offset0:10 offset1:11
	v_dual_mov_b32 v0, v64 :: v_dual_mov_b32 v1, v65
	v_dual_mov_b32 v2, v60 :: v_dual_mov_b32 v3, v61
	ds_store_2addr_b64 v196, v[0:1], v[2:3] offset0:12 offset1:13
	v_dual_mov_b32 v0, v62 :: v_dual_mov_b32 v1, v63
	v_dual_mov_b32 v2, v58 :: v_dual_mov_b32 v3, v59
	ds_store_2addr_b64 v196, v[0:1], v[2:3] offset0:14 offset1:15
	v_dual_mov_b32 v0, v82 :: v_dual_mov_b32 v1, v83
	v_dual_mov_b32 v2, v78 :: v_dual_mov_b32 v3, v79
	ds_store_2addr_b64 v196, v[0:1], v[2:3] offset0:16 offset1:17
	v_dual_mov_b32 v0, v80 :: v_dual_mov_b32 v1, v81
	v_dual_mov_b32 v2, v76 :: v_dual_mov_b32 v3, v77
	ds_store_2addr_b64 v196, v[0:1], v[2:3] offset0:18 offset1:19
	v_dual_mov_b32 v0, v98 :: v_dual_mov_b32 v1, v99
	v_dual_mov_b32 v2, v94 :: v_dual_mov_b32 v3, v95
	ds_store_2addr_b64 v196, v[0:1], v[2:3] offset0:20 offset1:21
	v_dual_mov_b32 v0, v96 :: v_dual_mov_b32 v1, v97
	v_dual_mov_b32 v2, v92 :: v_dual_mov_b32 v3, v93
	ds_store_2addr_b64 v196, v[0:1], v[2:3] offset0:22 offset1:23
	v_dual_mov_b32 v0, v114 :: v_dual_mov_b32 v1, v115
	v_dual_mov_b32 v2, v110 :: v_dual_mov_b32 v3, v111
	ds_store_2addr_b64 v196, v[0:1], v[2:3] offset0:24 offset1:25
	v_dual_mov_b32 v0, v112 :: v_dual_mov_b32 v1, v113
	v_dual_mov_b32 v2, v108 :: v_dual_mov_b32 v3, v109
	ds_store_2addr_b64 v196, v[0:1], v[2:3] offset0:26 offset1:27
	v_dual_mov_b32 v0, v130 :: v_dual_mov_b32 v1, v131
	v_dual_mov_b32 v2, v126 :: v_dual_mov_b32 v3, v127
	ds_store_2addr_b64 v196, v[0:1], v[2:3] offset0:28 offset1:29
	v_dual_mov_b32 v0, v128 :: v_dual_mov_b32 v1, v129
	v_dual_mov_b32 v2, v124 :: v_dual_mov_b32 v3, v125
	ds_store_2addr_b64 v196, v[0:1], v[2:3] offset0:30 offset1:31
	v_dual_mov_b32 v0, v146 :: v_dual_mov_b32 v1, v147
	v_dual_mov_b32 v2, v142 :: v_dual_mov_b32 v3, v143
	ds_store_2addr_b64 v196, v[0:1], v[2:3] offset0:32 offset1:33
	v_dual_mov_b32 v0, v144 :: v_dual_mov_b32 v1, v145
	v_dual_mov_b32 v2, v140 :: v_dual_mov_b32 v3, v141
	ds_store_2addr_b64 v196, v[0:1], v[2:3] offset0:34 offset1:35
	v_dual_mov_b32 v0, v162 :: v_dual_mov_b32 v1, v163
	v_dual_mov_b32 v2, v158 :: v_dual_mov_b32 v3, v159
	ds_store_2addr_b64 v196, v[0:1], v[2:3] offset0:36 offset1:37
	v_dual_mov_b32 v0, v160 :: v_dual_mov_b32 v1, v161
	v_dual_mov_b32 v2, v156 :: v_dual_mov_b32 v3, v157
	ds_store_2addr_b64 v196, v[0:1], v[2:3] offset0:38 offset1:39
	v_dual_mov_b32 v0, v178 :: v_dual_mov_b32 v1, v179
	v_dual_mov_b32 v2, v174 :: v_dual_mov_b32 v3, v175
	ds_store_2addr_b64 v196, v[0:1], v[2:3] offset0:40 offset1:41
	v_dual_mov_b32 v0, v176 :: v_dual_mov_b32 v1, v177
	v_dual_mov_b32 v2, v172 :: v_dual_mov_b32 v3, v173
	ds_store_2addr_b64 v196, v[0:1], v[2:3] offset0:42 offset1:43
	v_dual_mov_b32 v0, v194 :: v_dual_mov_b32 v1, v195
	v_dual_mov_b32 v2, v190 :: v_dual_mov_b32 v3, v191
	ds_store_2addr_b64 v196, v[0:1], v[2:3] offset0:44 offset1:45
	v_dual_mov_b32 v0, v192 :: v_dual_mov_b32 v1, v193
	v_dual_mov_b32 v2, v188 :: v_dual_mov_b32 v3, v189
	ds_store_2addr_b64 v196, v[0:1], v[2:3] offset0:46 offset1:47
	v_dual_mov_b32 v0, v212 :: v_dual_mov_b32 v1, v213
	v_dual_mov_b32 v2, v208 :: v_dual_mov_b32 v3, v209
	ds_store_2addr_b64 v196, v[0:1], v[2:3] offset0:48 offset1:49
	v_dual_mov_b32 v0, v210 :: v_dual_mov_b32 v1, v211
	v_dual_mov_b32 v2, v206 :: v_dual_mov_b32 v3, v207
	ds_store_2addr_b64 v196, v[0:1], v[2:3] offset0:50 offset1:51
	v_dual_mov_b32 v0, v228 :: v_dual_mov_b32 v1, v229
	v_dual_mov_b32 v2, v224 :: v_dual_mov_b32 v3, v225
	ds_store_2addr_b64 v196, v[0:1], v[2:3] offset0:52 offset1:53
	v_dual_mov_b32 v0, v226 :: v_dual_mov_b32 v1, v227
	v_dual_mov_b32 v2, v222 :: v_dual_mov_b32 v3, v223
	ds_store_2addr_b64 v196, v[0:1], v[2:3] offset0:54 offset1:55
	v_dual_mov_b32 v0, v230 :: v_dual_mov_b32 v1, v231
	ds_store_2addr_b64 v196, v[0:1], v[232:233] offset0:56 offset1:57
	ds_load_b64 v[0:1], v187
	s_wait_dscnt 0x0
	v_cmp_neq_f32_e32 vcc_lo, 0, v0
	v_cmp_neq_f32_e64 s1, 0, v1
	s_or_b32 s1, vcc_lo, s1
	s_delay_alu instid0(SALU_CYCLE_1)
	s_and_b32 exec_lo, exec_lo, s1
	s_cbranch_execz .LBB115_71
; %bb.66:
	v_cmp_ngt_f32_e64 s1, |v0|, |v1|
                                        ; implicit-def: $vgpr2_vgpr3
	s_and_saveexec_b32 s4, s1
	s_delay_alu instid0(SALU_CYCLE_1)
	s_xor_b32 s1, exec_lo, s4
	s_cbranch_execz .LBB115_68
; %bb.67:
	v_div_scale_f32 v2, null, v1, v1, v0
	v_div_scale_f32 v5, vcc_lo, v0, v1, v0
	s_delay_alu instid0(VALU_DEP_2) | instskip(SKIP_1) | instid1(TRANS32_DEP_1)
	v_rcp_f32_e32 v3, v2
	v_nop
	v_fma_f32 v4, -v2, v3, 1.0
	s_delay_alu instid0(VALU_DEP_1) | instskip(NEXT) | instid1(VALU_DEP_1)
	v_fmac_f32_e32 v3, v4, v3
	v_mul_f32_e32 v4, v5, v3
	s_delay_alu instid0(VALU_DEP_1) | instskip(NEXT) | instid1(VALU_DEP_1)
	v_fma_f32 v6, -v2, v4, v5
	v_fmac_f32_e32 v4, v6, v3
	s_delay_alu instid0(VALU_DEP_1) | instskip(NEXT) | instid1(VALU_DEP_1)
	v_fma_f32 v2, -v2, v4, v5
	v_div_fmas_f32 v2, v2, v3, v4
	s_delay_alu instid0(VALU_DEP_1) | instskip(NEXT) | instid1(VALU_DEP_1)
	v_div_fixup_f32 v2, v2, v1, v0
	v_fmac_f32_e32 v1, v0, v2
	s_delay_alu instid0(VALU_DEP_1) | instskip(SKIP_1) | instid1(VALU_DEP_2)
	v_div_scale_f32 v0, null, v1, v1, 1.0
	v_div_scale_f32 v5, vcc_lo, 1.0, v1, 1.0
	v_rcp_f32_e32 v3, v0
	v_nop
	s_delay_alu instid0(TRANS32_DEP_1) | instskip(NEXT) | instid1(VALU_DEP_1)
	v_fma_f32 v4, -v0, v3, 1.0
	v_fmac_f32_e32 v3, v4, v3
	s_delay_alu instid0(VALU_DEP_1) | instskip(NEXT) | instid1(VALU_DEP_1)
	v_mul_f32_e32 v4, v5, v3
	v_fma_f32 v6, -v0, v4, v5
	s_delay_alu instid0(VALU_DEP_1) | instskip(NEXT) | instid1(VALU_DEP_1)
	v_fmac_f32_e32 v4, v6, v3
	v_fma_f32 v0, -v0, v4, v5
	s_delay_alu instid0(VALU_DEP_1) | instskip(NEXT) | instid1(VALU_DEP_1)
	v_div_fmas_f32 v0, v0, v3, v4
	v_div_fixup_f32 v0, v0, v1, 1.0
	s_delay_alu instid0(VALU_DEP_1)
	v_mul_f32_e32 v2, v2, v0
	v_xor_b32_e32 v3, 0x80000000, v0
                                        ; implicit-def: $vgpr0_vgpr1
.LBB115_68:
	s_and_not1_saveexec_b32 s1, s1
	s_cbranch_execz .LBB115_70
; %bb.69:
	v_div_scale_f32 v2, null, v0, v0, v1
	v_div_scale_f32 v5, vcc_lo, v1, v0, v1
	s_delay_alu instid0(VALU_DEP_2) | instskip(SKIP_1) | instid1(TRANS32_DEP_1)
	v_rcp_f32_e32 v3, v2
	v_nop
	v_fma_f32 v4, -v2, v3, 1.0
	s_delay_alu instid0(VALU_DEP_1) | instskip(NEXT) | instid1(VALU_DEP_1)
	v_fmac_f32_e32 v3, v4, v3
	v_mul_f32_e32 v4, v5, v3
	s_delay_alu instid0(VALU_DEP_1) | instskip(NEXT) | instid1(VALU_DEP_1)
	v_fma_f32 v6, -v2, v4, v5
	v_fmac_f32_e32 v4, v6, v3
	s_delay_alu instid0(VALU_DEP_1) | instskip(NEXT) | instid1(VALU_DEP_1)
	v_fma_f32 v2, -v2, v4, v5
	v_div_fmas_f32 v2, v2, v3, v4
	s_delay_alu instid0(VALU_DEP_1) | instskip(NEXT) | instid1(VALU_DEP_1)
	v_div_fixup_f32 v3, v2, v0, v1
	v_fmac_f32_e32 v0, v1, v3
	s_delay_alu instid0(VALU_DEP_1) | instskip(NEXT) | instid1(VALU_DEP_1)
	v_div_scale_f32 v1, null, v0, v0, 1.0
	v_rcp_f32_e32 v2, v1
	v_nop
	s_delay_alu instid0(TRANS32_DEP_1) | instskip(NEXT) | instid1(VALU_DEP_1)
	v_fma_f32 v4, -v1, v2, 1.0
	v_fmac_f32_e32 v2, v4, v2
	v_div_scale_f32 v4, vcc_lo, 1.0, v0, 1.0
	s_delay_alu instid0(VALU_DEP_1) | instskip(NEXT) | instid1(VALU_DEP_1)
	v_mul_f32_e32 v5, v4, v2
	v_fma_f32 v6, -v1, v5, v4
	s_delay_alu instid0(VALU_DEP_1) | instskip(NEXT) | instid1(VALU_DEP_1)
	v_fmac_f32_e32 v5, v6, v2
	v_fma_f32 v1, -v1, v5, v4
	s_delay_alu instid0(VALU_DEP_1) | instskip(NEXT) | instid1(VALU_DEP_1)
	v_div_fmas_f32 v1, v1, v2, v5
	v_div_fixup_f32 v2, v1, v0, 1.0
	s_delay_alu instid0(VALU_DEP_1)
	v_mul_f32_e64 v3, v3, -v2
.LBB115_70:
	s_or_b32 exec_lo, exec_lo, s1
	ds_store_b64 v187, v[2:3]
.LBB115_71:
	s_or_b32 exec_lo, exec_lo, s2
	s_wait_dscnt 0x0
	s_barrier_signal -1
	s_barrier_wait -1
	ds_load_b64 v[0:1], v187
	s_mov_b32 s1, exec_lo
	s_wait_dscnt 0x0
	scratch_store_b64 off, v[0:1], off offset:384 ; 8-byte Folded Spill
	s_wait_xcnt 0x0
	v_cmpx_lt_u32_e32 7, v186
	s_cbranch_execz .LBB115_73
; %bb.72:
	scratch_load_b64 v[4:5], off, off offset:384 ; 8-byte Folded Reload
	s_wait_loadcnt 0x0
	v_pk_mul_f32 v[2:3], v[4:5], v[20:21] op_sel:[1,1] op_sel_hi:[0,1]
	s_delay_alu instid0(VALU_DEP_1)
	v_pk_fma_f32 v[0:1], v[4:5], v[20:21], v[2:3] op_sel_hi:[1,0,1] neg_lo:[0,0,1] neg_hi:[0,0,1]
	v_pk_fma_f32 v[2:3], v[4:5], v[20:21], v[2:3] op_sel_hi:[1,0,1]
	ds_load_2addr_b64 v[4:7], v196 offset0:8 offset1:9
	v_dual_mov_b32 v20, v0 :: v_dual_mov_b32 v21, v3
	s_wait_dscnt 0x0
	v_pk_mul_f32 v[8:9], v[4:5], v[2:3] op_sel:[0,1]
	s_delay_alu instid0(VALU_DEP_1) | instskip(SKIP_1) | instid1(VALU_DEP_1)
	v_pk_fma_f32 v[10:11], v[4:5], v[0:1], v[8:9] op_sel:[0,0,1] op_sel_hi:[1,1,0] neg_lo:[0,0,1] neg_hi:[0,0,1]
	v_pk_fma_f32 v[4:5], v[4:5], v[0:1], v[8:9] op_sel:[0,0,1] op_sel_hi:[1,0,0]
	v_mov_b32_e32 v11, v5
	v_pk_mul_f32 v[4:5], v[6:7], v[2:3] op_sel:[0,1]
	s_delay_alu instid0(VALU_DEP_1) | instskip(SKIP_1) | instid1(VALU_DEP_1)
	v_pk_fma_f32 v[8:9], v[6:7], v[0:1], v[4:5] op_sel:[0,0,1] op_sel_hi:[1,1,0] neg_lo:[0,0,1] neg_hi:[0,0,1]
	v_pk_fma_f32 v[4:5], v[6:7], v[0:1], v[4:5] op_sel:[0,0,1] op_sel_hi:[1,0,0]
	v_mov_b32_e32 v9, v5
	ds_load_2addr_b64 v[4:7], v196 offset0:10 offset1:11
	v_pk_add_f32 v[40:41], v[40:41], v[10:11] neg_lo:[0,1] neg_hi:[0,1]
	v_pk_add_f32 v[36:37], v[36:37], v[8:9] neg_lo:[0,1] neg_hi:[0,1]
	s_wait_dscnt 0x0
	v_pk_mul_f32 v[8:9], v[4:5], v[2:3] op_sel:[0,1]
	s_delay_alu instid0(VALU_DEP_1) | instskip(SKIP_2) | instid1(VALU_DEP_2)
	v_pk_fma_f32 v[10:11], v[4:5], v[0:1], v[8:9] op_sel:[0,0,1] op_sel_hi:[1,1,0] neg_lo:[0,0,1] neg_hi:[0,0,1]
	v_pk_fma_f32 v[4:5], v[4:5], v[0:1], v[8:9] op_sel:[0,0,1] op_sel_hi:[1,0,0]
	v_dual_mul_f32 v8, v7, v3 :: v_dual_mov_b32 v4, v7
	v_dual_mov_b32 v11, v5 :: v_dual_mov_b32 v5, v6
	s_delay_alu instid0(VALU_DEP_2) | instskip(SKIP_1) | instid1(VALU_DEP_3)
	v_pk_fma_f32 v[8:9], v[6:7], v[20:21], v[8:9] op_sel_hi:[1,1,0] neg_lo:[0,0,1] neg_hi:[0,0,1]
	v_mul_f32_e32 v6, v7, v0
	v_pk_add_f32 v[38:39], v[38:39], v[10:11] neg_lo:[0,1] neg_hi:[0,1]
	s_delay_alu instid0(VALU_DEP_2) | instskip(NEXT) | instid1(VALU_DEP_1)
	v_pk_fma_f32 v[4:5], v[4:5], v[20:21], v[6:7] op_sel_hi:[1,1,0]
	v_mov_b32_e32 v9, v5
	ds_load_2addr_b64 v[4:7], v196 offset0:12 offset1:13
	v_pk_add_f32 v[34:35], v[34:35], v[8:9] neg_lo:[0,1] neg_hi:[0,1]
	s_wait_dscnt 0x0
	v_pk_mul_f32 v[8:9], v[4:5], v[2:3] op_sel:[0,1]
	s_delay_alu instid0(VALU_DEP_1) | instskip(SKIP_1) | instid1(VALU_DEP_1)
	v_pk_fma_f32 v[10:11], v[4:5], v[0:1], v[8:9] op_sel:[0,0,1] op_sel_hi:[1,1,0] neg_lo:[0,0,1] neg_hi:[0,0,1]
	v_pk_fma_f32 v[4:5], v[4:5], v[0:1], v[8:9] op_sel:[0,0,1] op_sel_hi:[1,0,0]
	v_mov_b32_e32 v11, v5
	v_pk_mul_f32 v[4:5], v[6:7], v[2:3] op_sel:[0,1]
	s_delay_alu instid0(VALU_DEP_1) | instskip(SKIP_1) | instid1(VALU_DEP_1)
	v_pk_fma_f32 v[8:9], v[6:7], v[0:1], v[4:5] op_sel:[0,0,1] op_sel_hi:[1,1,0] neg_lo:[0,0,1] neg_hi:[0,0,1]
	v_pk_fma_f32 v[4:5], v[6:7], v[0:1], v[4:5] op_sel:[0,0,1] op_sel_hi:[1,0,0]
	v_mov_b32_e32 v9, v5
	ds_load_2addr_b64 v[4:7], v196 offset0:14 offset1:15
	v_pk_add_f32 v[64:65], v[64:65], v[10:11] neg_lo:[0,1] neg_hi:[0,1]
	v_pk_add_f32 v[60:61], v[60:61], v[8:9] neg_lo:[0,1] neg_hi:[0,1]
	s_wait_dscnt 0x0
	v_pk_mul_f32 v[8:9], v[4:5], v[2:3] op_sel:[0,1]
	s_delay_alu instid0(VALU_DEP_1) | instskip(SKIP_1) | instid1(VALU_DEP_1)
	v_pk_fma_f32 v[10:11], v[4:5], v[0:1], v[8:9] op_sel:[0,0,1] op_sel_hi:[1,1,0] neg_lo:[0,0,1] neg_hi:[0,0,1]
	v_pk_fma_f32 v[4:5], v[4:5], v[0:1], v[8:9] op_sel:[0,0,1] op_sel_hi:[1,0,0]
	v_mov_b32_e32 v11, v5
	v_pk_mul_f32 v[4:5], v[6:7], v[2:3] op_sel:[0,1]
	s_delay_alu instid0(VALU_DEP_1) | instskip(SKIP_1) | instid1(VALU_DEP_1)
	v_pk_fma_f32 v[8:9], v[6:7], v[0:1], v[4:5] op_sel:[0,0,1] op_sel_hi:[1,1,0] neg_lo:[0,0,1] neg_hi:[0,0,1]
	v_pk_fma_f32 v[4:5], v[6:7], v[0:1], v[4:5] op_sel:[0,0,1] op_sel_hi:[1,0,0]
	v_mov_b32_e32 v9, v5
	ds_load_2addr_b64 v[4:7], v196 offset0:16 offset1:17
	v_pk_add_f32 v[62:63], v[62:63], v[10:11] neg_lo:[0,1] neg_hi:[0,1]
	v_pk_add_f32 v[58:59], v[58:59], v[8:9] neg_lo:[0,1] neg_hi:[0,1]
	s_wait_dscnt 0x0
	v_dual_mul_f32 v8, v5, v3 :: v_dual_mul_f32 v10, v5, v0
	s_delay_alu instid0(VALU_DEP_1) | instskip(NEXT) | instid1(VALU_DEP_2)
	v_pk_fma_f32 v[8:9], v[4:5], v[20:21], v[8:9] op_sel_hi:[1,1,0] neg_lo:[0,0,1] neg_hi:[0,0,1]
	v_pk_fma_f32 v[4:5], v[4:5], v[20:21], v[10:11] op_sel:[1,0,0] op_sel_hi:[0,1,0]
	s_delay_alu instid0(VALU_DEP_1) | instskip(SKIP_1) | instid1(VALU_DEP_2)
	v_mov_b32_e32 v9, v5
	v_pk_mul_f32 v[4:5], v[6:7], v[2:3] op_sel:[0,1]
	v_pk_add_f32 v[82:83], v[82:83], v[8:9] neg_lo:[0,1] neg_hi:[0,1]
	s_delay_alu instid0(VALU_DEP_2) | instskip(SKIP_1) | instid1(VALU_DEP_1)
	v_pk_fma_f32 v[8:9], v[6:7], v[0:1], v[4:5] op_sel:[0,0,1] op_sel_hi:[1,1,0] neg_lo:[0,0,1] neg_hi:[0,0,1]
	v_pk_fma_f32 v[4:5], v[6:7], v[0:1], v[4:5] op_sel:[0,0,1] op_sel_hi:[1,0,0]
	v_mov_b32_e32 v9, v5
	ds_load_2addr_b64 v[4:7], v196 offset0:18 offset1:19
	v_pk_add_f32 v[78:79], v[78:79], v[8:9] neg_lo:[0,1] neg_hi:[0,1]
	s_wait_dscnt 0x0
	v_pk_mul_f32 v[8:9], v[4:5], v[2:3] op_sel:[0,1]
	s_delay_alu instid0(VALU_DEP_1) | instskip(SKIP_1) | instid1(VALU_DEP_1)
	v_pk_fma_f32 v[10:11], v[4:5], v[0:1], v[8:9] op_sel:[0,0,1] op_sel_hi:[1,1,0] neg_lo:[0,0,1] neg_hi:[0,0,1]
	v_pk_fma_f32 v[4:5], v[4:5], v[0:1], v[8:9] op_sel:[0,0,1] op_sel_hi:[1,0,0]
	v_mov_b32_e32 v11, v5
	v_pk_mul_f32 v[4:5], v[6:7], v[2:3] op_sel:[0,1]
	s_delay_alu instid0(VALU_DEP_2) | instskip(NEXT) | instid1(VALU_DEP_2)
	v_pk_add_f32 v[80:81], v[80:81], v[10:11] neg_lo:[0,1] neg_hi:[0,1]
	v_pk_fma_f32 v[8:9], v[6:7], v[0:1], v[4:5] op_sel:[0,0,1] op_sel_hi:[1,1,0] neg_lo:[0,0,1] neg_hi:[0,0,1]
	v_pk_fma_f32 v[4:5], v[6:7], v[0:1], v[4:5] op_sel:[0,0,1] op_sel_hi:[1,0,0]
	s_delay_alu instid0(VALU_DEP_1) | instskip(SKIP_4) | instid1(VALU_DEP_1)
	v_mov_b32_e32 v9, v5
	ds_load_2addr_b64 v[4:7], v196 offset0:20 offset1:21
	v_pk_add_f32 v[76:77], v[76:77], v[8:9] neg_lo:[0,1] neg_hi:[0,1]
	s_wait_dscnt 0x0
	v_pk_mul_f32 v[8:9], v[4:5], v[2:3] op_sel:[0,1]
	v_pk_fma_f32 v[10:11], v[4:5], v[0:1], v[8:9] op_sel:[0,0,1] op_sel_hi:[1,1,0] neg_lo:[0,0,1] neg_hi:[0,0,1]
	v_pk_fma_f32 v[4:5], v[4:5], v[0:1], v[8:9] op_sel:[0,0,1] op_sel_hi:[1,0,0]
	v_dual_mul_f32 v8, v7, v3 :: v_dual_mov_b32 v4, v7
	s_delay_alu instid0(VALU_DEP_2) | instskip(NEXT) | instid1(VALU_DEP_2)
	v_dual_mov_b32 v11, v5 :: v_dual_mov_b32 v5, v6
	v_pk_fma_f32 v[8:9], v[6:7], v[20:21], v[8:9] op_sel_hi:[1,1,0] neg_lo:[0,0,1] neg_hi:[0,0,1]
	v_mul_f32_e32 v6, v7, v0
	s_delay_alu instid0(VALU_DEP_3) | instskip(NEXT) | instid1(VALU_DEP_2)
	v_pk_add_f32 v[98:99], v[98:99], v[10:11] neg_lo:[0,1] neg_hi:[0,1]
	v_pk_fma_f32 v[4:5], v[4:5], v[20:21], v[6:7] op_sel_hi:[1,1,0]
	s_delay_alu instid0(VALU_DEP_1) | instskip(SKIP_4) | instid1(VALU_DEP_1)
	v_mov_b32_e32 v9, v5
	ds_load_2addr_b64 v[4:7], v196 offset0:22 offset1:23
	v_pk_add_f32 v[94:95], v[94:95], v[8:9] neg_lo:[0,1] neg_hi:[0,1]
	s_wait_dscnt 0x0
	v_pk_mul_f32 v[8:9], v[4:5], v[2:3] op_sel:[0,1]
	v_pk_fma_f32 v[10:11], v[4:5], v[0:1], v[8:9] op_sel:[0,0,1] op_sel_hi:[1,1,0] neg_lo:[0,0,1] neg_hi:[0,0,1]
	v_pk_fma_f32 v[4:5], v[4:5], v[0:1], v[8:9] op_sel:[0,0,1] op_sel_hi:[1,0,0]
	s_delay_alu instid0(VALU_DEP_1) | instskip(SKIP_1) | instid1(VALU_DEP_1)
	v_mov_b32_e32 v11, v5
	v_pk_mul_f32 v[4:5], v[6:7], v[2:3] op_sel:[0,1]
	v_pk_fma_f32 v[8:9], v[6:7], v[0:1], v[4:5] op_sel:[0,0,1] op_sel_hi:[1,1,0] neg_lo:[0,0,1] neg_hi:[0,0,1]
	v_pk_fma_f32 v[4:5], v[6:7], v[0:1], v[4:5] op_sel:[0,0,1] op_sel_hi:[1,0,0]
	s_delay_alu instid0(VALU_DEP_1)
	v_mov_b32_e32 v9, v5
	ds_load_2addr_b64 v[4:7], v196 offset0:24 offset1:25
	v_pk_add_f32 v[96:97], v[96:97], v[10:11] neg_lo:[0,1] neg_hi:[0,1]
	v_pk_add_f32 v[92:93], v[92:93], v[8:9] neg_lo:[0,1] neg_hi:[0,1]
	s_wait_dscnt 0x0
	v_pk_mul_f32 v[8:9], v[4:5], v[2:3] op_sel:[0,1]
	s_delay_alu instid0(VALU_DEP_1) | instskip(SKIP_1) | instid1(VALU_DEP_1)
	v_pk_fma_f32 v[10:11], v[4:5], v[0:1], v[8:9] op_sel:[0,0,1] op_sel_hi:[1,1,0] neg_lo:[0,0,1] neg_hi:[0,0,1]
	v_pk_fma_f32 v[4:5], v[4:5], v[0:1], v[8:9] op_sel:[0,0,1] op_sel_hi:[1,0,0]
	v_mov_b32_e32 v11, v5
	v_pk_mul_f32 v[4:5], v[6:7], v[2:3] op_sel:[0,1]
	s_delay_alu instid0(VALU_DEP_1) | instskip(SKIP_1) | instid1(VALU_DEP_1)
	v_pk_fma_f32 v[8:9], v[6:7], v[0:1], v[4:5] op_sel:[0,0,1] op_sel_hi:[1,1,0] neg_lo:[0,0,1] neg_hi:[0,0,1]
	v_pk_fma_f32 v[4:5], v[6:7], v[0:1], v[4:5] op_sel:[0,0,1] op_sel_hi:[1,0,0]
	v_mov_b32_e32 v9, v5
	ds_load_2addr_b64 v[4:7], v196 offset0:26 offset1:27
	v_pk_add_f32 v[114:115], v[114:115], v[10:11] neg_lo:[0,1] neg_hi:[0,1]
	v_pk_add_f32 v[110:111], v[110:111], v[8:9] neg_lo:[0,1] neg_hi:[0,1]
	s_wait_dscnt 0x0
	v_dual_mul_f32 v8, v5, v3 :: v_dual_mul_f32 v10, v5, v0
	s_delay_alu instid0(VALU_DEP_1) | instskip(NEXT) | instid1(VALU_DEP_2)
	v_pk_fma_f32 v[8:9], v[4:5], v[20:21], v[8:9] op_sel_hi:[1,1,0] neg_lo:[0,0,1] neg_hi:[0,0,1]
	v_pk_fma_f32 v[4:5], v[4:5], v[20:21], v[10:11] op_sel:[1,0,0] op_sel_hi:[0,1,0]
	s_delay_alu instid0(VALU_DEP_1) | instskip(SKIP_1) | instid1(VALU_DEP_2)
	v_mov_b32_e32 v9, v5
	v_pk_mul_f32 v[4:5], v[6:7], v[2:3] op_sel:[0,1]
	v_pk_add_f32 v[112:113], v[112:113], v[8:9] neg_lo:[0,1] neg_hi:[0,1]
	s_delay_alu instid0(VALU_DEP_2) | instskip(SKIP_1) | instid1(VALU_DEP_1)
	v_pk_fma_f32 v[8:9], v[6:7], v[0:1], v[4:5] op_sel:[0,0,1] op_sel_hi:[1,1,0] neg_lo:[0,0,1] neg_hi:[0,0,1]
	v_pk_fma_f32 v[4:5], v[6:7], v[0:1], v[4:5] op_sel:[0,0,1] op_sel_hi:[1,0,0]
	v_mov_b32_e32 v9, v5
	ds_load_2addr_b64 v[4:7], v196 offset0:28 offset1:29
	v_pk_add_f32 v[108:109], v[108:109], v[8:9] neg_lo:[0,1] neg_hi:[0,1]
	s_wait_dscnt 0x0
	v_pk_mul_f32 v[8:9], v[4:5], v[2:3] op_sel:[0,1]
	s_delay_alu instid0(VALU_DEP_1) | instskip(SKIP_1) | instid1(VALU_DEP_1)
	v_pk_fma_f32 v[10:11], v[4:5], v[0:1], v[8:9] op_sel:[0,0,1] op_sel_hi:[1,1,0] neg_lo:[0,0,1] neg_hi:[0,0,1]
	v_pk_fma_f32 v[4:5], v[4:5], v[0:1], v[8:9] op_sel:[0,0,1] op_sel_hi:[1,0,0]
	v_mov_b32_e32 v11, v5
	v_pk_mul_f32 v[4:5], v[6:7], v[2:3] op_sel:[0,1]
	s_delay_alu instid0(VALU_DEP_2) | instskip(NEXT) | instid1(VALU_DEP_2)
	v_pk_add_f32 v[130:131], v[130:131], v[10:11] neg_lo:[0,1] neg_hi:[0,1]
	v_pk_fma_f32 v[8:9], v[6:7], v[0:1], v[4:5] op_sel:[0,0,1] op_sel_hi:[1,1,0] neg_lo:[0,0,1] neg_hi:[0,0,1]
	v_pk_fma_f32 v[4:5], v[6:7], v[0:1], v[4:5] op_sel:[0,0,1] op_sel_hi:[1,0,0]
	s_delay_alu instid0(VALU_DEP_1) | instskip(SKIP_4) | instid1(VALU_DEP_1)
	v_mov_b32_e32 v9, v5
	ds_load_2addr_b64 v[4:7], v196 offset0:30 offset1:31
	v_pk_add_f32 v[126:127], v[126:127], v[8:9] neg_lo:[0,1] neg_hi:[0,1]
	s_wait_dscnt 0x0
	v_pk_mul_f32 v[8:9], v[4:5], v[2:3] op_sel:[0,1]
	v_pk_fma_f32 v[10:11], v[4:5], v[0:1], v[8:9] op_sel:[0,0,1] op_sel_hi:[1,1,0] neg_lo:[0,0,1] neg_hi:[0,0,1]
	v_pk_fma_f32 v[4:5], v[4:5], v[0:1], v[8:9] op_sel:[0,0,1] op_sel_hi:[1,0,0]
	v_dual_mul_f32 v8, v7, v3 :: v_dual_mov_b32 v4, v7
	s_delay_alu instid0(VALU_DEP_2) | instskip(NEXT) | instid1(VALU_DEP_2)
	v_dual_mov_b32 v11, v5 :: v_dual_mov_b32 v5, v6
	v_pk_fma_f32 v[8:9], v[6:7], v[20:21], v[8:9] op_sel_hi:[1,1,0] neg_lo:[0,0,1] neg_hi:[0,0,1]
	v_mul_f32_e32 v6, v7, v0
	s_delay_alu instid0(VALU_DEP_3) | instskip(NEXT) | instid1(VALU_DEP_2)
	v_pk_add_f32 v[128:129], v[128:129], v[10:11] neg_lo:[0,1] neg_hi:[0,1]
	v_pk_fma_f32 v[4:5], v[4:5], v[20:21], v[6:7] op_sel_hi:[1,1,0]
	s_delay_alu instid0(VALU_DEP_1) | instskip(SKIP_4) | instid1(VALU_DEP_1)
	v_mov_b32_e32 v9, v5
	ds_load_2addr_b64 v[4:7], v196 offset0:32 offset1:33
	v_pk_add_f32 v[124:125], v[124:125], v[8:9] neg_lo:[0,1] neg_hi:[0,1]
	s_wait_dscnt 0x0
	v_pk_mul_f32 v[8:9], v[4:5], v[2:3] op_sel:[0,1]
	v_pk_fma_f32 v[10:11], v[4:5], v[0:1], v[8:9] op_sel:[0,0,1] op_sel_hi:[1,1,0] neg_lo:[0,0,1] neg_hi:[0,0,1]
	v_pk_fma_f32 v[4:5], v[4:5], v[0:1], v[8:9] op_sel:[0,0,1] op_sel_hi:[1,0,0]
	s_delay_alu instid0(VALU_DEP_1) | instskip(SKIP_1) | instid1(VALU_DEP_1)
	v_mov_b32_e32 v11, v5
	v_pk_mul_f32 v[4:5], v[6:7], v[2:3] op_sel:[0,1]
	v_pk_fma_f32 v[8:9], v[6:7], v[0:1], v[4:5] op_sel:[0,0,1] op_sel_hi:[1,1,0] neg_lo:[0,0,1] neg_hi:[0,0,1]
	v_pk_fma_f32 v[4:5], v[6:7], v[0:1], v[4:5] op_sel:[0,0,1] op_sel_hi:[1,0,0]
	s_delay_alu instid0(VALU_DEP_1)
	v_mov_b32_e32 v9, v5
	ds_load_2addr_b64 v[4:7], v196 offset0:34 offset1:35
	v_pk_add_f32 v[146:147], v[146:147], v[10:11] neg_lo:[0,1] neg_hi:[0,1]
	v_pk_add_f32 v[142:143], v[142:143], v[8:9] neg_lo:[0,1] neg_hi:[0,1]
	s_wait_dscnt 0x0
	v_pk_mul_f32 v[8:9], v[4:5], v[2:3] op_sel:[0,1]
	s_delay_alu instid0(VALU_DEP_1) | instskip(SKIP_1) | instid1(VALU_DEP_1)
	v_pk_fma_f32 v[10:11], v[4:5], v[0:1], v[8:9] op_sel:[0,0,1] op_sel_hi:[1,1,0] neg_lo:[0,0,1] neg_hi:[0,0,1]
	v_pk_fma_f32 v[4:5], v[4:5], v[0:1], v[8:9] op_sel:[0,0,1] op_sel_hi:[1,0,0]
	v_mov_b32_e32 v11, v5
	v_pk_mul_f32 v[4:5], v[6:7], v[2:3] op_sel:[0,1]
	s_delay_alu instid0(VALU_DEP_1) | instskip(SKIP_1) | instid1(VALU_DEP_1)
	v_pk_fma_f32 v[8:9], v[6:7], v[0:1], v[4:5] op_sel:[0,0,1] op_sel_hi:[1,1,0] neg_lo:[0,0,1] neg_hi:[0,0,1]
	v_pk_fma_f32 v[4:5], v[6:7], v[0:1], v[4:5] op_sel:[0,0,1] op_sel_hi:[1,0,0]
	v_mov_b32_e32 v9, v5
	ds_load_2addr_b64 v[4:7], v196 offset0:36 offset1:37
	v_pk_add_f32 v[144:145], v[144:145], v[10:11] neg_lo:[0,1] neg_hi:[0,1]
	v_pk_add_f32 v[140:141], v[140:141], v[8:9] neg_lo:[0,1] neg_hi:[0,1]
	s_wait_dscnt 0x0
	v_dual_mul_f32 v8, v5, v3 :: v_dual_mul_f32 v10, v5, v0
	s_delay_alu instid0(VALU_DEP_1) | instskip(NEXT) | instid1(VALU_DEP_2)
	v_pk_fma_f32 v[8:9], v[4:5], v[20:21], v[8:9] op_sel_hi:[1,1,0] neg_lo:[0,0,1] neg_hi:[0,0,1]
	v_pk_fma_f32 v[4:5], v[4:5], v[20:21], v[10:11] op_sel:[1,0,0] op_sel_hi:[0,1,0]
	s_delay_alu instid0(VALU_DEP_1) | instskip(SKIP_1) | instid1(VALU_DEP_2)
	v_mov_b32_e32 v9, v5
	v_pk_mul_f32 v[4:5], v[6:7], v[2:3] op_sel:[0,1]
	v_pk_add_f32 v[162:163], v[162:163], v[8:9] neg_lo:[0,1] neg_hi:[0,1]
	s_delay_alu instid0(VALU_DEP_2) | instskip(SKIP_1) | instid1(VALU_DEP_1)
	v_pk_fma_f32 v[8:9], v[6:7], v[0:1], v[4:5] op_sel:[0,0,1] op_sel_hi:[1,1,0] neg_lo:[0,0,1] neg_hi:[0,0,1]
	v_pk_fma_f32 v[4:5], v[6:7], v[0:1], v[4:5] op_sel:[0,0,1] op_sel_hi:[1,0,0]
	v_mov_b32_e32 v9, v5
	ds_load_2addr_b64 v[4:7], v196 offset0:38 offset1:39
	v_pk_add_f32 v[158:159], v[158:159], v[8:9] neg_lo:[0,1] neg_hi:[0,1]
	s_wait_dscnt 0x0
	v_pk_mul_f32 v[8:9], v[4:5], v[2:3] op_sel:[0,1]
	s_delay_alu instid0(VALU_DEP_1) | instskip(SKIP_1) | instid1(VALU_DEP_1)
	v_pk_fma_f32 v[10:11], v[4:5], v[0:1], v[8:9] op_sel:[0,0,1] op_sel_hi:[1,1,0] neg_lo:[0,0,1] neg_hi:[0,0,1]
	v_pk_fma_f32 v[4:5], v[4:5], v[0:1], v[8:9] op_sel:[0,0,1] op_sel_hi:[1,0,0]
	v_mov_b32_e32 v11, v5
	v_pk_mul_f32 v[4:5], v[6:7], v[2:3] op_sel:[0,1]
	s_delay_alu instid0(VALU_DEP_2) | instskip(NEXT) | instid1(VALU_DEP_2)
	v_pk_add_f32 v[160:161], v[160:161], v[10:11] neg_lo:[0,1] neg_hi:[0,1]
	v_pk_fma_f32 v[8:9], v[6:7], v[0:1], v[4:5] op_sel:[0,0,1] op_sel_hi:[1,1,0] neg_lo:[0,0,1] neg_hi:[0,0,1]
	v_pk_fma_f32 v[4:5], v[6:7], v[0:1], v[4:5] op_sel:[0,0,1] op_sel_hi:[1,0,0]
	s_delay_alu instid0(VALU_DEP_1) | instskip(SKIP_4) | instid1(VALU_DEP_1)
	v_mov_b32_e32 v9, v5
	ds_load_2addr_b64 v[4:7], v196 offset0:40 offset1:41
	v_pk_add_f32 v[156:157], v[156:157], v[8:9] neg_lo:[0,1] neg_hi:[0,1]
	s_wait_dscnt 0x0
	v_pk_mul_f32 v[8:9], v[4:5], v[2:3] op_sel:[0,1]
	v_pk_fma_f32 v[10:11], v[4:5], v[0:1], v[8:9] op_sel:[0,0,1] op_sel_hi:[1,1,0] neg_lo:[0,0,1] neg_hi:[0,0,1]
	v_pk_fma_f32 v[4:5], v[4:5], v[0:1], v[8:9] op_sel:[0,0,1] op_sel_hi:[1,0,0]
	v_dual_mul_f32 v8, v7, v3 :: v_dual_mov_b32 v4, v7
	s_delay_alu instid0(VALU_DEP_2) | instskip(NEXT) | instid1(VALU_DEP_2)
	v_dual_mov_b32 v11, v5 :: v_dual_mov_b32 v5, v6
	v_pk_fma_f32 v[8:9], v[6:7], v[20:21], v[8:9] op_sel_hi:[1,1,0] neg_lo:[0,0,1] neg_hi:[0,0,1]
	v_mul_f32_e32 v6, v7, v0
	s_delay_alu instid0(VALU_DEP_3) | instskip(NEXT) | instid1(VALU_DEP_2)
	v_pk_add_f32 v[178:179], v[178:179], v[10:11] neg_lo:[0,1] neg_hi:[0,1]
	v_pk_fma_f32 v[4:5], v[4:5], v[20:21], v[6:7] op_sel_hi:[1,1,0]
	s_delay_alu instid0(VALU_DEP_1) | instskip(SKIP_4) | instid1(VALU_DEP_1)
	v_mov_b32_e32 v9, v5
	ds_load_2addr_b64 v[4:7], v196 offset0:42 offset1:43
	v_pk_add_f32 v[174:175], v[174:175], v[8:9] neg_lo:[0,1] neg_hi:[0,1]
	s_wait_dscnt 0x0
	v_pk_mul_f32 v[8:9], v[4:5], v[2:3] op_sel:[0,1]
	v_pk_fma_f32 v[10:11], v[4:5], v[0:1], v[8:9] op_sel:[0,0,1] op_sel_hi:[1,1,0] neg_lo:[0,0,1] neg_hi:[0,0,1]
	v_pk_fma_f32 v[4:5], v[4:5], v[0:1], v[8:9] op_sel:[0,0,1] op_sel_hi:[1,0,0]
	s_delay_alu instid0(VALU_DEP_1) | instskip(SKIP_1) | instid1(VALU_DEP_1)
	v_mov_b32_e32 v11, v5
	v_pk_mul_f32 v[4:5], v[6:7], v[2:3] op_sel:[0,1]
	v_pk_fma_f32 v[8:9], v[6:7], v[0:1], v[4:5] op_sel:[0,0,1] op_sel_hi:[1,1,0] neg_lo:[0,0,1] neg_hi:[0,0,1]
	v_pk_fma_f32 v[4:5], v[6:7], v[0:1], v[4:5] op_sel:[0,0,1] op_sel_hi:[1,0,0]
	s_delay_alu instid0(VALU_DEP_1)
	v_mov_b32_e32 v9, v5
	ds_load_2addr_b64 v[4:7], v196 offset0:44 offset1:45
	v_pk_add_f32 v[176:177], v[176:177], v[10:11] neg_lo:[0,1] neg_hi:[0,1]
	v_pk_add_f32 v[172:173], v[172:173], v[8:9] neg_lo:[0,1] neg_hi:[0,1]
	s_wait_dscnt 0x0
	v_pk_mul_f32 v[8:9], v[4:5], v[2:3] op_sel:[0,1]
	s_delay_alu instid0(VALU_DEP_1) | instskip(SKIP_1) | instid1(VALU_DEP_1)
	v_pk_fma_f32 v[10:11], v[4:5], v[0:1], v[8:9] op_sel:[0,0,1] op_sel_hi:[1,1,0] neg_lo:[0,0,1] neg_hi:[0,0,1]
	v_pk_fma_f32 v[4:5], v[4:5], v[0:1], v[8:9] op_sel:[0,0,1] op_sel_hi:[1,0,0]
	v_mov_b32_e32 v11, v5
	v_pk_mul_f32 v[4:5], v[6:7], v[2:3] op_sel:[0,1]
	s_delay_alu instid0(VALU_DEP_1) | instskip(SKIP_1) | instid1(VALU_DEP_1)
	v_pk_fma_f32 v[8:9], v[6:7], v[0:1], v[4:5] op_sel:[0,0,1] op_sel_hi:[1,1,0] neg_lo:[0,0,1] neg_hi:[0,0,1]
	v_pk_fma_f32 v[4:5], v[6:7], v[0:1], v[4:5] op_sel:[0,0,1] op_sel_hi:[1,0,0]
	v_mov_b32_e32 v9, v5
	ds_load_2addr_b64 v[4:7], v196 offset0:46 offset1:47
	v_pk_add_f32 v[194:195], v[194:195], v[10:11] neg_lo:[0,1] neg_hi:[0,1]
	v_pk_add_f32 v[190:191], v[190:191], v[8:9] neg_lo:[0,1] neg_hi:[0,1]
	s_wait_dscnt 0x0
	v_dual_mul_f32 v8, v5, v3 :: v_dual_mul_f32 v10, v5, v0
	s_delay_alu instid0(VALU_DEP_1) | instskip(NEXT) | instid1(VALU_DEP_2)
	v_pk_fma_f32 v[8:9], v[4:5], v[20:21], v[8:9] op_sel_hi:[1,1,0] neg_lo:[0,0,1] neg_hi:[0,0,1]
	v_pk_fma_f32 v[4:5], v[4:5], v[20:21], v[10:11] op_sel:[1,0,0] op_sel_hi:[0,1,0]
	s_delay_alu instid0(VALU_DEP_1) | instskip(SKIP_1) | instid1(VALU_DEP_2)
	v_mov_b32_e32 v9, v5
	v_pk_mul_f32 v[4:5], v[6:7], v[2:3] op_sel:[0,1]
	v_pk_add_f32 v[192:193], v[192:193], v[8:9] neg_lo:[0,1] neg_hi:[0,1]
	s_delay_alu instid0(VALU_DEP_2) | instskip(SKIP_1) | instid1(VALU_DEP_1)
	v_pk_fma_f32 v[8:9], v[6:7], v[0:1], v[4:5] op_sel:[0,0,1] op_sel_hi:[1,1,0] neg_lo:[0,0,1] neg_hi:[0,0,1]
	v_pk_fma_f32 v[4:5], v[6:7], v[0:1], v[4:5] op_sel:[0,0,1] op_sel_hi:[1,0,0]
	v_mov_b32_e32 v9, v5
	ds_load_2addr_b64 v[4:7], v196 offset0:48 offset1:49
	v_pk_add_f32 v[188:189], v[188:189], v[8:9] neg_lo:[0,1] neg_hi:[0,1]
	s_wait_dscnt 0x0
	v_pk_mul_f32 v[8:9], v[4:5], v[2:3] op_sel:[0,1]
	s_delay_alu instid0(VALU_DEP_1) | instskip(SKIP_1) | instid1(VALU_DEP_1)
	v_pk_fma_f32 v[10:11], v[4:5], v[0:1], v[8:9] op_sel:[0,0,1] op_sel_hi:[1,1,0] neg_lo:[0,0,1] neg_hi:[0,0,1]
	v_pk_fma_f32 v[4:5], v[4:5], v[0:1], v[8:9] op_sel:[0,0,1] op_sel_hi:[1,0,0]
	v_mov_b32_e32 v11, v5
	v_pk_mul_f32 v[4:5], v[6:7], v[2:3] op_sel:[0,1]
	s_delay_alu instid0(VALU_DEP_2) | instskip(NEXT) | instid1(VALU_DEP_2)
	v_pk_add_f32 v[212:213], v[212:213], v[10:11] neg_lo:[0,1] neg_hi:[0,1]
	v_pk_fma_f32 v[8:9], v[6:7], v[0:1], v[4:5] op_sel:[0,0,1] op_sel_hi:[1,1,0] neg_lo:[0,0,1] neg_hi:[0,0,1]
	v_pk_fma_f32 v[4:5], v[6:7], v[0:1], v[4:5] op_sel:[0,0,1] op_sel_hi:[1,0,0]
	s_delay_alu instid0(VALU_DEP_1) | instskip(SKIP_4) | instid1(VALU_DEP_1)
	v_mov_b32_e32 v9, v5
	ds_load_2addr_b64 v[4:7], v196 offset0:50 offset1:51
	v_pk_add_f32 v[208:209], v[208:209], v[8:9] neg_lo:[0,1] neg_hi:[0,1]
	s_wait_dscnt 0x0
	v_pk_mul_f32 v[8:9], v[4:5], v[2:3] op_sel:[0,1]
	v_pk_fma_f32 v[10:11], v[4:5], v[0:1], v[8:9] op_sel:[0,0,1] op_sel_hi:[1,1,0] neg_lo:[0,0,1] neg_hi:[0,0,1]
	v_pk_fma_f32 v[4:5], v[4:5], v[0:1], v[8:9] op_sel:[0,0,1] op_sel_hi:[1,0,0]
	v_dual_mul_f32 v8, v7, v3 :: v_dual_mov_b32 v4, v7
	s_delay_alu instid0(VALU_DEP_2) | instskip(NEXT) | instid1(VALU_DEP_2)
	v_dual_mov_b32 v11, v5 :: v_dual_mov_b32 v5, v6
	v_pk_fma_f32 v[8:9], v[6:7], v[20:21], v[8:9] op_sel_hi:[1,1,0] neg_lo:[0,0,1] neg_hi:[0,0,1]
	v_mul_f32_e32 v6, v7, v0
	s_delay_alu instid0(VALU_DEP_3) | instskip(NEXT) | instid1(VALU_DEP_2)
	v_pk_add_f32 v[210:211], v[210:211], v[10:11] neg_lo:[0,1] neg_hi:[0,1]
	v_pk_fma_f32 v[4:5], v[4:5], v[20:21], v[6:7] op_sel_hi:[1,1,0]
	s_delay_alu instid0(VALU_DEP_1) | instskip(SKIP_4) | instid1(VALU_DEP_1)
	v_mov_b32_e32 v9, v5
	ds_load_2addr_b64 v[4:7], v196 offset0:52 offset1:53
	v_pk_add_f32 v[206:207], v[206:207], v[8:9] neg_lo:[0,1] neg_hi:[0,1]
	s_wait_dscnt 0x0
	v_pk_mul_f32 v[8:9], v[4:5], v[2:3] op_sel:[0,1]
	v_pk_fma_f32 v[10:11], v[4:5], v[0:1], v[8:9] op_sel:[0,0,1] op_sel_hi:[1,1,0] neg_lo:[0,0,1] neg_hi:[0,0,1]
	v_pk_fma_f32 v[4:5], v[4:5], v[0:1], v[8:9] op_sel:[0,0,1] op_sel_hi:[1,0,0]
	s_delay_alu instid0(VALU_DEP_1) | instskip(SKIP_1) | instid1(VALU_DEP_1)
	v_mov_b32_e32 v11, v5
	v_pk_mul_f32 v[4:5], v[6:7], v[2:3] op_sel:[0,1]
	v_pk_fma_f32 v[8:9], v[6:7], v[0:1], v[4:5] op_sel:[0,0,1] op_sel_hi:[1,1,0] neg_lo:[0,0,1] neg_hi:[0,0,1]
	v_pk_fma_f32 v[4:5], v[6:7], v[0:1], v[4:5] op_sel:[0,0,1] op_sel_hi:[1,0,0]
	s_delay_alu instid0(VALU_DEP_1)
	v_mov_b32_e32 v9, v5
	ds_load_2addr_b64 v[4:7], v196 offset0:54 offset1:55
	v_pk_add_f32 v[228:229], v[228:229], v[10:11] neg_lo:[0,1] neg_hi:[0,1]
	v_pk_add_f32 v[224:225], v[224:225], v[8:9] neg_lo:[0,1] neg_hi:[0,1]
	s_wait_dscnt 0x0
	v_pk_mul_f32 v[8:9], v[4:5], v[2:3] op_sel:[0,1]
	s_delay_alu instid0(VALU_DEP_1) | instskip(SKIP_1) | instid1(VALU_DEP_1)
	v_pk_fma_f32 v[10:11], v[4:5], v[0:1], v[8:9] op_sel:[0,0,1] op_sel_hi:[1,1,0] neg_lo:[0,0,1] neg_hi:[0,0,1]
	v_pk_fma_f32 v[4:5], v[4:5], v[0:1], v[8:9] op_sel:[0,0,1] op_sel_hi:[1,0,0]
	v_mov_b32_e32 v11, v5
	v_pk_mul_f32 v[4:5], v[6:7], v[2:3] op_sel:[0,1]
	s_delay_alu instid0(VALU_DEP_1) | instskip(SKIP_1) | instid1(VALU_DEP_1)
	v_pk_fma_f32 v[8:9], v[6:7], v[0:1], v[4:5] op_sel:[0,0,1] op_sel_hi:[1,1,0] neg_lo:[0,0,1] neg_hi:[0,0,1]
	v_pk_fma_f32 v[4:5], v[6:7], v[0:1], v[4:5] op_sel:[0,0,1] op_sel_hi:[1,0,0]
	v_mov_b32_e32 v9, v5
	ds_load_2addr_b64 v[4:7], v196 offset0:56 offset1:57
	v_pk_add_f32 v[226:227], v[226:227], v[10:11] neg_lo:[0,1] neg_hi:[0,1]
	v_pk_add_f32 v[222:223], v[222:223], v[8:9] neg_lo:[0,1] neg_hi:[0,1]
	s_wait_dscnt 0x0
	v_dual_mul_f32 v8, v5, v3 :: v_dual_mul_f32 v10, v5, v0
	v_pk_mul_f32 v[2:3], v[6:7], v[2:3] op_sel:[0,1]
	s_delay_alu instid0(VALU_DEP_2) | instskip(NEXT) | instid1(VALU_DEP_3)
	v_pk_fma_f32 v[8:9], v[4:5], v[20:21], v[8:9] op_sel_hi:[1,1,0] neg_lo:[0,0,1] neg_hi:[0,0,1]
	v_pk_fma_f32 v[4:5], v[4:5], v[20:21], v[10:11] op_sel:[1,0,0] op_sel_hi:[0,1,0]
	s_delay_alu instid0(VALU_DEP_1) | instskip(NEXT) | instid1(VALU_DEP_4)
	v_mov_b32_e32 v9, v5
	v_pk_fma_f32 v[4:5], v[6:7], v[0:1], v[2:3] op_sel:[0,0,1] op_sel_hi:[1,1,0] neg_lo:[0,0,1] neg_hi:[0,0,1]
	v_pk_fma_f32 v[0:1], v[6:7], v[0:1], v[2:3] op_sel:[0,0,1] op_sel_hi:[1,0,0]
	s_delay_alu instid0(VALU_DEP_1) | instskip(NEXT) | instid1(VALU_DEP_4)
	v_mov_b32_e32 v5, v1
	v_pk_add_f32 v[230:231], v[230:231], v[8:9] neg_lo:[0,1] neg_hi:[0,1]
	s_delay_alu instid0(VALU_DEP_2)
	v_pk_add_f32 v[232:233], v[232:233], v[4:5] neg_lo:[0,1] neg_hi:[0,1]
.LBB115_73:
	s_wait_xcnt 0x0
	s_or_b32 exec_lo, exec_lo, s1
	s_delay_alu instid0(SALU_CYCLE_1)
	s_mov_b32 s2, exec_lo
	s_wait_storecnt 0x0
	s_barrier_signal -1
	s_barrier_wait -1
	v_cmpx_eq_u32_e32 8, v186
	s_cbranch_execz .LBB115_80
; %bb.74:
	ds_store_b64 v187, v[40:41]
	ds_store_2addr_b64 v196, v[36:37], v[38:39] offset0:9 offset1:10
	ds_store_2addr_b64 v196, v[34:35], v[64:65] offset0:11 offset1:12
	;; [unrolled: 1-line block ×24, first 2 shown]
	ds_store_b64 v196, v[232:233] offset:456
	ds_load_b64 v[0:1], v187
	s_wait_dscnt 0x0
	v_cmp_neq_f32_e32 vcc_lo, 0, v0
	v_cmp_neq_f32_e64 s1, 0, v1
	s_or_b32 s1, vcc_lo, s1
	s_delay_alu instid0(SALU_CYCLE_1)
	s_and_b32 exec_lo, exec_lo, s1
	s_cbranch_execz .LBB115_80
; %bb.75:
	v_cmp_ngt_f32_e64 s1, |v0|, |v1|
                                        ; implicit-def: $vgpr2_vgpr3
	s_and_saveexec_b32 s4, s1
	s_delay_alu instid0(SALU_CYCLE_1)
	s_xor_b32 s1, exec_lo, s4
	s_cbranch_execz .LBB115_77
; %bb.76:
	v_div_scale_f32 v2, null, v1, v1, v0
	v_div_scale_f32 v5, vcc_lo, v0, v1, v0
	s_delay_alu instid0(VALU_DEP_2) | instskip(SKIP_1) | instid1(TRANS32_DEP_1)
	v_rcp_f32_e32 v3, v2
	v_nop
	v_fma_f32 v4, -v2, v3, 1.0
	s_delay_alu instid0(VALU_DEP_1) | instskip(NEXT) | instid1(VALU_DEP_1)
	v_fmac_f32_e32 v3, v4, v3
	v_mul_f32_e32 v4, v5, v3
	s_delay_alu instid0(VALU_DEP_1) | instskip(NEXT) | instid1(VALU_DEP_1)
	v_fma_f32 v6, -v2, v4, v5
	v_fmac_f32_e32 v4, v6, v3
	s_delay_alu instid0(VALU_DEP_1) | instskip(NEXT) | instid1(VALU_DEP_1)
	v_fma_f32 v2, -v2, v4, v5
	v_div_fmas_f32 v2, v2, v3, v4
	s_delay_alu instid0(VALU_DEP_1) | instskip(NEXT) | instid1(VALU_DEP_1)
	v_div_fixup_f32 v2, v2, v1, v0
	v_fmac_f32_e32 v1, v0, v2
	s_delay_alu instid0(VALU_DEP_1) | instskip(SKIP_1) | instid1(VALU_DEP_2)
	v_div_scale_f32 v0, null, v1, v1, 1.0
	v_div_scale_f32 v5, vcc_lo, 1.0, v1, 1.0
	v_rcp_f32_e32 v3, v0
	v_nop
	s_delay_alu instid0(TRANS32_DEP_1) | instskip(NEXT) | instid1(VALU_DEP_1)
	v_fma_f32 v4, -v0, v3, 1.0
	v_fmac_f32_e32 v3, v4, v3
	s_delay_alu instid0(VALU_DEP_1) | instskip(NEXT) | instid1(VALU_DEP_1)
	v_mul_f32_e32 v4, v5, v3
	v_fma_f32 v6, -v0, v4, v5
	s_delay_alu instid0(VALU_DEP_1) | instskip(NEXT) | instid1(VALU_DEP_1)
	v_fmac_f32_e32 v4, v6, v3
	v_fma_f32 v0, -v0, v4, v5
	s_delay_alu instid0(VALU_DEP_1) | instskip(NEXT) | instid1(VALU_DEP_1)
	v_div_fmas_f32 v0, v0, v3, v4
	v_div_fixup_f32 v0, v0, v1, 1.0
	s_delay_alu instid0(VALU_DEP_1)
	v_mul_f32_e32 v2, v2, v0
	v_xor_b32_e32 v3, 0x80000000, v0
                                        ; implicit-def: $vgpr0_vgpr1
.LBB115_77:
	s_and_not1_saveexec_b32 s1, s1
	s_cbranch_execz .LBB115_79
; %bb.78:
	v_div_scale_f32 v2, null, v0, v0, v1
	v_div_scale_f32 v5, vcc_lo, v1, v0, v1
	s_delay_alu instid0(VALU_DEP_2) | instskip(SKIP_1) | instid1(TRANS32_DEP_1)
	v_rcp_f32_e32 v3, v2
	v_nop
	v_fma_f32 v4, -v2, v3, 1.0
	s_delay_alu instid0(VALU_DEP_1) | instskip(NEXT) | instid1(VALU_DEP_1)
	v_fmac_f32_e32 v3, v4, v3
	v_mul_f32_e32 v4, v5, v3
	s_delay_alu instid0(VALU_DEP_1) | instskip(NEXT) | instid1(VALU_DEP_1)
	v_fma_f32 v6, -v2, v4, v5
	v_fmac_f32_e32 v4, v6, v3
	s_delay_alu instid0(VALU_DEP_1) | instskip(NEXT) | instid1(VALU_DEP_1)
	v_fma_f32 v2, -v2, v4, v5
	v_div_fmas_f32 v2, v2, v3, v4
	s_delay_alu instid0(VALU_DEP_1) | instskip(NEXT) | instid1(VALU_DEP_1)
	v_div_fixup_f32 v3, v2, v0, v1
	v_fmac_f32_e32 v0, v1, v3
	s_delay_alu instid0(VALU_DEP_1) | instskip(NEXT) | instid1(VALU_DEP_1)
	v_div_scale_f32 v1, null, v0, v0, 1.0
	v_rcp_f32_e32 v2, v1
	v_nop
	s_delay_alu instid0(TRANS32_DEP_1) | instskip(NEXT) | instid1(VALU_DEP_1)
	v_fma_f32 v4, -v1, v2, 1.0
	v_fmac_f32_e32 v2, v4, v2
	v_div_scale_f32 v4, vcc_lo, 1.0, v0, 1.0
	s_delay_alu instid0(VALU_DEP_1) | instskip(NEXT) | instid1(VALU_DEP_1)
	v_mul_f32_e32 v5, v4, v2
	v_fma_f32 v6, -v1, v5, v4
	s_delay_alu instid0(VALU_DEP_1) | instskip(NEXT) | instid1(VALU_DEP_1)
	v_fmac_f32_e32 v5, v6, v2
	v_fma_f32 v1, -v1, v5, v4
	s_delay_alu instid0(VALU_DEP_1) | instskip(NEXT) | instid1(VALU_DEP_1)
	v_div_fmas_f32 v1, v1, v2, v5
	v_div_fixup_f32 v2, v1, v0, 1.0
	s_delay_alu instid0(VALU_DEP_1)
	v_mul_f32_e64 v3, v3, -v2
.LBB115_79:
	s_or_b32 exec_lo, exec_lo, s1
	ds_store_b64 v187, v[2:3]
.LBB115_80:
	s_or_b32 exec_lo, exec_lo, s2
	s_wait_dscnt 0x0
	s_barrier_signal -1
	s_barrier_wait -1
	ds_load_b64 v[0:1], v187
	s_mov_b32 s1, exec_lo
	s_wait_dscnt 0x0
	scratch_store_b64 off, v[0:1], off offset:392 ; 8-byte Folded Spill
	s_wait_xcnt 0x0
	v_cmpx_lt_u32_e32 8, v186
	s_cbranch_execz .LBB115_82
; %bb.81:
	scratch_load_b64 v[4:5], off, off offset:392 ; 8-byte Folded Reload
	s_wait_loadcnt 0x0
	v_pk_mul_f32 v[2:3], v[4:5], v[40:41] op_sel:[1,1] op_sel_hi:[0,1]
	s_delay_alu instid0(VALU_DEP_1)
	v_pk_fma_f32 v[0:1], v[4:5], v[40:41], v[2:3] op_sel_hi:[1,0,1] neg_lo:[0,0,1] neg_hi:[0,0,1]
	v_pk_fma_f32 v[2:3], v[4:5], v[40:41], v[2:3] op_sel_hi:[1,0,1]
	ds_load_2addr_b64 v[4:7], v196 offset0:9 offset1:10
	v_dual_mov_b32 v40, v0 :: v_dual_mov_b32 v41, v3
	s_wait_dscnt 0x0
	v_pk_mul_f32 v[8:9], v[4:5], v[2:3] op_sel:[0,1]
	s_delay_alu instid0(VALU_DEP_1) | instskip(SKIP_1) | instid1(VALU_DEP_1)
	v_pk_fma_f32 v[10:11], v[4:5], v[0:1], v[8:9] op_sel:[0,0,1] op_sel_hi:[1,1,0] neg_lo:[0,0,1] neg_hi:[0,0,1]
	v_pk_fma_f32 v[4:5], v[4:5], v[0:1], v[8:9] op_sel:[0,0,1] op_sel_hi:[1,0,0]
	v_mov_b32_e32 v11, v5
	v_pk_mul_f32 v[4:5], v[6:7], v[2:3] op_sel:[0,1]
	s_delay_alu instid0(VALU_DEP_1) | instskip(SKIP_1) | instid1(VALU_DEP_1)
	v_pk_fma_f32 v[8:9], v[6:7], v[0:1], v[4:5] op_sel:[0,0,1] op_sel_hi:[1,1,0] neg_lo:[0,0,1] neg_hi:[0,0,1]
	v_pk_fma_f32 v[4:5], v[6:7], v[0:1], v[4:5] op_sel:[0,0,1] op_sel_hi:[1,0,0]
	v_mov_b32_e32 v9, v5
	ds_load_2addr_b64 v[4:7], v196 offset0:11 offset1:12
	v_pk_add_f32 v[36:37], v[36:37], v[10:11] neg_lo:[0,1] neg_hi:[0,1]
	v_pk_add_f32 v[38:39], v[38:39], v[8:9] neg_lo:[0,1] neg_hi:[0,1]
	s_wait_dscnt 0x0
	v_pk_mul_f32 v[8:9], v[4:5], v[2:3] op_sel:[0,1]
	s_delay_alu instid0(VALU_DEP_1) | instskip(SKIP_2) | instid1(VALU_DEP_2)
	v_pk_fma_f32 v[10:11], v[4:5], v[0:1], v[8:9] op_sel:[0,0,1] op_sel_hi:[1,1,0] neg_lo:[0,0,1] neg_hi:[0,0,1]
	v_pk_fma_f32 v[4:5], v[4:5], v[0:1], v[8:9] op_sel:[0,0,1] op_sel_hi:[1,0,0]
	v_dual_mul_f32 v8, v7, v3 :: v_dual_mov_b32 v4, v7
	v_dual_mov_b32 v11, v5 :: v_dual_mov_b32 v5, v6
	s_delay_alu instid0(VALU_DEP_2) | instskip(SKIP_1) | instid1(VALU_DEP_3)
	v_pk_fma_f32 v[8:9], v[6:7], v[40:41], v[8:9] op_sel_hi:[1,1,0] neg_lo:[0,0,1] neg_hi:[0,0,1]
	v_mul_f32_e32 v6, v7, v0
	v_pk_add_f32 v[34:35], v[34:35], v[10:11] neg_lo:[0,1] neg_hi:[0,1]
	s_delay_alu instid0(VALU_DEP_2) | instskip(NEXT) | instid1(VALU_DEP_1)
	v_pk_fma_f32 v[4:5], v[4:5], v[40:41], v[6:7] op_sel_hi:[1,1,0]
	v_mov_b32_e32 v9, v5
	ds_load_2addr_b64 v[4:7], v196 offset0:13 offset1:14
	v_pk_add_f32 v[64:65], v[64:65], v[8:9] neg_lo:[0,1] neg_hi:[0,1]
	s_wait_dscnt 0x0
	v_pk_mul_f32 v[8:9], v[4:5], v[2:3] op_sel:[0,1]
	s_delay_alu instid0(VALU_DEP_1) | instskip(SKIP_1) | instid1(VALU_DEP_1)
	v_pk_fma_f32 v[10:11], v[4:5], v[0:1], v[8:9] op_sel:[0,0,1] op_sel_hi:[1,1,0] neg_lo:[0,0,1] neg_hi:[0,0,1]
	v_pk_fma_f32 v[4:5], v[4:5], v[0:1], v[8:9] op_sel:[0,0,1] op_sel_hi:[1,0,0]
	v_mov_b32_e32 v11, v5
	v_pk_mul_f32 v[4:5], v[6:7], v[2:3] op_sel:[0,1]
	s_delay_alu instid0(VALU_DEP_1) | instskip(SKIP_1) | instid1(VALU_DEP_1)
	v_pk_fma_f32 v[8:9], v[6:7], v[0:1], v[4:5] op_sel:[0,0,1] op_sel_hi:[1,1,0] neg_lo:[0,0,1] neg_hi:[0,0,1]
	v_pk_fma_f32 v[4:5], v[6:7], v[0:1], v[4:5] op_sel:[0,0,1] op_sel_hi:[1,0,0]
	v_mov_b32_e32 v9, v5
	ds_load_2addr_b64 v[4:7], v196 offset0:15 offset1:16
	v_pk_add_f32 v[60:61], v[60:61], v[10:11] neg_lo:[0,1] neg_hi:[0,1]
	v_pk_add_f32 v[62:63], v[62:63], v[8:9] neg_lo:[0,1] neg_hi:[0,1]
	s_wait_dscnt 0x0
	v_pk_mul_f32 v[8:9], v[4:5], v[2:3] op_sel:[0,1]
	s_delay_alu instid0(VALU_DEP_1) | instskip(SKIP_1) | instid1(VALU_DEP_1)
	v_pk_fma_f32 v[10:11], v[4:5], v[0:1], v[8:9] op_sel:[0,0,1] op_sel_hi:[1,1,0] neg_lo:[0,0,1] neg_hi:[0,0,1]
	v_pk_fma_f32 v[4:5], v[4:5], v[0:1], v[8:9] op_sel:[0,0,1] op_sel_hi:[1,0,0]
	v_mov_b32_e32 v11, v5
	v_pk_mul_f32 v[4:5], v[6:7], v[2:3] op_sel:[0,1]
	s_delay_alu instid0(VALU_DEP_1) | instskip(SKIP_1) | instid1(VALU_DEP_1)
	v_pk_fma_f32 v[8:9], v[6:7], v[0:1], v[4:5] op_sel:[0,0,1] op_sel_hi:[1,1,0] neg_lo:[0,0,1] neg_hi:[0,0,1]
	v_pk_fma_f32 v[4:5], v[6:7], v[0:1], v[4:5] op_sel:[0,0,1] op_sel_hi:[1,0,0]
	v_mov_b32_e32 v9, v5
	ds_load_2addr_b64 v[4:7], v196 offset0:17 offset1:18
	v_pk_add_f32 v[58:59], v[58:59], v[10:11] neg_lo:[0,1] neg_hi:[0,1]
	v_pk_add_f32 v[82:83], v[82:83], v[8:9] neg_lo:[0,1] neg_hi:[0,1]
	s_wait_dscnt 0x0
	v_dual_mul_f32 v8, v5, v3 :: v_dual_mul_f32 v10, v5, v0
	s_delay_alu instid0(VALU_DEP_1) | instskip(NEXT) | instid1(VALU_DEP_2)
	v_pk_fma_f32 v[8:9], v[4:5], v[40:41], v[8:9] op_sel_hi:[1,1,0] neg_lo:[0,0,1] neg_hi:[0,0,1]
	v_pk_fma_f32 v[4:5], v[4:5], v[40:41], v[10:11] op_sel:[1,0,0] op_sel_hi:[0,1,0]
	s_delay_alu instid0(VALU_DEP_1) | instskip(SKIP_1) | instid1(VALU_DEP_2)
	v_mov_b32_e32 v9, v5
	v_pk_mul_f32 v[4:5], v[6:7], v[2:3] op_sel:[0,1]
	v_pk_add_f32 v[78:79], v[78:79], v[8:9] neg_lo:[0,1] neg_hi:[0,1]
	s_delay_alu instid0(VALU_DEP_2) | instskip(SKIP_1) | instid1(VALU_DEP_1)
	v_pk_fma_f32 v[8:9], v[6:7], v[0:1], v[4:5] op_sel:[0,0,1] op_sel_hi:[1,1,0] neg_lo:[0,0,1] neg_hi:[0,0,1]
	v_pk_fma_f32 v[4:5], v[6:7], v[0:1], v[4:5] op_sel:[0,0,1] op_sel_hi:[1,0,0]
	v_mov_b32_e32 v9, v5
	ds_load_2addr_b64 v[4:7], v196 offset0:19 offset1:20
	v_pk_add_f32 v[80:81], v[80:81], v[8:9] neg_lo:[0,1] neg_hi:[0,1]
	s_wait_dscnt 0x0
	v_pk_mul_f32 v[8:9], v[4:5], v[2:3] op_sel:[0,1]
	s_delay_alu instid0(VALU_DEP_1) | instskip(SKIP_1) | instid1(VALU_DEP_1)
	v_pk_fma_f32 v[10:11], v[4:5], v[0:1], v[8:9] op_sel:[0,0,1] op_sel_hi:[1,1,0] neg_lo:[0,0,1] neg_hi:[0,0,1]
	v_pk_fma_f32 v[4:5], v[4:5], v[0:1], v[8:9] op_sel:[0,0,1] op_sel_hi:[1,0,0]
	v_mov_b32_e32 v11, v5
	v_pk_mul_f32 v[4:5], v[6:7], v[2:3] op_sel:[0,1]
	s_delay_alu instid0(VALU_DEP_2) | instskip(NEXT) | instid1(VALU_DEP_2)
	v_pk_add_f32 v[76:77], v[76:77], v[10:11] neg_lo:[0,1] neg_hi:[0,1]
	v_pk_fma_f32 v[8:9], v[6:7], v[0:1], v[4:5] op_sel:[0,0,1] op_sel_hi:[1,1,0] neg_lo:[0,0,1] neg_hi:[0,0,1]
	v_pk_fma_f32 v[4:5], v[6:7], v[0:1], v[4:5] op_sel:[0,0,1] op_sel_hi:[1,0,0]
	s_delay_alu instid0(VALU_DEP_1) | instskip(SKIP_4) | instid1(VALU_DEP_1)
	v_mov_b32_e32 v9, v5
	ds_load_2addr_b64 v[4:7], v196 offset0:21 offset1:22
	v_pk_add_f32 v[98:99], v[98:99], v[8:9] neg_lo:[0,1] neg_hi:[0,1]
	s_wait_dscnt 0x0
	v_pk_mul_f32 v[8:9], v[4:5], v[2:3] op_sel:[0,1]
	v_pk_fma_f32 v[10:11], v[4:5], v[0:1], v[8:9] op_sel:[0,0,1] op_sel_hi:[1,1,0] neg_lo:[0,0,1] neg_hi:[0,0,1]
	v_pk_fma_f32 v[4:5], v[4:5], v[0:1], v[8:9] op_sel:[0,0,1] op_sel_hi:[1,0,0]
	v_dual_mul_f32 v8, v7, v3 :: v_dual_mov_b32 v4, v7
	s_delay_alu instid0(VALU_DEP_2) | instskip(NEXT) | instid1(VALU_DEP_2)
	v_dual_mov_b32 v11, v5 :: v_dual_mov_b32 v5, v6
	v_pk_fma_f32 v[8:9], v[6:7], v[40:41], v[8:9] op_sel_hi:[1,1,0] neg_lo:[0,0,1] neg_hi:[0,0,1]
	v_mul_f32_e32 v6, v7, v0
	s_delay_alu instid0(VALU_DEP_3) | instskip(NEXT) | instid1(VALU_DEP_2)
	v_pk_add_f32 v[94:95], v[94:95], v[10:11] neg_lo:[0,1] neg_hi:[0,1]
	v_pk_fma_f32 v[4:5], v[4:5], v[40:41], v[6:7] op_sel_hi:[1,1,0]
	s_delay_alu instid0(VALU_DEP_1) | instskip(SKIP_4) | instid1(VALU_DEP_1)
	v_mov_b32_e32 v9, v5
	ds_load_2addr_b64 v[4:7], v196 offset0:23 offset1:24
	v_pk_add_f32 v[96:97], v[96:97], v[8:9] neg_lo:[0,1] neg_hi:[0,1]
	s_wait_dscnt 0x0
	v_pk_mul_f32 v[8:9], v[4:5], v[2:3] op_sel:[0,1]
	v_pk_fma_f32 v[10:11], v[4:5], v[0:1], v[8:9] op_sel:[0,0,1] op_sel_hi:[1,1,0] neg_lo:[0,0,1] neg_hi:[0,0,1]
	v_pk_fma_f32 v[4:5], v[4:5], v[0:1], v[8:9] op_sel:[0,0,1] op_sel_hi:[1,0,0]
	s_delay_alu instid0(VALU_DEP_1) | instskip(SKIP_1) | instid1(VALU_DEP_1)
	v_mov_b32_e32 v11, v5
	v_pk_mul_f32 v[4:5], v[6:7], v[2:3] op_sel:[0,1]
	v_pk_fma_f32 v[8:9], v[6:7], v[0:1], v[4:5] op_sel:[0,0,1] op_sel_hi:[1,1,0] neg_lo:[0,0,1] neg_hi:[0,0,1]
	v_pk_fma_f32 v[4:5], v[6:7], v[0:1], v[4:5] op_sel:[0,0,1] op_sel_hi:[1,0,0]
	s_delay_alu instid0(VALU_DEP_1)
	v_mov_b32_e32 v9, v5
	ds_load_2addr_b64 v[4:7], v196 offset0:25 offset1:26
	v_pk_add_f32 v[92:93], v[92:93], v[10:11] neg_lo:[0,1] neg_hi:[0,1]
	v_pk_add_f32 v[114:115], v[114:115], v[8:9] neg_lo:[0,1] neg_hi:[0,1]
	s_wait_dscnt 0x0
	v_pk_mul_f32 v[8:9], v[4:5], v[2:3] op_sel:[0,1]
	s_delay_alu instid0(VALU_DEP_1) | instskip(SKIP_1) | instid1(VALU_DEP_1)
	v_pk_fma_f32 v[10:11], v[4:5], v[0:1], v[8:9] op_sel:[0,0,1] op_sel_hi:[1,1,0] neg_lo:[0,0,1] neg_hi:[0,0,1]
	v_pk_fma_f32 v[4:5], v[4:5], v[0:1], v[8:9] op_sel:[0,0,1] op_sel_hi:[1,0,0]
	v_mov_b32_e32 v11, v5
	v_pk_mul_f32 v[4:5], v[6:7], v[2:3] op_sel:[0,1]
	s_delay_alu instid0(VALU_DEP_1) | instskip(SKIP_1) | instid1(VALU_DEP_1)
	v_pk_fma_f32 v[8:9], v[6:7], v[0:1], v[4:5] op_sel:[0,0,1] op_sel_hi:[1,1,0] neg_lo:[0,0,1] neg_hi:[0,0,1]
	v_pk_fma_f32 v[4:5], v[6:7], v[0:1], v[4:5] op_sel:[0,0,1] op_sel_hi:[1,0,0]
	v_mov_b32_e32 v9, v5
	ds_load_2addr_b64 v[4:7], v196 offset0:27 offset1:28
	v_pk_add_f32 v[110:111], v[110:111], v[10:11] neg_lo:[0,1] neg_hi:[0,1]
	v_pk_add_f32 v[112:113], v[112:113], v[8:9] neg_lo:[0,1] neg_hi:[0,1]
	s_wait_dscnt 0x0
	v_dual_mul_f32 v8, v5, v3 :: v_dual_mul_f32 v10, v5, v0
	s_delay_alu instid0(VALU_DEP_1) | instskip(NEXT) | instid1(VALU_DEP_2)
	v_pk_fma_f32 v[8:9], v[4:5], v[40:41], v[8:9] op_sel_hi:[1,1,0] neg_lo:[0,0,1] neg_hi:[0,0,1]
	v_pk_fma_f32 v[4:5], v[4:5], v[40:41], v[10:11] op_sel:[1,0,0] op_sel_hi:[0,1,0]
	s_delay_alu instid0(VALU_DEP_1) | instskip(SKIP_1) | instid1(VALU_DEP_2)
	v_mov_b32_e32 v9, v5
	v_pk_mul_f32 v[4:5], v[6:7], v[2:3] op_sel:[0,1]
	v_pk_add_f32 v[108:109], v[108:109], v[8:9] neg_lo:[0,1] neg_hi:[0,1]
	s_delay_alu instid0(VALU_DEP_2) | instskip(SKIP_1) | instid1(VALU_DEP_1)
	v_pk_fma_f32 v[8:9], v[6:7], v[0:1], v[4:5] op_sel:[0,0,1] op_sel_hi:[1,1,0] neg_lo:[0,0,1] neg_hi:[0,0,1]
	v_pk_fma_f32 v[4:5], v[6:7], v[0:1], v[4:5] op_sel:[0,0,1] op_sel_hi:[1,0,0]
	v_mov_b32_e32 v9, v5
	ds_load_2addr_b64 v[4:7], v196 offset0:29 offset1:30
	v_pk_add_f32 v[130:131], v[130:131], v[8:9] neg_lo:[0,1] neg_hi:[0,1]
	s_wait_dscnt 0x0
	v_pk_mul_f32 v[8:9], v[4:5], v[2:3] op_sel:[0,1]
	s_delay_alu instid0(VALU_DEP_1) | instskip(SKIP_1) | instid1(VALU_DEP_1)
	v_pk_fma_f32 v[10:11], v[4:5], v[0:1], v[8:9] op_sel:[0,0,1] op_sel_hi:[1,1,0] neg_lo:[0,0,1] neg_hi:[0,0,1]
	v_pk_fma_f32 v[4:5], v[4:5], v[0:1], v[8:9] op_sel:[0,0,1] op_sel_hi:[1,0,0]
	v_mov_b32_e32 v11, v5
	v_pk_mul_f32 v[4:5], v[6:7], v[2:3] op_sel:[0,1]
	s_delay_alu instid0(VALU_DEP_2) | instskip(NEXT) | instid1(VALU_DEP_2)
	v_pk_add_f32 v[126:127], v[126:127], v[10:11] neg_lo:[0,1] neg_hi:[0,1]
	v_pk_fma_f32 v[8:9], v[6:7], v[0:1], v[4:5] op_sel:[0,0,1] op_sel_hi:[1,1,0] neg_lo:[0,0,1] neg_hi:[0,0,1]
	v_pk_fma_f32 v[4:5], v[6:7], v[0:1], v[4:5] op_sel:[0,0,1] op_sel_hi:[1,0,0]
	s_delay_alu instid0(VALU_DEP_1) | instskip(SKIP_4) | instid1(VALU_DEP_1)
	v_mov_b32_e32 v9, v5
	ds_load_2addr_b64 v[4:7], v196 offset0:31 offset1:32
	v_pk_add_f32 v[128:129], v[128:129], v[8:9] neg_lo:[0,1] neg_hi:[0,1]
	s_wait_dscnt 0x0
	v_pk_mul_f32 v[8:9], v[4:5], v[2:3] op_sel:[0,1]
	v_pk_fma_f32 v[10:11], v[4:5], v[0:1], v[8:9] op_sel:[0,0,1] op_sel_hi:[1,1,0] neg_lo:[0,0,1] neg_hi:[0,0,1]
	v_pk_fma_f32 v[4:5], v[4:5], v[0:1], v[8:9] op_sel:[0,0,1] op_sel_hi:[1,0,0]
	v_dual_mul_f32 v8, v7, v3 :: v_dual_mov_b32 v4, v7
	s_delay_alu instid0(VALU_DEP_2) | instskip(NEXT) | instid1(VALU_DEP_2)
	v_dual_mov_b32 v11, v5 :: v_dual_mov_b32 v5, v6
	v_pk_fma_f32 v[8:9], v[6:7], v[40:41], v[8:9] op_sel_hi:[1,1,0] neg_lo:[0,0,1] neg_hi:[0,0,1]
	v_mul_f32_e32 v6, v7, v0
	s_delay_alu instid0(VALU_DEP_3) | instskip(NEXT) | instid1(VALU_DEP_2)
	v_pk_add_f32 v[124:125], v[124:125], v[10:11] neg_lo:[0,1] neg_hi:[0,1]
	v_pk_fma_f32 v[4:5], v[4:5], v[40:41], v[6:7] op_sel_hi:[1,1,0]
	s_delay_alu instid0(VALU_DEP_1) | instskip(SKIP_4) | instid1(VALU_DEP_1)
	v_mov_b32_e32 v9, v5
	ds_load_2addr_b64 v[4:7], v196 offset0:33 offset1:34
	v_pk_add_f32 v[146:147], v[146:147], v[8:9] neg_lo:[0,1] neg_hi:[0,1]
	s_wait_dscnt 0x0
	v_pk_mul_f32 v[8:9], v[4:5], v[2:3] op_sel:[0,1]
	v_pk_fma_f32 v[10:11], v[4:5], v[0:1], v[8:9] op_sel:[0,0,1] op_sel_hi:[1,1,0] neg_lo:[0,0,1] neg_hi:[0,0,1]
	v_pk_fma_f32 v[4:5], v[4:5], v[0:1], v[8:9] op_sel:[0,0,1] op_sel_hi:[1,0,0]
	s_delay_alu instid0(VALU_DEP_1) | instskip(SKIP_1) | instid1(VALU_DEP_1)
	v_mov_b32_e32 v11, v5
	v_pk_mul_f32 v[4:5], v[6:7], v[2:3] op_sel:[0,1]
	v_pk_fma_f32 v[8:9], v[6:7], v[0:1], v[4:5] op_sel:[0,0,1] op_sel_hi:[1,1,0] neg_lo:[0,0,1] neg_hi:[0,0,1]
	v_pk_fma_f32 v[4:5], v[6:7], v[0:1], v[4:5] op_sel:[0,0,1] op_sel_hi:[1,0,0]
	s_delay_alu instid0(VALU_DEP_1)
	v_mov_b32_e32 v9, v5
	ds_load_2addr_b64 v[4:7], v196 offset0:35 offset1:36
	v_pk_add_f32 v[142:143], v[142:143], v[10:11] neg_lo:[0,1] neg_hi:[0,1]
	v_pk_add_f32 v[144:145], v[144:145], v[8:9] neg_lo:[0,1] neg_hi:[0,1]
	s_wait_dscnt 0x0
	v_pk_mul_f32 v[8:9], v[4:5], v[2:3] op_sel:[0,1]
	s_delay_alu instid0(VALU_DEP_1) | instskip(SKIP_1) | instid1(VALU_DEP_1)
	v_pk_fma_f32 v[10:11], v[4:5], v[0:1], v[8:9] op_sel:[0,0,1] op_sel_hi:[1,1,0] neg_lo:[0,0,1] neg_hi:[0,0,1]
	v_pk_fma_f32 v[4:5], v[4:5], v[0:1], v[8:9] op_sel:[0,0,1] op_sel_hi:[1,0,0]
	v_mov_b32_e32 v11, v5
	v_pk_mul_f32 v[4:5], v[6:7], v[2:3] op_sel:[0,1]
	s_delay_alu instid0(VALU_DEP_1) | instskip(SKIP_1) | instid1(VALU_DEP_1)
	v_pk_fma_f32 v[8:9], v[6:7], v[0:1], v[4:5] op_sel:[0,0,1] op_sel_hi:[1,1,0] neg_lo:[0,0,1] neg_hi:[0,0,1]
	v_pk_fma_f32 v[4:5], v[6:7], v[0:1], v[4:5] op_sel:[0,0,1] op_sel_hi:[1,0,0]
	v_mov_b32_e32 v9, v5
	ds_load_2addr_b64 v[4:7], v196 offset0:37 offset1:38
	v_pk_add_f32 v[140:141], v[140:141], v[10:11] neg_lo:[0,1] neg_hi:[0,1]
	v_pk_add_f32 v[162:163], v[162:163], v[8:9] neg_lo:[0,1] neg_hi:[0,1]
	s_wait_dscnt 0x0
	v_dual_mul_f32 v8, v5, v3 :: v_dual_mul_f32 v10, v5, v0
	s_delay_alu instid0(VALU_DEP_1) | instskip(NEXT) | instid1(VALU_DEP_2)
	v_pk_fma_f32 v[8:9], v[4:5], v[40:41], v[8:9] op_sel_hi:[1,1,0] neg_lo:[0,0,1] neg_hi:[0,0,1]
	v_pk_fma_f32 v[4:5], v[4:5], v[40:41], v[10:11] op_sel:[1,0,0] op_sel_hi:[0,1,0]
	s_delay_alu instid0(VALU_DEP_1) | instskip(SKIP_1) | instid1(VALU_DEP_2)
	v_mov_b32_e32 v9, v5
	v_pk_mul_f32 v[4:5], v[6:7], v[2:3] op_sel:[0,1]
	v_pk_add_f32 v[158:159], v[158:159], v[8:9] neg_lo:[0,1] neg_hi:[0,1]
	s_delay_alu instid0(VALU_DEP_2) | instskip(SKIP_1) | instid1(VALU_DEP_1)
	v_pk_fma_f32 v[8:9], v[6:7], v[0:1], v[4:5] op_sel:[0,0,1] op_sel_hi:[1,1,0] neg_lo:[0,0,1] neg_hi:[0,0,1]
	v_pk_fma_f32 v[4:5], v[6:7], v[0:1], v[4:5] op_sel:[0,0,1] op_sel_hi:[1,0,0]
	v_mov_b32_e32 v9, v5
	ds_load_2addr_b64 v[4:7], v196 offset0:39 offset1:40
	v_pk_add_f32 v[160:161], v[160:161], v[8:9] neg_lo:[0,1] neg_hi:[0,1]
	s_wait_dscnt 0x0
	v_pk_mul_f32 v[8:9], v[4:5], v[2:3] op_sel:[0,1]
	s_delay_alu instid0(VALU_DEP_1) | instskip(SKIP_1) | instid1(VALU_DEP_1)
	v_pk_fma_f32 v[10:11], v[4:5], v[0:1], v[8:9] op_sel:[0,0,1] op_sel_hi:[1,1,0] neg_lo:[0,0,1] neg_hi:[0,0,1]
	v_pk_fma_f32 v[4:5], v[4:5], v[0:1], v[8:9] op_sel:[0,0,1] op_sel_hi:[1,0,0]
	v_mov_b32_e32 v11, v5
	v_pk_mul_f32 v[4:5], v[6:7], v[2:3] op_sel:[0,1]
	s_delay_alu instid0(VALU_DEP_2) | instskip(NEXT) | instid1(VALU_DEP_2)
	v_pk_add_f32 v[156:157], v[156:157], v[10:11] neg_lo:[0,1] neg_hi:[0,1]
	v_pk_fma_f32 v[8:9], v[6:7], v[0:1], v[4:5] op_sel:[0,0,1] op_sel_hi:[1,1,0] neg_lo:[0,0,1] neg_hi:[0,0,1]
	v_pk_fma_f32 v[4:5], v[6:7], v[0:1], v[4:5] op_sel:[0,0,1] op_sel_hi:[1,0,0]
	s_delay_alu instid0(VALU_DEP_1) | instskip(SKIP_4) | instid1(VALU_DEP_1)
	v_mov_b32_e32 v9, v5
	ds_load_2addr_b64 v[4:7], v196 offset0:41 offset1:42
	v_pk_add_f32 v[178:179], v[178:179], v[8:9] neg_lo:[0,1] neg_hi:[0,1]
	s_wait_dscnt 0x0
	v_pk_mul_f32 v[8:9], v[4:5], v[2:3] op_sel:[0,1]
	v_pk_fma_f32 v[10:11], v[4:5], v[0:1], v[8:9] op_sel:[0,0,1] op_sel_hi:[1,1,0] neg_lo:[0,0,1] neg_hi:[0,0,1]
	v_pk_fma_f32 v[4:5], v[4:5], v[0:1], v[8:9] op_sel:[0,0,1] op_sel_hi:[1,0,0]
	v_dual_mul_f32 v8, v7, v3 :: v_dual_mov_b32 v4, v7
	s_delay_alu instid0(VALU_DEP_2) | instskip(NEXT) | instid1(VALU_DEP_2)
	v_dual_mov_b32 v11, v5 :: v_dual_mov_b32 v5, v6
	v_pk_fma_f32 v[8:9], v[6:7], v[40:41], v[8:9] op_sel_hi:[1,1,0] neg_lo:[0,0,1] neg_hi:[0,0,1]
	v_mul_f32_e32 v6, v7, v0
	s_delay_alu instid0(VALU_DEP_3) | instskip(NEXT) | instid1(VALU_DEP_2)
	v_pk_add_f32 v[174:175], v[174:175], v[10:11] neg_lo:[0,1] neg_hi:[0,1]
	v_pk_fma_f32 v[4:5], v[4:5], v[40:41], v[6:7] op_sel_hi:[1,1,0]
	s_delay_alu instid0(VALU_DEP_1) | instskip(SKIP_4) | instid1(VALU_DEP_1)
	v_mov_b32_e32 v9, v5
	ds_load_2addr_b64 v[4:7], v196 offset0:43 offset1:44
	v_pk_add_f32 v[176:177], v[176:177], v[8:9] neg_lo:[0,1] neg_hi:[0,1]
	s_wait_dscnt 0x0
	v_pk_mul_f32 v[8:9], v[4:5], v[2:3] op_sel:[0,1]
	v_pk_fma_f32 v[10:11], v[4:5], v[0:1], v[8:9] op_sel:[0,0,1] op_sel_hi:[1,1,0] neg_lo:[0,0,1] neg_hi:[0,0,1]
	v_pk_fma_f32 v[4:5], v[4:5], v[0:1], v[8:9] op_sel:[0,0,1] op_sel_hi:[1,0,0]
	s_delay_alu instid0(VALU_DEP_1) | instskip(SKIP_1) | instid1(VALU_DEP_1)
	v_mov_b32_e32 v11, v5
	v_pk_mul_f32 v[4:5], v[6:7], v[2:3] op_sel:[0,1]
	v_pk_fma_f32 v[8:9], v[6:7], v[0:1], v[4:5] op_sel:[0,0,1] op_sel_hi:[1,1,0] neg_lo:[0,0,1] neg_hi:[0,0,1]
	v_pk_fma_f32 v[4:5], v[6:7], v[0:1], v[4:5] op_sel:[0,0,1] op_sel_hi:[1,0,0]
	s_delay_alu instid0(VALU_DEP_1)
	v_mov_b32_e32 v9, v5
	ds_load_2addr_b64 v[4:7], v196 offset0:45 offset1:46
	v_pk_add_f32 v[172:173], v[172:173], v[10:11] neg_lo:[0,1] neg_hi:[0,1]
	v_pk_add_f32 v[194:195], v[194:195], v[8:9] neg_lo:[0,1] neg_hi:[0,1]
	s_wait_dscnt 0x0
	v_pk_mul_f32 v[8:9], v[4:5], v[2:3] op_sel:[0,1]
	s_delay_alu instid0(VALU_DEP_1) | instskip(SKIP_1) | instid1(VALU_DEP_1)
	v_pk_fma_f32 v[10:11], v[4:5], v[0:1], v[8:9] op_sel:[0,0,1] op_sel_hi:[1,1,0] neg_lo:[0,0,1] neg_hi:[0,0,1]
	v_pk_fma_f32 v[4:5], v[4:5], v[0:1], v[8:9] op_sel:[0,0,1] op_sel_hi:[1,0,0]
	v_mov_b32_e32 v11, v5
	v_pk_mul_f32 v[4:5], v[6:7], v[2:3] op_sel:[0,1]
	s_delay_alu instid0(VALU_DEP_1) | instskip(SKIP_1) | instid1(VALU_DEP_1)
	v_pk_fma_f32 v[8:9], v[6:7], v[0:1], v[4:5] op_sel:[0,0,1] op_sel_hi:[1,1,0] neg_lo:[0,0,1] neg_hi:[0,0,1]
	v_pk_fma_f32 v[4:5], v[6:7], v[0:1], v[4:5] op_sel:[0,0,1] op_sel_hi:[1,0,0]
	v_mov_b32_e32 v9, v5
	ds_load_2addr_b64 v[4:7], v196 offset0:47 offset1:48
	v_pk_add_f32 v[190:191], v[190:191], v[10:11] neg_lo:[0,1] neg_hi:[0,1]
	v_pk_add_f32 v[192:193], v[192:193], v[8:9] neg_lo:[0,1] neg_hi:[0,1]
	s_wait_dscnt 0x0
	v_dual_mul_f32 v8, v5, v3 :: v_dual_mul_f32 v10, v5, v0
	s_delay_alu instid0(VALU_DEP_1) | instskip(NEXT) | instid1(VALU_DEP_2)
	v_pk_fma_f32 v[8:9], v[4:5], v[40:41], v[8:9] op_sel_hi:[1,1,0] neg_lo:[0,0,1] neg_hi:[0,0,1]
	v_pk_fma_f32 v[4:5], v[4:5], v[40:41], v[10:11] op_sel:[1,0,0] op_sel_hi:[0,1,0]
	s_delay_alu instid0(VALU_DEP_1) | instskip(SKIP_1) | instid1(VALU_DEP_2)
	v_mov_b32_e32 v9, v5
	v_pk_mul_f32 v[4:5], v[6:7], v[2:3] op_sel:[0,1]
	v_pk_add_f32 v[188:189], v[188:189], v[8:9] neg_lo:[0,1] neg_hi:[0,1]
	s_delay_alu instid0(VALU_DEP_2) | instskip(SKIP_1) | instid1(VALU_DEP_1)
	v_pk_fma_f32 v[8:9], v[6:7], v[0:1], v[4:5] op_sel:[0,0,1] op_sel_hi:[1,1,0] neg_lo:[0,0,1] neg_hi:[0,0,1]
	v_pk_fma_f32 v[4:5], v[6:7], v[0:1], v[4:5] op_sel:[0,0,1] op_sel_hi:[1,0,0]
	v_mov_b32_e32 v9, v5
	ds_load_2addr_b64 v[4:7], v196 offset0:49 offset1:50
	v_pk_add_f32 v[212:213], v[212:213], v[8:9] neg_lo:[0,1] neg_hi:[0,1]
	s_wait_dscnt 0x0
	v_pk_mul_f32 v[8:9], v[4:5], v[2:3] op_sel:[0,1]
	s_delay_alu instid0(VALU_DEP_1) | instskip(SKIP_1) | instid1(VALU_DEP_1)
	v_pk_fma_f32 v[10:11], v[4:5], v[0:1], v[8:9] op_sel:[0,0,1] op_sel_hi:[1,1,0] neg_lo:[0,0,1] neg_hi:[0,0,1]
	v_pk_fma_f32 v[4:5], v[4:5], v[0:1], v[8:9] op_sel:[0,0,1] op_sel_hi:[1,0,0]
	v_mov_b32_e32 v11, v5
	v_pk_mul_f32 v[4:5], v[6:7], v[2:3] op_sel:[0,1]
	s_delay_alu instid0(VALU_DEP_2) | instskip(NEXT) | instid1(VALU_DEP_2)
	v_pk_add_f32 v[208:209], v[208:209], v[10:11] neg_lo:[0,1] neg_hi:[0,1]
	v_pk_fma_f32 v[8:9], v[6:7], v[0:1], v[4:5] op_sel:[0,0,1] op_sel_hi:[1,1,0] neg_lo:[0,0,1] neg_hi:[0,0,1]
	v_pk_fma_f32 v[4:5], v[6:7], v[0:1], v[4:5] op_sel:[0,0,1] op_sel_hi:[1,0,0]
	s_delay_alu instid0(VALU_DEP_1) | instskip(SKIP_4) | instid1(VALU_DEP_1)
	v_mov_b32_e32 v9, v5
	ds_load_2addr_b64 v[4:7], v196 offset0:51 offset1:52
	v_pk_add_f32 v[210:211], v[210:211], v[8:9] neg_lo:[0,1] neg_hi:[0,1]
	s_wait_dscnt 0x0
	v_pk_mul_f32 v[8:9], v[4:5], v[2:3] op_sel:[0,1]
	v_pk_fma_f32 v[10:11], v[4:5], v[0:1], v[8:9] op_sel:[0,0,1] op_sel_hi:[1,1,0] neg_lo:[0,0,1] neg_hi:[0,0,1]
	v_pk_fma_f32 v[4:5], v[4:5], v[0:1], v[8:9] op_sel:[0,0,1] op_sel_hi:[1,0,0]
	v_dual_mul_f32 v8, v7, v3 :: v_dual_mov_b32 v4, v7
	s_delay_alu instid0(VALU_DEP_2) | instskip(NEXT) | instid1(VALU_DEP_2)
	v_dual_mov_b32 v11, v5 :: v_dual_mov_b32 v5, v6
	v_pk_fma_f32 v[8:9], v[6:7], v[40:41], v[8:9] op_sel_hi:[1,1,0] neg_lo:[0,0,1] neg_hi:[0,0,1]
	v_mul_f32_e32 v6, v7, v0
	s_delay_alu instid0(VALU_DEP_3) | instskip(NEXT) | instid1(VALU_DEP_2)
	v_pk_add_f32 v[206:207], v[206:207], v[10:11] neg_lo:[0,1] neg_hi:[0,1]
	v_pk_fma_f32 v[4:5], v[4:5], v[40:41], v[6:7] op_sel_hi:[1,1,0]
	s_delay_alu instid0(VALU_DEP_1) | instskip(SKIP_4) | instid1(VALU_DEP_1)
	v_mov_b32_e32 v9, v5
	ds_load_2addr_b64 v[4:7], v196 offset0:53 offset1:54
	v_pk_add_f32 v[228:229], v[228:229], v[8:9] neg_lo:[0,1] neg_hi:[0,1]
	s_wait_dscnt 0x0
	v_pk_mul_f32 v[8:9], v[4:5], v[2:3] op_sel:[0,1]
	v_pk_fma_f32 v[10:11], v[4:5], v[0:1], v[8:9] op_sel:[0,0,1] op_sel_hi:[1,1,0] neg_lo:[0,0,1] neg_hi:[0,0,1]
	v_pk_fma_f32 v[4:5], v[4:5], v[0:1], v[8:9] op_sel:[0,0,1] op_sel_hi:[1,0,0]
	s_delay_alu instid0(VALU_DEP_1) | instskip(SKIP_1) | instid1(VALU_DEP_1)
	v_mov_b32_e32 v11, v5
	v_pk_mul_f32 v[4:5], v[6:7], v[2:3] op_sel:[0,1]
	v_pk_fma_f32 v[8:9], v[6:7], v[0:1], v[4:5] op_sel:[0,0,1] op_sel_hi:[1,1,0] neg_lo:[0,0,1] neg_hi:[0,0,1]
	v_pk_fma_f32 v[4:5], v[6:7], v[0:1], v[4:5] op_sel:[0,0,1] op_sel_hi:[1,0,0]
	s_delay_alu instid0(VALU_DEP_1)
	v_mov_b32_e32 v9, v5
	ds_load_2addr_b64 v[4:7], v196 offset0:55 offset1:56
	v_pk_add_f32 v[224:225], v[224:225], v[10:11] neg_lo:[0,1] neg_hi:[0,1]
	v_pk_add_f32 v[226:227], v[226:227], v[8:9] neg_lo:[0,1] neg_hi:[0,1]
	s_wait_dscnt 0x0
	v_pk_mul_f32 v[8:9], v[4:5], v[2:3] op_sel:[0,1]
	s_delay_alu instid0(VALU_DEP_1) | instskip(SKIP_1) | instid1(VALU_DEP_1)
	v_pk_fma_f32 v[10:11], v[4:5], v[0:1], v[8:9] op_sel:[0,0,1] op_sel_hi:[1,1,0] neg_lo:[0,0,1] neg_hi:[0,0,1]
	v_pk_fma_f32 v[4:5], v[4:5], v[0:1], v[8:9] op_sel:[0,0,1] op_sel_hi:[1,0,0]
	v_mov_b32_e32 v11, v5
	v_pk_mul_f32 v[4:5], v[6:7], v[2:3] op_sel:[0,1]
	s_delay_alu instid0(VALU_DEP_1) | instskip(SKIP_1) | instid1(VALU_DEP_1)
	v_pk_fma_f32 v[8:9], v[6:7], v[0:1], v[4:5] op_sel:[0,0,1] op_sel_hi:[1,1,0] neg_lo:[0,0,1] neg_hi:[0,0,1]
	v_pk_fma_f32 v[4:5], v[6:7], v[0:1], v[4:5] op_sel:[0,0,1] op_sel_hi:[1,0,0]
	v_mov_b32_e32 v9, v5
	ds_load_b64 v[4:5], v196 offset:456
	v_pk_add_f32 v[222:223], v[222:223], v[10:11] neg_lo:[0,1] neg_hi:[0,1]
	v_pk_add_f32 v[230:231], v[230:231], v[8:9] neg_lo:[0,1] neg_hi:[0,1]
	s_wait_dscnt 0x0
	v_pk_mul_f32 v[2:3], v[4:5], v[2:3] op_sel:[0,1]
	s_delay_alu instid0(VALU_DEP_1) | instskip(SKIP_1) | instid1(VALU_DEP_1)
	v_pk_fma_f32 v[6:7], v[4:5], v[0:1], v[2:3] op_sel:[0,0,1] op_sel_hi:[1,1,0] neg_lo:[0,0,1] neg_hi:[0,0,1]
	v_pk_fma_f32 v[0:1], v[4:5], v[0:1], v[2:3] op_sel:[0,0,1] op_sel_hi:[1,0,0]
	v_mov_b32_e32 v7, v1
	s_delay_alu instid0(VALU_DEP_1)
	v_pk_add_f32 v[232:233], v[232:233], v[6:7] neg_lo:[0,1] neg_hi:[0,1]
.LBB115_82:
	s_wait_xcnt 0x0
	s_or_b32 exec_lo, exec_lo, s1
	s_delay_alu instid0(SALU_CYCLE_1)
	s_mov_b32 s2, exec_lo
	s_wait_storecnt 0x0
	s_barrier_signal -1
	s_barrier_wait -1
	v_cmpx_eq_u32_e32 9, v186
	s_cbranch_execz .LBB115_89
; %bb.83:
	v_dual_mov_b32 v0, v38 :: v_dual_mov_b32 v1, v39
	v_dual_mov_b32 v2, v34 :: v_dual_mov_b32 v3, v35
	ds_store_b64 v187, v[36:37]
	ds_store_2addr_b64 v196, v[0:1], v[2:3] offset0:10 offset1:11
	v_dual_mov_b32 v0, v64 :: v_dual_mov_b32 v1, v65
	v_dual_mov_b32 v2, v60 :: v_dual_mov_b32 v3, v61
	ds_store_2addr_b64 v196, v[0:1], v[2:3] offset0:12 offset1:13
	v_dual_mov_b32 v0, v62 :: v_dual_mov_b32 v1, v63
	v_dual_mov_b32 v2, v58 :: v_dual_mov_b32 v3, v59
	;; [unrolled: 3-line block ×22, first 2 shown]
	ds_store_2addr_b64 v196, v[0:1], v[2:3] offset0:54 offset1:55
	v_dual_mov_b32 v0, v230 :: v_dual_mov_b32 v1, v231
	ds_store_2addr_b64 v196, v[0:1], v[232:233] offset0:56 offset1:57
	ds_load_b64 v[0:1], v187
	s_wait_dscnt 0x0
	v_cmp_neq_f32_e32 vcc_lo, 0, v0
	v_cmp_neq_f32_e64 s1, 0, v1
	s_or_b32 s1, vcc_lo, s1
	s_delay_alu instid0(SALU_CYCLE_1)
	s_and_b32 exec_lo, exec_lo, s1
	s_cbranch_execz .LBB115_89
; %bb.84:
	v_cmp_ngt_f32_e64 s1, |v0|, |v1|
                                        ; implicit-def: $vgpr2_vgpr3
	s_and_saveexec_b32 s4, s1
	s_delay_alu instid0(SALU_CYCLE_1)
	s_xor_b32 s1, exec_lo, s4
	s_cbranch_execz .LBB115_86
; %bb.85:
	v_div_scale_f32 v2, null, v1, v1, v0
	v_div_scale_f32 v5, vcc_lo, v0, v1, v0
	s_delay_alu instid0(VALU_DEP_2) | instskip(SKIP_1) | instid1(TRANS32_DEP_1)
	v_rcp_f32_e32 v3, v2
	v_nop
	v_fma_f32 v4, -v2, v3, 1.0
	s_delay_alu instid0(VALU_DEP_1) | instskip(NEXT) | instid1(VALU_DEP_1)
	v_fmac_f32_e32 v3, v4, v3
	v_mul_f32_e32 v4, v5, v3
	s_delay_alu instid0(VALU_DEP_1) | instskip(NEXT) | instid1(VALU_DEP_1)
	v_fma_f32 v6, -v2, v4, v5
	v_fmac_f32_e32 v4, v6, v3
	s_delay_alu instid0(VALU_DEP_1) | instskip(NEXT) | instid1(VALU_DEP_1)
	v_fma_f32 v2, -v2, v4, v5
	v_div_fmas_f32 v2, v2, v3, v4
	s_delay_alu instid0(VALU_DEP_1) | instskip(NEXT) | instid1(VALU_DEP_1)
	v_div_fixup_f32 v2, v2, v1, v0
	v_fmac_f32_e32 v1, v0, v2
	s_delay_alu instid0(VALU_DEP_1) | instskip(SKIP_1) | instid1(VALU_DEP_2)
	v_div_scale_f32 v0, null, v1, v1, 1.0
	v_div_scale_f32 v5, vcc_lo, 1.0, v1, 1.0
	v_rcp_f32_e32 v3, v0
	v_nop
	s_delay_alu instid0(TRANS32_DEP_1) | instskip(NEXT) | instid1(VALU_DEP_1)
	v_fma_f32 v4, -v0, v3, 1.0
	v_fmac_f32_e32 v3, v4, v3
	s_delay_alu instid0(VALU_DEP_1) | instskip(NEXT) | instid1(VALU_DEP_1)
	v_mul_f32_e32 v4, v5, v3
	v_fma_f32 v6, -v0, v4, v5
	s_delay_alu instid0(VALU_DEP_1) | instskip(NEXT) | instid1(VALU_DEP_1)
	v_fmac_f32_e32 v4, v6, v3
	v_fma_f32 v0, -v0, v4, v5
	s_delay_alu instid0(VALU_DEP_1) | instskip(NEXT) | instid1(VALU_DEP_1)
	v_div_fmas_f32 v0, v0, v3, v4
	v_div_fixup_f32 v0, v0, v1, 1.0
	s_delay_alu instid0(VALU_DEP_1)
	v_mul_f32_e32 v2, v2, v0
	v_xor_b32_e32 v3, 0x80000000, v0
                                        ; implicit-def: $vgpr0_vgpr1
.LBB115_86:
	s_and_not1_saveexec_b32 s1, s1
	s_cbranch_execz .LBB115_88
; %bb.87:
	v_div_scale_f32 v2, null, v0, v0, v1
	v_div_scale_f32 v5, vcc_lo, v1, v0, v1
	s_delay_alu instid0(VALU_DEP_2) | instskip(SKIP_1) | instid1(TRANS32_DEP_1)
	v_rcp_f32_e32 v3, v2
	v_nop
	v_fma_f32 v4, -v2, v3, 1.0
	s_delay_alu instid0(VALU_DEP_1) | instskip(NEXT) | instid1(VALU_DEP_1)
	v_fmac_f32_e32 v3, v4, v3
	v_mul_f32_e32 v4, v5, v3
	s_delay_alu instid0(VALU_DEP_1) | instskip(NEXT) | instid1(VALU_DEP_1)
	v_fma_f32 v6, -v2, v4, v5
	v_fmac_f32_e32 v4, v6, v3
	s_delay_alu instid0(VALU_DEP_1) | instskip(NEXT) | instid1(VALU_DEP_1)
	v_fma_f32 v2, -v2, v4, v5
	v_div_fmas_f32 v2, v2, v3, v4
	s_delay_alu instid0(VALU_DEP_1) | instskip(NEXT) | instid1(VALU_DEP_1)
	v_div_fixup_f32 v3, v2, v0, v1
	v_fmac_f32_e32 v0, v1, v3
	s_delay_alu instid0(VALU_DEP_1) | instskip(NEXT) | instid1(VALU_DEP_1)
	v_div_scale_f32 v1, null, v0, v0, 1.0
	v_rcp_f32_e32 v2, v1
	v_nop
	s_delay_alu instid0(TRANS32_DEP_1) | instskip(NEXT) | instid1(VALU_DEP_1)
	v_fma_f32 v4, -v1, v2, 1.0
	v_fmac_f32_e32 v2, v4, v2
	v_div_scale_f32 v4, vcc_lo, 1.0, v0, 1.0
	s_delay_alu instid0(VALU_DEP_1) | instskip(NEXT) | instid1(VALU_DEP_1)
	v_mul_f32_e32 v5, v4, v2
	v_fma_f32 v6, -v1, v5, v4
	s_delay_alu instid0(VALU_DEP_1) | instskip(NEXT) | instid1(VALU_DEP_1)
	v_fmac_f32_e32 v5, v6, v2
	v_fma_f32 v1, -v1, v5, v4
	s_delay_alu instid0(VALU_DEP_1) | instskip(NEXT) | instid1(VALU_DEP_1)
	v_div_fmas_f32 v1, v1, v2, v5
	v_div_fixup_f32 v2, v1, v0, 1.0
	s_delay_alu instid0(VALU_DEP_1)
	v_mul_f32_e64 v3, v3, -v2
.LBB115_88:
	s_or_b32 exec_lo, exec_lo, s1
	ds_store_b64 v187, v[2:3]
.LBB115_89:
	s_or_b32 exec_lo, exec_lo, s2
	s_wait_dscnt 0x0
	s_barrier_signal -1
	s_barrier_wait -1
	ds_load_b64 v[0:1], v187
	s_mov_b32 s1, exec_lo
	s_wait_dscnt 0x0
	scratch_store_b64 off, v[0:1], off offset:400 ; 8-byte Folded Spill
	s_wait_xcnt 0x0
	v_cmpx_lt_u32_e32 9, v186
	s_cbranch_execz .LBB115_91
; %bb.90:
	scratch_load_b64 v[4:5], off, off offset:400 ; 8-byte Folded Reload
	s_wait_loadcnt 0x0
	v_pk_mul_f32 v[2:3], v[4:5], v[36:37] op_sel:[1,1] op_sel_hi:[0,1]
	s_delay_alu instid0(VALU_DEP_1)
	v_pk_fma_f32 v[0:1], v[4:5], v[36:37], v[2:3] op_sel_hi:[1,0,1] neg_lo:[0,0,1] neg_hi:[0,0,1]
	v_pk_fma_f32 v[2:3], v[4:5], v[36:37], v[2:3] op_sel_hi:[1,0,1]
	ds_load_2addr_b64 v[4:7], v196 offset0:10 offset1:11
	v_dual_mov_b32 v36, v0 :: v_dual_mov_b32 v37, v3
	s_wait_dscnt 0x0
	v_pk_mul_f32 v[8:9], v[4:5], v[2:3] op_sel:[0,1]
	s_delay_alu instid0(VALU_DEP_1) | instskip(SKIP_1) | instid1(VALU_DEP_1)
	v_pk_fma_f32 v[10:11], v[4:5], v[0:1], v[8:9] op_sel:[0,0,1] op_sel_hi:[1,1,0] neg_lo:[0,0,1] neg_hi:[0,0,1]
	v_pk_fma_f32 v[4:5], v[4:5], v[0:1], v[8:9] op_sel:[0,0,1] op_sel_hi:[1,0,0]
	v_mov_b32_e32 v11, v5
	v_pk_mul_f32 v[4:5], v[6:7], v[2:3] op_sel:[0,1]
	s_delay_alu instid0(VALU_DEP_1) | instskip(SKIP_1) | instid1(VALU_DEP_1)
	v_pk_fma_f32 v[8:9], v[6:7], v[0:1], v[4:5] op_sel:[0,0,1] op_sel_hi:[1,1,0] neg_lo:[0,0,1] neg_hi:[0,0,1]
	v_pk_fma_f32 v[4:5], v[6:7], v[0:1], v[4:5] op_sel:[0,0,1] op_sel_hi:[1,0,0]
	v_mov_b32_e32 v9, v5
	ds_load_2addr_b64 v[4:7], v196 offset0:12 offset1:13
	v_pk_add_f32 v[38:39], v[38:39], v[10:11] neg_lo:[0,1] neg_hi:[0,1]
	v_pk_add_f32 v[34:35], v[34:35], v[8:9] neg_lo:[0,1] neg_hi:[0,1]
	s_wait_dscnt 0x0
	v_pk_mul_f32 v[8:9], v[4:5], v[2:3] op_sel:[0,1]
	s_delay_alu instid0(VALU_DEP_1) | instskip(SKIP_2) | instid1(VALU_DEP_2)
	v_pk_fma_f32 v[10:11], v[4:5], v[0:1], v[8:9] op_sel:[0,0,1] op_sel_hi:[1,1,0] neg_lo:[0,0,1] neg_hi:[0,0,1]
	v_pk_fma_f32 v[4:5], v[4:5], v[0:1], v[8:9] op_sel:[0,0,1] op_sel_hi:[1,0,0]
	v_dual_mul_f32 v8, v7, v3 :: v_dual_mov_b32 v4, v7
	v_dual_mov_b32 v11, v5 :: v_dual_mov_b32 v5, v6
	s_delay_alu instid0(VALU_DEP_2) | instskip(SKIP_1) | instid1(VALU_DEP_3)
	v_pk_fma_f32 v[8:9], v[6:7], v[36:37], v[8:9] op_sel_hi:[1,1,0] neg_lo:[0,0,1] neg_hi:[0,0,1]
	v_mul_f32_e32 v6, v7, v0
	v_pk_add_f32 v[64:65], v[64:65], v[10:11] neg_lo:[0,1] neg_hi:[0,1]
	s_delay_alu instid0(VALU_DEP_2) | instskip(NEXT) | instid1(VALU_DEP_1)
	v_pk_fma_f32 v[4:5], v[4:5], v[36:37], v[6:7] op_sel_hi:[1,1,0]
	v_mov_b32_e32 v9, v5
	ds_load_2addr_b64 v[4:7], v196 offset0:14 offset1:15
	v_pk_add_f32 v[60:61], v[60:61], v[8:9] neg_lo:[0,1] neg_hi:[0,1]
	s_wait_dscnt 0x0
	v_pk_mul_f32 v[8:9], v[4:5], v[2:3] op_sel:[0,1]
	s_delay_alu instid0(VALU_DEP_1) | instskip(SKIP_1) | instid1(VALU_DEP_1)
	v_pk_fma_f32 v[10:11], v[4:5], v[0:1], v[8:9] op_sel:[0,0,1] op_sel_hi:[1,1,0] neg_lo:[0,0,1] neg_hi:[0,0,1]
	v_pk_fma_f32 v[4:5], v[4:5], v[0:1], v[8:9] op_sel:[0,0,1] op_sel_hi:[1,0,0]
	v_mov_b32_e32 v11, v5
	v_pk_mul_f32 v[4:5], v[6:7], v[2:3] op_sel:[0,1]
	s_delay_alu instid0(VALU_DEP_1) | instskip(SKIP_1) | instid1(VALU_DEP_1)
	v_pk_fma_f32 v[8:9], v[6:7], v[0:1], v[4:5] op_sel:[0,0,1] op_sel_hi:[1,1,0] neg_lo:[0,0,1] neg_hi:[0,0,1]
	v_pk_fma_f32 v[4:5], v[6:7], v[0:1], v[4:5] op_sel:[0,0,1] op_sel_hi:[1,0,0]
	v_mov_b32_e32 v9, v5
	ds_load_2addr_b64 v[4:7], v196 offset0:16 offset1:17
	v_pk_add_f32 v[62:63], v[62:63], v[10:11] neg_lo:[0,1] neg_hi:[0,1]
	v_pk_add_f32 v[58:59], v[58:59], v[8:9] neg_lo:[0,1] neg_hi:[0,1]
	s_wait_dscnt 0x0
	v_pk_mul_f32 v[8:9], v[4:5], v[2:3] op_sel:[0,1]
	s_delay_alu instid0(VALU_DEP_1) | instskip(SKIP_1) | instid1(VALU_DEP_1)
	v_pk_fma_f32 v[10:11], v[4:5], v[0:1], v[8:9] op_sel:[0,0,1] op_sel_hi:[1,1,0] neg_lo:[0,0,1] neg_hi:[0,0,1]
	v_pk_fma_f32 v[4:5], v[4:5], v[0:1], v[8:9] op_sel:[0,0,1] op_sel_hi:[1,0,0]
	v_mov_b32_e32 v11, v5
	v_pk_mul_f32 v[4:5], v[6:7], v[2:3] op_sel:[0,1]
	s_delay_alu instid0(VALU_DEP_1) | instskip(SKIP_1) | instid1(VALU_DEP_1)
	v_pk_fma_f32 v[8:9], v[6:7], v[0:1], v[4:5] op_sel:[0,0,1] op_sel_hi:[1,1,0] neg_lo:[0,0,1] neg_hi:[0,0,1]
	v_pk_fma_f32 v[4:5], v[6:7], v[0:1], v[4:5] op_sel:[0,0,1] op_sel_hi:[1,0,0]
	v_mov_b32_e32 v9, v5
	ds_load_2addr_b64 v[4:7], v196 offset0:18 offset1:19
	v_pk_add_f32 v[82:83], v[82:83], v[10:11] neg_lo:[0,1] neg_hi:[0,1]
	v_pk_add_f32 v[78:79], v[78:79], v[8:9] neg_lo:[0,1] neg_hi:[0,1]
	s_wait_dscnt 0x0
	v_dual_mul_f32 v8, v5, v3 :: v_dual_mul_f32 v10, v5, v0
	s_delay_alu instid0(VALU_DEP_1) | instskip(NEXT) | instid1(VALU_DEP_2)
	v_pk_fma_f32 v[8:9], v[4:5], v[36:37], v[8:9] op_sel_hi:[1,1,0] neg_lo:[0,0,1] neg_hi:[0,0,1]
	v_pk_fma_f32 v[4:5], v[4:5], v[36:37], v[10:11] op_sel:[1,0,0] op_sel_hi:[0,1,0]
	s_delay_alu instid0(VALU_DEP_1) | instskip(SKIP_1) | instid1(VALU_DEP_2)
	v_mov_b32_e32 v9, v5
	v_pk_mul_f32 v[4:5], v[6:7], v[2:3] op_sel:[0,1]
	v_pk_add_f32 v[80:81], v[80:81], v[8:9] neg_lo:[0,1] neg_hi:[0,1]
	s_delay_alu instid0(VALU_DEP_2) | instskip(SKIP_1) | instid1(VALU_DEP_1)
	v_pk_fma_f32 v[8:9], v[6:7], v[0:1], v[4:5] op_sel:[0,0,1] op_sel_hi:[1,1,0] neg_lo:[0,0,1] neg_hi:[0,0,1]
	v_pk_fma_f32 v[4:5], v[6:7], v[0:1], v[4:5] op_sel:[0,0,1] op_sel_hi:[1,0,0]
	v_mov_b32_e32 v9, v5
	ds_load_2addr_b64 v[4:7], v196 offset0:20 offset1:21
	v_pk_add_f32 v[76:77], v[76:77], v[8:9] neg_lo:[0,1] neg_hi:[0,1]
	s_wait_dscnt 0x0
	v_pk_mul_f32 v[8:9], v[4:5], v[2:3] op_sel:[0,1]
	s_delay_alu instid0(VALU_DEP_1) | instskip(SKIP_1) | instid1(VALU_DEP_1)
	v_pk_fma_f32 v[10:11], v[4:5], v[0:1], v[8:9] op_sel:[0,0,1] op_sel_hi:[1,1,0] neg_lo:[0,0,1] neg_hi:[0,0,1]
	v_pk_fma_f32 v[4:5], v[4:5], v[0:1], v[8:9] op_sel:[0,0,1] op_sel_hi:[1,0,0]
	v_mov_b32_e32 v11, v5
	v_pk_mul_f32 v[4:5], v[6:7], v[2:3] op_sel:[0,1]
	s_delay_alu instid0(VALU_DEP_2) | instskip(NEXT) | instid1(VALU_DEP_2)
	v_pk_add_f32 v[98:99], v[98:99], v[10:11] neg_lo:[0,1] neg_hi:[0,1]
	v_pk_fma_f32 v[8:9], v[6:7], v[0:1], v[4:5] op_sel:[0,0,1] op_sel_hi:[1,1,0] neg_lo:[0,0,1] neg_hi:[0,0,1]
	v_pk_fma_f32 v[4:5], v[6:7], v[0:1], v[4:5] op_sel:[0,0,1] op_sel_hi:[1,0,0]
	s_delay_alu instid0(VALU_DEP_1) | instskip(SKIP_4) | instid1(VALU_DEP_1)
	v_mov_b32_e32 v9, v5
	ds_load_2addr_b64 v[4:7], v196 offset0:22 offset1:23
	v_pk_add_f32 v[94:95], v[94:95], v[8:9] neg_lo:[0,1] neg_hi:[0,1]
	s_wait_dscnt 0x0
	v_pk_mul_f32 v[8:9], v[4:5], v[2:3] op_sel:[0,1]
	v_pk_fma_f32 v[10:11], v[4:5], v[0:1], v[8:9] op_sel:[0,0,1] op_sel_hi:[1,1,0] neg_lo:[0,0,1] neg_hi:[0,0,1]
	v_pk_fma_f32 v[4:5], v[4:5], v[0:1], v[8:9] op_sel:[0,0,1] op_sel_hi:[1,0,0]
	v_dual_mul_f32 v8, v7, v3 :: v_dual_mov_b32 v4, v7
	s_delay_alu instid0(VALU_DEP_2) | instskip(NEXT) | instid1(VALU_DEP_2)
	v_dual_mov_b32 v11, v5 :: v_dual_mov_b32 v5, v6
	v_pk_fma_f32 v[8:9], v[6:7], v[36:37], v[8:9] op_sel_hi:[1,1,0] neg_lo:[0,0,1] neg_hi:[0,0,1]
	v_mul_f32_e32 v6, v7, v0
	s_delay_alu instid0(VALU_DEP_3) | instskip(NEXT) | instid1(VALU_DEP_2)
	v_pk_add_f32 v[96:97], v[96:97], v[10:11] neg_lo:[0,1] neg_hi:[0,1]
	v_pk_fma_f32 v[4:5], v[4:5], v[36:37], v[6:7] op_sel_hi:[1,1,0]
	s_delay_alu instid0(VALU_DEP_1) | instskip(SKIP_4) | instid1(VALU_DEP_1)
	v_mov_b32_e32 v9, v5
	ds_load_2addr_b64 v[4:7], v196 offset0:24 offset1:25
	v_pk_add_f32 v[92:93], v[92:93], v[8:9] neg_lo:[0,1] neg_hi:[0,1]
	s_wait_dscnt 0x0
	v_pk_mul_f32 v[8:9], v[4:5], v[2:3] op_sel:[0,1]
	v_pk_fma_f32 v[10:11], v[4:5], v[0:1], v[8:9] op_sel:[0,0,1] op_sel_hi:[1,1,0] neg_lo:[0,0,1] neg_hi:[0,0,1]
	v_pk_fma_f32 v[4:5], v[4:5], v[0:1], v[8:9] op_sel:[0,0,1] op_sel_hi:[1,0,0]
	s_delay_alu instid0(VALU_DEP_1) | instskip(SKIP_1) | instid1(VALU_DEP_1)
	v_mov_b32_e32 v11, v5
	v_pk_mul_f32 v[4:5], v[6:7], v[2:3] op_sel:[0,1]
	v_pk_fma_f32 v[8:9], v[6:7], v[0:1], v[4:5] op_sel:[0,0,1] op_sel_hi:[1,1,0] neg_lo:[0,0,1] neg_hi:[0,0,1]
	v_pk_fma_f32 v[4:5], v[6:7], v[0:1], v[4:5] op_sel:[0,0,1] op_sel_hi:[1,0,0]
	s_delay_alu instid0(VALU_DEP_1)
	v_mov_b32_e32 v9, v5
	ds_load_2addr_b64 v[4:7], v196 offset0:26 offset1:27
	v_pk_add_f32 v[114:115], v[114:115], v[10:11] neg_lo:[0,1] neg_hi:[0,1]
	v_pk_add_f32 v[110:111], v[110:111], v[8:9] neg_lo:[0,1] neg_hi:[0,1]
	s_wait_dscnt 0x0
	v_pk_mul_f32 v[8:9], v[4:5], v[2:3] op_sel:[0,1]
	s_delay_alu instid0(VALU_DEP_1) | instskip(SKIP_1) | instid1(VALU_DEP_1)
	v_pk_fma_f32 v[10:11], v[4:5], v[0:1], v[8:9] op_sel:[0,0,1] op_sel_hi:[1,1,0] neg_lo:[0,0,1] neg_hi:[0,0,1]
	v_pk_fma_f32 v[4:5], v[4:5], v[0:1], v[8:9] op_sel:[0,0,1] op_sel_hi:[1,0,0]
	v_mov_b32_e32 v11, v5
	v_pk_mul_f32 v[4:5], v[6:7], v[2:3] op_sel:[0,1]
	s_delay_alu instid0(VALU_DEP_1) | instskip(SKIP_1) | instid1(VALU_DEP_1)
	v_pk_fma_f32 v[8:9], v[6:7], v[0:1], v[4:5] op_sel:[0,0,1] op_sel_hi:[1,1,0] neg_lo:[0,0,1] neg_hi:[0,0,1]
	v_pk_fma_f32 v[4:5], v[6:7], v[0:1], v[4:5] op_sel:[0,0,1] op_sel_hi:[1,0,0]
	v_mov_b32_e32 v9, v5
	ds_load_2addr_b64 v[4:7], v196 offset0:28 offset1:29
	v_pk_add_f32 v[112:113], v[112:113], v[10:11] neg_lo:[0,1] neg_hi:[0,1]
	v_pk_add_f32 v[108:109], v[108:109], v[8:9] neg_lo:[0,1] neg_hi:[0,1]
	s_wait_dscnt 0x0
	v_dual_mul_f32 v8, v5, v3 :: v_dual_mul_f32 v10, v5, v0
	s_delay_alu instid0(VALU_DEP_1) | instskip(NEXT) | instid1(VALU_DEP_2)
	v_pk_fma_f32 v[8:9], v[4:5], v[36:37], v[8:9] op_sel_hi:[1,1,0] neg_lo:[0,0,1] neg_hi:[0,0,1]
	v_pk_fma_f32 v[4:5], v[4:5], v[36:37], v[10:11] op_sel:[1,0,0] op_sel_hi:[0,1,0]
	s_delay_alu instid0(VALU_DEP_1) | instskip(SKIP_1) | instid1(VALU_DEP_2)
	v_mov_b32_e32 v9, v5
	v_pk_mul_f32 v[4:5], v[6:7], v[2:3] op_sel:[0,1]
	v_pk_add_f32 v[130:131], v[130:131], v[8:9] neg_lo:[0,1] neg_hi:[0,1]
	s_delay_alu instid0(VALU_DEP_2) | instskip(SKIP_1) | instid1(VALU_DEP_1)
	v_pk_fma_f32 v[8:9], v[6:7], v[0:1], v[4:5] op_sel:[0,0,1] op_sel_hi:[1,1,0] neg_lo:[0,0,1] neg_hi:[0,0,1]
	v_pk_fma_f32 v[4:5], v[6:7], v[0:1], v[4:5] op_sel:[0,0,1] op_sel_hi:[1,0,0]
	v_mov_b32_e32 v9, v5
	ds_load_2addr_b64 v[4:7], v196 offset0:30 offset1:31
	v_pk_add_f32 v[126:127], v[126:127], v[8:9] neg_lo:[0,1] neg_hi:[0,1]
	s_wait_dscnt 0x0
	v_pk_mul_f32 v[8:9], v[4:5], v[2:3] op_sel:[0,1]
	s_delay_alu instid0(VALU_DEP_1) | instskip(SKIP_1) | instid1(VALU_DEP_1)
	v_pk_fma_f32 v[10:11], v[4:5], v[0:1], v[8:9] op_sel:[0,0,1] op_sel_hi:[1,1,0] neg_lo:[0,0,1] neg_hi:[0,0,1]
	v_pk_fma_f32 v[4:5], v[4:5], v[0:1], v[8:9] op_sel:[0,0,1] op_sel_hi:[1,0,0]
	v_mov_b32_e32 v11, v5
	v_pk_mul_f32 v[4:5], v[6:7], v[2:3] op_sel:[0,1]
	s_delay_alu instid0(VALU_DEP_2) | instskip(NEXT) | instid1(VALU_DEP_2)
	v_pk_add_f32 v[128:129], v[128:129], v[10:11] neg_lo:[0,1] neg_hi:[0,1]
	v_pk_fma_f32 v[8:9], v[6:7], v[0:1], v[4:5] op_sel:[0,0,1] op_sel_hi:[1,1,0] neg_lo:[0,0,1] neg_hi:[0,0,1]
	v_pk_fma_f32 v[4:5], v[6:7], v[0:1], v[4:5] op_sel:[0,0,1] op_sel_hi:[1,0,0]
	s_delay_alu instid0(VALU_DEP_1) | instskip(SKIP_4) | instid1(VALU_DEP_1)
	v_mov_b32_e32 v9, v5
	ds_load_2addr_b64 v[4:7], v196 offset0:32 offset1:33
	v_pk_add_f32 v[124:125], v[124:125], v[8:9] neg_lo:[0,1] neg_hi:[0,1]
	s_wait_dscnt 0x0
	v_pk_mul_f32 v[8:9], v[4:5], v[2:3] op_sel:[0,1]
	v_pk_fma_f32 v[10:11], v[4:5], v[0:1], v[8:9] op_sel:[0,0,1] op_sel_hi:[1,1,0] neg_lo:[0,0,1] neg_hi:[0,0,1]
	v_pk_fma_f32 v[4:5], v[4:5], v[0:1], v[8:9] op_sel:[0,0,1] op_sel_hi:[1,0,0]
	v_dual_mul_f32 v8, v7, v3 :: v_dual_mov_b32 v4, v7
	s_delay_alu instid0(VALU_DEP_2) | instskip(NEXT) | instid1(VALU_DEP_2)
	v_dual_mov_b32 v11, v5 :: v_dual_mov_b32 v5, v6
	v_pk_fma_f32 v[8:9], v[6:7], v[36:37], v[8:9] op_sel_hi:[1,1,0] neg_lo:[0,0,1] neg_hi:[0,0,1]
	v_mul_f32_e32 v6, v7, v0
	s_delay_alu instid0(VALU_DEP_3) | instskip(NEXT) | instid1(VALU_DEP_2)
	v_pk_add_f32 v[146:147], v[146:147], v[10:11] neg_lo:[0,1] neg_hi:[0,1]
	v_pk_fma_f32 v[4:5], v[4:5], v[36:37], v[6:7] op_sel_hi:[1,1,0]
	s_delay_alu instid0(VALU_DEP_1) | instskip(SKIP_4) | instid1(VALU_DEP_1)
	v_mov_b32_e32 v9, v5
	ds_load_2addr_b64 v[4:7], v196 offset0:34 offset1:35
	v_pk_add_f32 v[142:143], v[142:143], v[8:9] neg_lo:[0,1] neg_hi:[0,1]
	s_wait_dscnt 0x0
	v_pk_mul_f32 v[8:9], v[4:5], v[2:3] op_sel:[0,1]
	v_pk_fma_f32 v[10:11], v[4:5], v[0:1], v[8:9] op_sel:[0,0,1] op_sel_hi:[1,1,0] neg_lo:[0,0,1] neg_hi:[0,0,1]
	v_pk_fma_f32 v[4:5], v[4:5], v[0:1], v[8:9] op_sel:[0,0,1] op_sel_hi:[1,0,0]
	s_delay_alu instid0(VALU_DEP_1) | instskip(SKIP_1) | instid1(VALU_DEP_1)
	v_mov_b32_e32 v11, v5
	v_pk_mul_f32 v[4:5], v[6:7], v[2:3] op_sel:[0,1]
	v_pk_fma_f32 v[8:9], v[6:7], v[0:1], v[4:5] op_sel:[0,0,1] op_sel_hi:[1,1,0] neg_lo:[0,0,1] neg_hi:[0,0,1]
	v_pk_fma_f32 v[4:5], v[6:7], v[0:1], v[4:5] op_sel:[0,0,1] op_sel_hi:[1,0,0]
	s_delay_alu instid0(VALU_DEP_1)
	v_mov_b32_e32 v9, v5
	ds_load_2addr_b64 v[4:7], v196 offset0:36 offset1:37
	v_pk_add_f32 v[144:145], v[144:145], v[10:11] neg_lo:[0,1] neg_hi:[0,1]
	v_pk_add_f32 v[140:141], v[140:141], v[8:9] neg_lo:[0,1] neg_hi:[0,1]
	s_wait_dscnt 0x0
	v_pk_mul_f32 v[8:9], v[4:5], v[2:3] op_sel:[0,1]
	s_delay_alu instid0(VALU_DEP_1) | instskip(SKIP_1) | instid1(VALU_DEP_1)
	v_pk_fma_f32 v[10:11], v[4:5], v[0:1], v[8:9] op_sel:[0,0,1] op_sel_hi:[1,1,0] neg_lo:[0,0,1] neg_hi:[0,0,1]
	v_pk_fma_f32 v[4:5], v[4:5], v[0:1], v[8:9] op_sel:[0,0,1] op_sel_hi:[1,0,0]
	v_mov_b32_e32 v11, v5
	v_pk_mul_f32 v[4:5], v[6:7], v[2:3] op_sel:[0,1]
	s_delay_alu instid0(VALU_DEP_1) | instskip(SKIP_1) | instid1(VALU_DEP_1)
	v_pk_fma_f32 v[8:9], v[6:7], v[0:1], v[4:5] op_sel:[0,0,1] op_sel_hi:[1,1,0] neg_lo:[0,0,1] neg_hi:[0,0,1]
	v_pk_fma_f32 v[4:5], v[6:7], v[0:1], v[4:5] op_sel:[0,0,1] op_sel_hi:[1,0,0]
	v_mov_b32_e32 v9, v5
	ds_load_2addr_b64 v[4:7], v196 offset0:38 offset1:39
	v_pk_add_f32 v[162:163], v[162:163], v[10:11] neg_lo:[0,1] neg_hi:[0,1]
	v_pk_add_f32 v[158:159], v[158:159], v[8:9] neg_lo:[0,1] neg_hi:[0,1]
	s_wait_dscnt 0x0
	v_dual_mul_f32 v8, v5, v3 :: v_dual_mul_f32 v10, v5, v0
	s_delay_alu instid0(VALU_DEP_1) | instskip(NEXT) | instid1(VALU_DEP_2)
	v_pk_fma_f32 v[8:9], v[4:5], v[36:37], v[8:9] op_sel_hi:[1,1,0] neg_lo:[0,0,1] neg_hi:[0,0,1]
	v_pk_fma_f32 v[4:5], v[4:5], v[36:37], v[10:11] op_sel:[1,0,0] op_sel_hi:[0,1,0]
	s_delay_alu instid0(VALU_DEP_1) | instskip(SKIP_1) | instid1(VALU_DEP_2)
	v_mov_b32_e32 v9, v5
	v_pk_mul_f32 v[4:5], v[6:7], v[2:3] op_sel:[0,1]
	v_pk_add_f32 v[160:161], v[160:161], v[8:9] neg_lo:[0,1] neg_hi:[0,1]
	s_delay_alu instid0(VALU_DEP_2) | instskip(SKIP_1) | instid1(VALU_DEP_1)
	v_pk_fma_f32 v[8:9], v[6:7], v[0:1], v[4:5] op_sel:[0,0,1] op_sel_hi:[1,1,0] neg_lo:[0,0,1] neg_hi:[0,0,1]
	v_pk_fma_f32 v[4:5], v[6:7], v[0:1], v[4:5] op_sel:[0,0,1] op_sel_hi:[1,0,0]
	v_mov_b32_e32 v9, v5
	ds_load_2addr_b64 v[4:7], v196 offset0:40 offset1:41
	v_pk_add_f32 v[156:157], v[156:157], v[8:9] neg_lo:[0,1] neg_hi:[0,1]
	s_wait_dscnt 0x0
	v_pk_mul_f32 v[8:9], v[4:5], v[2:3] op_sel:[0,1]
	s_delay_alu instid0(VALU_DEP_1) | instskip(SKIP_1) | instid1(VALU_DEP_1)
	v_pk_fma_f32 v[10:11], v[4:5], v[0:1], v[8:9] op_sel:[0,0,1] op_sel_hi:[1,1,0] neg_lo:[0,0,1] neg_hi:[0,0,1]
	v_pk_fma_f32 v[4:5], v[4:5], v[0:1], v[8:9] op_sel:[0,0,1] op_sel_hi:[1,0,0]
	v_mov_b32_e32 v11, v5
	v_pk_mul_f32 v[4:5], v[6:7], v[2:3] op_sel:[0,1]
	s_delay_alu instid0(VALU_DEP_2) | instskip(NEXT) | instid1(VALU_DEP_2)
	v_pk_add_f32 v[178:179], v[178:179], v[10:11] neg_lo:[0,1] neg_hi:[0,1]
	v_pk_fma_f32 v[8:9], v[6:7], v[0:1], v[4:5] op_sel:[0,0,1] op_sel_hi:[1,1,0] neg_lo:[0,0,1] neg_hi:[0,0,1]
	v_pk_fma_f32 v[4:5], v[6:7], v[0:1], v[4:5] op_sel:[0,0,1] op_sel_hi:[1,0,0]
	s_delay_alu instid0(VALU_DEP_1) | instskip(SKIP_4) | instid1(VALU_DEP_1)
	v_mov_b32_e32 v9, v5
	ds_load_2addr_b64 v[4:7], v196 offset0:42 offset1:43
	v_pk_add_f32 v[174:175], v[174:175], v[8:9] neg_lo:[0,1] neg_hi:[0,1]
	s_wait_dscnt 0x0
	v_pk_mul_f32 v[8:9], v[4:5], v[2:3] op_sel:[0,1]
	v_pk_fma_f32 v[10:11], v[4:5], v[0:1], v[8:9] op_sel:[0,0,1] op_sel_hi:[1,1,0] neg_lo:[0,0,1] neg_hi:[0,0,1]
	v_pk_fma_f32 v[4:5], v[4:5], v[0:1], v[8:9] op_sel:[0,0,1] op_sel_hi:[1,0,0]
	v_dual_mul_f32 v8, v7, v3 :: v_dual_mov_b32 v4, v7
	s_delay_alu instid0(VALU_DEP_2) | instskip(NEXT) | instid1(VALU_DEP_2)
	v_dual_mov_b32 v11, v5 :: v_dual_mov_b32 v5, v6
	v_pk_fma_f32 v[8:9], v[6:7], v[36:37], v[8:9] op_sel_hi:[1,1,0] neg_lo:[0,0,1] neg_hi:[0,0,1]
	v_mul_f32_e32 v6, v7, v0
	s_delay_alu instid0(VALU_DEP_3) | instskip(NEXT) | instid1(VALU_DEP_2)
	v_pk_add_f32 v[176:177], v[176:177], v[10:11] neg_lo:[0,1] neg_hi:[0,1]
	v_pk_fma_f32 v[4:5], v[4:5], v[36:37], v[6:7] op_sel_hi:[1,1,0]
	s_delay_alu instid0(VALU_DEP_1) | instskip(SKIP_4) | instid1(VALU_DEP_1)
	v_mov_b32_e32 v9, v5
	ds_load_2addr_b64 v[4:7], v196 offset0:44 offset1:45
	v_pk_add_f32 v[172:173], v[172:173], v[8:9] neg_lo:[0,1] neg_hi:[0,1]
	s_wait_dscnt 0x0
	v_pk_mul_f32 v[8:9], v[4:5], v[2:3] op_sel:[0,1]
	v_pk_fma_f32 v[10:11], v[4:5], v[0:1], v[8:9] op_sel:[0,0,1] op_sel_hi:[1,1,0] neg_lo:[0,0,1] neg_hi:[0,0,1]
	v_pk_fma_f32 v[4:5], v[4:5], v[0:1], v[8:9] op_sel:[0,0,1] op_sel_hi:[1,0,0]
	s_delay_alu instid0(VALU_DEP_1) | instskip(SKIP_1) | instid1(VALU_DEP_1)
	v_mov_b32_e32 v11, v5
	v_pk_mul_f32 v[4:5], v[6:7], v[2:3] op_sel:[0,1]
	v_pk_fma_f32 v[8:9], v[6:7], v[0:1], v[4:5] op_sel:[0,0,1] op_sel_hi:[1,1,0] neg_lo:[0,0,1] neg_hi:[0,0,1]
	v_pk_fma_f32 v[4:5], v[6:7], v[0:1], v[4:5] op_sel:[0,0,1] op_sel_hi:[1,0,0]
	s_delay_alu instid0(VALU_DEP_1)
	v_mov_b32_e32 v9, v5
	ds_load_2addr_b64 v[4:7], v196 offset0:46 offset1:47
	v_pk_add_f32 v[194:195], v[194:195], v[10:11] neg_lo:[0,1] neg_hi:[0,1]
	v_pk_add_f32 v[190:191], v[190:191], v[8:9] neg_lo:[0,1] neg_hi:[0,1]
	s_wait_dscnt 0x0
	v_pk_mul_f32 v[8:9], v[4:5], v[2:3] op_sel:[0,1]
	s_delay_alu instid0(VALU_DEP_1) | instskip(SKIP_1) | instid1(VALU_DEP_1)
	v_pk_fma_f32 v[10:11], v[4:5], v[0:1], v[8:9] op_sel:[0,0,1] op_sel_hi:[1,1,0] neg_lo:[0,0,1] neg_hi:[0,0,1]
	v_pk_fma_f32 v[4:5], v[4:5], v[0:1], v[8:9] op_sel:[0,0,1] op_sel_hi:[1,0,0]
	v_mov_b32_e32 v11, v5
	v_pk_mul_f32 v[4:5], v[6:7], v[2:3] op_sel:[0,1]
	s_delay_alu instid0(VALU_DEP_1) | instskip(SKIP_1) | instid1(VALU_DEP_1)
	v_pk_fma_f32 v[8:9], v[6:7], v[0:1], v[4:5] op_sel:[0,0,1] op_sel_hi:[1,1,0] neg_lo:[0,0,1] neg_hi:[0,0,1]
	v_pk_fma_f32 v[4:5], v[6:7], v[0:1], v[4:5] op_sel:[0,0,1] op_sel_hi:[1,0,0]
	v_mov_b32_e32 v9, v5
	ds_load_2addr_b64 v[4:7], v196 offset0:48 offset1:49
	v_pk_add_f32 v[192:193], v[192:193], v[10:11] neg_lo:[0,1] neg_hi:[0,1]
	v_pk_add_f32 v[188:189], v[188:189], v[8:9] neg_lo:[0,1] neg_hi:[0,1]
	s_wait_dscnt 0x0
	v_dual_mul_f32 v8, v5, v3 :: v_dual_mul_f32 v10, v5, v0
	s_delay_alu instid0(VALU_DEP_1) | instskip(NEXT) | instid1(VALU_DEP_2)
	v_pk_fma_f32 v[8:9], v[4:5], v[36:37], v[8:9] op_sel_hi:[1,1,0] neg_lo:[0,0,1] neg_hi:[0,0,1]
	v_pk_fma_f32 v[4:5], v[4:5], v[36:37], v[10:11] op_sel:[1,0,0] op_sel_hi:[0,1,0]
	s_delay_alu instid0(VALU_DEP_1) | instskip(SKIP_1) | instid1(VALU_DEP_2)
	v_mov_b32_e32 v9, v5
	v_pk_mul_f32 v[4:5], v[6:7], v[2:3] op_sel:[0,1]
	v_pk_add_f32 v[212:213], v[212:213], v[8:9] neg_lo:[0,1] neg_hi:[0,1]
	s_delay_alu instid0(VALU_DEP_2) | instskip(SKIP_1) | instid1(VALU_DEP_1)
	v_pk_fma_f32 v[8:9], v[6:7], v[0:1], v[4:5] op_sel:[0,0,1] op_sel_hi:[1,1,0] neg_lo:[0,0,1] neg_hi:[0,0,1]
	v_pk_fma_f32 v[4:5], v[6:7], v[0:1], v[4:5] op_sel:[0,0,1] op_sel_hi:[1,0,0]
	v_mov_b32_e32 v9, v5
	ds_load_2addr_b64 v[4:7], v196 offset0:50 offset1:51
	v_pk_add_f32 v[208:209], v[208:209], v[8:9] neg_lo:[0,1] neg_hi:[0,1]
	s_wait_dscnt 0x0
	v_pk_mul_f32 v[8:9], v[4:5], v[2:3] op_sel:[0,1]
	s_delay_alu instid0(VALU_DEP_1) | instskip(SKIP_1) | instid1(VALU_DEP_1)
	v_pk_fma_f32 v[10:11], v[4:5], v[0:1], v[8:9] op_sel:[0,0,1] op_sel_hi:[1,1,0] neg_lo:[0,0,1] neg_hi:[0,0,1]
	v_pk_fma_f32 v[4:5], v[4:5], v[0:1], v[8:9] op_sel:[0,0,1] op_sel_hi:[1,0,0]
	v_mov_b32_e32 v11, v5
	v_pk_mul_f32 v[4:5], v[6:7], v[2:3] op_sel:[0,1]
	s_delay_alu instid0(VALU_DEP_2) | instskip(NEXT) | instid1(VALU_DEP_2)
	v_pk_add_f32 v[210:211], v[210:211], v[10:11] neg_lo:[0,1] neg_hi:[0,1]
	v_pk_fma_f32 v[8:9], v[6:7], v[0:1], v[4:5] op_sel:[0,0,1] op_sel_hi:[1,1,0] neg_lo:[0,0,1] neg_hi:[0,0,1]
	v_pk_fma_f32 v[4:5], v[6:7], v[0:1], v[4:5] op_sel:[0,0,1] op_sel_hi:[1,0,0]
	s_delay_alu instid0(VALU_DEP_1) | instskip(SKIP_4) | instid1(VALU_DEP_1)
	v_mov_b32_e32 v9, v5
	ds_load_2addr_b64 v[4:7], v196 offset0:52 offset1:53
	v_pk_add_f32 v[206:207], v[206:207], v[8:9] neg_lo:[0,1] neg_hi:[0,1]
	s_wait_dscnt 0x0
	v_pk_mul_f32 v[8:9], v[4:5], v[2:3] op_sel:[0,1]
	v_pk_fma_f32 v[10:11], v[4:5], v[0:1], v[8:9] op_sel:[0,0,1] op_sel_hi:[1,1,0] neg_lo:[0,0,1] neg_hi:[0,0,1]
	v_pk_fma_f32 v[4:5], v[4:5], v[0:1], v[8:9] op_sel:[0,0,1] op_sel_hi:[1,0,0]
	v_dual_mul_f32 v8, v7, v3 :: v_dual_mov_b32 v4, v7
	s_delay_alu instid0(VALU_DEP_2) | instskip(NEXT) | instid1(VALU_DEP_2)
	v_dual_mov_b32 v11, v5 :: v_dual_mov_b32 v5, v6
	v_pk_fma_f32 v[8:9], v[6:7], v[36:37], v[8:9] op_sel_hi:[1,1,0] neg_lo:[0,0,1] neg_hi:[0,0,1]
	v_mul_f32_e32 v6, v7, v0
	s_delay_alu instid0(VALU_DEP_3) | instskip(NEXT) | instid1(VALU_DEP_2)
	v_pk_add_f32 v[228:229], v[228:229], v[10:11] neg_lo:[0,1] neg_hi:[0,1]
	v_pk_fma_f32 v[4:5], v[4:5], v[36:37], v[6:7] op_sel_hi:[1,1,0]
	s_delay_alu instid0(VALU_DEP_1) | instskip(SKIP_4) | instid1(VALU_DEP_1)
	v_mov_b32_e32 v9, v5
	ds_load_2addr_b64 v[4:7], v196 offset0:54 offset1:55
	v_pk_add_f32 v[224:225], v[224:225], v[8:9] neg_lo:[0,1] neg_hi:[0,1]
	s_wait_dscnt 0x0
	v_pk_mul_f32 v[8:9], v[4:5], v[2:3] op_sel:[0,1]
	v_pk_fma_f32 v[10:11], v[4:5], v[0:1], v[8:9] op_sel:[0,0,1] op_sel_hi:[1,1,0] neg_lo:[0,0,1] neg_hi:[0,0,1]
	v_pk_fma_f32 v[4:5], v[4:5], v[0:1], v[8:9] op_sel:[0,0,1] op_sel_hi:[1,0,0]
	s_delay_alu instid0(VALU_DEP_1) | instskip(SKIP_1) | instid1(VALU_DEP_1)
	v_mov_b32_e32 v11, v5
	v_pk_mul_f32 v[4:5], v[6:7], v[2:3] op_sel:[0,1]
	v_pk_fma_f32 v[8:9], v[6:7], v[0:1], v[4:5] op_sel:[0,0,1] op_sel_hi:[1,1,0] neg_lo:[0,0,1] neg_hi:[0,0,1]
	v_pk_fma_f32 v[4:5], v[6:7], v[0:1], v[4:5] op_sel:[0,0,1] op_sel_hi:[1,0,0]
	s_delay_alu instid0(VALU_DEP_1)
	v_mov_b32_e32 v9, v5
	ds_load_2addr_b64 v[4:7], v196 offset0:56 offset1:57
	v_pk_add_f32 v[226:227], v[226:227], v[10:11] neg_lo:[0,1] neg_hi:[0,1]
	v_pk_add_f32 v[222:223], v[222:223], v[8:9] neg_lo:[0,1] neg_hi:[0,1]
	s_wait_dscnt 0x0
	v_pk_mul_f32 v[8:9], v[4:5], v[2:3] op_sel:[0,1]
	v_mul_f32_e32 v2, v7, v3
	s_delay_alu instid0(VALU_DEP_2) | instskip(SKIP_2) | instid1(VALU_DEP_4)
	v_pk_fma_f32 v[10:11], v[4:5], v[0:1], v[8:9] op_sel:[0,0,1] op_sel_hi:[1,1,0] neg_lo:[0,0,1] neg_hi:[0,0,1]
	v_pk_fma_f32 v[4:5], v[4:5], v[0:1], v[8:9] op_sel:[0,0,1] op_sel_hi:[1,0,0]
	v_dual_mov_b32 v4, v7 :: v_dual_mul_f32 v0, v7, v0
	v_pk_fma_f32 v[2:3], v[6:7], v[36:37], v[2:3] op_sel_hi:[1,1,0] neg_lo:[0,0,1] neg_hi:[0,0,1]
	s_delay_alu instid0(VALU_DEP_3) | instskip(NEXT) | instid1(VALU_DEP_1)
	v_dual_mov_b32 v11, v5 :: v_dual_mov_b32 v5, v6
	v_pk_add_f32 v[230:231], v[230:231], v[10:11] neg_lo:[0,1] neg_hi:[0,1]
	s_delay_alu instid0(VALU_DEP_2) | instskip(NEXT) | instid1(VALU_DEP_1)
	v_pk_fma_f32 v[0:1], v[4:5], v[36:37], v[0:1] op_sel_hi:[1,1,0]
	v_mov_b32_e32 v3, v1
	s_delay_alu instid0(VALU_DEP_1)
	v_pk_add_f32 v[232:233], v[232:233], v[2:3] neg_lo:[0,1] neg_hi:[0,1]
.LBB115_91:
	s_wait_xcnt 0x0
	s_or_b32 exec_lo, exec_lo, s1
	s_delay_alu instid0(SALU_CYCLE_1)
	s_mov_b32 s2, exec_lo
	s_wait_storecnt 0x0
	s_barrier_signal -1
	s_barrier_wait -1
	v_cmpx_eq_u32_e32 10, v186
	s_cbranch_execz .LBB115_98
; %bb.92:
	ds_store_b64 v187, v[38:39]
	ds_store_2addr_b64 v196, v[34:35], v[64:65] offset0:11 offset1:12
	ds_store_2addr_b64 v196, v[60:61], v[62:63] offset0:13 offset1:14
	;; [unrolled: 1-line block ×23, first 2 shown]
	ds_store_b64 v196, v[232:233] offset:456
	ds_load_b64 v[0:1], v187
	s_wait_dscnt 0x0
	v_cmp_neq_f32_e32 vcc_lo, 0, v0
	v_cmp_neq_f32_e64 s1, 0, v1
	s_or_b32 s1, vcc_lo, s1
	s_delay_alu instid0(SALU_CYCLE_1)
	s_and_b32 exec_lo, exec_lo, s1
	s_cbranch_execz .LBB115_98
; %bb.93:
	v_cmp_ngt_f32_e64 s1, |v0|, |v1|
                                        ; implicit-def: $vgpr2_vgpr3
	s_and_saveexec_b32 s4, s1
	s_delay_alu instid0(SALU_CYCLE_1)
	s_xor_b32 s1, exec_lo, s4
	s_cbranch_execz .LBB115_95
; %bb.94:
	v_div_scale_f32 v2, null, v1, v1, v0
	v_div_scale_f32 v5, vcc_lo, v0, v1, v0
	s_delay_alu instid0(VALU_DEP_2) | instskip(SKIP_1) | instid1(TRANS32_DEP_1)
	v_rcp_f32_e32 v3, v2
	v_nop
	v_fma_f32 v4, -v2, v3, 1.0
	s_delay_alu instid0(VALU_DEP_1) | instskip(NEXT) | instid1(VALU_DEP_1)
	v_fmac_f32_e32 v3, v4, v3
	v_mul_f32_e32 v4, v5, v3
	s_delay_alu instid0(VALU_DEP_1) | instskip(NEXT) | instid1(VALU_DEP_1)
	v_fma_f32 v6, -v2, v4, v5
	v_fmac_f32_e32 v4, v6, v3
	s_delay_alu instid0(VALU_DEP_1) | instskip(NEXT) | instid1(VALU_DEP_1)
	v_fma_f32 v2, -v2, v4, v5
	v_div_fmas_f32 v2, v2, v3, v4
	s_delay_alu instid0(VALU_DEP_1) | instskip(NEXT) | instid1(VALU_DEP_1)
	v_div_fixup_f32 v2, v2, v1, v0
	v_fmac_f32_e32 v1, v0, v2
	s_delay_alu instid0(VALU_DEP_1) | instskip(SKIP_1) | instid1(VALU_DEP_2)
	v_div_scale_f32 v0, null, v1, v1, 1.0
	v_div_scale_f32 v5, vcc_lo, 1.0, v1, 1.0
	v_rcp_f32_e32 v3, v0
	v_nop
	s_delay_alu instid0(TRANS32_DEP_1) | instskip(NEXT) | instid1(VALU_DEP_1)
	v_fma_f32 v4, -v0, v3, 1.0
	v_fmac_f32_e32 v3, v4, v3
	s_delay_alu instid0(VALU_DEP_1) | instskip(NEXT) | instid1(VALU_DEP_1)
	v_mul_f32_e32 v4, v5, v3
	v_fma_f32 v6, -v0, v4, v5
	s_delay_alu instid0(VALU_DEP_1) | instskip(NEXT) | instid1(VALU_DEP_1)
	v_fmac_f32_e32 v4, v6, v3
	v_fma_f32 v0, -v0, v4, v5
	s_delay_alu instid0(VALU_DEP_1) | instskip(NEXT) | instid1(VALU_DEP_1)
	v_div_fmas_f32 v0, v0, v3, v4
	v_div_fixup_f32 v0, v0, v1, 1.0
	s_delay_alu instid0(VALU_DEP_1)
	v_mul_f32_e32 v2, v2, v0
	v_xor_b32_e32 v3, 0x80000000, v0
                                        ; implicit-def: $vgpr0_vgpr1
.LBB115_95:
	s_and_not1_saveexec_b32 s1, s1
	s_cbranch_execz .LBB115_97
; %bb.96:
	v_div_scale_f32 v2, null, v0, v0, v1
	v_div_scale_f32 v5, vcc_lo, v1, v0, v1
	s_delay_alu instid0(VALU_DEP_2) | instskip(SKIP_1) | instid1(TRANS32_DEP_1)
	v_rcp_f32_e32 v3, v2
	v_nop
	v_fma_f32 v4, -v2, v3, 1.0
	s_delay_alu instid0(VALU_DEP_1) | instskip(NEXT) | instid1(VALU_DEP_1)
	v_fmac_f32_e32 v3, v4, v3
	v_mul_f32_e32 v4, v5, v3
	s_delay_alu instid0(VALU_DEP_1) | instskip(NEXT) | instid1(VALU_DEP_1)
	v_fma_f32 v6, -v2, v4, v5
	v_fmac_f32_e32 v4, v6, v3
	s_delay_alu instid0(VALU_DEP_1) | instskip(NEXT) | instid1(VALU_DEP_1)
	v_fma_f32 v2, -v2, v4, v5
	v_div_fmas_f32 v2, v2, v3, v4
	s_delay_alu instid0(VALU_DEP_1) | instskip(NEXT) | instid1(VALU_DEP_1)
	v_div_fixup_f32 v3, v2, v0, v1
	v_fmac_f32_e32 v0, v1, v3
	s_delay_alu instid0(VALU_DEP_1) | instskip(NEXT) | instid1(VALU_DEP_1)
	v_div_scale_f32 v1, null, v0, v0, 1.0
	v_rcp_f32_e32 v2, v1
	v_nop
	s_delay_alu instid0(TRANS32_DEP_1) | instskip(NEXT) | instid1(VALU_DEP_1)
	v_fma_f32 v4, -v1, v2, 1.0
	v_fmac_f32_e32 v2, v4, v2
	v_div_scale_f32 v4, vcc_lo, 1.0, v0, 1.0
	s_delay_alu instid0(VALU_DEP_1) | instskip(NEXT) | instid1(VALU_DEP_1)
	v_mul_f32_e32 v5, v4, v2
	v_fma_f32 v6, -v1, v5, v4
	s_delay_alu instid0(VALU_DEP_1) | instskip(NEXT) | instid1(VALU_DEP_1)
	v_fmac_f32_e32 v5, v6, v2
	v_fma_f32 v1, -v1, v5, v4
	s_delay_alu instid0(VALU_DEP_1) | instskip(NEXT) | instid1(VALU_DEP_1)
	v_div_fmas_f32 v1, v1, v2, v5
	v_div_fixup_f32 v2, v1, v0, 1.0
	s_delay_alu instid0(VALU_DEP_1)
	v_mul_f32_e64 v3, v3, -v2
.LBB115_97:
	s_or_b32 exec_lo, exec_lo, s1
	ds_store_b64 v187, v[2:3]
.LBB115_98:
	s_or_b32 exec_lo, exec_lo, s2
	s_wait_dscnt 0x0
	s_barrier_signal -1
	s_barrier_wait -1
	ds_load_b64 v[0:1], v187
	s_mov_b32 s1, exec_lo
	s_wait_dscnt 0x0
	scratch_store_b64 off, v[0:1], off offset:408 ; 8-byte Folded Spill
	s_wait_xcnt 0x0
	v_cmpx_lt_u32_e32 10, v186
	s_cbranch_execz .LBB115_100
; %bb.99:
	scratch_load_b64 v[4:5], off, off offset:408 ; 8-byte Folded Reload
	s_wait_loadcnt 0x0
	v_pk_mul_f32 v[2:3], v[4:5], v[38:39] op_sel:[1,1] op_sel_hi:[0,1]
	s_delay_alu instid0(VALU_DEP_1)
	v_pk_fma_f32 v[0:1], v[4:5], v[38:39], v[2:3] op_sel_hi:[1,0,1] neg_lo:[0,0,1] neg_hi:[0,0,1]
	v_pk_fma_f32 v[2:3], v[4:5], v[38:39], v[2:3] op_sel_hi:[1,0,1]
	ds_load_2addr_b64 v[4:7], v196 offset0:11 offset1:12
	v_dual_mov_b32 v38, v0 :: v_dual_mov_b32 v39, v3
	s_wait_dscnt 0x0
	v_pk_mul_f32 v[8:9], v[4:5], v[2:3] op_sel:[0,1]
	s_delay_alu instid0(VALU_DEP_1) | instskip(SKIP_1) | instid1(VALU_DEP_1)
	v_pk_fma_f32 v[10:11], v[4:5], v[0:1], v[8:9] op_sel:[0,0,1] op_sel_hi:[1,1,0] neg_lo:[0,0,1] neg_hi:[0,0,1]
	v_pk_fma_f32 v[4:5], v[4:5], v[0:1], v[8:9] op_sel:[0,0,1] op_sel_hi:[1,0,0]
	v_mov_b32_e32 v11, v5
	v_pk_mul_f32 v[4:5], v[6:7], v[2:3] op_sel:[0,1]
	s_delay_alu instid0(VALU_DEP_1) | instskip(SKIP_1) | instid1(VALU_DEP_1)
	v_pk_fma_f32 v[8:9], v[6:7], v[0:1], v[4:5] op_sel:[0,0,1] op_sel_hi:[1,1,0] neg_lo:[0,0,1] neg_hi:[0,0,1]
	v_pk_fma_f32 v[4:5], v[6:7], v[0:1], v[4:5] op_sel:[0,0,1] op_sel_hi:[1,0,0]
	v_mov_b32_e32 v9, v5
	ds_load_2addr_b64 v[4:7], v196 offset0:13 offset1:14
	v_pk_add_f32 v[34:35], v[34:35], v[10:11] neg_lo:[0,1] neg_hi:[0,1]
	v_pk_add_f32 v[64:65], v[64:65], v[8:9] neg_lo:[0,1] neg_hi:[0,1]
	s_wait_dscnt 0x0
	v_pk_mul_f32 v[8:9], v[4:5], v[2:3] op_sel:[0,1]
	s_delay_alu instid0(VALU_DEP_1) | instskip(SKIP_2) | instid1(VALU_DEP_2)
	v_pk_fma_f32 v[10:11], v[4:5], v[0:1], v[8:9] op_sel:[0,0,1] op_sel_hi:[1,1,0] neg_lo:[0,0,1] neg_hi:[0,0,1]
	v_pk_fma_f32 v[4:5], v[4:5], v[0:1], v[8:9] op_sel:[0,0,1] op_sel_hi:[1,0,0]
	v_dual_mul_f32 v8, v7, v3 :: v_dual_mov_b32 v4, v7
	v_dual_mov_b32 v11, v5 :: v_dual_mov_b32 v5, v6
	s_delay_alu instid0(VALU_DEP_2) | instskip(SKIP_1) | instid1(VALU_DEP_3)
	v_pk_fma_f32 v[8:9], v[6:7], v[38:39], v[8:9] op_sel_hi:[1,1,0] neg_lo:[0,0,1] neg_hi:[0,0,1]
	v_mul_f32_e32 v6, v7, v0
	v_pk_add_f32 v[60:61], v[60:61], v[10:11] neg_lo:[0,1] neg_hi:[0,1]
	s_delay_alu instid0(VALU_DEP_2) | instskip(NEXT) | instid1(VALU_DEP_1)
	v_pk_fma_f32 v[4:5], v[4:5], v[38:39], v[6:7] op_sel_hi:[1,1,0]
	v_mov_b32_e32 v9, v5
	ds_load_2addr_b64 v[4:7], v196 offset0:15 offset1:16
	v_pk_add_f32 v[62:63], v[62:63], v[8:9] neg_lo:[0,1] neg_hi:[0,1]
	s_wait_dscnt 0x0
	v_pk_mul_f32 v[8:9], v[4:5], v[2:3] op_sel:[0,1]
	s_delay_alu instid0(VALU_DEP_1) | instskip(SKIP_1) | instid1(VALU_DEP_1)
	v_pk_fma_f32 v[10:11], v[4:5], v[0:1], v[8:9] op_sel:[0,0,1] op_sel_hi:[1,1,0] neg_lo:[0,0,1] neg_hi:[0,0,1]
	v_pk_fma_f32 v[4:5], v[4:5], v[0:1], v[8:9] op_sel:[0,0,1] op_sel_hi:[1,0,0]
	v_mov_b32_e32 v11, v5
	v_pk_mul_f32 v[4:5], v[6:7], v[2:3] op_sel:[0,1]
	s_delay_alu instid0(VALU_DEP_1) | instskip(SKIP_1) | instid1(VALU_DEP_1)
	v_pk_fma_f32 v[8:9], v[6:7], v[0:1], v[4:5] op_sel:[0,0,1] op_sel_hi:[1,1,0] neg_lo:[0,0,1] neg_hi:[0,0,1]
	v_pk_fma_f32 v[4:5], v[6:7], v[0:1], v[4:5] op_sel:[0,0,1] op_sel_hi:[1,0,0]
	v_mov_b32_e32 v9, v5
	ds_load_2addr_b64 v[4:7], v196 offset0:17 offset1:18
	v_pk_add_f32 v[58:59], v[58:59], v[10:11] neg_lo:[0,1] neg_hi:[0,1]
	v_pk_add_f32 v[82:83], v[82:83], v[8:9] neg_lo:[0,1] neg_hi:[0,1]
	s_wait_dscnt 0x0
	v_pk_mul_f32 v[8:9], v[4:5], v[2:3] op_sel:[0,1]
	s_delay_alu instid0(VALU_DEP_1) | instskip(SKIP_1) | instid1(VALU_DEP_1)
	v_pk_fma_f32 v[10:11], v[4:5], v[0:1], v[8:9] op_sel:[0,0,1] op_sel_hi:[1,1,0] neg_lo:[0,0,1] neg_hi:[0,0,1]
	v_pk_fma_f32 v[4:5], v[4:5], v[0:1], v[8:9] op_sel:[0,0,1] op_sel_hi:[1,0,0]
	v_mov_b32_e32 v11, v5
	v_pk_mul_f32 v[4:5], v[6:7], v[2:3] op_sel:[0,1]
	s_delay_alu instid0(VALU_DEP_1) | instskip(SKIP_1) | instid1(VALU_DEP_1)
	v_pk_fma_f32 v[8:9], v[6:7], v[0:1], v[4:5] op_sel:[0,0,1] op_sel_hi:[1,1,0] neg_lo:[0,0,1] neg_hi:[0,0,1]
	v_pk_fma_f32 v[4:5], v[6:7], v[0:1], v[4:5] op_sel:[0,0,1] op_sel_hi:[1,0,0]
	v_mov_b32_e32 v9, v5
	ds_load_2addr_b64 v[4:7], v196 offset0:19 offset1:20
	v_pk_add_f32 v[78:79], v[78:79], v[10:11] neg_lo:[0,1] neg_hi:[0,1]
	v_pk_add_f32 v[80:81], v[80:81], v[8:9] neg_lo:[0,1] neg_hi:[0,1]
	s_wait_dscnt 0x0
	v_dual_mul_f32 v8, v5, v3 :: v_dual_mul_f32 v10, v5, v0
	s_delay_alu instid0(VALU_DEP_1) | instskip(NEXT) | instid1(VALU_DEP_2)
	v_pk_fma_f32 v[8:9], v[4:5], v[38:39], v[8:9] op_sel_hi:[1,1,0] neg_lo:[0,0,1] neg_hi:[0,0,1]
	v_pk_fma_f32 v[4:5], v[4:5], v[38:39], v[10:11] op_sel:[1,0,0] op_sel_hi:[0,1,0]
	s_delay_alu instid0(VALU_DEP_1) | instskip(SKIP_1) | instid1(VALU_DEP_2)
	v_mov_b32_e32 v9, v5
	v_pk_mul_f32 v[4:5], v[6:7], v[2:3] op_sel:[0,1]
	v_pk_add_f32 v[76:77], v[76:77], v[8:9] neg_lo:[0,1] neg_hi:[0,1]
	s_delay_alu instid0(VALU_DEP_2) | instskip(SKIP_1) | instid1(VALU_DEP_1)
	v_pk_fma_f32 v[8:9], v[6:7], v[0:1], v[4:5] op_sel:[0,0,1] op_sel_hi:[1,1,0] neg_lo:[0,0,1] neg_hi:[0,0,1]
	v_pk_fma_f32 v[4:5], v[6:7], v[0:1], v[4:5] op_sel:[0,0,1] op_sel_hi:[1,0,0]
	v_mov_b32_e32 v9, v5
	ds_load_2addr_b64 v[4:7], v196 offset0:21 offset1:22
	v_pk_add_f32 v[98:99], v[98:99], v[8:9] neg_lo:[0,1] neg_hi:[0,1]
	s_wait_dscnt 0x0
	v_pk_mul_f32 v[8:9], v[4:5], v[2:3] op_sel:[0,1]
	s_delay_alu instid0(VALU_DEP_1) | instskip(SKIP_1) | instid1(VALU_DEP_1)
	v_pk_fma_f32 v[10:11], v[4:5], v[0:1], v[8:9] op_sel:[0,0,1] op_sel_hi:[1,1,0] neg_lo:[0,0,1] neg_hi:[0,0,1]
	v_pk_fma_f32 v[4:5], v[4:5], v[0:1], v[8:9] op_sel:[0,0,1] op_sel_hi:[1,0,0]
	v_mov_b32_e32 v11, v5
	v_pk_mul_f32 v[4:5], v[6:7], v[2:3] op_sel:[0,1]
	s_delay_alu instid0(VALU_DEP_2) | instskip(NEXT) | instid1(VALU_DEP_2)
	v_pk_add_f32 v[94:95], v[94:95], v[10:11] neg_lo:[0,1] neg_hi:[0,1]
	v_pk_fma_f32 v[8:9], v[6:7], v[0:1], v[4:5] op_sel:[0,0,1] op_sel_hi:[1,1,0] neg_lo:[0,0,1] neg_hi:[0,0,1]
	v_pk_fma_f32 v[4:5], v[6:7], v[0:1], v[4:5] op_sel:[0,0,1] op_sel_hi:[1,0,0]
	s_delay_alu instid0(VALU_DEP_1) | instskip(SKIP_4) | instid1(VALU_DEP_1)
	v_mov_b32_e32 v9, v5
	ds_load_2addr_b64 v[4:7], v196 offset0:23 offset1:24
	v_pk_add_f32 v[96:97], v[96:97], v[8:9] neg_lo:[0,1] neg_hi:[0,1]
	s_wait_dscnt 0x0
	v_pk_mul_f32 v[8:9], v[4:5], v[2:3] op_sel:[0,1]
	v_pk_fma_f32 v[10:11], v[4:5], v[0:1], v[8:9] op_sel:[0,0,1] op_sel_hi:[1,1,0] neg_lo:[0,0,1] neg_hi:[0,0,1]
	v_pk_fma_f32 v[4:5], v[4:5], v[0:1], v[8:9] op_sel:[0,0,1] op_sel_hi:[1,0,0]
	v_dual_mul_f32 v8, v7, v3 :: v_dual_mov_b32 v4, v7
	s_delay_alu instid0(VALU_DEP_2) | instskip(NEXT) | instid1(VALU_DEP_2)
	v_dual_mov_b32 v11, v5 :: v_dual_mov_b32 v5, v6
	v_pk_fma_f32 v[8:9], v[6:7], v[38:39], v[8:9] op_sel_hi:[1,1,0] neg_lo:[0,0,1] neg_hi:[0,0,1]
	v_mul_f32_e32 v6, v7, v0
	s_delay_alu instid0(VALU_DEP_3) | instskip(NEXT) | instid1(VALU_DEP_2)
	v_pk_add_f32 v[92:93], v[92:93], v[10:11] neg_lo:[0,1] neg_hi:[0,1]
	v_pk_fma_f32 v[4:5], v[4:5], v[38:39], v[6:7] op_sel_hi:[1,1,0]
	s_delay_alu instid0(VALU_DEP_1) | instskip(SKIP_4) | instid1(VALU_DEP_1)
	v_mov_b32_e32 v9, v5
	ds_load_2addr_b64 v[4:7], v196 offset0:25 offset1:26
	v_pk_add_f32 v[114:115], v[114:115], v[8:9] neg_lo:[0,1] neg_hi:[0,1]
	s_wait_dscnt 0x0
	v_pk_mul_f32 v[8:9], v[4:5], v[2:3] op_sel:[0,1]
	v_pk_fma_f32 v[10:11], v[4:5], v[0:1], v[8:9] op_sel:[0,0,1] op_sel_hi:[1,1,0] neg_lo:[0,0,1] neg_hi:[0,0,1]
	v_pk_fma_f32 v[4:5], v[4:5], v[0:1], v[8:9] op_sel:[0,0,1] op_sel_hi:[1,0,0]
	s_delay_alu instid0(VALU_DEP_1) | instskip(SKIP_1) | instid1(VALU_DEP_1)
	v_mov_b32_e32 v11, v5
	v_pk_mul_f32 v[4:5], v[6:7], v[2:3] op_sel:[0,1]
	v_pk_fma_f32 v[8:9], v[6:7], v[0:1], v[4:5] op_sel:[0,0,1] op_sel_hi:[1,1,0] neg_lo:[0,0,1] neg_hi:[0,0,1]
	v_pk_fma_f32 v[4:5], v[6:7], v[0:1], v[4:5] op_sel:[0,0,1] op_sel_hi:[1,0,0]
	s_delay_alu instid0(VALU_DEP_1)
	v_mov_b32_e32 v9, v5
	ds_load_2addr_b64 v[4:7], v196 offset0:27 offset1:28
	v_pk_add_f32 v[110:111], v[110:111], v[10:11] neg_lo:[0,1] neg_hi:[0,1]
	v_pk_add_f32 v[112:113], v[112:113], v[8:9] neg_lo:[0,1] neg_hi:[0,1]
	s_wait_dscnt 0x0
	v_pk_mul_f32 v[8:9], v[4:5], v[2:3] op_sel:[0,1]
	s_delay_alu instid0(VALU_DEP_1) | instskip(SKIP_1) | instid1(VALU_DEP_1)
	v_pk_fma_f32 v[10:11], v[4:5], v[0:1], v[8:9] op_sel:[0,0,1] op_sel_hi:[1,1,0] neg_lo:[0,0,1] neg_hi:[0,0,1]
	v_pk_fma_f32 v[4:5], v[4:5], v[0:1], v[8:9] op_sel:[0,0,1] op_sel_hi:[1,0,0]
	v_mov_b32_e32 v11, v5
	v_pk_mul_f32 v[4:5], v[6:7], v[2:3] op_sel:[0,1]
	s_delay_alu instid0(VALU_DEP_1) | instskip(SKIP_1) | instid1(VALU_DEP_1)
	v_pk_fma_f32 v[8:9], v[6:7], v[0:1], v[4:5] op_sel:[0,0,1] op_sel_hi:[1,1,0] neg_lo:[0,0,1] neg_hi:[0,0,1]
	v_pk_fma_f32 v[4:5], v[6:7], v[0:1], v[4:5] op_sel:[0,0,1] op_sel_hi:[1,0,0]
	v_mov_b32_e32 v9, v5
	ds_load_2addr_b64 v[4:7], v196 offset0:29 offset1:30
	v_pk_add_f32 v[108:109], v[108:109], v[10:11] neg_lo:[0,1] neg_hi:[0,1]
	v_pk_add_f32 v[130:131], v[130:131], v[8:9] neg_lo:[0,1] neg_hi:[0,1]
	s_wait_dscnt 0x0
	v_dual_mul_f32 v8, v5, v3 :: v_dual_mul_f32 v10, v5, v0
	s_delay_alu instid0(VALU_DEP_1) | instskip(NEXT) | instid1(VALU_DEP_2)
	v_pk_fma_f32 v[8:9], v[4:5], v[38:39], v[8:9] op_sel_hi:[1,1,0] neg_lo:[0,0,1] neg_hi:[0,0,1]
	v_pk_fma_f32 v[4:5], v[4:5], v[38:39], v[10:11] op_sel:[1,0,0] op_sel_hi:[0,1,0]
	s_delay_alu instid0(VALU_DEP_1) | instskip(SKIP_1) | instid1(VALU_DEP_2)
	v_mov_b32_e32 v9, v5
	v_pk_mul_f32 v[4:5], v[6:7], v[2:3] op_sel:[0,1]
	v_pk_add_f32 v[126:127], v[126:127], v[8:9] neg_lo:[0,1] neg_hi:[0,1]
	s_delay_alu instid0(VALU_DEP_2) | instskip(SKIP_1) | instid1(VALU_DEP_1)
	v_pk_fma_f32 v[8:9], v[6:7], v[0:1], v[4:5] op_sel:[0,0,1] op_sel_hi:[1,1,0] neg_lo:[0,0,1] neg_hi:[0,0,1]
	v_pk_fma_f32 v[4:5], v[6:7], v[0:1], v[4:5] op_sel:[0,0,1] op_sel_hi:[1,0,0]
	v_mov_b32_e32 v9, v5
	ds_load_2addr_b64 v[4:7], v196 offset0:31 offset1:32
	v_pk_add_f32 v[128:129], v[128:129], v[8:9] neg_lo:[0,1] neg_hi:[0,1]
	s_wait_dscnt 0x0
	v_pk_mul_f32 v[8:9], v[4:5], v[2:3] op_sel:[0,1]
	s_delay_alu instid0(VALU_DEP_1) | instskip(SKIP_1) | instid1(VALU_DEP_1)
	v_pk_fma_f32 v[10:11], v[4:5], v[0:1], v[8:9] op_sel:[0,0,1] op_sel_hi:[1,1,0] neg_lo:[0,0,1] neg_hi:[0,0,1]
	v_pk_fma_f32 v[4:5], v[4:5], v[0:1], v[8:9] op_sel:[0,0,1] op_sel_hi:[1,0,0]
	v_mov_b32_e32 v11, v5
	v_pk_mul_f32 v[4:5], v[6:7], v[2:3] op_sel:[0,1]
	s_delay_alu instid0(VALU_DEP_2) | instskip(NEXT) | instid1(VALU_DEP_2)
	v_pk_add_f32 v[124:125], v[124:125], v[10:11] neg_lo:[0,1] neg_hi:[0,1]
	v_pk_fma_f32 v[8:9], v[6:7], v[0:1], v[4:5] op_sel:[0,0,1] op_sel_hi:[1,1,0] neg_lo:[0,0,1] neg_hi:[0,0,1]
	v_pk_fma_f32 v[4:5], v[6:7], v[0:1], v[4:5] op_sel:[0,0,1] op_sel_hi:[1,0,0]
	s_delay_alu instid0(VALU_DEP_1) | instskip(SKIP_4) | instid1(VALU_DEP_1)
	v_mov_b32_e32 v9, v5
	ds_load_2addr_b64 v[4:7], v196 offset0:33 offset1:34
	v_pk_add_f32 v[146:147], v[146:147], v[8:9] neg_lo:[0,1] neg_hi:[0,1]
	s_wait_dscnt 0x0
	v_pk_mul_f32 v[8:9], v[4:5], v[2:3] op_sel:[0,1]
	v_pk_fma_f32 v[10:11], v[4:5], v[0:1], v[8:9] op_sel:[0,0,1] op_sel_hi:[1,1,0] neg_lo:[0,0,1] neg_hi:[0,0,1]
	v_pk_fma_f32 v[4:5], v[4:5], v[0:1], v[8:9] op_sel:[0,0,1] op_sel_hi:[1,0,0]
	v_dual_mul_f32 v8, v7, v3 :: v_dual_mov_b32 v4, v7
	s_delay_alu instid0(VALU_DEP_2) | instskip(NEXT) | instid1(VALU_DEP_2)
	v_dual_mov_b32 v11, v5 :: v_dual_mov_b32 v5, v6
	v_pk_fma_f32 v[8:9], v[6:7], v[38:39], v[8:9] op_sel_hi:[1,1,0] neg_lo:[0,0,1] neg_hi:[0,0,1]
	v_mul_f32_e32 v6, v7, v0
	s_delay_alu instid0(VALU_DEP_3) | instskip(NEXT) | instid1(VALU_DEP_2)
	v_pk_add_f32 v[142:143], v[142:143], v[10:11] neg_lo:[0,1] neg_hi:[0,1]
	v_pk_fma_f32 v[4:5], v[4:5], v[38:39], v[6:7] op_sel_hi:[1,1,0]
	s_delay_alu instid0(VALU_DEP_1) | instskip(SKIP_4) | instid1(VALU_DEP_1)
	v_mov_b32_e32 v9, v5
	ds_load_2addr_b64 v[4:7], v196 offset0:35 offset1:36
	v_pk_add_f32 v[144:145], v[144:145], v[8:9] neg_lo:[0,1] neg_hi:[0,1]
	s_wait_dscnt 0x0
	v_pk_mul_f32 v[8:9], v[4:5], v[2:3] op_sel:[0,1]
	v_pk_fma_f32 v[10:11], v[4:5], v[0:1], v[8:9] op_sel:[0,0,1] op_sel_hi:[1,1,0] neg_lo:[0,0,1] neg_hi:[0,0,1]
	v_pk_fma_f32 v[4:5], v[4:5], v[0:1], v[8:9] op_sel:[0,0,1] op_sel_hi:[1,0,0]
	s_delay_alu instid0(VALU_DEP_1) | instskip(SKIP_1) | instid1(VALU_DEP_1)
	v_mov_b32_e32 v11, v5
	v_pk_mul_f32 v[4:5], v[6:7], v[2:3] op_sel:[0,1]
	v_pk_fma_f32 v[8:9], v[6:7], v[0:1], v[4:5] op_sel:[0,0,1] op_sel_hi:[1,1,0] neg_lo:[0,0,1] neg_hi:[0,0,1]
	v_pk_fma_f32 v[4:5], v[6:7], v[0:1], v[4:5] op_sel:[0,0,1] op_sel_hi:[1,0,0]
	s_delay_alu instid0(VALU_DEP_1)
	v_mov_b32_e32 v9, v5
	ds_load_2addr_b64 v[4:7], v196 offset0:37 offset1:38
	v_pk_add_f32 v[140:141], v[140:141], v[10:11] neg_lo:[0,1] neg_hi:[0,1]
	v_pk_add_f32 v[162:163], v[162:163], v[8:9] neg_lo:[0,1] neg_hi:[0,1]
	s_wait_dscnt 0x0
	v_pk_mul_f32 v[8:9], v[4:5], v[2:3] op_sel:[0,1]
	s_delay_alu instid0(VALU_DEP_1) | instskip(SKIP_1) | instid1(VALU_DEP_1)
	v_pk_fma_f32 v[10:11], v[4:5], v[0:1], v[8:9] op_sel:[0,0,1] op_sel_hi:[1,1,0] neg_lo:[0,0,1] neg_hi:[0,0,1]
	v_pk_fma_f32 v[4:5], v[4:5], v[0:1], v[8:9] op_sel:[0,0,1] op_sel_hi:[1,0,0]
	v_mov_b32_e32 v11, v5
	v_pk_mul_f32 v[4:5], v[6:7], v[2:3] op_sel:[0,1]
	s_delay_alu instid0(VALU_DEP_1) | instskip(SKIP_1) | instid1(VALU_DEP_1)
	v_pk_fma_f32 v[8:9], v[6:7], v[0:1], v[4:5] op_sel:[0,0,1] op_sel_hi:[1,1,0] neg_lo:[0,0,1] neg_hi:[0,0,1]
	v_pk_fma_f32 v[4:5], v[6:7], v[0:1], v[4:5] op_sel:[0,0,1] op_sel_hi:[1,0,0]
	v_mov_b32_e32 v9, v5
	ds_load_2addr_b64 v[4:7], v196 offset0:39 offset1:40
	v_pk_add_f32 v[158:159], v[158:159], v[10:11] neg_lo:[0,1] neg_hi:[0,1]
	v_pk_add_f32 v[160:161], v[160:161], v[8:9] neg_lo:[0,1] neg_hi:[0,1]
	s_wait_dscnt 0x0
	v_dual_mul_f32 v8, v5, v3 :: v_dual_mul_f32 v10, v5, v0
	s_delay_alu instid0(VALU_DEP_1) | instskip(NEXT) | instid1(VALU_DEP_2)
	v_pk_fma_f32 v[8:9], v[4:5], v[38:39], v[8:9] op_sel_hi:[1,1,0] neg_lo:[0,0,1] neg_hi:[0,0,1]
	v_pk_fma_f32 v[4:5], v[4:5], v[38:39], v[10:11] op_sel:[1,0,0] op_sel_hi:[0,1,0]
	s_delay_alu instid0(VALU_DEP_1) | instskip(SKIP_1) | instid1(VALU_DEP_2)
	v_mov_b32_e32 v9, v5
	v_pk_mul_f32 v[4:5], v[6:7], v[2:3] op_sel:[0,1]
	v_pk_add_f32 v[156:157], v[156:157], v[8:9] neg_lo:[0,1] neg_hi:[0,1]
	s_delay_alu instid0(VALU_DEP_2) | instskip(SKIP_1) | instid1(VALU_DEP_1)
	v_pk_fma_f32 v[8:9], v[6:7], v[0:1], v[4:5] op_sel:[0,0,1] op_sel_hi:[1,1,0] neg_lo:[0,0,1] neg_hi:[0,0,1]
	v_pk_fma_f32 v[4:5], v[6:7], v[0:1], v[4:5] op_sel:[0,0,1] op_sel_hi:[1,0,0]
	v_mov_b32_e32 v9, v5
	ds_load_2addr_b64 v[4:7], v196 offset0:41 offset1:42
	v_pk_add_f32 v[178:179], v[178:179], v[8:9] neg_lo:[0,1] neg_hi:[0,1]
	s_wait_dscnt 0x0
	v_pk_mul_f32 v[8:9], v[4:5], v[2:3] op_sel:[0,1]
	s_delay_alu instid0(VALU_DEP_1) | instskip(SKIP_1) | instid1(VALU_DEP_1)
	v_pk_fma_f32 v[10:11], v[4:5], v[0:1], v[8:9] op_sel:[0,0,1] op_sel_hi:[1,1,0] neg_lo:[0,0,1] neg_hi:[0,0,1]
	v_pk_fma_f32 v[4:5], v[4:5], v[0:1], v[8:9] op_sel:[0,0,1] op_sel_hi:[1,0,0]
	v_mov_b32_e32 v11, v5
	v_pk_mul_f32 v[4:5], v[6:7], v[2:3] op_sel:[0,1]
	s_delay_alu instid0(VALU_DEP_2) | instskip(NEXT) | instid1(VALU_DEP_2)
	v_pk_add_f32 v[174:175], v[174:175], v[10:11] neg_lo:[0,1] neg_hi:[0,1]
	v_pk_fma_f32 v[8:9], v[6:7], v[0:1], v[4:5] op_sel:[0,0,1] op_sel_hi:[1,1,0] neg_lo:[0,0,1] neg_hi:[0,0,1]
	v_pk_fma_f32 v[4:5], v[6:7], v[0:1], v[4:5] op_sel:[0,0,1] op_sel_hi:[1,0,0]
	s_delay_alu instid0(VALU_DEP_1) | instskip(SKIP_4) | instid1(VALU_DEP_1)
	v_mov_b32_e32 v9, v5
	ds_load_2addr_b64 v[4:7], v196 offset0:43 offset1:44
	v_pk_add_f32 v[176:177], v[176:177], v[8:9] neg_lo:[0,1] neg_hi:[0,1]
	s_wait_dscnt 0x0
	v_pk_mul_f32 v[8:9], v[4:5], v[2:3] op_sel:[0,1]
	v_pk_fma_f32 v[10:11], v[4:5], v[0:1], v[8:9] op_sel:[0,0,1] op_sel_hi:[1,1,0] neg_lo:[0,0,1] neg_hi:[0,0,1]
	v_pk_fma_f32 v[4:5], v[4:5], v[0:1], v[8:9] op_sel:[0,0,1] op_sel_hi:[1,0,0]
	v_dual_mul_f32 v8, v7, v3 :: v_dual_mov_b32 v4, v7
	s_delay_alu instid0(VALU_DEP_2) | instskip(NEXT) | instid1(VALU_DEP_2)
	v_dual_mov_b32 v11, v5 :: v_dual_mov_b32 v5, v6
	v_pk_fma_f32 v[8:9], v[6:7], v[38:39], v[8:9] op_sel_hi:[1,1,0] neg_lo:[0,0,1] neg_hi:[0,0,1]
	v_mul_f32_e32 v6, v7, v0
	s_delay_alu instid0(VALU_DEP_3) | instskip(NEXT) | instid1(VALU_DEP_2)
	v_pk_add_f32 v[172:173], v[172:173], v[10:11] neg_lo:[0,1] neg_hi:[0,1]
	v_pk_fma_f32 v[4:5], v[4:5], v[38:39], v[6:7] op_sel_hi:[1,1,0]
	s_delay_alu instid0(VALU_DEP_1) | instskip(SKIP_4) | instid1(VALU_DEP_1)
	v_mov_b32_e32 v9, v5
	ds_load_2addr_b64 v[4:7], v196 offset0:45 offset1:46
	v_pk_add_f32 v[194:195], v[194:195], v[8:9] neg_lo:[0,1] neg_hi:[0,1]
	s_wait_dscnt 0x0
	v_pk_mul_f32 v[8:9], v[4:5], v[2:3] op_sel:[0,1]
	v_pk_fma_f32 v[10:11], v[4:5], v[0:1], v[8:9] op_sel:[0,0,1] op_sel_hi:[1,1,0] neg_lo:[0,0,1] neg_hi:[0,0,1]
	v_pk_fma_f32 v[4:5], v[4:5], v[0:1], v[8:9] op_sel:[0,0,1] op_sel_hi:[1,0,0]
	s_delay_alu instid0(VALU_DEP_1) | instskip(SKIP_1) | instid1(VALU_DEP_1)
	v_mov_b32_e32 v11, v5
	v_pk_mul_f32 v[4:5], v[6:7], v[2:3] op_sel:[0,1]
	v_pk_fma_f32 v[8:9], v[6:7], v[0:1], v[4:5] op_sel:[0,0,1] op_sel_hi:[1,1,0] neg_lo:[0,0,1] neg_hi:[0,0,1]
	v_pk_fma_f32 v[4:5], v[6:7], v[0:1], v[4:5] op_sel:[0,0,1] op_sel_hi:[1,0,0]
	s_delay_alu instid0(VALU_DEP_1)
	v_mov_b32_e32 v9, v5
	ds_load_2addr_b64 v[4:7], v196 offset0:47 offset1:48
	v_pk_add_f32 v[190:191], v[190:191], v[10:11] neg_lo:[0,1] neg_hi:[0,1]
	v_pk_add_f32 v[192:193], v[192:193], v[8:9] neg_lo:[0,1] neg_hi:[0,1]
	s_wait_dscnt 0x0
	v_pk_mul_f32 v[8:9], v[4:5], v[2:3] op_sel:[0,1]
	s_delay_alu instid0(VALU_DEP_1) | instskip(SKIP_1) | instid1(VALU_DEP_1)
	v_pk_fma_f32 v[10:11], v[4:5], v[0:1], v[8:9] op_sel:[0,0,1] op_sel_hi:[1,1,0] neg_lo:[0,0,1] neg_hi:[0,0,1]
	v_pk_fma_f32 v[4:5], v[4:5], v[0:1], v[8:9] op_sel:[0,0,1] op_sel_hi:[1,0,0]
	v_mov_b32_e32 v11, v5
	v_pk_mul_f32 v[4:5], v[6:7], v[2:3] op_sel:[0,1]
	s_delay_alu instid0(VALU_DEP_1) | instskip(SKIP_1) | instid1(VALU_DEP_1)
	v_pk_fma_f32 v[8:9], v[6:7], v[0:1], v[4:5] op_sel:[0,0,1] op_sel_hi:[1,1,0] neg_lo:[0,0,1] neg_hi:[0,0,1]
	v_pk_fma_f32 v[4:5], v[6:7], v[0:1], v[4:5] op_sel:[0,0,1] op_sel_hi:[1,0,0]
	v_mov_b32_e32 v9, v5
	ds_load_2addr_b64 v[4:7], v196 offset0:49 offset1:50
	v_pk_add_f32 v[188:189], v[188:189], v[10:11] neg_lo:[0,1] neg_hi:[0,1]
	v_pk_add_f32 v[212:213], v[212:213], v[8:9] neg_lo:[0,1] neg_hi:[0,1]
	s_wait_dscnt 0x0
	v_dual_mul_f32 v8, v5, v3 :: v_dual_mul_f32 v10, v5, v0
	s_delay_alu instid0(VALU_DEP_1) | instskip(NEXT) | instid1(VALU_DEP_2)
	v_pk_fma_f32 v[8:9], v[4:5], v[38:39], v[8:9] op_sel_hi:[1,1,0] neg_lo:[0,0,1] neg_hi:[0,0,1]
	v_pk_fma_f32 v[4:5], v[4:5], v[38:39], v[10:11] op_sel:[1,0,0] op_sel_hi:[0,1,0]
	s_delay_alu instid0(VALU_DEP_1) | instskip(SKIP_1) | instid1(VALU_DEP_2)
	v_mov_b32_e32 v9, v5
	v_pk_mul_f32 v[4:5], v[6:7], v[2:3] op_sel:[0,1]
	v_pk_add_f32 v[208:209], v[208:209], v[8:9] neg_lo:[0,1] neg_hi:[0,1]
	s_delay_alu instid0(VALU_DEP_2) | instskip(SKIP_1) | instid1(VALU_DEP_1)
	v_pk_fma_f32 v[8:9], v[6:7], v[0:1], v[4:5] op_sel:[0,0,1] op_sel_hi:[1,1,0] neg_lo:[0,0,1] neg_hi:[0,0,1]
	v_pk_fma_f32 v[4:5], v[6:7], v[0:1], v[4:5] op_sel:[0,0,1] op_sel_hi:[1,0,0]
	v_mov_b32_e32 v9, v5
	ds_load_2addr_b64 v[4:7], v196 offset0:51 offset1:52
	v_pk_add_f32 v[210:211], v[210:211], v[8:9] neg_lo:[0,1] neg_hi:[0,1]
	s_wait_dscnt 0x0
	v_pk_mul_f32 v[8:9], v[4:5], v[2:3] op_sel:[0,1]
	s_delay_alu instid0(VALU_DEP_1) | instskip(SKIP_1) | instid1(VALU_DEP_1)
	v_pk_fma_f32 v[10:11], v[4:5], v[0:1], v[8:9] op_sel:[0,0,1] op_sel_hi:[1,1,0] neg_lo:[0,0,1] neg_hi:[0,0,1]
	v_pk_fma_f32 v[4:5], v[4:5], v[0:1], v[8:9] op_sel:[0,0,1] op_sel_hi:[1,0,0]
	v_mov_b32_e32 v11, v5
	v_pk_mul_f32 v[4:5], v[6:7], v[2:3] op_sel:[0,1]
	s_delay_alu instid0(VALU_DEP_2) | instskip(NEXT) | instid1(VALU_DEP_2)
	v_pk_add_f32 v[206:207], v[206:207], v[10:11] neg_lo:[0,1] neg_hi:[0,1]
	v_pk_fma_f32 v[8:9], v[6:7], v[0:1], v[4:5] op_sel:[0,0,1] op_sel_hi:[1,1,0] neg_lo:[0,0,1] neg_hi:[0,0,1]
	v_pk_fma_f32 v[4:5], v[6:7], v[0:1], v[4:5] op_sel:[0,0,1] op_sel_hi:[1,0,0]
	s_delay_alu instid0(VALU_DEP_1) | instskip(SKIP_4) | instid1(VALU_DEP_1)
	v_mov_b32_e32 v9, v5
	ds_load_2addr_b64 v[4:7], v196 offset0:53 offset1:54
	v_pk_add_f32 v[228:229], v[228:229], v[8:9] neg_lo:[0,1] neg_hi:[0,1]
	s_wait_dscnt 0x0
	v_pk_mul_f32 v[8:9], v[4:5], v[2:3] op_sel:[0,1]
	v_pk_fma_f32 v[10:11], v[4:5], v[0:1], v[8:9] op_sel:[0,0,1] op_sel_hi:[1,1,0] neg_lo:[0,0,1] neg_hi:[0,0,1]
	v_pk_fma_f32 v[4:5], v[4:5], v[0:1], v[8:9] op_sel:[0,0,1] op_sel_hi:[1,0,0]
	v_dual_mul_f32 v8, v7, v3 :: v_dual_mov_b32 v4, v7
	s_delay_alu instid0(VALU_DEP_2) | instskip(NEXT) | instid1(VALU_DEP_2)
	v_dual_mov_b32 v11, v5 :: v_dual_mov_b32 v5, v6
	v_pk_fma_f32 v[8:9], v[6:7], v[38:39], v[8:9] op_sel_hi:[1,1,0] neg_lo:[0,0,1] neg_hi:[0,0,1]
	v_mul_f32_e32 v6, v7, v0
	s_delay_alu instid0(VALU_DEP_3) | instskip(NEXT) | instid1(VALU_DEP_2)
	v_pk_add_f32 v[224:225], v[224:225], v[10:11] neg_lo:[0,1] neg_hi:[0,1]
	v_pk_fma_f32 v[4:5], v[4:5], v[38:39], v[6:7] op_sel_hi:[1,1,0]
	s_delay_alu instid0(VALU_DEP_1) | instskip(SKIP_4) | instid1(VALU_DEP_1)
	v_mov_b32_e32 v9, v5
	ds_load_2addr_b64 v[4:7], v196 offset0:55 offset1:56
	v_pk_add_f32 v[226:227], v[226:227], v[8:9] neg_lo:[0,1] neg_hi:[0,1]
	s_wait_dscnt 0x0
	v_pk_mul_f32 v[8:9], v[4:5], v[2:3] op_sel:[0,1]
	v_pk_fma_f32 v[10:11], v[4:5], v[0:1], v[8:9] op_sel:[0,0,1] op_sel_hi:[1,1,0] neg_lo:[0,0,1] neg_hi:[0,0,1]
	v_pk_fma_f32 v[4:5], v[4:5], v[0:1], v[8:9] op_sel:[0,0,1] op_sel_hi:[1,0,0]
	s_delay_alu instid0(VALU_DEP_1) | instskip(SKIP_1) | instid1(VALU_DEP_1)
	v_mov_b32_e32 v11, v5
	v_pk_mul_f32 v[4:5], v[6:7], v[2:3] op_sel:[0,1]
	v_pk_fma_f32 v[8:9], v[6:7], v[0:1], v[4:5] op_sel:[0,0,1] op_sel_hi:[1,1,0] neg_lo:[0,0,1] neg_hi:[0,0,1]
	v_pk_fma_f32 v[4:5], v[6:7], v[0:1], v[4:5] op_sel:[0,0,1] op_sel_hi:[1,0,0]
	s_delay_alu instid0(VALU_DEP_1)
	v_mov_b32_e32 v9, v5
	ds_load_b64 v[4:5], v196 offset:456
	v_pk_add_f32 v[222:223], v[222:223], v[10:11] neg_lo:[0,1] neg_hi:[0,1]
	v_pk_add_f32 v[230:231], v[230:231], v[8:9] neg_lo:[0,1] neg_hi:[0,1]
	s_wait_dscnt 0x0
	v_pk_mul_f32 v[2:3], v[4:5], v[2:3] op_sel:[0,1]
	s_delay_alu instid0(VALU_DEP_1) | instskip(SKIP_1) | instid1(VALU_DEP_1)
	v_pk_fma_f32 v[6:7], v[4:5], v[0:1], v[2:3] op_sel:[0,0,1] op_sel_hi:[1,1,0] neg_lo:[0,0,1] neg_hi:[0,0,1]
	v_pk_fma_f32 v[0:1], v[4:5], v[0:1], v[2:3] op_sel:[0,0,1] op_sel_hi:[1,0,0]
	v_mov_b32_e32 v7, v1
	s_delay_alu instid0(VALU_DEP_1)
	v_pk_add_f32 v[232:233], v[232:233], v[6:7] neg_lo:[0,1] neg_hi:[0,1]
.LBB115_100:
	s_wait_xcnt 0x0
	s_or_b32 exec_lo, exec_lo, s1
	s_delay_alu instid0(SALU_CYCLE_1)
	s_mov_b32 s2, exec_lo
	s_wait_storecnt 0x0
	s_barrier_signal -1
	s_barrier_wait -1
	v_cmpx_eq_u32_e32 11, v186
	s_cbranch_execz .LBB115_107
; %bb.101:
	v_dual_mov_b32 v0, v64 :: v_dual_mov_b32 v1, v65
	v_dual_mov_b32 v2, v60 :: v_dual_mov_b32 v3, v61
	ds_store_b64 v187, v[34:35]
	ds_store_2addr_b64 v196, v[0:1], v[2:3] offset0:12 offset1:13
	v_dual_mov_b32 v0, v62 :: v_dual_mov_b32 v1, v63
	v_dual_mov_b32 v2, v58 :: v_dual_mov_b32 v3, v59
	ds_store_2addr_b64 v196, v[0:1], v[2:3] offset0:14 offset1:15
	v_dual_mov_b32 v0, v82 :: v_dual_mov_b32 v1, v83
	v_dual_mov_b32 v2, v78 :: v_dual_mov_b32 v3, v79
	;; [unrolled: 3-line block ×21, first 2 shown]
	ds_store_2addr_b64 v196, v[0:1], v[2:3] offset0:54 offset1:55
	v_dual_mov_b32 v0, v230 :: v_dual_mov_b32 v1, v231
	ds_store_2addr_b64 v196, v[0:1], v[232:233] offset0:56 offset1:57
	ds_load_b64 v[0:1], v187
	s_wait_dscnt 0x0
	v_cmp_neq_f32_e32 vcc_lo, 0, v0
	v_cmp_neq_f32_e64 s1, 0, v1
	s_or_b32 s1, vcc_lo, s1
	s_delay_alu instid0(SALU_CYCLE_1)
	s_and_b32 exec_lo, exec_lo, s1
	s_cbranch_execz .LBB115_107
; %bb.102:
	v_cmp_ngt_f32_e64 s1, |v0|, |v1|
                                        ; implicit-def: $vgpr2_vgpr3
	s_and_saveexec_b32 s4, s1
	s_delay_alu instid0(SALU_CYCLE_1)
	s_xor_b32 s1, exec_lo, s4
	s_cbranch_execz .LBB115_104
; %bb.103:
	v_div_scale_f32 v2, null, v1, v1, v0
	v_div_scale_f32 v5, vcc_lo, v0, v1, v0
	s_delay_alu instid0(VALU_DEP_2) | instskip(SKIP_1) | instid1(TRANS32_DEP_1)
	v_rcp_f32_e32 v3, v2
	v_nop
	v_fma_f32 v4, -v2, v3, 1.0
	s_delay_alu instid0(VALU_DEP_1) | instskip(NEXT) | instid1(VALU_DEP_1)
	v_fmac_f32_e32 v3, v4, v3
	v_mul_f32_e32 v4, v5, v3
	s_delay_alu instid0(VALU_DEP_1) | instskip(NEXT) | instid1(VALU_DEP_1)
	v_fma_f32 v6, -v2, v4, v5
	v_fmac_f32_e32 v4, v6, v3
	s_delay_alu instid0(VALU_DEP_1) | instskip(NEXT) | instid1(VALU_DEP_1)
	v_fma_f32 v2, -v2, v4, v5
	v_div_fmas_f32 v2, v2, v3, v4
	s_delay_alu instid0(VALU_DEP_1) | instskip(NEXT) | instid1(VALU_DEP_1)
	v_div_fixup_f32 v2, v2, v1, v0
	v_fmac_f32_e32 v1, v0, v2
	s_delay_alu instid0(VALU_DEP_1) | instskip(SKIP_1) | instid1(VALU_DEP_2)
	v_div_scale_f32 v0, null, v1, v1, 1.0
	v_div_scale_f32 v5, vcc_lo, 1.0, v1, 1.0
	v_rcp_f32_e32 v3, v0
	v_nop
	s_delay_alu instid0(TRANS32_DEP_1) | instskip(NEXT) | instid1(VALU_DEP_1)
	v_fma_f32 v4, -v0, v3, 1.0
	v_fmac_f32_e32 v3, v4, v3
	s_delay_alu instid0(VALU_DEP_1) | instskip(NEXT) | instid1(VALU_DEP_1)
	v_mul_f32_e32 v4, v5, v3
	v_fma_f32 v6, -v0, v4, v5
	s_delay_alu instid0(VALU_DEP_1) | instskip(NEXT) | instid1(VALU_DEP_1)
	v_fmac_f32_e32 v4, v6, v3
	v_fma_f32 v0, -v0, v4, v5
	s_delay_alu instid0(VALU_DEP_1) | instskip(NEXT) | instid1(VALU_DEP_1)
	v_div_fmas_f32 v0, v0, v3, v4
	v_div_fixup_f32 v0, v0, v1, 1.0
	s_delay_alu instid0(VALU_DEP_1)
	v_mul_f32_e32 v2, v2, v0
	v_xor_b32_e32 v3, 0x80000000, v0
                                        ; implicit-def: $vgpr0_vgpr1
.LBB115_104:
	s_and_not1_saveexec_b32 s1, s1
	s_cbranch_execz .LBB115_106
; %bb.105:
	v_div_scale_f32 v2, null, v0, v0, v1
	v_div_scale_f32 v5, vcc_lo, v1, v0, v1
	s_delay_alu instid0(VALU_DEP_2) | instskip(SKIP_1) | instid1(TRANS32_DEP_1)
	v_rcp_f32_e32 v3, v2
	v_nop
	v_fma_f32 v4, -v2, v3, 1.0
	s_delay_alu instid0(VALU_DEP_1) | instskip(NEXT) | instid1(VALU_DEP_1)
	v_fmac_f32_e32 v3, v4, v3
	v_mul_f32_e32 v4, v5, v3
	s_delay_alu instid0(VALU_DEP_1) | instskip(NEXT) | instid1(VALU_DEP_1)
	v_fma_f32 v6, -v2, v4, v5
	v_fmac_f32_e32 v4, v6, v3
	s_delay_alu instid0(VALU_DEP_1) | instskip(NEXT) | instid1(VALU_DEP_1)
	v_fma_f32 v2, -v2, v4, v5
	v_div_fmas_f32 v2, v2, v3, v4
	s_delay_alu instid0(VALU_DEP_1) | instskip(NEXT) | instid1(VALU_DEP_1)
	v_div_fixup_f32 v3, v2, v0, v1
	v_fmac_f32_e32 v0, v1, v3
	s_delay_alu instid0(VALU_DEP_1) | instskip(NEXT) | instid1(VALU_DEP_1)
	v_div_scale_f32 v1, null, v0, v0, 1.0
	v_rcp_f32_e32 v2, v1
	v_nop
	s_delay_alu instid0(TRANS32_DEP_1) | instskip(NEXT) | instid1(VALU_DEP_1)
	v_fma_f32 v4, -v1, v2, 1.0
	v_fmac_f32_e32 v2, v4, v2
	v_div_scale_f32 v4, vcc_lo, 1.0, v0, 1.0
	s_delay_alu instid0(VALU_DEP_1) | instskip(NEXT) | instid1(VALU_DEP_1)
	v_mul_f32_e32 v5, v4, v2
	v_fma_f32 v6, -v1, v5, v4
	s_delay_alu instid0(VALU_DEP_1) | instskip(NEXT) | instid1(VALU_DEP_1)
	v_fmac_f32_e32 v5, v6, v2
	v_fma_f32 v1, -v1, v5, v4
	s_delay_alu instid0(VALU_DEP_1) | instskip(NEXT) | instid1(VALU_DEP_1)
	v_div_fmas_f32 v1, v1, v2, v5
	v_div_fixup_f32 v2, v1, v0, 1.0
	s_delay_alu instid0(VALU_DEP_1)
	v_mul_f32_e64 v3, v3, -v2
.LBB115_106:
	s_or_b32 exec_lo, exec_lo, s1
	ds_store_b64 v187, v[2:3]
.LBB115_107:
	s_or_b32 exec_lo, exec_lo, s2
	s_wait_dscnt 0x0
	s_barrier_signal -1
	s_barrier_wait -1
	ds_load_b64 v[0:1], v187
	s_mov_b32 s1, exec_lo
	s_wait_dscnt 0x0
	scratch_store_b64 off, v[0:1], off offset:416 ; 8-byte Folded Spill
	s_wait_xcnt 0x0
	v_cmpx_lt_u32_e32 11, v186
	s_cbranch_execz .LBB115_109
; %bb.108:
	scratch_load_b64 v[0:1], off, off offset:416 ; 8-byte Folded Reload
	ds_load_2addr_b64 v[6:9], v196 offset0:12 offset1:13
	s_wait_loadcnt 0x0
	v_pk_mul_f32 v[4:5], v[0:1], v[34:35] op_sel:[1,1] op_sel_hi:[0,1]
	s_delay_alu instid0(VALU_DEP_1) | instskip(SKIP_1) | instid1(VALU_DEP_1)
	v_pk_fma_f32 v[2:3], v[0:1], v[34:35], v[4:5] op_sel_hi:[1,0,1] neg_lo:[0,0,1] neg_hi:[0,0,1]
	v_pk_fma_f32 v[4:5], v[0:1], v[34:35], v[4:5] op_sel_hi:[1,0,1]
	v_dual_mov_b32 v34, v2 :: v_dual_mov_b32 v35, v5
	s_wait_dscnt 0x0
	s_delay_alu instid0(VALU_DEP_2) | instskip(NEXT) | instid1(VALU_DEP_1)
	v_pk_mul_f32 v[10:11], v[6:7], v[4:5] op_sel:[0,1]
	v_pk_fma_f32 v[12:13], v[6:7], v[2:3], v[10:11] op_sel:[0,0,1] op_sel_hi:[1,1,0] neg_lo:[0,0,1] neg_hi:[0,0,1]
	v_pk_fma_f32 v[6:7], v[6:7], v[2:3], v[10:11] op_sel:[0,0,1] op_sel_hi:[1,0,0]
	s_delay_alu instid0(VALU_DEP_1) | instskip(SKIP_1) | instid1(VALU_DEP_1)
	v_mov_b32_e32 v13, v7
	v_pk_mul_f32 v[6:7], v[8:9], v[4:5] op_sel:[0,1]
	v_pk_fma_f32 v[10:11], v[8:9], v[2:3], v[6:7] op_sel:[0,0,1] op_sel_hi:[1,1,0] neg_lo:[0,0,1] neg_hi:[0,0,1]
	v_pk_fma_f32 v[6:7], v[8:9], v[2:3], v[6:7] op_sel:[0,0,1] op_sel_hi:[1,0,0]
	s_delay_alu instid0(VALU_DEP_1)
	v_mov_b32_e32 v11, v7
	ds_load_2addr_b64 v[6:9], v196 offset0:14 offset1:15
	v_pk_add_f32 v[64:65], v[64:65], v[12:13] neg_lo:[0,1] neg_hi:[0,1]
	v_pk_add_f32 v[60:61], v[60:61], v[10:11] neg_lo:[0,1] neg_hi:[0,1]
	s_wait_dscnt 0x0
	v_pk_mul_f32 v[10:11], v[6:7], v[4:5] op_sel:[0,1]
	s_delay_alu instid0(VALU_DEP_1) | instskip(SKIP_2) | instid1(VALU_DEP_2)
	v_pk_fma_f32 v[12:13], v[6:7], v[2:3], v[10:11] op_sel:[0,0,1] op_sel_hi:[1,1,0] neg_lo:[0,0,1] neg_hi:[0,0,1]
	v_pk_fma_f32 v[6:7], v[6:7], v[2:3], v[10:11] op_sel:[0,0,1] op_sel_hi:[1,0,0]
	v_dual_mul_f32 v10, v9, v5 :: v_dual_mov_b32 v6, v9
	v_dual_mov_b32 v13, v7 :: v_dual_mov_b32 v7, v8
	s_delay_alu instid0(VALU_DEP_2) | instskip(SKIP_1) | instid1(VALU_DEP_3)
	v_pk_fma_f32 v[10:11], v[8:9], v[34:35], v[10:11] op_sel_hi:[1,1,0] neg_lo:[0,0,1] neg_hi:[0,0,1]
	v_mul_f32_e32 v8, v9, v2
	v_pk_add_f32 v[62:63], v[62:63], v[12:13] neg_lo:[0,1] neg_hi:[0,1]
	s_delay_alu instid0(VALU_DEP_2) | instskip(NEXT) | instid1(VALU_DEP_1)
	v_pk_fma_f32 v[6:7], v[6:7], v[34:35], v[8:9] op_sel_hi:[1,1,0]
	v_mov_b32_e32 v11, v7
	ds_load_2addr_b64 v[6:9], v196 offset0:16 offset1:17
	v_pk_add_f32 v[58:59], v[58:59], v[10:11] neg_lo:[0,1] neg_hi:[0,1]
	s_wait_dscnt 0x0
	v_pk_mul_f32 v[10:11], v[6:7], v[4:5] op_sel:[0,1]
	s_delay_alu instid0(VALU_DEP_1) | instskip(SKIP_1) | instid1(VALU_DEP_1)
	v_pk_fma_f32 v[12:13], v[6:7], v[2:3], v[10:11] op_sel:[0,0,1] op_sel_hi:[1,1,0] neg_lo:[0,0,1] neg_hi:[0,0,1]
	v_pk_fma_f32 v[6:7], v[6:7], v[2:3], v[10:11] op_sel:[0,0,1] op_sel_hi:[1,0,0]
	v_mov_b32_e32 v13, v7
	v_pk_mul_f32 v[6:7], v[8:9], v[4:5] op_sel:[0,1]
	s_delay_alu instid0(VALU_DEP_1) | instskip(SKIP_1) | instid1(VALU_DEP_1)
	v_pk_fma_f32 v[10:11], v[8:9], v[2:3], v[6:7] op_sel:[0,0,1] op_sel_hi:[1,1,0] neg_lo:[0,0,1] neg_hi:[0,0,1]
	v_pk_fma_f32 v[6:7], v[8:9], v[2:3], v[6:7] op_sel:[0,0,1] op_sel_hi:[1,0,0]
	v_mov_b32_e32 v11, v7
	ds_load_2addr_b64 v[6:9], v196 offset0:18 offset1:19
	v_pk_add_f32 v[82:83], v[82:83], v[12:13] neg_lo:[0,1] neg_hi:[0,1]
	v_pk_add_f32 v[78:79], v[78:79], v[10:11] neg_lo:[0,1] neg_hi:[0,1]
	s_wait_dscnt 0x0
	v_pk_mul_f32 v[10:11], v[6:7], v[4:5] op_sel:[0,1]
	s_delay_alu instid0(VALU_DEP_1) | instskip(SKIP_1) | instid1(VALU_DEP_1)
	v_pk_fma_f32 v[12:13], v[6:7], v[2:3], v[10:11] op_sel:[0,0,1] op_sel_hi:[1,1,0] neg_lo:[0,0,1] neg_hi:[0,0,1]
	v_pk_fma_f32 v[6:7], v[6:7], v[2:3], v[10:11] op_sel:[0,0,1] op_sel_hi:[1,0,0]
	v_mov_b32_e32 v13, v7
	v_pk_mul_f32 v[6:7], v[8:9], v[4:5] op_sel:[0,1]
	s_delay_alu instid0(VALU_DEP_1) | instskip(SKIP_1) | instid1(VALU_DEP_1)
	v_pk_fma_f32 v[10:11], v[8:9], v[2:3], v[6:7] op_sel:[0,0,1] op_sel_hi:[1,1,0] neg_lo:[0,0,1] neg_hi:[0,0,1]
	v_pk_fma_f32 v[6:7], v[8:9], v[2:3], v[6:7] op_sel:[0,0,1] op_sel_hi:[1,0,0]
	v_mov_b32_e32 v11, v7
	ds_load_2addr_b64 v[6:9], v196 offset0:20 offset1:21
	v_pk_add_f32 v[80:81], v[80:81], v[12:13] neg_lo:[0,1] neg_hi:[0,1]
	v_pk_add_f32 v[76:77], v[76:77], v[10:11] neg_lo:[0,1] neg_hi:[0,1]
	s_wait_dscnt 0x0
	v_dual_mul_f32 v10, v7, v5 :: v_dual_mul_f32 v12, v7, v2
	s_delay_alu instid0(VALU_DEP_1) | instskip(NEXT) | instid1(VALU_DEP_2)
	v_pk_fma_f32 v[10:11], v[6:7], v[34:35], v[10:11] op_sel_hi:[1,1,0] neg_lo:[0,0,1] neg_hi:[0,0,1]
	v_pk_fma_f32 v[6:7], v[6:7], v[34:35], v[12:13] op_sel:[1,0,0] op_sel_hi:[0,1,0]
	s_delay_alu instid0(VALU_DEP_1) | instskip(SKIP_1) | instid1(VALU_DEP_2)
	v_mov_b32_e32 v11, v7
	v_pk_mul_f32 v[6:7], v[8:9], v[4:5] op_sel:[0,1]
	v_pk_add_f32 v[98:99], v[98:99], v[10:11] neg_lo:[0,1] neg_hi:[0,1]
	s_delay_alu instid0(VALU_DEP_2) | instskip(SKIP_1) | instid1(VALU_DEP_1)
	v_pk_fma_f32 v[10:11], v[8:9], v[2:3], v[6:7] op_sel:[0,0,1] op_sel_hi:[1,1,0] neg_lo:[0,0,1] neg_hi:[0,0,1]
	v_pk_fma_f32 v[6:7], v[8:9], v[2:3], v[6:7] op_sel:[0,0,1] op_sel_hi:[1,0,0]
	v_mov_b32_e32 v11, v7
	ds_load_2addr_b64 v[6:9], v196 offset0:22 offset1:23
	v_pk_add_f32 v[94:95], v[94:95], v[10:11] neg_lo:[0,1] neg_hi:[0,1]
	s_wait_dscnt 0x0
	v_pk_mul_f32 v[10:11], v[6:7], v[4:5] op_sel:[0,1]
	s_delay_alu instid0(VALU_DEP_1) | instskip(SKIP_1) | instid1(VALU_DEP_1)
	v_pk_fma_f32 v[12:13], v[6:7], v[2:3], v[10:11] op_sel:[0,0,1] op_sel_hi:[1,1,0] neg_lo:[0,0,1] neg_hi:[0,0,1]
	v_pk_fma_f32 v[6:7], v[6:7], v[2:3], v[10:11] op_sel:[0,0,1] op_sel_hi:[1,0,0]
	v_mov_b32_e32 v13, v7
	v_pk_mul_f32 v[6:7], v[8:9], v[4:5] op_sel:[0,1]
	s_delay_alu instid0(VALU_DEP_2) | instskip(NEXT) | instid1(VALU_DEP_2)
	v_pk_add_f32 v[96:97], v[96:97], v[12:13] neg_lo:[0,1] neg_hi:[0,1]
	v_pk_fma_f32 v[10:11], v[8:9], v[2:3], v[6:7] op_sel:[0,0,1] op_sel_hi:[1,1,0] neg_lo:[0,0,1] neg_hi:[0,0,1]
	v_pk_fma_f32 v[6:7], v[8:9], v[2:3], v[6:7] op_sel:[0,0,1] op_sel_hi:[1,0,0]
	s_delay_alu instid0(VALU_DEP_1) | instskip(SKIP_4) | instid1(VALU_DEP_1)
	v_mov_b32_e32 v11, v7
	ds_load_2addr_b64 v[6:9], v196 offset0:24 offset1:25
	v_pk_add_f32 v[92:93], v[92:93], v[10:11] neg_lo:[0,1] neg_hi:[0,1]
	s_wait_dscnt 0x0
	v_pk_mul_f32 v[10:11], v[6:7], v[4:5] op_sel:[0,1]
	v_pk_fma_f32 v[12:13], v[6:7], v[2:3], v[10:11] op_sel:[0,0,1] op_sel_hi:[1,1,0] neg_lo:[0,0,1] neg_hi:[0,0,1]
	v_pk_fma_f32 v[6:7], v[6:7], v[2:3], v[10:11] op_sel:[0,0,1] op_sel_hi:[1,0,0]
	v_dual_mul_f32 v10, v9, v5 :: v_dual_mov_b32 v6, v9
	s_delay_alu instid0(VALU_DEP_2) | instskip(NEXT) | instid1(VALU_DEP_2)
	v_dual_mov_b32 v13, v7 :: v_dual_mov_b32 v7, v8
	v_pk_fma_f32 v[10:11], v[8:9], v[34:35], v[10:11] op_sel_hi:[1,1,0] neg_lo:[0,0,1] neg_hi:[0,0,1]
	v_mul_f32_e32 v8, v9, v2
	s_delay_alu instid0(VALU_DEP_3) | instskip(NEXT) | instid1(VALU_DEP_2)
	v_pk_add_f32 v[114:115], v[114:115], v[12:13] neg_lo:[0,1] neg_hi:[0,1]
	v_pk_fma_f32 v[6:7], v[6:7], v[34:35], v[8:9] op_sel_hi:[1,1,0]
	s_delay_alu instid0(VALU_DEP_1) | instskip(SKIP_4) | instid1(VALU_DEP_1)
	v_mov_b32_e32 v11, v7
	ds_load_2addr_b64 v[6:9], v196 offset0:26 offset1:27
	v_pk_add_f32 v[110:111], v[110:111], v[10:11] neg_lo:[0,1] neg_hi:[0,1]
	s_wait_dscnt 0x0
	v_pk_mul_f32 v[10:11], v[6:7], v[4:5] op_sel:[0,1]
	v_pk_fma_f32 v[12:13], v[6:7], v[2:3], v[10:11] op_sel:[0,0,1] op_sel_hi:[1,1,0] neg_lo:[0,0,1] neg_hi:[0,0,1]
	v_pk_fma_f32 v[6:7], v[6:7], v[2:3], v[10:11] op_sel:[0,0,1] op_sel_hi:[1,0,0]
	s_delay_alu instid0(VALU_DEP_1) | instskip(SKIP_1) | instid1(VALU_DEP_1)
	v_mov_b32_e32 v13, v7
	v_pk_mul_f32 v[6:7], v[8:9], v[4:5] op_sel:[0,1]
	v_pk_fma_f32 v[10:11], v[8:9], v[2:3], v[6:7] op_sel:[0,0,1] op_sel_hi:[1,1,0] neg_lo:[0,0,1] neg_hi:[0,0,1]
	v_pk_fma_f32 v[6:7], v[8:9], v[2:3], v[6:7] op_sel:[0,0,1] op_sel_hi:[1,0,0]
	s_delay_alu instid0(VALU_DEP_1)
	v_mov_b32_e32 v11, v7
	ds_load_2addr_b64 v[6:9], v196 offset0:28 offset1:29
	v_pk_add_f32 v[112:113], v[112:113], v[12:13] neg_lo:[0,1] neg_hi:[0,1]
	v_pk_add_f32 v[108:109], v[108:109], v[10:11] neg_lo:[0,1] neg_hi:[0,1]
	s_wait_dscnt 0x0
	v_pk_mul_f32 v[10:11], v[6:7], v[4:5] op_sel:[0,1]
	s_delay_alu instid0(VALU_DEP_1) | instskip(SKIP_1) | instid1(VALU_DEP_1)
	v_pk_fma_f32 v[12:13], v[6:7], v[2:3], v[10:11] op_sel:[0,0,1] op_sel_hi:[1,1,0] neg_lo:[0,0,1] neg_hi:[0,0,1]
	v_pk_fma_f32 v[6:7], v[6:7], v[2:3], v[10:11] op_sel:[0,0,1] op_sel_hi:[1,0,0]
	v_mov_b32_e32 v13, v7
	v_pk_mul_f32 v[6:7], v[8:9], v[4:5] op_sel:[0,1]
	s_delay_alu instid0(VALU_DEP_1) | instskip(SKIP_1) | instid1(VALU_DEP_1)
	v_pk_fma_f32 v[10:11], v[8:9], v[2:3], v[6:7] op_sel:[0,0,1] op_sel_hi:[1,1,0] neg_lo:[0,0,1] neg_hi:[0,0,1]
	v_pk_fma_f32 v[6:7], v[8:9], v[2:3], v[6:7] op_sel:[0,0,1] op_sel_hi:[1,0,0]
	v_mov_b32_e32 v11, v7
	ds_load_2addr_b64 v[6:9], v196 offset0:30 offset1:31
	v_pk_add_f32 v[130:131], v[130:131], v[12:13] neg_lo:[0,1] neg_hi:[0,1]
	v_pk_add_f32 v[126:127], v[126:127], v[10:11] neg_lo:[0,1] neg_hi:[0,1]
	s_wait_dscnt 0x0
	v_dual_mul_f32 v10, v7, v5 :: v_dual_mul_f32 v12, v7, v2
	s_delay_alu instid0(VALU_DEP_1) | instskip(NEXT) | instid1(VALU_DEP_2)
	v_pk_fma_f32 v[10:11], v[6:7], v[34:35], v[10:11] op_sel_hi:[1,1,0] neg_lo:[0,0,1] neg_hi:[0,0,1]
	v_pk_fma_f32 v[6:7], v[6:7], v[34:35], v[12:13] op_sel:[1,0,0] op_sel_hi:[0,1,0]
	s_delay_alu instid0(VALU_DEP_1) | instskip(SKIP_1) | instid1(VALU_DEP_2)
	v_mov_b32_e32 v11, v7
	v_pk_mul_f32 v[6:7], v[8:9], v[4:5] op_sel:[0,1]
	v_pk_add_f32 v[128:129], v[128:129], v[10:11] neg_lo:[0,1] neg_hi:[0,1]
	s_delay_alu instid0(VALU_DEP_2) | instskip(SKIP_1) | instid1(VALU_DEP_1)
	v_pk_fma_f32 v[10:11], v[8:9], v[2:3], v[6:7] op_sel:[0,0,1] op_sel_hi:[1,1,0] neg_lo:[0,0,1] neg_hi:[0,0,1]
	v_pk_fma_f32 v[6:7], v[8:9], v[2:3], v[6:7] op_sel:[0,0,1] op_sel_hi:[1,0,0]
	v_mov_b32_e32 v11, v7
	ds_load_2addr_b64 v[6:9], v196 offset0:32 offset1:33
	v_pk_add_f32 v[124:125], v[124:125], v[10:11] neg_lo:[0,1] neg_hi:[0,1]
	s_wait_dscnt 0x0
	v_pk_mul_f32 v[10:11], v[6:7], v[4:5] op_sel:[0,1]
	s_delay_alu instid0(VALU_DEP_1) | instskip(SKIP_1) | instid1(VALU_DEP_1)
	v_pk_fma_f32 v[12:13], v[6:7], v[2:3], v[10:11] op_sel:[0,0,1] op_sel_hi:[1,1,0] neg_lo:[0,0,1] neg_hi:[0,0,1]
	v_pk_fma_f32 v[6:7], v[6:7], v[2:3], v[10:11] op_sel:[0,0,1] op_sel_hi:[1,0,0]
	v_mov_b32_e32 v13, v7
	v_pk_mul_f32 v[6:7], v[8:9], v[4:5] op_sel:[0,1]
	s_delay_alu instid0(VALU_DEP_2) | instskip(NEXT) | instid1(VALU_DEP_2)
	v_pk_add_f32 v[146:147], v[146:147], v[12:13] neg_lo:[0,1] neg_hi:[0,1]
	v_pk_fma_f32 v[10:11], v[8:9], v[2:3], v[6:7] op_sel:[0,0,1] op_sel_hi:[1,1,0] neg_lo:[0,0,1] neg_hi:[0,0,1]
	v_pk_fma_f32 v[6:7], v[8:9], v[2:3], v[6:7] op_sel:[0,0,1] op_sel_hi:[1,0,0]
	s_delay_alu instid0(VALU_DEP_1) | instskip(SKIP_4) | instid1(VALU_DEP_1)
	v_mov_b32_e32 v11, v7
	ds_load_2addr_b64 v[6:9], v196 offset0:34 offset1:35
	v_pk_add_f32 v[142:143], v[142:143], v[10:11] neg_lo:[0,1] neg_hi:[0,1]
	s_wait_dscnt 0x0
	v_pk_mul_f32 v[10:11], v[6:7], v[4:5] op_sel:[0,1]
	v_pk_fma_f32 v[12:13], v[6:7], v[2:3], v[10:11] op_sel:[0,0,1] op_sel_hi:[1,1,0] neg_lo:[0,0,1] neg_hi:[0,0,1]
	v_pk_fma_f32 v[6:7], v[6:7], v[2:3], v[10:11] op_sel:[0,0,1] op_sel_hi:[1,0,0]
	v_dual_mul_f32 v10, v9, v5 :: v_dual_mov_b32 v6, v9
	s_delay_alu instid0(VALU_DEP_2) | instskip(NEXT) | instid1(VALU_DEP_2)
	v_dual_mov_b32 v13, v7 :: v_dual_mov_b32 v7, v8
	v_pk_fma_f32 v[10:11], v[8:9], v[34:35], v[10:11] op_sel_hi:[1,1,0] neg_lo:[0,0,1] neg_hi:[0,0,1]
	v_mul_f32_e32 v8, v9, v2
	s_delay_alu instid0(VALU_DEP_3) | instskip(NEXT) | instid1(VALU_DEP_2)
	v_pk_add_f32 v[144:145], v[144:145], v[12:13] neg_lo:[0,1] neg_hi:[0,1]
	v_pk_fma_f32 v[6:7], v[6:7], v[34:35], v[8:9] op_sel_hi:[1,1,0]
	s_delay_alu instid0(VALU_DEP_1) | instskip(SKIP_4) | instid1(VALU_DEP_1)
	v_mov_b32_e32 v11, v7
	ds_load_2addr_b64 v[6:9], v196 offset0:36 offset1:37
	v_pk_add_f32 v[140:141], v[140:141], v[10:11] neg_lo:[0,1] neg_hi:[0,1]
	s_wait_dscnt 0x0
	v_pk_mul_f32 v[10:11], v[6:7], v[4:5] op_sel:[0,1]
	v_pk_fma_f32 v[12:13], v[6:7], v[2:3], v[10:11] op_sel:[0,0,1] op_sel_hi:[1,1,0] neg_lo:[0,0,1] neg_hi:[0,0,1]
	v_pk_fma_f32 v[6:7], v[6:7], v[2:3], v[10:11] op_sel:[0,0,1] op_sel_hi:[1,0,0]
	s_delay_alu instid0(VALU_DEP_1) | instskip(SKIP_1) | instid1(VALU_DEP_1)
	v_mov_b32_e32 v13, v7
	v_pk_mul_f32 v[6:7], v[8:9], v[4:5] op_sel:[0,1]
	v_pk_fma_f32 v[10:11], v[8:9], v[2:3], v[6:7] op_sel:[0,0,1] op_sel_hi:[1,1,0] neg_lo:[0,0,1] neg_hi:[0,0,1]
	v_pk_fma_f32 v[6:7], v[8:9], v[2:3], v[6:7] op_sel:[0,0,1] op_sel_hi:[1,0,0]
	s_delay_alu instid0(VALU_DEP_1)
	v_mov_b32_e32 v11, v7
	ds_load_2addr_b64 v[6:9], v196 offset0:38 offset1:39
	v_pk_add_f32 v[162:163], v[162:163], v[12:13] neg_lo:[0,1] neg_hi:[0,1]
	v_pk_add_f32 v[158:159], v[158:159], v[10:11] neg_lo:[0,1] neg_hi:[0,1]
	s_wait_dscnt 0x0
	v_pk_mul_f32 v[10:11], v[6:7], v[4:5] op_sel:[0,1]
	s_delay_alu instid0(VALU_DEP_1) | instskip(SKIP_1) | instid1(VALU_DEP_1)
	v_pk_fma_f32 v[12:13], v[6:7], v[2:3], v[10:11] op_sel:[0,0,1] op_sel_hi:[1,1,0] neg_lo:[0,0,1] neg_hi:[0,0,1]
	v_pk_fma_f32 v[6:7], v[6:7], v[2:3], v[10:11] op_sel:[0,0,1] op_sel_hi:[1,0,0]
	v_mov_b32_e32 v13, v7
	v_pk_mul_f32 v[6:7], v[8:9], v[4:5] op_sel:[0,1]
	s_delay_alu instid0(VALU_DEP_1) | instskip(SKIP_1) | instid1(VALU_DEP_1)
	v_pk_fma_f32 v[10:11], v[8:9], v[2:3], v[6:7] op_sel:[0,0,1] op_sel_hi:[1,1,0] neg_lo:[0,0,1] neg_hi:[0,0,1]
	v_pk_fma_f32 v[6:7], v[8:9], v[2:3], v[6:7] op_sel:[0,0,1] op_sel_hi:[1,0,0]
	v_mov_b32_e32 v11, v7
	ds_load_2addr_b64 v[6:9], v196 offset0:40 offset1:41
	v_pk_add_f32 v[160:161], v[160:161], v[12:13] neg_lo:[0,1] neg_hi:[0,1]
	v_pk_add_f32 v[156:157], v[156:157], v[10:11] neg_lo:[0,1] neg_hi:[0,1]
	s_wait_dscnt 0x0
	v_dual_mul_f32 v10, v7, v5 :: v_dual_mul_f32 v12, v7, v2
	s_delay_alu instid0(VALU_DEP_1) | instskip(NEXT) | instid1(VALU_DEP_2)
	v_pk_fma_f32 v[10:11], v[6:7], v[34:35], v[10:11] op_sel_hi:[1,1,0] neg_lo:[0,0,1] neg_hi:[0,0,1]
	v_pk_fma_f32 v[6:7], v[6:7], v[34:35], v[12:13] op_sel:[1,0,0] op_sel_hi:[0,1,0]
	s_delay_alu instid0(VALU_DEP_1) | instskip(SKIP_1) | instid1(VALU_DEP_2)
	v_mov_b32_e32 v11, v7
	v_pk_mul_f32 v[6:7], v[8:9], v[4:5] op_sel:[0,1]
	v_pk_add_f32 v[178:179], v[178:179], v[10:11] neg_lo:[0,1] neg_hi:[0,1]
	s_delay_alu instid0(VALU_DEP_2) | instskip(SKIP_1) | instid1(VALU_DEP_1)
	v_pk_fma_f32 v[10:11], v[8:9], v[2:3], v[6:7] op_sel:[0,0,1] op_sel_hi:[1,1,0] neg_lo:[0,0,1] neg_hi:[0,0,1]
	v_pk_fma_f32 v[6:7], v[8:9], v[2:3], v[6:7] op_sel:[0,0,1] op_sel_hi:[1,0,0]
	v_mov_b32_e32 v11, v7
	ds_load_2addr_b64 v[6:9], v196 offset0:42 offset1:43
	v_pk_add_f32 v[174:175], v[174:175], v[10:11] neg_lo:[0,1] neg_hi:[0,1]
	s_wait_dscnt 0x0
	v_pk_mul_f32 v[10:11], v[6:7], v[4:5] op_sel:[0,1]
	s_delay_alu instid0(VALU_DEP_1) | instskip(SKIP_1) | instid1(VALU_DEP_1)
	v_pk_fma_f32 v[12:13], v[6:7], v[2:3], v[10:11] op_sel:[0,0,1] op_sel_hi:[1,1,0] neg_lo:[0,0,1] neg_hi:[0,0,1]
	v_pk_fma_f32 v[6:7], v[6:7], v[2:3], v[10:11] op_sel:[0,0,1] op_sel_hi:[1,0,0]
	v_mov_b32_e32 v13, v7
	v_pk_mul_f32 v[6:7], v[8:9], v[4:5] op_sel:[0,1]
	s_delay_alu instid0(VALU_DEP_2) | instskip(NEXT) | instid1(VALU_DEP_2)
	v_pk_add_f32 v[176:177], v[176:177], v[12:13] neg_lo:[0,1] neg_hi:[0,1]
	v_pk_fma_f32 v[10:11], v[8:9], v[2:3], v[6:7] op_sel:[0,0,1] op_sel_hi:[1,1,0] neg_lo:[0,0,1] neg_hi:[0,0,1]
	v_pk_fma_f32 v[6:7], v[8:9], v[2:3], v[6:7] op_sel:[0,0,1] op_sel_hi:[1,0,0]
	s_delay_alu instid0(VALU_DEP_1) | instskip(SKIP_4) | instid1(VALU_DEP_1)
	v_mov_b32_e32 v11, v7
	ds_load_2addr_b64 v[6:9], v196 offset0:44 offset1:45
	v_pk_add_f32 v[172:173], v[172:173], v[10:11] neg_lo:[0,1] neg_hi:[0,1]
	s_wait_dscnt 0x0
	v_pk_mul_f32 v[10:11], v[6:7], v[4:5] op_sel:[0,1]
	v_pk_fma_f32 v[12:13], v[6:7], v[2:3], v[10:11] op_sel:[0,0,1] op_sel_hi:[1,1,0] neg_lo:[0,0,1] neg_hi:[0,0,1]
	v_pk_fma_f32 v[6:7], v[6:7], v[2:3], v[10:11] op_sel:[0,0,1] op_sel_hi:[1,0,0]
	v_dual_mul_f32 v10, v9, v5 :: v_dual_mov_b32 v6, v9
	s_delay_alu instid0(VALU_DEP_2) | instskip(NEXT) | instid1(VALU_DEP_2)
	v_dual_mov_b32 v13, v7 :: v_dual_mov_b32 v7, v8
	v_pk_fma_f32 v[10:11], v[8:9], v[34:35], v[10:11] op_sel_hi:[1,1,0] neg_lo:[0,0,1] neg_hi:[0,0,1]
	v_mul_f32_e32 v8, v9, v2
	s_delay_alu instid0(VALU_DEP_3) | instskip(NEXT) | instid1(VALU_DEP_2)
	v_pk_add_f32 v[194:195], v[194:195], v[12:13] neg_lo:[0,1] neg_hi:[0,1]
	v_pk_fma_f32 v[6:7], v[6:7], v[34:35], v[8:9] op_sel_hi:[1,1,0]
	s_delay_alu instid0(VALU_DEP_1) | instskip(SKIP_4) | instid1(VALU_DEP_1)
	v_mov_b32_e32 v11, v7
	ds_load_2addr_b64 v[6:9], v196 offset0:46 offset1:47
	v_pk_add_f32 v[190:191], v[190:191], v[10:11] neg_lo:[0,1] neg_hi:[0,1]
	s_wait_dscnt 0x0
	v_pk_mul_f32 v[10:11], v[6:7], v[4:5] op_sel:[0,1]
	v_pk_fma_f32 v[12:13], v[6:7], v[2:3], v[10:11] op_sel:[0,0,1] op_sel_hi:[1,1,0] neg_lo:[0,0,1] neg_hi:[0,0,1]
	v_pk_fma_f32 v[6:7], v[6:7], v[2:3], v[10:11] op_sel:[0,0,1] op_sel_hi:[1,0,0]
	s_delay_alu instid0(VALU_DEP_1) | instskip(SKIP_1) | instid1(VALU_DEP_1)
	v_mov_b32_e32 v13, v7
	v_pk_mul_f32 v[6:7], v[8:9], v[4:5] op_sel:[0,1]
	v_pk_fma_f32 v[10:11], v[8:9], v[2:3], v[6:7] op_sel:[0,0,1] op_sel_hi:[1,1,0] neg_lo:[0,0,1] neg_hi:[0,0,1]
	v_pk_fma_f32 v[6:7], v[8:9], v[2:3], v[6:7] op_sel:[0,0,1] op_sel_hi:[1,0,0]
	s_delay_alu instid0(VALU_DEP_1)
	v_mov_b32_e32 v11, v7
	ds_load_2addr_b64 v[6:9], v196 offset0:48 offset1:49
	v_pk_add_f32 v[192:193], v[192:193], v[12:13] neg_lo:[0,1] neg_hi:[0,1]
	v_pk_add_f32 v[188:189], v[188:189], v[10:11] neg_lo:[0,1] neg_hi:[0,1]
	s_wait_dscnt 0x0
	v_pk_mul_f32 v[10:11], v[6:7], v[4:5] op_sel:[0,1]
	s_delay_alu instid0(VALU_DEP_1) | instskip(SKIP_1) | instid1(VALU_DEP_1)
	v_pk_fma_f32 v[12:13], v[6:7], v[2:3], v[10:11] op_sel:[0,0,1] op_sel_hi:[1,1,0] neg_lo:[0,0,1] neg_hi:[0,0,1]
	v_pk_fma_f32 v[6:7], v[6:7], v[2:3], v[10:11] op_sel:[0,0,1] op_sel_hi:[1,0,0]
	v_mov_b32_e32 v13, v7
	v_pk_mul_f32 v[6:7], v[8:9], v[4:5] op_sel:[0,1]
	s_delay_alu instid0(VALU_DEP_1) | instskip(SKIP_1) | instid1(VALU_DEP_1)
	v_pk_fma_f32 v[10:11], v[8:9], v[2:3], v[6:7] op_sel:[0,0,1] op_sel_hi:[1,1,0] neg_lo:[0,0,1] neg_hi:[0,0,1]
	v_pk_fma_f32 v[6:7], v[8:9], v[2:3], v[6:7] op_sel:[0,0,1] op_sel_hi:[1,0,0]
	v_mov_b32_e32 v11, v7
	ds_load_2addr_b64 v[6:9], v196 offset0:50 offset1:51
	v_pk_add_f32 v[212:213], v[212:213], v[12:13] neg_lo:[0,1] neg_hi:[0,1]
	v_pk_add_f32 v[208:209], v[208:209], v[10:11] neg_lo:[0,1] neg_hi:[0,1]
	s_wait_dscnt 0x0
	v_dual_mul_f32 v10, v7, v5 :: v_dual_mul_f32 v12, v7, v2
	s_delay_alu instid0(VALU_DEP_1) | instskip(NEXT) | instid1(VALU_DEP_2)
	v_pk_fma_f32 v[10:11], v[6:7], v[34:35], v[10:11] op_sel_hi:[1,1,0] neg_lo:[0,0,1] neg_hi:[0,0,1]
	v_pk_fma_f32 v[6:7], v[6:7], v[34:35], v[12:13] op_sel:[1,0,0] op_sel_hi:[0,1,0]
	s_delay_alu instid0(VALU_DEP_1) | instskip(SKIP_1) | instid1(VALU_DEP_2)
	v_mov_b32_e32 v11, v7
	v_pk_mul_f32 v[6:7], v[8:9], v[4:5] op_sel:[0,1]
	v_pk_add_f32 v[210:211], v[210:211], v[10:11] neg_lo:[0,1] neg_hi:[0,1]
	s_delay_alu instid0(VALU_DEP_2) | instskip(SKIP_1) | instid1(VALU_DEP_1)
	v_pk_fma_f32 v[10:11], v[8:9], v[2:3], v[6:7] op_sel:[0,0,1] op_sel_hi:[1,1,0] neg_lo:[0,0,1] neg_hi:[0,0,1]
	v_pk_fma_f32 v[6:7], v[8:9], v[2:3], v[6:7] op_sel:[0,0,1] op_sel_hi:[1,0,0]
	v_mov_b32_e32 v11, v7
	ds_load_2addr_b64 v[6:9], v196 offset0:52 offset1:53
	v_pk_add_f32 v[206:207], v[206:207], v[10:11] neg_lo:[0,1] neg_hi:[0,1]
	s_wait_dscnt 0x0
	v_pk_mul_f32 v[10:11], v[6:7], v[4:5] op_sel:[0,1]
	s_delay_alu instid0(VALU_DEP_1) | instskip(SKIP_1) | instid1(VALU_DEP_1)
	v_pk_fma_f32 v[12:13], v[6:7], v[2:3], v[10:11] op_sel:[0,0,1] op_sel_hi:[1,1,0] neg_lo:[0,0,1] neg_hi:[0,0,1]
	v_pk_fma_f32 v[6:7], v[6:7], v[2:3], v[10:11] op_sel:[0,0,1] op_sel_hi:[1,0,0]
	v_mov_b32_e32 v13, v7
	v_pk_mul_f32 v[6:7], v[8:9], v[4:5] op_sel:[0,1]
	s_delay_alu instid0(VALU_DEP_2) | instskip(NEXT) | instid1(VALU_DEP_2)
	v_pk_add_f32 v[228:229], v[228:229], v[12:13] neg_lo:[0,1] neg_hi:[0,1]
	v_pk_fma_f32 v[10:11], v[8:9], v[2:3], v[6:7] op_sel:[0,0,1] op_sel_hi:[1,1,0] neg_lo:[0,0,1] neg_hi:[0,0,1]
	v_pk_fma_f32 v[6:7], v[8:9], v[2:3], v[6:7] op_sel:[0,0,1] op_sel_hi:[1,0,0]
	s_delay_alu instid0(VALU_DEP_1) | instskip(SKIP_4) | instid1(VALU_DEP_1)
	v_mov_b32_e32 v11, v7
	ds_load_2addr_b64 v[6:9], v196 offset0:54 offset1:55
	v_pk_add_f32 v[224:225], v[224:225], v[10:11] neg_lo:[0,1] neg_hi:[0,1]
	s_wait_dscnt 0x0
	v_pk_mul_f32 v[10:11], v[6:7], v[4:5] op_sel:[0,1]
	v_pk_fma_f32 v[12:13], v[6:7], v[2:3], v[10:11] op_sel:[0,0,1] op_sel_hi:[1,1,0] neg_lo:[0,0,1] neg_hi:[0,0,1]
	v_pk_fma_f32 v[6:7], v[6:7], v[2:3], v[10:11] op_sel:[0,0,1] op_sel_hi:[1,0,0]
	v_dual_mul_f32 v10, v9, v5 :: v_dual_mov_b32 v6, v9
	s_delay_alu instid0(VALU_DEP_2) | instskip(NEXT) | instid1(VALU_DEP_2)
	v_dual_mov_b32 v13, v7 :: v_dual_mov_b32 v7, v8
	v_pk_fma_f32 v[10:11], v[8:9], v[34:35], v[10:11] op_sel_hi:[1,1,0] neg_lo:[0,0,1] neg_hi:[0,0,1]
	v_mul_f32_e32 v8, v9, v2
	s_delay_alu instid0(VALU_DEP_3) | instskip(NEXT) | instid1(VALU_DEP_2)
	v_pk_add_f32 v[226:227], v[226:227], v[12:13] neg_lo:[0,1] neg_hi:[0,1]
	v_pk_fma_f32 v[6:7], v[6:7], v[34:35], v[8:9] op_sel_hi:[1,1,0]
	s_delay_alu instid0(VALU_DEP_1)
	v_mov_b32_e32 v11, v7
	ds_load_2addr_b64 v[6:9], v196 offset0:56 offset1:57
	v_pk_add_f32 v[222:223], v[222:223], v[10:11] neg_lo:[0,1] neg_hi:[0,1]
	s_wait_dscnt 0x0
	v_pk_mul_f32 v[10:11], v[6:7], v[4:5] op_sel:[0,1]
	v_pk_mul_f32 v[4:5], v[8:9], v[4:5] op_sel:[0,1]
	s_delay_alu instid0(VALU_DEP_2) | instskip(SKIP_1) | instid1(VALU_DEP_1)
	v_pk_fma_f32 v[12:13], v[6:7], v[2:3], v[10:11] op_sel:[0,0,1] op_sel_hi:[1,1,0] neg_lo:[0,0,1] neg_hi:[0,0,1]
	v_pk_fma_f32 v[6:7], v[6:7], v[2:3], v[10:11] op_sel:[0,0,1] op_sel_hi:[1,0,0]
	v_mov_b32_e32 v13, v7
	s_delay_alu instid0(VALU_DEP_4) | instskip(SKIP_1) | instid1(VALU_DEP_1)
	v_pk_fma_f32 v[6:7], v[8:9], v[2:3], v[4:5] op_sel:[0,0,1] op_sel_hi:[1,1,0] neg_lo:[0,0,1] neg_hi:[0,0,1]
	v_pk_fma_f32 v[2:3], v[8:9], v[2:3], v[4:5] op_sel:[0,0,1] op_sel_hi:[1,0,0]
	v_mov_b32_e32 v7, v3
	s_delay_alu instid0(VALU_DEP_4) | instskip(NEXT) | instid1(VALU_DEP_2)
	v_pk_add_f32 v[230:231], v[230:231], v[12:13] neg_lo:[0,1] neg_hi:[0,1]
	v_pk_add_f32 v[232:233], v[232:233], v[6:7] neg_lo:[0,1] neg_hi:[0,1]
.LBB115_109:
	s_wait_xcnt 0x0
	s_or_b32 exec_lo, exec_lo, s1
	s_delay_alu instid0(SALU_CYCLE_1)
	s_mov_b32 s2, exec_lo
	s_wait_storecnt 0x0
	s_barrier_signal -1
	s_barrier_wait -1
	v_cmpx_eq_u32_e32 12, v186
	s_cbranch_execz .LBB115_116
; %bb.110:
	ds_store_b64 v187, v[64:65]
	ds_store_2addr_b64 v196, v[60:61], v[62:63] offset0:13 offset1:14
	ds_store_2addr_b64 v196, v[58:59], v[82:83] offset0:15 offset1:16
	;; [unrolled: 1-line block ×22, first 2 shown]
	ds_store_b64 v196, v[232:233] offset:456
	ds_load_b64 v[2:3], v187
	s_wait_dscnt 0x0
	v_cmp_neq_f32_e32 vcc_lo, 0, v2
	v_cmp_neq_f32_e64 s1, 0, v3
	s_or_b32 s1, vcc_lo, s1
	s_delay_alu instid0(SALU_CYCLE_1)
	s_and_b32 exec_lo, exec_lo, s1
	s_cbranch_execz .LBB115_116
; %bb.111:
	v_cmp_ngt_f32_e64 s1, |v2|, |v3|
                                        ; implicit-def: $vgpr4_vgpr5
	s_and_saveexec_b32 s4, s1
	s_delay_alu instid0(SALU_CYCLE_1)
	s_xor_b32 s1, exec_lo, s4
	s_cbranch_execz .LBB115_113
; %bb.112:
	v_div_scale_f32 v4, null, v3, v3, v2
	v_div_scale_f32 v7, vcc_lo, v2, v3, v2
	s_delay_alu instid0(VALU_DEP_2) | instskip(SKIP_1) | instid1(TRANS32_DEP_1)
	v_rcp_f32_e32 v5, v4
	v_nop
	v_fma_f32 v6, -v4, v5, 1.0
	s_delay_alu instid0(VALU_DEP_1) | instskip(NEXT) | instid1(VALU_DEP_1)
	v_fmac_f32_e32 v5, v6, v5
	v_mul_f32_e32 v6, v7, v5
	s_delay_alu instid0(VALU_DEP_1) | instskip(NEXT) | instid1(VALU_DEP_1)
	v_fma_f32 v8, -v4, v6, v7
	v_fmac_f32_e32 v6, v8, v5
	s_delay_alu instid0(VALU_DEP_1) | instskip(NEXT) | instid1(VALU_DEP_1)
	v_fma_f32 v4, -v4, v6, v7
	v_div_fmas_f32 v4, v4, v5, v6
	s_delay_alu instid0(VALU_DEP_1) | instskip(NEXT) | instid1(VALU_DEP_1)
	v_div_fixup_f32 v4, v4, v3, v2
	v_fmac_f32_e32 v3, v2, v4
	s_delay_alu instid0(VALU_DEP_1) | instskip(SKIP_1) | instid1(VALU_DEP_2)
	v_div_scale_f32 v2, null, v3, v3, 1.0
	v_div_scale_f32 v7, vcc_lo, 1.0, v3, 1.0
	v_rcp_f32_e32 v5, v2
	v_nop
	s_delay_alu instid0(TRANS32_DEP_1) | instskip(NEXT) | instid1(VALU_DEP_1)
	v_fma_f32 v6, -v2, v5, 1.0
	v_fmac_f32_e32 v5, v6, v5
	s_delay_alu instid0(VALU_DEP_1) | instskip(NEXT) | instid1(VALU_DEP_1)
	v_mul_f32_e32 v6, v7, v5
	v_fma_f32 v8, -v2, v6, v7
	s_delay_alu instid0(VALU_DEP_1) | instskip(NEXT) | instid1(VALU_DEP_1)
	v_fmac_f32_e32 v6, v8, v5
	v_fma_f32 v2, -v2, v6, v7
	s_delay_alu instid0(VALU_DEP_1) | instskip(NEXT) | instid1(VALU_DEP_1)
	v_div_fmas_f32 v2, v2, v5, v6
	v_div_fixup_f32 v2, v2, v3, 1.0
	s_delay_alu instid0(VALU_DEP_1)
	v_mul_f32_e32 v4, v4, v2
	v_xor_b32_e32 v5, 0x80000000, v2
                                        ; implicit-def: $vgpr2_vgpr3
.LBB115_113:
	s_and_not1_saveexec_b32 s1, s1
	s_cbranch_execz .LBB115_115
; %bb.114:
	v_div_scale_f32 v4, null, v2, v2, v3
	v_div_scale_f32 v7, vcc_lo, v3, v2, v3
	s_delay_alu instid0(VALU_DEP_2) | instskip(SKIP_1) | instid1(TRANS32_DEP_1)
	v_rcp_f32_e32 v5, v4
	v_nop
	v_fma_f32 v6, -v4, v5, 1.0
	s_delay_alu instid0(VALU_DEP_1) | instskip(NEXT) | instid1(VALU_DEP_1)
	v_fmac_f32_e32 v5, v6, v5
	v_mul_f32_e32 v6, v7, v5
	s_delay_alu instid0(VALU_DEP_1) | instskip(NEXT) | instid1(VALU_DEP_1)
	v_fma_f32 v8, -v4, v6, v7
	v_fmac_f32_e32 v6, v8, v5
	s_delay_alu instid0(VALU_DEP_1) | instskip(NEXT) | instid1(VALU_DEP_1)
	v_fma_f32 v4, -v4, v6, v7
	v_div_fmas_f32 v4, v4, v5, v6
	s_delay_alu instid0(VALU_DEP_1) | instskip(NEXT) | instid1(VALU_DEP_1)
	v_div_fixup_f32 v5, v4, v2, v3
	v_fmac_f32_e32 v2, v3, v5
	s_delay_alu instid0(VALU_DEP_1) | instskip(NEXT) | instid1(VALU_DEP_1)
	v_div_scale_f32 v3, null, v2, v2, 1.0
	v_rcp_f32_e32 v4, v3
	v_nop
	s_delay_alu instid0(TRANS32_DEP_1) | instskip(NEXT) | instid1(VALU_DEP_1)
	v_fma_f32 v6, -v3, v4, 1.0
	v_fmac_f32_e32 v4, v6, v4
	v_div_scale_f32 v6, vcc_lo, 1.0, v2, 1.0
	s_delay_alu instid0(VALU_DEP_1) | instskip(NEXT) | instid1(VALU_DEP_1)
	v_mul_f32_e32 v7, v6, v4
	v_fma_f32 v8, -v3, v7, v6
	s_delay_alu instid0(VALU_DEP_1) | instskip(NEXT) | instid1(VALU_DEP_1)
	v_fmac_f32_e32 v7, v8, v4
	v_fma_f32 v3, -v3, v7, v6
	s_delay_alu instid0(VALU_DEP_1) | instskip(NEXT) | instid1(VALU_DEP_1)
	v_div_fmas_f32 v3, v3, v4, v7
	v_div_fixup_f32 v4, v3, v2, 1.0
	s_delay_alu instid0(VALU_DEP_1)
	v_mul_f32_e64 v5, v5, -v4
.LBB115_115:
	s_or_b32 exec_lo, exec_lo, s1
	ds_store_b64 v187, v[4:5]
.LBB115_116:
	s_or_b32 exec_lo, exec_lo, s2
	s_wait_dscnt 0x0
	s_barrier_signal -1
	s_barrier_wait -1
	ds_load_b64 v[2:3], v187
	s_mov_b32 s1, exec_lo
	v_cmpx_lt_u32_e32 12, v186
	s_cbranch_execz .LBB115_118
; %bb.117:
	ds_load_2addr_b64 v[8:11], v196 offset0:13 offset1:14
	s_wait_dscnt 0x1
	v_pk_mul_f32 v[6:7], v[2:3], v[64:65] op_sel:[1,1] op_sel_hi:[0,1]
	s_delay_alu instid0(VALU_DEP_1) | instskip(SKIP_1) | instid1(VALU_DEP_1)
	v_pk_fma_f32 v[4:5], v[2:3], v[64:65], v[6:7] op_sel_hi:[1,0,1] neg_lo:[0,0,1] neg_hi:[0,0,1]
	v_pk_fma_f32 v[6:7], v[2:3], v[64:65], v[6:7] op_sel_hi:[1,0,1]
	v_dual_mov_b32 v64, v4 :: v_dual_mov_b32 v65, v7
	s_wait_dscnt 0x0
	s_delay_alu instid0(VALU_DEP_2) | instskip(NEXT) | instid1(VALU_DEP_1)
	v_pk_mul_f32 v[12:13], v[8:9], v[6:7] op_sel:[0,1]
	v_pk_fma_f32 v[14:15], v[8:9], v[4:5], v[12:13] op_sel:[0,0,1] op_sel_hi:[1,1,0] neg_lo:[0,0,1] neg_hi:[0,0,1]
	v_pk_fma_f32 v[8:9], v[8:9], v[4:5], v[12:13] op_sel:[0,0,1] op_sel_hi:[1,0,0]
	s_delay_alu instid0(VALU_DEP_1) | instskip(SKIP_1) | instid1(VALU_DEP_1)
	v_mov_b32_e32 v15, v9
	v_pk_mul_f32 v[8:9], v[10:11], v[6:7] op_sel:[0,1]
	v_pk_fma_f32 v[12:13], v[10:11], v[4:5], v[8:9] op_sel:[0,0,1] op_sel_hi:[1,1,0] neg_lo:[0,0,1] neg_hi:[0,0,1]
	v_pk_fma_f32 v[8:9], v[10:11], v[4:5], v[8:9] op_sel:[0,0,1] op_sel_hi:[1,0,0]
	s_delay_alu instid0(VALU_DEP_1)
	v_mov_b32_e32 v13, v9
	ds_load_2addr_b64 v[8:11], v196 offset0:15 offset1:16
	v_pk_add_f32 v[60:61], v[60:61], v[14:15] neg_lo:[0,1] neg_hi:[0,1]
	v_pk_add_f32 v[62:63], v[62:63], v[12:13] neg_lo:[0,1] neg_hi:[0,1]
	s_wait_dscnt 0x0
	v_pk_mul_f32 v[12:13], v[8:9], v[6:7] op_sel:[0,1]
	s_delay_alu instid0(VALU_DEP_1) | instskip(SKIP_2) | instid1(VALU_DEP_2)
	v_pk_fma_f32 v[14:15], v[8:9], v[4:5], v[12:13] op_sel:[0,0,1] op_sel_hi:[1,1,0] neg_lo:[0,0,1] neg_hi:[0,0,1]
	v_pk_fma_f32 v[8:9], v[8:9], v[4:5], v[12:13] op_sel:[0,0,1] op_sel_hi:[1,0,0]
	v_dual_mul_f32 v12, v11, v7 :: v_dual_mov_b32 v8, v11
	v_dual_mov_b32 v15, v9 :: v_dual_mov_b32 v9, v10
	s_delay_alu instid0(VALU_DEP_2) | instskip(SKIP_1) | instid1(VALU_DEP_3)
	v_pk_fma_f32 v[12:13], v[10:11], v[64:65], v[12:13] op_sel_hi:[1,1,0] neg_lo:[0,0,1] neg_hi:[0,0,1]
	v_mul_f32_e32 v10, v11, v4
	v_pk_add_f32 v[58:59], v[58:59], v[14:15] neg_lo:[0,1] neg_hi:[0,1]
	s_delay_alu instid0(VALU_DEP_2) | instskip(NEXT) | instid1(VALU_DEP_1)
	v_pk_fma_f32 v[8:9], v[8:9], v[64:65], v[10:11] op_sel_hi:[1,1,0]
	v_mov_b32_e32 v13, v9
	ds_load_2addr_b64 v[8:11], v196 offset0:17 offset1:18
	v_pk_add_f32 v[82:83], v[82:83], v[12:13] neg_lo:[0,1] neg_hi:[0,1]
	s_wait_dscnt 0x0
	v_pk_mul_f32 v[12:13], v[8:9], v[6:7] op_sel:[0,1]
	s_delay_alu instid0(VALU_DEP_1) | instskip(SKIP_1) | instid1(VALU_DEP_1)
	v_pk_fma_f32 v[14:15], v[8:9], v[4:5], v[12:13] op_sel:[0,0,1] op_sel_hi:[1,1,0] neg_lo:[0,0,1] neg_hi:[0,0,1]
	v_pk_fma_f32 v[8:9], v[8:9], v[4:5], v[12:13] op_sel:[0,0,1] op_sel_hi:[1,0,0]
	v_mov_b32_e32 v15, v9
	v_pk_mul_f32 v[8:9], v[10:11], v[6:7] op_sel:[0,1]
	s_delay_alu instid0(VALU_DEP_1) | instskip(SKIP_1) | instid1(VALU_DEP_1)
	v_pk_fma_f32 v[12:13], v[10:11], v[4:5], v[8:9] op_sel:[0,0,1] op_sel_hi:[1,1,0] neg_lo:[0,0,1] neg_hi:[0,0,1]
	v_pk_fma_f32 v[8:9], v[10:11], v[4:5], v[8:9] op_sel:[0,0,1] op_sel_hi:[1,0,0]
	v_mov_b32_e32 v13, v9
	ds_load_2addr_b64 v[8:11], v196 offset0:19 offset1:20
	v_pk_add_f32 v[78:79], v[78:79], v[14:15] neg_lo:[0,1] neg_hi:[0,1]
	v_pk_add_f32 v[80:81], v[80:81], v[12:13] neg_lo:[0,1] neg_hi:[0,1]
	s_wait_dscnt 0x0
	v_pk_mul_f32 v[12:13], v[8:9], v[6:7] op_sel:[0,1]
	s_delay_alu instid0(VALU_DEP_1) | instskip(SKIP_1) | instid1(VALU_DEP_1)
	v_pk_fma_f32 v[14:15], v[8:9], v[4:5], v[12:13] op_sel:[0,0,1] op_sel_hi:[1,1,0] neg_lo:[0,0,1] neg_hi:[0,0,1]
	v_pk_fma_f32 v[8:9], v[8:9], v[4:5], v[12:13] op_sel:[0,0,1] op_sel_hi:[1,0,0]
	v_mov_b32_e32 v15, v9
	v_pk_mul_f32 v[8:9], v[10:11], v[6:7] op_sel:[0,1]
	s_delay_alu instid0(VALU_DEP_1) | instskip(SKIP_1) | instid1(VALU_DEP_1)
	v_pk_fma_f32 v[12:13], v[10:11], v[4:5], v[8:9] op_sel:[0,0,1] op_sel_hi:[1,1,0] neg_lo:[0,0,1] neg_hi:[0,0,1]
	v_pk_fma_f32 v[8:9], v[10:11], v[4:5], v[8:9] op_sel:[0,0,1] op_sel_hi:[1,0,0]
	v_mov_b32_e32 v13, v9
	ds_load_2addr_b64 v[8:11], v196 offset0:21 offset1:22
	v_pk_add_f32 v[76:77], v[76:77], v[14:15] neg_lo:[0,1] neg_hi:[0,1]
	v_pk_add_f32 v[98:99], v[98:99], v[12:13] neg_lo:[0,1] neg_hi:[0,1]
	s_wait_dscnt 0x0
	v_dual_mul_f32 v12, v9, v7 :: v_dual_mul_f32 v14, v9, v4
	s_delay_alu instid0(VALU_DEP_1) | instskip(NEXT) | instid1(VALU_DEP_2)
	v_pk_fma_f32 v[12:13], v[8:9], v[64:65], v[12:13] op_sel_hi:[1,1,0] neg_lo:[0,0,1] neg_hi:[0,0,1]
	v_pk_fma_f32 v[8:9], v[8:9], v[64:65], v[14:15] op_sel:[1,0,0] op_sel_hi:[0,1,0]
	s_delay_alu instid0(VALU_DEP_1) | instskip(SKIP_1) | instid1(VALU_DEP_2)
	v_mov_b32_e32 v13, v9
	v_pk_mul_f32 v[8:9], v[10:11], v[6:7] op_sel:[0,1]
	v_pk_add_f32 v[94:95], v[94:95], v[12:13] neg_lo:[0,1] neg_hi:[0,1]
	s_delay_alu instid0(VALU_DEP_2) | instskip(SKIP_1) | instid1(VALU_DEP_1)
	v_pk_fma_f32 v[12:13], v[10:11], v[4:5], v[8:9] op_sel:[0,0,1] op_sel_hi:[1,1,0] neg_lo:[0,0,1] neg_hi:[0,0,1]
	v_pk_fma_f32 v[8:9], v[10:11], v[4:5], v[8:9] op_sel:[0,0,1] op_sel_hi:[1,0,0]
	v_mov_b32_e32 v13, v9
	ds_load_2addr_b64 v[8:11], v196 offset0:23 offset1:24
	v_pk_add_f32 v[96:97], v[96:97], v[12:13] neg_lo:[0,1] neg_hi:[0,1]
	s_wait_dscnt 0x0
	v_pk_mul_f32 v[12:13], v[8:9], v[6:7] op_sel:[0,1]
	s_delay_alu instid0(VALU_DEP_1) | instskip(SKIP_1) | instid1(VALU_DEP_1)
	v_pk_fma_f32 v[14:15], v[8:9], v[4:5], v[12:13] op_sel:[0,0,1] op_sel_hi:[1,1,0] neg_lo:[0,0,1] neg_hi:[0,0,1]
	v_pk_fma_f32 v[8:9], v[8:9], v[4:5], v[12:13] op_sel:[0,0,1] op_sel_hi:[1,0,0]
	v_mov_b32_e32 v15, v9
	v_pk_mul_f32 v[8:9], v[10:11], v[6:7] op_sel:[0,1]
	s_delay_alu instid0(VALU_DEP_2) | instskip(NEXT) | instid1(VALU_DEP_2)
	v_pk_add_f32 v[92:93], v[92:93], v[14:15] neg_lo:[0,1] neg_hi:[0,1]
	v_pk_fma_f32 v[12:13], v[10:11], v[4:5], v[8:9] op_sel:[0,0,1] op_sel_hi:[1,1,0] neg_lo:[0,0,1] neg_hi:[0,0,1]
	v_pk_fma_f32 v[8:9], v[10:11], v[4:5], v[8:9] op_sel:[0,0,1] op_sel_hi:[1,0,0]
	s_delay_alu instid0(VALU_DEP_1) | instskip(SKIP_4) | instid1(VALU_DEP_1)
	v_mov_b32_e32 v13, v9
	ds_load_2addr_b64 v[8:11], v196 offset0:25 offset1:26
	v_pk_add_f32 v[114:115], v[114:115], v[12:13] neg_lo:[0,1] neg_hi:[0,1]
	s_wait_dscnt 0x0
	v_pk_mul_f32 v[12:13], v[8:9], v[6:7] op_sel:[0,1]
	v_pk_fma_f32 v[14:15], v[8:9], v[4:5], v[12:13] op_sel:[0,0,1] op_sel_hi:[1,1,0] neg_lo:[0,0,1] neg_hi:[0,0,1]
	v_pk_fma_f32 v[8:9], v[8:9], v[4:5], v[12:13] op_sel:[0,0,1] op_sel_hi:[1,0,0]
	v_dual_mul_f32 v12, v11, v7 :: v_dual_mov_b32 v8, v11
	s_delay_alu instid0(VALU_DEP_2) | instskip(NEXT) | instid1(VALU_DEP_2)
	v_dual_mov_b32 v15, v9 :: v_dual_mov_b32 v9, v10
	v_pk_fma_f32 v[12:13], v[10:11], v[64:65], v[12:13] op_sel_hi:[1,1,0] neg_lo:[0,0,1] neg_hi:[0,0,1]
	v_mul_f32_e32 v10, v11, v4
	s_delay_alu instid0(VALU_DEP_3) | instskip(NEXT) | instid1(VALU_DEP_2)
	v_pk_add_f32 v[110:111], v[110:111], v[14:15] neg_lo:[0,1] neg_hi:[0,1]
	v_pk_fma_f32 v[8:9], v[8:9], v[64:65], v[10:11] op_sel_hi:[1,1,0]
	s_delay_alu instid0(VALU_DEP_1) | instskip(SKIP_4) | instid1(VALU_DEP_1)
	v_mov_b32_e32 v13, v9
	ds_load_2addr_b64 v[8:11], v196 offset0:27 offset1:28
	v_pk_add_f32 v[112:113], v[112:113], v[12:13] neg_lo:[0,1] neg_hi:[0,1]
	s_wait_dscnt 0x0
	v_pk_mul_f32 v[12:13], v[8:9], v[6:7] op_sel:[0,1]
	v_pk_fma_f32 v[14:15], v[8:9], v[4:5], v[12:13] op_sel:[0,0,1] op_sel_hi:[1,1,0] neg_lo:[0,0,1] neg_hi:[0,0,1]
	v_pk_fma_f32 v[8:9], v[8:9], v[4:5], v[12:13] op_sel:[0,0,1] op_sel_hi:[1,0,0]
	s_delay_alu instid0(VALU_DEP_1) | instskip(SKIP_1) | instid1(VALU_DEP_1)
	v_mov_b32_e32 v15, v9
	v_pk_mul_f32 v[8:9], v[10:11], v[6:7] op_sel:[0,1]
	v_pk_fma_f32 v[12:13], v[10:11], v[4:5], v[8:9] op_sel:[0,0,1] op_sel_hi:[1,1,0] neg_lo:[0,0,1] neg_hi:[0,0,1]
	v_pk_fma_f32 v[8:9], v[10:11], v[4:5], v[8:9] op_sel:[0,0,1] op_sel_hi:[1,0,0]
	s_delay_alu instid0(VALU_DEP_1)
	v_mov_b32_e32 v13, v9
	ds_load_2addr_b64 v[8:11], v196 offset0:29 offset1:30
	v_pk_add_f32 v[108:109], v[108:109], v[14:15] neg_lo:[0,1] neg_hi:[0,1]
	v_pk_add_f32 v[130:131], v[130:131], v[12:13] neg_lo:[0,1] neg_hi:[0,1]
	s_wait_dscnt 0x0
	v_pk_mul_f32 v[12:13], v[8:9], v[6:7] op_sel:[0,1]
	s_delay_alu instid0(VALU_DEP_1) | instskip(SKIP_1) | instid1(VALU_DEP_1)
	v_pk_fma_f32 v[14:15], v[8:9], v[4:5], v[12:13] op_sel:[0,0,1] op_sel_hi:[1,1,0] neg_lo:[0,0,1] neg_hi:[0,0,1]
	v_pk_fma_f32 v[8:9], v[8:9], v[4:5], v[12:13] op_sel:[0,0,1] op_sel_hi:[1,0,0]
	v_mov_b32_e32 v15, v9
	v_pk_mul_f32 v[8:9], v[10:11], v[6:7] op_sel:[0,1]
	s_delay_alu instid0(VALU_DEP_1) | instskip(SKIP_1) | instid1(VALU_DEP_1)
	v_pk_fma_f32 v[12:13], v[10:11], v[4:5], v[8:9] op_sel:[0,0,1] op_sel_hi:[1,1,0] neg_lo:[0,0,1] neg_hi:[0,0,1]
	v_pk_fma_f32 v[8:9], v[10:11], v[4:5], v[8:9] op_sel:[0,0,1] op_sel_hi:[1,0,0]
	v_mov_b32_e32 v13, v9
	ds_load_2addr_b64 v[8:11], v196 offset0:31 offset1:32
	v_pk_add_f32 v[126:127], v[126:127], v[14:15] neg_lo:[0,1] neg_hi:[0,1]
	v_pk_add_f32 v[128:129], v[128:129], v[12:13] neg_lo:[0,1] neg_hi:[0,1]
	s_wait_dscnt 0x0
	v_dual_mul_f32 v12, v9, v7 :: v_dual_mul_f32 v14, v9, v4
	s_delay_alu instid0(VALU_DEP_1) | instskip(NEXT) | instid1(VALU_DEP_2)
	v_pk_fma_f32 v[12:13], v[8:9], v[64:65], v[12:13] op_sel_hi:[1,1,0] neg_lo:[0,0,1] neg_hi:[0,0,1]
	v_pk_fma_f32 v[8:9], v[8:9], v[64:65], v[14:15] op_sel:[1,0,0] op_sel_hi:[0,1,0]
	s_delay_alu instid0(VALU_DEP_1) | instskip(SKIP_1) | instid1(VALU_DEP_2)
	v_mov_b32_e32 v13, v9
	v_pk_mul_f32 v[8:9], v[10:11], v[6:7] op_sel:[0,1]
	v_pk_add_f32 v[124:125], v[124:125], v[12:13] neg_lo:[0,1] neg_hi:[0,1]
	s_delay_alu instid0(VALU_DEP_2) | instskip(SKIP_1) | instid1(VALU_DEP_1)
	v_pk_fma_f32 v[12:13], v[10:11], v[4:5], v[8:9] op_sel:[0,0,1] op_sel_hi:[1,1,0] neg_lo:[0,0,1] neg_hi:[0,0,1]
	v_pk_fma_f32 v[8:9], v[10:11], v[4:5], v[8:9] op_sel:[0,0,1] op_sel_hi:[1,0,0]
	v_mov_b32_e32 v13, v9
	ds_load_2addr_b64 v[8:11], v196 offset0:33 offset1:34
	v_pk_add_f32 v[146:147], v[146:147], v[12:13] neg_lo:[0,1] neg_hi:[0,1]
	s_wait_dscnt 0x0
	v_pk_mul_f32 v[12:13], v[8:9], v[6:7] op_sel:[0,1]
	s_delay_alu instid0(VALU_DEP_1) | instskip(SKIP_1) | instid1(VALU_DEP_1)
	v_pk_fma_f32 v[14:15], v[8:9], v[4:5], v[12:13] op_sel:[0,0,1] op_sel_hi:[1,1,0] neg_lo:[0,0,1] neg_hi:[0,0,1]
	v_pk_fma_f32 v[8:9], v[8:9], v[4:5], v[12:13] op_sel:[0,0,1] op_sel_hi:[1,0,0]
	v_mov_b32_e32 v15, v9
	v_pk_mul_f32 v[8:9], v[10:11], v[6:7] op_sel:[0,1]
	s_delay_alu instid0(VALU_DEP_2) | instskip(NEXT) | instid1(VALU_DEP_2)
	v_pk_add_f32 v[142:143], v[142:143], v[14:15] neg_lo:[0,1] neg_hi:[0,1]
	v_pk_fma_f32 v[12:13], v[10:11], v[4:5], v[8:9] op_sel:[0,0,1] op_sel_hi:[1,1,0] neg_lo:[0,0,1] neg_hi:[0,0,1]
	v_pk_fma_f32 v[8:9], v[10:11], v[4:5], v[8:9] op_sel:[0,0,1] op_sel_hi:[1,0,0]
	s_delay_alu instid0(VALU_DEP_1) | instskip(SKIP_4) | instid1(VALU_DEP_1)
	v_mov_b32_e32 v13, v9
	ds_load_2addr_b64 v[8:11], v196 offset0:35 offset1:36
	v_pk_add_f32 v[144:145], v[144:145], v[12:13] neg_lo:[0,1] neg_hi:[0,1]
	s_wait_dscnt 0x0
	v_pk_mul_f32 v[12:13], v[8:9], v[6:7] op_sel:[0,1]
	v_pk_fma_f32 v[14:15], v[8:9], v[4:5], v[12:13] op_sel:[0,0,1] op_sel_hi:[1,1,0] neg_lo:[0,0,1] neg_hi:[0,0,1]
	v_pk_fma_f32 v[8:9], v[8:9], v[4:5], v[12:13] op_sel:[0,0,1] op_sel_hi:[1,0,0]
	v_dual_mul_f32 v12, v11, v7 :: v_dual_mov_b32 v8, v11
	s_delay_alu instid0(VALU_DEP_2) | instskip(NEXT) | instid1(VALU_DEP_2)
	v_dual_mov_b32 v15, v9 :: v_dual_mov_b32 v9, v10
	v_pk_fma_f32 v[12:13], v[10:11], v[64:65], v[12:13] op_sel_hi:[1,1,0] neg_lo:[0,0,1] neg_hi:[0,0,1]
	v_mul_f32_e32 v10, v11, v4
	s_delay_alu instid0(VALU_DEP_3) | instskip(NEXT) | instid1(VALU_DEP_2)
	v_pk_add_f32 v[140:141], v[140:141], v[14:15] neg_lo:[0,1] neg_hi:[0,1]
	v_pk_fma_f32 v[8:9], v[8:9], v[64:65], v[10:11] op_sel_hi:[1,1,0]
	s_delay_alu instid0(VALU_DEP_1) | instskip(SKIP_4) | instid1(VALU_DEP_1)
	v_mov_b32_e32 v13, v9
	ds_load_2addr_b64 v[8:11], v196 offset0:37 offset1:38
	v_pk_add_f32 v[162:163], v[162:163], v[12:13] neg_lo:[0,1] neg_hi:[0,1]
	s_wait_dscnt 0x0
	v_pk_mul_f32 v[12:13], v[8:9], v[6:7] op_sel:[0,1]
	v_pk_fma_f32 v[14:15], v[8:9], v[4:5], v[12:13] op_sel:[0,0,1] op_sel_hi:[1,1,0] neg_lo:[0,0,1] neg_hi:[0,0,1]
	v_pk_fma_f32 v[8:9], v[8:9], v[4:5], v[12:13] op_sel:[0,0,1] op_sel_hi:[1,0,0]
	s_delay_alu instid0(VALU_DEP_1) | instskip(SKIP_1) | instid1(VALU_DEP_1)
	v_mov_b32_e32 v15, v9
	v_pk_mul_f32 v[8:9], v[10:11], v[6:7] op_sel:[0,1]
	v_pk_fma_f32 v[12:13], v[10:11], v[4:5], v[8:9] op_sel:[0,0,1] op_sel_hi:[1,1,0] neg_lo:[0,0,1] neg_hi:[0,0,1]
	v_pk_fma_f32 v[8:9], v[10:11], v[4:5], v[8:9] op_sel:[0,0,1] op_sel_hi:[1,0,0]
	s_delay_alu instid0(VALU_DEP_1)
	v_mov_b32_e32 v13, v9
	ds_load_2addr_b64 v[8:11], v196 offset0:39 offset1:40
	v_pk_add_f32 v[158:159], v[158:159], v[14:15] neg_lo:[0,1] neg_hi:[0,1]
	v_pk_add_f32 v[160:161], v[160:161], v[12:13] neg_lo:[0,1] neg_hi:[0,1]
	s_wait_dscnt 0x0
	v_pk_mul_f32 v[12:13], v[8:9], v[6:7] op_sel:[0,1]
	s_delay_alu instid0(VALU_DEP_1) | instskip(SKIP_1) | instid1(VALU_DEP_1)
	v_pk_fma_f32 v[14:15], v[8:9], v[4:5], v[12:13] op_sel:[0,0,1] op_sel_hi:[1,1,0] neg_lo:[0,0,1] neg_hi:[0,0,1]
	v_pk_fma_f32 v[8:9], v[8:9], v[4:5], v[12:13] op_sel:[0,0,1] op_sel_hi:[1,0,0]
	v_mov_b32_e32 v15, v9
	v_pk_mul_f32 v[8:9], v[10:11], v[6:7] op_sel:[0,1]
	s_delay_alu instid0(VALU_DEP_1) | instskip(SKIP_1) | instid1(VALU_DEP_1)
	v_pk_fma_f32 v[12:13], v[10:11], v[4:5], v[8:9] op_sel:[0,0,1] op_sel_hi:[1,1,0] neg_lo:[0,0,1] neg_hi:[0,0,1]
	v_pk_fma_f32 v[8:9], v[10:11], v[4:5], v[8:9] op_sel:[0,0,1] op_sel_hi:[1,0,0]
	v_mov_b32_e32 v13, v9
	ds_load_2addr_b64 v[8:11], v196 offset0:41 offset1:42
	v_pk_add_f32 v[156:157], v[156:157], v[14:15] neg_lo:[0,1] neg_hi:[0,1]
	v_pk_add_f32 v[178:179], v[178:179], v[12:13] neg_lo:[0,1] neg_hi:[0,1]
	s_wait_dscnt 0x0
	v_dual_mul_f32 v12, v9, v7 :: v_dual_mul_f32 v14, v9, v4
	s_delay_alu instid0(VALU_DEP_1) | instskip(NEXT) | instid1(VALU_DEP_2)
	v_pk_fma_f32 v[12:13], v[8:9], v[64:65], v[12:13] op_sel_hi:[1,1,0] neg_lo:[0,0,1] neg_hi:[0,0,1]
	v_pk_fma_f32 v[8:9], v[8:9], v[64:65], v[14:15] op_sel:[1,0,0] op_sel_hi:[0,1,0]
	s_delay_alu instid0(VALU_DEP_1) | instskip(SKIP_1) | instid1(VALU_DEP_2)
	v_mov_b32_e32 v13, v9
	v_pk_mul_f32 v[8:9], v[10:11], v[6:7] op_sel:[0,1]
	v_pk_add_f32 v[174:175], v[174:175], v[12:13] neg_lo:[0,1] neg_hi:[0,1]
	s_delay_alu instid0(VALU_DEP_2) | instskip(SKIP_1) | instid1(VALU_DEP_1)
	v_pk_fma_f32 v[12:13], v[10:11], v[4:5], v[8:9] op_sel:[0,0,1] op_sel_hi:[1,1,0] neg_lo:[0,0,1] neg_hi:[0,0,1]
	v_pk_fma_f32 v[8:9], v[10:11], v[4:5], v[8:9] op_sel:[0,0,1] op_sel_hi:[1,0,0]
	v_mov_b32_e32 v13, v9
	ds_load_2addr_b64 v[8:11], v196 offset0:43 offset1:44
	v_pk_add_f32 v[176:177], v[176:177], v[12:13] neg_lo:[0,1] neg_hi:[0,1]
	s_wait_dscnt 0x0
	v_pk_mul_f32 v[12:13], v[8:9], v[6:7] op_sel:[0,1]
	s_delay_alu instid0(VALU_DEP_1) | instskip(SKIP_1) | instid1(VALU_DEP_1)
	v_pk_fma_f32 v[14:15], v[8:9], v[4:5], v[12:13] op_sel:[0,0,1] op_sel_hi:[1,1,0] neg_lo:[0,0,1] neg_hi:[0,0,1]
	v_pk_fma_f32 v[8:9], v[8:9], v[4:5], v[12:13] op_sel:[0,0,1] op_sel_hi:[1,0,0]
	v_mov_b32_e32 v15, v9
	v_pk_mul_f32 v[8:9], v[10:11], v[6:7] op_sel:[0,1]
	s_delay_alu instid0(VALU_DEP_2) | instskip(NEXT) | instid1(VALU_DEP_2)
	v_pk_add_f32 v[172:173], v[172:173], v[14:15] neg_lo:[0,1] neg_hi:[0,1]
	v_pk_fma_f32 v[12:13], v[10:11], v[4:5], v[8:9] op_sel:[0,0,1] op_sel_hi:[1,1,0] neg_lo:[0,0,1] neg_hi:[0,0,1]
	v_pk_fma_f32 v[8:9], v[10:11], v[4:5], v[8:9] op_sel:[0,0,1] op_sel_hi:[1,0,0]
	s_delay_alu instid0(VALU_DEP_1) | instskip(SKIP_4) | instid1(VALU_DEP_1)
	v_mov_b32_e32 v13, v9
	ds_load_2addr_b64 v[8:11], v196 offset0:45 offset1:46
	v_pk_add_f32 v[194:195], v[194:195], v[12:13] neg_lo:[0,1] neg_hi:[0,1]
	s_wait_dscnt 0x0
	v_pk_mul_f32 v[12:13], v[8:9], v[6:7] op_sel:[0,1]
	v_pk_fma_f32 v[14:15], v[8:9], v[4:5], v[12:13] op_sel:[0,0,1] op_sel_hi:[1,1,0] neg_lo:[0,0,1] neg_hi:[0,0,1]
	v_pk_fma_f32 v[8:9], v[8:9], v[4:5], v[12:13] op_sel:[0,0,1] op_sel_hi:[1,0,0]
	v_dual_mul_f32 v12, v11, v7 :: v_dual_mov_b32 v8, v11
	s_delay_alu instid0(VALU_DEP_2) | instskip(NEXT) | instid1(VALU_DEP_2)
	v_dual_mov_b32 v15, v9 :: v_dual_mov_b32 v9, v10
	v_pk_fma_f32 v[12:13], v[10:11], v[64:65], v[12:13] op_sel_hi:[1,1,0] neg_lo:[0,0,1] neg_hi:[0,0,1]
	v_mul_f32_e32 v10, v11, v4
	s_delay_alu instid0(VALU_DEP_3) | instskip(NEXT) | instid1(VALU_DEP_2)
	v_pk_add_f32 v[190:191], v[190:191], v[14:15] neg_lo:[0,1] neg_hi:[0,1]
	v_pk_fma_f32 v[8:9], v[8:9], v[64:65], v[10:11] op_sel_hi:[1,1,0]
	s_delay_alu instid0(VALU_DEP_1) | instskip(SKIP_4) | instid1(VALU_DEP_1)
	v_mov_b32_e32 v13, v9
	ds_load_2addr_b64 v[8:11], v196 offset0:47 offset1:48
	v_pk_add_f32 v[192:193], v[192:193], v[12:13] neg_lo:[0,1] neg_hi:[0,1]
	s_wait_dscnt 0x0
	v_pk_mul_f32 v[12:13], v[8:9], v[6:7] op_sel:[0,1]
	v_pk_fma_f32 v[14:15], v[8:9], v[4:5], v[12:13] op_sel:[0,0,1] op_sel_hi:[1,1,0] neg_lo:[0,0,1] neg_hi:[0,0,1]
	v_pk_fma_f32 v[8:9], v[8:9], v[4:5], v[12:13] op_sel:[0,0,1] op_sel_hi:[1,0,0]
	s_delay_alu instid0(VALU_DEP_1) | instskip(SKIP_1) | instid1(VALU_DEP_1)
	v_mov_b32_e32 v15, v9
	v_pk_mul_f32 v[8:9], v[10:11], v[6:7] op_sel:[0,1]
	v_pk_fma_f32 v[12:13], v[10:11], v[4:5], v[8:9] op_sel:[0,0,1] op_sel_hi:[1,1,0] neg_lo:[0,0,1] neg_hi:[0,0,1]
	v_pk_fma_f32 v[8:9], v[10:11], v[4:5], v[8:9] op_sel:[0,0,1] op_sel_hi:[1,0,0]
	s_delay_alu instid0(VALU_DEP_1)
	v_mov_b32_e32 v13, v9
	ds_load_2addr_b64 v[8:11], v196 offset0:49 offset1:50
	v_pk_add_f32 v[188:189], v[188:189], v[14:15] neg_lo:[0,1] neg_hi:[0,1]
	v_pk_add_f32 v[212:213], v[212:213], v[12:13] neg_lo:[0,1] neg_hi:[0,1]
	s_wait_dscnt 0x0
	v_pk_mul_f32 v[12:13], v[8:9], v[6:7] op_sel:[0,1]
	s_delay_alu instid0(VALU_DEP_1) | instskip(SKIP_1) | instid1(VALU_DEP_1)
	v_pk_fma_f32 v[14:15], v[8:9], v[4:5], v[12:13] op_sel:[0,0,1] op_sel_hi:[1,1,0] neg_lo:[0,0,1] neg_hi:[0,0,1]
	v_pk_fma_f32 v[8:9], v[8:9], v[4:5], v[12:13] op_sel:[0,0,1] op_sel_hi:[1,0,0]
	v_mov_b32_e32 v15, v9
	v_pk_mul_f32 v[8:9], v[10:11], v[6:7] op_sel:[0,1]
	s_delay_alu instid0(VALU_DEP_1) | instskip(SKIP_1) | instid1(VALU_DEP_1)
	v_pk_fma_f32 v[12:13], v[10:11], v[4:5], v[8:9] op_sel:[0,0,1] op_sel_hi:[1,1,0] neg_lo:[0,0,1] neg_hi:[0,0,1]
	v_pk_fma_f32 v[8:9], v[10:11], v[4:5], v[8:9] op_sel:[0,0,1] op_sel_hi:[1,0,0]
	v_mov_b32_e32 v13, v9
	ds_load_2addr_b64 v[8:11], v196 offset0:51 offset1:52
	v_pk_add_f32 v[208:209], v[208:209], v[14:15] neg_lo:[0,1] neg_hi:[0,1]
	v_pk_add_f32 v[210:211], v[210:211], v[12:13] neg_lo:[0,1] neg_hi:[0,1]
	s_wait_dscnt 0x0
	v_dual_mul_f32 v12, v9, v7 :: v_dual_mul_f32 v14, v9, v4
	s_delay_alu instid0(VALU_DEP_1) | instskip(NEXT) | instid1(VALU_DEP_2)
	v_pk_fma_f32 v[12:13], v[8:9], v[64:65], v[12:13] op_sel_hi:[1,1,0] neg_lo:[0,0,1] neg_hi:[0,0,1]
	v_pk_fma_f32 v[8:9], v[8:9], v[64:65], v[14:15] op_sel:[1,0,0] op_sel_hi:[0,1,0]
	s_delay_alu instid0(VALU_DEP_1) | instskip(SKIP_1) | instid1(VALU_DEP_2)
	v_mov_b32_e32 v13, v9
	v_pk_mul_f32 v[8:9], v[10:11], v[6:7] op_sel:[0,1]
	v_pk_add_f32 v[206:207], v[206:207], v[12:13] neg_lo:[0,1] neg_hi:[0,1]
	s_delay_alu instid0(VALU_DEP_2) | instskip(SKIP_1) | instid1(VALU_DEP_1)
	v_pk_fma_f32 v[12:13], v[10:11], v[4:5], v[8:9] op_sel:[0,0,1] op_sel_hi:[1,1,0] neg_lo:[0,0,1] neg_hi:[0,0,1]
	v_pk_fma_f32 v[8:9], v[10:11], v[4:5], v[8:9] op_sel:[0,0,1] op_sel_hi:[1,0,0]
	v_mov_b32_e32 v13, v9
	ds_load_2addr_b64 v[8:11], v196 offset0:53 offset1:54
	v_pk_add_f32 v[228:229], v[228:229], v[12:13] neg_lo:[0,1] neg_hi:[0,1]
	s_wait_dscnt 0x0
	v_pk_mul_f32 v[12:13], v[8:9], v[6:7] op_sel:[0,1]
	s_delay_alu instid0(VALU_DEP_1) | instskip(SKIP_1) | instid1(VALU_DEP_1)
	v_pk_fma_f32 v[14:15], v[8:9], v[4:5], v[12:13] op_sel:[0,0,1] op_sel_hi:[1,1,0] neg_lo:[0,0,1] neg_hi:[0,0,1]
	v_pk_fma_f32 v[8:9], v[8:9], v[4:5], v[12:13] op_sel:[0,0,1] op_sel_hi:[1,0,0]
	v_mov_b32_e32 v15, v9
	v_pk_mul_f32 v[8:9], v[10:11], v[6:7] op_sel:[0,1]
	s_delay_alu instid0(VALU_DEP_2) | instskip(NEXT) | instid1(VALU_DEP_2)
	v_pk_add_f32 v[224:225], v[224:225], v[14:15] neg_lo:[0,1] neg_hi:[0,1]
	v_pk_fma_f32 v[12:13], v[10:11], v[4:5], v[8:9] op_sel:[0,0,1] op_sel_hi:[1,1,0] neg_lo:[0,0,1] neg_hi:[0,0,1]
	v_pk_fma_f32 v[8:9], v[10:11], v[4:5], v[8:9] op_sel:[0,0,1] op_sel_hi:[1,0,0]
	s_delay_alu instid0(VALU_DEP_1) | instskip(SKIP_4) | instid1(VALU_DEP_1)
	v_mov_b32_e32 v13, v9
	ds_load_2addr_b64 v[8:11], v196 offset0:55 offset1:56
	v_pk_add_f32 v[226:227], v[226:227], v[12:13] neg_lo:[0,1] neg_hi:[0,1]
	s_wait_dscnt 0x0
	v_pk_mul_f32 v[12:13], v[8:9], v[6:7] op_sel:[0,1]
	v_pk_fma_f32 v[14:15], v[8:9], v[4:5], v[12:13] op_sel:[0,0,1] op_sel_hi:[1,1,0] neg_lo:[0,0,1] neg_hi:[0,0,1]
	v_pk_fma_f32 v[8:9], v[8:9], v[4:5], v[12:13] op_sel:[0,0,1] op_sel_hi:[1,0,0]
	v_dual_mul_f32 v12, v11, v7 :: v_dual_mov_b32 v8, v11
	s_delay_alu instid0(VALU_DEP_2) | instskip(NEXT) | instid1(VALU_DEP_2)
	v_dual_mov_b32 v15, v9 :: v_dual_mov_b32 v9, v10
	v_pk_fma_f32 v[12:13], v[10:11], v[64:65], v[12:13] op_sel_hi:[1,1,0] neg_lo:[0,0,1] neg_hi:[0,0,1]
	v_mul_f32_e32 v10, v11, v4
	s_delay_alu instid0(VALU_DEP_3) | instskip(NEXT) | instid1(VALU_DEP_2)
	v_pk_add_f32 v[222:223], v[222:223], v[14:15] neg_lo:[0,1] neg_hi:[0,1]
	v_pk_fma_f32 v[8:9], v[8:9], v[64:65], v[10:11] op_sel_hi:[1,1,0]
	s_delay_alu instid0(VALU_DEP_1) | instskip(SKIP_4) | instid1(VALU_DEP_1)
	v_mov_b32_e32 v13, v9
	ds_load_b64 v[8:9], v196 offset:456
	v_pk_add_f32 v[230:231], v[230:231], v[12:13] neg_lo:[0,1] neg_hi:[0,1]
	s_wait_dscnt 0x0
	v_pk_mul_f32 v[6:7], v[8:9], v[6:7] op_sel:[0,1]
	v_pk_fma_f32 v[10:11], v[8:9], v[4:5], v[6:7] op_sel:[0,0,1] op_sel_hi:[1,1,0] neg_lo:[0,0,1] neg_hi:[0,0,1]
	v_pk_fma_f32 v[4:5], v[8:9], v[4:5], v[6:7] op_sel:[0,0,1] op_sel_hi:[1,0,0]
	s_delay_alu instid0(VALU_DEP_1) | instskip(NEXT) | instid1(VALU_DEP_1)
	v_mov_b32_e32 v11, v5
	v_pk_add_f32 v[232:233], v[232:233], v[10:11] neg_lo:[0,1] neg_hi:[0,1]
.LBB115_118:
	s_or_b32 exec_lo, exec_lo, s1
	s_delay_alu instid0(SALU_CYCLE_1)
	s_mov_b32 s2, exec_lo
	s_wait_dscnt 0x0
	s_barrier_signal -1
	s_barrier_wait -1
	v_cmpx_eq_u32_e32 13, v186
	s_cbranch_execz .LBB115_125
; %bb.119:
	v_dual_mov_b32 v4, v62 :: v_dual_mov_b32 v5, v63
	v_dual_mov_b32 v6, v58 :: v_dual_mov_b32 v7, v59
	ds_store_b64 v187, v[60:61]
	ds_store_2addr_b64 v196, v[4:5], v[6:7] offset0:14 offset1:15
	v_dual_mov_b32 v4, v82 :: v_dual_mov_b32 v5, v83
	v_dual_mov_b32 v6, v78 :: v_dual_mov_b32 v7, v79
	ds_store_2addr_b64 v196, v[4:5], v[6:7] offset0:16 offset1:17
	v_dual_mov_b32 v4, v80 :: v_dual_mov_b32 v5, v81
	v_dual_mov_b32 v6, v76 :: v_dual_mov_b32 v7, v77
	;; [unrolled: 3-line block ×20, first 2 shown]
	ds_store_2addr_b64 v196, v[4:5], v[6:7] offset0:54 offset1:55
	v_dual_mov_b32 v4, v230 :: v_dual_mov_b32 v5, v231
	ds_store_2addr_b64 v196, v[4:5], v[232:233] offset0:56 offset1:57
	ds_load_b64 v[4:5], v187
	s_wait_dscnt 0x0
	v_cmp_neq_f32_e32 vcc_lo, 0, v4
	v_cmp_neq_f32_e64 s1, 0, v5
	s_or_b32 s1, vcc_lo, s1
	s_delay_alu instid0(SALU_CYCLE_1)
	s_and_b32 exec_lo, exec_lo, s1
	s_cbranch_execz .LBB115_125
; %bb.120:
	v_cmp_ngt_f32_e64 s1, |v4|, |v5|
                                        ; implicit-def: $vgpr6_vgpr7
	s_and_saveexec_b32 s4, s1
	s_delay_alu instid0(SALU_CYCLE_1)
	s_xor_b32 s1, exec_lo, s4
	s_cbranch_execz .LBB115_122
; %bb.121:
	v_div_scale_f32 v6, null, v5, v5, v4
	v_div_scale_f32 v9, vcc_lo, v4, v5, v4
	s_delay_alu instid0(VALU_DEP_2) | instskip(SKIP_1) | instid1(TRANS32_DEP_1)
	v_rcp_f32_e32 v7, v6
	v_nop
	v_fma_f32 v8, -v6, v7, 1.0
	s_delay_alu instid0(VALU_DEP_1) | instskip(NEXT) | instid1(VALU_DEP_1)
	v_fmac_f32_e32 v7, v8, v7
	v_mul_f32_e32 v8, v9, v7
	s_delay_alu instid0(VALU_DEP_1) | instskip(NEXT) | instid1(VALU_DEP_1)
	v_fma_f32 v10, -v6, v8, v9
	v_fmac_f32_e32 v8, v10, v7
	s_delay_alu instid0(VALU_DEP_1) | instskip(NEXT) | instid1(VALU_DEP_1)
	v_fma_f32 v6, -v6, v8, v9
	v_div_fmas_f32 v6, v6, v7, v8
	s_delay_alu instid0(VALU_DEP_1) | instskip(NEXT) | instid1(VALU_DEP_1)
	v_div_fixup_f32 v6, v6, v5, v4
	v_fmac_f32_e32 v5, v4, v6
	s_delay_alu instid0(VALU_DEP_1) | instskip(SKIP_1) | instid1(VALU_DEP_2)
	v_div_scale_f32 v4, null, v5, v5, 1.0
	v_div_scale_f32 v9, vcc_lo, 1.0, v5, 1.0
	v_rcp_f32_e32 v7, v4
	v_nop
	s_delay_alu instid0(TRANS32_DEP_1) | instskip(NEXT) | instid1(VALU_DEP_1)
	v_fma_f32 v8, -v4, v7, 1.0
	v_fmac_f32_e32 v7, v8, v7
	s_delay_alu instid0(VALU_DEP_1) | instskip(NEXT) | instid1(VALU_DEP_1)
	v_mul_f32_e32 v8, v9, v7
	v_fma_f32 v10, -v4, v8, v9
	s_delay_alu instid0(VALU_DEP_1) | instskip(NEXT) | instid1(VALU_DEP_1)
	v_fmac_f32_e32 v8, v10, v7
	v_fma_f32 v4, -v4, v8, v9
	s_delay_alu instid0(VALU_DEP_1) | instskip(NEXT) | instid1(VALU_DEP_1)
	v_div_fmas_f32 v4, v4, v7, v8
	v_div_fixup_f32 v4, v4, v5, 1.0
	s_delay_alu instid0(VALU_DEP_1)
	v_mul_f32_e32 v6, v6, v4
	v_xor_b32_e32 v7, 0x80000000, v4
                                        ; implicit-def: $vgpr4_vgpr5
.LBB115_122:
	s_and_not1_saveexec_b32 s1, s1
	s_cbranch_execz .LBB115_124
; %bb.123:
	v_div_scale_f32 v6, null, v4, v4, v5
	v_div_scale_f32 v9, vcc_lo, v5, v4, v5
	s_delay_alu instid0(VALU_DEP_2) | instskip(SKIP_1) | instid1(TRANS32_DEP_1)
	v_rcp_f32_e32 v7, v6
	v_nop
	v_fma_f32 v8, -v6, v7, 1.0
	s_delay_alu instid0(VALU_DEP_1) | instskip(NEXT) | instid1(VALU_DEP_1)
	v_fmac_f32_e32 v7, v8, v7
	v_mul_f32_e32 v8, v9, v7
	s_delay_alu instid0(VALU_DEP_1) | instskip(NEXT) | instid1(VALU_DEP_1)
	v_fma_f32 v10, -v6, v8, v9
	v_fmac_f32_e32 v8, v10, v7
	s_delay_alu instid0(VALU_DEP_1) | instskip(NEXT) | instid1(VALU_DEP_1)
	v_fma_f32 v6, -v6, v8, v9
	v_div_fmas_f32 v6, v6, v7, v8
	s_delay_alu instid0(VALU_DEP_1) | instskip(NEXT) | instid1(VALU_DEP_1)
	v_div_fixup_f32 v7, v6, v4, v5
	v_fmac_f32_e32 v4, v5, v7
	s_delay_alu instid0(VALU_DEP_1) | instskip(NEXT) | instid1(VALU_DEP_1)
	v_div_scale_f32 v5, null, v4, v4, 1.0
	v_rcp_f32_e32 v6, v5
	v_nop
	s_delay_alu instid0(TRANS32_DEP_1) | instskip(NEXT) | instid1(VALU_DEP_1)
	v_fma_f32 v8, -v5, v6, 1.0
	v_fmac_f32_e32 v6, v8, v6
	v_div_scale_f32 v8, vcc_lo, 1.0, v4, 1.0
	s_delay_alu instid0(VALU_DEP_1) | instskip(NEXT) | instid1(VALU_DEP_1)
	v_mul_f32_e32 v9, v8, v6
	v_fma_f32 v10, -v5, v9, v8
	s_delay_alu instid0(VALU_DEP_1) | instskip(NEXT) | instid1(VALU_DEP_1)
	v_fmac_f32_e32 v9, v10, v6
	v_fma_f32 v5, -v5, v9, v8
	s_delay_alu instid0(VALU_DEP_1) | instskip(NEXT) | instid1(VALU_DEP_1)
	v_div_fmas_f32 v5, v5, v6, v9
	v_div_fixup_f32 v6, v5, v4, 1.0
	s_delay_alu instid0(VALU_DEP_1)
	v_mul_f32_e64 v7, v7, -v6
.LBB115_124:
	s_or_b32 exec_lo, exec_lo, s1
	ds_store_b64 v187, v[6:7]
.LBB115_125:
	s_or_b32 exec_lo, exec_lo, s2
	s_wait_dscnt 0x0
	s_barrier_signal -1
	s_barrier_wait -1
	ds_load_b64 v[4:5], v187
	s_mov_b32 s1, exec_lo
	v_cmpx_lt_u32_e32 13, v186
	s_cbranch_execz .LBB115_127
; %bb.126:
	ds_load_2addr_b64 v[10:13], v196 offset0:14 offset1:15
	s_wait_dscnt 0x1
	v_pk_mul_f32 v[8:9], v[4:5], v[60:61] op_sel:[1,1] op_sel_hi:[0,1]
	s_delay_alu instid0(VALU_DEP_1) | instskip(SKIP_1) | instid1(VALU_DEP_1)
	v_pk_fma_f32 v[6:7], v[4:5], v[60:61], v[8:9] op_sel_hi:[1,0,1] neg_lo:[0,0,1] neg_hi:[0,0,1]
	v_pk_fma_f32 v[8:9], v[4:5], v[60:61], v[8:9] op_sel_hi:[1,0,1]
	v_dual_mov_b32 v60, v6 :: v_dual_mov_b32 v61, v9
	s_wait_dscnt 0x0
	s_delay_alu instid0(VALU_DEP_2) | instskip(NEXT) | instid1(VALU_DEP_1)
	v_pk_mul_f32 v[14:15], v[10:11], v[8:9] op_sel:[0,1]
	v_pk_fma_f32 v[18:19], v[10:11], v[6:7], v[14:15] op_sel:[0,0,1] op_sel_hi:[1,1,0] neg_lo:[0,0,1] neg_hi:[0,0,1]
	v_pk_fma_f32 v[10:11], v[10:11], v[6:7], v[14:15] op_sel:[0,0,1] op_sel_hi:[1,0,0]
	s_delay_alu instid0(VALU_DEP_1) | instskip(SKIP_1) | instid1(VALU_DEP_1)
	v_mov_b32_e32 v19, v11
	v_pk_mul_f32 v[10:11], v[12:13], v[8:9] op_sel:[0,1]
	v_pk_fma_f32 v[14:15], v[12:13], v[6:7], v[10:11] op_sel:[0,0,1] op_sel_hi:[1,1,0] neg_lo:[0,0,1] neg_hi:[0,0,1]
	v_pk_fma_f32 v[10:11], v[12:13], v[6:7], v[10:11] op_sel:[0,0,1] op_sel_hi:[1,0,0]
	s_delay_alu instid0(VALU_DEP_1)
	v_mov_b32_e32 v15, v11
	ds_load_2addr_b64 v[10:13], v196 offset0:16 offset1:17
	v_pk_add_f32 v[62:63], v[62:63], v[18:19] neg_lo:[0,1] neg_hi:[0,1]
	v_pk_add_f32 v[58:59], v[58:59], v[14:15] neg_lo:[0,1] neg_hi:[0,1]
	s_wait_dscnt 0x0
	v_pk_mul_f32 v[14:15], v[10:11], v[8:9] op_sel:[0,1]
	s_delay_alu instid0(VALU_DEP_1) | instskip(SKIP_2) | instid1(VALU_DEP_2)
	v_pk_fma_f32 v[18:19], v[10:11], v[6:7], v[14:15] op_sel:[0,0,1] op_sel_hi:[1,1,0] neg_lo:[0,0,1] neg_hi:[0,0,1]
	v_pk_fma_f32 v[10:11], v[10:11], v[6:7], v[14:15] op_sel:[0,0,1] op_sel_hi:[1,0,0]
	v_dual_mul_f32 v14, v13, v9 :: v_dual_mov_b32 v10, v13
	v_dual_mov_b32 v19, v11 :: v_dual_mov_b32 v11, v12
	s_delay_alu instid0(VALU_DEP_2) | instskip(SKIP_1) | instid1(VALU_DEP_3)
	v_pk_fma_f32 v[14:15], v[12:13], v[60:61], v[14:15] op_sel_hi:[1,1,0] neg_lo:[0,0,1] neg_hi:[0,0,1]
	v_mul_f32_e32 v12, v13, v6
	v_pk_add_f32 v[82:83], v[82:83], v[18:19] neg_lo:[0,1] neg_hi:[0,1]
	s_delay_alu instid0(VALU_DEP_2) | instskip(NEXT) | instid1(VALU_DEP_1)
	v_pk_fma_f32 v[10:11], v[10:11], v[60:61], v[12:13] op_sel_hi:[1,1,0]
	v_mov_b32_e32 v15, v11
	ds_load_2addr_b64 v[10:13], v196 offset0:18 offset1:19
	v_pk_add_f32 v[78:79], v[78:79], v[14:15] neg_lo:[0,1] neg_hi:[0,1]
	s_wait_dscnt 0x0
	v_pk_mul_f32 v[14:15], v[10:11], v[8:9] op_sel:[0,1]
	s_delay_alu instid0(VALU_DEP_1) | instskip(SKIP_1) | instid1(VALU_DEP_1)
	v_pk_fma_f32 v[18:19], v[10:11], v[6:7], v[14:15] op_sel:[0,0,1] op_sel_hi:[1,1,0] neg_lo:[0,0,1] neg_hi:[0,0,1]
	v_pk_fma_f32 v[10:11], v[10:11], v[6:7], v[14:15] op_sel:[0,0,1] op_sel_hi:[1,0,0]
	v_mov_b32_e32 v19, v11
	v_pk_mul_f32 v[10:11], v[12:13], v[8:9] op_sel:[0,1]
	s_delay_alu instid0(VALU_DEP_1) | instskip(SKIP_1) | instid1(VALU_DEP_1)
	v_pk_fma_f32 v[14:15], v[12:13], v[6:7], v[10:11] op_sel:[0,0,1] op_sel_hi:[1,1,0] neg_lo:[0,0,1] neg_hi:[0,0,1]
	v_pk_fma_f32 v[10:11], v[12:13], v[6:7], v[10:11] op_sel:[0,0,1] op_sel_hi:[1,0,0]
	v_mov_b32_e32 v15, v11
	ds_load_2addr_b64 v[10:13], v196 offset0:20 offset1:21
	v_pk_add_f32 v[80:81], v[80:81], v[18:19] neg_lo:[0,1] neg_hi:[0,1]
	v_pk_add_f32 v[76:77], v[76:77], v[14:15] neg_lo:[0,1] neg_hi:[0,1]
	s_wait_dscnt 0x0
	v_pk_mul_f32 v[14:15], v[10:11], v[8:9] op_sel:[0,1]
	s_delay_alu instid0(VALU_DEP_1) | instskip(SKIP_1) | instid1(VALU_DEP_1)
	v_pk_fma_f32 v[18:19], v[10:11], v[6:7], v[14:15] op_sel:[0,0,1] op_sel_hi:[1,1,0] neg_lo:[0,0,1] neg_hi:[0,0,1]
	v_pk_fma_f32 v[10:11], v[10:11], v[6:7], v[14:15] op_sel:[0,0,1] op_sel_hi:[1,0,0]
	v_mov_b32_e32 v19, v11
	v_pk_mul_f32 v[10:11], v[12:13], v[8:9] op_sel:[0,1]
	s_delay_alu instid0(VALU_DEP_1) | instskip(SKIP_1) | instid1(VALU_DEP_1)
	v_pk_fma_f32 v[14:15], v[12:13], v[6:7], v[10:11] op_sel:[0,0,1] op_sel_hi:[1,1,0] neg_lo:[0,0,1] neg_hi:[0,0,1]
	v_pk_fma_f32 v[10:11], v[12:13], v[6:7], v[10:11] op_sel:[0,0,1] op_sel_hi:[1,0,0]
	v_mov_b32_e32 v15, v11
	ds_load_2addr_b64 v[10:13], v196 offset0:22 offset1:23
	v_pk_add_f32 v[98:99], v[98:99], v[18:19] neg_lo:[0,1] neg_hi:[0,1]
	v_pk_add_f32 v[94:95], v[94:95], v[14:15] neg_lo:[0,1] neg_hi:[0,1]
	s_wait_dscnt 0x0
	v_dual_mul_f32 v14, v11, v9 :: v_dual_mul_f32 v18, v11, v6
	s_delay_alu instid0(VALU_DEP_1) | instskip(NEXT) | instid1(VALU_DEP_2)
	v_pk_fma_f32 v[14:15], v[10:11], v[60:61], v[14:15] op_sel_hi:[1,1,0] neg_lo:[0,0,1] neg_hi:[0,0,1]
	v_pk_fma_f32 v[10:11], v[10:11], v[60:61], v[18:19] op_sel:[1,0,0] op_sel_hi:[0,1,0]
	s_delay_alu instid0(VALU_DEP_1) | instskip(SKIP_1) | instid1(VALU_DEP_2)
	v_mov_b32_e32 v15, v11
	v_pk_mul_f32 v[10:11], v[12:13], v[8:9] op_sel:[0,1]
	v_pk_add_f32 v[96:97], v[96:97], v[14:15] neg_lo:[0,1] neg_hi:[0,1]
	s_delay_alu instid0(VALU_DEP_2) | instskip(SKIP_1) | instid1(VALU_DEP_1)
	v_pk_fma_f32 v[14:15], v[12:13], v[6:7], v[10:11] op_sel:[0,0,1] op_sel_hi:[1,1,0] neg_lo:[0,0,1] neg_hi:[0,0,1]
	v_pk_fma_f32 v[10:11], v[12:13], v[6:7], v[10:11] op_sel:[0,0,1] op_sel_hi:[1,0,0]
	v_mov_b32_e32 v15, v11
	ds_load_2addr_b64 v[10:13], v196 offset0:24 offset1:25
	v_pk_add_f32 v[92:93], v[92:93], v[14:15] neg_lo:[0,1] neg_hi:[0,1]
	s_wait_dscnt 0x0
	v_pk_mul_f32 v[14:15], v[10:11], v[8:9] op_sel:[0,1]
	s_delay_alu instid0(VALU_DEP_1) | instskip(SKIP_1) | instid1(VALU_DEP_1)
	v_pk_fma_f32 v[18:19], v[10:11], v[6:7], v[14:15] op_sel:[0,0,1] op_sel_hi:[1,1,0] neg_lo:[0,0,1] neg_hi:[0,0,1]
	v_pk_fma_f32 v[10:11], v[10:11], v[6:7], v[14:15] op_sel:[0,0,1] op_sel_hi:[1,0,0]
	v_mov_b32_e32 v19, v11
	v_pk_mul_f32 v[10:11], v[12:13], v[8:9] op_sel:[0,1]
	s_delay_alu instid0(VALU_DEP_2) | instskip(NEXT) | instid1(VALU_DEP_2)
	v_pk_add_f32 v[114:115], v[114:115], v[18:19] neg_lo:[0,1] neg_hi:[0,1]
	v_pk_fma_f32 v[14:15], v[12:13], v[6:7], v[10:11] op_sel:[0,0,1] op_sel_hi:[1,1,0] neg_lo:[0,0,1] neg_hi:[0,0,1]
	v_pk_fma_f32 v[10:11], v[12:13], v[6:7], v[10:11] op_sel:[0,0,1] op_sel_hi:[1,0,0]
	s_delay_alu instid0(VALU_DEP_1) | instskip(SKIP_4) | instid1(VALU_DEP_1)
	v_mov_b32_e32 v15, v11
	ds_load_2addr_b64 v[10:13], v196 offset0:26 offset1:27
	v_pk_add_f32 v[110:111], v[110:111], v[14:15] neg_lo:[0,1] neg_hi:[0,1]
	s_wait_dscnt 0x0
	v_pk_mul_f32 v[14:15], v[10:11], v[8:9] op_sel:[0,1]
	v_pk_fma_f32 v[18:19], v[10:11], v[6:7], v[14:15] op_sel:[0,0,1] op_sel_hi:[1,1,0] neg_lo:[0,0,1] neg_hi:[0,0,1]
	v_pk_fma_f32 v[10:11], v[10:11], v[6:7], v[14:15] op_sel:[0,0,1] op_sel_hi:[1,0,0]
	v_dual_mul_f32 v14, v13, v9 :: v_dual_mov_b32 v10, v13
	s_delay_alu instid0(VALU_DEP_2) | instskip(NEXT) | instid1(VALU_DEP_2)
	v_dual_mov_b32 v19, v11 :: v_dual_mov_b32 v11, v12
	v_pk_fma_f32 v[14:15], v[12:13], v[60:61], v[14:15] op_sel_hi:[1,1,0] neg_lo:[0,0,1] neg_hi:[0,0,1]
	v_mul_f32_e32 v12, v13, v6
	s_delay_alu instid0(VALU_DEP_3) | instskip(NEXT) | instid1(VALU_DEP_2)
	v_pk_add_f32 v[112:113], v[112:113], v[18:19] neg_lo:[0,1] neg_hi:[0,1]
	v_pk_fma_f32 v[10:11], v[10:11], v[60:61], v[12:13] op_sel_hi:[1,1,0]
	s_delay_alu instid0(VALU_DEP_1) | instskip(SKIP_4) | instid1(VALU_DEP_1)
	v_mov_b32_e32 v15, v11
	ds_load_2addr_b64 v[10:13], v196 offset0:28 offset1:29
	v_pk_add_f32 v[108:109], v[108:109], v[14:15] neg_lo:[0,1] neg_hi:[0,1]
	s_wait_dscnt 0x0
	v_pk_mul_f32 v[14:15], v[10:11], v[8:9] op_sel:[0,1]
	v_pk_fma_f32 v[18:19], v[10:11], v[6:7], v[14:15] op_sel:[0,0,1] op_sel_hi:[1,1,0] neg_lo:[0,0,1] neg_hi:[0,0,1]
	v_pk_fma_f32 v[10:11], v[10:11], v[6:7], v[14:15] op_sel:[0,0,1] op_sel_hi:[1,0,0]
	s_delay_alu instid0(VALU_DEP_1) | instskip(SKIP_1) | instid1(VALU_DEP_1)
	v_mov_b32_e32 v19, v11
	v_pk_mul_f32 v[10:11], v[12:13], v[8:9] op_sel:[0,1]
	v_pk_fma_f32 v[14:15], v[12:13], v[6:7], v[10:11] op_sel:[0,0,1] op_sel_hi:[1,1,0] neg_lo:[0,0,1] neg_hi:[0,0,1]
	v_pk_fma_f32 v[10:11], v[12:13], v[6:7], v[10:11] op_sel:[0,0,1] op_sel_hi:[1,0,0]
	s_delay_alu instid0(VALU_DEP_1)
	v_mov_b32_e32 v15, v11
	ds_load_2addr_b64 v[10:13], v196 offset0:30 offset1:31
	v_pk_add_f32 v[130:131], v[130:131], v[18:19] neg_lo:[0,1] neg_hi:[0,1]
	v_pk_add_f32 v[126:127], v[126:127], v[14:15] neg_lo:[0,1] neg_hi:[0,1]
	s_wait_dscnt 0x0
	v_pk_mul_f32 v[14:15], v[10:11], v[8:9] op_sel:[0,1]
	s_delay_alu instid0(VALU_DEP_1) | instskip(SKIP_1) | instid1(VALU_DEP_1)
	v_pk_fma_f32 v[18:19], v[10:11], v[6:7], v[14:15] op_sel:[0,0,1] op_sel_hi:[1,1,0] neg_lo:[0,0,1] neg_hi:[0,0,1]
	v_pk_fma_f32 v[10:11], v[10:11], v[6:7], v[14:15] op_sel:[0,0,1] op_sel_hi:[1,0,0]
	v_mov_b32_e32 v19, v11
	v_pk_mul_f32 v[10:11], v[12:13], v[8:9] op_sel:[0,1]
	s_delay_alu instid0(VALU_DEP_1) | instskip(SKIP_1) | instid1(VALU_DEP_1)
	v_pk_fma_f32 v[14:15], v[12:13], v[6:7], v[10:11] op_sel:[0,0,1] op_sel_hi:[1,1,0] neg_lo:[0,0,1] neg_hi:[0,0,1]
	v_pk_fma_f32 v[10:11], v[12:13], v[6:7], v[10:11] op_sel:[0,0,1] op_sel_hi:[1,0,0]
	v_mov_b32_e32 v15, v11
	ds_load_2addr_b64 v[10:13], v196 offset0:32 offset1:33
	v_pk_add_f32 v[128:129], v[128:129], v[18:19] neg_lo:[0,1] neg_hi:[0,1]
	v_pk_add_f32 v[124:125], v[124:125], v[14:15] neg_lo:[0,1] neg_hi:[0,1]
	s_wait_dscnt 0x0
	v_dual_mul_f32 v14, v11, v9 :: v_dual_mul_f32 v18, v11, v6
	s_delay_alu instid0(VALU_DEP_1) | instskip(NEXT) | instid1(VALU_DEP_2)
	v_pk_fma_f32 v[14:15], v[10:11], v[60:61], v[14:15] op_sel_hi:[1,1,0] neg_lo:[0,0,1] neg_hi:[0,0,1]
	v_pk_fma_f32 v[10:11], v[10:11], v[60:61], v[18:19] op_sel:[1,0,0] op_sel_hi:[0,1,0]
	s_delay_alu instid0(VALU_DEP_1) | instskip(SKIP_1) | instid1(VALU_DEP_2)
	v_mov_b32_e32 v15, v11
	v_pk_mul_f32 v[10:11], v[12:13], v[8:9] op_sel:[0,1]
	v_pk_add_f32 v[146:147], v[146:147], v[14:15] neg_lo:[0,1] neg_hi:[0,1]
	s_delay_alu instid0(VALU_DEP_2) | instskip(SKIP_1) | instid1(VALU_DEP_1)
	v_pk_fma_f32 v[14:15], v[12:13], v[6:7], v[10:11] op_sel:[0,0,1] op_sel_hi:[1,1,0] neg_lo:[0,0,1] neg_hi:[0,0,1]
	v_pk_fma_f32 v[10:11], v[12:13], v[6:7], v[10:11] op_sel:[0,0,1] op_sel_hi:[1,0,0]
	v_mov_b32_e32 v15, v11
	ds_load_2addr_b64 v[10:13], v196 offset0:34 offset1:35
	v_pk_add_f32 v[142:143], v[142:143], v[14:15] neg_lo:[0,1] neg_hi:[0,1]
	s_wait_dscnt 0x0
	v_pk_mul_f32 v[14:15], v[10:11], v[8:9] op_sel:[0,1]
	s_delay_alu instid0(VALU_DEP_1) | instskip(SKIP_1) | instid1(VALU_DEP_1)
	v_pk_fma_f32 v[18:19], v[10:11], v[6:7], v[14:15] op_sel:[0,0,1] op_sel_hi:[1,1,0] neg_lo:[0,0,1] neg_hi:[0,0,1]
	v_pk_fma_f32 v[10:11], v[10:11], v[6:7], v[14:15] op_sel:[0,0,1] op_sel_hi:[1,0,0]
	v_mov_b32_e32 v19, v11
	v_pk_mul_f32 v[10:11], v[12:13], v[8:9] op_sel:[0,1]
	s_delay_alu instid0(VALU_DEP_2) | instskip(NEXT) | instid1(VALU_DEP_2)
	v_pk_add_f32 v[144:145], v[144:145], v[18:19] neg_lo:[0,1] neg_hi:[0,1]
	v_pk_fma_f32 v[14:15], v[12:13], v[6:7], v[10:11] op_sel:[0,0,1] op_sel_hi:[1,1,0] neg_lo:[0,0,1] neg_hi:[0,0,1]
	v_pk_fma_f32 v[10:11], v[12:13], v[6:7], v[10:11] op_sel:[0,0,1] op_sel_hi:[1,0,0]
	s_delay_alu instid0(VALU_DEP_1) | instskip(SKIP_4) | instid1(VALU_DEP_1)
	v_mov_b32_e32 v15, v11
	ds_load_2addr_b64 v[10:13], v196 offset0:36 offset1:37
	v_pk_add_f32 v[140:141], v[140:141], v[14:15] neg_lo:[0,1] neg_hi:[0,1]
	s_wait_dscnt 0x0
	v_pk_mul_f32 v[14:15], v[10:11], v[8:9] op_sel:[0,1]
	v_pk_fma_f32 v[18:19], v[10:11], v[6:7], v[14:15] op_sel:[0,0,1] op_sel_hi:[1,1,0] neg_lo:[0,0,1] neg_hi:[0,0,1]
	v_pk_fma_f32 v[10:11], v[10:11], v[6:7], v[14:15] op_sel:[0,0,1] op_sel_hi:[1,0,0]
	v_dual_mul_f32 v14, v13, v9 :: v_dual_mov_b32 v10, v13
	s_delay_alu instid0(VALU_DEP_2) | instskip(NEXT) | instid1(VALU_DEP_2)
	v_dual_mov_b32 v19, v11 :: v_dual_mov_b32 v11, v12
	v_pk_fma_f32 v[14:15], v[12:13], v[60:61], v[14:15] op_sel_hi:[1,1,0] neg_lo:[0,0,1] neg_hi:[0,0,1]
	v_mul_f32_e32 v12, v13, v6
	s_delay_alu instid0(VALU_DEP_3) | instskip(NEXT) | instid1(VALU_DEP_2)
	v_pk_add_f32 v[162:163], v[162:163], v[18:19] neg_lo:[0,1] neg_hi:[0,1]
	v_pk_fma_f32 v[10:11], v[10:11], v[60:61], v[12:13] op_sel_hi:[1,1,0]
	s_delay_alu instid0(VALU_DEP_1) | instskip(SKIP_4) | instid1(VALU_DEP_1)
	v_mov_b32_e32 v15, v11
	ds_load_2addr_b64 v[10:13], v196 offset0:38 offset1:39
	v_pk_add_f32 v[158:159], v[158:159], v[14:15] neg_lo:[0,1] neg_hi:[0,1]
	s_wait_dscnt 0x0
	v_pk_mul_f32 v[14:15], v[10:11], v[8:9] op_sel:[0,1]
	v_pk_fma_f32 v[18:19], v[10:11], v[6:7], v[14:15] op_sel:[0,0,1] op_sel_hi:[1,1,0] neg_lo:[0,0,1] neg_hi:[0,0,1]
	v_pk_fma_f32 v[10:11], v[10:11], v[6:7], v[14:15] op_sel:[0,0,1] op_sel_hi:[1,0,0]
	s_delay_alu instid0(VALU_DEP_1) | instskip(SKIP_1) | instid1(VALU_DEP_1)
	v_mov_b32_e32 v19, v11
	v_pk_mul_f32 v[10:11], v[12:13], v[8:9] op_sel:[0,1]
	v_pk_fma_f32 v[14:15], v[12:13], v[6:7], v[10:11] op_sel:[0,0,1] op_sel_hi:[1,1,0] neg_lo:[0,0,1] neg_hi:[0,0,1]
	v_pk_fma_f32 v[10:11], v[12:13], v[6:7], v[10:11] op_sel:[0,0,1] op_sel_hi:[1,0,0]
	s_delay_alu instid0(VALU_DEP_1)
	v_mov_b32_e32 v15, v11
	ds_load_2addr_b64 v[10:13], v196 offset0:40 offset1:41
	v_pk_add_f32 v[160:161], v[160:161], v[18:19] neg_lo:[0,1] neg_hi:[0,1]
	v_pk_add_f32 v[156:157], v[156:157], v[14:15] neg_lo:[0,1] neg_hi:[0,1]
	s_wait_dscnt 0x0
	v_pk_mul_f32 v[14:15], v[10:11], v[8:9] op_sel:[0,1]
	s_delay_alu instid0(VALU_DEP_1) | instskip(SKIP_1) | instid1(VALU_DEP_1)
	v_pk_fma_f32 v[18:19], v[10:11], v[6:7], v[14:15] op_sel:[0,0,1] op_sel_hi:[1,1,0] neg_lo:[0,0,1] neg_hi:[0,0,1]
	v_pk_fma_f32 v[10:11], v[10:11], v[6:7], v[14:15] op_sel:[0,0,1] op_sel_hi:[1,0,0]
	v_mov_b32_e32 v19, v11
	v_pk_mul_f32 v[10:11], v[12:13], v[8:9] op_sel:[0,1]
	s_delay_alu instid0(VALU_DEP_1) | instskip(SKIP_1) | instid1(VALU_DEP_1)
	v_pk_fma_f32 v[14:15], v[12:13], v[6:7], v[10:11] op_sel:[0,0,1] op_sel_hi:[1,1,0] neg_lo:[0,0,1] neg_hi:[0,0,1]
	v_pk_fma_f32 v[10:11], v[12:13], v[6:7], v[10:11] op_sel:[0,0,1] op_sel_hi:[1,0,0]
	v_mov_b32_e32 v15, v11
	ds_load_2addr_b64 v[10:13], v196 offset0:42 offset1:43
	v_pk_add_f32 v[178:179], v[178:179], v[18:19] neg_lo:[0,1] neg_hi:[0,1]
	v_pk_add_f32 v[174:175], v[174:175], v[14:15] neg_lo:[0,1] neg_hi:[0,1]
	s_wait_dscnt 0x0
	v_dual_mul_f32 v14, v11, v9 :: v_dual_mul_f32 v18, v11, v6
	s_delay_alu instid0(VALU_DEP_1) | instskip(NEXT) | instid1(VALU_DEP_2)
	v_pk_fma_f32 v[14:15], v[10:11], v[60:61], v[14:15] op_sel_hi:[1,1,0] neg_lo:[0,0,1] neg_hi:[0,0,1]
	v_pk_fma_f32 v[10:11], v[10:11], v[60:61], v[18:19] op_sel:[1,0,0] op_sel_hi:[0,1,0]
	s_delay_alu instid0(VALU_DEP_1) | instskip(SKIP_1) | instid1(VALU_DEP_2)
	v_mov_b32_e32 v15, v11
	v_pk_mul_f32 v[10:11], v[12:13], v[8:9] op_sel:[0,1]
	v_pk_add_f32 v[176:177], v[176:177], v[14:15] neg_lo:[0,1] neg_hi:[0,1]
	s_delay_alu instid0(VALU_DEP_2) | instskip(SKIP_1) | instid1(VALU_DEP_1)
	v_pk_fma_f32 v[14:15], v[12:13], v[6:7], v[10:11] op_sel:[0,0,1] op_sel_hi:[1,1,0] neg_lo:[0,0,1] neg_hi:[0,0,1]
	v_pk_fma_f32 v[10:11], v[12:13], v[6:7], v[10:11] op_sel:[0,0,1] op_sel_hi:[1,0,0]
	v_mov_b32_e32 v15, v11
	ds_load_2addr_b64 v[10:13], v196 offset0:44 offset1:45
	v_pk_add_f32 v[172:173], v[172:173], v[14:15] neg_lo:[0,1] neg_hi:[0,1]
	s_wait_dscnt 0x0
	v_pk_mul_f32 v[14:15], v[10:11], v[8:9] op_sel:[0,1]
	s_delay_alu instid0(VALU_DEP_1) | instskip(SKIP_1) | instid1(VALU_DEP_1)
	v_pk_fma_f32 v[18:19], v[10:11], v[6:7], v[14:15] op_sel:[0,0,1] op_sel_hi:[1,1,0] neg_lo:[0,0,1] neg_hi:[0,0,1]
	v_pk_fma_f32 v[10:11], v[10:11], v[6:7], v[14:15] op_sel:[0,0,1] op_sel_hi:[1,0,0]
	v_mov_b32_e32 v19, v11
	v_pk_mul_f32 v[10:11], v[12:13], v[8:9] op_sel:[0,1]
	s_delay_alu instid0(VALU_DEP_2) | instskip(NEXT) | instid1(VALU_DEP_2)
	v_pk_add_f32 v[194:195], v[194:195], v[18:19] neg_lo:[0,1] neg_hi:[0,1]
	v_pk_fma_f32 v[14:15], v[12:13], v[6:7], v[10:11] op_sel:[0,0,1] op_sel_hi:[1,1,0] neg_lo:[0,0,1] neg_hi:[0,0,1]
	v_pk_fma_f32 v[10:11], v[12:13], v[6:7], v[10:11] op_sel:[0,0,1] op_sel_hi:[1,0,0]
	s_delay_alu instid0(VALU_DEP_1) | instskip(SKIP_4) | instid1(VALU_DEP_1)
	v_mov_b32_e32 v15, v11
	ds_load_2addr_b64 v[10:13], v196 offset0:46 offset1:47
	v_pk_add_f32 v[190:191], v[190:191], v[14:15] neg_lo:[0,1] neg_hi:[0,1]
	s_wait_dscnt 0x0
	v_pk_mul_f32 v[14:15], v[10:11], v[8:9] op_sel:[0,1]
	v_pk_fma_f32 v[18:19], v[10:11], v[6:7], v[14:15] op_sel:[0,0,1] op_sel_hi:[1,1,0] neg_lo:[0,0,1] neg_hi:[0,0,1]
	v_pk_fma_f32 v[10:11], v[10:11], v[6:7], v[14:15] op_sel:[0,0,1] op_sel_hi:[1,0,0]
	v_dual_mul_f32 v14, v13, v9 :: v_dual_mov_b32 v10, v13
	s_delay_alu instid0(VALU_DEP_2) | instskip(NEXT) | instid1(VALU_DEP_2)
	v_dual_mov_b32 v19, v11 :: v_dual_mov_b32 v11, v12
	v_pk_fma_f32 v[14:15], v[12:13], v[60:61], v[14:15] op_sel_hi:[1,1,0] neg_lo:[0,0,1] neg_hi:[0,0,1]
	v_mul_f32_e32 v12, v13, v6
	s_delay_alu instid0(VALU_DEP_3) | instskip(NEXT) | instid1(VALU_DEP_2)
	v_pk_add_f32 v[192:193], v[192:193], v[18:19] neg_lo:[0,1] neg_hi:[0,1]
	v_pk_fma_f32 v[10:11], v[10:11], v[60:61], v[12:13] op_sel_hi:[1,1,0]
	s_delay_alu instid0(VALU_DEP_1) | instskip(SKIP_4) | instid1(VALU_DEP_1)
	v_mov_b32_e32 v15, v11
	ds_load_2addr_b64 v[10:13], v196 offset0:48 offset1:49
	v_pk_add_f32 v[188:189], v[188:189], v[14:15] neg_lo:[0,1] neg_hi:[0,1]
	s_wait_dscnt 0x0
	v_pk_mul_f32 v[14:15], v[10:11], v[8:9] op_sel:[0,1]
	v_pk_fma_f32 v[18:19], v[10:11], v[6:7], v[14:15] op_sel:[0,0,1] op_sel_hi:[1,1,0] neg_lo:[0,0,1] neg_hi:[0,0,1]
	v_pk_fma_f32 v[10:11], v[10:11], v[6:7], v[14:15] op_sel:[0,0,1] op_sel_hi:[1,0,0]
	s_delay_alu instid0(VALU_DEP_1) | instskip(SKIP_1) | instid1(VALU_DEP_1)
	v_mov_b32_e32 v19, v11
	v_pk_mul_f32 v[10:11], v[12:13], v[8:9] op_sel:[0,1]
	v_pk_fma_f32 v[14:15], v[12:13], v[6:7], v[10:11] op_sel:[0,0,1] op_sel_hi:[1,1,0] neg_lo:[0,0,1] neg_hi:[0,0,1]
	v_pk_fma_f32 v[10:11], v[12:13], v[6:7], v[10:11] op_sel:[0,0,1] op_sel_hi:[1,0,0]
	s_delay_alu instid0(VALU_DEP_1)
	v_mov_b32_e32 v15, v11
	ds_load_2addr_b64 v[10:13], v196 offset0:50 offset1:51
	v_pk_add_f32 v[212:213], v[212:213], v[18:19] neg_lo:[0,1] neg_hi:[0,1]
	v_pk_add_f32 v[208:209], v[208:209], v[14:15] neg_lo:[0,1] neg_hi:[0,1]
	s_wait_dscnt 0x0
	v_pk_mul_f32 v[14:15], v[10:11], v[8:9] op_sel:[0,1]
	s_delay_alu instid0(VALU_DEP_1) | instskip(SKIP_1) | instid1(VALU_DEP_1)
	v_pk_fma_f32 v[18:19], v[10:11], v[6:7], v[14:15] op_sel:[0,0,1] op_sel_hi:[1,1,0] neg_lo:[0,0,1] neg_hi:[0,0,1]
	v_pk_fma_f32 v[10:11], v[10:11], v[6:7], v[14:15] op_sel:[0,0,1] op_sel_hi:[1,0,0]
	v_mov_b32_e32 v19, v11
	v_pk_mul_f32 v[10:11], v[12:13], v[8:9] op_sel:[0,1]
	s_delay_alu instid0(VALU_DEP_1) | instskip(SKIP_1) | instid1(VALU_DEP_1)
	v_pk_fma_f32 v[14:15], v[12:13], v[6:7], v[10:11] op_sel:[0,0,1] op_sel_hi:[1,1,0] neg_lo:[0,0,1] neg_hi:[0,0,1]
	v_pk_fma_f32 v[10:11], v[12:13], v[6:7], v[10:11] op_sel:[0,0,1] op_sel_hi:[1,0,0]
	v_mov_b32_e32 v15, v11
	ds_load_2addr_b64 v[10:13], v196 offset0:52 offset1:53
	v_pk_add_f32 v[210:211], v[210:211], v[18:19] neg_lo:[0,1] neg_hi:[0,1]
	v_pk_add_f32 v[206:207], v[206:207], v[14:15] neg_lo:[0,1] neg_hi:[0,1]
	s_wait_dscnt 0x0
	v_dual_mul_f32 v14, v11, v9 :: v_dual_mul_f32 v18, v11, v6
	s_delay_alu instid0(VALU_DEP_1) | instskip(NEXT) | instid1(VALU_DEP_2)
	v_pk_fma_f32 v[14:15], v[10:11], v[60:61], v[14:15] op_sel_hi:[1,1,0] neg_lo:[0,0,1] neg_hi:[0,0,1]
	v_pk_fma_f32 v[10:11], v[10:11], v[60:61], v[18:19] op_sel:[1,0,0] op_sel_hi:[0,1,0]
	s_delay_alu instid0(VALU_DEP_1) | instskip(SKIP_1) | instid1(VALU_DEP_2)
	v_mov_b32_e32 v15, v11
	v_pk_mul_f32 v[10:11], v[12:13], v[8:9] op_sel:[0,1]
	v_pk_add_f32 v[228:229], v[228:229], v[14:15] neg_lo:[0,1] neg_hi:[0,1]
	s_delay_alu instid0(VALU_DEP_2) | instskip(SKIP_1) | instid1(VALU_DEP_1)
	v_pk_fma_f32 v[14:15], v[12:13], v[6:7], v[10:11] op_sel:[0,0,1] op_sel_hi:[1,1,0] neg_lo:[0,0,1] neg_hi:[0,0,1]
	v_pk_fma_f32 v[10:11], v[12:13], v[6:7], v[10:11] op_sel:[0,0,1] op_sel_hi:[1,0,0]
	v_mov_b32_e32 v15, v11
	ds_load_2addr_b64 v[10:13], v196 offset0:54 offset1:55
	v_pk_add_f32 v[224:225], v[224:225], v[14:15] neg_lo:[0,1] neg_hi:[0,1]
	s_wait_dscnt 0x0
	v_pk_mul_f32 v[14:15], v[10:11], v[8:9] op_sel:[0,1]
	s_delay_alu instid0(VALU_DEP_1) | instskip(SKIP_1) | instid1(VALU_DEP_1)
	v_pk_fma_f32 v[18:19], v[10:11], v[6:7], v[14:15] op_sel:[0,0,1] op_sel_hi:[1,1,0] neg_lo:[0,0,1] neg_hi:[0,0,1]
	v_pk_fma_f32 v[10:11], v[10:11], v[6:7], v[14:15] op_sel:[0,0,1] op_sel_hi:[1,0,0]
	v_mov_b32_e32 v19, v11
	v_pk_mul_f32 v[10:11], v[12:13], v[8:9] op_sel:[0,1]
	s_delay_alu instid0(VALU_DEP_2) | instskip(NEXT) | instid1(VALU_DEP_2)
	v_pk_add_f32 v[226:227], v[226:227], v[18:19] neg_lo:[0,1] neg_hi:[0,1]
	v_pk_fma_f32 v[14:15], v[12:13], v[6:7], v[10:11] op_sel:[0,0,1] op_sel_hi:[1,1,0] neg_lo:[0,0,1] neg_hi:[0,0,1]
	v_pk_fma_f32 v[10:11], v[12:13], v[6:7], v[10:11] op_sel:[0,0,1] op_sel_hi:[1,0,0]
	s_delay_alu instid0(VALU_DEP_1)
	v_mov_b32_e32 v15, v11
	ds_load_2addr_b64 v[10:13], v196 offset0:56 offset1:57
	v_pk_add_f32 v[222:223], v[222:223], v[14:15] neg_lo:[0,1] neg_hi:[0,1]
	s_wait_dscnt 0x0
	v_pk_mul_f32 v[14:15], v[10:11], v[8:9] op_sel:[0,1]
	v_pk_mul_f32 v[8:9], v[12:13], v[8:9] op_sel:[0,1]
	s_delay_alu instid0(VALU_DEP_2) | instskip(SKIP_1) | instid1(VALU_DEP_1)
	v_pk_fma_f32 v[18:19], v[10:11], v[6:7], v[14:15] op_sel:[0,0,1] op_sel_hi:[1,1,0] neg_lo:[0,0,1] neg_hi:[0,0,1]
	v_pk_fma_f32 v[10:11], v[10:11], v[6:7], v[14:15] op_sel:[0,0,1] op_sel_hi:[1,0,0]
	v_mov_b32_e32 v19, v11
	s_delay_alu instid0(VALU_DEP_4) | instskip(SKIP_1) | instid1(VALU_DEP_3)
	v_pk_fma_f32 v[10:11], v[12:13], v[6:7], v[8:9] op_sel:[0,0,1] op_sel_hi:[1,1,0] neg_lo:[0,0,1] neg_hi:[0,0,1]
	v_pk_fma_f32 v[6:7], v[12:13], v[6:7], v[8:9] op_sel:[0,0,1] op_sel_hi:[1,0,0]
	v_pk_add_f32 v[230:231], v[230:231], v[18:19] neg_lo:[0,1] neg_hi:[0,1]
	s_delay_alu instid0(VALU_DEP_2) | instskip(NEXT) | instid1(VALU_DEP_1)
	v_mov_b32_e32 v11, v7
	v_pk_add_f32 v[232:233], v[232:233], v[10:11] neg_lo:[0,1] neg_hi:[0,1]
.LBB115_127:
	s_or_b32 exec_lo, exec_lo, s1
	s_delay_alu instid0(SALU_CYCLE_1)
	s_mov_b32 s2, exec_lo
	s_wait_dscnt 0x0
	s_barrier_signal -1
	s_barrier_wait -1
	v_cmpx_eq_u32_e32 14, v186
	s_cbranch_execz .LBB115_134
; %bb.128:
	ds_store_b64 v187, v[62:63]
	ds_store_2addr_b64 v196, v[58:59], v[82:83] offset0:15 offset1:16
	ds_store_2addr_b64 v196, v[78:79], v[80:81] offset0:17 offset1:18
	;; [unrolled: 1-line block ×21, first 2 shown]
	ds_store_b64 v196, v[232:233] offset:456
	ds_load_b64 v[6:7], v187
	s_wait_dscnt 0x0
	v_cmp_neq_f32_e32 vcc_lo, 0, v6
	v_cmp_neq_f32_e64 s1, 0, v7
	s_or_b32 s1, vcc_lo, s1
	s_delay_alu instid0(SALU_CYCLE_1)
	s_and_b32 exec_lo, exec_lo, s1
	s_cbranch_execz .LBB115_134
; %bb.129:
	v_cmp_ngt_f32_e64 s1, |v6|, |v7|
                                        ; implicit-def: $vgpr8_vgpr9
	s_and_saveexec_b32 s4, s1
	s_delay_alu instid0(SALU_CYCLE_1)
	s_xor_b32 s1, exec_lo, s4
	s_cbranch_execz .LBB115_131
; %bb.130:
	v_div_scale_f32 v8, null, v7, v7, v6
	v_div_scale_f32 v11, vcc_lo, v6, v7, v6
	s_delay_alu instid0(VALU_DEP_2) | instskip(SKIP_1) | instid1(TRANS32_DEP_1)
	v_rcp_f32_e32 v9, v8
	v_nop
	v_fma_f32 v10, -v8, v9, 1.0
	s_delay_alu instid0(VALU_DEP_1) | instskip(NEXT) | instid1(VALU_DEP_1)
	v_fmac_f32_e32 v9, v10, v9
	v_mul_f32_e32 v10, v11, v9
	s_delay_alu instid0(VALU_DEP_1) | instskip(NEXT) | instid1(VALU_DEP_1)
	v_fma_f32 v12, -v8, v10, v11
	v_fmac_f32_e32 v10, v12, v9
	s_delay_alu instid0(VALU_DEP_1) | instskip(NEXT) | instid1(VALU_DEP_1)
	v_fma_f32 v8, -v8, v10, v11
	v_div_fmas_f32 v8, v8, v9, v10
	s_delay_alu instid0(VALU_DEP_1) | instskip(NEXT) | instid1(VALU_DEP_1)
	v_div_fixup_f32 v8, v8, v7, v6
	v_fmac_f32_e32 v7, v6, v8
	s_delay_alu instid0(VALU_DEP_1) | instskip(SKIP_1) | instid1(VALU_DEP_2)
	v_div_scale_f32 v6, null, v7, v7, 1.0
	v_div_scale_f32 v11, vcc_lo, 1.0, v7, 1.0
	v_rcp_f32_e32 v9, v6
	v_nop
	s_delay_alu instid0(TRANS32_DEP_1) | instskip(NEXT) | instid1(VALU_DEP_1)
	v_fma_f32 v10, -v6, v9, 1.0
	v_fmac_f32_e32 v9, v10, v9
	s_delay_alu instid0(VALU_DEP_1) | instskip(NEXT) | instid1(VALU_DEP_1)
	v_mul_f32_e32 v10, v11, v9
	v_fma_f32 v12, -v6, v10, v11
	s_delay_alu instid0(VALU_DEP_1) | instskip(NEXT) | instid1(VALU_DEP_1)
	v_fmac_f32_e32 v10, v12, v9
	v_fma_f32 v6, -v6, v10, v11
	s_delay_alu instid0(VALU_DEP_1) | instskip(NEXT) | instid1(VALU_DEP_1)
	v_div_fmas_f32 v6, v6, v9, v10
	v_div_fixup_f32 v6, v6, v7, 1.0
	s_delay_alu instid0(VALU_DEP_1)
	v_mul_f32_e32 v8, v8, v6
	v_xor_b32_e32 v9, 0x80000000, v6
                                        ; implicit-def: $vgpr6_vgpr7
.LBB115_131:
	s_and_not1_saveexec_b32 s1, s1
	s_cbranch_execz .LBB115_133
; %bb.132:
	v_div_scale_f32 v8, null, v6, v6, v7
	v_div_scale_f32 v11, vcc_lo, v7, v6, v7
	s_delay_alu instid0(VALU_DEP_2) | instskip(SKIP_1) | instid1(TRANS32_DEP_1)
	v_rcp_f32_e32 v9, v8
	v_nop
	v_fma_f32 v10, -v8, v9, 1.0
	s_delay_alu instid0(VALU_DEP_1) | instskip(NEXT) | instid1(VALU_DEP_1)
	v_fmac_f32_e32 v9, v10, v9
	v_mul_f32_e32 v10, v11, v9
	s_delay_alu instid0(VALU_DEP_1) | instskip(NEXT) | instid1(VALU_DEP_1)
	v_fma_f32 v12, -v8, v10, v11
	v_fmac_f32_e32 v10, v12, v9
	s_delay_alu instid0(VALU_DEP_1) | instskip(NEXT) | instid1(VALU_DEP_1)
	v_fma_f32 v8, -v8, v10, v11
	v_div_fmas_f32 v8, v8, v9, v10
	s_delay_alu instid0(VALU_DEP_1) | instskip(NEXT) | instid1(VALU_DEP_1)
	v_div_fixup_f32 v9, v8, v6, v7
	v_fmac_f32_e32 v6, v7, v9
	s_delay_alu instid0(VALU_DEP_1) | instskip(NEXT) | instid1(VALU_DEP_1)
	v_div_scale_f32 v7, null, v6, v6, 1.0
	v_rcp_f32_e32 v8, v7
	v_nop
	s_delay_alu instid0(TRANS32_DEP_1) | instskip(NEXT) | instid1(VALU_DEP_1)
	v_fma_f32 v10, -v7, v8, 1.0
	v_fmac_f32_e32 v8, v10, v8
	v_div_scale_f32 v10, vcc_lo, 1.0, v6, 1.0
	s_delay_alu instid0(VALU_DEP_1) | instskip(NEXT) | instid1(VALU_DEP_1)
	v_mul_f32_e32 v11, v10, v8
	v_fma_f32 v12, -v7, v11, v10
	s_delay_alu instid0(VALU_DEP_1) | instskip(NEXT) | instid1(VALU_DEP_1)
	v_fmac_f32_e32 v11, v12, v8
	v_fma_f32 v7, -v7, v11, v10
	s_delay_alu instid0(VALU_DEP_1) | instskip(NEXT) | instid1(VALU_DEP_1)
	v_div_fmas_f32 v7, v7, v8, v11
	v_div_fixup_f32 v8, v7, v6, 1.0
	s_delay_alu instid0(VALU_DEP_1)
	v_mul_f32_e64 v9, v9, -v8
.LBB115_133:
	s_or_b32 exec_lo, exec_lo, s1
	ds_store_b64 v187, v[8:9]
.LBB115_134:
	s_or_b32 exec_lo, exec_lo, s2
	s_wait_dscnt 0x0
	s_barrier_signal -1
	s_barrier_wait -1
	ds_load_b64 v[6:7], v187
	s_mov_b32 s1, exec_lo
	v_cmpx_lt_u32_e32 14, v186
	s_cbranch_execz .LBB115_136
; %bb.135:
	ds_load_2addr_b64 v[12:15], v196 offset0:15 offset1:16
	s_wait_dscnt 0x1
	v_pk_mul_f32 v[10:11], v[6:7], v[62:63] op_sel:[1,1] op_sel_hi:[0,1]
	s_delay_alu instid0(VALU_DEP_1) | instskip(SKIP_1) | instid1(VALU_DEP_1)
	v_pk_fma_f32 v[8:9], v[6:7], v[62:63], v[10:11] op_sel_hi:[1,0,1] neg_lo:[0,0,1] neg_hi:[0,0,1]
	v_pk_fma_f32 v[10:11], v[6:7], v[62:63], v[10:11] op_sel_hi:[1,0,1]
	v_dual_mov_b32 v62, v8 :: v_dual_mov_b32 v63, v11
	s_wait_dscnt 0x0
	s_delay_alu instid0(VALU_DEP_2) | instskip(NEXT) | instid1(VALU_DEP_1)
	v_pk_mul_f32 v[18:19], v[12:13], v[10:11] op_sel:[0,1]
	v_pk_fma_f32 v[28:29], v[12:13], v[8:9], v[18:19] op_sel:[0,0,1] op_sel_hi:[1,1,0] neg_lo:[0,0,1] neg_hi:[0,0,1]
	v_pk_fma_f32 v[12:13], v[12:13], v[8:9], v[18:19] op_sel:[0,0,1] op_sel_hi:[1,0,0]
	s_delay_alu instid0(VALU_DEP_1) | instskip(SKIP_1) | instid1(VALU_DEP_1)
	v_mov_b32_e32 v29, v13
	v_pk_mul_f32 v[12:13], v[14:15], v[10:11] op_sel:[0,1]
	v_pk_fma_f32 v[18:19], v[14:15], v[8:9], v[12:13] op_sel:[0,0,1] op_sel_hi:[1,1,0] neg_lo:[0,0,1] neg_hi:[0,0,1]
	v_pk_fma_f32 v[12:13], v[14:15], v[8:9], v[12:13] op_sel:[0,0,1] op_sel_hi:[1,0,0]
	s_delay_alu instid0(VALU_DEP_1)
	v_mov_b32_e32 v19, v13
	ds_load_2addr_b64 v[12:15], v196 offset0:17 offset1:18
	v_pk_add_f32 v[58:59], v[58:59], v[28:29] neg_lo:[0,1] neg_hi:[0,1]
	v_pk_add_f32 v[82:83], v[82:83], v[18:19] neg_lo:[0,1] neg_hi:[0,1]
	s_wait_dscnt 0x0
	v_pk_mul_f32 v[18:19], v[12:13], v[10:11] op_sel:[0,1]
	s_delay_alu instid0(VALU_DEP_1) | instskip(SKIP_2) | instid1(VALU_DEP_2)
	v_pk_fma_f32 v[28:29], v[12:13], v[8:9], v[18:19] op_sel:[0,0,1] op_sel_hi:[1,1,0] neg_lo:[0,0,1] neg_hi:[0,0,1]
	v_pk_fma_f32 v[12:13], v[12:13], v[8:9], v[18:19] op_sel:[0,0,1] op_sel_hi:[1,0,0]
	v_dual_mul_f32 v18, v15, v11 :: v_dual_mov_b32 v12, v15
	v_dual_mov_b32 v29, v13 :: v_dual_mov_b32 v13, v14
	s_delay_alu instid0(VALU_DEP_2) | instskip(SKIP_1) | instid1(VALU_DEP_3)
	v_pk_fma_f32 v[18:19], v[14:15], v[62:63], v[18:19] op_sel_hi:[1,1,0] neg_lo:[0,0,1] neg_hi:[0,0,1]
	v_mul_f32_e32 v14, v15, v8
	v_pk_add_f32 v[78:79], v[78:79], v[28:29] neg_lo:[0,1] neg_hi:[0,1]
	s_delay_alu instid0(VALU_DEP_2) | instskip(NEXT) | instid1(VALU_DEP_1)
	v_pk_fma_f32 v[12:13], v[12:13], v[62:63], v[14:15] op_sel_hi:[1,1,0]
	v_mov_b32_e32 v19, v13
	ds_load_2addr_b64 v[12:15], v196 offset0:19 offset1:20
	v_pk_add_f32 v[80:81], v[80:81], v[18:19] neg_lo:[0,1] neg_hi:[0,1]
	s_wait_dscnt 0x0
	v_pk_mul_f32 v[18:19], v[12:13], v[10:11] op_sel:[0,1]
	s_delay_alu instid0(VALU_DEP_1) | instskip(SKIP_1) | instid1(VALU_DEP_1)
	v_pk_fma_f32 v[28:29], v[12:13], v[8:9], v[18:19] op_sel:[0,0,1] op_sel_hi:[1,1,0] neg_lo:[0,0,1] neg_hi:[0,0,1]
	v_pk_fma_f32 v[12:13], v[12:13], v[8:9], v[18:19] op_sel:[0,0,1] op_sel_hi:[1,0,0]
	v_mov_b32_e32 v29, v13
	v_pk_mul_f32 v[12:13], v[14:15], v[10:11] op_sel:[0,1]
	s_delay_alu instid0(VALU_DEP_1) | instskip(SKIP_1) | instid1(VALU_DEP_1)
	v_pk_fma_f32 v[18:19], v[14:15], v[8:9], v[12:13] op_sel:[0,0,1] op_sel_hi:[1,1,0] neg_lo:[0,0,1] neg_hi:[0,0,1]
	v_pk_fma_f32 v[12:13], v[14:15], v[8:9], v[12:13] op_sel:[0,0,1] op_sel_hi:[1,0,0]
	v_mov_b32_e32 v19, v13
	ds_load_2addr_b64 v[12:15], v196 offset0:21 offset1:22
	v_pk_add_f32 v[76:77], v[76:77], v[28:29] neg_lo:[0,1] neg_hi:[0,1]
	v_pk_add_f32 v[98:99], v[98:99], v[18:19] neg_lo:[0,1] neg_hi:[0,1]
	s_wait_dscnt 0x0
	v_pk_mul_f32 v[18:19], v[12:13], v[10:11] op_sel:[0,1]
	s_delay_alu instid0(VALU_DEP_1) | instskip(SKIP_1) | instid1(VALU_DEP_1)
	v_pk_fma_f32 v[28:29], v[12:13], v[8:9], v[18:19] op_sel:[0,0,1] op_sel_hi:[1,1,0] neg_lo:[0,0,1] neg_hi:[0,0,1]
	v_pk_fma_f32 v[12:13], v[12:13], v[8:9], v[18:19] op_sel:[0,0,1] op_sel_hi:[1,0,0]
	v_mov_b32_e32 v29, v13
	v_pk_mul_f32 v[12:13], v[14:15], v[10:11] op_sel:[0,1]
	s_delay_alu instid0(VALU_DEP_1) | instskip(SKIP_1) | instid1(VALU_DEP_1)
	v_pk_fma_f32 v[18:19], v[14:15], v[8:9], v[12:13] op_sel:[0,0,1] op_sel_hi:[1,1,0] neg_lo:[0,0,1] neg_hi:[0,0,1]
	v_pk_fma_f32 v[12:13], v[14:15], v[8:9], v[12:13] op_sel:[0,0,1] op_sel_hi:[1,0,0]
	v_mov_b32_e32 v19, v13
	ds_load_2addr_b64 v[12:15], v196 offset0:23 offset1:24
	v_pk_add_f32 v[94:95], v[94:95], v[28:29] neg_lo:[0,1] neg_hi:[0,1]
	v_pk_add_f32 v[96:97], v[96:97], v[18:19] neg_lo:[0,1] neg_hi:[0,1]
	s_wait_dscnt 0x0
	v_dual_mul_f32 v18, v13, v11 :: v_dual_mul_f32 v28, v13, v8
	s_delay_alu instid0(VALU_DEP_1) | instskip(NEXT) | instid1(VALU_DEP_2)
	v_pk_fma_f32 v[18:19], v[12:13], v[62:63], v[18:19] op_sel_hi:[1,1,0] neg_lo:[0,0,1] neg_hi:[0,0,1]
	v_pk_fma_f32 v[12:13], v[12:13], v[62:63], v[28:29] op_sel:[1,0,0] op_sel_hi:[0,1,0]
	s_delay_alu instid0(VALU_DEP_1) | instskip(SKIP_1) | instid1(VALU_DEP_2)
	v_mov_b32_e32 v19, v13
	v_pk_mul_f32 v[12:13], v[14:15], v[10:11] op_sel:[0,1]
	v_pk_add_f32 v[92:93], v[92:93], v[18:19] neg_lo:[0,1] neg_hi:[0,1]
	s_delay_alu instid0(VALU_DEP_2) | instskip(SKIP_1) | instid1(VALU_DEP_1)
	v_pk_fma_f32 v[18:19], v[14:15], v[8:9], v[12:13] op_sel:[0,0,1] op_sel_hi:[1,1,0] neg_lo:[0,0,1] neg_hi:[0,0,1]
	v_pk_fma_f32 v[12:13], v[14:15], v[8:9], v[12:13] op_sel:[0,0,1] op_sel_hi:[1,0,0]
	v_mov_b32_e32 v19, v13
	ds_load_2addr_b64 v[12:15], v196 offset0:25 offset1:26
	v_pk_add_f32 v[114:115], v[114:115], v[18:19] neg_lo:[0,1] neg_hi:[0,1]
	s_wait_dscnt 0x0
	v_pk_mul_f32 v[18:19], v[12:13], v[10:11] op_sel:[0,1]
	s_delay_alu instid0(VALU_DEP_1) | instskip(SKIP_1) | instid1(VALU_DEP_1)
	v_pk_fma_f32 v[28:29], v[12:13], v[8:9], v[18:19] op_sel:[0,0,1] op_sel_hi:[1,1,0] neg_lo:[0,0,1] neg_hi:[0,0,1]
	v_pk_fma_f32 v[12:13], v[12:13], v[8:9], v[18:19] op_sel:[0,0,1] op_sel_hi:[1,0,0]
	v_mov_b32_e32 v29, v13
	v_pk_mul_f32 v[12:13], v[14:15], v[10:11] op_sel:[0,1]
	s_delay_alu instid0(VALU_DEP_2) | instskip(NEXT) | instid1(VALU_DEP_2)
	v_pk_add_f32 v[110:111], v[110:111], v[28:29] neg_lo:[0,1] neg_hi:[0,1]
	v_pk_fma_f32 v[18:19], v[14:15], v[8:9], v[12:13] op_sel:[0,0,1] op_sel_hi:[1,1,0] neg_lo:[0,0,1] neg_hi:[0,0,1]
	v_pk_fma_f32 v[12:13], v[14:15], v[8:9], v[12:13] op_sel:[0,0,1] op_sel_hi:[1,0,0]
	s_delay_alu instid0(VALU_DEP_1) | instskip(SKIP_4) | instid1(VALU_DEP_1)
	v_mov_b32_e32 v19, v13
	ds_load_2addr_b64 v[12:15], v196 offset0:27 offset1:28
	v_pk_add_f32 v[112:113], v[112:113], v[18:19] neg_lo:[0,1] neg_hi:[0,1]
	s_wait_dscnt 0x0
	v_pk_mul_f32 v[18:19], v[12:13], v[10:11] op_sel:[0,1]
	v_pk_fma_f32 v[28:29], v[12:13], v[8:9], v[18:19] op_sel:[0,0,1] op_sel_hi:[1,1,0] neg_lo:[0,0,1] neg_hi:[0,0,1]
	v_pk_fma_f32 v[12:13], v[12:13], v[8:9], v[18:19] op_sel:[0,0,1] op_sel_hi:[1,0,0]
	v_dual_mul_f32 v18, v15, v11 :: v_dual_mov_b32 v12, v15
	s_delay_alu instid0(VALU_DEP_2) | instskip(NEXT) | instid1(VALU_DEP_2)
	v_dual_mov_b32 v29, v13 :: v_dual_mov_b32 v13, v14
	v_pk_fma_f32 v[18:19], v[14:15], v[62:63], v[18:19] op_sel_hi:[1,1,0] neg_lo:[0,0,1] neg_hi:[0,0,1]
	v_mul_f32_e32 v14, v15, v8
	s_delay_alu instid0(VALU_DEP_3) | instskip(NEXT) | instid1(VALU_DEP_2)
	v_pk_add_f32 v[108:109], v[108:109], v[28:29] neg_lo:[0,1] neg_hi:[0,1]
	v_pk_fma_f32 v[12:13], v[12:13], v[62:63], v[14:15] op_sel_hi:[1,1,0]
	s_delay_alu instid0(VALU_DEP_1) | instskip(SKIP_4) | instid1(VALU_DEP_1)
	v_mov_b32_e32 v19, v13
	ds_load_2addr_b64 v[12:15], v196 offset0:29 offset1:30
	v_pk_add_f32 v[130:131], v[130:131], v[18:19] neg_lo:[0,1] neg_hi:[0,1]
	s_wait_dscnt 0x0
	v_pk_mul_f32 v[18:19], v[12:13], v[10:11] op_sel:[0,1]
	v_pk_fma_f32 v[28:29], v[12:13], v[8:9], v[18:19] op_sel:[0,0,1] op_sel_hi:[1,1,0] neg_lo:[0,0,1] neg_hi:[0,0,1]
	v_pk_fma_f32 v[12:13], v[12:13], v[8:9], v[18:19] op_sel:[0,0,1] op_sel_hi:[1,0,0]
	s_delay_alu instid0(VALU_DEP_1) | instskip(SKIP_1) | instid1(VALU_DEP_1)
	v_mov_b32_e32 v29, v13
	v_pk_mul_f32 v[12:13], v[14:15], v[10:11] op_sel:[0,1]
	v_pk_fma_f32 v[18:19], v[14:15], v[8:9], v[12:13] op_sel:[0,0,1] op_sel_hi:[1,1,0] neg_lo:[0,0,1] neg_hi:[0,0,1]
	v_pk_fma_f32 v[12:13], v[14:15], v[8:9], v[12:13] op_sel:[0,0,1] op_sel_hi:[1,0,0]
	s_delay_alu instid0(VALU_DEP_1)
	v_mov_b32_e32 v19, v13
	ds_load_2addr_b64 v[12:15], v196 offset0:31 offset1:32
	v_pk_add_f32 v[126:127], v[126:127], v[28:29] neg_lo:[0,1] neg_hi:[0,1]
	v_pk_add_f32 v[128:129], v[128:129], v[18:19] neg_lo:[0,1] neg_hi:[0,1]
	s_wait_dscnt 0x0
	v_pk_mul_f32 v[18:19], v[12:13], v[10:11] op_sel:[0,1]
	s_delay_alu instid0(VALU_DEP_1) | instskip(SKIP_1) | instid1(VALU_DEP_1)
	v_pk_fma_f32 v[28:29], v[12:13], v[8:9], v[18:19] op_sel:[0,0,1] op_sel_hi:[1,1,0] neg_lo:[0,0,1] neg_hi:[0,0,1]
	v_pk_fma_f32 v[12:13], v[12:13], v[8:9], v[18:19] op_sel:[0,0,1] op_sel_hi:[1,0,0]
	v_mov_b32_e32 v29, v13
	v_pk_mul_f32 v[12:13], v[14:15], v[10:11] op_sel:[0,1]
	s_delay_alu instid0(VALU_DEP_1) | instskip(SKIP_1) | instid1(VALU_DEP_1)
	v_pk_fma_f32 v[18:19], v[14:15], v[8:9], v[12:13] op_sel:[0,0,1] op_sel_hi:[1,1,0] neg_lo:[0,0,1] neg_hi:[0,0,1]
	v_pk_fma_f32 v[12:13], v[14:15], v[8:9], v[12:13] op_sel:[0,0,1] op_sel_hi:[1,0,0]
	v_mov_b32_e32 v19, v13
	ds_load_2addr_b64 v[12:15], v196 offset0:33 offset1:34
	v_pk_add_f32 v[124:125], v[124:125], v[28:29] neg_lo:[0,1] neg_hi:[0,1]
	v_pk_add_f32 v[146:147], v[146:147], v[18:19] neg_lo:[0,1] neg_hi:[0,1]
	s_wait_dscnt 0x0
	v_dual_mul_f32 v18, v13, v11 :: v_dual_mul_f32 v28, v13, v8
	s_delay_alu instid0(VALU_DEP_1) | instskip(NEXT) | instid1(VALU_DEP_2)
	v_pk_fma_f32 v[18:19], v[12:13], v[62:63], v[18:19] op_sel_hi:[1,1,0] neg_lo:[0,0,1] neg_hi:[0,0,1]
	v_pk_fma_f32 v[12:13], v[12:13], v[62:63], v[28:29] op_sel:[1,0,0] op_sel_hi:[0,1,0]
	s_delay_alu instid0(VALU_DEP_1) | instskip(SKIP_1) | instid1(VALU_DEP_2)
	v_mov_b32_e32 v19, v13
	v_pk_mul_f32 v[12:13], v[14:15], v[10:11] op_sel:[0,1]
	v_pk_add_f32 v[142:143], v[142:143], v[18:19] neg_lo:[0,1] neg_hi:[0,1]
	s_delay_alu instid0(VALU_DEP_2) | instskip(SKIP_1) | instid1(VALU_DEP_1)
	v_pk_fma_f32 v[18:19], v[14:15], v[8:9], v[12:13] op_sel:[0,0,1] op_sel_hi:[1,1,0] neg_lo:[0,0,1] neg_hi:[0,0,1]
	v_pk_fma_f32 v[12:13], v[14:15], v[8:9], v[12:13] op_sel:[0,0,1] op_sel_hi:[1,0,0]
	v_mov_b32_e32 v19, v13
	ds_load_2addr_b64 v[12:15], v196 offset0:35 offset1:36
	v_pk_add_f32 v[144:145], v[144:145], v[18:19] neg_lo:[0,1] neg_hi:[0,1]
	s_wait_dscnt 0x0
	v_pk_mul_f32 v[18:19], v[12:13], v[10:11] op_sel:[0,1]
	s_delay_alu instid0(VALU_DEP_1) | instskip(SKIP_1) | instid1(VALU_DEP_1)
	v_pk_fma_f32 v[28:29], v[12:13], v[8:9], v[18:19] op_sel:[0,0,1] op_sel_hi:[1,1,0] neg_lo:[0,0,1] neg_hi:[0,0,1]
	v_pk_fma_f32 v[12:13], v[12:13], v[8:9], v[18:19] op_sel:[0,0,1] op_sel_hi:[1,0,0]
	v_mov_b32_e32 v29, v13
	v_pk_mul_f32 v[12:13], v[14:15], v[10:11] op_sel:[0,1]
	s_delay_alu instid0(VALU_DEP_2) | instskip(NEXT) | instid1(VALU_DEP_2)
	v_pk_add_f32 v[140:141], v[140:141], v[28:29] neg_lo:[0,1] neg_hi:[0,1]
	v_pk_fma_f32 v[18:19], v[14:15], v[8:9], v[12:13] op_sel:[0,0,1] op_sel_hi:[1,1,0] neg_lo:[0,0,1] neg_hi:[0,0,1]
	v_pk_fma_f32 v[12:13], v[14:15], v[8:9], v[12:13] op_sel:[0,0,1] op_sel_hi:[1,0,0]
	s_delay_alu instid0(VALU_DEP_1) | instskip(SKIP_4) | instid1(VALU_DEP_1)
	v_mov_b32_e32 v19, v13
	ds_load_2addr_b64 v[12:15], v196 offset0:37 offset1:38
	v_pk_add_f32 v[162:163], v[162:163], v[18:19] neg_lo:[0,1] neg_hi:[0,1]
	s_wait_dscnt 0x0
	v_pk_mul_f32 v[18:19], v[12:13], v[10:11] op_sel:[0,1]
	v_pk_fma_f32 v[28:29], v[12:13], v[8:9], v[18:19] op_sel:[0,0,1] op_sel_hi:[1,1,0] neg_lo:[0,0,1] neg_hi:[0,0,1]
	v_pk_fma_f32 v[12:13], v[12:13], v[8:9], v[18:19] op_sel:[0,0,1] op_sel_hi:[1,0,0]
	v_dual_mul_f32 v18, v15, v11 :: v_dual_mov_b32 v12, v15
	s_delay_alu instid0(VALU_DEP_2) | instskip(NEXT) | instid1(VALU_DEP_2)
	v_dual_mov_b32 v29, v13 :: v_dual_mov_b32 v13, v14
	v_pk_fma_f32 v[18:19], v[14:15], v[62:63], v[18:19] op_sel_hi:[1,1,0] neg_lo:[0,0,1] neg_hi:[0,0,1]
	v_mul_f32_e32 v14, v15, v8
	s_delay_alu instid0(VALU_DEP_3) | instskip(NEXT) | instid1(VALU_DEP_2)
	v_pk_add_f32 v[158:159], v[158:159], v[28:29] neg_lo:[0,1] neg_hi:[0,1]
	v_pk_fma_f32 v[12:13], v[12:13], v[62:63], v[14:15] op_sel_hi:[1,1,0]
	s_delay_alu instid0(VALU_DEP_1) | instskip(SKIP_4) | instid1(VALU_DEP_1)
	v_mov_b32_e32 v19, v13
	ds_load_2addr_b64 v[12:15], v196 offset0:39 offset1:40
	v_pk_add_f32 v[160:161], v[160:161], v[18:19] neg_lo:[0,1] neg_hi:[0,1]
	s_wait_dscnt 0x0
	v_pk_mul_f32 v[18:19], v[12:13], v[10:11] op_sel:[0,1]
	v_pk_fma_f32 v[28:29], v[12:13], v[8:9], v[18:19] op_sel:[0,0,1] op_sel_hi:[1,1,0] neg_lo:[0,0,1] neg_hi:[0,0,1]
	v_pk_fma_f32 v[12:13], v[12:13], v[8:9], v[18:19] op_sel:[0,0,1] op_sel_hi:[1,0,0]
	s_delay_alu instid0(VALU_DEP_1) | instskip(SKIP_1) | instid1(VALU_DEP_1)
	v_mov_b32_e32 v29, v13
	v_pk_mul_f32 v[12:13], v[14:15], v[10:11] op_sel:[0,1]
	v_pk_fma_f32 v[18:19], v[14:15], v[8:9], v[12:13] op_sel:[0,0,1] op_sel_hi:[1,1,0] neg_lo:[0,0,1] neg_hi:[0,0,1]
	v_pk_fma_f32 v[12:13], v[14:15], v[8:9], v[12:13] op_sel:[0,0,1] op_sel_hi:[1,0,0]
	s_delay_alu instid0(VALU_DEP_1)
	v_mov_b32_e32 v19, v13
	ds_load_2addr_b64 v[12:15], v196 offset0:41 offset1:42
	v_pk_add_f32 v[156:157], v[156:157], v[28:29] neg_lo:[0,1] neg_hi:[0,1]
	v_pk_add_f32 v[178:179], v[178:179], v[18:19] neg_lo:[0,1] neg_hi:[0,1]
	s_wait_dscnt 0x0
	v_pk_mul_f32 v[18:19], v[12:13], v[10:11] op_sel:[0,1]
	s_delay_alu instid0(VALU_DEP_1) | instskip(SKIP_1) | instid1(VALU_DEP_1)
	v_pk_fma_f32 v[28:29], v[12:13], v[8:9], v[18:19] op_sel:[0,0,1] op_sel_hi:[1,1,0] neg_lo:[0,0,1] neg_hi:[0,0,1]
	v_pk_fma_f32 v[12:13], v[12:13], v[8:9], v[18:19] op_sel:[0,0,1] op_sel_hi:[1,0,0]
	v_mov_b32_e32 v29, v13
	v_pk_mul_f32 v[12:13], v[14:15], v[10:11] op_sel:[0,1]
	s_delay_alu instid0(VALU_DEP_1) | instskip(SKIP_1) | instid1(VALU_DEP_1)
	v_pk_fma_f32 v[18:19], v[14:15], v[8:9], v[12:13] op_sel:[0,0,1] op_sel_hi:[1,1,0] neg_lo:[0,0,1] neg_hi:[0,0,1]
	v_pk_fma_f32 v[12:13], v[14:15], v[8:9], v[12:13] op_sel:[0,0,1] op_sel_hi:[1,0,0]
	v_mov_b32_e32 v19, v13
	ds_load_2addr_b64 v[12:15], v196 offset0:43 offset1:44
	v_pk_add_f32 v[174:175], v[174:175], v[28:29] neg_lo:[0,1] neg_hi:[0,1]
	v_pk_add_f32 v[176:177], v[176:177], v[18:19] neg_lo:[0,1] neg_hi:[0,1]
	s_wait_dscnt 0x0
	v_dual_mul_f32 v18, v13, v11 :: v_dual_mul_f32 v28, v13, v8
	s_delay_alu instid0(VALU_DEP_1) | instskip(NEXT) | instid1(VALU_DEP_2)
	v_pk_fma_f32 v[18:19], v[12:13], v[62:63], v[18:19] op_sel_hi:[1,1,0] neg_lo:[0,0,1] neg_hi:[0,0,1]
	v_pk_fma_f32 v[12:13], v[12:13], v[62:63], v[28:29] op_sel:[1,0,0] op_sel_hi:[0,1,0]
	s_delay_alu instid0(VALU_DEP_1) | instskip(SKIP_1) | instid1(VALU_DEP_2)
	v_mov_b32_e32 v19, v13
	v_pk_mul_f32 v[12:13], v[14:15], v[10:11] op_sel:[0,1]
	v_pk_add_f32 v[172:173], v[172:173], v[18:19] neg_lo:[0,1] neg_hi:[0,1]
	s_delay_alu instid0(VALU_DEP_2) | instskip(SKIP_1) | instid1(VALU_DEP_1)
	v_pk_fma_f32 v[18:19], v[14:15], v[8:9], v[12:13] op_sel:[0,0,1] op_sel_hi:[1,1,0] neg_lo:[0,0,1] neg_hi:[0,0,1]
	v_pk_fma_f32 v[12:13], v[14:15], v[8:9], v[12:13] op_sel:[0,0,1] op_sel_hi:[1,0,0]
	v_mov_b32_e32 v19, v13
	ds_load_2addr_b64 v[12:15], v196 offset0:45 offset1:46
	v_pk_add_f32 v[194:195], v[194:195], v[18:19] neg_lo:[0,1] neg_hi:[0,1]
	s_wait_dscnt 0x0
	v_pk_mul_f32 v[18:19], v[12:13], v[10:11] op_sel:[0,1]
	s_delay_alu instid0(VALU_DEP_1) | instskip(SKIP_1) | instid1(VALU_DEP_1)
	v_pk_fma_f32 v[28:29], v[12:13], v[8:9], v[18:19] op_sel:[0,0,1] op_sel_hi:[1,1,0] neg_lo:[0,0,1] neg_hi:[0,0,1]
	v_pk_fma_f32 v[12:13], v[12:13], v[8:9], v[18:19] op_sel:[0,0,1] op_sel_hi:[1,0,0]
	v_mov_b32_e32 v29, v13
	v_pk_mul_f32 v[12:13], v[14:15], v[10:11] op_sel:[0,1]
	s_delay_alu instid0(VALU_DEP_2) | instskip(NEXT) | instid1(VALU_DEP_2)
	v_pk_add_f32 v[190:191], v[190:191], v[28:29] neg_lo:[0,1] neg_hi:[0,1]
	v_pk_fma_f32 v[18:19], v[14:15], v[8:9], v[12:13] op_sel:[0,0,1] op_sel_hi:[1,1,0] neg_lo:[0,0,1] neg_hi:[0,0,1]
	v_pk_fma_f32 v[12:13], v[14:15], v[8:9], v[12:13] op_sel:[0,0,1] op_sel_hi:[1,0,0]
	s_delay_alu instid0(VALU_DEP_1) | instskip(SKIP_4) | instid1(VALU_DEP_1)
	v_mov_b32_e32 v19, v13
	ds_load_2addr_b64 v[12:15], v196 offset0:47 offset1:48
	v_pk_add_f32 v[192:193], v[192:193], v[18:19] neg_lo:[0,1] neg_hi:[0,1]
	s_wait_dscnt 0x0
	v_pk_mul_f32 v[18:19], v[12:13], v[10:11] op_sel:[0,1]
	v_pk_fma_f32 v[28:29], v[12:13], v[8:9], v[18:19] op_sel:[0,0,1] op_sel_hi:[1,1,0] neg_lo:[0,0,1] neg_hi:[0,0,1]
	v_pk_fma_f32 v[12:13], v[12:13], v[8:9], v[18:19] op_sel:[0,0,1] op_sel_hi:[1,0,0]
	v_dual_mul_f32 v18, v15, v11 :: v_dual_mov_b32 v12, v15
	s_delay_alu instid0(VALU_DEP_2) | instskip(NEXT) | instid1(VALU_DEP_2)
	v_dual_mov_b32 v29, v13 :: v_dual_mov_b32 v13, v14
	v_pk_fma_f32 v[18:19], v[14:15], v[62:63], v[18:19] op_sel_hi:[1,1,0] neg_lo:[0,0,1] neg_hi:[0,0,1]
	v_mul_f32_e32 v14, v15, v8
	s_delay_alu instid0(VALU_DEP_3) | instskip(NEXT) | instid1(VALU_DEP_2)
	v_pk_add_f32 v[188:189], v[188:189], v[28:29] neg_lo:[0,1] neg_hi:[0,1]
	v_pk_fma_f32 v[12:13], v[12:13], v[62:63], v[14:15] op_sel_hi:[1,1,0]
	s_delay_alu instid0(VALU_DEP_1) | instskip(SKIP_4) | instid1(VALU_DEP_1)
	v_mov_b32_e32 v19, v13
	ds_load_2addr_b64 v[12:15], v196 offset0:49 offset1:50
	v_pk_add_f32 v[212:213], v[212:213], v[18:19] neg_lo:[0,1] neg_hi:[0,1]
	s_wait_dscnt 0x0
	v_pk_mul_f32 v[18:19], v[12:13], v[10:11] op_sel:[0,1]
	v_pk_fma_f32 v[28:29], v[12:13], v[8:9], v[18:19] op_sel:[0,0,1] op_sel_hi:[1,1,0] neg_lo:[0,0,1] neg_hi:[0,0,1]
	v_pk_fma_f32 v[12:13], v[12:13], v[8:9], v[18:19] op_sel:[0,0,1] op_sel_hi:[1,0,0]
	s_delay_alu instid0(VALU_DEP_1) | instskip(SKIP_1) | instid1(VALU_DEP_1)
	v_mov_b32_e32 v29, v13
	v_pk_mul_f32 v[12:13], v[14:15], v[10:11] op_sel:[0,1]
	v_pk_fma_f32 v[18:19], v[14:15], v[8:9], v[12:13] op_sel:[0,0,1] op_sel_hi:[1,1,0] neg_lo:[0,0,1] neg_hi:[0,0,1]
	v_pk_fma_f32 v[12:13], v[14:15], v[8:9], v[12:13] op_sel:[0,0,1] op_sel_hi:[1,0,0]
	s_delay_alu instid0(VALU_DEP_1)
	v_mov_b32_e32 v19, v13
	ds_load_2addr_b64 v[12:15], v196 offset0:51 offset1:52
	v_pk_add_f32 v[208:209], v[208:209], v[28:29] neg_lo:[0,1] neg_hi:[0,1]
	v_pk_add_f32 v[210:211], v[210:211], v[18:19] neg_lo:[0,1] neg_hi:[0,1]
	s_wait_dscnt 0x0
	v_pk_mul_f32 v[18:19], v[12:13], v[10:11] op_sel:[0,1]
	s_delay_alu instid0(VALU_DEP_1) | instskip(SKIP_1) | instid1(VALU_DEP_1)
	v_pk_fma_f32 v[28:29], v[12:13], v[8:9], v[18:19] op_sel:[0,0,1] op_sel_hi:[1,1,0] neg_lo:[0,0,1] neg_hi:[0,0,1]
	v_pk_fma_f32 v[12:13], v[12:13], v[8:9], v[18:19] op_sel:[0,0,1] op_sel_hi:[1,0,0]
	v_mov_b32_e32 v29, v13
	v_pk_mul_f32 v[12:13], v[14:15], v[10:11] op_sel:[0,1]
	s_delay_alu instid0(VALU_DEP_1) | instskip(SKIP_1) | instid1(VALU_DEP_1)
	v_pk_fma_f32 v[18:19], v[14:15], v[8:9], v[12:13] op_sel:[0,0,1] op_sel_hi:[1,1,0] neg_lo:[0,0,1] neg_hi:[0,0,1]
	v_pk_fma_f32 v[12:13], v[14:15], v[8:9], v[12:13] op_sel:[0,0,1] op_sel_hi:[1,0,0]
	v_mov_b32_e32 v19, v13
	ds_load_2addr_b64 v[12:15], v196 offset0:53 offset1:54
	v_pk_add_f32 v[206:207], v[206:207], v[28:29] neg_lo:[0,1] neg_hi:[0,1]
	v_pk_add_f32 v[228:229], v[228:229], v[18:19] neg_lo:[0,1] neg_hi:[0,1]
	s_wait_dscnt 0x0
	v_dual_mul_f32 v18, v13, v11 :: v_dual_mul_f32 v28, v13, v8
	s_delay_alu instid0(VALU_DEP_1) | instskip(NEXT) | instid1(VALU_DEP_2)
	v_pk_fma_f32 v[18:19], v[12:13], v[62:63], v[18:19] op_sel_hi:[1,1,0] neg_lo:[0,0,1] neg_hi:[0,0,1]
	v_pk_fma_f32 v[12:13], v[12:13], v[62:63], v[28:29] op_sel:[1,0,0] op_sel_hi:[0,1,0]
	s_delay_alu instid0(VALU_DEP_1) | instskip(SKIP_1) | instid1(VALU_DEP_2)
	v_mov_b32_e32 v19, v13
	v_pk_mul_f32 v[12:13], v[14:15], v[10:11] op_sel:[0,1]
	v_pk_add_f32 v[224:225], v[224:225], v[18:19] neg_lo:[0,1] neg_hi:[0,1]
	s_delay_alu instid0(VALU_DEP_2) | instskip(SKIP_1) | instid1(VALU_DEP_1)
	v_pk_fma_f32 v[18:19], v[14:15], v[8:9], v[12:13] op_sel:[0,0,1] op_sel_hi:[1,1,0] neg_lo:[0,0,1] neg_hi:[0,0,1]
	v_pk_fma_f32 v[12:13], v[14:15], v[8:9], v[12:13] op_sel:[0,0,1] op_sel_hi:[1,0,0]
	v_mov_b32_e32 v19, v13
	ds_load_2addr_b64 v[12:15], v196 offset0:55 offset1:56
	v_pk_add_f32 v[226:227], v[226:227], v[18:19] neg_lo:[0,1] neg_hi:[0,1]
	s_wait_dscnt 0x0
	v_pk_mul_f32 v[18:19], v[12:13], v[10:11] op_sel:[0,1]
	s_delay_alu instid0(VALU_DEP_1) | instskip(SKIP_1) | instid1(VALU_DEP_1)
	v_pk_fma_f32 v[28:29], v[12:13], v[8:9], v[18:19] op_sel:[0,0,1] op_sel_hi:[1,1,0] neg_lo:[0,0,1] neg_hi:[0,0,1]
	v_pk_fma_f32 v[12:13], v[12:13], v[8:9], v[18:19] op_sel:[0,0,1] op_sel_hi:[1,0,0]
	v_mov_b32_e32 v29, v13
	v_pk_mul_f32 v[12:13], v[14:15], v[10:11] op_sel:[0,1]
	s_delay_alu instid0(VALU_DEP_2) | instskip(NEXT) | instid1(VALU_DEP_2)
	v_pk_add_f32 v[222:223], v[222:223], v[28:29] neg_lo:[0,1] neg_hi:[0,1]
	v_pk_fma_f32 v[18:19], v[14:15], v[8:9], v[12:13] op_sel:[0,0,1] op_sel_hi:[1,1,0] neg_lo:[0,0,1] neg_hi:[0,0,1]
	v_pk_fma_f32 v[12:13], v[14:15], v[8:9], v[12:13] op_sel:[0,0,1] op_sel_hi:[1,0,0]
	s_delay_alu instid0(VALU_DEP_1) | instskip(SKIP_4) | instid1(VALU_DEP_1)
	v_mov_b32_e32 v19, v13
	ds_load_b64 v[12:13], v196 offset:456
	v_pk_add_f32 v[230:231], v[230:231], v[18:19] neg_lo:[0,1] neg_hi:[0,1]
	s_wait_dscnt 0x0
	v_pk_mul_f32 v[10:11], v[12:13], v[10:11] op_sel:[0,1]
	v_pk_fma_f32 v[14:15], v[12:13], v[8:9], v[10:11] op_sel:[0,0,1] op_sel_hi:[1,1,0] neg_lo:[0,0,1] neg_hi:[0,0,1]
	v_pk_fma_f32 v[8:9], v[12:13], v[8:9], v[10:11] op_sel:[0,0,1] op_sel_hi:[1,0,0]
	s_delay_alu instid0(VALU_DEP_1) | instskip(NEXT) | instid1(VALU_DEP_1)
	v_mov_b32_e32 v15, v9
	v_pk_add_f32 v[232:233], v[232:233], v[14:15] neg_lo:[0,1] neg_hi:[0,1]
.LBB115_136:
	s_or_b32 exec_lo, exec_lo, s1
	s_delay_alu instid0(SALU_CYCLE_1)
	s_mov_b32 s2, exec_lo
	s_wait_dscnt 0x0
	s_barrier_signal -1
	s_barrier_wait -1
	v_cmpx_eq_u32_e32 15, v186
	s_cbranch_execz .LBB115_143
; %bb.137:
	v_dual_mov_b32 v8, v82 :: v_dual_mov_b32 v9, v83
	v_dual_mov_b32 v10, v78 :: v_dual_mov_b32 v11, v79
	ds_store_b64 v187, v[58:59]
	ds_store_2addr_b64 v196, v[8:9], v[10:11] offset0:16 offset1:17
	v_dual_mov_b32 v8, v80 :: v_dual_mov_b32 v9, v81
	v_dual_mov_b32 v10, v76 :: v_dual_mov_b32 v11, v77
	ds_store_2addr_b64 v196, v[8:9], v[10:11] offset0:18 offset1:19
	v_dual_mov_b32 v8, v98 :: v_dual_mov_b32 v9, v99
	v_dual_mov_b32 v10, v94 :: v_dual_mov_b32 v11, v95
	;; [unrolled: 3-line block ×19, first 2 shown]
	ds_store_2addr_b64 v196, v[8:9], v[10:11] offset0:54 offset1:55
	v_dual_mov_b32 v8, v230 :: v_dual_mov_b32 v9, v231
	ds_store_2addr_b64 v196, v[8:9], v[232:233] offset0:56 offset1:57
	ds_load_b64 v[8:9], v187
	s_wait_dscnt 0x0
	v_cmp_neq_f32_e32 vcc_lo, 0, v8
	v_cmp_neq_f32_e64 s1, 0, v9
	s_or_b32 s1, vcc_lo, s1
	s_delay_alu instid0(SALU_CYCLE_1)
	s_and_b32 exec_lo, exec_lo, s1
	s_cbranch_execz .LBB115_143
; %bb.138:
	v_cmp_ngt_f32_e64 s1, |v8|, |v9|
                                        ; implicit-def: $vgpr10_vgpr11
	s_and_saveexec_b32 s4, s1
	s_delay_alu instid0(SALU_CYCLE_1)
	s_xor_b32 s1, exec_lo, s4
	s_cbranch_execz .LBB115_140
; %bb.139:
	v_div_scale_f32 v10, null, v9, v9, v8
	v_div_scale_f32 v13, vcc_lo, v8, v9, v8
	s_delay_alu instid0(VALU_DEP_2) | instskip(SKIP_1) | instid1(TRANS32_DEP_1)
	v_rcp_f32_e32 v11, v10
	v_nop
	v_fma_f32 v12, -v10, v11, 1.0
	s_delay_alu instid0(VALU_DEP_1) | instskip(NEXT) | instid1(VALU_DEP_1)
	v_fmac_f32_e32 v11, v12, v11
	v_mul_f32_e32 v12, v13, v11
	s_delay_alu instid0(VALU_DEP_1) | instskip(NEXT) | instid1(VALU_DEP_1)
	v_fma_f32 v14, -v10, v12, v13
	v_fmac_f32_e32 v12, v14, v11
	s_delay_alu instid0(VALU_DEP_1) | instskip(NEXT) | instid1(VALU_DEP_1)
	v_fma_f32 v10, -v10, v12, v13
	v_div_fmas_f32 v10, v10, v11, v12
	s_delay_alu instid0(VALU_DEP_1) | instskip(NEXT) | instid1(VALU_DEP_1)
	v_div_fixup_f32 v10, v10, v9, v8
	v_fmac_f32_e32 v9, v8, v10
	s_delay_alu instid0(VALU_DEP_1) | instskip(SKIP_1) | instid1(VALU_DEP_2)
	v_div_scale_f32 v8, null, v9, v9, 1.0
	v_div_scale_f32 v13, vcc_lo, 1.0, v9, 1.0
	v_rcp_f32_e32 v11, v8
	v_nop
	s_delay_alu instid0(TRANS32_DEP_1) | instskip(NEXT) | instid1(VALU_DEP_1)
	v_fma_f32 v12, -v8, v11, 1.0
	v_fmac_f32_e32 v11, v12, v11
	s_delay_alu instid0(VALU_DEP_1) | instskip(NEXT) | instid1(VALU_DEP_1)
	v_mul_f32_e32 v12, v13, v11
	v_fma_f32 v14, -v8, v12, v13
	s_delay_alu instid0(VALU_DEP_1) | instskip(NEXT) | instid1(VALU_DEP_1)
	v_fmac_f32_e32 v12, v14, v11
	v_fma_f32 v8, -v8, v12, v13
	s_delay_alu instid0(VALU_DEP_1) | instskip(NEXT) | instid1(VALU_DEP_1)
	v_div_fmas_f32 v8, v8, v11, v12
	v_div_fixup_f32 v8, v8, v9, 1.0
	s_delay_alu instid0(VALU_DEP_1)
	v_mul_f32_e32 v10, v10, v8
	v_xor_b32_e32 v11, 0x80000000, v8
                                        ; implicit-def: $vgpr8_vgpr9
.LBB115_140:
	s_and_not1_saveexec_b32 s1, s1
	s_cbranch_execz .LBB115_142
; %bb.141:
	v_div_scale_f32 v10, null, v8, v8, v9
	v_div_scale_f32 v13, vcc_lo, v9, v8, v9
	s_delay_alu instid0(VALU_DEP_2) | instskip(SKIP_1) | instid1(TRANS32_DEP_1)
	v_rcp_f32_e32 v11, v10
	v_nop
	v_fma_f32 v12, -v10, v11, 1.0
	s_delay_alu instid0(VALU_DEP_1) | instskip(NEXT) | instid1(VALU_DEP_1)
	v_fmac_f32_e32 v11, v12, v11
	v_mul_f32_e32 v12, v13, v11
	s_delay_alu instid0(VALU_DEP_1) | instskip(NEXT) | instid1(VALU_DEP_1)
	v_fma_f32 v14, -v10, v12, v13
	v_fmac_f32_e32 v12, v14, v11
	s_delay_alu instid0(VALU_DEP_1) | instskip(NEXT) | instid1(VALU_DEP_1)
	v_fma_f32 v10, -v10, v12, v13
	v_div_fmas_f32 v10, v10, v11, v12
	s_delay_alu instid0(VALU_DEP_1) | instskip(NEXT) | instid1(VALU_DEP_1)
	v_div_fixup_f32 v11, v10, v8, v9
	v_fmac_f32_e32 v8, v9, v11
	s_delay_alu instid0(VALU_DEP_1) | instskip(NEXT) | instid1(VALU_DEP_1)
	v_div_scale_f32 v9, null, v8, v8, 1.0
	v_rcp_f32_e32 v10, v9
	v_nop
	s_delay_alu instid0(TRANS32_DEP_1) | instskip(NEXT) | instid1(VALU_DEP_1)
	v_fma_f32 v12, -v9, v10, 1.0
	v_fmac_f32_e32 v10, v12, v10
	v_div_scale_f32 v12, vcc_lo, 1.0, v8, 1.0
	s_delay_alu instid0(VALU_DEP_1) | instskip(NEXT) | instid1(VALU_DEP_1)
	v_mul_f32_e32 v13, v12, v10
	v_fma_f32 v14, -v9, v13, v12
	s_delay_alu instid0(VALU_DEP_1) | instskip(NEXT) | instid1(VALU_DEP_1)
	v_fmac_f32_e32 v13, v14, v10
	v_fma_f32 v9, -v9, v13, v12
	s_delay_alu instid0(VALU_DEP_1) | instskip(NEXT) | instid1(VALU_DEP_1)
	v_div_fmas_f32 v9, v9, v10, v13
	v_div_fixup_f32 v10, v9, v8, 1.0
	s_delay_alu instid0(VALU_DEP_1)
	v_mul_f32_e64 v11, v11, -v10
.LBB115_142:
	s_or_b32 exec_lo, exec_lo, s1
	ds_store_b64 v187, v[10:11]
.LBB115_143:
	s_or_b32 exec_lo, exec_lo, s2
	s_wait_dscnt 0x0
	s_barrier_signal -1
	s_barrier_wait -1
	ds_load_b64 v[8:9], v187
	s_mov_b32 s1, exec_lo
	v_cmpx_lt_u32_e32 15, v186
	s_cbranch_execz .LBB115_145
; %bb.144:
	ds_load_2addr_b64 v[28:31], v196 offset0:16 offset1:17
	s_wait_dscnt 0x1
	v_pk_mul_f32 v[12:13], v[8:9], v[58:59] op_sel:[1,1] op_sel_hi:[0,1]
	s_delay_alu instid0(VALU_DEP_1) | instskip(SKIP_1) | instid1(VALU_DEP_1)
	v_pk_fma_f32 v[10:11], v[8:9], v[58:59], v[12:13] op_sel_hi:[1,0,1] neg_lo:[0,0,1] neg_hi:[0,0,1]
	v_pk_fma_f32 v[12:13], v[8:9], v[58:59], v[12:13] op_sel_hi:[1,0,1]
	v_dual_mov_b32 v58, v10 :: v_dual_mov_b32 v59, v13
	s_wait_dscnt 0x0
	s_delay_alu instid0(VALU_DEP_2) | instskip(NEXT) | instid1(VALU_DEP_1)
	v_pk_mul_f32 v[14:15], v[28:29], v[12:13] op_sel:[0,1]
	v_pk_fma_f32 v[18:19], v[28:29], v[10:11], v[14:15] op_sel:[0,0,1] op_sel_hi:[1,1,0] neg_lo:[0,0,1] neg_hi:[0,0,1]
	v_pk_fma_f32 v[14:15], v[28:29], v[10:11], v[14:15] op_sel:[0,0,1] op_sel_hi:[1,0,0]
	s_delay_alu instid0(VALU_DEP_1) | instskip(SKIP_1) | instid1(VALU_DEP_2)
	v_mov_b32_e32 v19, v15
	v_pk_mul_f32 v[14:15], v[30:31], v[12:13] op_sel:[0,1]
	v_pk_add_f32 v[82:83], v[82:83], v[18:19] neg_lo:[0,1] neg_hi:[0,1]
	s_delay_alu instid0(VALU_DEP_2) | instskip(SKIP_3) | instid1(VALU_DEP_1)
	v_pk_fma_f32 v[18:19], v[30:31], v[10:11], v[14:15] op_sel:[0,0,1] op_sel_hi:[1,1,0] neg_lo:[0,0,1] neg_hi:[0,0,1]
	v_pk_fma_f32 v[14:15], v[30:31], v[10:11], v[14:15] op_sel:[0,0,1] op_sel_hi:[1,0,0]
	ds_load_2addr_b64 v[28:31], v196 offset0:18 offset1:19
	v_mov_b32_e32 v19, v15
	v_pk_add_f32 v[78:79], v[78:79], v[18:19] neg_lo:[0,1] neg_hi:[0,1]
	s_wait_dscnt 0x0
	v_pk_mul_f32 v[14:15], v[28:29], v[12:13] op_sel:[0,1]
	s_delay_alu instid0(VALU_DEP_1) | instskip(SKIP_2) | instid1(VALU_DEP_2)
	v_pk_fma_f32 v[18:19], v[28:29], v[10:11], v[14:15] op_sel:[0,0,1] op_sel_hi:[1,1,0] neg_lo:[0,0,1] neg_hi:[0,0,1]
	v_pk_fma_f32 v[14:15], v[28:29], v[10:11], v[14:15] op_sel:[0,0,1] op_sel_hi:[1,0,0]
	v_dual_mov_b32 v14, v31 :: v_dual_mul_f32 v28, v31, v10
	v_dual_mov_b32 v19, v15 :: v_dual_mov_b32 v15, v30
	s_delay_alu instid0(VALU_DEP_1) | instskip(SKIP_1) | instid1(VALU_DEP_3)
	v_pk_add_f32 v[80:81], v[80:81], v[18:19] neg_lo:[0,1] neg_hi:[0,1]
	v_mul_f32_e32 v18, v31, v13
	v_pk_fma_f32 v[14:15], v[14:15], v[58:59], v[28:29] op_sel_hi:[1,1,0]
	s_delay_alu instid0(VALU_DEP_2) | instskip(SKIP_2) | instid1(VALU_DEP_1)
	v_pk_fma_f32 v[18:19], v[30:31], v[58:59], v[18:19] op_sel_hi:[1,1,0] neg_lo:[0,0,1] neg_hi:[0,0,1]
	ds_load_2addr_b64 v[28:31], v196 offset0:20 offset1:21
	v_mov_b32_e32 v19, v15
	v_pk_add_f32 v[76:77], v[76:77], v[18:19] neg_lo:[0,1] neg_hi:[0,1]
	s_wait_dscnt 0x0
	v_pk_mul_f32 v[14:15], v[28:29], v[12:13] op_sel:[0,1]
	s_delay_alu instid0(VALU_DEP_1) | instskip(SKIP_1) | instid1(VALU_DEP_1)
	v_pk_fma_f32 v[18:19], v[28:29], v[10:11], v[14:15] op_sel:[0,0,1] op_sel_hi:[1,1,0] neg_lo:[0,0,1] neg_hi:[0,0,1]
	v_pk_fma_f32 v[14:15], v[28:29], v[10:11], v[14:15] op_sel:[0,0,1] op_sel_hi:[1,0,0]
	v_mov_b32_e32 v19, v15
	v_pk_mul_f32 v[14:15], v[30:31], v[12:13] op_sel:[0,1]
	s_delay_alu instid0(VALU_DEP_2) | instskip(NEXT) | instid1(VALU_DEP_2)
	v_pk_add_f32 v[98:99], v[98:99], v[18:19] neg_lo:[0,1] neg_hi:[0,1]
	v_pk_fma_f32 v[18:19], v[30:31], v[10:11], v[14:15] op_sel:[0,0,1] op_sel_hi:[1,1,0] neg_lo:[0,0,1] neg_hi:[0,0,1]
	v_pk_fma_f32 v[14:15], v[30:31], v[10:11], v[14:15] op_sel:[0,0,1] op_sel_hi:[1,0,0]
	ds_load_2addr_b64 v[28:31], v196 offset0:22 offset1:23
	v_mov_b32_e32 v19, v15
	s_delay_alu instid0(VALU_DEP_1) | instskip(SKIP_2) | instid1(VALU_DEP_1)
	v_pk_add_f32 v[94:95], v[94:95], v[18:19] neg_lo:[0,1] neg_hi:[0,1]
	s_wait_dscnt 0x0
	v_pk_mul_f32 v[14:15], v[28:29], v[12:13] op_sel:[0,1]
	v_pk_fma_f32 v[18:19], v[28:29], v[10:11], v[14:15] op_sel:[0,0,1] op_sel_hi:[1,1,0] neg_lo:[0,0,1] neg_hi:[0,0,1]
	v_pk_fma_f32 v[14:15], v[28:29], v[10:11], v[14:15] op_sel:[0,0,1] op_sel_hi:[1,0,0]
	s_delay_alu instid0(VALU_DEP_1) | instskip(SKIP_1) | instid1(VALU_DEP_2)
	v_mov_b32_e32 v19, v15
	v_pk_mul_f32 v[14:15], v[30:31], v[12:13] op_sel:[0,1]
	v_pk_add_f32 v[96:97], v[96:97], v[18:19] neg_lo:[0,1] neg_hi:[0,1]
	s_delay_alu instid0(VALU_DEP_2) | instskip(SKIP_3) | instid1(VALU_DEP_1)
	v_pk_fma_f32 v[18:19], v[30:31], v[10:11], v[14:15] op_sel:[0,0,1] op_sel_hi:[1,1,0] neg_lo:[0,0,1] neg_hi:[0,0,1]
	v_pk_fma_f32 v[14:15], v[30:31], v[10:11], v[14:15] op_sel:[0,0,1] op_sel_hi:[1,0,0]
	ds_load_2addr_b64 v[28:31], v196 offset0:24 offset1:25
	v_mov_b32_e32 v19, v15
	v_pk_add_f32 v[92:93], v[92:93], v[18:19] neg_lo:[0,1] neg_hi:[0,1]
	s_wait_dscnt 0x0
	v_dual_mul_f32 v18, v29, v10 :: v_dual_mul_f32 v14, v29, v13
	s_delay_alu instid0(VALU_DEP_1) | instskip(NEXT) | instid1(VALU_DEP_2)
	v_pk_fma_f32 v[18:19], v[28:29], v[58:59], v[18:19] op_sel:[1,0,0] op_sel_hi:[0,1,0]
	v_pk_fma_f32 v[14:15], v[28:29], v[58:59], v[14:15] op_sel_hi:[1,1,0] neg_lo:[0,0,1] neg_hi:[0,0,1]
	s_delay_alu instid0(VALU_DEP_2) | instskip(NEXT) | instid1(VALU_DEP_1)
	v_mov_b32_e32 v15, v19
	v_pk_add_f32 v[114:115], v[114:115], v[14:15] neg_lo:[0,1] neg_hi:[0,1]
	v_pk_mul_f32 v[14:15], v[30:31], v[12:13] op_sel:[0,1]
	s_delay_alu instid0(VALU_DEP_1) | instskip(SKIP_3) | instid1(VALU_DEP_1)
	v_pk_fma_f32 v[18:19], v[30:31], v[10:11], v[14:15] op_sel:[0,0,1] op_sel_hi:[1,1,0] neg_lo:[0,0,1] neg_hi:[0,0,1]
	v_pk_fma_f32 v[14:15], v[30:31], v[10:11], v[14:15] op_sel:[0,0,1] op_sel_hi:[1,0,0]
	ds_load_2addr_b64 v[28:31], v196 offset0:26 offset1:27
	v_mov_b32_e32 v19, v15
	v_pk_add_f32 v[110:111], v[110:111], v[18:19] neg_lo:[0,1] neg_hi:[0,1]
	s_wait_dscnt 0x0
	v_pk_mul_f32 v[14:15], v[28:29], v[12:13] op_sel:[0,1]
	s_delay_alu instid0(VALU_DEP_1) | instskip(SKIP_1) | instid1(VALU_DEP_1)
	v_pk_fma_f32 v[18:19], v[28:29], v[10:11], v[14:15] op_sel:[0,0,1] op_sel_hi:[1,1,0] neg_lo:[0,0,1] neg_hi:[0,0,1]
	v_pk_fma_f32 v[14:15], v[28:29], v[10:11], v[14:15] op_sel:[0,0,1] op_sel_hi:[1,0,0]
	v_mov_b32_e32 v19, v15
	v_pk_mul_f32 v[14:15], v[30:31], v[12:13] op_sel:[0,1]
	s_delay_alu instid0(VALU_DEP_2) | instskip(NEXT) | instid1(VALU_DEP_2)
	v_pk_add_f32 v[112:113], v[112:113], v[18:19] neg_lo:[0,1] neg_hi:[0,1]
	v_pk_fma_f32 v[18:19], v[30:31], v[10:11], v[14:15] op_sel:[0,0,1] op_sel_hi:[1,1,0] neg_lo:[0,0,1] neg_hi:[0,0,1]
	v_pk_fma_f32 v[14:15], v[30:31], v[10:11], v[14:15] op_sel:[0,0,1] op_sel_hi:[1,0,0]
	ds_load_2addr_b64 v[28:31], v196 offset0:28 offset1:29
	v_mov_b32_e32 v19, v15
	s_delay_alu instid0(VALU_DEP_1) | instskip(SKIP_2) | instid1(VALU_DEP_1)
	v_pk_add_f32 v[108:109], v[108:109], v[18:19] neg_lo:[0,1] neg_hi:[0,1]
	s_wait_dscnt 0x0
	v_pk_mul_f32 v[14:15], v[28:29], v[12:13] op_sel:[0,1]
	v_pk_fma_f32 v[18:19], v[28:29], v[10:11], v[14:15] op_sel:[0,0,1] op_sel_hi:[1,1,0] neg_lo:[0,0,1] neg_hi:[0,0,1]
	v_pk_fma_f32 v[14:15], v[28:29], v[10:11], v[14:15] op_sel:[0,0,1] op_sel_hi:[1,0,0]
	v_dual_mov_b32 v14, v31 :: v_dual_mul_f32 v28, v31, v10
	s_delay_alu instid0(VALU_DEP_2) | instskip(NEXT) | instid1(VALU_DEP_1)
	v_dual_mov_b32 v19, v15 :: v_dual_mov_b32 v15, v30
	v_pk_add_f32 v[130:131], v[130:131], v[18:19] neg_lo:[0,1] neg_hi:[0,1]
	v_mul_f32_e32 v18, v31, v13
	s_delay_alu instid0(VALU_DEP_3) | instskip(NEXT) | instid1(VALU_DEP_2)
	v_pk_fma_f32 v[14:15], v[14:15], v[58:59], v[28:29] op_sel_hi:[1,1,0]
	v_pk_fma_f32 v[18:19], v[30:31], v[58:59], v[18:19] op_sel_hi:[1,1,0] neg_lo:[0,0,1] neg_hi:[0,0,1]
	ds_load_2addr_b64 v[28:31], v196 offset0:30 offset1:31
	v_mov_b32_e32 v19, v15
	s_delay_alu instid0(VALU_DEP_1) | instskip(SKIP_2) | instid1(VALU_DEP_1)
	v_pk_add_f32 v[126:127], v[126:127], v[18:19] neg_lo:[0,1] neg_hi:[0,1]
	s_wait_dscnt 0x0
	v_pk_mul_f32 v[14:15], v[28:29], v[12:13] op_sel:[0,1]
	v_pk_fma_f32 v[18:19], v[28:29], v[10:11], v[14:15] op_sel:[0,0,1] op_sel_hi:[1,1,0] neg_lo:[0,0,1] neg_hi:[0,0,1]
	v_pk_fma_f32 v[14:15], v[28:29], v[10:11], v[14:15] op_sel:[0,0,1] op_sel_hi:[1,0,0]
	s_delay_alu instid0(VALU_DEP_1) | instskip(SKIP_1) | instid1(VALU_DEP_2)
	v_mov_b32_e32 v19, v15
	v_pk_mul_f32 v[14:15], v[30:31], v[12:13] op_sel:[0,1]
	v_pk_add_f32 v[128:129], v[128:129], v[18:19] neg_lo:[0,1] neg_hi:[0,1]
	s_delay_alu instid0(VALU_DEP_2) | instskip(SKIP_3) | instid1(VALU_DEP_1)
	v_pk_fma_f32 v[18:19], v[30:31], v[10:11], v[14:15] op_sel:[0,0,1] op_sel_hi:[1,1,0] neg_lo:[0,0,1] neg_hi:[0,0,1]
	v_pk_fma_f32 v[14:15], v[30:31], v[10:11], v[14:15] op_sel:[0,0,1] op_sel_hi:[1,0,0]
	ds_load_2addr_b64 v[28:31], v196 offset0:32 offset1:33
	v_mov_b32_e32 v19, v15
	v_pk_add_f32 v[124:125], v[124:125], v[18:19] neg_lo:[0,1] neg_hi:[0,1]
	s_wait_dscnt 0x0
	v_pk_mul_f32 v[14:15], v[28:29], v[12:13] op_sel:[0,1]
	s_delay_alu instid0(VALU_DEP_1) | instskip(SKIP_1) | instid1(VALU_DEP_1)
	v_pk_fma_f32 v[18:19], v[28:29], v[10:11], v[14:15] op_sel:[0,0,1] op_sel_hi:[1,1,0] neg_lo:[0,0,1] neg_hi:[0,0,1]
	v_pk_fma_f32 v[14:15], v[28:29], v[10:11], v[14:15] op_sel:[0,0,1] op_sel_hi:[1,0,0]
	v_mov_b32_e32 v19, v15
	v_pk_mul_f32 v[14:15], v[30:31], v[12:13] op_sel:[0,1]
	s_delay_alu instid0(VALU_DEP_2) | instskip(NEXT) | instid1(VALU_DEP_2)
	v_pk_add_f32 v[146:147], v[146:147], v[18:19] neg_lo:[0,1] neg_hi:[0,1]
	v_pk_fma_f32 v[18:19], v[30:31], v[10:11], v[14:15] op_sel:[0,0,1] op_sel_hi:[1,1,0] neg_lo:[0,0,1] neg_hi:[0,0,1]
	v_pk_fma_f32 v[14:15], v[30:31], v[10:11], v[14:15] op_sel:[0,0,1] op_sel_hi:[1,0,0]
	ds_load_2addr_b64 v[28:31], v196 offset0:34 offset1:35
	v_mov_b32_e32 v19, v15
	s_delay_alu instid0(VALU_DEP_1) | instskip(SKIP_2) | instid1(VALU_DEP_1)
	v_pk_add_f32 v[142:143], v[142:143], v[18:19] neg_lo:[0,1] neg_hi:[0,1]
	s_wait_dscnt 0x0
	v_dual_mul_f32 v18, v29, v10 :: v_dual_mul_f32 v14, v29, v13
	v_pk_fma_f32 v[18:19], v[28:29], v[58:59], v[18:19] op_sel:[1,0,0] op_sel_hi:[0,1,0]
	s_delay_alu instid0(VALU_DEP_2) | instskip(NEXT) | instid1(VALU_DEP_2)
	v_pk_fma_f32 v[14:15], v[28:29], v[58:59], v[14:15] op_sel_hi:[1,1,0] neg_lo:[0,0,1] neg_hi:[0,0,1]
	v_mov_b32_e32 v15, v19
	s_delay_alu instid0(VALU_DEP_1) | instskip(SKIP_1) | instid1(VALU_DEP_1)
	v_pk_add_f32 v[144:145], v[144:145], v[14:15] neg_lo:[0,1] neg_hi:[0,1]
	v_pk_mul_f32 v[14:15], v[30:31], v[12:13] op_sel:[0,1]
	v_pk_fma_f32 v[18:19], v[30:31], v[10:11], v[14:15] op_sel:[0,0,1] op_sel_hi:[1,1,0] neg_lo:[0,0,1] neg_hi:[0,0,1]
	v_pk_fma_f32 v[14:15], v[30:31], v[10:11], v[14:15] op_sel:[0,0,1] op_sel_hi:[1,0,0]
	ds_load_2addr_b64 v[28:31], v196 offset0:36 offset1:37
	v_mov_b32_e32 v19, v15
	s_delay_alu instid0(VALU_DEP_1) | instskip(SKIP_2) | instid1(VALU_DEP_1)
	v_pk_add_f32 v[140:141], v[140:141], v[18:19] neg_lo:[0,1] neg_hi:[0,1]
	s_wait_dscnt 0x0
	v_pk_mul_f32 v[14:15], v[28:29], v[12:13] op_sel:[0,1]
	v_pk_fma_f32 v[18:19], v[28:29], v[10:11], v[14:15] op_sel:[0,0,1] op_sel_hi:[1,1,0] neg_lo:[0,0,1] neg_hi:[0,0,1]
	v_pk_fma_f32 v[14:15], v[28:29], v[10:11], v[14:15] op_sel:[0,0,1] op_sel_hi:[1,0,0]
	s_delay_alu instid0(VALU_DEP_1) | instskip(SKIP_1) | instid1(VALU_DEP_2)
	v_mov_b32_e32 v19, v15
	v_pk_mul_f32 v[14:15], v[30:31], v[12:13] op_sel:[0,1]
	v_pk_add_f32 v[162:163], v[162:163], v[18:19] neg_lo:[0,1] neg_hi:[0,1]
	s_delay_alu instid0(VALU_DEP_2) | instskip(SKIP_3) | instid1(VALU_DEP_1)
	v_pk_fma_f32 v[18:19], v[30:31], v[10:11], v[14:15] op_sel:[0,0,1] op_sel_hi:[1,1,0] neg_lo:[0,0,1] neg_hi:[0,0,1]
	v_pk_fma_f32 v[14:15], v[30:31], v[10:11], v[14:15] op_sel:[0,0,1] op_sel_hi:[1,0,0]
	ds_load_2addr_b64 v[28:31], v196 offset0:38 offset1:39
	v_mov_b32_e32 v19, v15
	v_pk_add_f32 v[158:159], v[158:159], v[18:19] neg_lo:[0,1] neg_hi:[0,1]
	s_wait_dscnt 0x0
	v_pk_mul_f32 v[14:15], v[28:29], v[12:13] op_sel:[0,1]
	s_delay_alu instid0(VALU_DEP_1) | instskip(SKIP_2) | instid1(VALU_DEP_2)
	v_pk_fma_f32 v[18:19], v[28:29], v[10:11], v[14:15] op_sel:[0,0,1] op_sel_hi:[1,1,0] neg_lo:[0,0,1] neg_hi:[0,0,1]
	v_pk_fma_f32 v[14:15], v[28:29], v[10:11], v[14:15] op_sel:[0,0,1] op_sel_hi:[1,0,0]
	v_dual_mov_b32 v14, v31 :: v_dual_mul_f32 v28, v31, v10
	v_dual_mov_b32 v19, v15 :: v_dual_mov_b32 v15, v30
	s_delay_alu instid0(VALU_DEP_1) | instskip(SKIP_1) | instid1(VALU_DEP_3)
	v_pk_add_f32 v[160:161], v[160:161], v[18:19] neg_lo:[0,1] neg_hi:[0,1]
	v_mul_f32_e32 v18, v31, v13
	v_pk_fma_f32 v[14:15], v[14:15], v[58:59], v[28:29] op_sel_hi:[1,1,0]
	s_delay_alu instid0(VALU_DEP_2) | instskip(SKIP_2) | instid1(VALU_DEP_1)
	v_pk_fma_f32 v[18:19], v[30:31], v[58:59], v[18:19] op_sel_hi:[1,1,0] neg_lo:[0,0,1] neg_hi:[0,0,1]
	ds_load_2addr_b64 v[28:31], v196 offset0:40 offset1:41
	v_mov_b32_e32 v19, v15
	v_pk_add_f32 v[156:157], v[156:157], v[18:19] neg_lo:[0,1] neg_hi:[0,1]
	s_wait_dscnt 0x0
	v_pk_mul_f32 v[14:15], v[28:29], v[12:13] op_sel:[0,1]
	s_delay_alu instid0(VALU_DEP_1) | instskip(SKIP_1) | instid1(VALU_DEP_1)
	v_pk_fma_f32 v[18:19], v[28:29], v[10:11], v[14:15] op_sel:[0,0,1] op_sel_hi:[1,1,0] neg_lo:[0,0,1] neg_hi:[0,0,1]
	v_pk_fma_f32 v[14:15], v[28:29], v[10:11], v[14:15] op_sel:[0,0,1] op_sel_hi:[1,0,0]
	v_mov_b32_e32 v19, v15
	v_pk_mul_f32 v[14:15], v[30:31], v[12:13] op_sel:[0,1]
	s_delay_alu instid0(VALU_DEP_2) | instskip(NEXT) | instid1(VALU_DEP_2)
	v_pk_add_f32 v[178:179], v[178:179], v[18:19] neg_lo:[0,1] neg_hi:[0,1]
	v_pk_fma_f32 v[18:19], v[30:31], v[10:11], v[14:15] op_sel:[0,0,1] op_sel_hi:[1,1,0] neg_lo:[0,0,1] neg_hi:[0,0,1]
	v_pk_fma_f32 v[14:15], v[30:31], v[10:11], v[14:15] op_sel:[0,0,1] op_sel_hi:[1,0,0]
	ds_load_2addr_b64 v[28:31], v196 offset0:42 offset1:43
	v_mov_b32_e32 v19, v15
	s_delay_alu instid0(VALU_DEP_1) | instskip(SKIP_2) | instid1(VALU_DEP_1)
	v_pk_add_f32 v[174:175], v[174:175], v[18:19] neg_lo:[0,1] neg_hi:[0,1]
	s_wait_dscnt 0x0
	v_pk_mul_f32 v[14:15], v[28:29], v[12:13] op_sel:[0,1]
	v_pk_fma_f32 v[18:19], v[28:29], v[10:11], v[14:15] op_sel:[0,0,1] op_sel_hi:[1,1,0] neg_lo:[0,0,1] neg_hi:[0,0,1]
	v_pk_fma_f32 v[14:15], v[28:29], v[10:11], v[14:15] op_sel:[0,0,1] op_sel_hi:[1,0,0]
	s_delay_alu instid0(VALU_DEP_1) | instskip(SKIP_1) | instid1(VALU_DEP_2)
	v_mov_b32_e32 v19, v15
	v_pk_mul_f32 v[14:15], v[30:31], v[12:13] op_sel:[0,1]
	v_pk_add_f32 v[176:177], v[176:177], v[18:19] neg_lo:[0,1] neg_hi:[0,1]
	s_delay_alu instid0(VALU_DEP_2) | instskip(SKIP_3) | instid1(VALU_DEP_1)
	v_pk_fma_f32 v[18:19], v[30:31], v[10:11], v[14:15] op_sel:[0,0,1] op_sel_hi:[1,1,0] neg_lo:[0,0,1] neg_hi:[0,0,1]
	v_pk_fma_f32 v[14:15], v[30:31], v[10:11], v[14:15] op_sel:[0,0,1] op_sel_hi:[1,0,0]
	ds_load_2addr_b64 v[28:31], v196 offset0:44 offset1:45
	v_mov_b32_e32 v19, v15
	v_pk_add_f32 v[172:173], v[172:173], v[18:19] neg_lo:[0,1] neg_hi:[0,1]
	s_wait_dscnt 0x0
	v_dual_mul_f32 v18, v29, v10 :: v_dual_mul_f32 v14, v29, v13
	s_delay_alu instid0(VALU_DEP_1) | instskip(NEXT) | instid1(VALU_DEP_2)
	v_pk_fma_f32 v[18:19], v[28:29], v[58:59], v[18:19] op_sel:[1,0,0] op_sel_hi:[0,1,0]
	v_pk_fma_f32 v[14:15], v[28:29], v[58:59], v[14:15] op_sel_hi:[1,1,0] neg_lo:[0,0,1] neg_hi:[0,0,1]
	s_delay_alu instid0(VALU_DEP_2) | instskip(NEXT) | instid1(VALU_DEP_1)
	v_mov_b32_e32 v15, v19
	v_pk_add_f32 v[194:195], v[194:195], v[14:15] neg_lo:[0,1] neg_hi:[0,1]
	v_pk_mul_f32 v[14:15], v[30:31], v[12:13] op_sel:[0,1]
	s_delay_alu instid0(VALU_DEP_1) | instskip(SKIP_3) | instid1(VALU_DEP_1)
	v_pk_fma_f32 v[18:19], v[30:31], v[10:11], v[14:15] op_sel:[0,0,1] op_sel_hi:[1,1,0] neg_lo:[0,0,1] neg_hi:[0,0,1]
	v_pk_fma_f32 v[14:15], v[30:31], v[10:11], v[14:15] op_sel:[0,0,1] op_sel_hi:[1,0,0]
	ds_load_2addr_b64 v[28:31], v196 offset0:46 offset1:47
	v_mov_b32_e32 v19, v15
	v_pk_add_f32 v[190:191], v[190:191], v[18:19] neg_lo:[0,1] neg_hi:[0,1]
	s_wait_dscnt 0x0
	v_pk_mul_f32 v[14:15], v[28:29], v[12:13] op_sel:[0,1]
	s_delay_alu instid0(VALU_DEP_1) | instskip(SKIP_1) | instid1(VALU_DEP_1)
	v_pk_fma_f32 v[18:19], v[28:29], v[10:11], v[14:15] op_sel:[0,0,1] op_sel_hi:[1,1,0] neg_lo:[0,0,1] neg_hi:[0,0,1]
	v_pk_fma_f32 v[14:15], v[28:29], v[10:11], v[14:15] op_sel:[0,0,1] op_sel_hi:[1,0,0]
	v_mov_b32_e32 v19, v15
	v_pk_mul_f32 v[14:15], v[30:31], v[12:13] op_sel:[0,1]
	s_delay_alu instid0(VALU_DEP_2) | instskip(NEXT) | instid1(VALU_DEP_2)
	v_pk_add_f32 v[192:193], v[192:193], v[18:19] neg_lo:[0,1] neg_hi:[0,1]
	v_pk_fma_f32 v[18:19], v[30:31], v[10:11], v[14:15] op_sel:[0,0,1] op_sel_hi:[1,1,0] neg_lo:[0,0,1] neg_hi:[0,0,1]
	v_pk_fma_f32 v[14:15], v[30:31], v[10:11], v[14:15] op_sel:[0,0,1] op_sel_hi:[1,0,0]
	ds_load_2addr_b64 v[28:31], v196 offset0:48 offset1:49
	v_mov_b32_e32 v19, v15
	s_delay_alu instid0(VALU_DEP_1) | instskip(SKIP_2) | instid1(VALU_DEP_1)
	v_pk_add_f32 v[188:189], v[188:189], v[18:19] neg_lo:[0,1] neg_hi:[0,1]
	s_wait_dscnt 0x0
	v_pk_mul_f32 v[14:15], v[28:29], v[12:13] op_sel:[0,1]
	v_pk_fma_f32 v[18:19], v[28:29], v[10:11], v[14:15] op_sel:[0,0,1] op_sel_hi:[1,1,0] neg_lo:[0,0,1] neg_hi:[0,0,1]
	v_pk_fma_f32 v[14:15], v[28:29], v[10:11], v[14:15] op_sel:[0,0,1] op_sel_hi:[1,0,0]
	v_dual_mov_b32 v14, v31 :: v_dual_mul_f32 v28, v31, v10
	s_delay_alu instid0(VALU_DEP_2) | instskip(NEXT) | instid1(VALU_DEP_1)
	v_dual_mov_b32 v19, v15 :: v_dual_mov_b32 v15, v30
	v_pk_add_f32 v[212:213], v[212:213], v[18:19] neg_lo:[0,1] neg_hi:[0,1]
	v_mul_f32_e32 v18, v31, v13
	s_delay_alu instid0(VALU_DEP_3) | instskip(NEXT) | instid1(VALU_DEP_2)
	v_pk_fma_f32 v[14:15], v[14:15], v[58:59], v[28:29] op_sel_hi:[1,1,0]
	v_pk_fma_f32 v[18:19], v[30:31], v[58:59], v[18:19] op_sel_hi:[1,1,0] neg_lo:[0,0,1] neg_hi:[0,0,1]
	ds_load_2addr_b64 v[28:31], v196 offset0:50 offset1:51
	v_mov_b32_e32 v19, v15
	s_delay_alu instid0(VALU_DEP_1) | instskip(SKIP_2) | instid1(VALU_DEP_1)
	v_pk_add_f32 v[208:209], v[208:209], v[18:19] neg_lo:[0,1] neg_hi:[0,1]
	s_wait_dscnt 0x0
	v_pk_mul_f32 v[14:15], v[28:29], v[12:13] op_sel:[0,1]
	v_pk_fma_f32 v[18:19], v[28:29], v[10:11], v[14:15] op_sel:[0,0,1] op_sel_hi:[1,1,0] neg_lo:[0,0,1] neg_hi:[0,0,1]
	v_pk_fma_f32 v[14:15], v[28:29], v[10:11], v[14:15] op_sel:[0,0,1] op_sel_hi:[1,0,0]
	s_delay_alu instid0(VALU_DEP_1) | instskip(SKIP_1) | instid1(VALU_DEP_2)
	v_mov_b32_e32 v19, v15
	v_pk_mul_f32 v[14:15], v[30:31], v[12:13] op_sel:[0,1]
	v_pk_add_f32 v[210:211], v[210:211], v[18:19] neg_lo:[0,1] neg_hi:[0,1]
	s_delay_alu instid0(VALU_DEP_2) | instskip(SKIP_3) | instid1(VALU_DEP_1)
	v_pk_fma_f32 v[18:19], v[30:31], v[10:11], v[14:15] op_sel:[0,0,1] op_sel_hi:[1,1,0] neg_lo:[0,0,1] neg_hi:[0,0,1]
	v_pk_fma_f32 v[14:15], v[30:31], v[10:11], v[14:15] op_sel:[0,0,1] op_sel_hi:[1,0,0]
	ds_load_2addr_b64 v[28:31], v196 offset0:52 offset1:53
	v_mov_b32_e32 v19, v15
	v_pk_add_f32 v[206:207], v[206:207], v[18:19] neg_lo:[0,1] neg_hi:[0,1]
	s_wait_dscnt 0x0
	v_pk_mul_f32 v[14:15], v[28:29], v[12:13] op_sel:[0,1]
	s_delay_alu instid0(VALU_DEP_1) | instskip(SKIP_1) | instid1(VALU_DEP_1)
	v_pk_fma_f32 v[18:19], v[28:29], v[10:11], v[14:15] op_sel:[0,0,1] op_sel_hi:[1,1,0] neg_lo:[0,0,1] neg_hi:[0,0,1]
	v_pk_fma_f32 v[14:15], v[28:29], v[10:11], v[14:15] op_sel:[0,0,1] op_sel_hi:[1,0,0]
	v_mov_b32_e32 v19, v15
	v_pk_mul_f32 v[14:15], v[30:31], v[12:13] op_sel:[0,1]
	s_delay_alu instid0(VALU_DEP_2) | instskip(NEXT) | instid1(VALU_DEP_2)
	v_pk_add_f32 v[228:229], v[228:229], v[18:19] neg_lo:[0,1] neg_hi:[0,1]
	v_pk_fma_f32 v[18:19], v[30:31], v[10:11], v[14:15] op_sel:[0,0,1] op_sel_hi:[1,1,0] neg_lo:[0,0,1] neg_hi:[0,0,1]
	v_pk_fma_f32 v[14:15], v[30:31], v[10:11], v[14:15] op_sel:[0,0,1] op_sel_hi:[1,0,0]
	ds_load_2addr_b64 v[28:31], v196 offset0:54 offset1:55
	v_mov_b32_e32 v19, v15
	s_delay_alu instid0(VALU_DEP_1) | instskip(SKIP_2) | instid1(VALU_DEP_1)
	v_pk_add_f32 v[224:225], v[224:225], v[18:19] neg_lo:[0,1] neg_hi:[0,1]
	s_wait_dscnt 0x0
	v_dual_mul_f32 v18, v29, v10 :: v_dual_mul_f32 v14, v29, v13
	v_pk_fma_f32 v[18:19], v[28:29], v[58:59], v[18:19] op_sel:[1,0,0] op_sel_hi:[0,1,0]
	s_delay_alu instid0(VALU_DEP_2) | instskip(NEXT) | instid1(VALU_DEP_2)
	v_pk_fma_f32 v[14:15], v[28:29], v[58:59], v[14:15] op_sel_hi:[1,1,0] neg_lo:[0,0,1] neg_hi:[0,0,1]
	v_mov_b32_e32 v15, v19
	s_delay_alu instid0(VALU_DEP_1) | instskip(SKIP_1) | instid1(VALU_DEP_1)
	v_pk_add_f32 v[226:227], v[226:227], v[14:15] neg_lo:[0,1] neg_hi:[0,1]
	v_pk_mul_f32 v[14:15], v[30:31], v[12:13] op_sel:[0,1]
	v_pk_fma_f32 v[18:19], v[30:31], v[10:11], v[14:15] op_sel:[0,0,1] op_sel_hi:[1,1,0] neg_lo:[0,0,1] neg_hi:[0,0,1]
	v_pk_fma_f32 v[14:15], v[30:31], v[10:11], v[14:15] op_sel:[0,0,1] op_sel_hi:[1,0,0]
	ds_load_2addr_b64 v[28:31], v196 offset0:56 offset1:57
	v_mov_b32_e32 v19, v15
	s_delay_alu instid0(VALU_DEP_1) | instskip(SKIP_3) | instid1(VALU_DEP_2)
	v_pk_add_f32 v[222:223], v[222:223], v[18:19] neg_lo:[0,1] neg_hi:[0,1]
	s_wait_dscnt 0x0
	v_pk_mul_f32 v[14:15], v[28:29], v[12:13] op_sel:[0,1]
	v_mul_f32_e32 v12, v31, v13
	v_pk_fma_f32 v[18:19], v[28:29], v[10:11], v[14:15] op_sel:[0,0,1] op_sel_hi:[1,1,0] neg_lo:[0,0,1] neg_hi:[0,0,1]
	v_pk_fma_f32 v[14:15], v[28:29], v[10:11], v[14:15] op_sel:[0,0,1] op_sel_hi:[1,0,0]
	v_dual_mov_b32 v14, v31 :: v_dual_mul_f32 v10, v31, v10
	s_delay_alu instid0(VALU_DEP_4) | instskip(NEXT) | instid1(VALU_DEP_3)
	v_pk_fma_f32 v[12:13], v[30:31], v[58:59], v[12:13] op_sel_hi:[1,1,0] neg_lo:[0,0,1] neg_hi:[0,0,1]
	v_dual_mov_b32 v19, v15 :: v_dual_mov_b32 v15, v30
	s_delay_alu instid0(VALU_DEP_1) | instskip(NEXT) | instid1(VALU_DEP_2)
	v_pk_add_f32 v[230:231], v[230:231], v[18:19] neg_lo:[0,1] neg_hi:[0,1]
	v_pk_fma_f32 v[10:11], v[14:15], v[58:59], v[10:11] op_sel_hi:[1,1,0]
	s_delay_alu instid0(VALU_DEP_1) | instskip(NEXT) | instid1(VALU_DEP_1)
	v_mov_b32_e32 v13, v11
	v_pk_add_f32 v[232:233], v[232:233], v[12:13] neg_lo:[0,1] neg_hi:[0,1]
.LBB115_145:
	s_or_b32 exec_lo, exec_lo, s1
	s_delay_alu instid0(SALU_CYCLE_1)
	s_mov_b32 s2, exec_lo
	s_wait_dscnt 0x0
	s_barrier_signal -1
	s_barrier_wait -1
	v_cmpx_eq_u32_e32 16, v186
	s_cbranch_execz .LBB115_152
; %bb.146:
	ds_store_b64 v187, v[82:83]
	ds_store_2addr_b64 v196, v[78:79], v[80:81] offset0:17 offset1:18
	ds_store_2addr_b64 v196, v[76:77], v[98:99] offset0:19 offset1:20
	;; [unrolled: 1-line block ×20, first 2 shown]
	ds_store_b64 v196, v[232:233] offset:456
	ds_load_b64 v[10:11], v187
	s_wait_dscnt 0x0
	v_cmp_neq_f32_e32 vcc_lo, 0, v10
	v_cmp_neq_f32_e64 s1, 0, v11
	s_or_b32 s1, vcc_lo, s1
	s_delay_alu instid0(SALU_CYCLE_1)
	s_and_b32 exec_lo, exec_lo, s1
	s_cbranch_execz .LBB115_152
; %bb.147:
	v_cmp_ngt_f32_e64 s1, |v10|, |v11|
                                        ; implicit-def: $vgpr12_vgpr13
	s_and_saveexec_b32 s4, s1
	s_delay_alu instid0(SALU_CYCLE_1)
	s_xor_b32 s1, exec_lo, s4
	s_cbranch_execz .LBB115_149
; %bb.148:
	v_div_scale_f32 v12, null, v11, v11, v10
	v_div_scale_f32 v15, vcc_lo, v10, v11, v10
	s_delay_alu instid0(VALU_DEP_2) | instskip(SKIP_1) | instid1(TRANS32_DEP_1)
	v_rcp_f32_e32 v13, v12
	v_nop
	v_fma_f32 v14, -v12, v13, 1.0
	s_delay_alu instid0(VALU_DEP_1) | instskip(NEXT) | instid1(VALU_DEP_1)
	v_fmac_f32_e32 v13, v14, v13
	v_mul_f32_e32 v14, v15, v13
	s_delay_alu instid0(VALU_DEP_1) | instskip(NEXT) | instid1(VALU_DEP_1)
	v_fma_f32 v18, -v12, v14, v15
	v_fmac_f32_e32 v14, v18, v13
	s_delay_alu instid0(VALU_DEP_1) | instskip(NEXT) | instid1(VALU_DEP_1)
	v_fma_f32 v12, -v12, v14, v15
	v_div_fmas_f32 v12, v12, v13, v14
	s_delay_alu instid0(VALU_DEP_1) | instskip(NEXT) | instid1(VALU_DEP_1)
	v_div_fixup_f32 v12, v12, v11, v10
	v_fmac_f32_e32 v11, v10, v12
	s_delay_alu instid0(VALU_DEP_1) | instskip(SKIP_1) | instid1(VALU_DEP_2)
	v_div_scale_f32 v10, null, v11, v11, 1.0
	v_div_scale_f32 v15, vcc_lo, 1.0, v11, 1.0
	v_rcp_f32_e32 v13, v10
	v_nop
	s_delay_alu instid0(TRANS32_DEP_1) | instskip(NEXT) | instid1(VALU_DEP_1)
	v_fma_f32 v14, -v10, v13, 1.0
	v_fmac_f32_e32 v13, v14, v13
	s_delay_alu instid0(VALU_DEP_1) | instskip(NEXT) | instid1(VALU_DEP_1)
	v_mul_f32_e32 v14, v15, v13
	v_fma_f32 v18, -v10, v14, v15
	s_delay_alu instid0(VALU_DEP_1) | instskip(NEXT) | instid1(VALU_DEP_1)
	v_fmac_f32_e32 v14, v18, v13
	v_fma_f32 v10, -v10, v14, v15
	s_delay_alu instid0(VALU_DEP_1) | instskip(NEXT) | instid1(VALU_DEP_1)
	v_div_fmas_f32 v10, v10, v13, v14
	v_div_fixup_f32 v10, v10, v11, 1.0
	s_delay_alu instid0(VALU_DEP_1)
	v_mul_f32_e32 v12, v12, v10
	v_xor_b32_e32 v13, 0x80000000, v10
                                        ; implicit-def: $vgpr10_vgpr11
.LBB115_149:
	s_and_not1_saveexec_b32 s1, s1
	s_cbranch_execz .LBB115_151
; %bb.150:
	v_div_scale_f32 v12, null, v10, v10, v11
	v_div_scale_f32 v15, vcc_lo, v11, v10, v11
	s_delay_alu instid0(VALU_DEP_2) | instskip(SKIP_1) | instid1(TRANS32_DEP_1)
	v_rcp_f32_e32 v13, v12
	v_nop
	v_fma_f32 v14, -v12, v13, 1.0
	s_delay_alu instid0(VALU_DEP_1) | instskip(NEXT) | instid1(VALU_DEP_1)
	v_fmac_f32_e32 v13, v14, v13
	v_mul_f32_e32 v14, v15, v13
	s_delay_alu instid0(VALU_DEP_1) | instskip(NEXT) | instid1(VALU_DEP_1)
	v_fma_f32 v18, -v12, v14, v15
	v_fmac_f32_e32 v14, v18, v13
	s_delay_alu instid0(VALU_DEP_1) | instskip(NEXT) | instid1(VALU_DEP_1)
	v_fma_f32 v12, -v12, v14, v15
	v_div_fmas_f32 v12, v12, v13, v14
	s_delay_alu instid0(VALU_DEP_1) | instskip(NEXT) | instid1(VALU_DEP_1)
	v_div_fixup_f32 v13, v12, v10, v11
	v_fmac_f32_e32 v10, v11, v13
	s_delay_alu instid0(VALU_DEP_1) | instskip(NEXT) | instid1(VALU_DEP_1)
	v_div_scale_f32 v11, null, v10, v10, 1.0
	v_rcp_f32_e32 v12, v11
	v_nop
	s_delay_alu instid0(TRANS32_DEP_1) | instskip(NEXT) | instid1(VALU_DEP_1)
	v_fma_f32 v14, -v11, v12, 1.0
	v_fmac_f32_e32 v12, v14, v12
	v_div_scale_f32 v14, vcc_lo, 1.0, v10, 1.0
	s_delay_alu instid0(VALU_DEP_1) | instskip(NEXT) | instid1(VALU_DEP_1)
	v_mul_f32_e32 v15, v14, v12
	v_fma_f32 v18, -v11, v15, v14
	s_delay_alu instid0(VALU_DEP_1) | instskip(NEXT) | instid1(VALU_DEP_1)
	v_fmac_f32_e32 v15, v18, v12
	v_fma_f32 v11, -v11, v15, v14
	s_delay_alu instid0(VALU_DEP_1) | instskip(NEXT) | instid1(VALU_DEP_1)
	v_div_fmas_f32 v11, v11, v12, v15
	v_div_fixup_f32 v12, v11, v10, 1.0
	s_delay_alu instid0(VALU_DEP_1)
	v_mul_f32_e64 v13, v13, -v12
.LBB115_151:
	s_or_b32 exec_lo, exec_lo, s1
	ds_store_b64 v187, v[12:13]
.LBB115_152:
	s_or_b32 exec_lo, exec_lo, s2
	s_wait_dscnt 0x0
	s_barrier_signal -1
	s_barrier_wait -1
	ds_load_b64 v[10:11], v187
	s_mov_b32 s1, exec_lo
	v_cmpx_lt_u32_e32 16, v186
	s_cbranch_execz .LBB115_154
; %bb.153:
	ds_load_2addr_b64 v[28:31], v196 offset0:17 offset1:18
	s_wait_dscnt 0x1
	v_pk_mul_f32 v[14:15], v[10:11], v[82:83] op_sel:[1,1] op_sel_hi:[0,1]
	s_delay_alu instid0(VALU_DEP_1) | instskip(SKIP_1) | instid1(VALU_DEP_1)
	v_pk_fma_f32 v[12:13], v[10:11], v[82:83], v[14:15] op_sel_hi:[1,0,1] neg_lo:[0,0,1] neg_hi:[0,0,1]
	v_pk_fma_f32 v[14:15], v[10:11], v[82:83], v[14:15] op_sel_hi:[1,0,1]
	v_dual_mov_b32 v82, v12 :: v_dual_mov_b32 v83, v15
	s_wait_dscnt 0x0
	s_delay_alu instid0(VALU_DEP_2) | instskip(NEXT) | instid1(VALU_DEP_1)
	v_pk_mul_f32 v[18:19], v[28:29], v[14:15] op_sel:[0,1]
	v_pk_fma_f32 v[32:33], v[28:29], v[12:13], v[18:19] op_sel:[0,0,1] op_sel_hi:[1,1,0] neg_lo:[0,0,1] neg_hi:[0,0,1]
	v_pk_fma_f32 v[18:19], v[28:29], v[12:13], v[18:19] op_sel:[0,0,1] op_sel_hi:[1,0,0]
	s_delay_alu instid0(VALU_DEP_1) | instskip(SKIP_1) | instid1(VALU_DEP_1)
	v_mov_b32_e32 v33, v19
	v_pk_mul_f32 v[18:19], v[30:31], v[14:15] op_sel:[0,1]
	v_pk_fma_f32 v[28:29], v[30:31], v[12:13], v[18:19] op_sel:[0,0,1] op_sel_hi:[1,1,0] neg_lo:[0,0,1] neg_hi:[0,0,1]
	v_pk_fma_f32 v[18:19], v[30:31], v[12:13], v[18:19] op_sel:[0,0,1] op_sel_hi:[1,0,0]
	s_delay_alu instid0(VALU_DEP_1) | instskip(SKIP_1) | instid1(VALU_DEP_2)
	v_mov_b32_e32 v29, v19
	v_pk_add_f32 v[78:79], v[78:79], v[32:33] neg_lo:[0,1] neg_hi:[0,1]
	v_pk_add_f32 v[80:81], v[80:81], v[28:29] neg_lo:[0,1] neg_hi:[0,1]
	ds_load_2addr_b64 v[28:31], v196 offset0:19 offset1:20
	s_wait_dscnt 0x0
	v_pk_mul_f32 v[18:19], v[28:29], v[14:15] op_sel:[0,1]
	s_delay_alu instid0(VALU_DEP_1) | instskip(SKIP_2) | instid1(VALU_DEP_2)
	v_pk_fma_f32 v[32:33], v[28:29], v[12:13], v[18:19] op_sel:[0,0,1] op_sel_hi:[1,1,0] neg_lo:[0,0,1] neg_hi:[0,0,1]
	v_pk_fma_f32 v[18:19], v[28:29], v[12:13], v[18:19] op_sel:[0,0,1] op_sel_hi:[1,0,0]
	v_dual_mul_f32 v28, v31, v15 :: v_dual_mov_b32 v18, v31
	v_dual_mov_b32 v33, v19 :: v_dual_mov_b32 v19, v30
	s_delay_alu instid0(VALU_DEP_2) | instskip(SKIP_1) | instid1(VALU_DEP_3)
	v_pk_fma_f32 v[28:29], v[30:31], v[82:83], v[28:29] op_sel_hi:[1,1,0] neg_lo:[0,0,1] neg_hi:[0,0,1]
	v_mul_f32_e32 v30, v31, v12
	v_pk_add_f32 v[76:77], v[76:77], v[32:33] neg_lo:[0,1] neg_hi:[0,1]
	s_delay_alu instid0(VALU_DEP_2) | instskip(NEXT) | instid1(VALU_DEP_1)
	v_pk_fma_f32 v[18:19], v[18:19], v[82:83], v[30:31] op_sel_hi:[1,1,0]
	v_mov_b32_e32 v29, v19
	s_delay_alu instid0(VALU_DEP_1) | instskip(SKIP_3) | instid1(VALU_DEP_1)
	v_pk_add_f32 v[98:99], v[98:99], v[28:29] neg_lo:[0,1] neg_hi:[0,1]
	ds_load_2addr_b64 v[28:31], v196 offset0:21 offset1:22
	s_wait_dscnt 0x0
	v_pk_mul_f32 v[18:19], v[28:29], v[14:15] op_sel:[0,1]
	v_pk_fma_f32 v[32:33], v[28:29], v[12:13], v[18:19] op_sel:[0,0,1] op_sel_hi:[1,1,0] neg_lo:[0,0,1] neg_hi:[0,0,1]
	v_pk_fma_f32 v[18:19], v[28:29], v[12:13], v[18:19] op_sel:[0,0,1] op_sel_hi:[1,0,0]
	s_delay_alu instid0(VALU_DEP_1) | instskip(SKIP_1) | instid1(VALU_DEP_2)
	v_mov_b32_e32 v33, v19
	v_pk_mul_f32 v[18:19], v[30:31], v[14:15] op_sel:[0,1]
	v_pk_add_f32 v[94:95], v[94:95], v[32:33] neg_lo:[0,1] neg_hi:[0,1]
	s_delay_alu instid0(VALU_DEP_2) | instskip(SKIP_1) | instid1(VALU_DEP_1)
	v_pk_fma_f32 v[28:29], v[30:31], v[12:13], v[18:19] op_sel:[0,0,1] op_sel_hi:[1,1,0] neg_lo:[0,0,1] neg_hi:[0,0,1]
	v_pk_fma_f32 v[18:19], v[30:31], v[12:13], v[18:19] op_sel:[0,0,1] op_sel_hi:[1,0,0]
	v_mov_b32_e32 v29, v19
	s_delay_alu instid0(VALU_DEP_1) | instskip(SKIP_3) | instid1(VALU_DEP_1)
	v_pk_add_f32 v[96:97], v[96:97], v[28:29] neg_lo:[0,1] neg_hi:[0,1]
	ds_load_2addr_b64 v[28:31], v196 offset0:23 offset1:24
	s_wait_dscnt 0x0
	v_pk_mul_f32 v[18:19], v[28:29], v[14:15] op_sel:[0,1]
	v_pk_fma_f32 v[32:33], v[28:29], v[12:13], v[18:19] op_sel:[0,0,1] op_sel_hi:[1,1,0] neg_lo:[0,0,1] neg_hi:[0,0,1]
	v_pk_fma_f32 v[18:19], v[28:29], v[12:13], v[18:19] op_sel:[0,0,1] op_sel_hi:[1,0,0]
	s_delay_alu instid0(VALU_DEP_1) | instskip(SKIP_1) | instid1(VALU_DEP_2)
	v_mov_b32_e32 v33, v19
	v_pk_mul_f32 v[18:19], v[30:31], v[14:15] op_sel:[0,1]
	v_pk_add_f32 v[92:93], v[92:93], v[32:33] neg_lo:[0,1] neg_hi:[0,1]
	s_delay_alu instid0(VALU_DEP_2) | instskip(SKIP_1) | instid1(VALU_DEP_1)
	v_pk_fma_f32 v[28:29], v[30:31], v[12:13], v[18:19] op_sel:[0,0,1] op_sel_hi:[1,1,0] neg_lo:[0,0,1] neg_hi:[0,0,1]
	v_pk_fma_f32 v[18:19], v[30:31], v[12:13], v[18:19] op_sel:[0,0,1] op_sel_hi:[1,0,0]
	v_mov_b32_e32 v29, v19
	s_delay_alu instid0(VALU_DEP_1) | instskip(SKIP_3) | instid1(VALU_DEP_1)
	v_pk_add_f32 v[114:115], v[114:115], v[28:29] neg_lo:[0,1] neg_hi:[0,1]
	ds_load_2addr_b64 v[28:31], v196 offset0:25 offset1:26
	s_wait_dscnt 0x0
	v_dual_mul_f32 v18, v29, v15 :: v_dual_mul_f32 v32, v29, v12
	v_pk_fma_f32 v[18:19], v[28:29], v[82:83], v[18:19] op_sel_hi:[1,1,0] neg_lo:[0,0,1] neg_hi:[0,0,1]
	s_delay_alu instid0(VALU_DEP_2) | instskip(NEXT) | instid1(VALU_DEP_1)
	v_pk_fma_f32 v[28:29], v[28:29], v[82:83], v[32:33] op_sel:[1,0,0] op_sel_hi:[0,1,0]
	v_mov_b32_e32 v19, v29
	s_delay_alu instid0(VALU_DEP_1) | instskip(SKIP_1) | instid1(VALU_DEP_1)
	v_pk_add_f32 v[110:111], v[110:111], v[18:19] neg_lo:[0,1] neg_hi:[0,1]
	v_pk_mul_f32 v[18:19], v[30:31], v[14:15] op_sel:[0,1]
	v_pk_fma_f32 v[28:29], v[30:31], v[12:13], v[18:19] op_sel:[0,0,1] op_sel_hi:[1,1,0] neg_lo:[0,0,1] neg_hi:[0,0,1]
	v_pk_fma_f32 v[18:19], v[30:31], v[12:13], v[18:19] op_sel:[0,0,1] op_sel_hi:[1,0,0]
	s_delay_alu instid0(VALU_DEP_1) | instskip(NEXT) | instid1(VALU_DEP_1)
	v_mov_b32_e32 v29, v19
	v_pk_add_f32 v[112:113], v[112:113], v[28:29] neg_lo:[0,1] neg_hi:[0,1]
	ds_load_2addr_b64 v[28:31], v196 offset0:27 offset1:28
	s_wait_dscnt 0x0
	v_pk_mul_f32 v[18:19], v[28:29], v[14:15] op_sel:[0,1]
	s_delay_alu instid0(VALU_DEP_1) | instskip(SKIP_1) | instid1(VALU_DEP_1)
	v_pk_fma_f32 v[32:33], v[28:29], v[12:13], v[18:19] op_sel:[0,0,1] op_sel_hi:[1,1,0] neg_lo:[0,0,1] neg_hi:[0,0,1]
	v_pk_fma_f32 v[18:19], v[28:29], v[12:13], v[18:19] op_sel:[0,0,1] op_sel_hi:[1,0,0]
	v_mov_b32_e32 v33, v19
	v_pk_mul_f32 v[18:19], v[30:31], v[14:15] op_sel:[0,1]
	s_delay_alu instid0(VALU_DEP_2) | instskip(NEXT) | instid1(VALU_DEP_2)
	v_pk_add_f32 v[108:109], v[108:109], v[32:33] neg_lo:[0,1] neg_hi:[0,1]
	v_pk_fma_f32 v[28:29], v[30:31], v[12:13], v[18:19] op_sel:[0,0,1] op_sel_hi:[1,1,0] neg_lo:[0,0,1] neg_hi:[0,0,1]
	v_pk_fma_f32 v[18:19], v[30:31], v[12:13], v[18:19] op_sel:[0,0,1] op_sel_hi:[1,0,0]
	s_delay_alu instid0(VALU_DEP_1) | instskip(NEXT) | instid1(VALU_DEP_1)
	v_mov_b32_e32 v29, v19
	v_pk_add_f32 v[130:131], v[130:131], v[28:29] neg_lo:[0,1] neg_hi:[0,1]
	ds_load_2addr_b64 v[28:31], v196 offset0:29 offset1:30
	s_wait_dscnt 0x0
	v_pk_mul_f32 v[18:19], v[28:29], v[14:15] op_sel:[0,1]
	s_delay_alu instid0(VALU_DEP_1) | instskip(SKIP_2) | instid1(VALU_DEP_2)
	v_pk_fma_f32 v[32:33], v[28:29], v[12:13], v[18:19] op_sel:[0,0,1] op_sel_hi:[1,1,0] neg_lo:[0,0,1] neg_hi:[0,0,1]
	v_pk_fma_f32 v[18:19], v[28:29], v[12:13], v[18:19] op_sel:[0,0,1] op_sel_hi:[1,0,0]
	v_dual_mul_f32 v28, v31, v15 :: v_dual_mov_b32 v18, v31
	v_dual_mov_b32 v33, v19 :: v_dual_mov_b32 v19, v30
	s_delay_alu instid0(VALU_DEP_2) | instskip(SKIP_1) | instid1(VALU_DEP_3)
	v_pk_fma_f32 v[28:29], v[30:31], v[82:83], v[28:29] op_sel_hi:[1,1,0] neg_lo:[0,0,1] neg_hi:[0,0,1]
	v_mul_f32_e32 v30, v31, v12
	v_pk_add_f32 v[126:127], v[126:127], v[32:33] neg_lo:[0,1] neg_hi:[0,1]
	s_delay_alu instid0(VALU_DEP_2) | instskip(NEXT) | instid1(VALU_DEP_1)
	v_pk_fma_f32 v[18:19], v[18:19], v[82:83], v[30:31] op_sel_hi:[1,1,0]
	v_mov_b32_e32 v29, v19
	s_delay_alu instid0(VALU_DEP_1) | instskip(SKIP_3) | instid1(VALU_DEP_1)
	v_pk_add_f32 v[128:129], v[128:129], v[28:29] neg_lo:[0,1] neg_hi:[0,1]
	ds_load_2addr_b64 v[28:31], v196 offset0:31 offset1:32
	s_wait_dscnt 0x0
	v_pk_mul_f32 v[18:19], v[28:29], v[14:15] op_sel:[0,1]
	v_pk_fma_f32 v[32:33], v[28:29], v[12:13], v[18:19] op_sel:[0,0,1] op_sel_hi:[1,1,0] neg_lo:[0,0,1] neg_hi:[0,0,1]
	v_pk_fma_f32 v[18:19], v[28:29], v[12:13], v[18:19] op_sel:[0,0,1] op_sel_hi:[1,0,0]
	s_delay_alu instid0(VALU_DEP_1) | instskip(SKIP_1) | instid1(VALU_DEP_2)
	v_mov_b32_e32 v33, v19
	v_pk_mul_f32 v[18:19], v[30:31], v[14:15] op_sel:[0,1]
	v_pk_add_f32 v[124:125], v[124:125], v[32:33] neg_lo:[0,1] neg_hi:[0,1]
	s_delay_alu instid0(VALU_DEP_2) | instskip(SKIP_1) | instid1(VALU_DEP_1)
	v_pk_fma_f32 v[28:29], v[30:31], v[12:13], v[18:19] op_sel:[0,0,1] op_sel_hi:[1,1,0] neg_lo:[0,0,1] neg_hi:[0,0,1]
	v_pk_fma_f32 v[18:19], v[30:31], v[12:13], v[18:19] op_sel:[0,0,1] op_sel_hi:[1,0,0]
	v_mov_b32_e32 v29, v19
	s_delay_alu instid0(VALU_DEP_1) | instskip(SKIP_3) | instid1(VALU_DEP_1)
	v_pk_add_f32 v[146:147], v[146:147], v[28:29] neg_lo:[0,1] neg_hi:[0,1]
	ds_load_2addr_b64 v[28:31], v196 offset0:33 offset1:34
	s_wait_dscnt 0x0
	v_pk_mul_f32 v[18:19], v[28:29], v[14:15] op_sel:[0,1]
	v_pk_fma_f32 v[32:33], v[28:29], v[12:13], v[18:19] op_sel:[0,0,1] op_sel_hi:[1,1,0] neg_lo:[0,0,1] neg_hi:[0,0,1]
	v_pk_fma_f32 v[18:19], v[28:29], v[12:13], v[18:19] op_sel:[0,0,1] op_sel_hi:[1,0,0]
	s_delay_alu instid0(VALU_DEP_1) | instskip(SKIP_1) | instid1(VALU_DEP_2)
	v_mov_b32_e32 v33, v19
	v_pk_mul_f32 v[18:19], v[30:31], v[14:15] op_sel:[0,1]
	v_pk_add_f32 v[142:143], v[142:143], v[32:33] neg_lo:[0,1] neg_hi:[0,1]
	s_delay_alu instid0(VALU_DEP_2) | instskip(SKIP_1) | instid1(VALU_DEP_1)
	v_pk_fma_f32 v[28:29], v[30:31], v[12:13], v[18:19] op_sel:[0,0,1] op_sel_hi:[1,1,0] neg_lo:[0,0,1] neg_hi:[0,0,1]
	v_pk_fma_f32 v[18:19], v[30:31], v[12:13], v[18:19] op_sel:[0,0,1] op_sel_hi:[1,0,0]
	v_mov_b32_e32 v29, v19
	s_delay_alu instid0(VALU_DEP_1) | instskip(SKIP_3) | instid1(VALU_DEP_1)
	v_pk_add_f32 v[144:145], v[144:145], v[28:29] neg_lo:[0,1] neg_hi:[0,1]
	ds_load_2addr_b64 v[28:31], v196 offset0:35 offset1:36
	s_wait_dscnt 0x0
	v_dual_mul_f32 v18, v29, v15 :: v_dual_mul_f32 v32, v29, v12
	v_pk_fma_f32 v[18:19], v[28:29], v[82:83], v[18:19] op_sel_hi:[1,1,0] neg_lo:[0,0,1] neg_hi:[0,0,1]
	s_delay_alu instid0(VALU_DEP_2) | instskip(NEXT) | instid1(VALU_DEP_1)
	v_pk_fma_f32 v[28:29], v[28:29], v[82:83], v[32:33] op_sel:[1,0,0] op_sel_hi:[0,1,0]
	v_mov_b32_e32 v19, v29
	s_delay_alu instid0(VALU_DEP_1) | instskip(SKIP_1) | instid1(VALU_DEP_1)
	v_pk_add_f32 v[140:141], v[140:141], v[18:19] neg_lo:[0,1] neg_hi:[0,1]
	v_pk_mul_f32 v[18:19], v[30:31], v[14:15] op_sel:[0,1]
	v_pk_fma_f32 v[28:29], v[30:31], v[12:13], v[18:19] op_sel:[0,0,1] op_sel_hi:[1,1,0] neg_lo:[0,0,1] neg_hi:[0,0,1]
	v_pk_fma_f32 v[18:19], v[30:31], v[12:13], v[18:19] op_sel:[0,0,1] op_sel_hi:[1,0,0]
	s_delay_alu instid0(VALU_DEP_1) | instskip(NEXT) | instid1(VALU_DEP_1)
	v_mov_b32_e32 v29, v19
	v_pk_add_f32 v[162:163], v[162:163], v[28:29] neg_lo:[0,1] neg_hi:[0,1]
	ds_load_2addr_b64 v[28:31], v196 offset0:37 offset1:38
	s_wait_dscnt 0x0
	v_pk_mul_f32 v[18:19], v[28:29], v[14:15] op_sel:[0,1]
	s_delay_alu instid0(VALU_DEP_1) | instskip(SKIP_1) | instid1(VALU_DEP_1)
	v_pk_fma_f32 v[32:33], v[28:29], v[12:13], v[18:19] op_sel:[0,0,1] op_sel_hi:[1,1,0] neg_lo:[0,0,1] neg_hi:[0,0,1]
	v_pk_fma_f32 v[18:19], v[28:29], v[12:13], v[18:19] op_sel:[0,0,1] op_sel_hi:[1,0,0]
	v_mov_b32_e32 v33, v19
	v_pk_mul_f32 v[18:19], v[30:31], v[14:15] op_sel:[0,1]
	s_delay_alu instid0(VALU_DEP_2) | instskip(NEXT) | instid1(VALU_DEP_2)
	v_pk_add_f32 v[158:159], v[158:159], v[32:33] neg_lo:[0,1] neg_hi:[0,1]
	v_pk_fma_f32 v[28:29], v[30:31], v[12:13], v[18:19] op_sel:[0,0,1] op_sel_hi:[1,1,0] neg_lo:[0,0,1] neg_hi:[0,0,1]
	v_pk_fma_f32 v[18:19], v[30:31], v[12:13], v[18:19] op_sel:[0,0,1] op_sel_hi:[1,0,0]
	s_delay_alu instid0(VALU_DEP_1) | instskip(NEXT) | instid1(VALU_DEP_1)
	v_mov_b32_e32 v29, v19
	v_pk_add_f32 v[160:161], v[160:161], v[28:29] neg_lo:[0,1] neg_hi:[0,1]
	ds_load_2addr_b64 v[28:31], v196 offset0:39 offset1:40
	s_wait_dscnt 0x0
	v_pk_mul_f32 v[18:19], v[28:29], v[14:15] op_sel:[0,1]
	s_delay_alu instid0(VALU_DEP_1) | instskip(SKIP_2) | instid1(VALU_DEP_2)
	v_pk_fma_f32 v[32:33], v[28:29], v[12:13], v[18:19] op_sel:[0,0,1] op_sel_hi:[1,1,0] neg_lo:[0,0,1] neg_hi:[0,0,1]
	v_pk_fma_f32 v[18:19], v[28:29], v[12:13], v[18:19] op_sel:[0,0,1] op_sel_hi:[1,0,0]
	v_dual_mul_f32 v28, v31, v15 :: v_dual_mov_b32 v18, v31
	v_dual_mov_b32 v33, v19 :: v_dual_mov_b32 v19, v30
	s_delay_alu instid0(VALU_DEP_2) | instskip(SKIP_1) | instid1(VALU_DEP_3)
	v_pk_fma_f32 v[28:29], v[30:31], v[82:83], v[28:29] op_sel_hi:[1,1,0] neg_lo:[0,0,1] neg_hi:[0,0,1]
	v_mul_f32_e32 v30, v31, v12
	v_pk_add_f32 v[156:157], v[156:157], v[32:33] neg_lo:[0,1] neg_hi:[0,1]
	s_delay_alu instid0(VALU_DEP_2) | instskip(NEXT) | instid1(VALU_DEP_1)
	v_pk_fma_f32 v[18:19], v[18:19], v[82:83], v[30:31] op_sel_hi:[1,1,0]
	v_mov_b32_e32 v29, v19
	s_delay_alu instid0(VALU_DEP_1) | instskip(SKIP_3) | instid1(VALU_DEP_1)
	v_pk_add_f32 v[178:179], v[178:179], v[28:29] neg_lo:[0,1] neg_hi:[0,1]
	ds_load_2addr_b64 v[28:31], v196 offset0:41 offset1:42
	s_wait_dscnt 0x0
	v_pk_mul_f32 v[18:19], v[28:29], v[14:15] op_sel:[0,1]
	v_pk_fma_f32 v[32:33], v[28:29], v[12:13], v[18:19] op_sel:[0,0,1] op_sel_hi:[1,1,0] neg_lo:[0,0,1] neg_hi:[0,0,1]
	v_pk_fma_f32 v[18:19], v[28:29], v[12:13], v[18:19] op_sel:[0,0,1] op_sel_hi:[1,0,0]
	s_delay_alu instid0(VALU_DEP_1) | instskip(SKIP_1) | instid1(VALU_DEP_2)
	v_mov_b32_e32 v33, v19
	v_pk_mul_f32 v[18:19], v[30:31], v[14:15] op_sel:[0,1]
	v_pk_add_f32 v[174:175], v[174:175], v[32:33] neg_lo:[0,1] neg_hi:[0,1]
	s_delay_alu instid0(VALU_DEP_2) | instskip(SKIP_1) | instid1(VALU_DEP_1)
	v_pk_fma_f32 v[28:29], v[30:31], v[12:13], v[18:19] op_sel:[0,0,1] op_sel_hi:[1,1,0] neg_lo:[0,0,1] neg_hi:[0,0,1]
	v_pk_fma_f32 v[18:19], v[30:31], v[12:13], v[18:19] op_sel:[0,0,1] op_sel_hi:[1,0,0]
	v_mov_b32_e32 v29, v19
	s_delay_alu instid0(VALU_DEP_1) | instskip(SKIP_3) | instid1(VALU_DEP_1)
	v_pk_add_f32 v[176:177], v[176:177], v[28:29] neg_lo:[0,1] neg_hi:[0,1]
	ds_load_2addr_b64 v[28:31], v196 offset0:43 offset1:44
	s_wait_dscnt 0x0
	v_pk_mul_f32 v[18:19], v[28:29], v[14:15] op_sel:[0,1]
	v_pk_fma_f32 v[32:33], v[28:29], v[12:13], v[18:19] op_sel:[0,0,1] op_sel_hi:[1,1,0] neg_lo:[0,0,1] neg_hi:[0,0,1]
	v_pk_fma_f32 v[18:19], v[28:29], v[12:13], v[18:19] op_sel:[0,0,1] op_sel_hi:[1,0,0]
	s_delay_alu instid0(VALU_DEP_1) | instskip(SKIP_1) | instid1(VALU_DEP_2)
	v_mov_b32_e32 v33, v19
	v_pk_mul_f32 v[18:19], v[30:31], v[14:15] op_sel:[0,1]
	v_pk_add_f32 v[172:173], v[172:173], v[32:33] neg_lo:[0,1] neg_hi:[0,1]
	s_delay_alu instid0(VALU_DEP_2) | instskip(SKIP_1) | instid1(VALU_DEP_1)
	v_pk_fma_f32 v[28:29], v[30:31], v[12:13], v[18:19] op_sel:[0,0,1] op_sel_hi:[1,1,0] neg_lo:[0,0,1] neg_hi:[0,0,1]
	v_pk_fma_f32 v[18:19], v[30:31], v[12:13], v[18:19] op_sel:[0,0,1] op_sel_hi:[1,0,0]
	v_mov_b32_e32 v29, v19
	s_delay_alu instid0(VALU_DEP_1) | instskip(SKIP_3) | instid1(VALU_DEP_1)
	v_pk_add_f32 v[194:195], v[194:195], v[28:29] neg_lo:[0,1] neg_hi:[0,1]
	ds_load_2addr_b64 v[28:31], v196 offset0:45 offset1:46
	s_wait_dscnt 0x0
	v_dual_mul_f32 v18, v29, v15 :: v_dual_mul_f32 v32, v29, v12
	v_pk_fma_f32 v[18:19], v[28:29], v[82:83], v[18:19] op_sel_hi:[1,1,0] neg_lo:[0,0,1] neg_hi:[0,0,1]
	s_delay_alu instid0(VALU_DEP_2) | instskip(NEXT) | instid1(VALU_DEP_1)
	v_pk_fma_f32 v[28:29], v[28:29], v[82:83], v[32:33] op_sel:[1,0,0] op_sel_hi:[0,1,0]
	v_mov_b32_e32 v19, v29
	s_delay_alu instid0(VALU_DEP_1) | instskip(SKIP_1) | instid1(VALU_DEP_1)
	v_pk_add_f32 v[190:191], v[190:191], v[18:19] neg_lo:[0,1] neg_hi:[0,1]
	v_pk_mul_f32 v[18:19], v[30:31], v[14:15] op_sel:[0,1]
	v_pk_fma_f32 v[28:29], v[30:31], v[12:13], v[18:19] op_sel:[0,0,1] op_sel_hi:[1,1,0] neg_lo:[0,0,1] neg_hi:[0,0,1]
	v_pk_fma_f32 v[18:19], v[30:31], v[12:13], v[18:19] op_sel:[0,0,1] op_sel_hi:[1,0,0]
	s_delay_alu instid0(VALU_DEP_1) | instskip(NEXT) | instid1(VALU_DEP_1)
	v_mov_b32_e32 v29, v19
	v_pk_add_f32 v[192:193], v[192:193], v[28:29] neg_lo:[0,1] neg_hi:[0,1]
	ds_load_2addr_b64 v[28:31], v196 offset0:47 offset1:48
	s_wait_dscnt 0x0
	v_pk_mul_f32 v[18:19], v[28:29], v[14:15] op_sel:[0,1]
	s_delay_alu instid0(VALU_DEP_1) | instskip(SKIP_1) | instid1(VALU_DEP_1)
	v_pk_fma_f32 v[32:33], v[28:29], v[12:13], v[18:19] op_sel:[0,0,1] op_sel_hi:[1,1,0] neg_lo:[0,0,1] neg_hi:[0,0,1]
	v_pk_fma_f32 v[18:19], v[28:29], v[12:13], v[18:19] op_sel:[0,0,1] op_sel_hi:[1,0,0]
	v_mov_b32_e32 v33, v19
	v_pk_mul_f32 v[18:19], v[30:31], v[14:15] op_sel:[0,1]
	s_delay_alu instid0(VALU_DEP_2) | instskip(NEXT) | instid1(VALU_DEP_2)
	v_pk_add_f32 v[188:189], v[188:189], v[32:33] neg_lo:[0,1] neg_hi:[0,1]
	v_pk_fma_f32 v[28:29], v[30:31], v[12:13], v[18:19] op_sel:[0,0,1] op_sel_hi:[1,1,0] neg_lo:[0,0,1] neg_hi:[0,0,1]
	v_pk_fma_f32 v[18:19], v[30:31], v[12:13], v[18:19] op_sel:[0,0,1] op_sel_hi:[1,0,0]
	s_delay_alu instid0(VALU_DEP_1) | instskip(NEXT) | instid1(VALU_DEP_1)
	v_mov_b32_e32 v29, v19
	v_pk_add_f32 v[212:213], v[212:213], v[28:29] neg_lo:[0,1] neg_hi:[0,1]
	ds_load_2addr_b64 v[28:31], v196 offset0:49 offset1:50
	s_wait_dscnt 0x0
	v_pk_mul_f32 v[18:19], v[28:29], v[14:15] op_sel:[0,1]
	s_delay_alu instid0(VALU_DEP_1) | instskip(SKIP_2) | instid1(VALU_DEP_2)
	v_pk_fma_f32 v[32:33], v[28:29], v[12:13], v[18:19] op_sel:[0,0,1] op_sel_hi:[1,1,0] neg_lo:[0,0,1] neg_hi:[0,0,1]
	v_pk_fma_f32 v[18:19], v[28:29], v[12:13], v[18:19] op_sel:[0,0,1] op_sel_hi:[1,0,0]
	v_dual_mul_f32 v28, v31, v15 :: v_dual_mov_b32 v18, v31
	v_dual_mov_b32 v33, v19 :: v_dual_mov_b32 v19, v30
	s_delay_alu instid0(VALU_DEP_2) | instskip(SKIP_1) | instid1(VALU_DEP_3)
	v_pk_fma_f32 v[28:29], v[30:31], v[82:83], v[28:29] op_sel_hi:[1,1,0] neg_lo:[0,0,1] neg_hi:[0,0,1]
	v_mul_f32_e32 v30, v31, v12
	v_pk_add_f32 v[208:209], v[208:209], v[32:33] neg_lo:[0,1] neg_hi:[0,1]
	s_delay_alu instid0(VALU_DEP_2) | instskip(NEXT) | instid1(VALU_DEP_1)
	v_pk_fma_f32 v[18:19], v[18:19], v[82:83], v[30:31] op_sel_hi:[1,1,0]
	v_mov_b32_e32 v29, v19
	s_delay_alu instid0(VALU_DEP_1) | instskip(SKIP_3) | instid1(VALU_DEP_1)
	v_pk_add_f32 v[210:211], v[210:211], v[28:29] neg_lo:[0,1] neg_hi:[0,1]
	ds_load_2addr_b64 v[28:31], v196 offset0:51 offset1:52
	s_wait_dscnt 0x0
	v_pk_mul_f32 v[18:19], v[28:29], v[14:15] op_sel:[0,1]
	v_pk_fma_f32 v[32:33], v[28:29], v[12:13], v[18:19] op_sel:[0,0,1] op_sel_hi:[1,1,0] neg_lo:[0,0,1] neg_hi:[0,0,1]
	v_pk_fma_f32 v[18:19], v[28:29], v[12:13], v[18:19] op_sel:[0,0,1] op_sel_hi:[1,0,0]
	s_delay_alu instid0(VALU_DEP_1) | instskip(SKIP_1) | instid1(VALU_DEP_2)
	v_mov_b32_e32 v33, v19
	v_pk_mul_f32 v[18:19], v[30:31], v[14:15] op_sel:[0,1]
	v_pk_add_f32 v[206:207], v[206:207], v[32:33] neg_lo:[0,1] neg_hi:[0,1]
	s_delay_alu instid0(VALU_DEP_2) | instskip(SKIP_1) | instid1(VALU_DEP_1)
	v_pk_fma_f32 v[28:29], v[30:31], v[12:13], v[18:19] op_sel:[0,0,1] op_sel_hi:[1,1,0] neg_lo:[0,0,1] neg_hi:[0,0,1]
	v_pk_fma_f32 v[18:19], v[30:31], v[12:13], v[18:19] op_sel:[0,0,1] op_sel_hi:[1,0,0]
	v_mov_b32_e32 v29, v19
	s_delay_alu instid0(VALU_DEP_1) | instskip(SKIP_3) | instid1(VALU_DEP_1)
	v_pk_add_f32 v[228:229], v[228:229], v[28:29] neg_lo:[0,1] neg_hi:[0,1]
	ds_load_2addr_b64 v[28:31], v196 offset0:53 offset1:54
	s_wait_dscnt 0x0
	v_pk_mul_f32 v[18:19], v[28:29], v[14:15] op_sel:[0,1]
	v_pk_fma_f32 v[32:33], v[28:29], v[12:13], v[18:19] op_sel:[0,0,1] op_sel_hi:[1,1,0] neg_lo:[0,0,1] neg_hi:[0,0,1]
	v_pk_fma_f32 v[18:19], v[28:29], v[12:13], v[18:19] op_sel:[0,0,1] op_sel_hi:[1,0,0]
	s_delay_alu instid0(VALU_DEP_1) | instskip(SKIP_1) | instid1(VALU_DEP_2)
	v_mov_b32_e32 v33, v19
	v_pk_mul_f32 v[18:19], v[30:31], v[14:15] op_sel:[0,1]
	v_pk_add_f32 v[224:225], v[224:225], v[32:33] neg_lo:[0,1] neg_hi:[0,1]
	s_delay_alu instid0(VALU_DEP_2) | instskip(SKIP_1) | instid1(VALU_DEP_1)
	v_pk_fma_f32 v[28:29], v[30:31], v[12:13], v[18:19] op_sel:[0,0,1] op_sel_hi:[1,1,0] neg_lo:[0,0,1] neg_hi:[0,0,1]
	v_pk_fma_f32 v[18:19], v[30:31], v[12:13], v[18:19] op_sel:[0,0,1] op_sel_hi:[1,0,0]
	v_mov_b32_e32 v29, v19
	s_delay_alu instid0(VALU_DEP_1) | instskip(SKIP_3) | instid1(VALU_DEP_1)
	v_pk_add_f32 v[226:227], v[226:227], v[28:29] neg_lo:[0,1] neg_hi:[0,1]
	ds_load_2addr_b64 v[28:31], v196 offset0:55 offset1:56
	s_wait_dscnt 0x0
	v_dual_mul_f32 v18, v29, v15 :: v_dual_mul_f32 v32, v29, v12
	v_pk_fma_f32 v[18:19], v[28:29], v[82:83], v[18:19] op_sel_hi:[1,1,0] neg_lo:[0,0,1] neg_hi:[0,0,1]
	s_delay_alu instid0(VALU_DEP_2) | instskip(NEXT) | instid1(VALU_DEP_1)
	v_pk_fma_f32 v[28:29], v[28:29], v[82:83], v[32:33] op_sel:[1,0,0] op_sel_hi:[0,1,0]
	v_mov_b32_e32 v19, v29
	s_delay_alu instid0(VALU_DEP_1) | instskip(SKIP_1) | instid1(VALU_DEP_1)
	v_pk_add_f32 v[222:223], v[222:223], v[18:19] neg_lo:[0,1] neg_hi:[0,1]
	v_pk_mul_f32 v[18:19], v[30:31], v[14:15] op_sel:[0,1]
	v_pk_fma_f32 v[28:29], v[30:31], v[12:13], v[18:19] op_sel:[0,0,1] op_sel_hi:[1,1,0] neg_lo:[0,0,1] neg_hi:[0,0,1]
	v_pk_fma_f32 v[18:19], v[30:31], v[12:13], v[18:19] op_sel:[0,0,1] op_sel_hi:[1,0,0]
	s_delay_alu instid0(VALU_DEP_1) | instskip(SKIP_4) | instid1(VALU_DEP_1)
	v_mov_b32_e32 v29, v19
	ds_load_b64 v[18:19], v196 offset:456
	v_pk_add_f32 v[230:231], v[230:231], v[28:29] neg_lo:[0,1] neg_hi:[0,1]
	s_wait_dscnt 0x0
	v_pk_mul_f32 v[14:15], v[18:19], v[14:15] op_sel:[0,1]
	v_pk_fma_f32 v[28:29], v[18:19], v[12:13], v[14:15] op_sel:[0,0,1] op_sel_hi:[1,1,0] neg_lo:[0,0,1] neg_hi:[0,0,1]
	v_pk_fma_f32 v[12:13], v[18:19], v[12:13], v[14:15] op_sel:[0,0,1] op_sel_hi:[1,0,0]
	s_delay_alu instid0(VALU_DEP_1) | instskip(NEXT) | instid1(VALU_DEP_1)
	v_mov_b32_e32 v29, v13
	v_pk_add_f32 v[232:233], v[232:233], v[28:29] neg_lo:[0,1] neg_hi:[0,1]
.LBB115_154:
	s_or_b32 exec_lo, exec_lo, s1
	s_delay_alu instid0(SALU_CYCLE_1)
	s_mov_b32 s2, exec_lo
	s_wait_dscnt 0x0
	s_barrier_signal -1
	s_barrier_wait -1
	v_cmpx_eq_u32_e32 17, v186
	s_cbranch_execz .LBB115_161
; %bb.155:
	v_dual_mov_b32 v12, v80 :: v_dual_mov_b32 v13, v81
	v_dual_mov_b32 v14, v76 :: v_dual_mov_b32 v15, v77
	ds_store_b64 v187, v[78:79]
	ds_store_2addr_b64 v196, v[12:13], v[14:15] offset0:18 offset1:19
	v_dual_mov_b32 v12, v98 :: v_dual_mov_b32 v13, v99
	v_dual_mov_b32 v14, v94 :: v_dual_mov_b32 v15, v95
	ds_store_2addr_b64 v196, v[12:13], v[14:15] offset0:20 offset1:21
	v_dual_mov_b32 v12, v96 :: v_dual_mov_b32 v13, v97
	v_dual_mov_b32 v14, v92 :: v_dual_mov_b32 v15, v93
	;; [unrolled: 3-line block ×18, first 2 shown]
	ds_store_2addr_b64 v196, v[12:13], v[14:15] offset0:54 offset1:55
	v_dual_mov_b32 v12, v230 :: v_dual_mov_b32 v13, v231
	ds_store_2addr_b64 v196, v[12:13], v[232:233] offset0:56 offset1:57
	ds_load_b64 v[12:13], v187
	s_wait_dscnt 0x0
	v_cmp_neq_f32_e32 vcc_lo, 0, v12
	v_cmp_neq_f32_e64 s1, 0, v13
	s_or_b32 s1, vcc_lo, s1
	s_delay_alu instid0(SALU_CYCLE_1)
	s_and_b32 exec_lo, exec_lo, s1
	s_cbranch_execz .LBB115_161
; %bb.156:
	v_cmp_ngt_f32_e64 s1, |v12|, |v13|
                                        ; implicit-def: $vgpr14_vgpr15
	s_and_saveexec_b32 s4, s1
	s_delay_alu instid0(SALU_CYCLE_1)
	s_xor_b32 s1, exec_lo, s4
	s_cbranch_execz .LBB115_158
; %bb.157:
	v_div_scale_f32 v14, null, v13, v13, v12
	v_div_scale_f32 v19, vcc_lo, v12, v13, v12
	s_delay_alu instid0(VALU_DEP_2) | instskip(SKIP_1) | instid1(TRANS32_DEP_1)
	v_rcp_f32_e32 v15, v14
	v_nop
	v_fma_f32 v18, -v14, v15, 1.0
	s_delay_alu instid0(VALU_DEP_1) | instskip(NEXT) | instid1(VALU_DEP_1)
	v_fmac_f32_e32 v15, v18, v15
	v_mul_f32_e32 v18, v19, v15
	s_delay_alu instid0(VALU_DEP_1) | instskip(NEXT) | instid1(VALU_DEP_1)
	v_fma_f32 v28, -v14, v18, v19
	v_fmac_f32_e32 v18, v28, v15
	s_delay_alu instid0(VALU_DEP_1) | instskip(NEXT) | instid1(VALU_DEP_1)
	v_fma_f32 v14, -v14, v18, v19
	v_div_fmas_f32 v14, v14, v15, v18
	s_delay_alu instid0(VALU_DEP_1) | instskip(NEXT) | instid1(VALU_DEP_1)
	v_div_fixup_f32 v14, v14, v13, v12
	v_fmac_f32_e32 v13, v12, v14
	s_delay_alu instid0(VALU_DEP_1) | instskip(SKIP_1) | instid1(VALU_DEP_2)
	v_div_scale_f32 v12, null, v13, v13, 1.0
	v_div_scale_f32 v19, vcc_lo, 1.0, v13, 1.0
	v_rcp_f32_e32 v15, v12
	v_nop
	s_delay_alu instid0(TRANS32_DEP_1) | instskip(NEXT) | instid1(VALU_DEP_1)
	v_fma_f32 v18, -v12, v15, 1.0
	v_fmac_f32_e32 v15, v18, v15
	s_delay_alu instid0(VALU_DEP_1) | instskip(NEXT) | instid1(VALU_DEP_1)
	v_mul_f32_e32 v18, v19, v15
	v_fma_f32 v28, -v12, v18, v19
	s_delay_alu instid0(VALU_DEP_1) | instskip(NEXT) | instid1(VALU_DEP_1)
	v_fmac_f32_e32 v18, v28, v15
	v_fma_f32 v12, -v12, v18, v19
	s_delay_alu instid0(VALU_DEP_1) | instskip(NEXT) | instid1(VALU_DEP_1)
	v_div_fmas_f32 v12, v12, v15, v18
	v_div_fixup_f32 v12, v12, v13, 1.0
	s_delay_alu instid0(VALU_DEP_1)
	v_mul_f32_e32 v14, v14, v12
	v_xor_b32_e32 v15, 0x80000000, v12
                                        ; implicit-def: $vgpr12_vgpr13
.LBB115_158:
	s_and_not1_saveexec_b32 s1, s1
	s_cbranch_execz .LBB115_160
; %bb.159:
	v_div_scale_f32 v14, null, v12, v12, v13
	v_div_scale_f32 v19, vcc_lo, v13, v12, v13
	s_delay_alu instid0(VALU_DEP_2) | instskip(SKIP_1) | instid1(TRANS32_DEP_1)
	v_rcp_f32_e32 v15, v14
	v_nop
	v_fma_f32 v18, -v14, v15, 1.0
	s_delay_alu instid0(VALU_DEP_1) | instskip(NEXT) | instid1(VALU_DEP_1)
	v_fmac_f32_e32 v15, v18, v15
	v_mul_f32_e32 v18, v19, v15
	s_delay_alu instid0(VALU_DEP_1) | instskip(NEXT) | instid1(VALU_DEP_1)
	v_fma_f32 v28, -v14, v18, v19
	v_fmac_f32_e32 v18, v28, v15
	s_delay_alu instid0(VALU_DEP_1) | instskip(NEXT) | instid1(VALU_DEP_1)
	v_fma_f32 v14, -v14, v18, v19
	v_div_fmas_f32 v14, v14, v15, v18
	s_delay_alu instid0(VALU_DEP_1) | instskip(NEXT) | instid1(VALU_DEP_1)
	v_div_fixup_f32 v15, v14, v12, v13
	v_fmac_f32_e32 v12, v13, v15
	s_delay_alu instid0(VALU_DEP_1) | instskip(NEXT) | instid1(VALU_DEP_1)
	v_div_scale_f32 v13, null, v12, v12, 1.0
	v_rcp_f32_e32 v14, v13
	v_nop
	s_delay_alu instid0(TRANS32_DEP_1) | instskip(NEXT) | instid1(VALU_DEP_1)
	v_fma_f32 v18, -v13, v14, 1.0
	v_fmac_f32_e32 v14, v18, v14
	v_div_scale_f32 v18, vcc_lo, 1.0, v12, 1.0
	s_delay_alu instid0(VALU_DEP_1) | instskip(NEXT) | instid1(VALU_DEP_1)
	v_mul_f32_e32 v19, v18, v14
	v_fma_f32 v28, -v13, v19, v18
	s_delay_alu instid0(VALU_DEP_1) | instskip(NEXT) | instid1(VALU_DEP_1)
	v_fmac_f32_e32 v19, v28, v14
	v_fma_f32 v13, -v13, v19, v18
	s_delay_alu instid0(VALU_DEP_1) | instskip(NEXT) | instid1(VALU_DEP_1)
	v_div_fmas_f32 v13, v13, v14, v19
	v_div_fixup_f32 v14, v13, v12, 1.0
	s_delay_alu instid0(VALU_DEP_1)
	v_mul_f32_e64 v15, v15, -v14
.LBB115_160:
	s_or_b32 exec_lo, exec_lo, s1
	ds_store_b64 v187, v[14:15]
.LBB115_161:
	s_or_b32 exec_lo, exec_lo, s2
	s_wait_dscnt 0x0
	s_barrier_signal -1
	s_barrier_wait -1
	ds_load_b64 v[12:13], v187
	s_mov_b32 s1, exec_lo
	v_cmpx_lt_u32_e32 17, v186
	s_cbranch_execz .LBB115_163
; %bb.162:
	ds_load_2addr_b64 v[28:31], v196 offset0:18 offset1:19
	s_wait_dscnt 0x1
	v_pk_mul_f32 v[18:19], v[12:13], v[78:79] op_sel:[1,1] op_sel_hi:[0,1]
	s_delay_alu instid0(VALU_DEP_1) | instskip(SKIP_1) | instid1(VALU_DEP_1)
	v_pk_fma_f32 v[14:15], v[12:13], v[78:79], v[18:19] op_sel_hi:[1,0,1] neg_lo:[0,0,1] neg_hi:[0,0,1]
	v_pk_fma_f32 v[18:19], v[12:13], v[78:79], v[18:19] op_sel_hi:[1,0,1]
	v_dual_mov_b32 v78, v14 :: v_dual_mov_b32 v79, v19
	s_wait_dscnt 0x0
	s_delay_alu instid0(VALU_DEP_2) | instskip(NEXT) | instid1(VALU_DEP_1)
	v_pk_mul_f32 v[32:33], v[28:29], v[18:19] op_sel:[0,1]
	v_pk_fma_f32 v[42:43], v[28:29], v[14:15], v[32:33] op_sel:[0,0,1] op_sel_hi:[1,1,0] neg_lo:[0,0,1] neg_hi:[0,0,1]
	v_pk_fma_f32 v[28:29], v[28:29], v[14:15], v[32:33] op_sel:[0,0,1] op_sel_hi:[1,0,0]
	s_delay_alu instid0(VALU_DEP_1) | instskip(SKIP_1) | instid1(VALU_DEP_1)
	v_mov_b32_e32 v43, v29
	v_pk_mul_f32 v[28:29], v[30:31], v[18:19] op_sel:[0,1]
	v_pk_fma_f32 v[32:33], v[30:31], v[14:15], v[28:29] op_sel:[0,0,1] op_sel_hi:[1,1,0] neg_lo:[0,0,1] neg_hi:[0,0,1]
	v_pk_fma_f32 v[28:29], v[30:31], v[14:15], v[28:29] op_sel:[0,0,1] op_sel_hi:[1,0,0]
	s_delay_alu instid0(VALU_DEP_1)
	v_mov_b32_e32 v33, v29
	ds_load_2addr_b64 v[28:31], v196 offset0:20 offset1:21
	v_pk_add_f32 v[80:81], v[80:81], v[42:43] neg_lo:[0,1] neg_hi:[0,1]
	v_pk_add_f32 v[76:77], v[76:77], v[32:33] neg_lo:[0,1] neg_hi:[0,1]
	s_wait_dscnt 0x0
	v_pk_mul_f32 v[32:33], v[28:29], v[18:19] op_sel:[0,1]
	s_delay_alu instid0(VALU_DEP_1) | instskip(SKIP_2) | instid1(VALU_DEP_2)
	v_pk_fma_f32 v[42:43], v[28:29], v[14:15], v[32:33] op_sel:[0,0,1] op_sel_hi:[1,1,0] neg_lo:[0,0,1] neg_hi:[0,0,1]
	v_pk_fma_f32 v[28:29], v[28:29], v[14:15], v[32:33] op_sel:[0,0,1] op_sel_hi:[1,0,0]
	v_dual_mul_f32 v32, v31, v19 :: v_dual_mov_b32 v28, v31
	v_dual_mov_b32 v43, v29 :: v_dual_mov_b32 v29, v30
	s_delay_alu instid0(VALU_DEP_2) | instskip(SKIP_1) | instid1(VALU_DEP_3)
	v_pk_fma_f32 v[32:33], v[30:31], v[78:79], v[32:33] op_sel_hi:[1,1,0] neg_lo:[0,0,1] neg_hi:[0,0,1]
	v_mul_f32_e32 v30, v31, v14
	v_pk_add_f32 v[98:99], v[98:99], v[42:43] neg_lo:[0,1] neg_hi:[0,1]
	s_delay_alu instid0(VALU_DEP_2) | instskip(NEXT) | instid1(VALU_DEP_1)
	v_pk_fma_f32 v[28:29], v[28:29], v[78:79], v[30:31] op_sel_hi:[1,1,0]
	v_mov_b32_e32 v33, v29
	ds_load_2addr_b64 v[28:31], v196 offset0:22 offset1:23
	v_pk_add_f32 v[94:95], v[94:95], v[32:33] neg_lo:[0,1] neg_hi:[0,1]
	s_wait_dscnt 0x0
	v_pk_mul_f32 v[32:33], v[28:29], v[18:19] op_sel:[0,1]
	s_delay_alu instid0(VALU_DEP_1) | instskip(SKIP_1) | instid1(VALU_DEP_1)
	v_pk_fma_f32 v[42:43], v[28:29], v[14:15], v[32:33] op_sel:[0,0,1] op_sel_hi:[1,1,0] neg_lo:[0,0,1] neg_hi:[0,0,1]
	v_pk_fma_f32 v[28:29], v[28:29], v[14:15], v[32:33] op_sel:[0,0,1] op_sel_hi:[1,0,0]
	v_mov_b32_e32 v43, v29
	v_pk_mul_f32 v[28:29], v[30:31], v[18:19] op_sel:[0,1]
	s_delay_alu instid0(VALU_DEP_1) | instskip(SKIP_1) | instid1(VALU_DEP_1)
	v_pk_fma_f32 v[32:33], v[30:31], v[14:15], v[28:29] op_sel:[0,0,1] op_sel_hi:[1,1,0] neg_lo:[0,0,1] neg_hi:[0,0,1]
	v_pk_fma_f32 v[28:29], v[30:31], v[14:15], v[28:29] op_sel:[0,0,1] op_sel_hi:[1,0,0]
	v_mov_b32_e32 v33, v29
	ds_load_2addr_b64 v[28:31], v196 offset0:24 offset1:25
	v_pk_add_f32 v[96:97], v[96:97], v[42:43] neg_lo:[0,1] neg_hi:[0,1]
	v_pk_add_f32 v[92:93], v[92:93], v[32:33] neg_lo:[0,1] neg_hi:[0,1]
	s_wait_dscnt 0x0
	v_pk_mul_f32 v[32:33], v[28:29], v[18:19] op_sel:[0,1]
	s_delay_alu instid0(VALU_DEP_1) | instskip(SKIP_1) | instid1(VALU_DEP_1)
	v_pk_fma_f32 v[42:43], v[28:29], v[14:15], v[32:33] op_sel:[0,0,1] op_sel_hi:[1,1,0] neg_lo:[0,0,1] neg_hi:[0,0,1]
	v_pk_fma_f32 v[28:29], v[28:29], v[14:15], v[32:33] op_sel:[0,0,1] op_sel_hi:[1,0,0]
	v_mov_b32_e32 v43, v29
	v_pk_mul_f32 v[28:29], v[30:31], v[18:19] op_sel:[0,1]
	s_delay_alu instid0(VALU_DEP_1) | instskip(SKIP_1) | instid1(VALU_DEP_1)
	v_pk_fma_f32 v[32:33], v[30:31], v[14:15], v[28:29] op_sel:[0,0,1] op_sel_hi:[1,1,0] neg_lo:[0,0,1] neg_hi:[0,0,1]
	v_pk_fma_f32 v[28:29], v[30:31], v[14:15], v[28:29] op_sel:[0,0,1] op_sel_hi:[1,0,0]
	v_mov_b32_e32 v33, v29
	ds_load_2addr_b64 v[28:31], v196 offset0:26 offset1:27
	v_pk_add_f32 v[114:115], v[114:115], v[42:43] neg_lo:[0,1] neg_hi:[0,1]
	v_pk_add_f32 v[110:111], v[110:111], v[32:33] neg_lo:[0,1] neg_hi:[0,1]
	s_wait_dscnt 0x0
	v_dual_mul_f32 v32, v29, v19 :: v_dual_mul_f32 v42, v29, v14
	s_delay_alu instid0(VALU_DEP_1) | instskip(NEXT) | instid1(VALU_DEP_2)
	v_pk_fma_f32 v[32:33], v[28:29], v[78:79], v[32:33] op_sel_hi:[1,1,0] neg_lo:[0,0,1] neg_hi:[0,0,1]
	v_pk_fma_f32 v[28:29], v[28:29], v[78:79], v[42:43] op_sel:[1,0,0] op_sel_hi:[0,1,0]
	s_delay_alu instid0(VALU_DEP_1) | instskip(SKIP_1) | instid1(VALU_DEP_2)
	v_mov_b32_e32 v33, v29
	v_pk_mul_f32 v[28:29], v[30:31], v[18:19] op_sel:[0,1]
	v_pk_add_f32 v[112:113], v[112:113], v[32:33] neg_lo:[0,1] neg_hi:[0,1]
	s_delay_alu instid0(VALU_DEP_2) | instskip(SKIP_1) | instid1(VALU_DEP_1)
	v_pk_fma_f32 v[32:33], v[30:31], v[14:15], v[28:29] op_sel:[0,0,1] op_sel_hi:[1,1,0] neg_lo:[0,0,1] neg_hi:[0,0,1]
	v_pk_fma_f32 v[28:29], v[30:31], v[14:15], v[28:29] op_sel:[0,0,1] op_sel_hi:[1,0,0]
	v_mov_b32_e32 v33, v29
	ds_load_2addr_b64 v[28:31], v196 offset0:28 offset1:29
	v_pk_add_f32 v[108:109], v[108:109], v[32:33] neg_lo:[0,1] neg_hi:[0,1]
	s_wait_dscnt 0x0
	v_pk_mul_f32 v[32:33], v[28:29], v[18:19] op_sel:[0,1]
	s_delay_alu instid0(VALU_DEP_1) | instskip(SKIP_1) | instid1(VALU_DEP_1)
	v_pk_fma_f32 v[42:43], v[28:29], v[14:15], v[32:33] op_sel:[0,0,1] op_sel_hi:[1,1,0] neg_lo:[0,0,1] neg_hi:[0,0,1]
	v_pk_fma_f32 v[28:29], v[28:29], v[14:15], v[32:33] op_sel:[0,0,1] op_sel_hi:[1,0,0]
	v_mov_b32_e32 v43, v29
	v_pk_mul_f32 v[28:29], v[30:31], v[18:19] op_sel:[0,1]
	s_delay_alu instid0(VALU_DEP_2) | instskip(NEXT) | instid1(VALU_DEP_2)
	v_pk_add_f32 v[130:131], v[130:131], v[42:43] neg_lo:[0,1] neg_hi:[0,1]
	v_pk_fma_f32 v[32:33], v[30:31], v[14:15], v[28:29] op_sel:[0,0,1] op_sel_hi:[1,1,0] neg_lo:[0,0,1] neg_hi:[0,0,1]
	v_pk_fma_f32 v[28:29], v[30:31], v[14:15], v[28:29] op_sel:[0,0,1] op_sel_hi:[1,0,0]
	s_delay_alu instid0(VALU_DEP_1) | instskip(SKIP_4) | instid1(VALU_DEP_1)
	v_mov_b32_e32 v33, v29
	ds_load_2addr_b64 v[28:31], v196 offset0:30 offset1:31
	v_pk_add_f32 v[126:127], v[126:127], v[32:33] neg_lo:[0,1] neg_hi:[0,1]
	s_wait_dscnt 0x0
	v_pk_mul_f32 v[32:33], v[28:29], v[18:19] op_sel:[0,1]
	v_pk_fma_f32 v[42:43], v[28:29], v[14:15], v[32:33] op_sel:[0,0,1] op_sel_hi:[1,1,0] neg_lo:[0,0,1] neg_hi:[0,0,1]
	v_pk_fma_f32 v[28:29], v[28:29], v[14:15], v[32:33] op_sel:[0,0,1] op_sel_hi:[1,0,0]
	v_dual_mul_f32 v32, v31, v19 :: v_dual_mov_b32 v28, v31
	s_delay_alu instid0(VALU_DEP_2) | instskip(NEXT) | instid1(VALU_DEP_2)
	v_dual_mov_b32 v43, v29 :: v_dual_mov_b32 v29, v30
	v_pk_fma_f32 v[32:33], v[30:31], v[78:79], v[32:33] op_sel_hi:[1,1,0] neg_lo:[0,0,1] neg_hi:[0,0,1]
	v_mul_f32_e32 v30, v31, v14
	s_delay_alu instid0(VALU_DEP_3) | instskip(NEXT) | instid1(VALU_DEP_2)
	v_pk_add_f32 v[128:129], v[128:129], v[42:43] neg_lo:[0,1] neg_hi:[0,1]
	v_pk_fma_f32 v[28:29], v[28:29], v[78:79], v[30:31] op_sel_hi:[1,1,0]
	s_delay_alu instid0(VALU_DEP_1) | instskip(SKIP_4) | instid1(VALU_DEP_1)
	v_mov_b32_e32 v33, v29
	ds_load_2addr_b64 v[28:31], v196 offset0:32 offset1:33
	v_pk_add_f32 v[124:125], v[124:125], v[32:33] neg_lo:[0,1] neg_hi:[0,1]
	s_wait_dscnt 0x0
	v_pk_mul_f32 v[32:33], v[28:29], v[18:19] op_sel:[0,1]
	v_pk_fma_f32 v[42:43], v[28:29], v[14:15], v[32:33] op_sel:[0,0,1] op_sel_hi:[1,1,0] neg_lo:[0,0,1] neg_hi:[0,0,1]
	v_pk_fma_f32 v[28:29], v[28:29], v[14:15], v[32:33] op_sel:[0,0,1] op_sel_hi:[1,0,0]
	s_delay_alu instid0(VALU_DEP_1) | instskip(SKIP_1) | instid1(VALU_DEP_1)
	v_mov_b32_e32 v43, v29
	v_pk_mul_f32 v[28:29], v[30:31], v[18:19] op_sel:[0,1]
	v_pk_fma_f32 v[32:33], v[30:31], v[14:15], v[28:29] op_sel:[0,0,1] op_sel_hi:[1,1,0] neg_lo:[0,0,1] neg_hi:[0,0,1]
	v_pk_fma_f32 v[28:29], v[30:31], v[14:15], v[28:29] op_sel:[0,0,1] op_sel_hi:[1,0,0]
	s_delay_alu instid0(VALU_DEP_1)
	v_mov_b32_e32 v33, v29
	ds_load_2addr_b64 v[28:31], v196 offset0:34 offset1:35
	v_pk_add_f32 v[146:147], v[146:147], v[42:43] neg_lo:[0,1] neg_hi:[0,1]
	v_pk_add_f32 v[142:143], v[142:143], v[32:33] neg_lo:[0,1] neg_hi:[0,1]
	s_wait_dscnt 0x0
	v_pk_mul_f32 v[32:33], v[28:29], v[18:19] op_sel:[0,1]
	s_delay_alu instid0(VALU_DEP_1) | instskip(SKIP_1) | instid1(VALU_DEP_1)
	v_pk_fma_f32 v[42:43], v[28:29], v[14:15], v[32:33] op_sel:[0,0,1] op_sel_hi:[1,1,0] neg_lo:[0,0,1] neg_hi:[0,0,1]
	v_pk_fma_f32 v[28:29], v[28:29], v[14:15], v[32:33] op_sel:[0,0,1] op_sel_hi:[1,0,0]
	v_mov_b32_e32 v43, v29
	v_pk_mul_f32 v[28:29], v[30:31], v[18:19] op_sel:[0,1]
	s_delay_alu instid0(VALU_DEP_1) | instskip(SKIP_1) | instid1(VALU_DEP_1)
	v_pk_fma_f32 v[32:33], v[30:31], v[14:15], v[28:29] op_sel:[0,0,1] op_sel_hi:[1,1,0] neg_lo:[0,0,1] neg_hi:[0,0,1]
	v_pk_fma_f32 v[28:29], v[30:31], v[14:15], v[28:29] op_sel:[0,0,1] op_sel_hi:[1,0,0]
	v_mov_b32_e32 v33, v29
	ds_load_2addr_b64 v[28:31], v196 offset0:36 offset1:37
	v_pk_add_f32 v[144:145], v[144:145], v[42:43] neg_lo:[0,1] neg_hi:[0,1]
	v_pk_add_f32 v[140:141], v[140:141], v[32:33] neg_lo:[0,1] neg_hi:[0,1]
	s_wait_dscnt 0x0
	v_dual_mul_f32 v32, v29, v19 :: v_dual_mul_f32 v42, v29, v14
	s_delay_alu instid0(VALU_DEP_1) | instskip(NEXT) | instid1(VALU_DEP_2)
	v_pk_fma_f32 v[32:33], v[28:29], v[78:79], v[32:33] op_sel_hi:[1,1,0] neg_lo:[0,0,1] neg_hi:[0,0,1]
	v_pk_fma_f32 v[28:29], v[28:29], v[78:79], v[42:43] op_sel:[1,0,0] op_sel_hi:[0,1,0]
	s_delay_alu instid0(VALU_DEP_1) | instskip(SKIP_1) | instid1(VALU_DEP_2)
	v_mov_b32_e32 v33, v29
	v_pk_mul_f32 v[28:29], v[30:31], v[18:19] op_sel:[0,1]
	v_pk_add_f32 v[162:163], v[162:163], v[32:33] neg_lo:[0,1] neg_hi:[0,1]
	s_delay_alu instid0(VALU_DEP_2) | instskip(SKIP_1) | instid1(VALU_DEP_1)
	v_pk_fma_f32 v[32:33], v[30:31], v[14:15], v[28:29] op_sel:[0,0,1] op_sel_hi:[1,1,0] neg_lo:[0,0,1] neg_hi:[0,0,1]
	v_pk_fma_f32 v[28:29], v[30:31], v[14:15], v[28:29] op_sel:[0,0,1] op_sel_hi:[1,0,0]
	v_mov_b32_e32 v33, v29
	ds_load_2addr_b64 v[28:31], v196 offset0:38 offset1:39
	v_pk_add_f32 v[158:159], v[158:159], v[32:33] neg_lo:[0,1] neg_hi:[0,1]
	s_wait_dscnt 0x0
	v_pk_mul_f32 v[32:33], v[28:29], v[18:19] op_sel:[0,1]
	s_delay_alu instid0(VALU_DEP_1) | instskip(SKIP_1) | instid1(VALU_DEP_1)
	v_pk_fma_f32 v[42:43], v[28:29], v[14:15], v[32:33] op_sel:[0,0,1] op_sel_hi:[1,1,0] neg_lo:[0,0,1] neg_hi:[0,0,1]
	v_pk_fma_f32 v[28:29], v[28:29], v[14:15], v[32:33] op_sel:[0,0,1] op_sel_hi:[1,0,0]
	v_mov_b32_e32 v43, v29
	v_pk_mul_f32 v[28:29], v[30:31], v[18:19] op_sel:[0,1]
	s_delay_alu instid0(VALU_DEP_2) | instskip(NEXT) | instid1(VALU_DEP_2)
	v_pk_add_f32 v[160:161], v[160:161], v[42:43] neg_lo:[0,1] neg_hi:[0,1]
	v_pk_fma_f32 v[32:33], v[30:31], v[14:15], v[28:29] op_sel:[0,0,1] op_sel_hi:[1,1,0] neg_lo:[0,0,1] neg_hi:[0,0,1]
	v_pk_fma_f32 v[28:29], v[30:31], v[14:15], v[28:29] op_sel:[0,0,1] op_sel_hi:[1,0,0]
	s_delay_alu instid0(VALU_DEP_1) | instskip(SKIP_4) | instid1(VALU_DEP_1)
	v_mov_b32_e32 v33, v29
	ds_load_2addr_b64 v[28:31], v196 offset0:40 offset1:41
	v_pk_add_f32 v[156:157], v[156:157], v[32:33] neg_lo:[0,1] neg_hi:[0,1]
	s_wait_dscnt 0x0
	v_pk_mul_f32 v[32:33], v[28:29], v[18:19] op_sel:[0,1]
	v_pk_fma_f32 v[42:43], v[28:29], v[14:15], v[32:33] op_sel:[0,0,1] op_sel_hi:[1,1,0] neg_lo:[0,0,1] neg_hi:[0,0,1]
	v_pk_fma_f32 v[28:29], v[28:29], v[14:15], v[32:33] op_sel:[0,0,1] op_sel_hi:[1,0,0]
	v_dual_mul_f32 v32, v31, v19 :: v_dual_mov_b32 v28, v31
	s_delay_alu instid0(VALU_DEP_2) | instskip(NEXT) | instid1(VALU_DEP_2)
	v_dual_mov_b32 v43, v29 :: v_dual_mov_b32 v29, v30
	v_pk_fma_f32 v[32:33], v[30:31], v[78:79], v[32:33] op_sel_hi:[1,1,0] neg_lo:[0,0,1] neg_hi:[0,0,1]
	v_mul_f32_e32 v30, v31, v14
	s_delay_alu instid0(VALU_DEP_3) | instskip(NEXT) | instid1(VALU_DEP_2)
	v_pk_add_f32 v[178:179], v[178:179], v[42:43] neg_lo:[0,1] neg_hi:[0,1]
	v_pk_fma_f32 v[28:29], v[28:29], v[78:79], v[30:31] op_sel_hi:[1,1,0]
	s_delay_alu instid0(VALU_DEP_1) | instskip(SKIP_4) | instid1(VALU_DEP_1)
	v_mov_b32_e32 v33, v29
	ds_load_2addr_b64 v[28:31], v196 offset0:42 offset1:43
	v_pk_add_f32 v[174:175], v[174:175], v[32:33] neg_lo:[0,1] neg_hi:[0,1]
	s_wait_dscnt 0x0
	v_pk_mul_f32 v[32:33], v[28:29], v[18:19] op_sel:[0,1]
	v_pk_fma_f32 v[42:43], v[28:29], v[14:15], v[32:33] op_sel:[0,0,1] op_sel_hi:[1,1,0] neg_lo:[0,0,1] neg_hi:[0,0,1]
	v_pk_fma_f32 v[28:29], v[28:29], v[14:15], v[32:33] op_sel:[0,0,1] op_sel_hi:[1,0,0]
	s_delay_alu instid0(VALU_DEP_1) | instskip(SKIP_1) | instid1(VALU_DEP_1)
	v_mov_b32_e32 v43, v29
	v_pk_mul_f32 v[28:29], v[30:31], v[18:19] op_sel:[0,1]
	v_pk_fma_f32 v[32:33], v[30:31], v[14:15], v[28:29] op_sel:[0,0,1] op_sel_hi:[1,1,0] neg_lo:[0,0,1] neg_hi:[0,0,1]
	v_pk_fma_f32 v[28:29], v[30:31], v[14:15], v[28:29] op_sel:[0,0,1] op_sel_hi:[1,0,0]
	s_delay_alu instid0(VALU_DEP_1)
	v_mov_b32_e32 v33, v29
	ds_load_2addr_b64 v[28:31], v196 offset0:44 offset1:45
	v_pk_add_f32 v[176:177], v[176:177], v[42:43] neg_lo:[0,1] neg_hi:[0,1]
	v_pk_add_f32 v[172:173], v[172:173], v[32:33] neg_lo:[0,1] neg_hi:[0,1]
	s_wait_dscnt 0x0
	v_pk_mul_f32 v[32:33], v[28:29], v[18:19] op_sel:[0,1]
	s_delay_alu instid0(VALU_DEP_1) | instskip(SKIP_1) | instid1(VALU_DEP_1)
	v_pk_fma_f32 v[42:43], v[28:29], v[14:15], v[32:33] op_sel:[0,0,1] op_sel_hi:[1,1,0] neg_lo:[0,0,1] neg_hi:[0,0,1]
	v_pk_fma_f32 v[28:29], v[28:29], v[14:15], v[32:33] op_sel:[0,0,1] op_sel_hi:[1,0,0]
	v_mov_b32_e32 v43, v29
	v_pk_mul_f32 v[28:29], v[30:31], v[18:19] op_sel:[0,1]
	s_delay_alu instid0(VALU_DEP_1) | instskip(SKIP_1) | instid1(VALU_DEP_1)
	v_pk_fma_f32 v[32:33], v[30:31], v[14:15], v[28:29] op_sel:[0,0,1] op_sel_hi:[1,1,0] neg_lo:[0,0,1] neg_hi:[0,0,1]
	v_pk_fma_f32 v[28:29], v[30:31], v[14:15], v[28:29] op_sel:[0,0,1] op_sel_hi:[1,0,0]
	v_mov_b32_e32 v33, v29
	ds_load_2addr_b64 v[28:31], v196 offset0:46 offset1:47
	v_pk_add_f32 v[194:195], v[194:195], v[42:43] neg_lo:[0,1] neg_hi:[0,1]
	v_pk_add_f32 v[190:191], v[190:191], v[32:33] neg_lo:[0,1] neg_hi:[0,1]
	s_wait_dscnt 0x0
	v_dual_mul_f32 v32, v29, v19 :: v_dual_mul_f32 v42, v29, v14
	s_delay_alu instid0(VALU_DEP_1) | instskip(NEXT) | instid1(VALU_DEP_2)
	v_pk_fma_f32 v[32:33], v[28:29], v[78:79], v[32:33] op_sel_hi:[1,1,0] neg_lo:[0,0,1] neg_hi:[0,0,1]
	v_pk_fma_f32 v[28:29], v[28:29], v[78:79], v[42:43] op_sel:[1,0,0] op_sel_hi:[0,1,0]
	s_delay_alu instid0(VALU_DEP_1) | instskip(SKIP_1) | instid1(VALU_DEP_2)
	v_mov_b32_e32 v33, v29
	v_pk_mul_f32 v[28:29], v[30:31], v[18:19] op_sel:[0,1]
	v_pk_add_f32 v[192:193], v[192:193], v[32:33] neg_lo:[0,1] neg_hi:[0,1]
	s_delay_alu instid0(VALU_DEP_2) | instskip(SKIP_1) | instid1(VALU_DEP_1)
	v_pk_fma_f32 v[32:33], v[30:31], v[14:15], v[28:29] op_sel:[0,0,1] op_sel_hi:[1,1,0] neg_lo:[0,0,1] neg_hi:[0,0,1]
	v_pk_fma_f32 v[28:29], v[30:31], v[14:15], v[28:29] op_sel:[0,0,1] op_sel_hi:[1,0,0]
	v_mov_b32_e32 v33, v29
	ds_load_2addr_b64 v[28:31], v196 offset0:48 offset1:49
	v_pk_add_f32 v[188:189], v[188:189], v[32:33] neg_lo:[0,1] neg_hi:[0,1]
	s_wait_dscnt 0x0
	v_pk_mul_f32 v[32:33], v[28:29], v[18:19] op_sel:[0,1]
	s_delay_alu instid0(VALU_DEP_1) | instskip(SKIP_1) | instid1(VALU_DEP_1)
	v_pk_fma_f32 v[42:43], v[28:29], v[14:15], v[32:33] op_sel:[0,0,1] op_sel_hi:[1,1,0] neg_lo:[0,0,1] neg_hi:[0,0,1]
	v_pk_fma_f32 v[28:29], v[28:29], v[14:15], v[32:33] op_sel:[0,0,1] op_sel_hi:[1,0,0]
	v_mov_b32_e32 v43, v29
	v_pk_mul_f32 v[28:29], v[30:31], v[18:19] op_sel:[0,1]
	s_delay_alu instid0(VALU_DEP_2) | instskip(NEXT) | instid1(VALU_DEP_2)
	v_pk_add_f32 v[212:213], v[212:213], v[42:43] neg_lo:[0,1] neg_hi:[0,1]
	v_pk_fma_f32 v[32:33], v[30:31], v[14:15], v[28:29] op_sel:[0,0,1] op_sel_hi:[1,1,0] neg_lo:[0,0,1] neg_hi:[0,0,1]
	v_pk_fma_f32 v[28:29], v[30:31], v[14:15], v[28:29] op_sel:[0,0,1] op_sel_hi:[1,0,0]
	s_delay_alu instid0(VALU_DEP_1) | instskip(SKIP_4) | instid1(VALU_DEP_1)
	v_mov_b32_e32 v33, v29
	ds_load_2addr_b64 v[28:31], v196 offset0:50 offset1:51
	v_pk_add_f32 v[208:209], v[208:209], v[32:33] neg_lo:[0,1] neg_hi:[0,1]
	s_wait_dscnt 0x0
	v_pk_mul_f32 v[32:33], v[28:29], v[18:19] op_sel:[0,1]
	v_pk_fma_f32 v[42:43], v[28:29], v[14:15], v[32:33] op_sel:[0,0,1] op_sel_hi:[1,1,0] neg_lo:[0,0,1] neg_hi:[0,0,1]
	v_pk_fma_f32 v[28:29], v[28:29], v[14:15], v[32:33] op_sel:[0,0,1] op_sel_hi:[1,0,0]
	v_dual_mul_f32 v32, v31, v19 :: v_dual_mov_b32 v28, v31
	s_delay_alu instid0(VALU_DEP_2) | instskip(NEXT) | instid1(VALU_DEP_2)
	v_dual_mov_b32 v43, v29 :: v_dual_mov_b32 v29, v30
	v_pk_fma_f32 v[32:33], v[30:31], v[78:79], v[32:33] op_sel_hi:[1,1,0] neg_lo:[0,0,1] neg_hi:[0,0,1]
	v_mul_f32_e32 v30, v31, v14
	s_delay_alu instid0(VALU_DEP_3) | instskip(NEXT) | instid1(VALU_DEP_2)
	v_pk_add_f32 v[210:211], v[210:211], v[42:43] neg_lo:[0,1] neg_hi:[0,1]
	v_pk_fma_f32 v[28:29], v[28:29], v[78:79], v[30:31] op_sel_hi:[1,1,0]
	s_delay_alu instid0(VALU_DEP_1) | instskip(SKIP_4) | instid1(VALU_DEP_1)
	v_mov_b32_e32 v33, v29
	ds_load_2addr_b64 v[28:31], v196 offset0:52 offset1:53
	v_pk_add_f32 v[206:207], v[206:207], v[32:33] neg_lo:[0,1] neg_hi:[0,1]
	s_wait_dscnt 0x0
	v_pk_mul_f32 v[32:33], v[28:29], v[18:19] op_sel:[0,1]
	v_pk_fma_f32 v[42:43], v[28:29], v[14:15], v[32:33] op_sel:[0,0,1] op_sel_hi:[1,1,0] neg_lo:[0,0,1] neg_hi:[0,0,1]
	v_pk_fma_f32 v[28:29], v[28:29], v[14:15], v[32:33] op_sel:[0,0,1] op_sel_hi:[1,0,0]
	s_delay_alu instid0(VALU_DEP_1) | instskip(SKIP_1) | instid1(VALU_DEP_1)
	v_mov_b32_e32 v43, v29
	v_pk_mul_f32 v[28:29], v[30:31], v[18:19] op_sel:[0,1]
	v_pk_fma_f32 v[32:33], v[30:31], v[14:15], v[28:29] op_sel:[0,0,1] op_sel_hi:[1,1,0] neg_lo:[0,0,1] neg_hi:[0,0,1]
	v_pk_fma_f32 v[28:29], v[30:31], v[14:15], v[28:29] op_sel:[0,0,1] op_sel_hi:[1,0,0]
	s_delay_alu instid0(VALU_DEP_1)
	v_mov_b32_e32 v33, v29
	ds_load_2addr_b64 v[28:31], v196 offset0:54 offset1:55
	v_pk_add_f32 v[228:229], v[228:229], v[42:43] neg_lo:[0,1] neg_hi:[0,1]
	v_pk_add_f32 v[224:225], v[224:225], v[32:33] neg_lo:[0,1] neg_hi:[0,1]
	s_wait_dscnt 0x0
	v_pk_mul_f32 v[32:33], v[28:29], v[18:19] op_sel:[0,1]
	s_delay_alu instid0(VALU_DEP_1) | instskip(SKIP_1) | instid1(VALU_DEP_1)
	v_pk_fma_f32 v[42:43], v[28:29], v[14:15], v[32:33] op_sel:[0,0,1] op_sel_hi:[1,1,0] neg_lo:[0,0,1] neg_hi:[0,0,1]
	v_pk_fma_f32 v[28:29], v[28:29], v[14:15], v[32:33] op_sel:[0,0,1] op_sel_hi:[1,0,0]
	v_mov_b32_e32 v43, v29
	v_pk_mul_f32 v[28:29], v[30:31], v[18:19] op_sel:[0,1]
	s_delay_alu instid0(VALU_DEP_1) | instskip(SKIP_1) | instid1(VALU_DEP_1)
	v_pk_fma_f32 v[32:33], v[30:31], v[14:15], v[28:29] op_sel:[0,0,1] op_sel_hi:[1,1,0] neg_lo:[0,0,1] neg_hi:[0,0,1]
	v_pk_fma_f32 v[28:29], v[30:31], v[14:15], v[28:29] op_sel:[0,0,1] op_sel_hi:[1,0,0]
	v_mov_b32_e32 v33, v29
	ds_load_2addr_b64 v[28:31], v196 offset0:56 offset1:57
	v_pk_add_f32 v[226:227], v[226:227], v[42:43] neg_lo:[0,1] neg_hi:[0,1]
	v_pk_add_f32 v[222:223], v[222:223], v[32:33] neg_lo:[0,1] neg_hi:[0,1]
	s_wait_dscnt 0x0
	v_dual_mul_f32 v32, v29, v19 :: v_dual_mul_f32 v42, v29, v14
	v_pk_mul_f32 v[18:19], v[30:31], v[18:19] op_sel:[0,1]
	s_delay_alu instid0(VALU_DEP_2) | instskip(NEXT) | instid1(VALU_DEP_3)
	v_pk_fma_f32 v[32:33], v[28:29], v[78:79], v[32:33] op_sel_hi:[1,1,0] neg_lo:[0,0,1] neg_hi:[0,0,1]
	v_pk_fma_f32 v[28:29], v[28:29], v[78:79], v[42:43] op_sel:[1,0,0] op_sel_hi:[0,1,0]
	s_delay_alu instid0(VALU_DEP_1) | instskip(NEXT) | instid1(VALU_DEP_4)
	v_mov_b32_e32 v33, v29
	v_pk_fma_f32 v[28:29], v[30:31], v[14:15], v[18:19] op_sel:[0,0,1] op_sel_hi:[1,1,0] neg_lo:[0,0,1] neg_hi:[0,0,1]
	v_pk_fma_f32 v[14:15], v[30:31], v[14:15], v[18:19] op_sel:[0,0,1] op_sel_hi:[1,0,0]
	s_delay_alu instid0(VALU_DEP_1) | instskip(NEXT) | instid1(VALU_DEP_4)
	v_mov_b32_e32 v29, v15
	v_pk_add_f32 v[230:231], v[230:231], v[32:33] neg_lo:[0,1] neg_hi:[0,1]
	s_delay_alu instid0(VALU_DEP_2)
	v_pk_add_f32 v[232:233], v[232:233], v[28:29] neg_lo:[0,1] neg_hi:[0,1]
.LBB115_163:
	s_or_b32 exec_lo, exec_lo, s1
	s_delay_alu instid0(SALU_CYCLE_1)
	s_mov_b32 s2, exec_lo
	s_wait_dscnt 0x0
	s_barrier_signal -1
	s_barrier_wait -1
	v_cmpx_eq_u32_e32 18, v186
	s_cbranch_execz .LBB115_170
; %bb.164:
	ds_store_b64 v187, v[80:81]
	ds_store_2addr_b64 v196, v[76:77], v[98:99] offset0:19 offset1:20
	ds_store_2addr_b64 v196, v[94:95], v[96:97] offset0:21 offset1:22
	;; [unrolled: 1-line block ×19, first 2 shown]
	ds_store_b64 v196, v[232:233] offset:456
	ds_load_b64 v[14:15], v187
	s_wait_dscnt 0x0
	v_cmp_neq_f32_e32 vcc_lo, 0, v14
	v_cmp_neq_f32_e64 s1, 0, v15
	s_or_b32 s1, vcc_lo, s1
	s_delay_alu instid0(SALU_CYCLE_1)
	s_and_b32 exec_lo, exec_lo, s1
	s_cbranch_execz .LBB115_170
; %bb.165:
	v_cmp_ngt_f32_e64 s1, |v14|, |v15|
                                        ; implicit-def: $vgpr18_vgpr19
	s_and_saveexec_b32 s4, s1
	s_delay_alu instid0(SALU_CYCLE_1)
	s_xor_b32 s1, exec_lo, s4
	s_cbranch_execz .LBB115_167
; %bb.166:
	v_div_scale_f32 v18, null, v15, v15, v14
	v_div_scale_f32 v29, vcc_lo, v14, v15, v14
	s_delay_alu instid0(VALU_DEP_2) | instskip(SKIP_1) | instid1(TRANS32_DEP_1)
	v_rcp_f32_e32 v19, v18
	v_nop
	v_fma_f32 v28, -v18, v19, 1.0
	s_delay_alu instid0(VALU_DEP_1) | instskip(NEXT) | instid1(VALU_DEP_1)
	v_fmac_f32_e32 v19, v28, v19
	v_mul_f32_e32 v28, v29, v19
	s_delay_alu instid0(VALU_DEP_1) | instskip(NEXT) | instid1(VALU_DEP_1)
	v_fma_f32 v30, -v18, v28, v29
	v_fmac_f32_e32 v28, v30, v19
	s_delay_alu instid0(VALU_DEP_1) | instskip(NEXT) | instid1(VALU_DEP_1)
	v_fma_f32 v18, -v18, v28, v29
	v_div_fmas_f32 v18, v18, v19, v28
	s_delay_alu instid0(VALU_DEP_1) | instskip(NEXT) | instid1(VALU_DEP_1)
	v_div_fixup_f32 v18, v18, v15, v14
	v_fmac_f32_e32 v15, v14, v18
	s_delay_alu instid0(VALU_DEP_1) | instskip(SKIP_1) | instid1(VALU_DEP_2)
	v_div_scale_f32 v14, null, v15, v15, 1.0
	v_div_scale_f32 v29, vcc_lo, 1.0, v15, 1.0
	v_rcp_f32_e32 v19, v14
	v_nop
	s_delay_alu instid0(TRANS32_DEP_1) | instskip(NEXT) | instid1(VALU_DEP_1)
	v_fma_f32 v28, -v14, v19, 1.0
	v_fmac_f32_e32 v19, v28, v19
	s_delay_alu instid0(VALU_DEP_1) | instskip(NEXT) | instid1(VALU_DEP_1)
	v_mul_f32_e32 v28, v29, v19
	v_fma_f32 v30, -v14, v28, v29
	s_delay_alu instid0(VALU_DEP_1) | instskip(NEXT) | instid1(VALU_DEP_1)
	v_fmac_f32_e32 v28, v30, v19
	v_fma_f32 v14, -v14, v28, v29
	s_delay_alu instid0(VALU_DEP_1) | instskip(NEXT) | instid1(VALU_DEP_1)
	v_div_fmas_f32 v14, v14, v19, v28
	v_div_fixup_f32 v14, v14, v15, 1.0
	s_delay_alu instid0(VALU_DEP_1)
	v_mul_f32_e32 v18, v18, v14
	v_xor_b32_e32 v19, 0x80000000, v14
                                        ; implicit-def: $vgpr14_vgpr15
.LBB115_167:
	s_and_not1_saveexec_b32 s1, s1
	s_cbranch_execz .LBB115_169
; %bb.168:
	v_div_scale_f32 v18, null, v14, v14, v15
	v_div_scale_f32 v29, vcc_lo, v15, v14, v15
	s_delay_alu instid0(VALU_DEP_2) | instskip(SKIP_1) | instid1(TRANS32_DEP_1)
	v_rcp_f32_e32 v19, v18
	v_nop
	v_fma_f32 v28, -v18, v19, 1.0
	s_delay_alu instid0(VALU_DEP_1) | instskip(NEXT) | instid1(VALU_DEP_1)
	v_fmac_f32_e32 v19, v28, v19
	v_mul_f32_e32 v28, v29, v19
	s_delay_alu instid0(VALU_DEP_1) | instskip(NEXT) | instid1(VALU_DEP_1)
	v_fma_f32 v30, -v18, v28, v29
	v_fmac_f32_e32 v28, v30, v19
	s_delay_alu instid0(VALU_DEP_1) | instskip(NEXT) | instid1(VALU_DEP_1)
	v_fma_f32 v18, -v18, v28, v29
	v_div_fmas_f32 v18, v18, v19, v28
	s_delay_alu instid0(VALU_DEP_1) | instskip(NEXT) | instid1(VALU_DEP_1)
	v_div_fixup_f32 v19, v18, v14, v15
	v_fmac_f32_e32 v14, v15, v19
	s_delay_alu instid0(VALU_DEP_1) | instskip(NEXT) | instid1(VALU_DEP_1)
	v_div_scale_f32 v15, null, v14, v14, 1.0
	v_rcp_f32_e32 v18, v15
	v_nop
	s_delay_alu instid0(TRANS32_DEP_1) | instskip(NEXT) | instid1(VALU_DEP_1)
	v_fma_f32 v28, -v15, v18, 1.0
	v_fmac_f32_e32 v18, v28, v18
	v_div_scale_f32 v28, vcc_lo, 1.0, v14, 1.0
	s_delay_alu instid0(VALU_DEP_1) | instskip(NEXT) | instid1(VALU_DEP_1)
	v_mul_f32_e32 v29, v28, v18
	v_fma_f32 v30, -v15, v29, v28
	s_delay_alu instid0(VALU_DEP_1) | instskip(NEXT) | instid1(VALU_DEP_1)
	v_fmac_f32_e32 v29, v30, v18
	v_fma_f32 v15, -v15, v29, v28
	s_delay_alu instid0(VALU_DEP_1) | instskip(NEXT) | instid1(VALU_DEP_1)
	v_div_fmas_f32 v15, v15, v18, v29
	v_div_fixup_f32 v18, v15, v14, 1.0
	s_delay_alu instid0(VALU_DEP_1)
	v_mul_f32_e64 v19, v19, -v18
.LBB115_169:
	s_or_b32 exec_lo, exec_lo, s1
	ds_store_b64 v187, v[18:19]
.LBB115_170:
	s_or_b32 exec_lo, exec_lo, s2
	s_wait_dscnt 0x0
	s_barrier_signal -1
	s_barrier_wait -1
	ds_load_b64 v[14:15], v187
	s_mov_b32 s1, exec_lo
	v_cmpx_lt_u32_e32 18, v186
	s_cbranch_execz .LBB115_172
; %bb.171:
	ds_load_2addr_b64 v[30:33], v196 offset0:19 offset1:20
	s_wait_dscnt 0x1
	v_pk_mul_f32 v[28:29], v[14:15], v[80:81] op_sel:[1,1] op_sel_hi:[0,1]
	s_delay_alu instid0(VALU_DEP_1) | instskip(SKIP_1) | instid1(VALU_DEP_1)
	v_pk_fma_f32 v[18:19], v[14:15], v[80:81], v[28:29] op_sel_hi:[1,0,1] neg_lo:[0,0,1] neg_hi:[0,0,1]
	v_pk_fma_f32 v[28:29], v[14:15], v[80:81], v[28:29] op_sel_hi:[1,0,1]
	v_dual_mov_b32 v80, v18 :: v_dual_mov_b32 v81, v29
	s_wait_dscnt 0x0
	s_delay_alu instid0(VALU_DEP_2) | instskip(NEXT) | instid1(VALU_DEP_1)
	v_pk_mul_f32 v[42:43], v[30:31], v[28:29] op_sel:[0,1]
	v_pk_fma_f32 v[48:49], v[30:31], v[18:19], v[42:43] op_sel:[0,0,1] op_sel_hi:[1,1,0] neg_lo:[0,0,1] neg_hi:[0,0,1]
	v_pk_fma_f32 v[30:31], v[30:31], v[18:19], v[42:43] op_sel:[0,0,1] op_sel_hi:[1,0,0]
	s_delay_alu instid0(VALU_DEP_1) | instskip(SKIP_1) | instid1(VALU_DEP_1)
	v_mov_b32_e32 v49, v31
	v_pk_mul_f32 v[30:31], v[32:33], v[28:29] op_sel:[0,1]
	v_pk_fma_f32 v[42:43], v[32:33], v[18:19], v[30:31] op_sel:[0,0,1] op_sel_hi:[1,1,0] neg_lo:[0,0,1] neg_hi:[0,0,1]
	v_pk_fma_f32 v[30:31], v[32:33], v[18:19], v[30:31] op_sel:[0,0,1] op_sel_hi:[1,0,0]
	s_delay_alu instid0(VALU_DEP_1)
	v_mov_b32_e32 v43, v31
	ds_load_2addr_b64 v[30:33], v196 offset0:21 offset1:22
	v_pk_add_f32 v[76:77], v[76:77], v[48:49] neg_lo:[0,1] neg_hi:[0,1]
	v_pk_add_f32 v[98:99], v[98:99], v[42:43] neg_lo:[0,1] neg_hi:[0,1]
	s_wait_dscnt 0x0
	v_pk_mul_f32 v[42:43], v[30:31], v[28:29] op_sel:[0,1]
	s_delay_alu instid0(VALU_DEP_1) | instskip(SKIP_2) | instid1(VALU_DEP_2)
	v_pk_fma_f32 v[48:49], v[30:31], v[18:19], v[42:43] op_sel:[0,0,1] op_sel_hi:[1,1,0] neg_lo:[0,0,1] neg_hi:[0,0,1]
	v_pk_fma_f32 v[30:31], v[30:31], v[18:19], v[42:43] op_sel:[0,0,1] op_sel_hi:[1,0,0]
	v_dual_mul_f32 v42, v33, v29 :: v_dual_mov_b32 v30, v33
	v_dual_mov_b32 v49, v31 :: v_dual_mov_b32 v31, v32
	s_delay_alu instid0(VALU_DEP_2) | instskip(SKIP_1) | instid1(VALU_DEP_3)
	v_pk_fma_f32 v[42:43], v[32:33], v[80:81], v[42:43] op_sel_hi:[1,1,0] neg_lo:[0,0,1] neg_hi:[0,0,1]
	v_mul_f32_e32 v32, v33, v18
	v_pk_add_f32 v[94:95], v[94:95], v[48:49] neg_lo:[0,1] neg_hi:[0,1]
	s_delay_alu instid0(VALU_DEP_2) | instskip(NEXT) | instid1(VALU_DEP_1)
	v_pk_fma_f32 v[30:31], v[30:31], v[80:81], v[32:33] op_sel_hi:[1,1,0]
	v_mov_b32_e32 v43, v31
	ds_load_2addr_b64 v[30:33], v196 offset0:23 offset1:24
	v_pk_add_f32 v[96:97], v[96:97], v[42:43] neg_lo:[0,1] neg_hi:[0,1]
	s_wait_dscnt 0x0
	v_pk_mul_f32 v[42:43], v[30:31], v[28:29] op_sel:[0,1]
	s_delay_alu instid0(VALU_DEP_1) | instskip(SKIP_1) | instid1(VALU_DEP_1)
	v_pk_fma_f32 v[48:49], v[30:31], v[18:19], v[42:43] op_sel:[0,0,1] op_sel_hi:[1,1,0] neg_lo:[0,0,1] neg_hi:[0,0,1]
	v_pk_fma_f32 v[30:31], v[30:31], v[18:19], v[42:43] op_sel:[0,0,1] op_sel_hi:[1,0,0]
	v_mov_b32_e32 v49, v31
	v_pk_mul_f32 v[30:31], v[32:33], v[28:29] op_sel:[0,1]
	s_delay_alu instid0(VALU_DEP_1) | instskip(SKIP_1) | instid1(VALU_DEP_1)
	v_pk_fma_f32 v[42:43], v[32:33], v[18:19], v[30:31] op_sel:[0,0,1] op_sel_hi:[1,1,0] neg_lo:[0,0,1] neg_hi:[0,0,1]
	v_pk_fma_f32 v[30:31], v[32:33], v[18:19], v[30:31] op_sel:[0,0,1] op_sel_hi:[1,0,0]
	v_mov_b32_e32 v43, v31
	ds_load_2addr_b64 v[30:33], v196 offset0:25 offset1:26
	v_pk_add_f32 v[92:93], v[92:93], v[48:49] neg_lo:[0,1] neg_hi:[0,1]
	v_pk_add_f32 v[114:115], v[114:115], v[42:43] neg_lo:[0,1] neg_hi:[0,1]
	s_wait_dscnt 0x0
	v_pk_mul_f32 v[42:43], v[30:31], v[28:29] op_sel:[0,1]
	s_delay_alu instid0(VALU_DEP_1) | instskip(SKIP_1) | instid1(VALU_DEP_1)
	v_pk_fma_f32 v[48:49], v[30:31], v[18:19], v[42:43] op_sel:[0,0,1] op_sel_hi:[1,1,0] neg_lo:[0,0,1] neg_hi:[0,0,1]
	v_pk_fma_f32 v[30:31], v[30:31], v[18:19], v[42:43] op_sel:[0,0,1] op_sel_hi:[1,0,0]
	v_mov_b32_e32 v49, v31
	v_pk_mul_f32 v[30:31], v[32:33], v[28:29] op_sel:[0,1]
	s_delay_alu instid0(VALU_DEP_1) | instskip(SKIP_1) | instid1(VALU_DEP_1)
	v_pk_fma_f32 v[42:43], v[32:33], v[18:19], v[30:31] op_sel:[0,0,1] op_sel_hi:[1,1,0] neg_lo:[0,0,1] neg_hi:[0,0,1]
	v_pk_fma_f32 v[30:31], v[32:33], v[18:19], v[30:31] op_sel:[0,0,1] op_sel_hi:[1,0,0]
	v_mov_b32_e32 v43, v31
	ds_load_2addr_b64 v[30:33], v196 offset0:27 offset1:28
	v_pk_add_f32 v[110:111], v[110:111], v[48:49] neg_lo:[0,1] neg_hi:[0,1]
	v_pk_add_f32 v[112:113], v[112:113], v[42:43] neg_lo:[0,1] neg_hi:[0,1]
	s_wait_dscnt 0x0
	v_dual_mul_f32 v42, v31, v29 :: v_dual_mul_f32 v48, v31, v18
	s_delay_alu instid0(VALU_DEP_1) | instskip(NEXT) | instid1(VALU_DEP_2)
	v_pk_fma_f32 v[42:43], v[30:31], v[80:81], v[42:43] op_sel_hi:[1,1,0] neg_lo:[0,0,1] neg_hi:[0,0,1]
	v_pk_fma_f32 v[30:31], v[30:31], v[80:81], v[48:49] op_sel:[1,0,0] op_sel_hi:[0,1,0]
	s_delay_alu instid0(VALU_DEP_1) | instskip(SKIP_1) | instid1(VALU_DEP_2)
	v_mov_b32_e32 v43, v31
	v_pk_mul_f32 v[30:31], v[32:33], v[28:29] op_sel:[0,1]
	v_pk_add_f32 v[108:109], v[108:109], v[42:43] neg_lo:[0,1] neg_hi:[0,1]
	s_delay_alu instid0(VALU_DEP_2) | instskip(SKIP_1) | instid1(VALU_DEP_1)
	v_pk_fma_f32 v[42:43], v[32:33], v[18:19], v[30:31] op_sel:[0,0,1] op_sel_hi:[1,1,0] neg_lo:[0,0,1] neg_hi:[0,0,1]
	v_pk_fma_f32 v[30:31], v[32:33], v[18:19], v[30:31] op_sel:[0,0,1] op_sel_hi:[1,0,0]
	v_mov_b32_e32 v43, v31
	ds_load_2addr_b64 v[30:33], v196 offset0:29 offset1:30
	v_pk_add_f32 v[130:131], v[130:131], v[42:43] neg_lo:[0,1] neg_hi:[0,1]
	s_wait_dscnt 0x0
	v_pk_mul_f32 v[42:43], v[30:31], v[28:29] op_sel:[0,1]
	s_delay_alu instid0(VALU_DEP_1) | instskip(SKIP_1) | instid1(VALU_DEP_1)
	v_pk_fma_f32 v[48:49], v[30:31], v[18:19], v[42:43] op_sel:[0,0,1] op_sel_hi:[1,1,0] neg_lo:[0,0,1] neg_hi:[0,0,1]
	v_pk_fma_f32 v[30:31], v[30:31], v[18:19], v[42:43] op_sel:[0,0,1] op_sel_hi:[1,0,0]
	v_mov_b32_e32 v49, v31
	v_pk_mul_f32 v[30:31], v[32:33], v[28:29] op_sel:[0,1]
	s_delay_alu instid0(VALU_DEP_2) | instskip(NEXT) | instid1(VALU_DEP_2)
	v_pk_add_f32 v[126:127], v[126:127], v[48:49] neg_lo:[0,1] neg_hi:[0,1]
	v_pk_fma_f32 v[42:43], v[32:33], v[18:19], v[30:31] op_sel:[0,0,1] op_sel_hi:[1,1,0] neg_lo:[0,0,1] neg_hi:[0,0,1]
	v_pk_fma_f32 v[30:31], v[32:33], v[18:19], v[30:31] op_sel:[0,0,1] op_sel_hi:[1,0,0]
	s_delay_alu instid0(VALU_DEP_1) | instskip(SKIP_4) | instid1(VALU_DEP_1)
	v_mov_b32_e32 v43, v31
	ds_load_2addr_b64 v[30:33], v196 offset0:31 offset1:32
	v_pk_add_f32 v[128:129], v[128:129], v[42:43] neg_lo:[0,1] neg_hi:[0,1]
	s_wait_dscnt 0x0
	v_pk_mul_f32 v[42:43], v[30:31], v[28:29] op_sel:[0,1]
	v_pk_fma_f32 v[48:49], v[30:31], v[18:19], v[42:43] op_sel:[0,0,1] op_sel_hi:[1,1,0] neg_lo:[0,0,1] neg_hi:[0,0,1]
	v_pk_fma_f32 v[30:31], v[30:31], v[18:19], v[42:43] op_sel:[0,0,1] op_sel_hi:[1,0,0]
	v_dual_mul_f32 v42, v33, v29 :: v_dual_mov_b32 v30, v33
	s_delay_alu instid0(VALU_DEP_2) | instskip(NEXT) | instid1(VALU_DEP_2)
	v_dual_mov_b32 v49, v31 :: v_dual_mov_b32 v31, v32
	v_pk_fma_f32 v[42:43], v[32:33], v[80:81], v[42:43] op_sel_hi:[1,1,0] neg_lo:[0,0,1] neg_hi:[0,0,1]
	v_mul_f32_e32 v32, v33, v18
	s_delay_alu instid0(VALU_DEP_3) | instskip(NEXT) | instid1(VALU_DEP_2)
	v_pk_add_f32 v[124:125], v[124:125], v[48:49] neg_lo:[0,1] neg_hi:[0,1]
	v_pk_fma_f32 v[30:31], v[30:31], v[80:81], v[32:33] op_sel_hi:[1,1,0]
	s_delay_alu instid0(VALU_DEP_1) | instskip(SKIP_4) | instid1(VALU_DEP_1)
	v_mov_b32_e32 v43, v31
	ds_load_2addr_b64 v[30:33], v196 offset0:33 offset1:34
	v_pk_add_f32 v[146:147], v[146:147], v[42:43] neg_lo:[0,1] neg_hi:[0,1]
	s_wait_dscnt 0x0
	v_pk_mul_f32 v[42:43], v[30:31], v[28:29] op_sel:[0,1]
	v_pk_fma_f32 v[48:49], v[30:31], v[18:19], v[42:43] op_sel:[0,0,1] op_sel_hi:[1,1,0] neg_lo:[0,0,1] neg_hi:[0,0,1]
	v_pk_fma_f32 v[30:31], v[30:31], v[18:19], v[42:43] op_sel:[0,0,1] op_sel_hi:[1,0,0]
	s_delay_alu instid0(VALU_DEP_1) | instskip(SKIP_1) | instid1(VALU_DEP_1)
	v_mov_b32_e32 v49, v31
	v_pk_mul_f32 v[30:31], v[32:33], v[28:29] op_sel:[0,1]
	v_pk_fma_f32 v[42:43], v[32:33], v[18:19], v[30:31] op_sel:[0,0,1] op_sel_hi:[1,1,0] neg_lo:[0,0,1] neg_hi:[0,0,1]
	v_pk_fma_f32 v[30:31], v[32:33], v[18:19], v[30:31] op_sel:[0,0,1] op_sel_hi:[1,0,0]
	s_delay_alu instid0(VALU_DEP_1)
	v_mov_b32_e32 v43, v31
	ds_load_2addr_b64 v[30:33], v196 offset0:35 offset1:36
	v_pk_add_f32 v[142:143], v[142:143], v[48:49] neg_lo:[0,1] neg_hi:[0,1]
	v_pk_add_f32 v[144:145], v[144:145], v[42:43] neg_lo:[0,1] neg_hi:[0,1]
	s_wait_dscnt 0x0
	v_pk_mul_f32 v[42:43], v[30:31], v[28:29] op_sel:[0,1]
	s_delay_alu instid0(VALU_DEP_1) | instskip(SKIP_1) | instid1(VALU_DEP_1)
	v_pk_fma_f32 v[48:49], v[30:31], v[18:19], v[42:43] op_sel:[0,0,1] op_sel_hi:[1,1,0] neg_lo:[0,0,1] neg_hi:[0,0,1]
	v_pk_fma_f32 v[30:31], v[30:31], v[18:19], v[42:43] op_sel:[0,0,1] op_sel_hi:[1,0,0]
	v_mov_b32_e32 v49, v31
	v_pk_mul_f32 v[30:31], v[32:33], v[28:29] op_sel:[0,1]
	s_delay_alu instid0(VALU_DEP_1) | instskip(SKIP_1) | instid1(VALU_DEP_1)
	v_pk_fma_f32 v[42:43], v[32:33], v[18:19], v[30:31] op_sel:[0,0,1] op_sel_hi:[1,1,0] neg_lo:[0,0,1] neg_hi:[0,0,1]
	v_pk_fma_f32 v[30:31], v[32:33], v[18:19], v[30:31] op_sel:[0,0,1] op_sel_hi:[1,0,0]
	v_mov_b32_e32 v43, v31
	ds_load_2addr_b64 v[30:33], v196 offset0:37 offset1:38
	v_pk_add_f32 v[140:141], v[140:141], v[48:49] neg_lo:[0,1] neg_hi:[0,1]
	v_pk_add_f32 v[162:163], v[162:163], v[42:43] neg_lo:[0,1] neg_hi:[0,1]
	s_wait_dscnt 0x0
	v_dual_mul_f32 v42, v31, v29 :: v_dual_mul_f32 v48, v31, v18
	s_delay_alu instid0(VALU_DEP_1) | instskip(NEXT) | instid1(VALU_DEP_2)
	v_pk_fma_f32 v[42:43], v[30:31], v[80:81], v[42:43] op_sel_hi:[1,1,0] neg_lo:[0,0,1] neg_hi:[0,0,1]
	v_pk_fma_f32 v[30:31], v[30:31], v[80:81], v[48:49] op_sel:[1,0,0] op_sel_hi:[0,1,0]
	s_delay_alu instid0(VALU_DEP_1) | instskip(SKIP_1) | instid1(VALU_DEP_2)
	v_mov_b32_e32 v43, v31
	v_pk_mul_f32 v[30:31], v[32:33], v[28:29] op_sel:[0,1]
	v_pk_add_f32 v[158:159], v[158:159], v[42:43] neg_lo:[0,1] neg_hi:[0,1]
	s_delay_alu instid0(VALU_DEP_2) | instskip(SKIP_1) | instid1(VALU_DEP_1)
	v_pk_fma_f32 v[42:43], v[32:33], v[18:19], v[30:31] op_sel:[0,0,1] op_sel_hi:[1,1,0] neg_lo:[0,0,1] neg_hi:[0,0,1]
	v_pk_fma_f32 v[30:31], v[32:33], v[18:19], v[30:31] op_sel:[0,0,1] op_sel_hi:[1,0,0]
	v_mov_b32_e32 v43, v31
	ds_load_2addr_b64 v[30:33], v196 offset0:39 offset1:40
	v_pk_add_f32 v[160:161], v[160:161], v[42:43] neg_lo:[0,1] neg_hi:[0,1]
	s_wait_dscnt 0x0
	v_pk_mul_f32 v[42:43], v[30:31], v[28:29] op_sel:[0,1]
	s_delay_alu instid0(VALU_DEP_1) | instskip(SKIP_1) | instid1(VALU_DEP_1)
	v_pk_fma_f32 v[48:49], v[30:31], v[18:19], v[42:43] op_sel:[0,0,1] op_sel_hi:[1,1,0] neg_lo:[0,0,1] neg_hi:[0,0,1]
	v_pk_fma_f32 v[30:31], v[30:31], v[18:19], v[42:43] op_sel:[0,0,1] op_sel_hi:[1,0,0]
	v_mov_b32_e32 v49, v31
	v_pk_mul_f32 v[30:31], v[32:33], v[28:29] op_sel:[0,1]
	s_delay_alu instid0(VALU_DEP_2) | instskip(NEXT) | instid1(VALU_DEP_2)
	v_pk_add_f32 v[156:157], v[156:157], v[48:49] neg_lo:[0,1] neg_hi:[0,1]
	v_pk_fma_f32 v[42:43], v[32:33], v[18:19], v[30:31] op_sel:[0,0,1] op_sel_hi:[1,1,0] neg_lo:[0,0,1] neg_hi:[0,0,1]
	v_pk_fma_f32 v[30:31], v[32:33], v[18:19], v[30:31] op_sel:[0,0,1] op_sel_hi:[1,0,0]
	s_delay_alu instid0(VALU_DEP_1) | instskip(SKIP_4) | instid1(VALU_DEP_1)
	v_mov_b32_e32 v43, v31
	ds_load_2addr_b64 v[30:33], v196 offset0:41 offset1:42
	v_pk_add_f32 v[178:179], v[178:179], v[42:43] neg_lo:[0,1] neg_hi:[0,1]
	s_wait_dscnt 0x0
	v_pk_mul_f32 v[42:43], v[30:31], v[28:29] op_sel:[0,1]
	v_pk_fma_f32 v[48:49], v[30:31], v[18:19], v[42:43] op_sel:[0,0,1] op_sel_hi:[1,1,0] neg_lo:[0,0,1] neg_hi:[0,0,1]
	v_pk_fma_f32 v[30:31], v[30:31], v[18:19], v[42:43] op_sel:[0,0,1] op_sel_hi:[1,0,0]
	v_dual_mul_f32 v42, v33, v29 :: v_dual_mov_b32 v30, v33
	s_delay_alu instid0(VALU_DEP_2) | instskip(NEXT) | instid1(VALU_DEP_2)
	v_dual_mov_b32 v49, v31 :: v_dual_mov_b32 v31, v32
	v_pk_fma_f32 v[42:43], v[32:33], v[80:81], v[42:43] op_sel_hi:[1,1,0] neg_lo:[0,0,1] neg_hi:[0,0,1]
	v_mul_f32_e32 v32, v33, v18
	s_delay_alu instid0(VALU_DEP_3) | instskip(NEXT) | instid1(VALU_DEP_2)
	v_pk_add_f32 v[174:175], v[174:175], v[48:49] neg_lo:[0,1] neg_hi:[0,1]
	v_pk_fma_f32 v[30:31], v[30:31], v[80:81], v[32:33] op_sel_hi:[1,1,0]
	s_delay_alu instid0(VALU_DEP_1) | instskip(SKIP_4) | instid1(VALU_DEP_1)
	v_mov_b32_e32 v43, v31
	ds_load_2addr_b64 v[30:33], v196 offset0:43 offset1:44
	v_pk_add_f32 v[176:177], v[176:177], v[42:43] neg_lo:[0,1] neg_hi:[0,1]
	s_wait_dscnt 0x0
	v_pk_mul_f32 v[42:43], v[30:31], v[28:29] op_sel:[0,1]
	v_pk_fma_f32 v[48:49], v[30:31], v[18:19], v[42:43] op_sel:[0,0,1] op_sel_hi:[1,1,0] neg_lo:[0,0,1] neg_hi:[0,0,1]
	v_pk_fma_f32 v[30:31], v[30:31], v[18:19], v[42:43] op_sel:[0,0,1] op_sel_hi:[1,0,0]
	s_delay_alu instid0(VALU_DEP_1) | instskip(SKIP_1) | instid1(VALU_DEP_1)
	v_mov_b32_e32 v49, v31
	v_pk_mul_f32 v[30:31], v[32:33], v[28:29] op_sel:[0,1]
	v_pk_fma_f32 v[42:43], v[32:33], v[18:19], v[30:31] op_sel:[0,0,1] op_sel_hi:[1,1,0] neg_lo:[0,0,1] neg_hi:[0,0,1]
	v_pk_fma_f32 v[30:31], v[32:33], v[18:19], v[30:31] op_sel:[0,0,1] op_sel_hi:[1,0,0]
	s_delay_alu instid0(VALU_DEP_1)
	v_mov_b32_e32 v43, v31
	ds_load_2addr_b64 v[30:33], v196 offset0:45 offset1:46
	v_pk_add_f32 v[172:173], v[172:173], v[48:49] neg_lo:[0,1] neg_hi:[0,1]
	v_pk_add_f32 v[194:195], v[194:195], v[42:43] neg_lo:[0,1] neg_hi:[0,1]
	s_wait_dscnt 0x0
	v_pk_mul_f32 v[42:43], v[30:31], v[28:29] op_sel:[0,1]
	s_delay_alu instid0(VALU_DEP_1) | instskip(SKIP_1) | instid1(VALU_DEP_1)
	v_pk_fma_f32 v[48:49], v[30:31], v[18:19], v[42:43] op_sel:[0,0,1] op_sel_hi:[1,1,0] neg_lo:[0,0,1] neg_hi:[0,0,1]
	v_pk_fma_f32 v[30:31], v[30:31], v[18:19], v[42:43] op_sel:[0,0,1] op_sel_hi:[1,0,0]
	v_mov_b32_e32 v49, v31
	v_pk_mul_f32 v[30:31], v[32:33], v[28:29] op_sel:[0,1]
	s_delay_alu instid0(VALU_DEP_1) | instskip(SKIP_1) | instid1(VALU_DEP_1)
	v_pk_fma_f32 v[42:43], v[32:33], v[18:19], v[30:31] op_sel:[0,0,1] op_sel_hi:[1,1,0] neg_lo:[0,0,1] neg_hi:[0,0,1]
	v_pk_fma_f32 v[30:31], v[32:33], v[18:19], v[30:31] op_sel:[0,0,1] op_sel_hi:[1,0,0]
	v_mov_b32_e32 v43, v31
	ds_load_2addr_b64 v[30:33], v196 offset0:47 offset1:48
	v_pk_add_f32 v[190:191], v[190:191], v[48:49] neg_lo:[0,1] neg_hi:[0,1]
	v_pk_add_f32 v[192:193], v[192:193], v[42:43] neg_lo:[0,1] neg_hi:[0,1]
	s_wait_dscnt 0x0
	v_dual_mul_f32 v42, v31, v29 :: v_dual_mul_f32 v48, v31, v18
	s_delay_alu instid0(VALU_DEP_1) | instskip(NEXT) | instid1(VALU_DEP_2)
	v_pk_fma_f32 v[42:43], v[30:31], v[80:81], v[42:43] op_sel_hi:[1,1,0] neg_lo:[0,0,1] neg_hi:[0,0,1]
	v_pk_fma_f32 v[30:31], v[30:31], v[80:81], v[48:49] op_sel:[1,0,0] op_sel_hi:[0,1,0]
	s_delay_alu instid0(VALU_DEP_1) | instskip(SKIP_1) | instid1(VALU_DEP_2)
	v_mov_b32_e32 v43, v31
	v_pk_mul_f32 v[30:31], v[32:33], v[28:29] op_sel:[0,1]
	v_pk_add_f32 v[188:189], v[188:189], v[42:43] neg_lo:[0,1] neg_hi:[0,1]
	s_delay_alu instid0(VALU_DEP_2) | instskip(SKIP_1) | instid1(VALU_DEP_1)
	v_pk_fma_f32 v[42:43], v[32:33], v[18:19], v[30:31] op_sel:[0,0,1] op_sel_hi:[1,1,0] neg_lo:[0,0,1] neg_hi:[0,0,1]
	v_pk_fma_f32 v[30:31], v[32:33], v[18:19], v[30:31] op_sel:[0,0,1] op_sel_hi:[1,0,0]
	v_mov_b32_e32 v43, v31
	ds_load_2addr_b64 v[30:33], v196 offset0:49 offset1:50
	v_pk_add_f32 v[212:213], v[212:213], v[42:43] neg_lo:[0,1] neg_hi:[0,1]
	s_wait_dscnt 0x0
	v_pk_mul_f32 v[42:43], v[30:31], v[28:29] op_sel:[0,1]
	s_delay_alu instid0(VALU_DEP_1) | instskip(SKIP_1) | instid1(VALU_DEP_1)
	v_pk_fma_f32 v[48:49], v[30:31], v[18:19], v[42:43] op_sel:[0,0,1] op_sel_hi:[1,1,0] neg_lo:[0,0,1] neg_hi:[0,0,1]
	v_pk_fma_f32 v[30:31], v[30:31], v[18:19], v[42:43] op_sel:[0,0,1] op_sel_hi:[1,0,0]
	v_mov_b32_e32 v49, v31
	v_pk_mul_f32 v[30:31], v[32:33], v[28:29] op_sel:[0,1]
	s_delay_alu instid0(VALU_DEP_2) | instskip(NEXT) | instid1(VALU_DEP_2)
	v_pk_add_f32 v[208:209], v[208:209], v[48:49] neg_lo:[0,1] neg_hi:[0,1]
	v_pk_fma_f32 v[42:43], v[32:33], v[18:19], v[30:31] op_sel:[0,0,1] op_sel_hi:[1,1,0] neg_lo:[0,0,1] neg_hi:[0,0,1]
	v_pk_fma_f32 v[30:31], v[32:33], v[18:19], v[30:31] op_sel:[0,0,1] op_sel_hi:[1,0,0]
	s_delay_alu instid0(VALU_DEP_1) | instskip(SKIP_4) | instid1(VALU_DEP_1)
	v_mov_b32_e32 v43, v31
	ds_load_2addr_b64 v[30:33], v196 offset0:51 offset1:52
	v_pk_add_f32 v[210:211], v[210:211], v[42:43] neg_lo:[0,1] neg_hi:[0,1]
	s_wait_dscnt 0x0
	v_pk_mul_f32 v[42:43], v[30:31], v[28:29] op_sel:[0,1]
	v_pk_fma_f32 v[48:49], v[30:31], v[18:19], v[42:43] op_sel:[0,0,1] op_sel_hi:[1,1,0] neg_lo:[0,0,1] neg_hi:[0,0,1]
	v_pk_fma_f32 v[30:31], v[30:31], v[18:19], v[42:43] op_sel:[0,0,1] op_sel_hi:[1,0,0]
	v_dual_mul_f32 v42, v33, v29 :: v_dual_mov_b32 v30, v33
	s_delay_alu instid0(VALU_DEP_2) | instskip(NEXT) | instid1(VALU_DEP_2)
	v_dual_mov_b32 v49, v31 :: v_dual_mov_b32 v31, v32
	v_pk_fma_f32 v[42:43], v[32:33], v[80:81], v[42:43] op_sel_hi:[1,1,0] neg_lo:[0,0,1] neg_hi:[0,0,1]
	v_mul_f32_e32 v32, v33, v18
	s_delay_alu instid0(VALU_DEP_3) | instskip(NEXT) | instid1(VALU_DEP_2)
	v_pk_add_f32 v[206:207], v[206:207], v[48:49] neg_lo:[0,1] neg_hi:[0,1]
	v_pk_fma_f32 v[30:31], v[30:31], v[80:81], v[32:33] op_sel_hi:[1,1,0]
	s_delay_alu instid0(VALU_DEP_1) | instskip(SKIP_4) | instid1(VALU_DEP_1)
	v_mov_b32_e32 v43, v31
	ds_load_2addr_b64 v[30:33], v196 offset0:53 offset1:54
	v_pk_add_f32 v[228:229], v[228:229], v[42:43] neg_lo:[0,1] neg_hi:[0,1]
	s_wait_dscnt 0x0
	v_pk_mul_f32 v[42:43], v[30:31], v[28:29] op_sel:[0,1]
	v_pk_fma_f32 v[48:49], v[30:31], v[18:19], v[42:43] op_sel:[0,0,1] op_sel_hi:[1,1,0] neg_lo:[0,0,1] neg_hi:[0,0,1]
	v_pk_fma_f32 v[30:31], v[30:31], v[18:19], v[42:43] op_sel:[0,0,1] op_sel_hi:[1,0,0]
	s_delay_alu instid0(VALU_DEP_1) | instskip(SKIP_1) | instid1(VALU_DEP_1)
	v_mov_b32_e32 v49, v31
	v_pk_mul_f32 v[30:31], v[32:33], v[28:29] op_sel:[0,1]
	v_pk_fma_f32 v[42:43], v[32:33], v[18:19], v[30:31] op_sel:[0,0,1] op_sel_hi:[1,1,0] neg_lo:[0,0,1] neg_hi:[0,0,1]
	v_pk_fma_f32 v[30:31], v[32:33], v[18:19], v[30:31] op_sel:[0,0,1] op_sel_hi:[1,0,0]
	s_delay_alu instid0(VALU_DEP_1)
	v_mov_b32_e32 v43, v31
	ds_load_2addr_b64 v[30:33], v196 offset0:55 offset1:56
	v_pk_add_f32 v[224:225], v[224:225], v[48:49] neg_lo:[0,1] neg_hi:[0,1]
	v_pk_add_f32 v[226:227], v[226:227], v[42:43] neg_lo:[0,1] neg_hi:[0,1]
	s_wait_dscnt 0x0
	v_pk_mul_f32 v[42:43], v[30:31], v[28:29] op_sel:[0,1]
	s_delay_alu instid0(VALU_DEP_1) | instskip(SKIP_1) | instid1(VALU_DEP_1)
	v_pk_fma_f32 v[48:49], v[30:31], v[18:19], v[42:43] op_sel:[0,0,1] op_sel_hi:[1,1,0] neg_lo:[0,0,1] neg_hi:[0,0,1]
	v_pk_fma_f32 v[30:31], v[30:31], v[18:19], v[42:43] op_sel:[0,0,1] op_sel_hi:[1,0,0]
	v_mov_b32_e32 v49, v31
	v_pk_mul_f32 v[30:31], v[32:33], v[28:29] op_sel:[0,1]
	s_delay_alu instid0(VALU_DEP_1) | instskip(SKIP_1) | instid1(VALU_DEP_1)
	v_pk_fma_f32 v[42:43], v[32:33], v[18:19], v[30:31] op_sel:[0,0,1] op_sel_hi:[1,1,0] neg_lo:[0,0,1] neg_hi:[0,0,1]
	v_pk_fma_f32 v[30:31], v[32:33], v[18:19], v[30:31] op_sel:[0,0,1] op_sel_hi:[1,0,0]
	v_mov_b32_e32 v43, v31
	ds_load_b64 v[30:31], v196 offset:456
	v_pk_add_f32 v[222:223], v[222:223], v[48:49] neg_lo:[0,1] neg_hi:[0,1]
	v_pk_add_f32 v[230:231], v[230:231], v[42:43] neg_lo:[0,1] neg_hi:[0,1]
	s_wait_dscnt 0x0
	v_pk_mul_f32 v[28:29], v[30:31], v[28:29] op_sel:[0,1]
	s_delay_alu instid0(VALU_DEP_1) | instskip(SKIP_1) | instid1(VALU_DEP_1)
	v_pk_fma_f32 v[32:33], v[30:31], v[18:19], v[28:29] op_sel:[0,0,1] op_sel_hi:[1,1,0] neg_lo:[0,0,1] neg_hi:[0,0,1]
	v_pk_fma_f32 v[18:19], v[30:31], v[18:19], v[28:29] op_sel:[0,0,1] op_sel_hi:[1,0,0]
	v_mov_b32_e32 v33, v19
	s_delay_alu instid0(VALU_DEP_1)
	v_pk_add_f32 v[232:233], v[232:233], v[32:33] neg_lo:[0,1] neg_hi:[0,1]
.LBB115_172:
	s_or_b32 exec_lo, exec_lo, s1
	s_delay_alu instid0(SALU_CYCLE_1)
	s_mov_b32 s2, exec_lo
	s_wait_dscnt 0x0
	s_barrier_signal -1
	s_barrier_wait -1
	v_cmpx_eq_u32_e32 19, v186
	s_cbranch_execz .LBB115_179
; %bb.173:
	v_dual_mov_b32 v18, v98 :: v_dual_mov_b32 v19, v99
	v_dual_mov_b32 v28, v94 :: v_dual_mov_b32 v29, v95
	ds_store_b64 v187, v[76:77]
	ds_store_2addr_b64 v196, v[18:19], v[28:29] offset0:20 offset1:21
	v_dual_mov_b32 v18, v96 :: v_dual_mov_b32 v19, v97
	v_dual_mov_b32 v28, v92 :: v_dual_mov_b32 v29, v93
	ds_store_2addr_b64 v196, v[18:19], v[28:29] offset0:22 offset1:23
	v_dual_mov_b32 v18, v114 :: v_dual_mov_b32 v19, v115
	v_dual_mov_b32 v28, v110 :: v_dual_mov_b32 v29, v111
	;; [unrolled: 3-line block ×17, first 2 shown]
	ds_store_2addr_b64 v196, v[18:19], v[28:29] offset0:54 offset1:55
	v_dual_mov_b32 v18, v230 :: v_dual_mov_b32 v19, v231
	ds_store_2addr_b64 v196, v[18:19], v[232:233] offset0:56 offset1:57
	ds_load_b64 v[18:19], v187
	s_wait_dscnt 0x0
	v_cmp_neq_f32_e32 vcc_lo, 0, v18
	v_cmp_neq_f32_e64 s1, 0, v19
	s_or_b32 s1, vcc_lo, s1
	s_delay_alu instid0(SALU_CYCLE_1)
	s_and_b32 exec_lo, exec_lo, s1
	s_cbranch_execz .LBB115_179
; %bb.174:
	v_cmp_ngt_f32_e64 s1, |v18|, |v19|
                                        ; implicit-def: $vgpr28_vgpr29
	s_and_saveexec_b32 s4, s1
	s_delay_alu instid0(SALU_CYCLE_1)
	s_xor_b32 s1, exec_lo, s4
	s_cbranch_execz .LBB115_176
; %bb.175:
	v_div_scale_f32 v28, null, v19, v19, v18
	v_div_scale_f32 v31, vcc_lo, v18, v19, v18
	s_delay_alu instid0(VALU_DEP_2) | instskip(SKIP_1) | instid1(TRANS32_DEP_1)
	v_rcp_f32_e32 v29, v28
	v_nop
	v_fma_f32 v30, -v28, v29, 1.0
	s_delay_alu instid0(VALU_DEP_1) | instskip(NEXT) | instid1(VALU_DEP_1)
	v_fmac_f32_e32 v29, v30, v29
	v_mul_f32_e32 v30, v31, v29
	s_delay_alu instid0(VALU_DEP_1) | instskip(NEXT) | instid1(VALU_DEP_1)
	v_fma_f32 v32, -v28, v30, v31
	v_fmac_f32_e32 v30, v32, v29
	s_delay_alu instid0(VALU_DEP_1) | instskip(NEXT) | instid1(VALU_DEP_1)
	v_fma_f32 v28, -v28, v30, v31
	v_div_fmas_f32 v28, v28, v29, v30
	s_delay_alu instid0(VALU_DEP_1) | instskip(NEXT) | instid1(VALU_DEP_1)
	v_div_fixup_f32 v28, v28, v19, v18
	v_fmac_f32_e32 v19, v18, v28
	s_delay_alu instid0(VALU_DEP_1) | instskip(SKIP_1) | instid1(VALU_DEP_2)
	v_div_scale_f32 v18, null, v19, v19, 1.0
	v_div_scale_f32 v31, vcc_lo, 1.0, v19, 1.0
	v_rcp_f32_e32 v29, v18
	v_nop
	s_delay_alu instid0(TRANS32_DEP_1) | instskip(NEXT) | instid1(VALU_DEP_1)
	v_fma_f32 v30, -v18, v29, 1.0
	v_fmac_f32_e32 v29, v30, v29
	s_delay_alu instid0(VALU_DEP_1) | instskip(NEXT) | instid1(VALU_DEP_1)
	v_mul_f32_e32 v30, v31, v29
	v_fma_f32 v32, -v18, v30, v31
	s_delay_alu instid0(VALU_DEP_1) | instskip(NEXT) | instid1(VALU_DEP_1)
	v_fmac_f32_e32 v30, v32, v29
	v_fma_f32 v18, -v18, v30, v31
	s_delay_alu instid0(VALU_DEP_1) | instskip(NEXT) | instid1(VALU_DEP_1)
	v_div_fmas_f32 v18, v18, v29, v30
	v_div_fixup_f32 v18, v18, v19, 1.0
	s_delay_alu instid0(VALU_DEP_1)
	v_mul_f32_e32 v28, v28, v18
	v_xor_b32_e32 v29, 0x80000000, v18
                                        ; implicit-def: $vgpr18_vgpr19
.LBB115_176:
	s_and_not1_saveexec_b32 s1, s1
	s_cbranch_execz .LBB115_178
; %bb.177:
	v_div_scale_f32 v28, null, v18, v18, v19
	v_div_scale_f32 v31, vcc_lo, v19, v18, v19
	s_delay_alu instid0(VALU_DEP_2) | instskip(SKIP_1) | instid1(TRANS32_DEP_1)
	v_rcp_f32_e32 v29, v28
	v_nop
	v_fma_f32 v30, -v28, v29, 1.0
	s_delay_alu instid0(VALU_DEP_1) | instskip(NEXT) | instid1(VALU_DEP_1)
	v_fmac_f32_e32 v29, v30, v29
	v_mul_f32_e32 v30, v31, v29
	s_delay_alu instid0(VALU_DEP_1) | instskip(NEXT) | instid1(VALU_DEP_1)
	v_fma_f32 v32, -v28, v30, v31
	v_fmac_f32_e32 v30, v32, v29
	s_delay_alu instid0(VALU_DEP_1) | instskip(NEXT) | instid1(VALU_DEP_1)
	v_fma_f32 v28, -v28, v30, v31
	v_div_fmas_f32 v28, v28, v29, v30
	s_delay_alu instid0(VALU_DEP_1) | instskip(NEXT) | instid1(VALU_DEP_1)
	v_div_fixup_f32 v29, v28, v18, v19
	v_fmac_f32_e32 v18, v19, v29
	s_delay_alu instid0(VALU_DEP_1) | instskip(NEXT) | instid1(VALU_DEP_1)
	v_div_scale_f32 v19, null, v18, v18, 1.0
	v_rcp_f32_e32 v28, v19
	v_nop
	s_delay_alu instid0(TRANS32_DEP_1) | instskip(NEXT) | instid1(VALU_DEP_1)
	v_fma_f32 v30, -v19, v28, 1.0
	v_fmac_f32_e32 v28, v30, v28
	v_div_scale_f32 v30, vcc_lo, 1.0, v18, 1.0
	s_delay_alu instid0(VALU_DEP_1) | instskip(NEXT) | instid1(VALU_DEP_1)
	v_mul_f32_e32 v31, v30, v28
	v_fma_f32 v32, -v19, v31, v30
	s_delay_alu instid0(VALU_DEP_1) | instskip(NEXT) | instid1(VALU_DEP_1)
	v_fmac_f32_e32 v31, v32, v28
	v_fma_f32 v19, -v19, v31, v30
	s_delay_alu instid0(VALU_DEP_1) | instskip(NEXT) | instid1(VALU_DEP_1)
	v_div_fmas_f32 v19, v19, v28, v31
	v_div_fixup_f32 v28, v19, v18, 1.0
	s_delay_alu instid0(VALU_DEP_1)
	v_mul_f32_e64 v29, v29, -v28
.LBB115_178:
	s_or_b32 exec_lo, exec_lo, s1
	ds_store_b64 v187, v[28:29]
.LBB115_179:
	s_or_b32 exec_lo, exec_lo, s2
	s_wait_dscnt 0x0
	s_barrier_signal -1
	s_barrier_wait -1
	ds_load_b64 v[18:19], v187
	s_mov_b32 s1, exec_lo
	v_cmpx_lt_u32_e32 19, v186
	s_cbranch_execz .LBB115_181
; %bb.180:
	ds_load_2addr_b64 v[48:51], v196 offset0:20 offset1:21
	s_wait_dscnt 0x1
	v_pk_mul_f32 v[30:31], v[18:19], v[76:77] op_sel:[1,1] op_sel_hi:[0,1]
	s_delay_alu instid0(VALU_DEP_1) | instskip(SKIP_1) | instid1(VALU_DEP_1)
	v_pk_fma_f32 v[28:29], v[18:19], v[76:77], v[30:31] op_sel_hi:[1,0,1] neg_lo:[0,0,1] neg_hi:[0,0,1]
	v_pk_fma_f32 v[30:31], v[18:19], v[76:77], v[30:31] op_sel_hi:[1,0,1]
	v_dual_mov_b32 v76, v28 :: v_dual_mov_b32 v77, v31
	s_wait_dscnt 0x0
	s_delay_alu instid0(VALU_DEP_2) | instskip(NEXT) | instid1(VALU_DEP_1)
	v_pk_mul_f32 v[32:33], v[48:49], v[30:31] op_sel:[0,1]
	v_pk_fma_f32 v[42:43], v[48:49], v[28:29], v[32:33] op_sel:[0,0,1] op_sel_hi:[1,1,0] neg_lo:[0,0,1] neg_hi:[0,0,1]
	v_pk_fma_f32 v[32:33], v[48:49], v[28:29], v[32:33] op_sel:[0,0,1] op_sel_hi:[1,0,0]
	s_delay_alu instid0(VALU_DEP_1) | instskip(SKIP_1) | instid1(VALU_DEP_2)
	v_mov_b32_e32 v43, v33
	v_pk_mul_f32 v[32:33], v[50:51], v[30:31] op_sel:[0,1]
	v_pk_add_f32 v[98:99], v[98:99], v[42:43] neg_lo:[0,1] neg_hi:[0,1]
	s_delay_alu instid0(VALU_DEP_2) | instskip(SKIP_3) | instid1(VALU_DEP_1)
	v_pk_fma_f32 v[42:43], v[50:51], v[28:29], v[32:33] op_sel:[0,0,1] op_sel_hi:[1,1,0] neg_lo:[0,0,1] neg_hi:[0,0,1]
	v_pk_fma_f32 v[32:33], v[50:51], v[28:29], v[32:33] op_sel:[0,0,1] op_sel_hi:[1,0,0]
	ds_load_2addr_b64 v[48:51], v196 offset0:22 offset1:23
	v_mov_b32_e32 v43, v33
	v_pk_add_f32 v[94:95], v[94:95], v[42:43] neg_lo:[0,1] neg_hi:[0,1]
	s_wait_dscnt 0x0
	v_pk_mul_f32 v[32:33], v[48:49], v[30:31] op_sel:[0,1]
	s_delay_alu instid0(VALU_DEP_1) | instskip(SKIP_2) | instid1(VALU_DEP_2)
	v_pk_fma_f32 v[42:43], v[48:49], v[28:29], v[32:33] op_sel:[0,0,1] op_sel_hi:[1,1,0] neg_lo:[0,0,1] neg_hi:[0,0,1]
	v_pk_fma_f32 v[32:33], v[48:49], v[28:29], v[32:33] op_sel:[0,0,1] op_sel_hi:[1,0,0]
	v_dual_mov_b32 v32, v51 :: v_dual_mul_f32 v48, v51, v28
	v_dual_mov_b32 v43, v33 :: v_dual_mov_b32 v33, v50
	s_delay_alu instid0(VALU_DEP_1) | instskip(SKIP_1) | instid1(VALU_DEP_3)
	v_pk_add_f32 v[96:97], v[96:97], v[42:43] neg_lo:[0,1] neg_hi:[0,1]
	v_mul_f32_e32 v42, v51, v31
	v_pk_fma_f32 v[32:33], v[32:33], v[76:77], v[48:49] op_sel_hi:[1,1,0]
	s_delay_alu instid0(VALU_DEP_2) | instskip(SKIP_2) | instid1(VALU_DEP_1)
	v_pk_fma_f32 v[42:43], v[50:51], v[76:77], v[42:43] op_sel_hi:[1,1,0] neg_lo:[0,0,1] neg_hi:[0,0,1]
	ds_load_2addr_b64 v[48:51], v196 offset0:24 offset1:25
	v_mov_b32_e32 v43, v33
	v_pk_add_f32 v[92:93], v[92:93], v[42:43] neg_lo:[0,1] neg_hi:[0,1]
	s_wait_dscnt 0x0
	v_pk_mul_f32 v[32:33], v[48:49], v[30:31] op_sel:[0,1]
	s_delay_alu instid0(VALU_DEP_1) | instskip(SKIP_1) | instid1(VALU_DEP_1)
	v_pk_fma_f32 v[42:43], v[48:49], v[28:29], v[32:33] op_sel:[0,0,1] op_sel_hi:[1,1,0] neg_lo:[0,0,1] neg_hi:[0,0,1]
	v_pk_fma_f32 v[32:33], v[48:49], v[28:29], v[32:33] op_sel:[0,0,1] op_sel_hi:[1,0,0]
	v_mov_b32_e32 v43, v33
	v_pk_mul_f32 v[32:33], v[50:51], v[30:31] op_sel:[0,1]
	s_delay_alu instid0(VALU_DEP_2) | instskip(NEXT) | instid1(VALU_DEP_2)
	v_pk_add_f32 v[114:115], v[114:115], v[42:43] neg_lo:[0,1] neg_hi:[0,1]
	v_pk_fma_f32 v[42:43], v[50:51], v[28:29], v[32:33] op_sel:[0,0,1] op_sel_hi:[1,1,0] neg_lo:[0,0,1] neg_hi:[0,0,1]
	v_pk_fma_f32 v[32:33], v[50:51], v[28:29], v[32:33] op_sel:[0,0,1] op_sel_hi:[1,0,0]
	ds_load_2addr_b64 v[48:51], v196 offset0:26 offset1:27
	v_mov_b32_e32 v43, v33
	s_delay_alu instid0(VALU_DEP_1) | instskip(SKIP_2) | instid1(VALU_DEP_1)
	v_pk_add_f32 v[110:111], v[110:111], v[42:43] neg_lo:[0,1] neg_hi:[0,1]
	s_wait_dscnt 0x0
	v_pk_mul_f32 v[32:33], v[48:49], v[30:31] op_sel:[0,1]
	v_pk_fma_f32 v[42:43], v[48:49], v[28:29], v[32:33] op_sel:[0,0,1] op_sel_hi:[1,1,0] neg_lo:[0,0,1] neg_hi:[0,0,1]
	v_pk_fma_f32 v[32:33], v[48:49], v[28:29], v[32:33] op_sel:[0,0,1] op_sel_hi:[1,0,0]
	s_delay_alu instid0(VALU_DEP_1) | instskip(SKIP_1) | instid1(VALU_DEP_2)
	v_mov_b32_e32 v43, v33
	v_pk_mul_f32 v[32:33], v[50:51], v[30:31] op_sel:[0,1]
	v_pk_add_f32 v[112:113], v[112:113], v[42:43] neg_lo:[0,1] neg_hi:[0,1]
	s_delay_alu instid0(VALU_DEP_2) | instskip(SKIP_3) | instid1(VALU_DEP_1)
	v_pk_fma_f32 v[42:43], v[50:51], v[28:29], v[32:33] op_sel:[0,0,1] op_sel_hi:[1,1,0] neg_lo:[0,0,1] neg_hi:[0,0,1]
	v_pk_fma_f32 v[32:33], v[50:51], v[28:29], v[32:33] op_sel:[0,0,1] op_sel_hi:[1,0,0]
	ds_load_2addr_b64 v[48:51], v196 offset0:28 offset1:29
	v_mov_b32_e32 v43, v33
	v_pk_add_f32 v[108:109], v[108:109], v[42:43] neg_lo:[0,1] neg_hi:[0,1]
	s_wait_dscnt 0x0
	v_dual_mul_f32 v32, v49, v31 :: v_dual_mul_f32 v42, v49, v28
	s_delay_alu instid0(VALU_DEP_1) | instskip(NEXT) | instid1(VALU_DEP_2)
	v_pk_fma_f32 v[32:33], v[48:49], v[76:77], v[32:33] op_sel_hi:[1,1,0] neg_lo:[0,0,1] neg_hi:[0,0,1]
	v_pk_fma_f32 v[42:43], v[48:49], v[76:77], v[42:43] op_sel:[1,0,0] op_sel_hi:[0,1,0]
	s_delay_alu instid0(VALU_DEP_1) | instskip(NEXT) | instid1(VALU_DEP_1)
	v_mov_b32_e32 v33, v43
	v_pk_add_f32 v[130:131], v[130:131], v[32:33] neg_lo:[0,1] neg_hi:[0,1]
	v_pk_mul_f32 v[32:33], v[50:51], v[30:31] op_sel:[0,1]
	s_delay_alu instid0(VALU_DEP_1) | instskip(SKIP_3) | instid1(VALU_DEP_1)
	v_pk_fma_f32 v[42:43], v[50:51], v[28:29], v[32:33] op_sel:[0,0,1] op_sel_hi:[1,1,0] neg_lo:[0,0,1] neg_hi:[0,0,1]
	v_pk_fma_f32 v[32:33], v[50:51], v[28:29], v[32:33] op_sel:[0,0,1] op_sel_hi:[1,0,0]
	ds_load_2addr_b64 v[48:51], v196 offset0:30 offset1:31
	v_mov_b32_e32 v43, v33
	v_pk_add_f32 v[126:127], v[126:127], v[42:43] neg_lo:[0,1] neg_hi:[0,1]
	s_wait_dscnt 0x0
	v_pk_mul_f32 v[32:33], v[48:49], v[30:31] op_sel:[0,1]
	s_delay_alu instid0(VALU_DEP_1) | instskip(SKIP_1) | instid1(VALU_DEP_1)
	v_pk_fma_f32 v[42:43], v[48:49], v[28:29], v[32:33] op_sel:[0,0,1] op_sel_hi:[1,1,0] neg_lo:[0,0,1] neg_hi:[0,0,1]
	v_pk_fma_f32 v[32:33], v[48:49], v[28:29], v[32:33] op_sel:[0,0,1] op_sel_hi:[1,0,0]
	v_mov_b32_e32 v43, v33
	v_pk_mul_f32 v[32:33], v[50:51], v[30:31] op_sel:[0,1]
	s_delay_alu instid0(VALU_DEP_2) | instskip(NEXT) | instid1(VALU_DEP_2)
	v_pk_add_f32 v[128:129], v[128:129], v[42:43] neg_lo:[0,1] neg_hi:[0,1]
	v_pk_fma_f32 v[42:43], v[50:51], v[28:29], v[32:33] op_sel:[0,0,1] op_sel_hi:[1,1,0] neg_lo:[0,0,1] neg_hi:[0,0,1]
	v_pk_fma_f32 v[32:33], v[50:51], v[28:29], v[32:33] op_sel:[0,0,1] op_sel_hi:[1,0,0]
	ds_load_2addr_b64 v[48:51], v196 offset0:32 offset1:33
	v_mov_b32_e32 v43, v33
	s_delay_alu instid0(VALU_DEP_1) | instskip(SKIP_2) | instid1(VALU_DEP_1)
	v_pk_add_f32 v[124:125], v[124:125], v[42:43] neg_lo:[0,1] neg_hi:[0,1]
	s_wait_dscnt 0x0
	v_pk_mul_f32 v[32:33], v[48:49], v[30:31] op_sel:[0,1]
	v_pk_fma_f32 v[42:43], v[48:49], v[28:29], v[32:33] op_sel:[0,0,1] op_sel_hi:[1,1,0] neg_lo:[0,0,1] neg_hi:[0,0,1]
	v_pk_fma_f32 v[32:33], v[48:49], v[28:29], v[32:33] op_sel:[0,0,1] op_sel_hi:[1,0,0]
	v_dual_mov_b32 v32, v51 :: v_dual_mul_f32 v48, v51, v28
	s_delay_alu instid0(VALU_DEP_2) | instskip(NEXT) | instid1(VALU_DEP_1)
	v_dual_mov_b32 v43, v33 :: v_dual_mov_b32 v33, v50
	v_pk_add_f32 v[146:147], v[146:147], v[42:43] neg_lo:[0,1] neg_hi:[0,1]
	v_mul_f32_e32 v42, v51, v31
	s_delay_alu instid0(VALU_DEP_3) | instskip(NEXT) | instid1(VALU_DEP_2)
	v_pk_fma_f32 v[32:33], v[32:33], v[76:77], v[48:49] op_sel_hi:[1,1,0]
	v_pk_fma_f32 v[42:43], v[50:51], v[76:77], v[42:43] op_sel_hi:[1,1,0] neg_lo:[0,0,1] neg_hi:[0,0,1]
	ds_load_2addr_b64 v[48:51], v196 offset0:34 offset1:35
	v_mov_b32_e32 v43, v33
	s_delay_alu instid0(VALU_DEP_1) | instskip(SKIP_2) | instid1(VALU_DEP_1)
	v_pk_add_f32 v[142:143], v[142:143], v[42:43] neg_lo:[0,1] neg_hi:[0,1]
	s_wait_dscnt 0x0
	v_pk_mul_f32 v[32:33], v[48:49], v[30:31] op_sel:[0,1]
	v_pk_fma_f32 v[42:43], v[48:49], v[28:29], v[32:33] op_sel:[0,0,1] op_sel_hi:[1,1,0] neg_lo:[0,0,1] neg_hi:[0,0,1]
	v_pk_fma_f32 v[32:33], v[48:49], v[28:29], v[32:33] op_sel:[0,0,1] op_sel_hi:[1,0,0]
	s_delay_alu instid0(VALU_DEP_1) | instskip(SKIP_1) | instid1(VALU_DEP_2)
	v_mov_b32_e32 v43, v33
	v_pk_mul_f32 v[32:33], v[50:51], v[30:31] op_sel:[0,1]
	v_pk_add_f32 v[144:145], v[144:145], v[42:43] neg_lo:[0,1] neg_hi:[0,1]
	s_delay_alu instid0(VALU_DEP_2) | instskip(SKIP_3) | instid1(VALU_DEP_1)
	v_pk_fma_f32 v[42:43], v[50:51], v[28:29], v[32:33] op_sel:[0,0,1] op_sel_hi:[1,1,0] neg_lo:[0,0,1] neg_hi:[0,0,1]
	v_pk_fma_f32 v[32:33], v[50:51], v[28:29], v[32:33] op_sel:[0,0,1] op_sel_hi:[1,0,0]
	ds_load_2addr_b64 v[48:51], v196 offset0:36 offset1:37
	v_mov_b32_e32 v43, v33
	v_pk_add_f32 v[140:141], v[140:141], v[42:43] neg_lo:[0,1] neg_hi:[0,1]
	s_wait_dscnt 0x0
	v_pk_mul_f32 v[32:33], v[48:49], v[30:31] op_sel:[0,1]
	s_delay_alu instid0(VALU_DEP_1) | instskip(SKIP_1) | instid1(VALU_DEP_1)
	v_pk_fma_f32 v[42:43], v[48:49], v[28:29], v[32:33] op_sel:[0,0,1] op_sel_hi:[1,1,0] neg_lo:[0,0,1] neg_hi:[0,0,1]
	v_pk_fma_f32 v[32:33], v[48:49], v[28:29], v[32:33] op_sel:[0,0,1] op_sel_hi:[1,0,0]
	v_mov_b32_e32 v43, v33
	v_pk_mul_f32 v[32:33], v[50:51], v[30:31] op_sel:[0,1]
	s_delay_alu instid0(VALU_DEP_2) | instskip(NEXT) | instid1(VALU_DEP_2)
	v_pk_add_f32 v[162:163], v[162:163], v[42:43] neg_lo:[0,1] neg_hi:[0,1]
	v_pk_fma_f32 v[42:43], v[50:51], v[28:29], v[32:33] op_sel:[0,0,1] op_sel_hi:[1,1,0] neg_lo:[0,0,1] neg_hi:[0,0,1]
	v_pk_fma_f32 v[32:33], v[50:51], v[28:29], v[32:33] op_sel:[0,0,1] op_sel_hi:[1,0,0]
	ds_load_2addr_b64 v[48:51], v196 offset0:38 offset1:39
	v_mov_b32_e32 v43, v33
	s_delay_alu instid0(VALU_DEP_1) | instskip(SKIP_2) | instid1(VALU_DEP_1)
	v_pk_add_f32 v[158:159], v[158:159], v[42:43] neg_lo:[0,1] neg_hi:[0,1]
	s_wait_dscnt 0x0
	v_dual_mul_f32 v42, v49, v28 :: v_dual_mul_f32 v32, v49, v31
	v_pk_fma_f32 v[42:43], v[48:49], v[76:77], v[42:43] op_sel:[1,0,0] op_sel_hi:[0,1,0]
	s_delay_alu instid0(VALU_DEP_2) | instskip(NEXT) | instid1(VALU_DEP_2)
	v_pk_fma_f32 v[32:33], v[48:49], v[76:77], v[32:33] op_sel_hi:[1,1,0] neg_lo:[0,0,1] neg_hi:[0,0,1]
	v_mov_b32_e32 v33, v43
	s_delay_alu instid0(VALU_DEP_1) | instskip(SKIP_1) | instid1(VALU_DEP_1)
	v_pk_add_f32 v[160:161], v[160:161], v[32:33] neg_lo:[0,1] neg_hi:[0,1]
	v_pk_mul_f32 v[32:33], v[50:51], v[30:31] op_sel:[0,1]
	v_pk_fma_f32 v[42:43], v[50:51], v[28:29], v[32:33] op_sel:[0,0,1] op_sel_hi:[1,1,0] neg_lo:[0,0,1] neg_hi:[0,0,1]
	v_pk_fma_f32 v[32:33], v[50:51], v[28:29], v[32:33] op_sel:[0,0,1] op_sel_hi:[1,0,0]
	ds_load_2addr_b64 v[48:51], v196 offset0:40 offset1:41
	v_mov_b32_e32 v43, v33
	s_delay_alu instid0(VALU_DEP_1) | instskip(SKIP_2) | instid1(VALU_DEP_1)
	v_pk_add_f32 v[156:157], v[156:157], v[42:43] neg_lo:[0,1] neg_hi:[0,1]
	s_wait_dscnt 0x0
	v_pk_mul_f32 v[32:33], v[48:49], v[30:31] op_sel:[0,1]
	v_pk_fma_f32 v[42:43], v[48:49], v[28:29], v[32:33] op_sel:[0,0,1] op_sel_hi:[1,1,0] neg_lo:[0,0,1] neg_hi:[0,0,1]
	v_pk_fma_f32 v[32:33], v[48:49], v[28:29], v[32:33] op_sel:[0,0,1] op_sel_hi:[1,0,0]
	s_delay_alu instid0(VALU_DEP_1) | instskip(SKIP_1) | instid1(VALU_DEP_2)
	v_mov_b32_e32 v43, v33
	v_pk_mul_f32 v[32:33], v[50:51], v[30:31] op_sel:[0,1]
	v_pk_add_f32 v[178:179], v[178:179], v[42:43] neg_lo:[0,1] neg_hi:[0,1]
	s_delay_alu instid0(VALU_DEP_2) | instskip(SKIP_3) | instid1(VALU_DEP_1)
	v_pk_fma_f32 v[42:43], v[50:51], v[28:29], v[32:33] op_sel:[0,0,1] op_sel_hi:[1,1,0] neg_lo:[0,0,1] neg_hi:[0,0,1]
	v_pk_fma_f32 v[32:33], v[50:51], v[28:29], v[32:33] op_sel:[0,0,1] op_sel_hi:[1,0,0]
	ds_load_2addr_b64 v[48:51], v196 offset0:42 offset1:43
	v_mov_b32_e32 v43, v33
	v_pk_add_f32 v[174:175], v[174:175], v[42:43] neg_lo:[0,1] neg_hi:[0,1]
	s_wait_dscnt 0x0
	v_pk_mul_f32 v[32:33], v[48:49], v[30:31] op_sel:[0,1]
	s_delay_alu instid0(VALU_DEP_1) | instskip(SKIP_2) | instid1(VALU_DEP_2)
	v_pk_fma_f32 v[42:43], v[48:49], v[28:29], v[32:33] op_sel:[0,0,1] op_sel_hi:[1,1,0] neg_lo:[0,0,1] neg_hi:[0,0,1]
	v_pk_fma_f32 v[32:33], v[48:49], v[28:29], v[32:33] op_sel:[0,0,1] op_sel_hi:[1,0,0]
	v_dual_mov_b32 v32, v51 :: v_dual_mul_f32 v48, v51, v28
	v_dual_mov_b32 v43, v33 :: v_dual_mov_b32 v33, v50
	s_delay_alu instid0(VALU_DEP_1) | instskip(SKIP_1) | instid1(VALU_DEP_3)
	v_pk_add_f32 v[176:177], v[176:177], v[42:43] neg_lo:[0,1] neg_hi:[0,1]
	v_mul_f32_e32 v42, v51, v31
	v_pk_fma_f32 v[32:33], v[32:33], v[76:77], v[48:49] op_sel_hi:[1,1,0]
	s_delay_alu instid0(VALU_DEP_2) | instskip(SKIP_2) | instid1(VALU_DEP_1)
	v_pk_fma_f32 v[42:43], v[50:51], v[76:77], v[42:43] op_sel_hi:[1,1,0] neg_lo:[0,0,1] neg_hi:[0,0,1]
	ds_load_2addr_b64 v[48:51], v196 offset0:44 offset1:45
	v_mov_b32_e32 v43, v33
	v_pk_add_f32 v[172:173], v[172:173], v[42:43] neg_lo:[0,1] neg_hi:[0,1]
	s_wait_dscnt 0x0
	v_pk_mul_f32 v[32:33], v[48:49], v[30:31] op_sel:[0,1]
	s_delay_alu instid0(VALU_DEP_1) | instskip(SKIP_1) | instid1(VALU_DEP_1)
	v_pk_fma_f32 v[42:43], v[48:49], v[28:29], v[32:33] op_sel:[0,0,1] op_sel_hi:[1,1,0] neg_lo:[0,0,1] neg_hi:[0,0,1]
	v_pk_fma_f32 v[32:33], v[48:49], v[28:29], v[32:33] op_sel:[0,0,1] op_sel_hi:[1,0,0]
	v_mov_b32_e32 v43, v33
	v_pk_mul_f32 v[32:33], v[50:51], v[30:31] op_sel:[0,1]
	s_delay_alu instid0(VALU_DEP_2) | instskip(NEXT) | instid1(VALU_DEP_2)
	v_pk_add_f32 v[194:195], v[194:195], v[42:43] neg_lo:[0,1] neg_hi:[0,1]
	v_pk_fma_f32 v[42:43], v[50:51], v[28:29], v[32:33] op_sel:[0,0,1] op_sel_hi:[1,1,0] neg_lo:[0,0,1] neg_hi:[0,0,1]
	v_pk_fma_f32 v[32:33], v[50:51], v[28:29], v[32:33] op_sel:[0,0,1] op_sel_hi:[1,0,0]
	ds_load_2addr_b64 v[48:51], v196 offset0:46 offset1:47
	v_mov_b32_e32 v43, v33
	s_delay_alu instid0(VALU_DEP_1) | instskip(SKIP_2) | instid1(VALU_DEP_1)
	v_pk_add_f32 v[190:191], v[190:191], v[42:43] neg_lo:[0,1] neg_hi:[0,1]
	s_wait_dscnt 0x0
	v_pk_mul_f32 v[32:33], v[48:49], v[30:31] op_sel:[0,1]
	v_pk_fma_f32 v[42:43], v[48:49], v[28:29], v[32:33] op_sel:[0,0,1] op_sel_hi:[1,1,0] neg_lo:[0,0,1] neg_hi:[0,0,1]
	v_pk_fma_f32 v[32:33], v[48:49], v[28:29], v[32:33] op_sel:[0,0,1] op_sel_hi:[1,0,0]
	s_delay_alu instid0(VALU_DEP_1) | instskip(SKIP_1) | instid1(VALU_DEP_2)
	v_mov_b32_e32 v43, v33
	v_pk_mul_f32 v[32:33], v[50:51], v[30:31] op_sel:[0,1]
	v_pk_add_f32 v[192:193], v[192:193], v[42:43] neg_lo:[0,1] neg_hi:[0,1]
	s_delay_alu instid0(VALU_DEP_2) | instskip(SKIP_3) | instid1(VALU_DEP_1)
	v_pk_fma_f32 v[42:43], v[50:51], v[28:29], v[32:33] op_sel:[0,0,1] op_sel_hi:[1,1,0] neg_lo:[0,0,1] neg_hi:[0,0,1]
	v_pk_fma_f32 v[32:33], v[50:51], v[28:29], v[32:33] op_sel:[0,0,1] op_sel_hi:[1,0,0]
	ds_load_2addr_b64 v[48:51], v196 offset0:48 offset1:49
	v_mov_b32_e32 v43, v33
	v_pk_add_f32 v[188:189], v[188:189], v[42:43] neg_lo:[0,1] neg_hi:[0,1]
	s_wait_dscnt 0x0
	v_dual_mul_f32 v32, v49, v31 :: v_dual_mul_f32 v42, v49, v28
	s_delay_alu instid0(VALU_DEP_1) | instskip(NEXT) | instid1(VALU_DEP_2)
	v_pk_fma_f32 v[32:33], v[48:49], v[76:77], v[32:33] op_sel_hi:[1,1,0] neg_lo:[0,0,1] neg_hi:[0,0,1]
	v_pk_fma_f32 v[42:43], v[48:49], v[76:77], v[42:43] op_sel:[1,0,0] op_sel_hi:[0,1,0]
	s_delay_alu instid0(VALU_DEP_1) | instskip(NEXT) | instid1(VALU_DEP_1)
	v_mov_b32_e32 v33, v43
	v_pk_add_f32 v[212:213], v[212:213], v[32:33] neg_lo:[0,1] neg_hi:[0,1]
	v_pk_mul_f32 v[32:33], v[50:51], v[30:31] op_sel:[0,1]
	s_delay_alu instid0(VALU_DEP_1) | instskip(SKIP_3) | instid1(VALU_DEP_1)
	v_pk_fma_f32 v[42:43], v[50:51], v[28:29], v[32:33] op_sel:[0,0,1] op_sel_hi:[1,1,0] neg_lo:[0,0,1] neg_hi:[0,0,1]
	v_pk_fma_f32 v[32:33], v[50:51], v[28:29], v[32:33] op_sel:[0,0,1] op_sel_hi:[1,0,0]
	ds_load_2addr_b64 v[48:51], v196 offset0:50 offset1:51
	v_mov_b32_e32 v43, v33
	v_pk_add_f32 v[208:209], v[208:209], v[42:43] neg_lo:[0,1] neg_hi:[0,1]
	s_wait_dscnt 0x0
	v_pk_mul_f32 v[32:33], v[48:49], v[30:31] op_sel:[0,1]
	s_delay_alu instid0(VALU_DEP_1) | instskip(SKIP_1) | instid1(VALU_DEP_1)
	v_pk_fma_f32 v[42:43], v[48:49], v[28:29], v[32:33] op_sel:[0,0,1] op_sel_hi:[1,1,0] neg_lo:[0,0,1] neg_hi:[0,0,1]
	v_pk_fma_f32 v[32:33], v[48:49], v[28:29], v[32:33] op_sel:[0,0,1] op_sel_hi:[1,0,0]
	v_mov_b32_e32 v43, v33
	v_pk_mul_f32 v[32:33], v[50:51], v[30:31] op_sel:[0,1]
	s_delay_alu instid0(VALU_DEP_2) | instskip(NEXT) | instid1(VALU_DEP_2)
	v_pk_add_f32 v[210:211], v[210:211], v[42:43] neg_lo:[0,1] neg_hi:[0,1]
	v_pk_fma_f32 v[42:43], v[50:51], v[28:29], v[32:33] op_sel:[0,0,1] op_sel_hi:[1,1,0] neg_lo:[0,0,1] neg_hi:[0,0,1]
	v_pk_fma_f32 v[32:33], v[50:51], v[28:29], v[32:33] op_sel:[0,0,1] op_sel_hi:[1,0,0]
	ds_load_2addr_b64 v[48:51], v196 offset0:52 offset1:53
	v_mov_b32_e32 v43, v33
	s_delay_alu instid0(VALU_DEP_1) | instskip(SKIP_2) | instid1(VALU_DEP_1)
	v_pk_add_f32 v[206:207], v[206:207], v[42:43] neg_lo:[0,1] neg_hi:[0,1]
	s_wait_dscnt 0x0
	v_pk_mul_f32 v[32:33], v[48:49], v[30:31] op_sel:[0,1]
	v_pk_fma_f32 v[42:43], v[48:49], v[28:29], v[32:33] op_sel:[0,0,1] op_sel_hi:[1,1,0] neg_lo:[0,0,1] neg_hi:[0,0,1]
	v_pk_fma_f32 v[32:33], v[48:49], v[28:29], v[32:33] op_sel:[0,0,1] op_sel_hi:[1,0,0]
	v_dual_mov_b32 v32, v51 :: v_dual_mul_f32 v48, v51, v28
	s_delay_alu instid0(VALU_DEP_2) | instskip(NEXT) | instid1(VALU_DEP_1)
	v_dual_mov_b32 v43, v33 :: v_dual_mov_b32 v33, v50
	v_pk_add_f32 v[228:229], v[228:229], v[42:43] neg_lo:[0,1] neg_hi:[0,1]
	v_mul_f32_e32 v42, v51, v31
	s_delay_alu instid0(VALU_DEP_3) | instskip(NEXT) | instid1(VALU_DEP_2)
	v_pk_fma_f32 v[32:33], v[32:33], v[76:77], v[48:49] op_sel_hi:[1,1,0]
	v_pk_fma_f32 v[42:43], v[50:51], v[76:77], v[42:43] op_sel_hi:[1,1,0] neg_lo:[0,0,1] neg_hi:[0,0,1]
	ds_load_2addr_b64 v[48:51], v196 offset0:54 offset1:55
	v_mov_b32_e32 v43, v33
	s_delay_alu instid0(VALU_DEP_1) | instskip(SKIP_2) | instid1(VALU_DEP_1)
	v_pk_add_f32 v[224:225], v[224:225], v[42:43] neg_lo:[0,1] neg_hi:[0,1]
	s_wait_dscnt 0x0
	v_pk_mul_f32 v[32:33], v[48:49], v[30:31] op_sel:[0,1]
	v_pk_fma_f32 v[42:43], v[48:49], v[28:29], v[32:33] op_sel:[0,0,1] op_sel_hi:[1,1,0] neg_lo:[0,0,1] neg_hi:[0,0,1]
	v_pk_fma_f32 v[32:33], v[48:49], v[28:29], v[32:33] op_sel:[0,0,1] op_sel_hi:[1,0,0]
	s_delay_alu instid0(VALU_DEP_1) | instskip(SKIP_1) | instid1(VALU_DEP_2)
	v_mov_b32_e32 v43, v33
	v_pk_mul_f32 v[32:33], v[50:51], v[30:31] op_sel:[0,1]
	v_pk_add_f32 v[226:227], v[226:227], v[42:43] neg_lo:[0,1] neg_hi:[0,1]
	s_delay_alu instid0(VALU_DEP_2) | instskip(SKIP_3) | instid1(VALU_DEP_1)
	v_pk_fma_f32 v[42:43], v[50:51], v[28:29], v[32:33] op_sel:[0,0,1] op_sel_hi:[1,1,0] neg_lo:[0,0,1] neg_hi:[0,0,1]
	v_pk_fma_f32 v[32:33], v[50:51], v[28:29], v[32:33] op_sel:[0,0,1] op_sel_hi:[1,0,0]
	ds_load_2addr_b64 v[48:51], v196 offset0:56 offset1:57
	v_mov_b32_e32 v43, v33
	v_pk_add_f32 v[222:223], v[222:223], v[42:43] neg_lo:[0,1] neg_hi:[0,1]
	s_wait_dscnt 0x0
	v_pk_mul_f32 v[32:33], v[48:49], v[30:31] op_sel:[0,1]
	v_pk_mul_f32 v[30:31], v[50:51], v[30:31] op_sel:[0,1]
	s_delay_alu instid0(VALU_DEP_2) | instskip(SKIP_1) | instid1(VALU_DEP_1)
	v_pk_fma_f32 v[42:43], v[48:49], v[28:29], v[32:33] op_sel:[0,0,1] op_sel_hi:[1,1,0] neg_lo:[0,0,1] neg_hi:[0,0,1]
	v_pk_fma_f32 v[32:33], v[48:49], v[28:29], v[32:33] op_sel:[0,0,1] op_sel_hi:[1,0,0]
	v_mov_b32_e32 v43, v33
	s_delay_alu instid0(VALU_DEP_4) | instskip(SKIP_1) | instid1(VALU_DEP_3)
	v_pk_fma_f32 v[32:33], v[50:51], v[28:29], v[30:31] op_sel:[0,0,1] op_sel_hi:[1,1,0] neg_lo:[0,0,1] neg_hi:[0,0,1]
	v_pk_fma_f32 v[28:29], v[50:51], v[28:29], v[30:31] op_sel:[0,0,1] op_sel_hi:[1,0,0]
	v_pk_add_f32 v[230:231], v[230:231], v[42:43] neg_lo:[0,1] neg_hi:[0,1]
	s_delay_alu instid0(VALU_DEP_2) | instskip(NEXT) | instid1(VALU_DEP_1)
	v_mov_b32_e32 v33, v29
	v_pk_add_f32 v[232:233], v[232:233], v[32:33] neg_lo:[0,1] neg_hi:[0,1]
.LBB115_181:
	s_or_b32 exec_lo, exec_lo, s1
	s_delay_alu instid0(SALU_CYCLE_1)
	s_mov_b32 s2, exec_lo
	s_wait_dscnt 0x0
	s_barrier_signal -1
	s_barrier_wait -1
	v_cmpx_eq_u32_e32 20, v186
	s_cbranch_execz .LBB115_188
; %bb.182:
	ds_store_b64 v187, v[98:99]
	ds_store_2addr_b64 v196, v[94:95], v[96:97] offset0:21 offset1:22
	ds_store_2addr_b64 v196, v[92:93], v[114:115] offset0:23 offset1:24
	;; [unrolled: 1-line block ×18, first 2 shown]
	ds_store_b64 v196, v[232:233] offset:456
	ds_load_b64 v[28:29], v187
	s_wait_dscnt 0x0
	v_cmp_neq_f32_e32 vcc_lo, 0, v28
	v_cmp_neq_f32_e64 s1, 0, v29
	s_or_b32 s1, vcc_lo, s1
	s_delay_alu instid0(SALU_CYCLE_1)
	s_and_b32 exec_lo, exec_lo, s1
	s_cbranch_execz .LBB115_188
; %bb.183:
	v_cmp_ngt_f32_e64 s1, |v28|, |v29|
                                        ; implicit-def: $vgpr30_vgpr31
	s_and_saveexec_b32 s4, s1
	s_delay_alu instid0(SALU_CYCLE_1)
	s_xor_b32 s1, exec_lo, s4
	s_cbranch_execz .LBB115_185
; %bb.184:
	v_div_scale_f32 v30, null, v29, v29, v28
	v_div_scale_f32 v33, vcc_lo, v28, v29, v28
	s_delay_alu instid0(VALU_DEP_2) | instskip(SKIP_1) | instid1(TRANS32_DEP_1)
	v_rcp_f32_e32 v31, v30
	v_nop
	v_fma_f32 v32, -v30, v31, 1.0
	s_delay_alu instid0(VALU_DEP_1) | instskip(NEXT) | instid1(VALU_DEP_1)
	v_fmac_f32_e32 v31, v32, v31
	v_mul_f32_e32 v32, v33, v31
	s_delay_alu instid0(VALU_DEP_1) | instskip(NEXT) | instid1(VALU_DEP_1)
	v_fma_f32 v42, -v30, v32, v33
	v_fmac_f32_e32 v32, v42, v31
	s_delay_alu instid0(VALU_DEP_1) | instskip(NEXT) | instid1(VALU_DEP_1)
	v_fma_f32 v30, -v30, v32, v33
	v_div_fmas_f32 v30, v30, v31, v32
	s_delay_alu instid0(VALU_DEP_1) | instskip(NEXT) | instid1(VALU_DEP_1)
	v_div_fixup_f32 v30, v30, v29, v28
	v_fmac_f32_e32 v29, v28, v30
	s_delay_alu instid0(VALU_DEP_1) | instskip(SKIP_1) | instid1(VALU_DEP_2)
	v_div_scale_f32 v28, null, v29, v29, 1.0
	v_div_scale_f32 v33, vcc_lo, 1.0, v29, 1.0
	v_rcp_f32_e32 v31, v28
	v_nop
	s_delay_alu instid0(TRANS32_DEP_1) | instskip(NEXT) | instid1(VALU_DEP_1)
	v_fma_f32 v32, -v28, v31, 1.0
	v_fmac_f32_e32 v31, v32, v31
	s_delay_alu instid0(VALU_DEP_1) | instskip(NEXT) | instid1(VALU_DEP_1)
	v_mul_f32_e32 v32, v33, v31
	v_fma_f32 v42, -v28, v32, v33
	s_delay_alu instid0(VALU_DEP_1) | instskip(NEXT) | instid1(VALU_DEP_1)
	v_fmac_f32_e32 v32, v42, v31
	v_fma_f32 v28, -v28, v32, v33
	s_delay_alu instid0(VALU_DEP_1) | instskip(NEXT) | instid1(VALU_DEP_1)
	v_div_fmas_f32 v28, v28, v31, v32
	v_div_fixup_f32 v28, v28, v29, 1.0
	s_delay_alu instid0(VALU_DEP_1)
	v_mul_f32_e32 v30, v30, v28
	v_xor_b32_e32 v31, 0x80000000, v28
                                        ; implicit-def: $vgpr28_vgpr29
.LBB115_185:
	s_and_not1_saveexec_b32 s1, s1
	s_cbranch_execz .LBB115_187
; %bb.186:
	v_div_scale_f32 v30, null, v28, v28, v29
	v_div_scale_f32 v33, vcc_lo, v29, v28, v29
	s_delay_alu instid0(VALU_DEP_2) | instskip(SKIP_1) | instid1(TRANS32_DEP_1)
	v_rcp_f32_e32 v31, v30
	v_nop
	v_fma_f32 v32, -v30, v31, 1.0
	s_delay_alu instid0(VALU_DEP_1) | instskip(NEXT) | instid1(VALU_DEP_1)
	v_fmac_f32_e32 v31, v32, v31
	v_mul_f32_e32 v32, v33, v31
	s_delay_alu instid0(VALU_DEP_1) | instskip(NEXT) | instid1(VALU_DEP_1)
	v_fma_f32 v42, -v30, v32, v33
	v_fmac_f32_e32 v32, v42, v31
	s_delay_alu instid0(VALU_DEP_1) | instskip(NEXT) | instid1(VALU_DEP_1)
	v_fma_f32 v30, -v30, v32, v33
	v_div_fmas_f32 v30, v30, v31, v32
	s_delay_alu instid0(VALU_DEP_1) | instskip(NEXT) | instid1(VALU_DEP_1)
	v_div_fixup_f32 v31, v30, v28, v29
	v_fmac_f32_e32 v28, v29, v31
	s_delay_alu instid0(VALU_DEP_1) | instskip(NEXT) | instid1(VALU_DEP_1)
	v_div_scale_f32 v29, null, v28, v28, 1.0
	v_rcp_f32_e32 v30, v29
	v_nop
	s_delay_alu instid0(TRANS32_DEP_1) | instskip(NEXT) | instid1(VALU_DEP_1)
	v_fma_f32 v32, -v29, v30, 1.0
	v_fmac_f32_e32 v30, v32, v30
	v_div_scale_f32 v32, vcc_lo, 1.0, v28, 1.0
	s_delay_alu instid0(VALU_DEP_1) | instskip(NEXT) | instid1(VALU_DEP_1)
	v_mul_f32_e32 v33, v32, v30
	v_fma_f32 v42, -v29, v33, v32
	s_delay_alu instid0(VALU_DEP_1) | instskip(NEXT) | instid1(VALU_DEP_1)
	v_fmac_f32_e32 v33, v42, v30
	v_fma_f32 v29, -v29, v33, v32
	s_delay_alu instid0(VALU_DEP_1) | instskip(NEXT) | instid1(VALU_DEP_1)
	v_div_fmas_f32 v29, v29, v30, v33
	v_div_fixup_f32 v30, v29, v28, 1.0
	s_delay_alu instid0(VALU_DEP_1)
	v_mul_f32_e64 v31, v31, -v30
.LBB115_187:
	s_or_b32 exec_lo, exec_lo, s1
	ds_store_b64 v187, v[30:31]
.LBB115_188:
	s_or_b32 exec_lo, exec_lo, s2
	s_wait_dscnt 0x0
	s_barrier_signal -1
	s_barrier_wait -1
	ds_load_b64 v[28:29], v187
	s_mov_b32 s1, exec_lo
	v_cmpx_lt_u32_e32 20, v186
	s_cbranch_execz .LBB115_190
; %bb.189:
	ds_load_2addr_b64 v[48:51], v196 offset0:21 offset1:22
	s_wait_dscnt 0x1
	v_pk_mul_f32 v[32:33], v[28:29], v[98:99] op_sel:[1,1] op_sel_hi:[0,1]
	s_delay_alu instid0(VALU_DEP_1) | instskip(SKIP_1) | instid1(VALU_DEP_1)
	v_pk_fma_f32 v[30:31], v[28:29], v[98:99], v[32:33] op_sel_hi:[1,0,1] neg_lo:[0,0,1] neg_hi:[0,0,1]
	v_pk_fma_f32 v[32:33], v[28:29], v[98:99], v[32:33] op_sel_hi:[1,0,1]
	v_dual_mov_b32 v98, v30 :: v_dual_mov_b32 v99, v33
	s_wait_dscnt 0x0
	s_delay_alu instid0(VALU_DEP_2) | instskip(NEXT) | instid1(VALU_DEP_1)
	v_pk_mul_f32 v[42:43], v[48:49], v[32:33] op_sel:[0,1]
	v_pk_fma_f32 v[52:53], v[48:49], v[30:31], v[42:43] op_sel:[0,0,1] op_sel_hi:[1,1,0] neg_lo:[0,0,1] neg_hi:[0,0,1]
	v_pk_fma_f32 v[42:43], v[48:49], v[30:31], v[42:43] op_sel:[0,0,1] op_sel_hi:[1,0,0]
	s_delay_alu instid0(VALU_DEP_1) | instskip(SKIP_1) | instid1(VALU_DEP_1)
	v_mov_b32_e32 v53, v43
	v_pk_mul_f32 v[42:43], v[50:51], v[32:33] op_sel:[0,1]
	v_pk_fma_f32 v[48:49], v[50:51], v[30:31], v[42:43] op_sel:[0,0,1] op_sel_hi:[1,1,0] neg_lo:[0,0,1] neg_hi:[0,0,1]
	v_pk_fma_f32 v[42:43], v[50:51], v[30:31], v[42:43] op_sel:[0,0,1] op_sel_hi:[1,0,0]
	s_delay_alu instid0(VALU_DEP_1) | instskip(SKIP_1) | instid1(VALU_DEP_2)
	v_mov_b32_e32 v49, v43
	v_pk_add_f32 v[94:95], v[94:95], v[52:53] neg_lo:[0,1] neg_hi:[0,1]
	v_pk_add_f32 v[96:97], v[96:97], v[48:49] neg_lo:[0,1] neg_hi:[0,1]
	ds_load_2addr_b64 v[48:51], v196 offset0:23 offset1:24
	s_wait_dscnt 0x0
	v_pk_mul_f32 v[42:43], v[48:49], v[32:33] op_sel:[0,1]
	s_delay_alu instid0(VALU_DEP_1) | instskip(SKIP_2) | instid1(VALU_DEP_2)
	v_pk_fma_f32 v[52:53], v[48:49], v[30:31], v[42:43] op_sel:[0,0,1] op_sel_hi:[1,1,0] neg_lo:[0,0,1] neg_hi:[0,0,1]
	v_pk_fma_f32 v[42:43], v[48:49], v[30:31], v[42:43] op_sel:[0,0,1] op_sel_hi:[1,0,0]
	v_dual_mul_f32 v48, v51, v33 :: v_dual_mov_b32 v42, v51
	v_dual_mov_b32 v53, v43 :: v_dual_mov_b32 v43, v50
	s_delay_alu instid0(VALU_DEP_2) | instskip(SKIP_1) | instid1(VALU_DEP_3)
	v_pk_fma_f32 v[48:49], v[50:51], v[98:99], v[48:49] op_sel_hi:[1,1,0] neg_lo:[0,0,1] neg_hi:[0,0,1]
	v_mul_f32_e32 v50, v51, v30
	v_pk_add_f32 v[92:93], v[92:93], v[52:53] neg_lo:[0,1] neg_hi:[0,1]
	s_delay_alu instid0(VALU_DEP_2) | instskip(NEXT) | instid1(VALU_DEP_1)
	v_pk_fma_f32 v[42:43], v[42:43], v[98:99], v[50:51] op_sel_hi:[1,1,0]
	v_mov_b32_e32 v49, v43
	s_delay_alu instid0(VALU_DEP_1) | instskip(SKIP_3) | instid1(VALU_DEP_1)
	v_pk_add_f32 v[114:115], v[114:115], v[48:49] neg_lo:[0,1] neg_hi:[0,1]
	ds_load_2addr_b64 v[48:51], v196 offset0:25 offset1:26
	s_wait_dscnt 0x0
	v_pk_mul_f32 v[42:43], v[48:49], v[32:33] op_sel:[0,1]
	v_pk_fma_f32 v[52:53], v[48:49], v[30:31], v[42:43] op_sel:[0,0,1] op_sel_hi:[1,1,0] neg_lo:[0,0,1] neg_hi:[0,0,1]
	v_pk_fma_f32 v[42:43], v[48:49], v[30:31], v[42:43] op_sel:[0,0,1] op_sel_hi:[1,0,0]
	s_delay_alu instid0(VALU_DEP_1) | instskip(SKIP_1) | instid1(VALU_DEP_2)
	v_mov_b32_e32 v53, v43
	v_pk_mul_f32 v[42:43], v[50:51], v[32:33] op_sel:[0,1]
	v_pk_add_f32 v[110:111], v[110:111], v[52:53] neg_lo:[0,1] neg_hi:[0,1]
	s_delay_alu instid0(VALU_DEP_2) | instskip(SKIP_1) | instid1(VALU_DEP_1)
	v_pk_fma_f32 v[48:49], v[50:51], v[30:31], v[42:43] op_sel:[0,0,1] op_sel_hi:[1,1,0] neg_lo:[0,0,1] neg_hi:[0,0,1]
	v_pk_fma_f32 v[42:43], v[50:51], v[30:31], v[42:43] op_sel:[0,0,1] op_sel_hi:[1,0,0]
	v_mov_b32_e32 v49, v43
	s_delay_alu instid0(VALU_DEP_1) | instskip(SKIP_3) | instid1(VALU_DEP_1)
	v_pk_add_f32 v[112:113], v[112:113], v[48:49] neg_lo:[0,1] neg_hi:[0,1]
	ds_load_2addr_b64 v[48:51], v196 offset0:27 offset1:28
	s_wait_dscnt 0x0
	v_pk_mul_f32 v[42:43], v[48:49], v[32:33] op_sel:[0,1]
	v_pk_fma_f32 v[52:53], v[48:49], v[30:31], v[42:43] op_sel:[0,0,1] op_sel_hi:[1,1,0] neg_lo:[0,0,1] neg_hi:[0,0,1]
	v_pk_fma_f32 v[42:43], v[48:49], v[30:31], v[42:43] op_sel:[0,0,1] op_sel_hi:[1,0,0]
	s_delay_alu instid0(VALU_DEP_1) | instskip(SKIP_1) | instid1(VALU_DEP_2)
	v_mov_b32_e32 v53, v43
	v_pk_mul_f32 v[42:43], v[50:51], v[32:33] op_sel:[0,1]
	v_pk_add_f32 v[108:109], v[108:109], v[52:53] neg_lo:[0,1] neg_hi:[0,1]
	s_delay_alu instid0(VALU_DEP_2) | instskip(SKIP_1) | instid1(VALU_DEP_1)
	v_pk_fma_f32 v[48:49], v[50:51], v[30:31], v[42:43] op_sel:[0,0,1] op_sel_hi:[1,1,0] neg_lo:[0,0,1] neg_hi:[0,0,1]
	v_pk_fma_f32 v[42:43], v[50:51], v[30:31], v[42:43] op_sel:[0,0,1] op_sel_hi:[1,0,0]
	v_mov_b32_e32 v49, v43
	s_delay_alu instid0(VALU_DEP_1) | instskip(SKIP_3) | instid1(VALU_DEP_1)
	v_pk_add_f32 v[130:131], v[130:131], v[48:49] neg_lo:[0,1] neg_hi:[0,1]
	ds_load_2addr_b64 v[48:51], v196 offset0:29 offset1:30
	s_wait_dscnt 0x0
	v_dual_mul_f32 v42, v49, v33 :: v_dual_mul_f32 v52, v49, v30
	v_pk_fma_f32 v[42:43], v[48:49], v[98:99], v[42:43] op_sel_hi:[1,1,0] neg_lo:[0,0,1] neg_hi:[0,0,1]
	s_delay_alu instid0(VALU_DEP_2) | instskip(NEXT) | instid1(VALU_DEP_1)
	v_pk_fma_f32 v[48:49], v[48:49], v[98:99], v[52:53] op_sel:[1,0,0] op_sel_hi:[0,1,0]
	v_mov_b32_e32 v43, v49
	s_delay_alu instid0(VALU_DEP_1) | instskip(SKIP_1) | instid1(VALU_DEP_1)
	v_pk_add_f32 v[126:127], v[126:127], v[42:43] neg_lo:[0,1] neg_hi:[0,1]
	v_pk_mul_f32 v[42:43], v[50:51], v[32:33] op_sel:[0,1]
	v_pk_fma_f32 v[48:49], v[50:51], v[30:31], v[42:43] op_sel:[0,0,1] op_sel_hi:[1,1,0] neg_lo:[0,0,1] neg_hi:[0,0,1]
	v_pk_fma_f32 v[42:43], v[50:51], v[30:31], v[42:43] op_sel:[0,0,1] op_sel_hi:[1,0,0]
	s_delay_alu instid0(VALU_DEP_1) | instskip(NEXT) | instid1(VALU_DEP_1)
	v_mov_b32_e32 v49, v43
	v_pk_add_f32 v[128:129], v[128:129], v[48:49] neg_lo:[0,1] neg_hi:[0,1]
	ds_load_2addr_b64 v[48:51], v196 offset0:31 offset1:32
	s_wait_dscnt 0x0
	v_pk_mul_f32 v[42:43], v[48:49], v[32:33] op_sel:[0,1]
	s_delay_alu instid0(VALU_DEP_1) | instskip(SKIP_1) | instid1(VALU_DEP_1)
	v_pk_fma_f32 v[52:53], v[48:49], v[30:31], v[42:43] op_sel:[0,0,1] op_sel_hi:[1,1,0] neg_lo:[0,0,1] neg_hi:[0,0,1]
	v_pk_fma_f32 v[42:43], v[48:49], v[30:31], v[42:43] op_sel:[0,0,1] op_sel_hi:[1,0,0]
	v_mov_b32_e32 v53, v43
	v_pk_mul_f32 v[42:43], v[50:51], v[32:33] op_sel:[0,1]
	s_delay_alu instid0(VALU_DEP_2) | instskip(NEXT) | instid1(VALU_DEP_2)
	v_pk_add_f32 v[124:125], v[124:125], v[52:53] neg_lo:[0,1] neg_hi:[0,1]
	v_pk_fma_f32 v[48:49], v[50:51], v[30:31], v[42:43] op_sel:[0,0,1] op_sel_hi:[1,1,0] neg_lo:[0,0,1] neg_hi:[0,0,1]
	v_pk_fma_f32 v[42:43], v[50:51], v[30:31], v[42:43] op_sel:[0,0,1] op_sel_hi:[1,0,0]
	s_delay_alu instid0(VALU_DEP_1) | instskip(NEXT) | instid1(VALU_DEP_1)
	v_mov_b32_e32 v49, v43
	v_pk_add_f32 v[146:147], v[146:147], v[48:49] neg_lo:[0,1] neg_hi:[0,1]
	ds_load_2addr_b64 v[48:51], v196 offset0:33 offset1:34
	s_wait_dscnt 0x0
	v_pk_mul_f32 v[42:43], v[48:49], v[32:33] op_sel:[0,1]
	s_delay_alu instid0(VALU_DEP_1) | instskip(SKIP_2) | instid1(VALU_DEP_2)
	v_pk_fma_f32 v[52:53], v[48:49], v[30:31], v[42:43] op_sel:[0,0,1] op_sel_hi:[1,1,0] neg_lo:[0,0,1] neg_hi:[0,0,1]
	v_pk_fma_f32 v[42:43], v[48:49], v[30:31], v[42:43] op_sel:[0,0,1] op_sel_hi:[1,0,0]
	v_dual_mul_f32 v48, v51, v33 :: v_dual_mov_b32 v42, v51
	v_dual_mov_b32 v53, v43 :: v_dual_mov_b32 v43, v50
	s_delay_alu instid0(VALU_DEP_2) | instskip(SKIP_1) | instid1(VALU_DEP_3)
	v_pk_fma_f32 v[48:49], v[50:51], v[98:99], v[48:49] op_sel_hi:[1,1,0] neg_lo:[0,0,1] neg_hi:[0,0,1]
	v_mul_f32_e32 v50, v51, v30
	v_pk_add_f32 v[142:143], v[142:143], v[52:53] neg_lo:[0,1] neg_hi:[0,1]
	s_delay_alu instid0(VALU_DEP_2) | instskip(NEXT) | instid1(VALU_DEP_1)
	v_pk_fma_f32 v[42:43], v[42:43], v[98:99], v[50:51] op_sel_hi:[1,1,0]
	v_mov_b32_e32 v49, v43
	s_delay_alu instid0(VALU_DEP_1) | instskip(SKIP_3) | instid1(VALU_DEP_1)
	v_pk_add_f32 v[144:145], v[144:145], v[48:49] neg_lo:[0,1] neg_hi:[0,1]
	ds_load_2addr_b64 v[48:51], v196 offset0:35 offset1:36
	s_wait_dscnt 0x0
	v_pk_mul_f32 v[42:43], v[48:49], v[32:33] op_sel:[0,1]
	v_pk_fma_f32 v[52:53], v[48:49], v[30:31], v[42:43] op_sel:[0,0,1] op_sel_hi:[1,1,0] neg_lo:[0,0,1] neg_hi:[0,0,1]
	v_pk_fma_f32 v[42:43], v[48:49], v[30:31], v[42:43] op_sel:[0,0,1] op_sel_hi:[1,0,0]
	s_delay_alu instid0(VALU_DEP_1) | instskip(SKIP_1) | instid1(VALU_DEP_2)
	v_mov_b32_e32 v53, v43
	v_pk_mul_f32 v[42:43], v[50:51], v[32:33] op_sel:[0,1]
	v_pk_add_f32 v[140:141], v[140:141], v[52:53] neg_lo:[0,1] neg_hi:[0,1]
	s_delay_alu instid0(VALU_DEP_2) | instskip(SKIP_1) | instid1(VALU_DEP_1)
	v_pk_fma_f32 v[48:49], v[50:51], v[30:31], v[42:43] op_sel:[0,0,1] op_sel_hi:[1,1,0] neg_lo:[0,0,1] neg_hi:[0,0,1]
	v_pk_fma_f32 v[42:43], v[50:51], v[30:31], v[42:43] op_sel:[0,0,1] op_sel_hi:[1,0,0]
	v_mov_b32_e32 v49, v43
	s_delay_alu instid0(VALU_DEP_1) | instskip(SKIP_3) | instid1(VALU_DEP_1)
	v_pk_add_f32 v[162:163], v[162:163], v[48:49] neg_lo:[0,1] neg_hi:[0,1]
	ds_load_2addr_b64 v[48:51], v196 offset0:37 offset1:38
	s_wait_dscnt 0x0
	v_pk_mul_f32 v[42:43], v[48:49], v[32:33] op_sel:[0,1]
	v_pk_fma_f32 v[52:53], v[48:49], v[30:31], v[42:43] op_sel:[0,0,1] op_sel_hi:[1,1,0] neg_lo:[0,0,1] neg_hi:[0,0,1]
	v_pk_fma_f32 v[42:43], v[48:49], v[30:31], v[42:43] op_sel:[0,0,1] op_sel_hi:[1,0,0]
	s_delay_alu instid0(VALU_DEP_1) | instskip(SKIP_1) | instid1(VALU_DEP_2)
	v_mov_b32_e32 v53, v43
	v_pk_mul_f32 v[42:43], v[50:51], v[32:33] op_sel:[0,1]
	v_pk_add_f32 v[158:159], v[158:159], v[52:53] neg_lo:[0,1] neg_hi:[0,1]
	s_delay_alu instid0(VALU_DEP_2) | instskip(SKIP_1) | instid1(VALU_DEP_1)
	v_pk_fma_f32 v[48:49], v[50:51], v[30:31], v[42:43] op_sel:[0,0,1] op_sel_hi:[1,1,0] neg_lo:[0,0,1] neg_hi:[0,0,1]
	v_pk_fma_f32 v[42:43], v[50:51], v[30:31], v[42:43] op_sel:[0,0,1] op_sel_hi:[1,0,0]
	v_mov_b32_e32 v49, v43
	s_delay_alu instid0(VALU_DEP_1) | instskip(SKIP_3) | instid1(VALU_DEP_1)
	v_pk_add_f32 v[160:161], v[160:161], v[48:49] neg_lo:[0,1] neg_hi:[0,1]
	ds_load_2addr_b64 v[48:51], v196 offset0:39 offset1:40
	s_wait_dscnt 0x0
	v_dual_mul_f32 v42, v49, v33 :: v_dual_mul_f32 v52, v49, v30
	v_pk_fma_f32 v[42:43], v[48:49], v[98:99], v[42:43] op_sel_hi:[1,1,0] neg_lo:[0,0,1] neg_hi:[0,0,1]
	s_delay_alu instid0(VALU_DEP_2) | instskip(NEXT) | instid1(VALU_DEP_1)
	v_pk_fma_f32 v[48:49], v[48:49], v[98:99], v[52:53] op_sel:[1,0,0] op_sel_hi:[0,1,0]
	v_mov_b32_e32 v43, v49
	s_delay_alu instid0(VALU_DEP_1) | instskip(SKIP_1) | instid1(VALU_DEP_1)
	v_pk_add_f32 v[156:157], v[156:157], v[42:43] neg_lo:[0,1] neg_hi:[0,1]
	v_pk_mul_f32 v[42:43], v[50:51], v[32:33] op_sel:[0,1]
	v_pk_fma_f32 v[48:49], v[50:51], v[30:31], v[42:43] op_sel:[0,0,1] op_sel_hi:[1,1,0] neg_lo:[0,0,1] neg_hi:[0,0,1]
	v_pk_fma_f32 v[42:43], v[50:51], v[30:31], v[42:43] op_sel:[0,0,1] op_sel_hi:[1,0,0]
	s_delay_alu instid0(VALU_DEP_1) | instskip(NEXT) | instid1(VALU_DEP_1)
	v_mov_b32_e32 v49, v43
	v_pk_add_f32 v[178:179], v[178:179], v[48:49] neg_lo:[0,1] neg_hi:[0,1]
	ds_load_2addr_b64 v[48:51], v196 offset0:41 offset1:42
	s_wait_dscnt 0x0
	v_pk_mul_f32 v[42:43], v[48:49], v[32:33] op_sel:[0,1]
	s_delay_alu instid0(VALU_DEP_1) | instskip(SKIP_1) | instid1(VALU_DEP_1)
	v_pk_fma_f32 v[52:53], v[48:49], v[30:31], v[42:43] op_sel:[0,0,1] op_sel_hi:[1,1,0] neg_lo:[0,0,1] neg_hi:[0,0,1]
	v_pk_fma_f32 v[42:43], v[48:49], v[30:31], v[42:43] op_sel:[0,0,1] op_sel_hi:[1,0,0]
	v_mov_b32_e32 v53, v43
	v_pk_mul_f32 v[42:43], v[50:51], v[32:33] op_sel:[0,1]
	s_delay_alu instid0(VALU_DEP_2) | instskip(NEXT) | instid1(VALU_DEP_2)
	v_pk_add_f32 v[174:175], v[174:175], v[52:53] neg_lo:[0,1] neg_hi:[0,1]
	v_pk_fma_f32 v[48:49], v[50:51], v[30:31], v[42:43] op_sel:[0,0,1] op_sel_hi:[1,1,0] neg_lo:[0,0,1] neg_hi:[0,0,1]
	v_pk_fma_f32 v[42:43], v[50:51], v[30:31], v[42:43] op_sel:[0,0,1] op_sel_hi:[1,0,0]
	s_delay_alu instid0(VALU_DEP_1) | instskip(NEXT) | instid1(VALU_DEP_1)
	v_mov_b32_e32 v49, v43
	v_pk_add_f32 v[176:177], v[176:177], v[48:49] neg_lo:[0,1] neg_hi:[0,1]
	ds_load_2addr_b64 v[48:51], v196 offset0:43 offset1:44
	s_wait_dscnt 0x0
	v_pk_mul_f32 v[42:43], v[48:49], v[32:33] op_sel:[0,1]
	s_delay_alu instid0(VALU_DEP_1) | instskip(SKIP_2) | instid1(VALU_DEP_2)
	v_pk_fma_f32 v[52:53], v[48:49], v[30:31], v[42:43] op_sel:[0,0,1] op_sel_hi:[1,1,0] neg_lo:[0,0,1] neg_hi:[0,0,1]
	v_pk_fma_f32 v[42:43], v[48:49], v[30:31], v[42:43] op_sel:[0,0,1] op_sel_hi:[1,0,0]
	v_dual_mul_f32 v48, v51, v33 :: v_dual_mov_b32 v42, v51
	v_dual_mov_b32 v53, v43 :: v_dual_mov_b32 v43, v50
	s_delay_alu instid0(VALU_DEP_2) | instskip(SKIP_1) | instid1(VALU_DEP_3)
	v_pk_fma_f32 v[48:49], v[50:51], v[98:99], v[48:49] op_sel_hi:[1,1,0] neg_lo:[0,0,1] neg_hi:[0,0,1]
	v_mul_f32_e32 v50, v51, v30
	v_pk_add_f32 v[172:173], v[172:173], v[52:53] neg_lo:[0,1] neg_hi:[0,1]
	s_delay_alu instid0(VALU_DEP_2) | instskip(NEXT) | instid1(VALU_DEP_1)
	v_pk_fma_f32 v[42:43], v[42:43], v[98:99], v[50:51] op_sel_hi:[1,1,0]
	v_mov_b32_e32 v49, v43
	s_delay_alu instid0(VALU_DEP_1) | instskip(SKIP_3) | instid1(VALU_DEP_1)
	v_pk_add_f32 v[194:195], v[194:195], v[48:49] neg_lo:[0,1] neg_hi:[0,1]
	ds_load_2addr_b64 v[48:51], v196 offset0:45 offset1:46
	s_wait_dscnt 0x0
	v_pk_mul_f32 v[42:43], v[48:49], v[32:33] op_sel:[0,1]
	v_pk_fma_f32 v[52:53], v[48:49], v[30:31], v[42:43] op_sel:[0,0,1] op_sel_hi:[1,1,0] neg_lo:[0,0,1] neg_hi:[0,0,1]
	v_pk_fma_f32 v[42:43], v[48:49], v[30:31], v[42:43] op_sel:[0,0,1] op_sel_hi:[1,0,0]
	s_delay_alu instid0(VALU_DEP_1) | instskip(SKIP_1) | instid1(VALU_DEP_2)
	v_mov_b32_e32 v53, v43
	v_pk_mul_f32 v[42:43], v[50:51], v[32:33] op_sel:[0,1]
	v_pk_add_f32 v[190:191], v[190:191], v[52:53] neg_lo:[0,1] neg_hi:[0,1]
	s_delay_alu instid0(VALU_DEP_2) | instskip(SKIP_1) | instid1(VALU_DEP_1)
	v_pk_fma_f32 v[48:49], v[50:51], v[30:31], v[42:43] op_sel:[0,0,1] op_sel_hi:[1,1,0] neg_lo:[0,0,1] neg_hi:[0,0,1]
	v_pk_fma_f32 v[42:43], v[50:51], v[30:31], v[42:43] op_sel:[0,0,1] op_sel_hi:[1,0,0]
	v_mov_b32_e32 v49, v43
	s_delay_alu instid0(VALU_DEP_1) | instskip(SKIP_3) | instid1(VALU_DEP_1)
	v_pk_add_f32 v[192:193], v[192:193], v[48:49] neg_lo:[0,1] neg_hi:[0,1]
	ds_load_2addr_b64 v[48:51], v196 offset0:47 offset1:48
	s_wait_dscnt 0x0
	v_pk_mul_f32 v[42:43], v[48:49], v[32:33] op_sel:[0,1]
	v_pk_fma_f32 v[52:53], v[48:49], v[30:31], v[42:43] op_sel:[0,0,1] op_sel_hi:[1,1,0] neg_lo:[0,0,1] neg_hi:[0,0,1]
	v_pk_fma_f32 v[42:43], v[48:49], v[30:31], v[42:43] op_sel:[0,0,1] op_sel_hi:[1,0,0]
	s_delay_alu instid0(VALU_DEP_1) | instskip(SKIP_1) | instid1(VALU_DEP_2)
	v_mov_b32_e32 v53, v43
	v_pk_mul_f32 v[42:43], v[50:51], v[32:33] op_sel:[0,1]
	v_pk_add_f32 v[188:189], v[188:189], v[52:53] neg_lo:[0,1] neg_hi:[0,1]
	s_delay_alu instid0(VALU_DEP_2) | instskip(SKIP_1) | instid1(VALU_DEP_1)
	v_pk_fma_f32 v[48:49], v[50:51], v[30:31], v[42:43] op_sel:[0,0,1] op_sel_hi:[1,1,0] neg_lo:[0,0,1] neg_hi:[0,0,1]
	v_pk_fma_f32 v[42:43], v[50:51], v[30:31], v[42:43] op_sel:[0,0,1] op_sel_hi:[1,0,0]
	v_mov_b32_e32 v49, v43
	s_delay_alu instid0(VALU_DEP_1) | instskip(SKIP_3) | instid1(VALU_DEP_1)
	v_pk_add_f32 v[212:213], v[212:213], v[48:49] neg_lo:[0,1] neg_hi:[0,1]
	ds_load_2addr_b64 v[48:51], v196 offset0:49 offset1:50
	s_wait_dscnt 0x0
	v_dual_mul_f32 v42, v49, v33 :: v_dual_mul_f32 v52, v49, v30
	v_pk_fma_f32 v[42:43], v[48:49], v[98:99], v[42:43] op_sel_hi:[1,1,0] neg_lo:[0,0,1] neg_hi:[0,0,1]
	s_delay_alu instid0(VALU_DEP_2) | instskip(NEXT) | instid1(VALU_DEP_1)
	v_pk_fma_f32 v[48:49], v[48:49], v[98:99], v[52:53] op_sel:[1,0,0] op_sel_hi:[0,1,0]
	v_mov_b32_e32 v43, v49
	s_delay_alu instid0(VALU_DEP_1) | instskip(SKIP_1) | instid1(VALU_DEP_1)
	v_pk_add_f32 v[208:209], v[208:209], v[42:43] neg_lo:[0,1] neg_hi:[0,1]
	v_pk_mul_f32 v[42:43], v[50:51], v[32:33] op_sel:[0,1]
	v_pk_fma_f32 v[48:49], v[50:51], v[30:31], v[42:43] op_sel:[0,0,1] op_sel_hi:[1,1,0] neg_lo:[0,0,1] neg_hi:[0,0,1]
	v_pk_fma_f32 v[42:43], v[50:51], v[30:31], v[42:43] op_sel:[0,0,1] op_sel_hi:[1,0,0]
	s_delay_alu instid0(VALU_DEP_1) | instskip(NEXT) | instid1(VALU_DEP_1)
	v_mov_b32_e32 v49, v43
	v_pk_add_f32 v[210:211], v[210:211], v[48:49] neg_lo:[0,1] neg_hi:[0,1]
	ds_load_2addr_b64 v[48:51], v196 offset0:51 offset1:52
	s_wait_dscnt 0x0
	v_pk_mul_f32 v[42:43], v[48:49], v[32:33] op_sel:[0,1]
	s_delay_alu instid0(VALU_DEP_1) | instskip(SKIP_1) | instid1(VALU_DEP_1)
	v_pk_fma_f32 v[52:53], v[48:49], v[30:31], v[42:43] op_sel:[0,0,1] op_sel_hi:[1,1,0] neg_lo:[0,0,1] neg_hi:[0,0,1]
	v_pk_fma_f32 v[42:43], v[48:49], v[30:31], v[42:43] op_sel:[0,0,1] op_sel_hi:[1,0,0]
	v_mov_b32_e32 v53, v43
	v_pk_mul_f32 v[42:43], v[50:51], v[32:33] op_sel:[0,1]
	s_delay_alu instid0(VALU_DEP_2) | instskip(NEXT) | instid1(VALU_DEP_2)
	v_pk_add_f32 v[206:207], v[206:207], v[52:53] neg_lo:[0,1] neg_hi:[0,1]
	v_pk_fma_f32 v[48:49], v[50:51], v[30:31], v[42:43] op_sel:[0,0,1] op_sel_hi:[1,1,0] neg_lo:[0,0,1] neg_hi:[0,0,1]
	v_pk_fma_f32 v[42:43], v[50:51], v[30:31], v[42:43] op_sel:[0,0,1] op_sel_hi:[1,0,0]
	s_delay_alu instid0(VALU_DEP_1) | instskip(NEXT) | instid1(VALU_DEP_1)
	v_mov_b32_e32 v49, v43
	v_pk_add_f32 v[228:229], v[228:229], v[48:49] neg_lo:[0,1] neg_hi:[0,1]
	ds_load_2addr_b64 v[48:51], v196 offset0:53 offset1:54
	s_wait_dscnt 0x0
	v_pk_mul_f32 v[42:43], v[48:49], v[32:33] op_sel:[0,1]
	s_delay_alu instid0(VALU_DEP_1) | instskip(SKIP_2) | instid1(VALU_DEP_2)
	v_pk_fma_f32 v[52:53], v[48:49], v[30:31], v[42:43] op_sel:[0,0,1] op_sel_hi:[1,1,0] neg_lo:[0,0,1] neg_hi:[0,0,1]
	v_pk_fma_f32 v[42:43], v[48:49], v[30:31], v[42:43] op_sel:[0,0,1] op_sel_hi:[1,0,0]
	v_dual_mul_f32 v48, v51, v33 :: v_dual_mov_b32 v42, v51
	v_dual_mov_b32 v53, v43 :: v_dual_mov_b32 v43, v50
	s_delay_alu instid0(VALU_DEP_2) | instskip(SKIP_1) | instid1(VALU_DEP_3)
	v_pk_fma_f32 v[48:49], v[50:51], v[98:99], v[48:49] op_sel_hi:[1,1,0] neg_lo:[0,0,1] neg_hi:[0,0,1]
	v_mul_f32_e32 v50, v51, v30
	v_pk_add_f32 v[224:225], v[224:225], v[52:53] neg_lo:[0,1] neg_hi:[0,1]
	s_delay_alu instid0(VALU_DEP_2) | instskip(NEXT) | instid1(VALU_DEP_1)
	v_pk_fma_f32 v[42:43], v[42:43], v[98:99], v[50:51] op_sel_hi:[1,1,0]
	v_mov_b32_e32 v49, v43
	s_delay_alu instid0(VALU_DEP_1) | instskip(SKIP_3) | instid1(VALU_DEP_1)
	v_pk_add_f32 v[226:227], v[226:227], v[48:49] neg_lo:[0,1] neg_hi:[0,1]
	ds_load_2addr_b64 v[48:51], v196 offset0:55 offset1:56
	s_wait_dscnt 0x0
	v_pk_mul_f32 v[42:43], v[48:49], v[32:33] op_sel:[0,1]
	v_pk_fma_f32 v[52:53], v[48:49], v[30:31], v[42:43] op_sel:[0,0,1] op_sel_hi:[1,1,0] neg_lo:[0,0,1] neg_hi:[0,0,1]
	v_pk_fma_f32 v[42:43], v[48:49], v[30:31], v[42:43] op_sel:[0,0,1] op_sel_hi:[1,0,0]
	s_delay_alu instid0(VALU_DEP_1) | instskip(SKIP_1) | instid1(VALU_DEP_2)
	v_mov_b32_e32 v53, v43
	v_pk_mul_f32 v[42:43], v[50:51], v[32:33] op_sel:[0,1]
	v_pk_add_f32 v[222:223], v[222:223], v[52:53] neg_lo:[0,1] neg_hi:[0,1]
	s_delay_alu instid0(VALU_DEP_2) | instskip(SKIP_1) | instid1(VALU_DEP_1)
	v_pk_fma_f32 v[48:49], v[50:51], v[30:31], v[42:43] op_sel:[0,0,1] op_sel_hi:[1,1,0] neg_lo:[0,0,1] neg_hi:[0,0,1]
	v_pk_fma_f32 v[42:43], v[50:51], v[30:31], v[42:43] op_sel:[0,0,1] op_sel_hi:[1,0,0]
	v_mov_b32_e32 v49, v43
	ds_load_b64 v[42:43], v196 offset:456
	v_pk_add_f32 v[230:231], v[230:231], v[48:49] neg_lo:[0,1] neg_hi:[0,1]
	s_wait_dscnt 0x0
	v_pk_mul_f32 v[32:33], v[42:43], v[32:33] op_sel:[0,1]
	s_delay_alu instid0(VALU_DEP_1) | instskip(SKIP_1) | instid1(VALU_DEP_1)
	v_pk_fma_f32 v[48:49], v[42:43], v[30:31], v[32:33] op_sel:[0,0,1] op_sel_hi:[1,1,0] neg_lo:[0,0,1] neg_hi:[0,0,1]
	v_pk_fma_f32 v[30:31], v[42:43], v[30:31], v[32:33] op_sel:[0,0,1] op_sel_hi:[1,0,0]
	v_mov_b32_e32 v49, v31
	s_delay_alu instid0(VALU_DEP_1)
	v_pk_add_f32 v[232:233], v[232:233], v[48:49] neg_lo:[0,1] neg_hi:[0,1]
.LBB115_190:
	s_or_b32 exec_lo, exec_lo, s1
	s_delay_alu instid0(SALU_CYCLE_1)
	s_mov_b32 s2, exec_lo
	s_wait_dscnt 0x0
	s_barrier_signal -1
	s_barrier_wait -1
	v_cmpx_eq_u32_e32 21, v186
	s_cbranch_execz .LBB115_197
; %bb.191:
	v_dual_mov_b32 v30, v96 :: v_dual_mov_b32 v31, v97
	v_dual_mov_b32 v32, v92 :: v_dual_mov_b32 v33, v93
	ds_store_b64 v187, v[94:95]
	ds_store_2addr_b64 v196, v[30:31], v[32:33] offset0:22 offset1:23
	v_dual_mov_b32 v30, v114 :: v_dual_mov_b32 v31, v115
	v_dual_mov_b32 v32, v110 :: v_dual_mov_b32 v33, v111
	ds_store_2addr_b64 v196, v[30:31], v[32:33] offset0:24 offset1:25
	v_dual_mov_b32 v30, v112 :: v_dual_mov_b32 v31, v113
	v_dual_mov_b32 v32, v108 :: v_dual_mov_b32 v33, v109
	;; [unrolled: 3-line block ×16, first 2 shown]
	ds_store_2addr_b64 v196, v[30:31], v[32:33] offset0:54 offset1:55
	v_dual_mov_b32 v30, v230 :: v_dual_mov_b32 v31, v231
	ds_store_2addr_b64 v196, v[30:31], v[232:233] offset0:56 offset1:57
	ds_load_b64 v[30:31], v187
	s_wait_dscnt 0x0
	v_cmp_neq_f32_e32 vcc_lo, 0, v30
	v_cmp_neq_f32_e64 s1, 0, v31
	s_or_b32 s1, vcc_lo, s1
	s_delay_alu instid0(SALU_CYCLE_1)
	s_and_b32 exec_lo, exec_lo, s1
	s_cbranch_execz .LBB115_197
; %bb.192:
	v_cmp_ngt_f32_e64 s1, |v30|, |v31|
                                        ; implicit-def: $vgpr32_vgpr33
	s_and_saveexec_b32 s4, s1
	s_delay_alu instid0(SALU_CYCLE_1)
	s_xor_b32 s1, exec_lo, s4
	s_cbranch_execz .LBB115_194
; %bb.193:
	v_div_scale_f32 v32, null, v31, v31, v30
	v_div_scale_f32 v43, vcc_lo, v30, v31, v30
	s_delay_alu instid0(VALU_DEP_2) | instskip(SKIP_1) | instid1(TRANS32_DEP_1)
	v_rcp_f32_e32 v33, v32
	v_nop
	v_fma_f32 v42, -v32, v33, 1.0
	s_delay_alu instid0(VALU_DEP_1) | instskip(NEXT) | instid1(VALU_DEP_1)
	v_fmac_f32_e32 v33, v42, v33
	v_mul_f32_e32 v42, v43, v33
	s_delay_alu instid0(VALU_DEP_1) | instskip(NEXT) | instid1(VALU_DEP_1)
	v_fma_f32 v48, -v32, v42, v43
	v_fmac_f32_e32 v42, v48, v33
	s_delay_alu instid0(VALU_DEP_1) | instskip(NEXT) | instid1(VALU_DEP_1)
	v_fma_f32 v32, -v32, v42, v43
	v_div_fmas_f32 v32, v32, v33, v42
	s_delay_alu instid0(VALU_DEP_1) | instskip(NEXT) | instid1(VALU_DEP_1)
	v_div_fixup_f32 v32, v32, v31, v30
	v_fmac_f32_e32 v31, v30, v32
	s_delay_alu instid0(VALU_DEP_1) | instskip(SKIP_1) | instid1(VALU_DEP_2)
	v_div_scale_f32 v30, null, v31, v31, 1.0
	v_div_scale_f32 v43, vcc_lo, 1.0, v31, 1.0
	v_rcp_f32_e32 v33, v30
	v_nop
	s_delay_alu instid0(TRANS32_DEP_1) | instskip(NEXT) | instid1(VALU_DEP_1)
	v_fma_f32 v42, -v30, v33, 1.0
	v_fmac_f32_e32 v33, v42, v33
	s_delay_alu instid0(VALU_DEP_1) | instskip(NEXT) | instid1(VALU_DEP_1)
	v_mul_f32_e32 v42, v43, v33
	v_fma_f32 v48, -v30, v42, v43
	s_delay_alu instid0(VALU_DEP_1) | instskip(NEXT) | instid1(VALU_DEP_1)
	v_fmac_f32_e32 v42, v48, v33
	v_fma_f32 v30, -v30, v42, v43
	s_delay_alu instid0(VALU_DEP_1) | instskip(NEXT) | instid1(VALU_DEP_1)
	v_div_fmas_f32 v30, v30, v33, v42
	v_div_fixup_f32 v30, v30, v31, 1.0
	s_delay_alu instid0(VALU_DEP_1)
	v_mul_f32_e32 v32, v32, v30
	v_xor_b32_e32 v33, 0x80000000, v30
                                        ; implicit-def: $vgpr30_vgpr31
.LBB115_194:
	s_and_not1_saveexec_b32 s1, s1
	s_cbranch_execz .LBB115_196
; %bb.195:
	v_div_scale_f32 v32, null, v30, v30, v31
	v_div_scale_f32 v43, vcc_lo, v31, v30, v31
	s_delay_alu instid0(VALU_DEP_2) | instskip(SKIP_1) | instid1(TRANS32_DEP_1)
	v_rcp_f32_e32 v33, v32
	v_nop
	v_fma_f32 v42, -v32, v33, 1.0
	s_delay_alu instid0(VALU_DEP_1) | instskip(NEXT) | instid1(VALU_DEP_1)
	v_fmac_f32_e32 v33, v42, v33
	v_mul_f32_e32 v42, v43, v33
	s_delay_alu instid0(VALU_DEP_1) | instskip(NEXT) | instid1(VALU_DEP_1)
	v_fma_f32 v48, -v32, v42, v43
	v_fmac_f32_e32 v42, v48, v33
	s_delay_alu instid0(VALU_DEP_1) | instskip(NEXT) | instid1(VALU_DEP_1)
	v_fma_f32 v32, -v32, v42, v43
	v_div_fmas_f32 v32, v32, v33, v42
	s_delay_alu instid0(VALU_DEP_1) | instskip(NEXT) | instid1(VALU_DEP_1)
	v_div_fixup_f32 v33, v32, v30, v31
	v_fmac_f32_e32 v30, v31, v33
	s_delay_alu instid0(VALU_DEP_1) | instskip(NEXT) | instid1(VALU_DEP_1)
	v_div_scale_f32 v31, null, v30, v30, 1.0
	v_rcp_f32_e32 v32, v31
	v_nop
	s_delay_alu instid0(TRANS32_DEP_1) | instskip(NEXT) | instid1(VALU_DEP_1)
	v_fma_f32 v42, -v31, v32, 1.0
	v_fmac_f32_e32 v32, v42, v32
	v_div_scale_f32 v42, vcc_lo, 1.0, v30, 1.0
	s_delay_alu instid0(VALU_DEP_1) | instskip(NEXT) | instid1(VALU_DEP_1)
	v_mul_f32_e32 v43, v42, v32
	v_fma_f32 v48, -v31, v43, v42
	s_delay_alu instid0(VALU_DEP_1) | instskip(NEXT) | instid1(VALU_DEP_1)
	v_fmac_f32_e32 v43, v48, v32
	v_fma_f32 v31, -v31, v43, v42
	s_delay_alu instid0(VALU_DEP_1) | instskip(NEXT) | instid1(VALU_DEP_1)
	v_div_fmas_f32 v31, v31, v32, v43
	v_div_fixup_f32 v32, v31, v30, 1.0
	s_delay_alu instid0(VALU_DEP_1)
	v_mul_f32_e64 v33, v33, -v32
.LBB115_196:
	s_or_b32 exec_lo, exec_lo, s1
	ds_store_b64 v187, v[32:33]
.LBB115_197:
	s_or_b32 exec_lo, exec_lo, s2
	s_wait_dscnt 0x0
	s_barrier_signal -1
	s_barrier_wait -1
	ds_load_b64 v[30:31], v187
	s_mov_b32 s1, exec_lo
	v_cmpx_lt_u32_e32 21, v186
	s_cbranch_execz .LBB115_199
; %bb.198:
	ds_load_2addr_b64 v[48:51], v196 offset0:22 offset1:23
	s_wait_dscnt 0x1
	v_pk_mul_f32 v[42:43], v[30:31], v[94:95] op_sel:[1,1] op_sel_hi:[0,1]
	s_delay_alu instid0(VALU_DEP_1) | instskip(SKIP_1) | instid1(VALU_DEP_1)
	v_pk_fma_f32 v[32:33], v[30:31], v[94:95], v[42:43] op_sel_hi:[1,0,1] neg_lo:[0,0,1] neg_hi:[0,0,1]
	v_pk_fma_f32 v[42:43], v[30:31], v[94:95], v[42:43] op_sel_hi:[1,0,1]
	v_dual_mov_b32 v94, v32 :: v_dual_mov_b32 v95, v43
	s_wait_dscnt 0x0
	s_delay_alu instid0(VALU_DEP_2) | instskip(NEXT) | instid1(VALU_DEP_1)
	v_pk_mul_f32 v[52:53], v[48:49], v[42:43] op_sel:[0,1]
	v_pk_fma_f32 v[66:67], v[48:49], v[32:33], v[52:53] op_sel:[0,0,1] op_sel_hi:[1,1,0] neg_lo:[0,0,1] neg_hi:[0,0,1]
	v_pk_fma_f32 v[48:49], v[48:49], v[32:33], v[52:53] op_sel:[0,0,1] op_sel_hi:[1,0,0]
	s_delay_alu instid0(VALU_DEP_1) | instskip(SKIP_1) | instid1(VALU_DEP_1)
	v_mov_b32_e32 v67, v49
	v_pk_mul_f32 v[48:49], v[50:51], v[42:43] op_sel:[0,1]
	v_pk_fma_f32 v[52:53], v[50:51], v[32:33], v[48:49] op_sel:[0,0,1] op_sel_hi:[1,1,0] neg_lo:[0,0,1] neg_hi:[0,0,1]
	v_pk_fma_f32 v[48:49], v[50:51], v[32:33], v[48:49] op_sel:[0,0,1] op_sel_hi:[1,0,0]
	s_delay_alu instid0(VALU_DEP_1)
	v_mov_b32_e32 v53, v49
	ds_load_2addr_b64 v[48:51], v196 offset0:24 offset1:25
	v_pk_add_f32 v[96:97], v[96:97], v[66:67] neg_lo:[0,1] neg_hi:[0,1]
	v_pk_add_f32 v[92:93], v[92:93], v[52:53] neg_lo:[0,1] neg_hi:[0,1]
	s_wait_dscnt 0x0
	v_pk_mul_f32 v[52:53], v[48:49], v[42:43] op_sel:[0,1]
	s_delay_alu instid0(VALU_DEP_1) | instskip(SKIP_2) | instid1(VALU_DEP_2)
	v_pk_fma_f32 v[66:67], v[48:49], v[32:33], v[52:53] op_sel:[0,0,1] op_sel_hi:[1,1,0] neg_lo:[0,0,1] neg_hi:[0,0,1]
	v_pk_fma_f32 v[48:49], v[48:49], v[32:33], v[52:53] op_sel:[0,0,1] op_sel_hi:[1,0,0]
	v_dual_mul_f32 v52, v51, v43 :: v_dual_mov_b32 v48, v51
	v_dual_mov_b32 v67, v49 :: v_dual_mov_b32 v49, v50
	s_delay_alu instid0(VALU_DEP_2) | instskip(SKIP_1) | instid1(VALU_DEP_3)
	v_pk_fma_f32 v[52:53], v[50:51], v[94:95], v[52:53] op_sel_hi:[1,1,0] neg_lo:[0,0,1] neg_hi:[0,0,1]
	v_mul_f32_e32 v50, v51, v32
	v_pk_add_f32 v[114:115], v[114:115], v[66:67] neg_lo:[0,1] neg_hi:[0,1]
	s_delay_alu instid0(VALU_DEP_2) | instskip(NEXT) | instid1(VALU_DEP_1)
	v_pk_fma_f32 v[48:49], v[48:49], v[94:95], v[50:51] op_sel_hi:[1,1,0]
	v_mov_b32_e32 v53, v49
	ds_load_2addr_b64 v[48:51], v196 offset0:26 offset1:27
	v_pk_add_f32 v[110:111], v[110:111], v[52:53] neg_lo:[0,1] neg_hi:[0,1]
	s_wait_dscnt 0x0
	v_pk_mul_f32 v[52:53], v[48:49], v[42:43] op_sel:[0,1]
	s_delay_alu instid0(VALU_DEP_1) | instskip(SKIP_1) | instid1(VALU_DEP_1)
	v_pk_fma_f32 v[66:67], v[48:49], v[32:33], v[52:53] op_sel:[0,0,1] op_sel_hi:[1,1,0] neg_lo:[0,0,1] neg_hi:[0,0,1]
	v_pk_fma_f32 v[48:49], v[48:49], v[32:33], v[52:53] op_sel:[0,0,1] op_sel_hi:[1,0,0]
	v_mov_b32_e32 v67, v49
	v_pk_mul_f32 v[48:49], v[50:51], v[42:43] op_sel:[0,1]
	s_delay_alu instid0(VALU_DEP_1) | instskip(SKIP_1) | instid1(VALU_DEP_1)
	v_pk_fma_f32 v[52:53], v[50:51], v[32:33], v[48:49] op_sel:[0,0,1] op_sel_hi:[1,1,0] neg_lo:[0,0,1] neg_hi:[0,0,1]
	v_pk_fma_f32 v[48:49], v[50:51], v[32:33], v[48:49] op_sel:[0,0,1] op_sel_hi:[1,0,0]
	v_mov_b32_e32 v53, v49
	ds_load_2addr_b64 v[48:51], v196 offset0:28 offset1:29
	v_pk_add_f32 v[112:113], v[112:113], v[66:67] neg_lo:[0,1] neg_hi:[0,1]
	v_pk_add_f32 v[108:109], v[108:109], v[52:53] neg_lo:[0,1] neg_hi:[0,1]
	s_wait_dscnt 0x0
	v_pk_mul_f32 v[52:53], v[48:49], v[42:43] op_sel:[0,1]
	s_delay_alu instid0(VALU_DEP_1) | instskip(SKIP_1) | instid1(VALU_DEP_1)
	v_pk_fma_f32 v[66:67], v[48:49], v[32:33], v[52:53] op_sel:[0,0,1] op_sel_hi:[1,1,0] neg_lo:[0,0,1] neg_hi:[0,0,1]
	v_pk_fma_f32 v[48:49], v[48:49], v[32:33], v[52:53] op_sel:[0,0,1] op_sel_hi:[1,0,0]
	v_mov_b32_e32 v67, v49
	v_pk_mul_f32 v[48:49], v[50:51], v[42:43] op_sel:[0,1]
	s_delay_alu instid0(VALU_DEP_1) | instskip(SKIP_1) | instid1(VALU_DEP_1)
	v_pk_fma_f32 v[52:53], v[50:51], v[32:33], v[48:49] op_sel:[0,0,1] op_sel_hi:[1,1,0] neg_lo:[0,0,1] neg_hi:[0,0,1]
	v_pk_fma_f32 v[48:49], v[50:51], v[32:33], v[48:49] op_sel:[0,0,1] op_sel_hi:[1,0,0]
	v_mov_b32_e32 v53, v49
	ds_load_2addr_b64 v[48:51], v196 offset0:30 offset1:31
	v_pk_add_f32 v[130:131], v[130:131], v[66:67] neg_lo:[0,1] neg_hi:[0,1]
	v_pk_add_f32 v[126:127], v[126:127], v[52:53] neg_lo:[0,1] neg_hi:[0,1]
	s_wait_dscnt 0x0
	v_dual_mul_f32 v52, v49, v43 :: v_dual_mul_f32 v66, v49, v32
	s_delay_alu instid0(VALU_DEP_1) | instskip(NEXT) | instid1(VALU_DEP_2)
	v_pk_fma_f32 v[52:53], v[48:49], v[94:95], v[52:53] op_sel_hi:[1,1,0] neg_lo:[0,0,1] neg_hi:[0,0,1]
	v_pk_fma_f32 v[48:49], v[48:49], v[94:95], v[66:67] op_sel:[1,0,0] op_sel_hi:[0,1,0]
	s_delay_alu instid0(VALU_DEP_1) | instskip(SKIP_1) | instid1(VALU_DEP_2)
	v_mov_b32_e32 v53, v49
	v_pk_mul_f32 v[48:49], v[50:51], v[42:43] op_sel:[0,1]
	v_pk_add_f32 v[128:129], v[128:129], v[52:53] neg_lo:[0,1] neg_hi:[0,1]
	s_delay_alu instid0(VALU_DEP_2) | instskip(SKIP_1) | instid1(VALU_DEP_1)
	v_pk_fma_f32 v[52:53], v[50:51], v[32:33], v[48:49] op_sel:[0,0,1] op_sel_hi:[1,1,0] neg_lo:[0,0,1] neg_hi:[0,0,1]
	v_pk_fma_f32 v[48:49], v[50:51], v[32:33], v[48:49] op_sel:[0,0,1] op_sel_hi:[1,0,0]
	v_mov_b32_e32 v53, v49
	ds_load_2addr_b64 v[48:51], v196 offset0:32 offset1:33
	v_pk_add_f32 v[124:125], v[124:125], v[52:53] neg_lo:[0,1] neg_hi:[0,1]
	s_wait_dscnt 0x0
	v_pk_mul_f32 v[52:53], v[48:49], v[42:43] op_sel:[0,1]
	s_delay_alu instid0(VALU_DEP_1) | instskip(SKIP_1) | instid1(VALU_DEP_1)
	v_pk_fma_f32 v[66:67], v[48:49], v[32:33], v[52:53] op_sel:[0,0,1] op_sel_hi:[1,1,0] neg_lo:[0,0,1] neg_hi:[0,0,1]
	v_pk_fma_f32 v[48:49], v[48:49], v[32:33], v[52:53] op_sel:[0,0,1] op_sel_hi:[1,0,0]
	v_mov_b32_e32 v67, v49
	v_pk_mul_f32 v[48:49], v[50:51], v[42:43] op_sel:[0,1]
	s_delay_alu instid0(VALU_DEP_2) | instskip(NEXT) | instid1(VALU_DEP_2)
	v_pk_add_f32 v[146:147], v[146:147], v[66:67] neg_lo:[0,1] neg_hi:[0,1]
	v_pk_fma_f32 v[52:53], v[50:51], v[32:33], v[48:49] op_sel:[0,0,1] op_sel_hi:[1,1,0] neg_lo:[0,0,1] neg_hi:[0,0,1]
	v_pk_fma_f32 v[48:49], v[50:51], v[32:33], v[48:49] op_sel:[0,0,1] op_sel_hi:[1,0,0]
	s_delay_alu instid0(VALU_DEP_1) | instskip(SKIP_4) | instid1(VALU_DEP_1)
	v_mov_b32_e32 v53, v49
	ds_load_2addr_b64 v[48:51], v196 offset0:34 offset1:35
	v_pk_add_f32 v[142:143], v[142:143], v[52:53] neg_lo:[0,1] neg_hi:[0,1]
	s_wait_dscnt 0x0
	v_pk_mul_f32 v[52:53], v[48:49], v[42:43] op_sel:[0,1]
	v_pk_fma_f32 v[66:67], v[48:49], v[32:33], v[52:53] op_sel:[0,0,1] op_sel_hi:[1,1,0] neg_lo:[0,0,1] neg_hi:[0,0,1]
	v_pk_fma_f32 v[48:49], v[48:49], v[32:33], v[52:53] op_sel:[0,0,1] op_sel_hi:[1,0,0]
	v_dual_mul_f32 v52, v51, v43 :: v_dual_mov_b32 v48, v51
	s_delay_alu instid0(VALU_DEP_2) | instskip(NEXT) | instid1(VALU_DEP_2)
	v_dual_mov_b32 v67, v49 :: v_dual_mov_b32 v49, v50
	v_pk_fma_f32 v[52:53], v[50:51], v[94:95], v[52:53] op_sel_hi:[1,1,0] neg_lo:[0,0,1] neg_hi:[0,0,1]
	v_mul_f32_e32 v50, v51, v32
	s_delay_alu instid0(VALU_DEP_3) | instskip(NEXT) | instid1(VALU_DEP_2)
	v_pk_add_f32 v[144:145], v[144:145], v[66:67] neg_lo:[0,1] neg_hi:[0,1]
	v_pk_fma_f32 v[48:49], v[48:49], v[94:95], v[50:51] op_sel_hi:[1,1,0]
	s_delay_alu instid0(VALU_DEP_1) | instskip(SKIP_4) | instid1(VALU_DEP_1)
	v_mov_b32_e32 v53, v49
	ds_load_2addr_b64 v[48:51], v196 offset0:36 offset1:37
	v_pk_add_f32 v[140:141], v[140:141], v[52:53] neg_lo:[0,1] neg_hi:[0,1]
	s_wait_dscnt 0x0
	v_pk_mul_f32 v[52:53], v[48:49], v[42:43] op_sel:[0,1]
	v_pk_fma_f32 v[66:67], v[48:49], v[32:33], v[52:53] op_sel:[0,0,1] op_sel_hi:[1,1,0] neg_lo:[0,0,1] neg_hi:[0,0,1]
	v_pk_fma_f32 v[48:49], v[48:49], v[32:33], v[52:53] op_sel:[0,0,1] op_sel_hi:[1,0,0]
	s_delay_alu instid0(VALU_DEP_1) | instskip(SKIP_1) | instid1(VALU_DEP_1)
	v_mov_b32_e32 v67, v49
	v_pk_mul_f32 v[48:49], v[50:51], v[42:43] op_sel:[0,1]
	v_pk_fma_f32 v[52:53], v[50:51], v[32:33], v[48:49] op_sel:[0,0,1] op_sel_hi:[1,1,0] neg_lo:[0,0,1] neg_hi:[0,0,1]
	v_pk_fma_f32 v[48:49], v[50:51], v[32:33], v[48:49] op_sel:[0,0,1] op_sel_hi:[1,0,0]
	s_delay_alu instid0(VALU_DEP_1)
	v_mov_b32_e32 v53, v49
	ds_load_2addr_b64 v[48:51], v196 offset0:38 offset1:39
	v_pk_add_f32 v[162:163], v[162:163], v[66:67] neg_lo:[0,1] neg_hi:[0,1]
	v_pk_add_f32 v[158:159], v[158:159], v[52:53] neg_lo:[0,1] neg_hi:[0,1]
	s_wait_dscnt 0x0
	v_pk_mul_f32 v[52:53], v[48:49], v[42:43] op_sel:[0,1]
	s_delay_alu instid0(VALU_DEP_1) | instskip(SKIP_1) | instid1(VALU_DEP_1)
	v_pk_fma_f32 v[66:67], v[48:49], v[32:33], v[52:53] op_sel:[0,0,1] op_sel_hi:[1,1,0] neg_lo:[0,0,1] neg_hi:[0,0,1]
	v_pk_fma_f32 v[48:49], v[48:49], v[32:33], v[52:53] op_sel:[0,0,1] op_sel_hi:[1,0,0]
	v_mov_b32_e32 v67, v49
	v_pk_mul_f32 v[48:49], v[50:51], v[42:43] op_sel:[0,1]
	s_delay_alu instid0(VALU_DEP_1) | instskip(SKIP_1) | instid1(VALU_DEP_1)
	v_pk_fma_f32 v[52:53], v[50:51], v[32:33], v[48:49] op_sel:[0,0,1] op_sel_hi:[1,1,0] neg_lo:[0,0,1] neg_hi:[0,0,1]
	v_pk_fma_f32 v[48:49], v[50:51], v[32:33], v[48:49] op_sel:[0,0,1] op_sel_hi:[1,0,0]
	v_mov_b32_e32 v53, v49
	ds_load_2addr_b64 v[48:51], v196 offset0:40 offset1:41
	v_pk_add_f32 v[160:161], v[160:161], v[66:67] neg_lo:[0,1] neg_hi:[0,1]
	v_pk_add_f32 v[156:157], v[156:157], v[52:53] neg_lo:[0,1] neg_hi:[0,1]
	s_wait_dscnt 0x0
	v_dual_mul_f32 v52, v49, v43 :: v_dual_mul_f32 v66, v49, v32
	s_delay_alu instid0(VALU_DEP_1) | instskip(NEXT) | instid1(VALU_DEP_2)
	v_pk_fma_f32 v[52:53], v[48:49], v[94:95], v[52:53] op_sel_hi:[1,1,0] neg_lo:[0,0,1] neg_hi:[0,0,1]
	v_pk_fma_f32 v[48:49], v[48:49], v[94:95], v[66:67] op_sel:[1,0,0] op_sel_hi:[0,1,0]
	s_delay_alu instid0(VALU_DEP_1) | instskip(SKIP_1) | instid1(VALU_DEP_2)
	v_mov_b32_e32 v53, v49
	v_pk_mul_f32 v[48:49], v[50:51], v[42:43] op_sel:[0,1]
	v_pk_add_f32 v[178:179], v[178:179], v[52:53] neg_lo:[0,1] neg_hi:[0,1]
	s_delay_alu instid0(VALU_DEP_2) | instskip(SKIP_1) | instid1(VALU_DEP_1)
	v_pk_fma_f32 v[52:53], v[50:51], v[32:33], v[48:49] op_sel:[0,0,1] op_sel_hi:[1,1,0] neg_lo:[0,0,1] neg_hi:[0,0,1]
	v_pk_fma_f32 v[48:49], v[50:51], v[32:33], v[48:49] op_sel:[0,0,1] op_sel_hi:[1,0,0]
	v_mov_b32_e32 v53, v49
	ds_load_2addr_b64 v[48:51], v196 offset0:42 offset1:43
	v_pk_add_f32 v[174:175], v[174:175], v[52:53] neg_lo:[0,1] neg_hi:[0,1]
	s_wait_dscnt 0x0
	v_pk_mul_f32 v[52:53], v[48:49], v[42:43] op_sel:[0,1]
	s_delay_alu instid0(VALU_DEP_1) | instskip(SKIP_1) | instid1(VALU_DEP_1)
	v_pk_fma_f32 v[66:67], v[48:49], v[32:33], v[52:53] op_sel:[0,0,1] op_sel_hi:[1,1,0] neg_lo:[0,0,1] neg_hi:[0,0,1]
	v_pk_fma_f32 v[48:49], v[48:49], v[32:33], v[52:53] op_sel:[0,0,1] op_sel_hi:[1,0,0]
	v_mov_b32_e32 v67, v49
	v_pk_mul_f32 v[48:49], v[50:51], v[42:43] op_sel:[0,1]
	s_delay_alu instid0(VALU_DEP_2) | instskip(NEXT) | instid1(VALU_DEP_2)
	v_pk_add_f32 v[176:177], v[176:177], v[66:67] neg_lo:[0,1] neg_hi:[0,1]
	v_pk_fma_f32 v[52:53], v[50:51], v[32:33], v[48:49] op_sel:[0,0,1] op_sel_hi:[1,1,0] neg_lo:[0,0,1] neg_hi:[0,0,1]
	v_pk_fma_f32 v[48:49], v[50:51], v[32:33], v[48:49] op_sel:[0,0,1] op_sel_hi:[1,0,0]
	s_delay_alu instid0(VALU_DEP_1) | instskip(SKIP_4) | instid1(VALU_DEP_1)
	v_mov_b32_e32 v53, v49
	ds_load_2addr_b64 v[48:51], v196 offset0:44 offset1:45
	v_pk_add_f32 v[172:173], v[172:173], v[52:53] neg_lo:[0,1] neg_hi:[0,1]
	s_wait_dscnt 0x0
	v_pk_mul_f32 v[52:53], v[48:49], v[42:43] op_sel:[0,1]
	v_pk_fma_f32 v[66:67], v[48:49], v[32:33], v[52:53] op_sel:[0,0,1] op_sel_hi:[1,1,0] neg_lo:[0,0,1] neg_hi:[0,0,1]
	v_pk_fma_f32 v[48:49], v[48:49], v[32:33], v[52:53] op_sel:[0,0,1] op_sel_hi:[1,0,0]
	v_dual_mul_f32 v52, v51, v43 :: v_dual_mov_b32 v48, v51
	s_delay_alu instid0(VALU_DEP_2) | instskip(NEXT) | instid1(VALU_DEP_2)
	v_dual_mov_b32 v67, v49 :: v_dual_mov_b32 v49, v50
	v_pk_fma_f32 v[52:53], v[50:51], v[94:95], v[52:53] op_sel_hi:[1,1,0] neg_lo:[0,0,1] neg_hi:[0,0,1]
	v_mul_f32_e32 v50, v51, v32
	s_delay_alu instid0(VALU_DEP_3) | instskip(NEXT) | instid1(VALU_DEP_2)
	v_pk_add_f32 v[194:195], v[194:195], v[66:67] neg_lo:[0,1] neg_hi:[0,1]
	v_pk_fma_f32 v[48:49], v[48:49], v[94:95], v[50:51] op_sel_hi:[1,1,0]
	s_delay_alu instid0(VALU_DEP_1) | instskip(SKIP_4) | instid1(VALU_DEP_1)
	v_mov_b32_e32 v53, v49
	ds_load_2addr_b64 v[48:51], v196 offset0:46 offset1:47
	v_pk_add_f32 v[190:191], v[190:191], v[52:53] neg_lo:[0,1] neg_hi:[0,1]
	s_wait_dscnt 0x0
	v_pk_mul_f32 v[52:53], v[48:49], v[42:43] op_sel:[0,1]
	v_pk_fma_f32 v[66:67], v[48:49], v[32:33], v[52:53] op_sel:[0,0,1] op_sel_hi:[1,1,0] neg_lo:[0,0,1] neg_hi:[0,0,1]
	v_pk_fma_f32 v[48:49], v[48:49], v[32:33], v[52:53] op_sel:[0,0,1] op_sel_hi:[1,0,0]
	s_delay_alu instid0(VALU_DEP_1) | instskip(SKIP_1) | instid1(VALU_DEP_1)
	v_mov_b32_e32 v67, v49
	v_pk_mul_f32 v[48:49], v[50:51], v[42:43] op_sel:[0,1]
	v_pk_fma_f32 v[52:53], v[50:51], v[32:33], v[48:49] op_sel:[0,0,1] op_sel_hi:[1,1,0] neg_lo:[0,0,1] neg_hi:[0,0,1]
	v_pk_fma_f32 v[48:49], v[50:51], v[32:33], v[48:49] op_sel:[0,0,1] op_sel_hi:[1,0,0]
	s_delay_alu instid0(VALU_DEP_1)
	v_mov_b32_e32 v53, v49
	ds_load_2addr_b64 v[48:51], v196 offset0:48 offset1:49
	v_pk_add_f32 v[192:193], v[192:193], v[66:67] neg_lo:[0,1] neg_hi:[0,1]
	v_pk_add_f32 v[188:189], v[188:189], v[52:53] neg_lo:[0,1] neg_hi:[0,1]
	s_wait_dscnt 0x0
	v_pk_mul_f32 v[52:53], v[48:49], v[42:43] op_sel:[0,1]
	s_delay_alu instid0(VALU_DEP_1) | instskip(SKIP_1) | instid1(VALU_DEP_1)
	v_pk_fma_f32 v[66:67], v[48:49], v[32:33], v[52:53] op_sel:[0,0,1] op_sel_hi:[1,1,0] neg_lo:[0,0,1] neg_hi:[0,0,1]
	v_pk_fma_f32 v[48:49], v[48:49], v[32:33], v[52:53] op_sel:[0,0,1] op_sel_hi:[1,0,0]
	v_mov_b32_e32 v67, v49
	v_pk_mul_f32 v[48:49], v[50:51], v[42:43] op_sel:[0,1]
	s_delay_alu instid0(VALU_DEP_1) | instskip(SKIP_1) | instid1(VALU_DEP_1)
	v_pk_fma_f32 v[52:53], v[50:51], v[32:33], v[48:49] op_sel:[0,0,1] op_sel_hi:[1,1,0] neg_lo:[0,0,1] neg_hi:[0,0,1]
	v_pk_fma_f32 v[48:49], v[50:51], v[32:33], v[48:49] op_sel:[0,0,1] op_sel_hi:[1,0,0]
	v_mov_b32_e32 v53, v49
	ds_load_2addr_b64 v[48:51], v196 offset0:50 offset1:51
	v_pk_add_f32 v[212:213], v[212:213], v[66:67] neg_lo:[0,1] neg_hi:[0,1]
	v_pk_add_f32 v[208:209], v[208:209], v[52:53] neg_lo:[0,1] neg_hi:[0,1]
	s_wait_dscnt 0x0
	v_dual_mul_f32 v52, v49, v43 :: v_dual_mul_f32 v66, v49, v32
	s_delay_alu instid0(VALU_DEP_1) | instskip(NEXT) | instid1(VALU_DEP_2)
	v_pk_fma_f32 v[52:53], v[48:49], v[94:95], v[52:53] op_sel_hi:[1,1,0] neg_lo:[0,0,1] neg_hi:[0,0,1]
	v_pk_fma_f32 v[48:49], v[48:49], v[94:95], v[66:67] op_sel:[1,0,0] op_sel_hi:[0,1,0]
	s_delay_alu instid0(VALU_DEP_1) | instskip(SKIP_1) | instid1(VALU_DEP_2)
	v_mov_b32_e32 v53, v49
	v_pk_mul_f32 v[48:49], v[50:51], v[42:43] op_sel:[0,1]
	v_pk_add_f32 v[210:211], v[210:211], v[52:53] neg_lo:[0,1] neg_hi:[0,1]
	s_delay_alu instid0(VALU_DEP_2) | instskip(SKIP_1) | instid1(VALU_DEP_1)
	v_pk_fma_f32 v[52:53], v[50:51], v[32:33], v[48:49] op_sel:[0,0,1] op_sel_hi:[1,1,0] neg_lo:[0,0,1] neg_hi:[0,0,1]
	v_pk_fma_f32 v[48:49], v[50:51], v[32:33], v[48:49] op_sel:[0,0,1] op_sel_hi:[1,0,0]
	v_mov_b32_e32 v53, v49
	ds_load_2addr_b64 v[48:51], v196 offset0:52 offset1:53
	v_pk_add_f32 v[206:207], v[206:207], v[52:53] neg_lo:[0,1] neg_hi:[0,1]
	s_wait_dscnt 0x0
	v_pk_mul_f32 v[52:53], v[48:49], v[42:43] op_sel:[0,1]
	s_delay_alu instid0(VALU_DEP_1) | instskip(SKIP_1) | instid1(VALU_DEP_1)
	v_pk_fma_f32 v[66:67], v[48:49], v[32:33], v[52:53] op_sel:[0,0,1] op_sel_hi:[1,1,0] neg_lo:[0,0,1] neg_hi:[0,0,1]
	v_pk_fma_f32 v[48:49], v[48:49], v[32:33], v[52:53] op_sel:[0,0,1] op_sel_hi:[1,0,0]
	v_mov_b32_e32 v67, v49
	v_pk_mul_f32 v[48:49], v[50:51], v[42:43] op_sel:[0,1]
	s_delay_alu instid0(VALU_DEP_2) | instskip(NEXT) | instid1(VALU_DEP_2)
	v_pk_add_f32 v[228:229], v[228:229], v[66:67] neg_lo:[0,1] neg_hi:[0,1]
	v_pk_fma_f32 v[52:53], v[50:51], v[32:33], v[48:49] op_sel:[0,0,1] op_sel_hi:[1,1,0] neg_lo:[0,0,1] neg_hi:[0,0,1]
	v_pk_fma_f32 v[48:49], v[50:51], v[32:33], v[48:49] op_sel:[0,0,1] op_sel_hi:[1,0,0]
	s_delay_alu instid0(VALU_DEP_1) | instskip(SKIP_4) | instid1(VALU_DEP_1)
	v_mov_b32_e32 v53, v49
	ds_load_2addr_b64 v[48:51], v196 offset0:54 offset1:55
	v_pk_add_f32 v[224:225], v[224:225], v[52:53] neg_lo:[0,1] neg_hi:[0,1]
	s_wait_dscnt 0x0
	v_pk_mul_f32 v[52:53], v[48:49], v[42:43] op_sel:[0,1]
	v_pk_fma_f32 v[66:67], v[48:49], v[32:33], v[52:53] op_sel:[0,0,1] op_sel_hi:[1,1,0] neg_lo:[0,0,1] neg_hi:[0,0,1]
	v_pk_fma_f32 v[48:49], v[48:49], v[32:33], v[52:53] op_sel:[0,0,1] op_sel_hi:[1,0,0]
	v_dual_mul_f32 v52, v51, v43 :: v_dual_mov_b32 v48, v51
	s_delay_alu instid0(VALU_DEP_2) | instskip(NEXT) | instid1(VALU_DEP_2)
	v_dual_mov_b32 v67, v49 :: v_dual_mov_b32 v49, v50
	v_pk_fma_f32 v[52:53], v[50:51], v[94:95], v[52:53] op_sel_hi:[1,1,0] neg_lo:[0,0,1] neg_hi:[0,0,1]
	v_mul_f32_e32 v50, v51, v32
	s_delay_alu instid0(VALU_DEP_3) | instskip(NEXT) | instid1(VALU_DEP_2)
	v_pk_add_f32 v[226:227], v[226:227], v[66:67] neg_lo:[0,1] neg_hi:[0,1]
	v_pk_fma_f32 v[48:49], v[48:49], v[94:95], v[50:51] op_sel_hi:[1,1,0]
	s_delay_alu instid0(VALU_DEP_1)
	v_mov_b32_e32 v53, v49
	ds_load_2addr_b64 v[48:51], v196 offset0:56 offset1:57
	v_pk_add_f32 v[222:223], v[222:223], v[52:53] neg_lo:[0,1] neg_hi:[0,1]
	s_wait_dscnt 0x0
	v_pk_mul_f32 v[52:53], v[48:49], v[42:43] op_sel:[0,1]
	v_mul_f32_e32 v42, v51, v43
	s_delay_alu instid0(VALU_DEP_2) | instskip(SKIP_2) | instid1(VALU_DEP_4)
	v_pk_fma_f32 v[66:67], v[48:49], v[32:33], v[52:53] op_sel:[0,0,1] op_sel_hi:[1,1,0] neg_lo:[0,0,1] neg_hi:[0,0,1]
	v_pk_fma_f32 v[48:49], v[48:49], v[32:33], v[52:53] op_sel:[0,0,1] op_sel_hi:[1,0,0]
	v_dual_mov_b32 v48, v51 :: v_dual_mul_f32 v32, v51, v32
	v_pk_fma_f32 v[42:43], v[50:51], v[94:95], v[42:43] op_sel_hi:[1,1,0] neg_lo:[0,0,1] neg_hi:[0,0,1]
	s_delay_alu instid0(VALU_DEP_3) | instskip(NEXT) | instid1(VALU_DEP_1)
	v_dual_mov_b32 v67, v49 :: v_dual_mov_b32 v49, v50
	v_pk_add_f32 v[230:231], v[230:231], v[66:67] neg_lo:[0,1] neg_hi:[0,1]
	s_delay_alu instid0(VALU_DEP_2) | instskip(NEXT) | instid1(VALU_DEP_1)
	v_pk_fma_f32 v[32:33], v[48:49], v[94:95], v[32:33] op_sel_hi:[1,1,0]
	v_mov_b32_e32 v43, v33
	s_delay_alu instid0(VALU_DEP_1)
	v_pk_add_f32 v[232:233], v[232:233], v[42:43] neg_lo:[0,1] neg_hi:[0,1]
.LBB115_199:
	s_or_b32 exec_lo, exec_lo, s1
	s_delay_alu instid0(SALU_CYCLE_1)
	s_mov_b32 s2, exec_lo
	s_wait_dscnt 0x0
	s_barrier_signal -1
	s_barrier_wait -1
	v_cmpx_eq_u32_e32 22, v186
	s_cbranch_execz .LBB115_206
; %bb.200:
	ds_store_b64 v187, v[96:97]
	ds_store_2addr_b64 v196, v[92:93], v[114:115] offset0:23 offset1:24
	ds_store_2addr_b64 v196, v[110:111], v[112:113] offset0:25 offset1:26
	;; [unrolled: 1-line block ×17, first 2 shown]
	ds_store_b64 v196, v[232:233] offset:456
	ds_load_b64 v[32:33], v187
	s_wait_dscnt 0x0
	v_cmp_neq_f32_e32 vcc_lo, 0, v32
	v_cmp_neq_f32_e64 s1, 0, v33
	s_or_b32 s1, vcc_lo, s1
	s_delay_alu instid0(SALU_CYCLE_1)
	s_and_b32 exec_lo, exec_lo, s1
	s_cbranch_execz .LBB115_206
; %bb.201:
	v_cmp_ngt_f32_e64 s1, |v32|, |v33|
                                        ; implicit-def: $vgpr42_vgpr43
	s_and_saveexec_b32 s4, s1
	s_delay_alu instid0(SALU_CYCLE_1)
	s_xor_b32 s1, exec_lo, s4
	s_cbranch_execz .LBB115_203
; %bb.202:
	v_div_scale_f32 v42, null, v33, v33, v32
	v_div_scale_f32 v49, vcc_lo, v32, v33, v32
	s_delay_alu instid0(VALU_DEP_2) | instskip(SKIP_1) | instid1(TRANS32_DEP_1)
	v_rcp_f32_e32 v43, v42
	v_nop
	v_fma_f32 v48, -v42, v43, 1.0
	s_delay_alu instid0(VALU_DEP_1) | instskip(NEXT) | instid1(VALU_DEP_1)
	v_fmac_f32_e32 v43, v48, v43
	v_mul_f32_e32 v48, v49, v43
	s_delay_alu instid0(VALU_DEP_1) | instskip(NEXT) | instid1(VALU_DEP_1)
	v_fma_f32 v50, -v42, v48, v49
	v_fmac_f32_e32 v48, v50, v43
	s_delay_alu instid0(VALU_DEP_1) | instskip(NEXT) | instid1(VALU_DEP_1)
	v_fma_f32 v42, -v42, v48, v49
	v_div_fmas_f32 v42, v42, v43, v48
	s_delay_alu instid0(VALU_DEP_1) | instskip(NEXT) | instid1(VALU_DEP_1)
	v_div_fixup_f32 v42, v42, v33, v32
	v_fmac_f32_e32 v33, v32, v42
	s_delay_alu instid0(VALU_DEP_1) | instskip(SKIP_1) | instid1(VALU_DEP_2)
	v_div_scale_f32 v32, null, v33, v33, 1.0
	v_div_scale_f32 v49, vcc_lo, 1.0, v33, 1.0
	v_rcp_f32_e32 v43, v32
	v_nop
	s_delay_alu instid0(TRANS32_DEP_1) | instskip(NEXT) | instid1(VALU_DEP_1)
	v_fma_f32 v48, -v32, v43, 1.0
	v_fmac_f32_e32 v43, v48, v43
	s_delay_alu instid0(VALU_DEP_1) | instskip(NEXT) | instid1(VALU_DEP_1)
	v_mul_f32_e32 v48, v49, v43
	v_fma_f32 v50, -v32, v48, v49
	s_delay_alu instid0(VALU_DEP_1) | instskip(NEXT) | instid1(VALU_DEP_1)
	v_fmac_f32_e32 v48, v50, v43
	v_fma_f32 v32, -v32, v48, v49
	s_delay_alu instid0(VALU_DEP_1) | instskip(NEXT) | instid1(VALU_DEP_1)
	v_div_fmas_f32 v32, v32, v43, v48
	v_div_fixup_f32 v32, v32, v33, 1.0
	s_delay_alu instid0(VALU_DEP_1)
	v_mul_f32_e32 v42, v42, v32
	v_xor_b32_e32 v43, 0x80000000, v32
                                        ; implicit-def: $vgpr32_vgpr33
.LBB115_203:
	s_and_not1_saveexec_b32 s1, s1
	s_cbranch_execz .LBB115_205
; %bb.204:
	v_div_scale_f32 v42, null, v32, v32, v33
	v_div_scale_f32 v49, vcc_lo, v33, v32, v33
	s_delay_alu instid0(VALU_DEP_2) | instskip(SKIP_1) | instid1(TRANS32_DEP_1)
	v_rcp_f32_e32 v43, v42
	v_nop
	v_fma_f32 v48, -v42, v43, 1.0
	s_delay_alu instid0(VALU_DEP_1) | instskip(NEXT) | instid1(VALU_DEP_1)
	v_fmac_f32_e32 v43, v48, v43
	v_mul_f32_e32 v48, v49, v43
	s_delay_alu instid0(VALU_DEP_1) | instskip(NEXT) | instid1(VALU_DEP_1)
	v_fma_f32 v50, -v42, v48, v49
	v_fmac_f32_e32 v48, v50, v43
	s_delay_alu instid0(VALU_DEP_1) | instskip(NEXT) | instid1(VALU_DEP_1)
	v_fma_f32 v42, -v42, v48, v49
	v_div_fmas_f32 v42, v42, v43, v48
	s_delay_alu instid0(VALU_DEP_1) | instskip(NEXT) | instid1(VALU_DEP_1)
	v_div_fixup_f32 v43, v42, v32, v33
	v_fmac_f32_e32 v32, v33, v43
	s_delay_alu instid0(VALU_DEP_1) | instskip(NEXT) | instid1(VALU_DEP_1)
	v_div_scale_f32 v33, null, v32, v32, 1.0
	v_rcp_f32_e32 v42, v33
	v_nop
	s_delay_alu instid0(TRANS32_DEP_1) | instskip(NEXT) | instid1(VALU_DEP_1)
	v_fma_f32 v48, -v33, v42, 1.0
	v_fmac_f32_e32 v42, v48, v42
	v_div_scale_f32 v48, vcc_lo, 1.0, v32, 1.0
	s_delay_alu instid0(VALU_DEP_1) | instskip(NEXT) | instid1(VALU_DEP_1)
	v_mul_f32_e32 v49, v48, v42
	v_fma_f32 v50, -v33, v49, v48
	s_delay_alu instid0(VALU_DEP_1) | instskip(NEXT) | instid1(VALU_DEP_1)
	v_fmac_f32_e32 v49, v50, v42
	v_fma_f32 v33, -v33, v49, v48
	s_delay_alu instid0(VALU_DEP_1) | instskip(NEXT) | instid1(VALU_DEP_1)
	v_div_fmas_f32 v33, v33, v42, v49
	v_div_fixup_f32 v42, v33, v32, 1.0
	s_delay_alu instid0(VALU_DEP_1)
	v_mul_f32_e64 v43, v43, -v42
.LBB115_205:
	s_or_b32 exec_lo, exec_lo, s1
	ds_store_b64 v187, v[42:43]
.LBB115_206:
	s_or_b32 exec_lo, exec_lo, s2
	s_wait_dscnt 0x0
	s_barrier_signal -1
	s_barrier_wait -1
	ds_load_b64 v[32:33], v187
	s_mov_b32 s1, exec_lo
	v_cmpx_lt_u32_e32 22, v186
	s_cbranch_execz .LBB115_208
; %bb.207:
	ds_load_2addr_b64 v[50:53], v196 offset0:23 offset1:24
	s_wait_dscnt 0x1
	v_pk_mul_f32 v[48:49], v[32:33], v[96:97] op_sel:[1,1] op_sel_hi:[0,1]
	s_delay_alu instid0(VALU_DEP_1) | instskip(SKIP_1) | instid1(VALU_DEP_1)
	v_pk_fma_f32 v[42:43], v[32:33], v[96:97], v[48:49] op_sel_hi:[1,0,1] neg_lo:[0,0,1] neg_hi:[0,0,1]
	v_pk_fma_f32 v[48:49], v[32:33], v[96:97], v[48:49] op_sel_hi:[1,0,1]
	v_dual_mov_b32 v96, v42 :: v_dual_mov_b32 v97, v49
	s_wait_dscnt 0x0
	s_delay_alu instid0(VALU_DEP_2) | instskip(NEXT) | instid1(VALU_DEP_1)
	v_pk_mul_f32 v[66:67], v[50:51], v[48:49] op_sel:[0,1]
	v_pk_fma_f32 v[68:69], v[50:51], v[42:43], v[66:67] op_sel:[0,0,1] op_sel_hi:[1,1,0] neg_lo:[0,0,1] neg_hi:[0,0,1]
	v_pk_fma_f32 v[50:51], v[50:51], v[42:43], v[66:67] op_sel:[0,0,1] op_sel_hi:[1,0,0]
	s_delay_alu instid0(VALU_DEP_1) | instskip(SKIP_1) | instid1(VALU_DEP_1)
	v_mov_b32_e32 v69, v51
	v_pk_mul_f32 v[50:51], v[52:53], v[48:49] op_sel:[0,1]
	v_pk_fma_f32 v[66:67], v[52:53], v[42:43], v[50:51] op_sel:[0,0,1] op_sel_hi:[1,1,0] neg_lo:[0,0,1] neg_hi:[0,0,1]
	v_pk_fma_f32 v[50:51], v[52:53], v[42:43], v[50:51] op_sel:[0,0,1] op_sel_hi:[1,0,0]
	s_delay_alu instid0(VALU_DEP_1)
	v_mov_b32_e32 v67, v51
	ds_load_2addr_b64 v[50:53], v196 offset0:25 offset1:26
	v_pk_add_f32 v[92:93], v[92:93], v[68:69] neg_lo:[0,1] neg_hi:[0,1]
	v_pk_add_f32 v[114:115], v[114:115], v[66:67] neg_lo:[0,1] neg_hi:[0,1]
	s_wait_dscnt 0x0
	v_pk_mul_f32 v[66:67], v[50:51], v[48:49] op_sel:[0,1]
	s_delay_alu instid0(VALU_DEP_1) | instskip(SKIP_2) | instid1(VALU_DEP_2)
	v_pk_fma_f32 v[68:69], v[50:51], v[42:43], v[66:67] op_sel:[0,0,1] op_sel_hi:[1,1,0] neg_lo:[0,0,1] neg_hi:[0,0,1]
	v_pk_fma_f32 v[50:51], v[50:51], v[42:43], v[66:67] op_sel:[0,0,1] op_sel_hi:[1,0,0]
	v_dual_mul_f32 v66, v53, v49 :: v_dual_mov_b32 v50, v53
	v_dual_mov_b32 v69, v51 :: v_dual_mov_b32 v51, v52
	s_delay_alu instid0(VALU_DEP_2) | instskip(SKIP_1) | instid1(VALU_DEP_3)
	v_pk_fma_f32 v[66:67], v[52:53], v[96:97], v[66:67] op_sel_hi:[1,1,0] neg_lo:[0,0,1] neg_hi:[0,0,1]
	v_mul_f32_e32 v52, v53, v42
	v_pk_add_f32 v[110:111], v[110:111], v[68:69] neg_lo:[0,1] neg_hi:[0,1]
	s_delay_alu instid0(VALU_DEP_2) | instskip(NEXT) | instid1(VALU_DEP_1)
	v_pk_fma_f32 v[50:51], v[50:51], v[96:97], v[52:53] op_sel_hi:[1,1,0]
	v_mov_b32_e32 v67, v51
	ds_load_2addr_b64 v[50:53], v196 offset0:27 offset1:28
	v_pk_add_f32 v[112:113], v[112:113], v[66:67] neg_lo:[0,1] neg_hi:[0,1]
	s_wait_dscnt 0x0
	v_pk_mul_f32 v[66:67], v[50:51], v[48:49] op_sel:[0,1]
	s_delay_alu instid0(VALU_DEP_1) | instskip(SKIP_1) | instid1(VALU_DEP_1)
	v_pk_fma_f32 v[68:69], v[50:51], v[42:43], v[66:67] op_sel:[0,0,1] op_sel_hi:[1,1,0] neg_lo:[0,0,1] neg_hi:[0,0,1]
	v_pk_fma_f32 v[50:51], v[50:51], v[42:43], v[66:67] op_sel:[0,0,1] op_sel_hi:[1,0,0]
	v_mov_b32_e32 v69, v51
	v_pk_mul_f32 v[50:51], v[52:53], v[48:49] op_sel:[0,1]
	s_delay_alu instid0(VALU_DEP_1) | instskip(SKIP_1) | instid1(VALU_DEP_1)
	v_pk_fma_f32 v[66:67], v[52:53], v[42:43], v[50:51] op_sel:[0,0,1] op_sel_hi:[1,1,0] neg_lo:[0,0,1] neg_hi:[0,0,1]
	v_pk_fma_f32 v[50:51], v[52:53], v[42:43], v[50:51] op_sel:[0,0,1] op_sel_hi:[1,0,0]
	v_mov_b32_e32 v67, v51
	ds_load_2addr_b64 v[50:53], v196 offset0:29 offset1:30
	v_pk_add_f32 v[108:109], v[108:109], v[68:69] neg_lo:[0,1] neg_hi:[0,1]
	v_pk_add_f32 v[130:131], v[130:131], v[66:67] neg_lo:[0,1] neg_hi:[0,1]
	s_wait_dscnt 0x0
	v_pk_mul_f32 v[66:67], v[50:51], v[48:49] op_sel:[0,1]
	s_delay_alu instid0(VALU_DEP_1) | instskip(SKIP_1) | instid1(VALU_DEP_1)
	v_pk_fma_f32 v[68:69], v[50:51], v[42:43], v[66:67] op_sel:[0,0,1] op_sel_hi:[1,1,0] neg_lo:[0,0,1] neg_hi:[0,0,1]
	v_pk_fma_f32 v[50:51], v[50:51], v[42:43], v[66:67] op_sel:[0,0,1] op_sel_hi:[1,0,0]
	v_mov_b32_e32 v69, v51
	v_pk_mul_f32 v[50:51], v[52:53], v[48:49] op_sel:[0,1]
	s_delay_alu instid0(VALU_DEP_1) | instskip(SKIP_1) | instid1(VALU_DEP_1)
	v_pk_fma_f32 v[66:67], v[52:53], v[42:43], v[50:51] op_sel:[0,0,1] op_sel_hi:[1,1,0] neg_lo:[0,0,1] neg_hi:[0,0,1]
	v_pk_fma_f32 v[50:51], v[52:53], v[42:43], v[50:51] op_sel:[0,0,1] op_sel_hi:[1,0,0]
	v_mov_b32_e32 v67, v51
	ds_load_2addr_b64 v[50:53], v196 offset0:31 offset1:32
	v_pk_add_f32 v[126:127], v[126:127], v[68:69] neg_lo:[0,1] neg_hi:[0,1]
	v_pk_add_f32 v[128:129], v[128:129], v[66:67] neg_lo:[0,1] neg_hi:[0,1]
	s_wait_dscnt 0x0
	v_dual_mul_f32 v66, v51, v49 :: v_dual_mul_f32 v68, v51, v42
	s_delay_alu instid0(VALU_DEP_1) | instskip(NEXT) | instid1(VALU_DEP_2)
	v_pk_fma_f32 v[66:67], v[50:51], v[96:97], v[66:67] op_sel_hi:[1,1,0] neg_lo:[0,0,1] neg_hi:[0,0,1]
	v_pk_fma_f32 v[50:51], v[50:51], v[96:97], v[68:69] op_sel:[1,0,0] op_sel_hi:[0,1,0]
	s_delay_alu instid0(VALU_DEP_1) | instskip(SKIP_1) | instid1(VALU_DEP_2)
	v_mov_b32_e32 v67, v51
	v_pk_mul_f32 v[50:51], v[52:53], v[48:49] op_sel:[0,1]
	v_pk_add_f32 v[124:125], v[124:125], v[66:67] neg_lo:[0,1] neg_hi:[0,1]
	s_delay_alu instid0(VALU_DEP_2) | instskip(SKIP_1) | instid1(VALU_DEP_1)
	v_pk_fma_f32 v[66:67], v[52:53], v[42:43], v[50:51] op_sel:[0,0,1] op_sel_hi:[1,1,0] neg_lo:[0,0,1] neg_hi:[0,0,1]
	v_pk_fma_f32 v[50:51], v[52:53], v[42:43], v[50:51] op_sel:[0,0,1] op_sel_hi:[1,0,0]
	v_mov_b32_e32 v67, v51
	ds_load_2addr_b64 v[50:53], v196 offset0:33 offset1:34
	v_pk_add_f32 v[146:147], v[146:147], v[66:67] neg_lo:[0,1] neg_hi:[0,1]
	s_wait_dscnt 0x0
	v_pk_mul_f32 v[66:67], v[50:51], v[48:49] op_sel:[0,1]
	s_delay_alu instid0(VALU_DEP_1) | instskip(SKIP_1) | instid1(VALU_DEP_1)
	v_pk_fma_f32 v[68:69], v[50:51], v[42:43], v[66:67] op_sel:[0,0,1] op_sel_hi:[1,1,0] neg_lo:[0,0,1] neg_hi:[0,0,1]
	v_pk_fma_f32 v[50:51], v[50:51], v[42:43], v[66:67] op_sel:[0,0,1] op_sel_hi:[1,0,0]
	v_mov_b32_e32 v69, v51
	v_pk_mul_f32 v[50:51], v[52:53], v[48:49] op_sel:[0,1]
	s_delay_alu instid0(VALU_DEP_2) | instskip(NEXT) | instid1(VALU_DEP_2)
	v_pk_add_f32 v[142:143], v[142:143], v[68:69] neg_lo:[0,1] neg_hi:[0,1]
	v_pk_fma_f32 v[66:67], v[52:53], v[42:43], v[50:51] op_sel:[0,0,1] op_sel_hi:[1,1,0] neg_lo:[0,0,1] neg_hi:[0,0,1]
	v_pk_fma_f32 v[50:51], v[52:53], v[42:43], v[50:51] op_sel:[0,0,1] op_sel_hi:[1,0,0]
	s_delay_alu instid0(VALU_DEP_1) | instskip(SKIP_4) | instid1(VALU_DEP_1)
	v_mov_b32_e32 v67, v51
	ds_load_2addr_b64 v[50:53], v196 offset0:35 offset1:36
	v_pk_add_f32 v[144:145], v[144:145], v[66:67] neg_lo:[0,1] neg_hi:[0,1]
	s_wait_dscnt 0x0
	v_pk_mul_f32 v[66:67], v[50:51], v[48:49] op_sel:[0,1]
	v_pk_fma_f32 v[68:69], v[50:51], v[42:43], v[66:67] op_sel:[0,0,1] op_sel_hi:[1,1,0] neg_lo:[0,0,1] neg_hi:[0,0,1]
	v_pk_fma_f32 v[50:51], v[50:51], v[42:43], v[66:67] op_sel:[0,0,1] op_sel_hi:[1,0,0]
	v_dual_mul_f32 v66, v53, v49 :: v_dual_mov_b32 v50, v53
	s_delay_alu instid0(VALU_DEP_2) | instskip(NEXT) | instid1(VALU_DEP_2)
	v_dual_mov_b32 v69, v51 :: v_dual_mov_b32 v51, v52
	v_pk_fma_f32 v[66:67], v[52:53], v[96:97], v[66:67] op_sel_hi:[1,1,0] neg_lo:[0,0,1] neg_hi:[0,0,1]
	v_mul_f32_e32 v52, v53, v42
	s_delay_alu instid0(VALU_DEP_3) | instskip(NEXT) | instid1(VALU_DEP_2)
	v_pk_add_f32 v[140:141], v[140:141], v[68:69] neg_lo:[0,1] neg_hi:[0,1]
	v_pk_fma_f32 v[50:51], v[50:51], v[96:97], v[52:53] op_sel_hi:[1,1,0]
	s_delay_alu instid0(VALU_DEP_1) | instskip(SKIP_4) | instid1(VALU_DEP_1)
	v_mov_b32_e32 v67, v51
	ds_load_2addr_b64 v[50:53], v196 offset0:37 offset1:38
	v_pk_add_f32 v[162:163], v[162:163], v[66:67] neg_lo:[0,1] neg_hi:[0,1]
	s_wait_dscnt 0x0
	v_pk_mul_f32 v[66:67], v[50:51], v[48:49] op_sel:[0,1]
	v_pk_fma_f32 v[68:69], v[50:51], v[42:43], v[66:67] op_sel:[0,0,1] op_sel_hi:[1,1,0] neg_lo:[0,0,1] neg_hi:[0,0,1]
	v_pk_fma_f32 v[50:51], v[50:51], v[42:43], v[66:67] op_sel:[0,0,1] op_sel_hi:[1,0,0]
	s_delay_alu instid0(VALU_DEP_1) | instskip(SKIP_1) | instid1(VALU_DEP_1)
	v_mov_b32_e32 v69, v51
	v_pk_mul_f32 v[50:51], v[52:53], v[48:49] op_sel:[0,1]
	v_pk_fma_f32 v[66:67], v[52:53], v[42:43], v[50:51] op_sel:[0,0,1] op_sel_hi:[1,1,0] neg_lo:[0,0,1] neg_hi:[0,0,1]
	v_pk_fma_f32 v[50:51], v[52:53], v[42:43], v[50:51] op_sel:[0,0,1] op_sel_hi:[1,0,0]
	s_delay_alu instid0(VALU_DEP_1)
	v_mov_b32_e32 v67, v51
	ds_load_2addr_b64 v[50:53], v196 offset0:39 offset1:40
	v_pk_add_f32 v[158:159], v[158:159], v[68:69] neg_lo:[0,1] neg_hi:[0,1]
	v_pk_add_f32 v[160:161], v[160:161], v[66:67] neg_lo:[0,1] neg_hi:[0,1]
	s_wait_dscnt 0x0
	v_pk_mul_f32 v[66:67], v[50:51], v[48:49] op_sel:[0,1]
	s_delay_alu instid0(VALU_DEP_1) | instskip(SKIP_1) | instid1(VALU_DEP_1)
	v_pk_fma_f32 v[68:69], v[50:51], v[42:43], v[66:67] op_sel:[0,0,1] op_sel_hi:[1,1,0] neg_lo:[0,0,1] neg_hi:[0,0,1]
	v_pk_fma_f32 v[50:51], v[50:51], v[42:43], v[66:67] op_sel:[0,0,1] op_sel_hi:[1,0,0]
	v_mov_b32_e32 v69, v51
	v_pk_mul_f32 v[50:51], v[52:53], v[48:49] op_sel:[0,1]
	s_delay_alu instid0(VALU_DEP_1) | instskip(SKIP_1) | instid1(VALU_DEP_1)
	v_pk_fma_f32 v[66:67], v[52:53], v[42:43], v[50:51] op_sel:[0,0,1] op_sel_hi:[1,1,0] neg_lo:[0,0,1] neg_hi:[0,0,1]
	v_pk_fma_f32 v[50:51], v[52:53], v[42:43], v[50:51] op_sel:[0,0,1] op_sel_hi:[1,0,0]
	v_mov_b32_e32 v67, v51
	ds_load_2addr_b64 v[50:53], v196 offset0:41 offset1:42
	v_pk_add_f32 v[156:157], v[156:157], v[68:69] neg_lo:[0,1] neg_hi:[0,1]
	v_pk_add_f32 v[178:179], v[178:179], v[66:67] neg_lo:[0,1] neg_hi:[0,1]
	s_wait_dscnt 0x0
	v_dual_mul_f32 v66, v51, v49 :: v_dual_mul_f32 v68, v51, v42
	s_delay_alu instid0(VALU_DEP_1) | instskip(NEXT) | instid1(VALU_DEP_2)
	v_pk_fma_f32 v[66:67], v[50:51], v[96:97], v[66:67] op_sel_hi:[1,1,0] neg_lo:[0,0,1] neg_hi:[0,0,1]
	v_pk_fma_f32 v[50:51], v[50:51], v[96:97], v[68:69] op_sel:[1,0,0] op_sel_hi:[0,1,0]
	s_delay_alu instid0(VALU_DEP_1) | instskip(SKIP_1) | instid1(VALU_DEP_2)
	v_mov_b32_e32 v67, v51
	v_pk_mul_f32 v[50:51], v[52:53], v[48:49] op_sel:[0,1]
	v_pk_add_f32 v[174:175], v[174:175], v[66:67] neg_lo:[0,1] neg_hi:[0,1]
	s_delay_alu instid0(VALU_DEP_2) | instskip(SKIP_1) | instid1(VALU_DEP_1)
	v_pk_fma_f32 v[66:67], v[52:53], v[42:43], v[50:51] op_sel:[0,0,1] op_sel_hi:[1,1,0] neg_lo:[0,0,1] neg_hi:[0,0,1]
	v_pk_fma_f32 v[50:51], v[52:53], v[42:43], v[50:51] op_sel:[0,0,1] op_sel_hi:[1,0,0]
	v_mov_b32_e32 v67, v51
	ds_load_2addr_b64 v[50:53], v196 offset0:43 offset1:44
	v_pk_add_f32 v[176:177], v[176:177], v[66:67] neg_lo:[0,1] neg_hi:[0,1]
	s_wait_dscnt 0x0
	v_pk_mul_f32 v[66:67], v[50:51], v[48:49] op_sel:[0,1]
	s_delay_alu instid0(VALU_DEP_1) | instskip(SKIP_1) | instid1(VALU_DEP_1)
	v_pk_fma_f32 v[68:69], v[50:51], v[42:43], v[66:67] op_sel:[0,0,1] op_sel_hi:[1,1,0] neg_lo:[0,0,1] neg_hi:[0,0,1]
	v_pk_fma_f32 v[50:51], v[50:51], v[42:43], v[66:67] op_sel:[0,0,1] op_sel_hi:[1,0,0]
	v_mov_b32_e32 v69, v51
	v_pk_mul_f32 v[50:51], v[52:53], v[48:49] op_sel:[0,1]
	s_delay_alu instid0(VALU_DEP_2) | instskip(NEXT) | instid1(VALU_DEP_2)
	v_pk_add_f32 v[172:173], v[172:173], v[68:69] neg_lo:[0,1] neg_hi:[0,1]
	v_pk_fma_f32 v[66:67], v[52:53], v[42:43], v[50:51] op_sel:[0,0,1] op_sel_hi:[1,1,0] neg_lo:[0,0,1] neg_hi:[0,0,1]
	v_pk_fma_f32 v[50:51], v[52:53], v[42:43], v[50:51] op_sel:[0,0,1] op_sel_hi:[1,0,0]
	s_delay_alu instid0(VALU_DEP_1) | instskip(SKIP_4) | instid1(VALU_DEP_1)
	v_mov_b32_e32 v67, v51
	ds_load_2addr_b64 v[50:53], v196 offset0:45 offset1:46
	v_pk_add_f32 v[194:195], v[194:195], v[66:67] neg_lo:[0,1] neg_hi:[0,1]
	s_wait_dscnt 0x0
	v_pk_mul_f32 v[66:67], v[50:51], v[48:49] op_sel:[0,1]
	v_pk_fma_f32 v[68:69], v[50:51], v[42:43], v[66:67] op_sel:[0,0,1] op_sel_hi:[1,1,0] neg_lo:[0,0,1] neg_hi:[0,0,1]
	v_pk_fma_f32 v[50:51], v[50:51], v[42:43], v[66:67] op_sel:[0,0,1] op_sel_hi:[1,0,0]
	v_dual_mul_f32 v66, v53, v49 :: v_dual_mov_b32 v50, v53
	s_delay_alu instid0(VALU_DEP_2) | instskip(NEXT) | instid1(VALU_DEP_2)
	v_dual_mov_b32 v69, v51 :: v_dual_mov_b32 v51, v52
	v_pk_fma_f32 v[66:67], v[52:53], v[96:97], v[66:67] op_sel_hi:[1,1,0] neg_lo:[0,0,1] neg_hi:[0,0,1]
	v_mul_f32_e32 v52, v53, v42
	s_delay_alu instid0(VALU_DEP_3) | instskip(NEXT) | instid1(VALU_DEP_2)
	v_pk_add_f32 v[190:191], v[190:191], v[68:69] neg_lo:[0,1] neg_hi:[0,1]
	v_pk_fma_f32 v[50:51], v[50:51], v[96:97], v[52:53] op_sel_hi:[1,1,0]
	s_delay_alu instid0(VALU_DEP_1) | instskip(SKIP_4) | instid1(VALU_DEP_1)
	v_mov_b32_e32 v67, v51
	ds_load_2addr_b64 v[50:53], v196 offset0:47 offset1:48
	v_pk_add_f32 v[192:193], v[192:193], v[66:67] neg_lo:[0,1] neg_hi:[0,1]
	s_wait_dscnt 0x0
	v_pk_mul_f32 v[66:67], v[50:51], v[48:49] op_sel:[0,1]
	v_pk_fma_f32 v[68:69], v[50:51], v[42:43], v[66:67] op_sel:[0,0,1] op_sel_hi:[1,1,0] neg_lo:[0,0,1] neg_hi:[0,0,1]
	v_pk_fma_f32 v[50:51], v[50:51], v[42:43], v[66:67] op_sel:[0,0,1] op_sel_hi:[1,0,0]
	s_delay_alu instid0(VALU_DEP_1) | instskip(SKIP_1) | instid1(VALU_DEP_1)
	v_mov_b32_e32 v69, v51
	v_pk_mul_f32 v[50:51], v[52:53], v[48:49] op_sel:[0,1]
	v_pk_fma_f32 v[66:67], v[52:53], v[42:43], v[50:51] op_sel:[0,0,1] op_sel_hi:[1,1,0] neg_lo:[0,0,1] neg_hi:[0,0,1]
	v_pk_fma_f32 v[50:51], v[52:53], v[42:43], v[50:51] op_sel:[0,0,1] op_sel_hi:[1,0,0]
	s_delay_alu instid0(VALU_DEP_1)
	v_mov_b32_e32 v67, v51
	ds_load_2addr_b64 v[50:53], v196 offset0:49 offset1:50
	v_pk_add_f32 v[188:189], v[188:189], v[68:69] neg_lo:[0,1] neg_hi:[0,1]
	v_pk_add_f32 v[212:213], v[212:213], v[66:67] neg_lo:[0,1] neg_hi:[0,1]
	s_wait_dscnt 0x0
	v_pk_mul_f32 v[66:67], v[50:51], v[48:49] op_sel:[0,1]
	s_delay_alu instid0(VALU_DEP_1) | instskip(SKIP_1) | instid1(VALU_DEP_1)
	v_pk_fma_f32 v[68:69], v[50:51], v[42:43], v[66:67] op_sel:[0,0,1] op_sel_hi:[1,1,0] neg_lo:[0,0,1] neg_hi:[0,0,1]
	v_pk_fma_f32 v[50:51], v[50:51], v[42:43], v[66:67] op_sel:[0,0,1] op_sel_hi:[1,0,0]
	v_mov_b32_e32 v69, v51
	v_pk_mul_f32 v[50:51], v[52:53], v[48:49] op_sel:[0,1]
	s_delay_alu instid0(VALU_DEP_1) | instskip(SKIP_1) | instid1(VALU_DEP_1)
	v_pk_fma_f32 v[66:67], v[52:53], v[42:43], v[50:51] op_sel:[0,0,1] op_sel_hi:[1,1,0] neg_lo:[0,0,1] neg_hi:[0,0,1]
	v_pk_fma_f32 v[50:51], v[52:53], v[42:43], v[50:51] op_sel:[0,0,1] op_sel_hi:[1,0,0]
	v_mov_b32_e32 v67, v51
	ds_load_2addr_b64 v[50:53], v196 offset0:51 offset1:52
	v_pk_add_f32 v[208:209], v[208:209], v[68:69] neg_lo:[0,1] neg_hi:[0,1]
	v_pk_add_f32 v[210:211], v[210:211], v[66:67] neg_lo:[0,1] neg_hi:[0,1]
	s_wait_dscnt 0x0
	v_dual_mul_f32 v66, v51, v49 :: v_dual_mul_f32 v68, v51, v42
	s_delay_alu instid0(VALU_DEP_1) | instskip(NEXT) | instid1(VALU_DEP_2)
	v_pk_fma_f32 v[66:67], v[50:51], v[96:97], v[66:67] op_sel_hi:[1,1,0] neg_lo:[0,0,1] neg_hi:[0,0,1]
	v_pk_fma_f32 v[50:51], v[50:51], v[96:97], v[68:69] op_sel:[1,0,0] op_sel_hi:[0,1,0]
	s_delay_alu instid0(VALU_DEP_1) | instskip(SKIP_1) | instid1(VALU_DEP_2)
	v_mov_b32_e32 v67, v51
	v_pk_mul_f32 v[50:51], v[52:53], v[48:49] op_sel:[0,1]
	v_pk_add_f32 v[206:207], v[206:207], v[66:67] neg_lo:[0,1] neg_hi:[0,1]
	s_delay_alu instid0(VALU_DEP_2) | instskip(SKIP_1) | instid1(VALU_DEP_1)
	v_pk_fma_f32 v[66:67], v[52:53], v[42:43], v[50:51] op_sel:[0,0,1] op_sel_hi:[1,1,0] neg_lo:[0,0,1] neg_hi:[0,0,1]
	v_pk_fma_f32 v[50:51], v[52:53], v[42:43], v[50:51] op_sel:[0,0,1] op_sel_hi:[1,0,0]
	v_mov_b32_e32 v67, v51
	ds_load_2addr_b64 v[50:53], v196 offset0:53 offset1:54
	v_pk_add_f32 v[228:229], v[228:229], v[66:67] neg_lo:[0,1] neg_hi:[0,1]
	s_wait_dscnt 0x0
	v_pk_mul_f32 v[66:67], v[50:51], v[48:49] op_sel:[0,1]
	s_delay_alu instid0(VALU_DEP_1) | instskip(SKIP_1) | instid1(VALU_DEP_1)
	v_pk_fma_f32 v[68:69], v[50:51], v[42:43], v[66:67] op_sel:[0,0,1] op_sel_hi:[1,1,0] neg_lo:[0,0,1] neg_hi:[0,0,1]
	v_pk_fma_f32 v[50:51], v[50:51], v[42:43], v[66:67] op_sel:[0,0,1] op_sel_hi:[1,0,0]
	v_mov_b32_e32 v69, v51
	v_pk_mul_f32 v[50:51], v[52:53], v[48:49] op_sel:[0,1]
	s_delay_alu instid0(VALU_DEP_2) | instskip(NEXT) | instid1(VALU_DEP_2)
	v_pk_add_f32 v[224:225], v[224:225], v[68:69] neg_lo:[0,1] neg_hi:[0,1]
	v_pk_fma_f32 v[66:67], v[52:53], v[42:43], v[50:51] op_sel:[0,0,1] op_sel_hi:[1,1,0] neg_lo:[0,0,1] neg_hi:[0,0,1]
	v_pk_fma_f32 v[50:51], v[52:53], v[42:43], v[50:51] op_sel:[0,0,1] op_sel_hi:[1,0,0]
	s_delay_alu instid0(VALU_DEP_1) | instskip(SKIP_4) | instid1(VALU_DEP_1)
	v_mov_b32_e32 v67, v51
	ds_load_2addr_b64 v[50:53], v196 offset0:55 offset1:56
	v_pk_add_f32 v[226:227], v[226:227], v[66:67] neg_lo:[0,1] neg_hi:[0,1]
	s_wait_dscnt 0x0
	v_pk_mul_f32 v[66:67], v[50:51], v[48:49] op_sel:[0,1]
	v_pk_fma_f32 v[68:69], v[50:51], v[42:43], v[66:67] op_sel:[0,0,1] op_sel_hi:[1,1,0] neg_lo:[0,0,1] neg_hi:[0,0,1]
	v_pk_fma_f32 v[50:51], v[50:51], v[42:43], v[66:67] op_sel:[0,0,1] op_sel_hi:[1,0,0]
	v_dual_mul_f32 v66, v53, v49 :: v_dual_mov_b32 v50, v53
	s_delay_alu instid0(VALU_DEP_2) | instskip(NEXT) | instid1(VALU_DEP_2)
	v_dual_mov_b32 v69, v51 :: v_dual_mov_b32 v51, v52
	v_pk_fma_f32 v[66:67], v[52:53], v[96:97], v[66:67] op_sel_hi:[1,1,0] neg_lo:[0,0,1] neg_hi:[0,0,1]
	v_mul_f32_e32 v52, v53, v42
	s_delay_alu instid0(VALU_DEP_3) | instskip(NEXT) | instid1(VALU_DEP_2)
	v_pk_add_f32 v[222:223], v[222:223], v[68:69] neg_lo:[0,1] neg_hi:[0,1]
	v_pk_fma_f32 v[50:51], v[50:51], v[96:97], v[52:53] op_sel_hi:[1,1,0]
	s_delay_alu instid0(VALU_DEP_1) | instskip(SKIP_4) | instid1(VALU_DEP_1)
	v_mov_b32_e32 v67, v51
	ds_load_b64 v[50:51], v196 offset:456
	v_pk_add_f32 v[230:231], v[230:231], v[66:67] neg_lo:[0,1] neg_hi:[0,1]
	s_wait_dscnt 0x0
	v_pk_mul_f32 v[48:49], v[50:51], v[48:49] op_sel:[0,1]
	v_pk_fma_f32 v[52:53], v[50:51], v[42:43], v[48:49] op_sel:[0,0,1] op_sel_hi:[1,1,0] neg_lo:[0,0,1] neg_hi:[0,0,1]
	v_pk_fma_f32 v[42:43], v[50:51], v[42:43], v[48:49] op_sel:[0,0,1] op_sel_hi:[1,0,0]
	s_delay_alu instid0(VALU_DEP_1) | instskip(NEXT) | instid1(VALU_DEP_1)
	v_mov_b32_e32 v53, v43
	v_pk_add_f32 v[232:233], v[232:233], v[52:53] neg_lo:[0,1] neg_hi:[0,1]
.LBB115_208:
	s_or_b32 exec_lo, exec_lo, s1
	s_delay_alu instid0(SALU_CYCLE_1)
	s_mov_b32 s2, exec_lo
	s_wait_dscnt 0x0
	s_barrier_signal -1
	s_barrier_wait -1
	v_cmpx_eq_u32_e32 23, v186
	s_cbranch_execz .LBB115_215
; %bb.209:
	v_dual_mov_b32 v42, v114 :: v_dual_mov_b32 v43, v115
	v_dual_mov_b32 v48, v110 :: v_dual_mov_b32 v49, v111
	ds_store_b64 v187, v[92:93]
	ds_store_2addr_b64 v196, v[42:43], v[48:49] offset0:24 offset1:25
	v_dual_mov_b32 v42, v112 :: v_dual_mov_b32 v43, v113
	v_dual_mov_b32 v48, v108 :: v_dual_mov_b32 v49, v109
	ds_store_2addr_b64 v196, v[42:43], v[48:49] offset0:26 offset1:27
	v_dual_mov_b32 v42, v130 :: v_dual_mov_b32 v43, v131
	v_dual_mov_b32 v48, v126 :: v_dual_mov_b32 v49, v127
	;; [unrolled: 3-line block ×15, first 2 shown]
	ds_store_2addr_b64 v196, v[42:43], v[48:49] offset0:54 offset1:55
	v_dual_mov_b32 v42, v230 :: v_dual_mov_b32 v43, v231
	ds_store_2addr_b64 v196, v[42:43], v[232:233] offset0:56 offset1:57
	ds_load_b64 v[42:43], v187
	s_wait_dscnt 0x0
	v_cmp_neq_f32_e32 vcc_lo, 0, v42
	v_cmp_neq_f32_e64 s1, 0, v43
	s_or_b32 s1, vcc_lo, s1
	s_delay_alu instid0(SALU_CYCLE_1)
	s_and_b32 exec_lo, exec_lo, s1
	s_cbranch_execz .LBB115_215
; %bb.210:
	v_cmp_ngt_f32_e64 s1, |v42|, |v43|
                                        ; implicit-def: $vgpr48_vgpr49
	s_and_saveexec_b32 s4, s1
	s_delay_alu instid0(SALU_CYCLE_1)
	s_xor_b32 s1, exec_lo, s4
	s_cbranch_execz .LBB115_212
; %bb.211:
	v_div_scale_f32 v48, null, v43, v43, v42
	v_div_scale_f32 v51, vcc_lo, v42, v43, v42
	s_delay_alu instid0(VALU_DEP_2) | instskip(SKIP_1) | instid1(TRANS32_DEP_1)
	v_rcp_f32_e32 v49, v48
	v_nop
	v_fma_f32 v50, -v48, v49, 1.0
	s_delay_alu instid0(VALU_DEP_1) | instskip(NEXT) | instid1(VALU_DEP_1)
	v_fmac_f32_e32 v49, v50, v49
	v_mul_f32_e32 v50, v51, v49
	s_delay_alu instid0(VALU_DEP_1) | instskip(NEXT) | instid1(VALU_DEP_1)
	v_fma_f32 v52, -v48, v50, v51
	v_fmac_f32_e32 v50, v52, v49
	s_delay_alu instid0(VALU_DEP_1) | instskip(NEXT) | instid1(VALU_DEP_1)
	v_fma_f32 v48, -v48, v50, v51
	v_div_fmas_f32 v48, v48, v49, v50
	s_delay_alu instid0(VALU_DEP_1) | instskip(NEXT) | instid1(VALU_DEP_1)
	v_div_fixup_f32 v48, v48, v43, v42
	v_fmac_f32_e32 v43, v42, v48
	s_delay_alu instid0(VALU_DEP_1) | instskip(SKIP_1) | instid1(VALU_DEP_2)
	v_div_scale_f32 v42, null, v43, v43, 1.0
	v_div_scale_f32 v51, vcc_lo, 1.0, v43, 1.0
	v_rcp_f32_e32 v49, v42
	v_nop
	s_delay_alu instid0(TRANS32_DEP_1) | instskip(NEXT) | instid1(VALU_DEP_1)
	v_fma_f32 v50, -v42, v49, 1.0
	v_fmac_f32_e32 v49, v50, v49
	s_delay_alu instid0(VALU_DEP_1) | instskip(NEXT) | instid1(VALU_DEP_1)
	v_mul_f32_e32 v50, v51, v49
	v_fma_f32 v52, -v42, v50, v51
	s_delay_alu instid0(VALU_DEP_1) | instskip(NEXT) | instid1(VALU_DEP_1)
	v_fmac_f32_e32 v50, v52, v49
	v_fma_f32 v42, -v42, v50, v51
	s_delay_alu instid0(VALU_DEP_1) | instskip(NEXT) | instid1(VALU_DEP_1)
	v_div_fmas_f32 v42, v42, v49, v50
	v_div_fixup_f32 v42, v42, v43, 1.0
	s_delay_alu instid0(VALU_DEP_1)
	v_mul_f32_e32 v48, v48, v42
	v_xor_b32_e32 v49, 0x80000000, v42
                                        ; implicit-def: $vgpr42_vgpr43
.LBB115_212:
	s_and_not1_saveexec_b32 s1, s1
	s_cbranch_execz .LBB115_214
; %bb.213:
	v_div_scale_f32 v48, null, v42, v42, v43
	v_div_scale_f32 v51, vcc_lo, v43, v42, v43
	s_delay_alu instid0(VALU_DEP_2) | instskip(SKIP_1) | instid1(TRANS32_DEP_1)
	v_rcp_f32_e32 v49, v48
	v_nop
	v_fma_f32 v50, -v48, v49, 1.0
	s_delay_alu instid0(VALU_DEP_1) | instskip(NEXT) | instid1(VALU_DEP_1)
	v_fmac_f32_e32 v49, v50, v49
	v_mul_f32_e32 v50, v51, v49
	s_delay_alu instid0(VALU_DEP_1) | instskip(NEXT) | instid1(VALU_DEP_1)
	v_fma_f32 v52, -v48, v50, v51
	v_fmac_f32_e32 v50, v52, v49
	s_delay_alu instid0(VALU_DEP_1) | instskip(NEXT) | instid1(VALU_DEP_1)
	v_fma_f32 v48, -v48, v50, v51
	v_div_fmas_f32 v48, v48, v49, v50
	s_delay_alu instid0(VALU_DEP_1) | instskip(NEXT) | instid1(VALU_DEP_1)
	v_div_fixup_f32 v49, v48, v42, v43
	v_fmac_f32_e32 v42, v43, v49
	s_delay_alu instid0(VALU_DEP_1) | instskip(NEXT) | instid1(VALU_DEP_1)
	v_div_scale_f32 v43, null, v42, v42, 1.0
	v_rcp_f32_e32 v48, v43
	v_nop
	s_delay_alu instid0(TRANS32_DEP_1) | instskip(NEXT) | instid1(VALU_DEP_1)
	v_fma_f32 v50, -v43, v48, 1.0
	v_fmac_f32_e32 v48, v50, v48
	v_div_scale_f32 v50, vcc_lo, 1.0, v42, 1.0
	s_delay_alu instid0(VALU_DEP_1) | instskip(NEXT) | instid1(VALU_DEP_1)
	v_mul_f32_e32 v51, v50, v48
	v_fma_f32 v52, -v43, v51, v50
	s_delay_alu instid0(VALU_DEP_1) | instskip(NEXT) | instid1(VALU_DEP_1)
	v_fmac_f32_e32 v51, v52, v48
	v_fma_f32 v43, -v43, v51, v50
	s_delay_alu instid0(VALU_DEP_1) | instskip(NEXT) | instid1(VALU_DEP_1)
	v_div_fmas_f32 v43, v43, v48, v51
	v_div_fixup_f32 v48, v43, v42, 1.0
	s_delay_alu instid0(VALU_DEP_1)
	v_mul_f32_e64 v49, v49, -v48
.LBB115_214:
	s_or_b32 exec_lo, exec_lo, s1
	ds_store_b64 v187, v[48:49]
.LBB115_215:
	s_or_b32 exec_lo, exec_lo, s2
	s_wait_dscnt 0x0
	s_barrier_signal -1
	s_barrier_wait -1
	ds_load_b64 v[42:43], v187
	s_mov_b32 s1, exec_lo
	v_cmpx_lt_u32_e32 23, v186
	s_cbranch_execz .LBB115_217
; %bb.216:
	ds_load_2addr_b64 v[66:69], v196 offset0:24 offset1:25
	s_wait_dscnt 0x1
	v_pk_mul_f32 v[50:51], v[42:43], v[92:93] op_sel:[1,1] op_sel_hi:[0,1]
	s_delay_alu instid0(VALU_DEP_1) | instskip(SKIP_1) | instid1(VALU_DEP_1)
	v_pk_fma_f32 v[48:49], v[42:43], v[92:93], v[50:51] op_sel_hi:[1,0,1] neg_lo:[0,0,1] neg_hi:[0,0,1]
	v_pk_fma_f32 v[50:51], v[42:43], v[92:93], v[50:51] op_sel_hi:[1,0,1]
	v_dual_mov_b32 v92, v48 :: v_dual_mov_b32 v93, v51
	s_wait_dscnt 0x0
	s_delay_alu instid0(VALU_DEP_2) | instskip(NEXT) | instid1(VALU_DEP_1)
	v_pk_mul_f32 v[52:53], v[66:67], v[50:51] op_sel:[0,1]
	v_pk_fma_f32 v[70:71], v[66:67], v[48:49], v[52:53] op_sel:[0,0,1] op_sel_hi:[1,1,0] neg_lo:[0,0,1] neg_hi:[0,0,1]
	v_pk_fma_f32 v[52:53], v[66:67], v[48:49], v[52:53] op_sel:[0,0,1] op_sel_hi:[1,0,0]
	s_delay_alu instid0(VALU_DEP_1) | instskip(SKIP_1) | instid1(VALU_DEP_1)
	v_mov_b32_e32 v71, v53
	v_pk_mul_f32 v[52:53], v[68:69], v[50:51] op_sel:[0,1]
	v_pk_fma_f32 v[66:67], v[68:69], v[48:49], v[52:53] op_sel:[0,0,1] op_sel_hi:[1,1,0] neg_lo:[0,0,1] neg_hi:[0,0,1]
	v_pk_fma_f32 v[52:53], v[68:69], v[48:49], v[52:53] op_sel:[0,0,1] op_sel_hi:[1,0,0]
	s_delay_alu instid0(VALU_DEP_1) | instskip(SKIP_1) | instid1(VALU_DEP_2)
	v_mov_b32_e32 v67, v53
	v_pk_add_f32 v[114:115], v[114:115], v[70:71] neg_lo:[0,1] neg_hi:[0,1]
	v_pk_add_f32 v[110:111], v[110:111], v[66:67] neg_lo:[0,1] neg_hi:[0,1]
	ds_load_2addr_b64 v[66:69], v196 offset0:26 offset1:27
	s_wait_dscnt 0x0
	v_pk_mul_f32 v[52:53], v[66:67], v[50:51] op_sel:[0,1]
	s_delay_alu instid0(VALU_DEP_1) | instskip(SKIP_2) | instid1(VALU_DEP_2)
	v_pk_fma_f32 v[70:71], v[66:67], v[48:49], v[52:53] op_sel:[0,0,1] op_sel_hi:[1,1,0] neg_lo:[0,0,1] neg_hi:[0,0,1]
	v_pk_fma_f32 v[52:53], v[66:67], v[48:49], v[52:53] op_sel:[0,0,1] op_sel_hi:[1,0,0]
	v_dual_mul_f32 v66, v69, v51 :: v_dual_mov_b32 v52, v69
	v_dual_mov_b32 v71, v53 :: v_dual_mov_b32 v53, v68
	s_delay_alu instid0(VALU_DEP_2) | instskip(SKIP_1) | instid1(VALU_DEP_3)
	v_pk_fma_f32 v[66:67], v[68:69], v[92:93], v[66:67] op_sel_hi:[1,1,0] neg_lo:[0,0,1] neg_hi:[0,0,1]
	v_mul_f32_e32 v68, v69, v48
	v_pk_add_f32 v[112:113], v[112:113], v[70:71] neg_lo:[0,1] neg_hi:[0,1]
	s_delay_alu instid0(VALU_DEP_2) | instskip(NEXT) | instid1(VALU_DEP_1)
	v_pk_fma_f32 v[52:53], v[52:53], v[92:93], v[68:69] op_sel_hi:[1,1,0]
	v_mov_b32_e32 v67, v53
	s_delay_alu instid0(VALU_DEP_1) | instskip(SKIP_3) | instid1(VALU_DEP_1)
	v_pk_add_f32 v[108:109], v[108:109], v[66:67] neg_lo:[0,1] neg_hi:[0,1]
	ds_load_2addr_b64 v[66:69], v196 offset0:28 offset1:29
	s_wait_dscnt 0x0
	v_pk_mul_f32 v[52:53], v[66:67], v[50:51] op_sel:[0,1]
	v_pk_fma_f32 v[70:71], v[66:67], v[48:49], v[52:53] op_sel:[0,0,1] op_sel_hi:[1,1,0] neg_lo:[0,0,1] neg_hi:[0,0,1]
	v_pk_fma_f32 v[52:53], v[66:67], v[48:49], v[52:53] op_sel:[0,0,1] op_sel_hi:[1,0,0]
	s_delay_alu instid0(VALU_DEP_1) | instskip(SKIP_1) | instid1(VALU_DEP_2)
	v_mov_b32_e32 v71, v53
	v_pk_mul_f32 v[52:53], v[68:69], v[50:51] op_sel:[0,1]
	v_pk_add_f32 v[130:131], v[130:131], v[70:71] neg_lo:[0,1] neg_hi:[0,1]
	s_delay_alu instid0(VALU_DEP_2) | instskip(SKIP_1) | instid1(VALU_DEP_1)
	v_pk_fma_f32 v[66:67], v[68:69], v[48:49], v[52:53] op_sel:[0,0,1] op_sel_hi:[1,1,0] neg_lo:[0,0,1] neg_hi:[0,0,1]
	v_pk_fma_f32 v[52:53], v[68:69], v[48:49], v[52:53] op_sel:[0,0,1] op_sel_hi:[1,0,0]
	v_mov_b32_e32 v67, v53
	s_delay_alu instid0(VALU_DEP_1) | instskip(SKIP_3) | instid1(VALU_DEP_1)
	v_pk_add_f32 v[126:127], v[126:127], v[66:67] neg_lo:[0,1] neg_hi:[0,1]
	ds_load_2addr_b64 v[66:69], v196 offset0:30 offset1:31
	s_wait_dscnt 0x0
	v_pk_mul_f32 v[52:53], v[66:67], v[50:51] op_sel:[0,1]
	v_pk_fma_f32 v[70:71], v[66:67], v[48:49], v[52:53] op_sel:[0,0,1] op_sel_hi:[1,1,0] neg_lo:[0,0,1] neg_hi:[0,0,1]
	v_pk_fma_f32 v[52:53], v[66:67], v[48:49], v[52:53] op_sel:[0,0,1] op_sel_hi:[1,0,0]
	s_delay_alu instid0(VALU_DEP_1) | instskip(SKIP_1) | instid1(VALU_DEP_2)
	v_mov_b32_e32 v71, v53
	v_pk_mul_f32 v[52:53], v[68:69], v[50:51] op_sel:[0,1]
	v_pk_add_f32 v[128:129], v[128:129], v[70:71] neg_lo:[0,1] neg_hi:[0,1]
	s_delay_alu instid0(VALU_DEP_2) | instskip(SKIP_1) | instid1(VALU_DEP_1)
	v_pk_fma_f32 v[66:67], v[68:69], v[48:49], v[52:53] op_sel:[0,0,1] op_sel_hi:[1,1,0] neg_lo:[0,0,1] neg_hi:[0,0,1]
	v_pk_fma_f32 v[52:53], v[68:69], v[48:49], v[52:53] op_sel:[0,0,1] op_sel_hi:[1,0,0]
	v_mov_b32_e32 v67, v53
	s_delay_alu instid0(VALU_DEP_1) | instskip(SKIP_3) | instid1(VALU_DEP_1)
	v_pk_add_f32 v[124:125], v[124:125], v[66:67] neg_lo:[0,1] neg_hi:[0,1]
	ds_load_2addr_b64 v[66:69], v196 offset0:32 offset1:33
	s_wait_dscnt 0x0
	v_dual_mul_f32 v52, v67, v51 :: v_dual_mul_f32 v70, v67, v48
	v_pk_fma_f32 v[52:53], v[66:67], v[92:93], v[52:53] op_sel_hi:[1,1,0] neg_lo:[0,0,1] neg_hi:[0,0,1]
	s_delay_alu instid0(VALU_DEP_2) | instskip(NEXT) | instid1(VALU_DEP_1)
	v_pk_fma_f32 v[66:67], v[66:67], v[92:93], v[70:71] op_sel:[1,0,0] op_sel_hi:[0,1,0]
	v_mov_b32_e32 v53, v67
	s_delay_alu instid0(VALU_DEP_1) | instskip(SKIP_1) | instid1(VALU_DEP_1)
	v_pk_add_f32 v[146:147], v[146:147], v[52:53] neg_lo:[0,1] neg_hi:[0,1]
	v_pk_mul_f32 v[52:53], v[68:69], v[50:51] op_sel:[0,1]
	v_pk_fma_f32 v[66:67], v[68:69], v[48:49], v[52:53] op_sel:[0,0,1] op_sel_hi:[1,1,0] neg_lo:[0,0,1] neg_hi:[0,0,1]
	v_pk_fma_f32 v[52:53], v[68:69], v[48:49], v[52:53] op_sel:[0,0,1] op_sel_hi:[1,0,0]
	s_delay_alu instid0(VALU_DEP_1) | instskip(NEXT) | instid1(VALU_DEP_1)
	v_mov_b32_e32 v67, v53
	v_pk_add_f32 v[142:143], v[142:143], v[66:67] neg_lo:[0,1] neg_hi:[0,1]
	ds_load_2addr_b64 v[66:69], v196 offset0:34 offset1:35
	s_wait_dscnt 0x0
	v_pk_mul_f32 v[52:53], v[66:67], v[50:51] op_sel:[0,1]
	s_delay_alu instid0(VALU_DEP_1) | instskip(SKIP_1) | instid1(VALU_DEP_1)
	v_pk_fma_f32 v[70:71], v[66:67], v[48:49], v[52:53] op_sel:[0,0,1] op_sel_hi:[1,1,0] neg_lo:[0,0,1] neg_hi:[0,0,1]
	v_pk_fma_f32 v[52:53], v[66:67], v[48:49], v[52:53] op_sel:[0,0,1] op_sel_hi:[1,0,0]
	v_mov_b32_e32 v71, v53
	v_pk_mul_f32 v[52:53], v[68:69], v[50:51] op_sel:[0,1]
	s_delay_alu instid0(VALU_DEP_2) | instskip(NEXT) | instid1(VALU_DEP_2)
	v_pk_add_f32 v[144:145], v[144:145], v[70:71] neg_lo:[0,1] neg_hi:[0,1]
	v_pk_fma_f32 v[66:67], v[68:69], v[48:49], v[52:53] op_sel:[0,0,1] op_sel_hi:[1,1,0] neg_lo:[0,0,1] neg_hi:[0,0,1]
	v_pk_fma_f32 v[52:53], v[68:69], v[48:49], v[52:53] op_sel:[0,0,1] op_sel_hi:[1,0,0]
	s_delay_alu instid0(VALU_DEP_1) | instskip(NEXT) | instid1(VALU_DEP_1)
	v_mov_b32_e32 v67, v53
	v_pk_add_f32 v[140:141], v[140:141], v[66:67] neg_lo:[0,1] neg_hi:[0,1]
	ds_load_2addr_b64 v[66:69], v196 offset0:36 offset1:37
	s_wait_dscnt 0x0
	v_pk_mul_f32 v[52:53], v[66:67], v[50:51] op_sel:[0,1]
	s_delay_alu instid0(VALU_DEP_1) | instskip(SKIP_2) | instid1(VALU_DEP_2)
	v_pk_fma_f32 v[70:71], v[66:67], v[48:49], v[52:53] op_sel:[0,0,1] op_sel_hi:[1,1,0] neg_lo:[0,0,1] neg_hi:[0,0,1]
	v_pk_fma_f32 v[52:53], v[66:67], v[48:49], v[52:53] op_sel:[0,0,1] op_sel_hi:[1,0,0]
	v_dual_mul_f32 v66, v69, v51 :: v_dual_mov_b32 v52, v69
	v_dual_mov_b32 v71, v53 :: v_dual_mov_b32 v53, v68
	s_delay_alu instid0(VALU_DEP_2) | instskip(SKIP_1) | instid1(VALU_DEP_3)
	v_pk_fma_f32 v[66:67], v[68:69], v[92:93], v[66:67] op_sel_hi:[1,1,0] neg_lo:[0,0,1] neg_hi:[0,0,1]
	v_mul_f32_e32 v68, v69, v48
	v_pk_add_f32 v[162:163], v[162:163], v[70:71] neg_lo:[0,1] neg_hi:[0,1]
	s_delay_alu instid0(VALU_DEP_2) | instskip(NEXT) | instid1(VALU_DEP_1)
	v_pk_fma_f32 v[52:53], v[52:53], v[92:93], v[68:69] op_sel_hi:[1,1,0]
	v_mov_b32_e32 v67, v53
	s_delay_alu instid0(VALU_DEP_1) | instskip(SKIP_3) | instid1(VALU_DEP_1)
	v_pk_add_f32 v[158:159], v[158:159], v[66:67] neg_lo:[0,1] neg_hi:[0,1]
	ds_load_2addr_b64 v[66:69], v196 offset0:38 offset1:39
	s_wait_dscnt 0x0
	v_pk_mul_f32 v[52:53], v[66:67], v[50:51] op_sel:[0,1]
	v_pk_fma_f32 v[70:71], v[66:67], v[48:49], v[52:53] op_sel:[0,0,1] op_sel_hi:[1,1,0] neg_lo:[0,0,1] neg_hi:[0,0,1]
	v_pk_fma_f32 v[52:53], v[66:67], v[48:49], v[52:53] op_sel:[0,0,1] op_sel_hi:[1,0,0]
	s_delay_alu instid0(VALU_DEP_1) | instskip(SKIP_1) | instid1(VALU_DEP_2)
	v_mov_b32_e32 v71, v53
	v_pk_mul_f32 v[52:53], v[68:69], v[50:51] op_sel:[0,1]
	v_pk_add_f32 v[160:161], v[160:161], v[70:71] neg_lo:[0,1] neg_hi:[0,1]
	s_delay_alu instid0(VALU_DEP_2) | instskip(SKIP_1) | instid1(VALU_DEP_1)
	v_pk_fma_f32 v[66:67], v[68:69], v[48:49], v[52:53] op_sel:[0,0,1] op_sel_hi:[1,1,0] neg_lo:[0,0,1] neg_hi:[0,0,1]
	v_pk_fma_f32 v[52:53], v[68:69], v[48:49], v[52:53] op_sel:[0,0,1] op_sel_hi:[1,0,0]
	v_mov_b32_e32 v67, v53
	s_delay_alu instid0(VALU_DEP_1) | instskip(SKIP_3) | instid1(VALU_DEP_1)
	v_pk_add_f32 v[156:157], v[156:157], v[66:67] neg_lo:[0,1] neg_hi:[0,1]
	ds_load_2addr_b64 v[66:69], v196 offset0:40 offset1:41
	s_wait_dscnt 0x0
	v_pk_mul_f32 v[52:53], v[66:67], v[50:51] op_sel:[0,1]
	v_pk_fma_f32 v[70:71], v[66:67], v[48:49], v[52:53] op_sel:[0,0,1] op_sel_hi:[1,1,0] neg_lo:[0,0,1] neg_hi:[0,0,1]
	v_pk_fma_f32 v[52:53], v[66:67], v[48:49], v[52:53] op_sel:[0,0,1] op_sel_hi:[1,0,0]
	s_delay_alu instid0(VALU_DEP_1) | instskip(SKIP_1) | instid1(VALU_DEP_2)
	v_mov_b32_e32 v71, v53
	v_pk_mul_f32 v[52:53], v[68:69], v[50:51] op_sel:[0,1]
	v_pk_add_f32 v[178:179], v[178:179], v[70:71] neg_lo:[0,1] neg_hi:[0,1]
	s_delay_alu instid0(VALU_DEP_2) | instskip(SKIP_1) | instid1(VALU_DEP_1)
	v_pk_fma_f32 v[66:67], v[68:69], v[48:49], v[52:53] op_sel:[0,0,1] op_sel_hi:[1,1,0] neg_lo:[0,0,1] neg_hi:[0,0,1]
	v_pk_fma_f32 v[52:53], v[68:69], v[48:49], v[52:53] op_sel:[0,0,1] op_sel_hi:[1,0,0]
	v_mov_b32_e32 v67, v53
	s_delay_alu instid0(VALU_DEP_1) | instskip(SKIP_3) | instid1(VALU_DEP_1)
	v_pk_add_f32 v[174:175], v[174:175], v[66:67] neg_lo:[0,1] neg_hi:[0,1]
	ds_load_2addr_b64 v[66:69], v196 offset0:42 offset1:43
	s_wait_dscnt 0x0
	v_dual_mul_f32 v52, v67, v51 :: v_dual_mul_f32 v70, v67, v48
	v_pk_fma_f32 v[52:53], v[66:67], v[92:93], v[52:53] op_sel_hi:[1,1,0] neg_lo:[0,0,1] neg_hi:[0,0,1]
	s_delay_alu instid0(VALU_DEP_2) | instskip(NEXT) | instid1(VALU_DEP_1)
	v_pk_fma_f32 v[66:67], v[66:67], v[92:93], v[70:71] op_sel:[1,0,0] op_sel_hi:[0,1,0]
	v_mov_b32_e32 v53, v67
	s_delay_alu instid0(VALU_DEP_1) | instskip(SKIP_1) | instid1(VALU_DEP_1)
	v_pk_add_f32 v[176:177], v[176:177], v[52:53] neg_lo:[0,1] neg_hi:[0,1]
	v_pk_mul_f32 v[52:53], v[68:69], v[50:51] op_sel:[0,1]
	v_pk_fma_f32 v[66:67], v[68:69], v[48:49], v[52:53] op_sel:[0,0,1] op_sel_hi:[1,1,0] neg_lo:[0,0,1] neg_hi:[0,0,1]
	v_pk_fma_f32 v[52:53], v[68:69], v[48:49], v[52:53] op_sel:[0,0,1] op_sel_hi:[1,0,0]
	s_delay_alu instid0(VALU_DEP_1) | instskip(NEXT) | instid1(VALU_DEP_1)
	v_mov_b32_e32 v67, v53
	v_pk_add_f32 v[172:173], v[172:173], v[66:67] neg_lo:[0,1] neg_hi:[0,1]
	ds_load_2addr_b64 v[66:69], v196 offset0:44 offset1:45
	s_wait_dscnt 0x0
	v_pk_mul_f32 v[52:53], v[66:67], v[50:51] op_sel:[0,1]
	s_delay_alu instid0(VALU_DEP_1) | instskip(SKIP_1) | instid1(VALU_DEP_1)
	v_pk_fma_f32 v[70:71], v[66:67], v[48:49], v[52:53] op_sel:[0,0,1] op_sel_hi:[1,1,0] neg_lo:[0,0,1] neg_hi:[0,0,1]
	v_pk_fma_f32 v[52:53], v[66:67], v[48:49], v[52:53] op_sel:[0,0,1] op_sel_hi:[1,0,0]
	v_mov_b32_e32 v71, v53
	v_pk_mul_f32 v[52:53], v[68:69], v[50:51] op_sel:[0,1]
	s_delay_alu instid0(VALU_DEP_2) | instskip(NEXT) | instid1(VALU_DEP_2)
	v_pk_add_f32 v[194:195], v[194:195], v[70:71] neg_lo:[0,1] neg_hi:[0,1]
	v_pk_fma_f32 v[66:67], v[68:69], v[48:49], v[52:53] op_sel:[0,0,1] op_sel_hi:[1,1,0] neg_lo:[0,0,1] neg_hi:[0,0,1]
	v_pk_fma_f32 v[52:53], v[68:69], v[48:49], v[52:53] op_sel:[0,0,1] op_sel_hi:[1,0,0]
	s_delay_alu instid0(VALU_DEP_1) | instskip(NEXT) | instid1(VALU_DEP_1)
	v_mov_b32_e32 v67, v53
	v_pk_add_f32 v[190:191], v[190:191], v[66:67] neg_lo:[0,1] neg_hi:[0,1]
	ds_load_2addr_b64 v[66:69], v196 offset0:46 offset1:47
	s_wait_dscnt 0x0
	v_pk_mul_f32 v[52:53], v[66:67], v[50:51] op_sel:[0,1]
	s_delay_alu instid0(VALU_DEP_1) | instskip(SKIP_2) | instid1(VALU_DEP_2)
	v_pk_fma_f32 v[70:71], v[66:67], v[48:49], v[52:53] op_sel:[0,0,1] op_sel_hi:[1,1,0] neg_lo:[0,0,1] neg_hi:[0,0,1]
	v_pk_fma_f32 v[52:53], v[66:67], v[48:49], v[52:53] op_sel:[0,0,1] op_sel_hi:[1,0,0]
	v_dual_mul_f32 v66, v69, v51 :: v_dual_mov_b32 v52, v69
	v_dual_mov_b32 v71, v53 :: v_dual_mov_b32 v53, v68
	s_delay_alu instid0(VALU_DEP_2) | instskip(SKIP_1) | instid1(VALU_DEP_3)
	v_pk_fma_f32 v[66:67], v[68:69], v[92:93], v[66:67] op_sel_hi:[1,1,0] neg_lo:[0,0,1] neg_hi:[0,0,1]
	v_mul_f32_e32 v68, v69, v48
	v_pk_add_f32 v[192:193], v[192:193], v[70:71] neg_lo:[0,1] neg_hi:[0,1]
	s_delay_alu instid0(VALU_DEP_2) | instskip(NEXT) | instid1(VALU_DEP_1)
	v_pk_fma_f32 v[52:53], v[52:53], v[92:93], v[68:69] op_sel_hi:[1,1,0]
	v_mov_b32_e32 v67, v53
	s_delay_alu instid0(VALU_DEP_1) | instskip(SKIP_3) | instid1(VALU_DEP_1)
	v_pk_add_f32 v[188:189], v[188:189], v[66:67] neg_lo:[0,1] neg_hi:[0,1]
	ds_load_2addr_b64 v[66:69], v196 offset0:48 offset1:49
	s_wait_dscnt 0x0
	v_pk_mul_f32 v[52:53], v[66:67], v[50:51] op_sel:[0,1]
	v_pk_fma_f32 v[70:71], v[66:67], v[48:49], v[52:53] op_sel:[0,0,1] op_sel_hi:[1,1,0] neg_lo:[0,0,1] neg_hi:[0,0,1]
	v_pk_fma_f32 v[52:53], v[66:67], v[48:49], v[52:53] op_sel:[0,0,1] op_sel_hi:[1,0,0]
	s_delay_alu instid0(VALU_DEP_1) | instskip(SKIP_1) | instid1(VALU_DEP_2)
	v_mov_b32_e32 v71, v53
	v_pk_mul_f32 v[52:53], v[68:69], v[50:51] op_sel:[0,1]
	v_pk_add_f32 v[212:213], v[212:213], v[70:71] neg_lo:[0,1] neg_hi:[0,1]
	s_delay_alu instid0(VALU_DEP_2) | instskip(SKIP_1) | instid1(VALU_DEP_1)
	v_pk_fma_f32 v[66:67], v[68:69], v[48:49], v[52:53] op_sel:[0,0,1] op_sel_hi:[1,1,0] neg_lo:[0,0,1] neg_hi:[0,0,1]
	v_pk_fma_f32 v[52:53], v[68:69], v[48:49], v[52:53] op_sel:[0,0,1] op_sel_hi:[1,0,0]
	v_mov_b32_e32 v67, v53
	s_delay_alu instid0(VALU_DEP_1) | instskip(SKIP_3) | instid1(VALU_DEP_1)
	v_pk_add_f32 v[208:209], v[208:209], v[66:67] neg_lo:[0,1] neg_hi:[0,1]
	ds_load_2addr_b64 v[66:69], v196 offset0:50 offset1:51
	s_wait_dscnt 0x0
	v_pk_mul_f32 v[52:53], v[66:67], v[50:51] op_sel:[0,1]
	v_pk_fma_f32 v[70:71], v[66:67], v[48:49], v[52:53] op_sel:[0,0,1] op_sel_hi:[1,1,0] neg_lo:[0,0,1] neg_hi:[0,0,1]
	v_pk_fma_f32 v[52:53], v[66:67], v[48:49], v[52:53] op_sel:[0,0,1] op_sel_hi:[1,0,0]
	s_delay_alu instid0(VALU_DEP_1) | instskip(SKIP_1) | instid1(VALU_DEP_2)
	v_mov_b32_e32 v71, v53
	v_pk_mul_f32 v[52:53], v[68:69], v[50:51] op_sel:[0,1]
	v_pk_add_f32 v[210:211], v[210:211], v[70:71] neg_lo:[0,1] neg_hi:[0,1]
	s_delay_alu instid0(VALU_DEP_2) | instskip(SKIP_1) | instid1(VALU_DEP_1)
	v_pk_fma_f32 v[66:67], v[68:69], v[48:49], v[52:53] op_sel:[0,0,1] op_sel_hi:[1,1,0] neg_lo:[0,0,1] neg_hi:[0,0,1]
	v_pk_fma_f32 v[52:53], v[68:69], v[48:49], v[52:53] op_sel:[0,0,1] op_sel_hi:[1,0,0]
	v_mov_b32_e32 v67, v53
	s_delay_alu instid0(VALU_DEP_1) | instskip(SKIP_3) | instid1(VALU_DEP_1)
	v_pk_add_f32 v[206:207], v[206:207], v[66:67] neg_lo:[0,1] neg_hi:[0,1]
	ds_load_2addr_b64 v[66:69], v196 offset0:52 offset1:53
	s_wait_dscnt 0x0
	v_dual_mul_f32 v52, v67, v51 :: v_dual_mul_f32 v70, v67, v48
	v_pk_fma_f32 v[52:53], v[66:67], v[92:93], v[52:53] op_sel_hi:[1,1,0] neg_lo:[0,0,1] neg_hi:[0,0,1]
	s_delay_alu instid0(VALU_DEP_2) | instskip(NEXT) | instid1(VALU_DEP_1)
	v_pk_fma_f32 v[66:67], v[66:67], v[92:93], v[70:71] op_sel:[1,0,0] op_sel_hi:[0,1,0]
	v_mov_b32_e32 v53, v67
	s_delay_alu instid0(VALU_DEP_1) | instskip(SKIP_1) | instid1(VALU_DEP_1)
	v_pk_add_f32 v[228:229], v[228:229], v[52:53] neg_lo:[0,1] neg_hi:[0,1]
	v_pk_mul_f32 v[52:53], v[68:69], v[50:51] op_sel:[0,1]
	v_pk_fma_f32 v[66:67], v[68:69], v[48:49], v[52:53] op_sel:[0,0,1] op_sel_hi:[1,1,0] neg_lo:[0,0,1] neg_hi:[0,0,1]
	v_pk_fma_f32 v[52:53], v[68:69], v[48:49], v[52:53] op_sel:[0,0,1] op_sel_hi:[1,0,0]
	s_delay_alu instid0(VALU_DEP_1) | instskip(NEXT) | instid1(VALU_DEP_1)
	v_mov_b32_e32 v67, v53
	v_pk_add_f32 v[224:225], v[224:225], v[66:67] neg_lo:[0,1] neg_hi:[0,1]
	ds_load_2addr_b64 v[66:69], v196 offset0:54 offset1:55
	s_wait_dscnt 0x0
	v_pk_mul_f32 v[52:53], v[66:67], v[50:51] op_sel:[0,1]
	s_delay_alu instid0(VALU_DEP_1) | instskip(SKIP_1) | instid1(VALU_DEP_1)
	v_pk_fma_f32 v[70:71], v[66:67], v[48:49], v[52:53] op_sel:[0,0,1] op_sel_hi:[1,1,0] neg_lo:[0,0,1] neg_hi:[0,0,1]
	v_pk_fma_f32 v[52:53], v[66:67], v[48:49], v[52:53] op_sel:[0,0,1] op_sel_hi:[1,0,0]
	v_mov_b32_e32 v71, v53
	v_pk_mul_f32 v[52:53], v[68:69], v[50:51] op_sel:[0,1]
	s_delay_alu instid0(VALU_DEP_2) | instskip(NEXT) | instid1(VALU_DEP_2)
	v_pk_add_f32 v[226:227], v[226:227], v[70:71] neg_lo:[0,1] neg_hi:[0,1]
	v_pk_fma_f32 v[66:67], v[68:69], v[48:49], v[52:53] op_sel:[0,0,1] op_sel_hi:[1,1,0] neg_lo:[0,0,1] neg_hi:[0,0,1]
	v_pk_fma_f32 v[52:53], v[68:69], v[48:49], v[52:53] op_sel:[0,0,1] op_sel_hi:[1,0,0]
	s_delay_alu instid0(VALU_DEP_1) | instskip(NEXT) | instid1(VALU_DEP_1)
	v_mov_b32_e32 v67, v53
	v_pk_add_f32 v[222:223], v[222:223], v[66:67] neg_lo:[0,1] neg_hi:[0,1]
	ds_load_2addr_b64 v[66:69], v196 offset0:56 offset1:57
	s_wait_dscnt 0x0
	v_pk_mul_f32 v[52:53], v[66:67], v[50:51] op_sel:[0,1]
	v_pk_mul_f32 v[50:51], v[68:69], v[50:51] op_sel:[0,1]
	s_delay_alu instid0(VALU_DEP_2) | instskip(SKIP_1) | instid1(VALU_DEP_1)
	v_pk_fma_f32 v[70:71], v[66:67], v[48:49], v[52:53] op_sel:[0,0,1] op_sel_hi:[1,1,0] neg_lo:[0,0,1] neg_hi:[0,0,1]
	v_pk_fma_f32 v[52:53], v[66:67], v[48:49], v[52:53] op_sel:[0,0,1] op_sel_hi:[1,0,0]
	v_mov_b32_e32 v71, v53
	s_delay_alu instid0(VALU_DEP_4) | instskip(SKIP_1) | instid1(VALU_DEP_3)
	v_pk_fma_f32 v[52:53], v[68:69], v[48:49], v[50:51] op_sel:[0,0,1] op_sel_hi:[1,1,0] neg_lo:[0,0,1] neg_hi:[0,0,1]
	v_pk_fma_f32 v[48:49], v[68:69], v[48:49], v[50:51] op_sel:[0,0,1] op_sel_hi:[1,0,0]
	v_pk_add_f32 v[230:231], v[230:231], v[70:71] neg_lo:[0,1] neg_hi:[0,1]
	s_delay_alu instid0(VALU_DEP_2) | instskip(NEXT) | instid1(VALU_DEP_1)
	v_mov_b32_e32 v53, v49
	v_pk_add_f32 v[232:233], v[232:233], v[52:53] neg_lo:[0,1] neg_hi:[0,1]
.LBB115_217:
	s_or_b32 exec_lo, exec_lo, s1
	s_delay_alu instid0(SALU_CYCLE_1)
	s_mov_b32 s2, exec_lo
	s_wait_dscnt 0x0
	s_barrier_signal -1
	s_barrier_wait -1
	v_cmpx_eq_u32_e32 24, v186
	s_cbranch_execz .LBB115_224
; %bb.218:
	ds_store_b64 v187, v[114:115]
	ds_store_2addr_b64 v196, v[110:111], v[112:113] offset0:25 offset1:26
	ds_store_2addr_b64 v196, v[108:109], v[130:131] offset0:27 offset1:28
	;; [unrolled: 1-line block ×16, first 2 shown]
	ds_store_b64 v196, v[232:233] offset:456
	ds_load_b64 v[48:49], v187
	s_wait_dscnt 0x0
	v_cmp_neq_f32_e32 vcc_lo, 0, v48
	v_cmp_neq_f32_e64 s1, 0, v49
	s_or_b32 s1, vcc_lo, s1
	s_delay_alu instid0(SALU_CYCLE_1)
	s_and_b32 exec_lo, exec_lo, s1
	s_cbranch_execz .LBB115_224
; %bb.219:
	v_cmp_ngt_f32_e64 s1, |v48|, |v49|
                                        ; implicit-def: $vgpr50_vgpr51
	s_and_saveexec_b32 s4, s1
	s_delay_alu instid0(SALU_CYCLE_1)
	s_xor_b32 s1, exec_lo, s4
	s_cbranch_execz .LBB115_221
; %bb.220:
	v_div_scale_f32 v50, null, v49, v49, v48
	v_div_scale_f32 v53, vcc_lo, v48, v49, v48
	s_delay_alu instid0(VALU_DEP_2) | instskip(SKIP_1) | instid1(TRANS32_DEP_1)
	v_rcp_f32_e32 v51, v50
	v_nop
	v_fma_f32 v52, -v50, v51, 1.0
	s_delay_alu instid0(VALU_DEP_1) | instskip(NEXT) | instid1(VALU_DEP_1)
	v_fmac_f32_e32 v51, v52, v51
	v_mul_f32_e32 v52, v53, v51
	s_delay_alu instid0(VALU_DEP_1) | instskip(NEXT) | instid1(VALU_DEP_1)
	v_fma_f32 v66, -v50, v52, v53
	v_fmac_f32_e32 v52, v66, v51
	s_delay_alu instid0(VALU_DEP_1) | instskip(NEXT) | instid1(VALU_DEP_1)
	v_fma_f32 v50, -v50, v52, v53
	v_div_fmas_f32 v50, v50, v51, v52
	s_delay_alu instid0(VALU_DEP_1) | instskip(NEXT) | instid1(VALU_DEP_1)
	v_div_fixup_f32 v50, v50, v49, v48
	v_fmac_f32_e32 v49, v48, v50
	s_delay_alu instid0(VALU_DEP_1) | instskip(SKIP_1) | instid1(VALU_DEP_2)
	v_div_scale_f32 v48, null, v49, v49, 1.0
	v_div_scale_f32 v53, vcc_lo, 1.0, v49, 1.0
	v_rcp_f32_e32 v51, v48
	v_nop
	s_delay_alu instid0(TRANS32_DEP_1) | instskip(NEXT) | instid1(VALU_DEP_1)
	v_fma_f32 v52, -v48, v51, 1.0
	v_fmac_f32_e32 v51, v52, v51
	s_delay_alu instid0(VALU_DEP_1) | instskip(NEXT) | instid1(VALU_DEP_1)
	v_mul_f32_e32 v52, v53, v51
	v_fma_f32 v66, -v48, v52, v53
	s_delay_alu instid0(VALU_DEP_1) | instskip(NEXT) | instid1(VALU_DEP_1)
	v_fmac_f32_e32 v52, v66, v51
	v_fma_f32 v48, -v48, v52, v53
	s_delay_alu instid0(VALU_DEP_1) | instskip(NEXT) | instid1(VALU_DEP_1)
	v_div_fmas_f32 v48, v48, v51, v52
	v_div_fixup_f32 v48, v48, v49, 1.0
	s_delay_alu instid0(VALU_DEP_1)
	v_mul_f32_e32 v50, v50, v48
	v_xor_b32_e32 v51, 0x80000000, v48
                                        ; implicit-def: $vgpr48_vgpr49
.LBB115_221:
	s_and_not1_saveexec_b32 s1, s1
	s_cbranch_execz .LBB115_223
; %bb.222:
	v_div_scale_f32 v50, null, v48, v48, v49
	v_div_scale_f32 v53, vcc_lo, v49, v48, v49
	s_delay_alu instid0(VALU_DEP_2) | instskip(SKIP_1) | instid1(TRANS32_DEP_1)
	v_rcp_f32_e32 v51, v50
	v_nop
	v_fma_f32 v52, -v50, v51, 1.0
	s_delay_alu instid0(VALU_DEP_1) | instskip(NEXT) | instid1(VALU_DEP_1)
	v_fmac_f32_e32 v51, v52, v51
	v_mul_f32_e32 v52, v53, v51
	s_delay_alu instid0(VALU_DEP_1) | instskip(NEXT) | instid1(VALU_DEP_1)
	v_fma_f32 v66, -v50, v52, v53
	v_fmac_f32_e32 v52, v66, v51
	s_delay_alu instid0(VALU_DEP_1) | instskip(NEXT) | instid1(VALU_DEP_1)
	v_fma_f32 v50, -v50, v52, v53
	v_div_fmas_f32 v50, v50, v51, v52
	s_delay_alu instid0(VALU_DEP_1) | instskip(NEXT) | instid1(VALU_DEP_1)
	v_div_fixup_f32 v51, v50, v48, v49
	v_fmac_f32_e32 v48, v49, v51
	s_delay_alu instid0(VALU_DEP_1) | instskip(NEXT) | instid1(VALU_DEP_1)
	v_div_scale_f32 v49, null, v48, v48, 1.0
	v_rcp_f32_e32 v50, v49
	v_nop
	s_delay_alu instid0(TRANS32_DEP_1) | instskip(NEXT) | instid1(VALU_DEP_1)
	v_fma_f32 v52, -v49, v50, 1.0
	v_fmac_f32_e32 v50, v52, v50
	v_div_scale_f32 v52, vcc_lo, 1.0, v48, 1.0
	s_delay_alu instid0(VALU_DEP_1) | instskip(NEXT) | instid1(VALU_DEP_1)
	v_mul_f32_e32 v53, v52, v50
	v_fma_f32 v66, -v49, v53, v52
	s_delay_alu instid0(VALU_DEP_1) | instskip(NEXT) | instid1(VALU_DEP_1)
	v_fmac_f32_e32 v53, v66, v50
	v_fma_f32 v49, -v49, v53, v52
	s_delay_alu instid0(VALU_DEP_1) | instskip(NEXT) | instid1(VALU_DEP_1)
	v_div_fmas_f32 v49, v49, v50, v53
	v_div_fixup_f32 v50, v49, v48, 1.0
	s_delay_alu instid0(VALU_DEP_1)
	v_mul_f32_e64 v51, v51, -v50
.LBB115_223:
	s_or_b32 exec_lo, exec_lo, s1
	ds_store_b64 v187, v[50:51]
.LBB115_224:
	s_or_b32 exec_lo, exec_lo, s2
	s_wait_dscnt 0x0
	s_barrier_signal -1
	s_barrier_wait -1
	ds_load_b64 v[48:49], v187
	s_mov_b32 s1, exec_lo
	v_cmpx_lt_u32_e32 24, v186
	s_cbranch_execz .LBB115_226
; %bb.225:
	ds_load_2addr_b64 v[66:69], v196 offset0:25 offset1:26
	s_wait_dscnt 0x1
	v_pk_mul_f32 v[52:53], v[48:49], v[114:115] op_sel:[1,1] op_sel_hi:[0,1]
	s_delay_alu instid0(VALU_DEP_1) | instskip(SKIP_1) | instid1(VALU_DEP_1)
	v_pk_fma_f32 v[50:51], v[48:49], v[114:115], v[52:53] op_sel_hi:[1,0,1] neg_lo:[0,0,1] neg_hi:[0,0,1]
	v_pk_fma_f32 v[52:53], v[48:49], v[114:115], v[52:53] op_sel_hi:[1,0,1]
	v_dual_mov_b32 v114, v50 :: v_dual_mov_b32 v115, v53
	s_wait_dscnt 0x0
	s_delay_alu instid0(VALU_DEP_2) | instskip(NEXT) | instid1(VALU_DEP_1)
	v_pk_mul_f32 v[70:71], v[66:67], v[52:53] op_sel:[0,1]
	v_pk_fma_f32 v[72:73], v[66:67], v[50:51], v[70:71] op_sel:[0,0,1] op_sel_hi:[1,1,0] neg_lo:[0,0,1] neg_hi:[0,0,1]
	v_pk_fma_f32 v[66:67], v[66:67], v[50:51], v[70:71] op_sel:[0,0,1] op_sel_hi:[1,0,0]
	s_delay_alu instid0(VALU_DEP_1) | instskip(SKIP_1) | instid1(VALU_DEP_1)
	v_mov_b32_e32 v73, v67
	v_pk_mul_f32 v[66:67], v[68:69], v[52:53] op_sel:[0,1]
	v_pk_fma_f32 v[70:71], v[68:69], v[50:51], v[66:67] op_sel:[0,0,1] op_sel_hi:[1,1,0] neg_lo:[0,0,1] neg_hi:[0,0,1]
	v_pk_fma_f32 v[66:67], v[68:69], v[50:51], v[66:67] op_sel:[0,0,1] op_sel_hi:[1,0,0]
	s_delay_alu instid0(VALU_DEP_1)
	v_mov_b32_e32 v71, v67
	ds_load_2addr_b64 v[66:69], v196 offset0:27 offset1:28
	v_pk_add_f32 v[110:111], v[110:111], v[72:73] neg_lo:[0,1] neg_hi:[0,1]
	v_pk_add_f32 v[112:113], v[112:113], v[70:71] neg_lo:[0,1] neg_hi:[0,1]
	s_wait_dscnt 0x0
	v_pk_mul_f32 v[70:71], v[66:67], v[52:53] op_sel:[0,1]
	s_delay_alu instid0(VALU_DEP_1) | instskip(SKIP_2) | instid1(VALU_DEP_2)
	v_pk_fma_f32 v[72:73], v[66:67], v[50:51], v[70:71] op_sel:[0,0,1] op_sel_hi:[1,1,0] neg_lo:[0,0,1] neg_hi:[0,0,1]
	v_pk_fma_f32 v[66:67], v[66:67], v[50:51], v[70:71] op_sel:[0,0,1] op_sel_hi:[1,0,0]
	v_dual_mul_f32 v70, v69, v53 :: v_dual_mov_b32 v66, v69
	v_dual_mov_b32 v73, v67 :: v_dual_mov_b32 v67, v68
	s_delay_alu instid0(VALU_DEP_2) | instskip(SKIP_1) | instid1(VALU_DEP_3)
	v_pk_fma_f32 v[70:71], v[68:69], v[114:115], v[70:71] op_sel_hi:[1,1,0] neg_lo:[0,0,1] neg_hi:[0,0,1]
	v_mul_f32_e32 v68, v69, v50
	v_pk_add_f32 v[108:109], v[108:109], v[72:73] neg_lo:[0,1] neg_hi:[0,1]
	s_delay_alu instid0(VALU_DEP_2) | instskip(NEXT) | instid1(VALU_DEP_1)
	v_pk_fma_f32 v[66:67], v[66:67], v[114:115], v[68:69] op_sel_hi:[1,1,0]
	v_mov_b32_e32 v71, v67
	ds_load_2addr_b64 v[66:69], v196 offset0:29 offset1:30
	v_pk_add_f32 v[130:131], v[130:131], v[70:71] neg_lo:[0,1] neg_hi:[0,1]
	s_wait_dscnt 0x0
	v_pk_mul_f32 v[70:71], v[66:67], v[52:53] op_sel:[0,1]
	s_delay_alu instid0(VALU_DEP_1) | instskip(SKIP_1) | instid1(VALU_DEP_1)
	v_pk_fma_f32 v[72:73], v[66:67], v[50:51], v[70:71] op_sel:[0,0,1] op_sel_hi:[1,1,0] neg_lo:[0,0,1] neg_hi:[0,0,1]
	v_pk_fma_f32 v[66:67], v[66:67], v[50:51], v[70:71] op_sel:[0,0,1] op_sel_hi:[1,0,0]
	v_mov_b32_e32 v73, v67
	v_pk_mul_f32 v[66:67], v[68:69], v[52:53] op_sel:[0,1]
	s_delay_alu instid0(VALU_DEP_1) | instskip(SKIP_1) | instid1(VALU_DEP_1)
	v_pk_fma_f32 v[70:71], v[68:69], v[50:51], v[66:67] op_sel:[0,0,1] op_sel_hi:[1,1,0] neg_lo:[0,0,1] neg_hi:[0,0,1]
	v_pk_fma_f32 v[66:67], v[68:69], v[50:51], v[66:67] op_sel:[0,0,1] op_sel_hi:[1,0,0]
	v_mov_b32_e32 v71, v67
	ds_load_2addr_b64 v[66:69], v196 offset0:31 offset1:32
	v_pk_add_f32 v[126:127], v[126:127], v[72:73] neg_lo:[0,1] neg_hi:[0,1]
	v_pk_add_f32 v[128:129], v[128:129], v[70:71] neg_lo:[0,1] neg_hi:[0,1]
	s_wait_dscnt 0x0
	v_pk_mul_f32 v[70:71], v[66:67], v[52:53] op_sel:[0,1]
	s_delay_alu instid0(VALU_DEP_1) | instskip(SKIP_1) | instid1(VALU_DEP_1)
	v_pk_fma_f32 v[72:73], v[66:67], v[50:51], v[70:71] op_sel:[0,0,1] op_sel_hi:[1,1,0] neg_lo:[0,0,1] neg_hi:[0,0,1]
	v_pk_fma_f32 v[66:67], v[66:67], v[50:51], v[70:71] op_sel:[0,0,1] op_sel_hi:[1,0,0]
	v_mov_b32_e32 v73, v67
	v_pk_mul_f32 v[66:67], v[68:69], v[52:53] op_sel:[0,1]
	s_delay_alu instid0(VALU_DEP_1) | instskip(SKIP_1) | instid1(VALU_DEP_1)
	v_pk_fma_f32 v[70:71], v[68:69], v[50:51], v[66:67] op_sel:[0,0,1] op_sel_hi:[1,1,0] neg_lo:[0,0,1] neg_hi:[0,0,1]
	v_pk_fma_f32 v[66:67], v[68:69], v[50:51], v[66:67] op_sel:[0,0,1] op_sel_hi:[1,0,0]
	v_mov_b32_e32 v71, v67
	ds_load_2addr_b64 v[66:69], v196 offset0:33 offset1:34
	v_pk_add_f32 v[124:125], v[124:125], v[72:73] neg_lo:[0,1] neg_hi:[0,1]
	v_pk_add_f32 v[146:147], v[146:147], v[70:71] neg_lo:[0,1] neg_hi:[0,1]
	s_wait_dscnt 0x0
	v_dual_mul_f32 v70, v67, v53 :: v_dual_mul_f32 v72, v67, v50
	s_delay_alu instid0(VALU_DEP_1) | instskip(NEXT) | instid1(VALU_DEP_2)
	v_pk_fma_f32 v[70:71], v[66:67], v[114:115], v[70:71] op_sel_hi:[1,1,0] neg_lo:[0,0,1] neg_hi:[0,0,1]
	v_pk_fma_f32 v[66:67], v[66:67], v[114:115], v[72:73] op_sel:[1,0,0] op_sel_hi:[0,1,0]
	s_delay_alu instid0(VALU_DEP_1) | instskip(SKIP_1) | instid1(VALU_DEP_2)
	v_mov_b32_e32 v71, v67
	v_pk_mul_f32 v[66:67], v[68:69], v[52:53] op_sel:[0,1]
	v_pk_add_f32 v[142:143], v[142:143], v[70:71] neg_lo:[0,1] neg_hi:[0,1]
	s_delay_alu instid0(VALU_DEP_2) | instskip(SKIP_1) | instid1(VALU_DEP_1)
	v_pk_fma_f32 v[70:71], v[68:69], v[50:51], v[66:67] op_sel:[0,0,1] op_sel_hi:[1,1,0] neg_lo:[0,0,1] neg_hi:[0,0,1]
	v_pk_fma_f32 v[66:67], v[68:69], v[50:51], v[66:67] op_sel:[0,0,1] op_sel_hi:[1,0,0]
	v_mov_b32_e32 v71, v67
	ds_load_2addr_b64 v[66:69], v196 offset0:35 offset1:36
	v_pk_add_f32 v[144:145], v[144:145], v[70:71] neg_lo:[0,1] neg_hi:[0,1]
	s_wait_dscnt 0x0
	v_pk_mul_f32 v[70:71], v[66:67], v[52:53] op_sel:[0,1]
	s_delay_alu instid0(VALU_DEP_1) | instskip(SKIP_1) | instid1(VALU_DEP_1)
	v_pk_fma_f32 v[72:73], v[66:67], v[50:51], v[70:71] op_sel:[0,0,1] op_sel_hi:[1,1,0] neg_lo:[0,0,1] neg_hi:[0,0,1]
	v_pk_fma_f32 v[66:67], v[66:67], v[50:51], v[70:71] op_sel:[0,0,1] op_sel_hi:[1,0,0]
	v_mov_b32_e32 v73, v67
	v_pk_mul_f32 v[66:67], v[68:69], v[52:53] op_sel:[0,1]
	s_delay_alu instid0(VALU_DEP_2) | instskip(NEXT) | instid1(VALU_DEP_2)
	v_pk_add_f32 v[140:141], v[140:141], v[72:73] neg_lo:[0,1] neg_hi:[0,1]
	v_pk_fma_f32 v[70:71], v[68:69], v[50:51], v[66:67] op_sel:[0,0,1] op_sel_hi:[1,1,0] neg_lo:[0,0,1] neg_hi:[0,0,1]
	v_pk_fma_f32 v[66:67], v[68:69], v[50:51], v[66:67] op_sel:[0,0,1] op_sel_hi:[1,0,0]
	s_delay_alu instid0(VALU_DEP_1) | instskip(SKIP_4) | instid1(VALU_DEP_1)
	v_mov_b32_e32 v71, v67
	ds_load_2addr_b64 v[66:69], v196 offset0:37 offset1:38
	v_pk_add_f32 v[162:163], v[162:163], v[70:71] neg_lo:[0,1] neg_hi:[0,1]
	s_wait_dscnt 0x0
	v_pk_mul_f32 v[70:71], v[66:67], v[52:53] op_sel:[0,1]
	v_pk_fma_f32 v[72:73], v[66:67], v[50:51], v[70:71] op_sel:[0,0,1] op_sel_hi:[1,1,0] neg_lo:[0,0,1] neg_hi:[0,0,1]
	v_pk_fma_f32 v[66:67], v[66:67], v[50:51], v[70:71] op_sel:[0,0,1] op_sel_hi:[1,0,0]
	v_dual_mul_f32 v70, v69, v53 :: v_dual_mov_b32 v66, v69
	s_delay_alu instid0(VALU_DEP_2) | instskip(NEXT) | instid1(VALU_DEP_2)
	v_dual_mov_b32 v73, v67 :: v_dual_mov_b32 v67, v68
	v_pk_fma_f32 v[70:71], v[68:69], v[114:115], v[70:71] op_sel_hi:[1,1,0] neg_lo:[0,0,1] neg_hi:[0,0,1]
	v_mul_f32_e32 v68, v69, v50
	s_delay_alu instid0(VALU_DEP_3) | instskip(NEXT) | instid1(VALU_DEP_2)
	v_pk_add_f32 v[158:159], v[158:159], v[72:73] neg_lo:[0,1] neg_hi:[0,1]
	v_pk_fma_f32 v[66:67], v[66:67], v[114:115], v[68:69] op_sel_hi:[1,1,0]
	s_delay_alu instid0(VALU_DEP_1) | instskip(SKIP_4) | instid1(VALU_DEP_1)
	v_mov_b32_e32 v71, v67
	ds_load_2addr_b64 v[66:69], v196 offset0:39 offset1:40
	v_pk_add_f32 v[160:161], v[160:161], v[70:71] neg_lo:[0,1] neg_hi:[0,1]
	s_wait_dscnt 0x0
	v_pk_mul_f32 v[70:71], v[66:67], v[52:53] op_sel:[0,1]
	v_pk_fma_f32 v[72:73], v[66:67], v[50:51], v[70:71] op_sel:[0,0,1] op_sel_hi:[1,1,0] neg_lo:[0,0,1] neg_hi:[0,0,1]
	v_pk_fma_f32 v[66:67], v[66:67], v[50:51], v[70:71] op_sel:[0,0,1] op_sel_hi:[1,0,0]
	s_delay_alu instid0(VALU_DEP_1) | instskip(SKIP_1) | instid1(VALU_DEP_1)
	v_mov_b32_e32 v73, v67
	v_pk_mul_f32 v[66:67], v[68:69], v[52:53] op_sel:[0,1]
	v_pk_fma_f32 v[70:71], v[68:69], v[50:51], v[66:67] op_sel:[0,0,1] op_sel_hi:[1,1,0] neg_lo:[0,0,1] neg_hi:[0,0,1]
	v_pk_fma_f32 v[66:67], v[68:69], v[50:51], v[66:67] op_sel:[0,0,1] op_sel_hi:[1,0,0]
	s_delay_alu instid0(VALU_DEP_1)
	v_mov_b32_e32 v71, v67
	ds_load_2addr_b64 v[66:69], v196 offset0:41 offset1:42
	v_pk_add_f32 v[156:157], v[156:157], v[72:73] neg_lo:[0,1] neg_hi:[0,1]
	v_pk_add_f32 v[178:179], v[178:179], v[70:71] neg_lo:[0,1] neg_hi:[0,1]
	s_wait_dscnt 0x0
	v_pk_mul_f32 v[70:71], v[66:67], v[52:53] op_sel:[0,1]
	s_delay_alu instid0(VALU_DEP_1) | instskip(SKIP_1) | instid1(VALU_DEP_1)
	v_pk_fma_f32 v[72:73], v[66:67], v[50:51], v[70:71] op_sel:[0,0,1] op_sel_hi:[1,1,0] neg_lo:[0,0,1] neg_hi:[0,0,1]
	v_pk_fma_f32 v[66:67], v[66:67], v[50:51], v[70:71] op_sel:[0,0,1] op_sel_hi:[1,0,0]
	v_mov_b32_e32 v73, v67
	v_pk_mul_f32 v[66:67], v[68:69], v[52:53] op_sel:[0,1]
	s_delay_alu instid0(VALU_DEP_1) | instskip(SKIP_1) | instid1(VALU_DEP_1)
	v_pk_fma_f32 v[70:71], v[68:69], v[50:51], v[66:67] op_sel:[0,0,1] op_sel_hi:[1,1,0] neg_lo:[0,0,1] neg_hi:[0,0,1]
	v_pk_fma_f32 v[66:67], v[68:69], v[50:51], v[66:67] op_sel:[0,0,1] op_sel_hi:[1,0,0]
	v_mov_b32_e32 v71, v67
	ds_load_2addr_b64 v[66:69], v196 offset0:43 offset1:44
	v_pk_add_f32 v[174:175], v[174:175], v[72:73] neg_lo:[0,1] neg_hi:[0,1]
	v_pk_add_f32 v[176:177], v[176:177], v[70:71] neg_lo:[0,1] neg_hi:[0,1]
	s_wait_dscnt 0x0
	v_dual_mul_f32 v70, v67, v53 :: v_dual_mul_f32 v72, v67, v50
	s_delay_alu instid0(VALU_DEP_1) | instskip(NEXT) | instid1(VALU_DEP_2)
	v_pk_fma_f32 v[70:71], v[66:67], v[114:115], v[70:71] op_sel_hi:[1,1,0] neg_lo:[0,0,1] neg_hi:[0,0,1]
	v_pk_fma_f32 v[66:67], v[66:67], v[114:115], v[72:73] op_sel:[1,0,0] op_sel_hi:[0,1,0]
	s_delay_alu instid0(VALU_DEP_1) | instskip(SKIP_1) | instid1(VALU_DEP_2)
	v_mov_b32_e32 v71, v67
	v_pk_mul_f32 v[66:67], v[68:69], v[52:53] op_sel:[0,1]
	v_pk_add_f32 v[172:173], v[172:173], v[70:71] neg_lo:[0,1] neg_hi:[0,1]
	s_delay_alu instid0(VALU_DEP_2) | instskip(SKIP_1) | instid1(VALU_DEP_1)
	v_pk_fma_f32 v[70:71], v[68:69], v[50:51], v[66:67] op_sel:[0,0,1] op_sel_hi:[1,1,0] neg_lo:[0,0,1] neg_hi:[0,0,1]
	v_pk_fma_f32 v[66:67], v[68:69], v[50:51], v[66:67] op_sel:[0,0,1] op_sel_hi:[1,0,0]
	v_mov_b32_e32 v71, v67
	ds_load_2addr_b64 v[66:69], v196 offset0:45 offset1:46
	v_pk_add_f32 v[194:195], v[194:195], v[70:71] neg_lo:[0,1] neg_hi:[0,1]
	s_wait_dscnt 0x0
	v_pk_mul_f32 v[70:71], v[66:67], v[52:53] op_sel:[0,1]
	s_delay_alu instid0(VALU_DEP_1) | instskip(SKIP_1) | instid1(VALU_DEP_1)
	v_pk_fma_f32 v[72:73], v[66:67], v[50:51], v[70:71] op_sel:[0,0,1] op_sel_hi:[1,1,0] neg_lo:[0,0,1] neg_hi:[0,0,1]
	v_pk_fma_f32 v[66:67], v[66:67], v[50:51], v[70:71] op_sel:[0,0,1] op_sel_hi:[1,0,0]
	v_mov_b32_e32 v73, v67
	v_pk_mul_f32 v[66:67], v[68:69], v[52:53] op_sel:[0,1]
	s_delay_alu instid0(VALU_DEP_2) | instskip(NEXT) | instid1(VALU_DEP_2)
	v_pk_add_f32 v[190:191], v[190:191], v[72:73] neg_lo:[0,1] neg_hi:[0,1]
	v_pk_fma_f32 v[70:71], v[68:69], v[50:51], v[66:67] op_sel:[0,0,1] op_sel_hi:[1,1,0] neg_lo:[0,0,1] neg_hi:[0,0,1]
	v_pk_fma_f32 v[66:67], v[68:69], v[50:51], v[66:67] op_sel:[0,0,1] op_sel_hi:[1,0,0]
	s_delay_alu instid0(VALU_DEP_1) | instskip(SKIP_4) | instid1(VALU_DEP_1)
	v_mov_b32_e32 v71, v67
	ds_load_2addr_b64 v[66:69], v196 offset0:47 offset1:48
	v_pk_add_f32 v[192:193], v[192:193], v[70:71] neg_lo:[0,1] neg_hi:[0,1]
	s_wait_dscnt 0x0
	v_pk_mul_f32 v[70:71], v[66:67], v[52:53] op_sel:[0,1]
	v_pk_fma_f32 v[72:73], v[66:67], v[50:51], v[70:71] op_sel:[0,0,1] op_sel_hi:[1,1,0] neg_lo:[0,0,1] neg_hi:[0,0,1]
	v_pk_fma_f32 v[66:67], v[66:67], v[50:51], v[70:71] op_sel:[0,0,1] op_sel_hi:[1,0,0]
	v_dual_mul_f32 v70, v69, v53 :: v_dual_mov_b32 v66, v69
	s_delay_alu instid0(VALU_DEP_2) | instskip(NEXT) | instid1(VALU_DEP_2)
	v_dual_mov_b32 v73, v67 :: v_dual_mov_b32 v67, v68
	v_pk_fma_f32 v[70:71], v[68:69], v[114:115], v[70:71] op_sel_hi:[1,1,0] neg_lo:[0,0,1] neg_hi:[0,0,1]
	v_mul_f32_e32 v68, v69, v50
	s_delay_alu instid0(VALU_DEP_3) | instskip(NEXT) | instid1(VALU_DEP_2)
	v_pk_add_f32 v[188:189], v[188:189], v[72:73] neg_lo:[0,1] neg_hi:[0,1]
	v_pk_fma_f32 v[66:67], v[66:67], v[114:115], v[68:69] op_sel_hi:[1,1,0]
	s_delay_alu instid0(VALU_DEP_1) | instskip(SKIP_4) | instid1(VALU_DEP_1)
	v_mov_b32_e32 v71, v67
	ds_load_2addr_b64 v[66:69], v196 offset0:49 offset1:50
	v_pk_add_f32 v[212:213], v[212:213], v[70:71] neg_lo:[0,1] neg_hi:[0,1]
	s_wait_dscnt 0x0
	v_pk_mul_f32 v[70:71], v[66:67], v[52:53] op_sel:[0,1]
	v_pk_fma_f32 v[72:73], v[66:67], v[50:51], v[70:71] op_sel:[0,0,1] op_sel_hi:[1,1,0] neg_lo:[0,0,1] neg_hi:[0,0,1]
	v_pk_fma_f32 v[66:67], v[66:67], v[50:51], v[70:71] op_sel:[0,0,1] op_sel_hi:[1,0,0]
	s_delay_alu instid0(VALU_DEP_1) | instskip(SKIP_1) | instid1(VALU_DEP_1)
	v_mov_b32_e32 v73, v67
	v_pk_mul_f32 v[66:67], v[68:69], v[52:53] op_sel:[0,1]
	v_pk_fma_f32 v[70:71], v[68:69], v[50:51], v[66:67] op_sel:[0,0,1] op_sel_hi:[1,1,0] neg_lo:[0,0,1] neg_hi:[0,0,1]
	v_pk_fma_f32 v[66:67], v[68:69], v[50:51], v[66:67] op_sel:[0,0,1] op_sel_hi:[1,0,0]
	s_delay_alu instid0(VALU_DEP_1)
	v_mov_b32_e32 v71, v67
	ds_load_2addr_b64 v[66:69], v196 offset0:51 offset1:52
	v_pk_add_f32 v[208:209], v[208:209], v[72:73] neg_lo:[0,1] neg_hi:[0,1]
	v_pk_add_f32 v[210:211], v[210:211], v[70:71] neg_lo:[0,1] neg_hi:[0,1]
	s_wait_dscnt 0x0
	v_pk_mul_f32 v[70:71], v[66:67], v[52:53] op_sel:[0,1]
	s_delay_alu instid0(VALU_DEP_1) | instskip(SKIP_1) | instid1(VALU_DEP_1)
	v_pk_fma_f32 v[72:73], v[66:67], v[50:51], v[70:71] op_sel:[0,0,1] op_sel_hi:[1,1,0] neg_lo:[0,0,1] neg_hi:[0,0,1]
	v_pk_fma_f32 v[66:67], v[66:67], v[50:51], v[70:71] op_sel:[0,0,1] op_sel_hi:[1,0,0]
	v_mov_b32_e32 v73, v67
	v_pk_mul_f32 v[66:67], v[68:69], v[52:53] op_sel:[0,1]
	s_delay_alu instid0(VALU_DEP_1) | instskip(SKIP_1) | instid1(VALU_DEP_1)
	v_pk_fma_f32 v[70:71], v[68:69], v[50:51], v[66:67] op_sel:[0,0,1] op_sel_hi:[1,1,0] neg_lo:[0,0,1] neg_hi:[0,0,1]
	v_pk_fma_f32 v[66:67], v[68:69], v[50:51], v[66:67] op_sel:[0,0,1] op_sel_hi:[1,0,0]
	v_mov_b32_e32 v71, v67
	ds_load_2addr_b64 v[66:69], v196 offset0:53 offset1:54
	v_pk_add_f32 v[206:207], v[206:207], v[72:73] neg_lo:[0,1] neg_hi:[0,1]
	v_pk_add_f32 v[228:229], v[228:229], v[70:71] neg_lo:[0,1] neg_hi:[0,1]
	s_wait_dscnt 0x0
	v_dual_mul_f32 v70, v67, v53 :: v_dual_mul_f32 v72, v67, v50
	s_delay_alu instid0(VALU_DEP_1) | instskip(NEXT) | instid1(VALU_DEP_2)
	v_pk_fma_f32 v[70:71], v[66:67], v[114:115], v[70:71] op_sel_hi:[1,1,0] neg_lo:[0,0,1] neg_hi:[0,0,1]
	v_pk_fma_f32 v[66:67], v[66:67], v[114:115], v[72:73] op_sel:[1,0,0] op_sel_hi:[0,1,0]
	s_delay_alu instid0(VALU_DEP_1) | instskip(SKIP_1) | instid1(VALU_DEP_2)
	v_mov_b32_e32 v71, v67
	v_pk_mul_f32 v[66:67], v[68:69], v[52:53] op_sel:[0,1]
	v_pk_add_f32 v[224:225], v[224:225], v[70:71] neg_lo:[0,1] neg_hi:[0,1]
	s_delay_alu instid0(VALU_DEP_2) | instskip(SKIP_1) | instid1(VALU_DEP_1)
	v_pk_fma_f32 v[70:71], v[68:69], v[50:51], v[66:67] op_sel:[0,0,1] op_sel_hi:[1,1,0] neg_lo:[0,0,1] neg_hi:[0,0,1]
	v_pk_fma_f32 v[66:67], v[68:69], v[50:51], v[66:67] op_sel:[0,0,1] op_sel_hi:[1,0,0]
	v_mov_b32_e32 v71, v67
	ds_load_2addr_b64 v[66:69], v196 offset0:55 offset1:56
	v_pk_add_f32 v[226:227], v[226:227], v[70:71] neg_lo:[0,1] neg_hi:[0,1]
	s_wait_dscnt 0x0
	v_pk_mul_f32 v[70:71], v[66:67], v[52:53] op_sel:[0,1]
	s_delay_alu instid0(VALU_DEP_1) | instskip(SKIP_1) | instid1(VALU_DEP_1)
	v_pk_fma_f32 v[72:73], v[66:67], v[50:51], v[70:71] op_sel:[0,0,1] op_sel_hi:[1,1,0] neg_lo:[0,0,1] neg_hi:[0,0,1]
	v_pk_fma_f32 v[66:67], v[66:67], v[50:51], v[70:71] op_sel:[0,0,1] op_sel_hi:[1,0,0]
	v_mov_b32_e32 v73, v67
	v_pk_mul_f32 v[66:67], v[68:69], v[52:53] op_sel:[0,1]
	s_delay_alu instid0(VALU_DEP_2) | instskip(NEXT) | instid1(VALU_DEP_2)
	v_pk_add_f32 v[222:223], v[222:223], v[72:73] neg_lo:[0,1] neg_hi:[0,1]
	v_pk_fma_f32 v[70:71], v[68:69], v[50:51], v[66:67] op_sel:[0,0,1] op_sel_hi:[1,1,0] neg_lo:[0,0,1] neg_hi:[0,0,1]
	v_pk_fma_f32 v[66:67], v[68:69], v[50:51], v[66:67] op_sel:[0,0,1] op_sel_hi:[1,0,0]
	s_delay_alu instid0(VALU_DEP_1) | instskip(SKIP_4) | instid1(VALU_DEP_1)
	v_mov_b32_e32 v71, v67
	ds_load_b64 v[66:67], v196 offset:456
	v_pk_add_f32 v[230:231], v[230:231], v[70:71] neg_lo:[0,1] neg_hi:[0,1]
	s_wait_dscnt 0x0
	v_pk_mul_f32 v[52:53], v[66:67], v[52:53] op_sel:[0,1]
	v_pk_fma_f32 v[68:69], v[66:67], v[50:51], v[52:53] op_sel:[0,0,1] op_sel_hi:[1,1,0] neg_lo:[0,0,1] neg_hi:[0,0,1]
	v_pk_fma_f32 v[50:51], v[66:67], v[50:51], v[52:53] op_sel:[0,0,1] op_sel_hi:[1,0,0]
	s_delay_alu instid0(VALU_DEP_1) | instskip(NEXT) | instid1(VALU_DEP_1)
	v_mov_b32_e32 v69, v51
	v_pk_add_f32 v[232:233], v[232:233], v[68:69] neg_lo:[0,1] neg_hi:[0,1]
.LBB115_226:
	s_or_b32 exec_lo, exec_lo, s1
	s_delay_alu instid0(SALU_CYCLE_1)
	s_mov_b32 s2, exec_lo
	s_wait_dscnt 0x0
	s_barrier_signal -1
	s_barrier_wait -1
	v_cmpx_eq_u32_e32 25, v186
	s_cbranch_execz .LBB115_233
; %bb.227:
	v_dual_mov_b32 v50, v112 :: v_dual_mov_b32 v51, v113
	v_dual_mov_b32 v52, v108 :: v_dual_mov_b32 v53, v109
	ds_store_b64 v187, v[110:111]
	ds_store_2addr_b64 v196, v[50:51], v[52:53] offset0:26 offset1:27
	v_dual_mov_b32 v50, v130 :: v_dual_mov_b32 v51, v131
	v_dual_mov_b32 v52, v126 :: v_dual_mov_b32 v53, v127
	ds_store_2addr_b64 v196, v[50:51], v[52:53] offset0:28 offset1:29
	v_dual_mov_b32 v50, v128 :: v_dual_mov_b32 v51, v129
	v_dual_mov_b32 v52, v124 :: v_dual_mov_b32 v53, v125
	;; [unrolled: 3-line block ×14, first 2 shown]
	ds_store_2addr_b64 v196, v[50:51], v[52:53] offset0:54 offset1:55
	v_dual_mov_b32 v50, v230 :: v_dual_mov_b32 v51, v231
	ds_store_2addr_b64 v196, v[50:51], v[232:233] offset0:56 offset1:57
	ds_load_b64 v[50:51], v187
	s_wait_dscnt 0x0
	v_cmp_neq_f32_e32 vcc_lo, 0, v50
	v_cmp_neq_f32_e64 s1, 0, v51
	s_or_b32 s1, vcc_lo, s1
	s_delay_alu instid0(SALU_CYCLE_1)
	s_and_b32 exec_lo, exec_lo, s1
	s_cbranch_execz .LBB115_233
; %bb.228:
	v_cmp_ngt_f32_e64 s1, |v50|, |v51|
                                        ; implicit-def: $vgpr52_vgpr53
	s_and_saveexec_b32 s4, s1
	s_delay_alu instid0(SALU_CYCLE_1)
	s_xor_b32 s1, exec_lo, s4
	s_cbranch_execz .LBB115_230
; %bb.229:
	v_div_scale_f32 v52, null, v51, v51, v50
	v_div_scale_f32 v67, vcc_lo, v50, v51, v50
	s_delay_alu instid0(VALU_DEP_2) | instskip(SKIP_1) | instid1(TRANS32_DEP_1)
	v_rcp_f32_e32 v53, v52
	v_nop
	v_fma_f32 v66, -v52, v53, 1.0
	s_delay_alu instid0(VALU_DEP_1) | instskip(NEXT) | instid1(VALU_DEP_1)
	v_fmac_f32_e32 v53, v66, v53
	v_mul_f32_e32 v66, v67, v53
	s_delay_alu instid0(VALU_DEP_1) | instskip(NEXT) | instid1(VALU_DEP_1)
	v_fma_f32 v68, -v52, v66, v67
	v_fmac_f32_e32 v66, v68, v53
	s_delay_alu instid0(VALU_DEP_1) | instskip(NEXT) | instid1(VALU_DEP_1)
	v_fma_f32 v52, -v52, v66, v67
	v_div_fmas_f32 v52, v52, v53, v66
	s_delay_alu instid0(VALU_DEP_1) | instskip(NEXT) | instid1(VALU_DEP_1)
	v_div_fixup_f32 v52, v52, v51, v50
	v_fmac_f32_e32 v51, v50, v52
	s_delay_alu instid0(VALU_DEP_1) | instskip(SKIP_1) | instid1(VALU_DEP_2)
	v_div_scale_f32 v50, null, v51, v51, 1.0
	v_div_scale_f32 v67, vcc_lo, 1.0, v51, 1.0
	v_rcp_f32_e32 v53, v50
	v_nop
	s_delay_alu instid0(TRANS32_DEP_1) | instskip(NEXT) | instid1(VALU_DEP_1)
	v_fma_f32 v66, -v50, v53, 1.0
	v_fmac_f32_e32 v53, v66, v53
	s_delay_alu instid0(VALU_DEP_1) | instskip(NEXT) | instid1(VALU_DEP_1)
	v_mul_f32_e32 v66, v67, v53
	v_fma_f32 v68, -v50, v66, v67
	s_delay_alu instid0(VALU_DEP_1) | instskip(NEXT) | instid1(VALU_DEP_1)
	v_fmac_f32_e32 v66, v68, v53
	v_fma_f32 v50, -v50, v66, v67
	s_delay_alu instid0(VALU_DEP_1) | instskip(NEXT) | instid1(VALU_DEP_1)
	v_div_fmas_f32 v50, v50, v53, v66
	v_div_fixup_f32 v50, v50, v51, 1.0
	s_delay_alu instid0(VALU_DEP_1)
	v_mul_f32_e32 v52, v52, v50
	v_xor_b32_e32 v53, 0x80000000, v50
                                        ; implicit-def: $vgpr50_vgpr51
.LBB115_230:
	s_and_not1_saveexec_b32 s1, s1
	s_cbranch_execz .LBB115_232
; %bb.231:
	v_div_scale_f32 v52, null, v50, v50, v51
	v_div_scale_f32 v67, vcc_lo, v51, v50, v51
	s_delay_alu instid0(VALU_DEP_2) | instskip(SKIP_1) | instid1(TRANS32_DEP_1)
	v_rcp_f32_e32 v53, v52
	v_nop
	v_fma_f32 v66, -v52, v53, 1.0
	s_delay_alu instid0(VALU_DEP_1) | instskip(NEXT) | instid1(VALU_DEP_1)
	v_fmac_f32_e32 v53, v66, v53
	v_mul_f32_e32 v66, v67, v53
	s_delay_alu instid0(VALU_DEP_1) | instskip(NEXT) | instid1(VALU_DEP_1)
	v_fma_f32 v68, -v52, v66, v67
	v_fmac_f32_e32 v66, v68, v53
	s_delay_alu instid0(VALU_DEP_1) | instskip(NEXT) | instid1(VALU_DEP_1)
	v_fma_f32 v52, -v52, v66, v67
	v_div_fmas_f32 v52, v52, v53, v66
	s_delay_alu instid0(VALU_DEP_1) | instskip(NEXT) | instid1(VALU_DEP_1)
	v_div_fixup_f32 v53, v52, v50, v51
	v_fmac_f32_e32 v50, v51, v53
	s_delay_alu instid0(VALU_DEP_1) | instskip(NEXT) | instid1(VALU_DEP_1)
	v_div_scale_f32 v51, null, v50, v50, 1.0
	v_rcp_f32_e32 v52, v51
	v_nop
	s_delay_alu instid0(TRANS32_DEP_1) | instskip(NEXT) | instid1(VALU_DEP_1)
	v_fma_f32 v66, -v51, v52, 1.0
	v_fmac_f32_e32 v52, v66, v52
	v_div_scale_f32 v66, vcc_lo, 1.0, v50, 1.0
	s_delay_alu instid0(VALU_DEP_1) | instskip(NEXT) | instid1(VALU_DEP_1)
	v_mul_f32_e32 v67, v66, v52
	v_fma_f32 v68, -v51, v67, v66
	s_delay_alu instid0(VALU_DEP_1) | instskip(NEXT) | instid1(VALU_DEP_1)
	v_fmac_f32_e32 v67, v68, v52
	v_fma_f32 v51, -v51, v67, v66
	s_delay_alu instid0(VALU_DEP_1) | instskip(NEXT) | instid1(VALU_DEP_1)
	v_div_fmas_f32 v51, v51, v52, v67
	v_div_fixup_f32 v52, v51, v50, 1.0
	s_delay_alu instid0(VALU_DEP_1)
	v_mul_f32_e64 v53, v53, -v52
.LBB115_232:
	s_or_b32 exec_lo, exec_lo, s1
	ds_store_b64 v187, v[52:53]
.LBB115_233:
	s_or_b32 exec_lo, exec_lo, s2
	s_wait_dscnt 0x0
	s_barrier_signal -1
	s_barrier_wait -1
	ds_load_b64 v[50:51], v187
	s_mov_b32 s1, exec_lo
	v_cmpx_lt_u32_e32 25, v186
	s_cbranch_execz .LBB115_235
; %bb.234:
	ds_load_2addr_b64 v[68:71], v196 offset0:26 offset1:27
	s_wait_dscnt 0x1
	v_pk_mul_f32 v[66:67], v[50:51], v[110:111] op_sel:[1,1] op_sel_hi:[0,1]
	s_delay_alu instid0(VALU_DEP_1) | instskip(SKIP_1) | instid1(VALU_DEP_1)
	v_pk_fma_f32 v[52:53], v[50:51], v[110:111], v[66:67] op_sel_hi:[1,0,1] neg_lo:[0,0,1] neg_hi:[0,0,1]
	v_pk_fma_f32 v[66:67], v[50:51], v[110:111], v[66:67] op_sel_hi:[1,0,1]
	v_dual_mov_b32 v110, v52 :: v_dual_mov_b32 v111, v67
	s_wait_dscnt 0x0
	s_delay_alu instid0(VALU_DEP_2) | instskip(NEXT) | instid1(VALU_DEP_1)
	v_pk_mul_f32 v[72:73], v[68:69], v[66:67] op_sel:[0,1]
	v_pk_fma_f32 v[84:85], v[68:69], v[52:53], v[72:73] op_sel:[0,0,1] op_sel_hi:[1,1,0] neg_lo:[0,0,1] neg_hi:[0,0,1]
	v_pk_fma_f32 v[68:69], v[68:69], v[52:53], v[72:73] op_sel:[0,0,1] op_sel_hi:[1,0,0]
	s_delay_alu instid0(VALU_DEP_1) | instskip(SKIP_1) | instid1(VALU_DEP_1)
	v_mov_b32_e32 v85, v69
	v_pk_mul_f32 v[68:69], v[70:71], v[66:67] op_sel:[0,1]
	v_pk_fma_f32 v[72:73], v[70:71], v[52:53], v[68:69] op_sel:[0,0,1] op_sel_hi:[1,1,0] neg_lo:[0,0,1] neg_hi:[0,0,1]
	v_pk_fma_f32 v[68:69], v[70:71], v[52:53], v[68:69] op_sel:[0,0,1] op_sel_hi:[1,0,0]
	s_delay_alu instid0(VALU_DEP_1)
	v_mov_b32_e32 v73, v69
	ds_load_2addr_b64 v[68:71], v196 offset0:28 offset1:29
	v_pk_add_f32 v[112:113], v[112:113], v[84:85] neg_lo:[0,1] neg_hi:[0,1]
	v_pk_add_f32 v[108:109], v[108:109], v[72:73] neg_lo:[0,1] neg_hi:[0,1]
	s_wait_dscnt 0x0
	v_pk_mul_f32 v[72:73], v[68:69], v[66:67] op_sel:[0,1]
	s_delay_alu instid0(VALU_DEP_1) | instskip(SKIP_2) | instid1(VALU_DEP_2)
	v_pk_fma_f32 v[84:85], v[68:69], v[52:53], v[72:73] op_sel:[0,0,1] op_sel_hi:[1,1,0] neg_lo:[0,0,1] neg_hi:[0,0,1]
	v_pk_fma_f32 v[68:69], v[68:69], v[52:53], v[72:73] op_sel:[0,0,1] op_sel_hi:[1,0,0]
	v_dual_mul_f32 v72, v71, v67 :: v_dual_mov_b32 v68, v71
	v_dual_mov_b32 v85, v69 :: v_dual_mov_b32 v69, v70
	s_delay_alu instid0(VALU_DEP_2) | instskip(SKIP_1) | instid1(VALU_DEP_3)
	v_pk_fma_f32 v[72:73], v[70:71], v[110:111], v[72:73] op_sel_hi:[1,1,0] neg_lo:[0,0,1] neg_hi:[0,0,1]
	v_mul_f32_e32 v70, v71, v52
	v_pk_add_f32 v[130:131], v[130:131], v[84:85] neg_lo:[0,1] neg_hi:[0,1]
	s_delay_alu instid0(VALU_DEP_2) | instskip(NEXT) | instid1(VALU_DEP_1)
	v_pk_fma_f32 v[68:69], v[68:69], v[110:111], v[70:71] op_sel_hi:[1,1,0]
	v_mov_b32_e32 v73, v69
	ds_load_2addr_b64 v[68:71], v196 offset0:30 offset1:31
	v_pk_add_f32 v[126:127], v[126:127], v[72:73] neg_lo:[0,1] neg_hi:[0,1]
	s_wait_dscnt 0x0
	v_pk_mul_f32 v[72:73], v[68:69], v[66:67] op_sel:[0,1]
	s_delay_alu instid0(VALU_DEP_1) | instskip(SKIP_1) | instid1(VALU_DEP_1)
	v_pk_fma_f32 v[84:85], v[68:69], v[52:53], v[72:73] op_sel:[0,0,1] op_sel_hi:[1,1,0] neg_lo:[0,0,1] neg_hi:[0,0,1]
	v_pk_fma_f32 v[68:69], v[68:69], v[52:53], v[72:73] op_sel:[0,0,1] op_sel_hi:[1,0,0]
	v_mov_b32_e32 v85, v69
	v_pk_mul_f32 v[68:69], v[70:71], v[66:67] op_sel:[0,1]
	s_delay_alu instid0(VALU_DEP_1) | instskip(SKIP_1) | instid1(VALU_DEP_1)
	v_pk_fma_f32 v[72:73], v[70:71], v[52:53], v[68:69] op_sel:[0,0,1] op_sel_hi:[1,1,0] neg_lo:[0,0,1] neg_hi:[0,0,1]
	v_pk_fma_f32 v[68:69], v[70:71], v[52:53], v[68:69] op_sel:[0,0,1] op_sel_hi:[1,0,0]
	v_mov_b32_e32 v73, v69
	ds_load_2addr_b64 v[68:71], v196 offset0:32 offset1:33
	v_pk_add_f32 v[128:129], v[128:129], v[84:85] neg_lo:[0,1] neg_hi:[0,1]
	v_pk_add_f32 v[124:125], v[124:125], v[72:73] neg_lo:[0,1] neg_hi:[0,1]
	s_wait_dscnt 0x0
	v_pk_mul_f32 v[72:73], v[68:69], v[66:67] op_sel:[0,1]
	s_delay_alu instid0(VALU_DEP_1) | instskip(SKIP_1) | instid1(VALU_DEP_1)
	v_pk_fma_f32 v[84:85], v[68:69], v[52:53], v[72:73] op_sel:[0,0,1] op_sel_hi:[1,1,0] neg_lo:[0,0,1] neg_hi:[0,0,1]
	v_pk_fma_f32 v[68:69], v[68:69], v[52:53], v[72:73] op_sel:[0,0,1] op_sel_hi:[1,0,0]
	v_mov_b32_e32 v85, v69
	v_pk_mul_f32 v[68:69], v[70:71], v[66:67] op_sel:[0,1]
	s_delay_alu instid0(VALU_DEP_1) | instskip(SKIP_1) | instid1(VALU_DEP_1)
	v_pk_fma_f32 v[72:73], v[70:71], v[52:53], v[68:69] op_sel:[0,0,1] op_sel_hi:[1,1,0] neg_lo:[0,0,1] neg_hi:[0,0,1]
	v_pk_fma_f32 v[68:69], v[70:71], v[52:53], v[68:69] op_sel:[0,0,1] op_sel_hi:[1,0,0]
	v_mov_b32_e32 v73, v69
	ds_load_2addr_b64 v[68:71], v196 offset0:34 offset1:35
	v_pk_add_f32 v[146:147], v[146:147], v[84:85] neg_lo:[0,1] neg_hi:[0,1]
	v_pk_add_f32 v[142:143], v[142:143], v[72:73] neg_lo:[0,1] neg_hi:[0,1]
	s_wait_dscnt 0x0
	v_dual_mul_f32 v72, v69, v67 :: v_dual_mul_f32 v84, v69, v52
	s_delay_alu instid0(VALU_DEP_1) | instskip(NEXT) | instid1(VALU_DEP_2)
	v_pk_fma_f32 v[72:73], v[68:69], v[110:111], v[72:73] op_sel_hi:[1,1,0] neg_lo:[0,0,1] neg_hi:[0,0,1]
	v_pk_fma_f32 v[68:69], v[68:69], v[110:111], v[84:85] op_sel:[1,0,0] op_sel_hi:[0,1,0]
	s_delay_alu instid0(VALU_DEP_1) | instskip(SKIP_1) | instid1(VALU_DEP_2)
	v_mov_b32_e32 v73, v69
	v_pk_mul_f32 v[68:69], v[70:71], v[66:67] op_sel:[0,1]
	v_pk_add_f32 v[144:145], v[144:145], v[72:73] neg_lo:[0,1] neg_hi:[0,1]
	s_delay_alu instid0(VALU_DEP_2) | instskip(SKIP_1) | instid1(VALU_DEP_1)
	v_pk_fma_f32 v[72:73], v[70:71], v[52:53], v[68:69] op_sel:[0,0,1] op_sel_hi:[1,1,0] neg_lo:[0,0,1] neg_hi:[0,0,1]
	v_pk_fma_f32 v[68:69], v[70:71], v[52:53], v[68:69] op_sel:[0,0,1] op_sel_hi:[1,0,0]
	v_mov_b32_e32 v73, v69
	ds_load_2addr_b64 v[68:71], v196 offset0:36 offset1:37
	v_pk_add_f32 v[140:141], v[140:141], v[72:73] neg_lo:[0,1] neg_hi:[0,1]
	s_wait_dscnt 0x0
	v_pk_mul_f32 v[72:73], v[68:69], v[66:67] op_sel:[0,1]
	s_delay_alu instid0(VALU_DEP_1) | instskip(SKIP_1) | instid1(VALU_DEP_1)
	v_pk_fma_f32 v[84:85], v[68:69], v[52:53], v[72:73] op_sel:[0,0,1] op_sel_hi:[1,1,0] neg_lo:[0,0,1] neg_hi:[0,0,1]
	v_pk_fma_f32 v[68:69], v[68:69], v[52:53], v[72:73] op_sel:[0,0,1] op_sel_hi:[1,0,0]
	v_mov_b32_e32 v85, v69
	v_pk_mul_f32 v[68:69], v[70:71], v[66:67] op_sel:[0,1]
	s_delay_alu instid0(VALU_DEP_2) | instskip(NEXT) | instid1(VALU_DEP_2)
	v_pk_add_f32 v[162:163], v[162:163], v[84:85] neg_lo:[0,1] neg_hi:[0,1]
	v_pk_fma_f32 v[72:73], v[70:71], v[52:53], v[68:69] op_sel:[0,0,1] op_sel_hi:[1,1,0] neg_lo:[0,0,1] neg_hi:[0,0,1]
	v_pk_fma_f32 v[68:69], v[70:71], v[52:53], v[68:69] op_sel:[0,0,1] op_sel_hi:[1,0,0]
	s_delay_alu instid0(VALU_DEP_1) | instskip(SKIP_4) | instid1(VALU_DEP_1)
	v_mov_b32_e32 v73, v69
	ds_load_2addr_b64 v[68:71], v196 offset0:38 offset1:39
	v_pk_add_f32 v[158:159], v[158:159], v[72:73] neg_lo:[0,1] neg_hi:[0,1]
	s_wait_dscnt 0x0
	v_pk_mul_f32 v[72:73], v[68:69], v[66:67] op_sel:[0,1]
	v_pk_fma_f32 v[84:85], v[68:69], v[52:53], v[72:73] op_sel:[0,0,1] op_sel_hi:[1,1,0] neg_lo:[0,0,1] neg_hi:[0,0,1]
	v_pk_fma_f32 v[68:69], v[68:69], v[52:53], v[72:73] op_sel:[0,0,1] op_sel_hi:[1,0,0]
	v_dual_mul_f32 v72, v71, v67 :: v_dual_mov_b32 v68, v71
	s_delay_alu instid0(VALU_DEP_2) | instskip(NEXT) | instid1(VALU_DEP_2)
	v_dual_mov_b32 v85, v69 :: v_dual_mov_b32 v69, v70
	v_pk_fma_f32 v[72:73], v[70:71], v[110:111], v[72:73] op_sel_hi:[1,1,0] neg_lo:[0,0,1] neg_hi:[0,0,1]
	v_mul_f32_e32 v70, v71, v52
	s_delay_alu instid0(VALU_DEP_3) | instskip(NEXT) | instid1(VALU_DEP_2)
	v_pk_add_f32 v[160:161], v[160:161], v[84:85] neg_lo:[0,1] neg_hi:[0,1]
	v_pk_fma_f32 v[68:69], v[68:69], v[110:111], v[70:71] op_sel_hi:[1,1,0]
	s_delay_alu instid0(VALU_DEP_1) | instskip(SKIP_4) | instid1(VALU_DEP_1)
	v_mov_b32_e32 v73, v69
	ds_load_2addr_b64 v[68:71], v196 offset0:40 offset1:41
	v_pk_add_f32 v[156:157], v[156:157], v[72:73] neg_lo:[0,1] neg_hi:[0,1]
	s_wait_dscnt 0x0
	v_pk_mul_f32 v[72:73], v[68:69], v[66:67] op_sel:[0,1]
	v_pk_fma_f32 v[84:85], v[68:69], v[52:53], v[72:73] op_sel:[0,0,1] op_sel_hi:[1,1,0] neg_lo:[0,0,1] neg_hi:[0,0,1]
	v_pk_fma_f32 v[68:69], v[68:69], v[52:53], v[72:73] op_sel:[0,0,1] op_sel_hi:[1,0,0]
	s_delay_alu instid0(VALU_DEP_1) | instskip(SKIP_1) | instid1(VALU_DEP_1)
	v_mov_b32_e32 v85, v69
	v_pk_mul_f32 v[68:69], v[70:71], v[66:67] op_sel:[0,1]
	v_pk_fma_f32 v[72:73], v[70:71], v[52:53], v[68:69] op_sel:[0,0,1] op_sel_hi:[1,1,0] neg_lo:[0,0,1] neg_hi:[0,0,1]
	v_pk_fma_f32 v[68:69], v[70:71], v[52:53], v[68:69] op_sel:[0,0,1] op_sel_hi:[1,0,0]
	s_delay_alu instid0(VALU_DEP_1)
	v_mov_b32_e32 v73, v69
	ds_load_2addr_b64 v[68:71], v196 offset0:42 offset1:43
	v_pk_add_f32 v[178:179], v[178:179], v[84:85] neg_lo:[0,1] neg_hi:[0,1]
	v_pk_add_f32 v[174:175], v[174:175], v[72:73] neg_lo:[0,1] neg_hi:[0,1]
	s_wait_dscnt 0x0
	v_pk_mul_f32 v[72:73], v[68:69], v[66:67] op_sel:[0,1]
	s_delay_alu instid0(VALU_DEP_1) | instskip(SKIP_1) | instid1(VALU_DEP_1)
	v_pk_fma_f32 v[84:85], v[68:69], v[52:53], v[72:73] op_sel:[0,0,1] op_sel_hi:[1,1,0] neg_lo:[0,0,1] neg_hi:[0,0,1]
	v_pk_fma_f32 v[68:69], v[68:69], v[52:53], v[72:73] op_sel:[0,0,1] op_sel_hi:[1,0,0]
	v_mov_b32_e32 v85, v69
	v_pk_mul_f32 v[68:69], v[70:71], v[66:67] op_sel:[0,1]
	s_delay_alu instid0(VALU_DEP_1) | instskip(SKIP_1) | instid1(VALU_DEP_1)
	v_pk_fma_f32 v[72:73], v[70:71], v[52:53], v[68:69] op_sel:[0,0,1] op_sel_hi:[1,1,0] neg_lo:[0,0,1] neg_hi:[0,0,1]
	v_pk_fma_f32 v[68:69], v[70:71], v[52:53], v[68:69] op_sel:[0,0,1] op_sel_hi:[1,0,0]
	v_mov_b32_e32 v73, v69
	ds_load_2addr_b64 v[68:71], v196 offset0:44 offset1:45
	v_pk_add_f32 v[176:177], v[176:177], v[84:85] neg_lo:[0,1] neg_hi:[0,1]
	v_pk_add_f32 v[172:173], v[172:173], v[72:73] neg_lo:[0,1] neg_hi:[0,1]
	s_wait_dscnt 0x0
	v_dual_mul_f32 v72, v69, v67 :: v_dual_mul_f32 v84, v69, v52
	s_delay_alu instid0(VALU_DEP_1) | instskip(NEXT) | instid1(VALU_DEP_2)
	v_pk_fma_f32 v[72:73], v[68:69], v[110:111], v[72:73] op_sel_hi:[1,1,0] neg_lo:[0,0,1] neg_hi:[0,0,1]
	v_pk_fma_f32 v[68:69], v[68:69], v[110:111], v[84:85] op_sel:[1,0,0] op_sel_hi:[0,1,0]
	s_delay_alu instid0(VALU_DEP_1) | instskip(SKIP_1) | instid1(VALU_DEP_2)
	v_mov_b32_e32 v73, v69
	v_pk_mul_f32 v[68:69], v[70:71], v[66:67] op_sel:[0,1]
	v_pk_add_f32 v[194:195], v[194:195], v[72:73] neg_lo:[0,1] neg_hi:[0,1]
	s_delay_alu instid0(VALU_DEP_2) | instskip(SKIP_1) | instid1(VALU_DEP_1)
	v_pk_fma_f32 v[72:73], v[70:71], v[52:53], v[68:69] op_sel:[0,0,1] op_sel_hi:[1,1,0] neg_lo:[0,0,1] neg_hi:[0,0,1]
	v_pk_fma_f32 v[68:69], v[70:71], v[52:53], v[68:69] op_sel:[0,0,1] op_sel_hi:[1,0,0]
	v_mov_b32_e32 v73, v69
	ds_load_2addr_b64 v[68:71], v196 offset0:46 offset1:47
	v_pk_add_f32 v[190:191], v[190:191], v[72:73] neg_lo:[0,1] neg_hi:[0,1]
	s_wait_dscnt 0x0
	v_pk_mul_f32 v[72:73], v[68:69], v[66:67] op_sel:[0,1]
	s_delay_alu instid0(VALU_DEP_1) | instskip(SKIP_1) | instid1(VALU_DEP_1)
	v_pk_fma_f32 v[84:85], v[68:69], v[52:53], v[72:73] op_sel:[0,0,1] op_sel_hi:[1,1,0] neg_lo:[0,0,1] neg_hi:[0,0,1]
	v_pk_fma_f32 v[68:69], v[68:69], v[52:53], v[72:73] op_sel:[0,0,1] op_sel_hi:[1,0,0]
	v_mov_b32_e32 v85, v69
	v_pk_mul_f32 v[68:69], v[70:71], v[66:67] op_sel:[0,1]
	s_delay_alu instid0(VALU_DEP_2) | instskip(NEXT) | instid1(VALU_DEP_2)
	v_pk_add_f32 v[192:193], v[192:193], v[84:85] neg_lo:[0,1] neg_hi:[0,1]
	v_pk_fma_f32 v[72:73], v[70:71], v[52:53], v[68:69] op_sel:[0,0,1] op_sel_hi:[1,1,0] neg_lo:[0,0,1] neg_hi:[0,0,1]
	v_pk_fma_f32 v[68:69], v[70:71], v[52:53], v[68:69] op_sel:[0,0,1] op_sel_hi:[1,0,0]
	s_delay_alu instid0(VALU_DEP_1) | instskip(SKIP_4) | instid1(VALU_DEP_1)
	v_mov_b32_e32 v73, v69
	ds_load_2addr_b64 v[68:71], v196 offset0:48 offset1:49
	v_pk_add_f32 v[188:189], v[188:189], v[72:73] neg_lo:[0,1] neg_hi:[0,1]
	s_wait_dscnt 0x0
	v_pk_mul_f32 v[72:73], v[68:69], v[66:67] op_sel:[0,1]
	v_pk_fma_f32 v[84:85], v[68:69], v[52:53], v[72:73] op_sel:[0,0,1] op_sel_hi:[1,1,0] neg_lo:[0,0,1] neg_hi:[0,0,1]
	v_pk_fma_f32 v[68:69], v[68:69], v[52:53], v[72:73] op_sel:[0,0,1] op_sel_hi:[1,0,0]
	v_dual_mul_f32 v72, v71, v67 :: v_dual_mov_b32 v68, v71
	s_delay_alu instid0(VALU_DEP_2) | instskip(NEXT) | instid1(VALU_DEP_2)
	v_dual_mov_b32 v85, v69 :: v_dual_mov_b32 v69, v70
	v_pk_fma_f32 v[72:73], v[70:71], v[110:111], v[72:73] op_sel_hi:[1,1,0] neg_lo:[0,0,1] neg_hi:[0,0,1]
	v_mul_f32_e32 v70, v71, v52
	s_delay_alu instid0(VALU_DEP_3) | instskip(NEXT) | instid1(VALU_DEP_2)
	v_pk_add_f32 v[212:213], v[212:213], v[84:85] neg_lo:[0,1] neg_hi:[0,1]
	v_pk_fma_f32 v[68:69], v[68:69], v[110:111], v[70:71] op_sel_hi:[1,1,0]
	s_delay_alu instid0(VALU_DEP_1) | instskip(SKIP_4) | instid1(VALU_DEP_1)
	v_mov_b32_e32 v73, v69
	ds_load_2addr_b64 v[68:71], v196 offset0:50 offset1:51
	v_pk_add_f32 v[208:209], v[208:209], v[72:73] neg_lo:[0,1] neg_hi:[0,1]
	s_wait_dscnt 0x0
	v_pk_mul_f32 v[72:73], v[68:69], v[66:67] op_sel:[0,1]
	v_pk_fma_f32 v[84:85], v[68:69], v[52:53], v[72:73] op_sel:[0,0,1] op_sel_hi:[1,1,0] neg_lo:[0,0,1] neg_hi:[0,0,1]
	v_pk_fma_f32 v[68:69], v[68:69], v[52:53], v[72:73] op_sel:[0,0,1] op_sel_hi:[1,0,0]
	s_delay_alu instid0(VALU_DEP_1) | instskip(SKIP_1) | instid1(VALU_DEP_1)
	v_mov_b32_e32 v85, v69
	v_pk_mul_f32 v[68:69], v[70:71], v[66:67] op_sel:[0,1]
	v_pk_fma_f32 v[72:73], v[70:71], v[52:53], v[68:69] op_sel:[0,0,1] op_sel_hi:[1,1,0] neg_lo:[0,0,1] neg_hi:[0,0,1]
	v_pk_fma_f32 v[68:69], v[70:71], v[52:53], v[68:69] op_sel:[0,0,1] op_sel_hi:[1,0,0]
	s_delay_alu instid0(VALU_DEP_1)
	v_mov_b32_e32 v73, v69
	ds_load_2addr_b64 v[68:71], v196 offset0:52 offset1:53
	v_pk_add_f32 v[210:211], v[210:211], v[84:85] neg_lo:[0,1] neg_hi:[0,1]
	v_pk_add_f32 v[206:207], v[206:207], v[72:73] neg_lo:[0,1] neg_hi:[0,1]
	s_wait_dscnt 0x0
	v_pk_mul_f32 v[72:73], v[68:69], v[66:67] op_sel:[0,1]
	s_delay_alu instid0(VALU_DEP_1) | instskip(SKIP_1) | instid1(VALU_DEP_1)
	v_pk_fma_f32 v[84:85], v[68:69], v[52:53], v[72:73] op_sel:[0,0,1] op_sel_hi:[1,1,0] neg_lo:[0,0,1] neg_hi:[0,0,1]
	v_pk_fma_f32 v[68:69], v[68:69], v[52:53], v[72:73] op_sel:[0,0,1] op_sel_hi:[1,0,0]
	v_mov_b32_e32 v85, v69
	v_pk_mul_f32 v[68:69], v[70:71], v[66:67] op_sel:[0,1]
	s_delay_alu instid0(VALU_DEP_1) | instskip(SKIP_1) | instid1(VALU_DEP_1)
	v_pk_fma_f32 v[72:73], v[70:71], v[52:53], v[68:69] op_sel:[0,0,1] op_sel_hi:[1,1,0] neg_lo:[0,0,1] neg_hi:[0,0,1]
	v_pk_fma_f32 v[68:69], v[70:71], v[52:53], v[68:69] op_sel:[0,0,1] op_sel_hi:[1,0,0]
	v_mov_b32_e32 v73, v69
	ds_load_2addr_b64 v[68:71], v196 offset0:54 offset1:55
	v_pk_add_f32 v[228:229], v[228:229], v[84:85] neg_lo:[0,1] neg_hi:[0,1]
	v_pk_add_f32 v[224:225], v[224:225], v[72:73] neg_lo:[0,1] neg_hi:[0,1]
	s_wait_dscnt 0x0
	v_dual_mul_f32 v72, v69, v67 :: v_dual_mul_f32 v84, v69, v52
	s_delay_alu instid0(VALU_DEP_1) | instskip(NEXT) | instid1(VALU_DEP_2)
	v_pk_fma_f32 v[72:73], v[68:69], v[110:111], v[72:73] op_sel_hi:[1,1,0] neg_lo:[0,0,1] neg_hi:[0,0,1]
	v_pk_fma_f32 v[68:69], v[68:69], v[110:111], v[84:85] op_sel:[1,0,0] op_sel_hi:[0,1,0]
	s_delay_alu instid0(VALU_DEP_1) | instskip(SKIP_1) | instid1(VALU_DEP_2)
	v_mov_b32_e32 v73, v69
	v_pk_mul_f32 v[68:69], v[70:71], v[66:67] op_sel:[0,1]
	v_pk_add_f32 v[226:227], v[226:227], v[72:73] neg_lo:[0,1] neg_hi:[0,1]
	s_delay_alu instid0(VALU_DEP_2) | instskip(SKIP_1) | instid1(VALU_DEP_1)
	v_pk_fma_f32 v[72:73], v[70:71], v[52:53], v[68:69] op_sel:[0,0,1] op_sel_hi:[1,1,0] neg_lo:[0,0,1] neg_hi:[0,0,1]
	v_pk_fma_f32 v[68:69], v[70:71], v[52:53], v[68:69] op_sel:[0,0,1] op_sel_hi:[1,0,0]
	v_mov_b32_e32 v73, v69
	ds_load_2addr_b64 v[68:71], v196 offset0:56 offset1:57
	v_pk_add_f32 v[222:223], v[222:223], v[72:73] neg_lo:[0,1] neg_hi:[0,1]
	s_wait_dscnt 0x0
	v_pk_mul_f32 v[72:73], v[68:69], v[66:67] op_sel:[0,1]
	v_pk_mul_f32 v[66:67], v[70:71], v[66:67] op_sel:[0,1]
	s_delay_alu instid0(VALU_DEP_2) | instskip(SKIP_1) | instid1(VALU_DEP_1)
	v_pk_fma_f32 v[84:85], v[68:69], v[52:53], v[72:73] op_sel:[0,0,1] op_sel_hi:[1,1,0] neg_lo:[0,0,1] neg_hi:[0,0,1]
	v_pk_fma_f32 v[68:69], v[68:69], v[52:53], v[72:73] op_sel:[0,0,1] op_sel_hi:[1,0,0]
	v_mov_b32_e32 v85, v69
	s_delay_alu instid0(VALU_DEP_4) | instskip(SKIP_1) | instid1(VALU_DEP_3)
	v_pk_fma_f32 v[68:69], v[70:71], v[52:53], v[66:67] op_sel:[0,0,1] op_sel_hi:[1,1,0] neg_lo:[0,0,1] neg_hi:[0,0,1]
	v_pk_fma_f32 v[52:53], v[70:71], v[52:53], v[66:67] op_sel:[0,0,1] op_sel_hi:[1,0,0]
	v_pk_add_f32 v[230:231], v[230:231], v[84:85] neg_lo:[0,1] neg_hi:[0,1]
	s_delay_alu instid0(VALU_DEP_2) | instskip(NEXT) | instid1(VALU_DEP_1)
	v_mov_b32_e32 v69, v53
	v_pk_add_f32 v[232:233], v[232:233], v[68:69] neg_lo:[0,1] neg_hi:[0,1]
.LBB115_235:
	s_or_b32 exec_lo, exec_lo, s1
	s_delay_alu instid0(SALU_CYCLE_1)
	s_mov_b32 s2, exec_lo
	s_wait_dscnt 0x0
	s_barrier_signal -1
	s_barrier_wait -1
	v_cmpx_eq_u32_e32 26, v186
	s_cbranch_execz .LBB115_242
; %bb.236:
	ds_store_b64 v187, v[112:113]
	ds_store_2addr_b64 v196, v[108:109], v[130:131] offset0:27 offset1:28
	ds_store_2addr_b64 v196, v[126:127], v[128:129] offset0:29 offset1:30
	;; [unrolled: 1-line block ×15, first 2 shown]
	ds_store_b64 v196, v[232:233] offset:456
	ds_load_b64 v[52:53], v187
	s_wait_dscnt 0x0
	v_cmp_neq_f32_e32 vcc_lo, 0, v52
	v_cmp_neq_f32_e64 s1, 0, v53
	s_or_b32 s1, vcc_lo, s1
	s_delay_alu instid0(SALU_CYCLE_1)
	s_and_b32 exec_lo, exec_lo, s1
	s_cbranch_execz .LBB115_242
; %bb.237:
	v_cmp_ngt_f32_e64 s1, |v52|, |v53|
                                        ; implicit-def: $vgpr66_vgpr67
	s_and_saveexec_b32 s4, s1
	s_delay_alu instid0(SALU_CYCLE_1)
	s_xor_b32 s1, exec_lo, s4
	s_cbranch_execz .LBB115_239
; %bb.238:
	v_div_scale_f32 v66, null, v53, v53, v52
	v_div_scale_f32 v69, vcc_lo, v52, v53, v52
	s_delay_alu instid0(VALU_DEP_2) | instskip(SKIP_1) | instid1(TRANS32_DEP_1)
	v_rcp_f32_e32 v67, v66
	v_nop
	v_fma_f32 v68, -v66, v67, 1.0
	s_delay_alu instid0(VALU_DEP_1) | instskip(NEXT) | instid1(VALU_DEP_1)
	v_fmac_f32_e32 v67, v68, v67
	v_mul_f32_e32 v68, v69, v67
	s_delay_alu instid0(VALU_DEP_1) | instskip(NEXT) | instid1(VALU_DEP_1)
	v_fma_f32 v70, -v66, v68, v69
	v_fmac_f32_e32 v68, v70, v67
	s_delay_alu instid0(VALU_DEP_1) | instskip(NEXT) | instid1(VALU_DEP_1)
	v_fma_f32 v66, -v66, v68, v69
	v_div_fmas_f32 v66, v66, v67, v68
	s_delay_alu instid0(VALU_DEP_1) | instskip(NEXT) | instid1(VALU_DEP_1)
	v_div_fixup_f32 v66, v66, v53, v52
	v_fmac_f32_e32 v53, v52, v66
	s_delay_alu instid0(VALU_DEP_1) | instskip(SKIP_1) | instid1(VALU_DEP_2)
	v_div_scale_f32 v52, null, v53, v53, 1.0
	v_div_scale_f32 v69, vcc_lo, 1.0, v53, 1.0
	v_rcp_f32_e32 v67, v52
	v_nop
	s_delay_alu instid0(TRANS32_DEP_1) | instskip(NEXT) | instid1(VALU_DEP_1)
	v_fma_f32 v68, -v52, v67, 1.0
	v_fmac_f32_e32 v67, v68, v67
	s_delay_alu instid0(VALU_DEP_1) | instskip(NEXT) | instid1(VALU_DEP_1)
	v_mul_f32_e32 v68, v69, v67
	v_fma_f32 v70, -v52, v68, v69
	s_delay_alu instid0(VALU_DEP_1) | instskip(NEXT) | instid1(VALU_DEP_1)
	v_fmac_f32_e32 v68, v70, v67
	v_fma_f32 v52, -v52, v68, v69
	s_delay_alu instid0(VALU_DEP_1) | instskip(NEXT) | instid1(VALU_DEP_1)
	v_div_fmas_f32 v52, v52, v67, v68
	v_div_fixup_f32 v52, v52, v53, 1.0
	s_delay_alu instid0(VALU_DEP_1)
	v_mul_f32_e32 v66, v66, v52
	v_xor_b32_e32 v67, 0x80000000, v52
                                        ; implicit-def: $vgpr52_vgpr53
.LBB115_239:
	s_and_not1_saveexec_b32 s1, s1
	s_cbranch_execz .LBB115_241
; %bb.240:
	v_div_scale_f32 v66, null, v52, v52, v53
	v_div_scale_f32 v69, vcc_lo, v53, v52, v53
	s_delay_alu instid0(VALU_DEP_2) | instskip(SKIP_1) | instid1(TRANS32_DEP_1)
	v_rcp_f32_e32 v67, v66
	v_nop
	v_fma_f32 v68, -v66, v67, 1.0
	s_delay_alu instid0(VALU_DEP_1) | instskip(NEXT) | instid1(VALU_DEP_1)
	v_fmac_f32_e32 v67, v68, v67
	v_mul_f32_e32 v68, v69, v67
	s_delay_alu instid0(VALU_DEP_1) | instskip(NEXT) | instid1(VALU_DEP_1)
	v_fma_f32 v70, -v66, v68, v69
	v_fmac_f32_e32 v68, v70, v67
	s_delay_alu instid0(VALU_DEP_1) | instskip(NEXT) | instid1(VALU_DEP_1)
	v_fma_f32 v66, -v66, v68, v69
	v_div_fmas_f32 v66, v66, v67, v68
	s_delay_alu instid0(VALU_DEP_1) | instskip(NEXT) | instid1(VALU_DEP_1)
	v_div_fixup_f32 v67, v66, v52, v53
	v_fmac_f32_e32 v52, v53, v67
	s_delay_alu instid0(VALU_DEP_1) | instskip(NEXT) | instid1(VALU_DEP_1)
	v_div_scale_f32 v53, null, v52, v52, 1.0
	v_rcp_f32_e32 v66, v53
	v_nop
	s_delay_alu instid0(TRANS32_DEP_1) | instskip(NEXT) | instid1(VALU_DEP_1)
	v_fma_f32 v68, -v53, v66, 1.0
	v_fmac_f32_e32 v66, v68, v66
	v_div_scale_f32 v68, vcc_lo, 1.0, v52, 1.0
	s_delay_alu instid0(VALU_DEP_1) | instskip(NEXT) | instid1(VALU_DEP_1)
	v_mul_f32_e32 v69, v68, v66
	v_fma_f32 v70, -v53, v69, v68
	s_delay_alu instid0(VALU_DEP_1) | instskip(NEXT) | instid1(VALU_DEP_1)
	v_fmac_f32_e32 v69, v70, v66
	v_fma_f32 v53, -v53, v69, v68
	s_delay_alu instid0(VALU_DEP_1) | instskip(NEXT) | instid1(VALU_DEP_1)
	v_div_fmas_f32 v53, v53, v66, v69
	v_div_fixup_f32 v66, v53, v52, 1.0
	s_delay_alu instid0(VALU_DEP_1)
	v_mul_f32_e64 v67, v67, -v66
.LBB115_241:
	s_or_b32 exec_lo, exec_lo, s1
	ds_store_b64 v187, v[66:67]
.LBB115_242:
	s_or_b32 exec_lo, exec_lo, s2
	s_wait_dscnt 0x0
	s_barrier_signal -1
	s_barrier_wait -1
	ds_load_b64 v[52:53], v187
	s_mov_b32 s1, exec_lo
	v_cmpx_lt_u32_e32 26, v186
	s_cbranch_execz .LBB115_244
; %bb.243:
	ds_load_2addr_b64 v[70:73], v196 offset0:27 offset1:28
	s_wait_dscnt 0x1
	v_pk_mul_f32 v[68:69], v[52:53], v[112:113] op_sel:[1,1] op_sel_hi:[0,1]
	s_delay_alu instid0(VALU_DEP_1) | instskip(SKIP_1) | instid1(VALU_DEP_1)
	v_pk_fma_f32 v[66:67], v[52:53], v[112:113], v[68:69] op_sel_hi:[1,0,1] neg_lo:[0,0,1] neg_hi:[0,0,1]
	v_pk_fma_f32 v[68:69], v[52:53], v[112:113], v[68:69] op_sel_hi:[1,0,1]
	v_dual_mov_b32 v112, v66 :: v_dual_mov_b32 v113, v69
	s_wait_dscnt 0x0
	s_delay_alu instid0(VALU_DEP_2) | instskip(NEXT) | instid1(VALU_DEP_1)
	v_pk_mul_f32 v[84:85], v[70:71], v[68:69] op_sel:[0,1]
	v_pk_fma_f32 v[86:87], v[70:71], v[66:67], v[84:85] op_sel:[0,0,1] op_sel_hi:[1,1,0] neg_lo:[0,0,1] neg_hi:[0,0,1]
	v_pk_fma_f32 v[70:71], v[70:71], v[66:67], v[84:85] op_sel:[0,0,1] op_sel_hi:[1,0,0]
	s_delay_alu instid0(VALU_DEP_1) | instskip(SKIP_1) | instid1(VALU_DEP_1)
	v_mov_b32_e32 v87, v71
	v_pk_mul_f32 v[70:71], v[72:73], v[68:69] op_sel:[0,1]
	v_pk_fma_f32 v[84:85], v[72:73], v[66:67], v[70:71] op_sel:[0,0,1] op_sel_hi:[1,1,0] neg_lo:[0,0,1] neg_hi:[0,0,1]
	v_pk_fma_f32 v[70:71], v[72:73], v[66:67], v[70:71] op_sel:[0,0,1] op_sel_hi:[1,0,0]
	s_delay_alu instid0(VALU_DEP_1)
	v_mov_b32_e32 v85, v71
	ds_load_2addr_b64 v[70:73], v196 offset0:29 offset1:30
	v_pk_add_f32 v[108:109], v[108:109], v[86:87] neg_lo:[0,1] neg_hi:[0,1]
	v_pk_add_f32 v[130:131], v[130:131], v[84:85] neg_lo:[0,1] neg_hi:[0,1]
	s_wait_dscnt 0x0
	v_pk_mul_f32 v[84:85], v[70:71], v[68:69] op_sel:[0,1]
	s_delay_alu instid0(VALU_DEP_1) | instskip(SKIP_2) | instid1(VALU_DEP_2)
	v_pk_fma_f32 v[86:87], v[70:71], v[66:67], v[84:85] op_sel:[0,0,1] op_sel_hi:[1,1,0] neg_lo:[0,0,1] neg_hi:[0,0,1]
	v_pk_fma_f32 v[70:71], v[70:71], v[66:67], v[84:85] op_sel:[0,0,1] op_sel_hi:[1,0,0]
	v_dual_mul_f32 v84, v73, v69 :: v_dual_mov_b32 v70, v73
	v_dual_mov_b32 v87, v71 :: v_dual_mov_b32 v71, v72
	s_delay_alu instid0(VALU_DEP_2) | instskip(SKIP_1) | instid1(VALU_DEP_3)
	v_pk_fma_f32 v[84:85], v[72:73], v[112:113], v[84:85] op_sel_hi:[1,1,0] neg_lo:[0,0,1] neg_hi:[0,0,1]
	v_mul_f32_e32 v72, v73, v66
	v_pk_add_f32 v[126:127], v[126:127], v[86:87] neg_lo:[0,1] neg_hi:[0,1]
	s_delay_alu instid0(VALU_DEP_2) | instskip(NEXT) | instid1(VALU_DEP_1)
	v_pk_fma_f32 v[70:71], v[70:71], v[112:113], v[72:73] op_sel_hi:[1,1,0]
	v_mov_b32_e32 v85, v71
	ds_load_2addr_b64 v[70:73], v196 offset0:31 offset1:32
	v_pk_add_f32 v[128:129], v[128:129], v[84:85] neg_lo:[0,1] neg_hi:[0,1]
	s_wait_dscnt 0x0
	v_pk_mul_f32 v[84:85], v[70:71], v[68:69] op_sel:[0,1]
	s_delay_alu instid0(VALU_DEP_1) | instskip(SKIP_1) | instid1(VALU_DEP_1)
	v_pk_fma_f32 v[86:87], v[70:71], v[66:67], v[84:85] op_sel:[0,0,1] op_sel_hi:[1,1,0] neg_lo:[0,0,1] neg_hi:[0,0,1]
	v_pk_fma_f32 v[70:71], v[70:71], v[66:67], v[84:85] op_sel:[0,0,1] op_sel_hi:[1,0,0]
	v_mov_b32_e32 v87, v71
	v_pk_mul_f32 v[70:71], v[72:73], v[68:69] op_sel:[0,1]
	s_delay_alu instid0(VALU_DEP_1) | instskip(SKIP_1) | instid1(VALU_DEP_1)
	v_pk_fma_f32 v[84:85], v[72:73], v[66:67], v[70:71] op_sel:[0,0,1] op_sel_hi:[1,1,0] neg_lo:[0,0,1] neg_hi:[0,0,1]
	v_pk_fma_f32 v[70:71], v[72:73], v[66:67], v[70:71] op_sel:[0,0,1] op_sel_hi:[1,0,0]
	v_mov_b32_e32 v85, v71
	ds_load_2addr_b64 v[70:73], v196 offset0:33 offset1:34
	v_pk_add_f32 v[124:125], v[124:125], v[86:87] neg_lo:[0,1] neg_hi:[0,1]
	v_pk_add_f32 v[146:147], v[146:147], v[84:85] neg_lo:[0,1] neg_hi:[0,1]
	s_wait_dscnt 0x0
	v_pk_mul_f32 v[84:85], v[70:71], v[68:69] op_sel:[0,1]
	s_delay_alu instid0(VALU_DEP_1) | instskip(SKIP_1) | instid1(VALU_DEP_1)
	v_pk_fma_f32 v[86:87], v[70:71], v[66:67], v[84:85] op_sel:[0,0,1] op_sel_hi:[1,1,0] neg_lo:[0,0,1] neg_hi:[0,0,1]
	v_pk_fma_f32 v[70:71], v[70:71], v[66:67], v[84:85] op_sel:[0,0,1] op_sel_hi:[1,0,0]
	v_mov_b32_e32 v87, v71
	v_pk_mul_f32 v[70:71], v[72:73], v[68:69] op_sel:[0,1]
	s_delay_alu instid0(VALU_DEP_1) | instskip(SKIP_1) | instid1(VALU_DEP_1)
	v_pk_fma_f32 v[84:85], v[72:73], v[66:67], v[70:71] op_sel:[0,0,1] op_sel_hi:[1,1,0] neg_lo:[0,0,1] neg_hi:[0,0,1]
	v_pk_fma_f32 v[70:71], v[72:73], v[66:67], v[70:71] op_sel:[0,0,1] op_sel_hi:[1,0,0]
	v_mov_b32_e32 v85, v71
	ds_load_2addr_b64 v[70:73], v196 offset0:35 offset1:36
	v_pk_add_f32 v[142:143], v[142:143], v[86:87] neg_lo:[0,1] neg_hi:[0,1]
	v_pk_add_f32 v[144:145], v[144:145], v[84:85] neg_lo:[0,1] neg_hi:[0,1]
	s_wait_dscnt 0x0
	v_dual_mul_f32 v84, v71, v69 :: v_dual_mul_f32 v86, v71, v66
	s_delay_alu instid0(VALU_DEP_1) | instskip(NEXT) | instid1(VALU_DEP_2)
	v_pk_fma_f32 v[84:85], v[70:71], v[112:113], v[84:85] op_sel_hi:[1,1,0] neg_lo:[0,0,1] neg_hi:[0,0,1]
	v_pk_fma_f32 v[70:71], v[70:71], v[112:113], v[86:87] op_sel:[1,0,0] op_sel_hi:[0,1,0]
	s_delay_alu instid0(VALU_DEP_1) | instskip(SKIP_1) | instid1(VALU_DEP_2)
	v_mov_b32_e32 v85, v71
	v_pk_mul_f32 v[70:71], v[72:73], v[68:69] op_sel:[0,1]
	v_pk_add_f32 v[140:141], v[140:141], v[84:85] neg_lo:[0,1] neg_hi:[0,1]
	s_delay_alu instid0(VALU_DEP_2) | instskip(SKIP_1) | instid1(VALU_DEP_1)
	v_pk_fma_f32 v[84:85], v[72:73], v[66:67], v[70:71] op_sel:[0,0,1] op_sel_hi:[1,1,0] neg_lo:[0,0,1] neg_hi:[0,0,1]
	v_pk_fma_f32 v[70:71], v[72:73], v[66:67], v[70:71] op_sel:[0,0,1] op_sel_hi:[1,0,0]
	v_mov_b32_e32 v85, v71
	ds_load_2addr_b64 v[70:73], v196 offset0:37 offset1:38
	v_pk_add_f32 v[162:163], v[162:163], v[84:85] neg_lo:[0,1] neg_hi:[0,1]
	s_wait_dscnt 0x0
	v_pk_mul_f32 v[84:85], v[70:71], v[68:69] op_sel:[0,1]
	s_delay_alu instid0(VALU_DEP_1) | instskip(SKIP_1) | instid1(VALU_DEP_1)
	v_pk_fma_f32 v[86:87], v[70:71], v[66:67], v[84:85] op_sel:[0,0,1] op_sel_hi:[1,1,0] neg_lo:[0,0,1] neg_hi:[0,0,1]
	v_pk_fma_f32 v[70:71], v[70:71], v[66:67], v[84:85] op_sel:[0,0,1] op_sel_hi:[1,0,0]
	v_mov_b32_e32 v87, v71
	v_pk_mul_f32 v[70:71], v[72:73], v[68:69] op_sel:[0,1]
	s_delay_alu instid0(VALU_DEP_2) | instskip(NEXT) | instid1(VALU_DEP_2)
	v_pk_add_f32 v[158:159], v[158:159], v[86:87] neg_lo:[0,1] neg_hi:[0,1]
	v_pk_fma_f32 v[84:85], v[72:73], v[66:67], v[70:71] op_sel:[0,0,1] op_sel_hi:[1,1,0] neg_lo:[0,0,1] neg_hi:[0,0,1]
	v_pk_fma_f32 v[70:71], v[72:73], v[66:67], v[70:71] op_sel:[0,0,1] op_sel_hi:[1,0,0]
	s_delay_alu instid0(VALU_DEP_1) | instskip(SKIP_4) | instid1(VALU_DEP_1)
	v_mov_b32_e32 v85, v71
	ds_load_2addr_b64 v[70:73], v196 offset0:39 offset1:40
	v_pk_add_f32 v[160:161], v[160:161], v[84:85] neg_lo:[0,1] neg_hi:[0,1]
	s_wait_dscnt 0x0
	v_pk_mul_f32 v[84:85], v[70:71], v[68:69] op_sel:[0,1]
	v_pk_fma_f32 v[86:87], v[70:71], v[66:67], v[84:85] op_sel:[0,0,1] op_sel_hi:[1,1,0] neg_lo:[0,0,1] neg_hi:[0,0,1]
	v_pk_fma_f32 v[70:71], v[70:71], v[66:67], v[84:85] op_sel:[0,0,1] op_sel_hi:[1,0,0]
	v_dual_mul_f32 v84, v73, v69 :: v_dual_mov_b32 v70, v73
	s_delay_alu instid0(VALU_DEP_2) | instskip(NEXT) | instid1(VALU_DEP_2)
	v_dual_mov_b32 v87, v71 :: v_dual_mov_b32 v71, v72
	v_pk_fma_f32 v[84:85], v[72:73], v[112:113], v[84:85] op_sel_hi:[1,1,0] neg_lo:[0,0,1] neg_hi:[0,0,1]
	v_mul_f32_e32 v72, v73, v66
	s_delay_alu instid0(VALU_DEP_3) | instskip(NEXT) | instid1(VALU_DEP_2)
	v_pk_add_f32 v[156:157], v[156:157], v[86:87] neg_lo:[0,1] neg_hi:[0,1]
	v_pk_fma_f32 v[70:71], v[70:71], v[112:113], v[72:73] op_sel_hi:[1,1,0]
	s_delay_alu instid0(VALU_DEP_1) | instskip(SKIP_4) | instid1(VALU_DEP_1)
	v_mov_b32_e32 v85, v71
	ds_load_2addr_b64 v[70:73], v196 offset0:41 offset1:42
	v_pk_add_f32 v[178:179], v[178:179], v[84:85] neg_lo:[0,1] neg_hi:[0,1]
	s_wait_dscnt 0x0
	v_pk_mul_f32 v[84:85], v[70:71], v[68:69] op_sel:[0,1]
	v_pk_fma_f32 v[86:87], v[70:71], v[66:67], v[84:85] op_sel:[0,0,1] op_sel_hi:[1,1,0] neg_lo:[0,0,1] neg_hi:[0,0,1]
	v_pk_fma_f32 v[70:71], v[70:71], v[66:67], v[84:85] op_sel:[0,0,1] op_sel_hi:[1,0,0]
	s_delay_alu instid0(VALU_DEP_1) | instskip(SKIP_1) | instid1(VALU_DEP_1)
	v_mov_b32_e32 v87, v71
	v_pk_mul_f32 v[70:71], v[72:73], v[68:69] op_sel:[0,1]
	v_pk_fma_f32 v[84:85], v[72:73], v[66:67], v[70:71] op_sel:[0,0,1] op_sel_hi:[1,1,0] neg_lo:[0,0,1] neg_hi:[0,0,1]
	v_pk_fma_f32 v[70:71], v[72:73], v[66:67], v[70:71] op_sel:[0,0,1] op_sel_hi:[1,0,0]
	s_delay_alu instid0(VALU_DEP_1)
	v_mov_b32_e32 v85, v71
	ds_load_2addr_b64 v[70:73], v196 offset0:43 offset1:44
	v_pk_add_f32 v[174:175], v[174:175], v[86:87] neg_lo:[0,1] neg_hi:[0,1]
	v_pk_add_f32 v[176:177], v[176:177], v[84:85] neg_lo:[0,1] neg_hi:[0,1]
	s_wait_dscnt 0x0
	v_pk_mul_f32 v[84:85], v[70:71], v[68:69] op_sel:[0,1]
	s_delay_alu instid0(VALU_DEP_1) | instskip(SKIP_1) | instid1(VALU_DEP_1)
	v_pk_fma_f32 v[86:87], v[70:71], v[66:67], v[84:85] op_sel:[0,0,1] op_sel_hi:[1,1,0] neg_lo:[0,0,1] neg_hi:[0,0,1]
	v_pk_fma_f32 v[70:71], v[70:71], v[66:67], v[84:85] op_sel:[0,0,1] op_sel_hi:[1,0,0]
	v_mov_b32_e32 v87, v71
	v_pk_mul_f32 v[70:71], v[72:73], v[68:69] op_sel:[0,1]
	s_delay_alu instid0(VALU_DEP_1) | instskip(SKIP_1) | instid1(VALU_DEP_1)
	v_pk_fma_f32 v[84:85], v[72:73], v[66:67], v[70:71] op_sel:[0,0,1] op_sel_hi:[1,1,0] neg_lo:[0,0,1] neg_hi:[0,0,1]
	v_pk_fma_f32 v[70:71], v[72:73], v[66:67], v[70:71] op_sel:[0,0,1] op_sel_hi:[1,0,0]
	v_mov_b32_e32 v85, v71
	ds_load_2addr_b64 v[70:73], v196 offset0:45 offset1:46
	v_pk_add_f32 v[172:173], v[172:173], v[86:87] neg_lo:[0,1] neg_hi:[0,1]
	v_pk_add_f32 v[194:195], v[194:195], v[84:85] neg_lo:[0,1] neg_hi:[0,1]
	s_wait_dscnt 0x0
	v_dual_mul_f32 v84, v71, v69 :: v_dual_mul_f32 v86, v71, v66
	s_delay_alu instid0(VALU_DEP_1) | instskip(NEXT) | instid1(VALU_DEP_2)
	v_pk_fma_f32 v[84:85], v[70:71], v[112:113], v[84:85] op_sel_hi:[1,1,0] neg_lo:[0,0,1] neg_hi:[0,0,1]
	v_pk_fma_f32 v[70:71], v[70:71], v[112:113], v[86:87] op_sel:[1,0,0] op_sel_hi:[0,1,0]
	s_delay_alu instid0(VALU_DEP_1) | instskip(SKIP_1) | instid1(VALU_DEP_2)
	v_mov_b32_e32 v85, v71
	v_pk_mul_f32 v[70:71], v[72:73], v[68:69] op_sel:[0,1]
	v_pk_add_f32 v[190:191], v[190:191], v[84:85] neg_lo:[0,1] neg_hi:[0,1]
	s_delay_alu instid0(VALU_DEP_2) | instskip(SKIP_1) | instid1(VALU_DEP_1)
	v_pk_fma_f32 v[84:85], v[72:73], v[66:67], v[70:71] op_sel:[0,0,1] op_sel_hi:[1,1,0] neg_lo:[0,0,1] neg_hi:[0,0,1]
	v_pk_fma_f32 v[70:71], v[72:73], v[66:67], v[70:71] op_sel:[0,0,1] op_sel_hi:[1,0,0]
	v_mov_b32_e32 v85, v71
	ds_load_2addr_b64 v[70:73], v196 offset0:47 offset1:48
	v_pk_add_f32 v[192:193], v[192:193], v[84:85] neg_lo:[0,1] neg_hi:[0,1]
	s_wait_dscnt 0x0
	v_pk_mul_f32 v[84:85], v[70:71], v[68:69] op_sel:[0,1]
	s_delay_alu instid0(VALU_DEP_1) | instskip(SKIP_1) | instid1(VALU_DEP_1)
	v_pk_fma_f32 v[86:87], v[70:71], v[66:67], v[84:85] op_sel:[0,0,1] op_sel_hi:[1,1,0] neg_lo:[0,0,1] neg_hi:[0,0,1]
	v_pk_fma_f32 v[70:71], v[70:71], v[66:67], v[84:85] op_sel:[0,0,1] op_sel_hi:[1,0,0]
	v_mov_b32_e32 v87, v71
	v_pk_mul_f32 v[70:71], v[72:73], v[68:69] op_sel:[0,1]
	s_delay_alu instid0(VALU_DEP_2) | instskip(NEXT) | instid1(VALU_DEP_2)
	v_pk_add_f32 v[188:189], v[188:189], v[86:87] neg_lo:[0,1] neg_hi:[0,1]
	v_pk_fma_f32 v[84:85], v[72:73], v[66:67], v[70:71] op_sel:[0,0,1] op_sel_hi:[1,1,0] neg_lo:[0,0,1] neg_hi:[0,0,1]
	v_pk_fma_f32 v[70:71], v[72:73], v[66:67], v[70:71] op_sel:[0,0,1] op_sel_hi:[1,0,0]
	s_delay_alu instid0(VALU_DEP_1) | instskip(SKIP_4) | instid1(VALU_DEP_1)
	v_mov_b32_e32 v85, v71
	ds_load_2addr_b64 v[70:73], v196 offset0:49 offset1:50
	v_pk_add_f32 v[212:213], v[212:213], v[84:85] neg_lo:[0,1] neg_hi:[0,1]
	s_wait_dscnt 0x0
	v_pk_mul_f32 v[84:85], v[70:71], v[68:69] op_sel:[0,1]
	v_pk_fma_f32 v[86:87], v[70:71], v[66:67], v[84:85] op_sel:[0,0,1] op_sel_hi:[1,1,0] neg_lo:[0,0,1] neg_hi:[0,0,1]
	v_pk_fma_f32 v[70:71], v[70:71], v[66:67], v[84:85] op_sel:[0,0,1] op_sel_hi:[1,0,0]
	v_dual_mul_f32 v84, v73, v69 :: v_dual_mov_b32 v70, v73
	s_delay_alu instid0(VALU_DEP_2) | instskip(NEXT) | instid1(VALU_DEP_2)
	v_dual_mov_b32 v87, v71 :: v_dual_mov_b32 v71, v72
	v_pk_fma_f32 v[84:85], v[72:73], v[112:113], v[84:85] op_sel_hi:[1,1,0] neg_lo:[0,0,1] neg_hi:[0,0,1]
	v_mul_f32_e32 v72, v73, v66
	s_delay_alu instid0(VALU_DEP_3) | instskip(NEXT) | instid1(VALU_DEP_2)
	v_pk_add_f32 v[208:209], v[208:209], v[86:87] neg_lo:[0,1] neg_hi:[0,1]
	v_pk_fma_f32 v[70:71], v[70:71], v[112:113], v[72:73] op_sel_hi:[1,1,0]
	s_delay_alu instid0(VALU_DEP_1) | instskip(SKIP_4) | instid1(VALU_DEP_1)
	v_mov_b32_e32 v85, v71
	ds_load_2addr_b64 v[70:73], v196 offset0:51 offset1:52
	v_pk_add_f32 v[210:211], v[210:211], v[84:85] neg_lo:[0,1] neg_hi:[0,1]
	s_wait_dscnt 0x0
	v_pk_mul_f32 v[84:85], v[70:71], v[68:69] op_sel:[0,1]
	v_pk_fma_f32 v[86:87], v[70:71], v[66:67], v[84:85] op_sel:[0,0,1] op_sel_hi:[1,1,0] neg_lo:[0,0,1] neg_hi:[0,0,1]
	v_pk_fma_f32 v[70:71], v[70:71], v[66:67], v[84:85] op_sel:[0,0,1] op_sel_hi:[1,0,0]
	s_delay_alu instid0(VALU_DEP_1) | instskip(SKIP_1) | instid1(VALU_DEP_1)
	v_mov_b32_e32 v87, v71
	v_pk_mul_f32 v[70:71], v[72:73], v[68:69] op_sel:[0,1]
	v_pk_fma_f32 v[84:85], v[72:73], v[66:67], v[70:71] op_sel:[0,0,1] op_sel_hi:[1,1,0] neg_lo:[0,0,1] neg_hi:[0,0,1]
	v_pk_fma_f32 v[70:71], v[72:73], v[66:67], v[70:71] op_sel:[0,0,1] op_sel_hi:[1,0,0]
	s_delay_alu instid0(VALU_DEP_1)
	v_mov_b32_e32 v85, v71
	ds_load_2addr_b64 v[70:73], v196 offset0:53 offset1:54
	v_pk_add_f32 v[206:207], v[206:207], v[86:87] neg_lo:[0,1] neg_hi:[0,1]
	v_pk_add_f32 v[228:229], v[228:229], v[84:85] neg_lo:[0,1] neg_hi:[0,1]
	s_wait_dscnt 0x0
	v_pk_mul_f32 v[84:85], v[70:71], v[68:69] op_sel:[0,1]
	s_delay_alu instid0(VALU_DEP_1) | instskip(SKIP_1) | instid1(VALU_DEP_1)
	v_pk_fma_f32 v[86:87], v[70:71], v[66:67], v[84:85] op_sel:[0,0,1] op_sel_hi:[1,1,0] neg_lo:[0,0,1] neg_hi:[0,0,1]
	v_pk_fma_f32 v[70:71], v[70:71], v[66:67], v[84:85] op_sel:[0,0,1] op_sel_hi:[1,0,0]
	v_mov_b32_e32 v87, v71
	v_pk_mul_f32 v[70:71], v[72:73], v[68:69] op_sel:[0,1]
	s_delay_alu instid0(VALU_DEP_1) | instskip(SKIP_1) | instid1(VALU_DEP_1)
	v_pk_fma_f32 v[84:85], v[72:73], v[66:67], v[70:71] op_sel:[0,0,1] op_sel_hi:[1,1,0] neg_lo:[0,0,1] neg_hi:[0,0,1]
	v_pk_fma_f32 v[70:71], v[72:73], v[66:67], v[70:71] op_sel:[0,0,1] op_sel_hi:[1,0,0]
	v_mov_b32_e32 v85, v71
	ds_load_2addr_b64 v[70:73], v196 offset0:55 offset1:56
	v_pk_add_f32 v[224:225], v[224:225], v[86:87] neg_lo:[0,1] neg_hi:[0,1]
	v_pk_add_f32 v[226:227], v[226:227], v[84:85] neg_lo:[0,1] neg_hi:[0,1]
	s_wait_dscnt 0x0
	v_dual_mul_f32 v84, v71, v69 :: v_dual_mul_f32 v86, v71, v66
	s_delay_alu instid0(VALU_DEP_1) | instskip(NEXT) | instid1(VALU_DEP_2)
	v_pk_fma_f32 v[84:85], v[70:71], v[112:113], v[84:85] op_sel_hi:[1,1,0] neg_lo:[0,0,1] neg_hi:[0,0,1]
	v_pk_fma_f32 v[70:71], v[70:71], v[112:113], v[86:87] op_sel:[1,0,0] op_sel_hi:[0,1,0]
	s_delay_alu instid0(VALU_DEP_1) | instskip(SKIP_1) | instid1(VALU_DEP_2)
	v_mov_b32_e32 v85, v71
	v_pk_mul_f32 v[70:71], v[72:73], v[68:69] op_sel:[0,1]
	v_pk_add_f32 v[222:223], v[222:223], v[84:85] neg_lo:[0,1] neg_hi:[0,1]
	s_delay_alu instid0(VALU_DEP_2) | instskip(SKIP_1) | instid1(VALU_DEP_1)
	v_pk_fma_f32 v[84:85], v[72:73], v[66:67], v[70:71] op_sel:[0,0,1] op_sel_hi:[1,1,0] neg_lo:[0,0,1] neg_hi:[0,0,1]
	v_pk_fma_f32 v[70:71], v[72:73], v[66:67], v[70:71] op_sel:[0,0,1] op_sel_hi:[1,0,0]
	v_mov_b32_e32 v85, v71
	ds_load_b64 v[70:71], v196 offset:456
	v_pk_add_f32 v[230:231], v[230:231], v[84:85] neg_lo:[0,1] neg_hi:[0,1]
	s_wait_dscnt 0x0
	v_pk_mul_f32 v[68:69], v[70:71], v[68:69] op_sel:[0,1]
	s_delay_alu instid0(VALU_DEP_1) | instskip(SKIP_1) | instid1(VALU_DEP_1)
	v_pk_fma_f32 v[72:73], v[70:71], v[66:67], v[68:69] op_sel:[0,0,1] op_sel_hi:[1,1,0] neg_lo:[0,0,1] neg_hi:[0,0,1]
	v_pk_fma_f32 v[66:67], v[70:71], v[66:67], v[68:69] op_sel:[0,0,1] op_sel_hi:[1,0,0]
	v_mov_b32_e32 v73, v67
	s_delay_alu instid0(VALU_DEP_1)
	v_pk_add_f32 v[232:233], v[232:233], v[72:73] neg_lo:[0,1] neg_hi:[0,1]
.LBB115_244:
	s_or_b32 exec_lo, exec_lo, s1
	s_delay_alu instid0(SALU_CYCLE_1)
	s_mov_b32 s2, exec_lo
	s_wait_dscnt 0x0
	s_barrier_signal -1
	s_barrier_wait -1
	v_cmpx_eq_u32_e32 27, v186
	s_cbranch_execz .LBB115_251
; %bb.245:
	v_dual_mov_b32 v66, v130 :: v_dual_mov_b32 v67, v131
	v_dual_mov_b32 v68, v126 :: v_dual_mov_b32 v69, v127
	ds_store_b64 v187, v[108:109]
	ds_store_2addr_b64 v196, v[66:67], v[68:69] offset0:28 offset1:29
	v_dual_mov_b32 v66, v128 :: v_dual_mov_b32 v67, v129
	v_dual_mov_b32 v68, v124 :: v_dual_mov_b32 v69, v125
	ds_store_2addr_b64 v196, v[66:67], v[68:69] offset0:30 offset1:31
	v_dual_mov_b32 v66, v146 :: v_dual_mov_b32 v67, v147
	v_dual_mov_b32 v68, v142 :: v_dual_mov_b32 v69, v143
	;; [unrolled: 3-line block ×13, first 2 shown]
	ds_store_2addr_b64 v196, v[66:67], v[68:69] offset0:54 offset1:55
	v_dual_mov_b32 v66, v230 :: v_dual_mov_b32 v67, v231
	ds_store_2addr_b64 v196, v[66:67], v[232:233] offset0:56 offset1:57
	ds_load_b64 v[66:67], v187
	s_wait_dscnt 0x0
	v_cmp_neq_f32_e32 vcc_lo, 0, v66
	v_cmp_neq_f32_e64 s1, 0, v67
	s_or_b32 s1, vcc_lo, s1
	s_delay_alu instid0(SALU_CYCLE_1)
	s_and_b32 exec_lo, exec_lo, s1
	s_cbranch_execz .LBB115_251
; %bb.246:
	v_cmp_ngt_f32_e64 s1, |v66|, |v67|
                                        ; implicit-def: $vgpr68_vgpr69
	s_and_saveexec_b32 s4, s1
	s_delay_alu instid0(SALU_CYCLE_1)
	s_xor_b32 s1, exec_lo, s4
	s_cbranch_execz .LBB115_248
; %bb.247:
	v_div_scale_f32 v68, null, v67, v67, v66
	v_div_scale_f32 v71, vcc_lo, v66, v67, v66
	s_delay_alu instid0(VALU_DEP_2) | instskip(SKIP_1) | instid1(TRANS32_DEP_1)
	v_rcp_f32_e32 v69, v68
	v_nop
	v_fma_f32 v70, -v68, v69, 1.0
	s_delay_alu instid0(VALU_DEP_1) | instskip(NEXT) | instid1(VALU_DEP_1)
	v_fmac_f32_e32 v69, v70, v69
	v_mul_f32_e32 v70, v71, v69
	s_delay_alu instid0(VALU_DEP_1) | instskip(NEXT) | instid1(VALU_DEP_1)
	v_fma_f32 v72, -v68, v70, v71
	v_fmac_f32_e32 v70, v72, v69
	s_delay_alu instid0(VALU_DEP_1) | instskip(NEXT) | instid1(VALU_DEP_1)
	v_fma_f32 v68, -v68, v70, v71
	v_div_fmas_f32 v68, v68, v69, v70
	s_delay_alu instid0(VALU_DEP_1) | instskip(NEXT) | instid1(VALU_DEP_1)
	v_div_fixup_f32 v68, v68, v67, v66
	v_fmac_f32_e32 v67, v66, v68
	s_delay_alu instid0(VALU_DEP_1) | instskip(SKIP_1) | instid1(VALU_DEP_2)
	v_div_scale_f32 v66, null, v67, v67, 1.0
	v_div_scale_f32 v71, vcc_lo, 1.0, v67, 1.0
	v_rcp_f32_e32 v69, v66
	v_nop
	s_delay_alu instid0(TRANS32_DEP_1) | instskip(NEXT) | instid1(VALU_DEP_1)
	v_fma_f32 v70, -v66, v69, 1.0
	v_fmac_f32_e32 v69, v70, v69
	s_delay_alu instid0(VALU_DEP_1) | instskip(NEXT) | instid1(VALU_DEP_1)
	v_mul_f32_e32 v70, v71, v69
	v_fma_f32 v72, -v66, v70, v71
	s_delay_alu instid0(VALU_DEP_1) | instskip(NEXT) | instid1(VALU_DEP_1)
	v_fmac_f32_e32 v70, v72, v69
	v_fma_f32 v66, -v66, v70, v71
	s_delay_alu instid0(VALU_DEP_1) | instskip(NEXT) | instid1(VALU_DEP_1)
	v_div_fmas_f32 v66, v66, v69, v70
	v_div_fixup_f32 v66, v66, v67, 1.0
	s_delay_alu instid0(VALU_DEP_1)
	v_mul_f32_e32 v68, v68, v66
	v_xor_b32_e32 v69, 0x80000000, v66
                                        ; implicit-def: $vgpr66_vgpr67
.LBB115_248:
	s_and_not1_saveexec_b32 s1, s1
	s_cbranch_execz .LBB115_250
; %bb.249:
	v_div_scale_f32 v68, null, v66, v66, v67
	v_div_scale_f32 v71, vcc_lo, v67, v66, v67
	s_delay_alu instid0(VALU_DEP_2) | instskip(SKIP_1) | instid1(TRANS32_DEP_1)
	v_rcp_f32_e32 v69, v68
	v_nop
	v_fma_f32 v70, -v68, v69, 1.0
	s_delay_alu instid0(VALU_DEP_1) | instskip(NEXT) | instid1(VALU_DEP_1)
	v_fmac_f32_e32 v69, v70, v69
	v_mul_f32_e32 v70, v71, v69
	s_delay_alu instid0(VALU_DEP_1) | instskip(NEXT) | instid1(VALU_DEP_1)
	v_fma_f32 v72, -v68, v70, v71
	v_fmac_f32_e32 v70, v72, v69
	s_delay_alu instid0(VALU_DEP_1) | instskip(NEXT) | instid1(VALU_DEP_1)
	v_fma_f32 v68, -v68, v70, v71
	v_div_fmas_f32 v68, v68, v69, v70
	s_delay_alu instid0(VALU_DEP_1) | instskip(NEXT) | instid1(VALU_DEP_1)
	v_div_fixup_f32 v69, v68, v66, v67
	v_fmac_f32_e32 v66, v67, v69
	s_delay_alu instid0(VALU_DEP_1) | instskip(NEXT) | instid1(VALU_DEP_1)
	v_div_scale_f32 v67, null, v66, v66, 1.0
	v_rcp_f32_e32 v68, v67
	v_nop
	s_delay_alu instid0(TRANS32_DEP_1) | instskip(NEXT) | instid1(VALU_DEP_1)
	v_fma_f32 v70, -v67, v68, 1.0
	v_fmac_f32_e32 v68, v70, v68
	v_div_scale_f32 v70, vcc_lo, 1.0, v66, 1.0
	s_delay_alu instid0(VALU_DEP_1) | instskip(NEXT) | instid1(VALU_DEP_1)
	v_mul_f32_e32 v71, v70, v68
	v_fma_f32 v72, -v67, v71, v70
	s_delay_alu instid0(VALU_DEP_1) | instskip(NEXT) | instid1(VALU_DEP_1)
	v_fmac_f32_e32 v71, v72, v68
	v_fma_f32 v67, -v67, v71, v70
	s_delay_alu instid0(VALU_DEP_1) | instskip(NEXT) | instid1(VALU_DEP_1)
	v_div_fmas_f32 v67, v67, v68, v71
	v_div_fixup_f32 v68, v67, v66, 1.0
	s_delay_alu instid0(VALU_DEP_1)
	v_mul_f32_e64 v69, v69, -v68
.LBB115_250:
	s_or_b32 exec_lo, exec_lo, s1
	ds_store_b64 v187, v[68:69]
.LBB115_251:
	s_or_b32 exec_lo, exec_lo, s2
	s_wait_dscnt 0x0
	s_barrier_signal -1
	s_barrier_wait -1
	ds_load_b64 v[66:67], v187
	s_mov_b32 s1, exec_lo
	v_cmpx_lt_u32_e32 27, v186
	s_cbranch_execz .LBB115_253
; %bb.252:
	ds_load_2addr_b64 v[84:87], v196 offset0:28 offset1:29
	s_wait_dscnt 0x1
	v_pk_mul_f32 v[70:71], v[66:67], v[108:109] op_sel:[1,1] op_sel_hi:[0,1]
	s_delay_alu instid0(VALU_DEP_1) | instskip(SKIP_1) | instid1(VALU_DEP_1)
	v_pk_fma_f32 v[68:69], v[66:67], v[108:109], v[70:71] op_sel_hi:[1,0,1] neg_lo:[0,0,1] neg_hi:[0,0,1]
	v_pk_fma_f32 v[70:71], v[66:67], v[108:109], v[70:71] op_sel_hi:[1,0,1]
	v_dual_mov_b32 v108, v68 :: v_dual_mov_b32 v109, v71
	s_wait_dscnt 0x0
	s_delay_alu instid0(VALU_DEP_2) | instskip(NEXT) | instid1(VALU_DEP_1)
	v_pk_mul_f32 v[72:73], v[84:85], v[70:71] op_sel:[0,1]
	v_pk_fma_f32 v[88:89], v[84:85], v[68:69], v[72:73] op_sel:[0,0,1] op_sel_hi:[1,1,0] neg_lo:[0,0,1] neg_hi:[0,0,1]
	v_pk_fma_f32 v[72:73], v[84:85], v[68:69], v[72:73] op_sel:[0,0,1] op_sel_hi:[1,0,0]
	s_delay_alu instid0(VALU_DEP_1) | instskip(SKIP_1) | instid1(VALU_DEP_1)
	v_mov_b32_e32 v89, v73
	v_pk_mul_f32 v[72:73], v[86:87], v[70:71] op_sel:[0,1]
	v_pk_fma_f32 v[84:85], v[86:87], v[68:69], v[72:73] op_sel:[0,0,1] op_sel_hi:[1,1,0] neg_lo:[0,0,1] neg_hi:[0,0,1]
	v_pk_fma_f32 v[72:73], v[86:87], v[68:69], v[72:73] op_sel:[0,0,1] op_sel_hi:[1,0,0]
	s_delay_alu instid0(VALU_DEP_1) | instskip(SKIP_1) | instid1(VALU_DEP_2)
	v_mov_b32_e32 v85, v73
	v_pk_add_f32 v[130:131], v[130:131], v[88:89] neg_lo:[0,1] neg_hi:[0,1]
	v_pk_add_f32 v[126:127], v[126:127], v[84:85] neg_lo:[0,1] neg_hi:[0,1]
	ds_load_2addr_b64 v[84:87], v196 offset0:30 offset1:31
	s_wait_dscnt 0x0
	v_pk_mul_f32 v[72:73], v[84:85], v[70:71] op_sel:[0,1]
	s_delay_alu instid0(VALU_DEP_1) | instskip(SKIP_2) | instid1(VALU_DEP_2)
	v_pk_fma_f32 v[88:89], v[84:85], v[68:69], v[72:73] op_sel:[0,0,1] op_sel_hi:[1,1,0] neg_lo:[0,0,1] neg_hi:[0,0,1]
	v_pk_fma_f32 v[72:73], v[84:85], v[68:69], v[72:73] op_sel:[0,0,1] op_sel_hi:[1,0,0]
	v_dual_mul_f32 v84, v87, v71 :: v_dual_mov_b32 v72, v87
	v_dual_mov_b32 v89, v73 :: v_dual_mov_b32 v73, v86
	s_delay_alu instid0(VALU_DEP_2) | instskip(SKIP_1) | instid1(VALU_DEP_3)
	v_pk_fma_f32 v[84:85], v[86:87], v[108:109], v[84:85] op_sel_hi:[1,1,0] neg_lo:[0,0,1] neg_hi:[0,0,1]
	v_mul_f32_e32 v86, v87, v68
	v_pk_add_f32 v[128:129], v[128:129], v[88:89] neg_lo:[0,1] neg_hi:[0,1]
	s_delay_alu instid0(VALU_DEP_2) | instskip(NEXT) | instid1(VALU_DEP_1)
	v_pk_fma_f32 v[72:73], v[72:73], v[108:109], v[86:87] op_sel_hi:[1,1,0]
	v_mov_b32_e32 v85, v73
	s_delay_alu instid0(VALU_DEP_1) | instskip(SKIP_3) | instid1(VALU_DEP_1)
	v_pk_add_f32 v[124:125], v[124:125], v[84:85] neg_lo:[0,1] neg_hi:[0,1]
	ds_load_2addr_b64 v[84:87], v196 offset0:32 offset1:33
	s_wait_dscnt 0x0
	v_pk_mul_f32 v[72:73], v[84:85], v[70:71] op_sel:[0,1]
	v_pk_fma_f32 v[88:89], v[84:85], v[68:69], v[72:73] op_sel:[0,0,1] op_sel_hi:[1,1,0] neg_lo:[0,0,1] neg_hi:[0,0,1]
	v_pk_fma_f32 v[72:73], v[84:85], v[68:69], v[72:73] op_sel:[0,0,1] op_sel_hi:[1,0,0]
	s_delay_alu instid0(VALU_DEP_1) | instskip(SKIP_1) | instid1(VALU_DEP_1)
	v_mov_b32_e32 v89, v73
	v_pk_mul_f32 v[72:73], v[86:87], v[70:71] op_sel:[0,1]
	v_pk_fma_f32 v[84:85], v[86:87], v[68:69], v[72:73] op_sel:[0,0,1] op_sel_hi:[1,1,0] neg_lo:[0,0,1] neg_hi:[0,0,1]
	v_pk_fma_f32 v[72:73], v[86:87], v[68:69], v[72:73] op_sel:[0,0,1] op_sel_hi:[1,0,0]
	s_delay_alu instid0(VALU_DEP_1) | instskip(SKIP_1) | instid1(VALU_DEP_2)
	v_mov_b32_e32 v85, v73
	v_pk_add_f32 v[146:147], v[146:147], v[88:89] neg_lo:[0,1] neg_hi:[0,1]
	v_pk_add_f32 v[142:143], v[142:143], v[84:85] neg_lo:[0,1] neg_hi:[0,1]
	ds_load_2addr_b64 v[84:87], v196 offset0:34 offset1:35
	s_wait_dscnt 0x0
	v_pk_mul_f32 v[72:73], v[84:85], v[70:71] op_sel:[0,1]
	s_delay_alu instid0(VALU_DEP_1) | instskip(SKIP_1) | instid1(VALU_DEP_1)
	v_pk_fma_f32 v[88:89], v[84:85], v[68:69], v[72:73] op_sel:[0,0,1] op_sel_hi:[1,1,0] neg_lo:[0,0,1] neg_hi:[0,0,1]
	v_pk_fma_f32 v[72:73], v[84:85], v[68:69], v[72:73] op_sel:[0,0,1] op_sel_hi:[1,0,0]
	v_mov_b32_e32 v89, v73
	v_pk_mul_f32 v[72:73], v[86:87], v[70:71] op_sel:[0,1]
	s_delay_alu instid0(VALU_DEP_1) | instskip(SKIP_1) | instid1(VALU_DEP_1)
	v_pk_fma_f32 v[84:85], v[86:87], v[68:69], v[72:73] op_sel:[0,0,1] op_sel_hi:[1,1,0] neg_lo:[0,0,1] neg_hi:[0,0,1]
	v_pk_fma_f32 v[72:73], v[86:87], v[68:69], v[72:73] op_sel:[0,0,1] op_sel_hi:[1,0,0]
	v_mov_b32_e32 v85, v73
	v_pk_add_f32 v[144:145], v[144:145], v[88:89] neg_lo:[0,1] neg_hi:[0,1]
	s_delay_alu instid0(VALU_DEP_2) | instskip(SKIP_3) | instid1(VALU_DEP_1)
	v_pk_add_f32 v[140:141], v[140:141], v[84:85] neg_lo:[0,1] neg_hi:[0,1]
	ds_load_2addr_b64 v[84:87], v196 offset0:36 offset1:37
	s_wait_dscnt 0x0
	v_dual_mul_f32 v72, v85, v71 :: v_dual_mul_f32 v88, v85, v68
	v_pk_fma_f32 v[72:73], v[84:85], v[108:109], v[72:73] op_sel_hi:[1,1,0] neg_lo:[0,0,1] neg_hi:[0,0,1]
	s_delay_alu instid0(VALU_DEP_2) | instskip(NEXT) | instid1(VALU_DEP_1)
	v_pk_fma_f32 v[84:85], v[84:85], v[108:109], v[88:89] op_sel:[1,0,0] op_sel_hi:[0,1,0]
	v_mov_b32_e32 v73, v85
	s_delay_alu instid0(VALU_DEP_1) | instskip(SKIP_1) | instid1(VALU_DEP_1)
	v_pk_add_f32 v[162:163], v[162:163], v[72:73] neg_lo:[0,1] neg_hi:[0,1]
	v_pk_mul_f32 v[72:73], v[86:87], v[70:71] op_sel:[0,1]
	v_pk_fma_f32 v[84:85], v[86:87], v[68:69], v[72:73] op_sel:[0,0,1] op_sel_hi:[1,1,0] neg_lo:[0,0,1] neg_hi:[0,0,1]
	v_pk_fma_f32 v[72:73], v[86:87], v[68:69], v[72:73] op_sel:[0,0,1] op_sel_hi:[1,0,0]
	s_delay_alu instid0(VALU_DEP_1) | instskip(NEXT) | instid1(VALU_DEP_1)
	v_mov_b32_e32 v85, v73
	v_pk_add_f32 v[158:159], v[158:159], v[84:85] neg_lo:[0,1] neg_hi:[0,1]
	ds_load_2addr_b64 v[84:87], v196 offset0:38 offset1:39
	s_wait_dscnt 0x0
	v_pk_mul_f32 v[72:73], v[84:85], v[70:71] op_sel:[0,1]
	s_delay_alu instid0(VALU_DEP_1) | instskip(SKIP_1) | instid1(VALU_DEP_1)
	v_pk_fma_f32 v[88:89], v[84:85], v[68:69], v[72:73] op_sel:[0,0,1] op_sel_hi:[1,1,0] neg_lo:[0,0,1] neg_hi:[0,0,1]
	v_pk_fma_f32 v[72:73], v[84:85], v[68:69], v[72:73] op_sel:[0,0,1] op_sel_hi:[1,0,0]
	v_mov_b32_e32 v89, v73
	v_pk_mul_f32 v[72:73], v[86:87], v[70:71] op_sel:[0,1]
	s_delay_alu instid0(VALU_DEP_2) | instskip(NEXT) | instid1(VALU_DEP_2)
	v_pk_add_f32 v[160:161], v[160:161], v[88:89] neg_lo:[0,1] neg_hi:[0,1]
	v_pk_fma_f32 v[84:85], v[86:87], v[68:69], v[72:73] op_sel:[0,0,1] op_sel_hi:[1,1,0] neg_lo:[0,0,1] neg_hi:[0,0,1]
	v_pk_fma_f32 v[72:73], v[86:87], v[68:69], v[72:73] op_sel:[0,0,1] op_sel_hi:[1,0,0]
	s_delay_alu instid0(VALU_DEP_1) | instskip(NEXT) | instid1(VALU_DEP_1)
	v_mov_b32_e32 v85, v73
	v_pk_add_f32 v[156:157], v[156:157], v[84:85] neg_lo:[0,1] neg_hi:[0,1]
	ds_load_2addr_b64 v[84:87], v196 offset0:40 offset1:41
	s_wait_dscnt 0x0
	v_pk_mul_f32 v[72:73], v[84:85], v[70:71] op_sel:[0,1]
	s_delay_alu instid0(VALU_DEP_1) | instskip(SKIP_2) | instid1(VALU_DEP_2)
	v_pk_fma_f32 v[88:89], v[84:85], v[68:69], v[72:73] op_sel:[0,0,1] op_sel_hi:[1,1,0] neg_lo:[0,0,1] neg_hi:[0,0,1]
	v_pk_fma_f32 v[72:73], v[84:85], v[68:69], v[72:73] op_sel:[0,0,1] op_sel_hi:[1,0,0]
	v_dual_mul_f32 v84, v87, v71 :: v_dual_mov_b32 v72, v87
	v_dual_mov_b32 v89, v73 :: v_dual_mov_b32 v73, v86
	s_delay_alu instid0(VALU_DEP_2) | instskip(SKIP_1) | instid1(VALU_DEP_3)
	v_pk_fma_f32 v[84:85], v[86:87], v[108:109], v[84:85] op_sel_hi:[1,1,0] neg_lo:[0,0,1] neg_hi:[0,0,1]
	v_mul_f32_e32 v86, v87, v68
	v_pk_add_f32 v[178:179], v[178:179], v[88:89] neg_lo:[0,1] neg_hi:[0,1]
	s_delay_alu instid0(VALU_DEP_2) | instskip(NEXT) | instid1(VALU_DEP_1)
	v_pk_fma_f32 v[72:73], v[72:73], v[108:109], v[86:87] op_sel_hi:[1,1,0]
	v_mov_b32_e32 v85, v73
	s_delay_alu instid0(VALU_DEP_1) | instskip(SKIP_3) | instid1(VALU_DEP_1)
	v_pk_add_f32 v[174:175], v[174:175], v[84:85] neg_lo:[0,1] neg_hi:[0,1]
	ds_load_2addr_b64 v[84:87], v196 offset0:42 offset1:43
	s_wait_dscnt 0x0
	v_pk_mul_f32 v[72:73], v[84:85], v[70:71] op_sel:[0,1]
	v_pk_fma_f32 v[88:89], v[84:85], v[68:69], v[72:73] op_sel:[0,0,1] op_sel_hi:[1,1,0] neg_lo:[0,0,1] neg_hi:[0,0,1]
	v_pk_fma_f32 v[72:73], v[84:85], v[68:69], v[72:73] op_sel:[0,0,1] op_sel_hi:[1,0,0]
	s_delay_alu instid0(VALU_DEP_1) | instskip(SKIP_1) | instid1(VALU_DEP_1)
	v_mov_b32_e32 v89, v73
	v_pk_mul_f32 v[72:73], v[86:87], v[70:71] op_sel:[0,1]
	v_pk_fma_f32 v[84:85], v[86:87], v[68:69], v[72:73] op_sel:[0,0,1] op_sel_hi:[1,1,0] neg_lo:[0,0,1] neg_hi:[0,0,1]
	v_pk_fma_f32 v[72:73], v[86:87], v[68:69], v[72:73] op_sel:[0,0,1] op_sel_hi:[1,0,0]
	s_delay_alu instid0(VALU_DEP_1) | instskip(SKIP_1) | instid1(VALU_DEP_2)
	v_mov_b32_e32 v85, v73
	v_pk_add_f32 v[176:177], v[176:177], v[88:89] neg_lo:[0,1] neg_hi:[0,1]
	v_pk_add_f32 v[172:173], v[172:173], v[84:85] neg_lo:[0,1] neg_hi:[0,1]
	ds_load_2addr_b64 v[84:87], v196 offset0:44 offset1:45
	s_wait_dscnt 0x0
	v_pk_mul_f32 v[72:73], v[84:85], v[70:71] op_sel:[0,1]
	s_delay_alu instid0(VALU_DEP_1) | instskip(SKIP_1) | instid1(VALU_DEP_1)
	v_pk_fma_f32 v[88:89], v[84:85], v[68:69], v[72:73] op_sel:[0,0,1] op_sel_hi:[1,1,0] neg_lo:[0,0,1] neg_hi:[0,0,1]
	v_pk_fma_f32 v[72:73], v[84:85], v[68:69], v[72:73] op_sel:[0,0,1] op_sel_hi:[1,0,0]
	v_mov_b32_e32 v89, v73
	v_pk_mul_f32 v[72:73], v[86:87], v[70:71] op_sel:[0,1]
	s_delay_alu instid0(VALU_DEP_1) | instskip(SKIP_1) | instid1(VALU_DEP_1)
	v_pk_fma_f32 v[84:85], v[86:87], v[68:69], v[72:73] op_sel:[0,0,1] op_sel_hi:[1,1,0] neg_lo:[0,0,1] neg_hi:[0,0,1]
	v_pk_fma_f32 v[72:73], v[86:87], v[68:69], v[72:73] op_sel:[0,0,1] op_sel_hi:[1,0,0]
	v_mov_b32_e32 v85, v73
	v_pk_add_f32 v[194:195], v[194:195], v[88:89] neg_lo:[0,1] neg_hi:[0,1]
	s_delay_alu instid0(VALU_DEP_2) | instskip(SKIP_3) | instid1(VALU_DEP_1)
	v_pk_add_f32 v[190:191], v[190:191], v[84:85] neg_lo:[0,1] neg_hi:[0,1]
	ds_load_2addr_b64 v[84:87], v196 offset0:46 offset1:47
	s_wait_dscnt 0x0
	v_dual_mul_f32 v72, v85, v71 :: v_dual_mul_f32 v88, v85, v68
	v_pk_fma_f32 v[72:73], v[84:85], v[108:109], v[72:73] op_sel_hi:[1,1,0] neg_lo:[0,0,1] neg_hi:[0,0,1]
	s_delay_alu instid0(VALU_DEP_2) | instskip(NEXT) | instid1(VALU_DEP_1)
	v_pk_fma_f32 v[84:85], v[84:85], v[108:109], v[88:89] op_sel:[1,0,0] op_sel_hi:[0,1,0]
	v_mov_b32_e32 v73, v85
	s_delay_alu instid0(VALU_DEP_1) | instskip(SKIP_1) | instid1(VALU_DEP_1)
	v_pk_add_f32 v[192:193], v[192:193], v[72:73] neg_lo:[0,1] neg_hi:[0,1]
	v_pk_mul_f32 v[72:73], v[86:87], v[70:71] op_sel:[0,1]
	v_pk_fma_f32 v[84:85], v[86:87], v[68:69], v[72:73] op_sel:[0,0,1] op_sel_hi:[1,1,0] neg_lo:[0,0,1] neg_hi:[0,0,1]
	v_pk_fma_f32 v[72:73], v[86:87], v[68:69], v[72:73] op_sel:[0,0,1] op_sel_hi:[1,0,0]
	s_delay_alu instid0(VALU_DEP_1) | instskip(NEXT) | instid1(VALU_DEP_1)
	v_mov_b32_e32 v85, v73
	v_pk_add_f32 v[188:189], v[188:189], v[84:85] neg_lo:[0,1] neg_hi:[0,1]
	ds_load_2addr_b64 v[84:87], v196 offset0:48 offset1:49
	s_wait_dscnt 0x0
	v_pk_mul_f32 v[72:73], v[84:85], v[70:71] op_sel:[0,1]
	s_delay_alu instid0(VALU_DEP_1) | instskip(SKIP_1) | instid1(VALU_DEP_1)
	v_pk_fma_f32 v[88:89], v[84:85], v[68:69], v[72:73] op_sel:[0,0,1] op_sel_hi:[1,1,0] neg_lo:[0,0,1] neg_hi:[0,0,1]
	v_pk_fma_f32 v[72:73], v[84:85], v[68:69], v[72:73] op_sel:[0,0,1] op_sel_hi:[1,0,0]
	v_mov_b32_e32 v89, v73
	v_pk_mul_f32 v[72:73], v[86:87], v[70:71] op_sel:[0,1]
	s_delay_alu instid0(VALU_DEP_2) | instskip(NEXT) | instid1(VALU_DEP_2)
	v_pk_add_f32 v[212:213], v[212:213], v[88:89] neg_lo:[0,1] neg_hi:[0,1]
	v_pk_fma_f32 v[84:85], v[86:87], v[68:69], v[72:73] op_sel:[0,0,1] op_sel_hi:[1,1,0] neg_lo:[0,0,1] neg_hi:[0,0,1]
	v_pk_fma_f32 v[72:73], v[86:87], v[68:69], v[72:73] op_sel:[0,0,1] op_sel_hi:[1,0,0]
	s_delay_alu instid0(VALU_DEP_1) | instskip(NEXT) | instid1(VALU_DEP_1)
	v_mov_b32_e32 v85, v73
	v_pk_add_f32 v[208:209], v[208:209], v[84:85] neg_lo:[0,1] neg_hi:[0,1]
	ds_load_2addr_b64 v[84:87], v196 offset0:50 offset1:51
	s_wait_dscnt 0x0
	v_pk_mul_f32 v[72:73], v[84:85], v[70:71] op_sel:[0,1]
	s_delay_alu instid0(VALU_DEP_1) | instskip(SKIP_2) | instid1(VALU_DEP_2)
	v_pk_fma_f32 v[88:89], v[84:85], v[68:69], v[72:73] op_sel:[0,0,1] op_sel_hi:[1,1,0] neg_lo:[0,0,1] neg_hi:[0,0,1]
	v_pk_fma_f32 v[72:73], v[84:85], v[68:69], v[72:73] op_sel:[0,0,1] op_sel_hi:[1,0,0]
	v_dual_mul_f32 v84, v87, v71 :: v_dual_mov_b32 v72, v87
	v_dual_mov_b32 v89, v73 :: v_dual_mov_b32 v73, v86
	s_delay_alu instid0(VALU_DEP_2) | instskip(SKIP_1) | instid1(VALU_DEP_3)
	v_pk_fma_f32 v[84:85], v[86:87], v[108:109], v[84:85] op_sel_hi:[1,1,0] neg_lo:[0,0,1] neg_hi:[0,0,1]
	v_mul_f32_e32 v86, v87, v68
	v_pk_add_f32 v[210:211], v[210:211], v[88:89] neg_lo:[0,1] neg_hi:[0,1]
	s_delay_alu instid0(VALU_DEP_2) | instskip(NEXT) | instid1(VALU_DEP_1)
	v_pk_fma_f32 v[72:73], v[72:73], v[108:109], v[86:87] op_sel_hi:[1,1,0]
	v_mov_b32_e32 v85, v73
	s_delay_alu instid0(VALU_DEP_1) | instskip(SKIP_3) | instid1(VALU_DEP_1)
	v_pk_add_f32 v[206:207], v[206:207], v[84:85] neg_lo:[0,1] neg_hi:[0,1]
	ds_load_2addr_b64 v[84:87], v196 offset0:52 offset1:53
	s_wait_dscnt 0x0
	v_pk_mul_f32 v[72:73], v[84:85], v[70:71] op_sel:[0,1]
	v_pk_fma_f32 v[88:89], v[84:85], v[68:69], v[72:73] op_sel:[0,0,1] op_sel_hi:[1,1,0] neg_lo:[0,0,1] neg_hi:[0,0,1]
	v_pk_fma_f32 v[72:73], v[84:85], v[68:69], v[72:73] op_sel:[0,0,1] op_sel_hi:[1,0,0]
	s_delay_alu instid0(VALU_DEP_1) | instskip(SKIP_1) | instid1(VALU_DEP_1)
	v_mov_b32_e32 v89, v73
	v_pk_mul_f32 v[72:73], v[86:87], v[70:71] op_sel:[0,1]
	v_pk_fma_f32 v[84:85], v[86:87], v[68:69], v[72:73] op_sel:[0,0,1] op_sel_hi:[1,1,0] neg_lo:[0,0,1] neg_hi:[0,0,1]
	v_pk_fma_f32 v[72:73], v[86:87], v[68:69], v[72:73] op_sel:[0,0,1] op_sel_hi:[1,0,0]
	s_delay_alu instid0(VALU_DEP_1) | instskip(SKIP_1) | instid1(VALU_DEP_2)
	v_mov_b32_e32 v85, v73
	v_pk_add_f32 v[228:229], v[228:229], v[88:89] neg_lo:[0,1] neg_hi:[0,1]
	v_pk_add_f32 v[224:225], v[224:225], v[84:85] neg_lo:[0,1] neg_hi:[0,1]
	ds_load_2addr_b64 v[84:87], v196 offset0:54 offset1:55
	s_wait_dscnt 0x0
	v_pk_mul_f32 v[72:73], v[84:85], v[70:71] op_sel:[0,1]
	s_delay_alu instid0(VALU_DEP_1) | instskip(SKIP_1) | instid1(VALU_DEP_1)
	v_pk_fma_f32 v[88:89], v[84:85], v[68:69], v[72:73] op_sel:[0,0,1] op_sel_hi:[1,1,0] neg_lo:[0,0,1] neg_hi:[0,0,1]
	v_pk_fma_f32 v[72:73], v[84:85], v[68:69], v[72:73] op_sel:[0,0,1] op_sel_hi:[1,0,0]
	v_mov_b32_e32 v89, v73
	v_pk_mul_f32 v[72:73], v[86:87], v[70:71] op_sel:[0,1]
	s_delay_alu instid0(VALU_DEP_1) | instskip(SKIP_1) | instid1(VALU_DEP_1)
	v_pk_fma_f32 v[84:85], v[86:87], v[68:69], v[72:73] op_sel:[0,0,1] op_sel_hi:[1,1,0] neg_lo:[0,0,1] neg_hi:[0,0,1]
	v_pk_fma_f32 v[72:73], v[86:87], v[68:69], v[72:73] op_sel:[0,0,1] op_sel_hi:[1,0,0]
	v_mov_b32_e32 v85, v73
	v_pk_add_f32 v[226:227], v[226:227], v[88:89] neg_lo:[0,1] neg_hi:[0,1]
	s_delay_alu instid0(VALU_DEP_2) | instskip(SKIP_3) | instid1(VALU_DEP_1)
	v_pk_add_f32 v[222:223], v[222:223], v[84:85] neg_lo:[0,1] neg_hi:[0,1]
	ds_load_2addr_b64 v[84:87], v196 offset0:56 offset1:57
	s_wait_dscnt 0x0
	v_mul_f32_e32 v70, v85, v71
	v_pk_fma_f32 v[72:73], v[84:85], v[108:109], v[70:71] op_sel_hi:[1,1,0] neg_lo:[0,0,1] neg_hi:[0,0,1]
	v_dual_mul_f32 v70, v85, v68 :: v_dual_mul_f32 v68, v87, v68
	s_delay_alu instid0(VALU_DEP_1) | instskip(NEXT) | instid1(VALU_DEP_1)
	v_pk_fma_f32 v[84:85], v[84:85], v[108:109], v[70:71] op_sel:[1,0,0] op_sel_hi:[0,1,0]
	v_dual_mul_f32 v70, v87, v71 :: v_dual_mov_b32 v73, v85
	s_delay_alu instid0(VALU_DEP_1) | instskip(NEXT) | instid1(VALU_DEP_2)
	v_pk_fma_f32 v[70:71], v[86:87], v[108:109], v[70:71] op_sel_hi:[1,1,0] neg_lo:[0,0,1] neg_hi:[0,0,1]
	v_pk_add_f32 v[230:231], v[230:231], v[72:73] neg_lo:[0,1] neg_hi:[0,1]
	v_dual_mov_b32 v72, v87 :: v_dual_mov_b32 v73, v86
	s_delay_alu instid0(VALU_DEP_1) | instskip(NEXT) | instid1(VALU_DEP_1)
	v_pk_fma_f32 v[68:69], v[72:73], v[108:109], v[68:69] op_sel_hi:[1,1,0]
	v_mov_b32_e32 v71, v69
	s_delay_alu instid0(VALU_DEP_1)
	v_pk_add_f32 v[232:233], v[232:233], v[70:71] neg_lo:[0,1] neg_hi:[0,1]
.LBB115_253:
	s_or_b32 exec_lo, exec_lo, s1
	s_delay_alu instid0(SALU_CYCLE_1)
	s_mov_b32 s2, exec_lo
	s_wait_dscnt 0x0
	s_barrier_signal -1
	s_barrier_wait -1
	v_cmpx_eq_u32_e32 28, v186
	s_cbranch_execz .LBB115_260
; %bb.254:
	ds_store_b64 v187, v[130:131]
	ds_store_2addr_b64 v196, v[126:127], v[128:129] offset0:29 offset1:30
	ds_store_2addr_b64 v196, v[124:125], v[146:147] offset0:31 offset1:32
	;; [unrolled: 1-line block ×14, first 2 shown]
	ds_store_b64 v196, v[232:233] offset:456
	ds_load_b64 v[68:69], v187
	s_wait_dscnt 0x0
	v_cmp_neq_f32_e32 vcc_lo, 0, v68
	v_cmp_neq_f32_e64 s1, 0, v69
	s_or_b32 s1, vcc_lo, s1
	s_delay_alu instid0(SALU_CYCLE_1)
	s_and_b32 exec_lo, exec_lo, s1
	s_cbranch_execz .LBB115_260
; %bb.255:
	v_cmp_ngt_f32_e64 s1, |v68|, |v69|
                                        ; implicit-def: $vgpr70_vgpr71
	s_and_saveexec_b32 s4, s1
	s_delay_alu instid0(SALU_CYCLE_1)
	s_xor_b32 s1, exec_lo, s4
	s_cbranch_execz .LBB115_257
; %bb.256:
	v_div_scale_f32 v70, null, v69, v69, v68
	v_div_scale_f32 v73, vcc_lo, v68, v69, v68
	s_delay_alu instid0(VALU_DEP_2) | instskip(SKIP_1) | instid1(TRANS32_DEP_1)
	v_rcp_f32_e32 v71, v70
	v_nop
	v_fma_f32 v72, -v70, v71, 1.0
	s_delay_alu instid0(VALU_DEP_1) | instskip(NEXT) | instid1(VALU_DEP_1)
	v_fmac_f32_e32 v71, v72, v71
	v_mul_f32_e32 v72, v73, v71
	s_delay_alu instid0(VALU_DEP_1) | instskip(NEXT) | instid1(VALU_DEP_1)
	v_fma_f32 v84, -v70, v72, v73
	v_fmac_f32_e32 v72, v84, v71
	s_delay_alu instid0(VALU_DEP_1) | instskip(NEXT) | instid1(VALU_DEP_1)
	v_fma_f32 v70, -v70, v72, v73
	v_div_fmas_f32 v70, v70, v71, v72
	s_delay_alu instid0(VALU_DEP_1) | instskip(NEXT) | instid1(VALU_DEP_1)
	v_div_fixup_f32 v70, v70, v69, v68
	v_fmac_f32_e32 v69, v68, v70
	s_delay_alu instid0(VALU_DEP_1) | instskip(SKIP_1) | instid1(VALU_DEP_2)
	v_div_scale_f32 v68, null, v69, v69, 1.0
	v_div_scale_f32 v73, vcc_lo, 1.0, v69, 1.0
	v_rcp_f32_e32 v71, v68
	v_nop
	s_delay_alu instid0(TRANS32_DEP_1) | instskip(NEXT) | instid1(VALU_DEP_1)
	v_fma_f32 v72, -v68, v71, 1.0
	v_fmac_f32_e32 v71, v72, v71
	s_delay_alu instid0(VALU_DEP_1) | instskip(NEXT) | instid1(VALU_DEP_1)
	v_mul_f32_e32 v72, v73, v71
	v_fma_f32 v84, -v68, v72, v73
	s_delay_alu instid0(VALU_DEP_1) | instskip(NEXT) | instid1(VALU_DEP_1)
	v_fmac_f32_e32 v72, v84, v71
	v_fma_f32 v68, -v68, v72, v73
	s_delay_alu instid0(VALU_DEP_1) | instskip(NEXT) | instid1(VALU_DEP_1)
	v_div_fmas_f32 v68, v68, v71, v72
	v_div_fixup_f32 v68, v68, v69, 1.0
	s_delay_alu instid0(VALU_DEP_1)
	v_mul_f32_e32 v70, v70, v68
	v_xor_b32_e32 v71, 0x80000000, v68
                                        ; implicit-def: $vgpr68_vgpr69
.LBB115_257:
	s_and_not1_saveexec_b32 s1, s1
	s_cbranch_execz .LBB115_259
; %bb.258:
	v_div_scale_f32 v70, null, v68, v68, v69
	v_div_scale_f32 v73, vcc_lo, v69, v68, v69
	s_delay_alu instid0(VALU_DEP_2) | instskip(SKIP_1) | instid1(TRANS32_DEP_1)
	v_rcp_f32_e32 v71, v70
	v_nop
	v_fma_f32 v72, -v70, v71, 1.0
	s_delay_alu instid0(VALU_DEP_1) | instskip(NEXT) | instid1(VALU_DEP_1)
	v_fmac_f32_e32 v71, v72, v71
	v_mul_f32_e32 v72, v73, v71
	s_delay_alu instid0(VALU_DEP_1) | instskip(NEXT) | instid1(VALU_DEP_1)
	v_fma_f32 v84, -v70, v72, v73
	v_fmac_f32_e32 v72, v84, v71
	s_delay_alu instid0(VALU_DEP_1) | instskip(NEXT) | instid1(VALU_DEP_1)
	v_fma_f32 v70, -v70, v72, v73
	v_div_fmas_f32 v70, v70, v71, v72
	s_delay_alu instid0(VALU_DEP_1) | instskip(NEXT) | instid1(VALU_DEP_1)
	v_div_fixup_f32 v71, v70, v68, v69
	v_fmac_f32_e32 v68, v69, v71
	s_delay_alu instid0(VALU_DEP_1) | instskip(NEXT) | instid1(VALU_DEP_1)
	v_div_scale_f32 v69, null, v68, v68, 1.0
	v_rcp_f32_e32 v70, v69
	v_nop
	s_delay_alu instid0(TRANS32_DEP_1) | instskip(NEXT) | instid1(VALU_DEP_1)
	v_fma_f32 v72, -v69, v70, 1.0
	v_fmac_f32_e32 v70, v72, v70
	v_div_scale_f32 v72, vcc_lo, 1.0, v68, 1.0
	s_delay_alu instid0(VALU_DEP_1) | instskip(NEXT) | instid1(VALU_DEP_1)
	v_mul_f32_e32 v73, v72, v70
	v_fma_f32 v84, -v69, v73, v72
	s_delay_alu instid0(VALU_DEP_1) | instskip(NEXT) | instid1(VALU_DEP_1)
	v_fmac_f32_e32 v73, v84, v70
	v_fma_f32 v69, -v69, v73, v72
	s_delay_alu instid0(VALU_DEP_1) | instskip(NEXT) | instid1(VALU_DEP_1)
	v_div_fmas_f32 v69, v69, v70, v73
	v_div_fixup_f32 v70, v69, v68, 1.0
	s_delay_alu instid0(VALU_DEP_1)
	v_mul_f32_e64 v71, v71, -v70
.LBB115_259:
	s_or_b32 exec_lo, exec_lo, s1
	ds_store_b64 v187, v[70:71]
.LBB115_260:
	s_or_b32 exec_lo, exec_lo, s2
	s_wait_dscnt 0x0
	s_barrier_signal -1
	s_barrier_wait -1
	ds_load_b64 v[68:69], v187
	s_mov_b32 s1, exec_lo
	v_cmpx_lt_u32_e32 28, v186
	s_cbranch_execz .LBB115_262
; %bb.261:
	ds_load_2addr_b64 v[84:87], v196 offset0:29 offset1:30
	s_wait_dscnt 0x1
	v_pk_mul_f32 v[72:73], v[68:69], v[130:131] op_sel:[1,1] op_sel_hi:[0,1]
	s_delay_alu instid0(VALU_DEP_1) | instskip(SKIP_1) | instid1(VALU_DEP_1)
	v_pk_fma_f32 v[70:71], v[68:69], v[130:131], v[72:73] op_sel_hi:[1,0,1] neg_lo:[0,0,1] neg_hi:[0,0,1]
	v_pk_fma_f32 v[72:73], v[68:69], v[130:131], v[72:73] op_sel_hi:[1,0,1]
	v_dual_mov_b32 v130, v70 :: v_dual_mov_b32 v131, v73
	s_wait_dscnt 0x0
	s_delay_alu instid0(VALU_DEP_2) | instskip(NEXT) | instid1(VALU_DEP_1)
	v_pk_mul_f32 v[88:89], v[84:85], v[72:73] op_sel:[0,1]
	v_pk_fma_f32 v[90:91], v[84:85], v[70:71], v[88:89] op_sel:[0,0,1] op_sel_hi:[1,1,0] neg_lo:[0,0,1] neg_hi:[0,0,1]
	v_pk_fma_f32 v[84:85], v[84:85], v[70:71], v[88:89] op_sel:[0,0,1] op_sel_hi:[1,0,0]
	s_delay_alu instid0(VALU_DEP_1) | instskip(SKIP_1) | instid1(VALU_DEP_1)
	v_mov_b32_e32 v91, v85
	v_pk_mul_f32 v[84:85], v[86:87], v[72:73] op_sel:[0,1]
	v_pk_fma_f32 v[88:89], v[86:87], v[70:71], v[84:85] op_sel:[0,0,1] op_sel_hi:[1,1,0] neg_lo:[0,0,1] neg_hi:[0,0,1]
	v_pk_fma_f32 v[84:85], v[86:87], v[70:71], v[84:85] op_sel:[0,0,1] op_sel_hi:[1,0,0]
	s_delay_alu instid0(VALU_DEP_1)
	v_mov_b32_e32 v89, v85
	ds_load_2addr_b64 v[84:87], v196 offset0:31 offset1:32
	v_pk_add_f32 v[126:127], v[126:127], v[90:91] neg_lo:[0,1] neg_hi:[0,1]
	v_pk_add_f32 v[128:129], v[128:129], v[88:89] neg_lo:[0,1] neg_hi:[0,1]
	s_wait_dscnt 0x0
	v_pk_mul_f32 v[88:89], v[84:85], v[72:73] op_sel:[0,1]
	s_delay_alu instid0(VALU_DEP_1) | instskip(SKIP_2) | instid1(VALU_DEP_2)
	v_pk_fma_f32 v[90:91], v[84:85], v[70:71], v[88:89] op_sel:[0,0,1] op_sel_hi:[1,1,0] neg_lo:[0,0,1] neg_hi:[0,0,1]
	v_pk_fma_f32 v[84:85], v[84:85], v[70:71], v[88:89] op_sel:[0,0,1] op_sel_hi:[1,0,0]
	v_dual_mul_f32 v88, v87, v73 :: v_dual_mov_b32 v84, v87
	v_dual_mov_b32 v91, v85 :: v_dual_mov_b32 v85, v86
	s_delay_alu instid0(VALU_DEP_2) | instskip(SKIP_1) | instid1(VALU_DEP_3)
	v_pk_fma_f32 v[88:89], v[86:87], v[130:131], v[88:89] op_sel_hi:[1,1,0] neg_lo:[0,0,1] neg_hi:[0,0,1]
	v_mul_f32_e32 v86, v87, v70
	v_pk_add_f32 v[124:125], v[124:125], v[90:91] neg_lo:[0,1] neg_hi:[0,1]
	s_delay_alu instid0(VALU_DEP_2) | instskip(NEXT) | instid1(VALU_DEP_1)
	v_pk_fma_f32 v[84:85], v[84:85], v[130:131], v[86:87] op_sel_hi:[1,1,0]
	v_mov_b32_e32 v89, v85
	ds_load_2addr_b64 v[84:87], v196 offset0:33 offset1:34
	v_pk_add_f32 v[146:147], v[146:147], v[88:89] neg_lo:[0,1] neg_hi:[0,1]
	s_wait_dscnt 0x0
	v_pk_mul_f32 v[88:89], v[84:85], v[72:73] op_sel:[0,1]
	s_delay_alu instid0(VALU_DEP_1) | instskip(SKIP_1) | instid1(VALU_DEP_1)
	v_pk_fma_f32 v[90:91], v[84:85], v[70:71], v[88:89] op_sel:[0,0,1] op_sel_hi:[1,1,0] neg_lo:[0,0,1] neg_hi:[0,0,1]
	v_pk_fma_f32 v[84:85], v[84:85], v[70:71], v[88:89] op_sel:[0,0,1] op_sel_hi:[1,0,0]
	v_mov_b32_e32 v91, v85
	v_pk_mul_f32 v[84:85], v[86:87], v[72:73] op_sel:[0,1]
	s_delay_alu instid0(VALU_DEP_1) | instskip(SKIP_1) | instid1(VALU_DEP_1)
	v_pk_fma_f32 v[88:89], v[86:87], v[70:71], v[84:85] op_sel:[0,0,1] op_sel_hi:[1,1,0] neg_lo:[0,0,1] neg_hi:[0,0,1]
	v_pk_fma_f32 v[84:85], v[86:87], v[70:71], v[84:85] op_sel:[0,0,1] op_sel_hi:[1,0,0]
	v_mov_b32_e32 v89, v85
	ds_load_2addr_b64 v[84:87], v196 offset0:35 offset1:36
	v_pk_add_f32 v[142:143], v[142:143], v[90:91] neg_lo:[0,1] neg_hi:[0,1]
	v_pk_add_f32 v[144:145], v[144:145], v[88:89] neg_lo:[0,1] neg_hi:[0,1]
	s_wait_dscnt 0x0
	v_pk_mul_f32 v[88:89], v[84:85], v[72:73] op_sel:[0,1]
	s_delay_alu instid0(VALU_DEP_1) | instskip(SKIP_1) | instid1(VALU_DEP_1)
	v_pk_fma_f32 v[90:91], v[84:85], v[70:71], v[88:89] op_sel:[0,0,1] op_sel_hi:[1,1,0] neg_lo:[0,0,1] neg_hi:[0,0,1]
	v_pk_fma_f32 v[84:85], v[84:85], v[70:71], v[88:89] op_sel:[0,0,1] op_sel_hi:[1,0,0]
	v_mov_b32_e32 v91, v85
	v_pk_mul_f32 v[84:85], v[86:87], v[72:73] op_sel:[0,1]
	s_delay_alu instid0(VALU_DEP_1) | instskip(SKIP_1) | instid1(VALU_DEP_1)
	v_pk_fma_f32 v[88:89], v[86:87], v[70:71], v[84:85] op_sel:[0,0,1] op_sel_hi:[1,1,0] neg_lo:[0,0,1] neg_hi:[0,0,1]
	v_pk_fma_f32 v[84:85], v[86:87], v[70:71], v[84:85] op_sel:[0,0,1] op_sel_hi:[1,0,0]
	v_mov_b32_e32 v89, v85
	ds_load_2addr_b64 v[84:87], v196 offset0:37 offset1:38
	v_pk_add_f32 v[140:141], v[140:141], v[90:91] neg_lo:[0,1] neg_hi:[0,1]
	v_pk_add_f32 v[162:163], v[162:163], v[88:89] neg_lo:[0,1] neg_hi:[0,1]
	s_wait_dscnt 0x0
	v_dual_mul_f32 v88, v85, v73 :: v_dual_mul_f32 v90, v85, v70
	s_delay_alu instid0(VALU_DEP_1) | instskip(NEXT) | instid1(VALU_DEP_2)
	v_pk_fma_f32 v[88:89], v[84:85], v[130:131], v[88:89] op_sel_hi:[1,1,0] neg_lo:[0,0,1] neg_hi:[0,0,1]
	v_pk_fma_f32 v[84:85], v[84:85], v[130:131], v[90:91] op_sel:[1,0,0] op_sel_hi:[0,1,0]
	s_delay_alu instid0(VALU_DEP_1) | instskip(SKIP_1) | instid1(VALU_DEP_2)
	v_mov_b32_e32 v89, v85
	v_pk_mul_f32 v[84:85], v[86:87], v[72:73] op_sel:[0,1]
	v_pk_add_f32 v[158:159], v[158:159], v[88:89] neg_lo:[0,1] neg_hi:[0,1]
	s_delay_alu instid0(VALU_DEP_2) | instskip(SKIP_1) | instid1(VALU_DEP_1)
	v_pk_fma_f32 v[88:89], v[86:87], v[70:71], v[84:85] op_sel:[0,0,1] op_sel_hi:[1,1,0] neg_lo:[0,0,1] neg_hi:[0,0,1]
	v_pk_fma_f32 v[84:85], v[86:87], v[70:71], v[84:85] op_sel:[0,0,1] op_sel_hi:[1,0,0]
	v_mov_b32_e32 v89, v85
	ds_load_2addr_b64 v[84:87], v196 offset0:39 offset1:40
	v_pk_add_f32 v[160:161], v[160:161], v[88:89] neg_lo:[0,1] neg_hi:[0,1]
	s_wait_dscnt 0x0
	v_pk_mul_f32 v[88:89], v[84:85], v[72:73] op_sel:[0,1]
	s_delay_alu instid0(VALU_DEP_1) | instskip(SKIP_1) | instid1(VALU_DEP_1)
	v_pk_fma_f32 v[90:91], v[84:85], v[70:71], v[88:89] op_sel:[0,0,1] op_sel_hi:[1,1,0] neg_lo:[0,0,1] neg_hi:[0,0,1]
	v_pk_fma_f32 v[84:85], v[84:85], v[70:71], v[88:89] op_sel:[0,0,1] op_sel_hi:[1,0,0]
	v_mov_b32_e32 v91, v85
	v_pk_mul_f32 v[84:85], v[86:87], v[72:73] op_sel:[0,1]
	s_delay_alu instid0(VALU_DEP_2) | instskip(NEXT) | instid1(VALU_DEP_2)
	v_pk_add_f32 v[156:157], v[156:157], v[90:91] neg_lo:[0,1] neg_hi:[0,1]
	v_pk_fma_f32 v[88:89], v[86:87], v[70:71], v[84:85] op_sel:[0,0,1] op_sel_hi:[1,1,0] neg_lo:[0,0,1] neg_hi:[0,0,1]
	v_pk_fma_f32 v[84:85], v[86:87], v[70:71], v[84:85] op_sel:[0,0,1] op_sel_hi:[1,0,0]
	s_delay_alu instid0(VALU_DEP_1) | instskip(SKIP_4) | instid1(VALU_DEP_1)
	v_mov_b32_e32 v89, v85
	ds_load_2addr_b64 v[84:87], v196 offset0:41 offset1:42
	v_pk_add_f32 v[178:179], v[178:179], v[88:89] neg_lo:[0,1] neg_hi:[0,1]
	s_wait_dscnt 0x0
	v_pk_mul_f32 v[88:89], v[84:85], v[72:73] op_sel:[0,1]
	v_pk_fma_f32 v[90:91], v[84:85], v[70:71], v[88:89] op_sel:[0,0,1] op_sel_hi:[1,1,0] neg_lo:[0,0,1] neg_hi:[0,0,1]
	v_pk_fma_f32 v[84:85], v[84:85], v[70:71], v[88:89] op_sel:[0,0,1] op_sel_hi:[1,0,0]
	v_dual_mul_f32 v88, v87, v73 :: v_dual_mov_b32 v84, v87
	s_delay_alu instid0(VALU_DEP_2) | instskip(NEXT) | instid1(VALU_DEP_2)
	v_dual_mov_b32 v91, v85 :: v_dual_mov_b32 v85, v86
	v_pk_fma_f32 v[88:89], v[86:87], v[130:131], v[88:89] op_sel_hi:[1,1,0] neg_lo:[0,0,1] neg_hi:[0,0,1]
	v_mul_f32_e32 v86, v87, v70
	s_delay_alu instid0(VALU_DEP_3) | instskip(NEXT) | instid1(VALU_DEP_2)
	v_pk_add_f32 v[174:175], v[174:175], v[90:91] neg_lo:[0,1] neg_hi:[0,1]
	v_pk_fma_f32 v[84:85], v[84:85], v[130:131], v[86:87] op_sel_hi:[1,1,0]
	s_delay_alu instid0(VALU_DEP_1) | instskip(SKIP_4) | instid1(VALU_DEP_1)
	v_mov_b32_e32 v89, v85
	ds_load_2addr_b64 v[84:87], v196 offset0:43 offset1:44
	v_pk_add_f32 v[176:177], v[176:177], v[88:89] neg_lo:[0,1] neg_hi:[0,1]
	s_wait_dscnt 0x0
	v_pk_mul_f32 v[88:89], v[84:85], v[72:73] op_sel:[0,1]
	v_pk_fma_f32 v[90:91], v[84:85], v[70:71], v[88:89] op_sel:[0,0,1] op_sel_hi:[1,1,0] neg_lo:[0,0,1] neg_hi:[0,0,1]
	v_pk_fma_f32 v[84:85], v[84:85], v[70:71], v[88:89] op_sel:[0,0,1] op_sel_hi:[1,0,0]
	s_delay_alu instid0(VALU_DEP_1) | instskip(SKIP_1) | instid1(VALU_DEP_1)
	v_mov_b32_e32 v91, v85
	v_pk_mul_f32 v[84:85], v[86:87], v[72:73] op_sel:[0,1]
	v_pk_fma_f32 v[88:89], v[86:87], v[70:71], v[84:85] op_sel:[0,0,1] op_sel_hi:[1,1,0] neg_lo:[0,0,1] neg_hi:[0,0,1]
	v_pk_fma_f32 v[84:85], v[86:87], v[70:71], v[84:85] op_sel:[0,0,1] op_sel_hi:[1,0,0]
	s_delay_alu instid0(VALU_DEP_1)
	v_mov_b32_e32 v89, v85
	ds_load_2addr_b64 v[84:87], v196 offset0:45 offset1:46
	v_pk_add_f32 v[172:173], v[172:173], v[90:91] neg_lo:[0,1] neg_hi:[0,1]
	v_pk_add_f32 v[194:195], v[194:195], v[88:89] neg_lo:[0,1] neg_hi:[0,1]
	s_wait_dscnt 0x0
	v_pk_mul_f32 v[88:89], v[84:85], v[72:73] op_sel:[0,1]
	s_delay_alu instid0(VALU_DEP_1) | instskip(SKIP_1) | instid1(VALU_DEP_1)
	v_pk_fma_f32 v[90:91], v[84:85], v[70:71], v[88:89] op_sel:[0,0,1] op_sel_hi:[1,1,0] neg_lo:[0,0,1] neg_hi:[0,0,1]
	v_pk_fma_f32 v[84:85], v[84:85], v[70:71], v[88:89] op_sel:[0,0,1] op_sel_hi:[1,0,0]
	v_mov_b32_e32 v91, v85
	v_pk_mul_f32 v[84:85], v[86:87], v[72:73] op_sel:[0,1]
	s_delay_alu instid0(VALU_DEP_1) | instskip(SKIP_1) | instid1(VALU_DEP_1)
	v_pk_fma_f32 v[88:89], v[86:87], v[70:71], v[84:85] op_sel:[0,0,1] op_sel_hi:[1,1,0] neg_lo:[0,0,1] neg_hi:[0,0,1]
	v_pk_fma_f32 v[84:85], v[86:87], v[70:71], v[84:85] op_sel:[0,0,1] op_sel_hi:[1,0,0]
	v_mov_b32_e32 v89, v85
	ds_load_2addr_b64 v[84:87], v196 offset0:47 offset1:48
	v_pk_add_f32 v[190:191], v[190:191], v[90:91] neg_lo:[0,1] neg_hi:[0,1]
	v_pk_add_f32 v[192:193], v[192:193], v[88:89] neg_lo:[0,1] neg_hi:[0,1]
	s_wait_dscnt 0x0
	v_dual_mul_f32 v88, v85, v73 :: v_dual_mul_f32 v90, v85, v70
	s_delay_alu instid0(VALU_DEP_1) | instskip(NEXT) | instid1(VALU_DEP_2)
	v_pk_fma_f32 v[88:89], v[84:85], v[130:131], v[88:89] op_sel_hi:[1,1,0] neg_lo:[0,0,1] neg_hi:[0,0,1]
	v_pk_fma_f32 v[84:85], v[84:85], v[130:131], v[90:91] op_sel:[1,0,0] op_sel_hi:[0,1,0]
	s_delay_alu instid0(VALU_DEP_1) | instskip(SKIP_1) | instid1(VALU_DEP_2)
	v_mov_b32_e32 v89, v85
	v_pk_mul_f32 v[84:85], v[86:87], v[72:73] op_sel:[0,1]
	v_pk_add_f32 v[188:189], v[188:189], v[88:89] neg_lo:[0,1] neg_hi:[0,1]
	s_delay_alu instid0(VALU_DEP_2) | instskip(SKIP_1) | instid1(VALU_DEP_1)
	v_pk_fma_f32 v[88:89], v[86:87], v[70:71], v[84:85] op_sel:[0,0,1] op_sel_hi:[1,1,0] neg_lo:[0,0,1] neg_hi:[0,0,1]
	v_pk_fma_f32 v[84:85], v[86:87], v[70:71], v[84:85] op_sel:[0,0,1] op_sel_hi:[1,0,0]
	v_mov_b32_e32 v89, v85
	ds_load_2addr_b64 v[84:87], v196 offset0:49 offset1:50
	v_pk_add_f32 v[212:213], v[212:213], v[88:89] neg_lo:[0,1] neg_hi:[0,1]
	s_wait_dscnt 0x0
	v_pk_mul_f32 v[88:89], v[84:85], v[72:73] op_sel:[0,1]
	s_delay_alu instid0(VALU_DEP_1) | instskip(SKIP_1) | instid1(VALU_DEP_1)
	v_pk_fma_f32 v[90:91], v[84:85], v[70:71], v[88:89] op_sel:[0,0,1] op_sel_hi:[1,1,0] neg_lo:[0,0,1] neg_hi:[0,0,1]
	v_pk_fma_f32 v[84:85], v[84:85], v[70:71], v[88:89] op_sel:[0,0,1] op_sel_hi:[1,0,0]
	v_mov_b32_e32 v91, v85
	v_pk_mul_f32 v[84:85], v[86:87], v[72:73] op_sel:[0,1]
	s_delay_alu instid0(VALU_DEP_2) | instskip(NEXT) | instid1(VALU_DEP_2)
	v_pk_add_f32 v[208:209], v[208:209], v[90:91] neg_lo:[0,1] neg_hi:[0,1]
	v_pk_fma_f32 v[88:89], v[86:87], v[70:71], v[84:85] op_sel:[0,0,1] op_sel_hi:[1,1,0] neg_lo:[0,0,1] neg_hi:[0,0,1]
	v_pk_fma_f32 v[84:85], v[86:87], v[70:71], v[84:85] op_sel:[0,0,1] op_sel_hi:[1,0,0]
	s_delay_alu instid0(VALU_DEP_1) | instskip(SKIP_4) | instid1(VALU_DEP_1)
	v_mov_b32_e32 v89, v85
	ds_load_2addr_b64 v[84:87], v196 offset0:51 offset1:52
	v_pk_add_f32 v[210:211], v[210:211], v[88:89] neg_lo:[0,1] neg_hi:[0,1]
	s_wait_dscnt 0x0
	v_pk_mul_f32 v[88:89], v[84:85], v[72:73] op_sel:[0,1]
	v_pk_fma_f32 v[90:91], v[84:85], v[70:71], v[88:89] op_sel:[0,0,1] op_sel_hi:[1,1,0] neg_lo:[0,0,1] neg_hi:[0,0,1]
	v_pk_fma_f32 v[84:85], v[84:85], v[70:71], v[88:89] op_sel:[0,0,1] op_sel_hi:[1,0,0]
	v_dual_mul_f32 v88, v87, v73 :: v_dual_mov_b32 v84, v87
	s_delay_alu instid0(VALU_DEP_2) | instskip(NEXT) | instid1(VALU_DEP_2)
	v_dual_mov_b32 v91, v85 :: v_dual_mov_b32 v85, v86
	v_pk_fma_f32 v[88:89], v[86:87], v[130:131], v[88:89] op_sel_hi:[1,1,0] neg_lo:[0,0,1] neg_hi:[0,0,1]
	v_mul_f32_e32 v86, v87, v70
	s_delay_alu instid0(VALU_DEP_3) | instskip(NEXT) | instid1(VALU_DEP_2)
	v_pk_add_f32 v[206:207], v[206:207], v[90:91] neg_lo:[0,1] neg_hi:[0,1]
	v_pk_fma_f32 v[84:85], v[84:85], v[130:131], v[86:87] op_sel_hi:[1,1,0]
	s_delay_alu instid0(VALU_DEP_1) | instskip(SKIP_4) | instid1(VALU_DEP_1)
	v_mov_b32_e32 v89, v85
	ds_load_2addr_b64 v[84:87], v196 offset0:53 offset1:54
	v_pk_add_f32 v[228:229], v[228:229], v[88:89] neg_lo:[0,1] neg_hi:[0,1]
	s_wait_dscnt 0x0
	v_pk_mul_f32 v[88:89], v[84:85], v[72:73] op_sel:[0,1]
	v_pk_fma_f32 v[90:91], v[84:85], v[70:71], v[88:89] op_sel:[0,0,1] op_sel_hi:[1,1,0] neg_lo:[0,0,1] neg_hi:[0,0,1]
	v_pk_fma_f32 v[84:85], v[84:85], v[70:71], v[88:89] op_sel:[0,0,1] op_sel_hi:[1,0,0]
	s_delay_alu instid0(VALU_DEP_1) | instskip(SKIP_1) | instid1(VALU_DEP_1)
	v_mov_b32_e32 v91, v85
	v_pk_mul_f32 v[84:85], v[86:87], v[72:73] op_sel:[0,1]
	v_pk_fma_f32 v[88:89], v[86:87], v[70:71], v[84:85] op_sel:[0,0,1] op_sel_hi:[1,1,0] neg_lo:[0,0,1] neg_hi:[0,0,1]
	v_pk_fma_f32 v[84:85], v[86:87], v[70:71], v[84:85] op_sel:[0,0,1] op_sel_hi:[1,0,0]
	s_delay_alu instid0(VALU_DEP_1)
	v_mov_b32_e32 v89, v85
	ds_load_2addr_b64 v[84:87], v196 offset0:55 offset1:56
	v_pk_add_f32 v[224:225], v[224:225], v[90:91] neg_lo:[0,1] neg_hi:[0,1]
	v_pk_add_f32 v[226:227], v[226:227], v[88:89] neg_lo:[0,1] neg_hi:[0,1]
	s_wait_dscnt 0x0
	v_pk_mul_f32 v[88:89], v[84:85], v[72:73] op_sel:[0,1]
	s_delay_alu instid0(VALU_DEP_1) | instskip(SKIP_1) | instid1(VALU_DEP_1)
	v_pk_fma_f32 v[90:91], v[84:85], v[70:71], v[88:89] op_sel:[0,0,1] op_sel_hi:[1,1,0] neg_lo:[0,0,1] neg_hi:[0,0,1]
	v_pk_fma_f32 v[84:85], v[84:85], v[70:71], v[88:89] op_sel:[0,0,1] op_sel_hi:[1,0,0]
	v_mov_b32_e32 v91, v85
	v_pk_mul_f32 v[84:85], v[86:87], v[72:73] op_sel:[0,1]
	s_delay_alu instid0(VALU_DEP_1) | instskip(SKIP_1) | instid1(VALU_DEP_1)
	v_pk_fma_f32 v[88:89], v[86:87], v[70:71], v[84:85] op_sel:[0,0,1] op_sel_hi:[1,1,0] neg_lo:[0,0,1] neg_hi:[0,0,1]
	v_pk_fma_f32 v[84:85], v[86:87], v[70:71], v[84:85] op_sel:[0,0,1] op_sel_hi:[1,0,0]
	v_mov_b32_e32 v89, v85
	ds_load_b64 v[84:85], v196 offset:456
	v_pk_add_f32 v[222:223], v[222:223], v[90:91] neg_lo:[0,1] neg_hi:[0,1]
	v_pk_add_f32 v[230:231], v[230:231], v[88:89] neg_lo:[0,1] neg_hi:[0,1]
	s_wait_dscnt 0x0
	v_pk_mul_f32 v[72:73], v[84:85], v[72:73] op_sel:[0,1]
	s_delay_alu instid0(VALU_DEP_1) | instskip(SKIP_1) | instid1(VALU_DEP_1)
	v_pk_fma_f32 v[86:87], v[84:85], v[70:71], v[72:73] op_sel:[0,0,1] op_sel_hi:[1,1,0] neg_lo:[0,0,1] neg_hi:[0,0,1]
	v_pk_fma_f32 v[70:71], v[84:85], v[70:71], v[72:73] op_sel:[0,0,1] op_sel_hi:[1,0,0]
	v_mov_b32_e32 v87, v71
	s_delay_alu instid0(VALU_DEP_1)
	v_pk_add_f32 v[232:233], v[232:233], v[86:87] neg_lo:[0,1] neg_hi:[0,1]
.LBB115_262:
	s_or_b32 exec_lo, exec_lo, s1
	s_delay_alu instid0(SALU_CYCLE_1)
	s_mov_b32 s2, exec_lo
	s_wait_dscnt 0x0
	s_barrier_signal -1
	s_barrier_wait -1
	v_cmpx_eq_u32_e32 29, v186
	s_cbranch_execz .LBB115_269
; %bb.263:
	v_dual_mov_b32 v70, v128 :: v_dual_mov_b32 v71, v129
	v_dual_mov_b32 v72, v124 :: v_dual_mov_b32 v73, v125
	ds_store_b64 v187, v[126:127]
	ds_store_2addr_b64 v196, v[70:71], v[72:73] offset0:30 offset1:31
	v_dual_mov_b32 v70, v146 :: v_dual_mov_b32 v71, v147
	v_dual_mov_b32 v72, v142 :: v_dual_mov_b32 v73, v143
	ds_store_2addr_b64 v196, v[70:71], v[72:73] offset0:32 offset1:33
	v_dual_mov_b32 v70, v144 :: v_dual_mov_b32 v71, v145
	v_dual_mov_b32 v72, v140 :: v_dual_mov_b32 v73, v141
	;; [unrolled: 3-line block ×12, first 2 shown]
	ds_store_2addr_b64 v196, v[70:71], v[72:73] offset0:54 offset1:55
	v_dual_mov_b32 v70, v230 :: v_dual_mov_b32 v71, v231
	ds_store_2addr_b64 v196, v[70:71], v[232:233] offset0:56 offset1:57
	ds_load_b64 v[70:71], v187
	s_wait_dscnt 0x0
	v_cmp_neq_f32_e32 vcc_lo, 0, v70
	v_cmp_neq_f32_e64 s1, 0, v71
	s_or_b32 s1, vcc_lo, s1
	s_delay_alu instid0(SALU_CYCLE_1)
	s_and_b32 exec_lo, exec_lo, s1
	s_cbranch_execz .LBB115_269
; %bb.264:
	v_cmp_ngt_f32_e64 s1, |v70|, |v71|
                                        ; implicit-def: $vgpr72_vgpr73
	s_and_saveexec_b32 s4, s1
	s_delay_alu instid0(SALU_CYCLE_1)
	s_xor_b32 s1, exec_lo, s4
	s_cbranch_execz .LBB115_266
; %bb.265:
	v_div_scale_f32 v72, null, v71, v71, v70
	v_div_scale_f32 v85, vcc_lo, v70, v71, v70
	s_delay_alu instid0(VALU_DEP_2) | instskip(SKIP_1) | instid1(TRANS32_DEP_1)
	v_rcp_f32_e32 v73, v72
	v_nop
	v_fma_f32 v84, -v72, v73, 1.0
	s_delay_alu instid0(VALU_DEP_1) | instskip(NEXT) | instid1(VALU_DEP_1)
	v_fmac_f32_e32 v73, v84, v73
	v_mul_f32_e32 v84, v85, v73
	s_delay_alu instid0(VALU_DEP_1) | instskip(NEXT) | instid1(VALU_DEP_1)
	v_fma_f32 v86, -v72, v84, v85
	v_fmac_f32_e32 v84, v86, v73
	s_delay_alu instid0(VALU_DEP_1) | instskip(NEXT) | instid1(VALU_DEP_1)
	v_fma_f32 v72, -v72, v84, v85
	v_div_fmas_f32 v72, v72, v73, v84
	s_delay_alu instid0(VALU_DEP_1) | instskip(NEXT) | instid1(VALU_DEP_1)
	v_div_fixup_f32 v72, v72, v71, v70
	v_fmac_f32_e32 v71, v70, v72
	s_delay_alu instid0(VALU_DEP_1) | instskip(SKIP_1) | instid1(VALU_DEP_2)
	v_div_scale_f32 v70, null, v71, v71, 1.0
	v_div_scale_f32 v85, vcc_lo, 1.0, v71, 1.0
	v_rcp_f32_e32 v73, v70
	v_nop
	s_delay_alu instid0(TRANS32_DEP_1) | instskip(NEXT) | instid1(VALU_DEP_1)
	v_fma_f32 v84, -v70, v73, 1.0
	v_fmac_f32_e32 v73, v84, v73
	s_delay_alu instid0(VALU_DEP_1) | instskip(NEXT) | instid1(VALU_DEP_1)
	v_mul_f32_e32 v84, v85, v73
	v_fma_f32 v86, -v70, v84, v85
	s_delay_alu instid0(VALU_DEP_1) | instskip(NEXT) | instid1(VALU_DEP_1)
	v_fmac_f32_e32 v84, v86, v73
	v_fma_f32 v70, -v70, v84, v85
	s_delay_alu instid0(VALU_DEP_1) | instskip(NEXT) | instid1(VALU_DEP_1)
	v_div_fmas_f32 v70, v70, v73, v84
	v_div_fixup_f32 v70, v70, v71, 1.0
	s_delay_alu instid0(VALU_DEP_1)
	v_mul_f32_e32 v72, v72, v70
	v_xor_b32_e32 v73, 0x80000000, v70
                                        ; implicit-def: $vgpr70_vgpr71
.LBB115_266:
	s_and_not1_saveexec_b32 s1, s1
	s_cbranch_execz .LBB115_268
; %bb.267:
	v_div_scale_f32 v72, null, v70, v70, v71
	v_div_scale_f32 v85, vcc_lo, v71, v70, v71
	s_delay_alu instid0(VALU_DEP_2) | instskip(SKIP_1) | instid1(TRANS32_DEP_1)
	v_rcp_f32_e32 v73, v72
	v_nop
	v_fma_f32 v84, -v72, v73, 1.0
	s_delay_alu instid0(VALU_DEP_1) | instskip(NEXT) | instid1(VALU_DEP_1)
	v_fmac_f32_e32 v73, v84, v73
	v_mul_f32_e32 v84, v85, v73
	s_delay_alu instid0(VALU_DEP_1) | instskip(NEXT) | instid1(VALU_DEP_1)
	v_fma_f32 v86, -v72, v84, v85
	v_fmac_f32_e32 v84, v86, v73
	s_delay_alu instid0(VALU_DEP_1) | instskip(NEXT) | instid1(VALU_DEP_1)
	v_fma_f32 v72, -v72, v84, v85
	v_div_fmas_f32 v72, v72, v73, v84
	s_delay_alu instid0(VALU_DEP_1) | instskip(NEXT) | instid1(VALU_DEP_1)
	v_div_fixup_f32 v73, v72, v70, v71
	v_fmac_f32_e32 v70, v71, v73
	s_delay_alu instid0(VALU_DEP_1) | instskip(NEXT) | instid1(VALU_DEP_1)
	v_div_scale_f32 v71, null, v70, v70, 1.0
	v_rcp_f32_e32 v72, v71
	v_nop
	s_delay_alu instid0(TRANS32_DEP_1) | instskip(NEXT) | instid1(VALU_DEP_1)
	v_fma_f32 v84, -v71, v72, 1.0
	v_fmac_f32_e32 v72, v84, v72
	v_div_scale_f32 v84, vcc_lo, 1.0, v70, 1.0
	s_delay_alu instid0(VALU_DEP_1) | instskip(NEXT) | instid1(VALU_DEP_1)
	v_mul_f32_e32 v85, v84, v72
	v_fma_f32 v86, -v71, v85, v84
	s_delay_alu instid0(VALU_DEP_1) | instskip(NEXT) | instid1(VALU_DEP_1)
	v_fmac_f32_e32 v85, v86, v72
	v_fma_f32 v71, -v71, v85, v84
	s_delay_alu instid0(VALU_DEP_1) | instskip(NEXT) | instid1(VALU_DEP_1)
	v_div_fmas_f32 v71, v71, v72, v85
	v_div_fixup_f32 v72, v71, v70, 1.0
	s_delay_alu instid0(VALU_DEP_1)
	v_mul_f32_e64 v73, v73, -v72
.LBB115_268:
	s_or_b32 exec_lo, exec_lo, s1
	ds_store_b64 v187, v[72:73]
.LBB115_269:
	s_or_b32 exec_lo, exec_lo, s2
	s_wait_dscnt 0x0
	s_barrier_signal -1
	s_barrier_wait -1
	ds_load_b64 v[70:71], v187
	s_mov_b32 s1, exec_lo
	v_cmpx_lt_u32_e32 29, v186
	s_cbranch_execz .LBB115_271
; %bb.270:
	ds_load_2addr_b64 v[86:89], v196 offset0:30 offset1:31
	s_wait_dscnt 0x1
	v_pk_mul_f32 v[84:85], v[70:71], v[126:127] op_sel:[1,1] op_sel_hi:[0,1]
	s_delay_alu instid0(VALU_DEP_1) | instskip(SKIP_1) | instid1(VALU_DEP_1)
	v_pk_fma_f32 v[72:73], v[70:71], v[126:127], v[84:85] op_sel_hi:[1,0,1] neg_lo:[0,0,1] neg_hi:[0,0,1]
	v_pk_fma_f32 v[84:85], v[70:71], v[126:127], v[84:85] op_sel_hi:[1,0,1]
	v_dual_mov_b32 v126, v72 :: v_dual_mov_b32 v127, v85
	s_wait_dscnt 0x0
	s_delay_alu instid0(VALU_DEP_2) | instskip(NEXT) | instid1(VALU_DEP_1)
	v_pk_mul_f32 v[90:91], v[86:87], v[84:85] op_sel:[0,1]
	v_pk_fma_f32 v[100:101], v[86:87], v[72:73], v[90:91] op_sel:[0,0,1] op_sel_hi:[1,1,0] neg_lo:[0,0,1] neg_hi:[0,0,1]
	v_pk_fma_f32 v[86:87], v[86:87], v[72:73], v[90:91] op_sel:[0,0,1] op_sel_hi:[1,0,0]
	s_delay_alu instid0(VALU_DEP_1) | instskip(SKIP_1) | instid1(VALU_DEP_1)
	v_mov_b32_e32 v101, v87
	v_pk_mul_f32 v[86:87], v[88:89], v[84:85] op_sel:[0,1]
	v_pk_fma_f32 v[90:91], v[88:89], v[72:73], v[86:87] op_sel:[0,0,1] op_sel_hi:[1,1,0] neg_lo:[0,0,1] neg_hi:[0,0,1]
	v_pk_fma_f32 v[86:87], v[88:89], v[72:73], v[86:87] op_sel:[0,0,1] op_sel_hi:[1,0,0]
	s_delay_alu instid0(VALU_DEP_1)
	v_mov_b32_e32 v91, v87
	ds_load_2addr_b64 v[86:89], v196 offset0:32 offset1:33
	v_pk_add_f32 v[128:129], v[128:129], v[100:101] neg_lo:[0,1] neg_hi:[0,1]
	v_pk_add_f32 v[124:125], v[124:125], v[90:91] neg_lo:[0,1] neg_hi:[0,1]
	s_wait_dscnt 0x0
	v_pk_mul_f32 v[90:91], v[86:87], v[84:85] op_sel:[0,1]
	s_delay_alu instid0(VALU_DEP_1) | instskip(SKIP_2) | instid1(VALU_DEP_2)
	v_pk_fma_f32 v[100:101], v[86:87], v[72:73], v[90:91] op_sel:[0,0,1] op_sel_hi:[1,1,0] neg_lo:[0,0,1] neg_hi:[0,0,1]
	v_pk_fma_f32 v[86:87], v[86:87], v[72:73], v[90:91] op_sel:[0,0,1] op_sel_hi:[1,0,0]
	v_dual_mul_f32 v90, v89, v85 :: v_dual_mov_b32 v86, v89
	v_dual_mov_b32 v101, v87 :: v_dual_mov_b32 v87, v88
	s_delay_alu instid0(VALU_DEP_2) | instskip(SKIP_1) | instid1(VALU_DEP_3)
	v_pk_fma_f32 v[90:91], v[88:89], v[126:127], v[90:91] op_sel_hi:[1,1,0] neg_lo:[0,0,1] neg_hi:[0,0,1]
	v_mul_f32_e32 v88, v89, v72
	v_pk_add_f32 v[146:147], v[146:147], v[100:101] neg_lo:[0,1] neg_hi:[0,1]
	s_delay_alu instid0(VALU_DEP_2) | instskip(NEXT) | instid1(VALU_DEP_1)
	v_pk_fma_f32 v[86:87], v[86:87], v[126:127], v[88:89] op_sel_hi:[1,1,0]
	v_mov_b32_e32 v91, v87
	ds_load_2addr_b64 v[86:89], v196 offset0:34 offset1:35
	v_pk_add_f32 v[142:143], v[142:143], v[90:91] neg_lo:[0,1] neg_hi:[0,1]
	s_wait_dscnt 0x0
	v_pk_mul_f32 v[90:91], v[86:87], v[84:85] op_sel:[0,1]
	s_delay_alu instid0(VALU_DEP_1) | instskip(SKIP_1) | instid1(VALU_DEP_1)
	v_pk_fma_f32 v[100:101], v[86:87], v[72:73], v[90:91] op_sel:[0,0,1] op_sel_hi:[1,1,0] neg_lo:[0,0,1] neg_hi:[0,0,1]
	v_pk_fma_f32 v[86:87], v[86:87], v[72:73], v[90:91] op_sel:[0,0,1] op_sel_hi:[1,0,0]
	v_mov_b32_e32 v101, v87
	v_pk_mul_f32 v[86:87], v[88:89], v[84:85] op_sel:[0,1]
	s_delay_alu instid0(VALU_DEP_1) | instskip(SKIP_1) | instid1(VALU_DEP_1)
	v_pk_fma_f32 v[90:91], v[88:89], v[72:73], v[86:87] op_sel:[0,0,1] op_sel_hi:[1,1,0] neg_lo:[0,0,1] neg_hi:[0,0,1]
	v_pk_fma_f32 v[86:87], v[88:89], v[72:73], v[86:87] op_sel:[0,0,1] op_sel_hi:[1,0,0]
	v_mov_b32_e32 v91, v87
	ds_load_2addr_b64 v[86:89], v196 offset0:36 offset1:37
	v_pk_add_f32 v[144:145], v[144:145], v[100:101] neg_lo:[0,1] neg_hi:[0,1]
	v_pk_add_f32 v[140:141], v[140:141], v[90:91] neg_lo:[0,1] neg_hi:[0,1]
	s_wait_dscnt 0x0
	v_pk_mul_f32 v[90:91], v[86:87], v[84:85] op_sel:[0,1]
	s_delay_alu instid0(VALU_DEP_1) | instskip(SKIP_1) | instid1(VALU_DEP_1)
	v_pk_fma_f32 v[100:101], v[86:87], v[72:73], v[90:91] op_sel:[0,0,1] op_sel_hi:[1,1,0] neg_lo:[0,0,1] neg_hi:[0,0,1]
	v_pk_fma_f32 v[86:87], v[86:87], v[72:73], v[90:91] op_sel:[0,0,1] op_sel_hi:[1,0,0]
	v_mov_b32_e32 v101, v87
	v_pk_mul_f32 v[86:87], v[88:89], v[84:85] op_sel:[0,1]
	s_delay_alu instid0(VALU_DEP_1) | instskip(SKIP_1) | instid1(VALU_DEP_1)
	v_pk_fma_f32 v[90:91], v[88:89], v[72:73], v[86:87] op_sel:[0,0,1] op_sel_hi:[1,1,0] neg_lo:[0,0,1] neg_hi:[0,0,1]
	v_pk_fma_f32 v[86:87], v[88:89], v[72:73], v[86:87] op_sel:[0,0,1] op_sel_hi:[1,0,0]
	v_mov_b32_e32 v91, v87
	ds_load_2addr_b64 v[86:89], v196 offset0:38 offset1:39
	v_pk_add_f32 v[162:163], v[162:163], v[100:101] neg_lo:[0,1] neg_hi:[0,1]
	v_pk_add_f32 v[158:159], v[158:159], v[90:91] neg_lo:[0,1] neg_hi:[0,1]
	s_wait_dscnt 0x0
	v_dual_mul_f32 v90, v87, v85 :: v_dual_mul_f32 v100, v87, v72
	s_delay_alu instid0(VALU_DEP_1) | instskip(NEXT) | instid1(VALU_DEP_2)
	v_pk_fma_f32 v[90:91], v[86:87], v[126:127], v[90:91] op_sel_hi:[1,1,0] neg_lo:[0,0,1] neg_hi:[0,0,1]
	v_pk_fma_f32 v[86:87], v[86:87], v[126:127], v[100:101] op_sel:[1,0,0] op_sel_hi:[0,1,0]
	s_delay_alu instid0(VALU_DEP_1) | instskip(SKIP_1) | instid1(VALU_DEP_2)
	v_mov_b32_e32 v91, v87
	v_pk_mul_f32 v[86:87], v[88:89], v[84:85] op_sel:[0,1]
	v_pk_add_f32 v[160:161], v[160:161], v[90:91] neg_lo:[0,1] neg_hi:[0,1]
	s_delay_alu instid0(VALU_DEP_2) | instskip(SKIP_1) | instid1(VALU_DEP_1)
	v_pk_fma_f32 v[90:91], v[88:89], v[72:73], v[86:87] op_sel:[0,0,1] op_sel_hi:[1,1,0] neg_lo:[0,0,1] neg_hi:[0,0,1]
	v_pk_fma_f32 v[86:87], v[88:89], v[72:73], v[86:87] op_sel:[0,0,1] op_sel_hi:[1,0,0]
	v_mov_b32_e32 v91, v87
	ds_load_2addr_b64 v[86:89], v196 offset0:40 offset1:41
	v_pk_add_f32 v[156:157], v[156:157], v[90:91] neg_lo:[0,1] neg_hi:[0,1]
	s_wait_dscnt 0x0
	v_pk_mul_f32 v[90:91], v[86:87], v[84:85] op_sel:[0,1]
	s_delay_alu instid0(VALU_DEP_1) | instskip(SKIP_1) | instid1(VALU_DEP_1)
	v_pk_fma_f32 v[100:101], v[86:87], v[72:73], v[90:91] op_sel:[0,0,1] op_sel_hi:[1,1,0] neg_lo:[0,0,1] neg_hi:[0,0,1]
	v_pk_fma_f32 v[86:87], v[86:87], v[72:73], v[90:91] op_sel:[0,0,1] op_sel_hi:[1,0,0]
	v_mov_b32_e32 v101, v87
	v_pk_mul_f32 v[86:87], v[88:89], v[84:85] op_sel:[0,1]
	s_delay_alu instid0(VALU_DEP_2) | instskip(NEXT) | instid1(VALU_DEP_2)
	v_pk_add_f32 v[178:179], v[178:179], v[100:101] neg_lo:[0,1] neg_hi:[0,1]
	v_pk_fma_f32 v[90:91], v[88:89], v[72:73], v[86:87] op_sel:[0,0,1] op_sel_hi:[1,1,0] neg_lo:[0,0,1] neg_hi:[0,0,1]
	v_pk_fma_f32 v[86:87], v[88:89], v[72:73], v[86:87] op_sel:[0,0,1] op_sel_hi:[1,0,0]
	s_delay_alu instid0(VALU_DEP_1) | instskip(SKIP_4) | instid1(VALU_DEP_1)
	v_mov_b32_e32 v91, v87
	ds_load_2addr_b64 v[86:89], v196 offset0:42 offset1:43
	v_pk_add_f32 v[174:175], v[174:175], v[90:91] neg_lo:[0,1] neg_hi:[0,1]
	s_wait_dscnt 0x0
	v_pk_mul_f32 v[90:91], v[86:87], v[84:85] op_sel:[0,1]
	v_pk_fma_f32 v[100:101], v[86:87], v[72:73], v[90:91] op_sel:[0,0,1] op_sel_hi:[1,1,0] neg_lo:[0,0,1] neg_hi:[0,0,1]
	v_pk_fma_f32 v[86:87], v[86:87], v[72:73], v[90:91] op_sel:[0,0,1] op_sel_hi:[1,0,0]
	v_dual_mul_f32 v90, v89, v85 :: v_dual_mov_b32 v86, v89
	s_delay_alu instid0(VALU_DEP_2) | instskip(NEXT) | instid1(VALU_DEP_2)
	v_dual_mov_b32 v101, v87 :: v_dual_mov_b32 v87, v88
	v_pk_fma_f32 v[90:91], v[88:89], v[126:127], v[90:91] op_sel_hi:[1,1,0] neg_lo:[0,0,1] neg_hi:[0,0,1]
	v_mul_f32_e32 v88, v89, v72
	s_delay_alu instid0(VALU_DEP_3) | instskip(NEXT) | instid1(VALU_DEP_2)
	v_pk_add_f32 v[176:177], v[176:177], v[100:101] neg_lo:[0,1] neg_hi:[0,1]
	v_pk_fma_f32 v[86:87], v[86:87], v[126:127], v[88:89] op_sel_hi:[1,1,0]
	s_delay_alu instid0(VALU_DEP_1) | instskip(SKIP_4) | instid1(VALU_DEP_1)
	v_mov_b32_e32 v91, v87
	ds_load_2addr_b64 v[86:89], v196 offset0:44 offset1:45
	v_pk_add_f32 v[172:173], v[172:173], v[90:91] neg_lo:[0,1] neg_hi:[0,1]
	s_wait_dscnt 0x0
	v_pk_mul_f32 v[90:91], v[86:87], v[84:85] op_sel:[0,1]
	v_pk_fma_f32 v[100:101], v[86:87], v[72:73], v[90:91] op_sel:[0,0,1] op_sel_hi:[1,1,0] neg_lo:[0,0,1] neg_hi:[0,0,1]
	v_pk_fma_f32 v[86:87], v[86:87], v[72:73], v[90:91] op_sel:[0,0,1] op_sel_hi:[1,0,0]
	s_delay_alu instid0(VALU_DEP_1) | instskip(SKIP_1) | instid1(VALU_DEP_1)
	v_mov_b32_e32 v101, v87
	v_pk_mul_f32 v[86:87], v[88:89], v[84:85] op_sel:[0,1]
	v_pk_fma_f32 v[90:91], v[88:89], v[72:73], v[86:87] op_sel:[0,0,1] op_sel_hi:[1,1,0] neg_lo:[0,0,1] neg_hi:[0,0,1]
	v_pk_fma_f32 v[86:87], v[88:89], v[72:73], v[86:87] op_sel:[0,0,1] op_sel_hi:[1,0,0]
	s_delay_alu instid0(VALU_DEP_1)
	v_mov_b32_e32 v91, v87
	ds_load_2addr_b64 v[86:89], v196 offset0:46 offset1:47
	v_pk_add_f32 v[194:195], v[194:195], v[100:101] neg_lo:[0,1] neg_hi:[0,1]
	v_pk_add_f32 v[190:191], v[190:191], v[90:91] neg_lo:[0,1] neg_hi:[0,1]
	s_wait_dscnt 0x0
	v_pk_mul_f32 v[90:91], v[86:87], v[84:85] op_sel:[0,1]
	s_delay_alu instid0(VALU_DEP_1) | instskip(SKIP_1) | instid1(VALU_DEP_1)
	v_pk_fma_f32 v[100:101], v[86:87], v[72:73], v[90:91] op_sel:[0,0,1] op_sel_hi:[1,1,0] neg_lo:[0,0,1] neg_hi:[0,0,1]
	v_pk_fma_f32 v[86:87], v[86:87], v[72:73], v[90:91] op_sel:[0,0,1] op_sel_hi:[1,0,0]
	v_mov_b32_e32 v101, v87
	v_pk_mul_f32 v[86:87], v[88:89], v[84:85] op_sel:[0,1]
	s_delay_alu instid0(VALU_DEP_1) | instskip(SKIP_1) | instid1(VALU_DEP_1)
	v_pk_fma_f32 v[90:91], v[88:89], v[72:73], v[86:87] op_sel:[0,0,1] op_sel_hi:[1,1,0] neg_lo:[0,0,1] neg_hi:[0,0,1]
	v_pk_fma_f32 v[86:87], v[88:89], v[72:73], v[86:87] op_sel:[0,0,1] op_sel_hi:[1,0,0]
	v_mov_b32_e32 v91, v87
	ds_load_2addr_b64 v[86:89], v196 offset0:48 offset1:49
	v_pk_add_f32 v[192:193], v[192:193], v[100:101] neg_lo:[0,1] neg_hi:[0,1]
	v_pk_add_f32 v[188:189], v[188:189], v[90:91] neg_lo:[0,1] neg_hi:[0,1]
	s_wait_dscnt 0x0
	v_dual_mul_f32 v90, v87, v85 :: v_dual_mul_f32 v100, v87, v72
	s_delay_alu instid0(VALU_DEP_1) | instskip(NEXT) | instid1(VALU_DEP_2)
	v_pk_fma_f32 v[90:91], v[86:87], v[126:127], v[90:91] op_sel_hi:[1,1,0] neg_lo:[0,0,1] neg_hi:[0,0,1]
	v_pk_fma_f32 v[86:87], v[86:87], v[126:127], v[100:101] op_sel:[1,0,0] op_sel_hi:[0,1,0]
	s_delay_alu instid0(VALU_DEP_1) | instskip(SKIP_1) | instid1(VALU_DEP_2)
	v_mov_b32_e32 v91, v87
	v_pk_mul_f32 v[86:87], v[88:89], v[84:85] op_sel:[0,1]
	v_pk_add_f32 v[212:213], v[212:213], v[90:91] neg_lo:[0,1] neg_hi:[0,1]
	s_delay_alu instid0(VALU_DEP_2) | instskip(SKIP_1) | instid1(VALU_DEP_1)
	v_pk_fma_f32 v[90:91], v[88:89], v[72:73], v[86:87] op_sel:[0,0,1] op_sel_hi:[1,1,0] neg_lo:[0,0,1] neg_hi:[0,0,1]
	v_pk_fma_f32 v[86:87], v[88:89], v[72:73], v[86:87] op_sel:[0,0,1] op_sel_hi:[1,0,0]
	v_mov_b32_e32 v91, v87
	ds_load_2addr_b64 v[86:89], v196 offset0:50 offset1:51
	v_pk_add_f32 v[208:209], v[208:209], v[90:91] neg_lo:[0,1] neg_hi:[0,1]
	s_wait_dscnt 0x0
	v_pk_mul_f32 v[90:91], v[86:87], v[84:85] op_sel:[0,1]
	s_delay_alu instid0(VALU_DEP_1) | instskip(SKIP_1) | instid1(VALU_DEP_1)
	v_pk_fma_f32 v[100:101], v[86:87], v[72:73], v[90:91] op_sel:[0,0,1] op_sel_hi:[1,1,0] neg_lo:[0,0,1] neg_hi:[0,0,1]
	v_pk_fma_f32 v[86:87], v[86:87], v[72:73], v[90:91] op_sel:[0,0,1] op_sel_hi:[1,0,0]
	v_mov_b32_e32 v101, v87
	v_pk_mul_f32 v[86:87], v[88:89], v[84:85] op_sel:[0,1]
	s_delay_alu instid0(VALU_DEP_2) | instskip(NEXT) | instid1(VALU_DEP_2)
	v_pk_add_f32 v[210:211], v[210:211], v[100:101] neg_lo:[0,1] neg_hi:[0,1]
	v_pk_fma_f32 v[90:91], v[88:89], v[72:73], v[86:87] op_sel:[0,0,1] op_sel_hi:[1,1,0] neg_lo:[0,0,1] neg_hi:[0,0,1]
	v_pk_fma_f32 v[86:87], v[88:89], v[72:73], v[86:87] op_sel:[0,0,1] op_sel_hi:[1,0,0]
	s_delay_alu instid0(VALU_DEP_1) | instskip(SKIP_4) | instid1(VALU_DEP_1)
	v_mov_b32_e32 v91, v87
	ds_load_2addr_b64 v[86:89], v196 offset0:52 offset1:53
	v_pk_add_f32 v[206:207], v[206:207], v[90:91] neg_lo:[0,1] neg_hi:[0,1]
	s_wait_dscnt 0x0
	v_pk_mul_f32 v[90:91], v[86:87], v[84:85] op_sel:[0,1]
	v_pk_fma_f32 v[100:101], v[86:87], v[72:73], v[90:91] op_sel:[0,0,1] op_sel_hi:[1,1,0] neg_lo:[0,0,1] neg_hi:[0,0,1]
	v_pk_fma_f32 v[86:87], v[86:87], v[72:73], v[90:91] op_sel:[0,0,1] op_sel_hi:[1,0,0]
	v_dual_mul_f32 v90, v89, v85 :: v_dual_mov_b32 v86, v89
	s_delay_alu instid0(VALU_DEP_2) | instskip(NEXT) | instid1(VALU_DEP_2)
	v_dual_mov_b32 v101, v87 :: v_dual_mov_b32 v87, v88
	v_pk_fma_f32 v[90:91], v[88:89], v[126:127], v[90:91] op_sel_hi:[1,1,0] neg_lo:[0,0,1] neg_hi:[0,0,1]
	v_mul_f32_e32 v88, v89, v72
	s_delay_alu instid0(VALU_DEP_3) | instskip(NEXT) | instid1(VALU_DEP_2)
	v_pk_add_f32 v[228:229], v[228:229], v[100:101] neg_lo:[0,1] neg_hi:[0,1]
	v_pk_fma_f32 v[86:87], v[86:87], v[126:127], v[88:89] op_sel_hi:[1,1,0]
	s_delay_alu instid0(VALU_DEP_1) | instskip(SKIP_4) | instid1(VALU_DEP_1)
	v_mov_b32_e32 v91, v87
	ds_load_2addr_b64 v[86:89], v196 offset0:54 offset1:55
	v_pk_add_f32 v[224:225], v[224:225], v[90:91] neg_lo:[0,1] neg_hi:[0,1]
	s_wait_dscnt 0x0
	v_pk_mul_f32 v[90:91], v[86:87], v[84:85] op_sel:[0,1]
	v_pk_fma_f32 v[100:101], v[86:87], v[72:73], v[90:91] op_sel:[0,0,1] op_sel_hi:[1,1,0] neg_lo:[0,0,1] neg_hi:[0,0,1]
	v_pk_fma_f32 v[86:87], v[86:87], v[72:73], v[90:91] op_sel:[0,0,1] op_sel_hi:[1,0,0]
	s_delay_alu instid0(VALU_DEP_1) | instskip(SKIP_1) | instid1(VALU_DEP_1)
	v_mov_b32_e32 v101, v87
	v_pk_mul_f32 v[86:87], v[88:89], v[84:85] op_sel:[0,1]
	v_pk_fma_f32 v[90:91], v[88:89], v[72:73], v[86:87] op_sel:[0,0,1] op_sel_hi:[1,1,0] neg_lo:[0,0,1] neg_hi:[0,0,1]
	v_pk_fma_f32 v[86:87], v[88:89], v[72:73], v[86:87] op_sel:[0,0,1] op_sel_hi:[1,0,0]
	s_delay_alu instid0(VALU_DEP_1)
	v_mov_b32_e32 v91, v87
	ds_load_2addr_b64 v[86:89], v196 offset0:56 offset1:57
	v_pk_add_f32 v[226:227], v[226:227], v[100:101] neg_lo:[0,1] neg_hi:[0,1]
	v_pk_add_f32 v[222:223], v[222:223], v[90:91] neg_lo:[0,1] neg_hi:[0,1]
	s_wait_dscnt 0x0
	v_pk_mul_f32 v[90:91], v[86:87], v[84:85] op_sel:[0,1]
	v_pk_mul_f32 v[84:85], v[88:89], v[84:85] op_sel:[0,1]
	s_delay_alu instid0(VALU_DEP_2) | instskip(SKIP_1) | instid1(VALU_DEP_1)
	v_pk_fma_f32 v[100:101], v[86:87], v[72:73], v[90:91] op_sel:[0,0,1] op_sel_hi:[1,1,0] neg_lo:[0,0,1] neg_hi:[0,0,1]
	v_pk_fma_f32 v[86:87], v[86:87], v[72:73], v[90:91] op_sel:[0,0,1] op_sel_hi:[1,0,0]
	v_mov_b32_e32 v101, v87
	s_delay_alu instid0(VALU_DEP_4) | instskip(SKIP_1) | instid1(VALU_DEP_1)
	v_pk_fma_f32 v[86:87], v[88:89], v[72:73], v[84:85] op_sel:[0,0,1] op_sel_hi:[1,1,0] neg_lo:[0,0,1] neg_hi:[0,0,1]
	v_pk_fma_f32 v[72:73], v[88:89], v[72:73], v[84:85] op_sel:[0,0,1] op_sel_hi:[1,0,0]
	v_mov_b32_e32 v87, v73
	s_delay_alu instid0(VALU_DEP_4) | instskip(NEXT) | instid1(VALU_DEP_2)
	v_pk_add_f32 v[230:231], v[230:231], v[100:101] neg_lo:[0,1] neg_hi:[0,1]
	v_pk_add_f32 v[232:233], v[232:233], v[86:87] neg_lo:[0,1] neg_hi:[0,1]
.LBB115_271:
	s_or_b32 exec_lo, exec_lo, s1
	s_delay_alu instid0(SALU_CYCLE_1)
	s_mov_b32 s2, exec_lo
	s_wait_dscnt 0x0
	s_barrier_signal -1
	s_barrier_wait -1
	v_cmpx_eq_u32_e32 30, v186
	s_cbranch_execz .LBB115_278
; %bb.272:
	ds_store_b64 v187, v[128:129]
	ds_store_2addr_b64 v196, v[124:125], v[146:147] offset0:31 offset1:32
	ds_store_2addr_b64 v196, v[142:143], v[144:145] offset0:33 offset1:34
	;; [unrolled: 1-line block ×13, first 2 shown]
	ds_store_b64 v196, v[232:233] offset:456
	ds_load_b64 v[72:73], v187
	s_wait_dscnt 0x0
	v_cmp_neq_f32_e32 vcc_lo, 0, v72
	v_cmp_neq_f32_e64 s1, 0, v73
	s_or_b32 s1, vcc_lo, s1
	s_delay_alu instid0(SALU_CYCLE_1)
	s_and_b32 exec_lo, exec_lo, s1
	s_cbranch_execz .LBB115_278
; %bb.273:
	v_cmp_ngt_f32_e64 s1, |v72|, |v73|
                                        ; implicit-def: $vgpr84_vgpr85
	s_and_saveexec_b32 s4, s1
	s_delay_alu instid0(SALU_CYCLE_1)
	s_xor_b32 s1, exec_lo, s4
	s_cbranch_execz .LBB115_275
; %bb.274:
	v_div_scale_f32 v84, null, v73, v73, v72
	v_div_scale_f32 v87, vcc_lo, v72, v73, v72
	s_delay_alu instid0(VALU_DEP_2) | instskip(SKIP_1) | instid1(TRANS32_DEP_1)
	v_rcp_f32_e32 v85, v84
	v_nop
	v_fma_f32 v86, -v84, v85, 1.0
	s_delay_alu instid0(VALU_DEP_1) | instskip(NEXT) | instid1(VALU_DEP_1)
	v_fmac_f32_e32 v85, v86, v85
	v_mul_f32_e32 v86, v87, v85
	s_delay_alu instid0(VALU_DEP_1) | instskip(NEXT) | instid1(VALU_DEP_1)
	v_fma_f32 v88, -v84, v86, v87
	v_fmac_f32_e32 v86, v88, v85
	s_delay_alu instid0(VALU_DEP_1) | instskip(NEXT) | instid1(VALU_DEP_1)
	v_fma_f32 v84, -v84, v86, v87
	v_div_fmas_f32 v84, v84, v85, v86
	s_delay_alu instid0(VALU_DEP_1) | instskip(NEXT) | instid1(VALU_DEP_1)
	v_div_fixup_f32 v84, v84, v73, v72
	v_fmac_f32_e32 v73, v72, v84
	s_delay_alu instid0(VALU_DEP_1) | instskip(SKIP_1) | instid1(VALU_DEP_2)
	v_div_scale_f32 v72, null, v73, v73, 1.0
	v_div_scale_f32 v87, vcc_lo, 1.0, v73, 1.0
	v_rcp_f32_e32 v85, v72
	v_nop
	s_delay_alu instid0(TRANS32_DEP_1) | instskip(NEXT) | instid1(VALU_DEP_1)
	v_fma_f32 v86, -v72, v85, 1.0
	v_fmac_f32_e32 v85, v86, v85
	s_delay_alu instid0(VALU_DEP_1) | instskip(NEXT) | instid1(VALU_DEP_1)
	v_mul_f32_e32 v86, v87, v85
	v_fma_f32 v88, -v72, v86, v87
	s_delay_alu instid0(VALU_DEP_1) | instskip(NEXT) | instid1(VALU_DEP_1)
	v_fmac_f32_e32 v86, v88, v85
	v_fma_f32 v72, -v72, v86, v87
	s_delay_alu instid0(VALU_DEP_1) | instskip(NEXT) | instid1(VALU_DEP_1)
	v_div_fmas_f32 v72, v72, v85, v86
	v_div_fixup_f32 v72, v72, v73, 1.0
	s_delay_alu instid0(VALU_DEP_1)
	v_mul_f32_e32 v84, v84, v72
	v_xor_b32_e32 v85, 0x80000000, v72
                                        ; implicit-def: $vgpr72_vgpr73
.LBB115_275:
	s_and_not1_saveexec_b32 s1, s1
	s_cbranch_execz .LBB115_277
; %bb.276:
	v_div_scale_f32 v84, null, v72, v72, v73
	v_div_scale_f32 v87, vcc_lo, v73, v72, v73
	s_delay_alu instid0(VALU_DEP_2) | instskip(SKIP_1) | instid1(TRANS32_DEP_1)
	v_rcp_f32_e32 v85, v84
	v_nop
	v_fma_f32 v86, -v84, v85, 1.0
	s_delay_alu instid0(VALU_DEP_1) | instskip(NEXT) | instid1(VALU_DEP_1)
	v_fmac_f32_e32 v85, v86, v85
	v_mul_f32_e32 v86, v87, v85
	s_delay_alu instid0(VALU_DEP_1) | instskip(NEXT) | instid1(VALU_DEP_1)
	v_fma_f32 v88, -v84, v86, v87
	v_fmac_f32_e32 v86, v88, v85
	s_delay_alu instid0(VALU_DEP_1) | instskip(NEXT) | instid1(VALU_DEP_1)
	v_fma_f32 v84, -v84, v86, v87
	v_div_fmas_f32 v84, v84, v85, v86
	s_delay_alu instid0(VALU_DEP_1) | instskip(NEXT) | instid1(VALU_DEP_1)
	v_div_fixup_f32 v85, v84, v72, v73
	v_fmac_f32_e32 v72, v73, v85
	s_delay_alu instid0(VALU_DEP_1) | instskip(NEXT) | instid1(VALU_DEP_1)
	v_div_scale_f32 v73, null, v72, v72, 1.0
	v_rcp_f32_e32 v84, v73
	v_nop
	s_delay_alu instid0(TRANS32_DEP_1) | instskip(NEXT) | instid1(VALU_DEP_1)
	v_fma_f32 v86, -v73, v84, 1.0
	v_fmac_f32_e32 v84, v86, v84
	v_div_scale_f32 v86, vcc_lo, 1.0, v72, 1.0
	s_delay_alu instid0(VALU_DEP_1) | instskip(NEXT) | instid1(VALU_DEP_1)
	v_mul_f32_e32 v87, v86, v84
	v_fma_f32 v88, -v73, v87, v86
	s_delay_alu instid0(VALU_DEP_1) | instskip(NEXT) | instid1(VALU_DEP_1)
	v_fmac_f32_e32 v87, v88, v84
	v_fma_f32 v73, -v73, v87, v86
	s_delay_alu instid0(VALU_DEP_1) | instskip(NEXT) | instid1(VALU_DEP_1)
	v_div_fmas_f32 v73, v73, v84, v87
	v_div_fixup_f32 v84, v73, v72, 1.0
	s_delay_alu instid0(VALU_DEP_1)
	v_mul_f32_e64 v85, v85, -v84
.LBB115_277:
	s_or_b32 exec_lo, exec_lo, s1
	ds_store_b64 v187, v[84:85]
.LBB115_278:
	s_or_b32 exec_lo, exec_lo, s2
	s_wait_dscnt 0x0
	s_barrier_signal -1
	s_barrier_wait -1
	ds_load_b64 v[72:73], v187
	s_mov_b32 s1, exec_lo
	v_cmpx_lt_u32_e32 30, v186
	s_cbranch_execz .LBB115_280
; %bb.279:
	ds_load_2addr_b64 v[88:91], v196 offset0:31 offset1:32
	s_wait_dscnt 0x1
	v_pk_mul_f32 v[86:87], v[72:73], v[128:129] op_sel:[1,1] op_sel_hi:[0,1]
	s_delay_alu instid0(VALU_DEP_1) | instskip(SKIP_1) | instid1(VALU_DEP_1)
	v_pk_fma_f32 v[84:85], v[72:73], v[128:129], v[86:87] op_sel_hi:[1,0,1] neg_lo:[0,0,1] neg_hi:[0,0,1]
	v_pk_fma_f32 v[86:87], v[72:73], v[128:129], v[86:87] op_sel_hi:[1,0,1]
	v_dual_mov_b32 v128, v84 :: v_dual_mov_b32 v129, v87
	s_wait_dscnt 0x0
	s_delay_alu instid0(VALU_DEP_2) | instskip(NEXT) | instid1(VALU_DEP_1)
	v_pk_mul_f32 v[100:101], v[88:89], v[86:87] op_sel:[0,1]
	v_pk_fma_f32 v[102:103], v[88:89], v[84:85], v[100:101] op_sel:[0,0,1] op_sel_hi:[1,1,0] neg_lo:[0,0,1] neg_hi:[0,0,1]
	v_pk_fma_f32 v[88:89], v[88:89], v[84:85], v[100:101] op_sel:[0,0,1] op_sel_hi:[1,0,0]
	s_delay_alu instid0(VALU_DEP_1) | instskip(SKIP_1) | instid1(VALU_DEP_1)
	v_mov_b32_e32 v103, v89
	v_pk_mul_f32 v[88:89], v[90:91], v[86:87] op_sel:[0,1]
	v_pk_fma_f32 v[100:101], v[90:91], v[84:85], v[88:89] op_sel:[0,0,1] op_sel_hi:[1,1,0] neg_lo:[0,0,1] neg_hi:[0,0,1]
	v_pk_fma_f32 v[88:89], v[90:91], v[84:85], v[88:89] op_sel:[0,0,1] op_sel_hi:[1,0,0]
	s_delay_alu instid0(VALU_DEP_1)
	v_mov_b32_e32 v101, v89
	ds_load_2addr_b64 v[88:91], v196 offset0:33 offset1:34
	v_pk_add_f32 v[124:125], v[124:125], v[102:103] neg_lo:[0,1] neg_hi:[0,1]
	v_pk_add_f32 v[146:147], v[146:147], v[100:101] neg_lo:[0,1] neg_hi:[0,1]
	s_wait_dscnt 0x0
	v_pk_mul_f32 v[100:101], v[88:89], v[86:87] op_sel:[0,1]
	s_delay_alu instid0(VALU_DEP_1) | instskip(SKIP_2) | instid1(VALU_DEP_2)
	v_pk_fma_f32 v[102:103], v[88:89], v[84:85], v[100:101] op_sel:[0,0,1] op_sel_hi:[1,1,0] neg_lo:[0,0,1] neg_hi:[0,0,1]
	v_pk_fma_f32 v[88:89], v[88:89], v[84:85], v[100:101] op_sel:[0,0,1] op_sel_hi:[1,0,0]
	v_dual_mul_f32 v100, v91, v87 :: v_dual_mov_b32 v88, v91
	v_dual_mov_b32 v103, v89 :: v_dual_mov_b32 v89, v90
	s_delay_alu instid0(VALU_DEP_2) | instskip(SKIP_1) | instid1(VALU_DEP_3)
	v_pk_fma_f32 v[100:101], v[90:91], v[128:129], v[100:101] op_sel_hi:[1,1,0] neg_lo:[0,0,1] neg_hi:[0,0,1]
	v_mul_f32_e32 v90, v91, v84
	v_pk_add_f32 v[142:143], v[142:143], v[102:103] neg_lo:[0,1] neg_hi:[0,1]
	s_delay_alu instid0(VALU_DEP_2) | instskip(NEXT) | instid1(VALU_DEP_1)
	v_pk_fma_f32 v[88:89], v[88:89], v[128:129], v[90:91] op_sel_hi:[1,1,0]
	v_mov_b32_e32 v101, v89
	ds_load_2addr_b64 v[88:91], v196 offset0:35 offset1:36
	v_pk_add_f32 v[144:145], v[144:145], v[100:101] neg_lo:[0,1] neg_hi:[0,1]
	s_wait_dscnt 0x0
	v_pk_mul_f32 v[100:101], v[88:89], v[86:87] op_sel:[0,1]
	s_delay_alu instid0(VALU_DEP_1) | instskip(SKIP_1) | instid1(VALU_DEP_1)
	v_pk_fma_f32 v[102:103], v[88:89], v[84:85], v[100:101] op_sel:[0,0,1] op_sel_hi:[1,1,0] neg_lo:[0,0,1] neg_hi:[0,0,1]
	v_pk_fma_f32 v[88:89], v[88:89], v[84:85], v[100:101] op_sel:[0,0,1] op_sel_hi:[1,0,0]
	v_mov_b32_e32 v103, v89
	v_pk_mul_f32 v[88:89], v[90:91], v[86:87] op_sel:[0,1]
	s_delay_alu instid0(VALU_DEP_1) | instskip(SKIP_1) | instid1(VALU_DEP_1)
	v_pk_fma_f32 v[100:101], v[90:91], v[84:85], v[88:89] op_sel:[0,0,1] op_sel_hi:[1,1,0] neg_lo:[0,0,1] neg_hi:[0,0,1]
	v_pk_fma_f32 v[88:89], v[90:91], v[84:85], v[88:89] op_sel:[0,0,1] op_sel_hi:[1,0,0]
	v_mov_b32_e32 v101, v89
	ds_load_2addr_b64 v[88:91], v196 offset0:37 offset1:38
	v_pk_add_f32 v[140:141], v[140:141], v[102:103] neg_lo:[0,1] neg_hi:[0,1]
	v_pk_add_f32 v[162:163], v[162:163], v[100:101] neg_lo:[0,1] neg_hi:[0,1]
	s_wait_dscnt 0x0
	v_pk_mul_f32 v[100:101], v[88:89], v[86:87] op_sel:[0,1]
	s_delay_alu instid0(VALU_DEP_1) | instskip(SKIP_1) | instid1(VALU_DEP_1)
	v_pk_fma_f32 v[102:103], v[88:89], v[84:85], v[100:101] op_sel:[0,0,1] op_sel_hi:[1,1,0] neg_lo:[0,0,1] neg_hi:[0,0,1]
	v_pk_fma_f32 v[88:89], v[88:89], v[84:85], v[100:101] op_sel:[0,0,1] op_sel_hi:[1,0,0]
	v_mov_b32_e32 v103, v89
	v_pk_mul_f32 v[88:89], v[90:91], v[86:87] op_sel:[0,1]
	s_delay_alu instid0(VALU_DEP_1) | instskip(SKIP_1) | instid1(VALU_DEP_1)
	v_pk_fma_f32 v[100:101], v[90:91], v[84:85], v[88:89] op_sel:[0,0,1] op_sel_hi:[1,1,0] neg_lo:[0,0,1] neg_hi:[0,0,1]
	v_pk_fma_f32 v[88:89], v[90:91], v[84:85], v[88:89] op_sel:[0,0,1] op_sel_hi:[1,0,0]
	v_mov_b32_e32 v101, v89
	ds_load_2addr_b64 v[88:91], v196 offset0:39 offset1:40
	v_pk_add_f32 v[158:159], v[158:159], v[102:103] neg_lo:[0,1] neg_hi:[0,1]
	v_pk_add_f32 v[160:161], v[160:161], v[100:101] neg_lo:[0,1] neg_hi:[0,1]
	s_wait_dscnt 0x0
	v_dual_mul_f32 v100, v89, v87 :: v_dual_mul_f32 v102, v89, v84
	s_delay_alu instid0(VALU_DEP_1) | instskip(NEXT) | instid1(VALU_DEP_2)
	v_pk_fma_f32 v[100:101], v[88:89], v[128:129], v[100:101] op_sel_hi:[1,1,0] neg_lo:[0,0,1] neg_hi:[0,0,1]
	v_pk_fma_f32 v[88:89], v[88:89], v[128:129], v[102:103] op_sel:[1,0,0] op_sel_hi:[0,1,0]
	s_delay_alu instid0(VALU_DEP_1) | instskip(SKIP_1) | instid1(VALU_DEP_2)
	v_mov_b32_e32 v101, v89
	v_pk_mul_f32 v[88:89], v[90:91], v[86:87] op_sel:[0,1]
	v_pk_add_f32 v[156:157], v[156:157], v[100:101] neg_lo:[0,1] neg_hi:[0,1]
	s_delay_alu instid0(VALU_DEP_2) | instskip(SKIP_1) | instid1(VALU_DEP_1)
	v_pk_fma_f32 v[100:101], v[90:91], v[84:85], v[88:89] op_sel:[0,0,1] op_sel_hi:[1,1,0] neg_lo:[0,0,1] neg_hi:[0,0,1]
	v_pk_fma_f32 v[88:89], v[90:91], v[84:85], v[88:89] op_sel:[0,0,1] op_sel_hi:[1,0,0]
	v_mov_b32_e32 v101, v89
	ds_load_2addr_b64 v[88:91], v196 offset0:41 offset1:42
	v_pk_add_f32 v[178:179], v[178:179], v[100:101] neg_lo:[0,1] neg_hi:[0,1]
	s_wait_dscnt 0x0
	v_pk_mul_f32 v[100:101], v[88:89], v[86:87] op_sel:[0,1]
	s_delay_alu instid0(VALU_DEP_1) | instskip(SKIP_1) | instid1(VALU_DEP_1)
	v_pk_fma_f32 v[102:103], v[88:89], v[84:85], v[100:101] op_sel:[0,0,1] op_sel_hi:[1,1,0] neg_lo:[0,0,1] neg_hi:[0,0,1]
	v_pk_fma_f32 v[88:89], v[88:89], v[84:85], v[100:101] op_sel:[0,0,1] op_sel_hi:[1,0,0]
	v_mov_b32_e32 v103, v89
	v_pk_mul_f32 v[88:89], v[90:91], v[86:87] op_sel:[0,1]
	s_delay_alu instid0(VALU_DEP_2) | instskip(NEXT) | instid1(VALU_DEP_2)
	v_pk_add_f32 v[174:175], v[174:175], v[102:103] neg_lo:[0,1] neg_hi:[0,1]
	v_pk_fma_f32 v[100:101], v[90:91], v[84:85], v[88:89] op_sel:[0,0,1] op_sel_hi:[1,1,0] neg_lo:[0,0,1] neg_hi:[0,0,1]
	v_pk_fma_f32 v[88:89], v[90:91], v[84:85], v[88:89] op_sel:[0,0,1] op_sel_hi:[1,0,0]
	s_delay_alu instid0(VALU_DEP_1) | instskip(SKIP_4) | instid1(VALU_DEP_1)
	v_mov_b32_e32 v101, v89
	ds_load_2addr_b64 v[88:91], v196 offset0:43 offset1:44
	v_pk_add_f32 v[176:177], v[176:177], v[100:101] neg_lo:[0,1] neg_hi:[0,1]
	s_wait_dscnt 0x0
	v_pk_mul_f32 v[100:101], v[88:89], v[86:87] op_sel:[0,1]
	v_pk_fma_f32 v[102:103], v[88:89], v[84:85], v[100:101] op_sel:[0,0,1] op_sel_hi:[1,1,0] neg_lo:[0,0,1] neg_hi:[0,0,1]
	v_pk_fma_f32 v[88:89], v[88:89], v[84:85], v[100:101] op_sel:[0,0,1] op_sel_hi:[1,0,0]
	v_dual_mul_f32 v100, v91, v87 :: v_dual_mov_b32 v88, v91
	s_delay_alu instid0(VALU_DEP_2) | instskip(NEXT) | instid1(VALU_DEP_2)
	v_dual_mov_b32 v103, v89 :: v_dual_mov_b32 v89, v90
	v_pk_fma_f32 v[100:101], v[90:91], v[128:129], v[100:101] op_sel_hi:[1,1,0] neg_lo:[0,0,1] neg_hi:[0,0,1]
	v_mul_f32_e32 v90, v91, v84
	s_delay_alu instid0(VALU_DEP_3) | instskip(NEXT) | instid1(VALU_DEP_2)
	v_pk_add_f32 v[172:173], v[172:173], v[102:103] neg_lo:[0,1] neg_hi:[0,1]
	v_pk_fma_f32 v[88:89], v[88:89], v[128:129], v[90:91] op_sel_hi:[1,1,0]
	s_delay_alu instid0(VALU_DEP_1) | instskip(SKIP_4) | instid1(VALU_DEP_1)
	v_mov_b32_e32 v101, v89
	ds_load_2addr_b64 v[88:91], v196 offset0:45 offset1:46
	v_pk_add_f32 v[194:195], v[194:195], v[100:101] neg_lo:[0,1] neg_hi:[0,1]
	s_wait_dscnt 0x0
	v_pk_mul_f32 v[100:101], v[88:89], v[86:87] op_sel:[0,1]
	v_pk_fma_f32 v[102:103], v[88:89], v[84:85], v[100:101] op_sel:[0,0,1] op_sel_hi:[1,1,0] neg_lo:[0,0,1] neg_hi:[0,0,1]
	v_pk_fma_f32 v[88:89], v[88:89], v[84:85], v[100:101] op_sel:[0,0,1] op_sel_hi:[1,0,0]
	s_delay_alu instid0(VALU_DEP_1) | instskip(SKIP_1) | instid1(VALU_DEP_1)
	v_mov_b32_e32 v103, v89
	v_pk_mul_f32 v[88:89], v[90:91], v[86:87] op_sel:[0,1]
	v_pk_fma_f32 v[100:101], v[90:91], v[84:85], v[88:89] op_sel:[0,0,1] op_sel_hi:[1,1,0] neg_lo:[0,0,1] neg_hi:[0,0,1]
	v_pk_fma_f32 v[88:89], v[90:91], v[84:85], v[88:89] op_sel:[0,0,1] op_sel_hi:[1,0,0]
	s_delay_alu instid0(VALU_DEP_1)
	v_mov_b32_e32 v101, v89
	ds_load_2addr_b64 v[88:91], v196 offset0:47 offset1:48
	v_pk_add_f32 v[190:191], v[190:191], v[102:103] neg_lo:[0,1] neg_hi:[0,1]
	v_pk_add_f32 v[192:193], v[192:193], v[100:101] neg_lo:[0,1] neg_hi:[0,1]
	s_wait_dscnt 0x0
	v_pk_mul_f32 v[100:101], v[88:89], v[86:87] op_sel:[0,1]
	s_delay_alu instid0(VALU_DEP_1) | instskip(SKIP_1) | instid1(VALU_DEP_1)
	v_pk_fma_f32 v[102:103], v[88:89], v[84:85], v[100:101] op_sel:[0,0,1] op_sel_hi:[1,1,0] neg_lo:[0,0,1] neg_hi:[0,0,1]
	v_pk_fma_f32 v[88:89], v[88:89], v[84:85], v[100:101] op_sel:[0,0,1] op_sel_hi:[1,0,0]
	v_mov_b32_e32 v103, v89
	v_pk_mul_f32 v[88:89], v[90:91], v[86:87] op_sel:[0,1]
	s_delay_alu instid0(VALU_DEP_1) | instskip(SKIP_1) | instid1(VALU_DEP_1)
	v_pk_fma_f32 v[100:101], v[90:91], v[84:85], v[88:89] op_sel:[0,0,1] op_sel_hi:[1,1,0] neg_lo:[0,0,1] neg_hi:[0,0,1]
	v_pk_fma_f32 v[88:89], v[90:91], v[84:85], v[88:89] op_sel:[0,0,1] op_sel_hi:[1,0,0]
	v_mov_b32_e32 v101, v89
	ds_load_2addr_b64 v[88:91], v196 offset0:49 offset1:50
	v_pk_add_f32 v[188:189], v[188:189], v[102:103] neg_lo:[0,1] neg_hi:[0,1]
	v_pk_add_f32 v[212:213], v[212:213], v[100:101] neg_lo:[0,1] neg_hi:[0,1]
	s_wait_dscnt 0x0
	v_dual_mul_f32 v100, v89, v87 :: v_dual_mul_f32 v102, v89, v84
	s_delay_alu instid0(VALU_DEP_1) | instskip(NEXT) | instid1(VALU_DEP_2)
	v_pk_fma_f32 v[100:101], v[88:89], v[128:129], v[100:101] op_sel_hi:[1,1,0] neg_lo:[0,0,1] neg_hi:[0,0,1]
	v_pk_fma_f32 v[88:89], v[88:89], v[128:129], v[102:103] op_sel:[1,0,0] op_sel_hi:[0,1,0]
	s_delay_alu instid0(VALU_DEP_1) | instskip(SKIP_1) | instid1(VALU_DEP_2)
	v_mov_b32_e32 v101, v89
	v_pk_mul_f32 v[88:89], v[90:91], v[86:87] op_sel:[0,1]
	v_pk_add_f32 v[208:209], v[208:209], v[100:101] neg_lo:[0,1] neg_hi:[0,1]
	s_delay_alu instid0(VALU_DEP_2) | instskip(SKIP_1) | instid1(VALU_DEP_1)
	v_pk_fma_f32 v[100:101], v[90:91], v[84:85], v[88:89] op_sel:[0,0,1] op_sel_hi:[1,1,0] neg_lo:[0,0,1] neg_hi:[0,0,1]
	v_pk_fma_f32 v[88:89], v[90:91], v[84:85], v[88:89] op_sel:[0,0,1] op_sel_hi:[1,0,0]
	v_mov_b32_e32 v101, v89
	ds_load_2addr_b64 v[88:91], v196 offset0:51 offset1:52
	v_pk_add_f32 v[210:211], v[210:211], v[100:101] neg_lo:[0,1] neg_hi:[0,1]
	s_wait_dscnt 0x0
	v_pk_mul_f32 v[100:101], v[88:89], v[86:87] op_sel:[0,1]
	s_delay_alu instid0(VALU_DEP_1) | instskip(SKIP_1) | instid1(VALU_DEP_1)
	v_pk_fma_f32 v[102:103], v[88:89], v[84:85], v[100:101] op_sel:[0,0,1] op_sel_hi:[1,1,0] neg_lo:[0,0,1] neg_hi:[0,0,1]
	v_pk_fma_f32 v[88:89], v[88:89], v[84:85], v[100:101] op_sel:[0,0,1] op_sel_hi:[1,0,0]
	v_mov_b32_e32 v103, v89
	v_pk_mul_f32 v[88:89], v[90:91], v[86:87] op_sel:[0,1]
	s_delay_alu instid0(VALU_DEP_2) | instskip(NEXT) | instid1(VALU_DEP_2)
	v_pk_add_f32 v[206:207], v[206:207], v[102:103] neg_lo:[0,1] neg_hi:[0,1]
	v_pk_fma_f32 v[100:101], v[90:91], v[84:85], v[88:89] op_sel:[0,0,1] op_sel_hi:[1,1,0] neg_lo:[0,0,1] neg_hi:[0,0,1]
	v_pk_fma_f32 v[88:89], v[90:91], v[84:85], v[88:89] op_sel:[0,0,1] op_sel_hi:[1,0,0]
	s_delay_alu instid0(VALU_DEP_1) | instskip(SKIP_4) | instid1(VALU_DEP_1)
	v_mov_b32_e32 v101, v89
	ds_load_2addr_b64 v[88:91], v196 offset0:53 offset1:54
	v_pk_add_f32 v[228:229], v[228:229], v[100:101] neg_lo:[0,1] neg_hi:[0,1]
	s_wait_dscnt 0x0
	v_pk_mul_f32 v[100:101], v[88:89], v[86:87] op_sel:[0,1]
	v_pk_fma_f32 v[102:103], v[88:89], v[84:85], v[100:101] op_sel:[0,0,1] op_sel_hi:[1,1,0] neg_lo:[0,0,1] neg_hi:[0,0,1]
	v_pk_fma_f32 v[88:89], v[88:89], v[84:85], v[100:101] op_sel:[0,0,1] op_sel_hi:[1,0,0]
	v_dual_mul_f32 v100, v91, v87 :: v_dual_mov_b32 v88, v91
	s_delay_alu instid0(VALU_DEP_2) | instskip(NEXT) | instid1(VALU_DEP_2)
	v_dual_mov_b32 v103, v89 :: v_dual_mov_b32 v89, v90
	v_pk_fma_f32 v[100:101], v[90:91], v[128:129], v[100:101] op_sel_hi:[1,1,0] neg_lo:[0,0,1] neg_hi:[0,0,1]
	v_mul_f32_e32 v90, v91, v84
	s_delay_alu instid0(VALU_DEP_3) | instskip(NEXT) | instid1(VALU_DEP_2)
	v_pk_add_f32 v[224:225], v[224:225], v[102:103] neg_lo:[0,1] neg_hi:[0,1]
	v_pk_fma_f32 v[88:89], v[88:89], v[128:129], v[90:91] op_sel_hi:[1,1,0]
	s_delay_alu instid0(VALU_DEP_1) | instskip(SKIP_4) | instid1(VALU_DEP_1)
	v_mov_b32_e32 v101, v89
	ds_load_2addr_b64 v[88:91], v196 offset0:55 offset1:56
	v_pk_add_f32 v[226:227], v[226:227], v[100:101] neg_lo:[0,1] neg_hi:[0,1]
	s_wait_dscnt 0x0
	v_pk_mul_f32 v[100:101], v[88:89], v[86:87] op_sel:[0,1]
	v_pk_fma_f32 v[102:103], v[88:89], v[84:85], v[100:101] op_sel:[0,0,1] op_sel_hi:[1,1,0] neg_lo:[0,0,1] neg_hi:[0,0,1]
	v_pk_fma_f32 v[88:89], v[88:89], v[84:85], v[100:101] op_sel:[0,0,1] op_sel_hi:[1,0,0]
	s_delay_alu instid0(VALU_DEP_1) | instskip(SKIP_1) | instid1(VALU_DEP_1)
	v_mov_b32_e32 v103, v89
	v_pk_mul_f32 v[88:89], v[90:91], v[86:87] op_sel:[0,1]
	v_pk_fma_f32 v[100:101], v[90:91], v[84:85], v[88:89] op_sel:[0,0,1] op_sel_hi:[1,1,0] neg_lo:[0,0,1] neg_hi:[0,0,1]
	v_pk_fma_f32 v[88:89], v[90:91], v[84:85], v[88:89] op_sel:[0,0,1] op_sel_hi:[1,0,0]
	s_delay_alu instid0(VALU_DEP_1)
	v_mov_b32_e32 v101, v89
	ds_load_b64 v[88:89], v196 offset:456
	v_pk_add_f32 v[222:223], v[222:223], v[102:103] neg_lo:[0,1] neg_hi:[0,1]
	v_pk_add_f32 v[230:231], v[230:231], v[100:101] neg_lo:[0,1] neg_hi:[0,1]
	s_wait_dscnt 0x0
	v_pk_mul_f32 v[86:87], v[88:89], v[86:87] op_sel:[0,1]
	s_delay_alu instid0(VALU_DEP_1) | instskip(SKIP_1) | instid1(VALU_DEP_1)
	v_pk_fma_f32 v[90:91], v[88:89], v[84:85], v[86:87] op_sel:[0,0,1] op_sel_hi:[1,1,0] neg_lo:[0,0,1] neg_hi:[0,0,1]
	v_pk_fma_f32 v[84:85], v[88:89], v[84:85], v[86:87] op_sel:[0,0,1] op_sel_hi:[1,0,0]
	v_mov_b32_e32 v91, v85
	s_delay_alu instid0(VALU_DEP_1)
	v_pk_add_f32 v[232:233], v[232:233], v[90:91] neg_lo:[0,1] neg_hi:[0,1]
.LBB115_280:
	s_or_b32 exec_lo, exec_lo, s1
	s_delay_alu instid0(SALU_CYCLE_1)
	s_mov_b32 s2, exec_lo
	s_wait_dscnt 0x0
	s_barrier_signal -1
	s_barrier_wait -1
	v_cmpx_eq_u32_e32 31, v186
	s_cbranch_execz .LBB115_287
; %bb.281:
	v_dual_mov_b32 v84, v146 :: v_dual_mov_b32 v85, v147
	v_dual_mov_b32 v86, v142 :: v_dual_mov_b32 v87, v143
	ds_store_b64 v187, v[124:125]
	ds_store_2addr_b64 v196, v[84:85], v[86:87] offset0:32 offset1:33
	v_dual_mov_b32 v84, v144 :: v_dual_mov_b32 v85, v145
	v_dual_mov_b32 v86, v140 :: v_dual_mov_b32 v87, v141
	ds_store_2addr_b64 v196, v[84:85], v[86:87] offset0:34 offset1:35
	v_dual_mov_b32 v84, v162 :: v_dual_mov_b32 v85, v163
	v_dual_mov_b32 v86, v158 :: v_dual_mov_b32 v87, v159
	;; [unrolled: 3-line block ×11, first 2 shown]
	ds_store_2addr_b64 v196, v[84:85], v[86:87] offset0:54 offset1:55
	v_dual_mov_b32 v84, v230 :: v_dual_mov_b32 v85, v231
	ds_store_2addr_b64 v196, v[84:85], v[232:233] offset0:56 offset1:57
	ds_load_b64 v[84:85], v187
	s_wait_dscnt 0x0
	v_cmp_neq_f32_e32 vcc_lo, 0, v84
	v_cmp_neq_f32_e64 s1, 0, v85
	s_or_b32 s1, vcc_lo, s1
	s_delay_alu instid0(SALU_CYCLE_1)
	s_and_b32 exec_lo, exec_lo, s1
	s_cbranch_execz .LBB115_287
; %bb.282:
	v_cmp_ngt_f32_e64 s1, |v84|, |v85|
                                        ; implicit-def: $vgpr86_vgpr87
	s_and_saveexec_b32 s4, s1
	s_delay_alu instid0(SALU_CYCLE_1)
	s_xor_b32 s1, exec_lo, s4
	s_cbranch_execz .LBB115_284
; %bb.283:
	v_div_scale_f32 v86, null, v85, v85, v84
	v_div_scale_f32 v89, vcc_lo, v84, v85, v84
	s_delay_alu instid0(VALU_DEP_2) | instskip(SKIP_1) | instid1(TRANS32_DEP_1)
	v_rcp_f32_e32 v87, v86
	v_nop
	v_fma_f32 v88, -v86, v87, 1.0
	s_delay_alu instid0(VALU_DEP_1) | instskip(NEXT) | instid1(VALU_DEP_1)
	v_fmac_f32_e32 v87, v88, v87
	v_mul_f32_e32 v88, v89, v87
	s_delay_alu instid0(VALU_DEP_1) | instskip(NEXT) | instid1(VALU_DEP_1)
	v_fma_f32 v90, -v86, v88, v89
	v_fmac_f32_e32 v88, v90, v87
	s_delay_alu instid0(VALU_DEP_1) | instskip(NEXT) | instid1(VALU_DEP_1)
	v_fma_f32 v86, -v86, v88, v89
	v_div_fmas_f32 v86, v86, v87, v88
	s_delay_alu instid0(VALU_DEP_1) | instskip(NEXT) | instid1(VALU_DEP_1)
	v_div_fixup_f32 v86, v86, v85, v84
	v_fmac_f32_e32 v85, v84, v86
	s_delay_alu instid0(VALU_DEP_1) | instskip(SKIP_1) | instid1(VALU_DEP_2)
	v_div_scale_f32 v84, null, v85, v85, 1.0
	v_div_scale_f32 v89, vcc_lo, 1.0, v85, 1.0
	v_rcp_f32_e32 v87, v84
	v_nop
	s_delay_alu instid0(TRANS32_DEP_1) | instskip(NEXT) | instid1(VALU_DEP_1)
	v_fma_f32 v88, -v84, v87, 1.0
	v_fmac_f32_e32 v87, v88, v87
	s_delay_alu instid0(VALU_DEP_1) | instskip(NEXT) | instid1(VALU_DEP_1)
	v_mul_f32_e32 v88, v89, v87
	v_fma_f32 v90, -v84, v88, v89
	s_delay_alu instid0(VALU_DEP_1) | instskip(NEXT) | instid1(VALU_DEP_1)
	v_fmac_f32_e32 v88, v90, v87
	v_fma_f32 v84, -v84, v88, v89
	s_delay_alu instid0(VALU_DEP_1) | instskip(NEXT) | instid1(VALU_DEP_1)
	v_div_fmas_f32 v84, v84, v87, v88
	v_div_fixup_f32 v84, v84, v85, 1.0
	s_delay_alu instid0(VALU_DEP_1)
	v_mul_f32_e32 v86, v86, v84
	v_xor_b32_e32 v87, 0x80000000, v84
                                        ; implicit-def: $vgpr84_vgpr85
.LBB115_284:
	s_and_not1_saveexec_b32 s1, s1
	s_cbranch_execz .LBB115_286
; %bb.285:
	v_div_scale_f32 v86, null, v84, v84, v85
	v_div_scale_f32 v89, vcc_lo, v85, v84, v85
	s_delay_alu instid0(VALU_DEP_2) | instskip(SKIP_1) | instid1(TRANS32_DEP_1)
	v_rcp_f32_e32 v87, v86
	v_nop
	v_fma_f32 v88, -v86, v87, 1.0
	s_delay_alu instid0(VALU_DEP_1) | instskip(NEXT) | instid1(VALU_DEP_1)
	v_fmac_f32_e32 v87, v88, v87
	v_mul_f32_e32 v88, v89, v87
	s_delay_alu instid0(VALU_DEP_1) | instskip(NEXT) | instid1(VALU_DEP_1)
	v_fma_f32 v90, -v86, v88, v89
	v_fmac_f32_e32 v88, v90, v87
	s_delay_alu instid0(VALU_DEP_1) | instskip(NEXT) | instid1(VALU_DEP_1)
	v_fma_f32 v86, -v86, v88, v89
	v_div_fmas_f32 v86, v86, v87, v88
	s_delay_alu instid0(VALU_DEP_1) | instskip(NEXT) | instid1(VALU_DEP_1)
	v_div_fixup_f32 v87, v86, v84, v85
	v_fmac_f32_e32 v84, v85, v87
	s_delay_alu instid0(VALU_DEP_1) | instskip(NEXT) | instid1(VALU_DEP_1)
	v_div_scale_f32 v85, null, v84, v84, 1.0
	v_rcp_f32_e32 v86, v85
	v_nop
	s_delay_alu instid0(TRANS32_DEP_1) | instskip(NEXT) | instid1(VALU_DEP_1)
	v_fma_f32 v88, -v85, v86, 1.0
	v_fmac_f32_e32 v86, v88, v86
	v_div_scale_f32 v88, vcc_lo, 1.0, v84, 1.0
	s_delay_alu instid0(VALU_DEP_1) | instskip(NEXT) | instid1(VALU_DEP_1)
	v_mul_f32_e32 v89, v88, v86
	v_fma_f32 v90, -v85, v89, v88
	s_delay_alu instid0(VALU_DEP_1) | instskip(NEXT) | instid1(VALU_DEP_1)
	v_fmac_f32_e32 v89, v90, v86
	v_fma_f32 v85, -v85, v89, v88
	s_delay_alu instid0(VALU_DEP_1) | instskip(NEXT) | instid1(VALU_DEP_1)
	v_div_fmas_f32 v85, v85, v86, v89
	v_div_fixup_f32 v86, v85, v84, 1.0
	s_delay_alu instid0(VALU_DEP_1)
	v_mul_f32_e64 v87, v87, -v86
.LBB115_286:
	s_or_b32 exec_lo, exec_lo, s1
	ds_store_b64 v187, v[86:87]
.LBB115_287:
	s_or_b32 exec_lo, exec_lo, s2
	s_wait_dscnt 0x0
	s_barrier_signal -1
	s_barrier_wait -1
	ds_load_b64 v[84:85], v187
	s_mov_b32 s1, exec_lo
	v_cmpx_lt_u32_e32 31, v186
	s_cbranch_execz .LBB115_289
; %bb.288:
	ds_load_2addr_b64 v[100:103], v196 offset0:32 offset1:33
	s_wait_dscnt 0x1
	v_pk_mul_f32 v[88:89], v[84:85], v[124:125] op_sel:[1,1] op_sel_hi:[0,1]
	s_delay_alu instid0(VALU_DEP_1) | instskip(SKIP_1) | instid1(VALU_DEP_1)
	v_pk_fma_f32 v[86:87], v[84:85], v[124:125], v[88:89] op_sel_hi:[1,0,1] neg_lo:[0,0,1] neg_hi:[0,0,1]
	v_pk_fma_f32 v[88:89], v[84:85], v[124:125], v[88:89] op_sel_hi:[1,0,1]
	v_dual_mov_b32 v124, v86 :: v_dual_mov_b32 v125, v89
	s_wait_dscnt 0x0
	s_delay_alu instid0(VALU_DEP_2) | instskip(NEXT) | instid1(VALU_DEP_1)
	v_pk_mul_f32 v[90:91], v[100:101], v[88:89] op_sel:[0,1]
	v_pk_fma_f32 v[104:105], v[100:101], v[86:87], v[90:91] op_sel:[0,0,1] op_sel_hi:[1,1,0] neg_lo:[0,0,1] neg_hi:[0,0,1]
	v_pk_fma_f32 v[90:91], v[100:101], v[86:87], v[90:91] op_sel:[0,0,1] op_sel_hi:[1,0,0]
	s_delay_alu instid0(VALU_DEP_1) | instskip(SKIP_1) | instid1(VALU_DEP_1)
	v_mov_b32_e32 v105, v91
	v_pk_mul_f32 v[90:91], v[102:103], v[88:89] op_sel:[0,1]
	v_pk_fma_f32 v[100:101], v[102:103], v[86:87], v[90:91] op_sel:[0,0,1] op_sel_hi:[1,1,0] neg_lo:[0,0,1] neg_hi:[0,0,1]
	v_pk_fma_f32 v[90:91], v[102:103], v[86:87], v[90:91] op_sel:[0,0,1] op_sel_hi:[1,0,0]
	s_delay_alu instid0(VALU_DEP_1) | instskip(SKIP_1) | instid1(VALU_DEP_2)
	v_mov_b32_e32 v101, v91
	v_pk_add_f32 v[146:147], v[146:147], v[104:105] neg_lo:[0,1] neg_hi:[0,1]
	v_pk_add_f32 v[142:143], v[142:143], v[100:101] neg_lo:[0,1] neg_hi:[0,1]
	ds_load_2addr_b64 v[100:103], v196 offset0:34 offset1:35
	s_wait_dscnt 0x0
	v_pk_mul_f32 v[90:91], v[100:101], v[88:89] op_sel:[0,1]
	s_delay_alu instid0(VALU_DEP_1) | instskip(SKIP_2) | instid1(VALU_DEP_2)
	v_pk_fma_f32 v[104:105], v[100:101], v[86:87], v[90:91] op_sel:[0,0,1] op_sel_hi:[1,1,0] neg_lo:[0,0,1] neg_hi:[0,0,1]
	v_pk_fma_f32 v[90:91], v[100:101], v[86:87], v[90:91] op_sel:[0,0,1] op_sel_hi:[1,0,0]
	v_dual_mul_f32 v100, v103, v89 :: v_dual_mov_b32 v90, v103
	v_dual_mov_b32 v105, v91 :: v_dual_mov_b32 v91, v102
	s_delay_alu instid0(VALU_DEP_2) | instskip(SKIP_1) | instid1(VALU_DEP_3)
	v_pk_fma_f32 v[100:101], v[102:103], v[124:125], v[100:101] op_sel_hi:[1,1,0] neg_lo:[0,0,1] neg_hi:[0,0,1]
	v_mul_f32_e32 v102, v103, v86
	v_pk_add_f32 v[144:145], v[144:145], v[104:105] neg_lo:[0,1] neg_hi:[0,1]
	s_delay_alu instid0(VALU_DEP_2) | instskip(NEXT) | instid1(VALU_DEP_1)
	v_pk_fma_f32 v[90:91], v[90:91], v[124:125], v[102:103] op_sel_hi:[1,1,0]
	v_mov_b32_e32 v101, v91
	s_delay_alu instid0(VALU_DEP_1) | instskip(SKIP_3) | instid1(VALU_DEP_1)
	v_pk_add_f32 v[140:141], v[140:141], v[100:101] neg_lo:[0,1] neg_hi:[0,1]
	ds_load_2addr_b64 v[100:103], v196 offset0:36 offset1:37
	s_wait_dscnt 0x0
	v_pk_mul_f32 v[90:91], v[100:101], v[88:89] op_sel:[0,1]
	v_pk_fma_f32 v[104:105], v[100:101], v[86:87], v[90:91] op_sel:[0,0,1] op_sel_hi:[1,1,0] neg_lo:[0,0,1] neg_hi:[0,0,1]
	v_pk_fma_f32 v[90:91], v[100:101], v[86:87], v[90:91] op_sel:[0,0,1] op_sel_hi:[1,0,0]
	s_delay_alu instid0(VALU_DEP_1) | instskip(SKIP_1) | instid1(VALU_DEP_2)
	v_mov_b32_e32 v105, v91
	v_pk_mul_f32 v[90:91], v[102:103], v[88:89] op_sel:[0,1]
	v_pk_add_f32 v[162:163], v[162:163], v[104:105] neg_lo:[0,1] neg_hi:[0,1]
	s_delay_alu instid0(VALU_DEP_2) | instskip(SKIP_1) | instid1(VALU_DEP_1)
	v_pk_fma_f32 v[100:101], v[102:103], v[86:87], v[90:91] op_sel:[0,0,1] op_sel_hi:[1,1,0] neg_lo:[0,0,1] neg_hi:[0,0,1]
	v_pk_fma_f32 v[90:91], v[102:103], v[86:87], v[90:91] op_sel:[0,0,1] op_sel_hi:[1,0,0]
	v_mov_b32_e32 v101, v91
	s_delay_alu instid0(VALU_DEP_1) | instskip(SKIP_3) | instid1(VALU_DEP_1)
	v_pk_add_f32 v[158:159], v[158:159], v[100:101] neg_lo:[0,1] neg_hi:[0,1]
	ds_load_2addr_b64 v[100:103], v196 offset0:38 offset1:39
	s_wait_dscnt 0x0
	v_pk_mul_f32 v[90:91], v[100:101], v[88:89] op_sel:[0,1]
	v_pk_fma_f32 v[104:105], v[100:101], v[86:87], v[90:91] op_sel:[0,0,1] op_sel_hi:[1,1,0] neg_lo:[0,0,1] neg_hi:[0,0,1]
	v_pk_fma_f32 v[90:91], v[100:101], v[86:87], v[90:91] op_sel:[0,0,1] op_sel_hi:[1,0,0]
	s_delay_alu instid0(VALU_DEP_1) | instskip(SKIP_1) | instid1(VALU_DEP_2)
	v_mov_b32_e32 v105, v91
	v_pk_mul_f32 v[90:91], v[102:103], v[88:89] op_sel:[0,1]
	v_pk_add_f32 v[160:161], v[160:161], v[104:105] neg_lo:[0,1] neg_hi:[0,1]
	s_delay_alu instid0(VALU_DEP_2) | instskip(SKIP_1) | instid1(VALU_DEP_1)
	v_pk_fma_f32 v[100:101], v[102:103], v[86:87], v[90:91] op_sel:[0,0,1] op_sel_hi:[1,1,0] neg_lo:[0,0,1] neg_hi:[0,0,1]
	v_pk_fma_f32 v[90:91], v[102:103], v[86:87], v[90:91] op_sel:[0,0,1] op_sel_hi:[1,0,0]
	v_mov_b32_e32 v101, v91
	s_delay_alu instid0(VALU_DEP_1) | instskip(SKIP_3) | instid1(VALU_DEP_1)
	v_pk_add_f32 v[156:157], v[156:157], v[100:101] neg_lo:[0,1] neg_hi:[0,1]
	ds_load_2addr_b64 v[100:103], v196 offset0:40 offset1:41
	s_wait_dscnt 0x0
	v_dual_mul_f32 v90, v101, v89 :: v_dual_mul_f32 v104, v101, v86
	v_pk_fma_f32 v[90:91], v[100:101], v[124:125], v[90:91] op_sel_hi:[1,1,0] neg_lo:[0,0,1] neg_hi:[0,0,1]
	s_delay_alu instid0(VALU_DEP_2) | instskip(NEXT) | instid1(VALU_DEP_1)
	v_pk_fma_f32 v[100:101], v[100:101], v[124:125], v[104:105] op_sel:[1,0,0] op_sel_hi:[0,1,0]
	v_mov_b32_e32 v91, v101
	s_delay_alu instid0(VALU_DEP_1) | instskip(SKIP_1) | instid1(VALU_DEP_1)
	v_pk_add_f32 v[178:179], v[178:179], v[90:91] neg_lo:[0,1] neg_hi:[0,1]
	v_pk_mul_f32 v[90:91], v[102:103], v[88:89] op_sel:[0,1]
	v_pk_fma_f32 v[100:101], v[102:103], v[86:87], v[90:91] op_sel:[0,0,1] op_sel_hi:[1,1,0] neg_lo:[0,0,1] neg_hi:[0,0,1]
	v_pk_fma_f32 v[90:91], v[102:103], v[86:87], v[90:91] op_sel:[0,0,1] op_sel_hi:[1,0,0]
	s_delay_alu instid0(VALU_DEP_1) | instskip(NEXT) | instid1(VALU_DEP_1)
	v_mov_b32_e32 v101, v91
	v_pk_add_f32 v[174:175], v[174:175], v[100:101] neg_lo:[0,1] neg_hi:[0,1]
	ds_load_2addr_b64 v[100:103], v196 offset0:42 offset1:43
	s_wait_dscnt 0x0
	v_pk_mul_f32 v[90:91], v[100:101], v[88:89] op_sel:[0,1]
	s_delay_alu instid0(VALU_DEP_1) | instskip(SKIP_1) | instid1(VALU_DEP_1)
	v_pk_fma_f32 v[104:105], v[100:101], v[86:87], v[90:91] op_sel:[0,0,1] op_sel_hi:[1,1,0] neg_lo:[0,0,1] neg_hi:[0,0,1]
	v_pk_fma_f32 v[90:91], v[100:101], v[86:87], v[90:91] op_sel:[0,0,1] op_sel_hi:[1,0,0]
	v_mov_b32_e32 v105, v91
	v_pk_mul_f32 v[90:91], v[102:103], v[88:89] op_sel:[0,1]
	s_delay_alu instid0(VALU_DEP_2) | instskip(NEXT) | instid1(VALU_DEP_2)
	v_pk_add_f32 v[176:177], v[176:177], v[104:105] neg_lo:[0,1] neg_hi:[0,1]
	v_pk_fma_f32 v[100:101], v[102:103], v[86:87], v[90:91] op_sel:[0,0,1] op_sel_hi:[1,1,0] neg_lo:[0,0,1] neg_hi:[0,0,1]
	v_pk_fma_f32 v[90:91], v[102:103], v[86:87], v[90:91] op_sel:[0,0,1] op_sel_hi:[1,0,0]
	s_delay_alu instid0(VALU_DEP_1) | instskip(NEXT) | instid1(VALU_DEP_1)
	v_mov_b32_e32 v101, v91
	v_pk_add_f32 v[172:173], v[172:173], v[100:101] neg_lo:[0,1] neg_hi:[0,1]
	ds_load_2addr_b64 v[100:103], v196 offset0:44 offset1:45
	s_wait_dscnt 0x0
	v_pk_mul_f32 v[90:91], v[100:101], v[88:89] op_sel:[0,1]
	s_delay_alu instid0(VALU_DEP_1) | instskip(SKIP_2) | instid1(VALU_DEP_2)
	v_pk_fma_f32 v[104:105], v[100:101], v[86:87], v[90:91] op_sel:[0,0,1] op_sel_hi:[1,1,0] neg_lo:[0,0,1] neg_hi:[0,0,1]
	v_pk_fma_f32 v[90:91], v[100:101], v[86:87], v[90:91] op_sel:[0,0,1] op_sel_hi:[1,0,0]
	v_dual_mul_f32 v100, v103, v89 :: v_dual_mov_b32 v90, v103
	v_dual_mov_b32 v105, v91 :: v_dual_mov_b32 v91, v102
	s_delay_alu instid0(VALU_DEP_2) | instskip(SKIP_1) | instid1(VALU_DEP_3)
	v_pk_fma_f32 v[100:101], v[102:103], v[124:125], v[100:101] op_sel_hi:[1,1,0] neg_lo:[0,0,1] neg_hi:[0,0,1]
	v_mul_f32_e32 v102, v103, v86
	v_pk_add_f32 v[194:195], v[194:195], v[104:105] neg_lo:[0,1] neg_hi:[0,1]
	s_delay_alu instid0(VALU_DEP_2) | instskip(NEXT) | instid1(VALU_DEP_1)
	v_pk_fma_f32 v[90:91], v[90:91], v[124:125], v[102:103] op_sel_hi:[1,1,0]
	v_mov_b32_e32 v101, v91
	s_delay_alu instid0(VALU_DEP_1) | instskip(SKIP_3) | instid1(VALU_DEP_1)
	v_pk_add_f32 v[190:191], v[190:191], v[100:101] neg_lo:[0,1] neg_hi:[0,1]
	ds_load_2addr_b64 v[100:103], v196 offset0:46 offset1:47
	s_wait_dscnt 0x0
	v_pk_mul_f32 v[90:91], v[100:101], v[88:89] op_sel:[0,1]
	v_pk_fma_f32 v[104:105], v[100:101], v[86:87], v[90:91] op_sel:[0,0,1] op_sel_hi:[1,1,0] neg_lo:[0,0,1] neg_hi:[0,0,1]
	v_pk_fma_f32 v[90:91], v[100:101], v[86:87], v[90:91] op_sel:[0,0,1] op_sel_hi:[1,0,0]
	s_delay_alu instid0(VALU_DEP_1) | instskip(SKIP_1) | instid1(VALU_DEP_2)
	v_mov_b32_e32 v105, v91
	v_pk_mul_f32 v[90:91], v[102:103], v[88:89] op_sel:[0,1]
	v_pk_add_f32 v[192:193], v[192:193], v[104:105] neg_lo:[0,1] neg_hi:[0,1]
	s_delay_alu instid0(VALU_DEP_2) | instskip(SKIP_1) | instid1(VALU_DEP_1)
	v_pk_fma_f32 v[100:101], v[102:103], v[86:87], v[90:91] op_sel:[0,0,1] op_sel_hi:[1,1,0] neg_lo:[0,0,1] neg_hi:[0,0,1]
	v_pk_fma_f32 v[90:91], v[102:103], v[86:87], v[90:91] op_sel:[0,0,1] op_sel_hi:[1,0,0]
	v_mov_b32_e32 v101, v91
	s_delay_alu instid0(VALU_DEP_1) | instskip(SKIP_3) | instid1(VALU_DEP_1)
	v_pk_add_f32 v[188:189], v[188:189], v[100:101] neg_lo:[0,1] neg_hi:[0,1]
	ds_load_2addr_b64 v[100:103], v196 offset0:48 offset1:49
	s_wait_dscnt 0x0
	v_pk_mul_f32 v[90:91], v[100:101], v[88:89] op_sel:[0,1]
	v_pk_fma_f32 v[104:105], v[100:101], v[86:87], v[90:91] op_sel:[0,0,1] op_sel_hi:[1,1,0] neg_lo:[0,0,1] neg_hi:[0,0,1]
	v_pk_fma_f32 v[90:91], v[100:101], v[86:87], v[90:91] op_sel:[0,0,1] op_sel_hi:[1,0,0]
	s_delay_alu instid0(VALU_DEP_1) | instskip(SKIP_1) | instid1(VALU_DEP_2)
	v_mov_b32_e32 v105, v91
	v_pk_mul_f32 v[90:91], v[102:103], v[88:89] op_sel:[0,1]
	v_pk_add_f32 v[212:213], v[212:213], v[104:105] neg_lo:[0,1] neg_hi:[0,1]
	s_delay_alu instid0(VALU_DEP_2) | instskip(SKIP_1) | instid1(VALU_DEP_1)
	v_pk_fma_f32 v[100:101], v[102:103], v[86:87], v[90:91] op_sel:[0,0,1] op_sel_hi:[1,1,0] neg_lo:[0,0,1] neg_hi:[0,0,1]
	v_pk_fma_f32 v[90:91], v[102:103], v[86:87], v[90:91] op_sel:[0,0,1] op_sel_hi:[1,0,0]
	v_mov_b32_e32 v101, v91
	s_delay_alu instid0(VALU_DEP_1) | instskip(SKIP_3) | instid1(VALU_DEP_1)
	v_pk_add_f32 v[208:209], v[208:209], v[100:101] neg_lo:[0,1] neg_hi:[0,1]
	ds_load_2addr_b64 v[100:103], v196 offset0:50 offset1:51
	s_wait_dscnt 0x0
	v_dual_mul_f32 v90, v101, v89 :: v_dual_mul_f32 v104, v101, v86
	v_pk_fma_f32 v[90:91], v[100:101], v[124:125], v[90:91] op_sel_hi:[1,1,0] neg_lo:[0,0,1] neg_hi:[0,0,1]
	s_delay_alu instid0(VALU_DEP_2) | instskip(NEXT) | instid1(VALU_DEP_1)
	v_pk_fma_f32 v[100:101], v[100:101], v[124:125], v[104:105] op_sel:[1,0,0] op_sel_hi:[0,1,0]
	v_mov_b32_e32 v91, v101
	s_delay_alu instid0(VALU_DEP_1) | instskip(SKIP_1) | instid1(VALU_DEP_1)
	v_pk_add_f32 v[210:211], v[210:211], v[90:91] neg_lo:[0,1] neg_hi:[0,1]
	v_pk_mul_f32 v[90:91], v[102:103], v[88:89] op_sel:[0,1]
	v_pk_fma_f32 v[100:101], v[102:103], v[86:87], v[90:91] op_sel:[0,0,1] op_sel_hi:[1,1,0] neg_lo:[0,0,1] neg_hi:[0,0,1]
	v_pk_fma_f32 v[90:91], v[102:103], v[86:87], v[90:91] op_sel:[0,0,1] op_sel_hi:[1,0,0]
	s_delay_alu instid0(VALU_DEP_1) | instskip(NEXT) | instid1(VALU_DEP_1)
	v_mov_b32_e32 v101, v91
	v_pk_add_f32 v[206:207], v[206:207], v[100:101] neg_lo:[0,1] neg_hi:[0,1]
	ds_load_2addr_b64 v[100:103], v196 offset0:52 offset1:53
	s_wait_dscnt 0x0
	v_pk_mul_f32 v[90:91], v[100:101], v[88:89] op_sel:[0,1]
	s_delay_alu instid0(VALU_DEP_1) | instskip(SKIP_1) | instid1(VALU_DEP_1)
	v_pk_fma_f32 v[104:105], v[100:101], v[86:87], v[90:91] op_sel:[0,0,1] op_sel_hi:[1,1,0] neg_lo:[0,0,1] neg_hi:[0,0,1]
	v_pk_fma_f32 v[90:91], v[100:101], v[86:87], v[90:91] op_sel:[0,0,1] op_sel_hi:[1,0,0]
	v_mov_b32_e32 v105, v91
	v_pk_mul_f32 v[90:91], v[102:103], v[88:89] op_sel:[0,1]
	s_delay_alu instid0(VALU_DEP_2) | instskip(NEXT) | instid1(VALU_DEP_2)
	v_pk_add_f32 v[228:229], v[228:229], v[104:105] neg_lo:[0,1] neg_hi:[0,1]
	v_pk_fma_f32 v[100:101], v[102:103], v[86:87], v[90:91] op_sel:[0,0,1] op_sel_hi:[1,1,0] neg_lo:[0,0,1] neg_hi:[0,0,1]
	v_pk_fma_f32 v[90:91], v[102:103], v[86:87], v[90:91] op_sel:[0,0,1] op_sel_hi:[1,0,0]
	s_delay_alu instid0(VALU_DEP_1) | instskip(NEXT) | instid1(VALU_DEP_1)
	v_mov_b32_e32 v101, v91
	v_pk_add_f32 v[224:225], v[224:225], v[100:101] neg_lo:[0,1] neg_hi:[0,1]
	ds_load_2addr_b64 v[100:103], v196 offset0:54 offset1:55
	s_wait_dscnt 0x0
	v_pk_mul_f32 v[90:91], v[100:101], v[88:89] op_sel:[0,1]
	s_delay_alu instid0(VALU_DEP_1) | instskip(SKIP_2) | instid1(VALU_DEP_2)
	v_pk_fma_f32 v[104:105], v[100:101], v[86:87], v[90:91] op_sel:[0,0,1] op_sel_hi:[1,1,0] neg_lo:[0,0,1] neg_hi:[0,0,1]
	v_pk_fma_f32 v[90:91], v[100:101], v[86:87], v[90:91] op_sel:[0,0,1] op_sel_hi:[1,0,0]
	v_dual_mul_f32 v100, v103, v89 :: v_dual_mov_b32 v90, v103
	v_dual_mov_b32 v105, v91 :: v_dual_mov_b32 v91, v102
	s_delay_alu instid0(VALU_DEP_2) | instskip(SKIP_1) | instid1(VALU_DEP_3)
	v_pk_fma_f32 v[100:101], v[102:103], v[124:125], v[100:101] op_sel_hi:[1,1,0] neg_lo:[0,0,1] neg_hi:[0,0,1]
	v_mul_f32_e32 v102, v103, v86
	v_pk_add_f32 v[226:227], v[226:227], v[104:105] neg_lo:[0,1] neg_hi:[0,1]
	s_delay_alu instid0(VALU_DEP_2) | instskip(NEXT) | instid1(VALU_DEP_1)
	v_pk_fma_f32 v[90:91], v[90:91], v[124:125], v[102:103] op_sel_hi:[1,1,0]
	v_mov_b32_e32 v101, v91
	s_delay_alu instid0(VALU_DEP_1) | instskip(SKIP_4) | instid1(VALU_DEP_2)
	v_pk_add_f32 v[222:223], v[222:223], v[100:101] neg_lo:[0,1] neg_hi:[0,1]
	ds_load_2addr_b64 v[100:103], v196 offset0:56 offset1:57
	s_wait_dscnt 0x0
	v_pk_mul_f32 v[90:91], v[100:101], v[88:89] op_sel:[0,1]
	v_pk_mul_f32 v[88:89], v[102:103], v[88:89] op_sel:[0,1]
	v_pk_fma_f32 v[104:105], v[100:101], v[86:87], v[90:91] op_sel:[0,0,1] op_sel_hi:[1,1,0] neg_lo:[0,0,1] neg_hi:[0,0,1]
	v_pk_fma_f32 v[90:91], v[100:101], v[86:87], v[90:91] op_sel:[0,0,1] op_sel_hi:[1,0,0]
	s_delay_alu instid0(VALU_DEP_1) | instskip(NEXT) | instid1(VALU_DEP_4)
	v_mov_b32_e32 v105, v91
	v_pk_fma_f32 v[90:91], v[102:103], v[86:87], v[88:89] op_sel:[0,0,1] op_sel_hi:[1,1,0] neg_lo:[0,0,1] neg_hi:[0,0,1]
	v_pk_fma_f32 v[86:87], v[102:103], v[86:87], v[88:89] op_sel:[0,0,1] op_sel_hi:[1,0,0]
	s_delay_alu instid0(VALU_DEP_3) | instskip(NEXT) | instid1(VALU_DEP_2)
	v_pk_add_f32 v[230:231], v[230:231], v[104:105] neg_lo:[0,1] neg_hi:[0,1]
	v_mov_b32_e32 v91, v87
	s_delay_alu instid0(VALU_DEP_1)
	v_pk_add_f32 v[232:233], v[232:233], v[90:91] neg_lo:[0,1] neg_hi:[0,1]
.LBB115_289:
	s_or_b32 exec_lo, exec_lo, s1
	s_delay_alu instid0(SALU_CYCLE_1)
	s_mov_b32 s2, exec_lo
	s_wait_dscnt 0x0
	s_barrier_signal -1
	s_barrier_wait -1
	v_cmpx_eq_u32_e32 32, v186
	s_cbranch_execz .LBB115_296
; %bb.290:
	ds_store_b64 v187, v[146:147]
	ds_store_2addr_b64 v196, v[142:143], v[144:145] offset0:33 offset1:34
	ds_store_2addr_b64 v196, v[140:141], v[162:163] offset0:35 offset1:36
	;; [unrolled: 1-line block ×12, first 2 shown]
	ds_store_b64 v196, v[232:233] offset:456
	ds_load_b64 v[86:87], v187
	s_wait_dscnt 0x0
	v_cmp_neq_f32_e32 vcc_lo, 0, v86
	v_cmp_neq_f32_e64 s1, 0, v87
	s_or_b32 s1, vcc_lo, s1
	s_delay_alu instid0(SALU_CYCLE_1)
	s_and_b32 exec_lo, exec_lo, s1
	s_cbranch_execz .LBB115_296
; %bb.291:
	v_cmp_ngt_f32_e64 s1, |v86|, |v87|
                                        ; implicit-def: $vgpr88_vgpr89
	s_and_saveexec_b32 s4, s1
	s_delay_alu instid0(SALU_CYCLE_1)
	s_xor_b32 s1, exec_lo, s4
	s_cbranch_execz .LBB115_293
; %bb.292:
	v_div_scale_f32 v88, null, v87, v87, v86
	v_div_scale_f32 v91, vcc_lo, v86, v87, v86
	s_delay_alu instid0(VALU_DEP_2) | instskip(SKIP_1) | instid1(TRANS32_DEP_1)
	v_rcp_f32_e32 v89, v88
	v_nop
	v_fma_f32 v90, -v88, v89, 1.0
	s_delay_alu instid0(VALU_DEP_1) | instskip(NEXT) | instid1(VALU_DEP_1)
	v_fmac_f32_e32 v89, v90, v89
	v_mul_f32_e32 v90, v91, v89
	s_delay_alu instid0(VALU_DEP_1) | instskip(NEXT) | instid1(VALU_DEP_1)
	v_fma_f32 v100, -v88, v90, v91
	v_fmac_f32_e32 v90, v100, v89
	s_delay_alu instid0(VALU_DEP_1) | instskip(NEXT) | instid1(VALU_DEP_1)
	v_fma_f32 v88, -v88, v90, v91
	v_div_fmas_f32 v88, v88, v89, v90
	s_delay_alu instid0(VALU_DEP_1) | instskip(NEXT) | instid1(VALU_DEP_1)
	v_div_fixup_f32 v88, v88, v87, v86
	v_fmac_f32_e32 v87, v86, v88
	s_delay_alu instid0(VALU_DEP_1) | instskip(SKIP_1) | instid1(VALU_DEP_2)
	v_div_scale_f32 v86, null, v87, v87, 1.0
	v_div_scale_f32 v91, vcc_lo, 1.0, v87, 1.0
	v_rcp_f32_e32 v89, v86
	v_nop
	s_delay_alu instid0(TRANS32_DEP_1) | instskip(NEXT) | instid1(VALU_DEP_1)
	v_fma_f32 v90, -v86, v89, 1.0
	v_fmac_f32_e32 v89, v90, v89
	s_delay_alu instid0(VALU_DEP_1) | instskip(NEXT) | instid1(VALU_DEP_1)
	v_mul_f32_e32 v90, v91, v89
	v_fma_f32 v100, -v86, v90, v91
	s_delay_alu instid0(VALU_DEP_1) | instskip(NEXT) | instid1(VALU_DEP_1)
	v_fmac_f32_e32 v90, v100, v89
	v_fma_f32 v86, -v86, v90, v91
	s_delay_alu instid0(VALU_DEP_1) | instskip(NEXT) | instid1(VALU_DEP_1)
	v_div_fmas_f32 v86, v86, v89, v90
	v_div_fixup_f32 v86, v86, v87, 1.0
	s_delay_alu instid0(VALU_DEP_1)
	v_mul_f32_e32 v88, v88, v86
	v_xor_b32_e32 v89, 0x80000000, v86
                                        ; implicit-def: $vgpr86_vgpr87
.LBB115_293:
	s_and_not1_saveexec_b32 s1, s1
	s_cbranch_execz .LBB115_295
; %bb.294:
	v_div_scale_f32 v88, null, v86, v86, v87
	v_div_scale_f32 v91, vcc_lo, v87, v86, v87
	s_delay_alu instid0(VALU_DEP_2) | instskip(SKIP_1) | instid1(TRANS32_DEP_1)
	v_rcp_f32_e32 v89, v88
	v_nop
	v_fma_f32 v90, -v88, v89, 1.0
	s_delay_alu instid0(VALU_DEP_1) | instskip(NEXT) | instid1(VALU_DEP_1)
	v_fmac_f32_e32 v89, v90, v89
	v_mul_f32_e32 v90, v91, v89
	s_delay_alu instid0(VALU_DEP_1) | instskip(NEXT) | instid1(VALU_DEP_1)
	v_fma_f32 v100, -v88, v90, v91
	v_fmac_f32_e32 v90, v100, v89
	s_delay_alu instid0(VALU_DEP_1) | instskip(NEXT) | instid1(VALU_DEP_1)
	v_fma_f32 v88, -v88, v90, v91
	v_div_fmas_f32 v88, v88, v89, v90
	s_delay_alu instid0(VALU_DEP_1) | instskip(NEXT) | instid1(VALU_DEP_1)
	v_div_fixup_f32 v89, v88, v86, v87
	v_fmac_f32_e32 v86, v87, v89
	s_delay_alu instid0(VALU_DEP_1) | instskip(NEXT) | instid1(VALU_DEP_1)
	v_div_scale_f32 v87, null, v86, v86, 1.0
	v_rcp_f32_e32 v88, v87
	v_nop
	s_delay_alu instid0(TRANS32_DEP_1) | instskip(NEXT) | instid1(VALU_DEP_1)
	v_fma_f32 v90, -v87, v88, 1.0
	v_fmac_f32_e32 v88, v90, v88
	v_div_scale_f32 v90, vcc_lo, 1.0, v86, 1.0
	s_delay_alu instid0(VALU_DEP_1) | instskip(NEXT) | instid1(VALU_DEP_1)
	v_mul_f32_e32 v91, v90, v88
	v_fma_f32 v100, -v87, v91, v90
	s_delay_alu instid0(VALU_DEP_1) | instskip(NEXT) | instid1(VALU_DEP_1)
	v_fmac_f32_e32 v91, v100, v88
	v_fma_f32 v87, -v87, v91, v90
	s_delay_alu instid0(VALU_DEP_1) | instskip(NEXT) | instid1(VALU_DEP_1)
	v_div_fmas_f32 v87, v87, v88, v91
	v_div_fixup_f32 v88, v87, v86, 1.0
	s_delay_alu instid0(VALU_DEP_1)
	v_mul_f32_e64 v89, v89, -v88
.LBB115_295:
	s_or_b32 exec_lo, exec_lo, s1
	ds_store_b64 v187, v[88:89]
.LBB115_296:
	s_or_b32 exec_lo, exec_lo, s2
	s_wait_dscnt 0x0
	s_barrier_signal -1
	s_barrier_wait -1
	ds_load_b64 v[86:87], v187
	s_mov_b32 s1, exec_lo
	v_cmpx_lt_u32_e32 32, v186
	s_cbranch_execz .LBB115_298
; %bb.297:
	ds_load_2addr_b64 v[100:103], v196 offset0:33 offset1:34
	s_wait_dscnt 0x1
	v_pk_mul_f32 v[90:91], v[86:87], v[146:147] op_sel:[1,1] op_sel_hi:[0,1]
	s_delay_alu instid0(VALU_DEP_1) | instskip(SKIP_1) | instid1(VALU_DEP_1)
	v_pk_fma_f32 v[88:89], v[86:87], v[146:147], v[90:91] op_sel_hi:[1,0,1] neg_lo:[0,0,1] neg_hi:[0,0,1]
	v_pk_fma_f32 v[90:91], v[86:87], v[146:147], v[90:91] op_sel_hi:[1,0,1]
	v_dual_mov_b32 v146, v88 :: v_dual_mov_b32 v147, v91
	s_wait_dscnt 0x0
	s_delay_alu instid0(VALU_DEP_2) | instskip(NEXT) | instid1(VALU_DEP_1)
	v_pk_mul_f32 v[104:105], v[100:101], v[90:91] op_sel:[0,1]
	v_pk_fma_f32 v[106:107], v[100:101], v[88:89], v[104:105] op_sel:[0,0,1] op_sel_hi:[1,1,0] neg_lo:[0,0,1] neg_hi:[0,0,1]
	v_pk_fma_f32 v[100:101], v[100:101], v[88:89], v[104:105] op_sel:[0,0,1] op_sel_hi:[1,0,0]
	s_delay_alu instid0(VALU_DEP_1) | instskip(SKIP_1) | instid1(VALU_DEP_1)
	v_mov_b32_e32 v107, v101
	v_pk_mul_f32 v[100:101], v[102:103], v[90:91] op_sel:[0,1]
	v_pk_fma_f32 v[104:105], v[102:103], v[88:89], v[100:101] op_sel:[0,0,1] op_sel_hi:[1,1,0] neg_lo:[0,0,1] neg_hi:[0,0,1]
	v_pk_fma_f32 v[100:101], v[102:103], v[88:89], v[100:101] op_sel:[0,0,1] op_sel_hi:[1,0,0]
	s_delay_alu instid0(VALU_DEP_1)
	v_mov_b32_e32 v105, v101
	ds_load_2addr_b64 v[100:103], v196 offset0:35 offset1:36
	v_pk_add_f32 v[142:143], v[142:143], v[106:107] neg_lo:[0,1] neg_hi:[0,1]
	v_pk_add_f32 v[144:145], v[144:145], v[104:105] neg_lo:[0,1] neg_hi:[0,1]
	s_wait_dscnt 0x0
	v_pk_mul_f32 v[104:105], v[100:101], v[90:91] op_sel:[0,1]
	s_delay_alu instid0(VALU_DEP_1) | instskip(SKIP_2) | instid1(VALU_DEP_2)
	v_pk_fma_f32 v[106:107], v[100:101], v[88:89], v[104:105] op_sel:[0,0,1] op_sel_hi:[1,1,0] neg_lo:[0,0,1] neg_hi:[0,0,1]
	v_pk_fma_f32 v[100:101], v[100:101], v[88:89], v[104:105] op_sel:[0,0,1] op_sel_hi:[1,0,0]
	v_dual_mul_f32 v104, v103, v91 :: v_dual_mov_b32 v100, v103
	v_dual_mov_b32 v107, v101 :: v_dual_mov_b32 v101, v102
	s_delay_alu instid0(VALU_DEP_2) | instskip(SKIP_1) | instid1(VALU_DEP_3)
	v_pk_fma_f32 v[104:105], v[102:103], v[146:147], v[104:105] op_sel_hi:[1,1,0] neg_lo:[0,0,1] neg_hi:[0,0,1]
	v_mul_f32_e32 v102, v103, v88
	v_pk_add_f32 v[140:141], v[140:141], v[106:107] neg_lo:[0,1] neg_hi:[0,1]
	s_delay_alu instid0(VALU_DEP_2) | instskip(NEXT) | instid1(VALU_DEP_1)
	v_pk_fma_f32 v[100:101], v[100:101], v[146:147], v[102:103] op_sel_hi:[1,1,0]
	v_mov_b32_e32 v105, v101
	ds_load_2addr_b64 v[100:103], v196 offset0:37 offset1:38
	v_pk_add_f32 v[162:163], v[162:163], v[104:105] neg_lo:[0,1] neg_hi:[0,1]
	s_wait_dscnt 0x0
	v_pk_mul_f32 v[104:105], v[100:101], v[90:91] op_sel:[0,1]
	s_delay_alu instid0(VALU_DEP_1) | instskip(SKIP_1) | instid1(VALU_DEP_1)
	v_pk_fma_f32 v[106:107], v[100:101], v[88:89], v[104:105] op_sel:[0,0,1] op_sel_hi:[1,1,0] neg_lo:[0,0,1] neg_hi:[0,0,1]
	v_pk_fma_f32 v[100:101], v[100:101], v[88:89], v[104:105] op_sel:[0,0,1] op_sel_hi:[1,0,0]
	v_mov_b32_e32 v107, v101
	v_pk_mul_f32 v[100:101], v[102:103], v[90:91] op_sel:[0,1]
	s_delay_alu instid0(VALU_DEP_1) | instskip(SKIP_1) | instid1(VALU_DEP_1)
	v_pk_fma_f32 v[104:105], v[102:103], v[88:89], v[100:101] op_sel:[0,0,1] op_sel_hi:[1,1,0] neg_lo:[0,0,1] neg_hi:[0,0,1]
	v_pk_fma_f32 v[100:101], v[102:103], v[88:89], v[100:101] op_sel:[0,0,1] op_sel_hi:[1,0,0]
	v_mov_b32_e32 v105, v101
	ds_load_2addr_b64 v[100:103], v196 offset0:39 offset1:40
	v_pk_add_f32 v[158:159], v[158:159], v[106:107] neg_lo:[0,1] neg_hi:[0,1]
	v_pk_add_f32 v[160:161], v[160:161], v[104:105] neg_lo:[0,1] neg_hi:[0,1]
	s_wait_dscnt 0x0
	v_pk_mul_f32 v[104:105], v[100:101], v[90:91] op_sel:[0,1]
	s_delay_alu instid0(VALU_DEP_1) | instskip(SKIP_1) | instid1(VALU_DEP_1)
	v_pk_fma_f32 v[106:107], v[100:101], v[88:89], v[104:105] op_sel:[0,0,1] op_sel_hi:[1,1,0] neg_lo:[0,0,1] neg_hi:[0,0,1]
	v_pk_fma_f32 v[100:101], v[100:101], v[88:89], v[104:105] op_sel:[0,0,1] op_sel_hi:[1,0,0]
	v_mov_b32_e32 v107, v101
	v_pk_mul_f32 v[100:101], v[102:103], v[90:91] op_sel:[0,1]
	s_delay_alu instid0(VALU_DEP_1) | instskip(SKIP_1) | instid1(VALU_DEP_1)
	v_pk_fma_f32 v[104:105], v[102:103], v[88:89], v[100:101] op_sel:[0,0,1] op_sel_hi:[1,1,0] neg_lo:[0,0,1] neg_hi:[0,0,1]
	v_pk_fma_f32 v[100:101], v[102:103], v[88:89], v[100:101] op_sel:[0,0,1] op_sel_hi:[1,0,0]
	v_mov_b32_e32 v105, v101
	ds_load_2addr_b64 v[100:103], v196 offset0:41 offset1:42
	v_pk_add_f32 v[156:157], v[156:157], v[106:107] neg_lo:[0,1] neg_hi:[0,1]
	v_pk_add_f32 v[178:179], v[178:179], v[104:105] neg_lo:[0,1] neg_hi:[0,1]
	s_wait_dscnt 0x0
	v_dual_mul_f32 v104, v101, v91 :: v_dual_mul_f32 v106, v101, v88
	s_delay_alu instid0(VALU_DEP_1) | instskip(NEXT) | instid1(VALU_DEP_2)
	v_pk_fma_f32 v[104:105], v[100:101], v[146:147], v[104:105] op_sel_hi:[1,1,0] neg_lo:[0,0,1] neg_hi:[0,0,1]
	v_pk_fma_f32 v[100:101], v[100:101], v[146:147], v[106:107] op_sel:[1,0,0] op_sel_hi:[0,1,0]
	s_delay_alu instid0(VALU_DEP_1) | instskip(SKIP_1) | instid1(VALU_DEP_2)
	v_mov_b32_e32 v105, v101
	v_pk_mul_f32 v[100:101], v[102:103], v[90:91] op_sel:[0,1]
	v_pk_add_f32 v[174:175], v[174:175], v[104:105] neg_lo:[0,1] neg_hi:[0,1]
	s_delay_alu instid0(VALU_DEP_2) | instskip(SKIP_1) | instid1(VALU_DEP_1)
	v_pk_fma_f32 v[104:105], v[102:103], v[88:89], v[100:101] op_sel:[0,0,1] op_sel_hi:[1,1,0] neg_lo:[0,0,1] neg_hi:[0,0,1]
	v_pk_fma_f32 v[100:101], v[102:103], v[88:89], v[100:101] op_sel:[0,0,1] op_sel_hi:[1,0,0]
	v_mov_b32_e32 v105, v101
	ds_load_2addr_b64 v[100:103], v196 offset0:43 offset1:44
	v_pk_add_f32 v[176:177], v[176:177], v[104:105] neg_lo:[0,1] neg_hi:[0,1]
	s_wait_dscnt 0x0
	v_pk_mul_f32 v[104:105], v[100:101], v[90:91] op_sel:[0,1]
	s_delay_alu instid0(VALU_DEP_1) | instskip(SKIP_1) | instid1(VALU_DEP_1)
	v_pk_fma_f32 v[106:107], v[100:101], v[88:89], v[104:105] op_sel:[0,0,1] op_sel_hi:[1,1,0] neg_lo:[0,0,1] neg_hi:[0,0,1]
	v_pk_fma_f32 v[100:101], v[100:101], v[88:89], v[104:105] op_sel:[0,0,1] op_sel_hi:[1,0,0]
	v_mov_b32_e32 v107, v101
	v_pk_mul_f32 v[100:101], v[102:103], v[90:91] op_sel:[0,1]
	s_delay_alu instid0(VALU_DEP_2) | instskip(NEXT) | instid1(VALU_DEP_2)
	v_pk_add_f32 v[172:173], v[172:173], v[106:107] neg_lo:[0,1] neg_hi:[0,1]
	v_pk_fma_f32 v[104:105], v[102:103], v[88:89], v[100:101] op_sel:[0,0,1] op_sel_hi:[1,1,0] neg_lo:[0,0,1] neg_hi:[0,0,1]
	v_pk_fma_f32 v[100:101], v[102:103], v[88:89], v[100:101] op_sel:[0,0,1] op_sel_hi:[1,0,0]
	s_delay_alu instid0(VALU_DEP_1) | instskip(SKIP_4) | instid1(VALU_DEP_1)
	v_mov_b32_e32 v105, v101
	ds_load_2addr_b64 v[100:103], v196 offset0:45 offset1:46
	v_pk_add_f32 v[194:195], v[194:195], v[104:105] neg_lo:[0,1] neg_hi:[0,1]
	s_wait_dscnt 0x0
	v_pk_mul_f32 v[104:105], v[100:101], v[90:91] op_sel:[0,1]
	v_pk_fma_f32 v[106:107], v[100:101], v[88:89], v[104:105] op_sel:[0,0,1] op_sel_hi:[1,1,0] neg_lo:[0,0,1] neg_hi:[0,0,1]
	v_pk_fma_f32 v[100:101], v[100:101], v[88:89], v[104:105] op_sel:[0,0,1] op_sel_hi:[1,0,0]
	v_dual_mul_f32 v104, v103, v91 :: v_dual_mov_b32 v100, v103
	s_delay_alu instid0(VALU_DEP_2) | instskip(NEXT) | instid1(VALU_DEP_2)
	v_dual_mov_b32 v107, v101 :: v_dual_mov_b32 v101, v102
	v_pk_fma_f32 v[104:105], v[102:103], v[146:147], v[104:105] op_sel_hi:[1,1,0] neg_lo:[0,0,1] neg_hi:[0,0,1]
	v_mul_f32_e32 v102, v103, v88
	s_delay_alu instid0(VALU_DEP_3) | instskip(NEXT) | instid1(VALU_DEP_2)
	v_pk_add_f32 v[190:191], v[190:191], v[106:107] neg_lo:[0,1] neg_hi:[0,1]
	v_pk_fma_f32 v[100:101], v[100:101], v[146:147], v[102:103] op_sel_hi:[1,1,0]
	s_delay_alu instid0(VALU_DEP_1) | instskip(SKIP_4) | instid1(VALU_DEP_1)
	v_mov_b32_e32 v105, v101
	ds_load_2addr_b64 v[100:103], v196 offset0:47 offset1:48
	v_pk_add_f32 v[192:193], v[192:193], v[104:105] neg_lo:[0,1] neg_hi:[0,1]
	s_wait_dscnt 0x0
	v_pk_mul_f32 v[104:105], v[100:101], v[90:91] op_sel:[0,1]
	v_pk_fma_f32 v[106:107], v[100:101], v[88:89], v[104:105] op_sel:[0,0,1] op_sel_hi:[1,1,0] neg_lo:[0,0,1] neg_hi:[0,0,1]
	v_pk_fma_f32 v[100:101], v[100:101], v[88:89], v[104:105] op_sel:[0,0,1] op_sel_hi:[1,0,0]
	s_delay_alu instid0(VALU_DEP_1) | instskip(SKIP_1) | instid1(VALU_DEP_1)
	v_mov_b32_e32 v107, v101
	v_pk_mul_f32 v[100:101], v[102:103], v[90:91] op_sel:[0,1]
	v_pk_fma_f32 v[104:105], v[102:103], v[88:89], v[100:101] op_sel:[0,0,1] op_sel_hi:[1,1,0] neg_lo:[0,0,1] neg_hi:[0,0,1]
	v_pk_fma_f32 v[100:101], v[102:103], v[88:89], v[100:101] op_sel:[0,0,1] op_sel_hi:[1,0,0]
	s_delay_alu instid0(VALU_DEP_1)
	v_mov_b32_e32 v105, v101
	ds_load_2addr_b64 v[100:103], v196 offset0:49 offset1:50
	v_pk_add_f32 v[188:189], v[188:189], v[106:107] neg_lo:[0,1] neg_hi:[0,1]
	v_pk_add_f32 v[212:213], v[212:213], v[104:105] neg_lo:[0,1] neg_hi:[0,1]
	s_wait_dscnt 0x0
	v_pk_mul_f32 v[104:105], v[100:101], v[90:91] op_sel:[0,1]
	s_delay_alu instid0(VALU_DEP_1) | instskip(SKIP_1) | instid1(VALU_DEP_1)
	v_pk_fma_f32 v[106:107], v[100:101], v[88:89], v[104:105] op_sel:[0,0,1] op_sel_hi:[1,1,0] neg_lo:[0,0,1] neg_hi:[0,0,1]
	v_pk_fma_f32 v[100:101], v[100:101], v[88:89], v[104:105] op_sel:[0,0,1] op_sel_hi:[1,0,0]
	v_mov_b32_e32 v107, v101
	v_pk_mul_f32 v[100:101], v[102:103], v[90:91] op_sel:[0,1]
	s_delay_alu instid0(VALU_DEP_1) | instskip(SKIP_1) | instid1(VALU_DEP_1)
	v_pk_fma_f32 v[104:105], v[102:103], v[88:89], v[100:101] op_sel:[0,0,1] op_sel_hi:[1,1,0] neg_lo:[0,0,1] neg_hi:[0,0,1]
	v_pk_fma_f32 v[100:101], v[102:103], v[88:89], v[100:101] op_sel:[0,0,1] op_sel_hi:[1,0,0]
	v_mov_b32_e32 v105, v101
	ds_load_2addr_b64 v[100:103], v196 offset0:51 offset1:52
	v_pk_add_f32 v[208:209], v[208:209], v[106:107] neg_lo:[0,1] neg_hi:[0,1]
	v_pk_add_f32 v[210:211], v[210:211], v[104:105] neg_lo:[0,1] neg_hi:[0,1]
	s_wait_dscnt 0x0
	v_dual_mul_f32 v104, v101, v91 :: v_dual_mul_f32 v106, v101, v88
	s_delay_alu instid0(VALU_DEP_1) | instskip(NEXT) | instid1(VALU_DEP_2)
	v_pk_fma_f32 v[104:105], v[100:101], v[146:147], v[104:105] op_sel_hi:[1,1,0] neg_lo:[0,0,1] neg_hi:[0,0,1]
	v_pk_fma_f32 v[100:101], v[100:101], v[146:147], v[106:107] op_sel:[1,0,0] op_sel_hi:[0,1,0]
	s_delay_alu instid0(VALU_DEP_1) | instskip(SKIP_1) | instid1(VALU_DEP_2)
	v_mov_b32_e32 v105, v101
	v_pk_mul_f32 v[100:101], v[102:103], v[90:91] op_sel:[0,1]
	v_pk_add_f32 v[206:207], v[206:207], v[104:105] neg_lo:[0,1] neg_hi:[0,1]
	s_delay_alu instid0(VALU_DEP_2) | instskip(SKIP_1) | instid1(VALU_DEP_1)
	v_pk_fma_f32 v[104:105], v[102:103], v[88:89], v[100:101] op_sel:[0,0,1] op_sel_hi:[1,1,0] neg_lo:[0,0,1] neg_hi:[0,0,1]
	v_pk_fma_f32 v[100:101], v[102:103], v[88:89], v[100:101] op_sel:[0,0,1] op_sel_hi:[1,0,0]
	v_mov_b32_e32 v105, v101
	ds_load_2addr_b64 v[100:103], v196 offset0:53 offset1:54
	v_pk_add_f32 v[228:229], v[228:229], v[104:105] neg_lo:[0,1] neg_hi:[0,1]
	s_wait_dscnt 0x0
	v_pk_mul_f32 v[104:105], v[100:101], v[90:91] op_sel:[0,1]
	s_delay_alu instid0(VALU_DEP_1) | instskip(SKIP_1) | instid1(VALU_DEP_1)
	v_pk_fma_f32 v[106:107], v[100:101], v[88:89], v[104:105] op_sel:[0,0,1] op_sel_hi:[1,1,0] neg_lo:[0,0,1] neg_hi:[0,0,1]
	v_pk_fma_f32 v[100:101], v[100:101], v[88:89], v[104:105] op_sel:[0,0,1] op_sel_hi:[1,0,0]
	v_mov_b32_e32 v107, v101
	v_pk_mul_f32 v[100:101], v[102:103], v[90:91] op_sel:[0,1]
	s_delay_alu instid0(VALU_DEP_2) | instskip(NEXT) | instid1(VALU_DEP_2)
	v_pk_add_f32 v[224:225], v[224:225], v[106:107] neg_lo:[0,1] neg_hi:[0,1]
	v_pk_fma_f32 v[104:105], v[102:103], v[88:89], v[100:101] op_sel:[0,0,1] op_sel_hi:[1,1,0] neg_lo:[0,0,1] neg_hi:[0,0,1]
	v_pk_fma_f32 v[100:101], v[102:103], v[88:89], v[100:101] op_sel:[0,0,1] op_sel_hi:[1,0,0]
	s_delay_alu instid0(VALU_DEP_1) | instskip(SKIP_4) | instid1(VALU_DEP_1)
	v_mov_b32_e32 v105, v101
	ds_load_2addr_b64 v[100:103], v196 offset0:55 offset1:56
	v_pk_add_f32 v[226:227], v[226:227], v[104:105] neg_lo:[0,1] neg_hi:[0,1]
	s_wait_dscnt 0x0
	v_pk_mul_f32 v[104:105], v[100:101], v[90:91] op_sel:[0,1]
	v_pk_fma_f32 v[106:107], v[100:101], v[88:89], v[104:105] op_sel:[0,0,1] op_sel_hi:[1,1,0] neg_lo:[0,0,1] neg_hi:[0,0,1]
	v_pk_fma_f32 v[100:101], v[100:101], v[88:89], v[104:105] op_sel:[0,0,1] op_sel_hi:[1,0,0]
	v_dual_mul_f32 v104, v103, v91 :: v_dual_mov_b32 v100, v103
	s_delay_alu instid0(VALU_DEP_2) | instskip(NEXT) | instid1(VALU_DEP_2)
	v_dual_mov_b32 v107, v101 :: v_dual_mov_b32 v101, v102
	v_pk_fma_f32 v[104:105], v[102:103], v[146:147], v[104:105] op_sel_hi:[1,1,0] neg_lo:[0,0,1] neg_hi:[0,0,1]
	v_mul_f32_e32 v102, v103, v88
	s_delay_alu instid0(VALU_DEP_3) | instskip(NEXT) | instid1(VALU_DEP_2)
	v_pk_add_f32 v[222:223], v[222:223], v[106:107] neg_lo:[0,1] neg_hi:[0,1]
	v_pk_fma_f32 v[100:101], v[100:101], v[146:147], v[102:103] op_sel_hi:[1,1,0]
	s_delay_alu instid0(VALU_DEP_1) | instskip(SKIP_4) | instid1(VALU_DEP_1)
	v_mov_b32_e32 v105, v101
	ds_load_b64 v[100:101], v196 offset:456
	v_pk_add_f32 v[230:231], v[230:231], v[104:105] neg_lo:[0,1] neg_hi:[0,1]
	s_wait_dscnt 0x0
	v_pk_mul_f32 v[90:91], v[100:101], v[90:91] op_sel:[0,1]
	v_pk_fma_f32 v[102:103], v[100:101], v[88:89], v[90:91] op_sel:[0,0,1] op_sel_hi:[1,1,0] neg_lo:[0,0,1] neg_hi:[0,0,1]
	v_pk_fma_f32 v[88:89], v[100:101], v[88:89], v[90:91] op_sel:[0,0,1] op_sel_hi:[1,0,0]
	s_delay_alu instid0(VALU_DEP_1) | instskip(NEXT) | instid1(VALU_DEP_1)
	v_mov_b32_e32 v103, v89
	v_pk_add_f32 v[232:233], v[232:233], v[102:103] neg_lo:[0,1] neg_hi:[0,1]
.LBB115_298:
	s_or_b32 exec_lo, exec_lo, s1
	s_delay_alu instid0(SALU_CYCLE_1)
	s_mov_b32 s2, exec_lo
	s_wait_dscnt 0x0
	s_barrier_signal -1
	s_barrier_wait -1
	v_cmpx_eq_u32_e32 33, v186
	s_cbranch_execz .LBB115_305
; %bb.299:
	v_dual_mov_b32 v88, v144 :: v_dual_mov_b32 v89, v145
	v_dual_mov_b32 v90, v140 :: v_dual_mov_b32 v91, v141
	ds_store_b64 v187, v[142:143]
	ds_store_2addr_b64 v196, v[88:89], v[90:91] offset0:34 offset1:35
	v_dual_mov_b32 v88, v162 :: v_dual_mov_b32 v89, v163
	v_dual_mov_b32 v90, v158 :: v_dual_mov_b32 v91, v159
	ds_store_2addr_b64 v196, v[88:89], v[90:91] offset0:36 offset1:37
	v_dual_mov_b32 v88, v160 :: v_dual_mov_b32 v89, v161
	v_dual_mov_b32 v90, v156 :: v_dual_mov_b32 v91, v157
	;; [unrolled: 3-line block ×10, first 2 shown]
	ds_store_2addr_b64 v196, v[88:89], v[90:91] offset0:54 offset1:55
	v_dual_mov_b32 v88, v230 :: v_dual_mov_b32 v89, v231
	ds_store_2addr_b64 v196, v[88:89], v[232:233] offset0:56 offset1:57
	ds_load_b64 v[88:89], v187
	s_wait_dscnt 0x0
	v_cmp_neq_f32_e32 vcc_lo, 0, v88
	v_cmp_neq_f32_e64 s1, 0, v89
	s_or_b32 s1, vcc_lo, s1
	s_delay_alu instid0(SALU_CYCLE_1)
	s_and_b32 exec_lo, exec_lo, s1
	s_cbranch_execz .LBB115_305
; %bb.300:
	v_cmp_ngt_f32_e64 s1, |v88|, |v89|
                                        ; implicit-def: $vgpr90_vgpr91
	s_and_saveexec_b32 s4, s1
	s_delay_alu instid0(SALU_CYCLE_1)
	s_xor_b32 s1, exec_lo, s4
	s_cbranch_execz .LBB115_302
; %bb.301:
	v_div_scale_f32 v90, null, v89, v89, v88
	v_div_scale_f32 v101, vcc_lo, v88, v89, v88
	s_delay_alu instid0(VALU_DEP_2) | instskip(SKIP_1) | instid1(TRANS32_DEP_1)
	v_rcp_f32_e32 v91, v90
	v_nop
	v_fma_f32 v100, -v90, v91, 1.0
	s_delay_alu instid0(VALU_DEP_1) | instskip(NEXT) | instid1(VALU_DEP_1)
	v_fmac_f32_e32 v91, v100, v91
	v_mul_f32_e32 v100, v101, v91
	s_delay_alu instid0(VALU_DEP_1) | instskip(NEXT) | instid1(VALU_DEP_1)
	v_fma_f32 v102, -v90, v100, v101
	v_fmac_f32_e32 v100, v102, v91
	s_delay_alu instid0(VALU_DEP_1) | instskip(NEXT) | instid1(VALU_DEP_1)
	v_fma_f32 v90, -v90, v100, v101
	v_div_fmas_f32 v90, v90, v91, v100
	s_delay_alu instid0(VALU_DEP_1) | instskip(NEXT) | instid1(VALU_DEP_1)
	v_div_fixup_f32 v90, v90, v89, v88
	v_fmac_f32_e32 v89, v88, v90
	s_delay_alu instid0(VALU_DEP_1) | instskip(SKIP_1) | instid1(VALU_DEP_2)
	v_div_scale_f32 v88, null, v89, v89, 1.0
	v_div_scale_f32 v101, vcc_lo, 1.0, v89, 1.0
	v_rcp_f32_e32 v91, v88
	v_nop
	s_delay_alu instid0(TRANS32_DEP_1) | instskip(NEXT) | instid1(VALU_DEP_1)
	v_fma_f32 v100, -v88, v91, 1.0
	v_fmac_f32_e32 v91, v100, v91
	s_delay_alu instid0(VALU_DEP_1) | instskip(NEXT) | instid1(VALU_DEP_1)
	v_mul_f32_e32 v100, v101, v91
	v_fma_f32 v102, -v88, v100, v101
	s_delay_alu instid0(VALU_DEP_1) | instskip(NEXT) | instid1(VALU_DEP_1)
	v_fmac_f32_e32 v100, v102, v91
	v_fma_f32 v88, -v88, v100, v101
	s_delay_alu instid0(VALU_DEP_1) | instskip(NEXT) | instid1(VALU_DEP_1)
	v_div_fmas_f32 v88, v88, v91, v100
	v_div_fixup_f32 v88, v88, v89, 1.0
	s_delay_alu instid0(VALU_DEP_1)
	v_mul_f32_e32 v90, v90, v88
	v_xor_b32_e32 v91, 0x80000000, v88
                                        ; implicit-def: $vgpr88_vgpr89
.LBB115_302:
	s_and_not1_saveexec_b32 s1, s1
	s_cbranch_execz .LBB115_304
; %bb.303:
	v_div_scale_f32 v90, null, v88, v88, v89
	v_div_scale_f32 v101, vcc_lo, v89, v88, v89
	s_delay_alu instid0(VALU_DEP_2) | instskip(SKIP_1) | instid1(TRANS32_DEP_1)
	v_rcp_f32_e32 v91, v90
	v_nop
	v_fma_f32 v100, -v90, v91, 1.0
	s_delay_alu instid0(VALU_DEP_1) | instskip(NEXT) | instid1(VALU_DEP_1)
	v_fmac_f32_e32 v91, v100, v91
	v_mul_f32_e32 v100, v101, v91
	s_delay_alu instid0(VALU_DEP_1) | instskip(NEXT) | instid1(VALU_DEP_1)
	v_fma_f32 v102, -v90, v100, v101
	v_fmac_f32_e32 v100, v102, v91
	s_delay_alu instid0(VALU_DEP_1) | instskip(NEXT) | instid1(VALU_DEP_1)
	v_fma_f32 v90, -v90, v100, v101
	v_div_fmas_f32 v90, v90, v91, v100
	s_delay_alu instid0(VALU_DEP_1) | instskip(NEXT) | instid1(VALU_DEP_1)
	v_div_fixup_f32 v91, v90, v88, v89
	v_fmac_f32_e32 v88, v89, v91
	s_delay_alu instid0(VALU_DEP_1) | instskip(NEXT) | instid1(VALU_DEP_1)
	v_div_scale_f32 v89, null, v88, v88, 1.0
	v_rcp_f32_e32 v90, v89
	v_nop
	s_delay_alu instid0(TRANS32_DEP_1) | instskip(NEXT) | instid1(VALU_DEP_1)
	v_fma_f32 v100, -v89, v90, 1.0
	v_fmac_f32_e32 v90, v100, v90
	v_div_scale_f32 v100, vcc_lo, 1.0, v88, 1.0
	s_delay_alu instid0(VALU_DEP_1) | instskip(NEXT) | instid1(VALU_DEP_1)
	v_mul_f32_e32 v101, v100, v90
	v_fma_f32 v102, -v89, v101, v100
	s_delay_alu instid0(VALU_DEP_1) | instskip(NEXT) | instid1(VALU_DEP_1)
	v_fmac_f32_e32 v101, v102, v90
	v_fma_f32 v89, -v89, v101, v100
	s_delay_alu instid0(VALU_DEP_1) | instskip(NEXT) | instid1(VALU_DEP_1)
	v_div_fmas_f32 v89, v89, v90, v101
	v_div_fixup_f32 v90, v89, v88, 1.0
	s_delay_alu instid0(VALU_DEP_1)
	v_mul_f32_e64 v91, v91, -v90
.LBB115_304:
	s_or_b32 exec_lo, exec_lo, s1
	ds_store_b64 v187, v[90:91]
.LBB115_305:
	s_or_b32 exec_lo, exec_lo, s2
	s_wait_dscnt 0x0
	s_barrier_signal -1
	s_barrier_wait -1
	ds_load_b64 v[88:89], v187
	s_mov_b32 s1, exec_lo
	v_cmpx_lt_u32_e32 33, v186
	s_cbranch_execz .LBB115_307
; %bb.306:
	ds_load_2addr_b64 v[102:105], v196 offset0:34 offset1:35
	s_wait_dscnt 0x1
	v_pk_mul_f32 v[100:101], v[88:89], v[142:143] op_sel:[1,1] op_sel_hi:[0,1]
	s_delay_alu instid0(VALU_DEP_1) | instskip(SKIP_1) | instid1(VALU_DEP_1)
	v_pk_fma_f32 v[90:91], v[88:89], v[142:143], v[100:101] op_sel_hi:[1,0,1] neg_lo:[0,0,1] neg_hi:[0,0,1]
	v_pk_fma_f32 v[100:101], v[88:89], v[142:143], v[100:101] op_sel_hi:[1,0,1]
	v_dual_mov_b32 v142, v90 :: v_dual_mov_b32 v143, v101
	s_wait_dscnt 0x0
	s_delay_alu instid0(VALU_DEP_2) | instskip(NEXT) | instid1(VALU_DEP_1)
	v_pk_mul_f32 v[106:107], v[102:103], v[100:101] op_sel:[0,1]
	v_pk_fma_f32 v[116:117], v[102:103], v[90:91], v[106:107] op_sel:[0,0,1] op_sel_hi:[1,1,0] neg_lo:[0,0,1] neg_hi:[0,0,1]
	v_pk_fma_f32 v[102:103], v[102:103], v[90:91], v[106:107] op_sel:[0,0,1] op_sel_hi:[1,0,0]
	s_delay_alu instid0(VALU_DEP_1) | instskip(SKIP_1) | instid1(VALU_DEP_1)
	v_mov_b32_e32 v117, v103
	v_pk_mul_f32 v[102:103], v[104:105], v[100:101] op_sel:[0,1]
	v_pk_fma_f32 v[106:107], v[104:105], v[90:91], v[102:103] op_sel:[0,0,1] op_sel_hi:[1,1,0] neg_lo:[0,0,1] neg_hi:[0,0,1]
	v_pk_fma_f32 v[102:103], v[104:105], v[90:91], v[102:103] op_sel:[0,0,1] op_sel_hi:[1,0,0]
	s_delay_alu instid0(VALU_DEP_1)
	v_mov_b32_e32 v107, v103
	ds_load_2addr_b64 v[102:105], v196 offset0:36 offset1:37
	v_pk_add_f32 v[144:145], v[144:145], v[116:117] neg_lo:[0,1] neg_hi:[0,1]
	v_pk_add_f32 v[140:141], v[140:141], v[106:107] neg_lo:[0,1] neg_hi:[0,1]
	s_wait_dscnt 0x0
	v_pk_mul_f32 v[106:107], v[102:103], v[100:101] op_sel:[0,1]
	s_delay_alu instid0(VALU_DEP_1) | instskip(SKIP_2) | instid1(VALU_DEP_2)
	v_pk_fma_f32 v[116:117], v[102:103], v[90:91], v[106:107] op_sel:[0,0,1] op_sel_hi:[1,1,0] neg_lo:[0,0,1] neg_hi:[0,0,1]
	v_pk_fma_f32 v[102:103], v[102:103], v[90:91], v[106:107] op_sel:[0,0,1] op_sel_hi:[1,0,0]
	v_dual_mul_f32 v106, v105, v101 :: v_dual_mov_b32 v102, v105
	v_dual_mov_b32 v117, v103 :: v_dual_mov_b32 v103, v104
	s_delay_alu instid0(VALU_DEP_2) | instskip(SKIP_1) | instid1(VALU_DEP_3)
	v_pk_fma_f32 v[106:107], v[104:105], v[142:143], v[106:107] op_sel_hi:[1,1,0] neg_lo:[0,0,1] neg_hi:[0,0,1]
	v_mul_f32_e32 v104, v105, v90
	v_pk_add_f32 v[162:163], v[162:163], v[116:117] neg_lo:[0,1] neg_hi:[0,1]
	s_delay_alu instid0(VALU_DEP_2) | instskip(NEXT) | instid1(VALU_DEP_1)
	v_pk_fma_f32 v[102:103], v[102:103], v[142:143], v[104:105] op_sel_hi:[1,1,0]
	v_mov_b32_e32 v107, v103
	ds_load_2addr_b64 v[102:105], v196 offset0:38 offset1:39
	v_pk_add_f32 v[158:159], v[158:159], v[106:107] neg_lo:[0,1] neg_hi:[0,1]
	s_wait_dscnt 0x0
	v_pk_mul_f32 v[106:107], v[102:103], v[100:101] op_sel:[0,1]
	s_delay_alu instid0(VALU_DEP_1) | instskip(SKIP_1) | instid1(VALU_DEP_1)
	v_pk_fma_f32 v[116:117], v[102:103], v[90:91], v[106:107] op_sel:[0,0,1] op_sel_hi:[1,1,0] neg_lo:[0,0,1] neg_hi:[0,0,1]
	v_pk_fma_f32 v[102:103], v[102:103], v[90:91], v[106:107] op_sel:[0,0,1] op_sel_hi:[1,0,0]
	v_mov_b32_e32 v117, v103
	v_pk_mul_f32 v[102:103], v[104:105], v[100:101] op_sel:[0,1]
	s_delay_alu instid0(VALU_DEP_1) | instskip(SKIP_1) | instid1(VALU_DEP_1)
	v_pk_fma_f32 v[106:107], v[104:105], v[90:91], v[102:103] op_sel:[0,0,1] op_sel_hi:[1,1,0] neg_lo:[0,0,1] neg_hi:[0,0,1]
	v_pk_fma_f32 v[102:103], v[104:105], v[90:91], v[102:103] op_sel:[0,0,1] op_sel_hi:[1,0,0]
	v_mov_b32_e32 v107, v103
	ds_load_2addr_b64 v[102:105], v196 offset0:40 offset1:41
	v_pk_add_f32 v[160:161], v[160:161], v[116:117] neg_lo:[0,1] neg_hi:[0,1]
	v_pk_add_f32 v[156:157], v[156:157], v[106:107] neg_lo:[0,1] neg_hi:[0,1]
	s_wait_dscnt 0x0
	v_pk_mul_f32 v[106:107], v[102:103], v[100:101] op_sel:[0,1]
	s_delay_alu instid0(VALU_DEP_1) | instskip(SKIP_1) | instid1(VALU_DEP_1)
	v_pk_fma_f32 v[116:117], v[102:103], v[90:91], v[106:107] op_sel:[0,0,1] op_sel_hi:[1,1,0] neg_lo:[0,0,1] neg_hi:[0,0,1]
	v_pk_fma_f32 v[102:103], v[102:103], v[90:91], v[106:107] op_sel:[0,0,1] op_sel_hi:[1,0,0]
	v_mov_b32_e32 v117, v103
	v_pk_mul_f32 v[102:103], v[104:105], v[100:101] op_sel:[0,1]
	s_delay_alu instid0(VALU_DEP_1) | instskip(SKIP_1) | instid1(VALU_DEP_1)
	v_pk_fma_f32 v[106:107], v[104:105], v[90:91], v[102:103] op_sel:[0,0,1] op_sel_hi:[1,1,0] neg_lo:[0,0,1] neg_hi:[0,0,1]
	v_pk_fma_f32 v[102:103], v[104:105], v[90:91], v[102:103] op_sel:[0,0,1] op_sel_hi:[1,0,0]
	v_mov_b32_e32 v107, v103
	ds_load_2addr_b64 v[102:105], v196 offset0:42 offset1:43
	v_pk_add_f32 v[178:179], v[178:179], v[116:117] neg_lo:[0,1] neg_hi:[0,1]
	v_pk_add_f32 v[174:175], v[174:175], v[106:107] neg_lo:[0,1] neg_hi:[0,1]
	s_wait_dscnt 0x0
	v_dual_mul_f32 v106, v103, v101 :: v_dual_mul_f32 v116, v103, v90
	s_delay_alu instid0(VALU_DEP_1) | instskip(NEXT) | instid1(VALU_DEP_2)
	v_pk_fma_f32 v[106:107], v[102:103], v[142:143], v[106:107] op_sel_hi:[1,1,0] neg_lo:[0,0,1] neg_hi:[0,0,1]
	v_pk_fma_f32 v[102:103], v[102:103], v[142:143], v[116:117] op_sel:[1,0,0] op_sel_hi:[0,1,0]
	s_delay_alu instid0(VALU_DEP_1) | instskip(SKIP_1) | instid1(VALU_DEP_2)
	v_mov_b32_e32 v107, v103
	v_pk_mul_f32 v[102:103], v[104:105], v[100:101] op_sel:[0,1]
	v_pk_add_f32 v[176:177], v[176:177], v[106:107] neg_lo:[0,1] neg_hi:[0,1]
	s_delay_alu instid0(VALU_DEP_2) | instskip(SKIP_1) | instid1(VALU_DEP_1)
	v_pk_fma_f32 v[106:107], v[104:105], v[90:91], v[102:103] op_sel:[0,0,1] op_sel_hi:[1,1,0] neg_lo:[0,0,1] neg_hi:[0,0,1]
	v_pk_fma_f32 v[102:103], v[104:105], v[90:91], v[102:103] op_sel:[0,0,1] op_sel_hi:[1,0,0]
	v_mov_b32_e32 v107, v103
	ds_load_2addr_b64 v[102:105], v196 offset0:44 offset1:45
	v_pk_add_f32 v[172:173], v[172:173], v[106:107] neg_lo:[0,1] neg_hi:[0,1]
	s_wait_dscnt 0x0
	v_pk_mul_f32 v[106:107], v[102:103], v[100:101] op_sel:[0,1]
	s_delay_alu instid0(VALU_DEP_1) | instskip(SKIP_1) | instid1(VALU_DEP_1)
	v_pk_fma_f32 v[116:117], v[102:103], v[90:91], v[106:107] op_sel:[0,0,1] op_sel_hi:[1,1,0] neg_lo:[0,0,1] neg_hi:[0,0,1]
	v_pk_fma_f32 v[102:103], v[102:103], v[90:91], v[106:107] op_sel:[0,0,1] op_sel_hi:[1,0,0]
	v_mov_b32_e32 v117, v103
	v_pk_mul_f32 v[102:103], v[104:105], v[100:101] op_sel:[0,1]
	s_delay_alu instid0(VALU_DEP_2) | instskip(NEXT) | instid1(VALU_DEP_2)
	v_pk_add_f32 v[194:195], v[194:195], v[116:117] neg_lo:[0,1] neg_hi:[0,1]
	v_pk_fma_f32 v[106:107], v[104:105], v[90:91], v[102:103] op_sel:[0,0,1] op_sel_hi:[1,1,0] neg_lo:[0,0,1] neg_hi:[0,0,1]
	v_pk_fma_f32 v[102:103], v[104:105], v[90:91], v[102:103] op_sel:[0,0,1] op_sel_hi:[1,0,0]
	s_delay_alu instid0(VALU_DEP_1) | instskip(SKIP_4) | instid1(VALU_DEP_1)
	v_mov_b32_e32 v107, v103
	ds_load_2addr_b64 v[102:105], v196 offset0:46 offset1:47
	v_pk_add_f32 v[190:191], v[190:191], v[106:107] neg_lo:[0,1] neg_hi:[0,1]
	s_wait_dscnt 0x0
	v_pk_mul_f32 v[106:107], v[102:103], v[100:101] op_sel:[0,1]
	v_pk_fma_f32 v[116:117], v[102:103], v[90:91], v[106:107] op_sel:[0,0,1] op_sel_hi:[1,1,0] neg_lo:[0,0,1] neg_hi:[0,0,1]
	v_pk_fma_f32 v[102:103], v[102:103], v[90:91], v[106:107] op_sel:[0,0,1] op_sel_hi:[1,0,0]
	v_dual_mul_f32 v106, v105, v101 :: v_dual_mov_b32 v102, v105
	s_delay_alu instid0(VALU_DEP_2) | instskip(NEXT) | instid1(VALU_DEP_2)
	v_dual_mov_b32 v117, v103 :: v_dual_mov_b32 v103, v104
	v_pk_fma_f32 v[106:107], v[104:105], v[142:143], v[106:107] op_sel_hi:[1,1,0] neg_lo:[0,0,1] neg_hi:[0,0,1]
	v_mul_f32_e32 v104, v105, v90
	s_delay_alu instid0(VALU_DEP_3) | instskip(NEXT) | instid1(VALU_DEP_2)
	v_pk_add_f32 v[192:193], v[192:193], v[116:117] neg_lo:[0,1] neg_hi:[0,1]
	v_pk_fma_f32 v[102:103], v[102:103], v[142:143], v[104:105] op_sel_hi:[1,1,0]
	s_delay_alu instid0(VALU_DEP_1) | instskip(SKIP_4) | instid1(VALU_DEP_1)
	v_mov_b32_e32 v107, v103
	ds_load_2addr_b64 v[102:105], v196 offset0:48 offset1:49
	v_pk_add_f32 v[188:189], v[188:189], v[106:107] neg_lo:[0,1] neg_hi:[0,1]
	s_wait_dscnt 0x0
	v_pk_mul_f32 v[106:107], v[102:103], v[100:101] op_sel:[0,1]
	v_pk_fma_f32 v[116:117], v[102:103], v[90:91], v[106:107] op_sel:[0,0,1] op_sel_hi:[1,1,0] neg_lo:[0,0,1] neg_hi:[0,0,1]
	v_pk_fma_f32 v[102:103], v[102:103], v[90:91], v[106:107] op_sel:[0,0,1] op_sel_hi:[1,0,0]
	s_delay_alu instid0(VALU_DEP_1) | instskip(SKIP_1) | instid1(VALU_DEP_1)
	v_mov_b32_e32 v117, v103
	v_pk_mul_f32 v[102:103], v[104:105], v[100:101] op_sel:[0,1]
	v_pk_fma_f32 v[106:107], v[104:105], v[90:91], v[102:103] op_sel:[0,0,1] op_sel_hi:[1,1,0] neg_lo:[0,0,1] neg_hi:[0,0,1]
	v_pk_fma_f32 v[102:103], v[104:105], v[90:91], v[102:103] op_sel:[0,0,1] op_sel_hi:[1,0,0]
	s_delay_alu instid0(VALU_DEP_1)
	v_mov_b32_e32 v107, v103
	ds_load_2addr_b64 v[102:105], v196 offset0:50 offset1:51
	v_pk_add_f32 v[212:213], v[212:213], v[116:117] neg_lo:[0,1] neg_hi:[0,1]
	v_pk_add_f32 v[208:209], v[208:209], v[106:107] neg_lo:[0,1] neg_hi:[0,1]
	s_wait_dscnt 0x0
	v_pk_mul_f32 v[106:107], v[102:103], v[100:101] op_sel:[0,1]
	s_delay_alu instid0(VALU_DEP_1) | instskip(SKIP_1) | instid1(VALU_DEP_1)
	v_pk_fma_f32 v[116:117], v[102:103], v[90:91], v[106:107] op_sel:[0,0,1] op_sel_hi:[1,1,0] neg_lo:[0,0,1] neg_hi:[0,0,1]
	v_pk_fma_f32 v[102:103], v[102:103], v[90:91], v[106:107] op_sel:[0,0,1] op_sel_hi:[1,0,0]
	v_mov_b32_e32 v117, v103
	v_pk_mul_f32 v[102:103], v[104:105], v[100:101] op_sel:[0,1]
	s_delay_alu instid0(VALU_DEP_1) | instskip(SKIP_1) | instid1(VALU_DEP_1)
	v_pk_fma_f32 v[106:107], v[104:105], v[90:91], v[102:103] op_sel:[0,0,1] op_sel_hi:[1,1,0] neg_lo:[0,0,1] neg_hi:[0,0,1]
	v_pk_fma_f32 v[102:103], v[104:105], v[90:91], v[102:103] op_sel:[0,0,1] op_sel_hi:[1,0,0]
	v_mov_b32_e32 v107, v103
	ds_load_2addr_b64 v[102:105], v196 offset0:52 offset1:53
	v_pk_add_f32 v[210:211], v[210:211], v[116:117] neg_lo:[0,1] neg_hi:[0,1]
	v_pk_add_f32 v[206:207], v[206:207], v[106:107] neg_lo:[0,1] neg_hi:[0,1]
	s_wait_dscnt 0x0
	v_dual_mul_f32 v106, v103, v101 :: v_dual_mul_f32 v116, v103, v90
	s_delay_alu instid0(VALU_DEP_1) | instskip(NEXT) | instid1(VALU_DEP_2)
	v_pk_fma_f32 v[106:107], v[102:103], v[142:143], v[106:107] op_sel_hi:[1,1,0] neg_lo:[0,0,1] neg_hi:[0,0,1]
	v_pk_fma_f32 v[102:103], v[102:103], v[142:143], v[116:117] op_sel:[1,0,0] op_sel_hi:[0,1,0]
	s_delay_alu instid0(VALU_DEP_1) | instskip(SKIP_1) | instid1(VALU_DEP_2)
	v_mov_b32_e32 v107, v103
	v_pk_mul_f32 v[102:103], v[104:105], v[100:101] op_sel:[0,1]
	v_pk_add_f32 v[228:229], v[228:229], v[106:107] neg_lo:[0,1] neg_hi:[0,1]
	s_delay_alu instid0(VALU_DEP_2) | instskip(SKIP_1) | instid1(VALU_DEP_1)
	v_pk_fma_f32 v[106:107], v[104:105], v[90:91], v[102:103] op_sel:[0,0,1] op_sel_hi:[1,1,0] neg_lo:[0,0,1] neg_hi:[0,0,1]
	v_pk_fma_f32 v[102:103], v[104:105], v[90:91], v[102:103] op_sel:[0,0,1] op_sel_hi:[1,0,0]
	v_mov_b32_e32 v107, v103
	ds_load_2addr_b64 v[102:105], v196 offset0:54 offset1:55
	v_pk_add_f32 v[224:225], v[224:225], v[106:107] neg_lo:[0,1] neg_hi:[0,1]
	s_wait_dscnt 0x0
	v_pk_mul_f32 v[106:107], v[102:103], v[100:101] op_sel:[0,1]
	s_delay_alu instid0(VALU_DEP_1) | instskip(SKIP_1) | instid1(VALU_DEP_1)
	v_pk_fma_f32 v[116:117], v[102:103], v[90:91], v[106:107] op_sel:[0,0,1] op_sel_hi:[1,1,0] neg_lo:[0,0,1] neg_hi:[0,0,1]
	v_pk_fma_f32 v[102:103], v[102:103], v[90:91], v[106:107] op_sel:[0,0,1] op_sel_hi:[1,0,0]
	v_mov_b32_e32 v117, v103
	v_pk_mul_f32 v[102:103], v[104:105], v[100:101] op_sel:[0,1]
	s_delay_alu instid0(VALU_DEP_2) | instskip(NEXT) | instid1(VALU_DEP_2)
	v_pk_add_f32 v[226:227], v[226:227], v[116:117] neg_lo:[0,1] neg_hi:[0,1]
	v_pk_fma_f32 v[106:107], v[104:105], v[90:91], v[102:103] op_sel:[0,0,1] op_sel_hi:[1,1,0] neg_lo:[0,0,1] neg_hi:[0,0,1]
	v_pk_fma_f32 v[102:103], v[104:105], v[90:91], v[102:103] op_sel:[0,0,1] op_sel_hi:[1,0,0]
	s_delay_alu instid0(VALU_DEP_1)
	v_mov_b32_e32 v107, v103
	ds_load_2addr_b64 v[102:105], v196 offset0:56 offset1:57
	v_pk_add_f32 v[222:223], v[222:223], v[106:107] neg_lo:[0,1] neg_hi:[0,1]
	s_wait_dscnt 0x0
	v_pk_mul_f32 v[106:107], v[102:103], v[100:101] op_sel:[0,1]
	v_mul_f32_e32 v100, v105, v101
	s_delay_alu instid0(VALU_DEP_2) | instskip(SKIP_2) | instid1(VALU_DEP_4)
	v_pk_fma_f32 v[116:117], v[102:103], v[90:91], v[106:107] op_sel:[0,0,1] op_sel_hi:[1,1,0] neg_lo:[0,0,1] neg_hi:[0,0,1]
	v_pk_fma_f32 v[102:103], v[102:103], v[90:91], v[106:107] op_sel:[0,0,1] op_sel_hi:[1,0,0]
	v_dual_mov_b32 v102, v105 :: v_dual_mul_f32 v90, v105, v90
	v_pk_fma_f32 v[100:101], v[104:105], v[142:143], v[100:101] op_sel_hi:[1,1,0] neg_lo:[0,0,1] neg_hi:[0,0,1]
	s_delay_alu instid0(VALU_DEP_3) | instskip(NEXT) | instid1(VALU_DEP_1)
	v_dual_mov_b32 v117, v103 :: v_dual_mov_b32 v103, v104
	v_pk_add_f32 v[230:231], v[230:231], v[116:117] neg_lo:[0,1] neg_hi:[0,1]
	s_delay_alu instid0(VALU_DEP_2) | instskip(NEXT) | instid1(VALU_DEP_1)
	v_pk_fma_f32 v[90:91], v[102:103], v[142:143], v[90:91] op_sel_hi:[1,1,0]
	v_mov_b32_e32 v101, v91
	s_delay_alu instid0(VALU_DEP_1)
	v_pk_add_f32 v[232:233], v[232:233], v[100:101] neg_lo:[0,1] neg_hi:[0,1]
.LBB115_307:
	s_or_b32 exec_lo, exec_lo, s1
	s_delay_alu instid0(SALU_CYCLE_1)
	s_mov_b32 s2, exec_lo
	s_wait_dscnt 0x0
	s_barrier_signal -1
	s_barrier_wait -1
	v_cmpx_eq_u32_e32 34, v186
	s_cbranch_execz .LBB115_314
; %bb.308:
	ds_store_b64 v187, v[144:145]
	ds_store_2addr_b64 v196, v[140:141], v[162:163] offset0:35 offset1:36
	ds_store_2addr_b64 v196, v[158:159], v[160:161] offset0:37 offset1:38
	;; [unrolled: 1-line block ×11, first 2 shown]
	ds_store_b64 v196, v[232:233] offset:456
	ds_load_b64 v[90:91], v187
	s_wait_dscnt 0x0
	v_cmp_neq_f32_e32 vcc_lo, 0, v90
	v_cmp_neq_f32_e64 s1, 0, v91
	s_or_b32 s1, vcc_lo, s1
	s_delay_alu instid0(SALU_CYCLE_1)
	s_and_b32 exec_lo, exec_lo, s1
	s_cbranch_execz .LBB115_314
; %bb.309:
	v_cmp_ngt_f32_e64 s1, |v90|, |v91|
                                        ; implicit-def: $vgpr100_vgpr101
	s_and_saveexec_b32 s4, s1
	s_delay_alu instid0(SALU_CYCLE_1)
	s_xor_b32 s1, exec_lo, s4
	s_cbranch_execz .LBB115_311
; %bb.310:
	v_div_scale_f32 v100, null, v91, v91, v90
	v_div_scale_f32 v103, vcc_lo, v90, v91, v90
	s_delay_alu instid0(VALU_DEP_2) | instskip(SKIP_1) | instid1(TRANS32_DEP_1)
	v_rcp_f32_e32 v101, v100
	v_nop
	v_fma_f32 v102, -v100, v101, 1.0
	s_delay_alu instid0(VALU_DEP_1) | instskip(NEXT) | instid1(VALU_DEP_1)
	v_fmac_f32_e32 v101, v102, v101
	v_mul_f32_e32 v102, v103, v101
	s_delay_alu instid0(VALU_DEP_1) | instskip(NEXT) | instid1(VALU_DEP_1)
	v_fma_f32 v104, -v100, v102, v103
	v_fmac_f32_e32 v102, v104, v101
	s_delay_alu instid0(VALU_DEP_1) | instskip(NEXT) | instid1(VALU_DEP_1)
	v_fma_f32 v100, -v100, v102, v103
	v_div_fmas_f32 v100, v100, v101, v102
	s_delay_alu instid0(VALU_DEP_1) | instskip(NEXT) | instid1(VALU_DEP_1)
	v_div_fixup_f32 v100, v100, v91, v90
	v_fmac_f32_e32 v91, v90, v100
	s_delay_alu instid0(VALU_DEP_1) | instskip(SKIP_1) | instid1(VALU_DEP_2)
	v_div_scale_f32 v90, null, v91, v91, 1.0
	v_div_scale_f32 v103, vcc_lo, 1.0, v91, 1.0
	v_rcp_f32_e32 v101, v90
	v_nop
	s_delay_alu instid0(TRANS32_DEP_1) | instskip(NEXT) | instid1(VALU_DEP_1)
	v_fma_f32 v102, -v90, v101, 1.0
	v_fmac_f32_e32 v101, v102, v101
	s_delay_alu instid0(VALU_DEP_1) | instskip(NEXT) | instid1(VALU_DEP_1)
	v_mul_f32_e32 v102, v103, v101
	v_fma_f32 v104, -v90, v102, v103
	s_delay_alu instid0(VALU_DEP_1) | instskip(NEXT) | instid1(VALU_DEP_1)
	v_fmac_f32_e32 v102, v104, v101
	v_fma_f32 v90, -v90, v102, v103
	s_delay_alu instid0(VALU_DEP_1) | instskip(NEXT) | instid1(VALU_DEP_1)
	v_div_fmas_f32 v90, v90, v101, v102
	v_div_fixup_f32 v90, v90, v91, 1.0
	s_delay_alu instid0(VALU_DEP_1)
	v_mul_f32_e32 v100, v100, v90
	v_xor_b32_e32 v101, 0x80000000, v90
                                        ; implicit-def: $vgpr90_vgpr91
.LBB115_311:
	s_and_not1_saveexec_b32 s1, s1
	s_cbranch_execz .LBB115_313
; %bb.312:
	v_div_scale_f32 v100, null, v90, v90, v91
	v_div_scale_f32 v103, vcc_lo, v91, v90, v91
	s_delay_alu instid0(VALU_DEP_2) | instskip(SKIP_1) | instid1(TRANS32_DEP_1)
	v_rcp_f32_e32 v101, v100
	v_nop
	v_fma_f32 v102, -v100, v101, 1.0
	s_delay_alu instid0(VALU_DEP_1) | instskip(NEXT) | instid1(VALU_DEP_1)
	v_fmac_f32_e32 v101, v102, v101
	v_mul_f32_e32 v102, v103, v101
	s_delay_alu instid0(VALU_DEP_1) | instskip(NEXT) | instid1(VALU_DEP_1)
	v_fma_f32 v104, -v100, v102, v103
	v_fmac_f32_e32 v102, v104, v101
	s_delay_alu instid0(VALU_DEP_1) | instskip(NEXT) | instid1(VALU_DEP_1)
	v_fma_f32 v100, -v100, v102, v103
	v_div_fmas_f32 v100, v100, v101, v102
	s_delay_alu instid0(VALU_DEP_1) | instskip(NEXT) | instid1(VALU_DEP_1)
	v_div_fixup_f32 v101, v100, v90, v91
	v_fmac_f32_e32 v90, v91, v101
	s_delay_alu instid0(VALU_DEP_1) | instskip(NEXT) | instid1(VALU_DEP_1)
	v_div_scale_f32 v91, null, v90, v90, 1.0
	v_rcp_f32_e32 v100, v91
	v_nop
	s_delay_alu instid0(TRANS32_DEP_1) | instskip(NEXT) | instid1(VALU_DEP_1)
	v_fma_f32 v102, -v91, v100, 1.0
	v_fmac_f32_e32 v100, v102, v100
	v_div_scale_f32 v102, vcc_lo, 1.0, v90, 1.0
	s_delay_alu instid0(VALU_DEP_1) | instskip(NEXT) | instid1(VALU_DEP_1)
	v_mul_f32_e32 v103, v102, v100
	v_fma_f32 v104, -v91, v103, v102
	s_delay_alu instid0(VALU_DEP_1) | instskip(NEXT) | instid1(VALU_DEP_1)
	v_fmac_f32_e32 v103, v104, v100
	v_fma_f32 v91, -v91, v103, v102
	s_delay_alu instid0(VALU_DEP_1) | instskip(NEXT) | instid1(VALU_DEP_1)
	v_div_fmas_f32 v91, v91, v100, v103
	v_div_fixup_f32 v100, v91, v90, 1.0
	s_delay_alu instid0(VALU_DEP_1)
	v_mul_f32_e64 v101, v101, -v100
.LBB115_313:
	s_or_b32 exec_lo, exec_lo, s1
	ds_store_b64 v187, v[100:101]
.LBB115_314:
	s_or_b32 exec_lo, exec_lo, s2
	s_wait_dscnt 0x0
	s_barrier_signal -1
	s_barrier_wait -1
	ds_load_b64 v[90:91], v187
	s_mov_b32 s1, exec_lo
	v_cmpx_lt_u32_e32 34, v186
	s_cbranch_execz .LBB115_316
; %bb.315:
	ds_load_2addr_b64 v[104:107], v196 offset0:35 offset1:36
	s_wait_dscnt 0x1
	v_pk_mul_f32 v[102:103], v[90:91], v[144:145] op_sel:[1,1] op_sel_hi:[0,1]
	s_delay_alu instid0(VALU_DEP_1) | instskip(SKIP_1) | instid1(VALU_DEP_1)
	v_pk_fma_f32 v[100:101], v[90:91], v[144:145], v[102:103] op_sel_hi:[1,0,1] neg_lo:[0,0,1] neg_hi:[0,0,1]
	v_pk_fma_f32 v[102:103], v[90:91], v[144:145], v[102:103] op_sel_hi:[1,0,1]
	v_dual_mov_b32 v144, v100 :: v_dual_mov_b32 v145, v103
	s_wait_dscnt 0x0
	s_delay_alu instid0(VALU_DEP_2) | instskip(NEXT) | instid1(VALU_DEP_1)
	v_pk_mul_f32 v[116:117], v[104:105], v[102:103] op_sel:[0,1]
	v_pk_fma_f32 v[118:119], v[104:105], v[100:101], v[116:117] op_sel:[0,0,1] op_sel_hi:[1,1,0] neg_lo:[0,0,1] neg_hi:[0,0,1]
	v_pk_fma_f32 v[104:105], v[104:105], v[100:101], v[116:117] op_sel:[0,0,1] op_sel_hi:[1,0,0]
	s_delay_alu instid0(VALU_DEP_1) | instskip(SKIP_1) | instid1(VALU_DEP_1)
	v_mov_b32_e32 v119, v105
	v_pk_mul_f32 v[104:105], v[106:107], v[102:103] op_sel:[0,1]
	v_pk_fma_f32 v[116:117], v[106:107], v[100:101], v[104:105] op_sel:[0,0,1] op_sel_hi:[1,1,0] neg_lo:[0,0,1] neg_hi:[0,0,1]
	v_pk_fma_f32 v[104:105], v[106:107], v[100:101], v[104:105] op_sel:[0,0,1] op_sel_hi:[1,0,0]
	s_delay_alu instid0(VALU_DEP_1)
	v_mov_b32_e32 v117, v105
	ds_load_2addr_b64 v[104:107], v196 offset0:37 offset1:38
	v_pk_add_f32 v[140:141], v[140:141], v[118:119] neg_lo:[0,1] neg_hi:[0,1]
	v_pk_add_f32 v[162:163], v[162:163], v[116:117] neg_lo:[0,1] neg_hi:[0,1]
	s_wait_dscnt 0x0
	v_pk_mul_f32 v[116:117], v[104:105], v[102:103] op_sel:[0,1]
	s_delay_alu instid0(VALU_DEP_1) | instskip(SKIP_2) | instid1(VALU_DEP_2)
	v_pk_fma_f32 v[118:119], v[104:105], v[100:101], v[116:117] op_sel:[0,0,1] op_sel_hi:[1,1,0] neg_lo:[0,0,1] neg_hi:[0,0,1]
	v_pk_fma_f32 v[104:105], v[104:105], v[100:101], v[116:117] op_sel:[0,0,1] op_sel_hi:[1,0,0]
	v_dual_mul_f32 v116, v107, v103 :: v_dual_mov_b32 v104, v107
	v_dual_mov_b32 v119, v105 :: v_dual_mov_b32 v105, v106
	s_delay_alu instid0(VALU_DEP_2) | instskip(SKIP_1) | instid1(VALU_DEP_3)
	v_pk_fma_f32 v[116:117], v[106:107], v[144:145], v[116:117] op_sel_hi:[1,1,0] neg_lo:[0,0,1] neg_hi:[0,0,1]
	v_mul_f32_e32 v106, v107, v100
	v_pk_add_f32 v[158:159], v[158:159], v[118:119] neg_lo:[0,1] neg_hi:[0,1]
	s_delay_alu instid0(VALU_DEP_2) | instskip(NEXT) | instid1(VALU_DEP_1)
	v_pk_fma_f32 v[104:105], v[104:105], v[144:145], v[106:107] op_sel_hi:[1,1,0]
	v_mov_b32_e32 v117, v105
	ds_load_2addr_b64 v[104:107], v196 offset0:39 offset1:40
	v_pk_add_f32 v[160:161], v[160:161], v[116:117] neg_lo:[0,1] neg_hi:[0,1]
	s_wait_dscnt 0x0
	v_pk_mul_f32 v[116:117], v[104:105], v[102:103] op_sel:[0,1]
	s_delay_alu instid0(VALU_DEP_1) | instskip(SKIP_1) | instid1(VALU_DEP_1)
	v_pk_fma_f32 v[118:119], v[104:105], v[100:101], v[116:117] op_sel:[0,0,1] op_sel_hi:[1,1,0] neg_lo:[0,0,1] neg_hi:[0,0,1]
	v_pk_fma_f32 v[104:105], v[104:105], v[100:101], v[116:117] op_sel:[0,0,1] op_sel_hi:[1,0,0]
	v_mov_b32_e32 v119, v105
	v_pk_mul_f32 v[104:105], v[106:107], v[102:103] op_sel:[0,1]
	s_delay_alu instid0(VALU_DEP_1) | instskip(SKIP_1) | instid1(VALU_DEP_1)
	v_pk_fma_f32 v[116:117], v[106:107], v[100:101], v[104:105] op_sel:[0,0,1] op_sel_hi:[1,1,0] neg_lo:[0,0,1] neg_hi:[0,0,1]
	v_pk_fma_f32 v[104:105], v[106:107], v[100:101], v[104:105] op_sel:[0,0,1] op_sel_hi:[1,0,0]
	v_mov_b32_e32 v117, v105
	ds_load_2addr_b64 v[104:107], v196 offset0:41 offset1:42
	v_pk_add_f32 v[156:157], v[156:157], v[118:119] neg_lo:[0,1] neg_hi:[0,1]
	v_pk_add_f32 v[178:179], v[178:179], v[116:117] neg_lo:[0,1] neg_hi:[0,1]
	s_wait_dscnt 0x0
	v_pk_mul_f32 v[116:117], v[104:105], v[102:103] op_sel:[0,1]
	s_delay_alu instid0(VALU_DEP_1) | instskip(SKIP_1) | instid1(VALU_DEP_1)
	v_pk_fma_f32 v[118:119], v[104:105], v[100:101], v[116:117] op_sel:[0,0,1] op_sel_hi:[1,1,0] neg_lo:[0,0,1] neg_hi:[0,0,1]
	v_pk_fma_f32 v[104:105], v[104:105], v[100:101], v[116:117] op_sel:[0,0,1] op_sel_hi:[1,0,0]
	v_mov_b32_e32 v119, v105
	v_pk_mul_f32 v[104:105], v[106:107], v[102:103] op_sel:[0,1]
	s_delay_alu instid0(VALU_DEP_1) | instskip(SKIP_1) | instid1(VALU_DEP_1)
	v_pk_fma_f32 v[116:117], v[106:107], v[100:101], v[104:105] op_sel:[0,0,1] op_sel_hi:[1,1,0] neg_lo:[0,0,1] neg_hi:[0,0,1]
	v_pk_fma_f32 v[104:105], v[106:107], v[100:101], v[104:105] op_sel:[0,0,1] op_sel_hi:[1,0,0]
	v_mov_b32_e32 v117, v105
	ds_load_2addr_b64 v[104:107], v196 offset0:43 offset1:44
	v_pk_add_f32 v[174:175], v[174:175], v[118:119] neg_lo:[0,1] neg_hi:[0,1]
	v_pk_add_f32 v[176:177], v[176:177], v[116:117] neg_lo:[0,1] neg_hi:[0,1]
	s_wait_dscnt 0x0
	v_dual_mul_f32 v116, v105, v103 :: v_dual_mul_f32 v118, v105, v100
	s_delay_alu instid0(VALU_DEP_1) | instskip(NEXT) | instid1(VALU_DEP_2)
	v_pk_fma_f32 v[116:117], v[104:105], v[144:145], v[116:117] op_sel_hi:[1,1,0] neg_lo:[0,0,1] neg_hi:[0,0,1]
	v_pk_fma_f32 v[104:105], v[104:105], v[144:145], v[118:119] op_sel:[1,0,0] op_sel_hi:[0,1,0]
	s_delay_alu instid0(VALU_DEP_1) | instskip(SKIP_1) | instid1(VALU_DEP_2)
	v_mov_b32_e32 v117, v105
	v_pk_mul_f32 v[104:105], v[106:107], v[102:103] op_sel:[0,1]
	v_pk_add_f32 v[172:173], v[172:173], v[116:117] neg_lo:[0,1] neg_hi:[0,1]
	s_delay_alu instid0(VALU_DEP_2) | instskip(SKIP_1) | instid1(VALU_DEP_1)
	v_pk_fma_f32 v[116:117], v[106:107], v[100:101], v[104:105] op_sel:[0,0,1] op_sel_hi:[1,1,0] neg_lo:[0,0,1] neg_hi:[0,0,1]
	v_pk_fma_f32 v[104:105], v[106:107], v[100:101], v[104:105] op_sel:[0,0,1] op_sel_hi:[1,0,0]
	v_mov_b32_e32 v117, v105
	ds_load_2addr_b64 v[104:107], v196 offset0:45 offset1:46
	v_pk_add_f32 v[194:195], v[194:195], v[116:117] neg_lo:[0,1] neg_hi:[0,1]
	s_wait_dscnt 0x0
	v_pk_mul_f32 v[116:117], v[104:105], v[102:103] op_sel:[0,1]
	s_delay_alu instid0(VALU_DEP_1) | instskip(SKIP_1) | instid1(VALU_DEP_1)
	v_pk_fma_f32 v[118:119], v[104:105], v[100:101], v[116:117] op_sel:[0,0,1] op_sel_hi:[1,1,0] neg_lo:[0,0,1] neg_hi:[0,0,1]
	v_pk_fma_f32 v[104:105], v[104:105], v[100:101], v[116:117] op_sel:[0,0,1] op_sel_hi:[1,0,0]
	v_mov_b32_e32 v119, v105
	v_pk_mul_f32 v[104:105], v[106:107], v[102:103] op_sel:[0,1]
	s_delay_alu instid0(VALU_DEP_2) | instskip(NEXT) | instid1(VALU_DEP_2)
	v_pk_add_f32 v[190:191], v[190:191], v[118:119] neg_lo:[0,1] neg_hi:[0,1]
	v_pk_fma_f32 v[116:117], v[106:107], v[100:101], v[104:105] op_sel:[0,0,1] op_sel_hi:[1,1,0] neg_lo:[0,0,1] neg_hi:[0,0,1]
	v_pk_fma_f32 v[104:105], v[106:107], v[100:101], v[104:105] op_sel:[0,0,1] op_sel_hi:[1,0,0]
	s_delay_alu instid0(VALU_DEP_1) | instskip(SKIP_4) | instid1(VALU_DEP_1)
	v_mov_b32_e32 v117, v105
	ds_load_2addr_b64 v[104:107], v196 offset0:47 offset1:48
	v_pk_add_f32 v[192:193], v[192:193], v[116:117] neg_lo:[0,1] neg_hi:[0,1]
	s_wait_dscnt 0x0
	v_pk_mul_f32 v[116:117], v[104:105], v[102:103] op_sel:[0,1]
	v_pk_fma_f32 v[118:119], v[104:105], v[100:101], v[116:117] op_sel:[0,0,1] op_sel_hi:[1,1,0] neg_lo:[0,0,1] neg_hi:[0,0,1]
	v_pk_fma_f32 v[104:105], v[104:105], v[100:101], v[116:117] op_sel:[0,0,1] op_sel_hi:[1,0,0]
	v_dual_mul_f32 v116, v107, v103 :: v_dual_mov_b32 v104, v107
	s_delay_alu instid0(VALU_DEP_2) | instskip(NEXT) | instid1(VALU_DEP_2)
	v_dual_mov_b32 v119, v105 :: v_dual_mov_b32 v105, v106
	v_pk_fma_f32 v[116:117], v[106:107], v[144:145], v[116:117] op_sel_hi:[1,1,0] neg_lo:[0,0,1] neg_hi:[0,0,1]
	v_mul_f32_e32 v106, v107, v100
	s_delay_alu instid0(VALU_DEP_3) | instskip(NEXT) | instid1(VALU_DEP_2)
	v_pk_add_f32 v[188:189], v[188:189], v[118:119] neg_lo:[0,1] neg_hi:[0,1]
	v_pk_fma_f32 v[104:105], v[104:105], v[144:145], v[106:107] op_sel_hi:[1,1,0]
	s_delay_alu instid0(VALU_DEP_1) | instskip(SKIP_4) | instid1(VALU_DEP_1)
	v_mov_b32_e32 v117, v105
	ds_load_2addr_b64 v[104:107], v196 offset0:49 offset1:50
	v_pk_add_f32 v[212:213], v[212:213], v[116:117] neg_lo:[0,1] neg_hi:[0,1]
	s_wait_dscnt 0x0
	v_pk_mul_f32 v[116:117], v[104:105], v[102:103] op_sel:[0,1]
	v_pk_fma_f32 v[118:119], v[104:105], v[100:101], v[116:117] op_sel:[0,0,1] op_sel_hi:[1,1,0] neg_lo:[0,0,1] neg_hi:[0,0,1]
	v_pk_fma_f32 v[104:105], v[104:105], v[100:101], v[116:117] op_sel:[0,0,1] op_sel_hi:[1,0,0]
	s_delay_alu instid0(VALU_DEP_1) | instskip(SKIP_1) | instid1(VALU_DEP_1)
	v_mov_b32_e32 v119, v105
	v_pk_mul_f32 v[104:105], v[106:107], v[102:103] op_sel:[0,1]
	v_pk_fma_f32 v[116:117], v[106:107], v[100:101], v[104:105] op_sel:[0,0,1] op_sel_hi:[1,1,0] neg_lo:[0,0,1] neg_hi:[0,0,1]
	v_pk_fma_f32 v[104:105], v[106:107], v[100:101], v[104:105] op_sel:[0,0,1] op_sel_hi:[1,0,0]
	s_delay_alu instid0(VALU_DEP_1)
	v_mov_b32_e32 v117, v105
	ds_load_2addr_b64 v[104:107], v196 offset0:51 offset1:52
	v_pk_add_f32 v[208:209], v[208:209], v[118:119] neg_lo:[0,1] neg_hi:[0,1]
	v_pk_add_f32 v[210:211], v[210:211], v[116:117] neg_lo:[0,1] neg_hi:[0,1]
	s_wait_dscnt 0x0
	v_pk_mul_f32 v[116:117], v[104:105], v[102:103] op_sel:[0,1]
	s_delay_alu instid0(VALU_DEP_1) | instskip(SKIP_1) | instid1(VALU_DEP_1)
	v_pk_fma_f32 v[118:119], v[104:105], v[100:101], v[116:117] op_sel:[0,0,1] op_sel_hi:[1,1,0] neg_lo:[0,0,1] neg_hi:[0,0,1]
	v_pk_fma_f32 v[104:105], v[104:105], v[100:101], v[116:117] op_sel:[0,0,1] op_sel_hi:[1,0,0]
	v_mov_b32_e32 v119, v105
	v_pk_mul_f32 v[104:105], v[106:107], v[102:103] op_sel:[0,1]
	s_delay_alu instid0(VALU_DEP_1) | instskip(SKIP_1) | instid1(VALU_DEP_1)
	v_pk_fma_f32 v[116:117], v[106:107], v[100:101], v[104:105] op_sel:[0,0,1] op_sel_hi:[1,1,0] neg_lo:[0,0,1] neg_hi:[0,0,1]
	v_pk_fma_f32 v[104:105], v[106:107], v[100:101], v[104:105] op_sel:[0,0,1] op_sel_hi:[1,0,0]
	v_mov_b32_e32 v117, v105
	ds_load_2addr_b64 v[104:107], v196 offset0:53 offset1:54
	v_pk_add_f32 v[206:207], v[206:207], v[118:119] neg_lo:[0,1] neg_hi:[0,1]
	v_pk_add_f32 v[228:229], v[228:229], v[116:117] neg_lo:[0,1] neg_hi:[0,1]
	s_wait_dscnt 0x0
	v_dual_mul_f32 v116, v105, v103 :: v_dual_mul_f32 v118, v105, v100
	s_delay_alu instid0(VALU_DEP_1) | instskip(NEXT) | instid1(VALU_DEP_2)
	v_pk_fma_f32 v[116:117], v[104:105], v[144:145], v[116:117] op_sel_hi:[1,1,0] neg_lo:[0,0,1] neg_hi:[0,0,1]
	v_pk_fma_f32 v[104:105], v[104:105], v[144:145], v[118:119] op_sel:[1,0,0] op_sel_hi:[0,1,0]
	s_delay_alu instid0(VALU_DEP_1) | instskip(SKIP_1) | instid1(VALU_DEP_2)
	v_mov_b32_e32 v117, v105
	v_pk_mul_f32 v[104:105], v[106:107], v[102:103] op_sel:[0,1]
	v_pk_add_f32 v[224:225], v[224:225], v[116:117] neg_lo:[0,1] neg_hi:[0,1]
	s_delay_alu instid0(VALU_DEP_2) | instskip(SKIP_1) | instid1(VALU_DEP_1)
	v_pk_fma_f32 v[116:117], v[106:107], v[100:101], v[104:105] op_sel:[0,0,1] op_sel_hi:[1,1,0] neg_lo:[0,0,1] neg_hi:[0,0,1]
	v_pk_fma_f32 v[104:105], v[106:107], v[100:101], v[104:105] op_sel:[0,0,1] op_sel_hi:[1,0,0]
	v_mov_b32_e32 v117, v105
	ds_load_2addr_b64 v[104:107], v196 offset0:55 offset1:56
	v_pk_add_f32 v[226:227], v[226:227], v[116:117] neg_lo:[0,1] neg_hi:[0,1]
	s_wait_dscnt 0x0
	v_pk_mul_f32 v[116:117], v[104:105], v[102:103] op_sel:[0,1]
	s_delay_alu instid0(VALU_DEP_1) | instskip(SKIP_1) | instid1(VALU_DEP_1)
	v_pk_fma_f32 v[118:119], v[104:105], v[100:101], v[116:117] op_sel:[0,0,1] op_sel_hi:[1,1,0] neg_lo:[0,0,1] neg_hi:[0,0,1]
	v_pk_fma_f32 v[104:105], v[104:105], v[100:101], v[116:117] op_sel:[0,0,1] op_sel_hi:[1,0,0]
	v_mov_b32_e32 v119, v105
	v_pk_mul_f32 v[104:105], v[106:107], v[102:103] op_sel:[0,1]
	s_delay_alu instid0(VALU_DEP_2) | instskip(NEXT) | instid1(VALU_DEP_2)
	v_pk_add_f32 v[222:223], v[222:223], v[118:119] neg_lo:[0,1] neg_hi:[0,1]
	v_pk_fma_f32 v[116:117], v[106:107], v[100:101], v[104:105] op_sel:[0,0,1] op_sel_hi:[1,1,0] neg_lo:[0,0,1] neg_hi:[0,0,1]
	v_pk_fma_f32 v[104:105], v[106:107], v[100:101], v[104:105] op_sel:[0,0,1] op_sel_hi:[1,0,0]
	s_delay_alu instid0(VALU_DEP_1) | instskip(SKIP_4) | instid1(VALU_DEP_1)
	v_mov_b32_e32 v117, v105
	ds_load_b64 v[104:105], v196 offset:456
	v_pk_add_f32 v[230:231], v[230:231], v[116:117] neg_lo:[0,1] neg_hi:[0,1]
	s_wait_dscnt 0x0
	v_pk_mul_f32 v[102:103], v[104:105], v[102:103] op_sel:[0,1]
	v_pk_fma_f32 v[106:107], v[104:105], v[100:101], v[102:103] op_sel:[0,0,1] op_sel_hi:[1,1,0] neg_lo:[0,0,1] neg_hi:[0,0,1]
	v_pk_fma_f32 v[100:101], v[104:105], v[100:101], v[102:103] op_sel:[0,0,1] op_sel_hi:[1,0,0]
	s_delay_alu instid0(VALU_DEP_1) | instskip(NEXT) | instid1(VALU_DEP_1)
	v_mov_b32_e32 v107, v101
	v_pk_add_f32 v[232:233], v[232:233], v[106:107] neg_lo:[0,1] neg_hi:[0,1]
.LBB115_316:
	s_or_b32 exec_lo, exec_lo, s1
	s_delay_alu instid0(SALU_CYCLE_1)
	s_mov_b32 s2, exec_lo
	s_wait_dscnt 0x0
	s_barrier_signal -1
	s_barrier_wait -1
	v_cmpx_eq_u32_e32 35, v186
	s_cbranch_execz .LBB115_323
; %bb.317:
	v_dual_mov_b32 v100, v162 :: v_dual_mov_b32 v101, v163
	v_dual_mov_b32 v102, v158 :: v_dual_mov_b32 v103, v159
	ds_store_b64 v187, v[140:141]
	ds_store_2addr_b64 v196, v[100:101], v[102:103] offset0:36 offset1:37
	v_dual_mov_b32 v100, v160 :: v_dual_mov_b32 v101, v161
	v_dual_mov_b32 v102, v156 :: v_dual_mov_b32 v103, v157
	ds_store_2addr_b64 v196, v[100:101], v[102:103] offset0:38 offset1:39
	v_dual_mov_b32 v100, v178 :: v_dual_mov_b32 v101, v179
	v_dual_mov_b32 v102, v174 :: v_dual_mov_b32 v103, v175
	;; [unrolled: 3-line block ×9, first 2 shown]
	ds_store_2addr_b64 v196, v[100:101], v[102:103] offset0:54 offset1:55
	v_dual_mov_b32 v100, v230 :: v_dual_mov_b32 v101, v231
	ds_store_2addr_b64 v196, v[100:101], v[232:233] offset0:56 offset1:57
	ds_load_b64 v[100:101], v187
	s_wait_dscnt 0x0
	v_cmp_neq_f32_e32 vcc_lo, 0, v100
	v_cmp_neq_f32_e64 s1, 0, v101
	s_or_b32 s1, vcc_lo, s1
	s_delay_alu instid0(SALU_CYCLE_1)
	s_and_b32 exec_lo, exec_lo, s1
	s_cbranch_execz .LBB115_323
; %bb.318:
	v_cmp_ngt_f32_e64 s1, |v100|, |v101|
                                        ; implicit-def: $vgpr102_vgpr103
	s_and_saveexec_b32 s4, s1
	s_delay_alu instid0(SALU_CYCLE_1)
	s_xor_b32 s1, exec_lo, s4
	s_cbranch_execz .LBB115_320
; %bb.319:
	v_div_scale_f32 v102, null, v101, v101, v100
	v_div_scale_f32 v105, vcc_lo, v100, v101, v100
	s_delay_alu instid0(VALU_DEP_2) | instskip(SKIP_1) | instid1(TRANS32_DEP_1)
	v_rcp_f32_e32 v103, v102
	v_nop
	v_fma_f32 v104, -v102, v103, 1.0
	s_delay_alu instid0(VALU_DEP_1) | instskip(NEXT) | instid1(VALU_DEP_1)
	v_fmac_f32_e32 v103, v104, v103
	v_mul_f32_e32 v104, v105, v103
	s_delay_alu instid0(VALU_DEP_1) | instskip(NEXT) | instid1(VALU_DEP_1)
	v_fma_f32 v106, -v102, v104, v105
	v_fmac_f32_e32 v104, v106, v103
	s_delay_alu instid0(VALU_DEP_1) | instskip(NEXT) | instid1(VALU_DEP_1)
	v_fma_f32 v102, -v102, v104, v105
	v_div_fmas_f32 v102, v102, v103, v104
	s_delay_alu instid0(VALU_DEP_1) | instskip(NEXT) | instid1(VALU_DEP_1)
	v_div_fixup_f32 v102, v102, v101, v100
	v_fmac_f32_e32 v101, v100, v102
	s_delay_alu instid0(VALU_DEP_1) | instskip(SKIP_1) | instid1(VALU_DEP_2)
	v_div_scale_f32 v100, null, v101, v101, 1.0
	v_div_scale_f32 v105, vcc_lo, 1.0, v101, 1.0
	v_rcp_f32_e32 v103, v100
	v_nop
	s_delay_alu instid0(TRANS32_DEP_1) | instskip(NEXT) | instid1(VALU_DEP_1)
	v_fma_f32 v104, -v100, v103, 1.0
	v_fmac_f32_e32 v103, v104, v103
	s_delay_alu instid0(VALU_DEP_1) | instskip(NEXT) | instid1(VALU_DEP_1)
	v_mul_f32_e32 v104, v105, v103
	v_fma_f32 v106, -v100, v104, v105
	s_delay_alu instid0(VALU_DEP_1) | instskip(NEXT) | instid1(VALU_DEP_1)
	v_fmac_f32_e32 v104, v106, v103
	v_fma_f32 v100, -v100, v104, v105
	s_delay_alu instid0(VALU_DEP_1) | instskip(NEXT) | instid1(VALU_DEP_1)
	v_div_fmas_f32 v100, v100, v103, v104
	v_div_fixup_f32 v100, v100, v101, 1.0
	s_delay_alu instid0(VALU_DEP_1)
	v_mul_f32_e32 v102, v102, v100
	v_xor_b32_e32 v103, 0x80000000, v100
                                        ; implicit-def: $vgpr100_vgpr101
.LBB115_320:
	s_and_not1_saveexec_b32 s1, s1
	s_cbranch_execz .LBB115_322
; %bb.321:
	v_div_scale_f32 v102, null, v100, v100, v101
	v_div_scale_f32 v105, vcc_lo, v101, v100, v101
	s_delay_alu instid0(VALU_DEP_2) | instskip(SKIP_1) | instid1(TRANS32_DEP_1)
	v_rcp_f32_e32 v103, v102
	v_nop
	v_fma_f32 v104, -v102, v103, 1.0
	s_delay_alu instid0(VALU_DEP_1) | instskip(NEXT) | instid1(VALU_DEP_1)
	v_fmac_f32_e32 v103, v104, v103
	v_mul_f32_e32 v104, v105, v103
	s_delay_alu instid0(VALU_DEP_1) | instskip(NEXT) | instid1(VALU_DEP_1)
	v_fma_f32 v106, -v102, v104, v105
	v_fmac_f32_e32 v104, v106, v103
	s_delay_alu instid0(VALU_DEP_1) | instskip(NEXT) | instid1(VALU_DEP_1)
	v_fma_f32 v102, -v102, v104, v105
	v_div_fmas_f32 v102, v102, v103, v104
	s_delay_alu instid0(VALU_DEP_1) | instskip(NEXT) | instid1(VALU_DEP_1)
	v_div_fixup_f32 v103, v102, v100, v101
	v_fmac_f32_e32 v100, v101, v103
	s_delay_alu instid0(VALU_DEP_1) | instskip(NEXT) | instid1(VALU_DEP_1)
	v_div_scale_f32 v101, null, v100, v100, 1.0
	v_rcp_f32_e32 v102, v101
	v_nop
	s_delay_alu instid0(TRANS32_DEP_1) | instskip(NEXT) | instid1(VALU_DEP_1)
	v_fma_f32 v104, -v101, v102, 1.0
	v_fmac_f32_e32 v102, v104, v102
	v_div_scale_f32 v104, vcc_lo, 1.0, v100, 1.0
	s_delay_alu instid0(VALU_DEP_1) | instskip(NEXT) | instid1(VALU_DEP_1)
	v_mul_f32_e32 v105, v104, v102
	v_fma_f32 v106, -v101, v105, v104
	s_delay_alu instid0(VALU_DEP_1) | instskip(NEXT) | instid1(VALU_DEP_1)
	v_fmac_f32_e32 v105, v106, v102
	v_fma_f32 v101, -v101, v105, v104
	s_delay_alu instid0(VALU_DEP_1) | instskip(NEXT) | instid1(VALU_DEP_1)
	v_div_fmas_f32 v101, v101, v102, v105
	v_div_fixup_f32 v102, v101, v100, 1.0
	s_delay_alu instid0(VALU_DEP_1)
	v_mul_f32_e64 v103, v103, -v102
.LBB115_322:
	s_or_b32 exec_lo, exec_lo, s1
	ds_store_b64 v187, v[102:103]
.LBB115_323:
	s_or_b32 exec_lo, exec_lo, s2
	s_wait_dscnt 0x0
	s_barrier_signal -1
	s_barrier_wait -1
	ds_load_b64 v[100:101], v187
	s_mov_b32 s1, exec_lo
	v_cmpx_lt_u32_e32 35, v186
	s_cbranch_execz .LBB115_325
; %bb.324:
	ds_load_2addr_b64 v[116:119], v196 offset0:36 offset1:37
	s_wait_dscnt 0x1
	v_pk_mul_f32 v[104:105], v[100:101], v[140:141] op_sel:[1,1] op_sel_hi:[0,1]
	s_delay_alu instid0(VALU_DEP_1) | instskip(SKIP_1) | instid1(VALU_DEP_1)
	v_pk_fma_f32 v[102:103], v[100:101], v[140:141], v[104:105] op_sel_hi:[1,0,1] neg_lo:[0,0,1] neg_hi:[0,0,1]
	v_pk_fma_f32 v[104:105], v[100:101], v[140:141], v[104:105] op_sel_hi:[1,0,1]
	v_dual_mov_b32 v140, v102 :: v_dual_mov_b32 v141, v105
	s_wait_dscnt 0x0
	s_delay_alu instid0(VALU_DEP_2) | instskip(NEXT) | instid1(VALU_DEP_1)
	v_pk_mul_f32 v[106:107], v[116:117], v[104:105] op_sel:[0,1]
	v_pk_fma_f32 v[120:121], v[116:117], v[102:103], v[106:107] op_sel:[0,0,1] op_sel_hi:[1,1,0] neg_lo:[0,0,1] neg_hi:[0,0,1]
	v_pk_fma_f32 v[106:107], v[116:117], v[102:103], v[106:107] op_sel:[0,0,1] op_sel_hi:[1,0,0]
	s_delay_alu instid0(VALU_DEP_1) | instskip(SKIP_1) | instid1(VALU_DEP_1)
	v_mov_b32_e32 v121, v107
	v_pk_mul_f32 v[106:107], v[118:119], v[104:105] op_sel:[0,1]
	v_pk_fma_f32 v[116:117], v[118:119], v[102:103], v[106:107] op_sel:[0,0,1] op_sel_hi:[1,1,0] neg_lo:[0,0,1] neg_hi:[0,0,1]
	v_pk_fma_f32 v[106:107], v[118:119], v[102:103], v[106:107] op_sel:[0,0,1] op_sel_hi:[1,0,0]
	s_delay_alu instid0(VALU_DEP_1) | instskip(SKIP_1) | instid1(VALU_DEP_2)
	v_mov_b32_e32 v117, v107
	v_pk_add_f32 v[162:163], v[162:163], v[120:121] neg_lo:[0,1] neg_hi:[0,1]
	v_pk_add_f32 v[158:159], v[158:159], v[116:117] neg_lo:[0,1] neg_hi:[0,1]
	ds_load_2addr_b64 v[116:119], v196 offset0:38 offset1:39
	s_wait_dscnt 0x0
	v_pk_mul_f32 v[106:107], v[116:117], v[104:105] op_sel:[0,1]
	s_delay_alu instid0(VALU_DEP_1) | instskip(SKIP_2) | instid1(VALU_DEP_2)
	v_pk_fma_f32 v[120:121], v[116:117], v[102:103], v[106:107] op_sel:[0,0,1] op_sel_hi:[1,1,0] neg_lo:[0,0,1] neg_hi:[0,0,1]
	v_pk_fma_f32 v[106:107], v[116:117], v[102:103], v[106:107] op_sel:[0,0,1] op_sel_hi:[1,0,0]
	v_dual_mul_f32 v116, v119, v105 :: v_dual_mov_b32 v106, v119
	v_dual_mov_b32 v121, v107 :: v_dual_mov_b32 v107, v118
	s_delay_alu instid0(VALU_DEP_2) | instskip(SKIP_1) | instid1(VALU_DEP_3)
	v_pk_fma_f32 v[116:117], v[118:119], v[140:141], v[116:117] op_sel_hi:[1,1,0] neg_lo:[0,0,1] neg_hi:[0,0,1]
	v_mul_f32_e32 v118, v119, v102
	v_pk_add_f32 v[160:161], v[160:161], v[120:121] neg_lo:[0,1] neg_hi:[0,1]
	s_delay_alu instid0(VALU_DEP_2) | instskip(NEXT) | instid1(VALU_DEP_1)
	v_pk_fma_f32 v[106:107], v[106:107], v[140:141], v[118:119] op_sel_hi:[1,1,0]
	v_mov_b32_e32 v117, v107
	s_delay_alu instid0(VALU_DEP_1) | instskip(SKIP_3) | instid1(VALU_DEP_1)
	v_pk_add_f32 v[156:157], v[156:157], v[116:117] neg_lo:[0,1] neg_hi:[0,1]
	ds_load_2addr_b64 v[116:119], v196 offset0:40 offset1:41
	s_wait_dscnt 0x0
	v_pk_mul_f32 v[106:107], v[116:117], v[104:105] op_sel:[0,1]
	v_pk_fma_f32 v[120:121], v[116:117], v[102:103], v[106:107] op_sel:[0,0,1] op_sel_hi:[1,1,0] neg_lo:[0,0,1] neg_hi:[0,0,1]
	v_pk_fma_f32 v[106:107], v[116:117], v[102:103], v[106:107] op_sel:[0,0,1] op_sel_hi:[1,0,0]
	s_delay_alu instid0(VALU_DEP_1) | instskip(SKIP_1) | instid1(VALU_DEP_2)
	v_mov_b32_e32 v121, v107
	v_pk_mul_f32 v[106:107], v[118:119], v[104:105] op_sel:[0,1]
	v_pk_add_f32 v[178:179], v[178:179], v[120:121] neg_lo:[0,1] neg_hi:[0,1]
	s_delay_alu instid0(VALU_DEP_2) | instskip(SKIP_1) | instid1(VALU_DEP_1)
	v_pk_fma_f32 v[116:117], v[118:119], v[102:103], v[106:107] op_sel:[0,0,1] op_sel_hi:[1,1,0] neg_lo:[0,0,1] neg_hi:[0,0,1]
	v_pk_fma_f32 v[106:107], v[118:119], v[102:103], v[106:107] op_sel:[0,0,1] op_sel_hi:[1,0,0]
	v_mov_b32_e32 v117, v107
	s_delay_alu instid0(VALU_DEP_1) | instskip(SKIP_3) | instid1(VALU_DEP_1)
	v_pk_add_f32 v[174:175], v[174:175], v[116:117] neg_lo:[0,1] neg_hi:[0,1]
	ds_load_2addr_b64 v[116:119], v196 offset0:42 offset1:43
	s_wait_dscnt 0x0
	v_pk_mul_f32 v[106:107], v[116:117], v[104:105] op_sel:[0,1]
	v_pk_fma_f32 v[120:121], v[116:117], v[102:103], v[106:107] op_sel:[0,0,1] op_sel_hi:[1,1,0] neg_lo:[0,0,1] neg_hi:[0,0,1]
	v_pk_fma_f32 v[106:107], v[116:117], v[102:103], v[106:107] op_sel:[0,0,1] op_sel_hi:[1,0,0]
	s_delay_alu instid0(VALU_DEP_1) | instskip(SKIP_1) | instid1(VALU_DEP_2)
	v_mov_b32_e32 v121, v107
	v_pk_mul_f32 v[106:107], v[118:119], v[104:105] op_sel:[0,1]
	v_pk_add_f32 v[176:177], v[176:177], v[120:121] neg_lo:[0,1] neg_hi:[0,1]
	s_delay_alu instid0(VALU_DEP_2) | instskip(SKIP_1) | instid1(VALU_DEP_1)
	v_pk_fma_f32 v[116:117], v[118:119], v[102:103], v[106:107] op_sel:[0,0,1] op_sel_hi:[1,1,0] neg_lo:[0,0,1] neg_hi:[0,0,1]
	v_pk_fma_f32 v[106:107], v[118:119], v[102:103], v[106:107] op_sel:[0,0,1] op_sel_hi:[1,0,0]
	v_mov_b32_e32 v117, v107
	s_delay_alu instid0(VALU_DEP_1) | instskip(SKIP_3) | instid1(VALU_DEP_1)
	v_pk_add_f32 v[172:173], v[172:173], v[116:117] neg_lo:[0,1] neg_hi:[0,1]
	ds_load_2addr_b64 v[116:119], v196 offset0:44 offset1:45
	s_wait_dscnt 0x0
	v_dual_mul_f32 v106, v117, v105 :: v_dual_mul_f32 v120, v117, v102
	v_pk_fma_f32 v[106:107], v[116:117], v[140:141], v[106:107] op_sel_hi:[1,1,0] neg_lo:[0,0,1] neg_hi:[0,0,1]
	s_delay_alu instid0(VALU_DEP_2) | instskip(NEXT) | instid1(VALU_DEP_1)
	v_pk_fma_f32 v[116:117], v[116:117], v[140:141], v[120:121] op_sel:[1,0,0] op_sel_hi:[0,1,0]
	v_mov_b32_e32 v107, v117
	s_delay_alu instid0(VALU_DEP_1) | instskip(SKIP_1) | instid1(VALU_DEP_1)
	v_pk_add_f32 v[194:195], v[194:195], v[106:107] neg_lo:[0,1] neg_hi:[0,1]
	v_pk_mul_f32 v[106:107], v[118:119], v[104:105] op_sel:[0,1]
	v_pk_fma_f32 v[116:117], v[118:119], v[102:103], v[106:107] op_sel:[0,0,1] op_sel_hi:[1,1,0] neg_lo:[0,0,1] neg_hi:[0,0,1]
	v_pk_fma_f32 v[106:107], v[118:119], v[102:103], v[106:107] op_sel:[0,0,1] op_sel_hi:[1,0,0]
	s_delay_alu instid0(VALU_DEP_1) | instskip(NEXT) | instid1(VALU_DEP_1)
	v_mov_b32_e32 v117, v107
	v_pk_add_f32 v[190:191], v[190:191], v[116:117] neg_lo:[0,1] neg_hi:[0,1]
	ds_load_2addr_b64 v[116:119], v196 offset0:46 offset1:47
	s_wait_dscnt 0x0
	v_pk_mul_f32 v[106:107], v[116:117], v[104:105] op_sel:[0,1]
	s_delay_alu instid0(VALU_DEP_1) | instskip(SKIP_1) | instid1(VALU_DEP_1)
	v_pk_fma_f32 v[120:121], v[116:117], v[102:103], v[106:107] op_sel:[0,0,1] op_sel_hi:[1,1,0] neg_lo:[0,0,1] neg_hi:[0,0,1]
	v_pk_fma_f32 v[106:107], v[116:117], v[102:103], v[106:107] op_sel:[0,0,1] op_sel_hi:[1,0,0]
	v_mov_b32_e32 v121, v107
	v_pk_mul_f32 v[106:107], v[118:119], v[104:105] op_sel:[0,1]
	s_delay_alu instid0(VALU_DEP_2) | instskip(NEXT) | instid1(VALU_DEP_2)
	v_pk_add_f32 v[192:193], v[192:193], v[120:121] neg_lo:[0,1] neg_hi:[0,1]
	v_pk_fma_f32 v[116:117], v[118:119], v[102:103], v[106:107] op_sel:[0,0,1] op_sel_hi:[1,1,0] neg_lo:[0,0,1] neg_hi:[0,0,1]
	v_pk_fma_f32 v[106:107], v[118:119], v[102:103], v[106:107] op_sel:[0,0,1] op_sel_hi:[1,0,0]
	s_delay_alu instid0(VALU_DEP_1) | instskip(NEXT) | instid1(VALU_DEP_1)
	v_mov_b32_e32 v117, v107
	v_pk_add_f32 v[188:189], v[188:189], v[116:117] neg_lo:[0,1] neg_hi:[0,1]
	ds_load_2addr_b64 v[116:119], v196 offset0:48 offset1:49
	s_wait_dscnt 0x0
	v_pk_mul_f32 v[106:107], v[116:117], v[104:105] op_sel:[0,1]
	s_delay_alu instid0(VALU_DEP_1) | instskip(SKIP_2) | instid1(VALU_DEP_2)
	v_pk_fma_f32 v[120:121], v[116:117], v[102:103], v[106:107] op_sel:[0,0,1] op_sel_hi:[1,1,0] neg_lo:[0,0,1] neg_hi:[0,0,1]
	v_pk_fma_f32 v[106:107], v[116:117], v[102:103], v[106:107] op_sel:[0,0,1] op_sel_hi:[1,0,0]
	v_dual_mul_f32 v116, v119, v105 :: v_dual_mov_b32 v106, v119
	v_dual_mov_b32 v121, v107 :: v_dual_mov_b32 v107, v118
	s_delay_alu instid0(VALU_DEP_2) | instskip(SKIP_1) | instid1(VALU_DEP_3)
	v_pk_fma_f32 v[116:117], v[118:119], v[140:141], v[116:117] op_sel_hi:[1,1,0] neg_lo:[0,0,1] neg_hi:[0,0,1]
	v_mul_f32_e32 v118, v119, v102
	v_pk_add_f32 v[212:213], v[212:213], v[120:121] neg_lo:[0,1] neg_hi:[0,1]
	s_delay_alu instid0(VALU_DEP_2) | instskip(NEXT) | instid1(VALU_DEP_1)
	v_pk_fma_f32 v[106:107], v[106:107], v[140:141], v[118:119] op_sel_hi:[1,1,0]
	v_mov_b32_e32 v117, v107
	s_delay_alu instid0(VALU_DEP_1) | instskip(SKIP_3) | instid1(VALU_DEP_1)
	v_pk_add_f32 v[208:209], v[208:209], v[116:117] neg_lo:[0,1] neg_hi:[0,1]
	ds_load_2addr_b64 v[116:119], v196 offset0:50 offset1:51
	s_wait_dscnt 0x0
	v_pk_mul_f32 v[106:107], v[116:117], v[104:105] op_sel:[0,1]
	v_pk_fma_f32 v[120:121], v[116:117], v[102:103], v[106:107] op_sel:[0,0,1] op_sel_hi:[1,1,0] neg_lo:[0,0,1] neg_hi:[0,0,1]
	v_pk_fma_f32 v[106:107], v[116:117], v[102:103], v[106:107] op_sel:[0,0,1] op_sel_hi:[1,0,0]
	s_delay_alu instid0(VALU_DEP_1) | instskip(SKIP_1) | instid1(VALU_DEP_2)
	v_mov_b32_e32 v121, v107
	v_pk_mul_f32 v[106:107], v[118:119], v[104:105] op_sel:[0,1]
	v_pk_add_f32 v[210:211], v[210:211], v[120:121] neg_lo:[0,1] neg_hi:[0,1]
	s_delay_alu instid0(VALU_DEP_2) | instskip(SKIP_1) | instid1(VALU_DEP_1)
	v_pk_fma_f32 v[116:117], v[118:119], v[102:103], v[106:107] op_sel:[0,0,1] op_sel_hi:[1,1,0] neg_lo:[0,0,1] neg_hi:[0,0,1]
	v_pk_fma_f32 v[106:107], v[118:119], v[102:103], v[106:107] op_sel:[0,0,1] op_sel_hi:[1,0,0]
	v_mov_b32_e32 v117, v107
	s_delay_alu instid0(VALU_DEP_1) | instskip(SKIP_3) | instid1(VALU_DEP_1)
	v_pk_add_f32 v[206:207], v[206:207], v[116:117] neg_lo:[0,1] neg_hi:[0,1]
	ds_load_2addr_b64 v[116:119], v196 offset0:52 offset1:53
	s_wait_dscnt 0x0
	v_pk_mul_f32 v[106:107], v[116:117], v[104:105] op_sel:[0,1]
	v_pk_fma_f32 v[120:121], v[116:117], v[102:103], v[106:107] op_sel:[0,0,1] op_sel_hi:[1,1,0] neg_lo:[0,0,1] neg_hi:[0,0,1]
	v_pk_fma_f32 v[106:107], v[116:117], v[102:103], v[106:107] op_sel:[0,0,1] op_sel_hi:[1,0,0]
	s_delay_alu instid0(VALU_DEP_1) | instskip(SKIP_1) | instid1(VALU_DEP_2)
	v_mov_b32_e32 v121, v107
	v_pk_mul_f32 v[106:107], v[118:119], v[104:105] op_sel:[0,1]
	v_pk_add_f32 v[228:229], v[228:229], v[120:121] neg_lo:[0,1] neg_hi:[0,1]
	s_delay_alu instid0(VALU_DEP_2) | instskip(SKIP_1) | instid1(VALU_DEP_1)
	v_pk_fma_f32 v[116:117], v[118:119], v[102:103], v[106:107] op_sel:[0,0,1] op_sel_hi:[1,1,0] neg_lo:[0,0,1] neg_hi:[0,0,1]
	v_pk_fma_f32 v[106:107], v[118:119], v[102:103], v[106:107] op_sel:[0,0,1] op_sel_hi:[1,0,0]
	v_mov_b32_e32 v117, v107
	s_delay_alu instid0(VALU_DEP_1) | instskip(SKIP_3) | instid1(VALU_DEP_1)
	v_pk_add_f32 v[224:225], v[224:225], v[116:117] neg_lo:[0,1] neg_hi:[0,1]
	ds_load_2addr_b64 v[116:119], v196 offset0:54 offset1:55
	s_wait_dscnt 0x0
	v_dual_mul_f32 v106, v117, v105 :: v_dual_mul_f32 v120, v117, v102
	v_pk_fma_f32 v[106:107], v[116:117], v[140:141], v[106:107] op_sel_hi:[1,1,0] neg_lo:[0,0,1] neg_hi:[0,0,1]
	s_delay_alu instid0(VALU_DEP_2) | instskip(NEXT) | instid1(VALU_DEP_1)
	v_pk_fma_f32 v[116:117], v[116:117], v[140:141], v[120:121] op_sel:[1,0,0] op_sel_hi:[0,1,0]
	v_mov_b32_e32 v107, v117
	s_delay_alu instid0(VALU_DEP_1) | instskip(SKIP_1) | instid1(VALU_DEP_1)
	v_pk_add_f32 v[226:227], v[226:227], v[106:107] neg_lo:[0,1] neg_hi:[0,1]
	v_pk_mul_f32 v[106:107], v[118:119], v[104:105] op_sel:[0,1]
	v_pk_fma_f32 v[116:117], v[118:119], v[102:103], v[106:107] op_sel:[0,0,1] op_sel_hi:[1,1,0] neg_lo:[0,0,1] neg_hi:[0,0,1]
	v_pk_fma_f32 v[106:107], v[118:119], v[102:103], v[106:107] op_sel:[0,0,1] op_sel_hi:[1,0,0]
	s_delay_alu instid0(VALU_DEP_1) | instskip(NEXT) | instid1(VALU_DEP_1)
	v_mov_b32_e32 v117, v107
	v_pk_add_f32 v[222:223], v[222:223], v[116:117] neg_lo:[0,1] neg_hi:[0,1]
	ds_load_2addr_b64 v[116:119], v196 offset0:56 offset1:57
	s_wait_dscnt 0x0
	v_pk_mul_f32 v[106:107], v[116:117], v[104:105] op_sel:[0,1]
	v_pk_mul_f32 v[104:105], v[118:119], v[104:105] op_sel:[0,1]
	s_delay_alu instid0(VALU_DEP_2) | instskip(SKIP_1) | instid1(VALU_DEP_1)
	v_pk_fma_f32 v[120:121], v[116:117], v[102:103], v[106:107] op_sel:[0,0,1] op_sel_hi:[1,1,0] neg_lo:[0,0,1] neg_hi:[0,0,1]
	v_pk_fma_f32 v[106:107], v[116:117], v[102:103], v[106:107] op_sel:[0,0,1] op_sel_hi:[1,0,0]
	v_mov_b32_e32 v121, v107
	s_delay_alu instid0(VALU_DEP_4) | instskip(SKIP_1) | instid1(VALU_DEP_3)
	v_pk_fma_f32 v[106:107], v[118:119], v[102:103], v[104:105] op_sel:[0,0,1] op_sel_hi:[1,1,0] neg_lo:[0,0,1] neg_hi:[0,0,1]
	v_pk_fma_f32 v[102:103], v[118:119], v[102:103], v[104:105] op_sel:[0,0,1] op_sel_hi:[1,0,0]
	v_pk_add_f32 v[230:231], v[230:231], v[120:121] neg_lo:[0,1] neg_hi:[0,1]
	s_delay_alu instid0(VALU_DEP_2) | instskip(NEXT) | instid1(VALU_DEP_1)
	v_mov_b32_e32 v107, v103
	v_pk_add_f32 v[232:233], v[232:233], v[106:107] neg_lo:[0,1] neg_hi:[0,1]
.LBB115_325:
	s_or_b32 exec_lo, exec_lo, s1
	s_delay_alu instid0(SALU_CYCLE_1)
	s_mov_b32 s2, exec_lo
	s_wait_dscnt 0x0
	s_barrier_signal -1
	s_barrier_wait -1
	v_cmpx_eq_u32_e32 36, v186
	s_cbranch_execz .LBB115_332
; %bb.326:
	ds_store_b64 v187, v[162:163]
	ds_store_2addr_b64 v196, v[158:159], v[160:161] offset0:37 offset1:38
	ds_store_2addr_b64 v196, v[156:157], v[178:179] offset0:39 offset1:40
	;; [unrolled: 1-line block ×10, first 2 shown]
	ds_store_b64 v196, v[232:233] offset:456
	ds_load_b64 v[102:103], v187
	s_wait_dscnt 0x0
	v_cmp_neq_f32_e32 vcc_lo, 0, v102
	v_cmp_neq_f32_e64 s1, 0, v103
	s_or_b32 s1, vcc_lo, s1
	s_delay_alu instid0(SALU_CYCLE_1)
	s_and_b32 exec_lo, exec_lo, s1
	s_cbranch_execz .LBB115_332
; %bb.327:
	v_cmp_ngt_f32_e64 s1, |v102|, |v103|
                                        ; implicit-def: $vgpr104_vgpr105
	s_and_saveexec_b32 s4, s1
	s_delay_alu instid0(SALU_CYCLE_1)
	s_xor_b32 s1, exec_lo, s4
	s_cbranch_execz .LBB115_329
; %bb.328:
	v_div_scale_f32 v104, null, v103, v103, v102
	v_div_scale_f32 v107, vcc_lo, v102, v103, v102
	s_delay_alu instid0(VALU_DEP_2) | instskip(SKIP_1) | instid1(TRANS32_DEP_1)
	v_rcp_f32_e32 v105, v104
	v_nop
	v_fma_f32 v106, -v104, v105, 1.0
	s_delay_alu instid0(VALU_DEP_1) | instskip(NEXT) | instid1(VALU_DEP_1)
	v_fmac_f32_e32 v105, v106, v105
	v_mul_f32_e32 v106, v107, v105
	s_delay_alu instid0(VALU_DEP_1) | instskip(NEXT) | instid1(VALU_DEP_1)
	v_fma_f32 v116, -v104, v106, v107
	v_fmac_f32_e32 v106, v116, v105
	s_delay_alu instid0(VALU_DEP_1) | instskip(NEXT) | instid1(VALU_DEP_1)
	v_fma_f32 v104, -v104, v106, v107
	v_div_fmas_f32 v104, v104, v105, v106
	s_delay_alu instid0(VALU_DEP_1) | instskip(NEXT) | instid1(VALU_DEP_1)
	v_div_fixup_f32 v104, v104, v103, v102
	v_fmac_f32_e32 v103, v102, v104
	s_delay_alu instid0(VALU_DEP_1) | instskip(SKIP_1) | instid1(VALU_DEP_2)
	v_div_scale_f32 v102, null, v103, v103, 1.0
	v_div_scale_f32 v107, vcc_lo, 1.0, v103, 1.0
	v_rcp_f32_e32 v105, v102
	v_nop
	s_delay_alu instid0(TRANS32_DEP_1) | instskip(NEXT) | instid1(VALU_DEP_1)
	v_fma_f32 v106, -v102, v105, 1.0
	v_fmac_f32_e32 v105, v106, v105
	s_delay_alu instid0(VALU_DEP_1) | instskip(NEXT) | instid1(VALU_DEP_1)
	v_mul_f32_e32 v106, v107, v105
	v_fma_f32 v116, -v102, v106, v107
	s_delay_alu instid0(VALU_DEP_1) | instskip(NEXT) | instid1(VALU_DEP_1)
	v_fmac_f32_e32 v106, v116, v105
	v_fma_f32 v102, -v102, v106, v107
	s_delay_alu instid0(VALU_DEP_1) | instskip(NEXT) | instid1(VALU_DEP_1)
	v_div_fmas_f32 v102, v102, v105, v106
	v_div_fixup_f32 v102, v102, v103, 1.0
	s_delay_alu instid0(VALU_DEP_1)
	v_mul_f32_e32 v104, v104, v102
	v_xor_b32_e32 v105, 0x80000000, v102
                                        ; implicit-def: $vgpr102_vgpr103
.LBB115_329:
	s_and_not1_saveexec_b32 s1, s1
	s_cbranch_execz .LBB115_331
; %bb.330:
	v_div_scale_f32 v104, null, v102, v102, v103
	v_div_scale_f32 v107, vcc_lo, v103, v102, v103
	s_delay_alu instid0(VALU_DEP_2) | instskip(SKIP_1) | instid1(TRANS32_DEP_1)
	v_rcp_f32_e32 v105, v104
	v_nop
	v_fma_f32 v106, -v104, v105, 1.0
	s_delay_alu instid0(VALU_DEP_1) | instskip(NEXT) | instid1(VALU_DEP_1)
	v_fmac_f32_e32 v105, v106, v105
	v_mul_f32_e32 v106, v107, v105
	s_delay_alu instid0(VALU_DEP_1) | instskip(NEXT) | instid1(VALU_DEP_1)
	v_fma_f32 v116, -v104, v106, v107
	v_fmac_f32_e32 v106, v116, v105
	s_delay_alu instid0(VALU_DEP_1) | instskip(NEXT) | instid1(VALU_DEP_1)
	v_fma_f32 v104, -v104, v106, v107
	v_div_fmas_f32 v104, v104, v105, v106
	s_delay_alu instid0(VALU_DEP_1) | instskip(NEXT) | instid1(VALU_DEP_1)
	v_div_fixup_f32 v105, v104, v102, v103
	v_fmac_f32_e32 v102, v103, v105
	s_delay_alu instid0(VALU_DEP_1) | instskip(NEXT) | instid1(VALU_DEP_1)
	v_div_scale_f32 v103, null, v102, v102, 1.0
	v_rcp_f32_e32 v104, v103
	v_nop
	s_delay_alu instid0(TRANS32_DEP_1) | instskip(NEXT) | instid1(VALU_DEP_1)
	v_fma_f32 v106, -v103, v104, 1.0
	v_fmac_f32_e32 v104, v106, v104
	v_div_scale_f32 v106, vcc_lo, 1.0, v102, 1.0
	s_delay_alu instid0(VALU_DEP_1) | instskip(NEXT) | instid1(VALU_DEP_1)
	v_mul_f32_e32 v107, v106, v104
	v_fma_f32 v116, -v103, v107, v106
	s_delay_alu instid0(VALU_DEP_1) | instskip(NEXT) | instid1(VALU_DEP_1)
	v_fmac_f32_e32 v107, v116, v104
	v_fma_f32 v103, -v103, v107, v106
	s_delay_alu instid0(VALU_DEP_1) | instskip(NEXT) | instid1(VALU_DEP_1)
	v_div_fmas_f32 v103, v103, v104, v107
	v_div_fixup_f32 v104, v103, v102, 1.0
	s_delay_alu instid0(VALU_DEP_1)
	v_mul_f32_e64 v105, v105, -v104
.LBB115_331:
	s_or_b32 exec_lo, exec_lo, s1
	ds_store_b64 v187, v[104:105]
.LBB115_332:
	s_or_b32 exec_lo, exec_lo, s2
	s_wait_dscnt 0x0
	s_barrier_signal -1
	s_barrier_wait -1
	ds_load_b64 v[102:103], v187
	s_mov_b32 s1, exec_lo
	v_cmpx_lt_u32_e32 36, v186
	s_cbranch_execz .LBB115_334
; %bb.333:
	ds_load_2addr_b64 v[116:119], v196 offset0:37 offset1:38
	s_wait_dscnt 0x1
	v_pk_mul_f32 v[106:107], v[102:103], v[162:163] op_sel:[1,1] op_sel_hi:[0,1]
	s_delay_alu instid0(VALU_DEP_1) | instskip(SKIP_1) | instid1(VALU_DEP_1)
	v_pk_fma_f32 v[104:105], v[102:103], v[162:163], v[106:107] op_sel_hi:[1,0,1] neg_lo:[0,0,1] neg_hi:[0,0,1]
	v_pk_fma_f32 v[106:107], v[102:103], v[162:163], v[106:107] op_sel_hi:[1,0,1]
	v_dual_mov_b32 v162, v104 :: v_dual_mov_b32 v163, v107
	s_wait_dscnt 0x0
	s_delay_alu instid0(VALU_DEP_2) | instskip(NEXT) | instid1(VALU_DEP_1)
	v_pk_mul_f32 v[120:121], v[116:117], v[106:107] op_sel:[0,1]
	v_pk_fma_f32 v[122:123], v[116:117], v[104:105], v[120:121] op_sel:[0,0,1] op_sel_hi:[1,1,0] neg_lo:[0,0,1] neg_hi:[0,0,1]
	v_pk_fma_f32 v[116:117], v[116:117], v[104:105], v[120:121] op_sel:[0,0,1] op_sel_hi:[1,0,0]
	s_delay_alu instid0(VALU_DEP_1) | instskip(SKIP_1) | instid1(VALU_DEP_1)
	v_mov_b32_e32 v123, v117
	v_pk_mul_f32 v[116:117], v[118:119], v[106:107] op_sel:[0,1]
	v_pk_fma_f32 v[120:121], v[118:119], v[104:105], v[116:117] op_sel:[0,0,1] op_sel_hi:[1,1,0] neg_lo:[0,0,1] neg_hi:[0,0,1]
	v_pk_fma_f32 v[116:117], v[118:119], v[104:105], v[116:117] op_sel:[0,0,1] op_sel_hi:[1,0,0]
	s_delay_alu instid0(VALU_DEP_1)
	v_mov_b32_e32 v121, v117
	ds_load_2addr_b64 v[116:119], v196 offset0:39 offset1:40
	v_pk_add_f32 v[158:159], v[158:159], v[122:123] neg_lo:[0,1] neg_hi:[0,1]
	v_pk_add_f32 v[160:161], v[160:161], v[120:121] neg_lo:[0,1] neg_hi:[0,1]
	s_wait_dscnt 0x0
	v_pk_mul_f32 v[120:121], v[116:117], v[106:107] op_sel:[0,1]
	s_delay_alu instid0(VALU_DEP_1) | instskip(SKIP_2) | instid1(VALU_DEP_2)
	v_pk_fma_f32 v[122:123], v[116:117], v[104:105], v[120:121] op_sel:[0,0,1] op_sel_hi:[1,1,0] neg_lo:[0,0,1] neg_hi:[0,0,1]
	v_pk_fma_f32 v[116:117], v[116:117], v[104:105], v[120:121] op_sel:[0,0,1] op_sel_hi:[1,0,0]
	v_dual_mul_f32 v120, v119, v107 :: v_dual_mov_b32 v116, v119
	v_dual_mov_b32 v123, v117 :: v_dual_mov_b32 v117, v118
	s_delay_alu instid0(VALU_DEP_2) | instskip(SKIP_1) | instid1(VALU_DEP_3)
	v_pk_fma_f32 v[120:121], v[118:119], v[162:163], v[120:121] op_sel_hi:[1,1,0] neg_lo:[0,0,1] neg_hi:[0,0,1]
	v_mul_f32_e32 v118, v119, v104
	v_pk_add_f32 v[156:157], v[156:157], v[122:123] neg_lo:[0,1] neg_hi:[0,1]
	s_delay_alu instid0(VALU_DEP_2) | instskip(NEXT) | instid1(VALU_DEP_1)
	v_pk_fma_f32 v[116:117], v[116:117], v[162:163], v[118:119] op_sel_hi:[1,1,0]
	v_mov_b32_e32 v121, v117
	ds_load_2addr_b64 v[116:119], v196 offset0:41 offset1:42
	v_pk_add_f32 v[178:179], v[178:179], v[120:121] neg_lo:[0,1] neg_hi:[0,1]
	s_wait_dscnt 0x0
	v_pk_mul_f32 v[120:121], v[116:117], v[106:107] op_sel:[0,1]
	s_delay_alu instid0(VALU_DEP_1) | instskip(SKIP_1) | instid1(VALU_DEP_1)
	v_pk_fma_f32 v[122:123], v[116:117], v[104:105], v[120:121] op_sel:[0,0,1] op_sel_hi:[1,1,0] neg_lo:[0,0,1] neg_hi:[0,0,1]
	v_pk_fma_f32 v[116:117], v[116:117], v[104:105], v[120:121] op_sel:[0,0,1] op_sel_hi:[1,0,0]
	v_mov_b32_e32 v123, v117
	v_pk_mul_f32 v[116:117], v[118:119], v[106:107] op_sel:[0,1]
	s_delay_alu instid0(VALU_DEP_1) | instskip(SKIP_1) | instid1(VALU_DEP_1)
	v_pk_fma_f32 v[120:121], v[118:119], v[104:105], v[116:117] op_sel:[0,0,1] op_sel_hi:[1,1,0] neg_lo:[0,0,1] neg_hi:[0,0,1]
	v_pk_fma_f32 v[116:117], v[118:119], v[104:105], v[116:117] op_sel:[0,0,1] op_sel_hi:[1,0,0]
	v_mov_b32_e32 v121, v117
	ds_load_2addr_b64 v[116:119], v196 offset0:43 offset1:44
	v_pk_add_f32 v[174:175], v[174:175], v[122:123] neg_lo:[0,1] neg_hi:[0,1]
	v_pk_add_f32 v[176:177], v[176:177], v[120:121] neg_lo:[0,1] neg_hi:[0,1]
	s_wait_dscnt 0x0
	v_pk_mul_f32 v[120:121], v[116:117], v[106:107] op_sel:[0,1]
	s_delay_alu instid0(VALU_DEP_1) | instskip(SKIP_1) | instid1(VALU_DEP_1)
	v_pk_fma_f32 v[122:123], v[116:117], v[104:105], v[120:121] op_sel:[0,0,1] op_sel_hi:[1,1,0] neg_lo:[0,0,1] neg_hi:[0,0,1]
	v_pk_fma_f32 v[116:117], v[116:117], v[104:105], v[120:121] op_sel:[0,0,1] op_sel_hi:[1,0,0]
	v_mov_b32_e32 v123, v117
	v_pk_mul_f32 v[116:117], v[118:119], v[106:107] op_sel:[0,1]
	s_delay_alu instid0(VALU_DEP_1) | instskip(SKIP_1) | instid1(VALU_DEP_1)
	v_pk_fma_f32 v[120:121], v[118:119], v[104:105], v[116:117] op_sel:[0,0,1] op_sel_hi:[1,1,0] neg_lo:[0,0,1] neg_hi:[0,0,1]
	v_pk_fma_f32 v[116:117], v[118:119], v[104:105], v[116:117] op_sel:[0,0,1] op_sel_hi:[1,0,0]
	v_mov_b32_e32 v121, v117
	ds_load_2addr_b64 v[116:119], v196 offset0:45 offset1:46
	v_pk_add_f32 v[172:173], v[172:173], v[122:123] neg_lo:[0,1] neg_hi:[0,1]
	v_pk_add_f32 v[194:195], v[194:195], v[120:121] neg_lo:[0,1] neg_hi:[0,1]
	s_wait_dscnt 0x0
	v_dual_mul_f32 v120, v117, v107 :: v_dual_mul_f32 v122, v117, v104
	s_delay_alu instid0(VALU_DEP_1) | instskip(NEXT) | instid1(VALU_DEP_2)
	v_pk_fma_f32 v[120:121], v[116:117], v[162:163], v[120:121] op_sel_hi:[1,1,0] neg_lo:[0,0,1] neg_hi:[0,0,1]
	v_pk_fma_f32 v[116:117], v[116:117], v[162:163], v[122:123] op_sel:[1,0,0] op_sel_hi:[0,1,0]
	s_delay_alu instid0(VALU_DEP_1) | instskip(SKIP_1) | instid1(VALU_DEP_2)
	v_mov_b32_e32 v121, v117
	v_pk_mul_f32 v[116:117], v[118:119], v[106:107] op_sel:[0,1]
	v_pk_add_f32 v[190:191], v[190:191], v[120:121] neg_lo:[0,1] neg_hi:[0,1]
	s_delay_alu instid0(VALU_DEP_2) | instskip(SKIP_1) | instid1(VALU_DEP_1)
	v_pk_fma_f32 v[120:121], v[118:119], v[104:105], v[116:117] op_sel:[0,0,1] op_sel_hi:[1,1,0] neg_lo:[0,0,1] neg_hi:[0,0,1]
	v_pk_fma_f32 v[116:117], v[118:119], v[104:105], v[116:117] op_sel:[0,0,1] op_sel_hi:[1,0,0]
	v_mov_b32_e32 v121, v117
	ds_load_2addr_b64 v[116:119], v196 offset0:47 offset1:48
	v_pk_add_f32 v[192:193], v[192:193], v[120:121] neg_lo:[0,1] neg_hi:[0,1]
	s_wait_dscnt 0x0
	v_pk_mul_f32 v[120:121], v[116:117], v[106:107] op_sel:[0,1]
	s_delay_alu instid0(VALU_DEP_1) | instskip(SKIP_1) | instid1(VALU_DEP_1)
	v_pk_fma_f32 v[122:123], v[116:117], v[104:105], v[120:121] op_sel:[0,0,1] op_sel_hi:[1,1,0] neg_lo:[0,0,1] neg_hi:[0,0,1]
	v_pk_fma_f32 v[116:117], v[116:117], v[104:105], v[120:121] op_sel:[0,0,1] op_sel_hi:[1,0,0]
	v_mov_b32_e32 v123, v117
	v_pk_mul_f32 v[116:117], v[118:119], v[106:107] op_sel:[0,1]
	s_delay_alu instid0(VALU_DEP_2) | instskip(NEXT) | instid1(VALU_DEP_2)
	v_pk_add_f32 v[188:189], v[188:189], v[122:123] neg_lo:[0,1] neg_hi:[0,1]
	v_pk_fma_f32 v[120:121], v[118:119], v[104:105], v[116:117] op_sel:[0,0,1] op_sel_hi:[1,1,0] neg_lo:[0,0,1] neg_hi:[0,0,1]
	v_pk_fma_f32 v[116:117], v[118:119], v[104:105], v[116:117] op_sel:[0,0,1] op_sel_hi:[1,0,0]
	s_delay_alu instid0(VALU_DEP_1) | instskip(SKIP_4) | instid1(VALU_DEP_1)
	v_mov_b32_e32 v121, v117
	ds_load_2addr_b64 v[116:119], v196 offset0:49 offset1:50
	v_pk_add_f32 v[212:213], v[212:213], v[120:121] neg_lo:[0,1] neg_hi:[0,1]
	s_wait_dscnt 0x0
	v_pk_mul_f32 v[120:121], v[116:117], v[106:107] op_sel:[0,1]
	v_pk_fma_f32 v[122:123], v[116:117], v[104:105], v[120:121] op_sel:[0,0,1] op_sel_hi:[1,1,0] neg_lo:[0,0,1] neg_hi:[0,0,1]
	v_pk_fma_f32 v[116:117], v[116:117], v[104:105], v[120:121] op_sel:[0,0,1] op_sel_hi:[1,0,0]
	v_dual_mul_f32 v120, v119, v107 :: v_dual_mov_b32 v116, v119
	s_delay_alu instid0(VALU_DEP_2) | instskip(NEXT) | instid1(VALU_DEP_2)
	v_dual_mov_b32 v123, v117 :: v_dual_mov_b32 v117, v118
	v_pk_fma_f32 v[120:121], v[118:119], v[162:163], v[120:121] op_sel_hi:[1,1,0] neg_lo:[0,0,1] neg_hi:[0,0,1]
	v_mul_f32_e32 v118, v119, v104
	s_delay_alu instid0(VALU_DEP_3) | instskip(NEXT) | instid1(VALU_DEP_2)
	v_pk_add_f32 v[208:209], v[208:209], v[122:123] neg_lo:[0,1] neg_hi:[0,1]
	v_pk_fma_f32 v[116:117], v[116:117], v[162:163], v[118:119] op_sel_hi:[1,1,0]
	s_delay_alu instid0(VALU_DEP_1) | instskip(SKIP_4) | instid1(VALU_DEP_1)
	v_mov_b32_e32 v121, v117
	ds_load_2addr_b64 v[116:119], v196 offset0:51 offset1:52
	v_pk_add_f32 v[210:211], v[210:211], v[120:121] neg_lo:[0,1] neg_hi:[0,1]
	s_wait_dscnt 0x0
	v_pk_mul_f32 v[120:121], v[116:117], v[106:107] op_sel:[0,1]
	v_pk_fma_f32 v[122:123], v[116:117], v[104:105], v[120:121] op_sel:[0,0,1] op_sel_hi:[1,1,0] neg_lo:[0,0,1] neg_hi:[0,0,1]
	v_pk_fma_f32 v[116:117], v[116:117], v[104:105], v[120:121] op_sel:[0,0,1] op_sel_hi:[1,0,0]
	s_delay_alu instid0(VALU_DEP_1) | instskip(SKIP_1) | instid1(VALU_DEP_1)
	v_mov_b32_e32 v123, v117
	v_pk_mul_f32 v[116:117], v[118:119], v[106:107] op_sel:[0,1]
	v_pk_fma_f32 v[120:121], v[118:119], v[104:105], v[116:117] op_sel:[0,0,1] op_sel_hi:[1,1,0] neg_lo:[0,0,1] neg_hi:[0,0,1]
	v_pk_fma_f32 v[116:117], v[118:119], v[104:105], v[116:117] op_sel:[0,0,1] op_sel_hi:[1,0,0]
	s_delay_alu instid0(VALU_DEP_1)
	v_mov_b32_e32 v121, v117
	ds_load_2addr_b64 v[116:119], v196 offset0:53 offset1:54
	v_pk_add_f32 v[206:207], v[206:207], v[122:123] neg_lo:[0,1] neg_hi:[0,1]
	v_pk_add_f32 v[228:229], v[228:229], v[120:121] neg_lo:[0,1] neg_hi:[0,1]
	s_wait_dscnt 0x0
	v_pk_mul_f32 v[120:121], v[116:117], v[106:107] op_sel:[0,1]
	s_delay_alu instid0(VALU_DEP_1) | instskip(SKIP_1) | instid1(VALU_DEP_1)
	v_pk_fma_f32 v[122:123], v[116:117], v[104:105], v[120:121] op_sel:[0,0,1] op_sel_hi:[1,1,0] neg_lo:[0,0,1] neg_hi:[0,0,1]
	v_pk_fma_f32 v[116:117], v[116:117], v[104:105], v[120:121] op_sel:[0,0,1] op_sel_hi:[1,0,0]
	v_mov_b32_e32 v123, v117
	v_pk_mul_f32 v[116:117], v[118:119], v[106:107] op_sel:[0,1]
	s_delay_alu instid0(VALU_DEP_1) | instskip(SKIP_1) | instid1(VALU_DEP_1)
	v_pk_fma_f32 v[120:121], v[118:119], v[104:105], v[116:117] op_sel:[0,0,1] op_sel_hi:[1,1,0] neg_lo:[0,0,1] neg_hi:[0,0,1]
	v_pk_fma_f32 v[116:117], v[118:119], v[104:105], v[116:117] op_sel:[0,0,1] op_sel_hi:[1,0,0]
	v_mov_b32_e32 v121, v117
	ds_load_2addr_b64 v[116:119], v196 offset0:55 offset1:56
	v_pk_add_f32 v[224:225], v[224:225], v[122:123] neg_lo:[0,1] neg_hi:[0,1]
	v_pk_add_f32 v[226:227], v[226:227], v[120:121] neg_lo:[0,1] neg_hi:[0,1]
	s_wait_dscnt 0x0
	v_dual_mul_f32 v120, v117, v107 :: v_dual_mul_f32 v122, v117, v104
	s_delay_alu instid0(VALU_DEP_1) | instskip(NEXT) | instid1(VALU_DEP_2)
	v_pk_fma_f32 v[120:121], v[116:117], v[162:163], v[120:121] op_sel_hi:[1,1,0] neg_lo:[0,0,1] neg_hi:[0,0,1]
	v_pk_fma_f32 v[116:117], v[116:117], v[162:163], v[122:123] op_sel:[1,0,0] op_sel_hi:[0,1,0]
	s_delay_alu instid0(VALU_DEP_1) | instskip(SKIP_1) | instid1(VALU_DEP_2)
	v_mov_b32_e32 v121, v117
	v_pk_mul_f32 v[116:117], v[118:119], v[106:107] op_sel:[0,1]
	v_pk_add_f32 v[222:223], v[222:223], v[120:121] neg_lo:[0,1] neg_hi:[0,1]
	s_delay_alu instid0(VALU_DEP_2) | instskip(SKIP_1) | instid1(VALU_DEP_1)
	v_pk_fma_f32 v[120:121], v[118:119], v[104:105], v[116:117] op_sel:[0,0,1] op_sel_hi:[1,1,0] neg_lo:[0,0,1] neg_hi:[0,0,1]
	v_pk_fma_f32 v[116:117], v[118:119], v[104:105], v[116:117] op_sel:[0,0,1] op_sel_hi:[1,0,0]
	v_mov_b32_e32 v121, v117
	ds_load_b64 v[116:117], v196 offset:456
	v_pk_add_f32 v[230:231], v[230:231], v[120:121] neg_lo:[0,1] neg_hi:[0,1]
	s_wait_dscnt 0x0
	v_pk_mul_f32 v[106:107], v[116:117], v[106:107] op_sel:[0,1]
	s_delay_alu instid0(VALU_DEP_1) | instskip(SKIP_1) | instid1(VALU_DEP_1)
	v_pk_fma_f32 v[118:119], v[116:117], v[104:105], v[106:107] op_sel:[0,0,1] op_sel_hi:[1,1,0] neg_lo:[0,0,1] neg_hi:[0,0,1]
	v_pk_fma_f32 v[104:105], v[116:117], v[104:105], v[106:107] op_sel:[0,0,1] op_sel_hi:[1,0,0]
	v_mov_b32_e32 v119, v105
	s_delay_alu instid0(VALU_DEP_1)
	v_pk_add_f32 v[232:233], v[232:233], v[118:119] neg_lo:[0,1] neg_hi:[0,1]
.LBB115_334:
	s_or_b32 exec_lo, exec_lo, s1
	s_delay_alu instid0(SALU_CYCLE_1)
	s_mov_b32 s2, exec_lo
	s_wait_dscnt 0x0
	s_barrier_signal -1
	s_barrier_wait -1
	v_cmpx_eq_u32_e32 37, v186
	s_cbranch_execz .LBB115_341
; %bb.335:
	v_dual_mov_b32 v104, v160 :: v_dual_mov_b32 v105, v161
	v_dual_mov_b32 v106, v156 :: v_dual_mov_b32 v107, v157
	ds_store_b64 v187, v[158:159]
	ds_store_2addr_b64 v196, v[104:105], v[106:107] offset0:38 offset1:39
	v_dual_mov_b32 v104, v178 :: v_dual_mov_b32 v105, v179
	v_dual_mov_b32 v106, v174 :: v_dual_mov_b32 v107, v175
	ds_store_2addr_b64 v196, v[104:105], v[106:107] offset0:40 offset1:41
	v_dual_mov_b32 v104, v176 :: v_dual_mov_b32 v105, v177
	v_dual_mov_b32 v106, v172 :: v_dual_mov_b32 v107, v173
	ds_store_2addr_b64 v196, v[104:105], v[106:107] offset0:42 offset1:43
	v_dual_mov_b32 v104, v194 :: v_dual_mov_b32 v105, v195
	v_dual_mov_b32 v106, v190 :: v_dual_mov_b32 v107, v191
	ds_store_2addr_b64 v196, v[104:105], v[106:107] offset0:44 offset1:45
	v_dual_mov_b32 v104, v192 :: v_dual_mov_b32 v105, v193
	v_dual_mov_b32 v106, v188 :: v_dual_mov_b32 v107, v189
	ds_store_2addr_b64 v196, v[104:105], v[106:107] offset0:46 offset1:47
	v_dual_mov_b32 v104, v212 :: v_dual_mov_b32 v105, v213
	v_dual_mov_b32 v106, v208 :: v_dual_mov_b32 v107, v209
	ds_store_2addr_b64 v196, v[104:105], v[106:107] offset0:48 offset1:49
	v_dual_mov_b32 v104, v210 :: v_dual_mov_b32 v105, v211
	v_dual_mov_b32 v106, v206 :: v_dual_mov_b32 v107, v207
	ds_store_2addr_b64 v196, v[104:105], v[106:107] offset0:50 offset1:51
	v_dual_mov_b32 v104, v228 :: v_dual_mov_b32 v105, v229
	v_dual_mov_b32 v106, v224 :: v_dual_mov_b32 v107, v225
	ds_store_2addr_b64 v196, v[104:105], v[106:107] offset0:52 offset1:53
	v_dual_mov_b32 v104, v226 :: v_dual_mov_b32 v105, v227
	v_dual_mov_b32 v106, v222 :: v_dual_mov_b32 v107, v223
	ds_store_2addr_b64 v196, v[104:105], v[106:107] offset0:54 offset1:55
	v_dual_mov_b32 v104, v230 :: v_dual_mov_b32 v105, v231
	ds_store_2addr_b64 v196, v[104:105], v[232:233] offset0:56 offset1:57
	ds_load_b64 v[104:105], v187
	s_wait_dscnt 0x0
	v_cmp_neq_f32_e32 vcc_lo, 0, v104
	v_cmp_neq_f32_e64 s1, 0, v105
	s_or_b32 s1, vcc_lo, s1
	s_delay_alu instid0(SALU_CYCLE_1)
	s_and_b32 exec_lo, exec_lo, s1
	s_cbranch_execz .LBB115_341
; %bb.336:
	v_cmp_ngt_f32_e64 s1, |v104|, |v105|
                                        ; implicit-def: $vgpr106_vgpr107
	s_and_saveexec_b32 s4, s1
	s_delay_alu instid0(SALU_CYCLE_1)
	s_xor_b32 s1, exec_lo, s4
	s_cbranch_execz .LBB115_338
; %bb.337:
	v_div_scale_f32 v106, null, v105, v105, v104
	v_div_scale_f32 v117, vcc_lo, v104, v105, v104
	s_delay_alu instid0(VALU_DEP_2) | instskip(SKIP_1) | instid1(TRANS32_DEP_1)
	v_rcp_f32_e32 v107, v106
	v_nop
	v_fma_f32 v116, -v106, v107, 1.0
	s_delay_alu instid0(VALU_DEP_1) | instskip(NEXT) | instid1(VALU_DEP_1)
	v_fmac_f32_e32 v107, v116, v107
	v_mul_f32_e32 v116, v117, v107
	s_delay_alu instid0(VALU_DEP_1) | instskip(NEXT) | instid1(VALU_DEP_1)
	v_fma_f32 v118, -v106, v116, v117
	v_fmac_f32_e32 v116, v118, v107
	s_delay_alu instid0(VALU_DEP_1) | instskip(NEXT) | instid1(VALU_DEP_1)
	v_fma_f32 v106, -v106, v116, v117
	v_div_fmas_f32 v106, v106, v107, v116
	s_delay_alu instid0(VALU_DEP_1) | instskip(NEXT) | instid1(VALU_DEP_1)
	v_div_fixup_f32 v106, v106, v105, v104
	v_fmac_f32_e32 v105, v104, v106
	s_delay_alu instid0(VALU_DEP_1) | instskip(SKIP_1) | instid1(VALU_DEP_2)
	v_div_scale_f32 v104, null, v105, v105, 1.0
	v_div_scale_f32 v117, vcc_lo, 1.0, v105, 1.0
	v_rcp_f32_e32 v107, v104
	v_nop
	s_delay_alu instid0(TRANS32_DEP_1) | instskip(NEXT) | instid1(VALU_DEP_1)
	v_fma_f32 v116, -v104, v107, 1.0
	v_fmac_f32_e32 v107, v116, v107
	s_delay_alu instid0(VALU_DEP_1) | instskip(NEXT) | instid1(VALU_DEP_1)
	v_mul_f32_e32 v116, v117, v107
	v_fma_f32 v118, -v104, v116, v117
	s_delay_alu instid0(VALU_DEP_1) | instskip(NEXT) | instid1(VALU_DEP_1)
	v_fmac_f32_e32 v116, v118, v107
	v_fma_f32 v104, -v104, v116, v117
	s_delay_alu instid0(VALU_DEP_1) | instskip(NEXT) | instid1(VALU_DEP_1)
	v_div_fmas_f32 v104, v104, v107, v116
	v_div_fixup_f32 v104, v104, v105, 1.0
	s_delay_alu instid0(VALU_DEP_1)
	v_mul_f32_e32 v106, v106, v104
	v_xor_b32_e32 v107, 0x80000000, v104
                                        ; implicit-def: $vgpr104_vgpr105
.LBB115_338:
	s_and_not1_saveexec_b32 s1, s1
	s_cbranch_execz .LBB115_340
; %bb.339:
	v_div_scale_f32 v106, null, v104, v104, v105
	v_div_scale_f32 v117, vcc_lo, v105, v104, v105
	s_delay_alu instid0(VALU_DEP_2) | instskip(SKIP_1) | instid1(TRANS32_DEP_1)
	v_rcp_f32_e32 v107, v106
	v_nop
	v_fma_f32 v116, -v106, v107, 1.0
	s_delay_alu instid0(VALU_DEP_1) | instskip(NEXT) | instid1(VALU_DEP_1)
	v_fmac_f32_e32 v107, v116, v107
	v_mul_f32_e32 v116, v117, v107
	s_delay_alu instid0(VALU_DEP_1) | instskip(NEXT) | instid1(VALU_DEP_1)
	v_fma_f32 v118, -v106, v116, v117
	v_fmac_f32_e32 v116, v118, v107
	s_delay_alu instid0(VALU_DEP_1) | instskip(NEXT) | instid1(VALU_DEP_1)
	v_fma_f32 v106, -v106, v116, v117
	v_div_fmas_f32 v106, v106, v107, v116
	s_delay_alu instid0(VALU_DEP_1) | instskip(NEXT) | instid1(VALU_DEP_1)
	v_div_fixup_f32 v107, v106, v104, v105
	v_fmac_f32_e32 v104, v105, v107
	s_delay_alu instid0(VALU_DEP_1) | instskip(NEXT) | instid1(VALU_DEP_1)
	v_div_scale_f32 v105, null, v104, v104, 1.0
	v_rcp_f32_e32 v106, v105
	v_nop
	s_delay_alu instid0(TRANS32_DEP_1) | instskip(NEXT) | instid1(VALU_DEP_1)
	v_fma_f32 v116, -v105, v106, 1.0
	v_fmac_f32_e32 v106, v116, v106
	v_div_scale_f32 v116, vcc_lo, 1.0, v104, 1.0
	s_delay_alu instid0(VALU_DEP_1) | instskip(NEXT) | instid1(VALU_DEP_1)
	v_mul_f32_e32 v117, v116, v106
	v_fma_f32 v118, -v105, v117, v116
	s_delay_alu instid0(VALU_DEP_1) | instskip(NEXT) | instid1(VALU_DEP_1)
	v_fmac_f32_e32 v117, v118, v106
	v_fma_f32 v105, -v105, v117, v116
	s_delay_alu instid0(VALU_DEP_1) | instskip(NEXT) | instid1(VALU_DEP_1)
	v_div_fmas_f32 v105, v105, v106, v117
	v_div_fixup_f32 v106, v105, v104, 1.0
	s_delay_alu instid0(VALU_DEP_1)
	v_mul_f32_e64 v107, v107, -v106
.LBB115_340:
	s_or_b32 exec_lo, exec_lo, s1
	ds_store_b64 v187, v[106:107]
.LBB115_341:
	s_or_b32 exec_lo, exec_lo, s2
	s_wait_dscnt 0x0
	s_barrier_signal -1
	s_barrier_wait -1
	ds_load_b64 v[104:105], v187
	s_mov_b32 s1, exec_lo
	v_cmpx_lt_u32_e32 37, v186
	s_cbranch_execz .LBB115_343
; %bb.342:
	ds_load_2addr_b64 v[118:121], v196 offset0:38 offset1:39
	s_wait_dscnt 0x1
	v_pk_mul_f32 v[116:117], v[104:105], v[158:159] op_sel:[1,1] op_sel_hi:[0,1]
	s_delay_alu instid0(VALU_DEP_1) | instskip(SKIP_1) | instid1(VALU_DEP_1)
	v_pk_fma_f32 v[106:107], v[104:105], v[158:159], v[116:117] op_sel_hi:[1,0,1] neg_lo:[0,0,1] neg_hi:[0,0,1]
	v_pk_fma_f32 v[116:117], v[104:105], v[158:159], v[116:117] op_sel_hi:[1,0,1]
	v_dual_mov_b32 v158, v106 :: v_dual_mov_b32 v159, v117
	s_wait_dscnt 0x0
	s_delay_alu instid0(VALU_DEP_2) | instskip(NEXT) | instid1(VALU_DEP_1)
	v_pk_mul_f32 v[122:123], v[118:119], v[116:117] op_sel:[0,1]
	v_pk_fma_f32 v[132:133], v[118:119], v[106:107], v[122:123] op_sel:[0,0,1] op_sel_hi:[1,1,0] neg_lo:[0,0,1] neg_hi:[0,0,1]
	v_pk_fma_f32 v[118:119], v[118:119], v[106:107], v[122:123] op_sel:[0,0,1] op_sel_hi:[1,0,0]
	s_delay_alu instid0(VALU_DEP_1) | instskip(SKIP_1) | instid1(VALU_DEP_1)
	v_mov_b32_e32 v133, v119
	v_pk_mul_f32 v[118:119], v[120:121], v[116:117] op_sel:[0,1]
	v_pk_fma_f32 v[122:123], v[120:121], v[106:107], v[118:119] op_sel:[0,0,1] op_sel_hi:[1,1,0] neg_lo:[0,0,1] neg_hi:[0,0,1]
	v_pk_fma_f32 v[118:119], v[120:121], v[106:107], v[118:119] op_sel:[0,0,1] op_sel_hi:[1,0,0]
	s_delay_alu instid0(VALU_DEP_1)
	v_mov_b32_e32 v123, v119
	ds_load_2addr_b64 v[118:121], v196 offset0:40 offset1:41
	v_pk_add_f32 v[160:161], v[160:161], v[132:133] neg_lo:[0,1] neg_hi:[0,1]
	v_pk_add_f32 v[156:157], v[156:157], v[122:123] neg_lo:[0,1] neg_hi:[0,1]
	s_wait_dscnt 0x0
	v_pk_mul_f32 v[122:123], v[118:119], v[116:117] op_sel:[0,1]
	s_delay_alu instid0(VALU_DEP_1) | instskip(SKIP_2) | instid1(VALU_DEP_2)
	v_pk_fma_f32 v[132:133], v[118:119], v[106:107], v[122:123] op_sel:[0,0,1] op_sel_hi:[1,1,0] neg_lo:[0,0,1] neg_hi:[0,0,1]
	v_pk_fma_f32 v[118:119], v[118:119], v[106:107], v[122:123] op_sel:[0,0,1] op_sel_hi:[1,0,0]
	v_dual_mul_f32 v122, v121, v117 :: v_dual_mov_b32 v118, v121
	v_dual_mov_b32 v133, v119 :: v_dual_mov_b32 v119, v120
	s_delay_alu instid0(VALU_DEP_2) | instskip(SKIP_1) | instid1(VALU_DEP_3)
	v_pk_fma_f32 v[122:123], v[120:121], v[158:159], v[122:123] op_sel_hi:[1,1,0] neg_lo:[0,0,1] neg_hi:[0,0,1]
	v_mul_f32_e32 v120, v121, v106
	v_pk_add_f32 v[178:179], v[178:179], v[132:133] neg_lo:[0,1] neg_hi:[0,1]
	s_delay_alu instid0(VALU_DEP_2) | instskip(NEXT) | instid1(VALU_DEP_1)
	v_pk_fma_f32 v[118:119], v[118:119], v[158:159], v[120:121] op_sel_hi:[1,1,0]
	v_mov_b32_e32 v123, v119
	ds_load_2addr_b64 v[118:121], v196 offset0:42 offset1:43
	v_pk_add_f32 v[174:175], v[174:175], v[122:123] neg_lo:[0,1] neg_hi:[0,1]
	s_wait_dscnt 0x0
	v_pk_mul_f32 v[122:123], v[118:119], v[116:117] op_sel:[0,1]
	s_delay_alu instid0(VALU_DEP_1) | instskip(SKIP_1) | instid1(VALU_DEP_1)
	v_pk_fma_f32 v[132:133], v[118:119], v[106:107], v[122:123] op_sel:[0,0,1] op_sel_hi:[1,1,0] neg_lo:[0,0,1] neg_hi:[0,0,1]
	v_pk_fma_f32 v[118:119], v[118:119], v[106:107], v[122:123] op_sel:[0,0,1] op_sel_hi:[1,0,0]
	v_mov_b32_e32 v133, v119
	v_pk_mul_f32 v[118:119], v[120:121], v[116:117] op_sel:[0,1]
	s_delay_alu instid0(VALU_DEP_1) | instskip(SKIP_1) | instid1(VALU_DEP_1)
	v_pk_fma_f32 v[122:123], v[120:121], v[106:107], v[118:119] op_sel:[0,0,1] op_sel_hi:[1,1,0] neg_lo:[0,0,1] neg_hi:[0,0,1]
	v_pk_fma_f32 v[118:119], v[120:121], v[106:107], v[118:119] op_sel:[0,0,1] op_sel_hi:[1,0,0]
	v_mov_b32_e32 v123, v119
	ds_load_2addr_b64 v[118:121], v196 offset0:44 offset1:45
	v_pk_add_f32 v[176:177], v[176:177], v[132:133] neg_lo:[0,1] neg_hi:[0,1]
	v_pk_add_f32 v[172:173], v[172:173], v[122:123] neg_lo:[0,1] neg_hi:[0,1]
	s_wait_dscnt 0x0
	v_pk_mul_f32 v[122:123], v[118:119], v[116:117] op_sel:[0,1]
	s_delay_alu instid0(VALU_DEP_1) | instskip(SKIP_1) | instid1(VALU_DEP_1)
	v_pk_fma_f32 v[132:133], v[118:119], v[106:107], v[122:123] op_sel:[0,0,1] op_sel_hi:[1,1,0] neg_lo:[0,0,1] neg_hi:[0,0,1]
	v_pk_fma_f32 v[118:119], v[118:119], v[106:107], v[122:123] op_sel:[0,0,1] op_sel_hi:[1,0,0]
	v_mov_b32_e32 v133, v119
	v_pk_mul_f32 v[118:119], v[120:121], v[116:117] op_sel:[0,1]
	s_delay_alu instid0(VALU_DEP_1) | instskip(SKIP_1) | instid1(VALU_DEP_1)
	v_pk_fma_f32 v[122:123], v[120:121], v[106:107], v[118:119] op_sel:[0,0,1] op_sel_hi:[1,1,0] neg_lo:[0,0,1] neg_hi:[0,0,1]
	v_pk_fma_f32 v[118:119], v[120:121], v[106:107], v[118:119] op_sel:[0,0,1] op_sel_hi:[1,0,0]
	v_mov_b32_e32 v123, v119
	ds_load_2addr_b64 v[118:121], v196 offset0:46 offset1:47
	v_pk_add_f32 v[194:195], v[194:195], v[132:133] neg_lo:[0,1] neg_hi:[0,1]
	v_pk_add_f32 v[190:191], v[190:191], v[122:123] neg_lo:[0,1] neg_hi:[0,1]
	s_wait_dscnt 0x0
	v_dual_mul_f32 v122, v119, v117 :: v_dual_mul_f32 v132, v119, v106
	s_delay_alu instid0(VALU_DEP_1) | instskip(NEXT) | instid1(VALU_DEP_2)
	v_pk_fma_f32 v[122:123], v[118:119], v[158:159], v[122:123] op_sel_hi:[1,1,0] neg_lo:[0,0,1] neg_hi:[0,0,1]
	v_pk_fma_f32 v[118:119], v[118:119], v[158:159], v[132:133] op_sel:[1,0,0] op_sel_hi:[0,1,0]
	s_delay_alu instid0(VALU_DEP_1) | instskip(SKIP_1) | instid1(VALU_DEP_2)
	v_mov_b32_e32 v123, v119
	v_pk_mul_f32 v[118:119], v[120:121], v[116:117] op_sel:[0,1]
	v_pk_add_f32 v[192:193], v[192:193], v[122:123] neg_lo:[0,1] neg_hi:[0,1]
	s_delay_alu instid0(VALU_DEP_2) | instskip(SKIP_1) | instid1(VALU_DEP_1)
	v_pk_fma_f32 v[122:123], v[120:121], v[106:107], v[118:119] op_sel:[0,0,1] op_sel_hi:[1,1,0] neg_lo:[0,0,1] neg_hi:[0,0,1]
	v_pk_fma_f32 v[118:119], v[120:121], v[106:107], v[118:119] op_sel:[0,0,1] op_sel_hi:[1,0,0]
	v_mov_b32_e32 v123, v119
	ds_load_2addr_b64 v[118:121], v196 offset0:48 offset1:49
	v_pk_add_f32 v[188:189], v[188:189], v[122:123] neg_lo:[0,1] neg_hi:[0,1]
	s_wait_dscnt 0x0
	v_pk_mul_f32 v[122:123], v[118:119], v[116:117] op_sel:[0,1]
	s_delay_alu instid0(VALU_DEP_1) | instskip(SKIP_1) | instid1(VALU_DEP_1)
	v_pk_fma_f32 v[132:133], v[118:119], v[106:107], v[122:123] op_sel:[0,0,1] op_sel_hi:[1,1,0] neg_lo:[0,0,1] neg_hi:[0,0,1]
	v_pk_fma_f32 v[118:119], v[118:119], v[106:107], v[122:123] op_sel:[0,0,1] op_sel_hi:[1,0,0]
	v_mov_b32_e32 v133, v119
	v_pk_mul_f32 v[118:119], v[120:121], v[116:117] op_sel:[0,1]
	s_delay_alu instid0(VALU_DEP_2) | instskip(NEXT) | instid1(VALU_DEP_2)
	v_pk_add_f32 v[212:213], v[212:213], v[132:133] neg_lo:[0,1] neg_hi:[0,1]
	v_pk_fma_f32 v[122:123], v[120:121], v[106:107], v[118:119] op_sel:[0,0,1] op_sel_hi:[1,1,0] neg_lo:[0,0,1] neg_hi:[0,0,1]
	v_pk_fma_f32 v[118:119], v[120:121], v[106:107], v[118:119] op_sel:[0,0,1] op_sel_hi:[1,0,0]
	s_delay_alu instid0(VALU_DEP_1) | instskip(SKIP_4) | instid1(VALU_DEP_1)
	v_mov_b32_e32 v123, v119
	ds_load_2addr_b64 v[118:121], v196 offset0:50 offset1:51
	v_pk_add_f32 v[208:209], v[208:209], v[122:123] neg_lo:[0,1] neg_hi:[0,1]
	s_wait_dscnt 0x0
	v_pk_mul_f32 v[122:123], v[118:119], v[116:117] op_sel:[0,1]
	v_pk_fma_f32 v[132:133], v[118:119], v[106:107], v[122:123] op_sel:[0,0,1] op_sel_hi:[1,1,0] neg_lo:[0,0,1] neg_hi:[0,0,1]
	v_pk_fma_f32 v[118:119], v[118:119], v[106:107], v[122:123] op_sel:[0,0,1] op_sel_hi:[1,0,0]
	v_dual_mul_f32 v122, v121, v117 :: v_dual_mov_b32 v118, v121
	s_delay_alu instid0(VALU_DEP_2) | instskip(NEXT) | instid1(VALU_DEP_2)
	v_dual_mov_b32 v133, v119 :: v_dual_mov_b32 v119, v120
	v_pk_fma_f32 v[122:123], v[120:121], v[158:159], v[122:123] op_sel_hi:[1,1,0] neg_lo:[0,0,1] neg_hi:[0,0,1]
	v_mul_f32_e32 v120, v121, v106
	s_delay_alu instid0(VALU_DEP_3) | instskip(NEXT) | instid1(VALU_DEP_2)
	v_pk_add_f32 v[210:211], v[210:211], v[132:133] neg_lo:[0,1] neg_hi:[0,1]
	v_pk_fma_f32 v[118:119], v[118:119], v[158:159], v[120:121] op_sel_hi:[1,1,0]
	s_delay_alu instid0(VALU_DEP_1) | instskip(SKIP_4) | instid1(VALU_DEP_1)
	v_mov_b32_e32 v123, v119
	ds_load_2addr_b64 v[118:121], v196 offset0:52 offset1:53
	v_pk_add_f32 v[206:207], v[206:207], v[122:123] neg_lo:[0,1] neg_hi:[0,1]
	s_wait_dscnt 0x0
	v_pk_mul_f32 v[122:123], v[118:119], v[116:117] op_sel:[0,1]
	v_pk_fma_f32 v[132:133], v[118:119], v[106:107], v[122:123] op_sel:[0,0,1] op_sel_hi:[1,1,0] neg_lo:[0,0,1] neg_hi:[0,0,1]
	v_pk_fma_f32 v[118:119], v[118:119], v[106:107], v[122:123] op_sel:[0,0,1] op_sel_hi:[1,0,0]
	s_delay_alu instid0(VALU_DEP_1) | instskip(SKIP_1) | instid1(VALU_DEP_1)
	v_mov_b32_e32 v133, v119
	v_pk_mul_f32 v[118:119], v[120:121], v[116:117] op_sel:[0,1]
	v_pk_fma_f32 v[122:123], v[120:121], v[106:107], v[118:119] op_sel:[0,0,1] op_sel_hi:[1,1,0] neg_lo:[0,0,1] neg_hi:[0,0,1]
	v_pk_fma_f32 v[118:119], v[120:121], v[106:107], v[118:119] op_sel:[0,0,1] op_sel_hi:[1,0,0]
	s_delay_alu instid0(VALU_DEP_1)
	v_mov_b32_e32 v123, v119
	ds_load_2addr_b64 v[118:121], v196 offset0:54 offset1:55
	v_pk_add_f32 v[228:229], v[228:229], v[132:133] neg_lo:[0,1] neg_hi:[0,1]
	v_pk_add_f32 v[224:225], v[224:225], v[122:123] neg_lo:[0,1] neg_hi:[0,1]
	s_wait_dscnt 0x0
	v_pk_mul_f32 v[122:123], v[118:119], v[116:117] op_sel:[0,1]
	s_delay_alu instid0(VALU_DEP_1) | instskip(SKIP_1) | instid1(VALU_DEP_1)
	v_pk_fma_f32 v[132:133], v[118:119], v[106:107], v[122:123] op_sel:[0,0,1] op_sel_hi:[1,1,0] neg_lo:[0,0,1] neg_hi:[0,0,1]
	v_pk_fma_f32 v[118:119], v[118:119], v[106:107], v[122:123] op_sel:[0,0,1] op_sel_hi:[1,0,0]
	v_mov_b32_e32 v133, v119
	v_pk_mul_f32 v[118:119], v[120:121], v[116:117] op_sel:[0,1]
	s_delay_alu instid0(VALU_DEP_1) | instskip(SKIP_1) | instid1(VALU_DEP_1)
	v_pk_fma_f32 v[122:123], v[120:121], v[106:107], v[118:119] op_sel:[0,0,1] op_sel_hi:[1,1,0] neg_lo:[0,0,1] neg_hi:[0,0,1]
	v_pk_fma_f32 v[118:119], v[120:121], v[106:107], v[118:119] op_sel:[0,0,1] op_sel_hi:[1,0,0]
	v_mov_b32_e32 v123, v119
	ds_load_2addr_b64 v[118:121], v196 offset0:56 offset1:57
	v_pk_add_f32 v[226:227], v[226:227], v[132:133] neg_lo:[0,1] neg_hi:[0,1]
	v_pk_add_f32 v[222:223], v[222:223], v[122:123] neg_lo:[0,1] neg_hi:[0,1]
	s_wait_dscnt 0x0
	v_dual_mul_f32 v122, v119, v117 :: v_dual_mul_f32 v132, v119, v106
	v_pk_mul_f32 v[116:117], v[120:121], v[116:117] op_sel:[0,1]
	s_delay_alu instid0(VALU_DEP_2) | instskip(NEXT) | instid1(VALU_DEP_3)
	v_pk_fma_f32 v[122:123], v[118:119], v[158:159], v[122:123] op_sel_hi:[1,1,0] neg_lo:[0,0,1] neg_hi:[0,0,1]
	v_pk_fma_f32 v[118:119], v[118:119], v[158:159], v[132:133] op_sel:[1,0,0] op_sel_hi:[0,1,0]
	s_delay_alu instid0(VALU_DEP_1) | instskip(NEXT) | instid1(VALU_DEP_4)
	v_mov_b32_e32 v123, v119
	v_pk_fma_f32 v[118:119], v[120:121], v[106:107], v[116:117] op_sel:[0,0,1] op_sel_hi:[1,1,0] neg_lo:[0,0,1] neg_hi:[0,0,1]
	v_pk_fma_f32 v[106:107], v[120:121], v[106:107], v[116:117] op_sel:[0,0,1] op_sel_hi:[1,0,0]
	s_delay_alu instid0(VALU_DEP_1) | instskip(NEXT) | instid1(VALU_DEP_4)
	v_mov_b32_e32 v119, v107
	v_pk_add_f32 v[230:231], v[230:231], v[122:123] neg_lo:[0,1] neg_hi:[0,1]
	s_delay_alu instid0(VALU_DEP_2)
	v_pk_add_f32 v[232:233], v[232:233], v[118:119] neg_lo:[0,1] neg_hi:[0,1]
.LBB115_343:
	s_or_b32 exec_lo, exec_lo, s1
	s_delay_alu instid0(SALU_CYCLE_1)
	s_mov_b32 s2, exec_lo
	s_wait_dscnt 0x0
	s_barrier_signal -1
	s_barrier_wait -1
	v_cmpx_eq_u32_e32 38, v186
	s_cbranch_execz .LBB115_350
; %bb.344:
	ds_store_b64 v187, v[160:161]
	ds_store_2addr_b64 v196, v[156:157], v[178:179] offset0:39 offset1:40
	ds_store_2addr_b64 v196, v[174:175], v[176:177] offset0:41 offset1:42
	;; [unrolled: 1-line block ×9, first 2 shown]
	ds_store_b64 v196, v[232:233] offset:456
	ds_load_b64 v[106:107], v187
	s_wait_dscnt 0x0
	v_cmp_neq_f32_e32 vcc_lo, 0, v106
	v_cmp_neq_f32_e64 s1, 0, v107
	s_or_b32 s1, vcc_lo, s1
	s_delay_alu instid0(SALU_CYCLE_1)
	s_and_b32 exec_lo, exec_lo, s1
	s_cbranch_execz .LBB115_350
; %bb.345:
	v_cmp_ngt_f32_e64 s1, |v106|, |v107|
                                        ; implicit-def: $vgpr116_vgpr117
	s_and_saveexec_b32 s4, s1
	s_delay_alu instid0(SALU_CYCLE_1)
	s_xor_b32 s1, exec_lo, s4
	s_cbranch_execz .LBB115_347
; %bb.346:
	v_div_scale_f32 v116, null, v107, v107, v106
	v_div_scale_f32 v119, vcc_lo, v106, v107, v106
	s_delay_alu instid0(VALU_DEP_2) | instskip(SKIP_1) | instid1(TRANS32_DEP_1)
	v_rcp_f32_e32 v117, v116
	v_nop
	v_fma_f32 v118, -v116, v117, 1.0
	s_delay_alu instid0(VALU_DEP_1) | instskip(NEXT) | instid1(VALU_DEP_1)
	v_fmac_f32_e32 v117, v118, v117
	v_mul_f32_e32 v118, v119, v117
	s_delay_alu instid0(VALU_DEP_1) | instskip(NEXT) | instid1(VALU_DEP_1)
	v_fma_f32 v120, -v116, v118, v119
	v_fmac_f32_e32 v118, v120, v117
	s_delay_alu instid0(VALU_DEP_1) | instskip(NEXT) | instid1(VALU_DEP_1)
	v_fma_f32 v116, -v116, v118, v119
	v_div_fmas_f32 v116, v116, v117, v118
	s_delay_alu instid0(VALU_DEP_1) | instskip(NEXT) | instid1(VALU_DEP_1)
	v_div_fixup_f32 v116, v116, v107, v106
	v_fmac_f32_e32 v107, v106, v116
	s_delay_alu instid0(VALU_DEP_1) | instskip(SKIP_1) | instid1(VALU_DEP_2)
	v_div_scale_f32 v106, null, v107, v107, 1.0
	v_div_scale_f32 v119, vcc_lo, 1.0, v107, 1.0
	v_rcp_f32_e32 v117, v106
	v_nop
	s_delay_alu instid0(TRANS32_DEP_1) | instskip(NEXT) | instid1(VALU_DEP_1)
	v_fma_f32 v118, -v106, v117, 1.0
	v_fmac_f32_e32 v117, v118, v117
	s_delay_alu instid0(VALU_DEP_1) | instskip(NEXT) | instid1(VALU_DEP_1)
	v_mul_f32_e32 v118, v119, v117
	v_fma_f32 v120, -v106, v118, v119
	s_delay_alu instid0(VALU_DEP_1) | instskip(NEXT) | instid1(VALU_DEP_1)
	v_fmac_f32_e32 v118, v120, v117
	v_fma_f32 v106, -v106, v118, v119
	s_delay_alu instid0(VALU_DEP_1) | instskip(NEXT) | instid1(VALU_DEP_1)
	v_div_fmas_f32 v106, v106, v117, v118
	v_div_fixup_f32 v106, v106, v107, 1.0
	s_delay_alu instid0(VALU_DEP_1)
	v_mul_f32_e32 v116, v116, v106
	v_xor_b32_e32 v117, 0x80000000, v106
                                        ; implicit-def: $vgpr106_vgpr107
.LBB115_347:
	s_and_not1_saveexec_b32 s1, s1
	s_cbranch_execz .LBB115_349
; %bb.348:
	v_div_scale_f32 v116, null, v106, v106, v107
	v_div_scale_f32 v119, vcc_lo, v107, v106, v107
	s_delay_alu instid0(VALU_DEP_2) | instskip(SKIP_1) | instid1(TRANS32_DEP_1)
	v_rcp_f32_e32 v117, v116
	v_nop
	v_fma_f32 v118, -v116, v117, 1.0
	s_delay_alu instid0(VALU_DEP_1) | instskip(NEXT) | instid1(VALU_DEP_1)
	v_fmac_f32_e32 v117, v118, v117
	v_mul_f32_e32 v118, v119, v117
	s_delay_alu instid0(VALU_DEP_1) | instskip(NEXT) | instid1(VALU_DEP_1)
	v_fma_f32 v120, -v116, v118, v119
	v_fmac_f32_e32 v118, v120, v117
	s_delay_alu instid0(VALU_DEP_1) | instskip(NEXT) | instid1(VALU_DEP_1)
	v_fma_f32 v116, -v116, v118, v119
	v_div_fmas_f32 v116, v116, v117, v118
	s_delay_alu instid0(VALU_DEP_1) | instskip(NEXT) | instid1(VALU_DEP_1)
	v_div_fixup_f32 v117, v116, v106, v107
	v_fmac_f32_e32 v106, v107, v117
	s_delay_alu instid0(VALU_DEP_1) | instskip(NEXT) | instid1(VALU_DEP_1)
	v_div_scale_f32 v107, null, v106, v106, 1.0
	v_rcp_f32_e32 v116, v107
	v_nop
	s_delay_alu instid0(TRANS32_DEP_1) | instskip(NEXT) | instid1(VALU_DEP_1)
	v_fma_f32 v118, -v107, v116, 1.0
	v_fmac_f32_e32 v116, v118, v116
	v_div_scale_f32 v118, vcc_lo, 1.0, v106, 1.0
	s_delay_alu instid0(VALU_DEP_1) | instskip(NEXT) | instid1(VALU_DEP_1)
	v_mul_f32_e32 v119, v118, v116
	v_fma_f32 v120, -v107, v119, v118
	s_delay_alu instid0(VALU_DEP_1) | instskip(NEXT) | instid1(VALU_DEP_1)
	v_fmac_f32_e32 v119, v120, v116
	v_fma_f32 v107, -v107, v119, v118
	s_delay_alu instid0(VALU_DEP_1) | instskip(NEXT) | instid1(VALU_DEP_1)
	v_div_fmas_f32 v107, v107, v116, v119
	v_div_fixup_f32 v116, v107, v106, 1.0
	s_delay_alu instid0(VALU_DEP_1)
	v_mul_f32_e64 v117, v117, -v116
.LBB115_349:
	s_or_b32 exec_lo, exec_lo, s1
	ds_store_b64 v187, v[116:117]
.LBB115_350:
	s_or_b32 exec_lo, exec_lo, s2
	s_wait_dscnt 0x0
	s_barrier_signal -1
	s_barrier_wait -1
	ds_load_b64 v[106:107], v187
	s_mov_b32 s1, exec_lo
	v_cmpx_lt_u32_e32 38, v186
	s_cbranch_execz .LBB115_352
; %bb.351:
	ds_load_2addr_b64 v[120:123], v196 offset0:39 offset1:40
	s_wait_dscnt 0x1
	v_pk_mul_f32 v[118:119], v[106:107], v[160:161] op_sel:[1,1] op_sel_hi:[0,1]
	s_delay_alu instid0(VALU_DEP_1) | instskip(SKIP_1) | instid1(VALU_DEP_1)
	v_pk_fma_f32 v[116:117], v[106:107], v[160:161], v[118:119] op_sel_hi:[1,0,1] neg_lo:[0,0,1] neg_hi:[0,0,1]
	v_pk_fma_f32 v[118:119], v[106:107], v[160:161], v[118:119] op_sel_hi:[1,0,1]
	v_dual_mov_b32 v160, v116 :: v_dual_mov_b32 v161, v119
	s_wait_dscnt 0x0
	s_delay_alu instid0(VALU_DEP_2) | instskip(NEXT) | instid1(VALU_DEP_1)
	v_pk_mul_f32 v[132:133], v[120:121], v[118:119] op_sel:[0,1]
	v_pk_fma_f32 v[134:135], v[120:121], v[116:117], v[132:133] op_sel:[0,0,1] op_sel_hi:[1,1,0] neg_lo:[0,0,1] neg_hi:[0,0,1]
	v_pk_fma_f32 v[120:121], v[120:121], v[116:117], v[132:133] op_sel:[0,0,1] op_sel_hi:[1,0,0]
	s_delay_alu instid0(VALU_DEP_1) | instskip(SKIP_1) | instid1(VALU_DEP_1)
	v_mov_b32_e32 v135, v121
	v_pk_mul_f32 v[120:121], v[122:123], v[118:119] op_sel:[0,1]
	v_pk_fma_f32 v[132:133], v[122:123], v[116:117], v[120:121] op_sel:[0,0,1] op_sel_hi:[1,1,0] neg_lo:[0,0,1] neg_hi:[0,0,1]
	v_pk_fma_f32 v[120:121], v[122:123], v[116:117], v[120:121] op_sel:[0,0,1] op_sel_hi:[1,0,0]
	s_delay_alu instid0(VALU_DEP_1)
	v_mov_b32_e32 v133, v121
	ds_load_2addr_b64 v[120:123], v196 offset0:41 offset1:42
	v_pk_add_f32 v[156:157], v[156:157], v[134:135] neg_lo:[0,1] neg_hi:[0,1]
	v_pk_add_f32 v[178:179], v[178:179], v[132:133] neg_lo:[0,1] neg_hi:[0,1]
	s_wait_dscnt 0x0
	v_pk_mul_f32 v[132:133], v[120:121], v[118:119] op_sel:[0,1]
	s_delay_alu instid0(VALU_DEP_1) | instskip(SKIP_2) | instid1(VALU_DEP_2)
	v_pk_fma_f32 v[134:135], v[120:121], v[116:117], v[132:133] op_sel:[0,0,1] op_sel_hi:[1,1,0] neg_lo:[0,0,1] neg_hi:[0,0,1]
	v_pk_fma_f32 v[120:121], v[120:121], v[116:117], v[132:133] op_sel:[0,0,1] op_sel_hi:[1,0,0]
	v_dual_mul_f32 v132, v123, v119 :: v_dual_mov_b32 v120, v123
	v_dual_mov_b32 v135, v121 :: v_dual_mov_b32 v121, v122
	s_delay_alu instid0(VALU_DEP_2) | instskip(SKIP_1) | instid1(VALU_DEP_3)
	v_pk_fma_f32 v[132:133], v[122:123], v[160:161], v[132:133] op_sel_hi:[1,1,0] neg_lo:[0,0,1] neg_hi:[0,0,1]
	v_mul_f32_e32 v122, v123, v116
	v_pk_add_f32 v[174:175], v[174:175], v[134:135] neg_lo:[0,1] neg_hi:[0,1]
	s_delay_alu instid0(VALU_DEP_2) | instskip(NEXT) | instid1(VALU_DEP_1)
	v_pk_fma_f32 v[120:121], v[120:121], v[160:161], v[122:123] op_sel_hi:[1,1,0]
	v_mov_b32_e32 v133, v121
	ds_load_2addr_b64 v[120:123], v196 offset0:43 offset1:44
	v_pk_add_f32 v[176:177], v[176:177], v[132:133] neg_lo:[0,1] neg_hi:[0,1]
	s_wait_dscnt 0x0
	v_pk_mul_f32 v[132:133], v[120:121], v[118:119] op_sel:[0,1]
	s_delay_alu instid0(VALU_DEP_1) | instskip(SKIP_1) | instid1(VALU_DEP_1)
	v_pk_fma_f32 v[134:135], v[120:121], v[116:117], v[132:133] op_sel:[0,0,1] op_sel_hi:[1,1,0] neg_lo:[0,0,1] neg_hi:[0,0,1]
	v_pk_fma_f32 v[120:121], v[120:121], v[116:117], v[132:133] op_sel:[0,0,1] op_sel_hi:[1,0,0]
	v_mov_b32_e32 v135, v121
	v_pk_mul_f32 v[120:121], v[122:123], v[118:119] op_sel:[0,1]
	s_delay_alu instid0(VALU_DEP_1) | instskip(SKIP_1) | instid1(VALU_DEP_1)
	v_pk_fma_f32 v[132:133], v[122:123], v[116:117], v[120:121] op_sel:[0,0,1] op_sel_hi:[1,1,0] neg_lo:[0,0,1] neg_hi:[0,0,1]
	v_pk_fma_f32 v[120:121], v[122:123], v[116:117], v[120:121] op_sel:[0,0,1] op_sel_hi:[1,0,0]
	v_mov_b32_e32 v133, v121
	ds_load_2addr_b64 v[120:123], v196 offset0:45 offset1:46
	v_pk_add_f32 v[172:173], v[172:173], v[134:135] neg_lo:[0,1] neg_hi:[0,1]
	v_pk_add_f32 v[194:195], v[194:195], v[132:133] neg_lo:[0,1] neg_hi:[0,1]
	s_wait_dscnt 0x0
	v_pk_mul_f32 v[132:133], v[120:121], v[118:119] op_sel:[0,1]
	s_delay_alu instid0(VALU_DEP_1) | instskip(SKIP_1) | instid1(VALU_DEP_1)
	v_pk_fma_f32 v[134:135], v[120:121], v[116:117], v[132:133] op_sel:[0,0,1] op_sel_hi:[1,1,0] neg_lo:[0,0,1] neg_hi:[0,0,1]
	v_pk_fma_f32 v[120:121], v[120:121], v[116:117], v[132:133] op_sel:[0,0,1] op_sel_hi:[1,0,0]
	v_mov_b32_e32 v135, v121
	v_pk_mul_f32 v[120:121], v[122:123], v[118:119] op_sel:[0,1]
	s_delay_alu instid0(VALU_DEP_1) | instskip(SKIP_1) | instid1(VALU_DEP_1)
	v_pk_fma_f32 v[132:133], v[122:123], v[116:117], v[120:121] op_sel:[0,0,1] op_sel_hi:[1,1,0] neg_lo:[0,0,1] neg_hi:[0,0,1]
	v_pk_fma_f32 v[120:121], v[122:123], v[116:117], v[120:121] op_sel:[0,0,1] op_sel_hi:[1,0,0]
	v_mov_b32_e32 v133, v121
	ds_load_2addr_b64 v[120:123], v196 offset0:47 offset1:48
	v_pk_add_f32 v[190:191], v[190:191], v[134:135] neg_lo:[0,1] neg_hi:[0,1]
	v_pk_add_f32 v[192:193], v[192:193], v[132:133] neg_lo:[0,1] neg_hi:[0,1]
	s_wait_dscnt 0x0
	v_dual_mul_f32 v132, v121, v119 :: v_dual_mul_f32 v134, v121, v116
	s_delay_alu instid0(VALU_DEP_1) | instskip(NEXT) | instid1(VALU_DEP_2)
	v_pk_fma_f32 v[132:133], v[120:121], v[160:161], v[132:133] op_sel_hi:[1,1,0] neg_lo:[0,0,1] neg_hi:[0,0,1]
	v_pk_fma_f32 v[120:121], v[120:121], v[160:161], v[134:135] op_sel:[1,0,0] op_sel_hi:[0,1,0]
	s_delay_alu instid0(VALU_DEP_1) | instskip(SKIP_1) | instid1(VALU_DEP_2)
	v_mov_b32_e32 v133, v121
	v_pk_mul_f32 v[120:121], v[122:123], v[118:119] op_sel:[0,1]
	v_pk_add_f32 v[188:189], v[188:189], v[132:133] neg_lo:[0,1] neg_hi:[0,1]
	s_delay_alu instid0(VALU_DEP_2) | instskip(SKIP_1) | instid1(VALU_DEP_1)
	v_pk_fma_f32 v[132:133], v[122:123], v[116:117], v[120:121] op_sel:[0,0,1] op_sel_hi:[1,1,0] neg_lo:[0,0,1] neg_hi:[0,0,1]
	v_pk_fma_f32 v[120:121], v[122:123], v[116:117], v[120:121] op_sel:[0,0,1] op_sel_hi:[1,0,0]
	v_mov_b32_e32 v133, v121
	ds_load_2addr_b64 v[120:123], v196 offset0:49 offset1:50
	v_pk_add_f32 v[212:213], v[212:213], v[132:133] neg_lo:[0,1] neg_hi:[0,1]
	s_wait_dscnt 0x0
	v_pk_mul_f32 v[132:133], v[120:121], v[118:119] op_sel:[0,1]
	s_delay_alu instid0(VALU_DEP_1) | instskip(SKIP_1) | instid1(VALU_DEP_1)
	v_pk_fma_f32 v[134:135], v[120:121], v[116:117], v[132:133] op_sel:[0,0,1] op_sel_hi:[1,1,0] neg_lo:[0,0,1] neg_hi:[0,0,1]
	v_pk_fma_f32 v[120:121], v[120:121], v[116:117], v[132:133] op_sel:[0,0,1] op_sel_hi:[1,0,0]
	v_mov_b32_e32 v135, v121
	v_pk_mul_f32 v[120:121], v[122:123], v[118:119] op_sel:[0,1]
	s_delay_alu instid0(VALU_DEP_2) | instskip(NEXT) | instid1(VALU_DEP_2)
	v_pk_add_f32 v[208:209], v[208:209], v[134:135] neg_lo:[0,1] neg_hi:[0,1]
	v_pk_fma_f32 v[132:133], v[122:123], v[116:117], v[120:121] op_sel:[0,0,1] op_sel_hi:[1,1,0] neg_lo:[0,0,1] neg_hi:[0,0,1]
	v_pk_fma_f32 v[120:121], v[122:123], v[116:117], v[120:121] op_sel:[0,0,1] op_sel_hi:[1,0,0]
	s_delay_alu instid0(VALU_DEP_1) | instskip(SKIP_4) | instid1(VALU_DEP_1)
	v_mov_b32_e32 v133, v121
	ds_load_2addr_b64 v[120:123], v196 offset0:51 offset1:52
	v_pk_add_f32 v[210:211], v[210:211], v[132:133] neg_lo:[0,1] neg_hi:[0,1]
	s_wait_dscnt 0x0
	v_pk_mul_f32 v[132:133], v[120:121], v[118:119] op_sel:[0,1]
	v_pk_fma_f32 v[134:135], v[120:121], v[116:117], v[132:133] op_sel:[0,0,1] op_sel_hi:[1,1,0] neg_lo:[0,0,1] neg_hi:[0,0,1]
	v_pk_fma_f32 v[120:121], v[120:121], v[116:117], v[132:133] op_sel:[0,0,1] op_sel_hi:[1,0,0]
	v_dual_mul_f32 v132, v123, v119 :: v_dual_mov_b32 v120, v123
	s_delay_alu instid0(VALU_DEP_2) | instskip(NEXT) | instid1(VALU_DEP_2)
	v_dual_mov_b32 v135, v121 :: v_dual_mov_b32 v121, v122
	v_pk_fma_f32 v[132:133], v[122:123], v[160:161], v[132:133] op_sel_hi:[1,1,0] neg_lo:[0,0,1] neg_hi:[0,0,1]
	v_mul_f32_e32 v122, v123, v116
	s_delay_alu instid0(VALU_DEP_3) | instskip(NEXT) | instid1(VALU_DEP_2)
	v_pk_add_f32 v[206:207], v[206:207], v[134:135] neg_lo:[0,1] neg_hi:[0,1]
	v_pk_fma_f32 v[120:121], v[120:121], v[160:161], v[122:123] op_sel_hi:[1,1,0]
	s_delay_alu instid0(VALU_DEP_1) | instskip(SKIP_4) | instid1(VALU_DEP_1)
	v_mov_b32_e32 v133, v121
	ds_load_2addr_b64 v[120:123], v196 offset0:53 offset1:54
	v_pk_add_f32 v[228:229], v[228:229], v[132:133] neg_lo:[0,1] neg_hi:[0,1]
	s_wait_dscnt 0x0
	v_pk_mul_f32 v[132:133], v[120:121], v[118:119] op_sel:[0,1]
	v_pk_fma_f32 v[134:135], v[120:121], v[116:117], v[132:133] op_sel:[0,0,1] op_sel_hi:[1,1,0] neg_lo:[0,0,1] neg_hi:[0,0,1]
	v_pk_fma_f32 v[120:121], v[120:121], v[116:117], v[132:133] op_sel:[0,0,1] op_sel_hi:[1,0,0]
	s_delay_alu instid0(VALU_DEP_1) | instskip(SKIP_1) | instid1(VALU_DEP_1)
	v_mov_b32_e32 v135, v121
	v_pk_mul_f32 v[120:121], v[122:123], v[118:119] op_sel:[0,1]
	v_pk_fma_f32 v[132:133], v[122:123], v[116:117], v[120:121] op_sel:[0,0,1] op_sel_hi:[1,1,0] neg_lo:[0,0,1] neg_hi:[0,0,1]
	v_pk_fma_f32 v[120:121], v[122:123], v[116:117], v[120:121] op_sel:[0,0,1] op_sel_hi:[1,0,0]
	s_delay_alu instid0(VALU_DEP_1)
	v_mov_b32_e32 v133, v121
	ds_load_2addr_b64 v[120:123], v196 offset0:55 offset1:56
	v_pk_add_f32 v[224:225], v[224:225], v[134:135] neg_lo:[0,1] neg_hi:[0,1]
	v_pk_add_f32 v[226:227], v[226:227], v[132:133] neg_lo:[0,1] neg_hi:[0,1]
	s_wait_dscnt 0x0
	v_pk_mul_f32 v[132:133], v[120:121], v[118:119] op_sel:[0,1]
	s_delay_alu instid0(VALU_DEP_1) | instskip(SKIP_1) | instid1(VALU_DEP_1)
	v_pk_fma_f32 v[134:135], v[120:121], v[116:117], v[132:133] op_sel:[0,0,1] op_sel_hi:[1,1,0] neg_lo:[0,0,1] neg_hi:[0,0,1]
	v_pk_fma_f32 v[120:121], v[120:121], v[116:117], v[132:133] op_sel:[0,0,1] op_sel_hi:[1,0,0]
	v_mov_b32_e32 v135, v121
	v_pk_mul_f32 v[120:121], v[122:123], v[118:119] op_sel:[0,1]
	s_delay_alu instid0(VALU_DEP_1) | instskip(SKIP_1) | instid1(VALU_DEP_1)
	v_pk_fma_f32 v[132:133], v[122:123], v[116:117], v[120:121] op_sel:[0,0,1] op_sel_hi:[1,1,0] neg_lo:[0,0,1] neg_hi:[0,0,1]
	v_pk_fma_f32 v[120:121], v[122:123], v[116:117], v[120:121] op_sel:[0,0,1] op_sel_hi:[1,0,0]
	v_mov_b32_e32 v133, v121
	ds_load_b64 v[120:121], v196 offset:456
	v_pk_add_f32 v[222:223], v[222:223], v[134:135] neg_lo:[0,1] neg_hi:[0,1]
	v_pk_add_f32 v[230:231], v[230:231], v[132:133] neg_lo:[0,1] neg_hi:[0,1]
	s_wait_dscnt 0x0
	v_pk_mul_f32 v[118:119], v[120:121], v[118:119] op_sel:[0,1]
	s_delay_alu instid0(VALU_DEP_1) | instskip(SKIP_1) | instid1(VALU_DEP_1)
	v_pk_fma_f32 v[122:123], v[120:121], v[116:117], v[118:119] op_sel:[0,0,1] op_sel_hi:[1,1,0] neg_lo:[0,0,1] neg_hi:[0,0,1]
	v_pk_fma_f32 v[116:117], v[120:121], v[116:117], v[118:119] op_sel:[0,0,1] op_sel_hi:[1,0,0]
	v_mov_b32_e32 v123, v117
	s_delay_alu instid0(VALU_DEP_1)
	v_pk_add_f32 v[232:233], v[232:233], v[122:123] neg_lo:[0,1] neg_hi:[0,1]
.LBB115_352:
	s_or_b32 exec_lo, exec_lo, s1
	s_delay_alu instid0(SALU_CYCLE_1)
	s_mov_b32 s2, exec_lo
	s_wait_dscnt 0x0
	s_barrier_signal -1
	s_barrier_wait -1
	v_cmpx_eq_u32_e32 39, v186
	s_cbranch_execz .LBB115_359
; %bb.353:
	v_dual_mov_b32 v116, v178 :: v_dual_mov_b32 v117, v179
	v_dual_mov_b32 v118, v174 :: v_dual_mov_b32 v119, v175
	ds_store_b64 v187, v[156:157]
	ds_store_2addr_b64 v196, v[116:117], v[118:119] offset0:40 offset1:41
	v_dual_mov_b32 v116, v176 :: v_dual_mov_b32 v117, v177
	v_dual_mov_b32 v118, v172 :: v_dual_mov_b32 v119, v173
	ds_store_2addr_b64 v196, v[116:117], v[118:119] offset0:42 offset1:43
	v_dual_mov_b32 v116, v194 :: v_dual_mov_b32 v117, v195
	v_dual_mov_b32 v118, v190 :: v_dual_mov_b32 v119, v191
	;; [unrolled: 3-line block ×7, first 2 shown]
	ds_store_2addr_b64 v196, v[116:117], v[118:119] offset0:54 offset1:55
	v_dual_mov_b32 v116, v230 :: v_dual_mov_b32 v117, v231
	ds_store_2addr_b64 v196, v[116:117], v[232:233] offset0:56 offset1:57
	ds_load_b64 v[116:117], v187
	s_wait_dscnt 0x0
	v_cmp_neq_f32_e32 vcc_lo, 0, v116
	v_cmp_neq_f32_e64 s1, 0, v117
	s_or_b32 s1, vcc_lo, s1
	s_delay_alu instid0(SALU_CYCLE_1)
	s_and_b32 exec_lo, exec_lo, s1
	s_cbranch_execz .LBB115_359
; %bb.354:
	v_cmp_ngt_f32_e64 s1, |v116|, |v117|
                                        ; implicit-def: $vgpr118_vgpr119
	s_and_saveexec_b32 s4, s1
	s_delay_alu instid0(SALU_CYCLE_1)
	s_xor_b32 s1, exec_lo, s4
	s_cbranch_execz .LBB115_356
; %bb.355:
	v_div_scale_f32 v118, null, v117, v117, v116
	v_div_scale_f32 v121, vcc_lo, v116, v117, v116
	s_delay_alu instid0(VALU_DEP_2) | instskip(SKIP_1) | instid1(TRANS32_DEP_1)
	v_rcp_f32_e32 v119, v118
	v_nop
	v_fma_f32 v120, -v118, v119, 1.0
	s_delay_alu instid0(VALU_DEP_1) | instskip(NEXT) | instid1(VALU_DEP_1)
	v_fmac_f32_e32 v119, v120, v119
	v_mul_f32_e32 v120, v121, v119
	s_delay_alu instid0(VALU_DEP_1) | instskip(NEXT) | instid1(VALU_DEP_1)
	v_fma_f32 v122, -v118, v120, v121
	v_fmac_f32_e32 v120, v122, v119
	s_delay_alu instid0(VALU_DEP_1) | instskip(NEXT) | instid1(VALU_DEP_1)
	v_fma_f32 v118, -v118, v120, v121
	v_div_fmas_f32 v118, v118, v119, v120
	s_delay_alu instid0(VALU_DEP_1) | instskip(NEXT) | instid1(VALU_DEP_1)
	v_div_fixup_f32 v118, v118, v117, v116
	v_fmac_f32_e32 v117, v116, v118
	s_delay_alu instid0(VALU_DEP_1) | instskip(SKIP_1) | instid1(VALU_DEP_2)
	v_div_scale_f32 v116, null, v117, v117, 1.0
	v_div_scale_f32 v121, vcc_lo, 1.0, v117, 1.0
	v_rcp_f32_e32 v119, v116
	v_nop
	s_delay_alu instid0(TRANS32_DEP_1) | instskip(NEXT) | instid1(VALU_DEP_1)
	v_fma_f32 v120, -v116, v119, 1.0
	v_fmac_f32_e32 v119, v120, v119
	s_delay_alu instid0(VALU_DEP_1) | instskip(NEXT) | instid1(VALU_DEP_1)
	v_mul_f32_e32 v120, v121, v119
	v_fma_f32 v122, -v116, v120, v121
	s_delay_alu instid0(VALU_DEP_1) | instskip(NEXT) | instid1(VALU_DEP_1)
	v_fmac_f32_e32 v120, v122, v119
	v_fma_f32 v116, -v116, v120, v121
	s_delay_alu instid0(VALU_DEP_1) | instskip(NEXT) | instid1(VALU_DEP_1)
	v_div_fmas_f32 v116, v116, v119, v120
	v_div_fixup_f32 v116, v116, v117, 1.0
	s_delay_alu instid0(VALU_DEP_1)
	v_mul_f32_e32 v118, v118, v116
	v_xor_b32_e32 v119, 0x80000000, v116
                                        ; implicit-def: $vgpr116_vgpr117
.LBB115_356:
	s_and_not1_saveexec_b32 s1, s1
	s_cbranch_execz .LBB115_358
; %bb.357:
	v_div_scale_f32 v118, null, v116, v116, v117
	v_div_scale_f32 v121, vcc_lo, v117, v116, v117
	s_delay_alu instid0(VALU_DEP_2) | instskip(SKIP_1) | instid1(TRANS32_DEP_1)
	v_rcp_f32_e32 v119, v118
	v_nop
	v_fma_f32 v120, -v118, v119, 1.0
	s_delay_alu instid0(VALU_DEP_1) | instskip(NEXT) | instid1(VALU_DEP_1)
	v_fmac_f32_e32 v119, v120, v119
	v_mul_f32_e32 v120, v121, v119
	s_delay_alu instid0(VALU_DEP_1) | instskip(NEXT) | instid1(VALU_DEP_1)
	v_fma_f32 v122, -v118, v120, v121
	v_fmac_f32_e32 v120, v122, v119
	s_delay_alu instid0(VALU_DEP_1) | instskip(NEXT) | instid1(VALU_DEP_1)
	v_fma_f32 v118, -v118, v120, v121
	v_div_fmas_f32 v118, v118, v119, v120
	s_delay_alu instid0(VALU_DEP_1) | instskip(NEXT) | instid1(VALU_DEP_1)
	v_div_fixup_f32 v119, v118, v116, v117
	v_fmac_f32_e32 v116, v117, v119
	s_delay_alu instid0(VALU_DEP_1) | instskip(NEXT) | instid1(VALU_DEP_1)
	v_div_scale_f32 v117, null, v116, v116, 1.0
	v_rcp_f32_e32 v118, v117
	v_nop
	s_delay_alu instid0(TRANS32_DEP_1) | instskip(NEXT) | instid1(VALU_DEP_1)
	v_fma_f32 v120, -v117, v118, 1.0
	v_fmac_f32_e32 v118, v120, v118
	v_div_scale_f32 v120, vcc_lo, 1.0, v116, 1.0
	s_delay_alu instid0(VALU_DEP_1) | instskip(NEXT) | instid1(VALU_DEP_1)
	v_mul_f32_e32 v121, v120, v118
	v_fma_f32 v122, -v117, v121, v120
	s_delay_alu instid0(VALU_DEP_1) | instskip(NEXT) | instid1(VALU_DEP_1)
	v_fmac_f32_e32 v121, v122, v118
	v_fma_f32 v117, -v117, v121, v120
	s_delay_alu instid0(VALU_DEP_1) | instskip(NEXT) | instid1(VALU_DEP_1)
	v_div_fmas_f32 v117, v117, v118, v121
	v_div_fixup_f32 v118, v117, v116, 1.0
	s_delay_alu instid0(VALU_DEP_1)
	v_mul_f32_e64 v119, v119, -v118
.LBB115_358:
	s_or_b32 exec_lo, exec_lo, s1
	ds_store_b64 v187, v[118:119]
.LBB115_359:
	s_or_b32 exec_lo, exec_lo, s2
	s_wait_dscnt 0x0
	s_barrier_signal -1
	s_barrier_wait -1
	ds_load_b64 v[116:117], v187
	s_mov_b32 s1, exec_lo
	v_cmpx_lt_u32_e32 39, v186
	s_cbranch_execz .LBB115_361
; %bb.360:
	ds_load_2addr_b64 v[132:135], v196 offset0:40 offset1:41
	s_wait_dscnt 0x1
	v_pk_mul_f32 v[120:121], v[116:117], v[156:157] op_sel:[1,1] op_sel_hi:[0,1]
	s_delay_alu instid0(VALU_DEP_1) | instskip(SKIP_1) | instid1(VALU_DEP_1)
	v_pk_fma_f32 v[118:119], v[116:117], v[156:157], v[120:121] op_sel_hi:[1,0,1] neg_lo:[0,0,1] neg_hi:[0,0,1]
	v_pk_fma_f32 v[120:121], v[116:117], v[156:157], v[120:121] op_sel_hi:[1,0,1]
	v_dual_mov_b32 v156, v118 :: v_dual_mov_b32 v157, v121
	s_wait_dscnt 0x0
	s_delay_alu instid0(VALU_DEP_2) | instskip(NEXT) | instid1(VALU_DEP_1)
	v_pk_mul_f32 v[122:123], v[132:133], v[120:121] op_sel:[0,1]
	v_pk_fma_f32 v[136:137], v[132:133], v[118:119], v[122:123] op_sel:[0,0,1] op_sel_hi:[1,1,0] neg_lo:[0,0,1] neg_hi:[0,0,1]
	v_pk_fma_f32 v[122:123], v[132:133], v[118:119], v[122:123] op_sel:[0,0,1] op_sel_hi:[1,0,0]
	s_delay_alu instid0(VALU_DEP_1) | instskip(SKIP_1) | instid1(VALU_DEP_1)
	v_mov_b32_e32 v137, v123
	v_pk_mul_f32 v[122:123], v[134:135], v[120:121] op_sel:[0,1]
	v_pk_fma_f32 v[132:133], v[134:135], v[118:119], v[122:123] op_sel:[0,0,1] op_sel_hi:[1,1,0] neg_lo:[0,0,1] neg_hi:[0,0,1]
	v_pk_fma_f32 v[122:123], v[134:135], v[118:119], v[122:123] op_sel:[0,0,1] op_sel_hi:[1,0,0]
	s_delay_alu instid0(VALU_DEP_1) | instskip(SKIP_1) | instid1(VALU_DEP_2)
	v_mov_b32_e32 v133, v123
	v_pk_add_f32 v[178:179], v[178:179], v[136:137] neg_lo:[0,1] neg_hi:[0,1]
	v_pk_add_f32 v[174:175], v[174:175], v[132:133] neg_lo:[0,1] neg_hi:[0,1]
	ds_load_2addr_b64 v[132:135], v196 offset0:42 offset1:43
	s_wait_dscnt 0x0
	v_pk_mul_f32 v[122:123], v[132:133], v[120:121] op_sel:[0,1]
	s_delay_alu instid0(VALU_DEP_1) | instskip(SKIP_2) | instid1(VALU_DEP_2)
	v_pk_fma_f32 v[136:137], v[132:133], v[118:119], v[122:123] op_sel:[0,0,1] op_sel_hi:[1,1,0] neg_lo:[0,0,1] neg_hi:[0,0,1]
	v_pk_fma_f32 v[122:123], v[132:133], v[118:119], v[122:123] op_sel:[0,0,1] op_sel_hi:[1,0,0]
	v_dual_mul_f32 v132, v135, v121 :: v_dual_mov_b32 v122, v135
	v_dual_mov_b32 v137, v123 :: v_dual_mov_b32 v123, v134
	s_delay_alu instid0(VALU_DEP_2) | instskip(SKIP_1) | instid1(VALU_DEP_3)
	v_pk_fma_f32 v[132:133], v[134:135], v[156:157], v[132:133] op_sel_hi:[1,1,0] neg_lo:[0,0,1] neg_hi:[0,0,1]
	v_mul_f32_e32 v134, v135, v118
	v_pk_add_f32 v[176:177], v[176:177], v[136:137] neg_lo:[0,1] neg_hi:[0,1]
	s_delay_alu instid0(VALU_DEP_2) | instskip(NEXT) | instid1(VALU_DEP_1)
	v_pk_fma_f32 v[122:123], v[122:123], v[156:157], v[134:135] op_sel_hi:[1,1,0]
	v_mov_b32_e32 v133, v123
	s_delay_alu instid0(VALU_DEP_1) | instskip(SKIP_3) | instid1(VALU_DEP_1)
	v_pk_add_f32 v[172:173], v[172:173], v[132:133] neg_lo:[0,1] neg_hi:[0,1]
	ds_load_2addr_b64 v[132:135], v196 offset0:44 offset1:45
	s_wait_dscnt 0x0
	v_pk_mul_f32 v[122:123], v[132:133], v[120:121] op_sel:[0,1]
	v_pk_fma_f32 v[136:137], v[132:133], v[118:119], v[122:123] op_sel:[0,0,1] op_sel_hi:[1,1,0] neg_lo:[0,0,1] neg_hi:[0,0,1]
	v_pk_fma_f32 v[122:123], v[132:133], v[118:119], v[122:123] op_sel:[0,0,1] op_sel_hi:[1,0,0]
	s_delay_alu instid0(VALU_DEP_1) | instskip(SKIP_1) | instid1(VALU_DEP_2)
	v_mov_b32_e32 v137, v123
	v_pk_mul_f32 v[122:123], v[134:135], v[120:121] op_sel:[0,1]
	v_pk_add_f32 v[194:195], v[194:195], v[136:137] neg_lo:[0,1] neg_hi:[0,1]
	s_delay_alu instid0(VALU_DEP_2) | instskip(SKIP_1) | instid1(VALU_DEP_1)
	v_pk_fma_f32 v[132:133], v[134:135], v[118:119], v[122:123] op_sel:[0,0,1] op_sel_hi:[1,1,0] neg_lo:[0,0,1] neg_hi:[0,0,1]
	v_pk_fma_f32 v[122:123], v[134:135], v[118:119], v[122:123] op_sel:[0,0,1] op_sel_hi:[1,0,0]
	v_mov_b32_e32 v133, v123
	s_delay_alu instid0(VALU_DEP_1) | instskip(SKIP_3) | instid1(VALU_DEP_1)
	v_pk_add_f32 v[190:191], v[190:191], v[132:133] neg_lo:[0,1] neg_hi:[0,1]
	ds_load_2addr_b64 v[132:135], v196 offset0:46 offset1:47
	s_wait_dscnt 0x0
	v_pk_mul_f32 v[122:123], v[132:133], v[120:121] op_sel:[0,1]
	v_pk_fma_f32 v[136:137], v[132:133], v[118:119], v[122:123] op_sel:[0,0,1] op_sel_hi:[1,1,0] neg_lo:[0,0,1] neg_hi:[0,0,1]
	v_pk_fma_f32 v[122:123], v[132:133], v[118:119], v[122:123] op_sel:[0,0,1] op_sel_hi:[1,0,0]
	s_delay_alu instid0(VALU_DEP_1) | instskip(SKIP_1) | instid1(VALU_DEP_2)
	v_mov_b32_e32 v137, v123
	v_pk_mul_f32 v[122:123], v[134:135], v[120:121] op_sel:[0,1]
	v_pk_add_f32 v[192:193], v[192:193], v[136:137] neg_lo:[0,1] neg_hi:[0,1]
	s_delay_alu instid0(VALU_DEP_2) | instskip(SKIP_1) | instid1(VALU_DEP_1)
	v_pk_fma_f32 v[132:133], v[134:135], v[118:119], v[122:123] op_sel:[0,0,1] op_sel_hi:[1,1,0] neg_lo:[0,0,1] neg_hi:[0,0,1]
	v_pk_fma_f32 v[122:123], v[134:135], v[118:119], v[122:123] op_sel:[0,0,1] op_sel_hi:[1,0,0]
	v_mov_b32_e32 v133, v123
	s_delay_alu instid0(VALU_DEP_1) | instskip(SKIP_3) | instid1(VALU_DEP_1)
	v_pk_add_f32 v[188:189], v[188:189], v[132:133] neg_lo:[0,1] neg_hi:[0,1]
	ds_load_2addr_b64 v[132:135], v196 offset0:48 offset1:49
	s_wait_dscnt 0x0
	v_dual_mul_f32 v122, v133, v121 :: v_dual_mul_f32 v136, v133, v118
	v_pk_fma_f32 v[122:123], v[132:133], v[156:157], v[122:123] op_sel_hi:[1,1,0] neg_lo:[0,0,1] neg_hi:[0,0,1]
	s_delay_alu instid0(VALU_DEP_2) | instskip(NEXT) | instid1(VALU_DEP_1)
	v_pk_fma_f32 v[132:133], v[132:133], v[156:157], v[136:137] op_sel:[1,0,0] op_sel_hi:[0,1,0]
	v_mov_b32_e32 v123, v133
	s_delay_alu instid0(VALU_DEP_1) | instskip(SKIP_1) | instid1(VALU_DEP_1)
	v_pk_add_f32 v[212:213], v[212:213], v[122:123] neg_lo:[0,1] neg_hi:[0,1]
	v_pk_mul_f32 v[122:123], v[134:135], v[120:121] op_sel:[0,1]
	v_pk_fma_f32 v[132:133], v[134:135], v[118:119], v[122:123] op_sel:[0,0,1] op_sel_hi:[1,1,0] neg_lo:[0,0,1] neg_hi:[0,0,1]
	v_pk_fma_f32 v[122:123], v[134:135], v[118:119], v[122:123] op_sel:[0,0,1] op_sel_hi:[1,0,0]
	s_delay_alu instid0(VALU_DEP_1) | instskip(NEXT) | instid1(VALU_DEP_1)
	v_mov_b32_e32 v133, v123
	v_pk_add_f32 v[208:209], v[208:209], v[132:133] neg_lo:[0,1] neg_hi:[0,1]
	ds_load_2addr_b64 v[132:135], v196 offset0:50 offset1:51
	s_wait_dscnt 0x0
	v_pk_mul_f32 v[122:123], v[132:133], v[120:121] op_sel:[0,1]
	s_delay_alu instid0(VALU_DEP_1) | instskip(SKIP_1) | instid1(VALU_DEP_1)
	v_pk_fma_f32 v[136:137], v[132:133], v[118:119], v[122:123] op_sel:[0,0,1] op_sel_hi:[1,1,0] neg_lo:[0,0,1] neg_hi:[0,0,1]
	v_pk_fma_f32 v[122:123], v[132:133], v[118:119], v[122:123] op_sel:[0,0,1] op_sel_hi:[1,0,0]
	v_mov_b32_e32 v137, v123
	v_pk_mul_f32 v[122:123], v[134:135], v[120:121] op_sel:[0,1]
	s_delay_alu instid0(VALU_DEP_2) | instskip(NEXT) | instid1(VALU_DEP_2)
	v_pk_add_f32 v[210:211], v[210:211], v[136:137] neg_lo:[0,1] neg_hi:[0,1]
	v_pk_fma_f32 v[132:133], v[134:135], v[118:119], v[122:123] op_sel:[0,0,1] op_sel_hi:[1,1,0] neg_lo:[0,0,1] neg_hi:[0,0,1]
	v_pk_fma_f32 v[122:123], v[134:135], v[118:119], v[122:123] op_sel:[0,0,1] op_sel_hi:[1,0,0]
	s_delay_alu instid0(VALU_DEP_1) | instskip(NEXT) | instid1(VALU_DEP_1)
	v_mov_b32_e32 v133, v123
	v_pk_add_f32 v[206:207], v[206:207], v[132:133] neg_lo:[0,1] neg_hi:[0,1]
	ds_load_2addr_b64 v[132:135], v196 offset0:52 offset1:53
	s_wait_dscnt 0x0
	v_pk_mul_f32 v[122:123], v[132:133], v[120:121] op_sel:[0,1]
	s_delay_alu instid0(VALU_DEP_1) | instskip(SKIP_2) | instid1(VALU_DEP_2)
	v_pk_fma_f32 v[136:137], v[132:133], v[118:119], v[122:123] op_sel:[0,0,1] op_sel_hi:[1,1,0] neg_lo:[0,0,1] neg_hi:[0,0,1]
	v_pk_fma_f32 v[122:123], v[132:133], v[118:119], v[122:123] op_sel:[0,0,1] op_sel_hi:[1,0,0]
	v_dual_mul_f32 v132, v135, v121 :: v_dual_mov_b32 v122, v135
	v_dual_mov_b32 v137, v123 :: v_dual_mov_b32 v123, v134
	s_delay_alu instid0(VALU_DEP_2) | instskip(SKIP_1) | instid1(VALU_DEP_3)
	v_pk_fma_f32 v[132:133], v[134:135], v[156:157], v[132:133] op_sel_hi:[1,1,0] neg_lo:[0,0,1] neg_hi:[0,0,1]
	v_mul_f32_e32 v134, v135, v118
	v_pk_add_f32 v[228:229], v[228:229], v[136:137] neg_lo:[0,1] neg_hi:[0,1]
	s_delay_alu instid0(VALU_DEP_2) | instskip(NEXT) | instid1(VALU_DEP_1)
	v_pk_fma_f32 v[122:123], v[122:123], v[156:157], v[134:135] op_sel_hi:[1,1,0]
	v_mov_b32_e32 v133, v123
	s_delay_alu instid0(VALU_DEP_1) | instskip(SKIP_3) | instid1(VALU_DEP_1)
	v_pk_add_f32 v[224:225], v[224:225], v[132:133] neg_lo:[0,1] neg_hi:[0,1]
	ds_load_2addr_b64 v[132:135], v196 offset0:54 offset1:55
	s_wait_dscnt 0x0
	v_pk_mul_f32 v[122:123], v[132:133], v[120:121] op_sel:[0,1]
	v_pk_fma_f32 v[136:137], v[132:133], v[118:119], v[122:123] op_sel:[0,0,1] op_sel_hi:[1,1,0] neg_lo:[0,0,1] neg_hi:[0,0,1]
	v_pk_fma_f32 v[122:123], v[132:133], v[118:119], v[122:123] op_sel:[0,0,1] op_sel_hi:[1,0,0]
	s_delay_alu instid0(VALU_DEP_1) | instskip(SKIP_1) | instid1(VALU_DEP_2)
	v_mov_b32_e32 v137, v123
	v_pk_mul_f32 v[122:123], v[134:135], v[120:121] op_sel:[0,1]
	v_pk_add_f32 v[226:227], v[226:227], v[136:137] neg_lo:[0,1] neg_hi:[0,1]
	s_delay_alu instid0(VALU_DEP_2) | instskip(SKIP_1) | instid1(VALU_DEP_1)
	v_pk_fma_f32 v[132:133], v[134:135], v[118:119], v[122:123] op_sel:[0,0,1] op_sel_hi:[1,1,0] neg_lo:[0,0,1] neg_hi:[0,0,1]
	v_pk_fma_f32 v[122:123], v[134:135], v[118:119], v[122:123] op_sel:[0,0,1] op_sel_hi:[1,0,0]
	v_mov_b32_e32 v133, v123
	s_delay_alu instid0(VALU_DEP_1) | instskip(SKIP_4) | instid1(VALU_DEP_2)
	v_pk_add_f32 v[222:223], v[222:223], v[132:133] neg_lo:[0,1] neg_hi:[0,1]
	ds_load_2addr_b64 v[132:135], v196 offset0:56 offset1:57
	s_wait_dscnt 0x0
	v_pk_mul_f32 v[122:123], v[132:133], v[120:121] op_sel:[0,1]
	v_mul_f32_e32 v120, v135, v121
	v_pk_fma_f32 v[136:137], v[132:133], v[118:119], v[122:123] op_sel:[0,0,1] op_sel_hi:[1,1,0] neg_lo:[0,0,1] neg_hi:[0,0,1]
	v_pk_fma_f32 v[122:123], v[132:133], v[118:119], v[122:123] op_sel:[0,0,1] op_sel_hi:[1,0,0]
	v_dual_mov_b32 v122, v135 :: v_dual_mul_f32 v118, v135, v118
	s_delay_alu instid0(VALU_DEP_4) | instskip(NEXT) | instid1(VALU_DEP_3)
	v_pk_fma_f32 v[120:121], v[134:135], v[156:157], v[120:121] op_sel_hi:[1,1,0] neg_lo:[0,0,1] neg_hi:[0,0,1]
	v_dual_mov_b32 v137, v123 :: v_dual_mov_b32 v123, v134
	s_delay_alu instid0(VALU_DEP_1) | instskip(NEXT) | instid1(VALU_DEP_2)
	v_pk_add_f32 v[230:231], v[230:231], v[136:137] neg_lo:[0,1] neg_hi:[0,1]
	v_pk_fma_f32 v[118:119], v[122:123], v[156:157], v[118:119] op_sel_hi:[1,1,0]
	s_delay_alu instid0(VALU_DEP_1) | instskip(NEXT) | instid1(VALU_DEP_1)
	v_mov_b32_e32 v121, v119
	v_pk_add_f32 v[232:233], v[232:233], v[120:121] neg_lo:[0,1] neg_hi:[0,1]
.LBB115_361:
	s_or_b32 exec_lo, exec_lo, s1
	s_delay_alu instid0(SALU_CYCLE_1)
	s_mov_b32 s2, exec_lo
	s_wait_dscnt 0x0
	s_barrier_signal -1
	s_barrier_wait -1
	v_cmpx_eq_u32_e32 40, v186
	s_cbranch_execz .LBB115_368
; %bb.362:
	ds_store_b64 v187, v[178:179]
	ds_store_2addr_b64 v196, v[174:175], v[176:177] offset0:41 offset1:42
	ds_store_2addr_b64 v196, v[172:173], v[194:195] offset0:43 offset1:44
	ds_store_2addr_b64 v196, v[190:191], v[192:193] offset0:45 offset1:46
	ds_store_2addr_b64 v196, v[188:189], v[212:213] offset0:47 offset1:48
	ds_store_2addr_b64 v196, v[208:209], v[210:211] offset0:49 offset1:50
	ds_store_2addr_b64 v196, v[206:207], v[228:229] offset0:51 offset1:52
	ds_store_2addr_b64 v196, v[224:225], v[226:227] offset0:53 offset1:54
	ds_store_2addr_b64 v196, v[222:223], v[230:231] offset0:55 offset1:56
	ds_store_b64 v196, v[232:233] offset:456
	ds_load_b64 v[118:119], v187
	s_wait_dscnt 0x0
	v_cmp_neq_f32_e32 vcc_lo, 0, v118
	v_cmp_neq_f32_e64 s1, 0, v119
	s_or_b32 s1, vcc_lo, s1
	s_delay_alu instid0(SALU_CYCLE_1)
	s_and_b32 exec_lo, exec_lo, s1
	s_cbranch_execz .LBB115_368
; %bb.363:
	v_cmp_ngt_f32_e64 s1, |v118|, |v119|
                                        ; implicit-def: $vgpr120_vgpr121
	s_and_saveexec_b32 s4, s1
	s_delay_alu instid0(SALU_CYCLE_1)
	s_xor_b32 s1, exec_lo, s4
	s_cbranch_execz .LBB115_365
; %bb.364:
	v_div_scale_f32 v120, null, v119, v119, v118
	v_div_scale_f32 v123, vcc_lo, v118, v119, v118
	s_delay_alu instid0(VALU_DEP_2) | instskip(SKIP_1) | instid1(TRANS32_DEP_1)
	v_rcp_f32_e32 v121, v120
	v_nop
	v_fma_f32 v122, -v120, v121, 1.0
	s_delay_alu instid0(VALU_DEP_1) | instskip(NEXT) | instid1(VALU_DEP_1)
	v_fmac_f32_e32 v121, v122, v121
	v_mul_f32_e32 v122, v123, v121
	s_delay_alu instid0(VALU_DEP_1) | instskip(NEXT) | instid1(VALU_DEP_1)
	v_fma_f32 v132, -v120, v122, v123
	v_fmac_f32_e32 v122, v132, v121
	s_delay_alu instid0(VALU_DEP_1) | instskip(NEXT) | instid1(VALU_DEP_1)
	v_fma_f32 v120, -v120, v122, v123
	v_div_fmas_f32 v120, v120, v121, v122
	s_delay_alu instid0(VALU_DEP_1) | instskip(NEXT) | instid1(VALU_DEP_1)
	v_div_fixup_f32 v120, v120, v119, v118
	v_fmac_f32_e32 v119, v118, v120
	s_delay_alu instid0(VALU_DEP_1) | instskip(SKIP_1) | instid1(VALU_DEP_2)
	v_div_scale_f32 v118, null, v119, v119, 1.0
	v_div_scale_f32 v123, vcc_lo, 1.0, v119, 1.0
	v_rcp_f32_e32 v121, v118
	v_nop
	s_delay_alu instid0(TRANS32_DEP_1) | instskip(NEXT) | instid1(VALU_DEP_1)
	v_fma_f32 v122, -v118, v121, 1.0
	v_fmac_f32_e32 v121, v122, v121
	s_delay_alu instid0(VALU_DEP_1) | instskip(NEXT) | instid1(VALU_DEP_1)
	v_mul_f32_e32 v122, v123, v121
	v_fma_f32 v132, -v118, v122, v123
	s_delay_alu instid0(VALU_DEP_1) | instskip(NEXT) | instid1(VALU_DEP_1)
	v_fmac_f32_e32 v122, v132, v121
	v_fma_f32 v118, -v118, v122, v123
	s_delay_alu instid0(VALU_DEP_1) | instskip(NEXT) | instid1(VALU_DEP_1)
	v_div_fmas_f32 v118, v118, v121, v122
	v_div_fixup_f32 v118, v118, v119, 1.0
	s_delay_alu instid0(VALU_DEP_1)
	v_mul_f32_e32 v120, v120, v118
	v_xor_b32_e32 v121, 0x80000000, v118
                                        ; implicit-def: $vgpr118_vgpr119
.LBB115_365:
	s_and_not1_saveexec_b32 s1, s1
	s_cbranch_execz .LBB115_367
; %bb.366:
	v_div_scale_f32 v120, null, v118, v118, v119
	v_div_scale_f32 v123, vcc_lo, v119, v118, v119
	s_delay_alu instid0(VALU_DEP_2) | instskip(SKIP_1) | instid1(TRANS32_DEP_1)
	v_rcp_f32_e32 v121, v120
	v_nop
	v_fma_f32 v122, -v120, v121, 1.0
	s_delay_alu instid0(VALU_DEP_1) | instskip(NEXT) | instid1(VALU_DEP_1)
	v_fmac_f32_e32 v121, v122, v121
	v_mul_f32_e32 v122, v123, v121
	s_delay_alu instid0(VALU_DEP_1) | instskip(NEXT) | instid1(VALU_DEP_1)
	v_fma_f32 v132, -v120, v122, v123
	v_fmac_f32_e32 v122, v132, v121
	s_delay_alu instid0(VALU_DEP_1) | instskip(NEXT) | instid1(VALU_DEP_1)
	v_fma_f32 v120, -v120, v122, v123
	v_div_fmas_f32 v120, v120, v121, v122
	s_delay_alu instid0(VALU_DEP_1) | instskip(NEXT) | instid1(VALU_DEP_1)
	v_div_fixup_f32 v121, v120, v118, v119
	v_fmac_f32_e32 v118, v119, v121
	s_delay_alu instid0(VALU_DEP_1) | instskip(NEXT) | instid1(VALU_DEP_1)
	v_div_scale_f32 v119, null, v118, v118, 1.0
	v_rcp_f32_e32 v120, v119
	v_nop
	s_delay_alu instid0(TRANS32_DEP_1) | instskip(NEXT) | instid1(VALU_DEP_1)
	v_fma_f32 v122, -v119, v120, 1.0
	v_fmac_f32_e32 v120, v122, v120
	v_div_scale_f32 v122, vcc_lo, 1.0, v118, 1.0
	s_delay_alu instid0(VALU_DEP_1) | instskip(NEXT) | instid1(VALU_DEP_1)
	v_mul_f32_e32 v123, v122, v120
	v_fma_f32 v132, -v119, v123, v122
	s_delay_alu instid0(VALU_DEP_1) | instskip(NEXT) | instid1(VALU_DEP_1)
	v_fmac_f32_e32 v123, v132, v120
	v_fma_f32 v119, -v119, v123, v122
	s_delay_alu instid0(VALU_DEP_1) | instskip(NEXT) | instid1(VALU_DEP_1)
	v_div_fmas_f32 v119, v119, v120, v123
	v_div_fixup_f32 v120, v119, v118, 1.0
	s_delay_alu instid0(VALU_DEP_1)
	v_mul_f32_e64 v121, v121, -v120
.LBB115_367:
	s_or_b32 exec_lo, exec_lo, s1
	ds_store_b64 v187, v[120:121]
.LBB115_368:
	s_or_b32 exec_lo, exec_lo, s2
	s_wait_dscnt 0x0
	s_barrier_signal -1
	s_barrier_wait -1
	ds_load_b64 v[118:119], v187
	s_mov_b32 s1, exec_lo
	v_cmpx_lt_u32_e32 40, v186
	s_cbranch_execz .LBB115_370
; %bb.369:
	ds_load_2addr_b64 v[132:135], v196 offset0:41 offset1:42
	s_wait_dscnt 0x1
	v_pk_mul_f32 v[122:123], v[118:119], v[178:179] op_sel:[1,1] op_sel_hi:[0,1]
	s_delay_alu instid0(VALU_DEP_1) | instskip(SKIP_1) | instid1(VALU_DEP_1)
	v_pk_fma_f32 v[120:121], v[118:119], v[178:179], v[122:123] op_sel_hi:[1,0,1] neg_lo:[0,0,1] neg_hi:[0,0,1]
	v_pk_fma_f32 v[122:123], v[118:119], v[178:179], v[122:123] op_sel_hi:[1,0,1]
	v_dual_mov_b32 v178, v120 :: v_dual_mov_b32 v179, v123
	s_wait_dscnt 0x0
	s_delay_alu instid0(VALU_DEP_2) | instskip(NEXT) | instid1(VALU_DEP_1)
	v_pk_mul_f32 v[136:137], v[132:133], v[122:123] op_sel:[0,1]
	v_pk_fma_f32 v[138:139], v[132:133], v[120:121], v[136:137] op_sel:[0,0,1] op_sel_hi:[1,1,0] neg_lo:[0,0,1] neg_hi:[0,0,1]
	v_pk_fma_f32 v[132:133], v[132:133], v[120:121], v[136:137] op_sel:[0,0,1] op_sel_hi:[1,0,0]
	s_delay_alu instid0(VALU_DEP_1) | instskip(SKIP_1) | instid1(VALU_DEP_1)
	v_mov_b32_e32 v139, v133
	v_pk_mul_f32 v[132:133], v[134:135], v[122:123] op_sel:[0,1]
	v_pk_fma_f32 v[136:137], v[134:135], v[120:121], v[132:133] op_sel:[0,0,1] op_sel_hi:[1,1,0] neg_lo:[0,0,1] neg_hi:[0,0,1]
	v_pk_fma_f32 v[132:133], v[134:135], v[120:121], v[132:133] op_sel:[0,0,1] op_sel_hi:[1,0,0]
	s_delay_alu instid0(VALU_DEP_1)
	v_mov_b32_e32 v137, v133
	ds_load_2addr_b64 v[132:135], v196 offset0:43 offset1:44
	v_pk_add_f32 v[174:175], v[174:175], v[138:139] neg_lo:[0,1] neg_hi:[0,1]
	v_pk_add_f32 v[176:177], v[176:177], v[136:137] neg_lo:[0,1] neg_hi:[0,1]
	s_wait_dscnt 0x0
	v_pk_mul_f32 v[136:137], v[132:133], v[122:123] op_sel:[0,1]
	s_delay_alu instid0(VALU_DEP_1) | instskip(SKIP_2) | instid1(VALU_DEP_2)
	v_pk_fma_f32 v[138:139], v[132:133], v[120:121], v[136:137] op_sel:[0,0,1] op_sel_hi:[1,1,0] neg_lo:[0,0,1] neg_hi:[0,0,1]
	v_pk_fma_f32 v[132:133], v[132:133], v[120:121], v[136:137] op_sel:[0,0,1] op_sel_hi:[1,0,0]
	v_dual_mul_f32 v136, v135, v123 :: v_dual_mov_b32 v132, v135
	v_dual_mov_b32 v139, v133 :: v_dual_mov_b32 v133, v134
	s_delay_alu instid0(VALU_DEP_2) | instskip(SKIP_1) | instid1(VALU_DEP_3)
	v_pk_fma_f32 v[136:137], v[134:135], v[178:179], v[136:137] op_sel_hi:[1,1,0] neg_lo:[0,0,1] neg_hi:[0,0,1]
	v_mul_f32_e32 v134, v135, v120
	v_pk_add_f32 v[172:173], v[172:173], v[138:139] neg_lo:[0,1] neg_hi:[0,1]
	s_delay_alu instid0(VALU_DEP_2) | instskip(NEXT) | instid1(VALU_DEP_1)
	v_pk_fma_f32 v[132:133], v[132:133], v[178:179], v[134:135] op_sel_hi:[1,1,0]
	v_mov_b32_e32 v137, v133
	ds_load_2addr_b64 v[132:135], v196 offset0:45 offset1:46
	v_pk_add_f32 v[194:195], v[194:195], v[136:137] neg_lo:[0,1] neg_hi:[0,1]
	s_wait_dscnt 0x0
	v_pk_mul_f32 v[136:137], v[132:133], v[122:123] op_sel:[0,1]
	s_delay_alu instid0(VALU_DEP_1) | instskip(SKIP_1) | instid1(VALU_DEP_1)
	v_pk_fma_f32 v[138:139], v[132:133], v[120:121], v[136:137] op_sel:[0,0,1] op_sel_hi:[1,1,0] neg_lo:[0,0,1] neg_hi:[0,0,1]
	v_pk_fma_f32 v[132:133], v[132:133], v[120:121], v[136:137] op_sel:[0,0,1] op_sel_hi:[1,0,0]
	v_mov_b32_e32 v139, v133
	v_pk_mul_f32 v[132:133], v[134:135], v[122:123] op_sel:[0,1]
	s_delay_alu instid0(VALU_DEP_1) | instskip(SKIP_1) | instid1(VALU_DEP_1)
	v_pk_fma_f32 v[136:137], v[134:135], v[120:121], v[132:133] op_sel:[0,0,1] op_sel_hi:[1,1,0] neg_lo:[0,0,1] neg_hi:[0,0,1]
	v_pk_fma_f32 v[132:133], v[134:135], v[120:121], v[132:133] op_sel:[0,0,1] op_sel_hi:[1,0,0]
	v_mov_b32_e32 v137, v133
	ds_load_2addr_b64 v[132:135], v196 offset0:47 offset1:48
	v_pk_add_f32 v[190:191], v[190:191], v[138:139] neg_lo:[0,1] neg_hi:[0,1]
	v_pk_add_f32 v[192:193], v[192:193], v[136:137] neg_lo:[0,1] neg_hi:[0,1]
	s_wait_dscnt 0x0
	v_pk_mul_f32 v[136:137], v[132:133], v[122:123] op_sel:[0,1]
	s_delay_alu instid0(VALU_DEP_1) | instskip(SKIP_1) | instid1(VALU_DEP_1)
	v_pk_fma_f32 v[138:139], v[132:133], v[120:121], v[136:137] op_sel:[0,0,1] op_sel_hi:[1,1,0] neg_lo:[0,0,1] neg_hi:[0,0,1]
	v_pk_fma_f32 v[132:133], v[132:133], v[120:121], v[136:137] op_sel:[0,0,1] op_sel_hi:[1,0,0]
	v_mov_b32_e32 v139, v133
	v_pk_mul_f32 v[132:133], v[134:135], v[122:123] op_sel:[0,1]
	s_delay_alu instid0(VALU_DEP_1) | instskip(SKIP_1) | instid1(VALU_DEP_1)
	v_pk_fma_f32 v[136:137], v[134:135], v[120:121], v[132:133] op_sel:[0,0,1] op_sel_hi:[1,1,0] neg_lo:[0,0,1] neg_hi:[0,0,1]
	v_pk_fma_f32 v[132:133], v[134:135], v[120:121], v[132:133] op_sel:[0,0,1] op_sel_hi:[1,0,0]
	v_mov_b32_e32 v137, v133
	ds_load_2addr_b64 v[132:135], v196 offset0:49 offset1:50
	v_pk_add_f32 v[188:189], v[188:189], v[138:139] neg_lo:[0,1] neg_hi:[0,1]
	v_pk_add_f32 v[212:213], v[212:213], v[136:137] neg_lo:[0,1] neg_hi:[0,1]
	s_wait_dscnt 0x0
	v_dual_mul_f32 v136, v133, v123 :: v_dual_mul_f32 v138, v133, v120
	s_delay_alu instid0(VALU_DEP_1) | instskip(NEXT) | instid1(VALU_DEP_2)
	v_pk_fma_f32 v[136:137], v[132:133], v[178:179], v[136:137] op_sel_hi:[1,1,0] neg_lo:[0,0,1] neg_hi:[0,0,1]
	v_pk_fma_f32 v[132:133], v[132:133], v[178:179], v[138:139] op_sel:[1,0,0] op_sel_hi:[0,1,0]
	s_delay_alu instid0(VALU_DEP_1) | instskip(SKIP_1) | instid1(VALU_DEP_2)
	v_mov_b32_e32 v137, v133
	v_pk_mul_f32 v[132:133], v[134:135], v[122:123] op_sel:[0,1]
	v_pk_add_f32 v[208:209], v[208:209], v[136:137] neg_lo:[0,1] neg_hi:[0,1]
	s_delay_alu instid0(VALU_DEP_2) | instskip(SKIP_1) | instid1(VALU_DEP_1)
	v_pk_fma_f32 v[136:137], v[134:135], v[120:121], v[132:133] op_sel:[0,0,1] op_sel_hi:[1,1,0] neg_lo:[0,0,1] neg_hi:[0,0,1]
	v_pk_fma_f32 v[132:133], v[134:135], v[120:121], v[132:133] op_sel:[0,0,1] op_sel_hi:[1,0,0]
	v_mov_b32_e32 v137, v133
	ds_load_2addr_b64 v[132:135], v196 offset0:51 offset1:52
	v_pk_add_f32 v[210:211], v[210:211], v[136:137] neg_lo:[0,1] neg_hi:[0,1]
	s_wait_dscnt 0x0
	v_pk_mul_f32 v[136:137], v[132:133], v[122:123] op_sel:[0,1]
	s_delay_alu instid0(VALU_DEP_1) | instskip(SKIP_1) | instid1(VALU_DEP_1)
	v_pk_fma_f32 v[138:139], v[132:133], v[120:121], v[136:137] op_sel:[0,0,1] op_sel_hi:[1,1,0] neg_lo:[0,0,1] neg_hi:[0,0,1]
	v_pk_fma_f32 v[132:133], v[132:133], v[120:121], v[136:137] op_sel:[0,0,1] op_sel_hi:[1,0,0]
	v_mov_b32_e32 v139, v133
	v_pk_mul_f32 v[132:133], v[134:135], v[122:123] op_sel:[0,1]
	s_delay_alu instid0(VALU_DEP_2) | instskip(NEXT) | instid1(VALU_DEP_2)
	v_pk_add_f32 v[206:207], v[206:207], v[138:139] neg_lo:[0,1] neg_hi:[0,1]
	v_pk_fma_f32 v[136:137], v[134:135], v[120:121], v[132:133] op_sel:[0,0,1] op_sel_hi:[1,1,0] neg_lo:[0,0,1] neg_hi:[0,0,1]
	v_pk_fma_f32 v[132:133], v[134:135], v[120:121], v[132:133] op_sel:[0,0,1] op_sel_hi:[1,0,0]
	s_delay_alu instid0(VALU_DEP_1) | instskip(SKIP_4) | instid1(VALU_DEP_1)
	v_mov_b32_e32 v137, v133
	ds_load_2addr_b64 v[132:135], v196 offset0:53 offset1:54
	v_pk_add_f32 v[228:229], v[228:229], v[136:137] neg_lo:[0,1] neg_hi:[0,1]
	s_wait_dscnt 0x0
	v_pk_mul_f32 v[136:137], v[132:133], v[122:123] op_sel:[0,1]
	v_pk_fma_f32 v[138:139], v[132:133], v[120:121], v[136:137] op_sel:[0,0,1] op_sel_hi:[1,1,0] neg_lo:[0,0,1] neg_hi:[0,0,1]
	v_pk_fma_f32 v[132:133], v[132:133], v[120:121], v[136:137] op_sel:[0,0,1] op_sel_hi:[1,0,0]
	v_dual_mul_f32 v136, v135, v123 :: v_dual_mov_b32 v132, v135
	s_delay_alu instid0(VALU_DEP_2) | instskip(NEXT) | instid1(VALU_DEP_2)
	v_dual_mov_b32 v139, v133 :: v_dual_mov_b32 v133, v134
	v_pk_fma_f32 v[136:137], v[134:135], v[178:179], v[136:137] op_sel_hi:[1,1,0] neg_lo:[0,0,1] neg_hi:[0,0,1]
	v_mul_f32_e32 v134, v135, v120
	s_delay_alu instid0(VALU_DEP_3) | instskip(NEXT) | instid1(VALU_DEP_2)
	v_pk_add_f32 v[224:225], v[224:225], v[138:139] neg_lo:[0,1] neg_hi:[0,1]
	v_pk_fma_f32 v[132:133], v[132:133], v[178:179], v[134:135] op_sel_hi:[1,1,0]
	s_delay_alu instid0(VALU_DEP_1) | instskip(SKIP_4) | instid1(VALU_DEP_1)
	v_mov_b32_e32 v137, v133
	ds_load_2addr_b64 v[132:135], v196 offset0:55 offset1:56
	v_pk_add_f32 v[226:227], v[226:227], v[136:137] neg_lo:[0,1] neg_hi:[0,1]
	s_wait_dscnt 0x0
	v_pk_mul_f32 v[136:137], v[132:133], v[122:123] op_sel:[0,1]
	v_pk_fma_f32 v[138:139], v[132:133], v[120:121], v[136:137] op_sel:[0,0,1] op_sel_hi:[1,1,0] neg_lo:[0,0,1] neg_hi:[0,0,1]
	v_pk_fma_f32 v[132:133], v[132:133], v[120:121], v[136:137] op_sel:[0,0,1] op_sel_hi:[1,0,0]
	s_delay_alu instid0(VALU_DEP_1) | instskip(SKIP_1) | instid1(VALU_DEP_1)
	v_mov_b32_e32 v139, v133
	v_pk_mul_f32 v[132:133], v[134:135], v[122:123] op_sel:[0,1]
	v_pk_fma_f32 v[136:137], v[134:135], v[120:121], v[132:133] op_sel:[0,0,1] op_sel_hi:[1,1,0] neg_lo:[0,0,1] neg_hi:[0,0,1]
	v_pk_fma_f32 v[132:133], v[134:135], v[120:121], v[132:133] op_sel:[0,0,1] op_sel_hi:[1,0,0]
	s_delay_alu instid0(VALU_DEP_1)
	v_mov_b32_e32 v137, v133
	ds_load_b64 v[132:133], v196 offset:456
	v_pk_add_f32 v[222:223], v[222:223], v[138:139] neg_lo:[0,1] neg_hi:[0,1]
	v_pk_add_f32 v[230:231], v[230:231], v[136:137] neg_lo:[0,1] neg_hi:[0,1]
	s_wait_dscnt 0x0
	v_pk_mul_f32 v[122:123], v[132:133], v[122:123] op_sel:[0,1]
	s_delay_alu instid0(VALU_DEP_1) | instskip(SKIP_1) | instid1(VALU_DEP_1)
	v_pk_fma_f32 v[134:135], v[132:133], v[120:121], v[122:123] op_sel:[0,0,1] op_sel_hi:[1,1,0] neg_lo:[0,0,1] neg_hi:[0,0,1]
	v_pk_fma_f32 v[120:121], v[132:133], v[120:121], v[122:123] op_sel:[0,0,1] op_sel_hi:[1,0,0]
	v_mov_b32_e32 v135, v121
	s_delay_alu instid0(VALU_DEP_1)
	v_pk_add_f32 v[232:233], v[232:233], v[134:135] neg_lo:[0,1] neg_hi:[0,1]
.LBB115_370:
	s_or_b32 exec_lo, exec_lo, s1
	s_delay_alu instid0(SALU_CYCLE_1)
	s_mov_b32 s2, exec_lo
	s_wait_dscnt 0x0
	s_barrier_signal -1
	s_barrier_wait -1
	v_cmpx_eq_u32_e32 41, v186
	s_cbranch_execz .LBB115_377
; %bb.371:
	v_dual_mov_b32 v120, v176 :: v_dual_mov_b32 v121, v177
	v_dual_mov_b32 v122, v172 :: v_dual_mov_b32 v123, v173
	ds_store_b64 v187, v[174:175]
	ds_store_2addr_b64 v196, v[120:121], v[122:123] offset0:42 offset1:43
	v_dual_mov_b32 v120, v194 :: v_dual_mov_b32 v121, v195
	v_dual_mov_b32 v122, v190 :: v_dual_mov_b32 v123, v191
	ds_store_2addr_b64 v196, v[120:121], v[122:123] offset0:44 offset1:45
	v_dual_mov_b32 v120, v192 :: v_dual_mov_b32 v121, v193
	v_dual_mov_b32 v122, v188 :: v_dual_mov_b32 v123, v189
	;; [unrolled: 3-line block ×6, first 2 shown]
	ds_store_2addr_b64 v196, v[120:121], v[122:123] offset0:54 offset1:55
	v_dual_mov_b32 v120, v230 :: v_dual_mov_b32 v121, v231
	ds_store_2addr_b64 v196, v[120:121], v[232:233] offset0:56 offset1:57
	ds_load_b64 v[120:121], v187
	s_wait_dscnt 0x0
	v_cmp_neq_f32_e32 vcc_lo, 0, v120
	v_cmp_neq_f32_e64 s1, 0, v121
	s_or_b32 s1, vcc_lo, s1
	s_delay_alu instid0(SALU_CYCLE_1)
	s_and_b32 exec_lo, exec_lo, s1
	s_cbranch_execz .LBB115_377
; %bb.372:
	v_cmp_ngt_f32_e64 s1, |v120|, |v121|
                                        ; implicit-def: $vgpr122_vgpr123
	s_and_saveexec_b32 s4, s1
	s_delay_alu instid0(SALU_CYCLE_1)
	s_xor_b32 s1, exec_lo, s4
	s_cbranch_execz .LBB115_374
; %bb.373:
	v_div_scale_f32 v122, null, v121, v121, v120
	v_div_scale_f32 v133, vcc_lo, v120, v121, v120
	s_delay_alu instid0(VALU_DEP_2) | instskip(SKIP_1) | instid1(TRANS32_DEP_1)
	v_rcp_f32_e32 v123, v122
	v_nop
	v_fma_f32 v132, -v122, v123, 1.0
	s_delay_alu instid0(VALU_DEP_1) | instskip(NEXT) | instid1(VALU_DEP_1)
	v_fmac_f32_e32 v123, v132, v123
	v_mul_f32_e32 v132, v133, v123
	s_delay_alu instid0(VALU_DEP_1) | instskip(NEXT) | instid1(VALU_DEP_1)
	v_fma_f32 v134, -v122, v132, v133
	v_fmac_f32_e32 v132, v134, v123
	s_delay_alu instid0(VALU_DEP_1) | instskip(NEXT) | instid1(VALU_DEP_1)
	v_fma_f32 v122, -v122, v132, v133
	v_div_fmas_f32 v122, v122, v123, v132
	s_delay_alu instid0(VALU_DEP_1) | instskip(NEXT) | instid1(VALU_DEP_1)
	v_div_fixup_f32 v122, v122, v121, v120
	v_fmac_f32_e32 v121, v120, v122
	s_delay_alu instid0(VALU_DEP_1) | instskip(SKIP_1) | instid1(VALU_DEP_2)
	v_div_scale_f32 v120, null, v121, v121, 1.0
	v_div_scale_f32 v133, vcc_lo, 1.0, v121, 1.0
	v_rcp_f32_e32 v123, v120
	v_nop
	s_delay_alu instid0(TRANS32_DEP_1) | instskip(NEXT) | instid1(VALU_DEP_1)
	v_fma_f32 v132, -v120, v123, 1.0
	v_fmac_f32_e32 v123, v132, v123
	s_delay_alu instid0(VALU_DEP_1) | instskip(NEXT) | instid1(VALU_DEP_1)
	v_mul_f32_e32 v132, v133, v123
	v_fma_f32 v134, -v120, v132, v133
	s_delay_alu instid0(VALU_DEP_1) | instskip(NEXT) | instid1(VALU_DEP_1)
	v_fmac_f32_e32 v132, v134, v123
	v_fma_f32 v120, -v120, v132, v133
	s_delay_alu instid0(VALU_DEP_1) | instskip(NEXT) | instid1(VALU_DEP_1)
	v_div_fmas_f32 v120, v120, v123, v132
	v_div_fixup_f32 v120, v120, v121, 1.0
	s_delay_alu instid0(VALU_DEP_1)
	v_mul_f32_e32 v122, v122, v120
	v_xor_b32_e32 v123, 0x80000000, v120
                                        ; implicit-def: $vgpr120_vgpr121
.LBB115_374:
	s_and_not1_saveexec_b32 s1, s1
	s_cbranch_execz .LBB115_376
; %bb.375:
	v_div_scale_f32 v122, null, v120, v120, v121
	v_div_scale_f32 v133, vcc_lo, v121, v120, v121
	s_delay_alu instid0(VALU_DEP_2) | instskip(SKIP_1) | instid1(TRANS32_DEP_1)
	v_rcp_f32_e32 v123, v122
	v_nop
	v_fma_f32 v132, -v122, v123, 1.0
	s_delay_alu instid0(VALU_DEP_1) | instskip(NEXT) | instid1(VALU_DEP_1)
	v_fmac_f32_e32 v123, v132, v123
	v_mul_f32_e32 v132, v133, v123
	s_delay_alu instid0(VALU_DEP_1) | instskip(NEXT) | instid1(VALU_DEP_1)
	v_fma_f32 v134, -v122, v132, v133
	v_fmac_f32_e32 v132, v134, v123
	s_delay_alu instid0(VALU_DEP_1) | instskip(NEXT) | instid1(VALU_DEP_1)
	v_fma_f32 v122, -v122, v132, v133
	v_div_fmas_f32 v122, v122, v123, v132
	s_delay_alu instid0(VALU_DEP_1) | instskip(NEXT) | instid1(VALU_DEP_1)
	v_div_fixup_f32 v123, v122, v120, v121
	v_fmac_f32_e32 v120, v121, v123
	s_delay_alu instid0(VALU_DEP_1) | instskip(NEXT) | instid1(VALU_DEP_1)
	v_div_scale_f32 v121, null, v120, v120, 1.0
	v_rcp_f32_e32 v122, v121
	v_nop
	s_delay_alu instid0(TRANS32_DEP_1) | instskip(NEXT) | instid1(VALU_DEP_1)
	v_fma_f32 v132, -v121, v122, 1.0
	v_fmac_f32_e32 v122, v132, v122
	v_div_scale_f32 v132, vcc_lo, 1.0, v120, 1.0
	s_delay_alu instid0(VALU_DEP_1) | instskip(NEXT) | instid1(VALU_DEP_1)
	v_mul_f32_e32 v133, v132, v122
	v_fma_f32 v134, -v121, v133, v132
	s_delay_alu instid0(VALU_DEP_1) | instskip(NEXT) | instid1(VALU_DEP_1)
	v_fmac_f32_e32 v133, v134, v122
	v_fma_f32 v121, -v121, v133, v132
	s_delay_alu instid0(VALU_DEP_1) | instskip(NEXT) | instid1(VALU_DEP_1)
	v_div_fmas_f32 v121, v121, v122, v133
	v_div_fixup_f32 v122, v121, v120, 1.0
	s_delay_alu instid0(VALU_DEP_1)
	v_mul_f32_e64 v123, v123, -v122
.LBB115_376:
	s_or_b32 exec_lo, exec_lo, s1
	ds_store_b64 v187, v[122:123]
.LBB115_377:
	s_or_b32 exec_lo, exec_lo, s2
	s_wait_dscnt 0x0
	s_barrier_signal -1
	s_barrier_wait -1
	ds_load_b64 v[120:121], v187
	s_mov_b32 s1, exec_lo
	v_cmpx_lt_u32_e32 41, v186
	s_cbranch_execz .LBB115_379
; %bb.378:
	ds_load_2addr_b64 v[134:137], v196 offset0:42 offset1:43
	s_wait_dscnt 0x1
	v_pk_mul_f32 v[132:133], v[120:121], v[174:175] op_sel:[1,1] op_sel_hi:[0,1]
	s_delay_alu instid0(VALU_DEP_1) | instskip(SKIP_1) | instid1(VALU_DEP_1)
	v_pk_fma_f32 v[122:123], v[120:121], v[174:175], v[132:133] op_sel_hi:[1,0,1] neg_lo:[0,0,1] neg_hi:[0,0,1]
	v_pk_fma_f32 v[132:133], v[120:121], v[174:175], v[132:133] op_sel_hi:[1,0,1]
	v_dual_mov_b32 v174, v122 :: v_dual_mov_b32 v175, v133
	s_wait_dscnt 0x0
	s_delay_alu instid0(VALU_DEP_2) | instskip(NEXT) | instid1(VALU_DEP_1)
	v_pk_mul_f32 v[138:139], v[134:135], v[132:133] op_sel:[0,1]
	v_pk_fma_f32 v[148:149], v[134:135], v[122:123], v[138:139] op_sel:[0,0,1] op_sel_hi:[1,1,0] neg_lo:[0,0,1] neg_hi:[0,0,1]
	v_pk_fma_f32 v[134:135], v[134:135], v[122:123], v[138:139] op_sel:[0,0,1] op_sel_hi:[1,0,0]
	s_delay_alu instid0(VALU_DEP_1) | instskip(SKIP_1) | instid1(VALU_DEP_1)
	v_mov_b32_e32 v149, v135
	v_pk_mul_f32 v[134:135], v[136:137], v[132:133] op_sel:[0,1]
	v_pk_fma_f32 v[138:139], v[136:137], v[122:123], v[134:135] op_sel:[0,0,1] op_sel_hi:[1,1,0] neg_lo:[0,0,1] neg_hi:[0,0,1]
	v_pk_fma_f32 v[134:135], v[136:137], v[122:123], v[134:135] op_sel:[0,0,1] op_sel_hi:[1,0,0]
	s_delay_alu instid0(VALU_DEP_1)
	v_mov_b32_e32 v139, v135
	ds_load_2addr_b64 v[134:137], v196 offset0:44 offset1:45
	v_pk_add_f32 v[176:177], v[176:177], v[148:149] neg_lo:[0,1] neg_hi:[0,1]
	v_pk_add_f32 v[172:173], v[172:173], v[138:139] neg_lo:[0,1] neg_hi:[0,1]
	s_wait_dscnt 0x0
	v_pk_mul_f32 v[138:139], v[134:135], v[132:133] op_sel:[0,1]
	s_delay_alu instid0(VALU_DEP_1) | instskip(SKIP_2) | instid1(VALU_DEP_2)
	v_pk_fma_f32 v[148:149], v[134:135], v[122:123], v[138:139] op_sel:[0,0,1] op_sel_hi:[1,1,0] neg_lo:[0,0,1] neg_hi:[0,0,1]
	v_pk_fma_f32 v[134:135], v[134:135], v[122:123], v[138:139] op_sel:[0,0,1] op_sel_hi:[1,0,0]
	v_dual_mul_f32 v138, v137, v133 :: v_dual_mov_b32 v134, v137
	v_dual_mov_b32 v149, v135 :: v_dual_mov_b32 v135, v136
	s_delay_alu instid0(VALU_DEP_2) | instskip(SKIP_1) | instid1(VALU_DEP_3)
	v_pk_fma_f32 v[138:139], v[136:137], v[174:175], v[138:139] op_sel_hi:[1,1,0] neg_lo:[0,0,1] neg_hi:[0,0,1]
	v_mul_f32_e32 v136, v137, v122
	v_pk_add_f32 v[194:195], v[194:195], v[148:149] neg_lo:[0,1] neg_hi:[0,1]
	s_delay_alu instid0(VALU_DEP_2) | instskip(NEXT) | instid1(VALU_DEP_1)
	v_pk_fma_f32 v[134:135], v[134:135], v[174:175], v[136:137] op_sel_hi:[1,1,0]
	v_mov_b32_e32 v139, v135
	ds_load_2addr_b64 v[134:137], v196 offset0:46 offset1:47
	v_pk_add_f32 v[190:191], v[190:191], v[138:139] neg_lo:[0,1] neg_hi:[0,1]
	s_wait_dscnt 0x0
	v_pk_mul_f32 v[138:139], v[134:135], v[132:133] op_sel:[0,1]
	s_delay_alu instid0(VALU_DEP_1) | instskip(SKIP_1) | instid1(VALU_DEP_1)
	v_pk_fma_f32 v[148:149], v[134:135], v[122:123], v[138:139] op_sel:[0,0,1] op_sel_hi:[1,1,0] neg_lo:[0,0,1] neg_hi:[0,0,1]
	v_pk_fma_f32 v[134:135], v[134:135], v[122:123], v[138:139] op_sel:[0,0,1] op_sel_hi:[1,0,0]
	v_mov_b32_e32 v149, v135
	v_pk_mul_f32 v[134:135], v[136:137], v[132:133] op_sel:[0,1]
	s_delay_alu instid0(VALU_DEP_1) | instskip(SKIP_1) | instid1(VALU_DEP_1)
	v_pk_fma_f32 v[138:139], v[136:137], v[122:123], v[134:135] op_sel:[0,0,1] op_sel_hi:[1,1,0] neg_lo:[0,0,1] neg_hi:[0,0,1]
	v_pk_fma_f32 v[134:135], v[136:137], v[122:123], v[134:135] op_sel:[0,0,1] op_sel_hi:[1,0,0]
	v_mov_b32_e32 v139, v135
	ds_load_2addr_b64 v[134:137], v196 offset0:48 offset1:49
	v_pk_add_f32 v[192:193], v[192:193], v[148:149] neg_lo:[0,1] neg_hi:[0,1]
	v_pk_add_f32 v[188:189], v[188:189], v[138:139] neg_lo:[0,1] neg_hi:[0,1]
	s_wait_dscnt 0x0
	v_pk_mul_f32 v[138:139], v[134:135], v[132:133] op_sel:[0,1]
	s_delay_alu instid0(VALU_DEP_1) | instskip(SKIP_1) | instid1(VALU_DEP_1)
	v_pk_fma_f32 v[148:149], v[134:135], v[122:123], v[138:139] op_sel:[0,0,1] op_sel_hi:[1,1,0] neg_lo:[0,0,1] neg_hi:[0,0,1]
	v_pk_fma_f32 v[134:135], v[134:135], v[122:123], v[138:139] op_sel:[0,0,1] op_sel_hi:[1,0,0]
	v_mov_b32_e32 v149, v135
	v_pk_mul_f32 v[134:135], v[136:137], v[132:133] op_sel:[0,1]
	s_delay_alu instid0(VALU_DEP_1) | instskip(SKIP_1) | instid1(VALU_DEP_1)
	v_pk_fma_f32 v[138:139], v[136:137], v[122:123], v[134:135] op_sel:[0,0,1] op_sel_hi:[1,1,0] neg_lo:[0,0,1] neg_hi:[0,0,1]
	v_pk_fma_f32 v[134:135], v[136:137], v[122:123], v[134:135] op_sel:[0,0,1] op_sel_hi:[1,0,0]
	v_mov_b32_e32 v139, v135
	ds_load_2addr_b64 v[134:137], v196 offset0:50 offset1:51
	v_pk_add_f32 v[212:213], v[212:213], v[148:149] neg_lo:[0,1] neg_hi:[0,1]
	v_pk_add_f32 v[208:209], v[208:209], v[138:139] neg_lo:[0,1] neg_hi:[0,1]
	s_wait_dscnt 0x0
	v_dual_mul_f32 v138, v135, v133 :: v_dual_mul_f32 v148, v135, v122
	s_delay_alu instid0(VALU_DEP_1) | instskip(NEXT) | instid1(VALU_DEP_2)
	v_pk_fma_f32 v[138:139], v[134:135], v[174:175], v[138:139] op_sel_hi:[1,1,0] neg_lo:[0,0,1] neg_hi:[0,0,1]
	v_pk_fma_f32 v[134:135], v[134:135], v[174:175], v[148:149] op_sel:[1,0,0] op_sel_hi:[0,1,0]
	s_delay_alu instid0(VALU_DEP_1) | instskip(SKIP_1) | instid1(VALU_DEP_2)
	v_mov_b32_e32 v139, v135
	v_pk_mul_f32 v[134:135], v[136:137], v[132:133] op_sel:[0,1]
	v_pk_add_f32 v[210:211], v[210:211], v[138:139] neg_lo:[0,1] neg_hi:[0,1]
	s_delay_alu instid0(VALU_DEP_2) | instskip(SKIP_1) | instid1(VALU_DEP_1)
	v_pk_fma_f32 v[138:139], v[136:137], v[122:123], v[134:135] op_sel:[0,0,1] op_sel_hi:[1,1,0] neg_lo:[0,0,1] neg_hi:[0,0,1]
	v_pk_fma_f32 v[134:135], v[136:137], v[122:123], v[134:135] op_sel:[0,0,1] op_sel_hi:[1,0,0]
	v_mov_b32_e32 v139, v135
	ds_load_2addr_b64 v[134:137], v196 offset0:52 offset1:53
	v_pk_add_f32 v[206:207], v[206:207], v[138:139] neg_lo:[0,1] neg_hi:[0,1]
	s_wait_dscnt 0x0
	v_pk_mul_f32 v[138:139], v[134:135], v[132:133] op_sel:[0,1]
	s_delay_alu instid0(VALU_DEP_1) | instskip(SKIP_1) | instid1(VALU_DEP_1)
	v_pk_fma_f32 v[148:149], v[134:135], v[122:123], v[138:139] op_sel:[0,0,1] op_sel_hi:[1,1,0] neg_lo:[0,0,1] neg_hi:[0,0,1]
	v_pk_fma_f32 v[134:135], v[134:135], v[122:123], v[138:139] op_sel:[0,0,1] op_sel_hi:[1,0,0]
	v_mov_b32_e32 v149, v135
	v_pk_mul_f32 v[134:135], v[136:137], v[132:133] op_sel:[0,1]
	s_delay_alu instid0(VALU_DEP_2) | instskip(NEXT) | instid1(VALU_DEP_2)
	v_pk_add_f32 v[228:229], v[228:229], v[148:149] neg_lo:[0,1] neg_hi:[0,1]
	v_pk_fma_f32 v[138:139], v[136:137], v[122:123], v[134:135] op_sel:[0,0,1] op_sel_hi:[1,1,0] neg_lo:[0,0,1] neg_hi:[0,0,1]
	v_pk_fma_f32 v[134:135], v[136:137], v[122:123], v[134:135] op_sel:[0,0,1] op_sel_hi:[1,0,0]
	s_delay_alu instid0(VALU_DEP_1) | instskip(SKIP_4) | instid1(VALU_DEP_1)
	v_mov_b32_e32 v139, v135
	ds_load_2addr_b64 v[134:137], v196 offset0:54 offset1:55
	v_pk_add_f32 v[224:225], v[224:225], v[138:139] neg_lo:[0,1] neg_hi:[0,1]
	s_wait_dscnt 0x0
	v_pk_mul_f32 v[138:139], v[134:135], v[132:133] op_sel:[0,1]
	v_pk_fma_f32 v[148:149], v[134:135], v[122:123], v[138:139] op_sel:[0,0,1] op_sel_hi:[1,1,0] neg_lo:[0,0,1] neg_hi:[0,0,1]
	v_pk_fma_f32 v[134:135], v[134:135], v[122:123], v[138:139] op_sel:[0,0,1] op_sel_hi:[1,0,0]
	v_dual_mul_f32 v138, v137, v133 :: v_dual_mov_b32 v134, v137
	s_delay_alu instid0(VALU_DEP_2) | instskip(NEXT) | instid1(VALU_DEP_2)
	v_dual_mov_b32 v149, v135 :: v_dual_mov_b32 v135, v136
	v_pk_fma_f32 v[138:139], v[136:137], v[174:175], v[138:139] op_sel_hi:[1,1,0] neg_lo:[0,0,1] neg_hi:[0,0,1]
	v_mul_f32_e32 v136, v137, v122
	s_delay_alu instid0(VALU_DEP_3) | instskip(NEXT) | instid1(VALU_DEP_2)
	v_pk_add_f32 v[226:227], v[226:227], v[148:149] neg_lo:[0,1] neg_hi:[0,1]
	v_pk_fma_f32 v[134:135], v[134:135], v[174:175], v[136:137] op_sel_hi:[1,1,0]
	s_delay_alu instid0(VALU_DEP_1)
	v_mov_b32_e32 v139, v135
	ds_load_2addr_b64 v[134:137], v196 offset0:56 offset1:57
	v_pk_add_f32 v[222:223], v[222:223], v[138:139] neg_lo:[0,1] neg_hi:[0,1]
	s_wait_dscnt 0x0
	v_pk_mul_f32 v[138:139], v[134:135], v[132:133] op_sel:[0,1]
	v_pk_mul_f32 v[132:133], v[136:137], v[132:133] op_sel:[0,1]
	s_delay_alu instid0(VALU_DEP_2) | instskip(SKIP_1) | instid1(VALU_DEP_1)
	v_pk_fma_f32 v[148:149], v[134:135], v[122:123], v[138:139] op_sel:[0,0,1] op_sel_hi:[1,1,0] neg_lo:[0,0,1] neg_hi:[0,0,1]
	v_pk_fma_f32 v[134:135], v[134:135], v[122:123], v[138:139] op_sel:[0,0,1] op_sel_hi:[1,0,0]
	v_mov_b32_e32 v149, v135
	s_delay_alu instid0(VALU_DEP_4) | instskip(SKIP_1) | instid1(VALU_DEP_1)
	v_pk_fma_f32 v[134:135], v[136:137], v[122:123], v[132:133] op_sel:[0,0,1] op_sel_hi:[1,1,0] neg_lo:[0,0,1] neg_hi:[0,0,1]
	v_pk_fma_f32 v[122:123], v[136:137], v[122:123], v[132:133] op_sel:[0,0,1] op_sel_hi:[1,0,0]
	v_mov_b32_e32 v135, v123
	s_delay_alu instid0(VALU_DEP_4) | instskip(NEXT) | instid1(VALU_DEP_2)
	v_pk_add_f32 v[230:231], v[230:231], v[148:149] neg_lo:[0,1] neg_hi:[0,1]
	v_pk_add_f32 v[232:233], v[232:233], v[134:135] neg_lo:[0,1] neg_hi:[0,1]
.LBB115_379:
	s_or_b32 exec_lo, exec_lo, s1
	s_delay_alu instid0(SALU_CYCLE_1)
	s_mov_b32 s2, exec_lo
	s_wait_dscnt 0x0
	s_barrier_signal -1
	s_barrier_wait -1
	v_cmpx_eq_u32_e32 42, v186
	s_cbranch_execz .LBB115_386
; %bb.380:
	ds_store_b64 v187, v[176:177]
	ds_store_2addr_b64 v196, v[172:173], v[194:195] offset0:43 offset1:44
	ds_store_2addr_b64 v196, v[190:191], v[192:193] offset0:45 offset1:46
	;; [unrolled: 1-line block ×7, first 2 shown]
	ds_store_b64 v196, v[232:233] offset:456
	ds_load_b64 v[122:123], v187
	s_wait_dscnt 0x0
	v_cmp_neq_f32_e32 vcc_lo, 0, v122
	v_cmp_neq_f32_e64 s1, 0, v123
	s_or_b32 s1, vcc_lo, s1
	s_delay_alu instid0(SALU_CYCLE_1)
	s_and_b32 exec_lo, exec_lo, s1
	s_cbranch_execz .LBB115_386
; %bb.381:
	v_cmp_ngt_f32_e64 s1, |v122|, |v123|
                                        ; implicit-def: $vgpr132_vgpr133
	s_and_saveexec_b32 s4, s1
	s_delay_alu instid0(SALU_CYCLE_1)
	s_xor_b32 s1, exec_lo, s4
	s_cbranch_execz .LBB115_383
; %bb.382:
	v_div_scale_f32 v132, null, v123, v123, v122
	v_div_scale_f32 v135, vcc_lo, v122, v123, v122
	s_delay_alu instid0(VALU_DEP_2) | instskip(SKIP_1) | instid1(TRANS32_DEP_1)
	v_rcp_f32_e32 v133, v132
	v_nop
	v_fma_f32 v134, -v132, v133, 1.0
	s_delay_alu instid0(VALU_DEP_1) | instskip(NEXT) | instid1(VALU_DEP_1)
	v_fmac_f32_e32 v133, v134, v133
	v_mul_f32_e32 v134, v135, v133
	s_delay_alu instid0(VALU_DEP_1) | instskip(NEXT) | instid1(VALU_DEP_1)
	v_fma_f32 v136, -v132, v134, v135
	v_fmac_f32_e32 v134, v136, v133
	s_delay_alu instid0(VALU_DEP_1) | instskip(NEXT) | instid1(VALU_DEP_1)
	v_fma_f32 v132, -v132, v134, v135
	v_div_fmas_f32 v132, v132, v133, v134
	s_delay_alu instid0(VALU_DEP_1) | instskip(NEXT) | instid1(VALU_DEP_1)
	v_div_fixup_f32 v132, v132, v123, v122
	v_fmac_f32_e32 v123, v122, v132
	s_delay_alu instid0(VALU_DEP_1) | instskip(SKIP_1) | instid1(VALU_DEP_2)
	v_div_scale_f32 v122, null, v123, v123, 1.0
	v_div_scale_f32 v135, vcc_lo, 1.0, v123, 1.0
	v_rcp_f32_e32 v133, v122
	v_nop
	s_delay_alu instid0(TRANS32_DEP_1) | instskip(NEXT) | instid1(VALU_DEP_1)
	v_fma_f32 v134, -v122, v133, 1.0
	v_fmac_f32_e32 v133, v134, v133
	s_delay_alu instid0(VALU_DEP_1) | instskip(NEXT) | instid1(VALU_DEP_1)
	v_mul_f32_e32 v134, v135, v133
	v_fma_f32 v136, -v122, v134, v135
	s_delay_alu instid0(VALU_DEP_1) | instskip(NEXT) | instid1(VALU_DEP_1)
	v_fmac_f32_e32 v134, v136, v133
	v_fma_f32 v122, -v122, v134, v135
	s_delay_alu instid0(VALU_DEP_1) | instskip(NEXT) | instid1(VALU_DEP_1)
	v_div_fmas_f32 v122, v122, v133, v134
	v_div_fixup_f32 v122, v122, v123, 1.0
	s_delay_alu instid0(VALU_DEP_1)
	v_mul_f32_e32 v132, v132, v122
	v_xor_b32_e32 v133, 0x80000000, v122
                                        ; implicit-def: $vgpr122_vgpr123
.LBB115_383:
	s_and_not1_saveexec_b32 s1, s1
	s_cbranch_execz .LBB115_385
; %bb.384:
	v_div_scale_f32 v132, null, v122, v122, v123
	v_div_scale_f32 v135, vcc_lo, v123, v122, v123
	s_delay_alu instid0(VALU_DEP_2) | instskip(SKIP_1) | instid1(TRANS32_DEP_1)
	v_rcp_f32_e32 v133, v132
	v_nop
	v_fma_f32 v134, -v132, v133, 1.0
	s_delay_alu instid0(VALU_DEP_1) | instskip(NEXT) | instid1(VALU_DEP_1)
	v_fmac_f32_e32 v133, v134, v133
	v_mul_f32_e32 v134, v135, v133
	s_delay_alu instid0(VALU_DEP_1) | instskip(NEXT) | instid1(VALU_DEP_1)
	v_fma_f32 v136, -v132, v134, v135
	v_fmac_f32_e32 v134, v136, v133
	s_delay_alu instid0(VALU_DEP_1) | instskip(NEXT) | instid1(VALU_DEP_1)
	v_fma_f32 v132, -v132, v134, v135
	v_div_fmas_f32 v132, v132, v133, v134
	s_delay_alu instid0(VALU_DEP_1) | instskip(NEXT) | instid1(VALU_DEP_1)
	v_div_fixup_f32 v133, v132, v122, v123
	v_fmac_f32_e32 v122, v123, v133
	s_delay_alu instid0(VALU_DEP_1) | instskip(NEXT) | instid1(VALU_DEP_1)
	v_div_scale_f32 v123, null, v122, v122, 1.0
	v_rcp_f32_e32 v132, v123
	v_nop
	s_delay_alu instid0(TRANS32_DEP_1) | instskip(NEXT) | instid1(VALU_DEP_1)
	v_fma_f32 v134, -v123, v132, 1.0
	v_fmac_f32_e32 v132, v134, v132
	v_div_scale_f32 v134, vcc_lo, 1.0, v122, 1.0
	s_delay_alu instid0(VALU_DEP_1) | instskip(NEXT) | instid1(VALU_DEP_1)
	v_mul_f32_e32 v135, v134, v132
	v_fma_f32 v136, -v123, v135, v134
	s_delay_alu instid0(VALU_DEP_1) | instskip(NEXT) | instid1(VALU_DEP_1)
	v_fmac_f32_e32 v135, v136, v132
	v_fma_f32 v123, -v123, v135, v134
	s_delay_alu instid0(VALU_DEP_1) | instskip(NEXT) | instid1(VALU_DEP_1)
	v_div_fmas_f32 v123, v123, v132, v135
	v_div_fixup_f32 v132, v123, v122, 1.0
	s_delay_alu instid0(VALU_DEP_1)
	v_mul_f32_e64 v133, v133, -v132
.LBB115_385:
	s_or_b32 exec_lo, exec_lo, s1
	ds_store_b64 v187, v[132:133]
.LBB115_386:
	s_or_b32 exec_lo, exec_lo, s2
	s_wait_dscnt 0x0
	s_barrier_signal -1
	s_barrier_wait -1
	ds_load_b64 v[122:123], v187
	s_mov_b32 s1, exec_lo
	v_cmpx_lt_u32_e32 42, v186
	s_cbranch_execz .LBB115_388
; %bb.387:
	ds_load_2addr_b64 v[136:139], v196 offset0:43 offset1:44
	s_wait_dscnt 0x1
	v_pk_mul_f32 v[134:135], v[122:123], v[176:177] op_sel:[1,1] op_sel_hi:[0,1]
	s_delay_alu instid0(VALU_DEP_1) | instskip(SKIP_1) | instid1(VALU_DEP_1)
	v_pk_fma_f32 v[132:133], v[122:123], v[176:177], v[134:135] op_sel_hi:[1,0,1] neg_lo:[0,0,1] neg_hi:[0,0,1]
	v_pk_fma_f32 v[134:135], v[122:123], v[176:177], v[134:135] op_sel_hi:[1,0,1]
	v_dual_mov_b32 v176, v132 :: v_dual_mov_b32 v177, v135
	s_wait_dscnt 0x0
	s_delay_alu instid0(VALU_DEP_2) | instskip(NEXT) | instid1(VALU_DEP_1)
	v_pk_mul_f32 v[148:149], v[136:137], v[134:135] op_sel:[0,1]
	v_pk_fma_f32 v[150:151], v[136:137], v[132:133], v[148:149] op_sel:[0,0,1] op_sel_hi:[1,1,0] neg_lo:[0,0,1] neg_hi:[0,0,1]
	v_pk_fma_f32 v[136:137], v[136:137], v[132:133], v[148:149] op_sel:[0,0,1] op_sel_hi:[1,0,0]
	s_delay_alu instid0(VALU_DEP_1) | instskip(SKIP_1) | instid1(VALU_DEP_1)
	v_mov_b32_e32 v151, v137
	v_pk_mul_f32 v[136:137], v[138:139], v[134:135] op_sel:[0,1]
	v_pk_fma_f32 v[148:149], v[138:139], v[132:133], v[136:137] op_sel:[0,0,1] op_sel_hi:[1,1,0] neg_lo:[0,0,1] neg_hi:[0,0,1]
	v_pk_fma_f32 v[136:137], v[138:139], v[132:133], v[136:137] op_sel:[0,0,1] op_sel_hi:[1,0,0]
	s_delay_alu instid0(VALU_DEP_1)
	v_mov_b32_e32 v149, v137
	ds_load_2addr_b64 v[136:139], v196 offset0:45 offset1:46
	v_pk_add_f32 v[172:173], v[172:173], v[150:151] neg_lo:[0,1] neg_hi:[0,1]
	v_pk_add_f32 v[194:195], v[194:195], v[148:149] neg_lo:[0,1] neg_hi:[0,1]
	s_wait_dscnt 0x0
	v_pk_mul_f32 v[148:149], v[136:137], v[134:135] op_sel:[0,1]
	s_delay_alu instid0(VALU_DEP_1) | instskip(SKIP_2) | instid1(VALU_DEP_2)
	v_pk_fma_f32 v[150:151], v[136:137], v[132:133], v[148:149] op_sel:[0,0,1] op_sel_hi:[1,1,0] neg_lo:[0,0,1] neg_hi:[0,0,1]
	v_pk_fma_f32 v[136:137], v[136:137], v[132:133], v[148:149] op_sel:[0,0,1] op_sel_hi:[1,0,0]
	v_dual_mul_f32 v148, v139, v135 :: v_dual_mov_b32 v136, v139
	v_dual_mov_b32 v151, v137 :: v_dual_mov_b32 v137, v138
	s_delay_alu instid0(VALU_DEP_2) | instskip(SKIP_1) | instid1(VALU_DEP_3)
	v_pk_fma_f32 v[148:149], v[138:139], v[176:177], v[148:149] op_sel_hi:[1,1,0] neg_lo:[0,0,1] neg_hi:[0,0,1]
	v_mul_f32_e32 v138, v139, v132
	v_pk_add_f32 v[190:191], v[190:191], v[150:151] neg_lo:[0,1] neg_hi:[0,1]
	s_delay_alu instid0(VALU_DEP_2) | instskip(NEXT) | instid1(VALU_DEP_1)
	v_pk_fma_f32 v[136:137], v[136:137], v[176:177], v[138:139] op_sel_hi:[1,1,0]
	v_mov_b32_e32 v149, v137
	ds_load_2addr_b64 v[136:139], v196 offset0:47 offset1:48
	v_pk_add_f32 v[192:193], v[192:193], v[148:149] neg_lo:[0,1] neg_hi:[0,1]
	s_wait_dscnt 0x0
	v_pk_mul_f32 v[148:149], v[136:137], v[134:135] op_sel:[0,1]
	s_delay_alu instid0(VALU_DEP_1) | instskip(SKIP_1) | instid1(VALU_DEP_1)
	v_pk_fma_f32 v[150:151], v[136:137], v[132:133], v[148:149] op_sel:[0,0,1] op_sel_hi:[1,1,0] neg_lo:[0,0,1] neg_hi:[0,0,1]
	v_pk_fma_f32 v[136:137], v[136:137], v[132:133], v[148:149] op_sel:[0,0,1] op_sel_hi:[1,0,0]
	v_mov_b32_e32 v151, v137
	v_pk_mul_f32 v[136:137], v[138:139], v[134:135] op_sel:[0,1]
	s_delay_alu instid0(VALU_DEP_1) | instskip(SKIP_1) | instid1(VALU_DEP_1)
	v_pk_fma_f32 v[148:149], v[138:139], v[132:133], v[136:137] op_sel:[0,0,1] op_sel_hi:[1,1,0] neg_lo:[0,0,1] neg_hi:[0,0,1]
	v_pk_fma_f32 v[136:137], v[138:139], v[132:133], v[136:137] op_sel:[0,0,1] op_sel_hi:[1,0,0]
	v_mov_b32_e32 v149, v137
	ds_load_2addr_b64 v[136:139], v196 offset0:49 offset1:50
	v_pk_add_f32 v[188:189], v[188:189], v[150:151] neg_lo:[0,1] neg_hi:[0,1]
	v_pk_add_f32 v[212:213], v[212:213], v[148:149] neg_lo:[0,1] neg_hi:[0,1]
	s_wait_dscnt 0x0
	v_pk_mul_f32 v[148:149], v[136:137], v[134:135] op_sel:[0,1]
	s_delay_alu instid0(VALU_DEP_1) | instskip(SKIP_1) | instid1(VALU_DEP_1)
	v_pk_fma_f32 v[150:151], v[136:137], v[132:133], v[148:149] op_sel:[0,0,1] op_sel_hi:[1,1,0] neg_lo:[0,0,1] neg_hi:[0,0,1]
	v_pk_fma_f32 v[136:137], v[136:137], v[132:133], v[148:149] op_sel:[0,0,1] op_sel_hi:[1,0,0]
	v_mov_b32_e32 v151, v137
	v_pk_mul_f32 v[136:137], v[138:139], v[134:135] op_sel:[0,1]
	s_delay_alu instid0(VALU_DEP_1) | instskip(SKIP_1) | instid1(VALU_DEP_1)
	v_pk_fma_f32 v[148:149], v[138:139], v[132:133], v[136:137] op_sel:[0,0,1] op_sel_hi:[1,1,0] neg_lo:[0,0,1] neg_hi:[0,0,1]
	v_pk_fma_f32 v[136:137], v[138:139], v[132:133], v[136:137] op_sel:[0,0,1] op_sel_hi:[1,0,0]
	v_mov_b32_e32 v149, v137
	ds_load_2addr_b64 v[136:139], v196 offset0:51 offset1:52
	v_pk_add_f32 v[208:209], v[208:209], v[150:151] neg_lo:[0,1] neg_hi:[0,1]
	v_pk_add_f32 v[210:211], v[210:211], v[148:149] neg_lo:[0,1] neg_hi:[0,1]
	s_wait_dscnt 0x0
	v_dual_mul_f32 v148, v137, v135 :: v_dual_mul_f32 v150, v137, v132
	s_delay_alu instid0(VALU_DEP_1) | instskip(NEXT) | instid1(VALU_DEP_2)
	v_pk_fma_f32 v[148:149], v[136:137], v[176:177], v[148:149] op_sel_hi:[1,1,0] neg_lo:[0,0,1] neg_hi:[0,0,1]
	v_pk_fma_f32 v[136:137], v[136:137], v[176:177], v[150:151] op_sel:[1,0,0] op_sel_hi:[0,1,0]
	s_delay_alu instid0(VALU_DEP_1) | instskip(SKIP_1) | instid1(VALU_DEP_2)
	v_mov_b32_e32 v149, v137
	v_pk_mul_f32 v[136:137], v[138:139], v[134:135] op_sel:[0,1]
	v_pk_add_f32 v[206:207], v[206:207], v[148:149] neg_lo:[0,1] neg_hi:[0,1]
	s_delay_alu instid0(VALU_DEP_2) | instskip(SKIP_1) | instid1(VALU_DEP_1)
	v_pk_fma_f32 v[148:149], v[138:139], v[132:133], v[136:137] op_sel:[0,0,1] op_sel_hi:[1,1,0] neg_lo:[0,0,1] neg_hi:[0,0,1]
	v_pk_fma_f32 v[136:137], v[138:139], v[132:133], v[136:137] op_sel:[0,0,1] op_sel_hi:[1,0,0]
	v_mov_b32_e32 v149, v137
	ds_load_2addr_b64 v[136:139], v196 offset0:53 offset1:54
	v_pk_add_f32 v[228:229], v[228:229], v[148:149] neg_lo:[0,1] neg_hi:[0,1]
	s_wait_dscnt 0x0
	v_pk_mul_f32 v[148:149], v[136:137], v[134:135] op_sel:[0,1]
	s_delay_alu instid0(VALU_DEP_1) | instskip(SKIP_1) | instid1(VALU_DEP_1)
	v_pk_fma_f32 v[150:151], v[136:137], v[132:133], v[148:149] op_sel:[0,0,1] op_sel_hi:[1,1,0] neg_lo:[0,0,1] neg_hi:[0,0,1]
	v_pk_fma_f32 v[136:137], v[136:137], v[132:133], v[148:149] op_sel:[0,0,1] op_sel_hi:[1,0,0]
	v_mov_b32_e32 v151, v137
	v_pk_mul_f32 v[136:137], v[138:139], v[134:135] op_sel:[0,1]
	s_delay_alu instid0(VALU_DEP_2) | instskip(NEXT) | instid1(VALU_DEP_2)
	v_pk_add_f32 v[224:225], v[224:225], v[150:151] neg_lo:[0,1] neg_hi:[0,1]
	v_pk_fma_f32 v[148:149], v[138:139], v[132:133], v[136:137] op_sel:[0,0,1] op_sel_hi:[1,1,0] neg_lo:[0,0,1] neg_hi:[0,0,1]
	v_pk_fma_f32 v[136:137], v[138:139], v[132:133], v[136:137] op_sel:[0,0,1] op_sel_hi:[1,0,0]
	s_delay_alu instid0(VALU_DEP_1) | instskip(SKIP_4) | instid1(VALU_DEP_1)
	v_mov_b32_e32 v149, v137
	ds_load_2addr_b64 v[136:139], v196 offset0:55 offset1:56
	v_pk_add_f32 v[226:227], v[226:227], v[148:149] neg_lo:[0,1] neg_hi:[0,1]
	s_wait_dscnt 0x0
	v_pk_mul_f32 v[148:149], v[136:137], v[134:135] op_sel:[0,1]
	v_pk_fma_f32 v[150:151], v[136:137], v[132:133], v[148:149] op_sel:[0,0,1] op_sel_hi:[1,1,0] neg_lo:[0,0,1] neg_hi:[0,0,1]
	v_pk_fma_f32 v[136:137], v[136:137], v[132:133], v[148:149] op_sel:[0,0,1] op_sel_hi:[1,0,0]
	v_dual_mul_f32 v148, v139, v135 :: v_dual_mov_b32 v136, v139
	s_delay_alu instid0(VALU_DEP_2) | instskip(NEXT) | instid1(VALU_DEP_2)
	v_dual_mov_b32 v151, v137 :: v_dual_mov_b32 v137, v138
	v_pk_fma_f32 v[148:149], v[138:139], v[176:177], v[148:149] op_sel_hi:[1,1,0] neg_lo:[0,0,1] neg_hi:[0,0,1]
	v_mul_f32_e32 v138, v139, v132
	s_delay_alu instid0(VALU_DEP_3) | instskip(NEXT) | instid1(VALU_DEP_2)
	v_pk_add_f32 v[222:223], v[222:223], v[150:151] neg_lo:[0,1] neg_hi:[0,1]
	v_pk_fma_f32 v[136:137], v[136:137], v[176:177], v[138:139] op_sel_hi:[1,1,0]
	s_delay_alu instid0(VALU_DEP_1) | instskip(SKIP_4) | instid1(VALU_DEP_1)
	v_mov_b32_e32 v149, v137
	ds_load_b64 v[136:137], v196 offset:456
	v_pk_add_f32 v[230:231], v[230:231], v[148:149] neg_lo:[0,1] neg_hi:[0,1]
	s_wait_dscnt 0x0
	v_pk_mul_f32 v[134:135], v[136:137], v[134:135] op_sel:[0,1]
	v_pk_fma_f32 v[138:139], v[136:137], v[132:133], v[134:135] op_sel:[0,0,1] op_sel_hi:[1,1,0] neg_lo:[0,0,1] neg_hi:[0,0,1]
	v_pk_fma_f32 v[132:133], v[136:137], v[132:133], v[134:135] op_sel:[0,0,1] op_sel_hi:[1,0,0]
	s_delay_alu instid0(VALU_DEP_1) | instskip(NEXT) | instid1(VALU_DEP_1)
	v_mov_b32_e32 v139, v133
	v_pk_add_f32 v[232:233], v[232:233], v[138:139] neg_lo:[0,1] neg_hi:[0,1]
.LBB115_388:
	s_or_b32 exec_lo, exec_lo, s1
	s_delay_alu instid0(SALU_CYCLE_1)
	s_mov_b32 s2, exec_lo
	s_wait_dscnt 0x0
	s_barrier_signal -1
	s_barrier_wait -1
	v_cmpx_eq_u32_e32 43, v186
	s_cbranch_execz .LBB115_395
; %bb.389:
	v_dual_mov_b32 v132, v194 :: v_dual_mov_b32 v133, v195
	v_dual_mov_b32 v134, v190 :: v_dual_mov_b32 v135, v191
	ds_store_b64 v187, v[172:173]
	ds_store_2addr_b64 v196, v[132:133], v[134:135] offset0:44 offset1:45
	v_dual_mov_b32 v132, v192 :: v_dual_mov_b32 v133, v193
	v_dual_mov_b32 v134, v188 :: v_dual_mov_b32 v135, v189
	ds_store_2addr_b64 v196, v[132:133], v[134:135] offset0:46 offset1:47
	v_dual_mov_b32 v132, v212 :: v_dual_mov_b32 v133, v213
	v_dual_mov_b32 v134, v208 :: v_dual_mov_b32 v135, v209
	;; [unrolled: 3-line block ×5, first 2 shown]
	ds_store_2addr_b64 v196, v[132:133], v[134:135] offset0:54 offset1:55
	v_dual_mov_b32 v132, v230 :: v_dual_mov_b32 v133, v231
	ds_store_2addr_b64 v196, v[132:133], v[232:233] offset0:56 offset1:57
	ds_load_b64 v[132:133], v187
	s_wait_dscnt 0x0
	v_cmp_neq_f32_e32 vcc_lo, 0, v132
	v_cmp_neq_f32_e64 s1, 0, v133
	s_or_b32 s1, vcc_lo, s1
	s_delay_alu instid0(SALU_CYCLE_1)
	s_and_b32 exec_lo, exec_lo, s1
	s_cbranch_execz .LBB115_395
; %bb.390:
	v_cmp_ngt_f32_e64 s1, |v132|, |v133|
                                        ; implicit-def: $vgpr134_vgpr135
	s_and_saveexec_b32 s4, s1
	s_delay_alu instid0(SALU_CYCLE_1)
	s_xor_b32 s1, exec_lo, s4
	s_cbranch_execz .LBB115_392
; %bb.391:
	v_div_scale_f32 v134, null, v133, v133, v132
	v_div_scale_f32 v137, vcc_lo, v132, v133, v132
	s_delay_alu instid0(VALU_DEP_2) | instskip(SKIP_1) | instid1(TRANS32_DEP_1)
	v_rcp_f32_e32 v135, v134
	v_nop
	v_fma_f32 v136, -v134, v135, 1.0
	s_delay_alu instid0(VALU_DEP_1) | instskip(NEXT) | instid1(VALU_DEP_1)
	v_fmac_f32_e32 v135, v136, v135
	v_mul_f32_e32 v136, v137, v135
	s_delay_alu instid0(VALU_DEP_1) | instskip(NEXT) | instid1(VALU_DEP_1)
	v_fma_f32 v138, -v134, v136, v137
	v_fmac_f32_e32 v136, v138, v135
	s_delay_alu instid0(VALU_DEP_1) | instskip(NEXT) | instid1(VALU_DEP_1)
	v_fma_f32 v134, -v134, v136, v137
	v_div_fmas_f32 v134, v134, v135, v136
	s_delay_alu instid0(VALU_DEP_1) | instskip(NEXT) | instid1(VALU_DEP_1)
	v_div_fixup_f32 v134, v134, v133, v132
	v_fmac_f32_e32 v133, v132, v134
	s_delay_alu instid0(VALU_DEP_1) | instskip(SKIP_1) | instid1(VALU_DEP_2)
	v_div_scale_f32 v132, null, v133, v133, 1.0
	v_div_scale_f32 v137, vcc_lo, 1.0, v133, 1.0
	v_rcp_f32_e32 v135, v132
	v_nop
	s_delay_alu instid0(TRANS32_DEP_1) | instskip(NEXT) | instid1(VALU_DEP_1)
	v_fma_f32 v136, -v132, v135, 1.0
	v_fmac_f32_e32 v135, v136, v135
	s_delay_alu instid0(VALU_DEP_1) | instskip(NEXT) | instid1(VALU_DEP_1)
	v_mul_f32_e32 v136, v137, v135
	v_fma_f32 v138, -v132, v136, v137
	s_delay_alu instid0(VALU_DEP_1) | instskip(NEXT) | instid1(VALU_DEP_1)
	v_fmac_f32_e32 v136, v138, v135
	v_fma_f32 v132, -v132, v136, v137
	s_delay_alu instid0(VALU_DEP_1) | instskip(NEXT) | instid1(VALU_DEP_1)
	v_div_fmas_f32 v132, v132, v135, v136
	v_div_fixup_f32 v132, v132, v133, 1.0
	s_delay_alu instid0(VALU_DEP_1)
	v_mul_f32_e32 v134, v134, v132
	v_xor_b32_e32 v135, 0x80000000, v132
                                        ; implicit-def: $vgpr132_vgpr133
.LBB115_392:
	s_and_not1_saveexec_b32 s1, s1
	s_cbranch_execz .LBB115_394
; %bb.393:
	v_div_scale_f32 v134, null, v132, v132, v133
	v_div_scale_f32 v137, vcc_lo, v133, v132, v133
	s_delay_alu instid0(VALU_DEP_2) | instskip(SKIP_1) | instid1(TRANS32_DEP_1)
	v_rcp_f32_e32 v135, v134
	v_nop
	v_fma_f32 v136, -v134, v135, 1.0
	s_delay_alu instid0(VALU_DEP_1) | instskip(NEXT) | instid1(VALU_DEP_1)
	v_fmac_f32_e32 v135, v136, v135
	v_mul_f32_e32 v136, v137, v135
	s_delay_alu instid0(VALU_DEP_1) | instskip(NEXT) | instid1(VALU_DEP_1)
	v_fma_f32 v138, -v134, v136, v137
	v_fmac_f32_e32 v136, v138, v135
	s_delay_alu instid0(VALU_DEP_1) | instskip(NEXT) | instid1(VALU_DEP_1)
	v_fma_f32 v134, -v134, v136, v137
	v_div_fmas_f32 v134, v134, v135, v136
	s_delay_alu instid0(VALU_DEP_1) | instskip(NEXT) | instid1(VALU_DEP_1)
	v_div_fixup_f32 v135, v134, v132, v133
	v_fmac_f32_e32 v132, v133, v135
	s_delay_alu instid0(VALU_DEP_1) | instskip(NEXT) | instid1(VALU_DEP_1)
	v_div_scale_f32 v133, null, v132, v132, 1.0
	v_rcp_f32_e32 v134, v133
	v_nop
	s_delay_alu instid0(TRANS32_DEP_1) | instskip(NEXT) | instid1(VALU_DEP_1)
	v_fma_f32 v136, -v133, v134, 1.0
	v_fmac_f32_e32 v134, v136, v134
	v_div_scale_f32 v136, vcc_lo, 1.0, v132, 1.0
	s_delay_alu instid0(VALU_DEP_1) | instskip(NEXT) | instid1(VALU_DEP_1)
	v_mul_f32_e32 v137, v136, v134
	v_fma_f32 v138, -v133, v137, v136
	s_delay_alu instid0(VALU_DEP_1) | instskip(NEXT) | instid1(VALU_DEP_1)
	v_fmac_f32_e32 v137, v138, v134
	v_fma_f32 v133, -v133, v137, v136
	s_delay_alu instid0(VALU_DEP_1) | instskip(NEXT) | instid1(VALU_DEP_1)
	v_div_fmas_f32 v133, v133, v134, v137
	v_div_fixup_f32 v134, v133, v132, 1.0
	s_delay_alu instid0(VALU_DEP_1)
	v_mul_f32_e64 v135, v135, -v134
.LBB115_394:
	s_or_b32 exec_lo, exec_lo, s1
	ds_store_b64 v187, v[134:135]
.LBB115_395:
	s_or_b32 exec_lo, exec_lo, s2
	s_wait_dscnt 0x0
	s_barrier_signal -1
	s_barrier_wait -1
	ds_load_b64 v[132:133], v187
	s_mov_b32 s1, exec_lo
	v_cmpx_lt_u32_e32 43, v186
	s_cbranch_execz .LBB115_397
; %bb.396:
	ds_load_2addr_b64 v[148:151], v196 offset0:44 offset1:45
	s_wait_dscnt 0x1
	v_pk_mul_f32 v[136:137], v[132:133], v[172:173] op_sel:[1,1] op_sel_hi:[0,1]
	s_delay_alu instid0(VALU_DEP_1) | instskip(SKIP_1) | instid1(VALU_DEP_1)
	v_pk_fma_f32 v[134:135], v[132:133], v[172:173], v[136:137] op_sel_hi:[1,0,1] neg_lo:[0,0,1] neg_hi:[0,0,1]
	v_pk_fma_f32 v[136:137], v[132:133], v[172:173], v[136:137] op_sel_hi:[1,0,1]
	v_dual_mov_b32 v172, v134 :: v_dual_mov_b32 v173, v137
	s_wait_dscnt 0x0
	s_delay_alu instid0(VALU_DEP_2) | instskip(NEXT) | instid1(VALU_DEP_1)
	v_pk_mul_f32 v[138:139], v[148:149], v[136:137] op_sel:[0,1]
	v_pk_fma_f32 v[152:153], v[148:149], v[134:135], v[138:139] op_sel:[0,0,1] op_sel_hi:[1,1,0] neg_lo:[0,0,1] neg_hi:[0,0,1]
	v_pk_fma_f32 v[138:139], v[148:149], v[134:135], v[138:139] op_sel:[0,0,1] op_sel_hi:[1,0,0]
	s_delay_alu instid0(VALU_DEP_1) | instskip(SKIP_1) | instid1(VALU_DEP_1)
	v_mov_b32_e32 v153, v139
	v_pk_mul_f32 v[138:139], v[150:151], v[136:137] op_sel:[0,1]
	v_pk_fma_f32 v[148:149], v[150:151], v[134:135], v[138:139] op_sel:[0,0,1] op_sel_hi:[1,1,0] neg_lo:[0,0,1] neg_hi:[0,0,1]
	v_pk_fma_f32 v[138:139], v[150:151], v[134:135], v[138:139] op_sel:[0,0,1] op_sel_hi:[1,0,0]
	s_delay_alu instid0(VALU_DEP_1) | instskip(SKIP_1) | instid1(VALU_DEP_2)
	v_mov_b32_e32 v149, v139
	v_pk_add_f32 v[194:195], v[194:195], v[152:153] neg_lo:[0,1] neg_hi:[0,1]
	v_pk_add_f32 v[190:191], v[190:191], v[148:149] neg_lo:[0,1] neg_hi:[0,1]
	ds_load_2addr_b64 v[148:151], v196 offset0:46 offset1:47
	s_wait_dscnt 0x0
	v_pk_mul_f32 v[138:139], v[148:149], v[136:137] op_sel:[0,1]
	s_delay_alu instid0(VALU_DEP_1) | instskip(SKIP_2) | instid1(VALU_DEP_2)
	v_pk_fma_f32 v[152:153], v[148:149], v[134:135], v[138:139] op_sel:[0,0,1] op_sel_hi:[1,1,0] neg_lo:[0,0,1] neg_hi:[0,0,1]
	v_pk_fma_f32 v[138:139], v[148:149], v[134:135], v[138:139] op_sel:[0,0,1] op_sel_hi:[1,0,0]
	v_dual_mul_f32 v148, v151, v137 :: v_dual_mov_b32 v138, v151
	v_dual_mov_b32 v153, v139 :: v_dual_mov_b32 v139, v150
	s_delay_alu instid0(VALU_DEP_2) | instskip(SKIP_1) | instid1(VALU_DEP_3)
	v_pk_fma_f32 v[148:149], v[150:151], v[172:173], v[148:149] op_sel_hi:[1,1,0] neg_lo:[0,0,1] neg_hi:[0,0,1]
	v_mul_f32_e32 v150, v151, v134
	v_pk_add_f32 v[192:193], v[192:193], v[152:153] neg_lo:[0,1] neg_hi:[0,1]
	s_delay_alu instid0(VALU_DEP_2) | instskip(NEXT) | instid1(VALU_DEP_1)
	v_pk_fma_f32 v[138:139], v[138:139], v[172:173], v[150:151] op_sel_hi:[1,1,0]
	v_mov_b32_e32 v149, v139
	s_delay_alu instid0(VALU_DEP_1) | instskip(SKIP_3) | instid1(VALU_DEP_1)
	v_pk_add_f32 v[188:189], v[188:189], v[148:149] neg_lo:[0,1] neg_hi:[0,1]
	ds_load_2addr_b64 v[148:151], v196 offset0:48 offset1:49
	s_wait_dscnt 0x0
	v_pk_mul_f32 v[138:139], v[148:149], v[136:137] op_sel:[0,1]
	v_pk_fma_f32 v[152:153], v[148:149], v[134:135], v[138:139] op_sel:[0,0,1] op_sel_hi:[1,1,0] neg_lo:[0,0,1] neg_hi:[0,0,1]
	v_pk_fma_f32 v[138:139], v[148:149], v[134:135], v[138:139] op_sel:[0,0,1] op_sel_hi:[1,0,0]
	s_delay_alu instid0(VALU_DEP_1) | instskip(SKIP_1) | instid1(VALU_DEP_2)
	v_mov_b32_e32 v153, v139
	v_pk_mul_f32 v[138:139], v[150:151], v[136:137] op_sel:[0,1]
	v_pk_add_f32 v[212:213], v[212:213], v[152:153] neg_lo:[0,1] neg_hi:[0,1]
	s_delay_alu instid0(VALU_DEP_2) | instskip(SKIP_1) | instid1(VALU_DEP_1)
	v_pk_fma_f32 v[148:149], v[150:151], v[134:135], v[138:139] op_sel:[0,0,1] op_sel_hi:[1,1,0] neg_lo:[0,0,1] neg_hi:[0,0,1]
	v_pk_fma_f32 v[138:139], v[150:151], v[134:135], v[138:139] op_sel:[0,0,1] op_sel_hi:[1,0,0]
	v_mov_b32_e32 v149, v139
	s_delay_alu instid0(VALU_DEP_1) | instskip(SKIP_3) | instid1(VALU_DEP_1)
	v_pk_add_f32 v[208:209], v[208:209], v[148:149] neg_lo:[0,1] neg_hi:[0,1]
	ds_load_2addr_b64 v[148:151], v196 offset0:50 offset1:51
	s_wait_dscnt 0x0
	v_pk_mul_f32 v[138:139], v[148:149], v[136:137] op_sel:[0,1]
	v_pk_fma_f32 v[152:153], v[148:149], v[134:135], v[138:139] op_sel:[0,0,1] op_sel_hi:[1,1,0] neg_lo:[0,0,1] neg_hi:[0,0,1]
	v_pk_fma_f32 v[138:139], v[148:149], v[134:135], v[138:139] op_sel:[0,0,1] op_sel_hi:[1,0,0]
	s_delay_alu instid0(VALU_DEP_1) | instskip(SKIP_1) | instid1(VALU_DEP_2)
	v_mov_b32_e32 v153, v139
	v_pk_mul_f32 v[138:139], v[150:151], v[136:137] op_sel:[0,1]
	v_pk_add_f32 v[210:211], v[210:211], v[152:153] neg_lo:[0,1] neg_hi:[0,1]
	s_delay_alu instid0(VALU_DEP_2) | instskip(SKIP_1) | instid1(VALU_DEP_1)
	v_pk_fma_f32 v[148:149], v[150:151], v[134:135], v[138:139] op_sel:[0,0,1] op_sel_hi:[1,1,0] neg_lo:[0,0,1] neg_hi:[0,0,1]
	v_pk_fma_f32 v[138:139], v[150:151], v[134:135], v[138:139] op_sel:[0,0,1] op_sel_hi:[1,0,0]
	v_mov_b32_e32 v149, v139
	s_delay_alu instid0(VALU_DEP_1) | instskip(SKIP_3) | instid1(VALU_DEP_1)
	v_pk_add_f32 v[206:207], v[206:207], v[148:149] neg_lo:[0,1] neg_hi:[0,1]
	ds_load_2addr_b64 v[148:151], v196 offset0:52 offset1:53
	s_wait_dscnt 0x0
	v_dual_mul_f32 v138, v149, v137 :: v_dual_mul_f32 v152, v149, v134
	v_pk_fma_f32 v[138:139], v[148:149], v[172:173], v[138:139] op_sel_hi:[1,1,0] neg_lo:[0,0,1] neg_hi:[0,0,1]
	s_delay_alu instid0(VALU_DEP_2) | instskip(NEXT) | instid1(VALU_DEP_1)
	v_pk_fma_f32 v[148:149], v[148:149], v[172:173], v[152:153] op_sel:[1,0,0] op_sel_hi:[0,1,0]
	v_mov_b32_e32 v139, v149
	s_delay_alu instid0(VALU_DEP_1) | instskip(SKIP_1) | instid1(VALU_DEP_1)
	v_pk_add_f32 v[228:229], v[228:229], v[138:139] neg_lo:[0,1] neg_hi:[0,1]
	v_pk_mul_f32 v[138:139], v[150:151], v[136:137] op_sel:[0,1]
	v_pk_fma_f32 v[148:149], v[150:151], v[134:135], v[138:139] op_sel:[0,0,1] op_sel_hi:[1,1,0] neg_lo:[0,0,1] neg_hi:[0,0,1]
	v_pk_fma_f32 v[138:139], v[150:151], v[134:135], v[138:139] op_sel:[0,0,1] op_sel_hi:[1,0,0]
	s_delay_alu instid0(VALU_DEP_1) | instskip(NEXT) | instid1(VALU_DEP_1)
	v_mov_b32_e32 v149, v139
	v_pk_add_f32 v[224:225], v[224:225], v[148:149] neg_lo:[0,1] neg_hi:[0,1]
	ds_load_2addr_b64 v[148:151], v196 offset0:54 offset1:55
	s_wait_dscnt 0x0
	v_pk_mul_f32 v[138:139], v[148:149], v[136:137] op_sel:[0,1]
	s_delay_alu instid0(VALU_DEP_1) | instskip(SKIP_1) | instid1(VALU_DEP_1)
	v_pk_fma_f32 v[152:153], v[148:149], v[134:135], v[138:139] op_sel:[0,0,1] op_sel_hi:[1,1,0] neg_lo:[0,0,1] neg_hi:[0,0,1]
	v_pk_fma_f32 v[138:139], v[148:149], v[134:135], v[138:139] op_sel:[0,0,1] op_sel_hi:[1,0,0]
	v_mov_b32_e32 v153, v139
	v_pk_mul_f32 v[138:139], v[150:151], v[136:137] op_sel:[0,1]
	s_delay_alu instid0(VALU_DEP_2) | instskip(NEXT) | instid1(VALU_DEP_2)
	v_pk_add_f32 v[226:227], v[226:227], v[152:153] neg_lo:[0,1] neg_hi:[0,1]
	v_pk_fma_f32 v[148:149], v[150:151], v[134:135], v[138:139] op_sel:[0,0,1] op_sel_hi:[1,1,0] neg_lo:[0,0,1] neg_hi:[0,0,1]
	v_pk_fma_f32 v[138:139], v[150:151], v[134:135], v[138:139] op_sel:[0,0,1] op_sel_hi:[1,0,0]
	s_delay_alu instid0(VALU_DEP_1) | instskip(NEXT) | instid1(VALU_DEP_1)
	v_mov_b32_e32 v149, v139
	v_pk_add_f32 v[222:223], v[222:223], v[148:149] neg_lo:[0,1] neg_hi:[0,1]
	ds_load_2addr_b64 v[148:151], v196 offset0:56 offset1:57
	s_wait_dscnt 0x0
	v_pk_mul_f32 v[138:139], v[148:149], v[136:137] op_sel:[0,1]
	v_pk_mul_f32 v[136:137], v[150:151], v[136:137] op_sel:[0,1]
	s_delay_alu instid0(VALU_DEP_2) | instskip(SKIP_1) | instid1(VALU_DEP_1)
	v_pk_fma_f32 v[152:153], v[148:149], v[134:135], v[138:139] op_sel:[0,0,1] op_sel_hi:[1,1,0] neg_lo:[0,0,1] neg_hi:[0,0,1]
	v_pk_fma_f32 v[138:139], v[148:149], v[134:135], v[138:139] op_sel:[0,0,1] op_sel_hi:[1,0,0]
	v_mov_b32_e32 v153, v139
	s_delay_alu instid0(VALU_DEP_4) | instskip(SKIP_1) | instid1(VALU_DEP_3)
	v_pk_fma_f32 v[138:139], v[150:151], v[134:135], v[136:137] op_sel:[0,0,1] op_sel_hi:[1,1,0] neg_lo:[0,0,1] neg_hi:[0,0,1]
	v_pk_fma_f32 v[134:135], v[150:151], v[134:135], v[136:137] op_sel:[0,0,1] op_sel_hi:[1,0,0]
	v_pk_add_f32 v[230:231], v[230:231], v[152:153] neg_lo:[0,1] neg_hi:[0,1]
	s_delay_alu instid0(VALU_DEP_2) | instskip(NEXT) | instid1(VALU_DEP_1)
	v_mov_b32_e32 v139, v135
	v_pk_add_f32 v[232:233], v[232:233], v[138:139] neg_lo:[0,1] neg_hi:[0,1]
.LBB115_397:
	s_or_b32 exec_lo, exec_lo, s1
	s_delay_alu instid0(SALU_CYCLE_1)
	s_mov_b32 s2, exec_lo
	s_wait_dscnt 0x0
	s_barrier_signal -1
	s_barrier_wait -1
	v_cmpx_eq_u32_e32 44, v186
	s_cbranch_execz .LBB115_404
; %bb.398:
	ds_store_b64 v187, v[194:195]
	ds_store_2addr_b64 v196, v[190:191], v[192:193] offset0:45 offset1:46
	ds_store_2addr_b64 v196, v[188:189], v[212:213] offset0:47 offset1:48
	;; [unrolled: 1-line block ×6, first 2 shown]
	ds_store_b64 v196, v[232:233] offset:456
	ds_load_b64 v[134:135], v187
	s_wait_dscnt 0x0
	v_cmp_neq_f32_e32 vcc_lo, 0, v134
	v_cmp_neq_f32_e64 s1, 0, v135
	s_or_b32 s1, vcc_lo, s1
	s_delay_alu instid0(SALU_CYCLE_1)
	s_and_b32 exec_lo, exec_lo, s1
	s_cbranch_execz .LBB115_404
; %bb.399:
	v_cmp_ngt_f32_e64 s1, |v134|, |v135|
                                        ; implicit-def: $vgpr136_vgpr137
	s_and_saveexec_b32 s4, s1
	s_delay_alu instid0(SALU_CYCLE_1)
	s_xor_b32 s1, exec_lo, s4
	s_cbranch_execz .LBB115_401
; %bb.400:
	v_div_scale_f32 v136, null, v135, v135, v134
	v_div_scale_f32 v139, vcc_lo, v134, v135, v134
	s_delay_alu instid0(VALU_DEP_2) | instskip(SKIP_1) | instid1(TRANS32_DEP_1)
	v_rcp_f32_e32 v137, v136
	v_nop
	v_fma_f32 v138, -v136, v137, 1.0
	s_delay_alu instid0(VALU_DEP_1) | instskip(NEXT) | instid1(VALU_DEP_1)
	v_fmac_f32_e32 v137, v138, v137
	v_mul_f32_e32 v138, v139, v137
	s_delay_alu instid0(VALU_DEP_1) | instskip(NEXT) | instid1(VALU_DEP_1)
	v_fma_f32 v148, -v136, v138, v139
	v_fmac_f32_e32 v138, v148, v137
	s_delay_alu instid0(VALU_DEP_1) | instskip(NEXT) | instid1(VALU_DEP_1)
	v_fma_f32 v136, -v136, v138, v139
	v_div_fmas_f32 v136, v136, v137, v138
	s_delay_alu instid0(VALU_DEP_1) | instskip(NEXT) | instid1(VALU_DEP_1)
	v_div_fixup_f32 v136, v136, v135, v134
	v_fmac_f32_e32 v135, v134, v136
	s_delay_alu instid0(VALU_DEP_1) | instskip(SKIP_1) | instid1(VALU_DEP_2)
	v_div_scale_f32 v134, null, v135, v135, 1.0
	v_div_scale_f32 v139, vcc_lo, 1.0, v135, 1.0
	v_rcp_f32_e32 v137, v134
	v_nop
	s_delay_alu instid0(TRANS32_DEP_1) | instskip(NEXT) | instid1(VALU_DEP_1)
	v_fma_f32 v138, -v134, v137, 1.0
	v_fmac_f32_e32 v137, v138, v137
	s_delay_alu instid0(VALU_DEP_1) | instskip(NEXT) | instid1(VALU_DEP_1)
	v_mul_f32_e32 v138, v139, v137
	v_fma_f32 v148, -v134, v138, v139
	s_delay_alu instid0(VALU_DEP_1) | instskip(NEXT) | instid1(VALU_DEP_1)
	v_fmac_f32_e32 v138, v148, v137
	v_fma_f32 v134, -v134, v138, v139
	s_delay_alu instid0(VALU_DEP_1) | instskip(NEXT) | instid1(VALU_DEP_1)
	v_div_fmas_f32 v134, v134, v137, v138
	v_div_fixup_f32 v134, v134, v135, 1.0
	s_delay_alu instid0(VALU_DEP_1)
	v_mul_f32_e32 v136, v136, v134
	v_xor_b32_e32 v137, 0x80000000, v134
                                        ; implicit-def: $vgpr134_vgpr135
.LBB115_401:
	s_and_not1_saveexec_b32 s1, s1
	s_cbranch_execz .LBB115_403
; %bb.402:
	v_div_scale_f32 v136, null, v134, v134, v135
	v_div_scale_f32 v139, vcc_lo, v135, v134, v135
	s_delay_alu instid0(VALU_DEP_2) | instskip(SKIP_1) | instid1(TRANS32_DEP_1)
	v_rcp_f32_e32 v137, v136
	v_nop
	v_fma_f32 v138, -v136, v137, 1.0
	s_delay_alu instid0(VALU_DEP_1) | instskip(NEXT) | instid1(VALU_DEP_1)
	v_fmac_f32_e32 v137, v138, v137
	v_mul_f32_e32 v138, v139, v137
	s_delay_alu instid0(VALU_DEP_1) | instskip(NEXT) | instid1(VALU_DEP_1)
	v_fma_f32 v148, -v136, v138, v139
	v_fmac_f32_e32 v138, v148, v137
	s_delay_alu instid0(VALU_DEP_1) | instskip(NEXT) | instid1(VALU_DEP_1)
	v_fma_f32 v136, -v136, v138, v139
	v_div_fmas_f32 v136, v136, v137, v138
	s_delay_alu instid0(VALU_DEP_1) | instskip(NEXT) | instid1(VALU_DEP_1)
	v_div_fixup_f32 v137, v136, v134, v135
	v_fmac_f32_e32 v134, v135, v137
	s_delay_alu instid0(VALU_DEP_1) | instskip(NEXT) | instid1(VALU_DEP_1)
	v_div_scale_f32 v135, null, v134, v134, 1.0
	v_rcp_f32_e32 v136, v135
	v_nop
	s_delay_alu instid0(TRANS32_DEP_1) | instskip(NEXT) | instid1(VALU_DEP_1)
	v_fma_f32 v138, -v135, v136, 1.0
	v_fmac_f32_e32 v136, v138, v136
	v_div_scale_f32 v138, vcc_lo, 1.0, v134, 1.0
	s_delay_alu instid0(VALU_DEP_1) | instskip(NEXT) | instid1(VALU_DEP_1)
	v_mul_f32_e32 v139, v138, v136
	v_fma_f32 v148, -v135, v139, v138
	s_delay_alu instid0(VALU_DEP_1) | instskip(NEXT) | instid1(VALU_DEP_1)
	v_fmac_f32_e32 v139, v148, v136
	v_fma_f32 v135, -v135, v139, v138
	s_delay_alu instid0(VALU_DEP_1) | instskip(NEXT) | instid1(VALU_DEP_1)
	v_div_fmas_f32 v135, v135, v136, v139
	v_div_fixup_f32 v136, v135, v134, 1.0
	s_delay_alu instid0(VALU_DEP_1)
	v_mul_f32_e64 v137, v137, -v136
.LBB115_403:
	s_or_b32 exec_lo, exec_lo, s1
	ds_store_b64 v187, v[136:137]
.LBB115_404:
	s_or_b32 exec_lo, exec_lo, s2
	s_wait_dscnt 0x0
	s_barrier_signal -1
	s_barrier_wait -1
	ds_load_b64 v[134:135], v187
	s_mov_b32 s1, exec_lo
	v_cmpx_lt_u32_e32 44, v186
	s_cbranch_execz .LBB115_406
; %bb.405:
	ds_load_2addr_b64 v[148:151], v196 offset0:45 offset1:46
	s_wait_dscnt 0x1
	v_pk_mul_f32 v[138:139], v[134:135], v[194:195] op_sel:[1,1] op_sel_hi:[0,1]
	s_delay_alu instid0(VALU_DEP_1) | instskip(SKIP_1) | instid1(VALU_DEP_1)
	v_pk_fma_f32 v[136:137], v[134:135], v[194:195], v[138:139] op_sel_hi:[1,0,1] neg_lo:[0,0,1] neg_hi:[0,0,1]
	v_pk_fma_f32 v[138:139], v[134:135], v[194:195], v[138:139] op_sel_hi:[1,0,1]
	v_dual_mov_b32 v194, v136 :: v_dual_mov_b32 v195, v139
	s_wait_dscnt 0x0
	s_delay_alu instid0(VALU_DEP_2) | instskip(NEXT) | instid1(VALU_DEP_1)
	v_pk_mul_f32 v[152:153], v[148:149], v[138:139] op_sel:[0,1]
	v_pk_fma_f32 v[154:155], v[148:149], v[136:137], v[152:153] op_sel:[0,0,1] op_sel_hi:[1,1,0] neg_lo:[0,0,1] neg_hi:[0,0,1]
	v_pk_fma_f32 v[148:149], v[148:149], v[136:137], v[152:153] op_sel:[0,0,1] op_sel_hi:[1,0,0]
	s_delay_alu instid0(VALU_DEP_1) | instskip(SKIP_1) | instid1(VALU_DEP_1)
	v_mov_b32_e32 v155, v149
	v_pk_mul_f32 v[148:149], v[150:151], v[138:139] op_sel:[0,1]
	v_pk_fma_f32 v[152:153], v[150:151], v[136:137], v[148:149] op_sel:[0,0,1] op_sel_hi:[1,1,0] neg_lo:[0,0,1] neg_hi:[0,0,1]
	v_pk_fma_f32 v[148:149], v[150:151], v[136:137], v[148:149] op_sel:[0,0,1] op_sel_hi:[1,0,0]
	s_delay_alu instid0(VALU_DEP_1)
	v_mov_b32_e32 v153, v149
	ds_load_2addr_b64 v[148:151], v196 offset0:47 offset1:48
	v_pk_add_f32 v[190:191], v[190:191], v[154:155] neg_lo:[0,1] neg_hi:[0,1]
	v_pk_add_f32 v[192:193], v[192:193], v[152:153] neg_lo:[0,1] neg_hi:[0,1]
	s_wait_dscnt 0x0
	v_pk_mul_f32 v[152:153], v[148:149], v[138:139] op_sel:[0,1]
	s_delay_alu instid0(VALU_DEP_1) | instskip(SKIP_2) | instid1(VALU_DEP_2)
	v_pk_fma_f32 v[154:155], v[148:149], v[136:137], v[152:153] op_sel:[0,0,1] op_sel_hi:[1,1,0] neg_lo:[0,0,1] neg_hi:[0,0,1]
	v_pk_fma_f32 v[148:149], v[148:149], v[136:137], v[152:153] op_sel:[0,0,1] op_sel_hi:[1,0,0]
	v_dual_mul_f32 v152, v151, v139 :: v_dual_mov_b32 v148, v151
	v_dual_mov_b32 v155, v149 :: v_dual_mov_b32 v149, v150
	s_delay_alu instid0(VALU_DEP_2) | instskip(SKIP_1) | instid1(VALU_DEP_3)
	v_pk_fma_f32 v[152:153], v[150:151], v[194:195], v[152:153] op_sel_hi:[1,1,0] neg_lo:[0,0,1] neg_hi:[0,0,1]
	v_mul_f32_e32 v150, v151, v136
	v_pk_add_f32 v[188:189], v[188:189], v[154:155] neg_lo:[0,1] neg_hi:[0,1]
	s_delay_alu instid0(VALU_DEP_2) | instskip(NEXT) | instid1(VALU_DEP_1)
	v_pk_fma_f32 v[148:149], v[148:149], v[194:195], v[150:151] op_sel_hi:[1,1,0]
	v_mov_b32_e32 v153, v149
	ds_load_2addr_b64 v[148:151], v196 offset0:49 offset1:50
	v_pk_add_f32 v[212:213], v[212:213], v[152:153] neg_lo:[0,1] neg_hi:[0,1]
	s_wait_dscnt 0x0
	v_pk_mul_f32 v[152:153], v[148:149], v[138:139] op_sel:[0,1]
	s_delay_alu instid0(VALU_DEP_1) | instskip(SKIP_1) | instid1(VALU_DEP_1)
	v_pk_fma_f32 v[154:155], v[148:149], v[136:137], v[152:153] op_sel:[0,0,1] op_sel_hi:[1,1,0] neg_lo:[0,0,1] neg_hi:[0,0,1]
	v_pk_fma_f32 v[148:149], v[148:149], v[136:137], v[152:153] op_sel:[0,0,1] op_sel_hi:[1,0,0]
	v_mov_b32_e32 v155, v149
	v_pk_mul_f32 v[148:149], v[150:151], v[138:139] op_sel:[0,1]
	s_delay_alu instid0(VALU_DEP_1) | instskip(SKIP_1) | instid1(VALU_DEP_1)
	v_pk_fma_f32 v[152:153], v[150:151], v[136:137], v[148:149] op_sel:[0,0,1] op_sel_hi:[1,1,0] neg_lo:[0,0,1] neg_hi:[0,0,1]
	v_pk_fma_f32 v[148:149], v[150:151], v[136:137], v[148:149] op_sel:[0,0,1] op_sel_hi:[1,0,0]
	v_mov_b32_e32 v153, v149
	ds_load_2addr_b64 v[148:151], v196 offset0:51 offset1:52
	v_pk_add_f32 v[208:209], v[208:209], v[154:155] neg_lo:[0,1] neg_hi:[0,1]
	v_pk_add_f32 v[210:211], v[210:211], v[152:153] neg_lo:[0,1] neg_hi:[0,1]
	s_wait_dscnt 0x0
	v_pk_mul_f32 v[152:153], v[148:149], v[138:139] op_sel:[0,1]
	s_delay_alu instid0(VALU_DEP_1) | instskip(SKIP_1) | instid1(VALU_DEP_1)
	v_pk_fma_f32 v[154:155], v[148:149], v[136:137], v[152:153] op_sel:[0,0,1] op_sel_hi:[1,1,0] neg_lo:[0,0,1] neg_hi:[0,0,1]
	v_pk_fma_f32 v[148:149], v[148:149], v[136:137], v[152:153] op_sel:[0,0,1] op_sel_hi:[1,0,0]
	v_mov_b32_e32 v155, v149
	v_pk_mul_f32 v[148:149], v[150:151], v[138:139] op_sel:[0,1]
	s_delay_alu instid0(VALU_DEP_1) | instskip(SKIP_1) | instid1(VALU_DEP_1)
	v_pk_fma_f32 v[152:153], v[150:151], v[136:137], v[148:149] op_sel:[0,0,1] op_sel_hi:[1,1,0] neg_lo:[0,0,1] neg_hi:[0,0,1]
	v_pk_fma_f32 v[148:149], v[150:151], v[136:137], v[148:149] op_sel:[0,0,1] op_sel_hi:[1,0,0]
	v_mov_b32_e32 v153, v149
	ds_load_2addr_b64 v[148:151], v196 offset0:53 offset1:54
	v_pk_add_f32 v[206:207], v[206:207], v[154:155] neg_lo:[0,1] neg_hi:[0,1]
	v_pk_add_f32 v[228:229], v[228:229], v[152:153] neg_lo:[0,1] neg_hi:[0,1]
	s_wait_dscnt 0x0
	v_dual_mul_f32 v152, v149, v139 :: v_dual_mul_f32 v154, v149, v136
	s_delay_alu instid0(VALU_DEP_1) | instskip(NEXT) | instid1(VALU_DEP_2)
	v_pk_fma_f32 v[152:153], v[148:149], v[194:195], v[152:153] op_sel_hi:[1,1,0] neg_lo:[0,0,1] neg_hi:[0,0,1]
	v_pk_fma_f32 v[148:149], v[148:149], v[194:195], v[154:155] op_sel:[1,0,0] op_sel_hi:[0,1,0]
	s_delay_alu instid0(VALU_DEP_1) | instskip(SKIP_1) | instid1(VALU_DEP_2)
	v_mov_b32_e32 v153, v149
	v_pk_mul_f32 v[148:149], v[150:151], v[138:139] op_sel:[0,1]
	v_pk_add_f32 v[224:225], v[224:225], v[152:153] neg_lo:[0,1] neg_hi:[0,1]
	s_delay_alu instid0(VALU_DEP_2) | instskip(SKIP_1) | instid1(VALU_DEP_1)
	v_pk_fma_f32 v[152:153], v[150:151], v[136:137], v[148:149] op_sel:[0,0,1] op_sel_hi:[1,1,0] neg_lo:[0,0,1] neg_hi:[0,0,1]
	v_pk_fma_f32 v[148:149], v[150:151], v[136:137], v[148:149] op_sel:[0,0,1] op_sel_hi:[1,0,0]
	v_mov_b32_e32 v153, v149
	ds_load_2addr_b64 v[148:151], v196 offset0:55 offset1:56
	v_pk_add_f32 v[226:227], v[226:227], v[152:153] neg_lo:[0,1] neg_hi:[0,1]
	s_wait_dscnt 0x0
	v_pk_mul_f32 v[152:153], v[148:149], v[138:139] op_sel:[0,1]
	s_delay_alu instid0(VALU_DEP_1) | instskip(SKIP_1) | instid1(VALU_DEP_1)
	v_pk_fma_f32 v[154:155], v[148:149], v[136:137], v[152:153] op_sel:[0,0,1] op_sel_hi:[1,1,0] neg_lo:[0,0,1] neg_hi:[0,0,1]
	v_pk_fma_f32 v[148:149], v[148:149], v[136:137], v[152:153] op_sel:[0,0,1] op_sel_hi:[1,0,0]
	v_mov_b32_e32 v155, v149
	v_pk_mul_f32 v[148:149], v[150:151], v[138:139] op_sel:[0,1]
	s_delay_alu instid0(VALU_DEP_2) | instskip(NEXT) | instid1(VALU_DEP_2)
	v_pk_add_f32 v[222:223], v[222:223], v[154:155] neg_lo:[0,1] neg_hi:[0,1]
	v_pk_fma_f32 v[152:153], v[150:151], v[136:137], v[148:149] op_sel:[0,0,1] op_sel_hi:[1,1,0] neg_lo:[0,0,1] neg_hi:[0,0,1]
	v_pk_fma_f32 v[148:149], v[150:151], v[136:137], v[148:149] op_sel:[0,0,1] op_sel_hi:[1,0,0]
	s_delay_alu instid0(VALU_DEP_1) | instskip(SKIP_4) | instid1(VALU_DEP_1)
	v_mov_b32_e32 v153, v149
	ds_load_b64 v[148:149], v196 offset:456
	v_pk_add_f32 v[230:231], v[230:231], v[152:153] neg_lo:[0,1] neg_hi:[0,1]
	s_wait_dscnt 0x0
	v_pk_mul_f32 v[138:139], v[148:149], v[138:139] op_sel:[0,1]
	v_pk_fma_f32 v[150:151], v[148:149], v[136:137], v[138:139] op_sel:[0,0,1] op_sel_hi:[1,1,0] neg_lo:[0,0,1] neg_hi:[0,0,1]
	v_pk_fma_f32 v[136:137], v[148:149], v[136:137], v[138:139] op_sel:[0,0,1] op_sel_hi:[1,0,0]
	s_delay_alu instid0(VALU_DEP_1) | instskip(NEXT) | instid1(VALU_DEP_1)
	v_mov_b32_e32 v151, v137
	v_pk_add_f32 v[232:233], v[232:233], v[150:151] neg_lo:[0,1] neg_hi:[0,1]
.LBB115_406:
	s_or_b32 exec_lo, exec_lo, s1
	s_delay_alu instid0(SALU_CYCLE_1)
	s_mov_b32 s2, exec_lo
	s_wait_dscnt 0x0
	s_barrier_signal -1
	s_barrier_wait -1
	v_cmpx_eq_u32_e32 45, v186
	s_cbranch_execz .LBB115_413
; %bb.407:
	v_dual_mov_b32 v136, v192 :: v_dual_mov_b32 v137, v193
	v_dual_mov_b32 v138, v188 :: v_dual_mov_b32 v139, v189
	ds_store_b64 v187, v[190:191]
	ds_store_2addr_b64 v196, v[136:137], v[138:139] offset0:46 offset1:47
	v_dual_mov_b32 v136, v212 :: v_dual_mov_b32 v137, v213
	v_dual_mov_b32 v138, v208 :: v_dual_mov_b32 v139, v209
	ds_store_2addr_b64 v196, v[136:137], v[138:139] offset0:48 offset1:49
	v_dual_mov_b32 v136, v210 :: v_dual_mov_b32 v137, v211
	v_dual_mov_b32 v138, v206 :: v_dual_mov_b32 v139, v207
	;; [unrolled: 3-line block ×4, first 2 shown]
	ds_store_2addr_b64 v196, v[136:137], v[138:139] offset0:54 offset1:55
	v_dual_mov_b32 v136, v230 :: v_dual_mov_b32 v137, v231
	ds_store_2addr_b64 v196, v[136:137], v[232:233] offset0:56 offset1:57
	ds_load_b64 v[136:137], v187
	s_wait_dscnt 0x0
	v_cmp_neq_f32_e32 vcc_lo, 0, v136
	v_cmp_neq_f32_e64 s1, 0, v137
	s_or_b32 s1, vcc_lo, s1
	s_delay_alu instid0(SALU_CYCLE_1)
	s_and_b32 exec_lo, exec_lo, s1
	s_cbranch_execz .LBB115_413
; %bb.408:
	v_cmp_ngt_f32_e64 s1, |v136|, |v137|
                                        ; implicit-def: $vgpr138_vgpr139
	s_and_saveexec_b32 s4, s1
	s_delay_alu instid0(SALU_CYCLE_1)
	s_xor_b32 s1, exec_lo, s4
	s_cbranch_execz .LBB115_410
; %bb.409:
	v_div_scale_f32 v138, null, v137, v137, v136
	v_div_scale_f32 v149, vcc_lo, v136, v137, v136
	s_delay_alu instid0(VALU_DEP_2) | instskip(SKIP_1) | instid1(TRANS32_DEP_1)
	v_rcp_f32_e32 v139, v138
	v_nop
	v_fma_f32 v148, -v138, v139, 1.0
	s_delay_alu instid0(VALU_DEP_1) | instskip(NEXT) | instid1(VALU_DEP_1)
	v_fmac_f32_e32 v139, v148, v139
	v_mul_f32_e32 v148, v149, v139
	s_delay_alu instid0(VALU_DEP_1) | instskip(NEXT) | instid1(VALU_DEP_1)
	v_fma_f32 v150, -v138, v148, v149
	v_fmac_f32_e32 v148, v150, v139
	s_delay_alu instid0(VALU_DEP_1) | instskip(NEXT) | instid1(VALU_DEP_1)
	v_fma_f32 v138, -v138, v148, v149
	v_div_fmas_f32 v138, v138, v139, v148
	s_delay_alu instid0(VALU_DEP_1) | instskip(NEXT) | instid1(VALU_DEP_1)
	v_div_fixup_f32 v138, v138, v137, v136
	v_fmac_f32_e32 v137, v136, v138
	s_delay_alu instid0(VALU_DEP_1) | instskip(SKIP_1) | instid1(VALU_DEP_2)
	v_div_scale_f32 v136, null, v137, v137, 1.0
	v_div_scale_f32 v149, vcc_lo, 1.0, v137, 1.0
	v_rcp_f32_e32 v139, v136
	v_nop
	s_delay_alu instid0(TRANS32_DEP_1) | instskip(NEXT) | instid1(VALU_DEP_1)
	v_fma_f32 v148, -v136, v139, 1.0
	v_fmac_f32_e32 v139, v148, v139
	s_delay_alu instid0(VALU_DEP_1) | instskip(NEXT) | instid1(VALU_DEP_1)
	v_mul_f32_e32 v148, v149, v139
	v_fma_f32 v150, -v136, v148, v149
	s_delay_alu instid0(VALU_DEP_1) | instskip(NEXT) | instid1(VALU_DEP_1)
	v_fmac_f32_e32 v148, v150, v139
	v_fma_f32 v136, -v136, v148, v149
	s_delay_alu instid0(VALU_DEP_1) | instskip(NEXT) | instid1(VALU_DEP_1)
	v_div_fmas_f32 v136, v136, v139, v148
	v_div_fixup_f32 v136, v136, v137, 1.0
	s_delay_alu instid0(VALU_DEP_1)
	v_mul_f32_e32 v138, v138, v136
	v_xor_b32_e32 v139, 0x80000000, v136
                                        ; implicit-def: $vgpr136_vgpr137
.LBB115_410:
	s_and_not1_saveexec_b32 s1, s1
	s_cbranch_execz .LBB115_412
; %bb.411:
	v_div_scale_f32 v138, null, v136, v136, v137
	v_div_scale_f32 v149, vcc_lo, v137, v136, v137
	s_delay_alu instid0(VALU_DEP_2) | instskip(SKIP_1) | instid1(TRANS32_DEP_1)
	v_rcp_f32_e32 v139, v138
	v_nop
	v_fma_f32 v148, -v138, v139, 1.0
	s_delay_alu instid0(VALU_DEP_1) | instskip(NEXT) | instid1(VALU_DEP_1)
	v_fmac_f32_e32 v139, v148, v139
	v_mul_f32_e32 v148, v149, v139
	s_delay_alu instid0(VALU_DEP_1) | instskip(NEXT) | instid1(VALU_DEP_1)
	v_fma_f32 v150, -v138, v148, v149
	v_fmac_f32_e32 v148, v150, v139
	s_delay_alu instid0(VALU_DEP_1) | instskip(NEXT) | instid1(VALU_DEP_1)
	v_fma_f32 v138, -v138, v148, v149
	v_div_fmas_f32 v138, v138, v139, v148
	s_delay_alu instid0(VALU_DEP_1) | instskip(NEXT) | instid1(VALU_DEP_1)
	v_div_fixup_f32 v139, v138, v136, v137
	v_fmac_f32_e32 v136, v137, v139
	s_delay_alu instid0(VALU_DEP_1) | instskip(NEXT) | instid1(VALU_DEP_1)
	v_div_scale_f32 v137, null, v136, v136, 1.0
	v_rcp_f32_e32 v138, v137
	v_nop
	s_delay_alu instid0(TRANS32_DEP_1) | instskip(NEXT) | instid1(VALU_DEP_1)
	v_fma_f32 v148, -v137, v138, 1.0
	v_fmac_f32_e32 v138, v148, v138
	v_div_scale_f32 v148, vcc_lo, 1.0, v136, 1.0
	s_delay_alu instid0(VALU_DEP_1) | instskip(NEXT) | instid1(VALU_DEP_1)
	v_mul_f32_e32 v149, v148, v138
	v_fma_f32 v150, -v137, v149, v148
	s_delay_alu instid0(VALU_DEP_1) | instskip(NEXT) | instid1(VALU_DEP_1)
	v_fmac_f32_e32 v149, v150, v138
	v_fma_f32 v137, -v137, v149, v148
	s_delay_alu instid0(VALU_DEP_1) | instskip(NEXT) | instid1(VALU_DEP_1)
	v_div_fmas_f32 v137, v137, v138, v149
	v_div_fixup_f32 v138, v137, v136, 1.0
	s_delay_alu instid0(VALU_DEP_1)
	v_mul_f32_e64 v139, v139, -v138
.LBB115_412:
	s_or_b32 exec_lo, exec_lo, s1
	ds_store_b64 v187, v[138:139]
.LBB115_413:
	s_or_b32 exec_lo, exec_lo, s2
	s_wait_dscnt 0x0
	s_barrier_signal -1
	s_barrier_wait -1
	ds_load_b64 v[136:137], v187
	s_mov_b32 s1, exec_lo
	v_cmpx_lt_u32_e32 45, v186
	s_cbranch_execz .LBB115_415
; %bb.414:
	ds_load_2addr_b64 v[150:153], v196 offset0:46 offset1:47
	s_wait_dscnt 0x1
	v_pk_mul_f32 v[148:149], v[136:137], v[190:191] op_sel:[1,1] op_sel_hi:[0,1]
	s_delay_alu instid0(VALU_DEP_1) | instskip(SKIP_1) | instid1(VALU_DEP_1)
	v_pk_fma_f32 v[138:139], v[136:137], v[190:191], v[148:149] op_sel_hi:[1,0,1] neg_lo:[0,0,1] neg_hi:[0,0,1]
	v_pk_fma_f32 v[148:149], v[136:137], v[190:191], v[148:149] op_sel_hi:[1,0,1]
	v_dual_mov_b32 v190, v138 :: v_dual_mov_b32 v191, v149
	s_wait_dscnt 0x0
	s_delay_alu instid0(VALU_DEP_2) | instskip(NEXT) | instid1(VALU_DEP_1)
	v_pk_mul_f32 v[154:155], v[150:151], v[148:149] op_sel:[0,1]
	v_pk_fma_f32 v[164:165], v[150:151], v[138:139], v[154:155] op_sel:[0,0,1] op_sel_hi:[1,1,0] neg_lo:[0,0,1] neg_hi:[0,0,1]
	v_pk_fma_f32 v[150:151], v[150:151], v[138:139], v[154:155] op_sel:[0,0,1] op_sel_hi:[1,0,0]
	s_delay_alu instid0(VALU_DEP_1) | instskip(SKIP_1) | instid1(VALU_DEP_1)
	v_mov_b32_e32 v165, v151
	v_pk_mul_f32 v[150:151], v[152:153], v[148:149] op_sel:[0,1]
	v_pk_fma_f32 v[154:155], v[152:153], v[138:139], v[150:151] op_sel:[0,0,1] op_sel_hi:[1,1,0] neg_lo:[0,0,1] neg_hi:[0,0,1]
	v_pk_fma_f32 v[150:151], v[152:153], v[138:139], v[150:151] op_sel:[0,0,1] op_sel_hi:[1,0,0]
	s_delay_alu instid0(VALU_DEP_1)
	v_mov_b32_e32 v155, v151
	ds_load_2addr_b64 v[150:153], v196 offset0:48 offset1:49
	v_pk_add_f32 v[192:193], v[192:193], v[164:165] neg_lo:[0,1] neg_hi:[0,1]
	v_pk_add_f32 v[188:189], v[188:189], v[154:155] neg_lo:[0,1] neg_hi:[0,1]
	s_wait_dscnt 0x0
	v_pk_mul_f32 v[154:155], v[150:151], v[148:149] op_sel:[0,1]
	s_delay_alu instid0(VALU_DEP_1) | instskip(SKIP_2) | instid1(VALU_DEP_2)
	v_pk_fma_f32 v[164:165], v[150:151], v[138:139], v[154:155] op_sel:[0,0,1] op_sel_hi:[1,1,0] neg_lo:[0,0,1] neg_hi:[0,0,1]
	v_pk_fma_f32 v[150:151], v[150:151], v[138:139], v[154:155] op_sel:[0,0,1] op_sel_hi:[1,0,0]
	v_dual_mul_f32 v154, v153, v149 :: v_dual_mov_b32 v150, v153
	v_dual_mov_b32 v165, v151 :: v_dual_mov_b32 v151, v152
	s_delay_alu instid0(VALU_DEP_2) | instskip(SKIP_1) | instid1(VALU_DEP_3)
	v_pk_fma_f32 v[154:155], v[152:153], v[190:191], v[154:155] op_sel_hi:[1,1,0] neg_lo:[0,0,1] neg_hi:[0,0,1]
	v_mul_f32_e32 v152, v153, v138
	v_pk_add_f32 v[212:213], v[212:213], v[164:165] neg_lo:[0,1] neg_hi:[0,1]
	s_delay_alu instid0(VALU_DEP_2) | instskip(NEXT) | instid1(VALU_DEP_1)
	v_pk_fma_f32 v[150:151], v[150:151], v[190:191], v[152:153] op_sel_hi:[1,1,0]
	v_mov_b32_e32 v155, v151
	ds_load_2addr_b64 v[150:153], v196 offset0:50 offset1:51
	v_pk_add_f32 v[208:209], v[208:209], v[154:155] neg_lo:[0,1] neg_hi:[0,1]
	s_wait_dscnt 0x0
	v_pk_mul_f32 v[154:155], v[150:151], v[148:149] op_sel:[0,1]
	s_delay_alu instid0(VALU_DEP_1) | instskip(SKIP_1) | instid1(VALU_DEP_1)
	v_pk_fma_f32 v[164:165], v[150:151], v[138:139], v[154:155] op_sel:[0,0,1] op_sel_hi:[1,1,0] neg_lo:[0,0,1] neg_hi:[0,0,1]
	v_pk_fma_f32 v[150:151], v[150:151], v[138:139], v[154:155] op_sel:[0,0,1] op_sel_hi:[1,0,0]
	v_mov_b32_e32 v165, v151
	v_pk_mul_f32 v[150:151], v[152:153], v[148:149] op_sel:[0,1]
	s_delay_alu instid0(VALU_DEP_1) | instskip(SKIP_1) | instid1(VALU_DEP_1)
	v_pk_fma_f32 v[154:155], v[152:153], v[138:139], v[150:151] op_sel:[0,0,1] op_sel_hi:[1,1,0] neg_lo:[0,0,1] neg_hi:[0,0,1]
	v_pk_fma_f32 v[150:151], v[152:153], v[138:139], v[150:151] op_sel:[0,0,1] op_sel_hi:[1,0,0]
	v_mov_b32_e32 v155, v151
	ds_load_2addr_b64 v[150:153], v196 offset0:52 offset1:53
	v_pk_add_f32 v[210:211], v[210:211], v[164:165] neg_lo:[0,1] neg_hi:[0,1]
	v_pk_add_f32 v[206:207], v[206:207], v[154:155] neg_lo:[0,1] neg_hi:[0,1]
	s_wait_dscnt 0x0
	v_pk_mul_f32 v[154:155], v[150:151], v[148:149] op_sel:[0,1]
	s_delay_alu instid0(VALU_DEP_1) | instskip(SKIP_1) | instid1(VALU_DEP_1)
	v_pk_fma_f32 v[164:165], v[150:151], v[138:139], v[154:155] op_sel:[0,0,1] op_sel_hi:[1,1,0] neg_lo:[0,0,1] neg_hi:[0,0,1]
	v_pk_fma_f32 v[150:151], v[150:151], v[138:139], v[154:155] op_sel:[0,0,1] op_sel_hi:[1,0,0]
	v_mov_b32_e32 v165, v151
	v_pk_mul_f32 v[150:151], v[152:153], v[148:149] op_sel:[0,1]
	s_delay_alu instid0(VALU_DEP_1) | instskip(SKIP_1) | instid1(VALU_DEP_1)
	v_pk_fma_f32 v[154:155], v[152:153], v[138:139], v[150:151] op_sel:[0,0,1] op_sel_hi:[1,1,0] neg_lo:[0,0,1] neg_hi:[0,0,1]
	v_pk_fma_f32 v[150:151], v[152:153], v[138:139], v[150:151] op_sel:[0,0,1] op_sel_hi:[1,0,0]
	v_mov_b32_e32 v155, v151
	ds_load_2addr_b64 v[150:153], v196 offset0:54 offset1:55
	v_pk_add_f32 v[228:229], v[228:229], v[164:165] neg_lo:[0,1] neg_hi:[0,1]
	v_pk_add_f32 v[224:225], v[224:225], v[154:155] neg_lo:[0,1] neg_hi:[0,1]
	s_wait_dscnt 0x0
	v_dual_mul_f32 v154, v151, v149 :: v_dual_mul_f32 v164, v151, v138
	s_delay_alu instid0(VALU_DEP_1) | instskip(NEXT) | instid1(VALU_DEP_2)
	v_pk_fma_f32 v[154:155], v[150:151], v[190:191], v[154:155] op_sel_hi:[1,1,0] neg_lo:[0,0,1] neg_hi:[0,0,1]
	v_pk_fma_f32 v[150:151], v[150:151], v[190:191], v[164:165] op_sel:[1,0,0] op_sel_hi:[0,1,0]
	s_delay_alu instid0(VALU_DEP_1) | instskip(SKIP_1) | instid1(VALU_DEP_2)
	v_mov_b32_e32 v155, v151
	v_pk_mul_f32 v[150:151], v[152:153], v[148:149] op_sel:[0,1]
	v_pk_add_f32 v[226:227], v[226:227], v[154:155] neg_lo:[0,1] neg_hi:[0,1]
	s_delay_alu instid0(VALU_DEP_2) | instskip(SKIP_1) | instid1(VALU_DEP_1)
	v_pk_fma_f32 v[154:155], v[152:153], v[138:139], v[150:151] op_sel:[0,0,1] op_sel_hi:[1,1,0] neg_lo:[0,0,1] neg_hi:[0,0,1]
	v_pk_fma_f32 v[150:151], v[152:153], v[138:139], v[150:151] op_sel:[0,0,1] op_sel_hi:[1,0,0]
	v_mov_b32_e32 v155, v151
	ds_load_2addr_b64 v[150:153], v196 offset0:56 offset1:57
	v_pk_add_f32 v[222:223], v[222:223], v[154:155] neg_lo:[0,1] neg_hi:[0,1]
	s_wait_dscnt 0x0
	v_pk_mul_f32 v[154:155], v[150:151], v[148:149] op_sel:[0,1]
	v_mul_f32_e32 v148, v153, v149
	s_delay_alu instid0(VALU_DEP_2) | instskip(SKIP_2) | instid1(VALU_DEP_4)
	v_pk_fma_f32 v[164:165], v[150:151], v[138:139], v[154:155] op_sel:[0,0,1] op_sel_hi:[1,1,0] neg_lo:[0,0,1] neg_hi:[0,0,1]
	v_pk_fma_f32 v[150:151], v[150:151], v[138:139], v[154:155] op_sel:[0,0,1] op_sel_hi:[1,0,0]
	v_dual_mov_b32 v150, v153 :: v_dual_mul_f32 v138, v153, v138
	v_pk_fma_f32 v[148:149], v[152:153], v[190:191], v[148:149] op_sel_hi:[1,1,0] neg_lo:[0,0,1] neg_hi:[0,0,1]
	s_delay_alu instid0(VALU_DEP_3) | instskip(NEXT) | instid1(VALU_DEP_1)
	v_dual_mov_b32 v165, v151 :: v_dual_mov_b32 v151, v152
	v_pk_add_f32 v[230:231], v[230:231], v[164:165] neg_lo:[0,1] neg_hi:[0,1]
	s_delay_alu instid0(VALU_DEP_2) | instskip(NEXT) | instid1(VALU_DEP_1)
	v_pk_fma_f32 v[138:139], v[150:151], v[190:191], v[138:139] op_sel_hi:[1,1,0]
	v_mov_b32_e32 v149, v139
	s_delay_alu instid0(VALU_DEP_1)
	v_pk_add_f32 v[232:233], v[232:233], v[148:149] neg_lo:[0,1] neg_hi:[0,1]
.LBB115_415:
	s_or_b32 exec_lo, exec_lo, s1
	s_delay_alu instid0(SALU_CYCLE_1)
	s_mov_b32 s2, exec_lo
	s_wait_dscnt 0x0
	s_barrier_signal -1
	s_barrier_wait -1
	v_cmpx_eq_u32_e32 46, v186
	s_cbranch_execz .LBB115_422
; %bb.416:
	ds_store_b64 v187, v[192:193]
	ds_store_2addr_b64 v196, v[188:189], v[212:213] offset0:47 offset1:48
	ds_store_2addr_b64 v196, v[208:209], v[210:211] offset0:49 offset1:50
	;; [unrolled: 1-line block ×5, first 2 shown]
	ds_store_b64 v196, v[232:233] offset:456
	ds_load_b64 v[138:139], v187
	s_wait_dscnt 0x0
	v_cmp_neq_f32_e32 vcc_lo, 0, v138
	v_cmp_neq_f32_e64 s1, 0, v139
	s_or_b32 s1, vcc_lo, s1
	s_delay_alu instid0(SALU_CYCLE_1)
	s_and_b32 exec_lo, exec_lo, s1
	s_cbranch_execz .LBB115_422
; %bb.417:
	v_cmp_ngt_f32_e64 s1, |v138|, |v139|
                                        ; implicit-def: $vgpr148_vgpr149
	s_and_saveexec_b32 s4, s1
	s_delay_alu instid0(SALU_CYCLE_1)
	s_xor_b32 s1, exec_lo, s4
	s_cbranch_execz .LBB115_419
; %bb.418:
	v_div_scale_f32 v148, null, v139, v139, v138
	v_div_scale_f32 v151, vcc_lo, v138, v139, v138
	s_delay_alu instid0(VALU_DEP_2) | instskip(SKIP_1) | instid1(TRANS32_DEP_1)
	v_rcp_f32_e32 v149, v148
	v_nop
	v_fma_f32 v150, -v148, v149, 1.0
	s_delay_alu instid0(VALU_DEP_1) | instskip(NEXT) | instid1(VALU_DEP_1)
	v_fmac_f32_e32 v149, v150, v149
	v_mul_f32_e32 v150, v151, v149
	s_delay_alu instid0(VALU_DEP_1) | instskip(NEXT) | instid1(VALU_DEP_1)
	v_fma_f32 v152, -v148, v150, v151
	v_fmac_f32_e32 v150, v152, v149
	s_delay_alu instid0(VALU_DEP_1) | instskip(NEXT) | instid1(VALU_DEP_1)
	v_fma_f32 v148, -v148, v150, v151
	v_div_fmas_f32 v148, v148, v149, v150
	s_delay_alu instid0(VALU_DEP_1) | instskip(NEXT) | instid1(VALU_DEP_1)
	v_div_fixup_f32 v148, v148, v139, v138
	v_fmac_f32_e32 v139, v138, v148
	s_delay_alu instid0(VALU_DEP_1) | instskip(SKIP_1) | instid1(VALU_DEP_2)
	v_div_scale_f32 v138, null, v139, v139, 1.0
	v_div_scale_f32 v151, vcc_lo, 1.0, v139, 1.0
	v_rcp_f32_e32 v149, v138
	v_nop
	s_delay_alu instid0(TRANS32_DEP_1) | instskip(NEXT) | instid1(VALU_DEP_1)
	v_fma_f32 v150, -v138, v149, 1.0
	v_fmac_f32_e32 v149, v150, v149
	s_delay_alu instid0(VALU_DEP_1) | instskip(NEXT) | instid1(VALU_DEP_1)
	v_mul_f32_e32 v150, v151, v149
	v_fma_f32 v152, -v138, v150, v151
	s_delay_alu instid0(VALU_DEP_1) | instskip(NEXT) | instid1(VALU_DEP_1)
	v_fmac_f32_e32 v150, v152, v149
	v_fma_f32 v138, -v138, v150, v151
	s_delay_alu instid0(VALU_DEP_1) | instskip(NEXT) | instid1(VALU_DEP_1)
	v_div_fmas_f32 v138, v138, v149, v150
	v_div_fixup_f32 v138, v138, v139, 1.0
	s_delay_alu instid0(VALU_DEP_1)
	v_mul_f32_e32 v148, v148, v138
	v_xor_b32_e32 v149, 0x80000000, v138
                                        ; implicit-def: $vgpr138_vgpr139
.LBB115_419:
	s_and_not1_saveexec_b32 s1, s1
	s_cbranch_execz .LBB115_421
; %bb.420:
	v_div_scale_f32 v148, null, v138, v138, v139
	v_div_scale_f32 v151, vcc_lo, v139, v138, v139
	s_delay_alu instid0(VALU_DEP_2) | instskip(SKIP_1) | instid1(TRANS32_DEP_1)
	v_rcp_f32_e32 v149, v148
	v_nop
	v_fma_f32 v150, -v148, v149, 1.0
	s_delay_alu instid0(VALU_DEP_1) | instskip(NEXT) | instid1(VALU_DEP_1)
	v_fmac_f32_e32 v149, v150, v149
	v_mul_f32_e32 v150, v151, v149
	s_delay_alu instid0(VALU_DEP_1) | instskip(NEXT) | instid1(VALU_DEP_1)
	v_fma_f32 v152, -v148, v150, v151
	v_fmac_f32_e32 v150, v152, v149
	s_delay_alu instid0(VALU_DEP_1) | instskip(NEXT) | instid1(VALU_DEP_1)
	v_fma_f32 v148, -v148, v150, v151
	v_div_fmas_f32 v148, v148, v149, v150
	s_delay_alu instid0(VALU_DEP_1) | instskip(NEXT) | instid1(VALU_DEP_1)
	v_div_fixup_f32 v149, v148, v138, v139
	v_fmac_f32_e32 v138, v139, v149
	s_delay_alu instid0(VALU_DEP_1) | instskip(NEXT) | instid1(VALU_DEP_1)
	v_div_scale_f32 v139, null, v138, v138, 1.0
	v_rcp_f32_e32 v148, v139
	v_nop
	s_delay_alu instid0(TRANS32_DEP_1) | instskip(NEXT) | instid1(VALU_DEP_1)
	v_fma_f32 v150, -v139, v148, 1.0
	v_fmac_f32_e32 v148, v150, v148
	v_div_scale_f32 v150, vcc_lo, 1.0, v138, 1.0
	s_delay_alu instid0(VALU_DEP_1) | instskip(NEXT) | instid1(VALU_DEP_1)
	v_mul_f32_e32 v151, v150, v148
	v_fma_f32 v152, -v139, v151, v150
	s_delay_alu instid0(VALU_DEP_1) | instskip(NEXT) | instid1(VALU_DEP_1)
	v_fmac_f32_e32 v151, v152, v148
	v_fma_f32 v139, -v139, v151, v150
	s_delay_alu instid0(VALU_DEP_1) | instskip(NEXT) | instid1(VALU_DEP_1)
	v_div_fmas_f32 v139, v139, v148, v151
	v_div_fixup_f32 v148, v139, v138, 1.0
	s_delay_alu instid0(VALU_DEP_1)
	v_mul_f32_e64 v149, v149, -v148
.LBB115_421:
	s_or_b32 exec_lo, exec_lo, s1
	ds_store_b64 v187, v[148:149]
.LBB115_422:
	s_or_b32 exec_lo, exec_lo, s2
	s_wait_dscnt 0x0
	s_barrier_signal -1
	s_barrier_wait -1
	ds_load_b64 v[138:139], v187
	s_mov_b32 s1, exec_lo
	v_cmpx_lt_u32_e32 46, v186
	s_cbranch_execz .LBB115_424
; %bb.423:
	ds_load_2addr_b64 v[152:155], v196 offset0:47 offset1:48
	s_wait_dscnt 0x1
	v_pk_mul_f32 v[150:151], v[138:139], v[192:193] op_sel:[1,1] op_sel_hi:[0,1]
	s_delay_alu instid0(VALU_DEP_1) | instskip(SKIP_1) | instid1(VALU_DEP_1)
	v_pk_fma_f32 v[148:149], v[138:139], v[192:193], v[150:151] op_sel_hi:[1,0,1] neg_lo:[0,0,1] neg_hi:[0,0,1]
	v_pk_fma_f32 v[150:151], v[138:139], v[192:193], v[150:151] op_sel_hi:[1,0,1]
	v_dual_mov_b32 v192, v148 :: v_dual_mov_b32 v193, v151
	s_wait_dscnt 0x0
	s_delay_alu instid0(VALU_DEP_2) | instskip(NEXT) | instid1(VALU_DEP_1)
	v_pk_mul_f32 v[164:165], v[152:153], v[150:151] op_sel:[0,1]
	v_pk_fma_f32 v[166:167], v[152:153], v[148:149], v[164:165] op_sel:[0,0,1] op_sel_hi:[1,1,0] neg_lo:[0,0,1] neg_hi:[0,0,1]
	v_pk_fma_f32 v[152:153], v[152:153], v[148:149], v[164:165] op_sel:[0,0,1] op_sel_hi:[1,0,0]
	s_delay_alu instid0(VALU_DEP_1) | instskip(SKIP_1) | instid1(VALU_DEP_1)
	v_mov_b32_e32 v167, v153
	v_pk_mul_f32 v[152:153], v[154:155], v[150:151] op_sel:[0,1]
	v_pk_fma_f32 v[164:165], v[154:155], v[148:149], v[152:153] op_sel:[0,0,1] op_sel_hi:[1,1,0] neg_lo:[0,0,1] neg_hi:[0,0,1]
	v_pk_fma_f32 v[152:153], v[154:155], v[148:149], v[152:153] op_sel:[0,0,1] op_sel_hi:[1,0,0]
	s_delay_alu instid0(VALU_DEP_1)
	v_mov_b32_e32 v165, v153
	ds_load_2addr_b64 v[152:155], v196 offset0:49 offset1:50
	v_pk_add_f32 v[188:189], v[188:189], v[166:167] neg_lo:[0,1] neg_hi:[0,1]
	v_pk_add_f32 v[212:213], v[212:213], v[164:165] neg_lo:[0,1] neg_hi:[0,1]
	s_wait_dscnt 0x0
	v_pk_mul_f32 v[164:165], v[152:153], v[150:151] op_sel:[0,1]
	s_delay_alu instid0(VALU_DEP_1) | instskip(SKIP_2) | instid1(VALU_DEP_2)
	v_pk_fma_f32 v[166:167], v[152:153], v[148:149], v[164:165] op_sel:[0,0,1] op_sel_hi:[1,1,0] neg_lo:[0,0,1] neg_hi:[0,0,1]
	v_pk_fma_f32 v[152:153], v[152:153], v[148:149], v[164:165] op_sel:[0,0,1] op_sel_hi:[1,0,0]
	v_dual_mul_f32 v164, v155, v151 :: v_dual_mov_b32 v152, v155
	v_dual_mov_b32 v167, v153 :: v_dual_mov_b32 v153, v154
	s_delay_alu instid0(VALU_DEP_2) | instskip(SKIP_1) | instid1(VALU_DEP_3)
	v_pk_fma_f32 v[164:165], v[154:155], v[192:193], v[164:165] op_sel_hi:[1,1,0] neg_lo:[0,0,1] neg_hi:[0,0,1]
	v_mul_f32_e32 v154, v155, v148
	v_pk_add_f32 v[208:209], v[208:209], v[166:167] neg_lo:[0,1] neg_hi:[0,1]
	s_delay_alu instid0(VALU_DEP_2) | instskip(NEXT) | instid1(VALU_DEP_1)
	v_pk_fma_f32 v[152:153], v[152:153], v[192:193], v[154:155] op_sel_hi:[1,1,0]
	v_mov_b32_e32 v165, v153
	ds_load_2addr_b64 v[152:155], v196 offset0:51 offset1:52
	v_pk_add_f32 v[210:211], v[210:211], v[164:165] neg_lo:[0,1] neg_hi:[0,1]
	s_wait_dscnt 0x0
	v_pk_mul_f32 v[164:165], v[152:153], v[150:151] op_sel:[0,1]
	s_delay_alu instid0(VALU_DEP_1) | instskip(SKIP_1) | instid1(VALU_DEP_1)
	v_pk_fma_f32 v[166:167], v[152:153], v[148:149], v[164:165] op_sel:[0,0,1] op_sel_hi:[1,1,0] neg_lo:[0,0,1] neg_hi:[0,0,1]
	v_pk_fma_f32 v[152:153], v[152:153], v[148:149], v[164:165] op_sel:[0,0,1] op_sel_hi:[1,0,0]
	v_mov_b32_e32 v167, v153
	v_pk_mul_f32 v[152:153], v[154:155], v[150:151] op_sel:[0,1]
	s_delay_alu instid0(VALU_DEP_1) | instskip(SKIP_1) | instid1(VALU_DEP_1)
	v_pk_fma_f32 v[164:165], v[154:155], v[148:149], v[152:153] op_sel:[0,0,1] op_sel_hi:[1,1,0] neg_lo:[0,0,1] neg_hi:[0,0,1]
	v_pk_fma_f32 v[152:153], v[154:155], v[148:149], v[152:153] op_sel:[0,0,1] op_sel_hi:[1,0,0]
	v_mov_b32_e32 v165, v153
	ds_load_2addr_b64 v[152:155], v196 offset0:53 offset1:54
	v_pk_add_f32 v[206:207], v[206:207], v[166:167] neg_lo:[0,1] neg_hi:[0,1]
	v_pk_add_f32 v[228:229], v[228:229], v[164:165] neg_lo:[0,1] neg_hi:[0,1]
	s_wait_dscnt 0x0
	v_pk_mul_f32 v[164:165], v[152:153], v[150:151] op_sel:[0,1]
	s_delay_alu instid0(VALU_DEP_1) | instskip(SKIP_1) | instid1(VALU_DEP_1)
	v_pk_fma_f32 v[166:167], v[152:153], v[148:149], v[164:165] op_sel:[0,0,1] op_sel_hi:[1,1,0] neg_lo:[0,0,1] neg_hi:[0,0,1]
	v_pk_fma_f32 v[152:153], v[152:153], v[148:149], v[164:165] op_sel:[0,0,1] op_sel_hi:[1,0,0]
	v_mov_b32_e32 v167, v153
	v_pk_mul_f32 v[152:153], v[154:155], v[150:151] op_sel:[0,1]
	s_delay_alu instid0(VALU_DEP_1) | instskip(SKIP_1) | instid1(VALU_DEP_1)
	v_pk_fma_f32 v[164:165], v[154:155], v[148:149], v[152:153] op_sel:[0,0,1] op_sel_hi:[1,1,0] neg_lo:[0,0,1] neg_hi:[0,0,1]
	v_pk_fma_f32 v[152:153], v[154:155], v[148:149], v[152:153] op_sel:[0,0,1] op_sel_hi:[1,0,0]
	v_mov_b32_e32 v165, v153
	ds_load_2addr_b64 v[152:155], v196 offset0:55 offset1:56
	v_pk_add_f32 v[224:225], v[224:225], v[166:167] neg_lo:[0,1] neg_hi:[0,1]
	v_pk_add_f32 v[226:227], v[226:227], v[164:165] neg_lo:[0,1] neg_hi:[0,1]
	s_wait_dscnt 0x0
	v_dual_mul_f32 v164, v153, v151 :: v_dual_mul_f32 v166, v153, v148
	s_delay_alu instid0(VALU_DEP_1) | instskip(NEXT) | instid1(VALU_DEP_2)
	v_pk_fma_f32 v[164:165], v[152:153], v[192:193], v[164:165] op_sel_hi:[1,1,0] neg_lo:[0,0,1] neg_hi:[0,0,1]
	v_pk_fma_f32 v[152:153], v[152:153], v[192:193], v[166:167] op_sel:[1,0,0] op_sel_hi:[0,1,0]
	s_delay_alu instid0(VALU_DEP_1) | instskip(SKIP_1) | instid1(VALU_DEP_2)
	v_mov_b32_e32 v165, v153
	v_pk_mul_f32 v[152:153], v[154:155], v[150:151] op_sel:[0,1]
	v_pk_add_f32 v[222:223], v[222:223], v[164:165] neg_lo:[0,1] neg_hi:[0,1]
	s_delay_alu instid0(VALU_DEP_2) | instskip(SKIP_1) | instid1(VALU_DEP_1)
	v_pk_fma_f32 v[164:165], v[154:155], v[148:149], v[152:153] op_sel:[0,0,1] op_sel_hi:[1,1,0] neg_lo:[0,0,1] neg_hi:[0,0,1]
	v_pk_fma_f32 v[152:153], v[154:155], v[148:149], v[152:153] op_sel:[0,0,1] op_sel_hi:[1,0,0]
	v_mov_b32_e32 v165, v153
	ds_load_b64 v[152:153], v196 offset:456
	v_pk_add_f32 v[230:231], v[230:231], v[164:165] neg_lo:[0,1] neg_hi:[0,1]
	s_wait_dscnt 0x0
	v_pk_mul_f32 v[150:151], v[152:153], v[150:151] op_sel:[0,1]
	s_delay_alu instid0(VALU_DEP_1) | instskip(SKIP_1) | instid1(VALU_DEP_1)
	v_pk_fma_f32 v[154:155], v[152:153], v[148:149], v[150:151] op_sel:[0,0,1] op_sel_hi:[1,1,0] neg_lo:[0,0,1] neg_hi:[0,0,1]
	v_pk_fma_f32 v[148:149], v[152:153], v[148:149], v[150:151] op_sel:[0,0,1] op_sel_hi:[1,0,0]
	v_mov_b32_e32 v155, v149
	s_delay_alu instid0(VALU_DEP_1)
	v_pk_add_f32 v[232:233], v[232:233], v[154:155] neg_lo:[0,1] neg_hi:[0,1]
.LBB115_424:
	s_or_b32 exec_lo, exec_lo, s1
	s_delay_alu instid0(SALU_CYCLE_1)
	s_mov_b32 s2, exec_lo
	s_wait_dscnt 0x0
	s_barrier_signal -1
	s_barrier_wait -1
	v_cmpx_eq_u32_e32 47, v186
	s_cbranch_execz .LBB115_431
; %bb.425:
	v_dual_mov_b32 v148, v212 :: v_dual_mov_b32 v149, v213
	v_dual_mov_b32 v150, v208 :: v_dual_mov_b32 v151, v209
	ds_store_b64 v187, v[188:189]
	ds_store_2addr_b64 v196, v[148:149], v[150:151] offset0:48 offset1:49
	v_dual_mov_b32 v148, v210 :: v_dual_mov_b32 v149, v211
	v_dual_mov_b32 v150, v206 :: v_dual_mov_b32 v151, v207
	ds_store_2addr_b64 v196, v[148:149], v[150:151] offset0:50 offset1:51
	v_dual_mov_b32 v148, v228 :: v_dual_mov_b32 v149, v229
	v_dual_mov_b32 v150, v224 :: v_dual_mov_b32 v151, v225
	;; [unrolled: 3-line block ×3, first 2 shown]
	ds_store_2addr_b64 v196, v[148:149], v[150:151] offset0:54 offset1:55
	v_dual_mov_b32 v148, v230 :: v_dual_mov_b32 v149, v231
	ds_store_2addr_b64 v196, v[148:149], v[232:233] offset0:56 offset1:57
	ds_load_b64 v[148:149], v187
	s_wait_dscnt 0x0
	v_cmp_neq_f32_e32 vcc_lo, 0, v148
	v_cmp_neq_f32_e64 s1, 0, v149
	s_or_b32 s1, vcc_lo, s1
	s_delay_alu instid0(SALU_CYCLE_1)
	s_and_b32 exec_lo, exec_lo, s1
	s_cbranch_execz .LBB115_431
; %bb.426:
	v_cmp_ngt_f32_e64 s1, |v148|, |v149|
                                        ; implicit-def: $vgpr150_vgpr151
	s_and_saveexec_b32 s4, s1
	s_delay_alu instid0(SALU_CYCLE_1)
	s_xor_b32 s1, exec_lo, s4
	s_cbranch_execz .LBB115_428
; %bb.427:
	v_div_scale_f32 v150, null, v149, v149, v148
	v_div_scale_f32 v153, vcc_lo, v148, v149, v148
	s_delay_alu instid0(VALU_DEP_2) | instskip(SKIP_1) | instid1(TRANS32_DEP_1)
	v_rcp_f32_e32 v151, v150
	v_nop
	v_fma_f32 v152, -v150, v151, 1.0
	s_delay_alu instid0(VALU_DEP_1) | instskip(NEXT) | instid1(VALU_DEP_1)
	v_fmac_f32_e32 v151, v152, v151
	v_mul_f32_e32 v152, v153, v151
	s_delay_alu instid0(VALU_DEP_1) | instskip(NEXT) | instid1(VALU_DEP_1)
	v_fma_f32 v154, -v150, v152, v153
	v_fmac_f32_e32 v152, v154, v151
	s_delay_alu instid0(VALU_DEP_1) | instskip(NEXT) | instid1(VALU_DEP_1)
	v_fma_f32 v150, -v150, v152, v153
	v_div_fmas_f32 v150, v150, v151, v152
	s_delay_alu instid0(VALU_DEP_1) | instskip(NEXT) | instid1(VALU_DEP_1)
	v_div_fixup_f32 v150, v150, v149, v148
	v_fmac_f32_e32 v149, v148, v150
	s_delay_alu instid0(VALU_DEP_1) | instskip(SKIP_1) | instid1(VALU_DEP_2)
	v_div_scale_f32 v148, null, v149, v149, 1.0
	v_div_scale_f32 v153, vcc_lo, 1.0, v149, 1.0
	v_rcp_f32_e32 v151, v148
	v_nop
	s_delay_alu instid0(TRANS32_DEP_1) | instskip(NEXT) | instid1(VALU_DEP_1)
	v_fma_f32 v152, -v148, v151, 1.0
	v_fmac_f32_e32 v151, v152, v151
	s_delay_alu instid0(VALU_DEP_1) | instskip(NEXT) | instid1(VALU_DEP_1)
	v_mul_f32_e32 v152, v153, v151
	v_fma_f32 v154, -v148, v152, v153
	s_delay_alu instid0(VALU_DEP_1) | instskip(NEXT) | instid1(VALU_DEP_1)
	v_fmac_f32_e32 v152, v154, v151
	v_fma_f32 v148, -v148, v152, v153
	s_delay_alu instid0(VALU_DEP_1) | instskip(NEXT) | instid1(VALU_DEP_1)
	v_div_fmas_f32 v148, v148, v151, v152
	v_div_fixup_f32 v148, v148, v149, 1.0
	s_delay_alu instid0(VALU_DEP_1)
	v_mul_f32_e32 v150, v150, v148
	v_xor_b32_e32 v151, 0x80000000, v148
                                        ; implicit-def: $vgpr148_vgpr149
.LBB115_428:
	s_and_not1_saveexec_b32 s1, s1
	s_cbranch_execz .LBB115_430
; %bb.429:
	v_div_scale_f32 v150, null, v148, v148, v149
	v_div_scale_f32 v153, vcc_lo, v149, v148, v149
	s_delay_alu instid0(VALU_DEP_2) | instskip(SKIP_1) | instid1(TRANS32_DEP_1)
	v_rcp_f32_e32 v151, v150
	v_nop
	v_fma_f32 v152, -v150, v151, 1.0
	s_delay_alu instid0(VALU_DEP_1) | instskip(NEXT) | instid1(VALU_DEP_1)
	v_fmac_f32_e32 v151, v152, v151
	v_mul_f32_e32 v152, v153, v151
	s_delay_alu instid0(VALU_DEP_1) | instskip(NEXT) | instid1(VALU_DEP_1)
	v_fma_f32 v154, -v150, v152, v153
	v_fmac_f32_e32 v152, v154, v151
	s_delay_alu instid0(VALU_DEP_1) | instskip(NEXT) | instid1(VALU_DEP_1)
	v_fma_f32 v150, -v150, v152, v153
	v_div_fmas_f32 v150, v150, v151, v152
	s_delay_alu instid0(VALU_DEP_1) | instskip(NEXT) | instid1(VALU_DEP_1)
	v_div_fixup_f32 v151, v150, v148, v149
	v_fmac_f32_e32 v148, v149, v151
	s_delay_alu instid0(VALU_DEP_1) | instskip(NEXT) | instid1(VALU_DEP_1)
	v_div_scale_f32 v149, null, v148, v148, 1.0
	v_rcp_f32_e32 v150, v149
	v_nop
	s_delay_alu instid0(TRANS32_DEP_1) | instskip(NEXT) | instid1(VALU_DEP_1)
	v_fma_f32 v152, -v149, v150, 1.0
	v_fmac_f32_e32 v150, v152, v150
	v_div_scale_f32 v152, vcc_lo, 1.0, v148, 1.0
	s_delay_alu instid0(VALU_DEP_1) | instskip(NEXT) | instid1(VALU_DEP_1)
	v_mul_f32_e32 v153, v152, v150
	v_fma_f32 v154, -v149, v153, v152
	s_delay_alu instid0(VALU_DEP_1) | instskip(NEXT) | instid1(VALU_DEP_1)
	v_fmac_f32_e32 v153, v154, v150
	v_fma_f32 v149, -v149, v153, v152
	s_delay_alu instid0(VALU_DEP_1) | instskip(NEXT) | instid1(VALU_DEP_1)
	v_div_fmas_f32 v149, v149, v150, v153
	v_div_fixup_f32 v150, v149, v148, 1.0
	s_delay_alu instid0(VALU_DEP_1)
	v_mul_f32_e64 v151, v151, -v150
.LBB115_430:
	s_or_b32 exec_lo, exec_lo, s1
	ds_store_b64 v187, v[150:151]
.LBB115_431:
	s_or_b32 exec_lo, exec_lo, s2
	s_wait_dscnt 0x0
	s_barrier_signal -1
	s_barrier_wait -1
	ds_load_b64 v[148:149], v187
	s_mov_b32 s1, exec_lo
	v_cmpx_lt_u32_e32 47, v186
	s_cbranch_execz .LBB115_433
; %bb.432:
	ds_load_2addr_b64 v[164:167], v196 offset0:48 offset1:49
	s_wait_dscnt 0x1
	v_pk_mul_f32 v[152:153], v[148:149], v[188:189] op_sel:[1,1] op_sel_hi:[0,1]
	s_delay_alu instid0(VALU_DEP_1) | instskip(SKIP_1) | instid1(VALU_DEP_1)
	v_pk_fma_f32 v[150:151], v[148:149], v[188:189], v[152:153] op_sel_hi:[1,0,1] neg_lo:[0,0,1] neg_hi:[0,0,1]
	v_pk_fma_f32 v[152:153], v[148:149], v[188:189], v[152:153] op_sel_hi:[1,0,1]
	v_dual_mov_b32 v188, v150 :: v_dual_mov_b32 v189, v153
	s_wait_dscnt 0x0
	s_delay_alu instid0(VALU_DEP_2) | instskip(NEXT) | instid1(VALU_DEP_1)
	v_pk_mul_f32 v[154:155], v[164:165], v[152:153] op_sel:[0,1]
	v_pk_fma_f32 v[168:169], v[164:165], v[150:151], v[154:155] op_sel:[0,0,1] op_sel_hi:[1,1,0] neg_lo:[0,0,1] neg_hi:[0,0,1]
	v_pk_fma_f32 v[154:155], v[164:165], v[150:151], v[154:155] op_sel:[0,0,1] op_sel_hi:[1,0,0]
	s_delay_alu instid0(VALU_DEP_1) | instskip(SKIP_1) | instid1(VALU_DEP_1)
	v_mov_b32_e32 v169, v155
	v_pk_mul_f32 v[154:155], v[166:167], v[152:153] op_sel:[0,1]
	v_pk_fma_f32 v[164:165], v[166:167], v[150:151], v[154:155] op_sel:[0,0,1] op_sel_hi:[1,1,0] neg_lo:[0,0,1] neg_hi:[0,0,1]
	v_pk_fma_f32 v[154:155], v[166:167], v[150:151], v[154:155] op_sel:[0,0,1] op_sel_hi:[1,0,0]
	s_delay_alu instid0(VALU_DEP_1) | instskip(SKIP_1) | instid1(VALU_DEP_2)
	v_mov_b32_e32 v165, v155
	v_pk_add_f32 v[212:213], v[212:213], v[168:169] neg_lo:[0,1] neg_hi:[0,1]
	v_pk_add_f32 v[208:209], v[208:209], v[164:165] neg_lo:[0,1] neg_hi:[0,1]
	ds_load_2addr_b64 v[164:167], v196 offset0:50 offset1:51
	s_wait_dscnt 0x0
	v_pk_mul_f32 v[154:155], v[164:165], v[152:153] op_sel:[0,1]
	s_delay_alu instid0(VALU_DEP_1) | instskip(SKIP_2) | instid1(VALU_DEP_2)
	v_pk_fma_f32 v[168:169], v[164:165], v[150:151], v[154:155] op_sel:[0,0,1] op_sel_hi:[1,1,0] neg_lo:[0,0,1] neg_hi:[0,0,1]
	v_pk_fma_f32 v[154:155], v[164:165], v[150:151], v[154:155] op_sel:[0,0,1] op_sel_hi:[1,0,0]
	v_dual_mul_f32 v164, v167, v153 :: v_dual_mov_b32 v154, v167
	v_dual_mov_b32 v169, v155 :: v_dual_mov_b32 v155, v166
	s_delay_alu instid0(VALU_DEP_2) | instskip(SKIP_1) | instid1(VALU_DEP_3)
	v_pk_fma_f32 v[164:165], v[166:167], v[188:189], v[164:165] op_sel_hi:[1,1,0] neg_lo:[0,0,1] neg_hi:[0,0,1]
	v_mul_f32_e32 v166, v167, v150
	v_pk_add_f32 v[210:211], v[210:211], v[168:169] neg_lo:[0,1] neg_hi:[0,1]
	s_delay_alu instid0(VALU_DEP_2) | instskip(NEXT) | instid1(VALU_DEP_1)
	v_pk_fma_f32 v[154:155], v[154:155], v[188:189], v[166:167] op_sel_hi:[1,1,0]
	v_mov_b32_e32 v165, v155
	s_delay_alu instid0(VALU_DEP_1) | instskip(SKIP_3) | instid1(VALU_DEP_1)
	v_pk_add_f32 v[206:207], v[206:207], v[164:165] neg_lo:[0,1] neg_hi:[0,1]
	ds_load_2addr_b64 v[164:167], v196 offset0:52 offset1:53
	s_wait_dscnt 0x0
	v_pk_mul_f32 v[154:155], v[164:165], v[152:153] op_sel:[0,1]
	v_pk_fma_f32 v[168:169], v[164:165], v[150:151], v[154:155] op_sel:[0,0,1] op_sel_hi:[1,1,0] neg_lo:[0,0,1] neg_hi:[0,0,1]
	v_pk_fma_f32 v[154:155], v[164:165], v[150:151], v[154:155] op_sel:[0,0,1] op_sel_hi:[1,0,0]
	s_delay_alu instid0(VALU_DEP_1) | instskip(SKIP_1) | instid1(VALU_DEP_2)
	v_mov_b32_e32 v169, v155
	v_pk_mul_f32 v[154:155], v[166:167], v[152:153] op_sel:[0,1]
	v_pk_add_f32 v[228:229], v[228:229], v[168:169] neg_lo:[0,1] neg_hi:[0,1]
	s_delay_alu instid0(VALU_DEP_2) | instskip(SKIP_1) | instid1(VALU_DEP_1)
	v_pk_fma_f32 v[164:165], v[166:167], v[150:151], v[154:155] op_sel:[0,0,1] op_sel_hi:[1,1,0] neg_lo:[0,0,1] neg_hi:[0,0,1]
	v_pk_fma_f32 v[154:155], v[166:167], v[150:151], v[154:155] op_sel:[0,0,1] op_sel_hi:[1,0,0]
	v_mov_b32_e32 v165, v155
	s_delay_alu instid0(VALU_DEP_1) | instskip(SKIP_3) | instid1(VALU_DEP_1)
	v_pk_add_f32 v[224:225], v[224:225], v[164:165] neg_lo:[0,1] neg_hi:[0,1]
	ds_load_2addr_b64 v[164:167], v196 offset0:54 offset1:55
	s_wait_dscnt 0x0
	v_pk_mul_f32 v[154:155], v[164:165], v[152:153] op_sel:[0,1]
	v_pk_fma_f32 v[168:169], v[164:165], v[150:151], v[154:155] op_sel:[0,0,1] op_sel_hi:[1,1,0] neg_lo:[0,0,1] neg_hi:[0,0,1]
	v_pk_fma_f32 v[154:155], v[164:165], v[150:151], v[154:155] op_sel:[0,0,1] op_sel_hi:[1,0,0]
	s_delay_alu instid0(VALU_DEP_1) | instskip(SKIP_1) | instid1(VALU_DEP_2)
	v_mov_b32_e32 v169, v155
	v_pk_mul_f32 v[154:155], v[166:167], v[152:153] op_sel:[0,1]
	v_pk_add_f32 v[226:227], v[226:227], v[168:169] neg_lo:[0,1] neg_hi:[0,1]
	s_delay_alu instid0(VALU_DEP_2) | instskip(SKIP_1) | instid1(VALU_DEP_1)
	v_pk_fma_f32 v[164:165], v[166:167], v[150:151], v[154:155] op_sel:[0,0,1] op_sel_hi:[1,1,0] neg_lo:[0,0,1] neg_hi:[0,0,1]
	v_pk_fma_f32 v[154:155], v[166:167], v[150:151], v[154:155] op_sel:[0,0,1] op_sel_hi:[1,0,0]
	v_mov_b32_e32 v165, v155
	s_delay_alu instid0(VALU_DEP_1) | instskip(SKIP_4) | instid1(VALU_DEP_2)
	v_pk_add_f32 v[222:223], v[222:223], v[164:165] neg_lo:[0,1] neg_hi:[0,1]
	ds_load_2addr_b64 v[164:167], v196 offset0:56 offset1:57
	s_wait_dscnt 0x0
	v_dual_mul_f32 v154, v165, v153 :: v_dual_mul_f32 v168, v165, v150
	v_pk_mul_f32 v[152:153], v[166:167], v[152:153] op_sel:[0,1]
	v_pk_fma_f32 v[154:155], v[164:165], v[188:189], v[154:155] op_sel_hi:[1,1,0] neg_lo:[0,0,1] neg_hi:[0,0,1]
	s_delay_alu instid0(VALU_DEP_3) | instskip(NEXT) | instid1(VALU_DEP_1)
	v_pk_fma_f32 v[164:165], v[164:165], v[188:189], v[168:169] op_sel:[1,0,0] op_sel_hi:[0,1,0]
	v_mov_b32_e32 v155, v165
	s_delay_alu instid0(VALU_DEP_1) | instskip(SKIP_2) | instid1(VALU_DEP_1)
	v_pk_add_f32 v[230:231], v[230:231], v[154:155] neg_lo:[0,1] neg_hi:[0,1]
	v_pk_fma_f32 v[154:155], v[166:167], v[150:151], v[152:153] op_sel:[0,0,1] op_sel_hi:[1,1,0] neg_lo:[0,0,1] neg_hi:[0,0,1]
	v_pk_fma_f32 v[150:151], v[166:167], v[150:151], v[152:153] op_sel:[0,0,1] op_sel_hi:[1,0,0]
	v_mov_b32_e32 v155, v151
	s_delay_alu instid0(VALU_DEP_1)
	v_pk_add_f32 v[232:233], v[232:233], v[154:155] neg_lo:[0,1] neg_hi:[0,1]
.LBB115_433:
	s_or_b32 exec_lo, exec_lo, s1
	s_delay_alu instid0(SALU_CYCLE_1)
	s_mov_b32 s2, exec_lo
	s_wait_dscnt 0x0
	s_barrier_signal -1
	s_barrier_wait -1
	v_cmpx_eq_u32_e32 48, v186
	s_cbranch_execz .LBB115_440
; %bb.434:
	ds_store_b64 v187, v[212:213]
	ds_store_2addr_b64 v196, v[208:209], v[210:211] offset0:49 offset1:50
	ds_store_2addr_b64 v196, v[206:207], v[228:229] offset0:51 offset1:52
	;; [unrolled: 1-line block ×4, first 2 shown]
	ds_store_b64 v196, v[232:233] offset:456
	ds_load_b64 v[150:151], v187
	s_wait_dscnt 0x0
	v_cmp_neq_f32_e32 vcc_lo, 0, v150
	v_cmp_neq_f32_e64 s1, 0, v151
	s_or_b32 s1, vcc_lo, s1
	s_delay_alu instid0(SALU_CYCLE_1)
	s_and_b32 exec_lo, exec_lo, s1
	s_cbranch_execz .LBB115_440
; %bb.435:
	v_cmp_ngt_f32_e64 s1, |v150|, |v151|
                                        ; implicit-def: $vgpr152_vgpr153
	s_and_saveexec_b32 s4, s1
	s_delay_alu instid0(SALU_CYCLE_1)
	s_xor_b32 s1, exec_lo, s4
	s_cbranch_execz .LBB115_437
; %bb.436:
	v_div_scale_f32 v152, null, v151, v151, v150
	v_div_scale_f32 v155, vcc_lo, v150, v151, v150
	s_delay_alu instid0(VALU_DEP_2) | instskip(SKIP_1) | instid1(TRANS32_DEP_1)
	v_rcp_f32_e32 v153, v152
	v_nop
	v_fma_f32 v154, -v152, v153, 1.0
	s_delay_alu instid0(VALU_DEP_1) | instskip(NEXT) | instid1(VALU_DEP_1)
	v_fmac_f32_e32 v153, v154, v153
	v_mul_f32_e32 v154, v155, v153
	s_delay_alu instid0(VALU_DEP_1) | instskip(NEXT) | instid1(VALU_DEP_1)
	v_fma_f32 v164, -v152, v154, v155
	v_fmac_f32_e32 v154, v164, v153
	s_delay_alu instid0(VALU_DEP_1) | instskip(NEXT) | instid1(VALU_DEP_1)
	v_fma_f32 v152, -v152, v154, v155
	v_div_fmas_f32 v152, v152, v153, v154
	s_delay_alu instid0(VALU_DEP_1) | instskip(NEXT) | instid1(VALU_DEP_1)
	v_div_fixup_f32 v152, v152, v151, v150
	v_fmac_f32_e32 v151, v150, v152
	s_delay_alu instid0(VALU_DEP_1) | instskip(SKIP_1) | instid1(VALU_DEP_2)
	v_div_scale_f32 v150, null, v151, v151, 1.0
	v_div_scale_f32 v155, vcc_lo, 1.0, v151, 1.0
	v_rcp_f32_e32 v153, v150
	v_nop
	s_delay_alu instid0(TRANS32_DEP_1) | instskip(NEXT) | instid1(VALU_DEP_1)
	v_fma_f32 v154, -v150, v153, 1.0
	v_fmac_f32_e32 v153, v154, v153
	s_delay_alu instid0(VALU_DEP_1) | instskip(NEXT) | instid1(VALU_DEP_1)
	v_mul_f32_e32 v154, v155, v153
	v_fma_f32 v164, -v150, v154, v155
	s_delay_alu instid0(VALU_DEP_1) | instskip(NEXT) | instid1(VALU_DEP_1)
	v_fmac_f32_e32 v154, v164, v153
	v_fma_f32 v150, -v150, v154, v155
	s_delay_alu instid0(VALU_DEP_1) | instskip(NEXT) | instid1(VALU_DEP_1)
	v_div_fmas_f32 v150, v150, v153, v154
	v_div_fixup_f32 v150, v150, v151, 1.0
	s_delay_alu instid0(VALU_DEP_1)
	v_mul_f32_e32 v152, v152, v150
	v_xor_b32_e32 v153, 0x80000000, v150
                                        ; implicit-def: $vgpr150_vgpr151
.LBB115_437:
	s_and_not1_saveexec_b32 s1, s1
	s_cbranch_execz .LBB115_439
; %bb.438:
	v_div_scale_f32 v152, null, v150, v150, v151
	v_div_scale_f32 v155, vcc_lo, v151, v150, v151
	s_delay_alu instid0(VALU_DEP_2) | instskip(SKIP_1) | instid1(TRANS32_DEP_1)
	v_rcp_f32_e32 v153, v152
	v_nop
	v_fma_f32 v154, -v152, v153, 1.0
	s_delay_alu instid0(VALU_DEP_1) | instskip(NEXT) | instid1(VALU_DEP_1)
	v_fmac_f32_e32 v153, v154, v153
	v_mul_f32_e32 v154, v155, v153
	s_delay_alu instid0(VALU_DEP_1) | instskip(NEXT) | instid1(VALU_DEP_1)
	v_fma_f32 v164, -v152, v154, v155
	v_fmac_f32_e32 v154, v164, v153
	s_delay_alu instid0(VALU_DEP_1) | instskip(NEXT) | instid1(VALU_DEP_1)
	v_fma_f32 v152, -v152, v154, v155
	v_div_fmas_f32 v152, v152, v153, v154
	s_delay_alu instid0(VALU_DEP_1) | instskip(NEXT) | instid1(VALU_DEP_1)
	v_div_fixup_f32 v153, v152, v150, v151
	v_fmac_f32_e32 v150, v151, v153
	s_delay_alu instid0(VALU_DEP_1) | instskip(NEXT) | instid1(VALU_DEP_1)
	v_div_scale_f32 v151, null, v150, v150, 1.0
	v_rcp_f32_e32 v152, v151
	v_nop
	s_delay_alu instid0(TRANS32_DEP_1) | instskip(NEXT) | instid1(VALU_DEP_1)
	v_fma_f32 v154, -v151, v152, 1.0
	v_fmac_f32_e32 v152, v154, v152
	v_div_scale_f32 v154, vcc_lo, 1.0, v150, 1.0
	s_delay_alu instid0(VALU_DEP_1) | instskip(NEXT) | instid1(VALU_DEP_1)
	v_mul_f32_e32 v155, v154, v152
	v_fma_f32 v164, -v151, v155, v154
	s_delay_alu instid0(VALU_DEP_1) | instskip(NEXT) | instid1(VALU_DEP_1)
	v_fmac_f32_e32 v155, v164, v152
	v_fma_f32 v151, -v151, v155, v154
	s_delay_alu instid0(VALU_DEP_1) | instskip(NEXT) | instid1(VALU_DEP_1)
	v_div_fmas_f32 v151, v151, v152, v155
	v_div_fixup_f32 v152, v151, v150, 1.0
	s_delay_alu instid0(VALU_DEP_1)
	v_mul_f32_e64 v153, v153, -v152
.LBB115_439:
	s_or_b32 exec_lo, exec_lo, s1
	ds_store_b64 v187, v[152:153]
.LBB115_440:
	s_or_b32 exec_lo, exec_lo, s2
	s_wait_dscnt 0x0
	s_barrier_signal -1
	s_barrier_wait -1
	ds_load_b64 v[150:151], v187
	s_mov_b32 s1, exec_lo
	v_cmpx_lt_u32_e32 48, v186
	s_cbranch_execz .LBB115_442
; %bb.441:
	ds_load_2addr_b64 v[164:167], v196 offset0:49 offset1:50
	s_wait_dscnt 0x1
	v_pk_mul_f32 v[154:155], v[150:151], v[212:213] op_sel:[1,1] op_sel_hi:[0,1]
	s_delay_alu instid0(VALU_DEP_1) | instskip(SKIP_1) | instid1(VALU_DEP_1)
	v_pk_fma_f32 v[152:153], v[150:151], v[212:213], v[154:155] op_sel_hi:[1,0,1] neg_lo:[0,0,1] neg_hi:[0,0,1]
	v_pk_fma_f32 v[154:155], v[150:151], v[212:213], v[154:155] op_sel_hi:[1,0,1]
	v_dual_mov_b32 v212, v152 :: v_dual_mov_b32 v213, v155
	s_wait_dscnt 0x0
	s_delay_alu instid0(VALU_DEP_2) | instskip(NEXT) | instid1(VALU_DEP_1)
	v_pk_mul_f32 v[168:169], v[164:165], v[154:155] op_sel:[0,1]
	v_pk_fma_f32 v[170:171], v[164:165], v[152:153], v[168:169] op_sel:[0,0,1] op_sel_hi:[1,1,0] neg_lo:[0,0,1] neg_hi:[0,0,1]
	v_pk_fma_f32 v[164:165], v[164:165], v[152:153], v[168:169] op_sel:[0,0,1] op_sel_hi:[1,0,0]
	s_delay_alu instid0(VALU_DEP_1) | instskip(SKIP_1) | instid1(VALU_DEP_1)
	v_mov_b32_e32 v171, v165
	v_pk_mul_f32 v[164:165], v[166:167], v[154:155] op_sel:[0,1]
	v_pk_fma_f32 v[168:169], v[166:167], v[152:153], v[164:165] op_sel:[0,0,1] op_sel_hi:[1,1,0] neg_lo:[0,0,1] neg_hi:[0,0,1]
	v_pk_fma_f32 v[164:165], v[166:167], v[152:153], v[164:165] op_sel:[0,0,1] op_sel_hi:[1,0,0]
	s_delay_alu instid0(VALU_DEP_1)
	v_mov_b32_e32 v169, v165
	ds_load_2addr_b64 v[164:167], v196 offset0:51 offset1:52
	v_pk_add_f32 v[208:209], v[208:209], v[170:171] neg_lo:[0,1] neg_hi:[0,1]
	v_pk_add_f32 v[210:211], v[210:211], v[168:169] neg_lo:[0,1] neg_hi:[0,1]
	s_wait_dscnt 0x0
	v_pk_mul_f32 v[168:169], v[164:165], v[154:155] op_sel:[0,1]
	s_delay_alu instid0(VALU_DEP_1) | instskip(SKIP_2) | instid1(VALU_DEP_2)
	v_pk_fma_f32 v[170:171], v[164:165], v[152:153], v[168:169] op_sel:[0,0,1] op_sel_hi:[1,1,0] neg_lo:[0,0,1] neg_hi:[0,0,1]
	v_pk_fma_f32 v[164:165], v[164:165], v[152:153], v[168:169] op_sel:[0,0,1] op_sel_hi:[1,0,0]
	v_dual_mul_f32 v168, v167, v155 :: v_dual_mov_b32 v164, v167
	v_dual_mov_b32 v171, v165 :: v_dual_mov_b32 v165, v166
	s_delay_alu instid0(VALU_DEP_2) | instskip(SKIP_1) | instid1(VALU_DEP_3)
	v_pk_fma_f32 v[168:169], v[166:167], v[212:213], v[168:169] op_sel_hi:[1,1,0] neg_lo:[0,0,1] neg_hi:[0,0,1]
	v_mul_f32_e32 v166, v167, v152
	v_pk_add_f32 v[206:207], v[206:207], v[170:171] neg_lo:[0,1] neg_hi:[0,1]
	s_delay_alu instid0(VALU_DEP_2) | instskip(NEXT) | instid1(VALU_DEP_1)
	v_pk_fma_f32 v[164:165], v[164:165], v[212:213], v[166:167] op_sel_hi:[1,1,0]
	v_mov_b32_e32 v169, v165
	ds_load_2addr_b64 v[164:167], v196 offset0:53 offset1:54
	v_pk_add_f32 v[228:229], v[228:229], v[168:169] neg_lo:[0,1] neg_hi:[0,1]
	s_wait_dscnt 0x0
	v_pk_mul_f32 v[168:169], v[164:165], v[154:155] op_sel:[0,1]
	s_delay_alu instid0(VALU_DEP_1) | instskip(SKIP_1) | instid1(VALU_DEP_1)
	v_pk_fma_f32 v[170:171], v[164:165], v[152:153], v[168:169] op_sel:[0,0,1] op_sel_hi:[1,1,0] neg_lo:[0,0,1] neg_hi:[0,0,1]
	v_pk_fma_f32 v[164:165], v[164:165], v[152:153], v[168:169] op_sel:[0,0,1] op_sel_hi:[1,0,0]
	v_mov_b32_e32 v171, v165
	v_pk_mul_f32 v[164:165], v[166:167], v[154:155] op_sel:[0,1]
	s_delay_alu instid0(VALU_DEP_1) | instskip(SKIP_1) | instid1(VALU_DEP_1)
	v_pk_fma_f32 v[168:169], v[166:167], v[152:153], v[164:165] op_sel:[0,0,1] op_sel_hi:[1,1,0] neg_lo:[0,0,1] neg_hi:[0,0,1]
	v_pk_fma_f32 v[164:165], v[166:167], v[152:153], v[164:165] op_sel:[0,0,1] op_sel_hi:[1,0,0]
	v_mov_b32_e32 v169, v165
	ds_load_2addr_b64 v[164:167], v196 offset0:55 offset1:56
	v_pk_add_f32 v[224:225], v[224:225], v[170:171] neg_lo:[0,1] neg_hi:[0,1]
	v_pk_add_f32 v[226:227], v[226:227], v[168:169] neg_lo:[0,1] neg_hi:[0,1]
	s_wait_dscnt 0x0
	v_pk_mul_f32 v[168:169], v[164:165], v[154:155] op_sel:[0,1]
	s_delay_alu instid0(VALU_DEP_1) | instskip(SKIP_1) | instid1(VALU_DEP_1)
	v_pk_fma_f32 v[170:171], v[164:165], v[152:153], v[168:169] op_sel:[0,0,1] op_sel_hi:[1,1,0] neg_lo:[0,0,1] neg_hi:[0,0,1]
	v_pk_fma_f32 v[164:165], v[164:165], v[152:153], v[168:169] op_sel:[0,0,1] op_sel_hi:[1,0,0]
	v_mov_b32_e32 v171, v165
	v_pk_mul_f32 v[164:165], v[166:167], v[154:155] op_sel:[0,1]
	s_delay_alu instid0(VALU_DEP_1) | instskip(SKIP_1) | instid1(VALU_DEP_1)
	v_pk_fma_f32 v[168:169], v[166:167], v[152:153], v[164:165] op_sel:[0,0,1] op_sel_hi:[1,1,0] neg_lo:[0,0,1] neg_hi:[0,0,1]
	v_pk_fma_f32 v[164:165], v[166:167], v[152:153], v[164:165] op_sel:[0,0,1] op_sel_hi:[1,0,0]
	v_mov_b32_e32 v169, v165
	ds_load_b64 v[164:165], v196 offset:456
	v_pk_add_f32 v[222:223], v[222:223], v[170:171] neg_lo:[0,1] neg_hi:[0,1]
	v_pk_add_f32 v[230:231], v[230:231], v[168:169] neg_lo:[0,1] neg_hi:[0,1]
	s_wait_dscnt 0x0
	v_pk_mul_f32 v[154:155], v[164:165], v[154:155] op_sel:[0,1]
	s_delay_alu instid0(VALU_DEP_1) | instskip(SKIP_1) | instid1(VALU_DEP_1)
	v_pk_fma_f32 v[166:167], v[164:165], v[152:153], v[154:155] op_sel:[0,0,1] op_sel_hi:[1,1,0] neg_lo:[0,0,1] neg_hi:[0,0,1]
	v_pk_fma_f32 v[152:153], v[164:165], v[152:153], v[154:155] op_sel:[0,0,1] op_sel_hi:[1,0,0]
	v_mov_b32_e32 v167, v153
	s_delay_alu instid0(VALU_DEP_1)
	v_pk_add_f32 v[232:233], v[232:233], v[166:167] neg_lo:[0,1] neg_hi:[0,1]
.LBB115_442:
	s_or_b32 exec_lo, exec_lo, s1
	s_delay_alu instid0(SALU_CYCLE_1)
	s_mov_b32 s2, exec_lo
	s_wait_dscnt 0x0
	s_barrier_signal -1
	s_barrier_wait -1
	v_cmpx_eq_u32_e32 49, v186
	s_cbranch_execz .LBB115_449
; %bb.443:
	v_dual_mov_b32 v152, v210 :: v_dual_mov_b32 v153, v211
	v_dual_mov_b32 v154, v206 :: v_dual_mov_b32 v155, v207
	ds_store_b64 v187, v[208:209]
	ds_store_2addr_b64 v196, v[152:153], v[154:155] offset0:50 offset1:51
	v_dual_mov_b32 v152, v228 :: v_dual_mov_b32 v153, v229
	v_dual_mov_b32 v154, v224 :: v_dual_mov_b32 v155, v225
	ds_store_2addr_b64 v196, v[152:153], v[154:155] offset0:52 offset1:53
	v_dual_mov_b32 v152, v226 :: v_dual_mov_b32 v153, v227
	v_dual_mov_b32 v154, v222 :: v_dual_mov_b32 v155, v223
	ds_store_2addr_b64 v196, v[152:153], v[154:155] offset0:54 offset1:55
	v_dual_mov_b32 v152, v230 :: v_dual_mov_b32 v153, v231
	ds_store_2addr_b64 v196, v[152:153], v[232:233] offset0:56 offset1:57
	ds_load_b64 v[152:153], v187
	s_wait_dscnt 0x0
	v_cmp_neq_f32_e32 vcc_lo, 0, v152
	v_cmp_neq_f32_e64 s1, 0, v153
	s_or_b32 s1, vcc_lo, s1
	s_delay_alu instid0(SALU_CYCLE_1)
	s_and_b32 exec_lo, exec_lo, s1
	s_cbranch_execz .LBB115_449
; %bb.444:
	v_cmp_ngt_f32_e64 s1, |v152|, |v153|
                                        ; implicit-def: $vgpr154_vgpr155
	s_and_saveexec_b32 s4, s1
	s_delay_alu instid0(SALU_CYCLE_1)
	s_xor_b32 s1, exec_lo, s4
	s_cbranch_execz .LBB115_446
; %bb.445:
	v_div_scale_f32 v154, null, v153, v153, v152
	v_div_scale_f32 v165, vcc_lo, v152, v153, v152
	s_delay_alu instid0(VALU_DEP_2) | instskip(SKIP_1) | instid1(TRANS32_DEP_1)
	v_rcp_f32_e32 v155, v154
	v_nop
	v_fma_f32 v164, -v154, v155, 1.0
	s_delay_alu instid0(VALU_DEP_1) | instskip(NEXT) | instid1(VALU_DEP_1)
	v_fmac_f32_e32 v155, v164, v155
	v_mul_f32_e32 v164, v165, v155
	s_delay_alu instid0(VALU_DEP_1) | instskip(NEXT) | instid1(VALU_DEP_1)
	v_fma_f32 v166, -v154, v164, v165
	v_fmac_f32_e32 v164, v166, v155
	s_delay_alu instid0(VALU_DEP_1) | instskip(NEXT) | instid1(VALU_DEP_1)
	v_fma_f32 v154, -v154, v164, v165
	v_div_fmas_f32 v154, v154, v155, v164
	s_delay_alu instid0(VALU_DEP_1) | instskip(NEXT) | instid1(VALU_DEP_1)
	v_div_fixup_f32 v154, v154, v153, v152
	v_fmac_f32_e32 v153, v152, v154
	s_delay_alu instid0(VALU_DEP_1) | instskip(SKIP_1) | instid1(VALU_DEP_2)
	v_div_scale_f32 v152, null, v153, v153, 1.0
	v_div_scale_f32 v165, vcc_lo, 1.0, v153, 1.0
	v_rcp_f32_e32 v155, v152
	v_nop
	s_delay_alu instid0(TRANS32_DEP_1) | instskip(NEXT) | instid1(VALU_DEP_1)
	v_fma_f32 v164, -v152, v155, 1.0
	v_fmac_f32_e32 v155, v164, v155
	s_delay_alu instid0(VALU_DEP_1) | instskip(NEXT) | instid1(VALU_DEP_1)
	v_mul_f32_e32 v164, v165, v155
	v_fma_f32 v166, -v152, v164, v165
	s_delay_alu instid0(VALU_DEP_1) | instskip(NEXT) | instid1(VALU_DEP_1)
	v_fmac_f32_e32 v164, v166, v155
	v_fma_f32 v152, -v152, v164, v165
	s_delay_alu instid0(VALU_DEP_1) | instskip(NEXT) | instid1(VALU_DEP_1)
	v_div_fmas_f32 v152, v152, v155, v164
	v_div_fixup_f32 v152, v152, v153, 1.0
	s_delay_alu instid0(VALU_DEP_1)
	v_mul_f32_e32 v154, v154, v152
	v_xor_b32_e32 v155, 0x80000000, v152
                                        ; implicit-def: $vgpr152_vgpr153
.LBB115_446:
	s_and_not1_saveexec_b32 s1, s1
	s_cbranch_execz .LBB115_448
; %bb.447:
	v_div_scale_f32 v154, null, v152, v152, v153
	v_div_scale_f32 v165, vcc_lo, v153, v152, v153
	s_delay_alu instid0(VALU_DEP_2) | instskip(SKIP_1) | instid1(TRANS32_DEP_1)
	v_rcp_f32_e32 v155, v154
	v_nop
	v_fma_f32 v164, -v154, v155, 1.0
	s_delay_alu instid0(VALU_DEP_1) | instskip(NEXT) | instid1(VALU_DEP_1)
	v_fmac_f32_e32 v155, v164, v155
	v_mul_f32_e32 v164, v165, v155
	s_delay_alu instid0(VALU_DEP_1) | instskip(NEXT) | instid1(VALU_DEP_1)
	v_fma_f32 v166, -v154, v164, v165
	v_fmac_f32_e32 v164, v166, v155
	s_delay_alu instid0(VALU_DEP_1) | instskip(NEXT) | instid1(VALU_DEP_1)
	v_fma_f32 v154, -v154, v164, v165
	v_div_fmas_f32 v154, v154, v155, v164
	s_delay_alu instid0(VALU_DEP_1) | instskip(NEXT) | instid1(VALU_DEP_1)
	v_div_fixup_f32 v155, v154, v152, v153
	v_fmac_f32_e32 v152, v153, v155
	s_delay_alu instid0(VALU_DEP_1) | instskip(NEXT) | instid1(VALU_DEP_1)
	v_div_scale_f32 v153, null, v152, v152, 1.0
	v_rcp_f32_e32 v154, v153
	v_nop
	s_delay_alu instid0(TRANS32_DEP_1) | instskip(NEXT) | instid1(VALU_DEP_1)
	v_fma_f32 v164, -v153, v154, 1.0
	v_fmac_f32_e32 v154, v164, v154
	v_div_scale_f32 v164, vcc_lo, 1.0, v152, 1.0
	s_delay_alu instid0(VALU_DEP_1) | instskip(NEXT) | instid1(VALU_DEP_1)
	v_mul_f32_e32 v165, v164, v154
	v_fma_f32 v166, -v153, v165, v164
	s_delay_alu instid0(VALU_DEP_1) | instskip(NEXT) | instid1(VALU_DEP_1)
	v_fmac_f32_e32 v165, v166, v154
	v_fma_f32 v153, -v153, v165, v164
	s_delay_alu instid0(VALU_DEP_1) | instskip(NEXT) | instid1(VALU_DEP_1)
	v_div_fmas_f32 v153, v153, v154, v165
	v_div_fixup_f32 v154, v153, v152, 1.0
	s_delay_alu instid0(VALU_DEP_1)
	v_mul_f32_e64 v155, v155, -v154
.LBB115_448:
	s_or_b32 exec_lo, exec_lo, s1
	ds_store_b64 v187, v[154:155]
.LBB115_449:
	s_or_b32 exec_lo, exec_lo, s2
	s_wait_dscnt 0x0
	s_barrier_signal -1
	s_barrier_wait -1
	ds_load_b64 v[152:153], v187
	s_mov_b32 s1, exec_lo
	v_cmpx_lt_u32_e32 49, v186
	s_cbranch_execz .LBB115_451
; %bb.450:
	ds_load_2addr_b64 v[166:169], v196 offset0:50 offset1:51
	s_wait_dscnt 0x1
	v_pk_mul_f32 v[164:165], v[152:153], v[208:209] op_sel:[1,1] op_sel_hi:[0,1]
	s_delay_alu instid0(VALU_DEP_1) | instskip(SKIP_1) | instid1(VALU_DEP_1)
	v_pk_fma_f32 v[154:155], v[152:153], v[208:209], v[164:165] op_sel_hi:[1,0,1] neg_lo:[0,0,1] neg_hi:[0,0,1]
	v_pk_fma_f32 v[164:165], v[152:153], v[208:209], v[164:165] op_sel_hi:[1,0,1]
	v_dual_mov_b32 v208, v154 :: v_dual_mov_b32 v209, v165
	s_wait_dscnt 0x0
	s_delay_alu instid0(VALU_DEP_2) | instskip(NEXT) | instid1(VALU_DEP_1)
	v_pk_mul_f32 v[170:171], v[166:167], v[164:165] op_sel:[0,1]
	v_pk_fma_f32 v[180:181], v[166:167], v[154:155], v[170:171] op_sel:[0,0,1] op_sel_hi:[1,1,0] neg_lo:[0,0,1] neg_hi:[0,0,1]
	v_pk_fma_f32 v[166:167], v[166:167], v[154:155], v[170:171] op_sel:[0,0,1] op_sel_hi:[1,0,0]
	s_delay_alu instid0(VALU_DEP_1) | instskip(SKIP_1) | instid1(VALU_DEP_1)
	v_mov_b32_e32 v181, v167
	v_pk_mul_f32 v[166:167], v[168:169], v[164:165] op_sel:[0,1]
	v_pk_fma_f32 v[170:171], v[168:169], v[154:155], v[166:167] op_sel:[0,0,1] op_sel_hi:[1,1,0] neg_lo:[0,0,1] neg_hi:[0,0,1]
	v_pk_fma_f32 v[166:167], v[168:169], v[154:155], v[166:167] op_sel:[0,0,1] op_sel_hi:[1,0,0]
	s_delay_alu instid0(VALU_DEP_1)
	v_mov_b32_e32 v171, v167
	ds_load_2addr_b64 v[166:169], v196 offset0:52 offset1:53
	v_pk_add_f32 v[210:211], v[210:211], v[180:181] neg_lo:[0,1] neg_hi:[0,1]
	v_pk_add_f32 v[206:207], v[206:207], v[170:171] neg_lo:[0,1] neg_hi:[0,1]
	s_wait_dscnt 0x0
	v_pk_mul_f32 v[170:171], v[166:167], v[164:165] op_sel:[0,1]
	s_delay_alu instid0(VALU_DEP_1) | instskip(SKIP_2) | instid1(VALU_DEP_2)
	v_pk_fma_f32 v[180:181], v[166:167], v[154:155], v[170:171] op_sel:[0,0,1] op_sel_hi:[1,1,0] neg_lo:[0,0,1] neg_hi:[0,0,1]
	v_pk_fma_f32 v[166:167], v[166:167], v[154:155], v[170:171] op_sel:[0,0,1] op_sel_hi:[1,0,0]
	v_dual_mul_f32 v170, v169, v165 :: v_dual_mov_b32 v166, v169
	v_dual_mov_b32 v181, v167 :: v_dual_mov_b32 v167, v168
	s_delay_alu instid0(VALU_DEP_2) | instskip(SKIP_1) | instid1(VALU_DEP_3)
	v_pk_fma_f32 v[170:171], v[168:169], v[208:209], v[170:171] op_sel_hi:[1,1,0] neg_lo:[0,0,1] neg_hi:[0,0,1]
	v_mul_f32_e32 v168, v169, v154
	v_pk_add_f32 v[228:229], v[228:229], v[180:181] neg_lo:[0,1] neg_hi:[0,1]
	s_delay_alu instid0(VALU_DEP_2) | instskip(NEXT) | instid1(VALU_DEP_1)
	v_pk_fma_f32 v[166:167], v[166:167], v[208:209], v[168:169] op_sel_hi:[1,1,0]
	v_mov_b32_e32 v171, v167
	ds_load_2addr_b64 v[166:169], v196 offset0:54 offset1:55
	v_pk_add_f32 v[224:225], v[224:225], v[170:171] neg_lo:[0,1] neg_hi:[0,1]
	s_wait_dscnt 0x0
	v_pk_mul_f32 v[170:171], v[166:167], v[164:165] op_sel:[0,1]
	s_delay_alu instid0(VALU_DEP_1) | instskip(SKIP_1) | instid1(VALU_DEP_1)
	v_pk_fma_f32 v[180:181], v[166:167], v[154:155], v[170:171] op_sel:[0,0,1] op_sel_hi:[1,1,0] neg_lo:[0,0,1] neg_hi:[0,0,1]
	v_pk_fma_f32 v[166:167], v[166:167], v[154:155], v[170:171] op_sel:[0,0,1] op_sel_hi:[1,0,0]
	v_mov_b32_e32 v181, v167
	v_pk_mul_f32 v[166:167], v[168:169], v[164:165] op_sel:[0,1]
	s_delay_alu instid0(VALU_DEP_1) | instskip(SKIP_1) | instid1(VALU_DEP_1)
	v_pk_fma_f32 v[170:171], v[168:169], v[154:155], v[166:167] op_sel:[0,0,1] op_sel_hi:[1,1,0] neg_lo:[0,0,1] neg_hi:[0,0,1]
	v_pk_fma_f32 v[166:167], v[168:169], v[154:155], v[166:167] op_sel:[0,0,1] op_sel_hi:[1,0,0]
	v_mov_b32_e32 v171, v167
	ds_load_2addr_b64 v[166:169], v196 offset0:56 offset1:57
	v_pk_add_f32 v[226:227], v[226:227], v[180:181] neg_lo:[0,1] neg_hi:[0,1]
	v_pk_add_f32 v[222:223], v[222:223], v[170:171] neg_lo:[0,1] neg_hi:[0,1]
	s_wait_dscnt 0x0
	v_pk_mul_f32 v[170:171], v[166:167], v[164:165] op_sel:[0,1]
	v_pk_mul_f32 v[164:165], v[168:169], v[164:165] op_sel:[0,1]
	s_delay_alu instid0(VALU_DEP_2) | instskip(SKIP_1) | instid1(VALU_DEP_1)
	v_pk_fma_f32 v[180:181], v[166:167], v[154:155], v[170:171] op_sel:[0,0,1] op_sel_hi:[1,1,0] neg_lo:[0,0,1] neg_hi:[0,0,1]
	v_pk_fma_f32 v[166:167], v[166:167], v[154:155], v[170:171] op_sel:[0,0,1] op_sel_hi:[1,0,0]
	v_mov_b32_e32 v181, v167
	s_delay_alu instid0(VALU_DEP_4) | instskip(SKIP_1) | instid1(VALU_DEP_1)
	v_pk_fma_f32 v[166:167], v[168:169], v[154:155], v[164:165] op_sel:[0,0,1] op_sel_hi:[1,1,0] neg_lo:[0,0,1] neg_hi:[0,0,1]
	v_pk_fma_f32 v[154:155], v[168:169], v[154:155], v[164:165] op_sel:[0,0,1] op_sel_hi:[1,0,0]
	v_mov_b32_e32 v167, v155
	s_delay_alu instid0(VALU_DEP_4) | instskip(NEXT) | instid1(VALU_DEP_2)
	v_pk_add_f32 v[230:231], v[230:231], v[180:181] neg_lo:[0,1] neg_hi:[0,1]
	v_pk_add_f32 v[232:233], v[232:233], v[166:167] neg_lo:[0,1] neg_hi:[0,1]
.LBB115_451:
	s_or_b32 exec_lo, exec_lo, s1
	s_delay_alu instid0(SALU_CYCLE_1)
	s_mov_b32 s2, exec_lo
	s_wait_dscnt 0x0
	s_barrier_signal -1
	s_barrier_wait -1
	v_cmpx_eq_u32_e32 50, v186
	s_cbranch_execz .LBB115_458
; %bb.452:
	ds_store_b64 v187, v[210:211]
	ds_store_2addr_b64 v196, v[206:207], v[228:229] offset0:51 offset1:52
	ds_store_2addr_b64 v196, v[224:225], v[226:227] offset0:53 offset1:54
	;; [unrolled: 1-line block ×3, first 2 shown]
	ds_store_b64 v196, v[232:233] offset:456
	ds_load_b64 v[154:155], v187
	s_wait_dscnt 0x0
	v_cmp_neq_f32_e32 vcc_lo, 0, v154
	v_cmp_neq_f32_e64 s1, 0, v155
	s_or_b32 s1, vcc_lo, s1
	s_delay_alu instid0(SALU_CYCLE_1)
	s_and_b32 exec_lo, exec_lo, s1
	s_cbranch_execz .LBB115_458
; %bb.453:
	v_cmp_ngt_f32_e64 s1, |v154|, |v155|
                                        ; implicit-def: $vgpr164_vgpr165
	s_and_saveexec_b32 s4, s1
	s_delay_alu instid0(SALU_CYCLE_1)
	s_xor_b32 s1, exec_lo, s4
	s_cbranch_execz .LBB115_455
; %bb.454:
	v_div_scale_f32 v164, null, v155, v155, v154
	v_div_scale_f32 v167, vcc_lo, v154, v155, v154
	s_delay_alu instid0(VALU_DEP_2) | instskip(SKIP_1) | instid1(TRANS32_DEP_1)
	v_rcp_f32_e32 v165, v164
	v_nop
	v_fma_f32 v166, -v164, v165, 1.0
	s_delay_alu instid0(VALU_DEP_1) | instskip(NEXT) | instid1(VALU_DEP_1)
	v_fmac_f32_e32 v165, v166, v165
	v_mul_f32_e32 v166, v167, v165
	s_delay_alu instid0(VALU_DEP_1) | instskip(NEXT) | instid1(VALU_DEP_1)
	v_fma_f32 v168, -v164, v166, v167
	v_fmac_f32_e32 v166, v168, v165
	s_delay_alu instid0(VALU_DEP_1) | instskip(NEXT) | instid1(VALU_DEP_1)
	v_fma_f32 v164, -v164, v166, v167
	v_div_fmas_f32 v164, v164, v165, v166
	s_delay_alu instid0(VALU_DEP_1) | instskip(NEXT) | instid1(VALU_DEP_1)
	v_div_fixup_f32 v164, v164, v155, v154
	v_fmac_f32_e32 v155, v154, v164
	s_delay_alu instid0(VALU_DEP_1) | instskip(SKIP_1) | instid1(VALU_DEP_2)
	v_div_scale_f32 v154, null, v155, v155, 1.0
	v_div_scale_f32 v167, vcc_lo, 1.0, v155, 1.0
	v_rcp_f32_e32 v165, v154
	v_nop
	s_delay_alu instid0(TRANS32_DEP_1) | instskip(NEXT) | instid1(VALU_DEP_1)
	v_fma_f32 v166, -v154, v165, 1.0
	v_fmac_f32_e32 v165, v166, v165
	s_delay_alu instid0(VALU_DEP_1) | instskip(NEXT) | instid1(VALU_DEP_1)
	v_mul_f32_e32 v166, v167, v165
	v_fma_f32 v168, -v154, v166, v167
	s_delay_alu instid0(VALU_DEP_1) | instskip(NEXT) | instid1(VALU_DEP_1)
	v_fmac_f32_e32 v166, v168, v165
	v_fma_f32 v154, -v154, v166, v167
	s_delay_alu instid0(VALU_DEP_1) | instskip(NEXT) | instid1(VALU_DEP_1)
	v_div_fmas_f32 v154, v154, v165, v166
	v_div_fixup_f32 v154, v154, v155, 1.0
	s_delay_alu instid0(VALU_DEP_1)
	v_mul_f32_e32 v164, v164, v154
	v_xor_b32_e32 v165, 0x80000000, v154
                                        ; implicit-def: $vgpr154_vgpr155
.LBB115_455:
	s_and_not1_saveexec_b32 s1, s1
	s_cbranch_execz .LBB115_457
; %bb.456:
	v_div_scale_f32 v164, null, v154, v154, v155
	v_div_scale_f32 v167, vcc_lo, v155, v154, v155
	s_delay_alu instid0(VALU_DEP_2) | instskip(SKIP_1) | instid1(TRANS32_DEP_1)
	v_rcp_f32_e32 v165, v164
	v_nop
	v_fma_f32 v166, -v164, v165, 1.0
	s_delay_alu instid0(VALU_DEP_1) | instskip(NEXT) | instid1(VALU_DEP_1)
	v_fmac_f32_e32 v165, v166, v165
	v_mul_f32_e32 v166, v167, v165
	s_delay_alu instid0(VALU_DEP_1) | instskip(NEXT) | instid1(VALU_DEP_1)
	v_fma_f32 v168, -v164, v166, v167
	v_fmac_f32_e32 v166, v168, v165
	s_delay_alu instid0(VALU_DEP_1) | instskip(NEXT) | instid1(VALU_DEP_1)
	v_fma_f32 v164, -v164, v166, v167
	v_div_fmas_f32 v164, v164, v165, v166
	s_delay_alu instid0(VALU_DEP_1) | instskip(NEXT) | instid1(VALU_DEP_1)
	v_div_fixup_f32 v165, v164, v154, v155
	v_fmac_f32_e32 v154, v155, v165
	s_delay_alu instid0(VALU_DEP_1) | instskip(NEXT) | instid1(VALU_DEP_1)
	v_div_scale_f32 v155, null, v154, v154, 1.0
	v_rcp_f32_e32 v164, v155
	v_nop
	s_delay_alu instid0(TRANS32_DEP_1) | instskip(NEXT) | instid1(VALU_DEP_1)
	v_fma_f32 v166, -v155, v164, 1.0
	v_fmac_f32_e32 v164, v166, v164
	v_div_scale_f32 v166, vcc_lo, 1.0, v154, 1.0
	s_delay_alu instid0(VALU_DEP_1) | instskip(NEXT) | instid1(VALU_DEP_1)
	v_mul_f32_e32 v167, v166, v164
	v_fma_f32 v168, -v155, v167, v166
	s_delay_alu instid0(VALU_DEP_1) | instskip(NEXT) | instid1(VALU_DEP_1)
	v_fmac_f32_e32 v167, v168, v164
	v_fma_f32 v155, -v155, v167, v166
	s_delay_alu instid0(VALU_DEP_1) | instskip(NEXT) | instid1(VALU_DEP_1)
	v_div_fmas_f32 v155, v155, v164, v167
	v_div_fixup_f32 v164, v155, v154, 1.0
	s_delay_alu instid0(VALU_DEP_1)
	v_mul_f32_e64 v165, v165, -v164
.LBB115_457:
	s_or_b32 exec_lo, exec_lo, s1
	ds_store_b64 v187, v[164:165]
.LBB115_458:
	s_or_b32 exec_lo, exec_lo, s2
	s_wait_dscnt 0x0
	s_barrier_signal -1
	s_barrier_wait -1
	ds_load_b64 v[154:155], v187
	s_mov_b32 s1, exec_lo
	v_cmpx_lt_u32_e32 50, v186
	s_cbranch_execz .LBB115_460
; %bb.459:
	s_wait_dscnt 0x0
	v_pk_mul_f32 v[166:167], v[154:155], v[210:211] op_sel:[1,1] op_sel_hi:[0,1]
	s_delay_alu instid0(VALU_DEP_1)
	v_pk_fma_f32 v[164:165], v[154:155], v[210:211], v[166:167] op_sel_hi:[1,0,1] neg_lo:[0,0,1] neg_hi:[0,0,1]
	v_pk_fma_f32 v[170:171], v[154:155], v[210:211], v[166:167] op_sel_hi:[1,0,1]
	ds_load_2addr_b64 v[166:169], v196 offset0:51 offset1:52
	v_dual_mov_b32 v210, v164 :: v_dual_mov_b32 v211, v171
	s_wait_dscnt 0x0
	v_pk_mul_f32 v[180:181], v[166:167], v[170:171] op_sel:[0,1]
	s_delay_alu instid0(VALU_DEP_1) | instskip(SKIP_1) | instid1(VALU_DEP_1)
	v_pk_fma_f32 v[182:183], v[166:167], v[164:165], v[180:181] op_sel:[0,0,1] op_sel_hi:[1,1,0] neg_lo:[0,0,1] neg_hi:[0,0,1]
	v_pk_fma_f32 v[166:167], v[166:167], v[164:165], v[180:181] op_sel:[0,0,1] op_sel_hi:[1,0,0]
	v_mov_b32_e32 v183, v167
	v_pk_mul_f32 v[166:167], v[168:169], v[170:171] op_sel:[0,1]
	s_delay_alu instid0(VALU_DEP_1) | instskip(SKIP_1) | instid1(VALU_DEP_1)
	v_pk_fma_f32 v[180:181], v[168:169], v[164:165], v[166:167] op_sel:[0,0,1] op_sel_hi:[1,1,0] neg_lo:[0,0,1] neg_hi:[0,0,1]
	v_pk_fma_f32 v[166:167], v[168:169], v[164:165], v[166:167] op_sel:[0,0,1] op_sel_hi:[1,0,0]
	v_mov_b32_e32 v181, v167
	ds_load_2addr_b64 v[166:169], v196 offset0:53 offset1:54
	v_pk_add_f32 v[206:207], v[206:207], v[182:183] neg_lo:[0,1] neg_hi:[0,1]
	v_pk_add_f32 v[228:229], v[228:229], v[180:181] neg_lo:[0,1] neg_hi:[0,1]
	s_wait_dscnt 0x0
	v_pk_mul_f32 v[180:181], v[166:167], v[170:171] op_sel:[0,1]
	s_delay_alu instid0(VALU_DEP_1) | instskip(SKIP_2) | instid1(VALU_DEP_2)
	v_pk_fma_f32 v[182:183], v[166:167], v[164:165], v[180:181] op_sel:[0,0,1] op_sel_hi:[1,1,0] neg_lo:[0,0,1] neg_hi:[0,0,1]
	v_pk_fma_f32 v[166:167], v[166:167], v[164:165], v[180:181] op_sel:[0,0,1] op_sel_hi:[1,0,0]
	v_dual_mul_f32 v180, v169, v171 :: v_dual_mov_b32 v166, v169
	v_dual_mov_b32 v183, v167 :: v_dual_mov_b32 v167, v168
	s_delay_alu instid0(VALU_DEP_2) | instskip(SKIP_1) | instid1(VALU_DEP_3)
	v_pk_fma_f32 v[180:181], v[168:169], v[210:211], v[180:181] op_sel_hi:[1,1,0] neg_lo:[0,0,1] neg_hi:[0,0,1]
	v_mul_f32_e32 v168, v169, v164
	v_pk_add_f32 v[224:225], v[224:225], v[182:183] neg_lo:[0,1] neg_hi:[0,1]
	s_delay_alu instid0(VALU_DEP_2) | instskip(NEXT) | instid1(VALU_DEP_1)
	v_pk_fma_f32 v[166:167], v[166:167], v[210:211], v[168:169] op_sel_hi:[1,1,0]
	v_mov_b32_e32 v181, v167
	ds_load_2addr_b64 v[166:169], v196 offset0:55 offset1:56
	v_pk_add_f32 v[226:227], v[226:227], v[180:181] neg_lo:[0,1] neg_hi:[0,1]
	s_wait_dscnt 0x0
	v_pk_mul_f32 v[180:181], v[166:167], v[170:171] op_sel:[0,1]
	s_delay_alu instid0(VALU_DEP_1) | instskip(SKIP_1) | instid1(VALU_DEP_1)
	v_pk_fma_f32 v[182:183], v[166:167], v[164:165], v[180:181] op_sel:[0,0,1] op_sel_hi:[1,1,0] neg_lo:[0,0,1] neg_hi:[0,0,1]
	v_pk_fma_f32 v[166:167], v[166:167], v[164:165], v[180:181] op_sel:[0,0,1] op_sel_hi:[1,0,0]
	v_mov_b32_e32 v183, v167
	v_pk_mul_f32 v[166:167], v[168:169], v[170:171] op_sel:[0,1]
	s_delay_alu instid0(VALU_DEP_1) | instskip(SKIP_1) | instid1(VALU_DEP_1)
	v_pk_fma_f32 v[180:181], v[168:169], v[164:165], v[166:167] op_sel:[0,0,1] op_sel_hi:[1,1,0] neg_lo:[0,0,1] neg_hi:[0,0,1]
	v_pk_fma_f32 v[166:167], v[168:169], v[164:165], v[166:167] op_sel:[0,0,1] op_sel_hi:[1,0,0]
	v_mov_b32_e32 v181, v167
	ds_load_b64 v[166:167], v196 offset:456
	v_pk_add_f32 v[222:223], v[222:223], v[182:183] neg_lo:[0,1] neg_hi:[0,1]
	v_pk_add_f32 v[230:231], v[230:231], v[180:181] neg_lo:[0,1] neg_hi:[0,1]
	s_wait_dscnt 0x0
	v_pk_mul_f32 v[168:169], v[166:167], v[170:171] op_sel:[0,1]
	s_delay_alu instid0(VALU_DEP_1) | instskip(SKIP_1) | instid1(VALU_DEP_1)
	v_pk_fma_f32 v[170:171], v[166:167], v[164:165], v[168:169] op_sel:[0,0,1] op_sel_hi:[1,1,0] neg_lo:[0,0,1] neg_hi:[0,0,1]
	v_pk_fma_f32 v[164:165], v[166:167], v[164:165], v[168:169] op_sel:[0,0,1] op_sel_hi:[1,0,0]
	v_mov_b32_e32 v171, v165
	s_delay_alu instid0(VALU_DEP_1)
	v_pk_add_f32 v[232:233], v[232:233], v[170:171] neg_lo:[0,1] neg_hi:[0,1]
.LBB115_460:
	s_or_b32 exec_lo, exec_lo, s1
	s_delay_alu instid0(SALU_CYCLE_1)
	s_mov_b32 s2, exec_lo
	s_wait_dscnt 0x0
	s_barrier_signal -1
	s_barrier_wait -1
	v_cmpx_eq_u32_e32 51, v186
	s_cbranch_execz .LBB115_467
; %bb.461:
	v_dual_mov_b32 v164, v228 :: v_dual_mov_b32 v165, v229
	v_dual_mov_b32 v166, v224 :: v_dual_mov_b32 v167, v225
	ds_store_b64 v187, v[206:207]
	ds_store_2addr_b64 v196, v[164:165], v[166:167] offset0:52 offset1:53
	v_dual_mov_b32 v164, v226 :: v_dual_mov_b32 v165, v227
	v_dual_mov_b32 v166, v222 :: v_dual_mov_b32 v167, v223
	ds_store_2addr_b64 v196, v[164:165], v[166:167] offset0:54 offset1:55
	v_dual_mov_b32 v164, v230 :: v_dual_mov_b32 v165, v231
	ds_store_2addr_b64 v196, v[164:165], v[232:233] offset0:56 offset1:57
	ds_load_b64 v[164:165], v187
	s_wait_dscnt 0x0
	v_cmp_neq_f32_e32 vcc_lo, 0, v164
	v_cmp_neq_f32_e64 s1, 0, v165
	s_or_b32 s1, vcc_lo, s1
	s_delay_alu instid0(SALU_CYCLE_1)
	s_and_b32 exec_lo, exec_lo, s1
	s_cbranch_execz .LBB115_467
; %bb.462:
	v_cmp_ngt_f32_e64 s1, |v164|, |v165|
                                        ; implicit-def: $vgpr166_vgpr167
	s_and_saveexec_b32 s4, s1
	s_delay_alu instid0(SALU_CYCLE_1)
	s_xor_b32 s1, exec_lo, s4
	s_cbranch_execz .LBB115_464
; %bb.463:
	v_div_scale_f32 v166, null, v165, v165, v164
	v_div_scale_f32 v169, vcc_lo, v164, v165, v164
	s_delay_alu instid0(VALU_DEP_2) | instskip(SKIP_1) | instid1(TRANS32_DEP_1)
	v_rcp_f32_e32 v167, v166
	v_nop
	v_fma_f32 v168, -v166, v167, 1.0
	s_delay_alu instid0(VALU_DEP_1) | instskip(NEXT) | instid1(VALU_DEP_1)
	v_fmac_f32_e32 v167, v168, v167
	v_mul_f32_e32 v168, v169, v167
	s_delay_alu instid0(VALU_DEP_1) | instskip(NEXT) | instid1(VALU_DEP_1)
	v_fma_f32 v170, -v166, v168, v169
	v_fmac_f32_e32 v168, v170, v167
	s_delay_alu instid0(VALU_DEP_1) | instskip(NEXT) | instid1(VALU_DEP_1)
	v_fma_f32 v166, -v166, v168, v169
	v_div_fmas_f32 v166, v166, v167, v168
	s_delay_alu instid0(VALU_DEP_1) | instskip(NEXT) | instid1(VALU_DEP_1)
	v_div_fixup_f32 v166, v166, v165, v164
	v_fmac_f32_e32 v165, v164, v166
	s_delay_alu instid0(VALU_DEP_1) | instskip(SKIP_1) | instid1(VALU_DEP_2)
	v_div_scale_f32 v164, null, v165, v165, 1.0
	v_div_scale_f32 v169, vcc_lo, 1.0, v165, 1.0
	v_rcp_f32_e32 v167, v164
	v_nop
	s_delay_alu instid0(TRANS32_DEP_1) | instskip(NEXT) | instid1(VALU_DEP_1)
	v_fma_f32 v168, -v164, v167, 1.0
	v_fmac_f32_e32 v167, v168, v167
	s_delay_alu instid0(VALU_DEP_1) | instskip(NEXT) | instid1(VALU_DEP_1)
	v_mul_f32_e32 v168, v169, v167
	v_fma_f32 v170, -v164, v168, v169
	s_delay_alu instid0(VALU_DEP_1) | instskip(NEXT) | instid1(VALU_DEP_1)
	v_fmac_f32_e32 v168, v170, v167
	v_fma_f32 v164, -v164, v168, v169
	s_delay_alu instid0(VALU_DEP_1) | instskip(NEXT) | instid1(VALU_DEP_1)
	v_div_fmas_f32 v164, v164, v167, v168
	v_div_fixup_f32 v164, v164, v165, 1.0
	s_delay_alu instid0(VALU_DEP_1)
	v_mul_f32_e32 v166, v166, v164
	v_xor_b32_e32 v167, 0x80000000, v164
                                        ; implicit-def: $vgpr164_vgpr165
.LBB115_464:
	s_and_not1_saveexec_b32 s1, s1
	s_cbranch_execz .LBB115_466
; %bb.465:
	v_div_scale_f32 v166, null, v164, v164, v165
	v_div_scale_f32 v169, vcc_lo, v165, v164, v165
	s_delay_alu instid0(VALU_DEP_2) | instskip(SKIP_1) | instid1(TRANS32_DEP_1)
	v_rcp_f32_e32 v167, v166
	v_nop
	v_fma_f32 v168, -v166, v167, 1.0
	s_delay_alu instid0(VALU_DEP_1) | instskip(NEXT) | instid1(VALU_DEP_1)
	v_fmac_f32_e32 v167, v168, v167
	v_mul_f32_e32 v168, v169, v167
	s_delay_alu instid0(VALU_DEP_1) | instskip(NEXT) | instid1(VALU_DEP_1)
	v_fma_f32 v170, -v166, v168, v169
	v_fmac_f32_e32 v168, v170, v167
	s_delay_alu instid0(VALU_DEP_1) | instskip(NEXT) | instid1(VALU_DEP_1)
	v_fma_f32 v166, -v166, v168, v169
	v_div_fmas_f32 v166, v166, v167, v168
	s_delay_alu instid0(VALU_DEP_1) | instskip(NEXT) | instid1(VALU_DEP_1)
	v_div_fixup_f32 v167, v166, v164, v165
	v_fmac_f32_e32 v164, v165, v167
	s_delay_alu instid0(VALU_DEP_1) | instskip(NEXT) | instid1(VALU_DEP_1)
	v_div_scale_f32 v165, null, v164, v164, 1.0
	v_rcp_f32_e32 v166, v165
	v_nop
	s_delay_alu instid0(TRANS32_DEP_1) | instskip(NEXT) | instid1(VALU_DEP_1)
	v_fma_f32 v168, -v165, v166, 1.0
	v_fmac_f32_e32 v166, v168, v166
	v_div_scale_f32 v168, vcc_lo, 1.0, v164, 1.0
	s_delay_alu instid0(VALU_DEP_1) | instskip(NEXT) | instid1(VALU_DEP_1)
	v_mul_f32_e32 v169, v168, v166
	v_fma_f32 v170, -v165, v169, v168
	s_delay_alu instid0(VALU_DEP_1) | instskip(NEXT) | instid1(VALU_DEP_1)
	v_fmac_f32_e32 v169, v170, v166
	v_fma_f32 v165, -v165, v169, v168
	s_delay_alu instid0(VALU_DEP_1) | instskip(NEXT) | instid1(VALU_DEP_1)
	v_div_fmas_f32 v165, v165, v166, v169
	v_div_fixup_f32 v166, v165, v164, 1.0
	s_delay_alu instid0(VALU_DEP_1)
	v_mul_f32_e64 v167, v167, -v166
.LBB115_466:
	s_or_b32 exec_lo, exec_lo, s1
	ds_store_b64 v187, v[166:167]
.LBB115_467:
	s_or_b32 exec_lo, exec_lo, s2
	s_wait_dscnt 0x0
	s_barrier_signal -1
	s_barrier_wait -1
	ds_load_b64 v[164:165], v187
	s_mov_b32 s1, exec_lo
	v_cmpx_lt_u32_e32 51, v186
	s_cbranch_execz .LBB115_469
; %bb.468:
	s_wait_dscnt 0x0
	v_pk_mul_f32 v[166:167], v[164:165], v[206:207] op_sel:[1,1] op_sel_hi:[0,1]
	s_delay_alu instid0(VALU_DEP_1)
	v_pk_fma_f32 v[170:171], v[164:165], v[206:207], v[166:167] op_sel_hi:[1,0,1] neg_lo:[0,0,1] neg_hi:[0,0,1]
	v_pk_fma_f32 v[180:181], v[164:165], v[206:207], v[166:167] op_sel_hi:[1,0,1]
	ds_load_2addr_b64 v[166:169], v196 offset0:52 offset1:53
	v_dual_mov_b32 v206, v170 :: v_dual_mov_b32 v207, v181
	s_wait_dscnt 0x0
	v_pk_mul_f32 v[182:183], v[166:167], v[180:181] op_sel:[0,1]
	s_delay_alu instid0(VALU_DEP_1) | instskip(SKIP_1) | instid1(VALU_DEP_1)
	v_pk_fma_f32 v[184:185], v[166:167], v[170:171], v[182:183] op_sel:[0,0,1] op_sel_hi:[1,1,0] neg_lo:[0,0,1] neg_hi:[0,0,1]
	v_pk_fma_f32 v[166:167], v[166:167], v[170:171], v[182:183] op_sel:[0,0,1] op_sel_hi:[1,0,0]
	v_mov_b32_e32 v185, v167
	v_pk_mul_f32 v[166:167], v[168:169], v[180:181] op_sel:[0,1]
	s_delay_alu instid0(VALU_DEP_1) | instskip(SKIP_1) | instid1(VALU_DEP_1)
	v_pk_fma_f32 v[182:183], v[168:169], v[170:171], v[166:167] op_sel:[0,0,1] op_sel_hi:[1,1,0] neg_lo:[0,0,1] neg_hi:[0,0,1]
	v_pk_fma_f32 v[166:167], v[168:169], v[170:171], v[166:167] op_sel:[0,0,1] op_sel_hi:[1,0,0]
	v_mov_b32_e32 v183, v167
	ds_load_2addr_b64 v[166:169], v196 offset0:54 offset1:55
	v_pk_add_f32 v[228:229], v[228:229], v[184:185] neg_lo:[0,1] neg_hi:[0,1]
	v_pk_add_f32 v[224:225], v[224:225], v[182:183] neg_lo:[0,1] neg_hi:[0,1]
	s_wait_dscnt 0x0
	v_pk_mul_f32 v[182:183], v[166:167], v[180:181] op_sel:[0,1]
	s_delay_alu instid0(VALU_DEP_1) | instskip(SKIP_2) | instid1(VALU_DEP_2)
	v_pk_fma_f32 v[184:185], v[166:167], v[170:171], v[182:183] op_sel:[0,0,1] op_sel_hi:[1,1,0] neg_lo:[0,0,1] neg_hi:[0,0,1]
	v_pk_fma_f32 v[166:167], v[166:167], v[170:171], v[182:183] op_sel:[0,0,1] op_sel_hi:[1,0,0]
	v_dual_mul_f32 v182, v169, v181 :: v_dual_mov_b32 v166, v169
	v_dual_mov_b32 v185, v167 :: v_dual_mov_b32 v167, v168
	s_delay_alu instid0(VALU_DEP_2) | instskip(SKIP_1) | instid1(VALU_DEP_3)
	v_pk_fma_f32 v[182:183], v[168:169], v[206:207], v[182:183] op_sel_hi:[1,1,0] neg_lo:[0,0,1] neg_hi:[0,0,1]
	v_mul_f32_e32 v168, v169, v170
	v_pk_add_f32 v[226:227], v[226:227], v[184:185] neg_lo:[0,1] neg_hi:[0,1]
	s_delay_alu instid0(VALU_DEP_2) | instskip(NEXT) | instid1(VALU_DEP_1)
	v_pk_fma_f32 v[166:167], v[166:167], v[206:207], v[168:169] op_sel_hi:[1,1,0]
	v_mov_b32_e32 v183, v167
	ds_load_2addr_b64 v[166:169], v196 offset0:56 offset1:57
	v_pk_add_f32 v[222:223], v[222:223], v[182:183] neg_lo:[0,1] neg_hi:[0,1]
	s_wait_dscnt 0x0
	v_pk_mul_f32 v[182:183], v[166:167], v[180:181] op_sel:[0,1]
	v_mul_f32_e32 v180, v169, v181
	s_delay_alu instid0(VALU_DEP_2) | instskip(SKIP_2) | instid1(VALU_DEP_4)
	v_pk_fma_f32 v[184:185], v[166:167], v[170:171], v[182:183] op_sel:[0,0,1] op_sel_hi:[1,1,0] neg_lo:[0,0,1] neg_hi:[0,0,1]
	v_pk_fma_f32 v[166:167], v[166:167], v[170:171], v[182:183] op_sel:[0,0,1] op_sel_hi:[1,0,0]
	v_mov_b32_e32 v166, v169
	v_pk_fma_f32 v[180:181], v[168:169], v[206:207], v[180:181] op_sel_hi:[1,1,0] neg_lo:[0,0,1] neg_hi:[0,0,1]
	s_delay_alu instid0(VALU_DEP_3) | instskip(SKIP_1) | instid1(VALU_DEP_2)
	v_dual_mov_b32 v185, v167 :: v_dual_mov_b32 v167, v168
	v_mul_f32_e32 v168, v169, v170
	v_pk_add_f32 v[230:231], v[230:231], v[184:185] neg_lo:[0,1] neg_hi:[0,1]
	s_delay_alu instid0(VALU_DEP_2) | instskip(NEXT) | instid1(VALU_DEP_1)
	v_pk_fma_f32 v[166:167], v[166:167], v[206:207], v[168:169] op_sel_hi:[1,1,0]
	v_mov_b32_e32 v181, v167
	s_delay_alu instid0(VALU_DEP_1)
	v_pk_add_f32 v[232:233], v[232:233], v[180:181] neg_lo:[0,1] neg_hi:[0,1]
.LBB115_469:
	s_or_b32 exec_lo, exec_lo, s1
	s_delay_alu instid0(SALU_CYCLE_1)
	s_mov_b32 s2, exec_lo
	s_wait_dscnt 0x0
	s_barrier_signal -1
	s_barrier_wait -1
	v_cmpx_eq_u32_e32 52, v186
	s_cbranch_execz .LBB115_476
; %bb.470:
	ds_store_b64 v187, v[228:229]
	ds_store_2addr_b64 v196, v[224:225], v[226:227] offset0:53 offset1:54
	ds_store_2addr_b64 v196, v[222:223], v[230:231] offset0:55 offset1:56
	ds_store_b64 v196, v[232:233] offset:456
	ds_load_b64 v[166:167], v187
	s_wait_dscnt 0x0
	v_cmp_neq_f32_e32 vcc_lo, 0, v166
	v_cmp_neq_f32_e64 s1, 0, v167
	s_or_b32 s1, vcc_lo, s1
	s_delay_alu instid0(SALU_CYCLE_1)
	s_and_b32 exec_lo, exec_lo, s1
	s_cbranch_execz .LBB115_476
; %bb.471:
	v_cmp_ngt_f32_e64 s1, |v166|, |v167|
                                        ; implicit-def: $vgpr168_vgpr169
	s_and_saveexec_b32 s4, s1
	s_delay_alu instid0(SALU_CYCLE_1)
	s_xor_b32 s1, exec_lo, s4
	s_cbranch_execz .LBB115_473
; %bb.472:
	v_div_scale_f32 v168, null, v167, v167, v166
	v_div_scale_f32 v171, vcc_lo, v166, v167, v166
	s_delay_alu instid0(VALU_DEP_2) | instskip(SKIP_1) | instid1(TRANS32_DEP_1)
	v_rcp_f32_e32 v169, v168
	v_nop
	v_fma_f32 v170, -v168, v169, 1.0
	s_delay_alu instid0(VALU_DEP_1) | instskip(NEXT) | instid1(VALU_DEP_1)
	v_fmac_f32_e32 v169, v170, v169
	v_mul_f32_e32 v170, v171, v169
	s_delay_alu instid0(VALU_DEP_1) | instskip(NEXT) | instid1(VALU_DEP_1)
	v_fma_f32 v180, -v168, v170, v171
	v_fmac_f32_e32 v170, v180, v169
	s_delay_alu instid0(VALU_DEP_1) | instskip(NEXT) | instid1(VALU_DEP_1)
	v_fma_f32 v168, -v168, v170, v171
	v_div_fmas_f32 v168, v168, v169, v170
	s_delay_alu instid0(VALU_DEP_1) | instskip(NEXT) | instid1(VALU_DEP_1)
	v_div_fixup_f32 v168, v168, v167, v166
	v_fmac_f32_e32 v167, v166, v168
	s_delay_alu instid0(VALU_DEP_1) | instskip(SKIP_1) | instid1(VALU_DEP_2)
	v_div_scale_f32 v166, null, v167, v167, 1.0
	v_div_scale_f32 v171, vcc_lo, 1.0, v167, 1.0
	v_rcp_f32_e32 v169, v166
	v_nop
	s_delay_alu instid0(TRANS32_DEP_1) | instskip(NEXT) | instid1(VALU_DEP_1)
	v_fma_f32 v170, -v166, v169, 1.0
	v_fmac_f32_e32 v169, v170, v169
	s_delay_alu instid0(VALU_DEP_1) | instskip(NEXT) | instid1(VALU_DEP_1)
	v_mul_f32_e32 v170, v171, v169
	v_fma_f32 v180, -v166, v170, v171
	s_delay_alu instid0(VALU_DEP_1) | instskip(NEXT) | instid1(VALU_DEP_1)
	v_fmac_f32_e32 v170, v180, v169
	v_fma_f32 v166, -v166, v170, v171
	s_delay_alu instid0(VALU_DEP_1) | instskip(NEXT) | instid1(VALU_DEP_1)
	v_div_fmas_f32 v166, v166, v169, v170
	v_div_fixup_f32 v166, v166, v167, 1.0
	s_delay_alu instid0(VALU_DEP_1)
	v_mul_f32_e32 v168, v168, v166
	v_xor_b32_e32 v169, 0x80000000, v166
                                        ; implicit-def: $vgpr166_vgpr167
.LBB115_473:
	s_and_not1_saveexec_b32 s1, s1
	s_cbranch_execz .LBB115_475
; %bb.474:
	v_div_scale_f32 v168, null, v166, v166, v167
	v_div_scale_f32 v171, vcc_lo, v167, v166, v167
	s_delay_alu instid0(VALU_DEP_2) | instskip(SKIP_1) | instid1(TRANS32_DEP_1)
	v_rcp_f32_e32 v169, v168
	v_nop
	v_fma_f32 v170, -v168, v169, 1.0
	s_delay_alu instid0(VALU_DEP_1) | instskip(NEXT) | instid1(VALU_DEP_1)
	v_fmac_f32_e32 v169, v170, v169
	v_mul_f32_e32 v170, v171, v169
	s_delay_alu instid0(VALU_DEP_1) | instskip(NEXT) | instid1(VALU_DEP_1)
	v_fma_f32 v180, -v168, v170, v171
	v_fmac_f32_e32 v170, v180, v169
	s_delay_alu instid0(VALU_DEP_1) | instskip(NEXT) | instid1(VALU_DEP_1)
	v_fma_f32 v168, -v168, v170, v171
	v_div_fmas_f32 v168, v168, v169, v170
	s_delay_alu instid0(VALU_DEP_1) | instskip(NEXT) | instid1(VALU_DEP_1)
	v_div_fixup_f32 v169, v168, v166, v167
	v_fmac_f32_e32 v166, v167, v169
	s_delay_alu instid0(VALU_DEP_1) | instskip(NEXT) | instid1(VALU_DEP_1)
	v_div_scale_f32 v167, null, v166, v166, 1.0
	v_rcp_f32_e32 v168, v167
	v_nop
	s_delay_alu instid0(TRANS32_DEP_1) | instskip(NEXT) | instid1(VALU_DEP_1)
	v_fma_f32 v170, -v167, v168, 1.0
	v_fmac_f32_e32 v168, v170, v168
	v_div_scale_f32 v170, vcc_lo, 1.0, v166, 1.0
	s_delay_alu instid0(VALU_DEP_1) | instskip(NEXT) | instid1(VALU_DEP_1)
	v_mul_f32_e32 v171, v170, v168
	v_fma_f32 v180, -v167, v171, v170
	s_delay_alu instid0(VALU_DEP_1) | instskip(NEXT) | instid1(VALU_DEP_1)
	v_fmac_f32_e32 v171, v180, v168
	v_fma_f32 v167, -v167, v171, v170
	s_delay_alu instid0(VALU_DEP_1) | instskip(NEXT) | instid1(VALU_DEP_1)
	v_div_fmas_f32 v167, v167, v168, v171
	v_div_fixup_f32 v168, v167, v166, 1.0
	s_delay_alu instid0(VALU_DEP_1)
	v_mul_f32_e64 v169, v169, -v168
.LBB115_475:
	s_or_b32 exec_lo, exec_lo, s1
	ds_store_b64 v187, v[168:169]
.LBB115_476:
	s_or_b32 exec_lo, exec_lo, s2
	s_wait_dscnt 0x0
	s_barrier_signal -1
	s_barrier_wait -1
	ds_load_b64 v[166:167], v187
	s_mov_b32 s1, exec_lo
	v_cmpx_lt_u32_e32 52, v186
	s_cbranch_execz .LBB115_478
; %bb.477:
	s_wait_dscnt 0x0
	v_pk_mul_f32 v[168:169], v[166:167], v[228:229] op_sel:[1,1] op_sel_hi:[0,1]
	s_delay_alu instid0(VALU_DEP_1)
	v_pk_fma_f32 v[180:181], v[166:167], v[228:229], v[168:169] op_sel_hi:[1,0,1] neg_lo:[0,0,1] neg_hi:[0,0,1]
	v_pk_fma_f32 v[182:183], v[166:167], v[228:229], v[168:169] op_sel_hi:[1,0,1]
	ds_load_2addr_b64 v[168:171], v196 offset0:53 offset1:54
	v_dual_mov_b32 v228, v180 :: v_dual_mov_b32 v229, v183
	s_wait_dscnt 0x0
	v_pk_mul_f32 v[184:185], v[168:169], v[182:183] op_sel:[0,1]
	s_delay_alu instid0(VALU_DEP_1) | instskip(SKIP_1) | instid1(VALU_DEP_1)
	v_pk_fma_f32 v[198:199], v[168:169], v[180:181], v[184:185] op_sel:[0,0,1] op_sel_hi:[1,1,0] neg_lo:[0,0,1] neg_hi:[0,0,1]
	v_pk_fma_f32 v[168:169], v[168:169], v[180:181], v[184:185] op_sel:[0,0,1] op_sel_hi:[1,0,0]
	v_mov_b32_e32 v199, v169
	v_pk_mul_f32 v[168:169], v[170:171], v[182:183] op_sel:[0,1]
	s_delay_alu instid0(VALU_DEP_1) | instskip(SKIP_1) | instid1(VALU_DEP_1)
	v_pk_fma_f32 v[184:185], v[170:171], v[180:181], v[168:169] op_sel:[0,0,1] op_sel_hi:[1,1,0] neg_lo:[0,0,1] neg_hi:[0,0,1]
	v_pk_fma_f32 v[168:169], v[170:171], v[180:181], v[168:169] op_sel:[0,0,1] op_sel_hi:[1,0,0]
	v_mov_b32_e32 v185, v169
	ds_load_2addr_b64 v[168:171], v196 offset0:55 offset1:56
	v_pk_add_f32 v[224:225], v[224:225], v[198:199] neg_lo:[0,1] neg_hi:[0,1]
	v_pk_add_f32 v[226:227], v[226:227], v[184:185] neg_lo:[0,1] neg_hi:[0,1]
	s_wait_dscnt 0x0
	v_pk_mul_f32 v[184:185], v[168:169], v[182:183] op_sel:[0,1]
	s_delay_alu instid0(VALU_DEP_1) | instskip(SKIP_2) | instid1(VALU_DEP_2)
	v_pk_fma_f32 v[198:199], v[168:169], v[180:181], v[184:185] op_sel:[0,0,1] op_sel_hi:[1,1,0] neg_lo:[0,0,1] neg_hi:[0,0,1]
	v_pk_fma_f32 v[168:169], v[168:169], v[180:181], v[184:185] op_sel:[0,0,1] op_sel_hi:[1,0,0]
	v_dual_mul_f32 v184, v171, v183 :: v_dual_mov_b32 v168, v171
	v_dual_mov_b32 v199, v169 :: v_dual_mov_b32 v169, v170
	s_delay_alu instid0(VALU_DEP_2) | instskip(SKIP_1) | instid1(VALU_DEP_3)
	v_pk_fma_f32 v[184:185], v[170:171], v[228:229], v[184:185] op_sel_hi:[1,1,0] neg_lo:[0,0,1] neg_hi:[0,0,1]
	v_mul_f32_e32 v170, v171, v180
	v_pk_add_f32 v[222:223], v[222:223], v[198:199] neg_lo:[0,1] neg_hi:[0,1]
	s_delay_alu instid0(VALU_DEP_2) | instskip(NEXT) | instid1(VALU_DEP_1)
	v_pk_fma_f32 v[168:169], v[168:169], v[228:229], v[170:171] op_sel_hi:[1,1,0]
	v_mov_b32_e32 v185, v169
	ds_load_b64 v[168:169], v196 offset:456
	v_pk_add_f32 v[230:231], v[230:231], v[184:185] neg_lo:[0,1] neg_hi:[0,1]
	s_wait_dscnt 0x0
	v_pk_mul_f32 v[170:171], v[168:169], v[182:183] op_sel:[0,1]
	s_delay_alu instid0(VALU_DEP_1) | instskip(SKIP_1) | instid1(VALU_DEP_1)
	v_pk_fma_f32 v[182:183], v[168:169], v[180:181], v[170:171] op_sel:[0,0,1] op_sel_hi:[1,1,0] neg_lo:[0,0,1] neg_hi:[0,0,1]
	v_pk_fma_f32 v[168:169], v[168:169], v[180:181], v[170:171] op_sel:[0,0,1] op_sel_hi:[1,0,0]
	v_mov_b32_e32 v183, v169
	s_delay_alu instid0(VALU_DEP_1)
	v_pk_add_f32 v[232:233], v[232:233], v[182:183] neg_lo:[0,1] neg_hi:[0,1]
.LBB115_478:
	s_or_b32 exec_lo, exec_lo, s1
	s_delay_alu instid0(SALU_CYCLE_1)
	s_mov_b32 s2, exec_lo
	s_wait_dscnt 0x0
	s_barrier_signal -1
	s_barrier_wait -1
	v_cmpx_eq_u32_e32 53, v186
	s_cbranch_execz .LBB115_485
; %bb.479:
	v_dual_mov_b32 v168, v226 :: v_dual_mov_b32 v169, v227
	v_dual_mov_b32 v170, v222 :: v_dual_mov_b32 v171, v223
	ds_store_b64 v187, v[224:225]
	ds_store_2addr_b64 v196, v[168:169], v[170:171] offset0:54 offset1:55
	v_dual_mov_b32 v168, v230 :: v_dual_mov_b32 v169, v231
	ds_store_2addr_b64 v196, v[168:169], v[232:233] offset0:56 offset1:57
	ds_load_b64 v[168:169], v187
	s_wait_dscnt 0x0
	v_cmp_neq_f32_e32 vcc_lo, 0, v168
	v_cmp_neq_f32_e64 s1, 0, v169
	s_or_b32 s1, vcc_lo, s1
	s_delay_alu instid0(SALU_CYCLE_1)
	s_and_b32 exec_lo, exec_lo, s1
	s_cbranch_execz .LBB115_485
; %bb.480:
	v_cmp_ngt_f32_e64 s1, |v168|, |v169|
                                        ; implicit-def: $vgpr170_vgpr171
	s_and_saveexec_b32 s4, s1
	s_delay_alu instid0(SALU_CYCLE_1)
	s_xor_b32 s1, exec_lo, s4
	s_cbranch_execz .LBB115_482
; %bb.481:
	v_div_scale_f32 v170, null, v169, v169, v168
	v_div_scale_f32 v181, vcc_lo, v168, v169, v168
	s_delay_alu instid0(VALU_DEP_2) | instskip(SKIP_1) | instid1(TRANS32_DEP_1)
	v_rcp_f32_e32 v171, v170
	v_nop
	v_fma_f32 v180, -v170, v171, 1.0
	s_delay_alu instid0(VALU_DEP_1) | instskip(NEXT) | instid1(VALU_DEP_1)
	v_fmac_f32_e32 v171, v180, v171
	v_mul_f32_e32 v180, v181, v171
	s_delay_alu instid0(VALU_DEP_1) | instskip(NEXT) | instid1(VALU_DEP_1)
	v_fma_f32 v182, -v170, v180, v181
	v_fmac_f32_e32 v180, v182, v171
	s_delay_alu instid0(VALU_DEP_1) | instskip(NEXT) | instid1(VALU_DEP_1)
	v_fma_f32 v170, -v170, v180, v181
	v_div_fmas_f32 v170, v170, v171, v180
	s_delay_alu instid0(VALU_DEP_1) | instskip(NEXT) | instid1(VALU_DEP_1)
	v_div_fixup_f32 v170, v170, v169, v168
	v_fmac_f32_e32 v169, v168, v170
	s_delay_alu instid0(VALU_DEP_1) | instskip(SKIP_1) | instid1(VALU_DEP_2)
	v_div_scale_f32 v168, null, v169, v169, 1.0
	v_div_scale_f32 v181, vcc_lo, 1.0, v169, 1.0
	v_rcp_f32_e32 v171, v168
	v_nop
	s_delay_alu instid0(TRANS32_DEP_1) | instskip(NEXT) | instid1(VALU_DEP_1)
	v_fma_f32 v180, -v168, v171, 1.0
	v_fmac_f32_e32 v171, v180, v171
	s_delay_alu instid0(VALU_DEP_1) | instskip(NEXT) | instid1(VALU_DEP_1)
	v_mul_f32_e32 v180, v181, v171
	v_fma_f32 v182, -v168, v180, v181
	s_delay_alu instid0(VALU_DEP_1) | instskip(NEXT) | instid1(VALU_DEP_1)
	v_fmac_f32_e32 v180, v182, v171
	v_fma_f32 v168, -v168, v180, v181
	s_delay_alu instid0(VALU_DEP_1) | instskip(NEXT) | instid1(VALU_DEP_1)
	v_div_fmas_f32 v168, v168, v171, v180
	v_div_fixup_f32 v168, v168, v169, 1.0
	s_delay_alu instid0(VALU_DEP_1)
	v_mul_f32_e32 v170, v170, v168
	v_xor_b32_e32 v171, 0x80000000, v168
                                        ; implicit-def: $vgpr168_vgpr169
.LBB115_482:
	s_and_not1_saveexec_b32 s1, s1
	s_cbranch_execz .LBB115_484
; %bb.483:
	v_div_scale_f32 v170, null, v168, v168, v169
	v_div_scale_f32 v181, vcc_lo, v169, v168, v169
	s_delay_alu instid0(VALU_DEP_2) | instskip(SKIP_1) | instid1(TRANS32_DEP_1)
	v_rcp_f32_e32 v171, v170
	v_nop
	v_fma_f32 v180, -v170, v171, 1.0
	s_delay_alu instid0(VALU_DEP_1) | instskip(NEXT) | instid1(VALU_DEP_1)
	v_fmac_f32_e32 v171, v180, v171
	v_mul_f32_e32 v180, v181, v171
	s_delay_alu instid0(VALU_DEP_1) | instskip(NEXT) | instid1(VALU_DEP_1)
	v_fma_f32 v182, -v170, v180, v181
	v_fmac_f32_e32 v180, v182, v171
	s_delay_alu instid0(VALU_DEP_1) | instskip(NEXT) | instid1(VALU_DEP_1)
	v_fma_f32 v170, -v170, v180, v181
	v_div_fmas_f32 v170, v170, v171, v180
	s_delay_alu instid0(VALU_DEP_1) | instskip(NEXT) | instid1(VALU_DEP_1)
	v_div_fixup_f32 v171, v170, v168, v169
	v_fmac_f32_e32 v168, v169, v171
	s_delay_alu instid0(VALU_DEP_1) | instskip(NEXT) | instid1(VALU_DEP_1)
	v_div_scale_f32 v169, null, v168, v168, 1.0
	v_rcp_f32_e32 v170, v169
	v_nop
	s_delay_alu instid0(TRANS32_DEP_1) | instskip(NEXT) | instid1(VALU_DEP_1)
	v_fma_f32 v180, -v169, v170, 1.0
	v_fmac_f32_e32 v170, v180, v170
	v_div_scale_f32 v180, vcc_lo, 1.0, v168, 1.0
	s_delay_alu instid0(VALU_DEP_1) | instskip(NEXT) | instid1(VALU_DEP_1)
	v_mul_f32_e32 v181, v180, v170
	v_fma_f32 v182, -v169, v181, v180
	s_delay_alu instid0(VALU_DEP_1) | instskip(NEXT) | instid1(VALU_DEP_1)
	v_fmac_f32_e32 v181, v182, v170
	v_fma_f32 v169, -v169, v181, v180
	s_delay_alu instid0(VALU_DEP_1) | instskip(NEXT) | instid1(VALU_DEP_1)
	v_div_fmas_f32 v169, v169, v170, v181
	v_div_fixup_f32 v170, v169, v168, 1.0
	s_delay_alu instid0(VALU_DEP_1)
	v_mul_f32_e64 v171, v171, -v170
.LBB115_484:
	s_or_b32 exec_lo, exec_lo, s1
	ds_store_b64 v187, v[170:171]
.LBB115_485:
	s_or_b32 exec_lo, exec_lo, s2
	s_wait_dscnt 0x0
	s_barrier_signal -1
	s_barrier_wait -1
	ds_load_b64 v[170:171], v187
	s_mov_b32 s1, exec_lo
	v_cmpx_lt_u32_e32 53, v186
	s_cbranch_execz .LBB115_487
; %bb.486:
	ds_load_2addr_b64 v[180:183], v196 offset0:54 offset1:55
	s_wait_dscnt 0x1
	v_pk_mul_f32 v[168:169], v[170:171], v[224:225] op_sel:[1,1] op_sel_hi:[0,1]
	s_delay_alu instid0(VALU_DEP_1) | instskip(SKIP_1) | instid1(VALU_DEP_1)
	v_pk_fma_f32 v[184:185], v[170:171], v[224:225], v[168:169] op_sel_hi:[1,0,1] neg_lo:[0,0,1] neg_hi:[0,0,1]
	v_pk_fma_f32 v[168:169], v[170:171], v[224:225], v[168:169] op_sel_hi:[1,0,1]
	v_dual_mov_b32 v224, v184 :: v_dual_mov_b32 v225, v169
	s_wait_dscnt 0x0
	s_delay_alu instid0(VALU_DEP_2) | instskip(NEXT) | instid1(VALU_DEP_1)
	v_pk_mul_f32 v[198:199], v[180:181], v[168:169] op_sel:[0,1]
	v_pk_fma_f32 v[200:201], v[180:181], v[184:185], v[198:199] op_sel:[0,0,1] op_sel_hi:[1,1,0] neg_lo:[0,0,1] neg_hi:[0,0,1]
	v_pk_fma_f32 v[180:181], v[180:181], v[184:185], v[198:199] op_sel:[0,0,1] op_sel_hi:[1,0,0]
	s_delay_alu instid0(VALU_DEP_1) | instskip(SKIP_1) | instid1(VALU_DEP_1)
	v_mov_b32_e32 v201, v181
	v_pk_mul_f32 v[180:181], v[182:183], v[168:169] op_sel:[0,1]
	v_pk_fma_f32 v[198:199], v[182:183], v[184:185], v[180:181] op_sel:[0,0,1] op_sel_hi:[1,1,0] neg_lo:[0,0,1] neg_hi:[0,0,1]
	v_pk_fma_f32 v[180:181], v[182:183], v[184:185], v[180:181] op_sel:[0,0,1] op_sel_hi:[1,0,0]
	s_delay_alu instid0(VALU_DEP_1)
	v_mov_b32_e32 v199, v181
	ds_load_2addr_b64 v[180:183], v196 offset0:56 offset1:57
	v_pk_add_f32 v[226:227], v[226:227], v[200:201] neg_lo:[0,1] neg_hi:[0,1]
	v_pk_add_f32 v[222:223], v[222:223], v[198:199] neg_lo:[0,1] neg_hi:[0,1]
	s_wait_dscnt 0x0
	v_pk_mul_f32 v[198:199], v[180:181], v[168:169] op_sel:[0,1]
	s_delay_alu instid0(VALU_DEP_1) | instskip(SKIP_1) | instid1(VALU_DEP_1)
	v_pk_fma_f32 v[200:201], v[180:181], v[184:185], v[198:199] op_sel:[0,0,1] op_sel_hi:[1,1,0] neg_lo:[0,0,1] neg_hi:[0,0,1]
	v_pk_fma_f32 v[180:181], v[180:181], v[184:185], v[198:199] op_sel:[0,0,1] op_sel_hi:[1,0,0]
	v_dual_mov_b32 v180, v183 :: v_dual_mov_b32 v201, v181
	v_mov_b32_e32 v181, v182
	s_delay_alu instid0(VALU_DEP_2) | instskip(NEXT) | instid1(VALU_DEP_2)
	v_pk_add_f32 v[230:231], v[230:231], v[200:201] neg_lo:[0,1] neg_hi:[0,1]
	v_pk_mul_f32 v[168:169], v[180:181], v[168:169] op_sel:[0,1]
	s_delay_alu instid0(VALU_DEP_1) | instskip(SKIP_1) | instid1(VALU_DEP_1)
	v_pk_fma_f32 v[180:181], v[182:183], v[184:185], v[168:169] neg_lo:[0,0,1] neg_hi:[0,0,1]
	v_pk_fma_f32 v[168:169], v[182:183], v[184:185], v[168:169] op_sel_hi:[1,0,1]
	v_mov_b32_e32 v181, v169
	s_delay_alu instid0(VALU_DEP_1)
	v_pk_add_f32 v[232:233], v[232:233], v[180:181] neg_lo:[0,1] neg_hi:[0,1]
.LBB115_487:
	s_or_b32 exec_lo, exec_lo, s1
	s_delay_alu instid0(SALU_CYCLE_1)
	s_mov_b32 s2, exec_lo
	s_wait_dscnt 0x0
	s_barrier_signal -1
	s_barrier_wait -1
	v_cmpx_eq_u32_e32 54, v186
	s_cbranch_execz .LBB115_494
; %bb.488:
	ds_store_b64 v187, v[226:227]
	ds_store_2addr_b64 v196, v[222:223], v[230:231] offset0:55 offset1:56
	ds_store_b64 v196, v[232:233] offset:456
	ds_load_b64 v[168:169], v187
	s_wait_dscnt 0x0
	v_cmp_neq_f32_e32 vcc_lo, 0, v168
	v_cmp_neq_f32_e64 s1, 0, v169
	s_or_b32 s1, vcc_lo, s1
	s_delay_alu instid0(SALU_CYCLE_1)
	s_and_b32 exec_lo, exec_lo, s1
	s_cbranch_execz .LBB115_494
; %bb.489:
	v_cmp_ngt_f32_e64 s1, |v168|, |v169|
                                        ; implicit-def: $vgpr180_vgpr181
	s_and_saveexec_b32 s4, s1
	s_delay_alu instid0(SALU_CYCLE_1)
	s_xor_b32 s1, exec_lo, s4
	s_cbranch_execz .LBB115_491
; %bb.490:
	v_div_scale_f32 v180, null, v169, v169, v168
	v_div_scale_f32 v183, vcc_lo, v168, v169, v168
	s_delay_alu instid0(VALU_DEP_2) | instskip(SKIP_1) | instid1(TRANS32_DEP_1)
	v_rcp_f32_e32 v181, v180
	v_nop
	v_fma_f32 v182, -v180, v181, 1.0
	s_delay_alu instid0(VALU_DEP_1) | instskip(NEXT) | instid1(VALU_DEP_1)
	v_fmac_f32_e32 v181, v182, v181
	v_mul_f32_e32 v182, v183, v181
	s_delay_alu instid0(VALU_DEP_1) | instskip(NEXT) | instid1(VALU_DEP_1)
	v_fma_f32 v184, -v180, v182, v183
	v_fmac_f32_e32 v182, v184, v181
	s_delay_alu instid0(VALU_DEP_1) | instskip(NEXT) | instid1(VALU_DEP_1)
	v_fma_f32 v180, -v180, v182, v183
	v_div_fmas_f32 v180, v180, v181, v182
	s_delay_alu instid0(VALU_DEP_1) | instskip(NEXT) | instid1(VALU_DEP_1)
	v_div_fixup_f32 v180, v180, v169, v168
	v_fmac_f32_e32 v169, v168, v180
	s_delay_alu instid0(VALU_DEP_1) | instskip(SKIP_1) | instid1(VALU_DEP_2)
	v_div_scale_f32 v168, null, v169, v169, 1.0
	v_div_scale_f32 v183, vcc_lo, 1.0, v169, 1.0
	v_rcp_f32_e32 v181, v168
	v_nop
	s_delay_alu instid0(TRANS32_DEP_1) | instskip(NEXT) | instid1(VALU_DEP_1)
	v_fma_f32 v182, -v168, v181, 1.0
	v_fmac_f32_e32 v181, v182, v181
	s_delay_alu instid0(VALU_DEP_1) | instskip(NEXT) | instid1(VALU_DEP_1)
	v_mul_f32_e32 v182, v183, v181
	v_fma_f32 v184, -v168, v182, v183
	s_delay_alu instid0(VALU_DEP_1) | instskip(NEXT) | instid1(VALU_DEP_1)
	v_fmac_f32_e32 v182, v184, v181
	v_fma_f32 v168, -v168, v182, v183
	s_delay_alu instid0(VALU_DEP_1) | instskip(NEXT) | instid1(VALU_DEP_1)
	v_div_fmas_f32 v168, v168, v181, v182
	v_div_fixup_f32 v168, v168, v169, 1.0
	s_delay_alu instid0(VALU_DEP_1)
	v_mul_f32_e32 v180, v180, v168
	v_xor_b32_e32 v181, 0x80000000, v168
                                        ; implicit-def: $vgpr168_vgpr169
.LBB115_491:
	s_and_not1_saveexec_b32 s1, s1
	s_cbranch_execz .LBB115_493
; %bb.492:
	v_div_scale_f32 v180, null, v168, v168, v169
	v_div_scale_f32 v183, vcc_lo, v169, v168, v169
	s_delay_alu instid0(VALU_DEP_2) | instskip(SKIP_1) | instid1(TRANS32_DEP_1)
	v_rcp_f32_e32 v181, v180
	v_nop
	v_fma_f32 v182, -v180, v181, 1.0
	s_delay_alu instid0(VALU_DEP_1) | instskip(NEXT) | instid1(VALU_DEP_1)
	v_fmac_f32_e32 v181, v182, v181
	v_mul_f32_e32 v182, v183, v181
	s_delay_alu instid0(VALU_DEP_1) | instskip(NEXT) | instid1(VALU_DEP_1)
	v_fma_f32 v184, -v180, v182, v183
	v_fmac_f32_e32 v182, v184, v181
	s_delay_alu instid0(VALU_DEP_1) | instskip(NEXT) | instid1(VALU_DEP_1)
	v_fma_f32 v180, -v180, v182, v183
	v_div_fmas_f32 v180, v180, v181, v182
	s_delay_alu instid0(VALU_DEP_1) | instskip(NEXT) | instid1(VALU_DEP_1)
	v_div_fixup_f32 v181, v180, v168, v169
	v_fmac_f32_e32 v168, v169, v181
	s_delay_alu instid0(VALU_DEP_1) | instskip(NEXT) | instid1(VALU_DEP_1)
	v_div_scale_f32 v169, null, v168, v168, 1.0
	v_rcp_f32_e32 v180, v169
	v_nop
	s_delay_alu instid0(TRANS32_DEP_1) | instskip(NEXT) | instid1(VALU_DEP_1)
	v_fma_f32 v182, -v169, v180, 1.0
	v_fmac_f32_e32 v180, v182, v180
	v_div_scale_f32 v182, vcc_lo, 1.0, v168, 1.0
	s_delay_alu instid0(VALU_DEP_1) | instskip(NEXT) | instid1(VALU_DEP_1)
	v_mul_f32_e32 v183, v182, v180
	v_fma_f32 v184, -v169, v183, v182
	s_delay_alu instid0(VALU_DEP_1) | instskip(NEXT) | instid1(VALU_DEP_1)
	v_fmac_f32_e32 v183, v184, v180
	v_fma_f32 v169, -v169, v183, v182
	s_delay_alu instid0(VALU_DEP_1) | instskip(NEXT) | instid1(VALU_DEP_1)
	v_div_fmas_f32 v169, v169, v180, v183
	v_div_fixup_f32 v180, v169, v168, 1.0
	s_delay_alu instid0(VALU_DEP_1)
	v_mul_f32_e64 v181, v181, -v180
.LBB115_493:
	s_or_b32 exec_lo, exec_lo, s1
	ds_store_b64 v187, v[180:181]
.LBB115_494:
	s_or_b32 exec_lo, exec_lo, s2
	s_wait_dscnt 0x0
	s_barrier_signal -1
	s_barrier_wait -1
	ds_load_b64 v[180:181], v187
	s_mov_b32 s1, exec_lo
	v_cmpx_lt_u32_e32 54, v186
	s_cbranch_execz .LBB115_496
; %bb.495:
	ds_load_2addr_b64 v[182:185], v196 offset0:55 offset1:56
	s_wait_dscnt 0x1
	v_pk_mul_f32 v[168:169], v[180:181], v[226:227] op_sel:[1,1] op_sel_hi:[0,1]
	s_delay_alu instid0(VALU_DEP_1) | instskip(SKIP_1) | instid1(VALU_DEP_1)
	v_pk_fma_f32 v[198:199], v[180:181], v[226:227], v[168:169] op_sel_hi:[1,0,1] neg_lo:[0,0,1] neg_hi:[0,0,1]
	v_pk_fma_f32 v[168:169], v[180:181], v[226:227], v[168:169] op_sel_hi:[1,0,1]
	v_dual_mov_b32 v226, v198 :: v_dual_mov_b32 v227, v169
	s_wait_dscnt 0x0
	s_delay_alu instid0(VALU_DEP_2) | instskip(NEXT) | instid1(VALU_DEP_1)
	v_pk_mul_f32 v[200:201], v[182:183], v[168:169] op_sel:[0,1]
	v_pk_fma_f32 v[202:203], v[182:183], v[198:199], v[200:201] op_sel:[0,0,1] op_sel_hi:[1,1,0] neg_lo:[0,0,1] neg_hi:[0,0,1]
	v_pk_fma_f32 v[182:183], v[182:183], v[198:199], v[200:201] op_sel:[0,0,1] op_sel_hi:[1,0,0]
	s_delay_alu instid0(VALU_DEP_1) | instskip(SKIP_1) | instid1(VALU_DEP_1)
	v_mov_b32_e32 v203, v183
	v_pk_mul_f32 v[182:183], v[184:185], v[168:169] op_sel:[0,1]
	v_pk_fma_f32 v[200:201], v[184:185], v[198:199], v[182:183] op_sel:[0,0,1] op_sel_hi:[1,1,0] neg_lo:[0,0,1] neg_hi:[0,0,1]
	v_pk_fma_f32 v[182:183], v[184:185], v[198:199], v[182:183] op_sel:[0,0,1] op_sel_hi:[1,0,0]
	s_delay_alu instid0(VALU_DEP_1)
	v_mov_b32_e32 v201, v183
	ds_load_b64 v[182:183], v196 offset:456
	v_pk_add_f32 v[222:223], v[222:223], v[202:203] neg_lo:[0,1] neg_hi:[0,1]
	v_pk_add_f32 v[230:231], v[230:231], v[200:201] neg_lo:[0,1] neg_hi:[0,1]
	s_wait_dscnt 0x0
	v_pk_mul_f32 v[168:169], v[182:183], v[168:169] op_sel:[1,1] op_sel_hi:[0,1]
	s_delay_alu instid0(VALU_DEP_1) | instskip(SKIP_1) | instid1(VALU_DEP_1)
	v_pk_fma_f32 v[184:185], v[182:183], v[198:199], v[168:169] neg_lo:[0,0,1] neg_hi:[0,0,1]
	v_pk_fma_f32 v[168:169], v[182:183], v[198:199], v[168:169] op_sel_hi:[1,0,1]
	v_mov_b32_e32 v185, v169
	s_delay_alu instid0(VALU_DEP_1)
	v_pk_add_f32 v[232:233], v[232:233], v[184:185] neg_lo:[0,1] neg_hi:[0,1]
.LBB115_496:
	s_or_b32 exec_lo, exec_lo, s1
	s_delay_alu instid0(SALU_CYCLE_1)
	s_mov_b32 s2, exec_lo
	s_wait_dscnt 0x0
	s_barrier_signal -1
	s_barrier_wait -1
	v_cmpx_eq_u32_e32 55, v186
	s_cbranch_execz .LBB115_503
; %bb.497:
	v_dual_mov_b32 v168, v230 :: v_dual_mov_b32 v169, v231
	ds_store_b64 v187, v[222:223]
	ds_store_2addr_b64 v196, v[168:169], v[232:233] offset0:56 offset1:57
	ds_load_b64 v[168:169], v187
	s_wait_dscnt 0x0
	v_cmp_neq_f32_e32 vcc_lo, 0, v168
	v_cmp_neq_f32_e64 s1, 0, v169
	s_or_b32 s1, vcc_lo, s1
	s_delay_alu instid0(SALU_CYCLE_1)
	s_and_b32 exec_lo, exec_lo, s1
	s_cbranch_execz .LBB115_503
; %bb.498:
	v_cmp_ngt_f32_e64 s1, |v168|, |v169|
                                        ; implicit-def: $vgpr182_vgpr183
	s_and_saveexec_b32 s4, s1
	s_delay_alu instid0(SALU_CYCLE_1)
	s_xor_b32 s1, exec_lo, s4
	s_cbranch_execz .LBB115_500
; %bb.499:
	v_div_scale_f32 v182, null, v169, v169, v168
	v_div_scale_f32 v185, vcc_lo, v168, v169, v168
	s_delay_alu instid0(VALU_DEP_2) | instskip(SKIP_1) | instid1(TRANS32_DEP_1)
	v_rcp_f32_e32 v183, v182
	v_nop
	v_fma_f32 v184, -v182, v183, 1.0
	s_delay_alu instid0(VALU_DEP_1) | instskip(NEXT) | instid1(VALU_DEP_1)
	v_fmac_f32_e32 v183, v184, v183
	v_mul_f32_e32 v184, v185, v183
	s_delay_alu instid0(VALU_DEP_1) | instskip(NEXT) | instid1(VALU_DEP_1)
	v_fma_f32 v197, -v182, v184, v185
	v_fmac_f32_e32 v184, v197, v183
	s_delay_alu instid0(VALU_DEP_1) | instskip(NEXT) | instid1(VALU_DEP_1)
	v_fma_f32 v182, -v182, v184, v185
	v_div_fmas_f32 v182, v182, v183, v184
	s_delay_alu instid0(VALU_DEP_1) | instskip(NEXT) | instid1(VALU_DEP_1)
	v_div_fixup_f32 v182, v182, v169, v168
	v_fmac_f32_e32 v169, v168, v182
	s_delay_alu instid0(VALU_DEP_1) | instskip(SKIP_1) | instid1(VALU_DEP_2)
	v_div_scale_f32 v168, null, v169, v169, 1.0
	v_div_scale_f32 v185, vcc_lo, 1.0, v169, 1.0
	v_rcp_f32_e32 v183, v168
	v_nop
	s_delay_alu instid0(TRANS32_DEP_1) | instskip(NEXT) | instid1(VALU_DEP_1)
	v_fma_f32 v184, -v168, v183, 1.0
	v_fmac_f32_e32 v183, v184, v183
	s_delay_alu instid0(VALU_DEP_1) | instskip(NEXT) | instid1(VALU_DEP_1)
	v_mul_f32_e32 v184, v185, v183
	v_fma_f32 v197, -v168, v184, v185
	s_delay_alu instid0(VALU_DEP_1) | instskip(NEXT) | instid1(VALU_DEP_1)
	v_fmac_f32_e32 v184, v197, v183
	v_fma_f32 v168, -v168, v184, v185
	s_delay_alu instid0(VALU_DEP_1) | instskip(NEXT) | instid1(VALU_DEP_1)
	v_div_fmas_f32 v168, v168, v183, v184
	v_div_fixup_f32 v168, v168, v169, 1.0
	s_delay_alu instid0(VALU_DEP_1)
	v_mul_f32_e32 v182, v182, v168
	v_xor_b32_e32 v183, 0x80000000, v168
                                        ; implicit-def: $vgpr168_vgpr169
.LBB115_500:
	s_and_not1_saveexec_b32 s1, s1
	s_cbranch_execz .LBB115_502
; %bb.501:
	v_div_scale_f32 v182, null, v168, v168, v169
	v_div_scale_f32 v185, vcc_lo, v169, v168, v169
	s_delay_alu instid0(VALU_DEP_2) | instskip(SKIP_1) | instid1(TRANS32_DEP_1)
	v_rcp_f32_e32 v183, v182
	v_nop
	v_fma_f32 v184, -v182, v183, 1.0
	s_delay_alu instid0(VALU_DEP_1) | instskip(NEXT) | instid1(VALU_DEP_1)
	v_fmac_f32_e32 v183, v184, v183
	v_mul_f32_e32 v184, v185, v183
	s_delay_alu instid0(VALU_DEP_1) | instskip(NEXT) | instid1(VALU_DEP_1)
	v_fma_f32 v197, -v182, v184, v185
	v_fmac_f32_e32 v184, v197, v183
	s_delay_alu instid0(VALU_DEP_1) | instskip(NEXT) | instid1(VALU_DEP_1)
	v_fma_f32 v182, -v182, v184, v185
	v_div_fmas_f32 v182, v182, v183, v184
	s_delay_alu instid0(VALU_DEP_1) | instskip(NEXT) | instid1(VALU_DEP_1)
	v_div_fixup_f32 v183, v182, v168, v169
	v_fmac_f32_e32 v168, v169, v183
	s_delay_alu instid0(VALU_DEP_1) | instskip(NEXT) | instid1(VALU_DEP_1)
	v_div_scale_f32 v169, null, v168, v168, 1.0
	v_rcp_f32_e32 v182, v169
	v_nop
	s_delay_alu instid0(TRANS32_DEP_1) | instskip(NEXT) | instid1(VALU_DEP_1)
	v_fma_f32 v184, -v169, v182, 1.0
	v_fmac_f32_e32 v182, v184, v182
	v_div_scale_f32 v184, vcc_lo, 1.0, v168, 1.0
	s_delay_alu instid0(VALU_DEP_1) | instskip(NEXT) | instid1(VALU_DEP_1)
	v_mul_f32_e32 v185, v184, v182
	v_fma_f32 v197, -v169, v185, v184
	s_delay_alu instid0(VALU_DEP_1) | instskip(NEXT) | instid1(VALU_DEP_1)
	v_fmac_f32_e32 v185, v197, v182
	v_fma_f32 v169, -v169, v185, v184
	s_delay_alu instid0(VALU_DEP_1) | instskip(NEXT) | instid1(VALU_DEP_1)
	v_div_fmas_f32 v169, v169, v182, v185
	v_div_fixup_f32 v182, v169, v168, 1.0
	s_delay_alu instid0(VALU_DEP_1)
	v_mul_f32_e64 v183, v183, -v182
.LBB115_502:
	s_or_b32 exec_lo, exec_lo, s1
	ds_store_b64 v187, v[182:183]
.LBB115_503:
	s_or_b32 exec_lo, exec_lo, s2
	s_wait_dscnt 0x0
	s_barrier_signal -1
	s_barrier_wait -1
	ds_load_b64 v[182:183], v187
	s_mov_b32 s1, exec_lo
	v_cmpx_lt_u32_e32 55, v186
	s_cbranch_execz .LBB115_505
; %bb.504:
	ds_load_2addr_b64 v[198:201], v196 offset0:56 offset1:57
	s_wait_dscnt 0x1
	v_pk_mul_f32 v[168:169], v[182:183], v[222:223] op_sel:[1,1] op_sel_hi:[0,1]
	v_mov_b64_e32 v[0:1], v[254:255]
	v_mov_b64_e32 v[254:255], v[252:253]
	v_mov_b64_e32 v[252:253], v[250:251]
	v_mov_b64_e32 v[250:251], v[248:249]
	v_pk_fma_f32 v[184:185], v[182:183], v[222:223], v[168:169] op_sel_hi:[1,0,1] neg_lo:[0,0,1] neg_hi:[0,0,1]
	v_pk_fma_f32 v[168:169], v[182:183], v[222:223], v[168:169] op_sel_hi:[1,0,1]
	v_mov_b64_e32 v[248:249], v[246:247]
	v_mov_b64_e32 v[246:247], v[244:245]
	;; [unrolled: 1-line block ×12, first 2 shown]
	s_wait_dscnt 0x0
	v_pk_mul_f32 v[202:203], v[198:199], v[168:169] op_sel:[0,1]
	v_mov_b64_e32 v[214:215], v[204:205]
	v_dual_mov_b32 v222, v184 :: v_dual_mov_b32 v223, v169
	s_delay_alu instid0(VALU_DEP_3) | instskip(SKIP_1) | instid1(VALU_DEP_1)
	v_pk_fma_f32 v[204:205], v[198:199], v[184:185], v[202:203] op_sel:[0,0,1] op_sel_hi:[1,1,0] neg_lo:[0,0,1] neg_hi:[0,0,1]
	v_pk_fma_f32 v[198:199], v[198:199], v[184:185], v[202:203] op_sel:[0,0,1] op_sel_hi:[1,0,0]
	v_dual_mov_b32 v198, v201 :: v_dual_mov_b32 v205, v199
	v_mov_b32_e32 v199, v200
	s_delay_alu instid0(VALU_DEP_2) | instskip(NEXT) | instid1(VALU_DEP_2)
	v_pk_add_f32 v[230:231], v[230:231], v[204:205] neg_lo:[0,1] neg_hi:[0,1]
	v_pk_mul_f32 v[168:169], v[198:199], v[168:169] op_sel:[0,1]
	v_mov_b64_e32 v[204:205], v[214:215]
	v_mov_b64_e32 v[214:215], v[216:217]
	;; [unrolled: 1-line block ×4, first 2 shown]
	v_pk_fma_f32 v[198:199], v[200:201], v[184:185], v[168:169] neg_lo:[0,0,1] neg_hi:[0,0,1]
	v_pk_fma_f32 v[168:169], v[200:201], v[184:185], v[168:169] op_sel_hi:[1,0,1]
	v_mov_b64_e32 v[220:221], v[234:235]
	v_mov_b64_e32 v[234:235], v[236:237]
	;; [unrolled: 1-line block ×4, first 2 shown]
	v_mov_b32_e32 v199, v169
	v_mov_b64_e32 v[240:241], v[16:17]
	v_mov_b64_e32 v[16:17], v[242:243]
	;; [unrolled: 1-line block ×9, first 2 shown]
	v_pk_add_f32 v[232:233], v[232:233], v[198:199] neg_lo:[0,1] neg_hi:[0,1]
.LBB115_505:
	s_or_b32 exec_lo, exec_lo, s1
	s_delay_alu instid0(SALU_CYCLE_1)
	s_mov_b32 s2, exec_lo
	s_wait_dscnt 0x0
	s_barrier_signal -1
	s_barrier_wait -1
	v_cmpx_eq_u32_e32 56, v186
	s_cbranch_execz .LBB115_512
; %bb.506:
	ds_store_b64 v187, v[230:231]
	ds_store_b64 v196, v[232:233] offset:456
	ds_load_b64 v[168:169], v187
	s_wait_dscnt 0x0
	v_cmp_neq_f32_e32 vcc_lo, 0, v168
	v_cmp_neq_f32_e64 s1, 0, v169
	s_or_b32 s1, vcc_lo, s1
	s_delay_alu instid0(SALU_CYCLE_1)
	s_and_b32 exec_lo, exec_lo, s1
	s_cbranch_execz .LBB115_512
; %bb.507:
	v_cmp_ngt_f32_e64 s1, |v168|, |v169|
                                        ; implicit-def: $vgpr184_vgpr185
	s_and_saveexec_b32 s4, s1
	s_delay_alu instid0(SALU_CYCLE_1)
	s_xor_b32 s1, exec_lo, s4
	s_cbranch_execz .LBB115_509
; %bb.508:
	v_div_scale_f32 v184, null, v169, v169, v168
	v_div_scale_f32 v198, vcc_lo, v168, v169, v168
	s_delay_alu instid0(VALU_DEP_2) | instskip(SKIP_1) | instid1(TRANS32_DEP_1)
	v_rcp_f32_e32 v185, v184
	v_nop
	v_fma_f32 v197, -v184, v185, 1.0
	s_delay_alu instid0(VALU_DEP_1) | instskip(NEXT) | instid1(VALU_DEP_1)
	v_fmac_f32_e32 v185, v197, v185
	v_mul_f32_e32 v197, v198, v185
	s_delay_alu instid0(VALU_DEP_1) | instskip(NEXT) | instid1(VALU_DEP_1)
	v_fma_f32 v199, -v184, v197, v198
	v_fmac_f32_e32 v197, v199, v185
	s_delay_alu instid0(VALU_DEP_1) | instskip(NEXT) | instid1(VALU_DEP_1)
	v_fma_f32 v184, -v184, v197, v198
	v_div_fmas_f32 v184, v184, v185, v197
	s_delay_alu instid0(VALU_DEP_1) | instskip(NEXT) | instid1(VALU_DEP_1)
	v_div_fixup_f32 v184, v184, v169, v168
	v_fmac_f32_e32 v169, v168, v184
	s_delay_alu instid0(VALU_DEP_1) | instskip(SKIP_1) | instid1(VALU_DEP_2)
	v_div_scale_f32 v168, null, v169, v169, 1.0
	v_div_scale_f32 v198, vcc_lo, 1.0, v169, 1.0
	v_rcp_f32_e32 v185, v168
	v_nop
	s_delay_alu instid0(TRANS32_DEP_1) | instskip(NEXT) | instid1(VALU_DEP_1)
	v_fma_f32 v197, -v168, v185, 1.0
	v_fmac_f32_e32 v185, v197, v185
	s_delay_alu instid0(VALU_DEP_1) | instskip(NEXT) | instid1(VALU_DEP_1)
	v_mul_f32_e32 v197, v198, v185
	v_fma_f32 v199, -v168, v197, v198
	s_delay_alu instid0(VALU_DEP_1) | instskip(NEXT) | instid1(VALU_DEP_1)
	v_fmac_f32_e32 v197, v199, v185
	v_fma_f32 v168, -v168, v197, v198
	s_delay_alu instid0(VALU_DEP_1) | instskip(NEXT) | instid1(VALU_DEP_1)
	v_div_fmas_f32 v168, v168, v185, v197
	v_div_fixup_f32 v168, v168, v169, 1.0
	s_delay_alu instid0(VALU_DEP_1)
	v_mul_f32_e32 v184, v184, v168
	v_xor_b32_e32 v185, 0x80000000, v168
                                        ; implicit-def: $vgpr168_vgpr169
.LBB115_509:
	s_and_not1_saveexec_b32 s1, s1
	s_cbranch_execz .LBB115_511
; %bb.510:
	v_div_scale_f32 v184, null, v168, v168, v169
	v_div_scale_f32 v198, vcc_lo, v169, v168, v169
	s_delay_alu instid0(VALU_DEP_2) | instskip(SKIP_1) | instid1(TRANS32_DEP_1)
	v_rcp_f32_e32 v185, v184
	v_nop
	v_fma_f32 v197, -v184, v185, 1.0
	s_delay_alu instid0(VALU_DEP_1) | instskip(NEXT) | instid1(VALU_DEP_1)
	v_fmac_f32_e32 v185, v197, v185
	v_mul_f32_e32 v197, v198, v185
	s_delay_alu instid0(VALU_DEP_1) | instskip(NEXT) | instid1(VALU_DEP_1)
	v_fma_f32 v199, -v184, v197, v198
	v_fmac_f32_e32 v197, v199, v185
	s_delay_alu instid0(VALU_DEP_1) | instskip(NEXT) | instid1(VALU_DEP_1)
	v_fma_f32 v184, -v184, v197, v198
	v_div_fmas_f32 v184, v184, v185, v197
	s_delay_alu instid0(VALU_DEP_1) | instskip(NEXT) | instid1(VALU_DEP_1)
	v_div_fixup_f32 v185, v184, v168, v169
	v_fmac_f32_e32 v168, v169, v185
	s_delay_alu instid0(VALU_DEP_1) | instskip(NEXT) | instid1(VALU_DEP_1)
	v_div_scale_f32 v169, null, v168, v168, 1.0
	v_rcp_f32_e32 v184, v169
	v_nop
	s_delay_alu instid0(TRANS32_DEP_1) | instskip(NEXT) | instid1(VALU_DEP_1)
	v_fma_f32 v197, -v169, v184, 1.0
	v_fmac_f32_e32 v184, v197, v184
	v_div_scale_f32 v197, vcc_lo, 1.0, v168, 1.0
	s_delay_alu instid0(VALU_DEP_1) | instskip(NEXT) | instid1(VALU_DEP_1)
	v_mul_f32_e32 v198, v197, v184
	v_fma_f32 v199, -v169, v198, v197
	s_delay_alu instid0(VALU_DEP_1) | instskip(NEXT) | instid1(VALU_DEP_1)
	v_fmac_f32_e32 v198, v199, v184
	v_fma_f32 v169, -v169, v198, v197
	s_delay_alu instid0(VALU_DEP_1) | instskip(NEXT) | instid1(VALU_DEP_1)
	v_div_fmas_f32 v169, v169, v184, v198
	v_div_fixup_f32 v184, v169, v168, 1.0
	s_delay_alu instid0(VALU_DEP_1)
	v_mul_f32_e64 v185, v185, -v184
.LBB115_511:
	s_or_b32 exec_lo, exec_lo, s1
	ds_store_b64 v187, v[184:185]
.LBB115_512:
	s_or_b32 exec_lo, exec_lo, s2
	s_wait_dscnt 0x0
	s_barrier_signal -1
	s_barrier_wait -1
	ds_load_b64 v[184:185], v187
	s_mov_b32 s1, exec_lo
	v_cmpx_lt_u32_e32 56, v186
	s_cbranch_execz .LBB115_514
; %bb.513:
	ds_load_b64 v[168:169], v196 offset:456
	s_wait_dscnt 0x1
	v_pk_mul_f32 v[196:197], v[184:185], v[230:231] op_sel:[1,1] op_sel_hi:[0,1]
	s_delay_alu instid0(VALU_DEP_1) | instskip(SKIP_2) | instid1(VALU_DEP_2)
	v_pk_fma_f32 v[198:199], v[184:185], v[230:231], v[196:197] op_sel_hi:[1,0,1]
	v_pk_fma_f32 v[230:231], v[184:185], v[230:231], v[196:197] op_sel_hi:[1,0,1] neg_lo:[0,0,1] neg_hi:[0,0,1]
	s_wait_dscnt 0x0
	v_pk_mul_f32 v[196:197], v[168:169], v[198:199] op_sel:[1,1] op_sel_hi:[0,1]
	s_delay_alu instid0(VALU_DEP_1) | instskip(SKIP_1) | instid1(VALU_DEP_2)
	v_pk_fma_f32 v[200:201], v[168:169], v[230:231], v[196:197] op_sel_hi:[1,0,1]
	v_pk_fma_f32 v[168:169], v[168:169], v[230:231], v[196:197] neg_lo:[0,0,1] neg_hi:[0,0,1]
	v_dual_mov_b32 v231, v199 :: v_dual_mov_b32 v169, v201
	s_delay_alu instid0(VALU_DEP_1)
	v_pk_add_f32 v[232:233], v[232:233], v[168:169] neg_lo:[0,1] neg_hi:[0,1]
.LBB115_514:
	s_or_b32 exec_lo, exec_lo, s1
	s_delay_alu instid0(SALU_CYCLE_1)
	s_mov_b32 s2, exec_lo
	s_wait_dscnt 0x0
	s_barrier_signal -1
	s_barrier_wait -1
	v_cmpx_eq_u32_e32 57, v186
	s_cbranch_execz .LBB115_521
; %bb.515:
	v_cmp_neq_f32_e32 vcc_lo, 0, v232
	v_cmp_neq_f32_e64 s1, 0, v233
	ds_store_b64 v187, v[232:233]
	s_or_b32 s1, vcc_lo, s1
	s_delay_alu instid0(SALU_CYCLE_1)
	s_and_b32 exec_lo, exec_lo, s1
	s_cbranch_execz .LBB115_521
; %bb.516:
	v_cmp_ngt_f32_e64 s1, |v232|, |v233|
                                        ; implicit-def: $vgpr168_vgpr169
	s_and_saveexec_b32 s4, s1
	s_delay_alu instid0(SALU_CYCLE_1)
	s_xor_b32 s1, exec_lo, s4
	s_cbranch_execz .LBB115_518
; %bb.517:
	v_div_scale_f32 v168, null, v233, v233, v232
	v_div_scale_f32 v197, vcc_lo, v232, v233, v232
	s_delay_alu instid0(VALU_DEP_2) | instskip(SKIP_1) | instid1(TRANS32_DEP_1)
	v_rcp_f32_e32 v169, v168
	v_nop
	v_fma_f32 v196, -v168, v169, 1.0
	s_delay_alu instid0(VALU_DEP_1) | instskip(NEXT) | instid1(VALU_DEP_1)
	v_fmac_f32_e32 v169, v196, v169
	v_mul_f32_e32 v196, v197, v169
	s_delay_alu instid0(VALU_DEP_1) | instskip(NEXT) | instid1(VALU_DEP_1)
	v_fma_f32 v198, -v168, v196, v197
	v_fmac_f32_e32 v196, v198, v169
	s_delay_alu instid0(VALU_DEP_1) | instskip(NEXT) | instid1(VALU_DEP_1)
	v_fma_f32 v168, -v168, v196, v197
	v_div_fmas_f32 v168, v168, v169, v196
	s_delay_alu instid0(VALU_DEP_1) | instskip(NEXT) | instid1(VALU_DEP_1)
	v_div_fixup_f32 v168, v168, v233, v232
	v_fma_f32 v169, v232, v168, v233
	s_delay_alu instid0(VALU_DEP_1) | instskip(SKIP_1) | instid1(VALU_DEP_2)
	v_div_scale_f32 v196, null, v169, v169, 1.0
	v_div_scale_f32 v199, vcc_lo, 1.0, v169, 1.0
	v_rcp_f32_e32 v197, v196
	v_nop
	s_delay_alu instid0(TRANS32_DEP_1) | instskip(NEXT) | instid1(VALU_DEP_1)
	v_fma_f32 v198, -v196, v197, 1.0
	v_fmac_f32_e32 v197, v198, v197
	s_delay_alu instid0(VALU_DEP_1) | instskip(NEXT) | instid1(VALU_DEP_1)
	v_mul_f32_e32 v198, v199, v197
	v_fma_f32 v200, -v196, v198, v199
	s_delay_alu instid0(VALU_DEP_1) | instskip(NEXT) | instid1(VALU_DEP_1)
	v_fmac_f32_e32 v198, v200, v197
	v_fma_f32 v196, -v196, v198, v199
	s_delay_alu instid0(VALU_DEP_1) | instskip(NEXT) | instid1(VALU_DEP_1)
	v_div_fmas_f32 v196, v196, v197, v198
	v_div_fixup_f32 v169, v196, v169, 1.0
	s_delay_alu instid0(VALU_DEP_1)
	v_mul_f32_e32 v168, v168, v169
	v_xor_b32_e32 v169, 0x80000000, v169
.LBB115_518:
	s_and_not1_saveexec_b32 s1, s1
	s_cbranch_execz .LBB115_520
; %bb.519:
	v_div_scale_f32 v168, null, v232, v232, v233
	v_div_scale_f32 v197, vcc_lo, v233, v232, v233
	s_delay_alu instid0(VALU_DEP_2) | instskip(SKIP_1) | instid1(TRANS32_DEP_1)
	v_rcp_f32_e32 v169, v168
	v_nop
	v_fma_f32 v196, -v168, v169, 1.0
	s_delay_alu instid0(VALU_DEP_1) | instskip(NEXT) | instid1(VALU_DEP_1)
	v_fmac_f32_e32 v169, v196, v169
	v_mul_f32_e32 v196, v197, v169
	s_delay_alu instid0(VALU_DEP_1) | instskip(NEXT) | instid1(VALU_DEP_1)
	v_fma_f32 v198, -v168, v196, v197
	v_fmac_f32_e32 v196, v198, v169
	s_delay_alu instid0(VALU_DEP_1) | instskip(NEXT) | instid1(VALU_DEP_1)
	v_fma_f32 v168, -v168, v196, v197
	v_div_fmas_f32 v168, v168, v169, v196
	s_delay_alu instid0(VALU_DEP_1) | instskip(NEXT) | instid1(VALU_DEP_1)
	v_div_fixup_f32 v169, v168, v232, v233
	v_fma_f32 v168, v233, v169, v232
	s_delay_alu instid0(VALU_DEP_1) | instskip(NEXT) | instid1(VALU_DEP_1)
	v_div_scale_f32 v196, null, v168, v168, 1.0
	v_rcp_f32_e32 v197, v196
	v_nop
	s_delay_alu instid0(TRANS32_DEP_1) | instskip(NEXT) | instid1(VALU_DEP_1)
	v_fma_f32 v198, -v196, v197, 1.0
	v_fmac_f32_e32 v197, v198, v197
	v_div_scale_f32 v198, vcc_lo, 1.0, v168, 1.0
	s_delay_alu instid0(VALU_DEP_1) | instskip(NEXT) | instid1(VALU_DEP_1)
	v_mul_f32_e32 v199, v198, v197
	v_fma_f32 v200, -v196, v199, v198
	s_delay_alu instid0(VALU_DEP_1) | instskip(NEXT) | instid1(VALU_DEP_1)
	v_fmac_f32_e32 v199, v200, v197
	v_fma_f32 v196, -v196, v199, v198
	s_delay_alu instid0(VALU_DEP_1) | instskip(NEXT) | instid1(VALU_DEP_1)
	v_div_fmas_f32 v196, v196, v197, v199
	v_div_fixup_f32 v168, v196, v168, 1.0
	s_delay_alu instid0(VALU_DEP_1)
	v_mul_f32_e64 v169, v169, -v168
.LBB115_520:
	s_or_b32 exec_lo, exec_lo, s1
	ds_store_b64 v187, v[168:169]
.LBB115_521:
	s_or_b32 exec_lo, exec_lo, s2
	s_wait_dscnt 0x0
	s_barrier_signal -1
	s_barrier_wait -1
	ds_load_b64 v[168:169], v187
	s_wait_dscnt 0x0
	s_barrier_signal -1
	s_barrier_wait -1
	s_and_saveexec_b32 s2, s0
	s_cbranch_execz .LBB115_524
; %bb.522:
	scratch_load_b64 v[0:1], off, off offset:328 th:TH_LOAD_LU ; 8-byte Folded Reload
	s_wait_loadcnt 0x0
	v_cmp_eq_f32_e32 vcc_lo, 0, v0
	v_cmp_eq_f32_e64 s0, 0, v1
	scratch_load_b64 v[0:1], off, off offset:336 th:TH_LOAD_LU ; 8-byte Folded Reload
	s_and_b32 s1, vcc_lo, s0
	s_delay_alu instid0(SALU_CYCLE_1)
	v_cndmask_b32_e64 v187, 0, 1, s1
	s_wait_loadcnt 0x0
	v_cmp_neq_f32_e32 vcc_lo, 0, v0
	v_cmp_neq_f32_e64 s0, 0, v1
	scratch_load_b64 v[0:1], off, off offset:344 th:TH_LOAD_LU ; 8-byte Folded Reload
	s_or_b32 s0, vcc_lo, s0
	s_delay_alu instid0(SALU_CYCLE_1)
	s_or_b32 vcc_lo, s0, s1
	v_cmp_eq_f32_e64 s1, 0, v169
	v_cndmask_b32_e32 v187, 2, v187, vcc_lo
	s_wait_loadcnt 0x0
	v_cmp_eq_f32_e32 vcc_lo, 0, v0
	v_cmp_eq_f32_e64 s0, 0, v1
	scratch_load_b64 v[0:1], off, off offset:352 th:TH_LOAD_LU ; 8-byte Folded Reload
	s_and_b32 s0, vcc_lo, s0
	v_cmp_eq_u32_e32 vcc_lo, 0, v187
	s_and_b32 s0, s0, vcc_lo
	s_delay_alu instid0(SALU_CYCLE_1)
	v_cndmask_b32_e64 v187, v187, 3, s0
	s_wait_loadcnt 0x0
	v_cmp_eq_f32_e32 vcc_lo, 0, v0
	v_cmp_eq_f32_e64 s0, 0, v1
	scratch_load_b64 v[0:1], off, off offset:360 th:TH_LOAD_LU ; 8-byte Folded Reload
	s_and_b32 s0, vcc_lo, s0
	v_cmp_eq_u32_e32 vcc_lo, 0, v187
	s_and_b32 s0, s0, vcc_lo
	s_delay_alu instid0(SALU_CYCLE_1)
	v_cndmask_b32_e64 v187, v187, 4, s0
	;; [unrolled: 9-line block ×9, first 2 shown]
	s_wait_loadcnt 0x0
	v_cmp_eq_f32_e32 vcc_lo, 0, v0
	v_cmp_eq_f32_e64 s0, 0, v1
	s_and_b32 s0, vcc_lo, s0
	v_cmp_eq_u32_e32 vcc_lo, 0, v187
	s_and_b32 s0, s0, vcc_lo
	v_cmp_eq_f32_e32 vcc_lo, 0, v2
	v_cndmask_b32_e64 v0, v187, 12, s0
	v_cmp_eq_f32_e64 s0, 0, v3
	s_and_b32 s0, vcc_lo, s0
	v_cmp_eq_u32_e32 vcc_lo, 0, v0
	s_and_b32 s0, s0, vcc_lo
	v_cmp_eq_f32_e32 vcc_lo, 0, v4
	v_cndmask_b32_e64 v0, v0, 13, s0
	v_cmp_eq_f32_e64 s0, 0, v5
	s_and_b32 s0, vcc_lo, s0
	v_cmp_eq_u32_e32 vcc_lo, 0, v0
	s_and_b32 s0, s0, vcc_lo
	v_cmp_eq_f32_e32 vcc_lo, 0, v6
	v_cndmask_b32_e64 v0, v0, 14, s0
	v_cmp_eq_f32_e64 s0, 0, v7
	s_and_b32 s0, vcc_lo, s0
	v_cmp_eq_u32_e32 vcc_lo, 0, v0
	s_and_b32 s0, s0, vcc_lo
	v_cmp_eq_f32_e32 vcc_lo, 0, v8
	v_cndmask_b32_e64 v0, v0, 15, s0
	v_cmp_eq_f32_e64 s0, 0, v9
	s_and_b32 s0, vcc_lo, s0
	v_cmp_eq_u32_e32 vcc_lo, 0, v0
	s_and_b32 s0, s0, vcc_lo
	v_cmp_eq_f32_e32 vcc_lo, 0, v10
	v_cndmask_b32_e64 v0, v0, 16, s0
	v_cmp_eq_f32_e64 s0, 0, v11
	s_and_b32 s0, vcc_lo, s0
	v_cmp_eq_u32_e32 vcc_lo, 0, v0
	s_and_b32 s0, s0, vcc_lo
	v_cmp_eq_f32_e32 vcc_lo, 0, v12
	v_cndmask_b32_e64 v0, v0, 17, s0
	v_cmp_eq_f32_e64 s0, 0, v13
	s_and_b32 s0, vcc_lo, s0
	v_cmp_eq_u32_e32 vcc_lo, 0, v0
	s_and_b32 s0, s0, vcc_lo
	v_cmp_eq_f32_e32 vcc_lo, 0, v14
	v_cndmask_b32_e64 v0, v0, 18, s0
	v_cmp_eq_f32_e64 s0, 0, v15
	s_and_b32 s0, vcc_lo, s0
	v_cmp_eq_u32_e32 vcc_lo, 0, v0
	s_and_b32 s0, s0, vcc_lo
	v_cmp_eq_f32_e32 vcc_lo, 0, v18
	v_cndmask_b32_e64 v0, v0, 19, s0
	v_cmp_eq_f32_e64 s0, 0, v19
	s_and_b32 s0, vcc_lo, s0
	v_cmp_eq_u32_e32 vcc_lo, 0, v0
	s_and_b32 s0, s0, vcc_lo
	v_cmp_eq_f32_e32 vcc_lo, 0, v28
	v_cndmask_b32_e64 v0, v0, 20, s0
	v_cmp_eq_f32_e64 s0, 0, v29
	s_and_b32 s0, vcc_lo, s0
	v_cmp_eq_u32_e32 vcc_lo, 0, v0
	s_and_b32 s0, s0, vcc_lo
	v_cmp_eq_f32_e32 vcc_lo, 0, v30
	v_cndmask_b32_e64 v0, v0, 21, s0
	v_cmp_eq_f32_e64 s0, 0, v31
	s_and_b32 s0, vcc_lo, s0
	v_cmp_eq_u32_e32 vcc_lo, 0, v0
	s_and_b32 s0, s0, vcc_lo
	v_cmp_eq_f32_e32 vcc_lo, 0, v32
	v_cndmask_b32_e64 v0, v0, 22, s0
	v_cmp_eq_f32_e64 s0, 0, v33
	s_and_b32 s0, vcc_lo, s0
	v_cmp_eq_u32_e32 vcc_lo, 0, v0
	s_and_b32 s0, s0, vcc_lo
	v_cmp_eq_f32_e32 vcc_lo, 0, v42
	v_cndmask_b32_e64 v0, v0, 23, s0
	v_cmp_eq_f32_e64 s0, 0, v43
	s_and_b32 s0, vcc_lo, s0
	v_cmp_eq_u32_e32 vcc_lo, 0, v0
	s_and_b32 s0, s0, vcc_lo
	v_cmp_eq_f32_e32 vcc_lo, 0, v48
	v_cndmask_b32_e64 v0, v0, 24, s0
	v_cmp_eq_f32_e64 s0, 0, v49
	s_and_b32 s0, vcc_lo, s0
	v_cmp_eq_u32_e32 vcc_lo, 0, v0
	s_and_b32 s0, s0, vcc_lo
	v_cmp_eq_f32_e32 vcc_lo, 0, v50
	v_cndmask_b32_e64 v0, v0, 25, s0
	v_cmp_eq_f32_e64 s0, 0, v51
	s_and_b32 s0, vcc_lo, s0
	v_cmp_eq_u32_e32 vcc_lo, 0, v0
	s_and_b32 s0, s0, vcc_lo
	v_cmp_eq_f32_e32 vcc_lo, 0, v52
	v_cndmask_b32_e64 v0, v0, 26, s0
	v_cmp_eq_f32_e64 s0, 0, v53
	s_and_b32 s0, vcc_lo, s0
	v_cmp_eq_u32_e32 vcc_lo, 0, v0
	s_and_b32 s0, s0, vcc_lo
	v_cmp_eq_f32_e32 vcc_lo, 0, v66
	v_cndmask_b32_e64 v0, v0, 27, s0
	v_cmp_eq_f32_e64 s0, 0, v67
	s_and_b32 s0, vcc_lo, s0
	v_cmp_eq_u32_e32 vcc_lo, 0, v0
	s_and_b32 s0, s0, vcc_lo
	v_cmp_eq_f32_e32 vcc_lo, 0, v68
	v_cndmask_b32_e64 v0, v0, 28, s0
	v_cmp_eq_f32_e64 s0, 0, v69
	s_and_b32 s0, vcc_lo, s0
	v_cmp_eq_u32_e32 vcc_lo, 0, v0
	s_and_b32 s0, s0, vcc_lo
	v_cmp_eq_f32_e32 vcc_lo, 0, v70
	v_cndmask_b32_e64 v0, v0, 29, s0
	v_cmp_eq_f32_e64 s0, 0, v71
	s_and_b32 s0, vcc_lo, s0
	v_cmp_eq_u32_e32 vcc_lo, 0, v0
	s_and_b32 s0, s0, vcc_lo
	v_cmp_eq_f32_e32 vcc_lo, 0, v72
	v_cndmask_b32_e64 v0, v0, 30, s0
	v_cmp_eq_f32_e64 s0, 0, v73
	s_and_b32 s0, vcc_lo, s0
	v_cmp_eq_u32_e32 vcc_lo, 0, v0
	s_and_b32 s0, s0, vcc_lo
	v_cmp_eq_f32_e32 vcc_lo, 0, v84
	v_cndmask_b32_e64 v0, v0, 31, s0
	v_cmp_eq_f32_e64 s0, 0, v85
	s_and_b32 s0, vcc_lo, s0
	v_cmp_eq_u32_e32 vcc_lo, 0, v0
	s_and_b32 s0, s0, vcc_lo
	v_cmp_eq_f32_e32 vcc_lo, 0, v86
	v_cndmask_b32_e64 v0, v0, 32, s0
	v_cmp_eq_f32_e64 s0, 0, v87
	s_and_b32 s0, vcc_lo, s0
	v_cmp_eq_u32_e32 vcc_lo, 0, v0
	s_and_b32 s0, s0, vcc_lo
	v_cmp_eq_f32_e32 vcc_lo, 0, v88
	v_cndmask_b32_e64 v0, v0, 33, s0
	v_cmp_eq_f32_e64 s0, 0, v89
	s_and_b32 s0, vcc_lo, s0
	v_cmp_eq_u32_e32 vcc_lo, 0, v0
	s_and_b32 s0, s0, vcc_lo
	v_cmp_eq_f32_e32 vcc_lo, 0, v90
	v_cndmask_b32_e64 v0, v0, 34, s0
	v_cmp_eq_f32_e64 s0, 0, v91
	s_and_b32 s0, vcc_lo, s0
	v_cmp_eq_u32_e32 vcc_lo, 0, v0
	s_and_b32 s0, s0, vcc_lo
	v_cmp_eq_f32_e32 vcc_lo, 0, v100
	v_cndmask_b32_e64 v0, v0, 35, s0
	v_cmp_eq_f32_e64 s0, 0, v101
	s_and_b32 s0, vcc_lo, s0
	v_cmp_eq_u32_e32 vcc_lo, 0, v0
	s_and_b32 s0, s0, vcc_lo
	v_cmp_eq_f32_e32 vcc_lo, 0, v102
	v_cndmask_b32_e64 v0, v0, 36, s0
	v_cmp_eq_f32_e64 s0, 0, v103
	s_and_b32 s0, vcc_lo, s0
	v_cmp_eq_u32_e32 vcc_lo, 0, v0
	s_and_b32 s0, s0, vcc_lo
	v_cmp_eq_f32_e32 vcc_lo, 0, v104
	v_cndmask_b32_e64 v0, v0, 37, s0
	v_cmp_eq_f32_e64 s0, 0, v105
	s_and_b32 s0, vcc_lo, s0
	v_cmp_eq_u32_e32 vcc_lo, 0, v0
	s_and_b32 s0, s0, vcc_lo
	v_cmp_eq_f32_e32 vcc_lo, 0, v106
	v_cndmask_b32_e64 v0, v0, 38, s0
	v_cmp_eq_f32_e64 s0, 0, v107
	s_and_b32 s0, vcc_lo, s0
	v_cmp_eq_u32_e32 vcc_lo, 0, v0
	s_and_b32 s0, s0, vcc_lo
	v_cmp_eq_f32_e32 vcc_lo, 0, v116
	v_cndmask_b32_e64 v0, v0, 39, s0
	v_cmp_eq_f32_e64 s0, 0, v117
	s_and_b32 s0, vcc_lo, s0
	v_cmp_eq_u32_e32 vcc_lo, 0, v0
	s_and_b32 s0, s0, vcc_lo
	v_cmp_eq_f32_e32 vcc_lo, 0, v118
	v_cndmask_b32_e64 v0, v0, 40, s0
	v_cmp_eq_f32_e64 s0, 0, v119
	s_and_b32 s0, vcc_lo, s0
	v_cmp_eq_u32_e32 vcc_lo, 0, v0
	s_and_b32 s0, s0, vcc_lo
	v_cmp_eq_f32_e32 vcc_lo, 0, v120
	v_cndmask_b32_e64 v0, v0, 41, s0
	v_cmp_eq_f32_e64 s0, 0, v121
	s_and_b32 s0, vcc_lo, s0
	v_cmp_eq_u32_e32 vcc_lo, 0, v0
	s_and_b32 s0, s0, vcc_lo
	v_cmp_eq_f32_e32 vcc_lo, 0, v122
	v_cndmask_b32_e64 v0, v0, 42, s0
	v_cmp_eq_f32_e64 s0, 0, v123
	s_and_b32 s0, vcc_lo, s0
	v_cmp_eq_u32_e32 vcc_lo, 0, v0
	s_and_b32 s0, s0, vcc_lo
	v_cmp_eq_f32_e32 vcc_lo, 0, v132
	v_cndmask_b32_e64 v0, v0, 43, s0
	v_cmp_eq_f32_e64 s0, 0, v133
	s_and_b32 s0, vcc_lo, s0
	v_cmp_eq_u32_e32 vcc_lo, 0, v0
	s_and_b32 s0, s0, vcc_lo
	v_cmp_eq_f32_e32 vcc_lo, 0, v134
	v_cndmask_b32_e64 v0, v0, 44, s0
	v_cmp_eq_f32_e64 s0, 0, v135
	s_and_b32 s0, vcc_lo, s0
	v_cmp_eq_u32_e32 vcc_lo, 0, v0
	s_and_b32 s0, s0, vcc_lo
	v_cmp_eq_f32_e32 vcc_lo, 0, v136
	v_cndmask_b32_e64 v0, v0, 45, s0
	v_cmp_eq_f32_e64 s0, 0, v137
	s_and_b32 s0, vcc_lo, s0
	v_cmp_eq_u32_e32 vcc_lo, 0, v0
	s_and_b32 s0, s0, vcc_lo
	v_cmp_eq_f32_e32 vcc_lo, 0, v138
	v_cndmask_b32_e64 v0, v0, 46, s0
	v_cmp_eq_f32_e64 s0, 0, v139
	s_and_b32 s0, vcc_lo, s0
	v_cmp_eq_u32_e32 vcc_lo, 0, v0
	s_and_b32 s0, s0, vcc_lo
	v_cmp_eq_f32_e32 vcc_lo, 0, v148
	v_cndmask_b32_e64 v0, v0, 47, s0
	v_cmp_eq_f32_e64 s0, 0, v149
	s_and_b32 s0, vcc_lo, s0
	v_cmp_eq_u32_e32 vcc_lo, 0, v0
	s_and_b32 s0, s0, vcc_lo
	v_cmp_eq_f32_e32 vcc_lo, 0, v150
	v_cndmask_b32_e64 v0, v0, 48, s0
	v_cmp_eq_f32_e64 s0, 0, v151
	s_and_b32 s0, vcc_lo, s0
	v_cmp_eq_u32_e32 vcc_lo, 0, v0
	s_and_b32 s0, s0, vcc_lo
	v_cmp_eq_f32_e32 vcc_lo, 0, v152
	v_cndmask_b32_e64 v0, v0, 49, s0
	v_cmp_eq_f32_e64 s0, 0, v153
	s_and_b32 s0, vcc_lo, s0
	v_cmp_eq_u32_e32 vcc_lo, 0, v0
	s_and_b32 s0, s0, vcc_lo
	v_cmp_eq_f32_e32 vcc_lo, 0, v154
	v_cndmask_b32_e64 v0, v0, 50, s0
	v_cmp_eq_f32_e64 s0, 0, v155
	s_and_b32 s0, vcc_lo, s0
	v_cmp_eq_u32_e32 vcc_lo, 0, v0
	s_and_b32 s0, s0, vcc_lo
	v_cmp_eq_f32_e32 vcc_lo, 0, v164
	v_cndmask_b32_e64 v0, v0, 51, s0
	v_cmp_eq_f32_e64 s0, 0, v165
	s_and_b32 s0, vcc_lo, s0
	v_cmp_eq_u32_e32 vcc_lo, 0, v0
	s_and_b32 s0, s0, vcc_lo
	v_cmp_eq_f32_e32 vcc_lo, 0, v166
	v_cndmask_b32_e64 v0, v0, 52, s0
	v_cmp_eq_f32_e64 s0, 0, v167
	s_and_b32 s0, vcc_lo, s0
	v_cmp_eq_u32_e32 vcc_lo, 0, v0
	s_and_b32 s0, s0, vcc_lo
	v_cmp_eq_f32_e32 vcc_lo, 0, v170
	v_cndmask_b32_e64 v0, v0, 53, s0
	v_cmp_eq_f32_e64 s0, 0, v171
	s_and_b32 s0, vcc_lo, s0
	v_cmp_eq_u32_e32 vcc_lo, 0, v0
	s_and_b32 s0, s0, vcc_lo
	v_cmp_eq_f32_e32 vcc_lo, 0, v180
	v_cndmask_b32_e64 v0, v0, 54, s0
	v_cmp_eq_f32_e64 s0, 0, v181
	s_and_b32 s0, vcc_lo, s0
	v_cmp_eq_u32_e32 vcc_lo, 0, v0
	s_and_b32 s0, s0, vcc_lo
	v_cmp_eq_f32_e32 vcc_lo, 0, v182
	v_cndmask_b32_e64 v0, v0, 55, s0
	v_cmp_eq_f32_e64 s0, 0, v183
	s_and_b32 s0, vcc_lo, s0
	v_cmp_eq_u32_e32 vcc_lo, 0, v0
	s_and_b32 s0, s0, vcc_lo
	v_cmp_eq_f32_e32 vcc_lo, 0, v184
	v_cndmask_b32_e64 v0, v0, 56, s0
	v_cmp_eq_f32_e64 s0, 0, v185
	s_and_b32 s0, vcc_lo, s0
	v_cmp_eq_u32_e32 vcc_lo, 0, v0
	s_and_b32 s0, s0, vcc_lo
	s_delay_alu instid0(SALU_CYCLE_1) | instskip(SKIP_1) | instid1(VALU_DEP_2)
	v_cndmask_b32_e64 v0, v0, 57, s0
	v_cmp_eq_f32_e64 s0, 0, v168
	v_cmp_eq_u32_e32 vcc_lo, 0, v0
	s_and_b32 s0, s0, s1
	s_delay_alu instid0(SALU_CYCLE_1) | instskip(NEXT) | instid1(SALU_CYCLE_1)
	s_and_b32 s0, s0, vcc_lo
	v_cndmask_b32_e64 v2, v0, 58, s0
	v_lshl_add_u64 v[0:1], v[74:75], 2, s[6:7]
	s_delay_alu instid0(VALU_DEP_2) | instskip(SKIP_4) | instid1(SALU_CYCLE_1)
	v_cmp_ne_u32_e64 s0, 0, v2
	global_load_b32 v3, v[0:1], off
	s_wait_loadcnt 0x0
	v_cmp_eq_u32_e32 vcc_lo, 0, v3
	s_and_b32 s0, vcc_lo, s0
	s_and_b32 exec_lo, exec_lo, s0
	s_cbranch_execz .LBB115_524
; %bb.523:
	v_add_nc_u32_e32 v2, s3, v2
	global_store_b32 v[0:1], v2, off
.LBB115_524:
	s_wait_xcnt 0x0
	s_or_b32 exec_lo, exec_lo, s2
	v_pk_mul_f32 v[0:1], v[168:169], v[232:233] op_sel:[1,1] op_sel_hi:[0,1]
	v_cmp_lt_u32_e32 vcc_lo, 57, v186
	s_clause 0x10
	global_store_b64 v[16:17], v[54:55], off
	global_store_b64 v[246:247], v[56:57], off
	;; [unrolled: 1-line block ×17, first 2 shown]
	v_pk_fma_f32 v[2:3], v[168:169], v[232:233], v[0:1] op_sel_hi:[1,0,1]
	v_pk_fma_f32 v[0:1], v[168:169], v[232:233], v[0:1] neg_lo:[0,0,1] neg_hi:[0,0,1]
	s_delay_alu instid0(VALU_DEP_1)
	v_dual_cndmask_b32 v1, v233, v3 :: v_dual_cndmask_b32 v0, v232, v0
	scratch_load_b64 v[2:3], off, off th:TH_LOAD_LU ; 8-byte Folded Reload
	s_wait_loadcnt 0x0
	global_store_b64 v[2:3], v[78:79], off
	scratch_load_b64 v[2:3], off, off offset:8 th:TH_LOAD_LU ; 8-byte Folded Reload
	s_wait_loadcnt 0x0
	global_store_b64 v[2:3], v[80:81], off
	scratch_load_b64 v[2:3], off, off offset:16 th:TH_LOAD_LU ; 8-byte Folded Reload
	;; [unrolled: 3-line block ×40, first 2 shown]
	s_wait_loadcnt 0x0
	global_store_b64 v[2:3], v[0:1], off
.LBB115_525:
	s_sendmsg sendmsg(MSG_DEALLOC_VGPRS)
	s_endpgm
	.section	.rodata,"a",@progbits
	.p2align	6, 0x0
	.amdhsa_kernel _ZN9rocsolver6v33100L23getf2_npvt_small_kernelILi58E19rocblas_complex_numIfEiiPS3_EEvT1_T3_lS5_lPT2_S5_S5_
		.amdhsa_group_segment_fixed_size 0
		.amdhsa_private_segment_fixed_size 428
		.amdhsa_kernarg_size 312
		.amdhsa_user_sgpr_count 2
		.amdhsa_user_sgpr_dispatch_ptr 0
		.amdhsa_user_sgpr_queue_ptr 0
		.amdhsa_user_sgpr_kernarg_segment_ptr 1
		.amdhsa_user_sgpr_dispatch_id 0
		.amdhsa_user_sgpr_kernarg_preload_length 0
		.amdhsa_user_sgpr_kernarg_preload_offset 0
		.amdhsa_user_sgpr_private_segment_size 0
		.amdhsa_wavefront_size32 1
		.amdhsa_uses_dynamic_stack 0
		.amdhsa_enable_private_segment 1
		.amdhsa_system_sgpr_workgroup_id_x 1
		.amdhsa_system_sgpr_workgroup_id_y 1
		.amdhsa_system_sgpr_workgroup_id_z 0
		.amdhsa_system_sgpr_workgroup_info 0
		.amdhsa_system_vgpr_workitem_id 1
		.amdhsa_next_free_vgpr 256
		.amdhsa_next_free_sgpr 15
		.amdhsa_named_barrier_count 0
		.amdhsa_reserve_vcc 1
		.amdhsa_float_round_mode_32 0
		.amdhsa_float_round_mode_16_64 0
		.amdhsa_float_denorm_mode_32 3
		.amdhsa_float_denorm_mode_16_64 3
		.amdhsa_fp16_overflow 0
		.amdhsa_memory_ordered 1
		.amdhsa_forward_progress 1
		.amdhsa_inst_pref_size 255
		.amdhsa_round_robin_scheduling 0
		.amdhsa_exception_fp_ieee_invalid_op 0
		.amdhsa_exception_fp_denorm_src 0
		.amdhsa_exception_fp_ieee_div_zero 0
		.amdhsa_exception_fp_ieee_overflow 0
		.amdhsa_exception_fp_ieee_underflow 0
		.amdhsa_exception_fp_ieee_inexact 0
		.amdhsa_exception_int_div_zero 0
	.end_amdhsa_kernel
	.section	.text._ZN9rocsolver6v33100L23getf2_npvt_small_kernelILi58E19rocblas_complex_numIfEiiPS3_EEvT1_T3_lS5_lPT2_S5_S5_,"axG",@progbits,_ZN9rocsolver6v33100L23getf2_npvt_small_kernelILi58E19rocblas_complex_numIfEiiPS3_EEvT1_T3_lS5_lPT2_S5_S5_,comdat
.Lfunc_end115:
	.size	_ZN9rocsolver6v33100L23getf2_npvt_small_kernelILi58E19rocblas_complex_numIfEiiPS3_EEvT1_T3_lS5_lPT2_S5_S5_, .Lfunc_end115-_ZN9rocsolver6v33100L23getf2_npvt_small_kernelILi58E19rocblas_complex_numIfEiiPS3_EEvT1_T3_lS5_lPT2_S5_S5_
                                        ; -- End function
	.set _ZN9rocsolver6v33100L23getf2_npvt_small_kernelILi58E19rocblas_complex_numIfEiiPS3_EEvT1_T3_lS5_lPT2_S5_S5_.num_vgpr, 256
	.set _ZN9rocsolver6v33100L23getf2_npvt_small_kernelILi58E19rocblas_complex_numIfEiiPS3_EEvT1_T3_lS5_lPT2_S5_S5_.num_agpr, 0
	.set _ZN9rocsolver6v33100L23getf2_npvt_small_kernelILi58E19rocblas_complex_numIfEiiPS3_EEvT1_T3_lS5_lPT2_S5_S5_.numbered_sgpr, 15
	.set _ZN9rocsolver6v33100L23getf2_npvt_small_kernelILi58E19rocblas_complex_numIfEiiPS3_EEvT1_T3_lS5_lPT2_S5_S5_.num_named_barrier, 0
	.set _ZN9rocsolver6v33100L23getf2_npvt_small_kernelILi58E19rocblas_complex_numIfEiiPS3_EEvT1_T3_lS5_lPT2_S5_S5_.private_seg_size, 428
	.set _ZN9rocsolver6v33100L23getf2_npvt_small_kernelILi58E19rocblas_complex_numIfEiiPS3_EEvT1_T3_lS5_lPT2_S5_S5_.uses_vcc, 1
	.set _ZN9rocsolver6v33100L23getf2_npvt_small_kernelILi58E19rocblas_complex_numIfEiiPS3_EEvT1_T3_lS5_lPT2_S5_S5_.uses_flat_scratch, 1
	.set _ZN9rocsolver6v33100L23getf2_npvt_small_kernelILi58E19rocblas_complex_numIfEiiPS3_EEvT1_T3_lS5_lPT2_S5_S5_.has_dyn_sized_stack, 0
	.set _ZN9rocsolver6v33100L23getf2_npvt_small_kernelILi58E19rocblas_complex_numIfEiiPS3_EEvT1_T3_lS5_lPT2_S5_S5_.has_recursion, 0
	.set _ZN9rocsolver6v33100L23getf2_npvt_small_kernelILi58E19rocblas_complex_numIfEiiPS3_EEvT1_T3_lS5_lPT2_S5_S5_.has_indirect_call, 0
	.section	.AMDGPU.csdata,"",@progbits
; Kernel info:
; codeLenInByte = 137772
; TotalNumSgprs: 17
; NumVgprs: 256
; ScratchSize: 428
; MemoryBound: 0
; FloatMode: 240
; IeeeMode: 1
; LDSByteSize: 0 bytes/workgroup (compile time only)
; SGPRBlocks: 0
; VGPRBlocks: 15
; NumSGPRsForWavesPerEU: 17
; NumVGPRsForWavesPerEU: 256
; NamedBarCnt: 0
; Occupancy: 4
; WaveLimiterHint : 0
; COMPUTE_PGM_RSRC2:SCRATCH_EN: 1
; COMPUTE_PGM_RSRC2:USER_SGPR: 2
; COMPUTE_PGM_RSRC2:TRAP_HANDLER: 0
; COMPUTE_PGM_RSRC2:TGID_X_EN: 1
; COMPUTE_PGM_RSRC2:TGID_Y_EN: 1
; COMPUTE_PGM_RSRC2:TGID_Z_EN: 0
; COMPUTE_PGM_RSRC2:TIDIG_COMP_CNT: 1
	.section	.text._ZN9rocsolver6v33100L18getf2_small_kernelILi59E19rocblas_complex_numIfEiiPS3_EEvT1_T3_lS5_lPS5_llPT2_S5_S5_S7_l,"axG",@progbits,_ZN9rocsolver6v33100L18getf2_small_kernelILi59E19rocblas_complex_numIfEiiPS3_EEvT1_T3_lS5_lPS5_llPT2_S5_S5_S7_l,comdat
	.globl	_ZN9rocsolver6v33100L18getf2_small_kernelILi59E19rocblas_complex_numIfEiiPS3_EEvT1_T3_lS5_lPS5_llPT2_S5_S5_S7_l ; -- Begin function _ZN9rocsolver6v33100L18getf2_small_kernelILi59E19rocblas_complex_numIfEiiPS3_EEvT1_T3_lS5_lPS5_llPT2_S5_S5_S7_l
	.p2align	8
	.type	_ZN9rocsolver6v33100L18getf2_small_kernelILi59E19rocblas_complex_numIfEiiPS3_EEvT1_T3_lS5_lPS5_llPT2_S5_S5_S7_l,@function
_ZN9rocsolver6v33100L18getf2_small_kernelILi59E19rocblas_complex_numIfEiiPS3_EEvT1_T3_lS5_lPS5_llPT2_S5_S5_S7_l: ; @_ZN9rocsolver6v33100L18getf2_small_kernelILi59E19rocblas_complex_numIfEiiPS3_EEvT1_T3_lS5_lPS5_llPT2_S5_S5_S7_l
; %bb.0:
	s_clause 0x1
	s_load_u16 s2, s[0:1], 0x6e
	s_load_b64 s[16:17], s[0:1], 0x48
	s_bfe_u32 s3, ttmp6, 0x40010
	s_bfe_u32 s4, ttmp6, 0x40004
	s_add_co_i32 s3, s3, 1
	s_getreg_b32 s5, hwreg(HW_REG_IB_STS2, 6, 4)
	s_mul_i32 s3, ttmp7, s3
	v_bfe_u32 v126, v0, 10, 10
	s_add_co_i32 s4, s4, s3
	s_cmp_eq_u32 s5, 0
	s_cselect_b32 s3, ttmp7, s4
	s_wait_kmcnt 0x0
	v_mad_u32 v2, s3, s2, v126
	s_mov_b32 s2, exec_lo
	s_delay_alu instid0(VALU_DEP_1)
	v_cmpx_gt_i32_e64 s16, v2
	s_cbranch_execnz .LBB116_1
; %bb.1241:
	s_add_pc_i64 .LBB116_1240-.Lpost_addpc8
.Lpost_addpc8:
.LBB116_1:
	s_load_b128 s[4:7], s[0:1], 0x50
	v_mov_b64_e32 v[4:5], 0
	v_ashrrev_i32_e32 v3, 31, v2
	s_wait_kmcnt 0x0
	s_cmp_eq_u64 s[4:5], 0
	s_cselect_b32 s16, -1, 0
	s_delay_alu instid0(SALU_CYCLE_1)
	s_and_b32 vcc_lo, exec_lo, s16
	s_cbranch_vccnz .LBB116_3
; %bb.2:
	v_mul_u64_e32 v[4:5], s[6:7], v[2:3]
	s_delay_alu instid0(VALU_DEP_1)
	v_lshl_add_u64 v[4:5], v[4:5], 2, s[4:5]
.LBB116_3:
	s_clause 0x2
	s_load_b32 s2, s[0:1], 0x18
	s_load_b128 s[12:15], s[0:1], 0x8
	s_load_b32 s18, s[0:1], 0x0
	v_and_b32_e32 v131, 0x3ff, v0
	s_load_b256 s[4:11], s[0:1], 0x20
	v_mov_b32_e32 v125, 0
	s_wait_kmcnt 0x0
	s_delay_alu instid0(VALU_DEP_2) | instskip(SKIP_2) | instid1(VALU_DEP_2)
	v_add3_u32 v6, s2, s2, v131
	s_ashr_i32 s3, s2, 31
	v_mul_u64_e32 v[0:1], s[4:5], v[2:3]
	v_add_nc_u32_e32 v8, s2, v6
	s_max_i32 s4, s18, 59
	s_cmp_lt_i32 s18, 2
	s_delay_alu instid0(VALU_DEP_1) | instskip(NEXT) | instid1(VALU_DEP_1)
	v_add_nc_u32_e32 v10, s2, v8
	v_add_nc_u32_e32 v12, s2, v10
	s_delay_alu instid0(VALU_DEP_1) | instskip(NEXT) | instid1(VALU_DEP_1)
	v_dual_add_nc_u32 v14, s2, v12 :: v_dual_ashrrev_i32 v7, 31, v6
	v_dual_ashrrev_i32 v9, 31, v8 :: v_dual_add_nc_u32 v16, s2, v14
	s_delay_alu instid0(VALU_DEP_1) | instskip(SKIP_1) | instid1(VALU_DEP_2)
	v_dual_add_nc_u32 v18, s2, v16 :: v_dual_ashrrev_i32 v11, 31, v10
	v_ashrrev_i32_e32 v13, 31, v12
	v_dual_ashrrev_i32 v17, 31, v16 :: v_dual_add_nc_u32 v20, s2, v18
	v_lshl_add_u64 v[0:1], v[0:1], 3, s[12:13]
	s_delay_alu instid0(VALU_DEP_2) | instskip(NEXT) | instid1(VALU_DEP_2)
	v_add_nc_u32_e32 v22, s2, v20
	v_lshl_add_u64 v[0:1], s[14:15], 3, v[0:1]
	s_delay_alu instid0(VALU_DEP_2) | instskip(NEXT) | instid1(VALU_DEP_2)
	v_add_nc_u32_e32 v24, s2, v22
	v_lshl_add_u64 v[56:57], v[10:11], 3, v[0:1]
	v_lshl_add_u64 v[12:13], v[12:13], 3, v[0:1]
	;; [unrolled: 1-line block ×4, first 2 shown]
	v_dual_add_nc_u32 v26, s2, v24 :: v_dual_ashrrev_i32 v19, 31, v18
	v_ashrrev_i32_e32 v21, 31, v20
	v_lshl_add_u64 v[60:61], v[16:17], 3, v[0:1]
	s_delay_alu instid0(VALU_DEP_3) | instskip(NEXT) | instid1(VALU_DEP_4)
	v_add_nc_u32_e32 v28, s2, v26
	v_lshl_add_u64 v[18:19], v[18:19], 3, v[0:1]
	s_delay_alu instid0(VALU_DEP_4) | instskip(NEXT) | instid1(VALU_DEP_3)
	v_lshl_add_u64 v[20:21], v[20:21], 3, v[0:1]
	v_add_nc_u32_e32 v32, s2, v28
	v_ashrrev_i32_e32 v25, 31, v24
	v_ashrrev_i32_e32 v29, 31, v28
	s_delay_alu instid0(VALU_DEP_3) | instskip(NEXT) | instid1(VALU_DEP_1)
	v_dual_add_nc_u32 v34, s2, v32 :: v_dual_ashrrev_i32 v33, 31, v32
	v_add_nc_u32_e32 v36, s2, v34
	s_delay_alu instid0(VALU_DEP_1) | instskip(NEXT) | instid1(VALU_DEP_1)
	v_dual_add_nc_u32 v38, s2, v36 :: v_dual_ashrrev_i32 v37, 31, v36
	v_add_nc_u32_e32 v42, s2, v38
	v_ashrrev_i32_e32 v35, 31, v34
	s_delay_alu instid0(VALU_DEP_2) | instskip(NEXT) | instid1(VALU_DEP_1)
	v_dual_add_nc_u32 v44, s2, v42 :: v_dual_lshlrev_b32 v124, 3, v131
	v_dual_ashrrev_i32 v39, 31, v38 :: v_dual_add_nc_u32 v46, s2, v44
	v_ashrrev_i32_e32 v45, 31, v44
	s_delay_alu instid0(VALU_DEP_3) | instskip(NEXT) | instid1(VALU_DEP_3)
	v_add_nc_u64_e32 v[52:53], v[0:1], v[124:125]
	v_add_nc_u32_e32 v48, s2, v46
	v_ashrrev_i32_e32 v15, 31, v14
	s_delay_alu instid0(VALU_DEP_2) | instskip(SKIP_1) | instid1(VALU_DEP_3)
	v_dual_ashrrev_i32 v47, 31, v46 :: v_dual_ashrrev_i32 v49, 31, v48
	v_add_nc_u32_e32 v50, s2, v48
	v_lshl_add_u64 v[14:15], v[14:15], 3, v[0:1]
	s_clause 0x3
	global_load_b64 v[40:41], v[56:57], off
	global_load_b64 v[30:31], v[12:13], off
	;; [unrolled: 1-line block ×4, first 2 shown]
	v_add_nc_u32_e32 v54, s2, v50
	s_wait_xcnt 0x2
	v_lshl_add_u64 v[12:13], s[2:3], 3, v[52:53]
	s_clause 0x3
	global_load_b64 v[84:85], v[6:7], off
	global_load_b64 v[74:75], v[8:9], off
	;; [unrolled: 1-line block ×4, first 2 shown]
	s_wait_xcnt 0x0
	v_lshl_add_u64 v[12:13], v[24:25], 3, v[0:1]
	v_add_nc_u32_e32 v58, s2, v54
	s_delay_alu instid0(VALU_DEP_1) | instskip(NEXT) | instid1(VALU_DEP_1)
	v_add_nc_u32_e32 v62, s2, v58
	v_add_nc_u32_e32 v56, s2, v62
	v_ashrrev_i32_e32 v55, 31, v54
	s_delay_alu instid0(VALU_DEP_2) | instskip(SKIP_1) | instid1(VALU_DEP_2)
	v_dual_ashrrev_i32 v63, 31, v62 :: v_dual_add_nc_u32 v60, s2, v56
	v_dual_ashrrev_i32 v23, 31, v22 :: v_dual_ashrrev_i32 v57, 31, v56
	v_dual_add_nc_u32 v64, s2, v60 :: v_dual_ashrrev_i32 v27, 31, v26
	s_delay_alu instid0(VALU_DEP_2)
	v_lshl_add_u64 v[14:15], v[22:23], 3, v[0:1]
	s_clause 0x3
	global_load_b64 v[24:25], v[18:19], off
	global_load_b64 v[22:23], v[20:21], off
	global_load_b64 v[8:9], v[14:15], off
	global_load_b64 v[6:7], v[12:13], off
	v_add_nc_u32_e32 v66, s2, v64
	s_wait_xcnt 0x3
	v_lshl_add_u64 v[18:19], v[26:27], 3, v[0:1]
	s_wait_xcnt 0x2
	v_lshl_add_u64 v[20:21], v[28:29], 3, v[0:1]
	v_lshl_add_u64 v[26:27], v[32:33], 3, v[0:1]
	;; [unrolled: 1-line block ×3, first 2 shown]
	v_add_nc_u32_e32 v68, s2, v66
	s_clause 0x3
	global_load_b64 v[34:35], v[18:19], off
	global_load_b64 v[32:33], v[20:21], off
	global_load_b64 v[14:15], v[26:27], off
	global_load_b64 v[12:13], v[28:29], off
	s_wait_xcnt 0x1
	v_lshl_add_u64 v[26:27], v[36:37], 3, v[0:1]
	v_dual_ashrrev_i32 v59, 31, v58 :: v_dual_ashrrev_i32 v65, 31, v64
	v_add_nc_u32_e32 v70, s2, v68
	s_wait_xcnt 0x0
	v_lshl_add_u64 v[28:29], v[38:39], 3, v[0:1]
	v_lshl_add_u64 v[38:39], v[44:45], 3, v[0:1]
	v_ashrrev_i32_e32 v61, 31, v60
	v_dual_ashrrev_i32 v69, 31, v68 :: v_dual_add_nc_u32 v72, s2, v70
	s_delay_alu instid0(VALU_DEP_1) | instskip(NEXT) | instid1(VALU_DEP_1)
	v_dual_ashrrev_i32 v43, 31, v42 :: v_dual_add_nc_u32 v76, s2, v72
	v_lshl_add_u64 v[36:37], v[42:43], 3, v[0:1]
	s_clause 0x3
	global_load_b64 v[44:45], v[26:27], off
	global_load_b64 v[42:43], v[28:29], off
	;; [unrolled: 1-line block ×4, first 2 shown]
	v_add_nc_u32_e32 v78, s2, v76
	s_wait_xcnt 0x1
	v_lshl_add_u64 v[36:37], v[46:47], 3, v[0:1]
	s_wait_xcnt 0x0
	v_lshl_add_u64 v[38:39], v[48:49], 3, v[0:1]
	v_lshl_add_u64 v[48:49], v[54:55], 3, v[0:1]
	v_dual_ashrrev_i32 v67, 31, v66 :: v_dual_ashrrev_i32 v73, 31, v72
	v_add_nc_u32_e32 v80, s2, v78
	v_ashrrev_i32_e32 v51, 31, v50
	v_lshl_add_u64 v[54:55], v[56:57], 3, v[0:1]
	v_lshl_add_u64 v[56:57], v[60:61], 3, v[0:1]
	v_ashrrev_i32_e32 v77, 31, v76
	v_add_nc_u32_e32 v82, s2, v80
	v_lshl_add_u64 v[46:47], v[50:51], 3, v[0:1]
	s_clause 0x3
	global_load_b64 v[52:53], v[36:37], off
	global_load_b64 v[50:51], v[38:39], off
	;; [unrolled: 1-line block ×4, first 2 shown]
	v_add_nc_u32_e32 v86, s2, v82
	s_wait_xcnt 0x0
	v_lshl_add_u64 v[48:49], v[62:63], 3, v[0:1]
	v_lshl_add_u64 v[46:47], v[58:59], 3, v[0:1]
	s_clause 0x3
	global_load_b64 v[60:61], v[46:47], off
	global_load_b64 v[58:59], v[48:49], off
	;; [unrolled: 1-line block ×4, first 2 shown]
	v_add_nc_u32_e32 v88, s2, v86
	s_wait_xcnt 0x1
	v_lshl_add_u64 v[54:55], v[64:65], 3, v[0:1]
	s_wait_xcnt 0x0
	v_lshl_add_u64 v[56:57], v[66:67], 3, v[0:1]
	v_lshl_add_u64 v[64:65], v[68:69], 3, v[0:1]
	v_dual_ashrrev_i32 v83, 31, v82 :: v_dual_ashrrev_i32 v89, 31, v88
	v_add_nc_u32_e32 v62, s2, v88
	v_ashrrev_i32_e32 v81, 31, v80
	s_delay_alu instid0(VALU_DEP_3) | instskip(NEXT) | instid1(VALU_DEP_3)
	v_lshl_add_u64 v[100:101], v[88:89], 3, v[0:1]
	v_add_nc_u32_e32 v90, s2, v62
	s_delay_alu instid0(VALU_DEP_3) | instskip(NEXT) | instid1(VALU_DEP_2)
	v_lshl_add_u64 v[80:81], v[80:81], 3, v[0:1]
	v_add_nc_u32_e32 v92, s2, v90
	v_ashrrev_i32_e32 v71, 31, v70
	s_delay_alu instid0(VALU_DEP_2) | instskip(SKIP_1) | instid1(VALU_DEP_3)
	v_dual_ashrrev_i32 v91, 31, v90 :: v_dual_ashrrev_i32 v93, 31, v92
	v_add_nc_u32_e32 v94, s2, v92
	v_lshl_add_u64 v[70:71], v[70:71], 3, v[0:1]
	s_clause 0x3
	global_load_b64 v[68:69], v[54:55], off
	global_load_b64 v[66:67], v[56:57], off
	;; [unrolled: 1-line block ×4, first 2 shown]
	s_wait_xcnt 0x1
	v_lshl_add_u64 v[64:65], v[72:73], 3, v[0:1]
	s_wait_xcnt 0x0
	v_add_nc_u32_e32 v70, s2, v94
	v_lshl_add_u64 v[72:73], v[76:77], 3, v[0:1]
	v_lshl_add_u64 v[90:91], v[90:91], 3, v[0:1]
	;; [unrolled: 1-line block ×3, first 2 shown]
	s_delay_alu instid0(VALU_DEP_4) | instskip(NEXT) | instid1(VALU_DEP_1)
	v_add_nc_u32_e32 v96, s2, v70
	v_dual_ashrrev_i32 v79, 31, v78 :: v_dual_add_nc_u32 v104, s2, v96
	s_delay_alu instid0(VALU_DEP_1)
	v_lshl_add_u64 v[98:99], v[78:79], 3, v[0:1]
	s_clause 0x3
	global_load_b64 v[78:79], v[64:65], off
	global_load_b64 v[76:77], v[72:73], off
	;; [unrolled: 1-line block ×4, first 2 shown]
	s_wait_xcnt 0x0
	v_dual_add_nc_u32 v80, s2, v104 :: v_dual_ashrrev_i32 v87, 31, v86
	v_lshl_add_u64 v[72:73], v[82:83], 3, v[0:1]
	v_dual_ashrrev_i32 v97, 31, v96 :: v_dual_ashrrev_i32 v95, 31, v94
	v_ashrrev_i32_e32 v105, 31, v104
	s_delay_alu instid0(VALU_DEP_4) | instskip(SKIP_3) | instid1(VALU_DEP_4)
	v_add_nc_u32_e32 v82, s2, v80
	v_lshl_add_u64 v[98:99], v[86:87], 3, v[0:1]
	v_dual_ashrrev_i32 v71, 31, v70 :: v_dual_ashrrev_i32 v81, 31, v80
	v_lshl_add_u64 v[94:95], v[94:95], 3, v[0:1]
	v_add_nc_u32_e32 v112, s2, v82
	v_ashrrev_i32_e32 v63, 31, v62
	s_delay_alu instid0(VALU_DEP_4) | instskip(NEXT) | instid1(VALU_DEP_3)
	v_lshl_add_u64 v[108:109], v[70:71], 3, v[0:1]
	v_dual_ashrrev_i32 v83, 31, v82 :: v_dual_ashrrev_i32 v113, 31, v112
	s_delay_alu instid0(VALU_DEP_3)
	v_lshl_add_u64 v[102:103], v[62:63], 3, v[0:1]
	s_clause 0x3
	global_load_b64 v[88:89], v[72:73], off
	global_load_b64 v[86:87], v[98:99], off
	;; [unrolled: 1-line block ×4, first 2 shown]
	s_wait_xcnt 0x2
	v_add_nc_u32_e32 v98, s2, v112
	s_clause 0x3
	global_load_b64 v[102:103], v[90:91], off
	global_load_b64 v[100:101], v[92:93], off
	;; [unrolled: 1-line block ×4, first 2 shown]
	s_wait_xcnt 0x2
	v_lshl_add_u64 v[92:93], v[96:97], 3, v[0:1]
	s_wait_xcnt 0x1
	v_lshl_add_u64 v[94:95], v[104:105], 3, v[0:1]
	v_lshl_add_u64 v[96:97], v[80:81], 3, v[0:1]
	v_add_nc_u32_e32 v114, s2, v98
	v_lshl_add_u64 v[104:105], v[82:83], 3, v[0:1]
	s_clause 0x3
	global_load_b64 v[110:111], v[92:93], off
	global_load_b64 v[108:109], v[94:95], off
	;; [unrolled: 1-line block ×4, first 2 shown]
	s_wait_xcnt 0x1
	v_lshl_add_u64 v[96:97], v[112:113], 3, v[0:1]
	v_add_nc_u32_e32 v118, s2, v114
	s_delay_alu instid0(VALU_DEP_1) | instskip(NEXT) | instid1(VALU_DEP_1)
	v_add_nc_u32_e32 v90, s2, v118
	v_add_nc_u32_e32 v122, s2, v90
	s_delay_alu instid0(VALU_DEP_1) | instskip(NEXT) | instid1(VALU_DEP_1)
	v_add_nc_u32_e32 v128, s2, v122
	v_dual_add_nc_u32 v92, s2, v128 :: v_dual_ashrrev_i32 v119, 31, v118
	v_ashrrev_i32_e32 v91, 31, v90
	v_dual_ashrrev_i32 v123, 31, v122 :: v_dual_ashrrev_i32 v129, 31, v128
	s_wait_xcnt 0x0
	s_delay_alu instid0(VALU_DEP_3) | instskip(SKIP_2) | instid1(VALU_DEP_3)
	v_dual_add_nc_u32 v104, s2, v92 :: v_dual_ashrrev_i32 v99, 31, v98
	v_ashrrev_i32_e32 v93, 31, v92
	v_lshl_add_u64 v[90:91], v[90:91], 3, v[0:1]
	v_dual_add_nc_u32 v132, s2, v104 :: v_dual_ashrrev_i32 v115, 31, v114
	s_delay_alu instid0(VALU_DEP_4) | instskip(SKIP_1) | instid1(VALU_DEP_3)
	v_lshl_add_u64 v[98:99], v[98:99], 3, v[0:1]
	v_ashrrev_i32_e32 v105, 31, v104
	v_ashrrev_i32_e32 v133, 31, v132
	s_delay_alu instid0(VALU_DEP_4)
	v_lshl_add_u64 v[112:113], v[114:115], 3, v[0:1]
	v_lshl_add_u64 v[114:115], v[118:119], 3, v[0:1]
	s_clause 0x3
	global_load_b64 v[120:121], v[96:97], off
	global_load_b64 v[118:119], v[98:99], off
	global_load_b64 v[94:95], v[112:113], off
	; meta instruction
	; meta instruction
	;; [unrolled: 1-line block ×3, first 2 shown]
	global_load_b64 v[96:97], v[114:115], off
	s_wait_xcnt 0x1
	v_add_nc_u32_e32 v112, s2, v132
	v_lshl_add_u64 v[98:99], v[122:123], 3, v[0:1]
	v_lshl_add_u64 v[122:123], v[128:129], 3, v[0:1]
	;; [unrolled: 1-line block ×4, first 2 shown]
	v_ashrrev_i32_e32 v113, 31, v112
	v_lshl_add_u64 v[132:133], v[132:133], 3, v[0:1]
	s_delay_alu instid0(VALU_DEP_2)
	v_lshl_add_u64 v[134:135], v[112:113], 3, v[0:1]
	s_clause 0x6
	global_load_b64 v[114:115], v[90:91], off
	global_load_b64 v[112:113], v[98:99], off
	;; [unrolled: 1-line block ×7, first 2 shown]
	s_wait_xcnt 0x3
	v_mul_lo_u32 v129, s4, v126
	s_load_b64 s[4:5], s[0:1], 0x40
	s_delay_alu instid0(VALU_DEP_1) | instskip(NEXT) | instid1(VALU_DEP_1)
	v_lshl_add_u32 v128, v129, 3, 0
	v_dual_lshlrev_b32 v129, 3, v129 :: v_dual_add_nc_u32 v124, v128, v124
	s_wait_loadcnt 0x34
	ds_store_b64 v124, v[116:117]
	s_wait_loadcnt_dscnt 0x0
	s_barrier_signal -1
	s_barrier_wait -1
	ds_load_b64 v[126:127], v128
	s_cbranch_scc1 .LBB116_6
; %bb.4:
	v_add3_u32 v124, v129, 0, 8
	v_mov_b32_e32 v125, 0
	s_wait_xcnt 0x0
	s_mov_b32 s0, 1
.LBB116_5:                              ; =>This Inner Loop Header: Depth=1
	ds_load_b64 v[132:133], v124
	s_wait_dscnt 0x1
	v_cmp_gt_f32_e32 vcc_lo, 0, v126
	v_cndmask_b32_e64 v134, v126, -v126, vcc_lo
	v_cmp_gt_f32_e32 vcc_lo, 0, v127
	v_cndmask_b32_e64 v136, v127, -v127, vcc_lo
	s_wait_dscnt 0x0
	v_cmp_gt_f32_e32 vcc_lo, 0, v132
	v_cndmask_b32_e64 v135, v132, -v132, vcc_lo
	v_cmp_gt_f32_e32 vcc_lo, 0, v133
	v_cndmask_b32_e64 v137, v133, -v133, vcc_lo
	s_delay_alu instid0(VALU_DEP_1) | instskip(NEXT) | instid1(VALU_DEP_1)
	v_pk_add_f32 v[134:135], v[134:135], v[136:137]
	v_cmp_lt_f32_e32 vcc_lo, v134, v135
	v_dual_cndmask_b32 v127, v127, v133 :: v_dual_add_nc_u32 v124, 8, v124
	v_cndmask_b32_e32 v126, v126, v132, vcc_lo
	v_cndmask_b32_e64 v125, v125, s0, vcc_lo
	s_add_co_i32 s0, s0, 1
	s_delay_alu instid0(SALU_CYCLE_1)
	s_cmp_eq_u32 s18, s0
	s_cbranch_scc0 .LBB116_5
.LBB116_6:
	s_wait_dscnt 0x0
	v_cmp_neq_f32_e32 vcc_lo, 0, v126
	s_wait_xcnt 0x0
	v_cmp_neq_f32_e64 s0, 0, v127
	v_dual_mov_b32 v130, 1 :: v_dual_mov_b32 v133, 1
	s_or_b32 s1, vcc_lo, s0
	s_delay_alu instid0(SALU_CYCLE_1)
	s_and_saveexec_b32 s0, s1
	s_cbranch_execz .LBB116_12
; %bb.7:
	v_cmp_ngt_f32_e64 s1, |v126|, |v127|
	s_and_saveexec_b32 s12, s1
	s_delay_alu instid0(SALU_CYCLE_1)
	s_xor_b32 s1, exec_lo, s12
	s_cbranch_execz .LBB116_9
; %bb.8:
	v_div_scale_f32 v124, null, v127, v127, v126
	v_div_scale_f32 v133, vcc_lo, v126, v127, v126
	s_delay_alu instid0(VALU_DEP_2) | instskip(SKIP_1) | instid1(TRANS32_DEP_1)
	v_rcp_f32_e32 v130, v124
	v_nop
	v_fma_f32 v132, -v124, v130, 1.0
	s_delay_alu instid0(VALU_DEP_1) | instskip(NEXT) | instid1(VALU_DEP_1)
	v_fmac_f32_e32 v130, v132, v130
	v_mul_f32_e32 v132, v133, v130
	s_delay_alu instid0(VALU_DEP_1) | instskip(NEXT) | instid1(VALU_DEP_1)
	v_fma_f32 v134, -v124, v132, v133
	v_fmac_f32_e32 v132, v134, v130
	s_delay_alu instid0(VALU_DEP_1) | instskip(NEXT) | instid1(VALU_DEP_1)
	v_fma_f32 v124, -v124, v132, v133
	v_div_fmas_f32 v124, v124, v130, v132
	s_delay_alu instid0(VALU_DEP_1) | instskip(NEXT) | instid1(VALU_DEP_1)
	v_div_fixup_f32 v124, v124, v127, v126
	v_fmac_f32_e32 v127, v126, v124
	s_delay_alu instid0(VALU_DEP_1) | instskip(SKIP_1) | instid1(VALU_DEP_2)
	v_div_scale_f32 v126, null, v127, v127, 1.0
	v_div_scale_f32 v133, vcc_lo, 1.0, v127, 1.0
	v_rcp_f32_e32 v130, v126
	v_nop
	s_delay_alu instid0(TRANS32_DEP_1) | instskip(NEXT) | instid1(VALU_DEP_1)
	v_fma_f32 v132, -v126, v130, 1.0
	v_fmac_f32_e32 v130, v132, v130
	s_delay_alu instid0(VALU_DEP_1) | instskip(NEXT) | instid1(VALU_DEP_1)
	v_mul_f32_e32 v132, v133, v130
	v_fma_f32 v134, -v126, v132, v133
	s_delay_alu instid0(VALU_DEP_1) | instskip(NEXT) | instid1(VALU_DEP_1)
	v_fmac_f32_e32 v132, v134, v130
	v_fma_f32 v126, -v126, v132, v133
	s_delay_alu instid0(VALU_DEP_1) | instskip(NEXT) | instid1(VALU_DEP_1)
	v_div_fmas_f32 v126, v126, v130, v132
	v_div_fixup_f32 v127, v126, v127, 1.0
	s_delay_alu instid0(VALU_DEP_1)
	v_mul_f32_e32 v126, v124, v127
	v_xor_b32_e32 v127, 0x80000000, v127
.LBB116_9:
	s_and_not1_saveexec_b32 s1, s1
	s_cbranch_execz .LBB116_11
; %bb.10:
	s_delay_alu instid0(VALU_DEP_1) | instskip(SKIP_1) | instid1(VALU_DEP_2)
	v_div_scale_f32 v124, null, v126, v126, v127
	v_div_scale_f32 v133, vcc_lo, v127, v126, v127
	v_rcp_f32_e32 v130, v124
	v_nop
	s_delay_alu instid0(TRANS32_DEP_1) | instskip(NEXT) | instid1(VALU_DEP_1)
	v_fma_f32 v132, -v124, v130, 1.0
	v_fmac_f32_e32 v130, v132, v130
	s_delay_alu instid0(VALU_DEP_1) | instskip(NEXT) | instid1(VALU_DEP_1)
	v_mul_f32_e32 v132, v133, v130
	v_fma_f32 v134, -v124, v132, v133
	s_delay_alu instid0(VALU_DEP_1) | instskip(NEXT) | instid1(VALU_DEP_1)
	v_fmac_f32_e32 v132, v134, v130
	v_fma_f32 v124, -v124, v132, v133
	s_delay_alu instid0(VALU_DEP_1) | instskip(NEXT) | instid1(VALU_DEP_1)
	v_div_fmas_f32 v124, v124, v130, v132
	v_div_fixup_f32 v124, v124, v126, v127
	s_delay_alu instid0(VALU_DEP_1) | instskip(NEXT) | instid1(VALU_DEP_1)
	v_fmac_f32_e32 v126, v127, v124
	v_div_scale_f32 v127, null, v126, v126, 1.0
	s_delay_alu instid0(VALU_DEP_1) | instskip(SKIP_1) | instid1(TRANS32_DEP_1)
	v_rcp_f32_e32 v130, v127
	v_nop
	v_fma_f32 v132, -v127, v130, 1.0
	s_delay_alu instid0(VALU_DEP_1) | instskip(SKIP_1) | instid1(VALU_DEP_1)
	v_fmac_f32_e32 v130, v132, v130
	v_div_scale_f32 v132, vcc_lo, 1.0, v126, 1.0
	v_mul_f32_e32 v133, v132, v130
	s_delay_alu instid0(VALU_DEP_1) | instskip(NEXT) | instid1(VALU_DEP_1)
	v_fma_f32 v134, -v127, v133, v132
	v_fmac_f32_e32 v133, v134, v130
	s_delay_alu instid0(VALU_DEP_1) | instskip(NEXT) | instid1(VALU_DEP_1)
	v_fma_f32 v127, -v127, v133, v132
	v_div_fmas_f32 v127, v127, v130, v133
	s_delay_alu instid0(VALU_DEP_1) | instskip(NEXT) | instid1(VALU_DEP_1)
	v_div_fixup_f32 v126, v127, v126, 1.0
	v_mul_f32_e64 v127, v124, -v126
.LBB116_11:
	s_or_b32 exec_lo, exec_lo, s1
	v_dual_mov_b32 v133, 0 :: v_dual_mov_b32 v130, 2
.LBB116_12:
	s_or_b32 exec_lo, exec_lo, s0
	s_delay_alu instid0(SALU_CYCLE_1)
	s_mov_b32 s0, exec_lo
	v_cmpx_ne_u32_e64 v131, v125
	s_xor_b32 s0, exec_lo, s0
	s_cbranch_execz .LBB116_18
; %bb.13:
	s_mov_b32 s1, exec_lo
	v_cmpx_eq_u32_e32 0, v131
	s_cbranch_execz .LBB116_17
; %bb.14:
	v_cmp_ne_u32_e32 vcc_lo, 0, v125
	s_xor_b32 s12, s16, -1
	s_delay_alu instid0(SALU_CYCLE_1) | instskip(NEXT) | instid1(SALU_CYCLE_1)
	s_and_b32 s13, s12, vcc_lo
	s_and_saveexec_b32 s12, s13
	s_cbranch_execz .LBB116_16
; %bb.15:
	v_dual_mov_b32 v134, v125 :: v_dual_ashrrev_i32 v135, 31, v125
	s_delay_alu instid0(VALU_DEP_1)
	v_lshl_add_u64 v[134:135], v[134:135], 2, v[4:5]
	s_clause 0x1
	global_load_b32 v124, v[134:135], off
	global_load_b32 v131, v[4:5], off
	s_wait_loadcnt 0x1
	global_store_b32 v[4:5], v124, off
	s_wait_loadcnt 0x0
	global_store_b32 v[134:135], v131, off
.LBB116_16:
	s_wait_xcnt 0x0
	s_or_b32 exec_lo, exec_lo, s12
	v_mov_b32_e32 v131, v125
.LBB116_17:
	s_or_b32 exec_lo, exec_lo, s1
.LBB116_18:
	s_or_saveexec_b32 s0, s0
	s_delay_alu instid0(VALU_DEP_1)
	v_mov_b32_e32 v132, v131
	s_xor_b32 exec_lo, exec_lo, s0
	s_cbranch_execz .LBB116_20
; %bb.19:
	v_mov_b32_e32 v132, 0
	ds_store_2addr_b64 v128, v[106:107], v[84:85] offset0:1 offset1:2
	ds_store_2addr_b64 v128, v[74:75], v[40:41] offset0:3 offset1:4
	;; [unrolled: 1-line block ×29, first 2 shown]
.LBB116_20:
	s_or_b32 exec_lo, exec_lo, s0
	s_delay_alu instid0(SALU_CYCLE_1)
	s_mov_b32 s0, exec_lo
	s_wait_storecnt_dscnt 0x0
	s_barrier_signal -1
	s_barrier_wait -1
	v_cmpx_lt_i32_e32 0, v132
	s_cbranch_execz .LBB116_22
; %bb.21:
	v_pk_mul_f32 v[134:135], v[126:127], v[116:117] op_sel:[1,1] op_sel_hi:[0,1]
	s_delay_alu instid0(VALU_DEP_1)
	v_pk_fma_f32 v[124:125], v[126:127], v[116:117], v[134:135] op_sel_hi:[1,0,1] neg_lo:[0,0,1] neg_hi:[0,0,1]
	v_pk_fma_f32 v[126:127], v[126:127], v[116:117], v[134:135] op_sel_hi:[1,0,1]
	ds_load_2addr_b64 v[134:137], v128 offset0:1 offset1:2
	v_dual_mov_b32 v116, v124 :: v_dual_mov_b32 v117, v127
	s_wait_dscnt 0x0
	v_pk_mul_f32 v[138:139], v[134:135], v[126:127] op_sel:[0,1]
	s_delay_alu instid0(VALU_DEP_1) | instskip(SKIP_1) | instid1(VALU_DEP_1)
	v_pk_fma_f32 v[140:141], v[134:135], v[124:125], v[138:139] op_sel:[0,0,1] op_sel_hi:[1,1,0] neg_lo:[0,0,1] neg_hi:[0,0,1]
	v_pk_fma_f32 v[134:135], v[134:135], v[124:125], v[138:139] op_sel:[0,0,1] op_sel_hi:[1,0,0]
	v_mov_b32_e32 v141, v135
	v_pk_mul_f32 v[134:135], v[136:137], v[126:127] op_sel:[0,1]
	s_delay_alu instid0(VALU_DEP_1) | instskip(SKIP_1) | instid1(VALU_DEP_1)
	v_pk_fma_f32 v[138:139], v[136:137], v[124:125], v[134:135] op_sel:[0,0,1] op_sel_hi:[1,1,0] neg_lo:[0,0,1] neg_hi:[0,0,1]
	v_pk_fma_f32 v[134:135], v[136:137], v[124:125], v[134:135] op_sel:[0,0,1] op_sel_hi:[1,0,0]
	v_mov_b32_e32 v139, v135
	ds_load_2addr_b64 v[134:137], v128 offset0:3 offset1:4
	v_pk_add_f32 v[106:107], v[106:107], v[140:141] neg_lo:[0,1] neg_hi:[0,1]
	v_pk_add_f32 v[84:85], v[84:85], v[138:139] neg_lo:[0,1] neg_hi:[0,1]
	s_wait_dscnt 0x0
	v_pk_mul_f32 v[138:139], v[134:135], v[126:127] op_sel:[0,1]
	s_delay_alu instid0(VALU_DEP_1) | instskip(SKIP_2) | instid1(VALU_DEP_2)
	v_pk_fma_f32 v[140:141], v[134:135], v[124:125], v[138:139] op_sel:[0,0,1] op_sel_hi:[1,1,0] neg_lo:[0,0,1] neg_hi:[0,0,1]
	v_pk_fma_f32 v[134:135], v[134:135], v[124:125], v[138:139] op_sel:[0,0,1] op_sel_hi:[1,0,0]
	v_dual_mul_f32 v138, v137, v127 :: v_dual_mov_b32 v134, v137
	v_dual_mov_b32 v141, v135 :: v_dual_mov_b32 v135, v136
	s_delay_alu instid0(VALU_DEP_2) | instskip(SKIP_1) | instid1(VALU_DEP_3)
	v_pk_fma_f32 v[138:139], v[136:137], v[116:117], v[138:139] op_sel_hi:[1,1,0] neg_lo:[0,0,1] neg_hi:[0,0,1]
	v_mul_f32_e32 v136, v137, v124
	v_pk_add_f32 v[74:75], v[74:75], v[140:141] neg_lo:[0,1] neg_hi:[0,1]
	s_delay_alu instid0(VALU_DEP_2) | instskip(NEXT) | instid1(VALU_DEP_1)
	v_pk_fma_f32 v[134:135], v[134:135], v[116:117], v[136:137] op_sel_hi:[1,1,0]
	v_mov_b32_e32 v139, v135
	ds_load_2addr_b64 v[134:137], v128 offset0:5 offset1:6
	v_pk_add_f32 v[40:41], v[40:41], v[138:139] neg_lo:[0,1] neg_hi:[0,1]
	s_wait_dscnt 0x0
	v_pk_mul_f32 v[138:139], v[134:135], v[126:127] op_sel:[0,1]
	s_delay_alu instid0(VALU_DEP_1) | instskip(SKIP_1) | instid1(VALU_DEP_1)
	v_pk_fma_f32 v[140:141], v[134:135], v[124:125], v[138:139] op_sel:[0,0,1] op_sel_hi:[1,1,0] neg_lo:[0,0,1] neg_hi:[0,0,1]
	v_pk_fma_f32 v[134:135], v[134:135], v[124:125], v[138:139] op_sel:[0,0,1] op_sel_hi:[1,0,0]
	v_mov_b32_e32 v141, v135
	v_pk_mul_f32 v[134:135], v[136:137], v[126:127] op_sel:[0,1]
	s_delay_alu instid0(VALU_DEP_1) | instskip(SKIP_1) | instid1(VALU_DEP_1)
	v_pk_fma_f32 v[138:139], v[136:137], v[124:125], v[134:135] op_sel:[0,0,1] op_sel_hi:[1,1,0] neg_lo:[0,0,1] neg_hi:[0,0,1]
	v_pk_fma_f32 v[134:135], v[136:137], v[124:125], v[134:135] op_sel:[0,0,1] op_sel_hi:[1,0,0]
	v_mov_b32_e32 v139, v135
	ds_load_2addr_b64 v[134:137], v128 offset0:7 offset1:8
	v_pk_add_f32 v[30:31], v[30:31], v[140:141] neg_lo:[0,1] neg_hi:[0,1]
	v_pk_add_f32 v[16:17], v[16:17], v[138:139] neg_lo:[0,1] neg_hi:[0,1]
	s_wait_dscnt 0x0
	v_pk_mul_f32 v[138:139], v[134:135], v[126:127] op_sel:[0,1]
	s_delay_alu instid0(VALU_DEP_1) | instskip(SKIP_1) | instid1(VALU_DEP_1)
	v_pk_fma_f32 v[140:141], v[134:135], v[124:125], v[138:139] op_sel:[0,0,1] op_sel_hi:[1,1,0] neg_lo:[0,0,1] neg_hi:[0,0,1]
	v_pk_fma_f32 v[134:135], v[134:135], v[124:125], v[138:139] op_sel:[0,0,1] op_sel_hi:[1,0,0]
	v_mov_b32_e32 v141, v135
	v_pk_mul_f32 v[134:135], v[136:137], v[126:127] op_sel:[0,1]
	s_delay_alu instid0(VALU_DEP_1) | instskip(SKIP_1) | instid1(VALU_DEP_1)
	v_pk_fma_f32 v[138:139], v[136:137], v[124:125], v[134:135] op_sel:[0,0,1] op_sel_hi:[1,1,0] neg_lo:[0,0,1] neg_hi:[0,0,1]
	v_pk_fma_f32 v[134:135], v[136:137], v[124:125], v[134:135] op_sel:[0,0,1] op_sel_hi:[1,0,0]
	v_mov_b32_e32 v139, v135
	ds_load_2addr_b64 v[134:137], v128 offset0:9 offset1:10
	v_pk_add_f32 v[10:11], v[10:11], v[140:141] neg_lo:[0,1] neg_hi:[0,1]
	v_pk_add_f32 v[24:25], v[24:25], v[138:139] neg_lo:[0,1] neg_hi:[0,1]
	s_wait_dscnt 0x0
	v_dual_mul_f32 v138, v135, v127 :: v_dual_mul_f32 v140, v135, v124
	s_delay_alu instid0(VALU_DEP_1) | instskip(NEXT) | instid1(VALU_DEP_2)
	v_pk_fma_f32 v[138:139], v[134:135], v[116:117], v[138:139] op_sel_hi:[1,1,0] neg_lo:[0,0,1] neg_hi:[0,0,1]
	v_pk_fma_f32 v[134:135], v[134:135], v[116:117], v[140:141] op_sel:[1,0,0] op_sel_hi:[0,1,0]
	s_delay_alu instid0(VALU_DEP_1) | instskip(SKIP_1) | instid1(VALU_DEP_2)
	v_mov_b32_e32 v139, v135
	v_pk_mul_f32 v[134:135], v[136:137], v[126:127] op_sel:[0,1]
	v_pk_add_f32 v[22:23], v[22:23], v[138:139] neg_lo:[0,1] neg_hi:[0,1]
	s_delay_alu instid0(VALU_DEP_2) | instskip(SKIP_1) | instid1(VALU_DEP_1)
	v_pk_fma_f32 v[138:139], v[136:137], v[124:125], v[134:135] op_sel:[0,0,1] op_sel_hi:[1,1,0] neg_lo:[0,0,1] neg_hi:[0,0,1]
	v_pk_fma_f32 v[134:135], v[136:137], v[124:125], v[134:135] op_sel:[0,0,1] op_sel_hi:[1,0,0]
	v_mov_b32_e32 v139, v135
	ds_load_2addr_b64 v[134:137], v128 offset0:11 offset1:12
	v_pk_add_f32 v[8:9], v[8:9], v[138:139] neg_lo:[0,1] neg_hi:[0,1]
	s_wait_dscnt 0x0
	v_pk_mul_f32 v[138:139], v[134:135], v[126:127] op_sel:[0,1]
	s_delay_alu instid0(VALU_DEP_1) | instskip(SKIP_1) | instid1(VALU_DEP_1)
	v_pk_fma_f32 v[140:141], v[134:135], v[124:125], v[138:139] op_sel:[0,0,1] op_sel_hi:[1,1,0] neg_lo:[0,0,1] neg_hi:[0,0,1]
	v_pk_fma_f32 v[134:135], v[134:135], v[124:125], v[138:139] op_sel:[0,0,1] op_sel_hi:[1,0,0]
	v_mov_b32_e32 v141, v135
	v_pk_mul_f32 v[134:135], v[136:137], v[126:127] op_sel:[0,1]
	s_delay_alu instid0(VALU_DEP_2) | instskip(NEXT) | instid1(VALU_DEP_2)
	v_pk_add_f32 v[6:7], v[6:7], v[140:141] neg_lo:[0,1] neg_hi:[0,1]
	v_pk_fma_f32 v[138:139], v[136:137], v[124:125], v[134:135] op_sel:[0,0,1] op_sel_hi:[1,1,0] neg_lo:[0,0,1] neg_hi:[0,0,1]
	v_pk_fma_f32 v[134:135], v[136:137], v[124:125], v[134:135] op_sel:[0,0,1] op_sel_hi:[1,0,0]
	s_delay_alu instid0(VALU_DEP_1) | instskip(SKIP_4) | instid1(VALU_DEP_1)
	v_mov_b32_e32 v139, v135
	ds_load_2addr_b64 v[134:137], v128 offset0:13 offset1:14
	v_pk_add_f32 v[34:35], v[34:35], v[138:139] neg_lo:[0,1] neg_hi:[0,1]
	s_wait_dscnt 0x0
	v_pk_mul_f32 v[138:139], v[134:135], v[126:127] op_sel:[0,1]
	v_pk_fma_f32 v[140:141], v[134:135], v[124:125], v[138:139] op_sel:[0,0,1] op_sel_hi:[1,1,0] neg_lo:[0,0,1] neg_hi:[0,0,1]
	v_pk_fma_f32 v[134:135], v[134:135], v[124:125], v[138:139] op_sel:[0,0,1] op_sel_hi:[1,0,0]
	v_dual_mul_f32 v138, v137, v127 :: v_dual_mov_b32 v134, v137
	s_delay_alu instid0(VALU_DEP_2) | instskip(NEXT) | instid1(VALU_DEP_2)
	v_dual_mov_b32 v141, v135 :: v_dual_mov_b32 v135, v136
	v_pk_fma_f32 v[138:139], v[136:137], v[116:117], v[138:139] op_sel_hi:[1,1,0] neg_lo:[0,0,1] neg_hi:[0,0,1]
	v_mul_f32_e32 v136, v137, v124
	s_delay_alu instid0(VALU_DEP_3) | instskip(NEXT) | instid1(VALU_DEP_2)
	v_pk_add_f32 v[32:33], v[32:33], v[140:141] neg_lo:[0,1] neg_hi:[0,1]
	v_pk_fma_f32 v[134:135], v[134:135], v[116:117], v[136:137] op_sel_hi:[1,1,0]
	s_delay_alu instid0(VALU_DEP_1) | instskip(SKIP_4) | instid1(VALU_DEP_1)
	v_mov_b32_e32 v139, v135
	ds_load_2addr_b64 v[134:137], v128 offset0:15 offset1:16
	v_pk_add_f32 v[14:15], v[14:15], v[138:139] neg_lo:[0,1] neg_hi:[0,1]
	s_wait_dscnt 0x0
	v_pk_mul_f32 v[138:139], v[134:135], v[126:127] op_sel:[0,1]
	v_pk_fma_f32 v[140:141], v[134:135], v[124:125], v[138:139] op_sel:[0,0,1] op_sel_hi:[1,1,0] neg_lo:[0,0,1] neg_hi:[0,0,1]
	v_pk_fma_f32 v[134:135], v[134:135], v[124:125], v[138:139] op_sel:[0,0,1] op_sel_hi:[1,0,0]
	s_delay_alu instid0(VALU_DEP_1) | instskip(SKIP_1) | instid1(VALU_DEP_1)
	v_mov_b32_e32 v141, v135
	v_pk_mul_f32 v[134:135], v[136:137], v[126:127] op_sel:[0,1]
	v_pk_fma_f32 v[138:139], v[136:137], v[124:125], v[134:135] op_sel:[0,0,1] op_sel_hi:[1,1,0] neg_lo:[0,0,1] neg_hi:[0,0,1]
	v_pk_fma_f32 v[134:135], v[136:137], v[124:125], v[134:135] op_sel:[0,0,1] op_sel_hi:[1,0,0]
	s_delay_alu instid0(VALU_DEP_1)
	v_mov_b32_e32 v139, v135
	ds_load_2addr_b64 v[134:137], v128 offset0:17 offset1:18
	v_pk_add_f32 v[12:13], v[12:13], v[140:141] neg_lo:[0,1] neg_hi:[0,1]
	v_pk_add_f32 v[44:45], v[44:45], v[138:139] neg_lo:[0,1] neg_hi:[0,1]
	s_wait_dscnt 0x0
	v_pk_mul_f32 v[138:139], v[134:135], v[126:127] op_sel:[0,1]
	s_delay_alu instid0(VALU_DEP_1) | instskip(SKIP_1) | instid1(VALU_DEP_1)
	v_pk_fma_f32 v[140:141], v[134:135], v[124:125], v[138:139] op_sel:[0,0,1] op_sel_hi:[1,1,0] neg_lo:[0,0,1] neg_hi:[0,0,1]
	v_pk_fma_f32 v[134:135], v[134:135], v[124:125], v[138:139] op_sel:[0,0,1] op_sel_hi:[1,0,0]
	v_mov_b32_e32 v141, v135
	v_pk_mul_f32 v[134:135], v[136:137], v[126:127] op_sel:[0,1]
	s_delay_alu instid0(VALU_DEP_1) | instskip(SKIP_1) | instid1(VALU_DEP_1)
	v_pk_fma_f32 v[138:139], v[136:137], v[124:125], v[134:135] op_sel:[0,0,1] op_sel_hi:[1,1,0] neg_lo:[0,0,1] neg_hi:[0,0,1]
	v_pk_fma_f32 v[134:135], v[136:137], v[124:125], v[134:135] op_sel:[0,0,1] op_sel_hi:[1,0,0]
	v_mov_b32_e32 v139, v135
	ds_load_2addr_b64 v[134:137], v128 offset0:19 offset1:20
	v_pk_add_f32 v[42:43], v[42:43], v[140:141] neg_lo:[0,1] neg_hi:[0,1]
	v_pk_add_f32 v[20:21], v[20:21], v[138:139] neg_lo:[0,1] neg_hi:[0,1]
	s_wait_dscnt 0x0
	v_dual_mul_f32 v138, v135, v127 :: v_dual_mul_f32 v140, v135, v124
	s_delay_alu instid0(VALU_DEP_1) | instskip(NEXT) | instid1(VALU_DEP_2)
	v_pk_fma_f32 v[138:139], v[134:135], v[116:117], v[138:139] op_sel_hi:[1,1,0] neg_lo:[0,0,1] neg_hi:[0,0,1]
	v_pk_fma_f32 v[134:135], v[134:135], v[116:117], v[140:141] op_sel:[1,0,0] op_sel_hi:[0,1,0]
	s_delay_alu instid0(VALU_DEP_1) | instskip(SKIP_1) | instid1(VALU_DEP_2)
	v_mov_b32_e32 v139, v135
	v_pk_mul_f32 v[134:135], v[136:137], v[126:127] op_sel:[0,1]
	v_pk_add_f32 v[18:19], v[18:19], v[138:139] neg_lo:[0,1] neg_hi:[0,1]
	s_delay_alu instid0(VALU_DEP_2) | instskip(SKIP_1) | instid1(VALU_DEP_1)
	v_pk_fma_f32 v[138:139], v[136:137], v[124:125], v[134:135] op_sel:[0,0,1] op_sel_hi:[1,1,0] neg_lo:[0,0,1] neg_hi:[0,0,1]
	v_pk_fma_f32 v[134:135], v[136:137], v[124:125], v[134:135] op_sel:[0,0,1] op_sel_hi:[1,0,0]
	v_mov_b32_e32 v139, v135
	ds_load_2addr_b64 v[134:137], v128 offset0:21 offset1:22
	v_pk_add_f32 v[52:53], v[52:53], v[138:139] neg_lo:[0,1] neg_hi:[0,1]
	s_wait_dscnt 0x0
	v_pk_mul_f32 v[138:139], v[134:135], v[126:127] op_sel:[0,1]
	s_delay_alu instid0(VALU_DEP_1) | instskip(SKIP_1) | instid1(VALU_DEP_1)
	v_pk_fma_f32 v[140:141], v[134:135], v[124:125], v[138:139] op_sel:[0,0,1] op_sel_hi:[1,1,0] neg_lo:[0,0,1] neg_hi:[0,0,1]
	v_pk_fma_f32 v[134:135], v[134:135], v[124:125], v[138:139] op_sel:[0,0,1] op_sel_hi:[1,0,0]
	v_mov_b32_e32 v141, v135
	v_pk_mul_f32 v[134:135], v[136:137], v[126:127] op_sel:[0,1]
	s_delay_alu instid0(VALU_DEP_2) | instskip(NEXT) | instid1(VALU_DEP_2)
	v_pk_add_f32 v[50:51], v[50:51], v[140:141] neg_lo:[0,1] neg_hi:[0,1]
	v_pk_fma_f32 v[138:139], v[136:137], v[124:125], v[134:135] op_sel:[0,0,1] op_sel_hi:[1,1,0] neg_lo:[0,0,1] neg_hi:[0,0,1]
	v_pk_fma_f32 v[134:135], v[136:137], v[124:125], v[134:135] op_sel:[0,0,1] op_sel_hi:[1,0,0]
	s_delay_alu instid0(VALU_DEP_1) | instskip(SKIP_4) | instid1(VALU_DEP_1)
	v_mov_b32_e32 v139, v135
	ds_load_2addr_b64 v[134:137], v128 offset0:23 offset1:24
	v_pk_add_f32 v[28:29], v[28:29], v[138:139] neg_lo:[0,1] neg_hi:[0,1]
	s_wait_dscnt 0x0
	v_pk_mul_f32 v[138:139], v[134:135], v[126:127] op_sel:[0,1]
	v_pk_fma_f32 v[140:141], v[134:135], v[124:125], v[138:139] op_sel:[0,0,1] op_sel_hi:[1,1,0] neg_lo:[0,0,1] neg_hi:[0,0,1]
	v_pk_fma_f32 v[134:135], v[134:135], v[124:125], v[138:139] op_sel:[0,0,1] op_sel_hi:[1,0,0]
	v_dual_mul_f32 v138, v137, v127 :: v_dual_mov_b32 v134, v137
	s_delay_alu instid0(VALU_DEP_2) | instskip(NEXT) | instid1(VALU_DEP_2)
	v_dual_mov_b32 v141, v135 :: v_dual_mov_b32 v135, v136
	v_pk_fma_f32 v[138:139], v[136:137], v[116:117], v[138:139] op_sel_hi:[1,1,0] neg_lo:[0,0,1] neg_hi:[0,0,1]
	v_mul_f32_e32 v136, v137, v124
	s_delay_alu instid0(VALU_DEP_3) | instskip(NEXT) | instid1(VALU_DEP_2)
	v_pk_add_f32 v[26:27], v[26:27], v[140:141] neg_lo:[0,1] neg_hi:[0,1]
	v_pk_fma_f32 v[134:135], v[134:135], v[116:117], v[136:137] op_sel_hi:[1,1,0]
	s_delay_alu instid0(VALU_DEP_1) | instskip(SKIP_4) | instid1(VALU_DEP_1)
	v_mov_b32_e32 v139, v135
	ds_load_2addr_b64 v[134:137], v128 offset0:25 offset1:26
	v_pk_add_f32 v[60:61], v[60:61], v[138:139] neg_lo:[0,1] neg_hi:[0,1]
	s_wait_dscnt 0x0
	v_pk_mul_f32 v[138:139], v[134:135], v[126:127] op_sel:[0,1]
	v_pk_fma_f32 v[140:141], v[134:135], v[124:125], v[138:139] op_sel:[0,0,1] op_sel_hi:[1,1,0] neg_lo:[0,0,1] neg_hi:[0,0,1]
	v_pk_fma_f32 v[134:135], v[134:135], v[124:125], v[138:139] op_sel:[0,0,1] op_sel_hi:[1,0,0]
	s_delay_alu instid0(VALU_DEP_1) | instskip(SKIP_1) | instid1(VALU_DEP_1)
	v_mov_b32_e32 v141, v135
	v_pk_mul_f32 v[134:135], v[136:137], v[126:127] op_sel:[0,1]
	v_pk_fma_f32 v[138:139], v[136:137], v[124:125], v[134:135] op_sel:[0,0,1] op_sel_hi:[1,1,0] neg_lo:[0,0,1] neg_hi:[0,0,1]
	v_pk_fma_f32 v[134:135], v[136:137], v[124:125], v[134:135] op_sel:[0,0,1] op_sel_hi:[1,0,0]
	s_delay_alu instid0(VALU_DEP_1)
	v_mov_b32_e32 v139, v135
	ds_load_2addr_b64 v[134:137], v128 offset0:27 offset1:28
	v_pk_add_f32 v[58:59], v[58:59], v[140:141] neg_lo:[0,1] neg_hi:[0,1]
	v_pk_add_f32 v[38:39], v[38:39], v[138:139] neg_lo:[0,1] neg_hi:[0,1]
	s_wait_dscnt 0x0
	v_pk_mul_f32 v[138:139], v[134:135], v[126:127] op_sel:[0,1]
	s_delay_alu instid0(VALU_DEP_1) | instskip(SKIP_1) | instid1(VALU_DEP_1)
	v_pk_fma_f32 v[140:141], v[134:135], v[124:125], v[138:139] op_sel:[0,0,1] op_sel_hi:[1,1,0] neg_lo:[0,0,1] neg_hi:[0,0,1]
	v_pk_fma_f32 v[134:135], v[134:135], v[124:125], v[138:139] op_sel:[0,0,1] op_sel_hi:[1,0,0]
	v_mov_b32_e32 v141, v135
	v_pk_mul_f32 v[134:135], v[136:137], v[126:127] op_sel:[0,1]
	s_delay_alu instid0(VALU_DEP_1) | instskip(SKIP_1) | instid1(VALU_DEP_1)
	v_pk_fma_f32 v[138:139], v[136:137], v[124:125], v[134:135] op_sel:[0,0,1] op_sel_hi:[1,1,0] neg_lo:[0,0,1] neg_hi:[0,0,1]
	v_pk_fma_f32 v[134:135], v[136:137], v[124:125], v[134:135] op_sel:[0,0,1] op_sel_hi:[1,0,0]
	v_mov_b32_e32 v139, v135
	ds_load_2addr_b64 v[134:137], v128 offset0:29 offset1:30
	v_pk_add_f32 v[36:37], v[36:37], v[140:141] neg_lo:[0,1] neg_hi:[0,1]
	v_pk_add_f32 v[68:69], v[68:69], v[138:139] neg_lo:[0,1] neg_hi:[0,1]
	s_wait_dscnt 0x0
	v_dual_mul_f32 v138, v135, v127 :: v_dual_mul_f32 v140, v135, v124
	s_delay_alu instid0(VALU_DEP_1) | instskip(NEXT) | instid1(VALU_DEP_2)
	v_pk_fma_f32 v[138:139], v[134:135], v[116:117], v[138:139] op_sel_hi:[1,1,0] neg_lo:[0,0,1] neg_hi:[0,0,1]
	v_pk_fma_f32 v[134:135], v[134:135], v[116:117], v[140:141] op_sel:[1,0,0] op_sel_hi:[0,1,0]
	s_delay_alu instid0(VALU_DEP_1) | instskip(SKIP_1) | instid1(VALU_DEP_2)
	v_mov_b32_e32 v139, v135
	v_pk_mul_f32 v[134:135], v[136:137], v[126:127] op_sel:[0,1]
	v_pk_add_f32 v[66:67], v[66:67], v[138:139] neg_lo:[0,1] neg_hi:[0,1]
	s_delay_alu instid0(VALU_DEP_2) | instskip(SKIP_1) | instid1(VALU_DEP_1)
	v_pk_fma_f32 v[138:139], v[136:137], v[124:125], v[134:135] op_sel:[0,0,1] op_sel_hi:[1,1,0] neg_lo:[0,0,1] neg_hi:[0,0,1]
	v_pk_fma_f32 v[134:135], v[136:137], v[124:125], v[134:135] op_sel:[0,0,1] op_sel_hi:[1,0,0]
	v_mov_b32_e32 v139, v135
	ds_load_2addr_b64 v[134:137], v128 offset0:31 offset1:32
	v_pk_add_f32 v[48:49], v[48:49], v[138:139] neg_lo:[0,1] neg_hi:[0,1]
	s_wait_dscnt 0x0
	v_pk_mul_f32 v[138:139], v[134:135], v[126:127] op_sel:[0,1]
	s_delay_alu instid0(VALU_DEP_1) | instskip(SKIP_1) | instid1(VALU_DEP_1)
	v_pk_fma_f32 v[140:141], v[134:135], v[124:125], v[138:139] op_sel:[0,0,1] op_sel_hi:[1,1,0] neg_lo:[0,0,1] neg_hi:[0,0,1]
	v_pk_fma_f32 v[134:135], v[134:135], v[124:125], v[138:139] op_sel:[0,0,1] op_sel_hi:[1,0,0]
	v_mov_b32_e32 v141, v135
	v_pk_mul_f32 v[134:135], v[136:137], v[126:127] op_sel:[0,1]
	s_delay_alu instid0(VALU_DEP_2) | instskip(NEXT) | instid1(VALU_DEP_2)
	v_pk_add_f32 v[46:47], v[46:47], v[140:141] neg_lo:[0,1] neg_hi:[0,1]
	v_pk_fma_f32 v[138:139], v[136:137], v[124:125], v[134:135] op_sel:[0,0,1] op_sel_hi:[1,1,0] neg_lo:[0,0,1] neg_hi:[0,0,1]
	v_pk_fma_f32 v[134:135], v[136:137], v[124:125], v[134:135] op_sel:[0,0,1] op_sel_hi:[1,0,0]
	s_delay_alu instid0(VALU_DEP_1) | instskip(SKIP_4) | instid1(VALU_DEP_1)
	v_mov_b32_e32 v139, v135
	ds_load_2addr_b64 v[134:137], v128 offset0:33 offset1:34
	v_pk_add_f32 v[78:79], v[78:79], v[138:139] neg_lo:[0,1] neg_hi:[0,1]
	s_wait_dscnt 0x0
	v_pk_mul_f32 v[138:139], v[134:135], v[126:127] op_sel:[0,1]
	v_pk_fma_f32 v[140:141], v[134:135], v[124:125], v[138:139] op_sel:[0,0,1] op_sel_hi:[1,1,0] neg_lo:[0,0,1] neg_hi:[0,0,1]
	v_pk_fma_f32 v[134:135], v[134:135], v[124:125], v[138:139] op_sel:[0,0,1] op_sel_hi:[1,0,0]
	v_dual_mul_f32 v138, v137, v127 :: v_dual_mov_b32 v134, v137
	s_delay_alu instid0(VALU_DEP_2) | instskip(NEXT) | instid1(VALU_DEP_2)
	v_dual_mov_b32 v141, v135 :: v_dual_mov_b32 v135, v136
	v_pk_fma_f32 v[138:139], v[136:137], v[116:117], v[138:139] op_sel_hi:[1,1,0] neg_lo:[0,0,1] neg_hi:[0,0,1]
	v_mul_f32_e32 v136, v137, v124
	s_delay_alu instid0(VALU_DEP_3) | instskip(NEXT) | instid1(VALU_DEP_2)
	v_pk_add_f32 v[76:77], v[76:77], v[140:141] neg_lo:[0,1] neg_hi:[0,1]
	v_pk_fma_f32 v[134:135], v[134:135], v[116:117], v[136:137] op_sel_hi:[1,1,0]
	s_delay_alu instid0(VALU_DEP_1) | instskip(SKIP_4) | instid1(VALU_DEP_1)
	v_mov_b32_e32 v139, v135
	ds_load_2addr_b64 v[134:137], v128 offset0:35 offset1:36
	v_pk_add_f32 v[56:57], v[56:57], v[138:139] neg_lo:[0,1] neg_hi:[0,1]
	s_wait_dscnt 0x0
	v_pk_mul_f32 v[138:139], v[134:135], v[126:127] op_sel:[0,1]
	v_pk_fma_f32 v[140:141], v[134:135], v[124:125], v[138:139] op_sel:[0,0,1] op_sel_hi:[1,1,0] neg_lo:[0,0,1] neg_hi:[0,0,1]
	v_pk_fma_f32 v[134:135], v[134:135], v[124:125], v[138:139] op_sel:[0,0,1] op_sel_hi:[1,0,0]
	s_delay_alu instid0(VALU_DEP_1) | instskip(SKIP_1) | instid1(VALU_DEP_1)
	v_mov_b32_e32 v141, v135
	v_pk_mul_f32 v[134:135], v[136:137], v[126:127] op_sel:[0,1]
	v_pk_fma_f32 v[138:139], v[136:137], v[124:125], v[134:135] op_sel:[0,0,1] op_sel_hi:[1,1,0] neg_lo:[0,0,1] neg_hi:[0,0,1]
	v_pk_fma_f32 v[134:135], v[136:137], v[124:125], v[134:135] op_sel:[0,0,1] op_sel_hi:[1,0,0]
	s_delay_alu instid0(VALU_DEP_1)
	v_mov_b32_e32 v139, v135
	ds_load_2addr_b64 v[134:137], v128 offset0:37 offset1:38
	v_pk_add_f32 v[54:55], v[54:55], v[140:141] neg_lo:[0,1] neg_hi:[0,1]
	v_pk_add_f32 v[88:89], v[88:89], v[138:139] neg_lo:[0,1] neg_hi:[0,1]
	s_wait_dscnt 0x0
	v_pk_mul_f32 v[138:139], v[134:135], v[126:127] op_sel:[0,1]
	s_delay_alu instid0(VALU_DEP_1) | instskip(SKIP_1) | instid1(VALU_DEP_1)
	v_pk_fma_f32 v[140:141], v[134:135], v[124:125], v[138:139] op_sel:[0,0,1] op_sel_hi:[1,1,0] neg_lo:[0,0,1] neg_hi:[0,0,1]
	v_pk_fma_f32 v[134:135], v[134:135], v[124:125], v[138:139] op_sel:[0,0,1] op_sel_hi:[1,0,0]
	v_mov_b32_e32 v141, v135
	v_pk_mul_f32 v[134:135], v[136:137], v[126:127] op_sel:[0,1]
	s_delay_alu instid0(VALU_DEP_1) | instskip(SKIP_1) | instid1(VALU_DEP_1)
	v_pk_fma_f32 v[138:139], v[136:137], v[124:125], v[134:135] op_sel:[0,0,1] op_sel_hi:[1,1,0] neg_lo:[0,0,1] neg_hi:[0,0,1]
	v_pk_fma_f32 v[134:135], v[136:137], v[124:125], v[134:135] op_sel:[0,0,1] op_sel_hi:[1,0,0]
	v_mov_b32_e32 v139, v135
	ds_load_2addr_b64 v[134:137], v128 offset0:39 offset1:40
	v_pk_add_f32 v[86:87], v[86:87], v[140:141] neg_lo:[0,1] neg_hi:[0,1]
	v_pk_add_f32 v[64:65], v[64:65], v[138:139] neg_lo:[0,1] neg_hi:[0,1]
	s_wait_dscnt 0x0
	v_dual_mul_f32 v138, v135, v127 :: v_dual_mul_f32 v140, v135, v124
	s_delay_alu instid0(VALU_DEP_1) | instskip(NEXT) | instid1(VALU_DEP_2)
	v_pk_fma_f32 v[138:139], v[134:135], v[116:117], v[138:139] op_sel_hi:[1,1,0] neg_lo:[0,0,1] neg_hi:[0,0,1]
	v_pk_fma_f32 v[134:135], v[134:135], v[116:117], v[140:141] op_sel:[1,0,0] op_sel_hi:[0,1,0]
	s_delay_alu instid0(VALU_DEP_1) | instskip(SKIP_1) | instid1(VALU_DEP_2)
	v_mov_b32_e32 v139, v135
	v_pk_mul_f32 v[134:135], v[136:137], v[126:127] op_sel:[0,1]
	v_pk_add_f32 v[62:63], v[62:63], v[138:139] neg_lo:[0,1] neg_hi:[0,1]
	s_delay_alu instid0(VALU_DEP_2) | instskip(SKIP_1) | instid1(VALU_DEP_1)
	v_pk_fma_f32 v[138:139], v[136:137], v[124:125], v[134:135] op_sel:[0,0,1] op_sel_hi:[1,1,0] neg_lo:[0,0,1] neg_hi:[0,0,1]
	v_pk_fma_f32 v[134:135], v[136:137], v[124:125], v[134:135] op_sel:[0,0,1] op_sel_hi:[1,0,0]
	v_mov_b32_e32 v139, v135
	ds_load_2addr_b64 v[134:137], v128 offset0:41 offset1:42
	v_pk_add_f32 v[102:103], v[102:103], v[138:139] neg_lo:[0,1] neg_hi:[0,1]
	s_wait_dscnt 0x0
	v_pk_mul_f32 v[138:139], v[134:135], v[126:127] op_sel:[0,1]
	s_delay_alu instid0(VALU_DEP_1) | instskip(SKIP_1) | instid1(VALU_DEP_1)
	v_pk_fma_f32 v[140:141], v[134:135], v[124:125], v[138:139] op_sel:[0,0,1] op_sel_hi:[1,1,0] neg_lo:[0,0,1] neg_hi:[0,0,1]
	v_pk_fma_f32 v[134:135], v[134:135], v[124:125], v[138:139] op_sel:[0,0,1] op_sel_hi:[1,0,0]
	v_mov_b32_e32 v141, v135
	v_pk_mul_f32 v[134:135], v[136:137], v[126:127] op_sel:[0,1]
	s_delay_alu instid0(VALU_DEP_2) | instskip(NEXT) | instid1(VALU_DEP_2)
	v_pk_add_f32 v[100:101], v[100:101], v[140:141] neg_lo:[0,1] neg_hi:[0,1]
	v_pk_fma_f32 v[138:139], v[136:137], v[124:125], v[134:135] op_sel:[0,0,1] op_sel_hi:[1,1,0] neg_lo:[0,0,1] neg_hi:[0,0,1]
	v_pk_fma_f32 v[134:135], v[136:137], v[124:125], v[134:135] op_sel:[0,0,1] op_sel_hi:[1,0,0]
	s_delay_alu instid0(VALU_DEP_1) | instskip(SKIP_4) | instid1(VALU_DEP_1)
	v_mov_b32_e32 v139, v135
	ds_load_2addr_b64 v[134:137], v128 offset0:43 offset1:44
	v_pk_add_f32 v[72:73], v[72:73], v[138:139] neg_lo:[0,1] neg_hi:[0,1]
	s_wait_dscnt 0x0
	v_pk_mul_f32 v[138:139], v[134:135], v[126:127] op_sel:[0,1]
	v_pk_fma_f32 v[140:141], v[134:135], v[124:125], v[138:139] op_sel:[0,0,1] op_sel_hi:[1,1,0] neg_lo:[0,0,1] neg_hi:[0,0,1]
	v_pk_fma_f32 v[134:135], v[134:135], v[124:125], v[138:139] op_sel:[0,0,1] op_sel_hi:[1,0,0]
	v_dual_mul_f32 v138, v137, v127 :: v_dual_mov_b32 v134, v137
	s_delay_alu instid0(VALU_DEP_2) | instskip(NEXT) | instid1(VALU_DEP_2)
	v_dual_mov_b32 v141, v135 :: v_dual_mov_b32 v135, v136
	v_pk_fma_f32 v[138:139], v[136:137], v[116:117], v[138:139] op_sel_hi:[1,1,0] neg_lo:[0,0,1] neg_hi:[0,0,1]
	v_mul_f32_e32 v136, v137, v124
	s_delay_alu instid0(VALU_DEP_3) | instskip(NEXT) | instid1(VALU_DEP_2)
	v_pk_add_f32 v[70:71], v[70:71], v[140:141] neg_lo:[0,1] neg_hi:[0,1]
	v_pk_fma_f32 v[134:135], v[134:135], v[116:117], v[136:137] op_sel_hi:[1,1,0]
	s_delay_alu instid0(VALU_DEP_1) | instskip(SKIP_4) | instid1(VALU_DEP_1)
	v_mov_b32_e32 v139, v135
	ds_load_2addr_b64 v[134:137], v128 offset0:45 offset1:46
	v_pk_add_f32 v[110:111], v[110:111], v[138:139] neg_lo:[0,1] neg_hi:[0,1]
	s_wait_dscnt 0x0
	v_pk_mul_f32 v[138:139], v[134:135], v[126:127] op_sel:[0,1]
	v_pk_fma_f32 v[140:141], v[134:135], v[124:125], v[138:139] op_sel:[0,0,1] op_sel_hi:[1,1,0] neg_lo:[0,0,1] neg_hi:[0,0,1]
	v_pk_fma_f32 v[134:135], v[134:135], v[124:125], v[138:139] op_sel:[0,0,1] op_sel_hi:[1,0,0]
	s_delay_alu instid0(VALU_DEP_1) | instskip(SKIP_1) | instid1(VALU_DEP_1)
	v_mov_b32_e32 v141, v135
	v_pk_mul_f32 v[134:135], v[136:137], v[126:127] op_sel:[0,1]
	v_pk_fma_f32 v[138:139], v[136:137], v[124:125], v[134:135] op_sel:[0,0,1] op_sel_hi:[1,1,0] neg_lo:[0,0,1] neg_hi:[0,0,1]
	v_pk_fma_f32 v[134:135], v[136:137], v[124:125], v[134:135] op_sel:[0,0,1] op_sel_hi:[1,0,0]
	s_delay_alu instid0(VALU_DEP_1)
	v_mov_b32_e32 v139, v135
	ds_load_2addr_b64 v[134:137], v128 offset0:47 offset1:48
	v_pk_add_f32 v[108:109], v[108:109], v[140:141] neg_lo:[0,1] neg_hi:[0,1]
	v_pk_add_f32 v[82:83], v[82:83], v[138:139] neg_lo:[0,1] neg_hi:[0,1]
	s_wait_dscnt 0x0
	v_pk_mul_f32 v[138:139], v[134:135], v[126:127] op_sel:[0,1]
	s_delay_alu instid0(VALU_DEP_1) | instskip(SKIP_1) | instid1(VALU_DEP_1)
	v_pk_fma_f32 v[140:141], v[134:135], v[124:125], v[138:139] op_sel:[0,0,1] op_sel_hi:[1,1,0] neg_lo:[0,0,1] neg_hi:[0,0,1]
	v_pk_fma_f32 v[134:135], v[134:135], v[124:125], v[138:139] op_sel:[0,0,1] op_sel_hi:[1,0,0]
	v_mov_b32_e32 v141, v135
	v_pk_mul_f32 v[134:135], v[136:137], v[126:127] op_sel:[0,1]
	s_delay_alu instid0(VALU_DEP_1) | instskip(SKIP_1) | instid1(VALU_DEP_1)
	v_pk_fma_f32 v[138:139], v[136:137], v[124:125], v[134:135] op_sel:[0,0,1] op_sel_hi:[1,1,0] neg_lo:[0,0,1] neg_hi:[0,0,1]
	v_pk_fma_f32 v[134:135], v[136:137], v[124:125], v[134:135] op_sel:[0,0,1] op_sel_hi:[1,0,0]
	v_mov_b32_e32 v139, v135
	ds_load_2addr_b64 v[134:137], v128 offset0:49 offset1:50
	v_pk_add_f32 v[80:81], v[80:81], v[140:141] neg_lo:[0,1] neg_hi:[0,1]
	v_pk_add_f32 v[120:121], v[120:121], v[138:139] neg_lo:[0,1] neg_hi:[0,1]
	s_wait_dscnt 0x0
	v_dual_mul_f32 v138, v135, v127 :: v_dual_mul_f32 v140, v135, v124
	s_delay_alu instid0(VALU_DEP_1) | instskip(NEXT) | instid1(VALU_DEP_2)
	v_pk_fma_f32 v[138:139], v[134:135], v[116:117], v[138:139] op_sel_hi:[1,1,0] neg_lo:[0,0,1] neg_hi:[0,0,1]
	v_pk_fma_f32 v[134:135], v[134:135], v[116:117], v[140:141] op_sel:[1,0,0] op_sel_hi:[0,1,0]
	s_delay_alu instid0(VALU_DEP_1) | instskip(SKIP_1) | instid1(VALU_DEP_2)
	v_mov_b32_e32 v139, v135
	v_pk_mul_f32 v[134:135], v[136:137], v[126:127] op_sel:[0,1]
	v_pk_add_f32 v[118:119], v[118:119], v[138:139] neg_lo:[0,1] neg_hi:[0,1]
	s_delay_alu instid0(VALU_DEP_2) | instskip(SKIP_1) | instid1(VALU_DEP_1)
	v_pk_fma_f32 v[138:139], v[136:137], v[124:125], v[134:135] op_sel:[0,0,1] op_sel_hi:[1,1,0] neg_lo:[0,0,1] neg_hi:[0,0,1]
	v_pk_fma_f32 v[134:135], v[136:137], v[124:125], v[134:135] op_sel:[0,0,1] op_sel_hi:[1,0,0]
	v_mov_b32_e32 v139, v135
	ds_load_2addr_b64 v[134:137], v128 offset0:51 offset1:52
	v_pk_add_f32 v[94:95], v[94:95], v[138:139] neg_lo:[0,1] neg_hi:[0,1]
	s_wait_dscnt 0x0
	v_pk_mul_f32 v[138:139], v[134:135], v[126:127] op_sel:[0,1]
	s_delay_alu instid0(VALU_DEP_1) | instskip(SKIP_1) | instid1(VALU_DEP_1)
	v_pk_fma_f32 v[140:141], v[134:135], v[124:125], v[138:139] op_sel:[0,0,1] op_sel_hi:[1,1,0] neg_lo:[0,0,1] neg_hi:[0,0,1]
	v_pk_fma_f32 v[134:135], v[134:135], v[124:125], v[138:139] op_sel:[0,0,1] op_sel_hi:[1,0,0]
	v_mov_b32_e32 v141, v135
	v_pk_mul_f32 v[134:135], v[136:137], v[126:127] op_sel:[0,1]
	s_delay_alu instid0(VALU_DEP_2) | instskip(NEXT) | instid1(VALU_DEP_2)
	v_pk_add_f32 v[96:97], v[96:97], v[140:141] neg_lo:[0,1] neg_hi:[0,1]
	v_pk_fma_f32 v[138:139], v[136:137], v[124:125], v[134:135] op_sel:[0,0,1] op_sel_hi:[1,1,0] neg_lo:[0,0,1] neg_hi:[0,0,1]
	v_pk_fma_f32 v[134:135], v[136:137], v[124:125], v[134:135] op_sel:[0,0,1] op_sel_hi:[1,0,0]
	s_delay_alu instid0(VALU_DEP_1) | instskip(SKIP_4) | instid1(VALU_DEP_1)
	v_mov_b32_e32 v139, v135
	ds_load_2addr_b64 v[134:137], v128 offset0:53 offset1:54
	v_pk_add_f32 v[114:115], v[114:115], v[138:139] neg_lo:[0,1] neg_hi:[0,1]
	s_wait_dscnt 0x0
	v_pk_mul_f32 v[138:139], v[134:135], v[126:127] op_sel:[0,1]
	v_pk_fma_f32 v[140:141], v[134:135], v[124:125], v[138:139] op_sel:[0,0,1] op_sel_hi:[1,1,0] neg_lo:[0,0,1] neg_hi:[0,0,1]
	v_pk_fma_f32 v[134:135], v[134:135], v[124:125], v[138:139] op_sel:[0,0,1] op_sel_hi:[1,0,0]
	v_dual_mul_f32 v138, v137, v127 :: v_dual_mov_b32 v134, v137
	s_delay_alu instid0(VALU_DEP_2) | instskip(NEXT) | instid1(VALU_DEP_2)
	v_dual_mov_b32 v141, v135 :: v_dual_mov_b32 v135, v136
	v_pk_fma_f32 v[138:139], v[136:137], v[116:117], v[138:139] op_sel_hi:[1,1,0] neg_lo:[0,0,1] neg_hi:[0,0,1]
	v_mul_f32_e32 v136, v137, v124
	s_delay_alu instid0(VALU_DEP_3) | instskip(NEXT) | instid1(VALU_DEP_2)
	v_pk_add_f32 v[112:113], v[112:113], v[140:141] neg_lo:[0,1] neg_hi:[0,1]
	v_pk_fma_f32 v[134:135], v[134:135], v[116:117], v[136:137] op_sel_hi:[1,1,0]
	s_delay_alu instid0(VALU_DEP_1) | instskip(SKIP_4) | instid1(VALU_DEP_1)
	v_mov_b32_e32 v139, v135
	ds_load_2addr_b64 v[134:137], v128 offset0:55 offset1:56
	v_pk_add_f32 v[92:93], v[92:93], v[138:139] neg_lo:[0,1] neg_hi:[0,1]
	s_wait_dscnt 0x0
	v_pk_mul_f32 v[138:139], v[134:135], v[126:127] op_sel:[0,1]
	v_pk_fma_f32 v[140:141], v[134:135], v[124:125], v[138:139] op_sel:[0,0,1] op_sel_hi:[1,1,0] neg_lo:[0,0,1] neg_hi:[0,0,1]
	v_pk_fma_f32 v[134:135], v[134:135], v[124:125], v[138:139] op_sel:[0,0,1] op_sel_hi:[1,0,0]
	s_delay_alu instid0(VALU_DEP_1) | instskip(SKIP_1) | instid1(VALU_DEP_1)
	v_mov_b32_e32 v141, v135
	v_pk_mul_f32 v[134:135], v[136:137], v[126:127] op_sel:[0,1]
	v_pk_fma_f32 v[138:139], v[136:137], v[124:125], v[134:135] op_sel:[0,0,1] op_sel_hi:[1,1,0] neg_lo:[0,0,1] neg_hi:[0,0,1]
	v_pk_fma_f32 v[134:135], v[136:137], v[124:125], v[134:135] op_sel:[0,0,1] op_sel_hi:[1,0,0]
	s_delay_alu instid0(VALU_DEP_1)
	v_mov_b32_e32 v139, v135
	ds_load_2addr_b64 v[134:137], v128 offset0:57 offset1:58
	v_pk_add_f32 v[90:91], v[90:91], v[140:141] neg_lo:[0,1] neg_hi:[0,1]
	v_pk_add_f32 v[104:105], v[104:105], v[138:139] neg_lo:[0,1] neg_hi:[0,1]
	s_wait_dscnt 0x0
	v_pk_mul_f32 v[138:139], v[134:135], v[126:127] op_sel:[0,1]
	v_pk_mul_f32 v[126:127], v[136:137], v[126:127] op_sel:[0,1]
	s_delay_alu instid0(VALU_DEP_2) | instskip(SKIP_1) | instid1(VALU_DEP_1)
	v_pk_fma_f32 v[140:141], v[134:135], v[124:125], v[138:139] op_sel:[0,0,1] op_sel_hi:[1,1,0] neg_lo:[0,0,1] neg_hi:[0,0,1]
	v_pk_fma_f32 v[134:135], v[134:135], v[124:125], v[138:139] op_sel:[0,0,1] op_sel_hi:[1,0,0]
	v_mov_b32_e32 v141, v135
	s_delay_alu instid0(VALU_DEP_4) | instskip(SKIP_1) | instid1(VALU_DEP_1)
	v_pk_fma_f32 v[134:135], v[136:137], v[124:125], v[126:127] op_sel:[0,0,1] op_sel_hi:[1,1,0] neg_lo:[0,0,1] neg_hi:[0,0,1]
	v_pk_fma_f32 v[124:125], v[136:137], v[124:125], v[126:127] op_sel:[0,0,1] op_sel_hi:[1,0,0]
	v_mov_b32_e32 v135, v125
	s_delay_alu instid0(VALU_DEP_4) | instskip(NEXT) | instid1(VALU_DEP_2)
	v_pk_add_f32 v[98:99], v[98:99], v[140:141] neg_lo:[0,1] neg_hi:[0,1]
	v_pk_add_f32 v[122:123], v[122:123], v[134:135] neg_lo:[0,1] neg_hi:[0,1]
.LBB116_22:
	s_or_b32 exec_lo, exec_lo, s0
	v_lshl_add_u32 v124, v132, 3, v128
	s_barrier_signal -1
	s_barrier_wait -1
	ds_store_b64 v124, v[106:107]
	s_wait_dscnt 0x0
	s_barrier_signal -1
	s_barrier_wait -1
	ds_load_b64 v[126:127], v128 offset:8
	v_mov_b32_e32 v124, 1
	s_cmp_lt_i32 s18, 3
	s_cbranch_scc1 .LBB116_25
; %bb.23:
	v_add3_u32 v125, v129, 0, 16
	v_mov_b32_e32 v124, 1
	s_mov_b32 s0, 2
.LBB116_24:                             ; =>This Inner Loop Header: Depth=1
	ds_load_b64 v[134:135], v125
	s_wait_dscnt 0x1
	v_cmp_gt_f32_e32 vcc_lo, 0, v126
	v_cndmask_b32_e64 v136, v126, -v126, vcc_lo
	v_cmp_gt_f32_e32 vcc_lo, 0, v127
	v_cndmask_b32_e64 v138, v127, -v127, vcc_lo
	s_wait_dscnt 0x0
	v_cmp_gt_f32_e32 vcc_lo, 0, v134
	v_cndmask_b32_e64 v137, v134, -v134, vcc_lo
	v_cmp_gt_f32_e32 vcc_lo, 0, v135
	v_cndmask_b32_e64 v139, v135, -v135, vcc_lo
	s_delay_alu instid0(VALU_DEP_1) | instskip(NEXT) | instid1(VALU_DEP_1)
	v_pk_add_f32 v[136:137], v[136:137], v[138:139]
	v_cmp_lt_f32_e32 vcc_lo, v136, v137
	v_dual_add_nc_u32 v125, 8, v125 :: v_dual_cndmask_b32 v127, v127, v135, vcc_lo
	v_cndmask_b32_e32 v126, v126, v134, vcc_lo
	v_cndmask_b32_e64 v124, v124, s0, vcc_lo
	s_add_co_i32 s0, s0, 1
	s_delay_alu instid0(SALU_CYCLE_1)
	s_cmp_lg_u32 s18, s0
	s_cbranch_scc1 .LBB116_24
.LBB116_25:
	s_wait_dscnt 0x0
	v_cmp_neq_f32_e32 vcc_lo, 0, v126
	v_cmp_neq_f32_e64 s0, 0, v127
	s_or_b32 s1, vcc_lo, s0
	s_delay_alu instid0(SALU_CYCLE_1)
	s_and_saveexec_b32 s0, s1
	s_cbranch_execz .LBB116_31
; %bb.26:
	v_cmp_ngt_f32_e64 s1, |v126|, |v127|
	s_and_saveexec_b32 s12, s1
	s_delay_alu instid0(SALU_CYCLE_1)
	s_xor_b32 s1, exec_lo, s12
	s_cbranch_execz .LBB116_28
; %bb.27:
	v_div_scale_f32 v125, null, v127, v127, v126
	v_div_scale_f32 v135, vcc_lo, v126, v127, v126
	s_delay_alu instid0(VALU_DEP_2) | instskip(SKIP_1) | instid1(TRANS32_DEP_1)
	v_rcp_f32_e32 v130, v125
	v_nop
	v_fma_f32 v134, -v125, v130, 1.0
	s_delay_alu instid0(VALU_DEP_1) | instskip(NEXT) | instid1(VALU_DEP_1)
	v_fmac_f32_e32 v130, v134, v130
	v_mul_f32_e32 v134, v135, v130
	s_delay_alu instid0(VALU_DEP_1) | instskip(NEXT) | instid1(VALU_DEP_1)
	v_fma_f32 v136, -v125, v134, v135
	v_fmac_f32_e32 v134, v136, v130
	s_delay_alu instid0(VALU_DEP_1) | instskip(NEXT) | instid1(VALU_DEP_1)
	v_fma_f32 v125, -v125, v134, v135
	v_div_fmas_f32 v125, v125, v130, v134
	s_delay_alu instid0(VALU_DEP_1) | instskip(NEXT) | instid1(VALU_DEP_1)
	v_div_fixup_f32 v125, v125, v127, v126
	v_fmac_f32_e32 v127, v126, v125
	s_delay_alu instid0(VALU_DEP_1) | instskip(SKIP_1) | instid1(VALU_DEP_2)
	v_div_scale_f32 v126, null, v127, v127, 1.0
	v_div_scale_f32 v135, vcc_lo, 1.0, v127, 1.0
	v_rcp_f32_e32 v130, v126
	v_nop
	s_delay_alu instid0(TRANS32_DEP_1) | instskip(NEXT) | instid1(VALU_DEP_1)
	v_fma_f32 v134, -v126, v130, 1.0
	v_fmac_f32_e32 v130, v134, v130
	s_delay_alu instid0(VALU_DEP_1) | instskip(NEXT) | instid1(VALU_DEP_1)
	v_mul_f32_e32 v134, v135, v130
	v_fma_f32 v136, -v126, v134, v135
	s_delay_alu instid0(VALU_DEP_1) | instskip(NEXT) | instid1(VALU_DEP_1)
	v_fmac_f32_e32 v134, v136, v130
	v_fma_f32 v126, -v126, v134, v135
	s_delay_alu instid0(VALU_DEP_1) | instskip(NEXT) | instid1(VALU_DEP_1)
	v_div_fmas_f32 v126, v126, v130, v134
	v_div_fixup_f32 v127, v126, v127, 1.0
	s_delay_alu instid0(VALU_DEP_1)
	v_mul_f32_e32 v126, v125, v127
	v_xor_b32_e32 v127, 0x80000000, v127
.LBB116_28:
	s_and_not1_saveexec_b32 s1, s1
	s_cbranch_execz .LBB116_30
; %bb.29:
	s_delay_alu instid0(VALU_DEP_1) | instskip(SKIP_1) | instid1(VALU_DEP_2)
	v_div_scale_f32 v125, null, v126, v126, v127
	v_div_scale_f32 v135, vcc_lo, v127, v126, v127
	v_rcp_f32_e32 v130, v125
	v_nop
	s_delay_alu instid0(TRANS32_DEP_1) | instskip(NEXT) | instid1(VALU_DEP_1)
	v_fma_f32 v134, -v125, v130, 1.0
	v_fmac_f32_e32 v130, v134, v130
	s_delay_alu instid0(VALU_DEP_1) | instskip(NEXT) | instid1(VALU_DEP_1)
	v_mul_f32_e32 v134, v135, v130
	v_fma_f32 v136, -v125, v134, v135
	s_delay_alu instid0(VALU_DEP_1) | instskip(NEXT) | instid1(VALU_DEP_1)
	v_fmac_f32_e32 v134, v136, v130
	v_fma_f32 v125, -v125, v134, v135
	s_delay_alu instid0(VALU_DEP_1) | instskip(NEXT) | instid1(VALU_DEP_1)
	v_div_fmas_f32 v125, v125, v130, v134
	v_div_fixup_f32 v125, v125, v126, v127
	s_delay_alu instid0(VALU_DEP_1) | instskip(NEXT) | instid1(VALU_DEP_1)
	v_fmac_f32_e32 v126, v127, v125
	v_div_scale_f32 v127, null, v126, v126, 1.0
	s_delay_alu instid0(VALU_DEP_1) | instskip(SKIP_1) | instid1(TRANS32_DEP_1)
	v_rcp_f32_e32 v130, v127
	v_nop
	v_fma_f32 v134, -v127, v130, 1.0
	s_delay_alu instid0(VALU_DEP_1) | instskip(SKIP_1) | instid1(VALU_DEP_1)
	v_fmac_f32_e32 v130, v134, v130
	v_div_scale_f32 v134, vcc_lo, 1.0, v126, 1.0
	v_mul_f32_e32 v135, v134, v130
	s_delay_alu instid0(VALU_DEP_1) | instskip(NEXT) | instid1(VALU_DEP_1)
	v_fma_f32 v136, -v127, v135, v134
	v_fmac_f32_e32 v135, v136, v130
	s_delay_alu instid0(VALU_DEP_1) | instskip(NEXT) | instid1(VALU_DEP_1)
	v_fma_f32 v127, -v127, v135, v134
	v_div_fmas_f32 v127, v127, v130, v135
	s_delay_alu instid0(VALU_DEP_1) | instskip(NEXT) | instid1(VALU_DEP_1)
	v_div_fixup_f32 v126, v127, v126, 1.0
	v_mul_f32_e64 v127, v125, -v126
.LBB116_30:
	s_or_b32 exec_lo, exec_lo, s1
	v_mov_b32_e32 v130, v133
.LBB116_31:
	s_or_b32 exec_lo, exec_lo, s0
	s_delay_alu instid0(SALU_CYCLE_1)
	s_mov_b32 s0, exec_lo
	v_cmpx_ne_u32_e64 v132, v124
	s_xor_b32 s0, exec_lo, s0
	s_cbranch_execz .LBB116_37
; %bb.32:
	s_mov_b32 s1, exec_lo
	v_cmpx_eq_u32_e32 1, v132
	s_cbranch_execz .LBB116_36
; %bb.33:
	v_cmp_ne_u32_e32 vcc_lo, 1, v124
	s_xor_b32 s12, s16, -1
	s_delay_alu instid0(SALU_CYCLE_1) | instskip(NEXT) | instid1(SALU_CYCLE_1)
	s_and_b32 s13, s12, vcc_lo
	s_and_saveexec_b32 s12, s13
	s_cbranch_execz .LBB116_35
; %bb.34:
	v_ashrrev_i32_e32 v125, 31, v124
	s_delay_alu instid0(VALU_DEP_1)
	v_lshl_add_u64 v[132:133], v[124:125], 2, v[4:5]
	s_clause 0x1
	global_load_b32 v125, v[132:133], off
	global_load_b32 v131, v[4:5], off offset:4
	s_wait_loadcnt 0x1
	global_store_b32 v[4:5], v125, off offset:4
	s_wait_loadcnt 0x0
	global_store_b32 v[132:133], v131, off
.LBB116_35:
	s_wait_xcnt 0x0
	s_or_b32 exec_lo, exec_lo, s12
	v_dual_mov_b32 v132, v124 :: v_dual_mov_b32 v131, v124
.LBB116_36:
	s_or_b32 exec_lo, exec_lo, s1
.LBB116_37:
	s_and_not1_saveexec_b32 s0, s0
	s_cbranch_execz .LBB116_39
; %bb.38:
	v_dual_mov_b32 v124, v84 :: v_dual_mov_b32 v125, v85
	v_dual_mov_b32 v132, v74 :: v_dual_mov_b32 v133, v75
	ds_store_2addr_b64 v128, v[124:125], v[132:133] offset0:2 offset1:3
	v_dual_mov_b32 v124, v40 :: v_dual_mov_b32 v125, v41
	v_dual_mov_b32 v132, v30 :: v_dual_mov_b32 v133, v31
	ds_store_2addr_b64 v128, v[124:125], v[132:133] offset0:4 offset1:5
	;; [unrolled: 3-line block ×28, first 2 shown]
	ds_store_b64 v128, v[122:123] offset:464
	v_mov_b32_e32 v132, 1
.LBB116_39:
	s_or_b32 exec_lo, exec_lo, s0
	s_delay_alu instid0(SALU_CYCLE_1)
	s_mov_b32 s0, exec_lo
	s_wait_storecnt_dscnt 0x0
	s_barrier_signal -1
	s_barrier_wait -1
	v_cmpx_lt_i32_e32 1, v132
	s_cbranch_execz .LBB116_41
; %bb.40:
	v_pk_mul_f32 v[134:135], v[126:127], v[106:107] op_sel:[1,1] op_sel_hi:[0,1]
	s_delay_alu instid0(VALU_DEP_1)
	v_pk_fma_f32 v[124:125], v[126:127], v[106:107], v[134:135] op_sel_hi:[1,0,1] neg_lo:[0,0,1] neg_hi:[0,0,1]
	v_pk_fma_f32 v[126:127], v[126:127], v[106:107], v[134:135] op_sel_hi:[1,0,1]
	ds_load_2addr_b64 v[134:137], v128 offset0:2 offset1:3
	v_dual_mov_b32 v106, v124 :: v_dual_mov_b32 v107, v127
	s_wait_dscnt 0x0
	v_pk_mul_f32 v[138:139], v[134:135], v[126:127] op_sel:[0,1]
	s_delay_alu instid0(VALU_DEP_1) | instskip(SKIP_1) | instid1(VALU_DEP_1)
	v_pk_fma_f32 v[140:141], v[134:135], v[124:125], v[138:139] op_sel:[0,0,1] op_sel_hi:[1,1,0] neg_lo:[0,0,1] neg_hi:[0,0,1]
	v_pk_fma_f32 v[134:135], v[134:135], v[124:125], v[138:139] op_sel:[0,0,1] op_sel_hi:[1,0,0]
	v_mov_b32_e32 v141, v135
	v_pk_mul_f32 v[134:135], v[136:137], v[126:127] op_sel:[0,1]
	s_delay_alu instid0(VALU_DEP_1) | instskip(SKIP_1) | instid1(VALU_DEP_1)
	v_pk_fma_f32 v[138:139], v[136:137], v[124:125], v[134:135] op_sel:[0,0,1] op_sel_hi:[1,1,0] neg_lo:[0,0,1] neg_hi:[0,0,1]
	v_pk_fma_f32 v[134:135], v[136:137], v[124:125], v[134:135] op_sel:[0,0,1] op_sel_hi:[1,0,0]
	v_mov_b32_e32 v139, v135
	ds_load_2addr_b64 v[134:137], v128 offset0:4 offset1:5
	v_pk_add_f32 v[84:85], v[84:85], v[140:141] neg_lo:[0,1] neg_hi:[0,1]
	v_pk_add_f32 v[74:75], v[74:75], v[138:139] neg_lo:[0,1] neg_hi:[0,1]
	s_wait_dscnt 0x0
	v_pk_mul_f32 v[138:139], v[134:135], v[126:127] op_sel:[0,1]
	s_delay_alu instid0(VALU_DEP_1) | instskip(SKIP_2) | instid1(VALU_DEP_2)
	v_pk_fma_f32 v[140:141], v[134:135], v[124:125], v[138:139] op_sel:[0,0,1] op_sel_hi:[1,1,0] neg_lo:[0,0,1] neg_hi:[0,0,1]
	v_pk_fma_f32 v[134:135], v[134:135], v[124:125], v[138:139] op_sel:[0,0,1] op_sel_hi:[1,0,0]
	v_dual_mul_f32 v138, v137, v127 :: v_dual_mov_b32 v134, v137
	v_dual_mov_b32 v141, v135 :: v_dual_mov_b32 v135, v136
	s_delay_alu instid0(VALU_DEP_2) | instskip(SKIP_1) | instid1(VALU_DEP_3)
	v_pk_fma_f32 v[138:139], v[136:137], v[106:107], v[138:139] op_sel_hi:[1,1,0] neg_lo:[0,0,1] neg_hi:[0,0,1]
	v_mul_f32_e32 v136, v137, v124
	v_pk_add_f32 v[40:41], v[40:41], v[140:141] neg_lo:[0,1] neg_hi:[0,1]
	s_delay_alu instid0(VALU_DEP_2) | instskip(NEXT) | instid1(VALU_DEP_1)
	v_pk_fma_f32 v[134:135], v[134:135], v[106:107], v[136:137] op_sel_hi:[1,1,0]
	v_mov_b32_e32 v139, v135
	ds_load_2addr_b64 v[134:137], v128 offset0:6 offset1:7
	v_pk_add_f32 v[30:31], v[30:31], v[138:139] neg_lo:[0,1] neg_hi:[0,1]
	s_wait_dscnt 0x0
	v_pk_mul_f32 v[138:139], v[134:135], v[126:127] op_sel:[0,1]
	s_delay_alu instid0(VALU_DEP_1) | instskip(SKIP_1) | instid1(VALU_DEP_1)
	v_pk_fma_f32 v[140:141], v[134:135], v[124:125], v[138:139] op_sel:[0,0,1] op_sel_hi:[1,1,0] neg_lo:[0,0,1] neg_hi:[0,0,1]
	v_pk_fma_f32 v[134:135], v[134:135], v[124:125], v[138:139] op_sel:[0,0,1] op_sel_hi:[1,0,0]
	v_mov_b32_e32 v141, v135
	v_pk_mul_f32 v[134:135], v[136:137], v[126:127] op_sel:[0,1]
	s_delay_alu instid0(VALU_DEP_1) | instskip(SKIP_1) | instid1(VALU_DEP_1)
	v_pk_fma_f32 v[138:139], v[136:137], v[124:125], v[134:135] op_sel:[0,0,1] op_sel_hi:[1,1,0] neg_lo:[0,0,1] neg_hi:[0,0,1]
	v_pk_fma_f32 v[134:135], v[136:137], v[124:125], v[134:135] op_sel:[0,0,1] op_sel_hi:[1,0,0]
	v_mov_b32_e32 v139, v135
	ds_load_2addr_b64 v[134:137], v128 offset0:8 offset1:9
	v_pk_add_f32 v[16:17], v[16:17], v[140:141] neg_lo:[0,1] neg_hi:[0,1]
	v_pk_add_f32 v[10:11], v[10:11], v[138:139] neg_lo:[0,1] neg_hi:[0,1]
	s_wait_dscnt 0x0
	v_pk_mul_f32 v[138:139], v[134:135], v[126:127] op_sel:[0,1]
	s_delay_alu instid0(VALU_DEP_1) | instskip(SKIP_1) | instid1(VALU_DEP_1)
	v_pk_fma_f32 v[140:141], v[134:135], v[124:125], v[138:139] op_sel:[0,0,1] op_sel_hi:[1,1,0] neg_lo:[0,0,1] neg_hi:[0,0,1]
	v_pk_fma_f32 v[134:135], v[134:135], v[124:125], v[138:139] op_sel:[0,0,1] op_sel_hi:[1,0,0]
	v_mov_b32_e32 v141, v135
	v_pk_mul_f32 v[134:135], v[136:137], v[126:127] op_sel:[0,1]
	s_delay_alu instid0(VALU_DEP_1) | instskip(SKIP_1) | instid1(VALU_DEP_1)
	v_pk_fma_f32 v[138:139], v[136:137], v[124:125], v[134:135] op_sel:[0,0,1] op_sel_hi:[1,1,0] neg_lo:[0,0,1] neg_hi:[0,0,1]
	v_pk_fma_f32 v[134:135], v[136:137], v[124:125], v[134:135] op_sel:[0,0,1] op_sel_hi:[1,0,0]
	v_mov_b32_e32 v139, v135
	ds_load_2addr_b64 v[134:137], v128 offset0:10 offset1:11
	v_pk_add_f32 v[24:25], v[24:25], v[140:141] neg_lo:[0,1] neg_hi:[0,1]
	v_pk_add_f32 v[22:23], v[22:23], v[138:139] neg_lo:[0,1] neg_hi:[0,1]
	s_wait_dscnt 0x0
	v_dual_mul_f32 v138, v135, v127 :: v_dual_mul_f32 v140, v135, v124
	s_delay_alu instid0(VALU_DEP_1) | instskip(NEXT) | instid1(VALU_DEP_2)
	v_pk_fma_f32 v[138:139], v[134:135], v[106:107], v[138:139] op_sel_hi:[1,1,0] neg_lo:[0,0,1] neg_hi:[0,0,1]
	v_pk_fma_f32 v[134:135], v[134:135], v[106:107], v[140:141] op_sel:[1,0,0] op_sel_hi:[0,1,0]
	s_delay_alu instid0(VALU_DEP_1) | instskip(SKIP_1) | instid1(VALU_DEP_2)
	v_mov_b32_e32 v139, v135
	v_pk_mul_f32 v[134:135], v[136:137], v[126:127] op_sel:[0,1]
	v_pk_add_f32 v[8:9], v[8:9], v[138:139] neg_lo:[0,1] neg_hi:[0,1]
	s_delay_alu instid0(VALU_DEP_2) | instskip(SKIP_1) | instid1(VALU_DEP_1)
	v_pk_fma_f32 v[138:139], v[136:137], v[124:125], v[134:135] op_sel:[0,0,1] op_sel_hi:[1,1,0] neg_lo:[0,0,1] neg_hi:[0,0,1]
	v_pk_fma_f32 v[134:135], v[136:137], v[124:125], v[134:135] op_sel:[0,0,1] op_sel_hi:[1,0,0]
	v_mov_b32_e32 v139, v135
	ds_load_2addr_b64 v[134:137], v128 offset0:12 offset1:13
	v_pk_add_f32 v[6:7], v[6:7], v[138:139] neg_lo:[0,1] neg_hi:[0,1]
	s_wait_dscnt 0x0
	v_pk_mul_f32 v[138:139], v[134:135], v[126:127] op_sel:[0,1]
	s_delay_alu instid0(VALU_DEP_1) | instskip(SKIP_1) | instid1(VALU_DEP_1)
	v_pk_fma_f32 v[140:141], v[134:135], v[124:125], v[138:139] op_sel:[0,0,1] op_sel_hi:[1,1,0] neg_lo:[0,0,1] neg_hi:[0,0,1]
	v_pk_fma_f32 v[134:135], v[134:135], v[124:125], v[138:139] op_sel:[0,0,1] op_sel_hi:[1,0,0]
	v_mov_b32_e32 v141, v135
	v_pk_mul_f32 v[134:135], v[136:137], v[126:127] op_sel:[0,1]
	s_delay_alu instid0(VALU_DEP_2) | instskip(NEXT) | instid1(VALU_DEP_2)
	v_pk_add_f32 v[34:35], v[34:35], v[140:141] neg_lo:[0,1] neg_hi:[0,1]
	v_pk_fma_f32 v[138:139], v[136:137], v[124:125], v[134:135] op_sel:[0,0,1] op_sel_hi:[1,1,0] neg_lo:[0,0,1] neg_hi:[0,0,1]
	v_pk_fma_f32 v[134:135], v[136:137], v[124:125], v[134:135] op_sel:[0,0,1] op_sel_hi:[1,0,0]
	s_delay_alu instid0(VALU_DEP_1) | instskip(SKIP_4) | instid1(VALU_DEP_1)
	v_mov_b32_e32 v139, v135
	ds_load_2addr_b64 v[134:137], v128 offset0:14 offset1:15
	v_pk_add_f32 v[32:33], v[32:33], v[138:139] neg_lo:[0,1] neg_hi:[0,1]
	s_wait_dscnt 0x0
	v_pk_mul_f32 v[138:139], v[134:135], v[126:127] op_sel:[0,1]
	v_pk_fma_f32 v[140:141], v[134:135], v[124:125], v[138:139] op_sel:[0,0,1] op_sel_hi:[1,1,0] neg_lo:[0,0,1] neg_hi:[0,0,1]
	v_pk_fma_f32 v[134:135], v[134:135], v[124:125], v[138:139] op_sel:[0,0,1] op_sel_hi:[1,0,0]
	v_dual_mul_f32 v138, v137, v127 :: v_dual_mov_b32 v134, v137
	s_delay_alu instid0(VALU_DEP_2) | instskip(NEXT) | instid1(VALU_DEP_2)
	v_dual_mov_b32 v141, v135 :: v_dual_mov_b32 v135, v136
	v_pk_fma_f32 v[138:139], v[136:137], v[106:107], v[138:139] op_sel_hi:[1,1,0] neg_lo:[0,0,1] neg_hi:[0,0,1]
	v_mul_f32_e32 v136, v137, v124
	s_delay_alu instid0(VALU_DEP_3) | instskip(NEXT) | instid1(VALU_DEP_2)
	v_pk_add_f32 v[14:15], v[14:15], v[140:141] neg_lo:[0,1] neg_hi:[0,1]
	v_pk_fma_f32 v[134:135], v[134:135], v[106:107], v[136:137] op_sel_hi:[1,1,0]
	s_delay_alu instid0(VALU_DEP_1) | instskip(SKIP_4) | instid1(VALU_DEP_1)
	v_mov_b32_e32 v139, v135
	ds_load_2addr_b64 v[134:137], v128 offset0:16 offset1:17
	v_pk_add_f32 v[12:13], v[12:13], v[138:139] neg_lo:[0,1] neg_hi:[0,1]
	s_wait_dscnt 0x0
	v_pk_mul_f32 v[138:139], v[134:135], v[126:127] op_sel:[0,1]
	v_pk_fma_f32 v[140:141], v[134:135], v[124:125], v[138:139] op_sel:[0,0,1] op_sel_hi:[1,1,0] neg_lo:[0,0,1] neg_hi:[0,0,1]
	v_pk_fma_f32 v[134:135], v[134:135], v[124:125], v[138:139] op_sel:[0,0,1] op_sel_hi:[1,0,0]
	s_delay_alu instid0(VALU_DEP_1) | instskip(SKIP_1) | instid1(VALU_DEP_1)
	v_mov_b32_e32 v141, v135
	v_pk_mul_f32 v[134:135], v[136:137], v[126:127] op_sel:[0,1]
	v_pk_fma_f32 v[138:139], v[136:137], v[124:125], v[134:135] op_sel:[0,0,1] op_sel_hi:[1,1,0] neg_lo:[0,0,1] neg_hi:[0,0,1]
	v_pk_fma_f32 v[134:135], v[136:137], v[124:125], v[134:135] op_sel:[0,0,1] op_sel_hi:[1,0,0]
	s_delay_alu instid0(VALU_DEP_1)
	v_mov_b32_e32 v139, v135
	ds_load_2addr_b64 v[134:137], v128 offset0:18 offset1:19
	v_pk_add_f32 v[44:45], v[44:45], v[140:141] neg_lo:[0,1] neg_hi:[0,1]
	v_pk_add_f32 v[42:43], v[42:43], v[138:139] neg_lo:[0,1] neg_hi:[0,1]
	s_wait_dscnt 0x0
	v_pk_mul_f32 v[138:139], v[134:135], v[126:127] op_sel:[0,1]
	s_delay_alu instid0(VALU_DEP_1) | instskip(SKIP_1) | instid1(VALU_DEP_1)
	v_pk_fma_f32 v[140:141], v[134:135], v[124:125], v[138:139] op_sel:[0,0,1] op_sel_hi:[1,1,0] neg_lo:[0,0,1] neg_hi:[0,0,1]
	v_pk_fma_f32 v[134:135], v[134:135], v[124:125], v[138:139] op_sel:[0,0,1] op_sel_hi:[1,0,0]
	v_mov_b32_e32 v141, v135
	v_pk_mul_f32 v[134:135], v[136:137], v[126:127] op_sel:[0,1]
	s_delay_alu instid0(VALU_DEP_1) | instskip(SKIP_1) | instid1(VALU_DEP_1)
	v_pk_fma_f32 v[138:139], v[136:137], v[124:125], v[134:135] op_sel:[0,0,1] op_sel_hi:[1,1,0] neg_lo:[0,0,1] neg_hi:[0,0,1]
	v_pk_fma_f32 v[134:135], v[136:137], v[124:125], v[134:135] op_sel:[0,0,1] op_sel_hi:[1,0,0]
	v_mov_b32_e32 v139, v135
	ds_load_2addr_b64 v[134:137], v128 offset0:20 offset1:21
	v_pk_add_f32 v[20:21], v[20:21], v[140:141] neg_lo:[0,1] neg_hi:[0,1]
	v_pk_add_f32 v[18:19], v[18:19], v[138:139] neg_lo:[0,1] neg_hi:[0,1]
	s_wait_dscnt 0x0
	v_dual_mul_f32 v138, v135, v127 :: v_dual_mul_f32 v140, v135, v124
	s_delay_alu instid0(VALU_DEP_1) | instskip(NEXT) | instid1(VALU_DEP_2)
	v_pk_fma_f32 v[138:139], v[134:135], v[106:107], v[138:139] op_sel_hi:[1,1,0] neg_lo:[0,0,1] neg_hi:[0,0,1]
	v_pk_fma_f32 v[134:135], v[134:135], v[106:107], v[140:141] op_sel:[1,0,0] op_sel_hi:[0,1,0]
	s_delay_alu instid0(VALU_DEP_1) | instskip(SKIP_1) | instid1(VALU_DEP_2)
	v_mov_b32_e32 v139, v135
	v_pk_mul_f32 v[134:135], v[136:137], v[126:127] op_sel:[0,1]
	v_pk_add_f32 v[52:53], v[52:53], v[138:139] neg_lo:[0,1] neg_hi:[0,1]
	s_delay_alu instid0(VALU_DEP_2) | instskip(SKIP_1) | instid1(VALU_DEP_1)
	v_pk_fma_f32 v[138:139], v[136:137], v[124:125], v[134:135] op_sel:[0,0,1] op_sel_hi:[1,1,0] neg_lo:[0,0,1] neg_hi:[0,0,1]
	v_pk_fma_f32 v[134:135], v[136:137], v[124:125], v[134:135] op_sel:[0,0,1] op_sel_hi:[1,0,0]
	v_mov_b32_e32 v139, v135
	ds_load_2addr_b64 v[134:137], v128 offset0:22 offset1:23
	v_pk_add_f32 v[50:51], v[50:51], v[138:139] neg_lo:[0,1] neg_hi:[0,1]
	s_wait_dscnt 0x0
	v_pk_mul_f32 v[138:139], v[134:135], v[126:127] op_sel:[0,1]
	s_delay_alu instid0(VALU_DEP_1) | instskip(SKIP_1) | instid1(VALU_DEP_1)
	v_pk_fma_f32 v[140:141], v[134:135], v[124:125], v[138:139] op_sel:[0,0,1] op_sel_hi:[1,1,0] neg_lo:[0,0,1] neg_hi:[0,0,1]
	v_pk_fma_f32 v[134:135], v[134:135], v[124:125], v[138:139] op_sel:[0,0,1] op_sel_hi:[1,0,0]
	v_mov_b32_e32 v141, v135
	v_pk_mul_f32 v[134:135], v[136:137], v[126:127] op_sel:[0,1]
	s_delay_alu instid0(VALU_DEP_2) | instskip(NEXT) | instid1(VALU_DEP_2)
	v_pk_add_f32 v[28:29], v[28:29], v[140:141] neg_lo:[0,1] neg_hi:[0,1]
	v_pk_fma_f32 v[138:139], v[136:137], v[124:125], v[134:135] op_sel:[0,0,1] op_sel_hi:[1,1,0] neg_lo:[0,0,1] neg_hi:[0,0,1]
	v_pk_fma_f32 v[134:135], v[136:137], v[124:125], v[134:135] op_sel:[0,0,1] op_sel_hi:[1,0,0]
	s_delay_alu instid0(VALU_DEP_1) | instskip(SKIP_4) | instid1(VALU_DEP_1)
	v_mov_b32_e32 v139, v135
	ds_load_2addr_b64 v[134:137], v128 offset0:24 offset1:25
	v_pk_add_f32 v[26:27], v[26:27], v[138:139] neg_lo:[0,1] neg_hi:[0,1]
	s_wait_dscnt 0x0
	v_pk_mul_f32 v[138:139], v[134:135], v[126:127] op_sel:[0,1]
	v_pk_fma_f32 v[140:141], v[134:135], v[124:125], v[138:139] op_sel:[0,0,1] op_sel_hi:[1,1,0] neg_lo:[0,0,1] neg_hi:[0,0,1]
	v_pk_fma_f32 v[134:135], v[134:135], v[124:125], v[138:139] op_sel:[0,0,1] op_sel_hi:[1,0,0]
	v_dual_mul_f32 v138, v137, v127 :: v_dual_mov_b32 v134, v137
	s_delay_alu instid0(VALU_DEP_2) | instskip(NEXT) | instid1(VALU_DEP_2)
	v_dual_mov_b32 v141, v135 :: v_dual_mov_b32 v135, v136
	v_pk_fma_f32 v[138:139], v[136:137], v[106:107], v[138:139] op_sel_hi:[1,1,0] neg_lo:[0,0,1] neg_hi:[0,0,1]
	v_mul_f32_e32 v136, v137, v124
	s_delay_alu instid0(VALU_DEP_3) | instskip(NEXT) | instid1(VALU_DEP_2)
	v_pk_add_f32 v[60:61], v[60:61], v[140:141] neg_lo:[0,1] neg_hi:[0,1]
	v_pk_fma_f32 v[134:135], v[134:135], v[106:107], v[136:137] op_sel_hi:[1,1,0]
	s_delay_alu instid0(VALU_DEP_1) | instskip(SKIP_4) | instid1(VALU_DEP_1)
	v_mov_b32_e32 v139, v135
	ds_load_2addr_b64 v[134:137], v128 offset0:26 offset1:27
	v_pk_add_f32 v[58:59], v[58:59], v[138:139] neg_lo:[0,1] neg_hi:[0,1]
	s_wait_dscnt 0x0
	v_pk_mul_f32 v[138:139], v[134:135], v[126:127] op_sel:[0,1]
	v_pk_fma_f32 v[140:141], v[134:135], v[124:125], v[138:139] op_sel:[0,0,1] op_sel_hi:[1,1,0] neg_lo:[0,0,1] neg_hi:[0,0,1]
	v_pk_fma_f32 v[134:135], v[134:135], v[124:125], v[138:139] op_sel:[0,0,1] op_sel_hi:[1,0,0]
	s_delay_alu instid0(VALU_DEP_1) | instskip(SKIP_1) | instid1(VALU_DEP_1)
	v_mov_b32_e32 v141, v135
	v_pk_mul_f32 v[134:135], v[136:137], v[126:127] op_sel:[0,1]
	v_pk_fma_f32 v[138:139], v[136:137], v[124:125], v[134:135] op_sel:[0,0,1] op_sel_hi:[1,1,0] neg_lo:[0,0,1] neg_hi:[0,0,1]
	v_pk_fma_f32 v[134:135], v[136:137], v[124:125], v[134:135] op_sel:[0,0,1] op_sel_hi:[1,0,0]
	s_delay_alu instid0(VALU_DEP_1)
	v_mov_b32_e32 v139, v135
	ds_load_2addr_b64 v[134:137], v128 offset0:28 offset1:29
	v_pk_add_f32 v[38:39], v[38:39], v[140:141] neg_lo:[0,1] neg_hi:[0,1]
	v_pk_add_f32 v[36:37], v[36:37], v[138:139] neg_lo:[0,1] neg_hi:[0,1]
	s_wait_dscnt 0x0
	v_pk_mul_f32 v[138:139], v[134:135], v[126:127] op_sel:[0,1]
	s_delay_alu instid0(VALU_DEP_1) | instskip(SKIP_1) | instid1(VALU_DEP_1)
	v_pk_fma_f32 v[140:141], v[134:135], v[124:125], v[138:139] op_sel:[0,0,1] op_sel_hi:[1,1,0] neg_lo:[0,0,1] neg_hi:[0,0,1]
	v_pk_fma_f32 v[134:135], v[134:135], v[124:125], v[138:139] op_sel:[0,0,1] op_sel_hi:[1,0,0]
	v_mov_b32_e32 v141, v135
	v_pk_mul_f32 v[134:135], v[136:137], v[126:127] op_sel:[0,1]
	s_delay_alu instid0(VALU_DEP_1) | instskip(SKIP_1) | instid1(VALU_DEP_1)
	v_pk_fma_f32 v[138:139], v[136:137], v[124:125], v[134:135] op_sel:[0,0,1] op_sel_hi:[1,1,0] neg_lo:[0,0,1] neg_hi:[0,0,1]
	v_pk_fma_f32 v[134:135], v[136:137], v[124:125], v[134:135] op_sel:[0,0,1] op_sel_hi:[1,0,0]
	v_mov_b32_e32 v139, v135
	ds_load_2addr_b64 v[134:137], v128 offset0:30 offset1:31
	v_pk_add_f32 v[68:69], v[68:69], v[140:141] neg_lo:[0,1] neg_hi:[0,1]
	v_pk_add_f32 v[66:67], v[66:67], v[138:139] neg_lo:[0,1] neg_hi:[0,1]
	s_wait_dscnt 0x0
	v_dual_mul_f32 v138, v135, v127 :: v_dual_mul_f32 v140, v135, v124
	s_delay_alu instid0(VALU_DEP_1) | instskip(NEXT) | instid1(VALU_DEP_2)
	v_pk_fma_f32 v[138:139], v[134:135], v[106:107], v[138:139] op_sel_hi:[1,1,0] neg_lo:[0,0,1] neg_hi:[0,0,1]
	v_pk_fma_f32 v[134:135], v[134:135], v[106:107], v[140:141] op_sel:[1,0,0] op_sel_hi:[0,1,0]
	s_delay_alu instid0(VALU_DEP_1) | instskip(SKIP_1) | instid1(VALU_DEP_2)
	v_mov_b32_e32 v139, v135
	v_pk_mul_f32 v[134:135], v[136:137], v[126:127] op_sel:[0,1]
	v_pk_add_f32 v[48:49], v[48:49], v[138:139] neg_lo:[0,1] neg_hi:[0,1]
	s_delay_alu instid0(VALU_DEP_2) | instskip(SKIP_1) | instid1(VALU_DEP_1)
	v_pk_fma_f32 v[138:139], v[136:137], v[124:125], v[134:135] op_sel:[0,0,1] op_sel_hi:[1,1,0] neg_lo:[0,0,1] neg_hi:[0,0,1]
	v_pk_fma_f32 v[134:135], v[136:137], v[124:125], v[134:135] op_sel:[0,0,1] op_sel_hi:[1,0,0]
	v_mov_b32_e32 v139, v135
	ds_load_2addr_b64 v[134:137], v128 offset0:32 offset1:33
	v_pk_add_f32 v[46:47], v[46:47], v[138:139] neg_lo:[0,1] neg_hi:[0,1]
	s_wait_dscnt 0x0
	v_pk_mul_f32 v[138:139], v[134:135], v[126:127] op_sel:[0,1]
	s_delay_alu instid0(VALU_DEP_1) | instskip(SKIP_1) | instid1(VALU_DEP_1)
	v_pk_fma_f32 v[140:141], v[134:135], v[124:125], v[138:139] op_sel:[0,0,1] op_sel_hi:[1,1,0] neg_lo:[0,0,1] neg_hi:[0,0,1]
	v_pk_fma_f32 v[134:135], v[134:135], v[124:125], v[138:139] op_sel:[0,0,1] op_sel_hi:[1,0,0]
	v_mov_b32_e32 v141, v135
	v_pk_mul_f32 v[134:135], v[136:137], v[126:127] op_sel:[0,1]
	s_delay_alu instid0(VALU_DEP_2) | instskip(NEXT) | instid1(VALU_DEP_2)
	v_pk_add_f32 v[78:79], v[78:79], v[140:141] neg_lo:[0,1] neg_hi:[0,1]
	v_pk_fma_f32 v[138:139], v[136:137], v[124:125], v[134:135] op_sel:[0,0,1] op_sel_hi:[1,1,0] neg_lo:[0,0,1] neg_hi:[0,0,1]
	v_pk_fma_f32 v[134:135], v[136:137], v[124:125], v[134:135] op_sel:[0,0,1] op_sel_hi:[1,0,0]
	s_delay_alu instid0(VALU_DEP_1) | instskip(SKIP_4) | instid1(VALU_DEP_1)
	v_mov_b32_e32 v139, v135
	ds_load_2addr_b64 v[134:137], v128 offset0:34 offset1:35
	v_pk_add_f32 v[76:77], v[76:77], v[138:139] neg_lo:[0,1] neg_hi:[0,1]
	s_wait_dscnt 0x0
	v_pk_mul_f32 v[138:139], v[134:135], v[126:127] op_sel:[0,1]
	v_pk_fma_f32 v[140:141], v[134:135], v[124:125], v[138:139] op_sel:[0,0,1] op_sel_hi:[1,1,0] neg_lo:[0,0,1] neg_hi:[0,0,1]
	v_pk_fma_f32 v[134:135], v[134:135], v[124:125], v[138:139] op_sel:[0,0,1] op_sel_hi:[1,0,0]
	v_dual_mul_f32 v138, v137, v127 :: v_dual_mov_b32 v134, v137
	s_delay_alu instid0(VALU_DEP_2) | instskip(NEXT) | instid1(VALU_DEP_2)
	v_dual_mov_b32 v141, v135 :: v_dual_mov_b32 v135, v136
	v_pk_fma_f32 v[138:139], v[136:137], v[106:107], v[138:139] op_sel_hi:[1,1,0] neg_lo:[0,0,1] neg_hi:[0,0,1]
	v_mul_f32_e32 v136, v137, v124
	s_delay_alu instid0(VALU_DEP_3) | instskip(NEXT) | instid1(VALU_DEP_2)
	v_pk_add_f32 v[56:57], v[56:57], v[140:141] neg_lo:[0,1] neg_hi:[0,1]
	v_pk_fma_f32 v[134:135], v[134:135], v[106:107], v[136:137] op_sel_hi:[1,1,0]
	s_delay_alu instid0(VALU_DEP_1) | instskip(SKIP_4) | instid1(VALU_DEP_1)
	v_mov_b32_e32 v139, v135
	ds_load_2addr_b64 v[134:137], v128 offset0:36 offset1:37
	v_pk_add_f32 v[54:55], v[54:55], v[138:139] neg_lo:[0,1] neg_hi:[0,1]
	s_wait_dscnt 0x0
	v_pk_mul_f32 v[138:139], v[134:135], v[126:127] op_sel:[0,1]
	v_pk_fma_f32 v[140:141], v[134:135], v[124:125], v[138:139] op_sel:[0,0,1] op_sel_hi:[1,1,0] neg_lo:[0,0,1] neg_hi:[0,0,1]
	v_pk_fma_f32 v[134:135], v[134:135], v[124:125], v[138:139] op_sel:[0,0,1] op_sel_hi:[1,0,0]
	s_delay_alu instid0(VALU_DEP_1) | instskip(SKIP_1) | instid1(VALU_DEP_1)
	v_mov_b32_e32 v141, v135
	v_pk_mul_f32 v[134:135], v[136:137], v[126:127] op_sel:[0,1]
	v_pk_fma_f32 v[138:139], v[136:137], v[124:125], v[134:135] op_sel:[0,0,1] op_sel_hi:[1,1,0] neg_lo:[0,0,1] neg_hi:[0,0,1]
	v_pk_fma_f32 v[134:135], v[136:137], v[124:125], v[134:135] op_sel:[0,0,1] op_sel_hi:[1,0,0]
	s_delay_alu instid0(VALU_DEP_1)
	v_mov_b32_e32 v139, v135
	ds_load_2addr_b64 v[134:137], v128 offset0:38 offset1:39
	v_pk_add_f32 v[88:89], v[88:89], v[140:141] neg_lo:[0,1] neg_hi:[0,1]
	v_pk_add_f32 v[86:87], v[86:87], v[138:139] neg_lo:[0,1] neg_hi:[0,1]
	s_wait_dscnt 0x0
	v_pk_mul_f32 v[138:139], v[134:135], v[126:127] op_sel:[0,1]
	s_delay_alu instid0(VALU_DEP_1) | instskip(SKIP_1) | instid1(VALU_DEP_1)
	v_pk_fma_f32 v[140:141], v[134:135], v[124:125], v[138:139] op_sel:[0,0,1] op_sel_hi:[1,1,0] neg_lo:[0,0,1] neg_hi:[0,0,1]
	v_pk_fma_f32 v[134:135], v[134:135], v[124:125], v[138:139] op_sel:[0,0,1] op_sel_hi:[1,0,0]
	v_mov_b32_e32 v141, v135
	v_pk_mul_f32 v[134:135], v[136:137], v[126:127] op_sel:[0,1]
	s_delay_alu instid0(VALU_DEP_1) | instskip(SKIP_1) | instid1(VALU_DEP_1)
	v_pk_fma_f32 v[138:139], v[136:137], v[124:125], v[134:135] op_sel:[0,0,1] op_sel_hi:[1,1,0] neg_lo:[0,0,1] neg_hi:[0,0,1]
	v_pk_fma_f32 v[134:135], v[136:137], v[124:125], v[134:135] op_sel:[0,0,1] op_sel_hi:[1,0,0]
	v_mov_b32_e32 v139, v135
	ds_load_2addr_b64 v[134:137], v128 offset0:40 offset1:41
	v_pk_add_f32 v[64:65], v[64:65], v[140:141] neg_lo:[0,1] neg_hi:[0,1]
	v_pk_add_f32 v[62:63], v[62:63], v[138:139] neg_lo:[0,1] neg_hi:[0,1]
	s_wait_dscnt 0x0
	v_dual_mul_f32 v138, v135, v127 :: v_dual_mul_f32 v140, v135, v124
	s_delay_alu instid0(VALU_DEP_1) | instskip(NEXT) | instid1(VALU_DEP_2)
	v_pk_fma_f32 v[138:139], v[134:135], v[106:107], v[138:139] op_sel_hi:[1,1,0] neg_lo:[0,0,1] neg_hi:[0,0,1]
	v_pk_fma_f32 v[134:135], v[134:135], v[106:107], v[140:141] op_sel:[1,0,0] op_sel_hi:[0,1,0]
	s_delay_alu instid0(VALU_DEP_1) | instskip(SKIP_1) | instid1(VALU_DEP_2)
	v_mov_b32_e32 v139, v135
	v_pk_mul_f32 v[134:135], v[136:137], v[126:127] op_sel:[0,1]
	v_pk_add_f32 v[102:103], v[102:103], v[138:139] neg_lo:[0,1] neg_hi:[0,1]
	s_delay_alu instid0(VALU_DEP_2) | instskip(SKIP_1) | instid1(VALU_DEP_1)
	v_pk_fma_f32 v[138:139], v[136:137], v[124:125], v[134:135] op_sel:[0,0,1] op_sel_hi:[1,1,0] neg_lo:[0,0,1] neg_hi:[0,0,1]
	v_pk_fma_f32 v[134:135], v[136:137], v[124:125], v[134:135] op_sel:[0,0,1] op_sel_hi:[1,0,0]
	v_mov_b32_e32 v139, v135
	ds_load_2addr_b64 v[134:137], v128 offset0:42 offset1:43
	v_pk_add_f32 v[100:101], v[100:101], v[138:139] neg_lo:[0,1] neg_hi:[0,1]
	s_wait_dscnt 0x0
	v_pk_mul_f32 v[138:139], v[134:135], v[126:127] op_sel:[0,1]
	s_delay_alu instid0(VALU_DEP_1) | instskip(SKIP_1) | instid1(VALU_DEP_1)
	v_pk_fma_f32 v[140:141], v[134:135], v[124:125], v[138:139] op_sel:[0,0,1] op_sel_hi:[1,1,0] neg_lo:[0,0,1] neg_hi:[0,0,1]
	v_pk_fma_f32 v[134:135], v[134:135], v[124:125], v[138:139] op_sel:[0,0,1] op_sel_hi:[1,0,0]
	v_mov_b32_e32 v141, v135
	v_pk_mul_f32 v[134:135], v[136:137], v[126:127] op_sel:[0,1]
	s_delay_alu instid0(VALU_DEP_2) | instskip(NEXT) | instid1(VALU_DEP_2)
	v_pk_add_f32 v[72:73], v[72:73], v[140:141] neg_lo:[0,1] neg_hi:[0,1]
	v_pk_fma_f32 v[138:139], v[136:137], v[124:125], v[134:135] op_sel:[0,0,1] op_sel_hi:[1,1,0] neg_lo:[0,0,1] neg_hi:[0,0,1]
	v_pk_fma_f32 v[134:135], v[136:137], v[124:125], v[134:135] op_sel:[0,0,1] op_sel_hi:[1,0,0]
	s_delay_alu instid0(VALU_DEP_1) | instskip(SKIP_4) | instid1(VALU_DEP_1)
	v_mov_b32_e32 v139, v135
	ds_load_2addr_b64 v[134:137], v128 offset0:44 offset1:45
	v_pk_add_f32 v[70:71], v[70:71], v[138:139] neg_lo:[0,1] neg_hi:[0,1]
	s_wait_dscnt 0x0
	v_pk_mul_f32 v[138:139], v[134:135], v[126:127] op_sel:[0,1]
	v_pk_fma_f32 v[140:141], v[134:135], v[124:125], v[138:139] op_sel:[0,0,1] op_sel_hi:[1,1,0] neg_lo:[0,0,1] neg_hi:[0,0,1]
	v_pk_fma_f32 v[134:135], v[134:135], v[124:125], v[138:139] op_sel:[0,0,1] op_sel_hi:[1,0,0]
	v_dual_mul_f32 v138, v137, v127 :: v_dual_mov_b32 v134, v137
	s_delay_alu instid0(VALU_DEP_2) | instskip(NEXT) | instid1(VALU_DEP_2)
	v_dual_mov_b32 v141, v135 :: v_dual_mov_b32 v135, v136
	v_pk_fma_f32 v[138:139], v[136:137], v[106:107], v[138:139] op_sel_hi:[1,1,0] neg_lo:[0,0,1] neg_hi:[0,0,1]
	v_mul_f32_e32 v136, v137, v124
	s_delay_alu instid0(VALU_DEP_3) | instskip(NEXT) | instid1(VALU_DEP_2)
	v_pk_add_f32 v[110:111], v[110:111], v[140:141] neg_lo:[0,1] neg_hi:[0,1]
	v_pk_fma_f32 v[134:135], v[134:135], v[106:107], v[136:137] op_sel_hi:[1,1,0]
	s_delay_alu instid0(VALU_DEP_1) | instskip(SKIP_4) | instid1(VALU_DEP_1)
	v_mov_b32_e32 v139, v135
	ds_load_2addr_b64 v[134:137], v128 offset0:46 offset1:47
	v_pk_add_f32 v[108:109], v[108:109], v[138:139] neg_lo:[0,1] neg_hi:[0,1]
	s_wait_dscnt 0x0
	v_pk_mul_f32 v[138:139], v[134:135], v[126:127] op_sel:[0,1]
	v_pk_fma_f32 v[140:141], v[134:135], v[124:125], v[138:139] op_sel:[0,0,1] op_sel_hi:[1,1,0] neg_lo:[0,0,1] neg_hi:[0,0,1]
	v_pk_fma_f32 v[134:135], v[134:135], v[124:125], v[138:139] op_sel:[0,0,1] op_sel_hi:[1,0,0]
	s_delay_alu instid0(VALU_DEP_1) | instskip(SKIP_1) | instid1(VALU_DEP_1)
	v_mov_b32_e32 v141, v135
	v_pk_mul_f32 v[134:135], v[136:137], v[126:127] op_sel:[0,1]
	v_pk_fma_f32 v[138:139], v[136:137], v[124:125], v[134:135] op_sel:[0,0,1] op_sel_hi:[1,1,0] neg_lo:[0,0,1] neg_hi:[0,0,1]
	v_pk_fma_f32 v[134:135], v[136:137], v[124:125], v[134:135] op_sel:[0,0,1] op_sel_hi:[1,0,0]
	s_delay_alu instid0(VALU_DEP_1)
	v_mov_b32_e32 v139, v135
	ds_load_2addr_b64 v[134:137], v128 offset0:48 offset1:49
	v_pk_add_f32 v[82:83], v[82:83], v[140:141] neg_lo:[0,1] neg_hi:[0,1]
	v_pk_add_f32 v[80:81], v[80:81], v[138:139] neg_lo:[0,1] neg_hi:[0,1]
	s_wait_dscnt 0x0
	v_pk_mul_f32 v[138:139], v[134:135], v[126:127] op_sel:[0,1]
	s_delay_alu instid0(VALU_DEP_1) | instskip(SKIP_1) | instid1(VALU_DEP_1)
	v_pk_fma_f32 v[140:141], v[134:135], v[124:125], v[138:139] op_sel:[0,0,1] op_sel_hi:[1,1,0] neg_lo:[0,0,1] neg_hi:[0,0,1]
	v_pk_fma_f32 v[134:135], v[134:135], v[124:125], v[138:139] op_sel:[0,0,1] op_sel_hi:[1,0,0]
	v_mov_b32_e32 v141, v135
	v_pk_mul_f32 v[134:135], v[136:137], v[126:127] op_sel:[0,1]
	s_delay_alu instid0(VALU_DEP_1) | instskip(SKIP_1) | instid1(VALU_DEP_1)
	v_pk_fma_f32 v[138:139], v[136:137], v[124:125], v[134:135] op_sel:[0,0,1] op_sel_hi:[1,1,0] neg_lo:[0,0,1] neg_hi:[0,0,1]
	v_pk_fma_f32 v[134:135], v[136:137], v[124:125], v[134:135] op_sel:[0,0,1] op_sel_hi:[1,0,0]
	v_mov_b32_e32 v139, v135
	ds_load_2addr_b64 v[134:137], v128 offset0:50 offset1:51
	v_pk_add_f32 v[120:121], v[120:121], v[140:141] neg_lo:[0,1] neg_hi:[0,1]
	v_pk_add_f32 v[118:119], v[118:119], v[138:139] neg_lo:[0,1] neg_hi:[0,1]
	s_wait_dscnt 0x0
	v_dual_mul_f32 v138, v135, v127 :: v_dual_mul_f32 v140, v135, v124
	s_delay_alu instid0(VALU_DEP_1) | instskip(NEXT) | instid1(VALU_DEP_2)
	v_pk_fma_f32 v[138:139], v[134:135], v[106:107], v[138:139] op_sel_hi:[1,1,0] neg_lo:[0,0,1] neg_hi:[0,0,1]
	v_pk_fma_f32 v[134:135], v[134:135], v[106:107], v[140:141] op_sel:[1,0,0] op_sel_hi:[0,1,0]
	s_delay_alu instid0(VALU_DEP_1) | instskip(SKIP_1) | instid1(VALU_DEP_2)
	v_mov_b32_e32 v139, v135
	v_pk_mul_f32 v[134:135], v[136:137], v[126:127] op_sel:[0,1]
	v_pk_add_f32 v[94:95], v[94:95], v[138:139] neg_lo:[0,1] neg_hi:[0,1]
	s_delay_alu instid0(VALU_DEP_2) | instskip(SKIP_1) | instid1(VALU_DEP_1)
	v_pk_fma_f32 v[138:139], v[136:137], v[124:125], v[134:135] op_sel:[0,0,1] op_sel_hi:[1,1,0] neg_lo:[0,0,1] neg_hi:[0,0,1]
	v_pk_fma_f32 v[134:135], v[136:137], v[124:125], v[134:135] op_sel:[0,0,1] op_sel_hi:[1,0,0]
	v_mov_b32_e32 v139, v135
	ds_load_2addr_b64 v[134:137], v128 offset0:52 offset1:53
	v_pk_add_f32 v[96:97], v[96:97], v[138:139] neg_lo:[0,1] neg_hi:[0,1]
	s_wait_dscnt 0x0
	v_pk_mul_f32 v[138:139], v[134:135], v[126:127] op_sel:[0,1]
	s_delay_alu instid0(VALU_DEP_1) | instskip(SKIP_1) | instid1(VALU_DEP_1)
	v_pk_fma_f32 v[140:141], v[134:135], v[124:125], v[138:139] op_sel:[0,0,1] op_sel_hi:[1,1,0] neg_lo:[0,0,1] neg_hi:[0,0,1]
	v_pk_fma_f32 v[134:135], v[134:135], v[124:125], v[138:139] op_sel:[0,0,1] op_sel_hi:[1,0,0]
	v_mov_b32_e32 v141, v135
	v_pk_mul_f32 v[134:135], v[136:137], v[126:127] op_sel:[0,1]
	s_delay_alu instid0(VALU_DEP_2) | instskip(NEXT) | instid1(VALU_DEP_2)
	v_pk_add_f32 v[114:115], v[114:115], v[140:141] neg_lo:[0,1] neg_hi:[0,1]
	v_pk_fma_f32 v[138:139], v[136:137], v[124:125], v[134:135] op_sel:[0,0,1] op_sel_hi:[1,1,0] neg_lo:[0,0,1] neg_hi:[0,0,1]
	v_pk_fma_f32 v[134:135], v[136:137], v[124:125], v[134:135] op_sel:[0,0,1] op_sel_hi:[1,0,0]
	s_delay_alu instid0(VALU_DEP_1) | instskip(SKIP_4) | instid1(VALU_DEP_1)
	v_mov_b32_e32 v139, v135
	ds_load_2addr_b64 v[134:137], v128 offset0:54 offset1:55
	v_pk_add_f32 v[112:113], v[112:113], v[138:139] neg_lo:[0,1] neg_hi:[0,1]
	s_wait_dscnt 0x0
	v_pk_mul_f32 v[138:139], v[134:135], v[126:127] op_sel:[0,1]
	v_pk_fma_f32 v[140:141], v[134:135], v[124:125], v[138:139] op_sel:[0,0,1] op_sel_hi:[1,1,0] neg_lo:[0,0,1] neg_hi:[0,0,1]
	v_pk_fma_f32 v[134:135], v[134:135], v[124:125], v[138:139] op_sel:[0,0,1] op_sel_hi:[1,0,0]
	v_dual_mul_f32 v138, v137, v127 :: v_dual_mov_b32 v134, v137
	s_delay_alu instid0(VALU_DEP_2) | instskip(NEXT) | instid1(VALU_DEP_2)
	v_dual_mov_b32 v141, v135 :: v_dual_mov_b32 v135, v136
	v_pk_fma_f32 v[138:139], v[136:137], v[106:107], v[138:139] op_sel_hi:[1,1,0] neg_lo:[0,0,1] neg_hi:[0,0,1]
	v_mul_f32_e32 v136, v137, v124
	s_delay_alu instid0(VALU_DEP_3) | instskip(NEXT) | instid1(VALU_DEP_2)
	v_pk_add_f32 v[92:93], v[92:93], v[140:141] neg_lo:[0,1] neg_hi:[0,1]
	v_pk_fma_f32 v[134:135], v[134:135], v[106:107], v[136:137] op_sel_hi:[1,1,0]
	s_delay_alu instid0(VALU_DEP_1) | instskip(SKIP_4) | instid1(VALU_DEP_1)
	v_mov_b32_e32 v139, v135
	ds_load_2addr_b64 v[134:137], v128 offset0:56 offset1:57
	v_pk_add_f32 v[90:91], v[90:91], v[138:139] neg_lo:[0,1] neg_hi:[0,1]
	s_wait_dscnt 0x0
	v_pk_mul_f32 v[138:139], v[134:135], v[126:127] op_sel:[0,1]
	v_pk_fma_f32 v[140:141], v[134:135], v[124:125], v[138:139] op_sel:[0,0,1] op_sel_hi:[1,1,0] neg_lo:[0,0,1] neg_hi:[0,0,1]
	v_pk_fma_f32 v[134:135], v[134:135], v[124:125], v[138:139] op_sel:[0,0,1] op_sel_hi:[1,0,0]
	s_delay_alu instid0(VALU_DEP_1) | instskip(SKIP_1) | instid1(VALU_DEP_1)
	v_mov_b32_e32 v141, v135
	v_pk_mul_f32 v[134:135], v[136:137], v[126:127] op_sel:[0,1]
	v_pk_fma_f32 v[138:139], v[136:137], v[124:125], v[134:135] op_sel:[0,0,1] op_sel_hi:[1,1,0] neg_lo:[0,0,1] neg_hi:[0,0,1]
	v_pk_fma_f32 v[134:135], v[136:137], v[124:125], v[134:135] op_sel:[0,0,1] op_sel_hi:[1,0,0]
	s_delay_alu instid0(VALU_DEP_1)
	v_mov_b32_e32 v139, v135
	ds_load_b64 v[134:135], v128 offset:464
	v_pk_add_f32 v[104:105], v[104:105], v[140:141] neg_lo:[0,1] neg_hi:[0,1]
	v_pk_add_f32 v[98:99], v[98:99], v[138:139] neg_lo:[0,1] neg_hi:[0,1]
	s_wait_dscnt 0x0
	v_pk_mul_f32 v[126:127], v[134:135], v[126:127] op_sel:[0,1]
	s_delay_alu instid0(VALU_DEP_1) | instskip(SKIP_1) | instid1(VALU_DEP_1)
	v_pk_fma_f32 v[136:137], v[134:135], v[124:125], v[126:127] op_sel:[0,0,1] op_sel_hi:[1,1,0] neg_lo:[0,0,1] neg_hi:[0,0,1]
	v_pk_fma_f32 v[124:125], v[134:135], v[124:125], v[126:127] op_sel:[0,0,1] op_sel_hi:[1,0,0]
	v_mov_b32_e32 v137, v125
	s_delay_alu instid0(VALU_DEP_1)
	v_pk_add_f32 v[122:123], v[122:123], v[136:137] neg_lo:[0,1] neg_hi:[0,1]
.LBB116_41:
	s_or_b32 exec_lo, exec_lo, s0
	v_lshl_add_u32 v124, v132, 3, v128
	s_barrier_signal -1
	s_barrier_wait -1
	ds_store_b64 v124, v[84:85]
	s_wait_dscnt 0x0
	s_barrier_signal -1
	s_barrier_wait -1
	ds_load_b64 v[126:127], v128 offset:16
	v_mov_b32_e32 v124, 2
	s_cmp_lt_i32 s18, 4
	s_mov_b32 s0, 3
	s_cbranch_scc1 .LBB116_44
; %bb.42:
	v_add3_u32 v125, v129, 0, 24
	v_mov_b32_e32 v124, 2
.LBB116_43:                             ; =>This Inner Loop Header: Depth=1
	ds_load_b64 v[134:135], v125
	s_wait_dscnt 0x1
	v_cmp_gt_f32_e32 vcc_lo, 0, v126
	v_cndmask_b32_e64 v136, v126, -v126, vcc_lo
	v_cmp_gt_f32_e32 vcc_lo, 0, v127
	v_cndmask_b32_e64 v138, v127, -v127, vcc_lo
	s_wait_dscnt 0x0
	v_cmp_gt_f32_e32 vcc_lo, 0, v134
	v_cndmask_b32_e64 v137, v134, -v134, vcc_lo
	v_cmp_gt_f32_e32 vcc_lo, 0, v135
	v_cndmask_b32_e64 v139, v135, -v135, vcc_lo
	s_delay_alu instid0(VALU_DEP_1) | instskip(NEXT) | instid1(VALU_DEP_1)
	v_pk_add_f32 v[136:137], v[136:137], v[138:139]
	v_cmp_lt_f32_e32 vcc_lo, v136, v137
	v_dual_add_nc_u32 v125, 8, v125 :: v_dual_cndmask_b32 v127, v127, v135, vcc_lo
	v_cndmask_b32_e32 v126, v126, v134, vcc_lo
	v_cndmask_b32_e64 v124, v124, s0, vcc_lo
	s_add_co_i32 s0, s0, 1
	s_delay_alu instid0(SALU_CYCLE_1)
	s_cmp_lg_u32 s18, s0
	s_cbranch_scc1 .LBB116_43
.LBB116_44:
	s_wait_dscnt 0x0
	v_cmp_eq_f32_e32 vcc_lo, 0, v126
	v_cmp_eq_f32_e64 s0, 0, v127
	s_and_b32 s0, vcc_lo, s0
	s_delay_alu instid0(SALU_CYCLE_1) | instskip(NEXT) | instid1(SALU_CYCLE_1)
	s_and_saveexec_b32 s1, s0
	s_xor_b32 s0, exec_lo, s1
; %bb.45:
	v_cmp_ne_u32_e32 vcc_lo, 0, v130
	v_cndmask_b32_e32 v130, 3, v130, vcc_lo
; %bb.46:
	s_and_not1_saveexec_b32 s0, s0
	s_cbranch_execz .LBB116_52
; %bb.47:
	v_cmp_ngt_f32_e64 s1, |v126|, |v127|
	s_and_saveexec_b32 s12, s1
	s_delay_alu instid0(SALU_CYCLE_1)
	s_xor_b32 s1, exec_lo, s12
	s_cbranch_execz .LBB116_49
; %bb.48:
	v_div_scale_f32 v125, null, v127, v127, v126
	v_div_scale_f32 v135, vcc_lo, v126, v127, v126
	s_delay_alu instid0(VALU_DEP_2) | instskip(SKIP_1) | instid1(TRANS32_DEP_1)
	v_rcp_f32_e32 v133, v125
	v_nop
	v_fma_f32 v134, -v125, v133, 1.0
	s_delay_alu instid0(VALU_DEP_1) | instskip(NEXT) | instid1(VALU_DEP_1)
	v_fmac_f32_e32 v133, v134, v133
	v_mul_f32_e32 v134, v135, v133
	s_delay_alu instid0(VALU_DEP_1) | instskip(NEXT) | instid1(VALU_DEP_1)
	v_fma_f32 v136, -v125, v134, v135
	v_fmac_f32_e32 v134, v136, v133
	s_delay_alu instid0(VALU_DEP_1) | instskip(NEXT) | instid1(VALU_DEP_1)
	v_fma_f32 v125, -v125, v134, v135
	v_div_fmas_f32 v125, v125, v133, v134
	s_delay_alu instid0(VALU_DEP_1) | instskip(NEXT) | instid1(VALU_DEP_1)
	v_div_fixup_f32 v125, v125, v127, v126
	v_fmac_f32_e32 v127, v126, v125
	s_delay_alu instid0(VALU_DEP_1) | instskip(SKIP_1) | instid1(VALU_DEP_2)
	v_div_scale_f32 v126, null, v127, v127, 1.0
	v_div_scale_f32 v135, vcc_lo, 1.0, v127, 1.0
	v_rcp_f32_e32 v133, v126
	v_nop
	s_delay_alu instid0(TRANS32_DEP_1) | instskip(NEXT) | instid1(VALU_DEP_1)
	v_fma_f32 v134, -v126, v133, 1.0
	v_fmac_f32_e32 v133, v134, v133
	s_delay_alu instid0(VALU_DEP_1) | instskip(NEXT) | instid1(VALU_DEP_1)
	v_mul_f32_e32 v134, v135, v133
	v_fma_f32 v136, -v126, v134, v135
	s_delay_alu instid0(VALU_DEP_1) | instskip(NEXT) | instid1(VALU_DEP_1)
	v_fmac_f32_e32 v134, v136, v133
	v_fma_f32 v126, -v126, v134, v135
	s_delay_alu instid0(VALU_DEP_1) | instskip(NEXT) | instid1(VALU_DEP_1)
	v_div_fmas_f32 v126, v126, v133, v134
	v_div_fixup_f32 v127, v126, v127, 1.0
	s_delay_alu instid0(VALU_DEP_1)
	v_mul_f32_e32 v126, v125, v127
	v_xor_b32_e32 v127, 0x80000000, v127
.LBB116_49:
	s_and_not1_saveexec_b32 s1, s1
	s_cbranch_execz .LBB116_51
; %bb.50:
	s_delay_alu instid0(VALU_DEP_1) | instskip(SKIP_1) | instid1(VALU_DEP_2)
	v_div_scale_f32 v125, null, v126, v126, v127
	v_div_scale_f32 v135, vcc_lo, v127, v126, v127
	v_rcp_f32_e32 v133, v125
	v_nop
	s_delay_alu instid0(TRANS32_DEP_1) | instskip(NEXT) | instid1(VALU_DEP_1)
	v_fma_f32 v134, -v125, v133, 1.0
	v_fmac_f32_e32 v133, v134, v133
	s_delay_alu instid0(VALU_DEP_1) | instskip(NEXT) | instid1(VALU_DEP_1)
	v_mul_f32_e32 v134, v135, v133
	v_fma_f32 v136, -v125, v134, v135
	s_delay_alu instid0(VALU_DEP_1) | instskip(NEXT) | instid1(VALU_DEP_1)
	v_fmac_f32_e32 v134, v136, v133
	v_fma_f32 v125, -v125, v134, v135
	s_delay_alu instid0(VALU_DEP_1) | instskip(NEXT) | instid1(VALU_DEP_1)
	v_div_fmas_f32 v125, v125, v133, v134
	v_div_fixup_f32 v125, v125, v126, v127
	s_delay_alu instid0(VALU_DEP_1) | instskip(NEXT) | instid1(VALU_DEP_1)
	v_fmac_f32_e32 v126, v127, v125
	v_div_scale_f32 v127, null, v126, v126, 1.0
	s_delay_alu instid0(VALU_DEP_1) | instskip(SKIP_1) | instid1(TRANS32_DEP_1)
	v_rcp_f32_e32 v133, v127
	v_nop
	v_fma_f32 v134, -v127, v133, 1.0
	s_delay_alu instid0(VALU_DEP_1) | instskip(SKIP_1) | instid1(VALU_DEP_1)
	v_fmac_f32_e32 v133, v134, v133
	v_div_scale_f32 v134, vcc_lo, 1.0, v126, 1.0
	v_mul_f32_e32 v135, v134, v133
	s_delay_alu instid0(VALU_DEP_1) | instskip(NEXT) | instid1(VALU_DEP_1)
	v_fma_f32 v136, -v127, v135, v134
	v_fmac_f32_e32 v135, v136, v133
	s_delay_alu instid0(VALU_DEP_1) | instskip(NEXT) | instid1(VALU_DEP_1)
	v_fma_f32 v127, -v127, v135, v134
	v_div_fmas_f32 v127, v127, v133, v135
	s_delay_alu instid0(VALU_DEP_1) | instskip(NEXT) | instid1(VALU_DEP_1)
	v_div_fixup_f32 v126, v127, v126, 1.0
	v_mul_f32_e64 v127, v125, -v126
.LBB116_51:
	s_or_b32 exec_lo, exec_lo, s1
.LBB116_52:
	s_delay_alu instid0(SALU_CYCLE_1) | instskip(NEXT) | instid1(SALU_CYCLE_1)
	s_or_b32 exec_lo, exec_lo, s0
	s_mov_b32 s0, exec_lo
	v_cmpx_ne_u32_e64 v132, v124
	s_xor_b32 s0, exec_lo, s0
	s_cbranch_execz .LBB116_58
; %bb.53:
	s_mov_b32 s1, exec_lo
	v_cmpx_eq_u32_e32 2, v132
	s_cbranch_execz .LBB116_57
; %bb.54:
	v_cmp_ne_u32_e32 vcc_lo, 2, v124
	s_xor_b32 s12, s16, -1
	s_delay_alu instid0(SALU_CYCLE_1) | instskip(NEXT) | instid1(SALU_CYCLE_1)
	s_and_b32 s13, s12, vcc_lo
	s_and_saveexec_b32 s12, s13
	s_cbranch_execz .LBB116_56
; %bb.55:
	v_ashrrev_i32_e32 v125, 31, v124
	s_delay_alu instid0(VALU_DEP_1)
	v_lshl_add_u64 v[132:133], v[124:125], 2, v[4:5]
	s_clause 0x1
	global_load_b32 v125, v[132:133], off
	global_load_b32 v131, v[4:5], off offset:8
	s_wait_loadcnt 0x1
	global_store_b32 v[4:5], v125, off offset:8
	s_wait_loadcnt 0x0
	global_store_b32 v[132:133], v131, off
.LBB116_56:
	s_wait_xcnt 0x0
	s_or_b32 exec_lo, exec_lo, s12
	v_dual_mov_b32 v132, v124 :: v_dual_mov_b32 v131, v124
.LBB116_57:
	s_or_b32 exec_lo, exec_lo, s1
.LBB116_58:
	s_and_not1_saveexec_b32 s0, s0
	s_cbranch_execz .LBB116_60
; %bb.59:
	v_mov_b32_e32 v132, 2
	ds_store_2addr_b64 v128, v[74:75], v[40:41] offset0:3 offset1:4
	ds_store_2addr_b64 v128, v[30:31], v[16:17] offset0:5 offset1:6
	;; [unrolled: 1-line block ×28, first 2 shown]
.LBB116_60:
	s_or_b32 exec_lo, exec_lo, s0
	s_delay_alu instid0(SALU_CYCLE_1)
	s_mov_b32 s0, exec_lo
	s_wait_storecnt_dscnt 0x0
	s_barrier_signal -1
	s_barrier_wait -1
	v_cmpx_lt_i32_e32 2, v132
	s_cbranch_execz .LBB116_62
; %bb.61:
	v_pk_mul_f32 v[134:135], v[126:127], v[84:85] op_sel:[1,1] op_sel_hi:[0,1]
	s_delay_alu instid0(VALU_DEP_1)
	v_pk_fma_f32 v[124:125], v[126:127], v[84:85], v[134:135] op_sel_hi:[1,0,1] neg_lo:[0,0,1] neg_hi:[0,0,1]
	v_pk_fma_f32 v[126:127], v[126:127], v[84:85], v[134:135] op_sel_hi:[1,0,1]
	ds_load_2addr_b64 v[134:137], v128 offset0:3 offset1:4
	v_dual_mov_b32 v84, v124 :: v_dual_mov_b32 v85, v127
	s_wait_dscnt 0x0
	v_pk_mul_f32 v[138:139], v[134:135], v[126:127] op_sel:[0,1]
	s_delay_alu instid0(VALU_DEP_1) | instskip(SKIP_1) | instid1(VALU_DEP_1)
	v_pk_fma_f32 v[140:141], v[134:135], v[124:125], v[138:139] op_sel:[0,0,1] op_sel_hi:[1,1,0] neg_lo:[0,0,1] neg_hi:[0,0,1]
	v_pk_fma_f32 v[134:135], v[134:135], v[124:125], v[138:139] op_sel:[0,0,1] op_sel_hi:[1,0,0]
	v_mov_b32_e32 v141, v135
	v_pk_mul_f32 v[134:135], v[136:137], v[126:127] op_sel:[0,1]
	s_delay_alu instid0(VALU_DEP_1) | instskip(SKIP_1) | instid1(VALU_DEP_1)
	v_pk_fma_f32 v[138:139], v[136:137], v[124:125], v[134:135] op_sel:[0,0,1] op_sel_hi:[1,1,0] neg_lo:[0,0,1] neg_hi:[0,0,1]
	v_pk_fma_f32 v[134:135], v[136:137], v[124:125], v[134:135] op_sel:[0,0,1] op_sel_hi:[1,0,0]
	v_mov_b32_e32 v139, v135
	ds_load_2addr_b64 v[134:137], v128 offset0:5 offset1:6
	v_pk_add_f32 v[74:75], v[74:75], v[140:141] neg_lo:[0,1] neg_hi:[0,1]
	v_pk_add_f32 v[40:41], v[40:41], v[138:139] neg_lo:[0,1] neg_hi:[0,1]
	s_wait_dscnt 0x0
	v_pk_mul_f32 v[138:139], v[134:135], v[126:127] op_sel:[0,1]
	s_delay_alu instid0(VALU_DEP_1) | instskip(SKIP_2) | instid1(VALU_DEP_2)
	v_pk_fma_f32 v[140:141], v[134:135], v[124:125], v[138:139] op_sel:[0,0,1] op_sel_hi:[1,1,0] neg_lo:[0,0,1] neg_hi:[0,0,1]
	v_pk_fma_f32 v[134:135], v[134:135], v[124:125], v[138:139] op_sel:[0,0,1] op_sel_hi:[1,0,0]
	v_dual_mul_f32 v138, v137, v127 :: v_dual_mov_b32 v134, v137
	v_dual_mov_b32 v141, v135 :: v_dual_mov_b32 v135, v136
	s_delay_alu instid0(VALU_DEP_2) | instskip(SKIP_1) | instid1(VALU_DEP_3)
	v_pk_fma_f32 v[138:139], v[136:137], v[84:85], v[138:139] op_sel_hi:[1,1,0] neg_lo:[0,0,1] neg_hi:[0,0,1]
	v_mul_f32_e32 v136, v137, v124
	v_pk_add_f32 v[30:31], v[30:31], v[140:141] neg_lo:[0,1] neg_hi:[0,1]
	s_delay_alu instid0(VALU_DEP_2) | instskip(NEXT) | instid1(VALU_DEP_1)
	v_pk_fma_f32 v[134:135], v[134:135], v[84:85], v[136:137] op_sel_hi:[1,1,0]
	v_mov_b32_e32 v139, v135
	ds_load_2addr_b64 v[134:137], v128 offset0:7 offset1:8
	v_pk_add_f32 v[16:17], v[16:17], v[138:139] neg_lo:[0,1] neg_hi:[0,1]
	s_wait_dscnt 0x0
	v_pk_mul_f32 v[138:139], v[134:135], v[126:127] op_sel:[0,1]
	s_delay_alu instid0(VALU_DEP_1) | instskip(SKIP_1) | instid1(VALU_DEP_1)
	v_pk_fma_f32 v[140:141], v[134:135], v[124:125], v[138:139] op_sel:[0,0,1] op_sel_hi:[1,1,0] neg_lo:[0,0,1] neg_hi:[0,0,1]
	v_pk_fma_f32 v[134:135], v[134:135], v[124:125], v[138:139] op_sel:[0,0,1] op_sel_hi:[1,0,0]
	v_mov_b32_e32 v141, v135
	v_pk_mul_f32 v[134:135], v[136:137], v[126:127] op_sel:[0,1]
	s_delay_alu instid0(VALU_DEP_1) | instskip(SKIP_1) | instid1(VALU_DEP_1)
	v_pk_fma_f32 v[138:139], v[136:137], v[124:125], v[134:135] op_sel:[0,0,1] op_sel_hi:[1,1,0] neg_lo:[0,0,1] neg_hi:[0,0,1]
	v_pk_fma_f32 v[134:135], v[136:137], v[124:125], v[134:135] op_sel:[0,0,1] op_sel_hi:[1,0,0]
	v_mov_b32_e32 v139, v135
	ds_load_2addr_b64 v[134:137], v128 offset0:9 offset1:10
	v_pk_add_f32 v[10:11], v[10:11], v[140:141] neg_lo:[0,1] neg_hi:[0,1]
	v_pk_add_f32 v[24:25], v[24:25], v[138:139] neg_lo:[0,1] neg_hi:[0,1]
	s_wait_dscnt 0x0
	v_pk_mul_f32 v[138:139], v[134:135], v[126:127] op_sel:[0,1]
	s_delay_alu instid0(VALU_DEP_1) | instskip(SKIP_1) | instid1(VALU_DEP_1)
	v_pk_fma_f32 v[140:141], v[134:135], v[124:125], v[138:139] op_sel:[0,0,1] op_sel_hi:[1,1,0] neg_lo:[0,0,1] neg_hi:[0,0,1]
	v_pk_fma_f32 v[134:135], v[134:135], v[124:125], v[138:139] op_sel:[0,0,1] op_sel_hi:[1,0,0]
	v_mov_b32_e32 v141, v135
	v_pk_mul_f32 v[134:135], v[136:137], v[126:127] op_sel:[0,1]
	s_delay_alu instid0(VALU_DEP_1) | instskip(SKIP_1) | instid1(VALU_DEP_1)
	v_pk_fma_f32 v[138:139], v[136:137], v[124:125], v[134:135] op_sel:[0,0,1] op_sel_hi:[1,1,0] neg_lo:[0,0,1] neg_hi:[0,0,1]
	v_pk_fma_f32 v[134:135], v[136:137], v[124:125], v[134:135] op_sel:[0,0,1] op_sel_hi:[1,0,0]
	v_mov_b32_e32 v139, v135
	ds_load_2addr_b64 v[134:137], v128 offset0:11 offset1:12
	v_pk_add_f32 v[22:23], v[22:23], v[140:141] neg_lo:[0,1] neg_hi:[0,1]
	v_pk_add_f32 v[8:9], v[8:9], v[138:139] neg_lo:[0,1] neg_hi:[0,1]
	s_wait_dscnt 0x0
	v_dual_mul_f32 v138, v135, v127 :: v_dual_mul_f32 v140, v135, v124
	s_delay_alu instid0(VALU_DEP_1) | instskip(NEXT) | instid1(VALU_DEP_2)
	v_pk_fma_f32 v[138:139], v[134:135], v[84:85], v[138:139] op_sel_hi:[1,1,0] neg_lo:[0,0,1] neg_hi:[0,0,1]
	v_pk_fma_f32 v[134:135], v[134:135], v[84:85], v[140:141] op_sel:[1,0,0] op_sel_hi:[0,1,0]
	s_delay_alu instid0(VALU_DEP_1) | instskip(SKIP_1) | instid1(VALU_DEP_2)
	v_mov_b32_e32 v139, v135
	v_pk_mul_f32 v[134:135], v[136:137], v[126:127] op_sel:[0,1]
	v_pk_add_f32 v[6:7], v[6:7], v[138:139] neg_lo:[0,1] neg_hi:[0,1]
	s_delay_alu instid0(VALU_DEP_2) | instskip(SKIP_1) | instid1(VALU_DEP_1)
	v_pk_fma_f32 v[138:139], v[136:137], v[124:125], v[134:135] op_sel:[0,0,1] op_sel_hi:[1,1,0] neg_lo:[0,0,1] neg_hi:[0,0,1]
	v_pk_fma_f32 v[134:135], v[136:137], v[124:125], v[134:135] op_sel:[0,0,1] op_sel_hi:[1,0,0]
	v_mov_b32_e32 v139, v135
	ds_load_2addr_b64 v[134:137], v128 offset0:13 offset1:14
	v_pk_add_f32 v[34:35], v[34:35], v[138:139] neg_lo:[0,1] neg_hi:[0,1]
	s_wait_dscnt 0x0
	v_pk_mul_f32 v[138:139], v[134:135], v[126:127] op_sel:[0,1]
	s_delay_alu instid0(VALU_DEP_1) | instskip(SKIP_1) | instid1(VALU_DEP_1)
	v_pk_fma_f32 v[140:141], v[134:135], v[124:125], v[138:139] op_sel:[0,0,1] op_sel_hi:[1,1,0] neg_lo:[0,0,1] neg_hi:[0,0,1]
	v_pk_fma_f32 v[134:135], v[134:135], v[124:125], v[138:139] op_sel:[0,0,1] op_sel_hi:[1,0,0]
	v_mov_b32_e32 v141, v135
	v_pk_mul_f32 v[134:135], v[136:137], v[126:127] op_sel:[0,1]
	s_delay_alu instid0(VALU_DEP_2) | instskip(NEXT) | instid1(VALU_DEP_2)
	v_pk_add_f32 v[32:33], v[32:33], v[140:141] neg_lo:[0,1] neg_hi:[0,1]
	v_pk_fma_f32 v[138:139], v[136:137], v[124:125], v[134:135] op_sel:[0,0,1] op_sel_hi:[1,1,0] neg_lo:[0,0,1] neg_hi:[0,0,1]
	v_pk_fma_f32 v[134:135], v[136:137], v[124:125], v[134:135] op_sel:[0,0,1] op_sel_hi:[1,0,0]
	s_delay_alu instid0(VALU_DEP_1) | instskip(SKIP_4) | instid1(VALU_DEP_1)
	v_mov_b32_e32 v139, v135
	ds_load_2addr_b64 v[134:137], v128 offset0:15 offset1:16
	v_pk_add_f32 v[14:15], v[14:15], v[138:139] neg_lo:[0,1] neg_hi:[0,1]
	s_wait_dscnt 0x0
	v_pk_mul_f32 v[138:139], v[134:135], v[126:127] op_sel:[0,1]
	v_pk_fma_f32 v[140:141], v[134:135], v[124:125], v[138:139] op_sel:[0,0,1] op_sel_hi:[1,1,0] neg_lo:[0,0,1] neg_hi:[0,0,1]
	v_pk_fma_f32 v[134:135], v[134:135], v[124:125], v[138:139] op_sel:[0,0,1] op_sel_hi:[1,0,0]
	v_dual_mul_f32 v138, v137, v127 :: v_dual_mov_b32 v134, v137
	s_delay_alu instid0(VALU_DEP_2) | instskip(NEXT) | instid1(VALU_DEP_2)
	v_dual_mov_b32 v141, v135 :: v_dual_mov_b32 v135, v136
	v_pk_fma_f32 v[138:139], v[136:137], v[84:85], v[138:139] op_sel_hi:[1,1,0] neg_lo:[0,0,1] neg_hi:[0,0,1]
	v_mul_f32_e32 v136, v137, v124
	s_delay_alu instid0(VALU_DEP_3) | instskip(NEXT) | instid1(VALU_DEP_2)
	v_pk_add_f32 v[12:13], v[12:13], v[140:141] neg_lo:[0,1] neg_hi:[0,1]
	v_pk_fma_f32 v[134:135], v[134:135], v[84:85], v[136:137] op_sel_hi:[1,1,0]
	s_delay_alu instid0(VALU_DEP_1) | instskip(SKIP_4) | instid1(VALU_DEP_1)
	v_mov_b32_e32 v139, v135
	ds_load_2addr_b64 v[134:137], v128 offset0:17 offset1:18
	v_pk_add_f32 v[44:45], v[44:45], v[138:139] neg_lo:[0,1] neg_hi:[0,1]
	s_wait_dscnt 0x0
	v_pk_mul_f32 v[138:139], v[134:135], v[126:127] op_sel:[0,1]
	v_pk_fma_f32 v[140:141], v[134:135], v[124:125], v[138:139] op_sel:[0,0,1] op_sel_hi:[1,1,0] neg_lo:[0,0,1] neg_hi:[0,0,1]
	v_pk_fma_f32 v[134:135], v[134:135], v[124:125], v[138:139] op_sel:[0,0,1] op_sel_hi:[1,0,0]
	s_delay_alu instid0(VALU_DEP_1) | instskip(SKIP_1) | instid1(VALU_DEP_1)
	v_mov_b32_e32 v141, v135
	v_pk_mul_f32 v[134:135], v[136:137], v[126:127] op_sel:[0,1]
	v_pk_fma_f32 v[138:139], v[136:137], v[124:125], v[134:135] op_sel:[0,0,1] op_sel_hi:[1,1,0] neg_lo:[0,0,1] neg_hi:[0,0,1]
	v_pk_fma_f32 v[134:135], v[136:137], v[124:125], v[134:135] op_sel:[0,0,1] op_sel_hi:[1,0,0]
	s_delay_alu instid0(VALU_DEP_1)
	v_mov_b32_e32 v139, v135
	ds_load_2addr_b64 v[134:137], v128 offset0:19 offset1:20
	v_pk_add_f32 v[42:43], v[42:43], v[140:141] neg_lo:[0,1] neg_hi:[0,1]
	v_pk_add_f32 v[20:21], v[20:21], v[138:139] neg_lo:[0,1] neg_hi:[0,1]
	s_wait_dscnt 0x0
	v_pk_mul_f32 v[138:139], v[134:135], v[126:127] op_sel:[0,1]
	s_delay_alu instid0(VALU_DEP_1) | instskip(SKIP_1) | instid1(VALU_DEP_1)
	v_pk_fma_f32 v[140:141], v[134:135], v[124:125], v[138:139] op_sel:[0,0,1] op_sel_hi:[1,1,0] neg_lo:[0,0,1] neg_hi:[0,0,1]
	v_pk_fma_f32 v[134:135], v[134:135], v[124:125], v[138:139] op_sel:[0,0,1] op_sel_hi:[1,0,0]
	v_mov_b32_e32 v141, v135
	v_pk_mul_f32 v[134:135], v[136:137], v[126:127] op_sel:[0,1]
	s_delay_alu instid0(VALU_DEP_1) | instskip(SKIP_1) | instid1(VALU_DEP_1)
	v_pk_fma_f32 v[138:139], v[136:137], v[124:125], v[134:135] op_sel:[0,0,1] op_sel_hi:[1,1,0] neg_lo:[0,0,1] neg_hi:[0,0,1]
	v_pk_fma_f32 v[134:135], v[136:137], v[124:125], v[134:135] op_sel:[0,0,1] op_sel_hi:[1,0,0]
	v_mov_b32_e32 v139, v135
	ds_load_2addr_b64 v[134:137], v128 offset0:21 offset1:22
	v_pk_add_f32 v[18:19], v[18:19], v[140:141] neg_lo:[0,1] neg_hi:[0,1]
	v_pk_add_f32 v[52:53], v[52:53], v[138:139] neg_lo:[0,1] neg_hi:[0,1]
	s_wait_dscnt 0x0
	v_dual_mul_f32 v138, v135, v127 :: v_dual_mul_f32 v140, v135, v124
	s_delay_alu instid0(VALU_DEP_1) | instskip(NEXT) | instid1(VALU_DEP_2)
	v_pk_fma_f32 v[138:139], v[134:135], v[84:85], v[138:139] op_sel_hi:[1,1,0] neg_lo:[0,0,1] neg_hi:[0,0,1]
	v_pk_fma_f32 v[134:135], v[134:135], v[84:85], v[140:141] op_sel:[1,0,0] op_sel_hi:[0,1,0]
	s_delay_alu instid0(VALU_DEP_1) | instskip(SKIP_1) | instid1(VALU_DEP_2)
	v_mov_b32_e32 v139, v135
	v_pk_mul_f32 v[134:135], v[136:137], v[126:127] op_sel:[0,1]
	v_pk_add_f32 v[50:51], v[50:51], v[138:139] neg_lo:[0,1] neg_hi:[0,1]
	s_delay_alu instid0(VALU_DEP_2) | instskip(SKIP_1) | instid1(VALU_DEP_1)
	v_pk_fma_f32 v[138:139], v[136:137], v[124:125], v[134:135] op_sel:[0,0,1] op_sel_hi:[1,1,0] neg_lo:[0,0,1] neg_hi:[0,0,1]
	v_pk_fma_f32 v[134:135], v[136:137], v[124:125], v[134:135] op_sel:[0,0,1] op_sel_hi:[1,0,0]
	v_mov_b32_e32 v139, v135
	ds_load_2addr_b64 v[134:137], v128 offset0:23 offset1:24
	v_pk_add_f32 v[28:29], v[28:29], v[138:139] neg_lo:[0,1] neg_hi:[0,1]
	s_wait_dscnt 0x0
	v_pk_mul_f32 v[138:139], v[134:135], v[126:127] op_sel:[0,1]
	s_delay_alu instid0(VALU_DEP_1) | instskip(SKIP_1) | instid1(VALU_DEP_1)
	v_pk_fma_f32 v[140:141], v[134:135], v[124:125], v[138:139] op_sel:[0,0,1] op_sel_hi:[1,1,0] neg_lo:[0,0,1] neg_hi:[0,0,1]
	v_pk_fma_f32 v[134:135], v[134:135], v[124:125], v[138:139] op_sel:[0,0,1] op_sel_hi:[1,0,0]
	v_mov_b32_e32 v141, v135
	v_pk_mul_f32 v[134:135], v[136:137], v[126:127] op_sel:[0,1]
	s_delay_alu instid0(VALU_DEP_2) | instskip(NEXT) | instid1(VALU_DEP_2)
	v_pk_add_f32 v[26:27], v[26:27], v[140:141] neg_lo:[0,1] neg_hi:[0,1]
	v_pk_fma_f32 v[138:139], v[136:137], v[124:125], v[134:135] op_sel:[0,0,1] op_sel_hi:[1,1,0] neg_lo:[0,0,1] neg_hi:[0,0,1]
	v_pk_fma_f32 v[134:135], v[136:137], v[124:125], v[134:135] op_sel:[0,0,1] op_sel_hi:[1,0,0]
	s_delay_alu instid0(VALU_DEP_1) | instskip(SKIP_4) | instid1(VALU_DEP_1)
	v_mov_b32_e32 v139, v135
	ds_load_2addr_b64 v[134:137], v128 offset0:25 offset1:26
	v_pk_add_f32 v[60:61], v[60:61], v[138:139] neg_lo:[0,1] neg_hi:[0,1]
	s_wait_dscnt 0x0
	v_pk_mul_f32 v[138:139], v[134:135], v[126:127] op_sel:[0,1]
	v_pk_fma_f32 v[140:141], v[134:135], v[124:125], v[138:139] op_sel:[0,0,1] op_sel_hi:[1,1,0] neg_lo:[0,0,1] neg_hi:[0,0,1]
	v_pk_fma_f32 v[134:135], v[134:135], v[124:125], v[138:139] op_sel:[0,0,1] op_sel_hi:[1,0,0]
	v_dual_mul_f32 v138, v137, v127 :: v_dual_mov_b32 v134, v137
	s_delay_alu instid0(VALU_DEP_2) | instskip(NEXT) | instid1(VALU_DEP_2)
	v_dual_mov_b32 v141, v135 :: v_dual_mov_b32 v135, v136
	v_pk_fma_f32 v[138:139], v[136:137], v[84:85], v[138:139] op_sel_hi:[1,1,0] neg_lo:[0,0,1] neg_hi:[0,0,1]
	v_mul_f32_e32 v136, v137, v124
	s_delay_alu instid0(VALU_DEP_3) | instskip(NEXT) | instid1(VALU_DEP_2)
	v_pk_add_f32 v[58:59], v[58:59], v[140:141] neg_lo:[0,1] neg_hi:[0,1]
	v_pk_fma_f32 v[134:135], v[134:135], v[84:85], v[136:137] op_sel_hi:[1,1,0]
	s_delay_alu instid0(VALU_DEP_1) | instskip(SKIP_4) | instid1(VALU_DEP_1)
	v_mov_b32_e32 v139, v135
	ds_load_2addr_b64 v[134:137], v128 offset0:27 offset1:28
	v_pk_add_f32 v[38:39], v[38:39], v[138:139] neg_lo:[0,1] neg_hi:[0,1]
	s_wait_dscnt 0x0
	v_pk_mul_f32 v[138:139], v[134:135], v[126:127] op_sel:[0,1]
	v_pk_fma_f32 v[140:141], v[134:135], v[124:125], v[138:139] op_sel:[0,0,1] op_sel_hi:[1,1,0] neg_lo:[0,0,1] neg_hi:[0,0,1]
	v_pk_fma_f32 v[134:135], v[134:135], v[124:125], v[138:139] op_sel:[0,0,1] op_sel_hi:[1,0,0]
	s_delay_alu instid0(VALU_DEP_1) | instskip(SKIP_1) | instid1(VALU_DEP_1)
	v_mov_b32_e32 v141, v135
	v_pk_mul_f32 v[134:135], v[136:137], v[126:127] op_sel:[0,1]
	v_pk_fma_f32 v[138:139], v[136:137], v[124:125], v[134:135] op_sel:[0,0,1] op_sel_hi:[1,1,0] neg_lo:[0,0,1] neg_hi:[0,0,1]
	v_pk_fma_f32 v[134:135], v[136:137], v[124:125], v[134:135] op_sel:[0,0,1] op_sel_hi:[1,0,0]
	s_delay_alu instid0(VALU_DEP_1)
	v_mov_b32_e32 v139, v135
	ds_load_2addr_b64 v[134:137], v128 offset0:29 offset1:30
	v_pk_add_f32 v[36:37], v[36:37], v[140:141] neg_lo:[0,1] neg_hi:[0,1]
	v_pk_add_f32 v[68:69], v[68:69], v[138:139] neg_lo:[0,1] neg_hi:[0,1]
	s_wait_dscnt 0x0
	v_pk_mul_f32 v[138:139], v[134:135], v[126:127] op_sel:[0,1]
	s_delay_alu instid0(VALU_DEP_1) | instskip(SKIP_1) | instid1(VALU_DEP_1)
	v_pk_fma_f32 v[140:141], v[134:135], v[124:125], v[138:139] op_sel:[0,0,1] op_sel_hi:[1,1,0] neg_lo:[0,0,1] neg_hi:[0,0,1]
	v_pk_fma_f32 v[134:135], v[134:135], v[124:125], v[138:139] op_sel:[0,0,1] op_sel_hi:[1,0,0]
	v_mov_b32_e32 v141, v135
	v_pk_mul_f32 v[134:135], v[136:137], v[126:127] op_sel:[0,1]
	s_delay_alu instid0(VALU_DEP_1) | instskip(SKIP_1) | instid1(VALU_DEP_1)
	v_pk_fma_f32 v[138:139], v[136:137], v[124:125], v[134:135] op_sel:[0,0,1] op_sel_hi:[1,1,0] neg_lo:[0,0,1] neg_hi:[0,0,1]
	v_pk_fma_f32 v[134:135], v[136:137], v[124:125], v[134:135] op_sel:[0,0,1] op_sel_hi:[1,0,0]
	v_mov_b32_e32 v139, v135
	ds_load_2addr_b64 v[134:137], v128 offset0:31 offset1:32
	v_pk_add_f32 v[66:67], v[66:67], v[140:141] neg_lo:[0,1] neg_hi:[0,1]
	v_pk_add_f32 v[48:49], v[48:49], v[138:139] neg_lo:[0,1] neg_hi:[0,1]
	s_wait_dscnt 0x0
	v_dual_mul_f32 v138, v135, v127 :: v_dual_mul_f32 v140, v135, v124
	s_delay_alu instid0(VALU_DEP_1) | instskip(NEXT) | instid1(VALU_DEP_2)
	v_pk_fma_f32 v[138:139], v[134:135], v[84:85], v[138:139] op_sel_hi:[1,1,0] neg_lo:[0,0,1] neg_hi:[0,0,1]
	v_pk_fma_f32 v[134:135], v[134:135], v[84:85], v[140:141] op_sel:[1,0,0] op_sel_hi:[0,1,0]
	s_delay_alu instid0(VALU_DEP_1) | instskip(SKIP_1) | instid1(VALU_DEP_2)
	v_mov_b32_e32 v139, v135
	v_pk_mul_f32 v[134:135], v[136:137], v[126:127] op_sel:[0,1]
	v_pk_add_f32 v[46:47], v[46:47], v[138:139] neg_lo:[0,1] neg_hi:[0,1]
	s_delay_alu instid0(VALU_DEP_2) | instskip(SKIP_1) | instid1(VALU_DEP_1)
	v_pk_fma_f32 v[138:139], v[136:137], v[124:125], v[134:135] op_sel:[0,0,1] op_sel_hi:[1,1,0] neg_lo:[0,0,1] neg_hi:[0,0,1]
	v_pk_fma_f32 v[134:135], v[136:137], v[124:125], v[134:135] op_sel:[0,0,1] op_sel_hi:[1,0,0]
	v_mov_b32_e32 v139, v135
	ds_load_2addr_b64 v[134:137], v128 offset0:33 offset1:34
	v_pk_add_f32 v[78:79], v[78:79], v[138:139] neg_lo:[0,1] neg_hi:[0,1]
	s_wait_dscnt 0x0
	v_pk_mul_f32 v[138:139], v[134:135], v[126:127] op_sel:[0,1]
	s_delay_alu instid0(VALU_DEP_1) | instskip(SKIP_1) | instid1(VALU_DEP_1)
	v_pk_fma_f32 v[140:141], v[134:135], v[124:125], v[138:139] op_sel:[0,0,1] op_sel_hi:[1,1,0] neg_lo:[0,0,1] neg_hi:[0,0,1]
	v_pk_fma_f32 v[134:135], v[134:135], v[124:125], v[138:139] op_sel:[0,0,1] op_sel_hi:[1,0,0]
	v_mov_b32_e32 v141, v135
	v_pk_mul_f32 v[134:135], v[136:137], v[126:127] op_sel:[0,1]
	s_delay_alu instid0(VALU_DEP_2) | instskip(NEXT) | instid1(VALU_DEP_2)
	v_pk_add_f32 v[76:77], v[76:77], v[140:141] neg_lo:[0,1] neg_hi:[0,1]
	v_pk_fma_f32 v[138:139], v[136:137], v[124:125], v[134:135] op_sel:[0,0,1] op_sel_hi:[1,1,0] neg_lo:[0,0,1] neg_hi:[0,0,1]
	v_pk_fma_f32 v[134:135], v[136:137], v[124:125], v[134:135] op_sel:[0,0,1] op_sel_hi:[1,0,0]
	s_delay_alu instid0(VALU_DEP_1) | instskip(SKIP_4) | instid1(VALU_DEP_1)
	v_mov_b32_e32 v139, v135
	ds_load_2addr_b64 v[134:137], v128 offset0:35 offset1:36
	v_pk_add_f32 v[56:57], v[56:57], v[138:139] neg_lo:[0,1] neg_hi:[0,1]
	s_wait_dscnt 0x0
	v_pk_mul_f32 v[138:139], v[134:135], v[126:127] op_sel:[0,1]
	v_pk_fma_f32 v[140:141], v[134:135], v[124:125], v[138:139] op_sel:[0,0,1] op_sel_hi:[1,1,0] neg_lo:[0,0,1] neg_hi:[0,0,1]
	v_pk_fma_f32 v[134:135], v[134:135], v[124:125], v[138:139] op_sel:[0,0,1] op_sel_hi:[1,0,0]
	v_dual_mul_f32 v138, v137, v127 :: v_dual_mov_b32 v134, v137
	s_delay_alu instid0(VALU_DEP_2) | instskip(NEXT) | instid1(VALU_DEP_2)
	v_dual_mov_b32 v141, v135 :: v_dual_mov_b32 v135, v136
	v_pk_fma_f32 v[138:139], v[136:137], v[84:85], v[138:139] op_sel_hi:[1,1,0] neg_lo:[0,0,1] neg_hi:[0,0,1]
	v_mul_f32_e32 v136, v137, v124
	s_delay_alu instid0(VALU_DEP_3) | instskip(NEXT) | instid1(VALU_DEP_2)
	v_pk_add_f32 v[54:55], v[54:55], v[140:141] neg_lo:[0,1] neg_hi:[0,1]
	v_pk_fma_f32 v[134:135], v[134:135], v[84:85], v[136:137] op_sel_hi:[1,1,0]
	s_delay_alu instid0(VALU_DEP_1) | instskip(SKIP_4) | instid1(VALU_DEP_1)
	v_mov_b32_e32 v139, v135
	ds_load_2addr_b64 v[134:137], v128 offset0:37 offset1:38
	v_pk_add_f32 v[88:89], v[88:89], v[138:139] neg_lo:[0,1] neg_hi:[0,1]
	s_wait_dscnt 0x0
	v_pk_mul_f32 v[138:139], v[134:135], v[126:127] op_sel:[0,1]
	v_pk_fma_f32 v[140:141], v[134:135], v[124:125], v[138:139] op_sel:[0,0,1] op_sel_hi:[1,1,0] neg_lo:[0,0,1] neg_hi:[0,0,1]
	v_pk_fma_f32 v[134:135], v[134:135], v[124:125], v[138:139] op_sel:[0,0,1] op_sel_hi:[1,0,0]
	s_delay_alu instid0(VALU_DEP_1) | instskip(SKIP_1) | instid1(VALU_DEP_1)
	v_mov_b32_e32 v141, v135
	v_pk_mul_f32 v[134:135], v[136:137], v[126:127] op_sel:[0,1]
	v_pk_fma_f32 v[138:139], v[136:137], v[124:125], v[134:135] op_sel:[0,0,1] op_sel_hi:[1,1,0] neg_lo:[0,0,1] neg_hi:[0,0,1]
	v_pk_fma_f32 v[134:135], v[136:137], v[124:125], v[134:135] op_sel:[0,0,1] op_sel_hi:[1,0,0]
	s_delay_alu instid0(VALU_DEP_1)
	v_mov_b32_e32 v139, v135
	ds_load_2addr_b64 v[134:137], v128 offset0:39 offset1:40
	v_pk_add_f32 v[86:87], v[86:87], v[140:141] neg_lo:[0,1] neg_hi:[0,1]
	v_pk_add_f32 v[64:65], v[64:65], v[138:139] neg_lo:[0,1] neg_hi:[0,1]
	s_wait_dscnt 0x0
	v_pk_mul_f32 v[138:139], v[134:135], v[126:127] op_sel:[0,1]
	s_delay_alu instid0(VALU_DEP_1) | instskip(SKIP_1) | instid1(VALU_DEP_1)
	v_pk_fma_f32 v[140:141], v[134:135], v[124:125], v[138:139] op_sel:[0,0,1] op_sel_hi:[1,1,0] neg_lo:[0,0,1] neg_hi:[0,0,1]
	v_pk_fma_f32 v[134:135], v[134:135], v[124:125], v[138:139] op_sel:[0,0,1] op_sel_hi:[1,0,0]
	v_mov_b32_e32 v141, v135
	v_pk_mul_f32 v[134:135], v[136:137], v[126:127] op_sel:[0,1]
	s_delay_alu instid0(VALU_DEP_1) | instskip(SKIP_1) | instid1(VALU_DEP_1)
	v_pk_fma_f32 v[138:139], v[136:137], v[124:125], v[134:135] op_sel:[0,0,1] op_sel_hi:[1,1,0] neg_lo:[0,0,1] neg_hi:[0,0,1]
	v_pk_fma_f32 v[134:135], v[136:137], v[124:125], v[134:135] op_sel:[0,0,1] op_sel_hi:[1,0,0]
	v_mov_b32_e32 v139, v135
	ds_load_2addr_b64 v[134:137], v128 offset0:41 offset1:42
	v_pk_add_f32 v[62:63], v[62:63], v[140:141] neg_lo:[0,1] neg_hi:[0,1]
	v_pk_add_f32 v[102:103], v[102:103], v[138:139] neg_lo:[0,1] neg_hi:[0,1]
	s_wait_dscnt 0x0
	v_dual_mul_f32 v138, v135, v127 :: v_dual_mul_f32 v140, v135, v124
	s_delay_alu instid0(VALU_DEP_1) | instskip(NEXT) | instid1(VALU_DEP_2)
	v_pk_fma_f32 v[138:139], v[134:135], v[84:85], v[138:139] op_sel_hi:[1,1,0] neg_lo:[0,0,1] neg_hi:[0,0,1]
	v_pk_fma_f32 v[134:135], v[134:135], v[84:85], v[140:141] op_sel:[1,0,0] op_sel_hi:[0,1,0]
	s_delay_alu instid0(VALU_DEP_1) | instskip(SKIP_1) | instid1(VALU_DEP_2)
	v_mov_b32_e32 v139, v135
	v_pk_mul_f32 v[134:135], v[136:137], v[126:127] op_sel:[0,1]
	v_pk_add_f32 v[100:101], v[100:101], v[138:139] neg_lo:[0,1] neg_hi:[0,1]
	s_delay_alu instid0(VALU_DEP_2) | instskip(SKIP_1) | instid1(VALU_DEP_1)
	v_pk_fma_f32 v[138:139], v[136:137], v[124:125], v[134:135] op_sel:[0,0,1] op_sel_hi:[1,1,0] neg_lo:[0,0,1] neg_hi:[0,0,1]
	v_pk_fma_f32 v[134:135], v[136:137], v[124:125], v[134:135] op_sel:[0,0,1] op_sel_hi:[1,0,0]
	v_mov_b32_e32 v139, v135
	ds_load_2addr_b64 v[134:137], v128 offset0:43 offset1:44
	v_pk_add_f32 v[72:73], v[72:73], v[138:139] neg_lo:[0,1] neg_hi:[0,1]
	s_wait_dscnt 0x0
	v_pk_mul_f32 v[138:139], v[134:135], v[126:127] op_sel:[0,1]
	s_delay_alu instid0(VALU_DEP_1) | instskip(SKIP_1) | instid1(VALU_DEP_1)
	v_pk_fma_f32 v[140:141], v[134:135], v[124:125], v[138:139] op_sel:[0,0,1] op_sel_hi:[1,1,0] neg_lo:[0,0,1] neg_hi:[0,0,1]
	v_pk_fma_f32 v[134:135], v[134:135], v[124:125], v[138:139] op_sel:[0,0,1] op_sel_hi:[1,0,0]
	v_mov_b32_e32 v141, v135
	v_pk_mul_f32 v[134:135], v[136:137], v[126:127] op_sel:[0,1]
	s_delay_alu instid0(VALU_DEP_2) | instskip(NEXT) | instid1(VALU_DEP_2)
	v_pk_add_f32 v[70:71], v[70:71], v[140:141] neg_lo:[0,1] neg_hi:[0,1]
	v_pk_fma_f32 v[138:139], v[136:137], v[124:125], v[134:135] op_sel:[0,0,1] op_sel_hi:[1,1,0] neg_lo:[0,0,1] neg_hi:[0,0,1]
	v_pk_fma_f32 v[134:135], v[136:137], v[124:125], v[134:135] op_sel:[0,0,1] op_sel_hi:[1,0,0]
	s_delay_alu instid0(VALU_DEP_1) | instskip(SKIP_4) | instid1(VALU_DEP_1)
	v_mov_b32_e32 v139, v135
	ds_load_2addr_b64 v[134:137], v128 offset0:45 offset1:46
	v_pk_add_f32 v[110:111], v[110:111], v[138:139] neg_lo:[0,1] neg_hi:[0,1]
	s_wait_dscnt 0x0
	v_pk_mul_f32 v[138:139], v[134:135], v[126:127] op_sel:[0,1]
	v_pk_fma_f32 v[140:141], v[134:135], v[124:125], v[138:139] op_sel:[0,0,1] op_sel_hi:[1,1,0] neg_lo:[0,0,1] neg_hi:[0,0,1]
	v_pk_fma_f32 v[134:135], v[134:135], v[124:125], v[138:139] op_sel:[0,0,1] op_sel_hi:[1,0,0]
	v_dual_mul_f32 v138, v137, v127 :: v_dual_mov_b32 v134, v137
	s_delay_alu instid0(VALU_DEP_2) | instskip(NEXT) | instid1(VALU_DEP_2)
	v_dual_mov_b32 v141, v135 :: v_dual_mov_b32 v135, v136
	v_pk_fma_f32 v[138:139], v[136:137], v[84:85], v[138:139] op_sel_hi:[1,1,0] neg_lo:[0,0,1] neg_hi:[0,0,1]
	v_mul_f32_e32 v136, v137, v124
	s_delay_alu instid0(VALU_DEP_3) | instskip(NEXT) | instid1(VALU_DEP_2)
	v_pk_add_f32 v[108:109], v[108:109], v[140:141] neg_lo:[0,1] neg_hi:[0,1]
	v_pk_fma_f32 v[134:135], v[134:135], v[84:85], v[136:137] op_sel_hi:[1,1,0]
	s_delay_alu instid0(VALU_DEP_1) | instskip(SKIP_4) | instid1(VALU_DEP_1)
	v_mov_b32_e32 v139, v135
	ds_load_2addr_b64 v[134:137], v128 offset0:47 offset1:48
	v_pk_add_f32 v[82:83], v[82:83], v[138:139] neg_lo:[0,1] neg_hi:[0,1]
	s_wait_dscnt 0x0
	v_pk_mul_f32 v[138:139], v[134:135], v[126:127] op_sel:[0,1]
	v_pk_fma_f32 v[140:141], v[134:135], v[124:125], v[138:139] op_sel:[0,0,1] op_sel_hi:[1,1,0] neg_lo:[0,0,1] neg_hi:[0,0,1]
	v_pk_fma_f32 v[134:135], v[134:135], v[124:125], v[138:139] op_sel:[0,0,1] op_sel_hi:[1,0,0]
	s_delay_alu instid0(VALU_DEP_1) | instskip(SKIP_1) | instid1(VALU_DEP_1)
	v_mov_b32_e32 v141, v135
	v_pk_mul_f32 v[134:135], v[136:137], v[126:127] op_sel:[0,1]
	v_pk_fma_f32 v[138:139], v[136:137], v[124:125], v[134:135] op_sel:[0,0,1] op_sel_hi:[1,1,0] neg_lo:[0,0,1] neg_hi:[0,0,1]
	v_pk_fma_f32 v[134:135], v[136:137], v[124:125], v[134:135] op_sel:[0,0,1] op_sel_hi:[1,0,0]
	s_delay_alu instid0(VALU_DEP_1)
	v_mov_b32_e32 v139, v135
	ds_load_2addr_b64 v[134:137], v128 offset0:49 offset1:50
	v_pk_add_f32 v[80:81], v[80:81], v[140:141] neg_lo:[0,1] neg_hi:[0,1]
	v_pk_add_f32 v[120:121], v[120:121], v[138:139] neg_lo:[0,1] neg_hi:[0,1]
	s_wait_dscnt 0x0
	v_pk_mul_f32 v[138:139], v[134:135], v[126:127] op_sel:[0,1]
	s_delay_alu instid0(VALU_DEP_1) | instskip(SKIP_1) | instid1(VALU_DEP_1)
	v_pk_fma_f32 v[140:141], v[134:135], v[124:125], v[138:139] op_sel:[0,0,1] op_sel_hi:[1,1,0] neg_lo:[0,0,1] neg_hi:[0,0,1]
	v_pk_fma_f32 v[134:135], v[134:135], v[124:125], v[138:139] op_sel:[0,0,1] op_sel_hi:[1,0,0]
	v_mov_b32_e32 v141, v135
	v_pk_mul_f32 v[134:135], v[136:137], v[126:127] op_sel:[0,1]
	s_delay_alu instid0(VALU_DEP_1) | instskip(SKIP_1) | instid1(VALU_DEP_1)
	v_pk_fma_f32 v[138:139], v[136:137], v[124:125], v[134:135] op_sel:[0,0,1] op_sel_hi:[1,1,0] neg_lo:[0,0,1] neg_hi:[0,0,1]
	v_pk_fma_f32 v[134:135], v[136:137], v[124:125], v[134:135] op_sel:[0,0,1] op_sel_hi:[1,0,0]
	v_mov_b32_e32 v139, v135
	ds_load_2addr_b64 v[134:137], v128 offset0:51 offset1:52
	v_pk_add_f32 v[118:119], v[118:119], v[140:141] neg_lo:[0,1] neg_hi:[0,1]
	v_pk_add_f32 v[94:95], v[94:95], v[138:139] neg_lo:[0,1] neg_hi:[0,1]
	s_wait_dscnt 0x0
	v_dual_mul_f32 v138, v135, v127 :: v_dual_mul_f32 v140, v135, v124
	s_delay_alu instid0(VALU_DEP_1) | instskip(NEXT) | instid1(VALU_DEP_2)
	v_pk_fma_f32 v[138:139], v[134:135], v[84:85], v[138:139] op_sel_hi:[1,1,0] neg_lo:[0,0,1] neg_hi:[0,0,1]
	v_pk_fma_f32 v[134:135], v[134:135], v[84:85], v[140:141] op_sel:[1,0,0] op_sel_hi:[0,1,0]
	s_delay_alu instid0(VALU_DEP_1) | instskip(SKIP_1) | instid1(VALU_DEP_2)
	v_mov_b32_e32 v139, v135
	v_pk_mul_f32 v[134:135], v[136:137], v[126:127] op_sel:[0,1]
	v_pk_add_f32 v[96:97], v[96:97], v[138:139] neg_lo:[0,1] neg_hi:[0,1]
	s_delay_alu instid0(VALU_DEP_2) | instskip(SKIP_1) | instid1(VALU_DEP_1)
	v_pk_fma_f32 v[138:139], v[136:137], v[124:125], v[134:135] op_sel:[0,0,1] op_sel_hi:[1,1,0] neg_lo:[0,0,1] neg_hi:[0,0,1]
	v_pk_fma_f32 v[134:135], v[136:137], v[124:125], v[134:135] op_sel:[0,0,1] op_sel_hi:[1,0,0]
	v_mov_b32_e32 v139, v135
	ds_load_2addr_b64 v[134:137], v128 offset0:53 offset1:54
	v_pk_add_f32 v[114:115], v[114:115], v[138:139] neg_lo:[0,1] neg_hi:[0,1]
	s_wait_dscnt 0x0
	v_pk_mul_f32 v[138:139], v[134:135], v[126:127] op_sel:[0,1]
	s_delay_alu instid0(VALU_DEP_1) | instskip(SKIP_1) | instid1(VALU_DEP_1)
	v_pk_fma_f32 v[140:141], v[134:135], v[124:125], v[138:139] op_sel:[0,0,1] op_sel_hi:[1,1,0] neg_lo:[0,0,1] neg_hi:[0,0,1]
	v_pk_fma_f32 v[134:135], v[134:135], v[124:125], v[138:139] op_sel:[0,0,1] op_sel_hi:[1,0,0]
	v_mov_b32_e32 v141, v135
	v_pk_mul_f32 v[134:135], v[136:137], v[126:127] op_sel:[0,1]
	s_delay_alu instid0(VALU_DEP_2) | instskip(NEXT) | instid1(VALU_DEP_2)
	v_pk_add_f32 v[112:113], v[112:113], v[140:141] neg_lo:[0,1] neg_hi:[0,1]
	v_pk_fma_f32 v[138:139], v[136:137], v[124:125], v[134:135] op_sel:[0,0,1] op_sel_hi:[1,1,0] neg_lo:[0,0,1] neg_hi:[0,0,1]
	v_pk_fma_f32 v[134:135], v[136:137], v[124:125], v[134:135] op_sel:[0,0,1] op_sel_hi:[1,0,0]
	s_delay_alu instid0(VALU_DEP_1) | instskip(SKIP_4) | instid1(VALU_DEP_1)
	v_mov_b32_e32 v139, v135
	ds_load_2addr_b64 v[134:137], v128 offset0:55 offset1:56
	v_pk_add_f32 v[92:93], v[92:93], v[138:139] neg_lo:[0,1] neg_hi:[0,1]
	s_wait_dscnt 0x0
	v_pk_mul_f32 v[138:139], v[134:135], v[126:127] op_sel:[0,1]
	v_pk_fma_f32 v[140:141], v[134:135], v[124:125], v[138:139] op_sel:[0,0,1] op_sel_hi:[1,1,0] neg_lo:[0,0,1] neg_hi:[0,0,1]
	v_pk_fma_f32 v[134:135], v[134:135], v[124:125], v[138:139] op_sel:[0,0,1] op_sel_hi:[1,0,0]
	v_dual_mul_f32 v138, v137, v127 :: v_dual_mov_b32 v134, v137
	s_delay_alu instid0(VALU_DEP_2) | instskip(NEXT) | instid1(VALU_DEP_2)
	v_dual_mov_b32 v141, v135 :: v_dual_mov_b32 v135, v136
	v_pk_fma_f32 v[138:139], v[136:137], v[84:85], v[138:139] op_sel_hi:[1,1,0] neg_lo:[0,0,1] neg_hi:[0,0,1]
	v_mul_f32_e32 v136, v137, v124
	s_delay_alu instid0(VALU_DEP_3) | instskip(NEXT) | instid1(VALU_DEP_2)
	v_pk_add_f32 v[90:91], v[90:91], v[140:141] neg_lo:[0,1] neg_hi:[0,1]
	v_pk_fma_f32 v[134:135], v[134:135], v[84:85], v[136:137] op_sel_hi:[1,1,0]
	s_delay_alu instid0(VALU_DEP_1)
	v_mov_b32_e32 v139, v135
	ds_load_2addr_b64 v[134:137], v128 offset0:57 offset1:58
	v_pk_add_f32 v[104:105], v[104:105], v[138:139] neg_lo:[0,1] neg_hi:[0,1]
	s_wait_dscnt 0x0
	v_pk_mul_f32 v[138:139], v[134:135], v[126:127] op_sel:[0,1]
	v_pk_mul_f32 v[126:127], v[136:137], v[126:127] op_sel:[0,1]
	s_delay_alu instid0(VALU_DEP_2) | instskip(SKIP_1) | instid1(VALU_DEP_1)
	v_pk_fma_f32 v[140:141], v[134:135], v[124:125], v[138:139] op_sel:[0,0,1] op_sel_hi:[1,1,0] neg_lo:[0,0,1] neg_hi:[0,0,1]
	v_pk_fma_f32 v[134:135], v[134:135], v[124:125], v[138:139] op_sel:[0,0,1] op_sel_hi:[1,0,0]
	v_mov_b32_e32 v141, v135
	s_delay_alu instid0(VALU_DEP_4) | instskip(SKIP_1) | instid1(VALU_DEP_1)
	v_pk_fma_f32 v[134:135], v[136:137], v[124:125], v[126:127] op_sel:[0,0,1] op_sel_hi:[1,1,0] neg_lo:[0,0,1] neg_hi:[0,0,1]
	v_pk_fma_f32 v[124:125], v[136:137], v[124:125], v[126:127] op_sel:[0,0,1] op_sel_hi:[1,0,0]
	v_mov_b32_e32 v135, v125
	s_delay_alu instid0(VALU_DEP_4) | instskip(NEXT) | instid1(VALU_DEP_2)
	v_pk_add_f32 v[98:99], v[98:99], v[140:141] neg_lo:[0,1] neg_hi:[0,1]
	v_pk_add_f32 v[122:123], v[122:123], v[134:135] neg_lo:[0,1] neg_hi:[0,1]
.LBB116_62:
	s_or_b32 exec_lo, exec_lo, s0
	v_lshl_add_u32 v124, v132, 3, v128
	s_barrier_signal -1
	s_barrier_wait -1
	ds_store_b64 v124, v[74:75]
	s_wait_dscnt 0x0
	s_barrier_signal -1
	s_barrier_wait -1
	ds_load_b64 v[126:127], v128 offset:24
	v_mov_b32_e32 v124, 3
	s_cmp_lt_i32 s18, 5
	s_cbranch_scc1 .LBB116_65
; %bb.63:
	v_mov_b32_e32 v124, 3
	v_add3_u32 v125, v129, 0, 32
	s_mov_b32 s0, 4
.LBB116_64:                             ; =>This Inner Loop Header: Depth=1
	ds_load_b64 v[134:135], v125
	s_wait_dscnt 0x1
	v_cmp_gt_f32_e32 vcc_lo, 0, v126
	v_cndmask_b32_e64 v136, v126, -v126, vcc_lo
	v_cmp_gt_f32_e32 vcc_lo, 0, v127
	v_cndmask_b32_e64 v138, v127, -v127, vcc_lo
	s_wait_dscnt 0x0
	v_cmp_gt_f32_e32 vcc_lo, 0, v134
	v_cndmask_b32_e64 v137, v134, -v134, vcc_lo
	v_cmp_gt_f32_e32 vcc_lo, 0, v135
	v_cndmask_b32_e64 v139, v135, -v135, vcc_lo
	s_delay_alu instid0(VALU_DEP_1) | instskip(NEXT) | instid1(VALU_DEP_1)
	v_pk_add_f32 v[136:137], v[136:137], v[138:139]
	v_cmp_lt_f32_e32 vcc_lo, v136, v137
	v_dual_add_nc_u32 v125, 8, v125 :: v_dual_cndmask_b32 v127, v127, v135, vcc_lo
	v_cndmask_b32_e32 v126, v126, v134, vcc_lo
	v_cndmask_b32_e64 v124, v124, s0, vcc_lo
	s_add_co_i32 s0, s0, 1
	s_delay_alu instid0(SALU_CYCLE_1)
	s_cmp_lg_u32 s18, s0
	s_cbranch_scc1 .LBB116_64
.LBB116_65:
	s_wait_dscnt 0x0
	v_cmp_eq_f32_e32 vcc_lo, 0, v126
	v_cmp_eq_f32_e64 s0, 0, v127
	s_and_b32 s0, vcc_lo, s0
	s_delay_alu instid0(SALU_CYCLE_1) | instskip(NEXT) | instid1(SALU_CYCLE_1)
	s_and_saveexec_b32 s1, s0
	s_xor_b32 s0, exec_lo, s1
; %bb.66:
	v_cmp_ne_u32_e32 vcc_lo, 0, v130
	v_cndmask_b32_e32 v130, 4, v130, vcc_lo
; %bb.67:
	s_and_not1_saveexec_b32 s0, s0
	s_cbranch_execz .LBB116_73
; %bb.68:
	v_cmp_ngt_f32_e64 s1, |v126|, |v127|
	s_and_saveexec_b32 s12, s1
	s_delay_alu instid0(SALU_CYCLE_1)
	s_xor_b32 s1, exec_lo, s12
	s_cbranch_execz .LBB116_70
; %bb.69:
	v_div_scale_f32 v125, null, v127, v127, v126
	v_div_scale_f32 v135, vcc_lo, v126, v127, v126
	s_delay_alu instid0(VALU_DEP_2) | instskip(SKIP_1) | instid1(TRANS32_DEP_1)
	v_rcp_f32_e32 v133, v125
	v_nop
	v_fma_f32 v134, -v125, v133, 1.0
	s_delay_alu instid0(VALU_DEP_1) | instskip(NEXT) | instid1(VALU_DEP_1)
	v_fmac_f32_e32 v133, v134, v133
	v_mul_f32_e32 v134, v135, v133
	s_delay_alu instid0(VALU_DEP_1) | instskip(NEXT) | instid1(VALU_DEP_1)
	v_fma_f32 v136, -v125, v134, v135
	v_fmac_f32_e32 v134, v136, v133
	s_delay_alu instid0(VALU_DEP_1) | instskip(NEXT) | instid1(VALU_DEP_1)
	v_fma_f32 v125, -v125, v134, v135
	v_div_fmas_f32 v125, v125, v133, v134
	s_delay_alu instid0(VALU_DEP_1) | instskip(NEXT) | instid1(VALU_DEP_1)
	v_div_fixup_f32 v125, v125, v127, v126
	v_fmac_f32_e32 v127, v126, v125
	s_delay_alu instid0(VALU_DEP_1) | instskip(SKIP_1) | instid1(VALU_DEP_2)
	v_div_scale_f32 v126, null, v127, v127, 1.0
	v_div_scale_f32 v135, vcc_lo, 1.0, v127, 1.0
	v_rcp_f32_e32 v133, v126
	v_nop
	s_delay_alu instid0(TRANS32_DEP_1) | instskip(NEXT) | instid1(VALU_DEP_1)
	v_fma_f32 v134, -v126, v133, 1.0
	v_fmac_f32_e32 v133, v134, v133
	s_delay_alu instid0(VALU_DEP_1) | instskip(NEXT) | instid1(VALU_DEP_1)
	v_mul_f32_e32 v134, v135, v133
	v_fma_f32 v136, -v126, v134, v135
	s_delay_alu instid0(VALU_DEP_1) | instskip(NEXT) | instid1(VALU_DEP_1)
	v_fmac_f32_e32 v134, v136, v133
	v_fma_f32 v126, -v126, v134, v135
	s_delay_alu instid0(VALU_DEP_1) | instskip(NEXT) | instid1(VALU_DEP_1)
	v_div_fmas_f32 v126, v126, v133, v134
	v_div_fixup_f32 v127, v126, v127, 1.0
	s_delay_alu instid0(VALU_DEP_1)
	v_mul_f32_e32 v126, v125, v127
	v_xor_b32_e32 v127, 0x80000000, v127
.LBB116_70:
	s_and_not1_saveexec_b32 s1, s1
	s_cbranch_execz .LBB116_72
; %bb.71:
	s_delay_alu instid0(VALU_DEP_1) | instskip(SKIP_1) | instid1(VALU_DEP_2)
	v_div_scale_f32 v125, null, v126, v126, v127
	v_div_scale_f32 v135, vcc_lo, v127, v126, v127
	v_rcp_f32_e32 v133, v125
	v_nop
	s_delay_alu instid0(TRANS32_DEP_1) | instskip(NEXT) | instid1(VALU_DEP_1)
	v_fma_f32 v134, -v125, v133, 1.0
	v_fmac_f32_e32 v133, v134, v133
	s_delay_alu instid0(VALU_DEP_1) | instskip(NEXT) | instid1(VALU_DEP_1)
	v_mul_f32_e32 v134, v135, v133
	v_fma_f32 v136, -v125, v134, v135
	s_delay_alu instid0(VALU_DEP_1) | instskip(NEXT) | instid1(VALU_DEP_1)
	v_fmac_f32_e32 v134, v136, v133
	v_fma_f32 v125, -v125, v134, v135
	s_delay_alu instid0(VALU_DEP_1) | instskip(NEXT) | instid1(VALU_DEP_1)
	v_div_fmas_f32 v125, v125, v133, v134
	v_div_fixup_f32 v125, v125, v126, v127
	s_delay_alu instid0(VALU_DEP_1) | instskip(NEXT) | instid1(VALU_DEP_1)
	v_fmac_f32_e32 v126, v127, v125
	v_div_scale_f32 v127, null, v126, v126, 1.0
	s_delay_alu instid0(VALU_DEP_1) | instskip(SKIP_1) | instid1(TRANS32_DEP_1)
	v_rcp_f32_e32 v133, v127
	v_nop
	v_fma_f32 v134, -v127, v133, 1.0
	s_delay_alu instid0(VALU_DEP_1) | instskip(SKIP_1) | instid1(VALU_DEP_1)
	v_fmac_f32_e32 v133, v134, v133
	v_div_scale_f32 v134, vcc_lo, 1.0, v126, 1.0
	v_mul_f32_e32 v135, v134, v133
	s_delay_alu instid0(VALU_DEP_1) | instskip(NEXT) | instid1(VALU_DEP_1)
	v_fma_f32 v136, -v127, v135, v134
	v_fmac_f32_e32 v135, v136, v133
	s_delay_alu instid0(VALU_DEP_1) | instskip(NEXT) | instid1(VALU_DEP_1)
	v_fma_f32 v127, -v127, v135, v134
	v_div_fmas_f32 v127, v127, v133, v135
	s_delay_alu instid0(VALU_DEP_1) | instskip(NEXT) | instid1(VALU_DEP_1)
	v_div_fixup_f32 v126, v127, v126, 1.0
	v_mul_f32_e64 v127, v125, -v126
.LBB116_72:
	s_or_b32 exec_lo, exec_lo, s1
.LBB116_73:
	s_delay_alu instid0(SALU_CYCLE_1) | instskip(NEXT) | instid1(SALU_CYCLE_1)
	s_or_b32 exec_lo, exec_lo, s0
	s_mov_b32 s0, exec_lo
	v_cmpx_ne_u32_e64 v132, v124
	s_xor_b32 s0, exec_lo, s0
	s_cbranch_execz .LBB116_79
; %bb.74:
	s_mov_b32 s1, exec_lo
	v_cmpx_eq_u32_e32 3, v132
	s_cbranch_execz .LBB116_78
; %bb.75:
	v_cmp_ne_u32_e32 vcc_lo, 3, v124
	s_xor_b32 s12, s16, -1
	s_delay_alu instid0(SALU_CYCLE_1) | instskip(NEXT) | instid1(SALU_CYCLE_1)
	s_and_b32 s13, s12, vcc_lo
	s_and_saveexec_b32 s12, s13
	s_cbranch_execz .LBB116_77
; %bb.76:
	v_ashrrev_i32_e32 v125, 31, v124
	s_delay_alu instid0(VALU_DEP_1)
	v_lshl_add_u64 v[132:133], v[124:125], 2, v[4:5]
	s_clause 0x1
	global_load_b32 v125, v[132:133], off
	global_load_b32 v131, v[4:5], off offset:12
	s_wait_loadcnt 0x1
	global_store_b32 v[4:5], v125, off offset:12
	s_wait_loadcnt 0x0
	global_store_b32 v[132:133], v131, off
.LBB116_77:
	s_wait_xcnt 0x0
	s_or_b32 exec_lo, exec_lo, s12
	v_dual_mov_b32 v132, v124 :: v_dual_mov_b32 v131, v124
.LBB116_78:
	s_or_b32 exec_lo, exec_lo, s1
.LBB116_79:
	s_and_not1_saveexec_b32 s0, s0
	s_cbranch_execz .LBB116_81
; %bb.80:
	v_dual_mov_b32 v124, v40 :: v_dual_mov_b32 v125, v41
	v_dual_mov_b32 v132, v30 :: v_dual_mov_b32 v133, v31
	ds_store_2addr_b64 v128, v[124:125], v[132:133] offset0:4 offset1:5
	v_dual_mov_b32 v124, v16 :: v_dual_mov_b32 v125, v17
	v_dual_mov_b32 v132, v10 :: v_dual_mov_b32 v133, v11
	ds_store_2addr_b64 v128, v[124:125], v[132:133] offset0:6 offset1:7
	;; [unrolled: 3-line block ×27, first 2 shown]
	ds_store_b64 v128, v[122:123] offset:464
	v_mov_b32_e32 v132, 3
.LBB116_81:
	s_or_b32 exec_lo, exec_lo, s0
	s_delay_alu instid0(SALU_CYCLE_1)
	s_mov_b32 s0, exec_lo
	s_wait_storecnt_dscnt 0x0
	s_barrier_signal -1
	s_barrier_wait -1
	v_cmpx_lt_i32_e32 3, v132
	s_cbranch_execz .LBB116_83
; %bb.82:
	v_pk_mul_f32 v[134:135], v[126:127], v[74:75] op_sel:[1,1] op_sel_hi:[0,1]
	s_delay_alu instid0(VALU_DEP_1)
	v_pk_fma_f32 v[124:125], v[126:127], v[74:75], v[134:135] op_sel_hi:[1,0,1] neg_lo:[0,0,1] neg_hi:[0,0,1]
	v_pk_fma_f32 v[126:127], v[126:127], v[74:75], v[134:135] op_sel_hi:[1,0,1]
	ds_load_2addr_b64 v[134:137], v128 offset0:4 offset1:5
	v_dual_mov_b32 v74, v124 :: v_dual_mov_b32 v75, v127
	s_wait_dscnt 0x0
	v_pk_mul_f32 v[138:139], v[134:135], v[126:127] op_sel:[0,1]
	s_delay_alu instid0(VALU_DEP_1) | instskip(SKIP_1) | instid1(VALU_DEP_1)
	v_pk_fma_f32 v[140:141], v[134:135], v[124:125], v[138:139] op_sel:[0,0,1] op_sel_hi:[1,1,0] neg_lo:[0,0,1] neg_hi:[0,0,1]
	v_pk_fma_f32 v[134:135], v[134:135], v[124:125], v[138:139] op_sel:[0,0,1] op_sel_hi:[1,0,0]
	v_mov_b32_e32 v141, v135
	v_pk_mul_f32 v[134:135], v[136:137], v[126:127] op_sel:[0,1]
	s_delay_alu instid0(VALU_DEP_1) | instskip(SKIP_1) | instid1(VALU_DEP_1)
	v_pk_fma_f32 v[138:139], v[136:137], v[124:125], v[134:135] op_sel:[0,0,1] op_sel_hi:[1,1,0] neg_lo:[0,0,1] neg_hi:[0,0,1]
	v_pk_fma_f32 v[134:135], v[136:137], v[124:125], v[134:135] op_sel:[0,0,1] op_sel_hi:[1,0,0]
	v_mov_b32_e32 v139, v135
	ds_load_2addr_b64 v[134:137], v128 offset0:6 offset1:7
	v_pk_add_f32 v[40:41], v[40:41], v[140:141] neg_lo:[0,1] neg_hi:[0,1]
	v_pk_add_f32 v[30:31], v[30:31], v[138:139] neg_lo:[0,1] neg_hi:[0,1]
	s_wait_dscnt 0x0
	v_pk_mul_f32 v[138:139], v[134:135], v[126:127] op_sel:[0,1]
	s_delay_alu instid0(VALU_DEP_1) | instskip(SKIP_2) | instid1(VALU_DEP_2)
	v_pk_fma_f32 v[140:141], v[134:135], v[124:125], v[138:139] op_sel:[0,0,1] op_sel_hi:[1,1,0] neg_lo:[0,0,1] neg_hi:[0,0,1]
	v_pk_fma_f32 v[134:135], v[134:135], v[124:125], v[138:139] op_sel:[0,0,1] op_sel_hi:[1,0,0]
	v_dual_mul_f32 v138, v137, v127 :: v_dual_mov_b32 v134, v137
	v_dual_mov_b32 v141, v135 :: v_dual_mov_b32 v135, v136
	s_delay_alu instid0(VALU_DEP_2) | instskip(SKIP_1) | instid1(VALU_DEP_3)
	v_pk_fma_f32 v[138:139], v[136:137], v[74:75], v[138:139] op_sel_hi:[1,1,0] neg_lo:[0,0,1] neg_hi:[0,0,1]
	v_mul_f32_e32 v136, v137, v124
	v_pk_add_f32 v[16:17], v[16:17], v[140:141] neg_lo:[0,1] neg_hi:[0,1]
	s_delay_alu instid0(VALU_DEP_2) | instskip(NEXT) | instid1(VALU_DEP_1)
	v_pk_fma_f32 v[134:135], v[134:135], v[74:75], v[136:137] op_sel_hi:[1,1,0]
	v_mov_b32_e32 v139, v135
	ds_load_2addr_b64 v[134:137], v128 offset0:8 offset1:9
	v_pk_add_f32 v[10:11], v[10:11], v[138:139] neg_lo:[0,1] neg_hi:[0,1]
	s_wait_dscnt 0x0
	v_pk_mul_f32 v[138:139], v[134:135], v[126:127] op_sel:[0,1]
	s_delay_alu instid0(VALU_DEP_1) | instskip(SKIP_1) | instid1(VALU_DEP_1)
	v_pk_fma_f32 v[140:141], v[134:135], v[124:125], v[138:139] op_sel:[0,0,1] op_sel_hi:[1,1,0] neg_lo:[0,0,1] neg_hi:[0,0,1]
	v_pk_fma_f32 v[134:135], v[134:135], v[124:125], v[138:139] op_sel:[0,0,1] op_sel_hi:[1,0,0]
	v_mov_b32_e32 v141, v135
	v_pk_mul_f32 v[134:135], v[136:137], v[126:127] op_sel:[0,1]
	s_delay_alu instid0(VALU_DEP_1) | instskip(SKIP_1) | instid1(VALU_DEP_1)
	v_pk_fma_f32 v[138:139], v[136:137], v[124:125], v[134:135] op_sel:[0,0,1] op_sel_hi:[1,1,0] neg_lo:[0,0,1] neg_hi:[0,0,1]
	v_pk_fma_f32 v[134:135], v[136:137], v[124:125], v[134:135] op_sel:[0,0,1] op_sel_hi:[1,0,0]
	v_mov_b32_e32 v139, v135
	ds_load_2addr_b64 v[134:137], v128 offset0:10 offset1:11
	v_pk_add_f32 v[24:25], v[24:25], v[140:141] neg_lo:[0,1] neg_hi:[0,1]
	v_pk_add_f32 v[22:23], v[22:23], v[138:139] neg_lo:[0,1] neg_hi:[0,1]
	s_wait_dscnt 0x0
	v_pk_mul_f32 v[138:139], v[134:135], v[126:127] op_sel:[0,1]
	s_delay_alu instid0(VALU_DEP_1) | instskip(SKIP_1) | instid1(VALU_DEP_1)
	v_pk_fma_f32 v[140:141], v[134:135], v[124:125], v[138:139] op_sel:[0,0,1] op_sel_hi:[1,1,0] neg_lo:[0,0,1] neg_hi:[0,0,1]
	v_pk_fma_f32 v[134:135], v[134:135], v[124:125], v[138:139] op_sel:[0,0,1] op_sel_hi:[1,0,0]
	v_mov_b32_e32 v141, v135
	v_pk_mul_f32 v[134:135], v[136:137], v[126:127] op_sel:[0,1]
	s_delay_alu instid0(VALU_DEP_1) | instskip(SKIP_1) | instid1(VALU_DEP_1)
	v_pk_fma_f32 v[138:139], v[136:137], v[124:125], v[134:135] op_sel:[0,0,1] op_sel_hi:[1,1,0] neg_lo:[0,0,1] neg_hi:[0,0,1]
	v_pk_fma_f32 v[134:135], v[136:137], v[124:125], v[134:135] op_sel:[0,0,1] op_sel_hi:[1,0,0]
	v_mov_b32_e32 v139, v135
	ds_load_2addr_b64 v[134:137], v128 offset0:12 offset1:13
	v_pk_add_f32 v[8:9], v[8:9], v[140:141] neg_lo:[0,1] neg_hi:[0,1]
	v_pk_add_f32 v[6:7], v[6:7], v[138:139] neg_lo:[0,1] neg_hi:[0,1]
	s_wait_dscnt 0x0
	v_dual_mul_f32 v138, v135, v127 :: v_dual_mul_f32 v140, v135, v124
	s_delay_alu instid0(VALU_DEP_1) | instskip(NEXT) | instid1(VALU_DEP_2)
	v_pk_fma_f32 v[138:139], v[134:135], v[74:75], v[138:139] op_sel_hi:[1,1,0] neg_lo:[0,0,1] neg_hi:[0,0,1]
	v_pk_fma_f32 v[134:135], v[134:135], v[74:75], v[140:141] op_sel:[1,0,0] op_sel_hi:[0,1,0]
	s_delay_alu instid0(VALU_DEP_1) | instskip(SKIP_1) | instid1(VALU_DEP_2)
	v_mov_b32_e32 v139, v135
	v_pk_mul_f32 v[134:135], v[136:137], v[126:127] op_sel:[0,1]
	v_pk_add_f32 v[34:35], v[34:35], v[138:139] neg_lo:[0,1] neg_hi:[0,1]
	s_delay_alu instid0(VALU_DEP_2) | instskip(SKIP_1) | instid1(VALU_DEP_1)
	v_pk_fma_f32 v[138:139], v[136:137], v[124:125], v[134:135] op_sel:[0,0,1] op_sel_hi:[1,1,0] neg_lo:[0,0,1] neg_hi:[0,0,1]
	v_pk_fma_f32 v[134:135], v[136:137], v[124:125], v[134:135] op_sel:[0,0,1] op_sel_hi:[1,0,0]
	v_mov_b32_e32 v139, v135
	ds_load_2addr_b64 v[134:137], v128 offset0:14 offset1:15
	v_pk_add_f32 v[32:33], v[32:33], v[138:139] neg_lo:[0,1] neg_hi:[0,1]
	s_wait_dscnt 0x0
	v_pk_mul_f32 v[138:139], v[134:135], v[126:127] op_sel:[0,1]
	s_delay_alu instid0(VALU_DEP_1) | instskip(SKIP_1) | instid1(VALU_DEP_1)
	v_pk_fma_f32 v[140:141], v[134:135], v[124:125], v[138:139] op_sel:[0,0,1] op_sel_hi:[1,1,0] neg_lo:[0,0,1] neg_hi:[0,0,1]
	v_pk_fma_f32 v[134:135], v[134:135], v[124:125], v[138:139] op_sel:[0,0,1] op_sel_hi:[1,0,0]
	v_mov_b32_e32 v141, v135
	v_pk_mul_f32 v[134:135], v[136:137], v[126:127] op_sel:[0,1]
	s_delay_alu instid0(VALU_DEP_2) | instskip(NEXT) | instid1(VALU_DEP_2)
	v_pk_add_f32 v[14:15], v[14:15], v[140:141] neg_lo:[0,1] neg_hi:[0,1]
	v_pk_fma_f32 v[138:139], v[136:137], v[124:125], v[134:135] op_sel:[0,0,1] op_sel_hi:[1,1,0] neg_lo:[0,0,1] neg_hi:[0,0,1]
	v_pk_fma_f32 v[134:135], v[136:137], v[124:125], v[134:135] op_sel:[0,0,1] op_sel_hi:[1,0,0]
	s_delay_alu instid0(VALU_DEP_1) | instskip(SKIP_4) | instid1(VALU_DEP_1)
	v_mov_b32_e32 v139, v135
	ds_load_2addr_b64 v[134:137], v128 offset0:16 offset1:17
	v_pk_add_f32 v[12:13], v[12:13], v[138:139] neg_lo:[0,1] neg_hi:[0,1]
	s_wait_dscnt 0x0
	v_pk_mul_f32 v[138:139], v[134:135], v[126:127] op_sel:[0,1]
	v_pk_fma_f32 v[140:141], v[134:135], v[124:125], v[138:139] op_sel:[0,0,1] op_sel_hi:[1,1,0] neg_lo:[0,0,1] neg_hi:[0,0,1]
	v_pk_fma_f32 v[134:135], v[134:135], v[124:125], v[138:139] op_sel:[0,0,1] op_sel_hi:[1,0,0]
	v_dual_mul_f32 v138, v137, v127 :: v_dual_mov_b32 v134, v137
	s_delay_alu instid0(VALU_DEP_2) | instskip(NEXT) | instid1(VALU_DEP_2)
	v_dual_mov_b32 v141, v135 :: v_dual_mov_b32 v135, v136
	v_pk_fma_f32 v[138:139], v[136:137], v[74:75], v[138:139] op_sel_hi:[1,1,0] neg_lo:[0,0,1] neg_hi:[0,0,1]
	v_mul_f32_e32 v136, v137, v124
	s_delay_alu instid0(VALU_DEP_3) | instskip(NEXT) | instid1(VALU_DEP_2)
	v_pk_add_f32 v[44:45], v[44:45], v[140:141] neg_lo:[0,1] neg_hi:[0,1]
	v_pk_fma_f32 v[134:135], v[134:135], v[74:75], v[136:137] op_sel_hi:[1,1,0]
	s_delay_alu instid0(VALU_DEP_1) | instskip(SKIP_4) | instid1(VALU_DEP_1)
	v_mov_b32_e32 v139, v135
	ds_load_2addr_b64 v[134:137], v128 offset0:18 offset1:19
	v_pk_add_f32 v[42:43], v[42:43], v[138:139] neg_lo:[0,1] neg_hi:[0,1]
	s_wait_dscnt 0x0
	v_pk_mul_f32 v[138:139], v[134:135], v[126:127] op_sel:[0,1]
	v_pk_fma_f32 v[140:141], v[134:135], v[124:125], v[138:139] op_sel:[0,0,1] op_sel_hi:[1,1,0] neg_lo:[0,0,1] neg_hi:[0,0,1]
	v_pk_fma_f32 v[134:135], v[134:135], v[124:125], v[138:139] op_sel:[0,0,1] op_sel_hi:[1,0,0]
	s_delay_alu instid0(VALU_DEP_1) | instskip(SKIP_1) | instid1(VALU_DEP_1)
	v_mov_b32_e32 v141, v135
	v_pk_mul_f32 v[134:135], v[136:137], v[126:127] op_sel:[0,1]
	v_pk_fma_f32 v[138:139], v[136:137], v[124:125], v[134:135] op_sel:[0,0,1] op_sel_hi:[1,1,0] neg_lo:[0,0,1] neg_hi:[0,0,1]
	v_pk_fma_f32 v[134:135], v[136:137], v[124:125], v[134:135] op_sel:[0,0,1] op_sel_hi:[1,0,0]
	s_delay_alu instid0(VALU_DEP_1)
	v_mov_b32_e32 v139, v135
	ds_load_2addr_b64 v[134:137], v128 offset0:20 offset1:21
	v_pk_add_f32 v[20:21], v[20:21], v[140:141] neg_lo:[0,1] neg_hi:[0,1]
	v_pk_add_f32 v[18:19], v[18:19], v[138:139] neg_lo:[0,1] neg_hi:[0,1]
	s_wait_dscnt 0x0
	v_pk_mul_f32 v[138:139], v[134:135], v[126:127] op_sel:[0,1]
	s_delay_alu instid0(VALU_DEP_1) | instskip(SKIP_1) | instid1(VALU_DEP_1)
	v_pk_fma_f32 v[140:141], v[134:135], v[124:125], v[138:139] op_sel:[0,0,1] op_sel_hi:[1,1,0] neg_lo:[0,0,1] neg_hi:[0,0,1]
	v_pk_fma_f32 v[134:135], v[134:135], v[124:125], v[138:139] op_sel:[0,0,1] op_sel_hi:[1,0,0]
	v_mov_b32_e32 v141, v135
	v_pk_mul_f32 v[134:135], v[136:137], v[126:127] op_sel:[0,1]
	s_delay_alu instid0(VALU_DEP_1) | instskip(SKIP_1) | instid1(VALU_DEP_1)
	v_pk_fma_f32 v[138:139], v[136:137], v[124:125], v[134:135] op_sel:[0,0,1] op_sel_hi:[1,1,0] neg_lo:[0,0,1] neg_hi:[0,0,1]
	v_pk_fma_f32 v[134:135], v[136:137], v[124:125], v[134:135] op_sel:[0,0,1] op_sel_hi:[1,0,0]
	v_mov_b32_e32 v139, v135
	ds_load_2addr_b64 v[134:137], v128 offset0:22 offset1:23
	v_pk_add_f32 v[52:53], v[52:53], v[140:141] neg_lo:[0,1] neg_hi:[0,1]
	v_pk_add_f32 v[50:51], v[50:51], v[138:139] neg_lo:[0,1] neg_hi:[0,1]
	s_wait_dscnt 0x0
	v_dual_mul_f32 v138, v135, v127 :: v_dual_mul_f32 v140, v135, v124
	s_delay_alu instid0(VALU_DEP_1) | instskip(NEXT) | instid1(VALU_DEP_2)
	v_pk_fma_f32 v[138:139], v[134:135], v[74:75], v[138:139] op_sel_hi:[1,1,0] neg_lo:[0,0,1] neg_hi:[0,0,1]
	v_pk_fma_f32 v[134:135], v[134:135], v[74:75], v[140:141] op_sel:[1,0,0] op_sel_hi:[0,1,0]
	s_delay_alu instid0(VALU_DEP_1) | instskip(SKIP_1) | instid1(VALU_DEP_2)
	v_mov_b32_e32 v139, v135
	v_pk_mul_f32 v[134:135], v[136:137], v[126:127] op_sel:[0,1]
	v_pk_add_f32 v[28:29], v[28:29], v[138:139] neg_lo:[0,1] neg_hi:[0,1]
	s_delay_alu instid0(VALU_DEP_2) | instskip(SKIP_1) | instid1(VALU_DEP_1)
	v_pk_fma_f32 v[138:139], v[136:137], v[124:125], v[134:135] op_sel:[0,0,1] op_sel_hi:[1,1,0] neg_lo:[0,0,1] neg_hi:[0,0,1]
	v_pk_fma_f32 v[134:135], v[136:137], v[124:125], v[134:135] op_sel:[0,0,1] op_sel_hi:[1,0,0]
	v_mov_b32_e32 v139, v135
	ds_load_2addr_b64 v[134:137], v128 offset0:24 offset1:25
	v_pk_add_f32 v[26:27], v[26:27], v[138:139] neg_lo:[0,1] neg_hi:[0,1]
	s_wait_dscnt 0x0
	v_pk_mul_f32 v[138:139], v[134:135], v[126:127] op_sel:[0,1]
	s_delay_alu instid0(VALU_DEP_1) | instskip(SKIP_1) | instid1(VALU_DEP_1)
	v_pk_fma_f32 v[140:141], v[134:135], v[124:125], v[138:139] op_sel:[0,0,1] op_sel_hi:[1,1,0] neg_lo:[0,0,1] neg_hi:[0,0,1]
	v_pk_fma_f32 v[134:135], v[134:135], v[124:125], v[138:139] op_sel:[0,0,1] op_sel_hi:[1,0,0]
	v_mov_b32_e32 v141, v135
	v_pk_mul_f32 v[134:135], v[136:137], v[126:127] op_sel:[0,1]
	s_delay_alu instid0(VALU_DEP_2) | instskip(NEXT) | instid1(VALU_DEP_2)
	v_pk_add_f32 v[60:61], v[60:61], v[140:141] neg_lo:[0,1] neg_hi:[0,1]
	v_pk_fma_f32 v[138:139], v[136:137], v[124:125], v[134:135] op_sel:[0,0,1] op_sel_hi:[1,1,0] neg_lo:[0,0,1] neg_hi:[0,0,1]
	v_pk_fma_f32 v[134:135], v[136:137], v[124:125], v[134:135] op_sel:[0,0,1] op_sel_hi:[1,0,0]
	s_delay_alu instid0(VALU_DEP_1) | instskip(SKIP_4) | instid1(VALU_DEP_1)
	v_mov_b32_e32 v139, v135
	ds_load_2addr_b64 v[134:137], v128 offset0:26 offset1:27
	v_pk_add_f32 v[58:59], v[58:59], v[138:139] neg_lo:[0,1] neg_hi:[0,1]
	s_wait_dscnt 0x0
	v_pk_mul_f32 v[138:139], v[134:135], v[126:127] op_sel:[0,1]
	v_pk_fma_f32 v[140:141], v[134:135], v[124:125], v[138:139] op_sel:[0,0,1] op_sel_hi:[1,1,0] neg_lo:[0,0,1] neg_hi:[0,0,1]
	v_pk_fma_f32 v[134:135], v[134:135], v[124:125], v[138:139] op_sel:[0,0,1] op_sel_hi:[1,0,0]
	v_dual_mul_f32 v138, v137, v127 :: v_dual_mov_b32 v134, v137
	s_delay_alu instid0(VALU_DEP_2) | instskip(NEXT) | instid1(VALU_DEP_2)
	v_dual_mov_b32 v141, v135 :: v_dual_mov_b32 v135, v136
	v_pk_fma_f32 v[138:139], v[136:137], v[74:75], v[138:139] op_sel_hi:[1,1,0] neg_lo:[0,0,1] neg_hi:[0,0,1]
	v_mul_f32_e32 v136, v137, v124
	s_delay_alu instid0(VALU_DEP_3) | instskip(NEXT) | instid1(VALU_DEP_2)
	v_pk_add_f32 v[38:39], v[38:39], v[140:141] neg_lo:[0,1] neg_hi:[0,1]
	v_pk_fma_f32 v[134:135], v[134:135], v[74:75], v[136:137] op_sel_hi:[1,1,0]
	s_delay_alu instid0(VALU_DEP_1) | instskip(SKIP_4) | instid1(VALU_DEP_1)
	v_mov_b32_e32 v139, v135
	ds_load_2addr_b64 v[134:137], v128 offset0:28 offset1:29
	v_pk_add_f32 v[36:37], v[36:37], v[138:139] neg_lo:[0,1] neg_hi:[0,1]
	s_wait_dscnt 0x0
	v_pk_mul_f32 v[138:139], v[134:135], v[126:127] op_sel:[0,1]
	v_pk_fma_f32 v[140:141], v[134:135], v[124:125], v[138:139] op_sel:[0,0,1] op_sel_hi:[1,1,0] neg_lo:[0,0,1] neg_hi:[0,0,1]
	v_pk_fma_f32 v[134:135], v[134:135], v[124:125], v[138:139] op_sel:[0,0,1] op_sel_hi:[1,0,0]
	s_delay_alu instid0(VALU_DEP_1) | instskip(SKIP_1) | instid1(VALU_DEP_1)
	v_mov_b32_e32 v141, v135
	v_pk_mul_f32 v[134:135], v[136:137], v[126:127] op_sel:[0,1]
	v_pk_fma_f32 v[138:139], v[136:137], v[124:125], v[134:135] op_sel:[0,0,1] op_sel_hi:[1,1,0] neg_lo:[0,0,1] neg_hi:[0,0,1]
	v_pk_fma_f32 v[134:135], v[136:137], v[124:125], v[134:135] op_sel:[0,0,1] op_sel_hi:[1,0,0]
	s_delay_alu instid0(VALU_DEP_1)
	v_mov_b32_e32 v139, v135
	ds_load_2addr_b64 v[134:137], v128 offset0:30 offset1:31
	v_pk_add_f32 v[68:69], v[68:69], v[140:141] neg_lo:[0,1] neg_hi:[0,1]
	v_pk_add_f32 v[66:67], v[66:67], v[138:139] neg_lo:[0,1] neg_hi:[0,1]
	s_wait_dscnt 0x0
	v_pk_mul_f32 v[138:139], v[134:135], v[126:127] op_sel:[0,1]
	s_delay_alu instid0(VALU_DEP_1) | instskip(SKIP_1) | instid1(VALU_DEP_1)
	v_pk_fma_f32 v[140:141], v[134:135], v[124:125], v[138:139] op_sel:[0,0,1] op_sel_hi:[1,1,0] neg_lo:[0,0,1] neg_hi:[0,0,1]
	v_pk_fma_f32 v[134:135], v[134:135], v[124:125], v[138:139] op_sel:[0,0,1] op_sel_hi:[1,0,0]
	v_mov_b32_e32 v141, v135
	v_pk_mul_f32 v[134:135], v[136:137], v[126:127] op_sel:[0,1]
	s_delay_alu instid0(VALU_DEP_1) | instskip(SKIP_1) | instid1(VALU_DEP_1)
	v_pk_fma_f32 v[138:139], v[136:137], v[124:125], v[134:135] op_sel:[0,0,1] op_sel_hi:[1,1,0] neg_lo:[0,0,1] neg_hi:[0,0,1]
	v_pk_fma_f32 v[134:135], v[136:137], v[124:125], v[134:135] op_sel:[0,0,1] op_sel_hi:[1,0,0]
	v_mov_b32_e32 v139, v135
	ds_load_2addr_b64 v[134:137], v128 offset0:32 offset1:33
	v_pk_add_f32 v[48:49], v[48:49], v[140:141] neg_lo:[0,1] neg_hi:[0,1]
	v_pk_add_f32 v[46:47], v[46:47], v[138:139] neg_lo:[0,1] neg_hi:[0,1]
	s_wait_dscnt 0x0
	v_dual_mul_f32 v138, v135, v127 :: v_dual_mul_f32 v140, v135, v124
	s_delay_alu instid0(VALU_DEP_1) | instskip(NEXT) | instid1(VALU_DEP_2)
	v_pk_fma_f32 v[138:139], v[134:135], v[74:75], v[138:139] op_sel_hi:[1,1,0] neg_lo:[0,0,1] neg_hi:[0,0,1]
	v_pk_fma_f32 v[134:135], v[134:135], v[74:75], v[140:141] op_sel:[1,0,0] op_sel_hi:[0,1,0]
	s_delay_alu instid0(VALU_DEP_1) | instskip(SKIP_1) | instid1(VALU_DEP_2)
	v_mov_b32_e32 v139, v135
	v_pk_mul_f32 v[134:135], v[136:137], v[126:127] op_sel:[0,1]
	v_pk_add_f32 v[78:79], v[78:79], v[138:139] neg_lo:[0,1] neg_hi:[0,1]
	s_delay_alu instid0(VALU_DEP_2) | instskip(SKIP_1) | instid1(VALU_DEP_1)
	v_pk_fma_f32 v[138:139], v[136:137], v[124:125], v[134:135] op_sel:[0,0,1] op_sel_hi:[1,1,0] neg_lo:[0,0,1] neg_hi:[0,0,1]
	v_pk_fma_f32 v[134:135], v[136:137], v[124:125], v[134:135] op_sel:[0,0,1] op_sel_hi:[1,0,0]
	v_mov_b32_e32 v139, v135
	ds_load_2addr_b64 v[134:137], v128 offset0:34 offset1:35
	v_pk_add_f32 v[76:77], v[76:77], v[138:139] neg_lo:[0,1] neg_hi:[0,1]
	s_wait_dscnt 0x0
	v_pk_mul_f32 v[138:139], v[134:135], v[126:127] op_sel:[0,1]
	s_delay_alu instid0(VALU_DEP_1) | instskip(SKIP_1) | instid1(VALU_DEP_1)
	v_pk_fma_f32 v[140:141], v[134:135], v[124:125], v[138:139] op_sel:[0,0,1] op_sel_hi:[1,1,0] neg_lo:[0,0,1] neg_hi:[0,0,1]
	v_pk_fma_f32 v[134:135], v[134:135], v[124:125], v[138:139] op_sel:[0,0,1] op_sel_hi:[1,0,0]
	v_mov_b32_e32 v141, v135
	v_pk_mul_f32 v[134:135], v[136:137], v[126:127] op_sel:[0,1]
	s_delay_alu instid0(VALU_DEP_2) | instskip(NEXT) | instid1(VALU_DEP_2)
	v_pk_add_f32 v[56:57], v[56:57], v[140:141] neg_lo:[0,1] neg_hi:[0,1]
	v_pk_fma_f32 v[138:139], v[136:137], v[124:125], v[134:135] op_sel:[0,0,1] op_sel_hi:[1,1,0] neg_lo:[0,0,1] neg_hi:[0,0,1]
	v_pk_fma_f32 v[134:135], v[136:137], v[124:125], v[134:135] op_sel:[0,0,1] op_sel_hi:[1,0,0]
	s_delay_alu instid0(VALU_DEP_1) | instskip(SKIP_4) | instid1(VALU_DEP_1)
	v_mov_b32_e32 v139, v135
	ds_load_2addr_b64 v[134:137], v128 offset0:36 offset1:37
	v_pk_add_f32 v[54:55], v[54:55], v[138:139] neg_lo:[0,1] neg_hi:[0,1]
	s_wait_dscnt 0x0
	v_pk_mul_f32 v[138:139], v[134:135], v[126:127] op_sel:[0,1]
	v_pk_fma_f32 v[140:141], v[134:135], v[124:125], v[138:139] op_sel:[0,0,1] op_sel_hi:[1,1,0] neg_lo:[0,0,1] neg_hi:[0,0,1]
	v_pk_fma_f32 v[134:135], v[134:135], v[124:125], v[138:139] op_sel:[0,0,1] op_sel_hi:[1,0,0]
	v_dual_mul_f32 v138, v137, v127 :: v_dual_mov_b32 v134, v137
	s_delay_alu instid0(VALU_DEP_2) | instskip(NEXT) | instid1(VALU_DEP_2)
	v_dual_mov_b32 v141, v135 :: v_dual_mov_b32 v135, v136
	v_pk_fma_f32 v[138:139], v[136:137], v[74:75], v[138:139] op_sel_hi:[1,1,0] neg_lo:[0,0,1] neg_hi:[0,0,1]
	v_mul_f32_e32 v136, v137, v124
	s_delay_alu instid0(VALU_DEP_3) | instskip(NEXT) | instid1(VALU_DEP_2)
	v_pk_add_f32 v[88:89], v[88:89], v[140:141] neg_lo:[0,1] neg_hi:[0,1]
	v_pk_fma_f32 v[134:135], v[134:135], v[74:75], v[136:137] op_sel_hi:[1,1,0]
	s_delay_alu instid0(VALU_DEP_1) | instskip(SKIP_4) | instid1(VALU_DEP_1)
	v_mov_b32_e32 v139, v135
	ds_load_2addr_b64 v[134:137], v128 offset0:38 offset1:39
	v_pk_add_f32 v[86:87], v[86:87], v[138:139] neg_lo:[0,1] neg_hi:[0,1]
	s_wait_dscnt 0x0
	v_pk_mul_f32 v[138:139], v[134:135], v[126:127] op_sel:[0,1]
	v_pk_fma_f32 v[140:141], v[134:135], v[124:125], v[138:139] op_sel:[0,0,1] op_sel_hi:[1,1,0] neg_lo:[0,0,1] neg_hi:[0,0,1]
	v_pk_fma_f32 v[134:135], v[134:135], v[124:125], v[138:139] op_sel:[0,0,1] op_sel_hi:[1,0,0]
	s_delay_alu instid0(VALU_DEP_1) | instskip(SKIP_1) | instid1(VALU_DEP_1)
	v_mov_b32_e32 v141, v135
	v_pk_mul_f32 v[134:135], v[136:137], v[126:127] op_sel:[0,1]
	v_pk_fma_f32 v[138:139], v[136:137], v[124:125], v[134:135] op_sel:[0,0,1] op_sel_hi:[1,1,0] neg_lo:[0,0,1] neg_hi:[0,0,1]
	v_pk_fma_f32 v[134:135], v[136:137], v[124:125], v[134:135] op_sel:[0,0,1] op_sel_hi:[1,0,0]
	s_delay_alu instid0(VALU_DEP_1)
	v_mov_b32_e32 v139, v135
	ds_load_2addr_b64 v[134:137], v128 offset0:40 offset1:41
	v_pk_add_f32 v[64:65], v[64:65], v[140:141] neg_lo:[0,1] neg_hi:[0,1]
	v_pk_add_f32 v[62:63], v[62:63], v[138:139] neg_lo:[0,1] neg_hi:[0,1]
	s_wait_dscnt 0x0
	v_pk_mul_f32 v[138:139], v[134:135], v[126:127] op_sel:[0,1]
	s_delay_alu instid0(VALU_DEP_1) | instskip(SKIP_1) | instid1(VALU_DEP_1)
	v_pk_fma_f32 v[140:141], v[134:135], v[124:125], v[138:139] op_sel:[0,0,1] op_sel_hi:[1,1,0] neg_lo:[0,0,1] neg_hi:[0,0,1]
	v_pk_fma_f32 v[134:135], v[134:135], v[124:125], v[138:139] op_sel:[0,0,1] op_sel_hi:[1,0,0]
	v_mov_b32_e32 v141, v135
	v_pk_mul_f32 v[134:135], v[136:137], v[126:127] op_sel:[0,1]
	s_delay_alu instid0(VALU_DEP_1) | instskip(SKIP_1) | instid1(VALU_DEP_1)
	v_pk_fma_f32 v[138:139], v[136:137], v[124:125], v[134:135] op_sel:[0,0,1] op_sel_hi:[1,1,0] neg_lo:[0,0,1] neg_hi:[0,0,1]
	v_pk_fma_f32 v[134:135], v[136:137], v[124:125], v[134:135] op_sel:[0,0,1] op_sel_hi:[1,0,0]
	v_mov_b32_e32 v139, v135
	ds_load_2addr_b64 v[134:137], v128 offset0:42 offset1:43
	v_pk_add_f32 v[102:103], v[102:103], v[140:141] neg_lo:[0,1] neg_hi:[0,1]
	v_pk_add_f32 v[100:101], v[100:101], v[138:139] neg_lo:[0,1] neg_hi:[0,1]
	s_wait_dscnt 0x0
	v_dual_mul_f32 v138, v135, v127 :: v_dual_mul_f32 v140, v135, v124
	s_delay_alu instid0(VALU_DEP_1) | instskip(NEXT) | instid1(VALU_DEP_2)
	v_pk_fma_f32 v[138:139], v[134:135], v[74:75], v[138:139] op_sel_hi:[1,1,0] neg_lo:[0,0,1] neg_hi:[0,0,1]
	v_pk_fma_f32 v[134:135], v[134:135], v[74:75], v[140:141] op_sel:[1,0,0] op_sel_hi:[0,1,0]
	s_delay_alu instid0(VALU_DEP_1) | instskip(SKIP_1) | instid1(VALU_DEP_2)
	v_mov_b32_e32 v139, v135
	v_pk_mul_f32 v[134:135], v[136:137], v[126:127] op_sel:[0,1]
	v_pk_add_f32 v[72:73], v[72:73], v[138:139] neg_lo:[0,1] neg_hi:[0,1]
	s_delay_alu instid0(VALU_DEP_2) | instskip(SKIP_1) | instid1(VALU_DEP_1)
	v_pk_fma_f32 v[138:139], v[136:137], v[124:125], v[134:135] op_sel:[0,0,1] op_sel_hi:[1,1,0] neg_lo:[0,0,1] neg_hi:[0,0,1]
	v_pk_fma_f32 v[134:135], v[136:137], v[124:125], v[134:135] op_sel:[0,0,1] op_sel_hi:[1,0,0]
	v_mov_b32_e32 v139, v135
	ds_load_2addr_b64 v[134:137], v128 offset0:44 offset1:45
	v_pk_add_f32 v[70:71], v[70:71], v[138:139] neg_lo:[0,1] neg_hi:[0,1]
	s_wait_dscnt 0x0
	v_pk_mul_f32 v[138:139], v[134:135], v[126:127] op_sel:[0,1]
	s_delay_alu instid0(VALU_DEP_1) | instskip(SKIP_1) | instid1(VALU_DEP_1)
	v_pk_fma_f32 v[140:141], v[134:135], v[124:125], v[138:139] op_sel:[0,0,1] op_sel_hi:[1,1,0] neg_lo:[0,0,1] neg_hi:[0,0,1]
	v_pk_fma_f32 v[134:135], v[134:135], v[124:125], v[138:139] op_sel:[0,0,1] op_sel_hi:[1,0,0]
	v_mov_b32_e32 v141, v135
	v_pk_mul_f32 v[134:135], v[136:137], v[126:127] op_sel:[0,1]
	s_delay_alu instid0(VALU_DEP_2) | instskip(NEXT) | instid1(VALU_DEP_2)
	v_pk_add_f32 v[110:111], v[110:111], v[140:141] neg_lo:[0,1] neg_hi:[0,1]
	v_pk_fma_f32 v[138:139], v[136:137], v[124:125], v[134:135] op_sel:[0,0,1] op_sel_hi:[1,1,0] neg_lo:[0,0,1] neg_hi:[0,0,1]
	v_pk_fma_f32 v[134:135], v[136:137], v[124:125], v[134:135] op_sel:[0,0,1] op_sel_hi:[1,0,0]
	s_delay_alu instid0(VALU_DEP_1) | instskip(SKIP_4) | instid1(VALU_DEP_1)
	v_mov_b32_e32 v139, v135
	ds_load_2addr_b64 v[134:137], v128 offset0:46 offset1:47
	v_pk_add_f32 v[108:109], v[108:109], v[138:139] neg_lo:[0,1] neg_hi:[0,1]
	s_wait_dscnt 0x0
	v_pk_mul_f32 v[138:139], v[134:135], v[126:127] op_sel:[0,1]
	v_pk_fma_f32 v[140:141], v[134:135], v[124:125], v[138:139] op_sel:[0,0,1] op_sel_hi:[1,1,0] neg_lo:[0,0,1] neg_hi:[0,0,1]
	v_pk_fma_f32 v[134:135], v[134:135], v[124:125], v[138:139] op_sel:[0,0,1] op_sel_hi:[1,0,0]
	v_dual_mul_f32 v138, v137, v127 :: v_dual_mov_b32 v134, v137
	s_delay_alu instid0(VALU_DEP_2) | instskip(NEXT) | instid1(VALU_DEP_2)
	v_dual_mov_b32 v141, v135 :: v_dual_mov_b32 v135, v136
	v_pk_fma_f32 v[138:139], v[136:137], v[74:75], v[138:139] op_sel_hi:[1,1,0] neg_lo:[0,0,1] neg_hi:[0,0,1]
	v_mul_f32_e32 v136, v137, v124
	s_delay_alu instid0(VALU_DEP_3) | instskip(NEXT) | instid1(VALU_DEP_2)
	v_pk_add_f32 v[82:83], v[82:83], v[140:141] neg_lo:[0,1] neg_hi:[0,1]
	v_pk_fma_f32 v[134:135], v[134:135], v[74:75], v[136:137] op_sel_hi:[1,1,0]
	s_delay_alu instid0(VALU_DEP_1) | instskip(SKIP_4) | instid1(VALU_DEP_1)
	v_mov_b32_e32 v139, v135
	ds_load_2addr_b64 v[134:137], v128 offset0:48 offset1:49
	v_pk_add_f32 v[80:81], v[80:81], v[138:139] neg_lo:[0,1] neg_hi:[0,1]
	s_wait_dscnt 0x0
	v_pk_mul_f32 v[138:139], v[134:135], v[126:127] op_sel:[0,1]
	v_pk_fma_f32 v[140:141], v[134:135], v[124:125], v[138:139] op_sel:[0,0,1] op_sel_hi:[1,1,0] neg_lo:[0,0,1] neg_hi:[0,0,1]
	v_pk_fma_f32 v[134:135], v[134:135], v[124:125], v[138:139] op_sel:[0,0,1] op_sel_hi:[1,0,0]
	s_delay_alu instid0(VALU_DEP_1) | instskip(SKIP_1) | instid1(VALU_DEP_1)
	v_mov_b32_e32 v141, v135
	v_pk_mul_f32 v[134:135], v[136:137], v[126:127] op_sel:[0,1]
	v_pk_fma_f32 v[138:139], v[136:137], v[124:125], v[134:135] op_sel:[0,0,1] op_sel_hi:[1,1,0] neg_lo:[0,0,1] neg_hi:[0,0,1]
	v_pk_fma_f32 v[134:135], v[136:137], v[124:125], v[134:135] op_sel:[0,0,1] op_sel_hi:[1,0,0]
	s_delay_alu instid0(VALU_DEP_1)
	v_mov_b32_e32 v139, v135
	ds_load_2addr_b64 v[134:137], v128 offset0:50 offset1:51
	v_pk_add_f32 v[120:121], v[120:121], v[140:141] neg_lo:[0,1] neg_hi:[0,1]
	v_pk_add_f32 v[118:119], v[118:119], v[138:139] neg_lo:[0,1] neg_hi:[0,1]
	s_wait_dscnt 0x0
	v_pk_mul_f32 v[138:139], v[134:135], v[126:127] op_sel:[0,1]
	s_delay_alu instid0(VALU_DEP_1) | instskip(SKIP_1) | instid1(VALU_DEP_1)
	v_pk_fma_f32 v[140:141], v[134:135], v[124:125], v[138:139] op_sel:[0,0,1] op_sel_hi:[1,1,0] neg_lo:[0,0,1] neg_hi:[0,0,1]
	v_pk_fma_f32 v[134:135], v[134:135], v[124:125], v[138:139] op_sel:[0,0,1] op_sel_hi:[1,0,0]
	v_mov_b32_e32 v141, v135
	v_pk_mul_f32 v[134:135], v[136:137], v[126:127] op_sel:[0,1]
	s_delay_alu instid0(VALU_DEP_1) | instskip(SKIP_1) | instid1(VALU_DEP_1)
	v_pk_fma_f32 v[138:139], v[136:137], v[124:125], v[134:135] op_sel:[0,0,1] op_sel_hi:[1,1,0] neg_lo:[0,0,1] neg_hi:[0,0,1]
	v_pk_fma_f32 v[134:135], v[136:137], v[124:125], v[134:135] op_sel:[0,0,1] op_sel_hi:[1,0,0]
	v_mov_b32_e32 v139, v135
	ds_load_2addr_b64 v[134:137], v128 offset0:52 offset1:53
	v_pk_add_f32 v[94:95], v[94:95], v[140:141] neg_lo:[0,1] neg_hi:[0,1]
	v_pk_add_f32 v[96:97], v[96:97], v[138:139] neg_lo:[0,1] neg_hi:[0,1]
	s_wait_dscnt 0x0
	v_dual_mul_f32 v138, v135, v127 :: v_dual_mul_f32 v140, v135, v124
	s_delay_alu instid0(VALU_DEP_1) | instskip(NEXT) | instid1(VALU_DEP_2)
	v_pk_fma_f32 v[138:139], v[134:135], v[74:75], v[138:139] op_sel_hi:[1,1,0] neg_lo:[0,0,1] neg_hi:[0,0,1]
	v_pk_fma_f32 v[134:135], v[134:135], v[74:75], v[140:141] op_sel:[1,0,0] op_sel_hi:[0,1,0]
	s_delay_alu instid0(VALU_DEP_1) | instskip(SKIP_1) | instid1(VALU_DEP_2)
	v_mov_b32_e32 v139, v135
	v_pk_mul_f32 v[134:135], v[136:137], v[126:127] op_sel:[0,1]
	v_pk_add_f32 v[114:115], v[114:115], v[138:139] neg_lo:[0,1] neg_hi:[0,1]
	s_delay_alu instid0(VALU_DEP_2) | instskip(SKIP_1) | instid1(VALU_DEP_1)
	v_pk_fma_f32 v[138:139], v[136:137], v[124:125], v[134:135] op_sel:[0,0,1] op_sel_hi:[1,1,0] neg_lo:[0,0,1] neg_hi:[0,0,1]
	v_pk_fma_f32 v[134:135], v[136:137], v[124:125], v[134:135] op_sel:[0,0,1] op_sel_hi:[1,0,0]
	v_mov_b32_e32 v139, v135
	ds_load_2addr_b64 v[134:137], v128 offset0:54 offset1:55
	v_pk_add_f32 v[112:113], v[112:113], v[138:139] neg_lo:[0,1] neg_hi:[0,1]
	s_wait_dscnt 0x0
	v_pk_mul_f32 v[138:139], v[134:135], v[126:127] op_sel:[0,1]
	s_delay_alu instid0(VALU_DEP_1) | instskip(SKIP_1) | instid1(VALU_DEP_1)
	v_pk_fma_f32 v[140:141], v[134:135], v[124:125], v[138:139] op_sel:[0,0,1] op_sel_hi:[1,1,0] neg_lo:[0,0,1] neg_hi:[0,0,1]
	v_pk_fma_f32 v[134:135], v[134:135], v[124:125], v[138:139] op_sel:[0,0,1] op_sel_hi:[1,0,0]
	v_mov_b32_e32 v141, v135
	v_pk_mul_f32 v[134:135], v[136:137], v[126:127] op_sel:[0,1]
	s_delay_alu instid0(VALU_DEP_2) | instskip(NEXT) | instid1(VALU_DEP_2)
	v_pk_add_f32 v[92:93], v[92:93], v[140:141] neg_lo:[0,1] neg_hi:[0,1]
	v_pk_fma_f32 v[138:139], v[136:137], v[124:125], v[134:135] op_sel:[0,0,1] op_sel_hi:[1,1,0] neg_lo:[0,0,1] neg_hi:[0,0,1]
	v_pk_fma_f32 v[134:135], v[136:137], v[124:125], v[134:135] op_sel:[0,0,1] op_sel_hi:[1,0,0]
	s_delay_alu instid0(VALU_DEP_1) | instskip(SKIP_4) | instid1(VALU_DEP_1)
	v_mov_b32_e32 v139, v135
	ds_load_2addr_b64 v[134:137], v128 offset0:56 offset1:57
	v_pk_add_f32 v[90:91], v[90:91], v[138:139] neg_lo:[0,1] neg_hi:[0,1]
	s_wait_dscnt 0x0
	v_pk_mul_f32 v[138:139], v[134:135], v[126:127] op_sel:[0,1]
	v_pk_fma_f32 v[140:141], v[134:135], v[124:125], v[138:139] op_sel:[0,0,1] op_sel_hi:[1,1,0] neg_lo:[0,0,1] neg_hi:[0,0,1]
	v_pk_fma_f32 v[134:135], v[134:135], v[124:125], v[138:139] op_sel:[0,0,1] op_sel_hi:[1,0,0]
	v_dual_mul_f32 v138, v137, v127 :: v_dual_mov_b32 v134, v137
	s_delay_alu instid0(VALU_DEP_2) | instskip(NEXT) | instid1(VALU_DEP_2)
	v_dual_mov_b32 v141, v135 :: v_dual_mov_b32 v135, v136
	v_pk_fma_f32 v[138:139], v[136:137], v[74:75], v[138:139] op_sel_hi:[1,1,0] neg_lo:[0,0,1] neg_hi:[0,0,1]
	v_mul_f32_e32 v136, v137, v124
	s_delay_alu instid0(VALU_DEP_3) | instskip(NEXT) | instid1(VALU_DEP_2)
	v_pk_add_f32 v[104:105], v[104:105], v[140:141] neg_lo:[0,1] neg_hi:[0,1]
	v_pk_fma_f32 v[134:135], v[134:135], v[74:75], v[136:137] op_sel_hi:[1,1,0]
	s_delay_alu instid0(VALU_DEP_1) | instskip(SKIP_4) | instid1(VALU_DEP_1)
	v_mov_b32_e32 v139, v135
	ds_load_b64 v[134:135], v128 offset:464
	v_pk_add_f32 v[98:99], v[98:99], v[138:139] neg_lo:[0,1] neg_hi:[0,1]
	s_wait_dscnt 0x0
	v_pk_mul_f32 v[126:127], v[134:135], v[126:127] op_sel:[0,1]
	v_pk_fma_f32 v[136:137], v[134:135], v[124:125], v[126:127] op_sel:[0,0,1] op_sel_hi:[1,1,0] neg_lo:[0,0,1] neg_hi:[0,0,1]
	v_pk_fma_f32 v[124:125], v[134:135], v[124:125], v[126:127] op_sel:[0,0,1] op_sel_hi:[1,0,0]
	s_delay_alu instid0(VALU_DEP_1) | instskip(NEXT) | instid1(VALU_DEP_1)
	v_mov_b32_e32 v137, v125
	v_pk_add_f32 v[122:123], v[122:123], v[136:137] neg_lo:[0,1] neg_hi:[0,1]
.LBB116_83:
	s_or_b32 exec_lo, exec_lo, s0
	v_lshl_add_u32 v124, v132, 3, v128
	s_barrier_signal -1
	s_barrier_wait -1
	ds_store_b64 v124, v[40:41]
	s_wait_dscnt 0x0
	s_barrier_signal -1
	s_barrier_wait -1
	ds_load_b64 v[126:127], v128 offset:32
	v_mov_b32_e32 v124, 4
	s_cmp_lt_i32 s18, 6
	s_cbranch_scc1 .LBB116_86
; %bb.84:
	v_add3_u32 v125, v129, 0, 40
	v_mov_b32_e32 v124, 4
	s_mov_b32 s0, 5
.LBB116_85:                             ; =>This Inner Loop Header: Depth=1
	ds_load_b64 v[134:135], v125
	s_wait_dscnt 0x1
	v_cmp_gt_f32_e32 vcc_lo, 0, v126
	v_cndmask_b32_e64 v136, v126, -v126, vcc_lo
	v_cmp_gt_f32_e32 vcc_lo, 0, v127
	v_cndmask_b32_e64 v138, v127, -v127, vcc_lo
	s_wait_dscnt 0x0
	v_cmp_gt_f32_e32 vcc_lo, 0, v134
	v_cndmask_b32_e64 v137, v134, -v134, vcc_lo
	v_cmp_gt_f32_e32 vcc_lo, 0, v135
	v_cndmask_b32_e64 v139, v135, -v135, vcc_lo
	s_delay_alu instid0(VALU_DEP_1) | instskip(NEXT) | instid1(VALU_DEP_1)
	v_pk_add_f32 v[136:137], v[136:137], v[138:139]
	v_cmp_lt_f32_e32 vcc_lo, v136, v137
	v_dual_add_nc_u32 v125, 8, v125 :: v_dual_cndmask_b32 v127, v127, v135, vcc_lo
	v_cndmask_b32_e32 v126, v126, v134, vcc_lo
	v_cndmask_b32_e64 v124, v124, s0, vcc_lo
	s_add_co_i32 s0, s0, 1
	s_delay_alu instid0(SALU_CYCLE_1)
	s_cmp_lg_u32 s18, s0
	s_cbranch_scc1 .LBB116_85
.LBB116_86:
	s_wait_dscnt 0x0
	v_cmp_eq_f32_e32 vcc_lo, 0, v126
	v_cmp_eq_f32_e64 s0, 0, v127
	s_and_b32 s0, vcc_lo, s0
	s_delay_alu instid0(SALU_CYCLE_1) | instskip(NEXT) | instid1(SALU_CYCLE_1)
	s_and_saveexec_b32 s1, s0
	s_xor_b32 s0, exec_lo, s1
; %bb.87:
	v_cmp_ne_u32_e32 vcc_lo, 0, v130
	v_cndmask_b32_e32 v130, 5, v130, vcc_lo
; %bb.88:
	s_and_not1_saveexec_b32 s0, s0
	s_cbranch_execz .LBB116_94
; %bb.89:
	v_cmp_ngt_f32_e64 s1, |v126|, |v127|
	s_and_saveexec_b32 s12, s1
	s_delay_alu instid0(SALU_CYCLE_1)
	s_xor_b32 s1, exec_lo, s12
	s_cbranch_execz .LBB116_91
; %bb.90:
	v_div_scale_f32 v125, null, v127, v127, v126
	v_div_scale_f32 v135, vcc_lo, v126, v127, v126
	s_delay_alu instid0(VALU_DEP_2) | instskip(SKIP_1) | instid1(TRANS32_DEP_1)
	v_rcp_f32_e32 v133, v125
	v_nop
	v_fma_f32 v134, -v125, v133, 1.0
	s_delay_alu instid0(VALU_DEP_1) | instskip(NEXT) | instid1(VALU_DEP_1)
	v_fmac_f32_e32 v133, v134, v133
	v_mul_f32_e32 v134, v135, v133
	s_delay_alu instid0(VALU_DEP_1) | instskip(NEXT) | instid1(VALU_DEP_1)
	v_fma_f32 v136, -v125, v134, v135
	v_fmac_f32_e32 v134, v136, v133
	s_delay_alu instid0(VALU_DEP_1) | instskip(NEXT) | instid1(VALU_DEP_1)
	v_fma_f32 v125, -v125, v134, v135
	v_div_fmas_f32 v125, v125, v133, v134
	s_delay_alu instid0(VALU_DEP_1) | instskip(NEXT) | instid1(VALU_DEP_1)
	v_div_fixup_f32 v125, v125, v127, v126
	v_fmac_f32_e32 v127, v126, v125
	s_delay_alu instid0(VALU_DEP_1) | instskip(SKIP_1) | instid1(VALU_DEP_2)
	v_div_scale_f32 v126, null, v127, v127, 1.0
	v_div_scale_f32 v135, vcc_lo, 1.0, v127, 1.0
	v_rcp_f32_e32 v133, v126
	v_nop
	s_delay_alu instid0(TRANS32_DEP_1) | instskip(NEXT) | instid1(VALU_DEP_1)
	v_fma_f32 v134, -v126, v133, 1.0
	v_fmac_f32_e32 v133, v134, v133
	s_delay_alu instid0(VALU_DEP_1) | instskip(NEXT) | instid1(VALU_DEP_1)
	v_mul_f32_e32 v134, v135, v133
	v_fma_f32 v136, -v126, v134, v135
	s_delay_alu instid0(VALU_DEP_1) | instskip(NEXT) | instid1(VALU_DEP_1)
	v_fmac_f32_e32 v134, v136, v133
	v_fma_f32 v126, -v126, v134, v135
	s_delay_alu instid0(VALU_DEP_1) | instskip(NEXT) | instid1(VALU_DEP_1)
	v_div_fmas_f32 v126, v126, v133, v134
	v_div_fixup_f32 v127, v126, v127, 1.0
	s_delay_alu instid0(VALU_DEP_1)
	v_mul_f32_e32 v126, v125, v127
	v_xor_b32_e32 v127, 0x80000000, v127
.LBB116_91:
	s_and_not1_saveexec_b32 s1, s1
	s_cbranch_execz .LBB116_93
; %bb.92:
	s_delay_alu instid0(VALU_DEP_1) | instskip(SKIP_1) | instid1(VALU_DEP_2)
	v_div_scale_f32 v125, null, v126, v126, v127
	v_div_scale_f32 v135, vcc_lo, v127, v126, v127
	v_rcp_f32_e32 v133, v125
	v_nop
	s_delay_alu instid0(TRANS32_DEP_1) | instskip(NEXT) | instid1(VALU_DEP_1)
	v_fma_f32 v134, -v125, v133, 1.0
	v_fmac_f32_e32 v133, v134, v133
	s_delay_alu instid0(VALU_DEP_1) | instskip(NEXT) | instid1(VALU_DEP_1)
	v_mul_f32_e32 v134, v135, v133
	v_fma_f32 v136, -v125, v134, v135
	s_delay_alu instid0(VALU_DEP_1) | instskip(NEXT) | instid1(VALU_DEP_1)
	v_fmac_f32_e32 v134, v136, v133
	v_fma_f32 v125, -v125, v134, v135
	s_delay_alu instid0(VALU_DEP_1) | instskip(NEXT) | instid1(VALU_DEP_1)
	v_div_fmas_f32 v125, v125, v133, v134
	v_div_fixup_f32 v125, v125, v126, v127
	s_delay_alu instid0(VALU_DEP_1) | instskip(NEXT) | instid1(VALU_DEP_1)
	v_fmac_f32_e32 v126, v127, v125
	v_div_scale_f32 v127, null, v126, v126, 1.0
	s_delay_alu instid0(VALU_DEP_1) | instskip(SKIP_1) | instid1(TRANS32_DEP_1)
	v_rcp_f32_e32 v133, v127
	v_nop
	v_fma_f32 v134, -v127, v133, 1.0
	s_delay_alu instid0(VALU_DEP_1) | instskip(SKIP_1) | instid1(VALU_DEP_1)
	v_fmac_f32_e32 v133, v134, v133
	v_div_scale_f32 v134, vcc_lo, 1.0, v126, 1.0
	v_mul_f32_e32 v135, v134, v133
	s_delay_alu instid0(VALU_DEP_1) | instskip(NEXT) | instid1(VALU_DEP_1)
	v_fma_f32 v136, -v127, v135, v134
	v_fmac_f32_e32 v135, v136, v133
	s_delay_alu instid0(VALU_DEP_1) | instskip(NEXT) | instid1(VALU_DEP_1)
	v_fma_f32 v127, -v127, v135, v134
	v_div_fmas_f32 v127, v127, v133, v135
	s_delay_alu instid0(VALU_DEP_1) | instskip(NEXT) | instid1(VALU_DEP_1)
	v_div_fixup_f32 v126, v127, v126, 1.0
	v_mul_f32_e64 v127, v125, -v126
.LBB116_93:
	s_or_b32 exec_lo, exec_lo, s1
.LBB116_94:
	s_delay_alu instid0(SALU_CYCLE_1) | instskip(NEXT) | instid1(SALU_CYCLE_1)
	s_or_b32 exec_lo, exec_lo, s0
	s_mov_b32 s0, exec_lo
	v_cmpx_ne_u32_e64 v132, v124
	s_xor_b32 s0, exec_lo, s0
	s_cbranch_execz .LBB116_100
; %bb.95:
	s_mov_b32 s1, exec_lo
	v_cmpx_eq_u32_e32 4, v132
	s_cbranch_execz .LBB116_99
; %bb.96:
	v_cmp_ne_u32_e32 vcc_lo, 4, v124
	s_xor_b32 s12, s16, -1
	s_delay_alu instid0(SALU_CYCLE_1) | instskip(NEXT) | instid1(SALU_CYCLE_1)
	s_and_b32 s13, s12, vcc_lo
	s_and_saveexec_b32 s12, s13
	s_cbranch_execz .LBB116_98
; %bb.97:
	v_ashrrev_i32_e32 v125, 31, v124
	s_delay_alu instid0(VALU_DEP_1)
	v_lshl_add_u64 v[132:133], v[124:125], 2, v[4:5]
	s_clause 0x1
	global_load_b32 v125, v[132:133], off
	global_load_b32 v131, v[4:5], off offset:16
	s_wait_loadcnt 0x1
	global_store_b32 v[4:5], v125, off offset:16
	s_wait_loadcnt 0x0
	global_store_b32 v[132:133], v131, off
.LBB116_98:
	s_wait_xcnt 0x0
	s_or_b32 exec_lo, exec_lo, s12
	v_dual_mov_b32 v132, v124 :: v_dual_mov_b32 v131, v124
.LBB116_99:
	s_or_b32 exec_lo, exec_lo, s1
.LBB116_100:
	s_and_not1_saveexec_b32 s0, s0
	s_cbranch_execz .LBB116_102
; %bb.101:
	v_mov_b32_e32 v132, 4
	ds_store_2addr_b64 v128, v[30:31], v[16:17] offset0:5 offset1:6
	ds_store_2addr_b64 v128, v[10:11], v[24:25] offset0:7 offset1:8
	;; [unrolled: 1-line block ×27, first 2 shown]
.LBB116_102:
	s_or_b32 exec_lo, exec_lo, s0
	s_delay_alu instid0(SALU_CYCLE_1)
	s_mov_b32 s0, exec_lo
	s_wait_storecnt_dscnt 0x0
	s_barrier_signal -1
	s_barrier_wait -1
	v_cmpx_lt_i32_e32 4, v132
	s_cbranch_execz .LBB116_104
; %bb.103:
	v_pk_mul_f32 v[134:135], v[126:127], v[40:41] op_sel:[1,1] op_sel_hi:[0,1]
	s_delay_alu instid0(VALU_DEP_1)
	v_pk_fma_f32 v[124:125], v[126:127], v[40:41], v[134:135] op_sel_hi:[1,0,1] neg_lo:[0,0,1] neg_hi:[0,0,1]
	v_pk_fma_f32 v[126:127], v[126:127], v[40:41], v[134:135] op_sel_hi:[1,0,1]
	ds_load_2addr_b64 v[134:137], v128 offset0:5 offset1:6
	v_dual_mov_b32 v40, v124 :: v_dual_mov_b32 v41, v127
	s_wait_dscnt 0x0
	v_pk_mul_f32 v[138:139], v[134:135], v[126:127] op_sel:[0,1]
	s_delay_alu instid0(VALU_DEP_1) | instskip(SKIP_1) | instid1(VALU_DEP_1)
	v_pk_fma_f32 v[140:141], v[134:135], v[124:125], v[138:139] op_sel:[0,0,1] op_sel_hi:[1,1,0] neg_lo:[0,0,1] neg_hi:[0,0,1]
	v_pk_fma_f32 v[134:135], v[134:135], v[124:125], v[138:139] op_sel:[0,0,1] op_sel_hi:[1,0,0]
	v_mov_b32_e32 v141, v135
	v_pk_mul_f32 v[134:135], v[136:137], v[126:127] op_sel:[0,1]
	s_delay_alu instid0(VALU_DEP_1) | instskip(SKIP_1) | instid1(VALU_DEP_1)
	v_pk_fma_f32 v[138:139], v[136:137], v[124:125], v[134:135] op_sel:[0,0,1] op_sel_hi:[1,1,0] neg_lo:[0,0,1] neg_hi:[0,0,1]
	v_pk_fma_f32 v[134:135], v[136:137], v[124:125], v[134:135] op_sel:[0,0,1] op_sel_hi:[1,0,0]
	v_mov_b32_e32 v139, v135
	ds_load_2addr_b64 v[134:137], v128 offset0:7 offset1:8
	v_pk_add_f32 v[30:31], v[30:31], v[140:141] neg_lo:[0,1] neg_hi:[0,1]
	v_pk_add_f32 v[16:17], v[16:17], v[138:139] neg_lo:[0,1] neg_hi:[0,1]
	s_wait_dscnt 0x0
	v_pk_mul_f32 v[138:139], v[134:135], v[126:127] op_sel:[0,1]
	s_delay_alu instid0(VALU_DEP_1) | instskip(SKIP_2) | instid1(VALU_DEP_2)
	v_pk_fma_f32 v[140:141], v[134:135], v[124:125], v[138:139] op_sel:[0,0,1] op_sel_hi:[1,1,0] neg_lo:[0,0,1] neg_hi:[0,0,1]
	v_pk_fma_f32 v[134:135], v[134:135], v[124:125], v[138:139] op_sel:[0,0,1] op_sel_hi:[1,0,0]
	v_dual_mul_f32 v138, v137, v127 :: v_dual_mov_b32 v134, v137
	v_dual_mov_b32 v141, v135 :: v_dual_mov_b32 v135, v136
	s_delay_alu instid0(VALU_DEP_2) | instskip(SKIP_1) | instid1(VALU_DEP_3)
	v_pk_fma_f32 v[138:139], v[136:137], v[40:41], v[138:139] op_sel_hi:[1,1,0] neg_lo:[0,0,1] neg_hi:[0,0,1]
	v_mul_f32_e32 v136, v137, v124
	v_pk_add_f32 v[10:11], v[10:11], v[140:141] neg_lo:[0,1] neg_hi:[0,1]
	s_delay_alu instid0(VALU_DEP_2) | instskip(NEXT) | instid1(VALU_DEP_1)
	v_pk_fma_f32 v[134:135], v[134:135], v[40:41], v[136:137] op_sel_hi:[1,1,0]
	v_mov_b32_e32 v139, v135
	ds_load_2addr_b64 v[134:137], v128 offset0:9 offset1:10
	v_pk_add_f32 v[24:25], v[24:25], v[138:139] neg_lo:[0,1] neg_hi:[0,1]
	s_wait_dscnt 0x0
	v_pk_mul_f32 v[138:139], v[134:135], v[126:127] op_sel:[0,1]
	s_delay_alu instid0(VALU_DEP_1) | instskip(SKIP_1) | instid1(VALU_DEP_1)
	v_pk_fma_f32 v[140:141], v[134:135], v[124:125], v[138:139] op_sel:[0,0,1] op_sel_hi:[1,1,0] neg_lo:[0,0,1] neg_hi:[0,0,1]
	v_pk_fma_f32 v[134:135], v[134:135], v[124:125], v[138:139] op_sel:[0,0,1] op_sel_hi:[1,0,0]
	v_mov_b32_e32 v141, v135
	v_pk_mul_f32 v[134:135], v[136:137], v[126:127] op_sel:[0,1]
	s_delay_alu instid0(VALU_DEP_1) | instskip(SKIP_1) | instid1(VALU_DEP_1)
	v_pk_fma_f32 v[138:139], v[136:137], v[124:125], v[134:135] op_sel:[0,0,1] op_sel_hi:[1,1,0] neg_lo:[0,0,1] neg_hi:[0,0,1]
	v_pk_fma_f32 v[134:135], v[136:137], v[124:125], v[134:135] op_sel:[0,0,1] op_sel_hi:[1,0,0]
	v_mov_b32_e32 v139, v135
	ds_load_2addr_b64 v[134:137], v128 offset0:11 offset1:12
	v_pk_add_f32 v[22:23], v[22:23], v[140:141] neg_lo:[0,1] neg_hi:[0,1]
	v_pk_add_f32 v[8:9], v[8:9], v[138:139] neg_lo:[0,1] neg_hi:[0,1]
	s_wait_dscnt 0x0
	v_pk_mul_f32 v[138:139], v[134:135], v[126:127] op_sel:[0,1]
	s_delay_alu instid0(VALU_DEP_1) | instskip(SKIP_1) | instid1(VALU_DEP_1)
	v_pk_fma_f32 v[140:141], v[134:135], v[124:125], v[138:139] op_sel:[0,0,1] op_sel_hi:[1,1,0] neg_lo:[0,0,1] neg_hi:[0,0,1]
	v_pk_fma_f32 v[134:135], v[134:135], v[124:125], v[138:139] op_sel:[0,0,1] op_sel_hi:[1,0,0]
	v_mov_b32_e32 v141, v135
	v_pk_mul_f32 v[134:135], v[136:137], v[126:127] op_sel:[0,1]
	s_delay_alu instid0(VALU_DEP_1) | instskip(SKIP_1) | instid1(VALU_DEP_1)
	v_pk_fma_f32 v[138:139], v[136:137], v[124:125], v[134:135] op_sel:[0,0,1] op_sel_hi:[1,1,0] neg_lo:[0,0,1] neg_hi:[0,0,1]
	v_pk_fma_f32 v[134:135], v[136:137], v[124:125], v[134:135] op_sel:[0,0,1] op_sel_hi:[1,0,0]
	v_mov_b32_e32 v139, v135
	ds_load_2addr_b64 v[134:137], v128 offset0:13 offset1:14
	v_pk_add_f32 v[6:7], v[6:7], v[140:141] neg_lo:[0,1] neg_hi:[0,1]
	v_pk_add_f32 v[34:35], v[34:35], v[138:139] neg_lo:[0,1] neg_hi:[0,1]
	s_wait_dscnt 0x0
	v_dual_mul_f32 v138, v135, v127 :: v_dual_mul_f32 v140, v135, v124
	s_delay_alu instid0(VALU_DEP_1) | instskip(NEXT) | instid1(VALU_DEP_2)
	v_pk_fma_f32 v[138:139], v[134:135], v[40:41], v[138:139] op_sel_hi:[1,1,0] neg_lo:[0,0,1] neg_hi:[0,0,1]
	v_pk_fma_f32 v[134:135], v[134:135], v[40:41], v[140:141] op_sel:[1,0,0] op_sel_hi:[0,1,0]
	s_delay_alu instid0(VALU_DEP_1) | instskip(SKIP_1) | instid1(VALU_DEP_2)
	v_mov_b32_e32 v139, v135
	v_pk_mul_f32 v[134:135], v[136:137], v[126:127] op_sel:[0,1]
	v_pk_add_f32 v[32:33], v[32:33], v[138:139] neg_lo:[0,1] neg_hi:[0,1]
	s_delay_alu instid0(VALU_DEP_2) | instskip(SKIP_1) | instid1(VALU_DEP_1)
	v_pk_fma_f32 v[138:139], v[136:137], v[124:125], v[134:135] op_sel:[0,0,1] op_sel_hi:[1,1,0] neg_lo:[0,0,1] neg_hi:[0,0,1]
	v_pk_fma_f32 v[134:135], v[136:137], v[124:125], v[134:135] op_sel:[0,0,1] op_sel_hi:[1,0,0]
	v_mov_b32_e32 v139, v135
	ds_load_2addr_b64 v[134:137], v128 offset0:15 offset1:16
	v_pk_add_f32 v[14:15], v[14:15], v[138:139] neg_lo:[0,1] neg_hi:[0,1]
	s_wait_dscnt 0x0
	v_pk_mul_f32 v[138:139], v[134:135], v[126:127] op_sel:[0,1]
	s_delay_alu instid0(VALU_DEP_1) | instskip(SKIP_1) | instid1(VALU_DEP_1)
	v_pk_fma_f32 v[140:141], v[134:135], v[124:125], v[138:139] op_sel:[0,0,1] op_sel_hi:[1,1,0] neg_lo:[0,0,1] neg_hi:[0,0,1]
	v_pk_fma_f32 v[134:135], v[134:135], v[124:125], v[138:139] op_sel:[0,0,1] op_sel_hi:[1,0,0]
	v_mov_b32_e32 v141, v135
	v_pk_mul_f32 v[134:135], v[136:137], v[126:127] op_sel:[0,1]
	s_delay_alu instid0(VALU_DEP_2) | instskip(NEXT) | instid1(VALU_DEP_2)
	v_pk_add_f32 v[12:13], v[12:13], v[140:141] neg_lo:[0,1] neg_hi:[0,1]
	v_pk_fma_f32 v[138:139], v[136:137], v[124:125], v[134:135] op_sel:[0,0,1] op_sel_hi:[1,1,0] neg_lo:[0,0,1] neg_hi:[0,0,1]
	v_pk_fma_f32 v[134:135], v[136:137], v[124:125], v[134:135] op_sel:[0,0,1] op_sel_hi:[1,0,0]
	s_delay_alu instid0(VALU_DEP_1) | instskip(SKIP_4) | instid1(VALU_DEP_1)
	v_mov_b32_e32 v139, v135
	ds_load_2addr_b64 v[134:137], v128 offset0:17 offset1:18
	v_pk_add_f32 v[44:45], v[44:45], v[138:139] neg_lo:[0,1] neg_hi:[0,1]
	s_wait_dscnt 0x0
	v_pk_mul_f32 v[138:139], v[134:135], v[126:127] op_sel:[0,1]
	v_pk_fma_f32 v[140:141], v[134:135], v[124:125], v[138:139] op_sel:[0,0,1] op_sel_hi:[1,1,0] neg_lo:[0,0,1] neg_hi:[0,0,1]
	v_pk_fma_f32 v[134:135], v[134:135], v[124:125], v[138:139] op_sel:[0,0,1] op_sel_hi:[1,0,0]
	v_dual_mul_f32 v138, v137, v127 :: v_dual_mov_b32 v134, v137
	s_delay_alu instid0(VALU_DEP_2) | instskip(NEXT) | instid1(VALU_DEP_2)
	v_dual_mov_b32 v141, v135 :: v_dual_mov_b32 v135, v136
	v_pk_fma_f32 v[138:139], v[136:137], v[40:41], v[138:139] op_sel_hi:[1,1,0] neg_lo:[0,0,1] neg_hi:[0,0,1]
	v_mul_f32_e32 v136, v137, v124
	s_delay_alu instid0(VALU_DEP_3) | instskip(NEXT) | instid1(VALU_DEP_2)
	v_pk_add_f32 v[42:43], v[42:43], v[140:141] neg_lo:[0,1] neg_hi:[0,1]
	v_pk_fma_f32 v[134:135], v[134:135], v[40:41], v[136:137] op_sel_hi:[1,1,0]
	s_delay_alu instid0(VALU_DEP_1) | instskip(SKIP_4) | instid1(VALU_DEP_1)
	v_mov_b32_e32 v139, v135
	ds_load_2addr_b64 v[134:137], v128 offset0:19 offset1:20
	v_pk_add_f32 v[20:21], v[20:21], v[138:139] neg_lo:[0,1] neg_hi:[0,1]
	s_wait_dscnt 0x0
	v_pk_mul_f32 v[138:139], v[134:135], v[126:127] op_sel:[0,1]
	v_pk_fma_f32 v[140:141], v[134:135], v[124:125], v[138:139] op_sel:[0,0,1] op_sel_hi:[1,1,0] neg_lo:[0,0,1] neg_hi:[0,0,1]
	v_pk_fma_f32 v[134:135], v[134:135], v[124:125], v[138:139] op_sel:[0,0,1] op_sel_hi:[1,0,0]
	s_delay_alu instid0(VALU_DEP_1) | instskip(SKIP_1) | instid1(VALU_DEP_1)
	v_mov_b32_e32 v141, v135
	v_pk_mul_f32 v[134:135], v[136:137], v[126:127] op_sel:[0,1]
	v_pk_fma_f32 v[138:139], v[136:137], v[124:125], v[134:135] op_sel:[0,0,1] op_sel_hi:[1,1,0] neg_lo:[0,0,1] neg_hi:[0,0,1]
	v_pk_fma_f32 v[134:135], v[136:137], v[124:125], v[134:135] op_sel:[0,0,1] op_sel_hi:[1,0,0]
	s_delay_alu instid0(VALU_DEP_1)
	v_mov_b32_e32 v139, v135
	ds_load_2addr_b64 v[134:137], v128 offset0:21 offset1:22
	v_pk_add_f32 v[18:19], v[18:19], v[140:141] neg_lo:[0,1] neg_hi:[0,1]
	v_pk_add_f32 v[52:53], v[52:53], v[138:139] neg_lo:[0,1] neg_hi:[0,1]
	s_wait_dscnt 0x0
	v_pk_mul_f32 v[138:139], v[134:135], v[126:127] op_sel:[0,1]
	s_delay_alu instid0(VALU_DEP_1) | instskip(SKIP_1) | instid1(VALU_DEP_1)
	v_pk_fma_f32 v[140:141], v[134:135], v[124:125], v[138:139] op_sel:[0,0,1] op_sel_hi:[1,1,0] neg_lo:[0,0,1] neg_hi:[0,0,1]
	v_pk_fma_f32 v[134:135], v[134:135], v[124:125], v[138:139] op_sel:[0,0,1] op_sel_hi:[1,0,0]
	v_mov_b32_e32 v141, v135
	v_pk_mul_f32 v[134:135], v[136:137], v[126:127] op_sel:[0,1]
	s_delay_alu instid0(VALU_DEP_1) | instskip(SKIP_1) | instid1(VALU_DEP_1)
	v_pk_fma_f32 v[138:139], v[136:137], v[124:125], v[134:135] op_sel:[0,0,1] op_sel_hi:[1,1,0] neg_lo:[0,0,1] neg_hi:[0,0,1]
	v_pk_fma_f32 v[134:135], v[136:137], v[124:125], v[134:135] op_sel:[0,0,1] op_sel_hi:[1,0,0]
	v_mov_b32_e32 v139, v135
	ds_load_2addr_b64 v[134:137], v128 offset0:23 offset1:24
	v_pk_add_f32 v[50:51], v[50:51], v[140:141] neg_lo:[0,1] neg_hi:[0,1]
	v_pk_add_f32 v[28:29], v[28:29], v[138:139] neg_lo:[0,1] neg_hi:[0,1]
	s_wait_dscnt 0x0
	v_dual_mul_f32 v138, v135, v127 :: v_dual_mul_f32 v140, v135, v124
	s_delay_alu instid0(VALU_DEP_1) | instskip(NEXT) | instid1(VALU_DEP_2)
	v_pk_fma_f32 v[138:139], v[134:135], v[40:41], v[138:139] op_sel_hi:[1,1,0] neg_lo:[0,0,1] neg_hi:[0,0,1]
	v_pk_fma_f32 v[134:135], v[134:135], v[40:41], v[140:141] op_sel:[1,0,0] op_sel_hi:[0,1,0]
	s_delay_alu instid0(VALU_DEP_1) | instskip(SKIP_1) | instid1(VALU_DEP_2)
	v_mov_b32_e32 v139, v135
	v_pk_mul_f32 v[134:135], v[136:137], v[126:127] op_sel:[0,1]
	v_pk_add_f32 v[26:27], v[26:27], v[138:139] neg_lo:[0,1] neg_hi:[0,1]
	s_delay_alu instid0(VALU_DEP_2) | instskip(SKIP_1) | instid1(VALU_DEP_1)
	v_pk_fma_f32 v[138:139], v[136:137], v[124:125], v[134:135] op_sel:[0,0,1] op_sel_hi:[1,1,0] neg_lo:[0,0,1] neg_hi:[0,0,1]
	v_pk_fma_f32 v[134:135], v[136:137], v[124:125], v[134:135] op_sel:[0,0,1] op_sel_hi:[1,0,0]
	v_mov_b32_e32 v139, v135
	ds_load_2addr_b64 v[134:137], v128 offset0:25 offset1:26
	v_pk_add_f32 v[60:61], v[60:61], v[138:139] neg_lo:[0,1] neg_hi:[0,1]
	s_wait_dscnt 0x0
	v_pk_mul_f32 v[138:139], v[134:135], v[126:127] op_sel:[0,1]
	s_delay_alu instid0(VALU_DEP_1) | instskip(SKIP_1) | instid1(VALU_DEP_1)
	v_pk_fma_f32 v[140:141], v[134:135], v[124:125], v[138:139] op_sel:[0,0,1] op_sel_hi:[1,1,0] neg_lo:[0,0,1] neg_hi:[0,0,1]
	v_pk_fma_f32 v[134:135], v[134:135], v[124:125], v[138:139] op_sel:[0,0,1] op_sel_hi:[1,0,0]
	v_mov_b32_e32 v141, v135
	v_pk_mul_f32 v[134:135], v[136:137], v[126:127] op_sel:[0,1]
	s_delay_alu instid0(VALU_DEP_2) | instskip(NEXT) | instid1(VALU_DEP_2)
	v_pk_add_f32 v[58:59], v[58:59], v[140:141] neg_lo:[0,1] neg_hi:[0,1]
	v_pk_fma_f32 v[138:139], v[136:137], v[124:125], v[134:135] op_sel:[0,0,1] op_sel_hi:[1,1,0] neg_lo:[0,0,1] neg_hi:[0,0,1]
	v_pk_fma_f32 v[134:135], v[136:137], v[124:125], v[134:135] op_sel:[0,0,1] op_sel_hi:[1,0,0]
	s_delay_alu instid0(VALU_DEP_1) | instskip(SKIP_4) | instid1(VALU_DEP_1)
	v_mov_b32_e32 v139, v135
	ds_load_2addr_b64 v[134:137], v128 offset0:27 offset1:28
	v_pk_add_f32 v[38:39], v[38:39], v[138:139] neg_lo:[0,1] neg_hi:[0,1]
	s_wait_dscnt 0x0
	v_pk_mul_f32 v[138:139], v[134:135], v[126:127] op_sel:[0,1]
	v_pk_fma_f32 v[140:141], v[134:135], v[124:125], v[138:139] op_sel:[0,0,1] op_sel_hi:[1,1,0] neg_lo:[0,0,1] neg_hi:[0,0,1]
	v_pk_fma_f32 v[134:135], v[134:135], v[124:125], v[138:139] op_sel:[0,0,1] op_sel_hi:[1,0,0]
	v_dual_mul_f32 v138, v137, v127 :: v_dual_mov_b32 v134, v137
	s_delay_alu instid0(VALU_DEP_2) | instskip(NEXT) | instid1(VALU_DEP_2)
	v_dual_mov_b32 v141, v135 :: v_dual_mov_b32 v135, v136
	v_pk_fma_f32 v[138:139], v[136:137], v[40:41], v[138:139] op_sel_hi:[1,1,0] neg_lo:[0,0,1] neg_hi:[0,0,1]
	v_mul_f32_e32 v136, v137, v124
	s_delay_alu instid0(VALU_DEP_3) | instskip(NEXT) | instid1(VALU_DEP_2)
	v_pk_add_f32 v[36:37], v[36:37], v[140:141] neg_lo:[0,1] neg_hi:[0,1]
	v_pk_fma_f32 v[134:135], v[134:135], v[40:41], v[136:137] op_sel_hi:[1,1,0]
	s_delay_alu instid0(VALU_DEP_1) | instskip(SKIP_4) | instid1(VALU_DEP_1)
	v_mov_b32_e32 v139, v135
	ds_load_2addr_b64 v[134:137], v128 offset0:29 offset1:30
	v_pk_add_f32 v[68:69], v[68:69], v[138:139] neg_lo:[0,1] neg_hi:[0,1]
	s_wait_dscnt 0x0
	v_pk_mul_f32 v[138:139], v[134:135], v[126:127] op_sel:[0,1]
	v_pk_fma_f32 v[140:141], v[134:135], v[124:125], v[138:139] op_sel:[0,0,1] op_sel_hi:[1,1,0] neg_lo:[0,0,1] neg_hi:[0,0,1]
	v_pk_fma_f32 v[134:135], v[134:135], v[124:125], v[138:139] op_sel:[0,0,1] op_sel_hi:[1,0,0]
	s_delay_alu instid0(VALU_DEP_1) | instskip(SKIP_1) | instid1(VALU_DEP_1)
	v_mov_b32_e32 v141, v135
	v_pk_mul_f32 v[134:135], v[136:137], v[126:127] op_sel:[0,1]
	v_pk_fma_f32 v[138:139], v[136:137], v[124:125], v[134:135] op_sel:[0,0,1] op_sel_hi:[1,1,0] neg_lo:[0,0,1] neg_hi:[0,0,1]
	v_pk_fma_f32 v[134:135], v[136:137], v[124:125], v[134:135] op_sel:[0,0,1] op_sel_hi:[1,0,0]
	s_delay_alu instid0(VALU_DEP_1)
	v_mov_b32_e32 v139, v135
	ds_load_2addr_b64 v[134:137], v128 offset0:31 offset1:32
	v_pk_add_f32 v[66:67], v[66:67], v[140:141] neg_lo:[0,1] neg_hi:[0,1]
	v_pk_add_f32 v[48:49], v[48:49], v[138:139] neg_lo:[0,1] neg_hi:[0,1]
	s_wait_dscnt 0x0
	v_pk_mul_f32 v[138:139], v[134:135], v[126:127] op_sel:[0,1]
	s_delay_alu instid0(VALU_DEP_1) | instskip(SKIP_1) | instid1(VALU_DEP_1)
	v_pk_fma_f32 v[140:141], v[134:135], v[124:125], v[138:139] op_sel:[0,0,1] op_sel_hi:[1,1,0] neg_lo:[0,0,1] neg_hi:[0,0,1]
	v_pk_fma_f32 v[134:135], v[134:135], v[124:125], v[138:139] op_sel:[0,0,1] op_sel_hi:[1,0,0]
	v_mov_b32_e32 v141, v135
	v_pk_mul_f32 v[134:135], v[136:137], v[126:127] op_sel:[0,1]
	s_delay_alu instid0(VALU_DEP_1) | instskip(SKIP_1) | instid1(VALU_DEP_1)
	v_pk_fma_f32 v[138:139], v[136:137], v[124:125], v[134:135] op_sel:[0,0,1] op_sel_hi:[1,1,0] neg_lo:[0,0,1] neg_hi:[0,0,1]
	v_pk_fma_f32 v[134:135], v[136:137], v[124:125], v[134:135] op_sel:[0,0,1] op_sel_hi:[1,0,0]
	v_mov_b32_e32 v139, v135
	ds_load_2addr_b64 v[134:137], v128 offset0:33 offset1:34
	v_pk_add_f32 v[46:47], v[46:47], v[140:141] neg_lo:[0,1] neg_hi:[0,1]
	v_pk_add_f32 v[78:79], v[78:79], v[138:139] neg_lo:[0,1] neg_hi:[0,1]
	s_wait_dscnt 0x0
	v_dual_mul_f32 v138, v135, v127 :: v_dual_mul_f32 v140, v135, v124
	s_delay_alu instid0(VALU_DEP_1) | instskip(NEXT) | instid1(VALU_DEP_2)
	v_pk_fma_f32 v[138:139], v[134:135], v[40:41], v[138:139] op_sel_hi:[1,1,0] neg_lo:[0,0,1] neg_hi:[0,0,1]
	v_pk_fma_f32 v[134:135], v[134:135], v[40:41], v[140:141] op_sel:[1,0,0] op_sel_hi:[0,1,0]
	s_delay_alu instid0(VALU_DEP_1) | instskip(SKIP_1) | instid1(VALU_DEP_2)
	v_mov_b32_e32 v139, v135
	v_pk_mul_f32 v[134:135], v[136:137], v[126:127] op_sel:[0,1]
	v_pk_add_f32 v[76:77], v[76:77], v[138:139] neg_lo:[0,1] neg_hi:[0,1]
	s_delay_alu instid0(VALU_DEP_2) | instskip(SKIP_1) | instid1(VALU_DEP_1)
	v_pk_fma_f32 v[138:139], v[136:137], v[124:125], v[134:135] op_sel:[0,0,1] op_sel_hi:[1,1,0] neg_lo:[0,0,1] neg_hi:[0,0,1]
	v_pk_fma_f32 v[134:135], v[136:137], v[124:125], v[134:135] op_sel:[0,0,1] op_sel_hi:[1,0,0]
	v_mov_b32_e32 v139, v135
	ds_load_2addr_b64 v[134:137], v128 offset0:35 offset1:36
	v_pk_add_f32 v[56:57], v[56:57], v[138:139] neg_lo:[0,1] neg_hi:[0,1]
	s_wait_dscnt 0x0
	v_pk_mul_f32 v[138:139], v[134:135], v[126:127] op_sel:[0,1]
	s_delay_alu instid0(VALU_DEP_1) | instskip(SKIP_1) | instid1(VALU_DEP_1)
	v_pk_fma_f32 v[140:141], v[134:135], v[124:125], v[138:139] op_sel:[0,0,1] op_sel_hi:[1,1,0] neg_lo:[0,0,1] neg_hi:[0,0,1]
	v_pk_fma_f32 v[134:135], v[134:135], v[124:125], v[138:139] op_sel:[0,0,1] op_sel_hi:[1,0,0]
	v_mov_b32_e32 v141, v135
	v_pk_mul_f32 v[134:135], v[136:137], v[126:127] op_sel:[0,1]
	s_delay_alu instid0(VALU_DEP_2) | instskip(NEXT) | instid1(VALU_DEP_2)
	v_pk_add_f32 v[54:55], v[54:55], v[140:141] neg_lo:[0,1] neg_hi:[0,1]
	v_pk_fma_f32 v[138:139], v[136:137], v[124:125], v[134:135] op_sel:[0,0,1] op_sel_hi:[1,1,0] neg_lo:[0,0,1] neg_hi:[0,0,1]
	v_pk_fma_f32 v[134:135], v[136:137], v[124:125], v[134:135] op_sel:[0,0,1] op_sel_hi:[1,0,0]
	s_delay_alu instid0(VALU_DEP_1) | instskip(SKIP_4) | instid1(VALU_DEP_1)
	v_mov_b32_e32 v139, v135
	ds_load_2addr_b64 v[134:137], v128 offset0:37 offset1:38
	v_pk_add_f32 v[88:89], v[88:89], v[138:139] neg_lo:[0,1] neg_hi:[0,1]
	s_wait_dscnt 0x0
	v_pk_mul_f32 v[138:139], v[134:135], v[126:127] op_sel:[0,1]
	v_pk_fma_f32 v[140:141], v[134:135], v[124:125], v[138:139] op_sel:[0,0,1] op_sel_hi:[1,1,0] neg_lo:[0,0,1] neg_hi:[0,0,1]
	v_pk_fma_f32 v[134:135], v[134:135], v[124:125], v[138:139] op_sel:[0,0,1] op_sel_hi:[1,0,0]
	v_dual_mul_f32 v138, v137, v127 :: v_dual_mov_b32 v134, v137
	s_delay_alu instid0(VALU_DEP_2) | instskip(NEXT) | instid1(VALU_DEP_2)
	v_dual_mov_b32 v141, v135 :: v_dual_mov_b32 v135, v136
	v_pk_fma_f32 v[138:139], v[136:137], v[40:41], v[138:139] op_sel_hi:[1,1,0] neg_lo:[0,0,1] neg_hi:[0,0,1]
	v_mul_f32_e32 v136, v137, v124
	s_delay_alu instid0(VALU_DEP_3) | instskip(NEXT) | instid1(VALU_DEP_2)
	v_pk_add_f32 v[86:87], v[86:87], v[140:141] neg_lo:[0,1] neg_hi:[0,1]
	v_pk_fma_f32 v[134:135], v[134:135], v[40:41], v[136:137] op_sel_hi:[1,1,0]
	s_delay_alu instid0(VALU_DEP_1) | instskip(SKIP_4) | instid1(VALU_DEP_1)
	v_mov_b32_e32 v139, v135
	ds_load_2addr_b64 v[134:137], v128 offset0:39 offset1:40
	v_pk_add_f32 v[64:65], v[64:65], v[138:139] neg_lo:[0,1] neg_hi:[0,1]
	s_wait_dscnt 0x0
	v_pk_mul_f32 v[138:139], v[134:135], v[126:127] op_sel:[0,1]
	v_pk_fma_f32 v[140:141], v[134:135], v[124:125], v[138:139] op_sel:[0,0,1] op_sel_hi:[1,1,0] neg_lo:[0,0,1] neg_hi:[0,0,1]
	v_pk_fma_f32 v[134:135], v[134:135], v[124:125], v[138:139] op_sel:[0,0,1] op_sel_hi:[1,0,0]
	s_delay_alu instid0(VALU_DEP_1) | instskip(SKIP_1) | instid1(VALU_DEP_1)
	v_mov_b32_e32 v141, v135
	v_pk_mul_f32 v[134:135], v[136:137], v[126:127] op_sel:[0,1]
	v_pk_fma_f32 v[138:139], v[136:137], v[124:125], v[134:135] op_sel:[0,0,1] op_sel_hi:[1,1,0] neg_lo:[0,0,1] neg_hi:[0,0,1]
	v_pk_fma_f32 v[134:135], v[136:137], v[124:125], v[134:135] op_sel:[0,0,1] op_sel_hi:[1,0,0]
	s_delay_alu instid0(VALU_DEP_1)
	v_mov_b32_e32 v139, v135
	ds_load_2addr_b64 v[134:137], v128 offset0:41 offset1:42
	v_pk_add_f32 v[62:63], v[62:63], v[140:141] neg_lo:[0,1] neg_hi:[0,1]
	v_pk_add_f32 v[102:103], v[102:103], v[138:139] neg_lo:[0,1] neg_hi:[0,1]
	s_wait_dscnt 0x0
	v_pk_mul_f32 v[138:139], v[134:135], v[126:127] op_sel:[0,1]
	s_delay_alu instid0(VALU_DEP_1) | instskip(SKIP_1) | instid1(VALU_DEP_1)
	v_pk_fma_f32 v[140:141], v[134:135], v[124:125], v[138:139] op_sel:[0,0,1] op_sel_hi:[1,1,0] neg_lo:[0,0,1] neg_hi:[0,0,1]
	v_pk_fma_f32 v[134:135], v[134:135], v[124:125], v[138:139] op_sel:[0,0,1] op_sel_hi:[1,0,0]
	v_mov_b32_e32 v141, v135
	v_pk_mul_f32 v[134:135], v[136:137], v[126:127] op_sel:[0,1]
	s_delay_alu instid0(VALU_DEP_1) | instskip(SKIP_1) | instid1(VALU_DEP_1)
	v_pk_fma_f32 v[138:139], v[136:137], v[124:125], v[134:135] op_sel:[0,0,1] op_sel_hi:[1,1,0] neg_lo:[0,0,1] neg_hi:[0,0,1]
	v_pk_fma_f32 v[134:135], v[136:137], v[124:125], v[134:135] op_sel:[0,0,1] op_sel_hi:[1,0,0]
	v_mov_b32_e32 v139, v135
	ds_load_2addr_b64 v[134:137], v128 offset0:43 offset1:44
	v_pk_add_f32 v[100:101], v[100:101], v[140:141] neg_lo:[0,1] neg_hi:[0,1]
	v_pk_add_f32 v[72:73], v[72:73], v[138:139] neg_lo:[0,1] neg_hi:[0,1]
	s_wait_dscnt 0x0
	v_dual_mul_f32 v138, v135, v127 :: v_dual_mul_f32 v140, v135, v124
	s_delay_alu instid0(VALU_DEP_1) | instskip(NEXT) | instid1(VALU_DEP_2)
	v_pk_fma_f32 v[138:139], v[134:135], v[40:41], v[138:139] op_sel_hi:[1,1,0] neg_lo:[0,0,1] neg_hi:[0,0,1]
	v_pk_fma_f32 v[134:135], v[134:135], v[40:41], v[140:141] op_sel:[1,0,0] op_sel_hi:[0,1,0]
	s_delay_alu instid0(VALU_DEP_1) | instskip(SKIP_1) | instid1(VALU_DEP_2)
	v_mov_b32_e32 v139, v135
	v_pk_mul_f32 v[134:135], v[136:137], v[126:127] op_sel:[0,1]
	v_pk_add_f32 v[70:71], v[70:71], v[138:139] neg_lo:[0,1] neg_hi:[0,1]
	s_delay_alu instid0(VALU_DEP_2) | instskip(SKIP_1) | instid1(VALU_DEP_1)
	v_pk_fma_f32 v[138:139], v[136:137], v[124:125], v[134:135] op_sel:[0,0,1] op_sel_hi:[1,1,0] neg_lo:[0,0,1] neg_hi:[0,0,1]
	v_pk_fma_f32 v[134:135], v[136:137], v[124:125], v[134:135] op_sel:[0,0,1] op_sel_hi:[1,0,0]
	v_mov_b32_e32 v139, v135
	ds_load_2addr_b64 v[134:137], v128 offset0:45 offset1:46
	v_pk_add_f32 v[110:111], v[110:111], v[138:139] neg_lo:[0,1] neg_hi:[0,1]
	s_wait_dscnt 0x0
	v_pk_mul_f32 v[138:139], v[134:135], v[126:127] op_sel:[0,1]
	s_delay_alu instid0(VALU_DEP_1) | instskip(SKIP_1) | instid1(VALU_DEP_1)
	v_pk_fma_f32 v[140:141], v[134:135], v[124:125], v[138:139] op_sel:[0,0,1] op_sel_hi:[1,1,0] neg_lo:[0,0,1] neg_hi:[0,0,1]
	v_pk_fma_f32 v[134:135], v[134:135], v[124:125], v[138:139] op_sel:[0,0,1] op_sel_hi:[1,0,0]
	v_mov_b32_e32 v141, v135
	v_pk_mul_f32 v[134:135], v[136:137], v[126:127] op_sel:[0,1]
	s_delay_alu instid0(VALU_DEP_2) | instskip(NEXT) | instid1(VALU_DEP_2)
	v_pk_add_f32 v[108:109], v[108:109], v[140:141] neg_lo:[0,1] neg_hi:[0,1]
	v_pk_fma_f32 v[138:139], v[136:137], v[124:125], v[134:135] op_sel:[0,0,1] op_sel_hi:[1,1,0] neg_lo:[0,0,1] neg_hi:[0,0,1]
	v_pk_fma_f32 v[134:135], v[136:137], v[124:125], v[134:135] op_sel:[0,0,1] op_sel_hi:[1,0,0]
	s_delay_alu instid0(VALU_DEP_1) | instskip(SKIP_4) | instid1(VALU_DEP_1)
	v_mov_b32_e32 v139, v135
	ds_load_2addr_b64 v[134:137], v128 offset0:47 offset1:48
	v_pk_add_f32 v[82:83], v[82:83], v[138:139] neg_lo:[0,1] neg_hi:[0,1]
	s_wait_dscnt 0x0
	v_pk_mul_f32 v[138:139], v[134:135], v[126:127] op_sel:[0,1]
	v_pk_fma_f32 v[140:141], v[134:135], v[124:125], v[138:139] op_sel:[0,0,1] op_sel_hi:[1,1,0] neg_lo:[0,0,1] neg_hi:[0,0,1]
	v_pk_fma_f32 v[134:135], v[134:135], v[124:125], v[138:139] op_sel:[0,0,1] op_sel_hi:[1,0,0]
	v_dual_mul_f32 v138, v137, v127 :: v_dual_mov_b32 v134, v137
	s_delay_alu instid0(VALU_DEP_2) | instskip(NEXT) | instid1(VALU_DEP_2)
	v_dual_mov_b32 v141, v135 :: v_dual_mov_b32 v135, v136
	v_pk_fma_f32 v[138:139], v[136:137], v[40:41], v[138:139] op_sel_hi:[1,1,0] neg_lo:[0,0,1] neg_hi:[0,0,1]
	v_mul_f32_e32 v136, v137, v124
	s_delay_alu instid0(VALU_DEP_3) | instskip(NEXT) | instid1(VALU_DEP_2)
	v_pk_add_f32 v[80:81], v[80:81], v[140:141] neg_lo:[0,1] neg_hi:[0,1]
	v_pk_fma_f32 v[134:135], v[134:135], v[40:41], v[136:137] op_sel_hi:[1,1,0]
	s_delay_alu instid0(VALU_DEP_1) | instskip(SKIP_4) | instid1(VALU_DEP_1)
	v_mov_b32_e32 v139, v135
	ds_load_2addr_b64 v[134:137], v128 offset0:49 offset1:50
	v_pk_add_f32 v[120:121], v[120:121], v[138:139] neg_lo:[0,1] neg_hi:[0,1]
	s_wait_dscnt 0x0
	v_pk_mul_f32 v[138:139], v[134:135], v[126:127] op_sel:[0,1]
	v_pk_fma_f32 v[140:141], v[134:135], v[124:125], v[138:139] op_sel:[0,0,1] op_sel_hi:[1,1,0] neg_lo:[0,0,1] neg_hi:[0,0,1]
	v_pk_fma_f32 v[134:135], v[134:135], v[124:125], v[138:139] op_sel:[0,0,1] op_sel_hi:[1,0,0]
	s_delay_alu instid0(VALU_DEP_1) | instskip(SKIP_1) | instid1(VALU_DEP_1)
	v_mov_b32_e32 v141, v135
	v_pk_mul_f32 v[134:135], v[136:137], v[126:127] op_sel:[0,1]
	v_pk_fma_f32 v[138:139], v[136:137], v[124:125], v[134:135] op_sel:[0,0,1] op_sel_hi:[1,1,0] neg_lo:[0,0,1] neg_hi:[0,0,1]
	v_pk_fma_f32 v[134:135], v[136:137], v[124:125], v[134:135] op_sel:[0,0,1] op_sel_hi:[1,0,0]
	s_delay_alu instid0(VALU_DEP_1)
	v_mov_b32_e32 v139, v135
	ds_load_2addr_b64 v[134:137], v128 offset0:51 offset1:52
	v_pk_add_f32 v[118:119], v[118:119], v[140:141] neg_lo:[0,1] neg_hi:[0,1]
	v_pk_add_f32 v[94:95], v[94:95], v[138:139] neg_lo:[0,1] neg_hi:[0,1]
	s_wait_dscnt 0x0
	v_pk_mul_f32 v[138:139], v[134:135], v[126:127] op_sel:[0,1]
	s_delay_alu instid0(VALU_DEP_1) | instskip(SKIP_1) | instid1(VALU_DEP_1)
	v_pk_fma_f32 v[140:141], v[134:135], v[124:125], v[138:139] op_sel:[0,0,1] op_sel_hi:[1,1,0] neg_lo:[0,0,1] neg_hi:[0,0,1]
	v_pk_fma_f32 v[134:135], v[134:135], v[124:125], v[138:139] op_sel:[0,0,1] op_sel_hi:[1,0,0]
	v_mov_b32_e32 v141, v135
	v_pk_mul_f32 v[134:135], v[136:137], v[126:127] op_sel:[0,1]
	s_delay_alu instid0(VALU_DEP_1) | instskip(SKIP_1) | instid1(VALU_DEP_1)
	v_pk_fma_f32 v[138:139], v[136:137], v[124:125], v[134:135] op_sel:[0,0,1] op_sel_hi:[1,1,0] neg_lo:[0,0,1] neg_hi:[0,0,1]
	v_pk_fma_f32 v[134:135], v[136:137], v[124:125], v[134:135] op_sel:[0,0,1] op_sel_hi:[1,0,0]
	v_mov_b32_e32 v139, v135
	ds_load_2addr_b64 v[134:137], v128 offset0:53 offset1:54
	v_pk_add_f32 v[96:97], v[96:97], v[140:141] neg_lo:[0,1] neg_hi:[0,1]
	v_pk_add_f32 v[114:115], v[114:115], v[138:139] neg_lo:[0,1] neg_hi:[0,1]
	s_wait_dscnt 0x0
	v_dual_mul_f32 v138, v135, v127 :: v_dual_mul_f32 v140, v135, v124
	s_delay_alu instid0(VALU_DEP_1) | instskip(NEXT) | instid1(VALU_DEP_2)
	v_pk_fma_f32 v[138:139], v[134:135], v[40:41], v[138:139] op_sel_hi:[1,1,0] neg_lo:[0,0,1] neg_hi:[0,0,1]
	v_pk_fma_f32 v[134:135], v[134:135], v[40:41], v[140:141] op_sel:[1,0,0] op_sel_hi:[0,1,0]
	s_delay_alu instid0(VALU_DEP_1) | instskip(SKIP_1) | instid1(VALU_DEP_2)
	v_mov_b32_e32 v139, v135
	v_pk_mul_f32 v[134:135], v[136:137], v[126:127] op_sel:[0,1]
	v_pk_add_f32 v[112:113], v[112:113], v[138:139] neg_lo:[0,1] neg_hi:[0,1]
	s_delay_alu instid0(VALU_DEP_2) | instskip(SKIP_1) | instid1(VALU_DEP_1)
	v_pk_fma_f32 v[138:139], v[136:137], v[124:125], v[134:135] op_sel:[0,0,1] op_sel_hi:[1,1,0] neg_lo:[0,0,1] neg_hi:[0,0,1]
	v_pk_fma_f32 v[134:135], v[136:137], v[124:125], v[134:135] op_sel:[0,0,1] op_sel_hi:[1,0,0]
	v_mov_b32_e32 v139, v135
	ds_load_2addr_b64 v[134:137], v128 offset0:55 offset1:56
	v_pk_add_f32 v[92:93], v[92:93], v[138:139] neg_lo:[0,1] neg_hi:[0,1]
	s_wait_dscnt 0x0
	v_pk_mul_f32 v[138:139], v[134:135], v[126:127] op_sel:[0,1]
	s_delay_alu instid0(VALU_DEP_1) | instskip(SKIP_1) | instid1(VALU_DEP_1)
	v_pk_fma_f32 v[140:141], v[134:135], v[124:125], v[138:139] op_sel:[0,0,1] op_sel_hi:[1,1,0] neg_lo:[0,0,1] neg_hi:[0,0,1]
	v_pk_fma_f32 v[134:135], v[134:135], v[124:125], v[138:139] op_sel:[0,0,1] op_sel_hi:[1,0,0]
	v_mov_b32_e32 v141, v135
	v_pk_mul_f32 v[134:135], v[136:137], v[126:127] op_sel:[0,1]
	s_delay_alu instid0(VALU_DEP_2) | instskip(NEXT) | instid1(VALU_DEP_2)
	v_pk_add_f32 v[90:91], v[90:91], v[140:141] neg_lo:[0,1] neg_hi:[0,1]
	v_pk_fma_f32 v[138:139], v[136:137], v[124:125], v[134:135] op_sel:[0,0,1] op_sel_hi:[1,1,0] neg_lo:[0,0,1] neg_hi:[0,0,1]
	v_pk_fma_f32 v[134:135], v[136:137], v[124:125], v[134:135] op_sel:[0,0,1] op_sel_hi:[1,0,0]
	s_delay_alu instid0(VALU_DEP_1)
	v_mov_b32_e32 v139, v135
	ds_load_2addr_b64 v[134:137], v128 offset0:57 offset1:58
	v_pk_add_f32 v[104:105], v[104:105], v[138:139] neg_lo:[0,1] neg_hi:[0,1]
	s_wait_dscnt 0x0
	v_pk_mul_f32 v[138:139], v[134:135], v[126:127] op_sel:[0,1]
	v_mul_f32_e32 v126, v137, v127
	s_delay_alu instid0(VALU_DEP_2) | instskip(SKIP_2) | instid1(VALU_DEP_4)
	v_pk_fma_f32 v[140:141], v[134:135], v[124:125], v[138:139] op_sel:[0,0,1] op_sel_hi:[1,1,0] neg_lo:[0,0,1] neg_hi:[0,0,1]
	v_pk_fma_f32 v[134:135], v[134:135], v[124:125], v[138:139] op_sel:[0,0,1] op_sel_hi:[1,0,0]
	v_dual_mov_b32 v134, v137 :: v_dual_mul_f32 v124, v137, v124
	v_pk_fma_f32 v[126:127], v[136:137], v[40:41], v[126:127] op_sel_hi:[1,1,0] neg_lo:[0,0,1] neg_hi:[0,0,1]
	s_delay_alu instid0(VALU_DEP_3) | instskip(NEXT) | instid1(VALU_DEP_1)
	v_dual_mov_b32 v141, v135 :: v_dual_mov_b32 v135, v136
	v_pk_add_f32 v[98:99], v[98:99], v[140:141] neg_lo:[0,1] neg_hi:[0,1]
	s_delay_alu instid0(VALU_DEP_2) | instskip(NEXT) | instid1(VALU_DEP_1)
	v_pk_fma_f32 v[124:125], v[134:135], v[40:41], v[124:125] op_sel_hi:[1,1,0]
	v_mov_b32_e32 v127, v125
	s_delay_alu instid0(VALU_DEP_1)
	v_pk_add_f32 v[122:123], v[122:123], v[126:127] neg_lo:[0,1] neg_hi:[0,1]
.LBB116_104:
	s_or_b32 exec_lo, exec_lo, s0
	v_lshl_add_u32 v124, v132, 3, v128
	s_barrier_signal -1
	s_barrier_wait -1
	ds_store_b64 v124, v[30:31]
	s_wait_dscnt 0x0
	s_barrier_signal -1
	s_barrier_wait -1
	ds_load_b64 v[126:127], v128 offset:40
	v_mov_b32_e32 v124, 5
	s_cmp_lt_i32 s18, 7
	s_cbranch_scc1 .LBB116_107
; %bb.105:
	v_add3_u32 v125, v129, 0, 48
	v_mov_b32_e32 v124, 5
	s_mov_b32 s0, 6
.LBB116_106:                            ; =>This Inner Loop Header: Depth=1
	ds_load_b64 v[134:135], v125
	s_wait_dscnt 0x1
	v_cmp_gt_f32_e32 vcc_lo, 0, v126
	v_cndmask_b32_e64 v136, v126, -v126, vcc_lo
	v_cmp_gt_f32_e32 vcc_lo, 0, v127
	v_cndmask_b32_e64 v138, v127, -v127, vcc_lo
	s_wait_dscnt 0x0
	v_cmp_gt_f32_e32 vcc_lo, 0, v134
	v_cndmask_b32_e64 v137, v134, -v134, vcc_lo
	v_cmp_gt_f32_e32 vcc_lo, 0, v135
	v_cndmask_b32_e64 v139, v135, -v135, vcc_lo
	s_delay_alu instid0(VALU_DEP_1) | instskip(NEXT) | instid1(VALU_DEP_1)
	v_pk_add_f32 v[136:137], v[136:137], v[138:139]
	v_cmp_lt_f32_e32 vcc_lo, v136, v137
	v_dual_add_nc_u32 v125, 8, v125 :: v_dual_cndmask_b32 v127, v127, v135, vcc_lo
	v_cndmask_b32_e32 v126, v126, v134, vcc_lo
	v_cndmask_b32_e64 v124, v124, s0, vcc_lo
	s_add_co_i32 s0, s0, 1
	s_delay_alu instid0(SALU_CYCLE_1)
	s_cmp_lg_u32 s18, s0
	s_cbranch_scc1 .LBB116_106
.LBB116_107:
	s_wait_dscnt 0x0
	v_cmp_eq_f32_e32 vcc_lo, 0, v126
	v_cmp_eq_f32_e64 s0, 0, v127
	s_and_b32 s0, vcc_lo, s0
	s_delay_alu instid0(SALU_CYCLE_1) | instskip(NEXT) | instid1(SALU_CYCLE_1)
	s_and_saveexec_b32 s1, s0
	s_xor_b32 s0, exec_lo, s1
; %bb.108:
	v_cmp_ne_u32_e32 vcc_lo, 0, v130
	v_cndmask_b32_e32 v130, 6, v130, vcc_lo
; %bb.109:
	s_and_not1_saveexec_b32 s0, s0
	s_cbranch_execz .LBB116_115
; %bb.110:
	v_cmp_ngt_f32_e64 s1, |v126|, |v127|
	s_and_saveexec_b32 s12, s1
	s_delay_alu instid0(SALU_CYCLE_1)
	s_xor_b32 s1, exec_lo, s12
	s_cbranch_execz .LBB116_112
; %bb.111:
	v_div_scale_f32 v125, null, v127, v127, v126
	v_div_scale_f32 v135, vcc_lo, v126, v127, v126
	s_delay_alu instid0(VALU_DEP_2) | instskip(SKIP_1) | instid1(TRANS32_DEP_1)
	v_rcp_f32_e32 v133, v125
	v_nop
	v_fma_f32 v134, -v125, v133, 1.0
	s_delay_alu instid0(VALU_DEP_1) | instskip(NEXT) | instid1(VALU_DEP_1)
	v_fmac_f32_e32 v133, v134, v133
	v_mul_f32_e32 v134, v135, v133
	s_delay_alu instid0(VALU_DEP_1) | instskip(NEXT) | instid1(VALU_DEP_1)
	v_fma_f32 v136, -v125, v134, v135
	v_fmac_f32_e32 v134, v136, v133
	s_delay_alu instid0(VALU_DEP_1) | instskip(NEXT) | instid1(VALU_DEP_1)
	v_fma_f32 v125, -v125, v134, v135
	v_div_fmas_f32 v125, v125, v133, v134
	s_delay_alu instid0(VALU_DEP_1) | instskip(NEXT) | instid1(VALU_DEP_1)
	v_div_fixup_f32 v125, v125, v127, v126
	v_fmac_f32_e32 v127, v126, v125
	s_delay_alu instid0(VALU_DEP_1) | instskip(SKIP_1) | instid1(VALU_DEP_2)
	v_div_scale_f32 v126, null, v127, v127, 1.0
	v_div_scale_f32 v135, vcc_lo, 1.0, v127, 1.0
	v_rcp_f32_e32 v133, v126
	v_nop
	s_delay_alu instid0(TRANS32_DEP_1) | instskip(NEXT) | instid1(VALU_DEP_1)
	v_fma_f32 v134, -v126, v133, 1.0
	v_fmac_f32_e32 v133, v134, v133
	s_delay_alu instid0(VALU_DEP_1) | instskip(NEXT) | instid1(VALU_DEP_1)
	v_mul_f32_e32 v134, v135, v133
	v_fma_f32 v136, -v126, v134, v135
	s_delay_alu instid0(VALU_DEP_1) | instskip(NEXT) | instid1(VALU_DEP_1)
	v_fmac_f32_e32 v134, v136, v133
	v_fma_f32 v126, -v126, v134, v135
	s_delay_alu instid0(VALU_DEP_1) | instskip(NEXT) | instid1(VALU_DEP_1)
	v_div_fmas_f32 v126, v126, v133, v134
	v_div_fixup_f32 v127, v126, v127, 1.0
	s_delay_alu instid0(VALU_DEP_1)
	v_mul_f32_e32 v126, v125, v127
	v_xor_b32_e32 v127, 0x80000000, v127
.LBB116_112:
	s_and_not1_saveexec_b32 s1, s1
	s_cbranch_execz .LBB116_114
; %bb.113:
	s_delay_alu instid0(VALU_DEP_1) | instskip(SKIP_1) | instid1(VALU_DEP_2)
	v_div_scale_f32 v125, null, v126, v126, v127
	v_div_scale_f32 v135, vcc_lo, v127, v126, v127
	v_rcp_f32_e32 v133, v125
	v_nop
	s_delay_alu instid0(TRANS32_DEP_1) | instskip(NEXT) | instid1(VALU_DEP_1)
	v_fma_f32 v134, -v125, v133, 1.0
	v_fmac_f32_e32 v133, v134, v133
	s_delay_alu instid0(VALU_DEP_1) | instskip(NEXT) | instid1(VALU_DEP_1)
	v_mul_f32_e32 v134, v135, v133
	v_fma_f32 v136, -v125, v134, v135
	s_delay_alu instid0(VALU_DEP_1) | instskip(NEXT) | instid1(VALU_DEP_1)
	v_fmac_f32_e32 v134, v136, v133
	v_fma_f32 v125, -v125, v134, v135
	s_delay_alu instid0(VALU_DEP_1) | instskip(NEXT) | instid1(VALU_DEP_1)
	v_div_fmas_f32 v125, v125, v133, v134
	v_div_fixup_f32 v125, v125, v126, v127
	s_delay_alu instid0(VALU_DEP_1) | instskip(NEXT) | instid1(VALU_DEP_1)
	v_fmac_f32_e32 v126, v127, v125
	v_div_scale_f32 v127, null, v126, v126, 1.0
	s_delay_alu instid0(VALU_DEP_1) | instskip(SKIP_1) | instid1(TRANS32_DEP_1)
	v_rcp_f32_e32 v133, v127
	v_nop
	v_fma_f32 v134, -v127, v133, 1.0
	s_delay_alu instid0(VALU_DEP_1) | instskip(SKIP_1) | instid1(VALU_DEP_1)
	v_fmac_f32_e32 v133, v134, v133
	v_div_scale_f32 v134, vcc_lo, 1.0, v126, 1.0
	v_mul_f32_e32 v135, v134, v133
	s_delay_alu instid0(VALU_DEP_1) | instskip(NEXT) | instid1(VALU_DEP_1)
	v_fma_f32 v136, -v127, v135, v134
	v_fmac_f32_e32 v135, v136, v133
	s_delay_alu instid0(VALU_DEP_1) | instskip(NEXT) | instid1(VALU_DEP_1)
	v_fma_f32 v127, -v127, v135, v134
	v_div_fmas_f32 v127, v127, v133, v135
	s_delay_alu instid0(VALU_DEP_1) | instskip(NEXT) | instid1(VALU_DEP_1)
	v_div_fixup_f32 v126, v127, v126, 1.0
	v_mul_f32_e64 v127, v125, -v126
.LBB116_114:
	s_or_b32 exec_lo, exec_lo, s1
.LBB116_115:
	s_delay_alu instid0(SALU_CYCLE_1) | instskip(NEXT) | instid1(SALU_CYCLE_1)
	s_or_b32 exec_lo, exec_lo, s0
	s_mov_b32 s0, exec_lo
	v_cmpx_ne_u32_e64 v132, v124
	s_xor_b32 s0, exec_lo, s0
	s_cbranch_execz .LBB116_121
; %bb.116:
	s_mov_b32 s1, exec_lo
	v_cmpx_eq_u32_e32 5, v132
	s_cbranch_execz .LBB116_120
; %bb.117:
	v_cmp_ne_u32_e32 vcc_lo, 5, v124
	s_xor_b32 s12, s16, -1
	s_delay_alu instid0(SALU_CYCLE_1) | instskip(NEXT) | instid1(SALU_CYCLE_1)
	s_and_b32 s13, s12, vcc_lo
	s_and_saveexec_b32 s12, s13
	s_cbranch_execz .LBB116_119
; %bb.118:
	v_ashrrev_i32_e32 v125, 31, v124
	s_delay_alu instid0(VALU_DEP_1)
	v_lshl_add_u64 v[132:133], v[124:125], 2, v[4:5]
	s_clause 0x1
	global_load_b32 v125, v[132:133], off
	global_load_b32 v131, v[4:5], off offset:20
	s_wait_loadcnt 0x1
	global_store_b32 v[4:5], v125, off offset:20
	s_wait_loadcnt 0x0
	global_store_b32 v[132:133], v131, off
.LBB116_119:
	s_wait_xcnt 0x0
	s_or_b32 exec_lo, exec_lo, s12
	v_dual_mov_b32 v132, v124 :: v_dual_mov_b32 v131, v124
.LBB116_120:
	s_or_b32 exec_lo, exec_lo, s1
.LBB116_121:
	s_and_not1_saveexec_b32 s0, s0
	s_cbranch_execz .LBB116_123
; %bb.122:
	v_dual_mov_b32 v124, v16 :: v_dual_mov_b32 v125, v17
	v_dual_mov_b32 v132, v10 :: v_dual_mov_b32 v133, v11
	ds_store_2addr_b64 v128, v[124:125], v[132:133] offset0:6 offset1:7
	v_dual_mov_b32 v124, v24 :: v_dual_mov_b32 v125, v25
	v_dual_mov_b32 v132, v22 :: v_dual_mov_b32 v133, v23
	ds_store_2addr_b64 v128, v[124:125], v[132:133] offset0:8 offset1:9
	;; [unrolled: 3-line block ×26, first 2 shown]
	ds_store_b64 v128, v[122:123] offset:464
	v_mov_b32_e32 v132, 5
.LBB116_123:
	s_or_b32 exec_lo, exec_lo, s0
	s_delay_alu instid0(SALU_CYCLE_1)
	s_mov_b32 s0, exec_lo
	s_wait_storecnt_dscnt 0x0
	s_barrier_signal -1
	s_barrier_wait -1
	v_cmpx_lt_i32_e32 5, v132
	s_cbranch_execz .LBB116_125
; %bb.124:
	v_pk_mul_f32 v[134:135], v[126:127], v[30:31] op_sel:[1,1] op_sel_hi:[0,1]
	s_delay_alu instid0(VALU_DEP_1)
	v_pk_fma_f32 v[124:125], v[126:127], v[30:31], v[134:135] op_sel_hi:[1,0,1] neg_lo:[0,0,1] neg_hi:[0,0,1]
	v_pk_fma_f32 v[126:127], v[126:127], v[30:31], v[134:135] op_sel_hi:[1,0,1]
	ds_load_2addr_b64 v[134:137], v128 offset0:6 offset1:7
	v_dual_mov_b32 v30, v124 :: v_dual_mov_b32 v31, v127
	s_wait_dscnt 0x0
	v_pk_mul_f32 v[138:139], v[134:135], v[126:127] op_sel:[0,1]
	s_delay_alu instid0(VALU_DEP_1) | instskip(SKIP_1) | instid1(VALU_DEP_1)
	v_pk_fma_f32 v[140:141], v[134:135], v[124:125], v[138:139] op_sel:[0,0,1] op_sel_hi:[1,1,0] neg_lo:[0,0,1] neg_hi:[0,0,1]
	v_pk_fma_f32 v[134:135], v[134:135], v[124:125], v[138:139] op_sel:[0,0,1] op_sel_hi:[1,0,0]
	v_mov_b32_e32 v141, v135
	v_pk_mul_f32 v[134:135], v[136:137], v[126:127] op_sel:[0,1]
	s_delay_alu instid0(VALU_DEP_1) | instskip(SKIP_1) | instid1(VALU_DEP_1)
	v_pk_fma_f32 v[138:139], v[136:137], v[124:125], v[134:135] op_sel:[0,0,1] op_sel_hi:[1,1,0] neg_lo:[0,0,1] neg_hi:[0,0,1]
	v_pk_fma_f32 v[134:135], v[136:137], v[124:125], v[134:135] op_sel:[0,0,1] op_sel_hi:[1,0,0]
	v_mov_b32_e32 v139, v135
	ds_load_2addr_b64 v[134:137], v128 offset0:8 offset1:9
	v_pk_add_f32 v[16:17], v[16:17], v[140:141] neg_lo:[0,1] neg_hi:[0,1]
	v_pk_add_f32 v[10:11], v[10:11], v[138:139] neg_lo:[0,1] neg_hi:[0,1]
	s_wait_dscnt 0x0
	v_pk_mul_f32 v[138:139], v[134:135], v[126:127] op_sel:[0,1]
	s_delay_alu instid0(VALU_DEP_1) | instskip(SKIP_2) | instid1(VALU_DEP_2)
	v_pk_fma_f32 v[140:141], v[134:135], v[124:125], v[138:139] op_sel:[0,0,1] op_sel_hi:[1,1,0] neg_lo:[0,0,1] neg_hi:[0,0,1]
	v_pk_fma_f32 v[134:135], v[134:135], v[124:125], v[138:139] op_sel:[0,0,1] op_sel_hi:[1,0,0]
	v_dual_mul_f32 v138, v137, v127 :: v_dual_mov_b32 v134, v137
	v_dual_mov_b32 v141, v135 :: v_dual_mov_b32 v135, v136
	s_delay_alu instid0(VALU_DEP_2) | instskip(SKIP_1) | instid1(VALU_DEP_3)
	v_pk_fma_f32 v[138:139], v[136:137], v[30:31], v[138:139] op_sel_hi:[1,1,0] neg_lo:[0,0,1] neg_hi:[0,0,1]
	v_mul_f32_e32 v136, v137, v124
	v_pk_add_f32 v[24:25], v[24:25], v[140:141] neg_lo:[0,1] neg_hi:[0,1]
	s_delay_alu instid0(VALU_DEP_2) | instskip(NEXT) | instid1(VALU_DEP_1)
	v_pk_fma_f32 v[134:135], v[134:135], v[30:31], v[136:137] op_sel_hi:[1,1,0]
	v_mov_b32_e32 v139, v135
	ds_load_2addr_b64 v[134:137], v128 offset0:10 offset1:11
	v_pk_add_f32 v[22:23], v[22:23], v[138:139] neg_lo:[0,1] neg_hi:[0,1]
	s_wait_dscnt 0x0
	v_pk_mul_f32 v[138:139], v[134:135], v[126:127] op_sel:[0,1]
	s_delay_alu instid0(VALU_DEP_1) | instskip(SKIP_1) | instid1(VALU_DEP_1)
	v_pk_fma_f32 v[140:141], v[134:135], v[124:125], v[138:139] op_sel:[0,0,1] op_sel_hi:[1,1,0] neg_lo:[0,0,1] neg_hi:[0,0,1]
	v_pk_fma_f32 v[134:135], v[134:135], v[124:125], v[138:139] op_sel:[0,0,1] op_sel_hi:[1,0,0]
	v_mov_b32_e32 v141, v135
	v_pk_mul_f32 v[134:135], v[136:137], v[126:127] op_sel:[0,1]
	s_delay_alu instid0(VALU_DEP_1) | instskip(SKIP_1) | instid1(VALU_DEP_1)
	v_pk_fma_f32 v[138:139], v[136:137], v[124:125], v[134:135] op_sel:[0,0,1] op_sel_hi:[1,1,0] neg_lo:[0,0,1] neg_hi:[0,0,1]
	v_pk_fma_f32 v[134:135], v[136:137], v[124:125], v[134:135] op_sel:[0,0,1] op_sel_hi:[1,0,0]
	v_mov_b32_e32 v139, v135
	ds_load_2addr_b64 v[134:137], v128 offset0:12 offset1:13
	v_pk_add_f32 v[8:9], v[8:9], v[140:141] neg_lo:[0,1] neg_hi:[0,1]
	v_pk_add_f32 v[6:7], v[6:7], v[138:139] neg_lo:[0,1] neg_hi:[0,1]
	s_wait_dscnt 0x0
	v_pk_mul_f32 v[138:139], v[134:135], v[126:127] op_sel:[0,1]
	s_delay_alu instid0(VALU_DEP_1) | instskip(SKIP_1) | instid1(VALU_DEP_1)
	v_pk_fma_f32 v[140:141], v[134:135], v[124:125], v[138:139] op_sel:[0,0,1] op_sel_hi:[1,1,0] neg_lo:[0,0,1] neg_hi:[0,0,1]
	v_pk_fma_f32 v[134:135], v[134:135], v[124:125], v[138:139] op_sel:[0,0,1] op_sel_hi:[1,0,0]
	v_mov_b32_e32 v141, v135
	v_pk_mul_f32 v[134:135], v[136:137], v[126:127] op_sel:[0,1]
	s_delay_alu instid0(VALU_DEP_1) | instskip(SKIP_1) | instid1(VALU_DEP_1)
	v_pk_fma_f32 v[138:139], v[136:137], v[124:125], v[134:135] op_sel:[0,0,1] op_sel_hi:[1,1,0] neg_lo:[0,0,1] neg_hi:[0,0,1]
	v_pk_fma_f32 v[134:135], v[136:137], v[124:125], v[134:135] op_sel:[0,0,1] op_sel_hi:[1,0,0]
	v_mov_b32_e32 v139, v135
	ds_load_2addr_b64 v[134:137], v128 offset0:14 offset1:15
	v_pk_add_f32 v[34:35], v[34:35], v[140:141] neg_lo:[0,1] neg_hi:[0,1]
	v_pk_add_f32 v[32:33], v[32:33], v[138:139] neg_lo:[0,1] neg_hi:[0,1]
	s_wait_dscnt 0x0
	v_dual_mul_f32 v138, v135, v127 :: v_dual_mul_f32 v140, v135, v124
	s_delay_alu instid0(VALU_DEP_1) | instskip(NEXT) | instid1(VALU_DEP_2)
	v_pk_fma_f32 v[138:139], v[134:135], v[30:31], v[138:139] op_sel_hi:[1,1,0] neg_lo:[0,0,1] neg_hi:[0,0,1]
	v_pk_fma_f32 v[134:135], v[134:135], v[30:31], v[140:141] op_sel:[1,0,0] op_sel_hi:[0,1,0]
	s_delay_alu instid0(VALU_DEP_1) | instskip(SKIP_1) | instid1(VALU_DEP_2)
	v_mov_b32_e32 v139, v135
	v_pk_mul_f32 v[134:135], v[136:137], v[126:127] op_sel:[0,1]
	v_pk_add_f32 v[14:15], v[14:15], v[138:139] neg_lo:[0,1] neg_hi:[0,1]
	s_delay_alu instid0(VALU_DEP_2) | instskip(SKIP_1) | instid1(VALU_DEP_1)
	v_pk_fma_f32 v[138:139], v[136:137], v[124:125], v[134:135] op_sel:[0,0,1] op_sel_hi:[1,1,0] neg_lo:[0,0,1] neg_hi:[0,0,1]
	v_pk_fma_f32 v[134:135], v[136:137], v[124:125], v[134:135] op_sel:[0,0,1] op_sel_hi:[1,0,0]
	v_mov_b32_e32 v139, v135
	ds_load_2addr_b64 v[134:137], v128 offset0:16 offset1:17
	v_pk_add_f32 v[12:13], v[12:13], v[138:139] neg_lo:[0,1] neg_hi:[0,1]
	s_wait_dscnt 0x0
	v_pk_mul_f32 v[138:139], v[134:135], v[126:127] op_sel:[0,1]
	s_delay_alu instid0(VALU_DEP_1) | instskip(SKIP_1) | instid1(VALU_DEP_1)
	v_pk_fma_f32 v[140:141], v[134:135], v[124:125], v[138:139] op_sel:[0,0,1] op_sel_hi:[1,1,0] neg_lo:[0,0,1] neg_hi:[0,0,1]
	v_pk_fma_f32 v[134:135], v[134:135], v[124:125], v[138:139] op_sel:[0,0,1] op_sel_hi:[1,0,0]
	v_mov_b32_e32 v141, v135
	v_pk_mul_f32 v[134:135], v[136:137], v[126:127] op_sel:[0,1]
	s_delay_alu instid0(VALU_DEP_2) | instskip(NEXT) | instid1(VALU_DEP_2)
	v_pk_add_f32 v[44:45], v[44:45], v[140:141] neg_lo:[0,1] neg_hi:[0,1]
	v_pk_fma_f32 v[138:139], v[136:137], v[124:125], v[134:135] op_sel:[0,0,1] op_sel_hi:[1,1,0] neg_lo:[0,0,1] neg_hi:[0,0,1]
	v_pk_fma_f32 v[134:135], v[136:137], v[124:125], v[134:135] op_sel:[0,0,1] op_sel_hi:[1,0,0]
	s_delay_alu instid0(VALU_DEP_1) | instskip(SKIP_4) | instid1(VALU_DEP_1)
	v_mov_b32_e32 v139, v135
	ds_load_2addr_b64 v[134:137], v128 offset0:18 offset1:19
	v_pk_add_f32 v[42:43], v[42:43], v[138:139] neg_lo:[0,1] neg_hi:[0,1]
	s_wait_dscnt 0x0
	v_pk_mul_f32 v[138:139], v[134:135], v[126:127] op_sel:[0,1]
	v_pk_fma_f32 v[140:141], v[134:135], v[124:125], v[138:139] op_sel:[0,0,1] op_sel_hi:[1,1,0] neg_lo:[0,0,1] neg_hi:[0,0,1]
	v_pk_fma_f32 v[134:135], v[134:135], v[124:125], v[138:139] op_sel:[0,0,1] op_sel_hi:[1,0,0]
	v_dual_mul_f32 v138, v137, v127 :: v_dual_mov_b32 v134, v137
	s_delay_alu instid0(VALU_DEP_2) | instskip(NEXT) | instid1(VALU_DEP_2)
	v_dual_mov_b32 v141, v135 :: v_dual_mov_b32 v135, v136
	v_pk_fma_f32 v[138:139], v[136:137], v[30:31], v[138:139] op_sel_hi:[1,1,0] neg_lo:[0,0,1] neg_hi:[0,0,1]
	v_mul_f32_e32 v136, v137, v124
	s_delay_alu instid0(VALU_DEP_3) | instskip(NEXT) | instid1(VALU_DEP_2)
	v_pk_add_f32 v[20:21], v[20:21], v[140:141] neg_lo:[0,1] neg_hi:[0,1]
	v_pk_fma_f32 v[134:135], v[134:135], v[30:31], v[136:137] op_sel_hi:[1,1,0]
	s_delay_alu instid0(VALU_DEP_1) | instskip(SKIP_4) | instid1(VALU_DEP_1)
	v_mov_b32_e32 v139, v135
	ds_load_2addr_b64 v[134:137], v128 offset0:20 offset1:21
	v_pk_add_f32 v[18:19], v[18:19], v[138:139] neg_lo:[0,1] neg_hi:[0,1]
	s_wait_dscnt 0x0
	v_pk_mul_f32 v[138:139], v[134:135], v[126:127] op_sel:[0,1]
	v_pk_fma_f32 v[140:141], v[134:135], v[124:125], v[138:139] op_sel:[0,0,1] op_sel_hi:[1,1,0] neg_lo:[0,0,1] neg_hi:[0,0,1]
	v_pk_fma_f32 v[134:135], v[134:135], v[124:125], v[138:139] op_sel:[0,0,1] op_sel_hi:[1,0,0]
	s_delay_alu instid0(VALU_DEP_1) | instskip(SKIP_1) | instid1(VALU_DEP_1)
	v_mov_b32_e32 v141, v135
	v_pk_mul_f32 v[134:135], v[136:137], v[126:127] op_sel:[0,1]
	v_pk_fma_f32 v[138:139], v[136:137], v[124:125], v[134:135] op_sel:[0,0,1] op_sel_hi:[1,1,0] neg_lo:[0,0,1] neg_hi:[0,0,1]
	v_pk_fma_f32 v[134:135], v[136:137], v[124:125], v[134:135] op_sel:[0,0,1] op_sel_hi:[1,0,0]
	s_delay_alu instid0(VALU_DEP_1)
	v_mov_b32_e32 v139, v135
	ds_load_2addr_b64 v[134:137], v128 offset0:22 offset1:23
	v_pk_add_f32 v[52:53], v[52:53], v[140:141] neg_lo:[0,1] neg_hi:[0,1]
	v_pk_add_f32 v[50:51], v[50:51], v[138:139] neg_lo:[0,1] neg_hi:[0,1]
	s_wait_dscnt 0x0
	v_pk_mul_f32 v[138:139], v[134:135], v[126:127] op_sel:[0,1]
	s_delay_alu instid0(VALU_DEP_1) | instskip(SKIP_1) | instid1(VALU_DEP_1)
	v_pk_fma_f32 v[140:141], v[134:135], v[124:125], v[138:139] op_sel:[0,0,1] op_sel_hi:[1,1,0] neg_lo:[0,0,1] neg_hi:[0,0,1]
	v_pk_fma_f32 v[134:135], v[134:135], v[124:125], v[138:139] op_sel:[0,0,1] op_sel_hi:[1,0,0]
	v_mov_b32_e32 v141, v135
	v_pk_mul_f32 v[134:135], v[136:137], v[126:127] op_sel:[0,1]
	s_delay_alu instid0(VALU_DEP_1) | instskip(SKIP_1) | instid1(VALU_DEP_1)
	v_pk_fma_f32 v[138:139], v[136:137], v[124:125], v[134:135] op_sel:[0,0,1] op_sel_hi:[1,1,0] neg_lo:[0,0,1] neg_hi:[0,0,1]
	v_pk_fma_f32 v[134:135], v[136:137], v[124:125], v[134:135] op_sel:[0,0,1] op_sel_hi:[1,0,0]
	v_mov_b32_e32 v139, v135
	ds_load_2addr_b64 v[134:137], v128 offset0:24 offset1:25
	v_pk_add_f32 v[28:29], v[28:29], v[140:141] neg_lo:[0,1] neg_hi:[0,1]
	v_pk_add_f32 v[26:27], v[26:27], v[138:139] neg_lo:[0,1] neg_hi:[0,1]
	s_wait_dscnt 0x0
	v_dual_mul_f32 v138, v135, v127 :: v_dual_mul_f32 v140, v135, v124
	s_delay_alu instid0(VALU_DEP_1) | instskip(NEXT) | instid1(VALU_DEP_2)
	v_pk_fma_f32 v[138:139], v[134:135], v[30:31], v[138:139] op_sel_hi:[1,1,0] neg_lo:[0,0,1] neg_hi:[0,0,1]
	v_pk_fma_f32 v[134:135], v[134:135], v[30:31], v[140:141] op_sel:[1,0,0] op_sel_hi:[0,1,0]
	s_delay_alu instid0(VALU_DEP_1) | instskip(SKIP_1) | instid1(VALU_DEP_2)
	v_mov_b32_e32 v139, v135
	v_pk_mul_f32 v[134:135], v[136:137], v[126:127] op_sel:[0,1]
	v_pk_add_f32 v[60:61], v[60:61], v[138:139] neg_lo:[0,1] neg_hi:[0,1]
	s_delay_alu instid0(VALU_DEP_2) | instskip(SKIP_1) | instid1(VALU_DEP_1)
	v_pk_fma_f32 v[138:139], v[136:137], v[124:125], v[134:135] op_sel:[0,0,1] op_sel_hi:[1,1,0] neg_lo:[0,0,1] neg_hi:[0,0,1]
	v_pk_fma_f32 v[134:135], v[136:137], v[124:125], v[134:135] op_sel:[0,0,1] op_sel_hi:[1,0,0]
	v_mov_b32_e32 v139, v135
	ds_load_2addr_b64 v[134:137], v128 offset0:26 offset1:27
	v_pk_add_f32 v[58:59], v[58:59], v[138:139] neg_lo:[0,1] neg_hi:[0,1]
	s_wait_dscnt 0x0
	v_pk_mul_f32 v[138:139], v[134:135], v[126:127] op_sel:[0,1]
	s_delay_alu instid0(VALU_DEP_1) | instskip(SKIP_1) | instid1(VALU_DEP_1)
	v_pk_fma_f32 v[140:141], v[134:135], v[124:125], v[138:139] op_sel:[0,0,1] op_sel_hi:[1,1,0] neg_lo:[0,0,1] neg_hi:[0,0,1]
	v_pk_fma_f32 v[134:135], v[134:135], v[124:125], v[138:139] op_sel:[0,0,1] op_sel_hi:[1,0,0]
	v_mov_b32_e32 v141, v135
	v_pk_mul_f32 v[134:135], v[136:137], v[126:127] op_sel:[0,1]
	s_delay_alu instid0(VALU_DEP_2) | instskip(NEXT) | instid1(VALU_DEP_2)
	v_pk_add_f32 v[38:39], v[38:39], v[140:141] neg_lo:[0,1] neg_hi:[0,1]
	v_pk_fma_f32 v[138:139], v[136:137], v[124:125], v[134:135] op_sel:[0,0,1] op_sel_hi:[1,1,0] neg_lo:[0,0,1] neg_hi:[0,0,1]
	v_pk_fma_f32 v[134:135], v[136:137], v[124:125], v[134:135] op_sel:[0,0,1] op_sel_hi:[1,0,0]
	s_delay_alu instid0(VALU_DEP_1) | instskip(SKIP_4) | instid1(VALU_DEP_1)
	v_mov_b32_e32 v139, v135
	ds_load_2addr_b64 v[134:137], v128 offset0:28 offset1:29
	v_pk_add_f32 v[36:37], v[36:37], v[138:139] neg_lo:[0,1] neg_hi:[0,1]
	s_wait_dscnt 0x0
	v_pk_mul_f32 v[138:139], v[134:135], v[126:127] op_sel:[0,1]
	v_pk_fma_f32 v[140:141], v[134:135], v[124:125], v[138:139] op_sel:[0,0,1] op_sel_hi:[1,1,0] neg_lo:[0,0,1] neg_hi:[0,0,1]
	v_pk_fma_f32 v[134:135], v[134:135], v[124:125], v[138:139] op_sel:[0,0,1] op_sel_hi:[1,0,0]
	v_dual_mul_f32 v138, v137, v127 :: v_dual_mov_b32 v134, v137
	s_delay_alu instid0(VALU_DEP_2) | instskip(NEXT) | instid1(VALU_DEP_2)
	v_dual_mov_b32 v141, v135 :: v_dual_mov_b32 v135, v136
	v_pk_fma_f32 v[138:139], v[136:137], v[30:31], v[138:139] op_sel_hi:[1,1,0] neg_lo:[0,0,1] neg_hi:[0,0,1]
	v_mul_f32_e32 v136, v137, v124
	s_delay_alu instid0(VALU_DEP_3) | instskip(NEXT) | instid1(VALU_DEP_2)
	v_pk_add_f32 v[68:69], v[68:69], v[140:141] neg_lo:[0,1] neg_hi:[0,1]
	v_pk_fma_f32 v[134:135], v[134:135], v[30:31], v[136:137] op_sel_hi:[1,1,0]
	s_delay_alu instid0(VALU_DEP_1) | instskip(SKIP_4) | instid1(VALU_DEP_1)
	v_mov_b32_e32 v139, v135
	ds_load_2addr_b64 v[134:137], v128 offset0:30 offset1:31
	v_pk_add_f32 v[66:67], v[66:67], v[138:139] neg_lo:[0,1] neg_hi:[0,1]
	s_wait_dscnt 0x0
	v_pk_mul_f32 v[138:139], v[134:135], v[126:127] op_sel:[0,1]
	v_pk_fma_f32 v[140:141], v[134:135], v[124:125], v[138:139] op_sel:[0,0,1] op_sel_hi:[1,1,0] neg_lo:[0,0,1] neg_hi:[0,0,1]
	v_pk_fma_f32 v[134:135], v[134:135], v[124:125], v[138:139] op_sel:[0,0,1] op_sel_hi:[1,0,0]
	s_delay_alu instid0(VALU_DEP_1) | instskip(SKIP_1) | instid1(VALU_DEP_1)
	v_mov_b32_e32 v141, v135
	v_pk_mul_f32 v[134:135], v[136:137], v[126:127] op_sel:[0,1]
	v_pk_fma_f32 v[138:139], v[136:137], v[124:125], v[134:135] op_sel:[0,0,1] op_sel_hi:[1,1,0] neg_lo:[0,0,1] neg_hi:[0,0,1]
	v_pk_fma_f32 v[134:135], v[136:137], v[124:125], v[134:135] op_sel:[0,0,1] op_sel_hi:[1,0,0]
	s_delay_alu instid0(VALU_DEP_1)
	v_mov_b32_e32 v139, v135
	ds_load_2addr_b64 v[134:137], v128 offset0:32 offset1:33
	v_pk_add_f32 v[48:49], v[48:49], v[140:141] neg_lo:[0,1] neg_hi:[0,1]
	v_pk_add_f32 v[46:47], v[46:47], v[138:139] neg_lo:[0,1] neg_hi:[0,1]
	s_wait_dscnt 0x0
	v_pk_mul_f32 v[138:139], v[134:135], v[126:127] op_sel:[0,1]
	s_delay_alu instid0(VALU_DEP_1) | instskip(SKIP_1) | instid1(VALU_DEP_1)
	v_pk_fma_f32 v[140:141], v[134:135], v[124:125], v[138:139] op_sel:[0,0,1] op_sel_hi:[1,1,0] neg_lo:[0,0,1] neg_hi:[0,0,1]
	v_pk_fma_f32 v[134:135], v[134:135], v[124:125], v[138:139] op_sel:[0,0,1] op_sel_hi:[1,0,0]
	v_mov_b32_e32 v141, v135
	v_pk_mul_f32 v[134:135], v[136:137], v[126:127] op_sel:[0,1]
	s_delay_alu instid0(VALU_DEP_1) | instskip(SKIP_1) | instid1(VALU_DEP_1)
	v_pk_fma_f32 v[138:139], v[136:137], v[124:125], v[134:135] op_sel:[0,0,1] op_sel_hi:[1,1,0] neg_lo:[0,0,1] neg_hi:[0,0,1]
	v_pk_fma_f32 v[134:135], v[136:137], v[124:125], v[134:135] op_sel:[0,0,1] op_sel_hi:[1,0,0]
	v_mov_b32_e32 v139, v135
	ds_load_2addr_b64 v[134:137], v128 offset0:34 offset1:35
	v_pk_add_f32 v[78:79], v[78:79], v[140:141] neg_lo:[0,1] neg_hi:[0,1]
	v_pk_add_f32 v[76:77], v[76:77], v[138:139] neg_lo:[0,1] neg_hi:[0,1]
	s_wait_dscnt 0x0
	v_dual_mul_f32 v138, v135, v127 :: v_dual_mul_f32 v140, v135, v124
	s_delay_alu instid0(VALU_DEP_1) | instskip(NEXT) | instid1(VALU_DEP_2)
	v_pk_fma_f32 v[138:139], v[134:135], v[30:31], v[138:139] op_sel_hi:[1,1,0] neg_lo:[0,0,1] neg_hi:[0,0,1]
	v_pk_fma_f32 v[134:135], v[134:135], v[30:31], v[140:141] op_sel:[1,0,0] op_sel_hi:[0,1,0]
	s_delay_alu instid0(VALU_DEP_1) | instskip(SKIP_1) | instid1(VALU_DEP_2)
	v_mov_b32_e32 v139, v135
	v_pk_mul_f32 v[134:135], v[136:137], v[126:127] op_sel:[0,1]
	v_pk_add_f32 v[56:57], v[56:57], v[138:139] neg_lo:[0,1] neg_hi:[0,1]
	s_delay_alu instid0(VALU_DEP_2) | instskip(SKIP_1) | instid1(VALU_DEP_1)
	v_pk_fma_f32 v[138:139], v[136:137], v[124:125], v[134:135] op_sel:[0,0,1] op_sel_hi:[1,1,0] neg_lo:[0,0,1] neg_hi:[0,0,1]
	v_pk_fma_f32 v[134:135], v[136:137], v[124:125], v[134:135] op_sel:[0,0,1] op_sel_hi:[1,0,0]
	v_mov_b32_e32 v139, v135
	ds_load_2addr_b64 v[134:137], v128 offset0:36 offset1:37
	v_pk_add_f32 v[54:55], v[54:55], v[138:139] neg_lo:[0,1] neg_hi:[0,1]
	s_wait_dscnt 0x0
	v_pk_mul_f32 v[138:139], v[134:135], v[126:127] op_sel:[0,1]
	s_delay_alu instid0(VALU_DEP_1) | instskip(SKIP_1) | instid1(VALU_DEP_1)
	v_pk_fma_f32 v[140:141], v[134:135], v[124:125], v[138:139] op_sel:[0,0,1] op_sel_hi:[1,1,0] neg_lo:[0,0,1] neg_hi:[0,0,1]
	v_pk_fma_f32 v[134:135], v[134:135], v[124:125], v[138:139] op_sel:[0,0,1] op_sel_hi:[1,0,0]
	v_mov_b32_e32 v141, v135
	v_pk_mul_f32 v[134:135], v[136:137], v[126:127] op_sel:[0,1]
	s_delay_alu instid0(VALU_DEP_2) | instskip(NEXT) | instid1(VALU_DEP_2)
	v_pk_add_f32 v[88:89], v[88:89], v[140:141] neg_lo:[0,1] neg_hi:[0,1]
	v_pk_fma_f32 v[138:139], v[136:137], v[124:125], v[134:135] op_sel:[0,0,1] op_sel_hi:[1,1,0] neg_lo:[0,0,1] neg_hi:[0,0,1]
	v_pk_fma_f32 v[134:135], v[136:137], v[124:125], v[134:135] op_sel:[0,0,1] op_sel_hi:[1,0,0]
	s_delay_alu instid0(VALU_DEP_1) | instskip(SKIP_4) | instid1(VALU_DEP_1)
	v_mov_b32_e32 v139, v135
	ds_load_2addr_b64 v[134:137], v128 offset0:38 offset1:39
	v_pk_add_f32 v[86:87], v[86:87], v[138:139] neg_lo:[0,1] neg_hi:[0,1]
	s_wait_dscnt 0x0
	v_pk_mul_f32 v[138:139], v[134:135], v[126:127] op_sel:[0,1]
	v_pk_fma_f32 v[140:141], v[134:135], v[124:125], v[138:139] op_sel:[0,0,1] op_sel_hi:[1,1,0] neg_lo:[0,0,1] neg_hi:[0,0,1]
	v_pk_fma_f32 v[134:135], v[134:135], v[124:125], v[138:139] op_sel:[0,0,1] op_sel_hi:[1,0,0]
	v_dual_mul_f32 v138, v137, v127 :: v_dual_mov_b32 v134, v137
	s_delay_alu instid0(VALU_DEP_2) | instskip(NEXT) | instid1(VALU_DEP_2)
	v_dual_mov_b32 v141, v135 :: v_dual_mov_b32 v135, v136
	v_pk_fma_f32 v[138:139], v[136:137], v[30:31], v[138:139] op_sel_hi:[1,1,0] neg_lo:[0,0,1] neg_hi:[0,0,1]
	v_mul_f32_e32 v136, v137, v124
	s_delay_alu instid0(VALU_DEP_3) | instskip(NEXT) | instid1(VALU_DEP_2)
	v_pk_add_f32 v[64:65], v[64:65], v[140:141] neg_lo:[0,1] neg_hi:[0,1]
	v_pk_fma_f32 v[134:135], v[134:135], v[30:31], v[136:137] op_sel_hi:[1,1,0]
	s_delay_alu instid0(VALU_DEP_1) | instskip(SKIP_4) | instid1(VALU_DEP_1)
	v_mov_b32_e32 v139, v135
	ds_load_2addr_b64 v[134:137], v128 offset0:40 offset1:41
	v_pk_add_f32 v[62:63], v[62:63], v[138:139] neg_lo:[0,1] neg_hi:[0,1]
	s_wait_dscnt 0x0
	v_pk_mul_f32 v[138:139], v[134:135], v[126:127] op_sel:[0,1]
	v_pk_fma_f32 v[140:141], v[134:135], v[124:125], v[138:139] op_sel:[0,0,1] op_sel_hi:[1,1,0] neg_lo:[0,0,1] neg_hi:[0,0,1]
	v_pk_fma_f32 v[134:135], v[134:135], v[124:125], v[138:139] op_sel:[0,0,1] op_sel_hi:[1,0,0]
	s_delay_alu instid0(VALU_DEP_1) | instskip(SKIP_1) | instid1(VALU_DEP_1)
	v_mov_b32_e32 v141, v135
	v_pk_mul_f32 v[134:135], v[136:137], v[126:127] op_sel:[0,1]
	v_pk_fma_f32 v[138:139], v[136:137], v[124:125], v[134:135] op_sel:[0,0,1] op_sel_hi:[1,1,0] neg_lo:[0,0,1] neg_hi:[0,0,1]
	v_pk_fma_f32 v[134:135], v[136:137], v[124:125], v[134:135] op_sel:[0,0,1] op_sel_hi:[1,0,0]
	s_delay_alu instid0(VALU_DEP_1)
	v_mov_b32_e32 v139, v135
	ds_load_2addr_b64 v[134:137], v128 offset0:42 offset1:43
	v_pk_add_f32 v[102:103], v[102:103], v[140:141] neg_lo:[0,1] neg_hi:[0,1]
	v_pk_add_f32 v[100:101], v[100:101], v[138:139] neg_lo:[0,1] neg_hi:[0,1]
	s_wait_dscnt 0x0
	v_pk_mul_f32 v[138:139], v[134:135], v[126:127] op_sel:[0,1]
	s_delay_alu instid0(VALU_DEP_1) | instskip(SKIP_1) | instid1(VALU_DEP_1)
	v_pk_fma_f32 v[140:141], v[134:135], v[124:125], v[138:139] op_sel:[0,0,1] op_sel_hi:[1,1,0] neg_lo:[0,0,1] neg_hi:[0,0,1]
	v_pk_fma_f32 v[134:135], v[134:135], v[124:125], v[138:139] op_sel:[0,0,1] op_sel_hi:[1,0,0]
	v_mov_b32_e32 v141, v135
	v_pk_mul_f32 v[134:135], v[136:137], v[126:127] op_sel:[0,1]
	s_delay_alu instid0(VALU_DEP_1) | instskip(SKIP_1) | instid1(VALU_DEP_1)
	v_pk_fma_f32 v[138:139], v[136:137], v[124:125], v[134:135] op_sel:[0,0,1] op_sel_hi:[1,1,0] neg_lo:[0,0,1] neg_hi:[0,0,1]
	v_pk_fma_f32 v[134:135], v[136:137], v[124:125], v[134:135] op_sel:[0,0,1] op_sel_hi:[1,0,0]
	v_mov_b32_e32 v139, v135
	ds_load_2addr_b64 v[134:137], v128 offset0:44 offset1:45
	v_pk_add_f32 v[72:73], v[72:73], v[140:141] neg_lo:[0,1] neg_hi:[0,1]
	v_pk_add_f32 v[70:71], v[70:71], v[138:139] neg_lo:[0,1] neg_hi:[0,1]
	s_wait_dscnt 0x0
	v_dual_mul_f32 v138, v135, v127 :: v_dual_mul_f32 v140, v135, v124
	s_delay_alu instid0(VALU_DEP_1) | instskip(NEXT) | instid1(VALU_DEP_2)
	v_pk_fma_f32 v[138:139], v[134:135], v[30:31], v[138:139] op_sel_hi:[1,1,0] neg_lo:[0,0,1] neg_hi:[0,0,1]
	v_pk_fma_f32 v[134:135], v[134:135], v[30:31], v[140:141] op_sel:[1,0,0] op_sel_hi:[0,1,0]
	s_delay_alu instid0(VALU_DEP_1) | instskip(SKIP_1) | instid1(VALU_DEP_2)
	v_mov_b32_e32 v139, v135
	v_pk_mul_f32 v[134:135], v[136:137], v[126:127] op_sel:[0,1]
	v_pk_add_f32 v[110:111], v[110:111], v[138:139] neg_lo:[0,1] neg_hi:[0,1]
	s_delay_alu instid0(VALU_DEP_2) | instskip(SKIP_1) | instid1(VALU_DEP_1)
	v_pk_fma_f32 v[138:139], v[136:137], v[124:125], v[134:135] op_sel:[0,0,1] op_sel_hi:[1,1,0] neg_lo:[0,0,1] neg_hi:[0,0,1]
	v_pk_fma_f32 v[134:135], v[136:137], v[124:125], v[134:135] op_sel:[0,0,1] op_sel_hi:[1,0,0]
	v_mov_b32_e32 v139, v135
	ds_load_2addr_b64 v[134:137], v128 offset0:46 offset1:47
	v_pk_add_f32 v[108:109], v[108:109], v[138:139] neg_lo:[0,1] neg_hi:[0,1]
	s_wait_dscnt 0x0
	v_pk_mul_f32 v[138:139], v[134:135], v[126:127] op_sel:[0,1]
	s_delay_alu instid0(VALU_DEP_1) | instskip(SKIP_1) | instid1(VALU_DEP_1)
	v_pk_fma_f32 v[140:141], v[134:135], v[124:125], v[138:139] op_sel:[0,0,1] op_sel_hi:[1,1,0] neg_lo:[0,0,1] neg_hi:[0,0,1]
	v_pk_fma_f32 v[134:135], v[134:135], v[124:125], v[138:139] op_sel:[0,0,1] op_sel_hi:[1,0,0]
	v_mov_b32_e32 v141, v135
	v_pk_mul_f32 v[134:135], v[136:137], v[126:127] op_sel:[0,1]
	s_delay_alu instid0(VALU_DEP_2) | instskip(NEXT) | instid1(VALU_DEP_2)
	v_pk_add_f32 v[82:83], v[82:83], v[140:141] neg_lo:[0,1] neg_hi:[0,1]
	v_pk_fma_f32 v[138:139], v[136:137], v[124:125], v[134:135] op_sel:[0,0,1] op_sel_hi:[1,1,0] neg_lo:[0,0,1] neg_hi:[0,0,1]
	v_pk_fma_f32 v[134:135], v[136:137], v[124:125], v[134:135] op_sel:[0,0,1] op_sel_hi:[1,0,0]
	s_delay_alu instid0(VALU_DEP_1) | instskip(SKIP_4) | instid1(VALU_DEP_1)
	v_mov_b32_e32 v139, v135
	ds_load_2addr_b64 v[134:137], v128 offset0:48 offset1:49
	v_pk_add_f32 v[80:81], v[80:81], v[138:139] neg_lo:[0,1] neg_hi:[0,1]
	s_wait_dscnt 0x0
	v_pk_mul_f32 v[138:139], v[134:135], v[126:127] op_sel:[0,1]
	v_pk_fma_f32 v[140:141], v[134:135], v[124:125], v[138:139] op_sel:[0,0,1] op_sel_hi:[1,1,0] neg_lo:[0,0,1] neg_hi:[0,0,1]
	v_pk_fma_f32 v[134:135], v[134:135], v[124:125], v[138:139] op_sel:[0,0,1] op_sel_hi:[1,0,0]
	v_dual_mul_f32 v138, v137, v127 :: v_dual_mov_b32 v134, v137
	s_delay_alu instid0(VALU_DEP_2) | instskip(NEXT) | instid1(VALU_DEP_2)
	v_dual_mov_b32 v141, v135 :: v_dual_mov_b32 v135, v136
	v_pk_fma_f32 v[138:139], v[136:137], v[30:31], v[138:139] op_sel_hi:[1,1,0] neg_lo:[0,0,1] neg_hi:[0,0,1]
	v_mul_f32_e32 v136, v137, v124
	s_delay_alu instid0(VALU_DEP_3) | instskip(NEXT) | instid1(VALU_DEP_2)
	v_pk_add_f32 v[120:121], v[120:121], v[140:141] neg_lo:[0,1] neg_hi:[0,1]
	v_pk_fma_f32 v[134:135], v[134:135], v[30:31], v[136:137] op_sel_hi:[1,1,0]
	s_delay_alu instid0(VALU_DEP_1) | instskip(SKIP_4) | instid1(VALU_DEP_1)
	v_mov_b32_e32 v139, v135
	ds_load_2addr_b64 v[134:137], v128 offset0:50 offset1:51
	v_pk_add_f32 v[118:119], v[118:119], v[138:139] neg_lo:[0,1] neg_hi:[0,1]
	s_wait_dscnt 0x0
	v_pk_mul_f32 v[138:139], v[134:135], v[126:127] op_sel:[0,1]
	v_pk_fma_f32 v[140:141], v[134:135], v[124:125], v[138:139] op_sel:[0,0,1] op_sel_hi:[1,1,0] neg_lo:[0,0,1] neg_hi:[0,0,1]
	v_pk_fma_f32 v[134:135], v[134:135], v[124:125], v[138:139] op_sel:[0,0,1] op_sel_hi:[1,0,0]
	s_delay_alu instid0(VALU_DEP_1) | instskip(SKIP_1) | instid1(VALU_DEP_1)
	v_mov_b32_e32 v141, v135
	v_pk_mul_f32 v[134:135], v[136:137], v[126:127] op_sel:[0,1]
	v_pk_fma_f32 v[138:139], v[136:137], v[124:125], v[134:135] op_sel:[0,0,1] op_sel_hi:[1,1,0] neg_lo:[0,0,1] neg_hi:[0,0,1]
	v_pk_fma_f32 v[134:135], v[136:137], v[124:125], v[134:135] op_sel:[0,0,1] op_sel_hi:[1,0,0]
	s_delay_alu instid0(VALU_DEP_1)
	v_mov_b32_e32 v139, v135
	ds_load_2addr_b64 v[134:137], v128 offset0:52 offset1:53
	v_pk_add_f32 v[94:95], v[94:95], v[140:141] neg_lo:[0,1] neg_hi:[0,1]
	v_pk_add_f32 v[96:97], v[96:97], v[138:139] neg_lo:[0,1] neg_hi:[0,1]
	s_wait_dscnt 0x0
	v_pk_mul_f32 v[138:139], v[134:135], v[126:127] op_sel:[0,1]
	s_delay_alu instid0(VALU_DEP_1) | instskip(SKIP_1) | instid1(VALU_DEP_1)
	v_pk_fma_f32 v[140:141], v[134:135], v[124:125], v[138:139] op_sel:[0,0,1] op_sel_hi:[1,1,0] neg_lo:[0,0,1] neg_hi:[0,0,1]
	v_pk_fma_f32 v[134:135], v[134:135], v[124:125], v[138:139] op_sel:[0,0,1] op_sel_hi:[1,0,0]
	v_mov_b32_e32 v141, v135
	v_pk_mul_f32 v[134:135], v[136:137], v[126:127] op_sel:[0,1]
	s_delay_alu instid0(VALU_DEP_1) | instskip(SKIP_1) | instid1(VALU_DEP_1)
	v_pk_fma_f32 v[138:139], v[136:137], v[124:125], v[134:135] op_sel:[0,0,1] op_sel_hi:[1,1,0] neg_lo:[0,0,1] neg_hi:[0,0,1]
	v_pk_fma_f32 v[134:135], v[136:137], v[124:125], v[134:135] op_sel:[0,0,1] op_sel_hi:[1,0,0]
	v_mov_b32_e32 v139, v135
	ds_load_2addr_b64 v[134:137], v128 offset0:54 offset1:55
	v_pk_add_f32 v[114:115], v[114:115], v[140:141] neg_lo:[0,1] neg_hi:[0,1]
	v_pk_add_f32 v[112:113], v[112:113], v[138:139] neg_lo:[0,1] neg_hi:[0,1]
	s_wait_dscnt 0x0
	v_dual_mul_f32 v138, v135, v127 :: v_dual_mul_f32 v140, v135, v124
	s_delay_alu instid0(VALU_DEP_1) | instskip(NEXT) | instid1(VALU_DEP_2)
	v_pk_fma_f32 v[138:139], v[134:135], v[30:31], v[138:139] op_sel_hi:[1,1,0] neg_lo:[0,0,1] neg_hi:[0,0,1]
	v_pk_fma_f32 v[134:135], v[134:135], v[30:31], v[140:141] op_sel:[1,0,0] op_sel_hi:[0,1,0]
	s_delay_alu instid0(VALU_DEP_1) | instskip(SKIP_1) | instid1(VALU_DEP_2)
	v_mov_b32_e32 v139, v135
	v_pk_mul_f32 v[134:135], v[136:137], v[126:127] op_sel:[0,1]
	v_pk_add_f32 v[92:93], v[92:93], v[138:139] neg_lo:[0,1] neg_hi:[0,1]
	s_delay_alu instid0(VALU_DEP_2) | instskip(SKIP_1) | instid1(VALU_DEP_1)
	v_pk_fma_f32 v[138:139], v[136:137], v[124:125], v[134:135] op_sel:[0,0,1] op_sel_hi:[1,1,0] neg_lo:[0,0,1] neg_hi:[0,0,1]
	v_pk_fma_f32 v[134:135], v[136:137], v[124:125], v[134:135] op_sel:[0,0,1] op_sel_hi:[1,0,0]
	v_mov_b32_e32 v139, v135
	ds_load_2addr_b64 v[134:137], v128 offset0:56 offset1:57
	v_pk_add_f32 v[90:91], v[90:91], v[138:139] neg_lo:[0,1] neg_hi:[0,1]
	s_wait_dscnt 0x0
	v_pk_mul_f32 v[138:139], v[134:135], v[126:127] op_sel:[0,1]
	s_delay_alu instid0(VALU_DEP_1) | instskip(SKIP_1) | instid1(VALU_DEP_1)
	v_pk_fma_f32 v[140:141], v[134:135], v[124:125], v[138:139] op_sel:[0,0,1] op_sel_hi:[1,1,0] neg_lo:[0,0,1] neg_hi:[0,0,1]
	v_pk_fma_f32 v[134:135], v[134:135], v[124:125], v[138:139] op_sel:[0,0,1] op_sel_hi:[1,0,0]
	v_mov_b32_e32 v141, v135
	v_pk_mul_f32 v[134:135], v[136:137], v[126:127] op_sel:[0,1]
	s_delay_alu instid0(VALU_DEP_2) | instskip(NEXT) | instid1(VALU_DEP_2)
	v_pk_add_f32 v[104:105], v[104:105], v[140:141] neg_lo:[0,1] neg_hi:[0,1]
	v_pk_fma_f32 v[138:139], v[136:137], v[124:125], v[134:135] op_sel:[0,0,1] op_sel_hi:[1,1,0] neg_lo:[0,0,1] neg_hi:[0,0,1]
	v_pk_fma_f32 v[134:135], v[136:137], v[124:125], v[134:135] op_sel:[0,0,1] op_sel_hi:[1,0,0]
	s_delay_alu instid0(VALU_DEP_1) | instskip(SKIP_4) | instid1(VALU_DEP_1)
	v_mov_b32_e32 v139, v135
	ds_load_b64 v[134:135], v128 offset:464
	v_pk_add_f32 v[98:99], v[98:99], v[138:139] neg_lo:[0,1] neg_hi:[0,1]
	s_wait_dscnt 0x0
	v_pk_mul_f32 v[126:127], v[134:135], v[126:127] op_sel:[0,1]
	v_pk_fma_f32 v[136:137], v[134:135], v[124:125], v[126:127] op_sel:[0,0,1] op_sel_hi:[1,1,0] neg_lo:[0,0,1] neg_hi:[0,0,1]
	v_pk_fma_f32 v[124:125], v[134:135], v[124:125], v[126:127] op_sel:[0,0,1] op_sel_hi:[1,0,0]
	s_delay_alu instid0(VALU_DEP_1) | instskip(NEXT) | instid1(VALU_DEP_1)
	v_mov_b32_e32 v137, v125
	v_pk_add_f32 v[122:123], v[122:123], v[136:137] neg_lo:[0,1] neg_hi:[0,1]
.LBB116_125:
	s_or_b32 exec_lo, exec_lo, s0
	v_lshl_add_u32 v124, v132, 3, v128
	s_barrier_signal -1
	s_barrier_wait -1
	ds_store_b64 v124, v[16:17]
	s_wait_dscnt 0x0
	s_barrier_signal -1
	s_barrier_wait -1
	ds_load_b64 v[126:127], v128 offset:48
	v_mov_b32_e32 v124, 6
	s_cmp_lt_i32 s18, 8
	s_cbranch_scc1 .LBB116_128
; %bb.126:
	v_add3_u32 v125, v129, 0, 56
	v_mov_b32_e32 v124, 6
	s_mov_b32 s0, 7
.LBB116_127:                            ; =>This Inner Loop Header: Depth=1
	ds_load_b64 v[134:135], v125
	s_wait_dscnt 0x1
	v_cmp_gt_f32_e32 vcc_lo, 0, v126
	v_cndmask_b32_e64 v136, v126, -v126, vcc_lo
	v_cmp_gt_f32_e32 vcc_lo, 0, v127
	v_cndmask_b32_e64 v138, v127, -v127, vcc_lo
	s_wait_dscnt 0x0
	v_cmp_gt_f32_e32 vcc_lo, 0, v134
	v_cndmask_b32_e64 v137, v134, -v134, vcc_lo
	v_cmp_gt_f32_e32 vcc_lo, 0, v135
	v_cndmask_b32_e64 v139, v135, -v135, vcc_lo
	s_delay_alu instid0(VALU_DEP_1) | instskip(NEXT) | instid1(VALU_DEP_1)
	v_pk_add_f32 v[136:137], v[136:137], v[138:139]
	v_cmp_lt_f32_e32 vcc_lo, v136, v137
	v_dual_add_nc_u32 v125, 8, v125 :: v_dual_cndmask_b32 v127, v127, v135, vcc_lo
	v_cndmask_b32_e32 v126, v126, v134, vcc_lo
	v_cndmask_b32_e64 v124, v124, s0, vcc_lo
	s_add_co_i32 s0, s0, 1
	s_delay_alu instid0(SALU_CYCLE_1)
	s_cmp_lg_u32 s18, s0
	s_cbranch_scc1 .LBB116_127
.LBB116_128:
	s_wait_dscnt 0x0
	v_cmp_eq_f32_e32 vcc_lo, 0, v126
	v_cmp_eq_f32_e64 s0, 0, v127
	s_and_b32 s0, vcc_lo, s0
	s_delay_alu instid0(SALU_CYCLE_1) | instskip(NEXT) | instid1(SALU_CYCLE_1)
	s_and_saveexec_b32 s1, s0
	s_xor_b32 s0, exec_lo, s1
; %bb.129:
	v_cmp_ne_u32_e32 vcc_lo, 0, v130
	v_cndmask_b32_e32 v130, 7, v130, vcc_lo
; %bb.130:
	s_and_not1_saveexec_b32 s0, s0
	s_cbranch_execz .LBB116_136
; %bb.131:
	v_cmp_ngt_f32_e64 s1, |v126|, |v127|
	s_and_saveexec_b32 s12, s1
	s_delay_alu instid0(SALU_CYCLE_1)
	s_xor_b32 s1, exec_lo, s12
	s_cbranch_execz .LBB116_133
; %bb.132:
	v_div_scale_f32 v125, null, v127, v127, v126
	v_div_scale_f32 v135, vcc_lo, v126, v127, v126
	s_delay_alu instid0(VALU_DEP_2) | instskip(SKIP_1) | instid1(TRANS32_DEP_1)
	v_rcp_f32_e32 v133, v125
	v_nop
	v_fma_f32 v134, -v125, v133, 1.0
	s_delay_alu instid0(VALU_DEP_1) | instskip(NEXT) | instid1(VALU_DEP_1)
	v_fmac_f32_e32 v133, v134, v133
	v_mul_f32_e32 v134, v135, v133
	s_delay_alu instid0(VALU_DEP_1) | instskip(NEXT) | instid1(VALU_DEP_1)
	v_fma_f32 v136, -v125, v134, v135
	v_fmac_f32_e32 v134, v136, v133
	s_delay_alu instid0(VALU_DEP_1) | instskip(NEXT) | instid1(VALU_DEP_1)
	v_fma_f32 v125, -v125, v134, v135
	v_div_fmas_f32 v125, v125, v133, v134
	s_delay_alu instid0(VALU_DEP_1) | instskip(NEXT) | instid1(VALU_DEP_1)
	v_div_fixup_f32 v125, v125, v127, v126
	v_fmac_f32_e32 v127, v126, v125
	s_delay_alu instid0(VALU_DEP_1) | instskip(SKIP_1) | instid1(VALU_DEP_2)
	v_div_scale_f32 v126, null, v127, v127, 1.0
	v_div_scale_f32 v135, vcc_lo, 1.0, v127, 1.0
	v_rcp_f32_e32 v133, v126
	v_nop
	s_delay_alu instid0(TRANS32_DEP_1) | instskip(NEXT) | instid1(VALU_DEP_1)
	v_fma_f32 v134, -v126, v133, 1.0
	v_fmac_f32_e32 v133, v134, v133
	s_delay_alu instid0(VALU_DEP_1) | instskip(NEXT) | instid1(VALU_DEP_1)
	v_mul_f32_e32 v134, v135, v133
	v_fma_f32 v136, -v126, v134, v135
	s_delay_alu instid0(VALU_DEP_1) | instskip(NEXT) | instid1(VALU_DEP_1)
	v_fmac_f32_e32 v134, v136, v133
	v_fma_f32 v126, -v126, v134, v135
	s_delay_alu instid0(VALU_DEP_1) | instskip(NEXT) | instid1(VALU_DEP_1)
	v_div_fmas_f32 v126, v126, v133, v134
	v_div_fixup_f32 v127, v126, v127, 1.0
	s_delay_alu instid0(VALU_DEP_1)
	v_mul_f32_e32 v126, v125, v127
	v_xor_b32_e32 v127, 0x80000000, v127
.LBB116_133:
	s_and_not1_saveexec_b32 s1, s1
	s_cbranch_execz .LBB116_135
; %bb.134:
	s_delay_alu instid0(VALU_DEP_1) | instskip(SKIP_1) | instid1(VALU_DEP_2)
	v_div_scale_f32 v125, null, v126, v126, v127
	v_div_scale_f32 v135, vcc_lo, v127, v126, v127
	v_rcp_f32_e32 v133, v125
	v_nop
	s_delay_alu instid0(TRANS32_DEP_1) | instskip(NEXT) | instid1(VALU_DEP_1)
	v_fma_f32 v134, -v125, v133, 1.0
	v_fmac_f32_e32 v133, v134, v133
	s_delay_alu instid0(VALU_DEP_1) | instskip(NEXT) | instid1(VALU_DEP_1)
	v_mul_f32_e32 v134, v135, v133
	v_fma_f32 v136, -v125, v134, v135
	s_delay_alu instid0(VALU_DEP_1) | instskip(NEXT) | instid1(VALU_DEP_1)
	v_fmac_f32_e32 v134, v136, v133
	v_fma_f32 v125, -v125, v134, v135
	s_delay_alu instid0(VALU_DEP_1) | instskip(NEXT) | instid1(VALU_DEP_1)
	v_div_fmas_f32 v125, v125, v133, v134
	v_div_fixup_f32 v125, v125, v126, v127
	s_delay_alu instid0(VALU_DEP_1) | instskip(NEXT) | instid1(VALU_DEP_1)
	v_fmac_f32_e32 v126, v127, v125
	v_div_scale_f32 v127, null, v126, v126, 1.0
	s_delay_alu instid0(VALU_DEP_1) | instskip(SKIP_1) | instid1(TRANS32_DEP_1)
	v_rcp_f32_e32 v133, v127
	v_nop
	v_fma_f32 v134, -v127, v133, 1.0
	s_delay_alu instid0(VALU_DEP_1) | instskip(SKIP_1) | instid1(VALU_DEP_1)
	v_fmac_f32_e32 v133, v134, v133
	v_div_scale_f32 v134, vcc_lo, 1.0, v126, 1.0
	v_mul_f32_e32 v135, v134, v133
	s_delay_alu instid0(VALU_DEP_1) | instskip(NEXT) | instid1(VALU_DEP_1)
	v_fma_f32 v136, -v127, v135, v134
	v_fmac_f32_e32 v135, v136, v133
	s_delay_alu instid0(VALU_DEP_1) | instskip(NEXT) | instid1(VALU_DEP_1)
	v_fma_f32 v127, -v127, v135, v134
	v_div_fmas_f32 v127, v127, v133, v135
	s_delay_alu instid0(VALU_DEP_1) | instskip(NEXT) | instid1(VALU_DEP_1)
	v_div_fixup_f32 v126, v127, v126, 1.0
	v_mul_f32_e64 v127, v125, -v126
.LBB116_135:
	s_or_b32 exec_lo, exec_lo, s1
.LBB116_136:
	s_delay_alu instid0(SALU_CYCLE_1) | instskip(NEXT) | instid1(SALU_CYCLE_1)
	s_or_b32 exec_lo, exec_lo, s0
	s_mov_b32 s0, exec_lo
	v_cmpx_ne_u32_e64 v132, v124
	s_xor_b32 s0, exec_lo, s0
	s_cbranch_execz .LBB116_142
; %bb.137:
	s_mov_b32 s1, exec_lo
	v_cmpx_eq_u32_e32 6, v132
	s_cbranch_execz .LBB116_141
; %bb.138:
	v_cmp_ne_u32_e32 vcc_lo, 6, v124
	s_xor_b32 s12, s16, -1
	s_delay_alu instid0(SALU_CYCLE_1) | instskip(NEXT) | instid1(SALU_CYCLE_1)
	s_and_b32 s13, s12, vcc_lo
	s_and_saveexec_b32 s12, s13
	s_cbranch_execz .LBB116_140
; %bb.139:
	v_ashrrev_i32_e32 v125, 31, v124
	s_delay_alu instid0(VALU_DEP_1)
	v_lshl_add_u64 v[132:133], v[124:125], 2, v[4:5]
	s_clause 0x1
	global_load_b32 v125, v[132:133], off
	global_load_b32 v131, v[4:5], off offset:24
	s_wait_loadcnt 0x1
	global_store_b32 v[4:5], v125, off offset:24
	s_wait_loadcnt 0x0
	global_store_b32 v[132:133], v131, off
.LBB116_140:
	s_wait_xcnt 0x0
	s_or_b32 exec_lo, exec_lo, s12
	v_dual_mov_b32 v132, v124 :: v_dual_mov_b32 v131, v124
.LBB116_141:
	s_or_b32 exec_lo, exec_lo, s1
.LBB116_142:
	s_and_not1_saveexec_b32 s0, s0
	s_cbranch_execz .LBB116_144
; %bb.143:
	v_mov_b32_e32 v132, 6
	ds_store_2addr_b64 v128, v[10:11], v[24:25] offset0:7 offset1:8
	ds_store_2addr_b64 v128, v[22:23], v[8:9] offset0:9 offset1:10
	;; [unrolled: 1-line block ×26, first 2 shown]
.LBB116_144:
	s_or_b32 exec_lo, exec_lo, s0
	s_delay_alu instid0(SALU_CYCLE_1)
	s_mov_b32 s0, exec_lo
	s_wait_storecnt_dscnt 0x0
	s_barrier_signal -1
	s_barrier_wait -1
	v_cmpx_lt_i32_e32 6, v132
	s_cbranch_execz .LBB116_146
; %bb.145:
	v_pk_mul_f32 v[134:135], v[126:127], v[16:17] op_sel:[1,1] op_sel_hi:[0,1]
	s_delay_alu instid0(VALU_DEP_1)
	v_pk_fma_f32 v[124:125], v[126:127], v[16:17], v[134:135] op_sel_hi:[1,0,1] neg_lo:[0,0,1] neg_hi:[0,0,1]
	v_pk_fma_f32 v[126:127], v[126:127], v[16:17], v[134:135] op_sel_hi:[1,0,1]
	ds_load_2addr_b64 v[134:137], v128 offset0:7 offset1:8
	v_dual_mov_b32 v16, v124 :: v_dual_mov_b32 v17, v127
	s_wait_dscnt 0x0
	v_pk_mul_f32 v[138:139], v[134:135], v[126:127] op_sel:[0,1]
	s_delay_alu instid0(VALU_DEP_1) | instskip(SKIP_1) | instid1(VALU_DEP_1)
	v_pk_fma_f32 v[140:141], v[134:135], v[124:125], v[138:139] op_sel:[0,0,1] op_sel_hi:[1,1,0] neg_lo:[0,0,1] neg_hi:[0,0,1]
	v_pk_fma_f32 v[134:135], v[134:135], v[124:125], v[138:139] op_sel:[0,0,1] op_sel_hi:[1,0,0]
	v_mov_b32_e32 v141, v135
	v_pk_mul_f32 v[134:135], v[136:137], v[126:127] op_sel:[0,1]
	s_delay_alu instid0(VALU_DEP_1) | instskip(SKIP_1) | instid1(VALU_DEP_1)
	v_pk_fma_f32 v[138:139], v[136:137], v[124:125], v[134:135] op_sel:[0,0,1] op_sel_hi:[1,1,0] neg_lo:[0,0,1] neg_hi:[0,0,1]
	v_pk_fma_f32 v[134:135], v[136:137], v[124:125], v[134:135] op_sel:[0,0,1] op_sel_hi:[1,0,0]
	v_mov_b32_e32 v139, v135
	ds_load_2addr_b64 v[134:137], v128 offset0:9 offset1:10
	v_pk_add_f32 v[10:11], v[10:11], v[140:141] neg_lo:[0,1] neg_hi:[0,1]
	v_pk_add_f32 v[24:25], v[24:25], v[138:139] neg_lo:[0,1] neg_hi:[0,1]
	s_wait_dscnt 0x0
	v_pk_mul_f32 v[138:139], v[134:135], v[126:127] op_sel:[0,1]
	s_delay_alu instid0(VALU_DEP_1) | instskip(SKIP_2) | instid1(VALU_DEP_2)
	v_pk_fma_f32 v[140:141], v[134:135], v[124:125], v[138:139] op_sel:[0,0,1] op_sel_hi:[1,1,0] neg_lo:[0,0,1] neg_hi:[0,0,1]
	v_pk_fma_f32 v[134:135], v[134:135], v[124:125], v[138:139] op_sel:[0,0,1] op_sel_hi:[1,0,0]
	v_dual_mul_f32 v138, v137, v127 :: v_dual_mov_b32 v134, v137
	v_dual_mov_b32 v141, v135 :: v_dual_mov_b32 v135, v136
	s_delay_alu instid0(VALU_DEP_2) | instskip(SKIP_1) | instid1(VALU_DEP_3)
	v_pk_fma_f32 v[138:139], v[136:137], v[16:17], v[138:139] op_sel_hi:[1,1,0] neg_lo:[0,0,1] neg_hi:[0,0,1]
	v_mul_f32_e32 v136, v137, v124
	v_pk_add_f32 v[22:23], v[22:23], v[140:141] neg_lo:[0,1] neg_hi:[0,1]
	s_delay_alu instid0(VALU_DEP_2) | instskip(NEXT) | instid1(VALU_DEP_1)
	v_pk_fma_f32 v[134:135], v[134:135], v[16:17], v[136:137] op_sel_hi:[1,1,0]
	v_mov_b32_e32 v139, v135
	ds_load_2addr_b64 v[134:137], v128 offset0:11 offset1:12
	v_pk_add_f32 v[8:9], v[8:9], v[138:139] neg_lo:[0,1] neg_hi:[0,1]
	s_wait_dscnt 0x0
	v_pk_mul_f32 v[138:139], v[134:135], v[126:127] op_sel:[0,1]
	s_delay_alu instid0(VALU_DEP_1) | instskip(SKIP_1) | instid1(VALU_DEP_1)
	v_pk_fma_f32 v[140:141], v[134:135], v[124:125], v[138:139] op_sel:[0,0,1] op_sel_hi:[1,1,0] neg_lo:[0,0,1] neg_hi:[0,0,1]
	v_pk_fma_f32 v[134:135], v[134:135], v[124:125], v[138:139] op_sel:[0,0,1] op_sel_hi:[1,0,0]
	v_mov_b32_e32 v141, v135
	v_pk_mul_f32 v[134:135], v[136:137], v[126:127] op_sel:[0,1]
	s_delay_alu instid0(VALU_DEP_1) | instskip(SKIP_1) | instid1(VALU_DEP_1)
	v_pk_fma_f32 v[138:139], v[136:137], v[124:125], v[134:135] op_sel:[0,0,1] op_sel_hi:[1,1,0] neg_lo:[0,0,1] neg_hi:[0,0,1]
	v_pk_fma_f32 v[134:135], v[136:137], v[124:125], v[134:135] op_sel:[0,0,1] op_sel_hi:[1,0,0]
	v_mov_b32_e32 v139, v135
	ds_load_2addr_b64 v[134:137], v128 offset0:13 offset1:14
	v_pk_add_f32 v[6:7], v[6:7], v[140:141] neg_lo:[0,1] neg_hi:[0,1]
	v_pk_add_f32 v[34:35], v[34:35], v[138:139] neg_lo:[0,1] neg_hi:[0,1]
	s_wait_dscnt 0x0
	v_pk_mul_f32 v[138:139], v[134:135], v[126:127] op_sel:[0,1]
	s_delay_alu instid0(VALU_DEP_1) | instskip(SKIP_1) | instid1(VALU_DEP_1)
	v_pk_fma_f32 v[140:141], v[134:135], v[124:125], v[138:139] op_sel:[0,0,1] op_sel_hi:[1,1,0] neg_lo:[0,0,1] neg_hi:[0,0,1]
	v_pk_fma_f32 v[134:135], v[134:135], v[124:125], v[138:139] op_sel:[0,0,1] op_sel_hi:[1,0,0]
	v_mov_b32_e32 v141, v135
	v_pk_mul_f32 v[134:135], v[136:137], v[126:127] op_sel:[0,1]
	s_delay_alu instid0(VALU_DEP_1) | instskip(SKIP_1) | instid1(VALU_DEP_1)
	v_pk_fma_f32 v[138:139], v[136:137], v[124:125], v[134:135] op_sel:[0,0,1] op_sel_hi:[1,1,0] neg_lo:[0,0,1] neg_hi:[0,0,1]
	v_pk_fma_f32 v[134:135], v[136:137], v[124:125], v[134:135] op_sel:[0,0,1] op_sel_hi:[1,0,0]
	v_mov_b32_e32 v139, v135
	ds_load_2addr_b64 v[134:137], v128 offset0:15 offset1:16
	v_pk_add_f32 v[32:33], v[32:33], v[140:141] neg_lo:[0,1] neg_hi:[0,1]
	v_pk_add_f32 v[14:15], v[14:15], v[138:139] neg_lo:[0,1] neg_hi:[0,1]
	s_wait_dscnt 0x0
	v_dual_mul_f32 v138, v135, v127 :: v_dual_mul_f32 v140, v135, v124
	s_delay_alu instid0(VALU_DEP_1) | instskip(NEXT) | instid1(VALU_DEP_2)
	v_pk_fma_f32 v[138:139], v[134:135], v[16:17], v[138:139] op_sel_hi:[1,1,0] neg_lo:[0,0,1] neg_hi:[0,0,1]
	v_pk_fma_f32 v[134:135], v[134:135], v[16:17], v[140:141] op_sel:[1,0,0] op_sel_hi:[0,1,0]
	s_delay_alu instid0(VALU_DEP_1) | instskip(SKIP_1) | instid1(VALU_DEP_2)
	v_mov_b32_e32 v139, v135
	v_pk_mul_f32 v[134:135], v[136:137], v[126:127] op_sel:[0,1]
	v_pk_add_f32 v[12:13], v[12:13], v[138:139] neg_lo:[0,1] neg_hi:[0,1]
	s_delay_alu instid0(VALU_DEP_2) | instskip(SKIP_1) | instid1(VALU_DEP_1)
	v_pk_fma_f32 v[138:139], v[136:137], v[124:125], v[134:135] op_sel:[0,0,1] op_sel_hi:[1,1,0] neg_lo:[0,0,1] neg_hi:[0,0,1]
	v_pk_fma_f32 v[134:135], v[136:137], v[124:125], v[134:135] op_sel:[0,0,1] op_sel_hi:[1,0,0]
	v_mov_b32_e32 v139, v135
	ds_load_2addr_b64 v[134:137], v128 offset0:17 offset1:18
	v_pk_add_f32 v[44:45], v[44:45], v[138:139] neg_lo:[0,1] neg_hi:[0,1]
	s_wait_dscnt 0x0
	v_pk_mul_f32 v[138:139], v[134:135], v[126:127] op_sel:[0,1]
	s_delay_alu instid0(VALU_DEP_1) | instskip(SKIP_1) | instid1(VALU_DEP_1)
	v_pk_fma_f32 v[140:141], v[134:135], v[124:125], v[138:139] op_sel:[0,0,1] op_sel_hi:[1,1,0] neg_lo:[0,0,1] neg_hi:[0,0,1]
	v_pk_fma_f32 v[134:135], v[134:135], v[124:125], v[138:139] op_sel:[0,0,1] op_sel_hi:[1,0,0]
	v_mov_b32_e32 v141, v135
	v_pk_mul_f32 v[134:135], v[136:137], v[126:127] op_sel:[0,1]
	s_delay_alu instid0(VALU_DEP_2) | instskip(NEXT) | instid1(VALU_DEP_2)
	v_pk_add_f32 v[42:43], v[42:43], v[140:141] neg_lo:[0,1] neg_hi:[0,1]
	v_pk_fma_f32 v[138:139], v[136:137], v[124:125], v[134:135] op_sel:[0,0,1] op_sel_hi:[1,1,0] neg_lo:[0,0,1] neg_hi:[0,0,1]
	v_pk_fma_f32 v[134:135], v[136:137], v[124:125], v[134:135] op_sel:[0,0,1] op_sel_hi:[1,0,0]
	s_delay_alu instid0(VALU_DEP_1) | instskip(SKIP_4) | instid1(VALU_DEP_1)
	v_mov_b32_e32 v139, v135
	ds_load_2addr_b64 v[134:137], v128 offset0:19 offset1:20
	v_pk_add_f32 v[20:21], v[20:21], v[138:139] neg_lo:[0,1] neg_hi:[0,1]
	s_wait_dscnt 0x0
	v_pk_mul_f32 v[138:139], v[134:135], v[126:127] op_sel:[0,1]
	v_pk_fma_f32 v[140:141], v[134:135], v[124:125], v[138:139] op_sel:[0,0,1] op_sel_hi:[1,1,0] neg_lo:[0,0,1] neg_hi:[0,0,1]
	v_pk_fma_f32 v[134:135], v[134:135], v[124:125], v[138:139] op_sel:[0,0,1] op_sel_hi:[1,0,0]
	v_dual_mul_f32 v138, v137, v127 :: v_dual_mov_b32 v134, v137
	s_delay_alu instid0(VALU_DEP_2) | instskip(NEXT) | instid1(VALU_DEP_2)
	v_dual_mov_b32 v141, v135 :: v_dual_mov_b32 v135, v136
	v_pk_fma_f32 v[138:139], v[136:137], v[16:17], v[138:139] op_sel_hi:[1,1,0] neg_lo:[0,0,1] neg_hi:[0,0,1]
	v_mul_f32_e32 v136, v137, v124
	s_delay_alu instid0(VALU_DEP_3) | instskip(NEXT) | instid1(VALU_DEP_2)
	v_pk_add_f32 v[18:19], v[18:19], v[140:141] neg_lo:[0,1] neg_hi:[0,1]
	v_pk_fma_f32 v[134:135], v[134:135], v[16:17], v[136:137] op_sel_hi:[1,1,0]
	s_delay_alu instid0(VALU_DEP_1) | instskip(SKIP_4) | instid1(VALU_DEP_1)
	v_mov_b32_e32 v139, v135
	ds_load_2addr_b64 v[134:137], v128 offset0:21 offset1:22
	v_pk_add_f32 v[52:53], v[52:53], v[138:139] neg_lo:[0,1] neg_hi:[0,1]
	s_wait_dscnt 0x0
	v_pk_mul_f32 v[138:139], v[134:135], v[126:127] op_sel:[0,1]
	v_pk_fma_f32 v[140:141], v[134:135], v[124:125], v[138:139] op_sel:[0,0,1] op_sel_hi:[1,1,0] neg_lo:[0,0,1] neg_hi:[0,0,1]
	v_pk_fma_f32 v[134:135], v[134:135], v[124:125], v[138:139] op_sel:[0,0,1] op_sel_hi:[1,0,0]
	s_delay_alu instid0(VALU_DEP_1) | instskip(SKIP_1) | instid1(VALU_DEP_1)
	v_mov_b32_e32 v141, v135
	v_pk_mul_f32 v[134:135], v[136:137], v[126:127] op_sel:[0,1]
	v_pk_fma_f32 v[138:139], v[136:137], v[124:125], v[134:135] op_sel:[0,0,1] op_sel_hi:[1,1,0] neg_lo:[0,0,1] neg_hi:[0,0,1]
	v_pk_fma_f32 v[134:135], v[136:137], v[124:125], v[134:135] op_sel:[0,0,1] op_sel_hi:[1,0,0]
	s_delay_alu instid0(VALU_DEP_1)
	v_mov_b32_e32 v139, v135
	ds_load_2addr_b64 v[134:137], v128 offset0:23 offset1:24
	v_pk_add_f32 v[50:51], v[50:51], v[140:141] neg_lo:[0,1] neg_hi:[0,1]
	v_pk_add_f32 v[28:29], v[28:29], v[138:139] neg_lo:[0,1] neg_hi:[0,1]
	s_wait_dscnt 0x0
	v_pk_mul_f32 v[138:139], v[134:135], v[126:127] op_sel:[0,1]
	s_delay_alu instid0(VALU_DEP_1) | instskip(SKIP_1) | instid1(VALU_DEP_1)
	v_pk_fma_f32 v[140:141], v[134:135], v[124:125], v[138:139] op_sel:[0,0,1] op_sel_hi:[1,1,0] neg_lo:[0,0,1] neg_hi:[0,0,1]
	v_pk_fma_f32 v[134:135], v[134:135], v[124:125], v[138:139] op_sel:[0,0,1] op_sel_hi:[1,0,0]
	v_mov_b32_e32 v141, v135
	v_pk_mul_f32 v[134:135], v[136:137], v[126:127] op_sel:[0,1]
	s_delay_alu instid0(VALU_DEP_1) | instskip(SKIP_1) | instid1(VALU_DEP_1)
	v_pk_fma_f32 v[138:139], v[136:137], v[124:125], v[134:135] op_sel:[0,0,1] op_sel_hi:[1,1,0] neg_lo:[0,0,1] neg_hi:[0,0,1]
	v_pk_fma_f32 v[134:135], v[136:137], v[124:125], v[134:135] op_sel:[0,0,1] op_sel_hi:[1,0,0]
	v_mov_b32_e32 v139, v135
	ds_load_2addr_b64 v[134:137], v128 offset0:25 offset1:26
	v_pk_add_f32 v[26:27], v[26:27], v[140:141] neg_lo:[0,1] neg_hi:[0,1]
	v_pk_add_f32 v[60:61], v[60:61], v[138:139] neg_lo:[0,1] neg_hi:[0,1]
	s_wait_dscnt 0x0
	v_dual_mul_f32 v138, v135, v127 :: v_dual_mul_f32 v140, v135, v124
	s_delay_alu instid0(VALU_DEP_1) | instskip(NEXT) | instid1(VALU_DEP_2)
	v_pk_fma_f32 v[138:139], v[134:135], v[16:17], v[138:139] op_sel_hi:[1,1,0] neg_lo:[0,0,1] neg_hi:[0,0,1]
	v_pk_fma_f32 v[134:135], v[134:135], v[16:17], v[140:141] op_sel:[1,0,0] op_sel_hi:[0,1,0]
	s_delay_alu instid0(VALU_DEP_1) | instskip(SKIP_1) | instid1(VALU_DEP_2)
	v_mov_b32_e32 v139, v135
	v_pk_mul_f32 v[134:135], v[136:137], v[126:127] op_sel:[0,1]
	v_pk_add_f32 v[58:59], v[58:59], v[138:139] neg_lo:[0,1] neg_hi:[0,1]
	s_delay_alu instid0(VALU_DEP_2) | instskip(SKIP_1) | instid1(VALU_DEP_1)
	v_pk_fma_f32 v[138:139], v[136:137], v[124:125], v[134:135] op_sel:[0,0,1] op_sel_hi:[1,1,0] neg_lo:[0,0,1] neg_hi:[0,0,1]
	v_pk_fma_f32 v[134:135], v[136:137], v[124:125], v[134:135] op_sel:[0,0,1] op_sel_hi:[1,0,0]
	v_mov_b32_e32 v139, v135
	ds_load_2addr_b64 v[134:137], v128 offset0:27 offset1:28
	v_pk_add_f32 v[38:39], v[38:39], v[138:139] neg_lo:[0,1] neg_hi:[0,1]
	s_wait_dscnt 0x0
	v_pk_mul_f32 v[138:139], v[134:135], v[126:127] op_sel:[0,1]
	s_delay_alu instid0(VALU_DEP_1) | instskip(SKIP_1) | instid1(VALU_DEP_1)
	v_pk_fma_f32 v[140:141], v[134:135], v[124:125], v[138:139] op_sel:[0,0,1] op_sel_hi:[1,1,0] neg_lo:[0,0,1] neg_hi:[0,0,1]
	v_pk_fma_f32 v[134:135], v[134:135], v[124:125], v[138:139] op_sel:[0,0,1] op_sel_hi:[1,0,0]
	v_mov_b32_e32 v141, v135
	v_pk_mul_f32 v[134:135], v[136:137], v[126:127] op_sel:[0,1]
	s_delay_alu instid0(VALU_DEP_2) | instskip(NEXT) | instid1(VALU_DEP_2)
	v_pk_add_f32 v[36:37], v[36:37], v[140:141] neg_lo:[0,1] neg_hi:[0,1]
	v_pk_fma_f32 v[138:139], v[136:137], v[124:125], v[134:135] op_sel:[0,0,1] op_sel_hi:[1,1,0] neg_lo:[0,0,1] neg_hi:[0,0,1]
	v_pk_fma_f32 v[134:135], v[136:137], v[124:125], v[134:135] op_sel:[0,0,1] op_sel_hi:[1,0,0]
	s_delay_alu instid0(VALU_DEP_1) | instskip(SKIP_4) | instid1(VALU_DEP_1)
	v_mov_b32_e32 v139, v135
	ds_load_2addr_b64 v[134:137], v128 offset0:29 offset1:30
	v_pk_add_f32 v[68:69], v[68:69], v[138:139] neg_lo:[0,1] neg_hi:[0,1]
	s_wait_dscnt 0x0
	v_pk_mul_f32 v[138:139], v[134:135], v[126:127] op_sel:[0,1]
	v_pk_fma_f32 v[140:141], v[134:135], v[124:125], v[138:139] op_sel:[0,0,1] op_sel_hi:[1,1,0] neg_lo:[0,0,1] neg_hi:[0,0,1]
	v_pk_fma_f32 v[134:135], v[134:135], v[124:125], v[138:139] op_sel:[0,0,1] op_sel_hi:[1,0,0]
	v_dual_mul_f32 v138, v137, v127 :: v_dual_mov_b32 v134, v137
	s_delay_alu instid0(VALU_DEP_2) | instskip(NEXT) | instid1(VALU_DEP_2)
	v_dual_mov_b32 v141, v135 :: v_dual_mov_b32 v135, v136
	v_pk_fma_f32 v[138:139], v[136:137], v[16:17], v[138:139] op_sel_hi:[1,1,0] neg_lo:[0,0,1] neg_hi:[0,0,1]
	v_mul_f32_e32 v136, v137, v124
	s_delay_alu instid0(VALU_DEP_3) | instskip(NEXT) | instid1(VALU_DEP_2)
	v_pk_add_f32 v[66:67], v[66:67], v[140:141] neg_lo:[0,1] neg_hi:[0,1]
	v_pk_fma_f32 v[134:135], v[134:135], v[16:17], v[136:137] op_sel_hi:[1,1,0]
	s_delay_alu instid0(VALU_DEP_1) | instskip(SKIP_4) | instid1(VALU_DEP_1)
	v_mov_b32_e32 v139, v135
	ds_load_2addr_b64 v[134:137], v128 offset0:31 offset1:32
	v_pk_add_f32 v[48:49], v[48:49], v[138:139] neg_lo:[0,1] neg_hi:[0,1]
	s_wait_dscnt 0x0
	v_pk_mul_f32 v[138:139], v[134:135], v[126:127] op_sel:[0,1]
	v_pk_fma_f32 v[140:141], v[134:135], v[124:125], v[138:139] op_sel:[0,0,1] op_sel_hi:[1,1,0] neg_lo:[0,0,1] neg_hi:[0,0,1]
	v_pk_fma_f32 v[134:135], v[134:135], v[124:125], v[138:139] op_sel:[0,0,1] op_sel_hi:[1,0,0]
	s_delay_alu instid0(VALU_DEP_1) | instskip(SKIP_1) | instid1(VALU_DEP_1)
	v_mov_b32_e32 v141, v135
	v_pk_mul_f32 v[134:135], v[136:137], v[126:127] op_sel:[0,1]
	v_pk_fma_f32 v[138:139], v[136:137], v[124:125], v[134:135] op_sel:[0,0,1] op_sel_hi:[1,1,0] neg_lo:[0,0,1] neg_hi:[0,0,1]
	v_pk_fma_f32 v[134:135], v[136:137], v[124:125], v[134:135] op_sel:[0,0,1] op_sel_hi:[1,0,0]
	s_delay_alu instid0(VALU_DEP_1)
	v_mov_b32_e32 v139, v135
	ds_load_2addr_b64 v[134:137], v128 offset0:33 offset1:34
	v_pk_add_f32 v[46:47], v[46:47], v[140:141] neg_lo:[0,1] neg_hi:[0,1]
	v_pk_add_f32 v[78:79], v[78:79], v[138:139] neg_lo:[0,1] neg_hi:[0,1]
	s_wait_dscnt 0x0
	v_pk_mul_f32 v[138:139], v[134:135], v[126:127] op_sel:[0,1]
	s_delay_alu instid0(VALU_DEP_1) | instskip(SKIP_1) | instid1(VALU_DEP_1)
	v_pk_fma_f32 v[140:141], v[134:135], v[124:125], v[138:139] op_sel:[0,0,1] op_sel_hi:[1,1,0] neg_lo:[0,0,1] neg_hi:[0,0,1]
	v_pk_fma_f32 v[134:135], v[134:135], v[124:125], v[138:139] op_sel:[0,0,1] op_sel_hi:[1,0,0]
	v_mov_b32_e32 v141, v135
	v_pk_mul_f32 v[134:135], v[136:137], v[126:127] op_sel:[0,1]
	s_delay_alu instid0(VALU_DEP_1) | instskip(SKIP_1) | instid1(VALU_DEP_1)
	v_pk_fma_f32 v[138:139], v[136:137], v[124:125], v[134:135] op_sel:[0,0,1] op_sel_hi:[1,1,0] neg_lo:[0,0,1] neg_hi:[0,0,1]
	v_pk_fma_f32 v[134:135], v[136:137], v[124:125], v[134:135] op_sel:[0,0,1] op_sel_hi:[1,0,0]
	v_mov_b32_e32 v139, v135
	ds_load_2addr_b64 v[134:137], v128 offset0:35 offset1:36
	v_pk_add_f32 v[76:77], v[76:77], v[140:141] neg_lo:[0,1] neg_hi:[0,1]
	v_pk_add_f32 v[56:57], v[56:57], v[138:139] neg_lo:[0,1] neg_hi:[0,1]
	s_wait_dscnt 0x0
	v_dual_mul_f32 v138, v135, v127 :: v_dual_mul_f32 v140, v135, v124
	s_delay_alu instid0(VALU_DEP_1) | instskip(NEXT) | instid1(VALU_DEP_2)
	v_pk_fma_f32 v[138:139], v[134:135], v[16:17], v[138:139] op_sel_hi:[1,1,0] neg_lo:[0,0,1] neg_hi:[0,0,1]
	v_pk_fma_f32 v[134:135], v[134:135], v[16:17], v[140:141] op_sel:[1,0,0] op_sel_hi:[0,1,0]
	s_delay_alu instid0(VALU_DEP_1) | instskip(SKIP_1) | instid1(VALU_DEP_2)
	v_mov_b32_e32 v139, v135
	v_pk_mul_f32 v[134:135], v[136:137], v[126:127] op_sel:[0,1]
	v_pk_add_f32 v[54:55], v[54:55], v[138:139] neg_lo:[0,1] neg_hi:[0,1]
	s_delay_alu instid0(VALU_DEP_2) | instskip(SKIP_1) | instid1(VALU_DEP_1)
	v_pk_fma_f32 v[138:139], v[136:137], v[124:125], v[134:135] op_sel:[0,0,1] op_sel_hi:[1,1,0] neg_lo:[0,0,1] neg_hi:[0,0,1]
	v_pk_fma_f32 v[134:135], v[136:137], v[124:125], v[134:135] op_sel:[0,0,1] op_sel_hi:[1,0,0]
	v_mov_b32_e32 v139, v135
	ds_load_2addr_b64 v[134:137], v128 offset0:37 offset1:38
	v_pk_add_f32 v[88:89], v[88:89], v[138:139] neg_lo:[0,1] neg_hi:[0,1]
	s_wait_dscnt 0x0
	v_pk_mul_f32 v[138:139], v[134:135], v[126:127] op_sel:[0,1]
	s_delay_alu instid0(VALU_DEP_1) | instskip(SKIP_1) | instid1(VALU_DEP_1)
	v_pk_fma_f32 v[140:141], v[134:135], v[124:125], v[138:139] op_sel:[0,0,1] op_sel_hi:[1,1,0] neg_lo:[0,0,1] neg_hi:[0,0,1]
	v_pk_fma_f32 v[134:135], v[134:135], v[124:125], v[138:139] op_sel:[0,0,1] op_sel_hi:[1,0,0]
	v_mov_b32_e32 v141, v135
	v_pk_mul_f32 v[134:135], v[136:137], v[126:127] op_sel:[0,1]
	s_delay_alu instid0(VALU_DEP_2) | instskip(NEXT) | instid1(VALU_DEP_2)
	v_pk_add_f32 v[86:87], v[86:87], v[140:141] neg_lo:[0,1] neg_hi:[0,1]
	v_pk_fma_f32 v[138:139], v[136:137], v[124:125], v[134:135] op_sel:[0,0,1] op_sel_hi:[1,1,0] neg_lo:[0,0,1] neg_hi:[0,0,1]
	v_pk_fma_f32 v[134:135], v[136:137], v[124:125], v[134:135] op_sel:[0,0,1] op_sel_hi:[1,0,0]
	s_delay_alu instid0(VALU_DEP_1) | instskip(SKIP_4) | instid1(VALU_DEP_1)
	v_mov_b32_e32 v139, v135
	ds_load_2addr_b64 v[134:137], v128 offset0:39 offset1:40
	v_pk_add_f32 v[64:65], v[64:65], v[138:139] neg_lo:[0,1] neg_hi:[0,1]
	s_wait_dscnt 0x0
	v_pk_mul_f32 v[138:139], v[134:135], v[126:127] op_sel:[0,1]
	v_pk_fma_f32 v[140:141], v[134:135], v[124:125], v[138:139] op_sel:[0,0,1] op_sel_hi:[1,1,0] neg_lo:[0,0,1] neg_hi:[0,0,1]
	v_pk_fma_f32 v[134:135], v[134:135], v[124:125], v[138:139] op_sel:[0,0,1] op_sel_hi:[1,0,0]
	v_dual_mul_f32 v138, v137, v127 :: v_dual_mov_b32 v134, v137
	s_delay_alu instid0(VALU_DEP_2) | instskip(NEXT) | instid1(VALU_DEP_2)
	v_dual_mov_b32 v141, v135 :: v_dual_mov_b32 v135, v136
	v_pk_fma_f32 v[138:139], v[136:137], v[16:17], v[138:139] op_sel_hi:[1,1,0] neg_lo:[0,0,1] neg_hi:[0,0,1]
	v_mul_f32_e32 v136, v137, v124
	s_delay_alu instid0(VALU_DEP_3) | instskip(NEXT) | instid1(VALU_DEP_2)
	v_pk_add_f32 v[62:63], v[62:63], v[140:141] neg_lo:[0,1] neg_hi:[0,1]
	v_pk_fma_f32 v[134:135], v[134:135], v[16:17], v[136:137] op_sel_hi:[1,1,0]
	s_delay_alu instid0(VALU_DEP_1) | instskip(SKIP_4) | instid1(VALU_DEP_1)
	v_mov_b32_e32 v139, v135
	ds_load_2addr_b64 v[134:137], v128 offset0:41 offset1:42
	v_pk_add_f32 v[102:103], v[102:103], v[138:139] neg_lo:[0,1] neg_hi:[0,1]
	s_wait_dscnt 0x0
	v_pk_mul_f32 v[138:139], v[134:135], v[126:127] op_sel:[0,1]
	v_pk_fma_f32 v[140:141], v[134:135], v[124:125], v[138:139] op_sel:[0,0,1] op_sel_hi:[1,1,0] neg_lo:[0,0,1] neg_hi:[0,0,1]
	v_pk_fma_f32 v[134:135], v[134:135], v[124:125], v[138:139] op_sel:[0,0,1] op_sel_hi:[1,0,0]
	s_delay_alu instid0(VALU_DEP_1) | instskip(SKIP_1) | instid1(VALU_DEP_1)
	v_mov_b32_e32 v141, v135
	v_pk_mul_f32 v[134:135], v[136:137], v[126:127] op_sel:[0,1]
	v_pk_fma_f32 v[138:139], v[136:137], v[124:125], v[134:135] op_sel:[0,0,1] op_sel_hi:[1,1,0] neg_lo:[0,0,1] neg_hi:[0,0,1]
	v_pk_fma_f32 v[134:135], v[136:137], v[124:125], v[134:135] op_sel:[0,0,1] op_sel_hi:[1,0,0]
	s_delay_alu instid0(VALU_DEP_1)
	v_mov_b32_e32 v139, v135
	ds_load_2addr_b64 v[134:137], v128 offset0:43 offset1:44
	v_pk_add_f32 v[100:101], v[100:101], v[140:141] neg_lo:[0,1] neg_hi:[0,1]
	v_pk_add_f32 v[72:73], v[72:73], v[138:139] neg_lo:[0,1] neg_hi:[0,1]
	s_wait_dscnt 0x0
	v_pk_mul_f32 v[138:139], v[134:135], v[126:127] op_sel:[0,1]
	s_delay_alu instid0(VALU_DEP_1) | instskip(SKIP_1) | instid1(VALU_DEP_1)
	v_pk_fma_f32 v[140:141], v[134:135], v[124:125], v[138:139] op_sel:[0,0,1] op_sel_hi:[1,1,0] neg_lo:[0,0,1] neg_hi:[0,0,1]
	v_pk_fma_f32 v[134:135], v[134:135], v[124:125], v[138:139] op_sel:[0,0,1] op_sel_hi:[1,0,0]
	v_mov_b32_e32 v141, v135
	v_pk_mul_f32 v[134:135], v[136:137], v[126:127] op_sel:[0,1]
	s_delay_alu instid0(VALU_DEP_1) | instskip(SKIP_1) | instid1(VALU_DEP_1)
	v_pk_fma_f32 v[138:139], v[136:137], v[124:125], v[134:135] op_sel:[0,0,1] op_sel_hi:[1,1,0] neg_lo:[0,0,1] neg_hi:[0,0,1]
	v_pk_fma_f32 v[134:135], v[136:137], v[124:125], v[134:135] op_sel:[0,0,1] op_sel_hi:[1,0,0]
	v_mov_b32_e32 v139, v135
	ds_load_2addr_b64 v[134:137], v128 offset0:45 offset1:46
	v_pk_add_f32 v[70:71], v[70:71], v[140:141] neg_lo:[0,1] neg_hi:[0,1]
	v_pk_add_f32 v[110:111], v[110:111], v[138:139] neg_lo:[0,1] neg_hi:[0,1]
	s_wait_dscnt 0x0
	v_dual_mul_f32 v138, v135, v127 :: v_dual_mul_f32 v140, v135, v124
	s_delay_alu instid0(VALU_DEP_1) | instskip(NEXT) | instid1(VALU_DEP_2)
	v_pk_fma_f32 v[138:139], v[134:135], v[16:17], v[138:139] op_sel_hi:[1,1,0] neg_lo:[0,0,1] neg_hi:[0,0,1]
	v_pk_fma_f32 v[134:135], v[134:135], v[16:17], v[140:141] op_sel:[1,0,0] op_sel_hi:[0,1,0]
	s_delay_alu instid0(VALU_DEP_1) | instskip(SKIP_1) | instid1(VALU_DEP_2)
	v_mov_b32_e32 v139, v135
	v_pk_mul_f32 v[134:135], v[136:137], v[126:127] op_sel:[0,1]
	v_pk_add_f32 v[108:109], v[108:109], v[138:139] neg_lo:[0,1] neg_hi:[0,1]
	s_delay_alu instid0(VALU_DEP_2) | instskip(SKIP_1) | instid1(VALU_DEP_1)
	v_pk_fma_f32 v[138:139], v[136:137], v[124:125], v[134:135] op_sel:[0,0,1] op_sel_hi:[1,1,0] neg_lo:[0,0,1] neg_hi:[0,0,1]
	v_pk_fma_f32 v[134:135], v[136:137], v[124:125], v[134:135] op_sel:[0,0,1] op_sel_hi:[1,0,0]
	v_mov_b32_e32 v139, v135
	ds_load_2addr_b64 v[134:137], v128 offset0:47 offset1:48
	v_pk_add_f32 v[82:83], v[82:83], v[138:139] neg_lo:[0,1] neg_hi:[0,1]
	s_wait_dscnt 0x0
	v_pk_mul_f32 v[138:139], v[134:135], v[126:127] op_sel:[0,1]
	s_delay_alu instid0(VALU_DEP_1) | instskip(SKIP_1) | instid1(VALU_DEP_1)
	v_pk_fma_f32 v[140:141], v[134:135], v[124:125], v[138:139] op_sel:[0,0,1] op_sel_hi:[1,1,0] neg_lo:[0,0,1] neg_hi:[0,0,1]
	v_pk_fma_f32 v[134:135], v[134:135], v[124:125], v[138:139] op_sel:[0,0,1] op_sel_hi:[1,0,0]
	v_mov_b32_e32 v141, v135
	v_pk_mul_f32 v[134:135], v[136:137], v[126:127] op_sel:[0,1]
	s_delay_alu instid0(VALU_DEP_2) | instskip(NEXT) | instid1(VALU_DEP_2)
	v_pk_add_f32 v[80:81], v[80:81], v[140:141] neg_lo:[0,1] neg_hi:[0,1]
	v_pk_fma_f32 v[138:139], v[136:137], v[124:125], v[134:135] op_sel:[0,0,1] op_sel_hi:[1,1,0] neg_lo:[0,0,1] neg_hi:[0,0,1]
	v_pk_fma_f32 v[134:135], v[136:137], v[124:125], v[134:135] op_sel:[0,0,1] op_sel_hi:[1,0,0]
	s_delay_alu instid0(VALU_DEP_1) | instskip(SKIP_4) | instid1(VALU_DEP_1)
	v_mov_b32_e32 v139, v135
	ds_load_2addr_b64 v[134:137], v128 offset0:49 offset1:50
	v_pk_add_f32 v[120:121], v[120:121], v[138:139] neg_lo:[0,1] neg_hi:[0,1]
	s_wait_dscnt 0x0
	v_pk_mul_f32 v[138:139], v[134:135], v[126:127] op_sel:[0,1]
	v_pk_fma_f32 v[140:141], v[134:135], v[124:125], v[138:139] op_sel:[0,0,1] op_sel_hi:[1,1,0] neg_lo:[0,0,1] neg_hi:[0,0,1]
	v_pk_fma_f32 v[134:135], v[134:135], v[124:125], v[138:139] op_sel:[0,0,1] op_sel_hi:[1,0,0]
	v_dual_mul_f32 v138, v137, v127 :: v_dual_mov_b32 v134, v137
	s_delay_alu instid0(VALU_DEP_2) | instskip(NEXT) | instid1(VALU_DEP_2)
	v_dual_mov_b32 v141, v135 :: v_dual_mov_b32 v135, v136
	v_pk_fma_f32 v[138:139], v[136:137], v[16:17], v[138:139] op_sel_hi:[1,1,0] neg_lo:[0,0,1] neg_hi:[0,0,1]
	v_mul_f32_e32 v136, v137, v124
	s_delay_alu instid0(VALU_DEP_3) | instskip(NEXT) | instid1(VALU_DEP_2)
	v_pk_add_f32 v[118:119], v[118:119], v[140:141] neg_lo:[0,1] neg_hi:[0,1]
	v_pk_fma_f32 v[134:135], v[134:135], v[16:17], v[136:137] op_sel_hi:[1,1,0]
	s_delay_alu instid0(VALU_DEP_1) | instskip(SKIP_4) | instid1(VALU_DEP_1)
	v_mov_b32_e32 v139, v135
	ds_load_2addr_b64 v[134:137], v128 offset0:51 offset1:52
	v_pk_add_f32 v[94:95], v[94:95], v[138:139] neg_lo:[0,1] neg_hi:[0,1]
	s_wait_dscnt 0x0
	v_pk_mul_f32 v[138:139], v[134:135], v[126:127] op_sel:[0,1]
	v_pk_fma_f32 v[140:141], v[134:135], v[124:125], v[138:139] op_sel:[0,0,1] op_sel_hi:[1,1,0] neg_lo:[0,0,1] neg_hi:[0,0,1]
	v_pk_fma_f32 v[134:135], v[134:135], v[124:125], v[138:139] op_sel:[0,0,1] op_sel_hi:[1,0,0]
	s_delay_alu instid0(VALU_DEP_1) | instskip(SKIP_1) | instid1(VALU_DEP_1)
	v_mov_b32_e32 v141, v135
	v_pk_mul_f32 v[134:135], v[136:137], v[126:127] op_sel:[0,1]
	v_pk_fma_f32 v[138:139], v[136:137], v[124:125], v[134:135] op_sel:[0,0,1] op_sel_hi:[1,1,0] neg_lo:[0,0,1] neg_hi:[0,0,1]
	v_pk_fma_f32 v[134:135], v[136:137], v[124:125], v[134:135] op_sel:[0,0,1] op_sel_hi:[1,0,0]
	s_delay_alu instid0(VALU_DEP_1)
	v_mov_b32_e32 v139, v135
	ds_load_2addr_b64 v[134:137], v128 offset0:53 offset1:54
	v_pk_add_f32 v[96:97], v[96:97], v[140:141] neg_lo:[0,1] neg_hi:[0,1]
	v_pk_add_f32 v[114:115], v[114:115], v[138:139] neg_lo:[0,1] neg_hi:[0,1]
	s_wait_dscnt 0x0
	v_pk_mul_f32 v[138:139], v[134:135], v[126:127] op_sel:[0,1]
	s_delay_alu instid0(VALU_DEP_1) | instskip(SKIP_1) | instid1(VALU_DEP_1)
	v_pk_fma_f32 v[140:141], v[134:135], v[124:125], v[138:139] op_sel:[0,0,1] op_sel_hi:[1,1,0] neg_lo:[0,0,1] neg_hi:[0,0,1]
	v_pk_fma_f32 v[134:135], v[134:135], v[124:125], v[138:139] op_sel:[0,0,1] op_sel_hi:[1,0,0]
	v_mov_b32_e32 v141, v135
	v_pk_mul_f32 v[134:135], v[136:137], v[126:127] op_sel:[0,1]
	s_delay_alu instid0(VALU_DEP_1) | instskip(SKIP_1) | instid1(VALU_DEP_1)
	v_pk_fma_f32 v[138:139], v[136:137], v[124:125], v[134:135] op_sel:[0,0,1] op_sel_hi:[1,1,0] neg_lo:[0,0,1] neg_hi:[0,0,1]
	v_pk_fma_f32 v[134:135], v[136:137], v[124:125], v[134:135] op_sel:[0,0,1] op_sel_hi:[1,0,0]
	v_mov_b32_e32 v139, v135
	ds_load_2addr_b64 v[134:137], v128 offset0:55 offset1:56
	v_pk_add_f32 v[112:113], v[112:113], v[140:141] neg_lo:[0,1] neg_hi:[0,1]
	v_pk_add_f32 v[92:93], v[92:93], v[138:139] neg_lo:[0,1] neg_hi:[0,1]
	s_wait_dscnt 0x0
	v_dual_mul_f32 v138, v135, v127 :: v_dual_mul_f32 v140, v135, v124
	s_delay_alu instid0(VALU_DEP_1) | instskip(NEXT) | instid1(VALU_DEP_2)
	v_pk_fma_f32 v[138:139], v[134:135], v[16:17], v[138:139] op_sel_hi:[1,1,0] neg_lo:[0,0,1] neg_hi:[0,0,1]
	v_pk_fma_f32 v[134:135], v[134:135], v[16:17], v[140:141] op_sel:[1,0,0] op_sel_hi:[0,1,0]
	s_delay_alu instid0(VALU_DEP_1) | instskip(SKIP_1) | instid1(VALU_DEP_2)
	v_mov_b32_e32 v139, v135
	v_pk_mul_f32 v[134:135], v[136:137], v[126:127] op_sel:[0,1]
	v_pk_add_f32 v[90:91], v[90:91], v[138:139] neg_lo:[0,1] neg_hi:[0,1]
	s_delay_alu instid0(VALU_DEP_2) | instskip(SKIP_1) | instid1(VALU_DEP_1)
	v_pk_fma_f32 v[138:139], v[136:137], v[124:125], v[134:135] op_sel:[0,0,1] op_sel_hi:[1,1,0] neg_lo:[0,0,1] neg_hi:[0,0,1]
	v_pk_fma_f32 v[134:135], v[136:137], v[124:125], v[134:135] op_sel:[0,0,1] op_sel_hi:[1,0,0]
	v_mov_b32_e32 v139, v135
	ds_load_2addr_b64 v[134:137], v128 offset0:57 offset1:58
	v_pk_add_f32 v[104:105], v[104:105], v[138:139] neg_lo:[0,1] neg_hi:[0,1]
	s_wait_dscnt 0x0
	v_pk_mul_f32 v[138:139], v[134:135], v[126:127] op_sel:[0,1]
	v_pk_mul_f32 v[126:127], v[136:137], v[126:127] op_sel:[0,1]
	s_delay_alu instid0(VALU_DEP_2) | instskip(SKIP_1) | instid1(VALU_DEP_1)
	v_pk_fma_f32 v[140:141], v[134:135], v[124:125], v[138:139] op_sel:[0,0,1] op_sel_hi:[1,1,0] neg_lo:[0,0,1] neg_hi:[0,0,1]
	v_pk_fma_f32 v[134:135], v[134:135], v[124:125], v[138:139] op_sel:[0,0,1] op_sel_hi:[1,0,0]
	v_mov_b32_e32 v141, v135
	s_delay_alu instid0(VALU_DEP_4) | instskip(SKIP_1) | instid1(VALU_DEP_3)
	v_pk_fma_f32 v[134:135], v[136:137], v[124:125], v[126:127] op_sel:[0,0,1] op_sel_hi:[1,1,0] neg_lo:[0,0,1] neg_hi:[0,0,1]
	v_pk_fma_f32 v[124:125], v[136:137], v[124:125], v[126:127] op_sel:[0,0,1] op_sel_hi:[1,0,0]
	v_pk_add_f32 v[98:99], v[98:99], v[140:141] neg_lo:[0,1] neg_hi:[0,1]
	s_delay_alu instid0(VALU_DEP_2) | instskip(NEXT) | instid1(VALU_DEP_1)
	v_mov_b32_e32 v135, v125
	v_pk_add_f32 v[122:123], v[122:123], v[134:135] neg_lo:[0,1] neg_hi:[0,1]
.LBB116_146:
	s_or_b32 exec_lo, exec_lo, s0
	v_lshl_add_u32 v124, v132, 3, v128
	s_barrier_signal -1
	s_barrier_wait -1
	ds_store_b64 v124, v[10:11]
	s_wait_dscnt 0x0
	s_barrier_signal -1
	s_barrier_wait -1
	ds_load_b64 v[126:127], v128 offset:56
	v_mov_b32_e32 v124, 7
	s_cmp_lt_i32 s18, 9
	s_cbranch_scc1 .LBB116_149
; %bb.147:
	v_add3_u32 v125, v129, 0, 64
	v_mov_b32_e32 v124, 7
	s_mov_b32 s0, 8
.LBB116_148:                            ; =>This Inner Loop Header: Depth=1
	ds_load_b64 v[134:135], v125
	s_wait_dscnt 0x1
	v_cmp_gt_f32_e32 vcc_lo, 0, v126
	v_cndmask_b32_e64 v136, v126, -v126, vcc_lo
	v_cmp_gt_f32_e32 vcc_lo, 0, v127
	v_cndmask_b32_e64 v138, v127, -v127, vcc_lo
	s_wait_dscnt 0x0
	v_cmp_gt_f32_e32 vcc_lo, 0, v134
	v_cndmask_b32_e64 v137, v134, -v134, vcc_lo
	v_cmp_gt_f32_e32 vcc_lo, 0, v135
	v_cndmask_b32_e64 v139, v135, -v135, vcc_lo
	s_delay_alu instid0(VALU_DEP_1) | instskip(NEXT) | instid1(VALU_DEP_1)
	v_pk_add_f32 v[136:137], v[136:137], v[138:139]
	v_cmp_lt_f32_e32 vcc_lo, v136, v137
	v_dual_add_nc_u32 v125, 8, v125 :: v_dual_cndmask_b32 v127, v127, v135, vcc_lo
	v_cndmask_b32_e32 v126, v126, v134, vcc_lo
	v_cndmask_b32_e64 v124, v124, s0, vcc_lo
	s_add_co_i32 s0, s0, 1
	s_delay_alu instid0(SALU_CYCLE_1)
	s_cmp_lg_u32 s18, s0
	s_cbranch_scc1 .LBB116_148
.LBB116_149:
	s_wait_dscnt 0x0
	v_cmp_eq_f32_e32 vcc_lo, 0, v126
	v_cmp_eq_f32_e64 s0, 0, v127
	s_and_b32 s0, vcc_lo, s0
	s_delay_alu instid0(SALU_CYCLE_1) | instskip(NEXT) | instid1(SALU_CYCLE_1)
	s_and_saveexec_b32 s1, s0
	s_xor_b32 s0, exec_lo, s1
; %bb.150:
	v_cmp_ne_u32_e32 vcc_lo, 0, v130
	v_cndmask_b32_e32 v130, 8, v130, vcc_lo
; %bb.151:
	s_and_not1_saveexec_b32 s0, s0
	s_cbranch_execz .LBB116_157
; %bb.152:
	v_cmp_ngt_f32_e64 s1, |v126|, |v127|
	s_and_saveexec_b32 s12, s1
	s_delay_alu instid0(SALU_CYCLE_1)
	s_xor_b32 s1, exec_lo, s12
	s_cbranch_execz .LBB116_154
; %bb.153:
	v_div_scale_f32 v125, null, v127, v127, v126
	v_div_scale_f32 v135, vcc_lo, v126, v127, v126
	s_delay_alu instid0(VALU_DEP_2) | instskip(SKIP_1) | instid1(TRANS32_DEP_1)
	v_rcp_f32_e32 v133, v125
	v_nop
	v_fma_f32 v134, -v125, v133, 1.0
	s_delay_alu instid0(VALU_DEP_1) | instskip(NEXT) | instid1(VALU_DEP_1)
	v_fmac_f32_e32 v133, v134, v133
	v_mul_f32_e32 v134, v135, v133
	s_delay_alu instid0(VALU_DEP_1) | instskip(NEXT) | instid1(VALU_DEP_1)
	v_fma_f32 v136, -v125, v134, v135
	v_fmac_f32_e32 v134, v136, v133
	s_delay_alu instid0(VALU_DEP_1) | instskip(NEXT) | instid1(VALU_DEP_1)
	v_fma_f32 v125, -v125, v134, v135
	v_div_fmas_f32 v125, v125, v133, v134
	s_delay_alu instid0(VALU_DEP_1) | instskip(NEXT) | instid1(VALU_DEP_1)
	v_div_fixup_f32 v125, v125, v127, v126
	v_fmac_f32_e32 v127, v126, v125
	s_delay_alu instid0(VALU_DEP_1) | instskip(SKIP_1) | instid1(VALU_DEP_2)
	v_div_scale_f32 v126, null, v127, v127, 1.0
	v_div_scale_f32 v135, vcc_lo, 1.0, v127, 1.0
	v_rcp_f32_e32 v133, v126
	v_nop
	s_delay_alu instid0(TRANS32_DEP_1) | instskip(NEXT) | instid1(VALU_DEP_1)
	v_fma_f32 v134, -v126, v133, 1.0
	v_fmac_f32_e32 v133, v134, v133
	s_delay_alu instid0(VALU_DEP_1) | instskip(NEXT) | instid1(VALU_DEP_1)
	v_mul_f32_e32 v134, v135, v133
	v_fma_f32 v136, -v126, v134, v135
	s_delay_alu instid0(VALU_DEP_1) | instskip(NEXT) | instid1(VALU_DEP_1)
	v_fmac_f32_e32 v134, v136, v133
	v_fma_f32 v126, -v126, v134, v135
	s_delay_alu instid0(VALU_DEP_1) | instskip(NEXT) | instid1(VALU_DEP_1)
	v_div_fmas_f32 v126, v126, v133, v134
	v_div_fixup_f32 v127, v126, v127, 1.0
	s_delay_alu instid0(VALU_DEP_1)
	v_mul_f32_e32 v126, v125, v127
	v_xor_b32_e32 v127, 0x80000000, v127
.LBB116_154:
	s_and_not1_saveexec_b32 s1, s1
	s_cbranch_execz .LBB116_156
; %bb.155:
	s_delay_alu instid0(VALU_DEP_1) | instskip(SKIP_1) | instid1(VALU_DEP_2)
	v_div_scale_f32 v125, null, v126, v126, v127
	v_div_scale_f32 v135, vcc_lo, v127, v126, v127
	v_rcp_f32_e32 v133, v125
	v_nop
	s_delay_alu instid0(TRANS32_DEP_1) | instskip(NEXT) | instid1(VALU_DEP_1)
	v_fma_f32 v134, -v125, v133, 1.0
	v_fmac_f32_e32 v133, v134, v133
	s_delay_alu instid0(VALU_DEP_1) | instskip(NEXT) | instid1(VALU_DEP_1)
	v_mul_f32_e32 v134, v135, v133
	v_fma_f32 v136, -v125, v134, v135
	s_delay_alu instid0(VALU_DEP_1) | instskip(NEXT) | instid1(VALU_DEP_1)
	v_fmac_f32_e32 v134, v136, v133
	v_fma_f32 v125, -v125, v134, v135
	s_delay_alu instid0(VALU_DEP_1) | instskip(NEXT) | instid1(VALU_DEP_1)
	v_div_fmas_f32 v125, v125, v133, v134
	v_div_fixup_f32 v125, v125, v126, v127
	s_delay_alu instid0(VALU_DEP_1) | instskip(NEXT) | instid1(VALU_DEP_1)
	v_fmac_f32_e32 v126, v127, v125
	v_div_scale_f32 v127, null, v126, v126, 1.0
	s_delay_alu instid0(VALU_DEP_1) | instskip(SKIP_1) | instid1(TRANS32_DEP_1)
	v_rcp_f32_e32 v133, v127
	v_nop
	v_fma_f32 v134, -v127, v133, 1.0
	s_delay_alu instid0(VALU_DEP_1) | instskip(SKIP_1) | instid1(VALU_DEP_1)
	v_fmac_f32_e32 v133, v134, v133
	v_div_scale_f32 v134, vcc_lo, 1.0, v126, 1.0
	v_mul_f32_e32 v135, v134, v133
	s_delay_alu instid0(VALU_DEP_1) | instskip(NEXT) | instid1(VALU_DEP_1)
	v_fma_f32 v136, -v127, v135, v134
	v_fmac_f32_e32 v135, v136, v133
	s_delay_alu instid0(VALU_DEP_1) | instskip(NEXT) | instid1(VALU_DEP_1)
	v_fma_f32 v127, -v127, v135, v134
	v_div_fmas_f32 v127, v127, v133, v135
	s_delay_alu instid0(VALU_DEP_1) | instskip(NEXT) | instid1(VALU_DEP_1)
	v_div_fixup_f32 v126, v127, v126, 1.0
	v_mul_f32_e64 v127, v125, -v126
.LBB116_156:
	s_or_b32 exec_lo, exec_lo, s1
.LBB116_157:
	s_delay_alu instid0(SALU_CYCLE_1) | instskip(NEXT) | instid1(SALU_CYCLE_1)
	s_or_b32 exec_lo, exec_lo, s0
	s_mov_b32 s0, exec_lo
	v_cmpx_ne_u32_e64 v132, v124
	s_xor_b32 s0, exec_lo, s0
	s_cbranch_execz .LBB116_163
; %bb.158:
	s_mov_b32 s1, exec_lo
	v_cmpx_eq_u32_e32 7, v132
	s_cbranch_execz .LBB116_162
; %bb.159:
	v_cmp_ne_u32_e32 vcc_lo, 7, v124
	s_xor_b32 s12, s16, -1
	s_delay_alu instid0(SALU_CYCLE_1) | instskip(NEXT) | instid1(SALU_CYCLE_1)
	s_and_b32 s13, s12, vcc_lo
	s_and_saveexec_b32 s12, s13
	s_cbranch_execz .LBB116_161
; %bb.160:
	v_ashrrev_i32_e32 v125, 31, v124
	s_delay_alu instid0(VALU_DEP_1)
	v_lshl_add_u64 v[132:133], v[124:125], 2, v[4:5]
	s_clause 0x1
	global_load_b32 v125, v[132:133], off
	global_load_b32 v131, v[4:5], off offset:28
	s_wait_loadcnt 0x1
	global_store_b32 v[4:5], v125, off offset:28
	s_wait_loadcnt 0x0
	global_store_b32 v[132:133], v131, off
.LBB116_161:
	s_wait_xcnt 0x0
	s_or_b32 exec_lo, exec_lo, s12
	v_dual_mov_b32 v132, v124 :: v_dual_mov_b32 v131, v124
.LBB116_162:
	s_or_b32 exec_lo, exec_lo, s1
.LBB116_163:
	s_and_not1_saveexec_b32 s0, s0
	s_cbranch_execz .LBB116_165
; %bb.164:
	v_dual_mov_b32 v124, v24 :: v_dual_mov_b32 v125, v25
	v_dual_mov_b32 v132, v22 :: v_dual_mov_b32 v133, v23
	ds_store_2addr_b64 v128, v[124:125], v[132:133] offset0:8 offset1:9
	v_dual_mov_b32 v124, v8 :: v_dual_mov_b32 v125, v9
	v_dual_mov_b32 v132, v6 :: v_dual_mov_b32 v133, v7
	ds_store_2addr_b64 v128, v[124:125], v[132:133] offset0:10 offset1:11
	;; [unrolled: 3-line block ×25, first 2 shown]
	ds_store_b64 v128, v[122:123] offset:464
	v_mov_b32_e32 v132, 7
.LBB116_165:
	s_or_b32 exec_lo, exec_lo, s0
	s_delay_alu instid0(SALU_CYCLE_1)
	s_mov_b32 s0, exec_lo
	s_wait_storecnt_dscnt 0x0
	s_barrier_signal -1
	s_barrier_wait -1
	v_cmpx_lt_i32_e32 7, v132
	s_cbranch_execz .LBB116_167
; %bb.166:
	v_pk_mul_f32 v[134:135], v[126:127], v[10:11] op_sel:[1,1] op_sel_hi:[0,1]
	s_delay_alu instid0(VALU_DEP_1)
	v_pk_fma_f32 v[124:125], v[126:127], v[10:11], v[134:135] op_sel_hi:[1,0,1] neg_lo:[0,0,1] neg_hi:[0,0,1]
	v_pk_fma_f32 v[126:127], v[126:127], v[10:11], v[134:135] op_sel_hi:[1,0,1]
	ds_load_2addr_b64 v[134:137], v128 offset0:8 offset1:9
	v_dual_mov_b32 v10, v124 :: v_dual_mov_b32 v11, v127
	s_wait_dscnt 0x0
	v_pk_mul_f32 v[138:139], v[134:135], v[126:127] op_sel:[0,1]
	s_delay_alu instid0(VALU_DEP_1) | instskip(SKIP_1) | instid1(VALU_DEP_1)
	v_pk_fma_f32 v[140:141], v[134:135], v[124:125], v[138:139] op_sel:[0,0,1] op_sel_hi:[1,1,0] neg_lo:[0,0,1] neg_hi:[0,0,1]
	v_pk_fma_f32 v[134:135], v[134:135], v[124:125], v[138:139] op_sel:[0,0,1] op_sel_hi:[1,0,0]
	v_mov_b32_e32 v141, v135
	v_pk_mul_f32 v[134:135], v[136:137], v[126:127] op_sel:[0,1]
	s_delay_alu instid0(VALU_DEP_1) | instskip(SKIP_1) | instid1(VALU_DEP_1)
	v_pk_fma_f32 v[138:139], v[136:137], v[124:125], v[134:135] op_sel:[0,0,1] op_sel_hi:[1,1,0] neg_lo:[0,0,1] neg_hi:[0,0,1]
	v_pk_fma_f32 v[134:135], v[136:137], v[124:125], v[134:135] op_sel:[0,0,1] op_sel_hi:[1,0,0]
	v_mov_b32_e32 v139, v135
	ds_load_2addr_b64 v[134:137], v128 offset0:10 offset1:11
	v_pk_add_f32 v[24:25], v[24:25], v[140:141] neg_lo:[0,1] neg_hi:[0,1]
	v_pk_add_f32 v[22:23], v[22:23], v[138:139] neg_lo:[0,1] neg_hi:[0,1]
	s_wait_dscnt 0x0
	v_pk_mul_f32 v[138:139], v[134:135], v[126:127] op_sel:[0,1]
	s_delay_alu instid0(VALU_DEP_1) | instskip(SKIP_2) | instid1(VALU_DEP_2)
	v_pk_fma_f32 v[140:141], v[134:135], v[124:125], v[138:139] op_sel:[0,0,1] op_sel_hi:[1,1,0] neg_lo:[0,0,1] neg_hi:[0,0,1]
	v_pk_fma_f32 v[134:135], v[134:135], v[124:125], v[138:139] op_sel:[0,0,1] op_sel_hi:[1,0,0]
	v_dual_mul_f32 v138, v137, v127 :: v_dual_mov_b32 v134, v137
	v_dual_mov_b32 v141, v135 :: v_dual_mov_b32 v135, v136
	s_delay_alu instid0(VALU_DEP_2) | instskip(SKIP_1) | instid1(VALU_DEP_3)
	v_pk_fma_f32 v[138:139], v[136:137], v[10:11], v[138:139] op_sel_hi:[1,1,0] neg_lo:[0,0,1] neg_hi:[0,0,1]
	v_mul_f32_e32 v136, v137, v124
	v_pk_add_f32 v[8:9], v[8:9], v[140:141] neg_lo:[0,1] neg_hi:[0,1]
	s_delay_alu instid0(VALU_DEP_2) | instskip(NEXT) | instid1(VALU_DEP_1)
	v_pk_fma_f32 v[134:135], v[134:135], v[10:11], v[136:137] op_sel_hi:[1,1,0]
	v_mov_b32_e32 v139, v135
	ds_load_2addr_b64 v[134:137], v128 offset0:12 offset1:13
	v_pk_add_f32 v[6:7], v[6:7], v[138:139] neg_lo:[0,1] neg_hi:[0,1]
	s_wait_dscnt 0x0
	v_pk_mul_f32 v[138:139], v[134:135], v[126:127] op_sel:[0,1]
	s_delay_alu instid0(VALU_DEP_1) | instskip(SKIP_1) | instid1(VALU_DEP_1)
	v_pk_fma_f32 v[140:141], v[134:135], v[124:125], v[138:139] op_sel:[0,0,1] op_sel_hi:[1,1,0] neg_lo:[0,0,1] neg_hi:[0,0,1]
	v_pk_fma_f32 v[134:135], v[134:135], v[124:125], v[138:139] op_sel:[0,0,1] op_sel_hi:[1,0,0]
	v_mov_b32_e32 v141, v135
	v_pk_mul_f32 v[134:135], v[136:137], v[126:127] op_sel:[0,1]
	s_delay_alu instid0(VALU_DEP_1) | instskip(SKIP_1) | instid1(VALU_DEP_1)
	v_pk_fma_f32 v[138:139], v[136:137], v[124:125], v[134:135] op_sel:[0,0,1] op_sel_hi:[1,1,0] neg_lo:[0,0,1] neg_hi:[0,0,1]
	v_pk_fma_f32 v[134:135], v[136:137], v[124:125], v[134:135] op_sel:[0,0,1] op_sel_hi:[1,0,0]
	v_mov_b32_e32 v139, v135
	ds_load_2addr_b64 v[134:137], v128 offset0:14 offset1:15
	v_pk_add_f32 v[34:35], v[34:35], v[140:141] neg_lo:[0,1] neg_hi:[0,1]
	v_pk_add_f32 v[32:33], v[32:33], v[138:139] neg_lo:[0,1] neg_hi:[0,1]
	s_wait_dscnt 0x0
	v_pk_mul_f32 v[138:139], v[134:135], v[126:127] op_sel:[0,1]
	s_delay_alu instid0(VALU_DEP_1) | instskip(SKIP_1) | instid1(VALU_DEP_1)
	v_pk_fma_f32 v[140:141], v[134:135], v[124:125], v[138:139] op_sel:[0,0,1] op_sel_hi:[1,1,0] neg_lo:[0,0,1] neg_hi:[0,0,1]
	v_pk_fma_f32 v[134:135], v[134:135], v[124:125], v[138:139] op_sel:[0,0,1] op_sel_hi:[1,0,0]
	v_mov_b32_e32 v141, v135
	v_pk_mul_f32 v[134:135], v[136:137], v[126:127] op_sel:[0,1]
	s_delay_alu instid0(VALU_DEP_1) | instskip(SKIP_1) | instid1(VALU_DEP_1)
	v_pk_fma_f32 v[138:139], v[136:137], v[124:125], v[134:135] op_sel:[0,0,1] op_sel_hi:[1,1,0] neg_lo:[0,0,1] neg_hi:[0,0,1]
	v_pk_fma_f32 v[134:135], v[136:137], v[124:125], v[134:135] op_sel:[0,0,1] op_sel_hi:[1,0,0]
	v_mov_b32_e32 v139, v135
	ds_load_2addr_b64 v[134:137], v128 offset0:16 offset1:17
	v_pk_add_f32 v[14:15], v[14:15], v[140:141] neg_lo:[0,1] neg_hi:[0,1]
	v_pk_add_f32 v[12:13], v[12:13], v[138:139] neg_lo:[0,1] neg_hi:[0,1]
	s_wait_dscnt 0x0
	v_dual_mul_f32 v138, v135, v127 :: v_dual_mul_f32 v140, v135, v124
	s_delay_alu instid0(VALU_DEP_1) | instskip(NEXT) | instid1(VALU_DEP_2)
	v_pk_fma_f32 v[138:139], v[134:135], v[10:11], v[138:139] op_sel_hi:[1,1,0] neg_lo:[0,0,1] neg_hi:[0,0,1]
	v_pk_fma_f32 v[134:135], v[134:135], v[10:11], v[140:141] op_sel:[1,0,0] op_sel_hi:[0,1,0]
	s_delay_alu instid0(VALU_DEP_1) | instskip(SKIP_1) | instid1(VALU_DEP_2)
	v_mov_b32_e32 v139, v135
	v_pk_mul_f32 v[134:135], v[136:137], v[126:127] op_sel:[0,1]
	v_pk_add_f32 v[44:45], v[44:45], v[138:139] neg_lo:[0,1] neg_hi:[0,1]
	s_delay_alu instid0(VALU_DEP_2) | instskip(SKIP_1) | instid1(VALU_DEP_1)
	v_pk_fma_f32 v[138:139], v[136:137], v[124:125], v[134:135] op_sel:[0,0,1] op_sel_hi:[1,1,0] neg_lo:[0,0,1] neg_hi:[0,0,1]
	v_pk_fma_f32 v[134:135], v[136:137], v[124:125], v[134:135] op_sel:[0,0,1] op_sel_hi:[1,0,0]
	v_mov_b32_e32 v139, v135
	ds_load_2addr_b64 v[134:137], v128 offset0:18 offset1:19
	v_pk_add_f32 v[42:43], v[42:43], v[138:139] neg_lo:[0,1] neg_hi:[0,1]
	s_wait_dscnt 0x0
	v_pk_mul_f32 v[138:139], v[134:135], v[126:127] op_sel:[0,1]
	s_delay_alu instid0(VALU_DEP_1) | instskip(SKIP_1) | instid1(VALU_DEP_1)
	v_pk_fma_f32 v[140:141], v[134:135], v[124:125], v[138:139] op_sel:[0,0,1] op_sel_hi:[1,1,0] neg_lo:[0,0,1] neg_hi:[0,0,1]
	v_pk_fma_f32 v[134:135], v[134:135], v[124:125], v[138:139] op_sel:[0,0,1] op_sel_hi:[1,0,0]
	v_mov_b32_e32 v141, v135
	v_pk_mul_f32 v[134:135], v[136:137], v[126:127] op_sel:[0,1]
	s_delay_alu instid0(VALU_DEP_2) | instskip(NEXT) | instid1(VALU_DEP_2)
	v_pk_add_f32 v[20:21], v[20:21], v[140:141] neg_lo:[0,1] neg_hi:[0,1]
	v_pk_fma_f32 v[138:139], v[136:137], v[124:125], v[134:135] op_sel:[0,0,1] op_sel_hi:[1,1,0] neg_lo:[0,0,1] neg_hi:[0,0,1]
	v_pk_fma_f32 v[134:135], v[136:137], v[124:125], v[134:135] op_sel:[0,0,1] op_sel_hi:[1,0,0]
	s_delay_alu instid0(VALU_DEP_1) | instskip(SKIP_4) | instid1(VALU_DEP_1)
	v_mov_b32_e32 v139, v135
	ds_load_2addr_b64 v[134:137], v128 offset0:20 offset1:21
	v_pk_add_f32 v[18:19], v[18:19], v[138:139] neg_lo:[0,1] neg_hi:[0,1]
	s_wait_dscnt 0x0
	v_pk_mul_f32 v[138:139], v[134:135], v[126:127] op_sel:[0,1]
	v_pk_fma_f32 v[140:141], v[134:135], v[124:125], v[138:139] op_sel:[0,0,1] op_sel_hi:[1,1,0] neg_lo:[0,0,1] neg_hi:[0,0,1]
	v_pk_fma_f32 v[134:135], v[134:135], v[124:125], v[138:139] op_sel:[0,0,1] op_sel_hi:[1,0,0]
	v_dual_mul_f32 v138, v137, v127 :: v_dual_mov_b32 v134, v137
	s_delay_alu instid0(VALU_DEP_2) | instskip(NEXT) | instid1(VALU_DEP_2)
	v_dual_mov_b32 v141, v135 :: v_dual_mov_b32 v135, v136
	v_pk_fma_f32 v[138:139], v[136:137], v[10:11], v[138:139] op_sel_hi:[1,1,0] neg_lo:[0,0,1] neg_hi:[0,0,1]
	v_mul_f32_e32 v136, v137, v124
	s_delay_alu instid0(VALU_DEP_3) | instskip(NEXT) | instid1(VALU_DEP_2)
	v_pk_add_f32 v[52:53], v[52:53], v[140:141] neg_lo:[0,1] neg_hi:[0,1]
	v_pk_fma_f32 v[134:135], v[134:135], v[10:11], v[136:137] op_sel_hi:[1,1,0]
	s_delay_alu instid0(VALU_DEP_1) | instskip(SKIP_4) | instid1(VALU_DEP_1)
	v_mov_b32_e32 v139, v135
	ds_load_2addr_b64 v[134:137], v128 offset0:22 offset1:23
	v_pk_add_f32 v[50:51], v[50:51], v[138:139] neg_lo:[0,1] neg_hi:[0,1]
	s_wait_dscnt 0x0
	v_pk_mul_f32 v[138:139], v[134:135], v[126:127] op_sel:[0,1]
	v_pk_fma_f32 v[140:141], v[134:135], v[124:125], v[138:139] op_sel:[0,0,1] op_sel_hi:[1,1,0] neg_lo:[0,0,1] neg_hi:[0,0,1]
	v_pk_fma_f32 v[134:135], v[134:135], v[124:125], v[138:139] op_sel:[0,0,1] op_sel_hi:[1,0,0]
	s_delay_alu instid0(VALU_DEP_1) | instskip(SKIP_1) | instid1(VALU_DEP_1)
	v_mov_b32_e32 v141, v135
	v_pk_mul_f32 v[134:135], v[136:137], v[126:127] op_sel:[0,1]
	v_pk_fma_f32 v[138:139], v[136:137], v[124:125], v[134:135] op_sel:[0,0,1] op_sel_hi:[1,1,0] neg_lo:[0,0,1] neg_hi:[0,0,1]
	v_pk_fma_f32 v[134:135], v[136:137], v[124:125], v[134:135] op_sel:[0,0,1] op_sel_hi:[1,0,0]
	s_delay_alu instid0(VALU_DEP_1)
	v_mov_b32_e32 v139, v135
	ds_load_2addr_b64 v[134:137], v128 offset0:24 offset1:25
	v_pk_add_f32 v[28:29], v[28:29], v[140:141] neg_lo:[0,1] neg_hi:[0,1]
	v_pk_add_f32 v[26:27], v[26:27], v[138:139] neg_lo:[0,1] neg_hi:[0,1]
	s_wait_dscnt 0x0
	v_pk_mul_f32 v[138:139], v[134:135], v[126:127] op_sel:[0,1]
	s_delay_alu instid0(VALU_DEP_1) | instskip(SKIP_1) | instid1(VALU_DEP_1)
	v_pk_fma_f32 v[140:141], v[134:135], v[124:125], v[138:139] op_sel:[0,0,1] op_sel_hi:[1,1,0] neg_lo:[0,0,1] neg_hi:[0,0,1]
	v_pk_fma_f32 v[134:135], v[134:135], v[124:125], v[138:139] op_sel:[0,0,1] op_sel_hi:[1,0,0]
	v_mov_b32_e32 v141, v135
	v_pk_mul_f32 v[134:135], v[136:137], v[126:127] op_sel:[0,1]
	s_delay_alu instid0(VALU_DEP_1) | instskip(SKIP_1) | instid1(VALU_DEP_1)
	v_pk_fma_f32 v[138:139], v[136:137], v[124:125], v[134:135] op_sel:[0,0,1] op_sel_hi:[1,1,0] neg_lo:[0,0,1] neg_hi:[0,0,1]
	v_pk_fma_f32 v[134:135], v[136:137], v[124:125], v[134:135] op_sel:[0,0,1] op_sel_hi:[1,0,0]
	v_mov_b32_e32 v139, v135
	ds_load_2addr_b64 v[134:137], v128 offset0:26 offset1:27
	v_pk_add_f32 v[60:61], v[60:61], v[140:141] neg_lo:[0,1] neg_hi:[0,1]
	v_pk_add_f32 v[58:59], v[58:59], v[138:139] neg_lo:[0,1] neg_hi:[0,1]
	s_wait_dscnt 0x0
	v_dual_mul_f32 v138, v135, v127 :: v_dual_mul_f32 v140, v135, v124
	s_delay_alu instid0(VALU_DEP_1) | instskip(NEXT) | instid1(VALU_DEP_2)
	v_pk_fma_f32 v[138:139], v[134:135], v[10:11], v[138:139] op_sel_hi:[1,1,0] neg_lo:[0,0,1] neg_hi:[0,0,1]
	v_pk_fma_f32 v[134:135], v[134:135], v[10:11], v[140:141] op_sel:[1,0,0] op_sel_hi:[0,1,0]
	s_delay_alu instid0(VALU_DEP_1) | instskip(SKIP_1) | instid1(VALU_DEP_2)
	v_mov_b32_e32 v139, v135
	v_pk_mul_f32 v[134:135], v[136:137], v[126:127] op_sel:[0,1]
	v_pk_add_f32 v[38:39], v[38:39], v[138:139] neg_lo:[0,1] neg_hi:[0,1]
	s_delay_alu instid0(VALU_DEP_2) | instskip(SKIP_1) | instid1(VALU_DEP_1)
	v_pk_fma_f32 v[138:139], v[136:137], v[124:125], v[134:135] op_sel:[0,0,1] op_sel_hi:[1,1,0] neg_lo:[0,0,1] neg_hi:[0,0,1]
	v_pk_fma_f32 v[134:135], v[136:137], v[124:125], v[134:135] op_sel:[0,0,1] op_sel_hi:[1,0,0]
	v_mov_b32_e32 v139, v135
	ds_load_2addr_b64 v[134:137], v128 offset0:28 offset1:29
	v_pk_add_f32 v[36:37], v[36:37], v[138:139] neg_lo:[0,1] neg_hi:[0,1]
	s_wait_dscnt 0x0
	v_pk_mul_f32 v[138:139], v[134:135], v[126:127] op_sel:[0,1]
	s_delay_alu instid0(VALU_DEP_1) | instskip(SKIP_1) | instid1(VALU_DEP_1)
	v_pk_fma_f32 v[140:141], v[134:135], v[124:125], v[138:139] op_sel:[0,0,1] op_sel_hi:[1,1,0] neg_lo:[0,0,1] neg_hi:[0,0,1]
	v_pk_fma_f32 v[134:135], v[134:135], v[124:125], v[138:139] op_sel:[0,0,1] op_sel_hi:[1,0,0]
	v_mov_b32_e32 v141, v135
	v_pk_mul_f32 v[134:135], v[136:137], v[126:127] op_sel:[0,1]
	s_delay_alu instid0(VALU_DEP_2) | instskip(NEXT) | instid1(VALU_DEP_2)
	v_pk_add_f32 v[68:69], v[68:69], v[140:141] neg_lo:[0,1] neg_hi:[0,1]
	v_pk_fma_f32 v[138:139], v[136:137], v[124:125], v[134:135] op_sel:[0,0,1] op_sel_hi:[1,1,0] neg_lo:[0,0,1] neg_hi:[0,0,1]
	v_pk_fma_f32 v[134:135], v[136:137], v[124:125], v[134:135] op_sel:[0,0,1] op_sel_hi:[1,0,0]
	s_delay_alu instid0(VALU_DEP_1) | instskip(SKIP_4) | instid1(VALU_DEP_1)
	v_mov_b32_e32 v139, v135
	ds_load_2addr_b64 v[134:137], v128 offset0:30 offset1:31
	v_pk_add_f32 v[66:67], v[66:67], v[138:139] neg_lo:[0,1] neg_hi:[0,1]
	s_wait_dscnt 0x0
	v_pk_mul_f32 v[138:139], v[134:135], v[126:127] op_sel:[0,1]
	v_pk_fma_f32 v[140:141], v[134:135], v[124:125], v[138:139] op_sel:[0,0,1] op_sel_hi:[1,1,0] neg_lo:[0,0,1] neg_hi:[0,0,1]
	v_pk_fma_f32 v[134:135], v[134:135], v[124:125], v[138:139] op_sel:[0,0,1] op_sel_hi:[1,0,0]
	v_dual_mul_f32 v138, v137, v127 :: v_dual_mov_b32 v134, v137
	s_delay_alu instid0(VALU_DEP_2) | instskip(NEXT) | instid1(VALU_DEP_2)
	v_dual_mov_b32 v141, v135 :: v_dual_mov_b32 v135, v136
	v_pk_fma_f32 v[138:139], v[136:137], v[10:11], v[138:139] op_sel_hi:[1,1,0] neg_lo:[0,0,1] neg_hi:[0,0,1]
	v_mul_f32_e32 v136, v137, v124
	s_delay_alu instid0(VALU_DEP_3) | instskip(NEXT) | instid1(VALU_DEP_2)
	v_pk_add_f32 v[48:49], v[48:49], v[140:141] neg_lo:[0,1] neg_hi:[0,1]
	v_pk_fma_f32 v[134:135], v[134:135], v[10:11], v[136:137] op_sel_hi:[1,1,0]
	s_delay_alu instid0(VALU_DEP_1) | instskip(SKIP_4) | instid1(VALU_DEP_1)
	v_mov_b32_e32 v139, v135
	ds_load_2addr_b64 v[134:137], v128 offset0:32 offset1:33
	v_pk_add_f32 v[46:47], v[46:47], v[138:139] neg_lo:[0,1] neg_hi:[0,1]
	s_wait_dscnt 0x0
	v_pk_mul_f32 v[138:139], v[134:135], v[126:127] op_sel:[0,1]
	v_pk_fma_f32 v[140:141], v[134:135], v[124:125], v[138:139] op_sel:[0,0,1] op_sel_hi:[1,1,0] neg_lo:[0,0,1] neg_hi:[0,0,1]
	v_pk_fma_f32 v[134:135], v[134:135], v[124:125], v[138:139] op_sel:[0,0,1] op_sel_hi:[1,0,0]
	s_delay_alu instid0(VALU_DEP_1) | instskip(SKIP_1) | instid1(VALU_DEP_1)
	v_mov_b32_e32 v141, v135
	v_pk_mul_f32 v[134:135], v[136:137], v[126:127] op_sel:[0,1]
	v_pk_fma_f32 v[138:139], v[136:137], v[124:125], v[134:135] op_sel:[0,0,1] op_sel_hi:[1,1,0] neg_lo:[0,0,1] neg_hi:[0,0,1]
	v_pk_fma_f32 v[134:135], v[136:137], v[124:125], v[134:135] op_sel:[0,0,1] op_sel_hi:[1,0,0]
	s_delay_alu instid0(VALU_DEP_1)
	v_mov_b32_e32 v139, v135
	ds_load_2addr_b64 v[134:137], v128 offset0:34 offset1:35
	v_pk_add_f32 v[78:79], v[78:79], v[140:141] neg_lo:[0,1] neg_hi:[0,1]
	v_pk_add_f32 v[76:77], v[76:77], v[138:139] neg_lo:[0,1] neg_hi:[0,1]
	s_wait_dscnt 0x0
	v_pk_mul_f32 v[138:139], v[134:135], v[126:127] op_sel:[0,1]
	s_delay_alu instid0(VALU_DEP_1) | instskip(SKIP_1) | instid1(VALU_DEP_1)
	v_pk_fma_f32 v[140:141], v[134:135], v[124:125], v[138:139] op_sel:[0,0,1] op_sel_hi:[1,1,0] neg_lo:[0,0,1] neg_hi:[0,0,1]
	v_pk_fma_f32 v[134:135], v[134:135], v[124:125], v[138:139] op_sel:[0,0,1] op_sel_hi:[1,0,0]
	v_mov_b32_e32 v141, v135
	v_pk_mul_f32 v[134:135], v[136:137], v[126:127] op_sel:[0,1]
	s_delay_alu instid0(VALU_DEP_1) | instskip(SKIP_1) | instid1(VALU_DEP_1)
	v_pk_fma_f32 v[138:139], v[136:137], v[124:125], v[134:135] op_sel:[0,0,1] op_sel_hi:[1,1,0] neg_lo:[0,0,1] neg_hi:[0,0,1]
	v_pk_fma_f32 v[134:135], v[136:137], v[124:125], v[134:135] op_sel:[0,0,1] op_sel_hi:[1,0,0]
	v_mov_b32_e32 v139, v135
	ds_load_2addr_b64 v[134:137], v128 offset0:36 offset1:37
	v_pk_add_f32 v[56:57], v[56:57], v[140:141] neg_lo:[0,1] neg_hi:[0,1]
	v_pk_add_f32 v[54:55], v[54:55], v[138:139] neg_lo:[0,1] neg_hi:[0,1]
	s_wait_dscnt 0x0
	v_dual_mul_f32 v138, v135, v127 :: v_dual_mul_f32 v140, v135, v124
	s_delay_alu instid0(VALU_DEP_1) | instskip(NEXT) | instid1(VALU_DEP_2)
	v_pk_fma_f32 v[138:139], v[134:135], v[10:11], v[138:139] op_sel_hi:[1,1,0] neg_lo:[0,0,1] neg_hi:[0,0,1]
	v_pk_fma_f32 v[134:135], v[134:135], v[10:11], v[140:141] op_sel:[1,0,0] op_sel_hi:[0,1,0]
	s_delay_alu instid0(VALU_DEP_1) | instskip(SKIP_1) | instid1(VALU_DEP_2)
	v_mov_b32_e32 v139, v135
	v_pk_mul_f32 v[134:135], v[136:137], v[126:127] op_sel:[0,1]
	v_pk_add_f32 v[88:89], v[88:89], v[138:139] neg_lo:[0,1] neg_hi:[0,1]
	s_delay_alu instid0(VALU_DEP_2) | instskip(SKIP_1) | instid1(VALU_DEP_1)
	v_pk_fma_f32 v[138:139], v[136:137], v[124:125], v[134:135] op_sel:[0,0,1] op_sel_hi:[1,1,0] neg_lo:[0,0,1] neg_hi:[0,0,1]
	v_pk_fma_f32 v[134:135], v[136:137], v[124:125], v[134:135] op_sel:[0,0,1] op_sel_hi:[1,0,0]
	v_mov_b32_e32 v139, v135
	ds_load_2addr_b64 v[134:137], v128 offset0:38 offset1:39
	v_pk_add_f32 v[86:87], v[86:87], v[138:139] neg_lo:[0,1] neg_hi:[0,1]
	s_wait_dscnt 0x0
	v_pk_mul_f32 v[138:139], v[134:135], v[126:127] op_sel:[0,1]
	s_delay_alu instid0(VALU_DEP_1) | instskip(SKIP_1) | instid1(VALU_DEP_1)
	v_pk_fma_f32 v[140:141], v[134:135], v[124:125], v[138:139] op_sel:[0,0,1] op_sel_hi:[1,1,0] neg_lo:[0,0,1] neg_hi:[0,0,1]
	v_pk_fma_f32 v[134:135], v[134:135], v[124:125], v[138:139] op_sel:[0,0,1] op_sel_hi:[1,0,0]
	v_mov_b32_e32 v141, v135
	v_pk_mul_f32 v[134:135], v[136:137], v[126:127] op_sel:[0,1]
	s_delay_alu instid0(VALU_DEP_2) | instskip(NEXT) | instid1(VALU_DEP_2)
	v_pk_add_f32 v[64:65], v[64:65], v[140:141] neg_lo:[0,1] neg_hi:[0,1]
	v_pk_fma_f32 v[138:139], v[136:137], v[124:125], v[134:135] op_sel:[0,0,1] op_sel_hi:[1,1,0] neg_lo:[0,0,1] neg_hi:[0,0,1]
	v_pk_fma_f32 v[134:135], v[136:137], v[124:125], v[134:135] op_sel:[0,0,1] op_sel_hi:[1,0,0]
	s_delay_alu instid0(VALU_DEP_1) | instskip(SKIP_4) | instid1(VALU_DEP_1)
	v_mov_b32_e32 v139, v135
	ds_load_2addr_b64 v[134:137], v128 offset0:40 offset1:41
	v_pk_add_f32 v[62:63], v[62:63], v[138:139] neg_lo:[0,1] neg_hi:[0,1]
	s_wait_dscnt 0x0
	v_pk_mul_f32 v[138:139], v[134:135], v[126:127] op_sel:[0,1]
	v_pk_fma_f32 v[140:141], v[134:135], v[124:125], v[138:139] op_sel:[0,0,1] op_sel_hi:[1,1,0] neg_lo:[0,0,1] neg_hi:[0,0,1]
	v_pk_fma_f32 v[134:135], v[134:135], v[124:125], v[138:139] op_sel:[0,0,1] op_sel_hi:[1,0,0]
	v_dual_mul_f32 v138, v137, v127 :: v_dual_mov_b32 v134, v137
	s_delay_alu instid0(VALU_DEP_2) | instskip(NEXT) | instid1(VALU_DEP_2)
	v_dual_mov_b32 v141, v135 :: v_dual_mov_b32 v135, v136
	v_pk_fma_f32 v[138:139], v[136:137], v[10:11], v[138:139] op_sel_hi:[1,1,0] neg_lo:[0,0,1] neg_hi:[0,0,1]
	v_mul_f32_e32 v136, v137, v124
	s_delay_alu instid0(VALU_DEP_3) | instskip(NEXT) | instid1(VALU_DEP_2)
	v_pk_add_f32 v[102:103], v[102:103], v[140:141] neg_lo:[0,1] neg_hi:[0,1]
	v_pk_fma_f32 v[134:135], v[134:135], v[10:11], v[136:137] op_sel_hi:[1,1,0]
	s_delay_alu instid0(VALU_DEP_1) | instskip(SKIP_4) | instid1(VALU_DEP_1)
	v_mov_b32_e32 v139, v135
	ds_load_2addr_b64 v[134:137], v128 offset0:42 offset1:43
	v_pk_add_f32 v[100:101], v[100:101], v[138:139] neg_lo:[0,1] neg_hi:[0,1]
	s_wait_dscnt 0x0
	v_pk_mul_f32 v[138:139], v[134:135], v[126:127] op_sel:[0,1]
	v_pk_fma_f32 v[140:141], v[134:135], v[124:125], v[138:139] op_sel:[0,0,1] op_sel_hi:[1,1,0] neg_lo:[0,0,1] neg_hi:[0,0,1]
	v_pk_fma_f32 v[134:135], v[134:135], v[124:125], v[138:139] op_sel:[0,0,1] op_sel_hi:[1,0,0]
	s_delay_alu instid0(VALU_DEP_1) | instskip(SKIP_1) | instid1(VALU_DEP_1)
	v_mov_b32_e32 v141, v135
	v_pk_mul_f32 v[134:135], v[136:137], v[126:127] op_sel:[0,1]
	v_pk_fma_f32 v[138:139], v[136:137], v[124:125], v[134:135] op_sel:[0,0,1] op_sel_hi:[1,1,0] neg_lo:[0,0,1] neg_hi:[0,0,1]
	v_pk_fma_f32 v[134:135], v[136:137], v[124:125], v[134:135] op_sel:[0,0,1] op_sel_hi:[1,0,0]
	s_delay_alu instid0(VALU_DEP_1)
	v_mov_b32_e32 v139, v135
	ds_load_2addr_b64 v[134:137], v128 offset0:44 offset1:45
	v_pk_add_f32 v[72:73], v[72:73], v[140:141] neg_lo:[0,1] neg_hi:[0,1]
	v_pk_add_f32 v[70:71], v[70:71], v[138:139] neg_lo:[0,1] neg_hi:[0,1]
	s_wait_dscnt 0x0
	v_pk_mul_f32 v[138:139], v[134:135], v[126:127] op_sel:[0,1]
	s_delay_alu instid0(VALU_DEP_1) | instskip(SKIP_1) | instid1(VALU_DEP_1)
	v_pk_fma_f32 v[140:141], v[134:135], v[124:125], v[138:139] op_sel:[0,0,1] op_sel_hi:[1,1,0] neg_lo:[0,0,1] neg_hi:[0,0,1]
	v_pk_fma_f32 v[134:135], v[134:135], v[124:125], v[138:139] op_sel:[0,0,1] op_sel_hi:[1,0,0]
	v_mov_b32_e32 v141, v135
	v_pk_mul_f32 v[134:135], v[136:137], v[126:127] op_sel:[0,1]
	s_delay_alu instid0(VALU_DEP_1) | instskip(SKIP_1) | instid1(VALU_DEP_1)
	v_pk_fma_f32 v[138:139], v[136:137], v[124:125], v[134:135] op_sel:[0,0,1] op_sel_hi:[1,1,0] neg_lo:[0,0,1] neg_hi:[0,0,1]
	v_pk_fma_f32 v[134:135], v[136:137], v[124:125], v[134:135] op_sel:[0,0,1] op_sel_hi:[1,0,0]
	v_mov_b32_e32 v139, v135
	ds_load_2addr_b64 v[134:137], v128 offset0:46 offset1:47
	v_pk_add_f32 v[110:111], v[110:111], v[140:141] neg_lo:[0,1] neg_hi:[0,1]
	v_pk_add_f32 v[108:109], v[108:109], v[138:139] neg_lo:[0,1] neg_hi:[0,1]
	s_wait_dscnt 0x0
	v_dual_mul_f32 v138, v135, v127 :: v_dual_mul_f32 v140, v135, v124
	s_delay_alu instid0(VALU_DEP_1) | instskip(NEXT) | instid1(VALU_DEP_2)
	v_pk_fma_f32 v[138:139], v[134:135], v[10:11], v[138:139] op_sel_hi:[1,1,0] neg_lo:[0,0,1] neg_hi:[0,0,1]
	v_pk_fma_f32 v[134:135], v[134:135], v[10:11], v[140:141] op_sel:[1,0,0] op_sel_hi:[0,1,0]
	s_delay_alu instid0(VALU_DEP_1) | instskip(SKIP_1) | instid1(VALU_DEP_2)
	v_mov_b32_e32 v139, v135
	v_pk_mul_f32 v[134:135], v[136:137], v[126:127] op_sel:[0,1]
	v_pk_add_f32 v[82:83], v[82:83], v[138:139] neg_lo:[0,1] neg_hi:[0,1]
	s_delay_alu instid0(VALU_DEP_2) | instskip(SKIP_1) | instid1(VALU_DEP_1)
	v_pk_fma_f32 v[138:139], v[136:137], v[124:125], v[134:135] op_sel:[0,0,1] op_sel_hi:[1,1,0] neg_lo:[0,0,1] neg_hi:[0,0,1]
	v_pk_fma_f32 v[134:135], v[136:137], v[124:125], v[134:135] op_sel:[0,0,1] op_sel_hi:[1,0,0]
	v_mov_b32_e32 v139, v135
	ds_load_2addr_b64 v[134:137], v128 offset0:48 offset1:49
	v_pk_add_f32 v[80:81], v[80:81], v[138:139] neg_lo:[0,1] neg_hi:[0,1]
	s_wait_dscnt 0x0
	v_pk_mul_f32 v[138:139], v[134:135], v[126:127] op_sel:[0,1]
	s_delay_alu instid0(VALU_DEP_1) | instskip(SKIP_1) | instid1(VALU_DEP_1)
	v_pk_fma_f32 v[140:141], v[134:135], v[124:125], v[138:139] op_sel:[0,0,1] op_sel_hi:[1,1,0] neg_lo:[0,0,1] neg_hi:[0,0,1]
	v_pk_fma_f32 v[134:135], v[134:135], v[124:125], v[138:139] op_sel:[0,0,1] op_sel_hi:[1,0,0]
	v_mov_b32_e32 v141, v135
	v_pk_mul_f32 v[134:135], v[136:137], v[126:127] op_sel:[0,1]
	s_delay_alu instid0(VALU_DEP_2) | instskip(NEXT) | instid1(VALU_DEP_2)
	v_pk_add_f32 v[120:121], v[120:121], v[140:141] neg_lo:[0,1] neg_hi:[0,1]
	v_pk_fma_f32 v[138:139], v[136:137], v[124:125], v[134:135] op_sel:[0,0,1] op_sel_hi:[1,1,0] neg_lo:[0,0,1] neg_hi:[0,0,1]
	v_pk_fma_f32 v[134:135], v[136:137], v[124:125], v[134:135] op_sel:[0,0,1] op_sel_hi:[1,0,0]
	s_delay_alu instid0(VALU_DEP_1) | instskip(SKIP_4) | instid1(VALU_DEP_1)
	v_mov_b32_e32 v139, v135
	ds_load_2addr_b64 v[134:137], v128 offset0:50 offset1:51
	v_pk_add_f32 v[118:119], v[118:119], v[138:139] neg_lo:[0,1] neg_hi:[0,1]
	s_wait_dscnt 0x0
	v_pk_mul_f32 v[138:139], v[134:135], v[126:127] op_sel:[0,1]
	v_pk_fma_f32 v[140:141], v[134:135], v[124:125], v[138:139] op_sel:[0,0,1] op_sel_hi:[1,1,0] neg_lo:[0,0,1] neg_hi:[0,0,1]
	v_pk_fma_f32 v[134:135], v[134:135], v[124:125], v[138:139] op_sel:[0,0,1] op_sel_hi:[1,0,0]
	v_dual_mul_f32 v138, v137, v127 :: v_dual_mov_b32 v134, v137
	s_delay_alu instid0(VALU_DEP_2) | instskip(NEXT) | instid1(VALU_DEP_2)
	v_dual_mov_b32 v141, v135 :: v_dual_mov_b32 v135, v136
	v_pk_fma_f32 v[138:139], v[136:137], v[10:11], v[138:139] op_sel_hi:[1,1,0] neg_lo:[0,0,1] neg_hi:[0,0,1]
	v_mul_f32_e32 v136, v137, v124
	s_delay_alu instid0(VALU_DEP_3) | instskip(NEXT) | instid1(VALU_DEP_2)
	v_pk_add_f32 v[94:95], v[94:95], v[140:141] neg_lo:[0,1] neg_hi:[0,1]
	v_pk_fma_f32 v[134:135], v[134:135], v[10:11], v[136:137] op_sel_hi:[1,1,0]
	s_delay_alu instid0(VALU_DEP_1) | instskip(SKIP_4) | instid1(VALU_DEP_1)
	v_mov_b32_e32 v139, v135
	ds_load_2addr_b64 v[134:137], v128 offset0:52 offset1:53
	v_pk_add_f32 v[96:97], v[96:97], v[138:139] neg_lo:[0,1] neg_hi:[0,1]
	s_wait_dscnt 0x0
	v_pk_mul_f32 v[138:139], v[134:135], v[126:127] op_sel:[0,1]
	v_pk_fma_f32 v[140:141], v[134:135], v[124:125], v[138:139] op_sel:[0,0,1] op_sel_hi:[1,1,0] neg_lo:[0,0,1] neg_hi:[0,0,1]
	v_pk_fma_f32 v[134:135], v[134:135], v[124:125], v[138:139] op_sel:[0,0,1] op_sel_hi:[1,0,0]
	s_delay_alu instid0(VALU_DEP_1) | instskip(SKIP_1) | instid1(VALU_DEP_1)
	v_mov_b32_e32 v141, v135
	v_pk_mul_f32 v[134:135], v[136:137], v[126:127] op_sel:[0,1]
	v_pk_fma_f32 v[138:139], v[136:137], v[124:125], v[134:135] op_sel:[0,0,1] op_sel_hi:[1,1,0] neg_lo:[0,0,1] neg_hi:[0,0,1]
	v_pk_fma_f32 v[134:135], v[136:137], v[124:125], v[134:135] op_sel:[0,0,1] op_sel_hi:[1,0,0]
	s_delay_alu instid0(VALU_DEP_1)
	v_mov_b32_e32 v139, v135
	ds_load_2addr_b64 v[134:137], v128 offset0:54 offset1:55
	v_pk_add_f32 v[114:115], v[114:115], v[140:141] neg_lo:[0,1] neg_hi:[0,1]
	v_pk_add_f32 v[112:113], v[112:113], v[138:139] neg_lo:[0,1] neg_hi:[0,1]
	s_wait_dscnt 0x0
	v_pk_mul_f32 v[138:139], v[134:135], v[126:127] op_sel:[0,1]
	s_delay_alu instid0(VALU_DEP_1) | instskip(SKIP_1) | instid1(VALU_DEP_1)
	v_pk_fma_f32 v[140:141], v[134:135], v[124:125], v[138:139] op_sel:[0,0,1] op_sel_hi:[1,1,0] neg_lo:[0,0,1] neg_hi:[0,0,1]
	v_pk_fma_f32 v[134:135], v[134:135], v[124:125], v[138:139] op_sel:[0,0,1] op_sel_hi:[1,0,0]
	v_mov_b32_e32 v141, v135
	v_pk_mul_f32 v[134:135], v[136:137], v[126:127] op_sel:[0,1]
	s_delay_alu instid0(VALU_DEP_1) | instskip(SKIP_1) | instid1(VALU_DEP_1)
	v_pk_fma_f32 v[138:139], v[136:137], v[124:125], v[134:135] op_sel:[0,0,1] op_sel_hi:[1,1,0] neg_lo:[0,0,1] neg_hi:[0,0,1]
	v_pk_fma_f32 v[134:135], v[136:137], v[124:125], v[134:135] op_sel:[0,0,1] op_sel_hi:[1,0,0]
	v_mov_b32_e32 v139, v135
	ds_load_2addr_b64 v[134:137], v128 offset0:56 offset1:57
	v_pk_add_f32 v[92:93], v[92:93], v[140:141] neg_lo:[0,1] neg_hi:[0,1]
	v_pk_add_f32 v[90:91], v[90:91], v[138:139] neg_lo:[0,1] neg_hi:[0,1]
	s_wait_dscnt 0x0
	v_dual_mul_f32 v138, v135, v127 :: v_dual_mul_f32 v140, v135, v124
	s_delay_alu instid0(VALU_DEP_1) | instskip(NEXT) | instid1(VALU_DEP_2)
	v_pk_fma_f32 v[138:139], v[134:135], v[10:11], v[138:139] op_sel_hi:[1,1,0] neg_lo:[0,0,1] neg_hi:[0,0,1]
	v_pk_fma_f32 v[134:135], v[134:135], v[10:11], v[140:141] op_sel:[1,0,0] op_sel_hi:[0,1,0]
	s_delay_alu instid0(VALU_DEP_1) | instskip(SKIP_1) | instid1(VALU_DEP_2)
	v_mov_b32_e32 v139, v135
	v_pk_mul_f32 v[134:135], v[136:137], v[126:127] op_sel:[0,1]
	v_pk_add_f32 v[104:105], v[104:105], v[138:139] neg_lo:[0,1] neg_hi:[0,1]
	s_delay_alu instid0(VALU_DEP_2) | instskip(SKIP_1) | instid1(VALU_DEP_1)
	v_pk_fma_f32 v[138:139], v[136:137], v[124:125], v[134:135] op_sel:[0,0,1] op_sel_hi:[1,1,0] neg_lo:[0,0,1] neg_hi:[0,0,1]
	v_pk_fma_f32 v[134:135], v[136:137], v[124:125], v[134:135] op_sel:[0,0,1] op_sel_hi:[1,0,0]
	v_mov_b32_e32 v139, v135
	ds_load_b64 v[134:135], v128 offset:464
	v_pk_add_f32 v[98:99], v[98:99], v[138:139] neg_lo:[0,1] neg_hi:[0,1]
	s_wait_dscnt 0x0
	v_pk_mul_f32 v[126:127], v[134:135], v[126:127] op_sel:[0,1]
	s_delay_alu instid0(VALU_DEP_1) | instskip(SKIP_1) | instid1(VALU_DEP_1)
	v_pk_fma_f32 v[136:137], v[134:135], v[124:125], v[126:127] op_sel:[0,0,1] op_sel_hi:[1,1,0] neg_lo:[0,0,1] neg_hi:[0,0,1]
	v_pk_fma_f32 v[124:125], v[134:135], v[124:125], v[126:127] op_sel:[0,0,1] op_sel_hi:[1,0,0]
	v_mov_b32_e32 v137, v125
	s_delay_alu instid0(VALU_DEP_1)
	v_pk_add_f32 v[122:123], v[122:123], v[136:137] neg_lo:[0,1] neg_hi:[0,1]
.LBB116_167:
	s_or_b32 exec_lo, exec_lo, s0
	v_lshl_add_u32 v124, v132, 3, v128
	s_barrier_signal -1
	s_barrier_wait -1
	ds_store_b64 v124, v[24:25]
	s_wait_dscnt 0x0
	s_barrier_signal -1
	s_barrier_wait -1
	ds_load_b64 v[126:127], v128 offset:64
	v_mov_b32_e32 v124, 8
	s_cmp_lt_i32 s18, 10
	s_cbranch_scc1 .LBB116_170
; %bb.168:
	v_add3_u32 v125, v129, 0, 0x48
	v_mov_b32_e32 v124, 8
	s_mov_b32 s0, 9
.LBB116_169:                            ; =>This Inner Loop Header: Depth=1
	ds_load_b64 v[134:135], v125
	s_wait_dscnt 0x1
	v_cmp_gt_f32_e32 vcc_lo, 0, v126
	v_cndmask_b32_e64 v136, v126, -v126, vcc_lo
	v_cmp_gt_f32_e32 vcc_lo, 0, v127
	v_cndmask_b32_e64 v138, v127, -v127, vcc_lo
	s_wait_dscnt 0x0
	v_cmp_gt_f32_e32 vcc_lo, 0, v134
	v_cndmask_b32_e64 v137, v134, -v134, vcc_lo
	v_cmp_gt_f32_e32 vcc_lo, 0, v135
	v_cndmask_b32_e64 v139, v135, -v135, vcc_lo
	s_delay_alu instid0(VALU_DEP_1) | instskip(NEXT) | instid1(VALU_DEP_1)
	v_pk_add_f32 v[136:137], v[136:137], v[138:139]
	v_cmp_lt_f32_e32 vcc_lo, v136, v137
	v_dual_add_nc_u32 v125, 8, v125 :: v_dual_cndmask_b32 v127, v127, v135, vcc_lo
	v_cndmask_b32_e32 v126, v126, v134, vcc_lo
	v_cndmask_b32_e64 v124, v124, s0, vcc_lo
	s_add_co_i32 s0, s0, 1
	s_delay_alu instid0(SALU_CYCLE_1)
	s_cmp_lg_u32 s18, s0
	s_cbranch_scc1 .LBB116_169
.LBB116_170:
	s_wait_dscnt 0x0
	v_cmp_eq_f32_e32 vcc_lo, 0, v126
	v_cmp_eq_f32_e64 s0, 0, v127
	s_and_b32 s0, vcc_lo, s0
	s_delay_alu instid0(SALU_CYCLE_1) | instskip(NEXT) | instid1(SALU_CYCLE_1)
	s_and_saveexec_b32 s1, s0
	s_xor_b32 s0, exec_lo, s1
; %bb.171:
	v_cmp_ne_u32_e32 vcc_lo, 0, v130
	v_cndmask_b32_e32 v130, 9, v130, vcc_lo
; %bb.172:
	s_and_not1_saveexec_b32 s0, s0
	s_cbranch_execz .LBB116_178
; %bb.173:
	v_cmp_ngt_f32_e64 s1, |v126|, |v127|
	s_and_saveexec_b32 s12, s1
	s_delay_alu instid0(SALU_CYCLE_1)
	s_xor_b32 s1, exec_lo, s12
	s_cbranch_execz .LBB116_175
; %bb.174:
	v_div_scale_f32 v125, null, v127, v127, v126
	v_div_scale_f32 v135, vcc_lo, v126, v127, v126
	s_delay_alu instid0(VALU_DEP_2) | instskip(SKIP_1) | instid1(TRANS32_DEP_1)
	v_rcp_f32_e32 v133, v125
	v_nop
	v_fma_f32 v134, -v125, v133, 1.0
	s_delay_alu instid0(VALU_DEP_1) | instskip(NEXT) | instid1(VALU_DEP_1)
	v_fmac_f32_e32 v133, v134, v133
	v_mul_f32_e32 v134, v135, v133
	s_delay_alu instid0(VALU_DEP_1) | instskip(NEXT) | instid1(VALU_DEP_1)
	v_fma_f32 v136, -v125, v134, v135
	v_fmac_f32_e32 v134, v136, v133
	s_delay_alu instid0(VALU_DEP_1) | instskip(NEXT) | instid1(VALU_DEP_1)
	v_fma_f32 v125, -v125, v134, v135
	v_div_fmas_f32 v125, v125, v133, v134
	s_delay_alu instid0(VALU_DEP_1) | instskip(NEXT) | instid1(VALU_DEP_1)
	v_div_fixup_f32 v125, v125, v127, v126
	v_fmac_f32_e32 v127, v126, v125
	s_delay_alu instid0(VALU_DEP_1) | instskip(SKIP_1) | instid1(VALU_DEP_2)
	v_div_scale_f32 v126, null, v127, v127, 1.0
	v_div_scale_f32 v135, vcc_lo, 1.0, v127, 1.0
	v_rcp_f32_e32 v133, v126
	v_nop
	s_delay_alu instid0(TRANS32_DEP_1) | instskip(NEXT) | instid1(VALU_DEP_1)
	v_fma_f32 v134, -v126, v133, 1.0
	v_fmac_f32_e32 v133, v134, v133
	s_delay_alu instid0(VALU_DEP_1) | instskip(NEXT) | instid1(VALU_DEP_1)
	v_mul_f32_e32 v134, v135, v133
	v_fma_f32 v136, -v126, v134, v135
	s_delay_alu instid0(VALU_DEP_1) | instskip(NEXT) | instid1(VALU_DEP_1)
	v_fmac_f32_e32 v134, v136, v133
	v_fma_f32 v126, -v126, v134, v135
	s_delay_alu instid0(VALU_DEP_1) | instskip(NEXT) | instid1(VALU_DEP_1)
	v_div_fmas_f32 v126, v126, v133, v134
	v_div_fixup_f32 v127, v126, v127, 1.0
	s_delay_alu instid0(VALU_DEP_1)
	v_mul_f32_e32 v126, v125, v127
	v_xor_b32_e32 v127, 0x80000000, v127
.LBB116_175:
	s_and_not1_saveexec_b32 s1, s1
	s_cbranch_execz .LBB116_177
; %bb.176:
	s_delay_alu instid0(VALU_DEP_1) | instskip(SKIP_1) | instid1(VALU_DEP_2)
	v_div_scale_f32 v125, null, v126, v126, v127
	v_div_scale_f32 v135, vcc_lo, v127, v126, v127
	v_rcp_f32_e32 v133, v125
	v_nop
	s_delay_alu instid0(TRANS32_DEP_1) | instskip(NEXT) | instid1(VALU_DEP_1)
	v_fma_f32 v134, -v125, v133, 1.0
	v_fmac_f32_e32 v133, v134, v133
	s_delay_alu instid0(VALU_DEP_1) | instskip(NEXT) | instid1(VALU_DEP_1)
	v_mul_f32_e32 v134, v135, v133
	v_fma_f32 v136, -v125, v134, v135
	s_delay_alu instid0(VALU_DEP_1) | instskip(NEXT) | instid1(VALU_DEP_1)
	v_fmac_f32_e32 v134, v136, v133
	v_fma_f32 v125, -v125, v134, v135
	s_delay_alu instid0(VALU_DEP_1) | instskip(NEXT) | instid1(VALU_DEP_1)
	v_div_fmas_f32 v125, v125, v133, v134
	v_div_fixup_f32 v125, v125, v126, v127
	s_delay_alu instid0(VALU_DEP_1) | instskip(NEXT) | instid1(VALU_DEP_1)
	v_fmac_f32_e32 v126, v127, v125
	v_div_scale_f32 v127, null, v126, v126, 1.0
	s_delay_alu instid0(VALU_DEP_1) | instskip(SKIP_1) | instid1(TRANS32_DEP_1)
	v_rcp_f32_e32 v133, v127
	v_nop
	v_fma_f32 v134, -v127, v133, 1.0
	s_delay_alu instid0(VALU_DEP_1) | instskip(SKIP_1) | instid1(VALU_DEP_1)
	v_fmac_f32_e32 v133, v134, v133
	v_div_scale_f32 v134, vcc_lo, 1.0, v126, 1.0
	v_mul_f32_e32 v135, v134, v133
	s_delay_alu instid0(VALU_DEP_1) | instskip(NEXT) | instid1(VALU_DEP_1)
	v_fma_f32 v136, -v127, v135, v134
	v_fmac_f32_e32 v135, v136, v133
	s_delay_alu instid0(VALU_DEP_1) | instskip(NEXT) | instid1(VALU_DEP_1)
	v_fma_f32 v127, -v127, v135, v134
	v_div_fmas_f32 v127, v127, v133, v135
	s_delay_alu instid0(VALU_DEP_1) | instskip(NEXT) | instid1(VALU_DEP_1)
	v_div_fixup_f32 v126, v127, v126, 1.0
	v_mul_f32_e64 v127, v125, -v126
.LBB116_177:
	s_or_b32 exec_lo, exec_lo, s1
.LBB116_178:
	s_delay_alu instid0(SALU_CYCLE_1) | instskip(NEXT) | instid1(SALU_CYCLE_1)
	s_or_b32 exec_lo, exec_lo, s0
	s_mov_b32 s0, exec_lo
	v_cmpx_ne_u32_e64 v132, v124
	s_xor_b32 s0, exec_lo, s0
	s_cbranch_execz .LBB116_184
; %bb.179:
	s_mov_b32 s1, exec_lo
	v_cmpx_eq_u32_e32 8, v132
	s_cbranch_execz .LBB116_183
; %bb.180:
	v_cmp_ne_u32_e32 vcc_lo, 8, v124
	s_xor_b32 s12, s16, -1
	s_delay_alu instid0(SALU_CYCLE_1) | instskip(NEXT) | instid1(SALU_CYCLE_1)
	s_and_b32 s13, s12, vcc_lo
	s_and_saveexec_b32 s12, s13
	s_cbranch_execz .LBB116_182
; %bb.181:
	v_ashrrev_i32_e32 v125, 31, v124
	s_delay_alu instid0(VALU_DEP_1)
	v_lshl_add_u64 v[132:133], v[124:125], 2, v[4:5]
	s_clause 0x1
	global_load_b32 v125, v[132:133], off
	global_load_b32 v131, v[4:5], off offset:32
	s_wait_loadcnt 0x1
	global_store_b32 v[4:5], v125, off offset:32
	s_wait_loadcnt 0x0
	global_store_b32 v[132:133], v131, off
.LBB116_182:
	s_wait_xcnt 0x0
	s_or_b32 exec_lo, exec_lo, s12
	v_dual_mov_b32 v132, v124 :: v_dual_mov_b32 v131, v124
.LBB116_183:
	s_or_b32 exec_lo, exec_lo, s1
.LBB116_184:
	s_and_not1_saveexec_b32 s0, s0
	s_cbranch_execz .LBB116_186
; %bb.185:
	v_mov_b32_e32 v132, 8
	ds_store_2addr_b64 v128, v[22:23], v[8:9] offset0:9 offset1:10
	ds_store_2addr_b64 v128, v[6:7], v[34:35] offset0:11 offset1:12
	;; [unrolled: 1-line block ×25, first 2 shown]
.LBB116_186:
	s_or_b32 exec_lo, exec_lo, s0
	s_delay_alu instid0(SALU_CYCLE_1)
	s_mov_b32 s0, exec_lo
	s_wait_storecnt_dscnt 0x0
	s_barrier_signal -1
	s_barrier_wait -1
	v_cmpx_lt_i32_e32 8, v132
	s_cbranch_execz .LBB116_188
; %bb.187:
	v_pk_mul_f32 v[134:135], v[126:127], v[24:25] op_sel:[1,1] op_sel_hi:[0,1]
	s_delay_alu instid0(VALU_DEP_1)
	v_pk_fma_f32 v[124:125], v[126:127], v[24:25], v[134:135] op_sel_hi:[1,0,1] neg_lo:[0,0,1] neg_hi:[0,0,1]
	v_pk_fma_f32 v[126:127], v[126:127], v[24:25], v[134:135] op_sel_hi:[1,0,1]
	ds_load_2addr_b64 v[134:137], v128 offset0:9 offset1:10
	v_dual_mov_b32 v24, v124 :: v_dual_mov_b32 v25, v127
	s_wait_dscnt 0x0
	v_pk_mul_f32 v[138:139], v[134:135], v[126:127] op_sel:[0,1]
	s_delay_alu instid0(VALU_DEP_1) | instskip(SKIP_1) | instid1(VALU_DEP_1)
	v_pk_fma_f32 v[140:141], v[134:135], v[124:125], v[138:139] op_sel:[0,0,1] op_sel_hi:[1,1,0] neg_lo:[0,0,1] neg_hi:[0,0,1]
	v_pk_fma_f32 v[134:135], v[134:135], v[124:125], v[138:139] op_sel:[0,0,1] op_sel_hi:[1,0,0]
	v_mov_b32_e32 v141, v135
	v_pk_mul_f32 v[134:135], v[136:137], v[126:127] op_sel:[0,1]
	s_delay_alu instid0(VALU_DEP_1) | instskip(SKIP_1) | instid1(VALU_DEP_1)
	v_pk_fma_f32 v[138:139], v[136:137], v[124:125], v[134:135] op_sel:[0,0,1] op_sel_hi:[1,1,0] neg_lo:[0,0,1] neg_hi:[0,0,1]
	v_pk_fma_f32 v[134:135], v[136:137], v[124:125], v[134:135] op_sel:[0,0,1] op_sel_hi:[1,0,0]
	v_mov_b32_e32 v139, v135
	ds_load_2addr_b64 v[134:137], v128 offset0:11 offset1:12
	v_pk_add_f32 v[22:23], v[22:23], v[140:141] neg_lo:[0,1] neg_hi:[0,1]
	v_pk_add_f32 v[8:9], v[8:9], v[138:139] neg_lo:[0,1] neg_hi:[0,1]
	s_wait_dscnt 0x0
	v_pk_mul_f32 v[138:139], v[134:135], v[126:127] op_sel:[0,1]
	s_delay_alu instid0(VALU_DEP_1) | instskip(SKIP_2) | instid1(VALU_DEP_2)
	v_pk_fma_f32 v[140:141], v[134:135], v[124:125], v[138:139] op_sel:[0,0,1] op_sel_hi:[1,1,0] neg_lo:[0,0,1] neg_hi:[0,0,1]
	v_pk_fma_f32 v[134:135], v[134:135], v[124:125], v[138:139] op_sel:[0,0,1] op_sel_hi:[1,0,0]
	v_dual_mul_f32 v138, v137, v127 :: v_dual_mov_b32 v134, v137
	v_dual_mov_b32 v141, v135 :: v_dual_mov_b32 v135, v136
	s_delay_alu instid0(VALU_DEP_2) | instskip(SKIP_1) | instid1(VALU_DEP_3)
	v_pk_fma_f32 v[138:139], v[136:137], v[24:25], v[138:139] op_sel_hi:[1,1,0] neg_lo:[0,0,1] neg_hi:[0,0,1]
	v_mul_f32_e32 v136, v137, v124
	v_pk_add_f32 v[6:7], v[6:7], v[140:141] neg_lo:[0,1] neg_hi:[0,1]
	s_delay_alu instid0(VALU_DEP_2) | instskip(NEXT) | instid1(VALU_DEP_1)
	v_pk_fma_f32 v[134:135], v[134:135], v[24:25], v[136:137] op_sel_hi:[1,1,0]
	v_mov_b32_e32 v139, v135
	ds_load_2addr_b64 v[134:137], v128 offset0:13 offset1:14
	v_pk_add_f32 v[34:35], v[34:35], v[138:139] neg_lo:[0,1] neg_hi:[0,1]
	s_wait_dscnt 0x0
	v_pk_mul_f32 v[138:139], v[134:135], v[126:127] op_sel:[0,1]
	s_delay_alu instid0(VALU_DEP_1) | instskip(SKIP_1) | instid1(VALU_DEP_1)
	v_pk_fma_f32 v[140:141], v[134:135], v[124:125], v[138:139] op_sel:[0,0,1] op_sel_hi:[1,1,0] neg_lo:[0,0,1] neg_hi:[0,0,1]
	v_pk_fma_f32 v[134:135], v[134:135], v[124:125], v[138:139] op_sel:[0,0,1] op_sel_hi:[1,0,0]
	v_mov_b32_e32 v141, v135
	v_pk_mul_f32 v[134:135], v[136:137], v[126:127] op_sel:[0,1]
	s_delay_alu instid0(VALU_DEP_1) | instskip(SKIP_1) | instid1(VALU_DEP_1)
	v_pk_fma_f32 v[138:139], v[136:137], v[124:125], v[134:135] op_sel:[0,0,1] op_sel_hi:[1,1,0] neg_lo:[0,0,1] neg_hi:[0,0,1]
	v_pk_fma_f32 v[134:135], v[136:137], v[124:125], v[134:135] op_sel:[0,0,1] op_sel_hi:[1,0,0]
	v_mov_b32_e32 v139, v135
	ds_load_2addr_b64 v[134:137], v128 offset0:15 offset1:16
	v_pk_add_f32 v[32:33], v[32:33], v[140:141] neg_lo:[0,1] neg_hi:[0,1]
	v_pk_add_f32 v[14:15], v[14:15], v[138:139] neg_lo:[0,1] neg_hi:[0,1]
	s_wait_dscnt 0x0
	v_pk_mul_f32 v[138:139], v[134:135], v[126:127] op_sel:[0,1]
	s_delay_alu instid0(VALU_DEP_1) | instskip(SKIP_1) | instid1(VALU_DEP_1)
	v_pk_fma_f32 v[140:141], v[134:135], v[124:125], v[138:139] op_sel:[0,0,1] op_sel_hi:[1,1,0] neg_lo:[0,0,1] neg_hi:[0,0,1]
	v_pk_fma_f32 v[134:135], v[134:135], v[124:125], v[138:139] op_sel:[0,0,1] op_sel_hi:[1,0,0]
	v_mov_b32_e32 v141, v135
	v_pk_mul_f32 v[134:135], v[136:137], v[126:127] op_sel:[0,1]
	s_delay_alu instid0(VALU_DEP_1) | instskip(SKIP_1) | instid1(VALU_DEP_1)
	v_pk_fma_f32 v[138:139], v[136:137], v[124:125], v[134:135] op_sel:[0,0,1] op_sel_hi:[1,1,0] neg_lo:[0,0,1] neg_hi:[0,0,1]
	v_pk_fma_f32 v[134:135], v[136:137], v[124:125], v[134:135] op_sel:[0,0,1] op_sel_hi:[1,0,0]
	v_mov_b32_e32 v139, v135
	ds_load_2addr_b64 v[134:137], v128 offset0:17 offset1:18
	v_pk_add_f32 v[12:13], v[12:13], v[140:141] neg_lo:[0,1] neg_hi:[0,1]
	v_pk_add_f32 v[44:45], v[44:45], v[138:139] neg_lo:[0,1] neg_hi:[0,1]
	s_wait_dscnt 0x0
	v_dual_mul_f32 v138, v135, v127 :: v_dual_mul_f32 v140, v135, v124
	s_delay_alu instid0(VALU_DEP_1) | instskip(NEXT) | instid1(VALU_DEP_2)
	v_pk_fma_f32 v[138:139], v[134:135], v[24:25], v[138:139] op_sel_hi:[1,1,0] neg_lo:[0,0,1] neg_hi:[0,0,1]
	v_pk_fma_f32 v[134:135], v[134:135], v[24:25], v[140:141] op_sel:[1,0,0] op_sel_hi:[0,1,0]
	s_delay_alu instid0(VALU_DEP_1) | instskip(SKIP_1) | instid1(VALU_DEP_2)
	v_mov_b32_e32 v139, v135
	v_pk_mul_f32 v[134:135], v[136:137], v[126:127] op_sel:[0,1]
	v_pk_add_f32 v[42:43], v[42:43], v[138:139] neg_lo:[0,1] neg_hi:[0,1]
	s_delay_alu instid0(VALU_DEP_2) | instskip(SKIP_1) | instid1(VALU_DEP_1)
	v_pk_fma_f32 v[138:139], v[136:137], v[124:125], v[134:135] op_sel:[0,0,1] op_sel_hi:[1,1,0] neg_lo:[0,0,1] neg_hi:[0,0,1]
	v_pk_fma_f32 v[134:135], v[136:137], v[124:125], v[134:135] op_sel:[0,0,1] op_sel_hi:[1,0,0]
	v_mov_b32_e32 v139, v135
	ds_load_2addr_b64 v[134:137], v128 offset0:19 offset1:20
	v_pk_add_f32 v[20:21], v[20:21], v[138:139] neg_lo:[0,1] neg_hi:[0,1]
	s_wait_dscnt 0x0
	v_pk_mul_f32 v[138:139], v[134:135], v[126:127] op_sel:[0,1]
	s_delay_alu instid0(VALU_DEP_1) | instskip(SKIP_1) | instid1(VALU_DEP_1)
	v_pk_fma_f32 v[140:141], v[134:135], v[124:125], v[138:139] op_sel:[0,0,1] op_sel_hi:[1,1,0] neg_lo:[0,0,1] neg_hi:[0,0,1]
	v_pk_fma_f32 v[134:135], v[134:135], v[124:125], v[138:139] op_sel:[0,0,1] op_sel_hi:[1,0,0]
	v_mov_b32_e32 v141, v135
	v_pk_mul_f32 v[134:135], v[136:137], v[126:127] op_sel:[0,1]
	s_delay_alu instid0(VALU_DEP_2) | instskip(NEXT) | instid1(VALU_DEP_2)
	v_pk_add_f32 v[18:19], v[18:19], v[140:141] neg_lo:[0,1] neg_hi:[0,1]
	v_pk_fma_f32 v[138:139], v[136:137], v[124:125], v[134:135] op_sel:[0,0,1] op_sel_hi:[1,1,0] neg_lo:[0,0,1] neg_hi:[0,0,1]
	v_pk_fma_f32 v[134:135], v[136:137], v[124:125], v[134:135] op_sel:[0,0,1] op_sel_hi:[1,0,0]
	s_delay_alu instid0(VALU_DEP_1) | instskip(SKIP_4) | instid1(VALU_DEP_1)
	v_mov_b32_e32 v139, v135
	ds_load_2addr_b64 v[134:137], v128 offset0:21 offset1:22
	v_pk_add_f32 v[52:53], v[52:53], v[138:139] neg_lo:[0,1] neg_hi:[0,1]
	s_wait_dscnt 0x0
	v_pk_mul_f32 v[138:139], v[134:135], v[126:127] op_sel:[0,1]
	v_pk_fma_f32 v[140:141], v[134:135], v[124:125], v[138:139] op_sel:[0,0,1] op_sel_hi:[1,1,0] neg_lo:[0,0,1] neg_hi:[0,0,1]
	v_pk_fma_f32 v[134:135], v[134:135], v[124:125], v[138:139] op_sel:[0,0,1] op_sel_hi:[1,0,0]
	v_dual_mul_f32 v138, v137, v127 :: v_dual_mov_b32 v134, v137
	s_delay_alu instid0(VALU_DEP_2) | instskip(NEXT) | instid1(VALU_DEP_2)
	v_dual_mov_b32 v141, v135 :: v_dual_mov_b32 v135, v136
	v_pk_fma_f32 v[138:139], v[136:137], v[24:25], v[138:139] op_sel_hi:[1,1,0] neg_lo:[0,0,1] neg_hi:[0,0,1]
	v_mul_f32_e32 v136, v137, v124
	s_delay_alu instid0(VALU_DEP_3) | instskip(NEXT) | instid1(VALU_DEP_2)
	v_pk_add_f32 v[50:51], v[50:51], v[140:141] neg_lo:[0,1] neg_hi:[0,1]
	v_pk_fma_f32 v[134:135], v[134:135], v[24:25], v[136:137] op_sel_hi:[1,1,0]
	s_delay_alu instid0(VALU_DEP_1) | instskip(SKIP_4) | instid1(VALU_DEP_1)
	v_mov_b32_e32 v139, v135
	ds_load_2addr_b64 v[134:137], v128 offset0:23 offset1:24
	v_pk_add_f32 v[28:29], v[28:29], v[138:139] neg_lo:[0,1] neg_hi:[0,1]
	s_wait_dscnt 0x0
	v_pk_mul_f32 v[138:139], v[134:135], v[126:127] op_sel:[0,1]
	v_pk_fma_f32 v[140:141], v[134:135], v[124:125], v[138:139] op_sel:[0,0,1] op_sel_hi:[1,1,0] neg_lo:[0,0,1] neg_hi:[0,0,1]
	v_pk_fma_f32 v[134:135], v[134:135], v[124:125], v[138:139] op_sel:[0,0,1] op_sel_hi:[1,0,0]
	s_delay_alu instid0(VALU_DEP_1) | instskip(SKIP_1) | instid1(VALU_DEP_1)
	v_mov_b32_e32 v141, v135
	v_pk_mul_f32 v[134:135], v[136:137], v[126:127] op_sel:[0,1]
	v_pk_fma_f32 v[138:139], v[136:137], v[124:125], v[134:135] op_sel:[0,0,1] op_sel_hi:[1,1,0] neg_lo:[0,0,1] neg_hi:[0,0,1]
	v_pk_fma_f32 v[134:135], v[136:137], v[124:125], v[134:135] op_sel:[0,0,1] op_sel_hi:[1,0,0]
	s_delay_alu instid0(VALU_DEP_1)
	v_mov_b32_e32 v139, v135
	ds_load_2addr_b64 v[134:137], v128 offset0:25 offset1:26
	v_pk_add_f32 v[26:27], v[26:27], v[140:141] neg_lo:[0,1] neg_hi:[0,1]
	v_pk_add_f32 v[60:61], v[60:61], v[138:139] neg_lo:[0,1] neg_hi:[0,1]
	s_wait_dscnt 0x0
	v_pk_mul_f32 v[138:139], v[134:135], v[126:127] op_sel:[0,1]
	s_delay_alu instid0(VALU_DEP_1) | instskip(SKIP_1) | instid1(VALU_DEP_1)
	v_pk_fma_f32 v[140:141], v[134:135], v[124:125], v[138:139] op_sel:[0,0,1] op_sel_hi:[1,1,0] neg_lo:[0,0,1] neg_hi:[0,0,1]
	v_pk_fma_f32 v[134:135], v[134:135], v[124:125], v[138:139] op_sel:[0,0,1] op_sel_hi:[1,0,0]
	v_mov_b32_e32 v141, v135
	v_pk_mul_f32 v[134:135], v[136:137], v[126:127] op_sel:[0,1]
	s_delay_alu instid0(VALU_DEP_1) | instskip(SKIP_1) | instid1(VALU_DEP_1)
	v_pk_fma_f32 v[138:139], v[136:137], v[124:125], v[134:135] op_sel:[0,0,1] op_sel_hi:[1,1,0] neg_lo:[0,0,1] neg_hi:[0,0,1]
	v_pk_fma_f32 v[134:135], v[136:137], v[124:125], v[134:135] op_sel:[0,0,1] op_sel_hi:[1,0,0]
	v_mov_b32_e32 v139, v135
	ds_load_2addr_b64 v[134:137], v128 offset0:27 offset1:28
	v_pk_add_f32 v[58:59], v[58:59], v[140:141] neg_lo:[0,1] neg_hi:[0,1]
	v_pk_add_f32 v[38:39], v[38:39], v[138:139] neg_lo:[0,1] neg_hi:[0,1]
	s_wait_dscnt 0x0
	v_dual_mul_f32 v138, v135, v127 :: v_dual_mul_f32 v140, v135, v124
	s_delay_alu instid0(VALU_DEP_1) | instskip(NEXT) | instid1(VALU_DEP_2)
	v_pk_fma_f32 v[138:139], v[134:135], v[24:25], v[138:139] op_sel_hi:[1,1,0] neg_lo:[0,0,1] neg_hi:[0,0,1]
	v_pk_fma_f32 v[134:135], v[134:135], v[24:25], v[140:141] op_sel:[1,0,0] op_sel_hi:[0,1,0]
	s_delay_alu instid0(VALU_DEP_1) | instskip(SKIP_1) | instid1(VALU_DEP_2)
	v_mov_b32_e32 v139, v135
	v_pk_mul_f32 v[134:135], v[136:137], v[126:127] op_sel:[0,1]
	v_pk_add_f32 v[36:37], v[36:37], v[138:139] neg_lo:[0,1] neg_hi:[0,1]
	s_delay_alu instid0(VALU_DEP_2) | instskip(SKIP_1) | instid1(VALU_DEP_1)
	v_pk_fma_f32 v[138:139], v[136:137], v[124:125], v[134:135] op_sel:[0,0,1] op_sel_hi:[1,1,0] neg_lo:[0,0,1] neg_hi:[0,0,1]
	v_pk_fma_f32 v[134:135], v[136:137], v[124:125], v[134:135] op_sel:[0,0,1] op_sel_hi:[1,0,0]
	v_mov_b32_e32 v139, v135
	ds_load_2addr_b64 v[134:137], v128 offset0:29 offset1:30
	v_pk_add_f32 v[68:69], v[68:69], v[138:139] neg_lo:[0,1] neg_hi:[0,1]
	s_wait_dscnt 0x0
	v_pk_mul_f32 v[138:139], v[134:135], v[126:127] op_sel:[0,1]
	s_delay_alu instid0(VALU_DEP_1) | instskip(SKIP_1) | instid1(VALU_DEP_1)
	v_pk_fma_f32 v[140:141], v[134:135], v[124:125], v[138:139] op_sel:[0,0,1] op_sel_hi:[1,1,0] neg_lo:[0,0,1] neg_hi:[0,0,1]
	v_pk_fma_f32 v[134:135], v[134:135], v[124:125], v[138:139] op_sel:[0,0,1] op_sel_hi:[1,0,0]
	v_mov_b32_e32 v141, v135
	v_pk_mul_f32 v[134:135], v[136:137], v[126:127] op_sel:[0,1]
	s_delay_alu instid0(VALU_DEP_2) | instskip(NEXT) | instid1(VALU_DEP_2)
	v_pk_add_f32 v[66:67], v[66:67], v[140:141] neg_lo:[0,1] neg_hi:[0,1]
	v_pk_fma_f32 v[138:139], v[136:137], v[124:125], v[134:135] op_sel:[0,0,1] op_sel_hi:[1,1,0] neg_lo:[0,0,1] neg_hi:[0,0,1]
	v_pk_fma_f32 v[134:135], v[136:137], v[124:125], v[134:135] op_sel:[0,0,1] op_sel_hi:[1,0,0]
	s_delay_alu instid0(VALU_DEP_1) | instskip(SKIP_4) | instid1(VALU_DEP_1)
	v_mov_b32_e32 v139, v135
	ds_load_2addr_b64 v[134:137], v128 offset0:31 offset1:32
	v_pk_add_f32 v[48:49], v[48:49], v[138:139] neg_lo:[0,1] neg_hi:[0,1]
	s_wait_dscnt 0x0
	v_pk_mul_f32 v[138:139], v[134:135], v[126:127] op_sel:[0,1]
	v_pk_fma_f32 v[140:141], v[134:135], v[124:125], v[138:139] op_sel:[0,0,1] op_sel_hi:[1,1,0] neg_lo:[0,0,1] neg_hi:[0,0,1]
	v_pk_fma_f32 v[134:135], v[134:135], v[124:125], v[138:139] op_sel:[0,0,1] op_sel_hi:[1,0,0]
	v_dual_mul_f32 v138, v137, v127 :: v_dual_mov_b32 v134, v137
	s_delay_alu instid0(VALU_DEP_2) | instskip(NEXT) | instid1(VALU_DEP_2)
	v_dual_mov_b32 v141, v135 :: v_dual_mov_b32 v135, v136
	v_pk_fma_f32 v[138:139], v[136:137], v[24:25], v[138:139] op_sel_hi:[1,1,0] neg_lo:[0,0,1] neg_hi:[0,0,1]
	v_mul_f32_e32 v136, v137, v124
	s_delay_alu instid0(VALU_DEP_3) | instskip(NEXT) | instid1(VALU_DEP_2)
	v_pk_add_f32 v[46:47], v[46:47], v[140:141] neg_lo:[0,1] neg_hi:[0,1]
	v_pk_fma_f32 v[134:135], v[134:135], v[24:25], v[136:137] op_sel_hi:[1,1,0]
	s_delay_alu instid0(VALU_DEP_1) | instskip(SKIP_4) | instid1(VALU_DEP_1)
	v_mov_b32_e32 v139, v135
	ds_load_2addr_b64 v[134:137], v128 offset0:33 offset1:34
	v_pk_add_f32 v[78:79], v[78:79], v[138:139] neg_lo:[0,1] neg_hi:[0,1]
	s_wait_dscnt 0x0
	v_pk_mul_f32 v[138:139], v[134:135], v[126:127] op_sel:[0,1]
	v_pk_fma_f32 v[140:141], v[134:135], v[124:125], v[138:139] op_sel:[0,0,1] op_sel_hi:[1,1,0] neg_lo:[0,0,1] neg_hi:[0,0,1]
	v_pk_fma_f32 v[134:135], v[134:135], v[124:125], v[138:139] op_sel:[0,0,1] op_sel_hi:[1,0,0]
	s_delay_alu instid0(VALU_DEP_1) | instskip(SKIP_1) | instid1(VALU_DEP_1)
	v_mov_b32_e32 v141, v135
	v_pk_mul_f32 v[134:135], v[136:137], v[126:127] op_sel:[0,1]
	v_pk_fma_f32 v[138:139], v[136:137], v[124:125], v[134:135] op_sel:[0,0,1] op_sel_hi:[1,1,0] neg_lo:[0,0,1] neg_hi:[0,0,1]
	v_pk_fma_f32 v[134:135], v[136:137], v[124:125], v[134:135] op_sel:[0,0,1] op_sel_hi:[1,0,0]
	s_delay_alu instid0(VALU_DEP_1)
	v_mov_b32_e32 v139, v135
	ds_load_2addr_b64 v[134:137], v128 offset0:35 offset1:36
	v_pk_add_f32 v[76:77], v[76:77], v[140:141] neg_lo:[0,1] neg_hi:[0,1]
	v_pk_add_f32 v[56:57], v[56:57], v[138:139] neg_lo:[0,1] neg_hi:[0,1]
	s_wait_dscnt 0x0
	v_pk_mul_f32 v[138:139], v[134:135], v[126:127] op_sel:[0,1]
	s_delay_alu instid0(VALU_DEP_1) | instskip(SKIP_1) | instid1(VALU_DEP_1)
	v_pk_fma_f32 v[140:141], v[134:135], v[124:125], v[138:139] op_sel:[0,0,1] op_sel_hi:[1,1,0] neg_lo:[0,0,1] neg_hi:[0,0,1]
	v_pk_fma_f32 v[134:135], v[134:135], v[124:125], v[138:139] op_sel:[0,0,1] op_sel_hi:[1,0,0]
	v_mov_b32_e32 v141, v135
	v_pk_mul_f32 v[134:135], v[136:137], v[126:127] op_sel:[0,1]
	s_delay_alu instid0(VALU_DEP_1) | instskip(SKIP_1) | instid1(VALU_DEP_1)
	v_pk_fma_f32 v[138:139], v[136:137], v[124:125], v[134:135] op_sel:[0,0,1] op_sel_hi:[1,1,0] neg_lo:[0,0,1] neg_hi:[0,0,1]
	v_pk_fma_f32 v[134:135], v[136:137], v[124:125], v[134:135] op_sel:[0,0,1] op_sel_hi:[1,0,0]
	v_mov_b32_e32 v139, v135
	ds_load_2addr_b64 v[134:137], v128 offset0:37 offset1:38
	v_pk_add_f32 v[54:55], v[54:55], v[140:141] neg_lo:[0,1] neg_hi:[0,1]
	v_pk_add_f32 v[88:89], v[88:89], v[138:139] neg_lo:[0,1] neg_hi:[0,1]
	s_wait_dscnt 0x0
	v_dual_mul_f32 v138, v135, v127 :: v_dual_mul_f32 v140, v135, v124
	s_delay_alu instid0(VALU_DEP_1) | instskip(NEXT) | instid1(VALU_DEP_2)
	v_pk_fma_f32 v[138:139], v[134:135], v[24:25], v[138:139] op_sel_hi:[1,1,0] neg_lo:[0,0,1] neg_hi:[0,0,1]
	v_pk_fma_f32 v[134:135], v[134:135], v[24:25], v[140:141] op_sel:[1,0,0] op_sel_hi:[0,1,0]
	s_delay_alu instid0(VALU_DEP_1) | instskip(SKIP_1) | instid1(VALU_DEP_2)
	v_mov_b32_e32 v139, v135
	v_pk_mul_f32 v[134:135], v[136:137], v[126:127] op_sel:[0,1]
	v_pk_add_f32 v[86:87], v[86:87], v[138:139] neg_lo:[0,1] neg_hi:[0,1]
	s_delay_alu instid0(VALU_DEP_2) | instskip(SKIP_1) | instid1(VALU_DEP_1)
	v_pk_fma_f32 v[138:139], v[136:137], v[124:125], v[134:135] op_sel:[0,0,1] op_sel_hi:[1,1,0] neg_lo:[0,0,1] neg_hi:[0,0,1]
	v_pk_fma_f32 v[134:135], v[136:137], v[124:125], v[134:135] op_sel:[0,0,1] op_sel_hi:[1,0,0]
	v_mov_b32_e32 v139, v135
	ds_load_2addr_b64 v[134:137], v128 offset0:39 offset1:40
	v_pk_add_f32 v[64:65], v[64:65], v[138:139] neg_lo:[0,1] neg_hi:[0,1]
	s_wait_dscnt 0x0
	v_pk_mul_f32 v[138:139], v[134:135], v[126:127] op_sel:[0,1]
	s_delay_alu instid0(VALU_DEP_1) | instskip(SKIP_1) | instid1(VALU_DEP_1)
	v_pk_fma_f32 v[140:141], v[134:135], v[124:125], v[138:139] op_sel:[0,0,1] op_sel_hi:[1,1,0] neg_lo:[0,0,1] neg_hi:[0,0,1]
	v_pk_fma_f32 v[134:135], v[134:135], v[124:125], v[138:139] op_sel:[0,0,1] op_sel_hi:[1,0,0]
	v_mov_b32_e32 v141, v135
	v_pk_mul_f32 v[134:135], v[136:137], v[126:127] op_sel:[0,1]
	s_delay_alu instid0(VALU_DEP_2) | instskip(NEXT) | instid1(VALU_DEP_2)
	v_pk_add_f32 v[62:63], v[62:63], v[140:141] neg_lo:[0,1] neg_hi:[0,1]
	v_pk_fma_f32 v[138:139], v[136:137], v[124:125], v[134:135] op_sel:[0,0,1] op_sel_hi:[1,1,0] neg_lo:[0,0,1] neg_hi:[0,0,1]
	v_pk_fma_f32 v[134:135], v[136:137], v[124:125], v[134:135] op_sel:[0,0,1] op_sel_hi:[1,0,0]
	s_delay_alu instid0(VALU_DEP_1) | instskip(SKIP_4) | instid1(VALU_DEP_1)
	v_mov_b32_e32 v139, v135
	ds_load_2addr_b64 v[134:137], v128 offset0:41 offset1:42
	v_pk_add_f32 v[102:103], v[102:103], v[138:139] neg_lo:[0,1] neg_hi:[0,1]
	s_wait_dscnt 0x0
	v_pk_mul_f32 v[138:139], v[134:135], v[126:127] op_sel:[0,1]
	v_pk_fma_f32 v[140:141], v[134:135], v[124:125], v[138:139] op_sel:[0,0,1] op_sel_hi:[1,1,0] neg_lo:[0,0,1] neg_hi:[0,0,1]
	v_pk_fma_f32 v[134:135], v[134:135], v[124:125], v[138:139] op_sel:[0,0,1] op_sel_hi:[1,0,0]
	v_dual_mul_f32 v138, v137, v127 :: v_dual_mov_b32 v134, v137
	s_delay_alu instid0(VALU_DEP_2) | instskip(NEXT) | instid1(VALU_DEP_2)
	v_dual_mov_b32 v141, v135 :: v_dual_mov_b32 v135, v136
	v_pk_fma_f32 v[138:139], v[136:137], v[24:25], v[138:139] op_sel_hi:[1,1,0] neg_lo:[0,0,1] neg_hi:[0,0,1]
	v_mul_f32_e32 v136, v137, v124
	s_delay_alu instid0(VALU_DEP_3) | instskip(NEXT) | instid1(VALU_DEP_2)
	v_pk_add_f32 v[100:101], v[100:101], v[140:141] neg_lo:[0,1] neg_hi:[0,1]
	v_pk_fma_f32 v[134:135], v[134:135], v[24:25], v[136:137] op_sel_hi:[1,1,0]
	s_delay_alu instid0(VALU_DEP_1) | instskip(SKIP_4) | instid1(VALU_DEP_1)
	v_mov_b32_e32 v139, v135
	ds_load_2addr_b64 v[134:137], v128 offset0:43 offset1:44
	v_pk_add_f32 v[72:73], v[72:73], v[138:139] neg_lo:[0,1] neg_hi:[0,1]
	s_wait_dscnt 0x0
	v_pk_mul_f32 v[138:139], v[134:135], v[126:127] op_sel:[0,1]
	v_pk_fma_f32 v[140:141], v[134:135], v[124:125], v[138:139] op_sel:[0,0,1] op_sel_hi:[1,1,0] neg_lo:[0,0,1] neg_hi:[0,0,1]
	v_pk_fma_f32 v[134:135], v[134:135], v[124:125], v[138:139] op_sel:[0,0,1] op_sel_hi:[1,0,0]
	s_delay_alu instid0(VALU_DEP_1) | instskip(SKIP_1) | instid1(VALU_DEP_1)
	v_mov_b32_e32 v141, v135
	v_pk_mul_f32 v[134:135], v[136:137], v[126:127] op_sel:[0,1]
	v_pk_fma_f32 v[138:139], v[136:137], v[124:125], v[134:135] op_sel:[0,0,1] op_sel_hi:[1,1,0] neg_lo:[0,0,1] neg_hi:[0,0,1]
	v_pk_fma_f32 v[134:135], v[136:137], v[124:125], v[134:135] op_sel:[0,0,1] op_sel_hi:[1,0,0]
	s_delay_alu instid0(VALU_DEP_1)
	v_mov_b32_e32 v139, v135
	ds_load_2addr_b64 v[134:137], v128 offset0:45 offset1:46
	v_pk_add_f32 v[70:71], v[70:71], v[140:141] neg_lo:[0,1] neg_hi:[0,1]
	v_pk_add_f32 v[110:111], v[110:111], v[138:139] neg_lo:[0,1] neg_hi:[0,1]
	s_wait_dscnt 0x0
	v_pk_mul_f32 v[138:139], v[134:135], v[126:127] op_sel:[0,1]
	s_delay_alu instid0(VALU_DEP_1) | instskip(SKIP_1) | instid1(VALU_DEP_1)
	v_pk_fma_f32 v[140:141], v[134:135], v[124:125], v[138:139] op_sel:[0,0,1] op_sel_hi:[1,1,0] neg_lo:[0,0,1] neg_hi:[0,0,1]
	v_pk_fma_f32 v[134:135], v[134:135], v[124:125], v[138:139] op_sel:[0,0,1] op_sel_hi:[1,0,0]
	v_mov_b32_e32 v141, v135
	v_pk_mul_f32 v[134:135], v[136:137], v[126:127] op_sel:[0,1]
	s_delay_alu instid0(VALU_DEP_1) | instskip(SKIP_1) | instid1(VALU_DEP_1)
	v_pk_fma_f32 v[138:139], v[136:137], v[124:125], v[134:135] op_sel:[0,0,1] op_sel_hi:[1,1,0] neg_lo:[0,0,1] neg_hi:[0,0,1]
	v_pk_fma_f32 v[134:135], v[136:137], v[124:125], v[134:135] op_sel:[0,0,1] op_sel_hi:[1,0,0]
	v_mov_b32_e32 v139, v135
	ds_load_2addr_b64 v[134:137], v128 offset0:47 offset1:48
	v_pk_add_f32 v[108:109], v[108:109], v[140:141] neg_lo:[0,1] neg_hi:[0,1]
	v_pk_add_f32 v[82:83], v[82:83], v[138:139] neg_lo:[0,1] neg_hi:[0,1]
	s_wait_dscnt 0x0
	v_dual_mul_f32 v138, v135, v127 :: v_dual_mul_f32 v140, v135, v124
	s_delay_alu instid0(VALU_DEP_1) | instskip(NEXT) | instid1(VALU_DEP_2)
	v_pk_fma_f32 v[138:139], v[134:135], v[24:25], v[138:139] op_sel_hi:[1,1,0] neg_lo:[0,0,1] neg_hi:[0,0,1]
	v_pk_fma_f32 v[134:135], v[134:135], v[24:25], v[140:141] op_sel:[1,0,0] op_sel_hi:[0,1,0]
	s_delay_alu instid0(VALU_DEP_1) | instskip(SKIP_1) | instid1(VALU_DEP_2)
	v_mov_b32_e32 v139, v135
	v_pk_mul_f32 v[134:135], v[136:137], v[126:127] op_sel:[0,1]
	v_pk_add_f32 v[80:81], v[80:81], v[138:139] neg_lo:[0,1] neg_hi:[0,1]
	s_delay_alu instid0(VALU_DEP_2) | instskip(SKIP_1) | instid1(VALU_DEP_1)
	v_pk_fma_f32 v[138:139], v[136:137], v[124:125], v[134:135] op_sel:[0,0,1] op_sel_hi:[1,1,0] neg_lo:[0,0,1] neg_hi:[0,0,1]
	v_pk_fma_f32 v[134:135], v[136:137], v[124:125], v[134:135] op_sel:[0,0,1] op_sel_hi:[1,0,0]
	v_mov_b32_e32 v139, v135
	ds_load_2addr_b64 v[134:137], v128 offset0:49 offset1:50
	v_pk_add_f32 v[120:121], v[120:121], v[138:139] neg_lo:[0,1] neg_hi:[0,1]
	s_wait_dscnt 0x0
	v_pk_mul_f32 v[138:139], v[134:135], v[126:127] op_sel:[0,1]
	s_delay_alu instid0(VALU_DEP_1) | instskip(SKIP_1) | instid1(VALU_DEP_1)
	v_pk_fma_f32 v[140:141], v[134:135], v[124:125], v[138:139] op_sel:[0,0,1] op_sel_hi:[1,1,0] neg_lo:[0,0,1] neg_hi:[0,0,1]
	v_pk_fma_f32 v[134:135], v[134:135], v[124:125], v[138:139] op_sel:[0,0,1] op_sel_hi:[1,0,0]
	v_mov_b32_e32 v141, v135
	v_pk_mul_f32 v[134:135], v[136:137], v[126:127] op_sel:[0,1]
	s_delay_alu instid0(VALU_DEP_2) | instskip(NEXT) | instid1(VALU_DEP_2)
	v_pk_add_f32 v[118:119], v[118:119], v[140:141] neg_lo:[0,1] neg_hi:[0,1]
	v_pk_fma_f32 v[138:139], v[136:137], v[124:125], v[134:135] op_sel:[0,0,1] op_sel_hi:[1,1,0] neg_lo:[0,0,1] neg_hi:[0,0,1]
	v_pk_fma_f32 v[134:135], v[136:137], v[124:125], v[134:135] op_sel:[0,0,1] op_sel_hi:[1,0,0]
	s_delay_alu instid0(VALU_DEP_1) | instskip(SKIP_4) | instid1(VALU_DEP_1)
	v_mov_b32_e32 v139, v135
	ds_load_2addr_b64 v[134:137], v128 offset0:51 offset1:52
	v_pk_add_f32 v[94:95], v[94:95], v[138:139] neg_lo:[0,1] neg_hi:[0,1]
	s_wait_dscnt 0x0
	v_pk_mul_f32 v[138:139], v[134:135], v[126:127] op_sel:[0,1]
	v_pk_fma_f32 v[140:141], v[134:135], v[124:125], v[138:139] op_sel:[0,0,1] op_sel_hi:[1,1,0] neg_lo:[0,0,1] neg_hi:[0,0,1]
	v_pk_fma_f32 v[134:135], v[134:135], v[124:125], v[138:139] op_sel:[0,0,1] op_sel_hi:[1,0,0]
	v_dual_mul_f32 v138, v137, v127 :: v_dual_mov_b32 v134, v137
	s_delay_alu instid0(VALU_DEP_2) | instskip(NEXT) | instid1(VALU_DEP_2)
	v_dual_mov_b32 v141, v135 :: v_dual_mov_b32 v135, v136
	v_pk_fma_f32 v[138:139], v[136:137], v[24:25], v[138:139] op_sel_hi:[1,1,0] neg_lo:[0,0,1] neg_hi:[0,0,1]
	v_mul_f32_e32 v136, v137, v124
	s_delay_alu instid0(VALU_DEP_3) | instskip(NEXT) | instid1(VALU_DEP_2)
	v_pk_add_f32 v[96:97], v[96:97], v[140:141] neg_lo:[0,1] neg_hi:[0,1]
	v_pk_fma_f32 v[134:135], v[134:135], v[24:25], v[136:137] op_sel_hi:[1,1,0]
	s_delay_alu instid0(VALU_DEP_1) | instskip(SKIP_4) | instid1(VALU_DEP_1)
	v_mov_b32_e32 v139, v135
	ds_load_2addr_b64 v[134:137], v128 offset0:53 offset1:54
	v_pk_add_f32 v[114:115], v[114:115], v[138:139] neg_lo:[0,1] neg_hi:[0,1]
	s_wait_dscnt 0x0
	v_pk_mul_f32 v[138:139], v[134:135], v[126:127] op_sel:[0,1]
	v_pk_fma_f32 v[140:141], v[134:135], v[124:125], v[138:139] op_sel:[0,0,1] op_sel_hi:[1,1,0] neg_lo:[0,0,1] neg_hi:[0,0,1]
	v_pk_fma_f32 v[134:135], v[134:135], v[124:125], v[138:139] op_sel:[0,0,1] op_sel_hi:[1,0,0]
	s_delay_alu instid0(VALU_DEP_1) | instskip(SKIP_1) | instid1(VALU_DEP_1)
	v_mov_b32_e32 v141, v135
	v_pk_mul_f32 v[134:135], v[136:137], v[126:127] op_sel:[0,1]
	v_pk_fma_f32 v[138:139], v[136:137], v[124:125], v[134:135] op_sel:[0,0,1] op_sel_hi:[1,1,0] neg_lo:[0,0,1] neg_hi:[0,0,1]
	v_pk_fma_f32 v[134:135], v[136:137], v[124:125], v[134:135] op_sel:[0,0,1] op_sel_hi:[1,0,0]
	s_delay_alu instid0(VALU_DEP_1)
	v_mov_b32_e32 v139, v135
	ds_load_2addr_b64 v[134:137], v128 offset0:55 offset1:56
	v_pk_add_f32 v[112:113], v[112:113], v[140:141] neg_lo:[0,1] neg_hi:[0,1]
	v_pk_add_f32 v[92:93], v[92:93], v[138:139] neg_lo:[0,1] neg_hi:[0,1]
	s_wait_dscnt 0x0
	v_pk_mul_f32 v[138:139], v[134:135], v[126:127] op_sel:[0,1]
	s_delay_alu instid0(VALU_DEP_1) | instskip(SKIP_1) | instid1(VALU_DEP_1)
	v_pk_fma_f32 v[140:141], v[134:135], v[124:125], v[138:139] op_sel:[0,0,1] op_sel_hi:[1,1,0] neg_lo:[0,0,1] neg_hi:[0,0,1]
	v_pk_fma_f32 v[134:135], v[134:135], v[124:125], v[138:139] op_sel:[0,0,1] op_sel_hi:[1,0,0]
	v_mov_b32_e32 v141, v135
	v_pk_mul_f32 v[134:135], v[136:137], v[126:127] op_sel:[0,1]
	s_delay_alu instid0(VALU_DEP_1) | instskip(SKIP_1) | instid1(VALU_DEP_1)
	v_pk_fma_f32 v[138:139], v[136:137], v[124:125], v[134:135] op_sel:[0,0,1] op_sel_hi:[1,1,0] neg_lo:[0,0,1] neg_hi:[0,0,1]
	v_pk_fma_f32 v[134:135], v[136:137], v[124:125], v[134:135] op_sel:[0,0,1] op_sel_hi:[1,0,0]
	v_mov_b32_e32 v139, v135
	ds_load_2addr_b64 v[134:137], v128 offset0:57 offset1:58
	v_pk_add_f32 v[90:91], v[90:91], v[140:141] neg_lo:[0,1] neg_hi:[0,1]
	v_pk_add_f32 v[104:105], v[104:105], v[138:139] neg_lo:[0,1] neg_hi:[0,1]
	s_wait_dscnt 0x0
	v_dual_mul_f32 v138, v135, v127 :: v_dual_mul_f32 v140, v135, v124
	v_pk_mul_f32 v[126:127], v[136:137], v[126:127] op_sel:[0,1]
	s_delay_alu instid0(VALU_DEP_2) | instskip(NEXT) | instid1(VALU_DEP_3)
	v_pk_fma_f32 v[138:139], v[134:135], v[24:25], v[138:139] op_sel_hi:[1,1,0] neg_lo:[0,0,1] neg_hi:[0,0,1]
	v_pk_fma_f32 v[134:135], v[134:135], v[24:25], v[140:141] op_sel:[1,0,0] op_sel_hi:[0,1,0]
	s_delay_alu instid0(VALU_DEP_1) | instskip(NEXT) | instid1(VALU_DEP_4)
	v_mov_b32_e32 v139, v135
	v_pk_fma_f32 v[134:135], v[136:137], v[124:125], v[126:127] op_sel:[0,0,1] op_sel_hi:[1,1,0] neg_lo:[0,0,1] neg_hi:[0,0,1]
	v_pk_fma_f32 v[124:125], v[136:137], v[124:125], v[126:127] op_sel:[0,0,1] op_sel_hi:[1,0,0]
	s_delay_alu instid0(VALU_DEP_1) | instskip(NEXT) | instid1(VALU_DEP_4)
	v_mov_b32_e32 v135, v125
	v_pk_add_f32 v[98:99], v[98:99], v[138:139] neg_lo:[0,1] neg_hi:[0,1]
	s_delay_alu instid0(VALU_DEP_2)
	v_pk_add_f32 v[122:123], v[122:123], v[134:135] neg_lo:[0,1] neg_hi:[0,1]
.LBB116_188:
	s_or_b32 exec_lo, exec_lo, s0
	v_lshl_add_u32 v124, v132, 3, v128
	s_barrier_signal -1
	s_barrier_wait -1
	ds_store_b64 v124, v[22:23]
	s_wait_dscnt 0x0
	s_barrier_signal -1
	s_barrier_wait -1
	ds_load_b64 v[126:127], v128 offset:72
	v_mov_b32_e32 v124, 9
	s_cmp_lt_i32 s18, 11
	s_cbranch_scc1 .LBB116_191
; %bb.189:
	v_add3_u32 v125, v129, 0, 0x50
	v_mov_b32_e32 v124, 9
	s_mov_b32 s0, 10
.LBB116_190:                            ; =>This Inner Loop Header: Depth=1
	ds_load_b64 v[134:135], v125
	s_wait_dscnt 0x1
	v_cmp_gt_f32_e32 vcc_lo, 0, v126
	v_cndmask_b32_e64 v136, v126, -v126, vcc_lo
	v_cmp_gt_f32_e32 vcc_lo, 0, v127
	v_cndmask_b32_e64 v138, v127, -v127, vcc_lo
	s_wait_dscnt 0x0
	v_cmp_gt_f32_e32 vcc_lo, 0, v134
	v_cndmask_b32_e64 v137, v134, -v134, vcc_lo
	v_cmp_gt_f32_e32 vcc_lo, 0, v135
	v_cndmask_b32_e64 v139, v135, -v135, vcc_lo
	s_delay_alu instid0(VALU_DEP_1) | instskip(NEXT) | instid1(VALU_DEP_1)
	v_pk_add_f32 v[136:137], v[136:137], v[138:139]
	v_cmp_lt_f32_e32 vcc_lo, v136, v137
	v_dual_add_nc_u32 v125, 8, v125 :: v_dual_cndmask_b32 v127, v127, v135, vcc_lo
	v_cndmask_b32_e32 v126, v126, v134, vcc_lo
	v_cndmask_b32_e64 v124, v124, s0, vcc_lo
	s_add_co_i32 s0, s0, 1
	s_delay_alu instid0(SALU_CYCLE_1)
	s_cmp_lg_u32 s18, s0
	s_cbranch_scc1 .LBB116_190
.LBB116_191:
	s_wait_dscnt 0x0
	v_cmp_eq_f32_e32 vcc_lo, 0, v126
	v_cmp_eq_f32_e64 s0, 0, v127
	s_and_b32 s0, vcc_lo, s0
	s_delay_alu instid0(SALU_CYCLE_1) | instskip(NEXT) | instid1(SALU_CYCLE_1)
	s_and_saveexec_b32 s1, s0
	s_xor_b32 s0, exec_lo, s1
; %bb.192:
	v_cmp_ne_u32_e32 vcc_lo, 0, v130
	v_cndmask_b32_e32 v130, 10, v130, vcc_lo
; %bb.193:
	s_and_not1_saveexec_b32 s0, s0
	s_cbranch_execz .LBB116_199
; %bb.194:
	v_cmp_ngt_f32_e64 s1, |v126|, |v127|
	s_and_saveexec_b32 s12, s1
	s_delay_alu instid0(SALU_CYCLE_1)
	s_xor_b32 s1, exec_lo, s12
	s_cbranch_execz .LBB116_196
; %bb.195:
	v_div_scale_f32 v125, null, v127, v127, v126
	v_div_scale_f32 v135, vcc_lo, v126, v127, v126
	s_delay_alu instid0(VALU_DEP_2) | instskip(SKIP_1) | instid1(TRANS32_DEP_1)
	v_rcp_f32_e32 v133, v125
	v_nop
	v_fma_f32 v134, -v125, v133, 1.0
	s_delay_alu instid0(VALU_DEP_1) | instskip(NEXT) | instid1(VALU_DEP_1)
	v_fmac_f32_e32 v133, v134, v133
	v_mul_f32_e32 v134, v135, v133
	s_delay_alu instid0(VALU_DEP_1) | instskip(NEXT) | instid1(VALU_DEP_1)
	v_fma_f32 v136, -v125, v134, v135
	v_fmac_f32_e32 v134, v136, v133
	s_delay_alu instid0(VALU_DEP_1) | instskip(NEXT) | instid1(VALU_DEP_1)
	v_fma_f32 v125, -v125, v134, v135
	v_div_fmas_f32 v125, v125, v133, v134
	s_delay_alu instid0(VALU_DEP_1) | instskip(NEXT) | instid1(VALU_DEP_1)
	v_div_fixup_f32 v125, v125, v127, v126
	v_fmac_f32_e32 v127, v126, v125
	s_delay_alu instid0(VALU_DEP_1) | instskip(SKIP_1) | instid1(VALU_DEP_2)
	v_div_scale_f32 v126, null, v127, v127, 1.0
	v_div_scale_f32 v135, vcc_lo, 1.0, v127, 1.0
	v_rcp_f32_e32 v133, v126
	v_nop
	s_delay_alu instid0(TRANS32_DEP_1) | instskip(NEXT) | instid1(VALU_DEP_1)
	v_fma_f32 v134, -v126, v133, 1.0
	v_fmac_f32_e32 v133, v134, v133
	s_delay_alu instid0(VALU_DEP_1) | instskip(NEXT) | instid1(VALU_DEP_1)
	v_mul_f32_e32 v134, v135, v133
	v_fma_f32 v136, -v126, v134, v135
	s_delay_alu instid0(VALU_DEP_1) | instskip(NEXT) | instid1(VALU_DEP_1)
	v_fmac_f32_e32 v134, v136, v133
	v_fma_f32 v126, -v126, v134, v135
	s_delay_alu instid0(VALU_DEP_1) | instskip(NEXT) | instid1(VALU_DEP_1)
	v_div_fmas_f32 v126, v126, v133, v134
	v_div_fixup_f32 v127, v126, v127, 1.0
	s_delay_alu instid0(VALU_DEP_1)
	v_mul_f32_e32 v126, v125, v127
	v_xor_b32_e32 v127, 0x80000000, v127
.LBB116_196:
	s_and_not1_saveexec_b32 s1, s1
	s_cbranch_execz .LBB116_198
; %bb.197:
	s_delay_alu instid0(VALU_DEP_1) | instskip(SKIP_1) | instid1(VALU_DEP_2)
	v_div_scale_f32 v125, null, v126, v126, v127
	v_div_scale_f32 v135, vcc_lo, v127, v126, v127
	v_rcp_f32_e32 v133, v125
	v_nop
	s_delay_alu instid0(TRANS32_DEP_1) | instskip(NEXT) | instid1(VALU_DEP_1)
	v_fma_f32 v134, -v125, v133, 1.0
	v_fmac_f32_e32 v133, v134, v133
	s_delay_alu instid0(VALU_DEP_1) | instskip(NEXT) | instid1(VALU_DEP_1)
	v_mul_f32_e32 v134, v135, v133
	v_fma_f32 v136, -v125, v134, v135
	s_delay_alu instid0(VALU_DEP_1) | instskip(NEXT) | instid1(VALU_DEP_1)
	v_fmac_f32_e32 v134, v136, v133
	v_fma_f32 v125, -v125, v134, v135
	s_delay_alu instid0(VALU_DEP_1) | instskip(NEXT) | instid1(VALU_DEP_1)
	v_div_fmas_f32 v125, v125, v133, v134
	v_div_fixup_f32 v125, v125, v126, v127
	s_delay_alu instid0(VALU_DEP_1) | instskip(NEXT) | instid1(VALU_DEP_1)
	v_fmac_f32_e32 v126, v127, v125
	v_div_scale_f32 v127, null, v126, v126, 1.0
	s_delay_alu instid0(VALU_DEP_1) | instskip(SKIP_1) | instid1(TRANS32_DEP_1)
	v_rcp_f32_e32 v133, v127
	v_nop
	v_fma_f32 v134, -v127, v133, 1.0
	s_delay_alu instid0(VALU_DEP_1) | instskip(SKIP_1) | instid1(VALU_DEP_1)
	v_fmac_f32_e32 v133, v134, v133
	v_div_scale_f32 v134, vcc_lo, 1.0, v126, 1.0
	v_mul_f32_e32 v135, v134, v133
	s_delay_alu instid0(VALU_DEP_1) | instskip(NEXT) | instid1(VALU_DEP_1)
	v_fma_f32 v136, -v127, v135, v134
	v_fmac_f32_e32 v135, v136, v133
	s_delay_alu instid0(VALU_DEP_1) | instskip(NEXT) | instid1(VALU_DEP_1)
	v_fma_f32 v127, -v127, v135, v134
	v_div_fmas_f32 v127, v127, v133, v135
	s_delay_alu instid0(VALU_DEP_1) | instskip(NEXT) | instid1(VALU_DEP_1)
	v_div_fixup_f32 v126, v127, v126, 1.0
	v_mul_f32_e64 v127, v125, -v126
.LBB116_198:
	s_or_b32 exec_lo, exec_lo, s1
.LBB116_199:
	s_delay_alu instid0(SALU_CYCLE_1) | instskip(NEXT) | instid1(SALU_CYCLE_1)
	s_or_b32 exec_lo, exec_lo, s0
	s_mov_b32 s0, exec_lo
	v_cmpx_ne_u32_e64 v132, v124
	s_xor_b32 s0, exec_lo, s0
	s_cbranch_execz .LBB116_205
; %bb.200:
	s_mov_b32 s1, exec_lo
	v_cmpx_eq_u32_e32 9, v132
	s_cbranch_execz .LBB116_204
; %bb.201:
	v_cmp_ne_u32_e32 vcc_lo, 9, v124
	s_xor_b32 s12, s16, -1
	s_delay_alu instid0(SALU_CYCLE_1) | instskip(NEXT) | instid1(SALU_CYCLE_1)
	s_and_b32 s13, s12, vcc_lo
	s_and_saveexec_b32 s12, s13
	s_cbranch_execz .LBB116_203
; %bb.202:
	v_ashrrev_i32_e32 v125, 31, v124
	s_delay_alu instid0(VALU_DEP_1)
	v_lshl_add_u64 v[132:133], v[124:125], 2, v[4:5]
	s_clause 0x1
	global_load_b32 v125, v[132:133], off
	global_load_b32 v131, v[4:5], off offset:36
	s_wait_loadcnt 0x1
	global_store_b32 v[4:5], v125, off offset:36
	s_wait_loadcnt 0x0
	global_store_b32 v[132:133], v131, off
.LBB116_203:
	s_wait_xcnt 0x0
	s_or_b32 exec_lo, exec_lo, s12
	v_dual_mov_b32 v132, v124 :: v_dual_mov_b32 v131, v124
.LBB116_204:
	s_or_b32 exec_lo, exec_lo, s1
.LBB116_205:
	s_and_not1_saveexec_b32 s0, s0
	s_cbranch_execz .LBB116_207
; %bb.206:
	v_dual_mov_b32 v124, v8 :: v_dual_mov_b32 v125, v9
	v_dual_mov_b32 v132, v6 :: v_dual_mov_b32 v133, v7
	ds_store_2addr_b64 v128, v[124:125], v[132:133] offset0:10 offset1:11
	v_dual_mov_b32 v124, v34 :: v_dual_mov_b32 v125, v35
	v_dual_mov_b32 v132, v32 :: v_dual_mov_b32 v133, v33
	ds_store_2addr_b64 v128, v[124:125], v[132:133] offset0:12 offset1:13
	;; [unrolled: 3-line block ×24, first 2 shown]
	ds_store_b64 v128, v[122:123] offset:464
	v_mov_b32_e32 v132, 9
.LBB116_207:
	s_or_b32 exec_lo, exec_lo, s0
	s_delay_alu instid0(SALU_CYCLE_1)
	s_mov_b32 s0, exec_lo
	s_wait_storecnt_dscnt 0x0
	s_barrier_signal -1
	s_barrier_wait -1
	v_cmpx_lt_i32_e32 9, v132
	s_cbranch_execz .LBB116_209
; %bb.208:
	v_pk_mul_f32 v[134:135], v[126:127], v[22:23] op_sel:[1,1] op_sel_hi:[0,1]
	s_delay_alu instid0(VALU_DEP_1)
	v_pk_fma_f32 v[124:125], v[126:127], v[22:23], v[134:135] op_sel_hi:[1,0,1] neg_lo:[0,0,1] neg_hi:[0,0,1]
	v_pk_fma_f32 v[126:127], v[126:127], v[22:23], v[134:135] op_sel_hi:[1,0,1]
	ds_load_2addr_b64 v[134:137], v128 offset0:10 offset1:11
	v_dual_mov_b32 v22, v124 :: v_dual_mov_b32 v23, v127
	s_wait_dscnt 0x0
	v_pk_mul_f32 v[138:139], v[134:135], v[126:127] op_sel:[0,1]
	s_delay_alu instid0(VALU_DEP_1) | instskip(SKIP_1) | instid1(VALU_DEP_1)
	v_pk_fma_f32 v[140:141], v[134:135], v[124:125], v[138:139] op_sel:[0,0,1] op_sel_hi:[1,1,0] neg_lo:[0,0,1] neg_hi:[0,0,1]
	v_pk_fma_f32 v[134:135], v[134:135], v[124:125], v[138:139] op_sel:[0,0,1] op_sel_hi:[1,0,0]
	v_mov_b32_e32 v141, v135
	v_pk_mul_f32 v[134:135], v[136:137], v[126:127] op_sel:[0,1]
	s_delay_alu instid0(VALU_DEP_1) | instskip(SKIP_1) | instid1(VALU_DEP_1)
	v_pk_fma_f32 v[138:139], v[136:137], v[124:125], v[134:135] op_sel:[0,0,1] op_sel_hi:[1,1,0] neg_lo:[0,0,1] neg_hi:[0,0,1]
	v_pk_fma_f32 v[134:135], v[136:137], v[124:125], v[134:135] op_sel:[0,0,1] op_sel_hi:[1,0,0]
	v_mov_b32_e32 v139, v135
	ds_load_2addr_b64 v[134:137], v128 offset0:12 offset1:13
	v_pk_add_f32 v[8:9], v[8:9], v[140:141] neg_lo:[0,1] neg_hi:[0,1]
	v_pk_add_f32 v[6:7], v[6:7], v[138:139] neg_lo:[0,1] neg_hi:[0,1]
	s_wait_dscnt 0x0
	v_pk_mul_f32 v[138:139], v[134:135], v[126:127] op_sel:[0,1]
	s_delay_alu instid0(VALU_DEP_1) | instskip(SKIP_2) | instid1(VALU_DEP_2)
	v_pk_fma_f32 v[140:141], v[134:135], v[124:125], v[138:139] op_sel:[0,0,1] op_sel_hi:[1,1,0] neg_lo:[0,0,1] neg_hi:[0,0,1]
	v_pk_fma_f32 v[134:135], v[134:135], v[124:125], v[138:139] op_sel:[0,0,1] op_sel_hi:[1,0,0]
	v_dual_mul_f32 v138, v137, v127 :: v_dual_mov_b32 v134, v137
	v_dual_mov_b32 v141, v135 :: v_dual_mov_b32 v135, v136
	s_delay_alu instid0(VALU_DEP_2) | instskip(SKIP_1) | instid1(VALU_DEP_3)
	v_pk_fma_f32 v[138:139], v[136:137], v[22:23], v[138:139] op_sel_hi:[1,1,0] neg_lo:[0,0,1] neg_hi:[0,0,1]
	v_mul_f32_e32 v136, v137, v124
	v_pk_add_f32 v[34:35], v[34:35], v[140:141] neg_lo:[0,1] neg_hi:[0,1]
	s_delay_alu instid0(VALU_DEP_2) | instskip(NEXT) | instid1(VALU_DEP_1)
	v_pk_fma_f32 v[134:135], v[134:135], v[22:23], v[136:137] op_sel_hi:[1,1,0]
	v_mov_b32_e32 v139, v135
	ds_load_2addr_b64 v[134:137], v128 offset0:14 offset1:15
	v_pk_add_f32 v[32:33], v[32:33], v[138:139] neg_lo:[0,1] neg_hi:[0,1]
	s_wait_dscnt 0x0
	v_pk_mul_f32 v[138:139], v[134:135], v[126:127] op_sel:[0,1]
	s_delay_alu instid0(VALU_DEP_1) | instskip(SKIP_1) | instid1(VALU_DEP_1)
	v_pk_fma_f32 v[140:141], v[134:135], v[124:125], v[138:139] op_sel:[0,0,1] op_sel_hi:[1,1,0] neg_lo:[0,0,1] neg_hi:[0,0,1]
	v_pk_fma_f32 v[134:135], v[134:135], v[124:125], v[138:139] op_sel:[0,0,1] op_sel_hi:[1,0,0]
	v_mov_b32_e32 v141, v135
	v_pk_mul_f32 v[134:135], v[136:137], v[126:127] op_sel:[0,1]
	s_delay_alu instid0(VALU_DEP_1) | instskip(SKIP_1) | instid1(VALU_DEP_1)
	v_pk_fma_f32 v[138:139], v[136:137], v[124:125], v[134:135] op_sel:[0,0,1] op_sel_hi:[1,1,0] neg_lo:[0,0,1] neg_hi:[0,0,1]
	v_pk_fma_f32 v[134:135], v[136:137], v[124:125], v[134:135] op_sel:[0,0,1] op_sel_hi:[1,0,0]
	v_mov_b32_e32 v139, v135
	ds_load_2addr_b64 v[134:137], v128 offset0:16 offset1:17
	v_pk_add_f32 v[14:15], v[14:15], v[140:141] neg_lo:[0,1] neg_hi:[0,1]
	v_pk_add_f32 v[12:13], v[12:13], v[138:139] neg_lo:[0,1] neg_hi:[0,1]
	s_wait_dscnt 0x0
	v_pk_mul_f32 v[138:139], v[134:135], v[126:127] op_sel:[0,1]
	s_delay_alu instid0(VALU_DEP_1) | instskip(SKIP_1) | instid1(VALU_DEP_1)
	v_pk_fma_f32 v[140:141], v[134:135], v[124:125], v[138:139] op_sel:[0,0,1] op_sel_hi:[1,1,0] neg_lo:[0,0,1] neg_hi:[0,0,1]
	v_pk_fma_f32 v[134:135], v[134:135], v[124:125], v[138:139] op_sel:[0,0,1] op_sel_hi:[1,0,0]
	v_mov_b32_e32 v141, v135
	v_pk_mul_f32 v[134:135], v[136:137], v[126:127] op_sel:[0,1]
	s_delay_alu instid0(VALU_DEP_1) | instskip(SKIP_1) | instid1(VALU_DEP_1)
	v_pk_fma_f32 v[138:139], v[136:137], v[124:125], v[134:135] op_sel:[0,0,1] op_sel_hi:[1,1,0] neg_lo:[0,0,1] neg_hi:[0,0,1]
	v_pk_fma_f32 v[134:135], v[136:137], v[124:125], v[134:135] op_sel:[0,0,1] op_sel_hi:[1,0,0]
	v_mov_b32_e32 v139, v135
	ds_load_2addr_b64 v[134:137], v128 offset0:18 offset1:19
	v_pk_add_f32 v[44:45], v[44:45], v[140:141] neg_lo:[0,1] neg_hi:[0,1]
	v_pk_add_f32 v[42:43], v[42:43], v[138:139] neg_lo:[0,1] neg_hi:[0,1]
	s_wait_dscnt 0x0
	v_dual_mul_f32 v138, v135, v127 :: v_dual_mul_f32 v140, v135, v124
	s_delay_alu instid0(VALU_DEP_1) | instskip(NEXT) | instid1(VALU_DEP_2)
	v_pk_fma_f32 v[138:139], v[134:135], v[22:23], v[138:139] op_sel_hi:[1,1,0] neg_lo:[0,0,1] neg_hi:[0,0,1]
	v_pk_fma_f32 v[134:135], v[134:135], v[22:23], v[140:141] op_sel:[1,0,0] op_sel_hi:[0,1,0]
	s_delay_alu instid0(VALU_DEP_1) | instskip(SKIP_1) | instid1(VALU_DEP_2)
	v_mov_b32_e32 v139, v135
	v_pk_mul_f32 v[134:135], v[136:137], v[126:127] op_sel:[0,1]
	v_pk_add_f32 v[20:21], v[20:21], v[138:139] neg_lo:[0,1] neg_hi:[0,1]
	s_delay_alu instid0(VALU_DEP_2) | instskip(SKIP_1) | instid1(VALU_DEP_1)
	v_pk_fma_f32 v[138:139], v[136:137], v[124:125], v[134:135] op_sel:[0,0,1] op_sel_hi:[1,1,0] neg_lo:[0,0,1] neg_hi:[0,0,1]
	v_pk_fma_f32 v[134:135], v[136:137], v[124:125], v[134:135] op_sel:[0,0,1] op_sel_hi:[1,0,0]
	v_mov_b32_e32 v139, v135
	ds_load_2addr_b64 v[134:137], v128 offset0:20 offset1:21
	v_pk_add_f32 v[18:19], v[18:19], v[138:139] neg_lo:[0,1] neg_hi:[0,1]
	s_wait_dscnt 0x0
	v_pk_mul_f32 v[138:139], v[134:135], v[126:127] op_sel:[0,1]
	s_delay_alu instid0(VALU_DEP_1) | instskip(SKIP_1) | instid1(VALU_DEP_1)
	v_pk_fma_f32 v[140:141], v[134:135], v[124:125], v[138:139] op_sel:[0,0,1] op_sel_hi:[1,1,0] neg_lo:[0,0,1] neg_hi:[0,0,1]
	v_pk_fma_f32 v[134:135], v[134:135], v[124:125], v[138:139] op_sel:[0,0,1] op_sel_hi:[1,0,0]
	v_mov_b32_e32 v141, v135
	v_pk_mul_f32 v[134:135], v[136:137], v[126:127] op_sel:[0,1]
	s_delay_alu instid0(VALU_DEP_2) | instskip(NEXT) | instid1(VALU_DEP_2)
	v_pk_add_f32 v[52:53], v[52:53], v[140:141] neg_lo:[0,1] neg_hi:[0,1]
	v_pk_fma_f32 v[138:139], v[136:137], v[124:125], v[134:135] op_sel:[0,0,1] op_sel_hi:[1,1,0] neg_lo:[0,0,1] neg_hi:[0,0,1]
	v_pk_fma_f32 v[134:135], v[136:137], v[124:125], v[134:135] op_sel:[0,0,1] op_sel_hi:[1,0,0]
	s_delay_alu instid0(VALU_DEP_1) | instskip(SKIP_4) | instid1(VALU_DEP_1)
	v_mov_b32_e32 v139, v135
	ds_load_2addr_b64 v[134:137], v128 offset0:22 offset1:23
	v_pk_add_f32 v[50:51], v[50:51], v[138:139] neg_lo:[0,1] neg_hi:[0,1]
	s_wait_dscnt 0x0
	v_pk_mul_f32 v[138:139], v[134:135], v[126:127] op_sel:[0,1]
	v_pk_fma_f32 v[140:141], v[134:135], v[124:125], v[138:139] op_sel:[0,0,1] op_sel_hi:[1,1,0] neg_lo:[0,0,1] neg_hi:[0,0,1]
	v_pk_fma_f32 v[134:135], v[134:135], v[124:125], v[138:139] op_sel:[0,0,1] op_sel_hi:[1,0,0]
	v_dual_mul_f32 v138, v137, v127 :: v_dual_mov_b32 v134, v137
	s_delay_alu instid0(VALU_DEP_2) | instskip(NEXT) | instid1(VALU_DEP_2)
	v_dual_mov_b32 v141, v135 :: v_dual_mov_b32 v135, v136
	v_pk_fma_f32 v[138:139], v[136:137], v[22:23], v[138:139] op_sel_hi:[1,1,0] neg_lo:[0,0,1] neg_hi:[0,0,1]
	v_mul_f32_e32 v136, v137, v124
	s_delay_alu instid0(VALU_DEP_3) | instskip(NEXT) | instid1(VALU_DEP_2)
	v_pk_add_f32 v[28:29], v[28:29], v[140:141] neg_lo:[0,1] neg_hi:[0,1]
	v_pk_fma_f32 v[134:135], v[134:135], v[22:23], v[136:137] op_sel_hi:[1,1,0]
	s_delay_alu instid0(VALU_DEP_1) | instskip(SKIP_4) | instid1(VALU_DEP_1)
	v_mov_b32_e32 v139, v135
	ds_load_2addr_b64 v[134:137], v128 offset0:24 offset1:25
	v_pk_add_f32 v[26:27], v[26:27], v[138:139] neg_lo:[0,1] neg_hi:[0,1]
	s_wait_dscnt 0x0
	v_pk_mul_f32 v[138:139], v[134:135], v[126:127] op_sel:[0,1]
	v_pk_fma_f32 v[140:141], v[134:135], v[124:125], v[138:139] op_sel:[0,0,1] op_sel_hi:[1,1,0] neg_lo:[0,0,1] neg_hi:[0,0,1]
	v_pk_fma_f32 v[134:135], v[134:135], v[124:125], v[138:139] op_sel:[0,0,1] op_sel_hi:[1,0,0]
	s_delay_alu instid0(VALU_DEP_1) | instskip(SKIP_1) | instid1(VALU_DEP_1)
	v_mov_b32_e32 v141, v135
	v_pk_mul_f32 v[134:135], v[136:137], v[126:127] op_sel:[0,1]
	v_pk_fma_f32 v[138:139], v[136:137], v[124:125], v[134:135] op_sel:[0,0,1] op_sel_hi:[1,1,0] neg_lo:[0,0,1] neg_hi:[0,0,1]
	v_pk_fma_f32 v[134:135], v[136:137], v[124:125], v[134:135] op_sel:[0,0,1] op_sel_hi:[1,0,0]
	s_delay_alu instid0(VALU_DEP_1)
	v_mov_b32_e32 v139, v135
	ds_load_2addr_b64 v[134:137], v128 offset0:26 offset1:27
	v_pk_add_f32 v[60:61], v[60:61], v[140:141] neg_lo:[0,1] neg_hi:[0,1]
	v_pk_add_f32 v[58:59], v[58:59], v[138:139] neg_lo:[0,1] neg_hi:[0,1]
	s_wait_dscnt 0x0
	v_pk_mul_f32 v[138:139], v[134:135], v[126:127] op_sel:[0,1]
	s_delay_alu instid0(VALU_DEP_1) | instskip(SKIP_1) | instid1(VALU_DEP_1)
	v_pk_fma_f32 v[140:141], v[134:135], v[124:125], v[138:139] op_sel:[0,0,1] op_sel_hi:[1,1,0] neg_lo:[0,0,1] neg_hi:[0,0,1]
	v_pk_fma_f32 v[134:135], v[134:135], v[124:125], v[138:139] op_sel:[0,0,1] op_sel_hi:[1,0,0]
	v_mov_b32_e32 v141, v135
	v_pk_mul_f32 v[134:135], v[136:137], v[126:127] op_sel:[0,1]
	s_delay_alu instid0(VALU_DEP_1) | instskip(SKIP_1) | instid1(VALU_DEP_1)
	v_pk_fma_f32 v[138:139], v[136:137], v[124:125], v[134:135] op_sel:[0,0,1] op_sel_hi:[1,1,0] neg_lo:[0,0,1] neg_hi:[0,0,1]
	v_pk_fma_f32 v[134:135], v[136:137], v[124:125], v[134:135] op_sel:[0,0,1] op_sel_hi:[1,0,0]
	v_mov_b32_e32 v139, v135
	ds_load_2addr_b64 v[134:137], v128 offset0:28 offset1:29
	v_pk_add_f32 v[38:39], v[38:39], v[140:141] neg_lo:[0,1] neg_hi:[0,1]
	v_pk_add_f32 v[36:37], v[36:37], v[138:139] neg_lo:[0,1] neg_hi:[0,1]
	s_wait_dscnt 0x0
	v_dual_mul_f32 v138, v135, v127 :: v_dual_mul_f32 v140, v135, v124
	s_delay_alu instid0(VALU_DEP_1) | instskip(NEXT) | instid1(VALU_DEP_2)
	v_pk_fma_f32 v[138:139], v[134:135], v[22:23], v[138:139] op_sel_hi:[1,1,0] neg_lo:[0,0,1] neg_hi:[0,0,1]
	v_pk_fma_f32 v[134:135], v[134:135], v[22:23], v[140:141] op_sel:[1,0,0] op_sel_hi:[0,1,0]
	s_delay_alu instid0(VALU_DEP_1) | instskip(SKIP_1) | instid1(VALU_DEP_2)
	v_mov_b32_e32 v139, v135
	v_pk_mul_f32 v[134:135], v[136:137], v[126:127] op_sel:[0,1]
	v_pk_add_f32 v[68:69], v[68:69], v[138:139] neg_lo:[0,1] neg_hi:[0,1]
	s_delay_alu instid0(VALU_DEP_2) | instskip(SKIP_1) | instid1(VALU_DEP_1)
	v_pk_fma_f32 v[138:139], v[136:137], v[124:125], v[134:135] op_sel:[0,0,1] op_sel_hi:[1,1,0] neg_lo:[0,0,1] neg_hi:[0,0,1]
	v_pk_fma_f32 v[134:135], v[136:137], v[124:125], v[134:135] op_sel:[0,0,1] op_sel_hi:[1,0,0]
	v_mov_b32_e32 v139, v135
	ds_load_2addr_b64 v[134:137], v128 offset0:30 offset1:31
	v_pk_add_f32 v[66:67], v[66:67], v[138:139] neg_lo:[0,1] neg_hi:[0,1]
	s_wait_dscnt 0x0
	v_pk_mul_f32 v[138:139], v[134:135], v[126:127] op_sel:[0,1]
	s_delay_alu instid0(VALU_DEP_1) | instskip(SKIP_1) | instid1(VALU_DEP_1)
	v_pk_fma_f32 v[140:141], v[134:135], v[124:125], v[138:139] op_sel:[0,0,1] op_sel_hi:[1,1,0] neg_lo:[0,0,1] neg_hi:[0,0,1]
	v_pk_fma_f32 v[134:135], v[134:135], v[124:125], v[138:139] op_sel:[0,0,1] op_sel_hi:[1,0,0]
	v_mov_b32_e32 v141, v135
	v_pk_mul_f32 v[134:135], v[136:137], v[126:127] op_sel:[0,1]
	s_delay_alu instid0(VALU_DEP_2) | instskip(NEXT) | instid1(VALU_DEP_2)
	v_pk_add_f32 v[48:49], v[48:49], v[140:141] neg_lo:[0,1] neg_hi:[0,1]
	v_pk_fma_f32 v[138:139], v[136:137], v[124:125], v[134:135] op_sel:[0,0,1] op_sel_hi:[1,1,0] neg_lo:[0,0,1] neg_hi:[0,0,1]
	v_pk_fma_f32 v[134:135], v[136:137], v[124:125], v[134:135] op_sel:[0,0,1] op_sel_hi:[1,0,0]
	s_delay_alu instid0(VALU_DEP_1) | instskip(SKIP_4) | instid1(VALU_DEP_1)
	v_mov_b32_e32 v139, v135
	ds_load_2addr_b64 v[134:137], v128 offset0:32 offset1:33
	v_pk_add_f32 v[46:47], v[46:47], v[138:139] neg_lo:[0,1] neg_hi:[0,1]
	s_wait_dscnt 0x0
	v_pk_mul_f32 v[138:139], v[134:135], v[126:127] op_sel:[0,1]
	v_pk_fma_f32 v[140:141], v[134:135], v[124:125], v[138:139] op_sel:[0,0,1] op_sel_hi:[1,1,0] neg_lo:[0,0,1] neg_hi:[0,0,1]
	v_pk_fma_f32 v[134:135], v[134:135], v[124:125], v[138:139] op_sel:[0,0,1] op_sel_hi:[1,0,0]
	v_dual_mul_f32 v138, v137, v127 :: v_dual_mov_b32 v134, v137
	s_delay_alu instid0(VALU_DEP_2) | instskip(NEXT) | instid1(VALU_DEP_2)
	v_dual_mov_b32 v141, v135 :: v_dual_mov_b32 v135, v136
	v_pk_fma_f32 v[138:139], v[136:137], v[22:23], v[138:139] op_sel_hi:[1,1,0] neg_lo:[0,0,1] neg_hi:[0,0,1]
	v_mul_f32_e32 v136, v137, v124
	s_delay_alu instid0(VALU_DEP_3) | instskip(NEXT) | instid1(VALU_DEP_2)
	v_pk_add_f32 v[78:79], v[78:79], v[140:141] neg_lo:[0,1] neg_hi:[0,1]
	v_pk_fma_f32 v[134:135], v[134:135], v[22:23], v[136:137] op_sel_hi:[1,1,0]
	s_delay_alu instid0(VALU_DEP_1) | instskip(SKIP_4) | instid1(VALU_DEP_1)
	v_mov_b32_e32 v139, v135
	ds_load_2addr_b64 v[134:137], v128 offset0:34 offset1:35
	v_pk_add_f32 v[76:77], v[76:77], v[138:139] neg_lo:[0,1] neg_hi:[0,1]
	s_wait_dscnt 0x0
	v_pk_mul_f32 v[138:139], v[134:135], v[126:127] op_sel:[0,1]
	v_pk_fma_f32 v[140:141], v[134:135], v[124:125], v[138:139] op_sel:[0,0,1] op_sel_hi:[1,1,0] neg_lo:[0,0,1] neg_hi:[0,0,1]
	v_pk_fma_f32 v[134:135], v[134:135], v[124:125], v[138:139] op_sel:[0,0,1] op_sel_hi:[1,0,0]
	s_delay_alu instid0(VALU_DEP_1) | instskip(SKIP_1) | instid1(VALU_DEP_1)
	v_mov_b32_e32 v141, v135
	v_pk_mul_f32 v[134:135], v[136:137], v[126:127] op_sel:[0,1]
	v_pk_fma_f32 v[138:139], v[136:137], v[124:125], v[134:135] op_sel:[0,0,1] op_sel_hi:[1,1,0] neg_lo:[0,0,1] neg_hi:[0,0,1]
	v_pk_fma_f32 v[134:135], v[136:137], v[124:125], v[134:135] op_sel:[0,0,1] op_sel_hi:[1,0,0]
	s_delay_alu instid0(VALU_DEP_1)
	v_mov_b32_e32 v139, v135
	ds_load_2addr_b64 v[134:137], v128 offset0:36 offset1:37
	v_pk_add_f32 v[56:57], v[56:57], v[140:141] neg_lo:[0,1] neg_hi:[0,1]
	v_pk_add_f32 v[54:55], v[54:55], v[138:139] neg_lo:[0,1] neg_hi:[0,1]
	s_wait_dscnt 0x0
	v_pk_mul_f32 v[138:139], v[134:135], v[126:127] op_sel:[0,1]
	s_delay_alu instid0(VALU_DEP_1) | instskip(SKIP_1) | instid1(VALU_DEP_1)
	v_pk_fma_f32 v[140:141], v[134:135], v[124:125], v[138:139] op_sel:[0,0,1] op_sel_hi:[1,1,0] neg_lo:[0,0,1] neg_hi:[0,0,1]
	v_pk_fma_f32 v[134:135], v[134:135], v[124:125], v[138:139] op_sel:[0,0,1] op_sel_hi:[1,0,0]
	v_mov_b32_e32 v141, v135
	v_pk_mul_f32 v[134:135], v[136:137], v[126:127] op_sel:[0,1]
	s_delay_alu instid0(VALU_DEP_1) | instskip(SKIP_1) | instid1(VALU_DEP_1)
	v_pk_fma_f32 v[138:139], v[136:137], v[124:125], v[134:135] op_sel:[0,0,1] op_sel_hi:[1,1,0] neg_lo:[0,0,1] neg_hi:[0,0,1]
	v_pk_fma_f32 v[134:135], v[136:137], v[124:125], v[134:135] op_sel:[0,0,1] op_sel_hi:[1,0,0]
	v_mov_b32_e32 v139, v135
	ds_load_2addr_b64 v[134:137], v128 offset0:38 offset1:39
	v_pk_add_f32 v[88:89], v[88:89], v[140:141] neg_lo:[0,1] neg_hi:[0,1]
	v_pk_add_f32 v[86:87], v[86:87], v[138:139] neg_lo:[0,1] neg_hi:[0,1]
	s_wait_dscnt 0x0
	v_dual_mul_f32 v138, v135, v127 :: v_dual_mul_f32 v140, v135, v124
	s_delay_alu instid0(VALU_DEP_1) | instskip(NEXT) | instid1(VALU_DEP_2)
	v_pk_fma_f32 v[138:139], v[134:135], v[22:23], v[138:139] op_sel_hi:[1,1,0] neg_lo:[0,0,1] neg_hi:[0,0,1]
	v_pk_fma_f32 v[134:135], v[134:135], v[22:23], v[140:141] op_sel:[1,0,0] op_sel_hi:[0,1,0]
	s_delay_alu instid0(VALU_DEP_1) | instskip(SKIP_1) | instid1(VALU_DEP_2)
	v_mov_b32_e32 v139, v135
	v_pk_mul_f32 v[134:135], v[136:137], v[126:127] op_sel:[0,1]
	v_pk_add_f32 v[64:65], v[64:65], v[138:139] neg_lo:[0,1] neg_hi:[0,1]
	s_delay_alu instid0(VALU_DEP_2) | instskip(SKIP_1) | instid1(VALU_DEP_1)
	v_pk_fma_f32 v[138:139], v[136:137], v[124:125], v[134:135] op_sel:[0,0,1] op_sel_hi:[1,1,0] neg_lo:[0,0,1] neg_hi:[0,0,1]
	v_pk_fma_f32 v[134:135], v[136:137], v[124:125], v[134:135] op_sel:[0,0,1] op_sel_hi:[1,0,0]
	v_mov_b32_e32 v139, v135
	ds_load_2addr_b64 v[134:137], v128 offset0:40 offset1:41
	v_pk_add_f32 v[62:63], v[62:63], v[138:139] neg_lo:[0,1] neg_hi:[0,1]
	s_wait_dscnt 0x0
	v_pk_mul_f32 v[138:139], v[134:135], v[126:127] op_sel:[0,1]
	s_delay_alu instid0(VALU_DEP_1) | instskip(SKIP_1) | instid1(VALU_DEP_1)
	v_pk_fma_f32 v[140:141], v[134:135], v[124:125], v[138:139] op_sel:[0,0,1] op_sel_hi:[1,1,0] neg_lo:[0,0,1] neg_hi:[0,0,1]
	v_pk_fma_f32 v[134:135], v[134:135], v[124:125], v[138:139] op_sel:[0,0,1] op_sel_hi:[1,0,0]
	v_mov_b32_e32 v141, v135
	v_pk_mul_f32 v[134:135], v[136:137], v[126:127] op_sel:[0,1]
	s_delay_alu instid0(VALU_DEP_2) | instskip(NEXT) | instid1(VALU_DEP_2)
	v_pk_add_f32 v[102:103], v[102:103], v[140:141] neg_lo:[0,1] neg_hi:[0,1]
	v_pk_fma_f32 v[138:139], v[136:137], v[124:125], v[134:135] op_sel:[0,0,1] op_sel_hi:[1,1,0] neg_lo:[0,0,1] neg_hi:[0,0,1]
	v_pk_fma_f32 v[134:135], v[136:137], v[124:125], v[134:135] op_sel:[0,0,1] op_sel_hi:[1,0,0]
	s_delay_alu instid0(VALU_DEP_1) | instskip(SKIP_4) | instid1(VALU_DEP_1)
	v_mov_b32_e32 v139, v135
	ds_load_2addr_b64 v[134:137], v128 offset0:42 offset1:43
	v_pk_add_f32 v[100:101], v[100:101], v[138:139] neg_lo:[0,1] neg_hi:[0,1]
	s_wait_dscnt 0x0
	v_pk_mul_f32 v[138:139], v[134:135], v[126:127] op_sel:[0,1]
	v_pk_fma_f32 v[140:141], v[134:135], v[124:125], v[138:139] op_sel:[0,0,1] op_sel_hi:[1,1,0] neg_lo:[0,0,1] neg_hi:[0,0,1]
	v_pk_fma_f32 v[134:135], v[134:135], v[124:125], v[138:139] op_sel:[0,0,1] op_sel_hi:[1,0,0]
	v_dual_mul_f32 v138, v137, v127 :: v_dual_mov_b32 v134, v137
	s_delay_alu instid0(VALU_DEP_2) | instskip(NEXT) | instid1(VALU_DEP_2)
	v_dual_mov_b32 v141, v135 :: v_dual_mov_b32 v135, v136
	v_pk_fma_f32 v[138:139], v[136:137], v[22:23], v[138:139] op_sel_hi:[1,1,0] neg_lo:[0,0,1] neg_hi:[0,0,1]
	v_mul_f32_e32 v136, v137, v124
	s_delay_alu instid0(VALU_DEP_3) | instskip(NEXT) | instid1(VALU_DEP_2)
	v_pk_add_f32 v[72:73], v[72:73], v[140:141] neg_lo:[0,1] neg_hi:[0,1]
	v_pk_fma_f32 v[134:135], v[134:135], v[22:23], v[136:137] op_sel_hi:[1,1,0]
	s_delay_alu instid0(VALU_DEP_1) | instskip(SKIP_4) | instid1(VALU_DEP_1)
	v_mov_b32_e32 v139, v135
	ds_load_2addr_b64 v[134:137], v128 offset0:44 offset1:45
	v_pk_add_f32 v[70:71], v[70:71], v[138:139] neg_lo:[0,1] neg_hi:[0,1]
	s_wait_dscnt 0x0
	v_pk_mul_f32 v[138:139], v[134:135], v[126:127] op_sel:[0,1]
	v_pk_fma_f32 v[140:141], v[134:135], v[124:125], v[138:139] op_sel:[0,0,1] op_sel_hi:[1,1,0] neg_lo:[0,0,1] neg_hi:[0,0,1]
	v_pk_fma_f32 v[134:135], v[134:135], v[124:125], v[138:139] op_sel:[0,0,1] op_sel_hi:[1,0,0]
	s_delay_alu instid0(VALU_DEP_1) | instskip(SKIP_1) | instid1(VALU_DEP_1)
	v_mov_b32_e32 v141, v135
	v_pk_mul_f32 v[134:135], v[136:137], v[126:127] op_sel:[0,1]
	v_pk_fma_f32 v[138:139], v[136:137], v[124:125], v[134:135] op_sel:[0,0,1] op_sel_hi:[1,1,0] neg_lo:[0,0,1] neg_hi:[0,0,1]
	v_pk_fma_f32 v[134:135], v[136:137], v[124:125], v[134:135] op_sel:[0,0,1] op_sel_hi:[1,0,0]
	s_delay_alu instid0(VALU_DEP_1)
	v_mov_b32_e32 v139, v135
	ds_load_2addr_b64 v[134:137], v128 offset0:46 offset1:47
	v_pk_add_f32 v[110:111], v[110:111], v[140:141] neg_lo:[0,1] neg_hi:[0,1]
	v_pk_add_f32 v[108:109], v[108:109], v[138:139] neg_lo:[0,1] neg_hi:[0,1]
	s_wait_dscnt 0x0
	v_pk_mul_f32 v[138:139], v[134:135], v[126:127] op_sel:[0,1]
	s_delay_alu instid0(VALU_DEP_1) | instskip(SKIP_1) | instid1(VALU_DEP_1)
	v_pk_fma_f32 v[140:141], v[134:135], v[124:125], v[138:139] op_sel:[0,0,1] op_sel_hi:[1,1,0] neg_lo:[0,0,1] neg_hi:[0,0,1]
	v_pk_fma_f32 v[134:135], v[134:135], v[124:125], v[138:139] op_sel:[0,0,1] op_sel_hi:[1,0,0]
	v_mov_b32_e32 v141, v135
	v_pk_mul_f32 v[134:135], v[136:137], v[126:127] op_sel:[0,1]
	s_delay_alu instid0(VALU_DEP_1) | instskip(SKIP_1) | instid1(VALU_DEP_1)
	v_pk_fma_f32 v[138:139], v[136:137], v[124:125], v[134:135] op_sel:[0,0,1] op_sel_hi:[1,1,0] neg_lo:[0,0,1] neg_hi:[0,0,1]
	v_pk_fma_f32 v[134:135], v[136:137], v[124:125], v[134:135] op_sel:[0,0,1] op_sel_hi:[1,0,0]
	v_mov_b32_e32 v139, v135
	ds_load_2addr_b64 v[134:137], v128 offset0:48 offset1:49
	v_pk_add_f32 v[82:83], v[82:83], v[140:141] neg_lo:[0,1] neg_hi:[0,1]
	v_pk_add_f32 v[80:81], v[80:81], v[138:139] neg_lo:[0,1] neg_hi:[0,1]
	s_wait_dscnt 0x0
	v_dual_mul_f32 v138, v135, v127 :: v_dual_mul_f32 v140, v135, v124
	s_delay_alu instid0(VALU_DEP_1) | instskip(NEXT) | instid1(VALU_DEP_2)
	v_pk_fma_f32 v[138:139], v[134:135], v[22:23], v[138:139] op_sel_hi:[1,1,0] neg_lo:[0,0,1] neg_hi:[0,0,1]
	v_pk_fma_f32 v[134:135], v[134:135], v[22:23], v[140:141] op_sel:[1,0,0] op_sel_hi:[0,1,0]
	s_delay_alu instid0(VALU_DEP_1) | instskip(SKIP_1) | instid1(VALU_DEP_2)
	v_mov_b32_e32 v139, v135
	v_pk_mul_f32 v[134:135], v[136:137], v[126:127] op_sel:[0,1]
	v_pk_add_f32 v[120:121], v[120:121], v[138:139] neg_lo:[0,1] neg_hi:[0,1]
	s_delay_alu instid0(VALU_DEP_2) | instskip(SKIP_1) | instid1(VALU_DEP_1)
	v_pk_fma_f32 v[138:139], v[136:137], v[124:125], v[134:135] op_sel:[0,0,1] op_sel_hi:[1,1,0] neg_lo:[0,0,1] neg_hi:[0,0,1]
	v_pk_fma_f32 v[134:135], v[136:137], v[124:125], v[134:135] op_sel:[0,0,1] op_sel_hi:[1,0,0]
	v_mov_b32_e32 v139, v135
	ds_load_2addr_b64 v[134:137], v128 offset0:50 offset1:51
	v_pk_add_f32 v[118:119], v[118:119], v[138:139] neg_lo:[0,1] neg_hi:[0,1]
	s_wait_dscnt 0x0
	v_pk_mul_f32 v[138:139], v[134:135], v[126:127] op_sel:[0,1]
	s_delay_alu instid0(VALU_DEP_1) | instskip(SKIP_1) | instid1(VALU_DEP_1)
	v_pk_fma_f32 v[140:141], v[134:135], v[124:125], v[138:139] op_sel:[0,0,1] op_sel_hi:[1,1,0] neg_lo:[0,0,1] neg_hi:[0,0,1]
	v_pk_fma_f32 v[134:135], v[134:135], v[124:125], v[138:139] op_sel:[0,0,1] op_sel_hi:[1,0,0]
	v_mov_b32_e32 v141, v135
	v_pk_mul_f32 v[134:135], v[136:137], v[126:127] op_sel:[0,1]
	s_delay_alu instid0(VALU_DEP_2) | instskip(NEXT) | instid1(VALU_DEP_2)
	v_pk_add_f32 v[94:95], v[94:95], v[140:141] neg_lo:[0,1] neg_hi:[0,1]
	v_pk_fma_f32 v[138:139], v[136:137], v[124:125], v[134:135] op_sel:[0,0,1] op_sel_hi:[1,1,0] neg_lo:[0,0,1] neg_hi:[0,0,1]
	v_pk_fma_f32 v[134:135], v[136:137], v[124:125], v[134:135] op_sel:[0,0,1] op_sel_hi:[1,0,0]
	s_delay_alu instid0(VALU_DEP_1) | instskip(SKIP_4) | instid1(VALU_DEP_1)
	v_mov_b32_e32 v139, v135
	ds_load_2addr_b64 v[134:137], v128 offset0:52 offset1:53
	v_pk_add_f32 v[96:97], v[96:97], v[138:139] neg_lo:[0,1] neg_hi:[0,1]
	s_wait_dscnt 0x0
	v_pk_mul_f32 v[138:139], v[134:135], v[126:127] op_sel:[0,1]
	v_pk_fma_f32 v[140:141], v[134:135], v[124:125], v[138:139] op_sel:[0,0,1] op_sel_hi:[1,1,0] neg_lo:[0,0,1] neg_hi:[0,0,1]
	v_pk_fma_f32 v[134:135], v[134:135], v[124:125], v[138:139] op_sel:[0,0,1] op_sel_hi:[1,0,0]
	v_dual_mul_f32 v138, v137, v127 :: v_dual_mov_b32 v134, v137
	s_delay_alu instid0(VALU_DEP_2) | instskip(NEXT) | instid1(VALU_DEP_2)
	v_dual_mov_b32 v141, v135 :: v_dual_mov_b32 v135, v136
	v_pk_fma_f32 v[138:139], v[136:137], v[22:23], v[138:139] op_sel_hi:[1,1,0] neg_lo:[0,0,1] neg_hi:[0,0,1]
	v_mul_f32_e32 v136, v137, v124
	s_delay_alu instid0(VALU_DEP_3) | instskip(NEXT) | instid1(VALU_DEP_2)
	v_pk_add_f32 v[114:115], v[114:115], v[140:141] neg_lo:[0,1] neg_hi:[0,1]
	v_pk_fma_f32 v[134:135], v[134:135], v[22:23], v[136:137] op_sel_hi:[1,1,0]
	s_delay_alu instid0(VALU_DEP_1) | instskip(SKIP_4) | instid1(VALU_DEP_1)
	v_mov_b32_e32 v139, v135
	ds_load_2addr_b64 v[134:137], v128 offset0:54 offset1:55
	v_pk_add_f32 v[112:113], v[112:113], v[138:139] neg_lo:[0,1] neg_hi:[0,1]
	s_wait_dscnt 0x0
	v_pk_mul_f32 v[138:139], v[134:135], v[126:127] op_sel:[0,1]
	v_pk_fma_f32 v[140:141], v[134:135], v[124:125], v[138:139] op_sel:[0,0,1] op_sel_hi:[1,1,0] neg_lo:[0,0,1] neg_hi:[0,0,1]
	v_pk_fma_f32 v[134:135], v[134:135], v[124:125], v[138:139] op_sel:[0,0,1] op_sel_hi:[1,0,0]
	s_delay_alu instid0(VALU_DEP_1) | instskip(SKIP_1) | instid1(VALU_DEP_1)
	v_mov_b32_e32 v141, v135
	v_pk_mul_f32 v[134:135], v[136:137], v[126:127] op_sel:[0,1]
	v_pk_fma_f32 v[138:139], v[136:137], v[124:125], v[134:135] op_sel:[0,0,1] op_sel_hi:[1,1,0] neg_lo:[0,0,1] neg_hi:[0,0,1]
	v_pk_fma_f32 v[134:135], v[136:137], v[124:125], v[134:135] op_sel:[0,0,1] op_sel_hi:[1,0,0]
	s_delay_alu instid0(VALU_DEP_1)
	v_mov_b32_e32 v139, v135
	ds_load_2addr_b64 v[134:137], v128 offset0:56 offset1:57
	v_pk_add_f32 v[92:93], v[92:93], v[140:141] neg_lo:[0,1] neg_hi:[0,1]
	v_pk_add_f32 v[90:91], v[90:91], v[138:139] neg_lo:[0,1] neg_hi:[0,1]
	s_wait_dscnt 0x0
	v_pk_mul_f32 v[138:139], v[134:135], v[126:127] op_sel:[0,1]
	s_delay_alu instid0(VALU_DEP_1) | instskip(SKIP_1) | instid1(VALU_DEP_1)
	v_pk_fma_f32 v[140:141], v[134:135], v[124:125], v[138:139] op_sel:[0,0,1] op_sel_hi:[1,1,0] neg_lo:[0,0,1] neg_hi:[0,0,1]
	v_pk_fma_f32 v[134:135], v[134:135], v[124:125], v[138:139] op_sel:[0,0,1] op_sel_hi:[1,0,0]
	v_mov_b32_e32 v141, v135
	v_pk_mul_f32 v[134:135], v[136:137], v[126:127] op_sel:[0,1]
	s_delay_alu instid0(VALU_DEP_1) | instskip(SKIP_1) | instid1(VALU_DEP_1)
	v_pk_fma_f32 v[138:139], v[136:137], v[124:125], v[134:135] op_sel:[0,0,1] op_sel_hi:[1,1,0] neg_lo:[0,0,1] neg_hi:[0,0,1]
	v_pk_fma_f32 v[134:135], v[136:137], v[124:125], v[134:135] op_sel:[0,0,1] op_sel_hi:[1,0,0]
	v_mov_b32_e32 v139, v135
	ds_load_b64 v[134:135], v128 offset:464
	v_pk_add_f32 v[104:105], v[104:105], v[140:141] neg_lo:[0,1] neg_hi:[0,1]
	v_pk_add_f32 v[98:99], v[98:99], v[138:139] neg_lo:[0,1] neg_hi:[0,1]
	s_wait_dscnt 0x0
	v_pk_mul_f32 v[126:127], v[134:135], v[126:127] op_sel:[0,1]
	s_delay_alu instid0(VALU_DEP_1) | instskip(SKIP_1) | instid1(VALU_DEP_1)
	v_pk_fma_f32 v[136:137], v[134:135], v[124:125], v[126:127] op_sel:[0,0,1] op_sel_hi:[1,1,0] neg_lo:[0,0,1] neg_hi:[0,0,1]
	v_pk_fma_f32 v[124:125], v[134:135], v[124:125], v[126:127] op_sel:[0,0,1] op_sel_hi:[1,0,0]
	v_mov_b32_e32 v137, v125
	s_delay_alu instid0(VALU_DEP_1)
	v_pk_add_f32 v[122:123], v[122:123], v[136:137] neg_lo:[0,1] neg_hi:[0,1]
.LBB116_209:
	s_or_b32 exec_lo, exec_lo, s0
	v_lshl_add_u32 v124, v132, 3, v128
	s_barrier_signal -1
	s_barrier_wait -1
	ds_store_b64 v124, v[8:9]
	s_wait_dscnt 0x0
	s_barrier_signal -1
	s_barrier_wait -1
	ds_load_b64 v[126:127], v128 offset:80
	v_mov_b32_e32 v124, 10
	s_cmp_lt_i32 s18, 12
	s_cbranch_scc1 .LBB116_212
; %bb.210:
	v_add3_u32 v125, v129, 0, 0x58
	v_mov_b32_e32 v124, 10
	s_mov_b32 s0, 11
.LBB116_211:                            ; =>This Inner Loop Header: Depth=1
	ds_load_b64 v[134:135], v125
	s_wait_dscnt 0x1
	v_cmp_gt_f32_e32 vcc_lo, 0, v126
	v_cndmask_b32_e64 v136, v126, -v126, vcc_lo
	v_cmp_gt_f32_e32 vcc_lo, 0, v127
	v_cndmask_b32_e64 v138, v127, -v127, vcc_lo
	s_wait_dscnt 0x0
	v_cmp_gt_f32_e32 vcc_lo, 0, v134
	v_cndmask_b32_e64 v137, v134, -v134, vcc_lo
	v_cmp_gt_f32_e32 vcc_lo, 0, v135
	v_cndmask_b32_e64 v139, v135, -v135, vcc_lo
	s_delay_alu instid0(VALU_DEP_1) | instskip(NEXT) | instid1(VALU_DEP_1)
	v_pk_add_f32 v[136:137], v[136:137], v[138:139]
	v_cmp_lt_f32_e32 vcc_lo, v136, v137
	v_dual_add_nc_u32 v125, 8, v125 :: v_dual_cndmask_b32 v127, v127, v135, vcc_lo
	v_cndmask_b32_e32 v126, v126, v134, vcc_lo
	v_cndmask_b32_e64 v124, v124, s0, vcc_lo
	s_add_co_i32 s0, s0, 1
	s_delay_alu instid0(SALU_CYCLE_1)
	s_cmp_lg_u32 s18, s0
	s_cbranch_scc1 .LBB116_211
.LBB116_212:
	s_wait_dscnt 0x0
	v_cmp_eq_f32_e32 vcc_lo, 0, v126
	v_cmp_eq_f32_e64 s0, 0, v127
	s_and_b32 s0, vcc_lo, s0
	s_delay_alu instid0(SALU_CYCLE_1) | instskip(NEXT) | instid1(SALU_CYCLE_1)
	s_and_saveexec_b32 s1, s0
	s_xor_b32 s0, exec_lo, s1
; %bb.213:
	v_cmp_ne_u32_e32 vcc_lo, 0, v130
	v_cndmask_b32_e32 v130, 11, v130, vcc_lo
; %bb.214:
	s_and_not1_saveexec_b32 s0, s0
	s_cbranch_execz .LBB116_220
; %bb.215:
	v_cmp_ngt_f32_e64 s1, |v126|, |v127|
	s_and_saveexec_b32 s12, s1
	s_delay_alu instid0(SALU_CYCLE_1)
	s_xor_b32 s1, exec_lo, s12
	s_cbranch_execz .LBB116_217
; %bb.216:
	v_div_scale_f32 v125, null, v127, v127, v126
	v_div_scale_f32 v135, vcc_lo, v126, v127, v126
	s_delay_alu instid0(VALU_DEP_2) | instskip(SKIP_1) | instid1(TRANS32_DEP_1)
	v_rcp_f32_e32 v133, v125
	v_nop
	v_fma_f32 v134, -v125, v133, 1.0
	s_delay_alu instid0(VALU_DEP_1) | instskip(NEXT) | instid1(VALU_DEP_1)
	v_fmac_f32_e32 v133, v134, v133
	v_mul_f32_e32 v134, v135, v133
	s_delay_alu instid0(VALU_DEP_1) | instskip(NEXT) | instid1(VALU_DEP_1)
	v_fma_f32 v136, -v125, v134, v135
	v_fmac_f32_e32 v134, v136, v133
	s_delay_alu instid0(VALU_DEP_1) | instskip(NEXT) | instid1(VALU_DEP_1)
	v_fma_f32 v125, -v125, v134, v135
	v_div_fmas_f32 v125, v125, v133, v134
	s_delay_alu instid0(VALU_DEP_1) | instskip(NEXT) | instid1(VALU_DEP_1)
	v_div_fixup_f32 v125, v125, v127, v126
	v_fmac_f32_e32 v127, v126, v125
	s_delay_alu instid0(VALU_DEP_1) | instskip(SKIP_1) | instid1(VALU_DEP_2)
	v_div_scale_f32 v126, null, v127, v127, 1.0
	v_div_scale_f32 v135, vcc_lo, 1.0, v127, 1.0
	v_rcp_f32_e32 v133, v126
	v_nop
	s_delay_alu instid0(TRANS32_DEP_1) | instskip(NEXT) | instid1(VALU_DEP_1)
	v_fma_f32 v134, -v126, v133, 1.0
	v_fmac_f32_e32 v133, v134, v133
	s_delay_alu instid0(VALU_DEP_1) | instskip(NEXT) | instid1(VALU_DEP_1)
	v_mul_f32_e32 v134, v135, v133
	v_fma_f32 v136, -v126, v134, v135
	s_delay_alu instid0(VALU_DEP_1) | instskip(NEXT) | instid1(VALU_DEP_1)
	v_fmac_f32_e32 v134, v136, v133
	v_fma_f32 v126, -v126, v134, v135
	s_delay_alu instid0(VALU_DEP_1) | instskip(NEXT) | instid1(VALU_DEP_1)
	v_div_fmas_f32 v126, v126, v133, v134
	v_div_fixup_f32 v127, v126, v127, 1.0
	s_delay_alu instid0(VALU_DEP_1)
	v_mul_f32_e32 v126, v125, v127
	v_xor_b32_e32 v127, 0x80000000, v127
.LBB116_217:
	s_and_not1_saveexec_b32 s1, s1
	s_cbranch_execz .LBB116_219
; %bb.218:
	s_delay_alu instid0(VALU_DEP_1) | instskip(SKIP_1) | instid1(VALU_DEP_2)
	v_div_scale_f32 v125, null, v126, v126, v127
	v_div_scale_f32 v135, vcc_lo, v127, v126, v127
	v_rcp_f32_e32 v133, v125
	v_nop
	s_delay_alu instid0(TRANS32_DEP_1) | instskip(NEXT) | instid1(VALU_DEP_1)
	v_fma_f32 v134, -v125, v133, 1.0
	v_fmac_f32_e32 v133, v134, v133
	s_delay_alu instid0(VALU_DEP_1) | instskip(NEXT) | instid1(VALU_DEP_1)
	v_mul_f32_e32 v134, v135, v133
	v_fma_f32 v136, -v125, v134, v135
	s_delay_alu instid0(VALU_DEP_1) | instskip(NEXT) | instid1(VALU_DEP_1)
	v_fmac_f32_e32 v134, v136, v133
	v_fma_f32 v125, -v125, v134, v135
	s_delay_alu instid0(VALU_DEP_1) | instskip(NEXT) | instid1(VALU_DEP_1)
	v_div_fmas_f32 v125, v125, v133, v134
	v_div_fixup_f32 v125, v125, v126, v127
	s_delay_alu instid0(VALU_DEP_1) | instskip(NEXT) | instid1(VALU_DEP_1)
	v_fmac_f32_e32 v126, v127, v125
	v_div_scale_f32 v127, null, v126, v126, 1.0
	s_delay_alu instid0(VALU_DEP_1) | instskip(SKIP_1) | instid1(TRANS32_DEP_1)
	v_rcp_f32_e32 v133, v127
	v_nop
	v_fma_f32 v134, -v127, v133, 1.0
	s_delay_alu instid0(VALU_DEP_1) | instskip(SKIP_1) | instid1(VALU_DEP_1)
	v_fmac_f32_e32 v133, v134, v133
	v_div_scale_f32 v134, vcc_lo, 1.0, v126, 1.0
	v_mul_f32_e32 v135, v134, v133
	s_delay_alu instid0(VALU_DEP_1) | instskip(NEXT) | instid1(VALU_DEP_1)
	v_fma_f32 v136, -v127, v135, v134
	v_fmac_f32_e32 v135, v136, v133
	s_delay_alu instid0(VALU_DEP_1) | instskip(NEXT) | instid1(VALU_DEP_1)
	v_fma_f32 v127, -v127, v135, v134
	v_div_fmas_f32 v127, v127, v133, v135
	s_delay_alu instid0(VALU_DEP_1) | instskip(NEXT) | instid1(VALU_DEP_1)
	v_div_fixup_f32 v126, v127, v126, 1.0
	v_mul_f32_e64 v127, v125, -v126
.LBB116_219:
	s_or_b32 exec_lo, exec_lo, s1
.LBB116_220:
	s_delay_alu instid0(SALU_CYCLE_1) | instskip(NEXT) | instid1(SALU_CYCLE_1)
	s_or_b32 exec_lo, exec_lo, s0
	s_mov_b32 s0, exec_lo
	v_cmpx_ne_u32_e64 v132, v124
	s_xor_b32 s0, exec_lo, s0
	s_cbranch_execz .LBB116_226
; %bb.221:
	s_mov_b32 s1, exec_lo
	v_cmpx_eq_u32_e32 10, v132
	s_cbranch_execz .LBB116_225
; %bb.222:
	v_cmp_ne_u32_e32 vcc_lo, 10, v124
	s_xor_b32 s12, s16, -1
	s_delay_alu instid0(SALU_CYCLE_1) | instskip(NEXT) | instid1(SALU_CYCLE_1)
	s_and_b32 s13, s12, vcc_lo
	s_and_saveexec_b32 s12, s13
	s_cbranch_execz .LBB116_224
; %bb.223:
	v_ashrrev_i32_e32 v125, 31, v124
	s_delay_alu instid0(VALU_DEP_1)
	v_lshl_add_u64 v[132:133], v[124:125], 2, v[4:5]
	s_clause 0x1
	global_load_b32 v125, v[132:133], off
	global_load_b32 v131, v[4:5], off offset:40
	s_wait_loadcnt 0x1
	global_store_b32 v[4:5], v125, off offset:40
	s_wait_loadcnt 0x0
	global_store_b32 v[132:133], v131, off
.LBB116_224:
	s_wait_xcnt 0x0
	s_or_b32 exec_lo, exec_lo, s12
	v_dual_mov_b32 v132, v124 :: v_dual_mov_b32 v131, v124
.LBB116_225:
	s_or_b32 exec_lo, exec_lo, s1
.LBB116_226:
	s_and_not1_saveexec_b32 s0, s0
	s_cbranch_execz .LBB116_228
; %bb.227:
	v_mov_b32_e32 v132, 10
	ds_store_2addr_b64 v128, v[6:7], v[34:35] offset0:11 offset1:12
	ds_store_2addr_b64 v128, v[32:33], v[14:15] offset0:13 offset1:14
	;; [unrolled: 1-line block ×24, first 2 shown]
.LBB116_228:
	s_or_b32 exec_lo, exec_lo, s0
	s_delay_alu instid0(SALU_CYCLE_1)
	s_mov_b32 s0, exec_lo
	s_wait_storecnt_dscnt 0x0
	s_barrier_signal -1
	s_barrier_wait -1
	v_cmpx_lt_i32_e32 10, v132
	s_cbranch_execz .LBB116_230
; %bb.229:
	v_pk_mul_f32 v[134:135], v[126:127], v[8:9] op_sel:[1,1] op_sel_hi:[0,1]
	s_delay_alu instid0(VALU_DEP_1)
	v_pk_fma_f32 v[124:125], v[126:127], v[8:9], v[134:135] op_sel_hi:[1,0,1] neg_lo:[0,0,1] neg_hi:[0,0,1]
	v_pk_fma_f32 v[126:127], v[126:127], v[8:9], v[134:135] op_sel_hi:[1,0,1]
	ds_load_2addr_b64 v[134:137], v128 offset0:11 offset1:12
	v_dual_mov_b32 v8, v124 :: v_dual_mov_b32 v9, v127
	s_wait_dscnt 0x0
	v_pk_mul_f32 v[138:139], v[134:135], v[126:127] op_sel:[0,1]
	s_delay_alu instid0(VALU_DEP_1) | instskip(SKIP_1) | instid1(VALU_DEP_1)
	v_pk_fma_f32 v[140:141], v[134:135], v[124:125], v[138:139] op_sel:[0,0,1] op_sel_hi:[1,1,0] neg_lo:[0,0,1] neg_hi:[0,0,1]
	v_pk_fma_f32 v[134:135], v[134:135], v[124:125], v[138:139] op_sel:[0,0,1] op_sel_hi:[1,0,0]
	v_mov_b32_e32 v141, v135
	v_pk_mul_f32 v[134:135], v[136:137], v[126:127] op_sel:[0,1]
	s_delay_alu instid0(VALU_DEP_1) | instskip(SKIP_1) | instid1(VALU_DEP_1)
	v_pk_fma_f32 v[138:139], v[136:137], v[124:125], v[134:135] op_sel:[0,0,1] op_sel_hi:[1,1,0] neg_lo:[0,0,1] neg_hi:[0,0,1]
	v_pk_fma_f32 v[134:135], v[136:137], v[124:125], v[134:135] op_sel:[0,0,1] op_sel_hi:[1,0,0]
	v_mov_b32_e32 v139, v135
	ds_load_2addr_b64 v[134:137], v128 offset0:13 offset1:14
	v_pk_add_f32 v[6:7], v[6:7], v[140:141] neg_lo:[0,1] neg_hi:[0,1]
	v_pk_add_f32 v[34:35], v[34:35], v[138:139] neg_lo:[0,1] neg_hi:[0,1]
	s_wait_dscnt 0x0
	v_pk_mul_f32 v[138:139], v[134:135], v[126:127] op_sel:[0,1]
	s_delay_alu instid0(VALU_DEP_1) | instskip(SKIP_2) | instid1(VALU_DEP_2)
	v_pk_fma_f32 v[140:141], v[134:135], v[124:125], v[138:139] op_sel:[0,0,1] op_sel_hi:[1,1,0] neg_lo:[0,0,1] neg_hi:[0,0,1]
	v_pk_fma_f32 v[134:135], v[134:135], v[124:125], v[138:139] op_sel:[0,0,1] op_sel_hi:[1,0,0]
	v_dual_mul_f32 v138, v137, v127 :: v_dual_mov_b32 v134, v137
	v_dual_mov_b32 v141, v135 :: v_dual_mov_b32 v135, v136
	s_delay_alu instid0(VALU_DEP_2) | instskip(SKIP_1) | instid1(VALU_DEP_3)
	v_pk_fma_f32 v[138:139], v[136:137], v[8:9], v[138:139] op_sel_hi:[1,1,0] neg_lo:[0,0,1] neg_hi:[0,0,1]
	v_mul_f32_e32 v136, v137, v124
	v_pk_add_f32 v[32:33], v[32:33], v[140:141] neg_lo:[0,1] neg_hi:[0,1]
	s_delay_alu instid0(VALU_DEP_2) | instskip(NEXT) | instid1(VALU_DEP_1)
	v_pk_fma_f32 v[134:135], v[134:135], v[8:9], v[136:137] op_sel_hi:[1,1,0]
	v_mov_b32_e32 v139, v135
	ds_load_2addr_b64 v[134:137], v128 offset0:15 offset1:16
	v_pk_add_f32 v[14:15], v[14:15], v[138:139] neg_lo:[0,1] neg_hi:[0,1]
	s_wait_dscnt 0x0
	v_pk_mul_f32 v[138:139], v[134:135], v[126:127] op_sel:[0,1]
	s_delay_alu instid0(VALU_DEP_1) | instskip(SKIP_1) | instid1(VALU_DEP_1)
	v_pk_fma_f32 v[140:141], v[134:135], v[124:125], v[138:139] op_sel:[0,0,1] op_sel_hi:[1,1,0] neg_lo:[0,0,1] neg_hi:[0,0,1]
	v_pk_fma_f32 v[134:135], v[134:135], v[124:125], v[138:139] op_sel:[0,0,1] op_sel_hi:[1,0,0]
	v_mov_b32_e32 v141, v135
	v_pk_mul_f32 v[134:135], v[136:137], v[126:127] op_sel:[0,1]
	s_delay_alu instid0(VALU_DEP_1) | instskip(SKIP_1) | instid1(VALU_DEP_1)
	v_pk_fma_f32 v[138:139], v[136:137], v[124:125], v[134:135] op_sel:[0,0,1] op_sel_hi:[1,1,0] neg_lo:[0,0,1] neg_hi:[0,0,1]
	v_pk_fma_f32 v[134:135], v[136:137], v[124:125], v[134:135] op_sel:[0,0,1] op_sel_hi:[1,0,0]
	v_mov_b32_e32 v139, v135
	ds_load_2addr_b64 v[134:137], v128 offset0:17 offset1:18
	v_pk_add_f32 v[12:13], v[12:13], v[140:141] neg_lo:[0,1] neg_hi:[0,1]
	v_pk_add_f32 v[44:45], v[44:45], v[138:139] neg_lo:[0,1] neg_hi:[0,1]
	s_wait_dscnt 0x0
	v_pk_mul_f32 v[138:139], v[134:135], v[126:127] op_sel:[0,1]
	s_delay_alu instid0(VALU_DEP_1) | instskip(SKIP_1) | instid1(VALU_DEP_1)
	v_pk_fma_f32 v[140:141], v[134:135], v[124:125], v[138:139] op_sel:[0,0,1] op_sel_hi:[1,1,0] neg_lo:[0,0,1] neg_hi:[0,0,1]
	v_pk_fma_f32 v[134:135], v[134:135], v[124:125], v[138:139] op_sel:[0,0,1] op_sel_hi:[1,0,0]
	v_mov_b32_e32 v141, v135
	v_pk_mul_f32 v[134:135], v[136:137], v[126:127] op_sel:[0,1]
	s_delay_alu instid0(VALU_DEP_1) | instskip(SKIP_1) | instid1(VALU_DEP_1)
	v_pk_fma_f32 v[138:139], v[136:137], v[124:125], v[134:135] op_sel:[0,0,1] op_sel_hi:[1,1,0] neg_lo:[0,0,1] neg_hi:[0,0,1]
	v_pk_fma_f32 v[134:135], v[136:137], v[124:125], v[134:135] op_sel:[0,0,1] op_sel_hi:[1,0,0]
	v_mov_b32_e32 v139, v135
	ds_load_2addr_b64 v[134:137], v128 offset0:19 offset1:20
	v_pk_add_f32 v[42:43], v[42:43], v[140:141] neg_lo:[0,1] neg_hi:[0,1]
	v_pk_add_f32 v[20:21], v[20:21], v[138:139] neg_lo:[0,1] neg_hi:[0,1]
	s_wait_dscnt 0x0
	v_dual_mul_f32 v138, v135, v127 :: v_dual_mul_f32 v140, v135, v124
	s_delay_alu instid0(VALU_DEP_1) | instskip(NEXT) | instid1(VALU_DEP_2)
	v_pk_fma_f32 v[138:139], v[134:135], v[8:9], v[138:139] op_sel_hi:[1,1,0] neg_lo:[0,0,1] neg_hi:[0,0,1]
	v_pk_fma_f32 v[134:135], v[134:135], v[8:9], v[140:141] op_sel:[1,0,0] op_sel_hi:[0,1,0]
	s_delay_alu instid0(VALU_DEP_1) | instskip(SKIP_1) | instid1(VALU_DEP_2)
	v_mov_b32_e32 v139, v135
	v_pk_mul_f32 v[134:135], v[136:137], v[126:127] op_sel:[0,1]
	v_pk_add_f32 v[18:19], v[18:19], v[138:139] neg_lo:[0,1] neg_hi:[0,1]
	s_delay_alu instid0(VALU_DEP_2) | instskip(SKIP_1) | instid1(VALU_DEP_1)
	v_pk_fma_f32 v[138:139], v[136:137], v[124:125], v[134:135] op_sel:[0,0,1] op_sel_hi:[1,1,0] neg_lo:[0,0,1] neg_hi:[0,0,1]
	v_pk_fma_f32 v[134:135], v[136:137], v[124:125], v[134:135] op_sel:[0,0,1] op_sel_hi:[1,0,0]
	v_mov_b32_e32 v139, v135
	ds_load_2addr_b64 v[134:137], v128 offset0:21 offset1:22
	v_pk_add_f32 v[52:53], v[52:53], v[138:139] neg_lo:[0,1] neg_hi:[0,1]
	s_wait_dscnt 0x0
	v_pk_mul_f32 v[138:139], v[134:135], v[126:127] op_sel:[0,1]
	s_delay_alu instid0(VALU_DEP_1) | instskip(SKIP_1) | instid1(VALU_DEP_1)
	v_pk_fma_f32 v[140:141], v[134:135], v[124:125], v[138:139] op_sel:[0,0,1] op_sel_hi:[1,1,0] neg_lo:[0,0,1] neg_hi:[0,0,1]
	v_pk_fma_f32 v[134:135], v[134:135], v[124:125], v[138:139] op_sel:[0,0,1] op_sel_hi:[1,0,0]
	v_mov_b32_e32 v141, v135
	v_pk_mul_f32 v[134:135], v[136:137], v[126:127] op_sel:[0,1]
	s_delay_alu instid0(VALU_DEP_2) | instskip(NEXT) | instid1(VALU_DEP_2)
	v_pk_add_f32 v[50:51], v[50:51], v[140:141] neg_lo:[0,1] neg_hi:[0,1]
	v_pk_fma_f32 v[138:139], v[136:137], v[124:125], v[134:135] op_sel:[0,0,1] op_sel_hi:[1,1,0] neg_lo:[0,0,1] neg_hi:[0,0,1]
	v_pk_fma_f32 v[134:135], v[136:137], v[124:125], v[134:135] op_sel:[0,0,1] op_sel_hi:[1,0,0]
	s_delay_alu instid0(VALU_DEP_1) | instskip(SKIP_4) | instid1(VALU_DEP_1)
	v_mov_b32_e32 v139, v135
	ds_load_2addr_b64 v[134:137], v128 offset0:23 offset1:24
	v_pk_add_f32 v[28:29], v[28:29], v[138:139] neg_lo:[0,1] neg_hi:[0,1]
	s_wait_dscnt 0x0
	v_pk_mul_f32 v[138:139], v[134:135], v[126:127] op_sel:[0,1]
	v_pk_fma_f32 v[140:141], v[134:135], v[124:125], v[138:139] op_sel:[0,0,1] op_sel_hi:[1,1,0] neg_lo:[0,0,1] neg_hi:[0,0,1]
	v_pk_fma_f32 v[134:135], v[134:135], v[124:125], v[138:139] op_sel:[0,0,1] op_sel_hi:[1,0,0]
	v_dual_mul_f32 v138, v137, v127 :: v_dual_mov_b32 v134, v137
	s_delay_alu instid0(VALU_DEP_2) | instskip(NEXT) | instid1(VALU_DEP_2)
	v_dual_mov_b32 v141, v135 :: v_dual_mov_b32 v135, v136
	v_pk_fma_f32 v[138:139], v[136:137], v[8:9], v[138:139] op_sel_hi:[1,1,0] neg_lo:[0,0,1] neg_hi:[0,0,1]
	v_mul_f32_e32 v136, v137, v124
	s_delay_alu instid0(VALU_DEP_3) | instskip(NEXT) | instid1(VALU_DEP_2)
	v_pk_add_f32 v[26:27], v[26:27], v[140:141] neg_lo:[0,1] neg_hi:[0,1]
	v_pk_fma_f32 v[134:135], v[134:135], v[8:9], v[136:137] op_sel_hi:[1,1,0]
	s_delay_alu instid0(VALU_DEP_1) | instskip(SKIP_4) | instid1(VALU_DEP_1)
	v_mov_b32_e32 v139, v135
	ds_load_2addr_b64 v[134:137], v128 offset0:25 offset1:26
	v_pk_add_f32 v[60:61], v[60:61], v[138:139] neg_lo:[0,1] neg_hi:[0,1]
	s_wait_dscnt 0x0
	v_pk_mul_f32 v[138:139], v[134:135], v[126:127] op_sel:[0,1]
	v_pk_fma_f32 v[140:141], v[134:135], v[124:125], v[138:139] op_sel:[0,0,1] op_sel_hi:[1,1,0] neg_lo:[0,0,1] neg_hi:[0,0,1]
	v_pk_fma_f32 v[134:135], v[134:135], v[124:125], v[138:139] op_sel:[0,0,1] op_sel_hi:[1,0,0]
	s_delay_alu instid0(VALU_DEP_1) | instskip(SKIP_1) | instid1(VALU_DEP_1)
	v_mov_b32_e32 v141, v135
	v_pk_mul_f32 v[134:135], v[136:137], v[126:127] op_sel:[0,1]
	v_pk_fma_f32 v[138:139], v[136:137], v[124:125], v[134:135] op_sel:[0,0,1] op_sel_hi:[1,1,0] neg_lo:[0,0,1] neg_hi:[0,0,1]
	v_pk_fma_f32 v[134:135], v[136:137], v[124:125], v[134:135] op_sel:[0,0,1] op_sel_hi:[1,0,0]
	s_delay_alu instid0(VALU_DEP_1)
	v_mov_b32_e32 v139, v135
	ds_load_2addr_b64 v[134:137], v128 offset0:27 offset1:28
	v_pk_add_f32 v[58:59], v[58:59], v[140:141] neg_lo:[0,1] neg_hi:[0,1]
	v_pk_add_f32 v[38:39], v[38:39], v[138:139] neg_lo:[0,1] neg_hi:[0,1]
	s_wait_dscnt 0x0
	v_pk_mul_f32 v[138:139], v[134:135], v[126:127] op_sel:[0,1]
	s_delay_alu instid0(VALU_DEP_1) | instskip(SKIP_1) | instid1(VALU_DEP_1)
	v_pk_fma_f32 v[140:141], v[134:135], v[124:125], v[138:139] op_sel:[0,0,1] op_sel_hi:[1,1,0] neg_lo:[0,0,1] neg_hi:[0,0,1]
	v_pk_fma_f32 v[134:135], v[134:135], v[124:125], v[138:139] op_sel:[0,0,1] op_sel_hi:[1,0,0]
	v_mov_b32_e32 v141, v135
	v_pk_mul_f32 v[134:135], v[136:137], v[126:127] op_sel:[0,1]
	s_delay_alu instid0(VALU_DEP_1) | instskip(SKIP_1) | instid1(VALU_DEP_1)
	v_pk_fma_f32 v[138:139], v[136:137], v[124:125], v[134:135] op_sel:[0,0,1] op_sel_hi:[1,1,0] neg_lo:[0,0,1] neg_hi:[0,0,1]
	v_pk_fma_f32 v[134:135], v[136:137], v[124:125], v[134:135] op_sel:[0,0,1] op_sel_hi:[1,0,0]
	v_mov_b32_e32 v139, v135
	ds_load_2addr_b64 v[134:137], v128 offset0:29 offset1:30
	v_pk_add_f32 v[36:37], v[36:37], v[140:141] neg_lo:[0,1] neg_hi:[0,1]
	v_pk_add_f32 v[68:69], v[68:69], v[138:139] neg_lo:[0,1] neg_hi:[0,1]
	s_wait_dscnt 0x0
	v_dual_mul_f32 v138, v135, v127 :: v_dual_mul_f32 v140, v135, v124
	s_delay_alu instid0(VALU_DEP_1) | instskip(NEXT) | instid1(VALU_DEP_2)
	v_pk_fma_f32 v[138:139], v[134:135], v[8:9], v[138:139] op_sel_hi:[1,1,0] neg_lo:[0,0,1] neg_hi:[0,0,1]
	v_pk_fma_f32 v[134:135], v[134:135], v[8:9], v[140:141] op_sel:[1,0,0] op_sel_hi:[0,1,0]
	s_delay_alu instid0(VALU_DEP_1) | instskip(SKIP_1) | instid1(VALU_DEP_2)
	v_mov_b32_e32 v139, v135
	v_pk_mul_f32 v[134:135], v[136:137], v[126:127] op_sel:[0,1]
	v_pk_add_f32 v[66:67], v[66:67], v[138:139] neg_lo:[0,1] neg_hi:[0,1]
	s_delay_alu instid0(VALU_DEP_2) | instskip(SKIP_1) | instid1(VALU_DEP_1)
	v_pk_fma_f32 v[138:139], v[136:137], v[124:125], v[134:135] op_sel:[0,0,1] op_sel_hi:[1,1,0] neg_lo:[0,0,1] neg_hi:[0,0,1]
	v_pk_fma_f32 v[134:135], v[136:137], v[124:125], v[134:135] op_sel:[0,0,1] op_sel_hi:[1,0,0]
	v_mov_b32_e32 v139, v135
	ds_load_2addr_b64 v[134:137], v128 offset0:31 offset1:32
	v_pk_add_f32 v[48:49], v[48:49], v[138:139] neg_lo:[0,1] neg_hi:[0,1]
	s_wait_dscnt 0x0
	v_pk_mul_f32 v[138:139], v[134:135], v[126:127] op_sel:[0,1]
	s_delay_alu instid0(VALU_DEP_1) | instskip(SKIP_1) | instid1(VALU_DEP_1)
	v_pk_fma_f32 v[140:141], v[134:135], v[124:125], v[138:139] op_sel:[0,0,1] op_sel_hi:[1,1,0] neg_lo:[0,0,1] neg_hi:[0,0,1]
	v_pk_fma_f32 v[134:135], v[134:135], v[124:125], v[138:139] op_sel:[0,0,1] op_sel_hi:[1,0,0]
	v_mov_b32_e32 v141, v135
	v_pk_mul_f32 v[134:135], v[136:137], v[126:127] op_sel:[0,1]
	s_delay_alu instid0(VALU_DEP_2) | instskip(NEXT) | instid1(VALU_DEP_2)
	v_pk_add_f32 v[46:47], v[46:47], v[140:141] neg_lo:[0,1] neg_hi:[0,1]
	v_pk_fma_f32 v[138:139], v[136:137], v[124:125], v[134:135] op_sel:[0,0,1] op_sel_hi:[1,1,0] neg_lo:[0,0,1] neg_hi:[0,0,1]
	v_pk_fma_f32 v[134:135], v[136:137], v[124:125], v[134:135] op_sel:[0,0,1] op_sel_hi:[1,0,0]
	s_delay_alu instid0(VALU_DEP_1) | instskip(SKIP_4) | instid1(VALU_DEP_1)
	v_mov_b32_e32 v139, v135
	ds_load_2addr_b64 v[134:137], v128 offset0:33 offset1:34
	v_pk_add_f32 v[78:79], v[78:79], v[138:139] neg_lo:[0,1] neg_hi:[0,1]
	s_wait_dscnt 0x0
	v_pk_mul_f32 v[138:139], v[134:135], v[126:127] op_sel:[0,1]
	v_pk_fma_f32 v[140:141], v[134:135], v[124:125], v[138:139] op_sel:[0,0,1] op_sel_hi:[1,1,0] neg_lo:[0,0,1] neg_hi:[0,0,1]
	v_pk_fma_f32 v[134:135], v[134:135], v[124:125], v[138:139] op_sel:[0,0,1] op_sel_hi:[1,0,0]
	v_dual_mul_f32 v138, v137, v127 :: v_dual_mov_b32 v134, v137
	s_delay_alu instid0(VALU_DEP_2) | instskip(NEXT) | instid1(VALU_DEP_2)
	v_dual_mov_b32 v141, v135 :: v_dual_mov_b32 v135, v136
	v_pk_fma_f32 v[138:139], v[136:137], v[8:9], v[138:139] op_sel_hi:[1,1,0] neg_lo:[0,0,1] neg_hi:[0,0,1]
	v_mul_f32_e32 v136, v137, v124
	s_delay_alu instid0(VALU_DEP_3) | instskip(NEXT) | instid1(VALU_DEP_2)
	v_pk_add_f32 v[76:77], v[76:77], v[140:141] neg_lo:[0,1] neg_hi:[0,1]
	v_pk_fma_f32 v[134:135], v[134:135], v[8:9], v[136:137] op_sel_hi:[1,1,0]
	s_delay_alu instid0(VALU_DEP_1) | instskip(SKIP_4) | instid1(VALU_DEP_1)
	v_mov_b32_e32 v139, v135
	ds_load_2addr_b64 v[134:137], v128 offset0:35 offset1:36
	v_pk_add_f32 v[56:57], v[56:57], v[138:139] neg_lo:[0,1] neg_hi:[0,1]
	s_wait_dscnt 0x0
	v_pk_mul_f32 v[138:139], v[134:135], v[126:127] op_sel:[0,1]
	v_pk_fma_f32 v[140:141], v[134:135], v[124:125], v[138:139] op_sel:[0,0,1] op_sel_hi:[1,1,0] neg_lo:[0,0,1] neg_hi:[0,0,1]
	v_pk_fma_f32 v[134:135], v[134:135], v[124:125], v[138:139] op_sel:[0,0,1] op_sel_hi:[1,0,0]
	s_delay_alu instid0(VALU_DEP_1) | instskip(SKIP_1) | instid1(VALU_DEP_1)
	v_mov_b32_e32 v141, v135
	v_pk_mul_f32 v[134:135], v[136:137], v[126:127] op_sel:[0,1]
	v_pk_fma_f32 v[138:139], v[136:137], v[124:125], v[134:135] op_sel:[0,0,1] op_sel_hi:[1,1,0] neg_lo:[0,0,1] neg_hi:[0,0,1]
	v_pk_fma_f32 v[134:135], v[136:137], v[124:125], v[134:135] op_sel:[0,0,1] op_sel_hi:[1,0,0]
	s_delay_alu instid0(VALU_DEP_1)
	v_mov_b32_e32 v139, v135
	ds_load_2addr_b64 v[134:137], v128 offset0:37 offset1:38
	v_pk_add_f32 v[54:55], v[54:55], v[140:141] neg_lo:[0,1] neg_hi:[0,1]
	v_pk_add_f32 v[88:89], v[88:89], v[138:139] neg_lo:[0,1] neg_hi:[0,1]
	s_wait_dscnt 0x0
	v_pk_mul_f32 v[138:139], v[134:135], v[126:127] op_sel:[0,1]
	s_delay_alu instid0(VALU_DEP_1) | instskip(SKIP_1) | instid1(VALU_DEP_1)
	v_pk_fma_f32 v[140:141], v[134:135], v[124:125], v[138:139] op_sel:[0,0,1] op_sel_hi:[1,1,0] neg_lo:[0,0,1] neg_hi:[0,0,1]
	v_pk_fma_f32 v[134:135], v[134:135], v[124:125], v[138:139] op_sel:[0,0,1] op_sel_hi:[1,0,0]
	v_mov_b32_e32 v141, v135
	v_pk_mul_f32 v[134:135], v[136:137], v[126:127] op_sel:[0,1]
	s_delay_alu instid0(VALU_DEP_1) | instskip(SKIP_1) | instid1(VALU_DEP_1)
	v_pk_fma_f32 v[138:139], v[136:137], v[124:125], v[134:135] op_sel:[0,0,1] op_sel_hi:[1,1,0] neg_lo:[0,0,1] neg_hi:[0,0,1]
	v_pk_fma_f32 v[134:135], v[136:137], v[124:125], v[134:135] op_sel:[0,0,1] op_sel_hi:[1,0,0]
	v_mov_b32_e32 v139, v135
	ds_load_2addr_b64 v[134:137], v128 offset0:39 offset1:40
	v_pk_add_f32 v[86:87], v[86:87], v[140:141] neg_lo:[0,1] neg_hi:[0,1]
	v_pk_add_f32 v[64:65], v[64:65], v[138:139] neg_lo:[0,1] neg_hi:[0,1]
	s_wait_dscnt 0x0
	v_dual_mul_f32 v138, v135, v127 :: v_dual_mul_f32 v140, v135, v124
	s_delay_alu instid0(VALU_DEP_1) | instskip(NEXT) | instid1(VALU_DEP_2)
	v_pk_fma_f32 v[138:139], v[134:135], v[8:9], v[138:139] op_sel_hi:[1,1,0] neg_lo:[0,0,1] neg_hi:[0,0,1]
	v_pk_fma_f32 v[134:135], v[134:135], v[8:9], v[140:141] op_sel:[1,0,0] op_sel_hi:[0,1,0]
	s_delay_alu instid0(VALU_DEP_1) | instskip(SKIP_1) | instid1(VALU_DEP_2)
	v_mov_b32_e32 v139, v135
	v_pk_mul_f32 v[134:135], v[136:137], v[126:127] op_sel:[0,1]
	v_pk_add_f32 v[62:63], v[62:63], v[138:139] neg_lo:[0,1] neg_hi:[0,1]
	s_delay_alu instid0(VALU_DEP_2) | instskip(SKIP_1) | instid1(VALU_DEP_1)
	v_pk_fma_f32 v[138:139], v[136:137], v[124:125], v[134:135] op_sel:[0,0,1] op_sel_hi:[1,1,0] neg_lo:[0,0,1] neg_hi:[0,0,1]
	v_pk_fma_f32 v[134:135], v[136:137], v[124:125], v[134:135] op_sel:[0,0,1] op_sel_hi:[1,0,0]
	v_mov_b32_e32 v139, v135
	ds_load_2addr_b64 v[134:137], v128 offset0:41 offset1:42
	v_pk_add_f32 v[102:103], v[102:103], v[138:139] neg_lo:[0,1] neg_hi:[0,1]
	s_wait_dscnt 0x0
	v_pk_mul_f32 v[138:139], v[134:135], v[126:127] op_sel:[0,1]
	s_delay_alu instid0(VALU_DEP_1) | instskip(SKIP_1) | instid1(VALU_DEP_1)
	v_pk_fma_f32 v[140:141], v[134:135], v[124:125], v[138:139] op_sel:[0,0,1] op_sel_hi:[1,1,0] neg_lo:[0,0,1] neg_hi:[0,0,1]
	v_pk_fma_f32 v[134:135], v[134:135], v[124:125], v[138:139] op_sel:[0,0,1] op_sel_hi:[1,0,0]
	v_mov_b32_e32 v141, v135
	v_pk_mul_f32 v[134:135], v[136:137], v[126:127] op_sel:[0,1]
	s_delay_alu instid0(VALU_DEP_2) | instskip(NEXT) | instid1(VALU_DEP_2)
	v_pk_add_f32 v[100:101], v[100:101], v[140:141] neg_lo:[0,1] neg_hi:[0,1]
	v_pk_fma_f32 v[138:139], v[136:137], v[124:125], v[134:135] op_sel:[0,0,1] op_sel_hi:[1,1,0] neg_lo:[0,0,1] neg_hi:[0,0,1]
	v_pk_fma_f32 v[134:135], v[136:137], v[124:125], v[134:135] op_sel:[0,0,1] op_sel_hi:[1,0,0]
	s_delay_alu instid0(VALU_DEP_1) | instskip(SKIP_4) | instid1(VALU_DEP_1)
	v_mov_b32_e32 v139, v135
	ds_load_2addr_b64 v[134:137], v128 offset0:43 offset1:44
	v_pk_add_f32 v[72:73], v[72:73], v[138:139] neg_lo:[0,1] neg_hi:[0,1]
	s_wait_dscnt 0x0
	v_pk_mul_f32 v[138:139], v[134:135], v[126:127] op_sel:[0,1]
	v_pk_fma_f32 v[140:141], v[134:135], v[124:125], v[138:139] op_sel:[0,0,1] op_sel_hi:[1,1,0] neg_lo:[0,0,1] neg_hi:[0,0,1]
	v_pk_fma_f32 v[134:135], v[134:135], v[124:125], v[138:139] op_sel:[0,0,1] op_sel_hi:[1,0,0]
	v_dual_mul_f32 v138, v137, v127 :: v_dual_mov_b32 v134, v137
	s_delay_alu instid0(VALU_DEP_2) | instskip(NEXT) | instid1(VALU_DEP_2)
	v_dual_mov_b32 v141, v135 :: v_dual_mov_b32 v135, v136
	v_pk_fma_f32 v[138:139], v[136:137], v[8:9], v[138:139] op_sel_hi:[1,1,0] neg_lo:[0,0,1] neg_hi:[0,0,1]
	v_mul_f32_e32 v136, v137, v124
	s_delay_alu instid0(VALU_DEP_3) | instskip(NEXT) | instid1(VALU_DEP_2)
	v_pk_add_f32 v[70:71], v[70:71], v[140:141] neg_lo:[0,1] neg_hi:[0,1]
	v_pk_fma_f32 v[134:135], v[134:135], v[8:9], v[136:137] op_sel_hi:[1,1,0]
	s_delay_alu instid0(VALU_DEP_1) | instskip(SKIP_4) | instid1(VALU_DEP_1)
	v_mov_b32_e32 v139, v135
	ds_load_2addr_b64 v[134:137], v128 offset0:45 offset1:46
	v_pk_add_f32 v[110:111], v[110:111], v[138:139] neg_lo:[0,1] neg_hi:[0,1]
	s_wait_dscnt 0x0
	v_pk_mul_f32 v[138:139], v[134:135], v[126:127] op_sel:[0,1]
	v_pk_fma_f32 v[140:141], v[134:135], v[124:125], v[138:139] op_sel:[0,0,1] op_sel_hi:[1,1,0] neg_lo:[0,0,1] neg_hi:[0,0,1]
	v_pk_fma_f32 v[134:135], v[134:135], v[124:125], v[138:139] op_sel:[0,0,1] op_sel_hi:[1,0,0]
	s_delay_alu instid0(VALU_DEP_1) | instskip(SKIP_1) | instid1(VALU_DEP_1)
	v_mov_b32_e32 v141, v135
	v_pk_mul_f32 v[134:135], v[136:137], v[126:127] op_sel:[0,1]
	v_pk_fma_f32 v[138:139], v[136:137], v[124:125], v[134:135] op_sel:[0,0,1] op_sel_hi:[1,1,0] neg_lo:[0,0,1] neg_hi:[0,0,1]
	v_pk_fma_f32 v[134:135], v[136:137], v[124:125], v[134:135] op_sel:[0,0,1] op_sel_hi:[1,0,0]
	s_delay_alu instid0(VALU_DEP_1)
	v_mov_b32_e32 v139, v135
	ds_load_2addr_b64 v[134:137], v128 offset0:47 offset1:48
	v_pk_add_f32 v[108:109], v[108:109], v[140:141] neg_lo:[0,1] neg_hi:[0,1]
	v_pk_add_f32 v[82:83], v[82:83], v[138:139] neg_lo:[0,1] neg_hi:[0,1]
	s_wait_dscnt 0x0
	v_pk_mul_f32 v[138:139], v[134:135], v[126:127] op_sel:[0,1]
	s_delay_alu instid0(VALU_DEP_1) | instskip(SKIP_1) | instid1(VALU_DEP_1)
	v_pk_fma_f32 v[140:141], v[134:135], v[124:125], v[138:139] op_sel:[0,0,1] op_sel_hi:[1,1,0] neg_lo:[0,0,1] neg_hi:[0,0,1]
	v_pk_fma_f32 v[134:135], v[134:135], v[124:125], v[138:139] op_sel:[0,0,1] op_sel_hi:[1,0,0]
	v_mov_b32_e32 v141, v135
	v_pk_mul_f32 v[134:135], v[136:137], v[126:127] op_sel:[0,1]
	s_delay_alu instid0(VALU_DEP_1) | instskip(SKIP_1) | instid1(VALU_DEP_1)
	v_pk_fma_f32 v[138:139], v[136:137], v[124:125], v[134:135] op_sel:[0,0,1] op_sel_hi:[1,1,0] neg_lo:[0,0,1] neg_hi:[0,0,1]
	v_pk_fma_f32 v[134:135], v[136:137], v[124:125], v[134:135] op_sel:[0,0,1] op_sel_hi:[1,0,0]
	v_mov_b32_e32 v139, v135
	ds_load_2addr_b64 v[134:137], v128 offset0:49 offset1:50
	v_pk_add_f32 v[80:81], v[80:81], v[140:141] neg_lo:[0,1] neg_hi:[0,1]
	v_pk_add_f32 v[120:121], v[120:121], v[138:139] neg_lo:[0,1] neg_hi:[0,1]
	s_wait_dscnt 0x0
	v_dual_mul_f32 v138, v135, v127 :: v_dual_mul_f32 v140, v135, v124
	s_delay_alu instid0(VALU_DEP_1) | instskip(NEXT) | instid1(VALU_DEP_2)
	v_pk_fma_f32 v[138:139], v[134:135], v[8:9], v[138:139] op_sel_hi:[1,1,0] neg_lo:[0,0,1] neg_hi:[0,0,1]
	v_pk_fma_f32 v[134:135], v[134:135], v[8:9], v[140:141] op_sel:[1,0,0] op_sel_hi:[0,1,0]
	s_delay_alu instid0(VALU_DEP_1) | instskip(SKIP_1) | instid1(VALU_DEP_2)
	v_mov_b32_e32 v139, v135
	v_pk_mul_f32 v[134:135], v[136:137], v[126:127] op_sel:[0,1]
	v_pk_add_f32 v[118:119], v[118:119], v[138:139] neg_lo:[0,1] neg_hi:[0,1]
	s_delay_alu instid0(VALU_DEP_2) | instskip(SKIP_1) | instid1(VALU_DEP_1)
	v_pk_fma_f32 v[138:139], v[136:137], v[124:125], v[134:135] op_sel:[0,0,1] op_sel_hi:[1,1,0] neg_lo:[0,0,1] neg_hi:[0,0,1]
	v_pk_fma_f32 v[134:135], v[136:137], v[124:125], v[134:135] op_sel:[0,0,1] op_sel_hi:[1,0,0]
	v_mov_b32_e32 v139, v135
	ds_load_2addr_b64 v[134:137], v128 offset0:51 offset1:52
	v_pk_add_f32 v[94:95], v[94:95], v[138:139] neg_lo:[0,1] neg_hi:[0,1]
	s_wait_dscnt 0x0
	v_pk_mul_f32 v[138:139], v[134:135], v[126:127] op_sel:[0,1]
	s_delay_alu instid0(VALU_DEP_1) | instskip(SKIP_1) | instid1(VALU_DEP_1)
	v_pk_fma_f32 v[140:141], v[134:135], v[124:125], v[138:139] op_sel:[0,0,1] op_sel_hi:[1,1,0] neg_lo:[0,0,1] neg_hi:[0,0,1]
	v_pk_fma_f32 v[134:135], v[134:135], v[124:125], v[138:139] op_sel:[0,0,1] op_sel_hi:[1,0,0]
	v_mov_b32_e32 v141, v135
	v_pk_mul_f32 v[134:135], v[136:137], v[126:127] op_sel:[0,1]
	s_delay_alu instid0(VALU_DEP_2) | instskip(NEXT) | instid1(VALU_DEP_2)
	v_pk_add_f32 v[96:97], v[96:97], v[140:141] neg_lo:[0,1] neg_hi:[0,1]
	v_pk_fma_f32 v[138:139], v[136:137], v[124:125], v[134:135] op_sel:[0,0,1] op_sel_hi:[1,1,0] neg_lo:[0,0,1] neg_hi:[0,0,1]
	v_pk_fma_f32 v[134:135], v[136:137], v[124:125], v[134:135] op_sel:[0,0,1] op_sel_hi:[1,0,0]
	s_delay_alu instid0(VALU_DEP_1) | instskip(SKIP_4) | instid1(VALU_DEP_1)
	v_mov_b32_e32 v139, v135
	ds_load_2addr_b64 v[134:137], v128 offset0:53 offset1:54
	v_pk_add_f32 v[114:115], v[114:115], v[138:139] neg_lo:[0,1] neg_hi:[0,1]
	s_wait_dscnt 0x0
	v_pk_mul_f32 v[138:139], v[134:135], v[126:127] op_sel:[0,1]
	v_pk_fma_f32 v[140:141], v[134:135], v[124:125], v[138:139] op_sel:[0,0,1] op_sel_hi:[1,1,0] neg_lo:[0,0,1] neg_hi:[0,0,1]
	v_pk_fma_f32 v[134:135], v[134:135], v[124:125], v[138:139] op_sel:[0,0,1] op_sel_hi:[1,0,0]
	v_dual_mul_f32 v138, v137, v127 :: v_dual_mov_b32 v134, v137
	s_delay_alu instid0(VALU_DEP_2) | instskip(NEXT) | instid1(VALU_DEP_2)
	v_dual_mov_b32 v141, v135 :: v_dual_mov_b32 v135, v136
	v_pk_fma_f32 v[138:139], v[136:137], v[8:9], v[138:139] op_sel_hi:[1,1,0] neg_lo:[0,0,1] neg_hi:[0,0,1]
	v_mul_f32_e32 v136, v137, v124
	s_delay_alu instid0(VALU_DEP_3) | instskip(NEXT) | instid1(VALU_DEP_2)
	v_pk_add_f32 v[112:113], v[112:113], v[140:141] neg_lo:[0,1] neg_hi:[0,1]
	v_pk_fma_f32 v[134:135], v[134:135], v[8:9], v[136:137] op_sel_hi:[1,1,0]
	s_delay_alu instid0(VALU_DEP_1) | instskip(SKIP_4) | instid1(VALU_DEP_1)
	v_mov_b32_e32 v139, v135
	ds_load_2addr_b64 v[134:137], v128 offset0:55 offset1:56
	v_pk_add_f32 v[92:93], v[92:93], v[138:139] neg_lo:[0,1] neg_hi:[0,1]
	s_wait_dscnt 0x0
	v_pk_mul_f32 v[138:139], v[134:135], v[126:127] op_sel:[0,1]
	v_pk_fma_f32 v[140:141], v[134:135], v[124:125], v[138:139] op_sel:[0,0,1] op_sel_hi:[1,1,0] neg_lo:[0,0,1] neg_hi:[0,0,1]
	v_pk_fma_f32 v[134:135], v[134:135], v[124:125], v[138:139] op_sel:[0,0,1] op_sel_hi:[1,0,0]
	s_delay_alu instid0(VALU_DEP_1) | instskip(SKIP_1) | instid1(VALU_DEP_1)
	v_mov_b32_e32 v141, v135
	v_pk_mul_f32 v[134:135], v[136:137], v[126:127] op_sel:[0,1]
	v_pk_fma_f32 v[138:139], v[136:137], v[124:125], v[134:135] op_sel:[0,0,1] op_sel_hi:[1,1,0] neg_lo:[0,0,1] neg_hi:[0,0,1]
	v_pk_fma_f32 v[134:135], v[136:137], v[124:125], v[134:135] op_sel:[0,0,1] op_sel_hi:[1,0,0]
	s_delay_alu instid0(VALU_DEP_1)
	v_mov_b32_e32 v139, v135
	ds_load_2addr_b64 v[134:137], v128 offset0:57 offset1:58
	v_pk_add_f32 v[90:91], v[90:91], v[140:141] neg_lo:[0,1] neg_hi:[0,1]
	v_pk_add_f32 v[104:105], v[104:105], v[138:139] neg_lo:[0,1] neg_hi:[0,1]
	s_wait_dscnt 0x0
	v_pk_mul_f32 v[138:139], v[134:135], v[126:127] op_sel:[0,1]
	v_mul_f32_e32 v126, v137, v127
	s_delay_alu instid0(VALU_DEP_2) | instskip(SKIP_2) | instid1(VALU_DEP_4)
	v_pk_fma_f32 v[140:141], v[134:135], v[124:125], v[138:139] op_sel:[0,0,1] op_sel_hi:[1,1,0] neg_lo:[0,0,1] neg_hi:[0,0,1]
	v_pk_fma_f32 v[134:135], v[134:135], v[124:125], v[138:139] op_sel:[0,0,1] op_sel_hi:[1,0,0]
	v_dual_mov_b32 v134, v137 :: v_dual_mul_f32 v124, v137, v124
	v_pk_fma_f32 v[126:127], v[136:137], v[8:9], v[126:127] op_sel_hi:[1,1,0] neg_lo:[0,0,1] neg_hi:[0,0,1]
	s_delay_alu instid0(VALU_DEP_3) | instskip(NEXT) | instid1(VALU_DEP_1)
	v_dual_mov_b32 v141, v135 :: v_dual_mov_b32 v135, v136
	v_pk_add_f32 v[98:99], v[98:99], v[140:141] neg_lo:[0,1] neg_hi:[0,1]
	s_delay_alu instid0(VALU_DEP_2) | instskip(NEXT) | instid1(VALU_DEP_1)
	v_pk_fma_f32 v[124:125], v[134:135], v[8:9], v[124:125] op_sel_hi:[1,1,0]
	v_mov_b32_e32 v127, v125
	s_delay_alu instid0(VALU_DEP_1)
	v_pk_add_f32 v[122:123], v[122:123], v[126:127] neg_lo:[0,1] neg_hi:[0,1]
.LBB116_230:
	s_or_b32 exec_lo, exec_lo, s0
	v_lshl_add_u32 v124, v132, 3, v128
	s_barrier_signal -1
	s_barrier_wait -1
	ds_store_b64 v124, v[6:7]
	s_wait_dscnt 0x0
	s_barrier_signal -1
	s_barrier_wait -1
	ds_load_b64 v[126:127], v128 offset:88
	v_mov_b32_e32 v124, 11
	s_cmp_lt_i32 s18, 13
	s_cbranch_scc1 .LBB116_233
; %bb.231:
	v_add3_u32 v125, v129, 0, 0x60
	v_mov_b32_e32 v124, 11
	s_mov_b32 s0, 12
.LBB116_232:                            ; =>This Inner Loop Header: Depth=1
	ds_load_b64 v[134:135], v125
	s_wait_dscnt 0x1
	v_cmp_gt_f32_e32 vcc_lo, 0, v126
	v_cndmask_b32_e64 v136, v126, -v126, vcc_lo
	v_cmp_gt_f32_e32 vcc_lo, 0, v127
	v_cndmask_b32_e64 v138, v127, -v127, vcc_lo
	s_wait_dscnt 0x0
	v_cmp_gt_f32_e32 vcc_lo, 0, v134
	v_cndmask_b32_e64 v137, v134, -v134, vcc_lo
	v_cmp_gt_f32_e32 vcc_lo, 0, v135
	v_cndmask_b32_e64 v139, v135, -v135, vcc_lo
	s_delay_alu instid0(VALU_DEP_1) | instskip(NEXT) | instid1(VALU_DEP_1)
	v_pk_add_f32 v[136:137], v[136:137], v[138:139]
	v_cmp_lt_f32_e32 vcc_lo, v136, v137
	v_dual_add_nc_u32 v125, 8, v125 :: v_dual_cndmask_b32 v127, v127, v135, vcc_lo
	v_cndmask_b32_e32 v126, v126, v134, vcc_lo
	v_cndmask_b32_e64 v124, v124, s0, vcc_lo
	s_add_co_i32 s0, s0, 1
	s_delay_alu instid0(SALU_CYCLE_1)
	s_cmp_lg_u32 s18, s0
	s_cbranch_scc1 .LBB116_232
.LBB116_233:
	s_wait_dscnt 0x0
	v_cmp_eq_f32_e32 vcc_lo, 0, v126
	v_cmp_eq_f32_e64 s0, 0, v127
	s_and_b32 s0, vcc_lo, s0
	s_delay_alu instid0(SALU_CYCLE_1) | instskip(NEXT) | instid1(SALU_CYCLE_1)
	s_and_saveexec_b32 s1, s0
	s_xor_b32 s0, exec_lo, s1
; %bb.234:
	v_cmp_ne_u32_e32 vcc_lo, 0, v130
	v_cndmask_b32_e32 v130, 12, v130, vcc_lo
; %bb.235:
	s_and_not1_saveexec_b32 s0, s0
	s_cbranch_execz .LBB116_241
; %bb.236:
	v_cmp_ngt_f32_e64 s1, |v126|, |v127|
	s_and_saveexec_b32 s12, s1
	s_delay_alu instid0(SALU_CYCLE_1)
	s_xor_b32 s1, exec_lo, s12
	s_cbranch_execz .LBB116_238
; %bb.237:
	v_div_scale_f32 v125, null, v127, v127, v126
	v_div_scale_f32 v135, vcc_lo, v126, v127, v126
	s_delay_alu instid0(VALU_DEP_2) | instskip(SKIP_1) | instid1(TRANS32_DEP_1)
	v_rcp_f32_e32 v133, v125
	v_nop
	v_fma_f32 v134, -v125, v133, 1.0
	s_delay_alu instid0(VALU_DEP_1) | instskip(NEXT) | instid1(VALU_DEP_1)
	v_fmac_f32_e32 v133, v134, v133
	v_mul_f32_e32 v134, v135, v133
	s_delay_alu instid0(VALU_DEP_1) | instskip(NEXT) | instid1(VALU_DEP_1)
	v_fma_f32 v136, -v125, v134, v135
	v_fmac_f32_e32 v134, v136, v133
	s_delay_alu instid0(VALU_DEP_1) | instskip(NEXT) | instid1(VALU_DEP_1)
	v_fma_f32 v125, -v125, v134, v135
	v_div_fmas_f32 v125, v125, v133, v134
	s_delay_alu instid0(VALU_DEP_1) | instskip(NEXT) | instid1(VALU_DEP_1)
	v_div_fixup_f32 v125, v125, v127, v126
	v_fmac_f32_e32 v127, v126, v125
	s_delay_alu instid0(VALU_DEP_1) | instskip(SKIP_1) | instid1(VALU_DEP_2)
	v_div_scale_f32 v126, null, v127, v127, 1.0
	v_div_scale_f32 v135, vcc_lo, 1.0, v127, 1.0
	v_rcp_f32_e32 v133, v126
	v_nop
	s_delay_alu instid0(TRANS32_DEP_1) | instskip(NEXT) | instid1(VALU_DEP_1)
	v_fma_f32 v134, -v126, v133, 1.0
	v_fmac_f32_e32 v133, v134, v133
	s_delay_alu instid0(VALU_DEP_1) | instskip(NEXT) | instid1(VALU_DEP_1)
	v_mul_f32_e32 v134, v135, v133
	v_fma_f32 v136, -v126, v134, v135
	s_delay_alu instid0(VALU_DEP_1) | instskip(NEXT) | instid1(VALU_DEP_1)
	v_fmac_f32_e32 v134, v136, v133
	v_fma_f32 v126, -v126, v134, v135
	s_delay_alu instid0(VALU_DEP_1) | instskip(NEXT) | instid1(VALU_DEP_1)
	v_div_fmas_f32 v126, v126, v133, v134
	v_div_fixup_f32 v127, v126, v127, 1.0
	s_delay_alu instid0(VALU_DEP_1)
	v_mul_f32_e32 v126, v125, v127
	v_xor_b32_e32 v127, 0x80000000, v127
.LBB116_238:
	s_and_not1_saveexec_b32 s1, s1
	s_cbranch_execz .LBB116_240
; %bb.239:
	s_delay_alu instid0(VALU_DEP_1) | instskip(SKIP_1) | instid1(VALU_DEP_2)
	v_div_scale_f32 v125, null, v126, v126, v127
	v_div_scale_f32 v135, vcc_lo, v127, v126, v127
	v_rcp_f32_e32 v133, v125
	v_nop
	s_delay_alu instid0(TRANS32_DEP_1) | instskip(NEXT) | instid1(VALU_DEP_1)
	v_fma_f32 v134, -v125, v133, 1.0
	v_fmac_f32_e32 v133, v134, v133
	s_delay_alu instid0(VALU_DEP_1) | instskip(NEXT) | instid1(VALU_DEP_1)
	v_mul_f32_e32 v134, v135, v133
	v_fma_f32 v136, -v125, v134, v135
	s_delay_alu instid0(VALU_DEP_1) | instskip(NEXT) | instid1(VALU_DEP_1)
	v_fmac_f32_e32 v134, v136, v133
	v_fma_f32 v125, -v125, v134, v135
	s_delay_alu instid0(VALU_DEP_1) | instskip(NEXT) | instid1(VALU_DEP_1)
	v_div_fmas_f32 v125, v125, v133, v134
	v_div_fixup_f32 v125, v125, v126, v127
	s_delay_alu instid0(VALU_DEP_1) | instskip(NEXT) | instid1(VALU_DEP_1)
	v_fmac_f32_e32 v126, v127, v125
	v_div_scale_f32 v127, null, v126, v126, 1.0
	s_delay_alu instid0(VALU_DEP_1) | instskip(SKIP_1) | instid1(TRANS32_DEP_1)
	v_rcp_f32_e32 v133, v127
	v_nop
	v_fma_f32 v134, -v127, v133, 1.0
	s_delay_alu instid0(VALU_DEP_1) | instskip(SKIP_1) | instid1(VALU_DEP_1)
	v_fmac_f32_e32 v133, v134, v133
	v_div_scale_f32 v134, vcc_lo, 1.0, v126, 1.0
	v_mul_f32_e32 v135, v134, v133
	s_delay_alu instid0(VALU_DEP_1) | instskip(NEXT) | instid1(VALU_DEP_1)
	v_fma_f32 v136, -v127, v135, v134
	v_fmac_f32_e32 v135, v136, v133
	s_delay_alu instid0(VALU_DEP_1) | instskip(NEXT) | instid1(VALU_DEP_1)
	v_fma_f32 v127, -v127, v135, v134
	v_div_fmas_f32 v127, v127, v133, v135
	s_delay_alu instid0(VALU_DEP_1) | instskip(NEXT) | instid1(VALU_DEP_1)
	v_div_fixup_f32 v126, v127, v126, 1.0
	v_mul_f32_e64 v127, v125, -v126
.LBB116_240:
	s_or_b32 exec_lo, exec_lo, s1
.LBB116_241:
	s_delay_alu instid0(SALU_CYCLE_1) | instskip(NEXT) | instid1(SALU_CYCLE_1)
	s_or_b32 exec_lo, exec_lo, s0
	s_mov_b32 s0, exec_lo
	v_cmpx_ne_u32_e64 v132, v124
	s_xor_b32 s0, exec_lo, s0
	s_cbranch_execz .LBB116_247
; %bb.242:
	s_mov_b32 s1, exec_lo
	v_cmpx_eq_u32_e32 11, v132
	s_cbranch_execz .LBB116_246
; %bb.243:
	v_cmp_ne_u32_e32 vcc_lo, 11, v124
	s_xor_b32 s12, s16, -1
	s_delay_alu instid0(SALU_CYCLE_1) | instskip(NEXT) | instid1(SALU_CYCLE_1)
	s_and_b32 s13, s12, vcc_lo
	s_and_saveexec_b32 s12, s13
	s_cbranch_execz .LBB116_245
; %bb.244:
	v_ashrrev_i32_e32 v125, 31, v124
	s_delay_alu instid0(VALU_DEP_1)
	v_lshl_add_u64 v[132:133], v[124:125], 2, v[4:5]
	s_clause 0x1
	global_load_b32 v125, v[132:133], off
	global_load_b32 v131, v[4:5], off offset:44
	s_wait_loadcnt 0x1
	global_store_b32 v[4:5], v125, off offset:44
	s_wait_loadcnt 0x0
	global_store_b32 v[132:133], v131, off
.LBB116_245:
	s_wait_xcnt 0x0
	s_or_b32 exec_lo, exec_lo, s12
	v_dual_mov_b32 v132, v124 :: v_dual_mov_b32 v131, v124
.LBB116_246:
	s_or_b32 exec_lo, exec_lo, s1
.LBB116_247:
	s_and_not1_saveexec_b32 s0, s0
	s_cbranch_execz .LBB116_249
; %bb.248:
	v_dual_mov_b32 v124, v34 :: v_dual_mov_b32 v125, v35
	v_dual_mov_b32 v132, v32 :: v_dual_mov_b32 v133, v33
	ds_store_2addr_b64 v128, v[124:125], v[132:133] offset0:12 offset1:13
	v_dual_mov_b32 v124, v14 :: v_dual_mov_b32 v125, v15
	v_dual_mov_b32 v132, v12 :: v_dual_mov_b32 v133, v13
	ds_store_2addr_b64 v128, v[124:125], v[132:133] offset0:14 offset1:15
	;; [unrolled: 3-line block ×23, first 2 shown]
	ds_store_b64 v128, v[122:123] offset:464
	v_mov_b32_e32 v132, 11
.LBB116_249:
	s_or_b32 exec_lo, exec_lo, s0
	s_delay_alu instid0(SALU_CYCLE_1)
	s_mov_b32 s0, exec_lo
	s_wait_storecnt_dscnt 0x0
	s_barrier_signal -1
	s_barrier_wait -1
	v_cmpx_lt_i32_e32 11, v132
	s_cbranch_execz .LBB116_251
; %bb.250:
	v_pk_mul_f32 v[134:135], v[126:127], v[6:7] op_sel:[1,1] op_sel_hi:[0,1]
	s_delay_alu instid0(VALU_DEP_1)
	v_pk_fma_f32 v[124:125], v[126:127], v[6:7], v[134:135] op_sel_hi:[1,0,1] neg_lo:[0,0,1] neg_hi:[0,0,1]
	v_pk_fma_f32 v[126:127], v[126:127], v[6:7], v[134:135] op_sel_hi:[1,0,1]
	ds_load_2addr_b64 v[134:137], v128 offset0:12 offset1:13
	v_dual_mov_b32 v6, v124 :: v_dual_mov_b32 v7, v127
	s_wait_dscnt 0x0
	v_pk_mul_f32 v[138:139], v[134:135], v[126:127] op_sel:[0,1]
	s_delay_alu instid0(VALU_DEP_1) | instskip(SKIP_1) | instid1(VALU_DEP_1)
	v_pk_fma_f32 v[140:141], v[134:135], v[124:125], v[138:139] op_sel:[0,0,1] op_sel_hi:[1,1,0] neg_lo:[0,0,1] neg_hi:[0,0,1]
	v_pk_fma_f32 v[134:135], v[134:135], v[124:125], v[138:139] op_sel:[0,0,1] op_sel_hi:[1,0,0]
	v_mov_b32_e32 v141, v135
	v_pk_mul_f32 v[134:135], v[136:137], v[126:127] op_sel:[0,1]
	s_delay_alu instid0(VALU_DEP_1) | instskip(SKIP_1) | instid1(VALU_DEP_1)
	v_pk_fma_f32 v[138:139], v[136:137], v[124:125], v[134:135] op_sel:[0,0,1] op_sel_hi:[1,1,0] neg_lo:[0,0,1] neg_hi:[0,0,1]
	v_pk_fma_f32 v[134:135], v[136:137], v[124:125], v[134:135] op_sel:[0,0,1] op_sel_hi:[1,0,0]
	v_mov_b32_e32 v139, v135
	ds_load_2addr_b64 v[134:137], v128 offset0:14 offset1:15
	v_pk_add_f32 v[34:35], v[34:35], v[140:141] neg_lo:[0,1] neg_hi:[0,1]
	v_pk_add_f32 v[32:33], v[32:33], v[138:139] neg_lo:[0,1] neg_hi:[0,1]
	s_wait_dscnt 0x0
	v_pk_mul_f32 v[138:139], v[134:135], v[126:127] op_sel:[0,1]
	s_delay_alu instid0(VALU_DEP_1) | instskip(SKIP_2) | instid1(VALU_DEP_2)
	v_pk_fma_f32 v[140:141], v[134:135], v[124:125], v[138:139] op_sel:[0,0,1] op_sel_hi:[1,1,0] neg_lo:[0,0,1] neg_hi:[0,0,1]
	v_pk_fma_f32 v[134:135], v[134:135], v[124:125], v[138:139] op_sel:[0,0,1] op_sel_hi:[1,0,0]
	v_dual_mul_f32 v138, v137, v127 :: v_dual_mov_b32 v134, v137
	v_dual_mov_b32 v141, v135 :: v_dual_mov_b32 v135, v136
	s_delay_alu instid0(VALU_DEP_2) | instskip(SKIP_1) | instid1(VALU_DEP_3)
	v_pk_fma_f32 v[138:139], v[136:137], v[6:7], v[138:139] op_sel_hi:[1,1,0] neg_lo:[0,0,1] neg_hi:[0,0,1]
	v_mul_f32_e32 v136, v137, v124
	v_pk_add_f32 v[14:15], v[14:15], v[140:141] neg_lo:[0,1] neg_hi:[0,1]
	s_delay_alu instid0(VALU_DEP_2) | instskip(NEXT) | instid1(VALU_DEP_1)
	v_pk_fma_f32 v[134:135], v[134:135], v[6:7], v[136:137] op_sel_hi:[1,1,0]
	v_mov_b32_e32 v139, v135
	ds_load_2addr_b64 v[134:137], v128 offset0:16 offset1:17
	v_pk_add_f32 v[12:13], v[12:13], v[138:139] neg_lo:[0,1] neg_hi:[0,1]
	s_wait_dscnt 0x0
	v_pk_mul_f32 v[138:139], v[134:135], v[126:127] op_sel:[0,1]
	s_delay_alu instid0(VALU_DEP_1) | instskip(SKIP_1) | instid1(VALU_DEP_1)
	v_pk_fma_f32 v[140:141], v[134:135], v[124:125], v[138:139] op_sel:[0,0,1] op_sel_hi:[1,1,0] neg_lo:[0,0,1] neg_hi:[0,0,1]
	v_pk_fma_f32 v[134:135], v[134:135], v[124:125], v[138:139] op_sel:[0,0,1] op_sel_hi:[1,0,0]
	v_mov_b32_e32 v141, v135
	v_pk_mul_f32 v[134:135], v[136:137], v[126:127] op_sel:[0,1]
	s_delay_alu instid0(VALU_DEP_1) | instskip(SKIP_1) | instid1(VALU_DEP_1)
	v_pk_fma_f32 v[138:139], v[136:137], v[124:125], v[134:135] op_sel:[0,0,1] op_sel_hi:[1,1,0] neg_lo:[0,0,1] neg_hi:[0,0,1]
	v_pk_fma_f32 v[134:135], v[136:137], v[124:125], v[134:135] op_sel:[0,0,1] op_sel_hi:[1,0,0]
	v_mov_b32_e32 v139, v135
	ds_load_2addr_b64 v[134:137], v128 offset0:18 offset1:19
	v_pk_add_f32 v[44:45], v[44:45], v[140:141] neg_lo:[0,1] neg_hi:[0,1]
	v_pk_add_f32 v[42:43], v[42:43], v[138:139] neg_lo:[0,1] neg_hi:[0,1]
	s_wait_dscnt 0x0
	v_pk_mul_f32 v[138:139], v[134:135], v[126:127] op_sel:[0,1]
	s_delay_alu instid0(VALU_DEP_1) | instskip(SKIP_1) | instid1(VALU_DEP_1)
	v_pk_fma_f32 v[140:141], v[134:135], v[124:125], v[138:139] op_sel:[0,0,1] op_sel_hi:[1,1,0] neg_lo:[0,0,1] neg_hi:[0,0,1]
	v_pk_fma_f32 v[134:135], v[134:135], v[124:125], v[138:139] op_sel:[0,0,1] op_sel_hi:[1,0,0]
	v_mov_b32_e32 v141, v135
	v_pk_mul_f32 v[134:135], v[136:137], v[126:127] op_sel:[0,1]
	s_delay_alu instid0(VALU_DEP_1) | instskip(SKIP_1) | instid1(VALU_DEP_1)
	v_pk_fma_f32 v[138:139], v[136:137], v[124:125], v[134:135] op_sel:[0,0,1] op_sel_hi:[1,1,0] neg_lo:[0,0,1] neg_hi:[0,0,1]
	v_pk_fma_f32 v[134:135], v[136:137], v[124:125], v[134:135] op_sel:[0,0,1] op_sel_hi:[1,0,0]
	v_mov_b32_e32 v139, v135
	ds_load_2addr_b64 v[134:137], v128 offset0:20 offset1:21
	v_pk_add_f32 v[20:21], v[20:21], v[140:141] neg_lo:[0,1] neg_hi:[0,1]
	v_pk_add_f32 v[18:19], v[18:19], v[138:139] neg_lo:[0,1] neg_hi:[0,1]
	s_wait_dscnt 0x0
	v_dual_mul_f32 v138, v135, v127 :: v_dual_mul_f32 v140, v135, v124
	s_delay_alu instid0(VALU_DEP_1) | instskip(NEXT) | instid1(VALU_DEP_2)
	v_pk_fma_f32 v[138:139], v[134:135], v[6:7], v[138:139] op_sel_hi:[1,1,0] neg_lo:[0,0,1] neg_hi:[0,0,1]
	v_pk_fma_f32 v[134:135], v[134:135], v[6:7], v[140:141] op_sel:[1,0,0] op_sel_hi:[0,1,0]
	s_delay_alu instid0(VALU_DEP_1) | instskip(SKIP_1) | instid1(VALU_DEP_2)
	v_mov_b32_e32 v139, v135
	v_pk_mul_f32 v[134:135], v[136:137], v[126:127] op_sel:[0,1]
	v_pk_add_f32 v[52:53], v[52:53], v[138:139] neg_lo:[0,1] neg_hi:[0,1]
	s_delay_alu instid0(VALU_DEP_2) | instskip(SKIP_1) | instid1(VALU_DEP_1)
	v_pk_fma_f32 v[138:139], v[136:137], v[124:125], v[134:135] op_sel:[0,0,1] op_sel_hi:[1,1,0] neg_lo:[0,0,1] neg_hi:[0,0,1]
	v_pk_fma_f32 v[134:135], v[136:137], v[124:125], v[134:135] op_sel:[0,0,1] op_sel_hi:[1,0,0]
	v_mov_b32_e32 v139, v135
	ds_load_2addr_b64 v[134:137], v128 offset0:22 offset1:23
	v_pk_add_f32 v[50:51], v[50:51], v[138:139] neg_lo:[0,1] neg_hi:[0,1]
	s_wait_dscnt 0x0
	v_pk_mul_f32 v[138:139], v[134:135], v[126:127] op_sel:[0,1]
	s_delay_alu instid0(VALU_DEP_1) | instskip(SKIP_1) | instid1(VALU_DEP_1)
	v_pk_fma_f32 v[140:141], v[134:135], v[124:125], v[138:139] op_sel:[0,0,1] op_sel_hi:[1,1,0] neg_lo:[0,0,1] neg_hi:[0,0,1]
	v_pk_fma_f32 v[134:135], v[134:135], v[124:125], v[138:139] op_sel:[0,0,1] op_sel_hi:[1,0,0]
	v_mov_b32_e32 v141, v135
	v_pk_mul_f32 v[134:135], v[136:137], v[126:127] op_sel:[0,1]
	s_delay_alu instid0(VALU_DEP_2) | instskip(NEXT) | instid1(VALU_DEP_2)
	v_pk_add_f32 v[28:29], v[28:29], v[140:141] neg_lo:[0,1] neg_hi:[0,1]
	v_pk_fma_f32 v[138:139], v[136:137], v[124:125], v[134:135] op_sel:[0,0,1] op_sel_hi:[1,1,0] neg_lo:[0,0,1] neg_hi:[0,0,1]
	v_pk_fma_f32 v[134:135], v[136:137], v[124:125], v[134:135] op_sel:[0,0,1] op_sel_hi:[1,0,0]
	s_delay_alu instid0(VALU_DEP_1) | instskip(SKIP_4) | instid1(VALU_DEP_1)
	v_mov_b32_e32 v139, v135
	ds_load_2addr_b64 v[134:137], v128 offset0:24 offset1:25
	v_pk_add_f32 v[26:27], v[26:27], v[138:139] neg_lo:[0,1] neg_hi:[0,1]
	s_wait_dscnt 0x0
	v_pk_mul_f32 v[138:139], v[134:135], v[126:127] op_sel:[0,1]
	v_pk_fma_f32 v[140:141], v[134:135], v[124:125], v[138:139] op_sel:[0,0,1] op_sel_hi:[1,1,0] neg_lo:[0,0,1] neg_hi:[0,0,1]
	v_pk_fma_f32 v[134:135], v[134:135], v[124:125], v[138:139] op_sel:[0,0,1] op_sel_hi:[1,0,0]
	v_dual_mul_f32 v138, v137, v127 :: v_dual_mov_b32 v134, v137
	s_delay_alu instid0(VALU_DEP_2) | instskip(NEXT) | instid1(VALU_DEP_2)
	v_dual_mov_b32 v141, v135 :: v_dual_mov_b32 v135, v136
	v_pk_fma_f32 v[138:139], v[136:137], v[6:7], v[138:139] op_sel_hi:[1,1,0] neg_lo:[0,0,1] neg_hi:[0,0,1]
	v_mul_f32_e32 v136, v137, v124
	s_delay_alu instid0(VALU_DEP_3) | instskip(NEXT) | instid1(VALU_DEP_2)
	v_pk_add_f32 v[60:61], v[60:61], v[140:141] neg_lo:[0,1] neg_hi:[0,1]
	v_pk_fma_f32 v[134:135], v[134:135], v[6:7], v[136:137] op_sel_hi:[1,1,0]
	s_delay_alu instid0(VALU_DEP_1) | instskip(SKIP_4) | instid1(VALU_DEP_1)
	v_mov_b32_e32 v139, v135
	ds_load_2addr_b64 v[134:137], v128 offset0:26 offset1:27
	v_pk_add_f32 v[58:59], v[58:59], v[138:139] neg_lo:[0,1] neg_hi:[0,1]
	s_wait_dscnt 0x0
	v_pk_mul_f32 v[138:139], v[134:135], v[126:127] op_sel:[0,1]
	v_pk_fma_f32 v[140:141], v[134:135], v[124:125], v[138:139] op_sel:[0,0,1] op_sel_hi:[1,1,0] neg_lo:[0,0,1] neg_hi:[0,0,1]
	v_pk_fma_f32 v[134:135], v[134:135], v[124:125], v[138:139] op_sel:[0,0,1] op_sel_hi:[1,0,0]
	s_delay_alu instid0(VALU_DEP_1) | instskip(SKIP_1) | instid1(VALU_DEP_1)
	v_mov_b32_e32 v141, v135
	v_pk_mul_f32 v[134:135], v[136:137], v[126:127] op_sel:[0,1]
	v_pk_fma_f32 v[138:139], v[136:137], v[124:125], v[134:135] op_sel:[0,0,1] op_sel_hi:[1,1,0] neg_lo:[0,0,1] neg_hi:[0,0,1]
	v_pk_fma_f32 v[134:135], v[136:137], v[124:125], v[134:135] op_sel:[0,0,1] op_sel_hi:[1,0,0]
	s_delay_alu instid0(VALU_DEP_1)
	v_mov_b32_e32 v139, v135
	ds_load_2addr_b64 v[134:137], v128 offset0:28 offset1:29
	v_pk_add_f32 v[38:39], v[38:39], v[140:141] neg_lo:[0,1] neg_hi:[0,1]
	v_pk_add_f32 v[36:37], v[36:37], v[138:139] neg_lo:[0,1] neg_hi:[0,1]
	s_wait_dscnt 0x0
	v_pk_mul_f32 v[138:139], v[134:135], v[126:127] op_sel:[0,1]
	s_delay_alu instid0(VALU_DEP_1) | instskip(SKIP_1) | instid1(VALU_DEP_1)
	v_pk_fma_f32 v[140:141], v[134:135], v[124:125], v[138:139] op_sel:[0,0,1] op_sel_hi:[1,1,0] neg_lo:[0,0,1] neg_hi:[0,0,1]
	v_pk_fma_f32 v[134:135], v[134:135], v[124:125], v[138:139] op_sel:[0,0,1] op_sel_hi:[1,0,0]
	v_mov_b32_e32 v141, v135
	v_pk_mul_f32 v[134:135], v[136:137], v[126:127] op_sel:[0,1]
	s_delay_alu instid0(VALU_DEP_1) | instskip(SKIP_1) | instid1(VALU_DEP_1)
	v_pk_fma_f32 v[138:139], v[136:137], v[124:125], v[134:135] op_sel:[0,0,1] op_sel_hi:[1,1,0] neg_lo:[0,0,1] neg_hi:[0,0,1]
	v_pk_fma_f32 v[134:135], v[136:137], v[124:125], v[134:135] op_sel:[0,0,1] op_sel_hi:[1,0,0]
	v_mov_b32_e32 v139, v135
	ds_load_2addr_b64 v[134:137], v128 offset0:30 offset1:31
	v_pk_add_f32 v[68:69], v[68:69], v[140:141] neg_lo:[0,1] neg_hi:[0,1]
	v_pk_add_f32 v[66:67], v[66:67], v[138:139] neg_lo:[0,1] neg_hi:[0,1]
	s_wait_dscnt 0x0
	v_dual_mul_f32 v138, v135, v127 :: v_dual_mul_f32 v140, v135, v124
	s_delay_alu instid0(VALU_DEP_1) | instskip(NEXT) | instid1(VALU_DEP_2)
	v_pk_fma_f32 v[138:139], v[134:135], v[6:7], v[138:139] op_sel_hi:[1,1,0] neg_lo:[0,0,1] neg_hi:[0,0,1]
	v_pk_fma_f32 v[134:135], v[134:135], v[6:7], v[140:141] op_sel:[1,0,0] op_sel_hi:[0,1,0]
	s_delay_alu instid0(VALU_DEP_1) | instskip(SKIP_1) | instid1(VALU_DEP_2)
	v_mov_b32_e32 v139, v135
	v_pk_mul_f32 v[134:135], v[136:137], v[126:127] op_sel:[0,1]
	v_pk_add_f32 v[48:49], v[48:49], v[138:139] neg_lo:[0,1] neg_hi:[0,1]
	s_delay_alu instid0(VALU_DEP_2) | instskip(SKIP_1) | instid1(VALU_DEP_1)
	v_pk_fma_f32 v[138:139], v[136:137], v[124:125], v[134:135] op_sel:[0,0,1] op_sel_hi:[1,1,0] neg_lo:[0,0,1] neg_hi:[0,0,1]
	v_pk_fma_f32 v[134:135], v[136:137], v[124:125], v[134:135] op_sel:[0,0,1] op_sel_hi:[1,0,0]
	v_mov_b32_e32 v139, v135
	ds_load_2addr_b64 v[134:137], v128 offset0:32 offset1:33
	v_pk_add_f32 v[46:47], v[46:47], v[138:139] neg_lo:[0,1] neg_hi:[0,1]
	s_wait_dscnt 0x0
	v_pk_mul_f32 v[138:139], v[134:135], v[126:127] op_sel:[0,1]
	s_delay_alu instid0(VALU_DEP_1) | instskip(SKIP_1) | instid1(VALU_DEP_1)
	v_pk_fma_f32 v[140:141], v[134:135], v[124:125], v[138:139] op_sel:[0,0,1] op_sel_hi:[1,1,0] neg_lo:[0,0,1] neg_hi:[0,0,1]
	v_pk_fma_f32 v[134:135], v[134:135], v[124:125], v[138:139] op_sel:[0,0,1] op_sel_hi:[1,0,0]
	v_mov_b32_e32 v141, v135
	v_pk_mul_f32 v[134:135], v[136:137], v[126:127] op_sel:[0,1]
	s_delay_alu instid0(VALU_DEP_2) | instskip(NEXT) | instid1(VALU_DEP_2)
	v_pk_add_f32 v[78:79], v[78:79], v[140:141] neg_lo:[0,1] neg_hi:[0,1]
	v_pk_fma_f32 v[138:139], v[136:137], v[124:125], v[134:135] op_sel:[0,0,1] op_sel_hi:[1,1,0] neg_lo:[0,0,1] neg_hi:[0,0,1]
	v_pk_fma_f32 v[134:135], v[136:137], v[124:125], v[134:135] op_sel:[0,0,1] op_sel_hi:[1,0,0]
	s_delay_alu instid0(VALU_DEP_1) | instskip(SKIP_4) | instid1(VALU_DEP_1)
	v_mov_b32_e32 v139, v135
	ds_load_2addr_b64 v[134:137], v128 offset0:34 offset1:35
	v_pk_add_f32 v[76:77], v[76:77], v[138:139] neg_lo:[0,1] neg_hi:[0,1]
	s_wait_dscnt 0x0
	v_pk_mul_f32 v[138:139], v[134:135], v[126:127] op_sel:[0,1]
	v_pk_fma_f32 v[140:141], v[134:135], v[124:125], v[138:139] op_sel:[0,0,1] op_sel_hi:[1,1,0] neg_lo:[0,0,1] neg_hi:[0,0,1]
	v_pk_fma_f32 v[134:135], v[134:135], v[124:125], v[138:139] op_sel:[0,0,1] op_sel_hi:[1,0,0]
	v_dual_mul_f32 v138, v137, v127 :: v_dual_mov_b32 v134, v137
	s_delay_alu instid0(VALU_DEP_2) | instskip(NEXT) | instid1(VALU_DEP_2)
	v_dual_mov_b32 v141, v135 :: v_dual_mov_b32 v135, v136
	v_pk_fma_f32 v[138:139], v[136:137], v[6:7], v[138:139] op_sel_hi:[1,1,0] neg_lo:[0,0,1] neg_hi:[0,0,1]
	v_mul_f32_e32 v136, v137, v124
	s_delay_alu instid0(VALU_DEP_3) | instskip(NEXT) | instid1(VALU_DEP_2)
	v_pk_add_f32 v[56:57], v[56:57], v[140:141] neg_lo:[0,1] neg_hi:[0,1]
	v_pk_fma_f32 v[134:135], v[134:135], v[6:7], v[136:137] op_sel_hi:[1,1,0]
	s_delay_alu instid0(VALU_DEP_1) | instskip(SKIP_4) | instid1(VALU_DEP_1)
	v_mov_b32_e32 v139, v135
	ds_load_2addr_b64 v[134:137], v128 offset0:36 offset1:37
	v_pk_add_f32 v[54:55], v[54:55], v[138:139] neg_lo:[0,1] neg_hi:[0,1]
	s_wait_dscnt 0x0
	v_pk_mul_f32 v[138:139], v[134:135], v[126:127] op_sel:[0,1]
	v_pk_fma_f32 v[140:141], v[134:135], v[124:125], v[138:139] op_sel:[0,0,1] op_sel_hi:[1,1,0] neg_lo:[0,0,1] neg_hi:[0,0,1]
	v_pk_fma_f32 v[134:135], v[134:135], v[124:125], v[138:139] op_sel:[0,0,1] op_sel_hi:[1,0,0]
	s_delay_alu instid0(VALU_DEP_1) | instskip(SKIP_1) | instid1(VALU_DEP_1)
	v_mov_b32_e32 v141, v135
	v_pk_mul_f32 v[134:135], v[136:137], v[126:127] op_sel:[0,1]
	v_pk_fma_f32 v[138:139], v[136:137], v[124:125], v[134:135] op_sel:[0,0,1] op_sel_hi:[1,1,0] neg_lo:[0,0,1] neg_hi:[0,0,1]
	v_pk_fma_f32 v[134:135], v[136:137], v[124:125], v[134:135] op_sel:[0,0,1] op_sel_hi:[1,0,0]
	s_delay_alu instid0(VALU_DEP_1)
	v_mov_b32_e32 v139, v135
	ds_load_2addr_b64 v[134:137], v128 offset0:38 offset1:39
	v_pk_add_f32 v[88:89], v[88:89], v[140:141] neg_lo:[0,1] neg_hi:[0,1]
	v_pk_add_f32 v[86:87], v[86:87], v[138:139] neg_lo:[0,1] neg_hi:[0,1]
	s_wait_dscnt 0x0
	v_pk_mul_f32 v[138:139], v[134:135], v[126:127] op_sel:[0,1]
	s_delay_alu instid0(VALU_DEP_1) | instskip(SKIP_1) | instid1(VALU_DEP_1)
	v_pk_fma_f32 v[140:141], v[134:135], v[124:125], v[138:139] op_sel:[0,0,1] op_sel_hi:[1,1,0] neg_lo:[0,0,1] neg_hi:[0,0,1]
	v_pk_fma_f32 v[134:135], v[134:135], v[124:125], v[138:139] op_sel:[0,0,1] op_sel_hi:[1,0,0]
	v_mov_b32_e32 v141, v135
	v_pk_mul_f32 v[134:135], v[136:137], v[126:127] op_sel:[0,1]
	s_delay_alu instid0(VALU_DEP_1) | instskip(SKIP_1) | instid1(VALU_DEP_1)
	v_pk_fma_f32 v[138:139], v[136:137], v[124:125], v[134:135] op_sel:[0,0,1] op_sel_hi:[1,1,0] neg_lo:[0,0,1] neg_hi:[0,0,1]
	v_pk_fma_f32 v[134:135], v[136:137], v[124:125], v[134:135] op_sel:[0,0,1] op_sel_hi:[1,0,0]
	v_mov_b32_e32 v139, v135
	ds_load_2addr_b64 v[134:137], v128 offset0:40 offset1:41
	v_pk_add_f32 v[64:65], v[64:65], v[140:141] neg_lo:[0,1] neg_hi:[0,1]
	v_pk_add_f32 v[62:63], v[62:63], v[138:139] neg_lo:[0,1] neg_hi:[0,1]
	s_wait_dscnt 0x0
	v_dual_mul_f32 v138, v135, v127 :: v_dual_mul_f32 v140, v135, v124
	s_delay_alu instid0(VALU_DEP_1) | instskip(NEXT) | instid1(VALU_DEP_2)
	v_pk_fma_f32 v[138:139], v[134:135], v[6:7], v[138:139] op_sel_hi:[1,1,0] neg_lo:[0,0,1] neg_hi:[0,0,1]
	v_pk_fma_f32 v[134:135], v[134:135], v[6:7], v[140:141] op_sel:[1,0,0] op_sel_hi:[0,1,0]
	s_delay_alu instid0(VALU_DEP_1) | instskip(SKIP_1) | instid1(VALU_DEP_2)
	v_mov_b32_e32 v139, v135
	v_pk_mul_f32 v[134:135], v[136:137], v[126:127] op_sel:[0,1]
	v_pk_add_f32 v[102:103], v[102:103], v[138:139] neg_lo:[0,1] neg_hi:[0,1]
	s_delay_alu instid0(VALU_DEP_2) | instskip(SKIP_1) | instid1(VALU_DEP_1)
	v_pk_fma_f32 v[138:139], v[136:137], v[124:125], v[134:135] op_sel:[0,0,1] op_sel_hi:[1,1,0] neg_lo:[0,0,1] neg_hi:[0,0,1]
	v_pk_fma_f32 v[134:135], v[136:137], v[124:125], v[134:135] op_sel:[0,0,1] op_sel_hi:[1,0,0]
	v_mov_b32_e32 v139, v135
	ds_load_2addr_b64 v[134:137], v128 offset0:42 offset1:43
	v_pk_add_f32 v[100:101], v[100:101], v[138:139] neg_lo:[0,1] neg_hi:[0,1]
	s_wait_dscnt 0x0
	v_pk_mul_f32 v[138:139], v[134:135], v[126:127] op_sel:[0,1]
	s_delay_alu instid0(VALU_DEP_1) | instskip(SKIP_1) | instid1(VALU_DEP_1)
	v_pk_fma_f32 v[140:141], v[134:135], v[124:125], v[138:139] op_sel:[0,0,1] op_sel_hi:[1,1,0] neg_lo:[0,0,1] neg_hi:[0,0,1]
	v_pk_fma_f32 v[134:135], v[134:135], v[124:125], v[138:139] op_sel:[0,0,1] op_sel_hi:[1,0,0]
	v_mov_b32_e32 v141, v135
	v_pk_mul_f32 v[134:135], v[136:137], v[126:127] op_sel:[0,1]
	s_delay_alu instid0(VALU_DEP_2) | instskip(NEXT) | instid1(VALU_DEP_2)
	v_pk_add_f32 v[72:73], v[72:73], v[140:141] neg_lo:[0,1] neg_hi:[0,1]
	v_pk_fma_f32 v[138:139], v[136:137], v[124:125], v[134:135] op_sel:[0,0,1] op_sel_hi:[1,1,0] neg_lo:[0,0,1] neg_hi:[0,0,1]
	v_pk_fma_f32 v[134:135], v[136:137], v[124:125], v[134:135] op_sel:[0,0,1] op_sel_hi:[1,0,0]
	s_delay_alu instid0(VALU_DEP_1) | instskip(SKIP_4) | instid1(VALU_DEP_1)
	v_mov_b32_e32 v139, v135
	ds_load_2addr_b64 v[134:137], v128 offset0:44 offset1:45
	v_pk_add_f32 v[70:71], v[70:71], v[138:139] neg_lo:[0,1] neg_hi:[0,1]
	s_wait_dscnt 0x0
	v_pk_mul_f32 v[138:139], v[134:135], v[126:127] op_sel:[0,1]
	v_pk_fma_f32 v[140:141], v[134:135], v[124:125], v[138:139] op_sel:[0,0,1] op_sel_hi:[1,1,0] neg_lo:[0,0,1] neg_hi:[0,0,1]
	v_pk_fma_f32 v[134:135], v[134:135], v[124:125], v[138:139] op_sel:[0,0,1] op_sel_hi:[1,0,0]
	v_dual_mul_f32 v138, v137, v127 :: v_dual_mov_b32 v134, v137
	s_delay_alu instid0(VALU_DEP_2) | instskip(NEXT) | instid1(VALU_DEP_2)
	v_dual_mov_b32 v141, v135 :: v_dual_mov_b32 v135, v136
	v_pk_fma_f32 v[138:139], v[136:137], v[6:7], v[138:139] op_sel_hi:[1,1,0] neg_lo:[0,0,1] neg_hi:[0,0,1]
	v_mul_f32_e32 v136, v137, v124
	s_delay_alu instid0(VALU_DEP_3) | instskip(NEXT) | instid1(VALU_DEP_2)
	v_pk_add_f32 v[110:111], v[110:111], v[140:141] neg_lo:[0,1] neg_hi:[0,1]
	v_pk_fma_f32 v[134:135], v[134:135], v[6:7], v[136:137] op_sel_hi:[1,1,0]
	s_delay_alu instid0(VALU_DEP_1) | instskip(SKIP_4) | instid1(VALU_DEP_1)
	v_mov_b32_e32 v139, v135
	ds_load_2addr_b64 v[134:137], v128 offset0:46 offset1:47
	v_pk_add_f32 v[108:109], v[108:109], v[138:139] neg_lo:[0,1] neg_hi:[0,1]
	s_wait_dscnt 0x0
	v_pk_mul_f32 v[138:139], v[134:135], v[126:127] op_sel:[0,1]
	v_pk_fma_f32 v[140:141], v[134:135], v[124:125], v[138:139] op_sel:[0,0,1] op_sel_hi:[1,1,0] neg_lo:[0,0,1] neg_hi:[0,0,1]
	v_pk_fma_f32 v[134:135], v[134:135], v[124:125], v[138:139] op_sel:[0,0,1] op_sel_hi:[1,0,0]
	s_delay_alu instid0(VALU_DEP_1) | instskip(SKIP_1) | instid1(VALU_DEP_1)
	v_mov_b32_e32 v141, v135
	v_pk_mul_f32 v[134:135], v[136:137], v[126:127] op_sel:[0,1]
	v_pk_fma_f32 v[138:139], v[136:137], v[124:125], v[134:135] op_sel:[0,0,1] op_sel_hi:[1,1,0] neg_lo:[0,0,1] neg_hi:[0,0,1]
	v_pk_fma_f32 v[134:135], v[136:137], v[124:125], v[134:135] op_sel:[0,0,1] op_sel_hi:[1,0,0]
	s_delay_alu instid0(VALU_DEP_1)
	v_mov_b32_e32 v139, v135
	ds_load_2addr_b64 v[134:137], v128 offset0:48 offset1:49
	v_pk_add_f32 v[82:83], v[82:83], v[140:141] neg_lo:[0,1] neg_hi:[0,1]
	v_pk_add_f32 v[80:81], v[80:81], v[138:139] neg_lo:[0,1] neg_hi:[0,1]
	s_wait_dscnt 0x0
	v_pk_mul_f32 v[138:139], v[134:135], v[126:127] op_sel:[0,1]
	s_delay_alu instid0(VALU_DEP_1) | instskip(SKIP_1) | instid1(VALU_DEP_1)
	v_pk_fma_f32 v[140:141], v[134:135], v[124:125], v[138:139] op_sel:[0,0,1] op_sel_hi:[1,1,0] neg_lo:[0,0,1] neg_hi:[0,0,1]
	v_pk_fma_f32 v[134:135], v[134:135], v[124:125], v[138:139] op_sel:[0,0,1] op_sel_hi:[1,0,0]
	v_mov_b32_e32 v141, v135
	v_pk_mul_f32 v[134:135], v[136:137], v[126:127] op_sel:[0,1]
	s_delay_alu instid0(VALU_DEP_1) | instskip(SKIP_1) | instid1(VALU_DEP_1)
	v_pk_fma_f32 v[138:139], v[136:137], v[124:125], v[134:135] op_sel:[0,0,1] op_sel_hi:[1,1,0] neg_lo:[0,0,1] neg_hi:[0,0,1]
	v_pk_fma_f32 v[134:135], v[136:137], v[124:125], v[134:135] op_sel:[0,0,1] op_sel_hi:[1,0,0]
	v_mov_b32_e32 v139, v135
	ds_load_2addr_b64 v[134:137], v128 offset0:50 offset1:51
	v_pk_add_f32 v[120:121], v[120:121], v[140:141] neg_lo:[0,1] neg_hi:[0,1]
	v_pk_add_f32 v[118:119], v[118:119], v[138:139] neg_lo:[0,1] neg_hi:[0,1]
	s_wait_dscnt 0x0
	v_dual_mul_f32 v138, v135, v127 :: v_dual_mul_f32 v140, v135, v124
	s_delay_alu instid0(VALU_DEP_1) | instskip(NEXT) | instid1(VALU_DEP_2)
	v_pk_fma_f32 v[138:139], v[134:135], v[6:7], v[138:139] op_sel_hi:[1,1,0] neg_lo:[0,0,1] neg_hi:[0,0,1]
	v_pk_fma_f32 v[134:135], v[134:135], v[6:7], v[140:141] op_sel:[1,0,0] op_sel_hi:[0,1,0]
	s_delay_alu instid0(VALU_DEP_1) | instskip(SKIP_1) | instid1(VALU_DEP_2)
	v_mov_b32_e32 v139, v135
	v_pk_mul_f32 v[134:135], v[136:137], v[126:127] op_sel:[0,1]
	v_pk_add_f32 v[94:95], v[94:95], v[138:139] neg_lo:[0,1] neg_hi:[0,1]
	s_delay_alu instid0(VALU_DEP_2) | instskip(SKIP_1) | instid1(VALU_DEP_1)
	v_pk_fma_f32 v[138:139], v[136:137], v[124:125], v[134:135] op_sel:[0,0,1] op_sel_hi:[1,1,0] neg_lo:[0,0,1] neg_hi:[0,0,1]
	v_pk_fma_f32 v[134:135], v[136:137], v[124:125], v[134:135] op_sel:[0,0,1] op_sel_hi:[1,0,0]
	v_mov_b32_e32 v139, v135
	ds_load_2addr_b64 v[134:137], v128 offset0:52 offset1:53
	v_pk_add_f32 v[96:97], v[96:97], v[138:139] neg_lo:[0,1] neg_hi:[0,1]
	s_wait_dscnt 0x0
	v_pk_mul_f32 v[138:139], v[134:135], v[126:127] op_sel:[0,1]
	s_delay_alu instid0(VALU_DEP_1) | instskip(SKIP_1) | instid1(VALU_DEP_1)
	v_pk_fma_f32 v[140:141], v[134:135], v[124:125], v[138:139] op_sel:[0,0,1] op_sel_hi:[1,1,0] neg_lo:[0,0,1] neg_hi:[0,0,1]
	v_pk_fma_f32 v[134:135], v[134:135], v[124:125], v[138:139] op_sel:[0,0,1] op_sel_hi:[1,0,0]
	v_mov_b32_e32 v141, v135
	v_pk_mul_f32 v[134:135], v[136:137], v[126:127] op_sel:[0,1]
	s_delay_alu instid0(VALU_DEP_2) | instskip(NEXT) | instid1(VALU_DEP_2)
	v_pk_add_f32 v[114:115], v[114:115], v[140:141] neg_lo:[0,1] neg_hi:[0,1]
	v_pk_fma_f32 v[138:139], v[136:137], v[124:125], v[134:135] op_sel:[0,0,1] op_sel_hi:[1,1,0] neg_lo:[0,0,1] neg_hi:[0,0,1]
	v_pk_fma_f32 v[134:135], v[136:137], v[124:125], v[134:135] op_sel:[0,0,1] op_sel_hi:[1,0,0]
	s_delay_alu instid0(VALU_DEP_1) | instskip(SKIP_4) | instid1(VALU_DEP_1)
	v_mov_b32_e32 v139, v135
	ds_load_2addr_b64 v[134:137], v128 offset0:54 offset1:55
	v_pk_add_f32 v[112:113], v[112:113], v[138:139] neg_lo:[0,1] neg_hi:[0,1]
	s_wait_dscnt 0x0
	v_pk_mul_f32 v[138:139], v[134:135], v[126:127] op_sel:[0,1]
	v_pk_fma_f32 v[140:141], v[134:135], v[124:125], v[138:139] op_sel:[0,0,1] op_sel_hi:[1,1,0] neg_lo:[0,0,1] neg_hi:[0,0,1]
	v_pk_fma_f32 v[134:135], v[134:135], v[124:125], v[138:139] op_sel:[0,0,1] op_sel_hi:[1,0,0]
	v_dual_mul_f32 v138, v137, v127 :: v_dual_mov_b32 v134, v137
	s_delay_alu instid0(VALU_DEP_2) | instskip(NEXT) | instid1(VALU_DEP_2)
	v_dual_mov_b32 v141, v135 :: v_dual_mov_b32 v135, v136
	v_pk_fma_f32 v[138:139], v[136:137], v[6:7], v[138:139] op_sel_hi:[1,1,0] neg_lo:[0,0,1] neg_hi:[0,0,1]
	v_mul_f32_e32 v136, v137, v124
	s_delay_alu instid0(VALU_DEP_3) | instskip(NEXT) | instid1(VALU_DEP_2)
	v_pk_add_f32 v[92:93], v[92:93], v[140:141] neg_lo:[0,1] neg_hi:[0,1]
	v_pk_fma_f32 v[134:135], v[134:135], v[6:7], v[136:137] op_sel_hi:[1,1,0]
	s_delay_alu instid0(VALU_DEP_1) | instskip(SKIP_4) | instid1(VALU_DEP_1)
	v_mov_b32_e32 v139, v135
	ds_load_2addr_b64 v[134:137], v128 offset0:56 offset1:57
	v_pk_add_f32 v[90:91], v[90:91], v[138:139] neg_lo:[0,1] neg_hi:[0,1]
	s_wait_dscnt 0x0
	v_pk_mul_f32 v[138:139], v[134:135], v[126:127] op_sel:[0,1]
	v_pk_fma_f32 v[140:141], v[134:135], v[124:125], v[138:139] op_sel:[0,0,1] op_sel_hi:[1,1,0] neg_lo:[0,0,1] neg_hi:[0,0,1]
	v_pk_fma_f32 v[134:135], v[134:135], v[124:125], v[138:139] op_sel:[0,0,1] op_sel_hi:[1,0,0]
	s_delay_alu instid0(VALU_DEP_1) | instskip(SKIP_1) | instid1(VALU_DEP_1)
	v_mov_b32_e32 v141, v135
	v_pk_mul_f32 v[134:135], v[136:137], v[126:127] op_sel:[0,1]
	v_pk_fma_f32 v[138:139], v[136:137], v[124:125], v[134:135] op_sel:[0,0,1] op_sel_hi:[1,1,0] neg_lo:[0,0,1] neg_hi:[0,0,1]
	v_pk_fma_f32 v[134:135], v[136:137], v[124:125], v[134:135] op_sel:[0,0,1] op_sel_hi:[1,0,0]
	s_delay_alu instid0(VALU_DEP_1)
	v_mov_b32_e32 v139, v135
	ds_load_b64 v[134:135], v128 offset:464
	v_pk_add_f32 v[104:105], v[104:105], v[140:141] neg_lo:[0,1] neg_hi:[0,1]
	v_pk_add_f32 v[98:99], v[98:99], v[138:139] neg_lo:[0,1] neg_hi:[0,1]
	s_wait_dscnt 0x0
	v_pk_mul_f32 v[126:127], v[134:135], v[126:127] op_sel:[0,1]
	s_delay_alu instid0(VALU_DEP_1) | instskip(SKIP_1) | instid1(VALU_DEP_1)
	v_pk_fma_f32 v[136:137], v[134:135], v[124:125], v[126:127] op_sel:[0,0,1] op_sel_hi:[1,1,0] neg_lo:[0,0,1] neg_hi:[0,0,1]
	v_pk_fma_f32 v[124:125], v[134:135], v[124:125], v[126:127] op_sel:[0,0,1] op_sel_hi:[1,0,0]
	v_mov_b32_e32 v137, v125
	s_delay_alu instid0(VALU_DEP_1)
	v_pk_add_f32 v[122:123], v[122:123], v[136:137] neg_lo:[0,1] neg_hi:[0,1]
.LBB116_251:
	s_or_b32 exec_lo, exec_lo, s0
	v_lshl_add_u32 v124, v132, 3, v128
	s_barrier_signal -1
	s_barrier_wait -1
	ds_store_b64 v124, v[34:35]
	s_wait_dscnt 0x0
	s_barrier_signal -1
	s_barrier_wait -1
	ds_load_b64 v[126:127], v128 offset:96
	v_mov_b32_e32 v124, 12
	s_cmp_lt_i32 s18, 14
	s_cbranch_scc1 .LBB116_254
; %bb.252:
	v_add3_u32 v125, v129, 0, 0x68
	v_mov_b32_e32 v124, 12
	s_mov_b32 s0, 13
.LBB116_253:                            ; =>This Inner Loop Header: Depth=1
	ds_load_b64 v[134:135], v125
	s_wait_dscnt 0x1
	v_cmp_gt_f32_e32 vcc_lo, 0, v126
	v_cndmask_b32_e64 v136, v126, -v126, vcc_lo
	v_cmp_gt_f32_e32 vcc_lo, 0, v127
	v_cndmask_b32_e64 v138, v127, -v127, vcc_lo
	s_wait_dscnt 0x0
	v_cmp_gt_f32_e32 vcc_lo, 0, v134
	v_cndmask_b32_e64 v137, v134, -v134, vcc_lo
	v_cmp_gt_f32_e32 vcc_lo, 0, v135
	v_cndmask_b32_e64 v139, v135, -v135, vcc_lo
	s_delay_alu instid0(VALU_DEP_1) | instskip(NEXT) | instid1(VALU_DEP_1)
	v_pk_add_f32 v[136:137], v[136:137], v[138:139]
	v_cmp_lt_f32_e32 vcc_lo, v136, v137
	v_dual_add_nc_u32 v125, 8, v125 :: v_dual_cndmask_b32 v127, v127, v135, vcc_lo
	v_cndmask_b32_e32 v126, v126, v134, vcc_lo
	v_cndmask_b32_e64 v124, v124, s0, vcc_lo
	s_add_co_i32 s0, s0, 1
	s_delay_alu instid0(SALU_CYCLE_1)
	s_cmp_lg_u32 s18, s0
	s_cbranch_scc1 .LBB116_253
.LBB116_254:
	s_wait_dscnt 0x0
	v_cmp_eq_f32_e32 vcc_lo, 0, v126
	v_cmp_eq_f32_e64 s0, 0, v127
	s_and_b32 s0, vcc_lo, s0
	s_delay_alu instid0(SALU_CYCLE_1) | instskip(NEXT) | instid1(SALU_CYCLE_1)
	s_and_saveexec_b32 s1, s0
	s_xor_b32 s0, exec_lo, s1
; %bb.255:
	v_cmp_ne_u32_e32 vcc_lo, 0, v130
	v_cndmask_b32_e32 v130, 13, v130, vcc_lo
; %bb.256:
	s_and_not1_saveexec_b32 s0, s0
	s_cbranch_execz .LBB116_262
; %bb.257:
	v_cmp_ngt_f32_e64 s1, |v126|, |v127|
	s_and_saveexec_b32 s12, s1
	s_delay_alu instid0(SALU_CYCLE_1)
	s_xor_b32 s1, exec_lo, s12
	s_cbranch_execz .LBB116_259
; %bb.258:
	v_div_scale_f32 v125, null, v127, v127, v126
	v_div_scale_f32 v135, vcc_lo, v126, v127, v126
	s_delay_alu instid0(VALU_DEP_2) | instskip(SKIP_1) | instid1(TRANS32_DEP_1)
	v_rcp_f32_e32 v133, v125
	v_nop
	v_fma_f32 v134, -v125, v133, 1.0
	s_delay_alu instid0(VALU_DEP_1) | instskip(NEXT) | instid1(VALU_DEP_1)
	v_fmac_f32_e32 v133, v134, v133
	v_mul_f32_e32 v134, v135, v133
	s_delay_alu instid0(VALU_DEP_1) | instskip(NEXT) | instid1(VALU_DEP_1)
	v_fma_f32 v136, -v125, v134, v135
	v_fmac_f32_e32 v134, v136, v133
	s_delay_alu instid0(VALU_DEP_1) | instskip(NEXT) | instid1(VALU_DEP_1)
	v_fma_f32 v125, -v125, v134, v135
	v_div_fmas_f32 v125, v125, v133, v134
	s_delay_alu instid0(VALU_DEP_1) | instskip(NEXT) | instid1(VALU_DEP_1)
	v_div_fixup_f32 v125, v125, v127, v126
	v_fmac_f32_e32 v127, v126, v125
	s_delay_alu instid0(VALU_DEP_1) | instskip(SKIP_1) | instid1(VALU_DEP_2)
	v_div_scale_f32 v126, null, v127, v127, 1.0
	v_div_scale_f32 v135, vcc_lo, 1.0, v127, 1.0
	v_rcp_f32_e32 v133, v126
	v_nop
	s_delay_alu instid0(TRANS32_DEP_1) | instskip(NEXT) | instid1(VALU_DEP_1)
	v_fma_f32 v134, -v126, v133, 1.0
	v_fmac_f32_e32 v133, v134, v133
	s_delay_alu instid0(VALU_DEP_1) | instskip(NEXT) | instid1(VALU_DEP_1)
	v_mul_f32_e32 v134, v135, v133
	v_fma_f32 v136, -v126, v134, v135
	s_delay_alu instid0(VALU_DEP_1) | instskip(NEXT) | instid1(VALU_DEP_1)
	v_fmac_f32_e32 v134, v136, v133
	v_fma_f32 v126, -v126, v134, v135
	s_delay_alu instid0(VALU_DEP_1) | instskip(NEXT) | instid1(VALU_DEP_1)
	v_div_fmas_f32 v126, v126, v133, v134
	v_div_fixup_f32 v127, v126, v127, 1.0
	s_delay_alu instid0(VALU_DEP_1)
	v_mul_f32_e32 v126, v125, v127
	v_xor_b32_e32 v127, 0x80000000, v127
.LBB116_259:
	s_and_not1_saveexec_b32 s1, s1
	s_cbranch_execz .LBB116_261
; %bb.260:
	s_delay_alu instid0(VALU_DEP_1) | instskip(SKIP_1) | instid1(VALU_DEP_2)
	v_div_scale_f32 v125, null, v126, v126, v127
	v_div_scale_f32 v135, vcc_lo, v127, v126, v127
	v_rcp_f32_e32 v133, v125
	v_nop
	s_delay_alu instid0(TRANS32_DEP_1) | instskip(NEXT) | instid1(VALU_DEP_1)
	v_fma_f32 v134, -v125, v133, 1.0
	v_fmac_f32_e32 v133, v134, v133
	s_delay_alu instid0(VALU_DEP_1) | instskip(NEXT) | instid1(VALU_DEP_1)
	v_mul_f32_e32 v134, v135, v133
	v_fma_f32 v136, -v125, v134, v135
	s_delay_alu instid0(VALU_DEP_1) | instskip(NEXT) | instid1(VALU_DEP_1)
	v_fmac_f32_e32 v134, v136, v133
	v_fma_f32 v125, -v125, v134, v135
	s_delay_alu instid0(VALU_DEP_1) | instskip(NEXT) | instid1(VALU_DEP_1)
	v_div_fmas_f32 v125, v125, v133, v134
	v_div_fixup_f32 v125, v125, v126, v127
	s_delay_alu instid0(VALU_DEP_1) | instskip(NEXT) | instid1(VALU_DEP_1)
	v_fmac_f32_e32 v126, v127, v125
	v_div_scale_f32 v127, null, v126, v126, 1.0
	s_delay_alu instid0(VALU_DEP_1) | instskip(SKIP_1) | instid1(TRANS32_DEP_1)
	v_rcp_f32_e32 v133, v127
	v_nop
	v_fma_f32 v134, -v127, v133, 1.0
	s_delay_alu instid0(VALU_DEP_1) | instskip(SKIP_1) | instid1(VALU_DEP_1)
	v_fmac_f32_e32 v133, v134, v133
	v_div_scale_f32 v134, vcc_lo, 1.0, v126, 1.0
	v_mul_f32_e32 v135, v134, v133
	s_delay_alu instid0(VALU_DEP_1) | instskip(NEXT) | instid1(VALU_DEP_1)
	v_fma_f32 v136, -v127, v135, v134
	v_fmac_f32_e32 v135, v136, v133
	s_delay_alu instid0(VALU_DEP_1) | instskip(NEXT) | instid1(VALU_DEP_1)
	v_fma_f32 v127, -v127, v135, v134
	v_div_fmas_f32 v127, v127, v133, v135
	s_delay_alu instid0(VALU_DEP_1) | instskip(NEXT) | instid1(VALU_DEP_1)
	v_div_fixup_f32 v126, v127, v126, 1.0
	v_mul_f32_e64 v127, v125, -v126
.LBB116_261:
	s_or_b32 exec_lo, exec_lo, s1
.LBB116_262:
	s_delay_alu instid0(SALU_CYCLE_1) | instskip(NEXT) | instid1(SALU_CYCLE_1)
	s_or_b32 exec_lo, exec_lo, s0
	s_mov_b32 s0, exec_lo
	v_cmpx_ne_u32_e64 v132, v124
	s_xor_b32 s0, exec_lo, s0
	s_cbranch_execz .LBB116_268
; %bb.263:
	s_mov_b32 s1, exec_lo
	v_cmpx_eq_u32_e32 12, v132
	s_cbranch_execz .LBB116_267
; %bb.264:
	v_cmp_ne_u32_e32 vcc_lo, 12, v124
	s_xor_b32 s12, s16, -1
	s_delay_alu instid0(SALU_CYCLE_1) | instskip(NEXT) | instid1(SALU_CYCLE_1)
	s_and_b32 s13, s12, vcc_lo
	s_and_saveexec_b32 s12, s13
	s_cbranch_execz .LBB116_266
; %bb.265:
	v_ashrrev_i32_e32 v125, 31, v124
	s_delay_alu instid0(VALU_DEP_1)
	v_lshl_add_u64 v[132:133], v[124:125], 2, v[4:5]
	s_clause 0x1
	global_load_b32 v125, v[132:133], off
	global_load_b32 v131, v[4:5], off offset:48
	s_wait_loadcnt 0x1
	global_store_b32 v[4:5], v125, off offset:48
	s_wait_loadcnt 0x0
	global_store_b32 v[132:133], v131, off
.LBB116_266:
	s_wait_xcnt 0x0
	s_or_b32 exec_lo, exec_lo, s12
	v_dual_mov_b32 v132, v124 :: v_dual_mov_b32 v131, v124
.LBB116_267:
	s_or_b32 exec_lo, exec_lo, s1
.LBB116_268:
	s_and_not1_saveexec_b32 s0, s0
	s_cbranch_execz .LBB116_270
; %bb.269:
	v_mov_b32_e32 v132, 12
	ds_store_2addr_b64 v128, v[32:33], v[14:15] offset0:13 offset1:14
	ds_store_2addr_b64 v128, v[12:13], v[44:45] offset0:15 offset1:16
	ds_store_2addr_b64 v128, v[42:43], v[20:21] offset0:17 offset1:18
	ds_store_2addr_b64 v128, v[18:19], v[52:53] offset0:19 offset1:20
	ds_store_2addr_b64 v128, v[50:51], v[28:29] offset0:21 offset1:22
	ds_store_2addr_b64 v128, v[26:27], v[60:61] offset0:23 offset1:24
	ds_store_2addr_b64 v128, v[58:59], v[38:39] offset0:25 offset1:26
	ds_store_2addr_b64 v128, v[36:37], v[68:69] offset0:27 offset1:28
	ds_store_2addr_b64 v128, v[66:67], v[48:49] offset0:29 offset1:30
	ds_store_2addr_b64 v128, v[46:47], v[78:79] offset0:31 offset1:32
	ds_store_2addr_b64 v128, v[76:77], v[56:57] offset0:33 offset1:34
	ds_store_2addr_b64 v128, v[54:55], v[88:89] offset0:35 offset1:36
	ds_store_2addr_b64 v128, v[86:87], v[64:65] offset0:37 offset1:38
	ds_store_2addr_b64 v128, v[62:63], v[102:103] offset0:39 offset1:40
	ds_store_2addr_b64 v128, v[100:101], v[72:73] offset0:41 offset1:42
	ds_store_2addr_b64 v128, v[70:71], v[110:111] offset0:43 offset1:44
	ds_store_2addr_b64 v128, v[108:109], v[82:83] offset0:45 offset1:46
	ds_store_2addr_b64 v128, v[80:81], v[120:121] offset0:47 offset1:48
	ds_store_2addr_b64 v128, v[118:119], v[94:95] offset0:49 offset1:50
	ds_store_2addr_b64 v128, v[96:97], v[114:115] offset0:51 offset1:52
	ds_store_2addr_b64 v128, v[112:113], v[92:93] offset0:53 offset1:54
	ds_store_2addr_b64 v128, v[90:91], v[104:105] offset0:55 offset1:56
	ds_store_2addr_b64 v128, v[98:99], v[122:123] offset0:57 offset1:58
.LBB116_270:
	s_or_b32 exec_lo, exec_lo, s0
	s_delay_alu instid0(SALU_CYCLE_1)
	s_mov_b32 s0, exec_lo
	s_wait_storecnt_dscnt 0x0
	s_barrier_signal -1
	s_barrier_wait -1
	v_cmpx_lt_i32_e32 12, v132
	s_cbranch_execz .LBB116_272
; %bb.271:
	v_pk_mul_f32 v[134:135], v[126:127], v[34:35] op_sel:[1,1] op_sel_hi:[0,1]
	s_delay_alu instid0(VALU_DEP_1)
	v_pk_fma_f32 v[124:125], v[126:127], v[34:35], v[134:135] op_sel_hi:[1,0,1] neg_lo:[0,0,1] neg_hi:[0,0,1]
	v_pk_fma_f32 v[126:127], v[126:127], v[34:35], v[134:135] op_sel_hi:[1,0,1]
	ds_load_2addr_b64 v[134:137], v128 offset0:13 offset1:14
	v_dual_mov_b32 v34, v124 :: v_dual_mov_b32 v35, v127
	s_wait_dscnt 0x0
	v_pk_mul_f32 v[138:139], v[134:135], v[126:127] op_sel:[0,1]
	s_delay_alu instid0(VALU_DEP_1) | instskip(SKIP_1) | instid1(VALU_DEP_1)
	v_pk_fma_f32 v[140:141], v[134:135], v[124:125], v[138:139] op_sel:[0,0,1] op_sel_hi:[1,1,0] neg_lo:[0,0,1] neg_hi:[0,0,1]
	v_pk_fma_f32 v[134:135], v[134:135], v[124:125], v[138:139] op_sel:[0,0,1] op_sel_hi:[1,0,0]
	v_mov_b32_e32 v141, v135
	v_pk_mul_f32 v[134:135], v[136:137], v[126:127] op_sel:[0,1]
	s_delay_alu instid0(VALU_DEP_1) | instskip(SKIP_1) | instid1(VALU_DEP_1)
	v_pk_fma_f32 v[138:139], v[136:137], v[124:125], v[134:135] op_sel:[0,0,1] op_sel_hi:[1,1,0] neg_lo:[0,0,1] neg_hi:[0,0,1]
	v_pk_fma_f32 v[134:135], v[136:137], v[124:125], v[134:135] op_sel:[0,0,1] op_sel_hi:[1,0,0]
	v_mov_b32_e32 v139, v135
	ds_load_2addr_b64 v[134:137], v128 offset0:15 offset1:16
	v_pk_add_f32 v[32:33], v[32:33], v[140:141] neg_lo:[0,1] neg_hi:[0,1]
	v_pk_add_f32 v[14:15], v[14:15], v[138:139] neg_lo:[0,1] neg_hi:[0,1]
	s_wait_dscnt 0x0
	v_pk_mul_f32 v[138:139], v[134:135], v[126:127] op_sel:[0,1]
	s_delay_alu instid0(VALU_DEP_1) | instskip(SKIP_2) | instid1(VALU_DEP_2)
	v_pk_fma_f32 v[140:141], v[134:135], v[124:125], v[138:139] op_sel:[0,0,1] op_sel_hi:[1,1,0] neg_lo:[0,0,1] neg_hi:[0,0,1]
	v_pk_fma_f32 v[134:135], v[134:135], v[124:125], v[138:139] op_sel:[0,0,1] op_sel_hi:[1,0,0]
	v_dual_mul_f32 v138, v137, v127 :: v_dual_mov_b32 v134, v137
	v_dual_mov_b32 v141, v135 :: v_dual_mov_b32 v135, v136
	s_delay_alu instid0(VALU_DEP_2) | instskip(SKIP_1) | instid1(VALU_DEP_3)
	v_pk_fma_f32 v[138:139], v[136:137], v[34:35], v[138:139] op_sel_hi:[1,1,0] neg_lo:[0,0,1] neg_hi:[0,0,1]
	v_mul_f32_e32 v136, v137, v124
	v_pk_add_f32 v[12:13], v[12:13], v[140:141] neg_lo:[0,1] neg_hi:[0,1]
	s_delay_alu instid0(VALU_DEP_2) | instskip(NEXT) | instid1(VALU_DEP_1)
	v_pk_fma_f32 v[134:135], v[134:135], v[34:35], v[136:137] op_sel_hi:[1,1,0]
	v_mov_b32_e32 v139, v135
	ds_load_2addr_b64 v[134:137], v128 offset0:17 offset1:18
	v_pk_add_f32 v[44:45], v[44:45], v[138:139] neg_lo:[0,1] neg_hi:[0,1]
	s_wait_dscnt 0x0
	v_pk_mul_f32 v[138:139], v[134:135], v[126:127] op_sel:[0,1]
	s_delay_alu instid0(VALU_DEP_1) | instskip(SKIP_1) | instid1(VALU_DEP_1)
	v_pk_fma_f32 v[140:141], v[134:135], v[124:125], v[138:139] op_sel:[0,0,1] op_sel_hi:[1,1,0] neg_lo:[0,0,1] neg_hi:[0,0,1]
	v_pk_fma_f32 v[134:135], v[134:135], v[124:125], v[138:139] op_sel:[0,0,1] op_sel_hi:[1,0,0]
	v_mov_b32_e32 v141, v135
	v_pk_mul_f32 v[134:135], v[136:137], v[126:127] op_sel:[0,1]
	s_delay_alu instid0(VALU_DEP_1) | instskip(SKIP_1) | instid1(VALU_DEP_1)
	v_pk_fma_f32 v[138:139], v[136:137], v[124:125], v[134:135] op_sel:[0,0,1] op_sel_hi:[1,1,0] neg_lo:[0,0,1] neg_hi:[0,0,1]
	v_pk_fma_f32 v[134:135], v[136:137], v[124:125], v[134:135] op_sel:[0,0,1] op_sel_hi:[1,0,0]
	v_mov_b32_e32 v139, v135
	ds_load_2addr_b64 v[134:137], v128 offset0:19 offset1:20
	v_pk_add_f32 v[42:43], v[42:43], v[140:141] neg_lo:[0,1] neg_hi:[0,1]
	v_pk_add_f32 v[20:21], v[20:21], v[138:139] neg_lo:[0,1] neg_hi:[0,1]
	s_wait_dscnt 0x0
	v_pk_mul_f32 v[138:139], v[134:135], v[126:127] op_sel:[0,1]
	s_delay_alu instid0(VALU_DEP_1) | instskip(SKIP_1) | instid1(VALU_DEP_1)
	v_pk_fma_f32 v[140:141], v[134:135], v[124:125], v[138:139] op_sel:[0,0,1] op_sel_hi:[1,1,0] neg_lo:[0,0,1] neg_hi:[0,0,1]
	v_pk_fma_f32 v[134:135], v[134:135], v[124:125], v[138:139] op_sel:[0,0,1] op_sel_hi:[1,0,0]
	v_mov_b32_e32 v141, v135
	v_pk_mul_f32 v[134:135], v[136:137], v[126:127] op_sel:[0,1]
	s_delay_alu instid0(VALU_DEP_1) | instskip(SKIP_1) | instid1(VALU_DEP_1)
	v_pk_fma_f32 v[138:139], v[136:137], v[124:125], v[134:135] op_sel:[0,0,1] op_sel_hi:[1,1,0] neg_lo:[0,0,1] neg_hi:[0,0,1]
	v_pk_fma_f32 v[134:135], v[136:137], v[124:125], v[134:135] op_sel:[0,0,1] op_sel_hi:[1,0,0]
	v_mov_b32_e32 v139, v135
	ds_load_2addr_b64 v[134:137], v128 offset0:21 offset1:22
	v_pk_add_f32 v[18:19], v[18:19], v[140:141] neg_lo:[0,1] neg_hi:[0,1]
	v_pk_add_f32 v[52:53], v[52:53], v[138:139] neg_lo:[0,1] neg_hi:[0,1]
	s_wait_dscnt 0x0
	v_dual_mul_f32 v138, v135, v127 :: v_dual_mul_f32 v140, v135, v124
	s_delay_alu instid0(VALU_DEP_1) | instskip(NEXT) | instid1(VALU_DEP_2)
	v_pk_fma_f32 v[138:139], v[134:135], v[34:35], v[138:139] op_sel_hi:[1,1,0] neg_lo:[0,0,1] neg_hi:[0,0,1]
	v_pk_fma_f32 v[134:135], v[134:135], v[34:35], v[140:141] op_sel:[1,0,0] op_sel_hi:[0,1,0]
	s_delay_alu instid0(VALU_DEP_1) | instskip(SKIP_1) | instid1(VALU_DEP_2)
	v_mov_b32_e32 v139, v135
	v_pk_mul_f32 v[134:135], v[136:137], v[126:127] op_sel:[0,1]
	v_pk_add_f32 v[50:51], v[50:51], v[138:139] neg_lo:[0,1] neg_hi:[0,1]
	s_delay_alu instid0(VALU_DEP_2) | instskip(SKIP_1) | instid1(VALU_DEP_1)
	v_pk_fma_f32 v[138:139], v[136:137], v[124:125], v[134:135] op_sel:[0,0,1] op_sel_hi:[1,1,0] neg_lo:[0,0,1] neg_hi:[0,0,1]
	v_pk_fma_f32 v[134:135], v[136:137], v[124:125], v[134:135] op_sel:[0,0,1] op_sel_hi:[1,0,0]
	v_mov_b32_e32 v139, v135
	ds_load_2addr_b64 v[134:137], v128 offset0:23 offset1:24
	v_pk_add_f32 v[28:29], v[28:29], v[138:139] neg_lo:[0,1] neg_hi:[0,1]
	s_wait_dscnt 0x0
	v_pk_mul_f32 v[138:139], v[134:135], v[126:127] op_sel:[0,1]
	s_delay_alu instid0(VALU_DEP_1) | instskip(SKIP_1) | instid1(VALU_DEP_1)
	v_pk_fma_f32 v[140:141], v[134:135], v[124:125], v[138:139] op_sel:[0,0,1] op_sel_hi:[1,1,0] neg_lo:[0,0,1] neg_hi:[0,0,1]
	v_pk_fma_f32 v[134:135], v[134:135], v[124:125], v[138:139] op_sel:[0,0,1] op_sel_hi:[1,0,0]
	v_mov_b32_e32 v141, v135
	v_pk_mul_f32 v[134:135], v[136:137], v[126:127] op_sel:[0,1]
	s_delay_alu instid0(VALU_DEP_2) | instskip(NEXT) | instid1(VALU_DEP_2)
	v_pk_add_f32 v[26:27], v[26:27], v[140:141] neg_lo:[0,1] neg_hi:[0,1]
	v_pk_fma_f32 v[138:139], v[136:137], v[124:125], v[134:135] op_sel:[0,0,1] op_sel_hi:[1,1,0] neg_lo:[0,0,1] neg_hi:[0,0,1]
	v_pk_fma_f32 v[134:135], v[136:137], v[124:125], v[134:135] op_sel:[0,0,1] op_sel_hi:[1,0,0]
	s_delay_alu instid0(VALU_DEP_1) | instskip(SKIP_4) | instid1(VALU_DEP_1)
	v_mov_b32_e32 v139, v135
	ds_load_2addr_b64 v[134:137], v128 offset0:25 offset1:26
	v_pk_add_f32 v[60:61], v[60:61], v[138:139] neg_lo:[0,1] neg_hi:[0,1]
	s_wait_dscnt 0x0
	v_pk_mul_f32 v[138:139], v[134:135], v[126:127] op_sel:[0,1]
	v_pk_fma_f32 v[140:141], v[134:135], v[124:125], v[138:139] op_sel:[0,0,1] op_sel_hi:[1,1,0] neg_lo:[0,0,1] neg_hi:[0,0,1]
	v_pk_fma_f32 v[134:135], v[134:135], v[124:125], v[138:139] op_sel:[0,0,1] op_sel_hi:[1,0,0]
	v_dual_mul_f32 v138, v137, v127 :: v_dual_mov_b32 v134, v137
	s_delay_alu instid0(VALU_DEP_2) | instskip(NEXT) | instid1(VALU_DEP_2)
	v_dual_mov_b32 v141, v135 :: v_dual_mov_b32 v135, v136
	v_pk_fma_f32 v[138:139], v[136:137], v[34:35], v[138:139] op_sel_hi:[1,1,0] neg_lo:[0,0,1] neg_hi:[0,0,1]
	v_mul_f32_e32 v136, v137, v124
	s_delay_alu instid0(VALU_DEP_3) | instskip(NEXT) | instid1(VALU_DEP_2)
	v_pk_add_f32 v[58:59], v[58:59], v[140:141] neg_lo:[0,1] neg_hi:[0,1]
	v_pk_fma_f32 v[134:135], v[134:135], v[34:35], v[136:137] op_sel_hi:[1,1,0]
	s_delay_alu instid0(VALU_DEP_1) | instskip(SKIP_4) | instid1(VALU_DEP_1)
	v_mov_b32_e32 v139, v135
	ds_load_2addr_b64 v[134:137], v128 offset0:27 offset1:28
	v_pk_add_f32 v[38:39], v[38:39], v[138:139] neg_lo:[0,1] neg_hi:[0,1]
	s_wait_dscnt 0x0
	v_pk_mul_f32 v[138:139], v[134:135], v[126:127] op_sel:[0,1]
	v_pk_fma_f32 v[140:141], v[134:135], v[124:125], v[138:139] op_sel:[0,0,1] op_sel_hi:[1,1,0] neg_lo:[0,0,1] neg_hi:[0,0,1]
	v_pk_fma_f32 v[134:135], v[134:135], v[124:125], v[138:139] op_sel:[0,0,1] op_sel_hi:[1,0,0]
	s_delay_alu instid0(VALU_DEP_1) | instskip(SKIP_1) | instid1(VALU_DEP_1)
	v_mov_b32_e32 v141, v135
	v_pk_mul_f32 v[134:135], v[136:137], v[126:127] op_sel:[0,1]
	v_pk_fma_f32 v[138:139], v[136:137], v[124:125], v[134:135] op_sel:[0,0,1] op_sel_hi:[1,1,0] neg_lo:[0,0,1] neg_hi:[0,0,1]
	v_pk_fma_f32 v[134:135], v[136:137], v[124:125], v[134:135] op_sel:[0,0,1] op_sel_hi:[1,0,0]
	s_delay_alu instid0(VALU_DEP_1)
	v_mov_b32_e32 v139, v135
	ds_load_2addr_b64 v[134:137], v128 offset0:29 offset1:30
	v_pk_add_f32 v[36:37], v[36:37], v[140:141] neg_lo:[0,1] neg_hi:[0,1]
	v_pk_add_f32 v[68:69], v[68:69], v[138:139] neg_lo:[0,1] neg_hi:[0,1]
	s_wait_dscnt 0x0
	v_pk_mul_f32 v[138:139], v[134:135], v[126:127] op_sel:[0,1]
	s_delay_alu instid0(VALU_DEP_1) | instskip(SKIP_1) | instid1(VALU_DEP_1)
	v_pk_fma_f32 v[140:141], v[134:135], v[124:125], v[138:139] op_sel:[0,0,1] op_sel_hi:[1,1,0] neg_lo:[0,0,1] neg_hi:[0,0,1]
	v_pk_fma_f32 v[134:135], v[134:135], v[124:125], v[138:139] op_sel:[0,0,1] op_sel_hi:[1,0,0]
	v_mov_b32_e32 v141, v135
	v_pk_mul_f32 v[134:135], v[136:137], v[126:127] op_sel:[0,1]
	s_delay_alu instid0(VALU_DEP_1) | instskip(SKIP_1) | instid1(VALU_DEP_1)
	v_pk_fma_f32 v[138:139], v[136:137], v[124:125], v[134:135] op_sel:[0,0,1] op_sel_hi:[1,1,0] neg_lo:[0,0,1] neg_hi:[0,0,1]
	v_pk_fma_f32 v[134:135], v[136:137], v[124:125], v[134:135] op_sel:[0,0,1] op_sel_hi:[1,0,0]
	v_mov_b32_e32 v139, v135
	ds_load_2addr_b64 v[134:137], v128 offset0:31 offset1:32
	v_pk_add_f32 v[66:67], v[66:67], v[140:141] neg_lo:[0,1] neg_hi:[0,1]
	v_pk_add_f32 v[48:49], v[48:49], v[138:139] neg_lo:[0,1] neg_hi:[0,1]
	s_wait_dscnt 0x0
	v_dual_mul_f32 v138, v135, v127 :: v_dual_mul_f32 v140, v135, v124
	s_delay_alu instid0(VALU_DEP_1) | instskip(NEXT) | instid1(VALU_DEP_2)
	v_pk_fma_f32 v[138:139], v[134:135], v[34:35], v[138:139] op_sel_hi:[1,1,0] neg_lo:[0,0,1] neg_hi:[0,0,1]
	v_pk_fma_f32 v[134:135], v[134:135], v[34:35], v[140:141] op_sel:[1,0,0] op_sel_hi:[0,1,0]
	s_delay_alu instid0(VALU_DEP_1) | instskip(SKIP_1) | instid1(VALU_DEP_2)
	v_mov_b32_e32 v139, v135
	v_pk_mul_f32 v[134:135], v[136:137], v[126:127] op_sel:[0,1]
	v_pk_add_f32 v[46:47], v[46:47], v[138:139] neg_lo:[0,1] neg_hi:[0,1]
	s_delay_alu instid0(VALU_DEP_2) | instskip(SKIP_1) | instid1(VALU_DEP_1)
	v_pk_fma_f32 v[138:139], v[136:137], v[124:125], v[134:135] op_sel:[0,0,1] op_sel_hi:[1,1,0] neg_lo:[0,0,1] neg_hi:[0,0,1]
	v_pk_fma_f32 v[134:135], v[136:137], v[124:125], v[134:135] op_sel:[0,0,1] op_sel_hi:[1,0,0]
	v_mov_b32_e32 v139, v135
	ds_load_2addr_b64 v[134:137], v128 offset0:33 offset1:34
	v_pk_add_f32 v[78:79], v[78:79], v[138:139] neg_lo:[0,1] neg_hi:[0,1]
	s_wait_dscnt 0x0
	v_pk_mul_f32 v[138:139], v[134:135], v[126:127] op_sel:[0,1]
	s_delay_alu instid0(VALU_DEP_1) | instskip(SKIP_1) | instid1(VALU_DEP_1)
	v_pk_fma_f32 v[140:141], v[134:135], v[124:125], v[138:139] op_sel:[0,0,1] op_sel_hi:[1,1,0] neg_lo:[0,0,1] neg_hi:[0,0,1]
	v_pk_fma_f32 v[134:135], v[134:135], v[124:125], v[138:139] op_sel:[0,0,1] op_sel_hi:[1,0,0]
	v_mov_b32_e32 v141, v135
	v_pk_mul_f32 v[134:135], v[136:137], v[126:127] op_sel:[0,1]
	s_delay_alu instid0(VALU_DEP_2) | instskip(NEXT) | instid1(VALU_DEP_2)
	v_pk_add_f32 v[76:77], v[76:77], v[140:141] neg_lo:[0,1] neg_hi:[0,1]
	v_pk_fma_f32 v[138:139], v[136:137], v[124:125], v[134:135] op_sel:[0,0,1] op_sel_hi:[1,1,0] neg_lo:[0,0,1] neg_hi:[0,0,1]
	v_pk_fma_f32 v[134:135], v[136:137], v[124:125], v[134:135] op_sel:[0,0,1] op_sel_hi:[1,0,0]
	s_delay_alu instid0(VALU_DEP_1) | instskip(SKIP_4) | instid1(VALU_DEP_1)
	v_mov_b32_e32 v139, v135
	ds_load_2addr_b64 v[134:137], v128 offset0:35 offset1:36
	v_pk_add_f32 v[56:57], v[56:57], v[138:139] neg_lo:[0,1] neg_hi:[0,1]
	s_wait_dscnt 0x0
	v_pk_mul_f32 v[138:139], v[134:135], v[126:127] op_sel:[0,1]
	v_pk_fma_f32 v[140:141], v[134:135], v[124:125], v[138:139] op_sel:[0,0,1] op_sel_hi:[1,1,0] neg_lo:[0,0,1] neg_hi:[0,0,1]
	v_pk_fma_f32 v[134:135], v[134:135], v[124:125], v[138:139] op_sel:[0,0,1] op_sel_hi:[1,0,0]
	v_dual_mul_f32 v138, v137, v127 :: v_dual_mov_b32 v134, v137
	s_delay_alu instid0(VALU_DEP_2) | instskip(NEXT) | instid1(VALU_DEP_2)
	v_dual_mov_b32 v141, v135 :: v_dual_mov_b32 v135, v136
	v_pk_fma_f32 v[138:139], v[136:137], v[34:35], v[138:139] op_sel_hi:[1,1,0] neg_lo:[0,0,1] neg_hi:[0,0,1]
	v_mul_f32_e32 v136, v137, v124
	s_delay_alu instid0(VALU_DEP_3) | instskip(NEXT) | instid1(VALU_DEP_2)
	v_pk_add_f32 v[54:55], v[54:55], v[140:141] neg_lo:[0,1] neg_hi:[0,1]
	v_pk_fma_f32 v[134:135], v[134:135], v[34:35], v[136:137] op_sel_hi:[1,1,0]
	s_delay_alu instid0(VALU_DEP_1) | instskip(SKIP_4) | instid1(VALU_DEP_1)
	v_mov_b32_e32 v139, v135
	ds_load_2addr_b64 v[134:137], v128 offset0:37 offset1:38
	v_pk_add_f32 v[88:89], v[88:89], v[138:139] neg_lo:[0,1] neg_hi:[0,1]
	s_wait_dscnt 0x0
	v_pk_mul_f32 v[138:139], v[134:135], v[126:127] op_sel:[0,1]
	v_pk_fma_f32 v[140:141], v[134:135], v[124:125], v[138:139] op_sel:[0,0,1] op_sel_hi:[1,1,0] neg_lo:[0,0,1] neg_hi:[0,0,1]
	v_pk_fma_f32 v[134:135], v[134:135], v[124:125], v[138:139] op_sel:[0,0,1] op_sel_hi:[1,0,0]
	s_delay_alu instid0(VALU_DEP_1) | instskip(SKIP_1) | instid1(VALU_DEP_1)
	v_mov_b32_e32 v141, v135
	v_pk_mul_f32 v[134:135], v[136:137], v[126:127] op_sel:[0,1]
	v_pk_fma_f32 v[138:139], v[136:137], v[124:125], v[134:135] op_sel:[0,0,1] op_sel_hi:[1,1,0] neg_lo:[0,0,1] neg_hi:[0,0,1]
	v_pk_fma_f32 v[134:135], v[136:137], v[124:125], v[134:135] op_sel:[0,0,1] op_sel_hi:[1,0,0]
	s_delay_alu instid0(VALU_DEP_1)
	v_mov_b32_e32 v139, v135
	ds_load_2addr_b64 v[134:137], v128 offset0:39 offset1:40
	v_pk_add_f32 v[86:87], v[86:87], v[140:141] neg_lo:[0,1] neg_hi:[0,1]
	v_pk_add_f32 v[64:65], v[64:65], v[138:139] neg_lo:[0,1] neg_hi:[0,1]
	s_wait_dscnt 0x0
	v_pk_mul_f32 v[138:139], v[134:135], v[126:127] op_sel:[0,1]
	s_delay_alu instid0(VALU_DEP_1) | instskip(SKIP_1) | instid1(VALU_DEP_1)
	v_pk_fma_f32 v[140:141], v[134:135], v[124:125], v[138:139] op_sel:[0,0,1] op_sel_hi:[1,1,0] neg_lo:[0,0,1] neg_hi:[0,0,1]
	v_pk_fma_f32 v[134:135], v[134:135], v[124:125], v[138:139] op_sel:[0,0,1] op_sel_hi:[1,0,0]
	v_mov_b32_e32 v141, v135
	v_pk_mul_f32 v[134:135], v[136:137], v[126:127] op_sel:[0,1]
	s_delay_alu instid0(VALU_DEP_1) | instskip(SKIP_1) | instid1(VALU_DEP_1)
	v_pk_fma_f32 v[138:139], v[136:137], v[124:125], v[134:135] op_sel:[0,0,1] op_sel_hi:[1,1,0] neg_lo:[0,0,1] neg_hi:[0,0,1]
	v_pk_fma_f32 v[134:135], v[136:137], v[124:125], v[134:135] op_sel:[0,0,1] op_sel_hi:[1,0,0]
	v_mov_b32_e32 v139, v135
	ds_load_2addr_b64 v[134:137], v128 offset0:41 offset1:42
	v_pk_add_f32 v[62:63], v[62:63], v[140:141] neg_lo:[0,1] neg_hi:[0,1]
	v_pk_add_f32 v[102:103], v[102:103], v[138:139] neg_lo:[0,1] neg_hi:[0,1]
	s_wait_dscnt 0x0
	v_dual_mul_f32 v138, v135, v127 :: v_dual_mul_f32 v140, v135, v124
	s_delay_alu instid0(VALU_DEP_1) | instskip(NEXT) | instid1(VALU_DEP_2)
	v_pk_fma_f32 v[138:139], v[134:135], v[34:35], v[138:139] op_sel_hi:[1,1,0] neg_lo:[0,0,1] neg_hi:[0,0,1]
	v_pk_fma_f32 v[134:135], v[134:135], v[34:35], v[140:141] op_sel:[1,0,0] op_sel_hi:[0,1,0]
	s_delay_alu instid0(VALU_DEP_1) | instskip(SKIP_1) | instid1(VALU_DEP_2)
	v_mov_b32_e32 v139, v135
	v_pk_mul_f32 v[134:135], v[136:137], v[126:127] op_sel:[0,1]
	v_pk_add_f32 v[100:101], v[100:101], v[138:139] neg_lo:[0,1] neg_hi:[0,1]
	s_delay_alu instid0(VALU_DEP_2) | instskip(SKIP_1) | instid1(VALU_DEP_1)
	v_pk_fma_f32 v[138:139], v[136:137], v[124:125], v[134:135] op_sel:[0,0,1] op_sel_hi:[1,1,0] neg_lo:[0,0,1] neg_hi:[0,0,1]
	v_pk_fma_f32 v[134:135], v[136:137], v[124:125], v[134:135] op_sel:[0,0,1] op_sel_hi:[1,0,0]
	v_mov_b32_e32 v139, v135
	ds_load_2addr_b64 v[134:137], v128 offset0:43 offset1:44
	v_pk_add_f32 v[72:73], v[72:73], v[138:139] neg_lo:[0,1] neg_hi:[0,1]
	s_wait_dscnt 0x0
	v_pk_mul_f32 v[138:139], v[134:135], v[126:127] op_sel:[0,1]
	s_delay_alu instid0(VALU_DEP_1) | instskip(SKIP_1) | instid1(VALU_DEP_1)
	v_pk_fma_f32 v[140:141], v[134:135], v[124:125], v[138:139] op_sel:[0,0,1] op_sel_hi:[1,1,0] neg_lo:[0,0,1] neg_hi:[0,0,1]
	v_pk_fma_f32 v[134:135], v[134:135], v[124:125], v[138:139] op_sel:[0,0,1] op_sel_hi:[1,0,0]
	v_mov_b32_e32 v141, v135
	v_pk_mul_f32 v[134:135], v[136:137], v[126:127] op_sel:[0,1]
	s_delay_alu instid0(VALU_DEP_2) | instskip(NEXT) | instid1(VALU_DEP_2)
	v_pk_add_f32 v[70:71], v[70:71], v[140:141] neg_lo:[0,1] neg_hi:[0,1]
	v_pk_fma_f32 v[138:139], v[136:137], v[124:125], v[134:135] op_sel:[0,0,1] op_sel_hi:[1,1,0] neg_lo:[0,0,1] neg_hi:[0,0,1]
	v_pk_fma_f32 v[134:135], v[136:137], v[124:125], v[134:135] op_sel:[0,0,1] op_sel_hi:[1,0,0]
	s_delay_alu instid0(VALU_DEP_1) | instskip(SKIP_4) | instid1(VALU_DEP_1)
	v_mov_b32_e32 v139, v135
	ds_load_2addr_b64 v[134:137], v128 offset0:45 offset1:46
	v_pk_add_f32 v[110:111], v[110:111], v[138:139] neg_lo:[0,1] neg_hi:[0,1]
	s_wait_dscnt 0x0
	v_pk_mul_f32 v[138:139], v[134:135], v[126:127] op_sel:[0,1]
	v_pk_fma_f32 v[140:141], v[134:135], v[124:125], v[138:139] op_sel:[0,0,1] op_sel_hi:[1,1,0] neg_lo:[0,0,1] neg_hi:[0,0,1]
	v_pk_fma_f32 v[134:135], v[134:135], v[124:125], v[138:139] op_sel:[0,0,1] op_sel_hi:[1,0,0]
	v_dual_mul_f32 v138, v137, v127 :: v_dual_mov_b32 v134, v137
	s_delay_alu instid0(VALU_DEP_2) | instskip(NEXT) | instid1(VALU_DEP_2)
	v_dual_mov_b32 v141, v135 :: v_dual_mov_b32 v135, v136
	v_pk_fma_f32 v[138:139], v[136:137], v[34:35], v[138:139] op_sel_hi:[1,1,0] neg_lo:[0,0,1] neg_hi:[0,0,1]
	v_mul_f32_e32 v136, v137, v124
	s_delay_alu instid0(VALU_DEP_3) | instskip(NEXT) | instid1(VALU_DEP_2)
	v_pk_add_f32 v[108:109], v[108:109], v[140:141] neg_lo:[0,1] neg_hi:[0,1]
	v_pk_fma_f32 v[134:135], v[134:135], v[34:35], v[136:137] op_sel_hi:[1,1,0]
	s_delay_alu instid0(VALU_DEP_1) | instskip(SKIP_4) | instid1(VALU_DEP_1)
	v_mov_b32_e32 v139, v135
	ds_load_2addr_b64 v[134:137], v128 offset0:47 offset1:48
	v_pk_add_f32 v[82:83], v[82:83], v[138:139] neg_lo:[0,1] neg_hi:[0,1]
	s_wait_dscnt 0x0
	v_pk_mul_f32 v[138:139], v[134:135], v[126:127] op_sel:[0,1]
	v_pk_fma_f32 v[140:141], v[134:135], v[124:125], v[138:139] op_sel:[0,0,1] op_sel_hi:[1,1,0] neg_lo:[0,0,1] neg_hi:[0,0,1]
	v_pk_fma_f32 v[134:135], v[134:135], v[124:125], v[138:139] op_sel:[0,0,1] op_sel_hi:[1,0,0]
	s_delay_alu instid0(VALU_DEP_1) | instskip(SKIP_1) | instid1(VALU_DEP_1)
	v_mov_b32_e32 v141, v135
	v_pk_mul_f32 v[134:135], v[136:137], v[126:127] op_sel:[0,1]
	v_pk_fma_f32 v[138:139], v[136:137], v[124:125], v[134:135] op_sel:[0,0,1] op_sel_hi:[1,1,0] neg_lo:[0,0,1] neg_hi:[0,0,1]
	v_pk_fma_f32 v[134:135], v[136:137], v[124:125], v[134:135] op_sel:[0,0,1] op_sel_hi:[1,0,0]
	s_delay_alu instid0(VALU_DEP_1)
	v_mov_b32_e32 v139, v135
	ds_load_2addr_b64 v[134:137], v128 offset0:49 offset1:50
	v_pk_add_f32 v[80:81], v[80:81], v[140:141] neg_lo:[0,1] neg_hi:[0,1]
	v_pk_add_f32 v[120:121], v[120:121], v[138:139] neg_lo:[0,1] neg_hi:[0,1]
	s_wait_dscnt 0x0
	v_pk_mul_f32 v[138:139], v[134:135], v[126:127] op_sel:[0,1]
	s_delay_alu instid0(VALU_DEP_1) | instskip(SKIP_1) | instid1(VALU_DEP_1)
	v_pk_fma_f32 v[140:141], v[134:135], v[124:125], v[138:139] op_sel:[0,0,1] op_sel_hi:[1,1,0] neg_lo:[0,0,1] neg_hi:[0,0,1]
	v_pk_fma_f32 v[134:135], v[134:135], v[124:125], v[138:139] op_sel:[0,0,1] op_sel_hi:[1,0,0]
	v_mov_b32_e32 v141, v135
	v_pk_mul_f32 v[134:135], v[136:137], v[126:127] op_sel:[0,1]
	s_delay_alu instid0(VALU_DEP_1) | instskip(SKIP_1) | instid1(VALU_DEP_1)
	v_pk_fma_f32 v[138:139], v[136:137], v[124:125], v[134:135] op_sel:[0,0,1] op_sel_hi:[1,1,0] neg_lo:[0,0,1] neg_hi:[0,0,1]
	v_pk_fma_f32 v[134:135], v[136:137], v[124:125], v[134:135] op_sel:[0,0,1] op_sel_hi:[1,0,0]
	v_mov_b32_e32 v139, v135
	ds_load_2addr_b64 v[134:137], v128 offset0:51 offset1:52
	v_pk_add_f32 v[118:119], v[118:119], v[140:141] neg_lo:[0,1] neg_hi:[0,1]
	v_pk_add_f32 v[94:95], v[94:95], v[138:139] neg_lo:[0,1] neg_hi:[0,1]
	s_wait_dscnt 0x0
	v_dual_mul_f32 v138, v135, v127 :: v_dual_mul_f32 v140, v135, v124
	s_delay_alu instid0(VALU_DEP_1) | instskip(NEXT) | instid1(VALU_DEP_2)
	v_pk_fma_f32 v[138:139], v[134:135], v[34:35], v[138:139] op_sel_hi:[1,1,0] neg_lo:[0,0,1] neg_hi:[0,0,1]
	v_pk_fma_f32 v[134:135], v[134:135], v[34:35], v[140:141] op_sel:[1,0,0] op_sel_hi:[0,1,0]
	s_delay_alu instid0(VALU_DEP_1) | instskip(SKIP_1) | instid1(VALU_DEP_2)
	v_mov_b32_e32 v139, v135
	v_pk_mul_f32 v[134:135], v[136:137], v[126:127] op_sel:[0,1]
	v_pk_add_f32 v[96:97], v[96:97], v[138:139] neg_lo:[0,1] neg_hi:[0,1]
	s_delay_alu instid0(VALU_DEP_2) | instskip(SKIP_1) | instid1(VALU_DEP_1)
	v_pk_fma_f32 v[138:139], v[136:137], v[124:125], v[134:135] op_sel:[0,0,1] op_sel_hi:[1,1,0] neg_lo:[0,0,1] neg_hi:[0,0,1]
	v_pk_fma_f32 v[134:135], v[136:137], v[124:125], v[134:135] op_sel:[0,0,1] op_sel_hi:[1,0,0]
	v_mov_b32_e32 v139, v135
	ds_load_2addr_b64 v[134:137], v128 offset0:53 offset1:54
	v_pk_add_f32 v[114:115], v[114:115], v[138:139] neg_lo:[0,1] neg_hi:[0,1]
	s_wait_dscnt 0x0
	v_pk_mul_f32 v[138:139], v[134:135], v[126:127] op_sel:[0,1]
	s_delay_alu instid0(VALU_DEP_1) | instskip(SKIP_1) | instid1(VALU_DEP_1)
	v_pk_fma_f32 v[140:141], v[134:135], v[124:125], v[138:139] op_sel:[0,0,1] op_sel_hi:[1,1,0] neg_lo:[0,0,1] neg_hi:[0,0,1]
	v_pk_fma_f32 v[134:135], v[134:135], v[124:125], v[138:139] op_sel:[0,0,1] op_sel_hi:[1,0,0]
	v_mov_b32_e32 v141, v135
	v_pk_mul_f32 v[134:135], v[136:137], v[126:127] op_sel:[0,1]
	s_delay_alu instid0(VALU_DEP_2) | instskip(NEXT) | instid1(VALU_DEP_2)
	v_pk_add_f32 v[112:113], v[112:113], v[140:141] neg_lo:[0,1] neg_hi:[0,1]
	v_pk_fma_f32 v[138:139], v[136:137], v[124:125], v[134:135] op_sel:[0,0,1] op_sel_hi:[1,1,0] neg_lo:[0,0,1] neg_hi:[0,0,1]
	v_pk_fma_f32 v[134:135], v[136:137], v[124:125], v[134:135] op_sel:[0,0,1] op_sel_hi:[1,0,0]
	s_delay_alu instid0(VALU_DEP_1) | instskip(SKIP_4) | instid1(VALU_DEP_1)
	v_mov_b32_e32 v139, v135
	ds_load_2addr_b64 v[134:137], v128 offset0:55 offset1:56
	v_pk_add_f32 v[92:93], v[92:93], v[138:139] neg_lo:[0,1] neg_hi:[0,1]
	s_wait_dscnt 0x0
	v_pk_mul_f32 v[138:139], v[134:135], v[126:127] op_sel:[0,1]
	v_pk_fma_f32 v[140:141], v[134:135], v[124:125], v[138:139] op_sel:[0,0,1] op_sel_hi:[1,1,0] neg_lo:[0,0,1] neg_hi:[0,0,1]
	v_pk_fma_f32 v[134:135], v[134:135], v[124:125], v[138:139] op_sel:[0,0,1] op_sel_hi:[1,0,0]
	v_dual_mul_f32 v138, v137, v127 :: v_dual_mov_b32 v134, v137
	s_delay_alu instid0(VALU_DEP_2) | instskip(NEXT) | instid1(VALU_DEP_2)
	v_dual_mov_b32 v141, v135 :: v_dual_mov_b32 v135, v136
	v_pk_fma_f32 v[138:139], v[136:137], v[34:35], v[138:139] op_sel_hi:[1,1,0] neg_lo:[0,0,1] neg_hi:[0,0,1]
	v_mul_f32_e32 v136, v137, v124
	s_delay_alu instid0(VALU_DEP_3) | instskip(NEXT) | instid1(VALU_DEP_2)
	v_pk_add_f32 v[90:91], v[90:91], v[140:141] neg_lo:[0,1] neg_hi:[0,1]
	v_pk_fma_f32 v[134:135], v[134:135], v[34:35], v[136:137] op_sel_hi:[1,1,0]
	s_delay_alu instid0(VALU_DEP_1)
	v_mov_b32_e32 v139, v135
	ds_load_2addr_b64 v[134:137], v128 offset0:57 offset1:58
	v_pk_add_f32 v[104:105], v[104:105], v[138:139] neg_lo:[0,1] neg_hi:[0,1]
	s_wait_dscnt 0x0
	v_pk_mul_f32 v[138:139], v[134:135], v[126:127] op_sel:[0,1]
	v_pk_mul_f32 v[126:127], v[136:137], v[126:127] op_sel:[0,1]
	s_delay_alu instid0(VALU_DEP_2) | instskip(SKIP_1) | instid1(VALU_DEP_1)
	v_pk_fma_f32 v[140:141], v[134:135], v[124:125], v[138:139] op_sel:[0,0,1] op_sel_hi:[1,1,0] neg_lo:[0,0,1] neg_hi:[0,0,1]
	v_pk_fma_f32 v[134:135], v[134:135], v[124:125], v[138:139] op_sel:[0,0,1] op_sel_hi:[1,0,0]
	v_mov_b32_e32 v141, v135
	s_delay_alu instid0(VALU_DEP_4) | instskip(SKIP_1) | instid1(VALU_DEP_1)
	v_pk_fma_f32 v[134:135], v[136:137], v[124:125], v[126:127] op_sel:[0,0,1] op_sel_hi:[1,1,0] neg_lo:[0,0,1] neg_hi:[0,0,1]
	v_pk_fma_f32 v[124:125], v[136:137], v[124:125], v[126:127] op_sel:[0,0,1] op_sel_hi:[1,0,0]
	v_mov_b32_e32 v135, v125
	s_delay_alu instid0(VALU_DEP_4) | instskip(NEXT) | instid1(VALU_DEP_2)
	v_pk_add_f32 v[98:99], v[98:99], v[140:141] neg_lo:[0,1] neg_hi:[0,1]
	v_pk_add_f32 v[122:123], v[122:123], v[134:135] neg_lo:[0,1] neg_hi:[0,1]
.LBB116_272:
	s_or_b32 exec_lo, exec_lo, s0
	v_lshl_add_u32 v124, v132, 3, v128
	s_barrier_signal -1
	s_barrier_wait -1
	ds_store_b64 v124, v[32:33]
	s_wait_dscnt 0x0
	s_barrier_signal -1
	s_barrier_wait -1
	ds_load_b64 v[126:127], v128 offset:104
	v_mov_b32_e32 v124, 13
	s_cmp_lt_i32 s18, 15
	s_cbranch_scc1 .LBB116_275
; %bb.273:
	v_add3_u32 v125, v129, 0, 0x70
	v_mov_b32_e32 v124, 13
	s_mov_b32 s0, 14
.LBB116_274:                            ; =>This Inner Loop Header: Depth=1
	ds_load_b64 v[134:135], v125
	s_wait_dscnt 0x1
	v_cmp_gt_f32_e32 vcc_lo, 0, v126
	v_cndmask_b32_e64 v136, v126, -v126, vcc_lo
	v_cmp_gt_f32_e32 vcc_lo, 0, v127
	v_cndmask_b32_e64 v138, v127, -v127, vcc_lo
	s_wait_dscnt 0x0
	v_cmp_gt_f32_e32 vcc_lo, 0, v134
	v_cndmask_b32_e64 v137, v134, -v134, vcc_lo
	v_cmp_gt_f32_e32 vcc_lo, 0, v135
	v_cndmask_b32_e64 v139, v135, -v135, vcc_lo
	s_delay_alu instid0(VALU_DEP_1) | instskip(NEXT) | instid1(VALU_DEP_1)
	v_pk_add_f32 v[136:137], v[136:137], v[138:139]
	v_cmp_lt_f32_e32 vcc_lo, v136, v137
	v_dual_add_nc_u32 v125, 8, v125 :: v_dual_cndmask_b32 v127, v127, v135, vcc_lo
	v_cndmask_b32_e32 v126, v126, v134, vcc_lo
	v_cndmask_b32_e64 v124, v124, s0, vcc_lo
	s_add_co_i32 s0, s0, 1
	s_delay_alu instid0(SALU_CYCLE_1)
	s_cmp_lg_u32 s18, s0
	s_cbranch_scc1 .LBB116_274
.LBB116_275:
	s_wait_dscnt 0x0
	v_cmp_eq_f32_e32 vcc_lo, 0, v126
	v_cmp_eq_f32_e64 s0, 0, v127
	s_and_b32 s0, vcc_lo, s0
	s_delay_alu instid0(SALU_CYCLE_1) | instskip(NEXT) | instid1(SALU_CYCLE_1)
	s_and_saveexec_b32 s1, s0
	s_xor_b32 s0, exec_lo, s1
; %bb.276:
	v_cmp_ne_u32_e32 vcc_lo, 0, v130
	v_cndmask_b32_e32 v130, 14, v130, vcc_lo
; %bb.277:
	s_and_not1_saveexec_b32 s0, s0
	s_cbranch_execz .LBB116_283
; %bb.278:
	v_cmp_ngt_f32_e64 s1, |v126|, |v127|
	s_and_saveexec_b32 s12, s1
	s_delay_alu instid0(SALU_CYCLE_1)
	s_xor_b32 s1, exec_lo, s12
	s_cbranch_execz .LBB116_280
; %bb.279:
	v_div_scale_f32 v125, null, v127, v127, v126
	v_div_scale_f32 v135, vcc_lo, v126, v127, v126
	s_delay_alu instid0(VALU_DEP_2) | instskip(SKIP_1) | instid1(TRANS32_DEP_1)
	v_rcp_f32_e32 v133, v125
	v_nop
	v_fma_f32 v134, -v125, v133, 1.0
	s_delay_alu instid0(VALU_DEP_1) | instskip(NEXT) | instid1(VALU_DEP_1)
	v_fmac_f32_e32 v133, v134, v133
	v_mul_f32_e32 v134, v135, v133
	s_delay_alu instid0(VALU_DEP_1) | instskip(NEXT) | instid1(VALU_DEP_1)
	v_fma_f32 v136, -v125, v134, v135
	v_fmac_f32_e32 v134, v136, v133
	s_delay_alu instid0(VALU_DEP_1) | instskip(NEXT) | instid1(VALU_DEP_1)
	v_fma_f32 v125, -v125, v134, v135
	v_div_fmas_f32 v125, v125, v133, v134
	s_delay_alu instid0(VALU_DEP_1) | instskip(NEXT) | instid1(VALU_DEP_1)
	v_div_fixup_f32 v125, v125, v127, v126
	v_fmac_f32_e32 v127, v126, v125
	s_delay_alu instid0(VALU_DEP_1) | instskip(SKIP_1) | instid1(VALU_DEP_2)
	v_div_scale_f32 v126, null, v127, v127, 1.0
	v_div_scale_f32 v135, vcc_lo, 1.0, v127, 1.0
	v_rcp_f32_e32 v133, v126
	v_nop
	s_delay_alu instid0(TRANS32_DEP_1) | instskip(NEXT) | instid1(VALU_DEP_1)
	v_fma_f32 v134, -v126, v133, 1.0
	v_fmac_f32_e32 v133, v134, v133
	s_delay_alu instid0(VALU_DEP_1) | instskip(NEXT) | instid1(VALU_DEP_1)
	v_mul_f32_e32 v134, v135, v133
	v_fma_f32 v136, -v126, v134, v135
	s_delay_alu instid0(VALU_DEP_1) | instskip(NEXT) | instid1(VALU_DEP_1)
	v_fmac_f32_e32 v134, v136, v133
	v_fma_f32 v126, -v126, v134, v135
	s_delay_alu instid0(VALU_DEP_1) | instskip(NEXT) | instid1(VALU_DEP_1)
	v_div_fmas_f32 v126, v126, v133, v134
	v_div_fixup_f32 v127, v126, v127, 1.0
	s_delay_alu instid0(VALU_DEP_1)
	v_mul_f32_e32 v126, v125, v127
	v_xor_b32_e32 v127, 0x80000000, v127
.LBB116_280:
	s_and_not1_saveexec_b32 s1, s1
	s_cbranch_execz .LBB116_282
; %bb.281:
	s_delay_alu instid0(VALU_DEP_1) | instskip(SKIP_1) | instid1(VALU_DEP_2)
	v_div_scale_f32 v125, null, v126, v126, v127
	v_div_scale_f32 v135, vcc_lo, v127, v126, v127
	v_rcp_f32_e32 v133, v125
	v_nop
	s_delay_alu instid0(TRANS32_DEP_1) | instskip(NEXT) | instid1(VALU_DEP_1)
	v_fma_f32 v134, -v125, v133, 1.0
	v_fmac_f32_e32 v133, v134, v133
	s_delay_alu instid0(VALU_DEP_1) | instskip(NEXT) | instid1(VALU_DEP_1)
	v_mul_f32_e32 v134, v135, v133
	v_fma_f32 v136, -v125, v134, v135
	s_delay_alu instid0(VALU_DEP_1) | instskip(NEXT) | instid1(VALU_DEP_1)
	v_fmac_f32_e32 v134, v136, v133
	v_fma_f32 v125, -v125, v134, v135
	s_delay_alu instid0(VALU_DEP_1) | instskip(NEXT) | instid1(VALU_DEP_1)
	v_div_fmas_f32 v125, v125, v133, v134
	v_div_fixup_f32 v125, v125, v126, v127
	s_delay_alu instid0(VALU_DEP_1) | instskip(NEXT) | instid1(VALU_DEP_1)
	v_fmac_f32_e32 v126, v127, v125
	v_div_scale_f32 v127, null, v126, v126, 1.0
	s_delay_alu instid0(VALU_DEP_1) | instskip(SKIP_1) | instid1(TRANS32_DEP_1)
	v_rcp_f32_e32 v133, v127
	v_nop
	v_fma_f32 v134, -v127, v133, 1.0
	s_delay_alu instid0(VALU_DEP_1) | instskip(SKIP_1) | instid1(VALU_DEP_1)
	v_fmac_f32_e32 v133, v134, v133
	v_div_scale_f32 v134, vcc_lo, 1.0, v126, 1.0
	v_mul_f32_e32 v135, v134, v133
	s_delay_alu instid0(VALU_DEP_1) | instskip(NEXT) | instid1(VALU_DEP_1)
	v_fma_f32 v136, -v127, v135, v134
	v_fmac_f32_e32 v135, v136, v133
	s_delay_alu instid0(VALU_DEP_1) | instskip(NEXT) | instid1(VALU_DEP_1)
	v_fma_f32 v127, -v127, v135, v134
	v_div_fmas_f32 v127, v127, v133, v135
	s_delay_alu instid0(VALU_DEP_1) | instskip(NEXT) | instid1(VALU_DEP_1)
	v_div_fixup_f32 v126, v127, v126, 1.0
	v_mul_f32_e64 v127, v125, -v126
.LBB116_282:
	s_or_b32 exec_lo, exec_lo, s1
.LBB116_283:
	s_delay_alu instid0(SALU_CYCLE_1) | instskip(NEXT) | instid1(SALU_CYCLE_1)
	s_or_b32 exec_lo, exec_lo, s0
	s_mov_b32 s0, exec_lo
	v_cmpx_ne_u32_e64 v132, v124
	s_xor_b32 s0, exec_lo, s0
	s_cbranch_execz .LBB116_289
; %bb.284:
	s_mov_b32 s1, exec_lo
	v_cmpx_eq_u32_e32 13, v132
	s_cbranch_execz .LBB116_288
; %bb.285:
	v_cmp_ne_u32_e32 vcc_lo, 13, v124
	s_xor_b32 s12, s16, -1
	s_delay_alu instid0(SALU_CYCLE_1) | instskip(NEXT) | instid1(SALU_CYCLE_1)
	s_and_b32 s13, s12, vcc_lo
	s_and_saveexec_b32 s12, s13
	s_cbranch_execz .LBB116_287
; %bb.286:
	v_ashrrev_i32_e32 v125, 31, v124
	s_delay_alu instid0(VALU_DEP_1)
	v_lshl_add_u64 v[132:133], v[124:125], 2, v[4:5]
	s_clause 0x1
	global_load_b32 v125, v[132:133], off
	global_load_b32 v131, v[4:5], off offset:52
	s_wait_loadcnt 0x1
	global_store_b32 v[4:5], v125, off offset:52
	s_wait_loadcnt 0x0
	global_store_b32 v[132:133], v131, off
.LBB116_287:
	s_wait_xcnt 0x0
	s_or_b32 exec_lo, exec_lo, s12
	v_dual_mov_b32 v132, v124 :: v_dual_mov_b32 v131, v124
.LBB116_288:
	s_or_b32 exec_lo, exec_lo, s1
.LBB116_289:
	s_and_not1_saveexec_b32 s0, s0
	s_cbranch_execz .LBB116_291
; %bb.290:
	v_dual_mov_b32 v124, v14 :: v_dual_mov_b32 v125, v15
	v_dual_mov_b32 v132, v12 :: v_dual_mov_b32 v133, v13
	ds_store_2addr_b64 v128, v[124:125], v[132:133] offset0:14 offset1:15
	v_dual_mov_b32 v124, v44 :: v_dual_mov_b32 v125, v45
	v_dual_mov_b32 v132, v42 :: v_dual_mov_b32 v133, v43
	ds_store_2addr_b64 v128, v[124:125], v[132:133] offset0:16 offset1:17
	;; [unrolled: 3-line block ×22, first 2 shown]
	ds_store_b64 v128, v[122:123] offset:464
	v_mov_b32_e32 v132, 13
.LBB116_291:
	s_or_b32 exec_lo, exec_lo, s0
	s_delay_alu instid0(SALU_CYCLE_1)
	s_mov_b32 s0, exec_lo
	s_wait_storecnt_dscnt 0x0
	s_barrier_signal -1
	s_barrier_wait -1
	v_cmpx_lt_i32_e32 13, v132
	s_cbranch_execz .LBB116_293
; %bb.292:
	v_pk_mul_f32 v[134:135], v[126:127], v[32:33] op_sel:[1,1] op_sel_hi:[0,1]
	s_delay_alu instid0(VALU_DEP_1)
	v_pk_fma_f32 v[124:125], v[126:127], v[32:33], v[134:135] op_sel_hi:[1,0,1] neg_lo:[0,0,1] neg_hi:[0,0,1]
	v_pk_fma_f32 v[126:127], v[126:127], v[32:33], v[134:135] op_sel_hi:[1,0,1]
	ds_load_2addr_b64 v[134:137], v128 offset0:14 offset1:15
	v_dual_mov_b32 v32, v124 :: v_dual_mov_b32 v33, v127
	s_wait_dscnt 0x0
	v_pk_mul_f32 v[138:139], v[134:135], v[126:127] op_sel:[0,1]
	s_delay_alu instid0(VALU_DEP_1) | instskip(SKIP_1) | instid1(VALU_DEP_1)
	v_pk_fma_f32 v[140:141], v[134:135], v[124:125], v[138:139] op_sel:[0,0,1] op_sel_hi:[1,1,0] neg_lo:[0,0,1] neg_hi:[0,0,1]
	v_pk_fma_f32 v[134:135], v[134:135], v[124:125], v[138:139] op_sel:[0,0,1] op_sel_hi:[1,0,0]
	v_mov_b32_e32 v141, v135
	v_pk_mul_f32 v[134:135], v[136:137], v[126:127] op_sel:[0,1]
	s_delay_alu instid0(VALU_DEP_1) | instskip(SKIP_1) | instid1(VALU_DEP_1)
	v_pk_fma_f32 v[138:139], v[136:137], v[124:125], v[134:135] op_sel:[0,0,1] op_sel_hi:[1,1,0] neg_lo:[0,0,1] neg_hi:[0,0,1]
	v_pk_fma_f32 v[134:135], v[136:137], v[124:125], v[134:135] op_sel:[0,0,1] op_sel_hi:[1,0,0]
	v_mov_b32_e32 v139, v135
	ds_load_2addr_b64 v[134:137], v128 offset0:16 offset1:17
	v_pk_add_f32 v[14:15], v[14:15], v[140:141] neg_lo:[0,1] neg_hi:[0,1]
	v_pk_add_f32 v[12:13], v[12:13], v[138:139] neg_lo:[0,1] neg_hi:[0,1]
	s_wait_dscnt 0x0
	v_pk_mul_f32 v[138:139], v[134:135], v[126:127] op_sel:[0,1]
	s_delay_alu instid0(VALU_DEP_1) | instskip(SKIP_2) | instid1(VALU_DEP_2)
	v_pk_fma_f32 v[140:141], v[134:135], v[124:125], v[138:139] op_sel:[0,0,1] op_sel_hi:[1,1,0] neg_lo:[0,0,1] neg_hi:[0,0,1]
	v_pk_fma_f32 v[134:135], v[134:135], v[124:125], v[138:139] op_sel:[0,0,1] op_sel_hi:[1,0,0]
	v_dual_mul_f32 v138, v137, v127 :: v_dual_mov_b32 v134, v137
	v_dual_mov_b32 v141, v135 :: v_dual_mov_b32 v135, v136
	s_delay_alu instid0(VALU_DEP_2) | instskip(SKIP_1) | instid1(VALU_DEP_3)
	v_pk_fma_f32 v[138:139], v[136:137], v[32:33], v[138:139] op_sel_hi:[1,1,0] neg_lo:[0,0,1] neg_hi:[0,0,1]
	v_mul_f32_e32 v136, v137, v124
	v_pk_add_f32 v[44:45], v[44:45], v[140:141] neg_lo:[0,1] neg_hi:[0,1]
	s_delay_alu instid0(VALU_DEP_2) | instskip(NEXT) | instid1(VALU_DEP_1)
	v_pk_fma_f32 v[134:135], v[134:135], v[32:33], v[136:137] op_sel_hi:[1,1,0]
	v_mov_b32_e32 v139, v135
	ds_load_2addr_b64 v[134:137], v128 offset0:18 offset1:19
	v_pk_add_f32 v[42:43], v[42:43], v[138:139] neg_lo:[0,1] neg_hi:[0,1]
	s_wait_dscnt 0x0
	v_pk_mul_f32 v[138:139], v[134:135], v[126:127] op_sel:[0,1]
	s_delay_alu instid0(VALU_DEP_1) | instskip(SKIP_1) | instid1(VALU_DEP_1)
	v_pk_fma_f32 v[140:141], v[134:135], v[124:125], v[138:139] op_sel:[0,0,1] op_sel_hi:[1,1,0] neg_lo:[0,0,1] neg_hi:[0,0,1]
	v_pk_fma_f32 v[134:135], v[134:135], v[124:125], v[138:139] op_sel:[0,0,1] op_sel_hi:[1,0,0]
	v_mov_b32_e32 v141, v135
	v_pk_mul_f32 v[134:135], v[136:137], v[126:127] op_sel:[0,1]
	s_delay_alu instid0(VALU_DEP_1) | instskip(SKIP_1) | instid1(VALU_DEP_1)
	v_pk_fma_f32 v[138:139], v[136:137], v[124:125], v[134:135] op_sel:[0,0,1] op_sel_hi:[1,1,0] neg_lo:[0,0,1] neg_hi:[0,0,1]
	v_pk_fma_f32 v[134:135], v[136:137], v[124:125], v[134:135] op_sel:[0,0,1] op_sel_hi:[1,0,0]
	v_mov_b32_e32 v139, v135
	ds_load_2addr_b64 v[134:137], v128 offset0:20 offset1:21
	v_pk_add_f32 v[20:21], v[20:21], v[140:141] neg_lo:[0,1] neg_hi:[0,1]
	v_pk_add_f32 v[18:19], v[18:19], v[138:139] neg_lo:[0,1] neg_hi:[0,1]
	s_wait_dscnt 0x0
	v_pk_mul_f32 v[138:139], v[134:135], v[126:127] op_sel:[0,1]
	s_delay_alu instid0(VALU_DEP_1) | instskip(SKIP_1) | instid1(VALU_DEP_1)
	v_pk_fma_f32 v[140:141], v[134:135], v[124:125], v[138:139] op_sel:[0,0,1] op_sel_hi:[1,1,0] neg_lo:[0,0,1] neg_hi:[0,0,1]
	v_pk_fma_f32 v[134:135], v[134:135], v[124:125], v[138:139] op_sel:[0,0,1] op_sel_hi:[1,0,0]
	v_mov_b32_e32 v141, v135
	v_pk_mul_f32 v[134:135], v[136:137], v[126:127] op_sel:[0,1]
	s_delay_alu instid0(VALU_DEP_1) | instskip(SKIP_1) | instid1(VALU_DEP_1)
	v_pk_fma_f32 v[138:139], v[136:137], v[124:125], v[134:135] op_sel:[0,0,1] op_sel_hi:[1,1,0] neg_lo:[0,0,1] neg_hi:[0,0,1]
	v_pk_fma_f32 v[134:135], v[136:137], v[124:125], v[134:135] op_sel:[0,0,1] op_sel_hi:[1,0,0]
	v_mov_b32_e32 v139, v135
	ds_load_2addr_b64 v[134:137], v128 offset0:22 offset1:23
	v_pk_add_f32 v[52:53], v[52:53], v[140:141] neg_lo:[0,1] neg_hi:[0,1]
	v_pk_add_f32 v[50:51], v[50:51], v[138:139] neg_lo:[0,1] neg_hi:[0,1]
	s_wait_dscnt 0x0
	v_dual_mul_f32 v138, v135, v127 :: v_dual_mul_f32 v140, v135, v124
	s_delay_alu instid0(VALU_DEP_1) | instskip(NEXT) | instid1(VALU_DEP_2)
	v_pk_fma_f32 v[138:139], v[134:135], v[32:33], v[138:139] op_sel_hi:[1,1,0] neg_lo:[0,0,1] neg_hi:[0,0,1]
	v_pk_fma_f32 v[134:135], v[134:135], v[32:33], v[140:141] op_sel:[1,0,0] op_sel_hi:[0,1,0]
	s_delay_alu instid0(VALU_DEP_1) | instskip(SKIP_1) | instid1(VALU_DEP_2)
	v_mov_b32_e32 v139, v135
	v_pk_mul_f32 v[134:135], v[136:137], v[126:127] op_sel:[0,1]
	v_pk_add_f32 v[28:29], v[28:29], v[138:139] neg_lo:[0,1] neg_hi:[0,1]
	s_delay_alu instid0(VALU_DEP_2) | instskip(SKIP_1) | instid1(VALU_DEP_1)
	v_pk_fma_f32 v[138:139], v[136:137], v[124:125], v[134:135] op_sel:[0,0,1] op_sel_hi:[1,1,0] neg_lo:[0,0,1] neg_hi:[0,0,1]
	v_pk_fma_f32 v[134:135], v[136:137], v[124:125], v[134:135] op_sel:[0,0,1] op_sel_hi:[1,0,0]
	v_mov_b32_e32 v139, v135
	ds_load_2addr_b64 v[134:137], v128 offset0:24 offset1:25
	v_pk_add_f32 v[26:27], v[26:27], v[138:139] neg_lo:[0,1] neg_hi:[0,1]
	s_wait_dscnt 0x0
	v_pk_mul_f32 v[138:139], v[134:135], v[126:127] op_sel:[0,1]
	s_delay_alu instid0(VALU_DEP_1) | instskip(SKIP_1) | instid1(VALU_DEP_1)
	v_pk_fma_f32 v[140:141], v[134:135], v[124:125], v[138:139] op_sel:[0,0,1] op_sel_hi:[1,1,0] neg_lo:[0,0,1] neg_hi:[0,0,1]
	v_pk_fma_f32 v[134:135], v[134:135], v[124:125], v[138:139] op_sel:[0,0,1] op_sel_hi:[1,0,0]
	v_mov_b32_e32 v141, v135
	v_pk_mul_f32 v[134:135], v[136:137], v[126:127] op_sel:[0,1]
	s_delay_alu instid0(VALU_DEP_2) | instskip(NEXT) | instid1(VALU_DEP_2)
	v_pk_add_f32 v[60:61], v[60:61], v[140:141] neg_lo:[0,1] neg_hi:[0,1]
	v_pk_fma_f32 v[138:139], v[136:137], v[124:125], v[134:135] op_sel:[0,0,1] op_sel_hi:[1,1,0] neg_lo:[0,0,1] neg_hi:[0,0,1]
	v_pk_fma_f32 v[134:135], v[136:137], v[124:125], v[134:135] op_sel:[0,0,1] op_sel_hi:[1,0,0]
	s_delay_alu instid0(VALU_DEP_1) | instskip(SKIP_4) | instid1(VALU_DEP_1)
	v_mov_b32_e32 v139, v135
	ds_load_2addr_b64 v[134:137], v128 offset0:26 offset1:27
	v_pk_add_f32 v[58:59], v[58:59], v[138:139] neg_lo:[0,1] neg_hi:[0,1]
	s_wait_dscnt 0x0
	v_pk_mul_f32 v[138:139], v[134:135], v[126:127] op_sel:[0,1]
	v_pk_fma_f32 v[140:141], v[134:135], v[124:125], v[138:139] op_sel:[0,0,1] op_sel_hi:[1,1,0] neg_lo:[0,0,1] neg_hi:[0,0,1]
	v_pk_fma_f32 v[134:135], v[134:135], v[124:125], v[138:139] op_sel:[0,0,1] op_sel_hi:[1,0,0]
	v_dual_mul_f32 v138, v137, v127 :: v_dual_mov_b32 v134, v137
	s_delay_alu instid0(VALU_DEP_2) | instskip(NEXT) | instid1(VALU_DEP_2)
	v_dual_mov_b32 v141, v135 :: v_dual_mov_b32 v135, v136
	v_pk_fma_f32 v[138:139], v[136:137], v[32:33], v[138:139] op_sel_hi:[1,1,0] neg_lo:[0,0,1] neg_hi:[0,0,1]
	v_mul_f32_e32 v136, v137, v124
	s_delay_alu instid0(VALU_DEP_3) | instskip(NEXT) | instid1(VALU_DEP_2)
	v_pk_add_f32 v[38:39], v[38:39], v[140:141] neg_lo:[0,1] neg_hi:[0,1]
	v_pk_fma_f32 v[134:135], v[134:135], v[32:33], v[136:137] op_sel_hi:[1,1,0]
	s_delay_alu instid0(VALU_DEP_1) | instskip(SKIP_4) | instid1(VALU_DEP_1)
	v_mov_b32_e32 v139, v135
	ds_load_2addr_b64 v[134:137], v128 offset0:28 offset1:29
	v_pk_add_f32 v[36:37], v[36:37], v[138:139] neg_lo:[0,1] neg_hi:[0,1]
	s_wait_dscnt 0x0
	v_pk_mul_f32 v[138:139], v[134:135], v[126:127] op_sel:[0,1]
	v_pk_fma_f32 v[140:141], v[134:135], v[124:125], v[138:139] op_sel:[0,0,1] op_sel_hi:[1,1,0] neg_lo:[0,0,1] neg_hi:[0,0,1]
	v_pk_fma_f32 v[134:135], v[134:135], v[124:125], v[138:139] op_sel:[0,0,1] op_sel_hi:[1,0,0]
	s_delay_alu instid0(VALU_DEP_1) | instskip(SKIP_1) | instid1(VALU_DEP_1)
	v_mov_b32_e32 v141, v135
	v_pk_mul_f32 v[134:135], v[136:137], v[126:127] op_sel:[0,1]
	v_pk_fma_f32 v[138:139], v[136:137], v[124:125], v[134:135] op_sel:[0,0,1] op_sel_hi:[1,1,0] neg_lo:[0,0,1] neg_hi:[0,0,1]
	v_pk_fma_f32 v[134:135], v[136:137], v[124:125], v[134:135] op_sel:[0,0,1] op_sel_hi:[1,0,0]
	s_delay_alu instid0(VALU_DEP_1)
	v_mov_b32_e32 v139, v135
	ds_load_2addr_b64 v[134:137], v128 offset0:30 offset1:31
	v_pk_add_f32 v[68:69], v[68:69], v[140:141] neg_lo:[0,1] neg_hi:[0,1]
	v_pk_add_f32 v[66:67], v[66:67], v[138:139] neg_lo:[0,1] neg_hi:[0,1]
	s_wait_dscnt 0x0
	v_pk_mul_f32 v[138:139], v[134:135], v[126:127] op_sel:[0,1]
	s_delay_alu instid0(VALU_DEP_1) | instskip(SKIP_1) | instid1(VALU_DEP_1)
	v_pk_fma_f32 v[140:141], v[134:135], v[124:125], v[138:139] op_sel:[0,0,1] op_sel_hi:[1,1,0] neg_lo:[0,0,1] neg_hi:[0,0,1]
	v_pk_fma_f32 v[134:135], v[134:135], v[124:125], v[138:139] op_sel:[0,0,1] op_sel_hi:[1,0,0]
	v_mov_b32_e32 v141, v135
	v_pk_mul_f32 v[134:135], v[136:137], v[126:127] op_sel:[0,1]
	s_delay_alu instid0(VALU_DEP_1) | instskip(SKIP_1) | instid1(VALU_DEP_1)
	v_pk_fma_f32 v[138:139], v[136:137], v[124:125], v[134:135] op_sel:[0,0,1] op_sel_hi:[1,1,0] neg_lo:[0,0,1] neg_hi:[0,0,1]
	v_pk_fma_f32 v[134:135], v[136:137], v[124:125], v[134:135] op_sel:[0,0,1] op_sel_hi:[1,0,0]
	v_mov_b32_e32 v139, v135
	ds_load_2addr_b64 v[134:137], v128 offset0:32 offset1:33
	v_pk_add_f32 v[48:49], v[48:49], v[140:141] neg_lo:[0,1] neg_hi:[0,1]
	v_pk_add_f32 v[46:47], v[46:47], v[138:139] neg_lo:[0,1] neg_hi:[0,1]
	s_wait_dscnt 0x0
	v_dual_mul_f32 v138, v135, v127 :: v_dual_mul_f32 v140, v135, v124
	s_delay_alu instid0(VALU_DEP_1) | instskip(NEXT) | instid1(VALU_DEP_2)
	v_pk_fma_f32 v[138:139], v[134:135], v[32:33], v[138:139] op_sel_hi:[1,1,0] neg_lo:[0,0,1] neg_hi:[0,0,1]
	v_pk_fma_f32 v[134:135], v[134:135], v[32:33], v[140:141] op_sel:[1,0,0] op_sel_hi:[0,1,0]
	s_delay_alu instid0(VALU_DEP_1) | instskip(SKIP_1) | instid1(VALU_DEP_2)
	v_mov_b32_e32 v139, v135
	v_pk_mul_f32 v[134:135], v[136:137], v[126:127] op_sel:[0,1]
	v_pk_add_f32 v[78:79], v[78:79], v[138:139] neg_lo:[0,1] neg_hi:[0,1]
	s_delay_alu instid0(VALU_DEP_2) | instskip(SKIP_1) | instid1(VALU_DEP_1)
	v_pk_fma_f32 v[138:139], v[136:137], v[124:125], v[134:135] op_sel:[0,0,1] op_sel_hi:[1,1,0] neg_lo:[0,0,1] neg_hi:[0,0,1]
	v_pk_fma_f32 v[134:135], v[136:137], v[124:125], v[134:135] op_sel:[0,0,1] op_sel_hi:[1,0,0]
	v_mov_b32_e32 v139, v135
	ds_load_2addr_b64 v[134:137], v128 offset0:34 offset1:35
	v_pk_add_f32 v[76:77], v[76:77], v[138:139] neg_lo:[0,1] neg_hi:[0,1]
	s_wait_dscnt 0x0
	v_pk_mul_f32 v[138:139], v[134:135], v[126:127] op_sel:[0,1]
	s_delay_alu instid0(VALU_DEP_1) | instskip(SKIP_1) | instid1(VALU_DEP_1)
	v_pk_fma_f32 v[140:141], v[134:135], v[124:125], v[138:139] op_sel:[0,0,1] op_sel_hi:[1,1,0] neg_lo:[0,0,1] neg_hi:[0,0,1]
	v_pk_fma_f32 v[134:135], v[134:135], v[124:125], v[138:139] op_sel:[0,0,1] op_sel_hi:[1,0,0]
	v_mov_b32_e32 v141, v135
	v_pk_mul_f32 v[134:135], v[136:137], v[126:127] op_sel:[0,1]
	s_delay_alu instid0(VALU_DEP_2) | instskip(NEXT) | instid1(VALU_DEP_2)
	v_pk_add_f32 v[56:57], v[56:57], v[140:141] neg_lo:[0,1] neg_hi:[0,1]
	v_pk_fma_f32 v[138:139], v[136:137], v[124:125], v[134:135] op_sel:[0,0,1] op_sel_hi:[1,1,0] neg_lo:[0,0,1] neg_hi:[0,0,1]
	v_pk_fma_f32 v[134:135], v[136:137], v[124:125], v[134:135] op_sel:[0,0,1] op_sel_hi:[1,0,0]
	s_delay_alu instid0(VALU_DEP_1) | instskip(SKIP_4) | instid1(VALU_DEP_1)
	v_mov_b32_e32 v139, v135
	ds_load_2addr_b64 v[134:137], v128 offset0:36 offset1:37
	v_pk_add_f32 v[54:55], v[54:55], v[138:139] neg_lo:[0,1] neg_hi:[0,1]
	s_wait_dscnt 0x0
	v_pk_mul_f32 v[138:139], v[134:135], v[126:127] op_sel:[0,1]
	v_pk_fma_f32 v[140:141], v[134:135], v[124:125], v[138:139] op_sel:[0,0,1] op_sel_hi:[1,1,0] neg_lo:[0,0,1] neg_hi:[0,0,1]
	v_pk_fma_f32 v[134:135], v[134:135], v[124:125], v[138:139] op_sel:[0,0,1] op_sel_hi:[1,0,0]
	v_dual_mul_f32 v138, v137, v127 :: v_dual_mov_b32 v134, v137
	s_delay_alu instid0(VALU_DEP_2) | instskip(NEXT) | instid1(VALU_DEP_2)
	v_dual_mov_b32 v141, v135 :: v_dual_mov_b32 v135, v136
	v_pk_fma_f32 v[138:139], v[136:137], v[32:33], v[138:139] op_sel_hi:[1,1,0] neg_lo:[0,0,1] neg_hi:[0,0,1]
	v_mul_f32_e32 v136, v137, v124
	s_delay_alu instid0(VALU_DEP_3) | instskip(NEXT) | instid1(VALU_DEP_2)
	v_pk_add_f32 v[88:89], v[88:89], v[140:141] neg_lo:[0,1] neg_hi:[0,1]
	v_pk_fma_f32 v[134:135], v[134:135], v[32:33], v[136:137] op_sel_hi:[1,1,0]
	s_delay_alu instid0(VALU_DEP_1) | instskip(SKIP_4) | instid1(VALU_DEP_1)
	v_mov_b32_e32 v139, v135
	ds_load_2addr_b64 v[134:137], v128 offset0:38 offset1:39
	v_pk_add_f32 v[86:87], v[86:87], v[138:139] neg_lo:[0,1] neg_hi:[0,1]
	s_wait_dscnt 0x0
	v_pk_mul_f32 v[138:139], v[134:135], v[126:127] op_sel:[0,1]
	v_pk_fma_f32 v[140:141], v[134:135], v[124:125], v[138:139] op_sel:[0,0,1] op_sel_hi:[1,1,0] neg_lo:[0,0,1] neg_hi:[0,0,1]
	v_pk_fma_f32 v[134:135], v[134:135], v[124:125], v[138:139] op_sel:[0,0,1] op_sel_hi:[1,0,0]
	s_delay_alu instid0(VALU_DEP_1) | instskip(SKIP_1) | instid1(VALU_DEP_1)
	v_mov_b32_e32 v141, v135
	v_pk_mul_f32 v[134:135], v[136:137], v[126:127] op_sel:[0,1]
	v_pk_fma_f32 v[138:139], v[136:137], v[124:125], v[134:135] op_sel:[0,0,1] op_sel_hi:[1,1,0] neg_lo:[0,0,1] neg_hi:[0,0,1]
	v_pk_fma_f32 v[134:135], v[136:137], v[124:125], v[134:135] op_sel:[0,0,1] op_sel_hi:[1,0,0]
	s_delay_alu instid0(VALU_DEP_1)
	v_mov_b32_e32 v139, v135
	ds_load_2addr_b64 v[134:137], v128 offset0:40 offset1:41
	v_pk_add_f32 v[64:65], v[64:65], v[140:141] neg_lo:[0,1] neg_hi:[0,1]
	v_pk_add_f32 v[62:63], v[62:63], v[138:139] neg_lo:[0,1] neg_hi:[0,1]
	s_wait_dscnt 0x0
	v_pk_mul_f32 v[138:139], v[134:135], v[126:127] op_sel:[0,1]
	s_delay_alu instid0(VALU_DEP_1) | instskip(SKIP_1) | instid1(VALU_DEP_1)
	v_pk_fma_f32 v[140:141], v[134:135], v[124:125], v[138:139] op_sel:[0,0,1] op_sel_hi:[1,1,0] neg_lo:[0,0,1] neg_hi:[0,0,1]
	v_pk_fma_f32 v[134:135], v[134:135], v[124:125], v[138:139] op_sel:[0,0,1] op_sel_hi:[1,0,0]
	v_mov_b32_e32 v141, v135
	v_pk_mul_f32 v[134:135], v[136:137], v[126:127] op_sel:[0,1]
	s_delay_alu instid0(VALU_DEP_1) | instskip(SKIP_1) | instid1(VALU_DEP_1)
	v_pk_fma_f32 v[138:139], v[136:137], v[124:125], v[134:135] op_sel:[0,0,1] op_sel_hi:[1,1,0] neg_lo:[0,0,1] neg_hi:[0,0,1]
	v_pk_fma_f32 v[134:135], v[136:137], v[124:125], v[134:135] op_sel:[0,0,1] op_sel_hi:[1,0,0]
	v_mov_b32_e32 v139, v135
	ds_load_2addr_b64 v[134:137], v128 offset0:42 offset1:43
	v_pk_add_f32 v[102:103], v[102:103], v[140:141] neg_lo:[0,1] neg_hi:[0,1]
	v_pk_add_f32 v[100:101], v[100:101], v[138:139] neg_lo:[0,1] neg_hi:[0,1]
	s_wait_dscnt 0x0
	v_dual_mul_f32 v138, v135, v127 :: v_dual_mul_f32 v140, v135, v124
	s_delay_alu instid0(VALU_DEP_1) | instskip(NEXT) | instid1(VALU_DEP_2)
	v_pk_fma_f32 v[138:139], v[134:135], v[32:33], v[138:139] op_sel_hi:[1,1,0] neg_lo:[0,0,1] neg_hi:[0,0,1]
	v_pk_fma_f32 v[134:135], v[134:135], v[32:33], v[140:141] op_sel:[1,0,0] op_sel_hi:[0,1,0]
	s_delay_alu instid0(VALU_DEP_1) | instskip(SKIP_1) | instid1(VALU_DEP_2)
	v_mov_b32_e32 v139, v135
	v_pk_mul_f32 v[134:135], v[136:137], v[126:127] op_sel:[0,1]
	v_pk_add_f32 v[72:73], v[72:73], v[138:139] neg_lo:[0,1] neg_hi:[0,1]
	s_delay_alu instid0(VALU_DEP_2) | instskip(SKIP_1) | instid1(VALU_DEP_1)
	v_pk_fma_f32 v[138:139], v[136:137], v[124:125], v[134:135] op_sel:[0,0,1] op_sel_hi:[1,1,0] neg_lo:[0,0,1] neg_hi:[0,0,1]
	v_pk_fma_f32 v[134:135], v[136:137], v[124:125], v[134:135] op_sel:[0,0,1] op_sel_hi:[1,0,0]
	v_mov_b32_e32 v139, v135
	ds_load_2addr_b64 v[134:137], v128 offset0:44 offset1:45
	v_pk_add_f32 v[70:71], v[70:71], v[138:139] neg_lo:[0,1] neg_hi:[0,1]
	s_wait_dscnt 0x0
	v_pk_mul_f32 v[138:139], v[134:135], v[126:127] op_sel:[0,1]
	s_delay_alu instid0(VALU_DEP_1) | instskip(SKIP_1) | instid1(VALU_DEP_1)
	v_pk_fma_f32 v[140:141], v[134:135], v[124:125], v[138:139] op_sel:[0,0,1] op_sel_hi:[1,1,0] neg_lo:[0,0,1] neg_hi:[0,0,1]
	v_pk_fma_f32 v[134:135], v[134:135], v[124:125], v[138:139] op_sel:[0,0,1] op_sel_hi:[1,0,0]
	v_mov_b32_e32 v141, v135
	v_pk_mul_f32 v[134:135], v[136:137], v[126:127] op_sel:[0,1]
	s_delay_alu instid0(VALU_DEP_2) | instskip(NEXT) | instid1(VALU_DEP_2)
	v_pk_add_f32 v[110:111], v[110:111], v[140:141] neg_lo:[0,1] neg_hi:[0,1]
	v_pk_fma_f32 v[138:139], v[136:137], v[124:125], v[134:135] op_sel:[0,0,1] op_sel_hi:[1,1,0] neg_lo:[0,0,1] neg_hi:[0,0,1]
	v_pk_fma_f32 v[134:135], v[136:137], v[124:125], v[134:135] op_sel:[0,0,1] op_sel_hi:[1,0,0]
	s_delay_alu instid0(VALU_DEP_1) | instskip(SKIP_4) | instid1(VALU_DEP_1)
	v_mov_b32_e32 v139, v135
	ds_load_2addr_b64 v[134:137], v128 offset0:46 offset1:47
	v_pk_add_f32 v[108:109], v[108:109], v[138:139] neg_lo:[0,1] neg_hi:[0,1]
	s_wait_dscnt 0x0
	v_pk_mul_f32 v[138:139], v[134:135], v[126:127] op_sel:[0,1]
	v_pk_fma_f32 v[140:141], v[134:135], v[124:125], v[138:139] op_sel:[0,0,1] op_sel_hi:[1,1,0] neg_lo:[0,0,1] neg_hi:[0,0,1]
	v_pk_fma_f32 v[134:135], v[134:135], v[124:125], v[138:139] op_sel:[0,0,1] op_sel_hi:[1,0,0]
	v_dual_mul_f32 v138, v137, v127 :: v_dual_mov_b32 v134, v137
	s_delay_alu instid0(VALU_DEP_2) | instskip(NEXT) | instid1(VALU_DEP_2)
	v_dual_mov_b32 v141, v135 :: v_dual_mov_b32 v135, v136
	v_pk_fma_f32 v[138:139], v[136:137], v[32:33], v[138:139] op_sel_hi:[1,1,0] neg_lo:[0,0,1] neg_hi:[0,0,1]
	v_mul_f32_e32 v136, v137, v124
	s_delay_alu instid0(VALU_DEP_3) | instskip(NEXT) | instid1(VALU_DEP_2)
	v_pk_add_f32 v[82:83], v[82:83], v[140:141] neg_lo:[0,1] neg_hi:[0,1]
	v_pk_fma_f32 v[134:135], v[134:135], v[32:33], v[136:137] op_sel_hi:[1,1,0]
	s_delay_alu instid0(VALU_DEP_1) | instskip(SKIP_4) | instid1(VALU_DEP_1)
	v_mov_b32_e32 v139, v135
	ds_load_2addr_b64 v[134:137], v128 offset0:48 offset1:49
	v_pk_add_f32 v[80:81], v[80:81], v[138:139] neg_lo:[0,1] neg_hi:[0,1]
	s_wait_dscnt 0x0
	v_pk_mul_f32 v[138:139], v[134:135], v[126:127] op_sel:[0,1]
	v_pk_fma_f32 v[140:141], v[134:135], v[124:125], v[138:139] op_sel:[0,0,1] op_sel_hi:[1,1,0] neg_lo:[0,0,1] neg_hi:[0,0,1]
	v_pk_fma_f32 v[134:135], v[134:135], v[124:125], v[138:139] op_sel:[0,0,1] op_sel_hi:[1,0,0]
	s_delay_alu instid0(VALU_DEP_1) | instskip(SKIP_1) | instid1(VALU_DEP_1)
	v_mov_b32_e32 v141, v135
	v_pk_mul_f32 v[134:135], v[136:137], v[126:127] op_sel:[0,1]
	v_pk_fma_f32 v[138:139], v[136:137], v[124:125], v[134:135] op_sel:[0,0,1] op_sel_hi:[1,1,0] neg_lo:[0,0,1] neg_hi:[0,0,1]
	v_pk_fma_f32 v[134:135], v[136:137], v[124:125], v[134:135] op_sel:[0,0,1] op_sel_hi:[1,0,0]
	s_delay_alu instid0(VALU_DEP_1)
	v_mov_b32_e32 v139, v135
	ds_load_2addr_b64 v[134:137], v128 offset0:50 offset1:51
	v_pk_add_f32 v[120:121], v[120:121], v[140:141] neg_lo:[0,1] neg_hi:[0,1]
	v_pk_add_f32 v[118:119], v[118:119], v[138:139] neg_lo:[0,1] neg_hi:[0,1]
	s_wait_dscnt 0x0
	v_pk_mul_f32 v[138:139], v[134:135], v[126:127] op_sel:[0,1]
	s_delay_alu instid0(VALU_DEP_1) | instskip(SKIP_1) | instid1(VALU_DEP_1)
	v_pk_fma_f32 v[140:141], v[134:135], v[124:125], v[138:139] op_sel:[0,0,1] op_sel_hi:[1,1,0] neg_lo:[0,0,1] neg_hi:[0,0,1]
	v_pk_fma_f32 v[134:135], v[134:135], v[124:125], v[138:139] op_sel:[0,0,1] op_sel_hi:[1,0,0]
	v_mov_b32_e32 v141, v135
	v_pk_mul_f32 v[134:135], v[136:137], v[126:127] op_sel:[0,1]
	s_delay_alu instid0(VALU_DEP_1) | instskip(SKIP_1) | instid1(VALU_DEP_1)
	v_pk_fma_f32 v[138:139], v[136:137], v[124:125], v[134:135] op_sel:[0,0,1] op_sel_hi:[1,1,0] neg_lo:[0,0,1] neg_hi:[0,0,1]
	v_pk_fma_f32 v[134:135], v[136:137], v[124:125], v[134:135] op_sel:[0,0,1] op_sel_hi:[1,0,0]
	v_mov_b32_e32 v139, v135
	ds_load_2addr_b64 v[134:137], v128 offset0:52 offset1:53
	v_pk_add_f32 v[94:95], v[94:95], v[140:141] neg_lo:[0,1] neg_hi:[0,1]
	v_pk_add_f32 v[96:97], v[96:97], v[138:139] neg_lo:[0,1] neg_hi:[0,1]
	s_wait_dscnt 0x0
	v_dual_mul_f32 v138, v135, v127 :: v_dual_mul_f32 v140, v135, v124
	s_delay_alu instid0(VALU_DEP_1) | instskip(NEXT) | instid1(VALU_DEP_2)
	v_pk_fma_f32 v[138:139], v[134:135], v[32:33], v[138:139] op_sel_hi:[1,1,0] neg_lo:[0,0,1] neg_hi:[0,0,1]
	v_pk_fma_f32 v[134:135], v[134:135], v[32:33], v[140:141] op_sel:[1,0,0] op_sel_hi:[0,1,0]
	s_delay_alu instid0(VALU_DEP_1) | instskip(SKIP_1) | instid1(VALU_DEP_2)
	v_mov_b32_e32 v139, v135
	v_pk_mul_f32 v[134:135], v[136:137], v[126:127] op_sel:[0,1]
	v_pk_add_f32 v[114:115], v[114:115], v[138:139] neg_lo:[0,1] neg_hi:[0,1]
	s_delay_alu instid0(VALU_DEP_2) | instskip(SKIP_1) | instid1(VALU_DEP_1)
	v_pk_fma_f32 v[138:139], v[136:137], v[124:125], v[134:135] op_sel:[0,0,1] op_sel_hi:[1,1,0] neg_lo:[0,0,1] neg_hi:[0,0,1]
	v_pk_fma_f32 v[134:135], v[136:137], v[124:125], v[134:135] op_sel:[0,0,1] op_sel_hi:[1,0,0]
	v_mov_b32_e32 v139, v135
	ds_load_2addr_b64 v[134:137], v128 offset0:54 offset1:55
	v_pk_add_f32 v[112:113], v[112:113], v[138:139] neg_lo:[0,1] neg_hi:[0,1]
	s_wait_dscnt 0x0
	v_pk_mul_f32 v[138:139], v[134:135], v[126:127] op_sel:[0,1]
	s_delay_alu instid0(VALU_DEP_1) | instskip(SKIP_1) | instid1(VALU_DEP_1)
	v_pk_fma_f32 v[140:141], v[134:135], v[124:125], v[138:139] op_sel:[0,0,1] op_sel_hi:[1,1,0] neg_lo:[0,0,1] neg_hi:[0,0,1]
	v_pk_fma_f32 v[134:135], v[134:135], v[124:125], v[138:139] op_sel:[0,0,1] op_sel_hi:[1,0,0]
	v_mov_b32_e32 v141, v135
	v_pk_mul_f32 v[134:135], v[136:137], v[126:127] op_sel:[0,1]
	s_delay_alu instid0(VALU_DEP_2) | instskip(NEXT) | instid1(VALU_DEP_2)
	v_pk_add_f32 v[92:93], v[92:93], v[140:141] neg_lo:[0,1] neg_hi:[0,1]
	v_pk_fma_f32 v[138:139], v[136:137], v[124:125], v[134:135] op_sel:[0,0,1] op_sel_hi:[1,1,0] neg_lo:[0,0,1] neg_hi:[0,0,1]
	v_pk_fma_f32 v[134:135], v[136:137], v[124:125], v[134:135] op_sel:[0,0,1] op_sel_hi:[1,0,0]
	s_delay_alu instid0(VALU_DEP_1) | instskip(SKIP_4) | instid1(VALU_DEP_1)
	v_mov_b32_e32 v139, v135
	ds_load_2addr_b64 v[134:137], v128 offset0:56 offset1:57
	v_pk_add_f32 v[90:91], v[90:91], v[138:139] neg_lo:[0,1] neg_hi:[0,1]
	s_wait_dscnt 0x0
	v_pk_mul_f32 v[138:139], v[134:135], v[126:127] op_sel:[0,1]
	v_pk_fma_f32 v[140:141], v[134:135], v[124:125], v[138:139] op_sel:[0,0,1] op_sel_hi:[1,1,0] neg_lo:[0,0,1] neg_hi:[0,0,1]
	v_pk_fma_f32 v[134:135], v[134:135], v[124:125], v[138:139] op_sel:[0,0,1] op_sel_hi:[1,0,0]
	v_dual_mul_f32 v138, v137, v127 :: v_dual_mov_b32 v134, v137
	s_delay_alu instid0(VALU_DEP_2) | instskip(NEXT) | instid1(VALU_DEP_2)
	v_dual_mov_b32 v141, v135 :: v_dual_mov_b32 v135, v136
	v_pk_fma_f32 v[138:139], v[136:137], v[32:33], v[138:139] op_sel_hi:[1,1,0] neg_lo:[0,0,1] neg_hi:[0,0,1]
	v_mul_f32_e32 v136, v137, v124
	s_delay_alu instid0(VALU_DEP_3) | instskip(NEXT) | instid1(VALU_DEP_2)
	v_pk_add_f32 v[104:105], v[104:105], v[140:141] neg_lo:[0,1] neg_hi:[0,1]
	v_pk_fma_f32 v[134:135], v[134:135], v[32:33], v[136:137] op_sel_hi:[1,1,0]
	s_delay_alu instid0(VALU_DEP_1) | instskip(SKIP_4) | instid1(VALU_DEP_1)
	v_mov_b32_e32 v139, v135
	ds_load_b64 v[134:135], v128 offset:464
	v_pk_add_f32 v[98:99], v[98:99], v[138:139] neg_lo:[0,1] neg_hi:[0,1]
	s_wait_dscnt 0x0
	v_pk_mul_f32 v[126:127], v[134:135], v[126:127] op_sel:[0,1]
	v_pk_fma_f32 v[136:137], v[134:135], v[124:125], v[126:127] op_sel:[0,0,1] op_sel_hi:[1,1,0] neg_lo:[0,0,1] neg_hi:[0,0,1]
	v_pk_fma_f32 v[124:125], v[134:135], v[124:125], v[126:127] op_sel:[0,0,1] op_sel_hi:[1,0,0]
	s_delay_alu instid0(VALU_DEP_1) | instskip(NEXT) | instid1(VALU_DEP_1)
	v_mov_b32_e32 v137, v125
	v_pk_add_f32 v[122:123], v[122:123], v[136:137] neg_lo:[0,1] neg_hi:[0,1]
.LBB116_293:
	s_or_b32 exec_lo, exec_lo, s0
	v_lshl_add_u32 v124, v132, 3, v128
	s_barrier_signal -1
	s_barrier_wait -1
	ds_store_b64 v124, v[14:15]
	s_wait_dscnt 0x0
	s_barrier_signal -1
	s_barrier_wait -1
	ds_load_b64 v[126:127], v128 offset:112
	v_mov_b32_e32 v124, 14
	s_cmp_lt_i32 s18, 16
	s_cbranch_scc1 .LBB116_296
; %bb.294:
	v_add3_u32 v125, v129, 0, 0x78
	v_mov_b32_e32 v124, 14
	s_mov_b32 s0, 15
.LBB116_295:                            ; =>This Inner Loop Header: Depth=1
	ds_load_b64 v[134:135], v125
	s_wait_dscnt 0x1
	v_cmp_gt_f32_e32 vcc_lo, 0, v126
	v_cndmask_b32_e64 v136, v126, -v126, vcc_lo
	v_cmp_gt_f32_e32 vcc_lo, 0, v127
	v_cndmask_b32_e64 v138, v127, -v127, vcc_lo
	s_wait_dscnt 0x0
	v_cmp_gt_f32_e32 vcc_lo, 0, v134
	v_cndmask_b32_e64 v137, v134, -v134, vcc_lo
	v_cmp_gt_f32_e32 vcc_lo, 0, v135
	v_cndmask_b32_e64 v139, v135, -v135, vcc_lo
	s_delay_alu instid0(VALU_DEP_1) | instskip(NEXT) | instid1(VALU_DEP_1)
	v_pk_add_f32 v[136:137], v[136:137], v[138:139]
	v_cmp_lt_f32_e32 vcc_lo, v136, v137
	v_dual_add_nc_u32 v125, 8, v125 :: v_dual_cndmask_b32 v127, v127, v135, vcc_lo
	v_cndmask_b32_e32 v126, v126, v134, vcc_lo
	v_cndmask_b32_e64 v124, v124, s0, vcc_lo
	s_add_co_i32 s0, s0, 1
	s_delay_alu instid0(SALU_CYCLE_1)
	s_cmp_lg_u32 s18, s0
	s_cbranch_scc1 .LBB116_295
.LBB116_296:
	s_wait_dscnt 0x0
	v_cmp_eq_f32_e32 vcc_lo, 0, v126
	v_cmp_eq_f32_e64 s0, 0, v127
	s_and_b32 s0, vcc_lo, s0
	s_delay_alu instid0(SALU_CYCLE_1) | instskip(NEXT) | instid1(SALU_CYCLE_1)
	s_and_saveexec_b32 s1, s0
	s_xor_b32 s0, exec_lo, s1
; %bb.297:
	v_cmp_ne_u32_e32 vcc_lo, 0, v130
	v_cndmask_b32_e32 v130, 15, v130, vcc_lo
; %bb.298:
	s_and_not1_saveexec_b32 s0, s0
	s_cbranch_execz .LBB116_304
; %bb.299:
	v_cmp_ngt_f32_e64 s1, |v126|, |v127|
	s_and_saveexec_b32 s12, s1
	s_delay_alu instid0(SALU_CYCLE_1)
	s_xor_b32 s1, exec_lo, s12
	s_cbranch_execz .LBB116_301
; %bb.300:
	v_div_scale_f32 v125, null, v127, v127, v126
	v_div_scale_f32 v135, vcc_lo, v126, v127, v126
	s_delay_alu instid0(VALU_DEP_2) | instskip(SKIP_1) | instid1(TRANS32_DEP_1)
	v_rcp_f32_e32 v133, v125
	v_nop
	v_fma_f32 v134, -v125, v133, 1.0
	s_delay_alu instid0(VALU_DEP_1) | instskip(NEXT) | instid1(VALU_DEP_1)
	v_fmac_f32_e32 v133, v134, v133
	v_mul_f32_e32 v134, v135, v133
	s_delay_alu instid0(VALU_DEP_1) | instskip(NEXT) | instid1(VALU_DEP_1)
	v_fma_f32 v136, -v125, v134, v135
	v_fmac_f32_e32 v134, v136, v133
	s_delay_alu instid0(VALU_DEP_1) | instskip(NEXT) | instid1(VALU_DEP_1)
	v_fma_f32 v125, -v125, v134, v135
	v_div_fmas_f32 v125, v125, v133, v134
	s_delay_alu instid0(VALU_DEP_1) | instskip(NEXT) | instid1(VALU_DEP_1)
	v_div_fixup_f32 v125, v125, v127, v126
	v_fmac_f32_e32 v127, v126, v125
	s_delay_alu instid0(VALU_DEP_1) | instskip(SKIP_1) | instid1(VALU_DEP_2)
	v_div_scale_f32 v126, null, v127, v127, 1.0
	v_div_scale_f32 v135, vcc_lo, 1.0, v127, 1.0
	v_rcp_f32_e32 v133, v126
	v_nop
	s_delay_alu instid0(TRANS32_DEP_1) | instskip(NEXT) | instid1(VALU_DEP_1)
	v_fma_f32 v134, -v126, v133, 1.0
	v_fmac_f32_e32 v133, v134, v133
	s_delay_alu instid0(VALU_DEP_1) | instskip(NEXT) | instid1(VALU_DEP_1)
	v_mul_f32_e32 v134, v135, v133
	v_fma_f32 v136, -v126, v134, v135
	s_delay_alu instid0(VALU_DEP_1) | instskip(NEXT) | instid1(VALU_DEP_1)
	v_fmac_f32_e32 v134, v136, v133
	v_fma_f32 v126, -v126, v134, v135
	s_delay_alu instid0(VALU_DEP_1) | instskip(NEXT) | instid1(VALU_DEP_1)
	v_div_fmas_f32 v126, v126, v133, v134
	v_div_fixup_f32 v127, v126, v127, 1.0
	s_delay_alu instid0(VALU_DEP_1)
	v_mul_f32_e32 v126, v125, v127
	v_xor_b32_e32 v127, 0x80000000, v127
.LBB116_301:
	s_and_not1_saveexec_b32 s1, s1
	s_cbranch_execz .LBB116_303
; %bb.302:
	s_delay_alu instid0(VALU_DEP_1) | instskip(SKIP_1) | instid1(VALU_DEP_2)
	v_div_scale_f32 v125, null, v126, v126, v127
	v_div_scale_f32 v135, vcc_lo, v127, v126, v127
	v_rcp_f32_e32 v133, v125
	v_nop
	s_delay_alu instid0(TRANS32_DEP_1) | instskip(NEXT) | instid1(VALU_DEP_1)
	v_fma_f32 v134, -v125, v133, 1.0
	v_fmac_f32_e32 v133, v134, v133
	s_delay_alu instid0(VALU_DEP_1) | instskip(NEXT) | instid1(VALU_DEP_1)
	v_mul_f32_e32 v134, v135, v133
	v_fma_f32 v136, -v125, v134, v135
	s_delay_alu instid0(VALU_DEP_1) | instskip(NEXT) | instid1(VALU_DEP_1)
	v_fmac_f32_e32 v134, v136, v133
	v_fma_f32 v125, -v125, v134, v135
	s_delay_alu instid0(VALU_DEP_1) | instskip(NEXT) | instid1(VALU_DEP_1)
	v_div_fmas_f32 v125, v125, v133, v134
	v_div_fixup_f32 v125, v125, v126, v127
	s_delay_alu instid0(VALU_DEP_1) | instskip(NEXT) | instid1(VALU_DEP_1)
	v_fmac_f32_e32 v126, v127, v125
	v_div_scale_f32 v127, null, v126, v126, 1.0
	s_delay_alu instid0(VALU_DEP_1) | instskip(SKIP_1) | instid1(TRANS32_DEP_1)
	v_rcp_f32_e32 v133, v127
	v_nop
	v_fma_f32 v134, -v127, v133, 1.0
	s_delay_alu instid0(VALU_DEP_1) | instskip(SKIP_1) | instid1(VALU_DEP_1)
	v_fmac_f32_e32 v133, v134, v133
	v_div_scale_f32 v134, vcc_lo, 1.0, v126, 1.0
	v_mul_f32_e32 v135, v134, v133
	s_delay_alu instid0(VALU_DEP_1) | instskip(NEXT) | instid1(VALU_DEP_1)
	v_fma_f32 v136, -v127, v135, v134
	v_fmac_f32_e32 v135, v136, v133
	s_delay_alu instid0(VALU_DEP_1) | instskip(NEXT) | instid1(VALU_DEP_1)
	v_fma_f32 v127, -v127, v135, v134
	v_div_fmas_f32 v127, v127, v133, v135
	s_delay_alu instid0(VALU_DEP_1) | instskip(NEXT) | instid1(VALU_DEP_1)
	v_div_fixup_f32 v126, v127, v126, 1.0
	v_mul_f32_e64 v127, v125, -v126
.LBB116_303:
	s_or_b32 exec_lo, exec_lo, s1
.LBB116_304:
	s_delay_alu instid0(SALU_CYCLE_1) | instskip(NEXT) | instid1(SALU_CYCLE_1)
	s_or_b32 exec_lo, exec_lo, s0
	s_mov_b32 s0, exec_lo
	v_cmpx_ne_u32_e64 v132, v124
	s_xor_b32 s0, exec_lo, s0
	s_cbranch_execz .LBB116_310
; %bb.305:
	s_mov_b32 s1, exec_lo
	v_cmpx_eq_u32_e32 14, v132
	s_cbranch_execz .LBB116_309
; %bb.306:
	v_cmp_ne_u32_e32 vcc_lo, 14, v124
	s_xor_b32 s12, s16, -1
	s_delay_alu instid0(SALU_CYCLE_1) | instskip(NEXT) | instid1(SALU_CYCLE_1)
	s_and_b32 s13, s12, vcc_lo
	s_and_saveexec_b32 s12, s13
	s_cbranch_execz .LBB116_308
; %bb.307:
	v_ashrrev_i32_e32 v125, 31, v124
	s_delay_alu instid0(VALU_DEP_1)
	v_lshl_add_u64 v[132:133], v[124:125], 2, v[4:5]
	s_clause 0x1
	global_load_b32 v125, v[132:133], off
	global_load_b32 v131, v[4:5], off offset:56
	s_wait_loadcnt 0x1
	global_store_b32 v[4:5], v125, off offset:56
	s_wait_loadcnt 0x0
	global_store_b32 v[132:133], v131, off
.LBB116_308:
	s_wait_xcnt 0x0
	s_or_b32 exec_lo, exec_lo, s12
	v_dual_mov_b32 v132, v124 :: v_dual_mov_b32 v131, v124
.LBB116_309:
	s_or_b32 exec_lo, exec_lo, s1
.LBB116_310:
	s_and_not1_saveexec_b32 s0, s0
	s_cbranch_execz .LBB116_312
; %bb.311:
	v_mov_b32_e32 v132, 14
	ds_store_2addr_b64 v128, v[12:13], v[44:45] offset0:15 offset1:16
	ds_store_2addr_b64 v128, v[42:43], v[20:21] offset0:17 offset1:18
	;; [unrolled: 1-line block ×22, first 2 shown]
.LBB116_312:
	s_or_b32 exec_lo, exec_lo, s0
	s_delay_alu instid0(SALU_CYCLE_1)
	s_mov_b32 s0, exec_lo
	s_wait_storecnt_dscnt 0x0
	s_barrier_signal -1
	s_barrier_wait -1
	v_cmpx_lt_i32_e32 14, v132
	s_cbranch_execz .LBB116_314
; %bb.313:
	v_pk_mul_f32 v[134:135], v[126:127], v[14:15] op_sel:[1,1] op_sel_hi:[0,1]
	s_delay_alu instid0(VALU_DEP_1)
	v_pk_fma_f32 v[124:125], v[126:127], v[14:15], v[134:135] op_sel_hi:[1,0,1] neg_lo:[0,0,1] neg_hi:[0,0,1]
	v_pk_fma_f32 v[126:127], v[126:127], v[14:15], v[134:135] op_sel_hi:[1,0,1]
	ds_load_2addr_b64 v[134:137], v128 offset0:15 offset1:16
	v_dual_mov_b32 v14, v124 :: v_dual_mov_b32 v15, v127
	s_wait_dscnt 0x0
	v_pk_mul_f32 v[138:139], v[134:135], v[126:127] op_sel:[0,1]
	s_delay_alu instid0(VALU_DEP_1) | instskip(SKIP_1) | instid1(VALU_DEP_1)
	v_pk_fma_f32 v[140:141], v[134:135], v[124:125], v[138:139] op_sel:[0,0,1] op_sel_hi:[1,1,0] neg_lo:[0,0,1] neg_hi:[0,0,1]
	v_pk_fma_f32 v[134:135], v[134:135], v[124:125], v[138:139] op_sel:[0,0,1] op_sel_hi:[1,0,0]
	v_mov_b32_e32 v141, v135
	v_pk_mul_f32 v[134:135], v[136:137], v[126:127] op_sel:[0,1]
	s_delay_alu instid0(VALU_DEP_1) | instskip(SKIP_1) | instid1(VALU_DEP_1)
	v_pk_fma_f32 v[138:139], v[136:137], v[124:125], v[134:135] op_sel:[0,0,1] op_sel_hi:[1,1,0] neg_lo:[0,0,1] neg_hi:[0,0,1]
	v_pk_fma_f32 v[134:135], v[136:137], v[124:125], v[134:135] op_sel:[0,0,1] op_sel_hi:[1,0,0]
	v_mov_b32_e32 v139, v135
	ds_load_2addr_b64 v[134:137], v128 offset0:17 offset1:18
	v_pk_add_f32 v[12:13], v[12:13], v[140:141] neg_lo:[0,1] neg_hi:[0,1]
	v_pk_add_f32 v[44:45], v[44:45], v[138:139] neg_lo:[0,1] neg_hi:[0,1]
	s_wait_dscnt 0x0
	v_pk_mul_f32 v[138:139], v[134:135], v[126:127] op_sel:[0,1]
	s_delay_alu instid0(VALU_DEP_1) | instskip(SKIP_2) | instid1(VALU_DEP_2)
	v_pk_fma_f32 v[140:141], v[134:135], v[124:125], v[138:139] op_sel:[0,0,1] op_sel_hi:[1,1,0] neg_lo:[0,0,1] neg_hi:[0,0,1]
	v_pk_fma_f32 v[134:135], v[134:135], v[124:125], v[138:139] op_sel:[0,0,1] op_sel_hi:[1,0,0]
	v_dual_mul_f32 v138, v137, v127 :: v_dual_mov_b32 v134, v137
	v_dual_mov_b32 v141, v135 :: v_dual_mov_b32 v135, v136
	s_delay_alu instid0(VALU_DEP_2) | instskip(SKIP_1) | instid1(VALU_DEP_3)
	v_pk_fma_f32 v[138:139], v[136:137], v[14:15], v[138:139] op_sel_hi:[1,1,0] neg_lo:[0,0,1] neg_hi:[0,0,1]
	v_mul_f32_e32 v136, v137, v124
	v_pk_add_f32 v[42:43], v[42:43], v[140:141] neg_lo:[0,1] neg_hi:[0,1]
	s_delay_alu instid0(VALU_DEP_2) | instskip(NEXT) | instid1(VALU_DEP_1)
	v_pk_fma_f32 v[134:135], v[134:135], v[14:15], v[136:137] op_sel_hi:[1,1,0]
	v_mov_b32_e32 v139, v135
	ds_load_2addr_b64 v[134:137], v128 offset0:19 offset1:20
	v_pk_add_f32 v[20:21], v[20:21], v[138:139] neg_lo:[0,1] neg_hi:[0,1]
	s_wait_dscnt 0x0
	v_pk_mul_f32 v[138:139], v[134:135], v[126:127] op_sel:[0,1]
	s_delay_alu instid0(VALU_DEP_1) | instskip(SKIP_1) | instid1(VALU_DEP_1)
	v_pk_fma_f32 v[140:141], v[134:135], v[124:125], v[138:139] op_sel:[0,0,1] op_sel_hi:[1,1,0] neg_lo:[0,0,1] neg_hi:[0,0,1]
	v_pk_fma_f32 v[134:135], v[134:135], v[124:125], v[138:139] op_sel:[0,0,1] op_sel_hi:[1,0,0]
	v_mov_b32_e32 v141, v135
	v_pk_mul_f32 v[134:135], v[136:137], v[126:127] op_sel:[0,1]
	s_delay_alu instid0(VALU_DEP_1) | instskip(SKIP_1) | instid1(VALU_DEP_1)
	v_pk_fma_f32 v[138:139], v[136:137], v[124:125], v[134:135] op_sel:[0,0,1] op_sel_hi:[1,1,0] neg_lo:[0,0,1] neg_hi:[0,0,1]
	v_pk_fma_f32 v[134:135], v[136:137], v[124:125], v[134:135] op_sel:[0,0,1] op_sel_hi:[1,0,0]
	v_mov_b32_e32 v139, v135
	ds_load_2addr_b64 v[134:137], v128 offset0:21 offset1:22
	v_pk_add_f32 v[18:19], v[18:19], v[140:141] neg_lo:[0,1] neg_hi:[0,1]
	v_pk_add_f32 v[52:53], v[52:53], v[138:139] neg_lo:[0,1] neg_hi:[0,1]
	s_wait_dscnt 0x0
	v_pk_mul_f32 v[138:139], v[134:135], v[126:127] op_sel:[0,1]
	s_delay_alu instid0(VALU_DEP_1) | instskip(SKIP_1) | instid1(VALU_DEP_1)
	v_pk_fma_f32 v[140:141], v[134:135], v[124:125], v[138:139] op_sel:[0,0,1] op_sel_hi:[1,1,0] neg_lo:[0,0,1] neg_hi:[0,0,1]
	v_pk_fma_f32 v[134:135], v[134:135], v[124:125], v[138:139] op_sel:[0,0,1] op_sel_hi:[1,0,0]
	v_mov_b32_e32 v141, v135
	v_pk_mul_f32 v[134:135], v[136:137], v[126:127] op_sel:[0,1]
	s_delay_alu instid0(VALU_DEP_1) | instskip(SKIP_1) | instid1(VALU_DEP_1)
	v_pk_fma_f32 v[138:139], v[136:137], v[124:125], v[134:135] op_sel:[0,0,1] op_sel_hi:[1,1,0] neg_lo:[0,0,1] neg_hi:[0,0,1]
	v_pk_fma_f32 v[134:135], v[136:137], v[124:125], v[134:135] op_sel:[0,0,1] op_sel_hi:[1,0,0]
	v_mov_b32_e32 v139, v135
	ds_load_2addr_b64 v[134:137], v128 offset0:23 offset1:24
	v_pk_add_f32 v[50:51], v[50:51], v[140:141] neg_lo:[0,1] neg_hi:[0,1]
	v_pk_add_f32 v[28:29], v[28:29], v[138:139] neg_lo:[0,1] neg_hi:[0,1]
	s_wait_dscnt 0x0
	v_dual_mul_f32 v138, v135, v127 :: v_dual_mul_f32 v140, v135, v124
	s_delay_alu instid0(VALU_DEP_1) | instskip(NEXT) | instid1(VALU_DEP_2)
	v_pk_fma_f32 v[138:139], v[134:135], v[14:15], v[138:139] op_sel_hi:[1,1,0] neg_lo:[0,0,1] neg_hi:[0,0,1]
	v_pk_fma_f32 v[134:135], v[134:135], v[14:15], v[140:141] op_sel:[1,0,0] op_sel_hi:[0,1,0]
	s_delay_alu instid0(VALU_DEP_1) | instskip(SKIP_1) | instid1(VALU_DEP_2)
	v_mov_b32_e32 v139, v135
	v_pk_mul_f32 v[134:135], v[136:137], v[126:127] op_sel:[0,1]
	v_pk_add_f32 v[26:27], v[26:27], v[138:139] neg_lo:[0,1] neg_hi:[0,1]
	s_delay_alu instid0(VALU_DEP_2) | instskip(SKIP_1) | instid1(VALU_DEP_1)
	v_pk_fma_f32 v[138:139], v[136:137], v[124:125], v[134:135] op_sel:[0,0,1] op_sel_hi:[1,1,0] neg_lo:[0,0,1] neg_hi:[0,0,1]
	v_pk_fma_f32 v[134:135], v[136:137], v[124:125], v[134:135] op_sel:[0,0,1] op_sel_hi:[1,0,0]
	v_mov_b32_e32 v139, v135
	ds_load_2addr_b64 v[134:137], v128 offset0:25 offset1:26
	v_pk_add_f32 v[60:61], v[60:61], v[138:139] neg_lo:[0,1] neg_hi:[0,1]
	s_wait_dscnt 0x0
	v_pk_mul_f32 v[138:139], v[134:135], v[126:127] op_sel:[0,1]
	s_delay_alu instid0(VALU_DEP_1) | instskip(SKIP_1) | instid1(VALU_DEP_1)
	v_pk_fma_f32 v[140:141], v[134:135], v[124:125], v[138:139] op_sel:[0,0,1] op_sel_hi:[1,1,0] neg_lo:[0,0,1] neg_hi:[0,0,1]
	v_pk_fma_f32 v[134:135], v[134:135], v[124:125], v[138:139] op_sel:[0,0,1] op_sel_hi:[1,0,0]
	v_mov_b32_e32 v141, v135
	v_pk_mul_f32 v[134:135], v[136:137], v[126:127] op_sel:[0,1]
	s_delay_alu instid0(VALU_DEP_2) | instskip(NEXT) | instid1(VALU_DEP_2)
	v_pk_add_f32 v[58:59], v[58:59], v[140:141] neg_lo:[0,1] neg_hi:[0,1]
	v_pk_fma_f32 v[138:139], v[136:137], v[124:125], v[134:135] op_sel:[0,0,1] op_sel_hi:[1,1,0] neg_lo:[0,0,1] neg_hi:[0,0,1]
	v_pk_fma_f32 v[134:135], v[136:137], v[124:125], v[134:135] op_sel:[0,0,1] op_sel_hi:[1,0,0]
	s_delay_alu instid0(VALU_DEP_1) | instskip(SKIP_4) | instid1(VALU_DEP_1)
	v_mov_b32_e32 v139, v135
	ds_load_2addr_b64 v[134:137], v128 offset0:27 offset1:28
	v_pk_add_f32 v[38:39], v[38:39], v[138:139] neg_lo:[0,1] neg_hi:[0,1]
	s_wait_dscnt 0x0
	v_pk_mul_f32 v[138:139], v[134:135], v[126:127] op_sel:[0,1]
	v_pk_fma_f32 v[140:141], v[134:135], v[124:125], v[138:139] op_sel:[0,0,1] op_sel_hi:[1,1,0] neg_lo:[0,0,1] neg_hi:[0,0,1]
	v_pk_fma_f32 v[134:135], v[134:135], v[124:125], v[138:139] op_sel:[0,0,1] op_sel_hi:[1,0,0]
	v_dual_mul_f32 v138, v137, v127 :: v_dual_mov_b32 v134, v137
	s_delay_alu instid0(VALU_DEP_2) | instskip(NEXT) | instid1(VALU_DEP_2)
	v_dual_mov_b32 v141, v135 :: v_dual_mov_b32 v135, v136
	v_pk_fma_f32 v[138:139], v[136:137], v[14:15], v[138:139] op_sel_hi:[1,1,0] neg_lo:[0,0,1] neg_hi:[0,0,1]
	v_mul_f32_e32 v136, v137, v124
	s_delay_alu instid0(VALU_DEP_3) | instskip(NEXT) | instid1(VALU_DEP_2)
	v_pk_add_f32 v[36:37], v[36:37], v[140:141] neg_lo:[0,1] neg_hi:[0,1]
	v_pk_fma_f32 v[134:135], v[134:135], v[14:15], v[136:137] op_sel_hi:[1,1,0]
	s_delay_alu instid0(VALU_DEP_1) | instskip(SKIP_4) | instid1(VALU_DEP_1)
	v_mov_b32_e32 v139, v135
	ds_load_2addr_b64 v[134:137], v128 offset0:29 offset1:30
	v_pk_add_f32 v[68:69], v[68:69], v[138:139] neg_lo:[0,1] neg_hi:[0,1]
	s_wait_dscnt 0x0
	v_pk_mul_f32 v[138:139], v[134:135], v[126:127] op_sel:[0,1]
	v_pk_fma_f32 v[140:141], v[134:135], v[124:125], v[138:139] op_sel:[0,0,1] op_sel_hi:[1,1,0] neg_lo:[0,0,1] neg_hi:[0,0,1]
	v_pk_fma_f32 v[134:135], v[134:135], v[124:125], v[138:139] op_sel:[0,0,1] op_sel_hi:[1,0,0]
	s_delay_alu instid0(VALU_DEP_1) | instskip(SKIP_1) | instid1(VALU_DEP_1)
	v_mov_b32_e32 v141, v135
	v_pk_mul_f32 v[134:135], v[136:137], v[126:127] op_sel:[0,1]
	v_pk_fma_f32 v[138:139], v[136:137], v[124:125], v[134:135] op_sel:[0,0,1] op_sel_hi:[1,1,0] neg_lo:[0,0,1] neg_hi:[0,0,1]
	v_pk_fma_f32 v[134:135], v[136:137], v[124:125], v[134:135] op_sel:[0,0,1] op_sel_hi:[1,0,0]
	s_delay_alu instid0(VALU_DEP_1)
	v_mov_b32_e32 v139, v135
	ds_load_2addr_b64 v[134:137], v128 offset0:31 offset1:32
	v_pk_add_f32 v[66:67], v[66:67], v[140:141] neg_lo:[0,1] neg_hi:[0,1]
	v_pk_add_f32 v[48:49], v[48:49], v[138:139] neg_lo:[0,1] neg_hi:[0,1]
	s_wait_dscnt 0x0
	v_pk_mul_f32 v[138:139], v[134:135], v[126:127] op_sel:[0,1]
	s_delay_alu instid0(VALU_DEP_1) | instskip(SKIP_1) | instid1(VALU_DEP_1)
	v_pk_fma_f32 v[140:141], v[134:135], v[124:125], v[138:139] op_sel:[0,0,1] op_sel_hi:[1,1,0] neg_lo:[0,0,1] neg_hi:[0,0,1]
	v_pk_fma_f32 v[134:135], v[134:135], v[124:125], v[138:139] op_sel:[0,0,1] op_sel_hi:[1,0,0]
	v_mov_b32_e32 v141, v135
	v_pk_mul_f32 v[134:135], v[136:137], v[126:127] op_sel:[0,1]
	s_delay_alu instid0(VALU_DEP_1) | instskip(SKIP_1) | instid1(VALU_DEP_1)
	v_pk_fma_f32 v[138:139], v[136:137], v[124:125], v[134:135] op_sel:[0,0,1] op_sel_hi:[1,1,0] neg_lo:[0,0,1] neg_hi:[0,0,1]
	v_pk_fma_f32 v[134:135], v[136:137], v[124:125], v[134:135] op_sel:[0,0,1] op_sel_hi:[1,0,0]
	v_mov_b32_e32 v139, v135
	ds_load_2addr_b64 v[134:137], v128 offset0:33 offset1:34
	v_pk_add_f32 v[46:47], v[46:47], v[140:141] neg_lo:[0,1] neg_hi:[0,1]
	v_pk_add_f32 v[78:79], v[78:79], v[138:139] neg_lo:[0,1] neg_hi:[0,1]
	s_wait_dscnt 0x0
	v_dual_mul_f32 v138, v135, v127 :: v_dual_mul_f32 v140, v135, v124
	s_delay_alu instid0(VALU_DEP_1) | instskip(NEXT) | instid1(VALU_DEP_2)
	v_pk_fma_f32 v[138:139], v[134:135], v[14:15], v[138:139] op_sel_hi:[1,1,0] neg_lo:[0,0,1] neg_hi:[0,0,1]
	v_pk_fma_f32 v[134:135], v[134:135], v[14:15], v[140:141] op_sel:[1,0,0] op_sel_hi:[0,1,0]
	s_delay_alu instid0(VALU_DEP_1) | instskip(SKIP_1) | instid1(VALU_DEP_2)
	v_mov_b32_e32 v139, v135
	v_pk_mul_f32 v[134:135], v[136:137], v[126:127] op_sel:[0,1]
	v_pk_add_f32 v[76:77], v[76:77], v[138:139] neg_lo:[0,1] neg_hi:[0,1]
	s_delay_alu instid0(VALU_DEP_2) | instskip(SKIP_1) | instid1(VALU_DEP_1)
	v_pk_fma_f32 v[138:139], v[136:137], v[124:125], v[134:135] op_sel:[0,0,1] op_sel_hi:[1,1,0] neg_lo:[0,0,1] neg_hi:[0,0,1]
	v_pk_fma_f32 v[134:135], v[136:137], v[124:125], v[134:135] op_sel:[0,0,1] op_sel_hi:[1,0,0]
	v_mov_b32_e32 v139, v135
	ds_load_2addr_b64 v[134:137], v128 offset0:35 offset1:36
	v_pk_add_f32 v[56:57], v[56:57], v[138:139] neg_lo:[0,1] neg_hi:[0,1]
	s_wait_dscnt 0x0
	v_pk_mul_f32 v[138:139], v[134:135], v[126:127] op_sel:[0,1]
	s_delay_alu instid0(VALU_DEP_1) | instskip(SKIP_1) | instid1(VALU_DEP_1)
	v_pk_fma_f32 v[140:141], v[134:135], v[124:125], v[138:139] op_sel:[0,0,1] op_sel_hi:[1,1,0] neg_lo:[0,0,1] neg_hi:[0,0,1]
	v_pk_fma_f32 v[134:135], v[134:135], v[124:125], v[138:139] op_sel:[0,0,1] op_sel_hi:[1,0,0]
	v_mov_b32_e32 v141, v135
	v_pk_mul_f32 v[134:135], v[136:137], v[126:127] op_sel:[0,1]
	s_delay_alu instid0(VALU_DEP_2) | instskip(NEXT) | instid1(VALU_DEP_2)
	v_pk_add_f32 v[54:55], v[54:55], v[140:141] neg_lo:[0,1] neg_hi:[0,1]
	v_pk_fma_f32 v[138:139], v[136:137], v[124:125], v[134:135] op_sel:[0,0,1] op_sel_hi:[1,1,0] neg_lo:[0,0,1] neg_hi:[0,0,1]
	v_pk_fma_f32 v[134:135], v[136:137], v[124:125], v[134:135] op_sel:[0,0,1] op_sel_hi:[1,0,0]
	s_delay_alu instid0(VALU_DEP_1) | instskip(SKIP_4) | instid1(VALU_DEP_1)
	v_mov_b32_e32 v139, v135
	ds_load_2addr_b64 v[134:137], v128 offset0:37 offset1:38
	v_pk_add_f32 v[88:89], v[88:89], v[138:139] neg_lo:[0,1] neg_hi:[0,1]
	s_wait_dscnt 0x0
	v_pk_mul_f32 v[138:139], v[134:135], v[126:127] op_sel:[0,1]
	v_pk_fma_f32 v[140:141], v[134:135], v[124:125], v[138:139] op_sel:[0,0,1] op_sel_hi:[1,1,0] neg_lo:[0,0,1] neg_hi:[0,0,1]
	v_pk_fma_f32 v[134:135], v[134:135], v[124:125], v[138:139] op_sel:[0,0,1] op_sel_hi:[1,0,0]
	v_dual_mul_f32 v138, v137, v127 :: v_dual_mov_b32 v134, v137
	s_delay_alu instid0(VALU_DEP_2) | instskip(NEXT) | instid1(VALU_DEP_2)
	v_dual_mov_b32 v141, v135 :: v_dual_mov_b32 v135, v136
	v_pk_fma_f32 v[138:139], v[136:137], v[14:15], v[138:139] op_sel_hi:[1,1,0] neg_lo:[0,0,1] neg_hi:[0,0,1]
	v_mul_f32_e32 v136, v137, v124
	s_delay_alu instid0(VALU_DEP_3) | instskip(NEXT) | instid1(VALU_DEP_2)
	v_pk_add_f32 v[86:87], v[86:87], v[140:141] neg_lo:[0,1] neg_hi:[0,1]
	v_pk_fma_f32 v[134:135], v[134:135], v[14:15], v[136:137] op_sel_hi:[1,1,0]
	s_delay_alu instid0(VALU_DEP_1) | instskip(SKIP_4) | instid1(VALU_DEP_1)
	v_mov_b32_e32 v139, v135
	ds_load_2addr_b64 v[134:137], v128 offset0:39 offset1:40
	v_pk_add_f32 v[64:65], v[64:65], v[138:139] neg_lo:[0,1] neg_hi:[0,1]
	s_wait_dscnt 0x0
	v_pk_mul_f32 v[138:139], v[134:135], v[126:127] op_sel:[0,1]
	v_pk_fma_f32 v[140:141], v[134:135], v[124:125], v[138:139] op_sel:[0,0,1] op_sel_hi:[1,1,0] neg_lo:[0,0,1] neg_hi:[0,0,1]
	v_pk_fma_f32 v[134:135], v[134:135], v[124:125], v[138:139] op_sel:[0,0,1] op_sel_hi:[1,0,0]
	s_delay_alu instid0(VALU_DEP_1) | instskip(SKIP_1) | instid1(VALU_DEP_1)
	v_mov_b32_e32 v141, v135
	v_pk_mul_f32 v[134:135], v[136:137], v[126:127] op_sel:[0,1]
	v_pk_fma_f32 v[138:139], v[136:137], v[124:125], v[134:135] op_sel:[0,0,1] op_sel_hi:[1,1,0] neg_lo:[0,0,1] neg_hi:[0,0,1]
	v_pk_fma_f32 v[134:135], v[136:137], v[124:125], v[134:135] op_sel:[0,0,1] op_sel_hi:[1,0,0]
	s_delay_alu instid0(VALU_DEP_1)
	v_mov_b32_e32 v139, v135
	ds_load_2addr_b64 v[134:137], v128 offset0:41 offset1:42
	v_pk_add_f32 v[62:63], v[62:63], v[140:141] neg_lo:[0,1] neg_hi:[0,1]
	v_pk_add_f32 v[102:103], v[102:103], v[138:139] neg_lo:[0,1] neg_hi:[0,1]
	s_wait_dscnt 0x0
	v_pk_mul_f32 v[138:139], v[134:135], v[126:127] op_sel:[0,1]
	s_delay_alu instid0(VALU_DEP_1) | instskip(SKIP_1) | instid1(VALU_DEP_1)
	v_pk_fma_f32 v[140:141], v[134:135], v[124:125], v[138:139] op_sel:[0,0,1] op_sel_hi:[1,1,0] neg_lo:[0,0,1] neg_hi:[0,0,1]
	v_pk_fma_f32 v[134:135], v[134:135], v[124:125], v[138:139] op_sel:[0,0,1] op_sel_hi:[1,0,0]
	v_mov_b32_e32 v141, v135
	v_pk_mul_f32 v[134:135], v[136:137], v[126:127] op_sel:[0,1]
	s_delay_alu instid0(VALU_DEP_1) | instskip(SKIP_1) | instid1(VALU_DEP_1)
	v_pk_fma_f32 v[138:139], v[136:137], v[124:125], v[134:135] op_sel:[0,0,1] op_sel_hi:[1,1,0] neg_lo:[0,0,1] neg_hi:[0,0,1]
	v_pk_fma_f32 v[134:135], v[136:137], v[124:125], v[134:135] op_sel:[0,0,1] op_sel_hi:[1,0,0]
	v_mov_b32_e32 v139, v135
	ds_load_2addr_b64 v[134:137], v128 offset0:43 offset1:44
	v_pk_add_f32 v[100:101], v[100:101], v[140:141] neg_lo:[0,1] neg_hi:[0,1]
	v_pk_add_f32 v[72:73], v[72:73], v[138:139] neg_lo:[0,1] neg_hi:[0,1]
	s_wait_dscnt 0x0
	v_dual_mul_f32 v138, v135, v127 :: v_dual_mul_f32 v140, v135, v124
	s_delay_alu instid0(VALU_DEP_1) | instskip(NEXT) | instid1(VALU_DEP_2)
	v_pk_fma_f32 v[138:139], v[134:135], v[14:15], v[138:139] op_sel_hi:[1,1,0] neg_lo:[0,0,1] neg_hi:[0,0,1]
	v_pk_fma_f32 v[134:135], v[134:135], v[14:15], v[140:141] op_sel:[1,0,0] op_sel_hi:[0,1,0]
	s_delay_alu instid0(VALU_DEP_1) | instskip(SKIP_1) | instid1(VALU_DEP_2)
	v_mov_b32_e32 v139, v135
	v_pk_mul_f32 v[134:135], v[136:137], v[126:127] op_sel:[0,1]
	v_pk_add_f32 v[70:71], v[70:71], v[138:139] neg_lo:[0,1] neg_hi:[0,1]
	s_delay_alu instid0(VALU_DEP_2) | instskip(SKIP_1) | instid1(VALU_DEP_1)
	v_pk_fma_f32 v[138:139], v[136:137], v[124:125], v[134:135] op_sel:[0,0,1] op_sel_hi:[1,1,0] neg_lo:[0,0,1] neg_hi:[0,0,1]
	v_pk_fma_f32 v[134:135], v[136:137], v[124:125], v[134:135] op_sel:[0,0,1] op_sel_hi:[1,0,0]
	v_mov_b32_e32 v139, v135
	ds_load_2addr_b64 v[134:137], v128 offset0:45 offset1:46
	v_pk_add_f32 v[110:111], v[110:111], v[138:139] neg_lo:[0,1] neg_hi:[0,1]
	s_wait_dscnt 0x0
	v_pk_mul_f32 v[138:139], v[134:135], v[126:127] op_sel:[0,1]
	s_delay_alu instid0(VALU_DEP_1) | instskip(SKIP_1) | instid1(VALU_DEP_1)
	v_pk_fma_f32 v[140:141], v[134:135], v[124:125], v[138:139] op_sel:[0,0,1] op_sel_hi:[1,1,0] neg_lo:[0,0,1] neg_hi:[0,0,1]
	v_pk_fma_f32 v[134:135], v[134:135], v[124:125], v[138:139] op_sel:[0,0,1] op_sel_hi:[1,0,0]
	v_mov_b32_e32 v141, v135
	v_pk_mul_f32 v[134:135], v[136:137], v[126:127] op_sel:[0,1]
	s_delay_alu instid0(VALU_DEP_2) | instskip(NEXT) | instid1(VALU_DEP_2)
	v_pk_add_f32 v[108:109], v[108:109], v[140:141] neg_lo:[0,1] neg_hi:[0,1]
	v_pk_fma_f32 v[138:139], v[136:137], v[124:125], v[134:135] op_sel:[0,0,1] op_sel_hi:[1,1,0] neg_lo:[0,0,1] neg_hi:[0,0,1]
	v_pk_fma_f32 v[134:135], v[136:137], v[124:125], v[134:135] op_sel:[0,0,1] op_sel_hi:[1,0,0]
	s_delay_alu instid0(VALU_DEP_1) | instskip(SKIP_4) | instid1(VALU_DEP_1)
	v_mov_b32_e32 v139, v135
	ds_load_2addr_b64 v[134:137], v128 offset0:47 offset1:48
	v_pk_add_f32 v[82:83], v[82:83], v[138:139] neg_lo:[0,1] neg_hi:[0,1]
	s_wait_dscnt 0x0
	v_pk_mul_f32 v[138:139], v[134:135], v[126:127] op_sel:[0,1]
	v_pk_fma_f32 v[140:141], v[134:135], v[124:125], v[138:139] op_sel:[0,0,1] op_sel_hi:[1,1,0] neg_lo:[0,0,1] neg_hi:[0,0,1]
	v_pk_fma_f32 v[134:135], v[134:135], v[124:125], v[138:139] op_sel:[0,0,1] op_sel_hi:[1,0,0]
	v_dual_mul_f32 v138, v137, v127 :: v_dual_mov_b32 v134, v137
	s_delay_alu instid0(VALU_DEP_2) | instskip(NEXT) | instid1(VALU_DEP_2)
	v_dual_mov_b32 v141, v135 :: v_dual_mov_b32 v135, v136
	v_pk_fma_f32 v[138:139], v[136:137], v[14:15], v[138:139] op_sel_hi:[1,1,0] neg_lo:[0,0,1] neg_hi:[0,0,1]
	v_mul_f32_e32 v136, v137, v124
	s_delay_alu instid0(VALU_DEP_3) | instskip(NEXT) | instid1(VALU_DEP_2)
	v_pk_add_f32 v[80:81], v[80:81], v[140:141] neg_lo:[0,1] neg_hi:[0,1]
	v_pk_fma_f32 v[134:135], v[134:135], v[14:15], v[136:137] op_sel_hi:[1,1,0]
	s_delay_alu instid0(VALU_DEP_1) | instskip(SKIP_4) | instid1(VALU_DEP_1)
	v_mov_b32_e32 v139, v135
	ds_load_2addr_b64 v[134:137], v128 offset0:49 offset1:50
	v_pk_add_f32 v[120:121], v[120:121], v[138:139] neg_lo:[0,1] neg_hi:[0,1]
	s_wait_dscnt 0x0
	v_pk_mul_f32 v[138:139], v[134:135], v[126:127] op_sel:[0,1]
	v_pk_fma_f32 v[140:141], v[134:135], v[124:125], v[138:139] op_sel:[0,0,1] op_sel_hi:[1,1,0] neg_lo:[0,0,1] neg_hi:[0,0,1]
	v_pk_fma_f32 v[134:135], v[134:135], v[124:125], v[138:139] op_sel:[0,0,1] op_sel_hi:[1,0,0]
	s_delay_alu instid0(VALU_DEP_1) | instskip(SKIP_1) | instid1(VALU_DEP_1)
	v_mov_b32_e32 v141, v135
	v_pk_mul_f32 v[134:135], v[136:137], v[126:127] op_sel:[0,1]
	v_pk_fma_f32 v[138:139], v[136:137], v[124:125], v[134:135] op_sel:[0,0,1] op_sel_hi:[1,1,0] neg_lo:[0,0,1] neg_hi:[0,0,1]
	v_pk_fma_f32 v[134:135], v[136:137], v[124:125], v[134:135] op_sel:[0,0,1] op_sel_hi:[1,0,0]
	s_delay_alu instid0(VALU_DEP_1)
	v_mov_b32_e32 v139, v135
	ds_load_2addr_b64 v[134:137], v128 offset0:51 offset1:52
	v_pk_add_f32 v[118:119], v[118:119], v[140:141] neg_lo:[0,1] neg_hi:[0,1]
	v_pk_add_f32 v[94:95], v[94:95], v[138:139] neg_lo:[0,1] neg_hi:[0,1]
	s_wait_dscnt 0x0
	v_pk_mul_f32 v[138:139], v[134:135], v[126:127] op_sel:[0,1]
	s_delay_alu instid0(VALU_DEP_1) | instskip(SKIP_1) | instid1(VALU_DEP_1)
	v_pk_fma_f32 v[140:141], v[134:135], v[124:125], v[138:139] op_sel:[0,0,1] op_sel_hi:[1,1,0] neg_lo:[0,0,1] neg_hi:[0,0,1]
	v_pk_fma_f32 v[134:135], v[134:135], v[124:125], v[138:139] op_sel:[0,0,1] op_sel_hi:[1,0,0]
	v_mov_b32_e32 v141, v135
	v_pk_mul_f32 v[134:135], v[136:137], v[126:127] op_sel:[0,1]
	s_delay_alu instid0(VALU_DEP_1) | instskip(SKIP_1) | instid1(VALU_DEP_1)
	v_pk_fma_f32 v[138:139], v[136:137], v[124:125], v[134:135] op_sel:[0,0,1] op_sel_hi:[1,1,0] neg_lo:[0,0,1] neg_hi:[0,0,1]
	v_pk_fma_f32 v[134:135], v[136:137], v[124:125], v[134:135] op_sel:[0,0,1] op_sel_hi:[1,0,0]
	v_mov_b32_e32 v139, v135
	ds_load_2addr_b64 v[134:137], v128 offset0:53 offset1:54
	v_pk_add_f32 v[96:97], v[96:97], v[140:141] neg_lo:[0,1] neg_hi:[0,1]
	v_pk_add_f32 v[114:115], v[114:115], v[138:139] neg_lo:[0,1] neg_hi:[0,1]
	s_wait_dscnt 0x0
	v_dual_mul_f32 v138, v135, v127 :: v_dual_mul_f32 v140, v135, v124
	s_delay_alu instid0(VALU_DEP_1) | instskip(NEXT) | instid1(VALU_DEP_2)
	v_pk_fma_f32 v[138:139], v[134:135], v[14:15], v[138:139] op_sel_hi:[1,1,0] neg_lo:[0,0,1] neg_hi:[0,0,1]
	v_pk_fma_f32 v[134:135], v[134:135], v[14:15], v[140:141] op_sel:[1,0,0] op_sel_hi:[0,1,0]
	s_delay_alu instid0(VALU_DEP_1) | instskip(SKIP_1) | instid1(VALU_DEP_2)
	v_mov_b32_e32 v139, v135
	v_pk_mul_f32 v[134:135], v[136:137], v[126:127] op_sel:[0,1]
	v_pk_add_f32 v[112:113], v[112:113], v[138:139] neg_lo:[0,1] neg_hi:[0,1]
	s_delay_alu instid0(VALU_DEP_2) | instskip(SKIP_1) | instid1(VALU_DEP_1)
	v_pk_fma_f32 v[138:139], v[136:137], v[124:125], v[134:135] op_sel:[0,0,1] op_sel_hi:[1,1,0] neg_lo:[0,0,1] neg_hi:[0,0,1]
	v_pk_fma_f32 v[134:135], v[136:137], v[124:125], v[134:135] op_sel:[0,0,1] op_sel_hi:[1,0,0]
	v_mov_b32_e32 v139, v135
	ds_load_2addr_b64 v[134:137], v128 offset0:55 offset1:56
	v_pk_add_f32 v[92:93], v[92:93], v[138:139] neg_lo:[0,1] neg_hi:[0,1]
	s_wait_dscnt 0x0
	v_pk_mul_f32 v[138:139], v[134:135], v[126:127] op_sel:[0,1]
	s_delay_alu instid0(VALU_DEP_1) | instskip(SKIP_1) | instid1(VALU_DEP_1)
	v_pk_fma_f32 v[140:141], v[134:135], v[124:125], v[138:139] op_sel:[0,0,1] op_sel_hi:[1,1,0] neg_lo:[0,0,1] neg_hi:[0,0,1]
	v_pk_fma_f32 v[134:135], v[134:135], v[124:125], v[138:139] op_sel:[0,0,1] op_sel_hi:[1,0,0]
	v_mov_b32_e32 v141, v135
	v_pk_mul_f32 v[134:135], v[136:137], v[126:127] op_sel:[0,1]
	s_delay_alu instid0(VALU_DEP_2) | instskip(NEXT) | instid1(VALU_DEP_2)
	v_pk_add_f32 v[90:91], v[90:91], v[140:141] neg_lo:[0,1] neg_hi:[0,1]
	v_pk_fma_f32 v[138:139], v[136:137], v[124:125], v[134:135] op_sel:[0,0,1] op_sel_hi:[1,1,0] neg_lo:[0,0,1] neg_hi:[0,0,1]
	v_pk_fma_f32 v[134:135], v[136:137], v[124:125], v[134:135] op_sel:[0,0,1] op_sel_hi:[1,0,0]
	s_delay_alu instid0(VALU_DEP_1)
	v_mov_b32_e32 v139, v135
	ds_load_2addr_b64 v[134:137], v128 offset0:57 offset1:58
	v_pk_add_f32 v[104:105], v[104:105], v[138:139] neg_lo:[0,1] neg_hi:[0,1]
	s_wait_dscnt 0x0
	v_pk_mul_f32 v[138:139], v[134:135], v[126:127] op_sel:[0,1]
	v_pk_mul_f32 v[126:127], v[136:137], v[126:127] op_sel:[0,1]
	s_delay_alu instid0(VALU_DEP_2) | instskip(SKIP_1) | instid1(VALU_DEP_1)
	v_pk_fma_f32 v[140:141], v[134:135], v[124:125], v[138:139] op_sel:[0,0,1] op_sel_hi:[1,1,0] neg_lo:[0,0,1] neg_hi:[0,0,1]
	v_pk_fma_f32 v[134:135], v[134:135], v[124:125], v[138:139] op_sel:[0,0,1] op_sel_hi:[1,0,0]
	v_mov_b32_e32 v141, v135
	s_delay_alu instid0(VALU_DEP_4) | instskip(SKIP_1) | instid1(VALU_DEP_3)
	v_pk_fma_f32 v[134:135], v[136:137], v[124:125], v[126:127] op_sel:[0,0,1] op_sel_hi:[1,1,0] neg_lo:[0,0,1] neg_hi:[0,0,1]
	v_pk_fma_f32 v[124:125], v[136:137], v[124:125], v[126:127] op_sel:[0,0,1] op_sel_hi:[1,0,0]
	v_pk_add_f32 v[98:99], v[98:99], v[140:141] neg_lo:[0,1] neg_hi:[0,1]
	s_delay_alu instid0(VALU_DEP_2) | instskip(NEXT) | instid1(VALU_DEP_1)
	v_mov_b32_e32 v135, v125
	v_pk_add_f32 v[122:123], v[122:123], v[134:135] neg_lo:[0,1] neg_hi:[0,1]
.LBB116_314:
	s_or_b32 exec_lo, exec_lo, s0
	v_lshl_add_u32 v124, v132, 3, v128
	s_barrier_signal -1
	s_barrier_wait -1
	ds_store_b64 v124, v[12:13]
	s_wait_dscnt 0x0
	s_barrier_signal -1
	s_barrier_wait -1
	ds_load_b64 v[126:127], v128 offset:120
	v_mov_b32_e32 v124, 15
	s_cmp_lt_i32 s18, 17
	s_cbranch_scc1 .LBB116_317
; %bb.315:
	v_add3_u32 v125, v129, 0, 0x80
	v_mov_b32_e32 v124, 15
	s_mov_b32 s0, 16
.LBB116_316:                            ; =>This Inner Loop Header: Depth=1
	ds_load_b64 v[134:135], v125
	s_wait_dscnt 0x1
	v_cmp_gt_f32_e32 vcc_lo, 0, v126
	v_cndmask_b32_e64 v136, v126, -v126, vcc_lo
	v_cmp_gt_f32_e32 vcc_lo, 0, v127
	v_cndmask_b32_e64 v138, v127, -v127, vcc_lo
	s_wait_dscnt 0x0
	v_cmp_gt_f32_e32 vcc_lo, 0, v134
	v_cndmask_b32_e64 v137, v134, -v134, vcc_lo
	v_cmp_gt_f32_e32 vcc_lo, 0, v135
	v_cndmask_b32_e64 v139, v135, -v135, vcc_lo
	s_delay_alu instid0(VALU_DEP_1) | instskip(NEXT) | instid1(VALU_DEP_1)
	v_pk_add_f32 v[136:137], v[136:137], v[138:139]
	v_cmp_lt_f32_e32 vcc_lo, v136, v137
	v_dual_add_nc_u32 v125, 8, v125 :: v_dual_cndmask_b32 v127, v127, v135, vcc_lo
	v_cndmask_b32_e32 v126, v126, v134, vcc_lo
	v_cndmask_b32_e64 v124, v124, s0, vcc_lo
	s_add_co_i32 s0, s0, 1
	s_delay_alu instid0(SALU_CYCLE_1)
	s_cmp_lg_u32 s18, s0
	s_cbranch_scc1 .LBB116_316
.LBB116_317:
	s_wait_dscnt 0x0
	v_cmp_eq_f32_e32 vcc_lo, 0, v126
	v_cmp_eq_f32_e64 s0, 0, v127
	s_and_b32 s0, vcc_lo, s0
	s_delay_alu instid0(SALU_CYCLE_1) | instskip(NEXT) | instid1(SALU_CYCLE_1)
	s_and_saveexec_b32 s1, s0
	s_xor_b32 s0, exec_lo, s1
; %bb.318:
	v_cmp_ne_u32_e32 vcc_lo, 0, v130
	v_cndmask_b32_e32 v130, 16, v130, vcc_lo
; %bb.319:
	s_and_not1_saveexec_b32 s0, s0
	s_cbranch_execz .LBB116_325
; %bb.320:
	v_cmp_ngt_f32_e64 s1, |v126|, |v127|
	s_and_saveexec_b32 s12, s1
	s_delay_alu instid0(SALU_CYCLE_1)
	s_xor_b32 s1, exec_lo, s12
	s_cbranch_execz .LBB116_322
; %bb.321:
	v_div_scale_f32 v125, null, v127, v127, v126
	v_div_scale_f32 v135, vcc_lo, v126, v127, v126
	s_delay_alu instid0(VALU_DEP_2) | instskip(SKIP_1) | instid1(TRANS32_DEP_1)
	v_rcp_f32_e32 v133, v125
	v_nop
	v_fma_f32 v134, -v125, v133, 1.0
	s_delay_alu instid0(VALU_DEP_1) | instskip(NEXT) | instid1(VALU_DEP_1)
	v_fmac_f32_e32 v133, v134, v133
	v_mul_f32_e32 v134, v135, v133
	s_delay_alu instid0(VALU_DEP_1) | instskip(NEXT) | instid1(VALU_DEP_1)
	v_fma_f32 v136, -v125, v134, v135
	v_fmac_f32_e32 v134, v136, v133
	s_delay_alu instid0(VALU_DEP_1) | instskip(NEXT) | instid1(VALU_DEP_1)
	v_fma_f32 v125, -v125, v134, v135
	v_div_fmas_f32 v125, v125, v133, v134
	s_delay_alu instid0(VALU_DEP_1) | instskip(NEXT) | instid1(VALU_DEP_1)
	v_div_fixup_f32 v125, v125, v127, v126
	v_fmac_f32_e32 v127, v126, v125
	s_delay_alu instid0(VALU_DEP_1) | instskip(SKIP_1) | instid1(VALU_DEP_2)
	v_div_scale_f32 v126, null, v127, v127, 1.0
	v_div_scale_f32 v135, vcc_lo, 1.0, v127, 1.0
	v_rcp_f32_e32 v133, v126
	v_nop
	s_delay_alu instid0(TRANS32_DEP_1) | instskip(NEXT) | instid1(VALU_DEP_1)
	v_fma_f32 v134, -v126, v133, 1.0
	v_fmac_f32_e32 v133, v134, v133
	s_delay_alu instid0(VALU_DEP_1) | instskip(NEXT) | instid1(VALU_DEP_1)
	v_mul_f32_e32 v134, v135, v133
	v_fma_f32 v136, -v126, v134, v135
	s_delay_alu instid0(VALU_DEP_1) | instskip(NEXT) | instid1(VALU_DEP_1)
	v_fmac_f32_e32 v134, v136, v133
	v_fma_f32 v126, -v126, v134, v135
	s_delay_alu instid0(VALU_DEP_1) | instskip(NEXT) | instid1(VALU_DEP_1)
	v_div_fmas_f32 v126, v126, v133, v134
	v_div_fixup_f32 v127, v126, v127, 1.0
	s_delay_alu instid0(VALU_DEP_1)
	v_mul_f32_e32 v126, v125, v127
	v_xor_b32_e32 v127, 0x80000000, v127
.LBB116_322:
	s_and_not1_saveexec_b32 s1, s1
	s_cbranch_execz .LBB116_324
; %bb.323:
	s_delay_alu instid0(VALU_DEP_1) | instskip(SKIP_1) | instid1(VALU_DEP_2)
	v_div_scale_f32 v125, null, v126, v126, v127
	v_div_scale_f32 v135, vcc_lo, v127, v126, v127
	v_rcp_f32_e32 v133, v125
	v_nop
	s_delay_alu instid0(TRANS32_DEP_1) | instskip(NEXT) | instid1(VALU_DEP_1)
	v_fma_f32 v134, -v125, v133, 1.0
	v_fmac_f32_e32 v133, v134, v133
	s_delay_alu instid0(VALU_DEP_1) | instskip(NEXT) | instid1(VALU_DEP_1)
	v_mul_f32_e32 v134, v135, v133
	v_fma_f32 v136, -v125, v134, v135
	s_delay_alu instid0(VALU_DEP_1) | instskip(NEXT) | instid1(VALU_DEP_1)
	v_fmac_f32_e32 v134, v136, v133
	v_fma_f32 v125, -v125, v134, v135
	s_delay_alu instid0(VALU_DEP_1) | instskip(NEXT) | instid1(VALU_DEP_1)
	v_div_fmas_f32 v125, v125, v133, v134
	v_div_fixup_f32 v125, v125, v126, v127
	s_delay_alu instid0(VALU_DEP_1) | instskip(NEXT) | instid1(VALU_DEP_1)
	v_fmac_f32_e32 v126, v127, v125
	v_div_scale_f32 v127, null, v126, v126, 1.0
	s_delay_alu instid0(VALU_DEP_1) | instskip(SKIP_1) | instid1(TRANS32_DEP_1)
	v_rcp_f32_e32 v133, v127
	v_nop
	v_fma_f32 v134, -v127, v133, 1.0
	s_delay_alu instid0(VALU_DEP_1) | instskip(SKIP_1) | instid1(VALU_DEP_1)
	v_fmac_f32_e32 v133, v134, v133
	v_div_scale_f32 v134, vcc_lo, 1.0, v126, 1.0
	v_mul_f32_e32 v135, v134, v133
	s_delay_alu instid0(VALU_DEP_1) | instskip(NEXT) | instid1(VALU_DEP_1)
	v_fma_f32 v136, -v127, v135, v134
	v_fmac_f32_e32 v135, v136, v133
	s_delay_alu instid0(VALU_DEP_1) | instskip(NEXT) | instid1(VALU_DEP_1)
	v_fma_f32 v127, -v127, v135, v134
	v_div_fmas_f32 v127, v127, v133, v135
	s_delay_alu instid0(VALU_DEP_1) | instskip(NEXT) | instid1(VALU_DEP_1)
	v_div_fixup_f32 v126, v127, v126, 1.0
	v_mul_f32_e64 v127, v125, -v126
.LBB116_324:
	s_or_b32 exec_lo, exec_lo, s1
.LBB116_325:
	s_delay_alu instid0(SALU_CYCLE_1) | instskip(NEXT) | instid1(SALU_CYCLE_1)
	s_or_b32 exec_lo, exec_lo, s0
	s_mov_b32 s0, exec_lo
	v_cmpx_ne_u32_e64 v132, v124
	s_xor_b32 s0, exec_lo, s0
	s_cbranch_execz .LBB116_331
; %bb.326:
	s_mov_b32 s1, exec_lo
	v_cmpx_eq_u32_e32 15, v132
	s_cbranch_execz .LBB116_330
; %bb.327:
	v_cmp_ne_u32_e32 vcc_lo, 15, v124
	s_xor_b32 s12, s16, -1
	s_delay_alu instid0(SALU_CYCLE_1) | instskip(NEXT) | instid1(SALU_CYCLE_1)
	s_and_b32 s13, s12, vcc_lo
	s_and_saveexec_b32 s12, s13
	s_cbranch_execz .LBB116_329
; %bb.328:
	v_ashrrev_i32_e32 v125, 31, v124
	s_delay_alu instid0(VALU_DEP_1)
	v_lshl_add_u64 v[132:133], v[124:125], 2, v[4:5]
	s_clause 0x1
	global_load_b32 v125, v[132:133], off
	global_load_b32 v131, v[4:5], off offset:60
	s_wait_loadcnt 0x1
	global_store_b32 v[4:5], v125, off offset:60
	s_wait_loadcnt 0x0
	global_store_b32 v[132:133], v131, off
.LBB116_329:
	s_wait_xcnt 0x0
	s_or_b32 exec_lo, exec_lo, s12
	v_dual_mov_b32 v132, v124 :: v_dual_mov_b32 v131, v124
.LBB116_330:
	s_or_b32 exec_lo, exec_lo, s1
.LBB116_331:
	s_and_not1_saveexec_b32 s0, s0
	s_cbranch_execz .LBB116_333
; %bb.332:
	v_dual_mov_b32 v124, v44 :: v_dual_mov_b32 v125, v45
	v_dual_mov_b32 v132, v42 :: v_dual_mov_b32 v133, v43
	ds_store_2addr_b64 v128, v[124:125], v[132:133] offset0:16 offset1:17
	v_dual_mov_b32 v124, v20 :: v_dual_mov_b32 v125, v21
	v_dual_mov_b32 v132, v18 :: v_dual_mov_b32 v133, v19
	ds_store_2addr_b64 v128, v[124:125], v[132:133] offset0:18 offset1:19
	;; [unrolled: 3-line block ×21, first 2 shown]
	ds_store_b64 v128, v[122:123] offset:464
	v_mov_b32_e32 v132, 15
.LBB116_333:
	s_or_b32 exec_lo, exec_lo, s0
	s_delay_alu instid0(SALU_CYCLE_1)
	s_mov_b32 s0, exec_lo
	s_wait_storecnt_dscnt 0x0
	s_barrier_signal -1
	s_barrier_wait -1
	v_cmpx_lt_i32_e32 15, v132
	s_cbranch_execz .LBB116_335
; %bb.334:
	v_pk_mul_f32 v[134:135], v[126:127], v[12:13] op_sel:[1,1] op_sel_hi:[0,1]
	s_delay_alu instid0(VALU_DEP_1)
	v_pk_fma_f32 v[124:125], v[126:127], v[12:13], v[134:135] op_sel_hi:[1,0,1] neg_lo:[0,0,1] neg_hi:[0,0,1]
	v_pk_fma_f32 v[126:127], v[126:127], v[12:13], v[134:135] op_sel_hi:[1,0,1]
	ds_load_2addr_b64 v[134:137], v128 offset0:16 offset1:17
	v_dual_mov_b32 v12, v124 :: v_dual_mov_b32 v13, v127
	s_wait_dscnt 0x0
	v_pk_mul_f32 v[138:139], v[134:135], v[126:127] op_sel:[0,1]
	s_delay_alu instid0(VALU_DEP_1) | instskip(SKIP_1) | instid1(VALU_DEP_1)
	v_pk_fma_f32 v[140:141], v[134:135], v[124:125], v[138:139] op_sel:[0,0,1] op_sel_hi:[1,1,0] neg_lo:[0,0,1] neg_hi:[0,0,1]
	v_pk_fma_f32 v[134:135], v[134:135], v[124:125], v[138:139] op_sel:[0,0,1] op_sel_hi:[1,0,0]
	v_mov_b32_e32 v141, v135
	v_pk_mul_f32 v[134:135], v[136:137], v[126:127] op_sel:[0,1]
	s_delay_alu instid0(VALU_DEP_1) | instskip(SKIP_1) | instid1(VALU_DEP_1)
	v_pk_fma_f32 v[138:139], v[136:137], v[124:125], v[134:135] op_sel:[0,0,1] op_sel_hi:[1,1,0] neg_lo:[0,0,1] neg_hi:[0,0,1]
	v_pk_fma_f32 v[134:135], v[136:137], v[124:125], v[134:135] op_sel:[0,0,1] op_sel_hi:[1,0,0]
	v_mov_b32_e32 v139, v135
	ds_load_2addr_b64 v[134:137], v128 offset0:18 offset1:19
	v_pk_add_f32 v[44:45], v[44:45], v[140:141] neg_lo:[0,1] neg_hi:[0,1]
	v_pk_add_f32 v[42:43], v[42:43], v[138:139] neg_lo:[0,1] neg_hi:[0,1]
	s_wait_dscnt 0x0
	v_pk_mul_f32 v[138:139], v[134:135], v[126:127] op_sel:[0,1]
	s_delay_alu instid0(VALU_DEP_1) | instskip(SKIP_2) | instid1(VALU_DEP_2)
	v_pk_fma_f32 v[140:141], v[134:135], v[124:125], v[138:139] op_sel:[0,0,1] op_sel_hi:[1,1,0] neg_lo:[0,0,1] neg_hi:[0,0,1]
	v_pk_fma_f32 v[134:135], v[134:135], v[124:125], v[138:139] op_sel:[0,0,1] op_sel_hi:[1,0,0]
	v_dual_mul_f32 v138, v137, v127 :: v_dual_mov_b32 v134, v137
	v_dual_mov_b32 v141, v135 :: v_dual_mov_b32 v135, v136
	s_delay_alu instid0(VALU_DEP_2) | instskip(SKIP_1) | instid1(VALU_DEP_3)
	v_pk_fma_f32 v[138:139], v[136:137], v[12:13], v[138:139] op_sel_hi:[1,1,0] neg_lo:[0,0,1] neg_hi:[0,0,1]
	v_mul_f32_e32 v136, v137, v124
	v_pk_add_f32 v[20:21], v[20:21], v[140:141] neg_lo:[0,1] neg_hi:[0,1]
	s_delay_alu instid0(VALU_DEP_2) | instskip(NEXT) | instid1(VALU_DEP_1)
	v_pk_fma_f32 v[134:135], v[134:135], v[12:13], v[136:137] op_sel_hi:[1,1,0]
	v_mov_b32_e32 v139, v135
	ds_load_2addr_b64 v[134:137], v128 offset0:20 offset1:21
	v_pk_add_f32 v[18:19], v[18:19], v[138:139] neg_lo:[0,1] neg_hi:[0,1]
	s_wait_dscnt 0x0
	v_pk_mul_f32 v[138:139], v[134:135], v[126:127] op_sel:[0,1]
	s_delay_alu instid0(VALU_DEP_1) | instskip(SKIP_1) | instid1(VALU_DEP_1)
	v_pk_fma_f32 v[140:141], v[134:135], v[124:125], v[138:139] op_sel:[0,0,1] op_sel_hi:[1,1,0] neg_lo:[0,0,1] neg_hi:[0,0,1]
	v_pk_fma_f32 v[134:135], v[134:135], v[124:125], v[138:139] op_sel:[0,0,1] op_sel_hi:[1,0,0]
	v_mov_b32_e32 v141, v135
	v_pk_mul_f32 v[134:135], v[136:137], v[126:127] op_sel:[0,1]
	s_delay_alu instid0(VALU_DEP_1) | instskip(SKIP_1) | instid1(VALU_DEP_1)
	v_pk_fma_f32 v[138:139], v[136:137], v[124:125], v[134:135] op_sel:[0,0,1] op_sel_hi:[1,1,0] neg_lo:[0,0,1] neg_hi:[0,0,1]
	v_pk_fma_f32 v[134:135], v[136:137], v[124:125], v[134:135] op_sel:[0,0,1] op_sel_hi:[1,0,0]
	v_mov_b32_e32 v139, v135
	ds_load_2addr_b64 v[134:137], v128 offset0:22 offset1:23
	v_pk_add_f32 v[52:53], v[52:53], v[140:141] neg_lo:[0,1] neg_hi:[0,1]
	v_pk_add_f32 v[50:51], v[50:51], v[138:139] neg_lo:[0,1] neg_hi:[0,1]
	s_wait_dscnt 0x0
	v_pk_mul_f32 v[138:139], v[134:135], v[126:127] op_sel:[0,1]
	s_delay_alu instid0(VALU_DEP_1) | instskip(SKIP_1) | instid1(VALU_DEP_1)
	v_pk_fma_f32 v[140:141], v[134:135], v[124:125], v[138:139] op_sel:[0,0,1] op_sel_hi:[1,1,0] neg_lo:[0,0,1] neg_hi:[0,0,1]
	v_pk_fma_f32 v[134:135], v[134:135], v[124:125], v[138:139] op_sel:[0,0,1] op_sel_hi:[1,0,0]
	v_mov_b32_e32 v141, v135
	v_pk_mul_f32 v[134:135], v[136:137], v[126:127] op_sel:[0,1]
	s_delay_alu instid0(VALU_DEP_1) | instskip(SKIP_1) | instid1(VALU_DEP_1)
	v_pk_fma_f32 v[138:139], v[136:137], v[124:125], v[134:135] op_sel:[0,0,1] op_sel_hi:[1,1,0] neg_lo:[0,0,1] neg_hi:[0,0,1]
	v_pk_fma_f32 v[134:135], v[136:137], v[124:125], v[134:135] op_sel:[0,0,1] op_sel_hi:[1,0,0]
	v_mov_b32_e32 v139, v135
	ds_load_2addr_b64 v[134:137], v128 offset0:24 offset1:25
	v_pk_add_f32 v[28:29], v[28:29], v[140:141] neg_lo:[0,1] neg_hi:[0,1]
	v_pk_add_f32 v[26:27], v[26:27], v[138:139] neg_lo:[0,1] neg_hi:[0,1]
	s_wait_dscnt 0x0
	v_dual_mul_f32 v138, v135, v127 :: v_dual_mul_f32 v140, v135, v124
	s_delay_alu instid0(VALU_DEP_1) | instskip(NEXT) | instid1(VALU_DEP_2)
	v_pk_fma_f32 v[138:139], v[134:135], v[12:13], v[138:139] op_sel_hi:[1,1,0] neg_lo:[0,0,1] neg_hi:[0,0,1]
	v_pk_fma_f32 v[134:135], v[134:135], v[12:13], v[140:141] op_sel:[1,0,0] op_sel_hi:[0,1,0]
	s_delay_alu instid0(VALU_DEP_1) | instskip(SKIP_1) | instid1(VALU_DEP_2)
	v_mov_b32_e32 v139, v135
	v_pk_mul_f32 v[134:135], v[136:137], v[126:127] op_sel:[0,1]
	v_pk_add_f32 v[60:61], v[60:61], v[138:139] neg_lo:[0,1] neg_hi:[0,1]
	s_delay_alu instid0(VALU_DEP_2) | instskip(SKIP_1) | instid1(VALU_DEP_1)
	v_pk_fma_f32 v[138:139], v[136:137], v[124:125], v[134:135] op_sel:[0,0,1] op_sel_hi:[1,1,0] neg_lo:[0,0,1] neg_hi:[0,0,1]
	v_pk_fma_f32 v[134:135], v[136:137], v[124:125], v[134:135] op_sel:[0,0,1] op_sel_hi:[1,0,0]
	v_mov_b32_e32 v139, v135
	ds_load_2addr_b64 v[134:137], v128 offset0:26 offset1:27
	v_pk_add_f32 v[58:59], v[58:59], v[138:139] neg_lo:[0,1] neg_hi:[0,1]
	s_wait_dscnt 0x0
	v_pk_mul_f32 v[138:139], v[134:135], v[126:127] op_sel:[0,1]
	s_delay_alu instid0(VALU_DEP_1) | instskip(SKIP_1) | instid1(VALU_DEP_1)
	v_pk_fma_f32 v[140:141], v[134:135], v[124:125], v[138:139] op_sel:[0,0,1] op_sel_hi:[1,1,0] neg_lo:[0,0,1] neg_hi:[0,0,1]
	v_pk_fma_f32 v[134:135], v[134:135], v[124:125], v[138:139] op_sel:[0,0,1] op_sel_hi:[1,0,0]
	v_mov_b32_e32 v141, v135
	v_pk_mul_f32 v[134:135], v[136:137], v[126:127] op_sel:[0,1]
	s_delay_alu instid0(VALU_DEP_2) | instskip(NEXT) | instid1(VALU_DEP_2)
	v_pk_add_f32 v[38:39], v[38:39], v[140:141] neg_lo:[0,1] neg_hi:[0,1]
	v_pk_fma_f32 v[138:139], v[136:137], v[124:125], v[134:135] op_sel:[0,0,1] op_sel_hi:[1,1,0] neg_lo:[0,0,1] neg_hi:[0,0,1]
	v_pk_fma_f32 v[134:135], v[136:137], v[124:125], v[134:135] op_sel:[0,0,1] op_sel_hi:[1,0,0]
	s_delay_alu instid0(VALU_DEP_1) | instskip(SKIP_4) | instid1(VALU_DEP_1)
	v_mov_b32_e32 v139, v135
	ds_load_2addr_b64 v[134:137], v128 offset0:28 offset1:29
	v_pk_add_f32 v[36:37], v[36:37], v[138:139] neg_lo:[0,1] neg_hi:[0,1]
	s_wait_dscnt 0x0
	v_pk_mul_f32 v[138:139], v[134:135], v[126:127] op_sel:[0,1]
	v_pk_fma_f32 v[140:141], v[134:135], v[124:125], v[138:139] op_sel:[0,0,1] op_sel_hi:[1,1,0] neg_lo:[0,0,1] neg_hi:[0,0,1]
	v_pk_fma_f32 v[134:135], v[134:135], v[124:125], v[138:139] op_sel:[0,0,1] op_sel_hi:[1,0,0]
	v_dual_mul_f32 v138, v137, v127 :: v_dual_mov_b32 v134, v137
	s_delay_alu instid0(VALU_DEP_2) | instskip(NEXT) | instid1(VALU_DEP_2)
	v_dual_mov_b32 v141, v135 :: v_dual_mov_b32 v135, v136
	v_pk_fma_f32 v[138:139], v[136:137], v[12:13], v[138:139] op_sel_hi:[1,1,0] neg_lo:[0,0,1] neg_hi:[0,0,1]
	v_mul_f32_e32 v136, v137, v124
	s_delay_alu instid0(VALU_DEP_3) | instskip(NEXT) | instid1(VALU_DEP_2)
	v_pk_add_f32 v[68:69], v[68:69], v[140:141] neg_lo:[0,1] neg_hi:[0,1]
	v_pk_fma_f32 v[134:135], v[134:135], v[12:13], v[136:137] op_sel_hi:[1,1,0]
	s_delay_alu instid0(VALU_DEP_1) | instskip(SKIP_4) | instid1(VALU_DEP_1)
	v_mov_b32_e32 v139, v135
	ds_load_2addr_b64 v[134:137], v128 offset0:30 offset1:31
	v_pk_add_f32 v[66:67], v[66:67], v[138:139] neg_lo:[0,1] neg_hi:[0,1]
	s_wait_dscnt 0x0
	v_pk_mul_f32 v[138:139], v[134:135], v[126:127] op_sel:[0,1]
	v_pk_fma_f32 v[140:141], v[134:135], v[124:125], v[138:139] op_sel:[0,0,1] op_sel_hi:[1,1,0] neg_lo:[0,0,1] neg_hi:[0,0,1]
	v_pk_fma_f32 v[134:135], v[134:135], v[124:125], v[138:139] op_sel:[0,0,1] op_sel_hi:[1,0,0]
	s_delay_alu instid0(VALU_DEP_1) | instskip(SKIP_1) | instid1(VALU_DEP_1)
	v_mov_b32_e32 v141, v135
	v_pk_mul_f32 v[134:135], v[136:137], v[126:127] op_sel:[0,1]
	v_pk_fma_f32 v[138:139], v[136:137], v[124:125], v[134:135] op_sel:[0,0,1] op_sel_hi:[1,1,0] neg_lo:[0,0,1] neg_hi:[0,0,1]
	v_pk_fma_f32 v[134:135], v[136:137], v[124:125], v[134:135] op_sel:[0,0,1] op_sel_hi:[1,0,0]
	s_delay_alu instid0(VALU_DEP_1)
	v_mov_b32_e32 v139, v135
	ds_load_2addr_b64 v[134:137], v128 offset0:32 offset1:33
	v_pk_add_f32 v[48:49], v[48:49], v[140:141] neg_lo:[0,1] neg_hi:[0,1]
	v_pk_add_f32 v[46:47], v[46:47], v[138:139] neg_lo:[0,1] neg_hi:[0,1]
	s_wait_dscnt 0x0
	v_pk_mul_f32 v[138:139], v[134:135], v[126:127] op_sel:[0,1]
	s_delay_alu instid0(VALU_DEP_1) | instskip(SKIP_1) | instid1(VALU_DEP_1)
	v_pk_fma_f32 v[140:141], v[134:135], v[124:125], v[138:139] op_sel:[0,0,1] op_sel_hi:[1,1,0] neg_lo:[0,0,1] neg_hi:[0,0,1]
	v_pk_fma_f32 v[134:135], v[134:135], v[124:125], v[138:139] op_sel:[0,0,1] op_sel_hi:[1,0,0]
	v_mov_b32_e32 v141, v135
	v_pk_mul_f32 v[134:135], v[136:137], v[126:127] op_sel:[0,1]
	s_delay_alu instid0(VALU_DEP_1) | instskip(SKIP_1) | instid1(VALU_DEP_1)
	v_pk_fma_f32 v[138:139], v[136:137], v[124:125], v[134:135] op_sel:[0,0,1] op_sel_hi:[1,1,0] neg_lo:[0,0,1] neg_hi:[0,0,1]
	v_pk_fma_f32 v[134:135], v[136:137], v[124:125], v[134:135] op_sel:[0,0,1] op_sel_hi:[1,0,0]
	v_mov_b32_e32 v139, v135
	ds_load_2addr_b64 v[134:137], v128 offset0:34 offset1:35
	v_pk_add_f32 v[78:79], v[78:79], v[140:141] neg_lo:[0,1] neg_hi:[0,1]
	v_pk_add_f32 v[76:77], v[76:77], v[138:139] neg_lo:[0,1] neg_hi:[0,1]
	s_wait_dscnt 0x0
	v_dual_mul_f32 v138, v135, v127 :: v_dual_mul_f32 v140, v135, v124
	s_delay_alu instid0(VALU_DEP_1) | instskip(NEXT) | instid1(VALU_DEP_2)
	v_pk_fma_f32 v[138:139], v[134:135], v[12:13], v[138:139] op_sel_hi:[1,1,0] neg_lo:[0,0,1] neg_hi:[0,0,1]
	v_pk_fma_f32 v[134:135], v[134:135], v[12:13], v[140:141] op_sel:[1,0,0] op_sel_hi:[0,1,0]
	s_delay_alu instid0(VALU_DEP_1) | instskip(SKIP_1) | instid1(VALU_DEP_2)
	v_mov_b32_e32 v139, v135
	v_pk_mul_f32 v[134:135], v[136:137], v[126:127] op_sel:[0,1]
	v_pk_add_f32 v[56:57], v[56:57], v[138:139] neg_lo:[0,1] neg_hi:[0,1]
	s_delay_alu instid0(VALU_DEP_2) | instskip(SKIP_1) | instid1(VALU_DEP_1)
	v_pk_fma_f32 v[138:139], v[136:137], v[124:125], v[134:135] op_sel:[0,0,1] op_sel_hi:[1,1,0] neg_lo:[0,0,1] neg_hi:[0,0,1]
	v_pk_fma_f32 v[134:135], v[136:137], v[124:125], v[134:135] op_sel:[0,0,1] op_sel_hi:[1,0,0]
	v_mov_b32_e32 v139, v135
	ds_load_2addr_b64 v[134:137], v128 offset0:36 offset1:37
	v_pk_add_f32 v[54:55], v[54:55], v[138:139] neg_lo:[0,1] neg_hi:[0,1]
	s_wait_dscnt 0x0
	v_pk_mul_f32 v[138:139], v[134:135], v[126:127] op_sel:[0,1]
	s_delay_alu instid0(VALU_DEP_1) | instskip(SKIP_1) | instid1(VALU_DEP_1)
	v_pk_fma_f32 v[140:141], v[134:135], v[124:125], v[138:139] op_sel:[0,0,1] op_sel_hi:[1,1,0] neg_lo:[0,0,1] neg_hi:[0,0,1]
	v_pk_fma_f32 v[134:135], v[134:135], v[124:125], v[138:139] op_sel:[0,0,1] op_sel_hi:[1,0,0]
	v_mov_b32_e32 v141, v135
	v_pk_mul_f32 v[134:135], v[136:137], v[126:127] op_sel:[0,1]
	s_delay_alu instid0(VALU_DEP_2) | instskip(NEXT) | instid1(VALU_DEP_2)
	v_pk_add_f32 v[88:89], v[88:89], v[140:141] neg_lo:[0,1] neg_hi:[0,1]
	v_pk_fma_f32 v[138:139], v[136:137], v[124:125], v[134:135] op_sel:[0,0,1] op_sel_hi:[1,1,0] neg_lo:[0,0,1] neg_hi:[0,0,1]
	v_pk_fma_f32 v[134:135], v[136:137], v[124:125], v[134:135] op_sel:[0,0,1] op_sel_hi:[1,0,0]
	s_delay_alu instid0(VALU_DEP_1) | instskip(SKIP_4) | instid1(VALU_DEP_1)
	v_mov_b32_e32 v139, v135
	ds_load_2addr_b64 v[134:137], v128 offset0:38 offset1:39
	v_pk_add_f32 v[86:87], v[86:87], v[138:139] neg_lo:[0,1] neg_hi:[0,1]
	s_wait_dscnt 0x0
	v_pk_mul_f32 v[138:139], v[134:135], v[126:127] op_sel:[0,1]
	v_pk_fma_f32 v[140:141], v[134:135], v[124:125], v[138:139] op_sel:[0,0,1] op_sel_hi:[1,1,0] neg_lo:[0,0,1] neg_hi:[0,0,1]
	v_pk_fma_f32 v[134:135], v[134:135], v[124:125], v[138:139] op_sel:[0,0,1] op_sel_hi:[1,0,0]
	v_dual_mul_f32 v138, v137, v127 :: v_dual_mov_b32 v134, v137
	s_delay_alu instid0(VALU_DEP_2) | instskip(NEXT) | instid1(VALU_DEP_2)
	v_dual_mov_b32 v141, v135 :: v_dual_mov_b32 v135, v136
	v_pk_fma_f32 v[138:139], v[136:137], v[12:13], v[138:139] op_sel_hi:[1,1,0] neg_lo:[0,0,1] neg_hi:[0,0,1]
	v_mul_f32_e32 v136, v137, v124
	s_delay_alu instid0(VALU_DEP_3) | instskip(NEXT) | instid1(VALU_DEP_2)
	v_pk_add_f32 v[64:65], v[64:65], v[140:141] neg_lo:[0,1] neg_hi:[0,1]
	v_pk_fma_f32 v[134:135], v[134:135], v[12:13], v[136:137] op_sel_hi:[1,1,0]
	s_delay_alu instid0(VALU_DEP_1) | instskip(SKIP_4) | instid1(VALU_DEP_1)
	v_mov_b32_e32 v139, v135
	ds_load_2addr_b64 v[134:137], v128 offset0:40 offset1:41
	v_pk_add_f32 v[62:63], v[62:63], v[138:139] neg_lo:[0,1] neg_hi:[0,1]
	s_wait_dscnt 0x0
	v_pk_mul_f32 v[138:139], v[134:135], v[126:127] op_sel:[0,1]
	v_pk_fma_f32 v[140:141], v[134:135], v[124:125], v[138:139] op_sel:[0,0,1] op_sel_hi:[1,1,0] neg_lo:[0,0,1] neg_hi:[0,0,1]
	v_pk_fma_f32 v[134:135], v[134:135], v[124:125], v[138:139] op_sel:[0,0,1] op_sel_hi:[1,0,0]
	s_delay_alu instid0(VALU_DEP_1) | instskip(SKIP_1) | instid1(VALU_DEP_1)
	v_mov_b32_e32 v141, v135
	v_pk_mul_f32 v[134:135], v[136:137], v[126:127] op_sel:[0,1]
	v_pk_fma_f32 v[138:139], v[136:137], v[124:125], v[134:135] op_sel:[0,0,1] op_sel_hi:[1,1,0] neg_lo:[0,0,1] neg_hi:[0,0,1]
	v_pk_fma_f32 v[134:135], v[136:137], v[124:125], v[134:135] op_sel:[0,0,1] op_sel_hi:[1,0,0]
	s_delay_alu instid0(VALU_DEP_1)
	v_mov_b32_e32 v139, v135
	ds_load_2addr_b64 v[134:137], v128 offset0:42 offset1:43
	v_pk_add_f32 v[102:103], v[102:103], v[140:141] neg_lo:[0,1] neg_hi:[0,1]
	v_pk_add_f32 v[100:101], v[100:101], v[138:139] neg_lo:[0,1] neg_hi:[0,1]
	s_wait_dscnt 0x0
	v_pk_mul_f32 v[138:139], v[134:135], v[126:127] op_sel:[0,1]
	s_delay_alu instid0(VALU_DEP_1) | instskip(SKIP_1) | instid1(VALU_DEP_1)
	v_pk_fma_f32 v[140:141], v[134:135], v[124:125], v[138:139] op_sel:[0,0,1] op_sel_hi:[1,1,0] neg_lo:[0,0,1] neg_hi:[0,0,1]
	v_pk_fma_f32 v[134:135], v[134:135], v[124:125], v[138:139] op_sel:[0,0,1] op_sel_hi:[1,0,0]
	v_mov_b32_e32 v141, v135
	v_pk_mul_f32 v[134:135], v[136:137], v[126:127] op_sel:[0,1]
	s_delay_alu instid0(VALU_DEP_1) | instskip(SKIP_1) | instid1(VALU_DEP_1)
	v_pk_fma_f32 v[138:139], v[136:137], v[124:125], v[134:135] op_sel:[0,0,1] op_sel_hi:[1,1,0] neg_lo:[0,0,1] neg_hi:[0,0,1]
	v_pk_fma_f32 v[134:135], v[136:137], v[124:125], v[134:135] op_sel:[0,0,1] op_sel_hi:[1,0,0]
	v_mov_b32_e32 v139, v135
	ds_load_2addr_b64 v[134:137], v128 offset0:44 offset1:45
	v_pk_add_f32 v[72:73], v[72:73], v[140:141] neg_lo:[0,1] neg_hi:[0,1]
	v_pk_add_f32 v[70:71], v[70:71], v[138:139] neg_lo:[0,1] neg_hi:[0,1]
	s_wait_dscnt 0x0
	v_dual_mul_f32 v138, v135, v127 :: v_dual_mul_f32 v140, v135, v124
	s_delay_alu instid0(VALU_DEP_1) | instskip(NEXT) | instid1(VALU_DEP_2)
	v_pk_fma_f32 v[138:139], v[134:135], v[12:13], v[138:139] op_sel_hi:[1,1,0] neg_lo:[0,0,1] neg_hi:[0,0,1]
	v_pk_fma_f32 v[134:135], v[134:135], v[12:13], v[140:141] op_sel:[1,0,0] op_sel_hi:[0,1,0]
	s_delay_alu instid0(VALU_DEP_1) | instskip(SKIP_1) | instid1(VALU_DEP_2)
	v_mov_b32_e32 v139, v135
	v_pk_mul_f32 v[134:135], v[136:137], v[126:127] op_sel:[0,1]
	v_pk_add_f32 v[110:111], v[110:111], v[138:139] neg_lo:[0,1] neg_hi:[0,1]
	s_delay_alu instid0(VALU_DEP_2) | instskip(SKIP_1) | instid1(VALU_DEP_1)
	v_pk_fma_f32 v[138:139], v[136:137], v[124:125], v[134:135] op_sel:[0,0,1] op_sel_hi:[1,1,0] neg_lo:[0,0,1] neg_hi:[0,0,1]
	v_pk_fma_f32 v[134:135], v[136:137], v[124:125], v[134:135] op_sel:[0,0,1] op_sel_hi:[1,0,0]
	v_mov_b32_e32 v139, v135
	ds_load_2addr_b64 v[134:137], v128 offset0:46 offset1:47
	v_pk_add_f32 v[108:109], v[108:109], v[138:139] neg_lo:[0,1] neg_hi:[0,1]
	s_wait_dscnt 0x0
	v_pk_mul_f32 v[138:139], v[134:135], v[126:127] op_sel:[0,1]
	s_delay_alu instid0(VALU_DEP_1) | instskip(SKIP_1) | instid1(VALU_DEP_1)
	v_pk_fma_f32 v[140:141], v[134:135], v[124:125], v[138:139] op_sel:[0,0,1] op_sel_hi:[1,1,0] neg_lo:[0,0,1] neg_hi:[0,0,1]
	v_pk_fma_f32 v[134:135], v[134:135], v[124:125], v[138:139] op_sel:[0,0,1] op_sel_hi:[1,0,0]
	v_mov_b32_e32 v141, v135
	v_pk_mul_f32 v[134:135], v[136:137], v[126:127] op_sel:[0,1]
	s_delay_alu instid0(VALU_DEP_2) | instskip(NEXT) | instid1(VALU_DEP_2)
	v_pk_add_f32 v[82:83], v[82:83], v[140:141] neg_lo:[0,1] neg_hi:[0,1]
	v_pk_fma_f32 v[138:139], v[136:137], v[124:125], v[134:135] op_sel:[0,0,1] op_sel_hi:[1,1,0] neg_lo:[0,0,1] neg_hi:[0,0,1]
	v_pk_fma_f32 v[134:135], v[136:137], v[124:125], v[134:135] op_sel:[0,0,1] op_sel_hi:[1,0,0]
	s_delay_alu instid0(VALU_DEP_1) | instskip(SKIP_4) | instid1(VALU_DEP_1)
	v_mov_b32_e32 v139, v135
	ds_load_2addr_b64 v[134:137], v128 offset0:48 offset1:49
	v_pk_add_f32 v[80:81], v[80:81], v[138:139] neg_lo:[0,1] neg_hi:[0,1]
	s_wait_dscnt 0x0
	v_pk_mul_f32 v[138:139], v[134:135], v[126:127] op_sel:[0,1]
	v_pk_fma_f32 v[140:141], v[134:135], v[124:125], v[138:139] op_sel:[0,0,1] op_sel_hi:[1,1,0] neg_lo:[0,0,1] neg_hi:[0,0,1]
	v_pk_fma_f32 v[134:135], v[134:135], v[124:125], v[138:139] op_sel:[0,0,1] op_sel_hi:[1,0,0]
	v_dual_mul_f32 v138, v137, v127 :: v_dual_mov_b32 v134, v137
	s_delay_alu instid0(VALU_DEP_2) | instskip(NEXT) | instid1(VALU_DEP_2)
	v_dual_mov_b32 v141, v135 :: v_dual_mov_b32 v135, v136
	v_pk_fma_f32 v[138:139], v[136:137], v[12:13], v[138:139] op_sel_hi:[1,1,0] neg_lo:[0,0,1] neg_hi:[0,0,1]
	v_mul_f32_e32 v136, v137, v124
	s_delay_alu instid0(VALU_DEP_3) | instskip(NEXT) | instid1(VALU_DEP_2)
	v_pk_add_f32 v[120:121], v[120:121], v[140:141] neg_lo:[0,1] neg_hi:[0,1]
	v_pk_fma_f32 v[134:135], v[134:135], v[12:13], v[136:137] op_sel_hi:[1,1,0]
	s_delay_alu instid0(VALU_DEP_1) | instskip(SKIP_4) | instid1(VALU_DEP_1)
	v_mov_b32_e32 v139, v135
	ds_load_2addr_b64 v[134:137], v128 offset0:50 offset1:51
	v_pk_add_f32 v[118:119], v[118:119], v[138:139] neg_lo:[0,1] neg_hi:[0,1]
	s_wait_dscnt 0x0
	v_pk_mul_f32 v[138:139], v[134:135], v[126:127] op_sel:[0,1]
	v_pk_fma_f32 v[140:141], v[134:135], v[124:125], v[138:139] op_sel:[0,0,1] op_sel_hi:[1,1,0] neg_lo:[0,0,1] neg_hi:[0,0,1]
	v_pk_fma_f32 v[134:135], v[134:135], v[124:125], v[138:139] op_sel:[0,0,1] op_sel_hi:[1,0,0]
	s_delay_alu instid0(VALU_DEP_1) | instskip(SKIP_1) | instid1(VALU_DEP_1)
	v_mov_b32_e32 v141, v135
	v_pk_mul_f32 v[134:135], v[136:137], v[126:127] op_sel:[0,1]
	v_pk_fma_f32 v[138:139], v[136:137], v[124:125], v[134:135] op_sel:[0,0,1] op_sel_hi:[1,1,0] neg_lo:[0,0,1] neg_hi:[0,0,1]
	v_pk_fma_f32 v[134:135], v[136:137], v[124:125], v[134:135] op_sel:[0,0,1] op_sel_hi:[1,0,0]
	s_delay_alu instid0(VALU_DEP_1)
	v_mov_b32_e32 v139, v135
	ds_load_2addr_b64 v[134:137], v128 offset0:52 offset1:53
	v_pk_add_f32 v[94:95], v[94:95], v[140:141] neg_lo:[0,1] neg_hi:[0,1]
	v_pk_add_f32 v[96:97], v[96:97], v[138:139] neg_lo:[0,1] neg_hi:[0,1]
	s_wait_dscnt 0x0
	v_pk_mul_f32 v[138:139], v[134:135], v[126:127] op_sel:[0,1]
	s_delay_alu instid0(VALU_DEP_1) | instskip(SKIP_1) | instid1(VALU_DEP_1)
	v_pk_fma_f32 v[140:141], v[134:135], v[124:125], v[138:139] op_sel:[0,0,1] op_sel_hi:[1,1,0] neg_lo:[0,0,1] neg_hi:[0,0,1]
	v_pk_fma_f32 v[134:135], v[134:135], v[124:125], v[138:139] op_sel:[0,0,1] op_sel_hi:[1,0,0]
	v_mov_b32_e32 v141, v135
	v_pk_mul_f32 v[134:135], v[136:137], v[126:127] op_sel:[0,1]
	s_delay_alu instid0(VALU_DEP_1) | instskip(SKIP_1) | instid1(VALU_DEP_1)
	v_pk_fma_f32 v[138:139], v[136:137], v[124:125], v[134:135] op_sel:[0,0,1] op_sel_hi:[1,1,0] neg_lo:[0,0,1] neg_hi:[0,0,1]
	v_pk_fma_f32 v[134:135], v[136:137], v[124:125], v[134:135] op_sel:[0,0,1] op_sel_hi:[1,0,0]
	v_mov_b32_e32 v139, v135
	ds_load_2addr_b64 v[134:137], v128 offset0:54 offset1:55
	v_pk_add_f32 v[114:115], v[114:115], v[140:141] neg_lo:[0,1] neg_hi:[0,1]
	v_pk_add_f32 v[112:113], v[112:113], v[138:139] neg_lo:[0,1] neg_hi:[0,1]
	s_wait_dscnt 0x0
	v_dual_mul_f32 v138, v135, v127 :: v_dual_mul_f32 v140, v135, v124
	s_delay_alu instid0(VALU_DEP_1) | instskip(NEXT) | instid1(VALU_DEP_2)
	v_pk_fma_f32 v[138:139], v[134:135], v[12:13], v[138:139] op_sel_hi:[1,1,0] neg_lo:[0,0,1] neg_hi:[0,0,1]
	v_pk_fma_f32 v[134:135], v[134:135], v[12:13], v[140:141] op_sel:[1,0,0] op_sel_hi:[0,1,0]
	s_delay_alu instid0(VALU_DEP_1) | instskip(SKIP_1) | instid1(VALU_DEP_2)
	v_mov_b32_e32 v139, v135
	v_pk_mul_f32 v[134:135], v[136:137], v[126:127] op_sel:[0,1]
	v_pk_add_f32 v[92:93], v[92:93], v[138:139] neg_lo:[0,1] neg_hi:[0,1]
	s_delay_alu instid0(VALU_DEP_2) | instskip(SKIP_1) | instid1(VALU_DEP_1)
	v_pk_fma_f32 v[138:139], v[136:137], v[124:125], v[134:135] op_sel:[0,0,1] op_sel_hi:[1,1,0] neg_lo:[0,0,1] neg_hi:[0,0,1]
	v_pk_fma_f32 v[134:135], v[136:137], v[124:125], v[134:135] op_sel:[0,0,1] op_sel_hi:[1,0,0]
	v_mov_b32_e32 v139, v135
	ds_load_2addr_b64 v[134:137], v128 offset0:56 offset1:57
	v_pk_add_f32 v[90:91], v[90:91], v[138:139] neg_lo:[0,1] neg_hi:[0,1]
	s_wait_dscnt 0x0
	v_pk_mul_f32 v[138:139], v[134:135], v[126:127] op_sel:[0,1]
	s_delay_alu instid0(VALU_DEP_1) | instskip(SKIP_1) | instid1(VALU_DEP_1)
	v_pk_fma_f32 v[140:141], v[134:135], v[124:125], v[138:139] op_sel:[0,0,1] op_sel_hi:[1,1,0] neg_lo:[0,0,1] neg_hi:[0,0,1]
	v_pk_fma_f32 v[134:135], v[134:135], v[124:125], v[138:139] op_sel:[0,0,1] op_sel_hi:[1,0,0]
	v_mov_b32_e32 v141, v135
	v_pk_mul_f32 v[134:135], v[136:137], v[126:127] op_sel:[0,1]
	s_delay_alu instid0(VALU_DEP_2) | instskip(NEXT) | instid1(VALU_DEP_2)
	v_pk_add_f32 v[104:105], v[104:105], v[140:141] neg_lo:[0,1] neg_hi:[0,1]
	v_pk_fma_f32 v[138:139], v[136:137], v[124:125], v[134:135] op_sel:[0,0,1] op_sel_hi:[1,1,0] neg_lo:[0,0,1] neg_hi:[0,0,1]
	v_pk_fma_f32 v[134:135], v[136:137], v[124:125], v[134:135] op_sel:[0,0,1] op_sel_hi:[1,0,0]
	s_delay_alu instid0(VALU_DEP_1) | instskip(SKIP_4) | instid1(VALU_DEP_1)
	v_mov_b32_e32 v139, v135
	ds_load_b64 v[134:135], v128 offset:464
	v_pk_add_f32 v[98:99], v[98:99], v[138:139] neg_lo:[0,1] neg_hi:[0,1]
	s_wait_dscnt 0x0
	v_pk_mul_f32 v[126:127], v[134:135], v[126:127] op_sel:[0,1]
	v_pk_fma_f32 v[136:137], v[134:135], v[124:125], v[126:127] op_sel:[0,0,1] op_sel_hi:[1,1,0] neg_lo:[0,0,1] neg_hi:[0,0,1]
	v_pk_fma_f32 v[124:125], v[134:135], v[124:125], v[126:127] op_sel:[0,0,1] op_sel_hi:[1,0,0]
	s_delay_alu instid0(VALU_DEP_1) | instskip(NEXT) | instid1(VALU_DEP_1)
	v_mov_b32_e32 v137, v125
	v_pk_add_f32 v[122:123], v[122:123], v[136:137] neg_lo:[0,1] neg_hi:[0,1]
.LBB116_335:
	s_or_b32 exec_lo, exec_lo, s0
	v_lshl_add_u32 v124, v132, 3, v128
	s_barrier_signal -1
	s_barrier_wait -1
	ds_store_b64 v124, v[44:45]
	s_wait_dscnt 0x0
	s_barrier_signal -1
	s_barrier_wait -1
	ds_load_b64 v[126:127], v128 offset:128
	v_mov_b32_e32 v124, 16
	s_cmp_lt_i32 s18, 18
	s_cbranch_scc1 .LBB116_338
; %bb.336:
	v_add3_u32 v125, v129, 0, 0x88
	v_mov_b32_e32 v124, 16
	s_mov_b32 s0, 17
.LBB116_337:                            ; =>This Inner Loop Header: Depth=1
	ds_load_b64 v[134:135], v125
	s_wait_dscnt 0x1
	v_cmp_gt_f32_e32 vcc_lo, 0, v126
	v_cndmask_b32_e64 v136, v126, -v126, vcc_lo
	v_cmp_gt_f32_e32 vcc_lo, 0, v127
	v_cndmask_b32_e64 v138, v127, -v127, vcc_lo
	s_wait_dscnt 0x0
	v_cmp_gt_f32_e32 vcc_lo, 0, v134
	v_cndmask_b32_e64 v137, v134, -v134, vcc_lo
	v_cmp_gt_f32_e32 vcc_lo, 0, v135
	v_cndmask_b32_e64 v139, v135, -v135, vcc_lo
	s_delay_alu instid0(VALU_DEP_1) | instskip(NEXT) | instid1(VALU_DEP_1)
	v_pk_add_f32 v[136:137], v[136:137], v[138:139]
	v_cmp_lt_f32_e32 vcc_lo, v136, v137
	v_dual_add_nc_u32 v125, 8, v125 :: v_dual_cndmask_b32 v127, v127, v135, vcc_lo
	v_cndmask_b32_e32 v126, v126, v134, vcc_lo
	v_cndmask_b32_e64 v124, v124, s0, vcc_lo
	s_add_co_i32 s0, s0, 1
	s_delay_alu instid0(SALU_CYCLE_1)
	s_cmp_lg_u32 s18, s0
	s_cbranch_scc1 .LBB116_337
.LBB116_338:
	s_wait_dscnt 0x0
	v_cmp_eq_f32_e32 vcc_lo, 0, v126
	v_cmp_eq_f32_e64 s0, 0, v127
	s_and_b32 s0, vcc_lo, s0
	s_delay_alu instid0(SALU_CYCLE_1) | instskip(NEXT) | instid1(SALU_CYCLE_1)
	s_and_saveexec_b32 s1, s0
	s_xor_b32 s0, exec_lo, s1
; %bb.339:
	v_cmp_ne_u32_e32 vcc_lo, 0, v130
	v_cndmask_b32_e32 v130, 17, v130, vcc_lo
; %bb.340:
	s_and_not1_saveexec_b32 s0, s0
	s_cbranch_execz .LBB116_346
; %bb.341:
	v_cmp_ngt_f32_e64 s1, |v126|, |v127|
	s_and_saveexec_b32 s12, s1
	s_delay_alu instid0(SALU_CYCLE_1)
	s_xor_b32 s1, exec_lo, s12
	s_cbranch_execz .LBB116_343
; %bb.342:
	v_div_scale_f32 v125, null, v127, v127, v126
	v_div_scale_f32 v135, vcc_lo, v126, v127, v126
	s_delay_alu instid0(VALU_DEP_2) | instskip(SKIP_1) | instid1(TRANS32_DEP_1)
	v_rcp_f32_e32 v133, v125
	v_nop
	v_fma_f32 v134, -v125, v133, 1.0
	s_delay_alu instid0(VALU_DEP_1) | instskip(NEXT) | instid1(VALU_DEP_1)
	v_fmac_f32_e32 v133, v134, v133
	v_mul_f32_e32 v134, v135, v133
	s_delay_alu instid0(VALU_DEP_1) | instskip(NEXT) | instid1(VALU_DEP_1)
	v_fma_f32 v136, -v125, v134, v135
	v_fmac_f32_e32 v134, v136, v133
	s_delay_alu instid0(VALU_DEP_1) | instskip(NEXT) | instid1(VALU_DEP_1)
	v_fma_f32 v125, -v125, v134, v135
	v_div_fmas_f32 v125, v125, v133, v134
	s_delay_alu instid0(VALU_DEP_1) | instskip(NEXT) | instid1(VALU_DEP_1)
	v_div_fixup_f32 v125, v125, v127, v126
	v_fmac_f32_e32 v127, v126, v125
	s_delay_alu instid0(VALU_DEP_1) | instskip(SKIP_1) | instid1(VALU_DEP_2)
	v_div_scale_f32 v126, null, v127, v127, 1.0
	v_div_scale_f32 v135, vcc_lo, 1.0, v127, 1.0
	v_rcp_f32_e32 v133, v126
	v_nop
	s_delay_alu instid0(TRANS32_DEP_1) | instskip(NEXT) | instid1(VALU_DEP_1)
	v_fma_f32 v134, -v126, v133, 1.0
	v_fmac_f32_e32 v133, v134, v133
	s_delay_alu instid0(VALU_DEP_1) | instskip(NEXT) | instid1(VALU_DEP_1)
	v_mul_f32_e32 v134, v135, v133
	v_fma_f32 v136, -v126, v134, v135
	s_delay_alu instid0(VALU_DEP_1) | instskip(NEXT) | instid1(VALU_DEP_1)
	v_fmac_f32_e32 v134, v136, v133
	v_fma_f32 v126, -v126, v134, v135
	s_delay_alu instid0(VALU_DEP_1) | instskip(NEXT) | instid1(VALU_DEP_1)
	v_div_fmas_f32 v126, v126, v133, v134
	v_div_fixup_f32 v127, v126, v127, 1.0
	s_delay_alu instid0(VALU_DEP_1)
	v_mul_f32_e32 v126, v125, v127
	v_xor_b32_e32 v127, 0x80000000, v127
.LBB116_343:
	s_and_not1_saveexec_b32 s1, s1
	s_cbranch_execz .LBB116_345
; %bb.344:
	s_delay_alu instid0(VALU_DEP_1) | instskip(SKIP_1) | instid1(VALU_DEP_2)
	v_div_scale_f32 v125, null, v126, v126, v127
	v_div_scale_f32 v135, vcc_lo, v127, v126, v127
	v_rcp_f32_e32 v133, v125
	v_nop
	s_delay_alu instid0(TRANS32_DEP_1) | instskip(NEXT) | instid1(VALU_DEP_1)
	v_fma_f32 v134, -v125, v133, 1.0
	v_fmac_f32_e32 v133, v134, v133
	s_delay_alu instid0(VALU_DEP_1) | instskip(NEXT) | instid1(VALU_DEP_1)
	v_mul_f32_e32 v134, v135, v133
	v_fma_f32 v136, -v125, v134, v135
	s_delay_alu instid0(VALU_DEP_1) | instskip(NEXT) | instid1(VALU_DEP_1)
	v_fmac_f32_e32 v134, v136, v133
	v_fma_f32 v125, -v125, v134, v135
	s_delay_alu instid0(VALU_DEP_1) | instskip(NEXT) | instid1(VALU_DEP_1)
	v_div_fmas_f32 v125, v125, v133, v134
	v_div_fixup_f32 v125, v125, v126, v127
	s_delay_alu instid0(VALU_DEP_1) | instskip(NEXT) | instid1(VALU_DEP_1)
	v_fmac_f32_e32 v126, v127, v125
	v_div_scale_f32 v127, null, v126, v126, 1.0
	s_delay_alu instid0(VALU_DEP_1) | instskip(SKIP_1) | instid1(TRANS32_DEP_1)
	v_rcp_f32_e32 v133, v127
	v_nop
	v_fma_f32 v134, -v127, v133, 1.0
	s_delay_alu instid0(VALU_DEP_1) | instskip(SKIP_1) | instid1(VALU_DEP_1)
	v_fmac_f32_e32 v133, v134, v133
	v_div_scale_f32 v134, vcc_lo, 1.0, v126, 1.0
	v_mul_f32_e32 v135, v134, v133
	s_delay_alu instid0(VALU_DEP_1) | instskip(NEXT) | instid1(VALU_DEP_1)
	v_fma_f32 v136, -v127, v135, v134
	v_fmac_f32_e32 v135, v136, v133
	s_delay_alu instid0(VALU_DEP_1) | instskip(NEXT) | instid1(VALU_DEP_1)
	v_fma_f32 v127, -v127, v135, v134
	v_div_fmas_f32 v127, v127, v133, v135
	s_delay_alu instid0(VALU_DEP_1) | instskip(NEXT) | instid1(VALU_DEP_1)
	v_div_fixup_f32 v126, v127, v126, 1.0
	v_mul_f32_e64 v127, v125, -v126
.LBB116_345:
	s_or_b32 exec_lo, exec_lo, s1
.LBB116_346:
	s_delay_alu instid0(SALU_CYCLE_1) | instskip(NEXT) | instid1(SALU_CYCLE_1)
	s_or_b32 exec_lo, exec_lo, s0
	s_mov_b32 s0, exec_lo
	v_cmpx_ne_u32_e64 v132, v124
	s_xor_b32 s0, exec_lo, s0
	s_cbranch_execz .LBB116_352
; %bb.347:
	s_mov_b32 s1, exec_lo
	v_cmpx_eq_u32_e32 16, v132
	s_cbranch_execz .LBB116_351
; %bb.348:
	v_cmp_ne_u32_e32 vcc_lo, 16, v124
	s_xor_b32 s12, s16, -1
	s_delay_alu instid0(SALU_CYCLE_1) | instskip(NEXT) | instid1(SALU_CYCLE_1)
	s_and_b32 s13, s12, vcc_lo
	s_and_saveexec_b32 s12, s13
	s_cbranch_execz .LBB116_350
; %bb.349:
	v_ashrrev_i32_e32 v125, 31, v124
	s_delay_alu instid0(VALU_DEP_1)
	v_lshl_add_u64 v[132:133], v[124:125], 2, v[4:5]
	s_clause 0x1
	global_load_b32 v125, v[132:133], off
	global_load_b32 v131, v[4:5], off offset:64
	s_wait_loadcnt 0x1
	global_store_b32 v[4:5], v125, off offset:64
	s_wait_loadcnt 0x0
	global_store_b32 v[132:133], v131, off
.LBB116_350:
	s_wait_xcnt 0x0
	s_or_b32 exec_lo, exec_lo, s12
	v_dual_mov_b32 v132, v124 :: v_dual_mov_b32 v131, v124
.LBB116_351:
	s_or_b32 exec_lo, exec_lo, s1
.LBB116_352:
	s_and_not1_saveexec_b32 s0, s0
	s_cbranch_execz .LBB116_354
; %bb.353:
	v_mov_b32_e32 v132, 16
	ds_store_2addr_b64 v128, v[42:43], v[20:21] offset0:17 offset1:18
	ds_store_2addr_b64 v128, v[18:19], v[52:53] offset0:19 offset1:20
	;; [unrolled: 1-line block ×21, first 2 shown]
.LBB116_354:
	s_or_b32 exec_lo, exec_lo, s0
	s_delay_alu instid0(SALU_CYCLE_1)
	s_mov_b32 s0, exec_lo
	s_wait_storecnt_dscnt 0x0
	s_barrier_signal -1
	s_barrier_wait -1
	v_cmpx_lt_i32_e32 16, v132
	s_cbranch_execz .LBB116_356
; %bb.355:
	v_pk_mul_f32 v[134:135], v[126:127], v[44:45] op_sel:[1,1] op_sel_hi:[0,1]
	s_delay_alu instid0(VALU_DEP_1)
	v_pk_fma_f32 v[124:125], v[126:127], v[44:45], v[134:135] op_sel_hi:[1,0,1] neg_lo:[0,0,1] neg_hi:[0,0,1]
	v_pk_fma_f32 v[126:127], v[126:127], v[44:45], v[134:135] op_sel_hi:[1,0,1]
	ds_load_2addr_b64 v[134:137], v128 offset0:17 offset1:18
	v_dual_mov_b32 v44, v124 :: v_dual_mov_b32 v45, v127
	s_wait_dscnt 0x0
	v_pk_mul_f32 v[138:139], v[134:135], v[126:127] op_sel:[0,1]
	s_delay_alu instid0(VALU_DEP_1) | instskip(SKIP_1) | instid1(VALU_DEP_1)
	v_pk_fma_f32 v[140:141], v[134:135], v[124:125], v[138:139] op_sel:[0,0,1] op_sel_hi:[1,1,0] neg_lo:[0,0,1] neg_hi:[0,0,1]
	v_pk_fma_f32 v[134:135], v[134:135], v[124:125], v[138:139] op_sel:[0,0,1] op_sel_hi:[1,0,0]
	v_mov_b32_e32 v141, v135
	v_pk_mul_f32 v[134:135], v[136:137], v[126:127] op_sel:[0,1]
	s_delay_alu instid0(VALU_DEP_1) | instskip(SKIP_1) | instid1(VALU_DEP_1)
	v_pk_fma_f32 v[138:139], v[136:137], v[124:125], v[134:135] op_sel:[0,0,1] op_sel_hi:[1,1,0] neg_lo:[0,0,1] neg_hi:[0,0,1]
	v_pk_fma_f32 v[134:135], v[136:137], v[124:125], v[134:135] op_sel:[0,0,1] op_sel_hi:[1,0,0]
	v_mov_b32_e32 v139, v135
	ds_load_2addr_b64 v[134:137], v128 offset0:19 offset1:20
	v_pk_add_f32 v[42:43], v[42:43], v[140:141] neg_lo:[0,1] neg_hi:[0,1]
	v_pk_add_f32 v[20:21], v[20:21], v[138:139] neg_lo:[0,1] neg_hi:[0,1]
	s_wait_dscnt 0x0
	v_pk_mul_f32 v[138:139], v[134:135], v[126:127] op_sel:[0,1]
	s_delay_alu instid0(VALU_DEP_1) | instskip(SKIP_2) | instid1(VALU_DEP_2)
	v_pk_fma_f32 v[140:141], v[134:135], v[124:125], v[138:139] op_sel:[0,0,1] op_sel_hi:[1,1,0] neg_lo:[0,0,1] neg_hi:[0,0,1]
	v_pk_fma_f32 v[134:135], v[134:135], v[124:125], v[138:139] op_sel:[0,0,1] op_sel_hi:[1,0,0]
	v_dual_mul_f32 v138, v137, v127 :: v_dual_mov_b32 v134, v137
	v_dual_mov_b32 v141, v135 :: v_dual_mov_b32 v135, v136
	s_delay_alu instid0(VALU_DEP_2) | instskip(SKIP_1) | instid1(VALU_DEP_3)
	v_pk_fma_f32 v[138:139], v[136:137], v[44:45], v[138:139] op_sel_hi:[1,1,0] neg_lo:[0,0,1] neg_hi:[0,0,1]
	v_mul_f32_e32 v136, v137, v124
	v_pk_add_f32 v[18:19], v[18:19], v[140:141] neg_lo:[0,1] neg_hi:[0,1]
	s_delay_alu instid0(VALU_DEP_2) | instskip(NEXT) | instid1(VALU_DEP_1)
	v_pk_fma_f32 v[134:135], v[134:135], v[44:45], v[136:137] op_sel_hi:[1,1,0]
	v_mov_b32_e32 v139, v135
	ds_load_2addr_b64 v[134:137], v128 offset0:21 offset1:22
	v_pk_add_f32 v[52:53], v[52:53], v[138:139] neg_lo:[0,1] neg_hi:[0,1]
	s_wait_dscnt 0x0
	v_pk_mul_f32 v[138:139], v[134:135], v[126:127] op_sel:[0,1]
	s_delay_alu instid0(VALU_DEP_1) | instskip(SKIP_1) | instid1(VALU_DEP_1)
	v_pk_fma_f32 v[140:141], v[134:135], v[124:125], v[138:139] op_sel:[0,0,1] op_sel_hi:[1,1,0] neg_lo:[0,0,1] neg_hi:[0,0,1]
	v_pk_fma_f32 v[134:135], v[134:135], v[124:125], v[138:139] op_sel:[0,0,1] op_sel_hi:[1,0,0]
	v_mov_b32_e32 v141, v135
	v_pk_mul_f32 v[134:135], v[136:137], v[126:127] op_sel:[0,1]
	s_delay_alu instid0(VALU_DEP_1) | instskip(SKIP_1) | instid1(VALU_DEP_1)
	v_pk_fma_f32 v[138:139], v[136:137], v[124:125], v[134:135] op_sel:[0,0,1] op_sel_hi:[1,1,0] neg_lo:[0,0,1] neg_hi:[0,0,1]
	v_pk_fma_f32 v[134:135], v[136:137], v[124:125], v[134:135] op_sel:[0,0,1] op_sel_hi:[1,0,0]
	v_mov_b32_e32 v139, v135
	ds_load_2addr_b64 v[134:137], v128 offset0:23 offset1:24
	v_pk_add_f32 v[50:51], v[50:51], v[140:141] neg_lo:[0,1] neg_hi:[0,1]
	v_pk_add_f32 v[28:29], v[28:29], v[138:139] neg_lo:[0,1] neg_hi:[0,1]
	s_wait_dscnt 0x0
	v_pk_mul_f32 v[138:139], v[134:135], v[126:127] op_sel:[0,1]
	s_delay_alu instid0(VALU_DEP_1) | instskip(SKIP_1) | instid1(VALU_DEP_1)
	v_pk_fma_f32 v[140:141], v[134:135], v[124:125], v[138:139] op_sel:[0,0,1] op_sel_hi:[1,1,0] neg_lo:[0,0,1] neg_hi:[0,0,1]
	v_pk_fma_f32 v[134:135], v[134:135], v[124:125], v[138:139] op_sel:[0,0,1] op_sel_hi:[1,0,0]
	v_mov_b32_e32 v141, v135
	v_pk_mul_f32 v[134:135], v[136:137], v[126:127] op_sel:[0,1]
	s_delay_alu instid0(VALU_DEP_1) | instskip(SKIP_1) | instid1(VALU_DEP_1)
	v_pk_fma_f32 v[138:139], v[136:137], v[124:125], v[134:135] op_sel:[0,0,1] op_sel_hi:[1,1,0] neg_lo:[0,0,1] neg_hi:[0,0,1]
	v_pk_fma_f32 v[134:135], v[136:137], v[124:125], v[134:135] op_sel:[0,0,1] op_sel_hi:[1,0,0]
	v_mov_b32_e32 v139, v135
	ds_load_2addr_b64 v[134:137], v128 offset0:25 offset1:26
	v_pk_add_f32 v[26:27], v[26:27], v[140:141] neg_lo:[0,1] neg_hi:[0,1]
	v_pk_add_f32 v[60:61], v[60:61], v[138:139] neg_lo:[0,1] neg_hi:[0,1]
	s_wait_dscnt 0x0
	v_dual_mul_f32 v138, v135, v127 :: v_dual_mul_f32 v140, v135, v124
	s_delay_alu instid0(VALU_DEP_1) | instskip(NEXT) | instid1(VALU_DEP_2)
	v_pk_fma_f32 v[138:139], v[134:135], v[44:45], v[138:139] op_sel_hi:[1,1,0] neg_lo:[0,0,1] neg_hi:[0,0,1]
	v_pk_fma_f32 v[134:135], v[134:135], v[44:45], v[140:141] op_sel:[1,0,0] op_sel_hi:[0,1,0]
	s_delay_alu instid0(VALU_DEP_1) | instskip(SKIP_1) | instid1(VALU_DEP_2)
	v_mov_b32_e32 v139, v135
	v_pk_mul_f32 v[134:135], v[136:137], v[126:127] op_sel:[0,1]
	v_pk_add_f32 v[58:59], v[58:59], v[138:139] neg_lo:[0,1] neg_hi:[0,1]
	s_delay_alu instid0(VALU_DEP_2) | instskip(SKIP_1) | instid1(VALU_DEP_1)
	v_pk_fma_f32 v[138:139], v[136:137], v[124:125], v[134:135] op_sel:[0,0,1] op_sel_hi:[1,1,0] neg_lo:[0,0,1] neg_hi:[0,0,1]
	v_pk_fma_f32 v[134:135], v[136:137], v[124:125], v[134:135] op_sel:[0,0,1] op_sel_hi:[1,0,0]
	v_mov_b32_e32 v139, v135
	ds_load_2addr_b64 v[134:137], v128 offset0:27 offset1:28
	v_pk_add_f32 v[38:39], v[38:39], v[138:139] neg_lo:[0,1] neg_hi:[0,1]
	s_wait_dscnt 0x0
	v_pk_mul_f32 v[138:139], v[134:135], v[126:127] op_sel:[0,1]
	s_delay_alu instid0(VALU_DEP_1) | instskip(SKIP_1) | instid1(VALU_DEP_1)
	v_pk_fma_f32 v[140:141], v[134:135], v[124:125], v[138:139] op_sel:[0,0,1] op_sel_hi:[1,1,0] neg_lo:[0,0,1] neg_hi:[0,0,1]
	v_pk_fma_f32 v[134:135], v[134:135], v[124:125], v[138:139] op_sel:[0,0,1] op_sel_hi:[1,0,0]
	v_mov_b32_e32 v141, v135
	v_pk_mul_f32 v[134:135], v[136:137], v[126:127] op_sel:[0,1]
	s_delay_alu instid0(VALU_DEP_2) | instskip(NEXT) | instid1(VALU_DEP_2)
	v_pk_add_f32 v[36:37], v[36:37], v[140:141] neg_lo:[0,1] neg_hi:[0,1]
	v_pk_fma_f32 v[138:139], v[136:137], v[124:125], v[134:135] op_sel:[0,0,1] op_sel_hi:[1,1,0] neg_lo:[0,0,1] neg_hi:[0,0,1]
	v_pk_fma_f32 v[134:135], v[136:137], v[124:125], v[134:135] op_sel:[0,0,1] op_sel_hi:[1,0,0]
	s_delay_alu instid0(VALU_DEP_1) | instskip(SKIP_4) | instid1(VALU_DEP_1)
	v_mov_b32_e32 v139, v135
	ds_load_2addr_b64 v[134:137], v128 offset0:29 offset1:30
	v_pk_add_f32 v[68:69], v[68:69], v[138:139] neg_lo:[0,1] neg_hi:[0,1]
	s_wait_dscnt 0x0
	v_pk_mul_f32 v[138:139], v[134:135], v[126:127] op_sel:[0,1]
	v_pk_fma_f32 v[140:141], v[134:135], v[124:125], v[138:139] op_sel:[0,0,1] op_sel_hi:[1,1,0] neg_lo:[0,0,1] neg_hi:[0,0,1]
	v_pk_fma_f32 v[134:135], v[134:135], v[124:125], v[138:139] op_sel:[0,0,1] op_sel_hi:[1,0,0]
	v_dual_mul_f32 v138, v137, v127 :: v_dual_mov_b32 v134, v137
	s_delay_alu instid0(VALU_DEP_2) | instskip(NEXT) | instid1(VALU_DEP_2)
	v_dual_mov_b32 v141, v135 :: v_dual_mov_b32 v135, v136
	v_pk_fma_f32 v[138:139], v[136:137], v[44:45], v[138:139] op_sel_hi:[1,1,0] neg_lo:[0,0,1] neg_hi:[0,0,1]
	v_mul_f32_e32 v136, v137, v124
	s_delay_alu instid0(VALU_DEP_3) | instskip(NEXT) | instid1(VALU_DEP_2)
	v_pk_add_f32 v[66:67], v[66:67], v[140:141] neg_lo:[0,1] neg_hi:[0,1]
	v_pk_fma_f32 v[134:135], v[134:135], v[44:45], v[136:137] op_sel_hi:[1,1,0]
	s_delay_alu instid0(VALU_DEP_1) | instskip(SKIP_4) | instid1(VALU_DEP_1)
	v_mov_b32_e32 v139, v135
	ds_load_2addr_b64 v[134:137], v128 offset0:31 offset1:32
	v_pk_add_f32 v[48:49], v[48:49], v[138:139] neg_lo:[0,1] neg_hi:[0,1]
	s_wait_dscnt 0x0
	v_pk_mul_f32 v[138:139], v[134:135], v[126:127] op_sel:[0,1]
	v_pk_fma_f32 v[140:141], v[134:135], v[124:125], v[138:139] op_sel:[0,0,1] op_sel_hi:[1,1,0] neg_lo:[0,0,1] neg_hi:[0,0,1]
	v_pk_fma_f32 v[134:135], v[134:135], v[124:125], v[138:139] op_sel:[0,0,1] op_sel_hi:[1,0,0]
	s_delay_alu instid0(VALU_DEP_1) | instskip(SKIP_1) | instid1(VALU_DEP_1)
	v_mov_b32_e32 v141, v135
	v_pk_mul_f32 v[134:135], v[136:137], v[126:127] op_sel:[0,1]
	v_pk_fma_f32 v[138:139], v[136:137], v[124:125], v[134:135] op_sel:[0,0,1] op_sel_hi:[1,1,0] neg_lo:[0,0,1] neg_hi:[0,0,1]
	v_pk_fma_f32 v[134:135], v[136:137], v[124:125], v[134:135] op_sel:[0,0,1] op_sel_hi:[1,0,0]
	s_delay_alu instid0(VALU_DEP_1)
	v_mov_b32_e32 v139, v135
	ds_load_2addr_b64 v[134:137], v128 offset0:33 offset1:34
	v_pk_add_f32 v[46:47], v[46:47], v[140:141] neg_lo:[0,1] neg_hi:[0,1]
	v_pk_add_f32 v[78:79], v[78:79], v[138:139] neg_lo:[0,1] neg_hi:[0,1]
	s_wait_dscnt 0x0
	v_pk_mul_f32 v[138:139], v[134:135], v[126:127] op_sel:[0,1]
	s_delay_alu instid0(VALU_DEP_1) | instskip(SKIP_1) | instid1(VALU_DEP_1)
	v_pk_fma_f32 v[140:141], v[134:135], v[124:125], v[138:139] op_sel:[0,0,1] op_sel_hi:[1,1,0] neg_lo:[0,0,1] neg_hi:[0,0,1]
	v_pk_fma_f32 v[134:135], v[134:135], v[124:125], v[138:139] op_sel:[0,0,1] op_sel_hi:[1,0,0]
	v_mov_b32_e32 v141, v135
	v_pk_mul_f32 v[134:135], v[136:137], v[126:127] op_sel:[0,1]
	s_delay_alu instid0(VALU_DEP_1) | instskip(SKIP_1) | instid1(VALU_DEP_1)
	v_pk_fma_f32 v[138:139], v[136:137], v[124:125], v[134:135] op_sel:[0,0,1] op_sel_hi:[1,1,0] neg_lo:[0,0,1] neg_hi:[0,0,1]
	v_pk_fma_f32 v[134:135], v[136:137], v[124:125], v[134:135] op_sel:[0,0,1] op_sel_hi:[1,0,0]
	v_mov_b32_e32 v139, v135
	ds_load_2addr_b64 v[134:137], v128 offset0:35 offset1:36
	v_pk_add_f32 v[76:77], v[76:77], v[140:141] neg_lo:[0,1] neg_hi:[0,1]
	v_pk_add_f32 v[56:57], v[56:57], v[138:139] neg_lo:[0,1] neg_hi:[0,1]
	s_wait_dscnt 0x0
	v_dual_mul_f32 v138, v135, v127 :: v_dual_mul_f32 v140, v135, v124
	s_delay_alu instid0(VALU_DEP_1) | instskip(NEXT) | instid1(VALU_DEP_2)
	v_pk_fma_f32 v[138:139], v[134:135], v[44:45], v[138:139] op_sel_hi:[1,1,0] neg_lo:[0,0,1] neg_hi:[0,0,1]
	v_pk_fma_f32 v[134:135], v[134:135], v[44:45], v[140:141] op_sel:[1,0,0] op_sel_hi:[0,1,0]
	s_delay_alu instid0(VALU_DEP_1) | instskip(SKIP_1) | instid1(VALU_DEP_2)
	v_mov_b32_e32 v139, v135
	v_pk_mul_f32 v[134:135], v[136:137], v[126:127] op_sel:[0,1]
	v_pk_add_f32 v[54:55], v[54:55], v[138:139] neg_lo:[0,1] neg_hi:[0,1]
	s_delay_alu instid0(VALU_DEP_2) | instskip(SKIP_1) | instid1(VALU_DEP_1)
	v_pk_fma_f32 v[138:139], v[136:137], v[124:125], v[134:135] op_sel:[0,0,1] op_sel_hi:[1,1,0] neg_lo:[0,0,1] neg_hi:[0,0,1]
	v_pk_fma_f32 v[134:135], v[136:137], v[124:125], v[134:135] op_sel:[0,0,1] op_sel_hi:[1,0,0]
	v_mov_b32_e32 v139, v135
	ds_load_2addr_b64 v[134:137], v128 offset0:37 offset1:38
	v_pk_add_f32 v[88:89], v[88:89], v[138:139] neg_lo:[0,1] neg_hi:[0,1]
	s_wait_dscnt 0x0
	v_pk_mul_f32 v[138:139], v[134:135], v[126:127] op_sel:[0,1]
	s_delay_alu instid0(VALU_DEP_1) | instskip(SKIP_1) | instid1(VALU_DEP_1)
	v_pk_fma_f32 v[140:141], v[134:135], v[124:125], v[138:139] op_sel:[0,0,1] op_sel_hi:[1,1,0] neg_lo:[0,0,1] neg_hi:[0,0,1]
	v_pk_fma_f32 v[134:135], v[134:135], v[124:125], v[138:139] op_sel:[0,0,1] op_sel_hi:[1,0,0]
	v_mov_b32_e32 v141, v135
	v_pk_mul_f32 v[134:135], v[136:137], v[126:127] op_sel:[0,1]
	s_delay_alu instid0(VALU_DEP_2) | instskip(NEXT) | instid1(VALU_DEP_2)
	v_pk_add_f32 v[86:87], v[86:87], v[140:141] neg_lo:[0,1] neg_hi:[0,1]
	v_pk_fma_f32 v[138:139], v[136:137], v[124:125], v[134:135] op_sel:[0,0,1] op_sel_hi:[1,1,0] neg_lo:[0,0,1] neg_hi:[0,0,1]
	v_pk_fma_f32 v[134:135], v[136:137], v[124:125], v[134:135] op_sel:[0,0,1] op_sel_hi:[1,0,0]
	s_delay_alu instid0(VALU_DEP_1) | instskip(SKIP_4) | instid1(VALU_DEP_1)
	v_mov_b32_e32 v139, v135
	ds_load_2addr_b64 v[134:137], v128 offset0:39 offset1:40
	v_pk_add_f32 v[64:65], v[64:65], v[138:139] neg_lo:[0,1] neg_hi:[0,1]
	s_wait_dscnt 0x0
	v_pk_mul_f32 v[138:139], v[134:135], v[126:127] op_sel:[0,1]
	v_pk_fma_f32 v[140:141], v[134:135], v[124:125], v[138:139] op_sel:[0,0,1] op_sel_hi:[1,1,0] neg_lo:[0,0,1] neg_hi:[0,0,1]
	v_pk_fma_f32 v[134:135], v[134:135], v[124:125], v[138:139] op_sel:[0,0,1] op_sel_hi:[1,0,0]
	v_dual_mul_f32 v138, v137, v127 :: v_dual_mov_b32 v134, v137
	s_delay_alu instid0(VALU_DEP_2) | instskip(NEXT) | instid1(VALU_DEP_2)
	v_dual_mov_b32 v141, v135 :: v_dual_mov_b32 v135, v136
	v_pk_fma_f32 v[138:139], v[136:137], v[44:45], v[138:139] op_sel_hi:[1,1,0] neg_lo:[0,0,1] neg_hi:[0,0,1]
	v_mul_f32_e32 v136, v137, v124
	s_delay_alu instid0(VALU_DEP_3) | instskip(NEXT) | instid1(VALU_DEP_2)
	v_pk_add_f32 v[62:63], v[62:63], v[140:141] neg_lo:[0,1] neg_hi:[0,1]
	v_pk_fma_f32 v[134:135], v[134:135], v[44:45], v[136:137] op_sel_hi:[1,1,0]
	s_delay_alu instid0(VALU_DEP_1) | instskip(SKIP_4) | instid1(VALU_DEP_1)
	v_mov_b32_e32 v139, v135
	ds_load_2addr_b64 v[134:137], v128 offset0:41 offset1:42
	v_pk_add_f32 v[102:103], v[102:103], v[138:139] neg_lo:[0,1] neg_hi:[0,1]
	s_wait_dscnt 0x0
	v_pk_mul_f32 v[138:139], v[134:135], v[126:127] op_sel:[0,1]
	v_pk_fma_f32 v[140:141], v[134:135], v[124:125], v[138:139] op_sel:[0,0,1] op_sel_hi:[1,1,0] neg_lo:[0,0,1] neg_hi:[0,0,1]
	v_pk_fma_f32 v[134:135], v[134:135], v[124:125], v[138:139] op_sel:[0,0,1] op_sel_hi:[1,0,0]
	s_delay_alu instid0(VALU_DEP_1) | instskip(SKIP_1) | instid1(VALU_DEP_1)
	v_mov_b32_e32 v141, v135
	v_pk_mul_f32 v[134:135], v[136:137], v[126:127] op_sel:[0,1]
	v_pk_fma_f32 v[138:139], v[136:137], v[124:125], v[134:135] op_sel:[0,0,1] op_sel_hi:[1,1,0] neg_lo:[0,0,1] neg_hi:[0,0,1]
	v_pk_fma_f32 v[134:135], v[136:137], v[124:125], v[134:135] op_sel:[0,0,1] op_sel_hi:[1,0,0]
	s_delay_alu instid0(VALU_DEP_1)
	v_mov_b32_e32 v139, v135
	ds_load_2addr_b64 v[134:137], v128 offset0:43 offset1:44
	v_pk_add_f32 v[100:101], v[100:101], v[140:141] neg_lo:[0,1] neg_hi:[0,1]
	v_pk_add_f32 v[72:73], v[72:73], v[138:139] neg_lo:[0,1] neg_hi:[0,1]
	s_wait_dscnt 0x0
	v_pk_mul_f32 v[138:139], v[134:135], v[126:127] op_sel:[0,1]
	s_delay_alu instid0(VALU_DEP_1) | instskip(SKIP_1) | instid1(VALU_DEP_1)
	v_pk_fma_f32 v[140:141], v[134:135], v[124:125], v[138:139] op_sel:[0,0,1] op_sel_hi:[1,1,0] neg_lo:[0,0,1] neg_hi:[0,0,1]
	v_pk_fma_f32 v[134:135], v[134:135], v[124:125], v[138:139] op_sel:[0,0,1] op_sel_hi:[1,0,0]
	v_mov_b32_e32 v141, v135
	v_pk_mul_f32 v[134:135], v[136:137], v[126:127] op_sel:[0,1]
	s_delay_alu instid0(VALU_DEP_1) | instskip(SKIP_1) | instid1(VALU_DEP_1)
	v_pk_fma_f32 v[138:139], v[136:137], v[124:125], v[134:135] op_sel:[0,0,1] op_sel_hi:[1,1,0] neg_lo:[0,0,1] neg_hi:[0,0,1]
	v_pk_fma_f32 v[134:135], v[136:137], v[124:125], v[134:135] op_sel:[0,0,1] op_sel_hi:[1,0,0]
	v_mov_b32_e32 v139, v135
	ds_load_2addr_b64 v[134:137], v128 offset0:45 offset1:46
	v_pk_add_f32 v[70:71], v[70:71], v[140:141] neg_lo:[0,1] neg_hi:[0,1]
	v_pk_add_f32 v[110:111], v[110:111], v[138:139] neg_lo:[0,1] neg_hi:[0,1]
	s_wait_dscnt 0x0
	v_dual_mul_f32 v138, v135, v127 :: v_dual_mul_f32 v140, v135, v124
	s_delay_alu instid0(VALU_DEP_1) | instskip(NEXT) | instid1(VALU_DEP_2)
	v_pk_fma_f32 v[138:139], v[134:135], v[44:45], v[138:139] op_sel_hi:[1,1,0] neg_lo:[0,0,1] neg_hi:[0,0,1]
	v_pk_fma_f32 v[134:135], v[134:135], v[44:45], v[140:141] op_sel:[1,0,0] op_sel_hi:[0,1,0]
	s_delay_alu instid0(VALU_DEP_1) | instskip(SKIP_1) | instid1(VALU_DEP_2)
	v_mov_b32_e32 v139, v135
	v_pk_mul_f32 v[134:135], v[136:137], v[126:127] op_sel:[0,1]
	v_pk_add_f32 v[108:109], v[108:109], v[138:139] neg_lo:[0,1] neg_hi:[0,1]
	s_delay_alu instid0(VALU_DEP_2) | instskip(SKIP_1) | instid1(VALU_DEP_1)
	v_pk_fma_f32 v[138:139], v[136:137], v[124:125], v[134:135] op_sel:[0,0,1] op_sel_hi:[1,1,0] neg_lo:[0,0,1] neg_hi:[0,0,1]
	v_pk_fma_f32 v[134:135], v[136:137], v[124:125], v[134:135] op_sel:[0,0,1] op_sel_hi:[1,0,0]
	v_mov_b32_e32 v139, v135
	ds_load_2addr_b64 v[134:137], v128 offset0:47 offset1:48
	v_pk_add_f32 v[82:83], v[82:83], v[138:139] neg_lo:[0,1] neg_hi:[0,1]
	s_wait_dscnt 0x0
	v_pk_mul_f32 v[138:139], v[134:135], v[126:127] op_sel:[0,1]
	s_delay_alu instid0(VALU_DEP_1) | instskip(SKIP_1) | instid1(VALU_DEP_1)
	v_pk_fma_f32 v[140:141], v[134:135], v[124:125], v[138:139] op_sel:[0,0,1] op_sel_hi:[1,1,0] neg_lo:[0,0,1] neg_hi:[0,0,1]
	v_pk_fma_f32 v[134:135], v[134:135], v[124:125], v[138:139] op_sel:[0,0,1] op_sel_hi:[1,0,0]
	v_mov_b32_e32 v141, v135
	v_pk_mul_f32 v[134:135], v[136:137], v[126:127] op_sel:[0,1]
	s_delay_alu instid0(VALU_DEP_2) | instskip(NEXT) | instid1(VALU_DEP_2)
	v_pk_add_f32 v[80:81], v[80:81], v[140:141] neg_lo:[0,1] neg_hi:[0,1]
	v_pk_fma_f32 v[138:139], v[136:137], v[124:125], v[134:135] op_sel:[0,0,1] op_sel_hi:[1,1,0] neg_lo:[0,0,1] neg_hi:[0,0,1]
	v_pk_fma_f32 v[134:135], v[136:137], v[124:125], v[134:135] op_sel:[0,0,1] op_sel_hi:[1,0,0]
	s_delay_alu instid0(VALU_DEP_1) | instskip(SKIP_4) | instid1(VALU_DEP_1)
	v_mov_b32_e32 v139, v135
	ds_load_2addr_b64 v[134:137], v128 offset0:49 offset1:50
	v_pk_add_f32 v[120:121], v[120:121], v[138:139] neg_lo:[0,1] neg_hi:[0,1]
	s_wait_dscnt 0x0
	v_pk_mul_f32 v[138:139], v[134:135], v[126:127] op_sel:[0,1]
	v_pk_fma_f32 v[140:141], v[134:135], v[124:125], v[138:139] op_sel:[0,0,1] op_sel_hi:[1,1,0] neg_lo:[0,0,1] neg_hi:[0,0,1]
	v_pk_fma_f32 v[134:135], v[134:135], v[124:125], v[138:139] op_sel:[0,0,1] op_sel_hi:[1,0,0]
	v_dual_mul_f32 v138, v137, v127 :: v_dual_mov_b32 v134, v137
	s_delay_alu instid0(VALU_DEP_2) | instskip(NEXT) | instid1(VALU_DEP_2)
	v_dual_mov_b32 v141, v135 :: v_dual_mov_b32 v135, v136
	v_pk_fma_f32 v[138:139], v[136:137], v[44:45], v[138:139] op_sel_hi:[1,1,0] neg_lo:[0,0,1] neg_hi:[0,0,1]
	v_mul_f32_e32 v136, v137, v124
	s_delay_alu instid0(VALU_DEP_3) | instskip(NEXT) | instid1(VALU_DEP_2)
	v_pk_add_f32 v[118:119], v[118:119], v[140:141] neg_lo:[0,1] neg_hi:[0,1]
	v_pk_fma_f32 v[134:135], v[134:135], v[44:45], v[136:137] op_sel_hi:[1,1,0]
	s_delay_alu instid0(VALU_DEP_1) | instskip(SKIP_4) | instid1(VALU_DEP_1)
	v_mov_b32_e32 v139, v135
	ds_load_2addr_b64 v[134:137], v128 offset0:51 offset1:52
	v_pk_add_f32 v[94:95], v[94:95], v[138:139] neg_lo:[0,1] neg_hi:[0,1]
	s_wait_dscnt 0x0
	v_pk_mul_f32 v[138:139], v[134:135], v[126:127] op_sel:[0,1]
	v_pk_fma_f32 v[140:141], v[134:135], v[124:125], v[138:139] op_sel:[0,0,1] op_sel_hi:[1,1,0] neg_lo:[0,0,1] neg_hi:[0,0,1]
	v_pk_fma_f32 v[134:135], v[134:135], v[124:125], v[138:139] op_sel:[0,0,1] op_sel_hi:[1,0,0]
	s_delay_alu instid0(VALU_DEP_1) | instskip(SKIP_1) | instid1(VALU_DEP_1)
	v_mov_b32_e32 v141, v135
	v_pk_mul_f32 v[134:135], v[136:137], v[126:127] op_sel:[0,1]
	v_pk_fma_f32 v[138:139], v[136:137], v[124:125], v[134:135] op_sel:[0,0,1] op_sel_hi:[1,1,0] neg_lo:[0,0,1] neg_hi:[0,0,1]
	v_pk_fma_f32 v[134:135], v[136:137], v[124:125], v[134:135] op_sel:[0,0,1] op_sel_hi:[1,0,0]
	s_delay_alu instid0(VALU_DEP_1)
	v_mov_b32_e32 v139, v135
	ds_load_2addr_b64 v[134:137], v128 offset0:53 offset1:54
	v_pk_add_f32 v[96:97], v[96:97], v[140:141] neg_lo:[0,1] neg_hi:[0,1]
	v_pk_add_f32 v[114:115], v[114:115], v[138:139] neg_lo:[0,1] neg_hi:[0,1]
	s_wait_dscnt 0x0
	v_pk_mul_f32 v[138:139], v[134:135], v[126:127] op_sel:[0,1]
	s_delay_alu instid0(VALU_DEP_1) | instskip(SKIP_1) | instid1(VALU_DEP_1)
	v_pk_fma_f32 v[140:141], v[134:135], v[124:125], v[138:139] op_sel:[0,0,1] op_sel_hi:[1,1,0] neg_lo:[0,0,1] neg_hi:[0,0,1]
	v_pk_fma_f32 v[134:135], v[134:135], v[124:125], v[138:139] op_sel:[0,0,1] op_sel_hi:[1,0,0]
	v_mov_b32_e32 v141, v135
	v_pk_mul_f32 v[134:135], v[136:137], v[126:127] op_sel:[0,1]
	s_delay_alu instid0(VALU_DEP_1) | instskip(SKIP_1) | instid1(VALU_DEP_1)
	v_pk_fma_f32 v[138:139], v[136:137], v[124:125], v[134:135] op_sel:[0,0,1] op_sel_hi:[1,1,0] neg_lo:[0,0,1] neg_hi:[0,0,1]
	v_pk_fma_f32 v[134:135], v[136:137], v[124:125], v[134:135] op_sel:[0,0,1] op_sel_hi:[1,0,0]
	v_mov_b32_e32 v139, v135
	ds_load_2addr_b64 v[134:137], v128 offset0:55 offset1:56
	v_pk_add_f32 v[112:113], v[112:113], v[140:141] neg_lo:[0,1] neg_hi:[0,1]
	v_pk_add_f32 v[92:93], v[92:93], v[138:139] neg_lo:[0,1] neg_hi:[0,1]
	s_wait_dscnt 0x0
	v_dual_mul_f32 v138, v135, v127 :: v_dual_mul_f32 v140, v135, v124
	s_delay_alu instid0(VALU_DEP_1) | instskip(NEXT) | instid1(VALU_DEP_2)
	v_pk_fma_f32 v[138:139], v[134:135], v[44:45], v[138:139] op_sel_hi:[1,1,0] neg_lo:[0,0,1] neg_hi:[0,0,1]
	v_pk_fma_f32 v[134:135], v[134:135], v[44:45], v[140:141] op_sel:[1,0,0] op_sel_hi:[0,1,0]
	s_delay_alu instid0(VALU_DEP_1) | instskip(SKIP_1) | instid1(VALU_DEP_2)
	v_mov_b32_e32 v139, v135
	v_pk_mul_f32 v[134:135], v[136:137], v[126:127] op_sel:[0,1]
	v_pk_add_f32 v[90:91], v[90:91], v[138:139] neg_lo:[0,1] neg_hi:[0,1]
	s_delay_alu instid0(VALU_DEP_2) | instskip(SKIP_1) | instid1(VALU_DEP_1)
	v_pk_fma_f32 v[138:139], v[136:137], v[124:125], v[134:135] op_sel:[0,0,1] op_sel_hi:[1,1,0] neg_lo:[0,0,1] neg_hi:[0,0,1]
	v_pk_fma_f32 v[134:135], v[136:137], v[124:125], v[134:135] op_sel:[0,0,1] op_sel_hi:[1,0,0]
	v_mov_b32_e32 v139, v135
	ds_load_2addr_b64 v[134:137], v128 offset0:57 offset1:58
	v_pk_add_f32 v[104:105], v[104:105], v[138:139] neg_lo:[0,1] neg_hi:[0,1]
	s_wait_dscnt 0x0
	v_pk_mul_f32 v[138:139], v[134:135], v[126:127] op_sel:[0,1]
	v_mul_f32_e32 v126, v137, v127
	s_delay_alu instid0(VALU_DEP_2) | instskip(SKIP_2) | instid1(VALU_DEP_4)
	v_pk_fma_f32 v[140:141], v[134:135], v[124:125], v[138:139] op_sel:[0,0,1] op_sel_hi:[1,1,0] neg_lo:[0,0,1] neg_hi:[0,0,1]
	v_pk_fma_f32 v[134:135], v[134:135], v[124:125], v[138:139] op_sel:[0,0,1] op_sel_hi:[1,0,0]
	v_dual_mov_b32 v134, v137 :: v_dual_mul_f32 v124, v137, v124
	v_pk_fma_f32 v[126:127], v[136:137], v[44:45], v[126:127] op_sel_hi:[1,1,0] neg_lo:[0,0,1] neg_hi:[0,0,1]
	s_delay_alu instid0(VALU_DEP_3) | instskip(NEXT) | instid1(VALU_DEP_1)
	v_dual_mov_b32 v141, v135 :: v_dual_mov_b32 v135, v136
	v_pk_add_f32 v[98:99], v[98:99], v[140:141] neg_lo:[0,1] neg_hi:[0,1]
	s_delay_alu instid0(VALU_DEP_2) | instskip(NEXT) | instid1(VALU_DEP_1)
	v_pk_fma_f32 v[124:125], v[134:135], v[44:45], v[124:125] op_sel_hi:[1,1,0]
	v_mov_b32_e32 v127, v125
	s_delay_alu instid0(VALU_DEP_1)
	v_pk_add_f32 v[122:123], v[122:123], v[126:127] neg_lo:[0,1] neg_hi:[0,1]
.LBB116_356:
	s_or_b32 exec_lo, exec_lo, s0
	v_lshl_add_u32 v124, v132, 3, v128
	s_barrier_signal -1
	s_barrier_wait -1
	ds_store_b64 v124, v[42:43]
	s_wait_dscnt 0x0
	s_barrier_signal -1
	s_barrier_wait -1
	ds_load_b64 v[126:127], v128 offset:136
	v_mov_b32_e32 v124, 17
	s_cmp_lt_i32 s18, 19
	s_cbranch_scc1 .LBB116_359
; %bb.357:
	v_add3_u32 v125, v129, 0, 0x90
	v_mov_b32_e32 v124, 17
	s_mov_b32 s0, 18
.LBB116_358:                            ; =>This Inner Loop Header: Depth=1
	ds_load_b64 v[134:135], v125
	s_wait_dscnt 0x1
	v_cmp_gt_f32_e32 vcc_lo, 0, v126
	v_cndmask_b32_e64 v136, v126, -v126, vcc_lo
	v_cmp_gt_f32_e32 vcc_lo, 0, v127
	v_cndmask_b32_e64 v138, v127, -v127, vcc_lo
	s_wait_dscnt 0x0
	v_cmp_gt_f32_e32 vcc_lo, 0, v134
	v_cndmask_b32_e64 v137, v134, -v134, vcc_lo
	v_cmp_gt_f32_e32 vcc_lo, 0, v135
	v_cndmask_b32_e64 v139, v135, -v135, vcc_lo
	s_delay_alu instid0(VALU_DEP_1) | instskip(NEXT) | instid1(VALU_DEP_1)
	v_pk_add_f32 v[136:137], v[136:137], v[138:139]
	v_cmp_lt_f32_e32 vcc_lo, v136, v137
	v_dual_add_nc_u32 v125, 8, v125 :: v_dual_cndmask_b32 v127, v127, v135, vcc_lo
	v_cndmask_b32_e32 v126, v126, v134, vcc_lo
	v_cndmask_b32_e64 v124, v124, s0, vcc_lo
	s_add_co_i32 s0, s0, 1
	s_delay_alu instid0(SALU_CYCLE_1)
	s_cmp_lg_u32 s18, s0
	s_cbranch_scc1 .LBB116_358
.LBB116_359:
	s_wait_dscnt 0x0
	v_cmp_eq_f32_e32 vcc_lo, 0, v126
	v_cmp_eq_f32_e64 s0, 0, v127
	s_and_b32 s0, vcc_lo, s0
	s_delay_alu instid0(SALU_CYCLE_1) | instskip(NEXT) | instid1(SALU_CYCLE_1)
	s_and_saveexec_b32 s1, s0
	s_xor_b32 s0, exec_lo, s1
; %bb.360:
	v_cmp_ne_u32_e32 vcc_lo, 0, v130
	v_cndmask_b32_e32 v130, 18, v130, vcc_lo
; %bb.361:
	s_and_not1_saveexec_b32 s0, s0
	s_cbranch_execz .LBB116_367
; %bb.362:
	v_cmp_ngt_f32_e64 s1, |v126|, |v127|
	s_and_saveexec_b32 s12, s1
	s_delay_alu instid0(SALU_CYCLE_1)
	s_xor_b32 s1, exec_lo, s12
	s_cbranch_execz .LBB116_364
; %bb.363:
	v_div_scale_f32 v125, null, v127, v127, v126
	v_div_scale_f32 v135, vcc_lo, v126, v127, v126
	s_delay_alu instid0(VALU_DEP_2) | instskip(SKIP_1) | instid1(TRANS32_DEP_1)
	v_rcp_f32_e32 v133, v125
	v_nop
	v_fma_f32 v134, -v125, v133, 1.0
	s_delay_alu instid0(VALU_DEP_1) | instskip(NEXT) | instid1(VALU_DEP_1)
	v_fmac_f32_e32 v133, v134, v133
	v_mul_f32_e32 v134, v135, v133
	s_delay_alu instid0(VALU_DEP_1) | instskip(NEXT) | instid1(VALU_DEP_1)
	v_fma_f32 v136, -v125, v134, v135
	v_fmac_f32_e32 v134, v136, v133
	s_delay_alu instid0(VALU_DEP_1) | instskip(NEXT) | instid1(VALU_DEP_1)
	v_fma_f32 v125, -v125, v134, v135
	v_div_fmas_f32 v125, v125, v133, v134
	s_delay_alu instid0(VALU_DEP_1) | instskip(NEXT) | instid1(VALU_DEP_1)
	v_div_fixup_f32 v125, v125, v127, v126
	v_fmac_f32_e32 v127, v126, v125
	s_delay_alu instid0(VALU_DEP_1) | instskip(SKIP_1) | instid1(VALU_DEP_2)
	v_div_scale_f32 v126, null, v127, v127, 1.0
	v_div_scale_f32 v135, vcc_lo, 1.0, v127, 1.0
	v_rcp_f32_e32 v133, v126
	v_nop
	s_delay_alu instid0(TRANS32_DEP_1) | instskip(NEXT) | instid1(VALU_DEP_1)
	v_fma_f32 v134, -v126, v133, 1.0
	v_fmac_f32_e32 v133, v134, v133
	s_delay_alu instid0(VALU_DEP_1) | instskip(NEXT) | instid1(VALU_DEP_1)
	v_mul_f32_e32 v134, v135, v133
	v_fma_f32 v136, -v126, v134, v135
	s_delay_alu instid0(VALU_DEP_1) | instskip(NEXT) | instid1(VALU_DEP_1)
	v_fmac_f32_e32 v134, v136, v133
	v_fma_f32 v126, -v126, v134, v135
	s_delay_alu instid0(VALU_DEP_1) | instskip(NEXT) | instid1(VALU_DEP_1)
	v_div_fmas_f32 v126, v126, v133, v134
	v_div_fixup_f32 v127, v126, v127, 1.0
	s_delay_alu instid0(VALU_DEP_1)
	v_mul_f32_e32 v126, v125, v127
	v_xor_b32_e32 v127, 0x80000000, v127
.LBB116_364:
	s_and_not1_saveexec_b32 s1, s1
	s_cbranch_execz .LBB116_366
; %bb.365:
	s_delay_alu instid0(VALU_DEP_1) | instskip(SKIP_1) | instid1(VALU_DEP_2)
	v_div_scale_f32 v125, null, v126, v126, v127
	v_div_scale_f32 v135, vcc_lo, v127, v126, v127
	v_rcp_f32_e32 v133, v125
	v_nop
	s_delay_alu instid0(TRANS32_DEP_1) | instskip(NEXT) | instid1(VALU_DEP_1)
	v_fma_f32 v134, -v125, v133, 1.0
	v_fmac_f32_e32 v133, v134, v133
	s_delay_alu instid0(VALU_DEP_1) | instskip(NEXT) | instid1(VALU_DEP_1)
	v_mul_f32_e32 v134, v135, v133
	v_fma_f32 v136, -v125, v134, v135
	s_delay_alu instid0(VALU_DEP_1) | instskip(NEXT) | instid1(VALU_DEP_1)
	v_fmac_f32_e32 v134, v136, v133
	v_fma_f32 v125, -v125, v134, v135
	s_delay_alu instid0(VALU_DEP_1) | instskip(NEXT) | instid1(VALU_DEP_1)
	v_div_fmas_f32 v125, v125, v133, v134
	v_div_fixup_f32 v125, v125, v126, v127
	s_delay_alu instid0(VALU_DEP_1) | instskip(NEXT) | instid1(VALU_DEP_1)
	v_fmac_f32_e32 v126, v127, v125
	v_div_scale_f32 v127, null, v126, v126, 1.0
	s_delay_alu instid0(VALU_DEP_1) | instskip(SKIP_1) | instid1(TRANS32_DEP_1)
	v_rcp_f32_e32 v133, v127
	v_nop
	v_fma_f32 v134, -v127, v133, 1.0
	s_delay_alu instid0(VALU_DEP_1) | instskip(SKIP_1) | instid1(VALU_DEP_1)
	v_fmac_f32_e32 v133, v134, v133
	v_div_scale_f32 v134, vcc_lo, 1.0, v126, 1.0
	v_mul_f32_e32 v135, v134, v133
	s_delay_alu instid0(VALU_DEP_1) | instskip(NEXT) | instid1(VALU_DEP_1)
	v_fma_f32 v136, -v127, v135, v134
	v_fmac_f32_e32 v135, v136, v133
	s_delay_alu instid0(VALU_DEP_1) | instskip(NEXT) | instid1(VALU_DEP_1)
	v_fma_f32 v127, -v127, v135, v134
	v_div_fmas_f32 v127, v127, v133, v135
	s_delay_alu instid0(VALU_DEP_1) | instskip(NEXT) | instid1(VALU_DEP_1)
	v_div_fixup_f32 v126, v127, v126, 1.0
	v_mul_f32_e64 v127, v125, -v126
.LBB116_366:
	s_or_b32 exec_lo, exec_lo, s1
.LBB116_367:
	s_delay_alu instid0(SALU_CYCLE_1) | instskip(NEXT) | instid1(SALU_CYCLE_1)
	s_or_b32 exec_lo, exec_lo, s0
	s_mov_b32 s0, exec_lo
	v_cmpx_ne_u32_e64 v132, v124
	s_xor_b32 s0, exec_lo, s0
	s_cbranch_execz .LBB116_373
; %bb.368:
	s_mov_b32 s1, exec_lo
	v_cmpx_eq_u32_e32 17, v132
	s_cbranch_execz .LBB116_372
; %bb.369:
	v_cmp_ne_u32_e32 vcc_lo, 17, v124
	s_xor_b32 s12, s16, -1
	s_delay_alu instid0(SALU_CYCLE_1) | instskip(NEXT) | instid1(SALU_CYCLE_1)
	s_and_b32 s13, s12, vcc_lo
	s_and_saveexec_b32 s12, s13
	s_cbranch_execz .LBB116_371
; %bb.370:
	v_ashrrev_i32_e32 v125, 31, v124
	s_delay_alu instid0(VALU_DEP_1)
	v_lshl_add_u64 v[132:133], v[124:125], 2, v[4:5]
	s_clause 0x1
	global_load_b32 v125, v[132:133], off
	global_load_b32 v131, v[4:5], off offset:68
	s_wait_loadcnt 0x1
	global_store_b32 v[4:5], v125, off offset:68
	s_wait_loadcnt 0x0
	global_store_b32 v[132:133], v131, off
.LBB116_371:
	s_wait_xcnt 0x0
	s_or_b32 exec_lo, exec_lo, s12
	v_dual_mov_b32 v132, v124 :: v_dual_mov_b32 v131, v124
.LBB116_372:
	s_or_b32 exec_lo, exec_lo, s1
.LBB116_373:
	s_and_not1_saveexec_b32 s0, s0
	s_cbranch_execz .LBB116_375
; %bb.374:
	v_dual_mov_b32 v124, v20 :: v_dual_mov_b32 v125, v21
	v_dual_mov_b32 v132, v18 :: v_dual_mov_b32 v133, v19
	ds_store_2addr_b64 v128, v[124:125], v[132:133] offset0:18 offset1:19
	v_dual_mov_b32 v124, v52 :: v_dual_mov_b32 v125, v53
	v_dual_mov_b32 v132, v50 :: v_dual_mov_b32 v133, v51
	ds_store_2addr_b64 v128, v[124:125], v[132:133] offset0:20 offset1:21
	;; [unrolled: 3-line block ×20, first 2 shown]
	ds_store_b64 v128, v[122:123] offset:464
	v_mov_b32_e32 v132, 17
.LBB116_375:
	s_or_b32 exec_lo, exec_lo, s0
	s_delay_alu instid0(SALU_CYCLE_1)
	s_mov_b32 s0, exec_lo
	s_wait_storecnt_dscnt 0x0
	s_barrier_signal -1
	s_barrier_wait -1
	v_cmpx_lt_i32_e32 17, v132
	s_cbranch_execz .LBB116_377
; %bb.376:
	v_pk_mul_f32 v[134:135], v[126:127], v[42:43] op_sel:[1,1] op_sel_hi:[0,1]
	s_delay_alu instid0(VALU_DEP_1)
	v_pk_fma_f32 v[124:125], v[126:127], v[42:43], v[134:135] op_sel_hi:[1,0,1] neg_lo:[0,0,1] neg_hi:[0,0,1]
	v_pk_fma_f32 v[126:127], v[126:127], v[42:43], v[134:135] op_sel_hi:[1,0,1]
	ds_load_2addr_b64 v[134:137], v128 offset0:18 offset1:19
	v_dual_mov_b32 v42, v124 :: v_dual_mov_b32 v43, v127
	s_wait_dscnt 0x0
	v_pk_mul_f32 v[138:139], v[134:135], v[126:127] op_sel:[0,1]
	s_delay_alu instid0(VALU_DEP_1) | instskip(SKIP_1) | instid1(VALU_DEP_1)
	v_pk_fma_f32 v[140:141], v[134:135], v[124:125], v[138:139] op_sel:[0,0,1] op_sel_hi:[1,1,0] neg_lo:[0,0,1] neg_hi:[0,0,1]
	v_pk_fma_f32 v[134:135], v[134:135], v[124:125], v[138:139] op_sel:[0,0,1] op_sel_hi:[1,0,0]
	v_mov_b32_e32 v141, v135
	v_pk_mul_f32 v[134:135], v[136:137], v[126:127] op_sel:[0,1]
	s_delay_alu instid0(VALU_DEP_1) | instskip(SKIP_1) | instid1(VALU_DEP_1)
	v_pk_fma_f32 v[138:139], v[136:137], v[124:125], v[134:135] op_sel:[0,0,1] op_sel_hi:[1,1,0] neg_lo:[0,0,1] neg_hi:[0,0,1]
	v_pk_fma_f32 v[134:135], v[136:137], v[124:125], v[134:135] op_sel:[0,0,1] op_sel_hi:[1,0,0]
	v_mov_b32_e32 v139, v135
	ds_load_2addr_b64 v[134:137], v128 offset0:20 offset1:21
	v_pk_add_f32 v[20:21], v[20:21], v[140:141] neg_lo:[0,1] neg_hi:[0,1]
	v_pk_add_f32 v[18:19], v[18:19], v[138:139] neg_lo:[0,1] neg_hi:[0,1]
	s_wait_dscnt 0x0
	v_pk_mul_f32 v[138:139], v[134:135], v[126:127] op_sel:[0,1]
	s_delay_alu instid0(VALU_DEP_1) | instskip(SKIP_2) | instid1(VALU_DEP_2)
	v_pk_fma_f32 v[140:141], v[134:135], v[124:125], v[138:139] op_sel:[0,0,1] op_sel_hi:[1,1,0] neg_lo:[0,0,1] neg_hi:[0,0,1]
	v_pk_fma_f32 v[134:135], v[134:135], v[124:125], v[138:139] op_sel:[0,0,1] op_sel_hi:[1,0,0]
	v_dual_mul_f32 v138, v137, v127 :: v_dual_mov_b32 v134, v137
	v_dual_mov_b32 v141, v135 :: v_dual_mov_b32 v135, v136
	s_delay_alu instid0(VALU_DEP_2) | instskip(SKIP_1) | instid1(VALU_DEP_3)
	v_pk_fma_f32 v[138:139], v[136:137], v[42:43], v[138:139] op_sel_hi:[1,1,0] neg_lo:[0,0,1] neg_hi:[0,0,1]
	v_mul_f32_e32 v136, v137, v124
	v_pk_add_f32 v[52:53], v[52:53], v[140:141] neg_lo:[0,1] neg_hi:[0,1]
	s_delay_alu instid0(VALU_DEP_2) | instskip(NEXT) | instid1(VALU_DEP_1)
	v_pk_fma_f32 v[134:135], v[134:135], v[42:43], v[136:137] op_sel_hi:[1,1,0]
	v_mov_b32_e32 v139, v135
	ds_load_2addr_b64 v[134:137], v128 offset0:22 offset1:23
	v_pk_add_f32 v[50:51], v[50:51], v[138:139] neg_lo:[0,1] neg_hi:[0,1]
	s_wait_dscnt 0x0
	v_pk_mul_f32 v[138:139], v[134:135], v[126:127] op_sel:[0,1]
	s_delay_alu instid0(VALU_DEP_1) | instskip(SKIP_1) | instid1(VALU_DEP_1)
	v_pk_fma_f32 v[140:141], v[134:135], v[124:125], v[138:139] op_sel:[0,0,1] op_sel_hi:[1,1,0] neg_lo:[0,0,1] neg_hi:[0,0,1]
	v_pk_fma_f32 v[134:135], v[134:135], v[124:125], v[138:139] op_sel:[0,0,1] op_sel_hi:[1,0,0]
	v_mov_b32_e32 v141, v135
	v_pk_mul_f32 v[134:135], v[136:137], v[126:127] op_sel:[0,1]
	s_delay_alu instid0(VALU_DEP_1) | instskip(SKIP_1) | instid1(VALU_DEP_1)
	v_pk_fma_f32 v[138:139], v[136:137], v[124:125], v[134:135] op_sel:[0,0,1] op_sel_hi:[1,1,0] neg_lo:[0,0,1] neg_hi:[0,0,1]
	v_pk_fma_f32 v[134:135], v[136:137], v[124:125], v[134:135] op_sel:[0,0,1] op_sel_hi:[1,0,0]
	v_mov_b32_e32 v139, v135
	ds_load_2addr_b64 v[134:137], v128 offset0:24 offset1:25
	v_pk_add_f32 v[28:29], v[28:29], v[140:141] neg_lo:[0,1] neg_hi:[0,1]
	v_pk_add_f32 v[26:27], v[26:27], v[138:139] neg_lo:[0,1] neg_hi:[0,1]
	s_wait_dscnt 0x0
	v_pk_mul_f32 v[138:139], v[134:135], v[126:127] op_sel:[0,1]
	s_delay_alu instid0(VALU_DEP_1) | instskip(SKIP_1) | instid1(VALU_DEP_1)
	v_pk_fma_f32 v[140:141], v[134:135], v[124:125], v[138:139] op_sel:[0,0,1] op_sel_hi:[1,1,0] neg_lo:[0,0,1] neg_hi:[0,0,1]
	v_pk_fma_f32 v[134:135], v[134:135], v[124:125], v[138:139] op_sel:[0,0,1] op_sel_hi:[1,0,0]
	v_mov_b32_e32 v141, v135
	v_pk_mul_f32 v[134:135], v[136:137], v[126:127] op_sel:[0,1]
	s_delay_alu instid0(VALU_DEP_1) | instskip(SKIP_1) | instid1(VALU_DEP_1)
	v_pk_fma_f32 v[138:139], v[136:137], v[124:125], v[134:135] op_sel:[0,0,1] op_sel_hi:[1,1,0] neg_lo:[0,0,1] neg_hi:[0,0,1]
	v_pk_fma_f32 v[134:135], v[136:137], v[124:125], v[134:135] op_sel:[0,0,1] op_sel_hi:[1,0,0]
	v_mov_b32_e32 v139, v135
	ds_load_2addr_b64 v[134:137], v128 offset0:26 offset1:27
	v_pk_add_f32 v[60:61], v[60:61], v[140:141] neg_lo:[0,1] neg_hi:[0,1]
	v_pk_add_f32 v[58:59], v[58:59], v[138:139] neg_lo:[0,1] neg_hi:[0,1]
	s_wait_dscnt 0x0
	v_dual_mul_f32 v138, v135, v127 :: v_dual_mul_f32 v140, v135, v124
	s_delay_alu instid0(VALU_DEP_1) | instskip(NEXT) | instid1(VALU_DEP_2)
	v_pk_fma_f32 v[138:139], v[134:135], v[42:43], v[138:139] op_sel_hi:[1,1,0] neg_lo:[0,0,1] neg_hi:[0,0,1]
	v_pk_fma_f32 v[134:135], v[134:135], v[42:43], v[140:141] op_sel:[1,0,0] op_sel_hi:[0,1,0]
	s_delay_alu instid0(VALU_DEP_1) | instskip(SKIP_1) | instid1(VALU_DEP_2)
	v_mov_b32_e32 v139, v135
	v_pk_mul_f32 v[134:135], v[136:137], v[126:127] op_sel:[0,1]
	v_pk_add_f32 v[38:39], v[38:39], v[138:139] neg_lo:[0,1] neg_hi:[0,1]
	s_delay_alu instid0(VALU_DEP_2) | instskip(SKIP_1) | instid1(VALU_DEP_1)
	v_pk_fma_f32 v[138:139], v[136:137], v[124:125], v[134:135] op_sel:[0,0,1] op_sel_hi:[1,1,0] neg_lo:[0,0,1] neg_hi:[0,0,1]
	v_pk_fma_f32 v[134:135], v[136:137], v[124:125], v[134:135] op_sel:[0,0,1] op_sel_hi:[1,0,0]
	v_mov_b32_e32 v139, v135
	ds_load_2addr_b64 v[134:137], v128 offset0:28 offset1:29
	v_pk_add_f32 v[36:37], v[36:37], v[138:139] neg_lo:[0,1] neg_hi:[0,1]
	s_wait_dscnt 0x0
	v_pk_mul_f32 v[138:139], v[134:135], v[126:127] op_sel:[0,1]
	s_delay_alu instid0(VALU_DEP_1) | instskip(SKIP_1) | instid1(VALU_DEP_1)
	v_pk_fma_f32 v[140:141], v[134:135], v[124:125], v[138:139] op_sel:[0,0,1] op_sel_hi:[1,1,0] neg_lo:[0,0,1] neg_hi:[0,0,1]
	v_pk_fma_f32 v[134:135], v[134:135], v[124:125], v[138:139] op_sel:[0,0,1] op_sel_hi:[1,0,0]
	v_mov_b32_e32 v141, v135
	v_pk_mul_f32 v[134:135], v[136:137], v[126:127] op_sel:[0,1]
	s_delay_alu instid0(VALU_DEP_2) | instskip(NEXT) | instid1(VALU_DEP_2)
	v_pk_add_f32 v[68:69], v[68:69], v[140:141] neg_lo:[0,1] neg_hi:[0,1]
	v_pk_fma_f32 v[138:139], v[136:137], v[124:125], v[134:135] op_sel:[0,0,1] op_sel_hi:[1,1,0] neg_lo:[0,0,1] neg_hi:[0,0,1]
	v_pk_fma_f32 v[134:135], v[136:137], v[124:125], v[134:135] op_sel:[0,0,1] op_sel_hi:[1,0,0]
	s_delay_alu instid0(VALU_DEP_1) | instskip(SKIP_4) | instid1(VALU_DEP_1)
	v_mov_b32_e32 v139, v135
	ds_load_2addr_b64 v[134:137], v128 offset0:30 offset1:31
	v_pk_add_f32 v[66:67], v[66:67], v[138:139] neg_lo:[0,1] neg_hi:[0,1]
	s_wait_dscnt 0x0
	v_pk_mul_f32 v[138:139], v[134:135], v[126:127] op_sel:[0,1]
	v_pk_fma_f32 v[140:141], v[134:135], v[124:125], v[138:139] op_sel:[0,0,1] op_sel_hi:[1,1,0] neg_lo:[0,0,1] neg_hi:[0,0,1]
	v_pk_fma_f32 v[134:135], v[134:135], v[124:125], v[138:139] op_sel:[0,0,1] op_sel_hi:[1,0,0]
	v_dual_mul_f32 v138, v137, v127 :: v_dual_mov_b32 v134, v137
	s_delay_alu instid0(VALU_DEP_2) | instskip(NEXT) | instid1(VALU_DEP_2)
	v_dual_mov_b32 v141, v135 :: v_dual_mov_b32 v135, v136
	v_pk_fma_f32 v[138:139], v[136:137], v[42:43], v[138:139] op_sel_hi:[1,1,0] neg_lo:[0,0,1] neg_hi:[0,0,1]
	v_mul_f32_e32 v136, v137, v124
	s_delay_alu instid0(VALU_DEP_3) | instskip(NEXT) | instid1(VALU_DEP_2)
	v_pk_add_f32 v[48:49], v[48:49], v[140:141] neg_lo:[0,1] neg_hi:[0,1]
	v_pk_fma_f32 v[134:135], v[134:135], v[42:43], v[136:137] op_sel_hi:[1,1,0]
	s_delay_alu instid0(VALU_DEP_1) | instskip(SKIP_4) | instid1(VALU_DEP_1)
	v_mov_b32_e32 v139, v135
	ds_load_2addr_b64 v[134:137], v128 offset0:32 offset1:33
	v_pk_add_f32 v[46:47], v[46:47], v[138:139] neg_lo:[0,1] neg_hi:[0,1]
	s_wait_dscnt 0x0
	v_pk_mul_f32 v[138:139], v[134:135], v[126:127] op_sel:[0,1]
	v_pk_fma_f32 v[140:141], v[134:135], v[124:125], v[138:139] op_sel:[0,0,1] op_sel_hi:[1,1,0] neg_lo:[0,0,1] neg_hi:[0,0,1]
	v_pk_fma_f32 v[134:135], v[134:135], v[124:125], v[138:139] op_sel:[0,0,1] op_sel_hi:[1,0,0]
	s_delay_alu instid0(VALU_DEP_1) | instskip(SKIP_1) | instid1(VALU_DEP_1)
	v_mov_b32_e32 v141, v135
	v_pk_mul_f32 v[134:135], v[136:137], v[126:127] op_sel:[0,1]
	v_pk_fma_f32 v[138:139], v[136:137], v[124:125], v[134:135] op_sel:[0,0,1] op_sel_hi:[1,1,0] neg_lo:[0,0,1] neg_hi:[0,0,1]
	v_pk_fma_f32 v[134:135], v[136:137], v[124:125], v[134:135] op_sel:[0,0,1] op_sel_hi:[1,0,0]
	s_delay_alu instid0(VALU_DEP_1)
	v_mov_b32_e32 v139, v135
	ds_load_2addr_b64 v[134:137], v128 offset0:34 offset1:35
	v_pk_add_f32 v[78:79], v[78:79], v[140:141] neg_lo:[0,1] neg_hi:[0,1]
	v_pk_add_f32 v[76:77], v[76:77], v[138:139] neg_lo:[0,1] neg_hi:[0,1]
	s_wait_dscnt 0x0
	v_pk_mul_f32 v[138:139], v[134:135], v[126:127] op_sel:[0,1]
	s_delay_alu instid0(VALU_DEP_1) | instskip(SKIP_1) | instid1(VALU_DEP_1)
	v_pk_fma_f32 v[140:141], v[134:135], v[124:125], v[138:139] op_sel:[0,0,1] op_sel_hi:[1,1,0] neg_lo:[0,0,1] neg_hi:[0,0,1]
	v_pk_fma_f32 v[134:135], v[134:135], v[124:125], v[138:139] op_sel:[0,0,1] op_sel_hi:[1,0,0]
	v_mov_b32_e32 v141, v135
	v_pk_mul_f32 v[134:135], v[136:137], v[126:127] op_sel:[0,1]
	s_delay_alu instid0(VALU_DEP_1) | instskip(SKIP_1) | instid1(VALU_DEP_1)
	v_pk_fma_f32 v[138:139], v[136:137], v[124:125], v[134:135] op_sel:[0,0,1] op_sel_hi:[1,1,0] neg_lo:[0,0,1] neg_hi:[0,0,1]
	v_pk_fma_f32 v[134:135], v[136:137], v[124:125], v[134:135] op_sel:[0,0,1] op_sel_hi:[1,0,0]
	v_mov_b32_e32 v139, v135
	ds_load_2addr_b64 v[134:137], v128 offset0:36 offset1:37
	v_pk_add_f32 v[56:57], v[56:57], v[140:141] neg_lo:[0,1] neg_hi:[0,1]
	v_pk_add_f32 v[54:55], v[54:55], v[138:139] neg_lo:[0,1] neg_hi:[0,1]
	s_wait_dscnt 0x0
	v_dual_mul_f32 v138, v135, v127 :: v_dual_mul_f32 v140, v135, v124
	s_delay_alu instid0(VALU_DEP_1) | instskip(NEXT) | instid1(VALU_DEP_2)
	v_pk_fma_f32 v[138:139], v[134:135], v[42:43], v[138:139] op_sel_hi:[1,1,0] neg_lo:[0,0,1] neg_hi:[0,0,1]
	v_pk_fma_f32 v[134:135], v[134:135], v[42:43], v[140:141] op_sel:[1,0,0] op_sel_hi:[0,1,0]
	s_delay_alu instid0(VALU_DEP_1) | instskip(SKIP_1) | instid1(VALU_DEP_2)
	v_mov_b32_e32 v139, v135
	v_pk_mul_f32 v[134:135], v[136:137], v[126:127] op_sel:[0,1]
	v_pk_add_f32 v[88:89], v[88:89], v[138:139] neg_lo:[0,1] neg_hi:[0,1]
	s_delay_alu instid0(VALU_DEP_2) | instskip(SKIP_1) | instid1(VALU_DEP_1)
	v_pk_fma_f32 v[138:139], v[136:137], v[124:125], v[134:135] op_sel:[0,0,1] op_sel_hi:[1,1,0] neg_lo:[0,0,1] neg_hi:[0,0,1]
	v_pk_fma_f32 v[134:135], v[136:137], v[124:125], v[134:135] op_sel:[0,0,1] op_sel_hi:[1,0,0]
	v_mov_b32_e32 v139, v135
	ds_load_2addr_b64 v[134:137], v128 offset0:38 offset1:39
	v_pk_add_f32 v[86:87], v[86:87], v[138:139] neg_lo:[0,1] neg_hi:[0,1]
	s_wait_dscnt 0x0
	v_pk_mul_f32 v[138:139], v[134:135], v[126:127] op_sel:[0,1]
	s_delay_alu instid0(VALU_DEP_1) | instskip(SKIP_1) | instid1(VALU_DEP_1)
	v_pk_fma_f32 v[140:141], v[134:135], v[124:125], v[138:139] op_sel:[0,0,1] op_sel_hi:[1,1,0] neg_lo:[0,0,1] neg_hi:[0,0,1]
	v_pk_fma_f32 v[134:135], v[134:135], v[124:125], v[138:139] op_sel:[0,0,1] op_sel_hi:[1,0,0]
	v_mov_b32_e32 v141, v135
	v_pk_mul_f32 v[134:135], v[136:137], v[126:127] op_sel:[0,1]
	s_delay_alu instid0(VALU_DEP_2) | instskip(NEXT) | instid1(VALU_DEP_2)
	v_pk_add_f32 v[64:65], v[64:65], v[140:141] neg_lo:[0,1] neg_hi:[0,1]
	v_pk_fma_f32 v[138:139], v[136:137], v[124:125], v[134:135] op_sel:[0,0,1] op_sel_hi:[1,1,0] neg_lo:[0,0,1] neg_hi:[0,0,1]
	v_pk_fma_f32 v[134:135], v[136:137], v[124:125], v[134:135] op_sel:[0,0,1] op_sel_hi:[1,0,0]
	s_delay_alu instid0(VALU_DEP_1) | instskip(SKIP_4) | instid1(VALU_DEP_1)
	v_mov_b32_e32 v139, v135
	ds_load_2addr_b64 v[134:137], v128 offset0:40 offset1:41
	v_pk_add_f32 v[62:63], v[62:63], v[138:139] neg_lo:[0,1] neg_hi:[0,1]
	s_wait_dscnt 0x0
	v_pk_mul_f32 v[138:139], v[134:135], v[126:127] op_sel:[0,1]
	v_pk_fma_f32 v[140:141], v[134:135], v[124:125], v[138:139] op_sel:[0,0,1] op_sel_hi:[1,1,0] neg_lo:[0,0,1] neg_hi:[0,0,1]
	v_pk_fma_f32 v[134:135], v[134:135], v[124:125], v[138:139] op_sel:[0,0,1] op_sel_hi:[1,0,0]
	v_dual_mul_f32 v138, v137, v127 :: v_dual_mov_b32 v134, v137
	s_delay_alu instid0(VALU_DEP_2) | instskip(NEXT) | instid1(VALU_DEP_2)
	v_dual_mov_b32 v141, v135 :: v_dual_mov_b32 v135, v136
	v_pk_fma_f32 v[138:139], v[136:137], v[42:43], v[138:139] op_sel_hi:[1,1,0] neg_lo:[0,0,1] neg_hi:[0,0,1]
	v_mul_f32_e32 v136, v137, v124
	s_delay_alu instid0(VALU_DEP_3) | instskip(NEXT) | instid1(VALU_DEP_2)
	v_pk_add_f32 v[102:103], v[102:103], v[140:141] neg_lo:[0,1] neg_hi:[0,1]
	v_pk_fma_f32 v[134:135], v[134:135], v[42:43], v[136:137] op_sel_hi:[1,1,0]
	s_delay_alu instid0(VALU_DEP_1) | instskip(SKIP_4) | instid1(VALU_DEP_1)
	v_mov_b32_e32 v139, v135
	ds_load_2addr_b64 v[134:137], v128 offset0:42 offset1:43
	v_pk_add_f32 v[100:101], v[100:101], v[138:139] neg_lo:[0,1] neg_hi:[0,1]
	s_wait_dscnt 0x0
	v_pk_mul_f32 v[138:139], v[134:135], v[126:127] op_sel:[0,1]
	v_pk_fma_f32 v[140:141], v[134:135], v[124:125], v[138:139] op_sel:[0,0,1] op_sel_hi:[1,1,0] neg_lo:[0,0,1] neg_hi:[0,0,1]
	v_pk_fma_f32 v[134:135], v[134:135], v[124:125], v[138:139] op_sel:[0,0,1] op_sel_hi:[1,0,0]
	s_delay_alu instid0(VALU_DEP_1) | instskip(SKIP_1) | instid1(VALU_DEP_1)
	v_mov_b32_e32 v141, v135
	v_pk_mul_f32 v[134:135], v[136:137], v[126:127] op_sel:[0,1]
	v_pk_fma_f32 v[138:139], v[136:137], v[124:125], v[134:135] op_sel:[0,0,1] op_sel_hi:[1,1,0] neg_lo:[0,0,1] neg_hi:[0,0,1]
	v_pk_fma_f32 v[134:135], v[136:137], v[124:125], v[134:135] op_sel:[0,0,1] op_sel_hi:[1,0,0]
	s_delay_alu instid0(VALU_DEP_1)
	v_mov_b32_e32 v139, v135
	ds_load_2addr_b64 v[134:137], v128 offset0:44 offset1:45
	v_pk_add_f32 v[72:73], v[72:73], v[140:141] neg_lo:[0,1] neg_hi:[0,1]
	v_pk_add_f32 v[70:71], v[70:71], v[138:139] neg_lo:[0,1] neg_hi:[0,1]
	s_wait_dscnt 0x0
	v_pk_mul_f32 v[138:139], v[134:135], v[126:127] op_sel:[0,1]
	s_delay_alu instid0(VALU_DEP_1) | instskip(SKIP_1) | instid1(VALU_DEP_1)
	v_pk_fma_f32 v[140:141], v[134:135], v[124:125], v[138:139] op_sel:[0,0,1] op_sel_hi:[1,1,0] neg_lo:[0,0,1] neg_hi:[0,0,1]
	v_pk_fma_f32 v[134:135], v[134:135], v[124:125], v[138:139] op_sel:[0,0,1] op_sel_hi:[1,0,0]
	v_mov_b32_e32 v141, v135
	v_pk_mul_f32 v[134:135], v[136:137], v[126:127] op_sel:[0,1]
	s_delay_alu instid0(VALU_DEP_1) | instskip(SKIP_1) | instid1(VALU_DEP_1)
	v_pk_fma_f32 v[138:139], v[136:137], v[124:125], v[134:135] op_sel:[0,0,1] op_sel_hi:[1,1,0] neg_lo:[0,0,1] neg_hi:[0,0,1]
	v_pk_fma_f32 v[134:135], v[136:137], v[124:125], v[134:135] op_sel:[0,0,1] op_sel_hi:[1,0,0]
	v_mov_b32_e32 v139, v135
	ds_load_2addr_b64 v[134:137], v128 offset0:46 offset1:47
	v_pk_add_f32 v[110:111], v[110:111], v[140:141] neg_lo:[0,1] neg_hi:[0,1]
	v_pk_add_f32 v[108:109], v[108:109], v[138:139] neg_lo:[0,1] neg_hi:[0,1]
	s_wait_dscnt 0x0
	v_dual_mul_f32 v138, v135, v127 :: v_dual_mul_f32 v140, v135, v124
	s_delay_alu instid0(VALU_DEP_1) | instskip(NEXT) | instid1(VALU_DEP_2)
	v_pk_fma_f32 v[138:139], v[134:135], v[42:43], v[138:139] op_sel_hi:[1,1,0] neg_lo:[0,0,1] neg_hi:[0,0,1]
	v_pk_fma_f32 v[134:135], v[134:135], v[42:43], v[140:141] op_sel:[1,0,0] op_sel_hi:[0,1,0]
	s_delay_alu instid0(VALU_DEP_1) | instskip(SKIP_1) | instid1(VALU_DEP_2)
	v_mov_b32_e32 v139, v135
	v_pk_mul_f32 v[134:135], v[136:137], v[126:127] op_sel:[0,1]
	v_pk_add_f32 v[82:83], v[82:83], v[138:139] neg_lo:[0,1] neg_hi:[0,1]
	s_delay_alu instid0(VALU_DEP_2) | instskip(SKIP_1) | instid1(VALU_DEP_1)
	v_pk_fma_f32 v[138:139], v[136:137], v[124:125], v[134:135] op_sel:[0,0,1] op_sel_hi:[1,1,0] neg_lo:[0,0,1] neg_hi:[0,0,1]
	v_pk_fma_f32 v[134:135], v[136:137], v[124:125], v[134:135] op_sel:[0,0,1] op_sel_hi:[1,0,0]
	v_mov_b32_e32 v139, v135
	ds_load_2addr_b64 v[134:137], v128 offset0:48 offset1:49
	v_pk_add_f32 v[80:81], v[80:81], v[138:139] neg_lo:[0,1] neg_hi:[0,1]
	s_wait_dscnt 0x0
	v_pk_mul_f32 v[138:139], v[134:135], v[126:127] op_sel:[0,1]
	s_delay_alu instid0(VALU_DEP_1) | instskip(SKIP_1) | instid1(VALU_DEP_1)
	v_pk_fma_f32 v[140:141], v[134:135], v[124:125], v[138:139] op_sel:[0,0,1] op_sel_hi:[1,1,0] neg_lo:[0,0,1] neg_hi:[0,0,1]
	v_pk_fma_f32 v[134:135], v[134:135], v[124:125], v[138:139] op_sel:[0,0,1] op_sel_hi:[1,0,0]
	v_mov_b32_e32 v141, v135
	v_pk_mul_f32 v[134:135], v[136:137], v[126:127] op_sel:[0,1]
	s_delay_alu instid0(VALU_DEP_2) | instskip(NEXT) | instid1(VALU_DEP_2)
	v_pk_add_f32 v[120:121], v[120:121], v[140:141] neg_lo:[0,1] neg_hi:[0,1]
	v_pk_fma_f32 v[138:139], v[136:137], v[124:125], v[134:135] op_sel:[0,0,1] op_sel_hi:[1,1,0] neg_lo:[0,0,1] neg_hi:[0,0,1]
	v_pk_fma_f32 v[134:135], v[136:137], v[124:125], v[134:135] op_sel:[0,0,1] op_sel_hi:[1,0,0]
	s_delay_alu instid0(VALU_DEP_1) | instskip(SKIP_4) | instid1(VALU_DEP_1)
	v_mov_b32_e32 v139, v135
	ds_load_2addr_b64 v[134:137], v128 offset0:50 offset1:51
	v_pk_add_f32 v[118:119], v[118:119], v[138:139] neg_lo:[0,1] neg_hi:[0,1]
	s_wait_dscnt 0x0
	v_pk_mul_f32 v[138:139], v[134:135], v[126:127] op_sel:[0,1]
	v_pk_fma_f32 v[140:141], v[134:135], v[124:125], v[138:139] op_sel:[0,0,1] op_sel_hi:[1,1,0] neg_lo:[0,0,1] neg_hi:[0,0,1]
	v_pk_fma_f32 v[134:135], v[134:135], v[124:125], v[138:139] op_sel:[0,0,1] op_sel_hi:[1,0,0]
	v_dual_mul_f32 v138, v137, v127 :: v_dual_mov_b32 v134, v137
	s_delay_alu instid0(VALU_DEP_2) | instskip(NEXT) | instid1(VALU_DEP_2)
	v_dual_mov_b32 v141, v135 :: v_dual_mov_b32 v135, v136
	v_pk_fma_f32 v[138:139], v[136:137], v[42:43], v[138:139] op_sel_hi:[1,1,0] neg_lo:[0,0,1] neg_hi:[0,0,1]
	v_mul_f32_e32 v136, v137, v124
	s_delay_alu instid0(VALU_DEP_3) | instskip(NEXT) | instid1(VALU_DEP_2)
	v_pk_add_f32 v[94:95], v[94:95], v[140:141] neg_lo:[0,1] neg_hi:[0,1]
	v_pk_fma_f32 v[134:135], v[134:135], v[42:43], v[136:137] op_sel_hi:[1,1,0]
	s_delay_alu instid0(VALU_DEP_1) | instskip(SKIP_4) | instid1(VALU_DEP_1)
	v_mov_b32_e32 v139, v135
	ds_load_2addr_b64 v[134:137], v128 offset0:52 offset1:53
	v_pk_add_f32 v[96:97], v[96:97], v[138:139] neg_lo:[0,1] neg_hi:[0,1]
	s_wait_dscnt 0x0
	v_pk_mul_f32 v[138:139], v[134:135], v[126:127] op_sel:[0,1]
	v_pk_fma_f32 v[140:141], v[134:135], v[124:125], v[138:139] op_sel:[0,0,1] op_sel_hi:[1,1,0] neg_lo:[0,0,1] neg_hi:[0,0,1]
	v_pk_fma_f32 v[134:135], v[134:135], v[124:125], v[138:139] op_sel:[0,0,1] op_sel_hi:[1,0,0]
	s_delay_alu instid0(VALU_DEP_1) | instskip(SKIP_1) | instid1(VALU_DEP_1)
	v_mov_b32_e32 v141, v135
	v_pk_mul_f32 v[134:135], v[136:137], v[126:127] op_sel:[0,1]
	v_pk_fma_f32 v[138:139], v[136:137], v[124:125], v[134:135] op_sel:[0,0,1] op_sel_hi:[1,1,0] neg_lo:[0,0,1] neg_hi:[0,0,1]
	v_pk_fma_f32 v[134:135], v[136:137], v[124:125], v[134:135] op_sel:[0,0,1] op_sel_hi:[1,0,0]
	s_delay_alu instid0(VALU_DEP_1)
	v_mov_b32_e32 v139, v135
	ds_load_2addr_b64 v[134:137], v128 offset0:54 offset1:55
	v_pk_add_f32 v[114:115], v[114:115], v[140:141] neg_lo:[0,1] neg_hi:[0,1]
	v_pk_add_f32 v[112:113], v[112:113], v[138:139] neg_lo:[0,1] neg_hi:[0,1]
	s_wait_dscnt 0x0
	v_pk_mul_f32 v[138:139], v[134:135], v[126:127] op_sel:[0,1]
	s_delay_alu instid0(VALU_DEP_1) | instskip(SKIP_1) | instid1(VALU_DEP_1)
	v_pk_fma_f32 v[140:141], v[134:135], v[124:125], v[138:139] op_sel:[0,0,1] op_sel_hi:[1,1,0] neg_lo:[0,0,1] neg_hi:[0,0,1]
	v_pk_fma_f32 v[134:135], v[134:135], v[124:125], v[138:139] op_sel:[0,0,1] op_sel_hi:[1,0,0]
	v_mov_b32_e32 v141, v135
	v_pk_mul_f32 v[134:135], v[136:137], v[126:127] op_sel:[0,1]
	s_delay_alu instid0(VALU_DEP_1) | instskip(SKIP_1) | instid1(VALU_DEP_1)
	v_pk_fma_f32 v[138:139], v[136:137], v[124:125], v[134:135] op_sel:[0,0,1] op_sel_hi:[1,1,0] neg_lo:[0,0,1] neg_hi:[0,0,1]
	v_pk_fma_f32 v[134:135], v[136:137], v[124:125], v[134:135] op_sel:[0,0,1] op_sel_hi:[1,0,0]
	v_mov_b32_e32 v139, v135
	ds_load_2addr_b64 v[134:137], v128 offset0:56 offset1:57
	v_pk_add_f32 v[92:93], v[92:93], v[140:141] neg_lo:[0,1] neg_hi:[0,1]
	v_pk_add_f32 v[90:91], v[90:91], v[138:139] neg_lo:[0,1] neg_hi:[0,1]
	s_wait_dscnt 0x0
	v_dual_mul_f32 v138, v135, v127 :: v_dual_mul_f32 v140, v135, v124
	s_delay_alu instid0(VALU_DEP_1) | instskip(NEXT) | instid1(VALU_DEP_2)
	v_pk_fma_f32 v[138:139], v[134:135], v[42:43], v[138:139] op_sel_hi:[1,1,0] neg_lo:[0,0,1] neg_hi:[0,0,1]
	v_pk_fma_f32 v[134:135], v[134:135], v[42:43], v[140:141] op_sel:[1,0,0] op_sel_hi:[0,1,0]
	s_delay_alu instid0(VALU_DEP_1) | instskip(SKIP_1) | instid1(VALU_DEP_2)
	v_mov_b32_e32 v139, v135
	v_pk_mul_f32 v[134:135], v[136:137], v[126:127] op_sel:[0,1]
	v_pk_add_f32 v[104:105], v[104:105], v[138:139] neg_lo:[0,1] neg_hi:[0,1]
	s_delay_alu instid0(VALU_DEP_2) | instskip(SKIP_1) | instid1(VALU_DEP_1)
	v_pk_fma_f32 v[138:139], v[136:137], v[124:125], v[134:135] op_sel:[0,0,1] op_sel_hi:[1,1,0] neg_lo:[0,0,1] neg_hi:[0,0,1]
	v_pk_fma_f32 v[134:135], v[136:137], v[124:125], v[134:135] op_sel:[0,0,1] op_sel_hi:[1,0,0]
	v_mov_b32_e32 v139, v135
	ds_load_b64 v[134:135], v128 offset:464
	v_pk_add_f32 v[98:99], v[98:99], v[138:139] neg_lo:[0,1] neg_hi:[0,1]
	s_wait_dscnt 0x0
	v_pk_mul_f32 v[126:127], v[134:135], v[126:127] op_sel:[0,1]
	s_delay_alu instid0(VALU_DEP_1) | instskip(SKIP_1) | instid1(VALU_DEP_1)
	v_pk_fma_f32 v[136:137], v[134:135], v[124:125], v[126:127] op_sel:[0,0,1] op_sel_hi:[1,1,0] neg_lo:[0,0,1] neg_hi:[0,0,1]
	v_pk_fma_f32 v[124:125], v[134:135], v[124:125], v[126:127] op_sel:[0,0,1] op_sel_hi:[1,0,0]
	v_mov_b32_e32 v137, v125
	s_delay_alu instid0(VALU_DEP_1)
	v_pk_add_f32 v[122:123], v[122:123], v[136:137] neg_lo:[0,1] neg_hi:[0,1]
.LBB116_377:
	s_or_b32 exec_lo, exec_lo, s0
	v_lshl_add_u32 v124, v132, 3, v128
	s_barrier_signal -1
	s_barrier_wait -1
	ds_store_b64 v124, v[20:21]
	s_wait_dscnt 0x0
	s_barrier_signal -1
	s_barrier_wait -1
	ds_load_b64 v[126:127], v128 offset:144
	v_mov_b32_e32 v124, 18
	s_cmp_lt_i32 s18, 20
	s_cbranch_scc1 .LBB116_380
; %bb.378:
	v_add3_u32 v125, v129, 0, 0x98
	v_mov_b32_e32 v124, 18
	s_mov_b32 s0, 19
.LBB116_379:                            ; =>This Inner Loop Header: Depth=1
	ds_load_b64 v[134:135], v125
	s_wait_dscnt 0x1
	v_cmp_gt_f32_e32 vcc_lo, 0, v126
	v_cndmask_b32_e64 v136, v126, -v126, vcc_lo
	v_cmp_gt_f32_e32 vcc_lo, 0, v127
	v_cndmask_b32_e64 v138, v127, -v127, vcc_lo
	s_wait_dscnt 0x0
	v_cmp_gt_f32_e32 vcc_lo, 0, v134
	v_cndmask_b32_e64 v137, v134, -v134, vcc_lo
	v_cmp_gt_f32_e32 vcc_lo, 0, v135
	v_cndmask_b32_e64 v139, v135, -v135, vcc_lo
	s_delay_alu instid0(VALU_DEP_1) | instskip(NEXT) | instid1(VALU_DEP_1)
	v_pk_add_f32 v[136:137], v[136:137], v[138:139]
	v_cmp_lt_f32_e32 vcc_lo, v136, v137
	v_dual_add_nc_u32 v125, 8, v125 :: v_dual_cndmask_b32 v127, v127, v135, vcc_lo
	v_cndmask_b32_e32 v126, v126, v134, vcc_lo
	v_cndmask_b32_e64 v124, v124, s0, vcc_lo
	s_add_co_i32 s0, s0, 1
	s_delay_alu instid0(SALU_CYCLE_1)
	s_cmp_lg_u32 s18, s0
	s_cbranch_scc1 .LBB116_379
.LBB116_380:
	s_wait_dscnt 0x0
	v_cmp_eq_f32_e32 vcc_lo, 0, v126
	v_cmp_eq_f32_e64 s0, 0, v127
	s_and_b32 s0, vcc_lo, s0
	s_delay_alu instid0(SALU_CYCLE_1) | instskip(NEXT) | instid1(SALU_CYCLE_1)
	s_and_saveexec_b32 s1, s0
	s_xor_b32 s0, exec_lo, s1
; %bb.381:
	v_cmp_ne_u32_e32 vcc_lo, 0, v130
	v_cndmask_b32_e32 v130, 19, v130, vcc_lo
; %bb.382:
	s_and_not1_saveexec_b32 s0, s0
	s_cbranch_execz .LBB116_388
; %bb.383:
	v_cmp_ngt_f32_e64 s1, |v126|, |v127|
	s_and_saveexec_b32 s12, s1
	s_delay_alu instid0(SALU_CYCLE_1)
	s_xor_b32 s1, exec_lo, s12
	s_cbranch_execz .LBB116_385
; %bb.384:
	v_div_scale_f32 v125, null, v127, v127, v126
	v_div_scale_f32 v135, vcc_lo, v126, v127, v126
	s_delay_alu instid0(VALU_DEP_2) | instskip(SKIP_1) | instid1(TRANS32_DEP_1)
	v_rcp_f32_e32 v133, v125
	v_nop
	v_fma_f32 v134, -v125, v133, 1.0
	s_delay_alu instid0(VALU_DEP_1) | instskip(NEXT) | instid1(VALU_DEP_1)
	v_fmac_f32_e32 v133, v134, v133
	v_mul_f32_e32 v134, v135, v133
	s_delay_alu instid0(VALU_DEP_1) | instskip(NEXT) | instid1(VALU_DEP_1)
	v_fma_f32 v136, -v125, v134, v135
	v_fmac_f32_e32 v134, v136, v133
	s_delay_alu instid0(VALU_DEP_1) | instskip(NEXT) | instid1(VALU_DEP_1)
	v_fma_f32 v125, -v125, v134, v135
	v_div_fmas_f32 v125, v125, v133, v134
	s_delay_alu instid0(VALU_DEP_1) | instskip(NEXT) | instid1(VALU_DEP_1)
	v_div_fixup_f32 v125, v125, v127, v126
	v_fmac_f32_e32 v127, v126, v125
	s_delay_alu instid0(VALU_DEP_1) | instskip(SKIP_1) | instid1(VALU_DEP_2)
	v_div_scale_f32 v126, null, v127, v127, 1.0
	v_div_scale_f32 v135, vcc_lo, 1.0, v127, 1.0
	v_rcp_f32_e32 v133, v126
	v_nop
	s_delay_alu instid0(TRANS32_DEP_1) | instskip(NEXT) | instid1(VALU_DEP_1)
	v_fma_f32 v134, -v126, v133, 1.0
	v_fmac_f32_e32 v133, v134, v133
	s_delay_alu instid0(VALU_DEP_1) | instskip(NEXT) | instid1(VALU_DEP_1)
	v_mul_f32_e32 v134, v135, v133
	v_fma_f32 v136, -v126, v134, v135
	s_delay_alu instid0(VALU_DEP_1) | instskip(NEXT) | instid1(VALU_DEP_1)
	v_fmac_f32_e32 v134, v136, v133
	v_fma_f32 v126, -v126, v134, v135
	s_delay_alu instid0(VALU_DEP_1) | instskip(NEXT) | instid1(VALU_DEP_1)
	v_div_fmas_f32 v126, v126, v133, v134
	v_div_fixup_f32 v127, v126, v127, 1.0
	s_delay_alu instid0(VALU_DEP_1)
	v_mul_f32_e32 v126, v125, v127
	v_xor_b32_e32 v127, 0x80000000, v127
.LBB116_385:
	s_and_not1_saveexec_b32 s1, s1
	s_cbranch_execz .LBB116_387
; %bb.386:
	s_delay_alu instid0(VALU_DEP_1) | instskip(SKIP_1) | instid1(VALU_DEP_2)
	v_div_scale_f32 v125, null, v126, v126, v127
	v_div_scale_f32 v135, vcc_lo, v127, v126, v127
	v_rcp_f32_e32 v133, v125
	v_nop
	s_delay_alu instid0(TRANS32_DEP_1) | instskip(NEXT) | instid1(VALU_DEP_1)
	v_fma_f32 v134, -v125, v133, 1.0
	v_fmac_f32_e32 v133, v134, v133
	s_delay_alu instid0(VALU_DEP_1) | instskip(NEXT) | instid1(VALU_DEP_1)
	v_mul_f32_e32 v134, v135, v133
	v_fma_f32 v136, -v125, v134, v135
	s_delay_alu instid0(VALU_DEP_1) | instskip(NEXT) | instid1(VALU_DEP_1)
	v_fmac_f32_e32 v134, v136, v133
	v_fma_f32 v125, -v125, v134, v135
	s_delay_alu instid0(VALU_DEP_1) | instskip(NEXT) | instid1(VALU_DEP_1)
	v_div_fmas_f32 v125, v125, v133, v134
	v_div_fixup_f32 v125, v125, v126, v127
	s_delay_alu instid0(VALU_DEP_1) | instskip(NEXT) | instid1(VALU_DEP_1)
	v_fmac_f32_e32 v126, v127, v125
	v_div_scale_f32 v127, null, v126, v126, 1.0
	s_delay_alu instid0(VALU_DEP_1) | instskip(SKIP_1) | instid1(TRANS32_DEP_1)
	v_rcp_f32_e32 v133, v127
	v_nop
	v_fma_f32 v134, -v127, v133, 1.0
	s_delay_alu instid0(VALU_DEP_1) | instskip(SKIP_1) | instid1(VALU_DEP_1)
	v_fmac_f32_e32 v133, v134, v133
	v_div_scale_f32 v134, vcc_lo, 1.0, v126, 1.0
	v_mul_f32_e32 v135, v134, v133
	s_delay_alu instid0(VALU_DEP_1) | instskip(NEXT) | instid1(VALU_DEP_1)
	v_fma_f32 v136, -v127, v135, v134
	v_fmac_f32_e32 v135, v136, v133
	s_delay_alu instid0(VALU_DEP_1) | instskip(NEXT) | instid1(VALU_DEP_1)
	v_fma_f32 v127, -v127, v135, v134
	v_div_fmas_f32 v127, v127, v133, v135
	s_delay_alu instid0(VALU_DEP_1) | instskip(NEXT) | instid1(VALU_DEP_1)
	v_div_fixup_f32 v126, v127, v126, 1.0
	v_mul_f32_e64 v127, v125, -v126
.LBB116_387:
	s_or_b32 exec_lo, exec_lo, s1
.LBB116_388:
	s_delay_alu instid0(SALU_CYCLE_1) | instskip(NEXT) | instid1(SALU_CYCLE_1)
	s_or_b32 exec_lo, exec_lo, s0
	s_mov_b32 s0, exec_lo
	v_cmpx_ne_u32_e64 v132, v124
	s_xor_b32 s0, exec_lo, s0
	s_cbranch_execz .LBB116_394
; %bb.389:
	s_mov_b32 s1, exec_lo
	v_cmpx_eq_u32_e32 18, v132
	s_cbranch_execz .LBB116_393
; %bb.390:
	v_cmp_ne_u32_e32 vcc_lo, 18, v124
	s_xor_b32 s12, s16, -1
	s_delay_alu instid0(SALU_CYCLE_1) | instskip(NEXT) | instid1(SALU_CYCLE_1)
	s_and_b32 s13, s12, vcc_lo
	s_and_saveexec_b32 s12, s13
	s_cbranch_execz .LBB116_392
; %bb.391:
	v_ashrrev_i32_e32 v125, 31, v124
	s_delay_alu instid0(VALU_DEP_1)
	v_lshl_add_u64 v[132:133], v[124:125], 2, v[4:5]
	s_clause 0x1
	global_load_b32 v125, v[132:133], off
	global_load_b32 v131, v[4:5], off offset:72
	s_wait_loadcnt 0x1
	global_store_b32 v[4:5], v125, off offset:72
	s_wait_loadcnt 0x0
	global_store_b32 v[132:133], v131, off
.LBB116_392:
	s_wait_xcnt 0x0
	s_or_b32 exec_lo, exec_lo, s12
	v_dual_mov_b32 v132, v124 :: v_dual_mov_b32 v131, v124
.LBB116_393:
	s_or_b32 exec_lo, exec_lo, s1
.LBB116_394:
	s_and_not1_saveexec_b32 s0, s0
	s_cbranch_execz .LBB116_396
; %bb.395:
	v_mov_b32_e32 v132, 18
	ds_store_2addr_b64 v128, v[18:19], v[52:53] offset0:19 offset1:20
	ds_store_2addr_b64 v128, v[50:51], v[28:29] offset0:21 offset1:22
	;; [unrolled: 1-line block ×20, first 2 shown]
.LBB116_396:
	s_or_b32 exec_lo, exec_lo, s0
	s_delay_alu instid0(SALU_CYCLE_1)
	s_mov_b32 s0, exec_lo
	s_wait_storecnt_dscnt 0x0
	s_barrier_signal -1
	s_barrier_wait -1
	v_cmpx_lt_i32_e32 18, v132
	s_cbranch_execz .LBB116_398
; %bb.397:
	v_pk_mul_f32 v[134:135], v[126:127], v[20:21] op_sel:[1,1] op_sel_hi:[0,1]
	s_delay_alu instid0(VALU_DEP_1)
	v_pk_fma_f32 v[124:125], v[126:127], v[20:21], v[134:135] op_sel_hi:[1,0,1] neg_lo:[0,0,1] neg_hi:[0,0,1]
	v_pk_fma_f32 v[126:127], v[126:127], v[20:21], v[134:135] op_sel_hi:[1,0,1]
	ds_load_2addr_b64 v[134:137], v128 offset0:19 offset1:20
	v_dual_mov_b32 v20, v124 :: v_dual_mov_b32 v21, v127
	s_wait_dscnt 0x0
	v_pk_mul_f32 v[138:139], v[134:135], v[126:127] op_sel:[0,1]
	s_delay_alu instid0(VALU_DEP_1) | instskip(SKIP_1) | instid1(VALU_DEP_1)
	v_pk_fma_f32 v[140:141], v[134:135], v[124:125], v[138:139] op_sel:[0,0,1] op_sel_hi:[1,1,0] neg_lo:[0,0,1] neg_hi:[0,0,1]
	v_pk_fma_f32 v[134:135], v[134:135], v[124:125], v[138:139] op_sel:[0,0,1] op_sel_hi:[1,0,0]
	v_mov_b32_e32 v141, v135
	v_pk_mul_f32 v[134:135], v[136:137], v[126:127] op_sel:[0,1]
	s_delay_alu instid0(VALU_DEP_1) | instskip(SKIP_1) | instid1(VALU_DEP_1)
	v_pk_fma_f32 v[138:139], v[136:137], v[124:125], v[134:135] op_sel:[0,0,1] op_sel_hi:[1,1,0] neg_lo:[0,0,1] neg_hi:[0,0,1]
	v_pk_fma_f32 v[134:135], v[136:137], v[124:125], v[134:135] op_sel:[0,0,1] op_sel_hi:[1,0,0]
	v_mov_b32_e32 v139, v135
	ds_load_2addr_b64 v[134:137], v128 offset0:21 offset1:22
	v_pk_add_f32 v[18:19], v[18:19], v[140:141] neg_lo:[0,1] neg_hi:[0,1]
	v_pk_add_f32 v[52:53], v[52:53], v[138:139] neg_lo:[0,1] neg_hi:[0,1]
	s_wait_dscnt 0x0
	v_pk_mul_f32 v[138:139], v[134:135], v[126:127] op_sel:[0,1]
	s_delay_alu instid0(VALU_DEP_1) | instskip(SKIP_2) | instid1(VALU_DEP_2)
	v_pk_fma_f32 v[140:141], v[134:135], v[124:125], v[138:139] op_sel:[0,0,1] op_sel_hi:[1,1,0] neg_lo:[0,0,1] neg_hi:[0,0,1]
	v_pk_fma_f32 v[134:135], v[134:135], v[124:125], v[138:139] op_sel:[0,0,1] op_sel_hi:[1,0,0]
	v_dual_mul_f32 v138, v137, v127 :: v_dual_mov_b32 v134, v137
	v_dual_mov_b32 v141, v135 :: v_dual_mov_b32 v135, v136
	s_delay_alu instid0(VALU_DEP_2) | instskip(SKIP_1) | instid1(VALU_DEP_3)
	v_pk_fma_f32 v[138:139], v[136:137], v[20:21], v[138:139] op_sel_hi:[1,1,0] neg_lo:[0,0,1] neg_hi:[0,0,1]
	v_mul_f32_e32 v136, v137, v124
	v_pk_add_f32 v[50:51], v[50:51], v[140:141] neg_lo:[0,1] neg_hi:[0,1]
	s_delay_alu instid0(VALU_DEP_2) | instskip(NEXT) | instid1(VALU_DEP_1)
	v_pk_fma_f32 v[134:135], v[134:135], v[20:21], v[136:137] op_sel_hi:[1,1,0]
	v_mov_b32_e32 v139, v135
	ds_load_2addr_b64 v[134:137], v128 offset0:23 offset1:24
	v_pk_add_f32 v[28:29], v[28:29], v[138:139] neg_lo:[0,1] neg_hi:[0,1]
	s_wait_dscnt 0x0
	v_pk_mul_f32 v[138:139], v[134:135], v[126:127] op_sel:[0,1]
	s_delay_alu instid0(VALU_DEP_1) | instskip(SKIP_1) | instid1(VALU_DEP_1)
	v_pk_fma_f32 v[140:141], v[134:135], v[124:125], v[138:139] op_sel:[0,0,1] op_sel_hi:[1,1,0] neg_lo:[0,0,1] neg_hi:[0,0,1]
	v_pk_fma_f32 v[134:135], v[134:135], v[124:125], v[138:139] op_sel:[0,0,1] op_sel_hi:[1,0,0]
	v_mov_b32_e32 v141, v135
	v_pk_mul_f32 v[134:135], v[136:137], v[126:127] op_sel:[0,1]
	s_delay_alu instid0(VALU_DEP_1) | instskip(SKIP_1) | instid1(VALU_DEP_1)
	v_pk_fma_f32 v[138:139], v[136:137], v[124:125], v[134:135] op_sel:[0,0,1] op_sel_hi:[1,1,0] neg_lo:[0,0,1] neg_hi:[0,0,1]
	v_pk_fma_f32 v[134:135], v[136:137], v[124:125], v[134:135] op_sel:[0,0,1] op_sel_hi:[1,0,0]
	v_mov_b32_e32 v139, v135
	ds_load_2addr_b64 v[134:137], v128 offset0:25 offset1:26
	v_pk_add_f32 v[26:27], v[26:27], v[140:141] neg_lo:[0,1] neg_hi:[0,1]
	v_pk_add_f32 v[60:61], v[60:61], v[138:139] neg_lo:[0,1] neg_hi:[0,1]
	s_wait_dscnt 0x0
	v_pk_mul_f32 v[138:139], v[134:135], v[126:127] op_sel:[0,1]
	s_delay_alu instid0(VALU_DEP_1) | instskip(SKIP_1) | instid1(VALU_DEP_1)
	v_pk_fma_f32 v[140:141], v[134:135], v[124:125], v[138:139] op_sel:[0,0,1] op_sel_hi:[1,1,0] neg_lo:[0,0,1] neg_hi:[0,0,1]
	v_pk_fma_f32 v[134:135], v[134:135], v[124:125], v[138:139] op_sel:[0,0,1] op_sel_hi:[1,0,0]
	v_mov_b32_e32 v141, v135
	v_pk_mul_f32 v[134:135], v[136:137], v[126:127] op_sel:[0,1]
	s_delay_alu instid0(VALU_DEP_1) | instskip(SKIP_1) | instid1(VALU_DEP_1)
	v_pk_fma_f32 v[138:139], v[136:137], v[124:125], v[134:135] op_sel:[0,0,1] op_sel_hi:[1,1,0] neg_lo:[0,0,1] neg_hi:[0,0,1]
	v_pk_fma_f32 v[134:135], v[136:137], v[124:125], v[134:135] op_sel:[0,0,1] op_sel_hi:[1,0,0]
	v_mov_b32_e32 v139, v135
	ds_load_2addr_b64 v[134:137], v128 offset0:27 offset1:28
	v_pk_add_f32 v[58:59], v[58:59], v[140:141] neg_lo:[0,1] neg_hi:[0,1]
	v_pk_add_f32 v[38:39], v[38:39], v[138:139] neg_lo:[0,1] neg_hi:[0,1]
	s_wait_dscnt 0x0
	v_dual_mul_f32 v138, v135, v127 :: v_dual_mul_f32 v140, v135, v124
	s_delay_alu instid0(VALU_DEP_1) | instskip(NEXT) | instid1(VALU_DEP_2)
	v_pk_fma_f32 v[138:139], v[134:135], v[20:21], v[138:139] op_sel_hi:[1,1,0] neg_lo:[0,0,1] neg_hi:[0,0,1]
	v_pk_fma_f32 v[134:135], v[134:135], v[20:21], v[140:141] op_sel:[1,0,0] op_sel_hi:[0,1,0]
	s_delay_alu instid0(VALU_DEP_1) | instskip(SKIP_1) | instid1(VALU_DEP_2)
	v_mov_b32_e32 v139, v135
	v_pk_mul_f32 v[134:135], v[136:137], v[126:127] op_sel:[0,1]
	v_pk_add_f32 v[36:37], v[36:37], v[138:139] neg_lo:[0,1] neg_hi:[0,1]
	s_delay_alu instid0(VALU_DEP_2) | instskip(SKIP_1) | instid1(VALU_DEP_1)
	v_pk_fma_f32 v[138:139], v[136:137], v[124:125], v[134:135] op_sel:[0,0,1] op_sel_hi:[1,1,0] neg_lo:[0,0,1] neg_hi:[0,0,1]
	v_pk_fma_f32 v[134:135], v[136:137], v[124:125], v[134:135] op_sel:[0,0,1] op_sel_hi:[1,0,0]
	v_mov_b32_e32 v139, v135
	ds_load_2addr_b64 v[134:137], v128 offset0:29 offset1:30
	v_pk_add_f32 v[68:69], v[68:69], v[138:139] neg_lo:[0,1] neg_hi:[0,1]
	s_wait_dscnt 0x0
	v_pk_mul_f32 v[138:139], v[134:135], v[126:127] op_sel:[0,1]
	s_delay_alu instid0(VALU_DEP_1) | instskip(SKIP_1) | instid1(VALU_DEP_1)
	v_pk_fma_f32 v[140:141], v[134:135], v[124:125], v[138:139] op_sel:[0,0,1] op_sel_hi:[1,1,0] neg_lo:[0,0,1] neg_hi:[0,0,1]
	v_pk_fma_f32 v[134:135], v[134:135], v[124:125], v[138:139] op_sel:[0,0,1] op_sel_hi:[1,0,0]
	v_mov_b32_e32 v141, v135
	v_pk_mul_f32 v[134:135], v[136:137], v[126:127] op_sel:[0,1]
	s_delay_alu instid0(VALU_DEP_2) | instskip(NEXT) | instid1(VALU_DEP_2)
	v_pk_add_f32 v[66:67], v[66:67], v[140:141] neg_lo:[0,1] neg_hi:[0,1]
	v_pk_fma_f32 v[138:139], v[136:137], v[124:125], v[134:135] op_sel:[0,0,1] op_sel_hi:[1,1,0] neg_lo:[0,0,1] neg_hi:[0,0,1]
	v_pk_fma_f32 v[134:135], v[136:137], v[124:125], v[134:135] op_sel:[0,0,1] op_sel_hi:[1,0,0]
	s_delay_alu instid0(VALU_DEP_1) | instskip(SKIP_4) | instid1(VALU_DEP_1)
	v_mov_b32_e32 v139, v135
	ds_load_2addr_b64 v[134:137], v128 offset0:31 offset1:32
	v_pk_add_f32 v[48:49], v[48:49], v[138:139] neg_lo:[0,1] neg_hi:[0,1]
	s_wait_dscnt 0x0
	v_pk_mul_f32 v[138:139], v[134:135], v[126:127] op_sel:[0,1]
	v_pk_fma_f32 v[140:141], v[134:135], v[124:125], v[138:139] op_sel:[0,0,1] op_sel_hi:[1,1,0] neg_lo:[0,0,1] neg_hi:[0,0,1]
	v_pk_fma_f32 v[134:135], v[134:135], v[124:125], v[138:139] op_sel:[0,0,1] op_sel_hi:[1,0,0]
	v_dual_mul_f32 v138, v137, v127 :: v_dual_mov_b32 v134, v137
	s_delay_alu instid0(VALU_DEP_2) | instskip(NEXT) | instid1(VALU_DEP_2)
	v_dual_mov_b32 v141, v135 :: v_dual_mov_b32 v135, v136
	v_pk_fma_f32 v[138:139], v[136:137], v[20:21], v[138:139] op_sel_hi:[1,1,0] neg_lo:[0,0,1] neg_hi:[0,0,1]
	v_mul_f32_e32 v136, v137, v124
	s_delay_alu instid0(VALU_DEP_3) | instskip(NEXT) | instid1(VALU_DEP_2)
	v_pk_add_f32 v[46:47], v[46:47], v[140:141] neg_lo:[0,1] neg_hi:[0,1]
	v_pk_fma_f32 v[134:135], v[134:135], v[20:21], v[136:137] op_sel_hi:[1,1,0]
	s_delay_alu instid0(VALU_DEP_1) | instskip(SKIP_4) | instid1(VALU_DEP_1)
	v_mov_b32_e32 v139, v135
	ds_load_2addr_b64 v[134:137], v128 offset0:33 offset1:34
	v_pk_add_f32 v[78:79], v[78:79], v[138:139] neg_lo:[0,1] neg_hi:[0,1]
	s_wait_dscnt 0x0
	v_pk_mul_f32 v[138:139], v[134:135], v[126:127] op_sel:[0,1]
	v_pk_fma_f32 v[140:141], v[134:135], v[124:125], v[138:139] op_sel:[0,0,1] op_sel_hi:[1,1,0] neg_lo:[0,0,1] neg_hi:[0,0,1]
	v_pk_fma_f32 v[134:135], v[134:135], v[124:125], v[138:139] op_sel:[0,0,1] op_sel_hi:[1,0,0]
	s_delay_alu instid0(VALU_DEP_1) | instskip(SKIP_1) | instid1(VALU_DEP_1)
	v_mov_b32_e32 v141, v135
	v_pk_mul_f32 v[134:135], v[136:137], v[126:127] op_sel:[0,1]
	v_pk_fma_f32 v[138:139], v[136:137], v[124:125], v[134:135] op_sel:[0,0,1] op_sel_hi:[1,1,0] neg_lo:[0,0,1] neg_hi:[0,0,1]
	v_pk_fma_f32 v[134:135], v[136:137], v[124:125], v[134:135] op_sel:[0,0,1] op_sel_hi:[1,0,0]
	s_delay_alu instid0(VALU_DEP_1)
	v_mov_b32_e32 v139, v135
	ds_load_2addr_b64 v[134:137], v128 offset0:35 offset1:36
	v_pk_add_f32 v[76:77], v[76:77], v[140:141] neg_lo:[0,1] neg_hi:[0,1]
	v_pk_add_f32 v[56:57], v[56:57], v[138:139] neg_lo:[0,1] neg_hi:[0,1]
	s_wait_dscnt 0x0
	v_pk_mul_f32 v[138:139], v[134:135], v[126:127] op_sel:[0,1]
	s_delay_alu instid0(VALU_DEP_1) | instskip(SKIP_1) | instid1(VALU_DEP_1)
	v_pk_fma_f32 v[140:141], v[134:135], v[124:125], v[138:139] op_sel:[0,0,1] op_sel_hi:[1,1,0] neg_lo:[0,0,1] neg_hi:[0,0,1]
	v_pk_fma_f32 v[134:135], v[134:135], v[124:125], v[138:139] op_sel:[0,0,1] op_sel_hi:[1,0,0]
	v_mov_b32_e32 v141, v135
	v_pk_mul_f32 v[134:135], v[136:137], v[126:127] op_sel:[0,1]
	s_delay_alu instid0(VALU_DEP_1) | instskip(SKIP_1) | instid1(VALU_DEP_1)
	v_pk_fma_f32 v[138:139], v[136:137], v[124:125], v[134:135] op_sel:[0,0,1] op_sel_hi:[1,1,0] neg_lo:[0,0,1] neg_hi:[0,0,1]
	v_pk_fma_f32 v[134:135], v[136:137], v[124:125], v[134:135] op_sel:[0,0,1] op_sel_hi:[1,0,0]
	v_mov_b32_e32 v139, v135
	ds_load_2addr_b64 v[134:137], v128 offset0:37 offset1:38
	v_pk_add_f32 v[54:55], v[54:55], v[140:141] neg_lo:[0,1] neg_hi:[0,1]
	v_pk_add_f32 v[88:89], v[88:89], v[138:139] neg_lo:[0,1] neg_hi:[0,1]
	s_wait_dscnt 0x0
	v_dual_mul_f32 v138, v135, v127 :: v_dual_mul_f32 v140, v135, v124
	s_delay_alu instid0(VALU_DEP_1) | instskip(NEXT) | instid1(VALU_DEP_2)
	v_pk_fma_f32 v[138:139], v[134:135], v[20:21], v[138:139] op_sel_hi:[1,1,0] neg_lo:[0,0,1] neg_hi:[0,0,1]
	v_pk_fma_f32 v[134:135], v[134:135], v[20:21], v[140:141] op_sel:[1,0,0] op_sel_hi:[0,1,0]
	s_delay_alu instid0(VALU_DEP_1) | instskip(SKIP_1) | instid1(VALU_DEP_2)
	v_mov_b32_e32 v139, v135
	v_pk_mul_f32 v[134:135], v[136:137], v[126:127] op_sel:[0,1]
	v_pk_add_f32 v[86:87], v[86:87], v[138:139] neg_lo:[0,1] neg_hi:[0,1]
	s_delay_alu instid0(VALU_DEP_2) | instskip(SKIP_1) | instid1(VALU_DEP_1)
	v_pk_fma_f32 v[138:139], v[136:137], v[124:125], v[134:135] op_sel:[0,0,1] op_sel_hi:[1,1,0] neg_lo:[0,0,1] neg_hi:[0,0,1]
	v_pk_fma_f32 v[134:135], v[136:137], v[124:125], v[134:135] op_sel:[0,0,1] op_sel_hi:[1,0,0]
	v_mov_b32_e32 v139, v135
	ds_load_2addr_b64 v[134:137], v128 offset0:39 offset1:40
	v_pk_add_f32 v[64:65], v[64:65], v[138:139] neg_lo:[0,1] neg_hi:[0,1]
	s_wait_dscnt 0x0
	v_pk_mul_f32 v[138:139], v[134:135], v[126:127] op_sel:[0,1]
	s_delay_alu instid0(VALU_DEP_1) | instskip(SKIP_1) | instid1(VALU_DEP_1)
	v_pk_fma_f32 v[140:141], v[134:135], v[124:125], v[138:139] op_sel:[0,0,1] op_sel_hi:[1,1,0] neg_lo:[0,0,1] neg_hi:[0,0,1]
	v_pk_fma_f32 v[134:135], v[134:135], v[124:125], v[138:139] op_sel:[0,0,1] op_sel_hi:[1,0,0]
	v_mov_b32_e32 v141, v135
	v_pk_mul_f32 v[134:135], v[136:137], v[126:127] op_sel:[0,1]
	s_delay_alu instid0(VALU_DEP_2) | instskip(NEXT) | instid1(VALU_DEP_2)
	v_pk_add_f32 v[62:63], v[62:63], v[140:141] neg_lo:[0,1] neg_hi:[0,1]
	v_pk_fma_f32 v[138:139], v[136:137], v[124:125], v[134:135] op_sel:[0,0,1] op_sel_hi:[1,1,0] neg_lo:[0,0,1] neg_hi:[0,0,1]
	v_pk_fma_f32 v[134:135], v[136:137], v[124:125], v[134:135] op_sel:[0,0,1] op_sel_hi:[1,0,0]
	s_delay_alu instid0(VALU_DEP_1) | instskip(SKIP_4) | instid1(VALU_DEP_1)
	v_mov_b32_e32 v139, v135
	ds_load_2addr_b64 v[134:137], v128 offset0:41 offset1:42
	v_pk_add_f32 v[102:103], v[102:103], v[138:139] neg_lo:[0,1] neg_hi:[0,1]
	s_wait_dscnt 0x0
	v_pk_mul_f32 v[138:139], v[134:135], v[126:127] op_sel:[0,1]
	v_pk_fma_f32 v[140:141], v[134:135], v[124:125], v[138:139] op_sel:[0,0,1] op_sel_hi:[1,1,0] neg_lo:[0,0,1] neg_hi:[0,0,1]
	v_pk_fma_f32 v[134:135], v[134:135], v[124:125], v[138:139] op_sel:[0,0,1] op_sel_hi:[1,0,0]
	v_dual_mul_f32 v138, v137, v127 :: v_dual_mov_b32 v134, v137
	s_delay_alu instid0(VALU_DEP_2) | instskip(NEXT) | instid1(VALU_DEP_2)
	v_dual_mov_b32 v141, v135 :: v_dual_mov_b32 v135, v136
	v_pk_fma_f32 v[138:139], v[136:137], v[20:21], v[138:139] op_sel_hi:[1,1,0] neg_lo:[0,0,1] neg_hi:[0,0,1]
	v_mul_f32_e32 v136, v137, v124
	s_delay_alu instid0(VALU_DEP_3) | instskip(NEXT) | instid1(VALU_DEP_2)
	v_pk_add_f32 v[100:101], v[100:101], v[140:141] neg_lo:[0,1] neg_hi:[0,1]
	v_pk_fma_f32 v[134:135], v[134:135], v[20:21], v[136:137] op_sel_hi:[1,1,0]
	s_delay_alu instid0(VALU_DEP_1) | instskip(SKIP_4) | instid1(VALU_DEP_1)
	v_mov_b32_e32 v139, v135
	ds_load_2addr_b64 v[134:137], v128 offset0:43 offset1:44
	v_pk_add_f32 v[72:73], v[72:73], v[138:139] neg_lo:[0,1] neg_hi:[0,1]
	s_wait_dscnt 0x0
	v_pk_mul_f32 v[138:139], v[134:135], v[126:127] op_sel:[0,1]
	v_pk_fma_f32 v[140:141], v[134:135], v[124:125], v[138:139] op_sel:[0,0,1] op_sel_hi:[1,1,0] neg_lo:[0,0,1] neg_hi:[0,0,1]
	v_pk_fma_f32 v[134:135], v[134:135], v[124:125], v[138:139] op_sel:[0,0,1] op_sel_hi:[1,0,0]
	s_delay_alu instid0(VALU_DEP_1) | instskip(SKIP_1) | instid1(VALU_DEP_1)
	v_mov_b32_e32 v141, v135
	v_pk_mul_f32 v[134:135], v[136:137], v[126:127] op_sel:[0,1]
	v_pk_fma_f32 v[138:139], v[136:137], v[124:125], v[134:135] op_sel:[0,0,1] op_sel_hi:[1,1,0] neg_lo:[0,0,1] neg_hi:[0,0,1]
	v_pk_fma_f32 v[134:135], v[136:137], v[124:125], v[134:135] op_sel:[0,0,1] op_sel_hi:[1,0,0]
	s_delay_alu instid0(VALU_DEP_1)
	v_mov_b32_e32 v139, v135
	ds_load_2addr_b64 v[134:137], v128 offset0:45 offset1:46
	v_pk_add_f32 v[70:71], v[70:71], v[140:141] neg_lo:[0,1] neg_hi:[0,1]
	v_pk_add_f32 v[110:111], v[110:111], v[138:139] neg_lo:[0,1] neg_hi:[0,1]
	s_wait_dscnt 0x0
	v_pk_mul_f32 v[138:139], v[134:135], v[126:127] op_sel:[0,1]
	s_delay_alu instid0(VALU_DEP_1) | instskip(SKIP_1) | instid1(VALU_DEP_1)
	v_pk_fma_f32 v[140:141], v[134:135], v[124:125], v[138:139] op_sel:[0,0,1] op_sel_hi:[1,1,0] neg_lo:[0,0,1] neg_hi:[0,0,1]
	v_pk_fma_f32 v[134:135], v[134:135], v[124:125], v[138:139] op_sel:[0,0,1] op_sel_hi:[1,0,0]
	v_mov_b32_e32 v141, v135
	v_pk_mul_f32 v[134:135], v[136:137], v[126:127] op_sel:[0,1]
	s_delay_alu instid0(VALU_DEP_1) | instskip(SKIP_1) | instid1(VALU_DEP_1)
	v_pk_fma_f32 v[138:139], v[136:137], v[124:125], v[134:135] op_sel:[0,0,1] op_sel_hi:[1,1,0] neg_lo:[0,0,1] neg_hi:[0,0,1]
	v_pk_fma_f32 v[134:135], v[136:137], v[124:125], v[134:135] op_sel:[0,0,1] op_sel_hi:[1,0,0]
	v_mov_b32_e32 v139, v135
	ds_load_2addr_b64 v[134:137], v128 offset0:47 offset1:48
	v_pk_add_f32 v[108:109], v[108:109], v[140:141] neg_lo:[0,1] neg_hi:[0,1]
	v_pk_add_f32 v[82:83], v[82:83], v[138:139] neg_lo:[0,1] neg_hi:[0,1]
	s_wait_dscnt 0x0
	v_dual_mul_f32 v138, v135, v127 :: v_dual_mul_f32 v140, v135, v124
	s_delay_alu instid0(VALU_DEP_1) | instskip(NEXT) | instid1(VALU_DEP_2)
	v_pk_fma_f32 v[138:139], v[134:135], v[20:21], v[138:139] op_sel_hi:[1,1,0] neg_lo:[0,0,1] neg_hi:[0,0,1]
	v_pk_fma_f32 v[134:135], v[134:135], v[20:21], v[140:141] op_sel:[1,0,0] op_sel_hi:[0,1,0]
	s_delay_alu instid0(VALU_DEP_1) | instskip(SKIP_1) | instid1(VALU_DEP_2)
	v_mov_b32_e32 v139, v135
	v_pk_mul_f32 v[134:135], v[136:137], v[126:127] op_sel:[0,1]
	v_pk_add_f32 v[80:81], v[80:81], v[138:139] neg_lo:[0,1] neg_hi:[0,1]
	s_delay_alu instid0(VALU_DEP_2) | instskip(SKIP_1) | instid1(VALU_DEP_1)
	v_pk_fma_f32 v[138:139], v[136:137], v[124:125], v[134:135] op_sel:[0,0,1] op_sel_hi:[1,1,0] neg_lo:[0,0,1] neg_hi:[0,0,1]
	v_pk_fma_f32 v[134:135], v[136:137], v[124:125], v[134:135] op_sel:[0,0,1] op_sel_hi:[1,0,0]
	v_mov_b32_e32 v139, v135
	ds_load_2addr_b64 v[134:137], v128 offset0:49 offset1:50
	v_pk_add_f32 v[120:121], v[120:121], v[138:139] neg_lo:[0,1] neg_hi:[0,1]
	s_wait_dscnt 0x0
	v_pk_mul_f32 v[138:139], v[134:135], v[126:127] op_sel:[0,1]
	s_delay_alu instid0(VALU_DEP_1) | instskip(SKIP_1) | instid1(VALU_DEP_1)
	v_pk_fma_f32 v[140:141], v[134:135], v[124:125], v[138:139] op_sel:[0,0,1] op_sel_hi:[1,1,0] neg_lo:[0,0,1] neg_hi:[0,0,1]
	v_pk_fma_f32 v[134:135], v[134:135], v[124:125], v[138:139] op_sel:[0,0,1] op_sel_hi:[1,0,0]
	v_mov_b32_e32 v141, v135
	v_pk_mul_f32 v[134:135], v[136:137], v[126:127] op_sel:[0,1]
	s_delay_alu instid0(VALU_DEP_2) | instskip(NEXT) | instid1(VALU_DEP_2)
	v_pk_add_f32 v[118:119], v[118:119], v[140:141] neg_lo:[0,1] neg_hi:[0,1]
	v_pk_fma_f32 v[138:139], v[136:137], v[124:125], v[134:135] op_sel:[0,0,1] op_sel_hi:[1,1,0] neg_lo:[0,0,1] neg_hi:[0,0,1]
	v_pk_fma_f32 v[134:135], v[136:137], v[124:125], v[134:135] op_sel:[0,0,1] op_sel_hi:[1,0,0]
	s_delay_alu instid0(VALU_DEP_1) | instskip(SKIP_4) | instid1(VALU_DEP_1)
	v_mov_b32_e32 v139, v135
	ds_load_2addr_b64 v[134:137], v128 offset0:51 offset1:52
	v_pk_add_f32 v[94:95], v[94:95], v[138:139] neg_lo:[0,1] neg_hi:[0,1]
	s_wait_dscnt 0x0
	v_pk_mul_f32 v[138:139], v[134:135], v[126:127] op_sel:[0,1]
	v_pk_fma_f32 v[140:141], v[134:135], v[124:125], v[138:139] op_sel:[0,0,1] op_sel_hi:[1,1,0] neg_lo:[0,0,1] neg_hi:[0,0,1]
	v_pk_fma_f32 v[134:135], v[134:135], v[124:125], v[138:139] op_sel:[0,0,1] op_sel_hi:[1,0,0]
	v_dual_mul_f32 v138, v137, v127 :: v_dual_mov_b32 v134, v137
	s_delay_alu instid0(VALU_DEP_2) | instskip(NEXT) | instid1(VALU_DEP_2)
	v_dual_mov_b32 v141, v135 :: v_dual_mov_b32 v135, v136
	v_pk_fma_f32 v[138:139], v[136:137], v[20:21], v[138:139] op_sel_hi:[1,1,0] neg_lo:[0,0,1] neg_hi:[0,0,1]
	v_mul_f32_e32 v136, v137, v124
	s_delay_alu instid0(VALU_DEP_3) | instskip(NEXT) | instid1(VALU_DEP_2)
	v_pk_add_f32 v[96:97], v[96:97], v[140:141] neg_lo:[0,1] neg_hi:[0,1]
	v_pk_fma_f32 v[134:135], v[134:135], v[20:21], v[136:137] op_sel_hi:[1,1,0]
	s_delay_alu instid0(VALU_DEP_1) | instskip(SKIP_4) | instid1(VALU_DEP_1)
	v_mov_b32_e32 v139, v135
	ds_load_2addr_b64 v[134:137], v128 offset0:53 offset1:54
	v_pk_add_f32 v[114:115], v[114:115], v[138:139] neg_lo:[0,1] neg_hi:[0,1]
	s_wait_dscnt 0x0
	v_pk_mul_f32 v[138:139], v[134:135], v[126:127] op_sel:[0,1]
	v_pk_fma_f32 v[140:141], v[134:135], v[124:125], v[138:139] op_sel:[0,0,1] op_sel_hi:[1,1,0] neg_lo:[0,0,1] neg_hi:[0,0,1]
	v_pk_fma_f32 v[134:135], v[134:135], v[124:125], v[138:139] op_sel:[0,0,1] op_sel_hi:[1,0,0]
	s_delay_alu instid0(VALU_DEP_1) | instskip(SKIP_1) | instid1(VALU_DEP_1)
	v_mov_b32_e32 v141, v135
	v_pk_mul_f32 v[134:135], v[136:137], v[126:127] op_sel:[0,1]
	v_pk_fma_f32 v[138:139], v[136:137], v[124:125], v[134:135] op_sel:[0,0,1] op_sel_hi:[1,1,0] neg_lo:[0,0,1] neg_hi:[0,0,1]
	v_pk_fma_f32 v[134:135], v[136:137], v[124:125], v[134:135] op_sel:[0,0,1] op_sel_hi:[1,0,0]
	s_delay_alu instid0(VALU_DEP_1)
	v_mov_b32_e32 v139, v135
	ds_load_2addr_b64 v[134:137], v128 offset0:55 offset1:56
	v_pk_add_f32 v[112:113], v[112:113], v[140:141] neg_lo:[0,1] neg_hi:[0,1]
	v_pk_add_f32 v[92:93], v[92:93], v[138:139] neg_lo:[0,1] neg_hi:[0,1]
	s_wait_dscnt 0x0
	v_pk_mul_f32 v[138:139], v[134:135], v[126:127] op_sel:[0,1]
	s_delay_alu instid0(VALU_DEP_1) | instskip(SKIP_1) | instid1(VALU_DEP_1)
	v_pk_fma_f32 v[140:141], v[134:135], v[124:125], v[138:139] op_sel:[0,0,1] op_sel_hi:[1,1,0] neg_lo:[0,0,1] neg_hi:[0,0,1]
	v_pk_fma_f32 v[134:135], v[134:135], v[124:125], v[138:139] op_sel:[0,0,1] op_sel_hi:[1,0,0]
	v_mov_b32_e32 v141, v135
	v_pk_mul_f32 v[134:135], v[136:137], v[126:127] op_sel:[0,1]
	s_delay_alu instid0(VALU_DEP_1) | instskip(SKIP_1) | instid1(VALU_DEP_1)
	v_pk_fma_f32 v[138:139], v[136:137], v[124:125], v[134:135] op_sel:[0,0,1] op_sel_hi:[1,1,0] neg_lo:[0,0,1] neg_hi:[0,0,1]
	v_pk_fma_f32 v[134:135], v[136:137], v[124:125], v[134:135] op_sel:[0,0,1] op_sel_hi:[1,0,0]
	v_mov_b32_e32 v139, v135
	ds_load_2addr_b64 v[134:137], v128 offset0:57 offset1:58
	v_pk_add_f32 v[90:91], v[90:91], v[140:141] neg_lo:[0,1] neg_hi:[0,1]
	v_pk_add_f32 v[104:105], v[104:105], v[138:139] neg_lo:[0,1] neg_hi:[0,1]
	s_wait_dscnt 0x0
	v_dual_mul_f32 v138, v135, v127 :: v_dual_mul_f32 v140, v135, v124
	v_pk_mul_f32 v[126:127], v[136:137], v[126:127] op_sel:[0,1]
	s_delay_alu instid0(VALU_DEP_2) | instskip(NEXT) | instid1(VALU_DEP_3)
	v_pk_fma_f32 v[138:139], v[134:135], v[20:21], v[138:139] op_sel_hi:[1,1,0] neg_lo:[0,0,1] neg_hi:[0,0,1]
	v_pk_fma_f32 v[134:135], v[134:135], v[20:21], v[140:141] op_sel:[1,0,0] op_sel_hi:[0,1,0]
	s_delay_alu instid0(VALU_DEP_1) | instskip(NEXT) | instid1(VALU_DEP_4)
	v_mov_b32_e32 v139, v135
	v_pk_fma_f32 v[134:135], v[136:137], v[124:125], v[126:127] op_sel:[0,0,1] op_sel_hi:[1,1,0] neg_lo:[0,0,1] neg_hi:[0,0,1]
	v_pk_fma_f32 v[124:125], v[136:137], v[124:125], v[126:127] op_sel:[0,0,1] op_sel_hi:[1,0,0]
	s_delay_alu instid0(VALU_DEP_1) | instskip(NEXT) | instid1(VALU_DEP_4)
	v_mov_b32_e32 v135, v125
	v_pk_add_f32 v[98:99], v[98:99], v[138:139] neg_lo:[0,1] neg_hi:[0,1]
	s_delay_alu instid0(VALU_DEP_2)
	v_pk_add_f32 v[122:123], v[122:123], v[134:135] neg_lo:[0,1] neg_hi:[0,1]
.LBB116_398:
	s_or_b32 exec_lo, exec_lo, s0
	v_lshl_add_u32 v124, v132, 3, v128
	s_barrier_signal -1
	s_barrier_wait -1
	ds_store_b64 v124, v[18:19]
	s_wait_dscnt 0x0
	s_barrier_signal -1
	s_barrier_wait -1
	ds_load_b64 v[126:127], v128 offset:152
	v_mov_b32_e32 v124, 19
	s_cmp_lt_i32 s18, 21
	s_cbranch_scc1 .LBB116_401
; %bb.399:
	v_add3_u32 v125, v129, 0, 0xa0
	v_mov_b32_e32 v124, 19
	s_mov_b32 s0, 20
.LBB116_400:                            ; =>This Inner Loop Header: Depth=1
	ds_load_b64 v[134:135], v125
	s_wait_dscnt 0x1
	v_cmp_gt_f32_e32 vcc_lo, 0, v126
	v_cndmask_b32_e64 v136, v126, -v126, vcc_lo
	v_cmp_gt_f32_e32 vcc_lo, 0, v127
	v_cndmask_b32_e64 v138, v127, -v127, vcc_lo
	s_wait_dscnt 0x0
	v_cmp_gt_f32_e32 vcc_lo, 0, v134
	v_cndmask_b32_e64 v137, v134, -v134, vcc_lo
	v_cmp_gt_f32_e32 vcc_lo, 0, v135
	v_cndmask_b32_e64 v139, v135, -v135, vcc_lo
	s_delay_alu instid0(VALU_DEP_1) | instskip(NEXT) | instid1(VALU_DEP_1)
	v_pk_add_f32 v[136:137], v[136:137], v[138:139]
	v_cmp_lt_f32_e32 vcc_lo, v136, v137
	v_dual_add_nc_u32 v125, 8, v125 :: v_dual_cndmask_b32 v127, v127, v135, vcc_lo
	v_cndmask_b32_e32 v126, v126, v134, vcc_lo
	v_cndmask_b32_e64 v124, v124, s0, vcc_lo
	s_add_co_i32 s0, s0, 1
	s_delay_alu instid0(SALU_CYCLE_1)
	s_cmp_lg_u32 s18, s0
	s_cbranch_scc1 .LBB116_400
.LBB116_401:
	s_wait_dscnt 0x0
	v_cmp_eq_f32_e32 vcc_lo, 0, v126
	v_cmp_eq_f32_e64 s0, 0, v127
	s_and_b32 s0, vcc_lo, s0
	s_delay_alu instid0(SALU_CYCLE_1) | instskip(NEXT) | instid1(SALU_CYCLE_1)
	s_and_saveexec_b32 s1, s0
	s_xor_b32 s0, exec_lo, s1
; %bb.402:
	v_cmp_ne_u32_e32 vcc_lo, 0, v130
	v_cndmask_b32_e32 v130, 20, v130, vcc_lo
; %bb.403:
	s_and_not1_saveexec_b32 s0, s0
	s_cbranch_execz .LBB116_409
; %bb.404:
	v_cmp_ngt_f32_e64 s1, |v126|, |v127|
	s_and_saveexec_b32 s12, s1
	s_delay_alu instid0(SALU_CYCLE_1)
	s_xor_b32 s1, exec_lo, s12
	s_cbranch_execz .LBB116_406
; %bb.405:
	v_div_scale_f32 v125, null, v127, v127, v126
	v_div_scale_f32 v135, vcc_lo, v126, v127, v126
	s_delay_alu instid0(VALU_DEP_2) | instskip(SKIP_1) | instid1(TRANS32_DEP_1)
	v_rcp_f32_e32 v133, v125
	v_nop
	v_fma_f32 v134, -v125, v133, 1.0
	s_delay_alu instid0(VALU_DEP_1) | instskip(NEXT) | instid1(VALU_DEP_1)
	v_fmac_f32_e32 v133, v134, v133
	v_mul_f32_e32 v134, v135, v133
	s_delay_alu instid0(VALU_DEP_1) | instskip(NEXT) | instid1(VALU_DEP_1)
	v_fma_f32 v136, -v125, v134, v135
	v_fmac_f32_e32 v134, v136, v133
	s_delay_alu instid0(VALU_DEP_1) | instskip(NEXT) | instid1(VALU_DEP_1)
	v_fma_f32 v125, -v125, v134, v135
	v_div_fmas_f32 v125, v125, v133, v134
	s_delay_alu instid0(VALU_DEP_1) | instskip(NEXT) | instid1(VALU_DEP_1)
	v_div_fixup_f32 v125, v125, v127, v126
	v_fmac_f32_e32 v127, v126, v125
	s_delay_alu instid0(VALU_DEP_1) | instskip(SKIP_1) | instid1(VALU_DEP_2)
	v_div_scale_f32 v126, null, v127, v127, 1.0
	v_div_scale_f32 v135, vcc_lo, 1.0, v127, 1.0
	v_rcp_f32_e32 v133, v126
	v_nop
	s_delay_alu instid0(TRANS32_DEP_1) | instskip(NEXT) | instid1(VALU_DEP_1)
	v_fma_f32 v134, -v126, v133, 1.0
	v_fmac_f32_e32 v133, v134, v133
	s_delay_alu instid0(VALU_DEP_1) | instskip(NEXT) | instid1(VALU_DEP_1)
	v_mul_f32_e32 v134, v135, v133
	v_fma_f32 v136, -v126, v134, v135
	s_delay_alu instid0(VALU_DEP_1) | instskip(NEXT) | instid1(VALU_DEP_1)
	v_fmac_f32_e32 v134, v136, v133
	v_fma_f32 v126, -v126, v134, v135
	s_delay_alu instid0(VALU_DEP_1) | instskip(NEXT) | instid1(VALU_DEP_1)
	v_div_fmas_f32 v126, v126, v133, v134
	v_div_fixup_f32 v127, v126, v127, 1.0
	s_delay_alu instid0(VALU_DEP_1)
	v_mul_f32_e32 v126, v125, v127
	v_xor_b32_e32 v127, 0x80000000, v127
.LBB116_406:
	s_and_not1_saveexec_b32 s1, s1
	s_cbranch_execz .LBB116_408
; %bb.407:
	s_delay_alu instid0(VALU_DEP_1) | instskip(SKIP_1) | instid1(VALU_DEP_2)
	v_div_scale_f32 v125, null, v126, v126, v127
	v_div_scale_f32 v135, vcc_lo, v127, v126, v127
	v_rcp_f32_e32 v133, v125
	v_nop
	s_delay_alu instid0(TRANS32_DEP_1) | instskip(NEXT) | instid1(VALU_DEP_1)
	v_fma_f32 v134, -v125, v133, 1.0
	v_fmac_f32_e32 v133, v134, v133
	s_delay_alu instid0(VALU_DEP_1) | instskip(NEXT) | instid1(VALU_DEP_1)
	v_mul_f32_e32 v134, v135, v133
	v_fma_f32 v136, -v125, v134, v135
	s_delay_alu instid0(VALU_DEP_1) | instskip(NEXT) | instid1(VALU_DEP_1)
	v_fmac_f32_e32 v134, v136, v133
	v_fma_f32 v125, -v125, v134, v135
	s_delay_alu instid0(VALU_DEP_1) | instskip(NEXT) | instid1(VALU_DEP_1)
	v_div_fmas_f32 v125, v125, v133, v134
	v_div_fixup_f32 v125, v125, v126, v127
	s_delay_alu instid0(VALU_DEP_1) | instskip(NEXT) | instid1(VALU_DEP_1)
	v_fmac_f32_e32 v126, v127, v125
	v_div_scale_f32 v127, null, v126, v126, 1.0
	s_delay_alu instid0(VALU_DEP_1) | instskip(SKIP_1) | instid1(TRANS32_DEP_1)
	v_rcp_f32_e32 v133, v127
	v_nop
	v_fma_f32 v134, -v127, v133, 1.0
	s_delay_alu instid0(VALU_DEP_1) | instskip(SKIP_1) | instid1(VALU_DEP_1)
	v_fmac_f32_e32 v133, v134, v133
	v_div_scale_f32 v134, vcc_lo, 1.0, v126, 1.0
	v_mul_f32_e32 v135, v134, v133
	s_delay_alu instid0(VALU_DEP_1) | instskip(NEXT) | instid1(VALU_DEP_1)
	v_fma_f32 v136, -v127, v135, v134
	v_fmac_f32_e32 v135, v136, v133
	s_delay_alu instid0(VALU_DEP_1) | instskip(NEXT) | instid1(VALU_DEP_1)
	v_fma_f32 v127, -v127, v135, v134
	v_div_fmas_f32 v127, v127, v133, v135
	s_delay_alu instid0(VALU_DEP_1) | instskip(NEXT) | instid1(VALU_DEP_1)
	v_div_fixup_f32 v126, v127, v126, 1.0
	v_mul_f32_e64 v127, v125, -v126
.LBB116_408:
	s_or_b32 exec_lo, exec_lo, s1
.LBB116_409:
	s_delay_alu instid0(SALU_CYCLE_1) | instskip(NEXT) | instid1(SALU_CYCLE_1)
	s_or_b32 exec_lo, exec_lo, s0
	s_mov_b32 s0, exec_lo
	v_cmpx_ne_u32_e64 v132, v124
	s_xor_b32 s0, exec_lo, s0
	s_cbranch_execz .LBB116_415
; %bb.410:
	s_mov_b32 s1, exec_lo
	v_cmpx_eq_u32_e32 19, v132
	s_cbranch_execz .LBB116_414
; %bb.411:
	v_cmp_ne_u32_e32 vcc_lo, 19, v124
	s_xor_b32 s12, s16, -1
	s_delay_alu instid0(SALU_CYCLE_1) | instskip(NEXT) | instid1(SALU_CYCLE_1)
	s_and_b32 s13, s12, vcc_lo
	s_and_saveexec_b32 s12, s13
	s_cbranch_execz .LBB116_413
; %bb.412:
	v_ashrrev_i32_e32 v125, 31, v124
	s_delay_alu instid0(VALU_DEP_1)
	v_lshl_add_u64 v[132:133], v[124:125], 2, v[4:5]
	s_clause 0x1
	global_load_b32 v125, v[132:133], off
	global_load_b32 v131, v[4:5], off offset:76
	s_wait_loadcnt 0x1
	global_store_b32 v[4:5], v125, off offset:76
	s_wait_loadcnt 0x0
	global_store_b32 v[132:133], v131, off
.LBB116_413:
	s_wait_xcnt 0x0
	s_or_b32 exec_lo, exec_lo, s12
	v_dual_mov_b32 v132, v124 :: v_dual_mov_b32 v131, v124
.LBB116_414:
	s_or_b32 exec_lo, exec_lo, s1
.LBB116_415:
	s_and_not1_saveexec_b32 s0, s0
	s_cbranch_execz .LBB116_417
; %bb.416:
	v_dual_mov_b32 v124, v52 :: v_dual_mov_b32 v125, v53
	v_dual_mov_b32 v132, v50 :: v_dual_mov_b32 v133, v51
	ds_store_2addr_b64 v128, v[124:125], v[132:133] offset0:20 offset1:21
	v_dual_mov_b32 v124, v28 :: v_dual_mov_b32 v125, v29
	v_dual_mov_b32 v132, v26 :: v_dual_mov_b32 v133, v27
	ds_store_2addr_b64 v128, v[124:125], v[132:133] offset0:22 offset1:23
	;; [unrolled: 3-line block ×19, first 2 shown]
	ds_store_b64 v128, v[122:123] offset:464
	v_mov_b32_e32 v132, 19
.LBB116_417:
	s_or_b32 exec_lo, exec_lo, s0
	s_delay_alu instid0(SALU_CYCLE_1)
	s_mov_b32 s0, exec_lo
	s_wait_storecnt_dscnt 0x0
	s_barrier_signal -1
	s_barrier_wait -1
	v_cmpx_lt_i32_e32 19, v132
	s_cbranch_execz .LBB116_419
; %bb.418:
	v_pk_mul_f32 v[134:135], v[126:127], v[18:19] op_sel:[1,1] op_sel_hi:[0,1]
	s_delay_alu instid0(VALU_DEP_1)
	v_pk_fma_f32 v[124:125], v[126:127], v[18:19], v[134:135] op_sel_hi:[1,0,1] neg_lo:[0,0,1] neg_hi:[0,0,1]
	v_pk_fma_f32 v[126:127], v[126:127], v[18:19], v[134:135] op_sel_hi:[1,0,1]
	ds_load_2addr_b64 v[134:137], v128 offset0:20 offset1:21
	v_dual_mov_b32 v18, v124 :: v_dual_mov_b32 v19, v127
	s_wait_dscnt 0x0
	v_pk_mul_f32 v[138:139], v[134:135], v[126:127] op_sel:[0,1]
	s_delay_alu instid0(VALU_DEP_1) | instskip(SKIP_1) | instid1(VALU_DEP_1)
	v_pk_fma_f32 v[140:141], v[134:135], v[124:125], v[138:139] op_sel:[0,0,1] op_sel_hi:[1,1,0] neg_lo:[0,0,1] neg_hi:[0,0,1]
	v_pk_fma_f32 v[134:135], v[134:135], v[124:125], v[138:139] op_sel:[0,0,1] op_sel_hi:[1,0,0]
	v_mov_b32_e32 v141, v135
	v_pk_mul_f32 v[134:135], v[136:137], v[126:127] op_sel:[0,1]
	s_delay_alu instid0(VALU_DEP_1) | instskip(SKIP_1) | instid1(VALU_DEP_1)
	v_pk_fma_f32 v[138:139], v[136:137], v[124:125], v[134:135] op_sel:[0,0,1] op_sel_hi:[1,1,0] neg_lo:[0,0,1] neg_hi:[0,0,1]
	v_pk_fma_f32 v[134:135], v[136:137], v[124:125], v[134:135] op_sel:[0,0,1] op_sel_hi:[1,0,0]
	v_mov_b32_e32 v139, v135
	ds_load_2addr_b64 v[134:137], v128 offset0:22 offset1:23
	v_pk_add_f32 v[52:53], v[52:53], v[140:141] neg_lo:[0,1] neg_hi:[0,1]
	v_pk_add_f32 v[50:51], v[50:51], v[138:139] neg_lo:[0,1] neg_hi:[0,1]
	s_wait_dscnt 0x0
	v_pk_mul_f32 v[138:139], v[134:135], v[126:127] op_sel:[0,1]
	s_delay_alu instid0(VALU_DEP_1) | instskip(SKIP_2) | instid1(VALU_DEP_2)
	v_pk_fma_f32 v[140:141], v[134:135], v[124:125], v[138:139] op_sel:[0,0,1] op_sel_hi:[1,1,0] neg_lo:[0,0,1] neg_hi:[0,0,1]
	v_pk_fma_f32 v[134:135], v[134:135], v[124:125], v[138:139] op_sel:[0,0,1] op_sel_hi:[1,0,0]
	v_dual_mul_f32 v138, v137, v127 :: v_dual_mov_b32 v134, v137
	v_dual_mov_b32 v141, v135 :: v_dual_mov_b32 v135, v136
	s_delay_alu instid0(VALU_DEP_2) | instskip(SKIP_1) | instid1(VALU_DEP_3)
	v_pk_fma_f32 v[138:139], v[136:137], v[18:19], v[138:139] op_sel_hi:[1,1,0] neg_lo:[0,0,1] neg_hi:[0,0,1]
	v_mul_f32_e32 v136, v137, v124
	v_pk_add_f32 v[28:29], v[28:29], v[140:141] neg_lo:[0,1] neg_hi:[0,1]
	s_delay_alu instid0(VALU_DEP_2) | instskip(NEXT) | instid1(VALU_DEP_1)
	v_pk_fma_f32 v[134:135], v[134:135], v[18:19], v[136:137] op_sel_hi:[1,1,0]
	v_mov_b32_e32 v139, v135
	ds_load_2addr_b64 v[134:137], v128 offset0:24 offset1:25
	v_pk_add_f32 v[26:27], v[26:27], v[138:139] neg_lo:[0,1] neg_hi:[0,1]
	s_wait_dscnt 0x0
	v_pk_mul_f32 v[138:139], v[134:135], v[126:127] op_sel:[0,1]
	s_delay_alu instid0(VALU_DEP_1) | instskip(SKIP_1) | instid1(VALU_DEP_1)
	v_pk_fma_f32 v[140:141], v[134:135], v[124:125], v[138:139] op_sel:[0,0,1] op_sel_hi:[1,1,0] neg_lo:[0,0,1] neg_hi:[0,0,1]
	v_pk_fma_f32 v[134:135], v[134:135], v[124:125], v[138:139] op_sel:[0,0,1] op_sel_hi:[1,0,0]
	v_mov_b32_e32 v141, v135
	v_pk_mul_f32 v[134:135], v[136:137], v[126:127] op_sel:[0,1]
	s_delay_alu instid0(VALU_DEP_1) | instskip(SKIP_1) | instid1(VALU_DEP_1)
	v_pk_fma_f32 v[138:139], v[136:137], v[124:125], v[134:135] op_sel:[0,0,1] op_sel_hi:[1,1,0] neg_lo:[0,0,1] neg_hi:[0,0,1]
	v_pk_fma_f32 v[134:135], v[136:137], v[124:125], v[134:135] op_sel:[0,0,1] op_sel_hi:[1,0,0]
	v_mov_b32_e32 v139, v135
	ds_load_2addr_b64 v[134:137], v128 offset0:26 offset1:27
	v_pk_add_f32 v[60:61], v[60:61], v[140:141] neg_lo:[0,1] neg_hi:[0,1]
	v_pk_add_f32 v[58:59], v[58:59], v[138:139] neg_lo:[0,1] neg_hi:[0,1]
	s_wait_dscnt 0x0
	v_pk_mul_f32 v[138:139], v[134:135], v[126:127] op_sel:[0,1]
	s_delay_alu instid0(VALU_DEP_1) | instskip(SKIP_1) | instid1(VALU_DEP_1)
	v_pk_fma_f32 v[140:141], v[134:135], v[124:125], v[138:139] op_sel:[0,0,1] op_sel_hi:[1,1,0] neg_lo:[0,0,1] neg_hi:[0,0,1]
	v_pk_fma_f32 v[134:135], v[134:135], v[124:125], v[138:139] op_sel:[0,0,1] op_sel_hi:[1,0,0]
	v_mov_b32_e32 v141, v135
	v_pk_mul_f32 v[134:135], v[136:137], v[126:127] op_sel:[0,1]
	s_delay_alu instid0(VALU_DEP_1) | instskip(SKIP_1) | instid1(VALU_DEP_1)
	v_pk_fma_f32 v[138:139], v[136:137], v[124:125], v[134:135] op_sel:[0,0,1] op_sel_hi:[1,1,0] neg_lo:[0,0,1] neg_hi:[0,0,1]
	v_pk_fma_f32 v[134:135], v[136:137], v[124:125], v[134:135] op_sel:[0,0,1] op_sel_hi:[1,0,0]
	v_mov_b32_e32 v139, v135
	ds_load_2addr_b64 v[134:137], v128 offset0:28 offset1:29
	v_pk_add_f32 v[38:39], v[38:39], v[140:141] neg_lo:[0,1] neg_hi:[0,1]
	v_pk_add_f32 v[36:37], v[36:37], v[138:139] neg_lo:[0,1] neg_hi:[0,1]
	s_wait_dscnt 0x0
	v_dual_mul_f32 v138, v135, v127 :: v_dual_mul_f32 v140, v135, v124
	s_delay_alu instid0(VALU_DEP_1) | instskip(NEXT) | instid1(VALU_DEP_2)
	v_pk_fma_f32 v[138:139], v[134:135], v[18:19], v[138:139] op_sel_hi:[1,1,0] neg_lo:[0,0,1] neg_hi:[0,0,1]
	v_pk_fma_f32 v[134:135], v[134:135], v[18:19], v[140:141] op_sel:[1,0,0] op_sel_hi:[0,1,0]
	s_delay_alu instid0(VALU_DEP_1) | instskip(SKIP_1) | instid1(VALU_DEP_2)
	v_mov_b32_e32 v139, v135
	v_pk_mul_f32 v[134:135], v[136:137], v[126:127] op_sel:[0,1]
	v_pk_add_f32 v[68:69], v[68:69], v[138:139] neg_lo:[0,1] neg_hi:[0,1]
	s_delay_alu instid0(VALU_DEP_2) | instskip(SKIP_1) | instid1(VALU_DEP_1)
	v_pk_fma_f32 v[138:139], v[136:137], v[124:125], v[134:135] op_sel:[0,0,1] op_sel_hi:[1,1,0] neg_lo:[0,0,1] neg_hi:[0,0,1]
	v_pk_fma_f32 v[134:135], v[136:137], v[124:125], v[134:135] op_sel:[0,0,1] op_sel_hi:[1,0,0]
	v_mov_b32_e32 v139, v135
	ds_load_2addr_b64 v[134:137], v128 offset0:30 offset1:31
	v_pk_add_f32 v[66:67], v[66:67], v[138:139] neg_lo:[0,1] neg_hi:[0,1]
	s_wait_dscnt 0x0
	v_pk_mul_f32 v[138:139], v[134:135], v[126:127] op_sel:[0,1]
	s_delay_alu instid0(VALU_DEP_1) | instskip(SKIP_1) | instid1(VALU_DEP_1)
	v_pk_fma_f32 v[140:141], v[134:135], v[124:125], v[138:139] op_sel:[0,0,1] op_sel_hi:[1,1,0] neg_lo:[0,0,1] neg_hi:[0,0,1]
	v_pk_fma_f32 v[134:135], v[134:135], v[124:125], v[138:139] op_sel:[0,0,1] op_sel_hi:[1,0,0]
	v_mov_b32_e32 v141, v135
	v_pk_mul_f32 v[134:135], v[136:137], v[126:127] op_sel:[0,1]
	s_delay_alu instid0(VALU_DEP_2) | instskip(NEXT) | instid1(VALU_DEP_2)
	v_pk_add_f32 v[48:49], v[48:49], v[140:141] neg_lo:[0,1] neg_hi:[0,1]
	v_pk_fma_f32 v[138:139], v[136:137], v[124:125], v[134:135] op_sel:[0,0,1] op_sel_hi:[1,1,0] neg_lo:[0,0,1] neg_hi:[0,0,1]
	v_pk_fma_f32 v[134:135], v[136:137], v[124:125], v[134:135] op_sel:[0,0,1] op_sel_hi:[1,0,0]
	s_delay_alu instid0(VALU_DEP_1) | instskip(SKIP_4) | instid1(VALU_DEP_1)
	v_mov_b32_e32 v139, v135
	ds_load_2addr_b64 v[134:137], v128 offset0:32 offset1:33
	v_pk_add_f32 v[46:47], v[46:47], v[138:139] neg_lo:[0,1] neg_hi:[0,1]
	s_wait_dscnt 0x0
	v_pk_mul_f32 v[138:139], v[134:135], v[126:127] op_sel:[0,1]
	v_pk_fma_f32 v[140:141], v[134:135], v[124:125], v[138:139] op_sel:[0,0,1] op_sel_hi:[1,1,0] neg_lo:[0,0,1] neg_hi:[0,0,1]
	v_pk_fma_f32 v[134:135], v[134:135], v[124:125], v[138:139] op_sel:[0,0,1] op_sel_hi:[1,0,0]
	v_dual_mul_f32 v138, v137, v127 :: v_dual_mov_b32 v134, v137
	s_delay_alu instid0(VALU_DEP_2) | instskip(NEXT) | instid1(VALU_DEP_2)
	v_dual_mov_b32 v141, v135 :: v_dual_mov_b32 v135, v136
	v_pk_fma_f32 v[138:139], v[136:137], v[18:19], v[138:139] op_sel_hi:[1,1,0] neg_lo:[0,0,1] neg_hi:[0,0,1]
	v_mul_f32_e32 v136, v137, v124
	s_delay_alu instid0(VALU_DEP_3) | instskip(NEXT) | instid1(VALU_DEP_2)
	v_pk_add_f32 v[78:79], v[78:79], v[140:141] neg_lo:[0,1] neg_hi:[0,1]
	v_pk_fma_f32 v[134:135], v[134:135], v[18:19], v[136:137] op_sel_hi:[1,1,0]
	s_delay_alu instid0(VALU_DEP_1) | instskip(SKIP_4) | instid1(VALU_DEP_1)
	v_mov_b32_e32 v139, v135
	ds_load_2addr_b64 v[134:137], v128 offset0:34 offset1:35
	v_pk_add_f32 v[76:77], v[76:77], v[138:139] neg_lo:[0,1] neg_hi:[0,1]
	s_wait_dscnt 0x0
	v_pk_mul_f32 v[138:139], v[134:135], v[126:127] op_sel:[0,1]
	v_pk_fma_f32 v[140:141], v[134:135], v[124:125], v[138:139] op_sel:[0,0,1] op_sel_hi:[1,1,0] neg_lo:[0,0,1] neg_hi:[0,0,1]
	v_pk_fma_f32 v[134:135], v[134:135], v[124:125], v[138:139] op_sel:[0,0,1] op_sel_hi:[1,0,0]
	s_delay_alu instid0(VALU_DEP_1) | instskip(SKIP_1) | instid1(VALU_DEP_1)
	v_mov_b32_e32 v141, v135
	v_pk_mul_f32 v[134:135], v[136:137], v[126:127] op_sel:[0,1]
	v_pk_fma_f32 v[138:139], v[136:137], v[124:125], v[134:135] op_sel:[0,0,1] op_sel_hi:[1,1,0] neg_lo:[0,0,1] neg_hi:[0,0,1]
	v_pk_fma_f32 v[134:135], v[136:137], v[124:125], v[134:135] op_sel:[0,0,1] op_sel_hi:[1,0,0]
	s_delay_alu instid0(VALU_DEP_1)
	v_mov_b32_e32 v139, v135
	ds_load_2addr_b64 v[134:137], v128 offset0:36 offset1:37
	v_pk_add_f32 v[56:57], v[56:57], v[140:141] neg_lo:[0,1] neg_hi:[0,1]
	v_pk_add_f32 v[54:55], v[54:55], v[138:139] neg_lo:[0,1] neg_hi:[0,1]
	s_wait_dscnt 0x0
	v_pk_mul_f32 v[138:139], v[134:135], v[126:127] op_sel:[0,1]
	s_delay_alu instid0(VALU_DEP_1) | instskip(SKIP_1) | instid1(VALU_DEP_1)
	v_pk_fma_f32 v[140:141], v[134:135], v[124:125], v[138:139] op_sel:[0,0,1] op_sel_hi:[1,1,0] neg_lo:[0,0,1] neg_hi:[0,0,1]
	v_pk_fma_f32 v[134:135], v[134:135], v[124:125], v[138:139] op_sel:[0,0,1] op_sel_hi:[1,0,0]
	v_mov_b32_e32 v141, v135
	v_pk_mul_f32 v[134:135], v[136:137], v[126:127] op_sel:[0,1]
	s_delay_alu instid0(VALU_DEP_1) | instskip(SKIP_1) | instid1(VALU_DEP_1)
	v_pk_fma_f32 v[138:139], v[136:137], v[124:125], v[134:135] op_sel:[0,0,1] op_sel_hi:[1,1,0] neg_lo:[0,0,1] neg_hi:[0,0,1]
	v_pk_fma_f32 v[134:135], v[136:137], v[124:125], v[134:135] op_sel:[0,0,1] op_sel_hi:[1,0,0]
	v_mov_b32_e32 v139, v135
	ds_load_2addr_b64 v[134:137], v128 offset0:38 offset1:39
	v_pk_add_f32 v[88:89], v[88:89], v[140:141] neg_lo:[0,1] neg_hi:[0,1]
	v_pk_add_f32 v[86:87], v[86:87], v[138:139] neg_lo:[0,1] neg_hi:[0,1]
	s_wait_dscnt 0x0
	v_dual_mul_f32 v138, v135, v127 :: v_dual_mul_f32 v140, v135, v124
	s_delay_alu instid0(VALU_DEP_1) | instskip(NEXT) | instid1(VALU_DEP_2)
	v_pk_fma_f32 v[138:139], v[134:135], v[18:19], v[138:139] op_sel_hi:[1,1,0] neg_lo:[0,0,1] neg_hi:[0,0,1]
	v_pk_fma_f32 v[134:135], v[134:135], v[18:19], v[140:141] op_sel:[1,0,0] op_sel_hi:[0,1,0]
	s_delay_alu instid0(VALU_DEP_1) | instskip(SKIP_1) | instid1(VALU_DEP_2)
	v_mov_b32_e32 v139, v135
	v_pk_mul_f32 v[134:135], v[136:137], v[126:127] op_sel:[0,1]
	v_pk_add_f32 v[64:65], v[64:65], v[138:139] neg_lo:[0,1] neg_hi:[0,1]
	s_delay_alu instid0(VALU_DEP_2) | instskip(SKIP_1) | instid1(VALU_DEP_1)
	v_pk_fma_f32 v[138:139], v[136:137], v[124:125], v[134:135] op_sel:[0,0,1] op_sel_hi:[1,1,0] neg_lo:[0,0,1] neg_hi:[0,0,1]
	v_pk_fma_f32 v[134:135], v[136:137], v[124:125], v[134:135] op_sel:[0,0,1] op_sel_hi:[1,0,0]
	v_mov_b32_e32 v139, v135
	ds_load_2addr_b64 v[134:137], v128 offset0:40 offset1:41
	v_pk_add_f32 v[62:63], v[62:63], v[138:139] neg_lo:[0,1] neg_hi:[0,1]
	s_wait_dscnt 0x0
	v_pk_mul_f32 v[138:139], v[134:135], v[126:127] op_sel:[0,1]
	s_delay_alu instid0(VALU_DEP_1) | instskip(SKIP_1) | instid1(VALU_DEP_1)
	v_pk_fma_f32 v[140:141], v[134:135], v[124:125], v[138:139] op_sel:[0,0,1] op_sel_hi:[1,1,0] neg_lo:[0,0,1] neg_hi:[0,0,1]
	v_pk_fma_f32 v[134:135], v[134:135], v[124:125], v[138:139] op_sel:[0,0,1] op_sel_hi:[1,0,0]
	v_mov_b32_e32 v141, v135
	v_pk_mul_f32 v[134:135], v[136:137], v[126:127] op_sel:[0,1]
	s_delay_alu instid0(VALU_DEP_2) | instskip(NEXT) | instid1(VALU_DEP_2)
	v_pk_add_f32 v[102:103], v[102:103], v[140:141] neg_lo:[0,1] neg_hi:[0,1]
	v_pk_fma_f32 v[138:139], v[136:137], v[124:125], v[134:135] op_sel:[0,0,1] op_sel_hi:[1,1,0] neg_lo:[0,0,1] neg_hi:[0,0,1]
	v_pk_fma_f32 v[134:135], v[136:137], v[124:125], v[134:135] op_sel:[0,0,1] op_sel_hi:[1,0,0]
	s_delay_alu instid0(VALU_DEP_1) | instskip(SKIP_4) | instid1(VALU_DEP_1)
	v_mov_b32_e32 v139, v135
	ds_load_2addr_b64 v[134:137], v128 offset0:42 offset1:43
	v_pk_add_f32 v[100:101], v[100:101], v[138:139] neg_lo:[0,1] neg_hi:[0,1]
	s_wait_dscnt 0x0
	v_pk_mul_f32 v[138:139], v[134:135], v[126:127] op_sel:[0,1]
	v_pk_fma_f32 v[140:141], v[134:135], v[124:125], v[138:139] op_sel:[0,0,1] op_sel_hi:[1,1,0] neg_lo:[0,0,1] neg_hi:[0,0,1]
	v_pk_fma_f32 v[134:135], v[134:135], v[124:125], v[138:139] op_sel:[0,0,1] op_sel_hi:[1,0,0]
	v_dual_mul_f32 v138, v137, v127 :: v_dual_mov_b32 v134, v137
	s_delay_alu instid0(VALU_DEP_2) | instskip(NEXT) | instid1(VALU_DEP_2)
	v_dual_mov_b32 v141, v135 :: v_dual_mov_b32 v135, v136
	v_pk_fma_f32 v[138:139], v[136:137], v[18:19], v[138:139] op_sel_hi:[1,1,0] neg_lo:[0,0,1] neg_hi:[0,0,1]
	v_mul_f32_e32 v136, v137, v124
	s_delay_alu instid0(VALU_DEP_3) | instskip(NEXT) | instid1(VALU_DEP_2)
	v_pk_add_f32 v[72:73], v[72:73], v[140:141] neg_lo:[0,1] neg_hi:[0,1]
	v_pk_fma_f32 v[134:135], v[134:135], v[18:19], v[136:137] op_sel_hi:[1,1,0]
	s_delay_alu instid0(VALU_DEP_1) | instskip(SKIP_4) | instid1(VALU_DEP_1)
	v_mov_b32_e32 v139, v135
	ds_load_2addr_b64 v[134:137], v128 offset0:44 offset1:45
	v_pk_add_f32 v[70:71], v[70:71], v[138:139] neg_lo:[0,1] neg_hi:[0,1]
	s_wait_dscnt 0x0
	v_pk_mul_f32 v[138:139], v[134:135], v[126:127] op_sel:[0,1]
	v_pk_fma_f32 v[140:141], v[134:135], v[124:125], v[138:139] op_sel:[0,0,1] op_sel_hi:[1,1,0] neg_lo:[0,0,1] neg_hi:[0,0,1]
	v_pk_fma_f32 v[134:135], v[134:135], v[124:125], v[138:139] op_sel:[0,0,1] op_sel_hi:[1,0,0]
	s_delay_alu instid0(VALU_DEP_1) | instskip(SKIP_1) | instid1(VALU_DEP_1)
	v_mov_b32_e32 v141, v135
	v_pk_mul_f32 v[134:135], v[136:137], v[126:127] op_sel:[0,1]
	v_pk_fma_f32 v[138:139], v[136:137], v[124:125], v[134:135] op_sel:[0,0,1] op_sel_hi:[1,1,0] neg_lo:[0,0,1] neg_hi:[0,0,1]
	v_pk_fma_f32 v[134:135], v[136:137], v[124:125], v[134:135] op_sel:[0,0,1] op_sel_hi:[1,0,0]
	s_delay_alu instid0(VALU_DEP_1)
	v_mov_b32_e32 v139, v135
	ds_load_2addr_b64 v[134:137], v128 offset0:46 offset1:47
	v_pk_add_f32 v[110:111], v[110:111], v[140:141] neg_lo:[0,1] neg_hi:[0,1]
	v_pk_add_f32 v[108:109], v[108:109], v[138:139] neg_lo:[0,1] neg_hi:[0,1]
	s_wait_dscnt 0x0
	v_pk_mul_f32 v[138:139], v[134:135], v[126:127] op_sel:[0,1]
	s_delay_alu instid0(VALU_DEP_1) | instskip(SKIP_1) | instid1(VALU_DEP_1)
	v_pk_fma_f32 v[140:141], v[134:135], v[124:125], v[138:139] op_sel:[0,0,1] op_sel_hi:[1,1,0] neg_lo:[0,0,1] neg_hi:[0,0,1]
	v_pk_fma_f32 v[134:135], v[134:135], v[124:125], v[138:139] op_sel:[0,0,1] op_sel_hi:[1,0,0]
	v_mov_b32_e32 v141, v135
	v_pk_mul_f32 v[134:135], v[136:137], v[126:127] op_sel:[0,1]
	s_delay_alu instid0(VALU_DEP_1) | instskip(SKIP_1) | instid1(VALU_DEP_1)
	v_pk_fma_f32 v[138:139], v[136:137], v[124:125], v[134:135] op_sel:[0,0,1] op_sel_hi:[1,1,0] neg_lo:[0,0,1] neg_hi:[0,0,1]
	v_pk_fma_f32 v[134:135], v[136:137], v[124:125], v[134:135] op_sel:[0,0,1] op_sel_hi:[1,0,0]
	v_mov_b32_e32 v139, v135
	ds_load_2addr_b64 v[134:137], v128 offset0:48 offset1:49
	v_pk_add_f32 v[82:83], v[82:83], v[140:141] neg_lo:[0,1] neg_hi:[0,1]
	v_pk_add_f32 v[80:81], v[80:81], v[138:139] neg_lo:[0,1] neg_hi:[0,1]
	s_wait_dscnt 0x0
	v_dual_mul_f32 v138, v135, v127 :: v_dual_mul_f32 v140, v135, v124
	s_delay_alu instid0(VALU_DEP_1) | instskip(NEXT) | instid1(VALU_DEP_2)
	v_pk_fma_f32 v[138:139], v[134:135], v[18:19], v[138:139] op_sel_hi:[1,1,0] neg_lo:[0,0,1] neg_hi:[0,0,1]
	v_pk_fma_f32 v[134:135], v[134:135], v[18:19], v[140:141] op_sel:[1,0,0] op_sel_hi:[0,1,0]
	s_delay_alu instid0(VALU_DEP_1) | instskip(SKIP_1) | instid1(VALU_DEP_2)
	v_mov_b32_e32 v139, v135
	v_pk_mul_f32 v[134:135], v[136:137], v[126:127] op_sel:[0,1]
	v_pk_add_f32 v[120:121], v[120:121], v[138:139] neg_lo:[0,1] neg_hi:[0,1]
	s_delay_alu instid0(VALU_DEP_2) | instskip(SKIP_1) | instid1(VALU_DEP_1)
	v_pk_fma_f32 v[138:139], v[136:137], v[124:125], v[134:135] op_sel:[0,0,1] op_sel_hi:[1,1,0] neg_lo:[0,0,1] neg_hi:[0,0,1]
	v_pk_fma_f32 v[134:135], v[136:137], v[124:125], v[134:135] op_sel:[0,0,1] op_sel_hi:[1,0,0]
	v_mov_b32_e32 v139, v135
	ds_load_2addr_b64 v[134:137], v128 offset0:50 offset1:51
	v_pk_add_f32 v[118:119], v[118:119], v[138:139] neg_lo:[0,1] neg_hi:[0,1]
	s_wait_dscnt 0x0
	v_pk_mul_f32 v[138:139], v[134:135], v[126:127] op_sel:[0,1]
	s_delay_alu instid0(VALU_DEP_1) | instskip(SKIP_1) | instid1(VALU_DEP_1)
	v_pk_fma_f32 v[140:141], v[134:135], v[124:125], v[138:139] op_sel:[0,0,1] op_sel_hi:[1,1,0] neg_lo:[0,0,1] neg_hi:[0,0,1]
	v_pk_fma_f32 v[134:135], v[134:135], v[124:125], v[138:139] op_sel:[0,0,1] op_sel_hi:[1,0,0]
	v_mov_b32_e32 v141, v135
	v_pk_mul_f32 v[134:135], v[136:137], v[126:127] op_sel:[0,1]
	s_delay_alu instid0(VALU_DEP_2) | instskip(NEXT) | instid1(VALU_DEP_2)
	v_pk_add_f32 v[94:95], v[94:95], v[140:141] neg_lo:[0,1] neg_hi:[0,1]
	v_pk_fma_f32 v[138:139], v[136:137], v[124:125], v[134:135] op_sel:[0,0,1] op_sel_hi:[1,1,0] neg_lo:[0,0,1] neg_hi:[0,0,1]
	v_pk_fma_f32 v[134:135], v[136:137], v[124:125], v[134:135] op_sel:[0,0,1] op_sel_hi:[1,0,0]
	s_delay_alu instid0(VALU_DEP_1) | instskip(SKIP_4) | instid1(VALU_DEP_1)
	v_mov_b32_e32 v139, v135
	ds_load_2addr_b64 v[134:137], v128 offset0:52 offset1:53
	v_pk_add_f32 v[96:97], v[96:97], v[138:139] neg_lo:[0,1] neg_hi:[0,1]
	s_wait_dscnt 0x0
	v_pk_mul_f32 v[138:139], v[134:135], v[126:127] op_sel:[0,1]
	v_pk_fma_f32 v[140:141], v[134:135], v[124:125], v[138:139] op_sel:[0,0,1] op_sel_hi:[1,1,0] neg_lo:[0,0,1] neg_hi:[0,0,1]
	v_pk_fma_f32 v[134:135], v[134:135], v[124:125], v[138:139] op_sel:[0,0,1] op_sel_hi:[1,0,0]
	v_dual_mul_f32 v138, v137, v127 :: v_dual_mov_b32 v134, v137
	s_delay_alu instid0(VALU_DEP_2) | instskip(NEXT) | instid1(VALU_DEP_2)
	v_dual_mov_b32 v141, v135 :: v_dual_mov_b32 v135, v136
	v_pk_fma_f32 v[138:139], v[136:137], v[18:19], v[138:139] op_sel_hi:[1,1,0] neg_lo:[0,0,1] neg_hi:[0,0,1]
	v_mul_f32_e32 v136, v137, v124
	s_delay_alu instid0(VALU_DEP_3) | instskip(NEXT) | instid1(VALU_DEP_2)
	v_pk_add_f32 v[114:115], v[114:115], v[140:141] neg_lo:[0,1] neg_hi:[0,1]
	v_pk_fma_f32 v[134:135], v[134:135], v[18:19], v[136:137] op_sel_hi:[1,1,0]
	s_delay_alu instid0(VALU_DEP_1) | instskip(SKIP_4) | instid1(VALU_DEP_1)
	v_mov_b32_e32 v139, v135
	ds_load_2addr_b64 v[134:137], v128 offset0:54 offset1:55
	v_pk_add_f32 v[112:113], v[112:113], v[138:139] neg_lo:[0,1] neg_hi:[0,1]
	s_wait_dscnt 0x0
	v_pk_mul_f32 v[138:139], v[134:135], v[126:127] op_sel:[0,1]
	v_pk_fma_f32 v[140:141], v[134:135], v[124:125], v[138:139] op_sel:[0,0,1] op_sel_hi:[1,1,0] neg_lo:[0,0,1] neg_hi:[0,0,1]
	v_pk_fma_f32 v[134:135], v[134:135], v[124:125], v[138:139] op_sel:[0,0,1] op_sel_hi:[1,0,0]
	s_delay_alu instid0(VALU_DEP_1) | instskip(SKIP_1) | instid1(VALU_DEP_1)
	v_mov_b32_e32 v141, v135
	v_pk_mul_f32 v[134:135], v[136:137], v[126:127] op_sel:[0,1]
	v_pk_fma_f32 v[138:139], v[136:137], v[124:125], v[134:135] op_sel:[0,0,1] op_sel_hi:[1,1,0] neg_lo:[0,0,1] neg_hi:[0,0,1]
	v_pk_fma_f32 v[134:135], v[136:137], v[124:125], v[134:135] op_sel:[0,0,1] op_sel_hi:[1,0,0]
	s_delay_alu instid0(VALU_DEP_1)
	v_mov_b32_e32 v139, v135
	ds_load_2addr_b64 v[134:137], v128 offset0:56 offset1:57
	v_pk_add_f32 v[92:93], v[92:93], v[140:141] neg_lo:[0,1] neg_hi:[0,1]
	v_pk_add_f32 v[90:91], v[90:91], v[138:139] neg_lo:[0,1] neg_hi:[0,1]
	s_wait_dscnt 0x0
	v_pk_mul_f32 v[138:139], v[134:135], v[126:127] op_sel:[0,1]
	s_delay_alu instid0(VALU_DEP_1) | instskip(SKIP_1) | instid1(VALU_DEP_1)
	v_pk_fma_f32 v[140:141], v[134:135], v[124:125], v[138:139] op_sel:[0,0,1] op_sel_hi:[1,1,0] neg_lo:[0,0,1] neg_hi:[0,0,1]
	v_pk_fma_f32 v[134:135], v[134:135], v[124:125], v[138:139] op_sel:[0,0,1] op_sel_hi:[1,0,0]
	v_mov_b32_e32 v141, v135
	v_pk_mul_f32 v[134:135], v[136:137], v[126:127] op_sel:[0,1]
	s_delay_alu instid0(VALU_DEP_1) | instskip(SKIP_1) | instid1(VALU_DEP_1)
	v_pk_fma_f32 v[138:139], v[136:137], v[124:125], v[134:135] op_sel:[0,0,1] op_sel_hi:[1,1,0] neg_lo:[0,0,1] neg_hi:[0,0,1]
	v_pk_fma_f32 v[134:135], v[136:137], v[124:125], v[134:135] op_sel:[0,0,1] op_sel_hi:[1,0,0]
	v_mov_b32_e32 v139, v135
	ds_load_b64 v[134:135], v128 offset:464
	v_pk_add_f32 v[104:105], v[104:105], v[140:141] neg_lo:[0,1] neg_hi:[0,1]
	v_pk_add_f32 v[98:99], v[98:99], v[138:139] neg_lo:[0,1] neg_hi:[0,1]
	s_wait_dscnt 0x0
	v_pk_mul_f32 v[126:127], v[134:135], v[126:127] op_sel:[0,1]
	s_delay_alu instid0(VALU_DEP_1) | instskip(SKIP_1) | instid1(VALU_DEP_1)
	v_pk_fma_f32 v[136:137], v[134:135], v[124:125], v[126:127] op_sel:[0,0,1] op_sel_hi:[1,1,0] neg_lo:[0,0,1] neg_hi:[0,0,1]
	v_pk_fma_f32 v[124:125], v[134:135], v[124:125], v[126:127] op_sel:[0,0,1] op_sel_hi:[1,0,0]
	v_mov_b32_e32 v137, v125
	s_delay_alu instid0(VALU_DEP_1)
	v_pk_add_f32 v[122:123], v[122:123], v[136:137] neg_lo:[0,1] neg_hi:[0,1]
.LBB116_419:
	s_or_b32 exec_lo, exec_lo, s0
	v_lshl_add_u32 v124, v132, 3, v128
	s_barrier_signal -1
	s_barrier_wait -1
	ds_store_b64 v124, v[52:53]
	s_wait_dscnt 0x0
	s_barrier_signal -1
	s_barrier_wait -1
	ds_load_b64 v[126:127], v128 offset:160
	v_mov_b32_e32 v124, 20
	s_cmp_lt_i32 s18, 22
	s_cbranch_scc1 .LBB116_422
; %bb.420:
	v_add3_u32 v125, v129, 0, 0xa8
	v_mov_b32_e32 v124, 20
	s_mov_b32 s0, 21
.LBB116_421:                            ; =>This Inner Loop Header: Depth=1
	ds_load_b64 v[134:135], v125
	s_wait_dscnt 0x1
	v_cmp_gt_f32_e32 vcc_lo, 0, v126
	v_cndmask_b32_e64 v136, v126, -v126, vcc_lo
	v_cmp_gt_f32_e32 vcc_lo, 0, v127
	v_cndmask_b32_e64 v138, v127, -v127, vcc_lo
	s_wait_dscnt 0x0
	v_cmp_gt_f32_e32 vcc_lo, 0, v134
	v_cndmask_b32_e64 v137, v134, -v134, vcc_lo
	v_cmp_gt_f32_e32 vcc_lo, 0, v135
	v_cndmask_b32_e64 v139, v135, -v135, vcc_lo
	s_delay_alu instid0(VALU_DEP_1) | instskip(NEXT) | instid1(VALU_DEP_1)
	v_pk_add_f32 v[136:137], v[136:137], v[138:139]
	v_cmp_lt_f32_e32 vcc_lo, v136, v137
	v_dual_add_nc_u32 v125, 8, v125 :: v_dual_cndmask_b32 v127, v127, v135, vcc_lo
	v_cndmask_b32_e32 v126, v126, v134, vcc_lo
	v_cndmask_b32_e64 v124, v124, s0, vcc_lo
	s_add_co_i32 s0, s0, 1
	s_delay_alu instid0(SALU_CYCLE_1)
	s_cmp_lg_u32 s18, s0
	s_cbranch_scc1 .LBB116_421
.LBB116_422:
	s_wait_dscnt 0x0
	v_cmp_eq_f32_e32 vcc_lo, 0, v126
	v_cmp_eq_f32_e64 s0, 0, v127
	s_and_b32 s0, vcc_lo, s0
	s_delay_alu instid0(SALU_CYCLE_1) | instskip(NEXT) | instid1(SALU_CYCLE_1)
	s_and_saveexec_b32 s1, s0
	s_xor_b32 s0, exec_lo, s1
; %bb.423:
	v_cmp_ne_u32_e32 vcc_lo, 0, v130
	v_cndmask_b32_e32 v130, 21, v130, vcc_lo
; %bb.424:
	s_and_not1_saveexec_b32 s0, s0
	s_cbranch_execz .LBB116_430
; %bb.425:
	v_cmp_ngt_f32_e64 s1, |v126|, |v127|
	s_and_saveexec_b32 s12, s1
	s_delay_alu instid0(SALU_CYCLE_1)
	s_xor_b32 s1, exec_lo, s12
	s_cbranch_execz .LBB116_427
; %bb.426:
	v_div_scale_f32 v125, null, v127, v127, v126
	v_div_scale_f32 v135, vcc_lo, v126, v127, v126
	s_delay_alu instid0(VALU_DEP_2) | instskip(SKIP_1) | instid1(TRANS32_DEP_1)
	v_rcp_f32_e32 v133, v125
	v_nop
	v_fma_f32 v134, -v125, v133, 1.0
	s_delay_alu instid0(VALU_DEP_1) | instskip(NEXT) | instid1(VALU_DEP_1)
	v_fmac_f32_e32 v133, v134, v133
	v_mul_f32_e32 v134, v135, v133
	s_delay_alu instid0(VALU_DEP_1) | instskip(NEXT) | instid1(VALU_DEP_1)
	v_fma_f32 v136, -v125, v134, v135
	v_fmac_f32_e32 v134, v136, v133
	s_delay_alu instid0(VALU_DEP_1) | instskip(NEXT) | instid1(VALU_DEP_1)
	v_fma_f32 v125, -v125, v134, v135
	v_div_fmas_f32 v125, v125, v133, v134
	s_delay_alu instid0(VALU_DEP_1) | instskip(NEXT) | instid1(VALU_DEP_1)
	v_div_fixup_f32 v125, v125, v127, v126
	v_fmac_f32_e32 v127, v126, v125
	s_delay_alu instid0(VALU_DEP_1) | instskip(SKIP_1) | instid1(VALU_DEP_2)
	v_div_scale_f32 v126, null, v127, v127, 1.0
	v_div_scale_f32 v135, vcc_lo, 1.0, v127, 1.0
	v_rcp_f32_e32 v133, v126
	v_nop
	s_delay_alu instid0(TRANS32_DEP_1) | instskip(NEXT) | instid1(VALU_DEP_1)
	v_fma_f32 v134, -v126, v133, 1.0
	v_fmac_f32_e32 v133, v134, v133
	s_delay_alu instid0(VALU_DEP_1) | instskip(NEXT) | instid1(VALU_DEP_1)
	v_mul_f32_e32 v134, v135, v133
	v_fma_f32 v136, -v126, v134, v135
	s_delay_alu instid0(VALU_DEP_1) | instskip(NEXT) | instid1(VALU_DEP_1)
	v_fmac_f32_e32 v134, v136, v133
	v_fma_f32 v126, -v126, v134, v135
	s_delay_alu instid0(VALU_DEP_1) | instskip(NEXT) | instid1(VALU_DEP_1)
	v_div_fmas_f32 v126, v126, v133, v134
	v_div_fixup_f32 v127, v126, v127, 1.0
	s_delay_alu instid0(VALU_DEP_1)
	v_mul_f32_e32 v126, v125, v127
	v_xor_b32_e32 v127, 0x80000000, v127
.LBB116_427:
	s_and_not1_saveexec_b32 s1, s1
	s_cbranch_execz .LBB116_429
; %bb.428:
	s_delay_alu instid0(VALU_DEP_1) | instskip(SKIP_1) | instid1(VALU_DEP_2)
	v_div_scale_f32 v125, null, v126, v126, v127
	v_div_scale_f32 v135, vcc_lo, v127, v126, v127
	v_rcp_f32_e32 v133, v125
	v_nop
	s_delay_alu instid0(TRANS32_DEP_1) | instskip(NEXT) | instid1(VALU_DEP_1)
	v_fma_f32 v134, -v125, v133, 1.0
	v_fmac_f32_e32 v133, v134, v133
	s_delay_alu instid0(VALU_DEP_1) | instskip(NEXT) | instid1(VALU_DEP_1)
	v_mul_f32_e32 v134, v135, v133
	v_fma_f32 v136, -v125, v134, v135
	s_delay_alu instid0(VALU_DEP_1) | instskip(NEXT) | instid1(VALU_DEP_1)
	v_fmac_f32_e32 v134, v136, v133
	v_fma_f32 v125, -v125, v134, v135
	s_delay_alu instid0(VALU_DEP_1) | instskip(NEXT) | instid1(VALU_DEP_1)
	v_div_fmas_f32 v125, v125, v133, v134
	v_div_fixup_f32 v125, v125, v126, v127
	s_delay_alu instid0(VALU_DEP_1) | instskip(NEXT) | instid1(VALU_DEP_1)
	v_fmac_f32_e32 v126, v127, v125
	v_div_scale_f32 v127, null, v126, v126, 1.0
	s_delay_alu instid0(VALU_DEP_1) | instskip(SKIP_1) | instid1(TRANS32_DEP_1)
	v_rcp_f32_e32 v133, v127
	v_nop
	v_fma_f32 v134, -v127, v133, 1.0
	s_delay_alu instid0(VALU_DEP_1) | instskip(SKIP_1) | instid1(VALU_DEP_1)
	v_fmac_f32_e32 v133, v134, v133
	v_div_scale_f32 v134, vcc_lo, 1.0, v126, 1.0
	v_mul_f32_e32 v135, v134, v133
	s_delay_alu instid0(VALU_DEP_1) | instskip(NEXT) | instid1(VALU_DEP_1)
	v_fma_f32 v136, -v127, v135, v134
	v_fmac_f32_e32 v135, v136, v133
	s_delay_alu instid0(VALU_DEP_1) | instskip(NEXT) | instid1(VALU_DEP_1)
	v_fma_f32 v127, -v127, v135, v134
	v_div_fmas_f32 v127, v127, v133, v135
	s_delay_alu instid0(VALU_DEP_1) | instskip(NEXT) | instid1(VALU_DEP_1)
	v_div_fixup_f32 v126, v127, v126, 1.0
	v_mul_f32_e64 v127, v125, -v126
.LBB116_429:
	s_or_b32 exec_lo, exec_lo, s1
.LBB116_430:
	s_delay_alu instid0(SALU_CYCLE_1) | instskip(NEXT) | instid1(SALU_CYCLE_1)
	s_or_b32 exec_lo, exec_lo, s0
	s_mov_b32 s0, exec_lo
	v_cmpx_ne_u32_e64 v132, v124
	s_xor_b32 s0, exec_lo, s0
	s_cbranch_execz .LBB116_436
; %bb.431:
	s_mov_b32 s1, exec_lo
	v_cmpx_eq_u32_e32 20, v132
	s_cbranch_execz .LBB116_435
; %bb.432:
	v_cmp_ne_u32_e32 vcc_lo, 20, v124
	s_xor_b32 s12, s16, -1
	s_delay_alu instid0(SALU_CYCLE_1) | instskip(NEXT) | instid1(SALU_CYCLE_1)
	s_and_b32 s13, s12, vcc_lo
	s_and_saveexec_b32 s12, s13
	s_cbranch_execz .LBB116_434
; %bb.433:
	v_ashrrev_i32_e32 v125, 31, v124
	s_delay_alu instid0(VALU_DEP_1)
	v_lshl_add_u64 v[132:133], v[124:125], 2, v[4:5]
	s_clause 0x1
	global_load_b32 v125, v[132:133], off
	global_load_b32 v131, v[4:5], off offset:80
	s_wait_loadcnt 0x1
	global_store_b32 v[4:5], v125, off offset:80
	s_wait_loadcnt 0x0
	global_store_b32 v[132:133], v131, off
.LBB116_434:
	s_wait_xcnt 0x0
	s_or_b32 exec_lo, exec_lo, s12
	v_dual_mov_b32 v132, v124 :: v_dual_mov_b32 v131, v124
.LBB116_435:
	s_or_b32 exec_lo, exec_lo, s1
.LBB116_436:
	s_and_not1_saveexec_b32 s0, s0
	s_cbranch_execz .LBB116_438
; %bb.437:
	v_mov_b32_e32 v132, 20
	ds_store_2addr_b64 v128, v[50:51], v[28:29] offset0:21 offset1:22
	ds_store_2addr_b64 v128, v[26:27], v[60:61] offset0:23 offset1:24
	;; [unrolled: 1-line block ×19, first 2 shown]
.LBB116_438:
	s_or_b32 exec_lo, exec_lo, s0
	s_delay_alu instid0(SALU_CYCLE_1)
	s_mov_b32 s0, exec_lo
	s_wait_storecnt_dscnt 0x0
	s_barrier_signal -1
	s_barrier_wait -1
	v_cmpx_lt_i32_e32 20, v132
	s_cbranch_execz .LBB116_440
; %bb.439:
	v_pk_mul_f32 v[134:135], v[126:127], v[52:53] op_sel:[1,1] op_sel_hi:[0,1]
	s_delay_alu instid0(VALU_DEP_1)
	v_pk_fma_f32 v[124:125], v[126:127], v[52:53], v[134:135] op_sel_hi:[1,0,1] neg_lo:[0,0,1] neg_hi:[0,0,1]
	v_pk_fma_f32 v[126:127], v[126:127], v[52:53], v[134:135] op_sel_hi:[1,0,1]
	ds_load_2addr_b64 v[134:137], v128 offset0:21 offset1:22
	v_dual_mov_b32 v52, v124 :: v_dual_mov_b32 v53, v127
	s_wait_dscnt 0x0
	v_pk_mul_f32 v[138:139], v[134:135], v[126:127] op_sel:[0,1]
	s_delay_alu instid0(VALU_DEP_1) | instskip(SKIP_1) | instid1(VALU_DEP_1)
	v_pk_fma_f32 v[140:141], v[134:135], v[124:125], v[138:139] op_sel:[0,0,1] op_sel_hi:[1,1,0] neg_lo:[0,0,1] neg_hi:[0,0,1]
	v_pk_fma_f32 v[134:135], v[134:135], v[124:125], v[138:139] op_sel:[0,0,1] op_sel_hi:[1,0,0]
	v_mov_b32_e32 v141, v135
	v_pk_mul_f32 v[134:135], v[136:137], v[126:127] op_sel:[0,1]
	s_delay_alu instid0(VALU_DEP_1) | instskip(SKIP_1) | instid1(VALU_DEP_1)
	v_pk_fma_f32 v[138:139], v[136:137], v[124:125], v[134:135] op_sel:[0,0,1] op_sel_hi:[1,1,0] neg_lo:[0,0,1] neg_hi:[0,0,1]
	v_pk_fma_f32 v[134:135], v[136:137], v[124:125], v[134:135] op_sel:[0,0,1] op_sel_hi:[1,0,0]
	v_mov_b32_e32 v139, v135
	ds_load_2addr_b64 v[134:137], v128 offset0:23 offset1:24
	v_pk_add_f32 v[50:51], v[50:51], v[140:141] neg_lo:[0,1] neg_hi:[0,1]
	v_pk_add_f32 v[28:29], v[28:29], v[138:139] neg_lo:[0,1] neg_hi:[0,1]
	s_wait_dscnt 0x0
	v_pk_mul_f32 v[138:139], v[134:135], v[126:127] op_sel:[0,1]
	s_delay_alu instid0(VALU_DEP_1) | instskip(SKIP_2) | instid1(VALU_DEP_2)
	v_pk_fma_f32 v[140:141], v[134:135], v[124:125], v[138:139] op_sel:[0,0,1] op_sel_hi:[1,1,0] neg_lo:[0,0,1] neg_hi:[0,0,1]
	v_pk_fma_f32 v[134:135], v[134:135], v[124:125], v[138:139] op_sel:[0,0,1] op_sel_hi:[1,0,0]
	v_dual_mul_f32 v138, v137, v127 :: v_dual_mov_b32 v134, v137
	v_dual_mov_b32 v141, v135 :: v_dual_mov_b32 v135, v136
	s_delay_alu instid0(VALU_DEP_2) | instskip(SKIP_1) | instid1(VALU_DEP_3)
	v_pk_fma_f32 v[138:139], v[136:137], v[52:53], v[138:139] op_sel_hi:[1,1,0] neg_lo:[0,0,1] neg_hi:[0,0,1]
	v_mul_f32_e32 v136, v137, v124
	v_pk_add_f32 v[26:27], v[26:27], v[140:141] neg_lo:[0,1] neg_hi:[0,1]
	s_delay_alu instid0(VALU_DEP_2) | instskip(NEXT) | instid1(VALU_DEP_1)
	v_pk_fma_f32 v[134:135], v[134:135], v[52:53], v[136:137] op_sel_hi:[1,1,0]
	v_mov_b32_e32 v139, v135
	ds_load_2addr_b64 v[134:137], v128 offset0:25 offset1:26
	v_pk_add_f32 v[60:61], v[60:61], v[138:139] neg_lo:[0,1] neg_hi:[0,1]
	s_wait_dscnt 0x0
	v_pk_mul_f32 v[138:139], v[134:135], v[126:127] op_sel:[0,1]
	s_delay_alu instid0(VALU_DEP_1) | instskip(SKIP_1) | instid1(VALU_DEP_1)
	v_pk_fma_f32 v[140:141], v[134:135], v[124:125], v[138:139] op_sel:[0,0,1] op_sel_hi:[1,1,0] neg_lo:[0,0,1] neg_hi:[0,0,1]
	v_pk_fma_f32 v[134:135], v[134:135], v[124:125], v[138:139] op_sel:[0,0,1] op_sel_hi:[1,0,0]
	v_mov_b32_e32 v141, v135
	v_pk_mul_f32 v[134:135], v[136:137], v[126:127] op_sel:[0,1]
	s_delay_alu instid0(VALU_DEP_1) | instskip(SKIP_1) | instid1(VALU_DEP_1)
	v_pk_fma_f32 v[138:139], v[136:137], v[124:125], v[134:135] op_sel:[0,0,1] op_sel_hi:[1,1,0] neg_lo:[0,0,1] neg_hi:[0,0,1]
	v_pk_fma_f32 v[134:135], v[136:137], v[124:125], v[134:135] op_sel:[0,0,1] op_sel_hi:[1,0,0]
	v_mov_b32_e32 v139, v135
	ds_load_2addr_b64 v[134:137], v128 offset0:27 offset1:28
	v_pk_add_f32 v[58:59], v[58:59], v[140:141] neg_lo:[0,1] neg_hi:[0,1]
	v_pk_add_f32 v[38:39], v[38:39], v[138:139] neg_lo:[0,1] neg_hi:[0,1]
	s_wait_dscnt 0x0
	v_pk_mul_f32 v[138:139], v[134:135], v[126:127] op_sel:[0,1]
	s_delay_alu instid0(VALU_DEP_1) | instskip(SKIP_1) | instid1(VALU_DEP_1)
	v_pk_fma_f32 v[140:141], v[134:135], v[124:125], v[138:139] op_sel:[0,0,1] op_sel_hi:[1,1,0] neg_lo:[0,0,1] neg_hi:[0,0,1]
	v_pk_fma_f32 v[134:135], v[134:135], v[124:125], v[138:139] op_sel:[0,0,1] op_sel_hi:[1,0,0]
	v_mov_b32_e32 v141, v135
	v_pk_mul_f32 v[134:135], v[136:137], v[126:127] op_sel:[0,1]
	s_delay_alu instid0(VALU_DEP_1) | instskip(SKIP_1) | instid1(VALU_DEP_1)
	v_pk_fma_f32 v[138:139], v[136:137], v[124:125], v[134:135] op_sel:[0,0,1] op_sel_hi:[1,1,0] neg_lo:[0,0,1] neg_hi:[0,0,1]
	v_pk_fma_f32 v[134:135], v[136:137], v[124:125], v[134:135] op_sel:[0,0,1] op_sel_hi:[1,0,0]
	v_mov_b32_e32 v139, v135
	ds_load_2addr_b64 v[134:137], v128 offset0:29 offset1:30
	v_pk_add_f32 v[36:37], v[36:37], v[140:141] neg_lo:[0,1] neg_hi:[0,1]
	v_pk_add_f32 v[68:69], v[68:69], v[138:139] neg_lo:[0,1] neg_hi:[0,1]
	s_wait_dscnt 0x0
	v_dual_mul_f32 v138, v135, v127 :: v_dual_mul_f32 v140, v135, v124
	s_delay_alu instid0(VALU_DEP_1) | instskip(NEXT) | instid1(VALU_DEP_2)
	v_pk_fma_f32 v[138:139], v[134:135], v[52:53], v[138:139] op_sel_hi:[1,1,0] neg_lo:[0,0,1] neg_hi:[0,0,1]
	v_pk_fma_f32 v[134:135], v[134:135], v[52:53], v[140:141] op_sel:[1,0,0] op_sel_hi:[0,1,0]
	s_delay_alu instid0(VALU_DEP_1) | instskip(SKIP_1) | instid1(VALU_DEP_2)
	v_mov_b32_e32 v139, v135
	v_pk_mul_f32 v[134:135], v[136:137], v[126:127] op_sel:[0,1]
	v_pk_add_f32 v[66:67], v[66:67], v[138:139] neg_lo:[0,1] neg_hi:[0,1]
	s_delay_alu instid0(VALU_DEP_2) | instskip(SKIP_1) | instid1(VALU_DEP_1)
	v_pk_fma_f32 v[138:139], v[136:137], v[124:125], v[134:135] op_sel:[0,0,1] op_sel_hi:[1,1,0] neg_lo:[0,0,1] neg_hi:[0,0,1]
	v_pk_fma_f32 v[134:135], v[136:137], v[124:125], v[134:135] op_sel:[0,0,1] op_sel_hi:[1,0,0]
	v_mov_b32_e32 v139, v135
	ds_load_2addr_b64 v[134:137], v128 offset0:31 offset1:32
	v_pk_add_f32 v[48:49], v[48:49], v[138:139] neg_lo:[0,1] neg_hi:[0,1]
	s_wait_dscnt 0x0
	v_pk_mul_f32 v[138:139], v[134:135], v[126:127] op_sel:[0,1]
	s_delay_alu instid0(VALU_DEP_1) | instskip(SKIP_1) | instid1(VALU_DEP_1)
	v_pk_fma_f32 v[140:141], v[134:135], v[124:125], v[138:139] op_sel:[0,0,1] op_sel_hi:[1,1,0] neg_lo:[0,0,1] neg_hi:[0,0,1]
	v_pk_fma_f32 v[134:135], v[134:135], v[124:125], v[138:139] op_sel:[0,0,1] op_sel_hi:[1,0,0]
	v_mov_b32_e32 v141, v135
	v_pk_mul_f32 v[134:135], v[136:137], v[126:127] op_sel:[0,1]
	s_delay_alu instid0(VALU_DEP_2) | instskip(NEXT) | instid1(VALU_DEP_2)
	v_pk_add_f32 v[46:47], v[46:47], v[140:141] neg_lo:[0,1] neg_hi:[0,1]
	v_pk_fma_f32 v[138:139], v[136:137], v[124:125], v[134:135] op_sel:[0,0,1] op_sel_hi:[1,1,0] neg_lo:[0,0,1] neg_hi:[0,0,1]
	v_pk_fma_f32 v[134:135], v[136:137], v[124:125], v[134:135] op_sel:[0,0,1] op_sel_hi:[1,0,0]
	s_delay_alu instid0(VALU_DEP_1) | instskip(SKIP_4) | instid1(VALU_DEP_1)
	v_mov_b32_e32 v139, v135
	ds_load_2addr_b64 v[134:137], v128 offset0:33 offset1:34
	v_pk_add_f32 v[78:79], v[78:79], v[138:139] neg_lo:[0,1] neg_hi:[0,1]
	s_wait_dscnt 0x0
	v_pk_mul_f32 v[138:139], v[134:135], v[126:127] op_sel:[0,1]
	v_pk_fma_f32 v[140:141], v[134:135], v[124:125], v[138:139] op_sel:[0,0,1] op_sel_hi:[1,1,0] neg_lo:[0,0,1] neg_hi:[0,0,1]
	v_pk_fma_f32 v[134:135], v[134:135], v[124:125], v[138:139] op_sel:[0,0,1] op_sel_hi:[1,0,0]
	v_dual_mul_f32 v138, v137, v127 :: v_dual_mov_b32 v134, v137
	s_delay_alu instid0(VALU_DEP_2) | instskip(NEXT) | instid1(VALU_DEP_2)
	v_dual_mov_b32 v141, v135 :: v_dual_mov_b32 v135, v136
	v_pk_fma_f32 v[138:139], v[136:137], v[52:53], v[138:139] op_sel_hi:[1,1,0] neg_lo:[0,0,1] neg_hi:[0,0,1]
	v_mul_f32_e32 v136, v137, v124
	s_delay_alu instid0(VALU_DEP_3) | instskip(NEXT) | instid1(VALU_DEP_2)
	v_pk_add_f32 v[76:77], v[76:77], v[140:141] neg_lo:[0,1] neg_hi:[0,1]
	v_pk_fma_f32 v[134:135], v[134:135], v[52:53], v[136:137] op_sel_hi:[1,1,0]
	s_delay_alu instid0(VALU_DEP_1) | instskip(SKIP_4) | instid1(VALU_DEP_1)
	v_mov_b32_e32 v139, v135
	ds_load_2addr_b64 v[134:137], v128 offset0:35 offset1:36
	v_pk_add_f32 v[56:57], v[56:57], v[138:139] neg_lo:[0,1] neg_hi:[0,1]
	s_wait_dscnt 0x0
	v_pk_mul_f32 v[138:139], v[134:135], v[126:127] op_sel:[0,1]
	v_pk_fma_f32 v[140:141], v[134:135], v[124:125], v[138:139] op_sel:[0,0,1] op_sel_hi:[1,1,0] neg_lo:[0,0,1] neg_hi:[0,0,1]
	v_pk_fma_f32 v[134:135], v[134:135], v[124:125], v[138:139] op_sel:[0,0,1] op_sel_hi:[1,0,0]
	s_delay_alu instid0(VALU_DEP_1) | instskip(SKIP_1) | instid1(VALU_DEP_1)
	v_mov_b32_e32 v141, v135
	v_pk_mul_f32 v[134:135], v[136:137], v[126:127] op_sel:[0,1]
	v_pk_fma_f32 v[138:139], v[136:137], v[124:125], v[134:135] op_sel:[0,0,1] op_sel_hi:[1,1,0] neg_lo:[0,0,1] neg_hi:[0,0,1]
	v_pk_fma_f32 v[134:135], v[136:137], v[124:125], v[134:135] op_sel:[0,0,1] op_sel_hi:[1,0,0]
	s_delay_alu instid0(VALU_DEP_1)
	v_mov_b32_e32 v139, v135
	ds_load_2addr_b64 v[134:137], v128 offset0:37 offset1:38
	v_pk_add_f32 v[54:55], v[54:55], v[140:141] neg_lo:[0,1] neg_hi:[0,1]
	v_pk_add_f32 v[88:89], v[88:89], v[138:139] neg_lo:[0,1] neg_hi:[0,1]
	s_wait_dscnt 0x0
	v_pk_mul_f32 v[138:139], v[134:135], v[126:127] op_sel:[0,1]
	s_delay_alu instid0(VALU_DEP_1) | instskip(SKIP_1) | instid1(VALU_DEP_1)
	v_pk_fma_f32 v[140:141], v[134:135], v[124:125], v[138:139] op_sel:[0,0,1] op_sel_hi:[1,1,0] neg_lo:[0,0,1] neg_hi:[0,0,1]
	v_pk_fma_f32 v[134:135], v[134:135], v[124:125], v[138:139] op_sel:[0,0,1] op_sel_hi:[1,0,0]
	v_mov_b32_e32 v141, v135
	v_pk_mul_f32 v[134:135], v[136:137], v[126:127] op_sel:[0,1]
	s_delay_alu instid0(VALU_DEP_1) | instskip(SKIP_1) | instid1(VALU_DEP_1)
	v_pk_fma_f32 v[138:139], v[136:137], v[124:125], v[134:135] op_sel:[0,0,1] op_sel_hi:[1,1,0] neg_lo:[0,0,1] neg_hi:[0,0,1]
	v_pk_fma_f32 v[134:135], v[136:137], v[124:125], v[134:135] op_sel:[0,0,1] op_sel_hi:[1,0,0]
	v_mov_b32_e32 v139, v135
	ds_load_2addr_b64 v[134:137], v128 offset0:39 offset1:40
	v_pk_add_f32 v[86:87], v[86:87], v[140:141] neg_lo:[0,1] neg_hi:[0,1]
	v_pk_add_f32 v[64:65], v[64:65], v[138:139] neg_lo:[0,1] neg_hi:[0,1]
	s_wait_dscnt 0x0
	v_dual_mul_f32 v138, v135, v127 :: v_dual_mul_f32 v140, v135, v124
	s_delay_alu instid0(VALU_DEP_1) | instskip(NEXT) | instid1(VALU_DEP_2)
	v_pk_fma_f32 v[138:139], v[134:135], v[52:53], v[138:139] op_sel_hi:[1,1,0] neg_lo:[0,0,1] neg_hi:[0,0,1]
	v_pk_fma_f32 v[134:135], v[134:135], v[52:53], v[140:141] op_sel:[1,0,0] op_sel_hi:[0,1,0]
	s_delay_alu instid0(VALU_DEP_1) | instskip(SKIP_1) | instid1(VALU_DEP_2)
	v_mov_b32_e32 v139, v135
	v_pk_mul_f32 v[134:135], v[136:137], v[126:127] op_sel:[0,1]
	v_pk_add_f32 v[62:63], v[62:63], v[138:139] neg_lo:[0,1] neg_hi:[0,1]
	s_delay_alu instid0(VALU_DEP_2) | instskip(SKIP_1) | instid1(VALU_DEP_1)
	v_pk_fma_f32 v[138:139], v[136:137], v[124:125], v[134:135] op_sel:[0,0,1] op_sel_hi:[1,1,0] neg_lo:[0,0,1] neg_hi:[0,0,1]
	v_pk_fma_f32 v[134:135], v[136:137], v[124:125], v[134:135] op_sel:[0,0,1] op_sel_hi:[1,0,0]
	v_mov_b32_e32 v139, v135
	ds_load_2addr_b64 v[134:137], v128 offset0:41 offset1:42
	v_pk_add_f32 v[102:103], v[102:103], v[138:139] neg_lo:[0,1] neg_hi:[0,1]
	s_wait_dscnt 0x0
	v_pk_mul_f32 v[138:139], v[134:135], v[126:127] op_sel:[0,1]
	s_delay_alu instid0(VALU_DEP_1) | instskip(SKIP_1) | instid1(VALU_DEP_1)
	v_pk_fma_f32 v[140:141], v[134:135], v[124:125], v[138:139] op_sel:[0,0,1] op_sel_hi:[1,1,0] neg_lo:[0,0,1] neg_hi:[0,0,1]
	v_pk_fma_f32 v[134:135], v[134:135], v[124:125], v[138:139] op_sel:[0,0,1] op_sel_hi:[1,0,0]
	v_mov_b32_e32 v141, v135
	v_pk_mul_f32 v[134:135], v[136:137], v[126:127] op_sel:[0,1]
	s_delay_alu instid0(VALU_DEP_2) | instskip(NEXT) | instid1(VALU_DEP_2)
	v_pk_add_f32 v[100:101], v[100:101], v[140:141] neg_lo:[0,1] neg_hi:[0,1]
	v_pk_fma_f32 v[138:139], v[136:137], v[124:125], v[134:135] op_sel:[0,0,1] op_sel_hi:[1,1,0] neg_lo:[0,0,1] neg_hi:[0,0,1]
	v_pk_fma_f32 v[134:135], v[136:137], v[124:125], v[134:135] op_sel:[0,0,1] op_sel_hi:[1,0,0]
	s_delay_alu instid0(VALU_DEP_1) | instskip(SKIP_4) | instid1(VALU_DEP_1)
	v_mov_b32_e32 v139, v135
	ds_load_2addr_b64 v[134:137], v128 offset0:43 offset1:44
	v_pk_add_f32 v[72:73], v[72:73], v[138:139] neg_lo:[0,1] neg_hi:[0,1]
	s_wait_dscnt 0x0
	v_pk_mul_f32 v[138:139], v[134:135], v[126:127] op_sel:[0,1]
	v_pk_fma_f32 v[140:141], v[134:135], v[124:125], v[138:139] op_sel:[0,0,1] op_sel_hi:[1,1,0] neg_lo:[0,0,1] neg_hi:[0,0,1]
	v_pk_fma_f32 v[134:135], v[134:135], v[124:125], v[138:139] op_sel:[0,0,1] op_sel_hi:[1,0,0]
	v_dual_mul_f32 v138, v137, v127 :: v_dual_mov_b32 v134, v137
	s_delay_alu instid0(VALU_DEP_2) | instskip(NEXT) | instid1(VALU_DEP_2)
	v_dual_mov_b32 v141, v135 :: v_dual_mov_b32 v135, v136
	v_pk_fma_f32 v[138:139], v[136:137], v[52:53], v[138:139] op_sel_hi:[1,1,0] neg_lo:[0,0,1] neg_hi:[0,0,1]
	v_mul_f32_e32 v136, v137, v124
	s_delay_alu instid0(VALU_DEP_3) | instskip(NEXT) | instid1(VALU_DEP_2)
	v_pk_add_f32 v[70:71], v[70:71], v[140:141] neg_lo:[0,1] neg_hi:[0,1]
	v_pk_fma_f32 v[134:135], v[134:135], v[52:53], v[136:137] op_sel_hi:[1,1,0]
	s_delay_alu instid0(VALU_DEP_1) | instskip(SKIP_4) | instid1(VALU_DEP_1)
	v_mov_b32_e32 v139, v135
	ds_load_2addr_b64 v[134:137], v128 offset0:45 offset1:46
	v_pk_add_f32 v[110:111], v[110:111], v[138:139] neg_lo:[0,1] neg_hi:[0,1]
	s_wait_dscnt 0x0
	v_pk_mul_f32 v[138:139], v[134:135], v[126:127] op_sel:[0,1]
	v_pk_fma_f32 v[140:141], v[134:135], v[124:125], v[138:139] op_sel:[0,0,1] op_sel_hi:[1,1,0] neg_lo:[0,0,1] neg_hi:[0,0,1]
	v_pk_fma_f32 v[134:135], v[134:135], v[124:125], v[138:139] op_sel:[0,0,1] op_sel_hi:[1,0,0]
	s_delay_alu instid0(VALU_DEP_1) | instskip(SKIP_1) | instid1(VALU_DEP_1)
	v_mov_b32_e32 v141, v135
	v_pk_mul_f32 v[134:135], v[136:137], v[126:127] op_sel:[0,1]
	v_pk_fma_f32 v[138:139], v[136:137], v[124:125], v[134:135] op_sel:[0,0,1] op_sel_hi:[1,1,0] neg_lo:[0,0,1] neg_hi:[0,0,1]
	v_pk_fma_f32 v[134:135], v[136:137], v[124:125], v[134:135] op_sel:[0,0,1] op_sel_hi:[1,0,0]
	s_delay_alu instid0(VALU_DEP_1)
	v_mov_b32_e32 v139, v135
	ds_load_2addr_b64 v[134:137], v128 offset0:47 offset1:48
	v_pk_add_f32 v[108:109], v[108:109], v[140:141] neg_lo:[0,1] neg_hi:[0,1]
	v_pk_add_f32 v[82:83], v[82:83], v[138:139] neg_lo:[0,1] neg_hi:[0,1]
	s_wait_dscnt 0x0
	v_pk_mul_f32 v[138:139], v[134:135], v[126:127] op_sel:[0,1]
	s_delay_alu instid0(VALU_DEP_1) | instskip(SKIP_1) | instid1(VALU_DEP_1)
	v_pk_fma_f32 v[140:141], v[134:135], v[124:125], v[138:139] op_sel:[0,0,1] op_sel_hi:[1,1,0] neg_lo:[0,0,1] neg_hi:[0,0,1]
	v_pk_fma_f32 v[134:135], v[134:135], v[124:125], v[138:139] op_sel:[0,0,1] op_sel_hi:[1,0,0]
	v_mov_b32_e32 v141, v135
	v_pk_mul_f32 v[134:135], v[136:137], v[126:127] op_sel:[0,1]
	s_delay_alu instid0(VALU_DEP_1) | instskip(SKIP_1) | instid1(VALU_DEP_1)
	v_pk_fma_f32 v[138:139], v[136:137], v[124:125], v[134:135] op_sel:[0,0,1] op_sel_hi:[1,1,0] neg_lo:[0,0,1] neg_hi:[0,0,1]
	v_pk_fma_f32 v[134:135], v[136:137], v[124:125], v[134:135] op_sel:[0,0,1] op_sel_hi:[1,0,0]
	v_mov_b32_e32 v139, v135
	ds_load_2addr_b64 v[134:137], v128 offset0:49 offset1:50
	v_pk_add_f32 v[80:81], v[80:81], v[140:141] neg_lo:[0,1] neg_hi:[0,1]
	v_pk_add_f32 v[120:121], v[120:121], v[138:139] neg_lo:[0,1] neg_hi:[0,1]
	s_wait_dscnt 0x0
	v_dual_mul_f32 v138, v135, v127 :: v_dual_mul_f32 v140, v135, v124
	s_delay_alu instid0(VALU_DEP_1) | instskip(NEXT) | instid1(VALU_DEP_2)
	v_pk_fma_f32 v[138:139], v[134:135], v[52:53], v[138:139] op_sel_hi:[1,1,0] neg_lo:[0,0,1] neg_hi:[0,0,1]
	v_pk_fma_f32 v[134:135], v[134:135], v[52:53], v[140:141] op_sel:[1,0,0] op_sel_hi:[0,1,0]
	s_delay_alu instid0(VALU_DEP_1) | instskip(SKIP_1) | instid1(VALU_DEP_2)
	v_mov_b32_e32 v139, v135
	v_pk_mul_f32 v[134:135], v[136:137], v[126:127] op_sel:[0,1]
	v_pk_add_f32 v[118:119], v[118:119], v[138:139] neg_lo:[0,1] neg_hi:[0,1]
	s_delay_alu instid0(VALU_DEP_2) | instskip(SKIP_1) | instid1(VALU_DEP_1)
	v_pk_fma_f32 v[138:139], v[136:137], v[124:125], v[134:135] op_sel:[0,0,1] op_sel_hi:[1,1,0] neg_lo:[0,0,1] neg_hi:[0,0,1]
	v_pk_fma_f32 v[134:135], v[136:137], v[124:125], v[134:135] op_sel:[0,0,1] op_sel_hi:[1,0,0]
	v_mov_b32_e32 v139, v135
	ds_load_2addr_b64 v[134:137], v128 offset0:51 offset1:52
	v_pk_add_f32 v[94:95], v[94:95], v[138:139] neg_lo:[0,1] neg_hi:[0,1]
	s_wait_dscnt 0x0
	v_pk_mul_f32 v[138:139], v[134:135], v[126:127] op_sel:[0,1]
	s_delay_alu instid0(VALU_DEP_1) | instskip(SKIP_1) | instid1(VALU_DEP_1)
	v_pk_fma_f32 v[140:141], v[134:135], v[124:125], v[138:139] op_sel:[0,0,1] op_sel_hi:[1,1,0] neg_lo:[0,0,1] neg_hi:[0,0,1]
	v_pk_fma_f32 v[134:135], v[134:135], v[124:125], v[138:139] op_sel:[0,0,1] op_sel_hi:[1,0,0]
	v_mov_b32_e32 v141, v135
	v_pk_mul_f32 v[134:135], v[136:137], v[126:127] op_sel:[0,1]
	s_delay_alu instid0(VALU_DEP_2) | instskip(NEXT) | instid1(VALU_DEP_2)
	v_pk_add_f32 v[96:97], v[96:97], v[140:141] neg_lo:[0,1] neg_hi:[0,1]
	v_pk_fma_f32 v[138:139], v[136:137], v[124:125], v[134:135] op_sel:[0,0,1] op_sel_hi:[1,1,0] neg_lo:[0,0,1] neg_hi:[0,0,1]
	v_pk_fma_f32 v[134:135], v[136:137], v[124:125], v[134:135] op_sel:[0,0,1] op_sel_hi:[1,0,0]
	s_delay_alu instid0(VALU_DEP_1) | instskip(SKIP_4) | instid1(VALU_DEP_1)
	v_mov_b32_e32 v139, v135
	ds_load_2addr_b64 v[134:137], v128 offset0:53 offset1:54
	v_pk_add_f32 v[114:115], v[114:115], v[138:139] neg_lo:[0,1] neg_hi:[0,1]
	s_wait_dscnt 0x0
	v_pk_mul_f32 v[138:139], v[134:135], v[126:127] op_sel:[0,1]
	v_pk_fma_f32 v[140:141], v[134:135], v[124:125], v[138:139] op_sel:[0,0,1] op_sel_hi:[1,1,0] neg_lo:[0,0,1] neg_hi:[0,0,1]
	v_pk_fma_f32 v[134:135], v[134:135], v[124:125], v[138:139] op_sel:[0,0,1] op_sel_hi:[1,0,0]
	v_dual_mul_f32 v138, v137, v127 :: v_dual_mov_b32 v134, v137
	s_delay_alu instid0(VALU_DEP_2) | instskip(NEXT) | instid1(VALU_DEP_2)
	v_dual_mov_b32 v141, v135 :: v_dual_mov_b32 v135, v136
	v_pk_fma_f32 v[138:139], v[136:137], v[52:53], v[138:139] op_sel_hi:[1,1,0] neg_lo:[0,0,1] neg_hi:[0,0,1]
	v_mul_f32_e32 v136, v137, v124
	s_delay_alu instid0(VALU_DEP_3) | instskip(NEXT) | instid1(VALU_DEP_2)
	v_pk_add_f32 v[112:113], v[112:113], v[140:141] neg_lo:[0,1] neg_hi:[0,1]
	v_pk_fma_f32 v[134:135], v[134:135], v[52:53], v[136:137] op_sel_hi:[1,1,0]
	s_delay_alu instid0(VALU_DEP_1) | instskip(SKIP_4) | instid1(VALU_DEP_1)
	v_mov_b32_e32 v139, v135
	ds_load_2addr_b64 v[134:137], v128 offset0:55 offset1:56
	v_pk_add_f32 v[92:93], v[92:93], v[138:139] neg_lo:[0,1] neg_hi:[0,1]
	s_wait_dscnt 0x0
	v_pk_mul_f32 v[138:139], v[134:135], v[126:127] op_sel:[0,1]
	v_pk_fma_f32 v[140:141], v[134:135], v[124:125], v[138:139] op_sel:[0,0,1] op_sel_hi:[1,1,0] neg_lo:[0,0,1] neg_hi:[0,0,1]
	v_pk_fma_f32 v[134:135], v[134:135], v[124:125], v[138:139] op_sel:[0,0,1] op_sel_hi:[1,0,0]
	s_delay_alu instid0(VALU_DEP_1) | instskip(SKIP_1) | instid1(VALU_DEP_1)
	v_mov_b32_e32 v141, v135
	v_pk_mul_f32 v[134:135], v[136:137], v[126:127] op_sel:[0,1]
	v_pk_fma_f32 v[138:139], v[136:137], v[124:125], v[134:135] op_sel:[0,0,1] op_sel_hi:[1,1,0] neg_lo:[0,0,1] neg_hi:[0,0,1]
	v_pk_fma_f32 v[134:135], v[136:137], v[124:125], v[134:135] op_sel:[0,0,1] op_sel_hi:[1,0,0]
	s_delay_alu instid0(VALU_DEP_1)
	v_mov_b32_e32 v139, v135
	ds_load_2addr_b64 v[134:137], v128 offset0:57 offset1:58
	v_pk_add_f32 v[90:91], v[90:91], v[140:141] neg_lo:[0,1] neg_hi:[0,1]
	v_pk_add_f32 v[104:105], v[104:105], v[138:139] neg_lo:[0,1] neg_hi:[0,1]
	s_wait_dscnt 0x0
	v_pk_mul_f32 v[138:139], v[134:135], v[126:127] op_sel:[0,1]
	v_pk_mul_f32 v[126:127], v[136:137], v[126:127] op_sel:[0,1]
	s_delay_alu instid0(VALU_DEP_2) | instskip(SKIP_1) | instid1(VALU_DEP_1)
	v_pk_fma_f32 v[140:141], v[134:135], v[124:125], v[138:139] op_sel:[0,0,1] op_sel_hi:[1,1,0] neg_lo:[0,0,1] neg_hi:[0,0,1]
	v_pk_fma_f32 v[134:135], v[134:135], v[124:125], v[138:139] op_sel:[0,0,1] op_sel_hi:[1,0,0]
	v_mov_b32_e32 v141, v135
	s_delay_alu instid0(VALU_DEP_4) | instskip(SKIP_1) | instid1(VALU_DEP_1)
	v_pk_fma_f32 v[134:135], v[136:137], v[124:125], v[126:127] op_sel:[0,0,1] op_sel_hi:[1,1,0] neg_lo:[0,0,1] neg_hi:[0,0,1]
	v_pk_fma_f32 v[124:125], v[136:137], v[124:125], v[126:127] op_sel:[0,0,1] op_sel_hi:[1,0,0]
	v_mov_b32_e32 v135, v125
	s_delay_alu instid0(VALU_DEP_4) | instskip(NEXT) | instid1(VALU_DEP_2)
	v_pk_add_f32 v[98:99], v[98:99], v[140:141] neg_lo:[0,1] neg_hi:[0,1]
	v_pk_add_f32 v[122:123], v[122:123], v[134:135] neg_lo:[0,1] neg_hi:[0,1]
.LBB116_440:
	s_or_b32 exec_lo, exec_lo, s0
	v_lshl_add_u32 v124, v132, 3, v128
	s_barrier_signal -1
	s_barrier_wait -1
	ds_store_b64 v124, v[50:51]
	s_wait_dscnt 0x0
	s_barrier_signal -1
	s_barrier_wait -1
	ds_load_b64 v[126:127], v128 offset:168
	v_mov_b32_e32 v124, 21
	s_cmp_lt_i32 s18, 23
	s_cbranch_scc1 .LBB116_443
; %bb.441:
	v_add3_u32 v125, v129, 0, 0xb0
	v_mov_b32_e32 v124, 21
	s_mov_b32 s0, 22
.LBB116_442:                            ; =>This Inner Loop Header: Depth=1
	ds_load_b64 v[134:135], v125
	s_wait_dscnt 0x1
	v_cmp_gt_f32_e32 vcc_lo, 0, v126
	v_cndmask_b32_e64 v136, v126, -v126, vcc_lo
	v_cmp_gt_f32_e32 vcc_lo, 0, v127
	v_cndmask_b32_e64 v138, v127, -v127, vcc_lo
	s_wait_dscnt 0x0
	v_cmp_gt_f32_e32 vcc_lo, 0, v134
	v_cndmask_b32_e64 v137, v134, -v134, vcc_lo
	v_cmp_gt_f32_e32 vcc_lo, 0, v135
	v_cndmask_b32_e64 v139, v135, -v135, vcc_lo
	s_delay_alu instid0(VALU_DEP_1) | instskip(NEXT) | instid1(VALU_DEP_1)
	v_pk_add_f32 v[136:137], v[136:137], v[138:139]
	v_cmp_lt_f32_e32 vcc_lo, v136, v137
	v_dual_add_nc_u32 v125, 8, v125 :: v_dual_cndmask_b32 v127, v127, v135, vcc_lo
	v_cndmask_b32_e32 v126, v126, v134, vcc_lo
	v_cndmask_b32_e64 v124, v124, s0, vcc_lo
	s_add_co_i32 s0, s0, 1
	s_delay_alu instid0(SALU_CYCLE_1)
	s_cmp_lg_u32 s18, s0
	s_cbranch_scc1 .LBB116_442
.LBB116_443:
	s_wait_dscnt 0x0
	v_cmp_eq_f32_e32 vcc_lo, 0, v126
	v_cmp_eq_f32_e64 s0, 0, v127
	s_and_b32 s0, vcc_lo, s0
	s_delay_alu instid0(SALU_CYCLE_1) | instskip(NEXT) | instid1(SALU_CYCLE_1)
	s_and_saveexec_b32 s1, s0
	s_xor_b32 s0, exec_lo, s1
; %bb.444:
	v_cmp_ne_u32_e32 vcc_lo, 0, v130
	v_cndmask_b32_e32 v130, 22, v130, vcc_lo
; %bb.445:
	s_and_not1_saveexec_b32 s0, s0
	s_cbranch_execz .LBB116_451
; %bb.446:
	v_cmp_ngt_f32_e64 s1, |v126|, |v127|
	s_and_saveexec_b32 s12, s1
	s_delay_alu instid0(SALU_CYCLE_1)
	s_xor_b32 s1, exec_lo, s12
	s_cbranch_execz .LBB116_448
; %bb.447:
	v_div_scale_f32 v125, null, v127, v127, v126
	v_div_scale_f32 v135, vcc_lo, v126, v127, v126
	s_delay_alu instid0(VALU_DEP_2) | instskip(SKIP_1) | instid1(TRANS32_DEP_1)
	v_rcp_f32_e32 v133, v125
	v_nop
	v_fma_f32 v134, -v125, v133, 1.0
	s_delay_alu instid0(VALU_DEP_1) | instskip(NEXT) | instid1(VALU_DEP_1)
	v_fmac_f32_e32 v133, v134, v133
	v_mul_f32_e32 v134, v135, v133
	s_delay_alu instid0(VALU_DEP_1) | instskip(NEXT) | instid1(VALU_DEP_1)
	v_fma_f32 v136, -v125, v134, v135
	v_fmac_f32_e32 v134, v136, v133
	s_delay_alu instid0(VALU_DEP_1) | instskip(NEXT) | instid1(VALU_DEP_1)
	v_fma_f32 v125, -v125, v134, v135
	v_div_fmas_f32 v125, v125, v133, v134
	s_delay_alu instid0(VALU_DEP_1) | instskip(NEXT) | instid1(VALU_DEP_1)
	v_div_fixup_f32 v125, v125, v127, v126
	v_fmac_f32_e32 v127, v126, v125
	s_delay_alu instid0(VALU_DEP_1) | instskip(SKIP_1) | instid1(VALU_DEP_2)
	v_div_scale_f32 v126, null, v127, v127, 1.0
	v_div_scale_f32 v135, vcc_lo, 1.0, v127, 1.0
	v_rcp_f32_e32 v133, v126
	v_nop
	s_delay_alu instid0(TRANS32_DEP_1) | instskip(NEXT) | instid1(VALU_DEP_1)
	v_fma_f32 v134, -v126, v133, 1.0
	v_fmac_f32_e32 v133, v134, v133
	s_delay_alu instid0(VALU_DEP_1) | instskip(NEXT) | instid1(VALU_DEP_1)
	v_mul_f32_e32 v134, v135, v133
	v_fma_f32 v136, -v126, v134, v135
	s_delay_alu instid0(VALU_DEP_1) | instskip(NEXT) | instid1(VALU_DEP_1)
	v_fmac_f32_e32 v134, v136, v133
	v_fma_f32 v126, -v126, v134, v135
	s_delay_alu instid0(VALU_DEP_1) | instskip(NEXT) | instid1(VALU_DEP_1)
	v_div_fmas_f32 v126, v126, v133, v134
	v_div_fixup_f32 v127, v126, v127, 1.0
	s_delay_alu instid0(VALU_DEP_1)
	v_mul_f32_e32 v126, v125, v127
	v_xor_b32_e32 v127, 0x80000000, v127
.LBB116_448:
	s_and_not1_saveexec_b32 s1, s1
	s_cbranch_execz .LBB116_450
; %bb.449:
	s_delay_alu instid0(VALU_DEP_1) | instskip(SKIP_1) | instid1(VALU_DEP_2)
	v_div_scale_f32 v125, null, v126, v126, v127
	v_div_scale_f32 v135, vcc_lo, v127, v126, v127
	v_rcp_f32_e32 v133, v125
	v_nop
	s_delay_alu instid0(TRANS32_DEP_1) | instskip(NEXT) | instid1(VALU_DEP_1)
	v_fma_f32 v134, -v125, v133, 1.0
	v_fmac_f32_e32 v133, v134, v133
	s_delay_alu instid0(VALU_DEP_1) | instskip(NEXT) | instid1(VALU_DEP_1)
	v_mul_f32_e32 v134, v135, v133
	v_fma_f32 v136, -v125, v134, v135
	s_delay_alu instid0(VALU_DEP_1) | instskip(NEXT) | instid1(VALU_DEP_1)
	v_fmac_f32_e32 v134, v136, v133
	v_fma_f32 v125, -v125, v134, v135
	s_delay_alu instid0(VALU_DEP_1) | instskip(NEXT) | instid1(VALU_DEP_1)
	v_div_fmas_f32 v125, v125, v133, v134
	v_div_fixup_f32 v125, v125, v126, v127
	s_delay_alu instid0(VALU_DEP_1) | instskip(NEXT) | instid1(VALU_DEP_1)
	v_fmac_f32_e32 v126, v127, v125
	v_div_scale_f32 v127, null, v126, v126, 1.0
	s_delay_alu instid0(VALU_DEP_1) | instskip(SKIP_1) | instid1(TRANS32_DEP_1)
	v_rcp_f32_e32 v133, v127
	v_nop
	v_fma_f32 v134, -v127, v133, 1.0
	s_delay_alu instid0(VALU_DEP_1) | instskip(SKIP_1) | instid1(VALU_DEP_1)
	v_fmac_f32_e32 v133, v134, v133
	v_div_scale_f32 v134, vcc_lo, 1.0, v126, 1.0
	v_mul_f32_e32 v135, v134, v133
	s_delay_alu instid0(VALU_DEP_1) | instskip(NEXT) | instid1(VALU_DEP_1)
	v_fma_f32 v136, -v127, v135, v134
	v_fmac_f32_e32 v135, v136, v133
	s_delay_alu instid0(VALU_DEP_1) | instskip(NEXT) | instid1(VALU_DEP_1)
	v_fma_f32 v127, -v127, v135, v134
	v_div_fmas_f32 v127, v127, v133, v135
	s_delay_alu instid0(VALU_DEP_1) | instskip(NEXT) | instid1(VALU_DEP_1)
	v_div_fixup_f32 v126, v127, v126, 1.0
	v_mul_f32_e64 v127, v125, -v126
.LBB116_450:
	s_or_b32 exec_lo, exec_lo, s1
.LBB116_451:
	s_delay_alu instid0(SALU_CYCLE_1) | instskip(NEXT) | instid1(SALU_CYCLE_1)
	s_or_b32 exec_lo, exec_lo, s0
	s_mov_b32 s0, exec_lo
	v_cmpx_ne_u32_e64 v132, v124
	s_xor_b32 s0, exec_lo, s0
	s_cbranch_execz .LBB116_457
; %bb.452:
	s_mov_b32 s1, exec_lo
	v_cmpx_eq_u32_e32 21, v132
	s_cbranch_execz .LBB116_456
; %bb.453:
	v_cmp_ne_u32_e32 vcc_lo, 21, v124
	s_xor_b32 s12, s16, -1
	s_delay_alu instid0(SALU_CYCLE_1) | instskip(NEXT) | instid1(SALU_CYCLE_1)
	s_and_b32 s13, s12, vcc_lo
	s_and_saveexec_b32 s12, s13
	s_cbranch_execz .LBB116_455
; %bb.454:
	v_ashrrev_i32_e32 v125, 31, v124
	s_delay_alu instid0(VALU_DEP_1)
	v_lshl_add_u64 v[132:133], v[124:125], 2, v[4:5]
	s_clause 0x1
	global_load_b32 v125, v[132:133], off
	global_load_b32 v131, v[4:5], off offset:84
	s_wait_loadcnt 0x1
	global_store_b32 v[4:5], v125, off offset:84
	s_wait_loadcnt 0x0
	global_store_b32 v[132:133], v131, off
.LBB116_455:
	s_wait_xcnt 0x0
	s_or_b32 exec_lo, exec_lo, s12
	v_dual_mov_b32 v132, v124 :: v_dual_mov_b32 v131, v124
.LBB116_456:
	s_or_b32 exec_lo, exec_lo, s1
.LBB116_457:
	s_and_not1_saveexec_b32 s0, s0
	s_cbranch_execz .LBB116_459
; %bb.458:
	v_dual_mov_b32 v124, v28 :: v_dual_mov_b32 v125, v29
	v_dual_mov_b32 v132, v26 :: v_dual_mov_b32 v133, v27
	ds_store_2addr_b64 v128, v[124:125], v[132:133] offset0:22 offset1:23
	v_dual_mov_b32 v124, v60 :: v_dual_mov_b32 v125, v61
	v_dual_mov_b32 v132, v58 :: v_dual_mov_b32 v133, v59
	ds_store_2addr_b64 v128, v[124:125], v[132:133] offset0:24 offset1:25
	;; [unrolled: 3-line block ×18, first 2 shown]
	ds_store_b64 v128, v[122:123] offset:464
	v_mov_b32_e32 v132, 21
.LBB116_459:
	s_or_b32 exec_lo, exec_lo, s0
	s_delay_alu instid0(SALU_CYCLE_1)
	s_mov_b32 s0, exec_lo
	s_wait_storecnt_dscnt 0x0
	s_barrier_signal -1
	s_barrier_wait -1
	v_cmpx_lt_i32_e32 21, v132
	s_cbranch_execz .LBB116_461
; %bb.460:
	v_pk_mul_f32 v[134:135], v[126:127], v[50:51] op_sel:[1,1] op_sel_hi:[0,1]
	s_delay_alu instid0(VALU_DEP_1)
	v_pk_fma_f32 v[124:125], v[126:127], v[50:51], v[134:135] op_sel_hi:[1,0,1] neg_lo:[0,0,1] neg_hi:[0,0,1]
	v_pk_fma_f32 v[126:127], v[126:127], v[50:51], v[134:135] op_sel_hi:[1,0,1]
	ds_load_2addr_b64 v[134:137], v128 offset0:22 offset1:23
	v_dual_mov_b32 v50, v124 :: v_dual_mov_b32 v51, v127
	s_wait_dscnt 0x0
	v_pk_mul_f32 v[138:139], v[134:135], v[126:127] op_sel:[0,1]
	s_delay_alu instid0(VALU_DEP_1) | instskip(SKIP_1) | instid1(VALU_DEP_1)
	v_pk_fma_f32 v[140:141], v[134:135], v[124:125], v[138:139] op_sel:[0,0,1] op_sel_hi:[1,1,0] neg_lo:[0,0,1] neg_hi:[0,0,1]
	v_pk_fma_f32 v[134:135], v[134:135], v[124:125], v[138:139] op_sel:[0,0,1] op_sel_hi:[1,0,0]
	v_mov_b32_e32 v141, v135
	v_pk_mul_f32 v[134:135], v[136:137], v[126:127] op_sel:[0,1]
	s_delay_alu instid0(VALU_DEP_1) | instskip(SKIP_1) | instid1(VALU_DEP_1)
	v_pk_fma_f32 v[138:139], v[136:137], v[124:125], v[134:135] op_sel:[0,0,1] op_sel_hi:[1,1,0] neg_lo:[0,0,1] neg_hi:[0,0,1]
	v_pk_fma_f32 v[134:135], v[136:137], v[124:125], v[134:135] op_sel:[0,0,1] op_sel_hi:[1,0,0]
	v_mov_b32_e32 v139, v135
	ds_load_2addr_b64 v[134:137], v128 offset0:24 offset1:25
	v_pk_add_f32 v[28:29], v[28:29], v[140:141] neg_lo:[0,1] neg_hi:[0,1]
	v_pk_add_f32 v[26:27], v[26:27], v[138:139] neg_lo:[0,1] neg_hi:[0,1]
	s_wait_dscnt 0x0
	v_pk_mul_f32 v[138:139], v[134:135], v[126:127] op_sel:[0,1]
	s_delay_alu instid0(VALU_DEP_1) | instskip(SKIP_2) | instid1(VALU_DEP_2)
	v_pk_fma_f32 v[140:141], v[134:135], v[124:125], v[138:139] op_sel:[0,0,1] op_sel_hi:[1,1,0] neg_lo:[0,0,1] neg_hi:[0,0,1]
	v_pk_fma_f32 v[134:135], v[134:135], v[124:125], v[138:139] op_sel:[0,0,1] op_sel_hi:[1,0,0]
	v_dual_mul_f32 v138, v137, v127 :: v_dual_mov_b32 v134, v137
	v_dual_mov_b32 v141, v135 :: v_dual_mov_b32 v135, v136
	s_delay_alu instid0(VALU_DEP_2) | instskip(SKIP_1) | instid1(VALU_DEP_3)
	v_pk_fma_f32 v[138:139], v[136:137], v[50:51], v[138:139] op_sel_hi:[1,1,0] neg_lo:[0,0,1] neg_hi:[0,0,1]
	v_mul_f32_e32 v136, v137, v124
	v_pk_add_f32 v[60:61], v[60:61], v[140:141] neg_lo:[0,1] neg_hi:[0,1]
	s_delay_alu instid0(VALU_DEP_2) | instskip(NEXT) | instid1(VALU_DEP_1)
	v_pk_fma_f32 v[134:135], v[134:135], v[50:51], v[136:137] op_sel_hi:[1,1,0]
	v_mov_b32_e32 v139, v135
	ds_load_2addr_b64 v[134:137], v128 offset0:26 offset1:27
	v_pk_add_f32 v[58:59], v[58:59], v[138:139] neg_lo:[0,1] neg_hi:[0,1]
	s_wait_dscnt 0x0
	v_pk_mul_f32 v[138:139], v[134:135], v[126:127] op_sel:[0,1]
	s_delay_alu instid0(VALU_DEP_1) | instskip(SKIP_1) | instid1(VALU_DEP_1)
	v_pk_fma_f32 v[140:141], v[134:135], v[124:125], v[138:139] op_sel:[0,0,1] op_sel_hi:[1,1,0] neg_lo:[0,0,1] neg_hi:[0,0,1]
	v_pk_fma_f32 v[134:135], v[134:135], v[124:125], v[138:139] op_sel:[0,0,1] op_sel_hi:[1,0,0]
	v_mov_b32_e32 v141, v135
	v_pk_mul_f32 v[134:135], v[136:137], v[126:127] op_sel:[0,1]
	s_delay_alu instid0(VALU_DEP_1) | instskip(SKIP_1) | instid1(VALU_DEP_1)
	v_pk_fma_f32 v[138:139], v[136:137], v[124:125], v[134:135] op_sel:[0,0,1] op_sel_hi:[1,1,0] neg_lo:[0,0,1] neg_hi:[0,0,1]
	v_pk_fma_f32 v[134:135], v[136:137], v[124:125], v[134:135] op_sel:[0,0,1] op_sel_hi:[1,0,0]
	v_mov_b32_e32 v139, v135
	ds_load_2addr_b64 v[134:137], v128 offset0:28 offset1:29
	v_pk_add_f32 v[38:39], v[38:39], v[140:141] neg_lo:[0,1] neg_hi:[0,1]
	v_pk_add_f32 v[36:37], v[36:37], v[138:139] neg_lo:[0,1] neg_hi:[0,1]
	s_wait_dscnt 0x0
	v_pk_mul_f32 v[138:139], v[134:135], v[126:127] op_sel:[0,1]
	s_delay_alu instid0(VALU_DEP_1) | instskip(SKIP_1) | instid1(VALU_DEP_1)
	v_pk_fma_f32 v[140:141], v[134:135], v[124:125], v[138:139] op_sel:[0,0,1] op_sel_hi:[1,1,0] neg_lo:[0,0,1] neg_hi:[0,0,1]
	v_pk_fma_f32 v[134:135], v[134:135], v[124:125], v[138:139] op_sel:[0,0,1] op_sel_hi:[1,0,0]
	v_mov_b32_e32 v141, v135
	v_pk_mul_f32 v[134:135], v[136:137], v[126:127] op_sel:[0,1]
	s_delay_alu instid0(VALU_DEP_1) | instskip(SKIP_1) | instid1(VALU_DEP_1)
	v_pk_fma_f32 v[138:139], v[136:137], v[124:125], v[134:135] op_sel:[0,0,1] op_sel_hi:[1,1,0] neg_lo:[0,0,1] neg_hi:[0,0,1]
	v_pk_fma_f32 v[134:135], v[136:137], v[124:125], v[134:135] op_sel:[0,0,1] op_sel_hi:[1,0,0]
	v_mov_b32_e32 v139, v135
	ds_load_2addr_b64 v[134:137], v128 offset0:30 offset1:31
	v_pk_add_f32 v[68:69], v[68:69], v[140:141] neg_lo:[0,1] neg_hi:[0,1]
	v_pk_add_f32 v[66:67], v[66:67], v[138:139] neg_lo:[0,1] neg_hi:[0,1]
	s_wait_dscnt 0x0
	v_dual_mul_f32 v138, v135, v127 :: v_dual_mul_f32 v140, v135, v124
	s_delay_alu instid0(VALU_DEP_1) | instskip(NEXT) | instid1(VALU_DEP_2)
	v_pk_fma_f32 v[138:139], v[134:135], v[50:51], v[138:139] op_sel_hi:[1,1,0] neg_lo:[0,0,1] neg_hi:[0,0,1]
	v_pk_fma_f32 v[134:135], v[134:135], v[50:51], v[140:141] op_sel:[1,0,0] op_sel_hi:[0,1,0]
	s_delay_alu instid0(VALU_DEP_1) | instskip(SKIP_1) | instid1(VALU_DEP_2)
	v_mov_b32_e32 v139, v135
	v_pk_mul_f32 v[134:135], v[136:137], v[126:127] op_sel:[0,1]
	v_pk_add_f32 v[48:49], v[48:49], v[138:139] neg_lo:[0,1] neg_hi:[0,1]
	s_delay_alu instid0(VALU_DEP_2) | instskip(SKIP_1) | instid1(VALU_DEP_1)
	v_pk_fma_f32 v[138:139], v[136:137], v[124:125], v[134:135] op_sel:[0,0,1] op_sel_hi:[1,1,0] neg_lo:[0,0,1] neg_hi:[0,0,1]
	v_pk_fma_f32 v[134:135], v[136:137], v[124:125], v[134:135] op_sel:[0,0,1] op_sel_hi:[1,0,0]
	v_mov_b32_e32 v139, v135
	ds_load_2addr_b64 v[134:137], v128 offset0:32 offset1:33
	v_pk_add_f32 v[46:47], v[46:47], v[138:139] neg_lo:[0,1] neg_hi:[0,1]
	s_wait_dscnt 0x0
	v_pk_mul_f32 v[138:139], v[134:135], v[126:127] op_sel:[0,1]
	s_delay_alu instid0(VALU_DEP_1) | instskip(SKIP_1) | instid1(VALU_DEP_1)
	v_pk_fma_f32 v[140:141], v[134:135], v[124:125], v[138:139] op_sel:[0,0,1] op_sel_hi:[1,1,0] neg_lo:[0,0,1] neg_hi:[0,0,1]
	v_pk_fma_f32 v[134:135], v[134:135], v[124:125], v[138:139] op_sel:[0,0,1] op_sel_hi:[1,0,0]
	v_mov_b32_e32 v141, v135
	v_pk_mul_f32 v[134:135], v[136:137], v[126:127] op_sel:[0,1]
	s_delay_alu instid0(VALU_DEP_2) | instskip(NEXT) | instid1(VALU_DEP_2)
	v_pk_add_f32 v[78:79], v[78:79], v[140:141] neg_lo:[0,1] neg_hi:[0,1]
	v_pk_fma_f32 v[138:139], v[136:137], v[124:125], v[134:135] op_sel:[0,0,1] op_sel_hi:[1,1,0] neg_lo:[0,0,1] neg_hi:[0,0,1]
	v_pk_fma_f32 v[134:135], v[136:137], v[124:125], v[134:135] op_sel:[0,0,1] op_sel_hi:[1,0,0]
	s_delay_alu instid0(VALU_DEP_1) | instskip(SKIP_4) | instid1(VALU_DEP_1)
	v_mov_b32_e32 v139, v135
	ds_load_2addr_b64 v[134:137], v128 offset0:34 offset1:35
	v_pk_add_f32 v[76:77], v[76:77], v[138:139] neg_lo:[0,1] neg_hi:[0,1]
	s_wait_dscnt 0x0
	v_pk_mul_f32 v[138:139], v[134:135], v[126:127] op_sel:[0,1]
	v_pk_fma_f32 v[140:141], v[134:135], v[124:125], v[138:139] op_sel:[0,0,1] op_sel_hi:[1,1,0] neg_lo:[0,0,1] neg_hi:[0,0,1]
	v_pk_fma_f32 v[134:135], v[134:135], v[124:125], v[138:139] op_sel:[0,0,1] op_sel_hi:[1,0,0]
	v_dual_mul_f32 v138, v137, v127 :: v_dual_mov_b32 v134, v137
	s_delay_alu instid0(VALU_DEP_2) | instskip(NEXT) | instid1(VALU_DEP_2)
	v_dual_mov_b32 v141, v135 :: v_dual_mov_b32 v135, v136
	v_pk_fma_f32 v[138:139], v[136:137], v[50:51], v[138:139] op_sel_hi:[1,1,0] neg_lo:[0,0,1] neg_hi:[0,0,1]
	v_mul_f32_e32 v136, v137, v124
	s_delay_alu instid0(VALU_DEP_3) | instskip(NEXT) | instid1(VALU_DEP_2)
	v_pk_add_f32 v[56:57], v[56:57], v[140:141] neg_lo:[0,1] neg_hi:[0,1]
	v_pk_fma_f32 v[134:135], v[134:135], v[50:51], v[136:137] op_sel_hi:[1,1,0]
	s_delay_alu instid0(VALU_DEP_1) | instskip(SKIP_4) | instid1(VALU_DEP_1)
	v_mov_b32_e32 v139, v135
	ds_load_2addr_b64 v[134:137], v128 offset0:36 offset1:37
	v_pk_add_f32 v[54:55], v[54:55], v[138:139] neg_lo:[0,1] neg_hi:[0,1]
	s_wait_dscnt 0x0
	v_pk_mul_f32 v[138:139], v[134:135], v[126:127] op_sel:[0,1]
	v_pk_fma_f32 v[140:141], v[134:135], v[124:125], v[138:139] op_sel:[0,0,1] op_sel_hi:[1,1,0] neg_lo:[0,0,1] neg_hi:[0,0,1]
	v_pk_fma_f32 v[134:135], v[134:135], v[124:125], v[138:139] op_sel:[0,0,1] op_sel_hi:[1,0,0]
	s_delay_alu instid0(VALU_DEP_1) | instskip(SKIP_1) | instid1(VALU_DEP_1)
	v_mov_b32_e32 v141, v135
	v_pk_mul_f32 v[134:135], v[136:137], v[126:127] op_sel:[0,1]
	v_pk_fma_f32 v[138:139], v[136:137], v[124:125], v[134:135] op_sel:[0,0,1] op_sel_hi:[1,1,0] neg_lo:[0,0,1] neg_hi:[0,0,1]
	v_pk_fma_f32 v[134:135], v[136:137], v[124:125], v[134:135] op_sel:[0,0,1] op_sel_hi:[1,0,0]
	s_delay_alu instid0(VALU_DEP_1)
	v_mov_b32_e32 v139, v135
	ds_load_2addr_b64 v[134:137], v128 offset0:38 offset1:39
	v_pk_add_f32 v[88:89], v[88:89], v[140:141] neg_lo:[0,1] neg_hi:[0,1]
	v_pk_add_f32 v[86:87], v[86:87], v[138:139] neg_lo:[0,1] neg_hi:[0,1]
	s_wait_dscnt 0x0
	v_pk_mul_f32 v[138:139], v[134:135], v[126:127] op_sel:[0,1]
	s_delay_alu instid0(VALU_DEP_1) | instskip(SKIP_1) | instid1(VALU_DEP_1)
	v_pk_fma_f32 v[140:141], v[134:135], v[124:125], v[138:139] op_sel:[0,0,1] op_sel_hi:[1,1,0] neg_lo:[0,0,1] neg_hi:[0,0,1]
	v_pk_fma_f32 v[134:135], v[134:135], v[124:125], v[138:139] op_sel:[0,0,1] op_sel_hi:[1,0,0]
	v_mov_b32_e32 v141, v135
	v_pk_mul_f32 v[134:135], v[136:137], v[126:127] op_sel:[0,1]
	s_delay_alu instid0(VALU_DEP_1) | instskip(SKIP_1) | instid1(VALU_DEP_1)
	v_pk_fma_f32 v[138:139], v[136:137], v[124:125], v[134:135] op_sel:[0,0,1] op_sel_hi:[1,1,0] neg_lo:[0,0,1] neg_hi:[0,0,1]
	v_pk_fma_f32 v[134:135], v[136:137], v[124:125], v[134:135] op_sel:[0,0,1] op_sel_hi:[1,0,0]
	v_mov_b32_e32 v139, v135
	ds_load_2addr_b64 v[134:137], v128 offset0:40 offset1:41
	v_pk_add_f32 v[64:65], v[64:65], v[140:141] neg_lo:[0,1] neg_hi:[0,1]
	v_pk_add_f32 v[62:63], v[62:63], v[138:139] neg_lo:[0,1] neg_hi:[0,1]
	s_wait_dscnt 0x0
	v_dual_mul_f32 v138, v135, v127 :: v_dual_mul_f32 v140, v135, v124
	s_delay_alu instid0(VALU_DEP_1) | instskip(NEXT) | instid1(VALU_DEP_2)
	v_pk_fma_f32 v[138:139], v[134:135], v[50:51], v[138:139] op_sel_hi:[1,1,0] neg_lo:[0,0,1] neg_hi:[0,0,1]
	v_pk_fma_f32 v[134:135], v[134:135], v[50:51], v[140:141] op_sel:[1,0,0] op_sel_hi:[0,1,0]
	s_delay_alu instid0(VALU_DEP_1) | instskip(SKIP_1) | instid1(VALU_DEP_2)
	v_mov_b32_e32 v139, v135
	v_pk_mul_f32 v[134:135], v[136:137], v[126:127] op_sel:[0,1]
	v_pk_add_f32 v[102:103], v[102:103], v[138:139] neg_lo:[0,1] neg_hi:[0,1]
	s_delay_alu instid0(VALU_DEP_2) | instskip(SKIP_1) | instid1(VALU_DEP_1)
	v_pk_fma_f32 v[138:139], v[136:137], v[124:125], v[134:135] op_sel:[0,0,1] op_sel_hi:[1,1,0] neg_lo:[0,0,1] neg_hi:[0,0,1]
	v_pk_fma_f32 v[134:135], v[136:137], v[124:125], v[134:135] op_sel:[0,0,1] op_sel_hi:[1,0,0]
	v_mov_b32_e32 v139, v135
	ds_load_2addr_b64 v[134:137], v128 offset0:42 offset1:43
	v_pk_add_f32 v[100:101], v[100:101], v[138:139] neg_lo:[0,1] neg_hi:[0,1]
	s_wait_dscnt 0x0
	v_pk_mul_f32 v[138:139], v[134:135], v[126:127] op_sel:[0,1]
	s_delay_alu instid0(VALU_DEP_1) | instskip(SKIP_1) | instid1(VALU_DEP_1)
	v_pk_fma_f32 v[140:141], v[134:135], v[124:125], v[138:139] op_sel:[0,0,1] op_sel_hi:[1,1,0] neg_lo:[0,0,1] neg_hi:[0,0,1]
	v_pk_fma_f32 v[134:135], v[134:135], v[124:125], v[138:139] op_sel:[0,0,1] op_sel_hi:[1,0,0]
	v_mov_b32_e32 v141, v135
	v_pk_mul_f32 v[134:135], v[136:137], v[126:127] op_sel:[0,1]
	s_delay_alu instid0(VALU_DEP_2) | instskip(NEXT) | instid1(VALU_DEP_2)
	v_pk_add_f32 v[72:73], v[72:73], v[140:141] neg_lo:[0,1] neg_hi:[0,1]
	v_pk_fma_f32 v[138:139], v[136:137], v[124:125], v[134:135] op_sel:[0,0,1] op_sel_hi:[1,1,0] neg_lo:[0,0,1] neg_hi:[0,0,1]
	v_pk_fma_f32 v[134:135], v[136:137], v[124:125], v[134:135] op_sel:[0,0,1] op_sel_hi:[1,0,0]
	s_delay_alu instid0(VALU_DEP_1) | instskip(SKIP_4) | instid1(VALU_DEP_1)
	v_mov_b32_e32 v139, v135
	ds_load_2addr_b64 v[134:137], v128 offset0:44 offset1:45
	v_pk_add_f32 v[70:71], v[70:71], v[138:139] neg_lo:[0,1] neg_hi:[0,1]
	s_wait_dscnt 0x0
	v_pk_mul_f32 v[138:139], v[134:135], v[126:127] op_sel:[0,1]
	v_pk_fma_f32 v[140:141], v[134:135], v[124:125], v[138:139] op_sel:[0,0,1] op_sel_hi:[1,1,0] neg_lo:[0,0,1] neg_hi:[0,0,1]
	v_pk_fma_f32 v[134:135], v[134:135], v[124:125], v[138:139] op_sel:[0,0,1] op_sel_hi:[1,0,0]
	v_dual_mul_f32 v138, v137, v127 :: v_dual_mov_b32 v134, v137
	s_delay_alu instid0(VALU_DEP_2) | instskip(NEXT) | instid1(VALU_DEP_2)
	v_dual_mov_b32 v141, v135 :: v_dual_mov_b32 v135, v136
	v_pk_fma_f32 v[138:139], v[136:137], v[50:51], v[138:139] op_sel_hi:[1,1,0] neg_lo:[0,0,1] neg_hi:[0,0,1]
	v_mul_f32_e32 v136, v137, v124
	s_delay_alu instid0(VALU_DEP_3) | instskip(NEXT) | instid1(VALU_DEP_2)
	v_pk_add_f32 v[110:111], v[110:111], v[140:141] neg_lo:[0,1] neg_hi:[0,1]
	v_pk_fma_f32 v[134:135], v[134:135], v[50:51], v[136:137] op_sel_hi:[1,1,0]
	s_delay_alu instid0(VALU_DEP_1) | instskip(SKIP_4) | instid1(VALU_DEP_1)
	v_mov_b32_e32 v139, v135
	ds_load_2addr_b64 v[134:137], v128 offset0:46 offset1:47
	v_pk_add_f32 v[108:109], v[108:109], v[138:139] neg_lo:[0,1] neg_hi:[0,1]
	s_wait_dscnt 0x0
	v_pk_mul_f32 v[138:139], v[134:135], v[126:127] op_sel:[0,1]
	v_pk_fma_f32 v[140:141], v[134:135], v[124:125], v[138:139] op_sel:[0,0,1] op_sel_hi:[1,1,0] neg_lo:[0,0,1] neg_hi:[0,0,1]
	v_pk_fma_f32 v[134:135], v[134:135], v[124:125], v[138:139] op_sel:[0,0,1] op_sel_hi:[1,0,0]
	s_delay_alu instid0(VALU_DEP_1) | instskip(SKIP_1) | instid1(VALU_DEP_1)
	v_mov_b32_e32 v141, v135
	v_pk_mul_f32 v[134:135], v[136:137], v[126:127] op_sel:[0,1]
	v_pk_fma_f32 v[138:139], v[136:137], v[124:125], v[134:135] op_sel:[0,0,1] op_sel_hi:[1,1,0] neg_lo:[0,0,1] neg_hi:[0,0,1]
	v_pk_fma_f32 v[134:135], v[136:137], v[124:125], v[134:135] op_sel:[0,0,1] op_sel_hi:[1,0,0]
	s_delay_alu instid0(VALU_DEP_1)
	v_mov_b32_e32 v139, v135
	ds_load_2addr_b64 v[134:137], v128 offset0:48 offset1:49
	v_pk_add_f32 v[82:83], v[82:83], v[140:141] neg_lo:[0,1] neg_hi:[0,1]
	v_pk_add_f32 v[80:81], v[80:81], v[138:139] neg_lo:[0,1] neg_hi:[0,1]
	s_wait_dscnt 0x0
	v_pk_mul_f32 v[138:139], v[134:135], v[126:127] op_sel:[0,1]
	s_delay_alu instid0(VALU_DEP_1) | instskip(SKIP_1) | instid1(VALU_DEP_1)
	v_pk_fma_f32 v[140:141], v[134:135], v[124:125], v[138:139] op_sel:[0,0,1] op_sel_hi:[1,1,0] neg_lo:[0,0,1] neg_hi:[0,0,1]
	v_pk_fma_f32 v[134:135], v[134:135], v[124:125], v[138:139] op_sel:[0,0,1] op_sel_hi:[1,0,0]
	v_mov_b32_e32 v141, v135
	v_pk_mul_f32 v[134:135], v[136:137], v[126:127] op_sel:[0,1]
	s_delay_alu instid0(VALU_DEP_1) | instskip(SKIP_1) | instid1(VALU_DEP_1)
	v_pk_fma_f32 v[138:139], v[136:137], v[124:125], v[134:135] op_sel:[0,0,1] op_sel_hi:[1,1,0] neg_lo:[0,0,1] neg_hi:[0,0,1]
	v_pk_fma_f32 v[134:135], v[136:137], v[124:125], v[134:135] op_sel:[0,0,1] op_sel_hi:[1,0,0]
	v_mov_b32_e32 v139, v135
	ds_load_2addr_b64 v[134:137], v128 offset0:50 offset1:51
	v_pk_add_f32 v[120:121], v[120:121], v[140:141] neg_lo:[0,1] neg_hi:[0,1]
	v_pk_add_f32 v[118:119], v[118:119], v[138:139] neg_lo:[0,1] neg_hi:[0,1]
	s_wait_dscnt 0x0
	v_dual_mul_f32 v138, v135, v127 :: v_dual_mul_f32 v140, v135, v124
	s_delay_alu instid0(VALU_DEP_1) | instskip(NEXT) | instid1(VALU_DEP_2)
	v_pk_fma_f32 v[138:139], v[134:135], v[50:51], v[138:139] op_sel_hi:[1,1,0] neg_lo:[0,0,1] neg_hi:[0,0,1]
	v_pk_fma_f32 v[134:135], v[134:135], v[50:51], v[140:141] op_sel:[1,0,0] op_sel_hi:[0,1,0]
	s_delay_alu instid0(VALU_DEP_1) | instskip(SKIP_1) | instid1(VALU_DEP_2)
	v_mov_b32_e32 v139, v135
	v_pk_mul_f32 v[134:135], v[136:137], v[126:127] op_sel:[0,1]
	v_pk_add_f32 v[94:95], v[94:95], v[138:139] neg_lo:[0,1] neg_hi:[0,1]
	s_delay_alu instid0(VALU_DEP_2) | instskip(SKIP_1) | instid1(VALU_DEP_1)
	v_pk_fma_f32 v[138:139], v[136:137], v[124:125], v[134:135] op_sel:[0,0,1] op_sel_hi:[1,1,0] neg_lo:[0,0,1] neg_hi:[0,0,1]
	v_pk_fma_f32 v[134:135], v[136:137], v[124:125], v[134:135] op_sel:[0,0,1] op_sel_hi:[1,0,0]
	v_mov_b32_e32 v139, v135
	ds_load_2addr_b64 v[134:137], v128 offset0:52 offset1:53
	v_pk_add_f32 v[96:97], v[96:97], v[138:139] neg_lo:[0,1] neg_hi:[0,1]
	s_wait_dscnt 0x0
	v_pk_mul_f32 v[138:139], v[134:135], v[126:127] op_sel:[0,1]
	s_delay_alu instid0(VALU_DEP_1) | instskip(SKIP_1) | instid1(VALU_DEP_1)
	v_pk_fma_f32 v[140:141], v[134:135], v[124:125], v[138:139] op_sel:[0,0,1] op_sel_hi:[1,1,0] neg_lo:[0,0,1] neg_hi:[0,0,1]
	v_pk_fma_f32 v[134:135], v[134:135], v[124:125], v[138:139] op_sel:[0,0,1] op_sel_hi:[1,0,0]
	v_mov_b32_e32 v141, v135
	v_pk_mul_f32 v[134:135], v[136:137], v[126:127] op_sel:[0,1]
	s_delay_alu instid0(VALU_DEP_2) | instskip(NEXT) | instid1(VALU_DEP_2)
	v_pk_add_f32 v[114:115], v[114:115], v[140:141] neg_lo:[0,1] neg_hi:[0,1]
	v_pk_fma_f32 v[138:139], v[136:137], v[124:125], v[134:135] op_sel:[0,0,1] op_sel_hi:[1,1,0] neg_lo:[0,0,1] neg_hi:[0,0,1]
	v_pk_fma_f32 v[134:135], v[136:137], v[124:125], v[134:135] op_sel:[0,0,1] op_sel_hi:[1,0,0]
	s_delay_alu instid0(VALU_DEP_1) | instskip(SKIP_4) | instid1(VALU_DEP_1)
	v_mov_b32_e32 v139, v135
	ds_load_2addr_b64 v[134:137], v128 offset0:54 offset1:55
	v_pk_add_f32 v[112:113], v[112:113], v[138:139] neg_lo:[0,1] neg_hi:[0,1]
	s_wait_dscnt 0x0
	v_pk_mul_f32 v[138:139], v[134:135], v[126:127] op_sel:[0,1]
	v_pk_fma_f32 v[140:141], v[134:135], v[124:125], v[138:139] op_sel:[0,0,1] op_sel_hi:[1,1,0] neg_lo:[0,0,1] neg_hi:[0,0,1]
	v_pk_fma_f32 v[134:135], v[134:135], v[124:125], v[138:139] op_sel:[0,0,1] op_sel_hi:[1,0,0]
	v_dual_mul_f32 v138, v137, v127 :: v_dual_mov_b32 v134, v137
	s_delay_alu instid0(VALU_DEP_2) | instskip(NEXT) | instid1(VALU_DEP_2)
	v_dual_mov_b32 v141, v135 :: v_dual_mov_b32 v135, v136
	v_pk_fma_f32 v[138:139], v[136:137], v[50:51], v[138:139] op_sel_hi:[1,1,0] neg_lo:[0,0,1] neg_hi:[0,0,1]
	v_mul_f32_e32 v136, v137, v124
	s_delay_alu instid0(VALU_DEP_3) | instskip(NEXT) | instid1(VALU_DEP_2)
	v_pk_add_f32 v[92:93], v[92:93], v[140:141] neg_lo:[0,1] neg_hi:[0,1]
	v_pk_fma_f32 v[134:135], v[134:135], v[50:51], v[136:137] op_sel_hi:[1,1,0]
	s_delay_alu instid0(VALU_DEP_1) | instskip(SKIP_4) | instid1(VALU_DEP_1)
	v_mov_b32_e32 v139, v135
	ds_load_2addr_b64 v[134:137], v128 offset0:56 offset1:57
	v_pk_add_f32 v[90:91], v[90:91], v[138:139] neg_lo:[0,1] neg_hi:[0,1]
	s_wait_dscnt 0x0
	v_pk_mul_f32 v[138:139], v[134:135], v[126:127] op_sel:[0,1]
	v_pk_fma_f32 v[140:141], v[134:135], v[124:125], v[138:139] op_sel:[0,0,1] op_sel_hi:[1,1,0] neg_lo:[0,0,1] neg_hi:[0,0,1]
	v_pk_fma_f32 v[134:135], v[134:135], v[124:125], v[138:139] op_sel:[0,0,1] op_sel_hi:[1,0,0]
	s_delay_alu instid0(VALU_DEP_1) | instskip(SKIP_1) | instid1(VALU_DEP_1)
	v_mov_b32_e32 v141, v135
	v_pk_mul_f32 v[134:135], v[136:137], v[126:127] op_sel:[0,1]
	v_pk_fma_f32 v[138:139], v[136:137], v[124:125], v[134:135] op_sel:[0,0,1] op_sel_hi:[1,1,0] neg_lo:[0,0,1] neg_hi:[0,0,1]
	v_pk_fma_f32 v[134:135], v[136:137], v[124:125], v[134:135] op_sel:[0,0,1] op_sel_hi:[1,0,0]
	s_delay_alu instid0(VALU_DEP_1)
	v_mov_b32_e32 v139, v135
	ds_load_b64 v[134:135], v128 offset:464
	v_pk_add_f32 v[104:105], v[104:105], v[140:141] neg_lo:[0,1] neg_hi:[0,1]
	v_pk_add_f32 v[98:99], v[98:99], v[138:139] neg_lo:[0,1] neg_hi:[0,1]
	s_wait_dscnt 0x0
	v_pk_mul_f32 v[126:127], v[134:135], v[126:127] op_sel:[0,1]
	s_delay_alu instid0(VALU_DEP_1) | instskip(SKIP_1) | instid1(VALU_DEP_1)
	v_pk_fma_f32 v[136:137], v[134:135], v[124:125], v[126:127] op_sel:[0,0,1] op_sel_hi:[1,1,0] neg_lo:[0,0,1] neg_hi:[0,0,1]
	v_pk_fma_f32 v[124:125], v[134:135], v[124:125], v[126:127] op_sel:[0,0,1] op_sel_hi:[1,0,0]
	v_mov_b32_e32 v137, v125
	s_delay_alu instid0(VALU_DEP_1)
	v_pk_add_f32 v[122:123], v[122:123], v[136:137] neg_lo:[0,1] neg_hi:[0,1]
.LBB116_461:
	s_or_b32 exec_lo, exec_lo, s0
	v_lshl_add_u32 v124, v132, 3, v128
	s_barrier_signal -1
	s_barrier_wait -1
	ds_store_b64 v124, v[28:29]
	s_wait_dscnt 0x0
	s_barrier_signal -1
	s_barrier_wait -1
	ds_load_b64 v[126:127], v128 offset:176
	v_mov_b32_e32 v124, 22
	s_cmp_lt_i32 s18, 24
	s_cbranch_scc1 .LBB116_464
; %bb.462:
	v_add3_u32 v125, v129, 0, 0xb8
	v_mov_b32_e32 v124, 22
	s_mov_b32 s0, 23
.LBB116_463:                            ; =>This Inner Loop Header: Depth=1
	ds_load_b64 v[134:135], v125
	s_wait_dscnt 0x1
	v_cmp_gt_f32_e32 vcc_lo, 0, v126
	v_cndmask_b32_e64 v136, v126, -v126, vcc_lo
	v_cmp_gt_f32_e32 vcc_lo, 0, v127
	v_cndmask_b32_e64 v138, v127, -v127, vcc_lo
	s_wait_dscnt 0x0
	v_cmp_gt_f32_e32 vcc_lo, 0, v134
	v_cndmask_b32_e64 v137, v134, -v134, vcc_lo
	v_cmp_gt_f32_e32 vcc_lo, 0, v135
	v_cndmask_b32_e64 v139, v135, -v135, vcc_lo
	s_delay_alu instid0(VALU_DEP_1) | instskip(NEXT) | instid1(VALU_DEP_1)
	v_pk_add_f32 v[136:137], v[136:137], v[138:139]
	v_cmp_lt_f32_e32 vcc_lo, v136, v137
	v_dual_add_nc_u32 v125, 8, v125 :: v_dual_cndmask_b32 v127, v127, v135, vcc_lo
	v_cndmask_b32_e32 v126, v126, v134, vcc_lo
	v_cndmask_b32_e64 v124, v124, s0, vcc_lo
	s_add_co_i32 s0, s0, 1
	s_delay_alu instid0(SALU_CYCLE_1)
	s_cmp_lg_u32 s18, s0
	s_cbranch_scc1 .LBB116_463
.LBB116_464:
	s_wait_dscnt 0x0
	v_cmp_eq_f32_e32 vcc_lo, 0, v126
	v_cmp_eq_f32_e64 s0, 0, v127
	s_and_b32 s0, vcc_lo, s0
	s_delay_alu instid0(SALU_CYCLE_1) | instskip(NEXT) | instid1(SALU_CYCLE_1)
	s_and_saveexec_b32 s1, s0
	s_xor_b32 s0, exec_lo, s1
; %bb.465:
	v_cmp_ne_u32_e32 vcc_lo, 0, v130
	v_cndmask_b32_e32 v130, 23, v130, vcc_lo
; %bb.466:
	s_and_not1_saveexec_b32 s0, s0
	s_cbranch_execz .LBB116_472
; %bb.467:
	v_cmp_ngt_f32_e64 s1, |v126|, |v127|
	s_and_saveexec_b32 s12, s1
	s_delay_alu instid0(SALU_CYCLE_1)
	s_xor_b32 s1, exec_lo, s12
	s_cbranch_execz .LBB116_469
; %bb.468:
	v_div_scale_f32 v125, null, v127, v127, v126
	v_div_scale_f32 v135, vcc_lo, v126, v127, v126
	s_delay_alu instid0(VALU_DEP_2) | instskip(SKIP_1) | instid1(TRANS32_DEP_1)
	v_rcp_f32_e32 v133, v125
	v_nop
	v_fma_f32 v134, -v125, v133, 1.0
	s_delay_alu instid0(VALU_DEP_1) | instskip(NEXT) | instid1(VALU_DEP_1)
	v_fmac_f32_e32 v133, v134, v133
	v_mul_f32_e32 v134, v135, v133
	s_delay_alu instid0(VALU_DEP_1) | instskip(NEXT) | instid1(VALU_DEP_1)
	v_fma_f32 v136, -v125, v134, v135
	v_fmac_f32_e32 v134, v136, v133
	s_delay_alu instid0(VALU_DEP_1) | instskip(NEXT) | instid1(VALU_DEP_1)
	v_fma_f32 v125, -v125, v134, v135
	v_div_fmas_f32 v125, v125, v133, v134
	s_delay_alu instid0(VALU_DEP_1) | instskip(NEXT) | instid1(VALU_DEP_1)
	v_div_fixup_f32 v125, v125, v127, v126
	v_fmac_f32_e32 v127, v126, v125
	s_delay_alu instid0(VALU_DEP_1) | instskip(SKIP_1) | instid1(VALU_DEP_2)
	v_div_scale_f32 v126, null, v127, v127, 1.0
	v_div_scale_f32 v135, vcc_lo, 1.0, v127, 1.0
	v_rcp_f32_e32 v133, v126
	v_nop
	s_delay_alu instid0(TRANS32_DEP_1) | instskip(NEXT) | instid1(VALU_DEP_1)
	v_fma_f32 v134, -v126, v133, 1.0
	v_fmac_f32_e32 v133, v134, v133
	s_delay_alu instid0(VALU_DEP_1) | instskip(NEXT) | instid1(VALU_DEP_1)
	v_mul_f32_e32 v134, v135, v133
	v_fma_f32 v136, -v126, v134, v135
	s_delay_alu instid0(VALU_DEP_1) | instskip(NEXT) | instid1(VALU_DEP_1)
	v_fmac_f32_e32 v134, v136, v133
	v_fma_f32 v126, -v126, v134, v135
	s_delay_alu instid0(VALU_DEP_1) | instskip(NEXT) | instid1(VALU_DEP_1)
	v_div_fmas_f32 v126, v126, v133, v134
	v_div_fixup_f32 v127, v126, v127, 1.0
	s_delay_alu instid0(VALU_DEP_1)
	v_mul_f32_e32 v126, v125, v127
	v_xor_b32_e32 v127, 0x80000000, v127
.LBB116_469:
	s_and_not1_saveexec_b32 s1, s1
	s_cbranch_execz .LBB116_471
; %bb.470:
	s_delay_alu instid0(VALU_DEP_1) | instskip(SKIP_1) | instid1(VALU_DEP_2)
	v_div_scale_f32 v125, null, v126, v126, v127
	v_div_scale_f32 v135, vcc_lo, v127, v126, v127
	v_rcp_f32_e32 v133, v125
	v_nop
	s_delay_alu instid0(TRANS32_DEP_1) | instskip(NEXT) | instid1(VALU_DEP_1)
	v_fma_f32 v134, -v125, v133, 1.0
	v_fmac_f32_e32 v133, v134, v133
	s_delay_alu instid0(VALU_DEP_1) | instskip(NEXT) | instid1(VALU_DEP_1)
	v_mul_f32_e32 v134, v135, v133
	v_fma_f32 v136, -v125, v134, v135
	s_delay_alu instid0(VALU_DEP_1) | instskip(NEXT) | instid1(VALU_DEP_1)
	v_fmac_f32_e32 v134, v136, v133
	v_fma_f32 v125, -v125, v134, v135
	s_delay_alu instid0(VALU_DEP_1) | instskip(NEXT) | instid1(VALU_DEP_1)
	v_div_fmas_f32 v125, v125, v133, v134
	v_div_fixup_f32 v125, v125, v126, v127
	s_delay_alu instid0(VALU_DEP_1) | instskip(NEXT) | instid1(VALU_DEP_1)
	v_fmac_f32_e32 v126, v127, v125
	v_div_scale_f32 v127, null, v126, v126, 1.0
	s_delay_alu instid0(VALU_DEP_1) | instskip(SKIP_1) | instid1(TRANS32_DEP_1)
	v_rcp_f32_e32 v133, v127
	v_nop
	v_fma_f32 v134, -v127, v133, 1.0
	s_delay_alu instid0(VALU_DEP_1) | instskip(SKIP_1) | instid1(VALU_DEP_1)
	v_fmac_f32_e32 v133, v134, v133
	v_div_scale_f32 v134, vcc_lo, 1.0, v126, 1.0
	v_mul_f32_e32 v135, v134, v133
	s_delay_alu instid0(VALU_DEP_1) | instskip(NEXT) | instid1(VALU_DEP_1)
	v_fma_f32 v136, -v127, v135, v134
	v_fmac_f32_e32 v135, v136, v133
	s_delay_alu instid0(VALU_DEP_1) | instskip(NEXT) | instid1(VALU_DEP_1)
	v_fma_f32 v127, -v127, v135, v134
	v_div_fmas_f32 v127, v127, v133, v135
	s_delay_alu instid0(VALU_DEP_1) | instskip(NEXT) | instid1(VALU_DEP_1)
	v_div_fixup_f32 v126, v127, v126, 1.0
	v_mul_f32_e64 v127, v125, -v126
.LBB116_471:
	s_or_b32 exec_lo, exec_lo, s1
.LBB116_472:
	s_delay_alu instid0(SALU_CYCLE_1) | instskip(NEXT) | instid1(SALU_CYCLE_1)
	s_or_b32 exec_lo, exec_lo, s0
	s_mov_b32 s0, exec_lo
	v_cmpx_ne_u32_e64 v132, v124
	s_xor_b32 s0, exec_lo, s0
	s_cbranch_execz .LBB116_478
; %bb.473:
	s_mov_b32 s1, exec_lo
	v_cmpx_eq_u32_e32 22, v132
	s_cbranch_execz .LBB116_477
; %bb.474:
	v_cmp_ne_u32_e32 vcc_lo, 22, v124
	s_xor_b32 s12, s16, -1
	s_delay_alu instid0(SALU_CYCLE_1) | instskip(NEXT) | instid1(SALU_CYCLE_1)
	s_and_b32 s13, s12, vcc_lo
	s_and_saveexec_b32 s12, s13
	s_cbranch_execz .LBB116_476
; %bb.475:
	v_ashrrev_i32_e32 v125, 31, v124
	s_delay_alu instid0(VALU_DEP_1)
	v_lshl_add_u64 v[132:133], v[124:125], 2, v[4:5]
	s_clause 0x1
	global_load_b32 v125, v[132:133], off
	global_load_b32 v131, v[4:5], off offset:88
	s_wait_loadcnt 0x1
	global_store_b32 v[4:5], v125, off offset:88
	s_wait_loadcnt 0x0
	global_store_b32 v[132:133], v131, off
.LBB116_476:
	s_wait_xcnt 0x0
	s_or_b32 exec_lo, exec_lo, s12
	v_dual_mov_b32 v132, v124 :: v_dual_mov_b32 v131, v124
.LBB116_477:
	s_or_b32 exec_lo, exec_lo, s1
.LBB116_478:
	s_and_not1_saveexec_b32 s0, s0
	s_cbranch_execz .LBB116_480
; %bb.479:
	v_mov_b32_e32 v132, 22
	ds_store_2addr_b64 v128, v[26:27], v[60:61] offset0:23 offset1:24
	ds_store_2addr_b64 v128, v[58:59], v[38:39] offset0:25 offset1:26
	;; [unrolled: 1-line block ×18, first 2 shown]
.LBB116_480:
	s_or_b32 exec_lo, exec_lo, s0
	s_delay_alu instid0(SALU_CYCLE_1)
	s_mov_b32 s0, exec_lo
	s_wait_storecnt_dscnt 0x0
	s_barrier_signal -1
	s_barrier_wait -1
	v_cmpx_lt_i32_e32 22, v132
	s_cbranch_execz .LBB116_482
; %bb.481:
	v_pk_mul_f32 v[134:135], v[126:127], v[28:29] op_sel:[1,1] op_sel_hi:[0,1]
	s_delay_alu instid0(VALU_DEP_1)
	v_pk_fma_f32 v[124:125], v[126:127], v[28:29], v[134:135] op_sel_hi:[1,0,1] neg_lo:[0,0,1] neg_hi:[0,0,1]
	v_pk_fma_f32 v[126:127], v[126:127], v[28:29], v[134:135] op_sel_hi:[1,0,1]
	ds_load_2addr_b64 v[134:137], v128 offset0:23 offset1:24
	v_dual_mov_b32 v28, v124 :: v_dual_mov_b32 v29, v127
	s_wait_dscnt 0x0
	v_pk_mul_f32 v[138:139], v[134:135], v[126:127] op_sel:[0,1]
	s_delay_alu instid0(VALU_DEP_1) | instskip(SKIP_1) | instid1(VALU_DEP_1)
	v_pk_fma_f32 v[140:141], v[134:135], v[124:125], v[138:139] op_sel:[0,0,1] op_sel_hi:[1,1,0] neg_lo:[0,0,1] neg_hi:[0,0,1]
	v_pk_fma_f32 v[134:135], v[134:135], v[124:125], v[138:139] op_sel:[0,0,1] op_sel_hi:[1,0,0]
	v_mov_b32_e32 v141, v135
	v_pk_mul_f32 v[134:135], v[136:137], v[126:127] op_sel:[0,1]
	s_delay_alu instid0(VALU_DEP_1) | instskip(SKIP_1) | instid1(VALU_DEP_1)
	v_pk_fma_f32 v[138:139], v[136:137], v[124:125], v[134:135] op_sel:[0,0,1] op_sel_hi:[1,1,0] neg_lo:[0,0,1] neg_hi:[0,0,1]
	v_pk_fma_f32 v[134:135], v[136:137], v[124:125], v[134:135] op_sel:[0,0,1] op_sel_hi:[1,0,0]
	v_mov_b32_e32 v139, v135
	ds_load_2addr_b64 v[134:137], v128 offset0:25 offset1:26
	v_pk_add_f32 v[26:27], v[26:27], v[140:141] neg_lo:[0,1] neg_hi:[0,1]
	v_pk_add_f32 v[60:61], v[60:61], v[138:139] neg_lo:[0,1] neg_hi:[0,1]
	s_wait_dscnt 0x0
	v_pk_mul_f32 v[138:139], v[134:135], v[126:127] op_sel:[0,1]
	s_delay_alu instid0(VALU_DEP_1) | instskip(SKIP_2) | instid1(VALU_DEP_2)
	v_pk_fma_f32 v[140:141], v[134:135], v[124:125], v[138:139] op_sel:[0,0,1] op_sel_hi:[1,1,0] neg_lo:[0,0,1] neg_hi:[0,0,1]
	v_pk_fma_f32 v[134:135], v[134:135], v[124:125], v[138:139] op_sel:[0,0,1] op_sel_hi:[1,0,0]
	v_dual_mul_f32 v138, v137, v127 :: v_dual_mov_b32 v134, v137
	v_dual_mov_b32 v141, v135 :: v_dual_mov_b32 v135, v136
	s_delay_alu instid0(VALU_DEP_2) | instskip(SKIP_1) | instid1(VALU_DEP_3)
	v_pk_fma_f32 v[138:139], v[136:137], v[28:29], v[138:139] op_sel_hi:[1,1,0] neg_lo:[0,0,1] neg_hi:[0,0,1]
	v_mul_f32_e32 v136, v137, v124
	v_pk_add_f32 v[58:59], v[58:59], v[140:141] neg_lo:[0,1] neg_hi:[0,1]
	s_delay_alu instid0(VALU_DEP_2) | instskip(NEXT) | instid1(VALU_DEP_1)
	v_pk_fma_f32 v[134:135], v[134:135], v[28:29], v[136:137] op_sel_hi:[1,1,0]
	v_mov_b32_e32 v139, v135
	ds_load_2addr_b64 v[134:137], v128 offset0:27 offset1:28
	v_pk_add_f32 v[38:39], v[38:39], v[138:139] neg_lo:[0,1] neg_hi:[0,1]
	s_wait_dscnt 0x0
	v_pk_mul_f32 v[138:139], v[134:135], v[126:127] op_sel:[0,1]
	s_delay_alu instid0(VALU_DEP_1) | instskip(SKIP_1) | instid1(VALU_DEP_1)
	v_pk_fma_f32 v[140:141], v[134:135], v[124:125], v[138:139] op_sel:[0,0,1] op_sel_hi:[1,1,0] neg_lo:[0,0,1] neg_hi:[0,0,1]
	v_pk_fma_f32 v[134:135], v[134:135], v[124:125], v[138:139] op_sel:[0,0,1] op_sel_hi:[1,0,0]
	v_mov_b32_e32 v141, v135
	v_pk_mul_f32 v[134:135], v[136:137], v[126:127] op_sel:[0,1]
	s_delay_alu instid0(VALU_DEP_1) | instskip(SKIP_1) | instid1(VALU_DEP_1)
	v_pk_fma_f32 v[138:139], v[136:137], v[124:125], v[134:135] op_sel:[0,0,1] op_sel_hi:[1,1,0] neg_lo:[0,0,1] neg_hi:[0,0,1]
	v_pk_fma_f32 v[134:135], v[136:137], v[124:125], v[134:135] op_sel:[0,0,1] op_sel_hi:[1,0,0]
	v_mov_b32_e32 v139, v135
	ds_load_2addr_b64 v[134:137], v128 offset0:29 offset1:30
	v_pk_add_f32 v[36:37], v[36:37], v[140:141] neg_lo:[0,1] neg_hi:[0,1]
	v_pk_add_f32 v[68:69], v[68:69], v[138:139] neg_lo:[0,1] neg_hi:[0,1]
	s_wait_dscnt 0x0
	v_pk_mul_f32 v[138:139], v[134:135], v[126:127] op_sel:[0,1]
	s_delay_alu instid0(VALU_DEP_1) | instskip(SKIP_1) | instid1(VALU_DEP_1)
	v_pk_fma_f32 v[140:141], v[134:135], v[124:125], v[138:139] op_sel:[0,0,1] op_sel_hi:[1,1,0] neg_lo:[0,0,1] neg_hi:[0,0,1]
	v_pk_fma_f32 v[134:135], v[134:135], v[124:125], v[138:139] op_sel:[0,0,1] op_sel_hi:[1,0,0]
	v_mov_b32_e32 v141, v135
	v_pk_mul_f32 v[134:135], v[136:137], v[126:127] op_sel:[0,1]
	s_delay_alu instid0(VALU_DEP_1) | instskip(SKIP_1) | instid1(VALU_DEP_1)
	v_pk_fma_f32 v[138:139], v[136:137], v[124:125], v[134:135] op_sel:[0,0,1] op_sel_hi:[1,1,0] neg_lo:[0,0,1] neg_hi:[0,0,1]
	v_pk_fma_f32 v[134:135], v[136:137], v[124:125], v[134:135] op_sel:[0,0,1] op_sel_hi:[1,0,0]
	v_mov_b32_e32 v139, v135
	ds_load_2addr_b64 v[134:137], v128 offset0:31 offset1:32
	v_pk_add_f32 v[66:67], v[66:67], v[140:141] neg_lo:[0,1] neg_hi:[0,1]
	v_pk_add_f32 v[48:49], v[48:49], v[138:139] neg_lo:[0,1] neg_hi:[0,1]
	s_wait_dscnt 0x0
	v_dual_mul_f32 v138, v135, v127 :: v_dual_mul_f32 v140, v135, v124
	s_delay_alu instid0(VALU_DEP_1) | instskip(NEXT) | instid1(VALU_DEP_2)
	v_pk_fma_f32 v[138:139], v[134:135], v[28:29], v[138:139] op_sel_hi:[1,1,0] neg_lo:[0,0,1] neg_hi:[0,0,1]
	v_pk_fma_f32 v[134:135], v[134:135], v[28:29], v[140:141] op_sel:[1,0,0] op_sel_hi:[0,1,0]
	s_delay_alu instid0(VALU_DEP_1) | instskip(SKIP_1) | instid1(VALU_DEP_2)
	v_mov_b32_e32 v139, v135
	v_pk_mul_f32 v[134:135], v[136:137], v[126:127] op_sel:[0,1]
	v_pk_add_f32 v[46:47], v[46:47], v[138:139] neg_lo:[0,1] neg_hi:[0,1]
	s_delay_alu instid0(VALU_DEP_2) | instskip(SKIP_1) | instid1(VALU_DEP_1)
	v_pk_fma_f32 v[138:139], v[136:137], v[124:125], v[134:135] op_sel:[0,0,1] op_sel_hi:[1,1,0] neg_lo:[0,0,1] neg_hi:[0,0,1]
	v_pk_fma_f32 v[134:135], v[136:137], v[124:125], v[134:135] op_sel:[0,0,1] op_sel_hi:[1,0,0]
	v_mov_b32_e32 v139, v135
	ds_load_2addr_b64 v[134:137], v128 offset0:33 offset1:34
	v_pk_add_f32 v[78:79], v[78:79], v[138:139] neg_lo:[0,1] neg_hi:[0,1]
	s_wait_dscnt 0x0
	v_pk_mul_f32 v[138:139], v[134:135], v[126:127] op_sel:[0,1]
	s_delay_alu instid0(VALU_DEP_1) | instskip(SKIP_1) | instid1(VALU_DEP_1)
	v_pk_fma_f32 v[140:141], v[134:135], v[124:125], v[138:139] op_sel:[0,0,1] op_sel_hi:[1,1,0] neg_lo:[0,0,1] neg_hi:[0,0,1]
	v_pk_fma_f32 v[134:135], v[134:135], v[124:125], v[138:139] op_sel:[0,0,1] op_sel_hi:[1,0,0]
	v_mov_b32_e32 v141, v135
	v_pk_mul_f32 v[134:135], v[136:137], v[126:127] op_sel:[0,1]
	s_delay_alu instid0(VALU_DEP_2) | instskip(NEXT) | instid1(VALU_DEP_2)
	v_pk_add_f32 v[76:77], v[76:77], v[140:141] neg_lo:[0,1] neg_hi:[0,1]
	v_pk_fma_f32 v[138:139], v[136:137], v[124:125], v[134:135] op_sel:[0,0,1] op_sel_hi:[1,1,0] neg_lo:[0,0,1] neg_hi:[0,0,1]
	v_pk_fma_f32 v[134:135], v[136:137], v[124:125], v[134:135] op_sel:[0,0,1] op_sel_hi:[1,0,0]
	s_delay_alu instid0(VALU_DEP_1) | instskip(SKIP_4) | instid1(VALU_DEP_1)
	v_mov_b32_e32 v139, v135
	ds_load_2addr_b64 v[134:137], v128 offset0:35 offset1:36
	v_pk_add_f32 v[56:57], v[56:57], v[138:139] neg_lo:[0,1] neg_hi:[0,1]
	s_wait_dscnt 0x0
	v_pk_mul_f32 v[138:139], v[134:135], v[126:127] op_sel:[0,1]
	v_pk_fma_f32 v[140:141], v[134:135], v[124:125], v[138:139] op_sel:[0,0,1] op_sel_hi:[1,1,0] neg_lo:[0,0,1] neg_hi:[0,0,1]
	v_pk_fma_f32 v[134:135], v[134:135], v[124:125], v[138:139] op_sel:[0,0,1] op_sel_hi:[1,0,0]
	v_dual_mul_f32 v138, v137, v127 :: v_dual_mov_b32 v134, v137
	s_delay_alu instid0(VALU_DEP_2) | instskip(NEXT) | instid1(VALU_DEP_2)
	v_dual_mov_b32 v141, v135 :: v_dual_mov_b32 v135, v136
	v_pk_fma_f32 v[138:139], v[136:137], v[28:29], v[138:139] op_sel_hi:[1,1,0] neg_lo:[0,0,1] neg_hi:[0,0,1]
	v_mul_f32_e32 v136, v137, v124
	s_delay_alu instid0(VALU_DEP_3) | instskip(NEXT) | instid1(VALU_DEP_2)
	v_pk_add_f32 v[54:55], v[54:55], v[140:141] neg_lo:[0,1] neg_hi:[0,1]
	v_pk_fma_f32 v[134:135], v[134:135], v[28:29], v[136:137] op_sel_hi:[1,1,0]
	s_delay_alu instid0(VALU_DEP_1) | instskip(SKIP_4) | instid1(VALU_DEP_1)
	v_mov_b32_e32 v139, v135
	ds_load_2addr_b64 v[134:137], v128 offset0:37 offset1:38
	v_pk_add_f32 v[88:89], v[88:89], v[138:139] neg_lo:[0,1] neg_hi:[0,1]
	s_wait_dscnt 0x0
	v_pk_mul_f32 v[138:139], v[134:135], v[126:127] op_sel:[0,1]
	v_pk_fma_f32 v[140:141], v[134:135], v[124:125], v[138:139] op_sel:[0,0,1] op_sel_hi:[1,1,0] neg_lo:[0,0,1] neg_hi:[0,0,1]
	v_pk_fma_f32 v[134:135], v[134:135], v[124:125], v[138:139] op_sel:[0,0,1] op_sel_hi:[1,0,0]
	s_delay_alu instid0(VALU_DEP_1) | instskip(SKIP_1) | instid1(VALU_DEP_1)
	v_mov_b32_e32 v141, v135
	v_pk_mul_f32 v[134:135], v[136:137], v[126:127] op_sel:[0,1]
	v_pk_fma_f32 v[138:139], v[136:137], v[124:125], v[134:135] op_sel:[0,0,1] op_sel_hi:[1,1,0] neg_lo:[0,0,1] neg_hi:[0,0,1]
	v_pk_fma_f32 v[134:135], v[136:137], v[124:125], v[134:135] op_sel:[0,0,1] op_sel_hi:[1,0,0]
	s_delay_alu instid0(VALU_DEP_1)
	v_mov_b32_e32 v139, v135
	ds_load_2addr_b64 v[134:137], v128 offset0:39 offset1:40
	v_pk_add_f32 v[86:87], v[86:87], v[140:141] neg_lo:[0,1] neg_hi:[0,1]
	v_pk_add_f32 v[64:65], v[64:65], v[138:139] neg_lo:[0,1] neg_hi:[0,1]
	s_wait_dscnt 0x0
	v_pk_mul_f32 v[138:139], v[134:135], v[126:127] op_sel:[0,1]
	s_delay_alu instid0(VALU_DEP_1) | instskip(SKIP_1) | instid1(VALU_DEP_1)
	v_pk_fma_f32 v[140:141], v[134:135], v[124:125], v[138:139] op_sel:[0,0,1] op_sel_hi:[1,1,0] neg_lo:[0,0,1] neg_hi:[0,0,1]
	v_pk_fma_f32 v[134:135], v[134:135], v[124:125], v[138:139] op_sel:[0,0,1] op_sel_hi:[1,0,0]
	v_mov_b32_e32 v141, v135
	v_pk_mul_f32 v[134:135], v[136:137], v[126:127] op_sel:[0,1]
	s_delay_alu instid0(VALU_DEP_1) | instskip(SKIP_1) | instid1(VALU_DEP_1)
	v_pk_fma_f32 v[138:139], v[136:137], v[124:125], v[134:135] op_sel:[0,0,1] op_sel_hi:[1,1,0] neg_lo:[0,0,1] neg_hi:[0,0,1]
	v_pk_fma_f32 v[134:135], v[136:137], v[124:125], v[134:135] op_sel:[0,0,1] op_sel_hi:[1,0,0]
	v_mov_b32_e32 v139, v135
	ds_load_2addr_b64 v[134:137], v128 offset0:41 offset1:42
	v_pk_add_f32 v[62:63], v[62:63], v[140:141] neg_lo:[0,1] neg_hi:[0,1]
	v_pk_add_f32 v[102:103], v[102:103], v[138:139] neg_lo:[0,1] neg_hi:[0,1]
	s_wait_dscnt 0x0
	v_dual_mul_f32 v138, v135, v127 :: v_dual_mul_f32 v140, v135, v124
	s_delay_alu instid0(VALU_DEP_1) | instskip(NEXT) | instid1(VALU_DEP_2)
	v_pk_fma_f32 v[138:139], v[134:135], v[28:29], v[138:139] op_sel_hi:[1,1,0] neg_lo:[0,0,1] neg_hi:[0,0,1]
	v_pk_fma_f32 v[134:135], v[134:135], v[28:29], v[140:141] op_sel:[1,0,0] op_sel_hi:[0,1,0]
	s_delay_alu instid0(VALU_DEP_1) | instskip(SKIP_1) | instid1(VALU_DEP_2)
	v_mov_b32_e32 v139, v135
	v_pk_mul_f32 v[134:135], v[136:137], v[126:127] op_sel:[0,1]
	v_pk_add_f32 v[100:101], v[100:101], v[138:139] neg_lo:[0,1] neg_hi:[0,1]
	s_delay_alu instid0(VALU_DEP_2) | instskip(SKIP_1) | instid1(VALU_DEP_1)
	v_pk_fma_f32 v[138:139], v[136:137], v[124:125], v[134:135] op_sel:[0,0,1] op_sel_hi:[1,1,0] neg_lo:[0,0,1] neg_hi:[0,0,1]
	v_pk_fma_f32 v[134:135], v[136:137], v[124:125], v[134:135] op_sel:[0,0,1] op_sel_hi:[1,0,0]
	v_mov_b32_e32 v139, v135
	ds_load_2addr_b64 v[134:137], v128 offset0:43 offset1:44
	v_pk_add_f32 v[72:73], v[72:73], v[138:139] neg_lo:[0,1] neg_hi:[0,1]
	s_wait_dscnt 0x0
	v_pk_mul_f32 v[138:139], v[134:135], v[126:127] op_sel:[0,1]
	s_delay_alu instid0(VALU_DEP_1) | instskip(SKIP_1) | instid1(VALU_DEP_1)
	v_pk_fma_f32 v[140:141], v[134:135], v[124:125], v[138:139] op_sel:[0,0,1] op_sel_hi:[1,1,0] neg_lo:[0,0,1] neg_hi:[0,0,1]
	v_pk_fma_f32 v[134:135], v[134:135], v[124:125], v[138:139] op_sel:[0,0,1] op_sel_hi:[1,0,0]
	v_mov_b32_e32 v141, v135
	v_pk_mul_f32 v[134:135], v[136:137], v[126:127] op_sel:[0,1]
	s_delay_alu instid0(VALU_DEP_2) | instskip(NEXT) | instid1(VALU_DEP_2)
	v_pk_add_f32 v[70:71], v[70:71], v[140:141] neg_lo:[0,1] neg_hi:[0,1]
	v_pk_fma_f32 v[138:139], v[136:137], v[124:125], v[134:135] op_sel:[0,0,1] op_sel_hi:[1,1,0] neg_lo:[0,0,1] neg_hi:[0,0,1]
	v_pk_fma_f32 v[134:135], v[136:137], v[124:125], v[134:135] op_sel:[0,0,1] op_sel_hi:[1,0,0]
	s_delay_alu instid0(VALU_DEP_1) | instskip(SKIP_4) | instid1(VALU_DEP_1)
	v_mov_b32_e32 v139, v135
	ds_load_2addr_b64 v[134:137], v128 offset0:45 offset1:46
	v_pk_add_f32 v[110:111], v[110:111], v[138:139] neg_lo:[0,1] neg_hi:[0,1]
	s_wait_dscnt 0x0
	v_pk_mul_f32 v[138:139], v[134:135], v[126:127] op_sel:[0,1]
	v_pk_fma_f32 v[140:141], v[134:135], v[124:125], v[138:139] op_sel:[0,0,1] op_sel_hi:[1,1,0] neg_lo:[0,0,1] neg_hi:[0,0,1]
	v_pk_fma_f32 v[134:135], v[134:135], v[124:125], v[138:139] op_sel:[0,0,1] op_sel_hi:[1,0,0]
	v_dual_mul_f32 v138, v137, v127 :: v_dual_mov_b32 v134, v137
	s_delay_alu instid0(VALU_DEP_2) | instskip(NEXT) | instid1(VALU_DEP_2)
	v_dual_mov_b32 v141, v135 :: v_dual_mov_b32 v135, v136
	v_pk_fma_f32 v[138:139], v[136:137], v[28:29], v[138:139] op_sel_hi:[1,1,0] neg_lo:[0,0,1] neg_hi:[0,0,1]
	v_mul_f32_e32 v136, v137, v124
	s_delay_alu instid0(VALU_DEP_3) | instskip(NEXT) | instid1(VALU_DEP_2)
	v_pk_add_f32 v[108:109], v[108:109], v[140:141] neg_lo:[0,1] neg_hi:[0,1]
	v_pk_fma_f32 v[134:135], v[134:135], v[28:29], v[136:137] op_sel_hi:[1,1,0]
	s_delay_alu instid0(VALU_DEP_1) | instskip(SKIP_4) | instid1(VALU_DEP_1)
	v_mov_b32_e32 v139, v135
	ds_load_2addr_b64 v[134:137], v128 offset0:47 offset1:48
	v_pk_add_f32 v[82:83], v[82:83], v[138:139] neg_lo:[0,1] neg_hi:[0,1]
	s_wait_dscnt 0x0
	v_pk_mul_f32 v[138:139], v[134:135], v[126:127] op_sel:[0,1]
	v_pk_fma_f32 v[140:141], v[134:135], v[124:125], v[138:139] op_sel:[0,0,1] op_sel_hi:[1,1,0] neg_lo:[0,0,1] neg_hi:[0,0,1]
	v_pk_fma_f32 v[134:135], v[134:135], v[124:125], v[138:139] op_sel:[0,0,1] op_sel_hi:[1,0,0]
	s_delay_alu instid0(VALU_DEP_1) | instskip(SKIP_1) | instid1(VALU_DEP_1)
	v_mov_b32_e32 v141, v135
	v_pk_mul_f32 v[134:135], v[136:137], v[126:127] op_sel:[0,1]
	v_pk_fma_f32 v[138:139], v[136:137], v[124:125], v[134:135] op_sel:[0,0,1] op_sel_hi:[1,1,0] neg_lo:[0,0,1] neg_hi:[0,0,1]
	v_pk_fma_f32 v[134:135], v[136:137], v[124:125], v[134:135] op_sel:[0,0,1] op_sel_hi:[1,0,0]
	s_delay_alu instid0(VALU_DEP_1)
	v_mov_b32_e32 v139, v135
	ds_load_2addr_b64 v[134:137], v128 offset0:49 offset1:50
	v_pk_add_f32 v[80:81], v[80:81], v[140:141] neg_lo:[0,1] neg_hi:[0,1]
	v_pk_add_f32 v[120:121], v[120:121], v[138:139] neg_lo:[0,1] neg_hi:[0,1]
	s_wait_dscnt 0x0
	v_pk_mul_f32 v[138:139], v[134:135], v[126:127] op_sel:[0,1]
	s_delay_alu instid0(VALU_DEP_1) | instskip(SKIP_1) | instid1(VALU_DEP_1)
	v_pk_fma_f32 v[140:141], v[134:135], v[124:125], v[138:139] op_sel:[0,0,1] op_sel_hi:[1,1,0] neg_lo:[0,0,1] neg_hi:[0,0,1]
	v_pk_fma_f32 v[134:135], v[134:135], v[124:125], v[138:139] op_sel:[0,0,1] op_sel_hi:[1,0,0]
	v_mov_b32_e32 v141, v135
	v_pk_mul_f32 v[134:135], v[136:137], v[126:127] op_sel:[0,1]
	s_delay_alu instid0(VALU_DEP_1) | instskip(SKIP_1) | instid1(VALU_DEP_1)
	v_pk_fma_f32 v[138:139], v[136:137], v[124:125], v[134:135] op_sel:[0,0,1] op_sel_hi:[1,1,0] neg_lo:[0,0,1] neg_hi:[0,0,1]
	v_pk_fma_f32 v[134:135], v[136:137], v[124:125], v[134:135] op_sel:[0,0,1] op_sel_hi:[1,0,0]
	v_mov_b32_e32 v139, v135
	ds_load_2addr_b64 v[134:137], v128 offset0:51 offset1:52
	v_pk_add_f32 v[118:119], v[118:119], v[140:141] neg_lo:[0,1] neg_hi:[0,1]
	v_pk_add_f32 v[94:95], v[94:95], v[138:139] neg_lo:[0,1] neg_hi:[0,1]
	s_wait_dscnt 0x0
	v_dual_mul_f32 v138, v135, v127 :: v_dual_mul_f32 v140, v135, v124
	s_delay_alu instid0(VALU_DEP_1) | instskip(NEXT) | instid1(VALU_DEP_2)
	v_pk_fma_f32 v[138:139], v[134:135], v[28:29], v[138:139] op_sel_hi:[1,1,0] neg_lo:[0,0,1] neg_hi:[0,0,1]
	v_pk_fma_f32 v[134:135], v[134:135], v[28:29], v[140:141] op_sel:[1,0,0] op_sel_hi:[0,1,0]
	s_delay_alu instid0(VALU_DEP_1) | instskip(SKIP_1) | instid1(VALU_DEP_2)
	v_mov_b32_e32 v139, v135
	v_pk_mul_f32 v[134:135], v[136:137], v[126:127] op_sel:[0,1]
	v_pk_add_f32 v[96:97], v[96:97], v[138:139] neg_lo:[0,1] neg_hi:[0,1]
	s_delay_alu instid0(VALU_DEP_2) | instskip(SKIP_1) | instid1(VALU_DEP_1)
	v_pk_fma_f32 v[138:139], v[136:137], v[124:125], v[134:135] op_sel:[0,0,1] op_sel_hi:[1,1,0] neg_lo:[0,0,1] neg_hi:[0,0,1]
	v_pk_fma_f32 v[134:135], v[136:137], v[124:125], v[134:135] op_sel:[0,0,1] op_sel_hi:[1,0,0]
	v_mov_b32_e32 v139, v135
	ds_load_2addr_b64 v[134:137], v128 offset0:53 offset1:54
	v_pk_add_f32 v[114:115], v[114:115], v[138:139] neg_lo:[0,1] neg_hi:[0,1]
	s_wait_dscnt 0x0
	v_pk_mul_f32 v[138:139], v[134:135], v[126:127] op_sel:[0,1]
	s_delay_alu instid0(VALU_DEP_1) | instskip(SKIP_1) | instid1(VALU_DEP_1)
	v_pk_fma_f32 v[140:141], v[134:135], v[124:125], v[138:139] op_sel:[0,0,1] op_sel_hi:[1,1,0] neg_lo:[0,0,1] neg_hi:[0,0,1]
	v_pk_fma_f32 v[134:135], v[134:135], v[124:125], v[138:139] op_sel:[0,0,1] op_sel_hi:[1,0,0]
	v_mov_b32_e32 v141, v135
	v_pk_mul_f32 v[134:135], v[136:137], v[126:127] op_sel:[0,1]
	s_delay_alu instid0(VALU_DEP_2) | instskip(NEXT) | instid1(VALU_DEP_2)
	v_pk_add_f32 v[112:113], v[112:113], v[140:141] neg_lo:[0,1] neg_hi:[0,1]
	v_pk_fma_f32 v[138:139], v[136:137], v[124:125], v[134:135] op_sel:[0,0,1] op_sel_hi:[1,1,0] neg_lo:[0,0,1] neg_hi:[0,0,1]
	v_pk_fma_f32 v[134:135], v[136:137], v[124:125], v[134:135] op_sel:[0,0,1] op_sel_hi:[1,0,0]
	s_delay_alu instid0(VALU_DEP_1) | instskip(SKIP_4) | instid1(VALU_DEP_1)
	v_mov_b32_e32 v139, v135
	ds_load_2addr_b64 v[134:137], v128 offset0:55 offset1:56
	v_pk_add_f32 v[92:93], v[92:93], v[138:139] neg_lo:[0,1] neg_hi:[0,1]
	s_wait_dscnt 0x0
	v_pk_mul_f32 v[138:139], v[134:135], v[126:127] op_sel:[0,1]
	v_pk_fma_f32 v[140:141], v[134:135], v[124:125], v[138:139] op_sel:[0,0,1] op_sel_hi:[1,1,0] neg_lo:[0,0,1] neg_hi:[0,0,1]
	v_pk_fma_f32 v[134:135], v[134:135], v[124:125], v[138:139] op_sel:[0,0,1] op_sel_hi:[1,0,0]
	v_dual_mul_f32 v138, v137, v127 :: v_dual_mov_b32 v134, v137
	s_delay_alu instid0(VALU_DEP_2) | instskip(NEXT) | instid1(VALU_DEP_2)
	v_dual_mov_b32 v141, v135 :: v_dual_mov_b32 v135, v136
	v_pk_fma_f32 v[138:139], v[136:137], v[28:29], v[138:139] op_sel_hi:[1,1,0] neg_lo:[0,0,1] neg_hi:[0,0,1]
	v_mul_f32_e32 v136, v137, v124
	s_delay_alu instid0(VALU_DEP_3) | instskip(NEXT) | instid1(VALU_DEP_2)
	v_pk_add_f32 v[90:91], v[90:91], v[140:141] neg_lo:[0,1] neg_hi:[0,1]
	v_pk_fma_f32 v[134:135], v[134:135], v[28:29], v[136:137] op_sel_hi:[1,1,0]
	s_delay_alu instid0(VALU_DEP_1)
	v_mov_b32_e32 v139, v135
	ds_load_2addr_b64 v[134:137], v128 offset0:57 offset1:58
	v_pk_add_f32 v[104:105], v[104:105], v[138:139] neg_lo:[0,1] neg_hi:[0,1]
	s_wait_dscnt 0x0
	v_pk_mul_f32 v[138:139], v[134:135], v[126:127] op_sel:[0,1]
	v_mul_f32_e32 v126, v137, v127
	s_delay_alu instid0(VALU_DEP_2) | instskip(SKIP_2) | instid1(VALU_DEP_4)
	v_pk_fma_f32 v[140:141], v[134:135], v[124:125], v[138:139] op_sel:[0,0,1] op_sel_hi:[1,1,0] neg_lo:[0,0,1] neg_hi:[0,0,1]
	v_pk_fma_f32 v[134:135], v[134:135], v[124:125], v[138:139] op_sel:[0,0,1] op_sel_hi:[1,0,0]
	v_dual_mov_b32 v134, v137 :: v_dual_mul_f32 v124, v137, v124
	v_pk_fma_f32 v[126:127], v[136:137], v[28:29], v[126:127] op_sel_hi:[1,1,0] neg_lo:[0,0,1] neg_hi:[0,0,1]
	s_delay_alu instid0(VALU_DEP_3) | instskip(NEXT) | instid1(VALU_DEP_1)
	v_dual_mov_b32 v141, v135 :: v_dual_mov_b32 v135, v136
	v_pk_add_f32 v[98:99], v[98:99], v[140:141] neg_lo:[0,1] neg_hi:[0,1]
	s_delay_alu instid0(VALU_DEP_2) | instskip(NEXT) | instid1(VALU_DEP_1)
	v_pk_fma_f32 v[124:125], v[134:135], v[28:29], v[124:125] op_sel_hi:[1,1,0]
	v_mov_b32_e32 v127, v125
	s_delay_alu instid0(VALU_DEP_1)
	v_pk_add_f32 v[122:123], v[122:123], v[126:127] neg_lo:[0,1] neg_hi:[0,1]
.LBB116_482:
	s_or_b32 exec_lo, exec_lo, s0
	v_lshl_add_u32 v124, v132, 3, v128
	s_barrier_signal -1
	s_barrier_wait -1
	ds_store_b64 v124, v[26:27]
	s_wait_dscnt 0x0
	s_barrier_signal -1
	s_barrier_wait -1
	ds_load_b64 v[126:127], v128 offset:184
	v_mov_b32_e32 v124, 23
	s_cmp_lt_i32 s18, 25
	s_cbranch_scc1 .LBB116_485
; %bb.483:
	v_add3_u32 v125, v129, 0, 0xc0
	v_mov_b32_e32 v124, 23
	s_mov_b32 s0, 24
.LBB116_484:                            ; =>This Inner Loop Header: Depth=1
	ds_load_b64 v[134:135], v125
	s_wait_dscnt 0x1
	v_cmp_gt_f32_e32 vcc_lo, 0, v126
	v_cndmask_b32_e64 v136, v126, -v126, vcc_lo
	v_cmp_gt_f32_e32 vcc_lo, 0, v127
	v_cndmask_b32_e64 v138, v127, -v127, vcc_lo
	s_wait_dscnt 0x0
	v_cmp_gt_f32_e32 vcc_lo, 0, v134
	v_cndmask_b32_e64 v137, v134, -v134, vcc_lo
	v_cmp_gt_f32_e32 vcc_lo, 0, v135
	v_cndmask_b32_e64 v139, v135, -v135, vcc_lo
	s_delay_alu instid0(VALU_DEP_1) | instskip(NEXT) | instid1(VALU_DEP_1)
	v_pk_add_f32 v[136:137], v[136:137], v[138:139]
	v_cmp_lt_f32_e32 vcc_lo, v136, v137
	v_dual_add_nc_u32 v125, 8, v125 :: v_dual_cndmask_b32 v127, v127, v135, vcc_lo
	v_cndmask_b32_e32 v126, v126, v134, vcc_lo
	v_cndmask_b32_e64 v124, v124, s0, vcc_lo
	s_add_co_i32 s0, s0, 1
	s_delay_alu instid0(SALU_CYCLE_1)
	s_cmp_lg_u32 s18, s0
	s_cbranch_scc1 .LBB116_484
.LBB116_485:
	s_wait_dscnt 0x0
	v_cmp_eq_f32_e32 vcc_lo, 0, v126
	v_cmp_eq_f32_e64 s0, 0, v127
	s_and_b32 s0, vcc_lo, s0
	s_delay_alu instid0(SALU_CYCLE_1) | instskip(NEXT) | instid1(SALU_CYCLE_1)
	s_and_saveexec_b32 s1, s0
	s_xor_b32 s0, exec_lo, s1
; %bb.486:
	v_cmp_ne_u32_e32 vcc_lo, 0, v130
	v_cndmask_b32_e32 v130, 24, v130, vcc_lo
; %bb.487:
	s_and_not1_saveexec_b32 s0, s0
	s_cbranch_execz .LBB116_493
; %bb.488:
	v_cmp_ngt_f32_e64 s1, |v126|, |v127|
	s_and_saveexec_b32 s12, s1
	s_delay_alu instid0(SALU_CYCLE_1)
	s_xor_b32 s1, exec_lo, s12
	s_cbranch_execz .LBB116_490
; %bb.489:
	v_div_scale_f32 v125, null, v127, v127, v126
	v_div_scale_f32 v135, vcc_lo, v126, v127, v126
	s_delay_alu instid0(VALU_DEP_2) | instskip(SKIP_1) | instid1(TRANS32_DEP_1)
	v_rcp_f32_e32 v133, v125
	v_nop
	v_fma_f32 v134, -v125, v133, 1.0
	s_delay_alu instid0(VALU_DEP_1) | instskip(NEXT) | instid1(VALU_DEP_1)
	v_fmac_f32_e32 v133, v134, v133
	v_mul_f32_e32 v134, v135, v133
	s_delay_alu instid0(VALU_DEP_1) | instskip(NEXT) | instid1(VALU_DEP_1)
	v_fma_f32 v136, -v125, v134, v135
	v_fmac_f32_e32 v134, v136, v133
	s_delay_alu instid0(VALU_DEP_1) | instskip(NEXT) | instid1(VALU_DEP_1)
	v_fma_f32 v125, -v125, v134, v135
	v_div_fmas_f32 v125, v125, v133, v134
	s_delay_alu instid0(VALU_DEP_1) | instskip(NEXT) | instid1(VALU_DEP_1)
	v_div_fixup_f32 v125, v125, v127, v126
	v_fmac_f32_e32 v127, v126, v125
	s_delay_alu instid0(VALU_DEP_1) | instskip(SKIP_1) | instid1(VALU_DEP_2)
	v_div_scale_f32 v126, null, v127, v127, 1.0
	v_div_scale_f32 v135, vcc_lo, 1.0, v127, 1.0
	v_rcp_f32_e32 v133, v126
	v_nop
	s_delay_alu instid0(TRANS32_DEP_1) | instskip(NEXT) | instid1(VALU_DEP_1)
	v_fma_f32 v134, -v126, v133, 1.0
	v_fmac_f32_e32 v133, v134, v133
	s_delay_alu instid0(VALU_DEP_1) | instskip(NEXT) | instid1(VALU_DEP_1)
	v_mul_f32_e32 v134, v135, v133
	v_fma_f32 v136, -v126, v134, v135
	s_delay_alu instid0(VALU_DEP_1) | instskip(NEXT) | instid1(VALU_DEP_1)
	v_fmac_f32_e32 v134, v136, v133
	v_fma_f32 v126, -v126, v134, v135
	s_delay_alu instid0(VALU_DEP_1) | instskip(NEXT) | instid1(VALU_DEP_1)
	v_div_fmas_f32 v126, v126, v133, v134
	v_div_fixup_f32 v127, v126, v127, 1.0
	s_delay_alu instid0(VALU_DEP_1)
	v_mul_f32_e32 v126, v125, v127
	v_xor_b32_e32 v127, 0x80000000, v127
.LBB116_490:
	s_and_not1_saveexec_b32 s1, s1
	s_cbranch_execz .LBB116_492
; %bb.491:
	s_delay_alu instid0(VALU_DEP_1) | instskip(SKIP_1) | instid1(VALU_DEP_2)
	v_div_scale_f32 v125, null, v126, v126, v127
	v_div_scale_f32 v135, vcc_lo, v127, v126, v127
	v_rcp_f32_e32 v133, v125
	v_nop
	s_delay_alu instid0(TRANS32_DEP_1) | instskip(NEXT) | instid1(VALU_DEP_1)
	v_fma_f32 v134, -v125, v133, 1.0
	v_fmac_f32_e32 v133, v134, v133
	s_delay_alu instid0(VALU_DEP_1) | instskip(NEXT) | instid1(VALU_DEP_1)
	v_mul_f32_e32 v134, v135, v133
	v_fma_f32 v136, -v125, v134, v135
	s_delay_alu instid0(VALU_DEP_1) | instskip(NEXT) | instid1(VALU_DEP_1)
	v_fmac_f32_e32 v134, v136, v133
	v_fma_f32 v125, -v125, v134, v135
	s_delay_alu instid0(VALU_DEP_1) | instskip(NEXT) | instid1(VALU_DEP_1)
	v_div_fmas_f32 v125, v125, v133, v134
	v_div_fixup_f32 v125, v125, v126, v127
	s_delay_alu instid0(VALU_DEP_1) | instskip(NEXT) | instid1(VALU_DEP_1)
	v_fmac_f32_e32 v126, v127, v125
	v_div_scale_f32 v127, null, v126, v126, 1.0
	s_delay_alu instid0(VALU_DEP_1) | instskip(SKIP_1) | instid1(TRANS32_DEP_1)
	v_rcp_f32_e32 v133, v127
	v_nop
	v_fma_f32 v134, -v127, v133, 1.0
	s_delay_alu instid0(VALU_DEP_1) | instskip(SKIP_1) | instid1(VALU_DEP_1)
	v_fmac_f32_e32 v133, v134, v133
	v_div_scale_f32 v134, vcc_lo, 1.0, v126, 1.0
	v_mul_f32_e32 v135, v134, v133
	s_delay_alu instid0(VALU_DEP_1) | instskip(NEXT) | instid1(VALU_DEP_1)
	v_fma_f32 v136, -v127, v135, v134
	v_fmac_f32_e32 v135, v136, v133
	s_delay_alu instid0(VALU_DEP_1) | instskip(NEXT) | instid1(VALU_DEP_1)
	v_fma_f32 v127, -v127, v135, v134
	v_div_fmas_f32 v127, v127, v133, v135
	s_delay_alu instid0(VALU_DEP_1) | instskip(NEXT) | instid1(VALU_DEP_1)
	v_div_fixup_f32 v126, v127, v126, 1.0
	v_mul_f32_e64 v127, v125, -v126
.LBB116_492:
	s_or_b32 exec_lo, exec_lo, s1
.LBB116_493:
	s_delay_alu instid0(SALU_CYCLE_1) | instskip(NEXT) | instid1(SALU_CYCLE_1)
	s_or_b32 exec_lo, exec_lo, s0
	s_mov_b32 s0, exec_lo
	v_cmpx_ne_u32_e64 v132, v124
	s_xor_b32 s0, exec_lo, s0
	s_cbranch_execz .LBB116_499
; %bb.494:
	s_mov_b32 s1, exec_lo
	v_cmpx_eq_u32_e32 23, v132
	s_cbranch_execz .LBB116_498
; %bb.495:
	v_cmp_ne_u32_e32 vcc_lo, 23, v124
	s_xor_b32 s12, s16, -1
	s_delay_alu instid0(SALU_CYCLE_1) | instskip(NEXT) | instid1(SALU_CYCLE_1)
	s_and_b32 s13, s12, vcc_lo
	s_and_saveexec_b32 s12, s13
	s_cbranch_execz .LBB116_497
; %bb.496:
	v_ashrrev_i32_e32 v125, 31, v124
	s_delay_alu instid0(VALU_DEP_1)
	v_lshl_add_u64 v[132:133], v[124:125], 2, v[4:5]
	s_clause 0x1
	global_load_b32 v125, v[132:133], off
	global_load_b32 v131, v[4:5], off offset:92
	s_wait_loadcnt 0x1
	global_store_b32 v[4:5], v125, off offset:92
	s_wait_loadcnt 0x0
	global_store_b32 v[132:133], v131, off
.LBB116_497:
	s_wait_xcnt 0x0
	s_or_b32 exec_lo, exec_lo, s12
	v_dual_mov_b32 v132, v124 :: v_dual_mov_b32 v131, v124
.LBB116_498:
	s_or_b32 exec_lo, exec_lo, s1
.LBB116_499:
	s_and_not1_saveexec_b32 s0, s0
	s_cbranch_execz .LBB116_501
; %bb.500:
	v_dual_mov_b32 v124, v60 :: v_dual_mov_b32 v125, v61
	v_dual_mov_b32 v132, v58 :: v_dual_mov_b32 v133, v59
	ds_store_2addr_b64 v128, v[124:125], v[132:133] offset0:24 offset1:25
	v_dual_mov_b32 v124, v38 :: v_dual_mov_b32 v125, v39
	v_dual_mov_b32 v132, v36 :: v_dual_mov_b32 v133, v37
	ds_store_2addr_b64 v128, v[124:125], v[132:133] offset0:26 offset1:27
	;; [unrolled: 3-line block ×17, first 2 shown]
	ds_store_b64 v128, v[122:123] offset:464
	v_mov_b32_e32 v132, 23
.LBB116_501:
	s_or_b32 exec_lo, exec_lo, s0
	s_delay_alu instid0(SALU_CYCLE_1)
	s_mov_b32 s0, exec_lo
	s_wait_storecnt_dscnt 0x0
	s_barrier_signal -1
	s_barrier_wait -1
	v_cmpx_lt_i32_e32 23, v132
	s_cbranch_execz .LBB116_503
; %bb.502:
	v_pk_mul_f32 v[134:135], v[126:127], v[26:27] op_sel:[1,1] op_sel_hi:[0,1]
	s_delay_alu instid0(VALU_DEP_1)
	v_pk_fma_f32 v[124:125], v[126:127], v[26:27], v[134:135] op_sel_hi:[1,0,1] neg_lo:[0,0,1] neg_hi:[0,0,1]
	v_pk_fma_f32 v[126:127], v[126:127], v[26:27], v[134:135] op_sel_hi:[1,0,1]
	ds_load_2addr_b64 v[134:137], v128 offset0:24 offset1:25
	v_dual_mov_b32 v26, v124 :: v_dual_mov_b32 v27, v127
	s_wait_dscnt 0x0
	v_pk_mul_f32 v[138:139], v[134:135], v[126:127] op_sel:[0,1]
	s_delay_alu instid0(VALU_DEP_1) | instskip(SKIP_1) | instid1(VALU_DEP_1)
	v_pk_fma_f32 v[140:141], v[134:135], v[124:125], v[138:139] op_sel:[0,0,1] op_sel_hi:[1,1,0] neg_lo:[0,0,1] neg_hi:[0,0,1]
	v_pk_fma_f32 v[134:135], v[134:135], v[124:125], v[138:139] op_sel:[0,0,1] op_sel_hi:[1,0,0]
	v_mov_b32_e32 v141, v135
	v_pk_mul_f32 v[134:135], v[136:137], v[126:127] op_sel:[0,1]
	s_delay_alu instid0(VALU_DEP_1) | instskip(SKIP_1) | instid1(VALU_DEP_1)
	v_pk_fma_f32 v[138:139], v[136:137], v[124:125], v[134:135] op_sel:[0,0,1] op_sel_hi:[1,1,0] neg_lo:[0,0,1] neg_hi:[0,0,1]
	v_pk_fma_f32 v[134:135], v[136:137], v[124:125], v[134:135] op_sel:[0,0,1] op_sel_hi:[1,0,0]
	v_mov_b32_e32 v139, v135
	ds_load_2addr_b64 v[134:137], v128 offset0:26 offset1:27
	v_pk_add_f32 v[60:61], v[60:61], v[140:141] neg_lo:[0,1] neg_hi:[0,1]
	v_pk_add_f32 v[58:59], v[58:59], v[138:139] neg_lo:[0,1] neg_hi:[0,1]
	s_wait_dscnt 0x0
	v_pk_mul_f32 v[138:139], v[134:135], v[126:127] op_sel:[0,1]
	s_delay_alu instid0(VALU_DEP_1) | instskip(SKIP_2) | instid1(VALU_DEP_2)
	v_pk_fma_f32 v[140:141], v[134:135], v[124:125], v[138:139] op_sel:[0,0,1] op_sel_hi:[1,1,0] neg_lo:[0,0,1] neg_hi:[0,0,1]
	v_pk_fma_f32 v[134:135], v[134:135], v[124:125], v[138:139] op_sel:[0,0,1] op_sel_hi:[1,0,0]
	v_dual_mul_f32 v138, v137, v127 :: v_dual_mov_b32 v134, v137
	v_dual_mov_b32 v141, v135 :: v_dual_mov_b32 v135, v136
	s_delay_alu instid0(VALU_DEP_2) | instskip(SKIP_1) | instid1(VALU_DEP_3)
	v_pk_fma_f32 v[138:139], v[136:137], v[26:27], v[138:139] op_sel_hi:[1,1,0] neg_lo:[0,0,1] neg_hi:[0,0,1]
	v_mul_f32_e32 v136, v137, v124
	v_pk_add_f32 v[38:39], v[38:39], v[140:141] neg_lo:[0,1] neg_hi:[0,1]
	s_delay_alu instid0(VALU_DEP_2) | instskip(NEXT) | instid1(VALU_DEP_1)
	v_pk_fma_f32 v[134:135], v[134:135], v[26:27], v[136:137] op_sel_hi:[1,1,0]
	v_mov_b32_e32 v139, v135
	ds_load_2addr_b64 v[134:137], v128 offset0:28 offset1:29
	v_pk_add_f32 v[36:37], v[36:37], v[138:139] neg_lo:[0,1] neg_hi:[0,1]
	s_wait_dscnt 0x0
	v_pk_mul_f32 v[138:139], v[134:135], v[126:127] op_sel:[0,1]
	s_delay_alu instid0(VALU_DEP_1) | instskip(SKIP_1) | instid1(VALU_DEP_1)
	v_pk_fma_f32 v[140:141], v[134:135], v[124:125], v[138:139] op_sel:[0,0,1] op_sel_hi:[1,1,0] neg_lo:[0,0,1] neg_hi:[0,0,1]
	v_pk_fma_f32 v[134:135], v[134:135], v[124:125], v[138:139] op_sel:[0,0,1] op_sel_hi:[1,0,0]
	v_mov_b32_e32 v141, v135
	v_pk_mul_f32 v[134:135], v[136:137], v[126:127] op_sel:[0,1]
	s_delay_alu instid0(VALU_DEP_1) | instskip(SKIP_1) | instid1(VALU_DEP_1)
	v_pk_fma_f32 v[138:139], v[136:137], v[124:125], v[134:135] op_sel:[0,0,1] op_sel_hi:[1,1,0] neg_lo:[0,0,1] neg_hi:[0,0,1]
	v_pk_fma_f32 v[134:135], v[136:137], v[124:125], v[134:135] op_sel:[0,0,1] op_sel_hi:[1,0,0]
	v_mov_b32_e32 v139, v135
	ds_load_2addr_b64 v[134:137], v128 offset0:30 offset1:31
	v_pk_add_f32 v[68:69], v[68:69], v[140:141] neg_lo:[0,1] neg_hi:[0,1]
	v_pk_add_f32 v[66:67], v[66:67], v[138:139] neg_lo:[0,1] neg_hi:[0,1]
	s_wait_dscnt 0x0
	v_pk_mul_f32 v[138:139], v[134:135], v[126:127] op_sel:[0,1]
	s_delay_alu instid0(VALU_DEP_1) | instskip(SKIP_1) | instid1(VALU_DEP_1)
	v_pk_fma_f32 v[140:141], v[134:135], v[124:125], v[138:139] op_sel:[0,0,1] op_sel_hi:[1,1,0] neg_lo:[0,0,1] neg_hi:[0,0,1]
	v_pk_fma_f32 v[134:135], v[134:135], v[124:125], v[138:139] op_sel:[0,0,1] op_sel_hi:[1,0,0]
	v_mov_b32_e32 v141, v135
	v_pk_mul_f32 v[134:135], v[136:137], v[126:127] op_sel:[0,1]
	s_delay_alu instid0(VALU_DEP_1) | instskip(SKIP_1) | instid1(VALU_DEP_1)
	v_pk_fma_f32 v[138:139], v[136:137], v[124:125], v[134:135] op_sel:[0,0,1] op_sel_hi:[1,1,0] neg_lo:[0,0,1] neg_hi:[0,0,1]
	v_pk_fma_f32 v[134:135], v[136:137], v[124:125], v[134:135] op_sel:[0,0,1] op_sel_hi:[1,0,0]
	v_mov_b32_e32 v139, v135
	ds_load_2addr_b64 v[134:137], v128 offset0:32 offset1:33
	v_pk_add_f32 v[48:49], v[48:49], v[140:141] neg_lo:[0,1] neg_hi:[0,1]
	v_pk_add_f32 v[46:47], v[46:47], v[138:139] neg_lo:[0,1] neg_hi:[0,1]
	s_wait_dscnt 0x0
	v_dual_mul_f32 v138, v135, v127 :: v_dual_mul_f32 v140, v135, v124
	s_delay_alu instid0(VALU_DEP_1) | instskip(NEXT) | instid1(VALU_DEP_2)
	v_pk_fma_f32 v[138:139], v[134:135], v[26:27], v[138:139] op_sel_hi:[1,1,0] neg_lo:[0,0,1] neg_hi:[0,0,1]
	v_pk_fma_f32 v[134:135], v[134:135], v[26:27], v[140:141] op_sel:[1,0,0] op_sel_hi:[0,1,0]
	s_delay_alu instid0(VALU_DEP_1) | instskip(SKIP_1) | instid1(VALU_DEP_2)
	v_mov_b32_e32 v139, v135
	v_pk_mul_f32 v[134:135], v[136:137], v[126:127] op_sel:[0,1]
	v_pk_add_f32 v[78:79], v[78:79], v[138:139] neg_lo:[0,1] neg_hi:[0,1]
	s_delay_alu instid0(VALU_DEP_2) | instskip(SKIP_1) | instid1(VALU_DEP_1)
	v_pk_fma_f32 v[138:139], v[136:137], v[124:125], v[134:135] op_sel:[0,0,1] op_sel_hi:[1,1,0] neg_lo:[0,0,1] neg_hi:[0,0,1]
	v_pk_fma_f32 v[134:135], v[136:137], v[124:125], v[134:135] op_sel:[0,0,1] op_sel_hi:[1,0,0]
	v_mov_b32_e32 v139, v135
	ds_load_2addr_b64 v[134:137], v128 offset0:34 offset1:35
	v_pk_add_f32 v[76:77], v[76:77], v[138:139] neg_lo:[0,1] neg_hi:[0,1]
	s_wait_dscnt 0x0
	v_pk_mul_f32 v[138:139], v[134:135], v[126:127] op_sel:[0,1]
	s_delay_alu instid0(VALU_DEP_1) | instskip(SKIP_1) | instid1(VALU_DEP_1)
	v_pk_fma_f32 v[140:141], v[134:135], v[124:125], v[138:139] op_sel:[0,0,1] op_sel_hi:[1,1,0] neg_lo:[0,0,1] neg_hi:[0,0,1]
	v_pk_fma_f32 v[134:135], v[134:135], v[124:125], v[138:139] op_sel:[0,0,1] op_sel_hi:[1,0,0]
	v_mov_b32_e32 v141, v135
	v_pk_mul_f32 v[134:135], v[136:137], v[126:127] op_sel:[0,1]
	s_delay_alu instid0(VALU_DEP_2) | instskip(NEXT) | instid1(VALU_DEP_2)
	v_pk_add_f32 v[56:57], v[56:57], v[140:141] neg_lo:[0,1] neg_hi:[0,1]
	v_pk_fma_f32 v[138:139], v[136:137], v[124:125], v[134:135] op_sel:[0,0,1] op_sel_hi:[1,1,0] neg_lo:[0,0,1] neg_hi:[0,0,1]
	v_pk_fma_f32 v[134:135], v[136:137], v[124:125], v[134:135] op_sel:[0,0,1] op_sel_hi:[1,0,0]
	s_delay_alu instid0(VALU_DEP_1) | instskip(SKIP_4) | instid1(VALU_DEP_1)
	v_mov_b32_e32 v139, v135
	ds_load_2addr_b64 v[134:137], v128 offset0:36 offset1:37
	v_pk_add_f32 v[54:55], v[54:55], v[138:139] neg_lo:[0,1] neg_hi:[0,1]
	s_wait_dscnt 0x0
	v_pk_mul_f32 v[138:139], v[134:135], v[126:127] op_sel:[0,1]
	v_pk_fma_f32 v[140:141], v[134:135], v[124:125], v[138:139] op_sel:[0,0,1] op_sel_hi:[1,1,0] neg_lo:[0,0,1] neg_hi:[0,0,1]
	v_pk_fma_f32 v[134:135], v[134:135], v[124:125], v[138:139] op_sel:[0,0,1] op_sel_hi:[1,0,0]
	v_dual_mul_f32 v138, v137, v127 :: v_dual_mov_b32 v134, v137
	s_delay_alu instid0(VALU_DEP_2) | instskip(NEXT) | instid1(VALU_DEP_2)
	v_dual_mov_b32 v141, v135 :: v_dual_mov_b32 v135, v136
	v_pk_fma_f32 v[138:139], v[136:137], v[26:27], v[138:139] op_sel_hi:[1,1,0] neg_lo:[0,0,1] neg_hi:[0,0,1]
	v_mul_f32_e32 v136, v137, v124
	s_delay_alu instid0(VALU_DEP_3) | instskip(NEXT) | instid1(VALU_DEP_2)
	v_pk_add_f32 v[88:89], v[88:89], v[140:141] neg_lo:[0,1] neg_hi:[0,1]
	v_pk_fma_f32 v[134:135], v[134:135], v[26:27], v[136:137] op_sel_hi:[1,1,0]
	s_delay_alu instid0(VALU_DEP_1) | instskip(SKIP_4) | instid1(VALU_DEP_1)
	v_mov_b32_e32 v139, v135
	ds_load_2addr_b64 v[134:137], v128 offset0:38 offset1:39
	v_pk_add_f32 v[86:87], v[86:87], v[138:139] neg_lo:[0,1] neg_hi:[0,1]
	s_wait_dscnt 0x0
	v_pk_mul_f32 v[138:139], v[134:135], v[126:127] op_sel:[0,1]
	v_pk_fma_f32 v[140:141], v[134:135], v[124:125], v[138:139] op_sel:[0,0,1] op_sel_hi:[1,1,0] neg_lo:[0,0,1] neg_hi:[0,0,1]
	v_pk_fma_f32 v[134:135], v[134:135], v[124:125], v[138:139] op_sel:[0,0,1] op_sel_hi:[1,0,0]
	s_delay_alu instid0(VALU_DEP_1) | instskip(SKIP_1) | instid1(VALU_DEP_1)
	v_mov_b32_e32 v141, v135
	v_pk_mul_f32 v[134:135], v[136:137], v[126:127] op_sel:[0,1]
	v_pk_fma_f32 v[138:139], v[136:137], v[124:125], v[134:135] op_sel:[0,0,1] op_sel_hi:[1,1,0] neg_lo:[0,0,1] neg_hi:[0,0,1]
	v_pk_fma_f32 v[134:135], v[136:137], v[124:125], v[134:135] op_sel:[0,0,1] op_sel_hi:[1,0,0]
	s_delay_alu instid0(VALU_DEP_1)
	v_mov_b32_e32 v139, v135
	ds_load_2addr_b64 v[134:137], v128 offset0:40 offset1:41
	v_pk_add_f32 v[64:65], v[64:65], v[140:141] neg_lo:[0,1] neg_hi:[0,1]
	v_pk_add_f32 v[62:63], v[62:63], v[138:139] neg_lo:[0,1] neg_hi:[0,1]
	s_wait_dscnt 0x0
	v_pk_mul_f32 v[138:139], v[134:135], v[126:127] op_sel:[0,1]
	s_delay_alu instid0(VALU_DEP_1) | instskip(SKIP_1) | instid1(VALU_DEP_1)
	v_pk_fma_f32 v[140:141], v[134:135], v[124:125], v[138:139] op_sel:[0,0,1] op_sel_hi:[1,1,0] neg_lo:[0,0,1] neg_hi:[0,0,1]
	v_pk_fma_f32 v[134:135], v[134:135], v[124:125], v[138:139] op_sel:[0,0,1] op_sel_hi:[1,0,0]
	v_mov_b32_e32 v141, v135
	v_pk_mul_f32 v[134:135], v[136:137], v[126:127] op_sel:[0,1]
	s_delay_alu instid0(VALU_DEP_1) | instskip(SKIP_1) | instid1(VALU_DEP_1)
	v_pk_fma_f32 v[138:139], v[136:137], v[124:125], v[134:135] op_sel:[0,0,1] op_sel_hi:[1,1,0] neg_lo:[0,0,1] neg_hi:[0,0,1]
	v_pk_fma_f32 v[134:135], v[136:137], v[124:125], v[134:135] op_sel:[0,0,1] op_sel_hi:[1,0,0]
	v_mov_b32_e32 v139, v135
	ds_load_2addr_b64 v[134:137], v128 offset0:42 offset1:43
	v_pk_add_f32 v[102:103], v[102:103], v[140:141] neg_lo:[0,1] neg_hi:[0,1]
	v_pk_add_f32 v[100:101], v[100:101], v[138:139] neg_lo:[0,1] neg_hi:[0,1]
	s_wait_dscnt 0x0
	v_dual_mul_f32 v138, v135, v127 :: v_dual_mul_f32 v140, v135, v124
	s_delay_alu instid0(VALU_DEP_1) | instskip(NEXT) | instid1(VALU_DEP_2)
	v_pk_fma_f32 v[138:139], v[134:135], v[26:27], v[138:139] op_sel_hi:[1,1,0] neg_lo:[0,0,1] neg_hi:[0,0,1]
	v_pk_fma_f32 v[134:135], v[134:135], v[26:27], v[140:141] op_sel:[1,0,0] op_sel_hi:[0,1,0]
	s_delay_alu instid0(VALU_DEP_1) | instskip(SKIP_1) | instid1(VALU_DEP_2)
	v_mov_b32_e32 v139, v135
	v_pk_mul_f32 v[134:135], v[136:137], v[126:127] op_sel:[0,1]
	v_pk_add_f32 v[72:73], v[72:73], v[138:139] neg_lo:[0,1] neg_hi:[0,1]
	s_delay_alu instid0(VALU_DEP_2) | instskip(SKIP_1) | instid1(VALU_DEP_1)
	v_pk_fma_f32 v[138:139], v[136:137], v[124:125], v[134:135] op_sel:[0,0,1] op_sel_hi:[1,1,0] neg_lo:[0,0,1] neg_hi:[0,0,1]
	v_pk_fma_f32 v[134:135], v[136:137], v[124:125], v[134:135] op_sel:[0,0,1] op_sel_hi:[1,0,0]
	v_mov_b32_e32 v139, v135
	ds_load_2addr_b64 v[134:137], v128 offset0:44 offset1:45
	v_pk_add_f32 v[70:71], v[70:71], v[138:139] neg_lo:[0,1] neg_hi:[0,1]
	s_wait_dscnt 0x0
	v_pk_mul_f32 v[138:139], v[134:135], v[126:127] op_sel:[0,1]
	s_delay_alu instid0(VALU_DEP_1) | instskip(SKIP_1) | instid1(VALU_DEP_1)
	v_pk_fma_f32 v[140:141], v[134:135], v[124:125], v[138:139] op_sel:[0,0,1] op_sel_hi:[1,1,0] neg_lo:[0,0,1] neg_hi:[0,0,1]
	v_pk_fma_f32 v[134:135], v[134:135], v[124:125], v[138:139] op_sel:[0,0,1] op_sel_hi:[1,0,0]
	v_mov_b32_e32 v141, v135
	v_pk_mul_f32 v[134:135], v[136:137], v[126:127] op_sel:[0,1]
	s_delay_alu instid0(VALU_DEP_2) | instskip(NEXT) | instid1(VALU_DEP_2)
	v_pk_add_f32 v[110:111], v[110:111], v[140:141] neg_lo:[0,1] neg_hi:[0,1]
	v_pk_fma_f32 v[138:139], v[136:137], v[124:125], v[134:135] op_sel:[0,0,1] op_sel_hi:[1,1,0] neg_lo:[0,0,1] neg_hi:[0,0,1]
	v_pk_fma_f32 v[134:135], v[136:137], v[124:125], v[134:135] op_sel:[0,0,1] op_sel_hi:[1,0,0]
	s_delay_alu instid0(VALU_DEP_1) | instskip(SKIP_4) | instid1(VALU_DEP_1)
	v_mov_b32_e32 v139, v135
	ds_load_2addr_b64 v[134:137], v128 offset0:46 offset1:47
	v_pk_add_f32 v[108:109], v[108:109], v[138:139] neg_lo:[0,1] neg_hi:[0,1]
	s_wait_dscnt 0x0
	v_pk_mul_f32 v[138:139], v[134:135], v[126:127] op_sel:[0,1]
	v_pk_fma_f32 v[140:141], v[134:135], v[124:125], v[138:139] op_sel:[0,0,1] op_sel_hi:[1,1,0] neg_lo:[0,0,1] neg_hi:[0,0,1]
	v_pk_fma_f32 v[134:135], v[134:135], v[124:125], v[138:139] op_sel:[0,0,1] op_sel_hi:[1,0,0]
	v_dual_mul_f32 v138, v137, v127 :: v_dual_mov_b32 v134, v137
	s_delay_alu instid0(VALU_DEP_2) | instskip(NEXT) | instid1(VALU_DEP_2)
	v_dual_mov_b32 v141, v135 :: v_dual_mov_b32 v135, v136
	v_pk_fma_f32 v[138:139], v[136:137], v[26:27], v[138:139] op_sel_hi:[1,1,0] neg_lo:[0,0,1] neg_hi:[0,0,1]
	v_mul_f32_e32 v136, v137, v124
	s_delay_alu instid0(VALU_DEP_3) | instskip(NEXT) | instid1(VALU_DEP_2)
	v_pk_add_f32 v[82:83], v[82:83], v[140:141] neg_lo:[0,1] neg_hi:[0,1]
	v_pk_fma_f32 v[134:135], v[134:135], v[26:27], v[136:137] op_sel_hi:[1,1,0]
	s_delay_alu instid0(VALU_DEP_1) | instskip(SKIP_4) | instid1(VALU_DEP_1)
	v_mov_b32_e32 v139, v135
	ds_load_2addr_b64 v[134:137], v128 offset0:48 offset1:49
	v_pk_add_f32 v[80:81], v[80:81], v[138:139] neg_lo:[0,1] neg_hi:[0,1]
	s_wait_dscnt 0x0
	v_pk_mul_f32 v[138:139], v[134:135], v[126:127] op_sel:[0,1]
	v_pk_fma_f32 v[140:141], v[134:135], v[124:125], v[138:139] op_sel:[0,0,1] op_sel_hi:[1,1,0] neg_lo:[0,0,1] neg_hi:[0,0,1]
	v_pk_fma_f32 v[134:135], v[134:135], v[124:125], v[138:139] op_sel:[0,0,1] op_sel_hi:[1,0,0]
	s_delay_alu instid0(VALU_DEP_1) | instskip(SKIP_1) | instid1(VALU_DEP_1)
	v_mov_b32_e32 v141, v135
	v_pk_mul_f32 v[134:135], v[136:137], v[126:127] op_sel:[0,1]
	v_pk_fma_f32 v[138:139], v[136:137], v[124:125], v[134:135] op_sel:[0,0,1] op_sel_hi:[1,1,0] neg_lo:[0,0,1] neg_hi:[0,0,1]
	v_pk_fma_f32 v[134:135], v[136:137], v[124:125], v[134:135] op_sel:[0,0,1] op_sel_hi:[1,0,0]
	s_delay_alu instid0(VALU_DEP_1)
	v_mov_b32_e32 v139, v135
	ds_load_2addr_b64 v[134:137], v128 offset0:50 offset1:51
	v_pk_add_f32 v[120:121], v[120:121], v[140:141] neg_lo:[0,1] neg_hi:[0,1]
	v_pk_add_f32 v[118:119], v[118:119], v[138:139] neg_lo:[0,1] neg_hi:[0,1]
	s_wait_dscnt 0x0
	v_pk_mul_f32 v[138:139], v[134:135], v[126:127] op_sel:[0,1]
	s_delay_alu instid0(VALU_DEP_1) | instskip(SKIP_1) | instid1(VALU_DEP_1)
	v_pk_fma_f32 v[140:141], v[134:135], v[124:125], v[138:139] op_sel:[0,0,1] op_sel_hi:[1,1,0] neg_lo:[0,0,1] neg_hi:[0,0,1]
	v_pk_fma_f32 v[134:135], v[134:135], v[124:125], v[138:139] op_sel:[0,0,1] op_sel_hi:[1,0,0]
	v_mov_b32_e32 v141, v135
	v_pk_mul_f32 v[134:135], v[136:137], v[126:127] op_sel:[0,1]
	s_delay_alu instid0(VALU_DEP_1) | instskip(SKIP_1) | instid1(VALU_DEP_1)
	v_pk_fma_f32 v[138:139], v[136:137], v[124:125], v[134:135] op_sel:[0,0,1] op_sel_hi:[1,1,0] neg_lo:[0,0,1] neg_hi:[0,0,1]
	v_pk_fma_f32 v[134:135], v[136:137], v[124:125], v[134:135] op_sel:[0,0,1] op_sel_hi:[1,0,0]
	v_mov_b32_e32 v139, v135
	ds_load_2addr_b64 v[134:137], v128 offset0:52 offset1:53
	v_pk_add_f32 v[94:95], v[94:95], v[140:141] neg_lo:[0,1] neg_hi:[0,1]
	v_pk_add_f32 v[96:97], v[96:97], v[138:139] neg_lo:[0,1] neg_hi:[0,1]
	s_wait_dscnt 0x0
	v_dual_mul_f32 v138, v135, v127 :: v_dual_mul_f32 v140, v135, v124
	s_delay_alu instid0(VALU_DEP_1) | instskip(NEXT) | instid1(VALU_DEP_2)
	v_pk_fma_f32 v[138:139], v[134:135], v[26:27], v[138:139] op_sel_hi:[1,1,0] neg_lo:[0,0,1] neg_hi:[0,0,1]
	v_pk_fma_f32 v[134:135], v[134:135], v[26:27], v[140:141] op_sel:[1,0,0] op_sel_hi:[0,1,0]
	s_delay_alu instid0(VALU_DEP_1) | instskip(SKIP_1) | instid1(VALU_DEP_2)
	v_mov_b32_e32 v139, v135
	v_pk_mul_f32 v[134:135], v[136:137], v[126:127] op_sel:[0,1]
	v_pk_add_f32 v[114:115], v[114:115], v[138:139] neg_lo:[0,1] neg_hi:[0,1]
	s_delay_alu instid0(VALU_DEP_2) | instskip(SKIP_1) | instid1(VALU_DEP_1)
	v_pk_fma_f32 v[138:139], v[136:137], v[124:125], v[134:135] op_sel:[0,0,1] op_sel_hi:[1,1,0] neg_lo:[0,0,1] neg_hi:[0,0,1]
	v_pk_fma_f32 v[134:135], v[136:137], v[124:125], v[134:135] op_sel:[0,0,1] op_sel_hi:[1,0,0]
	v_mov_b32_e32 v139, v135
	ds_load_2addr_b64 v[134:137], v128 offset0:54 offset1:55
	v_pk_add_f32 v[112:113], v[112:113], v[138:139] neg_lo:[0,1] neg_hi:[0,1]
	s_wait_dscnt 0x0
	v_pk_mul_f32 v[138:139], v[134:135], v[126:127] op_sel:[0,1]
	s_delay_alu instid0(VALU_DEP_1) | instskip(SKIP_1) | instid1(VALU_DEP_1)
	v_pk_fma_f32 v[140:141], v[134:135], v[124:125], v[138:139] op_sel:[0,0,1] op_sel_hi:[1,1,0] neg_lo:[0,0,1] neg_hi:[0,0,1]
	v_pk_fma_f32 v[134:135], v[134:135], v[124:125], v[138:139] op_sel:[0,0,1] op_sel_hi:[1,0,0]
	v_mov_b32_e32 v141, v135
	v_pk_mul_f32 v[134:135], v[136:137], v[126:127] op_sel:[0,1]
	s_delay_alu instid0(VALU_DEP_2) | instskip(NEXT) | instid1(VALU_DEP_2)
	v_pk_add_f32 v[92:93], v[92:93], v[140:141] neg_lo:[0,1] neg_hi:[0,1]
	v_pk_fma_f32 v[138:139], v[136:137], v[124:125], v[134:135] op_sel:[0,0,1] op_sel_hi:[1,1,0] neg_lo:[0,0,1] neg_hi:[0,0,1]
	v_pk_fma_f32 v[134:135], v[136:137], v[124:125], v[134:135] op_sel:[0,0,1] op_sel_hi:[1,0,0]
	s_delay_alu instid0(VALU_DEP_1) | instskip(SKIP_4) | instid1(VALU_DEP_1)
	v_mov_b32_e32 v139, v135
	ds_load_2addr_b64 v[134:137], v128 offset0:56 offset1:57
	v_pk_add_f32 v[90:91], v[90:91], v[138:139] neg_lo:[0,1] neg_hi:[0,1]
	s_wait_dscnt 0x0
	v_pk_mul_f32 v[138:139], v[134:135], v[126:127] op_sel:[0,1]
	v_pk_fma_f32 v[140:141], v[134:135], v[124:125], v[138:139] op_sel:[0,0,1] op_sel_hi:[1,1,0] neg_lo:[0,0,1] neg_hi:[0,0,1]
	v_pk_fma_f32 v[134:135], v[134:135], v[124:125], v[138:139] op_sel:[0,0,1] op_sel_hi:[1,0,0]
	v_dual_mul_f32 v138, v137, v127 :: v_dual_mov_b32 v134, v137
	s_delay_alu instid0(VALU_DEP_2) | instskip(NEXT) | instid1(VALU_DEP_2)
	v_dual_mov_b32 v141, v135 :: v_dual_mov_b32 v135, v136
	v_pk_fma_f32 v[138:139], v[136:137], v[26:27], v[138:139] op_sel_hi:[1,1,0] neg_lo:[0,0,1] neg_hi:[0,0,1]
	v_mul_f32_e32 v136, v137, v124
	s_delay_alu instid0(VALU_DEP_3) | instskip(NEXT) | instid1(VALU_DEP_2)
	v_pk_add_f32 v[104:105], v[104:105], v[140:141] neg_lo:[0,1] neg_hi:[0,1]
	v_pk_fma_f32 v[134:135], v[134:135], v[26:27], v[136:137] op_sel_hi:[1,1,0]
	s_delay_alu instid0(VALU_DEP_1) | instskip(SKIP_4) | instid1(VALU_DEP_1)
	v_mov_b32_e32 v139, v135
	ds_load_b64 v[134:135], v128 offset:464
	v_pk_add_f32 v[98:99], v[98:99], v[138:139] neg_lo:[0,1] neg_hi:[0,1]
	s_wait_dscnt 0x0
	v_pk_mul_f32 v[126:127], v[134:135], v[126:127] op_sel:[0,1]
	v_pk_fma_f32 v[136:137], v[134:135], v[124:125], v[126:127] op_sel:[0,0,1] op_sel_hi:[1,1,0] neg_lo:[0,0,1] neg_hi:[0,0,1]
	v_pk_fma_f32 v[124:125], v[134:135], v[124:125], v[126:127] op_sel:[0,0,1] op_sel_hi:[1,0,0]
	s_delay_alu instid0(VALU_DEP_1) | instskip(NEXT) | instid1(VALU_DEP_1)
	v_mov_b32_e32 v137, v125
	v_pk_add_f32 v[122:123], v[122:123], v[136:137] neg_lo:[0,1] neg_hi:[0,1]
.LBB116_503:
	s_or_b32 exec_lo, exec_lo, s0
	v_lshl_add_u32 v124, v132, 3, v128
	s_barrier_signal -1
	s_barrier_wait -1
	ds_store_b64 v124, v[60:61]
	s_wait_dscnt 0x0
	s_barrier_signal -1
	s_barrier_wait -1
	ds_load_b64 v[126:127], v128 offset:192
	v_mov_b32_e32 v124, 24
	s_cmp_lt_i32 s18, 26
	s_cbranch_scc1 .LBB116_506
; %bb.504:
	v_add3_u32 v125, v129, 0, 0xc8
	v_mov_b32_e32 v124, 24
	s_mov_b32 s0, 25
.LBB116_505:                            ; =>This Inner Loop Header: Depth=1
	ds_load_b64 v[134:135], v125
	s_wait_dscnt 0x1
	v_cmp_gt_f32_e32 vcc_lo, 0, v126
	v_cndmask_b32_e64 v136, v126, -v126, vcc_lo
	v_cmp_gt_f32_e32 vcc_lo, 0, v127
	v_cndmask_b32_e64 v138, v127, -v127, vcc_lo
	s_wait_dscnt 0x0
	v_cmp_gt_f32_e32 vcc_lo, 0, v134
	v_cndmask_b32_e64 v137, v134, -v134, vcc_lo
	v_cmp_gt_f32_e32 vcc_lo, 0, v135
	v_cndmask_b32_e64 v139, v135, -v135, vcc_lo
	s_delay_alu instid0(VALU_DEP_1) | instskip(NEXT) | instid1(VALU_DEP_1)
	v_pk_add_f32 v[136:137], v[136:137], v[138:139]
	v_cmp_lt_f32_e32 vcc_lo, v136, v137
	v_dual_add_nc_u32 v125, 8, v125 :: v_dual_cndmask_b32 v127, v127, v135, vcc_lo
	v_cndmask_b32_e32 v126, v126, v134, vcc_lo
	v_cndmask_b32_e64 v124, v124, s0, vcc_lo
	s_add_co_i32 s0, s0, 1
	s_delay_alu instid0(SALU_CYCLE_1)
	s_cmp_lg_u32 s18, s0
	s_cbranch_scc1 .LBB116_505
.LBB116_506:
	s_wait_dscnt 0x0
	v_cmp_eq_f32_e32 vcc_lo, 0, v126
	v_cmp_eq_f32_e64 s0, 0, v127
	s_and_b32 s0, vcc_lo, s0
	s_delay_alu instid0(SALU_CYCLE_1) | instskip(NEXT) | instid1(SALU_CYCLE_1)
	s_and_saveexec_b32 s1, s0
	s_xor_b32 s0, exec_lo, s1
; %bb.507:
	v_cmp_ne_u32_e32 vcc_lo, 0, v130
	v_cndmask_b32_e32 v130, 25, v130, vcc_lo
; %bb.508:
	s_and_not1_saveexec_b32 s0, s0
	s_cbranch_execz .LBB116_514
; %bb.509:
	v_cmp_ngt_f32_e64 s1, |v126|, |v127|
	s_and_saveexec_b32 s12, s1
	s_delay_alu instid0(SALU_CYCLE_1)
	s_xor_b32 s1, exec_lo, s12
	s_cbranch_execz .LBB116_511
; %bb.510:
	v_div_scale_f32 v125, null, v127, v127, v126
	v_div_scale_f32 v135, vcc_lo, v126, v127, v126
	s_delay_alu instid0(VALU_DEP_2) | instskip(SKIP_1) | instid1(TRANS32_DEP_1)
	v_rcp_f32_e32 v133, v125
	v_nop
	v_fma_f32 v134, -v125, v133, 1.0
	s_delay_alu instid0(VALU_DEP_1) | instskip(NEXT) | instid1(VALU_DEP_1)
	v_fmac_f32_e32 v133, v134, v133
	v_mul_f32_e32 v134, v135, v133
	s_delay_alu instid0(VALU_DEP_1) | instskip(NEXT) | instid1(VALU_DEP_1)
	v_fma_f32 v136, -v125, v134, v135
	v_fmac_f32_e32 v134, v136, v133
	s_delay_alu instid0(VALU_DEP_1) | instskip(NEXT) | instid1(VALU_DEP_1)
	v_fma_f32 v125, -v125, v134, v135
	v_div_fmas_f32 v125, v125, v133, v134
	s_delay_alu instid0(VALU_DEP_1) | instskip(NEXT) | instid1(VALU_DEP_1)
	v_div_fixup_f32 v125, v125, v127, v126
	v_fmac_f32_e32 v127, v126, v125
	s_delay_alu instid0(VALU_DEP_1) | instskip(SKIP_1) | instid1(VALU_DEP_2)
	v_div_scale_f32 v126, null, v127, v127, 1.0
	v_div_scale_f32 v135, vcc_lo, 1.0, v127, 1.0
	v_rcp_f32_e32 v133, v126
	v_nop
	s_delay_alu instid0(TRANS32_DEP_1) | instskip(NEXT) | instid1(VALU_DEP_1)
	v_fma_f32 v134, -v126, v133, 1.0
	v_fmac_f32_e32 v133, v134, v133
	s_delay_alu instid0(VALU_DEP_1) | instskip(NEXT) | instid1(VALU_DEP_1)
	v_mul_f32_e32 v134, v135, v133
	v_fma_f32 v136, -v126, v134, v135
	s_delay_alu instid0(VALU_DEP_1) | instskip(NEXT) | instid1(VALU_DEP_1)
	v_fmac_f32_e32 v134, v136, v133
	v_fma_f32 v126, -v126, v134, v135
	s_delay_alu instid0(VALU_DEP_1) | instskip(NEXT) | instid1(VALU_DEP_1)
	v_div_fmas_f32 v126, v126, v133, v134
	v_div_fixup_f32 v127, v126, v127, 1.0
	s_delay_alu instid0(VALU_DEP_1)
	v_mul_f32_e32 v126, v125, v127
	v_xor_b32_e32 v127, 0x80000000, v127
.LBB116_511:
	s_and_not1_saveexec_b32 s1, s1
	s_cbranch_execz .LBB116_513
; %bb.512:
	s_delay_alu instid0(VALU_DEP_1) | instskip(SKIP_1) | instid1(VALU_DEP_2)
	v_div_scale_f32 v125, null, v126, v126, v127
	v_div_scale_f32 v135, vcc_lo, v127, v126, v127
	v_rcp_f32_e32 v133, v125
	v_nop
	s_delay_alu instid0(TRANS32_DEP_1) | instskip(NEXT) | instid1(VALU_DEP_1)
	v_fma_f32 v134, -v125, v133, 1.0
	v_fmac_f32_e32 v133, v134, v133
	s_delay_alu instid0(VALU_DEP_1) | instskip(NEXT) | instid1(VALU_DEP_1)
	v_mul_f32_e32 v134, v135, v133
	v_fma_f32 v136, -v125, v134, v135
	s_delay_alu instid0(VALU_DEP_1) | instskip(NEXT) | instid1(VALU_DEP_1)
	v_fmac_f32_e32 v134, v136, v133
	v_fma_f32 v125, -v125, v134, v135
	s_delay_alu instid0(VALU_DEP_1) | instskip(NEXT) | instid1(VALU_DEP_1)
	v_div_fmas_f32 v125, v125, v133, v134
	v_div_fixup_f32 v125, v125, v126, v127
	s_delay_alu instid0(VALU_DEP_1) | instskip(NEXT) | instid1(VALU_DEP_1)
	v_fmac_f32_e32 v126, v127, v125
	v_div_scale_f32 v127, null, v126, v126, 1.0
	s_delay_alu instid0(VALU_DEP_1) | instskip(SKIP_1) | instid1(TRANS32_DEP_1)
	v_rcp_f32_e32 v133, v127
	v_nop
	v_fma_f32 v134, -v127, v133, 1.0
	s_delay_alu instid0(VALU_DEP_1) | instskip(SKIP_1) | instid1(VALU_DEP_1)
	v_fmac_f32_e32 v133, v134, v133
	v_div_scale_f32 v134, vcc_lo, 1.0, v126, 1.0
	v_mul_f32_e32 v135, v134, v133
	s_delay_alu instid0(VALU_DEP_1) | instskip(NEXT) | instid1(VALU_DEP_1)
	v_fma_f32 v136, -v127, v135, v134
	v_fmac_f32_e32 v135, v136, v133
	s_delay_alu instid0(VALU_DEP_1) | instskip(NEXT) | instid1(VALU_DEP_1)
	v_fma_f32 v127, -v127, v135, v134
	v_div_fmas_f32 v127, v127, v133, v135
	s_delay_alu instid0(VALU_DEP_1) | instskip(NEXT) | instid1(VALU_DEP_1)
	v_div_fixup_f32 v126, v127, v126, 1.0
	v_mul_f32_e64 v127, v125, -v126
.LBB116_513:
	s_or_b32 exec_lo, exec_lo, s1
.LBB116_514:
	s_delay_alu instid0(SALU_CYCLE_1) | instskip(NEXT) | instid1(SALU_CYCLE_1)
	s_or_b32 exec_lo, exec_lo, s0
	s_mov_b32 s0, exec_lo
	v_cmpx_ne_u32_e64 v132, v124
	s_xor_b32 s0, exec_lo, s0
	s_cbranch_execz .LBB116_520
; %bb.515:
	s_mov_b32 s1, exec_lo
	v_cmpx_eq_u32_e32 24, v132
	s_cbranch_execz .LBB116_519
; %bb.516:
	v_cmp_ne_u32_e32 vcc_lo, 24, v124
	s_xor_b32 s12, s16, -1
	s_delay_alu instid0(SALU_CYCLE_1) | instskip(NEXT) | instid1(SALU_CYCLE_1)
	s_and_b32 s13, s12, vcc_lo
	s_and_saveexec_b32 s12, s13
	s_cbranch_execz .LBB116_518
; %bb.517:
	v_ashrrev_i32_e32 v125, 31, v124
	s_delay_alu instid0(VALU_DEP_1)
	v_lshl_add_u64 v[132:133], v[124:125], 2, v[4:5]
	s_clause 0x1
	global_load_b32 v125, v[132:133], off
	global_load_b32 v131, v[4:5], off offset:96
	s_wait_loadcnt 0x1
	global_store_b32 v[4:5], v125, off offset:96
	s_wait_loadcnt 0x0
	global_store_b32 v[132:133], v131, off
.LBB116_518:
	s_wait_xcnt 0x0
	s_or_b32 exec_lo, exec_lo, s12
	v_dual_mov_b32 v132, v124 :: v_dual_mov_b32 v131, v124
.LBB116_519:
	s_or_b32 exec_lo, exec_lo, s1
.LBB116_520:
	s_and_not1_saveexec_b32 s0, s0
	s_cbranch_execz .LBB116_522
; %bb.521:
	v_mov_b32_e32 v132, 24
	ds_store_2addr_b64 v128, v[58:59], v[38:39] offset0:25 offset1:26
	ds_store_2addr_b64 v128, v[36:37], v[68:69] offset0:27 offset1:28
	;; [unrolled: 1-line block ×17, first 2 shown]
.LBB116_522:
	s_or_b32 exec_lo, exec_lo, s0
	s_delay_alu instid0(SALU_CYCLE_1)
	s_mov_b32 s0, exec_lo
	s_wait_storecnt_dscnt 0x0
	s_barrier_signal -1
	s_barrier_wait -1
	v_cmpx_lt_i32_e32 24, v132
	s_cbranch_execz .LBB116_524
; %bb.523:
	v_pk_mul_f32 v[134:135], v[126:127], v[60:61] op_sel:[1,1] op_sel_hi:[0,1]
	s_delay_alu instid0(VALU_DEP_1)
	v_pk_fma_f32 v[124:125], v[126:127], v[60:61], v[134:135] op_sel_hi:[1,0,1] neg_lo:[0,0,1] neg_hi:[0,0,1]
	v_pk_fma_f32 v[126:127], v[126:127], v[60:61], v[134:135] op_sel_hi:[1,0,1]
	ds_load_2addr_b64 v[134:137], v128 offset0:25 offset1:26
	v_dual_mov_b32 v60, v124 :: v_dual_mov_b32 v61, v127
	s_wait_dscnt 0x0
	v_pk_mul_f32 v[138:139], v[134:135], v[126:127] op_sel:[0,1]
	s_delay_alu instid0(VALU_DEP_1) | instskip(SKIP_1) | instid1(VALU_DEP_1)
	v_pk_fma_f32 v[140:141], v[134:135], v[124:125], v[138:139] op_sel:[0,0,1] op_sel_hi:[1,1,0] neg_lo:[0,0,1] neg_hi:[0,0,1]
	v_pk_fma_f32 v[134:135], v[134:135], v[124:125], v[138:139] op_sel:[0,0,1] op_sel_hi:[1,0,0]
	v_mov_b32_e32 v141, v135
	v_pk_mul_f32 v[134:135], v[136:137], v[126:127] op_sel:[0,1]
	s_delay_alu instid0(VALU_DEP_1) | instskip(SKIP_1) | instid1(VALU_DEP_1)
	v_pk_fma_f32 v[138:139], v[136:137], v[124:125], v[134:135] op_sel:[0,0,1] op_sel_hi:[1,1,0] neg_lo:[0,0,1] neg_hi:[0,0,1]
	v_pk_fma_f32 v[134:135], v[136:137], v[124:125], v[134:135] op_sel:[0,0,1] op_sel_hi:[1,0,0]
	v_mov_b32_e32 v139, v135
	ds_load_2addr_b64 v[134:137], v128 offset0:27 offset1:28
	v_pk_add_f32 v[58:59], v[58:59], v[140:141] neg_lo:[0,1] neg_hi:[0,1]
	v_pk_add_f32 v[38:39], v[38:39], v[138:139] neg_lo:[0,1] neg_hi:[0,1]
	s_wait_dscnt 0x0
	v_pk_mul_f32 v[138:139], v[134:135], v[126:127] op_sel:[0,1]
	s_delay_alu instid0(VALU_DEP_1) | instskip(SKIP_2) | instid1(VALU_DEP_2)
	v_pk_fma_f32 v[140:141], v[134:135], v[124:125], v[138:139] op_sel:[0,0,1] op_sel_hi:[1,1,0] neg_lo:[0,0,1] neg_hi:[0,0,1]
	v_pk_fma_f32 v[134:135], v[134:135], v[124:125], v[138:139] op_sel:[0,0,1] op_sel_hi:[1,0,0]
	v_dual_mul_f32 v138, v137, v127 :: v_dual_mov_b32 v134, v137
	v_dual_mov_b32 v141, v135 :: v_dual_mov_b32 v135, v136
	s_delay_alu instid0(VALU_DEP_2) | instskip(SKIP_1) | instid1(VALU_DEP_3)
	v_pk_fma_f32 v[138:139], v[136:137], v[60:61], v[138:139] op_sel_hi:[1,1,0] neg_lo:[0,0,1] neg_hi:[0,0,1]
	v_mul_f32_e32 v136, v137, v124
	v_pk_add_f32 v[36:37], v[36:37], v[140:141] neg_lo:[0,1] neg_hi:[0,1]
	s_delay_alu instid0(VALU_DEP_2) | instskip(NEXT) | instid1(VALU_DEP_1)
	v_pk_fma_f32 v[134:135], v[134:135], v[60:61], v[136:137] op_sel_hi:[1,1,0]
	v_mov_b32_e32 v139, v135
	ds_load_2addr_b64 v[134:137], v128 offset0:29 offset1:30
	v_pk_add_f32 v[68:69], v[68:69], v[138:139] neg_lo:[0,1] neg_hi:[0,1]
	s_wait_dscnt 0x0
	v_pk_mul_f32 v[138:139], v[134:135], v[126:127] op_sel:[0,1]
	s_delay_alu instid0(VALU_DEP_1) | instskip(SKIP_1) | instid1(VALU_DEP_1)
	v_pk_fma_f32 v[140:141], v[134:135], v[124:125], v[138:139] op_sel:[0,0,1] op_sel_hi:[1,1,0] neg_lo:[0,0,1] neg_hi:[0,0,1]
	v_pk_fma_f32 v[134:135], v[134:135], v[124:125], v[138:139] op_sel:[0,0,1] op_sel_hi:[1,0,0]
	v_mov_b32_e32 v141, v135
	v_pk_mul_f32 v[134:135], v[136:137], v[126:127] op_sel:[0,1]
	s_delay_alu instid0(VALU_DEP_1) | instskip(SKIP_1) | instid1(VALU_DEP_1)
	v_pk_fma_f32 v[138:139], v[136:137], v[124:125], v[134:135] op_sel:[0,0,1] op_sel_hi:[1,1,0] neg_lo:[0,0,1] neg_hi:[0,0,1]
	v_pk_fma_f32 v[134:135], v[136:137], v[124:125], v[134:135] op_sel:[0,0,1] op_sel_hi:[1,0,0]
	v_mov_b32_e32 v139, v135
	ds_load_2addr_b64 v[134:137], v128 offset0:31 offset1:32
	v_pk_add_f32 v[66:67], v[66:67], v[140:141] neg_lo:[0,1] neg_hi:[0,1]
	v_pk_add_f32 v[48:49], v[48:49], v[138:139] neg_lo:[0,1] neg_hi:[0,1]
	s_wait_dscnt 0x0
	v_pk_mul_f32 v[138:139], v[134:135], v[126:127] op_sel:[0,1]
	s_delay_alu instid0(VALU_DEP_1) | instskip(SKIP_1) | instid1(VALU_DEP_1)
	v_pk_fma_f32 v[140:141], v[134:135], v[124:125], v[138:139] op_sel:[0,0,1] op_sel_hi:[1,1,0] neg_lo:[0,0,1] neg_hi:[0,0,1]
	v_pk_fma_f32 v[134:135], v[134:135], v[124:125], v[138:139] op_sel:[0,0,1] op_sel_hi:[1,0,0]
	v_mov_b32_e32 v141, v135
	v_pk_mul_f32 v[134:135], v[136:137], v[126:127] op_sel:[0,1]
	s_delay_alu instid0(VALU_DEP_1) | instskip(SKIP_1) | instid1(VALU_DEP_1)
	v_pk_fma_f32 v[138:139], v[136:137], v[124:125], v[134:135] op_sel:[0,0,1] op_sel_hi:[1,1,0] neg_lo:[0,0,1] neg_hi:[0,0,1]
	v_pk_fma_f32 v[134:135], v[136:137], v[124:125], v[134:135] op_sel:[0,0,1] op_sel_hi:[1,0,0]
	v_mov_b32_e32 v139, v135
	ds_load_2addr_b64 v[134:137], v128 offset0:33 offset1:34
	v_pk_add_f32 v[46:47], v[46:47], v[140:141] neg_lo:[0,1] neg_hi:[0,1]
	v_pk_add_f32 v[78:79], v[78:79], v[138:139] neg_lo:[0,1] neg_hi:[0,1]
	s_wait_dscnt 0x0
	v_dual_mul_f32 v138, v135, v127 :: v_dual_mul_f32 v140, v135, v124
	s_delay_alu instid0(VALU_DEP_1) | instskip(NEXT) | instid1(VALU_DEP_2)
	v_pk_fma_f32 v[138:139], v[134:135], v[60:61], v[138:139] op_sel_hi:[1,1,0] neg_lo:[0,0,1] neg_hi:[0,0,1]
	v_pk_fma_f32 v[134:135], v[134:135], v[60:61], v[140:141] op_sel:[1,0,0] op_sel_hi:[0,1,0]
	s_delay_alu instid0(VALU_DEP_1) | instskip(SKIP_1) | instid1(VALU_DEP_2)
	v_mov_b32_e32 v139, v135
	v_pk_mul_f32 v[134:135], v[136:137], v[126:127] op_sel:[0,1]
	v_pk_add_f32 v[76:77], v[76:77], v[138:139] neg_lo:[0,1] neg_hi:[0,1]
	s_delay_alu instid0(VALU_DEP_2) | instskip(SKIP_1) | instid1(VALU_DEP_1)
	v_pk_fma_f32 v[138:139], v[136:137], v[124:125], v[134:135] op_sel:[0,0,1] op_sel_hi:[1,1,0] neg_lo:[0,0,1] neg_hi:[0,0,1]
	v_pk_fma_f32 v[134:135], v[136:137], v[124:125], v[134:135] op_sel:[0,0,1] op_sel_hi:[1,0,0]
	v_mov_b32_e32 v139, v135
	ds_load_2addr_b64 v[134:137], v128 offset0:35 offset1:36
	v_pk_add_f32 v[56:57], v[56:57], v[138:139] neg_lo:[0,1] neg_hi:[0,1]
	s_wait_dscnt 0x0
	v_pk_mul_f32 v[138:139], v[134:135], v[126:127] op_sel:[0,1]
	s_delay_alu instid0(VALU_DEP_1) | instskip(SKIP_1) | instid1(VALU_DEP_1)
	v_pk_fma_f32 v[140:141], v[134:135], v[124:125], v[138:139] op_sel:[0,0,1] op_sel_hi:[1,1,0] neg_lo:[0,0,1] neg_hi:[0,0,1]
	v_pk_fma_f32 v[134:135], v[134:135], v[124:125], v[138:139] op_sel:[0,0,1] op_sel_hi:[1,0,0]
	v_mov_b32_e32 v141, v135
	v_pk_mul_f32 v[134:135], v[136:137], v[126:127] op_sel:[0,1]
	s_delay_alu instid0(VALU_DEP_2) | instskip(NEXT) | instid1(VALU_DEP_2)
	v_pk_add_f32 v[54:55], v[54:55], v[140:141] neg_lo:[0,1] neg_hi:[0,1]
	v_pk_fma_f32 v[138:139], v[136:137], v[124:125], v[134:135] op_sel:[0,0,1] op_sel_hi:[1,1,0] neg_lo:[0,0,1] neg_hi:[0,0,1]
	v_pk_fma_f32 v[134:135], v[136:137], v[124:125], v[134:135] op_sel:[0,0,1] op_sel_hi:[1,0,0]
	s_delay_alu instid0(VALU_DEP_1) | instskip(SKIP_4) | instid1(VALU_DEP_1)
	v_mov_b32_e32 v139, v135
	ds_load_2addr_b64 v[134:137], v128 offset0:37 offset1:38
	v_pk_add_f32 v[88:89], v[88:89], v[138:139] neg_lo:[0,1] neg_hi:[0,1]
	s_wait_dscnt 0x0
	v_pk_mul_f32 v[138:139], v[134:135], v[126:127] op_sel:[0,1]
	v_pk_fma_f32 v[140:141], v[134:135], v[124:125], v[138:139] op_sel:[0,0,1] op_sel_hi:[1,1,0] neg_lo:[0,0,1] neg_hi:[0,0,1]
	v_pk_fma_f32 v[134:135], v[134:135], v[124:125], v[138:139] op_sel:[0,0,1] op_sel_hi:[1,0,0]
	v_dual_mul_f32 v138, v137, v127 :: v_dual_mov_b32 v134, v137
	s_delay_alu instid0(VALU_DEP_2) | instskip(NEXT) | instid1(VALU_DEP_2)
	v_dual_mov_b32 v141, v135 :: v_dual_mov_b32 v135, v136
	v_pk_fma_f32 v[138:139], v[136:137], v[60:61], v[138:139] op_sel_hi:[1,1,0] neg_lo:[0,0,1] neg_hi:[0,0,1]
	v_mul_f32_e32 v136, v137, v124
	s_delay_alu instid0(VALU_DEP_3) | instskip(NEXT) | instid1(VALU_DEP_2)
	v_pk_add_f32 v[86:87], v[86:87], v[140:141] neg_lo:[0,1] neg_hi:[0,1]
	v_pk_fma_f32 v[134:135], v[134:135], v[60:61], v[136:137] op_sel_hi:[1,1,0]
	s_delay_alu instid0(VALU_DEP_1) | instskip(SKIP_4) | instid1(VALU_DEP_1)
	v_mov_b32_e32 v139, v135
	ds_load_2addr_b64 v[134:137], v128 offset0:39 offset1:40
	v_pk_add_f32 v[64:65], v[64:65], v[138:139] neg_lo:[0,1] neg_hi:[0,1]
	s_wait_dscnt 0x0
	v_pk_mul_f32 v[138:139], v[134:135], v[126:127] op_sel:[0,1]
	v_pk_fma_f32 v[140:141], v[134:135], v[124:125], v[138:139] op_sel:[0,0,1] op_sel_hi:[1,1,0] neg_lo:[0,0,1] neg_hi:[0,0,1]
	v_pk_fma_f32 v[134:135], v[134:135], v[124:125], v[138:139] op_sel:[0,0,1] op_sel_hi:[1,0,0]
	s_delay_alu instid0(VALU_DEP_1) | instskip(SKIP_1) | instid1(VALU_DEP_1)
	v_mov_b32_e32 v141, v135
	v_pk_mul_f32 v[134:135], v[136:137], v[126:127] op_sel:[0,1]
	v_pk_fma_f32 v[138:139], v[136:137], v[124:125], v[134:135] op_sel:[0,0,1] op_sel_hi:[1,1,0] neg_lo:[0,0,1] neg_hi:[0,0,1]
	v_pk_fma_f32 v[134:135], v[136:137], v[124:125], v[134:135] op_sel:[0,0,1] op_sel_hi:[1,0,0]
	s_delay_alu instid0(VALU_DEP_1)
	v_mov_b32_e32 v139, v135
	ds_load_2addr_b64 v[134:137], v128 offset0:41 offset1:42
	v_pk_add_f32 v[62:63], v[62:63], v[140:141] neg_lo:[0,1] neg_hi:[0,1]
	v_pk_add_f32 v[102:103], v[102:103], v[138:139] neg_lo:[0,1] neg_hi:[0,1]
	s_wait_dscnt 0x0
	v_pk_mul_f32 v[138:139], v[134:135], v[126:127] op_sel:[0,1]
	s_delay_alu instid0(VALU_DEP_1) | instskip(SKIP_1) | instid1(VALU_DEP_1)
	v_pk_fma_f32 v[140:141], v[134:135], v[124:125], v[138:139] op_sel:[0,0,1] op_sel_hi:[1,1,0] neg_lo:[0,0,1] neg_hi:[0,0,1]
	v_pk_fma_f32 v[134:135], v[134:135], v[124:125], v[138:139] op_sel:[0,0,1] op_sel_hi:[1,0,0]
	v_mov_b32_e32 v141, v135
	v_pk_mul_f32 v[134:135], v[136:137], v[126:127] op_sel:[0,1]
	s_delay_alu instid0(VALU_DEP_1) | instskip(SKIP_1) | instid1(VALU_DEP_1)
	v_pk_fma_f32 v[138:139], v[136:137], v[124:125], v[134:135] op_sel:[0,0,1] op_sel_hi:[1,1,0] neg_lo:[0,0,1] neg_hi:[0,0,1]
	v_pk_fma_f32 v[134:135], v[136:137], v[124:125], v[134:135] op_sel:[0,0,1] op_sel_hi:[1,0,0]
	v_mov_b32_e32 v139, v135
	ds_load_2addr_b64 v[134:137], v128 offset0:43 offset1:44
	v_pk_add_f32 v[100:101], v[100:101], v[140:141] neg_lo:[0,1] neg_hi:[0,1]
	v_pk_add_f32 v[72:73], v[72:73], v[138:139] neg_lo:[0,1] neg_hi:[0,1]
	s_wait_dscnt 0x0
	v_dual_mul_f32 v138, v135, v127 :: v_dual_mul_f32 v140, v135, v124
	s_delay_alu instid0(VALU_DEP_1) | instskip(NEXT) | instid1(VALU_DEP_2)
	v_pk_fma_f32 v[138:139], v[134:135], v[60:61], v[138:139] op_sel_hi:[1,1,0] neg_lo:[0,0,1] neg_hi:[0,0,1]
	v_pk_fma_f32 v[134:135], v[134:135], v[60:61], v[140:141] op_sel:[1,0,0] op_sel_hi:[0,1,0]
	s_delay_alu instid0(VALU_DEP_1) | instskip(SKIP_1) | instid1(VALU_DEP_2)
	v_mov_b32_e32 v139, v135
	v_pk_mul_f32 v[134:135], v[136:137], v[126:127] op_sel:[0,1]
	v_pk_add_f32 v[70:71], v[70:71], v[138:139] neg_lo:[0,1] neg_hi:[0,1]
	s_delay_alu instid0(VALU_DEP_2) | instskip(SKIP_1) | instid1(VALU_DEP_1)
	v_pk_fma_f32 v[138:139], v[136:137], v[124:125], v[134:135] op_sel:[0,0,1] op_sel_hi:[1,1,0] neg_lo:[0,0,1] neg_hi:[0,0,1]
	v_pk_fma_f32 v[134:135], v[136:137], v[124:125], v[134:135] op_sel:[0,0,1] op_sel_hi:[1,0,0]
	v_mov_b32_e32 v139, v135
	ds_load_2addr_b64 v[134:137], v128 offset0:45 offset1:46
	v_pk_add_f32 v[110:111], v[110:111], v[138:139] neg_lo:[0,1] neg_hi:[0,1]
	s_wait_dscnt 0x0
	v_pk_mul_f32 v[138:139], v[134:135], v[126:127] op_sel:[0,1]
	s_delay_alu instid0(VALU_DEP_1) | instskip(SKIP_1) | instid1(VALU_DEP_1)
	v_pk_fma_f32 v[140:141], v[134:135], v[124:125], v[138:139] op_sel:[0,0,1] op_sel_hi:[1,1,0] neg_lo:[0,0,1] neg_hi:[0,0,1]
	v_pk_fma_f32 v[134:135], v[134:135], v[124:125], v[138:139] op_sel:[0,0,1] op_sel_hi:[1,0,0]
	v_mov_b32_e32 v141, v135
	v_pk_mul_f32 v[134:135], v[136:137], v[126:127] op_sel:[0,1]
	s_delay_alu instid0(VALU_DEP_2) | instskip(NEXT) | instid1(VALU_DEP_2)
	v_pk_add_f32 v[108:109], v[108:109], v[140:141] neg_lo:[0,1] neg_hi:[0,1]
	v_pk_fma_f32 v[138:139], v[136:137], v[124:125], v[134:135] op_sel:[0,0,1] op_sel_hi:[1,1,0] neg_lo:[0,0,1] neg_hi:[0,0,1]
	v_pk_fma_f32 v[134:135], v[136:137], v[124:125], v[134:135] op_sel:[0,0,1] op_sel_hi:[1,0,0]
	s_delay_alu instid0(VALU_DEP_1) | instskip(SKIP_4) | instid1(VALU_DEP_1)
	v_mov_b32_e32 v139, v135
	ds_load_2addr_b64 v[134:137], v128 offset0:47 offset1:48
	v_pk_add_f32 v[82:83], v[82:83], v[138:139] neg_lo:[0,1] neg_hi:[0,1]
	s_wait_dscnt 0x0
	v_pk_mul_f32 v[138:139], v[134:135], v[126:127] op_sel:[0,1]
	v_pk_fma_f32 v[140:141], v[134:135], v[124:125], v[138:139] op_sel:[0,0,1] op_sel_hi:[1,1,0] neg_lo:[0,0,1] neg_hi:[0,0,1]
	v_pk_fma_f32 v[134:135], v[134:135], v[124:125], v[138:139] op_sel:[0,0,1] op_sel_hi:[1,0,0]
	v_dual_mul_f32 v138, v137, v127 :: v_dual_mov_b32 v134, v137
	s_delay_alu instid0(VALU_DEP_2) | instskip(NEXT) | instid1(VALU_DEP_2)
	v_dual_mov_b32 v141, v135 :: v_dual_mov_b32 v135, v136
	v_pk_fma_f32 v[138:139], v[136:137], v[60:61], v[138:139] op_sel_hi:[1,1,0] neg_lo:[0,0,1] neg_hi:[0,0,1]
	v_mul_f32_e32 v136, v137, v124
	s_delay_alu instid0(VALU_DEP_3) | instskip(NEXT) | instid1(VALU_DEP_2)
	v_pk_add_f32 v[80:81], v[80:81], v[140:141] neg_lo:[0,1] neg_hi:[0,1]
	v_pk_fma_f32 v[134:135], v[134:135], v[60:61], v[136:137] op_sel_hi:[1,1,0]
	s_delay_alu instid0(VALU_DEP_1) | instskip(SKIP_4) | instid1(VALU_DEP_1)
	v_mov_b32_e32 v139, v135
	ds_load_2addr_b64 v[134:137], v128 offset0:49 offset1:50
	v_pk_add_f32 v[120:121], v[120:121], v[138:139] neg_lo:[0,1] neg_hi:[0,1]
	s_wait_dscnt 0x0
	v_pk_mul_f32 v[138:139], v[134:135], v[126:127] op_sel:[0,1]
	v_pk_fma_f32 v[140:141], v[134:135], v[124:125], v[138:139] op_sel:[0,0,1] op_sel_hi:[1,1,0] neg_lo:[0,0,1] neg_hi:[0,0,1]
	v_pk_fma_f32 v[134:135], v[134:135], v[124:125], v[138:139] op_sel:[0,0,1] op_sel_hi:[1,0,0]
	s_delay_alu instid0(VALU_DEP_1) | instskip(SKIP_1) | instid1(VALU_DEP_1)
	v_mov_b32_e32 v141, v135
	v_pk_mul_f32 v[134:135], v[136:137], v[126:127] op_sel:[0,1]
	v_pk_fma_f32 v[138:139], v[136:137], v[124:125], v[134:135] op_sel:[0,0,1] op_sel_hi:[1,1,0] neg_lo:[0,0,1] neg_hi:[0,0,1]
	v_pk_fma_f32 v[134:135], v[136:137], v[124:125], v[134:135] op_sel:[0,0,1] op_sel_hi:[1,0,0]
	s_delay_alu instid0(VALU_DEP_1)
	v_mov_b32_e32 v139, v135
	ds_load_2addr_b64 v[134:137], v128 offset0:51 offset1:52
	v_pk_add_f32 v[118:119], v[118:119], v[140:141] neg_lo:[0,1] neg_hi:[0,1]
	v_pk_add_f32 v[94:95], v[94:95], v[138:139] neg_lo:[0,1] neg_hi:[0,1]
	s_wait_dscnt 0x0
	v_pk_mul_f32 v[138:139], v[134:135], v[126:127] op_sel:[0,1]
	s_delay_alu instid0(VALU_DEP_1) | instskip(SKIP_1) | instid1(VALU_DEP_1)
	v_pk_fma_f32 v[140:141], v[134:135], v[124:125], v[138:139] op_sel:[0,0,1] op_sel_hi:[1,1,0] neg_lo:[0,0,1] neg_hi:[0,0,1]
	v_pk_fma_f32 v[134:135], v[134:135], v[124:125], v[138:139] op_sel:[0,0,1] op_sel_hi:[1,0,0]
	v_mov_b32_e32 v141, v135
	v_pk_mul_f32 v[134:135], v[136:137], v[126:127] op_sel:[0,1]
	s_delay_alu instid0(VALU_DEP_1) | instskip(SKIP_1) | instid1(VALU_DEP_1)
	v_pk_fma_f32 v[138:139], v[136:137], v[124:125], v[134:135] op_sel:[0,0,1] op_sel_hi:[1,1,0] neg_lo:[0,0,1] neg_hi:[0,0,1]
	v_pk_fma_f32 v[134:135], v[136:137], v[124:125], v[134:135] op_sel:[0,0,1] op_sel_hi:[1,0,0]
	v_mov_b32_e32 v139, v135
	ds_load_2addr_b64 v[134:137], v128 offset0:53 offset1:54
	v_pk_add_f32 v[96:97], v[96:97], v[140:141] neg_lo:[0,1] neg_hi:[0,1]
	v_pk_add_f32 v[114:115], v[114:115], v[138:139] neg_lo:[0,1] neg_hi:[0,1]
	s_wait_dscnt 0x0
	v_dual_mul_f32 v138, v135, v127 :: v_dual_mul_f32 v140, v135, v124
	s_delay_alu instid0(VALU_DEP_1) | instskip(NEXT) | instid1(VALU_DEP_2)
	v_pk_fma_f32 v[138:139], v[134:135], v[60:61], v[138:139] op_sel_hi:[1,1,0] neg_lo:[0,0,1] neg_hi:[0,0,1]
	v_pk_fma_f32 v[134:135], v[134:135], v[60:61], v[140:141] op_sel:[1,0,0] op_sel_hi:[0,1,0]
	s_delay_alu instid0(VALU_DEP_1) | instskip(SKIP_1) | instid1(VALU_DEP_2)
	v_mov_b32_e32 v139, v135
	v_pk_mul_f32 v[134:135], v[136:137], v[126:127] op_sel:[0,1]
	v_pk_add_f32 v[112:113], v[112:113], v[138:139] neg_lo:[0,1] neg_hi:[0,1]
	s_delay_alu instid0(VALU_DEP_2) | instskip(SKIP_1) | instid1(VALU_DEP_1)
	v_pk_fma_f32 v[138:139], v[136:137], v[124:125], v[134:135] op_sel:[0,0,1] op_sel_hi:[1,1,0] neg_lo:[0,0,1] neg_hi:[0,0,1]
	v_pk_fma_f32 v[134:135], v[136:137], v[124:125], v[134:135] op_sel:[0,0,1] op_sel_hi:[1,0,0]
	v_mov_b32_e32 v139, v135
	ds_load_2addr_b64 v[134:137], v128 offset0:55 offset1:56
	v_pk_add_f32 v[92:93], v[92:93], v[138:139] neg_lo:[0,1] neg_hi:[0,1]
	s_wait_dscnt 0x0
	v_pk_mul_f32 v[138:139], v[134:135], v[126:127] op_sel:[0,1]
	s_delay_alu instid0(VALU_DEP_1) | instskip(SKIP_1) | instid1(VALU_DEP_1)
	v_pk_fma_f32 v[140:141], v[134:135], v[124:125], v[138:139] op_sel:[0,0,1] op_sel_hi:[1,1,0] neg_lo:[0,0,1] neg_hi:[0,0,1]
	v_pk_fma_f32 v[134:135], v[134:135], v[124:125], v[138:139] op_sel:[0,0,1] op_sel_hi:[1,0,0]
	v_mov_b32_e32 v141, v135
	v_pk_mul_f32 v[134:135], v[136:137], v[126:127] op_sel:[0,1]
	s_delay_alu instid0(VALU_DEP_2) | instskip(NEXT) | instid1(VALU_DEP_2)
	v_pk_add_f32 v[90:91], v[90:91], v[140:141] neg_lo:[0,1] neg_hi:[0,1]
	v_pk_fma_f32 v[138:139], v[136:137], v[124:125], v[134:135] op_sel:[0,0,1] op_sel_hi:[1,1,0] neg_lo:[0,0,1] neg_hi:[0,0,1]
	v_pk_fma_f32 v[134:135], v[136:137], v[124:125], v[134:135] op_sel:[0,0,1] op_sel_hi:[1,0,0]
	s_delay_alu instid0(VALU_DEP_1)
	v_mov_b32_e32 v139, v135
	ds_load_2addr_b64 v[134:137], v128 offset0:57 offset1:58
	v_pk_add_f32 v[104:105], v[104:105], v[138:139] neg_lo:[0,1] neg_hi:[0,1]
	s_wait_dscnt 0x0
	v_pk_mul_f32 v[138:139], v[134:135], v[126:127] op_sel:[0,1]
	v_pk_mul_f32 v[126:127], v[136:137], v[126:127] op_sel:[0,1]
	s_delay_alu instid0(VALU_DEP_2) | instskip(SKIP_1) | instid1(VALU_DEP_1)
	v_pk_fma_f32 v[140:141], v[134:135], v[124:125], v[138:139] op_sel:[0,0,1] op_sel_hi:[1,1,0] neg_lo:[0,0,1] neg_hi:[0,0,1]
	v_pk_fma_f32 v[134:135], v[134:135], v[124:125], v[138:139] op_sel:[0,0,1] op_sel_hi:[1,0,0]
	v_mov_b32_e32 v141, v135
	s_delay_alu instid0(VALU_DEP_4) | instskip(SKIP_1) | instid1(VALU_DEP_3)
	v_pk_fma_f32 v[134:135], v[136:137], v[124:125], v[126:127] op_sel:[0,0,1] op_sel_hi:[1,1,0] neg_lo:[0,0,1] neg_hi:[0,0,1]
	v_pk_fma_f32 v[124:125], v[136:137], v[124:125], v[126:127] op_sel:[0,0,1] op_sel_hi:[1,0,0]
	v_pk_add_f32 v[98:99], v[98:99], v[140:141] neg_lo:[0,1] neg_hi:[0,1]
	s_delay_alu instid0(VALU_DEP_2) | instskip(NEXT) | instid1(VALU_DEP_1)
	v_mov_b32_e32 v135, v125
	v_pk_add_f32 v[122:123], v[122:123], v[134:135] neg_lo:[0,1] neg_hi:[0,1]
.LBB116_524:
	s_or_b32 exec_lo, exec_lo, s0
	v_lshl_add_u32 v124, v132, 3, v128
	s_barrier_signal -1
	s_barrier_wait -1
	ds_store_b64 v124, v[58:59]
	s_wait_dscnt 0x0
	s_barrier_signal -1
	s_barrier_wait -1
	ds_load_b64 v[126:127], v128 offset:200
	v_mov_b32_e32 v124, 25
	s_cmp_lt_i32 s18, 27
	s_cbranch_scc1 .LBB116_527
; %bb.525:
	v_add3_u32 v125, v129, 0, 0xd0
	v_mov_b32_e32 v124, 25
	s_mov_b32 s0, 26
.LBB116_526:                            ; =>This Inner Loop Header: Depth=1
	ds_load_b64 v[134:135], v125
	s_wait_dscnt 0x1
	v_cmp_gt_f32_e32 vcc_lo, 0, v126
	v_cndmask_b32_e64 v136, v126, -v126, vcc_lo
	v_cmp_gt_f32_e32 vcc_lo, 0, v127
	v_cndmask_b32_e64 v138, v127, -v127, vcc_lo
	s_wait_dscnt 0x0
	v_cmp_gt_f32_e32 vcc_lo, 0, v134
	v_cndmask_b32_e64 v137, v134, -v134, vcc_lo
	v_cmp_gt_f32_e32 vcc_lo, 0, v135
	v_cndmask_b32_e64 v139, v135, -v135, vcc_lo
	s_delay_alu instid0(VALU_DEP_1) | instskip(NEXT) | instid1(VALU_DEP_1)
	v_pk_add_f32 v[136:137], v[136:137], v[138:139]
	v_cmp_lt_f32_e32 vcc_lo, v136, v137
	v_dual_add_nc_u32 v125, 8, v125 :: v_dual_cndmask_b32 v127, v127, v135, vcc_lo
	v_cndmask_b32_e32 v126, v126, v134, vcc_lo
	v_cndmask_b32_e64 v124, v124, s0, vcc_lo
	s_add_co_i32 s0, s0, 1
	s_delay_alu instid0(SALU_CYCLE_1)
	s_cmp_lg_u32 s18, s0
	s_cbranch_scc1 .LBB116_526
.LBB116_527:
	s_wait_dscnt 0x0
	v_cmp_eq_f32_e32 vcc_lo, 0, v126
	v_cmp_eq_f32_e64 s0, 0, v127
	s_and_b32 s0, vcc_lo, s0
	s_delay_alu instid0(SALU_CYCLE_1) | instskip(NEXT) | instid1(SALU_CYCLE_1)
	s_and_saveexec_b32 s1, s0
	s_xor_b32 s0, exec_lo, s1
; %bb.528:
	v_cmp_ne_u32_e32 vcc_lo, 0, v130
	v_cndmask_b32_e32 v130, 26, v130, vcc_lo
; %bb.529:
	s_and_not1_saveexec_b32 s0, s0
	s_cbranch_execz .LBB116_535
; %bb.530:
	v_cmp_ngt_f32_e64 s1, |v126|, |v127|
	s_and_saveexec_b32 s12, s1
	s_delay_alu instid0(SALU_CYCLE_1)
	s_xor_b32 s1, exec_lo, s12
	s_cbranch_execz .LBB116_532
; %bb.531:
	v_div_scale_f32 v125, null, v127, v127, v126
	v_div_scale_f32 v135, vcc_lo, v126, v127, v126
	s_delay_alu instid0(VALU_DEP_2) | instskip(SKIP_1) | instid1(TRANS32_DEP_1)
	v_rcp_f32_e32 v133, v125
	v_nop
	v_fma_f32 v134, -v125, v133, 1.0
	s_delay_alu instid0(VALU_DEP_1) | instskip(NEXT) | instid1(VALU_DEP_1)
	v_fmac_f32_e32 v133, v134, v133
	v_mul_f32_e32 v134, v135, v133
	s_delay_alu instid0(VALU_DEP_1) | instskip(NEXT) | instid1(VALU_DEP_1)
	v_fma_f32 v136, -v125, v134, v135
	v_fmac_f32_e32 v134, v136, v133
	s_delay_alu instid0(VALU_DEP_1) | instskip(NEXT) | instid1(VALU_DEP_1)
	v_fma_f32 v125, -v125, v134, v135
	v_div_fmas_f32 v125, v125, v133, v134
	s_delay_alu instid0(VALU_DEP_1) | instskip(NEXT) | instid1(VALU_DEP_1)
	v_div_fixup_f32 v125, v125, v127, v126
	v_fmac_f32_e32 v127, v126, v125
	s_delay_alu instid0(VALU_DEP_1) | instskip(SKIP_1) | instid1(VALU_DEP_2)
	v_div_scale_f32 v126, null, v127, v127, 1.0
	v_div_scale_f32 v135, vcc_lo, 1.0, v127, 1.0
	v_rcp_f32_e32 v133, v126
	v_nop
	s_delay_alu instid0(TRANS32_DEP_1) | instskip(NEXT) | instid1(VALU_DEP_1)
	v_fma_f32 v134, -v126, v133, 1.0
	v_fmac_f32_e32 v133, v134, v133
	s_delay_alu instid0(VALU_DEP_1) | instskip(NEXT) | instid1(VALU_DEP_1)
	v_mul_f32_e32 v134, v135, v133
	v_fma_f32 v136, -v126, v134, v135
	s_delay_alu instid0(VALU_DEP_1) | instskip(NEXT) | instid1(VALU_DEP_1)
	v_fmac_f32_e32 v134, v136, v133
	v_fma_f32 v126, -v126, v134, v135
	s_delay_alu instid0(VALU_DEP_1) | instskip(NEXT) | instid1(VALU_DEP_1)
	v_div_fmas_f32 v126, v126, v133, v134
	v_div_fixup_f32 v127, v126, v127, 1.0
	s_delay_alu instid0(VALU_DEP_1)
	v_mul_f32_e32 v126, v125, v127
	v_xor_b32_e32 v127, 0x80000000, v127
.LBB116_532:
	s_and_not1_saveexec_b32 s1, s1
	s_cbranch_execz .LBB116_534
; %bb.533:
	s_delay_alu instid0(VALU_DEP_1) | instskip(SKIP_1) | instid1(VALU_DEP_2)
	v_div_scale_f32 v125, null, v126, v126, v127
	v_div_scale_f32 v135, vcc_lo, v127, v126, v127
	v_rcp_f32_e32 v133, v125
	v_nop
	s_delay_alu instid0(TRANS32_DEP_1) | instskip(NEXT) | instid1(VALU_DEP_1)
	v_fma_f32 v134, -v125, v133, 1.0
	v_fmac_f32_e32 v133, v134, v133
	s_delay_alu instid0(VALU_DEP_1) | instskip(NEXT) | instid1(VALU_DEP_1)
	v_mul_f32_e32 v134, v135, v133
	v_fma_f32 v136, -v125, v134, v135
	s_delay_alu instid0(VALU_DEP_1) | instskip(NEXT) | instid1(VALU_DEP_1)
	v_fmac_f32_e32 v134, v136, v133
	v_fma_f32 v125, -v125, v134, v135
	s_delay_alu instid0(VALU_DEP_1) | instskip(NEXT) | instid1(VALU_DEP_1)
	v_div_fmas_f32 v125, v125, v133, v134
	v_div_fixup_f32 v125, v125, v126, v127
	s_delay_alu instid0(VALU_DEP_1) | instskip(NEXT) | instid1(VALU_DEP_1)
	v_fmac_f32_e32 v126, v127, v125
	v_div_scale_f32 v127, null, v126, v126, 1.0
	s_delay_alu instid0(VALU_DEP_1) | instskip(SKIP_1) | instid1(TRANS32_DEP_1)
	v_rcp_f32_e32 v133, v127
	v_nop
	v_fma_f32 v134, -v127, v133, 1.0
	s_delay_alu instid0(VALU_DEP_1) | instskip(SKIP_1) | instid1(VALU_DEP_1)
	v_fmac_f32_e32 v133, v134, v133
	v_div_scale_f32 v134, vcc_lo, 1.0, v126, 1.0
	v_mul_f32_e32 v135, v134, v133
	s_delay_alu instid0(VALU_DEP_1) | instskip(NEXT) | instid1(VALU_DEP_1)
	v_fma_f32 v136, -v127, v135, v134
	v_fmac_f32_e32 v135, v136, v133
	s_delay_alu instid0(VALU_DEP_1) | instskip(NEXT) | instid1(VALU_DEP_1)
	v_fma_f32 v127, -v127, v135, v134
	v_div_fmas_f32 v127, v127, v133, v135
	s_delay_alu instid0(VALU_DEP_1) | instskip(NEXT) | instid1(VALU_DEP_1)
	v_div_fixup_f32 v126, v127, v126, 1.0
	v_mul_f32_e64 v127, v125, -v126
.LBB116_534:
	s_or_b32 exec_lo, exec_lo, s1
.LBB116_535:
	s_delay_alu instid0(SALU_CYCLE_1) | instskip(NEXT) | instid1(SALU_CYCLE_1)
	s_or_b32 exec_lo, exec_lo, s0
	s_mov_b32 s0, exec_lo
	v_cmpx_ne_u32_e64 v132, v124
	s_xor_b32 s0, exec_lo, s0
	s_cbranch_execz .LBB116_541
; %bb.536:
	s_mov_b32 s1, exec_lo
	v_cmpx_eq_u32_e32 25, v132
	s_cbranch_execz .LBB116_540
; %bb.537:
	v_cmp_ne_u32_e32 vcc_lo, 25, v124
	s_xor_b32 s12, s16, -1
	s_delay_alu instid0(SALU_CYCLE_1) | instskip(NEXT) | instid1(SALU_CYCLE_1)
	s_and_b32 s13, s12, vcc_lo
	s_and_saveexec_b32 s12, s13
	s_cbranch_execz .LBB116_539
; %bb.538:
	v_ashrrev_i32_e32 v125, 31, v124
	s_delay_alu instid0(VALU_DEP_1)
	v_lshl_add_u64 v[132:133], v[124:125], 2, v[4:5]
	s_clause 0x1
	global_load_b32 v125, v[132:133], off
	global_load_b32 v131, v[4:5], off offset:100
	s_wait_loadcnt 0x1
	global_store_b32 v[4:5], v125, off offset:100
	s_wait_loadcnt 0x0
	global_store_b32 v[132:133], v131, off
.LBB116_539:
	s_wait_xcnt 0x0
	s_or_b32 exec_lo, exec_lo, s12
	v_dual_mov_b32 v132, v124 :: v_dual_mov_b32 v131, v124
.LBB116_540:
	s_or_b32 exec_lo, exec_lo, s1
.LBB116_541:
	s_and_not1_saveexec_b32 s0, s0
	s_cbranch_execz .LBB116_543
; %bb.542:
	v_dual_mov_b32 v124, v38 :: v_dual_mov_b32 v125, v39
	v_dual_mov_b32 v132, v36 :: v_dual_mov_b32 v133, v37
	ds_store_2addr_b64 v128, v[124:125], v[132:133] offset0:26 offset1:27
	v_dual_mov_b32 v124, v68 :: v_dual_mov_b32 v125, v69
	v_dual_mov_b32 v132, v66 :: v_dual_mov_b32 v133, v67
	ds_store_2addr_b64 v128, v[124:125], v[132:133] offset0:28 offset1:29
	;; [unrolled: 3-line block ×16, first 2 shown]
	ds_store_b64 v128, v[122:123] offset:464
	v_mov_b32_e32 v132, 25
.LBB116_543:
	s_or_b32 exec_lo, exec_lo, s0
	s_delay_alu instid0(SALU_CYCLE_1)
	s_mov_b32 s0, exec_lo
	s_wait_storecnt_dscnt 0x0
	s_barrier_signal -1
	s_barrier_wait -1
	v_cmpx_lt_i32_e32 25, v132
	s_cbranch_execz .LBB116_545
; %bb.544:
	v_pk_mul_f32 v[134:135], v[126:127], v[58:59] op_sel:[1,1] op_sel_hi:[0,1]
	s_delay_alu instid0(VALU_DEP_1)
	v_pk_fma_f32 v[124:125], v[126:127], v[58:59], v[134:135] op_sel_hi:[1,0,1] neg_lo:[0,0,1] neg_hi:[0,0,1]
	v_pk_fma_f32 v[126:127], v[126:127], v[58:59], v[134:135] op_sel_hi:[1,0,1]
	ds_load_2addr_b64 v[134:137], v128 offset0:26 offset1:27
	v_dual_mov_b32 v58, v124 :: v_dual_mov_b32 v59, v127
	s_wait_dscnt 0x0
	v_pk_mul_f32 v[138:139], v[134:135], v[126:127] op_sel:[0,1]
	s_delay_alu instid0(VALU_DEP_1) | instskip(SKIP_1) | instid1(VALU_DEP_1)
	v_pk_fma_f32 v[140:141], v[134:135], v[124:125], v[138:139] op_sel:[0,0,1] op_sel_hi:[1,1,0] neg_lo:[0,0,1] neg_hi:[0,0,1]
	v_pk_fma_f32 v[134:135], v[134:135], v[124:125], v[138:139] op_sel:[0,0,1] op_sel_hi:[1,0,0]
	v_mov_b32_e32 v141, v135
	v_pk_mul_f32 v[134:135], v[136:137], v[126:127] op_sel:[0,1]
	s_delay_alu instid0(VALU_DEP_1) | instskip(SKIP_1) | instid1(VALU_DEP_1)
	v_pk_fma_f32 v[138:139], v[136:137], v[124:125], v[134:135] op_sel:[0,0,1] op_sel_hi:[1,1,0] neg_lo:[0,0,1] neg_hi:[0,0,1]
	v_pk_fma_f32 v[134:135], v[136:137], v[124:125], v[134:135] op_sel:[0,0,1] op_sel_hi:[1,0,0]
	v_mov_b32_e32 v139, v135
	ds_load_2addr_b64 v[134:137], v128 offset0:28 offset1:29
	v_pk_add_f32 v[38:39], v[38:39], v[140:141] neg_lo:[0,1] neg_hi:[0,1]
	v_pk_add_f32 v[36:37], v[36:37], v[138:139] neg_lo:[0,1] neg_hi:[0,1]
	s_wait_dscnt 0x0
	v_pk_mul_f32 v[138:139], v[134:135], v[126:127] op_sel:[0,1]
	s_delay_alu instid0(VALU_DEP_1) | instskip(SKIP_2) | instid1(VALU_DEP_2)
	v_pk_fma_f32 v[140:141], v[134:135], v[124:125], v[138:139] op_sel:[0,0,1] op_sel_hi:[1,1,0] neg_lo:[0,0,1] neg_hi:[0,0,1]
	v_pk_fma_f32 v[134:135], v[134:135], v[124:125], v[138:139] op_sel:[0,0,1] op_sel_hi:[1,0,0]
	v_dual_mul_f32 v138, v137, v127 :: v_dual_mov_b32 v134, v137
	v_dual_mov_b32 v141, v135 :: v_dual_mov_b32 v135, v136
	s_delay_alu instid0(VALU_DEP_2) | instskip(SKIP_1) | instid1(VALU_DEP_3)
	v_pk_fma_f32 v[138:139], v[136:137], v[58:59], v[138:139] op_sel_hi:[1,1,0] neg_lo:[0,0,1] neg_hi:[0,0,1]
	v_mul_f32_e32 v136, v137, v124
	v_pk_add_f32 v[68:69], v[68:69], v[140:141] neg_lo:[0,1] neg_hi:[0,1]
	s_delay_alu instid0(VALU_DEP_2) | instskip(NEXT) | instid1(VALU_DEP_1)
	v_pk_fma_f32 v[134:135], v[134:135], v[58:59], v[136:137] op_sel_hi:[1,1,0]
	v_mov_b32_e32 v139, v135
	ds_load_2addr_b64 v[134:137], v128 offset0:30 offset1:31
	v_pk_add_f32 v[66:67], v[66:67], v[138:139] neg_lo:[0,1] neg_hi:[0,1]
	s_wait_dscnt 0x0
	v_pk_mul_f32 v[138:139], v[134:135], v[126:127] op_sel:[0,1]
	s_delay_alu instid0(VALU_DEP_1) | instskip(SKIP_1) | instid1(VALU_DEP_1)
	v_pk_fma_f32 v[140:141], v[134:135], v[124:125], v[138:139] op_sel:[0,0,1] op_sel_hi:[1,1,0] neg_lo:[0,0,1] neg_hi:[0,0,1]
	v_pk_fma_f32 v[134:135], v[134:135], v[124:125], v[138:139] op_sel:[0,0,1] op_sel_hi:[1,0,0]
	v_mov_b32_e32 v141, v135
	v_pk_mul_f32 v[134:135], v[136:137], v[126:127] op_sel:[0,1]
	s_delay_alu instid0(VALU_DEP_1) | instskip(SKIP_1) | instid1(VALU_DEP_1)
	v_pk_fma_f32 v[138:139], v[136:137], v[124:125], v[134:135] op_sel:[0,0,1] op_sel_hi:[1,1,0] neg_lo:[0,0,1] neg_hi:[0,0,1]
	v_pk_fma_f32 v[134:135], v[136:137], v[124:125], v[134:135] op_sel:[0,0,1] op_sel_hi:[1,0,0]
	v_mov_b32_e32 v139, v135
	ds_load_2addr_b64 v[134:137], v128 offset0:32 offset1:33
	v_pk_add_f32 v[48:49], v[48:49], v[140:141] neg_lo:[0,1] neg_hi:[0,1]
	v_pk_add_f32 v[46:47], v[46:47], v[138:139] neg_lo:[0,1] neg_hi:[0,1]
	s_wait_dscnt 0x0
	v_pk_mul_f32 v[138:139], v[134:135], v[126:127] op_sel:[0,1]
	s_delay_alu instid0(VALU_DEP_1) | instskip(SKIP_1) | instid1(VALU_DEP_1)
	v_pk_fma_f32 v[140:141], v[134:135], v[124:125], v[138:139] op_sel:[0,0,1] op_sel_hi:[1,1,0] neg_lo:[0,0,1] neg_hi:[0,0,1]
	v_pk_fma_f32 v[134:135], v[134:135], v[124:125], v[138:139] op_sel:[0,0,1] op_sel_hi:[1,0,0]
	v_mov_b32_e32 v141, v135
	v_pk_mul_f32 v[134:135], v[136:137], v[126:127] op_sel:[0,1]
	s_delay_alu instid0(VALU_DEP_1) | instskip(SKIP_1) | instid1(VALU_DEP_1)
	v_pk_fma_f32 v[138:139], v[136:137], v[124:125], v[134:135] op_sel:[0,0,1] op_sel_hi:[1,1,0] neg_lo:[0,0,1] neg_hi:[0,0,1]
	v_pk_fma_f32 v[134:135], v[136:137], v[124:125], v[134:135] op_sel:[0,0,1] op_sel_hi:[1,0,0]
	v_mov_b32_e32 v139, v135
	ds_load_2addr_b64 v[134:137], v128 offset0:34 offset1:35
	v_pk_add_f32 v[78:79], v[78:79], v[140:141] neg_lo:[0,1] neg_hi:[0,1]
	v_pk_add_f32 v[76:77], v[76:77], v[138:139] neg_lo:[0,1] neg_hi:[0,1]
	s_wait_dscnt 0x0
	v_dual_mul_f32 v138, v135, v127 :: v_dual_mul_f32 v140, v135, v124
	s_delay_alu instid0(VALU_DEP_1) | instskip(NEXT) | instid1(VALU_DEP_2)
	v_pk_fma_f32 v[138:139], v[134:135], v[58:59], v[138:139] op_sel_hi:[1,1,0] neg_lo:[0,0,1] neg_hi:[0,0,1]
	v_pk_fma_f32 v[134:135], v[134:135], v[58:59], v[140:141] op_sel:[1,0,0] op_sel_hi:[0,1,0]
	s_delay_alu instid0(VALU_DEP_1) | instskip(SKIP_1) | instid1(VALU_DEP_2)
	v_mov_b32_e32 v139, v135
	v_pk_mul_f32 v[134:135], v[136:137], v[126:127] op_sel:[0,1]
	v_pk_add_f32 v[56:57], v[56:57], v[138:139] neg_lo:[0,1] neg_hi:[0,1]
	s_delay_alu instid0(VALU_DEP_2) | instskip(SKIP_1) | instid1(VALU_DEP_1)
	v_pk_fma_f32 v[138:139], v[136:137], v[124:125], v[134:135] op_sel:[0,0,1] op_sel_hi:[1,1,0] neg_lo:[0,0,1] neg_hi:[0,0,1]
	v_pk_fma_f32 v[134:135], v[136:137], v[124:125], v[134:135] op_sel:[0,0,1] op_sel_hi:[1,0,0]
	v_mov_b32_e32 v139, v135
	ds_load_2addr_b64 v[134:137], v128 offset0:36 offset1:37
	v_pk_add_f32 v[54:55], v[54:55], v[138:139] neg_lo:[0,1] neg_hi:[0,1]
	s_wait_dscnt 0x0
	v_pk_mul_f32 v[138:139], v[134:135], v[126:127] op_sel:[0,1]
	s_delay_alu instid0(VALU_DEP_1) | instskip(SKIP_1) | instid1(VALU_DEP_1)
	v_pk_fma_f32 v[140:141], v[134:135], v[124:125], v[138:139] op_sel:[0,0,1] op_sel_hi:[1,1,0] neg_lo:[0,0,1] neg_hi:[0,0,1]
	v_pk_fma_f32 v[134:135], v[134:135], v[124:125], v[138:139] op_sel:[0,0,1] op_sel_hi:[1,0,0]
	v_mov_b32_e32 v141, v135
	v_pk_mul_f32 v[134:135], v[136:137], v[126:127] op_sel:[0,1]
	s_delay_alu instid0(VALU_DEP_2) | instskip(NEXT) | instid1(VALU_DEP_2)
	v_pk_add_f32 v[88:89], v[88:89], v[140:141] neg_lo:[0,1] neg_hi:[0,1]
	v_pk_fma_f32 v[138:139], v[136:137], v[124:125], v[134:135] op_sel:[0,0,1] op_sel_hi:[1,1,0] neg_lo:[0,0,1] neg_hi:[0,0,1]
	v_pk_fma_f32 v[134:135], v[136:137], v[124:125], v[134:135] op_sel:[0,0,1] op_sel_hi:[1,0,0]
	s_delay_alu instid0(VALU_DEP_1) | instskip(SKIP_4) | instid1(VALU_DEP_1)
	v_mov_b32_e32 v139, v135
	ds_load_2addr_b64 v[134:137], v128 offset0:38 offset1:39
	v_pk_add_f32 v[86:87], v[86:87], v[138:139] neg_lo:[0,1] neg_hi:[0,1]
	s_wait_dscnt 0x0
	v_pk_mul_f32 v[138:139], v[134:135], v[126:127] op_sel:[0,1]
	v_pk_fma_f32 v[140:141], v[134:135], v[124:125], v[138:139] op_sel:[0,0,1] op_sel_hi:[1,1,0] neg_lo:[0,0,1] neg_hi:[0,0,1]
	v_pk_fma_f32 v[134:135], v[134:135], v[124:125], v[138:139] op_sel:[0,0,1] op_sel_hi:[1,0,0]
	v_dual_mul_f32 v138, v137, v127 :: v_dual_mov_b32 v134, v137
	s_delay_alu instid0(VALU_DEP_2) | instskip(NEXT) | instid1(VALU_DEP_2)
	v_dual_mov_b32 v141, v135 :: v_dual_mov_b32 v135, v136
	v_pk_fma_f32 v[138:139], v[136:137], v[58:59], v[138:139] op_sel_hi:[1,1,0] neg_lo:[0,0,1] neg_hi:[0,0,1]
	v_mul_f32_e32 v136, v137, v124
	s_delay_alu instid0(VALU_DEP_3) | instskip(NEXT) | instid1(VALU_DEP_2)
	v_pk_add_f32 v[64:65], v[64:65], v[140:141] neg_lo:[0,1] neg_hi:[0,1]
	v_pk_fma_f32 v[134:135], v[134:135], v[58:59], v[136:137] op_sel_hi:[1,1,0]
	s_delay_alu instid0(VALU_DEP_1) | instskip(SKIP_4) | instid1(VALU_DEP_1)
	v_mov_b32_e32 v139, v135
	ds_load_2addr_b64 v[134:137], v128 offset0:40 offset1:41
	v_pk_add_f32 v[62:63], v[62:63], v[138:139] neg_lo:[0,1] neg_hi:[0,1]
	s_wait_dscnt 0x0
	v_pk_mul_f32 v[138:139], v[134:135], v[126:127] op_sel:[0,1]
	v_pk_fma_f32 v[140:141], v[134:135], v[124:125], v[138:139] op_sel:[0,0,1] op_sel_hi:[1,1,0] neg_lo:[0,0,1] neg_hi:[0,0,1]
	v_pk_fma_f32 v[134:135], v[134:135], v[124:125], v[138:139] op_sel:[0,0,1] op_sel_hi:[1,0,0]
	s_delay_alu instid0(VALU_DEP_1) | instskip(SKIP_1) | instid1(VALU_DEP_1)
	v_mov_b32_e32 v141, v135
	v_pk_mul_f32 v[134:135], v[136:137], v[126:127] op_sel:[0,1]
	v_pk_fma_f32 v[138:139], v[136:137], v[124:125], v[134:135] op_sel:[0,0,1] op_sel_hi:[1,1,0] neg_lo:[0,0,1] neg_hi:[0,0,1]
	v_pk_fma_f32 v[134:135], v[136:137], v[124:125], v[134:135] op_sel:[0,0,1] op_sel_hi:[1,0,0]
	s_delay_alu instid0(VALU_DEP_1)
	v_mov_b32_e32 v139, v135
	ds_load_2addr_b64 v[134:137], v128 offset0:42 offset1:43
	v_pk_add_f32 v[102:103], v[102:103], v[140:141] neg_lo:[0,1] neg_hi:[0,1]
	v_pk_add_f32 v[100:101], v[100:101], v[138:139] neg_lo:[0,1] neg_hi:[0,1]
	s_wait_dscnt 0x0
	v_pk_mul_f32 v[138:139], v[134:135], v[126:127] op_sel:[0,1]
	s_delay_alu instid0(VALU_DEP_1) | instskip(SKIP_1) | instid1(VALU_DEP_1)
	v_pk_fma_f32 v[140:141], v[134:135], v[124:125], v[138:139] op_sel:[0,0,1] op_sel_hi:[1,1,0] neg_lo:[0,0,1] neg_hi:[0,0,1]
	v_pk_fma_f32 v[134:135], v[134:135], v[124:125], v[138:139] op_sel:[0,0,1] op_sel_hi:[1,0,0]
	v_mov_b32_e32 v141, v135
	v_pk_mul_f32 v[134:135], v[136:137], v[126:127] op_sel:[0,1]
	s_delay_alu instid0(VALU_DEP_1) | instskip(SKIP_1) | instid1(VALU_DEP_1)
	v_pk_fma_f32 v[138:139], v[136:137], v[124:125], v[134:135] op_sel:[0,0,1] op_sel_hi:[1,1,0] neg_lo:[0,0,1] neg_hi:[0,0,1]
	v_pk_fma_f32 v[134:135], v[136:137], v[124:125], v[134:135] op_sel:[0,0,1] op_sel_hi:[1,0,0]
	v_mov_b32_e32 v139, v135
	ds_load_2addr_b64 v[134:137], v128 offset0:44 offset1:45
	v_pk_add_f32 v[72:73], v[72:73], v[140:141] neg_lo:[0,1] neg_hi:[0,1]
	v_pk_add_f32 v[70:71], v[70:71], v[138:139] neg_lo:[0,1] neg_hi:[0,1]
	s_wait_dscnt 0x0
	v_dual_mul_f32 v138, v135, v127 :: v_dual_mul_f32 v140, v135, v124
	s_delay_alu instid0(VALU_DEP_1) | instskip(NEXT) | instid1(VALU_DEP_2)
	v_pk_fma_f32 v[138:139], v[134:135], v[58:59], v[138:139] op_sel_hi:[1,1,0] neg_lo:[0,0,1] neg_hi:[0,0,1]
	v_pk_fma_f32 v[134:135], v[134:135], v[58:59], v[140:141] op_sel:[1,0,0] op_sel_hi:[0,1,0]
	s_delay_alu instid0(VALU_DEP_1) | instskip(SKIP_1) | instid1(VALU_DEP_2)
	v_mov_b32_e32 v139, v135
	v_pk_mul_f32 v[134:135], v[136:137], v[126:127] op_sel:[0,1]
	v_pk_add_f32 v[110:111], v[110:111], v[138:139] neg_lo:[0,1] neg_hi:[0,1]
	s_delay_alu instid0(VALU_DEP_2) | instskip(SKIP_1) | instid1(VALU_DEP_1)
	v_pk_fma_f32 v[138:139], v[136:137], v[124:125], v[134:135] op_sel:[0,0,1] op_sel_hi:[1,1,0] neg_lo:[0,0,1] neg_hi:[0,0,1]
	v_pk_fma_f32 v[134:135], v[136:137], v[124:125], v[134:135] op_sel:[0,0,1] op_sel_hi:[1,0,0]
	v_mov_b32_e32 v139, v135
	ds_load_2addr_b64 v[134:137], v128 offset0:46 offset1:47
	v_pk_add_f32 v[108:109], v[108:109], v[138:139] neg_lo:[0,1] neg_hi:[0,1]
	s_wait_dscnt 0x0
	v_pk_mul_f32 v[138:139], v[134:135], v[126:127] op_sel:[0,1]
	s_delay_alu instid0(VALU_DEP_1) | instskip(SKIP_1) | instid1(VALU_DEP_1)
	v_pk_fma_f32 v[140:141], v[134:135], v[124:125], v[138:139] op_sel:[0,0,1] op_sel_hi:[1,1,0] neg_lo:[0,0,1] neg_hi:[0,0,1]
	v_pk_fma_f32 v[134:135], v[134:135], v[124:125], v[138:139] op_sel:[0,0,1] op_sel_hi:[1,0,0]
	v_mov_b32_e32 v141, v135
	v_pk_mul_f32 v[134:135], v[136:137], v[126:127] op_sel:[0,1]
	s_delay_alu instid0(VALU_DEP_2) | instskip(NEXT) | instid1(VALU_DEP_2)
	v_pk_add_f32 v[82:83], v[82:83], v[140:141] neg_lo:[0,1] neg_hi:[0,1]
	v_pk_fma_f32 v[138:139], v[136:137], v[124:125], v[134:135] op_sel:[0,0,1] op_sel_hi:[1,1,0] neg_lo:[0,0,1] neg_hi:[0,0,1]
	v_pk_fma_f32 v[134:135], v[136:137], v[124:125], v[134:135] op_sel:[0,0,1] op_sel_hi:[1,0,0]
	s_delay_alu instid0(VALU_DEP_1) | instskip(SKIP_4) | instid1(VALU_DEP_1)
	v_mov_b32_e32 v139, v135
	ds_load_2addr_b64 v[134:137], v128 offset0:48 offset1:49
	v_pk_add_f32 v[80:81], v[80:81], v[138:139] neg_lo:[0,1] neg_hi:[0,1]
	s_wait_dscnt 0x0
	v_pk_mul_f32 v[138:139], v[134:135], v[126:127] op_sel:[0,1]
	v_pk_fma_f32 v[140:141], v[134:135], v[124:125], v[138:139] op_sel:[0,0,1] op_sel_hi:[1,1,0] neg_lo:[0,0,1] neg_hi:[0,0,1]
	v_pk_fma_f32 v[134:135], v[134:135], v[124:125], v[138:139] op_sel:[0,0,1] op_sel_hi:[1,0,0]
	v_dual_mul_f32 v138, v137, v127 :: v_dual_mov_b32 v134, v137
	s_delay_alu instid0(VALU_DEP_2) | instskip(NEXT) | instid1(VALU_DEP_2)
	v_dual_mov_b32 v141, v135 :: v_dual_mov_b32 v135, v136
	v_pk_fma_f32 v[138:139], v[136:137], v[58:59], v[138:139] op_sel_hi:[1,1,0] neg_lo:[0,0,1] neg_hi:[0,0,1]
	v_mul_f32_e32 v136, v137, v124
	s_delay_alu instid0(VALU_DEP_3) | instskip(NEXT) | instid1(VALU_DEP_2)
	v_pk_add_f32 v[120:121], v[120:121], v[140:141] neg_lo:[0,1] neg_hi:[0,1]
	v_pk_fma_f32 v[134:135], v[134:135], v[58:59], v[136:137] op_sel_hi:[1,1,0]
	s_delay_alu instid0(VALU_DEP_1) | instskip(SKIP_4) | instid1(VALU_DEP_1)
	v_mov_b32_e32 v139, v135
	ds_load_2addr_b64 v[134:137], v128 offset0:50 offset1:51
	v_pk_add_f32 v[118:119], v[118:119], v[138:139] neg_lo:[0,1] neg_hi:[0,1]
	s_wait_dscnt 0x0
	v_pk_mul_f32 v[138:139], v[134:135], v[126:127] op_sel:[0,1]
	v_pk_fma_f32 v[140:141], v[134:135], v[124:125], v[138:139] op_sel:[0,0,1] op_sel_hi:[1,1,0] neg_lo:[0,0,1] neg_hi:[0,0,1]
	v_pk_fma_f32 v[134:135], v[134:135], v[124:125], v[138:139] op_sel:[0,0,1] op_sel_hi:[1,0,0]
	s_delay_alu instid0(VALU_DEP_1) | instskip(SKIP_1) | instid1(VALU_DEP_1)
	v_mov_b32_e32 v141, v135
	v_pk_mul_f32 v[134:135], v[136:137], v[126:127] op_sel:[0,1]
	v_pk_fma_f32 v[138:139], v[136:137], v[124:125], v[134:135] op_sel:[0,0,1] op_sel_hi:[1,1,0] neg_lo:[0,0,1] neg_hi:[0,0,1]
	v_pk_fma_f32 v[134:135], v[136:137], v[124:125], v[134:135] op_sel:[0,0,1] op_sel_hi:[1,0,0]
	s_delay_alu instid0(VALU_DEP_1)
	v_mov_b32_e32 v139, v135
	ds_load_2addr_b64 v[134:137], v128 offset0:52 offset1:53
	v_pk_add_f32 v[94:95], v[94:95], v[140:141] neg_lo:[0,1] neg_hi:[0,1]
	v_pk_add_f32 v[96:97], v[96:97], v[138:139] neg_lo:[0,1] neg_hi:[0,1]
	s_wait_dscnt 0x0
	v_pk_mul_f32 v[138:139], v[134:135], v[126:127] op_sel:[0,1]
	s_delay_alu instid0(VALU_DEP_1) | instskip(SKIP_1) | instid1(VALU_DEP_1)
	v_pk_fma_f32 v[140:141], v[134:135], v[124:125], v[138:139] op_sel:[0,0,1] op_sel_hi:[1,1,0] neg_lo:[0,0,1] neg_hi:[0,0,1]
	v_pk_fma_f32 v[134:135], v[134:135], v[124:125], v[138:139] op_sel:[0,0,1] op_sel_hi:[1,0,0]
	v_mov_b32_e32 v141, v135
	v_pk_mul_f32 v[134:135], v[136:137], v[126:127] op_sel:[0,1]
	s_delay_alu instid0(VALU_DEP_1) | instskip(SKIP_1) | instid1(VALU_DEP_1)
	v_pk_fma_f32 v[138:139], v[136:137], v[124:125], v[134:135] op_sel:[0,0,1] op_sel_hi:[1,1,0] neg_lo:[0,0,1] neg_hi:[0,0,1]
	v_pk_fma_f32 v[134:135], v[136:137], v[124:125], v[134:135] op_sel:[0,0,1] op_sel_hi:[1,0,0]
	v_mov_b32_e32 v139, v135
	ds_load_2addr_b64 v[134:137], v128 offset0:54 offset1:55
	v_pk_add_f32 v[114:115], v[114:115], v[140:141] neg_lo:[0,1] neg_hi:[0,1]
	v_pk_add_f32 v[112:113], v[112:113], v[138:139] neg_lo:[0,1] neg_hi:[0,1]
	s_wait_dscnt 0x0
	v_dual_mul_f32 v138, v135, v127 :: v_dual_mul_f32 v140, v135, v124
	s_delay_alu instid0(VALU_DEP_1) | instskip(NEXT) | instid1(VALU_DEP_2)
	v_pk_fma_f32 v[138:139], v[134:135], v[58:59], v[138:139] op_sel_hi:[1,1,0] neg_lo:[0,0,1] neg_hi:[0,0,1]
	v_pk_fma_f32 v[134:135], v[134:135], v[58:59], v[140:141] op_sel:[1,0,0] op_sel_hi:[0,1,0]
	s_delay_alu instid0(VALU_DEP_1) | instskip(SKIP_1) | instid1(VALU_DEP_2)
	v_mov_b32_e32 v139, v135
	v_pk_mul_f32 v[134:135], v[136:137], v[126:127] op_sel:[0,1]
	v_pk_add_f32 v[92:93], v[92:93], v[138:139] neg_lo:[0,1] neg_hi:[0,1]
	s_delay_alu instid0(VALU_DEP_2) | instskip(SKIP_1) | instid1(VALU_DEP_1)
	v_pk_fma_f32 v[138:139], v[136:137], v[124:125], v[134:135] op_sel:[0,0,1] op_sel_hi:[1,1,0] neg_lo:[0,0,1] neg_hi:[0,0,1]
	v_pk_fma_f32 v[134:135], v[136:137], v[124:125], v[134:135] op_sel:[0,0,1] op_sel_hi:[1,0,0]
	v_mov_b32_e32 v139, v135
	ds_load_2addr_b64 v[134:137], v128 offset0:56 offset1:57
	v_pk_add_f32 v[90:91], v[90:91], v[138:139] neg_lo:[0,1] neg_hi:[0,1]
	s_wait_dscnt 0x0
	v_pk_mul_f32 v[138:139], v[134:135], v[126:127] op_sel:[0,1]
	s_delay_alu instid0(VALU_DEP_1) | instskip(SKIP_1) | instid1(VALU_DEP_1)
	v_pk_fma_f32 v[140:141], v[134:135], v[124:125], v[138:139] op_sel:[0,0,1] op_sel_hi:[1,1,0] neg_lo:[0,0,1] neg_hi:[0,0,1]
	v_pk_fma_f32 v[134:135], v[134:135], v[124:125], v[138:139] op_sel:[0,0,1] op_sel_hi:[1,0,0]
	v_mov_b32_e32 v141, v135
	v_pk_mul_f32 v[134:135], v[136:137], v[126:127] op_sel:[0,1]
	s_delay_alu instid0(VALU_DEP_2) | instskip(NEXT) | instid1(VALU_DEP_2)
	v_pk_add_f32 v[104:105], v[104:105], v[140:141] neg_lo:[0,1] neg_hi:[0,1]
	v_pk_fma_f32 v[138:139], v[136:137], v[124:125], v[134:135] op_sel:[0,0,1] op_sel_hi:[1,1,0] neg_lo:[0,0,1] neg_hi:[0,0,1]
	v_pk_fma_f32 v[134:135], v[136:137], v[124:125], v[134:135] op_sel:[0,0,1] op_sel_hi:[1,0,0]
	s_delay_alu instid0(VALU_DEP_1) | instskip(SKIP_4) | instid1(VALU_DEP_1)
	v_mov_b32_e32 v139, v135
	ds_load_b64 v[134:135], v128 offset:464
	v_pk_add_f32 v[98:99], v[98:99], v[138:139] neg_lo:[0,1] neg_hi:[0,1]
	s_wait_dscnt 0x0
	v_pk_mul_f32 v[126:127], v[134:135], v[126:127] op_sel:[0,1]
	v_pk_fma_f32 v[136:137], v[134:135], v[124:125], v[126:127] op_sel:[0,0,1] op_sel_hi:[1,1,0] neg_lo:[0,0,1] neg_hi:[0,0,1]
	v_pk_fma_f32 v[124:125], v[134:135], v[124:125], v[126:127] op_sel:[0,0,1] op_sel_hi:[1,0,0]
	s_delay_alu instid0(VALU_DEP_1) | instskip(NEXT) | instid1(VALU_DEP_1)
	v_mov_b32_e32 v137, v125
	v_pk_add_f32 v[122:123], v[122:123], v[136:137] neg_lo:[0,1] neg_hi:[0,1]
.LBB116_545:
	s_or_b32 exec_lo, exec_lo, s0
	v_lshl_add_u32 v124, v132, 3, v128
	s_barrier_signal -1
	s_barrier_wait -1
	ds_store_b64 v124, v[38:39]
	s_wait_dscnt 0x0
	s_barrier_signal -1
	s_barrier_wait -1
	ds_load_b64 v[126:127], v128 offset:208
	v_mov_b32_e32 v124, 26
	s_cmp_lt_i32 s18, 28
	s_cbranch_scc1 .LBB116_548
; %bb.546:
	v_add3_u32 v125, v129, 0, 0xd8
	v_mov_b32_e32 v124, 26
	s_mov_b32 s0, 27
.LBB116_547:                            ; =>This Inner Loop Header: Depth=1
	ds_load_b64 v[134:135], v125
	s_wait_dscnt 0x1
	v_cmp_gt_f32_e32 vcc_lo, 0, v126
	v_cndmask_b32_e64 v136, v126, -v126, vcc_lo
	v_cmp_gt_f32_e32 vcc_lo, 0, v127
	v_cndmask_b32_e64 v138, v127, -v127, vcc_lo
	s_wait_dscnt 0x0
	v_cmp_gt_f32_e32 vcc_lo, 0, v134
	v_cndmask_b32_e64 v137, v134, -v134, vcc_lo
	v_cmp_gt_f32_e32 vcc_lo, 0, v135
	v_cndmask_b32_e64 v139, v135, -v135, vcc_lo
	s_delay_alu instid0(VALU_DEP_1) | instskip(NEXT) | instid1(VALU_DEP_1)
	v_pk_add_f32 v[136:137], v[136:137], v[138:139]
	v_cmp_lt_f32_e32 vcc_lo, v136, v137
	v_dual_add_nc_u32 v125, 8, v125 :: v_dual_cndmask_b32 v127, v127, v135, vcc_lo
	v_cndmask_b32_e32 v126, v126, v134, vcc_lo
	v_cndmask_b32_e64 v124, v124, s0, vcc_lo
	s_add_co_i32 s0, s0, 1
	s_delay_alu instid0(SALU_CYCLE_1)
	s_cmp_lg_u32 s18, s0
	s_cbranch_scc1 .LBB116_547
.LBB116_548:
	s_wait_dscnt 0x0
	v_cmp_eq_f32_e32 vcc_lo, 0, v126
	v_cmp_eq_f32_e64 s0, 0, v127
	s_and_b32 s0, vcc_lo, s0
	s_delay_alu instid0(SALU_CYCLE_1) | instskip(NEXT) | instid1(SALU_CYCLE_1)
	s_and_saveexec_b32 s1, s0
	s_xor_b32 s0, exec_lo, s1
; %bb.549:
	v_cmp_ne_u32_e32 vcc_lo, 0, v130
	v_cndmask_b32_e32 v130, 27, v130, vcc_lo
; %bb.550:
	s_and_not1_saveexec_b32 s0, s0
	s_cbranch_execz .LBB116_556
; %bb.551:
	v_cmp_ngt_f32_e64 s1, |v126|, |v127|
	s_and_saveexec_b32 s12, s1
	s_delay_alu instid0(SALU_CYCLE_1)
	s_xor_b32 s1, exec_lo, s12
	s_cbranch_execz .LBB116_553
; %bb.552:
	v_div_scale_f32 v125, null, v127, v127, v126
	v_div_scale_f32 v135, vcc_lo, v126, v127, v126
	s_delay_alu instid0(VALU_DEP_2) | instskip(SKIP_1) | instid1(TRANS32_DEP_1)
	v_rcp_f32_e32 v133, v125
	v_nop
	v_fma_f32 v134, -v125, v133, 1.0
	s_delay_alu instid0(VALU_DEP_1) | instskip(NEXT) | instid1(VALU_DEP_1)
	v_fmac_f32_e32 v133, v134, v133
	v_mul_f32_e32 v134, v135, v133
	s_delay_alu instid0(VALU_DEP_1) | instskip(NEXT) | instid1(VALU_DEP_1)
	v_fma_f32 v136, -v125, v134, v135
	v_fmac_f32_e32 v134, v136, v133
	s_delay_alu instid0(VALU_DEP_1) | instskip(NEXT) | instid1(VALU_DEP_1)
	v_fma_f32 v125, -v125, v134, v135
	v_div_fmas_f32 v125, v125, v133, v134
	s_delay_alu instid0(VALU_DEP_1) | instskip(NEXT) | instid1(VALU_DEP_1)
	v_div_fixup_f32 v125, v125, v127, v126
	v_fmac_f32_e32 v127, v126, v125
	s_delay_alu instid0(VALU_DEP_1) | instskip(SKIP_1) | instid1(VALU_DEP_2)
	v_div_scale_f32 v126, null, v127, v127, 1.0
	v_div_scale_f32 v135, vcc_lo, 1.0, v127, 1.0
	v_rcp_f32_e32 v133, v126
	v_nop
	s_delay_alu instid0(TRANS32_DEP_1) | instskip(NEXT) | instid1(VALU_DEP_1)
	v_fma_f32 v134, -v126, v133, 1.0
	v_fmac_f32_e32 v133, v134, v133
	s_delay_alu instid0(VALU_DEP_1) | instskip(NEXT) | instid1(VALU_DEP_1)
	v_mul_f32_e32 v134, v135, v133
	v_fma_f32 v136, -v126, v134, v135
	s_delay_alu instid0(VALU_DEP_1) | instskip(NEXT) | instid1(VALU_DEP_1)
	v_fmac_f32_e32 v134, v136, v133
	v_fma_f32 v126, -v126, v134, v135
	s_delay_alu instid0(VALU_DEP_1) | instskip(NEXT) | instid1(VALU_DEP_1)
	v_div_fmas_f32 v126, v126, v133, v134
	v_div_fixup_f32 v127, v126, v127, 1.0
	s_delay_alu instid0(VALU_DEP_1)
	v_mul_f32_e32 v126, v125, v127
	v_xor_b32_e32 v127, 0x80000000, v127
.LBB116_553:
	s_and_not1_saveexec_b32 s1, s1
	s_cbranch_execz .LBB116_555
; %bb.554:
	s_delay_alu instid0(VALU_DEP_1) | instskip(SKIP_1) | instid1(VALU_DEP_2)
	v_div_scale_f32 v125, null, v126, v126, v127
	v_div_scale_f32 v135, vcc_lo, v127, v126, v127
	v_rcp_f32_e32 v133, v125
	v_nop
	s_delay_alu instid0(TRANS32_DEP_1) | instskip(NEXT) | instid1(VALU_DEP_1)
	v_fma_f32 v134, -v125, v133, 1.0
	v_fmac_f32_e32 v133, v134, v133
	s_delay_alu instid0(VALU_DEP_1) | instskip(NEXT) | instid1(VALU_DEP_1)
	v_mul_f32_e32 v134, v135, v133
	v_fma_f32 v136, -v125, v134, v135
	s_delay_alu instid0(VALU_DEP_1) | instskip(NEXT) | instid1(VALU_DEP_1)
	v_fmac_f32_e32 v134, v136, v133
	v_fma_f32 v125, -v125, v134, v135
	s_delay_alu instid0(VALU_DEP_1) | instskip(NEXT) | instid1(VALU_DEP_1)
	v_div_fmas_f32 v125, v125, v133, v134
	v_div_fixup_f32 v125, v125, v126, v127
	s_delay_alu instid0(VALU_DEP_1) | instskip(NEXT) | instid1(VALU_DEP_1)
	v_fmac_f32_e32 v126, v127, v125
	v_div_scale_f32 v127, null, v126, v126, 1.0
	s_delay_alu instid0(VALU_DEP_1) | instskip(SKIP_1) | instid1(TRANS32_DEP_1)
	v_rcp_f32_e32 v133, v127
	v_nop
	v_fma_f32 v134, -v127, v133, 1.0
	s_delay_alu instid0(VALU_DEP_1) | instskip(SKIP_1) | instid1(VALU_DEP_1)
	v_fmac_f32_e32 v133, v134, v133
	v_div_scale_f32 v134, vcc_lo, 1.0, v126, 1.0
	v_mul_f32_e32 v135, v134, v133
	s_delay_alu instid0(VALU_DEP_1) | instskip(NEXT) | instid1(VALU_DEP_1)
	v_fma_f32 v136, -v127, v135, v134
	v_fmac_f32_e32 v135, v136, v133
	s_delay_alu instid0(VALU_DEP_1) | instskip(NEXT) | instid1(VALU_DEP_1)
	v_fma_f32 v127, -v127, v135, v134
	v_div_fmas_f32 v127, v127, v133, v135
	s_delay_alu instid0(VALU_DEP_1) | instskip(NEXT) | instid1(VALU_DEP_1)
	v_div_fixup_f32 v126, v127, v126, 1.0
	v_mul_f32_e64 v127, v125, -v126
.LBB116_555:
	s_or_b32 exec_lo, exec_lo, s1
.LBB116_556:
	s_delay_alu instid0(SALU_CYCLE_1) | instskip(NEXT) | instid1(SALU_CYCLE_1)
	s_or_b32 exec_lo, exec_lo, s0
	s_mov_b32 s0, exec_lo
	v_cmpx_ne_u32_e64 v132, v124
	s_xor_b32 s0, exec_lo, s0
	s_cbranch_execz .LBB116_562
; %bb.557:
	s_mov_b32 s1, exec_lo
	v_cmpx_eq_u32_e32 26, v132
	s_cbranch_execz .LBB116_561
; %bb.558:
	v_cmp_ne_u32_e32 vcc_lo, 26, v124
	s_xor_b32 s12, s16, -1
	s_delay_alu instid0(SALU_CYCLE_1) | instskip(NEXT) | instid1(SALU_CYCLE_1)
	s_and_b32 s13, s12, vcc_lo
	s_and_saveexec_b32 s12, s13
	s_cbranch_execz .LBB116_560
; %bb.559:
	v_ashrrev_i32_e32 v125, 31, v124
	s_delay_alu instid0(VALU_DEP_1)
	v_lshl_add_u64 v[132:133], v[124:125], 2, v[4:5]
	s_clause 0x1
	global_load_b32 v125, v[132:133], off
	global_load_b32 v131, v[4:5], off offset:104
	s_wait_loadcnt 0x1
	global_store_b32 v[4:5], v125, off offset:104
	s_wait_loadcnt 0x0
	global_store_b32 v[132:133], v131, off
.LBB116_560:
	s_wait_xcnt 0x0
	s_or_b32 exec_lo, exec_lo, s12
	v_dual_mov_b32 v132, v124 :: v_dual_mov_b32 v131, v124
.LBB116_561:
	s_or_b32 exec_lo, exec_lo, s1
.LBB116_562:
	s_and_not1_saveexec_b32 s0, s0
	s_cbranch_execz .LBB116_564
; %bb.563:
	v_mov_b32_e32 v132, 26
	ds_store_2addr_b64 v128, v[36:37], v[68:69] offset0:27 offset1:28
	ds_store_2addr_b64 v128, v[66:67], v[48:49] offset0:29 offset1:30
	;; [unrolled: 1-line block ×16, first 2 shown]
.LBB116_564:
	s_or_b32 exec_lo, exec_lo, s0
	s_delay_alu instid0(SALU_CYCLE_1)
	s_mov_b32 s0, exec_lo
	s_wait_storecnt_dscnt 0x0
	s_barrier_signal -1
	s_barrier_wait -1
	v_cmpx_lt_i32_e32 26, v132
	s_cbranch_execz .LBB116_566
; %bb.565:
	v_pk_mul_f32 v[134:135], v[126:127], v[38:39] op_sel:[1,1] op_sel_hi:[0,1]
	s_delay_alu instid0(VALU_DEP_1)
	v_pk_fma_f32 v[124:125], v[126:127], v[38:39], v[134:135] op_sel_hi:[1,0,1] neg_lo:[0,0,1] neg_hi:[0,0,1]
	v_pk_fma_f32 v[126:127], v[126:127], v[38:39], v[134:135] op_sel_hi:[1,0,1]
	ds_load_2addr_b64 v[134:137], v128 offset0:27 offset1:28
	v_dual_mov_b32 v38, v124 :: v_dual_mov_b32 v39, v127
	s_wait_dscnt 0x0
	v_pk_mul_f32 v[138:139], v[134:135], v[126:127] op_sel:[0,1]
	s_delay_alu instid0(VALU_DEP_1) | instskip(SKIP_1) | instid1(VALU_DEP_1)
	v_pk_fma_f32 v[140:141], v[134:135], v[124:125], v[138:139] op_sel:[0,0,1] op_sel_hi:[1,1,0] neg_lo:[0,0,1] neg_hi:[0,0,1]
	v_pk_fma_f32 v[134:135], v[134:135], v[124:125], v[138:139] op_sel:[0,0,1] op_sel_hi:[1,0,0]
	v_mov_b32_e32 v141, v135
	v_pk_mul_f32 v[134:135], v[136:137], v[126:127] op_sel:[0,1]
	s_delay_alu instid0(VALU_DEP_1) | instskip(SKIP_1) | instid1(VALU_DEP_1)
	v_pk_fma_f32 v[138:139], v[136:137], v[124:125], v[134:135] op_sel:[0,0,1] op_sel_hi:[1,1,0] neg_lo:[0,0,1] neg_hi:[0,0,1]
	v_pk_fma_f32 v[134:135], v[136:137], v[124:125], v[134:135] op_sel:[0,0,1] op_sel_hi:[1,0,0]
	v_mov_b32_e32 v139, v135
	ds_load_2addr_b64 v[134:137], v128 offset0:29 offset1:30
	v_pk_add_f32 v[36:37], v[36:37], v[140:141] neg_lo:[0,1] neg_hi:[0,1]
	v_pk_add_f32 v[68:69], v[68:69], v[138:139] neg_lo:[0,1] neg_hi:[0,1]
	s_wait_dscnt 0x0
	v_pk_mul_f32 v[138:139], v[134:135], v[126:127] op_sel:[0,1]
	s_delay_alu instid0(VALU_DEP_1) | instskip(SKIP_2) | instid1(VALU_DEP_2)
	v_pk_fma_f32 v[140:141], v[134:135], v[124:125], v[138:139] op_sel:[0,0,1] op_sel_hi:[1,1,0] neg_lo:[0,0,1] neg_hi:[0,0,1]
	v_pk_fma_f32 v[134:135], v[134:135], v[124:125], v[138:139] op_sel:[0,0,1] op_sel_hi:[1,0,0]
	v_dual_mul_f32 v138, v137, v127 :: v_dual_mov_b32 v134, v137
	v_dual_mov_b32 v141, v135 :: v_dual_mov_b32 v135, v136
	s_delay_alu instid0(VALU_DEP_2) | instskip(SKIP_1) | instid1(VALU_DEP_3)
	v_pk_fma_f32 v[138:139], v[136:137], v[38:39], v[138:139] op_sel_hi:[1,1,0] neg_lo:[0,0,1] neg_hi:[0,0,1]
	v_mul_f32_e32 v136, v137, v124
	v_pk_add_f32 v[66:67], v[66:67], v[140:141] neg_lo:[0,1] neg_hi:[0,1]
	s_delay_alu instid0(VALU_DEP_2) | instskip(NEXT) | instid1(VALU_DEP_1)
	v_pk_fma_f32 v[134:135], v[134:135], v[38:39], v[136:137] op_sel_hi:[1,1,0]
	v_mov_b32_e32 v139, v135
	ds_load_2addr_b64 v[134:137], v128 offset0:31 offset1:32
	v_pk_add_f32 v[48:49], v[48:49], v[138:139] neg_lo:[0,1] neg_hi:[0,1]
	s_wait_dscnt 0x0
	v_pk_mul_f32 v[138:139], v[134:135], v[126:127] op_sel:[0,1]
	s_delay_alu instid0(VALU_DEP_1) | instskip(SKIP_1) | instid1(VALU_DEP_1)
	v_pk_fma_f32 v[140:141], v[134:135], v[124:125], v[138:139] op_sel:[0,0,1] op_sel_hi:[1,1,0] neg_lo:[0,0,1] neg_hi:[0,0,1]
	v_pk_fma_f32 v[134:135], v[134:135], v[124:125], v[138:139] op_sel:[0,0,1] op_sel_hi:[1,0,0]
	v_mov_b32_e32 v141, v135
	v_pk_mul_f32 v[134:135], v[136:137], v[126:127] op_sel:[0,1]
	s_delay_alu instid0(VALU_DEP_1) | instskip(SKIP_1) | instid1(VALU_DEP_1)
	v_pk_fma_f32 v[138:139], v[136:137], v[124:125], v[134:135] op_sel:[0,0,1] op_sel_hi:[1,1,0] neg_lo:[0,0,1] neg_hi:[0,0,1]
	v_pk_fma_f32 v[134:135], v[136:137], v[124:125], v[134:135] op_sel:[0,0,1] op_sel_hi:[1,0,0]
	v_mov_b32_e32 v139, v135
	ds_load_2addr_b64 v[134:137], v128 offset0:33 offset1:34
	v_pk_add_f32 v[46:47], v[46:47], v[140:141] neg_lo:[0,1] neg_hi:[0,1]
	v_pk_add_f32 v[78:79], v[78:79], v[138:139] neg_lo:[0,1] neg_hi:[0,1]
	s_wait_dscnt 0x0
	v_pk_mul_f32 v[138:139], v[134:135], v[126:127] op_sel:[0,1]
	s_delay_alu instid0(VALU_DEP_1) | instskip(SKIP_1) | instid1(VALU_DEP_1)
	v_pk_fma_f32 v[140:141], v[134:135], v[124:125], v[138:139] op_sel:[0,0,1] op_sel_hi:[1,1,0] neg_lo:[0,0,1] neg_hi:[0,0,1]
	v_pk_fma_f32 v[134:135], v[134:135], v[124:125], v[138:139] op_sel:[0,0,1] op_sel_hi:[1,0,0]
	v_mov_b32_e32 v141, v135
	v_pk_mul_f32 v[134:135], v[136:137], v[126:127] op_sel:[0,1]
	s_delay_alu instid0(VALU_DEP_1) | instskip(SKIP_1) | instid1(VALU_DEP_1)
	v_pk_fma_f32 v[138:139], v[136:137], v[124:125], v[134:135] op_sel:[0,0,1] op_sel_hi:[1,1,0] neg_lo:[0,0,1] neg_hi:[0,0,1]
	v_pk_fma_f32 v[134:135], v[136:137], v[124:125], v[134:135] op_sel:[0,0,1] op_sel_hi:[1,0,0]
	v_mov_b32_e32 v139, v135
	ds_load_2addr_b64 v[134:137], v128 offset0:35 offset1:36
	v_pk_add_f32 v[76:77], v[76:77], v[140:141] neg_lo:[0,1] neg_hi:[0,1]
	v_pk_add_f32 v[56:57], v[56:57], v[138:139] neg_lo:[0,1] neg_hi:[0,1]
	s_wait_dscnt 0x0
	v_dual_mul_f32 v138, v135, v127 :: v_dual_mul_f32 v140, v135, v124
	s_delay_alu instid0(VALU_DEP_1) | instskip(NEXT) | instid1(VALU_DEP_2)
	v_pk_fma_f32 v[138:139], v[134:135], v[38:39], v[138:139] op_sel_hi:[1,1,0] neg_lo:[0,0,1] neg_hi:[0,0,1]
	v_pk_fma_f32 v[134:135], v[134:135], v[38:39], v[140:141] op_sel:[1,0,0] op_sel_hi:[0,1,0]
	s_delay_alu instid0(VALU_DEP_1) | instskip(SKIP_1) | instid1(VALU_DEP_2)
	v_mov_b32_e32 v139, v135
	v_pk_mul_f32 v[134:135], v[136:137], v[126:127] op_sel:[0,1]
	v_pk_add_f32 v[54:55], v[54:55], v[138:139] neg_lo:[0,1] neg_hi:[0,1]
	s_delay_alu instid0(VALU_DEP_2) | instskip(SKIP_1) | instid1(VALU_DEP_1)
	v_pk_fma_f32 v[138:139], v[136:137], v[124:125], v[134:135] op_sel:[0,0,1] op_sel_hi:[1,1,0] neg_lo:[0,0,1] neg_hi:[0,0,1]
	v_pk_fma_f32 v[134:135], v[136:137], v[124:125], v[134:135] op_sel:[0,0,1] op_sel_hi:[1,0,0]
	v_mov_b32_e32 v139, v135
	ds_load_2addr_b64 v[134:137], v128 offset0:37 offset1:38
	v_pk_add_f32 v[88:89], v[88:89], v[138:139] neg_lo:[0,1] neg_hi:[0,1]
	s_wait_dscnt 0x0
	v_pk_mul_f32 v[138:139], v[134:135], v[126:127] op_sel:[0,1]
	s_delay_alu instid0(VALU_DEP_1) | instskip(SKIP_1) | instid1(VALU_DEP_1)
	v_pk_fma_f32 v[140:141], v[134:135], v[124:125], v[138:139] op_sel:[0,0,1] op_sel_hi:[1,1,0] neg_lo:[0,0,1] neg_hi:[0,0,1]
	v_pk_fma_f32 v[134:135], v[134:135], v[124:125], v[138:139] op_sel:[0,0,1] op_sel_hi:[1,0,0]
	v_mov_b32_e32 v141, v135
	v_pk_mul_f32 v[134:135], v[136:137], v[126:127] op_sel:[0,1]
	s_delay_alu instid0(VALU_DEP_2) | instskip(NEXT) | instid1(VALU_DEP_2)
	v_pk_add_f32 v[86:87], v[86:87], v[140:141] neg_lo:[0,1] neg_hi:[0,1]
	v_pk_fma_f32 v[138:139], v[136:137], v[124:125], v[134:135] op_sel:[0,0,1] op_sel_hi:[1,1,0] neg_lo:[0,0,1] neg_hi:[0,0,1]
	v_pk_fma_f32 v[134:135], v[136:137], v[124:125], v[134:135] op_sel:[0,0,1] op_sel_hi:[1,0,0]
	s_delay_alu instid0(VALU_DEP_1) | instskip(SKIP_4) | instid1(VALU_DEP_1)
	v_mov_b32_e32 v139, v135
	ds_load_2addr_b64 v[134:137], v128 offset0:39 offset1:40
	v_pk_add_f32 v[64:65], v[64:65], v[138:139] neg_lo:[0,1] neg_hi:[0,1]
	s_wait_dscnt 0x0
	v_pk_mul_f32 v[138:139], v[134:135], v[126:127] op_sel:[0,1]
	v_pk_fma_f32 v[140:141], v[134:135], v[124:125], v[138:139] op_sel:[0,0,1] op_sel_hi:[1,1,0] neg_lo:[0,0,1] neg_hi:[0,0,1]
	v_pk_fma_f32 v[134:135], v[134:135], v[124:125], v[138:139] op_sel:[0,0,1] op_sel_hi:[1,0,0]
	v_dual_mul_f32 v138, v137, v127 :: v_dual_mov_b32 v134, v137
	s_delay_alu instid0(VALU_DEP_2) | instskip(NEXT) | instid1(VALU_DEP_2)
	v_dual_mov_b32 v141, v135 :: v_dual_mov_b32 v135, v136
	v_pk_fma_f32 v[138:139], v[136:137], v[38:39], v[138:139] op_sel_hi:[1,1,0] neg_lo:[0,0,1] neg_hi:[0,0,1]
	v_mul_f32_e32 v136, v137, v124
	s_delay_alu instid0(VALU_DEP_3) | instskip(NEXT) | instid1(VALU_DEP_2)
	v_pk_add_f32 v[62:63], v[62:63], v[140:141] neg_lo:[0,1] neg_hi:[0,1]
	v_pk_fma_f32 v[134:135], v[134:135], v[38:39], v[136:137] op_sel_hi:[1,1,0]
	s_delay_alu instid0(VALU_DEP_1) | instskip(SKIP_4) | instid1(VALU_DEP_1)
	v_mov_b32_e32 v139, v135
	ds_load_2addr_b64 v[134:137], v128 offset0:41 offset1:42
	v_pk_add_f32 v[102:103], v[102:103], v[138:139] neg_lo:[0,1] neg_hi:[0,1]
	s_wait_dscnt 0x0
	v_pk_mul_f32 v[138:139], v[134:135], v[126:127] op_sel:[0,1]
	v_pk_fma_f32 v[140:141], v[134:135], v[124:125], v[138:139] op_sel:[0,0,1] op_sel_hi:[1,1,0] neg_lo:[0,0,1] neg_hi:[0,0,1]
	v_pk_fma_f32 v[134:135], v[134:135], v[124:125], v[138:139] op_sel:[0,0,1] op_sel_hi:[1,0,0]
	s_delay_alu instid0(VALU_DEP_1) | instskip(SKIP_1) | instid1(VALU_DEP_1)
	v_mov_b32_e32 v141, v135
	v_pk_mul_f32 v[134:135], v[136:137], v[126:127] op_sel:[0,1]
	v_pk_fma_f32 v[138:139], v[136:137], v[124:125], v[134:135] op_sel:[0,0,1] op_sel_hi:[1,1,0] neg_lo:[0,0,1] neg_hi:[0,0,1]
	v_pk_fma_f32 v[134:135], v[136:137], v[124:125], v[134:135] op_sel:[0,0,1] op_sel_hi:[1,0,0]
	s_delay_alu instid0(VALU_DEP_1)
	v_mov_b32_e32 v139, v135
	ds_load_2addr_b64 v[134:137], v128 offset0:43 offset1:44
	v_pk_add_f32 v[100:101], v[100:101], v[140:141] neg_lo:[0,1] neg_hi:[0,1]
	v_pk_add_f32 v[72:73], v[72:73], v[138:139] neg_lo:[0,1] neg_hi:[0,1]
	s_wait_dscnt 0x0
	v_pk_mul_f32 v[138:139], v[134:135], v[126:127] op_sel:[0,1]
	s_delay_alu instid0(VALU_DEP_1) | instskip(SKIP_1) | instid1(VALU_DEP_1)
	v_pk_fma_f32 v[140:141], v[134:135], v[124:125], v[138:139] op_sel:[0,0,1] op_sel_hi:[1,1,0] neg_lo:[0,0,1] neg_hi:[0,0,1]
	v_pk_fma_f32 v[134:135], v[134:135], v[124:125], v[138:139] op_sel:[0,0,1] op_sel_hi:[1,0,0]
	v_mov_b32_e32 v141, v135
	v_pk_mul_f32 v[134:135], v[136:137], v[126:127] op_sel:[0,1]
	s_delay_alu instid0(VALU_DEP_1) | instskip(SKIP_1) | instid1(VALU_DEP_1)
	v_pk_fma_f32 v[138:139], v[136:137], v[124:125], v[134:135] op_sel:[0,0,1] op_sel_hi:[1,1,0] neg_lo:[0,0,1] neg_hi:[0,0,1]
	v_pk_fma_f32 v[134:135], v[136:137], v[124:125], v[134:135] op_sel:[0,0,1] op_sel_hi:[1,0,0]
	v_mov_b32_e32 v139, v135
	ds_load_2addr_b64 v[134:137], v128 offset0:45 offset1:46
	v_pk_add_f32 v[70:71], v[70:71], v[140:141] neg_lo:[0,1] neg_hi:[0,1]
	v_pk_add_f32 v[110:111], v[110:111], v[138:139] neg_lo:[0,1] neg_hi:[0,1]
	s_wait_dscnt 0x0
	v_dual_mul_f32 v138, v135, v127 :: v_dual_mul_f32 v140, v135, v124
	s_delay_alu instid0(VALU_DEP_1) | instskip(NEXT) | instid1(VALU_DEP_2)
	v_pk_fma_f32 v[138:139], v[134:135], v[38:39], v[138:139] op_sel_hi:[1,1,0] neg_lo:[0,0,1] neg_hi:[0,0,1]
	v_pk_fma_f32 v[134:135], v[134:135], v[38:39], v[140:141] op_sel:[1,0,0] op_sel_hi:[0,1,0]
	s_delay_alu instid0(VALU_DEP_1) | instskip(SKIP_1) | instid1(VALU_DEP_2)
	v_mov_b32_e32 v139, v135
	v_pk_mul_f32 v[134:135], v[136:137], v[126:127] op_sel:[0,1]
	v_pk_add_f32 v[108:109], v[108:109], v[138:139] neg_lo:[0,1] neg_hi:[0,1]
	s_delay_alu instid0(VALU_DEP_2) | instskip(SKIP_1) | instid1(VALU_DEP_1)
	v_pk_fma_f32 v[138:139], v[136:137], v[124:125], v[134:135] op_sel:[0,0,1] op_sel_hi:[1,1,0] neg_lo:[0,0,1] neg_hi:[0,0,1]
	v_pk_fma_f32 v[134:135], v[136:137], v[124:125], v[134:135] op_sel:[0,0,1] op_sel_hi:[1,0,0]
	v_mov_b32_e32 v139, v135
	ds_load_2addr_b64 v[134:137], v128 offset0:47 offset1:48
	v_pk_add_f32 v[82:83], v[82:83], v[138:139] neg_lo:[0,1] neg_hi:[0,1]
	s_wait_dscnt 0x0
	v_pk_mul_f32 v[138:139], v[134:135], v[126:127] op_sel:[0,1]
	s_delay_alu instid0(VALU_DEP_1) | instskip(SKIP_1) | instid1(VALU_DEP_1)
	v_pk_fma_f32 v[140:141], v[134:135], v[124:125], v[138:139] op_sel:[0,0,1] op_sel_hi:[1,1,0] neg_lo:[0,0,1] neg_hi:[0,0,1]
	v_pk_fma_f32 v[134:135], v[134:135], v[124:125], v[138:139] op_sel:[0,0,1] op_sel_hi:[1,0,0]
	v_mov_b32_e32 v141, v135
	v_pk_mul_f32 v[134:135], v[136:137], v[126:127] op_sel:[0,1]
	s_delay_alu instid0(VALU_DEP_2) | instskip(NEXT) | instid1(VALU_DEP_2)
	v_pk_add_f32 v[80:81], v[80:81], v[140:141] neg_lo:[0,1] neg_hi:[0,1]
	v_pk_fma_f32 v[138:139], v[136:137], v[124:125], v[134:135] op_sel:[0,0,1] op_sel_hi:[1,1,0] neg_lo:[0,0,1] neg_hi:[0,0,1]
	v_pk_fma_f32 v[134:135], v[136:137], v[124:125], v[134:135] op_sel:[0,0,1] op_sel_hi:[1,0,0]
	s_delay_alu instid0(VALU_DEP_1) | instskip(SKIP_4) | instid1(VALU_DEP_1)
	v_mov_b32_e32 v139, v135
	ds_load_2addr_b64 v[134:137], v128 offset0:49 offset1:50
	v_pk_add_f32 v[120:121], v[120:121], v[138:139] neg_lo:[0,1] neg_hi:[0,1]
	s_wait_dscnt 0x0
	v_pk_mul_f32 v[138:139], v[134:135], v[126:127] op_sel:[0,1]
	v_pk_fma_f32 v[140:141], v[134:135], v[124:125], v[138:139] op_sel:[0,0,1] op_sel_hi:[1,1,0] neg_lo:[0,0,1] neg_hi:[0,0,1]
	v_pk_fma_f32 v[134:135], v[134:135], v[124:125], v[138:139] op_sel:[0,0,1] op_sel_hi:[1,0,0]
	v_dual_mul_f32 v138, v137, v127 :: v_dual_mov_b32 v134, v137
	s_delay_alu instid0(VALU_DEP_2) | instskip(NEXT) | instid1(VALU_DEP_2)
	v_dual_mov_b32 v141, v135 :: v_dual_mov_b32 v135, v136
	v_pk_fma_f32 v[138:139], v[136:137], v[38:39], v[138:139] op_sel_hi:[1,1,0] neg_lo:[0,0,1] neg_hi:[0,0,1]
	v_mul_f32_e32 v136, v137, v124
	s_delay_alu instid0(VALU_DEP_3) | instskip(NEXT) | instid1(VALU_DEP_2)
	v_pk_add_f32 v[118:119], v[118:119], v[140:141] neg_lo:[0,1] neg_hi:[0,1]
	v_pk_fma_f32 v[134:135], v[134:135], v[38:39], v[136:137] op_sel_hi:[1,1,0]
	s_delay_alu instid0(VALU_DEP_1) | instskip(SKIP_4) | instid1(VALU_DEP_1)
	v_mov_b32_e32 v139, v135
	ds_load_2addr_b64 v[134:137], v128 offset0:51 offset1:52
	v_pk_add_f32 v[94:95], v[94:95], v[138:139] neg_lo:[0,1] neg_hi:[0,1]
	s_wait_dscnt 0x0
	v_pk_mul_f32 v[138:139], v[134:135], v[126:127] op_sel:[0,1]
	v_pk_fma_f32 v[140:141], v[134:135], v[124:125], v[138:139] op_sel:[0,0,1] op_sel_hi:[1,1,0] neg_lo:[0,0,1] neg_hi:[0,0,1]
	v_pk_fma_f32 v[134:135], v[134:135], v[124:125], v[138:139] op_sel:[0,0,1] op_sel_hi:[1,0,0]
	s_delay_alu instid0(VALU_DEP_1) | instskip(SKIP_1) | instid1(VALU_DEP_1)
	v_mov_b32_e32 v141, v135
	v_pk_mul_f32 v[134:135], v[136:137], v[126:127] op_sel:[0,1]
	v_pk_fma_f32 v[138:139], v[136:137], v[124:125], v[134:135] op_sel:[0,0,1] op_sel_hi:[1,1,0] neg_lo:[0,0,1] neg_hi:[0,0,1]
	v_pk_fma_f32 v[134:135], v[136:137], v[124:125], v[134:135] op_sel:[0,0,1] op_sel_hi:[1,0,0]
	s_delay_alu instid0(VALU_DEP_1)
	v_mov_b32_e32 v139, v135
	ds_load_2addr_b64 v[134:137], v128 offset0:53 offset1:54
	v_pk_add_f32 v[96:97], v[96:97], v[140:141] neg_lo:[0,1] neg_hi:[0,1]
	v_pk_add_f32 v[114:115], v[114:115], v[138:139] neg_lo:[0,1] neg_hi:[0,1]
	s_wait_dscnt 0x0
	v_pk_mul_f32 v[138:139], v[134:135], v[126:127] op_sel:[0,1]
	s_delay_alu instid0(VALU_DEP_1) | instskip(SKIP_1) | instid1(VALU_DEP_1)
	v_pk_fma_f32 v[140:141], v[134:135], v[124:125], v[138:139] op_sel:[0,0,1] op_sel_hi:[1,1,0] neg_lo:[0,0,1] neg_hi:[0,0,1]
	v_pk_fma_f32 v[134:135], v[134:135], v[124:125], v[138:139] op_sel:[0,0,1] op_sel_hi:[1,0,0]
	v_mov_b32_e32 v141, v135
	v_pk_mul_f32 v[134:135], v[136:137], v[126:127] op_sel:[0,1]
	s_delay_alu instid0(VALU_DEP_1) | instskip(SKIP_1) | instid1(VALU_DEP_1)
	v_pk_fma_f32 v[138:139], v[136:137], v[124:125], v[134:135] op_sel:[0,0,1] op_sel_hi:[1,1,0] neg_lo:[0,0,1] neg_hi:[0,0,1]
	v_pk_fma_f32 v[134:135], v[136:137], v[124:125], v[134:135] op_sel:[0,0,1] op_sel_hi:[1,0,0]
	v_mov_b32_e32 v139, v135
	ds_load_2addr_b64 v[134:137], v128 offset0:55 offset1:56
	v_pk_add_f32 v[112:113], v[112:113], v[140:141] neg_lo:[0,1] neg_hi:[0,1]
	v_pk_add_f32 v[92:93], v[92:93], v[138:139] neg_lo:[0,1] neg_hi:[0,1]
	s_wait_dscnt 0x0
	v_dual_mul_f32 v138, v135, v127 :: v_dual_mul_f32 v140, v135, v124
	s_delay_alu instid0(VALU_DEP_1) | instskip(NEXT) | instid1(VALU_DEP_2)
	v_pk_fma_f32 v[138:139], v[134:135], v[38:39], v[138:139] op_sel_hi:[1,1,0] neg_lo:[0,0,1] neg_hi:[0,0,1]
	v_pk_fma_f32 v[134:135], v[134:135], v[38:39], v[140:141] op_sel:[1,0,0] op_sel_hi:[0,1,0]
	s_delay_alu instid0(VALU_DEP_1) | instskip(SKIP_1) | instid1(VALU_DEP_2)
	v_mov_b32_e32 v139, v135
	v_pk_mul_f32 v[134:135], v[136:137], v[126:127] op_sel:[0,1]
	v_pk_add_f32 v[90:91], v[90:91], v[138:139] neg_lo:[0,1] neg_hi:[0,1]
	s_delay_alu instid0(VALU_DEP_2) | instskip(SKIP_1) | instid1(VALU_DEP_1)
	v_pk_fma_f32 v[138:139], v[136:137], v[124:125], v[134:135] op_sel:[0,0,1] op_sel_hi:[1,1,0] neg_lo:[0,0,1] neg_hi:[0,0,1]
	v_pk_fma_f32 v[134:135], v[136:137], v[124:125], v[134:135] op_sel:[0,0,1] op_sel_hi:[1,0,0]
	v_mov_b32_e32 v139, v135
	ds_load_2addr_b64 v[134:137], v128 offset0:57 offset1:58
	v_pk_add_f32 v[104:105], v[104:105], v[138:139] neg_lo:[0,1] neg_hi:[0,1]
	s_wait_dscnt 0x0
	v_pk_mul_f32 v[138:139], v[134:135], v[126:127] op_sel:[0,1]
	v_pk_mul_f32 v[126:127], v[136:137], v[126:127] op_sel:[0,1]
	s_delay_alu instid0(VALU_DEP_2) | instskip(SKIP_1) | instid1(VALU_DEP_1)
	v_pk_fma_f32 v[140:141], v[134:135], v[124:125], v[138:139] op_sel:[0,0,1] op_sel_hi:[1,1,0] neg_lo:[0,0,1] neg_hi:[0,0,1]
	v_pk_fma_f32 v[134:135], v[134:135], v[124:125], v[138:139] op_sel:[0,0,1] op_sel_hi:[1,0,0]
	v_mov_b32_e32 v141, v135
	s_delay_alu instid0(VALU_DEP_4) | instskip(SKIP_1) | instid1(VALU_DEP_3)
	v_pk_fma_f32 v[134:135], v[136:137], v[124:125], v[126:127] op_sel:[0,0,1] op_sel_hi:[1,1,0] neg_lo:[0,0,1] neg_hi:[0,0,1]
	v_pk_fma_f32 v[124:125], v[136:137], v[124:125], v[126:127] op_sel:[0,0,1] op_sel_hi:[1,0,0]
	v_pk_add_f32 v[98:99], v[98:99], v[140:141] neg_lo:[0,1] neg_hi:[0,1]
	s_delay_alu instid0(VALU_DEP_2) | instskip(NEXT) | instid1(VALU_DEP_1)
	v_mov_b32_e32 v135, v125
	v_pk_add_f32 v[122:123], v[122:123], v[134:135] neg_lo:[0,1] neg_hi:[0,1]
.LBB116_566:
	s_or_b32 exec_lo, exec_lo, s0
	v_lshl_add_u32 v124, v132, 3, v128
	s_barrier_signal -1
	s_barrier_wait -1
	ds_store_b64 v124, v[36:37]
	s_wait_dscnt 0x0
	s_barrier_signal -1
	s_barrier_wait -1
	ds_load_b64 v[126:127], v128 offset:216
	v_mov_b32_e32 v124, 27
	s_cmp_lt_i32 s18, 29
	s_cbranch_scc1 .LBB116_569
; %bb.567:
	v_add3_u32 v125, v129, 0, 0xe0
	v_mov_b32_e32 v124, 27
	s_mov_b32 s0, 28
.LBB116_568:                            ; =>This Inner Loop Header: Depth=1
	ds_load_b64 v[134:135], v125
	s_wait_dscnt 0x1
	v_cmp_gt_f32_e32 vcc_lo, 0, v126
	v_cndmask_b32_e64 v136, v126, -v126, vcc_lo
	v_cmp_gt_f32_e32 vcc_lo, 0, v127
	v_cndmask_b32_e64 v138, v127, -v127, vcc_lo
	s_wait_dscnt 0x0
	v_cmp_gt_f32_e32 vcc_lo, 0, v134
	v_cndmask_b32_e64 v137, v134, -v134, vcc_lo
	v_cmp_gt_f32_e32 vcc_lo, 0, v135
	v_cndmask_b32_e64 v139, v135, -v135, vcc_lo
	s_delay_alu instid0(VALU_DEP_1) | instskip(NEXT) | instid1(VALU_DEP_1)
	v_pk_add_f32 v[136:137], v[136:137], v[138:139]
	v_cmp_lt_f32_e32 vcc_lo, v136, v137
	v_dual_add_nc_u32 v125, 8, v125 :: v_dual_cndmask_b32 v127, v127, v135, vcc_lo
	v_cndmask_b32_e32 v126, v126, v134, vcc_lo
	v_cndmask_b32_e64 v124, v124, s0, vcc_lo
	s_add_co_i32 s0, s0, 1
	s_delay_alu instid0(SALU_CYCLE_1)
	s_cmp_lg_u32 s18, s0
	s_cbranch_scc1 .LBB116_568
.LBB116_569:
	s_wait_dscnt 0x0
	v_cmp_eq_f32_e32 vcc_lo, 0, v126
	v_cmp_eq_f32_e64 s0, 0, v127
	s_and_b32 s0, vcc_lo, s0
	s_delay_alu instid0(SALU_CYCLE_1) | instskip(NEXT) | instid1(SALU_CYCLE_1)
	s_and_saveexec_b32 s1, s0
	s_xor_b32 s0, exec_lo, s1
; %bb.570:
	v_cmp_ne_u32_e32 vcc_lo, 0, v130
	v_cndmask_b32_e32 v130, 28, v130, vcc_lo
; %bb.571:
	s_and_not1_saveexec_b32 s0, s0
	s_cbranch_execz .LBB116_577
; %bb.572:
	v_cmp_ngt_f32_e64 s1, |v126|, |v127|
	s_and_saveexec_b32 s12, s1
	s_delay_alu instid0(SALU_CYCLE_1)
	s_xor_b32 s1, exec_lo, s12
	s_cbranch_execz .LBB116_574
; %bb.573:
	v_div_scale_f32 v125, null, v127, v127, v126
	v_div_scale_f32 v135, vcc_lo, v126, v127, v126
	s_delay_alu instid0(VALU_DEP_2) | instskip(SKIP_1) | instid1(TRANS32_DEP_1)
	v_rcp_f32_e32 v133, v125
	v_nop
	v_fma_f32 v134, -v125, v133, 1.0
	s_delay_alu instid0(VALU_DEP_1) | instskip(NEXT) | instid1(VALU_DEP_1)
	v_fmac_f32_e32 v133, v134, v133
	v_mul_f32_e32 v134, v135, v133
	s_delay_alu instid0(VALU_DEP_1) | instskip(NEXT) | instid1(VALU_DEP_1)
	v_fma_f32 v136, -v125, v134, v135
	v_fmac_f32_e32 v134, v136, v133
	s_delay_alu instid0(VALU_DEP_1) | instskip(NEXT) | instid1(VALU_DEP_1)
	v_fma_f32 v125, -v125, v134, v135
	v_div_fmas_f32 v125, v125, v133, v134
	s_delay_alu instid0(VALU_DEP_1) | instskip(NEXT) | instid1(VALU_DEP_1)
	v_div_fixup_f32 v125, v125, v127, v126
	v_fmac_f32_e32 v127, v126, v125
	s_delay_alu instid0(VALU_DEP_1) | instskip(SKIP_1) | instid1(VALU_DEP_2)
	v_div_scale_f32 v126, null, v127, v127, 1.0
	v_div_scale_f32 v135, vcc_lo, 1.0, v127, 1.0
	v_rcp_f32_e32 v133, v126
	v_nop
	s_delay_alu instid0(TRANS32_DEP_1) | instskip(NEXT) | instid1(VALU_DEP_1)
	v_fma_f32 v134, -v126, v133, 1.0
	v_fmac_f32_e32 v133, v134, v133
	s_delay_alu instid0(VALU_DEP_1) | instskip(NEXT) | instid1(VALU_DEP_1)
	v_mul_f32_e32 v134, v135, v133
	v_fma_f32 v136, -v126, v134, v135
	s_delay_alu instid0(VALU_DEP_1) | instskip(NEXT) | instid1(VALU_DEP_1)
	v_fmac_f32_e32 v134, v136, v133
	v_fma_f32 v126, -v126, v134, v135
	s_delay_alu instid0(VALU_DEP_1) | instskip(NEXT) | instid1(VALU_DEP_1)
	v_div_fmas_f32 v126, v126, v133, v134
	v_div_fixup_f32 v127, v126, v127, 1.0
	s_delay_alu instid0(VALU_DEP_1)
	v_mul_f32_e32 v126, v125, v127
	v_xor_b32_e32 v127, 0x80000000, v127
.LBB116_574:
	s_and_not1_saveexec_b32 s1, s1
	s_cbranch_execz .LBB116_576
; %bb.575:
	s_delay_alu instid0(VALU_DEP_1) | instskip(SKIP_1) | instid1(VALU_DEP_2)
	v_div_scale_f32 v125, null, v126, v126, v127
	v_div_scale_f32 v135, vcc_lo, v127, v126, v127
	v_rcp_f32_e32 v133, v125
	v_nop
	s_delay_alu instid0(TRANS32_DEP_1) | instskip(NEXT) | instid1(VALU_DEP_1)
	v_fma_f32 v134, -v125, v133, 1.0
	v_fmac_f32_e32 v133, v134, v133
	s_delay_alu instid0(VALU_DEP_1) | instskip(NEXT) | instid1(VALU_DEP_1)
	v_mul_f32_e32 v134, v135, v133
	v_fma_f32 v136, -v125, v134, v135
	s_delay_alu instid0(VALU_DEP_1) | instskip(NEXT) | instid1(VALU_DEP_1)
	v_fmac_f32_e32 v134, v136, v133
	v_fma_f32 v125, -v125, v134, v135
	s_delay_alu instid0(VALU_DEP_1) | instskip(NEXT) | instid1(VALU_DEP_1)
	v_div_fmas_f32 v125, v125, v133, v134
	v_div_fixup_f32 v125, v125, v126, v127
	s_delay_alu instid0(VALU_DEP_1) | instskip(NEXT) | instid1(VALU_DEP_1)
	v_fmac_f32_e32 v126, v127, v125
	v_div_scale_f32 v127, null, v126, v126, 1.0
	s_delay_alu instid0(VALU_DEP_1) | instskip(SKIP_1) | instid1(TRANS32_DEP_1)
	v_rcp_f32_e32 v133, v127
	v_nop
	v_fma_f32 v134, -v127, v133, 1.0
	s_delay_alu instid0(VALU_DEP_1) | instskip(SKIP_1) | instid1(VALU_DEP_1)
	v_fmac_f32_e32 v133, v134, v133
	v_div_scale_f32 v134, vcc_lo, 1.0, v126, 1.0
	v_mul_f32_e32 v135, v134, v133
	s_delay_alu instid0(VALU_DEP_1) | instskip(NEXT) | instid1(VALU_DEP_1)
	v_fma_f32 v136, -v127, v135, v134
	v_fmac_f32_e32 v135, v136, v133
	s_delay_alu instid0(VALU_DEP_1) | instskip(NEXT) | instid1(VALU_DEP_1)
	v_fma_f32 v127, -v127, v135, v134
	v_div_fmas_f32 v127, v127, v133, v135
	s_delay_alu instid0(VALU_DEP_1) | instskip(NEXT) | instid1(VALU_DEP_1)
	v_div_fixup_f32 v126, v127, v126, 1.0
	v_mul_f32_e64 v127, v125, -v126
.LBB116_576:
	s_or_b32 exec_lo, exec_lo, s1
.LBB116_577:
	s_delay_alu instid0(SALU_CYCLE_1) | instskip(NEXT) | instid1(SALU_CYCLE_1)
	s_or_b32 exec_lo, exec_lo, s0
	s_mov_b32 s0, exec_lo
	v_cmpx_ne_u32_e64 v132, v124
	s_xor_b32 s0, exec_lo, s0
	s_cbranch_execz .LBB116_583
; %bb.578:
	s_mov_b32 s1, exec_lo
	v_cmpx_eq_u32_e32 27, v132
	s_cbranch_execz .LBB116_582
; %bb.579:
	v_cmp_ne_u32_e32 vcc_lo, 27, v124
	s_xor_b32 s12, s16, -1
	s_delay_alu instid0(SALU_CYCLE_1) | instskip(NEXT) | instid1(SALU_CYCLE_1)
	s_and_b32 s13, s12, vcc_lo
	s_and_saveexec_b32 s12, s13
	s_cbranch_execz .LBB116_581
; %bb.580:
	v_ashrrev_i32_e32 v125, 31, v124
	s_delay_alu instid0(VALU_DEP_1)
	v_lshl_add_u64 v[132:133], v[124:125], 2, v[4:5]
	s_clause 0x1
	global_load_b32 v125, v[132:133], off
	global_load_b32 v131, v[4:5], off offset:108
	s_wait_loadcnt 0x1
	global_store_b32 v[4:5], v125, off offset:108
	s_wait_loadcnt 0x0
	global_store_b32 v[132:133], v131, off
.LBB116_581:
	s_wait_xcnt 0x0
	s_or_b32 exec_lo, exec_lo, s12
	v_dual_mov_b32 v132, v124 :: v_dual_mov_b32 v131, v124
.LBB116_582:
	s_or_b32 exec_lo, exec_lo, s1
.LBB116_583:
	s_and_not1_saveexec_b32 s0, s0
	s_cbranch_execz .LBB116_585
; %bb.584:
	v_dual_mov_b32 v124, v68 :: v_dual_mov_b32 v125, v69
	v_dual_mov_b32 v132, v66 :: v_dual_mov_b32 v133, v67
	ds_store_2addr_b64 v128, v[124:125], v[132:133] offset0:28 offset1:29
	v_dual_mov_b32 v124, v48 :: v_dual_mov_b32 v125, v49
	v_dual_mov_b32 v132, v46 :: v_dual_mov_b32 v133, v47
	ds_store_2addr_b64 v128, v[124:125], v[132:133] offset0:30 offset1:31
	;; [unrolled: 3-line block ×15, first 2 shown]
	ds_store_b64 v128, v[122:123] offset:464
	v_mov_b32_e32 v132, 27
.LBB116_585:
	s_or_b32 exec_lo, exec_lo, s0
	s_delay_alu instid0(SALU_CYCLE_1)
	s_mov_b32 s0, exec_lo
	s_wait_storecnt_dscnt 0x0
	s_barrier_signal -1
	s_barrier_wait -1
	v_cmpx_lt_i32_e32 27, v132
	s_cbranch_execz .LBB116_587
; %bb.586:
	v_pk_mul_f32 v[134:135], v[126:127], v[36:37] op_sel:[1,1] op_sel_hi:[0,1]
	s_delay_alu instid0(VALU_DEP_1)
	v_pk_fma_f32 v[124:125], v[126:127], v[36:37], v[134:135] op_sel_hi:[1,0,1] neg_lo:[0,0,1] neg_hi:[0,0,1]
	v_pk_fma_f32 v[126:127], v[126:127], v[36:37], v[134:135] op_sel_hi:[1,0,1]
	ds_load_2addr_b64 v[134:137], v128 offset0:28 offset1:29
	v_dual_mov_b32 v36, v124 :: v_dual_mov_b32 v37, v127
	s_wait_dscnt 0x0
	v_pk_mul_f32 v[138:139], v[134:135], v[126:127] op_sel:[0,1]
	s_delay_alu instid0(VALU_DEP_1) | instskip(SKIP_1) | instid1(VALU_DEP_1)
	v_pk_fma_f32 v[140:141], v[134:135], v[124:125], v[138:139] op_sel:[0,0,1] op_sel_hi:[1,1,0] neg_lo:[0,0,1] neg_hi:[0,0,1]
	v_pk_fma_f32 v[134:135], v[134:135], v[124:125], v[138:139] op_sel:[0,0,1] op_sel_hi:[1,0,0]
	v_mov_b32_e32 v141, v135
	v_pk_mul_f32 v[134:135], v[136:137], v[126:127] op_sel:[0,1]
	s_delay_alu instid0(VALU_DEP_1) | instskip(SKIP_1) | instid1(VALU_DEP_1)
	v_pk_fma_f32 v[138:139], v[136:137], v[124:125], v[134:135] op_sel:[0,0,1] op_sel_hi:[1,1,0] neg_lo:[0,0,1] neg_hi:[0,0,1]
	v_pk_fma_f32 v[134:135], v[136:137], v[124:125], v[134:135] op_sel:[0,0,1] op_sel_hi:[1,0,0]
	v_mov_b32_e32 v139, v135
	ds_load_2addr_b64 v[134:137], v128 offset0:30 offset1:31
	v_pk_add_f32 v[68:69], v[68:69], v[140:141] neg_lo:[0,1] neg_hi:[0,1]
	v_pk_add_f32 v[66:67], v[66:67], v[138:139] neg_lo:[0,1] neg_hi:[0,1]
	s_wait_dscnt 0x0
	v_pk_mul_f32 v[138:139], v[134:135], v[126:127] op_sel:[0,1]
	s_delay_alu instid0(VALU_DEP_1) | instskip(SKIP_2) | instid1(VALU_DEP_2)
	v_pk_fma_f32 v[140:141], v[134:135], v[124:125], v[138:139] op_sel:[0,0,1] op_sel_hi:[1,1,0] neg_lo:[0,0,1] neg_hi:[0,0,1]
	v_pk_fma_f32 v[134:135], v[134:135], v[124:125], v[138:139] op_sel:[0,0,1] op_sel_hi:[1,0,0]
	v_dual_mul_f32 v138, v137, v127 :: v_dual_mov_b32 v134, v137
	v_dual_mov_b32 v141, v135 :: v_dual_mov_b32 v135, v136
	s_delay_alu instid0(VALU_DEP_2) | instskip(SKIP_1) | instid1(VALU_DEP_3)
	v_pk_fma_f32 v[138:139], v[136:137], v[36:37], v[138:139] op_sel_hi:[1,1,0] neg_lo:[0,0,1] neg_hi:[0,0,1]
	v_mul_f32_e32 v136, v137, v124
	v_pk_add_f32 v[48:49], v[48:49], v[140:141] neg_lo:[0,1] neg_hi:[0,1]
	s_delay_alu instid0(VALU_DEP_2) | instskip(NEXT) | instid1(VALU_DEP_1)
	v_pk_fma_f32 v[134:135], v[134:135], v[36:37], v[136:137] op_sel_hi:[1,1,0]
	v_mov_b32_e32 v139, v135
	ds_load_2addr_b64 v[134:137], v128 offset0:32 offset1:33
	v_pk_add_f32 v[46:47], v[46:47], v[138:139] neg_lo:[0,1] neg_hi:[0,1]
	s_wait_dscnt 0x0
	v_pk_mul_f32 v[138:139], v[134:135], v[126:127] op_sel:[0,1]
	s_delay_alu instid0(VALU_DEP_1) | instskip(SKIP_1) | instid1(VALU_DEP_1)
	v_pk_fma_f32 v[140:141], v[134:135], v[124:125], v[138:139] op_sel:[0,0,1] op_sel_hi:[1,1,0] neg_lo:[0,0,1] neg_hi:[0,0,1]
	v_pk_fma_f32 v[134:135], v[134:135], v[124:125], v[138:139] op_sel:[0,0,1] op_sel_hi:[1,0,0]
	v_mov_b32_e32 v141, v135
	v_pk_mul_f32 v[134:135], v[136:137], v[126:127] op_sel:[0,1]
	s_delay_alu instid0(VALU_DEP_1) | instskip(SKIP_1) | instid1(VALU_DEP_1)
	v_pk_fma_f32 v[138:139], v[136:137], v[124:125], v[134:135] op_sel:[0,0,1] op_sel_hi:[1,1,0] neg_lo:[0,0,1] neg_hi:[0,0,1]
	v_pk_fma_f32 v[134:135], v[136:137], v[124:125], v[134:135] op_sel:[0,0,1] op_sel_hi:[1,0,0]
	v_mov_b32_e32 v139, v135
	ds_load_2addr_b64 v[134:137], v128 offset0:34 offset1:35
	v_pk_add_f32 v[78:79], v[78:79], v[140:141] neg_lo:[0,1] neg_hi:[0,1]
	v_pk_add_f32 v[76:77], v[76:77], v[138:139] neg_lo:[0,1] neg_hi:[0,1]
	s_wait_dscnt 0x0
	v_pk_mul_f32 v[138:139], v[134:135], v[126:127] op_sel:[0,1]
	s_delay_alu instid0(VALU_DEP_1) | instskip(SKIP_1) | instid1(VALU_DEP_1)
	v_pk_fma_f32 v[140:141], v[134:135], v[124:125], v[138:139] op_sel:[0,0,1] op_sel_hi:[1,1,0] neg_lo:[0,0,1] neg_hi:[0,0,1]
	v_pk_fma_f32 v[134:135], v[134:135], v[124:125], v[138:139] op_sel:[0,0,1] op_sel_hi:[1,0,0]
	v_mov_b32_e32 v141, v135
	v_pk_mul_f32 v[134:135], v[136:137], v[126:127] op_sel:[0,1]
	s_delay_alu instid0(VALU_DEP_1) | instskip(SKIP_1) | instid1(VALU_DEP_1)
	v_pk_fma_f32 v[138:139], v[136:137], v[124:125], v[134:135] op_sel:[0,0,1] op_sel_hi:[1,1,0] neg_lo:[0,0,1] neg_hi:[0,0,1]
	v_pk_fma_f32 v[134:135], v[136:137], v[124:125], v[134:135] op_sel:[0,0,1] op_sel_hi:[1,0,0]
	v_mov_b32_e32 v139, v135
	ds_load_2addr_b64 v[134:137], v128 offset0:36 offset1:37
	v_pk_add_f32 v[56:57], v[56:57], v[140:141] neg_lo:[0,1] neg_hi:[0,1]
	v_pk_add_f32 v[54:55], v[54:55], v[138:139] neg_lo:[0,1] neg_hi:[0,1]
	s_wait_dscnt 0x0
	v_dual_mul_f32 v138, v135, v127 :: v_dual_mul_f32 v140, v135, v124
	s_delay_alu instid0(VALU_DEP_1) | instskip(NEXT) | instid1(VALU_DEP_2)
	v_pk_fma_f32 v[138:139], v[134:135], v[36:37], v[138:139] op_sel_hi:[1,1,0] neg_lo:[0,0,1] neg_hi:[0,0,1]
	v_pk_fma_f32 v[134:135], v[134:135], v[36:37], v[140:141] op_sel:[1,0,0] op_sel_hi:[0,1,0]
	s_delay_alu instid0(VALU_DEP_1) | instskip(SKIP_1) | instid1(VALU_DEP_2)
	v_mov_b32_e32 v139, v135
	v_pk_mul_f32 v[134:135], v[136:137], v[126:127] op_sel:[0,1]
	v_pk_add_f32 v[88:89], v[88:89], v[138:139] neg_lo:[0,1] neg_hi:[0,1]
	s_delay_alu instid0(VALU_DEP_2) | instskip(SKIP_1) | instid1(VALU_DEP_1)
	v_pk_fma_f32 v[138:139], v[136:137], v[124:125], v[134:135] op_sel:[0,0,1] op_sel_hi:[1,1,0] neg_lo:[0,0,1] neg_hi:[0,0,1]
	v_pk_fma_f32 v[134:135], v[136:137], v[124:125], v[134:135] op_sel:[0,0,1] op_sel_hi:[1,0,0]
	v_mov_b32_e32 v139, v135
	ds_load_2addr_b64 v[134:137], v128 offset0:38 offset1:39
	v_pk_add_f32 v[86:87], v[86:87], v[138:139] neg_lo:[0,1] neg_hi:[0,1]
	s_wait_dscnt 0x0
	v_pk_mul_f32 v[138:139], v[134:135], v[126:127] op_sel:[0,1]
	s_delay_alu instid0(VALU_DEP_1) | instskip(SKIP_1) | instid1(VALU_DEP_1)
	v_pk_fma_f32 v[140:141], v[134:135], v[124:125], v[138:139] op_sel:[0,0,1] op_sel_hi:[1,1,0] neg_lo:[0,0,1] neg_hi:[0,0,1]
	v_pk_fma_f32 v[134:135], v[134:135], v[124:125], v[138:139] op_sel:[0,0,1] op_sel_hi:[1,0,0]
	v_mov_b32_e32 v141, v135
	v_pk_mul_f32 v[134:135], v[136:137], v[126:127] op_sel:[0,1]
	s_delay_alu instid0(VALU_DEP_2) | instskip(NEXT) | instid1(VALU_DEP_2)
	v_pk_add_f32 v[64:65], v[64:65], v[140:141] neg_lo:[0,1] neg_hi:[0,1]
	v_pk_fma_f32 v[138:139], v[136:137], v[124:125], v[134:135] op_sel:[0,0,1] op_sel_hi:[1,1,0] neg_lo:[0,0,1] neg_hi:[0,0,1]
	v_pk_fma_f32 v[134:135], v[136:137], v[124:125], v[134:135] op_sel:[0,0,1] op_sel_hi:[1,0,0]
	s_delay_alu instid0(VALU_DEP_1) | instskip(SKIP_4) | instid1(VALU_DEP_1)
	v_mov_b32_e32 v139, v135
	ds_load_2addr_b64 v[134:137], v128 offset0:40 offset1:41
	v_pk_add_f32 v[62:63], v[62:63], v[138:139] neg_lo:[0,1] neg_hi:[0,1]
	s_wait_dscnt 0x0
	v_pk_mul_f32 v[138:139], v[134:135], v[126:127] op_sel:[0,1]
	v_pk_fma_f32 v[140:141], v[134:135], v[124:125], v[138:139] op_sel:[0,0,1] op_sel_hi:[1,1,0] neg_lo:[0,0,1] neg_hi:[0,0,1]
	v_pk_fma_f32 v[134:135], v[134:135], v[124:125], v[138:139] op_sel:[0,0,1] op_sel_hi:[1,0,0]
	v_dual_mul_f32 v138, v137, v127 :: v_dual_mov_b32 v134, v137
	s_delay_alu instid0(VALU_DEP_2) | instskip(NEXT) | instid1(VALU_DEP_2)
	v_dual_mov_b32 v141, v135 :: v_dual_mov_b32 v135, v136
	v_pk_fma_f32 v[138:139], v[136:137], v[36:37], v[138:139] op_sel_hi:[1,1,0] neg_lo:[0,0,1] neg_hi:[0,0,1]
	v_mul_f32_e32 v136, v137, v124
	s_delay_alu instid0(VALU_DEP_3) | instskip(NEXT) | instid1(VALU_DEP_2)
	v_pk_add_f32 v[102:103], v[102:103], v[140:141] neg_lo:[0,1] neg_hi:[0,1]
	v_pk_fma_f32 v[134:135], v[134:135], v[36:37], v[136:137] op_sel_hi:[1,1,0]
	s_delay_alu instid0(VALU_DEP_1) | instskip(SKIP_4) | instid1(VALU_DEP_1)
	v_mov_b32_e32 v139, v135
	ds_load_2addr_b64 v[134:137], v128 offset0:42 offset1:43
	v_pk_add_f32 v[100:101], v[100:101], v[138:139] neg_lo:[0,1] neg_hi:[0,1]
	s_wait_dscnt 0x0
	v_pk_mul_f32 v[138:139], v[134:135], v[126:127] op_sel:[0,1]
	v_pk_fma_f32 v[140:141], v[134:135], v[124:125], v[138:139] op_sel:[0,0,1] op_sel_hi:[1,1,0] neg_lo:[0,0,1] neg_hi:[0,0,1]
	v_pk_fma_f32 v[134:135], v[134:135], v[124:125], v[138:139] op_sel:[0,0,1] op_sel_hi:[1,0,0]
	s_delay_alu instid0(VALU_DEP_1) | instskip(SKIP_1) | instid1(VALU_DEP_1)
	v_mov_b32_e32 v141, v135
	v_pk_mul_f32 v[134:135], v[136:137], v[126:127] op_sel:[0,1]
	v_pk_fma_f32 v[138:139], v[136:137], v[124:125], v[134:135] op_sel:[0,0,1] op_sel_hi:[1,1,0] neg_lo:[0,0,1] neg_hi:[0,0,1]
	v_pk_fma_f32 v[134:135], v[136:137], v[124:125], v[134:135] op_sel:[0,0,1] op_sel_hi:[1,0,0]
	s_delay_alu instid0(VALU_DEP_1)
	v_mov_b32_e32 v139, v135
	ds_load_2addr_b64 v[134:137], v128 offset0:44 offset1:45
	v_pk_add_f32 v[72:73], v[72:73], v[140:141] neg_lo:[0,1] neg_hi:[0,1]
	v_pk_add_f32 v[70:71], v[70:71], v[138:139] neg_lo:[0,1] neg_hi:[0,1]
	s_wait_dscnt 0x0
	v_pk_mul_f32 v[138:139], v[134:135], v[126:127] op_sel:[0,1]
	s_delay_alu instid0(VALU_DEP_1) | instskip(SKIP_1) | instid1(VALU_DEP_1)
	v_pk_fma_f32 v[140:141], v[134:135], v[124:125], v[138:139] op_sel:[0,0,1] op_sel_hi:[1,1,0] neg_lo:[0,0,1] neg_hi:[0,0,1]
	v_pk_fma_f32 v[134:135], v[134:135], v[124:125], v[138:139] op_sel:[0,0,1] op_sel_hi:[1,0,0]
	v_mov_b32_e32 v141, v135
	v_pk_mul_f32 v[134:135], v[136:137], v[126:127] op_sel:[0,1]
	s_delay_alu instid0(VALU_DEP_1) | instskip(SKIP_1) | instid1(VALU_DEP_1)
	v_pk_fma_f32 v[138:139], v[136:137], v[124:125], v[134:135] op_sel:[0,0,1] op_sel_hi:[1,1,0] neg_lo:[0,0,1] neg_hi:[0,0,1]
	v_pk_fma_f32 v[134:135], v[136:137], v[124:125], v[134:135] op_sel:[0,0,1] op_sel_hi:[1,0,0]
	v_mov_b32_e32 v139, v135
	ds_load_2addr_b64 v[134:137], v128 offset0:46 offset1:47
	v_pk_add_f32 v[110:111], v[110:111], v[140:141] neg_lo:[0,1] neg_hi:[0,1]
	v_pk_add_f32 v[108:109], v[108:109], v[138:139] neg_lo:[0,1] neg_hi:[0,1]
	s_wait_dscnt 0x0
	v_dual_mul_f32 v138, v135, v127 :: v_dual_mul_f32 v140, v135, v124
	s_delay_alu instid0(VALU_DEP_1) | instskip(NEXT) | instid1(VALU_DEP_2)
	v_pk_fma_f32 v[138:139], v[134:135], v[36:37], v[138:139] op_sel_hi:[1,1,0] neg_lo:[0,0,1] neg_hi:[0,0,1]
	v_pk_fma_f32 v[134:135], v[134:135], v[36:37], v[140:141] op_sel:[1,0,0] op_sel_hi:[0,1,0]
	s_delay_alu instid0(VALU_DEP_1) | instskip(SKIP_1) | instid1(VALU_DEP_2)
	v_mov_b32_e32 v139, v135
	v_pk_mul_f32 v[134:135], v[136:137], v[126:127] op_sel:[0,1]
	v_pk_add_f32 v[82:83], v[82:83], v[138:139] neg_lo:[0,1] neg_hi:[0,1]
	s_delay_alu instid0(VALU_DEP_2) | instskip(SKIP_1) | instid1(VALU_DEP_1)
	v_pk_fma_f32 v[138:139], v[136:137], v[124:125], v[134:135] op_sel:[0,0,1] op_sel_hi:[1,1,0] neg_lo:[0,0,1] neg_hi:[0,0,1]
	v_pk_fma_f32 v[134:135], v[136:137], v[124:125], v[134:135] op_sel:[0,0,1] op_sel_hi:[1,0,0]
	v_mov_b32_e32 v139, v135
	ds_load_2addr_b64 v[134:137], v128 offset0:48 offset1:49
	v_pk_add_f32 v[80:81], v[80:81], v[138:139] neg_lo:[0,1] neg_hi:[0,1]
	s_wait_dscnt 0x0
	v_pk_mul_f32 v[138:139], v[134:135], v[126:127] op_sel:[0,1]
	s_delay_alu instid0(VALU_DEP_1) | instskip(SKIP_1) | instid1(VALU_DEP_1)
	v_pk_fma_f32 v[140:141], v[134:135], v[124:125], v[138:139] op_sel:[0,0,1] op_sel_hi:[1,1,0] neg_lo:[0,0,1] neg_hi:[0,0,1]
	v_pk_fma_f32 v[134:135], v[134:135], v[124:125], v[138:139] op_sel:[0,0,1] op_sel_hi:[1,0,0]
	v_mov_b32_e32 v141, v135
	v_pk_mul_f32 v[134:135], v[136:137], v[126:127] op_sel:[0,1]
	s_delay_alu instid0(VALU_DEP_2) | instskip(NEXT) | instid1(VALU_DEP_2)
	v_pk_add_f32 v[120:121], v[120:121], v[140:141] neg_lo:[0,1] neg_hi:[0,1]
	v_pk_fma_f32 v[138:139], v[136:137], v[124:125], v[134:135] op_sel:[0,0,1] op_sel_hi:[1,1,0] neg_lo:[0,0,1] neg_hi:[0,0,1]
	v_pk_fma_f32 v[134:135], v[136:137], v[124:125], v[134:135] op_sel:[0,0,1] op_sel_hi:[1,0,0]
	s_delay_alu instid0(VALU_DEP_1) | instskip(SKIP_4) | instid1(VALU_DEP_1)
	v_mov_b32_e32 v139, v135
	ds_load_2addr_b64 v[134:137], v128 offset0:50 offset1:51
	v_pk_add_f32 v[118:119], v[118:119], v[138:139] neg_lo:[0,1] neg_hi:[0,1]
	s_wait_dscnt 0x0
	v_pk_mul_f32 v[138:139], v[134:135], v[126:127] op_sel:[0,1]
	v_pk_fma_f32 v[140:141], v[134:135], v[124:125], v[138:139] op_sel:[0,0,1] op_sel_hi:[1,1,0] neg_lo:[0,0,1] neg_hi:[0,0,1]
	v_pk_fma_f32 v[134:135], v[134:135], v[124:125], v[138:139] op_sel:[0,0,1] op_sel_hi:[1,0,0]
	v_dual_mul_f32 v138, v137, v127 :: v_dual_mov_b32 v134, v137
	s_delay_alu instid0(VALU_DEP_2) | instskip(NEXT) | instid1(VALU_DEP_2)
	v_dual_mov_b32 v141, v135 :: v_dual_mov_b32 v135, v136
	v_pk_fma_f32 v[138:139], v[136:137], v[36:37], v[138:139] op_sel_hi:[1,1,0] neg_lo:[0,0,1] neg_hi:[0,0,1]
	v_mul_f32_e32 v136, v137, v124
	s_delay_alu instid0(VALU_DEP_3) | instskip(NEXT) | instid1(VALU_DEP_2)
	v_pk_add_f32 v[94:95], v[94:95], v[140:141] neg_lo:[0,1] neg_hi:[0,1]
	v_pk_fma_f32 v[134:135], v[134:135], v[36:37], v[136:137] op_sel_hi:[1,1,0]
	s_delay_alu instid0(VALU_DEP_1) | instskip(SKIP_4) | instid1(VALU_DEP_1)
	v_mov_b32_e32 v139, v135
	ds_load_2addr_b64 v[134:137], v128 offset0:52 offset1:53
	v_pk_add_f32 v[96:97], v[96:97], v[138:139] neg_lo:[0,1] neg_hi:[0,1]
	s_wait_dscnt 0x0
	v_pk_mul_f32 v[138:139], v[134:135], v[126:127] op_sel:[0,1]
	v_pk_fma_f32 v[140:141], v[134:135], v[124:125], v[138:139] op_sel:[0,0,1] op_sel_hi:[1,1,0] neg_lo:[0,0,1] neg_hi:[0,0,1]
	v_pk_fma_f32 v[134:135], v[134:135], v[124:125], v[138:139] op_sel:[0,0,1] op_sel_hi:[1,0,0]
	s_delay_alu instid0(VALU_DEP_1) | instskip(SKIP_1) | instid1(VALU_DEP_1)
	v_mov_b32_e32 v141, v135
	v_pk_mul_f32 v[134:135], v[136:137], v[126:127] op_sel:[0,1]
	v_pk_fma_f32 v[138:139], v[136:137], v[124:125], v[134:135] op_sel:[0,0,1] op_sel_hi:[1,1,0] neg_lo:[0,0,1] neg_hi:[0,0,1]
	v_pk_fma_f32 v[134:135], v[136:137], v[124:125], v[134:135] op_sel:[0,0,1] op_sel_hi:[1,0,0]
	s_delay_alu instid0(VALU_DEP_1)
	v_mov_b32_e32 v139, v135
	ds_load_2addr_b64 v[134:137], v128 offset0:54 offset1:55
	v_pk_add_f32 v[114:115], v[114:115], v[140:141] neg_lo:[0,1] neg_hi:[0,1]
	v_pk_add_f32 v[112:113], v[112:113], v[138:139] neg_lo:[0,1] neg_hi:[0,1]
	s_wait_dscnt 0x0
	v_pk_mul_f32 v[138:139], v[134:135], v[126:127] op_sel:[0,1]
	s_delay_alu instid0(VALU_DEP_1) | instskip(SKIP_1) | instid1(VALU_DEP_1)
	v_pk_fma_f32 v[140:141], v[134:135], v[124:125], v[138:139] op_sel:[0,0,1] op_sel_hi:[1,1,0] neg_lo:[0,0,1] neg_hi:[0,0,1]
	v_pk_fma_f32 v[134:135], v[134:135], v[124:125], v[138:139] op_sel:[0,0,1] op_sel_hi:[1,0,0]
	v_mov_b32_e32 v141, v135
	v_pk_mul_f32 v[134:135], v[136:137], v[126:127] op_sel:[0,1]
	s_delay_alu instid0(VALU_DEP_1) | instskip(SKIP_1) | instid1(VALU_DEP_1)
	v_pk_fma_f32 v[138:139], v[136:137], v[124:125], v[134:135] op_sel:[0,0,1] op_sel_hi:[1,1,0] neg_lo:[0,0,1] neg_hi:[0,0,1]
	v_pk_fma_f32 v[134:135], v[136:137], v[124:125], v[134:135] op_sel:[0,0,1] op_sel_hi:[1,0,0]
	v_mov_b32_e32 v139, v135
	ds_load_2addr_b64 v[134:137], v128 offset0:56 offset1:57
	v_pk_add_f32 v[92:93], v[92:93], v[140:141] neg_lo:[0,1] neg_hi:[0,1]
	v_pk_add_f32 v[90:91], v[90:91], v[138:139] neg_lo:[0,1] neg_hi:[0,1]
	s_wait_dscnt 0x0
	v_dual_mul_f32 v138, v135, v127 :: v_dual_mul_f32 v140, v135, v124
	s_delay_alu instid0(VALU_DEP_1) | instskip(NEXT) | instid1(VALU_DEP_2)
	v_pk_fma_f32 v[138:139], v[134:135], v[36:37], v[138:139] op_sel_hi:[1,1,0] neg_lo:[0,0,1] neg_hi:[0,0,1]
	v_pk_fma_f32 v[134:135], v[134:135], v[36:37], v[140:141] op_sel:[1,0,0] op_sel_hi:[0,1,0]
	s_delay_alu instid0(VALU_DEP_1) | instskip(SKIP_1) | instid1(VALU_DEP_2)
	v_mov_b32_e32 v139, v135
	v_pk_mul_f32 v[134:135], v[136:137], v[126:127] op_sel:[0,1]
	v_pk_add_f32 v[104:105], v[104:105], v[138:139] neg_lo:[0,1] neg_hi:[0,1]
	s_delay_alu instid0(VALU_DEP_2) | instskip(SKIP_1) | instid1(VALU_DEP_1)
	v_pk_fma_f32 v[138:139], v[136:137], v[124:125], v[134:135] op_sel:[0,0,1] op_sel_hi:[1,1,0] neg_lo:[0,0,1] neg_hi:[0,0,1]
	v_pk_fma_f32 v[134:135], v[136:137], v[124:125], v[134:135] op_sel:[0,0,1] op_sel_hi:[1,0,0]
	v_mov_b32_e32 v139, v135
	ds_load_b64 v[134:135], v128 offset:464
	v_pk_add_f32 v[98:99], v[98:99], v[138:139] neg_lo:[0,1] neg_hi:[0,1]
	s_wait_dscnt 0x0
	v_pk_mul_f32 v[126:127], v[134:135], v[126:127] op_sel:[0,1]
	s_delay_alu instid0(VALU_DEP_1) | instskip(SKIP_1) | instid1(VALU_DEP_1)
	v_pk_fma_f32 v[136:137], v[134:135], v[124:125], v[126:127] op_sel:[0,0,1] op_sel_hi:[1,1,0] neg_lo:[0,0,1] neg_hi:[0,0,1]
	v_pk_fma_f32 v[124:125], v[134:135], v[124:125], v[126:127] op_sel:[0,0,1] op_sel_hi:[1,0,0]
	v_mov_b32_e32 v137, v125
	s_delay_alu instid0(VALU_DEP_1)
	v_pk_add_f32 v[122:123], v[122:123], v[136:137] neg_lo:[0,1] neg_hi:[0,1]
.LBB116_587:
	s_or_b32 exec_lo, exec_lo, s0
	v_lshl_add_u32 v124, v132, 3, v128
	s_barrier_signal -1
	s_barrier_wait -1
	ds_store_b64 v124, v[68:69]
	s_wait_dscnt 0x0
	s_barrier_signal -1
	s_barrier_wait -1
	ds_load_b64 v[126:127], v128 offset:224
	v_mov_b32_e32 v124, 28
	s_cmp_lt_i32 s18, 30
	s_cbranch_scc1 .LBB116_590
; %bb.588:
	v_add3_u32 v125, v129, 0, 0xe8
	v_mov_b32_e32 v124, 28
	s_mov_b32 s0, 29
.LBB116_589:                            ; =>This Inner Loop Header: Depth=1
	ds_load_b64 v[134:135], v125
	s_wait_dscnt 0x1
	v_cmp_gt_f32_e32 vcc_lo, 0, v126
	v_cndmask_b32_e64 v136, v126, -v126, vcc_lo
	v_cmp_gt_f32_e32 vcc_lo, 0, v127
	v_cndmask_b32_e64 v138, v127, -v127, vcc_lo
	s_wait_dscnt 0x0
	v_cmp_gt_f32_e32 vcc_lo, 0, v134
	v_cndmask_b32_e64 v137, v134, -v134, vcc_lo
	v_cmp_gt_f32_e32 vcc_lo, 0, v135
	v_cndmask_b32_e64 v139, v135, -v135, vcc_lo
	s_delay_alu instid0(VALU_DEP_1) | instskip(NEXT) | instid1(VALU_DEP_1)
	v_pk_add_f32 v[136:137], v[136:137], v[138:139]
	v_cmp_lt_f32_e32 vcc_lo, v136, v137
	v_dual_add_nc_u32 v125, 8, v125 :: v_dual_cndmask_b32 v127, v127, v135, vcc_lo
	v_cndmask_b32_e32 v126, v126, v134, vcc_lo
	v_cndmask_b32_e64 v124, v124, s0, vcc_lo
	s_add_co_i32 s0, s0, 1
	s_delay_alu instid0(SALU_CYCLE_1)
	s_cmp_lg_u32 s18, s0
	s_cbranch_scc1 .LBB116_589
.LBB116_590:
	s_wait_dscnt 0x0
	v_cmp_eq_f32_e32 vcc_lo, 0, v126
	v_cmp_eq_f32_e64 s0, 0, v127
	s_and_b32 s0, vcc_lo, s0
	s_delay_alu instid0(SALU_CYCLE_1) | instskip(NEXT) | instid1(SALU_CYCLE_1)
	s_and_saveexec_b32 s1, s0
	s_xor_b32 s0, exec_lo, s1
; %bb.591:
	v_cmp_ne_u32_e32 vcc_lo, 0, v130
	v_cndmask_b32_e32 v130, 29, v130, vcc_lo
; %bb.592:
	s_and_not1_saveexec_b32 s0, s0
	s_cbranch_execz .LBB116_598
; %bb.593:
	v_cmp_ngt_f32_e64 s1, |v126|, |v127|
	s_and_saveexec_b32 s12, s1
	s_delay_alu instid0(SALU_CYCLE_1)
	s_xor_b32 s1, exec_lo, s12
	s_cbranch_execz .LBB116_595
; %bb.594:
	v_div_scale_f32 v125, null, v127, v127, v126
	v_div_scale_f32 v135, vcc_lo, v126, v127, v126
	s_delay_alu instid0(VALU_DEP_2) | instskip(SKIP_1) | instid1(TRANS32_DEP_1)
	v_rcp_f32_e32 v133, v125
	v_nop
	v_fma_f32 v134, -v125, v133, 1.0
	s_delay_alu instid0(VALU_DEP_1) | instskip(NEXT) | instid1(VALU_DEP_1)
	v_fmac_f32_e32 v133, v134, v133
	v_mul_f32_e32 v134, v135, v133
	s_delay_alu instid0(VALU_DEP_1) | instskip(NEXT) | instid1(VALU_DEP_1)
	v_fma_f32 v136, -v125, v134, v135
	v_fmac_f32_e32 v134, v136, v133
	s_delay_alu instid0(VALU_DEP_1) | instskip(NEXT) | instid1(VALU_DEP_1)
	v_fma_f32 v125, -v125, v134, v135
	v_div_fmas_f32 v125, v125, v133, v134
	s_delay_alu instid0(VALU_DEP_1) | instskip(NEXT) | instid1(VALU_DEP_1)
	v_div_fixup_f32 v125, v125, v127, v126
	v_fmac_f32_e32 v127, v126, v125
	s_delay_alu instid0(VALU_DEP_1) | instskip(SKIP_1) | instid1(VALU_DEP_2)
	v_div_scale_f32 v126, null, v127, v127, 1.0
	v_div_scale_f32 v135, vcc_lo, 1.0, v127, 1.0
	v_rcp_f32_e32 v133, v126
	v_nop
	s_delay_alu instid0(TRANS32_DEP_1) | instskip(NEXT) | instid1(VALU_DEP_1)
	v_fma_f32 v134, -v126, v133, 1.0
	v_fmac_f32_e32 v133, v134, v133
	s_delay_alu instid0(VALU_DEP_1) | instskip(NEXT) | instid1(VALU_DEP_1)
	v_mul_f32_e32 v134, v135, v133
	v_fma_f32 v136, -v126, v134, v135
	s_delay_alu instid0(VALU_DEP_1) | instskip(NEXT) | instid1(VALU_DEP_1)
	v_fmac_f32_e32 v134, v136, v133
	v_fma_f32 v126, -v126, v134, v135
	s_delay_alu instid0(VALU_DEP_1) | instskip(NEXT) | instid1(VALU_DEP_1)
	v_div_fmas_f32 v126, v126, v133, v134
	v_div_fixup_f32 v127, v126, v127, 1.0
	s_delay_alu instid0(VALU_DEP_1)
	v_mul_f32_e32 v126, v125, v127
	v_xor_b32_e32 v127, 0x80000000, v127
.LBB116_595:
	s_and_not1_saveexec_b32 s1, s1
	s_cbranch_execz .LBB116_597
; %bb.596:
	s_delay_alu instid0(VALU_DEP_1) | instskip(SKIP_1) | instid1(VALU_DEP_2)
	v_div_scale_f32 v125, null, v126, v126, v127
	v_div_scale_f32 v135, vcc_lo, v127, v126, v127
	v_rcp_f32_e32 v133, v125
	v_nop
	s_delay_alu instid0(TRANS32_DEP_1) | instskip(NEXT) | instid1(VALU_DEP_1)
	v_fma_f32 v134, -v125, v133, 1.0
	v_fmac_f32_e32 v133, v134, v133
	s_delay_alu instid0(VALU_DEP_1) | instskip(NEXT) | instid1(VALU_DEP_1)
	v_mul_f32_e32 v134, v135, v133
	v_fma_f32 v136, -v125, v134, v135
	s_delay_alu instid0(VALU_DEP_1) | instskip(NEXT) | instid1(VALU_DEP_1)
	v_fmac_f32_e32 v134, v136, v133
	v_fma_f32 v125, -v125, v134, v135
	s_delay_alu instid0(VALU_DEP_1) | instskip(NEXT) | instid1(VALU_DEP_1)
	v_div_fmas_f32 v125, v125, v133, v134
	v_div_fixup_f32 v125, v125, v126, v127
	s_delay_alu instid0(VALU_DEP_1) | instskip(NEXT) | instid1(VALU_DEP_1)
	v_fmac_f32_e32 v126, v127, v125
	v_div_scale_f32 v127, null, v126, v126, 1.0
	s_delay_alu instid0(VALU_DEP_1) | instskip(SKIP_1) | instid1(TRANS32_DEP_1)
	v_rcp_f32_e32 v133, v127
	v_nop
	v_fma_f32 v134, -v127, v133, 1.0
	s_delay_alu instid0(VALU_DEP_1) | instskip(SKIP_1) | instid1(VALU_DEP_1)
	v_fmac_f32_e32 v133, v134, v133
	v_div_scale_f32 v134, vcc_lo, 1.0, v126, 1.0
	v_mul_f32_e32 v135, v134, v133
	s_delay_alu instid0(VALU_DEP_1) | instskip(NEXT) | instid1(VALU_DEP_1)
	v_fma_f32 v136, -v127, v135, v134
	v_fmac_f32_e32 v135, v136, v133
	s_delay_alu instid0(VALU_DEP_1) | instskip(NEXT) | instid1(VALU_DEP_1)
	v_fma_f32 v127, -v127, v135, v134
	v_div_fmas_f32 v127, v127, v133, v135
	s_delay_alu instid0(VALU_DEP_1) | instskip(NEXT) | instid1(VALU_DEP_1)
	v_div_fixup_f32 v126, v127, v126, 1.0
	v_mul_f32_e64 v127, v125, -v126
.LBB116_597:
	s_or_b32 exec_lo, exec_lo, s1
.LBB116_598:
	s_delay_alu instid0(SALU_CYCLE_1) | instskip(NEXT) | instid1(SALU_CYCLE_1)
	s_or_b32 exec_lo, exec_lo, s0
	s_mov_b32 s0, exec_lo
	v_cmpx_ne_u32_e64 v132, v124
	s_xor_b32 s0, exec_lo, s0
	s_cbranch_execz .LBB116_604
; %bb.599:
	s_mov_b32 s1, exec_lo
	v_cmpx_eq_u32_e32 28, v132
	s_cbranch_execz .LBB116_603
; %bb.600:
	v_cmp_ne_u32_e32 vcc_lo, 28, v124
	s_xor_b32 s12, s16, -1
	s_delay_alu instid0(SALU_CYCLE_1) | instskip(NEXT) | instid1(SALU_CYCLE_1)
	s_and_b32 s13, s12, vcc_lo
	s_and_saveexec_b32 s12, s13
	s_cbranch_execz .LBB116_602
; %bb.601:
	v_ashrrev_i32_e32 v125, 31, v124
	s_delay_alu instid0(VALU_DEP_1)
	v_lshl_add_u64 v[132:133], v[124:125], 2, v[4:5]
	s_clause 0x1
	global_load_b32 v125, v[132:133], off
	global_load_b32 v131, v[4:5], off offset:112
	s_wait_loadcnt 0x1
	global_store_b32 v[4:5], v125, off offset:112
	s_wait_loadcnt 0x0
	global_store_b32 v[132:133], v131, off
.LBB116_602:
	s_wait_xcnt 0x0
	s_or_b32 exec_lo, exec_lo, s12
	v_dual_mov_b32 v132, v124 :: v_dual_mov_b32 v131, v124
.LBB116_603:
	s_or_b32 exec_lo, exec_lo, s1
.LBB116_604:
	s_and_not1_saveexec_b32 s0, s0
	s_cbranch_execz .LBB116_606
; %bb.605:
	v_mov_b32_e32 v132, 28
	ds_store_2addr_b64 v128, v[66:67], v[48:49] offset0:29 offset1:30
	ds_store_2addr_b64 v128, v[46:47], v[78:79] offset0:31 offset1:32
	;; [unrolled: 1-line block ×15, first 2 shown]
.LBB116_606:
	s_or_b32 exec_lo, exec_lo, s0
	s_delay_alu instid0(SALU_CYCLE_1)
	s_mov_b32 s0, exec_lo
	s_wait_storecnt_dscnt 0x0
	s_barrier_signal -1
	s_barrier_wait -1
	v_cmpx_lt_i32_e32 28, v132
	s_cbranch_execz .LBB116_608
; %bb.607:
	v_pk_mul_f32 v[134:135], v[126:127], v[68:69] op_sel:[1,1] op_sel_hi:[0,1]
	s_delay_alu instid0(VALU_DEP_1)
	v_pk_fma_f32 v[124:125], v[126:127], v[68:69], v[134:135] op_sel_hi:[1,0,1] neg_lo:[0,0,1] neg_hi:[0,0,1]
	v_pk_fma_f32 v[126:127], v[126:127], v[68:69], v[134:135] op_sel_hi:[1,0,1]
	ds_load_2addr_b64 v[134:137], v128 offset0:29 offset1:30
	v_dual_mov_b32 v68, v124 :: v_dual_mov_b32 v69, v127
	s_wait_dscnt 0x0
	v_pk_mul_f32 v[138:139], v[134:135], v[126:127] op_sel:[0,1]
	s_delay_alu instid0(VALU_DEP_1) | instskip(SKIP_1) | instid1(VALU_DEP_1)
	v_pk_fma_f32 v[140:141], v[134:135], v[124:125], v[138:139] op_sel:[0,0,1] op_sel_hi:[1,1,0] neg_lo:[0,0,1] neg_hi:[0,0,1]
	v_pk_fma_f32 v[134:135], v[134:135], v[124:125], v[138:139] op_sel:[0,0,1] op_sel_hi:[1,0,0]
	v_mov_b32_e32 v141, v135
	v_pk_mul_f32 v[134:135], v[136:137], v[126:127] op_sel:[0,1]
	s_delay_alu instid0(VALU_DEP_1) | instskip(SKIP_1) | instid1(VALU_DEP_1)
	v_pk_fma_f32 v[138:139], v[136:137], v[124:125], v[134:135] op_sel:[0,0,1] op_sel_hi:[1,1,0] neg_lo:[0,0,1] neg_hi:[0,0,1]
	v_pk_fma_f32 v[134:135], v[136:137], v[124:125], v[134:135] op_sel:[0,0,1] op_sel_hi:[1,0,0]
	v_mov_b32_e32 v139, v135
	ds_load_2addr_b64 v[134:137], v128 offset0:31 offset1:32
	v_pk_add_f32 v[66:67], v[66:67], v[140:141] neg_lo:[0,1] neg_hi:[0,1]
	v_pk_add_f32 v[48:49], v[48:49], v[138:139] neg_lo:[0,1] neg_hi:[0,1]
	s_wait_dscnt 0x0
	v_pk_mul_f32 v[138:139], v[134:135], v[126:127] op_sel:[0,1]
	s_delay_alu instid0(VALU_DEP_1) | instskip(SKIP_2) | instid1(VALU_DEP_2)
	v_pk_fma_f32 v[140:141], v[134:135], v[124:125], v[138:139] op_sel:[0,0,1] op_sel_hi:[1,1,0] neg_lo:[0,0,1] neg_hi:[0,0,1]
	v_pk_fma_f32 v[134:135], v[134:135], v[124:125], v[138:139] op_sel:[0,0,1] op_sel_hi:[1,0,0]
	v_dual_mul_f32 v138, v137, v127 :: v_dual_mov_b32 v134, v137
	v_dual_mov_b32 v141, v135 :: v_dual_mov_b32 v135, v136
	s_delay_alu instid0(VALU_DEP_2) | instskip(SKIP_1) | instid1(VALU_DEP_3)
	v_pk_fma_f32 v[138:139], v[136:137], v[68:69], v[138:139] op_sel_hi:[1,1,0] neg_lo:[0,0,1] neg_hi:[0,0,1]
	v_mul_f32_e32 v136, v137, v124
	v_pk_add_f32 v[46:47], v[46:47], v[140:141] neg_lo:[0,1] neg_hi:[0,1]
	s_delay_alu instid0(VALU_DEP_2) | instskip(NEXT) | instid1(VALU_DEP_1)
	v_pk_fma_f32 v[134:135], v[134:135], v[68:69], v[136:137] op_sel_hi:[1,1,0]
	v_mov_b32_e32 v139, v135
	ds_load_2addr_b64 v[134:137], v128 offset0:33 offset1:34
	v_pk_add_f32 v[78:79], v[78:79], v[138:139] neg_lo:[0,1] neg_hi:[0,1]
	s_wait_dscnt 0x0
	v_pk_mul_f32 v[138:139], v[134:135], v[126:127] op_sel:[0,1]
	s_delay_alu instid0(VALU_DEP_1) | instskip(SKIP_1) | instid1(VALU_DEP_1)
	v_pk_fma_f32 v[140:141], v[134:135], v[124:125], v[138:139] op_sel:[0,0,1] op_sel_hi:[1,1,0] neg_lo:[0,0,1] neg_hi:[0,0,1]
	v_pk_fma_f32 v[134:135], v[134:135], v[124:125], v[138:139] op_sel:[0,0,1] op_sel_hi:[1,0,0]
	v_mov_b32_e32 v141, v135
	v_pk_mul_f32 v[134:135], v[136:137], v[126:127] op_sel:[0,1]
	s_delay_alu instid0(VALU_DEP_1) | instskip(SKIP_1) | instid1(VALU_DEP_1)
	v_pk_fma_f32 v[138:139], v[136:137], v[124:125], v[134:135] op_sel:[0,0,1] op_sel_hi:[1,1,0] neg_lo:[0,0,1] neg_hi:[0,0,1]
	v_pk_fma_f32 v[134:135], v[136:137], v[124:125], v[134:135] op_sel:[0,0,1] op_sel_hi:[1,0,0]
	v_mov_b32_e32 v139, v135
	ds_load_2addr_b64 v[134:137], v128 offset0:35 offset1:36
	v_pk_add_f32 v[76:77], v[76:77], v[140:141] neg_lo:[0,1] neg_hi:[0,1]
	v_pk_add_f32 v[56:57], v[56:57], v[138:139] neg_lo:[0,1] neg_hi:[0,1]
	s_wait_dscnt 0x0
	v_pk_mul_f32 v[138:139], v[134:135], v[126:127] op_sel:[0,1]
	s_delay_alu instid0(VALU_DEP_1) | instskip(SKIP_1) | instid1(VALU_DEP_1)
	v_pk_fma_f32 v[140:141], v[134:135], v[124:125], v[138:139] op_sel:[0,0,1] op_sel_hi:[1,1,0] neg_lo:[0,0,1] neg_hi:[0,0,1]
	v_pk_fma_f32 v[134:135], v[134:135], v[124:125], v[138:139] op_sel:[0,0,1] op_sel_hi:[1,0,0]
	v_mov_b32_e32 v141, v135
	v_pk_mul_f32 v[134:135], v[136:137], v[126:127] op_sel:[0,1]
	s_delay_alu instid0(VALU_DEP_1) | instskip(SKIP_1) | instid1(VALU_DEP_1)
	v_pk_fma_f32 v[138:139], v[136:137], v[124:125], v[134:135] op_sel:[0,0,1] op_sel_hi:[1,1,0] neg_lo:[0,0,1] neg_hi:[0,0,1]
	v_pk_fma_f32 v[134:135], v[136:137], v[124:125], v[134:135] op_sel:[0,0,1] op_sel_hi:[1,0,0]
	v_mov_b32_e32 v139, v135
	ds_load_2addr_b64 v[134:137], v128 offset0:37 offset1:38
	v_pk_add_f32 v[54:55], v[54:55], v[140:141] neg_lo:[0,1] neg_hi:[0,1]
	v_pk_add_f32 v[88:89], v[88:89], v[138:139] neg_lo:[0,1] neg_hi:[0,1]
	s_wait_dscnt 0x0
	v_dual_mul_f32 v138, v135, v127 :: v_dual_mul_f32 v140, v135, v124
	s_delay_alu instid0(VALU_DEP_1) | instskip(NEXT) | instid1(VALU_DEP_2)
	v_pk_fma_f32 v[138:139], v[134:135], v[68:69], v[138:139] op_sel_hi:[1,1,0] neg_lo:[0,0,1] neg_hi:[0,0,1]
	v_pk_fma_f32 v[134:135], v[134:135], v[68:69], v[140:141] op_sel:[1,0,0] op_sel_hi:[0,1,0]
	s_delay_alu instid0(VALU_DEP_1) | instskip(SKIP_1) | instid1(VALU_DEP_2)
	v_mov_b32_e32 v139, v135
	v_pk_mul_f32 v[134:135], v[136:137], v[126:127] op_sel:[0,1]
	v_pk_add_f32 v[86:87], v[86:87], v[138:139] neg_lo:[0,1] neg_hi:[0,1]
	s_delay_alu instid0(VALU_DEP_2) | instskip(SKIP_1) | instid1(VALU_DEP_1)
	v_pk_fma_f32 v[138:139], v[136:137], v[124:125], v[134:135] op_sel:[0,0,1] op_sel_hi:[1,1,0] neg_lo:[0,0,1] neg_hi:[0,0,1]
	v_pk_fma_f32 v[134:135], v[136:137], v[124:125], v[134:135] op_sel:[0,0,1] op_sel_hi:[1,0,0]
	v_mov_b32_e32 v139, v135
	ds_load_2addr_b64 v[134:137], v128 offset0:39 offset1:40
	v_pk_add_f32 v[64:65], v[64:65], v[138:139] neg_lo:[0,1] neg_hi:[0,1]
	s_wait_dscnt 0x0
	v_pk_mul_f32 v[138:139], v[134:135], v[126:127] op_sel:[0,1]
	s_delay_alu instid0(VALU_DEP_1) | instskip(SKIP_1) | instid1(VALU_DEP_1)
	v_pk_fma_f32 v[140:141], v[134:135], v[124:125], v[138:139] op_sel:[0,0,1] op_sel_hi:[1,1,0] neg_lo:[0,0,1] neg_hi:[0,0,1]
	v_pk_fma_f32 v[134:135], v[134:135], v[124:125], v[138:139] op_sel:[0,0,1] op_sel_hi:[1,0,0]
	v_mov_b32_e32 v141, v135
	v_pk_mul_f32 v[134:135], v[136:137], v[126:127] op_sel:[0,1]
	s_delay_alu instid0(VALU_DEP_2) | instskip(NEXT) | instid1(VALU_DEP_2)
	v_pk_add_f32 v[62:63], v[62:63], v[140:141] neg_lo:[0,1] neg_hi:[0,1]
	v_pk_fma_f32 v[138:139], v[136:137], v[124:125], v[134:135] op_sel:[0,0,1] op_sel_hi:[1,1,0] neg_lo:[0,0,1] neg_hi:[0,0,1]
	v_pk_fma_f32 v[134:135], v[136:137], v[124:125], v[134:135] op_sel:[0,0,1] op_sel_hi:[1,0,0]
	s_delay_alu instid0(VALU_DEP_1) | instskip(SKIP_4) | instid1(VALU_DEP_1)
	v_mov_b32_e32 v139, v135
	ds_load_2addr_b64 v[134:137], v128 offset0:41 offset1:42
	v_pk_add_f32 v[102:103], v[102:103], v[138:139] neg_lo:[0,1] neg_hi:[0,1]
	s_wait_dscnt 0x0
	v_pk_mul_f32 v[138:139], v[134:135], v[126:127] op_sel:[0,1]
	v_pk_fma_f32 v[140:141], v[134:135], v[124:125], v[138:139] op_sel:[0,0,1] op_sel_hi:[1,1,0] neg_lo:[0,0,1] neg_hi:[0,0,1]
	v_pk_fma_f32 v[134:135], v[134:135], v[124:125], v[138:139] op_sel:[0,0,1] op_sel_hi:[1,0,0]
	v_dual_mul_f32 v138, v137, v127 :: v_dual_mov_b32 v134, v137
	s_delay_alu instid0(VALU_DEP_2) | instskip(NEXT) | instid1(VALU_DEP_2)
	v_dual_mov_b32 v141, v135 :: v_dual_mov_b32 v135, v136
	v_pk_fma_f32 v[138:139], v[136:137], v[68:69], v[138:139] op_sel_hi:[1,1,0] neg_lo:[0,0,1] neg_hi:[0,0,1]
	v_mul_f32_e32 v136, v137, v124
	s_delay_alu instid0(VALU_DEP_3) | instskip(NEXT) | instid1(VALU_DEP_2)
	v_pk_add_f32 v[100:101], v[100:101], v[140:141] neg_lo:[0,1] neg_hi:[0,1]
	v_pk_fma_f32 v[134:135], v[134:135], v[68:69], v[136:137] op_sel_hi:[1,1,0]
	s_delay_alu instid0(VALU_DEP_1) | instskip(SKIP_4) | instid1(VALU_DEP_1)
	v_mov_b32_e32 v139, v135
	ds_load_2addr_b64 v[134:137], v128 offset0:43 offset1:44
	v_pk_add_f32 v[72:73], v[72:73], v[138:139] neg_lo:[0,1] neg_hi:[0,1]
	s_wait_dscnt 0x0
	v_pk_mul_f32 v[138:139], v[134:135], v[126:127] op_sel:[0,1]
	v_pk_fma_f32 v[140:141], v[134:135], v[124:125], v[138:139] op_sel:[0,0,1] op_sel_hi:[1,1,0] neg_lo:[0,0,1] neg_hi:[0,0,1]
	v_pk_fma_f32 v[134:135], v[134:135], v[124:125], v[138:139] op_sel:[0,0,1] op_sel_hi:[1,0,0]
	s_delay_alu instid0(VALU_DEP_1) | instskip(SKIP_1) | instid1(VALU_DEP_1)
	v_mov_b32_e32 v141, v135
	v_pk_mul_f32 v[134:135], v[136:137], v[126:127] op_sel:[0,1]
	v_pk_fma_f32 v[138:139], v[136:137], v[124:125], v[134:135] op_sel:[0,0,1] op_sel_hi:[1,1,0] neg_lo:[0,0,1] neg_hi:[0,0,1]
	v_pk_fma_f32 v[134:135], v[136:137], v[124:125], v[134:135] op_sel:[0,0,1] op_sel_hi:[1,0,0]
	s_delay_alu instid0(VALU_DEP_1)
	v_mov_b32_e32 v139, v135
	ds_load_2addr_b64 v[134:137], v128 offset0:45 offset1:46
	v_pk_add_f32 v[70:71], v[70:71], v[140:141] neg_lo:[0,1] neg_hi:[0,1]
	v_pk_add_f32 v[110:111], v[110:111], v[138:139] neg_lo:[0,1] neg_hi:[0,1]
	s_wait_dscnt 0x0
	v_pk_mul_f32 v[138:139], v[134:135], v[126:127] op_sel:[0,1]
	s_delay_alu instid0(VALU_DEP_1) | instskip(SKIP_1) | instid1(VALU_DEP_1)
	v_pk_fma_f32 v[140:141], v[134:135], v[124:125], v[138:139] op_sel:[0,0,1] op_sel_hi:[1,1,0] neg_lo:[0,0,1] neg_hi:[0,0,1]
	v_pk_fma_f32 v[134:135], v[134:135], v[124:125], v[138:139] op_sel:[0,0,1] op_sel_hi:[1,0,0]
	v_mov_b32_e32 v141, v135
	v_pk_mul_f32 v[134:135], v[136:137], v[126:127] op_sel:[0,1]
	s_delay_alu instid0(VALU_DEP_1) | instskip(SKIP_1) | instid1(VALU_DEP_1)
	v_pk_fma_f32 v[138:139], v[136:137], v[124:125], v[134:135] op_sel:[0,0,1] op_sel_hi:[1,1,0] neg_lo:[0,0,1] neg_hi:[0,0,1]
	v_pk_fma_f32 v[134:135], v[136:137], v[124:125], v[134:135] op_sel:[0,0,1] op_sel_hi:[1,0,0]
	v_mov_b32_e32 v139, v135
	ds_load_2addr_b64 v[134:137], v128 offset0:47 offset1:48
	v_pk_add_f32 v[108:109], v[108:109], v[140:141] neg_lo:[0,1] neg_hi:[0,1]
	v_pk_add_f32 v[82:83], v[82:83], v[138:139] neg_lo:[0,1] neg_hi:[0,1]
	s_wait_dscnt 0x0
	v_dual_mul_f32 v138, v135, v127 :: v_dual_mul_f32 v140, v135, v124
	s_delay_alu instid0(VALU_DEP_1) | instskip(NEXT) | instid1(VALU_DEP_2)
	v_pk_fma_f32 v[138:139], v[134:135], v[68:69], v[138:139] op_sel_hi:[1,1,0] neg_lo:[0,0,1] neg_hi:[0,0,1]
	v_pk_fma_f32 v[134:135], v[134:135], v[68:69], v[140:141] op_sel:[1,0,0] op_sel_hi:[0,1,0]
	s_delay_alu instid0(VALU_DEP_1) | instskip(SKIP_1) | instid1(VALU_DEP_2)
	v_mov_b32_e32 v139, v135
	v_pk_mul_f32 v[134:135], v[136:137], v[126:127] op_sel:[0,1]
	v_pk_add_f32 v[80:81], v[80:81], v[138:139] neg_lo:[0,1] neg_hi:[0,1]
	s_delay_alu instid0(VALU_DEP_2) | instskip(SKIP_1) | instid1(VALU_DEP_1)
	v_pk_fma_f32 v[138:139], v[136:137], v[124:125], v[134:135] op_sel:[0,0,1] op_sel_hi:[1,1,0] neg_lo:[0,0,1] neg_hi:[0,0,1]
	v_pk_fma_f32 v[134:135], v[136:137], v[124:125], v[134:135] op_sel:[0,0,1] op_sel_hi:[1,0,0]
	v_mov_b32_e32 v139, v135
	ds_load_2addr_b64 v[134:137], v128 offset0:49 offset1:50
	v_pk_add_f32 v[120:121], v[120:121], v[138:139] neg_lo:[0,1] neg_hi:[0,1]
	s_wait_dscnt 0x0
	v_pk_mul_f32 v[138:139], v[134:135], v[126:127] op_sel:[0,1]
	s_delay_alu instid0(VALU_DEP_1) | instskip(SKIP_1) | instid1(VALU_DEP_1)
	v_pk_fma_f32 v[140:141], v[134:135], v[124:125], v[138:139] op_sel:[0,0,1] op_sel_hi:[1,1,0] neg_lo:[0,0,1] neg_hi:[0,0,1]
	v_pk_fma_f32 v[134:135], v[134:135], v[124:125], v[138:139] op_sel:[0,0,1] op_sel_hi:[1,0,0]
	v_mov_b32_e32 v141, v135
	v_pk_mul_f32 v[134:135], v[136:137], v[126:127] op_sel:[0,1]
	s_delay_alu instid0(VALU_DEP_2) | instskip(NEXT) | instid1(VALU_DEP_2)
	v_pk_add_f32 v[118:119], v[118:119], v[140:141] neg_lo:[0,1] neg_hi:[0,1]
	v_pk_fma_f32 v[138:139], v[136:137], v[124:125], v[134:135] op_sel:[0,0,1] op_sel_hi:[1,1,0] neg_lo:[0,0,1] neg_hi:[0,0,1]
	v_pk_fma_f32 v[134:135], v[136:137], v[124:125], v[134:135] op_sel:[0,0,1] op_sel_hi:[1,0,0]
	s_delay_alu instid0(VALU_DEP_1) | instskip(SKIP_4) | instid1(VALU_DEP_1)
	v_mov_b32_e32 v139, v135
	ds_load_2addr_b64 v[134:137], v128 offset0:51 offset1:52
	v_pk_add_f32 v[94:95], v[94:95], v[138:139] neg_lo:[0,1] neg_hi:[0,1]
	s_wait_dscnt 0x0
	v_pk_mul_f32 v[138:139], v[134:135], v[126:127] op_sel:[0,1]
	v_pk_fma_f32 v[140:141], v[134:135], v[124:125], v[138:139] op_sel:[0,0,1] op_sel_hi:[1,1,0] neg_lo:[0,0,1] neg_hi:[0,0,1]
	v_pk_fma_f32 v[134:135], v[134:135], v[124:125], v[138:139] op_sel:[0,0,1] op_sel_hi:[1,0,0]
	v_dual_mul_f32 v138, v137, v127 :: v_dual_mov_b32 v134, v137
	s_delay_alu instid0(VALU_DEP_2) | instskip(NEXT) | instid1(VALU_DEP_2)
	v_dual_mov_b32 v141, v135 :: v_dual_mov_b32 v135, v136
	v_pk_fma_f32 v[138:139], v[136:137], v[68:69], v[138:139] op_sel_hi:[1,1,0] neg_lo:[0,0,1] neg_hi:[0,0,1]
	v_mul_f32_e32 v136, v137, v124
	s_delay_alu instid0(VALU_DEP_3) | instskip(NEXT) | instid1(VALU_DEP_2)
	v_pk_add_f32 v[96:97], v[96:97], v[140:141] neg_lo:[0,1] neg_hi:[0,1]
	v_pk_fma_f32 v[134:135], v[134:135], v[68:69], v[136:137] op_sel_hi:[1,1,0]
	s_delay_alu instid0(VALU_DEP_1) | instskip(SKIP_4) | instid1(VALU_DEP_1)
	v_mov_b32_e32 v139, v135
	ds_load_2addr_b64 v[134:137], v128 offset0:53 offset1:54
	v_pk_add_f32 v[114:115], v[114:115], v[138:139] neg_lo:[0,1] neg_hi:[0,1]
	s_wait_dscnt 0x0
	v_pk_mul_f32 v[138:139], v[134:135], v[126:127] op_sel:[0,1]
	v_pk_fma_f32 v[140:141], v[134:135], v[124:125], v[138:139] op_sel:[0,0,1] op_sel_hi:[1,1,0] neg_lo:[0,0,1] neg_hi:[0,0,1]
	v_pk_fma_f32 v[134:135], v[134:135], v[124:125], v[138:139] op_sel:[0,0,1] op_sel_hi:[1,0,0]
	s_delay_alu instid0(VALU_DEP_1) | instskip(SKIP_1) | instid1(VALU_DEP_1)
	v_mov_b32_e32 v141, v135
	v_pk_mul_f32 v[134:135], v[136:137], v[126:127] op_sel:[0,1]
	v_pk_fma_f32 v[138:139], v[136:137], v[124:125], v[134:135] op_sel:[0,0,1] op_sel_hi:[1,1,0] neg_lo:[0,0,1] neg_hi:[0,0,1]
	v_pk_fma_f32 v[134:135], v[136:137], v[124:125], v[134:135] op_sel:[0,0,1] op_sel_hi:[1,0,0]
	s_delay_alu instid0(VALU_DEP_1)
	v_mov_b32_e32 v139, v135
	ds_load_2addr_b64 v[134:137], v128 offset0:55 offset1:56
	v_pk_add_f32 v[112:113], v[112:113], v[140:141] neg_lo:[0,1] neg_hi:[0,1]
	v_pk_add_f32 v[92:93], v[92:93], v[138:139] neg_lo:[0,1] neg_hi:[0,1]
	s_wait_dscnt 0x0
	v_pk_mul_f32 v[138:139], v[134:135], v[126:127] op_sel:[0,1]
	s_delay_alu instid0(VALU_DEP_1) | instskip(SKIP_1) | instid1(VALU_DEP_1)
	v_pk_fma_f32 v[140:141], v[134:135], v[124:125], v[138:139] op_sel:[0,0,1] op_sel_hi:[1,1,0] neg_lo:[0,0,1] neg_hi:[0,0,1]
	v_pk_fma_f32 v[134:135], v[134:135], v[124:125], v[138:139] op_sel:[0,0,1] op_sel_hi:[1,0,0]
	v_mov_b32_e32 v141, v135
	v_pk_mul_f32 v[134:135], v[136:137], v[126:127] op_sel:[0,1]
	s_delay_alu instid0(VALU_DEP_1) | instskip(SKIP_1) | instid1(VALU_DEP_1)
	v_pk_fma_f32 v[138:139], v[136:137], v[124:125], v[134:135] op_sel:[0,0,1] op_sel_hi:[1,1,0] neg_lo:[0,0,1] neg_hi:[0,0,1]
	v_pk_fma_f32 v[134:135], v[136:137], v[124:125], v[134:135] op_sel:[0,0,1] op_sel_hi:[1,0,0]
	v_mov_b32_e32 v139, v135
	ds_load_2addr_b64 v[134:137], v128 offset0:57 offset1:58
	v_pk_add_f32 v[90:91], v[90:91], v[140:141] neg_lo:[0,1] neg_hi:[0,1]
	v_pk_add_f32 v[104:105], v[104:105], v[138:139] neg_lo:[0,1] neg_hi:[0,1]
	s_wait_dscnt 0x0
	v_mul_f32_e32 v126, v135, v127
	s_delay_alu instid0(VALU_DEP_1) | instskip(SKIP_1) | instid1(VALU_DEP_1)
	v_pk_fma_f32 v[138:139], v[134:135], v[68:69], v[126:127] op_sel_hi:[1,1,0] neg_lo:[0,0,1] neg_hi:[0,0,1]
	v_dual_mul_f32 v126, v135, v124 :: v_dual_mul_f32 v124, v137, v124
	v_pk_fma_f32 v[134:135], v[134:135], v[68:69], v[126:127] op_sel:[1,0,0] op_sel_hi:[0,1,0]
	v_dual_mov_b32 v134, v137 :: v_dual_mul_f32 v126, v137, v127
	s_delay_alu instid0(VALU_DEP_2) | instskip(NEXT) | instid1(VALU_DEP_2)
	v_dual_mov_b32 v139, v135 :: v_dual_mov_b32 v135, v136
	v_pk_fma_f32 v[126:127], v[136:137], v[68:69], v[126:127] op_sel_hi:[1,1,0] neg_lo:[0,0,1] neg_hi:[0,0,1]
	s_delay_alu instid0(VALU_DEP_2) | instskip(NEXT) | instid1(VALU_DEP_3)
	v_pk_add_f32 v[98:99], v[98:99], v[138:139] neg_lo:[0,1] neg_hi:[0,1]
	v_pk_fma_f32 v[124:125], v[134:135], v[68:69], v[124:125] op_sel_hi:[1,1,0]
	s_delay_alu instid0(VALU_DEP_1) | instskip(NEXT) | instid1(VALU_DEP_1)
	v_mov_b32_e32 v127, v125
	v_pk_add_f32 v[122:123], v[122:123], v[126:127] neg_lo:[0,1] neg_hi:[0,1]
.LBB116_608:
	s_or_b32 exec_lo, exec_lo, s0
	v_lshl_add_u32 v124, v132, 3, v128
	s_barrier_signal -1
	s_barrier_wait -1
	ds_store_b64 v124, v[66:67]
	s_wait_dscnt 0x0
	s_barrier_signal -1
	s_barrier_wait -1
	ds_load_b64 v[126:127], v128 offset:232
	v_mov_b32_e32 v124, 29
	s_cmp_lt_i32 s18, 31
	s_cbranch_scc1 .LBB116_611
; %bb.609:
	v_add3_u32 v125, v129, 0, 0xf0
	v_mov_b32_e32 v124, 29
	s_mov_b32 s0, 30
.LBB116_610:                            ; =>This Inner Loop Header: Depth=1
	ds_load_b64 v[134:135], v125
	s_wait_dscnt 0x1
	v_cmp_gt_f32_e32 vcc_lo, 0, v126
	v_cndmask_b32_e64 v136, v126, -v126, vcc_lo
	v_cmp_gt_f32_e32 vcc_lo, 0, v127
	v_cndmask_b32_e64 v138, v127, -v127, vcc_lo
	s_wait_dscnt 0x0
	v_cmp_gt_f32_e32 vcc_lo, 0, v134
	v_cndmask_b32_e64 v137, v134, -v134, vcc_lo
	v_cmp_gt_f32_e32 vcc_lo, 0, v135
	v_cndmask_b32_e64 v139, v135, -v135, vcc_lo
	s_delay_alu instid0(VALU_DEP_1) | instskip(NEXT) | instid1(VALU_DEP_1)
	v_pk_add_f32 v[136:137], v[136:137], v[138:139]
	v_cmp_lt_f32_e32 vcc_lo, v136, v137
	v_dual_add_nc_u32 v125, 8, v125 :: v_dual_cndmask_b32 v127, v127, v135, vcc_lo
	v_cndmask_b32_e32 v126, v126, v134, vcc_lo
	v_cndmask_b32_e64 v124, v124, s0, vcc_lo
	s_add_co_i32 s0, s0, 1
	s_delay_alu instid0(SALU_CYCLE_1)
	s_cmp_lg_u32 s18, s0
	s_cbranch_scc1 .LBB116_610
.LBB116_611:
	s_wait_dscnt 0x0
	v_cmp_eq_f32_e32 vcc_lo, 0, v126
	v_cmp_eq_f32_e64 s0, 0, v127
	s_and_b32 s0, vcc_lo, s0
	s_delay_alu instid0(SALU_CYCLE_1) | instskip(NEXT) | instid1(SALU_CYCLE_1)
	s_and_saveexec_b32 s1, s0
	s_xor_b32 s0, exec_lo, s1
; %bb.612:
	v_cmp_ne_u32_e32 vcc_lo, 0, v130
	v_cndmask_b32_e32 v130, 30, v130, vcc_lo
; %bb.613:
	s_and_not1_saveexec_b32 s0, s0
	s_cbranch_execz .LBB116_619
; %bb.614:
	v_cmp_ngt_f32_e64 s1, |v126|, |v127|
	s_and_saveexec_b32 s12, s1
	s_delay_alu instid0(SALU_CYCLE_1)
	s_xor_b32 s1, exec_lo, s12
	s_cbranch_execz .LBB116_616
; %bb.615:
	v_div_scale_f32 v125, null, v127, v127, v126
	v_div_scale_f32 v135, vcc_lo, v126, v127, v126
	s_delay_alu instid0(VALU_DEP_2) | instskip(SKIP_1) | instid1(TRANS32_DEP_1)
	v_rcp_f32_e32 v133, v125
	v_nop
	v_fma_f32 v134, -v125, v133, 1.0
	s_delay_alu instid0(VALU_DEP_1) | instskip(NEXT) | instid1(VALU_DEP_1)
	v_fmac_f32_e32 v133, v134, v133
	v_mul_f32_e32 v134, v135, v133
	s_delay_alu instid0(VALU_DEP_1) | instskip(NEXT) | instid1(VALU_DEP_1)
	v_fma_f32 v136, -v125, v134, v135
	v_fmac_f32_e32 v134, v136, v133
	s_delay_alu instid0(VALU_DEP_1) | instskip(NEXT) | instid1(VALU_DEP_1)
	v_fma_f32 v125, -v125, v134, v135
	v_div_fmas_f32 v125, v125, v133, v134
	s_delay_alu instid0(VALU_DEP_1) | instskip(NEXT) | instid1(VALU_DEP_1)
	v_div_fixup_f32 v125, v125, v127, v126
	v_fmac_f32_e32 v127, v126, v125
	s_delay_alu instid0(VALU_DEP_1) | instskip(SKIP_1) | instid1(VALU_DEP_2)
	v_div_scale_f32 v126, null, v127, v127, 1.0
	v_div_scale_f32 v135, vcc_lo, 1.0, v127, 1.0
	v_rcp_f32_e32 v133, v126
	v_nop
	s_delay_alu instid0(TRANS32_DEP_1) | instskip(NEXT) | instid1(VALU_DEP_1)
	v_fma_f32 v134, -v126, v133, 1.0
	v_fmac_f32_e32 v133, v134, v133
	s_delay_alu instid0(VALU_DEP_1) | instskip(NEXT) | instid1(VALU_DEP_1)
	v_mul_f32_e32 v134, v135, v133
	v_fma_f32 v136, -v126, v134, v135
	s_delay_alu instid0(VALU_DEP_1) | instskip(NEXT) | instid1(VALU_DEP_1)
	v_fmac_f32_e32 v134, v136, v133
	v_fma_f32 v126, -v126, v134, v135
	s_delay_alu instid0(VALU_DEP_1) | instskip(NEXT) | instid1(VALU_DEP_1)
	v_div_fmas_f32 v126, v126, v133, v134
	v_div_fixup_f32 v127, v126, v127, 1.0
	s_delay_alu instid0(VALU_DEP_1)
	v_mul_f32_e32 v126, v125, v127
	v_xor_b32_e32 v127, 0x80000000, v127
.LBB116_616:
	s_and_not1_saveexec_b32 s1, s1
	s_cbranch_execz .LBB116_618
; %bb.617:
	s_delay_alu instid0(VALU_DEP_1) | instskip(SKIP_1) | instid1(VALU_DEP_2)
	v_div_scale_f32 v125, null, v126, v126, v127
	v_div_scale_f32 v135, vcc_lo, v127, v126, v127
	v_rcp_f32_e32 v133, v125
	v_nop
	s_delay_alu instid0(TRANS32_DEP_1) | instskip(NEXT) | instid1(VALU_DEP_1)
	v_fma_f32 v134, -v125, v133, 1.0
	v_fmac_f32_e32 v133, v134, v133
	s_delay_alu instid0(VALU_DEP_1) | instskip(NEXT) | instid1(VALU_DEP_1)
	v_mul_f32_e32 v134, v135, v133
	v_fma_f32 v136, -v125, v134, v135
	s_delay_alu instid0(VALU_DEP_1) | instskip(NEXT) | instid1(VALU_DEP_1)
	v_fmac_f32_e32 v134, v136, v133
	v_fma_f32 v125, -v125, v134, v135
	s_delay_alu instid0(VALU_DEP_1) | instskip(NEXT) | instid1(VALU_DEP_1)
	v_div_fmas_f32 v125, v125, v133, v134
	v_div_fixup_f32 v125, v125, v126, v127
	s_delay_alu instid0(VALU_DEP_1) | instskip(NEXT) | instid1(VALU_DEP_1)
	v_fmac_f32_e32 v126, v127, v125
	v_div_scale_f32 v127, null, v126, v126, 1.0
	s_delay_alu instid0(VALU_DEP_1) | instskip(SKIP_1) | instid1(TRANS32_DEP_1)
	v_rcp_f32_e32 v133, v127
	v_nop
	v_fma_f32 v134, -v127, v133, 1.0
	s_delay_alu instid0(VALU_DEP_1) | instskip(SKIP_1) | instid1(VALU_DEP_1)
	v_fmac_f32_e32 v133, v134, v133
	v_div_scale_f32 v134, vcc_lo, 1.0, v126, 1.0
	v_mul_f32_e32 v135, v134, v133
	s_delay_alu instid0(VALU_DEP_1) | instskip(NEXT) | instid1(VALU_DEP_1)
	v_fma_f32 v136, -v127, v135, v134
	v_fmac_f32_e32 v135, v136, v133
	s_delay_alu instid0(VALU_DEP_1) | instskip(NEXT) | instid1(VALU_DEP_1)
	v_fma_f32 v127, -v127, v135, v134
	v_div_fmas_f32 v127, v127, v133, v135
	s_delay_alu instid0(VALU_DEP_1) | instskip(NEXT) | instid1(VALU_DEP_1)
	v_div_fixup_f32 v126, v127, v126, 1.0
	v_mul_f32_e64 v127, v125, -v126
.LBB116_618:
	s_or_b32 exec_lo, exec_lo, s1
.LBB116_619:
	s_delay_alu instid0(SALU_CYCLE_1) | instskip(NEXT) | instid1(SALU_CYCLE_1)
	s_or_b32 exec_lo, exec_lo, s0
	s_mov_b32 s0, exec_lo
	v_cmpx_ne_u32_e64 v132, v124
	s_xor_b32 s0, exec_lo, s0
	s_cbranch_execz .LBB116_625
; %bb.620:
	s_mov_b32 s1, exec_lo
	v_cmpx_eq_u32_e32 29, v132
	s_cbranch_execz .LBB116_624
; %bb.621:
	v_cmp_ne_u32_e32 vcc_lo, 29, v124
	s_xor_b32 s12, s16, -1
	s_delay_alu instid0(SALU_CYCLE_1) | instskip(NEXT) | instid1(SALU_CYCLE_1)
	s_and_b32 s13, s12, vcc_lo
	s_and_saveexec_b32 s12, s13
	s_cbranch_execz .LBB116_623
; %bb.622:
	v_ashrrev_i32_e32 v125, 31, v124
	s_delay_alu instid0(VALU_DEP_1)
	v_lshl_add_u64 v[132:133], v[124:125], 2, v[4:5]
	s_clause 0x1
	global_load_b32 v125, v[132:133], off
	global_load_b32 v131, v[4:5], off offset:116
	s_wait_loadcnt 0x1
	global_store_b32 v[4:5], v125, off offset:116
	s_wait_loadcnt 0x0
	global_store_b32 v[132:133], v131, off
.LBB116_623:
	s_wait_xcnt 0x0
	s_or_b32 exec_lo, exec_lo, s12
	v_dual_mov_b32 v132, v124 :: v_dual_mov_b32 v131, v124
.LBB116_624:
	s_or_b32 exec_lo, exec_lo, s1
.LBB116_625:
	s_and_not1_saveexec_b32 s0, s0
	s_cbranch_execz .LBB116_627
; %bb.626:
	v_dual_mov_b32 v124, v48 :: v_dual_mov_b32 v125, v49
	v_dual_mov_b32 v132, v46 :: v_dual_mov_b32 v133, v47
	ds_store_2addr_b64 v128, v[124:125], v[132:133] offset0:30 offset1:31
	v_dual_mov_b32 v124, v78 :: v_dual_mov_b32 v125, v79
	v_dual_mov_b32 v132, v76 :: v_dual_mov_b32 v133, v77
	ds_store_2addr_b64 v128, v[124:125], v[132:133] offset0:32 offset1:33
	;; [unrolled: 3-line block ×14, first 2 shown]
	ds_store_b64 v128, v[122:123] offset:464
	v_mov_b32_e32 v132, 29
.LBB116_627:
	s_or_b32 exec_lo, exec_lo, s0
	s_delay_alu instid0(SALU_CYCLE_1)
	s_mov_b32 s0, exec_lo
	s_wait_storecnt_dscnt 0x0
	s_barrier_signal -1
	s_barrier_wait -1
	v_cmpx_lt_i32_e32 29, v132
	s_cbranch_execz .LBB116_629
; %bb.628:
	v_pk_mul_f32 v[134:135], v[126:127], v[66:67] op_sel:[1,1] op_sel_hi:[0,1]
	s_delay_alu instid0(VALU_DEP_1)
	v_pk_fma_f32 v[124:125], v[126:127], v[66:67], v[134:135] op_sel_hi:[1,0,1] neg_lo:[0,0,1] neg_hi:[0,0,1]
	v_pk_fma_f32 v[126:127], v[126:127], v[66:67], v[134:135] op_sel_hi:[1,0,1]
	ds_load_2addr_b64 v[134:137], v128 offset0:30 offset1:31
	v_dual_mov_b32 v66, v124 :: v_dual_mov_b32 v67, v127
	s_wait_dscnt 0x0
	v_pk_mul_f32 v[138:139], v[134:135], v[126:127] op_sel:[0,1]
	s_delay_alu instid0(VALU_DEP_1) | instskip(SKIP_1) | instid1(VALU_DEP_1)
	v_pk_fma_f32 v[140:141], v[134:135], v[124:125], v[138:139] op_sel:[0,0,1] op_sel_hi:[1,1,0] neg_lo:[0,0,1] neg_hi:[0,0,1]
	v_pk_fma_f32 v[134:135], v[134:135], v[124:125], v[138:139] op_sel:[0,0,1] op_sel_hi:[1,0,0]
	v_mov_b32_e32 v141, v135
	v_pk_mul_f32 v[134:135], v[136:137], v[126:127] op_sel:[0,1]
	s_delay_alu instid0(VALU_DEP_1) | instskip(SKIP_1) | instid1(VALU_DEP_1)
	v_pk_fma_f32 v[138:139], v[136:137], v[124:125], v[134:135] op_sel:[0,0,1] op_sel_hi:[1,1,0] neg_lo:[0,0,1] neg_hi:[0,0,1]
	v_pk_fma_f32 v[134:135], v[136:137], v[124:125], v[134:135] op_sel:[0,0,1] op_sel_hi:[1,0,0]
	v_mov_b32_e32 v139, v135
	ds_load_2addr_b64 v[134:137], v128 offset0:32 offset1:33
	v_pk_add_f32 v[48:49], v[48:49], v[140:141] neg_lo:[0,1] neg_hi:[0,1]
	v_pk_add_f32 v[46:47], v[46:47], v[138:139] neg_lo:[0,1] neg_hi:[0,1]
	s_wait_dscnt 0x0
	v_pk_mul_f32 v[138:139], v[134:135], v[126:127] op_sel:[0,1]
	s_delay_alu instid0(VALU_DEP_1) | instskip(SKIP_2) | instid1(VALU_DEP_2)
	v_pk_fma_f32 v[140:141], v[134:135], v[124:125], v[138:139] op_sel:[0,0,1] op_sel_hi:[1,1,0] neg_lo:[0,0,1] neg_hi:[0,0,1]
	v_pk_fma_f32 v[134:135], v[134:135], v[124:125], v[138:139] op_sel:[0,0,1] op_sel_hi:[1,0,0]
	v_dual_mul_f32 v138, v137, v127 :: v_dual_mov_b32 v134, v137
	v_dual_mov_b32 v141, v135 :: v_dual_mov_b32 v135, v136
	s_delay_alu instid0(VALU_DEP_2) | instskip(SKIP_1) | instid1(VALU_DEP_3)
	v_pk_fma_f32 v[138:139], v[136:137], v[66:67], v[138:139] op_sel_hi:[1,1,0] neg_lo:[0,0,1] neg_hi:[0,0,1]
	v_mul_f32_e32 v136, v137, v124
	v_pk_add_f32 v[78:79], v[78:79], v[140:141] neg_lo:[0,1] neg_hi:[0,1]
	s_delay_alu instid0(VALU_DEP_2) | instskip(NEXT) | instid1(VALU_DEP_1)
	v_pk_fma_f32 v[134:135], v[134:135], v[66:67], v[136:137] op_sel_hi:[1,1,0]
	v_mov_b32_e32 v139, v135
	ds_load_2addr_b64 v[134:137], v128 offset0:34 offset1:35
	v_pk_add_f32 v[76:77], v[76:77], v[138:139] neg_lo:[0,1] neg_hi:[0,1]
	s_wait_dscnt 0x0
	v_pk_mul_f32 v[138:139], v[134:135], v[126:127] op_sel:[0,1]
	s_delay_alu instid0(VALU_DEP_1) | instskip(SKIP_1) | instid1(VALU_DEP_1)
	v_pk_fma_f32 v[140:141], v[134:135], v[124:125], v[138:139] op_sel:[0,0,1] op_sel_hi:[1,1,0] neg_lo:[0,0,1] neg_hi:[0,0,1]
	v_pk_fma_f32 v[134:135], v[134:135], v[124:125], v[138:139] op_sel:[0,0,1] op_sel_hi:[1,0,0]
	v_mov_b32_e32 v141, v135
	v_pk_mul_f32 v[134:135], v[136:137], v[126:127] op_sel:[0,1]
	s_delay_alu instid0(VALU_DEP_1) | instskip(SKIP_1) | instid1(VALU_DEP_1)
	v_pk_fma_f32 v[138:139], v[136:137], v[124:125], v[134:135] op_sel:[0,0,1] op_sel_hi:[1,1,0] neg_lo:[0,0,1] neg_hi:[0,0,1]
	v_pk_fma_f32 v[134:135], v[136:137], v[124:125], v[134:135] op_sel:[0,0,1] op_sel_hi:[1,0,0]
	v_mov_b32_e32 v139, v135
	ds_load_2addr_b64 v[134:137], v128 offset0:36 offset1:37
	v_pk_add_f32 v[56:57], v[56:57], v[140:141] neg_lo:[0,1] neg_hi:[0,1]
	v_pk_add_f32 v[54:55], v[54:55], v[138:139] neg_lo:[0,1] neg_hi:[0,1]
	s_wait_dscnt 0x0
	v_pk_mul_f32 v[138:139], v[134:135], v[126:127] op_sel:[0,1]
	s_delay_alu instid0(VALU_DEP_1) | instskip(SKIP_1) | instid1(VALU_DEP_1)
	v_pk_fma_f32 v[140:141], v[134:135], v[124:125], v[138:139] op_sel:[0,0,1] op_sel_hi:[1,1,0] neg_lo:[0,0,1] neg_hi:[0,0,1]
	v_pk_fma_f32 v[134:135], v[134:135], v[124:125], v[138:139] op_sel:[0,0,1] op_sel_hi:[1,0,0]
	v_mov_b32_e32 v141, v135
	v_pk_mul_f32 v[134:135], v[136:137], v[126:127] op_sel:[0,1]
	s_delay_alu instid0(VALU_DEP_1) | instskip(SKIP_1) | instid1(VALU_DEP_1)
	v_pk_fma_f32 v[138:139], v[136:137], v[124:125], v[134:135] op_sel:[0,0,1] op_sel_hi:[1,1,0] neg_lo:[0,0,1] neg_hi:[0,0,1]
	v_pk_fma_f32 v[134:135], v[136:137], v[124:125], v[134:135] op_sel:[0,0,1] op_sel_hi:[1,0,0]
	v_mov_b32_e32 v139, v135
	ds_load_2addr_b64 v[134:137], v128 offset0:38 offset1:39
	v_pk_add_f32 v[88:89], v[88:89], v[140:141] neg_lo:[0,1] neg_hi:[0,1]
	v_pk_add_f32 v[86:87], v[86:87], v[138:139] neg_lo:[0,1] neg_hi:[0,1]
	s_wait_dscnt 0x0
	v_dual_mul_f32 v138, v135, v127 :: v_dual_mul_f32 v140, v135, v124
	s_delay_alu instid0(VALU_DEP_1) | instskip(NEXT) | instid1(VALU_DEP_2)
	v_pk_fma_f32 v[138:139], v[134:135], v[66:67], v[138:139] op_sel_hi:[1,1,0] neg_lo:[0,0,1] neg_hi:[0,0,1]
	v_pk_fma_f32 v[134:135], v[134:135], v[66:67], v[140:141] op_sel:[1,0,0] op_sel_hi:[0,1,0]
	s_delay_alu instid0(VALU_DEP_1) | instskip(SKIP_1) | instid1(VALU_DEP_2)
	v_mov_b32_e32 v139, v135
	v_pk_mul_f32 v[134:135], v[136:137], v[126:127] op_sel:[0,1]
	v_pk_add_f32 v[64:65], v[64:65], v[138:139] neg_lo:[0,1] neg_hi:[0,1]
	s_delay_alu instid0(VALU_DEP_2) | instskip(SKIP_1) | instid1(VALU_DEP_1)
	v_pk_fma_f32 v[138:139], v[136:137], v[124:125], v[134:135] op_sel:[0,0,1] op_sel_hi:[1,1,0] neg_lo:[0,0,1] neg_hi:[0,0,1]
	v_pk_fma_f32 v[134:135], v[136:137], v[124:125], v[134:135] op_sel:[0,0,1] op_sel_hi:[1,0,0]
	v_mov_b32_e32 v139, v135
	ds_load_2addr_b64 v[134:137], v128 offset0:40 offset1:41
	v_pk_add_f32 v[62:63], v[62:63], v[138:139] neg_lo:[0,1] neg_hi:[0,1]
	s_wait_dscnt 0x0
	v_pk_mul_f32 v[138:139], v[134:135], v[126:127] op_sel:[0,1]
	s_delay_alu instid0(VALU_DEP_1) | instskip(SKIP_1) | instid1(VALU_DEP_1)
	v_pk_fma_f32 v[140:141], v[134:135], v[124:125], v[138:139] op_sel:[0,0,1] op_sel_hi:[1,1,0] neg_lo:[0,0,1] neg_hi:[0,0,1]
	v_pk_fma_f32 v[134:135], v[134:135], v[124:125], v[138:139] op_sel:[0,0,1] op_sel_hi:[1,0,0]
	v_mov_b32_e32 v141, v135
	v_pk_mul_f32 v[134:135], v[136:137], v[126:127] op_sel:[0,1]
	s_delay_alu instid0(VALU_DEP_2) | instskip(NEXT) | instid1(VALU_DEP_2)
	v_pk_add_f32 v[102:103], v[102:103], v[140:141] neg_lo:[0,1] neg_hi:[0,1]
	v_pk_fma_f32 v[138:139], v[136:137], v[124:125], v[134:135] op_sel:[0,0,1] op_sel_hi:[1,1,0] neg_lo:[0,0,1] neg_hi:[0,0,1]
	v_pk_fma_f32 v[134:135], v[136:137], v[124:125], v[134:135] op_sel:[0,0,1] op_sel_hi:[1,0,0]
	s_delay_alu instid0(VALU_DEP_1) | instskip(SKIP_4) | instid1(VALU_DEP_1)
	v_mov_b32_e32 v139, v135
	ds_load_2addr_b64 v[134:137], v128 offset0:42 offset1:43
	v_pk_add_f32 v[100:101], v[100:101], v[138:139] neg_lo:[0,1] neg_hi:[0,1]
	s_wait_dscnt 0x0
	v_pk_mul_f32 v[138:139], v[134:135], v[126:127] op_sel:[0,1]
	v_pk_fma_f32 v[140:141], v[134:135], v[124:125], v[138:139] op_sel:[0,0,1] op_sel_hi:[1,1,0] neg_lo:[0,0,1] neg_hi:[0,0,1]
	v_pk_fma_f32 v[134:135], v[134:135], v[124:125], v[138:139] op_sel:[0,0,1] op_sel_hi:[1,0,0]
	v_dual_mul_f32 v138, v137, v127 :: v_dual_mov_b32 v134, v137
	s_delay_alu instid0(VALU_DEP_2) | instskip(NEXT) | instid1(VALU_DEP_2)
	v_dual_mov_b32 v141, v135 :: v_dual_mov_b32 v135, v136
	v_pk_fma_f32 v[138:139], v[136:137], v[66:67], v[138:139] op_sel_hi:[1,1,0] neg_lo:[0,0,1] neg_hi:[0,0,1]
	v_mul_f32_e32 v136, v137, v124
	s_delay_alu instid0(VALU_DEP_3) | instskip(NEXT) | instid1(VALU_DEP_2)
	v_pk_add_f32 v[72:73], v[72:73], v[140:141] neg_lo:[0,1] neg_hi:[0,1]
	v_pk_fma_f32 v[134:135], v[134:135], v[66:67], v[136:137] op_sel_hi:[1,1,0]
	s_delay_alu instid0(VALU_DEP_1) | instskip(SKIP_4) | instid1(VALU_DEP_1)
	v_mov_b32_e32 v139, v135
	ds_load_2addr_b64 v[134:137], v128 offset0:44 offset1:45
	v_pk_add_f32 v[70:71], v[70:71], v[138:139] neg_lo:[0,1] neg_hi:[0,1]
	s_wait_dscnt 0x0
	v_pk_mul_f32 v[138:139], v[134:135], v[126:127] op_sel:[0,1]
	v_pk_fma_f32 v[140:141], v[134:135], v[124:125], v[138:139] op_sel:[0,0,1] op_sel_hi:[1,1,0] neg_lo:[0,0,1] neg_hi:[0,0,1]
	v_pk_fma_f32 v[134:135], v[134:135], v[124:125], v[138:139] op_sel:[0,0,1] op_sel_hi:[1,0,0]
	s_delay_alu instid0(VALU_DEP_1) | instskip(SKIP_1) | instid1(VALU_DEP_1)
	v_mov_b32_e32 v141, v135
	v_pk_mul_f32 v[134:135], v[136:137], v[126:127] op_sel:[0,1]
	v_pk_fma_f32 v[138:139], v[136:137], v[124:125], v[134:135] op_sel:[0,0,1] op_sel_hi:[1,1,0] neg_lo:[0,0,1] neg_hi:[0,0,1]
	v_pk_fma_f32 v[134:135], v[136:137], v[124:125], v[134:135] op_sel:[0,0,1] op_sel_hi:[1,0,0]
	s_delay_alu instid0(VALU_DEP_1)
	v_mov_b32_e32 v139, v135
	ds_load_2addr_b64 v[134:137], v128 offset0:46 offset1:47
	v_pk_add_f32 v[110:111], v[110:111], v[140:141] neg_lo:[0,1] neg_hi:[0,1]
	v_pk_add_f32 v[108:109], v[108:109], v[138:139] neg_lo:[0,1] neg_hi:[0,1]
	s_wait_dscnt 0x0
	v_pk_mul_f32 v[138:139], v[134:135], v[126:127] op_sel:[0,1]
	s_delay_alu instid0(VALU_DEP_1) | instskip(SKIP_1) | instid1(VALU_DEP_1)
	v_pk_fma_f32 v[140:141], v[134:135], v[124:125], v[138:139] op_sel:[0,0,1] op_sel_hi:[1,1,0] neg_lo:[0,0,1] neg_hi:[0,0,1]
	v_pk_fma_f32 v[134:135], v[134:135], v[124:125], v[138:139] op_sel:[0,0,1] op_sel_hi:[1,0,0]
	v_mov_b32_e32 v141, v135
	v_pk_mul_f32 v[134:135], v[136:137], v[126:127] op_sel:[0,1]
	s_delay_alu instid0(VALU_DEP_1) | instskip(SKIP_1) | instid1(VALU_DEP_1)
	v_pk_fma_f32 v[138:139], v[136:137], v[124:125], v[134:135] op_sel:[0,0,1] op_sel_hi:[1,1,0] neg_lo:[0,0,1] neg_hi:[0,0,1]
	v_pk_fma_f32 v[134:135], v[136:137], v[124:125], v[134:135] op_sel:[0,0,1] op_sel_hi:[1,0,0]
	v_mov_b32_e32 v139, v135
	ds_load_2addr_b64 v[134:137], v128 offset0:48 offset1:49
	v_pk_add_f32 v[82:83], v[82:83], v[140:141] neg_lo:[0,1] neg_hi:[0,1]
	v_pk_add_f32 v[80:81], v[80:81], v[138:139] neg_lo:[0,1] neg_hi:[0,1]
	s_wait_dscnt 0x0
	v_dual_mul_f32 v138, v135, v127 :: v_dual_mul_f32 v140, v135, v124
	s_delay_alu instid0(VALU_DEP_1) | instskip(NEXT) | instid1(VALU_DEP_2)
	v_pk_fma_f32 v[138:139], v[134:135], v[66:67], v[138:139] op_sel_hi:[1,1,0] neg_lo:[0,0,1] neg_hi:[0,0,1]
	v_pk_fma_f32 v[134:135], v[134:135], v[66:67], v[140:141] op_sel:[1,0,0] op_sel_hi:[0,1,0]
	s_delay_alu instid0(VALU_DEP_1) | instskip(SKIP_1) | instid1(VALU_DEP_2)
	v_mov_b32_e32 v139, v135
	v_pk_mul_f32 v[134:135], v[136:137], v[126:127] op_sel:[0,1]
	v_pk_add_f32 v[120:121], v[120:121], v[138:139] neg_lo:[0,1] neg_hi:[0,1]
	s_delay_alu instid0(VALU_DEP_2) | instskip(SKIP_1) | instid1(VALU_DEP_1)
	v_pk_fma_f32 v[138:139], v[136:137], v[124:125], v[134:135] op_sel:[0,0,1] op_sel_hi:[1,1,0] neg_lo:[0,0,1] neg_hi:[0,0,1]
	v_pk_fma_f32 v[134:135], v[136:137], v[124:125], v[134:135] op_sel:[0,0,1] op_sel_hi:[1,0,0]
	v_mov_b32_e32 v139, v135
	ds_load_2addr_b64 v[134:137], v128 offset0:50 offset1:51
	v_pk_add_f32 v[118:119], v[118:119], v[138:139] neg_lo:[0,1] neg_hi:[0,1]
	s_wait_dscnt 0x0
	v_pk_mul_f32 v[138:139], v[134:135], v[126:127] op_sel:[0,1]
	s_delay_alu instid0(VALU_DEP_1) | instskip(SKIP_1) | instid1(VALU_DEP_1)
	v_pk_fma_f32 v[140:141], v[134:135], v[124:125], v[138:139] op_sel:[0,0,1] op_sel_hi:[1,1,0] neg_lo:[0,0,1] neg_hi:[0,0,1]
	v_pk_fma_f32 v[134:135], v[134:135], v[124:125], v[138:139] op_sel:[0,0,1] op_sel_hi:[1,0,0]
	v_mov_b32_e32 v141, v135
	v_pk_mul_f32 v[134:135], v[136:137], v[126:127] op_sel:[0,1]
	s_delay_alu instid0(VALU_DEP_2) | instskip(NEXT) | instid1(VALU_DEP_2)
	v_pk_add_f32 v[94:95], v[94:95], v[140:141] neg_lo:[0,1] neg_hi:[0,1]
	v_pk_fma_f32 v[138:139], v[136:137], v[124:125], v[134:135] op_sel:[0,0,1] op_sel_hi:[1,1,0] neg_lo:[0,0,1] neg_hi:[0,0,1]
	v_pk_fma_f32 v[134:135], v[136:137], v[124:125], v[134:135] op_sel:[0,0,1] op_sel_hi:[1,0,0]
	s_delay_alu instid0(VALU_DEP_1) | instskip(SKIP_4) | instid1(VALU_DEP_1)
	v_mov_b32_e32 v139, v135
	ds_load_2addr_b64 v[134:137], v128 offset0:52 offset1:53
	v_pk_add_f32 v[96:97], v[96:97], v[138:139] neg_lo:[0,1] neg_hi:[0,1]
	s_wait_dscnt 0x0
	v_pk_mul_f32 v[138:139], v[134:135], v[126:127] op_sel:[0,1]
	v_pk_fma_f32 v[140:141], v[134:135], v[124:125], v[138:139] op_sel:[0,0,1] op_sel_hi:[1,1,0] neg_lo:[0,0,1] neg_hi:[0,0,1]
	v_pk_fma_f32 v[134:135], v[134:135], v[124:125], v[138:139] op_sel:[0,0,1] op_sel_hi:[1,0,0]
	v_dual_mul_f32 v138, v137, v127 :: v_dual_mov_b32 v134, v137
	s_delay_alu instid0(VALU_DEP_2) | instskip(NEXT) | instid1(VALU_DEP_2)
	v_dual_mov_b32 v141, v135 :: v_dual_mov_b32 v135, v136
	v_pk_fma_f32 v[138:139], v[136:137], v[66:67], v[138:139] op_sel_hi:[1,1,0] neg_lo:[0,0,1] neg_hi:[0,0,1]
	v_mul_f32_e32 v136, v137, v124
	s_delay_alu instid0(VALU_DEP_3) | instskip(NEXT) | instid1(VALU_DEP_2)
	v_pk_add_f32 v[114:115], v[114:115], v[140:141] neg_lo:[0,1] neg_hi:[0,1]
	v_pk_fma_f32 v[134:135], v[134:135], v[66:67], v[136:137] op_sel_hi:[1,1,0]
	s_delay_alu instid0(VALU_DEP_1) | instskip(SKIP_4) | instid1(VALU_DEP_1)
	v_mov_b32_e32 v139, v135
	ds_load_2addr_b64 v[134:137], v128 offset0:54 offset1:55
	v_pk_add_f32 v[112:113], v[112:113], v[138:139] neg_lo:[0,1] neg_hi:[0,1]
	s_wait_dscnt 0x0
	v_pk_mul_f32 v[138:139], v[134:135], v[126:127] op_sel:[0,1]
	v_pk_fma_f32 v[140:141], v[134:135], v[124:125], v[138:139] op_sel:[0,0,1] op_sel_hi:[1,1,0] neg_lo:[0,0,1] neg_hi:[0,0,1]
	v_pk_fma_f32 v[134:135], v[134:135], v[124:125], v[138:139] op_sel:[0,0,1] op_sel_hi:[1,0,0]
	s_delay_alu instid0(VALU_DEP_1) | instskip(SKIP_1) | instid1(VALU_DEP_1)
	v_mov_b32_e32 v141, v135
	v_pk_mul_f32 v[134:135], v[136:137], v[126:127] op_sel:[0,1]
	v_pk_fma_f32 v[138:139], v[136:137], v[124:125], v[134:135] op_sel:[0,0,1] op_sel_hi:[1,1,0] neg_lo:[0,0,1] neg_hi:[0,0,1]
	v_pk_fma_f32 v[134:135], v[136:137], v[124:125], v[134:135] op_sel:[0,0,1] op_sel_hi:[1,0,0]
	s_delay_alu instid0(VALU_DEP_1)
	v_mov_b32_e32 v139, v135
	ds_load_2addr_b64 v[134:137], v128 offset0:56 offset1:57
	v_pk_add_f32 v[92:93], v[92:93], v[140:141] neg_lo:[0,1] neg_hi:[0,1]
	v_pk_add_f32 v[90:91], v[90:91], v[138:139] neg_lo:[0,1] neg_hi:[0,1]
	s_wait_dscnt 0x0
	v_pk_mul_f32 v[138:139], v[134:135], v[126:127] op_sel:[0,1]
	s_delay_alu instid0(VALU_DEP_1) | instskip(SKIP_1) | instid1(VALU_DEP_1)
	v_pk_fma_f32 v[140:141], v[134:135], v[124:125], v[138:139] op_sel:[0,0,1] op_sel_hi:[1,1,0] neg_lo:[0,0,1] neg_hi:[0,0,1]
	v_pk_fma_f32 v[134:135], v[134:135], v[124:125], v[138:139] op_sel:[0,0,1] op_sel_hi:[1,0,0]
	v_mov_b32_e32 v141, v135
	v_pk_mul_f32 v[134:135], v[136:137], v[126:127] op_sel:[0,1]
	s_delay_alu instid0(VALU_DEP_1) | instskip(SKIP_1) | instid1(VALU_DEP_1)
	v_pk_fma_f32 v[138:139], v[136:137], v[124:125], v[134:135] op_sel:[0,0,1] op_sel_hi:[1,1,0] neg_lo:[0,0,1] neg_hi:[0,0,1]
	v_pk_fma_f32 v[134:135], v[136:137], v[124:125], v[134:135] op_sel:[0,0,1] op_sel_hi:[1,0,0]
	v_mov_b32_e32 v139, v135
	ds_load_b64 v[134:135], v128 offset:464
	v_pk_add_f32 v[104:105], v[104:105], v[140:141] neg_lo:[0,1] neg_hi:[0,1]
	v_pk_add_f32 v[98:99], v[98:99], v[138:139] neg_lo:[0,1] neg_hi:[0,1]
	s_wait_dscnt 0x0
	v_pk_mul_f32 v[126:127], v[134:135], v[126:127] op_sel:[0,1]
	s_delay_alu instid0(VALU_DEP_1) | instskip(SKIP_1) | instid1(VALU_DEP_1)
	v_pk_fma_f32 v[136:137], v[134:135], v[124:125], v[126:127] op_sel:[0,0,1] op_sel_hi:[1,1,0] neg_lo:[0,0,1] neg_hi:[0,0,1]
	v_pk_fma_f32 v[124:125], v[134:135], v[124:125], v[126:127] op_sel:[0,0,1] op_sel_hi:[1,0,0]
	v_mov_b32_e32 v137, v125
	s_delay_alu instid0(VALU_DEP_1)
	v_pk_add_f32 v[122:123], v[122:123], v[136:137] neg_lo:[0,1] neg_hi:[0,1]
.LBB116_629:
	s_or_b32 exec_lo, exec_lo, s0
	v_lshl_add_u32 v124, v132, 3, v128
	s_barrier_signal -1
	s_barrier_wait -1
	ds_store_b64 v124, v[48:49]
	s_wait_dscnt 0x0
	s_barrier_signal -1
	s_barrier_wait -1
	ds_load_b64 v[126:127], v128 offset:240
	v_mov_b32_e32 v124, 30
	s_cmp_lt_i32 s18, 32
	s_cbranch_scc1 .LBB116_632
; %bb.630:
	v_add3_u32 v125, v129, 0, 0xf8
	v_mov_b32_e32 v124, 30
	s_mov_b32 s0, 31
.LBB116_631:                            ; =>This Inner Loop Header: Depth=1
	ds_load_b64 v[134:135], v125
	s_wait_dscnt 0x1
	v_cmp_gt_f32_e32 vcc_lo, 0, v126
	v_cndmask_b32_e64 v136, v126, -v126, vcc_lo
	v_cmp_gt_f32_e32 vcc_lo, 0, v127
	v_cndmask_b32_e64 v138, v127, -v127, vcc_lo
	s_wait_dscnt 0x0
	v_cmp_gt_f32_e32 vcc_lo, 0, v134
	v_cndmask_b32_e64 v137, v134, -v134, vcc_lo
	v_cmp_gt_f32_e32 vcc_lo, 0, v135
	v_cndmask_b32_e64 v139, v135, -v135, vcc_lo
	s_delay_alu instid0(VALU_DEP_1) | instskip(NEXT) | instid1(VALU_DEP_1)
	v_pk_add_f32 v[136:137], v[136:137], v[138:139]
	v_cmp_lt_f32_e32 vcc_lo, v136, v137
	v_dual_add_nc_u32 v125, 8, v125 :: v_dual_cndmask_b32 v127, v127, v135, vcc_lo
	v_cndmask_b32_e32 v126, v126, v134, vcc_lo
	v_cndmask_b32_e64 v124, v124, s0, vcc_lo
	s_add_co_i32 s0, s0, 1
	s_delay_alu instid0(SALU_CYCLE_1)
	s_cmp_lg_u32 s18, s0
	s_cbranch_scc1 .LBB116_631
.LBB116_632:
	s_wait_dscnt 0x0
	v_cmp_eq_f32_e32 vcc_lo, 0, v126
	v_cmp_eq_f32_e64 s0, 0, v127
	s_and_b32 s0, vcc_lo, s0
	s_delay_alu instid0(SALU_CYCLE_1) | instskip(NEXT) | instid1(SALU_CYCLE_1)
	s_and_saveexec_b32 s1, s0
	s_xor_b32 s0, exec_lo, s1
; %bb.633:
	v_cmp_ne_u32_e32 vcc_lo, 0, v130
	v_cndmask_b32_e32 v130, 31, v130, vcc_lo
; %bb.634:
	s_and_not1_saveexec_b32 s0, s0
	s_cbranch_execz .LBB116_640
; %bb.635:
	v_cmp_ngt_f32_e64 s1, |v126|, |v127|
	s_and_saveexec_b32 s12, s1
	s_delay_alu instid0(SALU_CYCLE_1)
	s_xor_b32 s1, exec_lo, s12
	s_cbranch_execz .LBB116_637
; %bb.636:
	v_div_scale_f32 v125, null, v127, v127, v126
	v_div_scale_f32 v135, vcc_lo, v126, v127, v126
	s_delay_alu instid0(VALU_DEP_2) | instskip(SKIP_1) | instid1(TRANS32_DEP_1)
	v_rcp_f32_e32 v133, v125
	v_nop
	v_fma_f32 v134, -v125, v133, 1.0
	s_delay_alu instid0(VALU_DEP_1) | instskip(NEXT) | instid1(VALU_DEP_1)
	v_fmac_f32_e32 v133, v134, v133
	v_mul_f32_e32 v134, v135, v133
	s_delay_alu instid0(VALU_DEP_1) | instskip(NEXT) | instid1(VALU_DEP_1)
	v_fma_f32 v136, -v125, v134, v135
	v_fmac_f32_e32 v134, v136, v133
	s_delay_alu instid0(VALU_DEP_1) | instskip(NEXT) | instid1(VALU_DEP_1)
	v_fma_f32 v125, -v125, v134, v135
	v_div_fmas_f32 v125, v125, v133, v134
	s_delay_alu instid0(VALU_DEP_1) | instskip(NEXT) | instid1(VALU_DEP_1)
	v_div_fixup_f32 v125, v125, v127, v126
	v_fmac_f32_e32 v127, v126, v125
	s_delay_alu instid0(VALU_DEP_1) | instskip(SKIP_1) | instid1(VALU_DEP_2)
	v_div_scale_f32 v126, null, v127, v127, 1.0
	v_div_scale_f32 v135, vcc_lo, 1.0, v127, 1.0
	v_rcp_f32_e32 v133, v126
	v_nop
	s_delay_alu instid0(TRANS32_DEP_1) | instskip(NEXT) | instid1(VALU_DEP_1)
	v_fma_f32 v134, -v126, v133, 1.0
	v_fmac_f32_e32 v133, v134, v133
	s_delay_alu instid0(VALU_DEP_1) | instskip(NEXT) | instid1(VALU_DEP_1)
	v_mul_f32_e32 v134, v135, v133
	v_fma_f32 v136, -v126, v134, v135
	s_delay_alu instid0(VALU_DEP_1) | instskip(NEXT) | instid1(VALU_DEP_1)
	v_fmac_f32_e32 v134, v136, v133
	v_fma_f32 v126, -v126, v134, v135
	s_delay_alu instid0(VALU_DEP_1) | instskip(NEXT) | instid1(VALU_DEP_1)
	v_div_fmas_f32 v126, v126, v133, v134
	v_div_fixup_f32 v127, v126, v127, 1.0
	s_delay_alu instid0(VALU_DEP_1)
	v_mul_f32_e32 v126, v125, v127
	v_xor_b32_e32 v127, 0x80000000, v127
.LBB116_637:
	s_and_not1_saveexec_b32 s1, s1
	s_cbranch_execz .LBB116_639
; %bb.638:
	s_delay_alu instid0(VALU_DEP_1) | instskip(SKIP_1) | instid1(VALU_DEP_2)
	v_div_scale_f32 v125, null, v126, v126, v127
	v_div_scale_f32 v135, vcc_lo, v127, v126, v127
	v_rcp_f32_e32 v133, v125
	v_nop
	s_delay_alu instid0(TRANS32_DEP_1) | instskip(NEXT) | instid1(VALU_DEP_1)
	v_fma_f32 v134, -v125, v133, 1.0
	v_fmac_f32_e32 v133, v134, v133
	s_delay_alu instid0(VALU_DEP_1) | instskip(NEXT) | instid1(VALU_DEP_1)
	v_mul_f32_e32 v134, v135, v133
	v_fma_f32 v136, -v125, v134, v135
	s_delay_alu instid0(VALU_DEP_1) | instskip(NEXT) | instid1(VALU_DEP_1)
	v_fmac_f32_e32 v134, v136, v133
	v_fma_f32 v125, -v125, v134, v135
	s_delay_alu instid0(VALU_DEP_1) | instskip(NEXT) | instid1(VALU_DEP_1)
	v_div_fmas_f32 v125, v125, v133, v134
	v_div_fixup_f32 v125, v125, v126, v127
	s_delay_alu instid0(VALU_DEP_1) | instskip(NEXT) | instid1(VALU_DEP_1)
	v_fmac_f32_e32 v126, v127, v125
	v_div_scale_f32 v127, null, v126, v126, 1.0
	s_delay_alu instid0(VALU_DEP_1) | instskip(SKIP_1) | instid1(TRANS32_DEP_1)
	v_rcp_f32_e32 v133, v127
	v_nop
	v_fma_f32 v134, -v127, v133, 1.0
	s_delay_alu instid0(VALU_DEP_1) | instskip(SKIP_1) | instid1(VALU_DEP_1)
	v_fmac_f32_e32 v133, v134, v133
	v_div_scale_f32 v134, vcc_lo, 1.0, v126, 1.0
	v_mul_f32_e32 v135, v134, v133
	s_delay_alu instid0(VALU_DEP_1) | instskip(NEXT) | instid1(VALU_DEP_1)
	v_fma_f32 v136, -v127, v135, v134
	v_fmac_f32_e32 v135, v136, v133
	s_delay_alu instid0(VALU_DEP_1) | instskip(NEXT) | instid1(VALU_DEP_1)
	v_fma_f32 v127, -v127, v135, v134
	v_div_fmas_f32 v127, v127, v133, v135
	s_delay_alu instid0(VALU_DEP_1) | instskip(NEXT) | instid1(VALU_DEP_1)
	v_div_fixup_f32 v126, v127, v126, 1.0
	v_mul_f32_e64 v127, v125, -v126
.LBB116_639:
	s_or_b32 exec_lo, exec_lo, s1
.LBB116_640:
	s_delay_alu instid0(SALU_CYCLE_1) | instskip(NEXT) | instid1(SALU_CYCLE_1)
	s_or_b32 exec_lo, exec_lo, s0
	s_mov_b32 s0, exec_lo
	v_cmpx_ne_u32_e64 v132, v124
	s_xor_b32 s0, exec_lo, s0
	s_cbranch_execz .LBB116_646
; %bb.641:
	s_mov_b32 s1, exec_lo
	v_cmpx_eq_u32_e32 30, v132
	s_cbranch_execz .LBB116_645
; %bb.642:
	v_cmp_ne_u32_e32 vcc_lo, 30, v124
	s_xor_b32 s12, s16, -1
	s_delay_alu instid0(SALU_CYCLE_1) | instskip(NEXT) | instid1(SALU_CYCLE_1)
	s_and_b32 s13, s12, vcc_lo
	s_and_saveexec_b32 s12, s13
	s_cbranch_execz .LBB116_644
; %bb.643:
	v_ashrrev_i32_e32 v125, 31, v124
	s_delay_alu instid0(VALU_DEP_1)
	v_lshl_add_u64 v[132:133], v[124:125], 2, v[4:5]
	s_clause 0x1
	global_load_b32 v125, v[132:133], off
	global_load_b32 v131, v[4:5], off offset:120
	s_wait_loadcnt 0x1
	global_store_b32 v[4:5], v125, off offset:120
	s_wait_loadcnt 0x0
	global_store_b32 v[132:133], v131, off
.LBB116_644:
	s_wait_xcnt 0x0
	s_or_b32 exec_lo, exec_lo, s12
	v_dual_mov_b32 v132, v124 :: v_dual_mov_b32 v131, v124
.LBB116_645:
	s_or_b32 exec_lo, exec_lo, s1
.LBB116_646:
	s_and_not1_saveexec_b32 s0, s0
	s_cbranch_execz .LBB116_648
; %bb.647:
	v_mov_b32_e32 v132, 30
	ds_store_2addr_b64 v128, v[46:47], v[78:79] offset0:31 offset1:32
	ds_store_2addr_b64 v128, v[76:77], v[56:57] offset0:33 offset1:34
	;; [unrolled: 1-line block ×14, first 2 shown]
.LBB116_648:
	s_or_b32 exec_lo, exec_lo, s0
	s_delay_alu instid0(SALU_CYCLE_1)
	s_mov_b32 s0, exec_lo
	s_wait_storecnt_dscnt 0x0
	s_barrier_signal -1
	s_barrier_wait -1
	v_cmpx_lt_i32_e32 30, v132
	s_cbranch_execz .LBB116_650
; %bb.649:
	v_pk_mul_f32 v[134:135], v[126:127], v[48:49] op_sel:[1,1] op_sel_hi:[0,1]
	s_delay_alu instid0(VALU_DEP_1)
	v_pk_fma_f32 v[124:125], v[126:127], v[48:49], v[134:135] op_sel_hi:[1,0,1] neg_lo:[0,0,1] neg_hi:[0,0,1]
	v_pk_fma_f32 v[126:127], v[126:127], v[48:49], v[134:135] op_sel_hi:[1,0,1]
	ds_load_2addr_b64 v[134:137], v128 offset0:31 offset1:32
	v_dual_mov_b32 v48, v124 :: v_dual_mov_b32 v49, v127
	s_wait_dscnt 0x0
	v_pk_mul_f32 v[138:139], v[134:135], v[126:127] op_sel:[0,1]
	s_delay_alu instid0(VALU_DEP_1) | instskip(SKIP_1) | instid1(VALU_DEP_1)
	v_pk_fma_f32 v[140:141], v[134:135], v[124:125], v[138:139] op_sel:[0,0,1] op_sel_hi:[1,1,0] neg_lo:[0,0,1] neg_hi:[0,0,1]
	v_pk_fma_f32 v[134:135], v[134:135], v[124:125], v[138:139] op_sel:[0,0,1] op_sel_hi:[1,0,0]
	v_mov_b32_e32 v141, v135
	v_pk_mul_f32 v[134:135], v[136:137], v[126:127] op_sel:[0,1]
	s_delay_alu instid0(VALU_DEP_1) | instskip(SKIP_1) | instid1(VALU_DEP_1)
	v_pk_fma_f32 v[138:139], v[136:137], v[124:125], v[134:135] op_sel:[0,0,1] op_sel_hi:[1,1,0] neg_lo:[0,0,1] neg_hi:[0,0,1]
	v_pk_fma_f32 v[134:135], v[136:137], v[124:125], v[134:135] op_sel:[0,0,1] op_sel_hi:[1,0,0]
	v_mov_b32_e32 v139, v135
	ds_load_2addr_b64 v[134:137], v128 offset0:33 offset1:34
	v_pk_add_f32 v[46:47], v[46:47], v[140:141] neg_lo:[0,1] neg_hi:[0,1]
	v_pk_add_f32 v[78:79], v[78:79], v[138:139] neg_lo:[0,1] neg_hi:[0,1]
	s_wait_dscnt 0x0
	v_pk_mul_f32 v[138:139], v[134:135], v[126:127] op_sel:[0,1]
	s_delay_alu instid0(VALU_DEP_1) | instskip(SKIP_2) | instid1(VALU_DEP_2)
	v_pk_fma_f32 v[140:141], v[134:135], v[124:125], v[138:139] op_sel:[0,0,1] op_sel_hi:[1,1,0] neg_lo:[0,0,1] neg_hi:[0,0,1]
	v_pk_fma_f32 v[134:135], v[134:135], v[124:125], v[138:139] op_sel:[0,0,1] op_sel_hi:[1,0,0]
	v_dual_mul_f32 v138, v137, v127 :: v_dual_mov_b32 v134, v137
	v_dual_mov_b32 v141, v135 :: v_dual_mov_b32 v135, v136
	s_delay_alu instid0(VALU_DEP_2) | instskip(SKIP_1) | instid1(VALU_DEP_3)
	v_pk_fma_f32 v[138:139], v[136:137], v[48:49], v[138:139] op_sel_hi:[1,1,0] neg_lo:[0,0,1] neg_hi:[0,0,1]
	v_mul_f32_e32 v136, v137, v124
	v_pk_add_f32 v[76:77], v[76:77], v[140:141] neg_lo:[0,1] neg_hi:[0,1]
	s_delay_alu instid0(VALU_DEP_2) | instskip(NEXT) | instid1(VALU_DEP_1)
	v_pk_fma_f32 v[134:135], v[134:135], v[48:49], v[136:137] op_sel_hi:[1,1,0]
	v_mov_b32_e32 v139, v135
	ds_load_2addr_b64 v[134:137], v128 offset0:35 offset1:36
	v_pk_add_f32 v[56:57], v[56:57], v[138:139] neg_lo:[0,1] neg_hi:[0,1]
	s_wait_dscnt 0x0
	v_pk_mul_f32 v[138:139], v[134:135], v[126:127] op_sel:[0,1]
	s_delay_alu instid0(VALU_DEP_1) | instskip(SKIP_1) | instid1(VALU_DEP_1)
	v_pk_fma_f32 v[140:141], v[134:135], v[124:125], v[138:139] op_sel:[0,0,1] op_sel_hi:[1,1,0] neg_lo:[0,0,1] neg_hi:[0,0,1]
	v_pk_fma_f32 v[134:135], v[134:135], v[124:125], v[138:139] op_sel:[0,0,1] op_sel_hi:[1,0,0]
	v_mov_b32_e32 v141, v135
	v_pk_mul_f32 v[134:135], v[136:137], v[126:127] op_sel:[0,1]
	s_delay_alu instid0(VALU_DEP_1) | instskip(SKIP_1) | instid1(VALU_DEP_1)
	v_pk_fma_f32 v[138:139], v[136:137], v[124:125], v[134:135] op_sel:[0,0,1] op_sel_hi:[1,1,0] neg_lo:[0,0,1] neg_hi:[0,0,1]
	v_pk_fma_f32 v[134:135], v[136:137], v[124:125], v[134:135] op_sel:[0,0,1] op_sel_hi:[1,0,0]
	v_mov_b32_e32 v139, v135
	ds_load_2addr_b64 v[134:137], v128 offset0:37 offset1:38
	v_pk_add_f32 v[54:55], v[54:55], v[140:141] neg_lo:[0,1] neg_hi:[0,1]
	v_pk_add_f32 v[88:89], v[88:89], v[138:139] neg_lo:[0,1] neg_hi:[0,1]
	s_wait_dscnt 0x0
	v_pk_mul_f32 v[138:139], v[134:135], v[126:127] op_sel:[0,1]
	s_delay_alu instid0(VALU_DEP_1) | instskip(SKIP_1) | instid1(VALU_DEP_1)
	v_pk_fma_f32 v[140:141], v[134:135], v[124:125], v[138:139] op_sel:[0,0,1] op_sel_hi:[1,1,0] neg_lo:[0,0,1] neg_hi:[0,0,1]
	v_pk_fma_f32 v[134:135], v[134:135], v[124:125], v[138:139] op_sel:[0,0,1] op_sel_hi:[1,0,0]
	v_mov_b32_e32 v141, v135
	v_pk_mul_f32 v[134:135], v[136:137], v[126:127] op_sel:[0,1]
	s_delay_alu instid0(VALU_DEP_1) | instskip(SKIP_1) | instid1(VALU_DEP_1)
	v_pk_fma_f32 v[138:139], v[136:137], v[124:125], v[134:135] op_sel:[0,0,1] op_sel_hi:[1,1,0] neg_lo:[0,0,1] neg_hi:[0,0,1]
	v_pk_fma_f32 v[134:135], v[136:137], v[124:125], v[134:135] op_sel:[0,0,1] op_sel_hi:[1,0,0]
	v_mov_b32_e32 v139, v135
	ds_load_2addr_b64 v[134:137], v128 offset0:39 offset1:40
	v_pk_add_f32 v[86:87], v[86:87], v[140:141] neg_lo:[0,1] neg_hi:[0,1]
	v_pk_add_f32 v[64:65], v[64:65], v[138:139] neg_lo:[0,1] neg_hi:[0,1]
	s_wait_dscnt 0x0
	v_dual_mul_f32 v138, v135, v127 :: v_dual_mul_f32 v140, v135, v124
	s_delay_alu instid0(VALU_DEP_1) | instskip(NEXT) | instid1(VALU_DEP_2)
	v_pk_fma_f32 v[138:139], v[134:135], v[48:49], v[138:139] op_sel_hi:[1,1,0] neg_lo:[0,0,1] neg_hi:[0,0,1]
	v_pk_fma_f32 v[134:135], v[134:135], v[48:49], v[140:141] op_sel:[1,0,0] op_sel_hi:[0,1,0]
	s_delay_alu instid0(VALU_DEP_1) | instskip(SKIP_1) | instid1(VALU_DEP_2)
	v_mov_b32_e32 v139, v135
	v_pk_mul_f32 v[134:135], v[136:137], v[126:127] op_sel:[0,1]
	v_pk_add_f32 v[62:63], v[62:63], v[138:139] neg_lo:[0,1] neg_hi:[0,1]
	s_delay_alu instid0(VALU_DEP_2) | instskip(SKIP_1) | instid1(VALU_DEP_1)
	v_pk_fma_f32 v[138:139], v[136:137], v[124:125], v[134:135] op_sel:[0,0,1] op_sel_hi:[1,1,0] neg_lo:[0,0,1] neg_hi:[0,0,1]
	v_pk_fma_f32 v[134:135], v[136:137], v[124:125], v[134:135] op_sel:[0,0,1] op_sel_hi:[1,0,0]
	v_mov_b32_e32 v139, v135
	ds_load_2addr_b64 v[134:137], v128 offset0:41 offset1:42
	v_pk_add_f32 v[102:103], v[102:103], v[138:139] neg_lo:[0,1] neg_hi:[0,1]
	s_wait_dscnt 0x0
	v_pk_mul_f32 v[138:139], v[134:135], v[126:127] op_sel:[0,1]
	s_delay_alu instid0(VALU_DEP_1) | instskip(SKIP_1) | instid1(VALU_DEP_1)
	v_pk_fma_f32 v[140:141], v[134:135], v[124:125], v[138:139] op_sel:[0,0,1] op_sel_hi:[1,1,0] neg_lo:[0,0,1] neg_hi:[0,0,1]
	v_pk_fma_f32 v[134:135], v[134:135], v[124:125], v[138:139] op_sel:[0,0,1] op_sel_hi:[1,0,0]
	v_mov_b32_e32 v141, v135
	v_pk_mul_f32 v[134:135], v[136:137], v[126:127] op_sel:[0,1]
	s_delay_alu instid0(VALU_DEP_2) | instskip(NEXT) | instid1(VALU_DEP_2)
	v_pk_add_f32 v[100:101], v[100:101], v[140:141] neg_lo:[0,1] neg_hi:[0,1]
	v_pk_fma_f32 v[138:139], v[136:137], v[124:125], v[134:135] op_sel:[0,0,1] op_sel_hi:[1,1,0] neg_lo:[0,0,1] neg_hi:[0,0,1]
	v_pk_fma_f32 v[134:135], v[136:137], v[124:125], v[134:135] op_sel:[0,0,1] op_sel_hi:[1,0,0]
	s_delay_alu instid0(VALU_DEP_1) | instskip(SKIP_4) | instid1(VALU_DEP_1)
	v_mov_b32_e32 v139, v135
	ds_load_2addr_b64 v[134:137], v128 offset0:43 offset1:44
	v_pk_add_f32 v[72:73], v[72:73], v[138:139] neg_lo:[0,1] neg_hi:[0,1]
	s_wait_dscnt 0x0
	v_pk_mul_f32 v[138:139], v[134:135], v[126:127] op_sel:[0,1]
	v_pk_fma_f32 v[140:141], v[134:135], v[124:125], v[138:139] op_sel:[0,0,1] op_sel_hi:[1,1,0] neg_lo:[0,0,1] neg_hi:[0,0,1]
	v_pk_fma_f32 v[134:135], v[134:135], v[124:125], v[138:139] op_sel:[0,0,1] op_sel_hi:[1,0,0]
	v_dual_mul_f32 v138, v137, v127 :: v_dual_mov_b32 v134, v137
	s_delay_alu instid0(VALU_DEP_2) | instskip(NEXT) | instid1(VALU_DEP_2)
	v_dual_mov_b32 v141, v135 :: v_dual_mov_b32 v135, v136
	v_pk_fma_f32 v[138:139], v[136:137], v[48:49], v[138:139] op_sel_hi:[1,1,0] neg_lo:[0,0,1] neg_hi:[0,0,1]
	v_mul_f32_e32 v136, v137, v124
	s_delay_alu instid0(VALU_DEP_3) | instskip(NEXT) | instid1(VALU_DEP_2)
	v_pk_add_f32 v[70:71], v[70:71], v[140:141] neg_lo:[0,1] neg_hi:[0,1]
	v_pk_fma_f32 v[134:135], v[134:135], v[48:49], v[136:137] op_sel_hi:[1,1,0]
	s_delay_alu instid0(VALU_DEP_1) | instskip(SKIP_4) | instid1(VALU_DEP_1)
	v_mov_b32_e32 v139, v135
	ds_load_2addr_b64 v[134:137], v128 offset0:45 offset1:46
	v_pk_add_f32 v[110:111], v[110:111], v[138:139] neg_lo:[0,1] neg_hi:[0,1]
	s_wait_dscnt 0x0
	v_pk_mul_f32 v[138:139], v[134:135], v[126:127] op_sel:[0,1]
	v_pk_fma_f32 v[140:141], v[134:135], v[124:125], v[138:139] op_sel:[0,0,1] op_sel_hi:[1,1,0] neg_lo:[0,0,1] neg_hi:[0,0,1]
	v_pk_fma_f32 v[134:135], v[134:135], v[124:125], v[138:139] op_sel:[0,0,1] op_sel_hi:[1,0,0]
	s_delay_alu instid0(VALU_DEP_1) | instskip(SKIP_1) | instid1(VALU_DEP_1)
	v_mov_b32_e32 v141, v135
	v_pk_mul_f32 v[134:135], v[136:137], v[126:127] op_sel:[0,1]
	v_pk_fma_f32 v[138:139], v[136:137], v[124:125], v[134:135] op_sel:[0,0,1] op_sel_hi:[1,1,0] neg_lo:[0,0,1] neg_hi:[0,0,1]
	v_pk_fma_f32 v[134:135], v[136:137], v[124:125], v[134:135] op_sel:[0,0,1] op_sel_hi:[1,0,0]
	s_delay_alu instid0(VALU_DEP_1)
	v_mov_b32_e32 v139, v135
	ds_load_2addr_b64 v[134:137], v128 offset0:47 offset1:48
	v_pk_add_f32 v[108:109], v[108:109], v[140:141] neg_lo:[0,1] neg_hi:[0,1]
	v_pk_add_f32 v[82:83], v[82:83], v[138:139] neg_lo:[0,1] neg_hi:[0,1]
	s_wait_dscnt 0x0
	v_pk_mul_f32 v[138:139], v[134:135], v[126:127] op_sel:[0,1]
	s_delay_alu instid0(VALU_DEP_1) | instskip(SKIP_1) | instid1(VALU_DEP_1)
	v_pk_fma_f32 v[140:141], v[134:135], v[124:125], v[138:139] op_sel:[0,0,1] op_sel_hi:[1,1,0] neg_lo:[0,0,1] neg_hi:[0,0,1]
	v_pk_fma_f32 v[134:135], v[134:135], v[124:125], v[138:139] op_sel:[0,0,1] op_sel_hi:[1,0,0]
	v_mov_b32_e32 v141, v135
	v_pk_mul_f32 v[134:135], v[136:137], v[126:127] op_sel:[0,1]
	s_delay_alu instid0(VALU_DEP_1) | instskip(SKIP_1) | instid1(VALU_DEP_1)
	v_pk_fma_f32 v[138:139], v[136:137], v[124:125], v[134:135] op_sel:[0,0,1] op_sel_hi:[1,1,0] neg_lo:[0,0,1] neg_hi:[0,0,1]
	v_pk_fma_f32 v[134:135], v[136:137], v[124:125], v[134:135] op_sel:[0,0,1] op_sel_hi:[1,0,0]
	v_mov_b32_e32 v139, v135
	ds_load_2addr_b64 v[134:137], v128 offset0:49 offset1:50
	v_pk_add_f32 v[80:81], v[80:81], v[140:141] neg_lo:[0,1] neg_hi:[0,1]
	v_pk_add_f32 v[120:121], v[120:121], v[138:139] neg_lo:[0,1] neg_hi:[0,1]
	s_wait_dscnt 0x0
	v_dual_mul_f32 v138, v135, v127 :: v_dual_mul_f32 v140, v135, v124
	s_delay_alu instid0(VALU_DEP_1) | instskip(NEXT) | instid1(VALU_DEP_2)
	v_pk_fma_f32 v[138:139], v[134:135], v[48:49], v[138:139] op_sel_hi:[1,1,0] neg_lo:[0,0,1] neg_hi:[0,0,1]
	v_pk_fma_f32 v[134:135], v[134:135], v[48:49], v[140:141] op_sel:[1,0,0] op_sel_hi:[0,1,0]
	s_delay_alu instid0(VALU_DEP_1) | instskip(SKIP_1) | instid1(VALU_DEP_2)
	v_mov_b32_e32 v139, v135
	v_pk_mul_f32 v[134:135], v[136:137], v[126:127] op_sel:[0,1]
	v_pk_add_f32 v[118:119], v[118:119], v[138:139] neg_lo:[0,1] neg_hi:[0,1]
	s_delay_alu instid0(VALU_DEP_2) | instskip(SKIP_1) | instid1(VALU_DEP_1)
	v_pk_fma_f32 v[138:139], v[136:137], v[124:125], v[134:135] op_sel:[0,0,1] op_sel_hi:[1,1,0] neg_lo:[0,0,1] neg_hi:[0,0,1]
	v_pk_fma_f32 v[134:135], v[136:137], v[124:125], v[134:135] op_sel:[0,0,1] op_sel_hi:[1,0,0]
	v_mov_b32_e32 v139, v135
	ds_load_2addr_b64 v[134:137], v128 offset0:51 offset1:52
	v_pk_add_f32 v[94:95], v[94:95], v[138:139] neg_lo:[0,1] neg_hi:[0,1]
	s_wait_dscnt 0x0
	v_pk_mul_f32 v[138:139], v[134:135], v[126:127] op_sel:[0,1]
	s_delay_alu instid0(VALU_DEP_1) | instskip(SKIP_1) | instid1(VALU_DEP_1)
	v_pk_fma_f32 v[140:141], v[134:135], v[124:125], v[138:139] op_sel:[0,0,1] op_sel_hi:[1,1,0] neg_lo:[0,0,1] neg_hi:[0,0,1]
	v_pk_fma_f32 v[134:135], v[134:135], v[124:125], v[138:139] op_sel:[0,0,1] op_sel_hi:[1,0,0]
	v_mov_b32_e32 v141, v135
	v_pk_mul_f32 v[134:135], v[136:137], v[126:127] op_sel:[0,1]
	s_delay_alu instid0(VALU_DEP_2) | instskip(NEXT) | instid1(VALU_DEP_2)
	v_pk_add_f32 v[96:97], v[96:97], v[140:141] neg_lo:[0,1] neg_hi:[0,1]
	v_pk_fma_f32 v[138:139], v[136:137], v[124:125], v[134:135] op_sel:[0,0,1] op_sel_hi:[1,1,0] neg_lo:[0,0,1] neg_hi:[0,0,1]
	v_pk_fma_f32 v[134:135], v[136:137], v[124:125], v[134:135] op_sel:[0,0,1] op_sel_hi:[1,0,0]
	s_delay_alu instid0(VALU_DEP_1) | instskip(SKIP_4) | instid1(VALU_DEP_1)
	v_mov_b32_e32 v139, v135
	ds_load_2addr_b64 v[134:137], v128 offset0:53 offset1:54
	v_pk_add_f32 v[114:115], v[114:115], v[138:139] neg_lo:[0,1] neg_hi:[0,1]
	s_wait_dscnt 0x0
	v_pk_mul_f32 v[138:139], v[134:135], v[126:127] op_sel:[0,1]
	v_pk_fma_f32 v[140:141], v[134:135], v[124:125], v[138:139] op_sel:[0,0,1] op_sel_hi:[1,1,0] neg_lo:[0,0,1] neg_hi:[0,0,1]
	v_pk_fma_f32 v[134:135], v[134:135], v[124:125], v[138:139] op_sel:[0,0,1] op_sel_hi:[1,0,0]
	v_dual_mul_f32 v138, v137, v127 :: v_dual_mov_b32 v134, v137
	s_delay_alu instid0(VALU_DEP_2) | instskip(NEXT) | instid1(VALU_DEP_2)
	v_dual_mov_b32 v141, v135 :: v_dual_mov_b32 v135, v136
	v_pk_fma_f32 v[138:139], v[136:137], v[48:49], v[138:139] op_sel_hi:[1,1,0] neg_lo:[0,0,1] neg_hi:[0,0,1]
	v_mul_f32_e32 v136, v137, v124
	s_delay_alu instid0(VALU_DEP_3) | instskip(NEXT) | instid1(VALU_DEP_2)
	v_pk_add_f32 v[112:113], v[112:113], v[140:141] neg_lo:[0,1] neg_hi:[0,1]
	v_pk_fma_f32 v[134:135], v[134:135], v[48:49], v[136:137] op_sel_hi:[1,1,0]
	s_delay_alu instid0(VALU_DEP_1) | instskip(SKIP_4) | instid1(VALU_DEP_1)
	v_mov_b32_e32 v139, v135
	ds_load_2addr_b64 v[134:137], v128 offset0:55 offset1:56
	v_pk_add_f32 v[92:93], v[92:93], v[138:139] neg_lo:[0,1] neg_hi:[0,1]
	s_wait_dscnt 0x0
	v_pk_mul_f32 v[138:139], v[134:135], v[126:127] op_sel:[0,1]
	v_pk_fma_f32 v[140:141], v[134:135], v[124:125], v[138:139] op_sel:[0,0,1] op_sel_hi:[1,1,0] neg_lo:[0,0,1] neg_hi:[0,0,1]
	v_pk_fma_f32 v[134:135], v[134:135], v[124:125], v[138:139] op_sel:[0,0,1] op_sel_hi:[1,0,0]
	s_delay_alu instid0(VALU_DEP_1) | instskip(SKIP_1) | instid1(VALU_DEP_1)
	v_mov_b32_e32 v141, v135
	v_pk_mul_f32 v[134:135], v[136:137], v[126:127] op_sel:[0,1]
	v_pk_fma_f32 v[138:139], v[136:137], v[124:125], v[134:135] op_sel:[0,0,1] op_sel_hi:[1,1,0] neg_lo:[0,0,1] neg_hi:[0,0,1]
	v_pk_fma_f32 v[134:135], v[136:137], v[124:125], v[134:135] op_sel:[0,0,1] op_sel_hi:[1,0,0]
	s_delay_alu instid0(VALU_DEP_1)
	v_mov_b32_e32 v139, v135
	ds_load_2addr_b64 v[134:137], v128 offset0:57 offset1:58
	v_pk_add_f32 v[90:91], v[90:91], v[140:141] neg_lo:[0,1] neg_hi:[0,1]
	v_pk_add_f32 v[104:105], v[104:105], v[138:139] neg_lo:[0,1] neg_hi:[0,1]
	s_wait_dscnt 0x0
	v_pk_mul_f32 v[138:139], v[134:135], v[126:127] op_sel:[0,1]
	v_pk_mul_f32 v[126:127], v[136:137], v[126:127] op_sel:[0,1]
	s_delay_alu instid0(VALU_DEP_2) | instskip(SKIP_1) | instid1(VALU_DEP_1)
	v_pk_fma_f32 v[140:141], v[134:135], v[124:125], v[138:139] op_sel:[0,0,1] op_sel_hi:[1,1,0] neg_lo:[0,0,1] neg_hi:[0,0,1]
	v_pk_fma_f32 v[134:135], v[134:135], v[124:125], v[138:139] op_sel:[0,0,1] op_sel_hi:[1,0,0]
	v_mov_b32_e32 v141, v135
	s_delay_alu instid0(VALU_DEP_4) | instskip(SKIP_1) | instid1(VALU_DEP_1)
	v_pk_fma_f32 v[134:135], v[136:137], v[124:125], v[126:127] op_sel:[0,0,1] op_sel_hi:[1,1,0] neg_lo:[0,0,1] neg_hi:[0,0,1]
	v_pk_fma_f32 v[124:125], v[136:137], v[124:125], v[126:127] op_sel:[0,0,1] op_sel_hi:[1,0,0]
	v_mov_b32_e32 v135, v125
	s_delay_alu instid0(VALU_DEP_4) | instskip(NEXT) | instid1(VALU_DEP_2)
	v_pk_add_f32 v[98:99], v[98:99], v[140:141] neg_lo:[0,1] neg_hi:[0,1]
	v_pk_add_f32 v[122:123], v[122:123], v[134:135] neg_lo:[0,1] neg_hi:[0,1]
.LBB116_650:
	s_or_b32 exec_lo, exec_lo, s0
	v_lshl_add_u32 v124, v132, 3, v128
	s_barrier_signal -1
	s_barrier_wait -1
	ds_store_b64 v124, v[46:47]
	s_wait_dscnt 0x0
	s_barrier_signal -1
	s_barrier_wait -1
	ds_load_b64 v[126:127], v128 offset:248
	v_mov_b32_e32 v124, 31
	s_cmp_lt_i32 s18, 33
	s_cbranch_scc1 .LBB116_653
; %bb.651:
	v_add3_u32 v125, v129, 0, 0x100
	v_mov_b32_e32 v124, 31
	s_mov_b32 s0, 32
.LBB116_652:                            ; =>This Inner Loop Header: Depth=1
	ds_load_b64 v[134:135], v125
	s_wait_dscnt 0x1
	v_cmp_gt_f32_e32 vcc_lo, 0, v126
	v_cndmask_b32_e64 v136, v126, -v126, vcc_lo
	v_cmp_gt_f32_e32 vcc_lo, 0, v127
	v_cndmask_b32_e64 v138, v127, -v127, vcc_lo
	s_wait_dscnt 0x0
	v_cmp_gt_f32_e32 vcc_lo, 0, v134
	v_cndmask_b32_e64 v137, v134, -v134, vcc_lo
	v_cmp_gt_f32_e32 vcc_lo, 0, v135
	v_cndmask_b32_e64 v139, v135, -v135, vcc_lo
	s_delay_alu instid0(VALU_DEP_1) | instskip(NEXT) | instid1(VALU_DEP_1)
	v_pk_add_f32 v[136:137], v[136:137], v[138:139]
	v_cmp_lt_f32_e32 vcc_lo, v136, v137
	v_dual_add_nc_u32 v125, 8, v125 :: v_dual_cndmask_b32 v127, v127, v135, vcc_lo
	v_cndmask_b32_e32 v126, v126, v134, vcc_lo
	v_cndmask_b32_e64 v124, v124, s0, vcc_lo
	s_add_co_i32 s0, s0, 1
	s_delay_alu instid0(SALU_CYCLE_1)
	s_cmp_lg_u32 s18, s0
	s_cbranch_scc1 .LBB116_652
.LBB116_653:
	s_wait_dscnt 0x0
	v_cmp_eq_f32_e32 vcc_lo, 0, v126
	v_cmp_eq_f32_e64 s0, 0, v127
	s_and_b32 s0, vcc_lo, s0
	s_delay_alu instid0(SALU_CYCLE_1) | instskip(NEXT) | instid1(SALU_CYCLE_1)
	s_and_saveexec_b32 s1, s0
	s_xor_b32 s0, exec_lo, s1
; %bb.654:
	v_cmp_ne_u32_e32 vcc_lo, 0, v130
	v_cndmask_b32_e32 v130, 32, v130, vcc_lo
; %bb.655:
	s_and_not1_saveexec_b32 s0, s0
	s_cbranch_execz .LBB116_661
; %bb.656:
	v_cmp_ngt_f32_e64 s1, |v126|, |v127|
	s_and_saveexec_b32 s12, s1
	s_delay_alu instid0(SALU_CYCLE_1)
	s_xor_b32 s1, exec_lo, s12
	s_cbranch_execz .LBB116_658
; %bb.657:
	v_div_scale_f32 v125, null, v127, v127, v126
	v_div_scale_f32 v135, vcc_lo, v126, v127, v126
	s_delay_alu instid0(VALU_DEP_2) | instskip(SKIP_1) | instid1(TRANS32_DEP_1)
	v_rcp_f32_e32 v133, v125
	v_nop
	v_fma_f32 v134, -v125, v133, 1.0
	s_delay_alu instid0(VALU_DEP_1) | instskip(NEXT) | instid1(VALU_DEP_1)
	v_fmac_f32_e32 v133, v134, v133
	v_mul_f32_e32 v134, v135, v133
	s_delay_alu instid0(VALU_DEP_1) | instskip(NEXT) | instid1(VALU_DEP_1)
	v_fma_f32 v136, -v125, v134, v135
	v_fmac_f32_e32 v134, v136, v133
	s_delay_alu instid0(VALU_DEP_1) | instskip(NEXT) | instid1(VALU_DEP_1)
	v_fma_f32 v125, -v125, v134, v135
	v_div_fmas_f32 v125, v125, v133, v134
	s_delay_alu instid0(VALU_DEP_1) | instskip(NEXT) | instid1(VALU_DEP_1)
	v_div_fixup_f32 v125, v125, v127, v126
	v_fmac_f32_e32 v127, v126, v125
	s_delay_alu instid0(VALU_DEP_1) | instskip(SKIP_1) | instid1(VALU_DEP_2)
	v_div_scale_f32 v126, null, v127, v127, 1.0
	v_div_scale_f32 v135, vcc_lo, 1.0, v127, 1.0
	v_rcp_f32_e32 v133, v126
	v_nop
	s_delay_alu instid0(TRANS32_DEP_1) | instskip(NEXT) | instid1(VALU_DEP_1)
	v_fma_f32 v134, -v126, v133, 1.0
	v_fmac_f32_e32 v133, v134, v133
	s_delay_alu instid0(VALU_DEP_1) | instskip(NEXT) | instid1(VALU_DEP_1)
	v_mul_f32_e32 v134, v135, v133
	v_fma_f32 v136, -v126, v134, v135
	s_delay_alu instid0(VALU_DEP_1) | instskip(NEXT) | instid1(VALU_DEP_1)
	v_fmac_f32_e32 v134, v136, v133
	v_fma_f32 v126, -v126, v134, v135
	s_delay_alu instid0(VALU_DEP_1) | instskip(NEXT) | instid1(VALU_DEP_1)
	v_div_fmas_f32 v126, v126, v133, v134
	v_div_fixup_f32 v127, v126, v127, 1.0
	s_delay_alu instid0(VALU_DEP_1)
	v_mul_f32_e32 v126, v125, v127
	v_xor_b32_e32 v127, 0x80000000, v127
.LBB116_658:
	s_and_not1_saveexec_b32 s1, s1
	s_cbranch_execz .LBB116_660
; %bb.659:
	s_delay_alu instid0(VALU_DEP_1) | instskip(SKIP_1) | instid1(VALU_DEP_2)
	v_div_scale_f32 v125, null, v126, v126, v127
	v_div_scale_f32 v135, vcc_lo, v127, v126, v127
	v_rcp_f32_e32 v133, v125
	v_nop
	s_delay_alu instid0(TRANS32_DEP_1) | instskip(NEXT) | instid1(VALU_DEP_1)
	v_fma_f32 v134, -v125, v133, 1.0
	v_fmac_f32_e32 v133, v134, v133
	s_delay_alu instid0(VALU_DEP_1) | instskip(NEXT) | instid1(VALU_DEP_1)
	v_mul_f32_e32 v134, v135, v133
	v_fma_f32 v136, -v125, v134, v135
	s_delay_alu instid0(VALU_DEP_1) | instskip(NEXT) | instid1(VALU_DEP_1)
	v_fmac_f32_e32 v134, v136, v133
	v_fma_f32 v125, -v125, v134, v135
	s_delay_alu instid0(VALU_DEP_1) | instskip(NEXT) | instid1(VALU_DEP_1)
	v_div_fmas_f32 v125, v125, v133, v134
	v_div_fixup_f32 v125, v125, v126, v127
	s_delay_alu instid0(VALU_DEP_1) | instskip(NEXT) | instid1(VALU_DEP_1)
	v_fmac_f32_e32 v126, v127, v125
	v_div_scale_f32 v127, null, v126, v126, 1.0
	s_delay_alu instid0(VALU_DEP_1) | instskip(SKIP_1) | instid1(TRANS32_DEP_1)
	v_rcp_f32_e32 v133, v127
	v_nop
	v_fma_f32 v134, -v127, v133, 1.0
	s_delay_alu instid0(VALU_DEP_1) | instskip(SKIP_1) | instid1(VALU_DEP_1)
	v_fmac_f32_e32 v133, v134, v133
	v_div_scale_f32 v134, vcc_lo, 1.0, v126, 1.0
	v_mul_f32_e32 v135, v134, v133
	s_delay_alu instid0(VALU_DEP_1) | instskip(NEXT) | instid1(VALU_DEP_1)
	v_fma_f32 v136, -v127, v135, v134
	v_fmac_f32_e32 v135, v136, v133
	s_delay_alu instid0(VALU_DEP_1) | instskip(NEXT) | instid1(VALU_DEP_1)
	v_fma_f32 v127, -v127, v135, v134
	v_div_fmas_f32 v127, v127, v133, v135
	s_delay_alu instid0(VALU_DEP_1) | instskip(NEXT) | instid1(VALU_DEP_1)
	v_div_fixup_f32 v126, v127, v126, 1.0
	v_mul_f32_e64 v127, v125, -v126
.LBB116_660:
	s_or_b32 exec_lo, exec_lo, s1
.LBB116_661:
	s_delay_alu instid0(SALU_CYCLE_1) | instskip(NEXT) | instid1(SALU_CYCLE_1)
	s_or_b32 exec_lo, exec_lo, s0
	s_mov_b32 s0, exec_lo
	v_cmpx_ne_u32_e64 v132, v124
	s_xor_b32 s0, exec_lo, s0
	s_cbranch_execz .LBB116_667
; %bb.662:
	s_mov_b32 s1, exec_lo
	v_cmpx_eq_u32_e32 31, v132
	s_cbranch_execz .LBB116_666
; %bb.663:
	v_cmp_ne_u32_e32 vcc_lo, 31, v124
	s_xor_b32 s12, s16, -1
	s_delay_alu instid0(SALU_CYCLE_1) | instskip(NEXT) | instid1(SALU_CYCLE_1)
	s_and_b32 s13, s12, vcc_lo
	s_and_saveexec_b32 s12, s13
	s_cbranch_execz .LBB116_665
; %bb.664:
	v_ashrrev_i32_e32 v125, 31, v124
	s_delay_alu instid0(VALU_DEP_1)
	v_lshl_add_u64 v[132:133], v[124:125], 2, v[4:5]
	s_clause 0x1
	global_load_b32 v125, v[132:133], off
	global_load_b32 v131, v[4:5], off offset:124
	s_wait_loadcnt 0x1
	global_store_b32 v[4:5], v125, off offset:124
	s_wait_loadcnt 0x0
	global_store_b32 v[132:133], v131, off
.LBB116_665:
	s_wait_xcnt 0x0
	s_or_b32 exec_lo, exec_lo, s12
	v_dual_mov_b32 v132, v124 :: v_dual_mov_b32 v131, v124
.LBB116_666:
	s_or_b32 exec_lo, exec_lo, s1
.LBB116_667:
	s_and_not1_saveexec_b32 s0, s0
	s_cbranch_execz .LBB116_669
; %bb.668:
	v_dual_mov_b32 v124, v78 :: v_dual_mov_b32 v125, v79
	v_dual_mov_b32 v132, v76 :: v_dual_mov_b32 v133, v77
	ds_store_2addr_b64 v128, v[124:125], v[132:133] offset0:32 offset1:33
	v_dual_mov_b32 v124, v56 :: v_dual_mov_b32 v125, v57
	v_dual_mov_b32 v132, v54 :: v_dual_mov_b32 v133, v55
	ds_store_2addr_b64 v128, v[124:125], v[132:133] offset0:34 offset1:35
	;; [unrolled: 3-line block ×13, first 2 shown]
	ds_store_b64 v128, v[122:123] offset:464
	v_mov_b32_e32 v132, 31
.LBB116_669:
	s_or_b32 exec_lo, exec_lo, s0
	s_delay_alu instid0(SALU_CYCLE_1)
	s_mov_b32 s0, exec_lo
	s_wait_storecnt_dscnt 0x0
	s_barrier_signal -1
	s_barrier_wait -1
	v_cmpx_lt_i32_e32 31, v132
	s_cbranch_execz .LBB116_671
; %bb.670:
	v_pk_mul_f32 v[134:135], v[126:127], v[46:47] op_sel:[1,1] op_sel_hi:[0,1]
	s_delay_alu instid0(VALU_DEP_1)
	v_pk_fma_f32 v[124:125], v[126:127], v[46:47], v[134:135] op_sel_hi:[1,0,1] neg_lo:[0,0,1] neg_hi:[0,0,1]
	v_pk_fma_f32 v[126:127], v[126:127], v[46:47], v[134:135] op_sel_hi:[1,0,1]
	ds_load_2addr_b64 v[134:137], v128 offset0:32 offset1:33
	v_dual_mov_b32 v46, v124 :: v_dual_mov_b32 v47, v127
	s_wait_dscnt 0x0
	v_pk_mul_f32 v[138:139], v[134:135], v[126:127] op_sel:[0,1]
	s_delay_alu instid0(VALU_DEP_1) | instskip(SKIP_1) | instid1(VALU_DEP_1)
	v_pk_fma_f32 v[140:141], v[134:135], v[124:125], v[138:139] op_sel:[0,0,1] op_sel_hi:[1,1,0] neg_lo:[0,0,1] neg_hi:[0,0,1]
	v_pk_fma_f32 v[134:135], v[134:135], v[124:125], v[138:139] op_sel:[0,0,1] op_sel_hi:[1,0,0]
	v_mov_b32_e32 v141, v135
	v_pk_mul_f32 v[134:135], v[136:137], v[126:127] op_sel:[0,1]
	s_delay_alu instid0(VALU_DEP_1) | instskip(SKIP_1) | instid1(VALU_DEP_1)
	v_pk_fma_f32 v[138:139], v[136:137], v[124:125], v[134:135] op_sel:[0,0,1] op_sel_hi:[1,1,0] neg_lo:[0,0,1] neg_hi:[0,0,1]
	v_pk_fma_f32 v[134:135], v[136:137], v[124:125], v[134:135] op_sel:[0,0,1] op_sel_hi:[1,0,0]
	v_mov_b32_e32 v139, v135
	ds_load_2addr_b64 v[134:137], v128 offset0:34 offset1:35
	v_pk_add_f32 v[78:79], v[78:79], v[140:141] neg_lo:[0,1] neg_hi:[0,1]
	v_pk_add_f32 v[76:77], v[76:77], v[138:139] neg_lo:[0,1] neg_hi:[0,1]
	s_wait_dscnt 0x0
	v_pk_mul_f32 v[138:139], v[134:135], v[126:127] op_sel:[0,1]
	s_delay_alu instid0(VALU_DEP_1) | instskip(SKIP_2) | instid1(VALU_DEP_2)
	v_pk_fma_f32 v[140:141], v[134:135], v[124:125], v[138:139] op_sel:[0,0,1] op_sel_hi:[1,1,0] neg_lo:[0,0,1] neg_hi:[0,0,1]
	v_pk_fma_f32 v[134:135], v[134:135], v[124:125], v[138:139] op_sel:[0,0,1] op_sel_hi:[1,0,0]
	v_dual_mul_f32 v138, v137, v127 :: v_dual_mov_b32 v134, v137
	v_dual_mov_b32 v141, v135 :: v_dual_mov_b32 v135, v136
	s_delay_alu instid0(VALU_DEP_2) | instskip(SKIP_1) | instid1(VALU_DEP_3)
	v_pk_fma_f32 v[138:139], v[136:137], v[46:47], v[138:139] op_sel_hi:[1,1,0] neg_lo:[0,0,1] neg_hi:[0,0,1]
	v_mul_f32_e32 v136, v137, v124
	v_pk_add_f32 v[56:57], v[56:57], v[140:141] neg_lo:[0,1] neg_hi:[0,1]
	s_delay_alu instid0(VALU_DEP_2) | instskip(NEXT) | instid1(VALU_DEP_1)
	v_pk_fma_f32 v[134:135], v[134:135], v[46:47], v[136:137] op_sel_hi:[1,1,0]
	v_mov_b32_e32 v139, v135
	ds_load_2addr_b64 v[134:137], v128 offset0:36 offset1:37
	v_pk_add_f32 v[54:55], v[54:55], v[138:139] neg_lo:[0,1] neg_hi:[0,1]
	s_wait_dscnt 0x0
	v_pk_mul_f32 v[138:139], v[134:135], v[126:127] op_sel:[0,1]
	s_delay_alu instid0(VALU_DEP_1) | instskip(SKIP_1) | instid1(VALU_DEP_1)
	v_pk_fma_f32 v[140:141], v[134:135], v[124:125], v[138:139] op_sel:[0,0,1] op_sel_hi:[1,1,0] neg_lo:[0,0,1] neg_hi:[0,0,1]
	v_pk_fma_f32 v[134:135], v[134:135], v[124:125], v[138:139] op_sel:[0,0,1] op_sel_hi:[1,0,0]
	v_mov_b32_e32 v141, v135
	v_pk_mul_f32 v[134:135], v[136:137], v[126:127] op_sel:[0,1]
	s_delay_alu instid0(VALU_DEP_1) | instskip(SKIP_1) | instid1(VALU_DEP_1)
	v_pk_fma_f32 v[138:139], v[136:137], v[124:125], v[134:135] op_sel:[0,0,1] op_sel_hi:[1,1,0] neg_lo:[0,0,1] neg_hi:[0,0,1]
	v_pk_fma_f32 v[134:135], v[136:137], v[124:125], v[134:135] op_sel:[0,0,1] op_sel_hi:[1,0,0]
	v_mov_b32_e32 v139, v135
	ds_load_2addr_b64 v[134:137], v128 offset0:38 offset1:39
	v_pk_add_f32 v[88:89], v[88:89], v[140:141] neg_lo:[0,1] neg_hi:[0,1]
	v_pk_add_f32 v[86:87], v[86:87], v[138:139] neg_lo:[0,1] neg_hi:[0,1]
	s_wait_dscnt 0x0
	v_pk_mul_f32 v[138:139], v[134:135], v[126:127] op_sel:[0,1]
	s_delay_alu instid0(VALU_DEP_1) | instskip(SKIP_1) | instid1(VALU_DEP_1)
	v_pk_fma_f32 v[140:141], v[134:135], v[124:125], v[138:139] op_sel:[0,0,1] op_sel_hi:[1,1,0] neg_lo:[0,0,1] neg_hi:[0,0,1]
	v_pk_fma_f32 v[134:135], v[134:135], v[124:125], v[138:139] op_sel:[0,0,1] op_sel_hi:[1,0,0]
	v_mov_b32_e32 v141, v135
	v_pk_mul_f32 v[134:135], v[136:137], v[126:127] op_sel:[0,1]
	s_delay_alu instid0(VALU_DEP_1) | instskip(SKIP_1) | instid1(VALU_DEP_1)
	v_pk_fma_f32 v[138:139], v[136:137], v[124:125], v[134:135] op_sel:[0,0,1] op_sel_hi:[1,1,0] neg_lo:[0,0,1] neg_hi:[0,0,1]
	v_pk_fma_f32 v[134:135], v[136:137], v[124:125], v[134:135] op_sel:[0,0,1] op_sel_hi:[1,0,0]
	v_mov_b32_e32 v139, v135
	ds_load_2addr_b64 v[134:137], v128 offset0:40 offset1:41
	v_pk_add_f32 v[64:65], v[64:65], v[140:141] neg_lo:[0,1] neg_hi:[0,1]
	v_pk_add_f32 v[62:63], v[62:63], v[138:139] neg_lo:[0,1] neg_hi:[0,1]
	s_wait_dscnt 0x0
	v_dual_mul_f32 v138, v135, v127 :: v_dual_mul_f32 v140, v135, v124
	s_delay_alu instid0(VALU_DEP_1) | instskip(NEXT) | instid1(VALU_DEP_2)
	v_pk_fma_f32 v[138:139], v[134:135], v[46:47], v[138:139] op_sel_hi:[1,1,0] neg_lo:[0,0,1] neg_hi:[0,0,1]
	v_pk_fma_f32 v[134:135], v[134:135], v[46:47], v[140:141] op_sel:[1,0,0] op_sel_hi:[0,1,0]
	s_delay_alu instid0(VALU_DEP_1) | instskip(SKIP_1) | instid1(VALU_DEP_2)
	v_mov_b32_e32 v139, v135
	v_pk_mul_f32 v[134:135], v[136:137], v[126:127] op_sel:[0,1]
	v_pk_add_f32 v[102:103], v[102:103], v[138:139] neg_lo:[0,1] neg_hi:[0,1]
	s_delay_alu instid0(VALU_DEP_2) | instskip(SKIP_1) | instid1(VALU_DEP_1)
	v_pk_fma_f32 v[138:139], v[136:137], v[124:125], v[134:135] op_sel:[0,0,1] op_sel_hi:[1,1,0] neg_lo:[0,0,1] neg_hi:[0,0,1]
	v_pk_fma_f32 v[134:135], v[136:137], v[124:125], v[134:135] op_sel:[0,0,1] op_sel_hi:[1,0,0]
	v_mov_b32_e32 v139, v135
	ds_load_2addr_b64 v[134:137], v128 offset0:42 offset1:43
	v_pk_add_f32 v[100:101], v[100:101], v[138:139] neg_lo:[0,1] neg_hi:[0,1]
	s_wait_dscnt 0x0
	v_pk_mul_f32 v[138:139], v[134:135], v[126:127] op_sel:[0,1]
	s_delay_alu instid0(VALU_DEP_1) | instskip(SKIP_1) | instid1(VALU_DEP_1)
	v_pk_fma_f32 v[140:141], v[134:135], v[124:125], v[138:139] op_sel:[0,0,1] op_sel_hi:[1,1,0] neg_lo:[0,0,1] neg_hi:[0,0,1]
	v_pk_fma_f32 v[134:135], v[134:135], v[124:125], v[138:139] op_sel:[0,0,1] op_sel_hi:[1,0,0]
	v_mov_b32_e32 v141, v135
	v_pk_mul_f32 v[134:135], v[136:137], v[126:127] op_sel:[0,1]
	s_delay_alu instid0(VALU_DEP_2) | instskip(NEXT) | instid1(VALU_DEP_2)
	v_pk_add_f32 v[72:73], v[72:73], v[140:141] neg_lo:[0,1] neg_hi:[0,1]
	v_pk_fma_f32 v[138:139], v[136:137], v[124:125], v[134:135] op_sel:[0,0,1] op_sel_hi:[1,1,0] neg_lo:[0,0,1] neg_hi:[0,0,1]
	v_pk_fma_f32 v[134:135], v[136:137], v[124:125], v[134:135] op_sel:[0,0,1] op_sel_hi:[1,0,0]
	s_delay_alu instid0(VALU_DEP_1) | instskip(SKIP_4) | instid1(VALU_DEP_1)
	v_mov_b32_e32 v139, v135
	ds_load_2addr_b64 v[134:137], v128 offset0:44 offset1:45
	v_pk_add_f32 v[70:71], v[70:71], v[138:139] neg_lo:[0,1] neg_hi:[0,1]
	s_wait_dscnt 0x0
	v_pk_mul_f32 v[138:139], v[134:135], v[126:127] op_sel:[0,1]
	v_pk_fma_f32 v[140:141], v[134:135], v[124:125], v[138:139] op_sel:[0,0,1] op_sel_hi:[1,1,0] neg_lo:[0,0,1] neg_hi:[0,0,1]
	v_pk_fma_f32 v[134:135], v[134:135], v[124:125], v[138:139] op_sel:[0,0,1] op_sel_hi:[1,0,0]
	v_dual_mul_f32 v138, v137, v127 :: v_dual_mov_b32 v134, v137
	s_delay_alu instid0(VALU_DEP_2) | instskip(NEXT) | instid1(VALU_DEP_2)
	v_dual_mov_b32 v141, v135 :: v_dual_mov_b32 v135, v136
	v_pk_fma_f32 v[138:139], v[136:137], v[46:47], v[138:139] op_sel_hi:[1,1,0] neg_lo:[0,0,1] neg_hi:[0,0,1]
	v_mul_f32_e32 v136, v137, v124
	s_delay_alu instid0(VALU_DEP_3) | instskip(NEXT) | instid1(VALU_DEP_2)
	v_pk_add_f32 v[110:111], v[110:111], v[140:141] neg_lo:[0,1] neg_hi:[0,1]
	v_pk_fma_f32 v[134:135], v[134:135], v[46:47], v[136:137] op_sel_hi:[1,1,0]
	s_delay_alu instid0(VALU_DEP_1) | instskip(SKIP_4) | instid1(VALU_DEP_1)
	v_mov_b32_e32 v139, v135
	ds_load_2addr_b64 v[134:137], v128 offset0:46 offset1:47
	v_pk_add_f32 v[108:109], v[108:109], v[138:139] neg_lo:[0,1] neg_hi:[0,1]
	s_wait_dscnt 0x0
	v_pk_mul_f32 v[138:139], v[134:135], v[126:127] op_sel:[0,1]
	v_pk_fma_f32 v[140:141], v[134:135], v[124:125], v[138:139] op_sel:[0,0,1] op_sel_hi:[1,1,0] neg_lo:[0,0,1] neg_hi:[0,0,1]
	v_pk_fma_f32 v[134:135], v[134:135], v[124:125], v[138:139] op_sel:[0,0,1] op_sel_hi:[1,0,0]
	s_delay_alu instid0(VALU_DEP_1) | instskip(SKIP_1) | instid1(VALU_DEP_1)
	v_mov_b32_e32 v141, v135
	v_pk_mul_f32 v[134:135], v[136:137], v[126:127] op_sel:[0,1]
	v_pk_fma_f32 v[138:139], v[136:137], v[124:125], v[134:135] op_sel:[0,0,1] op_sel_hi:[1,1,0] neg_lo:[0,0,1] neg_hi:[0,0,1]
	v_pk_fma_f32 v[134:135], v[136:137], v[124:125], v[134:135] op_sel:[0,0,1] op_sel_hi:[1,0,0]
	s_delay_alu instid0(VALU_DEP_1)
	v_mov_b32_e32 v139, v135
	ds_load_2addr_b64 v[134:137], v128 offset0:48 offset1:49
	v_pk_add_f32 v[82:83], v[82:83], v[140:141] neg_lo:[0,1] neg_hi:[0,1]
	v_pk_add_f32 v[80:81], v[80:81], v[138:139] neg_lo:[0,1] neg_hi:[0,1]
	s_wait_dscnt 0x0
	v_pk_mul_f32 v[138:139], v[134:135], v[126:127] op_sel:[0,1]
	s_delay_alu instid0(VALU_DEP_1) | instskip(SKIP_1) | instid1(VALU_DEP_1)
	v_pk_fma_f32 v[140:141], v[134:135], v[124:125], v[138:139] op_sel:[0,0,1] op_sel_hi:[1,1,0] neg_lo:[0,0,1] neg_hi:[0,0,1]
	v_pk_fma_f32 v[134:135], v[134:135], v[124:125], v[138:139] op_sel:[0,0,1] op_sel_hi:[1,0,0]
	v_mov_b32_e32 v141, v135
	v_pk_mul_f32 v[134:135], v[136:137], v[126:127] op_sel:[0,1]
	s_delay_alu instid0(VALU_DEP_1) | instskip(SKIP_1) | instid1(VALU_DEP_1)
	v_pk_fma_f32 v[138:139], v[136:137], v[124:125], v[134:135] op_sel:[0,0,1] op_sel_hi:[1,1,0] neg_lo:[0,0,1] neg_hi:[0,0,1]
	v_pk_fma_f32 v[134:135], v[136:137], v[124:125], v[134:135] op_sel:[0,0,1] op_sel_hi:[1,0,0]
	v_mov_b32_e32 v139, v135
	ds_load_2addr_b64 v[134:137], v128 offset0:50 offset1:51
	v_pk_add_f32 v[120:121], v[120:121], v[140:141] neg_lo:[0,1] neg_hi:[0,1]
	v_pk_add_f32 v[118:119], v[118:119], v[138:139] neg_lo:[0,1] neg_hi:[0,1]
	s_wait_dscnt 0x0
	v_dual_mul_f32 v138, v135, v127 :: v_dual_mul_f32 v140, v135, v124
	s_delay_alu instid0(VALU_DEP_1) | instskip(NEXT) | instid1(VALU_DEP_2)
	v_pk_fma_f32 v[138:139], v[134:135], v[46:47], v[138:139] op_sel_hi:[1,1,0] neg_lo:[0,0,1] neg_hi:[0,0,1]
	v_pk_fma_f32 v[134:135], v[134:135], v[46:47], v[140:141] op_sel:[1,0,0] op_sel_hi:[0,1,0]
	s_delay_alu instid0(VALU_DEP_1) | instskip(SKIP_1) | instid1(VALU_DEP_2)
	v_mov_b32_e32 v139, v135
	v_pk_mul_f32 v[134:135], v[136:137], v[126:127] op_sel:[0,1]
	v_pk_add_f32 v[94:95], v[94:95], v[138:139] neg_lo:[0,1] neg_hi:[0,1]
	s_delay_alu instid0(VALU_DEP_2) | instskip(SKIP_1) | instid1(VALU_DEP_1)
	v_pk_fma_f32 v[138:139], v[136:137], v[124:125], v[134:135] op_sel:[0,0,1] op_sel_hi:[1,1,0] neg_lo:[0,0,1] neg_hi:[0,0,1]
	v_pk_fma_f32 v[134:135], v[136:137], v[124:125], v[134:135] op_sel:[0,0,1] op_sel_hi:[1,0,0]
	v_mov_b32_e32 v139, v135
	ds_load_2addr_b64 v[134:137], v128 offset0:52 offset1:53
	v_pk_add_f32 v[96:97], v[96:97], v[138:139] neg_lo:[0,1] neg_hi:[0,1]
	s_wait_dscnt 0x0
	v_pk_mul_f32 v[138:139], v[134:135], v[126:127] op_sel:[0,1]
	s_delay_alu instid0(VALU_DEP_1) | instskip(SKIP_1) | instid1(VALU_DEP_1)
	v_pk_fma_f32 v[140:141], v[134:135], v[124:125], v[138:139] op_sel:[0,0,1] op_sel_hi:[1,1,0] neg_lo:[0,0,1] neg_hi:[0,0,1]
	v_pk_fma_f32 v[134:135], v[134:135], v[124:125], v[138:139] op_sel:[0,0,1] op_sel_hi:[1,0,0]
	v_mov_b32_e32 v141, v135
	v_pk_mul_f32 v[134:135], v[136:137], v[126:127] op_sel:[0,1]
	s_delay_alu instid0(VALU_DEP_2) | instskip(NEXT) | instid1(VALU_DEP_2)
	v_pk_add_f32 v[114:115], v[114:115], v[140:141] neg_lo:[0,1] neg_hi:[0,1]
	v_pk_fma_f32 v[138:139], v[136:137], v[124:125], v[134:135] op_sel:[0,0,1] op_sel_hi:[1,1,0] neg_lo:[0,0,1] neg_hi:[0,0,1]
	v_pk_fma_f32 v[134:135], v[136:137], v[124:125], v[134:135] op_sel:[0,0,1] op_sel_hi:[1,0,0]
	s_delay_alu instid0(VALU_DEP_1) | instskip(SKIP_4) | instid1(VALU_DEP_1)
	v_mov_b32_e32 v139, v135
	ds_load_2addr_b64 v[134:137], v128 offset0:54 offset1:55
	v_pk_add_f32 v[112:113], v[112:113], v[138:139] neg_lo:[0,1] neg_hi:[0,1]
	s_wait_dscnt 0x0
	v_pk_mul_f32 v[138:139], v[134:135], v[126:127] op_sel:[0,1]
	v_pk_fma_f32 v[140:141], v[134:135], v[124:125], v[138:139] op_sel:[0,0,1] op_sel_hi:[1,1,0] neg_lo:[0,0,1] neg_hi:[0,0,1]
	v_pk_fma_f32 v[134:135], v[134:135], v[124:125], v[138:139] op_sel:[0,0,1] op_sel_hi:[1,0,0]
	v_dual_mul_f32 v138, v137, v127 :: v_dual_mov_b32 v134, v137
	s_delay_alu instid0(VALU_DEP_2) | instskip(NEXT) | instid1(VALU_DEP_2)
	v_dual_mov_b32 v141, v135 :: v_dual_mov_b32 v135, v136
	v_pk_fma_f32 v[138:139], v[136:137], v[46:47], v[138:139] op_sel_hi:[1,1,0] neg_lo:[0,0,1] neg_hi:[0,0,1]
	v_mul_f32_e32 v136, v137, v124
	s_delay_alu instid0(VALU_DEP_3) | instskip(NEXT) | instid1(VALU_DEP_2)
	v_pk_add_f32 v[92:93], v[92:93], v[140:141] neg_lo:[0,1] neg_hi:[0,1]
	v_pk_fma_f32 v[134:135], v[134:135], v[46:47], v[136:137] op_sel_hi:[1,1,0]
	s_delay_alu instid0(VALU_DEP_1) | instskip(SKIP_4) | instid1(VALU_DEP_1)
	v_mov_b32_e32 v139, v135
	ds_load_2addr_b64 v[134:137], v128 offset0:56 offset1:57
	v_pk_add_f32 v[90:91], v[90:91], v[138:139] neg_lo:[0,1] neg_hi:[0,1]
	s_wait_dscnt 0x0
	v_pk_mul_f32 v[138:139], v[134:135], v[126:127] op_sel:[0,1]
	v_pk_fma_f32 v[140:141], v[134:135], v[124:125], v[138:139] op_sel:[0,0,1] op_sel_hi:[1,1,0] neg_lo:[0,0,1] neg_hi:[0,0,1]
	v_pk_fma_f32 v[134:135], v[134:135], v[124:125], v[138:139] op_sel:[0,0,1] op_sel_hi:[1,0,0]
	s_delay_alu instid0(VALU_DEP_1) | instskip(SKIP_1) | instid1(VALU_DEP_1)
	v_mov_b32_e32 v141, v135
	v_pk_mul_f32 v[134:135], v[136:137], v[126:127] op_sel:[0,1]
	v_pk_fma_f32 v[138:139], v[136:137], v[124:125], v[134:135] op_sel:[0,0,1] op_sel_hi:[1,1,0] neg_lo:[0,0,1] neg_hi:[0,0,1]
	v_pk_fma_f32 v[134:135], v[136:137], v[124:125], v[134:135] op_sel:[0,0,1] op_sel_hi:[1,0,0]
	s_delay_alu instid0(VALU_DEP_1)
	v_mov_b32_e32 v139, v135
	ds_load_b64 v[134:135], v128 offset:464
	v_pk_add_f32 v[104:105], v[104:105], v[140:141] neg_lo:[0,1] neg_hi:[0,1]
	v_pk_add_f32 v[98:99], v[98:99], v[138:139] neg_lo:[0,1] neg_hi:[0,1]
	s_wait_dscnt 0x0
	v_pk_mul_f32 v[126:127], v[134:135], v[126:127] op_sel:[0,1]
	s_delay_alu instid0(VALU_DEP_1) | instskip(SKIP_1) | instid1(VALU_DEP_1)
	v_pk_fma_f32 v[136:137], v[134:135], v[124:125], v[126:127] op_sel:[0,0,1] op_sel_hi:[1,1,0] neg_lo:[0,0,1] neg_hi:[0,0,1]
	v_pk_fma_f32 v[124:125], v[134:135], v[124:125], v[126:127] op_sel:[0,0,1] op_sel_hi:[1,0,0]
	v_mov_b32_e32 v137, v125
	s_delay_alu instid0(VALU_DEP_1)
	v_pk_add_f32 v[122:123], v[122:123], v[136:137] neg_lo:[0,1] neg_hi:[0,1]
.LBB116_671:
	s_or_b32 exec_lo, exec_lo, s0
	v_lshl_add_u32 v124, v132, 3, v128
	s_barrier_signal -1
	s_barrier_wait -1
	ds_store_b64 v124, v[78:79]
	s_wait_dscnt 0x0
	s_barrier_signal -1
	s_barrier_wait -1
	ds_load_b64 v[126:127], v128 offset:256
	v_mov_b32_e32 v124, 32
	s_cmp_lt_i32 s18, 34
	s_cbranch_scc1 .LBB116_674
; %bb.672:
	v_add3_u32 v125, v129, 0, 0x108
	v_mov_b32_e32 v124, 32
	s_mov_b32 s0, 33
.LBB116_673:                            ; =>This Inner Loop Header: Depth=1
	ds_load_b64 v[134:135], v125
	s_wait_dscnt 0x1
	v_cmp_gt_f32_e32 vcc_lo, 0, v126
	v_cndmask_b32_e64 v136, v126, -v126, vcc_lo
	v_cmp_gt_f32_e32 vcc_lo, 0, v127
	v_cndmask_b32_e64 v138, v127, -v127, vcc_lo
	s_wait_dscnt 0x0
	v_cmp_gt_f32_e32 vcc_lo, 0, v134
	v_cndmask_b32_e64 v137, v134, -v134, vcc_lo
	v_cmp_gt_f32_e32 vcc_lo, 0, v135
	v_cndmask_b32_e64 v139, v135, -v135, vcc_lo
	s_delay_alu instid0(VALU_DEP_1) | instskip(NEXT) | instid1(VALU_DEP_1)
	v_pk_add_f32 v[136:137], v[136:137], v[138:139]
	v_cmp_lt_f32_e32 vcc_lo, v136, v137
	v_dual_add_nc_u32 v125, 8, v125 :: v_dual_cndmask_b32 v127, v127, v135, vcc_lo
	v_cndmask_b32_e32 v126, v126, v134, vcc_lo
	v_cndmask_b32_e64 v124, v124, s0, vcc_lo
	s_add_co_i32 s0, s0, 1
	s_delay_alu instid0(SALU_CYCLE_1)
	s_cmp_lg_u32 s18, s0
	s_cbranch_scc1 .LBB116_673
.LBB116_674:
	s_wait_dscnt 0x0
	v_cmp_eq_f32_e32 vcc_lo, 0, v126
	v_cmp_eq_f32_e64 s0, 0, v127
	s_and_b32 s0, vcc_lo, s0
	s_delay_alu instid0(SALU_CYCLE_1) | instskip(NEXT) | instid1(SALU_CYCLE_1)
	s_and_saveexec_b32 s1, s0
	s_xor_b32 s0, exec_lo, s1
; %bb.675:
	v_cmp_ne_u32_e32 vcc_lo, 0, v130
	v_cndmask_b32_e32 v130, 33, v130, vcc_lo
; %bb.676:
	s_and_not1_saveexec_b32 s0, s0
	s_cbranch_execz .LBB116_682
; %bb.677:
	v_cmp_ngt_f32_e64 s1, |v126|, |v127|
	s_and_saveexec_b32 s12, s1
	s_delay_alu instid0(SALU_CYCLE_1)
	s_xor_b32 s1, exec_lo, s12
	s_cbranch_execz .LBB116_679
; %bb.678:
	v_div_scale_f32 v125, null, v127, v127, v126
	v_div_scale_f32 v135, vcc_lo, v126, v127, v126
	s_delay_alu instid0(VALU_DEP_2) | instskip(SKIP_1) | instid1(TRANS32_DEP_1)
	v_rcp_f32_e32 v133, v125
	v_nop
	v_fma_f32 v134, -v125, v133, 1.0
	s_delay_alu instid0(VALU_DEP_1) | instskip(NEXT) | instid1(VALU_DEP_1)
	v_fmac_f32_e32 v133, v134, v133
	v_mul_f32_e32 v134, v135, v133
	s_delay_alu instid0(VALU_DEP_1) | instskip(NEXT) | instid1(VALU_DEP_1)
	v_fma_f32 v136, -v125, v134, v135
	v_fmac_f32_e32 v134, v136, v133
	s_delay_alu instid0(VALU_DEP_1) | instskip(NEXT) | instid1(VALU_DEP_1)
	v_fma_f32 v125, -v125, v134, v135
	v_div_fmas_f32 v125, v125, v133, v134
	s_delay_alu instid0(VALU_DEP_1) | instskip(NEXT) | instid1(VALU_DEP_1)
	v_div_fixup_f32 v125, v125, v127, v126
	v_fmac_f32_e32 v127, v126, v125
	s_delay_alu instid0(VALU_DEP_1) | instskip(SKIP_1) | instid1(VALU_DEP_2)
	v_div_scale_f32 v126, null, v127, v127, 1.0
	v_div_scale_f32 v135, vcc_lo, 1.0, v127, 1.0
	v_rcp_f32_e32 v133, v126
	v_nop
	s_delay_alu instid0(TRANS32_DEP_1) | instskip(NEXT) | instid1(VALU_DEP_1)
	v_fma_f32 v134, -v126, v133, 1.0
	v_fmac_f32_e32 v133, v134, v133
	s_delay_alu instid0(VALU_DEP_1) | instskip(NEXT) | instid1(VALU_DEP_1)
	v_mul_f32_e32 v134, v135, v133
	v_fma_f32 v136, -v126, v134, v135
	s_delay_alu instid0(VALU_DEP_1) | instskip(NEXT) | instid1(VALU_DEP_1)
	v_fmac_f32_e32 v134, v136, v133
	v_fma_f32 v126, -v126, v134, v135
	s_delay_alu instid0(VALU_DEP_1) | instskip(NEXT) | instid1(VALU_DEP_1)
	v_div_fmas_f32 v126, v126, v133, v134
	v_div_fixup_f32 v127, v126, v127, 1.0
	s_delay_alu instid0(VALU_DEP_1)
	v_mul_f32_e32 v126, v125, v127
	v_xor_b32_e32 v127, 0x80000000, v127
.LBB116_679:
	s_and_not1_saveexec_b32 s1, s1
	s_cbranch_execz .LBB116_681
; %bb.680:
	s_delay_alu instid0(VALU_DEP_1) | instskip(SKIP_1) | instid1(VALU_DEP_2)
	v_div_scale_f32 v125, null, v126, v126, v127
	v_div_scale_f32 v135, vcc_lo, v127, v126, v127
	v_rcp_f32_e32 v133, v125
	v_nop
	s_delay_alu instid0(TRANS32_DEP_1) | instskip(NEXT) | instid1(VALU_DEP_1)
	v_fma_f32 v134, -v125, v133, 1.0
	v_fmac_f32_e32 v133, v134, v133
	s_delay_alu instid0(VALU_DEP_1) | instskip(NEXT) | instid1(VALU_DEP_1)
	v_mul_f32_e32 v134, v135, v133
	v_fma_f32 v136, -v125, v134, v135
	s_delay_alu instid0(VALU_DEP_1) | instskip(NEXT) | instid1(VALU_DEP_1)
	v_fmac_f32_e32 v134, v136, v133
	v_fma_f32 v125, -v125, v134, v135
	s_delay_alu instid0(VALU_DEP_1) | instskip(NEXT) | instid1(VALU_DEP_1)
	v_div_fmas_f32 v125, v125, v133, v134
	v_div_fixup_f32 v125, v125, v126, v127
	s_delay_alu instid0(VALU_DEP_1) | instskip(NEXT) | instid1(VALU_DEP_1)
	v_fmac_f32_e32 v126, v127, v125
	v_div_scale_f32 v127, null, v126, v126, 1.0
	s_delay_alu instid0(VALU_DEP_1) | instskip(SKIP_1) | instid1(TRANS32_DEP_1)
	v_rcp_f32_e32 v133, v127
	v_nop
	v_fma_f32 v134, -v127, v133, 1.0
	s_delay_alu instid0(VALU_DEP_1) | instskip(SKIP_1) | instid1(VALU_DEP_1)
	v_fmac_f32_e32 v133, v134, v133
	v_div_scale_f32 v134, vcc_lo, 1.0, v126, 1.0
	v_mul_f32_e32 v135, v134, v133
	s_delay_alu instid0(VALU_DEP_1) | instskip(NEXT) | instid1(VALU_DEP_1)
	v_fma_f32 v136, -v127, v135, v134
	v_fmac_f32_e32 v135, v136, v133
	s_delay_alu instid0(VALU_DEP_1) | instskip(NEXT) | instid1(VALU_DEP_1)
	v_fma_f32 v127, -v127, v135, v134
	v_div_fmas_f32 v127, v127, v133, v135
	s_delay_alu instid0(VALU_DEP_1) | instskip(NEXT) | instid1(VALU_DEP_1)
	v_div_fixup_f32 v126, v127, v126, 1.0
	v_mul_f32_e64 v127, v125, -v126
.LBB116_681:
	s_or_b32 exec_lo, exec_lo, s1
.LBB116_682:
	s_delay_alu instid0(SALU_CYCLE_1) | instskip(NEXT) | instid1(SALU_CYCLE_1)
	s_or_b32 exec_lo, exec_lo, s0
	s_mov_b32 s0, exec_lo
	v_cmpx_ne_u32_e64 v132, v124
	s_xor_b32 s0, exec_lo, s0
	s_cbranch_execz .LBB116_688
; %bb.683:
	s_mov_b32 s1, exec_lo
	v_cmpx_eq_u32_e32 32, v132
	s_cbranch_execz .LBB116_687
; %bb.684:
	v_cmp_ne_u32_e32 vcc_lo, 32, v124
	s_xor_b32 s12, s16, -1
	s_delay_alu instid0(SALU_CYCLE_1) | instskip(NEXT) | instid1(SALU_CYCLE_1)
	s_and_b32 s13, s12, vcc_lo
	s_and_saveexec_b32 s12, s13
	s_cbranch_execz .LBB116_686
; %bb.685:
	v_ashrrev_i32_e32 v125, 31, v124
	s_delay_alu instid0(VALU_DEP_1)
	v_lshl_add_u64 v[132:133], v[124:125], 2, v[4:5]
	s_clause 0x1
	global_load_b32 v125, v[132:133], off
	global_load_b32 v131, v[4:5], off offset:128
	s_wait_loadcnt 0x1
	global_store_b32 v[4:5], v125, off offset:128
	s_wait_loadcnt 0x0
	global_store_b32 v[132:133], v131, off
.LBB116_686:
	s_wait_xcnt 0x0
	s_or_b32 exec_lo, exec_lo, s12
	v_dual_mov_b32 v132, v124 :: v_dual_mov_b32 v131, v124
.LBB116_687:
	s_or_b32 exec_lo, exec_lo, s1
.LBB116_688:
	s_and_not1_saveexec_b32 s0, s0
	s_cbranch_execz .LBB116_690
; %bb.689:
	v_mov_b32_e32 v132, 32
	ds_store_2addr_b64 v128, v[76:77], v[56:57] offset0:33 offset1:34
	ds_store_2addr_b64 v128, v[54:55], v[88:89] offset0:35 offset1:36
	;; [unrolled: 1-line block ×13, first 2 shown]
.LBB116_690:
	s_or_b32 exec_lo, exec_lo, s0
	s_delay_alu instid0(SALU_CYCLE_1)
	s_mov_b32 s0, exec_lo
	s_wait_storecnt_dscnt 0x0
	s_barrier_signal -1
	s_barrier_wait -1
	v_cmpx_lt_i32_e32 32, v132
	s_cbranch_execz .LBB116_692
; %bb.691:
	v_pk_mul_f32 v[134:135], v[126:127], v[78:79] op_sel:[1,1] op_sel_hi:[0,1]
	s_delay_alu instid0(VALU_DEP_1)
	v_pk_fma_f32 v[124:125], v[126:127], v[78:79], v[134:135] op_sel_hi:[1,0,1] neg_lo:[0,0,1] neg_hi:[0,0,1]
	v_pk_fma_f32 v[126:127], v[126:127], v[78:79], v[134:135] op_sel_hi:[1,0,1]
	ds_load_2addr_b64 v[134:137], v128 offset0:33 offset1:34
	v_dual_mov_b32 v78, v124 :: v_dual_mov_b32 v79, v127
	s_wait_dscnt 0x0
	v_pk_mul_f32 v[138:139], v[134:135], v[126:127] op_sel:[0,1]
	s_delay_alu instid0(VALU_DEP_1) | instskip(SKIP_1) | instid1(VALU_DEP_1)
	v_pk_fma_f32 v[140:141], v[134:135], v[124:125], v[138:139] op_sel:[0,0,1] op_sel_hi:[1,1,0] neg_lo:[0,0,1] neg_hi:[0,0,1]
	v_pk_fma_f32 v[134:135], v[134:135], v[124:125], v[138:139] op_sel:[0,0,1] op_sel_hi:[1,0,0]
	v_mov_b32_e32 v141, v135
	v_pk_mul_f32 v[134:135], v[136:137], v[126:127] op_sel:[0,1]
	s_delay_alu instid0(VALU_DEP_1) | instskip(SKIP_1) | instid1(VALU_DEP_1)
	v_pk_fma_f32 v[138:139], v[136:137], v[124:125], v[134:135] op_sel:[0,0,1] op_sel_hi:[1,1,0] neg_lo:[0,0,1] neg_hi:[0,0,1]
	v_pk_fma_f32 v[134:135], v[136:137], v[124:125], v[134:135] op_sel:[0,0,1] op_sel_hi:[1,0,0]
	v_mov_b32_e32 v139, v135
	ds_load_2addr_b64 v[134:137], v128 offset0:35 offset1:36
	v_pk_add_f32 v[76:77], v[76:77], v[140:141] neg_lo:[0,1] neg_hi:[0,1]
	v_pk_add_f32 v[56:57], v[56:57], v[138:139] neg_lo:[0,1] neg_hi:[0,1]
	s_wait_dscnt 0x0
	v_pk_mul_f32 v[138:139], v[134:135], v[126:127] op_sel:[0,1]
	s_delay_alu instid0(VALU_DEP_1) | instskip(SKIP_2) | instid1(VALU_DEP_2)
	v_pk_fma_f32 v[140:141], v[134:135], v[124:125], v[138:139] op_sel:[0,0,1] op_sel_hi:[1,1,0] neg_lo:[0,0,1] neg_hi:[0,0,1]
	v_pk_fma_f32 v[134:135], v[134:135], v[124:125], v[138:139] op_sel:[0,0,1] op_sel_hi:[1,0,0]
	v_dual_mul_f32 v138, v137, v127 :: v_dual_mov_b32 v134, v137
	v_dual_mov_b32 v141, v135 :: v_dual_mov_b32 v135, v136
	s_delay_alu instid0(VALU_DEP_2) | instskip(SKIP_1) | instid1(VALU_DEP_3)
	v_pk_fma_f32 v[138:139], v[136:137], v[78:79], v[138:139] op_sel_hi:[1,1,0] neg_lo:[0,0,1] neg_hi:[0,0,1]
	v_mul_f32_e32 v136, v137, v124
	v_pk_add_f32 v[54:55], v[54:55], v[140:141] neg_lo:[0,1] neg_hi:[0,1]
	s_delay_alu instid0(VALU_DEP_2) | instskip(NEXT) | instid1(VALU_DEP_1)
	v_pk_fma_f32 v[134:135], v[134:135], v[78:79], v[136:137] op_sel_hi:[1,1,0]
	v_mov_b32_e32 v139, v135
	ds_load_2addr_b64 v[134:137], v128 offset0:37 offset1:38
	v_pk_add_f32 v[88:89], v[88:89], v[138:139] neg_lo:[0,1] neg_hi:[0,1]
	s_wait_dscnt 0x0
	v_pk_mul_f32 v[138:139], v[134:135], v[126:127] op_sel:[0,1]
	s_delay_alu instid0(VALU_DEP_1) | instskip(SKIP_1) | instid1(VALU_DEP_1)
	v_pk_fma_f32 v[140:141], v[134:135], v[124:125], v[138:139] op_sel:[0,0,1] op_sel_hi:[1,1,0] neg_lo:[0,0,1] neg_hi:[0,0,1]
	v_pk_fma_f32 v[134:135], v[134:135], v[124:125], v[138:139] op_sel:[0,0,1] op_sel_hi:[1,0,0]
	v_mov_b32_e32 v141, v135
	v_pk_mul_f32 v[134:135], v[136:137], v[126:127] op_sel:[0,1]
	s_delay_alu instid0(VALU_DEP_1) | instskip(SKIP_1) | instid1(VALU_DEP_1)
	v_pk_fma_f32 v[138:139], v[136:137], v[124:125], v[134:135] op_sel:[0,0,1] op_sel_hi:[1,1,0] neg_lo:[0,0,1] neg_hi:[0,0,1]
	v_pk_fma_f32 v[134:135], v[136:137], v[124:125], v[134:135] op_sel:[0,0,1] op_sel_hi:[1,0,0]
	v_mov_b32_e32 v139, v135
	ds_load_2addr_b64 v[134:137], v128 offset0:39 offset1:40
	v_pk_add_f32 v[86:87], v[86:87], v[140:141] neg_lo:[0,1] neg_hi:[0,1]
	v_pk_add_f32 v[64:65], v[64:65], v[138:139] neg_lo:[0,1] neg_hi:[0,1]
	s_wait_dscnt 0x0
	v_pk_mul_f32 v[138:139], v[134:135], v[126:127] op_sel:[0,1]
	s_delay_alu instid0(VALU_DEP_1) | instskip(SKIP_1) | instid1(VALU_DEP_1)
	v_pk_fma_f32 v[140:141], v[134:135], v[124:125], v[138:139] op_sel:[0,0,1] op_sel_hi:[1,1,0] neg_lo:[0,0,1] neg_hi:[0,0,1]
	v_pk_fma_f32 v[134:135], v[134:135], v[124:125], v[138:139] op_sel:[0,0,1] op_sel_hi:[1,0,0]
	v_mov_b32_e32 v141, v135
	v_pk_mul_f32 v[134:135], v[136:137], v[126:127] op_sel:[0,1]
	s_delay_alu instid0(VALU_DEP_1) | instskip(SKIP_1) | instid1(VALU_DEP_1)
	v_pk_fma_f32 v[138:139], v[136:137], v[124:125], v[134:135] op_sel:[0,0,1] op_sel_hi:[1,1,0] neg_lo:[0,0,1] neg_hi:[0,0,1]
	v_pk_fma_f32 v[134:135], v[136:137], v[124:125], v[134:135] op_sel:[0,0,1] op_sel_hi:[1,0,0]
	v_mov_b32_e32 v139, v135
	ds_load_2addr_b64 v[134:137], v128 offset0:41 offset1:42
	v_pk_add_f32 v[62:63], v[62:63], v[140:141] neg_lo:[0,1] neg_hi:[0,1]
	v_pk_add_f32 v[102:103], v[102:103], v[138:139] neg_lo:[0,1] neg_hi:[0,1]
	s_wait_dscnt 0x0
	v_dual_mul_f32 v138, v135, v127 :: v_dual_mul_f32 v140, v135, v124
	s_delay_alu instid0(VALU_DEP_1) | instskip(NEXT) | instid1(VALU_DEP_2)
	v_pk_fma_f32 v[138:139], v[134:135], v[78:79], v[138:139] op_sel_hi:[1,1,0] neg_lo:[0,0,1] neg_hi:[0,0,1]
	v_pk_fma_f32 v[134:135], v[134:135], v[78:79], v[140:141] op_sel:[1,0,0] op_sel_hi:[0,1,0]
	s_delay_alu instid0(VALU_DEP_1) | instskip(SKIP_1) | instid1(VALU_DEP_2)
	v_mov_b32_e32 v139, v135
	v_pk_mul_f32 v[134:135], v[136:137], v[126:127] op_sel:[0,1]
	v_pk_add_f32 v[100:101], v[100:101], v[138:139] neg_lo:[0,1] neg_hi:[0,1]
	s_delay_alu instid0(VALU_DEP_2) | instskip(SKIP_1) | instid1(VALU_DEP_1)
	v_pk_fma_f32 v[138:139], v[136:137], v[124:125], v[134:135] op_sel:[0,0,1] op_sel_hi:[1,1,0] neg_lo:[0,0,1] neg_hi:[0,0,1]
	v_pk_fma_f32 v[134:135], v[136:137], v[124:125], v[134:135] op_sel:[0,0,1] op_sel_hi:[1,0,0]
	v_mov_b32_e32 v139, v135
	ds_load_2addr_b64 v[134:137], v128 offset0:43 offset1:44
	v_pk_add_f32 v[72:73], v[72:73], v[138:139] neg_lo:[0,1] neg_hi:[0,1]
	s_wait_dscnt 0x0
	v_pk_mul_f32 v[138:139], v[134:135], v[126:127] op_sel:[0,1]
	s_delay_alu instid0(VALU_DEP_1) | instskip(SKIP_1) | instid1(VALU_DEP_1)
	v_pk_fma_f32 v[140:141], v[134:135], v[124:125], v[138:139] op_sel:[0,0,1] op_sel_hi:[1,1,0] neg_lo:[0,0,1] neg_hi:[0,0,1]
	v_pk_fma_f32 v[134:135], v[134:135], v[124:125], v[138:139] op_sel:[0,0,1] op_sel_hi:[1,0,0]
	v_mov_b32_e32 v141, v135
	v_pk_mul_f32 v[134:135], v[136:137], v[126:127] op_sel:[0,1]
	s_delay_alu instid0(VALU_DEP_2) | instskip(NEXT) | instid1(VALU_DEP_2)
	v_pk_add_f32 v[70:71], v[70:71], v[140:141] neg_lo:[0,1] neg_hi:[0,1]
	v_pk_fma_f32 v[138:139], v[136:137], v[124:125], v[134:135] op_sel:[0,0,1] op_sel_hi:[1,1,0] neg_lo:[0,0,1] neg_hi:[0,0,1]
	v_pk_fma_f32 v[134:135], v[136:137], v[124:125], v[134:135] op_sel:[0,0,1] op_sel_hi:[1,0,0]
	s_delay_alu instid0(VALU_DEP_1) | instskip(SKIP_4) | instid1(VALU_DEP_1)
	v_mov_b32_e32 v139, v135
	ds_load_2addr_b64 v[134:137], v128 offset0:45 offset1:46
	v_pk_add_f32 v[110:111], v[110:111], v[138:139] neg_lo:[0,1] neg_hi:[0,1]
	s_wait_dscnt 0x0
	v_pk_mul_f32 v[138:139], v[134:135], v[126:127] op_sel:[0,1]
	v_pk_fma_f32 v[140:141], v[134:135], v[124:125], v[138:139] op_sel:[0,0,1] op_sel_hi:[1,1,0] neg_lo:[0,0,1] neg_hi:[0,0,1]
	v_pk_fma_f32 v[134:135], v[134:135], v[124:125], v[138:139] op_sel:[0,0,1] op_sel_hi:[1,0,0]
	v_dual_mul_f32 v138, v137, v127 :: v_dual_mov_b32 v134, v137
	s_delay_alu instid0(VALU_DEP_2) | instskip(NEXT) | instid1(VALU_DEP_2)
	v_dual_mov_b32 v141, v135 :: v_dual_mov_b32 v135, v136
	v_pk_fma_f32 v[138:139], v[136:137], v[78:79], v[138:139] op_sel_hi:[1,1,0] neg_lo:[0,0,1] neg_hi:[0,0,1]
	v_mul_f32_e32 v136, v137, v124
	s_delay_alu instid0(VALU_DEP_3) | instskip(NEXT) | instid1(VALU_DEP_2)
	v_pk_add_f32 v[108:109], v[108:109], v[140:141] neg_lo:[0,1] neg_hi:[0,1]
	v_pk_fma_f32 v[134:135], v[134:135], v[78:79], v[136:137] op_sel_hi:[1,1,0]
	s_delay_alu instid0(VALU_DEP_1) | instskip(SKIP_4) | instid1(VALU_DEP_1)
	v_mov_b32_e32 v139, v135
	ds_load_2addr_b64 v[134:137], v128 offset0:47 offset1:48
	v_pk_add_f32 v[82:83], v[82:83], v[138:139] neg_lo:[0,1] neg_hi:[0,1]
	s_wait_dscnt 0x0
	v_pk_mul_f32 v[138:139], v[134:135], v[126:127] op_sel:[0,1]
	v_pk_fma_f32 v[140:141], v[134:135], v[124:125], v[138:139] op_sel:[0,0,1] op_sel_hi:[1,1,0] neg_lo:[0,0,1] neg_hi:[0,0,1]
	v_pk_fma_f32 v[134:135], v[134:135], v[124:125], v[138:139] op_sel:[0,0,1] op_sel_hi:[1,0,0]
	s_delay_alu instid0(VALU_DEP_1) | instskip(SKIP_1) | instid1(VALU_DEP_1)
	v_mov_b32_e32 v141, v135
	v_pk_mul_f32 v[134:135], v[136:137], v[126:127] op_sel:[0,1]
	v_pk_fma_f32 v[138:139], v[136:137], v[124:125], v[134:135] op_sel:[0,0,1] op_sel_hi:[1,1,0] neg_lo:[0,0,1] neg_hi:[0,0,1]
	v_pk_fma_f32 v[134:135], v[136:137], v[124:125], v[134:135] op_sel:[0,0,1] op_sel_hi:[1,0,0]
	s_delay_alu instid0(VALU_DEP_1)
	v_mov_b32_e32 v139, v135
	ds_load_2addr_b64 v[134:137], v128 offset0:49 offset1:50
	v_pk_add_f32 v[80:81], v[80:81], v[140:141] neg_lo:[0,1] neg_hi:[0,1]
	v_pk_add_f32 v[120:121], v[120:121], v[138:139] neg_lo:[0,1] neg_hi:[0,1]
	s_wait_dscnt 0x0
	v_pk_mul_f32 v[138:139], v[134:135], v[126:127] op_sel:[0,1]
	s_delay_alu instid0(VALU_DEP_1) | instskip(SKIP_1) | instid1(VALU_DEP_1)
	v_pk_fma_f32 v[140:141], v[134:135], v[124:125], v[138:139] op_sel:[0,0,1] op_sel_hi:[1,1,0] neg_lo:[0,0,1] neg_hi:[0,0,1]
	v_pk_fma_f32 v[134:135], v[134:135], v[124:125], v[138:139] op_sel:[0,0,1] op_sel_hi:[1,0,0]
	v_mov_b32_e32 v141, v135
	v_pk_mul_f32 v[134:135], v[136:137], v[126:127] op_sel:[0,1]
	s_delay_alu instid0(VALU_DEP_1) | instskip(SKIP_1) | instid1(VALU_DEP_1)
	v_pk_fma_f32 v[138:139], v[136:137], v[124:125], v[134:135] op_sel:[0,0,1] op_sel_hi:[1,1,0] neg_lo:[0,0,1] neg_hi:[0,0,1]
	v_pk_fma_f32 v[134:135], v[136:137], v[124:125], v[134:135] op_sel:[0,0,1] op_sel_hi:[1,0,0]
	v_mov_b32_e32 v139, v135
	ds_load_2addr_b64 v[134:137], v128 offset0:51 offset1:52
	v_pk_add_f32 v[118:119], v[118:119], v[140:141] neg_lo:[0,1] neg_hi:[0,1]
	v_pk_add_f32 v[94:95], v[94:95], v[138:139] neg_lo:[0,1] neg_hi:[0,1]
	s_wait_dscnt 0x0
	v_dual_mul_f32 v138, v135, v127 :: v_dual_mul_f32 v140, v135, v124
	s_delay_alu instid0(VALU_DEP_1) | instskip(NEXT) | instid1(VALU_DEP_2)
	v_pk_fma_f32 v[138:139], v[134:135], v[78:79], v[138:139] op_sel_hi:[1,1,0] neg_lo:[0,0,1] neg_hi:[0,0,1]
	v_pk_fma_f32 v[134:135], v[134:135], v[78:79], v[140:141] op_sel:[1,0,0] op_sel_hi:[0,1,0]
	s_delay_alu instid0(VALU_DEP_1) | instskip(SKIP_1) | instid1(VALU_DEP_2)
	v_mov_b32_e32 v139, v135
	v_pk_mul_f32 v[134:135], v[136:137], v[126:127] op_sel:[0,1]
	v_pk_add_f32 v[96:97], v[96:97], v[138:139] neg_lo:[0,1] neg_hi:[0,1]
	s_delay_alu instid0(VALU_DEP_2) | instskip(SKIP_1) | instid1(VALU_DEP_1)
	v_pk_fma_f32 v[138:139], v[136:137], v[124:125], v[134:135] op_sel:[0,0,1] op_sel_hi:[1,1,0] neg_lo:[0,0,1] neg_hi:[0,0,1]
	v_pk_fma_f32 v[134:135], v[136:137], v[124:125], v[134:135] op_sel:[0,0,1] op_sel_hi:[1,0,0]
	v_mov_b32_e32 v139, v135
	ds_load_2addr_b64 v[134:137], v128 offset0:53 offset1:54
	v_pk_add_f32 v[114:115], v[114:115], v[138:139] neg_lo:[0,1] neg_hi:[0,1]
	s_wait_dscnt 0x0
	v_pk_mul_f32 v[138:139], v[134:135], v[126:127] op_sel:[0,1]
	s_delay_alu instid0(VALU_DEP_1) | instskip(SKIP_1) | instid1(VALU_DEP_1)
	v_pk_fma_f32 v[140:141], v[134:135], v[124:125], v[138:139] op_sel:[0,0,1] op_sel_hi:[1,1,0] neg_lo:[0,0,1] neg_hi:[0,0,1]
	v_pk_fma_f32 v[134:135], v[134:135], v[124:125], v[138:139] op_sel:[0,0,1] op_sel_hi:[1,0,0]
	v_mov_b32_e32 v141, v135
	v_pk_mul_f32 v[134:135], v[136:137], v[126:127] op_sel:[0,1]
	s_delay_alu instid0(VALU_DEP_2) | instskip(NEXT) | instid1(VALU_DEP_2)
	v_pk_add_f32 v[112:113], v[112:113], v[140:141] neg_lo:[0,1] neg_hi:[0,1]
	v_pk_fma_f32 v[138:139], v[136:137], v[124:125], v[134:135] op_sel:[0,0,1] op_sel_hi:[1,1,0] neg_lo:[0,0,1] neg_hi:[0,0,1]
	v_pk_fma_f32 v[134:135], v[136:137], v[124:125], v[134:135] op_sel:[0,0,1] op_sel_hi:[1,0,0]
	s_delay_alu instid0(VALU_DEP_1) | instskip(SKIP_4) | instid1(VALU_DEP_1)
	v_mov_b32_e32 v139, v135
	ds_load_2addr_b64 v[134:137], v128 offset0:55 offset1:56
	v_pk_add_f32 v[92:93], v[92:93], v[138:139] neg_lo:[0,1] neg_hi:[0,1]
	s_wait_dscnt 0x0
	v_pk_mul_f32 v[138:139], v[134:135], v[126:127] op_sel:[0,1]
	v_pk_fma_f32 v[140:141], v[134:135], v[124:125], v[138:139] op_sel:[0,0,1] op_sel_hi:[1,1,0] neg_lo:[0,0,1] neg_hi:[0,0,1]
	v_pk_fma_f32 v[134:135], v[134:135], v[124:125], v[138:139] op_sel:[0,0,1] op_sel_hi:[1,0,0]
	v_dual_mul_f32 v138, v137, v127 :: v_dual_mov_b32 v134, v137
	s_delay_alu instid0(VALU_DEP_2) | instskip(NEXT) | instid1(VALU_DEP_2)
	v_dual_mov_b32 v141, v135 :: v_dual_mov_b32 v135, v136
	v_pk_fma_f32 v[138:139], v[136:137], v[78:79], v[138:139] op_sel_hi:[1,1,0] neg_lo:[0,0,1] neg_hi:[0,0,1]
	v_mul_f32_e32 v136, v137, v124
	s_delay_alu instid0(VALU_DEP_3) | instskip(NEXT) | instid1(VALU_DEP_2)
	v_pk_add_f32 v[90:91], v[90:91], v[140:141] neg_lo:[0,1] neg_hi:[0,1]
	v_pk_fma_f32 v[134:135], v[134:135], v[78:79], v[136:137] op_sel_hi:[1,1,0]
	s_delay_alu instid0(VALU_DEP_1)
	v_mov_b32_e32 v139, v135
	ds_load_2addr_b64 v[134:137], v128 offset0:57 offset1:58
	v_pk_add_f32 v[104:105], v[104:105], v[138:139] neg_lo:[0,1] neg_hi:[0,1]
	s_wait_dscnt 0x0
	v_pk_mul_f32 v[138:139], v[134:135], v[126:127] op_sel:[0,1]
	v_pk_mul_f32 v[126:127], v[136:137], v[126:127] op_sel:[0,1]
	s_delay_alu instid0(VALU_DEP_2) | instskip(SKIP_1) | instid1(VALU_DEP_1)
	v_pk_fma_f32 v[140:141], v[134:135], v[124:125], v[138:139] op_sel:[0,0,1] op_sel_hi:[1,1,0] neg_lo:[0,0,1] neg_hi:[0,0,1]
	v_pk_fma_f32 v[134:135], v[134:135], v[124:125], v[138:139] op_sel:[0,0,1] op_sel_hi:[1,0,0]
	v_mov_b32_e32 v141, v135
	s_delay_alu instid0(VALU_DEP_4) | instskip(SKIP_1) | instid1(VALU_DEP_1)
	v_pk_fma_f32 v[134:135], v[136:137], v[124:125], v[126:127] op_sel:[0,0,1] op_sel_hi:[1,1,0] neg_lo:[0,0,1] neg_hi:[0,0,1]
	v_pk_fma_f32 v[124:125], v[136:137], v[124:125], v[126:127] op_sel:[0,0,1] op_sel_hi:[1,0,0]
	v_mov_b32_e32 v135, v125
	s_delay_alu instid0(VALU_DEP_4) | instskip(NEXT) | instid1(VALU_DEP_2)
	v_pk_add_f32 v[98:99], v[98:99], v[140:141] neg_lo:[0,1] neg_hi:[0,1]
	v_pk_add_f32 v[122:123], v[122:123], v[134:135] neg_lo:[0,1] neg_hi:[0,1]
.LBB116_692:
	s_or_b32 exec_lo, exec_lo, s0
	v_lshl_add_u32 v124, v132, 3, v128
	s_barrier_signal -1
	s_barrier_wait -1
	ds_store_b64 v124, v[76:77]
	s_wait_dscnt 0x0
	s_barrier_signal -1
	s_barrier_wait -1
	ds_load_b64 v[126:127], v128 offset:264
	v_mov_b32_e32 v124, 33
	s_cmp_lt_i32 s18, 35
	s_cbranch_scc1 .LBB116_695
; %bb.693:
	v_add3_u32 v125, v129, 0, 0x110
	v_mov_b32_e32 v124, 33
	s_mov_b32 s0, 34
.LBB116_694:                            ; =>This Inner Loop Header: Depth=1
	ds_load_b64 v[134:135], v125
	s_wait_dscnt 0x1
	v_cmp_gt_f32_e32 vcc_lo, 0, v126
	v_cndmask_b32_e64 v136, v126, -v126, vcc_lo
	v_cmp_gt_f32_e32 vcc_lo, 0, v127
	v_cndmask_b32_e64 v138, v127, -v127, vcc_lo
	s_wait_dscnt 0x0
	v_cmp_gt_f32_e32 vcc_lo, 0, v134
	v_cndmask_b32_e64 v137, v134, -v134, vcc_lo
	v_cmp_gt_f32_e32 vcc_lo, 0, v135
	v_cndmask_b32_e64 v139, v135, -v135, vcc_lo
	s_delay_alu instid0(VALU_DEP_1) | instskip(NEXT) | instid1(VALU_DEP_1)
	v_pk_add_f32 v[136:137], v[136:137], v[138:139]
	v_cmp_lt_f32_e32 vcc_lo, v136, v137
	v_dual_add_nc_u32 v125, 8, v125 :: v_dual_cndmask_b32 v127, v127, v135, vcc_lo
	v_cndmask_b32_e32 v126, v126, v134, vcc_lo
	v_cndmask_b32_e64 v124, v124, s0, vcc_lo
	s_add_co_i32 s0, s0, 1
	s_delay_alu instid0(SALU_CYCLE_1)
	s_cmp_lg_u32 s18, s0
	s_cbranch_scc1 .LBB116_694
.LBB116_695:
	s_wait_dscnt 0x0
	v_cmp_eq_f32_e32 vcc_lo, 0, v126
	v_cmp_eq_f32_e64 s0, 0, v127
	s_and_b32 s0, vcc_lo, s0
	s_delay_alu instid0(SALU_CYCLE_1) | instskip(NEXT) | instid1(SALU_CYCLE_1)
	s_and_saveexec_b32 s1, s0
	s_xor_b32 s0, exec_lo, s1
; %bb.696:
	v_cmp_ne_u32_e32 vcc_lo, 0, v130
	v_cndmask_b32_e32 v130, 34, v130, vcc_lo
; %bb.697:
	s_and_not1_saveexec_b32 s0, s0
	s_cbranch_execz .LBB116_703
; %bb.698:
	v_cmp_ngt_f32_e64 s1, |v126|, |v127|
	s_and_saveexec_b32 s12, s1
	s_delay_alu instid0(SALU_CYCLE_1)
	s_xor_b32 s1, exec_lo, s12
	s_cbranch_execz .LBB116_700
; %bb.699:
	v_div_scale_f32 v125, null, v127, v127, v126
	v_div_scale_f32 v135, vcc_lo, v126, v127, v126
	s_delay_alu instid0(VALU_DEP_2) | instskip(SKIP_1) | instid1(TRANS32_DEP_1)
	v_rcp_f32_e32 v133, v125
	v_nop
	v_fma_f32 v134, -v125, v133, 1.0
	s_delay_alu instid0(VALU_DEP_1) | instskip(NEXT) | instid1(VALU_DEP_1)
	v_fmac_f32_e32 v133, v134, v133
	v_mul_f32_e32 v134, v135, v133
	s_delay_alu instid0(VALU_DEP_1) | instskip(NEXT) | instid1(VALU_DEP_1)
	v_fma_f32 v136, -v125, v134, v135
	v_fmac_f32_e32 v134, v136, v133
	s_delay_alu instid0(VALU_DEP_1) | instskip(NEXT) | instid1(VALU_DEP_1)
	v_fma_f32 v125, -v125, v134, v135
	v_div_fmas_f32 v125, v125, v133, v134
	s_delay_alu instid0(VALU_DEP_1) | instskip(NEXT) | instid1(VALU_DEP_1)
	v_div_fixup_f32 v125, v125, v127, v126
	v_fmac_f32_e32 v127, v126, v125
	s_delay_alu instid0(VALU_DEP_1) | instskip(SKIP_1) | instid1(VALU_DEP_2)
	v_div_scale_f32 v126, null, v127, v127, 1.0
	v_div_scale_f32 v135, vcc_lo, 1.0, v127, 1.0
	v_rcp_f32_e32 v133, v126
	v_nop
	s_delay_alu instid0(TRANS32_DEP_1) | instskip(NEXT) | instid1(VALU_DEP_1)
	v_fma_f32 v134, -v126, v133, 1.0
	v_fmac_f32_e32 v133, v134, v133
	s_delay_alu instid0(VALU_DEP_1) | instskip(NEXT) | instid1(VALU_DEP_1)
	v_mul_f32_e32 v134, v135, v133
	v_fma_f32 v136, -v126, v134, v135
	s_delay_alu instid0(VALU_DEP_1) | instskip(NEXT) | instid1(VALU_DEP_1)
	v_fmac_f32_e32 v134, v136, v133
	v_fma_f32 v126, -v126, v134, v135
	s_delay_alu instid0(VALU_DEP_1) | instskip(NEXT) | instid1(VALU_DEP_1)
	v_div_fmas_f32 v126, v126, v133, v134
	v_div_fixup_f32 v127, v126, v127, 1.0
	s_delay_alu instid0(VALU_DEP_1)
	v_mul_f32_e32 v126, v125, v127
	v_xor_b32_e32 v127, 0x80000000, v127
.LBB116_700:
	s_and_not1_saveexec_b32 s1, s1
	s_cbranch_execz .LBB116_702
; %bb.701:
	s_delay_alu instid0(VALU_DEP_1) | instskip(SKIP_1) | instid1(VALU_DEP_2)
	v_div_scale_f32 v125, null, v126, v126, v127
	v_div_scale_f32 v135, vcc_lo, v127, v126, v127
	v_rcp_f32_e32 v133, v125
	v_nop
	s_delay_alu instid0(TRANS32_DEP_1) | instskip(NEXT) | instid1(VALU_DEP_1)
	v_fma_f32 v134, -v125, v133, 1.0
	v_fmac_f32_e32 v133, v134, v133
	s_delay_alu instid0(VALU_DEP_1) | instskip(NEXT) | instid1(VALU_DEP_1)
	v_mul_f32_e32 v134, v135, v133
	v_fma_f32 v136, -v125, v134, v135
	s_delay_alu instid0(VALU_DEP_1) | instskip(NEXT) | instid1(VALU_DEP_1)
	v_fmac_f32_e32 v134, v136, v133
	v_fma_f32 v125, -v125, v134, v135
	s_delay_alu instid0(VALU_DEP_1) | instskip(NEXT) | instid1(VALU_DEP_1)
	v_div_fmas_f32 v125, v125, v133, v134
	v_div_fixup_f32 v125, v125, v126, v127
	s_delay_alu instid0(VALU_DEP_1) | instskip(NEXT) | instid1(VALU_DEP_1)
	v_fmac_f32_e32 v126, v127, v125
	v_div_scale_f32 v127, null, v126, v126, 1.0
	s_delay_alu instid0(VALU_DEP_1) | instskip(SKIP_1) | instid1(TRANS32_DEP_1)
	v_rcp_f32_e32 v133, v127
	v_nop
	v_fma_f32 v134, -v127, v133, 1.0
	s_delay_alu instid0(VALU_DEP_1) | instskip(SKIP_1) | instid1(VALU_DEP_1)
	v_fmac_f32_e32 v133, v134, v133
	v_div_scale_f32 v134, vcc_lo, 1.0, v126, 1.0
	v_mul_f32_e32 v135, v134, v133
	s_delay_alu instid0(VALU_DEP_1) | instskip(NEXT) | instid1(VALU_DEP_1)
	v_fma_f32 v136, -v127, v135, v134
	v_fmac_f32_e32 v135, v136, v133
	s_delay_alu instid0(VALU_DEP_1) | instskip(NEXT) | instid1(VALU_DEP_1)
	v_fma_f32 v127, -v127, v135, v134
	v_div_fmas_f32 v127, v127, v133, v135
	s_delay_alu instid0(VALU_DEP_1) | instskip(NEXT) | instid1(VALU_DEP_1)
	v_div_fixup_f32 v126, v127, v126, 1.0
	v_mul_f32_e64 v127, v125, -v126
.LBB116_702:
	s_or_b32 exec_lo, exec_lo, s1
.LBB116_703:
	s_delay_alu instid0(SALU_CYCLE_1) | instskip(NEXT) | instid1(SALU_CYCLE_1)
	s_or_b32 exec_lo, exec_lo, s0
	s_mov_b32 s0, exec_lo
	v_cmpx_ne_u32_e64 v132, v124
	s_xor_b32 s0, exec_lo, s0
	s_cbranch_execz .LBB116_709
; %bb.704:
	s_mov_b32 s1, exec_lo
	v_cmpx_eq_u32_e32 33, v132
	s_cbranch_execz .LBB116_708
; %bb.705:
	v_cmp_ne_u32_e32 vcc_lo, 33, v124
	s_xor_b32 s12, s16, -1
	s_delay_alu instid0(SALU_CYCLE_1) | instskip(NEXT) | instid1(SALU_CYCLE_1)
	s_and_b32 s13, s12, vcc_lo
	s_and_saveexec_b32 s12, s13
	s_cbranch_execz .LBB116_707
; %bb.706:
	v_ashrrev_i32_e32 v125, 31, v124
	s_delay_alu instid0(VALU_DEP_1)
	v_lshl_add_u64 v[132:133], v[124:125], 2, v[4:5]
	s_clause 0x1
	global_load_b32 v125, v[132:133], off
	global_load_b32 v131, v[4:5], off offset:132
	s_wait_loadcnt 0x1
	global_store_b32 v[4:5], v125, off offset:132
	s_wait_loadcnt 0x0
	global_store_b32 v[132:133], v131, off
.LBB116_707:
	s_wait_xcnt 0x0
	s_or_b32 exec_lo, exec_lo, s12
	v_dual_mov_b32 v132, v124 :: v_dual_mov_b32 v131, v124
.LBB116_708:
	s_or_b32 exec_lo, exec_lo, s1
.LBB116_709:
	s_and_not1_saveexec_b32 s0, s0
	s_cbranch_execz .LBB116_711
; %bb.710:
	v_dual_mov_b32 v124, v56 :: v_dual_mov_b32 v125, v57
	v_dual_mov_b32 v132, v54 :: v_dual_mov_b32 v133, v55
	ds_store_2addr_b64 v128, v[124:125], v[132:133] offset0:34 offset1:35
	v_dual_mov_b32 v124, v88 :: v_dual_mov_b32 v125, v89
	v_dual_mov_b32 v132, v86 :: v_dual_mov_b32 v133, v87
	ds_store_2addr_b64 v128, v[124:125], v[132:133] offset0:36 offset1:37
	;; [unrolled: 3-line block ×12, first 2 shown]
	ds_store_b64 v128, v[122:123] offset:464
	v_mov_b32_e32 v132, 33
.LBB116_711:
	s_or_b32 exec_lo, exec_lo, s0
	s_delay_alu instid0(SALU_CYCLE_1)
	s_mov_b32 s0, exec_lo
	s_wait_storecnt_dscnt 0x0
	s_barrier_signal -1
	s_barrier_wait -1
	v_cmpx_lt_i32_e32 33, v132
	s_cbranch_execz .LBB116_713
; %bb.712:
	v_pk_mul_f32 v[134:135], v[126:127], v[76:77] op_sel:[1,1] op_sel_hi:[0,1]
	s_delay_alu instid0(VALU_DEP_1)
	v_pk_fma_f32 v[124:125], v[126:127], v[76:77], v[134:135] op_sel_hi:[1,0,1] neg_lo:[0,0,1] neg_hi:[0,0,1]
	v_pk_fma_f32 v[126:127], v[126:127], v[76:77], v[134:135] op_sel_hi:[1,0,1]
	ds_load_2addr_b64 v[134:137], v128 offset0:34 offset1:35
	v_dual_mov_b32 v76, v124 :: v_dual_mov_b32 v77, v127
	s_wait_dscnt 0x0
	v_pk_mul_f32 v[138:139], v[134:135], v[126:127] op_sel:[0,1]
	s_delay_alu instid0(VALU_DEP_1) | instskip(SKIP_1) | instid1(VALU_DEP_1)
	v_pk_fma_f32 v[140:141], v[134:135], v[124:125], v[138:139] op_sel:[0,0,1] op_sel_hi:[1,1,0] neg_lo:[0,0,1] neg_hi:[0,0,1]
	v_pk_fma_f32 v[134:135], v[134:135], v[124:125], v[138:139] op_sel:[0,0,1] op_sel_hi:[1,0,0]
	v_mov_b32_e32 v141, v135
	v_pk_mul_f32 v[134:135], v[136:137], v[126:127] op_sel:[0,1]
	s_delay_alu instid0(VALU_DEP_1) | instskip(SKIP_1) | instid1(VALU_DEP_1)
	v_pk_fma_f32 v[138:139], v[136:137], v[124:125], v[134:135] op_sel:[0,0,1] op_sel_hi:[1,1,0] neg_lo:[0,0,1] neg_hi:[0,0,1]
	v_pk_fma_f32 v[134:135], v[136:137], v[124:125], v[134:135] op_sel:[0,0,1] op_sel_hi:[1,0,0]
	v_mov_b32_e32 v139, v135
	ds_load_2addr_b64 v[134:137], v128 offset0:36 offset1:37
	v_pk_add_f32 v[56:57], v[56:57], v[140:141] neg_lo:[0,1] neg_hi:[0,1]
	v_pk_add_f32 v[54:55], v[54:55], v[138:139] neg_lo:[0,1] neg_hi:[0,1]
	s_wait_dscnt 0x0
	v_pk_mul_f32 v[138:139], v[134:135], v[126:127] op_sel:[0,1]
	s_delay_alu instid0(VALU_DEP_1) | instskip(SKIP_2) | instid1(VALU_DEP_2)
	v_pk_fma_f32 v[140:141], v[134:135], v[124:125], v[138:139] op_sel:[0,0,1] op_sel_hi:[1,1,0] neg_lo:[0,0,1] neg_hi:[0,0,1]
	v_pk_fma_f32 v[134:135], v[134:135], v[124:125], v[138:139] op_sel:[0,0,1] op_sel_hi:[1,0,0]
	v_dual_mul_f32 v138, v137, v127 :: v_dual_mov_b32 v134, v137
	v_dual_mov_b32 v141, v135 :: v_dual_mov_b32 v135, v136
	s_delay_alu instid0(VALU_DEP_2) | instskip(SKIP_1) | instid1(VALU_DEP_3)
	v_pk_fma_f32 v[138:139], v[136:137], v[76:77], v[138:139] op_sel_hi:[1,1,0] neg_lo:[0,0,1] neg_hi:[0,0,1]
	v_mul_f32_e32 v136, v137, v124
	v_pk_add_f32 v[88:89], v[88:89], v[140:141] neg_lo:[0,1] neg_hi:[0,1]
	s_delay_alu instid0(VALU_DEP_2) | instskip(NEXT) | instid1(VALU_DEP_1)
	v_pk_fma_f32 v[134:135], v[134:135], v[76:77], v[136:137] op_sel_hi:[1,1,0]
	v_mov_b32_e32 v139, v135
	ds_load_2addr_b64 v[134:137], v128 offset0:38 offset1:39
	v_pk_add_f32 v[86:87], v[86:87], v[138:139] neg_lo:[0,1] neg_hi:[0,1]
	s_wait_dscnt 0x0
	v_pk_mul_f32 v[138:139], v[134:135], v[126:127] op_sel:[0,1]
	s_delay_alu instid0(VALU_DEP_1) | instskip(SKIP_1) | instid1(VALU_DEP_1)
	v_pk_fma_f32 v[140:141], v[134:135], v[124:125], v[138:139] op_sel:[0,0,1] op_sel_hi:[1,1,0] neg_lo:[0,0,1] neg_hi:[0,0,1]
	v_pk_fma_f32 v[134:135], v[134:135], v[124:125], v[138:139] op_sel:[0,0,1] op_sel_hi:[1,0,0]
	v_mov_b32_e32 v141, v135
	v_pk_mul_f32 v[134:135], v[136:137], v[126:127] op_sel:[0,1]
	s_delay_alu instid0(VALU_DEP_1) | instskip(SKIP_1) | instid1(VALU_DEP_1)
	v_pk_fma_f32 v[138:139], v[136:137], v[124:125], v[134:135] op_sel:[0,0,1] op_sel_hi:[1,1,0] neg_lo:[0,0,1] neg_hi:[0,0,1]
	v_pk_fma_f32 v[134:135], v[136:137], v[124:125], v[134:135] op_sel:[0,0,1] op_sel_hi:[1,0,0]
	v_mov_b32_e32 v139, v135
	ds_load_2addr_b64 v[134:137], v128 offset0:40 offset1:41
	v_pk_add_f32 v[64:65], v[64:65], v[140:141] neg_lo:[0,1] neg_hi:[0,1]
	v_pk_add_f32 v[62:63], v[62:63], v[138:139] neg_lo:[0,1] neg_hi:[0,1]
	s_wait_dscnt 0x0
	v_pk_mul_f32 v[138:139], v[134:135], v[126:127] op_sel:[0,1]
	s_delay_alu instid0(VALU_DEP_1) | instskip(SKIP_1) | instid1(VALU_DEP_1)
	v_pk_fma_f32 v[140:141], v[134:135], v[124:125], v[138:139] op_sel:[0,0,1] op_sel_hi:[1,1,0] neg_lo:[0,0,1] neg_hi:[0,0,1]
	v_pk_fma_f32 v[134:135], v[134:135], v[124:125], v[138:139] op_sel:[0,0,1] op_sel_hi:[1,0,0]
	v_mov_b32_e32 v141, v135
	v_pk_mul_f32 v[134:135], v[136:137], v[126:127] op_sel:[0,1]
	s_delay_alu instid0(VALU_DEP_1) | instskip(SKIP_1) | instid1(VALU_DEP_1)
	v_pk_fma_f32 v[138:139], v[136:137], v[124:125], v[134:135] op_sel:[0,0,1] op_sel_hi:[1,1,0] neg_lo:[0,0,1] neg_hi:[0,0,1]
	v_pk_fma_f32 v[134:135], v[136:137], v[124:125], v[134:135] op_sel:[0,0,1] op_sel_hi:[1,0,0]
	v_mov_b32_e32 v139, v135
	ds_load_2addr_b64 v[134:137], v128 offset0:42 offset1:43
	v_pk_add_f32 v[102:103], v[102:103], v[140:141] neg_lo:[0,1] neg_hi:[0,1]
	v_pk_add_f32 v[100:101], v[100:101], v[138:139] neg_lo:[0,1] neg_hi:[0,1]
	s_wait_dscnt 0x0
	v_dual_mul_f32 v138, v135, v127 :: v_dual_mul_f32 v140, v135, v124
	s_delay_alu instid0(VALU_DEP_1) | instskip(NEXT) | instid1(VALU_DEP_2)
	v_pk_fma_f32 v[138:139], v[134:135], v[76:77], v[138:139] op_sel_hi:[1,1,0] neg_lo:[0,0,1] neg_hi:[0,0,1]
	v_pk_fma_f32 v[134:135], v[134:135], v[76:77], v[140:141] op_sel:[1,0,0] op_sel_hi:[0,1,0]
	s_delay_alu instid0(VALU_DEP_1) | instskip(SKIP_1) | instid1(VALU_DEP_2)
	v_mov_b32_e32 v139, v135
	v_pk_mul_f32 v[134:135], v[136:137], v[126:127] op_sel:[0,1]
	v_pk_add_f32 v[72:73], v[72:73], v[138:139] neg_lo:[0,1] neg_hi:[0,1]
	s_delay_alu instid0(VALU_DEP_2) | instskip(SKIP_1) | instid1(VALU_DEP_1)
	v_pk_fma_f32 v[138:139], v[136:137], v[124:125], v[134:135] op_sel:[0,0,1] op_sel_hi:[1,1,0] neg_lo:[0,0,1] neg_hi:[0,0,1]
	v_pk_fma_f32 v[134:135], v[136:137], v[124:125], v[134:135] op_sel:[0,0,1] op_sel_hi:[1,0,0]
	v_mov_b32_e32 v139, v135
	ds_load_2addr_b64 v[134:137], v128 offset0:44 offset1:45
	v_pk_add_f32 v[70:71], v[70:71], v[138:139] neg_lo:[0,1] neg_hi:[0,1]
	s_wait_dscnt 0x0
	v_pk_mul_f32 v[138:139], v[134:135], v[126:127] op_sel:[0,1]
	s_delay_alu instid0(VALU_DEP_1) | instskip(SKIP_1) | instid1(VALU_DEP_1)
	v_pk_fma_f32 v[140:141], v[134:135], v[124:125], v[138:139] op_sel:[0,0,1] op_sel_hi:[1,1,0] neg_lo:[0,0,1] neg_hi:[0,0,1]
	v_pk_fma_f32 v[134:135], v[134:135], v[124:125], v[138:139] op_sel:[0,0,1] op_sel_hi:[1,0,0]
	v_mov_b32_e32 v141, v135
	v_pk_mul_f32 v[134:135], v[136:137], v[126:127] op_sel:[0,1]
	s_delay_alu instid0(VALU_DEP_2) | instskip(NEXT) | instid1(VALU_DEP_2)
	v_pk_add_f32 v[110:111], v[110:111], v[140:141] neg_lo:[0,1] neg_hi:[0,1]
	v_pk_fma_f32 v[138:139], v[136:137], v[124:125], v[134:135] op_sel:[0,0,1] op_sel_hi:[1,1,0] neg_lo:[0,0,1] neg_hi:[0,0,1]
	v_pk_fma_f32 v[134:135], v[136:137], v[124:125], v[134:135] op_sel:[0,0,1] op_sel_hi:[1,0,0]
	s_delay_alu instid0(VALU_DEP_1) | instskip(SKIP_4) | instid1(VALU_DEP_1)
	v_mov_b32_e32 v139, v135
	ds_load_2addr_b64 v[134:137], v128 offset0:46 offset1:47
	v_pk_add_f32 v[108:109], v[108:109], v[138:139] neg_lo:[0,1] neg_hi:[0,1]
	s_wait_dscnt 0x0
	v_pk_mul_f32 v[138:139], v[134:135], v[126:127] op_sel:[0,1]
	v_pk_fma_f32 v[140:141], v[134:135], v[124:125], v[138:139] op_sel:[0,0,1] op_sel_hi:[1,1,0] neg_lo:[0,0,1] neg_hi:[0,0,1]
	v_pk_fma_f32 v[134:135], v[134:135], v[124:125], v[138:139] op_sel:[0,0,1] op_sel_hi:[1,0,0]
	v_dual_mul_f32 v138, v137, v127 :: v_dual_mov_b32 v134, v137
	s_delay_alu instid0(VALU_DEP_2) | instskip(NEXT) | instid1(VALU_DEP_2)
	v_dual_mov_b32 v141, v135 :: v_dual_mov_b32 v135, v136
	v_pk_fma_f32 v[138:139], v[136:137], v[76:77], v[138:139] op_sel_hi:[1,1,0] neg_lo:[0,0,1] neg_hi:[0,0,1]
	v_mul_f32_e32 v136, v137, v124
	s_delay_alu instid0(VALU_DEP_3) | instskip(NEXT) | instid1(VALU_DEP_2)
	v_pk_add_f32 v[82:83], v[82:83], v[140:141] neg_lo:[0,1] neg_hi:[0,1]
	v_pk_fma_f32 v[134:135], v[134:135], v[76:77], v[136:137] op_sel_hi:[1,1,0]
	s_delay_alu instid0(VALU_DEP_1) | instskip(SKIP_4) | instid1(VALU_DEP_1)
	v_mov_b32_e32 v139, v135
	ds_load_2addr_b64 v[134:137], v128 offset0:48 offset1:49
	v_pk_add_f32 v[80:81], v[80:81], v[138:139] neg_lo:[0,1] neg_hi:[0,1]
	s_wait_dscnt 0x0
	v_pk_mul_f32 v[138:139], v[134:135], v[126:127] op_sel:[0,1]
	v_pk_fma_f32 v[140:141], v[134:135], v[124:125], v[138:139] op_sel:[0,0,1] op_sel_hi:[1,1,0] neg_lo:[0,0,1] neg_hi:[0,0,1]
	v_pk_fma_f32 v[134:135], v[134:135], v[124:125], v[138:139] op_sel:[0,0,1] op_sel_hi:[1,0,0]
	s_delay_alu instid0(VALU_DEP_1) | instskip(SKIP_1) | instid1(VALU_DEP_1)
	v_mov_b32_e32 v141, v135
	v_pk_mul_f32 v[134:135], v[136:137], v[126:127] op_sel:[0,1]
	v_pk_fma_f32 v[138:139], v[136:137], v[124:125], v[134:135] op_sel:[0,0,1] op_sel_hi:[1,1,0] neg_lo:[0,0,1] neg_hi:[0,0,1]
	v_pk_fma_f32 v[134:135], v[136:137], v[124:125], v[134:135] op_sel:[0,0,1] op_sel_hi:[1,0,0]
	s_delay_alu instid0(VALU_DEP_1)
	v_mov_b32_e32 v139, v135
	ds_load_2addr_b64 v[134:137], v128 offset0:50 offset1:51
	v_pk_add_f32 v[120:121], v[120:121], v[140:141] neg_lo:[0,1] neg_hi:[0,1]
	v_pk_add_f32 v[118:119], v[118:119], v[138:139] neg_lo:[0,1] neg_hi:[0,1]
	s_wait_dscnt 0x0
	v_pk_mul_f32 v[138:139], v[134:135], v[126:127] op_sel:[0,1]
	s_delay_alu instid0(VALU_DEP_1) | instskip(SKIP_1) | instid1(VALU_DEP_1)
	v_pk_fma_f32 v[140:141], v[134:135], v[124:125], v[138:139] op_sel:[0,0,1] op_sel_hi:[1,1,0] neg_lo:[0,0,1] neg_hi:[0,0,1]
	v_pk_fma_f32 v[134:135], v[134:135], v[124:125], v[138:139] op_sel:[0,0,1] op_sel_hi:[1,0,0]
	v_mov_b32_e32 v141, v135
	v_pk_mul_f32 v[134:135], v[136:137], v[126:127] op_sel:[0,1]
	s_delay_alu instid0(VALU_DEP_1) | instskip(SKIP_1) | instid1(VALU_DEP_1)
	v_pk_fma_f32 v[138:139], v[136:137], v[124:125], v[134:135] op_sel:[0,0,1] op_sel_hi:[1,1,0] neg_lo:[0,0,1] neg_hi:[0,0,1]
	v_pk_fma_f32 v[134:135], v[136:137], v[124:125], v[134:135] op_sel:[0,0,1] op_sel_hi:[1,0,0]
	v_mov_b32_e32 v139, v135
	ds_load_2addr_b64 v[134:137], v128 offset0:52 offset1:53
	v_pk_add_f32 v[94:95], v[94:95], v[140:141] neg_lo:[0,1] neg_hi:[0,1]
	v_pk_add_f32 v[96:97], v[96:97], v[138:139] neg_lo:[0,1] neg_hi:[0,1]
	s_wait_dscnt 0x0
	v_dual_mul_f32 v138, v135, v127 :: v_dual_mul_f32 v140, v135, v124
	s_delay_alu instid0(VALU_DEP_1) | instskip(NEXT) | instid1(VALU_DEP_2)
	v_pk_fma_f32 v[138:139], v[134:135], v[76:77], v[138:139] op_sel_hi:[1,1,0] neg_lo:[0,0,1] neg_hi:[0,0,1]
	v_pk_fma_f32 v[134:135], v[134:135], v[76:77], v[140:141] op_sel:[1,0,0] op_sel_hi:[0,1,0]
	s_delay_alu instid0(VALU_DEP_1) | instskip(SKIP_1) | instid1(VALU_DEP_2)
	v_mov_b32_e32 v139, v135
	v_pk_mul_f32 v[134:135], v[136:137], v[126:127] op_sel:[0,1]
	v_pk_add_f32 v[114:115], v[114:115], v[138:139] neg_lo:[0,1] neg_hi:[0,1]
	s_delay_alu instid0(VALU_DEP_2) | instskip(SKIP_1) | instid1(VALU_DEP_1)
	v_pk_fma_f32 v[138:139], v[136:137], v[124:125], v[134:135] op_sel:[0,0,1] op_sel_hi:[1,1,0] neg_lo:[0,0,1] neg_hi:[0,0,1]
	v_pk_fma_f32 v[134:135], v[136:137], v[124:125], v[134:135] op_sel:[0,0,1] op_sel_hi:[1,0,0]
	v_mov_b32_e32 v139, v135
	ds_load_2addr_b64 v[134:137], v128 offset0:54 offset1:55
	v_pk_add_f32 v[112:113], v[112:113], v[138:139] neg_lo:[0,1] neg_hi:[0,1]
	s_wait_dscnt 0x0
	v_pk_mul_f32 v[138:139], v[134:135], v[126:127] op_sel:[0,1]
	s_delay_alu instid0(VALU_DEP_1) | instskip(SKIP_1) | instid1(VALU_DEP_1)
	v_pk_fma_f32 v[140:141], v[134:135], v[124:125], v[138:139] op_sel:[0,0,1] op_sel_hi:[1,1,0] neg_lo:[0,0,1] neg_hi:[0,0,1]
	v_pk_fma_f32 v[134:135], v[134:135], v[124:125], v[138:139] op_sel:[0,0,1] op_sel_hi:[1,0,0]
	v_mov_b32_e32 v141, v135
	v_pk_mul_f32 v[134:135], v[136:137], v[126:127] op_sel:[0,1]
	s_delay_alu instid0(VALU_DEP_2) | instskip(NEXT) | instid1(VALU_DEP_2)
	v_pk_add_f32 v[92:93], v[92:93], v[140:141] neg_lo:[0,1] neg_hi:[0,1]
	v_pk_fma_f32 v[138:139], v[136:137], v[124:125], v[134:135] op_sel:[0,0,1] op_sel_hi:[1,1,0] neg_lo:[0,0,1] neg_hi:[0,0,1]
	v_pk_fma_f32 v[134:135], v[136:137], v[124:125], v[134:135] op_sel:[0,0,1] op_sel_hi:[1,0,0]
	s_delay_alu instid0(VALU_DEP_1) | instskip(SKIP_4) | instid1(VALU_DEP_1)
	v_mov_b32_e32 v139, v135
	ds_load_2addr_b64 v[134:137], v128 offset0:56 offset1:57
	v_pk_add_f32 v[90:91], v[90:91], v[138:139] neg_lo:[0,1] neg_hi:[0,1]
	s_wait_dscnt 0x0
	v_pk_mul_f32 v[138:139], v[134:135], v[126:127] op_sel:[0,1]
	v_pk_fma_f32 v[140:141], v[134:135], v[124:125], v[138:139] op_sel:[0,0,1] op_sel_hi:[1,1,0] neg_lo:[0,0,1] neg_hi:[0,0,1]
	v_pk_fma_f32 v[134:135], v[134:135], v[124:125], v[138:139] op_sel:[0,0,1] op_sel_hi:[1,0,0]
	v_dual_mul_f32 v138, v137, v127 :: v_dual_mov_b32 v134, v137
	s_delay_alu instid0(VALU_DEP_2) | instskip(NEXT) | instid1(VALU_DEP_2)
	v_dual_mov_b32 v141, v135 :: v_dual_mov_b32 v135, v136
	v_pk_fma_f32 v[138:139], v[136:137], v[76:77], v[138:139] op_sel_hi:[1,1,0] neg_lo:[0,0,1] neg_hi:[0,0,1]
	v_mul_f32_e32 v136, v137, v124
	s_delay_alu instid0(VALU_DEP_3) | instskip(NEXT) | instid1(VALU_DEP_2)
	v_pk_add_f32 v[104:105], v[104:105], v[140:141] neg_lo:[0,1] neg_hi:[0,1]
	v_pk_fma_f32 v[134:135], v[134:135], v[76:77], v[136:137] op_sel_hi:[1,1,0]
	s_delay_alu instid0(VALU_DEP_1) | instskip(SKIP_4) | instid1(VALU_DEP_1)
	v_mov_b32_e32 v139, v135
	ds_load_b64 v[134:135], v128 offset:464
	v_pk_add_f32 v[98:99], v[98:99], v[138:139] neg_lo:[0,1] neg_hi:[0,1]
	s_wait_dscnt 0x0
	v_pk_mul_f32 v[126:127], v[134:135], v[126:127] op_sel:[0,1]
	v_pk_fma_f32 v[136:137], v[134:135], v[124:125], v[126:127] op_sel:[0,0,1] op_sel_hi:[1,1,0] neg_lo:[0,0,1] neg_hi:[0,0,1]
	v_pk_fma_f32 v[124:125], v[134:135], v[124:125], v[126:127] op_sel:[0,0,1] op_sel_hi:[1,0,0]
	s_delay_alu instid0(VALU_DEP_1) | instskip(NEXT) | instid1(VALU_DEP_1)
	v_mov_b32_e32 v137, v125
	v_pk_add_f32 v[122:123], v[122:123], v[136:137] neg_lo:[0,1] neg_hi:[0,1]
.LBB116_713:
	s_or_b32 exec_lo, exec_lo, s0
	v_lshl_add_u32 v124, v132, 3, v128
	s_barrier_signal -1
	s_barrier_wait -1
	ds_store_b64 v124, v[56:57]
	s_wait_dscnt 0x0
	s_barrier_signal -1
	s_barrier_wait -1
	ds_load_b64 v[126:127], v128 offset:272
	v_mov_b32_e32 v124, 34
	s_cmp_lt_i32 s18, 36
	s_cbranch_scc1 .LBB116_716
; %bb.714:
	v_add3_u32 v125, v129, 0, 0x118
	v_mov_b32_e32 v124, 34
	s_mov_b32 s0, 35
.LBB116_715:                            ; =>This Inner Loop Header: Depth=1
	ds_load_b64 v[134:135], v125
	s_wait_dscnt 0x1
	v_cmp_gt_f32_e32 vcc_lo, 0, v126
	v_cndmask_b32_e64 v136, v126, -v126, vcc_lo
	v_cmp_gt_f32_e32 vcc_lo, 0, v127
	v_cndmask_b32_e64 v138, v127, -v127, vcc_lo
	s_wait_dscnt 0x0
	v_cmp_gt_f32_e32 vcc_lo, 0, v134
	v_cndmask_b32_e64 v137, v134, -v134, vcc_lo
	v_cmp_gt_f32_e32 vcc_lo, 0, v135
	v_cndmask_b32_e64 v139, v135, -v135, vcc_lo
	s_delay_alu instid0(VALU_DEP_1) | instskip(NEXT) | instid1(VALU_DEP_1)
	v_pk_add_f32 v[136:137], v[136:137], v[138:139]
	v_cmp_lt_f32_e32 vcc_lo, v136, v137
	v_dual_add_nc_u32 v125, 8, v125 :: v_dual_cndmask_b32 v127, v127, v135, vcc_lo
	v_cndmask_b32_e32 v126, v126, v134, vcc_lo
	v_cndmask_b32_e64 v124, v124, s0, vcc_lo
	s_add_co_i32 s0, s0, 1
	s_delay_alu instid0(SALU_CYCLE_1)
	s_cmp_lg_u32 s18, s0
	s_cbranch_scc1 .LBB116_715
.LBB116_716:
	s_wait_dscnt 0x0
	v_cmp_eq_f32_e32 vcc_lo, 0, v126
	v_cmp_eq_f32_e64 s0, 0, v127
	s_and_b32 s0, vcc_lo, s0
	s_delay_alu instid0(SALU_CYCLE_1) | instskip(NEXT) | instid1(SALU_CYCLE_1)
	s_and_saveexec_b32 s1, s0
	s_xor_b32 s0, exec_lo, s1
; %bb.717:
	v_cmp_ne_u32_e32 vcc_lo, 0, v130
	v_cndmask_b32_e32 v130, 35, v130, vcc_lo
; %bb.718:
	s_and_not1_saveexec_b32 s0, s0
	s_cbranch_execz .LBB116_724
; %bb.719:
	v_cmp_ngt_f32_e64 s1, |v126|, |v127|
	s_and_saveexec_b32 s12, s1
	s_delay_alu instid0(SALU_CYCLE_1)
	s_xor_b32 s1, exec_lo, s12
	s_cbranch_execz .LBB116_721
; %bb.720:
	v_div_scale_f32 v125, null, v127, v127, v126
	v_div_scale_f32 v135, vcc_lo, v126, v127, v126
	s_delay_alu instid0(VALU_DEP_2) | instskip(SKIP_1) | instid1(TRANS32_DEP_1)
	v_rcp_f32_e32 v133, v125
	v_nop
	v_fma_f32 v134, -v125, v133, 1.0
	s_delay_alu instid0(VALU_DEP_1) | instskip(NEXT) | instid1(VALU_DEP_1)
	v_fmac_f32_e32 v133, v134, v133
	v_mul_f32_e32 v134, v135, v133
	s_delay_alu instid0(VALU_DEP_1) | instskip(NEXT) | instid1(VALU_DEP_1)
	v_fma_f32 v136, -v125, v134, v135
	v_fmac_f32_e32 v134, v136, v133
	s_delay_alu instid0(VALU_DEP_1) | instskip(NEXT) | instid1(VALU_DEP_1)
	v_fma_f32 v125, -v125, v134, v135
	v_div_fmas_f32 v125, v125, v133, v134
	s_delay_alu instid0(VALU_DEP_1) | instskip(NEXT) | instid1(VALU_DEP_1)
	v_div_fixup_f32 v125, v125, v127, v126
	v_fmac_f32_e32 v127, v126, v125
	s_delay_alu instid0(VALU_DEP_1) | instskip(SKIP_1) | instid1(VALU_DEP_2)
	v_div_scale_f32 v126, null, v127, v127, 1.0
	v_div_scale_f32 v135, vcc_lo, 1.0, v127, 1.0
	v_rcp_f32_e32 v133, v126
	v_nop
	s_delay_alu instid0(TRANS32_DEP_1) | instskip(NEXT) | instid1(VALU_DEP_1)
	v_fma_f32 v134, -v126, v133, 1.0
	v_fmac_f32_e32 v133, v134, v133
	s_delay_alu instid0(VALU_DEP_1) | instskip(NEXT) | instid1(VALU_DEP_1)
	v_mul_f32_e32 v134, v135, v133
	v_fma_f32 v136, -v126, v134, v135
	s_delay_alu instid0(VALU_DEP_1) | instskip(NEXT) | instid1(VALU_DEP_1)
	v_fmac_f32_e32 v134, v136, v133
	v_fma_f32 v126, -v126, v134, v135
	s_delay_alu instid0(VALU_DEP_1) | instskip(NEXT) | instid1(VALU_DEP_1)
	v_div_fmas_f32 v126, v126, v133, v134
	v_div_fixup_f32 v127, v126, v127, 1.0
	s_delay_alu instid0(VALU_DEP_1)
	v_mul_f32_e32 v126, v125, v127
	v_xor_b32_e32 v127, 0x80000000, v127
.LBB116_721:
	s_and_not1_saveexec_b32 s1, s1
	s_cbranch_execz .LBB116_723
; %bb.722:
	s_delay_alu instid0(VALU_DEP_1) | instskip(SKIP_1) | instid1(VALU_DEP_2)
	v_div_scale_f32 v125, null, v126, v126, v127
	v_div_scale_f32 v135, vcc_lo, v127, v126, v127
	v_rcp_f32_e32 v133, v125
	v_nop
	s_delay_alu instid0(TRANS32_DEP_1) | instskip(NEXT) | instid1(VALU_DEP_1)
	v_fma_f32 v134, -v125, v133, 1.0
	v_fmac_f32_e32 v133, v134, v133
	s_delay_alu instid0(VALU_DEP_1) | instskip(NEXT) | instid1(VALU_DEP_1)
	v_mul_f32_e32 v134, v135, v133
	v_fma_f32 v136, -v125, v134, v135
	s_delay_alu instid0(VALU_DEP_1) | instskip(NEXT) | instid1(VALU_DEP_1)
	v_fmac_f32_e32 v134, v136, v133
	v_fma_f32 v125, -v125, v134, v135
	s_delay_alu instid0(VALU_DEP_1) | instskip(NEXT) | instid1(VALU_DEP_1)
	v_div_fmas_f32 v125, v125, v133, v134
	v_div_fixup_f32 v125, v125, v126, v127
	s_delay_alu instid0(VALU_DEP_1) | instskip(NEXT) | instid1(VALU_DEP_1)
	v_fmac_f32_e32 v126, v127, v125
	v_div_scale_f32 v127, null, v126, v126, 1.0
	s_delay_alu instid0(VALU_DEP_1) | instskip(SKIP_1) | instid1(TRANS32_DEP_1)
	v_rcp_f32_e32 v133, v127
	v_nop
	v_fma_f32 v134, -v127, v133, 1.0
	s_delay_alu instid0(VALU_DEP_1) | instskip(SKIP_1) | instid1(VALU_DEP_1)
	v_fmac_f32_e32 v133, v134, v133
	v_div_scale_f32 v134, vcc_lo, 1.0, v126, 1.0
	v_mul_f32_e32 v135, v134, v133
	s_delay_alu instid0(VALU_DEP_1) | instskip(NEXT) | instid1(VALU_DEP_1)
	v_fma_f32 v136, -v127, v135, v134
	v_fmac_f32_e32 v135, v136, v133
	s_delay_alu instid0(VALU_DEP_1) | instskip(NEXT) | instid1(VALU_DEP_1)
	v_fma_f32 v127, -v127, v135, v134
	v_div_fmas_f32 v127, v127, v133, v135
	s_delay_alu instid0(VALU_DEP_1) | instskip(NEXT) | instid1(VALU_DEP_1)
	v_div_fixup_f32 v126, v127, v126, 1.0
	v_mul_f32_e64 v127, v125, -v126
.LBB116_723:
	s_or_b32 exec_lo, exec_lo, s1
.LBB116_724:
	s_delay_alu instid0(SALU_CYCLE_1) | instskip(NEXT) | instid1(SALU_CYCLE_1)
	s_or_b32 exec_lo, exec_lo, s0
	s_mov_b32 s0, exec_lo
	v_cmpx_ne_u32_e64 v132, v124
	s_xor_b32 s0, exec_lo, s0
	s_cbranch_execz .LBB116_730
; %bb.725:
	s_mov_b32 s1, exec_lo
	v_cmpx_eq_u32_e32 34, v132
	s_cbranch_execz .LBB116_729
; %bb.726:
	v_cmp_ne_u32_e32 vcc_lo, 34, v124
	s_xor_b32 s12, s16, -1
	s_delay_alu instid0(SALU_CYCLE_1) | instskip(NEXT) | instid1(SALU_CYCLE_1)
	s_and_b32 s13, s12, vcc_lo
	s_and_saveexec_b32 s12, s13
	s_cbranch_execz .LBB116_728
; %bb.727:
	v_ashrrev_i32_e32 v125, 31, v124
	s_delay_alu instid0(VALU_DEP_1)
	v_lshl_add_u64 v[132:133], v[124:125], 2, v[4:5]
	s_clause 0x1
	global_load_b32 v125, v[132:133], off
	global_load_b32 v131, v[4:5], off offset:136
	s_wait_loadcnt 0x1
	global_store_b32 v[4:5], v125, off offset:136
	s_wait_loadcnt 0x0
	global_store_b32 v[132:133], v131, off
.LBB116_728:
	s_wait_xcnt 0x0
	s_or_b32 exec_lo, exec_lo, s12
	v_dual_mov_b32 v132, v124 :: v_dual_mov_b32 v131, v124
.LBB116_729:
	s_or_b32 exec_lo, exec_lo, s1
.LBB116_730:
	s_and_not1_saveexec_b32 s0, s0
	s_cbranch_execz .LBB116_732
; %bb.731:
	v_mov_b32_e32 v132, 34
	ds_store_2addr_b64 v128, v[54:55], v[88:89] offset0:35 offset1:36
	ds_store_2addr_b64 v128, v[86:87], v[64:65] offset0:37 offset1:38
	;; [unrolled: 1-line block ×12, first 2 shown]
.LBB116_732:
	s_or_b32 exec_lo, exec_lo, s0
	s_delay_alu instid0(SALU_CYCLE_1)
	s_mov_b32 s0, exec_lo
	s_wait_storecnt_dscnt 0x0
	s_barrier_signal -1
	s_barrier_wait -1
	v_cmpx_lt_i32_e32 34, v132
	s_cbranch_execz .LBB116_734
; %bb.733:
	v_pk_mul_f32 v[134:135], v[126:127], v[56:57] op_sel:[1,1] op_sel_hi:[0,1]
	s_delay_alu instid0(VALU_DEP_1)
	v_pk_fma_f32 v[124:125], v[126:127], v[56:57], v[134:135] op_sel_hi:[1,0,1] neg_lo:[0,0,1] neg_hi:[0,0,1]
	v_pk_fma_f32 v[126:127], v[126:127], v[56:57], v[134:135] op_sel_hi:[1,0,1]
	ds_load_2addr_b64 v[134:137], v128 offset0:35 offset1:36
	v_dual_mov_b32 v56, v124 :: v_dual_mov_b32 v57, v127
	s_wait_dscnt 0x0
	v_pk_mul_f32 v[138:139], v[134:135], v[126:127] op_sel:[0,1]
	s_delay_alu instid0(VALU_DEP_1) | instskip(SKIP_1) | instid1(VALU_DEP_1)
	v_pk_fma_f32 v[140:141], v[134:135], v[124:125], v[138:139] op_sel:[0,0,1] op_sel_hi:[1,1,0] neg_lo:[0,0,1] neg_hi:[0,0,1]
	v_pk_fma_f32 v[134:135], v[134:135], v[124:125], v[138:139] op_sel:[0,0,1] op_sel_hi:[1,0,0]
	v_mov_b32_e32 v141, v135
	v_pk_mul_f32 v[134:135], v[136:137], v[126:127] op_sel:[0,1]
	s_delay_alu instid0(VALU_DEP_1) | instskip(SKIP_1) | instid1(VALU_DEP_1)
	v_pk_fma_f32 v[138:139], v[136:137], v[124:125], v[134:135] op_sel:[0,0,1] op_sel_hi:[1,1,0] neg_lo:[0,0,1] neg_hi:[0,0,1]
	v_pk_fma_f32 v[134:135], v[136:137], v[124:125], v[134:135] op_sel:[0,0,1] op_sel_hi:[1,0,0]
	v_mov_b32_e32 v139, v135
	ds_load_2addr_b64 v[134:137], v128 offset0:37 offset1:38
	v_pk_add_f32 v[54:55], v[54:55], v[140:141] neg_lo:[0,1] neg_hi:[0,1]
	v_pk_add_f32 v[88:89], v[88:89], v[138:139] neg_lo:[0,1] neg_hi:[0,1]
	s_wait_dscnt 0x0
	v_pk_mul_f32 v[138:139], v[134:135], v[126:127] op_sel:[0,1]
	s_delay_alu instid0(VALU_DEP_1) | instskip(SKIP_2) | instid1(VALU_DEP_2)
	v_pk_fma_f32 v[140:141], v[134:135], v[124:125], v[138:139] op_sel:[0,0,1] op_sel_hi:[1,1,0] neg_lo:[0,0,1] neg_hi:[0,0,1]
	v_pk_fma_f32 v[134:135], v[134:135], v[124:125], v[138:139] op_sel:[0,0,1] op_sel_hi:[1,0,0]
	v_dual_mul_f32 v138, v137, v127 :: v_dual_mov_b32 v134, v137
	v_dual_mov_b32 v141, v135 :: v_dual_mov_b32 v135, v136
	s_delay_alu instid0(VALU_DEP_2) | instskip(SKIP_1) | instid1(VALU_DEP_3)
	v_pk_fma_f32 v[138:139], v[136:137], v[56:57], v[138:139] op_sel_hi:[1,1,0] neg_lo:[0,0,1] neg_hi:[0,0,1]
	v_mul_f32_e32 v136, v137, v124
	v_pk_add_f32 v[86:87], v[86:87], v[140:141] neg_lo:[0,1] neg_hi:[0,1]
	s_delay_alu instid0(VALU_DEP_2) | instskip(NEXT) | instid1(VALU_DEP_1)
	v_pk_fma_f32 v[134:135], v[134:135], v[56:57], v[136:137] op_sel_hi:[1,1,0]
	v_mov_b32_e32 v139, v135
	ds_load_2addr_b64 v[134:137], v128 offset0:39 offset1:40
	v_pk_add_f32 v[64:65], v[64:65], v[138:139] neg_lo:[0,1] neg_hi:[0,1]
	s_wait_dscnt 0x0
	v_pk_mul_f32 v[138:139], v[134:135], v[126:127] op_sel:[0,1]
	s_delay_alu instid0(VALU_DEP_1) | instskip(SKIP_1) | instid1(VALU_DEP_1)
	v_pk_fma_f32 v[140:141], v[134:135], v[124:125], v[138:139] op_sel:[0,0,1] op_sel_hi:[1,1,0] neg_lo:[0,0,1] neg_hi:[0,0,1]
	v_pk_fma_f32 v[134:135], v[134:135], v[124:125], v[138:139] op_sel:[0,0,1] op_sel_hi:[1,0,0]
	v_mov_b32_e32 v141, v135
	v_pk_mul_f32 v[134:135], v[136:137], v[126:127] op_sel:[0,1]
	s_delay_alu instid0(VALU_DEP_1) | instskip(SKIP_1) | instid1(VALU_DEP_1)
	v_pk_fma_f32 v[138:139], v[136:137], v[124:125], v[134:135] op_sel:[0,0,1] op_sel_hi:[1,1,0] neg_lo:[0,0,1] neg_hi:[0,0,1]
	v_pk_fma_f32 v[134:135], v[136:137], v[124:125], v[134:135] op_sel:[0,0,1] op_sel_hi:[1,0,0]
	v_mov_b32_e32 v139, v135
	ds_load_2addr_b64 v[134:137], v128 offset0:41 offset1:42
	v_pk_add_f32 v[62:63], v[62:63], v[140:141] neg_lo:[0,1] neg_hi:[0,1]
	v_pk_add_f32 v[102:103], v[102:103], v[138:139] neg_lo:[0,1] neg_hi:[0,1]
	s_wait_dscnt 0x0
	v_pk_mul_f32 v[138:139], v[134:135], v[126:127] op_sel:[0,1]
	s_delay_alu instid0(VALU_DEP_1) | instskip(SKIP_1) | instid1(VALU_DEP_1)
	v_pk_fma_f32 v[140:141], v[134:135], v[124:125], v[138:139] op_sel:[0,0,1] op_sel_hi:[1,1,0] neg_lo:[0,0,1] neg_hi:[0,0,1]
	v_pk_fma_f32 v[134:135], v[134:135], v[124:125], v[138:139] op_sel:[0,0,1] op_sel_hi:[1,0,0]
	v_mov_b32_e32 v141, v135
	v_pk_mul_f32 v[134:135], v[136:137], v[126:127] op_sel:[0,1]
	s_delay_alu instid0(VALU_DEP_1) | instskip(SKIP_1) | instid1(VALU_DEP_1)
	v_pk_fma_f32 v[138:139], v[136:137], v[124:125], v[134:135] op_sel:[0,0,1] op_sel_hi:[1,1,0] neg_lo:[0,0,1] neg_hi:[0,0,1]
	v_pk_fma_f32 v[134:135], v[136:137], v[124:125], v[134:135] op_sel:[0,0,1] op_sel_hi:[1,0,0]
	v_mov_b32_e32 v139, v135
	ds_load_2addr_b64 v[134:137], v128 offset0:43 offset1:44
	v_pk_add_f32 v[100:101], v[100:101], v[140:141] neg_lo:[0,1] neg_hi:[0,1]
	v_pk_add_f32 v[72:73], v[72:73], v[138:139] neg_lo:[0,1] neg_hi:[0,1]
	s_wait_dscnt 0x0
	v_dual_mul_f32 v138, v135, v127 :: v_dual_mul_f32 v140, v135, v124
	s_delay_alu instid0(VALU_DEP_1) | instskip(NEXT) | instid1(VALU_DEP_2)
	v_pk_fma_f32 v[138:139], v[134:135], v[56:57], v[138:139] op_sel_hi:[1,1,0] neg_lo:[0,0,1] neg_hi:[0,0,1]
	v_pk_fma_f32 v[134:135], v[134:135], v[56:57], v[140:141] op_sel:[1,0,0] op_sel_hi:[0,1,0]
	s_delay_alu instid0(VALU_DEP_1) | instskip(SKIP_1) | instid1(VALU_DEP_2)
	v_mov_b32_e32 v139, v135
	v_pk_mul_f32 v[134:135], v[136:137], v[126:127] op_sel:[0,1]
	v_pk_add_f32 v[70:71], v[70:71], v[138:139] neg_lo:[0,1] neg_hi:[0,1]
	s_delay_alu instid0(VALU_DEP_2) | instskip(SKIP_1) | instid1(VALU_DEP_1)
	v_pk_fma_f32 v[138:139], v[136:137], v[124:125], v[134:135] op_sel:[0,0,1] op_sel_hi:[1,1,0] neg_lo:[0,0,1] neg_hi:[0,0,1]
	v_pk_fma_f32 v[134:135], v[136:137], v[124:125], v[134:135] op_sel:[0,0,1] op_sel_hi:[1,0,0]
	v_mov_b32_e32 v139, v135
	ds_load_2addr_b64 v[134:137], v128 offset0:45 offset1:46
	v_pk_add_f32 v[110:111], v[110:111], v[138:139] neg_lo:[0,1] neg_hi:[0,1]
	s_wait_dscnt 0x0
	v_pk_mul_f32 v[138:139], v[134:135], v[126:127] op_sel:[0,1]
	s_delay_alu instid0(VALU_DEP_1) | instskip(SKIP_1) | instid1(VALU_DEP_1)
	v_pk_fma_f32 v[140:141], v[134:135], v[124:125], v[138:139] op_sel:[0,0,1] op_sel_hi:[1,1,0] neg_lo:[0,0,1] neg_hi:[0,0,1]
	v_pk_fma_f32 v[134:135], v[134:135], v[124:125], v[138:139] op_sel:[0,0,1] op_sel_hi:[1,0,0]
	v_mov_b32_e32 v141, v135
	v_pk_mul_f32 v[134:135], v[136:137], v[126:127] op_sel:[0,1]
	s_delay_alu instid0(VALU_DEP_2) | instskip(NEXT) | instid1(VALU_DEP_2)
	v_pk_add_f32 v[108:109], v[108:109], v[140:141] neg_lo:[0,1] neg_hi:[0,1]
	v_pk_fma_f32 v[138:139], v[136:137], v[124:125], v[134:135] op_sel:[0,0,1] op_sel_hi:[1,1,0] neg_lo:[0,0,1] neg_hi:[0,0,1]
	v_pk_fma_f32 v[134:135], v[136:137], v[124:125], v[134:135] op_sel:[0,0,1] op_sel_hi:[1,0,0]
	s_delay_alu instid0(VALU_DEP_1) | instskip(SKIP_4) | instid1(VALU_DEP_1)
	v_mov_b32_e32 v139, v135
	ds_load_2addr_b64 v[134:137], v128 offset0:47 offset1:48
	v_pk_add_f32 v[82:83], v[82:83], v[138:139] neg_lo:[0,1] neg_hi:[0,1]
	s_wait_dscnt 0x0
	v_pk_mul_f32 v[138:139], v[134:135], v[126:127] op_sel:[0,1]
	v_pk_fma_f32 v[140:141], v[134:135], v[124:125], v[138:139] op_sel:[0,0,1] op_sel_hi:[1,1,0] neg_lo:[0,0,1] neg_hi:[0,0,1]
	v_pk_fma_f32 v[134:135], v[134:135], v[124:125], v[138:139] op_sel:[0,0,1] op_sel_hi:[1,0,0]
	v_dual_mul_f32 v138, v137, v127 :: v_dual_mov_b32 v134, v137
	s_delay_alu instid0(VALU_DEP_2) | instskip(NEXT) | instid1(VALU_DEP_2)
	v_dual_mov_b32 v141, v135 :: v_dual_mov_b32 v135, v136
	v_pk_fma_f32 v[138:139], v[136:137], v[56:57], v[138:139] op_sel_hi:[1,1,0] neg_lo:[0,0,1] neg_hi:[0,0,1]
	v_mul_f32_e32 v136, v137, v124
	s_delay_alu instid0(VALU_DEP_3) | instskip(NEXT) | instid1(VALU_DEP_2)
	v_pk_add_f32 v[80:81], v[80:81], v[140:141] neg_lo:[0,1] neg_hi:[0,1]
	v_pk_fma_f32 v[134:135], v[134:135], v[56:57], v[136:137] op_sel_hi:[1,1,0]
	s_delay_alu instid0(VALU_DEP_1) | instskip(SKIP_4) | instid1(VALU_DEP_1)
	v_mov_b32_e32 v139, v135
	ds_load_2addr_b64 v[134:137], v128 offset0:49 offset1:50
	v_pk_add_f32 v[120:121], v[120:121], v[138:139] neg_lo:[0,1] neg_hi:[0,1]
	s_wait_dscnt 0x0
	v_pk_mul_f32 v[138:139], v[134:135], v[126:127] op_sel:[0,1]
	v_pk_fma_f32 v[140:141], v[134:135], v[124:125], v[138:139] op_sel:[0,0,1] op_sel_hi:[1,1,0] neg_lo:[0,0,1] neg_hi:[0,0,1]
	v_pk_fma_f32 v[134:135], v[134:135], v[124:125], v[138:139] op_sel:[0,0,1] op_sel_hi:[1,0,0]
	s_delay_alu instid0(VALU_DEP_1) | instskip(SKIP_1) | instid1(VALU_DEP_1)
	v_mov_b32_e32 v141, v135
	v_pk_mul_f32 v[134:135], v[136:137], v[126:127] op_sel:[0,1]
	v_pk_fma_f32 v[138:139], v[136:137], v[124:125], v[134:135] op_sel:[0,0,1] op_sel_hi:[1,1,0] neg_lo:[0,0,1] neg_hi:[0,0,1]
	v_pk_fma_f32 v[134:135], v[136:137], v[124:125], v[134:135] op_sel:[0,0,1] op_sel_hi:[1,0,0]
	s_delay_alu instid0(VALU_DEP_1)
	v_mov_b32_e32 v139, v135
	ds_load_2addr_b64 v[134:137], v128 offset0:51 offset1:52
	v_pk_add_f32 v[118:119], v[118:119], v[140:141] neg_lo:[0,1] neg_hi:[0,1]
	v_pk_add_f32 v[94:95], v[94:95], v[138:139] neg_lo:[0,1] neg_hi:[0,1]
	s_wait_dscnt 0x0
	v_pk_mul_f32 v[138:139], v[134:135], v[126:127] op_sel:[0,1]
	s_delay_alu instid0(VALU_DEP_1) | instskip(SKIP_1) | instid1(VALU_DEP_1)
	v_pk_fma_f32 v[140:141], v[134:135], v[124:125], v[138:139] op_sel:[0,0,1] op_sel_hi:[1,1,0] neg_lo:[0,0,1] neg_hi:[0,0,1]
	v_pk_fma_f32 v[134:135], v[134:135], v[124:125], v[138:139] op_sel:[0,0,1] op_sel_hi:[1,0,0]
	v_mov_b32_e32 v141, v135
	v_pk_mul_f32 v[134:135], v[136:137], v[126:127] op_sel:[0,1]
	s_delay_alu instid0(VALU_DEP_1) | instskip(SKIP_1) | instid1(VALU_DEP_1)
	v_pk_fma_f32 v[138:139], v[136:137], v[124:125], v[134:135] op_sel:[0,0,1] op_sel_hi:[1,1,0] neg_lo:[0,0,1] neg_hi:[0,0,1]
	v_pk_fma_f32 v[134:135], v[136:137], v[124:125], v[134:135] op_sel:[0,0,1] op_sel_hi:[1,0,0]
	v_mov_b32_e32 v139, v135
	ds_load_2addr_b64 v[134:137], v128 offset0:53 offset1:54
	v_pk_add_f32 v[96:97], v[96:97], v[140:141] neg_lo:[0,1] neg_hi:[0,1]
	v_pk_add_f32 v[114:115], v[114:115], v[138:139] neg_lo:[0,1] neg_hi:[0,1]
	s_wait_dscnt 0x0
	v_dual_mul_f32 v138, v135, v127 :: v_dual_mul_f32 v140, v135, v124
	s_delay_alu instid0(VALU_DEP_1) | instskip(NEXT) | instid1(VALU_DEP_2)
	v_pk_fma_f32 v[138:139], v[134:135], v[56:57], v[138:139] op_sel_hi:[1,1,0] neg_lo:[0,0,1] neg_hi:[0,0,1]
	v_pk_fma_f32 v[134:135], v[134:135], v[56:57], v[140:141] op_sel:[1,0,0] op_sel_hi:[0,1,0]
	s_delay_alu instid0(VALU_DEP_1) | instskip(SKIP_1) | instid1(VALU_DEP_2)
	v_mov_b32_e32 v139, v135
	v_pk_mul_f32 v[134:135], v[136:137], v[126:127] op_sel:[0,1]
	v_pk_add_f32 v[112:113], v[112:113], v[138:139] neg_lo:[0,1] neg_hi:[0,1]
	s_delay_alu instid0(VALU_DEP_2) | instskip(SKIP_1) | instid1(VALU_DEP_1)
	v_pk_fma_f32 v[138:139], v[136:137], v[124:125], v[134:135] op_sel:[0,0,1] op_sel_hi:[1,1,0] neg_lo:[0,0,1] neg_hi:[0,0,1]
	v_pk_fma_f32 v[134:135], v[136:137], v[124:125], v[134:135] op_sel:[0,0,1] op_sel_hi:[1,0,0]
	v_mov_b32_e32 v139, v135
	ds_load_2addr_b64 v[134:137], v128 offset0:55 offset1:56
	v_pk_add_f32 v[92:93], v[92:93], v[138:139] neg_lo:[0,1] neg_hi:[0,1]
	s_wait_dscnt 0x0
	v_pk_mul_f32 v[138:139], v[134:135], v[126:127] op_sel:[0,1]
	s_delay_alu instid0(VALU_DEP_1) | instskip(SKIP_1) | instid1(VALU_DEP_1)
	v_pk_fma_f32 v[140:141], v[134:135], v[124:125], v[138:139] op_sel:[0,0,1] op_sel_hi:[1,1,0] neg_lo:[0,0,1] neg_hi:[0,0,1]
	v_pk_fma_f32 v[134:135], v[134:135], v[124:125], v[138:139] op_sel:[0,0,1] op_sel_hi:[1,0,0]
	v_mov_b32_e32 v141, v135
	v_pk_mul_f32 v[134:135], v[136:137], v[126:127] op_sel:[0,1]
	s_delay_alu instid0(VALU_DEP_2) | instskip(NEXT) | instid1(VALU_DEP_2)
	v_pk_add_f32 v[90:91], v[90:91], v[140:141] neg_lo:[0,1] neg_hi:[0,1]
	v_pk_fma_f32 v[138:139], v[136:137], v[124:125], v[134:135] op_sel:[0,0,1] op_sel_hi:[1,1,0] neg_lo:[0,0,1] neg_hi:[0,0,1]
	v_pk_fma_f32 v[134:135], v[136:137], v[124:125], v[134:135] op_sel:[0,0,1] op_sel_hi:[1,0,0]
	s_delay_alu instid0(VALU_DEP_1)
	v_mov_b32_e32 v139, v135
	ds_load_2addr_b64 v[134:137], v128 offset0:57 offset1:58
	v_pk_add_f32 v[104:105], v[104:105], v[138:139] neg_lo:[0,1] neg_hi:[0,1]
	s_wait_dscnt 0x0
	v_pk_mul_f32 v[138:139], v[134:135], v[126:127] op_sel:[0,1]
	v_mul_f32_e32 v126, v137, v127
	s_delay_alu instid0(VALU_DEP_2) | instskip(SKIP_2) | instid1(VALU_DEP_4)
	v_pk_fma_f32 v[140:141], v[134:135], v[124:125], v[138:139] op_sel:[0,0,1] op_sel_hi:[1,1,0] neg_lo:[0,0,1] neg_hi:[0,0,1]
	v_pk_fma_f32 v[134:135], v[134:135], v[124:125], v[138:139] op_sel:[0,0,1] op_sel_hi:[1,0,0]
	v_dual_mov_b32 v134, v137 :: v_dual_mul_f32 v124, v137, v124
	v_pk_fma_f32 v[126:127], v[136:137], v[56:57], v[126:127] op_sel_hi:[1,1,0] neg_lo:[0,0,1] neg_hi:[0,0,1]
	s_delay_alu instid0(VALU_DEP_3) | instskip(NEXT) | instid1(VALU_DEP_1)
	v_dual_mov_b32 v141, v135 :: v_dual_mov_b32 v135, v136
	v_pk_add_f32 v[98:99], v[98:99], v[140:141] neg_lo:[0,1] neg_hi:[0,1]
	s_delay_alu instid0(VALU_DEP_2) | instskip(NEXT) | instid1(VALU_DEP_1)
	v_pk_fma_f32 v[124:125], v[134:135], v[56:57], v[124:125] op_sel_hi:[1,1,0]
	v_mov_b32_e32 v127, v125
	s_delay_alu instid0(VALU_DEP_1)
	v_pk_add_f32 v[122:123], v[122:123], v[126:127] neg_lo:[0,1] neg_hi:[0,1]
.LBB116_734:
	s_or_b32 exec_lo, exec_lo, s0
	v_lshl_add_u32 v124, v132, 3, v128
	s_barrier_signal -1
	s_barrier_wait -1
	ds_store_b64 v124, v[54:55]
	s_wait_dscnt 0x0
	s_barrier_signal -1
	s_barrier_wait -1
	ds_load_b64 v[126:127], v128 offset:280
	v_mov_b32_e32 v124, 35
	s_cmp_lt_i32 s18, 37
	s_cbranch_scc1 .LBB116_737
; %bb.735:
	v_add3_u32 v125, v129, 0, 0x120
	v_mov_b32_e32 v124, 35
	s_mov_b32 s0, 36
.LBB116_736:                            ; =>This Inner Loop Header: Depth=1
	ds_load_b64 v[134:135], v125
	s_wait_dscnt 0x1
	v_cmp_gt_f32_e32 vcc_lo, 0, v126
	v_cndmask_b32_e64 v136, v126, -v126, vcc_lo
	v_cmp_gt_f32_e32 vcc_lo, 0, v127
	v_cndmask_b32_e64 v138, v127, -v127, vcc_lo
	s_wait_dscnt 0x0
	v_cmp_gt_f32_e32 vcc_lo, 0, v134
	v_cndmask_b32_e64 v137, v134, -v134, vcc_lo
	v_cmp_gt_f32_e32 vcc_lo, 0, v135
	v_cndmask_b32_e64 v139, v135, -v135, vcc_lo
	s_delay_alu instid0(VALU_DEP_1) | instskip(NEXT) | instid1(VALU_DEP_1)
	v_pk_add_f32 v[136:137], v[136:137], v[138:139]
	v_cmp_lt_f32_e32 vcc_lo, v136, v137
	v_dual_add_nc_u32 v125, 8, v125 :: v_dual_cndmask_b32 v127, v127, v135, vcc_lo
	v_cndmask_b32_e32 v126, v126, v134, vcc_lo
	v_cndmask_b32_e64 v124, v124, s0, vcc_lo
	s_add_co_i32 s0, s0, 1
	s_delay_alu instid0(SALU_CYCLE_1)
	s_cmp_lg_u32 s18, s0
	s_cbranch_scc1 .LBB116_736
.LBB116_737:
	s_wait_dscnt 0x0
	v_cmp_eq_f32_e32 vcc_lo, 0, v126
	v_cmp_eq_f32_e64 s0, 0, v127
	s_and_b32 s0, vcc_lo, s0
	s_delay_alu instid0(SALU_CYCLE_1) | instskip(NEXT) | instid1(SALU_CYCLE_1)
	s_and_saveexec_b32 s1, s0
	s_xor_b32 s0, exec_lo, s1
; %bb.738:
	v_cmp_ne_u32_e32 vcc_lo, 0, v130
	v_cndmask_b32_e32 v130, 36, v130, vcc_lo
; %bb.739:
	s_and_not1_saveexec_b32 s0, s0
	s_cbranch_execz .LBB116_745
; %bb.740:
	v_cmp_ngt_f32_e64 s1, |v126|, |v127|
	s_and_saveexec_b32 s12, s1
	s_delay_alu instid0(SALU_CYCLE_1)
	s_xor_b32 s1, exec_lo, s12
	s_cbranch_execz .LBB116_742
; %bb.741:
	v_div_scale_f32 v125, null, v127, v127, v126
	v_div_scale_f32 v135, vcc_lo, v126, v127, v126
	s_delay_alu instid0(VALU_DEP_2) | instskip(SKIP_1) | instid1(TRANS32_DEP_1)
	v_rcp_f32_e32 v133, v125
	v_nop
	v_fma_f32 v134, -v125, v133, 1.0
	s_delay_alu instid0(VALU_DEP_1) | instskip(NEXT) | instid1(VALU_DEP_1)
	v_fmac_f32_e32 v133, v134, v133
	v_mul_f32_e32 v134, v135, v133
	s_delay_alu instid0(VALU_DEP_1) | instskip(NEXT) | instid1(VALU_DEP_1)
	v_fma_f32 v136, -v125, v134, v135
	v_fmac_f32_e32 v134, v136, v133
	s_delay_alu instid0(VALU_DEP_1) | instskip(NEXT) | instid1(VALU_DEP_1)
	v_fma_f32 v125, -v125, v134, v135
	v_div_fmas_f32 v125, v125, v133, v134
	s_delay_alu instid0(VALU_DEP_1) | instskip(NEXT) | instid1(VALU_DEP_1)
	v_div_fixup_f32 v125, v125, v127, v126
	v_fmac_f32_e32 v127, v126, v125
	s_delay_alu instid0(VALU_DEP_1) | instskip(SKIP_1) | instid1(VALU_DEP_2)
	v_div_scale_f32 v126, null, v127, v127, 1.0
	v_div_scale_f32 v135, vcc_lo, 1.0, v127, 1.0
	v_rcp_f32_e32 v133, v126
	v_nop
	s_delay_alu instid0(TRANS32_DEP_1) | instskip(NEXT) | instid1(VALU_DEP_1)
	v_fma_f32 v134, -v126, v133, 1.0
	v_fmac_f32_e32 v133, v134, v133
	s_delay_alu instid0(VALU_DEP_1) | instskip(NEXT) | instid1(VALU_DEP_1)
	v_mul_f32_e32 v134, v135, v133
	v_fma_f32 v136, -v126, v134, v135
	s_delay_alu instid0(VALU_DEP_1) | instskip(NEXT) | instid1(VALU_DEP_1)
	v_fmac_f32_e32 v134, v136, v133
	v_fma_f32 v126, -v126, v134, v135
	s_delay_alu instid0(VALU_DEP_1) | instskip(NEXT) | instid1(VALU_DEP_1)
	v_div_fmas_f32 v126, v126, v133, v134
	v_div_fixup_f32 v127, v126, v127, 1.0
	s_delay_alu instid0(VALU_DEP_1)
	v_mul_f32_e32 v126, v125, v127
	v_xor_b32_e32 v127, 0x80000000, v127
.LBB116_742:
	s_and_not1_saveexec_b32 s1, s1
	s_cbranch_execz .LBB116_744
; %bb.743:
	s_delay_alu instid0(VALU_DEP_1) | instskip(SKIP_1) | instid1(VALU_DEP_2)
	v_div_scale_f32 v125, null, v126, v126, v127
	v_div_scale_f32 v135, vcc_lo, v127, v126, v127
	v_rcp_f32_e32 v133, v125
	v_nop
	s_delay_alu instid0(TRANS32_DEP_1) | instskip(NEXT) | instid1(VALU_DEP_1)
	v_fma_f32 v134, -v125, v133, 1.0
	v_fmac_f32_e32 v133, v134, v133
	s_delay_alu instid0(VALU_DEP_1) | instskip(NEXT) | instid1(VALU_DEP_1)
	v_mul_f32_e32 v134, v135, v133
	v_fma_f32 v136, -v125, v134, v135
	s_delay_alu instid0(VALU_DEP_1) | instskip(NEXT) | instid1(VALU_DEP_1)
	v_fmac_f32_e32 v134, v136, v133
	v_fma_f32 v125, -v125, v134, v135
	s_delay_alu instid0(VALU_DEP_1) | instskip(NEXT) | instid1(VALU_DEP_1)
	v_div_fmas_f32 v125, v125, v133, v134
	v_div_fixup_f32 v125, v125, v126, v127
	s_delay_alu instid0(VALU_DEP_1) | instskip(NEXT) | instid1(VALU_DEP_1)
	v_fmac_f32_e32 v126, v127, v125
	v_div_scale_f32 v127, null, v126, v126, 1.0
	s_delay_alu instid0(VALU_DEP_1) | instskip(SKIP_1) | instid1(TRANS32_DEP_1)
	v_rcp_f32_e32 v133, v127
	v_nop
	v_fma_f32 v134, -v127, v133, 1.0
	s_delay_alu instid0(VALU_DEP_1) | instskip(SKIP_1) | instid1(VALU_DEP_1)
	v_fmac_f32_e32 v133, v134, v133
	v_div_scale_f32 v134, vcc_lo, 1.0, v126, 1.0
	v_mul_f32_e32 v135, v134, v133
	s_delay_alu instid0(VALU_DEP_1) | instskip(NEXT) | instid1(VALU_DEP_1)
	v_fma_f32 v136, -v127, v135, v134
	v_fmac_f32_e32 v135, v136, v133
	s_delay_alu instid0(VALU_DEP_1) | instskip(NEXT) | instid1(VALU_DEP_1)
	v_fma_f32 v127, -v127, v135, v134
	v_div_fmas_f32 v127, v127, v133, v135
	s_delay_alu instid0(VALU_DEP_1) | instskip(NEXT) | instid1(VALU_DEP_1)
	v_div_fixup_f32 v126, v127, v126, 1.0
	v_mul_f32_e64 v127, v125, -v126
.LBB116_744:
	s_or_b32 exec_lo, exec_lo, s1
.LBB116_745:
	s_delay_alu instid0(SALU_CYCLE_1) | instskip(NEXT) | instid1(SALU_CYCLE_1)
	s_or_b32 exec_lo, exec_lo, s0
	s_mov_b32 s0, exec_lo
	v_cmpx_ne_u32_e64 v132, v124
	s_xor_b32 s0, exec_lo, s0
	s_cbranch_execz .LBB116_751
; %bb.746:
	s_mov_b32 s1, exec_lo
	v_cmpx_eq_u32_e32 35, v132
	s_cbranch_execz .LBB116_750
; %bb.747:
	v_cmp_ne_u32_e32 vcc_lo, 35, v124
	s_xor_b32 s12, s16, -1
	s_delay_alu instid0(SALU_CYCLE_1) | instskip(NEXT) | instid1(SALU_CYCLE_1)
	s_and_b32 s13, s12, vcc_lo
	s_and_saveexec_b32 s12, s13
	s_cbranch_execz .LBB116_749
; %bb.748:
	v_ashrrev_i32_e32 v125, 31, v124
	s_delay_alu instid0(VALU_DEP_1)
	v_lshl_add_u64 v[132:133], v[124:125], 2, v[4:5]
	s_clause 0x1
	global_load_b32 v125, v[132:133], off
	global_load_b32 v131, v[4:5], off offset:140
	s_wait_loadcnt 0x1
	global_store_b32 v[4:5], v125, off offset:140
	s_wait_loadcnt 0x0
	global_store_b32 v[132:133], v131, off
.LBB116_749:
	s_wait_xcnt 0x0
	s_or_b32 exec_lo, exec_lo, s12
	v_dual_mov_b32 v132, v124 :: v_dual_mov_b32 v131, v124
.LBB116_750:
	s_or_b32 exec_lo, exec_lo, s1
.LBB116_751:
	s_and_not1_saveexec_b32 s0, s0
	s_cbranch_execz .LBB116_753
; %bb.752:
	v_dual_mov_b32 v124, v88 :: v_dual_mov_b32 v125, v89
	v_dual_mov_b32 v132, v86 :: v_dual_mov_b32 v133, v87
	ds_store_2addr_b64 v128, v[124:125], v[132:133] offset0:36 offset1:37
	v_dual_mov_b32 v124, v64 :: v_dual_mov_b32 v125, v65
	v_dual_mov_b32 v132, v62 :: v_dual_mov_b32 v133, v63
	ds_store_2addr_b64 v128, v[124:125], v[132:133] offset0:38 offset1:39
	;; [unrolled: 3-line block ×11, first 2 shown]
	ds_store_b64 v128, v[122:123] offset:464
	v_mov_b32_e32 v132, 35
.LBB116_753:
	s_or_b32 exec_lo, exec_lo, s0
	s_delay_alu instid0(SALU_CYCLE_1)
	s_mov_b32 s0, exec_lo
	s_wait_storecnt_dscnt 0x0
	s_barrier_signal -1
	s_barrier_wait -1
	v_cmpx_lt_i32_e32 35, v132
	s_cbranch_execz .LBB116_755
; %bb.754:
	v_pk_mul_f32 v[134:135], v[126:127], v[54:55] op_sel:[1,1] op_sel_hi:[0,1]
	s_delay_alu instid0(VALU_DEP_1)
	v_pk_fma_f32 v[124:125], v[126:127], v[54:55], v[134:135] op_sel_hi:[1,0,1] neg_lo:[0,0,1] neg_hi:[0,0,1]
	v_pk_fma_f32 v[126:127], v[126:127], v[54:55], v[134:135] op_sel_hi:[1,0,1]
	ds_load_2addr_b64 v[134:137], v128 offset0:36 offset1:37
	v_dual_mov_b32 v54, v124 :: v_dual_mov_b32 v55, v127
	s_wait_dscnt 0x0
	v_pk_mul_f32 v[138:139], v[134:135], v[126:127] op_sel:[0,1]
	s_delay_alu instid0(VALU_DEP_1) | instskip(SKIP_1) | instid1(VALU_DEP_1)
	v_pk_fma_f32 v[140:141], v[134:135], v[124:125], v[138:139] op_sel:[0,0,1] op_sel_hi:[1,1,0] neg_lo:[0,0,1] neg_hi:[0,0,1]
	v_pk_fma_f32 v[134:135], v[134:135], v[124:125], v[138:139] op_sel:[0,0,1] op_sel_hi:[1,0,0]
	v_mov_b32_e32 v141, v135
	v_pk_mul_f32 v[134:135], v[136:137], v[126:127] op_sel:[0,1]
	s_delay_alu instid0(VALU_DEP_1) | instskip(SKIP_1) | instid1(VALU_DEP_1)
	v_pk_fma_f32 v[138:139], v[136:137], v[124:125], v[134:135] op_sel:[0,0,1] op_sel_hi:[1,1,0] neg_lo:[0,0,1] neg_hi:[0,0,1]
	v_pk_fma_f32 v[134:135], v[136:137], v[124:125], v[134:135] op_sel:[0,0,1] op_sel_hi:[1,0,0]
	v_mov_b32_e32 v139, v135
	ds_load_2addr_b64 v[134:137], v128 offset0:38 offset1:39
	v_pk_add_f32 v[88:89], v[88:89], v[140:141] neg_lo:[0,1] neg_hi:[0,1]
	v_pk_add_f32 v[86:87], v[86:87], v[138:139] neg_lo:[0,1] neg_hi:[0,1]
	s_wait_dscnt 0x0
	v_pk_mul_f32 v[138:139], v[134:135], v[126:127] op_sel:[0,1]
	s_delay_alu instid0(VALU_DEP_1) | instskip(SKIP_2) | instid1(VALU_DEP_2)
	v_pk_fma_f32 v[140:141], v[134:135], v[124:125], v[138:139] op_sel:[0,0,1] op_sel_hi:[1,1,0] neg_lo:[0,0,1] neg_hi:[0,0,1]
	v_pk_fma_f32 v[134:135], v[134:135], v[124:125], v[138:139] op_sel:[0,0,1] op_sel_hi:[1,0,0]
	v_dual_mul_f32 v138, v137, v127 :: v_dual_mov_b32 v134, v137
	v_dual_mov_b32 v141, v135 :: v_dual_mov_b32 v135, v136
	s_delay_alu instid0(VALU_DEP_2) | instskip(SKIP_1) | instid1(VALU_DEP_3)
	v_pk_fma_f32 v[138:139], v[136:137], v[54:55], v[138:139] op_sel_hi:[1,1,0] neg_lo:[0,0,1] neg_hi:[0,0,1]
	v_mul_f32_e32 v136, v137, v124
	v_pk_add_f32 v[64:65], v[64:65], v[140:141] neg_lo:[0,1] neg_hi:[0,1]
	s_delay_alu instid0(VALU_DEP_2) | instskip(NEXT) | instid1(VALU_DEP_1)
	v_pk_fma_f32 v[134:135], v[134:135], v[54:55], v[136:137] op_sel_hi:[1,1,0]
	v_mov_b32_e32 v139, v135
	ds_load_2addr_b64 v[134:137], v128 offset0:40 offset1:41
	v_pk_add_f32 v[62:63], v[62:63], v[138:139] neg_lo:[0,1] neg_hi:[0,1]
	s_wait_dscnt 0x0
	v_pk_mul_f32 v[138:139], v[134:135], v[126:127] op_sel:[0,1]
	s_delay_alu instid0(VALU_DEP_1) | instskip(SKIP_1) | instid1(VALU_DEP_1)
	v_pk_fma_f32 v[140:141], v[134:135], v[124:125], v[138:139] op_sel:[0,0,1] op_sel_hi:[1,1,0] neg_lo:[0,0,1] neg_hi:[0,0,1]
	v_pk_fma_f32 v[134:135], v[134:135], v[124:125], v[138:139] op_sel:[0,0,1] op_sel_hi:[1,0,0]
	v_mov_b32_e32 v141, v135
	v_pk_mul_f32 v[134:135], v[136:137], v[126:127] op_sel:[0,1]
	s_delay_alu instid0(VALU_DEP_1) | instskip(SKIP_1) | instid1(VALU_DEP_1)
	v_pk_fma_f32 v[138:139], v[136:137], v[124:125], v[134:135] op_sel:[0,0,1] op_sel_hi:[1,1,0] neg_lo:[0,0,1] neg_hi:[0,0,1]
	v_pk_fma_f32 v[134:135], v[136:137], v[124:125], v[134:135] op_sel:[0,0,1] op_sel_hi:[1,0,0]
	v_mov_b32_e32 v139, v135
	ds_load_2addr_b64 v[134:137], v128 offset0:42 offset1:43
	v_pk_add_f32 v[102:103], v[102:103], v[140:141] neg_lo:[0,1] neg_hi:[0,1]
	v_pk_add_f32 v[100:101], v[100:101], v[138:139] neg_lo:[0,1] neg_hi:[0,1]
	s_wait_dscnt 0x0
	v_pk_mul_f32 v[138:139], v[134:135], v[126:127] op_sel:[0,1]
	s_delay_alu instid0(VALU_DEP_1) | instskip(SKIP_1) | instid1(VALU_DEP_1)
	v_pk_fma_f32 v[140:141], v[134:135], v[124:125], v[138:139] op_sel:[0,0,1] op_sel_hi:[1,1,0] neg_lo:[0,0,1] neg_hi:[0,0,1]
	v_pk_fma_f32 v[134:135], v[134:135], v[124:125], v[138:139] op_sel:[0,0,1] op_sel_hi:[1,0,0]
	v_mov_b32_e32 v141, v135
	v_pk_mul_f32 v[134:135], v[136:137], v[126:127] op_sel:[0,1]
	s_delay_alu instid0(VALU_DEP_1) | instskip(SKIP_1) | instid1(VALU_DEP_1)
	v_pk_fma_f32 v[138:139], v[136:137], v[124:125], v[134:135] op_sel:[0,0,1] op_sel_hi:[1,1,0] neg_lo:[0,0,1] neg_hi:[0,0,1]
	v_pk_fma_f32 v[134:135], v[136:137], v[124:125], v[134:135] op_sel:[0,0,1] op_sel_hi:[1,0,0]
	v_mov_b32_e32 v139, v135
	ds_load_2addr_b64 v[134:137], v128 offset0:44 offset1:45
	v_pk_add_f32 v[72:73], v[72:73], v[140:141] neg_lo:[0,1] neg_hi:[0,1]
	v_pk_add_f32 v[70:71], v[70:71], v[138:139] neg_lo:[0,1] neg_hi:[0,1]
	s_wait_dscnt 0x0
	v_dual_mul_f32 v138, v135, v127 :: v_dual_mul_f32 v140, v135, v124
	s_delay_alu instid0(VALU_DEP_1) | instskip(NEXT) | instid1(VALU_DEP_2)
	v_pk_fma_f32 v[138:139], v[134:135], v[54:55], v[138:139] op_sel_hi:[1,1,0] neg_lo:[0,0,1] neg_hi:[0,0,1]
	v_pk_fma_f32 v[134:135], v[134:135], v[54:55], v[140:141] op_sel:[1,0,0] op_sel_hi:[0,1,0]
	s_delay_alu instid0(VALU_DEP_1) | instskip(SKIP_1) | instid1(VALU_DEP_2)
	v_mov_b32_e32 v139, v135
	v_pk_mul_f32 v[134:135], v[136:137], v[126:127] op_sel:[0,1]
	v_pk_add_f32 v[110:111], v[110:111], v[138:139] neg_lo:[0,1] neg_hi:[0,1]
	s_delay_alu instid0(VALU_DEP_2) | instskip(SKIP_1) | instid1(VALU_DEP_1)
	v_pk_fma_f32 v[138:139], v[136:137], v[124:125], v[134:135] op_sel:[0,0,1] op_sel_hi:[1,1,0] neg_lo:[0,0,1] neg_hi:[0,0,1]
	v_pk_fma_f32 v[134:135], v[136:137], v[124:125], v[134:135] op_sel:[0,0,1] op_sel_hi:[1,0,0]
	v_mov_b32_e32 v139, v135
	ds_load_2addr_b64 v[134:137], v128 offset0:46 offset1:47
	v_pk_add_f32 v[108:109], v[108:109], v[138:139] neg_lo:[0,1] neg_hi:[0,1]
	s_wait_dscnt 0x0
	v_pk_mul_f32 v[138:139], v[134:135], v[126:127] op_sel:[0,1]
	s_delay_alu instid0(VALU_DEP_1) | instskip(SKIP_1) | instid1(VALU_DEP_1)
	v_pk_fma_f32 v[140:141], v[134:135], v[124:125], v[138:139] op_sel:[0,0,1] op_sel_hi:[1,1,0] neg_lo:[0,0,1] neg_hi:[0,0,1]
	v_pk_fma_f32 v[134:135], v[134:135], v[124:125], v[138:139] op_sel:[0,0,1] op_sel_hi:[1,0,0]
	v_mov_b32_e32 v141, v135
	v_pk_mul_f32 v[134:135], v[136:137], v[126:127] op_sel:[0,1]
	s_delay_alu instid0(VALU_DEP_2) | instskip(NEXT) | instid1(VALU_DEP_2)
	v_pk_add_f32 v[82:83], v[82:83], v[140:141] neg_lo:[0,1] neg_hi:[0,1]
	v_pk_fma_f32 v[138:139], v[136:137], v[124:125], v[134:135] op_sel:[0,0,1] op_sel_hi:[1,1,0] neg_lo:[0,0,1] neg_hi:[0,0,1]
	v_pk_fma_f32 v[134:135], v[136:137], v[124:125], v[134:135] op_sel:[0,0,1] op_sel_hi:[1,0,0]
	s_delay_alu instid0(VALU_DEP_1) | instskip(SKIP_4) | instid1(VALU_DEP_1)
	v_mov_b32_e32 v139, v135
	ds_load_2addr_b64 v[134:137], v128 offset0:48 offset1:49
	v_pk_add_f32 v[80:81], v[80:81], v[138:139] neg_lo:[0,1] neg_hi:[0,1]
	s_wait_dscnt 0x0
	v_pk_mul_f32 v[138:139], v[134:135], v[126:127] op_sel:[0,1]
	v_pk_fma_f32 v[140:141], v[134:135], v[124:125], v[138:139] op_sel:[0,0,1] op_sel_hi:[1,1,0] neg_lo:[0,0,1] neg_hi:[0,0,1]
	v_pk_fma_f32 v[134:135], v[134:135], v[124:125], v[138:139] op_sel:[0,0,1] op_sel_hi:[1,0,0]
	v_dual_mul_f32 v138, v137, v127 :: v_dual_mov_b32 v134, v137
	s_delay_alu instid0(VALU_DEP_2) | instskip(NEXT) | instid1(VALU_DEP_2)
	v_dual_mov_b32 v141, v135 :: v_dual_mov_b32 v135, v136
	v_pk_fma_f32 v[138:139], v[136:137], v[54:55], v[138:139] op_sel_hi:[1,1,0] neg_lo:[0,0,1] neg_hi:[0,0,1]
	v_mul_f32_e32 v136, v137, v124
	s_delay_alu instid0(VALU_DEP_3) | instskip(NEXT) | instid1(VALU_DEP_2)
	v_pk_add_f32 v[120:121], v[120:121], v[140:141] neg_lo:[0,1] neg_hi:[0,1]
	v_pk_fma_f32 v[134:135], v[134:135], v[54:55], v[136:137] op_sel_hi:[1,1,0]
	s_delay_alu instid0(VALU_DEP_1) | instskip(SKIP_4) | instid1(VALU_DEP_1)
	v_mov_b32_e32 v139, v135
	ds_load_2addr_b64 v[134:137], v128 offset0:50 offset1:51
	v_pk_add_f32 v[118:119], v[118:119], v[138:139] neg_lo:[0,1] neg_hi:[0,1]
	s_wait_dscnt 0x0
	v_pk_mul_f32 v[138:139], v[134:135], v[126:127] op_sel:[0,1]
	v_pk_fma_f32 v[140:141], v[134:135], v[124:125], v[138:139] op_sel:[0,0,1] op_sel_hi:[1,1,0] neg_lo:[0,0,1] neg_hi:[0,0,1]
	v_pk_fma_f32 v[134:135], v[134:135], v[124:125], v[138:139] op_sel:[0,0,1] op_sel_hi:[1,0,0]
	s_delay_alu instid0(VALU_DEP_1) | instskip(SKIP_1) | instid1(VALU_DEP_1)
	v_mov_b32_e32 v141, v135
	v_pk_mul_f32 v[134:135], v[136:137], v[126:127] op_sel:[0,1]
	v_pk_fma_f32 v[138:139], v[136:137], v[124:125], v[134:135] op_sel:[0,0,1] op_sel_hi:[1,1,0] neg_lo:[0,0,1] neg_hi:[0,0,1]
	v_pk_fma_f32 v[134:135], v[136:137], v[124:125], v[134:135] op_sel:[0,0,1] op_sel_hi:[1,0,0]
	s_delay_alu instid0(VALU_DEP_1)
	v_mov_b32_e32 v139, v135
	ds_load_2addr_b64 v[134:137], v128 offset0:52 offset1:53
	v_pk_add_f32 v[94:95], v[94:95], v[140:141] neg_lo:[0,1] neg_hi:[0,1]
	v_pk_add_f32 v[96:97], v[96:97], v[138:139] neg_lo:[0,1] neg_hi:[0,1]
	s_wait_dscnt 0x0
	v_pk_mul_f32 v[138:139], v[134:135], v[126:127] op_sel:[0,1]
	s_delay_alu instid0(VALU_DEP_1) | instskip(SKIP_1) | instid1(VALU_DEP_1)
	v_pk_fma_f32 v[140:141], v[134:135], v[124:125], v[138:139] op_sel:[0,0,1] op_sel_hi:[1,1,0] neg_lo:[0,0,1] neg_hi:[0,0,1]
	v_pk_fma_f32 v[134:135], v[134:135], v[124:125], v[138:139] op_sel:[0,0,1] op_sel_hi:[1,0,0]
	v_mov_b32_e32 v141, v135
	v_pk_mul_f32 v[134:135], v[136:137], v[126:127] op_sel:[0,1]
	s_delay_alu instid0(VALU_DEP_1) | instskip(SKIP_1) | instid1(VALU_DEP_1)
	v_pk_fma_f32 v[138:139], v[136:137], v[124:125], v[134:135] op_sel:[0,0,1] op_sel_hi:[1,1,0] neg_lo:[0,0,1] neg_hi:[0,0,1]
	v_pk_fma_f32 v[134:135], v[136:137], v[124:125], v[134:135] op_sel:[0,0,1] op_sel_hi:[1,0,0]
	v_mov_b32_e32 v139, v135
	ds_load_2addr_b64 v[134:137], v128 offset0:54 offset1:55
	v_pk_add_f32 v[114:115], v[114:115], v[140:141] neg_lo:[0,1] neg_hi:[0,1]
	v_pk_add_f32 v[112:113], v[112:113], v[138:139] neg_lo:[0,1] neg_hi:[0,1]
	s_wait_dscnt 0x0
	v_dual_mul_f32 v138, v135, v127 :: v_dual_mul_f32 v140, v135, v124
	s_delay_alu instid0(VALU_DEP_1) | instskip(NEXT) | instid1(VALU_DEP_2)
	v_pk_fma_f32 v[138:139], v[134:135], v[54:55], v[138:139] op_sel_hi:[1,1,0] neg_lo:[0,0,1] neg_hi:[0,0,1]
	v_pk_fma_f32 v[134:135], v[134:135], v[54:55], v[140:141] op_sel:[1,0,0] op_sel_hi:[0,1,0]
	s_delay_alu instid0(VALU_DEP_1) | instskip(SKIP_1) | instid1(VALU_DEP_2)
	v_mov_b32_e32 v139, v135
	v_pk_mul_f32 v[134:135], v[136:137], v[126:127] op_sel:[0,1]
	v_pk_add_f32 v[92:93], v[92:93], v[138:139] neg_lo:[0,1] neg_hi:[0,1]
	s_delay_alu instid0(VALU_DEP_2) | instskip(SKIP_1) | instid1(VALU_DEP_1)
	v_pk_fma_f32 v[138:139], v[136:137], v[124:125], v[134:135] op_sel:[0,0,1] op_sel_hi:[1,1,0] neg_lo:[0,0,1] neg_hi:[0,0,1]
	v_pk_fma_f32 v[134:135], v[136:137], v[124:125], v[134:135] op_sel:[0,0,1] op_sel_hi:[1,0,0]
	v_mov_b32_e32 v139, v135
	ds_load_2addr_b64 v[134:137], v128 offset0:56 offset1:57
	v_pk_add_f32 v[90:91], v[90:91], v[138:139] neg_lo:[0,1] neg_hi:[0,1]
	s_wait_dscnt 0x0
	v_pk_mul_f32 v[138:139], v[134:135], v[126:127] op_sel:[0,1]
	s_delay_alu instid0(VALU_DEP_1) | instskip(SKIP_1) | instid1(VALU_DEP_1)
	v_pk_fma_f32 v[140:141], v[134:135], v[124:125], v[138:139] op_sel:[0,0,1] op_sel_hi:[1,1,0] neg_lo:[0,0,1] neg_hi:[0,0,1]
	v_pk_fma_f32 v[134:135], v[134:135], v[124:125], v[138:139] op_sel:[0,0,1] op_sel_hi:[1,0,0]
	v_mov_b32_e32 v141, v135
	v_pk_mul_f32 v[134:135], v[136:137], v[126:127] op_sel:[0,1]
	s_delay_alu instid0(VALU_DEP_2) | instskip(NEXT) | instid1(VALU_DEP_2)
	v_pk_add_f32 v[104:105], v[104:105], v[140:141] neg_lo:[0,1] neg_hi:[0,1]
	v_pk_fma_f32 v[138:139], v[136:137], v[124:125], v[134:135] op_sel:[0,0,1] op_sel_hi:[1,1,0] neg_lo:[0,0,1] neg_hi:[0,0,1]
	v_pk_fma_f32 v[134:135], v[136:137], v[124:125], v[134:135] op_sel:[0,0,1] op_sel_hi:[1,0,0]
	s_delay_alu instid0(VALU_DEP_1) | instskip(SKIP_4) | instid1(VALU_DEP_1)
	v_mov_b32_e32 v139, v135
	ds_load_b64 v[134:135], v128 offset:464
	v_pk_add_f32 v[98:99], v[98:99], v[138:139] neg_lo:[0,1] neg_hi:[0,1]
	s_wait_dscnt 0x0
	v_pk_mul_f32 v[126:127], v[134:135], v[126:127] op_sel:[0,1]
	v_pk_fma_f32 v[136:137], v[134:135], v[124:125], v[126:127] op_sel:[0,0,1] op_sel_hi:[1,1,0] neg_lo:[0,0,1] neg_hi:[0,0,1]
	v_pk_fma_f32 v[124:125], v[134:135], v[124:125], v[126:127] op_sel:[0,0,1] op_sel_hi:[1,0,0]
	s_delay_alu instid0(VALU_DEP_1) | instskip(NEXT) | instid1(VALU_DEP_1)
	v_mov_b32_e32 v137, v125
	v_pk_add_f32 v[122:123], v[122:123], v[136:137] neg_lo:[0,1] neg_hi:[0,1]
.LBB116_755:
	s_or_b32 exec_lo, exec_lo, s0
	v_lshl_add_u32 v124, v132, 3, v128
	s_barrier_signal -1
	s_barrier_wait -1
	ds_store_b64 v124, v[88:89]
	s_wait_dscnt 0x0
	s_barrier_signal -1
	s_barrier_wait -1
	ds_load_b64 v[126:127], v128 offset:288
	v_mov_b32_e32 v124, 36
	s_cmp_lt_i32 s18, 38
	s_cbranch_scc1 .LBB116_758
; %bb.756:
	v_add3_u32 v125, v129, 0, 0x128
	v_mov_b32_e32 v124, 36
	s_mov_b32 s0, 37
.LBB116_757:                            ; =>This Inner Loop Header: Depth=1
	ds_load_b64 v[134:135], v125
	s_wait_dscnt 0x1
	v_cmp_gt_f32_e32 vcc_lo, 0, v126
	v_cndmask_b32_e64 v136, v126, -v126, vcc_lo
	v_cmp_gt_f32_e32 vcc_lo, 0, v127
	v_cndmask_b32_e64 v138, v127, -v127, vcc_lo
	s_wait_dscnt 0x0
	v_cmp_gt_f32_e32 vcc_lo, 0, v134
	v_cndmask_b32_e64 v137, v134, -v134, vcc_lo
	v_cmp_gt_f32_e32 vcc_lo, 0, v135
	v_cndmask_b32_e64 v139, v135, -v135, vcc_lo
	s_delay_alu instid0(VALU_DEP_1) | instskip(NEXT) | instid1(VALU_DEP_1)
	v_pk_add_f32 v[136:137], v[136:137], v[138:139]
	v_cmp_lt_f32_e32 vcc_lo, v136, v137
	v_dual_add_nc_u32 v125, 8, v125 :: v_dual_cndmask_b32 v127, v127, v135, vcc_lo
	v_cndmask_b32_e32 v126, v126, v134, vcc_lo
	v_cndmask_b32_e64 v124, v124, s0, vcc_lo
	s_add_co_i32 s0, s0, 1
	s_delay_alu instid0(SALU_CYCLE_1)
	s_cmp_lg_u32 s18, s0
	s_cbranch_scc1 .LBB116_757
.LBB116_758:
	s_wait_dscnt 0x0
	v_cmp_eq_f32_e32 vcc_lo, 0, v126
	v_cmp_eq_f32_e64 s0, 0, v127
	s_and_b32 s0, vcc_lo, s0
	s_delay_alu instid0(SALU_CYCLE_1) | instskip(NEXT) | instid1(SALU_CYCLE_1)
	s_and_saveexec_b32 s1, s0
	s_xor_b32 s0, exec_lo, s1
; %bb.759:
	v_cmp_ne_u32_e32 vcc_lo, 0, v130
	v_cndmask_b32_e32 v130, 37, v130, vcc_lo
; %bb.760:
	s_and_not1_saveexec_b32 s0, s0
	s_cbranch_execz .LBB116_766
; %bb.761:
	v_cmp_ngt_f32_e64 s1, |v126|, |v127|
	s_and_saveexec_b32 s12, s1
	s_delay_alu instid0(SALU_CYCLE_1)
	s_xor_b32 s1, exec_lo, s12
	s_cbranch_execz .LBB116_763
; %bb.762:
	v_div_scale_f32 v125, null, v127, v127, v126
	v_div_scale_f32 v135, vcc_lo, v126, v127, v126
	s_delay_alu instid0(VALU_DEP_2) | instskip(SKIP_1) | instid1(TRANS32_DEP_1)
	v_rcp_f32_e32 v133, v125
	v_nop
	v_fma_f32 v134, -v125, v133, 1.0
	s_delay_alu instid0(VALU_DEP_1) | instskip(NEXT) | instid1(VALU_DEP_1)
	v_fmac_f32_e32 v133, v134, v133
	v_mul_f32_e32 v134, v135, v133
	s_delay_alu instid0(VALU_DEP_1) | instskip(NEXT) | instid1(VALU_DEP_1)
	v_fma_f32 v136, -v125, v134, v135
	v_fmac_f32_e32 v134, v136, v133
	s_delay_alu instid0(VALU_DEP_1) | instskip(NEXT) | instid1(VALU_DEP_1)
	v_fma_f32 v125, -v125, v134, v135
	v_div_fmas_f32 v125, v125, v133, v134
	s_delay_alu instid0(VALU_DEP_1) | instskip(NEXT) | instid1(VALU_DEP_1)
	v_div_fixup_f32 v125, v125, v127, v126
	v_fmac_f32_e32 v127, v126, v125
	s_delay_alu instid0(VALU_DEP_1) | instskip(SKIP_1) | instid1(VALU_DEP_2)
	v_div_scale_f32 v126, null, v127, v127, 1.0
	v_div_scale_f32 v135, vcc_lo, 1.0, v127, 1.0
	v_rcp_f32_e32 v133, v126
	v_nop
	s_delay_alu instid0(TRANS32_DEP_1) | instskip(NEXT) | instid1(VALU_DEP_1)
	v_fma_f32 v134, -v126, v133, 1.0
	v_fmac_f32_e32 v133, v134, v133
	s_delay_alu instid0(VALU_DEP_1) | instskip(NEXT) | instid1(VALU_DEP_1)
	v_mul_f32_e32 v134, v135, v133
	v_fma_f32 v136, -v126, v134, v135
	s_delay_alu instid0(VALU_DEP_1) | instskip(NEXT) | instid1(VALU_DEP_1)
	v_fmac_f32_e32 v134, v136, v133
	v_fma_f32 v126, -v126, v134, v135
	s_delay_alu instid0(VALU_DEP_1) | instskip(NEXT) | instid1(VALU_DEP_1)
	v_div_fmas_f32 v126, v126, v133, v134
	v_div_fixup_f32 v127, v126, v127, 1.0
	s_delay_alu instid0(VALU_DEP_1)
	v_mul_f32_e32 v126, v125, v127
	v_xor_b32_e32 v127, 0x80000000, v127
.LBB116_763:
	s_and_not1_saveexec_b32 s1, s1
	s_cbranch_execz .LBB116_765
; %bb.764:
	s_delay_alu instid0(VALU_DEP_1) | instskip(SKIP_1) | instid1(VALU_DEP_2)
	v_div_scale_f32 v125, null, v126, v126, v127
	v_div_scale_f32 v135, vcc_lo, v127, v126, v127
	v_rcp_f32_e32 v133, v125
	v_nop
	s_delay_alu instid0(TRANS32_DEP_1) | instskip(NEXT) | instid1(VALU_DEP_1)
	v_fma_f32 v134, -v125, v133, 1.0
	v_fmac_f32_e32 v133, v134, v133
	s_delay_alu instid0(VALU_DEP_1) | instskip(NEXT) | instid1(VALU_DEP_1)
	v_mul_f32_e32 v134, v135, v133
	v_fma_f32 v136, -v125, v134, v135
	s_delay_alu instid0(VALU_DEP_1) | instskip(NEXT) | instid1(VALU_DEP_1)
	v_fmac_f32_e32 v134, v136, v133
	v_fma_f32 v125, -v125, v134, v135
	s_delay_alu instid0(VALU_DEP_1) | instskip(NEXT) | instid1(VALU_DEP_1)
	v_div_fmas_f32 v125, v125, v133, v134
	v_div_fixup_f32 v125, v125, v126, v127
	s_delay_alu instid0(VALU_DEP_1) | instskip(NEXT) | instid1(VALU_DEP_1)
	v_fmac_f32_e32 v126, v127, v125
	v_div_scale_f32 v127, null, v126, v126, 1.0
	s_delay_alu instid0(VALU_DEP_1) | instskip(SKIP_1) | instid1(TRANS32_DEP_1)
	v_rcp_f32_e32 v133, v127
	v_nop
	v_fma_f32 v134, -v127, v133, 1.0
	s_delay_alu instid0(VALU_DEP_1) | instskip(SKIP_1) | instid1(VALU_DEP_1)
	v_fmac_f32_e32 v133, v134, v133
	v_div_scale_f32 v134, vcc_lo, 1.0, v126, 1.0
	v_mul_f32_e32 v135, v134, v133
	s_delay_alu instid0(VALU_DEP_1) | instskip(NEXT) | instid1(VALU_DEP_1)
	v_fma_f32 v136, -v127, v135, v134
	v_fmac_f32_e32 v135, v136, v133
	s_delay_alu instid0(VALU_DEP_1) | instskip(NEXT) | instid1(VALU_DEP_1)
	v_fma_f32 v127, -v127, v135, v134
	v_div_fmas_f32 v127, v127, v133, v135
	s_delay_alu instid0(VALU_DEP_1) | instskip(NEXT) | instid1(VALU_DEP_1)
	v_div_fixup_f32 v126, v127, v126, 1.0
	v_mul_f32_e64 v127, v125, -v126
.LBB116_765:
	s_or_b32 exec_lo, exec_lo, s1
.LBB116_766:
	s_delay_alu instid0(SALU_CYCLE_1) | instskip(NEXT) | instid1(SALU_CYCLE_1)
	s_or_b32 exec_lo, exec_lo, s0
	s_mov_b32 s0, exec_lo
	v_cmpx_ne_u32_e64 v132, v124
	s_xor_b32 s0, exec_lo, s0
	s_cbranch_execz .LBB116_772
; %bb.767:
	s_mov_b32 s1, exec_lo
	v_cmpx_eq_u32_e32 36, v132
	s_cbranch_execz .LBB116_771
; %bb.768:
	v_cmp_ne_u32_e32 vcc_lo, 36, v124
	s_xor_b32 s12, s16, -1
	s_delay_alu instid0(SALU_CYCLE_1) | instskip(NEXT) | instid1(SALU_CYCLE_1)
	s_and_b32 s13, s12, vcc_lo
	s_and_saveexec_b32 s12, s13
	s_cbranch_execz .LBB116_770
; %bb.769:
	v_ashrrev_i32_e32 v125, 31, v124
	s_delay_alu instid0(VALU_DEP_1)
	v_lshl_add_u64 v[132:133], v[124:125], 2, v[4:5]
	s_clause 0x1
	global_load_b32 v125, v[132:133], off
	global_load_b32 v131, v[4:5], off offset:144
	s_wait_loadcnt 0x1
	global_store_b32 v[4:5], v125, off offset:144
	s_wait_loadcnt 0x0
	global_store_b32 v[132:133], v131, off
.LBB116_770:
	s_wait_xcnt 0x0
	s_or_b32 exec_lo, exec_lo, s12
	v_dual_mov_b32 v132, v124 :: v_dual_mov_b32 v131, v124
.LBB116_771:
	s_or_b32 exec_lo, exec_lo, s1
.LBB116_772:
	s_and_not1_saveexec_b32 s0, s0
	s_cbranch_execz .LBB116_774
; %bb.773:
	v_mov_b32_e32 v132, 36
	ds_store_2addr_b64 v128, v[86:87], v[64:65] offset0:37 offset1:38
	ds_store_2addr_b64 v128, v[62:63], v[102:103] offset0:39 offset1:40
	;; [unrolled: 1-line block ×11, first 2 shown]
.LBB116_774:
	s_or_b32 exec_lo, exec_lo, s0
	s_delay_alu instid0(SALU_CYCLE_1)
	s_mov_b32 s0, exec_lo
	s_wait_storecnt_dscnt 0x0
	s_barrier_signal -1
	s_barrier_wait -1
	v_cmpx_lt_i32_e32 36, v132
	s_cbranch_execz .LBB116_776
; %bb.775:
	v_pk_mul_f32 v[134:135], v[126:127], v[88:89] op_sel:[1,1] op_sel_hi:[0,1]
	s_delay_alu instid0(VALU_DEP_1)
	v_pk_fma_f32 v[124:125], v[126:127], v[88:89], v[134:135] op_sel_hi:[1,0,1] neg_lo:[0,0,1] neg_hi:[0,0,1]
	v_pk_fma_f32 v[126:127], v[126:127], v[88:89], v[134:135] op_sel_hi:[1,0,1]
	ds_load_2addr_b64 v[134:137], v128 offset0:37 offset1:38
	v_dual_mov_b32 v88, v124 :: v_dual_mov_b32 v89, v127
	s_wait_dscnt 0x0
	v_pk_mul_f32 v[138:139], v[134:135], v[126:127] op_sel:[0,1]
	s_delay_alu instid0(VALU_DEP_1) | instskip(SKIP_1) | instid1(VALU_DEP_1)
	v_pk_fma_f32 v[140:141], v[134:135], v[124:125], v[138:139] op_sel:[0,0,1] op_sel_hi:[1,1,0] neg_lo:[0,0,1] neg_hi:[0,0,1]
	v_pk_fma_f32 v[134:135], v[134:135], v[124:125], v[138:139] op_sel:[0,0,1] op_sel_hi:[1,0,0]
	v_mov_b32_e32 v141, v135
	v_pk_mul_f32 v[134:135], v[136:137], v[126:127] op_sel:[0,1]
	s_delay_alu instid0(VALU_DEP_1) | instskip(SKIP_1) | instid1(VALU_DEP_1)
	v_pk_fma_f32 v[138:139], v[136:137], v[124:125], v[134:135] op_sel:[0,0,1] op_sel_hi:[1,1,0] neg_lo:[0,0,1] neg_hi:[0,0,1]
	v_pk_fma_f32 v[134:135], v[136:137], v[124:125], v[134:135] op_sel:[0,0,1] op_sel_hi:[1,0,0]
	v_mov_b32_e32 v139, v135
	ds_load_2addr_b64 v[134:137], v128 offset0:39 offset1:40
	v_pk_add_f32 v[86:87], v[86:87], v[140:141] neg_lo:[0,1] neg_hi:[0,1]
	v_pk_add_f32 v[64:65], v[64:65], v[138:139] neg_lo:[0,1] neg_hi:[0,1]
	s_wait_dscnt 0x0
	v_pk_mul_f32 v[138:139], v[134:135], v[126:127] op_sel:[0,1]
	s_delay_alu instid0(VALU_DEP_1) | instskip(SKIP_2) | instid1(VALU_DEP_2)
	v_pk_fma_f32 v[140:141], v[134:135], v[124:125], v[138:139] op_sel:[0,0,1] op_sel_hi:[1,1,0] neg_lo:[0,0,1] neg_hi:[0,0,1]
	v_pk_fma_f32 v[134:135], v[134:135], v[124:125], v[138:139] op_sel:[0,0,1] op_sel_hi:[1,0,0]
	v_dual_mul_f32 v138, v137, v127 :: v_dual_mov_b32 v134, v137
	v_dual_mov_b32 v141, v135 :: v_dual_mov_b32 v135, v136
	s_delay_alu instid0(VALU_DEP_2) | instskip(SKIP_1) | instid1(VALU_DEP_3)
	v_pk_fma_f32 v[138:139], v[136:137], v[88:89], v[138:139] op_sel_hi:[1,1,0] neg_lo:[0,0,1] neg_hi:[0,0,1]
	v_mul_f32_e32 v136, v137, v124
	v_pk_add_f32 v[62:63], v[62:63], v[140:141] neg_lo:[0,1] neg_hi:[0,1]
	s_delay_alu instid0(VALU_DEP_2) | instskip(NEXT) | instid1(VALU_DEP_1)
	v_pk_fma_f32 v[134:135], v[134:135], v[88:89], v[136:137] op_sel_hi:[1,1,0]
	v_mov_b32_e32 v139, v135
	ds_load_2addr_b64 v[134:137], v128 offset0:41 offset1:42
	v_pk_add_f32 v[102:103], v[102:103], v[138:139] neg_lo:[0,1] neg_hi:[0,1]
	s_wait_dscnt 0x0
	v_pk_mul_f32 v[138:139], v[134:135], v[126:127] op_sel:[0,1]
	s_delay_alu instid0(VALU_DEP_1) | instskip(SKIP_1) | instid1(VALU_DEP_1)
	v_pk_fma_f32 v[140:141], v[134:135], v[124:125], v[138:139] op_sel:[0,0,1] op_sel_hi:[1,1,0] neg_lo:[0,0,1] neg_hi:[0,0,1]
	v_pk_fma_f32 v[134:135], v[134:135], v[124:125], v[138:139] op_sel:[0,0,1] op_sel_hi:[1,0,0]
	v_mov_b32_e32 v141, v135
	v_pk_mul_f32 v[134:135], v[136:137], v[126:127] op_sel:[0,1]
	s_delay_alu instid0(VALU_DEP_1) | instskip(SKIP_1) | instid1(VALU_DEP_1)
	v_pk_fma_f32 v[138:139], v[136:137], v[124:125], v[134:135] op_sel:[0,0,1] op_sel_hi:[1,1,0] neg_lo:[0,0,1] neg_hi:[0,0,1]
	v_pk_fma_f32 v[134:135], v[136:137], v[124:125], v[134:135] op_sel:[0,0,1] op_sel_hi:[1,0,0]
	v_mov_b32_e32 v139, v135
	ds_load_2addr_b64 v[134:137], v128 offset0:43 offset1:44
	v_pk_add_f32 v[100:101], v[100:101], v[140:141] neg_lo:[0,1] neg_hi:[0,1]
	v_pk_add_f32 v[72:73], v[72:73], v[138:139] neg_lo:[0,1] neg_hi:[0,1]
	s_wait_dscnt 0x0
	v_pk_mul_f32 v[138:139], v[134:135], v[126:127] op_sel:[0,1]
	s_delay_alu instid0(VALU_DEP_1) | instskip(SKIP_1) | instid1(VALU_DEP_1)
	v_pk_fma_f32 v[140:141], v[134:135], v[124:125], v[138:139] op_sel:[0,0,1] op_sel_hi:[1,1,0] neg_lo:[0,0,1] neg_hi:[0,0,1]
	v_pk_fma_f32 v[134:135], v[134:135], v[124:125], v[138:139] op_sel:[0,0,1] op_sel_hi:[1,0,0]
	v_mov_b32_e32 v141, v135
	v_pk_mul_f32 v[134:135], v[136:137], v[126:127] op_sel:[0,1]
	s_delay_alu instid0(VALU_DEP_1) | instskip(SKIP_1) | instid1(VALU_DEP_1)
	v_pk_fma_f32 v[138:139], v[136:137], v[124:125], v[134:135] op_sel:[0,0,1] op_sel_hi:[1,1,0] neg_lo:[0,0,1] neg_hi:[0,0,1]
	v_pk_fma_f32 v[134:135], v[136:137], v[124:125], v[134:135] op_sel:[0,0,1] op_sel_hi:[1,0,0]
	v_mov_b32_e32 v139, v135
	ds_load_2addr_b64 v[134:137], v128 offset0:45 offset1:46
	v_pk_add_f32 v[70:71], v[70:71], v[140:141] neg_lo:[0,1] neg_hi:[0,1]
	v_pk_add_f32 v[110:111], v[110:111], v[138:139] neg_lo:[0,1] neg_hi:[0,1]
	s_wait_dscnt 0x0
	v_dual_mul_f32 v138, v135, v127 :: v_dual_mul_f32 v140, v135, v124
	s_delay_alu instid0(VALU_DEP_1) | instskip(NEXT) | instid1(VALU_DEP_2)
	v_pk_fma_f32 v[138:139], v[134:135], v[88:89], v[138:139] op_sel_hi:[1,1,0] neg_lo:[0,0,1] neg_hi:[0,0,1]
	v_pk_fma_f32 v[134:135], v[134:135], v[88:89], v[140:141] op_sel:[1,0,0] op_sel_hi:[0,1,0]
	s_delay_alu instid0(VALU_DEP_1) | instskip(SKIP_1) | instid1(VALU_DEP_2)
	v_mov_b32_e32 v139, v135
	v_pk_mul_f32 v[134:135], v[136:137], v[126:127] op_sel:[0,1]
	v_pk_add_f32 v[108:109], v[108:109], v[138:139] neg_lo:[0,1] neg_hi:[0,1]
	s_delay_alu instid0(VALU_DEP_2) | instskip(SKIP_1) | instid1(VALU_DEP_1)
	v_pk_fma_f32 v[138:139], v[136:137], v[124:125], v[134:135] op_sel:[0,0,1] op_sel_hi:[1,1,0] neg_lo:[0,0,1] neg_hi:[0,0,1]
	v_pk_fma_f32 v[134:135], v[136:137], v[124:125], v[134:135] op_sel:[0,0,1] op_sel_hi:[1,0,0]
	v_mov_b32_e32 v139, v135
	ds_load_2addr_b64 v[134:137], v128 offset0:47 offset1:48
	v_pk_add_f32 v[82:83], v[82:83], v[138:139] neg_lo:[0,1] neg_hi:[0,1]
	s_wait_dscnt 0x0
	v_pk_mul_f32 v[138:139], v[134:135], v[126:127] op_sel:[0,1]
	s_delay_alu instid0(VALU_DEP_1) | instskip(SKIP_1) | instid1(VALU_DEP_1)
	v_pk_fma_f32 v[140:141], v[134:135], v[124:125], v[138:139] op_sel:[0,0,1] op_sel_hi:[1,1,0] neg_lo:[0,0,1] neg_hi:[0,0,1]
	v_pk_fma_f32 v[134:135], v[134:135], v[124:125], v[138:139] op_sel:[0,0,1] op_sel_hi:[1,0,0]
	v_mov_b32_e32 v141, v135
	v_pk_mul_f32 v[134:135], v[136:137], v[126:127] op_sel:[0,1]
	s_delay_alu instid0(VALU_DEP_2) | instskip(NEXT) | instid1(VALU_DEP_2)
	v_pk_add_f32 v[80:81], v[80:81], v[140:141] neg_lo:[0,1] neg_hi:[0,1]
	v_pk_fma_f32 v[138:139], v[136:137], v[124:125], v[134:135] op_sel:[0,0,1] op_sel_hi:[1,1,0] neg_lo:[0,0,1] neg_hi:[0,0,1]
	v_pk_fma_f32 v[134:135], v[136:137], v[124:125], v[134:135] op_sel:[0,0,1] op_sel_hi:[1,0,0]
	s_delay_alu instid0(VALU_DEP_1) | instskip(SKIP_4) | instid1(VALU_DEP_1)
	v_mov_b32_e32 v139, v135
	ds_load_2addr_b64 v[134:137], v128 offset0:49 offset1:50
	v_pk_add_f32 v[120:121], v[120:121], v[138:139] neg_lo:[0,1] neg_hi:[0,1]
	s_wait_dscnt 0x0
	v_pk_mul_f32 v[138:139], v[134:135], v[126:127] op_sel:[0,1]
	v_pk_fma_f32 v[140:141], v[134:135], v[124:125], v[138:139] op_sel:[0,0,1] op_sel_hi:[1,1,0] neg_lo:[0,0,1] neg_hi:[0,0,1]
	v_pk_fma_f32 v[134:135], v[134:135], v[124:125], v[138:139] op_sel:[0,0,1] op_sel_hi:[1,0,0]
	v_dual_mul_f32 v138, v137, v127 :: v_dual_mov_b32 v134, v137
	s_delay_alu instid0(VALU_DEP_2) | instskip(NEXT) | instid1(VALU_DEP_2)
	v_dual_mov_b32 v141, v135 :: v_dual_mov_b32 v135, v136
	v_pk_fma_f32 v[138:139], v[136:137], v[88:89], v[138:139] op_sel_hi:[1,1,0] neg_lo:[0,0,1] neg_hi:[0,0,1]
	v_mul_f32_e32 v136, v137, v124
	s_delay_alu instid0(VALU_DEP_3) | instskip(NEXT) | instid1(VALU_DEP_2)
	v_pk_add_f32 v[118:119], v[118:119], v[140:141] neg_lo:[0,1] neg_hi:[0,1]
	v_pk_fma_f32 v[134:135], v[134:135], v[88:89], v[136:137] op_sel_hi:[1,1,0]
	s_delay_alu instid0(VALU_DEP_1) | instskip(SKIP_4) | instid1(VALU_DEP_1)
	v_mov_b32_e32 v139, v135
	ds_load_2addr_b64 v[134:137], v128 offset0:51 offset1:52
	v_pk_add_f32 v[94:95], v[94:95], v[138:139] neg_lo:[0,1] neg_hi:[0,1]
	s_wait_dscnt 0x0
	v_pk_mul_f32 v[138:139], v[134:135], v[126:127] op_sel:[0,1]
	v_pk_fma_f32 v[140:141], v[134:135], v[124:125], v[138:139] op_sel:[0,0,1] op_sel_hi:[1,1,0] neg_lo:[0,0,1] neg_hi:[0,0,1]
	v_pk_fma_f32 v[134:135], v[134:135], v[124:125], v[138:139] op_sel:[0,0,1] op_sel_hi:[1,0,0]
	s_delay_alu instid0(VALU_DEP_1) | instskip(SKIP_1) | instid1(VALU_DEP_1)
	v_mov_b32_e32 v141, v135
	v_pk_mul_f32 v[134:135], v[136:137], v[126:127] op_sel:[0,1]
	v_pk_fma_f32 v[138:139], v[136:137], v[124:125], v[134:135] op_sel:[0,0,1] op_sel_hi:[1,1,0] neg_lo:[0,0,1] neg_hi:[0,0,1]
	v_pk_fma_f32 v[134:135], v[136:137], v[124:125], v[134:135] op_sel:[0,0,1] op_sel_hi:[1,0,0]
	s_delay_alu instid0(VALU_DEP_1)
	v_mov_b32_e32 v139, v135
	ds_load_2addr_b64 v[134:137], v128 offset0:53 offset1:54
	v_pk_add_f32 v[96:97], v[96:97], v[140:141] neg_lo:[0,1] neg_hi:[0,1]
	v_pk_add_f32 v[114:115], v[114:115], v[138:139] neg_lo:[0,1] neg_hi:[0,1]
	s_wait_dscnt 0x0
	v_pk_mul_f32 v[138:139], v[134:135], v[126:127] op_sel:[0,1]
	s_delay_alu instid0(VALU_DEP_1) | instskip(SKIP_1) | instid1(VALU_DEP_1)
	v_pk_fma_f32 v[140:141], v[134:135], v[124:125], v[138:139] op_sel:[0,0,1] op_sel_hi:[1,1,0] neg_lo:[0,0,1] neg_hi:[0,0,1]
	v_pk_fma_f32 v[134:135], v[134:135], v[124:125], v[138:139] op_sel:[0,0,1] op_sel_hi:[1,0,0]
	v_mov_b32_e32 v141, v135
	v_pk_mul_f32 v[134:135], v[136:137], v[126:127] op_sel:[0,1]
	s_delay_alu instid0(VALU_DEP_1) | instskip(SKIP_1) | instid1(VALU_DEP_1)
	v_pk_fma_f32 v[138:139], v[136:137], v[124:125], v[134:135] op_sel:[0,0,1] op_sel_hi:[1,1,0] neg_lo:[0,0,1] neg_hi:[0,0,1]
	v_pk_fma_f32 v[134:135], v[136:137], v[124:125], v[134:135] op_sel:[0,0,1] op_sel_hi:[1,0,0]
	v_mov_b32_e32 v139, v135
	ds_load_2addr_b64 v[134:137], v128 offset0:55 offset1:56
	v_pk_add_f32 v[112:113], v[112:113], v[140:141] neg_lo:[0,1] neg_hi:[0,1]
	v_pk_add_f32 v[92:93], v[92:93], v[138:139] neg_lo:[0,1] neg_hi:[0,1]
	s_wait_dscnt 0x0
	v_dual_mul_f32 v138, v135, v127 :: v_dual_mul_f32 v140, v135, v124
	s_delay_alu instid0(VALU_DEP_1) | instskip(NEXT) | instid1(VALU_DEP_2)
	v_pk_fma_f32 v[138:139], v[134:135], v[88:89], v[138:139] op_sel_hi:[1,1,0] neg_lo:[0,0,1] neg_hi:[0,0,1]
	v_pk_fma_f32 v[134:135], v[134:135], v[88:89], v[140:141] op_sel:[1,0,0] op_sel_hi:[0,1,0]
	s_delay_alu instid0(VALU_DEP_1) | instskip(SKIP_1) | instid1(VALU_DEP_2)
	v_mov_b32_e32 v139, v135
	v_pk_mul_f32 v[134:135], v[136:137], v[126:127] op_sel:[0,1]
	v_pk_add_f32 v[90:91], v[90:91], v[138:139] neg_lo:[0,1] neg_hi:[0,1]
	s_delay_alu instid0(VALU_DEP_2) | instskip(SKIP_1) | instid1(VALU_DEP_1)
	v_pk_fma_f32 v[138:139], v[136:137], v[124:125], v[134:135] op_sel:[0,0,1] op_sel_hi:[1,1,0] neg_lo:[0,0,1] neg_hi:[0,0,1]
	v_pk_fma_f32 v[134:135], v[136:137], v[124:125], v[134:135] op_sel:[0,0,1] op_sel_hi:[1,0,0]
	v_mov_b32_e32 v139, v135
	ds_load_2addr_b64 v[134:137], v128 offset0:57 offset1:58
	v_pk_add_f32 v[104:105], v[104:105], v[138:139] neg_lo:[0,1] neg_hi:[0,1]
	s_wait_dscnt 0x0
	v_pk_mul_f32 v[138:139], v[134:135], v[126:127] op_sel:[0,1]
	v_pk_mul_f32 v[126:127], v[136:137], v[126:127] op_sel:[0,1]
	s_delay_alu instid0(VALU_DEP_2) | instskip(SKIP_1) | instid1(VALU_DEP_1)
	v_pk_fma_f32 v[140:141], v[134:135], v[124:125], v[138:139] op_sel:[0,0,1] op_sel_hi:[1,1,0] neg_lo:[0,0,1] neg_hi:[0,0,1]
	v_pk_fma_f32 v[134:135], v[134:135], v[124:125], v[138:139] op_sel:[0,0,1] op_sel_hi:[1,0,0]
	v_mov_b32_e32 v141, v135
	s_delay_alu instid0(VALU_DEP_4) | instskip(SKIP_1) | instid1(VALU_DEP_3)
	v_pk_fma_f32 v[134:135], v[136:137], v[124:125], v[126:127] op_sel:[0,0,1] op_sel_hi:[1,1,0] neg_lo:[0,0,1] neg_hi:[0,0,1]
	v_pk_fma_f32 v[124:125], v[136:137], v[124:125], v[126:127] op_sel:[0,0,1] op_sel_hi:[1,0,0]
	v_pk_add_f32 v[98:99], v[98:99], v[140:141] neg_lo:[0,1] neg_hi:[0,1]
	s_delay_alu instid0(VALU_DEP_2) | instskip(NEXT) | instid1(VALU_DEP_1)
	v_mov_b32_e32 v135, v125
	v_pk_add_f32 v[122:123], v[122:123], v[134:135] neg_lo:[0,1] neg_hi:[0,1]
.LBB116_776:
	s_or_b32 exec_lo, exec_lo, s0
	v_lshl_add_u32 v124, v132, 3, v128
	s_barrier_signal -1
	s_barrier_wait -1
	ds_store_b64 v124, v[86:87]
	s_wait_dscnt 0x0
	s_barrier_signal -1
	s_barrier_wait -1
	ds_load_b64 v[126:127], v128 offset:296
	v_mov_b32_e32 v124, 37
	s_cmp_lt_i32 s18, 39
	s_cbranch_scc1 .LBB116_779
; %bb.777:
	v_add3_u32 v125, v129, 0, 0x130
	v_mov_b32_e32 v124, 37
	s_mov_b32 s0, 38
.LBB116_778:                            ; =>This Inner Loop Header: Depth=1
	ds_load_b64 v[134:135], v125
	s_wait_dscnt 0x1
	v_cmp_gt_f32_e32 vcc_lo, 0, v126
	v_cndmask_b32_e64 v136, v126, -v126, vcc_lo
	v_cmp_gt_f32_e32 vcc_lo, 0, v127
	v_cndmask_b32_e64 v138, v127, -v127, vcc_lo
	s_wait_dscnt 0x0
	v_cmp_gt_f32_e32 vcc_lo, 0, v134
	v_cndmask_b32_e64 v137, v134, -v134, vcc_lo
	v_cmp_gt_f32_e32 vcc_lo, 0, v135
	v_cndmask_b32_e64 v139, v135, -v135, vcc_lo
	s_delay_alu instid0(VALU_DEP_1) | instskip(NEXT) | instid1(VALU_DEP_1)
	v_pk_add_f32 v[136:137], v[136:137], v[138:139]
	v_cmp_lt_f32_e32 vcc_lo, v136, v137
	v_dual_add_nc_u32 v125, 8, v125 :: v_dual_cndmask_b32 v127, v127, v135, vcc_lo
	v_cndmask_b32_e32 v126, v126, v134, vcc_lo
	v_cndmask_b32_e64 v124, v124, s0, vcc_lo
	s_add_co_i32 s0, s0, 1
	s_delay_alu instid0(SALU_CYCLE_1)
	s_cmp_lg_u32 s18, s0
	s_cbranch_scc1 .LBB116_778
.LBB116_779:
	s_wait_dscnt 0x0
	v_cmp_eq_f32_e32 vcc_lo, 0, v126
	v_cmp_eq_f32_e64 s0, 0, v127
	s_and_b32 s0, vcc_lo, s0
	s_delay_alu instid0(SALU_CYCLE_1) | instskip(NEXT) | instid1(SALU_CYCLE_1)
	s_and_saveexec_b32 s1, s0
	s_xor_b32 s0, exec_lo, s1
; %bb.780:
	v_cmp_ne_u32_e32 vcc_lo, 0, v130
	v_cndmask_b32_e32 v130, 38, v130, vcc_lo
; %bb.781:
	s_and_not1_saveexec_b32 s0, s0
	s_cbranch_execz .LBB116_787
; %bb.782:
	v_cmp_ngt_f32_e64 s1, |v126|, |v127|
	s_and_saveexec_b32 s12, s1
	s_delay_alu instid0(SALU_CYCLE_1)
	s_xor_b32 s1, exec_lo, s12
	s_cbranch_execz .LBB116_784
; %bb.783:
	v_div_scale_f32 v125, null, v127, v127, v126
	v_div_scale_f32 v135, vcc_lo, v126, v127, v126
	s_delay_alu instid0(VALU_DEP_2) | instskip(SKIP_1) | instid1(TRANS32_DEP_1)
	v_rcp_f32_e32 v133, v125
	v_nop
	v_fma_f32 v134, -v125, v133, 1.0
	s_delay_alu instid0(VALU_DEP_1) | instskip(NEXT) | instid1(VALU_DEP_1)
	v_fmac_f32_e32 v133, v134, v133
	v_mul_f32_e32 v134, v135, v133
	s_delay_alu instid0(VALU_DEP_1) | instskip(NEXT) | instid1(VALU_DEP_1)
	v_fma_f32 v136, -v125, v134, v135
	v_fmac_f32_e32 v134, v136, v133
	s_delay_alu instid0(VALU_DEP_1) | instskip(NEXT) | instid1(VALU_DEP_1)
	v_fma_f32 v125, -v125, v134, v135
	v_div_fmas_f32 v125, v125, v133, v134
	s_delay_alu instid0(VALU_DEP_1) | instskip(NEXT) | instid1(VALU_DEP_1)
	v_div_fixup_f32 v125, v125, v127, v126
	v_fmac_f32_e32 v127, v126, v125
	s_delay_alu instid0(VALU_DEP_1) | instskip(SKIP_1) | instid1(VALU_DEP_2)
	v_div_scale_f32 v126, null, v127, v127, 1.0
	v_div_scale_f32 v135, vcc_lo, 1.0, v127, 1.0
	v_rcp_f32_e32 v133, v126
	v_nop
	s_delay_alu instid0(TRANS32_DEP_1) | instskip(NEXT) | instid1(VALU_DEP_1)
	v_fma_f32 v134, -v126, v133, 1.0
	v_fmac_f32_e32 v133, v134, v133
	s_delay_alu instid0(VALU_DEP_1) | instskip(NEXT) | instid1(VALU_DEP_1)
	v_mul_f32_e32 v134, v135, v133
	v_fma_f32 v136, -v126, v134, v135
	s_delay_alu instid0(VALU_DEP_1) | instskip(NEXT) | instid1(VALU_DEP_1)
	v_fmac_f32_e32 v134, v136, v133
	v_fma_f32 v126, -v126, v134, v135
	s_delay_alu instid0(VALU_DEP_1) | instskip(NEXT) | instid1(VALU_DEP_1)
	v_div_fmas_f32 v126, v126, v133, v134
	v_div_fixup_f32 v127, v126, v127, 1.0
	s_delay_alu instid0(VALU_DEP_1)
	v_mul_f32_e32 v126, v125, v127
	v_xor_b32_e32 v127, 0x80000000, v127
.LBB116_784:
	s_and_not1_saveexec_b32 s1, s1
	s_cbranch_execz .LBB116_786
; %bb.785:
	s_delay_alu instid0(VALU_DEP_1) | instskip(SKIP_1) | instid1(VALU_DEP_2)
	v_div_scale_f32 v125, null, v126, v126, v127
	v_div_scale_f32 v135, vcc_lo, v127, v126, v127
	v_rcp_f32_e32 v133, v125
	v_nop
	s_delay_alu instid0(TRANS32_DEP_1) | instskip(NEXT) | instid1(VALU_DEP_1)
	v_fma_f32 v134, -v125, v133, 1.0
	v_fmac_f32_e32 v133, v134, v133
	s_delay_alu instid0(VALU_DEP_1) | instskip(NEXT) | instid1(VALU_DEP_1)
	v_mul_f32_e32 v134, v135, v133
	v_fma_f32 v136, -v125, v134, v135
	s_delay_alu instid0(VALU_DEP_1) | instskip(NEXT) | instid1(VALU_DEP_1)
	v_fmac_f32_e32 v134, v136, v133
	v_fma_f32 v125, -v125, v134, v135
	s_delay_alu instid0(VALU_DEP_1) | instskip(NEXT) | instid1(VALU_DEP_1)
	v_div_fmas_f32 v125, v125, v133, v134
	v_div_fixup_f32 v125, v125, v126, v127
	s_delay_alu instid0(VALU_DEP_1) | instskip(NEXT) | instid1(VALU_DEP_1)
	v_fmac_f32_e32 v126, v127, v125
	v_div_scale_f32 v127, null, v126, v126, 1.0
	s_delay_alu instid0(VALU_DEP_1) | instskip(SKIP_1) | instid1(TRANS32_DEP_1)
	v_rcp_f32_e32 v133, v127
	v_nop
	v_fma_f32 v134, -v127, v133, 1.0
	s_delay_alu instid0(VALU_DEP_1) | instskip(SKIP_1) | instid1(VALU_DEP_1)
	v_fmac_f32_e32 v133, v134, v133
	v_div_scale_f32 v134, vcc_lo, 1.0, v126, 1.0
	v_mul_f32_e32 v135, v134, v133
	s_delay_alu instid0(VALU_DEP_1) | instskip(NEXT) | instid1(VALU_DEP_1)
	v_fma_f32 v136, -v127, v135, v134
	v_fmac_f32_e32 v135, v136, v133
	s_delay_alu instid0(VALU_DEP_1) | instskip(NEXT) | instid1(VALU_DEP_1)
	v_fma_f32 v127, -v127, v135, v134
	v_div_fmas_f32 v127, v127, v133, v135
	s_delay_alu instid0(VALU_DEP_1) | instskip(NEXT) | instid1(VALU_DEP_1)
	v_div_fixup_f32 v126, v127, v126, 1.0
	v_mul_f32_e64 v127, v125, -v126
.LBB116_786:
	s_or_b32 exec_lo, exec_lo, s1
.LBB116_787:
	s_delay_alu instid0(SALU_CYCLE_1) | instskip(NEXT) | instid1(SALU_CYCLE_1)
	s_or_b32 exec_lo, exec_lo, s0
	s_mov_b32 s0, exec_lo
	v_cmpx_ne_u32_e64 v132, v124
	s_xor_b32 s0, exec_lo, s0
	s_cbranch_execz .LBB116_793
; %bb.788:
	s_mov_b32 s1, exec_lo
	v_cmpx_eq_u32_e32 37, v132
	s_cbranch_execz .LBB116_792
; %bb.789:
	v_cmp_ne_u32_e32 vcc_lo, 37, v124
	s_xor_b32 s12, s16, -1
	s_delay_alu instid0(SALU_CYCLE_1) | instskip(NEXT) | instid1(SALU_CYCLE_1)
	s_and_b32 s13, s12, vcc_lo
	s_and_saveexec_b32 s12, s13
	s_cbranch_execz .LBB116_791
; %bb.790:
	v_ashrrev_i32_e32 v125, 31, v124
	s_delay_alu instid0(VALU_DEP_1)
	v_lshl_add_u64 v[132:133], v[124:125], 2, v[4:5]
	s_clause 0x1
	global_load_b32 v125, v[132:133], off
	global_load_b32 v131, v[4:5], off offset:148
	s_wait_loadcnt 0x1
	global_store_b32 v[4:5], v125, off offset:148
	s_wait_loadcnt 0x0
	global_store_b32 v[132:133], v131, off
.LBB116_791:
	s_wait_xcnt 0x0
	s_or_b32 exec_lo, exec_lo, s12
	v_dual_mov_b32 v132, v124 :: v_dual_mov_b32 v131, v124
.LBB116_792:
	s_or_b32 exec_lo, exec_lo, s1
.LBB116_793:
	s_and_not1_saveexec_b32 s0, s0
	s_cbranch_execz .LBB116_795
; %bb.794:
	v_dual_mov_b32 v124, v64 :: v_dual_mov_b32 v125, v65
	v_dual_mov_b32 v132, v62 :: v_dual_mov_b32 v133, v63
	ds_store_2addr_b64 v128, v[124:125], v[132:133] offset0:38 offset1:39
	v_dual_mov_b32 v124, v102 :: v_dual_mov_b32 v125, v103
	v_dual_mov_b32 v132, v100 :: v_dual_mov_b32 v133, v101
	ds_store_2addr_b64 v128, v[124:125], v[132:133] offset0:40 offset1:41
	;; [unrolled: 3-line block ×10, first 2 shown]
	ds_store_b64 v128, v[122:123] offset:464
	v_mov_b32_e32 v132, 37
.LBB116_795:
	s_or_b32 exec_lo, exec_lo, s0
	s_delay_alu instid0(SALU_CYCLE_1)
	s_mov_b32 s0, exec_lo
	s_wait_storecnt_dscnt 0x0
	s_barrier_signal -1
	s_barrier_wait -1
	v_cmpx_lt_i32_e32 37, v132
	s_cbranch_execz .LBB116_797
; %bb.796:
	v_pk_mul_f32 v[134:135], v[126:127], v[86:87] op_sel:[1,1] op_sel_hi:[0,1]
	s_delay_alu instid0(VALU_DEP_1)
	v_pk_fma_f32 v[124:125], v[126:127], v[86:87], v[134:135] op_sel_hi:[1,0,1] neg_lo:[0,0,1] neg_hi:[0,0,1]
	v_pk_fma_f32 v[126:127], v[126:127], v[86:87], v[134:135] op_sel_hi:[1,0,1]
	ds_load_2addr_b64 v[134:137], v128 offset0:38 offset1:39
	v_dual_mov_b32 v86, v124 :: v_dual_mov_b32 v87, v127
	s_wait_dscnt 0x0
	v_pk_mul_f32 v[138:139], v[134:135], v[126:127] op_sel:[0,1]
	s_delay_alu instid0(VALU_DEP_1) | instskip(SKIP_1) | instid1(VALU_DEP_1)
	v_pk_fma_f32 v[140:141], v[134:135], v[124:125], v[138:139] op_sel:[0,0,1] op_sel_hi:[1,1,0] neg_lo:[0,0,1] neg_hi:[0,0,1]
	v_pk_fma_f32 v[134:135], v[134:135], v[124:125], v[138:139] op_sel:[0,0,1] op_sel_hi:[1,0,0]
	v_mov_b32_e32 v141, v135
	v_pk_mul_f32 v[134:135], v[136:137], v[126:127] op_sel:[0,1]
	s_delay_alu instid0(VALU_DEP_1) | instskip(SKIP_1) | instid1(VALU_DEP_1)
	v_pk_fma_f32 v[138:139], v[136:137], v[124:125], v[134:135] op_sel:[0,0,1] op_sel_hi:[1,1,0] neg_lo:[0,0,1] neg_hi:[0,0,1]
	v_pk_fma_f32 v[134:135], v[136:137], v[124:125], v[134:135] op_sel:[0,0,1] op_sel_hi:[1,0,0]
	v_mov_b32_e32 v139, v135
	ds_load_2addr_b64 v[134:137], v128 offset0:40 offset1:41
	v_pk_add_f32 v[64:65], v[64:65], v[140:141] neg_lo:[0,1] neg_hi:[0,1]
	v_pk_add_f32 v[62:63], v[62:63], v[138:139] neg_lo:[0,1] neg_hi:[0,1]
	s_wait_dscnt 0x0
	v_pk_mul_f32 v[138:139], v[134:135], v[126:127] op_sel:[0,1]
	s_delay_alu instid0(VALU_DEP_1) | instskip(SKIP_2) | instid1(VALU_DEP_2)
	v_pk_fma_f32 v[140:141], v[134:135], v[124:125], v[138:139] op_sel:[0,0,1] op_sel_hi:[1,1,0] neg_lo:[0,0,1] neg_hi:[0,0,1]
	v_pk_fma_f32 v[134:135], v[134:135], v[124:125], v[138:139] op_sel:[0,0,1] op_sel_hi:[1,0,0]
	v_dual_mul_f32 v138, v137, v127 :: v_dual_mov_b32 v134, v137
	v_dual_mov_b32 v141, v135 :: v_dual_mov_b32 v135, v136
	s_delay_alu instid0(VALU_DEP_2) | instskip(SKIP_1) | instid1(VALU_DEP_3)
	v_pk_fma_f32 v[138:139], v[136:137], v[86:87], v[138:139] op_sel_hi:[1,1,0] neg_lo:[0,0,1] neg_hi:[0,0,1]
	v_mul_f32_e32 v136, v137, v124
	v_pk_add_f32 v[102:103], v[102:103], v[140:141] neg_lo:[0,1] neg_hi:[0,1]
	s_delay_alu instid0(VALU_DEP_2) | instskip(NEXT) | instid1(VALU_DEP_1)
	v_pk_fma_f32 v[134:135], v[134:135], v[86:87], v[136:137] op_sel_hi:[1,1,0]
	v_mov_b32_e32 v139, v135
	ds_load_2addr_b64 v[134:137], v128 offset0:42 offset1:43
	v_pk_add_f32 v[100:101], v[100:101], v[138:139] neg_lo:[0,1] neg_hi:[0,1]
	s_wait_dscnt 0x0
	v_pk_mul_f32 v[138:139], v[134:135], v[126:127] op_sel:[0,1]
	s_delay_alu instid0(VALU_DEP_1) | instskip(SKIP_1) | instid1(VALU_DEP_1)
	v_pk_fma_f32 v[140:141], v[134:135], v[124:125], v[138:139] op_sel:[0,0,1] op_sel_hi:[1,1,0] neg_lo:[0,0,1] neg_hi:[0,0,1]
	v_pk_fma_f32 v[134:135], v[134:135], v[124:125], v[138:139] op_sel:[0,0,1] op_sel_hi:[1,0,0]
	v_mov_b32_e32 v141, v135
	v_pk_mul_f32 v[134:135], v[136:137], v[126:127] op_sel:[0,1]
	s_delay_alu instid0(VALU_DEP_1) | instskip(SKIP_1) | instid1(VALU_DEP_1)
	v_pk_fma_f32 v[138:139], v[136:137], v[124:125], v[134:135] op_sel:[0,0,1] op_sel_hi:[1,1,0] neg_lo:[0,0,1] neg_hi:[0,0,1]
	v_pk_fma_f32 v[134:135], v[136:137], v[124:125], v[134:135] op_sel:[0,0,1] op_sel_hi:[1,0,0]
	v_mov_b32_e32 v139, v135
	ds_load_2addr_b64 v[134:137], v128 offset0:44 offset1:45
	v_pk_add_f32 v[72:73], v[72:73], v[140:141] neg_lo:[0,1] neg_hi:[0,1]
	v_pk_add_f32 v[70:71], v[70:71], v[138:139] neg_lo:[0,1] neg_hi:[0,1]
	s_wait_dscnt 0x0
	v_pk_mul_f32 v[138:139], v[134:135], v[126:127] op_sel:[0,1]
	s_delay_alu instid0(VALU_DEP_1) | instskip(SKIP_1) | instid1(VALU_DEP_1)
	v_pk_fma_f32 v[140:141], v[134:135], v[124:125], v[138:139] op_sel:[0,0,1] op_sel_hi:[1,1,0] neg_lo:[0,0,1] neg_hi:[0,0,1]
	v_pk_fma_f32 v[134:135], v[134:135], v[124:125], v[138:139] op_sel:[0,0,1] op_sel_hi:[1,0,0]
	v_mov_b32_e32 v141, v135
	v_pk_mul_f32 v[134:135], v[136:137], v[126:127] op_sel:[0,1]
	s_delay_alu instid0(VALU_DEP_1) | instskip(SKIP_1) | instid1(VALU_DEP_1)
	v_pk_fma_f32 v[138:139], v[136:137], v[124:125], v[134:135] op_sel:[0,0,1] op_sel_hi:[1,1,0] neg_lo:[0,0,1] neg_hi:[0,0,1]
	v_pk_fma_f32 v[134:135], v[136:137], v[124:125], v[134:135] op_sel:[0,0,1] op_sel_hi:[1,0,0]
	v_mov_b32_e32 v139, v135
	ds_load_2addr_b64 v[134:137], v128 offset0:46 offset1:47
	v_pk_add_f32 v[110:111], v[110:111], v[140:141] neg_lo:[0,1] neg_hi:[0,1]
	v_pk_add_f32 v[108:109], v[108:109], v[138:139] neg_lo:[0,1] neg_hi:[0,1]
	s_wait_dscnt 0x0
	v_dual_mul_f32 v138, v135, v127 :: v_dual_mul_f32 v140, v135, v124
	s_delay_alu instid0(VALU_DEP_1) | instskip(NEXT) | instid1(VALU_DEP_2)
	v_pk_fma_f32 v[138:139], v[134:135], v[86:87], v[138:139] op_sel_hi:[1,1,0] neg_lo:[0,0,1] neg_hi:[0,0,1]
	v_pk_fma_f32 v[134:135], v[134:135], v[86:87], v[140:141] op_sel:[1,0,0] op_sel_hi:[0,1,0]
	s_delay_alu instid0(VALU_DEP_1) | instskip(SKIP_1) | instid1(VALU_DEP_2)
	v_mov_b32_e32 v139, v135
	v_pk_mul_f32 v[134:135], v[136:137], v[126:127] op_sel:[0,1]
	v_pk_add_f32 v[82:83], v[82:83], v[138:139] neg_lo:[0,1] neg_hi:[0,1]
	s_delay_alu instid0(VALU_DEP_2) | instskip(SKIP_1) | instid1(VALU_DEP_1)
	v_pk_fma_f32 v[138:139], v[136:137], v[124:125], v[134:135] op_sel:[0,0,1] op_sel_hi:[1,1,0] neg_lo:[0,0,1] neg_hi:[0,0,1]
	v_pk_fma_f32 v[134:135], v[136:137], v[124:125], v[134:135] op_sel:[0,0,1] op_sel_hi:[1,0,0]
	v_mov_b32_e32 v139, v135
	ds_load_2addr_b64 v[134:137], v128 offset0:48 offset1:49
	v_pk_add_f32 v[80:81], v[80:81], v[138:139] neg_lo:[0,1] neg_hi:[0,1]
	s_wait_dscnt 0x0
	v_pk_mul_f32 v[138:139], v[134:135], v[126:127] op_sel:[0,1]
	s_delay_alu instid0(VALU_DEP_1) | instskip(SKIP_1) | instid1(VALU_DEP_1)
	v_pk_fma_f32 v[140:141], v[134:135], v[124:125], v[138:139] op_sel:[0,0,1] op_sel_hi:[1,1,0] neg_lo:[0,0,1] neg_hi:[0,0,1]
	v_pk_fma_f32 v[134:135], v[134:135], v[124:125], v[138:139] op_sel:[0,0,1] op_sel_hi:[1,0,0]
	v_mov_b32_e32 v141, v135
	v_pk_mul_f32 v[134:135], v[136:137], v[126:127] op_sel:[0,1]
	s_delay_alu instid0(VALU_DEP_2) | instskip(NEXT) | instid1(VALU_DEP_2)
	v_pk_add_f32 v[120:121], v[120:121], v[140:141] neg_lo:[0,1] neg_hi:[0,1]
	v_pk_fma_f32 v[138:139], v[136:137], v[124:125], v[134:135] op_sel:[0,0,1] op_sel_hi:[1,1,0] neg_lo:[0,0,1] neg_hi:[0,0,1]
	v_pk_fma_f32 v[134:135], v[136:137], v[124:125], v[134:135] op_sel:[0,0,1] op_sel_hi:[1,0,0]
	s_delay_alu instid0(VALU_DEP_1) | instskip(SKIP_4) | instid1(VALU_DEP_1)
	v_mov_b32_e32 v139, v135
	ds_load_2addr_b64 v[134:137], v128 offset0:50 offset1:51
	v_pk_add_f32 v[118:119], v[118:119], v[138:139] neg_lo:[0,1] neg_hi:[0,1]
	s_wait_dscnt 0x0
	v_pk_mul_f32 v[138:139], v[134:135], v[126:127] op_sel:[0,1]
	v_pk_fma_f32 v[140:141], v[134:135], v[124:125], v[138:139] op_sel:[0,0,1] op_sel_hi:[1,1,0] neg_lo:[0,0,1] neg_hi:[0,0,1]
	v_pk_fma_f32 v[134:135], v[134:135], v[124:125], v[138:139] op_sel:[0,0,1] op_sel_hi:[1,0,0]
	v_dual_mul_f32 v138, v137, v127 :: v_dual_mov_b32 v134, v137
	s_delay_alu instid0(VALU_DEP_2) | instskip(NEXT) | instid1(VALU_DEP_2)
	v_dual_mov_b32 v141, v135 :: v_dual_mov_b32 v135, v136
	v_pk_fma_f32 v[138:139], v[136:137], v[86:87], v[138:139] op_sel_hi:[1,1,0] neg_lo:[0,0,1] neg_hi:[0,0,1]
	v_mul_f32_e32 v136, v137, v124
	s_delay_alu instid0(VALU_DEP_3) | instskip(NEXT) | instid1(VALU_DEP_2)
	v_pk_add_f32 v[94:95], v[94:95], v[140:141] neg_lo:[0,1] neg_hi:[0,1]
	v_pk_fma_f32 v[134:135], v[134:135], v[86:87], v[136:137] op_sel_hi:[1,1,0]
	s_delay_alu instid0(VALU_DEP_1) | instskip(SKIP_4) | instid1(VALU_DEP_1)
	v_mov_b32_e32 v139, v135
	ds_load_2addr_b64 v[134:137], v128 offset0:52 offset1:53
	v_pk_add_f32 v[96:97], v[96:97], v[138:139] neg_lo:[0,1] neg_hi:[0,1]
	s_wait_dscnt 0x0
	v_pk_mul_f32 v[138:139], v[134:135], v[126:127] op_sel:[0,1]
	v_pk_fma_f32 v[140:141], v[134:135], v[124:125], v[138:139] op_sel:[0,0,1] op_sel_hi:[1,1,0] neg_lo:[0,0,1] neg_hi:[0,0,1]
	v_pk_fma_f32 v[134:135], v[134:135], v[124:125], v[138:139] op_sel:[0,0,1] op_sel_hi:[1,0,0]
	s_delay_alu instid0(VALU_DEP_1) | instskip(SKIP_1) | instid1(VALU_DEP_1)
	v_mov_b32_e32 v141, v135
	v_pk_mul_f32 v[134:135], v[136:137], v[126:127] op_sel:[0,1]
	v_pk_fma_f32 v[138:139], v[136:137], v[124:125], v[134:135] op_sel:[0,0,1] op_sel_hi:[1,1,0] neg_lo:[0,0,1] neg_hi:[0,0,1]
	v_pk_fma_f32 v[134:135], v[136:137], v[124:125], v[134:135] op_sel:[0,0,1] op_sel_hi:[1,0,0]
	s_delay_alu instid0(VALU_DEP_1)
	v_mov_b32_e32 v139, v135
	ds_load_2addr_b64 v[134:137], v128 offset0:54 offset1:55
	v_pk_add_f32 v[114:115], v[114:115], v[140:141] neg_lo:[0,1] neg_hi:[0,1]
	v_pk_add_f32 v[112:113], v[112:113], v[138:139] neg_lo:[0,1] neg_hi:[0,1]
	s_wait_dscnt 0x0
	v_pk_mul_f32 v[138:139], v[134:135], v[126:127] op_sel:[0,1]
	s_delay_alu instid0(VALU_DEP_1) | instskip(SKIP_1) | instid1(VALU_DEP_1)
	v_pk_fma_f32 v[140:141], v[134:135], v[124:125], v[138:139] op_sel:[0,0,1] op_sel_hi:[1,1,0] neg_lo:[0,0,1] neg_hi:[0,0,1]
	v_pk_fma_f32 v[134:135], v[134:135], v[124:125], v[138:139] op_sel:[0,0,1] op_sel_hi:[1,0,0]
	v_mov_b32_e32 v141, v135
	v_pk_mul_f32 v[134:135], v[136:137], v[126:127] op_sel:[0,1]
	s_delay_alu instid0(VALU_DEP_1) | instskip(SKIP_1) | instid1(VALU_DEP_1)
	v_pk_fma_f32 v[138:139], v[136:137], v[124:125], v[134:135] op_sel:[0,0,1] op_sel_hi:[1,1,0] neg_lo:[0,0,1] neg_hi:[0,0,1]
	v_pk_fma_f32 v[134:135], v[136:137], v[124:125], v[134:135] op_sel:[0,0,1] op_sel_hi:[1,0,0]
	v_mov_b32_e32 v139, v135
	ds_load_2addr_b64 v[134:137], v128 offset0:56 offset1:57
	v_pk_add_f32 v[92:93], v[92:93], v[140:141] neg_lo:[0,1] neg_hi:[0,1]
	v_pk_add_f32 v[90:91], v[90:91], v[138:139] neg_lo:[0,1] neg_hi:[0,1]
	s_wait_dscnt 0x0
	v_dual_mul_f32 v138, v135, v127 :: v_dual_mul_f32 v140, v135, v124
	s_delay_alu instid0(VALU_DEP_1) | instskip(NEXT) | instid1(VALU_DEP_2)
	v_pk_fma_f32 v[138:139], v[134:135], v[86:87], v[138:139] op_sel_hi:[1,1,0] neg_lo:[0,0,1] neg_hi:[0,0,1]
	v_pk_fma_f32 v[134:135], v[134:135], v[86:87], v[140:141] op_sel:[1,0,0] op_sel_hi:[0,1,0]
	s_delay_alu instid0(VALU_DEP_1) | instskip(SKIP_1) | instid1(VALU_DEP_2)
	v_mov_b32_e32 v139, v135
	v_pk_mul_f32 v[134:135], v[136:137], v[126:127] op_sel:[0,1]
	v_pk_add_f32 v[104:105], v[104:105], v[138:139] neg_lo:[0,1] neg_hi:[0,1]
	s_delay_alu instid0(VALU_DEP_2) | instskip(SKIP_1) | instid1(VALU_DEP_1)
	v_pk_fma_f32 v[138:139], v[136:137], v[124:125], v[134:135] op_sel:[0,0,1] op_sel_hi:[1,1,0] neg_lo:[0,0,1] neg_hi:[0,0,1]
	v_pk_fma_f32 v[134:135], v[136:137], v[124:125], v[134:135] op_sel:[0,0,1] op_sel_hi:[1,0,0]
	v_mov_b32_e32 v139, v135
	ds_load_b64 v[134:135], v128 offset:464
	v_pk_add_f32 v[98:99], v[98:99], v[138:139] neg_lo:[0,1] neg_hi:[0,1]
	s_wait_dscnt 0x0
	v_pk_mul_f32 v[126:127], v[134:135], v[126:127] op_sel:[0,1]
	s_delay_alu instid0(VALU_DEP_1) | instskip(SKIP_1) | instid1(VALU_DEP_1)
	v_pk_fma_f32 v[136:137], v[134:135], v[124:125], v[126:127] op_sel:[0,0,1] op_sel_hi:[1,1,0] neg_lo:[0,0,1] neg_hi:[0,0,1]
	v_pk_fma_f32 v[124:125], v[134:135], v[124:125], v[126:127] op_sel:[0,0,1] op_sel_hi:[1,0,0]
	v_mov_b32_e32 v137, v125
	s_delay_alu instid0(VALU_DEP_1)
	v_pk_add_f32 v[122:123], v[122:123], v[136:137] neg_lo:[0,1] neg_hi:[0,1]
.LBB116_797:
	s_or_b32 exec_lo, exec_lo, s0
	v_lshl_add_u32 v124, v132, 3, v128
	s_barrier_signal -1
	s_barrier_wait -1
	ds_store_b64 v124, v[64:65]
	s_wait_dscnt 0x0
	s_barrier_signal -1
	s_barrier_wait -1
	ds_load_b64 v[126:127], v128 offset:304
	v_mov_b32_e32 v124, 38
	s_cmp_lt_i32 s18, 40
	s_cbranch_scc1 .LBB116_800
; %bb.798:
	v_add3_u32 v125, v129, 0, 0x138
	v_mov_b32_e32 v124, 38
	s_mov_b32 s0, 39
.LBB116_799:                            ; =>This Inner Loop Header: Depth=1
	ds_load_b64 v[134:135], v125
	s_wait_dscnt 0x1
	v_cmp_gt_f32_e32 vcc_lo, 0, v126
	v_cndmask_b32_e64 v136, v126, -v126, vcc_lo
	v_cmp_gt_f32_e32 vcc_lo, 0, v127
	v_cndmask_b32_e64 v138, v127, -v127, vcc_lo
	s_wait_dscnt 0x0
	v_cmp_gt_f32_e32 vcc_lo, 0, v134
	v_cndmask_b32_e64 v137, v134, -v134, vcc_lo
	v_cmp_gt_f32_e32 vcc_lo, 0, v135
	v_cndmask_b32_e64 v139, v135, -v135, vcc_lo
	s_delay_alu instid0(VALU_DEP_1) | instskip(NEXT) | instid1(VALU_DEP_1)
	v_pk_add_f32 v[136:137], v[136:137], v[138:139]
	v_cmp_lt_f32_e32 vcc_lo, v136, v137
	v_dual_add_nc_u32 v125, 8, v125 :: v_dual_cndmask_b32 v127, v127, v135, vcc_lo
	v_cndmask_b32_e32 v126, v126, v134, vcc_lo
	v_cndmask_b32_e64 v124, v124, s0, vcc_lo
	s_add_co_i32 s0, s0, 1
	s_delay_alu instid0(SALU_CYCLE_1)
	s_cmp_lg_u32 s18, s0
	s_cbranch_scc1 .LBB116_799
.LBB116_800:
	s_wait_dscnt 0x0
	v_cmp_eq_f32_e32 vcc_lo, 0, v126
	v_cmp_eq_f32_e64 s0, 0, v127
	s_and_b32 s0, vcc_lo, s0
	s_delay_alu instid0(SALU_CYCLE_1) | instskip(NEXT) | instid1(SALU_CYCLE_1)
	s_and_saveexec_b32 s1, s0
	s_xor_b32 s0, exec_lo, s1
; %bb.801:
	v_cmp_ne_u32_e32 vcc_lo, 0, v130
	v_cndmask_b32_e32 v130, 39, v130, vcc_lo
; %bb.802:
	s_and_not1_saveexec_b32 s0, s0
	s_cbranch_execz .LBB116_808
; %bb.803:
	v_cmp_ngt_f32_e64 s1, |v126|, |v127|
	s_and_saveexec_b32 s12, s1
	s_delay_alu instid0(SALU_CYCLE_1)
	s_xor_b32 s1, exec_lo, s12
	s_cbranch_execz .LBB116_805
; %bb.804:
	v_div_scale_f32 v125, null, v127, v127, v126
	v_div_scale_f32 v135, vcc_lo, v126, v127, v126
	s_delay_alu instid0(VALU_DEP_2) | instskip(SKIP_1) | instid1(TRANS32_DEP_1)
	v_rcp_f32_e32 v133, v125
	v_nop
	v_fma_f32 v134, -v125, v133, 1.0
	s_delay_alu instid0(VALU_DEP_1) | instskip(NEXT) | instid1(VALU_DEP_1)
	v_fmac_f32_e32 v133, v134, v133
	v_mul_f32_e32 v134, v135, v133
	s_delay_alu instid0(VALU_DEP_1) | instskip(NEXT) | instid1(VALU_DEP_1)
	v_fma_f32 v136, -v125, v134, v135
	v_fmac_f32_e32 v134, v136, v133
	s_delay_alu instid0(VALU_DEP_1) | instskip(NEXT) | instid1(VALU_DEP_1)
	v_fma_f32 v125, -v125, v134, v135
	v_div_fmas_f32 v125, v125, v133, v134
	s_delay_alu instid0(VALU_DEP_1) | instskip(NEXT) | instid1(VALU_DEP_1)
	v_div_fixup_f32 v125, v125, v127, v126
	v_fmac_f32_e32 v127, v126, v125
	s_delay_alu instid0(VALU_DEP_1) | instskip(SKIP_1) | instid1(VALU_DEP_2)
	v_div_scale_f32 v126, null, v127, v127, 1.0
	v_div_scale_f32 v135, vcc_lo, 1.0, v127, 1.0
	v_rcp_f32_e32 v133, v126
	v_nop
	s_delay_alu instid0(TRANS32_DEP_1) | instskip(NEXT) | instid1(VALU_DEP_1)
	v_fma_f32 v134, -v126, v133, 1.0
	v_fmac_f32_e32 v133, v134, v133
	s_delay_alu instid0(VALU_DEP_1) | instskip(NEXT) | instid1(VALU_DEP_1)
	v_mul_f32_e32 v134, v135, v133
	v_fma_f32 v136, -v126, v134, v135
	s_delay_alu instid0(VALU_DEP_1) | instskip(NEXT) | instid1(VALU_DEP_1)
	v_fmac_f32_e32 v134, v136, v133
	v_fma_f32 v126, -v126, v134, v135
	s_delay_alu instid0(VALU_DEP_1) | instskip(NEXT) | instid1(VALU_DEP_1)
	v_div_fmas_f32 v126, v126, v133, v134
	v_div_fixup_f32 v127, v126, v127, 1.0
	s_delay_alu instid0(VALU_DEP_1)
	v_mul_f32_e32 v126, v125, v127
	v_xor_b32_e32 v127, 0x80000000, v127
.LBB116_805:
	s_and_not1_saveexec_b32 s1, s1
	s_cbranch_execz .LBB116_807
; %bb.806:
	s_delay_alu instid0(VALU_DEP_1) | instskip(SKIP_1) | instid1(VALU_DEP_2)
	v_div_scale_f32 v125, null, v126, v126, v127
	v_div_scale_f32 v135, vcc_lo, v127, v126, v127
	v_rcp_f32_e32 v133, v125
	v_nop
	s_delay_alu instid0(TRANS32_DEP_1) | instskip(NEXT) | instid1(VALU_DEP_1)
	v_fma_f32 v134, -v125, v133, 1.0
	v_fmac_f32_e32 v133, v134, v133
	s_delay_alu instid0(VALU_DEP_1) | instskip(NEXT) | instid1(VALU_DEP_1)
	v_mul_f32_e32 v134, v135, v133
	v_fma_f32 v136, -v125, v134, v135
	s_delay_alu instid0(VALU_DEP_1) | instskip(NEXT) | instid1(VALU_DEP_1)
	v_fmac_f32_e32 v134, v136, v133
	v_fma_f32 v125, -v125, v134, v135
	s_delay_alu instid0(VALU_DEP_1) | instskip(NEXT) | instid1(VALU_DEP_1)
	v_div_fmas_f32 v125, v125, v133, v134
	v_div_fixup_f32 v125, v125, v126, v127
	s_delay_alu instid0(VALU_DEP_1) | instskip(NEXT) | instid1(VALU_DEP_1)
	v_fmac_f32_e32 v126, v127, v125
	v_div_scale_f32 v127, null, v126, v126, 1.0
	s_delay_alu instid0(VALU_DEP_1) | instskip(SKIP_1) | instid1(TRANS32_DEP_1)
	v_rcp_f32_e32 v133, v127
	v_nop
	v_fma_f32 v134, -v127, v133, 1.0
	s_delay_alu instid0(VALU_DEP_1) | instskip(SKIP_1) | instid1(VALU_DEP_1)
	v_fmac_f32_e32 v133, v134, v133
	v_div_scale_f32 v134, vcc_lo, 1.0, v126, 1.0
	v_mul_f32_e32 v135, v134, v133
	s_delay_alu instid0(VALU_DEP_1) | instskip(NEXT) | instid1(VALU_DEP_1)
	v_fma_f32 v136, -v127, v135, v134
	v_fmac_f32_e32 v135, v136, v133
	s_delay_alu instid0(VALU_DEP_1) | instskip(NEXT) | instid1(VALU_DEP_1)
	v_fma_f32 v127, -v127, v135, v134
	v_div_fmas_f32 v127, v127, v133, v135
	s_delay_alu instid0(VALU_DEP_1) | instskip(NEXT) | instid1(VALU_DEP_1)
	v_div_fixup_f32 v126, v127, v126, 1.0
	v_mul_f32_e64 v127, v125, -v126
.LBB116_807:
	s_or_b32 exec_lo, exec_lo, s1
.LBB116_808:
	s_delay_alu instid0(SALU_CYCLE_1) | instskip(NEXT) | instid1(SALU_CYCLE_1)
	s_or_b32 exec_lo, exec_lo, s0
	s_mov_b32 s0, exec_lo
	v_cmpx_ne_u32_e64 v132, v124
	s_xor_b32 s0, exec_lo, s0
	s_cbranch_execz .LBB116_814
; %bb.809:
	s_mov_b32 s1, exec_lo
	v_cmpx_eq_u32_e32 38, v132
	s_cbranch_execz .LBB116_813
; %bb.810:
	v_cmp_ne_u32_e32 vcc_lo, 38, v124
	s_xor_b32 s12, s16, -1
	s_delay_alu instid0(SALU_CYCLE_1) | instskip(NEXT) | instid1(SALU_CYCLE_1)
	s_and_b32 s13, s12, vcc_lo
	s_and_saveexec_b32 s12, s13
	s_cbranch_execz .LBB116_812
; %bb.811:
	v_ashrrev_i32_e32 v125, 31, v124
	s_delay_alu instid0(VALU_DEP_1)
	v_lshl_add_u64 v[132:133], v[124:125], 2, v[4:5]
	s_clause 0x1
	global_load_b32 v125, v[132:133], off
	global_load_b32 v131, v[4:5], off offset:152
	s_wait_loadcnt 0x1
	global_store_b32 v[4:5], v125, off offset:152
	s_wait_loadcnt 0x0
	global_store_b32 v[132:133], v131, off
.LBB116_812:
	s_wait_xcnt 0x0
	s_or_b32 exec_lo, exec_lo, s12
	v_dual_mov_b32 v132, v124 :: v_dual_mov_b32 v131, v124
.LBB116_813:
	s_or_b32 exec_lo, exec_lo, s1
.LBB116_814:
	s_and_not1_saveexec_b32 s0, s0
	s_cbranch_execz .LBB116_816
; %bb.815:
	v_mov_b32_e32 v132, 38
	ds_store_2addr_b64 v128, v[62:63], v[102:103] offset0:39 offset1:40
	ds_store_2addr_b64 v128, v[100:101], v[72:73] offset0:41 offset1:42
	;; [unrolled: 1-line block ×10, first 2 shown]
.LBB116_816:
	s_or_b32 exec_lo, exec_lo, s0
	s_delay_alu instid0(SALU_CYCLE_1)
	s_mov_b32 s0, exec_lo
	s_wait_storecnt_dscnt 0x0
	s_barrier_signal -1
	s_barrier_wait -1
	v_cmpx_lt_i32_e32 38, v132
	s_cbranch_execz .LBB116_818
; %bb.817:
	v_pk_mul_f32 v[134:135], v[126:127], v[64:65] op_sel:[1,1] op_sel_hi:[0,1]
	s_delay_alu instid0(VALU_DEP_1)
	v_pk_fma_f32 v[124:125], v[126:127], v[64:65], v[134:135] op_sel_hi:[1,0,1] neg_lo:[0,0,1] neg_hi:[0,0,1]
	v_pk_fma_f32 v[126:127], v[126:127], v[64:65], v[134:135] op_sel_hi:[1,0,1]
	ds_load_2addr_b64 v[134:137], v128 offset0:39 offset1:40
	v_dual_mov_b32 v64, v124 :: v_dual_mov_b32 v65, v127
	s_wait_dscnt 0x0
	v_pk_mul_f32 v[138:139], v[134:135], v[126:127] op_sel:[0,1]
	s_delay_alu instid0(VALU_DEP_1) | instskip(SKIP_1) | instid1(VALU_DEP_1)
	v_pk_fma_f32 v[140:141], v[134:135], v[124:125], v[138:139] op_sel:[0,0,1] op_sel_hi:[1,1,0] neg_lo:[0,0,1] neg_hi:[0,0,1]
	v_pk_fma_f32 v[134:135], v[134:135], v[124:125], v[138:139] op_sel:[0,0,1] op_sel_hi:[1,0,0]
	v_mov_b32_e32 v141, v135
	v_pk_mul_f32 v[134:135], v[136:137], v[126:127] op_sel:[0,1]
	s_delay_alu instid0(VALU_DEP_1) | instskip(SKIP_1) | instid1(VALU_DEP_1)
	v_pk_fma_f32 v[138:139], v[136:137], v[124:125], v[134:135] op_sel:[0,0,1] op_sel_hi:[1,1,0] neg_lo:[0,0,1] neg_hi:[0,0,1]
	v_pk_fma_f32 v[134:135], v[136:137], v[124:125], v[134:135] op_sel:[0,0,1] op_sel_hi:[1,0,0]
	v_mov_b32_e32 v139, v135
	ds_load_2addr_b64 v[134:137], v128 offset0:41 offset1:42
	v_pk_add_f32 v[62:63], v[62:63], v[140:141] neg_lo:[0,1] neg_hi:[0,1]
	v_pk_add_f32 v[102:103], v[102:103], v[138:139] neg_lo:[0,1] neg_hi:[0,1]
	s_wait_dscnt 0x0
	v_pk_mul_f32 v[138:139], v[134:135], v[126:127] op_sel:[0,1]
	s_delay_alu instid0(VALU_DEP_1) | instskip(SKIP_2) | instid1(VALU_DEP_2)
	v_pk_fma_f32 v[140:141], v[134:135], v[124:125], v[138:139] op_sel:[0,0,1] op_sel_hi:[1,1,0] neg_lo:[0,0,1] neg_hi:[0,0,1]
	v_pk_fma_f32 v[134:135], v[134:135], v[124:125], v[138:139] op_sel:[0,0,1] op_sel_hi:[1,0,0]
	v_dual_mul_f32 v138, v137, v127 :: v_dual_mov_b32 v134, v137
	v_dual_mov_b32 v141, v135 :: v_dual_mov_b32 v135, v136
	s_delay_alu instid0(VALU_DEP_2) | instskip(SKIP_1) | instid1(VALU_DEP_3)
	v_pk_fma_f32 v[138:139], v[136:137], v[64:65], v[138:139] op_sel_hi:[1,1,0] neg_lo:[0,0,1] neg_hi:[0,0,1]
	v_mul_f32_e32 v136, v137, v124
	v_pk_add_f32 v[100:101], v[100:101], v[140:141] neg_lo:[0,1] neg_hi:[0,1]
	s_delay_alu instid0(VALU_DEP_2) | instskip(NEXT) | instid1(VALU_DEP_1)
	v_pk_fma_f32 v[134:135], v[134:135], v[64:65], v[136:137] op_sel_hi:[1,1,0]
	v_mov_b32_e32 v139, v135
	ds_load_2addr_b64 v[134:137], v128 offset0:43 offset1:44
	v_pk_add_f32 v[72:73], v[72:73], v[138:139] neg_lo:[0,1] neg_hi:[0,1]
	s_wait_dscnt 0x0
	v_pk_mul_f32 v[138:139], v[134:135], v[126:127] op_sel:[0,1]
	s_delay_alu instid0(VALU_DEP_1) | instskip(SKIP_1) | instid1(VALU_DEP_1)
	v_pk_fma_f32 v[140:141], v[134:135], v[124:125], v[138:139] op_sel:[0,0,1] op_sel_hi:[1,1,0] neg_lo:[0,0,1] neg_hi:[0,0,1]
	v_pk_fma_f32 v[134:135], v[134:135], v[124:125], v[138:139] op_sel:[0,0,1] op_sel_hi:[1,0,0]
	v_mov_b32_e32 v141, v135
	v_pk_mul_f32 v[134:135], v[136:137], v[126:127] op_sel:[0,1]
	s_delay_alu instid0(VALU_DEP_1) | instskip(SKIP_1) | instid1(VALU_DEP_1)
	v_pk_fma_f32 v[138:139], v[136:137], v[124:125], v[134:135] op_sel:[0,0,1] op_sel_hi:[1,1,0] neg_lo:[0,0,1] neg_hi:[0,0,1]
	v_pk_fma_f32 v[134:135], v[136:137], v[124:125], v[134:135] op_sel:[0,0,1] op_sel_hi:[1,0,0]
	v_mov_b32_e32 v139, v135
	ds_load_2addr_b64 v[134:137], v128 offset0:45 offset1:46
	v_pk_add_f32 v[70:71], v[70:71], v[140:141] neg_lo:[0,1] neg_hi:[0,1]
	v_pk_add_f32 v[110:111], v[110:111], v[138:139] neg_lo:[0,1] neg_hi:[0,1]
	s_wait_dscnt 0x0
	v_pk_mul_f32 v[138:139], v[134:135], v[126:127] op_sel:[0,1]
	s_delay_alu instid0(VALU_DEP_1) | instskip(SKIP_1) | instid1(VALU_DEP_1)
	v_pk_fma_f32 v[140:141], v[134:135], v[124:125], v[138:139] op_sel:[0,0,1] op_sel_hi:[1,1,0] neg_lo:[0,0,1] neg_hi:[0,0,1]
	v_pk_fma_f32 v[134:135], v[134:135], v[124:125], v[138:139] op_sel:[0,0,1] op_sel_hi:[1,0,0]
	v_mov_b32_e32 v141, v135
	v_pk_mul_f32 v[134:135], v[136:137], v[126:127] op_sel:[0,1]
	s_delay_alu instid0(VALU_DEP_1) | instskip(SKIP_1) | instid1(VALU_DEP_1)
	v_pk_fma_f32 v[138:139], v[136:137], v[124:125], v[134:135] op_sel:[0,0,1] op_sel_hi:[1,1,0] neg_lo:[0,0,1] neg_hi:[0,0,1]
	v_pk_fma_f32 v[134:135], v[136:137], v[124:125], v[134:135] op_sel:[0,0,1] op_sel_hi:[1,0,0]
	v_mov_b32_e32 v139, v135
	ds_load_2addr_b64 v[134:137], v128 offset0:47 offset1:48
	v_pk_add_f32 v[108:109], v[108:109], v[140:141] neg_lo:[0,1] neg_hi:[0,1]
	v_pk_add_f32 v[82:83], v[82:83], v[138:139] neg_lo:[0,1] neg_hi:[0,1]
	s_wait_dscnt 0x0
	v_dual_mul_f32 v138, v135, v127 :: v_dual_mul_f32 v140, v135, v124
	s_delay_alu instid0(VALU_DEP_1) | instskip(NEXT) | instid1(VALU_DEP_2)
	v_pk_fma_f32 v[138:139], v[134:135], v[64:65], v[138:139] op_sel_hi:[1,1,0] neg_lo:[0,0,1] neg_hi:[0,0,1]
	v_pk_fma_f32 v[134:135], v[134:135], v[64:65], v[140:141] op_sel:[1,0,0] op_sel_hi:[0,1,0]
	s_delay_alu instid0(VALU_DEP_1) | instskip(SKIP_1) | instid1(VALU_DEP_2)
	v_mov_b32_e32 v139, v135
	v_pk_mul_f32 v[134:135], v[136:137], v[126:127] op_sel:[0,1]
	v_pk_add_f32 v[80:81], v[80:81], v[138:139] neg_lo:[0,1] neg_hi:[0,1]
	s_delay_alu instid0(VALU_DEP_2) | instskip(SKIP_1) | instid1(VALU_DEP_1)
	v_pk_fma_f32 v[138:139], v[136:137], v[124:125], v[134:135] op_sel:[0,0,1] op_sel_hi:[1,1,0] neg_lo:[0,0,1] neg_hi:[0,0,1]
	v_pk_fma_f32 v[134:135], v[136:137], v[124:125], v[134:135] op_sel:[0,0,1] op_sel_hi:[1,0,0]
	v_mov_b32_e32 v139, v135
	ds_load_2addr_b64 v[134:137], v128 offset0:49 offset1:50
	v_pk_add_f32 v[120:121], v[120:121], v[138:139] neg_lo:[0,1] neg_hi:[0,1]
	s_wait_dscnt 0x0
	v_pk_mul_f32 v[138:139], v[134:135], v[126:127] op_sel:[0,1]
	s_delay_alu instid0(VALU_DEP_1) | instskip(SKIP_1) | instid1(VALU_DEP_1)
	v_pk_fma_f32 v[140:141], v[134:135], v[124:125], v[138:139] op_sel:[0,0,1] op_sel_hi:[1,1,0] neg_lo:[0,0,1] neg_hi:[0,0,1]
	v_pk_fma_f32 v[134:135], v[134:135], v[124:125], v[138:139] op_sel:[0,0,1] op_sel_hi:[1,0,0]
	v_mov_b32_e32 v141, v135
	v_pk_mul_f32 v[134:135], v[136:137], v[126:127] op_sel:[0,1]
	s_delay_alu instid0(VALU_DEP_2) | instskip(NEXT) | instid1(VALU_DEP_2)
	v_pk_add_f32 v[118:119], v[118:119], v[140:141] neg_lo:[0,1] neg_hi:[0,1]
	v_pk_fma_f32 v[138:139], v[136:137], v[124:125], v[134:135] op_sel:[0,0,1] op_sel_hi:[1,1,0] neg_lo:[0,0,1] neg_hi:[0,0,1]
	v_pk_fma_f32 v[134:135], v[136:137], v[124:125], v[134:135] op_sel:[0,0,1] op_sel_hi:[1,0,0]
	s_delay_alu instid0(VALU_DEP_1) | instskip(SKIP_4) | instid1(VALU_DEP_1)
	v_mov_b32_e32 v139, v135
	ds_load_2addr_b64 v[134:137], v128 offset0:51 offset1:52
	v_pk_add_f32 v[94:95], v[94:95], v[138:139] neg_lo:[0,1] neg_hi:[0,1]
	s_wait_dscnt 0x0
	v_pk_mul_f32 v[138:139], v[134:135], v[126:127] op_sel:[0,1]
	v_pk_fma_f32 v[140:141], v[134:135], v[124:125], v[138:139] op_sel:[0,0,1] op_sel_hi:[1,1,0] neg_lo:[0,0,1] neg_hi:[0,0,1]
	v_pk_fma_f32 v[134:135], v[134:135], v[124:125], v[138:139] op_sel:[0,0,1] op_sel_hi:[1,0,0]
	v_dual_mul_f32 v138, v137, v127 :: v_dual_mov_b32 v134, v137
	s_delay_alu instid0(VALU_DEP_2) | instskip(NEXT) | instid1(VALU_DEP_2)
	v_dual_mov_b32 v141, v135 :: v_dual_mov_b32 v135, v136
	v_pk_fma_f32 v[138:139], v[136:137], v[64:65], v[138:139] op_sel_hi:[1,1,0] neg_lo:[0,0,1] neg_hi:[0,0,1]
	v_mul_f32_e32 v136, v137, v124
	s_delay_alu instid0(VALU_DEP_3) | instskip(NEXT) | instid1(VALU_DEP_2)
	v_pk_add_f32 v[96:97], v[96:97], v[140:141] neg_lo:[0,1] neg_hi:[0,1]
	v_pk_fma_f32 v[134:135], v[134:135], v[64:65], v[136:137] op_sel_hi:[1,1,0]
	s_delay_alu instid0(VALU_DEP_1) | instskip(SKIP_4) | instid1(VALU_DEP_1)
	v_mov_b32_e32 v139, v135
	ds_load_2addr_b64 v[134:137], v128 offset0:53 offset1:54
	v_pk_add_f32 v[114:115], v[114:115], v[138:139] neg_lo:[0,1] neg_hi:[0,1]
	s_wait_dscnt 0x0
	v_pk_mul_f32 v[138:139], v[134:135], v[126:127] op_sel:[0,1]
	v_pk_fma_f32 v[140:141], v[134:135], v[124:125], v[138:139] op_sel:[0,0,1] op_sel_hi:[1,1,0] neg_lo:[0,0,1] neg_hi:[0,0,1]
	v_pk_fma_f32 v[134:135], v[134:135], v[124:125], v[138:139] op_sel:[0,0,1] op_sel_hi:[1,0,0]
	s_delay_alu instid0(VALU_DEP_1) | instskip(SKIP_1) | instid1(VALU_DEP_1)
	v_mov_b32_e32 v141, v135
	v_pk_mul_f32 v[134:135], v[136:137], v[126:127] op_sel:[0,1]
	v_pk_fma_f32 v[138:139], v[136:137], v[124:125], v[134:135] op_sel:[0,0,1] op_sel_hi:[1,1,0] neg_lo:[0,0,1] neg_hi:[0,0,1]
	v_pk_fma_f32 v[134:135], v[136:137], v[124:125], v[134:135] op_sel:[0,0,1] op_sel_hi:[1,0,0]
	s_delay_alu instid0(VALU_DEP_1)
	v_mov_b32_e32 v139, v135
	ds_load_2addr_b64 v[134:137], v128 offset0:55 offset1:56
	v_pk_add_f32 v[112:113], v[112:113], v[140:141] neg_lo:[0,1] neg_hi:[0,1]
	v_pk_add_f32 v[92:93], v[92:93], v[138:139] neg_lo:[0,1] neg_hi:[0,1]
	s_wait_dscnt 0x0
	v_pk_mul_f32 v[138:139], v[134:135], v[126:127] op_sel:[0,1]
	s_delay_alu instid0(VALU_DEP_1) | instskip(SKIP_1) | instid1(VALU_DEP_1)
	v_pk_fma_f32 v[140:141], v[134:135], v[124:125], v[138:139] op_sel:[0,0,1] op_sel_hi:[1,1,0] neg_lo:[0,0,1] neg_hi:[0,0,1]
	v_pk_fma_f32 v[134:135], v[134:135], v[124:125], v[138:139] op_sel:[0,0,1] op_sel_hi:[1,0,0]
	v_mov_b32_e32 v141, v135
	v_pk_mul_f32 v[134:135], v[136:137], v[126:127] op_sel:[0,1]
	s_delay_alu instid0(VALU_DEP_1) | instskip(SKIP_1) | instid1(VALU_DEP_1)
	v_pk_fma_f32 v[138:139], v[136:137], v[124:125], v[134:135] op_sel:[0,0,1] op_sel_hi:[1,1,0] neg_lo:[0,0,1] neg_hi:[0,0,1]
	v_pk_fma_f32 v[134:135], v[136:137], v[124:125], v[134:135] op_sel:[0,0,1] op_sel_hi:[1,0,0]
	v_mov_b32_e32 v139, v135
	ds_load_2addr_b64 v[134:137], v128 offset0:57 offset1:58
	v_pk_add_f32 v[90:91], v[90:91], v[140:141] neg_lo:[0,1] neg_hi:[0,1]
	v_pk_add_f32 v[104:105], v[104:105], v[138:139] neg_lo:[0,1] neg_hi:[0,1]
	s_wait_dscnt 0x0
	v_dual_mul_f32 v138, v135, v127 :: v_dual_mul_f32 v140, v135, v124
	v_pk_mul_f32 v[126:127], v[136:137], v[126:127] op_sel:[0,1]
	s_delay_alu instid0(VALU_DEP_2) | instskip(NEXT) | instid1(VALU_DEP_3)
	v_pk_fma_f32 v[138:139], v[134:135], v[64:65], v[138:139] op_sel_hi:[1,1,0] neg_lo:[0,0,1] neg_hi:[0,0,1]
	v_pk_fma_f32 v[134:135], v[134:135], v[64:65], v[140:141] op_sel:[1,0,0] op_sel_hi:[0,1,0]
	s_delay_alu instid0(VALU_DEP_1) | instskip(NEXT) | instid1(VALU_DEP_4)
	v_mov_b32_e32 v139, v135
	v_pk_fma_f32 v[134:135], v[136:137], v[124:125], v[126:127] op_sel:[0,0,1] op_sel_hi:[1,1,0] neg_lo:[0,0,1] neg_hi:[0,0,1]
	v_pk_fma_f32 v[124:125], v[136:137], v[124:125], v[126:127] op_sel:[0,0,1] op_sel_hi:[1,0,0]
	s_delay_alu instid0(VALU_DEP_1) | instskip(NEXT) | instid1(VALU_DEP_4)
	v_mov_b32_e32 v135, v125
	v_pk_add_f32 v[98:99], v[98:99], v[138:139] neg_lo:[0,1] neg_hi:[0,1]
	s_delay_alu instid0(VALU_DEP_2)
	v_pk_add_f32 v[122:123], v[122:123], v[134:135] neg_lo:[0,1] neg_hi:[0,1]
.LBB116_818:
	s_or_b32 exec_lo, exec_lo, s0
	v_lshl_add_u32 v124, v132, 3, v128
	s_barrier_signal -1
	s_barrier_wait -1
	ds_store_b64 v124, v[62:63]
	s_wait_dscnt 0x0
	s_barrier_signal -1
	s_barrier_wait -1
	ds_load_b64 v[124:125], v128 offset:312
	v_mov_b32_e32 v126, 39
	s_cmp_lt_i32 s18, 41
	s_cbranch_scc1 .LBB116_821
; %bb.819:
	v_add3_u32 v127, v129, 0, 0x140
	v_mov_b32_e32 v126, 39
	s_mov_b32 s0, 40
.LBB116_820:                            ; =>This Inner Loop Header: Depth=1
	ds_load_b64 v[134:135], v127
	s_wait_dscnt 0x1
	v_cmp_gt_f32_e32 vcc_lo, 0, v124
	v_cndmask_b32_e64 v136, v124, -v124, vcc_lo
	v_cmp_gt_f32_e32 vcc_lo, 0, v125
	v_cndmask_b32_e64 v138, v125, -v125, vcc_lo
	s_wait_dscnt 0x0
	v_cmp_gt_f32_e32 vcc_lo, 0, v134
	v_cndmask_b32_e64 v137, v134, -v134, vcc_lo
	v_cmp_gt_f32_e32 vcc_lo, 0, v135
	v_cndmask_b32_e64 v139, v135, -v135, vcc_lo
	s_delay_alu instid0(VALU_DEP_1) | instskip(NEXT) | instid1(VALU_DEP_1)
	v_pk_add_f32 v[136:137], v[136:137], v[138:139]
	v_cmp_lt_f32_e32 vcc_lo, v136, v137
	v_dual_cndmask_b32 v124, v124, v134 :: v_dual_add_nc_u32 v127, 8, v127
	v_cndmask_b32_e32 v125, v125, v135, vcc_lo
	v_cndmask_b32_e64 v126, v126, s0, vcc_lo
	s_add_co_i32 s0, s0, 1
	s_delay_alu instid0(SALU_CYCLE_1)
	s_cmp_lg_u32 s18, s0
	s_cbranch_scc1 .LBB116_820
.LBB116_821:
	s_wait_dscnt 0x0
	v_cmp_eq_f32_e32 vcc_lo, 0, v124
	v_cmp_eq_f32_e64 s0, 0, v125
	s_and_b32 s0, vcc_lo, s0
	s_delay_alu instid0(SALU_CYCLE_1) | instskip(NEXT) | instid1(SALU_CYCLE_1)
	s_and_saveexec_b32 s1, s0
	s_xor_b32 s0, exec_lo, s1
; %bb.822:
	v_cmp_ne_u32_e32 vcc_lo, 0, v130
	v_cndmask_b32_e32 v130, 40, v130, vcc_lo
; %bb.823:
	s_and_not1_saveexec_b32 s0, s0
	s_cbranch_execz .LBB116_829
; %bb.824:
	v_cmp_ngt_f32_e64 s1, |v124|, |v125|
	s_and_saveexec_b32 s12, s1
	s_delay_alu instid0(SALU_CYCLE_1)
	s_xor_b32 s1, exec_lo, s12
	s_cbranch_execz .LBB116_826
; %bb.825:
	v_div_scale_f32 v127, null, v125, v125, v124
	v_div_scale_f32 v135, vcc_lo, v124, v125, v124
	s_delay_alu instid0(VALU_DEP_2) | instskip(SKIP_1) | instid1(TRANS32_DEP_1)
	v_rcp_f32_e32 v133, v127
	v_nop
	v_fma_f32 v134, -v127, v133, 1.0
	s_delay_alu instid0(VALU_DEP_1) | instskip(NEXT) | instid1(VALU_DEP_1)
	v_fmac_f32_e32 v133, v134, v133
	v_mul_f32_e32 v134, v135, v133
	s_delay_alu instid0(VALU_DEP_1) | instskip(NEXT) | instid1(VALU_DEP_1)
	v_fma_f32 v136, -v127, v134, v135
	v_fmac_f32_e32 v134, v136, v133
	s_delay_alu instid0(VALU_DEP_1) | instskip(NEXT) | instid1(VALU_DEP_1)
	v_fma_f32 v127, -v127, v134, v135
	v_div_fmas_f32 v127, v127, v133, v134
	s_delay_alu instid0(VALU_DEP_1) | instskip(NEXT) | instid1(VALU_DEP_1)
	v_div_fixup_f32 v127, v127, v125, v124
	v_fmac_f32_e32 v125, v124, v127
	s_delay_alu instid0(VALU_DEP_1) | instskip(SKIP_1) | instid1(VALU_DEP_2)
	v_div_scale_f32 v124, null, v125, v125, 1.0
	v_div_scale_f32 v135, vcc_lo, 1.0, v125, 1.0
	v_rcp_f32_e32 v133, v124
	v_nop
	s_delay_alu instid0(TRANS32_DEP_1) | instskip(NEXT) | instid1(VALU_DEP_1)
	v_fma_f32 v134, -v124, v133, 1.0
	v_fmac_f32_e32 v133, v134, v133
	s_delay_alu instid0(VALU_DEP_1) | instskip(NEXT) | instid1(VALU_DEP_1)
	v_mul_f32_e32 v134, v135, v133
	v_fma_f32 v136, -v124, v134, v135
	s_delay_alu instid0(VALU_DEP_1) | instskip(NEXT) | instid1(VALU_DEP_1)
	v_fmac_f32_e32 v134, v136, v133
	v_fma_f32 v124, -v124, v134, v135
	s_delay_alu instid0(VALU_DEP_1) | instskip(NEXT) | instid1(VALU_DEP_1)
	v_div_fmas_f32 v124, v124, v133, v134
	v_div_fixup_f32 v125, v124, v125, 1.0
	s_delay_alu instid0(VALU_DEP_1)
	v_mul_f32_e32 v124, v127, v125
	v_xor_b32_e32 v125, 0x80000000, v125
.LBB116_826:
	s_and_not1_saveexec_b32 s1, s1
	s_cbranch_execz .LBB116_828
; %bb.827:
	s_delay_alu instid0(VALU_DEP_1) | instskip(SKIP_1) | instid1(VALU_DEP_2)
	v_div_scale_f32 v127, null, v124, v124, v125
	v_div_scale_f32 v135, vcc_lo, v125, v124, v125
	v_rcp_f32_e32 v133, v127
	v_nop
	s_delay_alu instid0(TRANS32_DEP_1) | instskip(NEXT) | instid1(VALU_DEP_1)
	v_fma_f32 v134, -v127, v133, 1.0
	v_fmac_f32_e32 v133, v134, v133
	s_delay_alu instid0(VALU_DEP_1) | instskip(NEXT) | instid1(VALU_DEP_1)
	v_mul_f32_e32 v134, v135, v133
	v_fma_f32 v136, -v127, v134, v135
	s_delay_alu instid0(VALU_DEP_1) | instskip(NEXT) | instid1(VALU_DEP_1)
	v_fmac_f32_e32 v134, v136, v133
	v_fma_f32 v127, -v127, v134, v135
	s_delay_alu instid0(VALU_DEP_1) | instskip(NEXT) | instid1(VALU_DEP_1)
	v_div_fmas_f32 v127, v127, v133, v134
	v_div_fixup_f32 v127, v127, v124, v125
	s_delay_alu instid0(VALU_DEP_1) | instskip(NEXT) | instid1(VALU_DEP_1)
	v_fmac_f32_e32 v124, v125, v127
	v_div_scale_f32 v125, null, v124, v124, 1.0
	s_delay_alu instid0(VALU_DEP_1) | instskip(SKIP_1) | instid1(TRANS32_DEP_1)
	v_rcp_f32_e32 v133, v125
	v_nop
	v_fma_f32 v134, -v125, v133, 1.0
	s_delay_alu instid0(VALU_DEP_1) | instskip(SKIP_1) | instid1(VALU_DEP_1)
	v_fmac_f32_e32 v133, v134, v133
	v_div_scale_f32 v134, vcc_lo, 1.0, v124, 1.0
	v_mul_f32_e32 v135, v134, v133
	s_delay_alu instid0(VALU_DEP_1) | instskip(NEXT) | instid1(VALU_DEP_1)
	v_fma_f32 v136, -v125, v135, v134
	v_fmac_f32_e32 v135, v136, v133
	s_delay_alu instid0(VALU_DEP_1) | instskip(NEXT) | instid1(VALU_DEP_1)
	v_fma_f32 v125, -v125, v135, v134
	v_div_fmas_f32 v125, v125, v133, v135
	s_delay_alu instid0(VALU_DEP_1) | instskip(NEXT) | instid1(VALU_DEP_1)
	v_div_fixup_f32 v124, v125, v124, 1.0
	v_mul_f32_e64 v125, v127, -v124
.LBB116_828:
	s_or_b32 exec_lo, exec_lo, s1
.LBB116_829:
	s_delay_alu instid0(SALU_CYCLE_1) | instskip(NEXT) | instid1(SALU_CYCLE_1)
	s_or_b32 exec_lo, exec_lo, s0
	s_mov_b32 s0, exec_lo
	v_cmpx_ne_u32_e64 v132, v126
	s_xor_b32 s0, exec_lo, s0
	s_cbranch_execz .LBB116_835
; %bb.830:
	s_mov_b32 s1, exec_lo
	v_cmpx_eq_u32_e32 39, v132
	s_cbranch_execz .LBB116_834
; %bb.831:
	v_cmp_ne_u32_e32 vcc_lo, 39, v126
	s_xor_b32 s12, s16, -1
	s_delay_alu instid0(SALU_CYCLE_1) | instskip(NEXT) | instid1(SALU_CYCLE_1)
	s_and_b32 s13, s12, vcc_lo
	s_and_saveexec_b32 s12, s13
	s_cbranch_execz .LBB116_833
; %bb.832:
	v_ashrrev_i32_e32 v127, 31, v126
	s_delay_alu instid0(VALU_DEP_1)
	v_lshl_add_u64 v[132:133], v[126:127], 2, v[4:5]
	s_clause 0x1
	global_load_b32 v127, v[132:133], off
	global_load_b32 v131, v[4:5], off offset:156
	s_wait_loadcnt 0x1
	global_store_b32 v[4:5], v127, off offset:156
	s_wait_loadcnt 0x0
	global_store_b32 v[132:133], v131, off
.LBB116_833:
	s_wait_xcnt 0x0
	s_or_b32 exec_lo, exec_lo, s12
	v_dual_mov_b32 v132, v126 :: v_dual_mov_b32 v131, v126
.LBB116_834:
	s_or_b32 exec_lo, exec_lo, s1
.LBB116_835:
	s_and_not1_saveexec_b32 s0, s0
	s_cbranch_execz .LBB116_837
; %bb.836:
	v_dual_mov_b32 v126, v102 :: v_dual_mov_b32 v127, v103
	v_dual_mov_b32 v132, v100 :: v_dual_mov_b32 v133, v101
	ds_store_2addr_b64 v128, v[126:127], v[132:133] offset0:40 offset1:41
	v_dual_mov_b32 v126, v72 :: v_dual_mov_b32 v127, v73
	v_dual_mov_b32 v132, v70 :: v_dual_mov_b32 v133, v71
	ds_store_2addr_b64 v128, v[126:127], v[132:133] offset0:42 offset1:43
	;; [unrolled: 3-line block ×9, first 2 shown]
	ds_store_b64 v128, v[122:123] offset:464
	v_mov_b32_e32 v132, 39
.LBB116_837:
	s_or_b32 exec_lo, exec_lo, s0
	s_delay_alu instid0(SALU_CYCLE_1)
	s_mov_b32 s0, exec_lo
	s_wait_storecnt_dscnt 0x0
	s_barrier_signal -1
	s_barrier_wait -1
	v_cmpx_lt_i32_e32 39, v132
	s_cbranch_execz .LBB116_839
; %bb.838:
	v_pk_mul_f32 v[134:135], v[124:125], v[62:63] op_sel:[1,1] op_sel_hi:[0,1]
	s_delay_alu instid0(VALU_DEP_1)
	v_pk_fma_f32 v[126:127], v[124:125], v[62:63], v[134:135] op_sel_hi:[1,0,1] neg_lo:[0,0,1] neg_hi:[0,0,1]
	v_pk_fma_f32 v[124:125], v[124:125], v[62:63], v[134:135] op_sel_hi:[1,0,1]
	ds_load_2addr_b64 v[134:137], v128 offset0:40 offset1:41
	v_dual_mov_b32 v62, v126 :: v_dual_mov_b32 v63, v125
	s_wait_dscnt 0x0
	v_pk_mul_f32 v[138:139], v[134:135], v[124:125] op_sel:[0,1]
	s_delay_alu instid0(VALU_DEP_1) | instskip(SKIP_1) | instid1(VALU_DEP_1)
	v_pk_fma_f32 v[140:141], v[134:135], v[126:127], v[138:139] op_sel:[0,0,1] op_sel_hi:[1,1,0] neg_lo:[0,0,1] neg_hi:[0,0,1]
	v_pk_fma_f32 v[134:135], v[134:135], v[126:127], v[138:139] op_sel:[0,0,1] op_sel_hi:[1,0,0]
	v_mov_b32_e32 v141, v135
	v_pk_mul_f32 v[134:135], v[136:137], v[124:125] op_sel:[0,1]
	s_delay_alu instid0(VALU_DEP_1) | instskip(SKIP_1) | instid1(VALU_DEP_1)
	v_pk_fma_f32 v[138:139], v[136:137], v[126:127], v[134:135] op_sel:[0,0,1] op_sel_hi:[1,1,0] neg_lo:[0,0,1] neg_hi:[0,0,1]
	v_pk_fma_f32 v[134:135], v[136:137], v[126:127], v[134:135] op_sel:[0,0,1] op_sel_hi:[1,0,0]
	v_mov_b32_e32 v139, v135
	ds_load_2addr_b64 v[134:137], v128 offset0:42 offset1:43
	v_pk_add_f32 v[102:103], v[102:103], v[140:141] neg_lo:[0,1] neg_hi:[0,1]
	v_pk_add_f32 v[100:101], v[100:101], v[138:139] neg_lo:[0,1] neg_hi:[0,1]
	s_wait_dscnt 0x0
	v_pk_mul_f32 v[138:139], v[134:135], v[124:125] op_sel:[0,1]
	s_delay_alu instid0(VALU_DEP_1) | instskip(SKIP_2) | instid1(VALU_DEP_2)
	v_pk_fma_f32 v[140:141], v[134:135], v[126:127], v[138:139] op_sel:[0,0,1] op_sel_hi:[1,1,0] neg_lo:[0,0,1] neg_hi:[0,0,1]
	v_pk_fma_f32 v[134:135], v[134:135], v[126:127], v[138:139] op_sel:[0,0,1] op_sel_hi:[1,0,0]
	v_dual_mul_f32 v138, v137, v125 :: v_dual_mov_b32 v134, v137
	v_dual_mov_b32 v141, v135 :: v_dual_mov_b32 v135, v136
	s_delay_alu instid0(VALU_DEP_2) | instskip(SKIP_1) | instid1(VALU_DEP_3)
	v_pk_fma_f32 v[138:139], v[136:137], v[62:63], v[138:139] op_sel_hi:[1,1,0] neg_lo:[0,0,1] neg_hi:[0,0,1]
	v_mul_f32_e32 v136, v137, v126
	v_pk_add_f32 v[72:73], v[72:73], v[140:141] neg_lo:[0,1] neg_hi:[0,1]
	s_delay_alu instid0(VALU_DEP_2) | instskip(NEXT) | instid1(VALU_DEP_1)
	v_pk_fma_f32 v[134:135], v[134:135], v[62:63], v[136:137] op_sel_hi:[1,1,0]
	v_mov_b32_e32 v139, v135
	ds_load_2addr_b64 v[134:137], v128 offset0:44 offset1:45
	v_pk_add_f32 v[70:71], v[70:71], v[138:139] neg_lo:[0,1] neg_hi:[0,1]
	s_wait_dscnt 0x0
	v_pk_mul_f32 v[138:139], v[134:135], v[124:125] op_sel:[0,1]
	s_delay_alu instid0(VALU_DEP_1) | instskip(SKIP_1) | instid1(VALU_DEP_1)
	v_pk_fma_f32 v[140:141], v[134:135], v[126:127], v[138:139] op_sel:[0,0,1] op_sel_hi:[1,1,0] neg_lo:[0,0,1] neg_hi:[0,0,1]
	v_pk_fma_f32 v[134:135], v[134:135], v[126:127], v[138:139] op_sel:[0,0,1] op_sel_hi:[1,0,0]
	v_mov_b32_e32 v141, v135
	v_pk_mul_f32 v[134:135], v[136:137], v[124:125] op_sel:[0,1]
	s_delay_alu instid0(VALU_DEP_1) | instskip(SKIP_1) | instid1(VALU_DEP_1)
	v_pk_fma_f32 v[138:139], v[136:137], v[126:127], v[134:135] op_sel:[0,0,1] op_sel_hi:[1,1,0] neg_lo:[0,0,1] neg_hi:[0,0,1]
	v_pk_fma_f32 v[134:135], v[136:137], v[126:127], v[134:135] op_sel:[0,0,1] op_sel_hi:[1,0,0]
	v_mov_b32_e32 v139, v135
	ds_load_2addr_b64 v[134:137], v128 offset0:46 offset1:47
	v_pk_add_f32 v[110:111], v[110:111], v[140:141] neg_lo:[0,1] neg_hi:[0,1]
	v_pk_add_f32 v[108:109], v[108:109], v[138:139] neg_lo:[0,1] neg_hi:[0,1]
	s_wait_dscnt 0x0
	v_pk_mul_f32 v[138:139], v[134:135], v[124:125] op_sel:[0,1]
	s_delay_alu instid0(VALU_DEP_1) | instskip(SKIP_1) | instid1(VALU_DEP_1)
	v_pk_fma_f32 v[140:141], v[134:135], v[126:127], v[138:139] op_sel:[0,0,1] op_sel_hi:[1,1,0] neg_lo:[0,0,1] neg_hi:[0,0,1]
	v_pk_fma_f32 v[134:135], v[134:135], v[126:127], v[138:139] op_sel:[0,0,1] op_sel_hi:[1,0,0]
	v_mov_b32_e32 v141, v135
	v_pk_mul_f32 v[134:135], v[136:137], v[124:125] op_sel:[0,1]
	s_delay_alu instid0(VALU_DEP_1) | instskip(SKIP_1) | instid1(VALU_DEP_1)
	v_pk_fma_f32 v[138:139], v[136:137], v[126:127], v[134:135] op_sel:[0,0,1] op_sel_hi:[1,1,0] neg_lo:[0,0,1] neg_hi:[0,0,1]
	v_pk_fma_f32 v[134:135], v[136:137], v[126:127], v[134:135] op_sel:[0,0,1] op_sel_hi:[1,0,0]
	v_mov_b32_e32 v139, v135
	ds_load_2addr_b64 v[134:137], v128 offset0:48 offset1:49
	v_pk_add_f32 v[82:83], v[82:83], v[140:141] neg_lo:[0,1] neg_hi:[0,1]
	v_pk_add_f32 v[80:81], v[80:81], v[138:139] neg_lo:[0,1] neg_hi:[0,1]
	s_wait_dscnt 0x0
	v_dual_mul_f32 v138, v135, v125 :: v_dual_mul_f32 v140, v135, v126
	s_delay_alu instid0(VALU_DEP_1) | instskip(NEXT) | instid1(VALU_DEP_2)
	v_pk_fma_f32 v[138:139], v[134:135], v[62:63], v[138:139] op_sel_hi:[1,1,0] neg_lo:[0,0,1] neg_hi:[0,0,1]
	v_pk_fma_f32 v[134:135], v[134:135], v[62:63], v[140:141] op_sel:[1,0,0] op_sel_hi:[0,1,0]
	s_delay_alu instid0(VALU_DEP_1) | instskip(SKIP_1) | instid1(VALU_DEP_2)
	v_mov_b32_e32 v139, v135
	v_pk_mul_f32 v[134:135], v[136:137], v[124:125] op_sel:[0,1]
	v_pk_add_f32 v[120:121], v[120:121], v[138:139] neg_lo:[0,1] neg_hi:[0,1]
	s_delay_alu instid0(VALU_DEP_2) | instskip(SKIP_1) | instid1(VALU_DEP_1)
	v_pk_fma_f32 v[138:139], v[136:137], v[126:127], v[134:135] op_sel:[0,0,1] op_sel_hi:[1,1,0] neg_lo:[0,0,1] neg_hi:[0,0,1]
	v_pk_fma_f32 v[134:135], v[136:137], v[126:127], v[134:135] op_sel:[0,0,1] op_sel_hi:[1,0,0]
	v_mov_b32_e32 v139, v135
	ds_load_2addr_b64 v[134:137], v128 offset0:50 offset1:51
	v_pk_add_f32 v[118:119], v[118:119], v[138:139] neg_lo:[0,1] neg_hi:[0,1]
	s_wait_dscnt 0x0
	v_pk_mul_f32 v[138:139], v[134:135], v[124:125] op_sel:[0,1]
	s_delay_alu instid0(VALU_DEP_1) | instskip(SKIP_1) | instid1(VALU_DEP_1)
	v_pk_fma_f32 v[140:141], v[134:135], v[126:127], v[138:139] op_sel:[0,0,1] op_sel_hi:[1,1,0] neg_lo:[0,0,1] neg_hi:[0,0,1]
	v_pk_fma_f32 v[134:135], v[134:135], v[126:127], v[138:139] op_sel:[0,0,1] op_sel_hi:[1,0,0]
	v_mov_b32_e32 v141, v135
	v_pk_mul_f32 v[134:135], v[136:137], v[124:125] op_sel:[0,1]
	s_delay_alu instid0(VALU_DEP_2) | instskip(NEXT) | instid1(VALU_DEP_2)
	v_pk_add_f32 v[94:95], v[94:95], v[140:141] neg_lo:[0,1] neg_hi:[0,1]
	v_pk_fma_f32 v[138:139], v[136:137], v[126:127], v[134:135] op_sel:[0,0,1] op_sel_hi:[1,1,0] neg_lo:[0,0,1] neg_hi:[0,0,1]
	v_pk_fma_f32 v[134:135], v[136:137], v[126:127], v[134:135] op_sel:[0,0,1] op_sel_hi:[1,0,0]
	s_delay_alu instid0(VALU_DEP_1) | instskip(SKIP_4) | instid1(VALU_DEP_1)
	v_mov_b32_e32 v139, v135
	ds_load_2addr_b64 v[134:137], v128 offset0:52 offset1:53
	v_pk_add_f32 v[96:97], v[96:97], v[138:139] neg_lo:[0,1] neg_hi:[0,1]
	s_wait_dscnt 0x0
	v_pk_mul_f32 v[138:139], v[134:135], v[124:125] op_sel:[0,1]
	v_pk_fma_f32 v[140:141], v[134:135], v[126:127], v[138:139] op_sel:[0,0,1] op_sel_hi:[1,1,0] neg_lo:[0,0,1] neg_hi:[0,0,1]
	v_pk_fma_f32 v[134:135], v[134:135], v[126:127], v[138:139] op_sel:[0,0,1] op_sel_hi:[1,0,0]
	v_dual_mul_f32 v138, v137, v125 :: v_dual_mov_b32 v134, v137
	s_delay_alu instid0(VALU_DEP_2) | instskip(NEXT) | instid1(VALU_DEP_2)
	v_dual_mov_b32 v141, v135 :: v_dual_mov_b32 v135, v136
	v_pk_fma_f32 v[138:139], v[136:137], v[62:63], v[138:139] op_sel_hi:[1,1,0] neg_lo:[0,0,1] neg_hi:[0,0,1]
	v_mul_f32_e32 v136, v137, v126
	s_delay_alu instid0(VALU_DEP_3) | instskip(NEXT) | instid1(VALU_DEP_2)
	v_pk_add_f32 v[114:115], v[114:115], v[140:141] neg_lo:[0,1] neg_hi:[0,1]
	v_pk_fma_f32 v[134:135], v[134:135], v[62:63], v[136:137] op_sel_hi:[1,1,0]
	s_delay_alu instid0(VALU_DEP_1) | instskip(SKIP_4) | instid1(VALU_DEP_1)
	v_mov_b32_e32 v139, v135
	ds_load_2addr_b64 v[134:137], v128 offset0:54 offset1:55
	v_pk_add_f32 v[112:113], v[112:113], v[138:139] neg_lo:[0,1] neg_hi:[0,1]
	s_wait_dscnt 0x0
	v_pk_mul_f32 v[138:139], v[134:135], v[124:125] op_sel:[0,1]
	v_pk_fma_f32 v[140:141], v[134:135], v[126:127], v[138:139] op_sel:[0,0,1] op_sel_hi:[1,1,0] neg_lo:[0,0,1] neg_hi:[0,0,1]
	v_pk_fma_f32 v[134:135], v[134:135], v[126:127], v[138:139] op_sel:[0,0,1] op_sel_hi:[1,0,0]
	s_delay_alu instid0(VALU_DEP_1) | instskip(SKIP_1) | instid1(VALU_DEP_1)
	v_mov_b32_e32 v141, v135
	v_pk_mul_f32 v[134:135], v[136:137], v[124:125] op_sel:[0,1]
	v_pk_fma_f32 v[138:139], v[136:137], v[126:127], v[134:135] op_sel:[0,0,1] op_sel_hi:[1,1,0] neg_lo:[0,0,1] neg_hi:[0,0,1]
	v_pk_fma_f32 v[134:135], v[136:137], v[126:127], v[134:135] op_sel:[0,0,1] op_sel_hi:[1,0,0]
	s_delay_alu instid0(VALU_DEP_1)
	v_mov_b32_e32 v139, v135
	ds_load_2addr_b64 v[134:137], v128 offset0:56 offset1:57
	v_pk_add_f32 v[92:93], v[92:93], v[140:141] neg_lo:[0,1] neg_hi:[0,1]
	v_pk_add_f32 v[90:91], v[90:91], v[138:139] neg_lo:[0,1] neg_hi:[0,1]
	s_wait_dscnt 0x0
	v_pk_mul_f32 v[138:139], v[134:135], v[124:125] op_sel:[0,1]
	s_delay_alu instid0(VALU_DEP_1) | instskip(SKIP_1) | instid1(VALU_DEP_1)
	v_pk_fma_f32 v[140:141], v[134:135], v[126:127], v[138:139] op_sel:[0,0,1] op_sel_hi:[1,1,0] neg_lo:[0,0,1] neg_hi:[0,0,1]
	v_pk_fma_f32 v[134:135], v[134:135], v[126:127], v[138:139] op_sel:[0,0,1] op_sel_hi:[1,0,0]
	v_mov_b32_e32 v141, v135
	v_pk_mul_f32 v[134:135], v[136:137], v[124:125] op_sel:[0,1]
	s_delay_alu instid0(VALU_DEP_1) | instskip(SKIP_1) | instid1(VALU_DEP_1)
	v_pk_fma_f32 v[138:139], v[136:137], v[126:127], v[134:135] op_sel:[0,0,1] op_sel_hi:[1,1,0] neg_lo:[0,0,1] neg_hi:[0,0,1]
	v_pk_fma_f32 v[134:135], v[136:137], v[126:127], v[134:135] op_sel:[0,0,1] op_sel_hi:[1,0,0]
	v_mov_b32_e32 v139, v135
	ds_load_b64 v[134:135], v128 offset:464
	v_pk_add_f32 v[104:105], v[104:105], v[140:141] neg_lo:[0,1] neg_hi:[0,1]
	v_pk_add_f32 v[98:99], v[98:99], v[138:139] neg_lo:[0,1] neg_hi:[0,1]
	s_wait_dscnt 0x0
	v_pk_mul_f32 v[124:125], v[134:135], v[124:125] op_sel:[0,1]
	s_delay_alu instid0(VALU_DEP_1) | instskip(SKIP_1) | instid1(VALU_DEP_1)
	v_pk_fma_f32 v[136:137], v[134:135], v[126:127], v[124:125] op_sel:[0,0,1] op_sel_hi:[1,1,0] neg_lo:[0,0,1] neg_hi:[0,0,1]
	v_pk_fma_f32 v[124:125], v[134:135], v[126:127], v[124:125] op_sel:[0,0,1] op_sel_hi:[1,0,0]
	v_mov_b32_e32 v137, v125
	s_delay_alu instid0(VALU_DEP_1)
	v_pk_add_f32 v[122:123], v[122:123], v[136:137] neg_lo:[0,1] neg_hi:[0,1]
.LBB116_839:
	s_or_b32 exec_lo, exec_lo, s0
	v_lshl_add_u32 v124, v132, 3, v128
	s_barrier_signal -1
	s_barrier_wait -1
	ds_store_b64 v124, v[102:103]
	s_wait_dscnt 0x0
	s_barrier_signal -1
	s_barrier_wait -1
	ds_load_b64 v[124:125], v128 offset:320
	v_mov_b32_e32 v126, 40
	s_cmp_lt_i32 s18, 42
	s_cbranch_scc1 .LBB116_842
; %bb.840:
	v_add3_u32 v127, v129, 0, 0x148
	v_mov_b32_e32 v126, 40
	s_mov_b32 s0, 41
.LBB116_841:                            ; =>This Inner Loop Header: Depth=1
	ds_load_b64 v[134:135], v127
	s_wait_dscnt 0x1
	v_cmp_gt_f32_e32 vcc_lo, 0, v124
	v_cndmask_b32_e64 v136, v124, -v124, vcc_lo
	v_cmp_gt_f32_e32 vcc_lo, 0, v125
	v_cndmask_b32_e64 v138, v125, -v125, vcc_lo
	s_wait_dscnt 0x0
	v_cmp_gt_f32_e32 vcc_lo, 0, v134
	v_cndmask_b32_e64 v137, v134, -v134, vcc_lo
	v_cmp_gt_f32_e32 vcc_lo, 0, v135
	v_cndmask_b32_e64 v139, v135, -v135, vcc_lo
	s_delay_alu instid0(VALU_DEP_1) | instskip(NEXT) | instid1(VALU_DEP_1)
	v_pk_add_f32 v[136:137], v[136:137], v[138:139]
	v_cmp_lt_f32_e32 vcc_lo, v136, v137
	v_dual_cndmask_b32 v124, v124, v134 :: v_dual_add_nc_u32 v127, 8, v127
	v_cndmask_b32_e32 v125, v125, v135, vcc_lo
	v_cndmask_b32_e64 v126, v126, s0, vcc_lo
	s_add_co_i32 s0, s0, 1
	s_delay_alu instid0(SALU_CYCLE_1)
	s_cmp_lg_u32 s18, s0
	s_cbranch_scc1 .LBB116_841
.LBB116_842:
	s_wait_dscnt 0x0
	v_cmp_eq_f32_e32 vcc_lo, 0, v124
	v_cmp_eq_f32_e64 s0, 0, v125
	s_and_b32 s0, vcc_lo, s0
	s_delay_alu instid0(SALU_CYCLE_1) | instskip(NEXT) | instid1(SALU_CYCLE_1)
	s_and_saveexec_b32 s1, s0
	s_xor_b32 s0, exec_lo, s1
; %bb.843:
	v_cmp_ne_u32_e32 vcc_lo, 0, v130
	v_cndmask_b32_e32 v130, 41, v130, vcc_lo
; %bb.844:
	s_and_not1_saveexec_b32 s0, s0
	s_cbranch_execz .LBB116_850
; %bb.845:
	v_cmp_ngt_f32_e64 s1, |v124|, |v125|
	s_and_saveexec_b32 s12, s1
	s_delay_alu instid0(SALU_CYCLE_1)
	s_xor_b32 s1, exec_lo, s12
	s_cbranch_execz .LBB116_847
; %bb.846:
	v_div_scale_f32 v127, null, v125, v125, v124
	v_div_scale_f32 v135, vcc_lo, v124, v125, v124
	s_delay_alu instid0(VALU_DEP_2) | instskip(SKIP_1) | instid1(TRANS32_DEP_1)
	v_rcp_f32_e32 v133, v127
	v_nop
	v_fma_f32 v134, -v127, v133, 1.0
	s_delay_alu instid0(VALU_DEP_1) | instskip(NEXT) | instid1(VALU_DEP_1)
	v_fmac_f32_e32 v133, v134, v133
	v_mul_f32_e32 v134, v135, v133
	s_delay_alu instid0(VALU_DEP_1) | instskip(NEXT) | instid1(VALU_DEP_1)
	v_fma_f32 v136, -v127, v134, v135
	v_fmac_f32_e32 v134, v136, v133
	s_delay_alu instid0(VALU_DEP_1) | instskip(NEXT) | instid1(VALU_DEP_1)
	v_fma_f32 v127, -v127, v134, v135
	v_div_fmas_f32 v127, v127, v133, v134
	s_delay_alu instid0(VALU_DEP_1) | instskip(NEXT) | instid1(VALU_DEP_1)
	v_div_fixup_f32 v127, v127, v125, v124
	v_fmac_f32_e32 v125, v124, v127
	s_delay_alu instid0(VALU_DEP_1) | instskip(SKIP_1) | instid1(VALU_DEP_2)
	v_div_scale_f32 v124, null, v125, v125, 1.0
	v_div_scale_f32 v135, vcc_lo, 1.0, v125, 1.0
	v_rcp_f32_e32 v133, v124
	v_nop
	s_delay_alu instid0(TRANS32_DEP_1) | instskip(NEXT) | instid1(VALU_DEP_1)
	v_fma_f32 v134, -v124, v133, 1.0
	v_fmac_f32_e32 v133, v134, v133
	s_delay_alu instid0(VALU_DEP_1) | instskip(NEXT) | instid1(VALU_DEP_1)
	v_mul_f32_e32 v134, v135, v133
	v_fma_f32 v136, -v124, v134, v135
	s_delay_alu instid0(VALU_DEP_1) | instskip(NEXT) | instid1(VALU_DEP_1)
	v_fmac_f32_e32 v134, v136, v133
	v_fma_f32 v124, -v124, v134, v135
	s_delay_alu instid0(VALU_DEP_1) | instskip(NEXT) | instid1(VALU_DEP_1)
	v_div_fmas_f32 v124, v124, v133, v134
	v_div_fixup_f32 v125, v124, v125, 1.0
	s_delay_alu instid0(VALU_DEP_1)
	v_mul_f32_e32 v124, v127, v125
	v_xor_b32_e32 v125, 0x80000000, v125
.LBB116_847:
	s_and_not1_saveexec_b32 s1, s1
	s_cbranch_execz .LBB116_849
; %bb.848:
	s_delay_alu instid0(VALU_DEP_1) | instskip(SKIP_1) | instid1(VALU_DEP_2)
	v_div_scale_f32 v127, null, v124, v124, v125
	v_div_scale_f32 v135, vcc_lo, v125, v124, v125
	v_rcp_f32_e32 v133, v127
	v_nop
	s_delay_alu instid0(TRANS32_DEP_1) | instskip(NEXT) | instid1(VALU_DEP_1)
	v_fma_f32 v134, -v127, v133, 1.0
	v_fmac_f32_e32 v133, v134, v133
	s_delay_alu instid0(VALU_DEP_1) | instskip(NEXT) | instid1(VALU_DEP_1)
	v_mul_f32_e32 v134, v135, v133
	v_fma_f32 v136, -v127, v134, v135
	s_delay_alu instid0(VALU_DEP_1) | instskip(NEXT) | instid1(VALU_DEP_1)
	v_fmac_f32_e32 v134, v136, v133
	v_fma_f32 v127, -v127, v134, v135
	s_delay_alu instid0(VALU_DEP_1) | instskip(NEXT) | instid1(VALU_DEP_1)
	v_div_fmas_f32 v127, v127, v133, v134
	v_div_fixup_f32 v127, v127, v124, v125
	s_delay_alu instid0(VALU_DEP_1) | instskip(NEXT) | instid1(VALU_DEP_1)
	v_fmac_f32_e32 v124, v125, v127
	v_div_scale_f32 v125, null, v124, v124, 1.0
	s_delay_alu instid0(VALU_DEP_1) | instskip(SKIP_1) | instid1(TRANS32_DEP_1)
	v_rcp_f32_e32 v133, v125
	v_nop
	v_fma_f32 v134, -v125, v133, 1.0
	s_delay_alu instid0(VALU_DEP_1) | instskip(SKIP_1) | instid1(VALU_DEP_1)
	v_fmac_f32_e32 v133, v134, v133
	v_div_scale_f32 v134, vcc_lo, 1.0, v124, 1.0
	v_mul_f32_e32 v135, v134, v133
	s_delay_alu instid0(VALU_DEP_1) | instskip(NEXT) | instid1(VALU_DEP_1)
	v_fma_f32 v136, -v125, v135, v134
	v_fmac_f32_e32 v135, v136, v133
	s_delay_alu instid0(VALU_DEP_1) | instskip(NEXT) | instid1(VALU_DEP_1)
	v_fma_f32 v125, -v125, v135, v134
	v_div_fmas_f32 v125, v125, v133, v135
	s_delay_alu instid0(VALU_DEP_1) | instskip(NEXT) | instid1(VALU_DEP_1)
	v_div_fixup_f32 v124, v125, v124, 1.0
	v_mul_f32_e64 v125, v127, -v124
.LBB116_849:
	s_or_b32 exec_lo, exec_lo, s1
.LBB116_850:
	s_delay_alu instid0(SALU_CYCLE_1) | instskip(NEXT) | instid1(SALU_CYCLE_1)
	s_or_b32 exec_lo, exec_lo, s0
	s_mov_b32 s0, exec_lo
	v_cmpx_ne_u32_e64 v132, v126
	s_xor_b32 s0, exec_lo, s0
	s_cbranch_execz .LBB116_856
; %bb.851:
	s_mov_b32 s1, exec_lo
	v_cmpx_eq_u32_e32 40, v132
	s_cbranch_execz .LBB116_855
; %bb.852:
	v_cmp_ne_u32_e32 vcc_lo, 40, v126
	s_xor_b32 s12, s16, -1
	s_delay_alu instid0(SALU_CYCLE_1) | instskip(NEXT) | instid1(SALU_CYCLE_1)
	s_and_b32 s13, s12, vcc_lo
	s_and_saveexec_b32 s12, s13
	s_cbranch_execz .LBB116_854
; %bb.853:
	v_ashrrev_i32_e32 v127, 31, v126
	s_delay_alu instid0(VALU_DEP_1)
	v_lshl_add_u64 v[132:133], v[126:127], 2, v[4:5]
	s_clause 0x1
	global_load_b32 v127, v[132:133], off
	global_load_b32 v131, v[4:5], off offset:160
	s_wait_loadcnt 0x1
	global_store_b32 v[4:5], v127, off offset:160
	s_wait_loadcnt 0x0
	global_store_b32 v[132:133], v131, off
.LBB116_854:
	s_wait_xcnt 0x0
	s_or_b32 exec_lo, exec_lo, s12
	v_dual_mov_b32 v132, v126 :: v_dual_mov_b32 v131, v126
.LBB116_855:
	s_or_b32 exec_lo, exec_lo, s1
.LBB116_856:
	s_and_not1_saveexec_b32 s0, s0
	s_cbranch_execz .LBB116_858
; %bb.857:
	v_mov_b32_e32 v132, 40
	ds_store_2addr_b64 v128, v[100:101], v[72:73] offset0:41 offset1:42
	ds_store_2addr_b64 v128, v[70:71], v[110:111] offset0:43 offset1:44
	;; [unrolled: 1-line block ×9, first 2 shown]
.LBB116_858:
	s_or_b32 exec_lo, exec_lo, s0
	s_delay_alu instid0(SALU_CYCLE_1)
	s_mov_b32 s0, exec_lo
	s_wait_storecnt_dscnt 0x0
	s_barrier_signal -1
	s_barrier_wait -1
	v_cmpx_lt_i32_e32 40, v132
	s_cbranch_execz .LBB116_860
; %bb.859:
	v_pk_mul_f32 v[134:135], v[124:125], v[102:103] op_sel:[1,1] op_sel_hi:[0,1]
	s_delay_alu instid0(VALU_DEP_1)
	v_pk_fma_f32 v[126:127], v[124:125], v[102:103], v[134:135] op_sel_hi:[1,0,1] neg_lo:[0,0,1] neg_hi:[0,0,1]
	v_pk_fma_f32 v[124:125], v[124:125], v[102:103], v[134:135] op_sel_hi:[1,0,1]
	ds_load_2addr_b64 v[134:137], v128 offset0:41 offset1:42
	v_dual_mov_b32 v102, v126 :: v_dual_mov_b32 v103, v125
	s_wait_dscnt 0x0
	v_pk_mul_f32 v[138:139], v[134:135], v[124:125] op_sel:[0,1]
	s_delay_alu instid0(VALU_DEP_1) | instskip(SKIP_1) | instid1(VALU_DEP_1)
	v_pk_fma_f32 v[140:141], v[134:135], v[126:127], v[138:139] op_sel:[0,0,1] op_sel_hi:[1,1,0] neg_lo:[0,0,1] neg_hi:[0,0,1]
	v_pk_fma_f32 v[134:135], v[134:135], v[126:127], v[138:139] op_sel:[0,0,1] op_sel_hi:[1,0,0]
	v_mov_b32_e32 v141, v135
	v_pk_mul_f32 v[134:135], v[136:137], v[124:125] op_sel:[0,1]
	s_delay_alu instid0(VALU_DEP_1) | instskip(SKIP_1) | instid1(VALU_DEP_1)
	v_pk_fma_f32 v[138:139], v[136:137], v[126:127], v[134:135] op_sel:[0,0,1] op_sel_hi:[1,1,0] neg_lo:[0,0,1] neg_hi:[0,0,1]
	v_pk_fma_f32 v[134:135], v[136:137], v[126:127], v[134:135] op_sel:[0,0,1] op_sel_hi:[1,0,0]
	v_mov_b32_e32 v139, v135
	ds_load_2addr_b64 v[134:137], v128 offset0:43 offset1:44
	v_pk_add_f32 v[100:101], v[100:101], v[140:141] neg_lo:[0,1] neg_hi:[0,1]
	v_pk_add_f32 v[72:73], v[72:73], v[138:139] neg_lo:[0,1] neg_hi:[0,1]
	s_wait_dscnt 0x0
	v_pk_mul_f32 v[138:139], v[134:135], v[124:125] op_sel:[0,1]
	s_delay_alu instid0(VALU_DEP_1) | instskip(SKIP_2) | instid1(VALU_DEP_2)
	v_pk_fma_f32 v[140:141], v[134:135], v[126:127], v[138:139] op_sel:[0,0,1] op_sel_hi:[1,1,0] neg_lo:[0,0,1] neg_hi:[0,0,1]
	v_pk_fma_f32 v[134:135], v[134:135], v[126:127], v[138:139] op_sel:[0,0,1] op_sel_hi:[1,0,0]
	v_dual_mul_f32 v138, v137, v125 :: v_dual_mov_b32 v134, v137
	v_dual_mov_b32 v141, v135 :: v_dual_mov_b32 v135, v136
	s_delay_alu instid0(VALU_DEP_2) | instskip(SKIP_1) | instid1(VALU_DEP_3)
	v_pk_fma_f32 v[138:139], v[136:137], v[102:103], v[138:139] op_sel_hi:[1,1,0] neg_lo:[0,0,1] neg_hi:[0,0,1]
	v_mul_f32_e32 v136, v137, v126
	v_pk_add_f32 v[70:71], v[70:71], v[140:141] neg_lo:[0,1] neg_hi:[0,1]
	s_delay_alu instid0(VALU_DEP_2) | instskip(NEXT) | instid1(VALU_DEP_1)
	v_pk_fma_f32 v[134:135], v[134:135], v[102:103], v[136:137] op_sel_hi:[1,1,0]
	v_mov_b32_e32 v139, v135
	ds_load_2addr_b64 v[134:137], v128 offset0:45 offset1:46
	v_pk_add_f32 v[110:111], v[110:111], v[138:139] neg_lo:[0,1] neg_hi:[0,1]
	s_wait_dscnt 0x0
	v_pk_mul_f32 v[138:139], v[134:135], v[124:125] op_sel:[0,1]
	s_delay_alu instid0(VALU_DEP_1) | instskip(SKIP_1) | instid1(VALU_DEP_1)
	v_pk_fma_f32 v[140:141], v[134:135], v[126:127], v[138:139] op_sel:[0,0,1] op_sel_hi:[1,1,0] neg_lo:[0,0,1] neg_hi:[0,0,1]
	v_pk_fma_f32 v[134:135], v[134:135], v[126:127], v[138:139] op_sel:[0,0,1] op_sel_hi:[1,0,0]
	v_mov_b32_e32 v141, v135
	v_pk_mul_f32 v[134:135], v[136:137], v[124:125] op_sel:[0,1]
	s_delay_alu instid0(VALU_DEP_1) | instskip(SKIP_1) | instid1(VALU_DEP_1)
	v_pk_fma_f32 v[138:139], v[136:137], v[126:127], v[134:135] op_sel:[0,0,1] op_sel_hi:[1,1,0] neg_lo:[0,0,1] neg_hi:[0,0,1]
	v_pk_fma_f32 v[134:135], v[136:137], v[126:127], v[134:135] op_sel:[0,0,1] op_sel_hi:[1,0,0]
	v_mov_b32_e32 v139, v135
	ds_load_2addr_b64 v[134:137], v128 offset0:47 offset1:48
	v_pk_add_f32 v[108:109], v[108:109], v[140:141] neg_lo:[0,1] neg_hi:[0,1]
	v_pk_add_f32 v[82:83], v[82:83], v[138:139] neg_lo:[0,1] neg_hi:[0,1]
	s_wait_dscnt 0x0
	v_pk_mul_f32 v[138:139], v[134:135], v[124:125] op_sel:[0,1]
	s_delay_alu instid0(VALU_DEP_1) | instskip(SKIP_1) | instid1(VALU_DEP_1)
	v_pk_fma_f32 v[140:141], v[134:135], v[126:127], v[138:139] op_sel:[0,0,1] op_sel_hi:[1,1,0] neg_lo:[0,0,1] neg_hi:[0,0,1]
	v_pk_fma_f32 v[134:135], v[134:135], v[126:127], v[138:139] op_sel:[0,0,1] op_sel_hi:[1,0,0]
	v_mov_b32_e32 v141, v135
	v_pk_mul_f32 v[134:135], v[136:137], v[124:125] op_sel:[0,1]
	s_delay_alu instid0(VALU_DEP_1) | instskip(SKIP_1) | instid1(VALU_DEP_1)
	v_pk_fma_f32 v[138:139], v[136:137], v[126:127], v[134:135] op_sel:[0,0,1] op_sel_hi:[1,1,0] neg_lo:[0,0,1] neg_hi:[0,0,1]
	v_pk_fma_f32 v[134:135], v[136:137], v[126:127], v[134:135] op_sel:[0,0,1] op_sel_hi:[1,0,0]
	v_mov_b32_e32 v139, v135
	ds_load_2addr_b64 v[134:137], v128 offset0:49 offset1:50
	v_pk_add_f32 v[80:81], v[80:81], v[140:141] neg_lo:[0,1] neg_hi:[0,1]
	v_pk_add_f32 v[120:121], v[120:121], v[138:139] neg_lo:[0,1] neg_hi:[0,1]
	s_wait_dscnt 0x0
	v_dual_mul_f32 v138, v135, v125 :: v_dual_mul_f32 v140, v135, v126
	s_delay_alu instid0(VALU_DEP_1) | instskip(NEXT) | instid1(VALU_DEP_2)
	v_pk_fma_f32 v[138:139], v[134:135], v[102:103], v[138:139] op_sel_hi:[1,1,0] neg_lo:[0,0,1] neg_hi:[0,0,1]
	v_pk_fma_f32 v[134:135], v[134:135], v[102:103], v[140:141] op_sel:[1,0,0] op_sel_hi:[0,1,0]
	s_delay_alu instid0(VALU_DEP_1) | instskip(SKIP_1) | instid1(VALU_DEP_2)
	v_mov_b32_e32 v139, v135
	v_pk_mul_f32 v[134:135], v[136:137], v[124:125] op_sel:[0,1]
	v_pk_add_f32 v[118:119], v[118:119], v[138:139] neg_lo:[0,1] neg_hi:[0,1]
	s_delay_alu instid0(VALU_DEP_2) | instskip(SKIP_1) | instid1(VALU_DEP_1)
	v_pk_fma_f32 v[138:139], v[136:137], v[126:127], v[134:135] op_sel:[0,0,1] op_sel_hi:[1,1,0] neg_lo:[0,0,1] neg_hi:[0,0,1]
	v_pk_fma_f32 v[134:135], v[136:137], v[126:127], v[134:135] op_sel:[0,0,1] op_sel_hi:[1,0,0]
	v_mov_b32_e32 v139, v135
	ds_load_2addr_b64 v[134:137], v128 offset0:51 offset1:52
	v_pk_add_f32 v[94:95], v[94:95], v[138:139] neg_lo:[0,1] neg_hi:[0,1]
	s_wait_dscnt 0x0
	v_pk_mul_f32 v[138:139], v[134:135], v[124:125] op_sel:[0,1]
	s_delay_alu instid0(VALU_DEP_1) | instskip(SKIP_1) | instid1(VALU_DEP_1)
	v_pk_fma_f32 v[140:141], v[134:135], v[126:127], v[138:139] op_sel:[0,0,1] op_sel_hi:[1,1,0] neg_lo:[0,0,1] neg_hi:[0,0,1]
	v_pk_fma_f32 v[134:135], v[134:135], v[126:127], v[138:139] op_sel:[0,0,1] op_sel_hi:[1,0,0]
	v_mov_b32_e32 v141, v135
	v_pk_mul_f32 v[134:135], v[136:137], v[124:125] op_sel:[0,1]
	s_delay_alu instid0(VALU_DEP_2) | instskip(NEXT) | instid1(VALU_DEP_2)
	v_pk_add_f32 v[96:97], v[96:97], v[140:141] neg_lo:[0,1] neg_hi:[0,1]
	v_pk_fma_f32 v[138:139], v[136:137], v[126:127], v[134:135] op_sel:[0,0,1] op_sel_hi:[1,1,0] neg_lo:[0,0,1] neg_hi:[0,0,1]
	v_pk_fma_f32 v[134:135], v[136:137], v[126:127], v[134:135] op_sel:[0,0,1] op_sel_hi:[1,0,0]
	s_delay_alu instid0(VALU_DEP_1) | instskip(SKIP_4) | instid1(VALU_DEP_1)
	v_mov_b32_e32 v139, v135
	ds_load_2addr_b64 v[134:137], v128 offset0:53 offset1:54
	v_pk_add_f32 v[114:115], v[114:115], v[138:139] neg_lo:[0,1] neg_hi:[0,1]
	s_wait_dscnt 0x0
	v_pk_mul_f32 v[138:139], v[134:135], v[124:125] op_sel:[0,1]
	v_pk_fma_f32 v[140:141], v[134:135], v[126:127], v[138:139] op_sel:[0,0,1] op_sel_hi:[1,1,0] neg_lo:[0,0,1] neg_hi:[0,0,1]
	v_pk_fma_f32 v[134:135], v[134:135], v[126:127], v[138:139] op_sel:[0,0,1] op_sel_hi:[1,0,0]
	v_dual_mul_f32 v138, v137, v125 :: v_dual_mov_b32 v134, v137
	s_delay_alu instid0(VALU_DEP_2) | instskip(NEXT) | instid1(VALU_DEP_2)
	v_dual_mov_b32 v141, v135 :: v_dual_mov_b32 v135, v136
	v_pk_fma_f32 v[138:139], v[136:137], v[102:103], v[138:139] op_sel_hi:[1,1,0] neg_lo:[0,0,1] neg_hi:[0,0,1]
	v_mul_f32_e32 v136, v137, v126
	s_delay_alu instid0(VALU_DEP_3) | instskip(NEXT) | instid1(VALU_DEP_2)
	v_pk_add_f32 v[112:113], v[112:113], v[140:141] neg_lo:[0,1] neg_hi:[0,1]
	v_pk_fma_f32 v[134:135], v[134:135], v[102:103], v[136:137] op_sel_hi:[1,1,0]
	s_delay_alu instid0(VALU_DEP_1) | instskip(SKIP_4) | instid1(VALU_DEP_1)
	v_mov_b32_e32 v139, v135
	ds_load_2addr_b64 v[134:137], v128 offset0:55 offset1:56
	v_pk_add_f32 v[92:93], v[92:93], v[138:139] neg_lo:[0,1] neg_hi:[0,1]
	s_wait_dscnt 0x0
	v_pk_mul_f32 v[138:139], v[134:135], v[124:125] op_sel:[0,1]
	v_pk_fma_f32 v[140:141], v[134:135], v[126:127], v[138:139] op_sel:[0,0,1] op_sel_hi:[1,1,0] neg_lo:[0,0,1] neg_hi:[0,0,1]
	v_pk_fma_f32 v[134:135], v[134:135], v[126:127], v[138:139] op_sel:[0,0,1] op_sel_hi:[1,0,0]
	s_delay_alu instid0(VALU_DEP_1) | instskip(SKIP_1) | instid1(VALU_DEP_1)
	v_mov_b32_e32 v141, v135
	v_pk_mul_f32 v[134:135], v[136:137], v[124:125] op_sel:[0,1]
	v_pk_fma_f32 v[138:139], v[136:137], v[126:127], v[134:135] op_sel:[0,0,1] op_sel_hi:[1,1,0] neg_lo:[0,0,1] neg_hi:[0,0,1]
	v_pk_fma_f32 v[134:135], v[136:137], v[126:127], v[134:135] op_sel:[0,0,1] op_sel_hi:[1,0,0]
	s_delay_alu instid0(VALU_DEP_1)
	v_mov_b32_e32 v139, v135
	ds_load_2addr_b64 v[134:137], v128 offset0:57 offset1:58
	v_pk_add_f32 v[90:91], v[90:91], v[140:141] neg_lo:[0,1] neg_hi:[0,1]
	v_pk_add_f32 v[104:105], v[104:105], v[138:139] neg_lo:[0,1] neg_hi:[0,1]
	s_wait_dscnt 0x0
	v_pk_mul_f32 v[138:139], v[134:135], v[124:125] op_sel:[0,1]
	v_mul_f32_e32 v124, v137, v125
	s_delay_alu instid0(VALU_DEP_2) | instskip(SKIP_2) | instid1(VALU_DEP_4)
	v_pk_fma_f32 v[140:141], v[134:135], v[126:127], v[138:139] op_sel:[0,0,1] op_sel_hi:[1,1,0] neg_lo:[0,0,1] neg_hi:[0,0,1]
	v_pk_fma_f32 v[134:135], v[134:135], v[126:127], v[138:139] op_sel:[0,0,1] op_sel_hi:[1,0,0]
	v_dual_mov_b32 v134, v137 :: v_dual_mul_f32 v126, v137, v126
	v_pk_fma_f32 v[124:125], v[136:137], v[102:103], v[124:125] op_sel_hi:[1,1,0] neg_lo:[0,0,1] neg_hi:[0,0,1]
	s_delay_alu instid0(VALU_DEP_3) | instskip(NEXT) | instid1(VALU_DEP_1)
	v_dual_mov_b32 v141, v135 :: v_dual_mov_b32 v135, v136
	v_pk_add_f32 v[98:99], v[98:99], v[140:141] neg_lo:[0,1] neg_hi:[0,1]
	s_delay_alu instid0(VALU_DEP_2) | instskip(NEXT) | instid1(VALU_DEP_1)
	v_pk_fma_f32 v[126:127], v[134:135], v[102:103], v[126:127] op_sel_hi:[1,1,0]
	v_mov_b32_e32 v125, v127
	s_delay_alu instid0(VALU_DEP_1)
	v_pk_add_f32 v[122:123], v[122:123], v[124:125] neg_lo:[0,1] neg_hi:[0,1]
.LBB116_860:
	s_or_b32 exec_lo, exec_lo, s0
	v_lshl_add_u32 v124, v132, 3, v128
	s_barrier_signal -1
	s_barrier_wait -1
	ds_store_b64 v124, v[100:101]
	s_wait_dscnt 0x0
	s_barrier_signal -1
	s_barrier_wait -1
	ds_load_b64 v[124:125], v128 offset:328
	v_mov_b32_e32 v126, 41
	s_cmp_lt_i32 s18, 43
	s_cbranch_scc1 .LBB116_863
; %bb.861:
	v_add3_u32 v127, v129, 0, 0x150
	v_mov_b32_e32 v126, 41
	s_mov_b32 s0, 42
.LBB116_862:                            ; =>This Inner Loop Header: Depth=1
	ds_load_b64 v[134:135], v127
	s_wait_dscnt 0x1
	v_cmp_gt_f32_e32 vcc_lo, 0, v124
	v_cndmask_b32_e64 v136, v124, -v124, vcc_lo
	v_cmp_gt_f32_e32 vcc_lo, 0, v125
	v_cndmask_b32_e64 v138, v125, -v125, vcc_lo
	s_wait_dscnt 0x0
	v_cmp_gt_f32_e32 vcc_lo, 0, v134
	v_cndmask_b32_e64 v137, v134, -v134, vcc_lo
	v_cmp_gt_f32_e32 vcc_lo, 0, v135
	v_cndmask_b32_e64 v139, v135, -v135, vcc_lo
	s_delay_alu instid0(VALU_DEP_1) | instskip(NEXT) | instid1(VALU_DEP_1)
	v_pk_add_f32 v[136:137], v[136:137], v[138:139]
	v_cmp_lt_f32_e32 vcc_lo, v136, v137
	v_dual_cndmask_b32 v124, v124, v134 :: v_dual_add_nc_u32 v127, 8, v127
	v_cndmask_b32_e32 v125, v125, v135, vcc_lo
	v_cndmask_b32_e64 v126, v126, s0, vcc_lo
	s_add_co_i32 s0, s0, 1
	s_delay_alu instid0(SALU_CYCLE_1)
	s_cmp_lg_u32 s18, s0
	s_cbranch_scc1 .LBB116_862
.LBB116_863:
	s_wait_dscnt 0x0
	v_cmp_eq_f32_e32 vcc_lo, 0, v124
	v_cmp_eq_f32_e64 s0, 0, v125
	s_and_b32 s0, vcc_lo, s0
	s_delay_alu instid0(SALU_CYCLE_1) | instskip(NEXT) | instid1(SALU_CYCLE_1)
	s_and_saveexec_b32 s1, s0
	s_xor_b32 s0, exec_lo, s1
; %bb.864:
	v_cmp_ne_u32_e32 vcc_lo, 0, v130
	v_cndmask_b32_e32 v130, 42, v130, vcc_lo
; %bb.865:
	s_and_not1_saveexec_b32 s0, s0
	s_cbranch_execz .LBB116_871
; %bb.866:
	v_cmp_ngt_f32_e64 s1, |v124|, |v125|
	s_and_saveexec_b32 s12, s1
	s_delay_alu instid0(SALU_CYCLE_1)
	s_xor_b32 s1, exec_lo, s12
	s_cbranch_execz .LBB116_868
; %bb.867:
	v_div_scale_f32 v127, null, v125, v125, v124
	v_div_scale_f32 v135, vcc_lo, v124, v125, v124
	s_delay_alu instid0(VALU_DEP_2) | instskip(SKIP_1) | instid1(TRANS32_DEP_1)
	v_rcp_f32_e32 v133, v127
	v_nop
	v_fma_f32 v134, -v127, v133, 1.0
	s_delay_alu instid0(VALU_DEP_1) | instskip(NEXT) | instid1(VALU_DEP_1)
	v_fmac_f32_e32 v133, v134, v133
	v_mul_f32_e32 v134, v135, v133
	s_delay_alu instid0(VALU_DEP_1) | instskip(NEXT) | instid1(VALU_DEP_1)
	v_fma_f32 v136, -v127, v134, v135
	v_fmac_f32_e32 v134, v136, v133
	s_delay_alu instid0(VALU_DEP_1) | instskip(NEXT) | instid1(VALU_DEP_1)
	v_fma_f32 v127, -v127, v134, v135
	v_div_fmas_f32 v127, v127, v133, v134
	s_delay_alu instid0(VALU_DEP_1) | instskip(NEXT) | instid1(VALU_DEP_1)
	v_div_fixup_f32 v127, v127, v125, v124
	v_fmac_f32_e32 v125, v124, v127
	s_delay_alu instid0(VALU_DEP_1) | instskip(SKIP_1) | instid1(VALU_DEP_2)
	v_div_scale_f32 v124, null, v125, v125, 1.0
	v_div_scale_f32 v135, vcc_lo, 1.0, v125, 1.0
	v_rcp_f32_e32 v133, v124
	v_nop
	s_delay_alu instid0(TRANS32_DEP_1) | instskip(NEXT) | instid1(VALU_DEP_1)
	v_fma_f32 v134, -v124, v133, 1.0
	v_fmac_f32_e32 v133, v134, v133
	s_delay_alu instid0(VALU_DEP_1) | instskip(NEXT) | instid1(VALU_DEP_1)
	v_mul_f32_e32 v134, v135, v133
	v_fma_f32 v136, -v124, v134, v135
	s_delay_alu instid0(VALU_DEP_1) | instskip(NEXT) | instid1(VALU_DEP_1)
	v_fmac_f32_e32 v134, v136, v133
	v_fma_f32 v124, -v124, v134, v135
	s_delay_alu instid0(VALU_DEP_1) | instskip(NEXT) | instid1(VALU_DEP_1)
	v_div_fmas_f32 v124, v124, v133, v134
	v_div_fixup_f32 v125, v124, v125, 1.0
	s_delay_alu instid0(VALU_DEP_1)
	v_mul_f32_e32 v124, v127, v125
	v_xor_b32_e32 v125, 0x80000000, v125
.LBB116_868:
	s_and_not1_saveexec_b32 s1, s1
	s_cbranch_execz .LBB116_870
; %bb.869:
	s_delay_alu instid0(VALU_DEP_1) | instskip(SKIP_1) | instid1(VALU_DEP_2)
	v_div_scale_f32 v127, null, v124, v124, v125
	v_div_scale_f32 v135, vcc_lo, v125, v124, v125
	v_rcp_f32_e32 v133, v127
	v_nop
	s_delay_alu instid0(TRANS32_DEP_1) | instskip(NEXT) | instid1(VALU_DEP_1)
	v_fma_f32 v134, -v127, v133, 1.0
	v_fmac_f32_e32 v133, v134, v133
	s_delay_alu instid0(VALU_DEP_1) | instskip(NEXT) | instid1(VALU_DEP_1)
	v_mul_f32_e32 v134, v135, v133
	v_fma_f32 v136, -v127, v134, v135
	s_delay_alu instid0(VALU_DEP_1) | instskip(NEXT) | instid1(VALU_DEP_1)
	v_fmac_f32_e32 v134, v136, v133
	v_fma_f32 v127, -v127, v134, v135
	s_delay_alu instid0(VALU_DEP_1) | instskip(NEXT) | instid1(VALU_DEP_1)
	v_div_fmas_f32 v127, v127, v133, v134
	v_div_fixup_f32 v127, v127, v124, v125
	s_delay_alu instid0(VALU_DEP_1) | instskip(NEXT) | instid1(VALU_DEP_1)
	v_fmac_f32_e32 v124, v125, v127
	v_div_scale_f32 v125, null, v124, v124, 1.0
	s_delay_alu instid0(VALU_DEP_1) | instskip(SKIP_1) | instid1(TRANS32_DEP_1)
	v_rcp_f32_e32 v133, v125
	v_nop
	v_fma_f32 v134, -v125, v133, 1.0
	s_delay_alu instid0(VALU_DEP_1) | instskip(SKIP_1) | instid1(VALU_DEP_1)
	v_fmac_f32_e32 v133, v134, v133
	v_div_scale_f32 v134, vcc_lo, 1.0, v124, 1.0
	v_mul_f32_e32 v135, v134, v133
	s_delay_alu instid0(VALU_DEP_1) | instskip(NEXT) | instid1(VALU_DEP_1)
	v_fma_f32 v136, -v125, v135, v134
	v_fmac_f32_e32 v135, v136, v133
	s_delay_alu instid0(VALU_DEP_1) | instskip(NEXT) | instid1(VALU_DEP_1)
	v_fma_f32 v125, -v125, v135, v134
	v_div_fmas_f32 v125, v125, v133, v135
	s_delay_alu instid0(VALU_DEP_1) | instskip(NEXT) | instid1(VALU_DEP_1)
	v_div_fixup_f32 v124, v125, v124, 1.0
	v_mul_f32_e64 v125, v127, -v124
.LBB116_870:
	s_or_b32 exec_lo, exec_lo, s1
.LBB116_871:
	s_delay_alu instid0(SALU_CYCLE_1) | instskip(NEXT) | instid1(SALU_CYCLE_1)
	s_or_b32 exec_lo, exec_lo, s0
	s_mov_b32 s0, exec_lo
	v_cmpx_ne_u32_e64 v132, v126
	s_xor_b32 s0, exec_lo, s0
	s_cbranch_execz .LBB116_877
; %bb.872:
	s_mov_b32 s1, exec_lo
	v_cmpx_eq_u32_e32 41, v132
	s_cbranch_execz .LBB116_876
; %bb.873:
	v_cmp_ne_u32_e32 vcc_lo, 41, v126
	s_xor_b32 s12, s16, -1
	s_delay_alu instid0(SALU_CYCLE_1) | instskip(NEXT) | instid1(SALU_CYCLE_1)
	s_and_b32 s13, s12, vcc_lo
	s_and_saveexec_b32 s12, s13
	s_cbranch_execz .LBB116_875
; %bb.874:
	v_ashrrev_i32_e32 v127, 31, v126
	s_delay_alu instid0(VALU_DEP_1)
	v_lshl_add_u64 v[132:133], v[126:127], 2, v[4:5]
	s_clause 0x1
	global_load_b32 v127, v[132:133], off
	global_load_b32 v131, v[4:5], off offset:164
	s_wait_loadcnt 0x1
	global_store_b32 v[4:5], v127, off offset:164
	s_wait_loadcnt 0x0
	global_store_b32 v[132:133], v131, off
.LBB116_875:
	s_wait_xcnt 0x0
	s_or_b32 exec_lo, exec_lo, s12
	v_dual_mov_b32 v132, v126 :: v_dual_mov_b32 v131, v126
.LBB116_876:
	s_or_b32 exec_lo, exec_lo, s1
.LBB116_877:
	s_and_not1_saveexec_b32 s0, s0
	s_cbranch_execz .LBB116_879
; %bb.878:
	v_dual_mov_b32 v126, v72 :: v_dual_mov_b32 v127, v73
	v_dual_mov_b32 v132, v70 :: v_dual_mov_b32 v133, v71
	ds_store_2addr_b64 v128, v[126:127], v[132:133] offset0:42 offset1:43
	v_dual_mov_b32 v126, v110 :: v_dual_mov_b32 v127, v111
	v_dual_mov_b32 v132, v108 :: v_dual_mov_b32 v133, v109
	ds_store_2addr_b64 v128, v[126:127], v[132:133] offset0:44 offset1:45
	;; [unrolled: 3-line block ×8, first 2 shown]
	ds_store_b64 v128, v[122:123] offset:464
	v_mov_b32_e32 v132, 41
.LBB116_879:
	s_or_b32 exec_lo, exec_lo, s0
	s_delay_alu instid0(SALU_CYCLE_1)
	s_mov_b32 s0, exec_lo
	s_wait_storecnt_dscnt 0x0
	s_barrier_signal -1
	s_barrier_wait -1
	v_cmpx_lt_i32_e32 41, v132
	s_cbranch_execz .LBB116_881
; %bb.880:
	v_pk_mul_f32 v[134:135], v[124:125], v[100:101] op_sel:[1,1] op_sel_hi:[0,1]
	s_delay_alu instid0(VALU_DEP_1)
	v_pk_fma_f32 v[126:127], v[124:125], v[100:101], v[134:135] op_sel_hi:[1,0,1] neg_lo:[0,0,1] neg_hi:[0,0,1]
	v_pk_fma_f32 v[124:125], v[124:125], v[100:101], v[134:135] op_sel_hi:[1,0,1]
	ds_load_2addr_b64 v[134:137], v128 offset0:42 offset1:43
	v_dual_mov_b32 v100, v126 :: v_dual_mov_b32 v101, v125
	s_wait_dscnt 0x0
	v_pk_mul_f32 v[138:139], v[134:135], v[124:125] op_sel:[0,1]
	s_delay_alu instid0(VALU_DEP_1) | instskip(SKIP_1) | instid1(VALU_DEP_1)
	v_pk_fma_f32 v[140:141], v[134:135], v[126:127], v[138:139] op_sel:[0,0,1] op_sel_hi:[1,1,0] neg_lo:[0,0,1] neg_hi:[0,0,1]
	v_pk_fma_f32 v[134:135], v[134:135], v[126:127], v[138:139] op_sel:[0,0,1] op_sel_hi:[1,0,0]
	v_mov_b32_e32 v141, v135
	v_pk_mul_f32 v[134:135], v[136:137], v[124:125] op_sel:[0,1]
	s_delay_alu instid0(VALU_DEP_1) | instskip(SKIP_1) | instid1(VALU_DEP_1)
	v_pk_fma_f32 v[138:139], v[136:137], v[126:127], v[134:135] op_sel:[0,0,1] op_sel_hi:[1,1,0] neg_lo:[0,0,1] neg_hi:[0,0,1]
	v_pk_fma_f32 v[134:135], v[136:137], v[126:127], v[134:135] op_sel:[0,0,1] op_sel_hi:[1,0,0]
	v_mov_b32_e32 v139, v135
	ds_load_2addr_b64 v[134:137], v128 offset0:44 offset1:45
	v_pk_add_f32 v[72:73], v[72:73], v[140:141] neg_lo:[0,1] neg_hi:[0,1]
	v_pk_add_f32 v[70:71], v[70:71], v[138:139] neg_lo:[0,1] neg_hi:[0,1]
	s_wait_dscnt 0x0
	v_pk_mul_f32 v[138:139], v[134:135], v[124:125] op_sel:[0,1]
	s_delay_alu instid0(VALU_DEP_1) | instskip(SKIP_2) | instid1(VALU_DEP_2)
	v_pk_fma_f32 v[140:141], v[134:135], v[126:127], v[138:139] op_sel:[0,0,1] op_sel_hi:[1,1,0] neg_lo:[0,0,1] neg_hi:[0,0,1]
	v_pk_fma_f32 v[134:135], v[134:135], v[126:127], v[138:139] op_sel:[0,0,1] op_sel_hi:[1,0,0]
	v_dual_mul_f32 v138, v137, v125 :: v_dual_mov_b32 v134, v137
	v_dual_mov_b32 v141, v135 :: v_dual_mov_b32 v135, v136
	s_delay_alu instid0(VALU_DEP_2) | instskip(SKIP_1) | instid1(VALU_DEP_3)
	v_pk_fma_f32 v[138:139], v[136:137], v[100:101], v[138:139] op_sel_hi:[1,1,0] neg_lo:[0,0,1] neg_hi:[0,0,1]
	v_mul_f32_e32 v136, v137, v126
	v_pk_add_f32 v[110:111], v[110:111], v[140:141] neg_lo:[0,1] neg_hi:[0,1]
	s_delay_alu instid0(VALU_DEP_2) | instskip(NEXT) | instid1(VALU_DEP_1)
	v_pk_fma_f32 v[134:135], v[134:135], v[100:101], v[136:137] op_sel_hi:[1,1,0]
	v_mov_b32_e32 v139, v135
	ds_load_2addr_b64 v[134:137], v128 offset0:46 offset1:47
	v_pk_add_f32 v[108:109], v[108:109], v[138:139] neg_lo:[0,1] neg_hi:[0,1]
	s_wait_dscnt 0x0
	v_pk_mul_f32 v[138:139], v[134:135], v[124:125] op_sel:[0,1]
	s_delay_alu instid0(VALU_DEP_1) | instskip(SKIP_1) | instid1(VALU_DEP_1)
	v_pk_fma_f32 v[140:141], v[134:135], v[126:127], v[138:139] op_sel:[0,0,1] op_sel_hi:[1,1,0] neg_lo:[0,0,1] neg_hi:[0,0,1]
	v_pk_fma_f32 v[134:135], v[134:135], v[126:127], v[138:139] op_sel:[0,0,1] op_sel_hi:[1,0,0]
	v_mov_b32_e32 v141, v135
	v_pk_mul_f32 v[134:135], v[136:137], v[124:125] op_sel:[0,1]
	s_delay_alu instid0(VALU_DEP_1) | instskip(SKIP_1) | instid1(VALU_DEP_1)
	v_pk_fma_f32 v[138:139], v[136:137], v[126:127], v[134:135] op_sel:[0,0,1] op_sel_hi:[1,1,0] neg_lo:[0,0,1] neg_hi:[0,0,1]
	v_pk_fma_f32 v[134:135], v[136:137], v[126:127], v[134:135] op_sel:[0,0,1] op_sel_hi:[1,0,0]
	v_mov_b32_e32 v139, v135
	ds_load_2addr_b64 v[134:137], v128 offset0:48 offset1:49
	v_pk_add_f32 v[82:83], v[82:83], v[140:141] neg_lo:[0,1] neg_hi:[0,1]
	v_pk_add_f32 v[80:81], v[80:81], v[138:139] neg_lo:[0,1] neg_hi:[0,1]
	s_wait_dscnt 0x0
	v_pk_mul_f32 v[138:139], v[134:135], v[124:125] op_sel:[0,1]
	s_delay_alu instid0(VALU_DEP_1) | instskip(SKIP_1) | instid1(VALU_DEP_1)
	v_pk_fma_f32 v[140:141], v[134:135], v[126:127], v[138:139] op_sel:[0,0,1] op_sel_hi:[1,1,0] neg_lo:[0,0,1] neg_hi:[0,0,1]
	v_pk_fma_f32 v[134:135], v[134:135], v[126:127], v[138:139] op_sel:[0,0,1] op_sel_hi:[1,0,0]
	v_mov_b32_e32 v141, v135
	v_pk_mul_f32 v[134:135], v[136:137], v[124:125] op_sel:[0,1]
	s_delay_alu instid0(VALU_DEP_1) | instskip(SKIP_1) | instid1(VALU_DEP_1)
	v_pk_fma_f32 v[138:139], v[136:137], v[126:127], v[134:135] op_sel:[0,0,1] op_sel_hi:[1,1,0] neg_lo:[0,0,1] neg_hi:[0,0,1]
	v_pk_fma_f32 v[134:135], v[136:137], v[126:127], v[134:135] op_sel:[0,0,1] op_sel_hi:[1,0,0]
	v_mov_b32_e32 v139, v135
	ds_load_2addr_b64 v[134:137], v128 offset0:50 offset1:51
	v_pk_add_f32 v[120:121], v[120:121], v[140:141] neg_lo:[0,1] neg_hi:[0,1]
	v_pk_add_f32 v[118:119], v[118:119], v[138:139] neg_lo:[0,1] neg_hi:[0,1]
	s_wait_dscnt 0x0
	v_dual_mul_f32 v138, v135, v125 :: v_dual_mul_f32 v140, v135, v126
	s_delay_alu instid0(VALU_DEP_1) | instskip(NEXT) | instid1(VALU_DEP_2)
	v_pk_fma_f32 v[138:139], v[134:135], v[100:101], v[138:139] op_sel_hi:[1,1,0] neg_lo:[0,0,1] neg_hi:[0,0,1]
	v_pk_fma_f32 v[134:135], v[134:135], v[100:101], v[140:141] op_sel:[1,0,0] op_sel_hi:[0,1,0]
	s_delay_alu instid0(VALU_DEP_1) | instskip(SKIP_1) | instid1(VALU_DEP_2)
	v_mov_b32_e32 v139, v135
	v_pk_mul_f32 v[134:135], v[136:137], v[124:125] op_sel:[0,1]
	v_pk_add_f32 v[94:95], v[94:95], v[138:139] neg_lo:[0,1] neg_hi:[0,1]
	s_delay_alu instid0(VALU_DEP_2) | instskip(SKIP_1) | instid1(VALU_DEP_1)
	v_pk_fma_f32 v[138:139], v[136:137], v[126:127], v[134:135] op_sel:[0,0,1] op_sel_hi:[1,1,0] neg_lo:[0,0,1] neg_hi:[0,0,1]
	v_pk_fma_f32 v[134:135], v[136:137], v[126:127], v[134:135] op_sel:[0,0,1] op_sel_hi:[1,0,0]
	v_mov_b32_e32 v139, v135
	ds_load_2addr_b64 v[134:137], v128 offset0:52 offset1:53
	v_pk_add_f32 v[96:97], v[96:97], v[138:139] neg_lo:[0,1] neg_hi:[0,1]
	s_wait_dscnt 0x0
	v_pk_mul_f32 v[138:139], v[134:135], v[124:125] op_sel:[0,1]
	s_delay_alu instid0(VALU_DEP_1) | instskip(SKIP_1) | instid1(VALU_DEP_1)
	v_pk_fma_f32 v[140:141], v[134:135], v[126:127], v[138:139] op_sel:[0,0,1] op_sel_hi:[1,1,0] neg_lo:[0,0,1] neg_hi:[0,0,1]
	v_pk_fma_f32 v[134:135], v[134:135], v[126:127], v[138:139] op_sel:[0,0,1] op_sel_hi:[1,0,0]
	v_mov_b32_e32 v141, v135
	v_pk_mul_f32 v[134:135], v[136:137], v[124:125] op_sel:[0,1]
	s_delay_alu instid0(VALU_DEP_2) | instskip(NEXT) | instid1(VALU_DEP_2)
	v_pk_add_f32 v[114:115], v[114:115], v[140:141] neg_lo:[0,1] neg_hi:[0,1]
	v_pk_fma_f32 v[138:139], v[136:137], v[126:127], v[134:135] op_sel:[0,0,1] op_sel_hi:[1,1,0] neg_lo:[0,0,1] neg_hi:[0,0,1]
	v_pk_fma_f32 v[134:135], v[136:137], v[126:127], v[134:135] op_sel:[0,0,1] op_sel_hi:[1,0,0]
	s_delay_alu instid0(VALU_DEP_1) | instskip(SKIP_4) | instid1(VALU_DEP_1)
	v_mov_b32_e32 v139, v135
	ds_load_2addr_b64 v[134:137], v128 offset0:54 offset1:55
	v_pk_add_f32 v[112:113], v[112:113], v[138:139] neg_lo:[0,1] neg_hi:[0,1]
	s_wait_dscnt 0x0
	v_pk_mul_f32 v[138:139], v[134:135], v[124:125] op_sel:[0,1]
	v_pk_fma_f32 v[140:141], v[134:135], v[126:127], v[138:139] op_sel:[0,0,1] op_sel_hi:[1,1,0] neg_lo:[0,0,1] neg_hi:[0,0,1]
	v_pk_fma_f32 v[134:135], v[134:135], v[126:127], v[138:139] op_sel:[0,0,1] op_sel_hi:[1,0,0]
	v_dual_mul_f32 v138, v137, v125 :: v_dual_mov_b32 v134, v137
	s_delay_alu instid0(VALU_DEP_2) | instskip(NEXT) | instid1(VALU_DEP_2)
	v_dual_mov_b32 v141, v135 :: v_dual_mov_b32 v135, v136
	v_pk_fma_f32 v[138:139], v[136:137], v[100:101], v[138:139] op_sel_hi:[1,1,0] neg_lo:[0,0,1] neg_hi:[0,0,1]
	v_mul_f32_e32 v136, v137, v126
	s_delay_alu instid0(VALU_DEP_3) | instskip(NEXT) | instid1(VALU_DEP_2)
	v_pk_add_f32 v[92:93], v[92:93], v[140:141] neg_lo:[0,1] neg_hi:[0,1]
	v_pk_fma_f32 v[134:135], v[134:135], v[100:101], v[136:137] op_sel_hi:[1,1,0]
	s_delay_alu instid0(VALU_DEP_1) | instskip(SKIP_4) | instid1(VALU_DEP_1)
	v_mov_b32_e32 v139, v135
	ds_load_2addr_b64 v[134:137], v128 offset0:56 offset1:57
	v_pk_add_f32 v[90:91], v[90:91], v[138:139] neg_lo:[0,1] neg_hi:[0,1]
	s_wait_dscnt 0x0
	v_pk_mul_f32 v[138:139], v[134:135], v[124:125] op_sel:[0,1]
	v_pk_fma_f32 v[140:141], v[134:135], v[126:127], v[138:139] op_sel:[0,0,1] op_sel_hi:[1,1,0] neg_lo:[0,0,1] neg_hi:[0,0,1]
	v_pk_fma_f32 v[134:135], v[134:135], v[126:127], v[138:139] op_sel:[0,0,1] op_sel_hi:[1,0,0]
	s_delay_alu instid0(VALU_DEP_1) | instskip(SKIP_1) | instid1(VALU_DEP_1)
	v_mov_b32_e32 v141, v135
	v_pk_mul_f32 v[134:135], v[136:137], v[124:125] op_sel:[0,1]
	v_pk_fma_f32 v[138:139], v[136:137], v[126:127], v[134:135] op_sel:[0,0,1] op_sel_hi:[1,1,0] neg_lo:[0,0,1] neg_hi:[0,0,1]
	v_pk_fma_f32 v[134:135], v[136:137], v[126:127], v[134:135] op_sel:[0,0,1] op_sel_hi:[1,0,0]
	s_delay_alu instid0(VALU_DEP_1)
	v_mov_b32_e32 v139, v135
	ds_load_b64 v[134:135], v128 offset:464
	v_pk_add_f32 v[104:105], v[104:105], v[140:141] neg_lo:[0,1] neg_hi:[0,1]
	v_pk_add_f32 v[98:99], v[98:99], v[138:139] neg_lo:[0,1] neg_hi:[0,1]
	s_wait_dscnt 0x0
	v_pk_mul_f32 v[124:125], v[134:135], v[124:125] op_sel:[0,1]
	s_delay_alu instid0(VALU_DEP_1) | instskip(SKIP_1) | instid1(VALU_DEP_1)
	v_pk_fma_f32 v[136:137], v[134:135], v[126:127], v[124:125] op_sel:[0,0,1] op_sel_hi:[1,1,0] neg_lo:[0,0,1] neg_hi:[0,0,1]
	v_pk_fma_f32 v[124:125], v[134:135], v[126:127], v[124:125] op_sel:[0,0,1] op_sel_hi:[1,0,0]
	v_mov_b32_e32 v137, v125
	s_delay_alu instid0(VALU_DEP_1)
	v_pk_add_f32 v[122:123], v[122:123], v[136:137] neg_lo:[0,1] neg_hi:[0,1]
.LBB116_881:
	s_or_b32 exec_lo, exec_lo, s0
	v_lshl_add_u32 v124, v132, 3, v128
	s_barrier_signal -1
	s_barrier_wait -1
	ds_store_b64 v124, v[72:73]
	s_wait_dscnt 0x0
	s_barrier_signal -1
	s_barrier_wait -1
	ds_load_b64 v[124:125], v128 offset:336
	v_mov_b32_e32 v126, 42
	s_cmp_lt_i32 s18, 44
	s_cbranch_scc1 .LBB116_884
; %bb.882:
	v_add3_u32 v127, v129, 0, 0x158
	v_mov_b32_e32 v126, 42
	s_mov_b32 s0, 43
.LBB116_883:                            ; =>This Inner Loop Header: Depth=1
	ds_load_b64 v[134:135], v127
	s_wait_dscnt 0x1
	v_cmp_gt_f32_e32 vcc_lo, 0, v124
	v_cndmask_b32_e64 v136, v124, -v124, vcc_lo
	v_cmp_gt_f32_e32 vcc_lo, 0, v125
	v_cndmask_b32_e64 v138, v125, -v125, vcc_lo
	s_wait_dscnt 0x0
	v_cmp_gt_f32_e32 vcc_lo, 0, v134
	v_cndmask_b32_e64 v137, v134, -v134, vcc_lo
	v_cmp_gt_f32_e32 vcc_lo, 0, v135
	v_cndmask_b32_e64 v139, v135, -v135, vcc_lo
	s_delay_alu instid0(VALU_DEP_1) | instskip(NEXT) | instid1(VALU_DEP_1)
	v_pk_add_f32 v[136:137], v[136:137], v[138:139]
	v_cmp_lt_f32_e32 vcc_lo, v136, v137
	v_dual_cndmask_b32 v124, v124, v134 :: v_dual_add_nc_u32 v127, 8, v127
	v_cndmask_b32_e32 v125, v125, v135, vcc_lo
	v_cndmask_b32_e64 v126, v126, s0, vcc_lo
	s_add_co_i32 s0, s0, 1
	s_delay_alu instid0(SALU_CYCLE_1)
	s_cmp_lg_u32 s18, s0
	s_cbranch_scc1 .LBB116_883
.LBB116_884:
	s_wait_dscnt 0x0
	v_cmp_eq_f32_e32 vcc_lo, 0, v124
	v_cmp_eq_f32_e64 s0, 0, v125
	s_and_b32 s0, vcc_lo, s0
	s_delay_alu instid0(SALU_CYCLE_1) | instskip(NEXT) | instid1(SALU_CYCLE_1)
	s_and_saveexec_b32 s1, s0
	s_xor_b32 s0, exec_lo, s1
; %bb.885:
	v_cmp_ne_u32_e32 vcc_lo, 0, v130
	v_cndmask_b32_e32 v130, 43, v130, vcc_lo
; %bb.886:
	s_and_not1_saveexec_b32 s0, s0
	s_cbranch_execz .LBB116_892
; %bb.887:
	v_cmp_ngt_f32_e64 s1, |v124|, |v125|
	s_and_saveexec_b32 s12, s1
	s_delay_alu instid0(SALU_CYCLE_1)
	s_xor_b32 s1, exec_lo, s12
	s_cbranch_execz .LBB116_889
; %bb.888:
	v_div_scale_f32 v127, null, v125, v125, v124
	v_div_scale_f32 v135, vcc_lo, v124, v125, v124
	s_delay_alu instid0(VALU_DEP_2) | instskip(SKIP_1) | instid1(TRANS32_DEP_1)
	v_rcp_f32_e32 v133, v127
	v_nop
	v_fma_f32 v134, -v127, v133, 1.0
	s_delay_alu instid0(VALU_DEP_1) | instskip(NEXT) | instid1(VALU_DEP_1)
	v_fmac_f32_e32 v133, v134, v133
	v_mul_f32_e32 v134, v135, v133
	s_delay_alu instid0(VALU_DEP_1) | instskip(NEXT) | instid1(VALU_DEP_1)
	v_fma_f32 v136, -v127, v134, v135
	v_fmac_f32_e32 v134, v136, v133
	s_delay_alu instid0(VALU_DEP_1) | instskip(NEXT) | instid1(VALU_DEP_1)
	v_fma_f32 v127, -v127, v134, v135
	v_div_fmas_f32 v127, v127, v133, v134
	s_delay_alu instid0(VALU_DEP_1) | instskip(NEXT) | instid1(VALU_DEP_1)
	v_div_fixup_f32 v127, v127, v125, v124
	v_fmac_f32_e32 v125, v124, v127
	s_delay_alu instid0(VALU_DEP_1) | instskip(SKIP_1) | instid1(VALU_DEP_2)
	v_div_scale_f32 v124, null, v125, v125, 1.0
	v_div_scale_f32 v135, vcc_lo, 1.0, v125, 1.0
	v_rcp_f32_e32 v133, v124
	v_nop
	s_delay_alu instid0(TRANS32_DEP_1) | instskip(NEXT) | instid1(VALU_DEP_1)
	v_fma_f32 v134, -v124, v133, 1.0
	v_fmac_f32_e32 v133, v134, v133
	s_delay_alu instid0(VALU_DEP_1) | instskip(NEXT) | instid1(VALU_DEP_1)
	v_mul_f32_e32 v134, v135, v133
	v_fma_f32 v136, -v124, v134, v135
	s_delay_alu instid0(VALU_DEP_1) | instskip(NEXT) | instid1(VALU_DEP_1)
	v_fmac_f32_e32 v134, v136, v133
	v_fma_f32 v124, -v124, v134, v135
	s_delay_alu instid0(VALU_DEP_1) | instskip(NEXT) | instid1(VALU_DEP_1)
	v_div_fmas_f32 v124, v124, v133, v134
	v_div_fixup_f32 v125, v124, v125, 1.0
	s_delay_alu instid0(VALU_DEP_1)
	v_mul_f32_e32 v124, v127, v125
	v_xor_b32_e32 v125, 0x80000000, v125
.LBB116_889:
	s_and_not1_saveexec_b32 s1, s1
	s_cbranch_execz .LBB116_891
; %bb.890:
	s_delay_alu instid0(VALU_DEP_1) | instskip(SKIP_1) | instid1(VALU_DEP_2)
	v_div_scale_f32 v127, null, v124, v124, v125
	v_div_scale_f32 v135, vcc_lo, v125, v124, v125
	v_rcp_f32_e32 v133, v127
	v_nop
	s_delay_alu instid0(TRANS32_DEP_1) | instskip(NEXT) | instid1(VALU_DEP_1)
	v_fma_f32 v134, -v127, v133, 1.0
	v_fmac_f32_e32 v133, v134, v133
	s_delay_alu instid0(VALU_DEP_1) | instskip(NEXT) | instid1(VALU_DEP_1)
	v_mul_f32_e32 v134, v135, v133
	v_fma_f32 v136, -v127, v134, v135
	s_delay_alu instid0(VALU_DEP_1) | instskip(NEXT) | instid1(VALU_DEP_1)
	v_fmac_f32_e32 v134, v136, v133
	v_fma_f32 v127, -v127, v134, v135
	s_delay_alu instid0(VALU_DEP_1) | instskip(NEXT) | instid1(VALU_DEP_1)
	v_div_fmas_f32 v127, v127, v133, v134
	v_div_fixup_f32 v127, v127, v124, v125
	s_delay_alu instid0(VALU_DEP_1) | instskip(NEXT) | instid1(VALU_DEP_1)
	v_fmac_f32_e32 v124, v125, v127
	v_div_scale_f32 v125, null, v124, v124, 1.0
	s_delay_alu instid0(VALU_DEP_1) | instskip(SKIP_1) | instid1(TRANS32_DEP_1)
	v_rcp_f32_e32 v133, v125
	v_nop
	v_fma_f32 v134, -v125, v133, 1.0
	s_delay_alu instid0(VALU_DEP_1) | instskip(SKIP_1) | instid1(VALU_DEP_1)
	v_fmac_f32_e32 v133, v134, v133
	v_div_scale_f32 v134, vcc_lo, 1.0, v124, 1.0
	v_mul_f32_e32 v135, v134, v133
	s_delay_alu instid0(VALU_DEP_1) | instskip(NEXT) | instid1(VALU_DEP_1)
	v_fma_f32 v136, -v125, v135, v134
	v_fmac_f32_e32 v135, v136, v133
	s_delay_alu instid0(VALU_DEP_1) | instskip(NEXT) | instid1(VALU_DEP_1)
	v_fma_f32 v125, -v125, v135, v134
	v_div_fmas_f32 v125, v125, v133, v135
	s_delay_alu instid0(VALU_DEP_1) | instskip(NEXT) | instid1(VALU_DEP_1)
	v_div_fixup_f32 v124, v125, v124, 1.0
	v_mul_f32_e64 v125, v127, -v124
.LBB116_891:
	s_or_b32 exec_lo, exec_lo, s1
.LBB116_892:
	s_delay_alu instid0(SALU_CYCLE_1) | instskip(NEXT) | instid1(SALU_CYCLE_1)
	s_or_b32 exec_lo, exec_lo, s0
	s_mov_b32 s0, exec_lo
	v_cmpx_ne_u32_e64 v132, v126
	s_xor_b32 s0, exec_lo, s0
	s_cbranch_execz .LBB116_898
; %bb.893:
	s_mov_b32 s1, exec_lo
	v_cmpx_eq_u32_e32 42, v132
	s_cbranch_execz .LBB116_897
; %bb.894:
	v_cmp_ne_u32_e32 vcc_lo, 42, v126
	s_xor_b32 s12, s16, -1
	s_delay_alu instid0(SALU_CYCLE_1) | instskip(NEXT) | instid1(SALU_CYCLE_1)
	s_and_b32 s13, s12, vcc_lo
	s_and_saveexec_b32 s12, s13
	s_cbranch_execz .LBB116_896
; %bb.895:
	v_ashrrev_i32_e32 v127, 31, v126
	s_delay_alu instid0(VALU_DEP_1)
	v_lshl_add_u64 v[132:133], v[126:127], 2, v[4:5]
	s_clause 0x1
	global_load_b32 v127, v[132:133], off
	global_load_b32 v131, v[4:5], off offset:168
	s_wait_loadcnt 0x1
	global_store_b32 v[4:5], v127, off offset:168
	s_wait_loadcnt 0x0
	global_store_b32 v[132:133], v131, off
.LBB116_896:
	s_wait_xcnt 0x0
	s_or_b32 exec_lo, exec_lo, s12
	v_dual_mov_b32 v132, v126 :: v_dual_mov_b32 v131, v126
.LBB116_897:
	s_or_b32 exec_lo, exec_lo, s1
.LBB116_898:
	s_and_not1_saveexec_b32 s0, s0
	s_cbranch_execz .LBB116_900
; %bb.899:
	v_mov_b32_e32 v132, 42
	ds_store_2addr_b64 v128, v[70:71], v[110:111] offset0:43 offset1:44
	ds_store_2addr_b64 v128, v[108:109], v[82:83] offset0:45 offset1:46
	;; [unrolled: 1-line block ×8, first 2 shown]
.LBB116_900:
	s_or_b32 exec_lo, exec_lo, s0
	s_delay_alu instid0(SALU_CYCLE_1)
	s_mov_b32 s0, exec_lo
	s_wait_storecnt_dscnt 0x0
	s_barrier_signal -1
	s_barrier_wait -1
	v_cmpx_lt_i32_e32 42, v132
	s_cbranch_execz .LBB116_902
; %bb.901:
	v_pk_mul_f32 v[134:135], v[124:125], v[72:73] op_sel:[1,1] op_sel_hi:[0,1]
	s_delay_alu instid0(VALU_DEP_1)
	v_pk_fma_f32 v[126:127], v[124:125], v[72:73], v[134:135] op_sel_hi:[1,0,1] neg_lo:[0,0,1] neg_hi:[0,0,1]
	v_pk_fma_f32 v[124:125], v[124:125], v[72:73], v[134:135] op_sel_hi:[1,0,1]
	ds_load_2addr_b64 v[134:137], v128 offset0:43 offset1:44
	v_dual_mov_b32 v72, v126 :: v_dual_mov_b32 v73, v125
	s_wait_dscnt 0x0
	v_pk_mul_f32 v[138:139], v[134:135], v[124:125] op_sel:[0,1]
	s_delay_alu instid0(VALU_DEP_1) | instskip(SKIP_1) | instid1(VALU_DEP_1)
	v_pk_fma_f32 v[140:141], v[134:135], v[126:127], v[138:139] op_sel:[0,0,1] op_sel_hi:[1,1,0] neg_lo:[0,0,1] neg_hi:[0,0,1]
	v_pk_fma_f32 v[134:135], v[134:135], v[126:127], v[138:139] op_sel:[0,0,1] op_sel_hi:[1,0,0]
	v_mov_b32_e32 v141, v135
	v_pk_mul_f32 v[134:135], v[136:137], v[124:125] op_sel:[0,1]
	s_delay_alu instid0(VALU_DEP_1) | instskip(SKIP_1) | instid1(VALU_DEP_1)
	v_pk_fma_f32 v[138:139], v[136:137], v[126:127], v[134:135] op_sel:[0,0,1] op_sel_hi:[1,1,0] neg_lo:[0,0,1] neg_hi:[0,0,1]
	v_pk_fma_f32 v[134:135], v[136:137], v[126:127], v[134:135] op_sel:[0,0,1] op_sel_hi:[1,0,0]
	v_mov_b32_e32 v139, v135
	ds_load_2addr_b64 v[134:137], v128 offset0:45 offset1:46
	v_pk_add_f32 v[70:71], v[70:71], v[140:141] neg_lo:[0,1] neg_hi:[0,1]
	v_pk_add_f32 v[110:111], v[110:111], v[138:139] neg_lo:[0,1] neg_hi:[0,1]
	s_wait_dscnt 0x0
	v_pk_mul_f32 v[138:139], v[134:135], v[124:125] op_sel:[0,1]
	s_delay_alu instid0(VALU_DEP_1) | instskip(SKIP_2) | instid1(VALU_DEP_2)
	v_pk_fma_f32 v[140:141], v[134:135], v[126:127], v[138:139] op_sel:[0,0,1] op_sel_hi:[1,1,0] neg_lo:[0,0,1] neg_hi:[0,0,1]
	v_pk_fma_f32 v[134:135], v[134:135], v[126:127], v[138:139] op_sel:[0,0,1] op_sel_hi:[1,0,0]
	v_dual_mul_f32 v138, v137, v125 :: v_dual_mov_b32 v134, v137
	v_dual_mov_b32 v141, v135 :: v_dual_mov_b32 v135, v136
	s_delay_alu instid0(VALU_DEP_2) | instskip(SKIP_1) | instid1(VALU_DEP_3)
	v_pk_fma_f32 v[138:139], v[136:137], v[72:73], v[138:139] op_sel_hi:[1,1,0] neg_lo:[0,0,1] neg_hi:[0,0,1]
	v_mul_f32_e32 v136, v137, v126
	v_pk_add_f32 v[108:109], v[108:109], v[140:141] neg_lo:[0,1] neg_hi:[0,1]
	s_delay_alu instid0(VALU_DEP_2) | instskip(NEXT) | instid1(VALU_DEP_1)
	v_pk_fma_f32 v[134:135], v[134:135], v[72:73], v[136:137] op_sel_hi:[1,1,0]
	v_mov_b32_e32 v139, v135
	ds_load_2addr_b64 v[134:137], v128 offset0:47 offset1:48
	v_pk_add_f32 v[82:83], v[82:83], v[138:139] neg_lo:[0,1] neg_hi:[0,1]
	s_wait_dscnt 0x0
	v_pk_mul_f32 v[138:139], v[134:135], v[124:125] op_sel:[0,1]
	s_delay_alu instid0(VALU_DEP_1) | instskip(SKIP_1) | instid1(VALU_DEP_1)
	v_pk_fma_f32 v[140:141], v[134:135], v[126:127], v[138:139] op_sel:[0,0,1] op_sel_hi:[1,1,0] neg_lo:[0,0,1] neg_hi:[0,0,1]
	v_pk_fma_f32 v[134:135], v[134:135], v[126:127], v[138:139] op_sel:[0,0,1] op_sel_hi:[1,0,0]
	v_mov_b32_e32 v141, v135
	v_pk_mul_f32 v[134:135], v[136:137], v[124:125] op_sel:[0,1]
	s_delay_alu instid0(VALU_DEP_1) | instskip(SKIP_1) | instid1(VALU_DEP_1)
	v_pk_fma_f32 v[138:139], v[136:137], v[126:127], v[134:135] op_sel:[0,0,1] op_sel_hi:[1,1,0] neg_lo:[0,0,1] neg_hi:[0,0,1]
	v_pk_fma_f32 v[134:135], v[136:137], v[126:127], v[134:135] op_sel:[0,0,1] op_sel_hi:[1,0,0]
	v_mov_b32_e32 v139, v135
	ds_load_2addr_b64 v[134:137], v128 offset0:49 offset1:50
	v_pk_add_f32 v[80:81], v[80:81], v[140:141] neg_lo:[0,1] neg_hi:[0,1]
	v_pk_add_f32 v[120:121], v[120:121], v[138:139] neg_lo:[0,1] neg_hi:[0,1]
	s_wait_dscnt 0x0
	v_pk_mul_f32 v[138:139], v[134:135], v[124:125] op_sel:[0,1]
	s_delay_alu instid0(VALU_DEP_1) | instskip(SKIP_1) | instid1(VALU_DEP_1)
	v_pk_fma_f32 v[140:141], v[134:135], v[126:127], v[138:139] op_sel:[0,0,1] op_sel_hi:[1,1,0] neg_lo:[0,0,1] neg_hi:[0,0,1]
	v_pk_fma_f32 v[134:135], v[134:135], v[126:127], v[138:139] op_sel:[0,0,1] op_sel_hi:[1,0,0]
	v_mov_b32_e32 v141, v135
	v_pk_mul_f32 v[134:135], v[136:137], v[124:125] op_sel:[0,1]
	s_delay_alu instid0(VALU_DEP_1) | instskip(SKIP_1) | instid1(VALU_DEP_1)
	v_pk_fma_f32 v[138:139], v[136:137], v[126:127], v[134:135] op_sel:[0,0,1] op_sel_hi:[1,1,0] neg_lo:[0,0,1] neg_hi:[0,0,1]
	v_pk_fma_f32 v[134:135], v[136:137], v[126:127], v[134:135] op_sel:[0,0,1] op_sel_hi:[1,0,0]
	v_mov_b32_e32 v139, v135
	ds_load_2addr_b64 v[134:137], v128 offset0:51 offset1:52
	v_pk_add_f32 v[118:119], v[118:119], v[140:141] neg_lo:[0,1] neg_hi:[0,1]
	v_pk_add_f32 v[94:95], v[94:95], v[138:139] neg_lo:[0,1] neg_hi:[0,1]
	s_wait_dscnt 0x0
	v_dual_mul_f32 v138, v135, v125 :: v_dual_mul_f32 v140, v135, v126
	s_delay_alu instid0(VALU_DEP_1) | instskip(NEXT) | instid1(VALU_DEP_2)
	v_pk_fma_f32 v[138:139], v[134:135], v[72:73], v[138:139] op_sel_hi:[1,1,0] neg_lo:[0,0,1] neg_hi:[0,0,1]
	v_pk_fma_f32 v[134:135], v[134:135], v[72:73], v[140:141] op_sel:[1,0,0] op_sel_hi:[0,1,0]
	s_delay_alu instid0(VALU_DEP_1) | instskip(SKIP_1) | instid1(VALU_DEP_2)
	v_mov_b32_e32 v139, v135
	v_pk_mul_f32 v[134:135], v[136:137], v[124:125] op_sel:[0,1]
	v_pk_add_f32 v[96:97], v[96:97], v[138:139] neg_lo:[0,1] neg_hi:[0,1]
	s_delay_alu instid0(VALU_DEP_2) | instskip(SKIP_1) | instid1(VALU_DEP_1)
	v_pk_fma_f32 v[138:139], v[136:137], v[126:127], v[134:135] op_sel:[0,0,1] op_sel_hi:[1,1,0] neg_lo:[0,0,1] neg_hi:[0,0,1]
	v_pk_fma_f32 v[134:135], v[136:137], v[126:127], v[134:135] op_sel:[0,0,1] op_sel_hi:[1,0,0]
	v_mov_b32_e32 v139, v135
	ds_load_2addr_b64 v[134:137], v128 offset0:53 offset1:54
	v_pk_add_f32 v[114:115], v[114:115], v[138:139] neg_lo:[0,1] neg_hi:[0,1]
	s_wait_dscnt 0x0
	v_pk_mul_f32 v[138:139], v[134:135], v[124:125] op_sel:[0,1]
	s_delay_alu instid0(VALU_DEP_1) | instskip(SKIP_1) | instid1(VALU_DEP_1)
	v_pk_fma_f32 v[140:141], v[134:135], v[126:127], v[138:139] op_sel:[0,0,1] op_sel_hi:[1,1,0] neg_lo:[0,0,1] neg_hi:[0,0,1]
	v_pk_fma_f32 v[134:135], v[134:135], v[126:127], v[138:139] op_sel:[0,0,1] op_sel_hi:[1,0,0]
	v_mov_b32_e32 v141, v135
	v_pk_mul_f32 v[134:135], v[136:137], v[124:125] op_sel:[0,1]
	s_delay_alu instid0(VALU_DEP_2) | instskip(NEXT) | instid1(VALU_DEP_2)
	v_pk_add_f32 v[112:113], v[112:113], v[140:141] neg_lo:[0,1] neg_hi:[0,1]
	v_pk_fma_f32 v[138:139], v[136:137], v[126:127], v[134:135] op_sel:[0,0,1] op_sel_hi:[1,1,0] neg_lo:[0,0,1] neg_hi:[0,0,1]
	v_pk_fma_f32 v[134:135], v[136:137], v[126:127], v[134:135] op_sel:[0,0,1] op_sel_hi:[1,0,0]
	s_delay_alu instid0(VALU_DEP_1) | instskip(SKIP_4) | instid1(VALU_DEP_1)
	v_mov_b32_e32 v139, v135
	ds_load_2addr_b64 v[134:137], v128 offset0:55 offset1:56
	v_pk_add_f32 v[92:93], v[92:93], v[138:139] neg_lo:[0,1] neg_hi:[0,1]
	s_wait_dscnt 0x0
	v_pk_mul_f32 v[138:139], v[134:135], v[124:125] op_sel:[0,1]
	v_pk_fma_f32 v[140:141], v[134:135], v[126:127], v[138:139] op_sel:[0,0,1] op_sel_hi:[1,1,0] neg_lo:[0,0,1] neg_hi:[0,0,1]
	v_pk_fma_f32 v[134:135], v[134:135], v[126:127], v[138:139] op_sel:[0,0,1] op_sel_hi:[1,0,0]
	v_dual_mul_f32 v138, v137, v125 :: v_dual_mov_b32 v134, v137
	s_delay_alu instid0(VALU_DEP_2) | instskip(NEXT) | instid1(VALU_DEP_2)
	v_dual_mov_b32 v141, v135 :: v_dual_mov_b32 v135, v136
	v_pk_fma_f32 v[138:139], v[136:137], v[72:73], v[138:139] op_sel_hi:[1,1,0] neg_lo:[0,0,1] neg_hi:[0,0,1]
	v_mul_f32_e32 v136, v137, v126
	s_delay_alu instid0(VALU_DEP_3) | instskip(NEXT) | instid1(VALU_DEP_2)
	v_pk_add_f32 v[90:91], v[90:91], v[140:141] neg_lo:[0,1] neg_hi:[0,1]
	v_pk_fma_f32 v[134:135], v[134:135], v[72:73], v[136:137] op_sel_hi:[1,1,0]
	s_delay_alu instid0(VALU_DEP_1)
	v_mov_b32_e32 v139, v135
	ds_load_2addr_b64 v[134:137], v128 offset0:57 offset1:58
	v_pk_add_f32 v[104:105], v[104:105], v[138:139] neg_lo:[0,1] neg_hi:[0,1]
	s_wait_dscnt 0x0
	v_pk_mul_f32 v[138:139], v[134:135], v[124:125] op_sel:[0,1]
	v_pk_mul_f32 v[124:125], v[136:137], v[124:125] op_sel:[0,1]
	s_delay_alu instid0(VALU_DEP_2) | instskip(SKIP_1) | instid1(VALU_DEP_1)
	v_pk_fma_f32 v[140:141], v[134:135], v[126:127], v[138:139] op_sel:[0,0,1] op_sel_hi:[1,1,0] neg_lo:[0,0,1] neg_hi:[0,0,1]
	v_pk_fma_f32 v[134:135], v[134:135], v[126:127], v[138:139] op_sel:[0,0,1] op_sel_hi:[1,0,0]
	v_mov_b32_e32 v141, v135
	s_delay_alu instid0(VALU_DEP_4) | instskip(SKIP_1) | instid1(VALU_DEP_1)
	v_pk_fma_f32 v[134:135], v[136:137], v[126:127], v[124:125] op_sel:[0,0,1] op_sel_hi:[1,1,0] neg_lo:[0,0,1] neg_hi:[0,0,1]
	v_pk_fma_f32 v[124:125], v[136:137], v[126:127], v[124:125] op_sel:[0,0,1] op_sel_hi:[1,0,0]
	v_mov_b32_e32 v135, v125
	s_delay_alu instid0(VALU_DEP_4) | instskip(NEXT) | instid1(VALU_DEP_2)
	v_pk_add_f32 v[98:99], v[98:99], v[140:141] neg_lo:[0,1] neg_hi:[0,1]
	v_pk_add_f32 v[122:123], v[122:123], v[134:135] neg_lo:[0,1] neg_hi:[0,1]
.LBB116_902:
	s_or_b32 exec_lo, exec_lo, s0
	v_lshl_add_u32 v124, v132, 3, v128
	s_barrier_signal -1
	s_barrier_wait -1
	ds_store_b64 v124, v[70:71]
	s_wait_dscnt 0x0
	s_barrier_signal -1
	s_barrier_wait -1
	ds_load_b64 v[124:125], v128 offset:344
	v_mov_b32_e32 v126, 43
	s_cmp_lt_i32 s18, 45
	s_cbranch_scc1 .LBB116_905
; %bb.903:
	v_add3_u32 v127, v129, 0, 0x160
	v_mov_b32_e32 v126, 43
	s_mov_b32 s0, 44
.LBB116_904:                            ; =>This Inner Loop Header: Depth=1
	ds_load_b64 v[134:135], v127
	s_wait_dscnt 0x1
	v_cmp_gt_f32_e32 vcc_lo, 0, v124
	v_cndmask_b32_e64 v136, v124, -v124, vcc_lo
	v_cmp_gt_f32_e32 vcc_lo, 0, v125
	v_cndmask_b32_e64 v138, v125, -v125, vcc_lo
	s_wait_dscnt 0x0
	v_cmp_gt_f32_e32 vcc_lo, 0, v134
	v_cndmask_b32_e64 v137, v134, -v134, vcc_lo
	v_cmp_gt_f32_e32 vcc_lo, 0, v135
	v_cndmask_b32_e64 v139, v135, -v135, vcc_lo
	s_delay_alu instid0(VALU_DEP_1) | instskip(NEXT) | instid1(VALU_DEP_1)
	v_pk_add_f32 v[136:137], v[136:137], v[138:139]
	v_cmp_lt_f32_e32 vcc_lo, v136, v137
	v_dual_cndmask_b32 v124, v124, v134 :: v_dual_add_nc_u32 v127, 8, v127
	v_cndmask_b32_e32 v125, v125, v135, vcc_lo
	v_cndmask_b32_e64 v126, v126, s0, vcc_lo
	s_add_co_i32 s0, s0, 1
	s_delay_alu instid0(SALU_CYCLE_1)
	s_cmp_lg_u32 s18, s0
	s_cbranch_scc1 .LBB116_904
.LBB116_905:
	s_wait_dscnt 0x0
	v_cmp_eq_f32_e32 vcc_lo, 0, v124
	v_cmp_eq_f32_e64 s0, 0, v125
	s_and_b32 s0, vcc_lo, s0
	s_delay_alu instid0(SALU_CYCLE_1) | instskip(NEXT) | instid1(SALU_CYCLE_1)
	s_and_saveexec_b32 s1, s0
	s_xor_b32 s0, exec_lo, s1
; %bb.906:
	v_cmp_ne_u32_e32 vcc_lo, 0, v130
	v_cndmask_b32_e32 v130, 44, v130, vcc_lo
; %bb.907:
	s_and_not1_saveexec_b32 s0, s0
	s_cbranch_execz .LBB116_913
; %bb.908:
	v_cmp_ngt_f32_e64 s1, |v124|, |v125|
	s_and_saveexec_b32 s12, s1
	s_delay_alu instid0(SALU_CYCLE_1)
	s_xor_b32 s1, exec_lo, s12
	s_cbranch_execz .LBB116_910
; %bb.909:
	v_div_scale_f32 v127, null, v125, v125, v124
	v_div_scale_f32 v135, vcc_lo, v124, v125, v124
	s_delay_alu instid0(VALU_DEP_2) | instskip(SKIP_1) | instid1(TRANS32_DEP_1)
	v_rcp_f32_e32 v133, v127
	v_nop
	v_fma_f32 v134, -v127, v133, 1.0
	s_delay_alu instid0(VALU_DEP_1) | instskip(NEXT) | instid1(VALU_DEP_1)
	v_fmac_f32_e32 v133, v134, v133
	v_mul_f32_e32 v134, v135, v133
	s_delay_alu instid0(VALU_DEP_1) | instskip(NEXT) | instid1(VALU_DEP_1)
	v_fma_f32 v136, -v127, v134, v135
	v_fmac_f32_e32 v134, v136, v133
	s_delay_alu instid0(VALU_DEP_1) | instskip(NEXT) | instid1(VALU_DEP_1)
	v_fma_f32 v127, -v127, v134, v135
	v_div_fmas_f32 v127, v127, v133, v134
	s_delay_alu instid0(VALU_DEP_1) | instskip(NEXT) | instid1(VALU_DEP_1)
	v_div_fixup_f32 v127, v127, v125, v124
	v_fmac_f32_e32 v125, v124, v127
	s_delay_alu instid0(VALU_DEP_1) | instskip(SKIP_1) | instid1(VALU_DEP_2)
	v_div_scale_f32 v124, null, v125, v125, 1.0
	v_div_scale_f32 v135, vcc_lo, 1.0, v125, 1.0
	v_rcp_f32_e32 v133, v124
	v_nop
	s_delay_alu instid0(TRANS32_DEP_1) | instskip(NEXT) | instid1(VALU_DEP_1)
	v_fma_f32 v134, -v124, v133, 1.0
	v_fmac_f32_e32 v133, v134, v133
	s_delay_alu instid0(VALU_DEP_1) | instskip(NEXT) | instid1(VALU_DEP_1)
	v_mul_f32_e32 v134, v135, v133
	v_fma_f32 v136, -v124, v134, v135
	s_delay_alu instid0(VALU_DEP_1) | instskip(NEXT) | instid1(VALU_DEP_1)
	v_fmac_f32_e32 v134, v136, v133
	v_fma_f32 v124, -v124, v134, v135
	s_delay_alu instid0(VALU_DEP_1) | instskip(NEXT) | instid1(VALU_DEP_1)
	v_div_fmas_f32 v124, v124, v133, v134
	v_div_fixup_f32 v125, v124, v125, 1.0
	s_delay_alu instid0(VALU_DEP_1)
	v_mul_f32_e32 v124, v127, v125
	v_xor_b32_e32 v125, 0x80000000, v125
.LBB116_910:
	s_and_not1_saveexec_b32 s1, s1
	s_cbranch_execz .LBB116_912
; %bb.911:
	s_delay_alu instid0(VALU_DEP_1) | instskip(SKIP_1) | instid1(VALU_DEP_2)
	v_div_scale_f32 v127, null, v124, v124, v125
	v_div_scale_f32 v135, vcc_lo, v125, v124, v125
	v_rcp_f32_e32 v133, v127
	v_nop
	s_delay_alu instid0(TRANS32_DEP_1) | instskip(NEXT) | instid1(VALU_DEP_1)
	v_fma_f32 v134, -v127, v133, 1.0
	v_fmac_f32_e32 v133, v134, v133
	s_delay_alu instid0(VALU_DEP_1) | instskip(NEXT) | instid1(VALU_DEP_1)
	v_mul_f32_e32 v134, v135, v133
	v_fma_f32 v136, -v127, v134, v135
	s_delay_alu instid0(VALU_DEP_1) | instskip(NEXT) | instid1(VALU_DEP_1)
	v_fmac_f32_e32 v134, v136, v133
	v_fma_f32 v127, -v127, v134, v135
	s_delay_alu instid0(VALU_DEP_1) | instskip(NEXT) | instid1(VALU_DEP_1)
	v_div_fmas_f32 v127, v127, v133, v134
	v_div_fixup_f32 v127, v127, v124, v125
	s_delay_alu instid0(VALU_DEP_1) | instskip(NEXT) | instid1(VALU_DEP_1)
	v_fmac_f32_e32 v124, v125, v127
	v_div_scale_f32 v125, null, v124, v124, 1.0
	s_delay_alu instid0(VALU_DEP_1) | instskip(SKIP_1) | instid1(TRANS32_DEP_1)
	v_rcp_f32_e32 v133, v125
	v_nop
	v_fma_f32 v134, -v125, v133, 1.0
	s_delay_alu instid0(VALU_DEP_1) | instskip(SKIP_1) | instid1(VALU_DEP_1)
	v_fmac_f32_e32 v133, v134, v133
	v_div_scale_f32 v134, vcc_lo, 1.0, v124, 1.0
	v_mul_f32_e32 v135, v134, v133
	s_delay_alu instid0(VALU_DEP_1) | instskip(NEXT) | instid1(VALU_DEP_1)
	v_fma_f32 v136, -v125, v135, v134
	v_fmac_f32_e32 v135, v136, v133
	s_delay_alu instid0(VALU_DEP_1) | instskip(NEXT) | instid1(VALU_DEP_1)
	v_fma_f32 v125, -v125, v135, v134
	v_div_fmas_f32 v125, v125, v133, v135
	s_delay_alu instid0(VALU_DEP_1) | instskip(NEXT) | instid1(VALU_DEP_1)
	v_div_fixup_f32 v124, v125, v124, 1.0
	v_mul_f32_e64 v125, v127, -v124
.LBB116_912:
	s_or_b32 exec_lo, exec_lo, s1
.LBB116_913:
	s_delay_alu instid0(SALU_CYCLE_1) | instskip(NEXT) | instid1(SALU_CYCLE_1)
	s_or_b32 exec_lo, exec_lo, s0
	s_mov_b32 s0, exec_lo
	v_cmpx_ne_u32_e64 v132, v126
	s_xor_b32 s0, exec_lo, s0
	s_cbranch_execz .LBB116_919
; %bb.914:
	s_mov_b32 s1, exec_lo
	v_cmpx_eq_u32_e32 43, v132
	s_cbranch_execz .LBB116_918
; %bb.915:
	v_cmp_ne_u32_e32 vcc_lo, 43, v126
	s_xor_b32 s12, s16, -1
	s_delay_alu instid0(SALU_CYCLE_1) | instskip(NEXT) | instid1(SALU_CYCLE_1)
	s_and_b32 s13, s12, vcc_lo
	s_and_saveexec_b32 s12, s13
	s_cbranch_execz .LBB116_917
; %bb.916:
	v_ashrrev_i32_e32 v127, 31, v126
	s_delay_alu instid0(VALU_DEP_1)
	v_lshl_add_u64 v[132:133], v[126:127], 2, v[4:5]
	s_clause 0x1
	global_load_b32 v127, v[132:133], off
	global_load_b32 v131, v[4:5], off offset:172
	s_wait_loadcnt 0x1
	global_store_b32 v[4:5], v127, off offset:172
	s_wait_loadcnt 0x0
	global_store_b32 v[132:133], v131, off
.LBB116_917:
	s_wait_xcnt 0x0
	s_or_b32 exec_lo, exec_lo, s12
	v_dual_mov_b32 v132, v126 :: v_dual_mov_b32 v131, v126
.LBB116_918:
	s_or_b32 exec_lo, exec_lo, s1
.LBB116_919:
	s_and_not1_saveexec_b32 s0, s0
	s_cbranch_execz .LBB116_921
; %bb.920:
	v_dual_mov_b32 v126, v110 :: v_dual_mov_b32 v127, v111
	v_dual_mov_b32 v132, v108 :: v_dual_mov_b32 v133, v109
	ds_store_2addr_b64 v128, v[126:127], v[132:133] offset0:44 offset1:45
	v_dual_mov_b32 v126, v82 :: v_dual_mov_b32 v127, v83
	v_dual_mov_b32 v132, v80 :: v_dual_mov_b32 v133, v81
	ds_store_2addr_b64 v128, v[126:127], v[132:133] offset0:46 offset1:47
	;; [unrolled: 3-line block ×7, first 2 shown]
	ds_store_b64 v128, v[122:123] offset:464
	v_mov_b32_e32 v132, 43
.LBB116_921:
	s_or_b32 exec_lo, exec_lo, s0
	s_delay_alu instid0(SALU_CYCLE_1)
	s_mov_b32 s0, exec_lo
	s_wait_storecnt_dscnt 0x0
	s_barrier_signal -1
	s_barrier_wait -1
	v_cmpx_lt_i32_e32 43, v132
	s_cbranch_execz .LBB116_923
; %bb.922:
	v_pk_mul_f32 v[134:135], v[124:125], v[70:71] op_sel:[1,1] op_sel_hi:[0,1]
	s_delay_alu instid0(VALU_DEP_1)
	v_pk_fma_f32 v[126:127], v[124:125], v[70:71], v[134:135] op_sel_hi:[1,0,1] neg_lo:[0,0,1] neg_hi:[0,0,1]
	v_pk_fma_f32 v[124:125], v[124:125], v[70:71], v[134:135] op_sel_hi:[1,0,1]
	ds_load_2addr_b64 v[134:137], v128 offset0:44 offset1:45
	v_dual_mov_b32 v70, v126 :: v_dual_mov_b32 v71, v125
	s_wait_dscnt 0x0
	v_pk_mul_f32 v[138:139], v[134:135], v[124:125] op_sel:[0,1]
	s_delay_alu instid0(VALU_DEP_1) | instskip(SKIP_1) | instid1(VALU_DEP_1)
	v_pk_fma_f32 v[140:141], v[134:135], v[126:127], v[138:139] op_sel:[0,0,1] op_sel_hi:[1,1,0] neg_lo:[0,0,1] neg_hi:[0,0,1]
	v_pk_fma_f32 v[134:135], v[134:135], v[126:127], v[138:139] op_sel:[0,0,1] op_sel_hi:[1,0,0]
	v_mov_b32_e32 v141, v135
	v_pk_mul_f32 v[134:135], v[136:137], v[124:125] op_sel:[0,1]
	s_delay_alu instid0(VALU_DEP_1) | instskip(SKIP_1) | instid1(VALU_DEP_1)
	v_pk_fma_f32 v[138:139], v[136:137], v[126:127], v[134:135] op_sel:[0,0,1] op_sel_hi:[1,1,0] neg_lo:[0,0,1] neg_hi:[0,0,1]
	v_pk_fma_f32 v[134:135], v[136:137], v[126:127], v[134:135] op_sel:[0,0,1] op_sel_hi:[1,0,0]
	v_mov_b32_e32 v139, v135
	ds_load_2addr_b64 v[134:137], v128 offset0:46 offset1:47
	v_pk_add_f32 v[110:111], v[110:111], v[140:141] neg_lo:[0,1] neg_hi:[0,1]
	v_pk_add_f32 v[108:109], v[108:109], v[138:139] neg_lo:[0,1] neg_hi:[0,1]
	s_wait_dscnt 0x0
	v_pk_mul_f32 v[138:139], v[134:135], v[124:125] op_sel:[0,1]
	s_delay_alu instid0(VALU_DEP_1) | instskip(SKIP_2) | instid1(VALU_DEP_2)
	v_pk_fma_f32 v[140:141], v[134:135], v[126:127], v[138:139] op_sel:[0,0,1] op_sel_hi:[1,1,0] neg_lo:[0,0,1] neg_hi:[0,0,1]
	v_pk_fma_f32 v[134:135], v[134:135], v[126:127], v[138:139] op_sel:[0,0,1] op_sel_hi:[1,0,0]
	v_dual_mul_f32 v138, v137, v125 :: v_dual_mov_b32 v134, v137
	v_dual_mov_b32 v141, v135 :: v_dual_mov_b32 v135, v136
	s_delay_alu instid0(VALU_DEP_2) | instskip(SKIP_1) | instid1(VALU_DEP_3)
	v_pk_fma_f32 v[138:139], v[136:137], v[70:71], v[138:139] op_sel_hi:[1,1,0] neg_lo:[0,0,1] neg_hi:[0,0,1]
	v_mul_f32_e32 v136, v137, v126
	v_pk_add_f32 v[82:83], v[82:83], v[140:141] neg_lo:[0,1] neg_hi:[0,1]
	s_delay_alu instid0(VALU_DEP_2) | instskip(NEXT) | instid1(VALU_DEP_1)
	v_pk_fma_f32 v[134:135], v[134:135], v[70:71], v[136:137] op_sel_hi:[1,1,0]
	v_mov_b32_e32 v139, v135
	ds_load_2addr_b64 v[134:137], v128 offset0:48 offset1:49
	v_pk_add_f32 v[80:81], v[80:81], v[138:139] neg_lo:[0,1] neg_hi:[0,1]
	s_wait_dscnt 0x0
	v_pk_mul_f32 v[138:139], v[134:135], v[124:125] op_sel:[0,1]
	s_delay_alu instid0(VALU_DEP_1) | instskip(SKIP_1) | instid1(VALU_DEP_1)
	v_pk_fma_f32 v[140:141], v[134:135], v[126:127], v[138:139] op_sel:[0,0,1] op_sel_hi:[1,1,0] neg_lo:[0,0,1] neg_hi:[0,0,1]
	v_pk_fma_f32 v[134:135], v[134:135], v[126:127], v[138:139] op_sel:[0,0,1] op_sel_hi:[1,0,0]
	v_mov_b32_e32 v141, v135
	v_pk_mul_f32 v[134:135], v[136:137], v[124:125] op_sel:[0,1]
	s_delay_alu instid0(VALU_DEP_1) | instskip(SKIP_1) | instid1(VALU_DEP_1)
	v_pk_fma_f32 v[138:139], v[136:137], v[126:127], v[134:135] op_sel:[0,0,1] op_sel_hi:[1,1,0] neg_lo:[0,0,1] neg_hi:[0,0,1]
	v_pk_fma_f32 v[134:135], v[136:137], v[126:127], v[134:135] op_sel:[0,0,1] op_sel_hi:[1,0,0]
	v_mov_b32_e32 v139, v135
	ds_load_2addr_b64 v[134:137], v128 offset0:50 offset1:51
	v_pk_add_f32 v[120:121], v[120:121], v[140:141] neg_lo:[0,1] neg_hi:[0,1]
	v_pk_add_f32 v[118:119], v[118:119], v[138:139] neg_lo:[0,1] neg_hi:[0,1]
	s_wait_dscnt 0x0
	v_pk_mul_f32 v[138:139], v[134:135], v[124:125] op_sel:[0,1]
	s_delay_alu instid0(VALU_DEP_1) | instskip(SKIP_1) | instid1(VALU_DEP_1)
	v_pk_fma_f32 v[140:141], v[134:135], v[126:127], v[138:139] op_sel:[0,0,1] op_sel_hi:[1,1,0] neg_lo:[0,0,1] neg_hi:[0,0,1]
	v_pk_fma_f32 v[134:135], v[134:135], v[126:127], v[138:139] op_sel:[0,0,1] op_sel_hi:[1,0,0]
	v_mov_b32_e32 v141, v135
	v_pk_mul_f32 v[134:135], v[136:137], v[124:125] op_sel:[0,1]
	s_delay_alu instid0(VALU_DEP_1) | instskip(SKIP_1) | instid1(VALU_DEP_1)
	v_pk_fma_f32 v[138:139], v[136:137], v[126:127], v[134:135] op_sel:[0,0,1] op_sel_hi:[1,1,0] neg_lo:[0,0,1] neg_hi:[0,0,1]
	v_pk_fma_f32 v[134:135], v[136:137], v[126:127], v[134:135] op_sel:[0,0,1] op_sel_hi:[1,0,0]
	v_mov_b32_e32 v139, v135
	ds_load_2addr_b64 v[134:137], v128 offset0:52 offset1:53
	v_pk_add_f32 v[94:95], v[94:95], v[140:141] neg_lo:[0,1] neg_hi:[0,1]
	v_pk_add_f32 v[96:97], v[96:97], v[138:139] neg_lo:[0,1] neg_hi:[0,1]
	s_wait_dscnt 0x0
	v_dual_mul_f32 v138, v135, v125 :: v_dual_mul_f32 v140, v135, v126
	s_delay_alu instid0(VALU_DEP_1) | instskip(NEXT) | instid1(VALU_DEP_2)
	v_pk_fma_f32 v[138:139], v[134:135], v[70:71], v[138:139] op_sel_hi:[1,1,0] neg_lo:[0,0,1] neg_hi:[0,0,1]
	v_pk_fma_f32 v[134:135], v[134:135], v[70:71], v[140:141] op_sel:[1,0,0] op_sel_hi:[0,1,0]
	s_delay_alu instid0(VALU_DEP_1) | instskip(SKIP_1) | instid1(VALU_DEP_2)
	v_mov_b32_e32 v139, v135
	v_pk_mul_f32 v[134:135], v[136:137], v[124:125] op_sel:[0,1]
	v_pk_add_f32 v[114:115], v[114:115], v[138:139] neg_lo:[0,1] neg_hi:[0,1]
	s_delay_alu instid0(VALU_DEP_2) | instskip(SKIP_1) | instid1(VALU_DEP_1)
	v_pk_fma_f32 v[138:139], v[136:137], v[126:127], v[134:135] op_sel:[0,0,1] op_sel_hi:[1,1,0] neg_lo:[0,0,1] neg_hi:[0,0,1]
	v_pk_fma_f32 v[134:135], v[136:137], v[126:127], v[134:135] op_sel:[0,0,1] op_sel_hi:[1,0,0]
	v_mov_b32_e32 v139, v135
	ds_load_2addr_b64 v[134:137], v128 offset0:54 offset1:55
	v_pk_add_f32 v[112:113], v[112:113], v[138:139] neg_lo:[0,1] neg_hi:[0,1]
	s_wait_dscnt 0x0
	v_pk_mul_f32 v[138:139], v[134:135], v[124:125] op_sel:[0,1]
	s_delay_alu instid0(VALU_DEP_1) | instskip(SKIP_1) | instid1(VALU_DEP_1)
	v_pk_fma_f32 v[140:141], v[134:135], v[126:127], v[138:139] op_sel:[0,0,1] op_sel_hi:[1,1,0] neg_lo:[0,0,1] neg_hi:[0,0,1]
	v_pk_fma_f32 v[134:135], v[134:135], v[126:127], v[138:139] op_sel:[0,0,1] op_sel_hi:[1,0,0]
	v_mov_b32_e32 v141, v135
	v_pk_mul_f32 v[134:135], v[136:137], v[124:125] op_sel:[0,1]
	s_delay_alu instid0(VALU_DEP_2) | instskip(NEXT) | instid1(VALU_DEP_2)
	v_pk_add_f32 v[92:93], v[92:93], v[140:141] neg_lo:[0,1] neg_hi:[0,1]
	v_pk_fma_f32 v[138:139], v[136:137], v[126:127], v[134:135] op_sel:[0,0,1] op_sel_hi:[1,1,0] neg_lo:[0,0,1] neg_hi:[0,0,1]
	v_pk_fma_f32 v[134:135], v[136:137], v[126:127], v[134:135] op_sel:[0,0,1] op_sel_hi:[1,0,0]
	s_delay_alu instid0(VALU_DEP_1) | instskip(SKIP_4) | instid1(VALU_DEP_1)
	v_mov_b32_e32 v139, v135
	ds_load_2addr_b64 v[134:137], v128 offset0:56 offset1:57
	v_pk_add_f32 v[90:91], v[90:91], v[138:139] neg_lo:[0,1] neg_hi:[0,1]
	s_wait_dscnt 0x0
	v_pk_mul_f32 v[138:139], v[134:135], v[124:125] op_sel:[0,1]
	v_pk_fma_f32 v[140:141], v[134:135], v[126:127], v[138:139] op_sel:[0,0,1] op_sel_hi:[1,1,0] neg_lo:[0,0,1] neg_hi:[0,0,1]
	v_pk_fma_f32 v[134:135], v[134:135], v[126:127], v[138:139] op_sel:[0,0,1] op_sel_hi:[1,0,0]
	v_dual_mul_f32 v138, v137, v125 :: v_dual_mov_b32 v134, v137
	s_delay_alu instid0(VALU_DEP_2) | instskip(NEXT) | instid1(VALU_DEP_2)
	v_dual_mov_b32 v141, v135 :: v_dual_mov_b32 v135, v136
	v_pk_fma_f32 v[138:139], v[136:137], v[70:71], v[138:139] op_sel_hi:[1,1,0] neg_lo:[0,0,1] neg_hi:[0,0,1]
	v_mul_f32_e32 v136, v137, v126
	s_delay_alu instid0(VALU_DEP_3) | instskip(NEXT) | instid1(VALU_DEP_2)
	v_pk_add_f32 v[104:105], v[104:105], v[140:141] neg_lo:[0,1] neg_hi:[0,1]
	v_pk_fma_f32 v[134:135], v[134:135], v[70:71], v[136:137] op_sel_hi:[1,1,0]
	s_delay_alu instid0(VALU_DEP_1) | instskip(SKIP_4) | instid1(VALU_DEP_1)
	v_mov_b32_e32 v139, v135
	ds_load_b64 v[134:135], v128 offset:464
	v_pk_add_f32 v[98:99], v[98:99], v[138:139] neg_lo:[0,1] neg_hi:[0,1]
	s_wait_dscnt 0x0
	v_pk_mul_f32 v[124:125], v[134:135], v[124:125] op_sel:[0,1]
	v_pk_fma_f32 v[136:137], v[134:135], v[126:127], v[124:125] op_sel:[0,0,1] op_sel_hi:[1,1,0] neg_lo:[0,0,1] neg_hi:[0,0,1]
	v_pk_fma_f32 v[124:125], v[134:135], v[126:127], v[124:125] op_sel:[0,0,1] op_sel_hi:[1,0,0]
	s_delay_alu instid0(VALU_DEP_1) | instskip(NEXT) | instid1(VALU_DEP_1)
	v_mov_b32_e32 v137, v125
	v_pk_add_f32 v[122:123], v[122:123], v[136:137] neg_lo:[0,1] neg_hi:[0,1]
.LBB116_923:
	s_or_b32 exec_lo, exec_lo, s0
	v_lshl_add_u32 v124, v132, 3, v128
	s_barrier_signal -1
	s_barrier_wait -1
	ds_store_b64 v124, v[110:111]
	s_wait_dscnt 0x0
	s_barrier_signal -1
	s_barrier_wait -1
	ds_load_b64 v[124:125], v128 offset:352
	v_mov_b32_e32 v126, 44
	s_cmp_lt_i32 s18, 46
	s_cbranch_scc1 .LBB116_926
; %bb.924:
	v_add3_u32 v127, v129, 0, 0x168
	v_mov_b32_e32 v126, 44
	s_mov_b32 s0, 45
.LBB116_925:                            ; =>This Inner Loop Header: Depth=1
	ds_load_b64 v[134:135], v127
	s_wait_dscnt 0x1
	v_cmp_gt_f32_e32 vcc_lo, 0, v124
	v_cndmask_b32_e64 v136, v124, -v124, vcc_lo
	v_cmp_gt_f32_e32 vcc_lo, 0, v125
	v_cndmask_b32_e64 v138, v125, -v125, vcc_lo
	s_wait_dscnt 0x0
	v_cmp_gt_f32_e32 vcc_lo, 0, v134
	v_cndmask_b32_e64 v137, v134, -v134, vcc_lo
	v_cmp_gt_f32_e32 vcc_lo, 0, v135
	v_cndmask_b32_e64 v139, v135, -v135, vcc_lo
	s_delay_alu instid0(VALU_DEP_1) | instskip(NEXT) | instid1(VALU_DEP_1)
	v_pk_add_f32 v[136:137], v[136:137], v[138:139]
	v_cmp_lt_f32_e32 vcc_lo, v136, v137
	v_dual_cndmask_b32 v124, v124, v134 :: v_dual_add_nc_u32 v127, 8, v127
	v_cndmask_b32_e32 v125, v125, v135, vcc_lo
	v_cndmask_b32_e64 v126, v126, s0, vcc_lo
	s_add_co_i32 s0, s0, 1
	s_delay_alu instid0(SALU_CYCLE_1)
	s_cmp_lg_u32 s18, s0
	s_cbranch_scc1 .LBB116_925
.LBB116_926:
	s_wait_dscnt 0x0
	v_cmp_eq_f32_e32 vcc_lo, 0, v124
	v_cmp_eq_f32_e64 s0, 0, v125
	s_and_b32 s0, vcc_lo, s0
	s_delay_alu instid0(SALU_CYCLE_1) | instskip(NEXT) | instid1(SALU_CYCLE_1)
	s_and_saveexec_b32 s1, s0
	s_xor_b32 s0, exec_lo, s1
; %bb.927:
	v_cmp_ne_u32_e32 vcc_lo, 0, v130
	v_cndmask_b32_e32 v130, 45, v130, vcc_lo
; %bb.928:
	s_and_not1_saveexec_b32 s0, s0
	s_cbranch_execz .LBB116_934
; %bb.929:
	v_cmp_ngt_f32_e64 s1, |v124|, |v125|
	s_and_saveexec_b32 s12, s1
	s_delay_alu instid0(SALU_CYCLE_1)
	s_xor_b32 s1, exec_lo, s12
	s_cbranch_execz .LBB116_931
; %bb.930:
	v_div_scale_f32 v127, null, v125, v125, v124
	v_div_scale_f32 v135, vcc_lo, v124, v125, v124
	s_delay_alu instid0(VALU_DEP_2) | instskip(SKIP_1) | instid1(TRANS32_DEP_1)
	v_rcp_f32_e32 v133, v127
	v_nop
	v_fma_f32 v134, -v127, v133, 1.0
	s_delay_alu instid0(VALU_DEP_1) | instskip(NEXT) | instid1(VALU_DEP_1)
	v_fmac_f32_e32 v133, v134, v133
	v_mul_f32_e32 v134, v135, v133
	s_delay_alu instid0(VALU_DEP_1) | instskip(NEXT) | instid1(VALU_DEP_1)
	v_fma_f32 v136, -v127, v134, v135
	v_fmac_f32_e32 v134, v136, v133
	s_delay_alu instid0(VALU_DEP_1) | instskip(NEXT) | instid1(VALU_DEP_1)
	v_fma_f32 v127, -v127, v134, v135
	v_div_fmas_f32 v127, v127, v133, v134
	s_delay_alu instid0(VALU_DEP_1) | instskip(NEXT) | instid1(VALU_DEP_1)
	v_div_fixup_f32 v127, v127, v125, v124
	v_fmac_f32_e32 v125, v124, v127
	s_delay_alu instid0(VALU_DEP_1) | instskip(SKIP_1) | instid1(VALU_DEP_2)
	v_div_scale_f32 v124, null, v125, v125, 1.0
	v_div_scale_f32 v135, vcc_lo, 1.0, v125, 1.0
	v_rcp_f32_e32 v133, v124
	v_nop
	s_delay_alu instid0(TRANS32_DEP_1) | instskip(NEXT) | instid1(VALU_DEP_1)
	v_fma_f32 v134, -v124, v133, 1.0
	v_fmac_f32_e32 v133, v134, v133
	s_delay_alu instid0(VALU_DEP_1) | instskip(NEXT) | instid1(VALU_DEP_1)
	v_mul_f32_e32 v134, v135, v133
	v_fma_f32 v136, -v124, v134, v135
	s_delay_alu instid0(VALU_DEP_1) | instskip(NEXT) | instid1(VALU_DEP_1)
	v_fmac_f32_e32 v134, v136, v133
	v_fma_f32 v124, -v124, v134, v135
	s_delay_alu instid0(VALU_DEP_1) | instskip(NEXT) | instid1(VALU_DEP_1)
	v_div_fmas_f32 v124, v124, v133, v134
	v_div_fixup_f32 v125, v124, v125, 1.0
	s_delay_alu instid0(VALU_DEP_1)
	v_mul_f32_e32 v124, v127, v125
	v_xor_b32_e32 v125, 0x80000000, v125
.LBB116_931:
	s_and_not1_saveexec_b32 s1, s1
	s_cbranch_execz .LBB116_933
; %bb.932:
	s_delay_alu instid0(VALU_DEP_1) | instskip(SKIP_1) | instid1(VALU_DEP_2)
	v_div_scale_f32 v127, null, v124, v124, v125
	v_div_scale_f32 v135, vcc_lo, v125, v124, v125
	v_rcp_f32_e32 v133, v127
	v_nop
	s_delay_alu instid0(TRANS32_DEP_1) | instskip(NEXT) | instid1(VALU_DEP_1)
	v_fma_f32 v134, -v127, v133, 1.0
	v_fmac_f32_e32 v133, v134, v133
	s_delay_alu instid0(VALU_DEP_1) | instskip(NEXT) | instid1(VALU_DEP_1)
	v_mul_f32_e32 v134, v135, v133
	v_fma_f32 v136, -v127, v134, v135
	s_delay_alu instid0(VALU_DEP_1) | instskip(NEXT) | instid1(VALU_DEP_1)
	v_fmac_f32_e32 v134, v136, v133
	v_fma_f32 v127, -v127, v134, v135
	s_delay_alu instid0(VALU_DEP_1) | instskip(NEXT) | instid1(VALU_DEP_1)
	v_div_fmas_f32 v127, v127, v133, v134
	v_div_fixup_f32 v127, v127, v124, v125
	s_delay_alu instid0(VALU_DEP_1) | instskip(NEXT) | instid1(VALU_DEP_1)
	v_fmac_f32_e32 v124, v125, v127
	v_div_scale_f32 v125, null, v124, v124, 1.0
	s_delay_alu instid0(VALU_DEP_1) | instskip(SKIP_1) | instid1(TRANS32_DEP_1)
	v_rcp_f32_e32 v133, v125
	v_nop
	v_fma_f32 v134, -v125, v133, 1.0
	s_delay_alu instid0(VALU_DEP_1) | instskip(SKIP_1) | instid1(VALU_DEP_1)
	v_fmac_f32_e32 v133, v134, v133
	v_div_scale_f32 v134, vcc_lo, 1.0, v124, 1.0
	v_mul_f32_e32 v135, v134, v133
	s_delay_alu instid0(VALU_DEP_1) | instskip(NEXT) | instid1(VALU_DEP_1)
	v_fma_f32 v136, -v125, v135, v134
	v_fmac_f32_e32 v135, v136, v133
	s_delay_alu instid0(VALU_DEP_1) | instskip(NEXT) | instid1(VALU_DEP_1)
	v_fma_f32 v125, -v125, v135, v134
	v_div_fmas_f32 v125, v125, v133, v135
	s_delay_alu instid0(VALU_DEP_1) | instskip(NEXT) | instid1(VALU_DEP_1)
	v_div_fixup_f32 v124, v125, v124, 1.0
	v_mul_f32_e64 v125, v127, -v124
.LBB116_933:
	s_or_b32 exec_lo, exec_lo, s1
.LBB116_934:
	s_delay_alu instid0(SALU_CYCLE_1) | instskip(NEXT) | instid1(SALU_CYCLE_1)
	s_or_b32 exec_lo, exec_lo, s0
	s_mov_b32 s0, exec_lo
	v_cmpx_ne_u32_e64 v132, v126
	s_xor_b32 s0, exec_lo, s0
	s_cbranch_execz .LBB116_940
; %bb.935:
	s_mov_b32 s1, exec_lo
	v_cmpx_eq_u32_e32 44, v132
	s_cbranch_execz .LBB116_939
; %bb.936:
	v_cmp_ne_u32_e32 vcc_lo, 44, v126
	s_xor_b32 s12, s16, -1
	s_delay_alu instid0(SALU_CYCLE_1) | instskip(NEXT) | instid1(SALU_CYCLE_1)
	s_and_b32 s13, s12, vcc_lo
	s_and_saveexec_b32 s12, s13
	s_cbranch_execz .LBB116_938
; %bb.937:
	v_ashrrev_i32_e32 v127, 31, v126
	s_delay_alu instid0(VALU_DEP_1)
	v_lshl_add_u64 v[132:133], v[126:127], 2, v[4:5]
	s_clause 0x1
	global_load_b32 v127, v[132:133], off
	global_load_b32 v131, v[4:5], off offset:176
	s_wait_loadcnt 0x1
	global_store_b32 v[4:5], v127, off offset:176
	s_wait_loadcnt 0x0
	global_store_b32 v[132:133], v131, off
.LBB116_938:
	s_wait_xcnt 0x0
	s_or_b32 exec_lo, exec_lo, s12
	v_dual_mov_b32 v132, v126 :: v_dual_mov_b32 v131, v126
.LBB116_939:
	s_or_b32 exec_lo, exec_lo, s1
.LBB116_940:
	s_and_not1_saveexec_b32 s0, s0
	s_cbranch_execz .LBB116_942
; %bb.941:
	v_mov_b32_e32 v132, 44
	ds_store_2addr_b64 v128, v[108:109], v[82:83] offset0:45 offset1:46
	ds_store_2addr_b64 v128, v[80:81], v[120:121] offset0:47 offset1:48
	;; [unrolled: 1-line block ×7, first 2 shown]
.LBB116_942:
	s_or_b32 exec_lo, exec_lo, s0
	s_delay_alu instid0(SALU_CYCLE_1)
	s_mov_b32 s0, exec_lo
	s_wait_storecnt_dscnt 0x0
	s_barrier_signal -1
	s_barrier_wait -1
	v_cmpx_lt_i32_e32 44, v132
	s_cbranch_execz .LBB116_944
; %bb.943:
	v_pk_mul_f32 v[126:127], v[124:125], v[110:111] op_sel:[1,1] op_sel_hi:[0,1]
	s_delay_alu instid0(VALU_DEP_1)
	v_pk_fma_f32 v[134:135], v[124:125], v[110:111], v[126:127] op_sel_hi:[1,0,1] neg_lo:[0,0,1] neg_hi:[0,0,1]
	v_pk_fma_f32 v[136:137], v[124:125], v[110:111], v[126:127] op_sel_hi:[1,0,1]
	ds_load_2addr_b64 v[124:127], v128 offset0:45 offset1:46
	v_dual_mov_b32 v110, v134 :: v_dual_mov_b32 v111, v137
	s_wait_dscnt 0x0
	v_pk_mul_f32 v[138:139], v[124:125], v[136:137] op_sel:[0,1]
	s_delay_alu instid0(VALU_DEP_1) | instskip(SKIP_1) | instid1(VALU_DEP_1)
	v_pk_fma_f32 v[140:141], v[124:125], v[134:135], v[138:139] op_sel:[0,0,1] op_sel_hi:[1,1,0] neg_lo:[0,0,1] neg_hi:[0,0,1]
	v_pk_fma_f32 v[124:125], v[124:125], v[134:135], v[138:139] op_sel:[0,0,1] op_sel_hi:[1,0,0]
	v_mov_b32_e32 v141, v125
	v_pk_mul_f32 v[124:125], v[126:127], v[136:137] op_sel:[0,1]
	s_delay_alu instid0(VALU_DEP_1) | instskip(SKIP_1) | instid1(VALU_DEP_1)
	v_pk_fma_f32 v[138:139], v[126:127], v[134:135], v[124:125] op_sel:[0,0,1] op_sel_hi:[1,1,0] neg_lo:[0,0,1] neg_hi:[0,0,1]
	v_pk_fma_f32 v[124:125], v[126:127], v[134:135], v[124:125] op_sel:[0,0,1] op_sel_hi:[1,0,0]
	v_mov_b32_e32 v139, v125
	ds_load_2addr_b64 v[124:127], v128 offset0:47 offset1:48
	v_pk_add_f32 v[108:109], v[108:109], v[140:141] neg_lo:[0,1] neg_hi:[0,1]
	v_pk_add_f32 v[82:83], v[82:83], v[138:139] neg_lo:[0,1] neg_hi:[0,1]
	s_wait_dscnt 0x0
	v_pk_mul_f32 v[138:139], v[124:125], v[136:137] op_sel:[0,1]
	s_delay_alu instid0(VALU_DEP_1) | instskip(SKIP_2) | instid1(VALU_DEP_2)
	v_pk_fma_f32 v[140:141], v[124:125], v[134:135], v[138:139] op_sel:[0,0,1] op_sel_hi:[1,1,0] neg_lo:[0,0,1] neg_hi:[0,0,1]
	v_pk_fma_f32 v[124:125], v[124:125], v[134:135], v[138:139] op_sel:[0,0,1] op_sel_hi:[1,0,0]
	v_dual_mul_f32 v138, v127, v137 :: v_dual_mov_b32 v124, v127
	v_dual_mov_b32 v141, v125 :: v_dual_mov_b32 v125, v126
	s_delay_alu instid0(VALU_DEP_2) | instskip(SKIP_1) | instid1(VALU_DEP_3)
	v_pk_fma_f32 v[138:139], v[126:127], v[110:111], v[138:139] op_sel_hi:[1,1,0] neg_lo:[0,0,1] neg_hi:[0,0,1]
	v_mul_f32_e32 v126, v127, v134
	v_pk_add_f32 v[80:81], v[80:81], v[140:141] neg_lo:[0,1] neg_hi:[0,1]
	s_delay_alu instid0(VALU_DEP_2) | instskip(NEXT) | instid1(VALU_DEP_1)
	v_pk_fma_f32 v[124:125], v[124:125], v[110:111], v[126:127] op_sel_hi:[1,1,0]
	v_mov_b32_e32 v139, v125
	ds_load_2addr_b64 v[124:127], v128 offset0:49 offset1:50
	v_pk_add_f32 v[120:121], v[120:121], v[138:139] neg_lo:[0,1] neg_hi:[0,1]
	s_wait_dscnt 0x0
	v_pk_mul_f32 v[138:139], v[124:125], v[136:137] op_sel:[0,1]
	s_delay_alu instid0(VALU_DEP_1) | instskip(SKIP_1) | instid1(VALU_DEP_1)
	v_pk_fma_f32 v[140:141], v[124:125], v[134:135], v[138:139] op_sel:[0,0,1] op_sel_hi:[1,1,0] neg_lo:[0,0,1] neg_hi:[0,0,1]
	v_pk_fma_f32 v[124:125], v[124:125], v[134:135], v[138:139] op_sel:[0,0,1] op_sel_hi:[1,0,0]
	v_mov_b32_e32 v141, v125
	v_pk_mul_f32 v[124:125], v[126:127], v[136:137] op_sel:[0,1]
	s_delay_alu instid0(VALU_DEP_1) | instskip(SKIP_1) | instid1(VALU_DEP_1)
	v_pk_fma_f32 v[138:139], v[126:127], v[134:135], v[124:125] op_sel:[0,0,1] op_sel_hi:[1,1,0] neg_lo:[0,0,1] neg_hi:[0,0,1]
	v_pk_fma_f32 v[124:125], v[126:127], v[134:135], v[124:125] op_sel:[0,0,1] op_sel_hi:[1,0,0]
	v_mov_b32_e32 v139, v125
	ds_load_2addr_b64 v[124:127], v128 offset0:51 offset1:52
	v_pk_add_f32 v[118:119], v[118:119], v[140:141] neg_lo:[0,1] neg_hi:[0,1]
	v_pk_add_f32 v[94:95], v[94:95], v[138:139] neg_lo:[0,1] neg_hi:[0,1]
	s_wait_dscnt 0x0
	v_pk_mul_f32 v[138:139], v[124:125], v[136:137] op_sel:[0,1]
	s_delay_alu instid0(VALU_DEP_1) | instskip(SKIP_1) | instid1(VALU_DEP_1)
	v_pk_fma_f32 v[140:141], v[124:125], v[134:135], v[138:139] op_sel:[0,0,1] op_sel_hi:[1,1,0] neg_lo:[0,0,1] neg_hi:[0,0,1]
	v_pk_fma_f32 v[124:125], v[124:125], v[134:135], v[138:139] op_sel:[0,0,1] op_sel_hi:[1,0,0]
	v_mov_b32_e32 v141, v125
	v_pk_mul_f32 v[124:125], v[126:127], v[136:137] op_sel:[0,1]
	s_delay_alu instid0(VALU_DEP_1) | instskip(SKIP_1) | instid1(VALU_DEP_1)
	v_pk_fma_f32 v[138:139], v[126:127], v[134:135], v[124:125] op_sel:[0,0,1] op_sel_hi:[1,1,0] neg_lo:[0,0,1] neg_hi:[0,0,1]
	v_pk_fma_f32 v[124:125], v[126:127], v[134:135], v[124:125] op_sel:[0,0,1] op_sel_hi:[1,0,0]
	v_mov_b32_e32 v139, v125
	ds_load_2addr_b64 v[124:127], v128 offset0:53 offset1:54
	v_pk_add_f32 v[96:97], v[96:97], v[140:141] neg_lo:[0,1] neg_hi:[0,1]
	v_pk_add_f32 v[114:115], v[114:115], v[138:139] neg_lo:[0,1] neg_hi:[0,1]
	s_wait_dscnt 0x0
	v_dual_mul_f32 v138, v125, v137 :: v_dual_mul_f32 v140, v125, v134
	s_delay_alu instid0(VALU_DEP_1) | instskip(NEXT) | instid1(VALU_DEP_2)
	v_pk_fma_f32 v[138:139], v[124:125], v[110:111], v[138:139] op_sel_hi:[1,1,0] neg_lo:[0,0,1] neg_hi:[0,0,1]
	v_pk_fma_f32 v[124:125], v[124:125], v[110:111], v[140:141] op_sel:[1,0,0] op_sel_hi:[0,1,0]
	s_delay_alu instid0(VALU_DEP_1) | instskip(SKIP_1) | instid1(VALU_DEP_2)
	v_mov_b32_e32 v139, v125
	v_pk_mul_f32 v[124:125], v[126:127], v[136:137] op_sel:[0,1]
	v_pk_add_f32 v[112:113], v[112:113], v[138:139] neg_lo:[0,1] neg_hi:[0,1]
	s_delay_alu instid0(VALU_DEP_2) | instskip(SKIP_1) | instid1(VALU_DEP_1)
	v_pk_fma_f32 v[138:139], v[126:127], v[134:135], v[124:125] op_sel:[0,0,1] op_sel_hi:[1,1,0] neg_lo:[0,0,1] neg_hi:[0,0,1]
	v_pk_fma_f32 v[124:125], v[126:127], v[134:135], v[124:125] op_sel:[0,0,1] op_sel_hi:[1,0,0]
	v_mov_b32_e32 v139, v125
	ds_load_2addr_b64 v[124:127], v128 offset0:55 offset1:56
	v_pk_add_f32 v[92:93], v[92:93], v[138:139] neg_lo:[0,1] neg_hi:[0,1]
	s_wait_dscnt 0x0
	v_pk_mul_f32 v[138:139], v[124:125], v[136:137] op_sel:[0,1]
	s_delay_alu instid0(VALU_DEP_1) | instskip(SKIP_1) | instid1(VALU_DEP_1)
	v_pk_fma_f32 v[140:141], v[124:125], v[134:135], v[138:139] op_sel:[0,0,1] op_sel_hi:[1,1,0] neg_lo:[0,0,1] neg_hi:[0,0,1]
	v_pk_fma_f32 v[124:125], v[124:125], v[134:135], v[138:139] op_sel:[0,0,1] op_sel_hi:[1,0,0]
	v_mov_b32_e32 v141, v125
	v_pk_mul_f32 v[124:125], v[126:127], v[136:137] op_sel:[0,1]
	s_delay_alu instid0(VALU_DEP_2) | instskip(NEXT) | instid1(VALU_DEP_2)
	v_pk_add_f32 v[90:91], v[90:91], v[140:141] neg_lo:[0,1] neg_hi:[0,1]
	v_pk_fma_f32 v[138:139], v[126:127], v[134:135], v[124:125] op_sel:[0,0,1] op_sel_hi:[1,1,0] neg_lo:[0,0,1] neg_hi:[0,0,1]
	v_pk_fma_f32 v[124:125], v[126:127], v[134:135], v[124:125] op_sel:[0,0,1] op_sel_hi:[1,0,0]
	s_delay_alu instid0(VALU_DEP_1) | instskip(SKIP_4) | instid1(VALU_DEP_1)
	v_mov_b32_e32 v139, v125
	ds_load_2addr_b64 v[124:127], v128 offset0:57 offset1:58
	v_pk_add_f32 v[104:105], v[104:105], v[138:139] neg_lo:[0,1] neg_hi:[0,1]
	s_wait_dscnt 0x0
	v_pk_mul_f32 v[138:139], v[124:125], v[136:137] op_sel:[0,1]
	v_pk_fma_f32 v[140:141], v[124:125], v[134:135], v[138:139] op_sel:[0,0,1] op_sel_hi:[1,1,0] neg_lo:[0,0,1] neg_hi:[0,0,1]
	v_pk_fma_f32 v[124:125], v[124:125], v[134:135], v[138:139] op_sel:[0,0,1] op_sel_hi:[1,0,0]
	s_delay_alu instid0(VALU_DEP_1) | instskip(SKIP_1) | instid1(VALU_DEP_2)
	v_mov_b32_e32 v141, v125
	v_pk_mul_f32 v[124:125], v[126:127], v[136:137] op_sel:[0,1]
	v_pk_add_f32 v[98:99], v[98:99], v[140:141] neg_lo:[0,1] neg_hi:[0,1]
	s_delay_alu instid0(VALU_DEP_2) | instskip(SKIP_1) | instid1(VALU_DEP_1)
	v_pk_fma_f32 v[136:137], v[126:127], v[134:135], v[124:125] op_sel:[0,0,1] op_sel_hi:[1,1,0] neg_lo:[0,0,1] neg_hi:[0,0,1]
	v_pk_fma_f32 v[124:125], v[126:127], v[134:135], v[124:125] op_sel:[0,0,1] op_sel_hi:[1,0,0]
	v_mov_b32_e32 v137, v125
	s_delay_alu instid0(VALU_DEP_1)
	v_pk_add_f32 v[122:123], v[122:123], v[136:137] neg_lo:[0,1] neg_hi:[0,1]
.LBB116_944:
	s_or_b32 exec_lo, exec_lo, s0
	v_lshl_add_u32 v124, v132, 3, v128
	s_barrier_signal -1
	s_barrier_wait -1
	ds_store_b64 v124, v[108:109]
	s_wait_dscnt 0x0
	s_barrier_signal -1
	s_barrier_wait -1
	ds_load_b64 v[124:125], v128 offset:360
	v_mov_b32_e32 v126, 45
	s_cmp_lt_i32 s18, 47
	s_cbranch_scc1 .LBB116_947
; %bb.945:
	v_add3_u32 v127, v129, 0, 0x170
	v_mov_b32_e32 v126, 45
	s_mov_b32 s0, 46
.LBB116_946:                            ; =>This Inner Loop Header: Depth=1
	ds_load_b64 v[134:135], v127
	s_wait_dscnt 0x1
	v_cmp_gt_f32_e32 vcc_lo, 0, v124
	v_cndmask_b32_e64 v136, v124, -v124, vcc_lo
	v_cmp_gt_f32_e32 vcc_lo, 0, v125
	v_cndmask_b32_e64 v138, v125, -v125, vcc_lo
	s_wait_dscnt 0x0
	v_cmp_gt_f32_e32 vcc_lo, 0, v134
	v_cndmask_b32_e64 v137, v134, -v134, vcc_lo
	v_cmp_gt_f32_e32 vcc_lo, 0, v135
	v_cndmask_b32_e64 v139, v135, -v135, vcc_lo
	s_delay_alu instid0(VALU_DEP_1) | instskip(NEXT) | instid1(VALU_DEP_1)
	v_pk_add_f32 v[136:137], v[136:137], v[138:139]
	v_cmp_lt_f32_e32 vcc_lo, v136, v137
	v_dual_cndmask_b32 v124, v124, v134 :: v_dual_add_nc_u32 v127, 8, v127
	v_cndmask_b32_e32 v125, v125, v135, vcc_lo
	v_cndmask_b32_e64 v126, v126, s0, vcc_lo
	s_add_co_i32 s0, s0, 1
	s_delay_alu instid0(SALU_CYCLE_1)
	s_cmp_lg_u32 s18, s0
	s_cbranch_scc1 .LBB116_946
.LBB116_947:
	s_wait_dscnt 0x0
	v_cmp_eq_f32_e32 vcc_lo, 0, v124
	v_cmp_eq_f32_e64 s0, 0, v125
	s_and_b32 s0, vcc_lo, s0
	s_delay_alu instid0(SALU_CYCLE_1) | instskip(NEXT) | instid1(SALU_CYCLE_1)
	s_and_saveexec_b32 s1, s0
	s_xor_b32 s0, exec_lo, s1
; %bb.948:
	v_cmp_ne_u32_e32 vcc_lo, 0, v130
	v_cndmask_b32_e32 v130, 46, v130, vcc_lo
; %bb.949:
	s_and_not1_saveexec_b32 s0, s0
	s_cbranch_execz .LBB116_955
; %bb.950:
	v_cmp_ngt_f32_e64 s1, |v124|, |v125|
	s_and_saveexec_b32 s12, s1
	s_delay_alu instid0(SALU_CYCLE_1)
	s_xor_b32 s1, exec_lo, s12
	s_cbranch_execz .LBB116_952
; %bb.951:
	v_div_scale_f32 v127, null, v125, v125, v124
	v_div_scale_f32 v135, vcc_lo, v124, v125, v124
	s_delay_alu instid0(VALU_DEP_2) | instskip(SKIP_1) | instid1(TRANS32_DEP_1)
	v_rcp_f32_e32 v133, v127
	v_nop
	v_fma_f32 v134, -v127, v133, 1.0
	s_delay_alu instid0(VALU_DEP_1) | instskip(NEXT) | instid1(VALU_DEP_1)
	v_fmac_f32_e32 v133, v134, v133
	v_mul_f32_e32 v134, v135, v133
	s_delay_alu instid0(VALU_DEP_1) | instskip(NEXT) | instid1(VALU_DEP_1)
	v_fma_f32 v136, -v127, v134, v135
	v_fmac_f32_e32 v134, v136, v133
	s_delay_alu instid0(VALU_DEP_1) | instskip(NEXT) | instid1(VALU_DEP_1)
	v_fma_f32 v127, -v127, v134, v135
	v_div_fmas_f32 v127, v127, v133, v134
	s_delay_alu instid0(VALU_DEP_1) | instskip(NEXT) | instid1(VALU_DEP_1)
	v_div_fixup_f32 v127, v127, v125, v124
	v_fmac_f32_e32 v125, v124, v127
	s_delay_alu instid0(VALU_DEP_1) | instskip(SKIP_1) | instid1(VALU_DEP_2)
	v_div_scale_f32 v124, null, v125, v125, 1.0
	v_div_scale_f32 v135, vcc_lo, 1.0, v125, 1.0
	v_rcp_f32_e32 v133, v124
	v_nop
	s_delay_alu instid0(TRANS32_DEP_1) | instskip(NEXT) | instid1(VALU_DEP_1)
	v_fma_f32 v134, -v124, v133, 1.0
	v_fmac_f32_e32 v133, v134, v133
	s_delay_alu instid0(VALU_DEP_1) | instskip(NEXT) | instid1(VALU_DEP_1)
	v_mul_f32_e32 v134, v135, v133
	v_fma_f32 v136, -v124, v134, v135
	s_delay_alu instid0(VALU_DEP_1) | instskip(NEXT) | instid1(VALU_DEP_1)
	v_fmac_f32_e32 v134, v136, v133
	v_fma_f32 v124, -v124, v134, v135
	s_delay_alu instid0(VALU_DEP_1) | instskip(NEXT) | instid1(VALU_DEP_1)
	v_div_fmas_f32 v124, v124, v133, v134
	v_div_fixup_f32 v125, v124, v125, 1.0
	s_delay_alu instid0(VALU_DEP_1)
	v_mul_f32_e32 v124, v127, v125
	v_xor_b32_e32 v125, 0x80000000, v125
.LBB116_952:
	s_and_not1_saveexec_b32 s1, s1
	s_cbranch_execz .LBB116_954
; %bb.953:
	s_delay_alu instid0(VALU_DEP_1) | instskip(SKIP_1) | instid1(VALU_DEP_2)
	v_div_scale_f32 v127, null, v124, v124, v125
	v_div_scale_f32 v135, vcc_lo, v125, v124, v125
	v_rcp_f32_e32 v133, v127
	v_nop
	s_delay_alu instid0(TRANS32_DEP_1) | instskip(NEXT) | instid1(VALU_DEP_1)
	v_fma_f32 v134, -v127, v133, 1.0
	v_fmac_f32_e32 v133, v134, v133
	s_delay_alu instid0(VALU_DEP_1) | instskip(NEXT) | instid1(VALU_DEP_1)
	v_mul_f32_e32 v134, v135, v133
	v_fma_f32 v136, -v127, v134, v135
	s_delay_alu instid0(VALU_DEP_1) | instskip(NEXT) | instid1(VALU_DEP_1)
	v_fmac_f32_e32 v134, v136, v133
	v_fma_f32 v127, -v127, v134, v135
	s_delay_alu instid0(VALU_DEP_1) | instskip(NEXT) | instid1(VALU_DEP_1)
	v_div_fmas_f32 v127, v127, v133, v134
	v_div_fixup_f32 v127, v127, v124, v125
	s_delay_alu instid0(VALU_DEP_1) | instskip(NEXT) | instid1(VALU_DEP_1)
	v_fmac_f32_e32 v124, v125, v127
	v_div_scale_f32 v125, null, v124, v124, 1.0
	s_delay_alu instid0(VALU_DEP_1) | instskip(SKIP_1) | instid1(TRANS32_DEP_1)
	v_rcp_f32_e32 v133, v125
	v_nop
	v_fma_f32 v134, -v125, v133, 1.0
	s_delay_alu instid0(VALU_DEP_1) | instskip(SKIP_1) | instid1(VALU_DEP_1)
	v_fmac_f32_e32 v133, v134, v133
	v_div_scale_f32 v134, vcc_lo, 1.0, v124, 1.0
	v_mul_f32_e32 v135, v134, v133
	s_delay_alu instid0(VALU_DEP_1) | instskip(NEXT) | instid1(VALU_DEP_1)
	v_fma_f32 v136, -v125, v135, v134
	v_fmac_f32_e32 v135, v136, v133
	s_delay_alu instid0(VALU_DEP_1) | instskip(NEXT) | instid1(VALU_DEP_1)
	v_fma_f32 v125, -v125, v135, v134
	v_div_fmas_f32 v125, v125, v133, v135
	s_delay_alu instid0(VALU_DEP_1) | instskip(NEXT) | instid1(VALU_DEP_1)
	v_div_fixup_f32 v124, v125, v124, 1.0
	v_mul_f32_e64 v125, v127, -v124
.LBB116_954:
	s_or_b32 exec_lo, exec_lo, s1
.LBB116_955:
	s_delay_alu instid0(SALU_CYCLE_1) | instskip(NEXT) | instid1(SALU_CYCLE_1)
	s_or_b32 exec_lo, exec_lo, s0
	s_mov_b32 s0, exec_lo
	v_cmpx_ne_u32_e64 v132, v126
	s_xor_b32 s0, exec_lo, s0
	s_cbranch_execz .LBB116_961
; %bb.956:
	s_mov_b32 s1, exec_lo
	v_cmpx_eq_u32_e32 45, v132
	s_cbranch_execz .LBB116_960
; %bb.957:
	v_cmp_ne_u32_e32 vcc_lo, 45, v126
	s_xor_b32 s12, s16, -1
	s_delay_alu instid0(SALU_CYCLE_1) | instskip(NEXT) | instid1(SALU_CYCLE_1)
	s_and_b32 s13, s12, vcc_lo
	s_and_saveexec_b32 s12, s13
	s_cbranch_execz .LBB116_959
; %bb.958:
	v_ashrrev_i32_e32 v127, 31, v126
	s_delay_alu instid0(VALU_DEP_1)
	v_lshl_add_u64 v[132:133], v[126:127], 2, v[4:5]
	s_clause 0x1
	global_load_b32 v127, v[132:133], off
	global_load_b32 v131, v[4:5], off offset:180
	s_wait_loadcnt 0x1
	global_store_b32 v[4:5], v127, off offset:180
	s_wait_loadcnt 0x0
	global_store_b32 v[132:133], v131, off
.LBB116_959:
	s_wait_xcnt 0x0
	s_or_b32 exec_lo, exec_lo, s12
	v_dual_mov_b32 v132, v126 :: v_dual_mov_b32 v131, v126
.LBB116_960:
	s_or_b32 exec_lo, exec_lo, s1
.LBB116_961:
	s_and_not1_saveexec_b32 s0, s0
	s_cbranch_execz .LBB116_963
; %bb.962:
	v_dual_mov_b32 v126, v82 :: v_dual_mov_b32 v127, v83
	v_dual_mov_b32 v132, v80 :: v_dual_mov_b32 v133, v81
	ds_store_2addr_b64 v128, v[126:127], v[132:133] offset0:46 offset1:47
	v_dual_mov_b32 v126, v120 :: v_dual_mov_b32 v127, v121
	v_dual_mov_b32 v132, v118 :: v_dual_mov_b32 v133, v119
	ds_store_2addr_b64 v128, v[126:127], v[132:133] offset0:48 offset1:49
	v_dual_mov_b32 v126, v94 :: v_dual_mov_b32 v127, v95
	v_dual_mov_b32 v132, v96 :: v_dual_mov_b32 v133, v97
	ds_store_2addr_b64 v128, v[126:127], v[132:133] offset0:50 offset1:51
	v_dual_mov_b32 v126, v114 :: v_dual_mov_b32 v127, v115
	v_dual_mov_b32 v132, v112 :: v_dual_mov_b32 v133, v113
	ds_store_2addr_b64 v128, v[126:127], v[132:133] offset0:52 offset1:53
	v_dual_mov_b32 v126, v92 :: v_dual_mov_b32 v127, v93
	v_dual_mov_b32 v132, v90 :: v_dual_mov_b32 v133, v91
	ds_store_2addr_b64 v128, v[126:127], v[132:133] offset0:54 offset1:55
	v_dual_mov_b32 v126, v104 :: v_dual_mov_b32 v127, v105
	v_dual_mov_b32 v132, v98 :: v_dual_mov_b32 v133, v99
	ds_store_2addr_b64 v128, v[126:127], v[132:133] offset0:56 offset1:57
	ds_store_b64 v128, v[122:123] offset:464
	v_mov_b32_e32 v132, 45
.LBB116_963:
	s_or_b32 exec_lo, exec_lo, s0
	s_delay_alu instid0(SALU_CYCLE_1)
	s_mov_b32 s0, exec_lo
	s_wait_storecnt_dscnt 0x0
	s_barrier_signal -1
	s_barrier_wait -1
	v_cmpx_lt_i32_e32 45, v132
	s_cbranch_execz .LBB116_965
; %bb.964:
	v_pk_mul_f32 v[126:127], v[124:125], v[108:109] op_sel:[1,1] op_sel_hi:[0,1]
	s_delay_alu instid0(VALU_DEP_1)
	v_pk_fma_f32 v[134:135], v[124:125], v[108:109], v[126:127] op_sel_hi:[1,0,1] neg_lo:[0,0,1] neg_hi:[0,0,1]
	v_pk_fma_f32 v[136:137], v[124:125], v[108:109], v[126:127] op_sel_hi:[1,0,1]
	ds_load_2addr_b64 v[124:127], v128 offset0:46 offset1:47
	v_dual_mov_b32 v108, v134 :: v_dual_mov_b32 v109, v137
	s_wait_dscnt 0x0
	v_pk_mul_f32 v[138:139], v[124:125], v[136:137] op_sel:[0,1]
	s_delay_alu instid0(VALU_DEP_1) | instskip(SKIP_1) | instid1(VALU_DEP_1)
	v_pk_fma_f32 v[140:141], v[124:125], v[134:135], v[138:139] op_sel:[0,0,1] op_sel_hi:[1,1,0] neg_lo:[0,0,1] neg_hi:[0,0,1]
	v_pk_fma_f32 v[124:125], v[124:125], v[134:135], v[138:139] op_sel:[0,0,1] op_sel_hi:[1,0,0]
	v_mov_b32_e32 v141, v125
	v_pk_mul_f32 v[124:125], v[126:127], v[136:137] op_sel:[0,1]
	s_delay_alu instid0(VALU_DEP_1) | instskip(SKIP_1) | instid1(VALU_DEP_1)
	v_pk_fma_f32 v[138:139], v[126:127], v[134:135], v[124:125] op_sel:[0,0,1] op_sel_hi:[1,1,0] neg_lo:[0,0,1] neg_hi:[0,0,1]
	v_pk_fma_f32 v[124:125], v[126:127], v[134:135], v[124:125] op_sel:[0,0,1] op_sel_hi:[1,0,0]
	v_mov_b32_e32 v139, v125
	ds_load_2addr_b64 v[124:127], v128 offset0:48 offset1:49
	v_pk_add_f32 v[82:83], v[82:83], v[140:141] neg_lo:[0,1] neg_hi:[0,1]
	v_pk_add_f32 v[80:81], v[80:81], v[138:139] neg_lo:[0,1] neg_hi:[0,1]
	s_wait_dscnt 0x0
	v_pk_mul_f32 v[138:139], v[124:125], v[136:137] op_sel:[0,1]
	s_delay_alu instid0(VALU_DEP_1) | instskip(SKIP_2) | instid1(VALU_DEP_2)
	v_pk_fma_f32 v[140:141], v[124:125], v[134:135], v[138:139] op_sel:[0,0,1] op_sel_hi:[1,1,0] neg_lo:[0,0,1] neg_hi:[0,0,1]
	v_pk_fma_f32 v[124:125], v[124:125], v[134:135], v[138:139] op_sel:[0,0,1] op_sel_hi:[1,0,0]
	v_dual_mul_f32 v138, v127, v137 :: v_dual_mov_b32 v124, v127
	v_dual_mov_b32 v141, v125 :: v_dual_mov_b32 v125, v126
	s_delay_alu instid0(VALU_DEP_2) | instskip(SKIP_1) | instid1(VALU_DEP_3)
	v_pk_fma_f32 v[138:139], v[126:127], v[108:109], v[138:139] op_sel_hi:[1,1,0] neg_lo:[0,0,1] neg_hi:[0,0,1]
	v_mul_f32_e32 v126, v127, v134
	v_pk_add_f32 v[120:121], v[120:121], v[140:141] neg_lo:[0,1] neg_hi:[0,1]
	s_delay_alu instid0(VALU_DEP_2) | instskip(NEXT) | instid1(VALU_DEP_1)
	v_pk_fma_f32 v[124:125], v[124:125], v[108:109], v[126:127] op_sel_hi:[1,1,0]
	v_mov_b32_e32 v139, v125
	ds_load_2addr_b64 v[124:127], v128 offset0:50 offset1:51
	v_pk_add_f32 v[118:119], v[118:119], v[138:139] neg_lo:[0,1] neg_hi:[0,1]
	s_wait_dscnt 0x0
	v_pk_mul_f32 v[138:139], v[124:125], v[136:137] op_sel:[0,1]
	s_delay_alu instid0(VALU_DEP_1) | instskip(SKIP_1) | instid1(VALU_DEP_1)
	v_pk_fma_f32 v[140:141], v[124:125], v[134:135], v[138:139] op_sel:[0,0,1] op_sel_hi:[1,1,0] neg_lo:[0,0,1] neg_hi:[0,0,1]
	v_pk_fma_f32 v[124:125], v[124:125], v[134:135], v[138:139] op_sel:[0,0,1] op_sel_hi:[1,0,0]
	v_mov_b32_e32 v141, v125
	v_pk_mul_f32 v[124:125], v[126:127], v[136:137] op_sel:[0,1]
	s_delay_alu instid0(VALU_DEP_1) | instskip(SKIP_1) | instid1(VALU_DEP_1)
	v_pk_fma_f32 v[138:139], v[126:127], v[134:135], v[124:125] op_sel:[0,0,1] op_sel_hi:[1,1,0] neg_lo:[0,0,1] neg_hi:[0,0,1]
	v_pk_fma_f32 v[124:125], v[126:127], v[134:135], v[124:125] op_sel:[0,0,1] op_sel_hi:[1,0,0]
	v_mov_b32_e32 v139, v125
	ds_load_2addr_b64 v[124:127], v128 offset0:52 offset1:53
	v_pk_add_f32 v[94:95], v[94:95], v[140:141] neg_lo:[0,1] neg_hi:[0,1]
	v_pk_add_f32 v[96:97], v[96:97], v[138:139] neg_lo:[0,1] neg_hi:[0,1]
	s_wait_dscnt 0x0
	v_pk_mul_f32 v[138:139], v[124:125], v[136:137] op_sel:[0,1]
	s_delay_alu instid0(VALU_DEP_1) | instskip(SKIP_1) | instid1(VALU_DEP_1)
	v_pk_fma_f32 v[140:141], v[124:125], v[134:135], v[138:139] op_sel:[0,0,1] op_sel_hi:[1,1,0] neg_lo:[0,0,1] neg_hi:[0,0,1]
	v_pk_fma_f32 v[124:125], v[124:125], v[134:135], v[138:139] op_sel:[0,0,1] op_sel_hi:[1,0,0]
	v_mov_b32_e32 v141, v125
	v_pk_mul_f32 v[124:125], v[126:127], v[136:137] op_sel:[0,1]
	s_delay_alu instid0(VALU_DEP_1) | instskip(SKIP_1) | instid1(VALU_DEP_1)
	v_pk_fma_f32 v[138:139], v[126:127], v[134:135], v[124:125] op_sel:[0,0,1] op_sel_hi:[1,1,0] neg_lo:[0,0,1] neg_hi:[0,0,1]
	v_pk_fma_f32 v[124:125], v[126:127], v[134:135], v[124:125] op_sel:[0,0,1] op_sel_hi:[1,0,0]
	v_mov_b32_e32 v139, v125
	ds_load_2addr_b64 v[124:127], v128 offset0:54 offset1:55
	v_pk_add_f32 v[114:115], v[114:115], v[140:141] neg_lo:[0,1] neg_hi:[0,1]
	v_pk_add_f32 v[112:113], v[112:113], v[138:139] neg_lo:[0,1] neg_hi:[0,1]
	s_wait_dscnt 0x0
	v_dual_mul_f32 v138, v125, v137 :: v_dual_mul_f32 v140, v125, v134
	s_delay_alu instid0(VALU_DEP_1) | instskip(NEXT) | instid1(VALU_DEP_2)
	v_pk_fma_f32 v[138:139], v[124:125], v[108:109], v[138:139] op_sel_hi:[1,1,0] neg_lo:[0,0,1] neg_hi:[0,0,1]
	v_pk_fma_f32 v[124:125], v[124:125], v[108:109], v[140:141] op_sel:[1,0,0] op_sel_hi:[0,1,0]
	s_delay_alu instid0(VALU_DEP_1) | instskip(SKIP_1) | instid1(VALU_DEP_2)
	v_mov_b32_e32 v139, v125
	v_pk_mul_f32 v[124:125], v[126:127], v[136:137] op_sel:[0,1]
	v_pk_add_f32 v[92:93], v[92:93], v[138:139] neg_lo:[0,1] neg_hi:[0,1]
	s_delay_alu instid0(VALU_DEP_2) | instskip(SKIP_1) | instid1(VALU_DEP_1)
	v_pk_fma_f32 v[138:139], v[126:127], v[134:135], v[124:125] op_sel:[0,0,1] op_sel_hi:[1,1,0] neg_lo:[0,0,1] neg_hi:[0,0,1]
	v_pk_fma_f32 v[124:125], v[126:127], v[134:135], v[124:125] op_sel:[0,0,1] op_sel_hi:[1,0,0]
	v_mov_b32_e32 v139, v125
	ds_load_2addr_b64 v[124:127], v128 offset0:56 offset1:57
	v_pk_add_f32 v[90:91], v[90:91], v[138:139] neg_lo:[0,1] neg_hi:[0,1]
	s_wait_dscnt 0x0
	v_pk_mul_f32 v[138:139], v[124:125], v[136:137] op_sel:[0,1]
	s_delay_alu instid0(VALU_DEP_1) | instskip(SKIP_1) | instid1(VALU_DEP_1)
	v_pk_fma_f32 v[140:141], v[124:125], v[134:135], v[138:139] op_sel:[0,0,1] op_sel_hi:[1,1,0] neg_lo:[0,0,1] neg_hi:[0,0,1]
	v_pk_fma_f32 v[124:125], v[124:125], v[134:135], v[138:139] op_sel:[0,0,1] op_sel_hi:[1,0,0]
	v_mov_b32_e32 v141, v125
	v_pk_mul_f32 v[124:125], v[126:127], v[136:137] op_sel:[0,1]
	s_delay_alu instid0(VALU_DEP_2) | instskip(NEXT) | instid1(VALU_DEP_2)
	v_pk_add_f32 v[104:105], v[104:105], v[140:141] neg_lo:[0,1] neg_hi:[0,1]
	v_pk_fma_f32 v[138:139], v[126:127], v[134:135], v[124:125] op_sel:[0,0,1] op_sel_hi:[1,1,0] neg_lo:[0,0,1] neg_hi:[0,0,1]
	v_pk_fma_f32 v[124:125], v[126:127], v[134:135], v[124:125] op_sel:[0,0,1] op_sel_hi:[1,0,0]
	s_delay_alu instid0(VALU_DEP_1) | instskip(SKIP_4) | instid1(VALU_DEP_1)
	v_mov_b32_e32 v139, v125
	ds_load_b64 v[124:125], v128 offset:464
	v_pk_add_f32 v[98:99], v[98:99], v[138:139] neg_lo:[0,1] neg_hi:[0,1]
	s_wait_dscnt 0x0
	v_pk_mul_f32 v[126:127], v[124:125], v[136:137] op_sel:[0,1]
	v_pk_fma_f32 v[136:137], v[124:125], v[134:135], v[126:127] op_sel:[0,0,1] op_sel_hi:[1,1,0] neg_lo:[0,0,1] neg_hi:[0,0,1]
	v_pk_fma_f32 v[124:125], v[124:125], v[134:135], v[126:127] op_sel:[0,0,1] op_sel_hi:[1,0,0]
	s_delay_alu instid0(VALU_DEP_1) | instskip(NEXT) | instid1(VALU_DEP_1)
	v_mov_b32_e32 v137, v125
	v_pk_add_f32 v[122:123], v[122:123], v[136:137] neg_lo:[0,1] neg_hi:[0,1]
.LBB116_965:
	s_or_b32 exec_lo, exec_lo, s0
	v_lshl_add_u32 v124, v132, 3, v128
	s_barrier_signal -1
	s_barrier_wait -1
	ds_store_b64 v124, v[82:83]
	s_wait_dscnt 0x0
	s_barrier_signal -1
	s_barrier_wait -1
	ds_load_b64 v[124:125], v128 offset:368
	v_mov_b32_e32 v126, 46
	s_cmp_lt_i32 s18, 48
	s_cbranch_scc1 .LBB116_968
; %bb.966:
	v_add3_u32 v127, v129, 0, 0x178
	v_mov_b32_e32 v126, 46
	s_mov_b32 s0, 47
.LBB116_967:                            ; =>This Inner Loop Header: Depth=1
	ds_load_b64 v[134:135], v127
	s_wait_dscnt 0x1
	v_cmp_gt_f32_e32 vcc_lo, 0, v124
	v_cndmask_b32_e64 v136, v124, -v124, vcc_lo
	v_cmp_gt_f32_e32 vcc_lo, 0, v125
	v_cndmask_b32_e64 v138, v125, -v125, vcc_lo
	s_wait_dscnt 0x0
	v_cmp_gt_f32_e32 vcc_lo, 0, v134
	v_cndmask_b32_e64 v137, v134, -v134, vcc_lo
	v_cmp_gt_f32_e32 vcc_lo, 0, v135
	v_cndmask_b32_e64 v139, v135, -v135, vcc_lo
	s_delay_alu instid0(VALU_DEP_1) | instskip(NEXT) | instid1(VALU_DEP_1)
	v_pk_add_f32 v[136:137], v[136:137], v[138:139]
	v_cmp_lt_f32_e32 vcc_lo, v136, v137
	v_dual_cndmask_b32 v124, v124, v134 :: v_dual_add_nc_u32 v127, 8, v127
	v_cndmask_b32_e32 v125, v125, v135, vcc_lo
	v_cndmask_b32_e64 v126, v126, s0, vcc_lo
	s_add_co_i32 s0, s0, 1
	s_delay_alu instid0(SALU_CYCLE_1)
	s_cmp_lg_u32 s18, s0
	s_cbranch_scc1 .LBB116_967
.LBB116_968:
	s_wait_dscnt 0x0
	v_cmp_eq_f32_e32 vcc_lo, 0, v124
	v_cmp_eq_f32_e64 s0, 0, v125
	s_and_b32 s0, vcc_lo, s0
	s_delay_alu instid0(SALU_CYCLE_1) | instskip(NEXT) | instid1(SALU_CYCLE_1)
	s_and_saveexec_b32 s1, s0
	s_xor_b32 s0, exec_lo, s1
; %bb.969:
	v_cmp_ne_u32_e32 vcc_lo, 0, v130
	v_cndmask_b32_e32 v130, 47, v130, vcc_lo
; %bb.970:
	s_and_not1_saveexec_b32 s0, s0
	s_cbranch_execz .LBB116_976
; %bb.971:
	v_cmp_ngt_f32_e64 s1, |v124|, |v125|
	s_and_saveexec_b32 s12, s1
	s_delay_alu instid0(SALU_CYCLE_1)
	s_xor_b32 s1, exec_lo, s12
	s_cbranch_execz .LBB116_973
; %bb.972:
	v_div_scale_f32 v127, null, v125, v125, v124
	v_div_scale_f32 v135, vcc_lo, v124, v125, v124
	s_delay_alu instid0(VALU_DEP_2) | instskip(SKIP_1) | instid1(TRANS32_DEP_1)
	v_rcp_f32_e32 v133, v127
	v_nop
	v_fma_f32 v134, -v127, v133, 1.0
	s_delay_alu instid0(VALU_DEP_1) | instskip(NEXT) | instid1(VALU_DEP_1)
	v_fmac_f32_e32 v133, v134, v133
	v_mul_f32_e32 v134, v135, v133
	s_delay_alu instid0(VALU_DEP_1) | instskip(NEXT) | instid1(VALU_DEP_1)
	v_fma_f32 v136, -v127, v134, v135
	v_fmac_f32_e32 v134, v136, v133
	s_delay_alu instid0(VALU_DEP_1) | instskip(NEXT) | instid1(VALU_DEP_1)
	v_fma_f32 v127, -v127, v134, v135
	v_div_fmas_f32 v127, v127, v133, v134
	s_delay_alu instid0(VALU_DEP_1) | instskip(NEXT) | instid1(VALU_DEP_1)
	v_div_fixup_f32 v127, v127, v125, v124
	v_fmac_f32_e32 v125, v124, v127
	s_delay_alu instid0(VALU_DEP_1) | instskip(SKIP_1) | instid1(VALU_DEP_2)
	v_div_scale_f32 v124, null, v125, v125, 1.0
	v_div_scale_f32 v135, vcc_lo, 1.0, v125, 1.0
	v_rcp_f32_e32 v133, v124
	v_nop
	s_delay_alu instid0(TRANS32_DEP_1) | instskip(NEXT) | instid1(VALU_DEP_1)
	v_fma_f32 v134, -v124, v133, 1.0
	v_fmac_f32_e32 v133, v134, v133
	s_delay_alu instid0(VALU_DEP_1) | instskip(NEXT) | instid1(VALU_DEP_1)
	v_mul_f32_e32 v134, v135, v133
	v_fma_f32 v136, -v124, v134, v135
	s_delay_alu instid0(VALU_DEP_1) | instskip(NEXT) | instid1(VALU_DEP_1)
	v_fmac_f32_e32 v134, v136, v133
	v_fma_f32 v124, -v124, v134, v135
	s_delay_alu instid0(VALU_DEP_1) | instskip(NEXT) | instid1(VALU_DEP_1)
	v_div_fmas_f32 v124, v124, v133, v134
	v_div_fixup_f32 v125, v124, v125, 1.0
	s_delay_alu instid0(VALU_DEP_1)
	v_mul_f32_e32 v124, v127, v125
	v_xor_b32_e32 v125, 0x80000000, v125
.LBB116_973:
	s_and_not1_saveexec_b32 s1, s1
	s_cbranch_execz .LBB116_975
; %bb.974:
	s_delay_alu instid0(VALU_DEP_1) | instskip(SKIP_1) | instid1(VALU_DEP_2)
	v_div_scale_f32 v127, null, v124, v124, v125
	v_div_scale_f32 v135, vcc_lo, v125, v124, v125
	v_rcp_f32_e32 v133, v127
	v_nop
	s_delay_alu instid0(TRANS32_DEP_1) | instskip(NEXT) | instid1(VALU_DEP_1)
	v_fma_f32 v134, -v127, v133, 1.0
	v_fmac_f32_e32 v133, v134, v133
	s_delay_alu instid0(VALU_DEP_1) | instskip(NEXT) | instid1(VALU_DEP_1)
	v_mul_f32_e32 v134, v135, v133
	v_fma_f32 v136, -v127, v134, v135
	s_delay_alu instid0(VALU_DEP_1) | instskip(NEXT) | instid1(VALU_DEP_1)
	v_fmac_f32_e32 v134, v136, v133
	v_fma_f32 v127, -v127, v134, v135
	s_delay_alu instid0(VALU_DEP_1) | instskip(NEXT) | instid1(VALU_DEP_1)
	v_div_fmas_f32 v127, v127, v133, v134
	v_div_fixup_f32 v127, v127, v124, v125
	s_delay_alu instid0(VALU_DEP_1) | instskip(NEXT) | instid1(VALU_DEP_1)
	v_fmac_f32_e32 v124, v125, v127
	v_div_scale_f32 v125, null, v124, v124, 1.0
	s_delay_alu instid0(VALU_DEP_1) | instskip(SKIP_1) | instid1(TRANS32_DEP_1)
	v_rcp_f32_e32 v133, v125
	v_nop
	v_fma_f32 v134, -v125, v133, 1.0
	s_delay_alu instid0(VALU_DEP_1) | instskip(SKIP_1) | instid1(VALU_DEP_1)
	v_fmac_f32_e32 v133, v134, v133
	v_div_scale_f32 v134, vcc_lo, 1.0, v124, 1.0
	v_mul_f32_e32 v135, v134, v133
	s_delay_alu instid0(VALU_DEP_1) | instskip(NEXT) | instid1(VALU_DEP_1)
	v_fma_f32 v136, -v125, v135, v134
	v_fmac_f32_e32 v135, v136, v133
	s_delay_alu instid0(VALU_DEP_1) | instskip(NEXT) | instid1(VALU_DEP_1)
	v_fma_f32 v125, -v125, v135, v134
	v_div_fmas_f32 v125, v125, v133, v135
	s_delay_alu instid0(VALU_DEP_1) | instskip(NEXT) | instid1(VALU_DEP_1)
	v_div_fixup_f32 v124, v125, v124, 1.0
	v_mul_f32_e64 v125, v127, -v124
.LBB116_975:
	s_or_b32 exec_lo, exec_lo, s1
.LBB116_976:
	s_delay_alu instid0(SALU_CYCLE_1) | instskip(NEXT) | instid1(SALU_CYCLE_1)
	s_or_b32 exec_lo, exec_lo, s0
	s_mov_b32 s0, exec_lo
	v_cmpx_ne_u32_e64 v132, v126
	s_xor_b32 s0, exec_lo, s0
	s_cbranch_execz .LBB116_982
; %bb.977:
	s_mov_b32 s1, exec_lo
	v_cmpx_eq_u32_e32 46, v132
	s_cbranch_execz .LBB116_981
; %bb.978:
	v_cmp_ne_u32_e32 vcc_lo, 46, v126
	s_xor_b32 s12, s16, -1
	s_delay_alu instid0(SALU_CYCLE_1) | instskip(NEXT) | instid1(SALU_CYCLE_1)
	s_and_b32 s13, s12, vcc_lo
	s_and_saveexec_b32 s12, s13
	s_cbranch_execz .LBB116_980
; %bb.979:
	v_ashrrev_i32_e32 v127, 31, v126
	s_delay_alu instid0(VALU_DEP_1)
	v_lshl_add_u64 v[132:133], v[126:127], 2, v[4:5]
	s_clause 0x1
	global_load_b32 v127, v[132:133], off
	global_load_b32 v131, v[4:5], off offset:184
	s_wait_loadcnt 0x1
	global_store_b32 v[4:5], v127, off offset:184
	s_wait_loadcnt 0x0
	global_store_b32 v[132:133], v131, off
.LBB116_980:
	s_wait_xcnt 0x0
	s_or_b32 exec_lo, exec_lo, s12
	v_dual_mov_b32 v132, v126 :: v_dual_mov_b32 v131, v126
.LBB116_981:
	s_or_b32 exec_lo, exec_lo, s1
.LBB116_982:
	s_and_not1_saveexec_b32 s0, s0
	s_cbranch_execz .LBB116_984
; %bb.983:
	v_mov_b32_e32 v132, 46
	ds_store_2addr_b64 v128, v[80:81], v[120:121] offset0:47 offset1:48
	ds_store_2addr_b64 v128, v[118:119], v[94:95] offset0:49 offset1:50
	;; [unrolled: 1-line block ×6, first 2 shown]
.LBB116_984:
	s_or_b32 exec_lo, exec_lo, s0
	s_delay_alu instid0(SALU_CYCLE_1)
	s_mov_b32 s0, exec_lo
	s_wait_storecnt_dscnt 0x0
	s_barrier_signal -1
	s_barrier_wait -1
	v_cmpx_lt_i32_e32 46, v132
	s_cbranch_execz .LBB116_986
; %bb.985:
	v_pk_mul_f32 v[126:127], v[124:125], v[82:83] op_sel:[1,1] op_sel_hi:[0,1]
	s_delay_alu instid0(VALU_DEP_1)
	v_pk_fma_f32 v[134:135], v[124:125], v[82:83], v[126:127] op_sel_hi:[1,0,1] neg_lo:[0,0,1] neg_hi:[0,0,1]
	v_pk_fma_f32 v[136:137], v[124:125], v[82:83], v[126:127] op_sel_hi:[1,0,1]
	ds_load_2addr_b64 v[124:127], v128 offset0:47 offset1:48
	v_dual_mov_b32 v82, v134 :: v_dual_mov_b32 v83, v137
	s_wait_dscnt 0x0
	v_pk_mul_f32 v[138:139], v[124:125], v[136:137] op_sel:[0,1]
	s_delay_alu instid0(VALU_DEP_1) | instskip(SKIP_1) | instid1(VALU_DEP_1)
	v_pk_fma_f32 v[140:141], v[124:125], v[134:135], v[138:139] op_sel:[0,0,1] op_sel_hi:[1,1,0] neg_lo:[0,0,1] neg_hi:[0,0,1]
	v_pk_fma_f32 v[124:125], v[124:125], v[134:135], v[138:139] op_sel:[0,0,1] op_sel_hi:[1,0,0]
	v_mov_b32_e32 v141, v125
	v_pk_mul_f32 v[124:125], v[126:127], v[136:137] op_sel:[0,1]
	s_delay_alu instid0(VALU_DEP_1) | instskip(SKIP_1) | instid1(VALU_DEP_1)
	v_pk_fma_f32 v[138:139], v[126:127], v[134:135], v[124:125] op_sel:[0,0,1] op_sel_hi:[1,1,0] neg_lo:[0,0,1] neg_hi:[0,0,1]
	v_pk_fma_f32 v[124:125], v[126:127], v[134:135], v[124:125] op_sel:[0,0,1] op_sel_hi:[1,0,0]
	v_mov_b32_e32 v139, v125
	ds_load_2addr_b64 v[124:127], v128 offset0:49 offset1:50
	v_pk_add_f32 v[80:81], v[80:81], v[140:141] neg_lo:[0,1] neg_hi:[0,1]
	v_pk_add_f32 v[120:121], v[120:121], v[138:139] neg_lo:[0,1] neg_hi:[0,1]
	s_wait_dscnt 0x0
	v_pk_mul_f32 v[138:139], v[124:125], v[136:137] op_sel:[0,1]
	s_delay_alu instid0(VALU_DEP_1) | instskip(SKIP_2) | instid1(VALU_DEP_2)
	v_pk_fma_f32 v[140:141], v[124:125], v[134:135], v[138:139] op_sel:[0,0,1] op_sel_hi:[1,1,0] neg_lo:[0,0,1] neg_hi:[0,0,1]
	v_pk_fma_f32 v[124:125], v[124:125], v[134:135], v[138:139] op_sel:[0,0,1] op_sel_hi:[1,0,0]
	v_dual_mul_f32 v138, v127, v137 :: v_dual_mov_b32 v124, v127
	v_dual_mov_b32 v141, v125 :: v_dual_mov_b32 v125, v126
	s_delay_alu instid0(VALU_DEP_2) | instskip(SKIP_1) | instid1(VALU_DEP_3)
	v_pk_fma_f32 v[138:139], v[126:127], v[82:83], v[138:139] op_sel_hi:[1,1,0] neg_lo:[0,0,1] neg_hi:[0,0,1]
	v_mul_f32_e32 v126, v127, v134
	v_pk_add_f32 v[118:119], v[118:119], v[140:141] neg_lo:[0,1] neg_hi:[0,1]
	s_delay_alu instid0(VALU_DEP_2) | instskip(NEXT) | instid1(VALU_DEP_1)
	v_pk_fma_f32 v[124:125], v[124:125], v[82:83], v[126:127] op_sel_hi:[1,1,0]
	v_mov_b32_e32 v139, v125
	ds_load_2addr_b64 v[124:127], v128 offset0:51 offset1:52
	v_pk_add_f32 v[94:95], v[94:95], v[138:139] neg_lo:[0,1] neg_hi:[0,1]
	s_wait_dscnt 0x0
	v_pk_mul_f32 v[138:139], v[124:125], v[136:137] op_sel:[0,1]
	s_delay_alu instid0(VALU_DEP_1) | instskip(SKIP_1) | instid1(VALU_DEP_1)
	v_pk_fma_f32 v[140:141], v[124:125], v[134:135], v[138:139] op_sel:[0,0,1] op_sel_hi:[1,1,0] neg_lo:[0,0,1] neg_hi:[0,0,1]
	v_pk_fma_f32 v[124:125], v[124:125], v[134:135], v[138:139] op_sel:[0,0,1] op_sel_hi:[1,0,0]
	v_mov_b32_e32 v141, v125
	v_pk_mul_f32 v[124:125], v[126:127], v[136:137] op_sel:[0,1]
	s_delay_alu instid0(VALU_DEP_1) | instskip(SKIP_1) | instid1(VALU_DEP_1)
	v_pk_fma_f32 v[138:139], v[126:127], v[134:135], v[124:125] op_sel:[0,0,1] op_sel_hi:[1,1,0] neg_lo:[0,0,1] neg_hi:[0,0,1]
	v_pk_fma_f32 v[124:125], v[126:127], v[134:135], v[124:125] op_sel:[0,0,1] op_sel_hi:[1,0,0]
	v_mov_b32_e32 v139, v125
	ds_load_2addr_b64 v[124:127], v128 offset0:53 offset1:54
	v_pk_add_f32 v[96:97], v[96:97], v[140:141] neg_lo:[0,1] neg_hi:[0,1]
	v_pk_add_f32 v[114:115], v[114:115], v[138:139] neg_lo:[0,1] neg_hi:[0,1]
	s_wait_dscnt 0x0
	v_pk_mul_f32 v[138:139], v[124:125], v[136:137] op_sel:[0,1]
	s_delay_alu instid0(VALU_DEP_1) | instskip(SKIP_1) | instid1(VALU_DEP_1)
	v_pk_fma_f32 v[140:141], v[124:125], v[134:135], v[138:139] op_sel:[0,0,1] op_sel_hi:[1,1,0] neg_lo:[0,0,1] neg_hi:[0,0,1]
	v_pk_fma_f32 v[124:125], v[124:125], v[134:135], v[138:139] op_sel:[0,0,1] op_sel_hi:[1,0,0]
	v_mov_b32_e32 v141, v125
	v_pk_mul_f32 v[124:125], v[126:127], v[136:137] op_sel:[0,1]
	s_delay_alu instid0(VALU_DEP_1) | instskip(SKIP_1) | instid1(VALU_DEP_1)
	v_pk_fma_f32 v[138:139], v[126:127], v[134:135], v[124:125] op_sel:[0,0,1] op_sel_hi:[1,1,0] neg_lo:[0,0,1] neg_hi:[0,0,1]
	v_pk_fma_f32 v[124:125], v[126:127], v[134:135], v[124:125] op_sel:[0,0,1] op_sel_hi:[1,0,0]
	v_mov_b32_e32 v139, v125
	ds_load_2addr_b64 v[124:127], v128 offset0:55 offset1:56
	v_pk_add_f32 v[112:113], v[112:113], v[140:141] neg_lo:[0,1] neg_hi:[0,1]
	v_pk_add_f32 v[92:93], v[92:93], v[138:139] neg_lo:[0,1] neg_hi:[0,1]
	s_wait_dscnt 0x0
	v_dual_mul_f32 v138, v125, v137 :: v_dual_mul_f32 v140, v125, v134
	s_delay_alu instid0(VALU_DEP_1) | instskip(NEXT) | instid1(VALU_DEP_2)
	v_pk_fma_f32 v[138:139], v[124:125], v[82:83], v[138:139] op_sel_hi:[1,1,0] neg_lo:[0,0,1] neg_hi:[0,0,1]
	v_pk_fma_f32 v[124:125], v[124:125], v[82:83], v[140:141] op_sel:[1,0,0] op_sel_hi:[0,1,0]
	s_delay_alu instid0(VALU_DEP_1) | instskip(SKIP_1) | instid1(VALU_DEP_2)
	v_mov_b32_e32 v139, v125
	v_pk_mul_f32 v[124:125], v[126:127], v[136:137] op_sel:[0,1]
	v_pk_add_f32 v[90:91], v[90:91], v[138:139] neg_lo:[0,1] neg_hi:[0,1]
	s_delay_alu instid0(VALU_DEP_2) | instskip(SKIP_1) | instid1(VALU_DEP_1)
	v_pk_fma_f32 v[138:139], v[126:127], v[134:135], v[124:125] op_sel:[0,0,1] op_sel_hi:[1,1,0] neg_lo:[0,0,1] neg_hi:[0,0,1]
	v_pk_fma_f32 v[124:125], v[126:127], v[134:135], v[124:125] op_sel:[0,0,1] op_sel_hi:[1,0,0]
	v_mov_b32_e32 v139, v125
	ds_load_2addr_b64 v[124:127], v128 offset0:57 offset1:58
	v_pk_add_f32 v[104:105], v[104:105], v[138:139] neg_lo:[0,1] neg_hi:[0,1]
	s_wait_dscnt 0x0
	v_pk_mul_f32 v[138:139], v[124:125], v[136:137] op_sel:[0,1]
	v_mul_f32_e32 v136, v127, v137
	s_delay_alu instid0(VALU_DEP_2) | instskip(SKIP_2) | instid1(VALU_DEP_4)
	v_pk_fma_f32 v[140:141], v[124:125], v[134:135], v[138:139] op_sel:[0,0,1] op_sel_hi:[1,1,0] neg_lo:[0,0,1] neg_hi:[0,0,1]
	v_pk_fma_f32 v[124:125], v[124:125], v[134:135], v[138:139] op_sel:[0,0,1] op_sel_hi:[1,0,0]
	v_mov_b32_e32 v124, v127
	v_pk_fma_f32 v[136:137], v[126:127], v[82:83], v[136:137] op_sel_hi:[1,1,0] neg_lo:[0,0,1] neg_hi:[0,0,1]
	s_delay_alu instid0(VALU_DEP_3) | instskip(SKIP_1) | instid1(VALU_DEP_2)
	v_dual_mov_b32 v141, v125 :: v_dual_mov_b32 v125, v126
	v_mul_f32_e32 v126, v127, v134
	v_pk_add_f32 v[98:99], v[98:99], v[140:141] neg_lo:[0,1] neg_hi:[0,1]
	s_delay_alu instid0(VALU_DEP_2) | instskip(NEXT) | instid1(VALU_DEP_1)
	v_pk_fma_f32 v[124:125], v[124:125], v[82:83], v[126:127] op_sel_hi:[1,1,0]
	v_mov_b32_e32 v137, v125
	s_delay_alu instid0(VALU_DEP_1)
	v_pk_add_f32 v[122:123], v[122:123], v[136:137] neg_lo:[0,1] neg_hi:[0,1]
.LBB116_986:
	s_or_b32 exec_lo, exec_lo, s0
	v_lshl_add_u32 v124, v132, 3, v128
	s_barrier_signal -1
	s_barrier_wait -1
	ds_store_b64 v124, v[80:81]
	s_wait_dscnt 0x0
	s_barrier_signal -1
	s_barrier_wait -1
	ds_load_b64 v[124:125], v128 offset:376
	v_mov_b32_e32 v126, 47
	s_cmp_lt_i32 s18, 49
	s_cbranch_scc1 .LBB116_989
; %bb.987:
	v_add3_u32 v127, v129, 0, 0x180
	v_mov_b32_e32 v126, 47
	s_mov_b32 s0, 48
.LBB116_988:                            ; =>This Inner Loop Header: Depth=1
	ds_load_b64 v[134:135], v127
	s_wait_dscnt 0x1
	v_cmp_gt_f32_e32 vcc_lo, 0, v124
	v_cndmask_b32_e64 v136, v124, -v124, vcc_lo
	v_cmp_gt_f32_e32 vcc_lo, 0, v125
	v_cndmask_b32_e64 v138, v125, -v125, vcc_lo
	s_wait_dscnt 0x0
	v_cmp_gt_f32_e32 vcc_lo, 0, v134
	v_cndmask_b32_e64 v137, v134, -v134, vcc_lo
	v_cmp_gt_f32_e32 vcc_lo, 0, v135
	v_cndmask_b32_e64 v139, v135, -v135, vcc_lo
	s_delay_alu instid0(VALU_DEP_1) | instskip(NEXT) | instid1(VALU_DEP_1)
	v_pk_add_f32 v[136:137], v[136:137], v[138:139]
	v_cmp_lt_f32_e32 vcc_lo, v136, v137
	v_dual_cndmask_b32 v124, v124, v134 :: v_dual_add_nc_u32 v127, 8, v127
	v_cndmask_b32_e32 v125, v125, v135, vcc_lo
	v_cndmask_b32_e64 v126, v126, s0, vcc_lo
	s_add_co_i32 s0, s0, 1
	s_delay_alu instid0(SALU_CYCLE_1)
	s_cmp_lg_u32 s18, s0
	s_cbranch_scc1 .LBB116_988
.LBB116_989:
	s_wait_dscnt 0x0
	v_cmp_eq_f32_e32 vcc_lo, 0, v124
	v_cmp_eq_f32_e64 s0, 0, v125
	s_and_b32 s0, vcc_lo, s0
	s_delay_alu instid0(SALU_CYCLE_1) | instskip(NEXT) | instid1(SALU_CYCLE_1)
	s_and_saveexec_b32 s1, s0
	s_xor_b32 s0, exec_lo, s1
; %bb.990:
	v_cmp_ne_u32_e32 vcc_lo, 0, v130
	v_cndmask_b32_e32 v130, 48, v130, vcc_lo
; %bb.991:
	s_and_not1_saveexec_b32 s0, s0
	s_cbranch_execz .LBB116_997
; %bb.992:
	v_cmp_ngt_f32_e64 s1, |v124|, |v125|
	s_and_saveexec_b32 s12, s1
	s_delay_alu instid0(SALU_CYCLE_1)
	s_xor_b32 s1, exec_lo, s12
	s_cbranch_execz .LBB116_994
; %bb.993:
	v_div_scale_f32 v127, null, v125, v125, v124
	v_div_scale_f32 v135, vcc_lo, v124, v125, v124
	s_delay_alu instid0(VALU_DEP_2) | instskip(SKIP_1) | instid1(TRANS32_DEP_1)
	v_rcp_f32_e32 v133, v127
	v_nop
	v_fma_f32 v134, -v127, v133, 1.0
	s_delay_alu instid0(VALU_DEP_1) | instskip(NEXT) | instid1(VALU_DEP_1)
	v_fmac_f32_e32 v133, v134, v133
	v_mul_f32_e32 v134, v135, v133
	s_delay_alu instid0(VALU_DEP_1) | instskip(NEXT) | instid1(VALU_DEP_1)
	v_fma_f32 v136, -v127, v134, v135
	v_fmac_f32_e32 v134, v136, v133
	s_delay_alu instid0(VALU_DEP_1) | instskip(NEXT) | instid1(VALU_DEP_1)
	v_fma_f32 v127, -v127, v134, v135
	v_div_fmas_f32 v127, v127, v133, v134
	s_delay_alu instid0(VALU_DEP_1) | instskip(NEXT) | instid1(VALU_DEP_1)
	v_div_fixup_f32 v127, v127, v125, v124
	v_fmac_f32_e32 v125, v124, v127
	s_delay_alu instid0(VALU_DEP_1) | instskip(SKIP_1) | instid1(VALU_DEP_2)
	v_div_scale_f32 v124, null, v125, v125, 1.0
	v_div_scale_f32 v135, vcc_lo, 1.0, v125, 1.0
	v_rcp_f32_e32 v133, v124
	v_nop
	s_delay_alu instid0(TRANS32_DEP_1) | instskip(NEXT) | instid1(VALU_DEP_1)
	v_fma_f32 v134, -v124, v133, 1.0
	v_fmac_f32_e32 v133, v134, v133
	s_delay_alu instid0(VALU_DEP_1) | instskip(NEXT) | instid1(VALU_DEP_1)
	v_mul_f32_e32 v134, v135, v133
	v_fma_f32 v136, -v124, v134, v135
	s_delay_alu instid0(VALU_DEP_1) | instskip(NEXT) | instid1(VALU_DEP_1)
	v_fmac_f32_e32 v134, v136, v133
	v_fma_f32 v124, -v124, v134, v135
	s_delay_alu instid0(VALU_DEP_1) | instskip(NEXT) | instid1(VALU_DEP_1)
	v_div_fmas_f32 v124, v124, v133, v134
	v_div_fixup_f32 v125, v124, v125, 1.0
	s_delay_alu instid0(VALU_DEP_1)
	v_mul_f32_e32 v124, v127, v125
	v_xor_b32_e32 v125, 0x80000000, v125
.LBB116_994:
	s_and_not1_saveexec_b32 s1, s1
	s_cbranch_execz .LBB116_996
; %bb.995:
	s_delay_alu instid0(VALU_DEP_1) | instskip(SKIP_1) | instid1(VALU_DEP_2)
	v_div_scale_f32 v127, null, v124, v124, v125
	v_div_scale_f32 v135, vcc_lo, v125, v124, v125
	v_rcp_f32_e32 v133, v127
	v_nop
	s_delay_alu instid0(TRANS32_DEP_1) | instskip(NEXT) | instid1(VALU_DEP_1)
	v_fma_f32 v134, -v127, v133, 1.0
	v_fmac_f32_e32 v133, v134, v133
	s_delay_alu instid0(VALU_DEP_1) | instskip(NEXT) | instid1(VALU_DEP_1)
	v_mul_f32_e32 v134, v135, v133
	v_fma_f32 v136, -v127, v134, v135
	s_delay_alu instid0(VALU_DEP_1) | instskip(NEXT) | instid1(VALU_DEP_1)
	v_fmac_f32_e32 v134, v136, v133
	v_fma_f32 v127, -v127, v134, v135
	s_delay_alu instid0(VALU_DEP_1) | instskip(NEXT) | instid1(VALU_DEP_1)
	v_div_fmas_f32 v127, v127, v133, v134
	v_div_fixup_f32 v127, v127, v124, v125
	s_delay_alu instid0(VALU_DEP_1) | instskip(NEXT) | instid1(VALU_DEP_1)
	v_fmac_f32_e32 v124, v125, v127
	v_div_scale_f32 v125, null, v124, v124, 1.0
	s_delay_alu instid0(VALU_DEP_1) | instskip(SKIP_1) | instid1(TRANS32_DEP_1)
	v_rcp_f32_e32 v133, v125
	v_nop
	v_fma_f32 v134, -v125, v133, 1.0
	s_delay_alu instid0(VALU_DEP_1) | instskip(SKIP_1) | instid1(VALU_DEP_1)
	v_fmac_f32_e32 v133, v134, v133
	v_div_scale_f32 v134, vcc_lo, 1.0, v124, 1.0
	v_mul_f32_e32 v135, v134, v133
	s_delay_alu instid0(VALU_DEP_1) | instskip(NEXT) | instid1(VALU_DEP_1)
	v_fma_f32 v136, -v125, v135, v134
	v_fmac_f32_e32 v135, v136, v133
	s_delay_alu instid0(VALU_DEP_1) | instskip(NEXT) | instid1(VALU_DEP_1)
	v_fma_f32 v125, -v125, v135, v134
	v_div_fmas_f32 v125, v125, v133, v135
	s_delay_alu instid0(VALU_DEP_1) | instskip(NEXT) | instid1(VALU_DEP_1)
	v_div_fixup_f32 v124, v125, v124, 1.0
	v_mul_f32_e64 v125, v127, -v124
.LBB116_996:
	s_or_b32 exec_lo, exec_lo, s1
.LBB116_997:
	s_delay_alu instid0(SALU_CYCLE_1) | instskip(NEXT) | instid1(SALU_CYCLE_1)
	s_or_b32 exec_lo, exec_lo, s0
	s_mov_b32 s0, exec_lo
	v_cmpx_ne_u32_e64 v132, v126
	s_xor_b32 s0, exec_lo, s0
	s_cbranch_execz .LBB116_1003
; %bb.998:
	s_mov_b32 s1, exec_lo
	v_cmpx_eq_u32_e32 47, v132
	s_cbranch_execz .LBB116_1002
; %bb.999:
	v_cmp_ne_u32_e32 vcc_lo, 47, v126
	s_xor_b32 s12, s16, -1
	s_delay_alu instid0(SALU_CYCLE_1) | instskip(NEXT) | instid1(SALU_CYCLE_1)
	s_and_b32 s13, s12, vcc_lo
	s_and_saveexec_b32 s12, s13
	s_cbranch_execz .LBB116_1001
; %bb.1000:
	v_ashrrev_i32_e32 v127, 31, v126
	s_delay_alu instid0(VALU_DEP_1)
	v_lshl_add_u64 v[132:133], v[126:127], 2, v[4:5]
	s_clause 0x1
	global_load_b32 v127, v[132:133], off
	global_load_b32 v131, v[4:5], off offset:188
	s_wait_loadcnt 0x1
	global_store_b32 v[4:5], v127, off offset:188
	s_wait_loadcnt 0x0
	global_store_b32 v[132:133], v131, off
.LBB116_1001:
	s_wait_xcnt 0x0
	s_or_b32 exec_lo, exec_lo, s12
	v_dual_mov_b32 v132, v126 :: v_dual_mov_b32 v131, v126
.LBB116_1002:
	s_or_b32 exec_lo, exec_lo, s1
.LBB116_1003:
	s_and_not1_saveexec_b32 s0, s0
	s_cbranch_execz .LBB116_1005
; %bb.1004:
	v_dual_mov_b32 v126, v120 :: v_dual_mov_b32 v127, v121
	v_dual_mov_b32 v132, v118 :: v_dual_mov_b32 v133, v119
	ds_store_2addr_b64 v128, v[126:127], v[132:133] offset0:48 offset1:49
	v_dual_mov_b32 v126, v94 :: v_dual_mov_b32 v127, v95
	v_dual_mov_b32 v132, v96 :: v_dual_mov_b32 v133, v97
	ds_store_2addr_b64 v128, v[126:127], v[132:133] offset0:50 offset1:51
	;; [unrolled: 3-line block ×5, first 2 shown]
	ds_store_b64 v128, v[122:123] offset:464
	v_mov_b32_e32 v132, 47
.LBB116_1005:
	s_or_b32 exec_lo, exec_lo, s0
	s_delay_alu instid0(SALU_CYCLE_1)
	s_mov_b32 s0, exec_lo
	s_wait_storecnt_dscnt 0x0
	s_barrier_signal -1
	s_barrier_wait -1
	v_cmpx_lt_i32_e32 47, v132
	s_cbranch_execz .LBB116_1007
; %bb.1006:
	v_pk_mul_f32 v[126:127], v[124:125], v[80:81] op_sel:[1,1] op_sel_hi:[0,1]
	s_delay_alu instid0(VALU_DEP_1)
	v_pk_fma_f32 v[134:135], v[124:125], v[80:81], v[126:127] op_sel_hi:[1,0,1] neg_lo:[0,0,1] neg_hi:[0,0,1]
	v_pk_fma_f32 v[136:137], v[124:125], v[80:81], v[126:127] op_sel_hi:[1,0,1]
	ds_load_2addr_b64 v[124:127], v128 offset0:48 offset1:49
	v_dual_mov_b32 v80, v134 :: v_dual_mov_b32 v81, v137
	s_wait_dscnt 0x0
	v_pk_mul_f32 v[138:139], v[124:125], v[136:137] op_sel:[0,1]
	s_delay_alu instid0(VALU_DEP_1) | instskip(SKIP_1) | instid1(VALU_DEP_1)
	v_pk_fma_f32 v[140:141], v[124:125], v[134:135], v[138:139] op_sel:[0,0,1] op_sel_hi:[1,1,0] neg_lo:[0,0,1] neg_hi:[0,0,1]
	v_pk_fma_f32 v[124:125], v[124:125], v[134:135], v[138:139] op_sel:[0,0,1] op_sel_hi:[1,0,0]
	v_mov_b32_e32 v141, v125
	v_pk_mul_f32 v[124:125], v[126:127], v[136:137] op_sel:[0,1]
	s_delay_alu instid0(VALU_DEP_1) | instskip(SKIP_1) | instid1(VALU_DEP_1)
	v_pk_fma_f32 v[138:139], v[126:127], v[134:135], v[124:125] op_sel:[0,0,1] op_sel_hi:[1,1,0] neg_lo:[0,0,1] neg_hi:[0,0,1]
	v_pk_fma_f32 v[124:125], v[126:127], v[134:135], v[124:125] op_sel:[0,0,1] op_sel_hi:[1,0,0]
	v_mov_b32_e32 v139, v125
	ds_load_2addr_b64 v[124:127], v128 offset0:50 offset1:51
	v_pk_add_f32 v[120:121], v[120:121], v[140:141] neg_lo:[0,1] neg_hi:[0,1]
	v_pk_add_f32 v[118:119], v[118:119], v[138:139] neg_lo:[0,1] neg_hi:[0,1]
	s_wait_dscnt 0x0
	v_pk_mul_f32 v[138:139], v[124:125], v[136:137] op_sel:[0,1]
	s_delay_alu instid0(VALU_DEP_1) | instskip(SKIP_2) | instid1(VALU_DEP_2)
	v_pk_fma_f32 v[140:141], v[124:125], v[134:135], v[138:139] op_sel:[0,0,1] op_sel_hi:[1,1,0] neg_lo:[0,0,1] neg_hi:[0,0,1]
	v_pk_fma_f32 v[124:125], v[124:125], v[134:135], v[138:139] op_sel:[0,0,1] op_sel_hi:[1,0,0]
	v_dual_mul_f32 v138, v127, v137 :: v_dual_mov_b32 v124, v127
	v_dual_mov_b32 v141, v125 :: v_dual_mov_b32 v125, v126
	s_delay_alu instid0(VALU_DEP_2) | instskip(SKIP_1) | instid1(VALU_DEP_3)
	v_pk_fma_f32 v[138:139], v[126:127], v[80:81], v[138:139] op_sel_hi:[1,1,0] neg_lo:[0,0,1] neg_hi:[0,0,1]
	v_mul_f32_e32 v126, v127, v134
	v_pk_add_f32 v[94:95], v[94:95], v[140:141] neg_lo:[0,1] neg_hi:[0,1]
	s_delay_alu instid0(VALU_DEP_2) | instskip(NEXT) | instid1(VALU_DEP_1)
	v_pk_fma_f32 v[124:125], v[124:125], v[80:81], v[126:127] op_sel_hi:[1,1,0]
	v_mov_b32_e32 v139, v125
	ds_load_2addr_b64 v[124:127], v128 offset0:52 offset1:53
	v_pk_add_f32 v[96:97], v[96:97], v[138:139] neg_lo:[0,1] neg_hi:[0,1]
	s_wait_dscnt 0x0
	v_pk_mul_f32 v[138:139], v[124:125], v[136:137] op_sel:[0,1]
	s_delay_alu instid0(VALU_DEP_1) | instskip(SKIP_1) | instid1(VALU_DEP_1)
	v_pk_fma_f32 v[140:141], v[124:125], v[134:135], v[138:139] op_sel:[0,0,1] op_sel_hi:[1,1,0] neg_lo:[0,0,1] neg_hi:[0,0,1]
	v_pk_fma_f32 v[124:125], v[124:125], v[134:135], v[138:139] op_sel:[0,0,1] op_sel_hi:[1,0,0]
	v_mov_b32_e32 v141, v125
	v_pk_mul_f32 v[124:125], v[126:127], v[136:137] op_sel:[0,1]
	s_delay_alu instid0(VALU_DEP_1) | instskip(SKIP_1) | instid1(VALU_DEP_1)
	v_pk_fma_f32 v[138:139], v[126:127], v[134:135], v[124:125] op_sel:[0,0,1] op_sel_hi:[1,1,0] neg_lo:[0,0,1] neg_hi:[0,0,1]
	v_pk_fma_f32 v[124:125], v[126:127], v[134:135], v[124:125] op_sel:[0,0,1] op_sel_hi:[1,0,0]
	v_mov_b32_e32 v139, v125
	ds_load_2addr_b64 v[124:127], v128 offset0:54 offset1:55
	v_pk_add_f32 v[114:115], v[114:115], v[140:141] neg_lo:[0,1] neg_hi:[0,1]
	v_pk_add_f32 v[112:113], v[112:113], v[138:139] neg_lo:[0,1] neg_hi:[0,1]
	s_wait_dscnt 0x0
	v_pk_mul_f32 v[138:139], v[124:125], v[136:137] op_sel:[0,1]
	s_delay_alu instid0(VALU_DEP_1) | instskip(SKIP_1) | instid1(VALU_DEP_1)
	v_pk_fma_f32 v[140:141], v[124:125], v[134:135], v[138:139] op_sel:[0,0,1] op_sel_hi:[1,1,0] neg_lo:[0,0,1] neg_hi:[0,0,1]
	v_pk_fma_f32 v[124:125], v[124:125], v[134:135], v[138:139] op_sel:[0,0,1] op_sel_hi:[1,0,0]
	v_mov_b32_e32 v141, v125
	v_pk_mul_f32 v[124:125], v[126:127], v[136:137] op_sel:[0,1]
	s_delay_alu instid0(VALU_DEP_1) | instskip(SKIP_1) | instid1(VALU_DEP_1)
	v_pk_fma_f32 v[138:139], v[126:127], v[134:135], v[124:125] op_sel:[0,0,1] op_sel_hi:[1,1,0] neg_lo:[0,0,1] neg_hi:[0,0,1]
	v_pk_fma_f32 v[124:125], v[126:127], v[134:135], v[124:125] op_sel:[0,0,1] op_sel_hi:[1,0,0]
	v_mov_b32_e32 v139, v125
	ds_load_2addr_b64 v[124:127], v128 offset0:56 offset1:57
	v_pk_add_f32 v[92:93], v[92:93], v[140:141] neg_lo:[0,1] neg_hi:[0,1]
	v_pk_add_f32 v[90:91], v[90:91], v[138:139] neg_lo:[0,1] neg_hi:[0,1]
	s_wait_dscnt 0x0
	v_dual_mul_f32 v138, v125, v137 :: v_dual_mul_f32 v140, v125, v134
	s_delay_alu instid0(VALU_DEP_1) | instskip(NEXT) | instid1(VALU_DEP_2)
	v_pk_fma_f32 v[138:139], v[124:125], v[80:81], v[138:139] op_sel_hi:[1,1,0] neg_lo:[0,0,1] neg_hi:[0,0,1]
	v_pk_fma_f32 v[124:125], v[124:125], v[80:81], v[140:141] op_sel:[1,0,0] op_sel_hi:[0,1,0]
	s_delay_alu instid0(VALU_DEP_1) | instskip(SKIP_1) | instid1(VALU_DEP_2)
	v_mov_b32_e32 v139, v125
	v_pk_mul_f32 v[124:125], v[126:127], v[136:137] op_sel:[0,1]
	v_pk_add_f32 v[104:105], v[104:105], v[138:139] neg_lo:[0,1] neg_hi:[0,1]
	s_delay_alu instid0(VALU_DEP_2) | instskip(SKIP_1) | instid1(VALU_DEP_1)
	v_pk_fma_f32 v[138:139], v[126:127], v[134:135], v[124:125] op_sel:[0,0,1] op_sel_hi:[1,1,0] neg_lo:[0,0,1] neg_hi:[0,0,1]
	v_pk_fma_f32 v[124:125], v[126:127], v[134:135], v[124:125] op_sel:[0,0,1] op_sel_hi:[1,0,0]
	v_mov_b32_e32 v139, v125
	ds_load_b64 v[124:125], v128 offset:464
	v_pk_add_f32 v[98:99], v[98:99], v[138:139] neg_lo:[0,1] neg_hi:[0,1]
	s_wait_dscnt 0x0
	v_pk_mul_f32 v[126:127], v[124:125], v[136:137] op_sel:[0,1]
	s_delay_alu instid0(VALU_DEP_1) | instskip(SKIP_1) | instid1(VALU_DEP_1)
	v_pk_fma_f32 v[136:137], v[124:125], v[134:135], v[126:127] op_sel:[0,0,1] op_sel_hi:[1,1,0] neg_lo:[0,0,1] neg_hi:[0,0,1]
	v_pk_fma_f32 v[124:125], v[124:125], v[134:135], v[126:127] op_sel:[0,0,1] op_sel_hi:[1,0,0]
	v_mov_b32_e32 v137, v125
	s_delay_alu instid0(VALU_DEP_1)
	v_pk_add_f32 v[122:123], v[122:123], v[136:137] neg_lo:[0,1] neg_hi:[0,1]
.LBB116_1007:
	s_or_b32 exec_lo, exec_lo, s0
	v_lshl_add_u32 v124, v132, 3, v128
	s_barrier_signal -1
	s_barrier_wait -1
	ds_store_b64 v124, v[120:121]
	s_wait_dscnt 0x0
	s_barrier_signal -1
	s_barrier_wait -1
	ds_load_b64 v[124:125], v128 offset:384
	v_mov_b32_e32 v126, 48
	s_cmp_lt_i32 s18, 50
	s_cbranch_scc1 .LBB116_1010
; %bb.1008:
	v_add3_u32 v127, v129, 0, 0x188
	v_mov_b32_e32 v126, 48
	s_mov_b32 s0, 49
.LBB116_1009:                           ; =>This Inner Loop Header: Depth=1
	ds_load_b64 v[134:135], v127
	s_wait_dscnt 0x1
	v_cmp_gt_f32_e32 vcc_lo, 0, v124
	v_cndmask_b32_e64 v136, v124, -v124, vcc_lo
	v_cmp_gt_f32_e32 vcc_lo, 0, v125
	v_cndmask_b32_e64 v138, v125, -v125, vcc_lo
	s_wait_dscnt 0x0
	v_cmp_gt_f32_e32 vcc_lo, 0, v134
	v_cndmask_b32_e64 v137, v134, -v134, vcc_lo
	v_cmp_gt_f32_e32 vcc_lo, 0, v135
	v_cndmask_b32_e64 v139, v135, -v135, vcc_lo
	s_delay_alu instid0(VALU_DEP_1) | instskip(NEXT) | instid1(VALU_DEP_1)
	v_pk_add_f32 v[136:137], v[136:137], v[138:139]
	v_cmp_lt_f32_e32 vcc_lo, v136, v137
	v_dual_cndmask_b32 v124, v124, v134 :: v_dual_add_nc_u32 v127, 8, v127
	v_cndmask_b32_e32 v125, v125, v135, vcc_lo
	v_cndmask_b32_e64 v126, v126, s0, vcc_lo
	s_add_co_i32 s0, s0, 1
	s_delay_alu instid0(SALU_CYCLE_1)
	s_cmp_lg_u32 s18, s0
	s_cbranch_scc1 .LBB116_1009
.LBB116_1010:
	s_wait_dscnt 0x0
	v_cmp_eq_f32_e32 vcc_lo, 0, v124
	v_cmp_eq_f32_e64 s0, 0, v125
	s_and_b32 s0, vcc_lo, s0
	s_delay_alu instid0(SALU_CYCLE_1) | instskip(NEXT) | instid1(SALU_CYCLE_1)
	s_and_saveexec_b32 s1, s0
	s_xor_b32 s0, exec_lo, s1
; %bb.1011:
	v_cmp_ne_u32_e32 vcc_lo, 0, v130
	v_cndmask_b32_e32 v130, 49, v130, vcc_lo
; %bb.1012:
	s_and_not1_saveexec_b32 s0, s0
	s_cbranch_execz .LBB116_1018
; %bb.1013:
	v_cmp_ngt_f32_e64 s1, |v124|, |v125|
	s_and_saveexec_b32 s12, s1
	s_delay_alu instid0(SALU_CYCLE_1)
	s_xor_b32 s1, exec_lo, s12
	s_cbranch_execz .LBB116_1015
; %bb.1014:
	v_div_scale_f32 v127, null, v125, v125, v124
	v_div_scale_f32 v135, vcc_lo, v124, v125, v124
	s_delay_alu instid0(VALU_DEP_2) | instskip(SKIP_1) | instid1(TRANS32_DEP_1)
	v_rcp_f32_e32 v133, v127
	v_nop
	v_fma_f32 v134, -v127, v133, 1.0
	s_delay_alu instid0(VALU_DEP_1) | instskip(NEXT) | instid1(VALU_DEP_1)
	v_fmac_f32_e32 v133, v134, v133
	v_mul_f32_e32 v134, v135, v133
	s_delay_alu instid0(VALU_DEP_1) | instskip(NEXT) | instid1(VALU_DEP_1)
	v_fma_f32 v136, -v127, v134, v135
	v_fmac_f32_e32 v134, v136, v133
	s_delay_alu instid0(VALU_DEP_1) | instskip(NEXT) | instid1(VALU_DEP_1)
	v_fma_f32 v127, -v127, v134, v135
	v_div_fmas_f32 v127, v127, v133, v134
	s_delay_alu instid0(VALU_DEP_1) | instskip(NEXT) | instid1(VALU_DEP_1)
	v_div_fixup_f32 v127, v127, v125, v124
	v_fmac_f32_e32 v125, v124, v127
	s_delay_alu instid0(VALU_DEP_1) | instskip(SKIP_1) | instid1(VALU_DEP_2)
	v_div_scale_f32 v124, null, v125, v125, 1.0
	v_div_scale_f32 v135, vcc_lo, 1.0, v125, 1.0
	v_rcp_f32_e32 v133, v124
	v_nop
	s_delay_alu instid0(TRANS32_DEP_1) | instskip(NEXT) | instid1(VALU_DEP_1)
	v_fma_f32 v134, -v124, v133, 1.0
	v_fmac_f32_e32 v133, v134, v133
	s_delay_alu instid0(VALU_DEP_1) | instskip(NEXT) | instid1(VALU_DEP_1)
	v_mul_f32_e32 v134, v135, v133
	v_fma_f32 v136, -v124, v134, v135
	s_delay_alu instid0(VALU_DEP_1) | instskip(NEXT) | instid1(VALU_DEP_1)
	v_fmac_f32_e32 v134, v136, v133
	v_fma_f32 v124, -v124, v134, v135
	s_delay_alu instid0(VALU_DEP_1) | instskip(NEXT) | instid1(VALU_DEP_1)
	v_div_fmas_f32 v124, v124, v133, v134
	v_div_fixup_f32 v125, v124, v125, 1.0
	s_delay_alu instid0(VALU_DEP_1)
	v_mul_f32_e32 v124, v127, v125
	v_xor_b32_e32 v125, 0x80000000, v125
.LBB116_1015:
	s_and_not1_saveexec_b32 s1, s1
	s_cbranch_execz .LBB116_1017
; %bb.1016:
	s_delay_alu instid0(VALU_DEP_1) | instskip(SKIP_1) | instid1(VALU_DEP_2)
	v_div_scale_f32 v127, null, v124, v124, v125
	v_div_scale_f32 v135, vcc_lo, v125, v124, v125
	v_rcp_f32_e32 v133, v127
	v_nop
	s_delay_alu instid0(TRANS32_DEP_1) | instskip(NEXT) | instid1(VALU_DEP_1)
	v_fma_f32 v134, -v127, v133, 1.0
	v_fmac_f32_e32 v133, v134, v133
	s_delay_alu instid0(VALU_DEP_1) | instskip(NEXT) | instid1(VALU_DEP_1)
	v_mul_f32_e32 v134, v135, v133
	v_fma_f32 v136, -v127, v134, v135
	s_delay_alu instid0(VALU_DEP_1) | instskip(NEXT) | instid1(VALU_DEP_1)
	v_fmac_f32_e32 v134, v136, v133
	v_fma_f32 v127, -v127, v134, v135
	s_delay_alu instid0(VALU_DEP_1) | instskip(NEXT) | instid1(VALU_DEP_1)
	v_div_fmas_f32 v127, v127, v133, v134
	v_div_fixup_f32 v127, v127, v124, v125
	s_delay_alu instid0(VALU_DEP_1) | instskip(NEXT) | instid1(VALU_DEP_1)
	v_fmac_f32_e32 v124, v125, v127
	v_div_scale_f32 v125, null, v124, v124, 1.0
	s_delay_alu instid0(VALU_DEP_1) | instskip(SKIP_1) | instid1(TRANS32_DEP_1)
	v_rcp_f32_e32 v133, v125
	v_nop
	v_fma_f32 v134, -v125, v133, 1.0
	s_delay_alu instid0(VALU_DEP_1) | instskip(SKIP_1) | instid1(VALU_DEP_1)
	v_fmac_f32_e32 v133, v134, v133
	v_div_scale_f32 v134, vcc_lo, 1.0, v124, 1.0
	v_mul_f32_e32 v135, v134, v133
	s_delay_alu instid0(VALU_DEP_1) | instskip(NEXT) | instid1(VALU_DEP_1)
	v_fma_f32 v136, -v125, v135, v134
	v_fmac_f32_e32 v135, v136, v133
	s_delay_alu instid0(VALU_DEP_1) | instskip(NEXT) | instid1(VALU_DEP_1)
	v_fma_f32 v125, -v125, v135, v134
	v_div_fmas_f32 v125, v125, v133, v135
	s_delay_alu instid0(VALU_DEP_1) | instskip(NEXT) | instid1(VALU_DEP_1)
	v_div_fixup_f32 v124, v125, v124, 1.0
	v_mul_f32_e64 v125, v127, -v124
.LBB116_1017:
	s_or_b32 exec_lo, exec_lo, s1
.LBB116_1018:
	s_delay_alu instid0(SALU_CYCLE_1) | instskip(NEXT) | instid1(SALU_CYCLE_1)
	s_or_b32 exec_lo, exec_lo, s0
	s_mov_b32 s0, exec_lo
	v_cmpx_ne_u32_e64 v132, v126
	s_xor_b32 s0, exec_lo, s0
	s_cbranch_execz .LBB116_1024
; %bb.1019:
	s_mov_b32 s1, exec_lo
	v_cmpx_eq_u32_e32 48, v132
	s_cbranch_execz .LBB116_1023
; %bb.1020:
	v_cmp_ne_u32_e32 vcc_lo, 48, v126
	s_xor_b32 s12, s16, -1
	s_delay_alu instid0(SALU_CYCLE_1) | instskip(NEXT) | instid1(SALU_CYCLE_1)
	s_and_b32 s13, s12, vcc_lo
	s_and_saveexec_b32 s12, s13
	s_cbranch_execz .LBB116_1022
; %bb.1021:
	v_ashrrev_i32_e32 v127, 31, v126
	s_delay_alu instid0(VALU_DEP_1)
	v_lshl_add_u64 v[132:133], v[126:127], 2, v[4:5]
	s_clause 0x1
	global_load_b32 v127, v[132:133], off
	global_load_b32 v131, v[4:5], off offset:192
	s_wait_loadcnt 0x1
	global_store_b32 v[4:5], v127, off offset:192
	s_wait_loadcnt 0x0
	global_store_b32 v[132:133], v131, off
.LBB116_1022:
	s_wait_xcnt 0x0
	s_or_b32 exec_lo, exec_lo, s12
	v_dual_mov_b32 v132, v126 :: v_dual_mov_b32 v131, v126
.LBB116_1023:
	s_or_b32 exec_lo, exec_lo, s1
.LBB116_1024:
	s_and_not1_saveexec_b32 s0, s0
	s_cbranch_execz .LBB116_1026
; %bb.1025:
	v_mov_b32_e32 v132, 48
	ds_store_2addr_b64 v128, v[118:119], v[94:95] offset0:49 offset1:50
	ds_store_2addr_b64 v128, v[96:97], v[114:115] offset0:51 offset1:52
	;; [unrolled: 1-line block ×5, first 2 shown]
.LBB116_1026:
	s_or_b32 exec_lo, exec_lo, s0
	s_delay_alu instid0(SALU_CYCLE_1)
	s_mov_b32 s0, exec_lo
	s_wait_storecnt_dscnt 0x0
	s_barrier_signal -1
	s_barrier_wait -1
	v_cmpx_lt_i32_e32 48, v132
	s_cbranch_execz .LBB116_1028
; %bb.1027:
	v_pk_mul_f32 v[126:127], v[124:125], v[120:121] op_sel:[1,1] op_sel_hi:[0,1]
	s_delay_alu instid0(VALU_DEP_1)
	v_pk_fma_f32 v[134:135], v[124:125], v[120:121], v[126:127] op_sel_hi:[1,0,1] neg_lo:[0,0,1] neg_hi:[0,0,1]
	v_pk_fma_f32 v[136:137], v[124:125], v[120:121], v[126:127] op_sel_hi:[1,0,1]
	ds_load_2addr_b64 v[124:127], v128 offset0:49 offset1:50
	v_dual_mov_b32 v120, v134 :: v_dual_mov_b32 v121, v137
	s_wait_dscnt 0x0
	v_pk_mul_f32 v[138:139], v[124:125], v[136:137] op_sel:[0,1]
	s_delay_alu instid0(VALU_DEP_1) | instskip(SKIP_1) | instid1(VALU_DEP_1)
	v_pk_fma_f32 v[140:141], v[124:125], v[134:135], v[138:139] op_sel:[0,0,1] op_sel_hi:[1,1,0] neg_lo:[0,0,1] neg_hi:[0,0,1]
	v_pk_fma_f32 v[124:125], v[124:125], v[134:135], v[138:139] op_sel:[0,0,1] op_sel_hi:[1,0,0]
	v_mov_b32_e32 v141, v125
	v_pk_mul_f32 v[124:125], v[126:127], v[136:137] op_sel:[0,1]
	s_delay_alu instid0(VALU_DEP_1) | instskip(SKIP_1) | instid1(VALU_DEP_1)
	v_pk_fma_f32 v[138:139], v[126:127], v[134:135], v[124:125] op_sel:[0,0,1] op_sel_hi:[1,1,0] neg_lo:[0,0,1] neg_hi:[0,0,1]
	v_pk_fma_f32 v[124:125], v[126:127], v[134:135], v[124:125] op_sel:[0,0,1] op_sel_hi:[1,0,0]
	v_mov_b32_e32 v139, v125
	ds_load_2addr_b64 v[124:127], v128 offset0:51 offset1:52
	v_pk_add_f32 v[118:119], v[118:119], v[140:141] neg_lo:[0,1] neg_hi:[0,1]
	v_pk_add_f32 v[94:95], v[94:95], v[138:139] neg_lo:[0,1] neg_hi:[0,1]
	s_wait_dscnt 0x0
	v_pk_mul_f32 v[138:139], v[124:125], v[136:137] op_sel:[0,1]
	s_delay_alu instid0(VALU_DEP_1) | instskip(SKIP_2) | instid1(VALU_DEP_2)
	v_pk_fma_f32 v[140:141], v[124:125], v[134:135], v[138:139] op_sel:[0,0,1] op_sel_hi:[1,1,0] neg_lo:[0,0,1] neg_hi:[0,0,1]
	v_pk_fma_f32 v[124:125], v[124:125], v[134:135], v[138:139] op_sel:[0,0,1] op_sel_hi:[1,0,0]
	v_dual_mul_f32 v138, v127, v137 :: v_dual_mov_b32 v124, v127
	v_dual_mov_b32 v141, v125 :: v_dual_mov_b32 v125, v126
	s_delay_alu instid0(VALU_DEP_2) | instskip(SKIP_1) | instid1(VALU_DEP_3)
	v_pk_fma_f32 v[138:139], v[126:127], v[120:121], v[138:139] op_sel_hi:[1,1,0] neg_lo:[0,0,1] neg_hi:[0,0,1]
	v_mul_f32_e32 v126, v127, v134
	v_pk_add_f32 v[96:97], v[96:97], v[140:141] neg_lo:[0,1] neg_hi:[0,1]
	s_delay_alu instid0(VALU_DEP_2) | instskip(NEXT) | instid1(VALU_DEP_1)
	v_pk_fma_f32 v[124:125], v[124:125], v[120:121], v[126:127] op_sel_hi:[1,1,0]
	v_mov_b32_e32 v139, v125
	ds_load_2addr_b64 v[124:127], v128 offset0:53 offset1:54
	v_pk_add_f32 v[114:115], v[114:115], v[138:139] neg_lo:[0,1] neg_hi:[0,1]
	s_wait_dscnt 0x0
	v_pk_mul_f32 v[138:139], v[124:125], v[136:137] op_sel:[0,1]
	s_delay_alu instid0(VALU_DEP_1) | instskip(SKIP_1) | instid1(VALU_DEP_1)
	v_pk_fma_f32 v[140:141], v[124:125], v[134:135], v[138:139] op_sel:[0,0,1] op_sel_hi:[1,1,0] neg_lo:[0,0,1] neg_hi:[0,0,1]
	v_pk_fma_f32 v[124:125], v[124:125], v[134:135], v[138:139] op_sel:[0,0,1] op_sel_hi:[1,0,0]
	v_mov_b32_e32 v141, v125
	v_pk_mul_f32 v[124:125], v[126:127], v[136:137] op_sel:[0,1]
	s_delay_alu instid0(VALU_DEP_1) | instskip(SKIP_1) | instid1(VALU_DEP_1)
	v_pk_fma_f32 v[138:139], v[126:127], v[134:135], v[124:125] op_sel:[0,0,1] op_sel_hi:[1,1,0] neg_lo:[0,0,1] neg_hi:[0,0,1]
	v_pk_fma_f32 v[124:125], v[126:127], v[134:135], v[124:125] op_sel:[0,0,1] op_sel_hi:[1,0,0]
	v_mov_b32_e32 v139, v125
	ds_load_2addr_b64 v[124:127], v128 offset0:55 offset1:56
	v_pk_add_f32 v[112:113], v[112:113], v[140:141] neg_lo:[0,1] neg_hi:[0,1]
	v_pk_add_f32 v[92:93], v[92:93], v[138:139] neg_lo:[0,1] neg_hi:[0,1]
	s_wait_dscnt 0x0
	v_pk_mul_f32 v[138:139], v[124:125], v[136:137] op_sel:[0,1]
	s_delay_alu instid0(VALU_DEP_1) | instskip(SKIP_1) | instid1(VALU_DEP_1)
	v_pk_fma_f32 v[140:141], v[124:125], v[134:135], v[138:139] op_sel:[0,0,1] op_sel_hi:[1,1,0] neg_lo:[0,0,1] neg_hi:[0,0,1]
	v_pk_fma_f32 v[124:125], v[124:125], v[134:135], v[138:139] op_sel:[0,0,1] op_sel_hi:[1,0,0]
	v_mov_b32_e32 v141, v125
	v_pk_mul_f32 v[124:125], v[126:127], v[136:137] op_sel:[0,1]
	s_delay_alu instid0(VALU_DEP_1) | instskip(SKIP_1) | instid1(VALU_DEP_1)
	v_pk_fma_f32 v[138:139], v[126:127], v[134:135], v[124:125] op_sel:[0,0,1] op_sel_hi:[1,1,0] neg_lo:[0,0,1] neg_hi:[0,0,1]
	v_pk_fma_f32 v[124:125], v[126:127], v[134:135], v[124:125] op_sel:[0,0,1] op_sel_hi:[1,0,0]
	v_mov_b32_e32 v139, v125
	ds_load_2addr_b64 v[124:127], v128 offset0:57 offset1:58
	v_pk_add_f32 v[90:91], v[90:91], v[140:141] neg_lo:[0,1] neg_hi:[0,1]
	v_pk_add_f32 v[104:105], v[104:105], v[138:139] neg_lo:[0,1] neg_hi:[0,1]
	s_wait_dscnt 0x0
	v_dual_mul_f32 v138, v125, v137 :: v_dual_mul_f32 v140, v125, v134
	s_delay_alu instid0(VALU_DEP_1) | instskip(NEXT) | instid1(VALU_DEP_2)
	v_pk_fma_f32 v[138:139], v[124:125], v[120:121], v[138:139] op_sel_hi:[1,1,0] neg_lo:[0,0,1] neg_hi:[0,0,1]
	v_pk_fma_f32 v[124:125], v[124:125], v[120:121], v[140:141] op_sel:[1,0,0] op_sel_hi:[0,1,0]
	s_delay_alu instid0(VALU_DEP_1) | instskip(SKIP_1) | instid1(VALU_DEP_1)
	v_mov_b32_e32 v139, v125
	v_pk_mul_f32 v[124:125], v[126:127], v[136:137] op_sel:[0,1]
	v_pk_fma_f32 v[136:137], v[126:127], v[134:135], v[124:125] op_sel:[0,0,1] op_sel_hi:[1,1,0] neg_lo:[0,0,1] neg_hi:[0,0,1]
	v_pk_fma_f32 v[124:125], v[126:127], v[134:135], v[124:125] op_sel:[0,0,1] op_sel_hi:[1,0,0]
	s_delay_alu instid0(VALU_DEP_1) | instskip(SKIP_1) | instid1(VALU_DEP_2)
	v_mov_b32_e32 v137, v125
	v_pk_add_f32 v[98:99], v[98:99], v[138:139] neg_lo:[0,1] neg_hi:[0,1]
	v_pk_add_f32 v[122:123], v[122:123], v[136:137] neg_lo:[0,1] neg_hi:[0,1]
.LBB116_1028:
	s_or_b32 exec_lo, exec_lo, s0
	v_lshl_add_u32 v124, v132, 3, v128
	s_barrier_signal -1
	s_barrier_wait -1
	ds_store_b64 v124, v[118:119]
	s_wait_dscnt 0x0
	s_barrier_signal -1
	s_barrier_wait -1
	ds_load_b64 v[124:125], v128 offset:392
	v_mov_b32_e32 v126, 49
	s_cmp_lt_i32 s18, 51
	s_cbranch_scc1 .LBB116_1031
; %bb.1029:
	v_add3_u32 v127, v129, 0, 0x190
	v_mov_b32_e32 v126, 49
	s_mov_b32 s0, 50
.LBB116_1030:                           ; =>This Inner Loop Header: Depth=1
	ds_load_b64 v[134:135], v127
	s_wait_dscnt 0x1
	v_cmp_gt_f32_e32 vcc_lo, 0, v124
	v_cndmask_b32_e64 v136, v124, -v124, vcc_lo
	v_cmp_gt_f32_e32 vcc_lo, 0, v125
	v_cndmask_b32_e64 v138, v125, -v125, vcc_lo
	s_wait_dscnt 0x0
	v_cmp_gt_f32_e32 vcc_lo, 0, v134
	v_cndmask_b32_e64 v137, v134, -v134, vcc_lo
	v_cmp_gt_f32_e32 vcc_lo, 0, v135
	v_cndmask_b32_e64 v139, v135, -v135, vcc_lo
	s_delay_alu instid0(VALU_DEP_1) | instskip(NEXT) | instid1(VALU_DEP_1)
	v_pk_add_f32 v[136:137], v[136:137], v[138:139]
	v_cmp_lt_f32_e32 vcc_lo, v136, v137
	v_dual_cndmask_b32 v124, v124, v134 :: v_dual_add_nc_u32 v127, 8, v127
	v_cndmask_b32_e32 v125, v125, v135, vcc_lo
	v_cndmask_b32_e64 v126, v126, s0, vcc_lo
	s_add_co_i32 s0, s0, 1
	s_delay_alu instid0(SALU_CYCLE_1)
	s_cmp_lg_u32 s18, s0
	s_cbranch_scc1 .LBB116_1030
.LBB116_1031:
	s_wait_dscnt 0x0
	v_cmp_eq_f32_e32 vcc_lo, 0, v124
	v_cmp_eq_f32_e64 s0, 0, v125
	s_and_b32 s0, vcc_lo, s0
	s_delay_alu instid0(SALU_CYCLE_1) | instskip(NEXT) | instid1(SALU_CYCLE_1)
	s_and_saveexec_b32 s1, s0
	s_xor_b32 s0, exec_lo, s1
; %bb.1032:
	v_cmp_ne_u32_e32 vcc_lo, 0, v130
	v_cndmask_b32_e32 v130, 50, v130, vcc_lo
; %bb.1033:
	s_and_not1_saveexec_b32 s0, s0
	s_cbranch_execz .LBB116_1039
; %bb.1034:
	v_cmp_ngt_f32_e64 s1, |v124|, |v125|
	s_and_saveexec_b32 s12, s1
	s_delay_alu instid0(SALU_CYCLE_1)
	s_xor_b32 s1, exec_lo, s12
	s_cbranch_execz .LBB116_1036
; %bb.1035:
	v_div_scale_f32 v127, null, v125, v125, v124
	v_div_scale_f32 v135, vcc_lo, v124, v125, v124
	s_delay_alu instid0(VALU_DEP_2) | instskip(SKIP_1) | instid1(TRANS32_DEP_1)
	v_rcp_f32_e32 v133, v127
	v_nop
	v_fma_f32 v134, -v127, v133, 1.0
	s_delay_alu instid0(VALU_DEP_1) | instskip(NEXT) | instid1(VALU_DEP_1)
	v_fmac_f32_e32 v133, v134, v133
	v_mul_f32_e32 v134, v135, v133
	s_delay_alu instid0(VALU_DEP_1) | instskip(NEXT) | instid1(VALU_DEP_1)
	v_fma_f32 v136, -v127, v134, v135
	v_fmac_f32_e32 v134, v136, v133
	s_delay_alu instid0(VALU_DEP_1) | instskip(NEXT) | instid1(VALU_DEP_1)
	v_fma_f32 v127, -v127, v134, v135
	v_div_fmas_f32 v127, v127, v133, v134
	s_delay_alu instid0(VALU_DEP_1) | instskip(NEXT) | instid1(VALU_DEP_1)
	v_div_fixup_f32 v127, v127, v125, v124
	v_fmac_f32_e32 v125, v124, v127
	s_delay_alu instid0(VALU_DEP_1) | instskip(SKIP_1) | instid1(VALU_DEP_2)
	v_div_scale_f32 v124, null, v125, v125, 1.0
	v_div_scale_f32 v135, vcc_lo, 1.0, v125, 1.0
	v_rcp_f32_e32 v133, v124
	v_nop
	s_delay_alu instid0(TRANS32_DEP_1) | instskip(NEXT) | instid1(VALU_DEP_1)
	v_fma_f32 v134, -v124, v133, 1.0
	v_fmac_f32_e32 v133, v134, v133
	s_delay_alu instid0(VALU_DEP_1) | instskip(NEXT) | instid1(VALU_DEP_1)
	v_mul_f32_e32 v134, v135, v133
	v_fma_f32 v136, -v124, v134, v135
	s_delay_alu instid0(VALU_DEP_1) | instskip(NEXT) | instid1(VALU_DEP_1)
	v_fmac_f32_e32 v134, v136, v133
	v_fma_f32 v124, -v124, v134, v135
	s_delay_alu instid0(VALU_DEP_1) | instskip(NEXT) | instid1(VALU_DEP_1)
	v_div_fmas_f32 v124, v124, v133, v134
	v_div_fixup_f32 v125, v124, v125, 1.0
	s_delay_alu instid0(VALU_DEP_1)
	v_mul_f32_e32 v124, v127, v125
	v_xor_b32_e32 v125, 0x80000000, v125
.LBB116_1036:
	s_and_not1_saveexec_b32 s1, s1
	s_cbranch_execz .LBB116_1038
; %bb.1037:
	s_delay_alu instid0(VALU_DEP_1) | instskip(SKIP_1) | instid1(VALU_DEP_2)
	v_div_scale_f32 v127, null, v124, v124, v125
	v_div_scale_f32 v135, vcc_lo, v125, v124, v125
	v_rcp_f32_e32 v133, v127
	v_nop
	s_delay_alu instid0(TRANS32_DEP_1) | instskip(NEXT) | instid1(VALU_DEP_1)
	v_fma_f32 v134, -v127, v133, 1.0
	v_fmac_f32_e32 v133, v134, v133
	s_delay_alu instid0(VALU_DEP_1) | instskip(NEXT) | instid1(VALU_DEP_1)
	v_mul_f32_e32 v134, v135, v133
	v_fma_f32 v136, -v127, v134, v135
	s_delay_alu instid0(VALU_DEP_1) | instskip(NEXT) | instid1(VALU_DEP_1)
	v_fmac_f32_e32 v134, v136, v133
	v_fma_f32 v127, -v127, v134, v135
	s_delay_alu instid0(VALU_DEP_1) | instskip(NEXT) | instid1(VALU_DEP_1)
	v_div_fmas_f32 v127, v127, v133, v134
	v_div_fixup_f32 v127, v127, v124, v125
	s_delay_alu instid0(VALU_DEP_1) | instskip(NEXT) | instid1(VALU_DEP_1)
	v_fmac_f32_e32 v124, v125, v127
	v_div_scale_f32 v125, null, v124, v124, 1.0
	s_delay_alu instid0(VALU_DEP_1) | instskip(SKIP_1) | instid1(TRANS32_DEP_1)
	v_rcp_f32_e32 v133, v125
	v_nop
	v_fma_f32 v134, -v125, v133, 1.0
	s_delay_alu instid0(VALU_DEP_1) | instskip(SKIP_1) | instid1(VALU_DEP_1)
	v_fmac_f32_e32 v133, v134, v133
	v_div_scale_f32 v134, vcc_lo, 1.0, v124, 1.0
	v_mul_f32_e32 v135, v134, v133
	s_delay_alu instid0(VALU_DEP_1) | instskip(NEXT) | instid1(VALU_DEP_1)
	v_fma_f32 v136, -v125, v135, v134
	v_fmac_f32_e32 v135, v136, v133
	s_delay_alu instid0(VALU_DEP_1) | instskip(NEXT) | instid1(VALU_DEP_1)
	v_fma_f32 v125, -v125, v135, v134
	v_div_fmas_f32 v125, v125, v133, v135
	s_delay_alu instid0(VALU_DEP_1) | instskip(NEXT) | instid1(VALU_DEP_1)
	v_div_fixup_f32 v124, v125, v124, 1.0
	v_mul_f32_e64 v125, v127, -v124
.LBB116_1038:
	s_or_b32 exec_lo, exec_lo, s1
.LBB116_1039:
	s_delay_alu instid0(SALU_CYCLE_1) | instskip(NEXT) | instid1(SALU_CYCLE_1)
	s_or_b32 exec_lo, exec_lo, s0
	s_mov_b32 s0, exec_lo
	v_cmpx_ne_u32_e64 v132, v126
	s_xor_b32 s0, exec_lo, s0
	s_cbranch_execz .LBB116_1045
; %bb.1040:
	s_mov_b32 s1, exec_lo
	v_cmpx_eq_u32_e32 49, v132
	s_cbranch_execz .LBB116_1044
; %bb.1041:
	v_cmp_ne_u32_e32 vcc_lo, 49, v126
	s_xor_b32 s12, s16, -1
	s_delay_alu instid0(SALU_CYCLE_1) | instskip(NEXT) | instid1(SALU_CYCLE_1)
	s_and_b32 s13, s12, vcc_lo
	s_and_saveexec_b32 s12, s13
	s_cbranch_execz .LBB116_1043
; %bb.1042:
	v_ashrrev_i32_e32 v127, 31, v126
	s_delay_alu instid0(VALU_DEP_1)
	v_lshl_add_u64 v[132:133], v[126:127], 2, v[4:5]
	s_clause 0x1
	global_load_b32 v127, v[132:133], off
	global_load_b32 v131, v[4:5], off offset:196
	s_wait_loadcnt 0x1
	global_store_b32 v[4:5], v127, off offset:196
	s_wait_loadcnt 0x0
	global_store_b32 v[132:133], v131, off
.LBB116_1043:
	s_wait_xcnt 0x0
	s_or_b32 exec_lo, exec_lo, s12
	v_dual_mov_b32 v132, v126 :: v_dual_mov_b32 v131, v126
.LBB116_1044:
	s_or_b32 exec_lo, exec_lo, s1
.LBB116_1045:
	s_and_not1_saveexec_b32 s0, s0
	s_cbranch_execz .LBB116_1047
; %bb.1046:
	v_dual_mov_b32 v126, v94 :: v_dual_mov_b32 v127, v95
	v_dual_mov_b32 v132, v96 :: v_dual_mov_b32 v133, v97
	ds_store_2addr_b64 v128, v[126:127], v[132:133] offset0:50 offset1:51
	v_dual_mov_b32 v126, v114 :: v_dual_mov_b32 v127, v115
	v_dual_mov_b32 v132, v112 :: v_dual_mov_b32 v133, v113
	ds_store_2addr_b64 v128, v[126:127], v[132:133] offset0:52 offset1:53
	;; [unrolled: 3-line block ×4, first 2 shown]
	ds_store_b64 v128, v[122:123] offset:464
	v_mov_b32_e32 v132, 49
.LBB116_1047:
	s_or_b32 exec_lo, exec_lo, s0
	s_delay_alu instid0(SALU_CYCLE_1)
	s_mov_b32 s0, exec_lo
	s_wait_storecnt_dscnt 0x0
	s_barrier_signal -1
	s_barrier_wait -1
	v_cmpx_lt_i32_e32 49, v132
	s_cbranch_execz .LBB116_1049
; %bb.1048:
	v_pk_mul_f32 v[126:127], v[124:125], v[118:119] op_sel:[1,1] op_sel_hi:[0,1]
	s_delay_alu instid0(VALU_DEP_1)
	v_pk_fma_f32 v[134:135], v[124:125], v[118:119], v[126:127] op_sel_hi:[1,0,1] neg_lo:[0,0,1] neg_hi:[0,0,1]
	v_pk_fma_f32 v[136:137], v[124:125], v[118:119], v[126:127] op_sel_hi:[1,0,1]
	ds_load_2addr_b64 v[124:127], v128 offset0:50 offset1:51
	v_dual_mov_b32 v118, v134 :: v_dual_mov_b32 v119, v137
	s_wait_dscnt 0x0
	v_pk_mul_f32 v[138:139], v[124:125], v[136:137] op_sel:[0,1]
	s_delay_alu instid0(VALU_DEP_1) | instskip(SKIP_1) | instid1(VALU_DEP_1)
	v_pk_fma_f32 v[140:141], v[124:125], v[134:135], v[138:139] op_sel:[0,0,1] op_sel_hi:[1,1,0] neg_lo:[0,0,1] neg_hi:[0,0,1]
	v_pk_fma_f32 v[124:125], v[124:125], v[134:135], v[138:139] op_sel:[0,0,1] op_sel_hi:[1,0,0]
	v_mov_b32_e32 v141, v125
	v_pk_mul_f32 v[124:125], v[126:127], v[136:137] op_sel:[0,1]
	s_delay_alu instid0(VALU_DEP_1) | instskip(SKIP_1) | instid1(VALU_DEP_1)
	v_pk_fma_f32 v[138:139], v[126:127], v[134:135], v[124:125] op_sel:[0,0,1] op_sel_hi:[1,1,0] neg_lo:[0,0,1] neg_hi:[0,0,1]
	v_pk_fma_f32 v[124:125], v[126:127], v[134:135], v[124:125] op_sel:[0,0,1] op_sel_hi:[1,0,0]
	v_mov_b32_e32 v139, v125
	ds_load_2addr_b64 v[124:127], v128 offset0:52 offset1:53
	v_pk_add_f32 v[94:95], v[94:95], v[140:141] neg_lo:[0,1] neg_hi:[0,1]
	v_pk_add_f32 v[96:97], v[96:97], v[138:139] neg_lo:[0,1] neg_hi:[0,1]
	s_wait_dscnt 0x0
	v_pk_mul_f32 v[138:139], v[124:125], v[136:137] op_sel:[0,1]
	s_delay_alu instid0(VALU_DEP_1) | instskip(SKIP_2) | instid1(VALU_DEP_2)
	v_pk_fma_f32 v[140:141], v[124:125], v[134:135], v[138:139] op_sel:[0,0,1] op_sel_hi:[1,1,0] neg_lo:[0,0,1] neg_hi:[0,0,1]
	v_pk_fma_f32 v[124:125], v[124:125], v[134:135], v[138:139] op_sel:[0,0,1] op_sel_hi:[1,0,0]
	v_dual_mul_f32 v138, v127, v137 :: v_dual_mov_b32 v124, v127
	v_dual_mov_b32 v141, v125 :: v_dual_mov_b32 v125, v126
	s_delay_alu instid0(VALU_DEP_2) | instskip(SKIP_1) | instid1(VALU_DEP_3)
	v_pk_fma_f32 v[138:139], v[126:127], v[118:119], v[138:139] op_sel_hi:[1,1,0] neg_lo:[0,0,1] neg_hi:[0,0,1]
	v_mul_f32_e32 v126, v127, v134
	v_pk_add_f32 v[114:115], v[114:115], v[140:141] neg_lo:[0,1] neg_hi:[0,1]
	s_delay_alu instid0(VALU_DEP_2) | instskip(NEXT) | instid1(VALU_DEP_1)
	v_pk_fma_f32 v[124:125], v[124:125], v[118:119], v[126:127] op_sel_hi:[1,1,0]
	v_mov_b32_e32 v139, v125
	ds_load_2addr_b64 v[124:127], v128 offset0:54 offset1:55
	v_pk_add_f32 v[112:113], v[112:113], v[138:139] neg_lo:[0,1] neg_hi:[0,1]
	s_wait_dscnt 0x0
	v_pk_mul_f32 v[138:139], v[124:125], v[136:137] op_sel:[0,1]
	s_delay_alu instid0(VALU_DEP_1) | instskip(SKIP_1) | instid1(VALU_DEP_1)
	v_pk_fma_f32 v[140:141], v[124:125], v[134:135], v[138:139] op_sel:[0,0,1] op_sel_hi:[1,1,0] neg_lo:[0,0,1] neg_hi:[0,0,1]
	v_pk_fma_f32 v[124:125], v[124:125], v[134:135], v[138:139] op_sel:[0,0,1] op_sel_hi:[1,0,0]
	v_mov_b32_e32 v141, v125
	v_pk_mul_f32 v[124:125], v[126:127], v[136:137] op_sel:[0,1]
	s_delay_alu instid0(VALU_DEP_1) | instskip(SKIP_1) | instid1(VALU_DEP_1)
	v_pk_fma_f32 v[138:139], v[126:127], v[134:135], v[124:125] op_sel:[0,0,1] op_sel_hi:[1,1,0] neg_lo:[0,0,1] neg_hi:[0,0,1]
	v_pk_fma_f32 v[124:125], v[126:127], v[134:135], v[124:125] op_sel:[0,0,1] op_sel_hi:[1,0,0]
	v_mov_b32_e32 v139, v125
	ds_load_2addr_b64 v[124:127], v128 offset0:56 offset1:57
	v_pk_add_f32 v[92:93], v[92:93], v[140:141] neg_lo:[0,1] neg_hi:[0,1]
	v_pk_add_f32 v[90:91], v[90:91], v[138:139] neg_lo:[0,1] neg_hi:[0,1]
	s_wait_dscnt 0x0
	v_pk_mul_f32 v[138:139], v[124:125], v[136:137] op_sel:[0,1]
	s_delay_alu instid0(VALU_DEP_1) | instskip(SKIP_1) | instid1(VALU_DEP_1)
	v_pk_fma_f32 v[140:141], v[124:125], v[134:135], v[138:139] op_sel:[0,0,1] op_sel_hi:[1,1,0] neg_lo:[0,0,1] neg_hi:[0,0,1]
	v_pk_fma_f32 v[124:125], v[124:125], v[134:135], v[138:139] op_sel:[0,0,1] op_sel_hi:[1,0,0]
	v_mov_b32_e32 v141, v125
	v_pk_mul_f32 v[124:125], v[126:127], v[136:137] op_sel:[0,1]
	s_delay_alu instid0(VALU_DEP_1) | instskip(SKIP_1) | instid1(VALU_DEP_1)
	v_pk_fma_f32 v[138:139], v[126:127], v[134:135], v[124:125] op_sel:[0,0,1] op_sel_hi:[1,1,0] neg_lo:[0,0,1] neg_hi:[0,0,1]
	v_pk_fma_f32 v[124:125], v[126:127], v[134:135], v[124:125] op_sel:[0,0,1] op_sel_hi:[1,0,0]
	v_mov_b32_e32 v139, v125
	ds_load_b64 v[124:125], v128 offset:464
	v_pk_add_f32 v[104:105], v[104:105], v[140:141] neg_lo:[0,1] neg_hi:[0,1]
	v_pk_add_f32 v[98:99], v[98:99], v[138:139] neg_lo:[0,1] neg_hi:[0,1]
	s_wait_dscnt 0x0
	v_pk_mul_f32 v[126:127], v[124:125], v[136:137] op_sel:[0,1]
	s_delay_alu instid0(VALU_DEP_1) | instskip(SKIP_1) | instid1(VALU_DEP_1)
	v_pk_fma_f32 v[136:137], v[124:125], v[134:135], v[126:127] op_sel:[0,0,1] op_sel_hi:[1,1,0] neg_lo:[0,0,1] neg_hi:[0,0,1]
	v_pk_fma_f32 v[124:125], v[124:125], v[134:135], v[126:127] op_sel:[0,0,1] op_sel_hi:[1,0,0]
	v_mov_b32_e32 v137, v125
	s_delay_alu instid0(VALU_DEP_1)
	v_pk_add_f32 v[122:123], v[122:123], v[136:137] neg_lo:[0,1] neg_hi:[0,1]
.LBB116_1049:
	s_or_b32 exec_lo, exec_lo, s0
	v_lshl_add_u32 v124, v132, 3, v128
	s_barrier_signal -1
	s_barrier_wait -1
	ds_store_b64 v124, v[94:95]
	s_wait_dscnt 0x0
	s_barrier_signal -1
	s_barrier_wait -1
	ds_load_b64 v[124:125], v128 offset:400
	v_mov_b32_e32 v126, 50
	s_cmp_lt_i32 s18, 52
	s_cbranch_scc1 .LBB116_1052
; %bb.1050:
	v_add3_u32 v127, v129, 0, 0x198
	v_mov_b32_e32 v126, 50
	s_mov_b32 s0, 51
.LBB116_1051:                           ; =>This Inner Loop Header: Depth=1
	ds_load_b64 v[134:135], v127
	s_wait_dscnt 0x1
	v_cmp_gt_f32_e32 vcc_lo, 0, v124
	v_cndmask_b32_e64 v136, v124, -v124, vcc_lo
	v_cmp_gt_f32_e32 vcc_lo, 0, v125
	v_cndmask_b32_e64 v138, v125, -v125, vcc_lo
	s_wait_dscnt 0x0
	v_cmp_gt_f32_e32 vcc_lo, 0, v134
	v_cndmask_b32_e64 v137, v134, -v134, vcc_lo
	v_cmp_gt_f32_e32 vcc_lo, 0, v135
	v_cndmask_b32_e64 v139, v135, -v135, vcc_lo
	s_delay_alu instid0(VALU_DEP_1) | instskip(NEXT) | instid1(VALU_DEP_1)
	v_pk_add_f32 v[136:137], v[136:137], v[138:139]
	v_cmp_lt_f32_e32 vcc_lo, v136, v137
	v_dual_cndmask_b32 v124, v124, v134 :: v_dual_add_nc_u32 v127, 8, v127
	v_cndmask_b32_e32 v125, v125, v135, vcc_lo
	v_cndmask_b32_e64 v126, v126, s0, vcc_lo
	s_add_co_i32 s0, s0, 1
	s_delay_alu instid0(SALU_CYCLE_1)
	s_cmp_lg_u32 s18, s0
	s_cbranch_scc1 .LBB116_1051
.LBB116_1052:
	s_wait_dscnt 0x0
	v_cmp_eq_f32_e32 vcc_lo, 0, v124
	v_cmp_eq_f32_e64 s0, 0, v125
	s_and_b32 s0, vcc_lo, s0
	s_delay_alu instid0(SALU_CYCLE_1) | instskip(NEXT) | instid1(SALU_CYCLE_1)
	s_and_saveexec_b32 s1, s0
	s_xor_b32 s0, exec_lo, s1
; %bb.1053:
	v_cmp_ne_u32_e32 vcc_lo, 0, v130
	v_cndmask_b32_e32 v130, 51, v130, vcc_lo
; %bb.1054:
	s_and_not1_saveexec_b32 s0, s0
	s_cbranch_execz .LBB116_1060
; %bb.1055:
	v_cmp_ngt_f32_e64 s1, |v124|, |v125|
	s_and_saveexec_b32 s12, s1
	s_delay_alu instid0(SALU_CYCLE_1)
	s_xor_b32 s1, exec_lo, s12
	s_cbranch_execz .LBB116_1057
; %bb.1056:
	v_div_scale_f32 v127, null, v125, v125, v124
	v_div_scale_f32 v135, vcc_lo, v124, v125, v124
	s_delay_alu instid0(VALU_DEP_2) | instskip(SKIP_1) | instid1(TRANS32_DEP_1)
	v_rcp_f32_e32 v133, v127
	v_nop
	v_fma_f32 v134, -v127, v133, 1.0
	s_delay_alu instid0(VALU_DEP_1) | instskip(NEXT) | instid1(VALU_DEP_1)
	v_fmac_f32_e32 v133, v134, v133
	v_mul_f32_e32 v134, v135, v133
	s_delay_alu instid0(VALU_DEP_1) | instskip(NEXT) | instid1(VALU_DEP_1)
	v_fma_f32 v136, -v127, v134, v135
	v_fmac_f32_e32 v134, v136, v133
	s_delay_alu instid0(VALU_DEP_1) | instskip(NEXT) | instid1(VALU_DEP_1)
	v_fma_f32 v127, -v127, v134, v135
	v_div_fmas_f32 v127, v127, v133, v134
	s_delay_alu instid0(VALU_DEP_1) | instskip(NEXT) | instid1(VALU_DEP_1)
	v_div_fixup_f32 v127, v127, v125, v124
	v_fmac_f32_e32 v125, v124, v127
	s_delay_alu instid0(VALU_DEP_1) | instskip(SKIP_1) | instid1(VALU_DEP_2)
	v_div_scale_f32 v124, null, v125, v125, 1.0
	v_div_scale_f32 v135, vcc_lo, 1.0, v125, 1.0
	v_rcp_f32_e32 v133, v124
	v_nop
	s_delay_alu instid0(TRANS32_DEP_1) | instskip(NEXT) | instid1(VALU_DEP_1)
	v_fma_f32 v134, -v124, v133, 1.0
	v_fmac_f32_e32 v133, v134, v133
	s_delay_alu instid0(VALU_DEP_1) | instskip(NEXT) | instid1(VALU_DEP_1)
	v_mul_f32_e32 v134, v135, v133
	v_fma_f32 v136, -v124, v134, v135
	s_delay_alu instid0(VALU_DEP_1) | instskip(NEXT) | instid1(VALU_DEP_1)
	v_fmac_f32_e32 v134, v136, v133
	v_fma_f32 v124, -v124, v134, v135
	s_delay_alu instid0(VALU_DEP_1) | instskip(NEXT) | instid1(VALU_DEP_1)
	v_div_fmas_f32 v124, v124, v133, v134
	v_div_fixup_f32 v125, v124, v125, 1.0
	s_delay_alu instid0(VALU_DEP_1)
	v_mul_f32_e32 v124, v127, v125
	v_xor_b32_e32 v125, 0x80000000, v125
.LBB116_1057:
	s_and_not1_saveexec_b32 s1, s1
	s_cbranch_execz .LBB116_1059
; %bb.1058:
	s_delay_alu instid0(VALU_DEP_1) | instskip(SKIP_1) | instid1(VALU_DEP_2)
	v_div_scale_f32 v127, null, v124, v124, v125
	v_div_scale_f32 v135, vcc_lo, v125, v124, v125
	v_rcp_f32_e32 v133, v127
	v_nop
	s_delay_alu instid0(TRANS32_DEP_1) | instskip(NEXT) | instid1(VALU_DEP_1)
	v_fma_f32 v134, -v127, v133, 1.0
	v_fmac_f32_e32 v133, v134, v133
	s_delay_alu instid0(VALU_DEP_1) | instskip(NEXT) | instid1(VALU_DEP_1)
	v_mul_f32_e32 v134, v135, v133
	v_fma_f32 v136, -v127, v134, v135
	s_delay_alu instid0(VALU_DEP_1) | instskip(NEXT) | instid1(VALU_DEP_1)
	v_fmac_f32_e32 v134, v136, v133
	v_fma_f32 v127, -v127, v134, v135
	s_delay_alu instid0(VALU_DEP_1) | instskip(NEXT) | instid1(VALU_DEP_1)
	v_div_fmas_f32 v127, v127, v133, v134
	v_div_fixup_f32 v127, v127, v124, v125
	s_delay_alu instid0(VALU_DEP_1) | instskip(NEXT) | instid1(VALU_DEP_1)
	v_fmac_f32_e32 v124, v125, v127
	v_div_scale_f32 v125, null, v124, v124, 1.0
	s_delay_alu instid0(VALU_DEP_1) | instskip(SKIP_1) | instid1(TRANS32_DEP_1)
	v_rcp_f32_e32 v133, v125
	v_nop
	v_fma_f32 v134, -v125, v133, 1.0
	s_delay_alu instid0(VALU_DEP_1) | instskip(SKIP_1) | instid1(VALU_DEP_1)
	v_fmac_f32_e32 v133, v134, v133
	v_div_scale_f32 v134, vcc_lo, 1.0, v124, 1.0
	v_mul_f32_e32 v135, v134, v133
	s_delay_alu instid0(VALU_DEP_1) | instskip(NEXT) | instid1(VALU_DEP_1)
	v_fma_f32 v136, -v125, v135, v134
	v_fmac_f32_e32 v135, v136, v133
	s_delay_alu instid0(VALU_DEP_1) | instskip(NEXT) | instid1(VALU_DEP_1)
	v_fma_f32 v125, -v125, v135, v134
	v_div_fmas_f32 v125, v125, v133, v135
	s_delay_alu instid0(VALU_DEP_1) | instskip(NEXT) | instid1(VALU_DEP_1)
	v_div_fixup_f32 v124, v125, v124, 1.0
	v_mul_f32_e64 v125, v127, -v124
.LBB116_1059:
	s_or_b32 exec_lo, exec_lo, s1
.LBB116_1060:
	s_delay_alu instid0(SALU_CYCLE_1) | instskip(NEXT) | instid1(SALU_CYCLE_1)
	s_or_b32 exec_lo, exec_lo, s0
	s_mov_b32 s0, exec_lo
	v_cmpx_ne_u32_e64 v132, v126
	s_xor_b32 s0, exec_lo, s0
	s_cbranch_execz .LBB116_1066
; %bb.1061:
	s_mov_b32 s1, exec_lo
	v_cmpx_eq_u32_e32 50, v132
	s_cbranch_execz .LBB116_1065
; %bb.1062:
	v_cmp_ne_u32_e32 vcc_lo, 50, v126
	s_xor_b32 s12, s16, -1
	s_delay_alu instid0(SALU_CYCLE_1) | instskip(NEXT) | instid1(SALU_CYCLE_1)
	s_and_b32 s13, s12, vcc_lo
	s_and_saveexec_b32 s12, s13
	s_cbranch_execz .LBB116_1064
; %bb.1063:
	v_ashrrev_i32_e32 v127, 31, v126
	s_delay_alu instid0(VALU_DEP_1)
	v_lshl_add_u64 v[132:133], v[126:127], 2, v[4:5]
	s_clause 0x1
	global_load_b32 v127, v[132:133], off
	global_load_b32 v131, v[4:5], off offset:200
	s_wait_loadcnt 0x1
	global_store_b32 v[4:5], v127, off offset:200
	s_wait_loadcnt 0x0
	global_store_b32 v[132:133], v131, off
.LBB116_1064:
	s_wait_xcnt 0x0
	s_or_b32 exec_lo, exec_lo, s12
	v_dual_mov_b32 v132, v126 :: v_dual_mov_b32 v131, v126
.LBB116_1065:
	s_or_b32 exec_lo, exec_lo, s1
.LBB116_1066:
	s_and_not1_saveexec_b32 s0, s0
	s_cbranch_execz .LBB116_1068
; %bb.1067:
	v_mov_b32_e32 v132, 50
	ds_store_2addr_b64 v128, v[96:97], v[114:115] offset0:51 offset1:52
	ds_store_2addr_b64 v128, v[112:113], v[92:93] offset0:53 offset1:54
	ds_store_2addr_b64 v128, v[90:91], v[104:105] offset0:55 offset1:56
	ds_store_2addr_b64 v128, v[98:99], v[122:123] offset0:57 offset1:58
.LBB116_1068:
	s_or_b32 exec_lo, exec_lo, s0
	s_delay_alu instid0(SALU_CYCLE_1)
	s_mov_b32 s0, exec_lo
	s_wait_storecnt_dscnt 0x0
	s_barrier_signal -1
	s_barrier_wait -1
	v_cmpx_lt_i32_e32 50, v132
	s_cbranch_execz .LBB116_1070
; %bb.1069:
	v_pk_mul_f32 v[126:127], v[124:125], v[94:95] op_sel:[1,1] op_sel_hi:[0,1]
	s_delay_alu instid0(VALU_DEP_1)
	v_pk_fma_f32 v[134:135], v[124:125], v[94:95], v[126:127] op_sel_hi:[1,0,1] neg_lo:[0,0,1] neg_hi:[0,0,1]
	v_pk_fma_f32 v[136:137], v[124:125], v[94:95], v[126:127] op_sel_hi:[1,0,1]
	ds_load_2addr_b64 v[124:127], v128 offset0:51 offset1:52
	v_dual_mov_b32 v94, v134 :: v_dual_mov_b32 v95, v137
	s_wait_dscnt 0x0
	v_pk_mul_f32 v[138:139], v[124:125], v[136:137] op_sel:[0,1]
	s_delay_alu instid0(VALU_DEP_1) | instskip(SKIP_1) | instid1(VALU_DEP_1)
	v_pk_fma_f32 v[140:141], v[124:125], v[134:135], v[138:139] op_sel:[0,0,1] op_sel_hi:[1,1,0] neg_lo:[0,0,1] neg_hi:[0,0,1]
	v_pk_fma_f32 v[124:125], v[124:125], v[134:135], v[138:139] op_sel:[0,0,1] op_sel_hi:[1,0,0]
	v_mov_b32_e32 v141, v125
	v_pk_mul_f32 v[124:125], v[126:127], v[136:137] op_sel:[0,1]
	s_delay_alu instid0(VALU_DEP_1) | instskip(SKIP_1) | instid1(VALU_DEP_1)
	v_pk_fma_f32 v[138:139], v[126:127], v[134:135], v[124:125] op_sel:[0,0,1] op_sel_hi:[1,1,0] neg_lo:[0,0,1] neg_hi:[0,0,1]
	v_pk_fma_f32 v[124:125], v[126:127], v[134:135], v[124:125] op_sel:[0,0,1] op_sel_hi:[1,0,0]
	v_mov_b32_e32 v139, v125
	ds_load_2addr_b64 v[124:127], v128 offset0:53 offset1:54
	v_pk_add_f32 v[96:97], v[96:97], v[140:141] neg_lo:[0,1] neg_hi:[0,1]
	v_pk_add_f32 v[114:115], v[114:115], v[138:139] neg_lo:[0,1] neg_hi:[0,1]
	s_wait_dscnt 0x0
	v_pk_mul_f32 v[138:139], v[124:125], v[136:137] op_sel:[0,1]
	s_delay_alu instid0(VALU_DEP_1) | instskip(SKIP_2) | instid1(VALU_DEP_2)
	v_pk_fma_f32 v[140:141], v[124:125], v[134:135], v[138:139] op_sel:[0,0,1] op_sel_hi:[1,1,0] neg_lo:[0,0,1] neg_hi:[0,0,1]
	v_pk_fma_f32 v[124:125], v[124:125], v[134:135], v[138:139] op_sel:[0,0,1] op_sel_hi:[1,0,0]
	v_dual_mul_f32 v138, v127, v137 :: v_dual_mov_b32 v124, v127
	v_dual_mov_b32 v141, v125 :: v_dual_mov_b32 v125, v126
	s_delay_alu instid0(VALU_DEP_2) | instskip(SKIP_1) | instid1(VALU_DEP_3)
	v_pk_fma_f32 v[138:139], v[126:127], v[94:95], v[138:139] op_sel_hi:[1,1,0] neg_lo:[0,0,1] neg_hi:[0,0,1]
	v_mul_f32_e32 v126, v127, v134
	v_pk_add_f32 v[112:113], v[112:113], v[140:141] neg_lo:[0,1] neg_hi:[0,1]
	s_delay_alu instid0(VALU_DEP_2) | instskip(NEXT) | instid1(VALU_DEP_1)
	v_pk_fma_f32 v[124:125], v[124:125], v[94:95], v[126:127] op_sel_hi:[1,1,0]
	v_mov_b32_e32 v139, v125
	ds_load_2addr_b64 v[124:127], v128 offset0:55 offset1:56
	v_pk_add_f32 v[92:93], v[92:93], v[138:139] neg_lo:[0,1] neg_hi:[0,1]
	s_wait_dscnt 0x0
	v_pk_mul_f32 v[138:139], v[124:125], v[136:137] op_sel:[0,1]
	s_delay_alu instid0(VALU_DEP_1) | instskip(SKIP_1) | instid1(VALU_DEP_1)
	v_pk_fma_f32 v[140:141], v[124:125], v[134:135], v[138:139] op_sel:[0,0,1] op_sel_hi:[1,1,0] neg_lo:[0,0,1] neg_hi:[0,0,1]
	v_pk_fma_f32 v[124:125], v[124:125], v[134:135], v[138:139] op_sel:[0,0,1] op_sel_hi:[1,0,0]
	v_mov_b32_e32 v141, v125
	v_pk_mul_f32 v[124:125], v[126:127], v[136:137] op_sel:[0,1]
	s_delay_alu instid0(VALU_DEP_1) | instskip(SKIP_1) | instid1(VALU_DEP_1)
	v_pk_fma_f32 v[138:139], v[126:127], v[134:135], v[124:125] op_sel:[0,0,1] op_sel_hi:[1,1,0] neg_lo:[0,0,1] neg_hi:[0,0,1]
	v_pk_fma_f32 v[124:125], v[126:127], v[134:135], v[124:125] op_sel:[0,0,1] op_sel_hi:[1,0,0]
	v_mov_b32_e32 v139, v125
	ds_load_2addr_b64 v[124:127], v128 offset0:57 offset1:58
	v_pk_add_f32 v[90:91], v[90:91], v[140:141] neg_lo:[0,1] neg_hi:[0,1]
	v_pk_add_f32 v[104:105], v[104:105], v[138:139] neg_lo:[0,1] neg_hi:[0,1]
	s_wait_dscnt 0x0
	v_pk_mul_f32 v[138:139], v[124:125], v[136:137] op_sel:[0,1]
	s_delay_alu instid0(VALU_DEP_1) | instskip(SKIP_1) | instid1(VALU_DEP_1)
	v_pk_fma_f32 v[140:141], v[124:125], v[134:135], v[138:139] op_sel:[0,0,1] op_sel_hi:[1,1,0] neg_lo:[0,0,1] neg_hi:[0,0,1]
	v_pk_fma_f32 v[124:125], v[124:125], v[134:135], v[138:139] op_sel:[0,0,1] op_sel_hi:[1,0,0]
	v_mov_b32_e32 v141, v125
	v_pk_mul_f32 v[124:125], v[126:127], v[136:137] op_sel:[0,1]
	s_delay_alu instid0(VALU_DEP_1) | instskip(SKIP_1) | instid1(VALU_DEP_1)
	v_pk_fma_f32 v[136:137], v[126:127], v[134:135], v[124:125] op_sel:[0,0,1] op_sel_hi:[1,1,0] neg_lo:[0,0,1] neg_hi:[0,0,1]
	v_pk_fma_f32 v[124:125], v[126:127], v[134:135], v[124:125] op_sel:[0,0,1] op_sel_hi:[1,0,0]
	v_mov_b32_e32 v137, v125
	v_pk_add_f32 v[98:99], v[98:99], v[140:141] neg_lo:[0,1] neg_hi:[0,1]
	s_delay_alu instid0(VALU_DEP_2)
	v_pk_add_f32 v[122:123], v[122:123], v[136:137] neg_lo:[0,1] neg_hi:[0,1]
.LBB116_1070:
	s_or_b32 exec_lo, exec_lo, s0
	v_lshl_add_u32 v124, v132, 3, v128
	s_barrier_signal -1
	s_barrier_wait -1
	ds_store_b64 v124, v[96:97]
	s_wait_dscnt 0x0
	s_barrier_signal -1
	s_barrier_wait -1
	ds_load_b64 v[124:125], v128 offset:408
	v_mov_b32_e32 v126, 51
	s_cmp_lt_i32 s18, 53
	s_cbranch_scc1 .LBB116_1073
; %bb.1071:
	v_add3_u32 v127, v129, 0, 0x1a0
	v_mov_b32_e32 v126, 51
	s_mov_b32 s0, 52
.LBB116_1072:                           ; =>This Inner Loop Header: Depth=1
	ds_load_b64 v[134:135], v127
	s_wait_dscnt 0x1
	v_cmp_gt_f32_e32 vcc_lo, 0, v124
	v_cndmask_b32_e64 v136, v124, -v124, vcc_lo
	v_cmp_gt_f32_e32 vcc_lo, 0, v125
	v_cndmask_b32_e64 v138, v125, -v125, vcc_lo
	s_wait_dscnt 0x0
	v_cmp_gt_f32_e32 vcc_lo, 0, v134
	v_cndmask_b32_e64 v137, v134, -v134, vcc_lo
	v_cmp_gt_f32_e32 vcc_lo, 0, v135
	v_cndmask_b32_e64 v139, v135, -v135, vcc_lo
	s_delay_alu instid0(VALU_DEP_1) | instskip(NEXT) | instid1(VALU_DEP_1)
	v_pk_add_f32 v[136:137], v[136:137], v[138:139]
	v_cmp_lt_f32_e32 vcc_lo, v136, v137
	v_dual_cndmask_b32 v124, v124, v134 :: v_dual_add_nc_u32 v127, 8, v127
	v_cndmask_b32_e32 v125, v125, v135, vcc_lo
	v_cndmask_b32_e64 v126, v126, s0, vcc_lo
	s_add_co_i32 s0, s0, 1
	s_delay_alu instid0(SALU_CYCLE_1)
	s_cmp_lg_u32 s18, s0
	s_cbranch_scc1 .LBB116_1072
.LBB116_1073:
	s_wait_dscnt 0x0
	v_cmp_eq_f32_e32 vcc_lo, 0, v124
	v_cmp_eq_f32_e64 s0, 0, v125
	s_and_b32 s0, vcc_lo, s0
	s_delay_alu instid0(SALU_CYCLE_1) | instskip(NEXT) | instid1(SALU_CYCLE_1)
	s_and_saveexec_b32 s1, s0
	s_xor_b32 s0, exec_lo, s1
; %bb.1074:
	v_cmp_ne_u32_e32 vcc_lo, 0, v130
	v_cndmask_b32_e32 v130, 52, v130, vcc_lo
; %bb.1075:
	s_and_not1_saveexec_b32 s0, s0
	s_cbranch_execz .LBB116_1081
; %bb.1076:
	v_cmp_ngt_f32_e64 s1, |v124|, |v125|
	s_and_saveexec_b32 s12, s1
	s_delay_alu instid0(SALU_CYCLE_1)
	s_xor_b32 s1, exec_lo, s12
	s_cbranch_execz .LBB116_1078
; %bb.1077:
	v_div_scale_f32 v127, null, v125, v125, v124
	v_div_scale_f32 v135, vcc_lo, v124, v125, v124
	s_delay_alu instid0(VALU_DEP_2) | instskip(SKIP_1) | instid1(TRANS32_DEP_1)
	v_rcp_f32_e32 v133, v127
	v_nop
	v_fma_f32 v134, -v127, v133, 1.0
	s_delay_alu instid0(VALU_DEP_1) | instskip(NEXT) | instid1(VALU_DEP_1)
	v_fmac_f32_e32 v133, v134, v133
	v_mul_f32_e32 v134, v135, v133
	s_delay_alu instid0(VALU_DEP_1) | instskip(NEXT) | instid1(VALU_DEP_1)
	v_fma_f32 v136, -v127, v134, v135
	v_fmac_f32_e32 v134, v136, v133
	s_delay_alu instid0(VALU_DEP_1) | instskip(NEXT) | instid1(VALU_DEP_1)
	v_fma_f32 v127, -v127, v134, v135
	v_div_fmas_f32 v127, v127, v133, v134
	s_delay_alu instid0(VALU_DEP_1) | instskip(NEXT) | instid1(VALU_DEP_1)
	v_div_fixup_f32 v127, v127, v125, v124
	v_fmac_f32_e32 v125, v124, v127
	s_delay_alu instid0(VALU_DEP_1) | instskip(SKIP_1) | instid1(VALU_DEP_2)
	v_div_scale_f32 v124, null, v125, v125, 1.0
	v_div_scale_f32 v135, vcc_lo, 1.0, v125, 1.0
	v_rcp_f32_e32 v133, v124
	v_nop
	s_delay_alu instid0(TRANS32_DEP_1) | instskip(NEXT) | instid1(VALU_DEP_1)
	v_fma_f32 v134, -v124, v133, 1.0
	v_fmac_f32_e32 v133, v134, v133
	s_delay_alu instid0(VALU_DEP_1) | instskip(NEXT) | instid1(VALU_DEP_1)
	v_mul_f32_e32 v134, v135, v133
	v_fma_f32 v136, -v124, v134, v135
	s_delay_alu instid0(VALU_DEP_1) | instskip(NEXT) | instid1(VALU_DEP_1)
	v_fmac_f32_e32 v134, v136, v133
	v_fma_f32 v124, -v124, v134, v135
	s_delay_alu instid0(VALU_DEP_1) | instskip(NEXT) | instid1(VALU_DEP_1)
	v_div_fmas_f32 v124, v124, v133, v134
	v_div_fixup_f32 v125, v124, v125, 1.0
	s_delay_alu instid0(VALU_DEP_1)
	v_mul_f32_e32 v124, v127, v125
	v_xor_b32_e32 v125, 0x80000000, v125
.LBB116_1078:
	s_and_not1_saveexec_b32 s1, s1
	s_cbranch_execz .LBB116_1080
; %bb.1079:
	s_delay_alu instid0(VALU_DEP_1) | instskip(SKIP_1) | instid1(VALU_DEP_2)
	v_div_scale_f32 v127, null, v124, v124, v125
	v_div_scale_f32 v135, vcc_lo, v125, v124, v125
	v_rcp_f32_e32 v133, v127
	v_nop
	s_delay_alu instid0(TRANS32_DEP_1) | instskip(NEXT) | instid1(VALU_DEP_1)
	v_fma_f32 v134, -v127, v133, 1.0
	v_fmac_f32_e32 v133, v134, v133
	s_delay_alu instid0(VALU_DEP_1) | instskip(NEXT) | instid1(VALU_DEP_1)
	v_mul_f32_e32 v134, v135, v133
	v_fma_f32 v136, -v127, v134, v135
	s_delay_alu instid0(VALU_DEP_1) | instskip(NEXT) | instid1(VALU_DEP_1)
	v_fmac_f32_e32 v134, v136, v133
	v_fma_f32 v127, -v127, v134, v135
	s_delay_alu instid0(VALU_DEP_1) | instskip(NEXT) | instid1(VALU_DEP_1)
	v_div_fmas_f32 v127, v127, v133, v134
	v_div_fixup_f32 v127, v127, v124, v125
	s_delay_alu instid0(VALU_DEP_1) | instskip(NEXT) | instid1(VALU_DEP_1)
	v_fmac_f32_e32 v124, v125, v127
	v_div_scale_f32 v125, null, v124, v124, 1.0
	s_delay_alu instid0(VALU_DEP_1) | instskip(SKIP_1) | instid1(TRANS32_DEP_1)
	v_rcp_f32_e32 v133, v125
	v_nop
	v_fma_f32 v134, -v125, v133, 1.0
	s_delay_alu instid0(VALU_DEP_1) | instskip(SKIP_1) | instid1(VALU_DEP_1)
	v_fmac_f32_e32 v133, v134, v133
	v_div_scale_f32 v134, vcc_lo, 1.0, v124, 1.0
	v_mul_f32_e32 v135, v134, v133
	s_delay_alu instid0(VALU_DEP_1) | instskip(NEXT) | instid1(VALU_DEP_1)
	v_fma_f32 v136, -v125, v135, v134
	v_fmac_f32_e32 v135, v136, v133
	s_delay_alu instid0(VALU_DEP_1) | instskip(NEXT) | instid1(VALU_DEP_1)
	v_fma_f32 v125, -v125, v135, v134
	v_div_fmas_f32 v125, v125, v133, v135
	s_delay_alu instid0(VALU_DEP_1) | instskip(NEXT) | instid1(VALU_DEP_1)
	v_div_fixup_f32 v124, v125, v124, 1.0
	v_mul_f32_e64 v125, v127, -v124
.LBB116_1080:
	s_or_b32 exec_lo, exec_lo, s1
.LBB116_1081:
	s_delay_alu instid0(SALU_CYCLE_1) | instskip(NEXT) | instid1(SALU_CYCLE_1)
	s_or_b32 exec_lo, exec_lo, s0
	s_mov_b32 s0, exec_lo
	v_cmpx_ne_u32_e64 v132, v126
	s_xor_b32 s0, exec_lo, s0
	s_cbranch_execz .LBB116_1087
; %bb.1082:
	s_mov_b32 s1, exec_lo
	v_cmpx_eq_u32_e32 51, v132
	s_cbranch_execz .LBB116_1086
; %bb.1083:
	v_cmp_ne_u32_e32 vcc_lo, 51, v126
	s_xor_b32 s12, s16, -1
	s_delay_alu instid0(SALU_CYCLE_1) | instskip(NEXT) | instid1(SALU_CYCLE_1)
	s_and_b32 s13, s12, vcc_lo
	s_and_saveexec_b32 s12, s13
	s_cbranch_execz .LBB116_1085
; %bb.1084:
	v_ashrrev_i32_e32 v127, 31, v126
	s_delay_alu instid0(VALU_DEP_1)
	v_lshl_add_u64 v[132:133], v[126:127], 2, v[4:5]
	s_clause 0x1
	global_load_b32 v127, v[132:133], off
	global_load_b32 v131, v[4:5], off offset:204
	s_wait_loadcnt 0x1
	global_store_b32 v[4:5], v127, off offset:204
	s_wait_loadcnt 0x0
	global_store_b32 v[132:133], v131, off
.LBB116_1085:
	s_wait_xcnt 0x0
	s_or_b32 exec_lo, exec_lo, s12
	v_dual_mov_b32 v132, v126 :: v_dual_mov_b32 v131, v126
.LBB116_1086:
	s_or_b32 exec_lo, exec_lo, s1
.LBB116_1087:
	s_and_not1_saveexec_b32 s0, s0
	s_cbranch_execz .LBB116_1089
; %bb.1088:
	v_dual_mov_b32 v126, v114 :: v_dual_mov_b32 v127, v115
	v_dual_mov_b32 v134, v112 :: v_dual_mov_b32 v135, v113
	v_dual_mov_b32 v132, 51 :: v_dual_mov_b32 v136, v92
	v_dual_mov_b32 v137, v93 :: v_dual_mov_b32 v138, v90
	v_dual_mov_b32 v139, v91 :: v_dual_mov_b32 v140, v104
	v_dual_mov_b32 v141, v105 :: v_dual_mov_b32 v142, v98
	v_mov_b32_e32 v143, v99
	ds_store_2addr_b64 v128, v[126:127], v[134:135] offset0:52 offset1:53
	ds_store_2addr_b64 v128, v[136:137], v[138:139] offset0:54 offset1:55
	ds_store_2addr_b64 v128, v[140:141], v[142:143] offset0:56 offset1:57
	ds_store_b64 v128, v[122:123] offset:464
.LBB116_1089:
	s_or_b32 exec_lo, exec_lo, s0
	s_delay_alu instid0(SALU_CYCLE_1)
	s_mov_b32 s0, exec_lo
	s_wait_storecnt_dscnt 0x0
	s_barrier_signal -1
	s_barrier_wait -1
	v_cmpx_lt_i32_e32 51, v132
	s_cbranch_execz .LBB116_1091
; %bb.1090:
	v_pk_mul_f32 v[126:127], v[124:125], v[96:97] op_sel:[1,1] op_sel_hi:[0,1]
	s_delay_alu instid0(VALU_DEP_1)
	v_pk_fma_f32 v[134:135], v[124:125], v[96:97], v[126:127] op_sel_hi:[1,0,1] neg_lo:[0,0,1] neg_hi:[0,0,1]
	v_pk_fma_f32 v[136:137], v[124:125], v[96:97], v[126:127] op_sel_hi:[1,0,1]
	ds_load_2addr_b64 v[124:127], v128 offset0:52 offset1:53
	v_dual_mov_b32 v96, v134 :: v_dual_mov_b32 v97, v137
	s_wait_dscnt 0x0
	v_pk_mul_f32 v[138:139], v[124:125], v[136:137] op_sel:[0,1]
	s_delay_alu instid0(VALU_DEP_1) | instskip(SKIP_1) | instid1(VALU_DEP_1)
	v_pk_fma_f32 v[140:141], v[124:125], v[134:135], v[138:139] op_sel:[0,0,1] op_sel_hi:[1,1,0] neg_lo:[0,0,1] neg_hi:[0,0,1]
	v_pk_fma_f32 v[124:125], v[124:125], v[134:135], v[138:139] op_sel:[0,0,1] op_sel_hi:[1,0,0]
	v_mov_b32_e32 v141, v125
	v_pk_mul_f32 v[124:125], v[126:127], v[136:137] op_sel:[0,1]
	s_delay_alu instid0(VALU_DEP_1) | instskip(SKIP_1) | instid1(VALU_DEP_1)
	v_pk_fma_f32 v[138:139], v[126:127], v[134:135], v[124:125] op_sel:[0,0,1] op_sel_hi:[1,1,0] neg_lo:[0,0,1] neg_hi:[0,0,1]
	v_pk_fma_f32 v[124:125], v[126:127], v[134:135], v[124:125] op_sel:[0,0,1] op_sel_hi:[1,0,0]
	v_mov_b32_e32 v139, v125
	ds_load_2addr_b64 v[124:127], v128 offset0:54 offset1:55
	v_pk_add_f32 v[114:115], v[114:115], v[140:141] neg_lo:[0,1] neg_hi:[0,1]
	v_pk_add_f32 v[112:113], v[112:113], v[138:139] neg_lo:[0,1] neg_hi:[0,1]
	s_wait_dscnt 0x0
	v_pk_mul_f32 v[138:139], v[124:125], v[136:137] op_sel:[0,1]
	s_delay_alu instid0(VALU_DEP_1) | instskip(SKIP_2) | instid1(VALU_DEP_2)
	v_pk_fma_f32 v[140:141], v[124:125], v[134:135], v[138:139] op_sel:[0,0,1] op_sel_hi:[1,1,0] neg_lo:[0,0,1] neg_hi:[0,0,1]
	v_pk_fma_f32 v[124:125], v[124:125], v[134:135], v[138:139] op_sel:[0,0,1] op_sel_hi:[1,0,0]
	v_dual_mul_f32 v138, v127, v137 :: v_dual_mov_b32 v124, v127
	v_dual_mov_b32 v141, v125 :: v_dual_mov_b32 v125, v126
	s_delay_alu instid0(VALU_DEP_2) | instskip(SKIP_1) | instid1(VALU_DEP_3)
	v_pk_fma_f32 v[138:139], v[126:127], v[96:97], v[138:139] op_sel_hi:[1,1,0] neg_lo:[0,0,1] neg_hi:[0,0,1]
	v_mul_f32_e32 v126, v127, v134
	v_pk_add_f32 v[92:93], v[92:93], v[140:141] neg_lo:[0,1] neg_hi:[0,1]
	s_delay_alu instid0(VALU_DEP_2) | instskip(NEXT) | instid1(VALU_DEP_1)
	v_pk_fma_f32 v[124:125], v[124:125], v[96:97], v[126:127] op_sel_hi:[1,1,0]
	v_mov_b32_e32 v139, v125
	ds_load_2addr_b64 v[124:127], v128 offset0:56 offset1:57
	v_pk_add_f32 v[90:91], v[90:91], v[138:139] neg_lo:[0,1] neg_hi:[0,1]
	s_wait_dscnt 0x0
	v_pk_mul_f32 v[138:139], v[124:125], v[136:137] op_sel:[0,1]
	s_delay_alu instid0(VALU_DEP_1) | instskip(SKIP_1) | instid1(VALU_DEP_1)
	v_pk_fma_f32 v[140:141], v[124:125], v[134:135], v[138:139] op_sel:[0,0,1] op_sel_hi:[1,1,0] neg_lo:[0,0,1] neg_hi:[0,0,1]
	v_pk_fma_f32 v[124:125], v[124:125], v[134:135], v[138:139] op_sel:[0,0,1] op_sel_hi:[1,0,0]
	v_mov_b32_e32 v141, v125
	v_pk_mul_f32 v[124:125], v[126:127], v[136:137] op_sel:[0,1]
	s_delay_alu instid0(VALU_DEP_1) | instskip(SKIP_1) | instid1(VALU_DEP_1)
	v_pk_fma_f32 v[138:139], v[126:127], v[134:135], v[124:125] op_sel:[0,0,1] op_sel_hi:[1,1,0] neg_lo:[0,0,1] neg_hi:[0,0,1]
	v_pk_fma_f32 v[124:125], v[126:127], v[134:135], v[124:125] op_sel:[0,0,1] op_sel_hi:[1,0,0]
	v_mov_b32_e32 v139, v125
	ds_load_b64 v[124:125], v128 offset:464
	v_pk_add_f32 v[104:105], v[104:105], v[140:141] neg_lo:[0,1] neg_hi:[0,1]
	v_pk_add_f32 v[98:99], v[98:99], v[138:139] neg_lo:[0,1] neg_hi:[0,1]
	s_wait_dscnt 0x0
	v_pk_mul_f32 v[126:127], v[124:125], v[136:137] op_sel:[0,1]
	s_delay_alu instid0(VALU_DEP_1) | instskip(SKIP_1) | instid1(VALU_DEP_1)
	v_pk_fma_f32 v[136:137], v[124:125], v[134:135], v[126:127] op_sel:[0,0,1] op_sel_hi:[1,1,0] neg_lo:[0,0,1] neg_hi:[0,0,1]
	v_pk_fma_f32 v[124:125], v[124:125], v[134:135], v[126:127] op_sel:[0,0,1] op_sel_hi:[1,0,0]
	v_mov_b32_e32 v137, v125
	s_delay_alu instid0(VALU_DEP_1)
	v_pk_add_f32 v[122:123], v[122:123], v[136:137] neg_lo:[0,1] neg_hi:[0,1]
.LBB116_1091:
	s_or_b32 exec_lo, exec_lo, s0
	v_lshl_add_u32 v124, v132, 3, v128
	s_barrier_signal -1
	s_barrier_wait -1
	ds_store_b64 v124, v[114:115]
	s_wait_dscnt 0x0
	s_barrier_signal -1
	s_barrier_wait -1
	ds_load_b64 v[124:125], v128 offset:416
	v_mov_b32_e32 v126, 52
	s_cmp_lt_i32 s18, 54
	s_cbranch_scc1 .LBB116_1094
; %bb.1092:
	v_add3_u32 v127, v129, 0, 0x1a8
	v_mov_b32_e32 v126, 52
	s_mov_b32 s0, 53
.LBB116_1093:                           ; =>This Inner Loop Header: Depth=1
	ds_load_b64 v[134:135], v127
	s_wait_dscnt 0x1
	v_cmp_gt_f32_e32 vcc_lo, 0, v124
	v_cndmask_b32_e64 v136, v124, -v124, vcc_lo
	v_cmp_gt_f32_e32 vcc_lo, 0, v125
	v_cndmask_b32_e64 v138, v125, -v125, vcc_lo
	s_wait_dscnt 0x0
	v_cmp_gt_f32_e32 vcc_lo, 0, v134
	v_cndmask_b32_e64 v137, v134, -v134, vcc_lo
	v_cmp_gt_f32_e32 vcc_lo, 0, v135
	v_cndmask_b32_e64 v139, v135, -v135, vcc_lo
	s_delay_alu instid0(VALU_DEP_1) | instskip(NEXT) | instid1(VALU_DEP_1)
	v_pk_add_f32 v[136:137], v[136:137], v[138:139]
	v_cmp_lt_f32_e32 vcc_lo, v136, v137
	v_dual_cndmask_b32 v124, v124, v134 :: v_dual_add_nc_u32 v127, 8, v127
	v_cndmask_b32_e32 v125, v125, v135, vcc_lo
	v_cndmask_b32_e64 v126, v126, s0, vcc_lo
	s_add_co_i32 s0, s0, 1
	s_delay_alu instid0(SALU_CYCLE_1)
	s_cmp_lg_u32 s18, s0
	s_cbranch_scc1 .LBB116_1093
.LBB116_1094:
	s_wait_dscnt 0x0
	v_cmp_eq_f32_e32 vcc_lo, 0, v124
	v_cmp_eq_f32_e64 s0, 0, v125
	s_and_b32 s0, vcc_lo, s0
	s_delay_alu instid0(SALU_CYCLE_1) | instskip(NEXT) | instid1(SALU_CYCLE_1)
	s_and_saveexec_b32 s1, s0
	s_xor_b32 s0, exec_lo, s1
; %bb.1095:
	v_cmp_ne_u32_e32 vcc_lo, 0, v130
	v_cndmask_b32_e32 v130, 53, v130, vcc_lo
; %bb.1096:
	s_and_not1_saveexec_b32 s0, s0
	s_cbranch_execz .LBB116_1102
; %bb.1097:
	v_cmp_ngt_f32_e64 s1, |v124|, |v125|
	s_and_saveexec_b32 s12, s1
	s_delay_alu instid0(SALU_CYCLE_1)
	s_xor_b32 s1, exec_lo, s12
	s_cbranch_execz .LBB116_1099
; %bb.1098:
	v_div_scale_f32 v127, null, v125, v125, v124
	v_div_scale_f32 v135, vcc_lo, v124, v125, v124
	s_delay_alu instid0(VALU_DEP_2) | instskip(SKIP_1) | instid1(TRANS32_DEP_1)
	v_rcp_f32_e32 v133, v127
	v_nop
	v_fma_f32 v134, -v127, v133, 1.0
	s_delay_alu instid0(VALU_DEP_1) | instskip(NEXT) | instid1(VALU_DEP_1)
	v_fmac_f32_e32 v133, v134, v133
	v_mul_f32_e32 v134, v135, v133
	s_delay_alu instid0(VALU_DEP_1) | instskip(NEXT) | instid1(VALU_DEP_1)
	v_fma_f32 v136, -v127, v134, v135
	v_fmac_f32_e32 v134, v136, v133
	s_delay_alu instid0(VALU_DEP_1) | instskip(NEXT) | instid1(VALU_DEP_1)
	v_fma_f32 v127, -v127, v134, v135
	v_div_fmas_f32 v127, v127, v133, v134
	s_delay_alu instid0(VALU_DEP_1) | instskip(NEXT) | instid1(VALU_DEP_1)
	v_div_fixup_f32 v127, v127, v125, v124
	v_fmac_f32_e32 v125, v124, v127
	s_delay_alu instid0(VALU_DEP_1) | instskip(SKIP_1) | instid1(VALU_DEP_2)
	v_div_scale_f32 v124, null, v125, v125, 1.0
	v_div_scale_f32 v135, vcc_lo, 1.0, v125, 1.0
	v_rcp_f32_e32 v133, v124
	v_nop
	s_delay_alu instid0(TRANS32_DEP_1) | instskip(NEXT) | instid1(VALU_DEP_1)
	v_fma_f32 v134, -v124, v133, 1.0
	v_fmac_f32_e32 v133, v134, v133
	s_delay_alu instid0(VALU_DEP_1) | instskip(NEXT) | instid1(VALU_DEP_1)
	v_mul_f32_e32 v134, v135, v133
	v_fma_f32 v136, -v124, v134, v135
	s_delay_alu instid0(VALU_DEP_1) | instskip(NEXT) | instid1(VALU_DEP_1)
	v_fmac_f32_e32 v134, v136, v133
	v_fma_f32 v124, -v124, v134, v135
	s_delay_alu instid0(VALU_DEP_1) | instskip(NEXT) | instid1(VALU_DEP_1)
	v_div_fmas_f32 v124, v124, v133, v134
	v_div_fixup_f32 v125, v124, v125, 1.0
	s_delay_alu instid0(VALU_DEP_1)
	v_mul_f32_e32 v124, v127, v125
	v_xor_b32_e32 v125, 0x80000000, v125
.LBB116_1099:
	s_and_not1_saveexec_b32 s1, s1
	s_cbranch_execz .LBB116_1101
; %bb.1100:
	s_delay_alu instid0(VALU_DEP_1) | instskip(SKIP_1) | instid1(VALU_DEP_2)
	v_div_scale_f32 v127, null, v124, v124, v125
	v_div_scale_f32 v135, vcc_lo, v125, v124, v125
	v_rcp_f32_e32 v133, v127
	v_nop
	s_delay_alu instid0(TRANS32_DEP_1) | instskip(NEXT) | instid1(VALU_DEP_1)
	v_fma_f32 v134, -v127, v133, 1.0
	v_fmac_f32_e32 v133, v134, v133
	s_delay_alu instid0(VALU_DEP_1) | instskip(NEXT) | instid1(VALU_DEP_1)
	v_mul_f32_e32 v134, v135, v133
	v_fma_f32 v136, -v127, v134, v135
	s_delay_alu instid0(VALU_DEP_1) | instskip(NEXT) | instid1(VALU_DEP_1)
	v_fmac_f32_e32 v134, v136, v133
	v_fma_f32 v127, -v127, v134, v135
	s_delay_alu instid0(VALU_DEP_1) | instskip(NEXT) | instid1(VALU_DEP_1)
	v_div_fmas_f32 v127, v127, v133, v134
	v_div_fixup_f32 v127, v127, v124, v125
	s_delay_alu instid0(VALU_DEP_1) | instskip(NEXT) | instid1(VALU_DEP_1)
	v_fmac_f32_e32 v124, v125, v127
	v_div_scale_f32 v125, null, v124, v124, 1.0
	s_delay_alu instid0(VALU_DEP_1) | instskip(SKIP_1) | instid1(TRANS32_DEP_1)
	v_rcp_f32_e32 v133, v125
	v_nop
	v_fma_f32 v134, -v125, v133, 1.0
	s_delay_alu instid0(VALU_DEP_1) | instskip(SKIP_1) | instid1(VALU_DEP_1)
	v_fmac_f32_e32 v133, v134, v133
	v_div_scale_f32 v134, vcc_lo, 1.0, v124, 1.0
	v_mul_f32_e32 v135, v134, v133
	s_delay_alu instid0(VALU_DEP_1) | instskip(NEXT) | instid1(VALU_DEP_1)
	v_fma_f32 v136, -v125, v135, v134
	v_fmac_f32_e32 v135, v136, v133
	s_delay_alu instid0(VALU_DEP_1) | instskip(NEXT) | instid1(VALU_DEP_1)
	v_fma_f32 v125, -v125, v135, v134
	v_div_fmas_f32 v125, v125, v133, v135
	s_delay_alu instid0(VALU_DEP_1) | instskip(NEXT) | instid1(VALU_DEP_1)
	v_div_fixup_f32 v124, v125, v124, 1.0
	v_mul_f32_e64 v125, v127, -v124
.LBB116_1101:
	s_or_b32 exec_lo, exec_lo, s1
.LBB116_1102:
	s_delay_alu instid0(SALU_CYCLE_1) | instskip(NEXT) | instid1(SALU_CYCLE_1)
	s_or_b32 exec_lo, exec_lo, s0
	s_mov_b32 s0, exec_lo
	v_cmpx_ne_u32_e64 v132, v126
	s_xor_b32 s0, exec_lo, s0
	s_cbranch_execz .LBB116_1108
; %bb.1103:
	s_mov_b32 s1, exec_lo
	v_cmpx_eq_u32_e32 52, v132
	s_cbranch_execz .LBB116_1107
; %bb.1104:
	v_cmp_ne_u32_e32 vcc_lo, 52, v126
	s_xor_b32 s12, s16, -1
	s_delay_alu instid0(SALU_CYCLE_1) | instskip(NEXT) | instid1(SALU_CYCLE_1)
	s_and_b32 s13, s12, vcc_lo
	s_and_saveexec_b32 s12, s13
	s_cbranch_execz .LBB116_1106
; %bb.1105:
	v_ashrrev_i32_e32 v127, 31, v126
	s_delay_alu instid0(VALU_DEP_1)
	v_lshl_add_u64 v[132:133], v[126:127], 2, v[4:5]
	s_clause 0x1
	global_load_b32 v127, v[132:133], off
	global_load_b32 v131, v[4:5], off offset:208
	s_wait_loadcnt 0x1
	global_store_b32 v[4:5], v127, off offset:208
	s_wait_loadcnt 0x0
	global_store_b32 v[132:133], v131, off
.LBB116_1106:
	s_wait_xcnt 0x0
	s_or_b32 exec_lo, exec_lo, s12
	v_dual_mov_b32 v132, v126 :: v_dual_mov_b32 v131, v126
.LBB116_1107:
	s_or_b32 exec_lo, exec_lo, s1
.LBB116_1108:
	s_and_not1_saveexec_b32 s0, s0
	s_cbranch_execz .LBB116_1110
; %bb.1109:
	v_mov_b32_e32 v132, 52
	ds_store_2addr_b64 v128, v[112:113], v[92:93] offset0:53 offset1:54
	ds_store_2addr_b64 v128, v[90:91], v[104:105] offset0:55 offset1:56
	;; [unrolled: 1-line block ×3, first 2 shown]
.LBB116_1110:
	s_or_b32 exec_lo, exec_lo, s0
	s_delay_alu instid0(SALU_CYCLE_1)
	s_mov_b32 s0, exec_lo
	s_wait_storecnt_dscnt 0x0
	s_barrier_signal -1
	s_barrier_wait -1
	v_cmpx_lt_i32_e32 52, v132
	s_cbranch_execz .LBB116_1112
; %bb.1111:
	v_pk_mul_f32 v[126:127], v[124:125], v[114:115] op_sel:[1,1] op_sel_hi:[0,1]
	s_delay_alu instid0(VALU_DEP_1)
	v_pk_fma_f32 v[134:135], v[124:125], v[114:115], v[126:127] op_sel_hi:[1,0,1] neg_lo:[0,0,1] neg_hi:[0,0,1]
	v_pk_fma_f32 v[136:137], v[124:125], v[114:115], v[126:127] op_sel_hi:[1,0,1]
	ds_load_2addr_b64 v[124:127], v128 offset0:53 offset1:54
	v_dual_mov_b32 v114, v134 :: v_dual_mov_b32 v115, v137
	s_wait_dscnt 0x0
	v_pk_mul_f32 v[138:139], v[124:125], v[136:137] op_sel:[0,1]
	s_delay_alu instid0(VALU_DEP_1) | instskip(SKIP_1) | instid1(VALU_DEP_1)
	v_pk_fma_f32 v[140:141], v[124:125], v[134:135], v[138:139] op_sel:[0,0,1] op_sel_hi:[1,1,0] neg_lo:[0,0,1] neg_hi:[0,0,1]
	v_pk_fma_f32 v[124:125], v[124:125], v[134:135], v[138:139] op_sel:[0,0,1] op_sel_hi:[1,0,0]
	v_mov_b32_e32 v141, v125
	v_pk_mul_f32 v[124:125], v[126:127], v[136:137] op_sel:[0,1]
	s_delay_alu instid0(VALU_DEP_1) | instskip(SKIP_1) | instid1(VALU_DEP_1)
	v_pk_fma_f32 v[138:139], v[126:127], v[134:135], v[124:125] op_sel:[0,0,1] op_sel_hi:[1,1,0] neg_lo:[0,0,1] neg_hi:[0,0,1]
	v_pk_fma_f32 v[124:125], v[126:127], v[134:135], v[124:125] op_sel:[0,0,1] op_sel_hi:[1,0,0]
	v_mov_b32_e32 v139, v125
	ds_load_2addr_b64 v[124:127], v128 offset0:55 offset1:56
	v_pk_add_f32 v[112:113], v[112:113], v[140:141] neg_lo:[0,1] neg_hi:[0,1]
	v_pk_add_f32 v[92:93], v[92:93], v[138:139] neg_lo:[0,1] neg_hi:[0,1]
	s_wait_dscnt 0x0
	v_pk_mul_f32 v[138:139], v[124:125], v[136:137] op_sel:[0,1]
	s_delay_alu instid0(VALU_DEP_1) | instskip(SKIP_2) | instid1(VALU_DEP_2)
	v_pk_fma_f32 v[140:141], v[124:125], v[134:135], v[138:139] op_sel:[0,0,1] op_sel_hi:[1,1,0] neg_lo:[0,0,1] neg_hi:[0,0,1]
	v_pk_fma_f32 v[124:125], v[124:125], v[134:135], v[138:139] op_sel:[0,0,1] op_sel_hi:[1,0,0]
	v_dual_mul_f32 v138, v127, v137 :: v_dual_mov_b32 v124, v127
	v_dual_mov_b32 v141, v125 :: v_dual_mov_b32 v125, v126
	s_delay_alu instid0(VALU_DEP_2) | instskip(SKIP_1) | instid1(VALU_DEP_3)
	v_pk_fma_f32 v[138:139], v[126:127], v[114:115], v[138:139] op_sel_hi:[1,1,0] neg_lo:[0,0,1] neg_hi:[0,0,1]
	v_mul_f32_e32 v126, v127, v134
	v_pk_add_f32 v[90:91], v[90:91], v[140:141] neg_lo:[0,1] neg_hi:[0,1]
	s_delay_alu instid0(VALU_DEP_2) | instskip(NEXT) | instid1(VALU_DEP_1)
	v_pk_fma_f32 v[124:125], v[124:125], v[114:115], v[126:127] op_sel_hi:[1,1,0]
	v_mov_b32_e32 v139, v125
	ds_load_2addr_b64 v[124:127], v128 offset0:57 offset1:58
	v_pk_add_f32 v[104:105], v[104:105], v[138:139] neg_lo:[0,1] neg_hi:[0,1]
	s_wait_dscnt 0x0
	v_pk_mul_f32 v[138:139], v[124:125], v[136:137] op_sel:[0,1]
	v_mul_f32_e32 v136, v127, v137
	s_delay_alu instid0(VALU_DEP_2) | instskip(SKIP_2) | instid1(VALU_DEP_4)
	v_pk_fma_f32 v[140:141], v[124:125], v[134:135], v[138:139] op_sel:[0,0,1] op_sel_hi:[1,1,0] neg_lo:[0,0,1] neg_hi:[0,0,1]
	v_pk_fma_f32 v[124:125], v[124:125], v[134:135], v[138:139] op_sel:[0,0,1] op_sel_hi:[1,0,0]
	v_mov_b32_e32 v124, v127
	v_pk_fma_f32 v[136:137], v[126:127], v[114:115], v[136:137] op_sel_hi:[1,1,0] neg_lo:[0,0,1] neg_hi:[0,0,1]
	s_delay_alu instid0(VALU_DEP_3) | instskip(SKIP_1) | instid1(VALU_DEP_2)
	v_dual_mov_b32 v141, v125 :: v_dual_mov_b32 v125, v126
	v_mul_f32_e32 v126, v127, v134
	v_pk_add_f32 v[98:99], v[98:99], v[140:141] neg_lo:[0,1] neg_hi:[0,1]
	s_delay_alu instid0(VALU_DEP_2) | instskip(NEXT) | instid1(VALU_DEP_1)
	v_pk_fma_f32 v[124:125], v[124:125], v[114:115], v[126:127] op_sel_hi:[1,1,0]
	v_mov_b32_e32 v137, v125
	s_delay_alu instid0(VALU_DEP_1)
	v_pk_add_f32 v[122:123], v[122:123], v[136:137] neg_lo:[0,1] neg_hi:[0,1]
.LBB116_1112:
	s_or_b32 exec_lo, exec_lo, s0
	v_lshl_add_u32 v124, v132, 3, v128
	s_barrier_signal -1
	s_barrier_wait -1
	ds_store_b64 v124, v[112:113]
	s_wait_dscnt 0x0
	s_barrier_signal -1
	s_barrier_wait -1
	ds_load_b64 v[124:125], v128 offset:424
	v_mov_b32_e32 v126, 53
	s_cmp_lt_i32 s18, 55
	s_cbranch_scc1 .LBB116_1115
; %bb.1113:
	v_add3_u32 v127, v129, 0, 0x1b0
	v_mov_b32_e32 v126, 53
	s_mov_b32 s0, 54
.LBB116_1114:                           ; =>This Inner Loop Header: Depth=1
	ds_load_b64 v[134:135], v127
	s_wait_dscnt 0x1
	v_cmp_gt_f32_e32 vcc_lo, 0, v124
	v_cndmask_b32_e64 v136, v124, -v124, vcc_lo
	v_cmp_gt_f32_e32 vcc_lo, 0, v125
	v_cndmask_b32_e64 v138, v125, -v125, vcc_lo
	s_wait_dscnt 0x0
	v_cmp_gt_f32_e32 vcc_lo, 0, v134
	v_cndmask_b32_e64 v137, v134, -v134, vcc_lo
	v_cmp_gt_f32_e32 vcc_lo, 0, v135
	v_cndmask_b32_e64 v139, v135, -v135, vcc_lo
	s_delay_alu instid0(VALU_DEP_1) | instskip(NEXT) | instid1(VALU_DEP_1)
	v_pk_add_f32 v[136:137], v[136:137], v[138:139]
	v_cmp_lt_f32_e32 vcc_lo, v136, v137
	v_dual_cndmask_b32 v124, v124, v134 :: v_dual_add_nc_u32 v127, 8, v127
	v_cndmask_b32_e32 v125, v125, v135, vcc_lo
	v_cndmask_b32_e64 v126, v126, s0, vcc_lo
	s_add_co_i32 s0, s0, 1
	s_delay_alu instid0(SALU_CYCLE_1)
	s_cmp_lg_u32 s18, s0
	s_cbranch_scc1 .LBB116_1114
.LBB116_1115:
	s_wait_dscnt 0x0
	v_cmp_eq_f32_e32 vcc_lo, 0, v124
	v_cmp_eq_f32_e64 s0, 0, v125
	s_and_b32 s0, vcc_lo, s0
	s_delay_alu instid0(SALU_CYCLE_1) | instskip(NEXT) | instid1(SALU_CYCLE_1)
	s_and_saveexec_b32 s1, s0
	s_xor_b32 s0, exec_lo, s1
; %bb.1116:
	v_cmp_ne_u32_e32 vcc_lo, 0, v130
	v_cndmask_b32_e32 v130, 54, v130, vcc_lo
; %bb.1117:
	s_and_not1_saveexec_b32 s0, s0
	s_cbranch_execz .LBB116_1123
; %bb.1118:
	v_cmp_ngt_f32_e64 s1, |v124|, |v125|
	s_and_saveexec_b32 s12, s1
	s_delay_alu instid0(SALU_CYCLE_1)
	s_xor_b32 s1, exec_lo, s12
	s_cbranch_execz .LBB116_1120
; %bb.1119:
	v_div_scale_f32 v127, null, v125, v125, v124
	v_div_scale_f32 v135, vcc_lo, v124, v125, v124
	s_delay_alu instid0(VALU_DEP_2) | instskip(SKIP_1) | instid1(TRANS32_DEP_1)
	v_rcp_f32_e32 v133, v127
	v_nop
	v_fma_f32 v134, -v127, v133, 1.0
	s_delay_alu instid0(VALU_DEP_1) | instskip(NEXT) | instid1(VALU_DEP_1)
	v_fmac_f32_e32 v133, v134, v133
	v_mul_f32_e32 v134, v135, v133
	s_delay_alu instid0(VALU_DEP_1) | instskip(NEXT) | instid1(VALU_DEP_1)
	v_fma_f32 v136, -v127, v134, v135
	v_fmac_f32_e32 v134, v136, v133
	s_delay_alu instid0(VALU_DEP_1) | instskip(NEXT) | instid1(VALU_DEP_1)
	v_fma_f32 v127, -v127, v134, v135
	v_div_fmas_f32 v127, v127, v133, v134
	s_delay_alu instid0(VALU_DEP_1) | instskip(NEXT) | instid1(VALU_DEP_1)
	v_div_fixup_f32 v127, v127, v125, v124
	v_fmac_f32_e32 v125, v124, v127
	s_delay_alu instid0(VALU_DEP_1) | instskip(SKIP_1) | instid1(VALU_DEP_2)
	v_div_scale_f32 v124, null, v125, v125, 1.0
	v_div_scale_f32 v135, vcc_lo, 1.0, v125, 1.0
	v_rcp_f32_e32 v133, v124
	v_nop
	s_delay_alu instid0(TRANS32_DEP_1) | instskip(NEXT) | instid1(VALU_DEP_1)
	v_fma_f32 v134, -v124, v133, 1.0
	v_fmac_f32_e32 v133, v134, v133
	s_delay_alu instid0(VALU_DEP_1) | instskip(NEXT) | instid1(VALU_DEP_1)
	v_mul_f32_e32 v134, v135, v133
	v_fma_f32 v136, -v124, v134, v135
	s_delay_alu instid0(VALU_DEP_1) | instskip(NEXT) | instid1(VALU_DEP_1)
	v_fmac_f32_e32 v134, v136, v133
	v_fma_f32 v124, -v124, v134, v135
	s_delay_alu instid0(VALU_DEP_1) | instskip(NEXT) | instid1(VALU_DEP_1)
	v_div_fmas_f32 v124, v124, v133, v134
	v_div_fixup_f32 v125, v124, v125, 1.0
	s_delay_alu instid0(VALU_DEP_1)
	v_mul_f32_e32 v124, v127, v125
	v_xor_b32_e32 v125, 0x80000000, v125
.LBB116_1120:
	s_and_not1_saveexec_b32 s1, s1
	s_cbranch_execz .LBB116_1122
; %bb.1121:
	s_delay_alu instid0(VALU_DEP_1) | instskip(SKIP_1) | instid1(VALU_DEP_2)
	v_div_scale_f32 v127, null, v124, v124, v125
	v_div_scale_f32 v135, vcc_lo, v125, v124, v125
	v_rcp_f32_e32 v133, v127
	v_nop
	s_delay_alu instid0(TRANS32_DEP_1) | instskip(NEXT) | instid1(VALU_DEP_1)
	v_fma_f32 v134, -v127, v133, 1.0
	v_fmac_f32_e32 v133, v134, v133
	s_delay_alu instid0(VALU_DEP_1) | instskip(NEXT) | instid1(VALU_DEP_1)
	v_mul_f32_e32 v134, v135, v133
	v_fma_f32 v136, -v127, v134, v135
	s_delay_alu instid0(VALU_DEP_1) | instskip(NEXT) | instid1(VALU_DEP_1)
	v_fmac_f32_e32 v134, v136, v133
	v_fma_f32 v127, -v127, v134, v135
	s_delay_alu instid0(VALU_DEP_1) | instskip(NEXT) | instid1(VALU_DEP_1)
	v_div_fmas_f32 v127, v127, v133, v134
	v_div_fixup_f32 v127, v127, v124, v125
	s_delay_alu instid0(VALU_DEP_1) | instskip(NEXT) | instid1(VALU_DEP_1)
	v_fmac_f32_e32 v124, v125, v127
	v_div_scale_f32 v125, null, v124, v124, 1.0
	s_delay_alu instid0(VALU_DEP_1) | instskip(SKIP_1) | instid1(TRANS32_DEP_1)
	v_rcp_f32_e32 v133, v125
	v_nop
	v_fma_f32 v134, -v125, v133, 1.0
	s_delay_alu instid0(VALU_DEP_1) | instskip(SKIP_1) | instid1(VALU_DEP_1)
	v_fmac_f32_e32 v133, v134, v133
	v_div_scale_f32 v134, vcc_lo, 1.0, v124, 1.0
	v_mul_f32_e32 v135, v134, v133
	s_delay_alu instid0(VALU_DEP_1) | instskip(NEXT) | instid1(VALU_DEP_1)
	v_fma_f32 v136, -v125, v135, v134
	v_fmac_f32_e32 v135, v136, v133
	s_delay_alu instid0(VALU_DEP_1) | instskip(NEXT) | instid1(VALU_DEP_1)
	v_fma_f32 v125, -v125, v135, v134
	v_div_fmas_f32 v125, v125, v133, v135
	s_delay_alu instid0(VALU_DEP_1) | instskip(NEXT) | instid1(VALU_DEP_1)
	v_div_fixup_f32 v124, v125, v124, 1.0
	v_mul_f32_e64 v125, v127, -v124
.LBB116_1122:
	s_or_b32 exec_lo, exec_lo, s1
.LBB116_1123:
	s_delay_alu instid0(SALU_CYCLE_1) | instskip(NEXT) | instid1(SALU_CYCLE_1)
	s_or_b32 exec_lo, exec_lo, s0
	s_mov_b32 s0, exec_lo
	v_cmpx_ne_u32_e64 v132, v126
	s_xor_b32 s0, exec_lo, s0
	s_cbranch_execz .LBB116_1129
; %bb.1124:
	s_mov_b32 s1, exec_lo
	v_cmpx_eq_u32_e32 53, v132
	s_cbranch_execz .LBB116_1128
; %bb.1125:
	v_cmp_ne_u32_e32 vcc_lo, 53, v126
	s_xor_b32 s12, s16, -1
	s_delay_alu instid0(SALU_CYCLE_1) | instskip(NEXT) | instid1(SALU_CYCLE_1)
	s_and_b32 s13, s12, vcc_lo
	s_and_saveexec_b32 s12, s13
	s_cbranch_execz .LBB116_1127
; %bb.1126:
	v_ashrrev_i32_e32 v127, 31, v126
	s_delay_alu instid0(VALU_DEP_1)
	v_lshl_add_u64 v[132:133], v[126:127], 2, v[4:5]
	s_clause 0x1
	global_load_b32 v127, v[132:133], off
	global_load_b32 v131, v[4:5], off offset:212
	s_wait_loadcnt 0x1
	global_store_b32 v[4:5], v127, off offset:212
	s_wait_loadcnt 0x0
	global_store_b32 v[132:133], v131, off
.LBB116_1127:
	s_wait_xcnt 0x0
	s_or_b32 exec_lo, exec_lo, s12
	v_dual_mov_b32 v132, v126 :: v_dual_mov_b32 v131, v126
.LBB116_1128:
	s_or_b32 exec_lo, exec_lo, s1
.LBB116_1129:
	s_and_not1_saveexec_b32 s0, s0
	s_cbranch_execz .LBB116_1131
; %bb.1130:
	v_dual_mov_b32 v126, v92 :: v_dual_mov_b32 v127, v93
	v_dual_mov_b32 v134, v90 :: v_dual_mov_b32 v135, v91
	;; [unrolled: 1-line block ×4, first 2 shown]
	v_mov_b32_e32 v139, v99
	ds_store_2addr_b64 v128, v[126:127], v[134:135] offset0:54 offset1:55
	ds_store_2addr_b64 v128, v[136:137], v[138:139] offset0:56 offset1:57
	ds_store_b64 v128, v[122:123] offset:464
.LBB116_1131:
	s_or_b32 exec_lo, exec_lo, s0
	s_delay_alu instid0(SALU_CYCLE_1)
	s_mov_b32 s0, exec_lo
	s_wait_storecnt_dscnt 0x0
	s_barrier_signal -1
	s_barrier_wait -1
	v_cmpx_lt_i32_e32 53, v132
	s_cbranch_execz .LBB116_1133
; %bb.1132:
	v_pk_mul_f32 v[126:127], v[124:125], v[112:113] op_sel:[1,1] op_sel_hi:[0,1]
	s_delay_alu instid0(VALU_DEP_1)
	v_pk_fma_f32 v[134:135], v[124:125], v[112:113], v[126:127] op_sel_hi:[1,0,1] neg_lo:[0,0,1] neg_hi:[0,0,1]
	v_pk_fma_f32 v[136:137], v[124:125], v[112:113], v[126:127] op_sel_hi:[1,0,1]
	ds_load_2addr_b64 v[124:127], v128 offset0:54 offset1:55
	v_dual_mov_b32 v112, v134 :: v_dual_mov_b32 v113, v137
	s_wait_dscnt 0x0
	v_pk_mul_f32 v[138:139], v[124:125], v[136:137] op_sel:[0,1]
	s_delay_alu instid0(VALU_DEP_1) | instskip(SKIP_1) | instid1(VALU_DEP_1)
	v_pk_fma_f32 v[140:141], v[124:125], v[134:135], v[138:139] op_sel:[0,0,1] op_sel_hi:[1,1,0] neg_lo:[0,0,1] neg_hi:[0,0,1]
	v_pk_fma_f32 v[124:125], v[124:125], v[134:135], v[138:139] op_sel:[0,0,1] op_sel_hi:[1,0,0]
	v_mov_b32_e32 v141, v125
	v_pk_mul_f32 v[124:125], v[126:127], v[136:137] op_sel:[0,1]
	s_delay_alu instid0(VALU_DEP_1) | instskip(SKIP_1) | instid1(VALU_DEP_1)
	v_pk_fma_f32 v[138:139], v[126:127], v[134:135], v[124:125] op_sel:[0,0,1] op_sel_hi:[1,1,0] neg_lo:[0,0,1] neg_hi:[0,0,1]
	v_pk_fma_f32 v[124:125], v[126:127], v[134:135], v[124:125] op_sel:[0,0,1] op_sel_hi:[1,0,0]
	v_mov_b32_e32 v139, v125
	ds_load_2addr_b64 v[124:127], v128 offset0:56 offset1:57
	v_pk_add_f32 v[92:93], v[92:93], v[140:141] neg_lo:[0,1] neg_hi:[0,1]
	v_pk_add_f32 v[90:91], v[90:91], v[138:139] neg_lo:[0,1] neg_hi:[0,1]
	s_wait_dscnt 0x0
	v_pk_mul_f32 v[138:139], v[124:125], v[136:137] op_sel:[0,1]
	s_delay_alu instid0(VALU_DEP_1) | instskip(SKIP_2) | instid1(VALU_DEP_2)
	v_pk_fma_f32 v[140:141], v[124:125], v[134:135], v[138:139] op_sel:[0,0,1] op_sel_hi:[1,1,0] neg_lo:[0,0,1] neg_hi:[0,0,1]
	v_pk_fma_f32 v[124:125], v[124:125], v[134:135], v[138:139] op_sel:[0,0,1] op_sel_hi:[1,0,0]
	v_dual_mul_f32 v138, v127, v137 :: v_dual_mov_b32 v124, v127
	v_dual_mov_b32 v141, v125 :: v_dual_mov_b32 v125, v126
	s_delay_alu instid0(VALU_DEP_2) | instskip(SKIP_1) | instid1(VALU_DEP_3)
	v_pk_fma_f32 v[138:139], v[126:127], v[112:113], v[138:139] op_sel_hi:[1,1,0] neg_lo:[0,0,1] neg_hi:[0,0,1]
	v_mul_f32_e32 v126, v127, v134
	v_pk_add_f32 v[104:105], v[104:105], v[140:141] neg_lo:[0,1] neg_hi:[0,1]
	s_delay_alu instid0(VALU_DEP_2) | instskip(NEXT) | instid1(VALU_DEP_1)
	v_pk_fma_f32 v[124:125], v[124:125], v[112:113], v[126:127] op_sel_hi:[1,1,0]
	v_mov_b32_e32 v139, v125
	ds_load_b64 v[124:125], v128 offset:464
	v_pk_add_f32 v[98:99], v[98:99], v[138:139] neg_lo:[0,1] neg_hi:[0,1]
	s_wait_dscnt 0x0
	v_pk_mul_f32 v[126:127], v[124:125], v[136:137] op_sel:[0,1]
	s_delay_alu instid0(VALU_DEP_1) | instskip(SKIP_1) | instid1(VALU_DEP_1)
	v_pk_fma_f32 v[136:137], v[124:125], v[134:135], v[126:127] op_sel:[0,0,1] op_sel_hi:[1,1,0] neg_lo:[0,0,1] neg_hi:[0,0,1]
	v_pk_fma_f32 v[124:125], v[124:125], v[134:135], v[126:127] op_sel:[0,0,1] op_sel_hi:[1,0,0]
	v_mov_b32_e32 v137, v125
	s_delay_alu instid0(VALU_DEP_1)
	v_pk_add_f32 v[122:123], v[122:123], v[136:137] neg_lo:[0,1] neg_hi:[0,1]
.LBB116_1133:
	s_or_b32 exec_lo, exec_lo, s0
	v_lshl_add_u32 v124, v132, 3, v128
	s_barrier_signal -1
	s_barrier_wait -1
	ds_store_b64 v124, v[92:93]
	s_wait_dscnt 0x0
	s_barrier_signal -1
	s_barrier_wait -1
	ds_load_b64 v[124:125], v128 offset:432
	v_mov_b32_e32 v126, 54
	s_cmp_lt_i32 s18, 56
	s_cbranch_scc1 .LBB116_1136
; %bb.1134:
	v_add3_u32 v127, v129, 0, 0x1b8
	v_mov_b32_e32 v126, 54
	s_mov_b32 s0, 55
.LBB116_1135:                           ; =>This Inner Loop Header: Depth=1
	ds_load_b64 v[134:135], v127
	s_wait_dscnt 0x1
	v_cmp_gt_f32_e32 vcc_lo, 0, v124
	v_cndmask_b32_e64 v136, v124, -v124, vcc_lo
	v_cmp_gt_f32_e32 vcc_lo, 0, v125
	v_cndmask_b32_e64 v138, v125, -v125, vcc_lo
	s_wait_dscnt 0x0
	v_cmp_gt_f32_e32 vcc_lo, 0, v134
	v_cndmask_b32_e64 v137, v134, -v134, vcc_lo
	v_cmp_gt_f32_e32 vcc_lo, 0, v135
	v_cndmask_b32_e64 v139, v135, -v135, vcc_lo
	s_delay_alu instid0(VALU_DEP_1) | instskip(NEXT) | instid1(VALU_DEP_1)
	v_pk_add_f32 v[136:137], v[136:137], v[138:139]
	v_cmp_lt_f32_e32 vcc_lo, v136, v137
	v_dual_cndmask_b32 v124, v124, v134 :: v_dual_add_nc_u32 v127, 8, v127
	v_cndmask_b32_e32 v125, v125, v135, vcc_lo
	v_cndmask_b32_e64 v126, v126, s0, vcc_lo
	s_add_co_i32 s0, s0, 1
	s_delay_alu instid0(SALU_CYCLE_1)
	s_cmp_lg_u32 s18, s0
	s_cbranch_scc1 .LBB116_1135
.LBB116_1136:
	s_wait_dscnt 0x0
	v_cmp_eq_f32_e32 vcc_lo, 0, v124
	v_cmp_eq_f32_e64 s0, 0, v125
	s_and_b32 s0, vcc_lo, s0
	s_delay_alu instid0(SALU_CYCLE_1) | instskip(NEXT) | instid1(SALU_CYCLE_1)
	s_and_saveexec_b32 s1, s0
	s_xor_b32 s0, exec_lo, s1
; %bb.1137:
	v_cmp_ne_u32_e32 vcc_lo, 0, v130
	v_cndmask_b32_e32 v130, 55, v130, vcc_lo
; %bb.1138:
	s_and_not1_saveexec_b32 s0, s0
	s_cbranch_execz .LBB116_1144
; %bb.1139:
	v_cmp_ngt_f32_e64 s1, |v124|, |v125|
	s_and_saveexec_b32 s12, s1
	s_delay_alu instid0(SALU_CYCLE_1)
	s_xor_b32 s1, exec_lo, s12
	s_cbranch_execz .LBB116_1141
; %bb.1140:
	v_div_scale_f32 v127, null, v125, v125, v124
	v_div_scale_f32 v135, vcc_lo, v124, v125, v124
	s_delay_alu instid0(VALU_DEP_2) | instskip(SKIP_1) | instid1(TRANS32_DEP_1)
	v_rcp_f32_e32 v133, v127
	v_nop
	v_fma_f32 v134, -v127, v133, 1.0
	s_delay_alu instid0(VALU_DEP_1) | instskip(NEXT) | instid1(VALU_DEP_1)
	v_fmac_f32_e32 v133, v134, v133
	v_mul_f32_e32 v134, v135, v133
	s_delay_alu instid0(VALU_DEP_1) | instskip(NEXT) | instid1(VALU_DEP_1)
	v_fma_f32 v136, -v127, v134, v135
	v_fmac_f32_e32 v134, v136, v133
	s_delay_alu instid0(VALU_DEP_1) | instskip(NEXT) | instid1(VALU_DEP_1)
	v_fma_f32 v127, -v127, v134, v135
	v_div_fmas_f32 v127, v127, v133, v134
	s_delay_alu instid0(VALU_DEP_1) | instskip(NEXT) | instid1(VALU_DEP_1)
	v_div_fixup_f32 v127, v127, v125, v124
	v_fmac_f32_e32 v125, v124, v127
	s_delay_alu instid0(VALU_DEP_1) | instskip(SKIP_1) | instid1(VALU_DEP_2)
	v_div_scale_f32 v124, null, v125, v125, 1.0
	v_div_scale_f32 v135, vcc_lo, 1.0, v125, 1.0
	v_rcp_f32_e32 v133, v124
	v_nop
	s_delay_alu instid0(TRANS32_DEP_1) | instskip(NEXT) | instid1(VALU_DEP_1)
	v_fma_f32 v134, -v124, v133, 1.0
	v_fmac_f32_e32 v133, v134, v133
	s_delay_alu instid0(VALU_DEP_1) | instskip(NEXT) | instid1(VALU_DEP_1)
	v_mul_f32_e32 v134, v135, v133
	v_fma_f32 v136, -v124, v134, v135
	s_delay_alu instid0(VALU_DEP_1) | instskip(NEXT) | instid1(VALU_DEP_1)
	v_fmac_f32_e32 v134, v136, v133
	v_fma_f32 v124, -v124, v134, v135
	s_delay_alu instid0(VALU_DEP_1) | instskip(NEXT) | instid1(VALU_DEP_1)
	v_div_fmas_f32 v124, v124, v133, v134
	v_div_fixup_f32 v125, v124, v125, 1.0
	s_delay_alu instid0(VALU_DEP_1)
	v_mul_f32_e32 v124, v127, v125
	v_xor_b32_e32 v125, 0x80000000, v125
.LBB116_1141:
	s_and_not1_saveexec_b32 s1, s1
	s_cbranch_execz .LBB116_1143
; %bb.1142:
	s_delay_alu instid0(VALU_DEP_1) | instskip(SKIP_1) | instid1(VALU_DEP_2)
	v_div_scale_f32 v127, null, v124, v124, v125
	v_div_scale_f32 v135, vcc_lo, v125, v124, v125
	v_rcp_f32_e32 v133, v127
	v_nop
	s_delay_alu instid0(TRANS32_DEP_1) | instskip(NEXT) | instid1(VALU_DEP_1)
	v_fma_f32 v134, -v127, v133, 1.0
	v_fmac_f32_e32 v133, v134, v133
	s_delay_alu instid0(VALU_DEP_1) | instskip(NEXT) | instid1(VALU_DEP_1)
	v_mul_f32_e32 v134, v135, v133
	v_fma_f32 v136, -v127, v134, v135
	s_delay_alu instid0(VALU_DEP_1) | instskip(NEXT) | instid1(VALU_DEP_1)
	v_fmac_f32_e32 v134, v136, v133
	v_fma_f32 v127, -v127, v134, v135
	s_delay_alu instid0(VALU_DEP_1) | instskip(NEXT) | instid1(VALU_DEP_1)
	v_div_fmas_f32 v127, v127, v133, v134
	v_div_fixup_f32 v127, v127, v124, v125
	s_delay_alu instid0(VALU_DEP_1) | instskip(NEXT) | instid1(VALU_DEP_1)
	v_fmac_f32_e32 v124, v125, v127
	v_div_scale_f32 v125, null, v124, v124, 1.0
	s_delay_alu instid0(VALU_DEP_1) | instskip(SKIP_1) | instid1(TRANS32_DEP_1)
	v_rcp_f32_e32 v133, v125
	v_nop
	v_fma_f32 v134, -v125, v133, 1.0
	s_delay_alu instid0(VALU_DEP_1) | instskip(SKIP_1) | instid1(VALU_DEP_1)
	v_fmac_f32_e32 v133, v134, v133
	v_div_scale_f32 v134, vcc_lo, 1.0, v124, 1.0
	v_mul_f32_e32 v135, v134, v133
	s_delay_alu instid0(VALU_DEP_1) | instskip(NEXT) | instid1(VALU_DEP_1)
	v_fma_f32 v136, -v125, v135, v134
	v_fmac_f32_e32 v135, v136, v133
	s_delay_alu instid0(VALU_DEP_1) | instskip(NEXT) | instid1(VALU_DEP_1)
	v_fma_f32 v125, -v125, v135, v134
	v_div_fmas_f32 v125, v125, v133, v135
	s_delay_alu instid0(VALU_DEP_1) | instskip(NEXT) | instid1(VALU_DEP_1)
	v_div_fixup_f32 v124, v125, v124, 1.0
	v_mul_f32_e64 v125, v127, -v124
.LBB116_1143:
	s_or_b32 exec_lo, exec_lo, s1
.LBB116_1144:
	s_delay_alu instid0(SALU_CYCLE_1) | instskip(NEXT) | instid1(SALU_CYCLE_1)
	s_or_b32 exec_lo, exec_lo, s0
	s_mov_b32 s0, exec_lo
	v_cmpx_ne_u32_e64 v132, v126
	s_xor_b32 s0, exec_lo, s0
	s_cbranch_execz .LBB116_1150
; %bb.1145:
	s_mov_b32 s1, exec_lo
	v_cmpx_eq_u32_e32 54, v132
	s_cbranch_execz .LBB116_1149
; %bb.1146:
	v_cmp_ne_u32_e32 vcc_lo, 54, v126
	s_xor_b32 s12, s16, -1
	s_delay_alu instid0(SALU_CYCLE_1) | instskip(NEXT) | instid1(SALU_CYCLE_1)
	s_and_b32 s13, s12, vcc_lo
	s_and_saveexec_b32 s12, s13
	s_cbranch_execz .LBB116_1148
; %bb.1147:
	v_ashrrev_i32_e32 v127, 31, v126
	s_delay_alu instid0(VALU_DEP_1)
	v_lshl_add_u64 v[132:133], v[126:127], 2, v[4:5]
	s_clause 0x1
	global_load_b32 v127, v[132:133], off
	global_load_b32 v131, v[4:5], off offset:216
	s_wait_loadcnt 0x1
	global_store_b32 v[4:5], v127, off offset:216
	s_wait_loadcnt 0x0
	global_store_b32 v[132:133], v131, off
.LBB116_1148:
	s_wait_xcnt 0x0
	s_or_b32 exec_lo, exec_lo, s12
	v_dual_mov_b32 v132, v126 :: v_dual_mov_b32 v131, v126
.LBB116_1149:
	s_or_b32 exec_lo, exec_lo, s1
.LBB116_1150:
	s_and_not1_saveexec_b32 s0, s0
	s_cbranch_execz .LBB116_1152
; %bb.1151:
	v_mov_b32_e32 v132, 54
	ds_store_2addr_b64 v128, v[90:91], v[104:105] offset0:55 offset1:56
	ds_store_2addr_b64 v128, v[98:99], v[122:123] offset0:57 offset1:58
.LBB116_1152:
	s_or_b32 exec_lo, exec_lo, s0
	s_delay_alu instid0(SALU_CYCLE_1)
	s_mov_b32 s0, exec_lo
	s_wait_storecnt_dscnt 0x0
	s_barrier_signal -1
	s_barrier_wait -1
	v_cmpx_lt_i32_e32 54, v132
	s_cbranch_execz .LBB116_1154
; %bb.1153:
	v_pk_mul_f32 v[126:127], v[124:125], v[92:93] op_sel:[1,1] op_sel_hi:[0,1]
	s_delay_alu instid0(VALU_DEP_1)
	v_pk_fma_f32 v[134:135], v[124:125], v[92:93], v[126:127] op_sel_hi:[1,0,1] neg_lo:[0,0,1] neg_hi:[0,0,1]
	v_pk_fma_f32 v[136:137], v[124:125], v[92:93], v[126:127] op_sel_hi:[1,0,1]
	ds_load_2addr_b64 v[124:127], v128 offset0:55 offset1:56
	v_dual_mov_b32 v92, v134 :: v_dual_mov_b32 v93, v137
	s_wait_dscnt 0x0
	v_pk_mul_f32 v[138:139], v[124:125], v[136:137] op_sel:[0,1]
	s_delay_alu instid0(VALU_DEP_1) | instskip(SKIP_1) | instid1(VALU_DEP_1)
	v_pk_fma_f32 v[140:141], v[124:125], v[134:135], v[138:139] op_sel:[0,0,1] op_sel_hi:[1,1,0] neg_lo:[0,0,1] neg_hi:[0,0,1]
	v_pk_fma_f32 v[124:125], v[124:125], v[134:135], v[138:139] op_sel:[0,0,1] op_sel_hi:[1,0,0]
	v_mov_b32_e32 v141, v125
	v_pk_mul_f32 v[124:125], v[126:127], v[136:137] op_sel:[0,1]
	s_delay_alu instid0(VALU_DEP_1) | instskip(SKIP_1) | instid1(VALU_DEP_1)
	v_pk_fma_f32 v[138:139], v[126:127], v[134:135], v[124:125] op_sel:[0,0,1] op_sel_hi:[1,1,0] neg_lo:[0,0,1] neg_hi:[0,0,1]
	v_pk_fma_f32 v[124:125], v[126:127], v[134:135], v[124:125] op_sel:[0,0,1] op_sel_hi:[1,0,0]
	v_mov_b32_e32 v139, v125
	ds_load_2addr_b64 v[124:127], v128 offset0:57 offset1:58
	v_pk_add_f32 v[90:91], v[90:91], v[140:141] neg_lo:[0,1] neg_hi:[0,1]
	v_pk_add_f32 v[104:105], v[104:105], v[138:139] neg_lo:[0,1] neg_hi:[0,1]
	s_wait_dscnt 0x0
	v_pk_mul_f32 v[138:139], v[124:125], v[136:137] op_sel:[0,1]
	s_delay_alu instid0(VALU_DEP_1) | instskip(SKIP_1) | instid1(VALU_DEP_1)
	v_pk_fma_f32 v[140:141], v[124:125], v[134:135], v[138:139] op_sel:[0,0,1] op_sel_hi:[1,1,0] neg_lo:[0,0,1] neg_hi:[0,0,1]
	v_pk_fma_f32 v[124:125], v[124:125], v[134:135], v[138:139] op_sel:[0,0,1] op_sel_hi:[1,0,0]
	v_dual_mov_b32 v124, v127 :: v_dual_mov_b32 v141, v125
	v_mov_b32_e32 v125, v126
	s_delay_alu instid0(VALU_DEP_2) | instskip(NEXT) | instid1(VALU_DEP_2)
	v_pk_add_f32 v[98:99], v[98:99], v[140:141] neg_lo:[0,1] neg_hi:[0,1]
	v_pk_mul_f32 v[124:125], v[124:125], v[136:137] op_sel:[0,1]
	s_delay_alu instid0(VALU_DEP_1) | instskip(SKIP_1) | instid1(VALU_DEP_1)
	v_pk_fma_f32 v[136:137], v[126:127], v[134:135], v[124:125] neg_lo:[0,0,1] neg_hi:[0,0,1]
	v_pk_fma_f32 v[124:125], v[126:127], v[134:135], v[124:125] op_sel_hi:[1,0,1]
	v_mov_b32_e32 v137, v125
	s_delay_alu instid0(VALU_DEP_1)
	v_pk_add_f32 v[122:123], v[122:123], v[136:137] neg_lo:[0,1] neg_hi:[0,1]
.LBB116_1154:
	s_or_b32 exec_lo, exec_lo, s0
	v_lshl_add_u32 v124, v132, 3, v128
	s_barrier_signal -1
	s_barrier_wait -1
	ds_store_b64 v124, v[90:91]
	s_wait_dscnt 0x0
	s_barrier_signal -1
	s_barrier_wait -1
	ds_load_b64 v[124:125], v128 offset:440
	v_mov_b32_e32 v126, 55
	s_cmp_lt_i32 s18, 57
	s_cbranch_scc1 .LBB116_1157
; %bb.1155:
	v_add3_u32 v127, v129, 0, 0x1c0
	v_mov_b32_e32 v126, 55
	s_mov_b32 s0, 56
.LBB116_1156:                           ; =>This Inner Loop Header: Depth=1
	ds_load_b64 v[134:135], v127
	s_wait_dscnt 0x1
	v_cmp_gt_f32_e32 vcc_lo, 0, v124
	v_cndmask_b32_e64 v136, v124, -v124, vcc_lo
	v_cmp_gt_f32_e32 vcc_lo, 0, v125
	v_cndmask_b32_e64 v138, v125, -v125, vcc_lo
	s_wait_dscnt 0x0
	v_cmp_gt_f32_e32 vcc_lo, 0, v134
	v_cndmask_b32_e64 v137, v134, -v134, vcc_lo
	v_cmp_gt_f32_e32 vcc_lo, 0, v135
	v_cndmask_b32_e64 v139, v135, -v135, vcc_lo
	s_delay_alu instid0(VALU_DEP_1) | instskip(NEXT) | instid1(VALU_DEP_1)
	v_pk_add_f32 v[136:137], v[136:137], v[138:139]
	v_cmp_lt_f32_e32 vcc_lo, v136, v137
	v_dual_cndmask_b32 v124, v124, v134 :: v_dual_add_nc_u32 v127, 8, v127
	v_cndmask_b32_e32 v125, v125, v135, vcc_lo
	v_cndmask_b32_e64 v126, v126, s0, vcc_lo
	s_add_co_i32 s0, s0, 1
	s_delay_alu instid0(SALU_CYCLE_1)
	s_cmp_lg_u32 s18, s0
	s_cbranch_scc1 .LBB116_1156
.LBB116_1157:
	s_wait_dscnt 0x0
	v_cmp_eq_f32_e32 vcc_lo, 0, v124
	v_cmp_eq_f32_e64 s0, 0, v125
	s_and_b32 s0, vcc_lo, s0
	s_delay_alu instid0(SALU_CYCLE_1) | instskip(NEXT) | instid1(SALU_CYCLE_1)
	s_and_saveexec_b32 s1, s0
	s_xor_b32 s0, exec_lo, s1
; %bb.1158:
	v_cmp_ne_u32_e32 vcc_lo, 0, v130
	v_cndmask_b32_e32 v130, 56, v130, vcc_lo
; %bb.1159:
	s_and_not1_saveexec_b32 s0, s0
	s_cbranch_execz .LBB116_1165
; %bb.1160:
	v_cmp_ngt_f32_e64 s1, |v124|, |v125|
	s_and_saveexec_b32 s12, s1
	s_delay_alu instid0(SALU_CYCLE_1)
	s_xor_b32 s1, exec_lo, s12
	s_cbranch_execz .LBB116_1162
; %bb.1161:
	v_div_scale_f32 v127, null, v125, v125, v124
	v_div_scale_f32 v135, vcc_lo, v124, v125, v124
	s_delay_alu instid0(VALU_DEP_2) | instskip(SKIP_1) | instid1(TRANS32_DEP_1)
	v_rcp_f32_e32 v133, v127
	v_nop
	v_fma_f32 v134, -v127, v133, 1.0
	s_delay_alu instid0(VALU_DEP_1) | instskip(NEXT) | instid1(VALU_DEP_1)
	v_fmac_f32_e32 v133, v134, v133
	v_mul_f32_e32 v134, v135, v133
	s_delay_alu instid0(VALU_DEP_1) | instskip(NEXT) | instid1(VALU_DEP_1)
	v_fma_f32 v136, -v127, v134, v135
	v_fmac_f32_e32 v134, v136, v133
	s_delay_alu instid0(VALU_DEP_1) | instskip(NEXT) | instid1(VALU_DEP_1)
	v_fma_f32 v127, -v127, v134, v135
	v_div_fmas_f32 v127, v127, v133, v134
	s_delay_alu instid0(VALU_DEP_1) | instskip(NEXT) | instid1(VALU_DEP_1)
	v_div_fixup_f32 v127, v127, v125, v124
	v_fmac_f32_e32 v125, v124, v127
	s_delay_alu instid0(VALU_DEP_1) | instskip(SKIP_1) | instid1(VALU_DEP_2)
	v_div_scale_f32 v124, null, v125, v125, 1.0
	v_div_scale_f32 v135, vcc_lo, 1.0, v125, 1.0
	v_rcp_f32_e32 v133, v124
	v_nop
	s_delay_alu instid0(TRANS32_DEP_1) | instskip(NEXT) | instid1(VALU_DEP_1)
	v_fma_f32 v134, -v124, v133, 1.0
	v_fmac_f32_e32 v133, v134, v133
	s_delay_alu instid0(VALU_DEP_1) | instskip(NEXT) | instid1(VALU_DEP_1)
	v_mul_f32_e32 v134, v135, v133
	v_fma_f32 v136, -v124, v134, v135
	s_delay_alu instid0(VALU_DEP_1) | instskip(NEXT) | instid1(VALU_DEP_1)
	v_fmac_f32_e32 v134, v136, v133
	v_fma_f32 v124, -v124, v134, v135
	s_delay_alu instid0(VALU_DEP_1) | instskip(NEXT) | instid1(VALU_DEP_1)
	v_div_fmas_f32 v124, v124, v133, v134
	v_div_fixup_f32 v125, v124, v125, 1.0
	s_delay_alu instid0(VALU_DEP_1)
	v_mul_f32_e32 v124, v127, v125
	v_xor_b32_e32 v125, 0x80000000, v125
.LBB116_1162:
	s_and_not1_saveexec_b32 s1, s1
	s_cbranch_execz .LBB116_1164
; %bb.1163:
	s_delay_alu instid0(VALU_DEP_1) | instskip(SKIP_1) | instid1(VALU_DEP_2)
	v_div_scale_f32 v127, null, v124, v124, v125
	v_div_scale_f32 v135, vcc_lo, v125, v124, v125
	v_rcp_f32_e32 v133, v127
	v_nop
	s_delay_alu instid0(TRANS32_DEP_1) | instskip(NEXT) | instid1(VALU_DEP_1)
	v_fma_f32 v134, -v127, v133, 1.0
	v_fmac_f32_e32 v133, v134, v133
	s_delay_alu instid0(VALU_DEP_1) | instskip(NEXT) | instid1(VALU_DEP_1)
	v_mul_f32_e32 v134, v135, v133
	v_fma_f32 v136, -v127, v134, v135
	s_delay_alu instid0(VALU_DEP_1) | instskip(NEXT) | instid1(VALU_DEP_1)
	v_fmac_f32_e32 v134, v136, v133
	v_fma_f32 v127, -v127, v134, v135
	s_delay_alu instid0(VALU_DEP_1) | instskip(NEXT) | instid1(VALU_DEP_1)
	v_div_fmas_f32 v127, v127, v133, v134
	v_div_fixup_f32 v127, v127, v124, v125
	s_delay_alu instid0(VALU_DEP_1) | instskip(NEXT) | instid1(VALU_DEP_1)
	v_fmac_f32_e32 v124, v125, v127
	v_div_scale_f32 v125, null, v124, v124, 1.0
	s_delay_alu instid0(VALU_DEP_1) | instskip(SKIP_1) | instid1(TRANS32_DEP_1)
	v_rcp_f32_e32 v133, v125
	v_nop
	v_fma_f32 v134, -v125, v133, 1.0
	s_delay_alu instid0(VALU_DEP_1) | instskip(SKIP_1) | instid1(VALU_DEP_1)
	v_fmac_f32_e32 v133, v134, v133
	v_div_scale_f32 v134, vcc_lo, 1.0, v124, 1.0
	v_mul_f32_e32 v135, v134, v133
	s_delay_alu instid0(VALU_DEP_1) | instskip(NEXT) | instid1(VALU_DEP_1)
	v_fma_f32 v136, -v125, v135, v134
	v_fmac_f32_e32 v135, v136, v133
	s_delay_alu instid0(VALU_DEP_1) | instskip(NEXT) | instid1(VALU_DEP_1)
	v_fma_f32 v125, -v125, v135, v134
	v_div_fmas_f32 v125, v125, v133, v135
	s_delay_alu instid0(VALU_DEP_1) | instskip(NEXT) | instid1(VALU_DEP_1)
	v_div_fixup_f32 v124, v125, v124, 1.0
	v_mul_f32_e64 v125, v127, -v124
.LBB116_1164:
	s_or_b32 exec_lo, exec_lo, s1
.LBB116_1165:
	s_delay_alu instid0(SALU_CYCLE_1) | instskip(NEXT) | instid1(SALU_CYCLE_1)
	s_or_b32 exec_lo, exec_lo, s0
	s_mov_b32 s0, exec_lo
	v_cmpx_ne_u32_e64 v132, v126
	s_xor_b32 s0, exec_lo, s0
	s_cbranch_execz .LBB116_1171
; %bb.1166:
	s_mov_b32 s1, exec_lo
	v_cmpx_eq_u32_e32 55, v132
	s_cbranch_execz .LBB116_1170
; %bb.1167:
	v_cmp_ne_u32_e32 vcc_lo, 55, v126
	s_xor_b32 s12, s16, -1
	s_delay_alu instid0(SALU_CYCLE_1) | instskip(NEXT) | instid1(SALU_CYCLE_1)
	s_and_b32 s13, s12, vcc_lo
	s_and_saveexec_b32 s12, s13
	s_cbranch_execz .LBB116_1169
; %bb.1168:
	v_ashrrev_i32_e32 v127, 31, v126
	s_delay_alu instid0(VALU_DEP_1)
	v_lshl_add_u64 v[132:133], v[126:127], 2, v[4:5]
	s_clause 0x1
	global_load_b32 v127, v[132:133], off
	global_load_b32 v131, v[4:5], off offset:220
	s_wait_loadcnt 0x1
	global_store_b32 v[4:5], v127, off offset:220
	s_wait_loadcnt 0x0
	global_store_b32 v[132:133], v131, off
.LBB116_1169:
	s_wait_xcnt 0x0
	s_or_b32 exec_lo, exec_lo, s12
	v_dual_mov_b32 v132, v126 :: v_dual_mov_b32 v131, v126
.LBB116_1170:
	s_or_b32 exec_lo, exec_lo, s1
.LBB116_1171:
	s_and_not1_saveexec_b32 s0, s0
	s_cbranch_execz .LBB116_1173
; %bb.1172:
	v_dual_mov_b32 v126, v104 :: v_dual_mov_b32 v127, v105
	v_dual_mov_b32 v134, v98 :: v_dual_mov_b32 v135, v99
	v_mov_b32_e32 v132, 55
	ds_store_2addr_b64 v128, v[126:127], v[134:135] offset0:56 offset1:57
	ds_store_b64 v128, v[122:123] offset:464
.LBB116_1173:
	s_or_b32 exec_lo, exec_lo, s0
	s_delay_alu instid0(SALU_CYCLE_1)
	s_mov_b32 s0, exec_lo
	s_wait_storecnt_dscnt 0x0
	s_barrier_signal -1
	s_barrier_wait -1
	v_cmpx_lt_i32_e32 55, v132
	s_cbranch_execz .LBB116_1175
; %bb.1174:
	v_pk_mul_f32 v[126:127], v[124:125], v[90:91] op_sel:[1,1] op_sel_hi:[0,1]
	s_delay_alu instid0(VALU_DEP_1)
	v_pk_fma_f32 v[134:135], v[124:125], v[90:91], v[126:127] op_sel_hi:[1,0,1] neg_lo:[0,0,1] neg_hi:[0,0,1]
	v_pk_fma_f32 v[136:137], v[124:125], v[90:91], v[126:127] op_sel_hi:[1,0,1]
	ds_load_2addr_b64 v[124:127], v128 offset0:56 offset1:57
	v_dual_mov_b32 v90, v134 :: v_dual_mov_b32 v91, v137
	s_wait_dscnt 0x0
	v_pk_mul_f32 v[138:139], v[124:125], v[136:137] op_sel:[0,1]
	s_delay_alu instid0(VALU_DEP_1) | instskip(SKIP_1) | instid1(VALU_DEP_1)
	v_pk_fma_f32 v[140:141], v[124:125], v[134:135], v[138:139] op_sel:[0,0,1] op_sel_hi:[1,1,0] neg_lo:[0,0,1] neg_hi:[0,0,1]
	v_pk_fma_f32 v[124:125], v[124:125], v[134:135], v[138:139] op_sel:[0,0,1] op_sel_hi:[1,0,0]
	v_mov_b32_e32 v141, v125
	v_pk_mul_f32 v[124:125], v[126:127], v[136:137] op_sel:[0,1]
	s_delay_alu instid0(VALU_DEP_1) | instskip(SKIP_1) | instid1(VALU_DEP_1)
	v_pk_fma_f32 v[138:139], v[126:127], v[134:135], v[124:125] op_sel:[0,0,1] op_sel_hi:[1,1,0] neg_lo:[0,0,1] neg_hi:[0,0,1]
	v_pk_fma_f32 v[124:125], v[126:127], v[134:135], v[124:125] op_sel:[0,0,1] op_sel_hi:[1,0,0]
	v_mov_b32_e32 v139, v125
	ds_load_b64 v[124:125], v128 offset:464
	v_pk_add_f32 v[104:105], v[104:105], v[140:141] neg_lo:[0,1] neg_hi:[0,1]
	v_pk_add_f32 v[98:99], v[98:99], v[138:139] neg_lo:[0,1] neg_hi:[0,1]
	s_wait_dscnt 0x0
	v_pk_mul_f32 v[126:127], v[124:125], v[136:137] op_sel:[1,1] op_sel_hi:[0,1]
	s_delay_alu instid0(VALU_DEP_1) | instskip(SKIP_1) | instid1(VALU_DEP_1)
	v_pk_fma_f32 v[136:137], v[124:125], v[134:135], v[126:127] neg_lo:[0,0,1] neg_hi:[0,0,1]
	v_pk_fma_f32 v[124:125], v[124:125], v[134:135], v[126:127] op_sel_hi:[1,0,1]
	v_mov_b32_e32 v137, v125
	s_delay_alu instid0(VALU_DEP_1)
	v_pk_add_f32 v[122:123], v[122:123], v[136:137] neg_lo:[0,1] neg_hi:[0,1]
.LBB116_1175:
	s_or_b32 exec_lo, exec_lo, s0
	v_lshl_add_u32 v124, v132, 3, v128
	s_barrier_signal -1
	s_barrier_wait -1
	ds_store_b64 v124, v[104:105]
	s_wait_dscnt 0x0
	s_barrier_signal -1
	s_barrier_wait -1
	ds_load_b64 v[124:125], v128 offset:448
	v_mov_b32_e32 v126, 56
	s_cmp_lt_i32 s18, 58
	s_cbranch_scc1 .LBB116_1178
; %bb.1176:
	v_add3_u32 v127, v129, 0, 0x1c8
	v_mov_b32_e32 v126, 56
	s_mov_b32 s0, 57
.LBB116_1177:                           ; =>This Inner Loop Header: Depth=1
	ds_load_b64 v[134:135], v127
	s_wait_dscnt 0x1
	v_cmp_gt_f32_e32 vcc_lo, 0, v124
	v_cndmask_b32_e64 v136, v124, -v124, vcc_lo
	v_cmp_gt_f32_e32 vcc_lo, 0, v125
	v_cndmask_b32_e64 v138, v125, -v125, vcc_lo
	s_wait_dscnt 0x0
	v_cmp_gt_f32_e32 vcc_lo, 0, v134
	v_cndmask_b32_e64 v137, v134, -v134, vcc_lo
	v_cmp_gt_f32_e32 vcc_lo, 0, v135
	v_cndmask_b32_e64 v139, v135, -v135, vcc_lo
	s_delay_alu instid0(VALU_DEP_1) | instskip(NEXT) | instid1(VALU_DEP_1)
	v_pk_add_f32 v[136:137], v[136:137], v[138:139]
	v_cmp_lt_f32_e32 vcc_lo, v136, v137
	v_dual_cndmask_b32 v124, v124, v134 :: v_dual_add_nc_u32 v127, 8, v127
	v_cndmask_b32_e32 v125, v125, v135, vcc_lo
	v_cndmask_b32_e64 v126, v126, s0, vcc_lo
	s_add_co_i32 s0, s0, 1
	s_delay_alu instid0(SALU_CYCLE_1)
	s_cmp_lg_u32 s18, s0
	s_cbranch_scc1 .LBB116_1177
.LBB116_1178:
	s_wait_dscnt 0x0
	v_cmp_eq_f32_e32 vcc_lo, 0, v124
	v_cmp_eq_f32_e64 s0, 0, v125
	s_and_b32 s0, vcc_lo, s0
	s_delay_alu instid0(SALU_CYCLE_1) | instskip(NEXT) | instid1(SALU_CYCLE_1)
	s_and_saveexec_b32 s1, s0
	s_xor_b32 s0, exec_lo, s1
; %bb.1179:
	v_cmp_ne_u32_e32 vcc_lo, 0, v130
	v_cndmask_b32_e32 v130, 57, v130, vcc_lo
; %bb.1180:
	s_and_not1_saveexec_b32 s0, s0
	s_cbranch_execz .LBB116_1186
; %bb.1181:
	v_cmp_ngt_f32_e64 s1, |v124|, |v125|
	s_and_saveexec_b32 s12, s1
	s_delay_alu instid0(SALU_CYCLE_1)
	s_xor_b32 s1, exec_lo, s12
	s_cbranch_execz .LBB116_1183
; %bb.1182:
	v_div_scale_f32 v127, null, v125, v125, v124
	v_div_scale_f32 v135, vcc_lo, v124, v125, v124
	s_delay_alu instid0(VALU_DEP_2) | instskip(SKIP_1) | instid1(TRANS32_DEP_1)
	v_rcp_f32_e32 v133, v127
	v_nop
	v_fma_f32 v134, -v127, v133, 1.0
	s_delay_alu instid0(VALU_DEP_1) | instskip(NEXT) | instid1(VALU_DEP_1)
	v_fmac_f32_e32 v133, v134, v133
	v_mul_f32_e32 v134, v135, v133
	s_delay_alu instid0(VALU_DEP_1) | instskip(NEXT) | instid1(VALU_DEP_1)
	v_fma_f32 v136, -v127, v134, v135
	v_fmac_f32_e32 v134, v136, v133
	s_delay_alu instid0(VALU_DEP_1) | instskip(NEXT) | instid1(VALU_DEP_1)
	v_fma_f32 v127, -v127, v134, v135
	v_div_fmas_f32 v127, v127, v133, v134
	s_delay_alu instid0(VALU_DEP_1) | instskip(NEXT) | instid1(VALU_DEP_1)
	v_div_fixup_f32 v127, v127, v125, v124
	v_fmac_f32_e32 v125, v124, v127
	s_delay_alu instid0(VALU_DEP_1) | instskip(SKIP_1) | instid1(VALU_DEP_2)
	v_div_scale_f32 v124, null, v125, v125, 1.0
	v_div_scale_f32 v135, vcc_lo, 1.0, v125, 1.0
	v_rcp_f32_e32 v133, v124
	v_nop
	s_delay_alu instid0(TRANS32_DEP_1) | instskip(NEXT) | instid1(VALU_DEP_1)
	v_fma_f32 v134, -v124, v133, 1.0
	v_fmac_f32_e32 v133, v134, v133
	s_delay_alu instid0(VALU_DEP_1) | instskip(NEXT) | instid1(VALU_DEP_1)
	v_mul_f32_e32 v134, v135, v133
	v_fma_f32 v136, -v124, v134, v135
	s_delay_alu instid0(VALU_DEP_1) | instskip(NEXT) | instid1(VALU_DEP_1)
	v_fmac_f32_e32 v134, v136, v133
	v_fma_f32 v124, -v124, v134, v135
	s_delay_alu instid0(VALU_DEP_1) | instskip(NEXT) | instid1(VALU_DEP_1)
	v_div_fmas_f32 v124, v124, v133, v134
	v_div_fixup_f32 v125, v124, v125, 1.0
	s_delay_alu instid0(VALU_DEP_1)
	v_mul_f32_e32 v124, v127, v125
	v_xor_b32_e32 v125, 0x80000000, v125
.LBB116_1183:
	s_and_not1_saveexec_b32 s1, s1
	s_cbranch_execz .LBB116_1185
; %bb.1184:
	s_delay_alu instid0(VALU_DEP_1) | instskip(SKIP_1) | instid1(VALU_DEP_2)
	v_div_scale_f32 v127, null, v124, v124, v125
	v_div_scale_f32 v135, vcc_lo, v125, v124, v125
	v_rcp_f32_e32 v133, v127
	v_nop
	s_delay_alu instid0(TRANS32_DEP_1) | instskip(NEXT) | instid1(VALU_DEP_1)
	v_fma_f32 v134, -v127, v133, 1.0
	v_fmac_f32_e32 v133, v134, v133
	s_delay_alu instid0(VALU_DEP_1) | instskip(NEXT) | instid1(VALU_DEP_1)
	v_mul_f32_e32 v134, v135, v133
	v_fma_f32 v136, -v127, v134, v135
	s_delay_alu instid0(VALU_DEP_1) | instskip(NEXT) | instid1(VALU_DEP_1)
	v_fmac_f32_e32 v134, v136, v133
	v_fma_f32 v127, -v127, v134, v135
	s_delay_alu instid0(VALU_DEP_1) | instskip(NEXT) | instid1(VALU_DEP_1)
	v_div_fmas_f32 v127, v127, v133, v134
	v_div_fixup_f32 v127, v127, v124, v125
	s_delay_alu instid0(VALU_DEP_1) | instskip(NEXT) | instid1(VALU_DEP_1)
	v_fmac_f32_e32 v124, v125, v127
	v_div_scale_f32 v125, null, v124, v124, 1.0
	s_delay_alu instid0(VALU_DEP_1) | instskip(SKIP_1) | instid1(TRANS32_DEP_1)
	v_rcp_f32_e32 v133, v125
	v_nop
	v_fma_f32 v134, -v125, v133, 1.0
	s_delay_alu instid0(VALU_DEP_1) | instskip(SKIP_1) | instid1(VALU_DEP_1)
	v_fmac_f32_e32 v133, v134, v133
	v_div_scale_f32 v134, vcc_lo, 1.0, v124, 1.0
	v_mul_f32_e32 v135, v134, v133
	s_delay_alu instid0(VALU_DEP_1) | instskip(NEXT) | instid1(VALU_DEP_1)
	v_fma_f32 v136, -v125, v135, v134
	v_fmac_f32_e32 v135, v136, v133
	s_delay_alu instid0(VALU_DEP_1) | instskip(NEXT) | instid1(VALU_DEP_1)
	v_fma_f32 v125, -v125, v135, v134
	v_div_fmas_f32 v125, v125, v133, v135
	s_delay_alu instid0(VALU_DEP_1) | instskip(NEXT) | instid1(VALU_DEP_1)
	v_div_fixup_f32 v124, v125, v124, 1.0
	v_mul_f32_e64 v125, v127, -v124
.LBB116_1185:
	s_or_b32 exec_lo, exec_lo, s1
.LBB116_1186:
	s_delay_alu instid0(SALU_CYCLE_1) | instskip(NEXT) | instid1(SALU_CYCLE_1)
	s_or_b32 exec_lo, exec_lo, s0
	s_mov_b32 s0, exec_lo
	v_cmpx_ne_u32_e64 v132, v126
	s_xor_b32 s0, exec_lo, s0
	s_cbranch_execz .LBB116_1192
; %bb.1187:
	s_mov_b32 s1, exec_lo
	v_cmpx_eq_u32_e32 56, v132
	s_cbranch_execz .LBB116_1191
; %bb.1188:
	v_cmp_ne_u32_e32 vcc_lo, 56, v126
	s_xor_b32 s12, s16, -1
	s_delay_alu instid0(SALU_CYCLE_1) | instskip(NEXT) | instid1(SALU_CYCLE_1)
	s_and_b32 s13, s12, vcc_lo
	s_and_saveexec_b32 s12, s13
	s_cbranch_execz .LBB116_1190
; %bb.1189:
	v_ashrrev_i32_e32 v127, 31, v126
	s_delay_alu instid0(VALU_DEP_1)
	v_lshl_add_u64 v[132:133], v[126:127], 2, v[4:5]
	s_clause 0x1
	global_load_b32 v127, v[132:133], off
	global_load_b32 v131, v[4:5], off offset:224
	s_wait_loadcnt 0x1
	global_store_b32 v[4:5], v127, off offset:224
	s_wait_loadcnt 0x0
	global_store_b32 v[132:133], v131, off
.LBB116_1190:
	s_wait_xcnt 0x0
	s_or_b32 exec_lo, exec_lo, s12
	v_dual_mov_b32 v132, v126 :: v_dual_mov_b32 v131, v126
.LBB116_1191:
	s_or_b32 exec_lo, exec_lo, s1
.LBB116_1192:
	s_and_not1_saveexec_b32 s0, s0
; %bb.1193:
	v_mov_b32_e32 v132, 56
	ds_store_2addr_b64 v128, v[98:99], v[122:123] offset0:57 offset1:58
; %bb.1194:
	s_or_b32 exec_lo, exec_lo, s0
	s_delay_alu instid0(SALU_CYCLE_1)
	s_mov_b32 s0, exec_lo
	s_wait_storecnt_dscnt 0x0
	s_barrier_signal -1
	s_barrier_wait -1
	v_cmpx_lt_i32_e32 56, v132
	s_cbranch_execz .LBB116_1196
; %bb.1195:
	ds_load_2addr_b64 v[134:137], v128 offset0:57 offset1:58
	v_pk_mul_f32 v[126:127], v[124:125], v[104:105] op_sel:[1,1] op_sel_hi:[0,1]
	s_delay_alu instid0(VALU_DEP_1) | instskip(SKIP_3) | instid1(VALU_DEP_3)
	v_pk_fma_f32 v[138:139], v[124:125], v[104:105], v[126:127] op_sel_hi:[1,0,1]
	v_pk_fma_f32 v[104:105], v[124:125], v[104:105], v[126:127] op_sel_hi:[1,0,1] neg_lo:[0,0,1] neg_hi:[0,0,1]
	s_wait_dscnt 0x0
	v_dual_mov_b32 v140, v137 :: v_dual_mov_b32 v141, v136
	v_pk_mul_f32 v[124:125], v[134:135], v[138:139] op_sel:[0,1]
	s_delay_alu instid0(VALU_DEP_2) | instskip(NEXT) | instid1(VALU_DEP_2)
	v_pk_mul_f32 v[126:127], v[140:141], v[138:139] op_sel:[0,1]
	v_pk_fma_f32 v[140:141], v[134:135], v[104:105], v[124:125] op_sel:[0,0,1] op_sel_hi:[1,0,0]
	v_pk_fma_f32 v[124:125], v[134:135], v[104:105], v[124:125] op_sel:[0,0,1] op_sel_hi:[1,1,0] neg_lo:[0,0,1] neg_hi:[0,0,1]
	s_delay_alu instid0(VALU_DEP_3) | instskip(SKIP_1) | instid1(VALU_DEP_4)
	v_pk_fma_f32 v[142:143], v[136:137], v[104:105], v[126:127] op_sel_hi:[1,0,1]
	v_pk_fma_f32 v[126:127], v[136:137], v[104:105], v[126:127] neg_lo:[0,0,1] neg_hi:[0,0,1]
	v_dual_mov_b32 v125, v141 :: v_dual_mov_b32 v105, v139
	s_delay_alu instid0(VALU_DEP_3) | instskip(NEXT) | instid1(VALU_DEP_2)
	v_mov_b32_e32 v127, v143
	v_pk_add_f32 v[98:99], v[98:99], v[124:125] neg_lo:[0,1] neg_hi:[0,1]
	s_delay_alu instid0(VALU_DEP_2)
	v_pk_add_f32 v[122:123], v[122:123], v[126:127] neg_lo:[0,1] neg_hi:[0,1]
.LBB116_1196:
	s_or_b32 exec_lo, exec_lo, s0
	v_lshl_add_u32 v124, v132, 3, v128
	s_barrier_signal -1
	s_barrier_wait -1
	ds_store_b64 v124, v[98:99]
	s_wait_dscnt 0x0
	s_barrier_signal -1
	s_barrier_wait -1
	ds_load_b64 v[124:125], v128 offset:456
	v_mov_b32_e32 v126, 57
	s_cmp_lt_i32 s18, 59
	s_cbranch_scc1 .LBB116_1199
; %bb.1197:
	v_add3_u32 v127, v129, 0, 0x1d0
	v_mov_b32_e32 v126, 57
	s_mov_b32 s0, 58
.LBB116_1198:                           ; =>This Inner Loop Header: Depth=1
	ds_load_b64 v[134:135], v127
	s_wait_dscnt 0x1
	v_cmp_gt_f32_e32 vcc_lo, 0, v124
	v_cndmask_b32_e64 v136, v124, -v124, vcc_lo
	v_cmp_gt_f32_e32 vcc_lo, 0, v125
	v_cndmask_b32_e64 v138, v125, -v125, vcc_lo
	s_wait_dscnt 0x0
	v_cmp_gt_f32_e32 vcc_lo, 0, v134
	v_cndmask_b32_e64 v137, v134, -v134, vcc_lo
	v_cmp_gt_f32_e32 vcc_lo, 0, v135
	v_cndmask_b32_e64 v139, v135, -v135, vcc_lo
	s_delay_alu instid0(VALU_DEP_1) | instskip(NEXT) | instid1(VALU_DEP_1)
	v_pk_add_f32 v[136:137], v[136:137], v[138:139]
	v_cmp_lt_f32_e32 vcc_lo, v136, v137
	v_dual_cndmask_b32 v124, v124, v134 :: v_dual_add_nc_u32 v127, 8, v127
	v_cndmask_b32_e32 v125, v125, v135, vcc_lo
	v_cndmask_b32_e64 v126, v126, s0, vcc_lo
	s_add_co_i32 s0, s0, 1
	s_delay_alu instid0(SALU_CYCLE_1)
	s_cmp_lg_u32 s18, s0
	s_cbranch_scc1 .LBB116_1198
.LBB116_1199:
	s_wait_dscnt 0x0
	v_cmp_eq_f32_e32 vcc_lo, 0, v124
	v_cmp_eq_f32_e64 s0, 0, v125
	s_and_b32 s0, vcc_lo, s0
	s_delay_alu instid0(SALU_CYCLE_1) | instskip(NEXT) | instid1(SALU_CYCLE_1)
	s_and_saveexec_b32 s1, s0
	s_xor_b32 s0, exec_lo, s1
; %bb.1200:
	v_cmp_ne_u32_e32 vcc_lo, 0, v130
	v_cndmask_b32_e32 v130, 58, v130, vcc_lo
; %bb.1201:
	s_and_not1_saveexec_b32 s0, s0
	s_cbranch_execz .LBB116_1207
; %bb.1202:
	v_cmp_ngt_f32_e64 s1, |v124|, |v125|
	s_and_saveexec_b32 s12, s1
	s_delay_alu instid0(SALU_CYCLE_1)
	s_xor_b32 s1, exec_lo, s12
	s_cbranch_execz .LBB116_1204
; %bb.1203:
	v_div_scale_f32 v127, null, v125, v125, v124
	v_div_scale_f32 v135, vcc_lo, v124, v125, v124
	s_delay_alu instid0(VALU_DEP_2) | instskip(SKIP_1) | instid1(TRANS32_DEP_1)
	v_rcp_f32_e32 v133, v127
	v_nop
	v_fma_f32 v134, -v127, v133, 1.0
	s_delay_alu instid0(VALU_DEP_1) | instskip(NEXT) | instid1(VALU_DEP_1)
	v_fmac_f32_e32 v133, v134, v133
	v_mul_f32_e32 v134, v135, v133
	s_delay_alu instid0(VALU_DEP_1) | instskip(NEXT) | instid1(VALU_DEP_1)
	v_fma_f32 v136, -v127, v134, v135
	v_fmac_f32_e32 v134, v136, v133
	s_delay_alu instid0(VALU_DEP_1) | instskip(NEXT) | instid1(VALU_DEP_1)
	v_fma_f32 v127, -v127, v134, v135
	v_div_fmas_f32 v127, v127, v133, v134
	s_delay_alu instid0(VALU_DEP_1) | instskip(NEXT) | instid1(VALU_DEP_1)
	v_div_fixup_f32 v127, v127, v125, v124
	v_fmac_f32_e32 v125, v124, v127
	s_delay_alu instid0(VALU_DEP_1) | instskip(SKIP_1) | instid1(VALU_DEP_2)
	v_div_scale_f32 v124, null, v125, v125, 1.0
	v_div_scale_f32 v135, vcc_lo, 1.0, v125, 1.0
	v_rcp_f32_e32 v133, v124
	v_nop
	s_delay_alu instid0(TRANS32_DEP_1) | instskip(NEXT) | instid1(VALU_DEP_1)
	v_fma_f32 v134, -v124, v133, 1.0
	v_fmac_f32_e32 v133, v134, v133
	s_delay_alu instid0(VALU_DEP_1) | instskip(NEXT) | instid1(VALU_DEP_1)
	v_mul_f32_e32 v134, v135, v133
	v_fma_f32 v136, -v124, v134, v135
	s_delay_alu instid0(VALU_DEP_1) | instskip(NEXT) | instid1(VALU_DEP_1)
	v_fmac_f32_e32 v134, v136, v133
	v_fma_f32 v124, -v124, v134, v135
	s_delay_alu instid0(VALU_DEP_1) | instskip(NEXT) | instid1(VALU_DEP_1)
	v_div_fmas_f32 v124, v124, v133, v134
	v_div_fixup_f32 v125, v124, v125, 1.0
	s_delay_alu instid0(VALU_DEP_1)
	v_mul_f32_e32 v124, v127, v125
	v_xor_b32_e32 v125, 0x80000000, v125
.LBB116_1204:
	s_and_not1_saveexec_b32 s1, s1
	s_cbranch_execz .LBB116_1206
; %bb.1205:
	s_delay_alu instid0(VALU_DEP_1) | instskip(SKIP_1) | instid1(VALU_DEP_2)
	v_div_scale_f32 v127, null, v124, v124, v125
	v_div_scale_f32 v135, vcc_lo, v125, v124, v125
	v_rcp_f32_e32 v133, v127
	v_nop
	s_delay_alu instid0(TRANS32_DEP_1) | instskip(NEXT) | instid1(VALU_DEP_1)
	v_fma_f32 v134, -v127, v133, 1.0
	v_fmac_f32_e32 v133, v134, v133
	s_delay_alu instid0(VALU_DEP_1) | instskip(NEXT) | instid1(VALU_DEP_1)
	v_mul_f32_e32 v134, v135, v133
	v_fma_f32 v136, -v127, v134, v135
	s_delay_alu instid0(VALU_DEP_1) | instskip(NEXT) | instid1(VALU_DEP_1)
	v_fmac_f32_e32 v134, v136, v133
	v_fma_f32 v127, -v127, v134, v135
	s_delay_alu instid0(VALU_DEP_1) | instskip(NEXT) | instid1(VALU_DEP_1)
	v_div_fmas_f32 v127, v127, v133, v134
	v_div_fixup_f32 v127, v127, v124, v125
	s_delay_alu instid0(VALU_DEP_1) | instskip(NEXT) | instid1(VALU_DEP_1)
	v_fmac_f32_e32 v124, v125, v127
	v_div_scale_f32 v125, null, v124, v124, 1.0
	s_delay_alu instid0(VALU_DEP_1) | instskip(SKIP_1) | instid1(TRANS32_DEP_1)
	v_rcp_f32_e32 v133, v125
	v_nop
	v_fma_f32 v134, -v125, v133, 1.0
	s_delay_alu instid0(VALU_DEP_1) | instskip(SKIP_1) | instid1(VALU_DEP_1)
	v_fmac_f32_e32 v133, v134, v133
	v_div_scale_f32 v134, vcc_lo, 1.0, v124, 1.0
	v_mul_f32_e32 v135, v134, v133
	s_delay_alu instid0(VALU_DEP_1) | instskip(NEXT) | instid1(VALU_DEP_1)
	v_fma_f32 v136, -v125, v135, v134
	v_fmac_f32_e32 v135, v136, v133
	s_delay_alu instid0(VALU_DEP_1) | instskip(NEXT) | instid1(VALU_DEP_1)
	v_fma_f32 v125, -v125, v135, v134
	v_div_fmas_f32 v125, v125, v133, v135
	s_delay_alu instid0(VALU_DEP_1) | instskip(NEXT) | instid1(VALU_DEP_1)
	v_div_fixup_f32 v124, v125, v124, 1.0
	v_mul_f32_e64 v125, v127, -v124
.LBB116_1206:
	s_or_b32 exec_lo, exec_lo, s1
.LBB116_1207:
	s_delay_alu instid0(SALU_CYCLE_1) | instskip(NEXT) | instid1(SALU_CYCLE_1)
	s_or_b32 exec_lo, exec_lo, s0
	s_mov_b32 s0, exec_lo
	v_cmpx_ne_u32_e64 v132, v126
	s_xor_b32 s0, exec_lo, s0
	s_cbranch_execz .LBB116_1213
; %bb.1208:
	s_mov_b32 s1, exec_lo
	v_cmpx_eq_u32_e32 57, v132
	s_cbranch_execz .LBB116_1212
; %bb.1209:
	v_cmp_ne_u32_e32 vcc_lo, 57, v126
	s_xor_b32 s12, s16, -1
	s_delay_alu instid0(SALU_CYCLE_1) | instskip(NEXT) | instid1(SALU_CYCLE_1)
	s_and_b32 s13, s12, vcc_lo
	s_and_saveexec_b32 s12, s13
	s_cbranch_execz .LBB116_1211
; %bb.1210:
	v_ashrrev_i32_e32 v127, 31, v126
	s_delay_alu instid0(VALU_DEP_1)
	v_lshl_add_u64 v[132:133], v[126:127], 2, v[4:5]
	s_clause 0x1
	global_load_b32 v127, v[132:133], off
	global_load_b32 v131, v[4:5], off offset:228
	s_wait_loadcnt 0x1
	global_store_b32 v[4:5], v127, off offset:228
	s_wait_loadcnt 0x0
	global_store_b32 v[132:133], v131, off
.LBB116_1211:
	s_wait_xcnt 0x0
	s_or_b32 exec_lo, exec_lo, s12
	v_dual_mov_b32 v132, v126 :: v_dual_mov_b32 v131, v126
.LBB116_1212:
	s_or_b32 exec_lo, exec_lo, s1
.LBB116_1213:
	s_and_not1_saveexec_b32 s0, s0
; %bb.1214:
	v_mov_b32_e32 v132, 57
	ds_store_b64 v128, v[122:123] offset:464
; %bb.1215:
	s_or_b32 exec_lo, exec_lo, s0
	s_delay_alu instid0(SALU_CYCLE_1)
	s_mov_b32 s0, exec_lo
	s_wait_storecnt_dscnt 0x0
	s_barrier_signal -1
	s_barrier_wait -1
	v_cmpx_lt_i32_e32 57, v132
	s_cbranch_execz .LBB116_1217
; %bb.1216:
	ds_load_b64 v[126:127], v128 offset:464
	v_pk_mul_f32 v[134:135], v[124:125], v[98:99] op_sel:[1,1] op_sel_hi:[0,1]
	s_delay_alu instid0(VALU_DEP_1) | instskip(SKIP_2) | instid1(VALU_DEP_2)
	v_pk_fma_f32 v[136:137], v[124:125], v[98:99], v[134:135] op_sel_hi:[1,0,1]
	v_pk_fma_f32 v[98:99], v[124:125], v[98:99], v[134:135] op_sel_hi:[1,0,1] neg_lo:[0,0,1] neg_hi:[0,0,1]
	s_wait_dscnt 0x0
	v_pk_mul_f32 v[124:125], v[126:127], v[136:137] op_sel:[1,1] op_sel_hi:[0,1]
	s_delay_alu instid0(VALU_DEP_1) | instskip(SKIP_1) | instid1(VALU_DEP_2)
	v_pk_fma_f32 v[134:135], v[126:127], v[98:99], v[124:125] op_sel_hi:[1,0,1]
	v_pk_fma_f32 v[124:125], v[126:127], v[98:99], v[124:125] neg_lo:[0,0,1] neg_hi:[0,0,1]
	v_dual_mov_b32 v99, v137 :: v_dual_mov_b32 v125, v135
	s_delay_alu instid0(VALU_DEP_1)
	v_pk_add_f32 v[122:123], v[122:123], v[124:125] neg_lo:[0,1] neg_hi:[0,1]
.LBB116_1217:
	s_or_b32 exec_lo, exec_lo, s0
	v_lshl_add_u32 v124, v132, 3, v128
	s_barrier_signal -1
	s_barrier_wait -1
	ds_store_b64 v124, v[122:123]
	s_wait_dscnt 0x0
	s_barrier_signal -1
	s_barrier_wait -1
	ds_load_b64 v[124:125], v128 offset:464
	v_mov_b32_e32 v126, 58
	s_cmp_lt_i32 s18, 60
	s_cbranch_scc1 .LBB116_1220
; %bb.1218:
	v_add3_u32 v127, v129, 0, 0x1d8
	v_mov_b32_e32 v126, 58
	s_mov_b32 s0, 59
.LBB116_1219:                           ; =>This Inner Loop Header: Depth=1
	ds_load_b64 v[128:129], v127
	s_wait_dscnt 0x1
	v_cmp_gt_f32_e32 vcc_lo, 0, v124
	v_cndmask_b32_e64 v134, v124, -v124, vcc_lo
	v_cmp_gt_f32_e32 vcc_lo, 0, v125
	v_cndmask_b32_e64 v136, v125, -v125, vcc_lo
	s_wait_dscnt 0x0
	v_cmp_gt_f32_e32 vcc_lo, 0, v128
	v_cndmask_b32_e64 v135, v128, -v128, vcc_lo
	v_cmp_gt_f32_e32 vcc_lo, 0, v129
	v_cndmask_b32_e64 v137, v129, -v129, vcc_lo
	s_delay_alu instid0(VALU_DEP_1) | instskip(NEXT) | instid1(VALU_DEP_1)
	v_pk_add_f32 v[134:135], v[134:135], v[136:137]
	v_cmp_lt_f32_e32 vcc_lo, v134, v135
	v_dual_add_nc_u32 v127, 8, v127 :: v_dual_cndmask_b32 v125, v125, v129, vcc_lo
	v_cndmask_b32_e32 v124, v124, v128, vcc_lo
	v_cndmask_b32_e64 v126, v126, s0, vcc_lo
	s_add_co_i32 s0, s0, 1
	s_delay_alu instid0(SALU_CYCLE_1)
	s_cmp_lg_u32 s18, s0
	s_cbranch_scc1 .LBB116_1219
.LBB116_1220:
	s_wait_dscnt 0x0
	v_cmp_eq_f32_e32 vcc_lo, 0, v124
	v_cmp_eq_f32_e64 s0, 0, v125
	s_and_b32 s0, vcc_lo, s0
	s_delay_alu instid0(SALU_CYCLE_1) | instskip(NEXT) | instid1(SALU_CYCLE_1)
	s_and_saveexec_b32 s1, s0
	s_xor_b32 s0, exec_lo, s1
; %bb.1221:
	v_cmp_ne_u32_e32 vcc_lo, 0, v130
	v_cndmask_b32_e32 v130, 59, v130, vcc_lo
; %bb.1222:
	s_and_not1_saveexec_b32 s0, s0
	s_cbranch_execz .LBB116_1228
; %bb.1223:
	v_cmp_ngt_f32_e64 s1, |v124|, |v125|
	s_and_saveexec_b32 s12, s1
	s_delay_alu instid0(SALU_CYCLE_1)
	s_xor_b32 s1, exec_lo, s12
	s_cbranch_execz .LBB116_1225
; %bb.1224:
	v_div_scale_f32 v127, null, v125, v125, v124
	v_div_scale_f32 v133, vcc_lo, v124, v125, v124
	s_delay_alu instid0(VALU_DEP_2) | instskip(SKIP_1) | instid1(TRANS32_DEP_1)
	v_rcp_f32_e32 v128, v127
	v_nop
	v_fma_f32 v129, -v127, v128, 1.0
	s_delay_alu instid0(VALU_DEP_1) | instskip(NEXT) | instid1(VALU_DEP_1)
	v_fmac_f32_e32 v128, v129, v128
	v_mul_f32_e32 v129, v133, v128
	s_delay_alu instid0(VALU_DEP_1) | instskip(NEXT) | instid1(VALU_DEP_1)
	v_fma_f32 v134, -v127, v129, v133
	v_fmac_f32_e32 v129, v134, v128
	s_delay_alu instid0(VALU_DEP_1) | instskip(NEXT) | instid1(VALU_DEP_1)
	v_fma_f32 v127, -v127, v129, v133
	v_div_fmas_f32 v127, v127, v128, v129
	s_delay_alu instid0(VALU_DEP_1) | instskip(NEXT) | instid1(VALU_DEP_1)
	v_div_fixup_f32 v127, v127, v125, v124
	v_fmac_f32_e32 v125, v124, v127
	s_delay_alu instid0(VALU_DEP_1) | instskip(SKIP_1) | instid1(VALU_DEP_2)
	v_div_scale_f32 v124, null, v125, v125, 1.0
	v_div_scale_f32 v133, vcc_lo, 1.0, v125, 1.0
	v_rcp_f32_e32 v128, v124
	v_nop
	s_delay_alu instid0(TRANS32_DEP_1) | instskip(NEXT) | instid1(VALU_DEP_1)
	v_fma_f32 v129, -v124, v128, 1.0
	v_fmac_f32_e32 v128, v129, v128
	s_delay_alu instid0(VALU_DEP_1) | instskip(NEXT) | instid1(VALU_DEP_1)
	v_mul_f32_e32 v129, v133, v128
	v_fma_f32 v134, -v124, v129, v133
	s_delay_alu instid0(VALU_DEP_1) | instskip(NEXT) | instid1(VALU_DEP_1)
	v_fmac_f32_e32 v129, v134, v128
	v_fma_f32 v124, -v124, v129, v133
	s_delay_alu instid0(VALU_DEP_1) | instskip(NEXT) | instid1(VALU_DEP_1)
	v_div_fmas_f32 v124, v124, v128, v129
	v_div_fixup_f32 v125, v124, v125, 1.0
	s_delay_alu instid0(VALU_DEP_1)
	v_mul_f32_e32 v124, v127, v125
	v_xor_b32_e32 v125, 0x80000000, v125
.LBB116_1225:
	s_and_not1_saveexec_b32 s1, s1
	s_cbranch_execz .LBB116_1227
; %bb.1226:
	s_delay_alu instid0(VALU_DEP_1) | instskip(SKIP_1) | instid1(VALU_DEP_2)
	v_div_scale_f32 v127, null, v124, v124, v125
	v_div_scale_f32 v133, vcc_lo, v125, v124, v125
	v_rcp_f32_e32 v128, v127
	v_nop
	s_delay_alu instid0(TRANS32_DEP_1) | instskip(NEXT) | instid1(VALU_DEP_1)
	v_fma_f32 v129, -v127, v128, 1.0
	v_fmac_f32_e32 v128, v129, v128
	s_delay_alu instid0(VALU_DEP_1) | instskip(NEXT) | instid1(VALU_DEP_1)
	v_mul_f32_e32 v129, v133, v128
	v_fma_f32 v134, -v127, v129, v133
	s_delay_alu instid0(VALU_DEP_1) | instskip(NEXT) | instid1(VALU_DEP_1)
	v_fmac_f32_e32 v129, v134, v128
	v_fma_f32 v127, -v127, v129, v133
	s_delay_alu instid0(VALU_DEP_1) | instskip(NEXT) | instid1(VALU_DEP_1)
	v_div_fmas_f32 v127, v127, v128, v129
	v_div_fixup_f32 v127, v127, v124, v125
	s_delay_alu instid0(VALU_DEP_1) | instskip(NEXT) | instid1(VALU_DEP_1)
	v_fmac_f32_e32 v124, v125, v127
	v_div_scale_f32 v125, null, v124, v124, 1.0
	s_delay_alu instid0(VALU_DEP_1) | instskip(SKIP_1) | instid1(TRANS32_DEP_1)
	v_rcp_f32_e32 v128, v125
	v_nop
	v_fma_f32 v129, -v125, v128, 1.0
	s_delay_alu instid0(VALU_DEP_1) | instskip(SKIP_1) | instid1(VALU_DEP_1)
	v_fmac_f32_e32 v128, v129, v128
	v_div_scale_f32 v129, vcc_lo, 1.0, v124, 1.0
	v_mul_f32_e32 v133, v129, v128
	s_delay_alu instid0(VALU_DEP_1) | instskip(NEXT) | instid1(VALU_DEP_1)
	v_fma_f32 v134, -v125, v133, v129
	v_fmac_f32_e32 v133, v134, v128
	s_delay_alu instid0(VALU_DEP_1) | instskip(NEXT) | instid1(VALU_DEP_1)
	v_fma_f32 v125, -v125, v133, v129
	v_div_fmas_f32 v125, v125, v128, v133
	s_delay_alu instid0(VALU_DEP_1) | instskip(NEXT) | instid1(VALU_DEP_1)
	v_div_fixup_f32 v124, v125, v124, 1.0
	v_mul_f32_e64 v125, v127, -v124
.LBB116_1227:
	s_or_b32 exec_lo, exec_lo, s1
.LBB116_1228:
	s_delay_alu instid0(SALU_CYCLE_1)
	s_or_b32 exec_lo, exec_lo, s0
	v_mov_b32_e32 v128, 58
	s_mov_b32 s0, exec_lo
	v_cmpx_ne_u32_e64 v132, v126
	s_cbranch_execz .LBB116_1234
; %bb.1229:
	s_mov_b32 s1, exec_lo
	v_cmpx_eq_u32_e32 58, v132
	s_cbranch_execz .LBB116_1233
; %bb.1230:
	v_cmp_ne_u32_e32 vcc_lo, 58, v126
	s_xor_b32 s12, s16, -1
	s_delay_alu instid0(SALU_CYCLE_1) | instskip(NEXT) | instid1(SALU_CYCLE_1)
	s_and_b32 s13, s12, vcc_lo
	s_and_saveexec_b32 s12, s13
	s_cbranch_execz .LBB116_1232
; %bb.1231:
	v_ashrrev_i32_e32 v127, 31, v126
	s_delay_alu instid0(VALU_DEP_1)
	v_lshl_add_u64 v[128:129], v[126:127], 2, v[4:5]
	s_clause 0x1
	global_load_b32 v127, v[128:129], off
	global_load_b32 v131, v[4:5], off offset:232
	s_wait_loadcnt 0x1
	global_store_b32 v[4:5], v127, off offset:232
	s_wait_loadcnt 0x0
	global_store_b32 v[128:129], v131, off
.LBB116_1232:
	s_wait_xcnt 0x0
	s_or_b32 exec_lo, exec_lo, s12
	v_dual_mov_b32 v132, v126 :: v_dual_mov_b32 v131, v126
.LBB116_1233:
	s_or_b32 exec_lo, exec_lo, s1
	s_delay_alu instid0(VALU_DEP_1)
	v_mov_b32_e32 v128, v132
.LBB116_1234:
	s_or_b32 exec_lo, exec_lo, s0
	s_delay_alu instid0(VALU_DEP_1)
	v_ashrrev_i32_e32 v129, 31, v128
	s_mov_b32 s0, exec_lo
	s_wait_storecnt 0x0
	s_barrier_signal -1
	s_barrier_wait -1
	s_barrier_signal -1
	s_barrier_wait -1
	v_cmpx_gt_i32_e32 59, v128
	s_cbranch_execz .LBB116_1236
; %bb.1235:
	v_mul_u64_e32 v[4:5], s[10:11], v[2:3]
	v_add3_u32 v126, v131, s17, 1
	s_delay_alu instid0(VALU_DEP_2) | instskip(NEXT) | instid1(VALU_DEP_1)
	v_lshl_add_u64 v[4:5], v[4:5], 2, s[6:7]
	v_lshl_add_u64 v[4:5], s[8:9], 2, v[4:5]
	s_delay_alu instid0(VALU_DEP_1)
	v_lshl_add_u64 v[4:5], v[128:129], 2, v[4:5]
	global_store_b32 v[4:5], v126, off
.LBB116_1236:
	s_wait_xcnt 0x0
	s_or_b32 exec_lo, exec_lo, s0
	s_delay_alu instid0(SALU_CYCLE_1)
	s_mov_b32 s1, exec_lo
	v_cmpx_eq_u32_e32 0, v128
	s_cbranch_execz .LBB116_1239
; %bb.1237:
	s_wait_kmcnt 0x0
	v_lshl_add_u64 v[2:3], v[2:3], 2, s[4:5]
	v_cmp_ne_u32_e64 s0, 0, v130
	global_load_b32 v4, v[2:3], off
	s_wait_loadcnt 0x0
	v_cmp_eq_u32_e32 vcc_lo, 0, v4
	s_and_b32 s0, vcc_lo, s0
	s_wait_xcnt 0x0
	s_and_b32 exec_lo, exec_lo, s0
	s_cbranch_execz .LBB116_1239
; %bb.1238:
	v_add_nc_u32_e32 v4, s17, v130
	global_store_b32 v[2:3], v4, off
.LBB116_1239:
	s_wait_xcnt 0x0
	s_or_b32 exec_lo, exec_lo, s1
	v_add3_u32 v4, s2, s2, v128
	v_pk_mul_f32 v[2:3], v[124:125], v[122:123] op_sel:[1,1] op_sel_hi:[0,1]
	v_cmp_lt_i32_e32 vcc_lo, 58, v128
	v_lshl_add_u64 v[128:129], v[128:129], 3, v[0:1]
	s_delay_alu instid0(VALU_DEP_4) | instskip(NEXT) | instid1(VALU_DEP_4)
	v_add_nc_u32_e32 v126, s2, v4
	v_pk_fma_f32 v[138:139], v[124:125], v[122:123], v[2:3] op_sel_hi:[1,0,1]
	v_pk_fma_f32 v[2:3], v[124:125], v[122:123], v[2:3] neg_lo:[0,0,1] neg_hi:[0,0,1]
	global_store_b64 v[128:129], v[116:117], off
	s_wait_xcnt 0x0
	v_lshl_add_u64 v[116:117], s[2:3], 3, v[128:129]
	v_dual_cndmask_b32 v3, v123, v139 :: v_dual_add_nc_u32 v130, s2, v126
	v_dual_cndmask_b32 v2, v122, v2 :: v_dual_ashrrev_i32 v5, 31, v4
	global_store_b64 v[116:117], v[106:107], off
	v_add_nc_u32_e32 v132, s2, v130
	v_ashrrev_i32_e32 v127, 31, v126
	v_lshl_add_u64 v[4:5], v[4:5], 3, v[0:1]
	s_delay_alu instid0(VALU_DEP_3)
	v_dual_add_nc_u32 v134, s2, v132 :: v_dual_ashrrev_i32 v131, 31, v130
	v_ashrrev_i32_e32 v133, 31, v132
	global_store_b64 v[4:5], v[84:85], off
	s_wait_xcnt 0x0
	v_lshl_add_u64 v[84:85], v[126:127], 3, v[0:1]
	v_dual_add_nc_u32 v136, s2, v134 :: v_dual_ashrrev_i32 v135, 31, v134
	global_store_b64 v[84:85], v[74:75], off
	v_add_nc_u32_e32 v124, s2, v136
	s_wait_xcnt 0x0
	v_lshl_add_u64 v[84:85], v[130:131], 3, v[0:1]
	v_ashrrev_i32_e32 v137, 31, v136
	s_delay_alu instid0(VALU_DEP_3)
	v_add_nc_u32_e32 v122, s2, v124
	global_store_b64 v[84:85], v[40:41], off
	s_wait_xcnt 0x0
	v_lshl_add_u64 v[84:85], v[132:133], 3, v[0:1]
	v_dual_ashrrev_i32 v125, 31, v124 :: v_dual_add_nc_u32 v138, s2, v122
	global_store_b64 v[84:85], v[30:31], off
	s_wait_xcnt 0x0
	v_lshl_add_u64 v[84:85], v[134:135], 3, v[0:1]
	v_add_nc_u32_e32 v128, s2, v138
	global_store_b64 v[84:85], v[16:17], off
	s_wait_xcnt 0x0
	v_lshl_add_u64 v[84:85], v[136:137], 3, v[0:1]
	v_dual_add_nc_u32 v106, s2, v128 :: v_dual_ashrrev_i32 v129, 31, v128
	global_store_b64 v[84:85], v[10:11], off
	v_add_nc_u32_e32 v116, s2, v106
	s_wait_xcnt 0x0
	v_lshl_add_u64 v[10:11], v[124:125], 3, v[0:1]
	s_delay_alu instid0(VALU_DEP_2) | instskip(NEXT) | instid1(VALU_DEP_1)
	v_add_nc_u32_e32 v4, s2, v116
	v_dual_add_nc_u32 v126, s2, v4 :: v_dual_ashrrev_i32 v139, 31, v138
	v_ashrrev_i32_e32 v117, 31, v116
	s_delay_alu instid0(VALU_DEP_2) | instskip(NEXT) | instid1(VALU_DEP_2)
	v_dual_ashrrev_i32 v5, 31, v4 :: v_dual_add_nc_u32 v74, s2, v126
	v_lshl_add_u64 v[116:117], v[116:117], 3, v[0:1]
	s_delay_alu instid0(VALU_DEP_2) | instskip(NEXT) | instid1(VALU_DEP_3)
	v_lshl_add_u64 v[4:5], v[4:5], 3, v[0:1]
	v_dual_add_nc_u32 v130, s2, v74 :: v_dual_ashrrev_i32 v75, 31, v74
	s_delay_alu instid0(VALU_DEP_1) | instskip(NEXT) | instid1(VALU_DEP_1)
	v_add_nc_u32_e32 v40, s2, v130
	v_dual_add_nc_u32 v132, s2, v40 :: v_dual_ashrrev_i32 v131, 31, v130
	s_delay_alu instid0(VALU_DEP_1) | instskip(SKIP_1) | instid1(VALU_DEP_2)
	v_dual_ashrrev_i32 v133, 31, v132 :: v_dual_add_nc_u32 v30, s2, v132
	v_dual_ashrrev_i32 v127, 31, v126 :: v_dual_ashrrev_i32 v41, 31, v40
	v_add_nc_u32_e32 v134, s2, v30
	s_delay_alu instid0(VALU_DEP_1) | instskip(NEXT) | instid1(VALU_DEP_1)
	v_add_nc_u32_e32 v16, s2, v134
	v_dual_ashrrev_i32 v123, 31, v122 :: v_dual_add_nc_u32 v136, s2, v16
	s_delay_alu instid0(VALU_DEP_1)
	v_lshl_add_u64 v[84:85], v[122:123], 3, v[0:1]
	s_clause 0x1
	global_store_b64 v[10:11], v[24:25], off
	global_store_b64 v[84:85], v[22:23], off
	v_add_nc_u32_e32 v122, s2, v136
	s_wait_xcnt 0x1
	v_lshl_add_u64 v[24:25], v[138:139], 3, v[0:1]
	s_wait_xcnt 0x0
	v_lshl_add_u64 v[84:85], v[128:129], 3, v[0:1]
	v_dual_ashrrev_i32 v135, 31, v134 :: v_dual_ashrrev_i32 v17, 31, v16
	v_dual_add_nc_u32 v10, s2, v122 :: v_dual_ashrrev_i32 v137, 31, v136
	s_delay_alu instid0(VALU_DEP_2) | instskip(NEXT) | instid1(VALU_DEP_2)
	v_lshl_add_u64 v[16:17], v[16:17], 3, v[0:1]
	v_add_nc_u32_e32 v22, s2, v10
	s_delay_alu instid0(VALU_DEP_1) | instskip(SKIP_1) | instid1(VALU_DEP_1)
	v_add_nc_u32_e32 v124, s2, v22
	v_ashrrev_i32_e32 v107, 31, v106
	v_lshl_add_u64 v[106:107], v[106:107], 3, v[0:1]
	s_clause 0x3
	global_store_b64 v[24:25], v[8:9], off
	global_store_b64 v[84:85], v[6:7], off
	;; [unrolled: 1-line block ×4, first 2 shown]
	s_wait_xcnt 0x2
	v_add_nc_u32_e32 v6, s2, v124
	s_wait_xcnt 0x0
	v_lshl_add_u64 v[32:33], v[74:75], 3, v[0:1]
	v_lshl_add_u64 v[24:25], v[126:127], 3, v[0:1]
	v_lshl_add_u64 v[34:35], v[130:131], 3, v[0:1]
	s_clause 0x3
	global_store_b64 v[4:5], v[14:15], off
	global_store_b64 v[24:25], v[12:13], off
	;; [unrolled: 1-line block ×4, first 2 shown]
	v_add_nc_u32_e32 v8, s2, v6
	s_wait_xcnt 0x3
	v_lshl_add_u64 v[14:15], v[40:41], 3, v[0:1]
	s_wait_xcnt 0x2
	v_lshl_add_u64 v[24:25], v[132:133], 3, v[0:1]
	;; [unrolled: 2-line block ×3, first 2 shown]
	v_dual_ashrrev_i32 v7, 31, v6 :: v_dual_add_nc_u32 v74, s2, v8
	v_dual_ashrrev_i32 v123, 31, v122 :: v_dual_ashrrev_i32 v125, 31, v124
	s_delay_alu instid0(VALU_DEP_2) | instskip(NEXT) | instid1(VALU_DEP_3)
	v_lshl_add_u64 v[6:7], v[6:7], 3, v[0:1]
	v_dual_add_nc_u32 v4, s2, v74 :: v_dual_ashrrev_i32 v75, 31, v74
	s_delay_alu instid0(VALU_DEP_1) | instskip(SKIP_1) | instid1(VALU_DEP_2)
	v_dual_add_nc_u32 v12, s2, v4 :: v_dual_ashrrev_i32 v31, 31, v30
	v_dual_ashrrev_i32 v11, 31, v10 :: v_dual_ashrrev_i32 v9, 31, v8
	v_dual_ashrrev_i32 v23, 31, v22 :: v_dual_ashrrev_i32 v13, 31, v12
	s_wait_xcnt 0x0
	v_add_nc_u32_e32 v34, s2, v12
	v_lshl_add_u64 v[30:31], v[30:31], 3, v[0:1]
	s_clause 0x3
	global_store_b64 v[14:15], v[20:21], off
	global_store_b64 v[24:25], v[18:19], off
	;; [unrolled: 1-line block ×4, first 2 shown]
	s_wait_xcnt 0x3
	v_add_nc_u32_e32 v14, s2, v34
	v_lshl_add_u64 v[20:21], v[136:137], 3, v[0:1]
	s_wait_xcnt 0x2
	v_lshl_add_u64 v[24:25], v[122:123], 3, v[0:1]
	v_lshl_add_u64 v[10:11], v[10:11], 3, v[0:1]
	s_clause 0x3
	global_store_b64 v[16:17], v[28:29], off
	global_store_b64 v[20:21], v[26:27], off
	;; [unrolled: 1-line block ×4, first 2 shown]
	v_add_nc_u32_e32 v18, s2, v14
	s_wait_xcnt 0x2
	v_lshl_add_u64 v[20:21], v[22:23], 3, v[0:1]
	v_ashrrev_i32_e32 v5, 31, v4
	v_lshl_add_u64 v[22:23], v[124:125], 3, v[0:1]
	v_lshl_add_u64 v[8:9], v[8:9], 3, v[0:1]
	v_add_nc_u32_e32 v30, s2, v18
	s_clause 0x3
	global_store_b64 v[20:21], v[38:39], off
	global_store_b64 v[22:23], v[36:37], off
	;; [unrolled: 1-line block ×4, first 2 shown]
	v_ashrrev_i32_e32 v35, 31, v34
	s_wait_xcnt 0x3
	v_lshl_add_u64 v[20:21], v[74:75], 3, v[0:1]
	v_add_nc_u32_e32 v10, s2, v30
	v_lshl_add_u64 v[4:5], v[4:5], 3, v[0:1]
	v_lshl_add_u64 v[12:13], v[12:13], 3, v[0:1]
	s_wait_xcnt 0x2
	v_lshl_add_u64 v[22:23], v[34:35], 3, v[0:1]
	s_clause 0x3
	global_store_b64 v[20:21], v[48:49], off
	global_store_b64 v[4:5], v[46:47], off
	;; [unrolled: 1-line block ×4, first 2 shown]
	v_dual_add_nc_u32 v16, s2, v10 :: v_dual_ashrrev_i32 v11, 31, v10
	s_delay_alu instid0(VALU_DEP_1) | instskip(NEXT) | instid1(VALU_DEP_2)
	v_dual_add_nc_u32 v24, s2, v16 :: v_dual_ashrrev_i32 v15, 31, v14
	v_lshl_add_u64 v[10:11], v[10:11], 3, v[0:1]
	s_wait_xcnt 0x5
	s_delay_alu instid0(VALU_DEP_2) | instskip(SKIP_3) | instid1(VALU_DEP_3)
	v_dual_add_nc_u32 v6, s2, v24 :: v_dual_ashrrev_i32 v31, 31, v30
	v_ashrrev_i32_e32 v25, 31, v24
	v_lshl_add_u64 v[14:15], v[14:15], 3, v[0:1]
	s_wait_xcnt 0x4
	v_add_nc_u32_e32 v8, s2, v6
	v_ashrrev_i32_e32 v19, 31, v18
	s_wait_xcnt 0x3
	v_lshl_add_u64 v[20:21], v[30:31], 3, v[0:1]
	s_delay_alu instid0(VALU_DEP_3)
	v_add_nc_u32_e32 v26, s2, v8
	v_ashrrev_i32_e32 v17, 31, v16
	v_ashrrev_i32_e32 v9, 31, v8
	v_lshl_add_u64 v[18:19], v[18:19], 3, v[0:1]
	s_clause 0x3
	global_store_b64 v[14:15], v[56:57], off
	global_store_b64 v[18:19], v[54:55], off
	;; [unrolled: 1-line block ×4, first 2 shown]
	s_wait_xcnt 0x6
	v_add_nc_u32_e32 v4, s2, v26
	v_lshl_add_u64 v[16:17], v[16:17], 3, v[0:1]
	s_wait_xcnt 0x2
	v_lshl_add_u64 v[18:19], v[24:25], 3, v[0:1]
	v_lshl_add_u64 v[8:9], v[8:9], 3, v[0:1]
	v_dual_add_nc_u32 v12, s2, v4 :: v_dual_ashrrev_i32 v5, 31, v4
	s_delay_alu instid0(VALU_DEP_1) | instskip(SKIP_1) | instid1(VALU_DEP_2)
	v_dual_ashrrev_i32 v7, 31, v6 :: v_dual_ashrrev_i32 v13, 31, v12
	v_add_nc_u32_e32 v22, s2, v12
	v_lshl_add_u64 v[6:7], v[6:7], 3, v[0:1]
	s_clause 0x3
	global_store_b64 v[16:17], v[64:65], off
	global_store_b64 v[18:19], v[62:63], off
	;; [unrolled: 1-line block ×4, first 2 shown]
	s_wait_xcnt 0x4
	v_dual_add_nc_u32 v10, s2, v22 :: v_dual_ashrrev_i32 v23, 31, v22
	v_lshl_add_u64 v[4:5], v[4:5], 3, v[0:1]
	v_lshl_add_u64 v[12:13], v[12:13], 3, v[0:1]
	s_delay_alu instid0(VALU_DEP_3) | instskip(SKIP_2) | instid1(VALU_DEP_2)
	v_add_nc_u32_e32 v14, s2, v10
	s_wait_xcnt 0x2
	v_lshl_add_u64 v[18:19], v[22:23], 3, v[0:1]
	v_add_nc_u32_e32 v20, s2, v14
	s_wait_xcnt 0x1
	s_delay_alu instid0(VALU_DEP_1) | instskip(SKIP_1) | instid1(VALU_DEP_1)
	v_add_nc_u32_e32 v6, s2, v20
	s_wait_xcnt 0x0
	v_dual_add_nc_u32 v8, s2, v6 :: v_dual_ashrrev_i32 v7, 31, v6
	s_delay_alu instid0(VALU_DEP_1) | instskip(SKIP_1) | instid1(VALU_DEP_3)
	v_dual_add_nc_u32 v22, s2, v8 :: v_dual_ashrrev_i32 v27, 31, v26
	v_ashrrev_i32_e32 v21, 31, v20
	v_lshl_add_u64 v[6:7], v[6:7], 3, v[0:1]
	v_ashrrev_i32_e32 v9, 31, v8
	s_delay_alu instid0(VALU_DEP_4)
	v_lshl_add_u64 v[16:17], v[26:27], 3, v[0:1]
	s_clause 0x3
	global_store_b64 v[16:17], v[72:73], off
	global_store_b64 v[4:5], v[70:71], off
	;; [unrolled: 1-line block ×4, first 2 shown]
	s_wait_xcnt 0x2
	v_add_nc_u32_e32 v4, s2, v22
	v_ashrrev_i32_e32 v11, 31, v10
	v_lshl_add_u64 v[16:17], v[20:21], 3, v[0:1]
	v_ashrrev_i32_e32 v23, 31, v22
	v_lshl_add_u64 v[8:9], v[8:9], 3, v[0:1]
	s_wait_xcnt 0x1
	v_dual_add_nc_u32 v12, s2, v4 :: v_dual_ashrrev_i32 v15, 31, v14
	v_lshl_add_u64 v[10:11], v[10:11], 3, v[0:1]
	v_ashrrev_i32_e32 v5, 31, v4
	s_wait_xcnt 0x0
	s_delay_alu instid0(VALU_DEP_3)
	v_add_nc_u32_e32 v18, s2, v12
	v_lshl_add_u64 v[14:15], v[14:15], 3, v[0:1]
	s_clause 0x3
	global_store_b64 v[10:11], v[82:83], off
	global_store_b64 v[14:15], v[80:81], off
	;; [unrolled: 1-line block ×4, first 2 shown]
	s_wait_xcnt 0x0
	v_dual_add_nc_u32 v6, s2, v18 :: v_dual_ashrrev_i32 v13, 31, v12
	v_lshl_add_u64 v[14:15], v[22:23], 3, v[0:1]
	v_lshl_add_u64 v[4:5], v[4:5], 3, v[0:1]
	v_ashrrev_i32_e32 v19, 31, v18
	s_delay_alu instid0(VALU_DEP_4)
	v_add_nc_u32_e32 v10, s2, v6
	v_lshl_add_u64 v[12:13], v[12:13], 3, v[0:1]
	s_clause 0x3
	global_store_b64 v[8:9], v[94:95], off
	global_store_b64 v[14:15], v[96:97], off
	;; [unrolled: 1-line block ×4, first 2 shown]
	s_wait_xcnt 0x3
	v_lshl_add_u64 v[8:9], v[18:19], 3, v[0:1]
	v_dual_add_nc_u32 v16, s2, v10 :: v_dual_ashrrev_i32 v11, 31, v10
	s_delay_alu instid0(VALU_DEP_1) | instskip(SKIP_2) | instid1(VALU_DEP_2)
	v_dual_ashrrev_i32 v7, 31, v6 :: v_dual_ashrrev_i32 v17, 31, v16
	s_wait_xcnt 0x1
	v_add_nc_u32_e32 v4, s2, v16
	v_lshl_add_u64 v[6:7], v[6:7], 3, v[0:1]
	v_lshl_add_u64 v[10:11], v[10:11], 3, v[0:1]
	s_wait_xcnt 0x0
	v_lshl_add_u64 v[12:13], v[16:17], 3, v[0:1]
	v_ashrrev_i32_e32 v5, 31, v4
	s_delay_alu instid0(VALU_DEP_1)
	v_lshl_add_u64 v[0:1], v[4:5], 3, v[0:1]
	s_clause 0x4
	global_store_b64 v[8:9], v[92:93], off
	global_store_b64 v[6:7], v[90:91], off
	;; [unrolled: 1-line block ×5, first 2 shown]
.LBB116_1240:
	s_sendmsg sendmsg(MSG_DEALLOC_VGPRS)
	s_endpgm
	.section	.rodata,"a",@progbits
	.p2align	6, 0x0
	.amdhsa_kernel _ZN9rocsolver6v33100L18getf2_small_kernelILi59E19rocblas_complex_numIfEiiPS3_EEvT1_T3_lS5_lPS5_llPT2_S5_S5_S7_l
		.amdhsa_group_segment_fixed_size 0
		.amdhsa_private_segment_fixed_size 0
		.amdhsa_kernarg_size 352
		.amdhsa_user_sgpr_count 2
		.amdhsa_user_sgpr_dispatch_ptr 0
		.amdhsa_user_sgpr_queue_ptr 0
		.amdhsa_user_sgpr_kernarg_segment_ptr 1
		.amdhsa_user_sgpr_dispatch_id 0
		.amdhsa_user_sgpr_kernarg_preload_length 0
		.amdhsa_user_sgpr_kernarg_preload_offset 0
		.amdhsa_user_sgpr_private_segment_size 0
		.amdhsa_wavefront_size32 1
		.amdhsa_uses_dynamic_stack 0
		.amdhsa_enable_private_segment 0
		.amdhsa_system_sgpr_workgroup_id_x 1
		.amdhsa_system_sgpr_workgroup_id_y 1
		.amdhsa_system_sgpr_workgroup_id_z 0
		.amdhsa_system_sgpr_workgroup_info 0
		.amdhsa_system_vgpr_workitem_id 1
		.amdhsa_next_free_vgpr 144
		.amdhsa_next_free_sgpr 19
		.amdhsa_named_barrier_count 0
		.amdhsa_reserve_vcc 1
		.amdhsa_float_round_mode_32 0
		.amdhsa_float_round_mode_16_64 0
		.amdhsa_float_denorm_mode_32 3
		.amdhsa_float_denorm_mode_16_64 3
		.amdhsa_fp16_overflow 0
		.amdhsa_memory_ordered 1
		.amdhsa_forward_progress 1
		.amdhsa_inst_pref_size 255
		.amdhsa_round_robin_scheduling 0
		.amdhsa_exception_fp_ieee_invalid_op 0
		.amdhsa_exception_fp_denorm_src 0
		.amdhsa_exception_fp_ieee_div_zero 0
		.amdhsa_exception_fp_ieee_overflow 0
		.amdhsa_exception_fp_ieee_underflow 0
		.amdhsa_exception_fp_ieee_inexact 0
		.amdhsa_exception_int_div_zero 0
	.end_amdhsa_kernel
	.section	.text._ZN9rocsolver6v33100L18getf2_small_kernelILi59E19rocblas_complex_numIfEiiPS3_EEvT1_T3_lS5_lPS5_llPT2_S5_S5_S7_l,"axG",@progbits,_ZN9rocsolver6v33100L18getf2_small_kernelILi59E19rocblas_complex_numIfEiiPS3_EEvT1_T3_lS5_lPS5_llPT2_S5_S5_S7_l,comdat
.Lfunc_end116:
	.size	_ZN9rocsolver6v33100L18getf2_small_kernelILi59E19rocblas_complex_numIfEiiPS3_EEvT1_T3_lS5_lPS5_llPT2_S5_S5_S7_l, .Lfunc_end116-_ZN9rocsolver6v33100L18getf2_small_kernelILi59E19rocblas_complex_numIfEiiPS3_EEvT1_T3_lS5_lPS5_llPT2_S5_S5_S7_l
                                        ; -- End function
	.set _ZN9rocsolver6v33100L18getf2_small_kernelILi59E19rocblas_complex_numIfEiiPS3_EEvT1_T3_lS5_lPS5_llPT2_S5_S5_S7_l.num_vgpr, 144
	.set _ZN9rocsolver6v33100L18getf2_small_kernelILi59E19rocblas_complex_numIfEiiPS3_EEvT1_T3_lS5_lPS5_llPT2_S5_S5_S7_l.num_agpr, 0
	.set _ZN9rocsolver6v33100L18getf2_small_kernelILi59E19rocblas_complex_numIfEiiPS3_EEvT1_T3_lS5_lPS5_llPT2_S5_S5_S7_l.numbered_sgpr, 19
	.set _ZN9rocsolver6v33100L18getf2_small_kernelILi59E19rocblas_complex_numIfEiiPS3_EEvT1_T3_lS5_lPS5_llPT2_S5_S5_S7_l.num_named_barrier, 0
	.set _ZN9rocsolver6v33100L18getf2_small_kernelILi59E19rocblas_complex_numIfEiiPS3_EEvT1_T3_lS5_lPS5_llPT2_S5_S5_S7_l.private_seg_size, 0
	.set _ZN9rocsolver6v33100L18getf2_small_kernelILi59E19rocblas_complex_numIfEiiPS3_EEvT1_T3_lS5_lPS5_llPT2_S5_S5_S7_l.uses_vcc, 1
	.set _ZN9rocsolver6v33100L18getf2_small_kernelILi59E19rocblas_complex_numIfEiiPS3_EEvT1_T3_lS5_lPS5_llPT2_S5_S5_S7_l.uses_flat_scratch, 0
	.set _ZN9rocsolver6v33100L18getf2_small_kernelILi59E19rocblas_complex_numIfEiiPS3_EEvT1_T3_lS5_lPS5_llPT2_S5_S5_S7_l.has_dyn_sized_stack, 0
	.set _ZN9rocsolver6v33100L18getf2_small_kernelILi59E19rocblas_complex_numIfEiiPS3_EEvT1_T3_lS5_lPS5_llPT2_S5_S5_S7_l.has_recursion, 0
	.set _ZN9rocsolver6v33100L18getf2_small_kernelILi59E19rocblas_complex_numIfEiiPS3_EEvT1_T3_lS5_lPS5_llPT2_S5_S5_S7_l.has_indirect_call, 0
	.section	.AMDGPU.csdata,"",@progbits
; Kernel info:
; codeLenInByte = 157992
; TotalNumSgprs: 21
; NumVgprs: 144
; ScratchSize: 0
; MemoryBound: 0
; FloatMode: 240
; IeeeMode: 1
; LDSByteSize: 0 bytes/workgroup (compile time only)
; SGPRBlocks: 0
; VGPRBlocks: 8
; NumSGPRsForWavesPerEU: 21
; NumVGPRsForWavesPerEU: 144
; NamedBarCnt: 0
; Occupancy: 7
; WaveLimiterHint : 0
; COMPUTE_PGM_RSRC2:SCRATCH_EN: 0
; COMPUTE_PGM_RSRC2:USER_SGPR: 2
; COMPUTE_PGM_RSRC2:TRAP_HANDLER: 0
; COMPUTE_PGM_RSRC2:TGID_X_EN: 1
; COMPUTE_PGM_RSRC2:TGID_Y_EN: 1
; COMPUTE_PGM_RSRC2:TGID_Z_EN: 0
; COMPUTE_PGM_RSRC2:TIDIG_COMP_CNT: 1
	.section	.text._ZN9rocsolver6v33100L23getf2_npvt_small_kernelILi59E19rocblas_complex_numIfEiiPS3_EEvT1_T3_lS5_lPT2_S5_S5_,"axG",@progbits,_ZN9rocsolver6v33100L23getf2_npvt_small_kernelILi59E19rocblas_complex_numIfEiiPS3_EEvT1_T3_lS5_lPT2_S5_S5_,comdat
	.globl	_ZN9rocsolver6v33100L23getf2_npvt_small_kernelILi59E19rocblas_complex_numIfEiiPS3_EEvT1_T3_lS5_lPT2_S5_S5_ ; -- Begin function _ZN9rocsolver6v33100L23getf2_npvt_small_kernelILi59E19rocblas_complex_numIfEiiPS3_EEvT1_T3_lS5_lPT2_S5_S5_
	.p2align	8
	.type	_ZN9rocsolver6v33100L23getf2_npvt_small_kernelILi59E19rocblas_complex_numIfEiiPS3_EEvT1_T3_lS5_lPT2_S5_S5_,@function
_ZN9rocsolver6v33100L23getf2_npvt_small_kernelILi59E19rocblas_complex_numIfEiiPS3_EEvT1_T3_lS5_lPT2_S5_S5_: ; @_ZN9rocsolver6v33100L23getf2_npvt_small_kernelILi59E19rocblas_complex_numIfEiiPS3_EEvT1_T3_lS5_lPT2_S5_S5_
; %bb.0:
	s_clause 0x1
	s_load_u16 s14, s[0:1], 0x46
	s_load_b64 s[2:3], s[0:1], 0x30
	s_bfe_u32 s4, ttmp6, 0x40010
	s_bfe_u32 s5, ttmp6, 0x40004
	s_add_co_i32 s4, s4, 1
	s_getreg_b32 s6, hwreg(HW_REG_IB_STS2, 6, 4)
	s_mul_i32 s4, ttmp7, s4
	v_bfe_u32 v48, v0, 10, 10
	s_add_co_i32 s5, s5, s4
	s_cmp_eq_u32 s6, 0
	s_cselect_b32 s4, ttmp7, s5
	s_wait_kmcnt 0x0
	v_mad_u32 v58, s4, s14, v48
	s_delay_alu instid0(VALU_DEP_1)
	v_cmp_gt_i32_e32 vcc_lo, s2, v58
	s_and_saveexec_b32 s2, vcc_lo
	s_cbranch_execnz .LBB117_1
; %bb.535:
	s_add_pc_i64 .LBB117_534-.Lpost_addpc9
.Lpost_addpc9:
.LBB117_1:
	s_clause 0x1
	s_load_b32 s12, s[0:1], 0x18
	s_load_b128 s[8:11], s[0:1], 0x8
	v_and_b32_e32 v200, 0x3ff, v0
	s_load_b128 s[4:7], s[0:1], 0x20
	s_mulk_i32 s14, 0x1d8
	v_mad_u32_u24 v202, 0x1d8, v48, 0
	v_ashrrev_i32_e32 v59, 31, v58
	s_wait_xcnt 0x0
	v_cmp_ne_u32_e64 s1, 0, v200
	v_cmp_eq_u32_e64 s0, 0, v200
	v_mov_b32_e32 v35, 0
	s_wait_kmcnt 0x0
	v_add3_u32 v28, s12, s12, v200
	s_ashr_i32 s13, s12, 31
	v_mul_u64_e32 v[16:17], s[4:5], v[58:59]
	s_delay_alu instid0(VALU_DEP_2) | instskip(NEXT) | instid1(VALU_DEP_1)
	v_add_nc_u32_e32 v20, s12, v28
	v_add_nc_u32_e32 v22, s12, v20
	s_delay_alu instid0(VALU_DEP_1) | instskip(NEXT) | instid1(VALU_DEP_1)
	v_add_nc_u32_e32 v24, s12, v22
	v_add_nc_u32_e32 v26, s12, v24
	s_delay_alu instid0(VALU_DEP_1) | instskip(SKIP_1) | instid1(VALU_DEP_2)
	v_dual_add_nc_u32 v14, s12, v26 :: v_dual_ashrrev_i32 v29, 31, v28
	v_ashrrev_i32_e32 v23, 31, v22
	v_dual_add_nc_u32 v18, s12, v14 :: v_dual_ashrrev_i32 v25, 31, v24
	v_ashrrev_i32_e32 v27, 31, v26
	s_delay_alu instid0(VALU_DEP_2) | instskip(SKIP_1) | instid1(VALU_DEP_2)
	v_add_nc_u32_e32 v12, s12, v18
	v_lshl_add_u64 v[16:17], v[16:17], 3, s[8:9]
	v_add_nc_u32_e32 v8, s12, v12
	s_delay_alu instid0(VALU_DEP_2) | instskip(NEXT) | instid1(VALU_DEP_2)
	v_lshl_add_u64 v[68:69], s[10:11], 3, v[16:17]
	v_dual_add_nc_u32 v0, s12, v8 :: v_dual_ashrrev_i32 v19, 31, v18
	v_ashrrev_i32_e32 v13, 31, v12
	s_delay_alu instid0(VALU_DEP_3) | instskip(SKIP_1) | instid1(VALU_DEP_4)
	v_lshl_add_u64 v[222:223], v[28:29], 3, v[68:69]
	v_lshl_add_u64 v[244:245], v[22:23], 3, v[68:69]
	v_dual_add_nc_u32 v4, s12, v0 :: v_dual_ashrrev_i32 v1, 31, v0
	s_delay_alu instid0(VALU_DEP_4) | instskip(SKIP_2) | instid1(VALU_DEP_4)
	v_lshl_add_u64 v[16:17], v[12:13], 3, v[68:69]
	v_lshl_add_u64 v[240:241], v[18:19], 3, v[68:69]
	;; [unrolled: 1-line block ×3, first 2 shown]
	v_add_nc_u32_e32 v2, s12, v4
	v_lshl_add_u64 v[250:251], v[0:1], 3, v[68:69]
	v_lshl_add_u64 v[220:221], v[26:27], 3, v[68:69]
	s_delay_alu instid0(VALU_DEP_3) | instskip(NEXT) | instid1(VALU_DEP_1)
	v_dual_ashrrev_i32 v9, 31, v8 :: v_dual_add_nc_u32 v6, s12, v2
	v_lshl_add_u64 v[248:249], v[8:9], 3, v[68:69]
	s_delay_alu instid0(VALU_DEP_2) | instskip(SKIP_2) | instid1(VALU_DEP_3)
	v_dual_add_nc_u32 v10, s12, v6 :: v_dual_ashrrev_i32 v5, 31, v4
	v_ashrrev_i32_e32 v3, 31, v2
	v_ashrrev_i32_e32 v7, 31, v6
	v_dual_add_nc_u32 v30, s12, v10 :: v_dual_ashrrev_i32 v11, 31, v10
	s_delay_alu instid0(VALU_DEP_4) | instskip(NEXT) | instid1(VALU_DEP_4)
	v_lshl_add_u64 v[252:253], v[4:5], 3, v[68:69]
	v_lshl_add_u64 v[18:19], v[2:3], 3, v[68:69]
	s_delay_alu instid0(VALU_DEP_4) | instskip(NEXT) | instid1(VALU_DEP_4)
	v_lshl_add_u64 v[60:61], v[6:7], 3, v[68:69]
	v_add_nc_u32_e32 v32, s12, v30
	v_lshl_add_u64 v[10:11], v[10:11], 3, v[68:69]
	s_delay_alu instid0(VALU_DEP_2) | instskip(SKIP_2) | instid1(VALU_DEP_3)
	v_add_nc_u32_e32 v42, s12, v32
	v_lshlrev_b32_e32 v34, 3, v200
	v_dual_ashrrev_i32 v33, 31, v32 :: v_dual_ashrrev_i32 v31, 31, v30
	v_dual_add_nc_u32 v50, s12, v42 :: v_dual_ashrrev_i32 v21, 31, v20
	s_delay_alu instid0(VALU_DEP_3) | instskip(NEXT) | instid1(VALU_DEP_3)
	v_add_nc_u64_e32 v[246:247], v[68:69], v[34:35]
	v_lshl_add_u64 v[32:33], v[32:33], 3, v[68:69]
	s_delay_alu instid0(VALU_DEP_4) | instskip(NEXT) | instid1(VALU_DEP_4)
	v_lshl_add_u64 v[74:75], v[30:31], 3, v[68:69]
	v_add_nc_u32_e32 v52, s12, v50
	v_ashrrev_i32_e32 v15, 31, v14
	v_ashrrev_i32_e32 v43, 31, v42
	v_lshl_add_u64 v[242:243], v[20:21], 3, v[68:69]
	v_lshl_add_u64 v[254:255], s[12:13], 3, v[246:247]
	v_add_nc_u32_e32 v70, s12, v52
	v_lshl_add_u64 v[238:239], v[14:15], 3, v[68:69]
	v_ashrrev_i32_e32 v53, 31, v52
	v_lshl_add_u64 v[42:43], v[42:43], 3, v[68:69]
	s_clause 0x3
	global_load_b64 v[26:27], v[244:245], off
	global_load_b64 v[22:23], v[218:219], off
	global_load_b64 v[24:25], v[220:221], off
	global_load_b64 v[20:21], v[238:239], off
	v_add_nc_u32_e32 v28, s12, v70
	v_ashrrev_i32_e32 v51, 31, v50
	v_lshl_add_u64 v[52:53], v[52:53], 3, v[68:69]
	s_clause 0x7
	global_load_b64 v[54:55], v[246:247], off
	global_load_b64 v[56:57], v[254:255], off
	;; [unrolled: 1-line block ×8, first 2 shown]
	v_dual_add_nc_u32 v72, s12, v28 :: v_dual_ashrrev_i32 v29, 31, v28
	v_lshl_add_u64 v[50:51], v[50:51], 3, v[68:69]
	s_clause 0x2
	scratch_store_b64 off, v[32:33], off offset:32
	scratch_store_b64 off, v[42:43], off offset:40
	;; [unrolled: 1-line block ×3, first 2 shown]
	v_dual_add_nc_u32 v12, s12, v72 :: v_dual_ashrrev_i32 v71, 31, v70
	s_clause 0x3
	global_load_b64 v[78:79], v[32:33], off
	global_load_b64 v[80:81], v[42:43], off
	;; [unrolled: 1-line block ×4, first 2 shown]
	v_add_nc_u32_e32 v14, s12, v12
	scratch_store_b64 off, v[50:51], off offset:48 ; 8-byte Folded Spill
	v_ashrrev_i32_e32 v13, 31, v12
	s_wait_xcnt 0x0
	v_lshl_add_u64 v[50:51], v[70:71], 3, v[68:69]
	v_lshl_add_u64 v[28:29], v[28:29], 3, v[68:69]
	v_dual_add_nc_u32 v8, s12, v14 :: v_dual_ashrrev_i32 v15, 31, v14
	s_clause 0x3
	scratch_store_b64 off, v[18:19], off
	scratch_store_b64 off, v[60:61], off offset:8
	scratch_store_b64 off, v[10:11], off offset:16
	;; [unrolled: 1-line block ×3, first 2 shown]
	v_dual_add_nc_u32 v0, s12, v8 :: v_dual_ashrrev_i32 v9, 31, v8
	s_clause 0x3
	global_load_b64 v[62:63], v[18:19], off
	global_load_b64 v[96:97], v[28:29], off
	;; [unrolled: 1-line block ×4, first 2 shown]
	v_dual_ashrrev_i32 v1, 31, v0 :: v_dual_add_nc_u32 v4, s12, v0
	v_lshl_add_u64 v[8:9], v[8:9], 3, v[68:69]
	scratch_store_b64 off, v[50:51], off offset:64 ; 8-byte Folded Spill
	global_load_b64 v[82:83], v[74:75], off
	v_lshl_add_u64 v[52:53], v[0:1], 3, v[68:69]
	s_clause 0x1
	global_load_b64 v[66:67], v[252:253], off
	global_load_b64 v[112:113], v[8:9], off
	v_add_nc_u32_e32 v2, s12, v4
	v_ashrrev_i32_e32 v73, 31, v72
	s_clause 0x1
	global_load_b64 v[108:109], v[52:53], off
	global_load_b64 v[60:61], v[10:11], off
	v_dual_ashrrev_i32 v5, 31, v4 :: v_dual_add_nc_u32 v6, s12, v2
	v_lshl_add_u64 v[70:71], v[72:73], 3, v[68:69]
	v_lshl_add_u64 v[72:73], v[12:13], 3, v[68:69]
	s_clause 0x1
	scratch_store_b64 off, v[28:29], off offset:72
	scratch_store_b64 off, v[8:9], off offset:104
	s_wait_xcnt 0x2
	v_dual_add_nc_u32 v10, s12, v6 :: v_dual_ashrrev_i32 v7, 31, v6
	s_clause 0x1
	scratch_store_b64 off, v[70:71], off offset:80
	scratch_store_b64 off, v[72:73], off offset:88
	global_load_b64 v[92:93], v[70:71], off
	v_add_nc_u32_e32 v18, s12, v10
	s_wait_xcnt 0x0
	v_lshl_add_u64 v[70:71], v[4:5], 3, v[68:69]
	v_ashrrev_i32_e32 v3, 31, v2
	global_load_b64 v[114:115], v[72:73], off
	scratch_store_b64 off, v[52:53], off offset:112 ; 8-byte Folded Spill
	v_add_nc_u32_e32 v30, s12, v18
	global_load_b64 v[130:131], v[70:71], off
	v_lshl_add_u64 v[8:9], v[2:3], 3, v[68:69]
	scratch_store_b64 off, v[70:71], off offset:120 ; 8-byte Folded Spill
	v_ashrrev_i32_e32 v11, 31, v10
	v_add_nc_u32_e32 v32, s12, v30
	global_load_b64 v[126:127], v[8:9], off
	v_lshl_add_u64 v[10:11], v[10:11], 3, v[68:69]
	v_add_nc_u32_e32 v42, s12, v32
	global_load_b64 v[124:125], v[10:11], off
	v_add_nc_u32_e32 v12, s12, v42
	s_delay_alu instid0(VALU_DEP_1) | instskip(SKIP_2) | instid1(VALU_DEP_3)
	v_dual_ashrrev_i32 v31, 31, v30 :: v_dual_ashrrev_i32 v13, 31, v12
	v_dual_add_nc_u32 v28, s12, v12 :: v_dual_ashrrev_i32 v43, 31, v42
	v_dual_ashrrev_i32 v19, 31, v18 :: v_dual_ashrrev_i32 v33, 31, v32
	v_lshl_add_u64 v[30:31], v[30:31], 3, v[68:69]
	s_delay_alu instid0(VALU_DEP_3) | instskip(NEXT) | instid1(VALU_DEP_4)
	v_ashrrev_i32_e32 v29, 31, v28
	v_lshl_add_u64 v[42:43], v[42:43], 3, v[68:69]
	s_delay_alu instid0(VALU_DEP_4)
	v_lshl_add_u64 v[18:19], v[18:19], 3, v[68:69]
	v_lshl_add_u64 v[32:33], v[32:33], 3, v[68:69]
	scratch_store_b64 off, v[30:31], off offset:160 ; 8-byte Folded Spill
	s_clause 0x1
	global_load_b64 v[142:143], v[30:31], off
	global_load_b64 v[140:141], v[42:43], off
	v_lshl_add_u64 v[50:51], v[14:15], 3, v[68:69]
	v_add_nc_u32_e32 v14, s12, v28
	global_load_b64 v[146:147], v[18:19], off
	scratch_store_b64 off, v[32:33], off offset:168 ; 8-byte Folded Spill
	global_load_b64 v[144:145], v[32:33], off
	scratch_store_b64 off, v[50:51], off offset:96 ; 8-byte Folded Spill
	v_add_nc_u32_e32 v0, s12, v14
	global_load_b64 v[110:111], v[50:51], off
	s_clause 0x1
	scratch_store_b64 off, v[10:11], off offset:144
	scratch_store_b64 off, v[18:19], off offset:152
	v_dual_add_nc_u32 v4, s12, v0 :: v_dual_ashrrev_i32 v15, 31, v14
	s_delay_alu instid0(VALU_DEP_1) | instskip(NEXT) | instid1(VALU_DEP_2)
	v_dual_ashrrev_i32 v5, 31, v4 :: v_dual_add_nc_u32 v2, s12, v4
	v_lshl_add_u64 v[14:15], v[14:15], 3, v[68:69]
	s_delay_alu instid0(VALU_DEP_2)
	v_dual_ashrrev_i32 v1, 31, v0 :: v_dual_ashrrev_i32 v3, 31, v2
	scratch_store_b64 off, v[14:15], off offset:200 ; 8-byte Folded Spill
	global_load_b64 v[160:161], v[14:15], off
	s_wait_xcnt 0x0
	v_lshl_add_u64 v[14:15], v[2:3], 3, v[68:69]
	global_load_b64 v[174:175], v[14:15], off
	v_lshl_add_u64 v[30:31], v[28:29], 3, v[68:69]
	scratch_store_b64 off, v[42:43], off offset:176 ; 8-byte Folded Spill
	s_wait_xcnt 0x0
	v_lshl_add_u64 v[42:43], v[4:5], 3, v[68:69]
	scratch_store_b64 off, v[14:15], off offset:224 ; 8-byte Folded Spill
	global_load_b64 v[158:159], v[30:31], off
	v_lshl_add_u64 v[32:33], v[0:1], 3, v[68:69]
	global_load_b64 v[178:179], v[42:43], off
	v_lshl_add_u64 v[50:51], v[6:7], 3, v[68:69]
	v_add_nc_u32_e32 v6, s12, v2
	s_clause 0x3
	scratch_store_b64 off, v[8:9], off offset:128
	scratch_store_b64 off, v[32:33], off offset:208
	;; [unrolled: 1-line block ×4, first 2 shown]
	s_wait_xcnt 0x3
	v_add_nc_u32_e32 v8, s12, v6
	global_load_b64 v[128:129], v[50:51], off
	s_wait_xcnt 0x0
	v_lshl_add_u64 v[50:51], v[12:13], 3, v[68:69]
	global_load_b64 v[156:157], v[32:33], off
	scratch_store_b64 off, v[30:31], off offset:192 ; 8-byte Folded Spill
	v_add_nc_u32_e32 v10, s12, v8
	scratch_store_b64 off, v[50:51], off offset:184 ; 8-byte Folded Spill
	global_load_b64 v[162:163], v[50:51], off
	v_add_nc_u32_e32 v12, s12, v10
	s_delay_alu instid0(VALU_DEP_1) | instskip(NEXT) | instid1(VALU_DEP_1)
	v_dual_add_nc_u32 v18, s12, v12 :: v_dual_ashrrev_i32 v7, 31, v6
	v_dual_ashrrev_i32 v9, 31, v8 :: v_dual_add_nc_u32 v28, s12, v18
	s_delay_alu instid0(VALU_DEP_1) | instskip(NEXT) | instid1(VALU_DEP_2)
	v_lshl_add_u64 v[8:9], v[8:9], 3, v[68:69]
	v_add_nc_u32_e32 v0, s12, v28
	global_load_b64 v[172:173], v[8:9], off
	v_dual_add_nc_u32 v4, s12, v0 :: v_dual_ashrrev_i32 v11, 31, v10
	v_dual_ashrrev_i32 v19, 31, v18 :: v_dual_ashrrev_i32 v29, 31, v28
	v_ashrrev_i32_e32 v1, 31, v0
	s_delay_alu instid0(VALU_DEP_3) | instskip(SKIP_2) | instid1(VALU_DEP_2)
	v_add_nc_u32_e32 v2, s12, v4
	v_ashrrev_i32_e32 v13, 31, v12
	v_ashrrev_i32_e32 v5, 31, v4
	v_lshl_add_u64 v[12:13], v[12:13], 3, v[68:69]
	global_load_b64 v[190:191], v[12:13], off
	v_lshl_add_u64 v[14:15], v[18:19], 3, v[68:69]
	v_lshl_add_u64 v[18:19], v[28:29], 3, v[68:69]
	v_lshl_add_u64 v[28:29], v[0:1], 3, v[68:69]
	v_ashrrev_i32_e32 v3, 31, v2
	s_clause 0x2
	scratch_store_b64 off, v[12:13], off offset:256
	scratch_store_b64 off, v[14:15], off offset:264
	;; [unrolled: 1-line block ×3, first 2 shown]
	s_clause 0x2
	global_load_b64 v[192:193], v[14:15], off
	global_load_b64 v[188:189], v[18:19], off
	global_load_b64 v[212:213], v[28:29], off
	s_wait_xcnt 0x1
	v_lshl_add_u64 v[18:19], v[2:3], 3, v[68:69]
	v_lshl_add_u64 v[32:33], v[10:11], 3, v[68:69]
	scratch_store_b64 off, v[8:9], off offset:240 ; 8-byte Folded Spill
	v_lshl_add_u64 v[14:15], v[4:5], 3, v[68:69]
	scratch_store_b64 off, v[28:29], off offset:280 ; 8-byte Folded Spill
	global_load_b64 v[210:211], v[18:19], off
	v_lshl_add_u64 v[30:31], v[6:7], 3, v[68:69]
	v_add_nc_u32_e32 v6, s12, v2
	s_clause 0x1
	scratch_store_b64 off, v[32:33], off offset:248
	scratch_store_b64 off, v[14:15], off offset:288
	global_load_b64 v[208:209], v[14:15], off
	scratch_store_b64 off, v[30:31], off offset:232 ; 8-byte Folded Spill
	s_wait_xcnt 0x6
	v_dual_add_nc_u32 v8, s12, v6 :: v_dual_ashrrev_i32 v7, 31, v6
	s_clause 0x1
	global_load_b64 v[176:177], v[30:31], off
	global_load_b64 v[194:195], v[32:33], off
	v_dual_add_nc_u32 v10, s12, v8 :: v_dual_ashrrev_i32 v9, 31, v8
	v_lshl_add_u64 v[6:7], v[6:7], 3, v[68:69]
	scratch_store_b64 off, v[18:19], off offset:296 ; 8-byte Folded Spill
	v_dual_add_nc_u32 v0, s12, v10 :: v_dual_ashrrev_i32 v11, 31, v10
	v_lshl_add_u64 v[8:9], v[8:9], 3, v[68:69]
	scratch_store_b64 off, v[6:7], off offset:304 ; 8-byte Folded Spill
	global_load_b64 v[206:207], v[6:7], off
	v_add_nc_u32_e32 v12, s12, v0
	v_lshl_add_u64 v[10:11], v[10:11], 3, v[68:69]
	global_load_b64 v[232:233], v[8:9], off
	scratch_store_b64 off, v[8:9], off offset:312 ; 8-byte Folded Spill
	v_add_nc_u32_e32 v4, s12, v12
	global_load_b64 v[226:227], v[10:11], off
	scratch_store_b64 off, v[10:11], off offset:320 ; 8-byte Folded Spill
	v_dual_add_nc_u32 v2, s12, v4 :: v_dual_ashrrev_i32 v5, 31, v4
	s_delay_alu instid0(VALU_DEP_1) | instskip(NEXT) | instid1(VALU_DEP_2)
	v_dual_ashrrev_i32 v1, 31, v0 :: v_dual_ashrrev_i32 v3, 31, v2
	v_lshl_add_u64 v[4:5], v[4:5], 3, v[68:69]
	global_load_b64 v[228:229], v[4:5], off
	s_wait_xcnt 0x5
	v_dual_add_nc_u32 v6, s12, v2 :: v_dual_ashrrev_i32 v13, 31, v12
	v_lshl_add_u64 v[2:3], v[2:3], 3, v[68:69]
	scratch_store_b64 off, v[4:5], off offset:352 ; 8-byte Folded Spill
	v_ashrrev_i32_e32 v7, 31, v6
	v_lshl_add_u64 v[12:13], v[12:13], 3, v[68:69]
	global_load_b64 v[234:235], v[2:3], off
	scratch_store_b64 off, v[2:3], off offset:360 ; 8-byte Folded Spill
	global_load_b64 v[224:225], v[12:13], off
	v_lshl_add_u64 v[14:15], v[0:1], 3, v[68:69]
	v_lshl_add_u64 v[0:1], v[6:7], 3, v[68:69]
	s_clause 0x2
	scratch_store_b64 off, v[12:13], off offset:344
	scratch_store_b64 off, v[14:15], off offset:336
	;; [unrolled: 1-line block ×3, first 2 shown]
	s_clause 0x1
	global_load_b64 v[230:231], v[14:15], off
	global_load_b64 v[236:237], v[0:1], off
	s_wait_xcnt 0x0
	v_lshlrev_b32_e32 v0, 3, v48
	s_delay_alu instid0(VALU_DEP_1)
	v_add3_u32 v201, 0, s14, v0
	s_and_saveexec_b32 s4, s0
	s_cbranch_execz .LBB117_8
; %bb.2:
	s_wait_loadcnt 0x36
	ds_store_b64 v201, v[54:55]
	s_wait_loadcnt 0x34
	ds_store_2addr_b64 v202, v[56:57], v[46:47] offset0:1 offset1:2
	s_wait_loadcnt 0x33
	ds_store_2addr_b64 v202, v[44:45], v[26:27] offset0:3 offset1:4
	ds_store_2addr_b64 v202, v[22:23], v[24:25] offset0:5 offset1:6
	s_wait_loadcnt 0x32
	ds_store_2addr_b64 v202, v[20:21], v[40:41] offset0:7 offset1:8
	s_wait_loadcnt 0x30
	;; [unrolled: 2-line block ×3, first 2 shown]
	ds_store_2addr_b64 v202, v[34:35], v[66:67] offset0:11 offset1:12
	ds_store_2addr_b64 v202, v[62:63], v[64:65] offset0:13 offset1:14
	s_wait_loadcnt 0x22
	ds_store_2addr_b64 v202, v[60:61], v[82:83] offset0:15 offset1:16
	ds_store_2addr_b64 v202, v[78:79], v[80:81] offset0:17 offset1:18
	;; [unrolled: 1-line block ×4, first 2 shown]
	s_wait_loadcnt 0x20
	ds_store_2addr_b64 v202, v[92:93], v[114:115] offset0:23 offset1:24
	s_wait_loadcnt 0x18
	ds_store_2addr_b64 v202, v[110:111], v[112:113] offset0:25 offset1:26
	ds_store_2addr_b64 v202, v[108:109], v[130:131] offset0:27 offset1:28
	s_wait_loadcnt 0x13
	ds_store_2addr_b64 v202, v[126:127], v[128:129] offset0:29 offset1:30
	ds_store_2addr_b64 v202, v[124:125], v[146:147] offset0:31 offset1:32
	ds_store_2addr_b64 v202, v[142:143], v[144:145] offset0:33 offset1:34
	s_wait_loadcnt 0x11
	ds_store_2addr_b64 v202, v[140:141], v[162:163] offset0:35 offset1:36
	ds_store_2addr_b64 v202, v[158:159], v[160:161] offset0:37 offset1:38
	ds_store_2addr_b64 v202, v[156:157], v[178:179] offset0:39 offset1:40
	s_wait_loadcnt 0x9
	ds_store_2addr_b64 v202, v[174:175], v[176:177] offset0:41 offset1:42
	s_wait_loadcnt 0x8
	ds_store_2addr_b64 v202, v[172:173], v[194:195] offset0:43 offset1:44
	ds_store_2addr_b64 v202, v[190:191], v[192:193] offset0:45 offset1:46
	;; [unrolled: 1-line block ×4, first 2 shown]
	s_wait_loadcnt 0x6
	ds_store_2addr_b64 v202, v[206:207], v[232:233] offset0:51 offset1:52
	s_wait_loadcnt 0x1
	ds_store_2addr_b64 v202, v[226:227], v[230:231] offset0:53 offset1:54
	ds_store_2addr_b64 v202, v[224:225], v[228:229] offset0:55 offset1:56
	s_wait_loadcnt 0x0
	ds_store_2addr_b64 v202, v[234:235], v[236:237] offset0:57 offset1:58
	ds_load_b64 v[0:1], v201
	s_wait_dscnt 0x0
	v_cmp_neq_f32_e32 vcc_lo, 0, v0
	v_cmp_neq_f32_e64 s2, 0, v1
	s_or_b32 s2, vcc_lo, s2
	s_delay_alu instid0(SALU_CYCLE_1)
	s_and_b32 exec_lo, exec_lo, s2
	s_cbranch_execz .LBB117_8
; %bb.3:
	v_cmp_ngt_f32_e64 s2, |v0|, |v1|
                                        ; implicit-def: $vgpr2_vgpr3
	s_and_saveexec_b32 s5, s2
	s_delay_alu instid0(SALU_CYCLE_1)
	s_xor_b32 s2, exec_lo, s5
	s_cbranch_execz .LBB117_5
; %bb.4:
	v_div_scale_f32 v2, null, v1, v1, v0
	v_div_scale_f32 v5, vcc_lo, v0, v1, v0
	s_delay_alu instid0(VALU_DEP_2) | instskip(SKIP_1) | instid1(TRANS32_DEP_1)
	v_rcp_f32_e32 v3, v2
	v_nop
	v_fma_f32 v4, -v2, v3, 1.0
	s_delay_alu instid0(VALU_DEP_1) | instskip(NEXT) | instid1(VALU_DEP_1)
	v_fmac_f32_e32 v3, v4, v3
	v_mul_f32_e32 v4, v5, v3
	s_delay_alu instid0(VALU_DEP_1) | instskip(NEXT) | instid1(VALU_DEP_1)
	v_fma_f32 v6, -v2, v4, v5
	v_fmac_f32_e32 v4, v6, v3
	s_delay_alu instid0(VALU_DEP_1) | instskip(NEXT) | instid1(VALU_DEP_1)
	v_fma_f32 v2, -v2, v4, v5
	v_div_fmas_f32 v2, v2, v3, v4
	s_delay_alu instid0(VALU_DEP_1) | instskip(NEXT) | instid1(VALU_DEP_1)
	v_div_fixup_f32 v2, v2, v1, v0
	v_fmac_f32_e32 v1, v0, v2
	s_delay_alu instid0(VALU_DEP_1) | instskip(SKIP_1) | instid1(VALU_DEP_2)
	v_div_scale_f32 v0, null, v1, v1, 1.0
	v_div_scale_f32 v5, vcc_lo, 1.0, v1, 1.0
	v_rcp_f32_e32 v3, v0
	v_nop
	s_delay_alu instid0(TRANS32_DEP_1) | instskip(NEXT) | instid1(VALU_DEP_1)
	v_fma_f32 v4, -v0, v3, 1.0
	v_fmac_f32_e32 v3, v4, v3
	s_delay_alu instid0(VALU_DEP_1) | instskip(NEXT) | instid1(VALU_DEP_1)
	v_mul_f32_e32 v4, v5, v3
	v_fma_f32 v6, -v0, v4, v5
	s_delay_alu instid0(VALU_DEP_1) | instskip(NEXT) | instid1(VALU_DEP_1)
	v_fmac_f32_e32 v4, v6, v3
	v_fma_f32 v0, -v0, v4, v5
	s_delay_alu instid0(VALU_DEP_1) | instskip(NEXT) | instid1(VALU_DEP_1)
	v_div_fmas_f32 v0, v0, v3, v4
	v_div_fixup_f32 v0, v0, v1, 1.0
	s_delay_alu instid0(VALU_DEP_1)
	v_mul_f32_e32 v2, v2, v0
	v_xor_b32_e32 v3, 0x80000000, v0
                                        ; implicit-def: $vgpr0_vgpr1
.LBB117_5:
	s_and_not1_saveexec_b32 s2, s2
	s_cbranch_execz .LBB117_7
; %bb.6:
	v_div_scale_f32 v2, null, v0, v0, v1
	v_div_scale_f32 v5, vcc_lo, v1, v0, v1
	s_delay_alu instid0(VALU_DEP_2) | instskip(SKIP_1) | instid1(TRANS32_DEP_1)
	v_rcp_f32_e32 v3, v2
	v_nop
	v_fma_f32 v4, -v2, v3, 1.0
	s_delay_alu instid0(VALU_DEP_1) | instskip(NEXT) | instid1(VALU_DEP_1)
	v_fmac_f32_e32 v3, v4, v3
	v_mul_f32_e32 v4, v5, v3
	s_delay_alu instid0(VALU_DEP_1) | instskip(NEXT) | instid1(VALU_DEP_1)
	v_fma_f32 v6, -v2, v4, v5
	v_fmac_f32_e32 v4, v6, v3
	s_delay_alu instid0(VALU_DEP_1) | instskip(NEXT) | instid1(VALU_DEP_1)
	v_fma_f32 v2, -v2, v4, v5
	v_div_fmas_f32 v2, v2, v3, v4
	s_delay_alu instid0(VALU_DEP_1) | instskip(NEXT) | instid1(VALU_DEP_1)
	v_div_fixup_f32 v3, v2, v0, v1
	v_fmac_f32_e32 v0, v1, v3
	s_delay_alu instid0(VALU_DEP_1) | instskip(NEXT) | instid1(VALU_DEP_1)
	v_div_scale_f32 v1, null, v0, v0, 1.0
	v_rcp_f32_e32 v2, v1
	v_nop
	s_delay_alu instid0(TRANS32_DEP_1) | instskip(NEXT) | instid1(VALU_DEP_1)
	v_fma_f32 v4, -v1, v2, 1.0
	v_fmac_f32_e32 v2, v4, v2
	v_div_scale_f32 v4, vcc_lo, 1.0, v0, 1.0
	s_delay_alu instid0(VALU_DEP_1) | instskip(NEXT) | instid1(VALU_DEP_1)
	v_mul_f32_e32 v5, v4, v2
	v_fma_f32 v6, -v1, v5, v4
	s_delay_alu instid0(VALU_DEP_1) | instskip(NEXT) | instid1(VALU_DEP_1)
	v_fmac_f32_e32 v5, v6, v2
	v_fma_f32 v1, -v1, v5, v4
	s_delay_alu instid0(VALU_DEP_1) | instskip(NEXT) | instid1(VALU_DEP_1)
	v_div_fmas_f32 v1, v1, v2, v5
	v_div_fixup_f32 v2, v1, v0, 1.0
	s_delay_alu instid0(VALU_DEP_1)
	v_mul_f32_e64 v3, v3, -v2
.LBB117_7:
	s_or_b32 exec_lo, exec_lo, s2
	ds_store_b64 v201, v[2:3]
.LBB117_8:
	s_or_b32 exec_lo, exec_lo, s4
	s_wait_storecnt 0x0
	s_wait_loadcnt_dscnt 0x0
	s_barrier_signal -1
	s_barrier_wait -1
	ds_load_b64 v[0:1], v201
	s_wait_dscnt 0x0
	scratch_store_b64 off, v[0:1], off offset:368 ; 8-byte Folded Spill
	s_wait_xcnt 0x0
	s_and_saveexec_b32 s2, s1
	s_cbranch_execz .LBB117_10
; %bb.9:
	scratch_load_b64 v[4:5], off, off offset:368 ; 8-byte Folded Reload
	s_wait_loadcnt 0x0
	v_pk_mul_f32 v[2:3], v[4:5], v[54:55] op_sel:[1,1] op_sel_hi:[0,1]
	s_delay_alu instid0(VALU_DEP_1)
	v_pk_fma_f32 v[0:1], v[4:5], v[54:55], v[2:3] op_sel_hi:[1,0,1] neg_lo:[0,0,1] neg_hi:[0,0,1]
	v_pk_fma_f32 v[2:3], v[4:5], v[54:55], v[2:3] op_sel_hi:[1,0,1]
	ds_load_2addr_b64 v[4:7], v202 offset0:1 offset1:2
	v_dual_mov_b32 v54, v0 :: v_dual_mov_b32 v55, v3
	s_wait_dscnt 0x0
	v_pk_mul_f32 v[8:9], v[4:5], v[2:3] op_sel:[0,1]
	s_delay_alu instid0(VALU_DEP_1) | instskip(SKIP_1) | instid1(VALU_DEP_1)
	v_pk_fma_f32 v[10:11], v[4:5], v[0:1], v[8:9] op_sel:[0,0,1] op_sel_hi:[1,1,0] neg_lo:[0,0,1] neg_hi:[0,0,1]
	v_pk_fma_f32 v[4:5], v[4:5], v[0:1], v[8:9] op_sel:[0,0,1] op_sel_hi:[1,0,0]
	v_mov_b32_e32 v11, v5
	v_pk_mul_f32 v[4:5], v[6:7], v[2:3] op_sel:[0,1]
	s_delay_alu instid0(VALU_DEP_1) | instskip(SKIP_1) | instid1(VALU_DEP_1)
	v_pk_fma_f32 v[8:9], v[6:7], v[0:1], v[4:5] op_sel:[0,0,1] op_sel_hi:[1,1,0] neg_lo:[0,0,1] neg_hi:[0,0,1]
	v_pk_fma_f32 v[4:5], v[6:7], v[0:1], v[4:5] op_sel:[0,0,1] op_sel_hi:[1,0,0]
	v_mov_b32_e32 v9, v5
	ds_load_2addr_b64 v[4:7], v202 offset0:3 offset1:4
	v_pk_add_f32 v[56:57], v[56:57], v[10:11] neg_lo:[0,1] neg_hi:[0,1]
	v_pk_add_f32 v[46:47], v[46:47], v[8:9] neg_lo:[0,1] neg_hi:[0,1]
	s_wait_dscnt 0x0
	v_pk_mul_f32 v[8:9], v[4:5], v[2:3] op_sel:[0,1]
	s_delay_alu instid0(VALU_DEP_1) | instskip(SKIP_2) | instid1(VALU_DEP_2)
	v_pk_fma_f32 v[10:11], v[4:5], v[0:1], v[8:9] op_sel:[0,0,1] op_sel_hi:[1,1,0] neg_lo:[0,0,1] neg_hi:[0,0,1]
	v_pk_fma_f32 v[4:5], v[4:5], v[0:1], v[8:9] op_sel:[0,0,1] op_sel_hi:[1,0,0]
	v_dual_mul_f32 v8, v7, v3 :: v_dual_mov_b32 v4, v7
	v_dual_mov_b32 v11, v5 :: v_dual_mov_b32 v5, v6
	s_delay_alu instid0(VALU_DEP_2) | instskip(SKIP_1) | instid1(VALU_DEP_3)
	v_pk_fma_f32 v[8:9], v[6:7], v[54:55], v[8:9] op_sel_hi:[1,1,0] neg_lo:[0,0,1] neg_hi:[0,0,1]
	v_mul_f32_e32 v6, v7, v0
	v_pk_add_f32 v[44:45], v[44:45], v[10:11] neg_lo:[0,1] neg_hi:[0,1]
	s_delay_alu instid0(VALU_DEP_2) | instskip(NEXT) | instid1(VALU_DEP_1)
	v_pk_fma_f32 v[4:5], v[4:5], v[54:55], v[6:7] op_sel_hi:[1,1,0]
	v_mov_b32_e32 v9, v5
	ds_load_2addr_b64 v[4:7], v202 offset0:5 offset1:6
	v_pk_add_f32 v[26:27], v[26:27], v[8:9] neg_lo:[0,1] neg_hi:[0,1]
	s_wait_dscnt 0x0
	v_pk_mul_f32 v[8:9], v[4:5], v[2:3] op_sel:[0,1]
	s_delay_alu instid0(VALU_DEP_1) | instskip(SKIP_1) | instid1(VALU_DEP_1)
	v_pk_fma_f32 v[10:11], v[4:5], v[0:1], v[8:9] op_sel:[0,0,1] op_sel_hi:[1,1,0] neg_lo:[0,0,1] neg_hi:[0,0,1]
	v_pk_fma_f32 v[4:5], v[4:5], v[0:1], v[8:9] op_sel:[0,0,1] op_sel_hi:[1,0,0]
	v_mov_b32_e32 v11, v5
	v_pk_mul_f32 v[4:5], v[6:7], v[2:3] op_sel:[0,1]
	s_delay_alu instid0(VALU_DEP_1) | instskip(SKIP_1) | instid1(VALU_DEP_1)
	v_pk_fma_f32 v[8:9], v[6:7], v[0:1], v[4:5] op_sel:[0,0,1] op_sel_hi:[1,1,0] neg_lo:[0,0,1] neg_hi:[0,0,1]
	v_pk_fma_f32 v[4:5], v[6:7], v[0:1], v[4:5] op_sel:[0,0,1] op_sel_hi:[1,0,0]
	v_mov_b32_e32 v9, v5
	ds_load_2addr_b64 v[4:7], v202 offset0:7 offset1:8
	v_pk_add_f32 v[22:23], v[22:23], v[10:11] neg_lo:[0,1] neg_hi:[0,1]
	v_pk_add_f32 v[24:25], v[24:25], v[8:9] neg_lo:[0,1] neg_hi:[0,1]
	s_wait_dscnt 0x0
	v_pk_mul_f32 v[8:9], v[4:5], v[2:3] op_sel:[0,1]
	s_delay_alu instid0(VALU_DEP_1) | instskip(SKIP_1) | instid1(VALU_DEP_1)
	v_pk_fma_f32 v[10:11], v[4:5], v[0:1], v[8:9] op_sel:[0,0,1] op_sel_hi:[1,1,0] neg_lo:[0,0,1] neg_hi:[0,0,1]
	v_pk_fma_f32 v[4:5], v[4:5], v[0:1], v[8:9] op_sel:[0,0,1] op_sel_hi:[1,0,0]
	v_mov_b32_e32 v11, v5
	v_pk_mul_f32 v[4:5], v[6:7], v[2:3] op_sel:[0,1]
	s_delay_alu instid0(VALU_DEP_1) | instskip(SKIP_1) | instid1(VALU_DEP_1)
	v_pk_fma_f32 v[8:9], v[6:7], v[0:1], v[4:5] op_sel:[0,0,1] op_sel_hi:[1,1,0] neg_lo:[0,0,1] neg_hi:[0,0,1]
	v_pk_fma_f32 v[4:5], v[6:7], v[0:1], v[4:5] op_sel:[0,0,1] op_sel_hi:[1,0,0]
	v_mov_b32_e32 v9, v5
	ds_load_2addr_b64 v[4:7], v202 offset0:9 offset1:10
	v_pk_add_f32 v[20:21], v[20:21], v[10:11] neg_lo:[0,1] neg_hi:[0,1]
	v_pk_add_f32 v[40:41], v[40:41], v[8:9] neg_lo:[0,1] neg_hi:[0,1]
	s_wait_dscnt 0x0
	v_dual_mul_f32 v8, v5, v3 :: v_dual_mul_f32 v10, v5, v0
	s_delay_alu instid0(VALU_DEP_1) | instskip(NEXT) | instid1(VALU_DEP_2)
	v_pk_fma_f32 v[8:9], v[4:5], v[54:55], v[8:9] op_sel_hi:[1,1,0] neg_lo:[0,0,1] neg_hi:[0,0,1]
	v_pk_fma_f32 v[4:5], v[4:5], v[54:55], v[10:11] op_sel:[1,0,0] op_sel_hi:[0,1,0]
	s_delay_alu instid0(VALU_DEP_1) | instskip(SKIP_1) | instid1(VALU_DEP_2)
	v_mov_b32_e32 v9, v5
	v_pk_mul_f32 v[4:5], v[6:7], v[2:3] op_sel:[0,1]
	v_pk_add_f32 v[36:37], v[36:37], v[8:9] neg_lo:[0,1] neg_hi:[0,1]
	s_delay_alu instid0(VALU_DEP_2) | instskip(SKIP_1) | instid1(VALU_DEP_1)
	v_pk_fma_f32 v[8:9], v[6:7], v[0:1], v[4:5] op_sel:[0,0,1] op_sel_hi:[1,1,0] neg_lo:[0,0,1] neg_hi:[0,0,1]
	v_pk_fma_f32 v[4:5], v[6:7], v[0:1], v[4:5] op_sel:[0,0,1] op_sel_hi:[1,0,0]
	v_mov_b32_e32 v9, v5
	ds_load_2addr_b64 v[4:7], v202 offset0:11 offset1:12
	v_pk_add_f32 v[38:39], v[38:39], v[8:9] neg_lo:[0,1] neg_hi:[0,1]
	s_wait_dscnt 0x0
	v_pk_mul_f32 v[8:9], v[4:5], v[2:3] op_sel:[0,1]
	s_delay_alu instid0(VALU_DEP_1) | instskip(SKIP_1) | instid1(VALU_DEP_1)
	v_pk_fma_f32 v[10:11], v[4:5], v[0:1], v[8:9] op_sel:[0,0,1] op_sel_hi:[1,1,0] neg_lo:[0,0,1] neg_hi:[0,0,1]
	v_pk_fma_f32 v[4:5], v[4:5], v[0:1], v[8:9] op_sel:[0,0,1] op_sel_hi:[1,0,0]
	v_mov_b32_e32 v11, v5
	v_pk_mul_f32 v[4:5], v[6:7], v[2:3] op_sel:[0,1]
	s_delay_alu instid0(VALU_DEP_2) | instskip(NEXT) | instid1(VALU_DEP_2)
	v_pk_add_f32 v[34:35], v[34:35], v[10:11] neg_lo:[0,1] neg_hi:[0,1]
	v_pk_fma_f32 v[8:9], v[6:7], v[0:1], v[4:5] op_sel:[0,0,1] op_sel_hi:[1,1,0] neg_lo:[0,0,1] neg_hi:[0,0,1]
	v_pk_fma_f32 v[4:5], v[6:7], v[0:1], v[4:5] op_sel:[0,0,1] op_sel_hi:[1,0,0]
	s_delay_alu instid0(VALU_DEP_1) | instskip(SKIP_4) | instid1(VALU_DEP_1)
	v_mov_b32_e32 v9, v5
	ds_load_2addr_b64 v[4:7], v202 offset0:13 offset1:14
	v_pk_add_f32 v[66:67], v[66:67], v[8:9] neg_lo:[0,1] neg_hi:[0,1]
	s_wait_dscnt 0x0
	v_pk_mul_f32 v[8:9], v[4:5], v[2:3] op_sel:[0,1]
	v_pk_fma_f32 v[10:11], v[4:5], v[0:1], v[8:9] op_sel:[0,0,1] op_sel_hi:[1,1,0] neg_lo:[0,0,1] neg_hi:[0,0,1]
	v_pk_fma_f32 v[4:5], v[4:5], v[0:1], v[8:9] op_sel:[0,0,1] op_sel_hi:[1,0,0]
	v_dual_mul_f32 v8, v7, v3 :: v_dual_mov_b32 v4, v7
	s_delay_alu instid0(VALU_DEP_2) | instskip(NEXT) | instid1(VALU_DEP_2)
	v_dual_mov_b32 v11, v5 :: v_dual_mov_b32 v5, v6
	v_pk_fma_f32 v[8:9], v[6:7], v[54:55], v[8:9] op_sel_hi:[1,1,0] neg_lo:[0,0,1] neg_hi:[0,0,1]
	v_mul_f32_e32 v6, v7, v0
	s_delay_alu instid0(VALU_DEP_3) | instskip(NEXT) | instid1(VALU_DEP_2)
	v_pk_add_f32 v[62:63], v[62:63], v[10:11] neg_lo:[0,1] neg_hi:[0,1]
	v_pk_fma_f32 v[4:5], v[4:5], v[54:55], v[6:7] op_sel_hi:[1,1,0]
	s_delay_alu instid0(VALU_DEP_1) | instskip(SKIP_4) | instid1(VALU_DEP_1)
	v_mov_b32_e32 v9, v5
	ds_load_2addr_b64 v[4:7], v202 offset0:15 offset1:16
	v_pk_add_f32 v[64:65], v[64:65], v[8:9] neg_lo:[0,1] neg_hi:[0,1]
	s_wait_dscnt 0x0
	v_pk_mul_f32 v[8:9], v[4:5], v[2:3] op_sel:[0,1]
	v_pk_fma_f32 v[10:11], v[4:5], v[0:1], v[8:9] op_sel:[0,0,1] op_sel_hi:[1,1,0] neg_lo:[0,0,1] neg_hi:[0,0,1]
	v_pk_fma_f32 v[4:5], v[4:5], v[0:1], v[8:9] op_sel:[0,0,1] op_sel_hi:[1,0,0]
	s_delay_alu instid0(VALU_DEP_1) | instskip(SKIP_1) | instid1(VALU_DEP_1)
	v_mov_b32_e32 v11, v5
	v_pk_mul_f32 v[4:5], v[6:7], v[2:3] op_sel:[0,1]
	v_pk_fma_f32 v[8:9], v[6:7], v[0:1], v[4:5] op_sel:[0,0,1] op_sel_hi:[1,1,0] neg_lo:[0,0,1] neg_hi:[0,0,1]
	v_pk_fma_f32 v[4:5], v[6:7], v[0:1], v[4:5] op_sel:[0,0,1] op_sel_hi:[1,0,0]
	s_delay_alu instid0(VALU_DEP_1)
	v_mov_b32_e32 v9, v5
	ds_load_2addr_b64 v[4:7], v202 offset0:17 offset1:18
	v_pk_add_f32 v[60:61], v[60:61], v[10:11] neg_lo:[0,1] neg_hi:[0,1]
	v_pk_add_f32 v[82:83], v[82:83], v[8:9] neg_lo:[0,1] neg_hi:[0,1]
	s_wait_dscnt 0x0
	v_pk_mul_f32 v[8:9], v[4:5], v[2:3] op_sel:[0,1]
	s_delay_alu instid0(VALU_DEP_1) | instskip(SKIP_1) | instid1(VALU_DEP_1)
	v_pk_fma_f32 v[10:11], v[4:5], v[0:1], v[8:9] op_sel:[0,0,1] op_sel_hi:[1,1,0] neg_lo:[0,0,1] neg_hi:[0,0,1]
	v_pk_fma_f32 v[4:5], v[4:5], v[0:1], v[8:9] op_sel:[0,0,1] op_sel_hi:[1,0,0]
	v_mov_b32_e32 v11, v5
	v_pk_mul_f32 v[4:5], v[6:7], v[2:3] op_sel:[0,1]
	s_delay_alu instid0(VALU_DEP_1) | instskip(SKIP_1) | instid1(VALU_DEP_1)
	v_pk_fma_f32 v[8:9], v[6:7], v[0:1], v[4:5] op_sel:[0,0,1] op_sel_hi:[1,1,0] neg_lo:[0,0,1] neg_hi:[0,0,1]
	v_pk_fma_f32 v[4:5], v[6:7], v[0:1], v[4:5] op_sel:[0,0,1] op_sel_hi:[1,0,0]
	v_mov_b32_e32 v9, v5
	ds_load_2addr_b64 v[4:7], v202 offset0:19 offset1:20
	v_pk_add_f32 v[78:79], v[78:79], v[10:11] neg_lo:[0,1] neg_hi:[0,1]
	v_pk_add_f32 v[80:81], v[80:81], v[8:9] neg_lo:[0,1] neg_hi:[0,1]
	s_wait_dscnt 0x0
	v_dual_mul_f32 v8, v5, v3 :: v_dual_mul_f32 v10, v5, v0
	s_delay_alu instid0(VALU_DEP_1) | instskip(NEXT) | instid1(VALU_DEP_2)
	v_pk_fma_f32 v[8:9], v[4:5], v[54:55], v[8:9] op_sel_hi:[1,1,0] neg_lo:[0,0,1] neg_hi:[0,0,1]
	v_pk_fma_f32 v[4:5], v[4:5], v[54:55], v[10:11] op_sel:[1,0,0] op_sel_hi:[0,1,0]
	s_delay_alu instid0(VALU_DEP_1) | instskip(SKIP_1) | instid1(VALU_DEP_2)
	v_mov_b32_e32 v9, v5
	v_pk_mul_f32 v[4:5], v[6:7], v[2:3] op_sel:[0,1]
	v_pk_add_f32 v[76:77], v[76:77], v[8:9] neg_lo:[0,1] neg_hi:[0,1]
	s_delay_alu instid0(VALU_DEP_2) | instskip(SKIP_1) | instid1(VALU_DEP_1)
	v_pk_fma_f32 v[8:9], v[6:7], v[0:1], v[4:5] op_sel:[0,0,1] op_sel_hi:[1,1,0] neg_lo:[0,0,1] neg_hi:[0,0,1]
	v_pk_fma_f32 v[4:5], v[6:7], v[0:1], v[4:5] op_sel:[0,0,1] op_sel_hi:[1,0,0]
	v_mov_b32_e32 v9, v5
	ds_load_2addr_b64 v[4:7], v202 offset0:21 offset1:22
	v_pk_add_f32 v[98:99], v[98:99], v[8:9] neg_lo:[0,1] neg_hi:[0,1]
	s_wait_dscnt 0x0
	v_pk_mul_f32 v[8:9], v[4:5], v[2:3] op_sel:[0,1]
	s_delay_alu instid0(VALU_DEP_1) | instskip(SKIP_1) | instid1(VALU_DEP_1)
	v_pk_fma_f32 v[10:11], v[4:5], v[0:1], v[8:9] op_sel:[0,0,1] op_sel_hi:[1,1,0] neg_lo:[0,0,1] neg_hi:[0,0,1]
	v_pk_fma_f32 v[4:5], v[4:5], v[0:1], v[8:9] op_sel:[0,0,1] op_sel_hi:[1,0,0]
	v_mov_b32_e32 v11, v5
	v_pk_mul_f32 v[4:5], v[6:7], v[2:3] op_sel:[0,1]
	s_delay_alu instid0(VALU_DEP_2) | instskip(NEXT) | instid1(VALU_DEP_2)
	v_pk_add_f32 v[94:95], v[94:95], v[10:11] neg_lo:[0,1] neg_hi:[0,1]
	v_pk_fma_f32 v[8:9], v[6:7], v[0:1], v[4:5] op_sel:[0,0,1] op_sel_hi:[1,1,0] neg_lo:[0,0,1] neg_hi:[0,0,1]
	v_pk_fma_f32 v[4:5], v[6:7], v[0:1], v[4:5] op_sel:[0,0,1] op_sel_hi:[1,0,0]
	s_delay_alu instid0(VALU_DEP_1) | instskip(SKIP_4) | instid1(VALU_DEP_1)
	v_mov_b32_e32 v9, v5
	ds_load_2addr_b64 v[4:7], v202 offset0:23 offset1:24
	v_pk_add_f32 v[96:97], v[96:97], v[8:9] neg_lo:[0,1] neg_hi:[0,1]
	s_wait_dscnt 0x0
	v_pk_mul_f32 v[8:9], v[4:5], v[2:3] op_sel:[0,1]
	v_pk_fma_f32 v[10:11], v[4:5], v[0:1], v[8:9] op_sel:[0,0,1] op_sel_hi:[1,1,0] neg_lo:[0,0,1] neg_hi:[0,0,1]
	v_pk_fma_f32 v[4:5], v[4:5], v[0:1], v[8:9] op_sel:[0,0,1] op_sel_hi:[1,0,0]
	v_dual_mul_f32 v8, v7, v3 :: v_dual_mov_b32 v4, v7
	s_delay_alu instid0(VALU_DEP_2) | instskip(NEXT) | instid1(VALU_DEP_2)
	v_dual_mov_b32 v11, v5 :: v_dual_mov_b32 v5, v6
	v_pk_fma_f32 v[8:9], v[6:7], v[54:55], v[8:9] op_sel_hi:[1,1,0] neg_lo:[0,0,1] neg_hi:[0,0,1]
	v_mul_f32_e32 v6, v7, v0
	s_delay_alu instid0(VALU_DEP_3) | instskip(NEXT) | instid1(VALU_DEP_2)
	v_pk_add_f32 v[92:93], v[92:93], v[10:11] neg_lo:[0,1] neg_hi:[0,1]
	v_pk_fma_f32 v[4:5], v[4:5], v[54:55], v[6:7] op_sel_hi:[1,1,0]
	s_delay_alu instid0(VALU_DEP_1) | instskip(SKIP_4) | instid1(VALU_DEP_1)
	v_mov_b32_e32 v9, v5
	ds_load_2addr_b64 v[4:7], v202 offset0:25 offset1:26
	v_pk_add_f32 v[114:115], v[114:115], v[8:9] neg_lo:[0,1] neg_hi:[0,1]
	s_wait_dscnt 0x0
	v_pk_mul_f32 v[8:9], v[4:5], v[2:3] op_sel:[0,1]
	v_pk_fma_f32 v[10:11], v[4:5], v[0:1], v[8:9] op_sel:[0,0,1] op_sel_hi:[1,1,0] neg_lo:[0,0,1] neg_hi:[0,0,1]
	v_pk_fma_f32 v[4:5], v[4:5], v[0:1], v[8:9] op_sel:[0,0,1] op_sel_hi:[1,0,0]
	s_delay_alu instid0(VALU_DEP_1) | instskip(SKIP_1) | instid1(VALU_DEP_1)
	v_mov_b32_e32 v11, v5
	v_pk_mul_f32 v[4:5], v[6:7], v[2:3] op_sel:[0,1]
	v_pk_fma_f32 v[8:9], v[6:7], v[0:1], v[4:5] op_sel:[0,0,1] op_sel_hi:[1,1,0] neg_lo:[0,0,1] neg_hi:[0,0,1]
	v_pk_fma_f32 v[4:5], v[6:7], v[0:1], v[4:5] op_sel:[0,0,1] op_sel_hi:[1,0,0]
	s_delay_alu instid0(VALU_DEP_1)
	v_mov_b32_e32 v9, v5
	ds_load_2addr_b64 v[4:7], v202 offset0:27 offset1:28
	v_pk_add_f32 v[110:111], v[110:111], v[10:11] neg_lo:[0,1] neg_hi:[0,1]
	v_pk_add_f32 v[112:113], v[112:113], v[8:9] neg_lo:[0,1] neg_hi:[0,1]
	s_wait_dscnt 0x0
	v_pk_mul_f32 v[8:9], v[4:5], v[2:3] op_sel:[0,1]
	s_delay_alu instid0(VALU_DEP_1) | instskip(SKIP_1) | instid1(VALU_DEP_1)
	v_pk_fma_f32 v[10:11], v[4:5], v[0:1], v[8:9] op_sel:[0,0,1] op_sel_hi:[1,1,0] neg_lo:[0,0,1] neg_hi:[0,0,1]
	v_pk_fma_f32 v[4:5], v[4:5], v[0:1], v[8:9] op_sel:[0,0,1] op_sel_hi:[1,0,0]
	v_mov_b32_e32 v11, v5
	v_pk_mul_f32 v[4:5], v[6:7], v[2:3] op_sel:[0,1]
	s_delay_alu instid0(VALU_DEP_1) | instskip(SKIP_1) | instid1(VALU_DEP_1)
	v_pk_fma_f32 v[8:9], v[6:7], v[0:1], v[4:5] op_sel:[0,0,1] op_sel_hi:[1,1,0] neg_lo:[0,0,1] neg_hi:[0,0,1]
	v_pk_fma_f32 v[4:5], v[6:7], v[0:1], v[4:5] op_sel:[0,0,1] op_sel_hi:[1,0,0]
	v_mov_b32_e32 v9, v5
	ds_load_2addr_b64 v[4:7], v202 offset0:29 offset1:30
	v_pk_add_f32 v[108:109], v[108:109], v[10:11] neg_lo:[0,1] neg_hi:[0,1]
	v_pk_add_f32 v[130:131], v[130:131], v[8:9] neg_lo:[0,1] neg_hi:[0,1]
	s_wait_dscnt 0x0
	v_dual_mul_f32 v8, v5, v3 :: v_dual_mul_f32 v10, v5, v0
	s_delay_alu instid0(VALU_DEP_1) | instskip(NEXT) | instid1(VALU_DEP_2)
	v_pk_fma_f32 v[8:9], v[4:5], v[54:55], v[8:9] op_sel_hi:[1,1,0] neg_lo:[0,0,1] neg_hi:[0,0,1]
	v_pk_fma_f32 v[4:5], v[4:5], v[54:55], v[10:11] op_sel:[1,0,0] op_sel_hi:[0,1,0]
	s_delay_alu instid0(VALU_DEP_1) | instskip(SKIP_1) | instid1(VALU_DEP_2)
	v_mov_b32_e32 v9, v5
	v_pk_mul_f32 v[4:5], v[6:7], v[2:3] op_sel:[0,1]
	v_pk_add_f32 v[126:127], v[126:127], v[8:9] neg_lo:[0,1] neg_hi:[0,1]
	s_delay_alu instid0(VALU_DEP_2) | instskip(SKIP_1) | instid1(VALU_DEP_1)
	v_pk_fma_f32 v[8:9], v[6:7], v[0:1], v[4:5] op_sel:[0,0,1] op_sel_hi:[1,1,0] neg_lo:[0,0,1] neg_hi:[0,0,1]
	v_pk_fma_f32 v[4:5], v[6:7], v[0:1], v[4:5] op_sel:[0,0,1] op_sel_hi:[1,0,0]
	v_mov_b32_e32 v9, v5
	ds_load_2addr_b64 v[4:7], v202 offset0:31 offset1:32
	v_pk_add_f32 v[128:129], v[128:129], v[8:9] neg_lo:[0,1] neg_hi:[0,1]
	s_wait_dscnt 0x0
	v_pk_mul_f32 v[8:9], v[4:5], v[2:3] op_sel:[0,1]
	s_delay_alu instid0(VALU_DEP_1) | instskip(SKIP_1) | instid1(VALU_DEP_1)
	v_pk_fma_f32 v[10:11], v[4:5], v[0:1], v[8:9] op_sel:[0,0,1] op_sel_hi:[1,1,0] neg_lo:[0,0,1] neg_hi:[0,0,1]
	v_pk_fma_f32 v[4:5], v[4:5], v[0:1], v[8:9] op_sel:[0,0,1] op_sel_hi:[1,0,0]
	v_mov_b32_e32 v11, v5
	v_pk_mul_f32 v[4:5], v[6:7], v[2:3] op_sel:[0,1]
	s_delay_alu instid0(VALU_DEP_2) | instskip(NEXT) | instid1(VALU_DEP_2)
	v_pk_add_f32 v[124:125], v[124:125], v[10:11] neg_lo:[0,1] neg_hi:[0,1]
	v_pk_fma_f32 v[8:9], v[6:7], v[0:1], v[4:5] op_sel:[0,0,1] op_sel_hi:[1,1,0] neg_lo:[0,0,1] neg_hi:[0,0,1]
	v_pk_fma_f32 v[4:5], v[6:7], v[0:1], v[4:5] op_sel:[0,0,1] op_sel_hi:[1,0,0]
	s_delay_alu instid0(VALU_DEP_1) | instskip(SKIP_4) | instid1(VALU_DEP_1)
	v_mov_b32_e32 v9, v5
	ds_load_2addr_b64 v[4:7], v202 offset0:33 offset1:34
	v_pk_add_f32 v[146:147], v[146:147], v[8:9] neg_lo:[0,1] neg_hi:[0,1]
	s_wait_dscnt 0x0
	v_pk_mul_f32 v[8:9], v[4:5], v[2:3] op_sel:[0,1]
	v_pk_fma_f32 v[10:11], v[4:5], v[0:1], v[8:9] op_sel:[0,0,1] op_sel_hi:[1,1,0] neg_lo:[0,0,1] neg_hi:[0,0,1]
	v_pk_fma_f32 v[4:5], v[4:5], v[0:1], v[8:9] op_sel:[0,0,1] op_sel_hi:[1,0,0]
	v_dual_mul_f32 v8, v7, v3 :: v_dual_mov_b32 v4, v7
	s_delay_alu instid0(VALU_DEP_2) | instskip(NEXT) | instid1(VALU_DEP_2)
	v_dual_mov_b32 v11, v5 :: v_dual_mov_b32 v5, v6
	v_pk_fma_f32 v[8:9], v[6:7], v[54:55], v[8:9] op_sel_hi:[1,1,0] neg_lo:[0,0,1] neg_hi:[0,0,1]
	v_mul_f32_e32 v6, v7, v0
	s_delay_alu instid0(VALU_DEP_3) | instskip(NEXT) | instid1(VALU_DEP_2)
	v_pk_add_f32 v[142:143], v[142:143], v[10:11] neg_lo:[0,1] neg_hi:[0,1]
	v_pk_fma_f32 v[4:5], v[4:5], v[54:55], v[6:7] op_sel_hi:[1,1,0]
	s_delay_alu instid0(VALU_DEP_1) | instskip(SKIP_4) | instid1(VALU_DEP_1)
	v_mov_b32_e32 v9, v5
	ds_load_2addr_b64 v[4:7], v202 offset0:35 offset1:36
	v_pk_add_f32 v[144:145], v[144:145], v[8:9] neg_lo:[0,1] neg_hi:[0,1]
	s_wait_dscnt 0x0
	v_pk_mul_f32 v[8:9], v[4:5], v[2:3] op_sel:[0,1]
	v_pk_fma_f32 v[10:11], v[4:5], v[0:1], v[8:9] op_sel:[0,0,1] op_sel_hi:[1,1,0] neg_lo:[0,0,1] neg_hi:[0,0,1]
	v_pk_fma_f32 v[4:5], v[4:5], v[0:1], v[8:9] op_sel:[0,0,1] op_sel_hi:[1,0,0]
	s_delay_alu instid0(VALU_DEP_1) | instskip(SKIP_1) | instid1(VALU_DEP_1)
	v_mov_b32_e32 v11, v5
	v_pk_mul_f32 v[4:5], v[6:7], v[2:3] op_sel:[0,1]
	v_pk_fma_f32 v[8:9], v[6:7], v[0:1], v[4:5] op_sel:[0,0,1] op_sel_hi:[1,1,0] neg_lo:[0,0,1] neg_hi:[0,0,1]
	v_pk_fma_f32 v[4:5], v[6:7], v[0:1], v[4:5] op_sel:[0,0,1] op_sel_hi:[1,0,0]
	s_delay_alu instid0(VALU_DEP_1)
	v_mov_b32_e32 v9, v5
	ds_load_2addr_b64 v[4:7], v202 offset0:37 offset1:38
	v_pk_add_f32 v[140:141], v[140:141], v[10:11] neg_lo:[0,1] neg_hi:[0,1]
	v_pk_add_f32 v[162:163], v[162:163], v[8:9] neg_lo:[0,1] neg_hi:[0,1]
	s_wait_dscnt 0x0
	v_pk_mul_f32 v[8:9], v[4:5], v[2:3] op_sel:[0,1]
	s_delay_alu instid0(VALU_DEP_1) | instskip(SKIP_1) | instid1(VALU_DEP_1)
	v_pk_fma_f32 v[10:11], v[4:5], v[0:1], v[8:9] op_sel:[0,0,1] op_sel_hi:[1,1,0] neg_lo:[0,0,1] neg_hi:[0,0,1]
	v_pk_fma_f32 v[4:5], v[4:5], v[0:1], v[8:9] op_sel:[0,0,1] op_sel_hi:[1,0,0]
	v_mov_b32_e32 v11, v5
	v_pk_mul_f32 v[4:5], v[6:7], v[2:3] op_sel:[0,1]
	s_delay_alu instid0(VALU_DEP_1) | instskip(SKIP_1) | instid1(VALU_DEP_1)
	v_pk_fma_f32 v[8:9], v[6:7], v[0:1], v[4:5] op_sel:[0,0,1] op_sel_hi:[1,1,0] neg_lo:[0,0,1] neg_hi:[0,0,1]
	v_pk_fma_f32 v[4:5], v[6:7], v[0:1], v[4:5] op_sel:[0,0,1] op_sel_hi:[1,0,0]
	v_mov_b32_e32 v9, v5
	ds_load_2addr_b64 v[4:7], v202 offset0:39 offset1:40
	v_pk_add_f32 v[158:159], v[158:159], v[10:11] neg_lo:[0,1] neg_hi:[0,1]
	v_pk_add_f32 v[160:161], v[160:161], v[8:9] neg_lo:[0,1] neg_hi:[0,1]
	s_wait_dscnt 0x0
	v_dual_mul_f32 v8, v5, v3 :: v_dual_mul_f32 v10, v5, v0
	s_delay_alu instid0(VALU_DEP_1) | instskip(NEXT) | instid1(VALU_DEP_2)
	v_pk_fma_f32 v[8:9], v[4:5], v[54:55], v[8:9] op_sel_hi:[1,1,0] neg_lo:[0,0,1] neg_hi:[0,0,1]
	v_pk_fma_f32 v[4:5], v[4:5], v[54:55], v[10:11] op_sel:[1,0,0] op_sel_hi:[0,1,0]
	s_delay_alu instid0(VALU_DEP_1) | instskip(SKIP_1) | instid1(VALU_DEP_2)
	v_mov_b32_e32 v9, v5
	v_pk_mul_f32 v[4:5], v[6:7], v[2:3] op_sel:[0,1]
	v_pk_add_f32 v[156:157], v[156:157], v[8:9] neg_lo:[0,1] neg_hi:[0,1]
	s_delay_alu instid0(VALU_DEP_2) | instskip(SKIP_1) | instid1(VALU_DEP_1)
	v_pk_fma_f32 v[8:9], v[6:7], v[0:1], v[4:5] op_sel:[0,0,1] op_sel_hi:[1,1,0] neg_lo:[0,0,1] neg_hi:[0,0,1]
	v_pk_fma_f32 v[4:5], v[6:7], v[0:1], v[4:5] op_sel:[0,0,1] op_sel_hi:[1,0,0]
	v_mov_b32_e32 v9, v5
	ds_load_2addr_b64 v[4:7], v202 offset0:41 offset1:42
	v_pk_add_f32 v[178:179], v[178:179], v[8:9] neg_lo:[0,1] neg_hi:[0,1]
	s_wait_dscnt 0x0
	v_pk_mul_f32 v[8:9], v[4:5], v[2:3] op_sel:[0,1]
	s_delay_alu instid0(VALU_DEP_1) | instskip(SKIP_1) | instid1(VALU_DEP_1)
	v_pk_fma_f32 v[10:11], v[4:5], v[0:1], v[8:9] op_sel:[0,0,1] op_sel_hi:[1,1,0] neg_lo:[0,0,1] neg_hi:[0,0,1]
	v_pk_fma_f32 v[4:5], v[4:5], v[0:1], v[8:9] op_sel:[0,0,1] op_sel_hi:[1,0,0]
	v_mov_b32_e32 v11, v5
	v_pk_mul_f32 v[4:5], v[6:7], v[2:3] op_sel:[0,1]
	s_delay_alu instid0(VALU_DEP_2) | instskip(NEXT) | instid1(VALU_DEP_2)
	v_pk_add_f32 v[174:175], v[174:175], v[10:11] neg_lo:[0,1] neg_hi:[0,1]
	v_pk_fma_f32 v[8:9], v[6:7], v[0:1], v[4:5] op_sel:[0,0,1] op_sel_hi:[1,1,0] neg_lo:[0,0,1] neg_hi:[0,0,1]
	v_pk_fma_f32 v[4:5], v[6:7], v[0:1], v[4:5] op_sel:[0,0,1] op_sel_hi:[1,0,0]
	s_delay_alu instid0(VALU_DEP_1) | instskip(SKIP_4) | instid1(VALU_DEP_1)
	v_mov_b32_e32 v9, v5
	ds_load_2addr_b64 v[4:7], v202 offset0:43 offset1:44
	v_pk_add_f32 v[176:177], v[176:177], v[8:9] neg_lo:[0,1] neg_hi:[0,1]
	s_wait_dscnt 0x0
	v_pk_mul_f32 v[8:9], v[4:5], v[2:3] op_sel:[0,1]
	v_pk_fma_f32 v[10:11], v[4:5], v[0:1], v[8:9] op_sel:[0,0,1] op_sel_hi:[1,1,0] neg_lo:[0,0,1] neg_hi:[0,0,1]
	v_pk_fma_f32 v[4:5], v[4:5], v[0:1], v[8:9] op_sel:[0,0,1] op_sel_hi:[1,0,0]
	v_dual_mul_f32 v8, v7, v3 :: v_dual_mov_b32 v4, v7
	s_delay_alu instid0(VALU_DEP_2) | instskip(NEXT) | instid1(VALU_DEP_2)
	v_dual_mov_b32 v11, v5 :: v_dual_mov_b32 v5, v6
	v_pk_fma_f32 v[8:9], v[6:7], v[54:55], v[8:9] op_sel_hi:[1,1,0] neg_lo:[0,0,1] neg_hi:[0,0,1]
	v_mul_f32_e32 v6, v7, v0
	s_delay_alu instid0(VALU_DEP_3) | instskip(NEXT) | instid1(VALU_DEP_2)
	v_pk_add_f32 v[172:173], v[172:173], v[10:11] neg_lo:[0,1] neg_hi:[0,1]
	v_pk_fma_f32 v[4:5], v[4:5], v[54:55], v[6:7] op_sel_hi:[1,1,0]
	s_delay_alu instid0(VALU_DEP_1) | instskip(SKIP_4) | instid1(VALU_DEP_1)
	v_mov_b32_e32 v9, v5
	ds_load_2addr_b64 v[4:7], v202 offset0:45 offset1:46
	v_pk_add_f32 v[194:195], v[194:195], v[8:9] neg_lo:[0,1] neg_hi:[0,1]
	s_wait_dscnt 0x0
	v_pk_mul_f32 v[8:9], v[4:5], v[2:3] op_sel:[0,1]
	v_pk_fma_f32 v[10:11], v[4:5], v[0:1], v[8:9] op_sel:[0,0,1] op_sel_hi:[1,1,0] neg_lo:[0,0,1] neg_hi:[0,0,1]
	v_pk_fma_f32 v[4:5], v[4:5], v[0:1], v[8:9] op_sel:[0,0,1] op_sel_hi:[1,0,0]
	s_delay_alu instid0(VALU_DEP_1) | instskip(SKIP_1) | instid1(VALU_DEP_1)
	v_mov_b32_e32 v11, v5
	v_pk_mul_f32 v[4:5], v[6:7], v[2:3] op_sel:[0,1]
	v_pk_fma_f32 v[8:9], v[6:7], v[0:1], v[4:5] op_sel:[0,0,1] op_sel_hi:[1,1,0] neg_lo:[0,0,1] neg_hi:[0,0,1]
	v_pk_fma_f32 v[4:5], v[6:7], v[0:1], v[4:5] op_sel:[0,0,1] op_sel_hi:[1,0,0]
	s_delay_alu instid0(VALU_DEP_1)
	v_mov_b32_e32 v9, v5
	ds_load_2addr_b64 v[4:7], v202 offset0:47 offset1:48
	v_pk_add_f32 v[190:191], v[190:191], v[10:11] neg_lo:[0,1] neg_hi:[0,1]
	v_pk_add_f32 v[192:193], v[192:193], v[8:9] neg_lo:[0,1] neg_hi:[0,1]
	s_wait_dscnt 0x0
	v_pk_mul_f32 v[8:9], v[4:5], v[2:3] op_sel:[0,1]
	s_delay_alu instid0(VALU_DEP_1) | instskip(SKIP_1) | instid1(VALU_DEP_1)
	v_pk_fma_f32 v[10:11], v[4:5], v[0:1], v[8:9] op_sel:[0,0,1] op_sel_hi:[1,1,0] neg_lo:[0,0,1] neg_hi:[0,0,1]
	v_pk_fma_f32 v[4:5], v[4:5], v[0:1], v[8:9] op_sel:[0,0,1] op_sel_hi:[1,0,0]
	v_mov_b32_e32 v11, v5
	v_pk_mul_f32 v[4:5], v[6:7], v[2:3] op_sel:[0,1]
	s_delay_alu instid0(VALU_DEP_1) | instskip(SKIP_1) | instid1(VALU_DEP_1)
	v_pk_fma_f32 v[8:9], v[6:7], v[0:1], v[4:5] op_sel:[0,0,1] op_sel_hi:[1,1,0] neg_lo:[0,0,1] neg_hi:[0,0,1]
	v_pk_fma_f32 v[4:5], v[6:7], v[0:1], v[4:5] op_sel:[0,0,1] op_sel_hi:[1,0,0]
	v_mov_b32_e32 v9, v5
	ds_load_2addr_b64 v[4:7], v202 offset0:49 offset1:50
	v_pk_add_f32 v[188:189], v[188:189], v[10:11] neg_lo:[0,1] neg_hi:[0,1]
	v_pk_add_f32 v[212:213], v[212:213], v[8:9] neg_lo:[0,1] neg_hi:[0,1]
	s_wait_dscnt 0x0
	v_dual_mul_f32 v8, v5, v3 :: v_dual_mul_f32 v10, v5, v0
	s_delay_alu instid0(VALU_DEP_1) | instskip(NEXT) | instid1(VALU_DEP_2)
	v_pk_fma_f32 v[8:9], v[4:5], v[54:55], v[8:9] op_sel_hi:[1,1,0] neg_lo:[0,0,1] neg_hi:[0,0,1]
	v_pk_fma_f32 v[4:5], v[4:5], v[54:55], v[10:11] op_sel:[1,0,0] op_sel_hi:[0,1,0]
	s_delay_alu instid0(VALU_DEP_1) | instskip(SKIP_1) | instid1(VALU_DEP_2)
	v_mov_b32_e32 v9, v5
	v_pk_mul_f32 v[4:5], v[6:7], v[2:3] op_sel:[0,1]
	v_pk_add_f32 v[208:209], v[208:209], v[8:9] neg_lo:[0,1] neg_hi:[0,1]
	s_delay_alu instid0(VALU_DEP_2) | instskip(SKIP_1) | instid1(VALU_DEP_1)
	v_pk_fma_f32 v[8:9], v[6:7], v[0:1], v[4:5] op_sel:[0,0,1] op_sel_hi:[1,1,0] neg_lo:[0,0,1] neg_hi:[0,0,1]
	v_pk_fma_f32 v[4:5], v[6:7], v[0:1], v[4:5] op_sel:[0,0,1] op_sel_hi:[1,0,0]
	v_mov_b32_e32 v9, v5
	ds_load_2addr_b64 v[4:7], v202 offset0:51 offset1:52
	v_pk_add_f32 v[210:211], v[210:211], v[8:9] neg_lo:[0,1] neg_hi:[0,1]
	s_wait_dscnt 0x0
	v_pk_mul_f32 v[8:9], v[4:5], v[2:3] op_sel:[0,1]
	s_delay_alu instid0(VALU_DEP_1) | instskip(SKIP_1) | instid1(VALU_DEP_1)
	v_pk_fma_f32 v[10:11], v[4:5], v[0:1], v[8:9] op_sel:[0,0,1] op_sel_hi:[1,1,0] neg_lo:[0,0,1] neg_hi:[0,0,1]
	v_pk_fma_f32 v[4:5], v[4:5], v[0:1], v[8:9] op_sel:[0,0,1] op_sel_hi:[1,0,0]
	v_mov_b32_e32 v11, v5
	v_pk_mul_f32 v[4:5], v[6:7], v[2:3] op_sel:[0,1]
	s_delay_alu instid0(VALU_DEP_2) | instskip(NEXT) | instid1(VALU_DEP_2)
	v_pk_add_f32 v[206:207], v[206:207], v[10:11] neg_lo:[0,1] neg_hi:[0,1]
	v_pk_fma_f32 v[8:9], v[6:7], v[0:1], v[4:5] op_sel:[0,0,1] op_sel_hi:[1,1,0] neg_lo:[0,0,1] neg_hi:[0,0,1]
	v_pk_fma_f32 v[4:5], v[6:7], v[0:1], v[4:5] op_sel:[0,0,1] op_sel_hi:[1,0,0]
	s_delay_alu instid0(VALU_DEP_1) | instskip(SKIP_4) | instid1(VALU_DEP_1)
	v_mov_b32_e32 v9, v5
	ds_load_2addr_b64 v[4:7], v202 offset0:53 offset1:54
	v_pk_add_f32 v[232:233], v[232:233], v[8:9] neg_lo:[0,1] neg_hi:[0,1]
	s_wait_dscnt 0x0
	v_pk_mul_f32 v[8:9], v[4:5], v[2:3] op_sel:[0,1]
	v_pk_fma_f32 v[10:11], v[4:5], v[0:1], v[8:9] op_sel:[0,0,1] op_sel_hi:[1,1,0] neg_lo:[0,0,1] neg_hi:[0,0,1]
	v_pk_fma_f32 v[4:5], v[4:5], v[0:1], v[8:9] op_sel:[0,0,1] op_sel_hi:[1,0,0]
	v_dual_mul_f32 v8, v7, v3 :: v_dual_mov_b32 v4, v7
	s_delay_alu instid0(VALU_DEP_2) | instskip(NEXT) | instid1(VALU_DEP_2)
	v_dual_mov_b32 v11, v5 :: v_dual_mov_b32 v5, v6
	v_pk_fma_f32 v[8:9], v[6:7], v[54:55], v[8:9] op_sel_hi:[1,1,0] neg_lo:[0,0,1] neg_hi:[0,0,1]
	v_mul_f32_e32 v6, v7, v0
	s_delay_alu instid0(VALU_DEP_3) | instskip(NEXT) | instid1(VALU_DEP_2)
	v_pk_add_f32 v[226:227], v[226:227], v[10:11] neg_lo:[0,1] neg_hi:[0,1]
	v_pk_fma_f32 v[4:5], v[4:5], v[54:55], v[6:7] op_sel_hi:[1,1,0]
	s_delay_alu instid0(VALU_DEP_1) | instskip(SKIP_4) | instid1(VALU_DEP_1)
	v_mov_b32_e32 v9, v5
	ds_load_2addr_b64 v[4:7], v202 offset0:55 offset1:56
	v_pk_add_f32 v[230:231], v[230:231], v[8:9] neg_lo:[0,1] neg_hi:[0,1]
	s_wait_dscnt 0x0
	v_pk_mul_f32 v[8:9], v[4:5], v[2:3] op_sel:[0,1]
	v_pk_fma_f32 v[10:11], v[4:5], v[0:1], v[8:9] op_sel:[0,0,1] op_sel_hi:[1,1,0] neg_lo:[0,0,1] neg_hi:[0,0,1]
	v_pk_fma_f32 v[4:5], v[4:5], v[0:1], v[8:9] op_sel:[0,0,1] op_sel_hi:[1,0,0]
	s_delay_alu instid0(VALU_DEP_1) | instskip(SKIP_1) | instid1(VALU_DEP_1)
	v_mov_b32_e32 v11, v5
	v_pk_mul_f32 v[4:5], v[6:7], v[2:3] op_sel:[0,1]
	v_pk_fma_f32 v[8:9], v[6:7], v[0:1], v[4:5] op_sel:[0,0,1] op_sel_hi:[1,1,0] neg_lo:[0,0,1] neg_hi:[0,0,1]
	v_pk_fma_f32 v[4:5], v[6:7], v[0:1], v[4:5] op_sel:[0,0,1] op_sel_hi:[1,0,0]
	s_delay_alu instid0(VALU_DEP_1)
	v_mov_b32_e32 v9, v5
	ds_load_2addr_b64 v[4:7], v202 offset0:57 offset1:58
	v_pk_add_f32 v[224:225], v[224:225], v[10:11] neg_lo:[0,1] neg_hi:[0,1]
	v_pk_add_f32 v[228:229], v[228:229], v[8:9] neg_lo:[0,1] neg_hi:[0,1]
	s_wait_dscnt 0x0
	v_pk_mul_f32 v[8:9], v[4:5], v[2:3] op_sel:[0,1]
	v_pk_mul_f32 v[2:3], v[6:7], v[2:3] op_sel:[0,1]
	s_delay_alu instid0(VALU_DEP_2) | instskip(SKIP_1) | instid1(VALU_DEP_1)
	v_pk_fma_f32 v[10:11], v[4:5], v[0:1], v[8:9] op_sel:[0,0,1] op_sel_hi:[1,1,0] neg_lo:[0,0,1] neg_hi:[0,0,1]
	v_pk_fma_f32 v[4:5], v[4:5], v[0:1], v[8:9] op_sel:[0,0,1] op_sel_hi:[1,0,0]
	v_mov_b32_e32 v11, v5
	s_delay_alu instid0(VALU_DEP_4) | instskip(SKIP_1) | instid1(VALU_DEP_1)
	v_pk_fma_f32 v[4:5], v[6:7], v[0:1], v[2:3] op_sel:[0,0,1] op_sel_hi:[1,1,0] neg_lo:[0,0,1] neg_hi:[0,0,1]
	v_pk_fma_f32 v[0:1], v[6:7], v[0:1], v[2:3] op_sel:[0,0,1] op_sel_hi:[1,0,0]
	v_mov_b32_e32 v5, v1
	s_delay_alu instid0(VALU_DEP_4) | instskip(NEXT) | instid1(VALU_DEP_2)
	v_pk_add_f32 v[234:235], v[234:235], v[10:11] neg_lo:[0,1] neg_hi:[0,1]
	v_pk_add_f32 v[236:237], v[236:237], v[4:5] neg_lo:[0,1] neg_hi:[0,1]
.LBB117_10:
	s_wait_xcnt 0x0
	s_or_b32 exec_lo, exec_lo, s2
	s_delay_alu instid0(SALU_CYCLE_1)
	s_mov_b32 s2, exec_lo
	s_wait_storecnt 0x0
	s_barrier_signal -1
	s_barrier_wait -1
	v_cmpx_eq_u32_e32 1, v200
	s_cbranch_execz .LBB117_17
; %bb.11:
	v_dual_mov_b32 v0, v46 :: v_dual_mov_b32 v1, v47
	v_dual_mov_b32 v2, v44 :: v_dual_mov_b32 v3, v45
	ds_store_b64 v201, v[56:57]
	ds_store_2addr_b64 v202, v[0:1], v[2:3] offset0:2 offset1:3
	v_dual_mov_b32 v0, v26 :: v_dual_mov_b32 v1, v27
	v_dual_mov_b32 v2, v22 :: v_dual_mov_b32 v3, v23
	ds_store_2addr_b64 v202, v[0:1], v[2:3] offset0:4 offset1:5
	v_dual_mov_b32 v0, v24 :: v_dual_mov_b32 v1, v25
	v_dual_mov_b32 v2, v20 :: v_dual_mov_b32 v3, v21
	;; [unrolled: 3-line block ×27, first 2 shown]
	ds_store_2addr_b64 v202, v[0:1], v[2:3] offset0:56 offset1:57
	ds_store_b64 v202, v[236:237] offset:464
	ds_load_b64 v[0:1], v201
	s_wait_dscnt 0x0
	v_cmp_neq_f32_e32 vcc_lo, 0, v0
	v_cmp_neq_f32_e64 s1, 0, v1
	s_or_b32 s1, vcc_lo, s1
	s_delay_alu instid0(SALU_CYCLE_1)
	s_and_b32 exec_lo, exec_lo, s1
	s_cbranch_execz .LBB117_17
; %bb.12:
	v_cmp_ngt_f32_e64 s1, |v0|, |v1|
                                        ; implicit-def: $vgpr2_vgpr3
	s_and_saveexec_b32 s4, s1
	s_delay_alu instid0(SALU_CYCLE_1)
	s_xor_b32 s1, exec_lo, s4
	s_cbranch_execz .LBB117_14
; %bb.13:
	v_div_scale_f32 v2, null, v1, v1, v0
	v_div_scale_f32 v5, vcc_lo, v0, v1, v0
	s_delay_alu instid0(VALU_DEP_2) | instskip(SKIP_1) | instid1(TRANS32_DEP_1)
	v_rcp_f32_e32 v3, v2
	v_nop
	v_fma_f32 v4, -v2, v3, 1.0
	s_delay_alu instid0(VALU_DEP_1) | instskip(NEXT) | instid1(VALU_DEP_1)
	v_fmac_f32_e32 v3, v4, v3
	v_mul_f32_e32 v4, v5, v3
	s_delay_alu instid0(VALU_DEP_1) | instskip(NEXT) | instid1(VALU_DEP_1)
	v_fma_f32 v6, -v2, v4, v5
	v_fmac_f32_e32 v4, v6, v3
	s_delay_alu instid0(VALU_DEP_1) | instskip(NEXT) | instid1(VALU_DEP_1)
	v_fma_f32 v2, -v2, v4, v5
	v_div_fmas_f32 v2, v2, v3, v4
	s_delay_alu instid0(VALU_DEP_1) | instskip(NEXT) | instid1(VALU_DEP_1)
	v_div_fixup_f32 v2, v2, v1, v0
	v_fmac_f32_e32 v1, v0, v2
	s_delay_alu instid0(VALU_DEP_1) | instskip(SKIP_1) | instid1(VALU_DEP_2)
	v_div_scale_f32 v0, null, v1, v1, 1.0
	v_div_scale_f32 v5, vcc_lo, 1.0, v1, 1.0
	v_rcp_f32_e32 v3, v0
	v_nop
	s_delay_alu instid0(TRANS32_DEP_1) | instskip(NEXT) | instid1(VALU_DEP_1)
	v_fma_f32 v4, -v0, v3, 1.0
	v_fmac_f32_e32 v3, v4, v3
	s_delay_alu instid0(VALU_DEP_1) | instskip(NEXT) | instid1(VALU_DEP_1)
	v_mul_f32_e32 v4, v5, v3
	v_fma_f32 v6, -v0, v4, v5
	s_delay_alu instid0(VALU_DEP_1) | instskip(NEXT) | instid1(VALU_DEP_1)
	v_fmac_f32_e32 v4, v6, v3
	v_fma_f32 v0, -v0, v4, v5
	s_delay_alu instid0(VALU_DEP_1) | instskip(NEXT) | instid1(VALU_DEP_1)
	v_div_fmas_f32 v0, v0, v3, v4
	v_div_fixup_f32 v0, v0, v1, 1.0
	s_delay_alu instid0(VALU_DEP_1)
	v_mul_f32_e32 v2, v2, v0
	v_xor_b32_e32 v3, 0x80000000, v0
                                        ; implicit-def: $vgpr0_vgpr1
.LBB117_14:
	s_and_not1_saveexec_b32 s1, s1
	s_cbranch_execz .LBB117_16
; %bb.15:
	v_div_scale_f32 v2, null, v0, v0, v1
	v_div_scale_f32 v5, vcc_lo, v1, v0, v1
	s_delay_alu instid0(VALU_DEP_2) | instskip(SKIP_1) | instid1(TRANS32_DEP_1)
	v_rcp_f32_e32 v3, v2
	v_nop
	v_fma_f32 v4, -v2, v3, 1.0
	s_delay_alu instid0(VALU_DEP_1) | instskip(NEXT) | instid1(VALU_DEP_1)
	v_fmac_f32_e32 v3, v4, v3
	v_mul_f32_e32 v4, v5, v3
	s_delay_alu instid0(VALU_DEP_1) | instskip(NEXT) | instid1(VALU_DEP_1)
	v_fma_f32 v6, -v2, v4, v5
	v_fmac_f32_e32 v4, v6, v3
	s_delay_alu instid0(VALU_DEP_1) | instskip(NEXT) | instid1(VALU_DEP_1)
	v_fma_f32 v2, -v2, v4, v5
	v_div_fmas_f32 v2, v2, v3, v4
	s_delay_alu instid0(VALU_DEP_1) | instskip(NEXT) | instid1(VALU_DEP_1)
	v_div_fixup_f32 v3, v2, v0, v1
	v_fmac_f32_e32 v0, v1, v3
	s_delay_alu instid0(VALU_DEP_1) | instskip(NEXT) | instid1(VALU_DEP_1)
	v_div_scale_f32 v1, null, v0, v0, 1.0
	v_rcp_f32_e32 v2, v1
	v_nop
	s_delay_alu instid0(TRANS32_DEP_1) | instskip(NEXT) | instid1(VALU_DEP_1)
	v_fma_f32 v4, -v1, v2, 1.0
	v_fmac_f32_e32 v2, v4, v2
	v_div_scale_f32 v4, vcc_lo, 1.0, v0, 1.0
	s_delay_alu instid0(VALU_DEP_1) | instskip(NEXT) | instid1(VALU_DEP_1)
	v_mul_f32_e32 v5, v4, v2
	v_fma_f32 v6, -v1, v5, v4
	s_delay_alu instid0(VALU_DEP_1) | instskip(NEXT) | instid1(VALU_DEP_1)
	v_fmac_f32_e32 v5, v6, v2
	v_fma_f32 v1, -v1, v5, v4
	s_delay_alu instid0(VALU_DEP_1) | instskip(NEXT) | instid1(VALU_DEP_1)
	v_div_fmas_f32 v1, v1, v2, v5
	v_div_fixup_f32 v2, v1, v0, 1.0
	s_delay_alu instid0(VALU_DEP_1)
	v_mul_f32_e64 v3, v3, -v2
.LBB117_16:
	s_or_b32 exec_lo, exec_lo, s1
	ds_store_b64 v201, v[2:3]
.LBB117_17:
	s_or_b32 exec_lo, exec_lo, s2
	s_wait_dscnt 0x0
	s_barrier_signal -1
	s_barrier_wait -1
	ds_load_b64 v[0:1], v201
	s_mov_b32 s1, exec_lo
	s_wait_dscnt 0x0
	scratch_store_b64 off, v[0:1], off offset:376 ; 8-byte Folded Spill
	s_wait_xcnt 0x0
	v_cmpx_lt_u32_e32 1, v200
	s_cbranch_execz .LBB117_19
; %bb.18:
	scratch_load_b64 v[4:5], off, off offset:376 ; 8-byte Folded Reload
	s_wait_loadcnt 0x0
	v_pk_mul_f32 v[2:3], v[4:5], v[56:57] op_sel:[1,1] op_sel_hi:[0,1]
	s_delay_alu instid0(VALU_DEP_1)
	v_pk_fma_f32 v[0:1], v[4:5], v[56:57], v[2:3] op_sel_hi:[1,0,1] neg_lo:[0,0,1] neg_hi:[0,0,1]
	v_pk_fma_f32 v[2:3], v[4:5], v[56:57], v[2:3] op_sel_hi:[1,0,1]
	ds_load_2addr_b64 v[4:7], v202 offset0:2 offset1:3
	v_dual_mov_b32 v56, v0 :: v_dual_mov_b32 v57, v3
	s_wait_dscnt 0x0
	v_pk_mul_f32 v[8:9], v[4:5], v[2:3] op_sel:[0,1]
	s_delay_alu instid0(VALU_DEP_1) | instskip(SKIP_1) | instid1(VALU_DEP_1)
	v_pk_fma_f32 v[10:11], v[4:5], v[0:1], v[8:9] op_sel:[0,0,1] op_sel_hi:[1,1,0] neg_lo:[0,0,1] neg_hi:[0,0,1]
	v_pk_fma_f32 v[4:5], v[4:5], v[0:1], v[8:9] op_sel:[0,0,1] op_sel_hi:[1,0,0]
	v_mov_b32_e32 v11, v5
	v_pk_mul_f32 v[4:5], v[6:7], v[2:3] op_sel:[0,1]
	s_delay_alu instid0(VALU_DEP_1) | instskip(SKIP_1) | instid1(VALU_DEP_1)
	v_pk_fma_f32 v[8:9], v[6:7], v[0:1], v[4:5] op_sel:[0,0,1] op_sel_hi:[1,1,0] neg_lo:[0,0,1] neg_hi:[0,0,1]
	v_pk_fma_f32 v[4:5], v[6:7], v[0:1], v[4:5] op_sel:[0,0,1] op_sel_hi:[1,0,0]
	v_mov_b32_e32 v9, v5
	ds_load_2addr_b64 v[4:7], v202 offset0:4 offset1:5
	v_pk_add_f32 v[46:47], v[46:47], v[10:11] neg_lo:[0,1] neg_hi:[0,1]
	v_pk_add_f32 v[44:45], v[44:45], v[8:9] neg_lo:[0,1] neg_hi:[0,1]
	s_wait_dscnt 0x0
	v_pk_mul_f32 v[8:9], v[4:5], v[2:3] op_sel:[0,1]
	s_delay_alu instid0(VALU_DEP_1) | instskip(SKIP_2) | instid1(VALU_DEP_2)
	v_pk_fma_f32 v[10:11], v[4:5], v[0:1], v[8:9] op_sel:[0,0,1] op_sel_hi:[1,1,0] neg_lo:[0,0,1] neg_hi:[0,0,1]
	v_pk_fma_f32 v[4:5], v[4:5], v[0:1], v[8:9] op_sel:[0,0,1] op_sel_hi:[1,0,0]
	v_dual_mul_f32 v8, v7, v3 :: v_dual_mov_b32 v4, v7
	v_dual_mov_b32 v11, v5 :: v_dual_mov_b32 v5, v6
	s_delay_alu instid0(VALU_DEP_2) | instskip(SKIP_1) | instid1(VALU_DEP_3)
	v_pk_fma_f32 v[8:9], v[6:7], v[56:57], v[8:9] op_sel_hi:[1,1,0] neg_lo:[0,0,1] neg_hi:[0,0,1]
	v_mul_f32_e32 v6, v7, v0
	v_pk_add_f32 v[26:27], v[26:27], v[10:11] neg_lo:[0,1] neg_hi:[0,1]
	s_delay_alu instid0(VALU_DEP_2) | instskip(NEXT) | instid1(VALU_DEP_1)
	v_pk_fma_f32 v[4:5], v[4:5], v[56:57], v[6:7] op_sel_hi:[1,1,0]
	v_mov_b32_e32 v9, v5
	ds_load_2addr_b64 v[4:7], v202 offset0:6 offset1:7
	v_pk_add_f32 v[22:23], v[22:23], v[8:9] neg_lo:[0,1] neg_hi:[0,1]
	s_wait_dscnt 0x0
	v_pk_mul_f32 v[8:9], v[4:5], v[2:3] op_sel:[0,1]
	s_delay_alu instid0(VALU_DEP_1) | instskip(SKIP_1) | instid1(VALU_DEP_1)
	v_pk_fma_f32 v[10:11], v[4:5], v[0:1], v[8:9] op_sel:[0,0,1] op_sel_hi:[1,1,0] neg_lo:[0,0,1] neg_hi:[0,0,1]
	v_pk_fma_f32 v[4:5], v[4:5], v[0:1], v[8:9] op_sel:[0,0,1] op_sel_hi:[1,0,0]
	v_mov_b32_e32 v11, v5
	v_pk_mul_f32 v[4:5], v[6:7], v[2:3] op_sel:[0,1]
	s_delay_alu instid0(VALU_DEP_1) | instskip(SKIP_1) | instid1(VALU_DEP_1)
	v_pk_fma_f32 v[8:9], v[6:7], v[0:1], v[4:5] op_sel:[0,0,1] op_sel_hi:[1,1,0] neg_lo:[0,0,1] neg_hi:[0,0,1]
	v_pk_fma_f32 v[4:5], v[6:7], v[0:1], v[4:5] op_sel:[0,0,1] op_sel_hi:[1,0,0]
	v_mov_b32_e32 v9, v5
	ds_load_2addr_b64 v[4:7], v202 offset0:8 offset1:9
	v_pk_add_f32 v[24:25], v[24:25], v[10:11] neg_lo:[0,1] neg_hi:[0,1]
	v_pk_add_f32 v[20:21], v[20:21], v[8:9] neg_lo:[0,1] neg_hi:[0,1]
	s_wait_dscnt 0x0
	v_pk_mul_f32 v[8:9], v[4:5], v[2:3] op_sel:[0,1]
	s_delay_alu instid0(VALU_DEP_1) | instskip(SKIP_1) | instid1(VALU_DEP_1)
	v_pk_fma_f32 v[10:11], v[4:5], v[0:1], v[8:9] op_sel:[0,0,1] op_sel_hi:[1,1,0] neg_lo:[0,0,1] neg_hi:[0,0,1]
	v_pk_fma_f32 v[4:5], v[4:5], v[0:1], v[8:9] op_sel:[0,0,1] op_sel_hi:[1,0,0]
	v_mov_b32_e32 v11, v5
	v_pk_mul_f32 v[4:5], v[6:7], v[2:3] op_sel:[0,1]
	s_delay_alu instid0(VALU_DEP_1) | instskip(SKIP_1) | instid1(VALU_DEP_1)
	v_pk_fma_f32 v[8:9], v[6:7], v[0:1], v[4:5] op_sel:[0,0,1] op_sel_hi:[1,1,0] neg_lo:[0,0,1] neg_hi:[0,0,1]
	v_pk_fma_f32 v[4:5], v[6:7], v[0:1], v[4:5] op_sel:[0,0,1] op_sel_hi:[1,0,0]
	v_mov_b32_e32 v9, v5
	ds_load_2addr_b64 v[4:7], v202 offset0:10 offset1:11
	v_pk_add_f32 v[40:41], v[40:41], v[10:11] neg_lo:[0,1] neg_hi:[0,1]
	v_pk_add_f32 v[36:37], v[36:37], v[8:9] neg_lo:[0,1] neg_hi:[0,1]
	s_wait_dscnt 0x0
	v_dual_mul_f32 v8, v5, v3 :: v_dual_mul_f32 v10, v5, v0
	s_delay_alu instid0(VALU_DEP_1) | instskip(NEXT) | instid1(VALU_DEP_2)
	v_pk_fma_f32 v[8:9], v[4:5], v[56:57], v[8:9] op_sel_hi:[1,1,0] neg_lo:[0,0,1] neg_hi:[0,0,1]
	v_pk_fma_f32 v[4:5], v[4:5], v[56:57], v[10:11] op_sel:[1,0,0] op_sel_hi:[0,1,0]
	s_delay_alu instid0(VALU_DEP_1) | instskip(SKIP_1) | instid1(VALU_DEP_2)
	v_mov_b32_e32 v9, v5
	v_pk_mul_f32 v[4:5], v[6:7], v[2:3] op_sel:[0,1]
	v_pk_add_f32 v[38:39], v[38:39], v[8:9] neg_lo:[0,1] neg_hi:[0,1]
	s_delay_alu instid0(VALU_DEP_2) | instskip(SKIP_1) | instid1(VALU_DEP_1)
	v_pk_fma_f32 v[8:9], v[6:7], v[0:1], v[4:5] op_sel:[0,0,1] op_sel_hi:[1,1,0] neg_lo:[0,0,1] neg_hi:[0,0,1]
	v_pk_fma_f32 v[4:5], v[6:7], v[0:1], v[4:5] op_sel:[0,0,1] op_sel_hi:[1,0,0]
	v_mov_b32_e32 v9, v5
	ds_load_2addr_b64 v[4:7], v202 offset0:12 offset1:13
	v_pk_add_f32 v[34:35], v[34:35], v[8:9] neg_lo:[0,1] neg_hi:[0,1]
	s_wait_dscnt 0x0
	v_pk_mul_f32 v[8:9], v[4:5], v[2:3] op_sel:[0,1]
	s_delay_alu instid0(VALU_DEP_1) | instskip(SKIP_1) | instid1(VALU_DEP_1)
	v_pk_fma_f32 v[10:11], v[4:5], v[0:1], v[8:9] op_sel:[0,0,1] op_sel_hi:[1,1,0] neg_lo:[0,0,1] neg_hi:[0,0,1]
	v_pk_fma_f32 v[4:5], v[4:5], v[0:1], v[8:9] op_sel:[0,0,1] op_sel_hi:[1,0,0]
	v_mov_b32_e32 v11, v5
	v_pk_mul_f32 v[4:5], v[6:7], v[2:3] op_sel:[0,1]
	s_delay_alu instid0(VALU_DEP_2) | instskip(NEXT) | instid1(VALU_DEP_2)
	v_pk_add_f32 v[66:67], v[66:67], v[10:11] neg_lo:[0,1] neg_hi:[0,1]
	v_pk_fma_f32 v[8:9], v[6:7], v[0:1], v[4:5] op_sel:[0,0,1] op_sel_hi:[1,1,0] neg_lo:[0,0,1] neg_hi:[0,0,1]
	v_pk_fma_f32 v[4:5], v[6:7], v[0:1], v[4:5] op_sel:[0,0,1] op_sel_hi:[1,0,0]
	s_delay_alu instid0(VALU_DEP_1) | instskip(SKIP_4) | instid1(VALU_DEP_1)
	v_mov_b32_e32 v9, v5
	ds_load_2addr_b64 v[4:7], v202 offset0:14 offset1:15
	v_pk_add_f32 v[62:63], v[62:63], v[8:9] neg_lo:[0,1] neg_hi:[0,1]
	s_wait_dscnt 0x0
	v_pk_mul_f32 v[8:9], v[4:5], v[2:3] op_sel:[0,1]
	v_pk_fma_f32 v[10:11], v[4:5], v[0:1], v[8:9] op_sel:[0,0,1] op_sel_hi:[1,1,0] neg_lo:[0,0,1] neg_hi:[0,0,1]
	v_pk_fma_f32 v[4:5], v[4:5], v[0:1], v[8:9] op_sel:[0,0,1] op_sel_hi:[1,0,0]
	v_dual_mul_f32 v8, v7, v3 :: v_dual_mov_b32 v4, v7
	s_delay_alu instid0(VALU_DEP_2) | instskip(NEXT) | instid1(VALU_DEP_2)
	v_dual_mov_b32 v11, v5 :: v_dual_mov_b32 v5, v6
	v_pk_fma_f32 v[8:9], v[6:7], v[56:57], v[8:9] op_sel_hi:[1,1,0] neg_lo:[0,0,1] neg_hi:[0,0,1]
	v_mul_f32_e32 v6, v7, v0
	s_delay_alu instid0(VALU_DEP_3) | instskip(NEXT) | instid1(VALU_DEP_2)
	v_pk_add_f32 v[64:65], v[64:65], v[10:11] neg_lo:[0,1] neg_hi:[0,1]
	v_pk_fma_f32 v[4:5], v[4:5], v[56:57], v[6:7] op_sel_hi:[1,1,0]
	s_delay_alu instid0(VALU_DEP_1) | instskip(SKIP_4) | instid1(VALU_DEP_1)
	v_mov_b32_e32 v9, v5
	ds_load_2addr_b64 v[4:7], v202 offset0:16 offset1:17
	v_pk_add_f32 v[60:61], v[60:61], v[8:9] neg_lo:[0,1] neg_hi:[0,1]
	s_wait_dscnt 0x0
	v_pk_mul_f32 v[8:9], v[4:5], v[2:3] op_sel:[0,1]
	v_pk_fma_f32 v[10:11], v[4:5], v[0:1], v[8:9] op_sel:[0,0,1] op_sel_hi:[1,1,0] neg_lo:[0,0,1] neg_hi:[0,0,1]
	v_pk_fma_f32 v[4:5], v[4:5], v[0:1], v[8:9] op_sel:[0,0,1] op_sel_hi:[1,0,0]
	s_delay_alu instid0(VALU_DEP_1) | instskip(SKIP_1) | instid1(VALU_DEP_1)
	v_mov_b32_e32 v11, v5
	v_pk_mul_f32 v[4:5], v[6:7], v[2:3] op_sel:[0,1]
	v_pk_fma_f32 v[8:9], v[6:7], v[0:1], v[4:5] op_sel:[0,0,1] op_sel_hi:[1,1,0] neg_lo:[0,0,1] neg_hi:[0,0,1]
	v_pk_fma_f32 v[4:5], v[6:7], v[0:1], v[4:5] op_sel:[0,0,1] op_sel_hi:[1,0,0]
	s_delay_alu instid0(VALU_DEP_1)
	v_mov_b32_e32 v9, v5
	ds_load_2addr_b64 v[4:7], v202 offset0:18 offset1:19
	v_pk_add_f32 v[82:83], v[82:83], v[10:11] neg_lo:[0,1] neg_hi:[0,1]
	v_pk_add_f32 v[78:79], v[78:79], v[8:9] neg_lo:[0,1] neg_hi:[0,1]
	s_wait_dscnt 0x0
	v_pk_mul_f32 v[8:9], v[4:5], v[2:3] op_sel:[0,1]
	s_delay_alu instid0(VALU_DEP_1) | instskip(SKIP_1) | instid1(VALU_DEP_1)
	v_pk_fma_f32 v[10:11], v[4:5], v[0:1], v[8:9] op_sel:[0,0,1] op_sel_hi:[1,1,0] neg_lo:[0,0,1] neg_hi:[0,0,1]
	v_pk_fma_f32 v[4:5], v[4:5], v[0:1], v[8:9] op_sel:[0,0,1] op_sel_hi:[1,0,0]
	v_mov_b32_e32 v11, v5
	v_pk_mul_f32 v[4:5], v[6:7], v[2:3] op_sel:[0,1]
	s_delay_alu instid0(VALU_DEP_1) | instskip(SKIP_1) | instid1(VALU_DEP_1)
	v_pk_fma_f32 v[8:9], v[6:7], v[0:1], v[4:5] op_sel:[0,0,1] op_sel_hi:[1,1,0] neg_lo:[0,0,1] neg_hi:[0,0,1]
	v_pk_fma_f32 v[4:5], v[6:7], v[0:1], v[4:5] op_sel:[0,0,1] op_sel_hi:[1,0,0]
	v_mov_b32_e32 v9, v5
	ds_load_2addr_b64 v[4:7], v202 offset0:20 offset1:21
	v_pk_add_f32 v[80:81], v[80:81], v[10:11] neg_lo:[0,1] neg_hi:[0,1]
	v_pk_add_f32 v[76:77], v[76:77], v[8:9] neg_lo:[0,1] neg_hi:[0,1]
	s_wait_dscnt 0x0
	v_dual_mul_f32 v8, v5, v3 :: v_dual_mul_f32 v10, v5, v0
	s_delay_alu instid0(VALU_DEP_1) | instskip(NEXT) | instid1(VALU_DEP_2)
	v_pk_fma_f32 v[8:9], v[4:5], v[56:57], v[8:9] op_sel_hi:[1,1,0] neg_lo:[0,0,1] neg_hi:[0,0,1]
	v_pk_fma_f32 v[4:5], v[4:5], v[56:57], v[10:11] op_sel:[1,0,0] op_sel_hi:[0,1,0]
	s_delay_alu instid0(VALU_DEP_1) | instskip(SKIP_1) | instid1(VALU_DEP_2)
	v_mov_b32_e32 v9, v5
	v_pk_mul_f32 v[4:5], v[6:7], v[2:3] op_sel:[0,1]
	v_pk_add_f32 v[98:99], v[98:99], v[8:9] neg_lo:[0,1] neg_hi:[0,1]
	s_delay_alu instid0(VALU_DEP_2) | instskip(SKIP_1) | instid1(VALU_DEP_1)
	v_pk_fma_f32 v[8:9], v[6:7], v[0:1], v[4:5] op_sel:[0,0,1] op_sel_hi:[1,1,0] neg_lo:[0,0,1] neg_hi:[0,0,1]
	v_pk_fma_f32 v[4:5], v[6:7], v[0:1], v[4:5] op_sel:[0,0,1] op_sel_hi:[1,0,0]
	v_mov_b32_e32 v9, v5
	ds_load_2addr_b64 v[4:7], v202 offset0:22 offset1:23
	v_pk_add_f32 v[94:95], v[94:95], v[8:9] neg_lo:[0,1] neg_hi:[0,1]
	s_wait_dscnt 0x0
	v_pk_mul_f32 v[8:9], v[4:5], v[2:3] op_sel:[0,1]
	s_delay_alu instid0(VALU_DEP_1) | instskip(SKIP_1) | instid1(VALU_DEP_1)
	v_pk_fma_f32 v[10:11], v[4:5], v[0:1], v[8:9] op_sel:[0,0,1] op_sel_hi:[1,1,0] neg_lo:[0,0,1] neg_hi:[0,0,1]
	v_pk_fma_f32 v[4:5], v[4:5], v[0:1], v[8:9] op_sel:[0,0,1] op_sel_hi:[1,0,0]
	v_mov_b32_e32 v11, v5
	v_pk_mul_f32 v[4:5], v[6:7], v[2:3] op_sel:[0,1]
	s_delay_alu instid0(VALU_DEP_2) | instskip(NEXT) | instid1(VALU_DEP_2)
	v_pk_add_f32 v[96:97], v[96:97], v[10:11] neg_lo:[0,1] neg_hi:[0,1]
	v_pk_fma_f32 v[8:9], v[6:7], v[0:1], v[4:5] op_sel:[0,0,1] op_sel_hi:[1,1,0] neg_lo:[0,0,1] neg_hi:[0,0,1]
	v_pk_fma_f32 v[4:5], v[6:7], v[0:1], v[4:5] op_sel:[0,0,1] op_sel_hi:[1,0,0]
	s_delay_alu instid0(VALU_DEP_1) | instskip(SKIP_4) | instid1(VALU_DEP_1)
	v_mov_b32_e32 v9, v5
	ds_load_2addr_b64 v[4:7], v202 offset0:24 offset1:25
	v_pk_add_f32 v[92:93], v[92:93], v[8:9] neg_lo:[0,1] neg_hi:[0,1]
	s_wait_dscnt 0x0
	v_pk_mul_f32 v[8:9], v[4:5], v[2:3] op_sel:[0,1]
	v_pk_fma_f32 v[10:11], v[4:5], v[0:1], v[8:9] op_sel:[0,0,1] op_sel_hi:[1,1,0] neg_lo:[0,0,1] neg_hi:[0,0,1]
	v_pk_fma_f32 v[4:5], v[4:5], v[0:1], v[8:9] op_sel:[0,0,1] op_sel_hi:[1,0,0]
	v_dual_mul_f32 v8, v7, v3 :: v_dual_mov_b32 v4, v7
	s_delay_alu instid0(VALU_DEP_2) | instskip(NEXT) | instid1(VALU_DEP_2)
	v_dual_mov_b32 v11, v5 :: v_dual_mov_b32 v5, v6
	v_pk_fma_f32 v[8:9], v[6:7], v[56:57], v[8:9] op_sel_hi:[1,1,0] neg_lo:[0,0,1] neg_hi:[0,0,1]
	v_mul_f32_e32 v6, v7, v0
	s_delay_alu instid0(VALU_DEP_3) | instskip(NEXT) | instid1(VALU_DEP_2)
	v_pk_add_f32 v[114:115], v[114:115], v[10:11] neg_lo:[0,1] neg_hi:[0,1]
	v_pk_fma_f32 v[4:5], v[4:5], v[56:57], v[6:7] op_sel_hi:[1,1,0]
	s_delay_alu instid0(VALU_DEP_1) | instskip(SKIP_4) | instid1(VALU_DEP_1)
	v_mov_b32_e32 v9, v5
	ds_load_2addr_b64 v[4:7], v202 offset0:26 offset1:27
	v_pk_add_f32 v[110:111], v[110:111], v[8:9] neg_lo:[0,1] neg_hi:[0,1]
	s_wait_dscnt 0x0
	v_pk_mul_f32 v[8:9], v[4:5], v[2:3] op_sel:[0,1]
	v_pk_fma_f32 v[10:11], v[4:5], v[0:1], v[8:9] op_sel:[0,0,1] op_sel_hi:[1,1,0] neg_lo:[0,0,1] neg_hi:[0,0,1]
	v_pk_fma_f32 v[4:5], v[4:5], v[0:1], v[8:9] op_sel:[0,0,1] op_sel_hi:[1,0,0]
	s_delay_alu instid0(VALU_DEP_1) | instskip(SKIP_1) | instid1(VALU_DEP_1)
	v_mov_b32_e32 v11, v5
	v_pk_mul_f32 v[4:5], v[6:7], v[2:3] op_sel:[0,1]
	v_pk_fma_f32 v[8:9], v[6:7], v[0:1], v[4:5] op_sel:[0,0,1] op_sel_hi:[1,1,0] neg_lo:[0,0,1] neg_hi:[0,0,1]
	v_pk_fma_f32 v[4:5], v[6:7], v[0:1], v[4:5] op_sel:[0,0,1] op_sel_hi:[1,0,0]
	s_delay_alu instid0(VALU_DEP_1)
	v_mov_b32_e32 v9, v5
	ds_load_2addr_b64 v[4:7], v202 offset0:28 offset1:29
	v_pk_add_f32 v[112:113], v[112:113], v[10:11] neg_lo:[0,1] neg_hi:[0,1]
	v_pk_add_f32 v[108:109], v[108:109], v[8:9] neg_lo:[0,1] neg_hi:[0,1]
	s_wait_dscnt 0x0
	v_pk_mul_f32 v[8:9], v[4:5], v[2:3] op_sel:[0,1]
	s_delay_alu instid0(VALU_DEP_1) | instskip(SKIP_1) | instid1(VALU_DEP_1)
	v_pk_fma_f32 v[10:11], v[4:5], v[0:1], v[8:9] op_sel:[0,0,1] op_sel_hi:[1,1,0] neg_lo:[0,0,1] neg_hi:[0,0,1]
	v_pk_fma_f32 v[4:5], v[4:5], v[0:1], v[8:9] op_sel:[0,0,1] op_sel_hi:[1,0,0]
	v_mov_b32_e32 v11, v5
	v_pk_mul_f32 v[4:5], v[6:7], v[2:3] op_sel:[0,1]
	s_delay_alu instid0(VALU_DEP_1) | instskip(SKIP_1) | instid1(VALU_DEP_1)
	v_pk_fma_f32 v[8:9], v[6:7], v[0:1], v[4:5] op_sel:[0,0,1] op_sel_hi:[1,1,0] neg_lo:[0,0,1] neg_hi:[0,0,1]
	v_pk_fma_f32 v[4:5], v[6:7], v[0:1], v[4:5] op_sel:[0,0,1] op_sel_hi:[1,0,0]
	v_mov_b32_e32 v9, v5
	ds_load_2addr_b64 v[4:7], v202 offset0:30 offset1:31
	v_pk_add_f32 v[130:131], v[130:131], v[10:11] neg_lo:[0,1] neg_hi:[0,1]
	v_pk_add_f32 v[126:127], v[126:127], v[8:9] neg_lo:[0,1] neg_hi:[0,1]
	s_wait_dscnt 0x0
	v_dual_mul_f32 v8, v5, v3 :: v_dual_mul_f32 v10, v5, v0
	s_delay_alu instid0(VALU_DEP_1) | instskip(NEXT) | instid1(VALU_DEP_2)
	v_pk_fma_f32 v[8:9], v[4:5], v[56:57], v[8:9] op_sel_hi:[1,1,0] neg_lo:[0,0,1] neg_hi:[0,0,1]
	v_pk_fma_f32 v[4:5], v[4:5], v[56:57], v[10:11] op_sel:[1,0,0] op_sel_hi:[0,1,0]
	s_delay_alu instid0(VALU_DEP_1) | instskip(SKIP_1) | instid1(VALU_DEP_2)
	v_mov_b32_e32 v9, v5
	v_pk_mul_f32 v[4:5], v[6:7], v[2:3] op_sel:[0,1]
	v_pk_add_f32 v[128:129], v[128:129], v[8:9] neg_lo:[0,1] neg_hi:[0,1]
	s_delay_alu instid0(VALU_DEP_2) | instskip(SKIP_1) | instid1(VALU_DEP_1)
	v_pk_fma_f32 v[8:9], v[6:7], v[0:1], v[4:5] op_sel:[0,0,1] op_sel_hi:[1,1,0] neg_lo:[0,0,1] neg_hi:[0,0,1]
	v_pk_fma_f32 v[4:5], v[6:7], v[0:1], v[4:5] op_sel:[0,0,1] op_sel_hi:[1,0,0]
	v_mov_b32_e32 v9, v5
	ds_load_2addr_b64 v[4:7], v202 offset0:32 offset1:33
	v_pk_add_f32 v[124:125], v[124:125], v[8:9] neg_lo:[0,1] neg_hi:[0,1]
	s_wait_dscnt 0x0
	v_pk_mul_f32 v[8:9], v[4:5], v[2:3] op_sel:[0,1]
	s_delay_alu instid0(VALU_DEP_1) | instskip(SKIP_1) | instid1(VALU_DEP_1)
	v_pk_fma_f32 v[10:11], v[4:5], v[0:1], v[8:9] op_sel:[0,0,1] op_sel_hi:[1,1,0] neg_lo:[0,0,1] neg_hi:[0,0,1]
	v_pk_fma_f32 v[4:5], v[4:5], v[0:1], v[8:9] op_sel:[0,0,1] op_sel_hi:[1,0,0]
	v_mov_b32_e32 v11, v5
	v_pk_mul_f32 v[4:5], v[6:7], v[2:3] op_sel:[0,1]
	s_delay_alu instid0(VALU_DEP_2) | instskip(NEXT) | instid1(VALU_DEP_2)
	v_pk_add_f32 v[146:147], v[146:147], v[10:11] neg_lo:[0,1] neg_hi:[0,1]
	v_pk_fma_f32 v[8:9], v[6:7], v[0:1], v[4:5] op_sel:[0,0,1] op_sel_hi:[1,1,0] neg_lo:[0,0,1] neg_hi:[0,0,1]
	v_pk_fma_f32 v[4:5], v[6:7], v[0:1], v[4:5] op_sel:[0,0,1] op_sel_hi:[1,0,0]
	s_delay_alu instid0(VALU_DEP_1) | instskip(SKIP_4) | instid1(VALU_DEP_1)
	v_mov_b32_e32 v9, v5
	ds_load_2addr_b64 v[4:7], v202 offset0:34 offset1:35
	v_pk_add_f32 v[142:143], v[142:143], v[8:9] neg_lo:[0,1] neg_hi:[0,1]
	s_wait_dscnt 0x0
	v_pk_mul_f32 v[8:9], v[4:5], v[2:3] op_sel:[0,1]
	v_pk_fma_f32 v[10:11], v[4:5], v[0:1], v[8:9] op_sel:[0,0,1] op_sel_hi:[1,1,0] neg_lo:[0,0,1] neg_hi:[0,0,1]
	v_pk_fma_f32 v[4:5], v[4:5], v[0:1], v[8:9] op_sel:[0,0,1] op_sel_hi:[1,0,0]
	v_dual_mul_f32 v8, v7, v3 :: v_dual_mov_b32 v4, v7
	s_delay_alu instid0(VALU_DEP_2) | instskip(NEXT) | instid1(VALU_DEP_2)
	v_dual_mov_b32 v11, v5 :: v_dual_mov_b32 v5, v6
	v_pk_fma_f32 v[8:9], v[6:7], v[56:57], v[8:9] op_sel_hi:[1,1,0] neg_lo:[0,0,1] neg_hi:[0,0,1]
	v_mul_f32_e32 v6, v7, v0
	s_delay_alu instid0(VALU_DEP_3) | instskip(NEXT) | instid1(VALU_DEP_2)
	v_pk_add_f32 v[144:145], v[144:145], v[10:11] neg_lo:[0,1] neg_hi:[0,1]
	v_pk_fma_f32 v[4:5], v[4:5], v[56:57], v[6:7] op_sel_hi:[1,1,0]
	s_delay_alu instid0(VALU_DEP_1) | instskip(SKIP_4) | instid1(VALU_DEP_1)
	v_mov_b32_e32 v9, v5
	ds_load_2addr_b64 v[4:7], v202 offset0:36 offset1:37
	v_pk_add_f32 v[140:141], v[140:141], v[8:9] neg_lo:[0,1] neg_hi:[0,1]
	s_wait_dscnt 0x0
	v_pk_mul_f32 v[8:9], v[4:5], v[2:3] op_sel:[0,1]
	v_pk_fma_f32 v[10:11], v[4:5], v[0:1], v[8:9] op_sel:[0,0,1] op_sel_hi:[1,1,0] neg_lo:[0,0,1] neg_hi:[0,0,1]
	v_pk_fma_f32 v[4:5], v[4:5], v[0:1], v[8:9] op_sel:[0,0,1] op_sel_hi:[1,0,0]
	s_delay_alu instid0(VALU_DEP_1) | instskip(SKIP_1) | instid1(VALU_DEP_1)
	v_mov_b32_e32 v11, v5
	v_pk_mul_f32 v[4:5], v[6:7], v[2:3] op_sel:[0,1]
	v_pk_fma_f32 v[8:9], v[6:7], v[0:1], v[4:5] op_sel:[0,0,1] op_sel_hi:[1,1,0] neg_lo:[0,0,1] neg_hi:[0,0,1]
	v_pk_fma_f32 v[4:5], v[6:7], v[0:1], v[4:5] op_sel:[0,0,1] op_sel_hi:[1,0,0]
	s_delay_alu instid0(VALU_DEP_1)
	v_mov_b32_e32 v9, v5
	ds_load_2addr_b64 v[4:7], v202 offset0:38 offset1:39
	v_pk_add_f32 v[162:163], v[162:163], v[10:11] neg_lo:[0,1] neg_hi:[0,1]
	v_pk_add_f32 v[158:159], v[158:159], v[8:9] neg_lo:[0,1] neg_hi:[0,1]
	s_wait_dscnt 0x0
	v_pk_mul_f32 v[8:9], v[4:5], v[2:3] op_sel:[0,1]
	s_delay_alu instid0(VALU_DEP_1) | instskip(SKIP_1) | instid1(VALU_DEP_1)
	v_pk_fma_f32 v[10:11], v[4:5], v[0:1], v[8:9] op_sel:[0,0,1] op_sel_hi:[1,1,0] neg_lo:[0,0,1] neg_hi:[0,0,1]
	v_pk_fma_f32 v[4:5], v[4:5], v[0:1], v[8:9] op_sel:[0,0,1] op_sel_hi:[1,0,0]
	v_mov_b32_e32 v11, v5
	v_pk_mul_f32 v[4:5], v[6:7], v[2:3] op_sel:[0,1]
	s_delay_alu instid0(VALU_DEP_1) | instskip(SKIP_1) | instid1(VALU_DEP_1)
	v_pk_fma_f32 v[8:9], v[6:7], v[0:1], v[4:5] op_sel:[0,0,1] op_sel_hi:[1,1,0] neg_lo:[0,0,1] neg_hi:[0,0,1]
	v_pk_fma_f32 v[4:5], v[6:7], v[0:1], v[4:5] op_sel:[0,0,1] op_sel_hi:[1,0,0]
	v_mov_b32_e32 v9, v5
	ds_load_2addr_b64 v[4:7], v202 offset0:40 offset1:41
	v_pk_add_f32 v[160:161], v[160:161], v[10:11] neg_lo:[0,1] neg_hi:[0,1]
	v_pk_add_f32 v[156:157], v[156:157], v[8:9] neg_lo:[0,1] neg_hi:[0,1]
	s_wait_dscnt 0x0
	v_dual_mul_f32 v8, v5, v3 :: v_dual_mul_f32 v10, v5, v0
	s_delay_alu instid0(VALU_DEP_1) | instskip(NEXT) | instid1(VALU_DEP_2)
	v_pk_fma_f32 v[8:9], v[4:5], v[56:57], v[8:9] op_sel_hi:[1,1,0] neg_lo:[0,0,1] neg_hi:[0,0,1]
	v_pk_fma_f32 v[4:5], v[4:5], v[56:57], v[10:11] op_sel:[1,0,0] op_sel_hi:[0,1,0]
	s_delay_alu instid0(VALU_DEP_1) | instskip(SKIP_1) | instid1(VALU_DEP_2)
	v_mov_b32_e32 v9, v5
	v_pk_mul_f32 v[4:5], v[6:7], v[2:3] op_sel:[0,1]
	v_pk_add_f32 v[178:179], v[178:179], v[8:9] neg_lo:[0,1] neg_hi:[0,1]
	s_delay_alu instid0(VALU_DEP_2) | instskip(SKIP_1) | instid1(VALU_DEP_1)
	v_pk_fma_f32 v[8:9], v[6:7], v[0:1], v[4:5] op_sel:[0,0,1] op_sel_hi:[1,1,0] neg_lo:[0,0,1] neg_hi:[0,0,1]
	v_pk_fma_f32 v[4:5], v[6:7], v[0:1], v[4:5] op_sel:[0,0,1] op_sel_hi:[1,0,0]
	v_mov_b32_e32 v9, v5
	ds_load_2addr_b64 v[4:7], v202 offset0:42 offset1:43
	v_pk_add_f32 v[174:175], v[174:175], v[8:9] neg_lo:[0,1] neg_hi:[0,1]
	s_wait_dscnt 0x0
	v_pk_mul_f32 v[8:9], v[4:5], v[2:3] op_sel:[0,1]
	s_delay_alu instid0(VALU_DEP_1) | instskip(SKIP_1) | instid1(VALU_DEP_1)
	v_pk_fma_f32 v[10:11], v[4:5], v[0:1], v[8:9] op_sel:[0,0,1] op_sel_hi:[1,1,0] neg_lo:[0,0,1] neg_hi:[0,0,1]
	v_pk_fma_f32 v[4:5], v[4:5], v[0:1], v[8:9] op_sel:[0,0,1] op_sel_hi:[1,0,0]
	v_mov_b32_e32 v11, v5
	v_pk_mul_f32 v[4:5], v[6:7], v[2:3] op_sel:[0,1]
	s_delay_alu instid0(VALU_DEP_2) | instskip(NEXT) | instid1(VALU_DEP_2)
	v_pk_add_f32 v[176:177], v[176:177], v[10:11] neg_lo:[0,1] neg_hi:[0,1]
	v_pk_fma_f32 v[8:9], v[6:7], v[0:1], v[4:5] op_sel:[0,0,1] op_sel_hi:[1,1,0] neg_lo:[0,0,1] neg_hi:[0,0,1]
	v_pk_fma_f32 v[4:5], v[6:7], v[0:1], v[4:5] op_sel:[0,0,1] op_sel_hi:[1,0,0]
	s_delay_alu instid0(VALU_DEP_1) | instskip(SKIP_4) | instid1(VALU_DEP_1)
	v_mov_b32_e32 v9, v5
	ds_load_2addr_b64 v[4:7], v202 offset0:44 offset1:45
	v_pk_add_f32 v[172:173], v[172:173], v[8:9] neg_lo:[0,1] neg_hi:[0,1]
	s_wait_dscnt 0x0
	v_pk_mul_f32 v[8:9], v[4:5], v[2:3] op_sel:[0,1]
	v_pk_fma_f32 v[10:11], v[4:5], v[0:1], v[8:9] op_sel:[0,0,1] op_sel_hi:[1,1,0] neg_lo:[0,0,1] neg_hi:[0,0,1]
	v_pk_fma_f32 v[4:5], v[4:5], v[0:1], v[8:9] op_sel:[0,0,1] op_sel_hi:[1,0,0]
	v_dual_mul_f32 v8, v7, v3 :: v_dual_mov_b32 v4, v7
	s_delay_alu instid0(VALU_DEP_2) | instskip(NEXT) | instid1(VALU_DEP_2)
	v_dual_mov_b32 v11, v5 :: v_dual_mov_b32 v5, v6
	v_pk_fma_f32 v[8:9], v[6:7], v[56:57], v[8:9] op_sel_hi:[1,1,0] neg_lo:[0,0,1] neg_hi:[0,0,1]
	v_mul_f32_e32 v6, v7, v0
	s_delay_alu instid0(VALU_DEP_3) | instskip(NEXT) | instid1(VALU_DEP_2)
	v_pk_add_f32 v[194:195], v[194:195], v[10:11] neg_lo:[0,1] neg_hi:[0,1]
	v_pk_fma_f32 v[4:5], v[4:5], v[56:57], v[6:7] op_sel_hi:[1,1,0]
	s_delay_alu instid0(VALU_DEP_1) | instskip(SKIP_4) | instid1(VALU_DEP_1)
	v_mov_b32_e32 v9, v5
	ds_load_2addr_b64 v[4:7], v202 offset0:46 offset1:47
	v_pk_add_f32 v[190:191], v[190:191], v[8:9] neg_lo:[0,1] neg_hi:[0,1]
	s_wait_dscnt 0x0
	v_pk_mul_f32 v[8:9], v[4:5], v[2:3] op_sel:[0,1]
	v_pk_fma_f32 v[10:11], v[4:5], v[0:1], v[8:9] op_sel:[0,0,1] op_sel_hi:[1,1,0] neg_lo:[0,0,1] neg_hi:[0,0,1]
	v_pk_fma_f32 v[4:5], v[4:5], v[0:1], v[8:9] op_sel:[0,0,1] op_sel_hi:[1,0,0]
	s_delay_alu instid0(VALU_DEP_1) | instskip(SKIP_1) | instid1(VALU_DEP_1)
	v_mov_b32_e32 v11, v5
	v_pk_mul_f32 v[4:5], v[6:7], v[2:3] op_sel:[0,1]
	v_pk_fma_f32 v[8:9], v[6:7], v[0:1], v[4:5] op_sel:[0,0,1] op_sel_hi:[1,1,0] neg_lo:[0,0,1] neg_hi:[0,0,1]
	v_pk_fma_f32 v[4:5], v[6:7], v[0:1], v[4:5] op_sel:[0,0,1] op_sel_hi:[1,0,0]
	s_delay_alu instid0(VALU_DEP_1)
	v_mov_b32_e32 v9, v5
	ds_load_2addr_b64 v[4:7], v202 offset0:48 offset1:49
	v_pk_add_f32 v[192:193], v[192:193], v[10:11] neg_lo:[0,1] neg_hi:[0,1]
	v_pk_add_f32 v[188:189], v[188:189], v[8:9] neg_lo:[0,1] neg_hi:[0,1]
	s_wait_dscnt 0x0
	v_pk_mul_f32 v[8:9], v[4:5], v[2:3] op_sel:[0,1]
	s_delay_alu instid0(VALU_DEP_1) | instskip(SKIP_1) | instid1(VALU_DEP_1)
	v_pk_fma_f32 v[10:11], v[4:5], v[0:1], v[8:9] op_sel:[0,0,1] op_sel_hi:[1,1,0] neg_lo:[0,0,1] neg_hi:[0,0,1]
	v_pk_fma_f32 v[4:5], v[4:5], v[0:1], v[8:9] op_sel:[0,0,1] op_sel_hi:[1,0,0]
	v_mov_b32_e32 v11, v5
	v_pk_mul_f32 v[4:5], v[6:7], v[2:3] op_sel:[0,1]
	s_delay_alu instid0(VALU_DEP_1) | instskip(SKIP_1) | instid1(VALU_DEP_1)
	v_pk_fma_f32 v[8:9], v[6:7], v[0:1], v[4:5] op_sel:[0,0,1] op_sel_hi:[1,1,0] neg_lo:[0,0,1] neg_hi:[0,0,1]
	v_pk_fma_f32 v[4:5], v[6:7], v[0:1], v[4:5] op_sel:[0,0,1] op_sel_hi:[1,0,0]
	v_mov_b32_e32 v9, v5
	ds_load_2addr_b64 v[4:7], v202 offset0:50 offset1:51
	v_pk_add_f32 v[212:213], v[212:213], v[10:11] neg_lo:[0,1] neg_hi:[0,1]
	v_pk_add_f32 v[208:209], v[208:209], v[8:9] neg_lo:[0,1] neg_hi:[0,1]
	s_wait_dscnt 0x0
	v_dual_mul_f32 v8, v5, v3 :: v_dual_mul_f32 v10, v5, v0
	s_delay_alu instid0(VALU_DEP_1) | instskip(NEXT) | instid1(VALU_DEP_2)
	v_pk_fma_f32 v[8:9], v[4:5], v[56:57], v[8:9] op_sel_hi:[1,1,0] neg_lo:[0,0,1] neg_hi:[0,0,1]
	v_pk_fma_f32 v[4:5], v[4:5], v[56:57], v[10:11] op_sel:[1,0,0] op_sel_hi:[0,1,0]
	s_delay_alu instid0(VALU_DEP_1) | instskip(SKIP_1) | instid1(VALU_DEP_2)
	v_mov_b32_e32 v9, v5
	v_pk_mul_f32 v[4:5], v[6:7], v[2:3] op_sel:[0,1]
	v_pk_add_f32 v[210:211], v[210:211], v[8:9] neg_lo:[0,1] neg_hi:[0,1]
	s_delay_alu instid0(VALU_DEP_2) | instskip(SKIP_1) | instid1(VALU_DEP_1)
	v_pk_fma_f32 v[8:9], v[6:7], v[0:1], v[4:5] op_sel:[0,0,1] op_sel_hi:[1,1,0] neg_lo:[0,0,1] neg_hi:[0,0,1]
	v_pk_fma_f32 v[4:5], v[6:7], v[0:1], v[4:5] op_sel:[0,0,1] op_sel_hi:[1,0,0]
	v_mov_b32_e32 v9, v5
	ds_load_2addr_b64 v[4:7], v202 offset0:52 offset1:53
	v_pk_add_f32 v[206:207], v[206:207], v[8:9] neg_lo:[0,1] neg_hi:[0,1]
	s_wait_dscnt 0x0
	v_pk_mul_f32 v[8:9], v[4:5], v[2:3] op_sel:[0,1]
	s_delay_alu instid0(VALU_DEP_1) | instskip(SKIP_1) | instid1(VALU_DEP_1)
	v_pk_fma_f32 v[10:11], v[4:5], v[0:1], v[8:9] op_sel:[0,0,1] op_sel_hi:[1,1,0] neg_lo:[0,0,1] neg_hi:[0,0,1]
	v_pk_fma_f32 v[4:5], v[4:5], v[0:1], v[8:9] op_sel:[0,0,1] op_sel_hi:[1,0,0]
	v_mov_b32_e32 v11, v5
	v_pk_mul_f32 v[4:5], v[6:7], v[2:3] op_sel:[0,1]
	s_delay_alu instid0(VALU_DEP_2) | instskip(NEXT) | instid1(VALU_DEP_2)
	v_pk_add_f32 v[232:233], v[232:233], v[10:11] neg_lo:[0,1] neg_hi:[0,1]
	v_pk_fma_f32 v[8:9], v[6:7], v[0:1], v[4:5] op_sel:[0,0,1] op_sel_hi:[1,1,0] neg_lo:[0,0,1] neg_hi:[0,0,1]
	v_pk_fma_f32 v[4:5], v[6:7], v[0:1], v[4:5] op_sel:[0,0,1] op_sel_hi:[1,0,0]
	s_delay_alu instid0(VALU_DEP_1) | instskip(SKIP_4) | instid1(VALU_DEP_1)
	v_mov_b32_e32 v9, v5
	ds_load_2addr_b64 v[4:7], v202 offset0:54 offset1:55
	v_pk_add_f32 v[226:227], v[226:227], v[8:9] neg_lo:[0,1] neg_hi:[0,1]
	s_wait_dscnt 0x0
	v_pk_mul_f32 v[8:9], v[4:5], v[2:3] op_sel:[0,1]
	v_pk_fma_f32 v[10:11], v[4:5], v[0:1], v[8:9] op_sel:[0,0,1] op_sel_hi:[1,1,0] neg_lo:[0,0,1] neg_hi:[0,0,1]
	v_pk_fma_f32 v[4:5], v[4:5], v[0:1], v[8:9] op_sel:[0,0,1] op_sel_hi:[1,0,0]
	v_dual_mul_f32 v8, v7, v3 :: v_dual_mov_b32 v4, v7
	s_delay_alu instid0(VALU_DEP_2) | instskip(NEXT) | instid1(VALU_DEP_2)
	v_dual_mov_b32 v11, v5 :: v_dual_mov_b32 v5, v6
	v_pk_fma_f32 v[8:9], v[6:7], v[56:57], v[8:9] op_sel_hi:[1,1,0] neg_lo:[0,0,1] neg_hi:[0,0,1]
	v_mul_f32_e32 v6, v7, v0
	s_delay_alu instid0(VALU_DEP_3) | instskip(NEXT) | instid1(VALU_DEP_2)
	v_pk_add_f32 v[230:231], v[230:231], v[10:11] neg_lo:[0,1] neg_hi:[0,1]
	v_pk_fma_f32 v[4:5], v[4:5], v[56:57], v[6:7] op_sel_hi:[1,1,0]
	s_delay_alu instid0(VALU_DEP_1) | instskip(SKIP_4) | instid1(VALU_DEP_1)
	v_mov_b32_e32 v9, v5
	ds_load_2addr_b64 v[4:7], v202 offset0:56 offset1:57
	v_pk_add_f32 v[224:225], v[224:225], v[8:9] neg_lo:[0,1] neg_hi:[0,1]
	s_wait_dscnt 0x0
	v_pk_mul_f32 v[8:9], v[4:5], v[2:3] op_sel:[0,1]
	v_pk_fma_f32 v[10:11], v[4:5], v[0:1], v[8:9] op_sel:[0,0,1] op_sel_hi:[1,1,0] neg_lo:[0,0,1] neg_hi:[0,0,1]
	v_pk_fma_f32 v[4:5], v[4:5], v[0:1], v[8:9] op_sel:[0,0,1] op_sel_hi:[1,0,0]
	s_delay_alu instid0(VALU_DEP_1) | instskip(SKIP_1) | instid1(VALU_DEP_1)
	v_mov_b32_e32 v11, v5
	v_pk_mul_f32 v[4:5], v[6:7], v[2:3] op_sel:[0,1]
	v_pk_fma_f32 v[8:9], v[6:7], v[0:1], v[4:5] op_sel:[0,0,1] op_sel_hi:[1,1,0] neg_lo:[0,0,1] neg_hi:[0,0,1]
	v_pk_fma_f32 v[4:5], v[6:7], v[0:1], v[4:5] op_sel:[0,0,1] op_sel_hi:[1,0,0]
	s_delay_alu instid0(VALU_DEP_1)
	v_mov_b32_e32 v9, v5
	ds_load_b64 v[4:5], v202 offset:464
	v_pk_add_f32 v[228:229], v[228:229], v[10:11] neg_lo:[0,1] neg_hi:[0,1]
	v_pk_add_f32 v[234:235], v[234:235], v[8:9] neg_lo:[0,1] neg_hi:[0,1]
	s_wait_dscnt 0x0
	v_pk_mul_f32 v[2:3], v[4:5], v[2:3] op_sel:[0,1]
	s_delay_alu instid0(VALU_DEP_1) | instskip(SKIP_1) | instid1(VALU_DEP_1)
	v_pk_fma_f32 v[6:7], v[4:5], v[0:1], v[2:3] op_sel:[0,0,1] op_sel_hi:[1,1,0] neg_lo:[0,0,1] neg_hi:[0,0,1]
	v_pk_fma_f32 v[0:1], v[4:5], v[0:1], v[2:3] op_sel:[0,0,1] op_sel_hi:[1,0,0]
	v_mov_b32_e32 v7, v1
	s_delay_alu instid0(VALU_DEP_1)
	v_pk_add_f32 v[236:237], v[236:237], v[6:7] neg_lo:[0,1] neg_hi:[0,1]
.LBB117_19:
	s_wait_xcnt 0x0
	s_or_b32 exec_lo, exec_lo, s1
	s_delay_alu instid0(SALU_CYCLE_1)
	s_mov_b32 s2, exec_lo
	s_wait_storecnt 0x0
	s_barrier_signal -1
	s_barrier_wait -1
	v_cmpx_eq_u32_e32 2, v200
	s_cbranch_execz .LBB117_26
; %bb.20:
	ds_store_b64 v201, v[46:47]
	ds_store_2addr_b64 v202, v[44:45], v[26:27] offset0:3 offset1:4
	ds_store_2addr_b64 v202, v[22:23], v[24:25] offset0:5 offset1:6
	;; [unrolled: 1-line block ×28, first 2 shown]
	ds_load_b64 v[0:1], v201
	s_wait_dscnt 0x0
	v_cmp_neq_f32_e32 vcc_lo, 0, v0
	v_cmp_neq_f32_e64 s1, 0, v1
	s_or_b32 s1, vcc_lo, s1
	s_delay_alu instid0(SALU_CYCLE_1)
	s_and_b32 exec_lo, exec_lo, s1
	s_cbranch_execz .LBB117_26
; %bb.21:
	v_cmp_ngt_f32_e64 s1, |v0|, |v1|
                                        ; implicit-def: $vgpr2_vgpr3
	s_and_saveexec_b32 s4, s1
	s_delay_alu instid0(SALU_CYCLE_1)
	s_xor_b32 s1, exec_lo, s4
	s_cbranch_execz .LBB117_23
; %bb.22:
	v_div_scale_f32 v2, null, v1, v1, v0
	v_div_scale_f32 v5, vcc_lo, v0, v1, v0
	s_delay_alu instid0(VALU_DEP_2) | instskip(SKIP_1) | instid1(TRANS32_DEP_1)
	v_rcp_f32_e32 v3, v2
	v_nop
	v_fma_f32 v4, -v2, v3, 1.0
	s_delay_alu instid0(VALU_DEP_1) | instskip(NEXT) | instid1(VALU_DEP_1)
	v_fmac_f32_e32 v3, v4, v3
	v_mul_f32_e32 v4, v5, v3
	s_delay_alu instid0(VALU_DEP_1) | instskip(NEXT) | instid1(VALU_DEP_1)
	v_fma_f32 v6, -v2, v4, v5
	v_fmac_f32_e32 v4, v6, v3
	s_delay_alu instid0(VALU_DEP_1) | instskip(NEXT) | instid1(VALU_DEP_1)
	v_fma_f32 v2, -v2, v4, v5
	v_div_fmas_f32 v2, v2, v3, v4
	s_delay_alu instid0(VALU_DEP_1) | instskip(NEXT) | instid1(VALU_DEP_1)
	v_div_fixup_f32 v2, v2, v1, v0
	v_fmac_f32_e32 v1, v0, v2
	s_delay_alu instid0(VALU_DEP_1) | instskip(SKIP_1) | instid1(VALU_DEP_2)
	v_div_scale_f32 v0, null, v1, v1, 1.0
	v_div_scale_f32 v5, vcc_lo, 1.0, v1, 1.0
	v_rcp_f32_e32 v3, v0
	v_nop
	s_delay_alu instid0(TRANS32_DEP_1) | instskip(NEXT) | instid1(VALU_DEP_1)
	v_fma_f32 v4, -v0, v3, 1.0
	v_fmac_f32_e32 v3, v4, v3
	s_delay_alu instid0(VALU_DEP_1) | instskip(NEXT) | instid1(VALU_DEP_1)
	v_mul_f32_e32 v4, v5, v3
	v_fma_f32 v6, -v0, v4, v5
	s_delay_alu instid0(VALU_DEP_1) | instskip(NEXT) | instid1(VALU_DEP_1)
	v_fmac_f32_e32 v4, v6, v3
	v_fma_f32 v0, -v0, v4, v5
	s_delay_alu instid0(VALU_DEP_1) | instskip(NEXT) | instid1(VALU_DEP_1)
	v_div_fmas_f32 v0, v0, v3, v4
	v_div_fixup_f32 v0, v0, v1, 1.0
	s_delay_alu instid0(VALU_DEP_1)
	v_mul_f32_e32 v2, v2, v0
	v_xor_b32_e32 v3, 0x80000000, v0
                                        ; implicit-def: $vgpr0_vgpr1
.LBB117_23:
	s_and_not1_saveexec_b32 s1, s1
	s_cbranch_execz .LBB117_25
; %bb.24:
	v_div_scale_f32 v2, null, v0, v0, v1
	v_div_scale_f32 v5, vcc_lo, v1, v0, v1
	s_delay_alu instid0(VALU_DEP_2) | instskip(SKIP_1) | instid1(TRANS32_DEP_1)
	v_rcp_f32_e32 v3, v2
	v_nop
	v_fma_f32 v4, -v2, v3, 1.0
	s_delay_alu instid0(VALU_DEP_1) | instskip(NEXT) | instid1(VALU_DEP_1)
	v_fmac_f32_e32 v3, v4, v3
	v_mul_f32_e32 v4, v5, v3
	s_delay_alu instid0(VALU_DEP_1) | instskip(NEXT) | instid1(VALU_DEP_1)
	v_fma_f32 v6, -v2, v4, v5
	v_fmac_f32_e32 v4, v6, v3
	s_delay_alu instid0(VALU_DEP_1) | instskip(NEXT) | instid1(VALU_DEP_1)
	v_fma_f32 v2, -v2, v4, v5
	v_div_fmas_f32 v2, v2, v3, v4
	s_delay_alu instid0(VALU_DEP_1) | instskip(NEXT) | instid1(VALU_DEP_1)
	v_div_fixup_f32 v3, v2, v0, v1
	v_fmac_f32_e32 v0, v1, v3
	s_delay_alu instid0(VALU_DEP_1) | instskip(NEXT) | instid1(VALU_DEP_1)
	v_div_scale_f32 v1, null, v0, v0, 1.0
	v_rcp_f32_e32 v2, v1
	v_nop
	s_delay_alu instid0(TRANS32_DEP_1) | instskip(NEXT) | instid1(VALU_DEP_1)
	v_fma_f32 v4, -v1, v2, 1.0
	v_fmac_f32_e32 v2, v4, v2
	v_div_scale_f32 v4, vcc_lo, 1.0, v0, 1.0
	s_delay_alu instid0(VALU_DEP_1) | instskip(NEXT) | instid1(VALU_DEP_1)
	v_mul_f32_e32 v5, v4, v2
	v_fma_f32 v6, -v1, v5, v4
	s_delay_alu instid0(VALU_DEP_1) | instskip(NEXT) | instid1(VALU_DEP_1)
	v_fmac_f32_e32 v5, v6, v2
	v_fma_f32 v1, -v1, v5, v4
	s_delay_alu instid0(VALU_DEP_1) | instskip(NEXT) | instid1(VALU_DEP_1)
	v_div_fmas_f32 v1, v1, v2, v5
	v_div_fixup_f32 v2, v1, v0, 1.0
	s_delay_alu instid0(VALU_DEP_1)
	v_mul_f32_e64 v3, v3, -v2
.LBB117_25:
	s_or_b32 exec_lo, exec_lo, s1
	ds_store_b64 v201, v[2:3]
.LBB117_26:
	s_or_b32 exec_lo, exec_lo, s2
	s_wait_dscnt 0x0
	s_barrier_signal -1
	s_barrier_wait -1
	ds_load_b64 v[0:1], v201
	s_mov_b32 s1, exec_lo
	s_wait_dscnt 0x0
	scratch_store_b64 off, v[0:1], off offset:384 ; 8-byte Folded Spill
	s_wait_xcnt 0x0
	v_cmpx_lt_u32_e32 2, v200
	s_cbranch_execz .LBB117_28
; %bb.27:
	scratch_load_b64 v[4:5], off, off offset:384 ; 8-byte Folded Reload
	s_wait_loadcnt 0x0
	v_pk_mul_f32 v[2:3], v[4:5], v[46:47] op_sel:[1,1] op_sel_hi:[0,1]
	s_delay_alu instid0(VALU_DEP_1)
	v_pk_fma_f32 v[0:1], v[4:5], v[46:47], v[2:3] op_sel_hi:[1,0,1] neg_lo:[0,0,1] neg_hi:[0,0,1]
	v_pk_fma_f32 v[2:3], v[4:5], v[46:47], v[2:3] op_sel_hi:[1,0,1]
	ds_load_2addr_b64 v[4:7], v202 offset0:3 offset1:4
	v_dual_mov_b32 v46, v0 :: v_dual_mov_b32 v47, v3
	s_wait_dscnt 0x0
	v_pk_mul_f32 v[8:9], v[4:5], v[2:3] op_sel:[0,1]
	s_delay_alu instid0(VALU_DEP_1) | instskip(SKIP_1) | instid1(VALU_DEP_1)
	v_pk_fma_f32 v[10:11], v[4:5], v[0:1], v[8:9] op_sel:[0,0,1] op_sel_hi:[1,1,0] neg_lo:[0,0,1] neg_hi:[0,0,1]
	v_pk_fma_f32 v[4:5], v[4:5], v[0:1], v[8:9] op_sel:[0,0,1] op_sel_hi:[1,0,0]
	v_mov_b32_e32 v11, v5
	v_pk_mul_f32 v[4:5], v[6:7], v[2:3] op_sel:[0,1]
	s_delay_alu instid0(VALU_DEP_1) | instskip(SKIP_1) | instid1(VALU_DEP_1)
	v_pk_fma_f32 v[8:9], v[6:7], v[0:1], v[4:5] op_sel:[0,0,1] op_sel_hi:[1,1,0] neg_lo:[0,0,1] neg_hi:[0,0,1]
	v_pk_fma_f32 v[4:5], v[6:7], v[0:1], v[4:5] op_sel:[0,0,1] op_sel_hi:[1,0,0]
	v_mov_b32_e32 v9, v5
	ds_load_2addr_b64 v[4:7], v202 offset0:5 offset1:6
	v_pk_add_f32 v[44:45], v[44:45], v[10:11] neg_lo:[0,1] neg_hi:[0,1]
	v_pk_add_f32 v[26:27], v[26:27], v[8:9] neg_lo:[0,1] neg_hi:[0,1]
	s_wait_dscnt 0x0
	v_pk_mul_f32 v[8:9], v[4:5], v[2:3] op_sel:[0,1]
	s_delay_alu instid0(VALU_DEP_1) | instskip(SKIP_2) | instid1(VALU_DEP_2)
	v_pk_fma_f32 v[10:11], v[4:5], v[0:1], v[8:9] op_sel:[0,0,1] op_sel_hi:[1,1,0] neg_lo:[0,0,1] neg_hi:[0,0,1]
	v_pk_fma_f32 v[4:5], v[4:5], v[0:1], v[8:9] op_sel:[0,0,1] op_sel_hi:[1,0,0]
	v_dual_mul_f32 v8, v7, v3 :: v_dual_mov_b32 v4, v7
	v_dual_mov_b32 v11, v5 :: v_dual_mov_b32 v5, v6
	s_delay_alu instid0(VALU_DEP_2) | instskip(SKIP_1) | instid1(VALU_DEP_3)
	v_pk_fma_f32 v[8:9], v[6:7], v[46:47], v[8:9] op_sel_hi:[1,1,0] neg_lo:[0,0,1] neg_hi:[0,0,1]
	v_mul_f32_e32 v6, v7, v0
	v_pk_add_f32 v[22:23], v[22:23], v[10:11] neg_lo:[0,1] neg_hi:[0,1]
	s_delay_alu instid0(VALU_DEP_2) | instskip(NEXT) | instid1(VALU_DEP_1)
	v_pk_fma_f32 v[4:5], v[4:5], v[46:47], v[6:7] op_sel_hi:[1,1,0]
	v_mov_b32_e32 v9, v5
	ds_load_2addr_b64 v[4:7], v202 offset0:7 offset1:8
	v_pk_add_f32 v[24:25], v[24:25], v[8:9] neg_lo:[0,1] neg_hi:[0,1]
	s_wait_dscnt 0x0
	v_pk_mul_f32 v[8:9], v[4:5], v[2:3] op_sel:[0,1]
	s_delay_alu instid0(VALU_DEP_1) | instskip(SKIP_1) | instid1(VALU_DEP_1)
	v_pk_fma_f32 v[10:11], v[4:5], v[0:1], v[8:9] op_sel:[0,0,1] op_sel_hi:[1,1,0] neg_lo:[0,0,1] neg_hi:[0,0,1]
	v_pk_fma_f32 v[4:5], v[4:5], v[0:1], v[8:9] op_sel:[0,0,1] op_sel_hi:[1,0,0]
	v_mov_b32_e32 v11, v5
	v_pk_mul_f32 v[4:5], v[6:7], v[2:3] op_sel:[0,1]
	s_delay_alu instid0(VALU_DEP_1) | instskip(SKIP_1) | instid1(VALU_DEP_1)
	v_pk_fma_f32 v[8:9], v[6:7], v[0:1], v[4:5] op_sel:[0,0,1] op_sel_hi:[1,1,0] neg_lo:[0,0,1] neg_hi:[0,0,1]
	v_pk_fma_f32 v[4:5], v[6:7], v[0:1], v[4:5] op_sel:[0,0,1] op_sel_hi:[1,0,0]
	v_mov_b32_e32 v9, v5
	ds_load_2addr_b64 v[4:7], v202 offset0:9 offset1:10
	v_pk_add_f32 v[20:21], v[20:21], v[10:11] neg_lo:[0,1] neg_hi:[0,1]
	v_pk_add_f32 v[40:41], v[40:41], v[8:9] neg_lo:[0,1] neg_hi:[0,1]
	s_wait_dscnt 0x0
	v_pk_mul_f32 v[8:9], v[4:5], v[2:3] op_sel:[0,1]
	s_delay_alu instid0(VALU_DEP_1) | instskip(SKIP_1) | instid1(VALU_DEP_1)
	v_pk_fma_f32 v[10:11], v[4:5], v[0:1], v[8:9] op_sel:[0,0,1] op_sel_hi:[1,1,0] neg_lo:[0,0,1] neg_hi:[0,0,1]
	v_pk_fma_f32 v[4:5], v[4:5], v[0:1], v[8:9] op_sel:[0,0,1] op_sel_hi:[1,0,0]
	v_mov_b32_e32 v11, v5
	v_pk_mul_f32 v[4:5], v[6:7], v[2:3] op_sel:[0,1]
	s_delay_alu instid0(VALU_DEP_1) | instskip(SKIP_1) | instid1(VALU_DEP_1)
	v_pk_fma_f32 v[8:9], v[6:7], v[0:1], v[4:5] op_sel:[0,0,1] op_sel_hi:[1,1,0] neg_lo:[0,0,1] neg_hi:[0,0,1]
	v_pk_fma_f32 v[4:5], v[6:7], v[0:1], v[4:5] op_sel:[0,0,1] op_sel_hi:[1,0,0]
	v_mov_b32_e32 v9, v5
	ds_load_2addr_b64 v[4:7], v202 offset0:11 offset1:12
	v_pk_add_f32 v[36:37], v[36:37], v[10:11] neg_lo:[0,1] neg_hi:[0,1]
	v_pk_add_f32 v[38:39], v[38:39], v[8:9] neg_lo:[0,1] neg_hi:[0,1]
	s_wait_dscnt 0x0
	v_dual_mul_f32 v8, v5, v3 :: v_dual_mul_f32 v10, v5, v0
	s_delay_alu instid0(VALU_DEP_1) | instskip(NEXT) | instid1(VALU_DEP_2)
	v_pk_fma_f32 v[8:9], v[4:5], v[46:47], v[8:9] op_sel_hi:[1,1,0] neg_lo:[0,0,1] neg_hi:[0,0,1]
	v_pk_fma_f32 v[4:5], v[4:5], v[46:47], v[10:11] op_sel:[1,0,0] op_sel_hi:[0,1,0]
	s_delay_alu instid0(VALU_DEP_1) | instskip(SKIP_1) | instid1(VALU_DEP_2)
	v_mov_b32_e32 v9, v5
	v_pk_mul_f32 v[4:5], v[6:7], v[2:3] op_sel:[0,1]
	v_pk_add_f32 v[34:35], v[34:35], v[8:9] neg_lo:[0,1] neg_hi:[0,1]
	s_delay_alu instid0(VALU_DEP_2) | instskip(SKIP_1) | instid1(VALU_DEP_1)
	v_pk_fma_f32 v[8:9], v[6:7], v[0:1], v[4:5] op_sel:[0,0,1] op_sel_hi:[1,1,0] neg_lo:[0,0,1] neg_hi:[0,0,1]
	v_pk_fma_f32 v[4:5], v[6:7], v[0:1], v[4:5] op_sel:[0,0,1] op_sel_hi:[1,0,0]
	v_mov_b32_e32 v9, v5
	ds_load_2addr_b64 v[4:7], v202 offset0:13 offset1:14
	v_pk_add_f32 v[66:67], v[66:67], v[8:9] neg_lo:[0,1] neg_hi:[0,1]
	s_wait_dscnt 0x0
	v_pk_mul_f32 v[8:9], v[4:5], v[2:3] op_sel:[0,1]
	s_delay_alu instid0(VALU_DEP_1) | instskip(SKIP_1) | instid1(VALU_DEP_1)
	v_pk_fma_f32 v[10:11], v[4:5], v[0:1], v[8:9] op_sel:[0,0,1] op_sel_hi:[1,1,0] neg_lo:[0,0,1] neg_hi:[0,0,1]
	v_pk_fma_f32 v[4:5], v[4:5], v[0:1], v[8:9] op_sel:[0,0,1] op_sel_hi:[1,0,0]
	v_mov_b32_e32 v11, v5
	v_pk_mul_f32 v[4:5], v[6:7], v[2:3] op_sel:[0,1]
	s_delay_alu instid0(VALU_DEP_2) | instskip(NEXT) | instid1(VALU_DEP_2)
	v_pk_add_f32 v[62:63], v[62:63], v[10:11] neg_lo:[0,1] neg_hi:[0,1]
	v_pk_fma_f32 v[8:9], v[6:7], v[0:1], v[4:5] op_sel:[0,0,1] op_sel_hi:[1,1,0] neg_lo:[0,0,1] neg_hi:[0,0,1]
	v_pk_fma_f32 v[4:5], v[6:7], v[0:1], v[4:5] op_sel:[0,0,1] op_sel_hi:[1,0,0]
	s_delay_alu instid0(VALU_DEP_1) | instskip(SKIP_4) | instid1(VALU_DEP_1)
	v_mov_b32_e32 v9, v5
	ds_load_2addr_b64 v[4:7], v202 offset0:15 offset1:16
	v_pk_add_f32 v[64:65], v[64:65], v[8:9] neg_lo:[0,1] neg_hi:[0,1]
	s_wait_dscnt 0x0
	v_pk_mul_f32 v[8:9], v[4:5], v[2:3] op_sel:[0,1]
	v_pk_fma_f32 v[10:11], v[4:5], v[0:1], v[8:9] op_sel:[0,0,1] op_sel_hi:[1,1,0] neg_lo:[0,0,1] neg_hi:[0,0,1]
	v_pk_fma_f32 v[4:5], v[4:5], v[0:1], v[8:9] op_sel:[0,0,1] op_sel_hi:[1,0,0]
	v_dual_mul_f32 v8, v7, v3 :: v_dual_mov_b32 v4, v7
	s_delay_alu instid0(VALU_DEP_2) | instskip(NEXT) | instid1(VALU_DEP_2)
	v_dual_mov_b32 v11, v5 :: v_dual_mov_b32 v5, v6
	v_pk_fma_f32 v[8:9], v[6:7], v[46:47], v[8:9] op_sel_hi:[1,1,0] neg_lo:[0,0,1] neg_hi:[0,0,1]
	v_mul_f32_e32 v6, v7, v0
	s_delay_alu instid0(VALU_DEP_3) | instskip(NEXT) | instid1(VALU_DEP_2)
	v_pk_add_f32 v[60:61], v[60:61], v[10:11] neg_lo:[0,1] neg_hi:[0,1]
	v_pk_fma_f32 v[4:5], v[4:5], v[46:47], v[6:7] op_sel_hi:[1,1,0]
	s_delay_alu instid0(VALU_DEP_1) | instskip(SKIP_4) | instid1(VALU_DEP_1)
	v_mov_b32_e32 v9, v5
	ds_load_2addr_b64 v[4:7], v202 offset0:17 offset1:18
	v_pk_add_f32 v[82:83], v[82:83], v[8:9] neg_lo:[0,1] neg_hi:[0,1]
	s_wait_dscnt 0x0
	v_pk_mul_f32 v[8:9], v[4:5], v[2:3] op_sel:[0,1]
	v_pk_fma_f32 v[10:11], v[4:5], v[0:1], v[8:9] op_sel:[0,0,1] op_sel_hi:[1,1,0] neg_lo:[0,0,1] neg_hi:[0,0,1]
	v_pk_fma_f32 v[4:5], v[4:5], v[0:1], v[8:9] op_sel:[0,0,1] op_sel_hi:[1,0,0]
	s_delay_alu instid0(VALU_DEP_1) | instskip(SKIP_1) | instid1(VALU_DEP_1)
	v_mov_b32_e32 v11, v5
	v_pk_mul_f32 v[4:5], v[6:7], v[2:3] op_sel:[0,1]
	v_pk_fma_f32 v[8:9], v[6:7], v[0:1], v[4:5] op_sel:[0,0,1] op_sel_hi:[1,1,0] neg_lo:[0,0,1] neg_hi:[0,0,1]
	v_pk_fma_f32 v[4:5], v[6:7], v[0:1], v[4:5] op_sel:[0,0,1] op_sel_hi:[1,0,0]
	s_delay_alu instid0(VALU_DEP_1)
	v_mov_b32_e32 v9, v5
	ds_load_2addr_b64 v[4:7], v202 offset0:19 offset1:20
	v_pk_add_f32 v[78:79], v[78:79], v[10:11] neg_lo:[0,1] neg_hi:[0,1]
	v_pk_add_f32 v[80:81], v[80:81], v[8:9] neg_lo:[0,1] neg_hi:[0,1]
	s_wait_dscnt 0x0
	v_pk_mul_f32 v[8:9], v[4:5], v[2:3] op_sel:[0,1]
	s_delay_alu instid0(VALU_DEP_1) | instskip(SKIP_1) | instid1(VALU_DEP_1)
	v_pk_fma_f32 v[10:11], v[4:5], v[0:1], v[8:9] op_sel:[0,0,1] op_sel_hi:[1,1,0] neg_lo:[0,0,1] neg_hi:[0,0,1]
	v_pk_fma_f32 v[4:5], v[4:5], v[0:1], v[8:9] op_sel:[0,0,1] op_sel_hi:[1,0,0]
	v_mov_b32_e32 v11, v5
	v_pk_mul_f32 v[4:5], v[6:7], v[2:3] op_sel:[0,1]
	s_delay_alu instid0(VALU_DEP_1) | instskip(SKIP_1) | instid1(VALU_DEP_1)
	v_pk_fma_f32 v[8:9], v[6:7], v[0:1], v[4:5] op_sel:[0,0,1] op_sel_hi:[1,1,0] neg_lo:[0,0,1] neg_hi:[0,0,1]
	v_pk_fma_f32 v[4:5], v[6:7], v[0:1], v[4:5] op_sel:[0,0,1] op_sel_hi:[1,0,0]
	v_mov_b32_e32 v9, v5
	ds_load_2addr_b64 v[4:7], v202 offset0:21 offset1:22
	v_pk_add_f32 v[76:77], v[76:77], v[10:11] neg_lo:[0,1] neg_hi:[0,1]
	v_pk_add_f32 v[98:99], v[98:99], v[8:9] neg_lo:[0,1] neg_hi:[0,1]
	s_wait_dscnt 0x0
	v_dual_mul_f32 v8, v5, v3 :: v_dual_mul_f32 v10, v5, v0
	s_delay_alu instid0(VALU_DEP_1) | instskip(NEXT) | instid1(VALU_DEP_2)
	v_pk_fma_f32 v[8:9], v[4:5], v[46:47], v[8:9] op_sel_hi:[1,1,0] neg_lo:[0,0,1] neg_hi:[0,0,1]
	v_pk_fma_f32 v[4:5], v[4:5], v[46:47], v[10:11] op_sel:[1,0,0] op_sel_hi:[0,1,0]
	s_delay_alu instid0(VALU_DEP_1) | instskip(SKIP_1) | instid1(VALU_DEP_2)
	v_mov_b32_e32 v9, v5
	v_pk_mul_f32 v[4:5], v[6:7], v[2:3] op_sel:[0,1]
	v_pk_add_f32 v[94:95], v[94:95], v[8:9] neg_lo:[0,1] neg_hi:[0,1]
	s_delay_alu instid0(VALU_DEP_2) | instskip(SKIP_1) | instid1(VALU_DEP_1)
	v_pk_fma_f32 v[8:9], v[6:7], v[0:1], v[4:5] op_sel:[0,0,1] op_sel_hi:[1,1,0] neg_lo:[0,0,1] neg_hi:[0,0,1]
	v_pk_fma_f32 v[4:5], v[6:7], v[0:1], v[4:5] op_sel:[0,0,1] op_sel_hi:[1,0,0]
	v_mov_b32_e32 v9, v5
	ds_load_2addr_b64 v[4:7], v202 offset0:23 offset1:24
	v_pk_add_f32 v[96:97], v[96:97], v[8:9] neg_lo:[0,1] neg_hi:[0,1]
	s_wait_dscnt 0x0
	v_pk_mul_f32 v[8:9], v[4:5], v[2:3] op_sel:[0,1]
	s_delay_alu instid0(VALU_DEP_1) | instskip(SKIP_1) | instid1(VALU_DEP_1)
	v_pk_fma_f32 v[10:11], v[4:5], v[0:1], v[8:9] op_sel:[0,0,1] op_sel_hi:[1,1,0] neg_lo:[0,0,1] neg_hi:[0,0,1]
	v_pk_fma_f32 v[4:5], v[4:5], v[0:1], v[8:9] op_sel:[0,0,1] op_sel_hi:[1,0,0]
	v_mov_b32_e32 v11, v5
	v_pk_mul_f32 v[4:5], v[6:7], v[2:3] op_sel:[0,1]
	s_delay_alu instid0(VALU_DEP_2) | instskip(NEXT) | instid1(VALU_DEP_2)
	v_pk_add_f32 v[92:93], v[92:93], v[10:11] neg_lo:[0,1] neg_hi:[0,1]
	v_pk_fma_f32 v[8:9], v[6:7], v[0:1], v[4:5] op_sel:[0,0,1] op_sel_hi:[1,1,0] neg_lo:[0,0,1] neg_hi:[0,0,1]
	v_pk_fma_f32 v[4:5], v[6:7], v[0:1], v[4:5] op_sel:[0,0,1] op_sel_hi:[1,0,0]
	s_delay_alu instid0(VALU_DEP_1) | instskip(SKIP_4) | instid1(VALU_DEP_1)
	v_mov_b32_e32 v9, v5
	ds_load_2addr_b64 v[4:7], v202 offset0:25 offset1:26
	v_pk_add_f32 v[114:115], v[114:115], v[8:9] neg_lo:[0,1] neg_hi:[0,1]
	s_wait_dscnt 0x0
	v_pk_mul_f32 v[8:9], v[4:5], v[2:3] op_sel:[0,1]
	v_pk_fma_f32 v[10:11], v[4:5], v[0:1], v[8:9] op_sel:[0,0,1] op_sel_hi:[1,1,0] neg_lo:[0,0,1] neg_hi:[0,0,1]
	v_pk_fma_f32 v[4:5], v[4:5], v[0:1], v[8:9] op_sel:[0,0,1] op_sel_hi:[1,0,0]
	v_dual_mul_f32 v8, v7, v3 :: v_dual_mov_b32 v4, v7
	s_delay_alu instid0(VALU_DEP_2) | instskip(NEXT) | instid1(VALU_DEP_2)
	v_dual_mov_b32 v11, v5 :: v_dual_mov_b32 v5, v6
	v_pk_fma_f32 v[8:9], v[6:7], v[46:47], v[8:9] op_sel_hi:[1,1,0] neg_lo:[0,0,1] neg_hi:[0,0,1]
	v_mul_f32_e32 v6, v7, v0
	s_delay_alu instid0(VALU_DEP_3) | instskip(NEXT) | instid1(VALU_DEP_2)
	v_pk_add_f32 v[110:111], v[110:111], v[10:11] neg_lo:[0,1] neg_hi:[0,1]
	v_pk_fma_f32 v[4:5], v[4:5], v[46:47], v[6:7] op_sel_hi:[1,1,0]
	s_delay_alu instid0(VALU_DEP_1) | instskip(SKIP_4) | instid1(VALU_DEP_1)
	v_mov_b32_e32 v9, v5
	ds_load_2addr_b64 v[4:7], v202 offset0:27 offset1:28
	v_pk_add_f32 v[112:113], v[112:113], v[8:9] neg_lo:[0,1] neg_hi:[0,1]
	s_wait_dscnt 0x0
	v_pk_mul_f32 v[8:9], v[4:5], v[2:3] op_sel:[0,1]
	v_pk_fma_f32 v[10:11], v[4:5], v[0:1], v[8:9] op_sel:[0,0,1] op_sel_hi:[1,1,0] neg_lo:[0,0,1] neg_hi:[0,0,1]
	v_pk_fma_f32 v[4:5], v[4:5], v[0:1], v[8:9] op_sel:[0,0,1] op_sel_hi:[1,0,0]
	s_delay_alu instid0(VALU_DEP_1) | instskip(SKIP_1) | instid1(VALU_DEP_1)
	v_mov_b32_e32 v11, v5
	v_pk_mul_f32 v[4:5], v[6:7], v[2:3] op_sel:[0,1]
	v_pk_fma_f32 v[8:9], v[6:7], v[0:1], v[4:5] op_sel:[0,0,1] op_sel_hi:[1,1,0] neg_lo:[0,0,1] neg_hi:[0,0,1]
	v_pk_fma_f32 v[4:5], v[6:7], v[0:1], v[4:5] op_sel:[0,0,1] op_sel_hi:[1,0,0]
	s_delay_alu instid0(VALU_DEP_1)
	v_mov_b32_e32 v9, v5
	ds_load_2addr_b64 v[4:7], v202 offset0:29 offset1:30
	v_pk_add_f32 v[108:109], v[108:109], v[10:11] neg_lo:[0,1] neg_hi:[0,1]
	v_pk_add_f32 v[130:131], v[130:131], v[8:9] neg_lo:[0,1] neg_hi:[0,1]
	s_wait_dscnt 0x0
	v_pk_mul_f32 v[8:9], v[4:5], v[2:3] op_sel:[0,1]
	s_delay_alu instid0(VALU_DEP_1) | instskip(SKIP_1) | instid1(VALU_DEP_1)
	v_pk_fma_f32 v[10:11], v[4:5], v[0:1], v[8:9] op_sel:[0,0,1] op_sel_hi:[1,1,0] neg_lo:[0,0,1] neg_hi:[0,0,1]
	v_pk_fma_f32 v[4:5], v[4:5], v[0:1], v[8:9] op_sel:[0,0,1] op_sel_hi:[1,0,0]
	v_mov_b32_e32 v11, v5
	v_pk_mul_f32 v[4:5], v[6:7], v[2:3] op_sel:[0,1]
	s_delay_alu instid0(VALU_DEP_1) | instskip(SKIP_1) | instid1(VALU_DEP_1)
	v_pk_fma_f32 v[8:9], v[6:7], v[0:1], v[4:5] op_sel:[0,0,1] op_sel_hi:[1,1,0] neg_lo:[0,0,1] neg_hi:[0,0,1]
	v_pk_fma_f32 v[4:5], v[6:7], v[0:1], v[4:5] op_sel:[0,0,1] op_sel_hi:[1,0,0]
	v_mov_b32_e32 v9, v5
	ds_load_2addr_b64 v[4:7], v202 offset0:31 offset1:32
	v_pk_add_f32 v[126:127], v[126:127], v[10:11] neg_lo:[0,1] neg_hi:[0,1]
	v_pk_add_f32 v[128:129], v[128:129], v[8:9] neg_lo:[0,1] neg_hi:[0,1]
	s_wait_dscnt 0x0
	v_dual_mul_f32 v8, v5, v3 :: v_dual_mul_f32 v10, v5, v0
	s_delay_alu instid0(VALU_DEP_1) | instskip(NEXT) | instid1(VALU_DEP_2)
	v_pk_fma_f32 v[8:9], v[4:5], v[46:47], v[8:9] op_sel_hi:[1,1,0] neg_lo:[0,0,1] neg_hi:[0,0,1]
	v_pk_fma_f32 v[4:5], v[4:5], v[46:47], v[10:11] op_sel:[1,0,0] op_sel_hi:[0,1,0]
	s_delay_alu instid0(VALU_DEP_1) | instskip(SKIP_1) | instid1(VALU_DEP_2)
	v_mov_b32_e32 v9, v5
	v_pk_mul_f32 v[4:5], v[6:7], v[2:3] op_sel:[0,1]
	v_pk_add_f32 v[124:125], v[124:125], v[8:9] neg_lo:[0,1] neg_hi:[0,1]
	s_delay_alu instid0(VALU_DEP_2) | instskip(SKIP_1) | instid1(VALU_DEP_1)
	v_pk_fma_f32 v[8:9], v[6:7], v[0:1], v[4:5] op_sel:[0,0,1] op_sel_hi:[1,1,0] neg_lo:[0,0,1] neg_hi:[0,0,1]
	v_pk_fma_f32 v[4:5], v[6:7], v[0:1], v[4:5] op_sel:[0,0,1] op_sel_hi:[1,0,0]
	v_mov_b32_e32 v9, v5
	ds_load_2addr_b64 v[4:7], v202 offset0:33 offset1:34
	v_pk_add_f32 v[146:147], v[146:147], v[8:9] neg_lo:[0,1] neg_hi:[0,1]
	s_wait_dscnt 0x0
	v_pk_mul_f32 v[8:9], v[4:5], v[2:3] op_sel:[0,1]
	s_delay_alu instid0(VALU_DEP_1) | instskip(SKIP_1) | instid1(VALU_DEP_1)
	v_pk_fma_f32 v[10:11], v[4:5], v[0:1], v[8:9] op_sel:[0,0,1] op_sel_hi:[1,1,0] neg_lo:[0,0,1] neg_hi:[0,0,1]
	v_pk_fma_f32 v[4:5], v[4:5], v[0:1], v[8:9] op_sel:[0,0,1] op_sel_hi:[1,0,0]
	v_mov_b32_e32 v11, v5
	v_pk_mul_f32 v[4:5], v[6:7], v[2:3] op_sel:[0,1]
	s_delay_alu instid0(VALU_DEP_2) | instskip(NEXT) | instid1(VALU_DEP_2)
	v_pk_add_f32 v[142:143], v[142:143], v[10:11] neg_lo:[0,1] neg_hi:[0,1]
	v_pk_fma_f32 v[8:9], v[6:7], v[0:1], v[4:5] op_sel:[0,0,1] op_sel_hi:[1,1,0] neg_lo:[0,0,1] neg_hi:[0,0,1]
	v_pk_fma_f32 v[4:5], v[6:7], v[0:1], v[4:5] op_sel:[0,0,1] op_sel_hi:[1,0,0]
	s_delay_alu instid0(VALU_DEP_1) | instskip(SKIP_4) | instid1(VALU_DEP_1)
	v_mov_b32_e32 v9, v5
	ds_load_2addr_b64 v[4:7], v202 offset0:35 offset1:36
	v_pk_add_f32 v[144:145], v[144:145], v[8:9] neg_lo:[0,1] neg_hi:[0,1]
	s_wait_dscnt 0x0
	v_pk_mul_f32 v[8:9], v[4:5], v[2:3] op_sel:[0,1]
	v_pk_fma_f32 v[10:11], v[4:5], v[0:1], v[8:9] op_sel:[0,0,1] op_sel_hi:[1,1,0] neg_lo:[0,0,1] neg_hi:[0,0,1]
	v_pk_fma_f32 v[4:5], v[4:5], v[0:1], v[8:9] op_sel:[0,0,1] op_sel_hi:[1,0,0]
	v_dual_mul_f32 v8, v7, v3 :: v_dual_mov_b32 v4, v7
	s_delay_alu instid0(VALU_DEP_2) | instskip(NEXT) | instid1(VALU_DEP_2)
	v_dual_mov_b32 v11, v5 :: v_dual_mov_b32 v5, v6
	v_pk_fma_f32 v[8:9], v[6:7], v[46:47], v[8:9] op_sel_hi:[1,1,0] neg_lo:[0,0,1] neg_hi:[0,0,1]
	v_mul_f32_e32 v6, v7, v0
	s_delay_alu instid0(VALU_DEP_3) | instskip(NEXT) | instid1(VALU_DEP_2)
	v_pk_add_f32 v[140:141], v[140:141], v[10:11] neg_lo:[0,1] neg_hi:[0,1]
	v_pk_fma_f32 v[4:5], v[4:5], v[46:47], v[6:7] op_sel_hi:[1,1,0]
	s_delay_alu instid0(VALU_DEP_1) | instskip(SKIP_4) | instid1(VALU_DEP_1)
	v_mov_b32_e32 v9, v5
	ds_load_2addr_b64 v[4:7], v202 offset0:37 offset1:38
	v_pk_add_f32 v[162:163], v[162:163], v[8:9] neg_lo:[0,1] neg_hi:[0,1]
	s_wait_dscnt 0x0
	v_pk_mul_f32 v[8:9], v[4:5], v[2:3] op_sel:[0,1]
	v_pk_fma_f32 v[10:11], v[4:5], v[0:1], v[8:9] op_sel:[0,0,1] op_sel_hi:[1,1,0] neg_lo:[0,0,1] neg_hi:[0,0,1]
	v_pk_fma_f32 v[4:5], v[4:5], v[0:1], v[8:9] op_sel:[0,0,1] op_sel_hi:[1,0,0]
	s_delay_alu instid0(VALU_DEP_1) | instskip(SKIP_1) | instid1(VALU_DEP_1)
	v_mov_b32_e32 v11, v5
	v_pk_mul_f32 v[4:5], v[6:7], v[2:3] op_sel:[0,1]
	v_pk_fma_f32 v[8:9], v[6:7], v[0:1], v[4:5] op_sel:[0,0,1] op_sel_hi:[1,1,0] neg_lo:[0,0,1] neg_hi:[0,0,1]
	v_pk_fma_f32 v[4:5], v[6:7], v[0:1], v[4:5] op_sel:[0,0,1] op_sel_hi:[1,0,0]
	s_delay_alu instid0(VALU_DEP_1)
	v_mov_b32_e32 v9, v5
	ds_load_2addr_b64 v[4:7], v202 offset0:39 offset1:40
	v_pk_add_f32 v[158:159], v[158:159], v[10:11] neg_lo:[0,1] neg_hi:[0,1]
	v_pk_add_f32 v[160:161], v[160:161], v[8:9] neg_lo:[0,1] neg_hi:[0,1]
	s_wait_dscnt 0x0
	v_pk_mul_f32 v[8:9], v[4:5], v[2:3] op_sel:[0,1]
	s_delay_alu instid0(VALU_DEP_1) | instskip(SKIP_1) | instid1(VALU_DEP_1)
	v_pk_fma_f32 v[10:11], v[4:5], v[0:1], v[8:9] op_sel:[0,0,1] op_sel_hi:[1,1,0] neg_lo:[0,0,1] neg_hi:[0,0,1]
	v_pk_fma_f32 v[4:5], v[4:5], v[0:1], v[8:9] op_sel:[0,0,1] op_sel_hi:[1,0,0]
	v_mov_b32_e32 v11, v5
	v_pk_mul_f32 v[4:5], v[6:7], v[2:3] op_sel:[0,1]
	s_delay_alu instid0(VALU_DEP_1) | instskip(SKIP_1) | instid1(VALU_DEP_1)
	v_pk_fma_f32 v[8:9], v[6:7], v[0:1], v[4:5] op_sel:[0,0,1] op_sel_hi:[1,1,0] neg_lo:[0,0,1] neg_hi:[0,0,1]
	v_pk_fma_f32 v[4:5], v[6:7], v[0:1], v[4:5] op_sel:[0,0,1] op_sel_hi:[1,0,0]
	v_mov_b32_e32 v9, v5
	ds_load_2addr_b64 v[4:7], v202 offset0:41 offset1:42
	v_pk_add_f32 v[156:157], v[156:157], v[10:11] neg_lo:[0,1] neg_hi:[0,1]
	v_pk_add_f32 v[178:179], v[178:179], v[8:9] neg_lo:[0,1] neg_hi:[0,1]
	s_wait_dscnt 0x0
	v_dual_mul_f32 v8, v5, v3 :: v_dual_mul_f32 v10, v5, v0
	s_delay_alu instid0(VALU_DEP_1) | instskip(NEXT) | instid1(VALU_DEP_2)
	v_pk_fma_f32 v[8:9], v[4:5], v[46:47], v[8:9] op_sel_hi:[1,1,0] neg_lo:[0,0,1] neg_hi:[0,0,1]
	v_pk_fma_f32 v[4:5], v[4:5], v[46:47], v[10:11] op_sel:[1,0,0] op_sel_hi:[0,1,0]
	s_delay_alu instid0(VALU_DEP_1) | instskip(SKIP_1) | instid1(VALU_DEP_2)
	v_mov_b32_e32 v9, v5
	v_pk_mul_f32 v[4:5], v[6:7], v[2:3] op_sel:[0,1]
	v_pk_add_f32 v[174:175], v[174:175], v[8:9] neg_lo:[0,1] neg_hi:[0,1]
	s_delay_alu instid0(VALU_DEP_2) | instskip(SKIP_1) | instid1(VALU_DEP_1)
	v_pk_fma_f32 v[8:9], v[6:7], v[0:1], v[4:5] op_sel:[0,0,1] op_sel_hi:[1,1,0] neg_lo:[0,0,1] neg_hi:[0,0,1]
	v_pk_fma_f32 v[4:5], v[6:7], v[0:1], v[4:5] op_sel:[0,0,1] op_sel_hi:[1,0,0]
	v_mov_b32_e32 v9, v5
	ds_load_2addr_b64 v[4:7], v202 offset0:43 offset1:44
	v_pk_add_f32 v[176:177], v[176:177], v[8:9] neg_lo:[0,1] neg_hi:[0,1]
	s_wait_dscnt 0x0
	v_pk_mul_f32 v[8:9], v[4:5], v[2:3] op_sel:[0,1]
	s_delay_alu instid0(VALU_DEP_1) | instskip(SKIP_1) | instid1(VALU_DEP_1)
	v_pk_fma_f32 v[10:11], v[4:5], v[0:1], v[8:9] op_sel:[0,0,1] op_sel_hi:[1,1,0] neg_lo:[0,0,1] neg_hi:[0,0,1]
	v_pk_fma_f32 v[4:5], v[4:5], v[0:1], v[8:9] op_sel:[0,0,1] op_sel_hi:[1,0,0]
	v_mov_b32_e32 v11, v5
	v_pk_mul_f32 v[4:5], v[6:7], v[2:3] op_sel:[0,1]
	s_delay_alu instid0(VALU_DEP_2) | instskip(NEXT) | instid1(VALU_DEP_2)
	v_pk_add_f32 v[172:173], v[172:173], v[10:11] neg_lo:[0,1] neg_hi:[0,1]
	v_pk_fma_f32 v[8:9], v[6:7], v[0:1], v[4:5] op_sel:[0,0,1] op_sel_hi:[1,1,0] neg_lo:[0,0,1] neg_hi:[0,0,1]
	v_pk_fma_f32 v[4:5], v[6:7], v[0:1], v[4:5] op_sel:[0,0,1] op_sel_hi:[1,0,0]
	s_delay_alu instid0(VALU_DEP_1) | instskip(SKIP_4) | instid1(VALU_DEP_1)
	v_mov_b32_e32 v9, v5
	ds_load_2addr_b64 v[4:7], v202 offset0:45 offset1:46
	v_pk_add_f32 v[194:195], v[194:195], v[8:9] neg_lo:[0,1] neg_hi:[0,1]
	s_wait_dscnt 0x0
	v_pk_mul_f32 v[8:9], v[4:5], v[2:3] op_sel:[0,1]
	v_pk_fma_f32 v[10:11], v[4:5], v[0:1], v[8:9] op_sel:[0,0,1] op_sel_hi:[1,1,0] neg_lo:[0,0,1] neg_hi:[0,0,1]
	v_pk_fma_f32 v[4:5], v[4:5], v[0:1], v[8:9] op_sel:[0,0,1] op_sel_hi:[1,0,0]
	v_dual_mul_f32 v8, v7, v3 :: v_dual_mov_b32 v4, v7
	s_delay_alu instid0(VALU_DEP_2) | instskip(NEXT) | instid1(VALU_DEP_2)
	v_dual_mov_b32 v11, v5 :: v_dual_mov_b32 v5, v6
	v_pk_fma_f32 v[8:9], v[6:7], v[46:47], v[8:9] op_sel_hi:[1,1,0] neg_lo:[0,0,1] neg_hi:[0,0,1]
	v_mul_f32_e32 v6, v7, v0
	s_delay_alu instid0(VALU_DEP_3) | instskip(NEXT) | instid1(VALU_DEP_2)
	v_pk_add_f32 v[190:191], v[190:191], v[10:11] neg_lo:[0,1] neg_hi:[0,1]
	v_pk_fma_f32 v[4:5], v[4:5], v[46:47], v[6:7] op_sel_hi:[1,1,0]
	s_delay_alu instid0(VALU_DEP_1) | instskip(SKIP_4) | instid1(VALU_DEP_1)
	v_mov_b32_e32 v9, v5
	ds_load_2addr_b64 v[4:7], v202 offset0:47 offset1:48
	v_pk_add_f32 v[192:193], v[192:193], v[8:9] neg_lo:[0,1] neg_hi:[0,1]
	s_wait_dscnt 0x0
	v_pk_mul_f32 v[8:9], v[4:5], v[2:3] op_sel:[0,1]
	v_pk_fma_f32 v[10:11], v[4:5], v[0:1], v[8:9] op_sel:[0,0,1] op_sel_hi:[1,1,0] neg_lo:[0,0,1] neg_hi:[0,0,1]
	v_pk_fma_f32 v[4:5], v[4:5], v[0:1], v[8:9] op_sel:[0,0,1] op_sel_hi:[1,0,0]
	s_delay_alu instid0(VALU_DEP_1) | instskip(SKIP_1) | instid1(VALU_DEP_1)
	v_mov_b32_e32 v11, v5
	v_pk_mul_f32 v[4:5], v[6:7], v[2:3] op_sel:[0,1]
	v_pk_fma_f32 v[8:9], v[6:7], v[0:1], v[4:5] op_sel:[0,0,1] op_sel_hi:[1,1,0] neg_lo:[0,0,1] neg_hi:[0,0,1]
	v_pk_fma_f32 v[4:5], v[6:7], v[0:1], v[4:5] op_sel:[0,0,1] op_sel_hi:[1,0,0]
	s_delay_alu instid0(VALU_DEP_1)
	v_mov_b32_e32 v9, v5
	ds_load_2addr_b64 v[4:7], v202 offset0:49 offset1:50
	v_pk_add_f32 v[188:189], v[188:189], v[10:11] neg_lo:[0,1] neg_hi:[0,1]
	v_pk_add_f32 v[212:213], v[212:213], v[8:9] neg_lo:[0,1] neg_hi:[0,1]
	s_wait_dscnt 0x0
	v_pk_mul_f32 v[8:9], v[4:5], v[2:3] op_sel:[0,1]
	s_delay_alu instid0(VALU_DEP_1) | instskip(SKIP_1) | instid1(VALU_DEP_1)
	v_pk_fma_f32 v[10:11], v[4:5], v[0:1], v[8:9] op_sel:[0,0,1] op_sel_hi:[1,1,0] neg_lo:[0,0,1] neg_hi:[0,0,1]
	v_pk_fma_f32 v[4:5], v[4:5], v[0:1], v[8:9] op_sel:[0,0,1] op_sel_hi:[1,0,0]
	v_mov_b32_e32 v11, v5
	v_pk_mul_f32 v[4:5], v[6:7], v[2:3] op_sel:[0,1]
	s_delay_alu instid0(VALU_DEP_1) | instskip(SKIP_1) | instid1(VALU_DEP_1)
	v_pk_fma_f32 v[8:9], v[6:7], v[0:1], v[4:5] op_sel:[0,0,1] op_sel_hi:[1,1,0] neg_lo:[0,0,1] neg_hi:[0,0,1]
	v_pk_fma_f32 v[4:5], v[6:7], v[0:1], v[4:5] op_sel:[0,0,1] op_sel_hi:[1,0,0]
	v_mov_b32_e32 v9, v5
	ds_load_2addr_b64 v[4:7], v202 offset0:51 offset1:52
	v_pk_add_f32 v[208:209], v[208:209], v[10:11] neg_lo:[0,1] neg_hi:[0,1]
	v_pk_add_f32 v[210:211], v[210:211], v[8:9] neg_lo:[0,1] neg_hi:[0,1]
	s_wait_dscnt 0x0
	v_dual_mul_f32 v8, v5, v3 :: v_dual_mul_f32 v10, v5, v0
	s_delay_alu instid0(VALU_DEP_1) | instskip(NEXT) | instid1(VALU_DEP_2)
	v_pk_fma_f32 v[8:9], v[4:5], v[46:47], v[8:9] op_sel_hi:[1,1,0] neg_lo:[0,0,1] neg_hi:[0,0,1]
	v_pk_fma_f32 v[4:5], v[4:5], v[46:47], v[10:11] op_sel:[1,0,0] op_sel_hi:[0,1,0]
	s_delay_alu instid0(VALU_DEP_1) | instskip(SKIP_1) | instid1(VALU_DEP_2)
	v_mov_b32_e32 v9, v5
	v_pk_mul_f32 v[4:5], v[6:7], v[2:3] op_sel:[0,1]
	v_pk_add_f32 v[206:207], v[206:207], v[8:9] neg_lo:[0,1] neg_hi:[0,1]
	s_delay_alu instid0(VALU_DEP_2) | instskip(SKIP_1) | instid1(VALU_DEP_1)
	v_pk_fma_f32 v[8:9], v[6:7], v[0:1], v[4:5] op_sel:[0,0,1] op_sel_hi:[1,1,0] neg_lo:[0,0,1] neg_hi:[0,0,1]
	v_pk_fma_f32 v[4:5], v[6:7], v[0:1], v[4:5] op_sel:[0,0,1] op_sel_hi:[1,0,0]
	v_mov_b32_e32 v9, v5
	ds_load_2addr_b64 v[4:7], v202 offset0:53 offset1:54
	v_pk_add_f32 v[232:233], v[232:233], v[8:9] neg_lo:[0,1] neg_hi:[0,1]
	s_wait_dscnt 0x0
	v_pk_mul_f32 v[8:9], v[4:5], v[2:3] op_sel:[0,1]
	s_delay_alu instid0(VALU_DEP_1) | instskip(SKIP_1) | instid1(VALU_DEP_1)
	v_pk_fma_f32 v[10:11], v[4:5], v[0:1], v[8:9] op_sel:[0,0,1] op_sel_hi:[1,1,0] neg_lo:[0,0,1] neg_hi:[0,0,1]
	v_pk_fma_f32 v[4:5], v[4:5], v[0:1], v[8:9] op_sel:[0,0,1] op_sel_hi:[1,0,0]
	v_mov_b32_e32 v11, v5
	v_pk_mul_f32 v[4:5], v[6:7], v[2:3] op_sel:[0,1]
	s_delay_alu instid0(VALU_DEP_2) | instskip(NEXT) | instid1(VALU_DEP_2)
	v_pk_add_f32 v[226:227], v[226:227], v[10:11] neg_lo:[0,1] neg_hi:[0,1]
	v_pk_fma_f32 v[8:9], v[6:7], v[0:1], v[4:5] op_sel:[0,0,1] op_sel_hi:[1,1,0] neg_lo:[0,0,1] neg_hi:[0,0,1]
	v_pk_fma_f32 v[4:5], v[6:7], v[0:1], v[4:5] op_sel:[0,0,1] op_sel_hi:[1,0,0]
	s_delay_alu instid0(VALU_DEP_1) | instskip(SKIP_4) | instid1(VALU_DEP_1)
	v_mov_b32_e32 v9, v5
	ds_load_2addr_b64 v[4:7], v202 offset0:55 offset1:56
	v_pk_add_f32 v[230:231], v[230:231], v[8:9] neg_lo:[0,1] neg_hi:[0,1]
	s_wait_dscnt 0x0
	v_pk_mul_f32 v[8:9], v[4:5], v[2:3] op_sel:[0,1]
	v_pk_fma_f32 v[10:11], v[4:5], v[0:1], v[8:9] op_sel:[0,0,1] op_sel_hi:[1,1,0] neg_lo:[0,0,1] neg_hi:[0,0,1]
	v_pk_fma_f32 v[4:5], v[4:5], v[0:1], v[8:9] op_sel:[0,0,1] op_sel_hi:[1,0,0]
	v_dual_mul_f32 v8, v7, v3 :: v_dual_mov_b32 v4, v7
	s_delay_alu instid0(VALU_DEP_2) | instskip(NEXT) | instid1(VALU_DEP_2)
	v_dual_mov_b32 v11, v5 :: v_dual_mov_b32 v5, v6
	v_pk_fma_f32 v[8:9], v[6:7], v[46:47], v[8:9] op_sel_hi:[1,1,0] neg_lo:[0,0,1] neg_hi:[0,0,1]
	v_mul_f32_e32 v6, v7, v0
	s_delay_alu instid0(VALU_DEP_3) | instskip(NEXT) | instid1(VALU_DEP_2)
	v_pk_add_f32 v[224:225], v[224:225], v[10:11] neg_lo:[0,1] neg_hi:[0,1]
	v_pk_fma_f32 v[4:5], v[4:5], v[46:47], v[6:7] op_sel_hi:[1,1,0]
	s_delay_alu instid0(VALU_DEP_1)
	v_mov_b32_e32 v9, v5
	ds_load_2addr_b64 v[4:7], v202 offset0:57 offset1:58
	v_pk_add_f32 v[228:229], v[228:229], v[8:9] neg_lo:[0,1] neg_hi:[0,1]
	s_wait_dscnt 0x0
	v_pk_mul_f32 v[8:9], v[4:5], v[2:3] op_sel:[0,1]
	v_pk_mul_f32 v[2:3], v[6:7], v[2:3] op_sel:[0,1]
	s_delay_alu instid0(VALU_DEP_2) | instskip(SKIP_1) | instid1(VALU_DEP_1)
	v_pk_fma_f32 v[10:11], v[4:5], v[0:1], v[8:9] op_sel:[0,0,1] op_sel_hi:[1,1,0] neg_lo:[0,0,1] neg_hi:[0,0,1]
	v_pk_fma_f32 v[4:5], v[4:5], v[0:1], v[8:9] op_sel:[0,0,1] op_sel_hi:[1,0,0]
	v_mov_b32_e32 v11, v5
	s_delay_alu instid0(VALU_DEP_4) | instskip(SKIP_1) | instid1(VALU_DEP_1)
	v_pk_fma_f32 v[4:5], v[6:7], v[0:1], v[2:3] op_sel:[0,0,1] op_sel_hi:[1,1,0] neg_lo:[0,0,1] neg_hi:[0,0,1]
	v_pk_fma_f32 v[0:1], v[6:7], v[0:1], v[2:3] op_sel:[0,0,1] op_sel_hi:[1,0,0]
	v_mov_b32_e32 v5, v1
	s_delay_alu instid0(VALU_DEP_4) | instskip(NEXT) | instid1(VALU_DEP_2)
	v_pk_add_f32 v[234:235], v[234:235], v[10:11] neg_lo:[0,1] neg_hi:[0,1]
	v_pk_add_f32 v[236:237], v[236:237], v[4:5] neg_lo:[0,1] neg_hi:[0,1]
.LBB117_28:
	s_wait_xcnt 0x0
	s_or_b32 exec_lo, exec_lo, s1
	s_delay_alu instid0(SALU_CYCLE_1)
	s_mov_b32 s2, exec_lo
	s_wait_storecnt 0x0
	s_barrier_signal -1
	s_barrier_wait -1
	v_cmpx_eq_u32_e32 3, v200
	s_cbranch_execz .LBB117_35
; %bb.29:
	v_dual_mov_b32 v0, v26 :: v_dual_mov_b32 v1, v27
	v_dual_mov_b32 v2, v22 :: v_dual_mov_b32 v3, v23
	ds_store_b64 v201, v[44:45]
	ds_store_2addr_b64 v202, v[0:1], v[2:3] offset0:4 offset1:5
	v_dual_mov_b32 v0, v24 :: v_dual_mov_b32 v1, v25
	v_dual_mov_b32 v2, v20 :: v_dual_mov_b32 v3, v21
	ds_store_2addr_b64 v202, v[0:1], v[2:3] offset0:6 offset1:7
	v_dual_mov_b32 v0, v40 :: v_dual_mov_b32 v1, v41
	v_dual_mov_b32 v2, v36 :: v_dual_mov_b32 v3, v37
	;; [unrolled: 3-line block ×26, first 2 shown]
	ds_store_2addr_b64 v202, v[0:1], v[2:3] offset0:56 offset1:57
	ds_store_b64 v202, v[236:237] offset:464
	ds_load_b64 v[0:1], v201
	s_wait_dscnt 0x0
	v_cmp_neq_f32_e32 vcc_lo, 0, v0
	v_cmp_neq_f32_e64 s1, 0, v1
	s_or_b32 s1, vcc_lo, s1
	s_delay_alu instid0(SALU_CYCLE_1)
	s_and_b32 exec_lo, exec_lo, s1
	s_cbranch_execz .LBB117_35
; %bb.30:
	v_cmp_ngt_f32_e64 s1, |v0|, |v1|
                                        ; implicit-def: $vgpr2_vgpr3
	s_and_saveexec_b32 s4, s1
	s_delay_alu instid0(SALU_CYCLE_1)
	s_xor_b32 s1, exec_lo, s4
	s_cbranch_execz .LBB117_32
; %bb.31:
	v_div_scale_f32 v2, null, v1, v1, v0
	v_div_scale_f32 v5, vcc_lo, v0, v1, v0
	s_delay_alu instid0(VALU_DEP_2) | instskip(SKIP_1) | instid1(TRANS32_DEP_1)
	v_rcp_f32_e32 v3, v2
	v_nop
	v_fma_f32 v4, -v2, v3, 1.0
	s_delay_alu instid0(VALU_DEP_1) | instskip(NEXT) | instid1(VALU_DEP_1)
	v_fmac_f32_e32 v3, v4, v3
	v_mul_f32_e32 v4, v5, v3
	s_delay_alu instid0(VALU_DEP_1) | instskip(NEXT) | instid1(VALU_DEP_1)
	v_fma_f32 v6, -v2, v4, v5
	v_fmac_f32_e32 v4, v6, v3
	s_delay_alu instid0(VALU_DEP_1) | instskip(NEXT) | instid1(VALU_DEP_1)
	v_fma_f32 v2, -v2, v4, v5
	v_div_fmas_f32 v2, v2, v3, v4
	s_delay_alu instid0(VALU_DEP_1) | instskip(NEXT) | instid1(VALU_DEP_1)
	v_div_fixup_f32 v2, v2, v1, v0
	v_fmac_f32_e32 v1, v0, v2
	s_delay_alu instid0(VALU_DEP_1) | instskip(SKIP_1) | instid1(VALU_DEP_2)
	v_div_scale_f32 v0, null, v1, v1, 1.0
	v_div_scale_f32 v5, vcc_lo, 1.0, v1, 1.0
	v_rcp_f32_e32 v3, v0
	v_nop
	s_delay_alu instid0(TRANS32_DEP_1) | instskip(NEXT) | instid1(VALU_DEP_1)
	v_fma_f32 v4, -v0, v3, 1.0
	v_fmac_f32_e32 v3, v4, v3
	s_delay_alu instid0(VALU_DEP_1) | instskip(NEXT) | instid1(VALU_DEP_1)
	v_mul_f32_e32 v4, v5, v3
	v_fma_f32 v6, -v0, v4, v5
	s_delay_alu instid0(VALU_DEP_1) | instskip(NEXT) | instid1(VALU_DEP_1)
	v_fmac_f32_e32 v4, v6, v3
	v_fma_f32 v0, -v0, v4, v5
	s_delay_alu instid0(VALU_DEP_1) | instskip(NEXT) | instid1(VALU_DEP_1)
	v_div_fmas_f32 v0, v0, v3, v4
	v_div_fixup_f32 v0, v0, v1, 1.0
	s_delay_alu instid0(VALU_DEP_1)
	v_mul_f32_e32 v2, v2, v0
	v_xor_b32_e32 v3, 0x80000000, v0
                                        ; implicit-def: $vgpr0_vgpr1
.LBB117_32:
	s_and_not1_saveexec_b32 s1, s1
	s_cbranch_execz .LBB117_34
; %bb.33:
	v_div_scale_f32 v2, null, v0, v0, v1
	v_div_scale_f32 v5, vcc_lo, v1, v0, v1
	s_delay_alu instid0(VALU_DEP_2) | instskip(SKIP_1) | instid1(TRANS32_DEP_1)
	v_rcp_f32_e32 v3, v2
	v_nop
	v_fma_f32 v4, -v2, v3, 1.0
	s_delay_alu instid0(VALU_DEP_1) | instskip(NEXT) | instid1(VALU_DEP_1)
	v_fmac_f32_e32 v3, v4, v3
	v_mul_f32_e32 v4, v5, v3
	s_delay_alu instid0(VALU_DEP_1) | instskip(NEXT) | instid1(VALU_DEP_1)
	v_fma_f32 v6, -v2, v4, v5
	v_fmac_f32_e32 v4, v6, v3
	s_delay_alu instid0(VALU_DEP_1) | instskip(NEXT) | instid1(VALU_DEP_1)
	v_fma_f32 v2, -v2, v4, v5
	v_div_fmas_f32 v2, v2, v3, v4
	s_delay_alu instid0(VALU_DEP_1) | instskip(NEXT) | instid1(VALU_DEP_1)
	v_div_fixup_f32 v3, v2, v0, v1
	v_fmac_f32_e32 v0, v1, v3
	s_delay_alu instid0(VALU_DEP_1) | instskip(NEXT) | instid1(VALU_DEP_1)
	v_div_scale_f32 v1, null, v0, v0, 1.0
	v_rcp_f32_e32 v2, v1
	v_nop
	s_delay_alu instid0(TRANS32_DEP_1) | instskip(NEXT) | instid1(VALU_DEP_1)
	v_fma_f32 v4, -v1, v2, 1.0
	v_fmac_f32_e32 v2, v4, v2
	v_div_scale_f32 v4, vcc_lo, 1.0, v0, 1.0
	s_delay_alu instid0(VALU_DEP_1) | instskip(NEXT) | instid1(VALU_DEP_1)
	v_mul_f32_e32 v5, v4, v2
	v_fma_f32 v6, -v1, v5, v4
	s_delay_alu instid0(VALU_DEP_1) | instskip(NEXT) | instid1(VALU_DEP_1)
	v_fmac_f32_e32 v5, v6, v2
	v_fma_f32 v1, -v1, v5, v4
	s_delay_alu instid0(VALU_DEP_1) | instskip(NEXT) | instid1(VALU_DEP_1)
	v_div_fmas_f32 v1, v1, v2, v5
	v_div_fixup_f32 v2, v1, v0, 1.0
	s_delay_alu instid0(VALU_DEP_1)
	v_mul_f32_e64 v3, v3, -v2
.LBB117_34:
	s_or_b32 exec_lo, exec_lo, s1
	ds_store_b64 v201, v[2:3]
.LBB117_35:
	s_or_b32 exec_lo, exec_lo, s2
	s_wait_dscnt 0x0
	s_barrier_signal -1
	s_barrier_wait -1
	ds_load_b64 v[0:1], v201
	s_mov_b32 s1, exec_lo
	s_wait_dscnt 0x0
	scratch_store_b64 off, v[0:1], off offset:392 ; 8-byte Folded Spill
	s_wait_xcnt 0x0
	v_cmpx_lt_u32_e32 3, v200
	s_cbranch_execz .LBB117_37
; %bb.36:
	scratch_load_b64 v[4:5], off, off offset:392 ; 8-byte Folded Reload
	s_wait_loadcnt 0x0
	v_pk_mul_f32 v[2:3], v[4:5], v[44:45] op_sel:[1,1] op_sel_hi:[0,1]
	s_delay_alu instid0(VALU_DEP_1)
	v_pk_fma_f32 v[0:1], v[4:5], v[44:45], v[2:3] op_sel_hi:[1,0,1] neg_lo:[0,0,1] neg_hi:[0,0,1]
	v_pk_fma_f32 v[2:3], v[4:5], v[44:45], v[2:3] op_sel_hi:[1,0,1]
	ds_load_2addr_b64 v[4:7], v202 offset0:4 offset1:5
	v_dual_mov_b32 v44, v0 :: v_dual_mov_b32 v45, v3
	s_wait_dscnt 0x0
	v_pk_mul_f32 v[8:9], v[4:5], v[2:3] op_sel:[0,1]
	s_delay_alu instid0(VALU_DEP_1) | instskip(SKIP_1) | instid1(VALU_DEP_1)
	v_pk_fma_f32 v[10:11], v[4:5], v[0:1], v[8:9] op_sel:[0,0,1] op_sel_hi:[1,1,0] neg_lo:[0,0,1] neg_hi:[0,0,1]
	v_pk_fma_f32 v[4:5], v[4:5], v[0:1], v[8:9] op_sel:[0,0,1] op_sel_hi:[1,0,0]
	v_mov_b32_e32 v11, v5
	v_pk_mul_f32 v[4:5], v[6:7], v[2:3] op_sel:[0,1]
	s_delay_alu instid0(VALU_DEP_1) | instskip(SKIP_1) | instid1(VALU_DEP_1)
	v_pk_fma_f32 v[8:9], v[6:7], v[0:1], v[4:5] op_sel:[0,0,1] op_sel_hi:[1,1,0] neg_lo:[0,0,1] neg_hi:[0,0,1]
	v_pk_fma_f32 v[4:5], v[6:7], v[0:1], v[4:5] op_sel:[0,0,1] op_sel_hi:[1,0,0]
	v_mov_b32_e32 v9, v5
	ds_load_2addr_b64 v[4:7], v202 offset0:6 offset1:7
	v_pk_add_f32 v[26:27], v[26:27], v[10:11] neg_lo:[0,1] neg_hi:[0,1]
	v_pk_add_f32 v[22:23], v[22:23], v[8:9] neg_lo:[0,1] neg_hi:[0,1]
	s_wait_dscnt 0x0
	v_pk_mul_f32 v[8:9], v[4:5], v[2:3] op_sel:[0,1]
	s_delay_alu instid0(VALU_DEP_1) | instskip(SKIP_2) | instid1(VALU_DEP_2)
	v_pk_fma_f32 v[10:11], v[4:5], v[0:1], v[8:9] op_sel:[0,0,1] op_sel_hi:[1,1,0] neg_lo:[0,0,1] neg_hi:[0,0,1]
	v_pk_fma_f32 v[4:5], v[4:5], v[0:1], v[8:9] op_sel:[0,0,1] op_sel_hi:[1,0,0]
	v_dual_mul_f32 v8, v7, v3 :: v_dual_mov_b32 v4, v7
	v_dual_mov_b32 v11, v5 :: v_dual_mov_b32 v5, v6
	s_delay_alu instid0(VALU_DEP_2) | instskip(SKIP_1) | instid1(VALU_DEP_3)
	v_pk_fma_f32 v[8:9], v[6:7], v[44:45], v[8:9] op_sel_hi:[1,1,0] neg_lo:[0,0,1] neg_hi:[0,0,1]
	v_mul_f32_e32 v6, v7, v0
	v_pk_add_f32 v[24:25], v[24:25], v[10:11] neg_lo:[0,1] neg_hi:[0,1]
	s_delay_alu instid0(VALU_DEP_2) | instskip(NEXT) | instid1(VALU_DEP_1)
	v_pk_fma_f32 v[4:5], v[4:5], v[44:45], v[6:7] op_sel_hi:[1,1,0]
	v_mov_b32_e32 v9, v5
	ds_load_2addr_b64 v[4:7], v202 offset0:8 offset1:9
	v_pk_add_f32 v[20:21], v[20:21], v[8:9] neg_lo:[0,1] neg_hi:[0,1]
	s_wait_dscnt 0x0
	v_pk_mul_f32 v[8:9], v[4:5], v[2:3] op_sel:[0,1]
	s_delay_alu instid0(VALU_DEP_1) | instskip(SKIP_1) | instid1(VALU_DEP_1)
	v_pk_fma_f32 v[10:11], v[4:5], v[0:1], v[8:9] op_sel:[0,0,1] op_sel_hi:[1,1,0] neg_lo:[0,0,1] neg_hi:[0,0,1]
	v_pk_fma_f32 v[4:5], v[4:5], v[0:1], v[8:9] op_sel:[0,0,1] op_sel_hi:[1,0,0]
	v_mov_b32_e32 v11, v5
	v_pk_mul_f32 v[4:5], v[6:7], v[2:3] op_sel:[0,1]
	s_delay_alu instid0(VALU_DEP_1) | instskip(SKIP_1) | instid1(VALU_DEP_1)
	v_pk_fma_f32 v[8:9], v[6:7], v[0:1], v[4:5] op_sel:[0,0,1] op_sel_hi:[1,1,0] neg_lo:[0,0,1] neg_hi:[0,0,1]
	v_pk_fma_f32 v[4:5], v[6:7], v[0:1], v[4:5] op_sel:[0,0,1] op_sel_hi:[1,0,0]
	v_mov_b32_e32 v9, v5
	ds_load_2addr_b64 v[4:7], v202 offset0:10 offset1:11
	v_pk_add_f32 v[40:41], v[40:41], v[10:11] neg_lo:[0,1] neg_hi:[0,1]
	v_pk_add_f32 v[36:37], v[36:37], v[8:9] neg_lo:[0,1] neg_hi:[0,1]
	s_wait_dscnt 0x0
	v_pk_mul_f32 v[8:9], v[4:5], v[2:3] op_sel:[0,1]
	s_delay_alu instid0(VALU_DEP_1) | instskip(SKIP_1) | instid1(VALU_DEP_1)
	v_pk_fma_f32 v[10:11], v[4:5], v[0:1], v[8:9] op_sel:[0,0,1] op_sel_hi:[1,1,0] neg_lo:[0,0,1] neg_hi:[0,0,1]
	v_pk_fma_f32 v[4:5], v[4:5], v[0:1], v[8:9] op_sel:[0,0,1] op_sel_hi:[1,0,0]
	v_mov_b32_e32 v11, v5
	v_pk_mul_f32 v[4:5], v[6:7], v[2:3] op_sel:[0,1]
	s_delay_alu instid0(VALU_DEP_1) | instskip(SKIP_1) | instid1(VALU_DEP_1)
	v_pk_fma_f32 v[8:9], v[6:7], v[0:1], v[4:5] op_sel:[0,0,1] op_sel_hi:[1,1,0] neg_lo:[0,0,1] neg_hi:[0,0,1]
	v_pk_fma_f32 v[4:5], v[6:7], v[0:1], v[4:5] op_sel:[0,0,1] op_sel_hi:[1,0,0]
	v_mov_b32_e32 v9, v5
	ds_load_2addr_b64 v[4:7], v202 offset0:12 offset1:13
	v_pk_add_f32 v[38:39], v[38:39], v[10:11] neg_lo:[0,1] neg_hi:[0,1]
	v_pk_add_f32 v[34:35], v[34:35], v[8:9] neg_lo:[0,1] neg_hi:[0,1]
	s_wait_dscnt 0x0
	v_dual_mul_f32 v8, v5, v3 :: v_dual_mul_f32 v10, v5, v0
	s_delay_alu instid0(VALU_DEP_1) | instskip(NEXT) | instid1(VALU_DEP_2)
	v_pk_fma_f32 v[8:9], v[4:5], v[44:45], v[8:9] op_sel_hi:[1,1,0] neg_lo:[0,0,1] neg_hi:[0,0,1]
	v_pk_fma_f32 v[4:5], v[4:5], v[44:45], v[10:11] op_sel:[1,0,0] op_sel_hi:[0,1,0]
	s_delay_alu instid0(VALU_DEP_1) | instskip(SKIP_1) | instid1(VALU_DEP_2)
	v_mov_b32_e32 v9, v5
	v_pk_mul_f32 v[4:5], v[6:7], v[2:3] op_sel:[0,1]
	v_pk_add_f32 v[66:67], v[66:67], v[8:9] neg_lo:[0,1] neg_hi:[0,1]
	s_delay_alu instid0(VALU_DEP_2) | instskip(SKIP_1) | instid1(VALU_DEP_1)
	v_pk_fma_f32 v[8:9], v[6:7], v[0:1], v[4:5] op_sel:[0,0,1] op_sel_hi:[1,1,0] neg_lo:[0,0,1] neg_hi:[0,0,1]
	v_pk_fma_f32 v[4:5], v[6:7], v[0:1], v[4:5] op_sel:[0,0,1] op_sel_hi:[1,0,0]
	v_mov_b32_e32 v9, v5
	ds_load_2addr_b64 v[4:7], v202 offset0:14 offset1:15
	v_pk_add_f32 v[62:63], v[62:63], v[8:9] neg_lo:[0,1] neg_hi:[0,1]
	s_wait_dscnt 0x0
	v_pk_mul_f32 v[8:9], v[4:5], v[2:3] op_sel:[0,1]
	s_delay_alu instid0(VALU_DEP_1) | instskip(SKIP_1) | instid1(VALU_DEP_1)
	v_pk_fma_f32 v[10:11], v[4:5], v[0:1], v[8:9] op_sel:[0,0,1] op_sel_hi:[1,1,0] neg_lo:[0,0,1] neg_hi:[0,0,1]
	v_pk_fma_f32 v[4:5], v[4:5], v[0:1], v[8:9] op_sel:[0,0,1] op_sel_hi:[1,0,0]
	v_mov_b32_e32 v11, v5
	v_pk_mul_f32 v[4:5], v[6:7], v[2:3] op_sel:[0,1]
	s_delay_alu instid0(VALU_DEP_2) | instskip(NEXT) | instid1(VALU_DEP_2)
	v_pk_add_f32 v[64:65], v[64:65], v[10:11] neg_lo:[0,1] neg_hi:[0,1]
	v_pk_fma_f32 v[8:9], v[6:7], v[0:1], v[4:5] op_sel:[0,0,1] op_sel_hi:[1,1,0] neg_lo:[0,0,1] neg_hi:[0,0,1]
	v_pk_fma_f32 v[4:5], v[6:7], v[0:1], v[4:5] op_sel:[0,0,1] op_sel_hi:[1,0,0]
	s_delay_alu instid0(VALU_DEP_1) | instskip(SKIP_4) | instid1(VALU_DEP_1)
	v_mov_b32_e32 v9, v5
	ds_load_2addr_b64 v[4:7], v202 offset0:16 offset1:17
	v_pk_add_f32 v[60:61], v[60:61], v[8:9] neg_lo:[0,1] neg_hi:[0,1]
	s_wait_dscnt 0x0
	v_pk_mul_f32 v[8:9], v[4:5], v[2:3] op_sel:[0,1]
	v_pk_fma_f32 v[10:11], v[4:5], v[0:1], v[8:9] op_sel:[0,0,1] op_sel_hi:[1,1,0] neg_lo:[0,0,1] neg_hi:[0,0,1]
	v_pk_fma_f32 v[4:5], v[4:5], v[0:1], v[8:9] op_sel:[0,0,1] op_sel_hi:[1,0,0]
	v_dual_mul_f32 v8, v7, v3 :: v_dual_mov_b32 v4, v7
	s_delay_alu instid0(VALU_DEP_2) | instskip(NEXT) | instid1(VALU_DEP_2)
	v_dual_mov_b32 v11, v5 :: v_dual_mov_b32 v5, v6
	v_pk_fma_f32 v[8:9], v[6:7], v[44:45], v[8:9] op_sel_hi:[1,1,0] neg_lo:[0,0,1] neg_hi:[0,0,1]
	v_mul_f32_e32 v6, v7, v0
	s_delay_alu instid0(VALU_DEP_3) | instskip(NEXT) | instid1(VALU_DEP_2)
	v_pk_add_f32 v[82:83], v[82:83], v[10:11] neg_lo:[0,1] neg_hi:[0,1]
	v_pk_fma_f32 v[4:5], v[4:5], v[44:45], v[6:7] op_sel_hi:[1,1,0]
	s_delay_alu instid0(VALU_DEP_1) | instskip(SKIP_4) | instid1(VALU_DEP_1)
	v_mov_b32_e32 v9, v5
	ds_load_2addr_b64 v[4:7], v202 offset0:18 offset1:19
	v_pk_add_f32 v[78:79], v[78:79], v[8:9] neg_lo:[0,1] neg_hi:[0,1]
	s_wait_dscnt 0x0
	v_pk_mul_f32 v[8:9], v[4:5], v[2:3] op_sel:[0,1]
	v_pk_fma_f32 v[10:11], v[4:5], v[0:1], v[8:9] op_sel:[0,0,1] op_sel_hi:[1,1,0] neg_lo:[0,0,1] neg_hi:[0,0,1]
	v_pk_fma_f32 v[4:5], v[4:5], v[0:1], v[8:9] op_sel:[0,0,1] op_sel_hi:[1,0,0]
	s_delay_alu instid0(VALU_DEP_1) | instskip(SKIP_1) | instid1(VALU_DEP_1)
	v_mov_b32_e32 v11, v5
	v_pk_mul_f32 v[4:5], v[6:7], v[2:3] op_sel:[0,1]
	v_pk_fma_f32 v[8:9], v[6:7], v[0:1], v[4:5] op_sel:[0,0,1] op_sel_hi:[1,1,0] neg_lo:[0,0,1] neg_hi:[0,0,1]
	v_pk_fma_f32 v[4:5], v[6:7], v[0:1], v[4:5] op_sel:[0,0,1] op_sel_hi:[1,0,0]
	s_delay_alu instid0(VALU_DEP_1)
	v_mov_b32_e32 v9, v5
	ds_load_2addr_b64 v[4:7], v202 offset0:20 offset1:21
	v_pk_add_f32 v[80:81], v[80:81], v[10:11] neg_lo:[0,1] neg_hi:[0,1]
	v_pk_add_f32 v[76:77], v[76:77], v[8:9] neg_lo:[0,1] neg_hi:[0,1]
	s_wait_dscnt 0x0
	v_pk_mul_f32 v[8:9], v[4:5], v[2:3] op_sel:[0,1]
	s_delay_alu instid0(VALU_DEP_1) | instskip(SKIP_1) | instid1(VALU_DEP_1)
	v_pk_fma_f32 v[10:11], v[4:5], v[0:1], v[8:9] op_sel:[0,0,1] op_sel_hi:[1,1,0] neg_lo:[0,0,1] neg_hi:[0,0,1]
	v_pk_fma_f32 v[4:5], v[4:5], v[0:1], v[8:9] op_sel:[0,0,1] op_sel_hi:[1,0,0]
	v_mov_b32_e32 v11, v5
	v_pk_mul_f32 v[4:5], v[6:7], v[2:3] op_sel:[0,1]
	s_delay_alu instid0(VALU_DEP_1) | instskip(SKIP_1) | instid1(VALU_DEP_1)
	v_pk_fma_f32 v[8:9], v[6:7], v[0:1], v[4:5] op_sel:[0,0,1] op_sel_hi:[1,1,0] neg_lo:[0,0,1] neg_hi:[0,0,1]
	v_pk_fma_f32 v[4:5], v[6:7], v[0:1], v[4:5] op_sel:[0,0,1] op_sel_hi:[1,0,0]
	v_mov_b32_e32 v9, v5
	ds_load_2addr_b64 v[4:7], v202 offset0:22 offset1:23
	v_pk_add_f32 v[98:99], v[98:99], v[10:11] neg_lo:[0,1] neg_hi:[0,1]
	v_pk_add_f32 v[94:95], v[94:95], v[8:9] neg_lo:[0,1] neg_hi:[0,1]
	s_wait_dscnt 0x0
	v_dual_mul_f32 v8, v5, v3 :: v_dual_mul_f32 v10, v5, v0
	s_delay_alu instid0(VALU_DEP_1) | instskip(NEXT) | instid1(VALU_DEP_2)
	v_pk_fma_f32 v[8:9], v[4:5], v[44:45], v[8:9] op_sel_hi:[1,1,0] neg_lo:[0,0,1] neg_hi:[0,0,1]
	v_pk_fma_f32 v[4:5], v[4:5], v[44:45], v[10:11] op_sel:[1,0,0] op_sel_hi:[0,1,0]
	s_delay_alu instid0(VALU_DEP_1) | instskip(SKIP_1) | instid1(VALU_DEP_2)
	v_mov_b32_e32 v9, v5
	v_pk_mul_f32 v[4:5], v[6:7], v[2:3] op_sel:[0,1]
	v_pk_add_f32 v[96:97], v[96:97], v[8:9] neg_lo:[0,1] neg_hi:[0,1]
	s_delay_alu instid0(VALU_DEP_2) | instskip(SKIP_1) | instid1(VALU_DEP_1)
	v_pk_fma_f32 v[8:9], v[6:7], v[0:1], v[4:5] op_sel:[0,0,1] op_sel_hi:[1,1,0] neg_lo:[0,0,1] neg_hi:[0,0,1]
	v_pk_fma_f32 v[4:5], v[6:7], v[0:1], v[4:5] op_sel:[0,0,1] op_sel_hi:[1,0,0]
	v_mov_b32_e32 v9, v5
	ds_load_2addr_b64 v[4:7], v202 offset0:24 offset1:25
	v_pk_add_f32 v[92:93], v[92:93], v[8:9] neg_lo:[0,1] neg_hi:[0,1]
	s_wait_dscnt 0x0
	v_pk_mul_f32 v[8:9], v[4:5], v[2:3] op_sel:[0,1]
	s_delay_alu instid0(VALU_DEP_1) | instskip(SKIP_1) | instid1(VALU_DEP_1)
	v_pk_fma_f32 v[10:11], v[4:5], v[0:1], v[8:9] op_sel:[0,0,1] op_sel_hi:[1,1,0] neg_lo:[0,0,1] neg_hi:[0,0,1]
	v_pk_fma_f32 v[4:5], v[4:5], v[0:1], v[8:9] op_sel:[0,0,1] op_sel_hi:[1,0,0]
	v_mov_b32_e32 v11, v5
	v_pk_mul_f32 v[4:5], v[6:7], v[2:3] op_sel:[0,1]
	s_delay_alu instid0(VALU_DEP_2) | instskip(NEXT) | instid1(VALU_DEP_2)
	v_pk_add_f32 v[114:115], v[114:115], v[10:11] neg_lo:[0,1] neg_hi:[0,1]
	v_pk_fma_f32 v[8:9], v[6:7], v[0:1], v[4:5] op_sel:[0,0,1] op_sel_hi:[1,1,0] neg_lo:[0,0,1] neg_hi:[0,0,1]
	v_pk_fma_f32 v[4:5], v[6:7], v[0:1], v[4:5] op_sel:[0,0,1] op_sel_hi:[1,0,0]
	s_delay_alu instid0(VALU_DEP_1) | instskip(SKIP_4) | instid1(VALU_DEP_1)
	v_mov_b32_e32 v9, v5
	ds_load_2addr_b64 v[4:7], v202 offset0:26 offset1:27
	v_pk_add_f32 v[110:111], v[110:111], v[8:9] neg_lo:[0,1] neg_hi:[0,1]
	s_wait_dscnt 0x0
	v_pk_mul_f32 v[8:9], v[4:5], v[2:3] op_sel:[0,1]
	v_pk_fma_f32 v[10:11], v[4:5], v[0:1], v[8:9] op_sel:[0,0,1] op_sel_hi:[1,1,0] neg_lo:[0,0,1] neg_hi:[0,0,1]
	v_pk_fma_f32 v[4:5], v[4:5], v[0:1], v[8:9] op_sel:[0,0,1] op_sel_hi:[1,0,0]
	v_dual_mul_f32 v8, v7, v3 :: v_dual_mov_b32 v4, v7
	s_delay_alu instid0(VALU_DEP_2) | instskip(NEXT) | instid1(VALU_DEP_2)
	v_dual_mov_b32 v11, v5 :: v_dual_mov_b32 v5, v6
	v_pk_fma_f32 v[8:9], v[6:7], v[44:45], v[8:9] op_sel_hi:[1,1,0] neg_lo:[0,0,1] neg_hi:[0,0,1]
	v_mul_f32_e32 v6, v7, v0
	s_delay_alu instid0(VALU_DEP_3) | instskip(NEXT) | instid1(VALU_DEP_2)
	v_pk_add_f32 v[112:113], v[112:113], v[10:11] neg_lo:[0,1] neg_hi:[0,1]
	v_pk_fma_f32 v[4:5], v[4:5], v[44:45], v[6:7] op_sel_hi:[1,1,0]
	s_delay_alu instid0(VALU_DEP_1) | instskip(SKIP_4) | instid1(VALU_DEP_1)
	v_mov_b32_e32 v9, v5
	ds_load_2addr_b64 v[4:7], v202 offset0:28 offset1:29
	v_pk_add_f32 v[108:109], v[108:109], v[8:9] neg_lo:[0,1] neg_hi:[0,1]
	s_wait_dscnt 0x0
	v_pk_mul_f32 v[8:9], v[4:5], v[2:3] op_sel:[0,1]
	v_pk_fma_f32 v[10:11], v[4:5], v[0:1], v[8:9] op_sel:[0,0,1] op_sel_hi:[1,1,0] neg_lo:[0,0,1] neg_hi:[0,0,1]
	v_pk_fma_f32 v[4:5], v[4:5], v[0:1], v[8:9] op_sel:[0,0,1] op_sel_hi:[1,0,0]
	s_delay_alu instid0(VALU_DEP_1) | instskip(SKIP_1) | instid1(VALU_DEP_1)
	v_mov_b32_e32 v11, v5
	v_pk_mul_f32 v[4:5], v[6:7], v[2:3] op_sel:[0,1]
	v_pk_fma_f32 v[8:9], v[6:7], v[0:1], v[4:5] op_sel:[0,0,1] op_sel_hi:[1,1,0] neg_lo:[0,0,1] neg_hi:[0,0,1]
	v_pk_fma_f32 v[4:5], v[6:7], v[0:1], v[4:5] op_sel:[0,0,1] op_sel_hi:[1,0,0]
	s_delay_alu instid0(VALU_DEP_1)
	v_mov_b32_e32 v9, v5
	ds_load_2addr_b64 v[4:7], v202 offset0:30 offset1:31
	v_pk_add_f32 v[130:131], v[130:131], v[10:11] neg_lo:[0,1] neg_hi:[0,1]
	v_pk_add_f32 v[126:127], v[126:127], v[8:9] neg_lo:[0,1] neg_hi:[0,1]
	s_wait_dscnt 0x0
	v_pk_mul_f32 v[8:9], v[4:5], v[2:3] op_sel:[0,1]
	s_delay_alu instid0(VALU_DEP_1) | instskip(SKIP_1) | instid1(VALU_DEP_1)
	v_pk_fma_f32 v[10:11], v[4:5], v[0:1], v[8:9] op_sel:[0,0,1] op_sel_hi:[1,1,0] neg_lo:[0,0,1] neg_hi:[0,0,1]
	v_pk_fma_f32 v[4:5], v[4:5], v[0:1], v[8:9] op_sel:[0,0,1] op_sel_hi:[1,0,0]
	v_mov_b32_e32 v11, v5
	v_pk_mul_f32 v[4:5], v[6:7], v[2:3] op_sel:[0,1]
	s_delay_alu instid0(VALU_DEP_1) | instskip(SKIP_1) | instid1(VALU_DEP_1)
	v_pk_fma_f32 v[8:9], v[6:7], v[0:1], v[4:5] op_sel:[0,0,1] op_sel_hi:[1,1,0] neg_lo:[0,0,1] neg_hi:[0,0,1]
	v_pk_fma_f32 v[4:5], v[6:7], v[0:1], v[4:5] op_sel:[0,0,1] op_sel_hi:[1,0,0]
	v_mov_b32_e32 v9, v5
	ds_load_2addr_b64 v[4:7], v202 offset0:32 offset1:33
	v_pk_add_f32 v[128:129], v[128:129], v[10:11] neg_lo:[0,1] neg_hi:[0,1]
	v_pk_add_f32 v[124:125], v[124:125], v[8:9] neg_lo:[0,1] neg_hi:[0,1]
	s_wait_dscnt 0x0
	v_dual_mul_f32 v8, v5, v3 :: v_dual_mul_f32 v10, v5, v0
	s_delay_alu instid0(VALU_DEP_1) | instskip(NEXT) | instid1(VALU_DEP_2)
	v_pk_fma_f32 v[8:9], v[4:5], v[44:45], v[8:9] op_sel_hi:[1,1,0] neg_lo:[0,0,1] neg_hi:[0,0,1]
	v_pk_fma_f32 v[4:5], v[4:5], v[44:45], v[10:11] op_sel:[1,0,0] op_sel_hi:[0,1,0]
	s_delay_alu instid0(VALU_DEP_1) | instskip(SKIP_1) | instid1(VALU_DEP_2)
	v_mov_b32_e32 v9, v5
	v_pk_mul_f32 v[4:5], v[6:7], v[2:3] op_sel:[0,1]
	v_pk_add_f32 v[146:147], v[146:147], v[8:9] neg_lo:[0,1] neg_hi:[0,1]
	s_delay_alu instid0(VALU_DEP_2) | instskip(SKIP_1) | instid1(VALU_DEP_1)
	v_pk_fma_f32 v[8:9], v[6:7], v[0:1], v[4:5] op_sel:[0,0,1] op_sel_hi:[1,1,0] neg_lo:[0,0,1] neg_hi:[0,0,1]
	v_pk_fma_f32 v[4:5], v[6:7], v[0:1], v[4:5] op_sel:[0,0,1] op_sel_hi:[1,0,0]
	v_mov_b32_e32 v9, v5
	ds_load_2addr_b64 v[4:7], v202 offset0:34 offset1:35
	v_pk_add_f32 v[142:143], v[142:143], v[8:9] neg_lo:[0,1] neg_hi:[0,1]
	s_wait_dscnt 0x0
	v_pk_mul_f32 v[8:9], v[4:5], v[2:3] op_sel:[0,1]
	s_delay_alu instid0(VALU_DEP_1) | instskip(SKIP_1) | instid1(VALU_DEP_1)
	v_pk_fma_f32 v[10:11], v[4:5], v[0:1], v[8:9] op_sel:[0,0,1] op_sel_hi:[1,1,0] neg_lo:[0,0,1] neg_hi:[0,0,1]
	v_pk_fma_f32 v[4:5], v[4:5], v[0:1], v[8:9] op_sel:[0,0,1] op_sel_hi:[1,0,0]
	v_mov_b32_e32 v11, v5
	v_pk_mul_f32 v[4:5], v[6:7], v[2:3] op_sel:[0,1]
	s_delay_alu instid0(VALU_DEP_2) | instskip(NEXT) | instid1(VALU_DEP_2)
	v_pk_add_f32 v[144:145], v[144:145], v[10:11] neg_lo:[0,1] neg_hi:[0,1]
	v_pk_fma_f32 v[8:9], v[6:7], v[0:1], v[4:5] op_sel:[0,0,1] op_sel_hi:[1,1,0] neg_lo:[0,0,1] neg_hi:[0,0,1]
	v_pk_fma_f32 v[4:5], v[6:7], v[0:1], v[4:5] op_sel:[0,0,1] op_sel_hi:[1,0,0]
	s_delay_alu instid0(VALU_DEP_1) | instskip(SKIP_4) | instid1(VALU_DEP_1)
	v_mov_b32_e32 v9, v5
	ds_load_2addr_b64 v[4:7], v202 offset0:36 offset1:37
	v_pk_add_f32 v[140:141], v[140:141], v[8:9] neg_lo:[0,1] neg_hi:[0,1]
	s_wait_dscnt 0x0
	v_pk_mul_f32 v[8:9], v[4:5], v[2:3] op_sel:[0,1]
	v_pk_fma_f32 v[10:11], v[4:5], v[0:1], v[8:9] op_sel:[0,0,1] op_sel_hi:[1,1,0] neg_lo:[0,0,1] neg_hi:[0,0,1]
	v_pk_fma_f32 v[4:5], v[4:5], v[0:1], v[8:9] op_sel:[0,0,1] op_sel_hi:[1,0,0]
	v_dual_mul_f32 v8, v7, v3 :: v_dual_mov_b32 v4, v7
	s_delay_alu instid0(VALU_DEP_2) | instskip(NEXT) | instid1(VALU_DEP_2)
	v_dual_mov_b32 v11, v5 :: v_dual_mov_b32 v5, v6
	v_pk_fma_f32 v[8:9], v[6:7], v[44:45], v[8:9] op_sel_hi:[1,1,0] neg_lo:[0,0,1] neg_hi:[0,0,1]
	v_mul_f32_e32 v6, v7, v0
	s_delay_alu instid0(VALU_DEP_3) | instskip(NEXT) | instid1(VALU_DEP_2)
	v_pk_add_f32 v[162:163], v[162:163], v[10:11] neg_lo:[0,1] neg_hi:[0,1]
	v_pk_fma_f32 v[4:5], v[4:5], v[44:45], v[6:7] op_sel_hi:[1,1,0]
	s_delay_alu instid0(VALU_DEP_1) | instskip(SKIP_4) | instid1(VALU_DEP_1)
	v_mov_b32_e32 v9, v5
	ds_load_2addr_b64 v[4:7], v202 offset0:38 offset1:39
	v_pk_add_f32 v[158:159], v[158:159], v[8:9] neg_lo:[0,1] neg_hi:[0,1]
	s_wait_dscnt 0x0
	v_pk_mul_f32 v[8:9], v[4:5], v[2:3] op_sel:[0,1]
	v_pk_fma_f32 v[10:11], v[4:5], v[0:1], v[8:9] op_sel:[0,0,1] op_sel_hi:[1,1,0] neg_lo:[0,0,1] neg_hi:[0,0,1]
	v_pk_fma_f32 v[4:5], v[4:5], v[0:1], v[8:9] op_sel:[0,0,1] op_sel_hi:[1,0,0]
	s_delay_alu instid0(VALU_DEP_1) | instskip(SKIP_1) | instid1(VALU_DEP_1)
	v_mov_b32_e32 v11, v5
	v_pk_mul_f32 v[4:5], v[6:7], v[2:3] op_sel:[0,1]
	v_pk_fma_f32 v[8:9], v[6:7], v[0:1], v[4:5] op_sel:[0,0,1] op_sel_hi:[1,1,0] neg_lo:[0,0,1] neg_hi:[0,0,1]
	v_pk_fma_f32 v[4:5], v[6:7], v[0:1], v[4:5] op_sel:[0,0,1] op_sel_hi:[1,0,0]
	s_delay_alu instid0(VALU_DEP_1)
	v_mov_b32_e32 v9, v5
	ds_load_2addr_b64 v[4:7], v202 offset0:40 offset1:41
	v_pk_add_f32 v[160:161], v[160:161], v[10:11] neg_lo:[0,1] neg_hi:[0,1]
	v_pk_add_f32 v[156:157], v[156:157], v[8:9] neg_lo:[0,1] neg_hi:[0,1]
	s_wait_dscnt 0x0
	v_pk_mul_f32 v[8:9], v[4:5], v[2:3] op_sel:[0,1]
	s_delay_alu instid0(VALU_DEP_1) | instskip(SKIP_1) | instid1(VALU_DEP_1)
	v_pk_fma_f32 v[10:11], v[4:5], v[0:1], v[8:9] op_sel:[0,0,1] op_sel_hi:[1,1,0] neg_lo:[0,0,1] neg_hi:[0,0,1]
	v_pk_fma_f32 v[4:5], v[4:5], v[0:1], v[8:9] op_sel:[0,0,1] op_sel_hi:[1,0,0]
	v_mov_b32_e32 v11, v5
	v_pk_mul_f32 v[4:5], v[6:7], v[2:3] op_sel:[0,1]
	s_delay_alu instid0(VALU_DEP_1) | instskip(SKIP_1) | instid1(VALU_DEP_1)
	v_pk_fma_f32 v[8:9], v[6:7], v[0:1], v[4:5] op_sel:[0,0,1] op_sel_hi:[1,1,0] neg_lo:[0,0,1] neg_hi:[0,0,1]
	v_pk_fma_f32 v[4:5], v[6:7], v[0:1], v[4:5] op_sel:[0,0,1] op_sel_hi:[1,0,0]
	v_mov_b32_e32 v9, v5
	ds_load_2addr_b64 v[4:7], v202 offset0:42 offset1:43
	v_pk_add_f32 v[178:179], v[178:179], v[10:11] neg_lo:[0,1] neg_hi:[0,1]
	v_pk_add_f32 v[174:175], v[174:175], v[8:9] neg_lo:[0,1] neg_hi:[0,1]
	s_wait_dscnt 0x0
	v_dual_mul_f32 v8, v5, v3 :: v_dual_mul_f32 v10, v5, v0
	s_delay_alu instid0(VALU_DEP_1) | instskip(NEXT) | instid1(VALU_DEP_2)
	v_pk_fma_f32 v[8:9], v[4:5], v[44:45], v[8:9] op_sel_hi:[1,1,0] neg_lo:[0,0,1] neg_hi:[0,0,1]
	v_pk_fma_f32 v[4:5], v[4:5], v[44:45], v[10:11] op_sel:[1,0,0] op_sel_hi:[0,1,0]
	s_delay_alu instid0(VALU_DEP_1) | instskip(SKIP_1) | instid1(VALU_DEP_2)
	v_mov_b32_e32 v9, v5
	v_pk_mul_f32 v[4:5], v[6:7], v[2:3] op_sel:[0,1]
	v_pk_add_f32 v[176:177], v[176:177], v[8:9] neg_lo:[0,1] neg_hi:[0,1]
	s_delay_alu instid0(VALU_DEP_2) | instskip(SKIP_1) | instid1(VALU_DEP_1)
	v_pk_fma_f32 v[8:9], v[6:7], v[0:1], v[4:5] op_sel:[0,0,1] op_sel_hi:[1,1,0] neg_lo:[0,0,1] neg_hi:[0,0,1]
	v_pk_fma_f32 v[4:5], v[6:7], v[0:1], v[4:5] op_sel:[0,0,1] op_sel_hi:[1,0,0]
	v_mov_b32_e32 v9, v5
	ds_load_2addr_b64 v[4:7], v202 offset0:44 offset1:45
	v_pk_add_f32 v[172:173], v[172:173], v[8:9] neg_lo:[0,1] neg_hi:[0,1]
	s_wait_dscnt 0x0
	v_pk_mul_f32 v[8:9], v[4:5], v[2:3] op_sel:[0,1]
	s_delay_alu instid0(VALU_DEP_1) | instskip(SKIP_1) | instid1(VALU_DEP_1)
	v_pk_fma_f32 v[10:11], v[4:5], v[0:1], v[8:9] op_sel:[0,0,1] op_sel_hi:[1,1,0] neg_lo:[0,0,1] neg_hi:[0,0,1]
	v_pk_fma_f32 v[4:5], v[4:5], v[0:1], v[8:9] op_sel:[0,0,1] op_sel_hi:[1,0,0]
	v_mov_b32_e32 v11, v5
	v_pk_mul_f32 v[4:5], v[6:7], v[2:3] op_sel:[0,1]
	s_delay_alu instid0(VALU_DEP_2) | instskip(NEXT) | instid1(VALU_DEP_2)
	v_pk_add_f32 v[194:195], v[194:195], v[10:11] neg_lo:[0,1] neg_hi:[0,1]
	v_pk_fma_f32 v[8:9], v[6:7], v[0:1], v[4:5] op_sel:[0,0,1] op_sel_hi:[1,1,0] neg_lo:[0,0,1] neg_hi:[0,0,1]
	v_pk_fma_f32 v[4:5], v[6:7], v[0:1], v[4:5] op_sel:[0,0,1] op_sel_hi:[1,0,0]
	s_delay_alu instid0(VALU_DEP_1) | instskip(SKIP_4) | instid1(VALU_DEP_1)
	v_mov_b32_e32 v9, v5
	ds_load_2addr_b64 v[4:7], v202 offset0:46 offset1:47
	v_pk_add_f32 v[190:191], v[190:191], v[8:9] neg_lo:[0,1] neg_hi:[0,1]
	s_wait_dscnt 0x0
	v_pk_mul_f32 v[8:9], v[4:5], v[2:3] op_sel:[0,1]
	v_pk_fma_f32 v[10:11], v[4:5], v[0:1], v[8:9] op_sel:[0,0,1] op_sel_hi:[1,1,0] neg_lo:[0,0,1] neg_hi:[0,0,1]
	v_pk_fma_f32 v[4:5], v[4:5], v[0:1], v[8:9] op_sel:[0,0,1] op_sel_hi:[1,0,0]
	v_dual_mul_f32 v8, v7, v3 :: v_dual_mov_b32 v4, v7
	s_delay_alu instid0(VALU_DEP_2) | instskip(NEXT) | instid1(VALU_DEP_2)
	v_dual_mov_b32 v11, v5 :: v_dual_mov_b32 v5, v6
	v_pk_fma_f32 v[8:9], v[6:7], v[44:45], v[8:9] op_sel_hi:[1,1,0] neg_lo:[0,0,1] neg_hi:[0,0,1]
	v_mul_f32_e32 v6, v7, v0
	s_delay_alu instid0(VALU_DEP_3) | instskip(NEXT) | instid1(VALU_DEP_2)
	v_pk_add_f32 v[192:193], v[192:193], v[10:11] neg_lo:[0,1] neg_hi:[0,1]
	v_pk_fma_f32 v[4:5], v[4:5], v[44:45], v[6:7] op_sel_hi:[1,1,0]
	s_delay_alu instid0(VALU_DEP_1) | instskip(SKIP_4) | instid1(VALU_DEP_1)
	v_mov_b32_e32 v9, v5
	ds_load_2addr_b64 v[4:7], v202 offset0:48 offset1:49
	v_pk_add_f32 v[188:189], v[188:189], v[8:9] neg_lo:[0,1] neg_hi:[0,1]
	s_wait_dscnt 0x0
	v_pk_mul_f32 v[8:9], v[4:5], v[2:3] op_sel:[0,1]
	v_pk_fma_f32 v[10:11], v[4:5], v[0:1], v[8:9] op_sel:[0,0,1] op_sel_hi:[1,1,0] neg_lo:[0,0,1] neg_hi:[0,0,1]
	v_pk_fma_f32 v[4:5], v[4:5], v[0:1], v[8:9] op_sel:[0,0,1] op_sel_hi:[1,0,0]
	s_delay_alu instid0(VALU_DEP_1) | instskip(SKIP_1) | instid1(VALU_DEP_1)
	v_mov_b32_e32 v11, v5
	v_pk_mul_f32 v[4:5], v[6:7], v[2:3] op_sel:[0,1]
	v_pk_fma_f32 v[8:9], v[6:7], v[0:1], v[4:5] op_sel:[0,0,1] op_sel_hi:[1,1,0] neg_lo:[0,0,1] neg_hi:[0,0,1]
	v_pk_fma_f32 v[4:5], v[6:7], v[0:1], v[4:5] op_sel:[0,0,1] op_sel_hi:[1,0,0]
	s_delay_alu instid0(VALU_DEP_1)
	v_mov_b32_e32 v9, v5
	ds_load_2addr_b64 v[4:7], v202 offset0:50 offset1:51
	v_pk_add_f32 v[212:213], v[212:213], v[10:11] neg_lo:[0,1] neg_hi:[0,1]
	v_pk_add_f32 v[208:209], v[208:209], v[8:9] neg_lo:[0,1] neg_hi:[0,1]
	s_wait_dscnt 0x0
	v_pk_mul_f32 v[8:9], v[4:5], v[2:3] op_sel:[0,1]
	s_delay_alu instid0(VALU_DEP_1) | instskip(SKIP_1) | instid1(VALU_DEP_1)
	v_pk_fma_f32 v[10:11], v[4:5], v[0:1], v[8:9] op_sel:[0,0,1] op_sel_hi:[1,1,0] neg_lo:[0,0,1] neg_hi:[0,0,1]
	v_pk_fma_f32 v[4:5], v[4:5], v[0:1], v[8:9] op_sel:[0,0,1] op_sel_hi:[1,0,0]
	v_mov_b32_e32 v11, v5
	v_pk_mul_f32 v[4:5], v[6:7], v[2:3] op_sel:[0,1]
	s_delay_alu instid0(VALU_DEP_1) | instskip(SKIP_1) | instid1(VALU_DEP_1)
	v_pk_fma_f32 v[8:9], v[6:7], v[0:1], v[4:5] op_sel:[0,0,1] op_sel_hi:[1,1,0] neg_lo:[0,0,1] neg_hi:[0,0,1]
	v_pk_fma_f32 v[4:5], v[6:7], v[0:1], v[4:5] op_sel:[0,0,1] op_sel_hi:[1,0,0]
	v_mov_b32_e32 v9, v5
	ds_load_2addr_b64 v[4:7], v202 offset0:52 offset1:53
	v_pk_add_f32 v[210:211], v[210:211], v[10:11] neg_lo:[0,1] neg_hi:[0,1]
	v_pk_add_f32 v[206:207], v[206:207], v[8:9] neg_lo:[0,1] neg_hi:[0,1]
	s_wait_dscnt 0x0
	v_dual_mul_f32 v8, v5, v3 :: v_dual_mul_f32 v10, v5, v0
	s_delay_alu instid0(VALU_DEP_1) | instskip(NEXT) | instid1(VALU_DEP_2)
	v_pk_fma_f32 v[8:9], v[4:5], v[44:45], v[8:9] op_sel_hi:[1,1,0] neg_lo:[0,0,1] neg_hi:[0,0,1]
	v_pk_fma_f32 v[4:5], v[4:5], v[44:45], v[10:11] op_sel:[1,0,0] op_sel_hi:[0,1,0]
	s_delay_alu instid0(VALU_DEP_1) | instskip(SKIP_1) | instid1(VALU_DEP_2)
	v_mov_b32_e32 v9, v5
	v_pk_mul_f32 v[4:5], v[6:7], v[2:3] op_sel:[0,1]
	v_pk_add_f32 v[232:233], v[232:233], v[8:9] neg_lo:[0,1] neg_hi:[0,1]
	s_delay_alu instid0(VALU_DEP_2) | instskip(SKIP_1) | instid1(VALU_DEP_1)
	v_pk_fma_f32 v[8:9], v[6:7], v[0:1], v[4:5] op_sel:[0,0,1] op_sel_hi:[1,1,0] neg_lo:[0,0,1] neg_hi:[0,0,1]
	v_pk_fma_f32 v[4:5], v[6:7], v[0:1], v[4:5] op_sel:[0,0,1] op_sel_hi:[1,0,0]
	v_mov_b32_e32 v9, v5
	ds_load_2addr_b64 v[4:7], v202 offset0:54 offset1:55
	v_pk_add_f32 v[226:227], v[226:227], v[8:9] neg_lo:[0,1] neg_hi:[0,1]
	s_wait_dscnt 0x0
	v_pk_mul_f32 v[8:9], v[4:5], v[2:3] op_sel:[0,1]
	s_delay_alu instid0(VALU_DEP_1) | instskip(SKIP_1) | instid1(VALU_DEP_1)
	v_pk_fma_f32 v[10:11], v[4:5], v[0:1], v[8:9] op_sel:[0,0,1] op_sel_hi:[1,1,0] neg_lo:[0,0,1] neg_hi:[0,0,1]
	v_pk_fma_f32 v[4:5], v[4:5], v[0:1], v[8:9] op_sel:[0,0,1] op_sel_hi:[1,0,0]
	v_mov_b32_e32 v11, v5
	v_pk_mul_f32 v[4:5], v[6:7], v[2:3] op_sel:[0,1]
	s_delay_alu instid0(VALU_DEP_2) | instskip(NEXT) | instid1(VALU_DEP_2)
	v_pk_add_f32 v[230:231], v[230:231], v[10:11] neg_lo:[0,1] neg_hi:[0,1]
	v_pk_fma_f32 v[8:9], v[6:7], v[0:1], v[4:5] op_sel:[0,0,1] op_sel_hi:[1,1,0] neg_lo:[0,0,1] neg_hi:[0,0,1]
	v_pk_fma_f32 v[4:5], v[6:7], v[0:1], v[4:5] op_sel:[0,0,1] op_sel_hi:[1,0,0]
	s_delay_alu instid0(VALU_DEP_1) | instskip(SKIP_4) | instid1(VALU_DEP_1)
	v_mov_b32_e32 v9, v5
	ds_load_2addr_b64 v[4:7], v202 offset0:56 offset1:57
	v_pk_add_f32 v[224:225], v[224:225], v[8:9] neg_lo:[0,1] neg_hi:[0,1]
	s_wait_dscnt 0x0
	v_pk_mul_f32 v[8:9], v[4:5], v[2:3] op_sel:[0,1]
	v_pk_fma_f32 v[10:11], v[4:5], v[0:1], v[8:9] op_sel:[0,0,1] op_sel_hi:[1,1,0] neg_lo:[0,0,1] neg_hi:[0,0,1]
	v_pk_fma_f32 v[4:5], v[4:5], v[0:1], v[8:9] op_sel:[0,0,1] op_sel_hi:[1,0,0]
	v_dual_mul_f32 v8, v7, v3 :: v_dual_mov_b32 v4, v7
	s_delay_alu instid0(VALU_DEP_2) | instskip(NEXT) | instid1(VALU_DEP_2)
	v_dual_mov_b32 v11, v5 :: v_dual_mov_b32 v5, v6
	v_pk_fma_f32 v[8:9], v[6:7], v[44:45], v[8:9] op_sel_hi:[1,1,0] neg_lo:[0,0,1] neg_hi:[0,0,1]
	v_mul_f32_e32 v6, v7, v0
	s_delay_alu instid0(VALU_DEP_3) | instskip(NEXT) | instid1(VALU_DEP_2)
	v_pk_add_f32 v[228:229], v[228:229], v[10:11] neg_lo:[0,1] neg_hi:[0,1]
	v_pk_fma_f32 v[4:5], v[4:5], v[44:45], v[6:7] op_sel_hi:[1,1,0]
	s_delay_alu instid0(VALU_DEP_1) | instskip(SKIP_4) | instid1(VALU_DEP_1)
	v_mov_b32_e32 v9, v5
	ds_load_b64 v[4:5], v202 offset:464
	v_pk_add_f32 v[234:235], v[234:235], v[8:9] neg_lo:[0,1] neg_hi:[0,1]
	s_wait_dscnt 0x0
	v_pk_mul_f32 v[2:3], v[4:5], v[2:3] op_sel:[0,1]
	v_pk_fma_f32 v[6:7], v[4:5], v[0:1], v[2:3] op_sel:[0,0,1] op_sel_hi:[1,1,0] neg_lo:[0,0,1] neg_hi:[0,0,1]
	v_pk_fma_f32 v[0:1], v[4:5], v[0:1], v[2:3] op_sel:[0,0,1] op_sel_hi:[1,0,0]
	s_delay_alu instid0(VALU_DEP_1) | instskip(NEXT) | instid1(VALU_DEP_1)
	v_mov_b32_e32 v7, v1
	v_pk_add_f32 v[236:237], v[236:237], v[6:7] neg_lo:[0,1] neg_hi:[0,1]
.LBB117_37:
	s_wait_xcnt 0x0
	s_or_b32 exec_lo, exec_lo, s1
	s_delay_alu instid0(SALU_CYCLE_1)
	s_mov_b32 s2, exec_lo
	s_wait_storecnt 0x0
	s_barrier_signal -1
	s_barrier_wait -1
	v_cmpx_eq_u32_e32 4, v200
	s_cbranch_execz .LBB117_44
; %bb.38:
	ds_store_b64 v201, v[26:27]
	ds_store_2addr_b64 v202, v[22:23], v[24:25] offset0:5 offset1:6
	ds_store_2addr_b64 v202, v[20:21], v[40:41] offset0:7 offset1:8
	;; [unrolled: 1-line block ×27, first 2 shown]
	ds_load_b64 v[0:1], v201
	s_wait_dscnt 0x0
	v_cmp_neq_f32_e32 vcc_lo, 0, v0
	v_cmp_neq_f32_e64 s1, 0, v1
	s_or_b32 s1, vcc_lo, s1
	s_delay_alu instid0(SALU_CYCLE_1)
	s_and_b32 exec_lo, exec_lo, s1
	s_cbranch_execz .LBB117_44
; %bb.39:
	v_cmp_ngt_f32_e64 s1, |v0|, |v1|
                                        ; implicit-def: $vgpr2_vgpr3
	s_and_saveexec_b32 s4, s1
	s_delay_alu instid0(SALU_CYCLE_1)
	s_xor_b32 s1, exec_lo, s4
	s_cbranch_execz .LBB117_41
; %bb.40:
	v_div_scale_f32 v2, null, v1, v1, v0
	v_div_scale_f32 v5, vcc_lo, v0, v1, v0
	s_delay_alu instid0(VALU_DEP_2) | instskip(SKIP_1) | instid1(TRANS32_DEP_1)
	v_rcp_f32_e32 v3, v2
	v_nop
	v_fma_f32 v4, -v2, v3, 1.0
	s_delay_alu instid0(VALU_DEP_1) | instskip(NEXT) | instid1(VALU_DEP_1)
	v_fmac_f32_e32 v3, v4, v3
	v_mul_f32_e32 v4, v5, v3
	s_delay_alu instid0(VALU_DEP_1) | instskip(NEXT) | instid1(VALU_DEP_1)
	v_fma_f32 v6, -v2, v4, v5
	v_fmac_f32_e32 v4, v6, v3
	s_delay_alu instid0(VALU_DEP_1) | instskip(NEXT) | instid1(VALU_DEP_1)
	v_fma_f32 v2, -v2, v4, v5
	v_div_fmas_f32 v2, v2, v3, v4
	s_delay_alu instid0(VALU_DEP_1) | instskip(NEXT) | instid1(VALU_DEP_1)
	v_div_fixup_f32 v2, v2, v1, v0
	v_fmac_f32_e32 v1, v0, v2
	s_delay_alu instid0(VALU_DEP_1) | instskip(SKIP_1) | instid1(VALU_DEP_2)
	v_div_scale_f32 v0, null, v1, v1, 1.0
	v_div_scale_f32 v5, vcc_lo, 1.0, v1, 1.0
	v_rcp_f32_e32 v3, v0
	v_nop
	s_delay_alu instid0(TRANS32_DEP_1) | instskip(NEXT) | instid1(VALU_DEP_1)
	v_fma_f32 v4, -v0, v3, 1.0
	v_fmac_f32_e32 v3, v4, v3
	s_delay_alu instid0(VALU_DEP_1) | instskip(NEXT) | instid1(VALU_DEP_1)
	v_mul_f32_e32 v4, v5, v3
	v_fma_f32 v6, -v0, v4, v5
	s_delay_alu instid0(VALU_DEP_1) | instskip(NEXT) | instid1(VALU_DEP_1)
	v_fmac_f32_e32 v4, v6, v3
	v_fma_f32 v0, -v0, v4, v5
	s_delay_alu instid0(VALU_DEP_1) | instskip(NEXT) | instid1(VALU_DEP_1)
	v_div_fmas_f32 v0, v0, v3, v4
	v_div_fixup_f32 v0, v0, v1, 1.0
	s_delay_alu instid0(VALU_DEP_1)
	v_mul_f32_e32 v2, v2, v0
	v_xor_b32_e32 v3, 0x80000000, v0
                                        ; implicit-def: $vgpr0_vgpr1
.LBB117_41:
	s_and_not1_saveexec_b32 s1, s1
	s_cbranch_execz .LBB117_43
; %bb.42:
	v_div_scale_f32 v2, null, v0, v0, v1
	v_div_scale_f32 v5, vcc_lo, v1, v0, v1
	s_delay_alu instid0(VALU_DEP_2) | instskip(SKIP_1) | instid1(TRANS32_DEP_1)
	v_rcp_f32_e32 v3, v2
	v_nop
	v_fma_f32 v4, -v2, v3, 1.0
	s_delay_alu instid0(VALU_DEP_1) | instskip(NEXT) | instid1(VALU_DEP_1)
	v_fmac_f32_e32 v3, v4, v3
	v_mul_f32_e32 v4, v5, v3
	s_delay_alu instid0(VALU_DEP_1) | instskip(NEXT) | instid1(VALU_DEP_1)
	v_fma_f32 v6, -v2, v4, v5
	v_fmac_f32_e32 v4, v6, v3
	s_delay_alu instid0(VALU_DEP_1) | instskip(NEXT) | instid1(VALU_DEP_1)
	v_fma_f32 v2, -v2, v4, v5
	v_div_fmas_f32 v2, v2, v3, v4
	s_delay_alu instid0(VALU_DEP_1) | instskip(NEXT) | instid1(VALU_DEP_1)
	v_div_fixup_f32 v3, v2, v0, v1
	v_fmac_f32_e32 v0, v1, v3
	s_delay_alu instid0(VALU_DEP_1) | instskip(NEXT) | instid1(VALU_DEP_1)
	v_div_scale_f32 v1, null, v0, v0, 1.0
	v_rcp_f32_e32 v2, v1
	v_nop
	s_delay_alu instid0(TRANS32_DEP_1) | instskip(NEXT) | instid1(VALU_DEP_1)
	v_fma_f32 v4, -v1, v2, 1.0
	v_fmac_f32_e32 v2, v4, v2
	v_div_scale_f32 v4, vcc_lo, 1.0, v0, 1.0
	s_delay_alu instid0(VALU_DEP_1) | instskip(NEXT) | instid1(VALU_DEP_1)
	v_mul_f32_e32 v5, v4, v2
	v_fma_f32 v6, -v1, v5, v4
	s_delay_alu instid0(VALU_DEP_1) | instskip(NEXT) | instid1(VALU_DEP_1)
	v_fmac_f32_e32 v5, v6, v2
	v_fma_f32 v1, -v1, v5, v4
	s_delay_alu instid0(VALU_DEP_1) | instskip(NEXT) | instid1(VALU_DEP_1)
	v_div_fmas_f32 v1, v1, v2, v5
	v_div_fixup_f32 v2, v1, v0, 1.0
	s_delay_alu instid0(VALU_DEP_1)
	v_mul_f32_e64 v3, v3, -v2
.LBB117_43:
	s_or_b32 exec_lo, exec_lo, s1
	ds_store_b64 v201, v[2:3]
.LBB117_44:
	s_or_b32 exec_lo, exec_lo, s2
	s_wait_dscnt 0x0
	s_barrier_signal -1
	s_barrier_wait -1
	ds_load_b64 v[0:1], v201
	s_mov_b32 s1, exec_lo
	s_wait_dscnt 0x0
	scratch_store_b64 off, v[0:1], off offset:400 ; 8-byte Folded Spill
	s_wait_xcnt 0x0
	v_cmpx_lt_u32_e32 4, v200
	s_cbranch_execz .LBB117_46
; %bb.45:
	scratch_load_b64 v[4:5], off, off offset:400 ; 8-byte Folded Reload
	s_wait_loadcnt 0x0
	v_pk_mul_f32 v[2:3], v[4:5], v[26:27] op_sel:[1,1] op_sel_hi:[0,1]
	s_delay_alu instid0(VALU_DEP_1)
	v_pk_fma_f32 v[0:1], v[4:5], v[26:27], v[2:3] op_sel_hi:[1,0,1] neg_lo:[0,0,1] neg_hi:[0,0,1]
	v_pk_fma_f32 v[2:3], v[4:5], v[26:27], v[2:3] op_sel_hi:[1,0,1]
	ds_load_2addr_b64 v[4:7], v202 offset0:5 offset1:6
	v_dual_mov_b32 v26, v0 :: v_dual_mov_b32 v27, v3
	s_wait_dscnt 0x0
	v_pk_mul_f32 v[8:9], v[4:5], v[2:3] op_sel:[0,1]
	s_delay_alu instid0(VALU_DEP_1) | instskip(SKIP_1) | instid1(VALU_DEP_1)
	v_pk_fma_f32 v[10:11], v[4:5], v[0:1], v[8:9] op_sel:[0,0,1] op_sel_hi:[1,1,0] neg_lo:[0,0,1] neg_hi:[0,0,1]
	v_pk_fma_f32 v[4:5], v[4:5], v[0:1], v[8:9] op_sel:[0,0,1] op_sel_hi:[1,0,0]
	v_mov_b32_e32 v11, v5
	v_pk_mul_f32 v[4:5], v[6:7], v[2:3] op_sel:[0,1]
	s_delay_alu instid0(VALU_DEP_1) | instskip(SKIP_1) | instid1(VALU_DEP_1)
	v_pk_fma_f32 v[8:9], v[6:7], v[0:1], v[4:5] op_sel:[0,0,1] op_sel_hi:[1,1,0] neg_lo:[0,0,1] neg_hi:[0,0,1]
	v_pk_fma_f32 v[4:5], v[6:7], v[0:1], v[4:5] op_sel:[0,0,1] op_sel_hi:[1,0,0]
	v_mov_b32_e32 v9, v5
	ds_load_2addr_b64 v[4:7], v202 offset0:7 offset1:8
	v_pk_add_f32 v[22:23], v[22:23], v[10:11] neg_lo:[0,1] neg_hi:[0,1]
	v_pk_add_f32 v[24:25], v[24:25], v[8:9] neg_lo:[0,1] neg_hi:[0,1]
	s_wait_dscnt 0x0
	v_pk_mul_f32 v[8:9], v[4:5], v[2:3] op_sel:[0,1]
	s_delay_alu instid0(VALU_DEP_1) | instskip(SKIP_2) | instid1(VALU_DEP_2)
	v_pk_fma_f32 v[10:11], v[4:5], v[0:1], v[8:9] op_sel:[0,0,1] op_sel_hi:[1,1,0] neg_lo:[0,0,1] neg_hi:[0,0,1]
	v_pk_fma_f32 v[4:5], v[4:5], v[0:1], v[8:9] op_sel:[0,0,1] op_sel_hi:[1,0,0]
	v_dual_mul_f32 v8, v7, v3 :: v_dual_mov_b32 v4, v7
	v_dual_mov_b32 v11, v5 :: v_dual_mov_b32 v5, v6
	s_delay_alu instid0(VALU_DEP_2) | instskip(SKIP_1) | instid1(VALU_DEP_3)
	v_pk_fma_f32 v[8:9], v[6:7], v[26:27], v[8:9] op_sel_hi:[1,1,0] neg_lo:[0,0,1] neg_hi:[0,0,1]
	v_mul_f32_e32 v6, v7, v0
	v_pk_add_f32 v[20:21], v[20:21], v[10:11] neg_lo:[0,1] neg_hi:[0,1]
	s_delay_alu instid0(VALU_DEP_2) | instskip(NEXT) | instid1(VALU_DEP_1)
	v_pk_fma_f32 v[4:5], v[4:5], v[26:27], v[6:7] op_sel_hi:[1,1,0]
	v_mov_b32_e32 v9, v5
	ds_load_2addr_b64 v[4:7], v202 offset0:9 offset1:10
	v_pk_add_f32 v[40:41], v[40:41], v[8:9] neg_lo:[0,1] neg_hi:[0,1]
	s_wait_dscnt 0x0
	v_pk_mul_f32 v[8:9], v[4:5], v[2:3] op_sel:[0,1]
	s_delay_alu instid0(VALU_DEP_1) | instskip(SKIP_1) | instid1(VALU_DEP_1)
	v_pk_fma_f32 v[10:11], v[4:5], v[0:1], v[8:9] op_sel:[0,0,1] op_sel_hi:[1,1,0] neg_lo:[0,0,1] neg_hi:[0,0,1]
	v_pk_fma_f32 v[4:5], v[4:5], v[0:1], v[8:9] op_sel:[0,0,1] op_sel_hi:[1,0,0]
	v_mov_b32_e32 v11, v5
	v_pk_mul_f32 v[4:5], v[6:7], v[2:3] op_sel:[0,1]
	s_delay_alu instid0(VALU_DEP_1) | instskip(SKIP_1) | instid1(VALU_DEP_1)
	v_pk_fma_f32 v[8:9], v[6:7], v[0:1], v[4:5] op_sel:[0,0,1] op_sel_hi:[1,1,0] neg_lo:[0,0,1] neg_hi:[0,0,1]
	v_pk_fma_f32 v[4:5], v[6:7], v[0:1], v[4:5] op_sel:[0,0,1] op_sel_hi:[1,0,0]
	v_mov_b32_e32 v9, v5
	ds_load_2addr_b64 v[4:7], v202 offset0:11 offset1:12
	v_pk_add_f32 v[36:37], v[36:37], v[10:11] neg_lo:[0,1] neg_hi:[0,1]
	v_pk_add_f32 v[38:39], v[38:39], v[8:9] neg_lo:[0,1] neg_hi:[0,1]
	s_wait_dscnt 0x0
	v_pk_mul_f32 v[8:9], v[4:5], v[2:3] op_sel:[0,1]
	s_delay_alu instid0(VALU_DEP_1) | instskip(SKIP_1) | instid1(VALU_DEP_1)
	v_pk_fma_f32 v[10:11], v[4:5], v[0:1], v[8:9] op_sel:[0,0,1] op_sel_hi:[1,1,0] neg_lo:[0,0,1] neg_hi:[0,0,1]
	v_pk_fma_f32 v[4:5], v[4:5], v[0:1], v[8:9] op_sel:[0,0,1] op_sel_hi:[1,0,0]
	v_mov_b32_e32 v11, v5
	v_pk_mul_f32 v[4:5], v[6:7], v[2:3] op_sel:[0,1]
	s_delay_alu instid0(VALU_DEP_1) | instskip(SKIP_1) | instid1(VALU_DEP_1)
	v_pk_fma_f32 v[8:9], v[6:7], v[0:1], v[4:5] op_sel:[0,0,1] op_sel_hi:[1,1,0] neg_lo:[0,0,1] neg_hi:[0,0,1]
	v_pk_fma_f32 v[4:5], v[6:7], v[0:1], v[4:5] op_sel:[0,0,1] op_sel_hi:[1,0,0]
	v_mov_b32_e32 v9, v5
	ds_load_2addr_b64 v[4:7], v202 offset0:13 offset1:14
	v_pk_add_f32 v[34:35], v[34:35], v[10:11] neg_lo:[0,1] neg_hi:[0,1]
	v_pk_add_f32 v[66:67], v[66:67], v[8:9] neg_lo:[0,1] neg_hi:[0,1]
	s_wait_dscnt 0x0
	v_dual_mul_f32 v8, v5, v3 :: v_dual_mul_f32 v10, v5, v0
	s_delay_alu instid0(VALU_DEP_1) | instskip(NEXT) | instid1(VALU_DEP_2)
	v_pk_fma_f32 v[8:9], v[4:5], v[26:27], v[8:9] op_sel_hi:[1,1,0] neg_lo:[0,0,1] neg_hi:[0,0,1]
	v_pk_fma_f32 v[4:5], v[4:5], v[26:27], v[10:11] op_sel:[1,0,0] op_sel_hi:[0,1,0]
	s_delay_alu instid0(VALU_DEP_1) | instskip(SKIP_1) | instid1(VALU_DEP_2)
	v_mov_b32_e32 v9, v5
	v_pk_mul_f32 v[4:5], v[6:7], v[2:3] op_sel:[0,1]
	v_pk_add_f32 v[62:63], v[62:63], v[8:9] neg_lo:[0,1] neg_hi:[0,1]
	s_delay_alu instid0(VALU_DEP_2) | instskip(SKIP_1) | instid1(VALU_DEP_1)
	v_pk_fma_f32 v[8:9], v[6:7], v[0:1], v[4:5] op_sel:[0,0,1] op_sel_hi:[1,1,0] neg_lo:[0,0,1] neg_hi:[0,0,1]
	v_pk_fma_f32 v[4:5], v[6:7], v[0:1], v[4:5] op_sel:[0,0,1] op_sel_hi:[1,0,0]
	v_mov_b32_e32 v9, v5
	ds_load_2addr_b64 v[4:7], v202 offset0:15 offset1:16
	v_pk_add_f32 v[64:65], v[64:65], v[8:9] neg_lo:[0,1] neg_hi:[0,1]
	s_wait_dscnt 0x0
	v_pk_mul_f32 v[8:9], v[4:5], v[2:3] op_sel:[0,1]
	s_delay_alu instid0(VALU_DEP_1) | instskip(SKIP_1) | instid1(VALU_DEP_1)
	v_pk_fma_f32 v[10:11], v[4:5], v[0:1], v[8:9] op_sel:[0,0,1] op_sel_hi:[1,1,0] neg_lo:[0,0,1] neg_hi:[0,0,1]
	v_pk_fma_f32 v[4:5], v[4:5], v[0:1], v[8:9] op_sel:[0,0,1] op_sel_hi:[1,0,0]
	v_mov_b32_e32 v11, v5
	v_pk_mul_f32 v[4:5], v[6:7], v[2:3] op_sel:[0,1]
	s_delay_alu instid0(VALU_DEP_2) | instskip(NEXT) | instid1(VALU_DEP_2)
	v_pk_add_f32 v[60:61], v[60:61], v[10:11] neg_lo:[0,1] neg_hi:[0,1]
	v_pk_fma_f32 v[8:9], v[6:7], v[0:1], v[4:5] op_sel:[0,0,1] op_sel_hi:[1,1,0] neg_lo:[0,0,1] neg_hi:[0,0,1]
	v_pk_fma_f32 v[4:5], v[6:7], v[0:1], v[4:5] op_sel:[0,0,1] op_sel_hi:[1,0,0]
	s_delay_alu instid0(VALU_DEP_1) | instskip(SKIP_4) | instid1(VALU_DEP_1)
	v_mov_b32_e32 v9, v5
	ds_load_2addr_b64 v[4:7], v202 offset0:17 offset1:18
	v_pk_add_f32 v[82:83], v[82:83], v[8:9] neg_lo:[0,1] neg_hi:[0,1]
	s_wait_dscnt 0x0
	v_pk_mul_f32 v[8:9], v[4:5], v[2:3] op_sel:[0,1]
	v_pk_fma_f32 v[10:11], v[4:5], v[0:1], v[8:9] op_sel:[0,0,1] op_sel_hi:[1,1,0] neg_lo:[0,0,1] neg_hi:[0,0,1]
	v_pk_fma_f32 v[4:5], v[4:5], v[0:1], v[8:9] op_sel:[0,0,1] op_sel_hi:[1,0,0]
	v_dual_mul_f32 v8, v7, v3 :: v_dual_mov_b32 v4, v7
	s_delay_alu instid0(VALU_DEP_2) | instskip(NEXT) | instid1(VALU_DEP_2)
	v_dual_mov_b32 v11, v5 :: v_dual_mov_b32 v5, v6
	v_pk_fma_f32 v[8:9], v[6:7], v[26:27], v[8:9] op_sel_hi:[1,1,0] neg_lo:[0,0,1] neg_hi:[0,0,1]
	v_mul_f32_e32 v6, v7, v0
	s_delay_alu instid0(VALU_DEP_3) | instskip(NEXT) | instid1(VALU_DEP_2)
	v_pk_add_f32 v[78:79], v[78:79], v[10:11] neg_lo:[0,1] neg_hi:[0,1]
	v_pk_fma_f32 v[4:5], v[4:5], v[26:27], v[6:7] op_sel_hi:[1,1,0]
	s_delay_alu instid0(VALU_DEP_1) | instskip(SKIP_4) | instid1(VALU_DEP_1)
	v_mov_b32_e32 v9, v5
	ds_load_2addr_b64 v[4:7], v202 offset0:19 offset1:20
	v_pk_add_f32 v[80:81], v[80:81], v[8:9] neg_lo:[0,1] neg_hi:[0,1]
	s_wait_dscnt 0x0
	v_pk_mul_f32 v[8:9], v[4:5], v[2:3] op_sel:[0,1]
	v_pk_fma_f32 v[10:11], v[4:5], v[0:1], v[8:9] op_sel:[0,0,1] op_sel_hi:[1,1,0] neg_lo:[0,0,1] neg_hi:[0,0,1]
	v_pk_fma_f32 v[4:5], v[4:5], v[0:1], v[8:9] op_sel:[0,0,1] op_sel_hi:[1,0,0]
	s_delay_alu instid0(VALU_DEP_1) | instskip(SKIP_1) | instid1(VALU_DEP_1)
	v_mov_b32_e32 v11, v5
	v_pk_mul_f32 v[4:5], v[6:7], v[2:3] op_sel:[0,1]
	v_pk_fma_f32 v[8:9], v[6:7], v[0:1], v[4:5] op_sel:[0,0,1] op_sel_hi:[1,1,0] neg_lo:[0,0,1] neg_hi:[0,0,1]
	v_pk_fma_f32 v[4:5], v[6:7], v[0:1], v[4:5] op_sel:[0,0,1] op_sel_hi:[1,0,0]
	s_delay_alu instid0(VALU_DEP_1)
	v_mov_b32_e32 v9, v5
	ds_load_2addr_b64 v[4:7], v202 offset0:21 offset1:22
	v_pk_add_f32 v[76:77], v[76:77], v[10:11] neg_lo:[0,1] neg_hi:[0,1]
	v_pk_add_f32 v[98:99], v[98:99], v[8:9] neg_lo:[0,1] neg_hi:[0,1]
	s_wait_dscnt 0x0
	v_pk_mul_f32 v[8:9], v[4:5], v[2:3] op_sel:[0,1]
	s_delay_alu instid0(VALU_DEP_1) | instskip(SKIP_1) | instid1(VALU_DEP_1)
	v_pk_fma_f32 v[10:11], v[4:5], v[0:1], v[8:9] op_sel:[0,0,1] op_sel_hi:[1,1,0] neg_lo:[0,0,1] neg_hi:[0,0,1]
	v_pk_fma_f32 v[4:5], v[4:5], v[0:1], v[8:9] op_sel:[0,0,1] op_sel_hi:[1,0,0]
	v_mov_b32_e32 v11, v5
	v_pk_mul_f32 v[4:5], v[6:7], v[2:3] op_sel:[0,1]
	s_delay_alu instid0(VALU_DEP_1) | instskip(SKIP_1) | instid1(VALU_DEP_1)
	v_pk_fma_f32 v[8:9], v[6:7], v[0:1], v[4:5] op_sel:[0,0,1] op_sel_hi:[1,1,0] neg_lo:[0,0,1] neg_hi:[0,0,1]
	v_pk_fma_f32 v[4:5], v[6:7], v[0:1], v[4:5] op_sel:[0,0,1] op_sel_hi:[1,0,0]
	v_mov_b32_e32 v9, v5
	ds_load_2addr_b64 v[4:7], v202 offset0:23 offset1:24
	v_pk_add_f32 v[94:95], v[94:95], v[10:11] neg_lo:[0,1] neg_hi:[0,1]
	v_pk_add_f32 v[96:97], v[96:97], v[8:9] neg_lo:[0,1] neg_hi:[0,1]
	s_wait_dscnt 0x0
	v_dual_mul_f32 v8, v5, v3 :: v_dual_mul_f32 v10, v5, v0
	s_delay_alu instid0(VALU_DEP_1) | instskip(NEXT) | instid1(VALU_DEP_2)
	v_pk_fma_f32 v[8:9], v[4:5], v[26:27], v[8:9] op_sel_hi:[1,1,0] neg_lo:[0,0,1] neg_hi:[0,0,1]
	v_pk_fma_f32 v[4:5], v[4:5], v[26:27], v[10:11] op_sel:[1,0,0] op_sel_hi:[0,1,0]
	s_delay_alu instid0(VALU_DEP_1) | instskip(SKIP_1) | instid1(VALU_DEP_2)
	v_mov_b32_e32 v9, v5
	v_pk_mul_f32 v[4:5], v[6:7], v[2:3] op_sel:[0,1]
	v_pk_add_f32 v[92:93], v[92:93], v[8:9] neg_lo:[0,1] neg_hi:[0,1]
	s_delay_alu instid0(VALU_DEP_2) | instskip(SKIP_1) | instid1(VALU_DEP_1)
	v_pk_fma_f32 v[8:9], v[6:7], v[0:1], v[4:5] op_sel:[0,0,1] op_sel_hi:[1,1,0] neg_lo:[0,0,1] neg_hi:[0,0,1]
	v_pk_fma_f32 v[4:5], v[6:7], v[0:1], v[4:5] op_sel:[0,0,1] op_sel_hi:[1,0,0]
	v_mov_b32_e32 v9, v5
	ds_load_2addr_b64 v[4:7], v202 offset0:25 offset1:26
	v_pk_add_f32 v[114:115], v[114:115], v[8:9] neg_lo:[0,1] neg_hi:[0,1]
	s_wait_dscnt 0x0
	v_pk_mul_f32 v[8:9], v[4:5], v[2:3] op_sel:[0,1]
	s_delay_alu instid0(VALU_DEP_1) | instskip(SKIP_1) | instid1(VALU_DEP_1)
	v_pk_fma_f32 v[10:11], v[4:5], v[0:1], v[8:9] op_sel:[0,0,1] op_sel_hi:[1,1,0] neg_lo:[0,0,1] neg_hi:[0,0,1]
	v_pk_fma_f32 v[4:5], v[4:5], v[0:1], v[8:9] op_sel:[0,0,1] op_sel_hi:[1,0,0]
	v_mov_b32_e32 v11, v5
	v_pk_mul_f32 v[4:5], v[6:7], v[2:3] op_sel:[0,1]
	s_delay_alu instid0(VALU_DEP_2) | instskip(NEXT) | instid1(VALU_DEP_2)
	v_pk_add_f32 v[110:111], v[110:111], v[10:11] neg_lo:[0,1] neg_hi:[0,1]
	v_pk_fma_f32 v[8:9], v[6:7], v[0:1], v[4:5] op_sel:[0,0,1] op_sel_hi:[1,1,0] neg_lo:[0,0,1] neg_hi:[0,0,1]
	v_pk_fma_f32 v[4:5], v[6:7], v[0:1], v[4:5] op_sel:[0,0,1] op_sel_hi:[1,0,0]
	s_delay_alu instid0(VALU_DEP_1) | instskip(SKIP_4) | instid1(VALU_DEP_1)
	v_mov_b32_e32 v9, v5
	ds_load_2addr_b64 v[4:7], v202 offset0:27 offset1:28
	v_pk_add_f32 v[112:113], v[112:113], v[8:9] neg_lo:[0,1] neg_hi:[0,1]
	s_wait_dscnt 0x0
	v_pk_mul_f32 v[8:9], v[4:5], v[2:3] op_sel:[0,1]
	v_pk_fma_f32 v[10:11], v[4:5], v[0:1], v[8:9] op_sel:[0,0,1] op_sel_hi:[1,1,0] neg_lo:[0,0,1] neg_hi:[0,0,1]
	v_pk_fma_f32 v[4:5], v[4:5], v[0:1], v[8:9] op_sel:[0,0,1] op_sel_hi:[1,0,0]
	v_dual_mul_f32 v8, v7, v3 :: v_dual_mov_b32 v4, v7
	s_delay_alu instid0(VALU_DEP_2) | instskip(NEXT) | instid1(VALU_DEP_2)
	v_dual_mov_b32 v11, v5 :: v_dual_mov_b32 v5, v6
	v_pk_fma_f32 v[8:9], v[6:7], v[26:27], v[8:9] op_sel_hi:[1,1,0] neg_lo:[0,0,1] neg_hi:[0,0,1]
	v_mul_f32_e32 v6, v7, v0
	s_delay_alu instid0(VALU_DEP_3) | instskip(NEXT) | instid1(VALU_DEP_2)
	v_pk_add_f32 v[108:109], v[108:109], v[10:11] neg_lo:[0,1] neg_hi:[0,1]
	v_pk_fma_f32 v[4:5], v[4:5], v[26:27], v[6:7] op_sel_hi:[1,1,0]
	s_delay_alu instid0(VALU_DEP_1) | instskip(SKIP_4) | instid1(VALU_DEP_1)
	v_mov_b32_e32 v9, v5
	ds_load_2addr_b64 v[4:7], v202 offset0:29 offset1:30
	v_pk_add_f32 v[130:131], v[130:131], v[8:9] neg_lo:[0,1] neg_hi:[0,1]
	s_wait_dscnt 0x0
	v_pk_mul_f32 v[8:9], v[4:5], v[2:3] op_sel:[0,1]
	v_pk_fma_f32 v[10:11], v[4:5], v[0:1], v[8:9] op_sel:[0,0,1] op_sel_hi:[1,1,0] neg_lo:[0,0,1] neg_hi:[0,0,1]
	v_pk_fma_f32 v[4:5], v[4:5], v[0:1], v[8:9] op_sel:[0,0,1] op_sel_hi:[1,0,0]
	s_delay_alu instid0(VALU_DEP_1) | instskip(SKIP_1) | instid1(VALU_DEP_1)
	v_mov_b32_e32 v11, v5
	v_pk_mul_f32 v[4:5], v[6:7], v[2:3] op_sel:[0,1]
	v_pk_fma_f32 v[8:9], v[6:7], v[0:1], v[4:5] op_sel:[0,0,1] op_sel_hi:[1,1,0] neg_lo:[0,0,1] neg_hi:[0,0,1]
	v_pk_fma_f32 v[4:5], v[6:7], v[0:1], v[4:5] op_sel:[0,0,1] op_sel_hi:[1,0,0]
	s_delay_alu instid0(VALU_DEP_1)
	v_mov_b32_e32 v9, v5
	ds_load_2addr_b64 v[4:7], v202 offset0:31 offset1:32
	v_pk_add_f32 v[126:127], v[126:127], v[10:11] neg_lo:[0,1] neg_hi:[0,1]
	v_pk_add_f32 v[128:129], v[128:129], v[8:9] neg_lo:[0,1] neg_hi:[0,1]
	s_wait_dscnt 0x0
	v_pk_mul_f32 v[8:9], v[4:5], v[2:3] op_sel:[0,1]
	s_delay_alu instid0(VALU_DEP_1) | instskip(SKIP_1) | instid1(VALU_DEP_1)
	v_pk_fma_f32 v[10:11], v[4:5], v[0:1], v[8:9] op_sel:[0,0,1] op_sel_hi:[1,1,0] neg_lo:[0,0,1] neg_hi:[0,0,1]
	v_pk_fma_f32 v[4:5], v[4:5], v[0:1], v[8:9] op_sel:[0,0,1] op_sel_hi:[1,0,0]
	v_mov_b32_e32 v11, v5
	v_pk_mul_f32 v[4:5], v[6:7], v[2:3] op_sel:[0,1]
	s_delay_alu instid0(VALU_DEP_1) | instskip(SKIP_1) | instid1(VALU_DEP_1)
	v_pk_fma_f32 v[8:9], v[6:7], v[0:1], v[4:5] op_sel:[0,0,1] op_sel_hi:[1,1,0] neg_lo:[0,0,1] neg_hi:[0,0,1]
	v_pk_fma_f32 v[4:5], v[6:7], v[0:1], v[4:5] op_sel:[0,0,1] op_sel_hi:[1,0,0]
	v_mov_b32_e32 v9, v5
	ds_load_2addr_b64 v[4:7], v202 offset0:33 offset1:34
	v_pk_add_f32 v[124:125], v[124:125], v[10:11] neg_lo:[0,1] neg_hi:[0,1]
	v_pk_add_f32 v[146:147], v[146:147], v[8:9] neg_lo:[0,1] neg_hi:[0,1]
	s_wait_dscnt 0x0
	v_dual_mul_f32 v8, v5, v3 :: v_dual_mul_f32 v10, v5, v0
	s_delay_alu instid0(VALU_DEP_1) | instskip(NEXT) | instid1(VALU_DEP_2)
	v_pk_fma_f32 v[8:9], v[4:5], v[26:27], v[8:9] op_sel_hi:[1,1,0] neg_lo:[0,0,1] neg_hi:[0,0,1]
	v_pk_fma_f32 v[4:5], v[4:5], v[26:27], v[10:11] op_sel:[1,0,0] op_sel_hi:[0,1,0]
	s_delay_alu instid0(VALU_DEP_1) | instskip(SKIP_1) | instid1(VALU_DEP_2)
	v_mov_b32_e32 v9, v5
	v_pk_mul_f32 v[4:5], v[6:7], v[2:3] op_sel:[0,1]
	v_pk_add_f32 v[142:143], v[142:143], v[8:9] neg_lo:[0,1] neg_hi:[0,1]
	s_delay_alu instid0(VALU_DEP_2) | instskip(SKIP_1) | instid1(VALU_DEP_1)
	v_pk_fma_f32 v[8:9], v[6:7], v[0:1], v[4:5] op_sel:[0,0,1] op_sel_hi:[1,1,0] neg_lo:[0,0,1] neg_hi:[0,0,1]
	v_pk_fma_f32 v[4:5], v[6:7], v[0:1], v[4:5] op_sel:[0,0,1] op_sel_hi:[1,0,0]
	v_mov_b32_e32 v9, v5
	ds_load_2addr_b64 v[4:7], v202 offset0:35 offset1:36
	v_pk_add_f32 v[144:145], v[144:145], v[8:9] neg_lo:[0,1] neg_hi:[0,1]
	s_wait_dscnt 0x0
	v_pk_mul_f32 v[8:9], v[4:5], v[2:3] op_sel:[0,1]
	s_delay_alu instid0(VALU_DEP_1) | instskip(SKIP_1) | instid1(VALU_DEP_1)
	v_pk_fma_f32 v[10:11], v[4:5], v[0:1], v[8:9] op_sel:[0,0,1] op_sel_hi:[1,1,0] neg_lo:[0,0,1] neg_hi:[0,0,1]
	v_pk_fma_f32 v[4:5], v[4:5], v[0:1], v[8:9] op_sel:[0,0,1] op_sel_hi:[1,0,0]
	v_mov_b32_e32 v11, v5
	v_pk_mul_f32 v[4:5], v[6:7], v[2:3] op_sel:[0,1]
	s_delay_alu instid0(VALU_DEP_2) | instskip(NEXT) | instid1(VALU_DEP_2)
	v_pk_add_f32 v[140:141], v[140:141], v[10:11] neg_lo:[0,1] neg_hi:[0,1]
	v_pk_fma_f32 v[8:9], v[6:7], v[0:1], v[4:5] op_sel:[0,0,1] op_sel_hi:[1,1,0] neg_lo:[0,0,1] neg_hi:[0,0,1]
	v_pk_fma_f32 v[4:5], v[6:7], v[0:1], v[4:5] op_sel:[0,0,1] op_sel_hi:[1,0,0]
	s_delay_alu instid0(VALU_DEP_1) | instskip(SKIP_4) | instid1(VALU_DEP_1)
	v_mov_b32_e32 v9, v5
	ds_load_2addr_b64 v[4:7], v202 offset0:37 offset1:38
	v_pk_add_f32 v[162:163], v[162:163], v[8:9] neg_lo:[0,1] neg_hi:[0,1]
	s_wait_dscnt 0x0
	v_pk_mul_f32 v[8:9], v[4:5], v[2:3] op_sel:[0,1]
	v_pk_fma_f32 v[10:11], v[4:5], v[0:1], v[8:9] op_sel:[0,0,1] op_sel_hi:[1,1,0] neg_lo:[0,0,1] neg_hi:[0,0,1]
	v_pk_fma_f32 v[4:5], v[4:5], v[0:1], v[8:9] op_sel:[0,0,1] op_sel_hi:[1,0,0]
	v_dual_mul_f32 v8, v7, v3 :: v_dual_mov_b32 v4, v7
	s_delay_alu instid0(VALU_DEP_2) | instskip(NEXT) | instid1(VALU_DEP_2)
	v_dual_mov_b32 v11, v5 :: v_dual_mov_b32 v5, v6
	v_pk_fma_f32 v[8:9], v[6:7], v[26:27], v[8:9] op_sel_hi:[1,1,0] neg_lo:[0,0,1] neg_hi:[0,0,1]
	v_mul_f32_e32 v6, v7, v0
	s_delay_alu instid0(VALU_DEP_3) | instskip(NEXT) | instid1(VALU_DEP_2)
	v_pk_add_f32 v[158:159], v[158:159], v[10:11] neg_lo:[0,1] neg_hi:[0,1]
	v_pk_fma_f32 v[4:5], v[4:5], v[26:27], v[6:7] op_sel_hi:[1,1,0]
	s_delay_alu instid0(VALU_DEP_1) | instskip(SKIP_4) | instid1(VALU_DEP_1)
	v_mov_b32_e32 v9, v5
	ds_load_2addr_b64 v[4:7], v202 offset0:39 offset1:40
	v_pk_add_f32 v[160:161], v[160:161], v[8:9] neg_lo:[0,1] neg_hi:[0,1]
	s_wait_dscnt 0x0
	v_pk_mul_f32 v[8:9], v[4:5], v[2:3] op_sel:[0,1]
	v_pk_fma_f32 v[10:11], v[4:5], v[0:1], v[8:9] op_sel:[0,0,1] op_sel_hi:[1,1,0] neg_lo:[0,0,1] neg_hi:[0,0,1]
	v_pk_fma_f32 v[4:5], v[4:5], v[0:1], v[8:9] op_sel:[0,0,1] op_sel_hi:[1,0,0]
	s_delay_alu instid0(VALU_DEP_1) | instskip(SKIP_1) | instid1(VALU_DEP_1)
	v_mov_b32_e32 v11, v5
	v_pk_mul_f32 v[4:5], v[6:7], v[2:3] op_sel:[0,1]
	v_pk_fma_f32 v[8:9], v[6:7], v[0:1], v[4:5] op_sel:[0,0,1] op_sel_hi:[1,1,0] neg_lo:[0,0,1] neg_hi:[0,0,1]
	v_pk_fma_f32 v[4:5], v[6:7], v[0:1], v[4:5] op_sel:[0,0,1] op_sel_hi:[1,0,0]
	s_delay_alu instid0(VALU_DEP_1)
	v_mov_b32_e32 v9, v5
	ds_load_2addr_b64 v[4:7], v202 offset0:41 offset1:42
	v_pk_add_f32 v[156:157], v[156:157], v[10:11] neg_lo:[0,1] neg_hi:[0,1]
	v_pk_add_f32 v[178:179], v[178:179], v[8:9] neg_lo:[0,1] neg_hi:[0,1]
	s_wait_dscnt 0x0
	v_pk_mul_f32 v[8:9], v[4:5], v[2:3] op_sel:[0,1]
	s_delay_alu instid0(VALU_DEP_1) | instskip(SKIP_1) | instid1(VALU_DEP_1)
	v_pk_fma_f32 v[10:11], v[4:5], v[0:1], v[8:9] op_sel:[0,0,1] op_sel_hi:[1,1,0] neg_lo:[0,0,1] neg_hi:[0,0,1]
	v_pk_fma_f32 v[4:5], v[4:5], v[0:1], v[8:9] op_sel:[0,0,1] op_sel_hi:[1,0,0]
	v_mov_b32_e32 v11, v5
	v_pk_mul_f32 v[4:5], v[6:7], v[2:3] op_sel:[0,1]
	s_delay_alu instid0(VALU_DEP_1) | instskip(SKIP_1) | instid1(VALU_DEP_1)
	v_pk_fma_f32 v[8:9], v[6:7], v[0:1], v[4:5] op_sel:[0,0,1] op_sel_hi:[1,1,0] neg_lo:[0,0,1] neg_hi:[0,0,1]
	v_pk_fma_f32 v[4:5], v[6:7], v[0:1], v[4:5] op_sel:[0,0,1] op_sel_hi:[1,0,0]
	v_mov_b32_e32 v9, v5
	ds_load_2addr_b64 v[4:7], v202 offset0:43 offset1:44
	v_pk_add_f32 v[174:175], v[174:175], v[10:11] neg_lo:[0,1] neg_hi:[0,1]
	v_pk_add_f32 v[176:177], v[176:177], v[8:9] neg_lo:[0,1] neg_hi:[0,1]
	s_wait_dscnt 0x0
	v_dual_mul_f32 v8, v5, v3 :: v_dual_mul_f32 v10, v5, v0
	s_delay_alu instid0(VALU_DEP_1) | instskip(NEXT) | instid1(VALU_DEP_2)
	v_pk_fma_f32 v[8:9], v[4:5], v[26:27], v[8:9] op_sel_hi:[1,1,0] neg_lo:[0,0,1] neg_hi:[0,0,1]
	v_pk_fma_f32 v[4:5], v[4:5], v[26:27], v[10:11] op_sel:[1,0,0] op_sel_hi:[0,1,0]
	s_delay_alu instid0(VALU_DEP_1) | instskip(SKIP_1) | instid1(VALU_DEP_2)
	v_mov_b32_e32 v9, v5
	v_pk_mul_f32 v[4:5], v[6:7], v[2:3] op_sel:[0,1]
	v_pk_add_f32 v[172:173], v[172:173], v[8:9] neg_lo:[0,1] neg_hi:[0,1]
	s_delay_alu instid0(VALU_DEP_2) | instskip(SKIP_1) | instid1(VALU_DEP_1)
	v_pk_fma_f32 v[8:9], v[6:7], v[0:1], v[4:5] op_sel:[0,0,1] op_sel_hi:[1,1,0] neg_lo:[0,0,1] neg_hi:[0,0,1]
	v_pk_fma_f32 v[4:5], v[6:7], v[0:1], v[4:5] op_sel:[0,0,1] op_sel_hi:[1,0,0]
	v_mov_b32_e32 v9, v5
	ds_load_2addr_b64 v[4:7], v202 offset0:45 offset1:46
	v_pk_add_f32 v[194:195], v[194:195], v[8:9] neg_lo:[0,1] neg_hi:[0,1]
	s_wait_dscnt 0x0
	v_pk_mul_f32 v[8:9], v[4:5], v[2:3] op_sel:[0,1]
	s_delay_alu instid0(VALU_DEP_1) | instskip(SKIP_1) | instid1(VALU_DEP_1)
	v_pk_fma_f32 v[10:11], v[4:5], v[0:1], v[8:9] op_sel:[0,0,1] op_sel_hi:[1,1,0] neg_lo:[0,0,1] neg_hi:[0,0,1]
	v_pk_fma_f32 v[4:5], v[4:5], v[0:1], v[8:9] op_sel:[0,0,1] op_sel_hi:[1,0,0]
	v_mov_b32_e32 v11, v5
	v_pk_mul_f32 v[4:5], v[6:7], v[2:3] op_sel:[0,1]
	s_delay_alu instid0(VALU_DEP_2) | instskip(NEXT) | instid1(VALU_DEP_2)
	v_pk_add_f32 v[190:191], v[190:191], v[10:11] neg_lo:[0,1] neg_hi:[0,1]
	v_pk_fma_f32 v[8:9], v[6:7], v[0:1], v[4:5] op_sel:[0,0,1] op_sel_hi:[1,1,0] neg_lo:[0,0,1] neg_hi:[0,0,1]
	v_pk_fma_f32 v[4:5], v[6:7], v[0:1], v[4:5] op_sel:[0,0,1] op_sel_hi:[1,0,0]
	s_delay_alu instid0(VALU_DEP_1) | instskip(SKIP_4) | instid1(VALU_DEP_1)
	v_mov_b32_e32 v9, v5
	ds_load_2addr_b64 v[4:7], v202 offset0:47 offset1:48
	v_pk_add_f32 v[192:193], v[192:193], v[8:9] neg_lo:[0,1] neg_hi:[0,1]
	s_wait_dscnt 0x0
	v_pk_mul_f32 v[8:9], v[4:5], v[2:3] op_sel:[0,1]
	v_pk_fma_f32 v[10:11], v[4:5], v[0:1], v[8:9] op_sel:[0,0,1] op_sel_hi:[1,1,0] neg_lo:[0,0,1] neg_hi:[0,0,1]
	v_pk_fma_f32 v[4:5], v[4:5], v[0:1], v[8:9] op_sel:[0,0,1] op_sel_hi:[1,0,0]
	v_dual_mul_f32 v8, v7, v3 :: v_dual_mov_b32 v4, v7
	s_delay_alu instid0(VALU_DEP_2) | instskip(NEXT) | instid1(VALU_DEP_2)
	v_dual_mov_b32 v11, v5 :: v_dual_mov_b32 v5, v6
	v_pk_fma_f32 v[8:9], v[6:7], v[26:27], v[8:9] op_sel_hi:[1,1,0] neg_lo:[0,0,1] neg_hi:[0,0,1]
	v_mul_f32_e32 v6, v7, v0
	s_delay_alu instid0(VALU_DEP_3) | instskip(NEXT) | instid1(VALU_DEP_2)
	v_pk_add_f32 v[188:189], v[188:189], v[10:11] neg_lo:[0,1] neg_hi:[0,1]
	v_pk_fma_f32 v[4:5], v[4:5], v[26:27], v[6:7] op_sel_hi:[1,1,0]
	s_delay_alu instid0(VALU_DEP_1) | instskip(SKIP_4) | instid1(VALU_DEP_1)
	v_mov_b32_e32 v9, v5
	ds_load_2addr_b64 v[4:7], v202 offset0:49 offset1:50
	v_pk_add_f32 v[212:213], v[212:213], v[8:9] neg_lo:[0,1] neg_hi:[0,1]
	s_wait_dscnt 0x0
	v_pk_mul_f32 v[8:9], v[4:5], v[2:3] op_sel:[0,1]
	v_pk_fma_f32 v[10:11], v[4:5], v[0:1], v[8:9] op_sel:[0,0,1] op_sel_hi:[1,1,0] neg_lo:[0,0,1] neg_hi:[0,0,1]
	v_pk_fma_f32 v[4:5], v[4:5], v[0:1], v[8:9] op_sel:[0,0,1] op_sel_hi:[1,0,0]
	s_delay_alu instid0(VALU_DEP_1) | instskip(SKIP_1) | instid1(VALU_DEP_1)
	v_mov_b32_e32 v11, v5
	v_pk_mul_f32 v[4:5], v[6:7], v[2:3] op_sel:[0,1]
	v_pk_fma_f32 v[8:9], v[6:7], v[0:1], v[4:5] op_sel:[0,0,1] op_sel_hi:[1,1,0] neg_lo:[0,0,1] neg_hi:[0,0,1]
	v_pk_fma_f32 v[4:5], v[6:7], v[0:1], v[4:5] op_sel:[0,0,1] op_sel_hi:[1,0,0]
	s_delay_alu instid0(VALU_DEP_1)
	v_mov_b32_e32 v9, v5
	ds_load_2addr_b64 v[4:7], v202 offset0:51 offset1:52
	v_pk_add_f32 v[208:209], v[208:209], v[10:11] neg_lo:[0,1] neg_hi:[0,1]
	v_pk_add_f32 v[210:211], v[210:211], v[8:9] neg_lo:[0,1] neg_hi:[0,1]
	s_wait_dscnt 0x0
	v_pk_mul_f32 v[8:9], v[4:5], v[2:3] op_sel:[0,1]
	s_delay_alu instid0(VALU_DEP_1) | instskip(SKIP_1) | instid1(VALU_DEP_1)
	v_pk_fma_f32 v[10:11], v[4:5], v[0:1], v[8:9] op_sel:[0,0,1] op_sel_hi:[1,1,0] neg_lo:[0,0,1] neg_hi:[0,0,1]
	v_pk_fma_f32 v[4:5], v[4:5], v[0:1], v[8:9] op_sel:[0,0,1] op_sel_hi:[1,0,0]
	v_mov_b32_e32 v11, v5
	v_pk_mul_f32 v[4:5], v[6:7], v[2:3] op_sel:[0,1]
	s_delay_alu instid0(VALU_DEP_1) | instskip(SKIP_1) | instid1(VALU_DEP_1)
	v_pk_fma_f32 v[8:9], v[6:7], v[0:1], v[4:5] op_sel:[0,0,1] op_sel_hi:[1,1,0] neg_lo:[0,0,1] neg_hi:[0,0,1]
	v_pk_fma_f32 v[4:5], v[6:7], v[0:1], v[4:5] op_sel:[0,0,1] op_sel_hi:[1,0,0]
	v_mov_b32_e32 v9, v5
	ds_load_2addr_b64 v[4:7], v202 offset0:53 offset1:54
	v_pk_add_f32 v[206:207], v[206:207], v[10:11] neg_lo:[0,1] neg_hi:[0,1]
	v_pk_add_f32 v[232:233], v[232:233], v[8:9] neg_lo:[0,1] neg_hi:[0,1]
	s_wait_dscnt 0x0
	v_dual_mul_f32 v8, v5, v3 :: v_dual_mul_f32 v10, v5, v0
	s_delay_alu instid0(VALU_DEP_1) | instskip(NEXT) | instid1(VALU_DEP_2)
	v_pk_fma_f32 v[8:9], v[4:5], v[26:27], v[8:9] op_sel_hi:[1,1,0] neg_lo:[0,0,1] neg_hi:[0,0,1]
	v_pk_fma_f32 v[4:5], v[4:5], v[26:27], v[10:11] op_sel:[1,0,0] op_sel_hi:[0,1,0]
	s_delay_alu instid0(VALU_DEP_1) | instskip(SKIP_1) | instid1(VALU_DEP_2)
	v_mov_b32_e32 v9, v5
	v_pk_mul_f32 v[4:5], v[6:7], v[2:3] op_sel:[0,1]
	v_pk_add_f32 v[226:227], v[226:227], v[8:9] neg_lo:[0,1] neg_hi:[0,1]
	s_delay_alu instid0(VALU_DEP_2) | instskip(SKIP_1) | instid1(VALU_DEP_1)
	v_pk_fma_f32 v[8:9], v[6:7], v[0:1], v[4:5] op_sel:[0,0,1] op_sel_hi:[1,1,0] neg_lo:[0,0,1] neg_hi:[0,0,1]
	v_pk_fma_f32 v[4:5], v[6:7], v[0:1], v[4:5] op_sel:[0,0,1] op_sel_hi:[1,0,0]
	v_mov_b32_e32 v9, v5
	ds_load_2addr_b64 v[4:7], v202 offset0:55 offset1:56
	v_pk_add_f32 v[230:231], v[230:231], v[8:9] neg_lo:[0,1] neg_hi:[0,1]
	s_wait_dscnt 0x0
	v_pk_mul_f32 v[8:9], v[4:5], v[2:3] op_sel:[0,1]
	s_delay_alu instid0(VALU_DEP_1) | instskip(SKIP_1) | instid1(VALU_DEP_1)
	v_pk_fma_f32 v[10:11], v[4:5], v[0:1], v[8:9] op_sel:[0,0,1] op_sel_hi:[1,1,0] neg_lo:[0,0,1] neg_hi:[0,0,1]
	v_pk_fma_f32 v[4:5], v[4:5], v[0:1], v[8:9] op_sel:[0,0,1] op_sel_hi:[1,0,0]
	v_mov_b32_e32 v11, v5
	v_pk_mul_f32 v[4:5], v[6:7], v[2:3] op_sel:[0,1]
	s_delay_alu instid0(VALU_DEP_2) | instskip(NEXT) | instid1(VALU_DEP_2)
	v_pk_add_f32 v[224:225], v[224:225], v[10:11] neg_lo:[0,1] neg_hi:[0,1]
	v_pk_fma_f32 v[8:9], v[6:7], v[0:1], v[4:5] op_sel:[0,0,1] op_sel_hi:[1,1,0] neg_lo:[0,0,1] neg_hi:[0,0,1]
	v_pk_fma_f32 v[4:5], v[6:7], v[0:1], v[4:5] op_sel:[0,0,1] op_sel_hi:[1,0,0]
	s_delay_alu instid0(VALU_DEP_1)
	v_mov_b32_e32 v9, v5
	ds_load_2addr_b64 v[4:7], v202 offset0:57 offset1:58
	v_pk_add_f32 v[228:229], v[228:229], v[8:9] neg_lo:[0,1] neg_hi:[0,1]
	s_wait_dscnt 0x0
	v_pk_mul_f32 v[8:9], v[4:5], v[2:3] op_sel:[0,1]
	v_mul_f32_e32 v2, v7, v3
	s_delay_alu instid0(VALU_DEP_2) | instskip(SKIP_2) | instid1(VALU_DEP_4)
	v_pk_fma_f32 v[10:11], v[4:5], v[0:1], v[8:9] op_sel:[0,0,1] op_sel_hi:[1,1,0] neg_lo:[0,0,1] neg_hi:[0,0,1]
	v_pk_fma_f32 v[4:5], v[4:5], v[0:1], v[8:9] op_sel:[0,0,1] op_sel_hi:[1,0,0]
	v_dual_mov_b32 v4, v7 :: v_dual_mul_f32 v0, v7, v0
	v_pk_fma_f32 v[2:3], v[6:7], v[26:27], v[2:3] op_sel_hi:[1,1,0] neg_lo:[0,0,1] neg_hi:[0,0,1]
	s_delay_alu instid0(VALU_DEP_3) | instskip(NEXT) | instid1(VALU_DEP_1)
	v_dual_mov_b32 v11, v5 :: v_dual_mov_b32 v5, v6
	v_pk_add_f32 v[234:235], v[234:235], v[10:11] neg_lo:[0,1] neg_hi:[0,1]
	s_delay_alu instid0(VALU_DEP_2) | instskip(NEXT) | instid1(VALU_DEP_1)
	v_pk_fma_f32 v[0:1], v[4:5], v[26:27], v[0:1] op_sel_hi:[1,1,0]
	v_mov_b32_e32 v3, v1
	s_delay_alu instid0(VALU_DEP_1)
	v_pk_add_f32 v[236:237], v[236:237], v[2:3] neg_lo:[0,1] neg_hi:[0,1]
.LBB117_46:
	s_wait_xcnt 0x0
	s_or_b32 exec_lo, exec_lo, s1
	s_delay_alu instid0(SALU_CYCLE_1)
	s_mov_b32 s2, exec_lo
	s_wait_storecnt 0x0
	s_barrier_signal -1
	s_barrier_wait -1
	v_cmpx_eq_u32_e32 5, v200
	s_cbranch_execz .LBB117_53
; %bb.47:
	v_dual_mov_b32 v0, v24 :: v_dual_mov_b32 v1, v25
	v_dual_mov_b32 v2, v20 :: v_dual_mov_b32 v3, v21
	ds_store_b64 v201, v[22:23]
	ds_store_2addr_b64 v202, v[0:1], v[2:3] offset0:6 offset1:7
	v_dual_mov_b32 v0, v40 :: v_dual_mov_b32 v1, v41
	v_dual_mov_b32 v2, v36 :: v_dual_mov_b32 v3, v37
	ds_store_2addr_b64 v202, v[0:1], v[2:3] offset0:8 offset1:9
	v_dual_mov_b32 v0, v38 :: v_dual_mov_b32 v1, v39
	v_dual_mov_b32 v2, v34 :: v_dual_mov_b32 v3, v35
	;; [unrolled: 3-line block ×25, first 2 shown]
	ds_store_2addr_b64 v202, v[0:1], v[2:3] offset0:56 offset1:57
	ds_store_b64 v202, v[236:237] offset:464
	ds_load_b64 v[0:1], v201
	s_wait_dscnt 0x0
	v_cmp_neq_f32_e32 vcc_lo, 0, v0
	v_cmp_neq_f32_e64 s1, 0, v1
	s_or_b32 s1, vcc_lo, s1
	s_delay_alu instid0(SALU_CYCLE_1)
	s_and_b32 exec_lo, exec_lo, s1
	s_cbranch_execz .LBB117_53
; %bb.48:
	v_cmp_ngt_f32_e64 s1, |v0|, |v1|
                                        ; implicit-def: $vgpr2_vgpr3
	s_and_saveexec_b32 s4, s1
	s_delay_alu instid0(SALU_CYCLE_1)
	s_xor_b32 s1, exec_lo, s4
	s_cbranch_execz .LBB117_50
; %bb.49:
	v_div_scale_f32 v2, null, v1, v1, v0
	v_div_scale_f32 v5, vcc_lo, v0, v1, v0
	s_delay_alu instid0(VALU_DEP_2) | instskip(SKIP_1) | instid1(TRANS32_DEP_1)
	v_rcp_f32_e32 v3, v2
	v_nop
	v_fma_f32 v4, -v2, v3, 1.0
	s_delay_alu instid0(VALU_DEP_1) | instskip(NEXT) | instid1(VALU_DEP_1)
	v_fmac_f32_e32 v3, v4, v3
	v_mul_f32_e32 v4, v5, v3
	s_delay_alu instid0(VALU_DEP_1) | instskip(NEXT) | instid1(VALU_DEP_1)
	v_fma_f32 v6, -v2, v4, v5
	v_fmac_f32_e32 v4, v6, v3
	s_delay_alu instid0(VALU_DEP_1) | instskip(NEXT) | instid1(VALU_DEP_1)
	v_fma_f32 v2, -v2, v4, v5
	v_div_fmas_f32 v2, v2, v3, v4
	s_delay_alu instid0(VALU_DEP_1) | instskip(NEXT) | instid1(VALU_DEP_1)
	v_div_fixup_f32 v2, v2, v1, v0
	v_fmac_f32_e32 v1, v0, v2
	s_delay_alu instid0(VALU_DEP_1) | instskip(SKIP_1) | instid1(VALU_DEP_2)
	v_div_scale_f32 v0, null, v1, v1, 1.0
	v_div_scale_f32 v5, vcc_lo, 1.0, v1, 1.0
	v_rcp_f32_e32 v3, v0
	v_nop
	s_delay_alu instid0(TRANS32_DEP_1) | instskip(NEXT) | instid1(VALU_DEP_1)
	v_fma_f32 v4, -v0, v3, 1.0
	v_fmac_f32_e32 v3, v4, v3
	s_delay_alu instid0(VALU_DEP_1) | instskip(NEXT) | instid1(VALU_DEP_1)
	v_mul_f32_e32 v4, v5, v3
	v_fma_f32 v6, -v0, v4, v5
	s_delay_alu instid0(VALU_DEP_1) | instskip(NEXT) | instid1(VALU_DEP_1)
	v_fmac_f32_e32 v4, v6, v3
	v_fma_f32 v0, -v0, v4, v5
	s_delay_alu instid0(VALU_DEP_1) | instskip(NEXT) | instid1(VALU_DEP_1)
	v_div_fmas_f32 v0, v0, v3, v4
	v_div_fixup_f32 v0, v0, v1, 1.0
	s_delay_alu instid0(VALU_DEP_1)
	v_mul_f32_e32 v2, v2, v0
	v_xor_b32_e32 v3, 0x80000000, v0
                                        ; implicit-def: $vgpr0_vgpr1
.LBB117_50:
	s_and_not1_saveexec_b32 s1, s1
	s_cbranch_execz .LBB117_52
; %bb.51:
	v_div_scale_f32 v2, null, v0, v0, v1
	v_div_scale_f32 v5, vcc_lo, v1, v0, v1
	s_delay_alu instid0(VALU_DEP_2) | instskip(SKIP_1) | instid1(TRANS32_DEP_1)
	v_rcp_f32_e32 v3, v2
	v_nop
	v_fma_f32 v4, -v2, v3, 1.0
	s_delay_alu instid0(VALU_DEP_1) | instskip(NEXT) | instid1(VALU_DEP_1)
	v_fmac_f32_e32 v3, v4, v3
	v_mul_f32_e32 v4, v5, v3
	s_delay_alu instid0(VALU_DEP_1) | instskip(NEXT) | instid1(VALU_DEP_1)
	v_fma_f32 v6, -v2, v4, v5
	v_fmac_f32_e32 v4, v6, v3
	s_delay_alu instid0(VALU_DEP_1) | instskip(NEXT) | instid1(VALU_DEP_1)
	v_fma_f32 v2, -v2, v4, v5
	v_div_fmas_f32 v2, v2, v3, v4
	s_delay_alu instid0(VALU_DEP_1) | instskip(NEXT) | instid1(VALU_DEP_1)
	v_div_fixup_f32 v3, v2, v0, v1
	v_fmac_f32_e32 v0, v1, v3
	s_delay_alu instid0(VALU_DEP_1) | instskip(NEXT) | instid1(VALU_DEP_1)
	v_div_scale_f32 v1, null, v0, v0, 1.0
	v_rcp_f32_e32 v2, v1
	v_nop
	s_delay_alu instid0(TRANS32_DEP_1) | instskip(NEXT) | instid1(VALU_DEP_1)
	v_fma_f32 v4, -v1, v2, 1.0
	v_fmac_f32_e32 v2, v4, v2
	v_div_scale_f32 v4, vcc_lo, 1.0, v0, 1.0
	s_delay_alu instid0(VALU_DEP_1) | instskip(NEXT) | instid1(VALU_DEP_1)
	v_mul_f32_e32 v5, v4, v2
	v_fma_f32 v6, -v1, v5, v4
	s_delay_alu instid0(VALU_DEP_1) | instskip(NEXT) | instid1(VALU_DEP_1)
	v_fmac_f32_e32 v5, v6, v2
	v_fma_f32 v1, -v1, v5, v4
	s_delay_alu instid0(VALU_DEP_1) | instskip(NEXT) | instid1(VALU_DEP_1)
	v_div_fmas_f32 v1, v1, v2, v5
	v_div_fixup_f32 v2, v1, v0, 1.0
	s_delay_alu instid0(VALU_DEP_1)
	v_mul_f32_e64 v3, v3, -v2
.LBB117_52:
	s_or_b32 exec_lo, exec_lo, s1
	ds_store_b64 v201, v[2:3]
.LBB117_53:
	s_or_b32 exec_lo, exec_lo, s2
	s_wait_dscnt 0x0
	s_barrier_signal -1
	s_barrier_wait -1
	ds_load_b64 v[0:1], v201
	s_mov_b32 s1, exec_lo
	s_wait_dscnt 0x0
	scratch_store_b64 off, v[0:1], off offset:408 ; 8-byte Folded Spill
	s_wait_xcnt 0x0
	v_cmpx_lt_u32_e32 5, v200
	s_cbranch_execz .LBB117_55
; %bb.54:
	scratch_load_b64 v[4:5], off, off offset:408 ; 8-byte Folded Reload
	s_wait_loadcnt 0x0
	v_pk_mul_f32 v[2:3], v[4:5], v[22:23] op_sel:[1,1] op_sel_hi:[0,1]
	s_delay_alu instid0(VALU_DEP_1)
	v_pk_fma_f32 v[0:1], v[4:5], v[22:23], v[2:3] op_sel_hi:[1,0,1] neg_lo:[0,0,1] neg_hi:[0,0,1]
	v_pk_fma_f32 v[2:3], v[4:5], v[22:23], v[2:3] op_sel_hi:[1,0,1]
	ds_load_2addr_b64 v[4:7], v202 offset0:6 offset1:7
	v_dual_mov_b32 v22, v0 :: v_dual_mov_b32 v23, v3
	s_wait_dscnt 0x0
	v_pk_mul_f32 v[8:9], v[4:5], v[2:3] op_sel:[0,1]
	s_delay_alu instid0(VALU_DEP_1) | instskip(SKIP_1) | instid1(VALU_DEP_1)
	v_pk_fma_f32 v[10:11], v[4:5], v[0:1], v[8:9] op_sel:[0,0,1] op_sel_hi:[1,1,0] neg_lo:[0,0,1] neg_hi:[0,0,1]
	v_pk_fma_f32 v[4:5], v[4:5], v[0:1], v[8:9] op_sel:[0,0,1] op_sel_hi:[1,0,0]
	v_mov_b32_e32 v11, v5
	v_pk_mul_f32 v[4:5], v[6:7], v[2:3] op_sel:[0,1]
	s_delay_alu instid0(VALU_DEP_1) | instskip(SKIP_1) | instid1(VALU_DEP_1)
	v_pk_fma_f32 v[8:9], v[6:7], v[0:1], v[4:5] op_sel:[0,0,1] op_sel_hi:[1,1,0] neg_lo:[0,0,1] neg_hi:[0,0,1]
	v_pk_fma_f32 v[4:5], v[6:7], v[0:1], v[4:5] op_sel:[0,0,1] op_sel_hi:[1,0,0]
	v_mov_b32_e32 v9, v5
	ds_load_2addr_b64 v[4:7], v202 offset0:8 offset1:9
	v_pk_add_f32 v[24:25], v[24:25], v[10:11] neg_lo:[0,1] neg_hi:[0,1]
	v_pk_add_f32 v[20:21], v[20:21], v[8:9] neg_lo:[0,1] neg_hi:[0,1]
	s_wait_dscnt 0x0
	v_pk_mul_f32 v[8:9], v[4:5], v[2:3] op_sel:[0,1]
	s_delay_alu instid0(VALU_DEP_1) | instskip(SKIP_2) | instid1(VALU_DEP_2)
	v_pk_fma_f32 v[10:11], v[4:5], v[0:1], v[8:9] op_sel:[0,0,1] op_sel_hi:[1,1,0] neg_lo:[0,0,1] neg_hi:[0,0,1]
	v_pk_fma_f32 v[4:5], v[4:5], v[0:1], v[8:9] op_sel:[0,0,1] op_sel_hi:[1,0,0]
	v_dual_mul_f32 v8, v7, v3 :: v_dual_mov_b32 v4, v7
	v_dual_mov_b32 v11, v5 :: v_dual_mov_b32 v5, v6
	s_delay_alu instid0(VALU_DEP_2) | instskip(SKIP_1) | instid1(VALU_DEP_3)
	v_pk_fma_f32 v[8:9], v[6:7], v[22:23], v[8:9] op_sel_hi:[1,1,0] neg_lo:[0,0,1] neg_hi:[0,0,1]
	v_mul_f32_e32 v6, v7, v0
	v_pk_add_f32 v[40:41], v[40:41], v[10:11] neg_lo:[0,1] neg_hi:[0,1]
	s_delay_alu instid0(VALU_DEP_2) | instskip(NEXT) | instid1(VALU_DEP_1)
	v_pk_fma_f32 v[4:5], v[4:5], v[22:23], v[6:7] op_sel_hi:[1,1,0]
	v_mov_b32_e32 v9, v5
	ds_load_2addr_b64 v[4:7], v202 offset0:10 offset1:11
	v_pk_add_f32 v[36:37], v[36:37], v[8:9] neg_lo:[0,1] neg_hi:[0,1]
	s_wait_dscnt 0x0
	v_pk_mul_f32 v[8:9], v[4:5], v[2:3] op_sel:[0,1]
	s_delay_alu instid0(VALU_DEP_1) | instskip(SKIP_1) | instid1(VALU_DEP_1)
	v_pk_fma_f32 v[10:11], v[4:5], v[0:1], v[8:9] op_sel:[0,0,1] op_sel_hi:[1,1,0] neg_lo:[0,0,1] neg_hi:[0,0,1]
	v_pk_fma_f32 v[4:5], v[4:5], v[0:1], v[8:9] op_sel:[0,0,1] op_sel_hi:[1,0,0]
	v_mov_b32_e32 v11, v5
	v_pk_mul_f32 v[4:5], v[6:7], v[2:3] op_sel:[0,1]
	s_delay_alu instid0(VALU_DEP_1) | instskip(SKIP_1) | instid1(VALU_DEP_1)
	v_pk_fma_f32 v[8:9], v[6:7], v[0:1], v[4:5] op_sel:[0,0,1] op_sel_hi:[1,1,0] neg_lo:[0,0,1] neg_hi:[0,0,1]
	v_pk_fma_f32 v[4:5], v[6:7], v[0:1], v[4:5] op_sel:[0,0,1] op_sel_hi:[1,0,0]
	v_mov_b32_e32 v9, v5
	ds_load_2addr_b64 v[4:7], v202 offset0:12 offset1:13
	v_pk_add_f32 v[38:39], v[38:39], v[10:11] neg_lo:[0,1] neg_hi:[0,1]
	v_pk_add_f32 v[34:35], v[34:35], v[8:9] neg_lo:[0,1] neg_hi:[0,1]
	s_wait_dscnt 0x0
	v_pk_mul_f32 v[8:9], v[4:5], v[2:3] op_sel:[0,1]
	s_delay_alu instid0(VALU_DEP_1) | instskip(SKIP_1) | instid1(VALU_DEP_1)
	v_pk_fma_f32 v[10:11], v[4:5], v[0:1], v[8:9] op_sel:[0,0,1] op_sel_hi:[1,1,0] neg_lo:[0,0,1] neg_hi:[0,0,1]
	v_pk_fma_f32 v[4:5], v[4:5], v[0:1], v[8:9] op_sel:[0,0,1] op_sel_hi:[1,0,0]
	v_mov_b32_e32 v11, v5
	v_pk_mul_f32 v[4:5], v[6:7], v[2:3] op_sel:[0,1]
	s_delay_alu instid0(VALU_DEP_1) | instskip(SKIP_1) | instid1(VALU_DEP_1)
	v_pk_fma_f32 v[8:9], v[6:7], v[0:1], v[4:5] op_sel:[0,0,1] op_sel_hi:[1,1,0] neg_lo:[0,0,1] neg_hi:[0,0,1]
	v_pk_fma_f32 v[4:5], v[6:7], v[0:1], v[4:5] op_sel:[0,0,1] op_sel_hi:[1,0,0]
	v_mov_b32_e32 v9, v5
	ds_load_2addr_b64 v[4:7], v202 offset0:14 offset1:15
	v_pk_add_f32 v[66:67], v[66:67], v[10:11] neg_lo:[0,1] neg_hi:[0,1]
	v_pk_add_f32 v[62:63], v[62:63], v[8:9] neg_lo:[0,1] neg_hi:[0,1]
	s_wait_dscnt 0x0
	v_dual_mul_f32 v8, v5, v3 :: v_dual_mul_f32 v10, v5, v0
	s_delay_alu instid0(VALU_DEP_1) | instskip(NEXT) | instid1(VALU_DEP_2)
	v_pk_fma_f32 v[8:9], v[4:5], v[22:23], v[8:9] op_sel_hi:[1,1,0] neg_lo:[0,0,1] neg_hi:[0,0,1]
	v_pk_fma_f32 v[4:5], v[4:5], v[22:23], v[10:11] op_sel:[1,0,0] op_sel_hi:[0,1,0]
	s_delay_alu instid0(VALU_DEP_1) | instskip(SKIP_1) | instid1(VALU_DEP_2)
	v_mov_b32_e32 v9, v5
	v_pk_mul_f32 v[4:5], v[6:7], v[2:3] op_sel:[0,1]
	v_pk_add_f32 v[64:65], v[64:65], v[8:9] neg_lo:[0,1] neg_hi:[0,1]
	s_delay_alu instid0(VALU_DEP_2) | instskip(SKIP_1) | instid1(VALU_DEP_1)
	v_pk_fma_f32 v[8:9], v[6:7], v[0:1], v[4:5] op_sel:[0,0,1] op_sel_hi:[1,1,0] neg_lo:[0,0,1] neg_hi:[0,0,1]
	v_pk_fma_f32 v[4:5], v[6:7], v[0:1], v[4:5] op_sel:[0,0,1] op_sel_hi:[1,0,0]
	v_mov_b32_e32 v9, v5
	ds_load_2addr_b64 v[4:7], v202 offset0:16 offset1:17
	v_pk_add_f32 v[60:61], v[60:61], v[8:9] neg_lo:[0,1] neg_hi:[0,1]
	s_wait_dscnt 0x0
	v_pk_mul_f32 v[8:9], v[4:5], v[2:3] op_sel:[0,1]
	s_delay_alu instid0(VALU_DEP_1) | instskip(SKIP_1) | instid1(VALU_DEP_1)
	v_pk_fma_f32 v[10:11], v[4:5], v[0:1], v[8:9] op_sel:[0,0,1] op_sel_hi:[1,1,0] neg_lo:[0,0,1] neg_hi:[0,0,1]
	v_pk_fma_f32 v[4:5], v[4:5], v[0:1], v[8:9] op_sel:[0,0,1] op_sel_hi:[1,0,0]
	v_mov_b32_e32 v11, v5
	v_pk_mul_f32 v[4:5], v[6:7], v[2:3] op_sel:[0,1]
	s_delay_alu instid0(VALU_DEP_2) | instskip(NEXT) | instid1(VALU_DEP_2)
	v_pk_add_f32 v[82:83], v[82:83], v[10:11] neg_lo:[0,1] neg_hi:[0,1]
	v_pk_fma_f32 v[8:9], v[6:7], v[0:1], v[4:5] op_sel:[0,0,1] op_sel_hi:[1,1,0] neg_lo:[0,0,1] neg_hi:[0,0,1]
	v_pk_fma_f32 v[4:5], v[6:7], v[0:1], v[4:5] op_sel:[0,0,1] op_sel_hi:[1,0,0]
	s_delay_alu instid0(VALU_DEP_1) | instskip(SKIP_4) | instid1(VALU_DEP_1)
	v_mov_b32_e32 v9, v5
	ds_load_2addr_b64 v[4:7], v202 offset0:18 offset1:19
	v_pk_add_f32 v[78:79], v[78:79], v[8:9] neg_lo:[0,1] neg_hi:[0,1]
	s_wait_dscnt 0x0
	v_pk_mul_f32 v[8:9], v[4:5], v[2:3] op_sel:[0,1]
	v_pk_fma_f32 v[10:11], v[4:5], v[0:1], v[8:9] op_sel:[0,0,1] op_sel_hi:[1,1,0] neg_lo:[0,0,1] neg_hi:[0,0,1]
	v_pk_fma_f32 v[4:5], v[4:5], v[0:1], v[8:9] op_sel:[0,0,1] op_sel_hi:[1,0,0]
	v_dual_mul_f32 v8, v7, v3 :: v_dual_mov_b32 v4, v7
	s_delay_alu instid0(VALU_DEP_2) | instskip(NEXT) | instid1(VALU_DEP_2)
	v_dual_mov_b32 v11, v5 :: v_dual_mov_b32 v5, v6
	v_pk_fma_f32 v[8:9], v[6:7], v[22:23], v[8:9] op_sel_hi:[1,1,0] neg_lo:[0,0,1] neg_hi:[0,0,1]
	v_mul_f32_e32 v6, v7, v0
	s_delay_alu instid0(VALU_DEP_3) | instskip(NEXT) | instid1(VALU_DEP_2)
	v_pk_add_f32 v[80:81], v[80:81], v[10:11] neg_lo:[0,1] neg_hi:[0,1]
	v_pk_fma_f32 v[4:5], v[4:5], v[22:23], v[6:7] op_sel_hi:[1,1,0]
	s_delay_alu instid0(VALU_DEP_1) | instskip(SKIP_4) | instid1(VALU_DEP_1)
	v_mov_b32_e32 v9, v5
	ds_load_2addr_b64 v[4:7], v202 offset0:20 offset1:21
	v_pk_add_f32 v[76:77], v[76:77], v[8:9] neg_lo:[0,1] neg_hi:[0,1]
	s_wait_dscnt 0x0
	v_pk_mul_f32 v[8:9], v[4:5], v[2:3] op_sel:[0,1]
	v_pk_fma_f32 v[10:11], v[4:5], v[0:1], v[8:9] op_sel:[0,0,1] op_sel_hi:[1,1,0] neg_lo:[0,0,1] neg_hi:[0,0,1]
	v_pk_fma_f32 v[4:5], v[4:5], v[0:1], v[8:9] op_sel:[0,0,1] op_sel_hi:[1,0,0]
	s_delay_alu instid0(VALU_DEP_1) | instskip(SKIP_1) | instid1(VALU_DEP_1)
	v_mov_b32_e32 v11, v5
	v_pk_mul_f32 v[4:5], v[6:7], v[2:3] op_sel:[0,1]
	v_pk_fma_f32 v[8:9], v[6:7], v[0:1], v[4:5] op_sel:[0,0,1] op_sel_hi:[1,1,0] neg_lo:[0,0,1] neg_hi:[0,0,1]
	v_pk_fma_f32 v[4:5], v[6:7], v[0:1], v[4:5] op_sel:[0,0,1] op_sel_hi:[1,0,0]
	s_delay_alu instid0(VALU_DEP_1)
	v_mov_b32_e32 v9, v5
	ds_load_2addr_b64 v[4:7], v202 offset0:22 offset1:23
	v_pk_add_f32 v[98:99], v[98:99], v[10:11] neg_lo:[0,1] neg_hi:[0,1]
	v_pk_add_f32 v[94:95], v[94:95], v[8:9] neg_lo:[0,1] neg_hi:[0,1]
	s_wait_dscnt 0x0
	v_pk_mul_f32 v[8:9], v[4:5], v[2:3] op_sel:[0,1]
	s_delay_alu instid0(VALU_DEP_1) | instskip(SKIP_1) | instid1(VALU_DEP_1)
	v_pk_fma_f32 v[10:11], v[4:5], v[0:1], v[8:9] op_sel:[0,0,1] op_sel_hi:[1,1,0] neg_lo:[0,0,1] neg_hi:[0,0,1]
	v_pk_fma_f32 v[4:5], v[4:5], v[0:1], v[8:9] op_sel:[0,0,1] op_sel_hi:[1,0,0]
	v_mov_b32_e32 v11, v5
	v_pk_mul_f32 v[4:5], v[6:7], v[2:3] op_sel:[0,1]
	s_delay_alu instid0(VALU_DEP_1) | instskip(SKIP_1) | instid1(VALU_DEP_1)
	v_pk_fma_f32 v[8:9], v[6:7], v[0:1], v[4:5] op_sel:[0,0,1] op_sel_hi:[1,1,0] neg_lo:[0,0,1] neg_hi:[0,0,1]
	v_pk_fma_f32 v[4:5], v[6:7], v[0:1], v[4:5] op_sel:[0,0,1] op_sel_hi:[1,0,0]
	v_mov_b32_e32 v9, v5
	ds_load_2addr_b64 v[4:7], v202 offset0:24 offset1:25
	v_pk_add_f32 v[96:97], v[96:97], v[10:11] neg_lo:[0,1] neg_hi:[0,1]
	v_pk_add_f32 v[92:93], v[92:93], v[8:9] neg_lo:[0,1] neg_hi:[0,1]
	s_wait_dscnt 0x0
	v_dual_mul_f32 v8, v5, v3 :: v_dual_mul_f32 v10, v5, v0
	s_delay_alu instid0(VALU_DEP_1) | instskip(NEXT) | instid1(VALU_DEP_2)
	v_pk_fma_f32 v[8:9], v[4:5], v[22:23], v[8:9] op_sel_hi:[1,1,0] neg_lo:[0,0,1] neg_hi:[0,0,1]
	v_pk_fma_f32 v[4:5], v[4:5], v[22:23], v[10:11] op_sel:[1,0,0] op_sel_hi:[0,1,0]
	s_delay_alu instid0(VALU_DEP_1) | instskip(SKIP_1) | instid1(VALU_DEP_2)
	v_mov_b32_e32 v9, v5
	v_pk_mul_f32 v[4:5], v[6:7], v[2:3] op_sel:[0,1]
	v_pk_add_f32 v[114:115], v[114:115], v[8:9] neg_lo:[0,1] neg_hi:[0,1]
	s_delay_alu instid0(VALU_DEP_2) | instskip(SKIP_1) | instid1(VALU_DEP_1)
	v_pk_fma_f32 v[8:9], v[6:7], v[0:1], v[4:5] op_sel:[0,0,1] op_sel_hi:[1,1,0] neg_lo:[0,0,1] neg_hi:[0,0,1]
	v_pk_fma_f32 v[4:5], v[6:7], v[0:1], v[4:5] op_sel:[0,0,1] op_sel_hi:[1,0,0]
	v_mov_b32_e32 v9, v5
	ds_load_2addr_b64 v[4:7], v202 offset0:26 offset1:27
	v_pk_add_f32 v[110:111], v[110:111], v[8:9] neg_lo:[0,1] neg_hi:[0,1]
	s_wait_dscnt 0x0
	v_pk_mul_f32 v[8:9], v[4:5], v[2:3] op_sel:[0,1]
	s_delay_alu instid0(VALU_DEP_1) | instskip(SKIP_1) | instid1(VALU_DEP_1)
	v_pk_fma_f32 v[10:11], v[4:5], v[0:1], v[8:9] op_sel:[0,0,1] op_sel_hi:[1,1,0] neg_lo:[0,0,1] neg_hi:[0,0,1]
	v_pk_fma_f32 v[4:5], v[4:5], v[0:1], v[8:9] op_sel:[0,0,1] op_sel_hi:[1,0,0]
	v_mov_b32_e32 v11, v5
	v_pk_mul_f32 v[4:5], v[6:7], v[2:3] op_sel:[0,1]
	s_delay_alu instid0(VALU_DEP_2) | instskip(NEXT) | instid1(VALU_DEP_2)
	v_pk_add_f32 v[112:113], v[112:113], v[10:11] neg_lo:[0,1] neg_hi:[0,1]
	v_pk_fma_f32 v[8:9], v[6:7], v[0:1], v[4:5] op_sel:[0,0,1] op_sel_hi:[1,1,0] neg_lo:[0,0,1] neg_hi:[0,0,1]
	v_pk_fma_f32 v[4:5], v[6:7], v[0:1], v[4:5] op_sel:[0,0,1] op_sel_hi:[1,0,0]
	s_delay_alu instid0(VALU_DEP_1) | instskip(SKIP_4) | instid1(VALU_DEP_1)
	v_mov_b32_e32 v9, v5
	ds_load_2addr_b64 v[4:7], v202 offset0:28 offset1:29
	v_pk_add_f32 v[108:109], v[108:109], v[8:9] neg_lo:[0,1] neg_hi:[0,1]
	s_wait_dscnt 0x0
	v_pk_mul_f32 v[8:9], v[4:5], v[2:3] op_sel:[0,1]
	v_pk_fma_f32 v[10:11], v[4:5], v[0:1], v[8:9] op_sel:[0,0,1] op_sel_hi:[1,1,0] neg_lo:[0,0,1] neg_hi:[0,0,1]
	v_pk_fma_f32 v[4:5], v[4:5], v[0:1], v[8:9] op_sel:[0,0,1] op_sel_hi:[1,0,0]
	v_dual_mul_f32 v8, v7, v3 :: v_dual_mov_b32 v4, v7
	s_delay_alu instid0(VALU_DEP_2) | instskip(NEXT) | instid1(VALU_DEP_2)
	v_dual_mov_b32 v11, v5 :: v_dual_mov_b32 v5, v6
	v_pk_fma_f32 v[8:9], v[6:7], v[22:23], v[8:9] op_sel_hi:[1,1,0] neg_lo:[0,0,1] neg_hi:[0,0,1]
	v_mul_f32_e32 v6, v7, v0
	s_delay_alu instid0(VALU_DEP_3) | instskip(NEXT) | instid1(VALU_DEP_2)
	v_pk_add_f32 v[130:131], v[130:131], v[10:11] neg_lo:[0,1] neg_hi:[0,1]
	v_pk_fma_f32 v[4:5], v[4:5], v[22:23], v[6:7] op_sel_hi:[1,1,0]
	s_delay_alu instid0(VALU_DEP_1) | instskip(SKIP_4) | instid1(VALU_DEP_1)
	v_mov_b32_e32 v9, v5
	ds_load_2addr_b64 v[4:7], v202 offset0:30 offset1:31
	v_pk_add_f32 v[126:127], v[126:127], v[8:9] neg_lo:[0,1] neg_hi:[0,1]
	s_wait_dscnt 0x0
	v_pk_mul_f32 v[8:9], v[4:5], v[2:3] op_sel:[0,1]
	v_pk_fma_f32 v[10:11], v[4:5], v[0:1], v[8:9] op_sel:[0,0,1] op_sel_hi:[1,1,0] neg_lo:[0,0,1] neg_hi:[0,0,1]
	v_pk_fma_f32 v[4:5], v[4:5], v[0:1], v[8:9] op_sel:[0,0,1] op_sel_hi:[1,0,0]
	s_delay_alu instid0(VALU_DEP_1) | instskip(SKIP_1) | instid1(VALU_DEP_1)
	v_mov_b32_e32 v11, v5
	v_pk_mul_f32 v[4:5], v[6:7], v[2:3] op_sel:[0,1]
	v_pk_fma_f32 v[8:9], v[6:7], v[0:1], v[4:5] op_sel:[0,0,1] op_sel_hi:[1,1,0] neg_lo:[0,0,1] neg_hi:[0,0,1]
	v_pk_fma_f32 v[4:5], v[6:7], v[0:1], v[4:5] op_sel:[0,0,1] op_sel_hi:[1,0,0]
	s_delay_alu instid0(VALU_DEP_1)
	v_mov_b32_e32 v9, v5
	ds_load_2addr_b64 v[4:7], v202 offset0:32 offset1:33
	v_pk_add_f32 v[128:129], v[128:129], v[10:11] neg_lo:[0,1] neg_hi:[0,1]
	v_pk_add_f32 v[124:125], v[124:125], v[8:9] neg_lo:[0,1] neg_hi:[0,1]
	s_wait_dscnt 0x0
	v_pk_mul_f32 v[8:9], v[4:5], v[2:3] op_sel:[0,1]
	s_delay_alu instid0(VALU_DEP_1) | instskip(SKIP_1) | instid1(VALU_DEP_1)
	v_pk_fma_f32 v[10:11], v[4:5], v[0:1], v[8:9] op_sel:[0,0,1] op_sel_hi:[1,1,0] neg_lo:[0,0,1] neg_hi:[0,0,1]
	v_pk_fma_f32 v[4:5], v[4:5], v[0:1], v[8:9] op_sel:[0,0,1] op_sel_hi:[1,0,0]
	v_mov_b32_e32 v11, v5
	v_pk_mul_f32 v[4:5], v[6:7], v[2:3] op_sel:[0,1]
	s_delay_alu instid0(VALU_DEP_1) | instskip(SKIP_1) | instid1(VALU_DEP_1)
	v_pk_fma_f32 v[8:9], v[6:7], v[0:1], v[4:5] op_sel:[0,0,1] op_sel_hi:[1,1,0] neg_lo:[0,0,1] neg_hi:[0,0,1]
	v_pk_fma_f32 v[4:5], v[6:7], v[0:1], v[4:5] op_sel:[0,0,1] op_sel_hi:[1,0,0]
	v_mov_b32_e32 v9, v5
	ds_load_2addr_b64 v[4:7], v202 offset0:34 offset1:35
	v_pk_add_f32 v[146:147], v[146:147], v[10:11] neg_lo:[0,1] neg_hi:[0,1]
	v_pk_add_f32 v[142:143], v[142:143], v[8:9] neg_lo:[0,1] neg_hi:[0,1]
	s_wait_dscnt 0x0
	v_dual_mul_f32 v8, v5, v3 :: v_dual_mul_f32 v10, v5, v0
	s_delay_alu instid0(VALU_DEP_1) | instskip(NEXT) | instid1(VALU_DEP_2)
	v_pk_fma_f32 v[8:9], v[4:5], v[22:23], v[8:9] op_sel_hi:[1,1,0] neg_lo:[0,0,1] neg_hi:[0,0,1]
	v_pk_fma_f32 v[4:5], v[4:5], v[22:23], v[10:11] op_sel:[1,0,0] op_sel_hi:[0,1,0]
	s_delay_alu instid0(VALU_DEP_1) | instskip(SKIP_1) | instid1(VALU_DEP_2)
	v_mov_b32_e32 v9, v5
	v_pk_mul_f32 v[4:5], v[6:7], v[2:3] op_sel:[0,1]
	v_pk_add_f32 v[144:145], v[144:145], v[8:9] neg_lo:[0,1] neg_hi:[0,1]
	s_delay_alu instid0(VALU_DEP_2) | instskip(SKIP_1) | instid1(VALU_DEP_1)
	v_pk_fma_f32 v[8:9], v[6:7], v[0:1], v[4:5] op_sel:[0,0,1] op_sel_hi:[1,1,0] neg_lo:[0,0,1] neg_hi:[0,0,1]
	v_pk_fma_f32 v[4:5], v[6:7], v[0:1], v[4:5] op_sel:[0,0,1] op_sel_hi:[1,0,0]
	v_mov_b32_e32 v9, v5
	ds_load_2addr_b64 v[4:7], v202 offset0:36 offset1:37
	v_pk_add_f32 v[140:141], v[140:141], v[8:9] neg_lo:[0,1] neg_hi:[0,1]
	s_wait_dscnt 0x0
	v_pk_mul_f32 v[8:9], v[4:5], v[2:3] op_sel:[0,1]
	s_delay_alu instid0(VALU_DEP_1) | instskip(SKIP_1) | instid1(VALU_DEP_1)
	v_pk_fma_f32 v[10:11], v[4:5], v[0:1], v[8:9] op_sel:[0,0,1] op_sel_hi:[1,1,0] neg_lo:[0,0,1] neg_hi:[0,0,1]
	v_pk_fma_f32 v[4:5], v[4:5], v[0:1], v[8:9] op_sel:[0,0,1] op_sel_hi:[1,0,0]
	v_mov_b32_e32 v11, v5
	v_pk_mul_f32 v[4:5], v[6:7], v[2:3] op_sel:[0,1]
	s_delay_alu instid0(VALU_DEP_2) | instskip(NEXT) | instid1(VALU_DEP_2)
	v_pk_add_f32 v[162:163], v[162:163], v[10:11] neg_lo:[0,1] neg_hi:[0,1]
	v_pk_fma_f32 v[8:9], v[6:7], v[0:1], v[4:5] op_sel:[0,0,1] op_sel_hi:[1,1,0] neg_lo:[0,0,1] neg_hi:[0,0,1]
	v_pk_fma_f32 v[4:5], v[6:7], v[0:1], v[4:5] op_sel:[0,0,1] op_sel_hi:[1,0,0]
	s_delay_alu instid0(VALU_DEP_1) | instskip(SKIP_4) | instid1(VALU_DEP_1)
	v_mov_b32_e32 v9, v5
	ds_load_2addr_b64 v[4:7], v202 offset0:38 offset1:39
	v_pk_add_f32 v[158:159], v[158:159], v[8:9] neg_lo:[0,1] neg_hi:[0,1]
	s_wait_dscnt 0x0
	v_pk_mul_f32 v[8:9], v[4:5], v[2:3] op_sel:[0,1]
	v_pk_fma_f32 v[10:11], v[4:5], v[0:1], v[8:9] op_sel:[0,0,1] op_sel_hi:[1,1,0] neg_lo:[0,0,1] neg_hi:[0,0,1]
	v_pk_fma_f32 v[4:5], v[4:5], v[0:1], v[8:9] op_sel:[0,0,1] op_sel_hi:[1,0,0]
	v_dual_mul_f32 v8, v7, v3 :: v_dual_mov_b32 v4, v7
	s_delay_alu instid0(VALU_DEP_2) | instskip(NEXT) | instid1(VALU_DEP_2)
	v_dual_mov_b32 v11, v5 :: v_dual_mov_b32 v5, v6
	v_pk_fma_f32 v[8:9], v[6:7], v[22:23], v[8:9] op_sel_hi:[1,1,0] neg_lo:[0,0,1] neg_hi:[0,0,1]
	v_mul_f32_e32 v6, v7, v0
	s_delay_alu instid0(VALU_DEP_3) | instskip(NEXT) | instid1(VALU_DEP_2)
	v_pk_add_f32 v[160:161], v[160:161], v[10:11] neg_lo:[0,1] neg_hi:[0,1]
	v_pk_fma_f32 v[4:5], v[4:5], v[22:23], v[6:7] op_sel_hi:[1,1,0]
	s_delay_alu instid0(VALU_DEP_1) | instskip(SKIP_4) | instid1(VALU_DEP_1)
	v_mov_b32_e32 v9, v5
	ds_load_2addr_b64 v[4:7], v202 offset0:40 offset1:41
	v_pk_add_f32 v[156:157], v[156:157], v[8:9] neg_lo:[0,1] neg_hi:[0,1]
	s_wait_dscnt 0x0
	v_pk_mul_f32 v[8:9], v[4:5], v[2:3] op_sel:[0,1]
	v_pk_fma_f32 v[10:11], v[4:5], v[0:1], v[8:9] op_sel:[0,0,1] op_sel_hi:[1,1,0] neg_lo:[0,0,1] neg_hi:[0,0,1]
	v_pk_fma_f32 v[4:5], v[4:5], v[0:1], v[8:9] op_sel:[0,0,1] op_sel_hi:[1,0,0]
	s_delay_alu instid0(VALU_DEP_1) | instskip(SKIP_1) | instid1(VALU_DEP_1)
	v_mov_b32_e32 v11, v5
	v_pk_mul_f32 v[4:5], v[6:7], v[2:3] op_sel:[0,1]
	v_pk_fma_f32 v[8:9], v[6:7], v[0:1], v[4:5] op_sel:[0,0,1] op_sel_hi:[1,1,0] neg_lo:[0,0,1] neg_hi:[0,0,1]
	v_pk_fma_f32 v[4:5], v[6:7], v[0:1], v[4:5] op_sel:[0,0,1] op_sel_hi:[1,0,0]
	s_delay_alu instid0(VALU_DEP_1)
	v_mov_b32_e32 v9, v5
	ds_load_2addr_b64 v[4:7], v202 offset0:42 offset1:43
	v_pk_add_f32 v[178:179], v[178:179], v[10:11] neg_lo:[0,1] neg_hi:[0,1]
	v_pk_add_f32 v[174:175], v[174:175], v[8:9] neg_lo:[0,1] neg_hi:[0,1]
	s_wait_dscnt 0x0
	v_pk_mul_f32 v[8:9], v[4:5], v[2:3] op_sel:[0,1]
	s_delay_alu instid0(VALU_DEP_1) | instskip(SKIP_1) | instid1(VALU_DEP_1)
	v_pk_fma_f32 v[10:11], v[4:5], v[0:1], v[8:9] op_sel:[0,0,1] op_sel_hi:[1,1,0] neg_lo:[0,0,1] neg_hi:[0,0,1]
	v_pk_fma_f32 v[4:5], v[4:5], v[0:1], v[8:9] op_sel:[0,0,1] op_sel_hi:[1,0,0]
	v_mov_b32_e32 v11, v5
	v_pk_mul_f32 v[4:5], v[6:7], v[2:3] op_sel:[0,1]
	s_delay_alu instid0(VALU_DEP_1) | instskip(SKIP_1) | instid1(VALU_DEP_1)
	v_pk_fma_f32 v[8:9], v[6:7], v[0:1], v[4:5] op_sel:[0,0,1] op_sel_hi:[1,1,0] neg_lo:[0,0,1] neg_hi:[0,0,1]
	v_pk_fma_f32 v[4:5], v[6:7], v[0:1], v[4:5] op_sel:[0,0,1] op_sel_hi:[1,0,0]
	v_mov_b32_e32 v9, v5
	ds_load_2addr_b64 v[4:7], v202 offset0:44 offset1:45
	v_pk_add_f32 v[176:177], v[176:177], v[10:11] neg_lo:[0,1] neg_hi:[0,1]
	v_pk_add_f32 v[172:173], v[172:173], v[8:9] neg_lo:[0,1] neg_hi:[0,1]
	s_wait_dscnt 0x0
	v_dual_mul_f32 v8, v5, v3 :: v_dual_mul_f32 v10, v5, v0
	s_delay_alu instid0(VALU_DEP_1) | instskip(NEXT) | instid1(VALU_DEP_2)
	v_pk_fma_f32 v[8:9], v[4:5], v[22:23], v[8:9] op_sel_hi:[1,1,0] neg_lo:[0,0,1] neg_hi:[0,0,1]
	v_pk_fma_f32 v[4:5], v[4:5], v[22:23], v[10:11] op_sel:[1,0,0] op_sel_hi:[0,1,0]
	s_delay_alu instid0(VALU_DEP_1) | instskip(SKIP_1) | instid1(VALU_DEP_2)
	v_mov_b32_e32 v9, v5
	v_pk_mul_f32 v[4:5], v[6:7], v[2:3] op_sel:[0,1]
	v_pk_add_f32 v[194:195], v[194:195], v[8:9] neg_lo:[0,1] neg_hi:[0,1]
	s_delay_alu instid0(VALU_DEP_2) | instskip(SKIP_1) | instid1(VALU_DEP_1)
	v_pk_fma_f32 v[8:9], v[6:7], v[0:1], v[4:5] op_sel:[0,0,1] op_sel_hi:[1,1,0] neg_lo:[0,0,1] neg_hi:[0,0,1]
	v_pk_fma_f32 v[4:5], v[6:7], v[0:1], v[4:5] op_sel:[0,0,1] op_sel_hi:[1,0,0]
	v_mov_b32_e32 v9, v5
	ds_load_2addr_b64 v[4:7], v202 offset0:46 offset1:47
	v_pk_add_f32 v[190:191], v[190:191], v[8:9] neg_lo:[0,1] neg_hi:[0,1]
	s_wait_dscnt 0x0
	v_pk_mul_f32 v[8:9], v[4:5], v[2:3] op_sel:[0,1]
	s_delay_alu instid0(VALU_DEP_1) | instskip(SKIP_1) | instid1(VALU_DEP_1)
	v_pk_fma_f32 v[10:11], v[4:5], v[0:1], v[8:9] op_sel:[0,0,1] op_sel_hi:[1,1,0] neg_lo:[0,0,1] neg_hi:[0,0,1]
	v_pk_fma_f32 v[4:5], v[4:5], v[0:1], v[8:9] op_sel:[0,0,1] op_sel_hi:[1,0,0]
	v_mov_b32_e32 v11, v5
	v_pk_mul_f32 v[4:5], v[6:7], v[2:3] op_sel:[0,1]
	s_delay_alu instid0(VALU_DEP_2) | instskip(NEXT) | instid1(VALU_DEP_2)
	v_pk_add_f32 v[192:193], v[192:193], v[10:11] neg_lo:[0,1] neg_hi:[0,1]
	v_pk_fma_f32 v[8:9], v[6:7], v[0:1], v[4:5] op_sel:[0,0,1] op_sel_hi:[1,1,0] neg_lo:[0,0,1] neg_hi:[0,0,1]
	v_pk_fma_f32 v[4:5], v[6:7], v[0:1], v[4:5] op_sel:[0,0,1] op_sel_hi:[1,0,0]
	s_delay_alu instid0(VALU_DEP_1) | instskip(SKIP_4) | instid1(VALU_DEP_1)
	v_mov_b32_e32 v9, v5
	ds_load_2addr_b64 v[4:7], v202 offset0:48 offset1:49
	v_pk_add_f32 v[188:189], v[188:189], v[8:9] neg_lo:[0,1] neg_hi:[0,1]
	s_wait_dscnt 0x0
	v_pk_mul_f32 v[8:9], v[4:5], v[2:3] op_sel:[0,1]
	v_pk_fma_f32 v[10:11], v[4:5], v[0:1], v[8:9] op_sel:[0,0,1] op_sel_hi:[1,1,0] neg_lo:[0,0,1] neg_hi:[0,0,1]
	v_pk_fma_f32 v[4:5], v[4:5], v[0:1], v[8:9] op_sel:[0,0,1] op_sel_hi:[1,0,0]
	v_dual_mul_f32 v8, v7, v3 :: v_dual_mov_b32 v4, v7
	s_delay_alu instid0(VALU_DEP_2) | instskip(NEXT) | instid1(VALU_DEP_2)
	v_dual_mov_b32 v11, v5 :: v_dual_mov_b32 v5, v6
	v_pk_fma_f32 v[8:9], v[6:7], v[22:23], v[8:9] op_sel_hi:[1,1,0] neg_lo:[0,0,1] neg_hi:[0,0,1]
	v_mul_f32_e32 v6, v7, v0
	s_delay_alu instid0(VALU_DEP_3) | instskip(NEXT) | instid1(VALU_DEP_2)
	v_pk_add_f32 v[212:213], v[212:213], v[10:11] neg_lo:[0,1] neg_hi:[0,1]
	v_pk_fma_f32 v[4:5], v[4:5], v[22:23], v[6:7] op_sel_hi:[1,1,0]
	s_delay_alu instid0(VALU_DEP_1) | instskip(SKIP_4) | instid1(VALU_DEP_1)
	v_mov_b32_e32 v9, v5
	ds_load_2addr_b64 v[4:7], v202 offset0:50 offset1:51
	v_pk_add_f32 v[208:209], v[208:209], v[8:9] neg_lo:[0,1] neg_hi:[0,1]
	s_wait_dscnt 0x0
	v_pk_mul_f32 v[8:9], v[4:5], v[2:3] op_sel:[0,1]
	v_pk_fma_f32 v[10:11], v[4:5], v[0:1], v[8:9] op_sel:[0,0,1] op_sel_hi:[1,1,0] neg_lo:[0,0,1] neg_hi:[0,0,1]
	v_pk_fma_f32 v[4:5], v[4:5], v[0:1], v[8:9] op_sel:[0,0,1] op_sel_hi:[1,0,0]
	s_delay_alu instid0(VALU_DEP_1) | instskip(SKIP_1) | instid1(VALU_DEP_1)
	v_mov_b32_e32 v11, v5
	v_pk_mul_f32 v[4:5], v[6:7], v[2:3] op_sel:[0,1]
	v_pk_fma_f32 v[8:9], v[6:7], v[0:1], v[4:5] op_sel:[0,0,1] op_sel_hi:[1,1,0] neg_lo:[0,0,1] neg_hi:[0,0,1]
	v_pk_fma_f32 v[4:5], v[6:7], v[0:1], v[4:5] op_sel:[0,0,1] op_sel_hi:[1,0,0]
	s_delay_alu instid0(VALU_DEP_1)
	v_mov_b32_e32 v9, v5
	ds_load_2addr_b64 v[4:7], v202 offset0:52 offset1:53
	v_pk_add_f32 v[210:211], v[210:211], v[10:11] neg_lo:[0,1] neg_hi:[0,1]
	v_pk_add_f32 v[206:207], v[206:207], v[8:9] neg_lo:[0,1] neg_hi:[0,1]
	s_wait_dscnt 0x0
	v_pk_mul_f32 v[8:9], v[4:5], v[2:3] op_sel:[0,1]
	s_delay_alu instid0(VALU_DEP_1) | instskip(SKIP_1) | instid1(VALU_DEP_1)
	v_pk_fma_f32 v[10:11], v[4:5], v[0:1], v[8:9] op_sel:[0,0,1] op_sel_hi:[1,1,0] neg_lo:[0,0,1] neg_hi:[0,0,1]
	v_pk_fma_f32 v[4:5], v[4:5], v[0:1], v[8:9] op_sel:[0,0,1] op_sel_hi:[1,0,0]
	v_mov_b32_e32 v11, v5
	v_pk_mul_f32 v[4:5], v[6:7], v[2:3] op_sel:[0,1]
	s_delay_alu instid0(VALU_DEP_1) | instskip(SKIP_1) | instid1(VALU_DEP_1)
	v_pk_fma_f32 v[8:9], v[6:7], v[0:1], v[4:5] op_sel:[0,0,1] op_sel_hi:[1,1,0] neg_lo:[0,0,1] neg_hi:[0,0,1]
	v_pk_fma_f32 v[4:5], v[6:7], v[0:1], v[4:5] op_sel:[0,0,1] op_sel_hi:[1,0,0]
	v_mov_b32_e32 v9, v5
	ds_load_2addr_b64 v[4:7], v202 offset0:54 offset1:55
	v_pk_add_f32 v[232:233], v[232:233], v[10:11] neg_lo:[0,1] neg_hi:[0,1]
	v_pk_add_f32 v[226:227], v[226:227], v[8:9] neg_lo:[0,1] neg_hi:[0,1]
	s_wait_dscnt 0x0
	v_dual_mul_f32 v8, v5, v3 :: v_dual_mul_f32 v10, v5, v0
	s_delay_alu instid0(VALU_DEP_1) | instskip(NEXT) | instid1(VALU_DEP_2)
	v_pk_fma_f32 v[8:9], v[4:5], v[22:23], v[8:9] op_sel_hi:[1,1,0] neg_lo:[0,0,1] neg_hi:[0,0,1]
	v_pk_fma_f32 v[4:5], v[4:5], v[22:23], v[10:11] op_sel:[1,0,0] op_sel_hi:[0,1,0]
	s_delay_alu instid0(VALU_DEP_1) | instskip(SKIP_1) | instid1(VALU_DEP_2)
	v_mov_b32_e32 v9, v5
	v_pk_mul_f32 v[4:5], v[6:7], v[2:3] op_sel:[0,1]
	v_pk_add_f32 v[230:231], v[230:231], v[8:9] neg_lo:[0,1] neg_hi:[0,1]
	s_delay_alu instid0(VALU_DEP_2) | instskip(SKIP_1) | instid1(VALU_DEP_1)
	v_pk_fma_f32 v[8:9], v[6:7], v[0:1], v[4:5] op_sel:[0,0,1] op_sel_hi:[1,1,0] neg_lo:[0,0,1] neg_hi:[0,0,1]
	v_pk_fma_f32 v[4:5], v[6:7], v[0:1], v[4:5] op_sel:[0,0,1] op_sel_hi:[1,0,0]
	v_mov_b32_e32 v9, v5
	ds_load_2addr_b64 v[4:7], v202 offset0:56 offset1:57
	v_pk_add_f32 v[224:225], v[224:225], v[8:9] neg_lo:[0,1] neg_hi:[0,1]
	s_wait_dscnt 0x0
	v_pk_mul_f32 v[8:9], v[4:5], v[2:3] op_sel:[0,1]
	s_delay_alu instid0(VALU_DEP_1) | instskip(SKIP_1) | instid1(VALU_DEP_1)
	v_pk_fma_f32 v[10:11], v[4:5], v[0:1], v[8:9] op_sel:[0,0,1] op_sel_hi:[1,1,0] neg_lo:[0,0,1] neg_hi:[0,0,1]
	v_pk_fma_f32 v[4:5], v[4:5], v[0:1], v[8:9] op_sel:[0,0,1] op_sel_hi:[1,0,0]
	v_mov_b32_e32 v11, v5
	v_pk_mul_f32 v[4:5], v[6:7], v[2:3] op_sel:[0,1]
	s_delay_alu instid0(VALU_DEP_2) | instskip(NEXT) | instid1(VALU_DEP_2)
	v_pk_add_f32 v[228:229], v[228:229], v[10:11] neg_lo:[0,1] neg_hi:[0,1]
	v_pk_fma_f32 v[8:9], v[6:7], v[0:1], v[4:5] op_sel:[0,0,1] op_sel_hi:[1,1,0] neg_lo:[0,0,1] neg_hi:[0,0,1]
	v_pk_fma_f32 v[4:5], v[6:7], v[0:1], v[4:5] op_sel:[0,0,1] op_sel_hi:[1,0,0]
	s_delay_alu instid0(VALU_DEP_1) | instskip(SKIP_4) | instid1(VALU_DEP_1)
	v_mov_b32_e32 v9, v5
	ds_load_b64 v[4:5], v202 offset:464
	v_pk_add_f32 v[234:235], v[234:235], v[8:9] neg_lo:[0,1] neg_hi:[0,1]
	s_wait_dscnt 0x0
	v_pk_mul_f32 v[2:3], v[4:5], v[2:3] op_sel:[0,1]
	v_pk_fma_f32 v[6:7], v[4:5], v[0:1], v[2:3] op_sel:[0,0,1] op_sel_hi:[1,1,0] neg_lo:[0,0,1] neg_hi:[0,0,1]
	v_pk_fma_f32 v[0:1], v[4:5], v[0:1], v[2:3] op_sel:[0,0,1] op_sel_hi:[1,0,0]
	s_delay_alu instid0(VALU_DEP_1) | instskip(NEXT) | instid1(VALU_DEP_1)
	v_mov_b32_e32 v7, v1
	v_pk_add_f32 v[236:237], v[236:237], v[6:7] neg_lo:[0,1] neg_hi:[0,1]
.LBB117_55:
	s_wait_xcnt 0x0
	s_or_b32 exec_lo, exec_lo, s1
	s_delay_alu instid0(SALU_CYCLE_1)
	s_mov_b32 s2, exec_lo
	s_wait_storecnt 0x0
	s_barrier_signal -1
	s_barrier_wait -1
	v_cmpx_eq_u32_e32 6, v200
	s_cbranch_execz .LBB117_62
; %bb.56:
	ds_store_b64 v201, v[24:25]
	ds_store_2addr_b64 v202, v[20:21], v[40:41] offset0:7 offset1:8
	ds_store_2addr_b64 v202, v[36:37], v[38:39] offset0:9 offset1:10
	;; [unrolled: 1-line block ×26, first 2 shown]
	ds_load_b64 v[0:1], v201
	s_wait_dscnt 0x0
	v_cmp_neq_f32_e32 vcc_lo, 0, v0
	v_cmp_neq_f32_e64 s1, 0, v1
	s_or_b32 s1, vcc_lo, s1
	s_delay_alu instid0(SALU_CYCLE_1)
	s_and_b32 exec_lo, exec_lo, s1
	s_cbranch_execz .LBB117_62
; %bb.57:
	v_cmp_ngt_f32_e64 s1, |v0|, |v1|
                                        ; implicit-def: $vgpr2_vgpr3
	s_and_saveexec_b32 s4, s1
	s_delay_alu instid0(SALU_CYCLE_1)
	s_xor_b32 s1, exec_lo, s4
	s_cbranch_execz .LBB117_59
; %bb.58:
	v_div_scale_f32 v2, null, v1, v1, v0
	v_div_scale_f32 v5, vcc_lo, v0, v1, v0
	s_delay_alu instid0(VALU_DEP_2) | instskip(SKIP_1) | instid1(TRANS32_DEP_1)
	v_rcp_f32_e32 v3, v2
	v_nop
	v_fma_f32 v4, -v2, v3, 1.0
	s_delay_alu instid0(VALU_DEP_1) | instskip(NEXT) | instid1(VALU_DEP_1)
	v_fmac_f32_e32 v3, v4, v3
	v_mul_f32_e32 v4, v5, v3
	s_delay_alu instid0(VALU_DEP_1) | instskip(NEXT) | instid1(VALU_DEP_1)
	v_fma_f32 v6, -v2, v4, v5
	v_fmac_f32_e32 v4, v6, v3
	s_delay_alu instid0(VALU_DEP_1) | instskip(NEXT) | instid1(VALU_DEP_1)
	v_fma_f32 v2, -v2, v4, v5
	v_div_fmas_f32 v2, v2, v3, v4
	s_delay_alu instid0(VALU_DEP_1) | instskip(NEXT) | instid1(VALU_DEP_1)
	v_div_fixup_f32 v2, v2, v1, v0
	v_fmac_f32_e32 v1, v0, v2
	s_delay_alu instid0(VALU_DEP_1) | instskip(SKIP_1) | instid1(VALU_DEP_2)
	v_div_scale_f32 v0, null, v1, v1, 1.0
	v_div_scale_f32 v5, vcc_lo, 1.0, v1, 1.0
	v_rcp_f32_e32 v3, v0
	v_nop
	s_delay_alu instid0(TRANS32_DEP_1) | instskip(NEXT) | instid1(VALU_DEP_1)
	v_fma_f32 v4, -v0, v3, 1.0
	v_fmac_f32_e32 v3, v4, v3
	s_delay_alu instid0(VALU_DEP_1) | instskip(NEXT) | instid1(VALU_DEP_1)
	v_mul_f32_e32 v4, v5, v3
	v_fma_f32 v6, -v0, v4, v5
	s_delay_alu instid0(VALU_DEP_1) | instskip(NEXT) | instid1(VALU_DEP_1)
	v_fmac_f32_e32 v4, v6, v3
	v_fma_f32 v0, -v0, v4, v5
	s_delay_alu instid0(VALU_DEP_1) | instskip(NEXT) | instid1(VALU_DEP_1)
	v_div_fmas_f32 v0, v0, v3, v4
	v_div_fixup_f32 v0, v0, v1, 1.0
	s_delay_alu instid0(VALU_DEP_1)
	v_mul_f32_e32 v2, v2, v0
	v_xor_b32_e32 v3, 0x80000000, v0
                                        ; implicit-def: $vgpr0_vgpr1
.LBB117_59:
	s_and_not1_saveexec_b32 s1, s1
	s_cbranch_execz .LBB117_61
; %bb.60:
	v_div_scale_f32 v2, null, v0, v0, v1
	v_div_scale_f32 v5, vcc_lo, v1, v0, v1
	s_delay_alu instid0(VALU_DEP_2) | instskip(SKIP_1) | instid1(TRANS32_DEP_1)
	v_rcp_f32_e32 v3, v2
	v_nop
	v_fma_f32 v4, -v2, v3, 1.0
	s_delay_alu instid0(VALU_DEP_1) | instskip(NEXT) | instid1(VALU_DEP_1)
	v_fmac_f32_e32 v3, v4, v3
	v_mul_f32_e32 v4, v5, v3
	s_delay_alu instid0(VALU_DEP_1) | instskip(NEXT) | instid1(VALU_DEP_1)
	v_fma_f32 v6, -v2, v4, v5
	v_fmac_f32_e32 v4, v6, v3
	s_delay_alu instid0(VALU_DEP_1) | instskip(NEXT) | instid1(VALU_DEP_1)
	v_fma_f32 v2, -v2, v4, v5
	v_div_fmas_f32 v2, v2, v3, v4
	s_delay_alu instid0(VALU_DEP_1) | instskip(NEXT) | instid1(VALU_DEP_1)
	v_div_fixup_f32 v3, v2, v0, v1
	v_fmac_f32_e32 v0, v1, v3
	s_delay_alu instid0(VALU_DEP_1) | instskip(NEXT) | instid1(VALU_DEP_1)
	v_div_scale_f32 v1, null, v0, v0, 1.0
	v_rcp_f32_e32 v2, v1
	v_nop
	s_delay_alu instid0(TRANS32_DEP_1) | instskip(NEXT) | instid1(VALU_DEP_1)
	v_fma_f32 v4, -v1, v2, 1.0
	v_fmac_f32_e32 v2, v4, v2
	v_div_scale_f32 v4, vcc_lo, 1.0, v0, 1.0
	s_delay_alu instid0(VALU_DEP_1) | instskip(NEXT) | instid1(VALU_DEP_1)
	v_mul_f32_e32 v5, v4, v2
	v_fma_f32 v6, -v1, v5, v4
	s_delay_alu instid0(VALU_DEP_1) | instskip(NEXT) | instid1(VALU_DEP_1)
	v_fmac_f32_e32 v5, v6, v2
	v_fma_f32 v1, -v1, v5, v4
	s_delay_alu instid0(VALU_DEP_1) | instskip(NEXT) | instid1(VALU_DEP_1)
	v_div_fmas_f32 v1, v1, v2, v5
	v_div_fixup_f32 v2, v1, v0, 1.0
	s_delay_alu instid0(VALU_DEP_1)
	v_mul_f32_e64 v3, v3, -v2
.LBB117_61:
	s_or_b32 exec_lo, exec_lo, s1
	ds_store_b64 v201, v[2:3]
.LBB117_62:
	s_or_b32 exec_lo, exec_lo, s2
	s_wait_dscnt 0x0
	s_barrier_signal -1
	s_barrier_wait -1
	ds_load_b64 v[0:1], v201
	s_mov_b32 s1, exec_lo
	s_wait_dscnt 0x0
	scratch_store_b64 off, v[0:1], off offset:416 ; 8-byte Folded Spill
	s_wait_xcnt 0x0
	v_cmpx_lt_u32_e32 6, v200
	s_cbranch_execz .LBB117_64
; %bb.63:
	scratch_load_b64 v[4:5], off, off offset:416 ; 8-byte Folded Reload
	s_wait_loadcnt 0x0
	v_pk_mul_f32 v[2:3], v[4:5], v[24:25] op_sel:[1,1] op_sel_hi:[0,1]
	s_delay_alu instid0(VALU_DEP_1)
	v_pk_fma_f32 v[0:1], v[4:5], v[24:25], v[2:3] op_sel_hi:[1,0,1] neg_lo:[0,0,1] neg_hi:[0,0,1]
	v_pk_fma_f32 v[2:3], v[4:5], v[24:25], v[2:3] op_sel_hi:[1,0,1]
	ds_load_2addr_b64 v[4:7], v202 offset0:7 offset1:8
	v_dual_mov_b32 v24, v0 :: v_dual_mov_b32 v25, v3
	s_wait_dscnt 0x0
	v_pk_mul_f32 v[8:9], v[4:5], v[2:3] op_sel:[0,1]
	s_delay_alu instid0(VALU_DEP_1) | instskip(SKIP_1) | instid1(VALU_DEP_1)
	v_pk_fma_f32 v[10:11], v[4:5], v[0:1], v[8:9] op_sel:[0,0,1] op_sel_hi:[1,1,0] neg_lo:[0,0,1] neg_hi:[0,0,1]
	v_pk_fma_f32 v[4:5], v[4:5], v[0:1], v[8:9] op_sel:[0,0,1] op_sel_hi:[1,0,0]
	v_mov_b32_e32 v11, v5
	v_pk_mul_f32 v[4:5], v[6:7], v[2:3] op_sel:[0,1]
	s_delay_alu instid0(VALU_DEP_1) | instskip(SKIP_1) | instid1(VALU_DEP_1)
	v_pk_fma_f32 v[8:9], v[6:7], v[0:1], v[4:5] op_sel:[0,0,1] op_sel_hi:[1,1,0] neg_lo:[0,0,1] neg_hi:[0,0,1]
	v_pk_fma_f32 v[4:5], v[6:7], v[0:1], v[4:5] op_sel:[0,0,1] op_sel_hi:[1,0,0]
	v_mov_b32_e32 v9, v5
	ds_load_2addr_b64 v[4:7], v202 offset0:9 offset1:10
	v_pk_add_f32 v[20:21], v[20:21], v[10:11] neg_lo:[0,1] neg_hi:[0,1]
	v_pk_add_f32 v[40:41], v[40:41], v[8:9] neg_lo:[0,1] neg_hi:[0,1]
	s_wait_dscnt 0x0
	v_pk_mul_f32 v[8:9], v[4:5], v[2:3] op_sel:[0,1]
	s_delay_alu instid0(VALU_DEP_1) | instskip(SKIP_2) | instid1(VALU_DEP_2)
	v_pk_fma_f32 v[10:11], v[4:5], v[0:1], v[8:9] op_sel:[0,0,1] op_sel_hi:[1,1,0] neg_lo:[0,0,1] neg_hi:[0,0,1]
	v_pk_fma_f32 v[4:5], v[4:5], v[0:1], v[8:9] op_sel:[0,0,1] op_sel_hi:[1,0,0]
	v_dual_mul_f32 v8, v7, v3 :: v_dual_mov_b32 v4, v7
	v_dual_mov_b32 v11, v5 :: v_dual_mov_b32 v5, v6
	s_delay_alu instid0(VALU_DEP_2) | instskip(SKIP_1) | instid1(VALU_DEP_3)
	v_pk_fma_f32 v[8:9], v[6:7], v[24:25], v[8:9] op_sel_hi:[1,1,0] neg_lo:[0,0,1] neg_hi:[0,0,1]
	v_mul_f32_e32 v6, v7, v0
	v_pk_add_f32 v[36:37], v[36:37], v[10:11] neg_lo:[0,1] neg_hi:[0,1]
	s_delay_alu instid0(VALU_DEP_2) | instskip(NEXT) | instid1(VALU_DEP_1)
	v_pk_fma_f32 v[4:5], v[4:5], v[24:25], v[6:7] op_sel_hi:[1,1,0]
	v_mov_b32_e32 v9, v5
	ds_load_2addr_b64 v[4:7], v202 offset0:11 offset1:12
	v_pk_add_f32 v[38:39], v[38:39], v[8:9] neg_lo:[0,1] neg_hi:[0,1]
	s_wait_dscnt 0x0
	v_pk_mul_f32 v[8:9], v[4:5], v[2:3] op_sel:[0,1]
	s_delay_alu instid0(VALU_DEP_1) | instskip(SKIP_1) | instid1(VALU_DEP_1)
	v_pk_fma_f32 v[10:11], v[4:5], v[0:1], v[8:9] op_sel:[0,0,1] op_sel_hi:[1,1,0] neg_lo:[0,0,1] neg_hi:[0,0,1]
	v_pk_fma_f32 v[4:5], v[4:5], v[0:1], v[8:9] op_sel:[0,0,1] op_sel_hi:[1,0,0]
	v_mov_b32_e32 v11, v5
	v_pk_mul_f32 v[4:5], v[6:7], v[2:3] op_sel:[0,1]
	s_delay_alu instid0(VALU_DEP_1) | instskip(SKIP_1) | instid1(VALU_DEP_1)
	v_pk_fma_f32 v[8:9], v[6:7], v[0:1], v[4:5] op_sel:[0,0,1] op_sel_hi:[1,1,0] neg_lo:[0,0,1] neg_hi:[0,0,1]
	v_pk_fma_f32 v[4:5], v[6:7], v[0:1], v[4:5] op_sel:[0,0,1] op_sel_hi:[1,0,0]
	v_mov_b32_e32 v9, v5
	ds_load_2addr_b64 v[4:7], v202 offset0:13 offset1:14
	v_pk_add_f32 v[34:35], v[34:35], v[10:11] neg_lo:[0,1] neg_hi:[0,1]
	v_pk_add_f32 v[66:67], v[66:67], v[8:9] neg_lo:[0,1] neg_hi:[0,1]
	s_wait_dscnt 0x0
	v_pk_mul_f32 v[8:9], v[4:5], v[2:3] op_sel:[0,1]
	s_delay_alu instid0(VALU_DEP_1) | instskip(SKIP_1) | instid1(VALU_DEP_1)
	v_pk_fma_f32 v[10:11], v[4:5], v[0:1], v[8:9] op_sel:[0,0,1] op_sel_hi:[1,1,0] neg_lo:[0,0,1] neg_hi:[0,0,1]
	v_pk_fma_f32 v[4:5], v[4:5], v[0:1], v[8:9] op_sel:[0,0,1] op_sel_hi:[1,0,0]
	v_mov_b32_e32 v11, v5
	v_pk_mul_f32 v[4:5], v[6:7], v[2:3] op_sel:[0,1]
	s_delay_alu instid0(VALU_DEP_1) | instskip(SKIP_1) | instid1(VALU_DEP_1)
	v_pk_fma_f32 v[8:9], v[6:7], v[0:1], v[4:5] op_sel:[0,0,1] op_sel_hi:[1,1,0] neg_lo:[0,0,1] neg_hi:[0,0,1]
	v_pk_fma_f32 v[4:5], v[6:7], v[0:1], v[4:5] op_sel:[0,0,1] op_sel_hi:[1,0,0]
	v_mov_b32_e32 v9, v5
	ds_load_2addr_b64 v[4:7], v202 offset0:15 offset1:16
	v_pk_add_f32 v[62:63], v[62:63], v[10:11] neg_lo:[0,1] neg_hi:[0,1]
	v_pk_add_f32 v[64:65], v[64:65], v[8:9] neg_lo:[0,1] neg_hi:[0,1]
	s_wait_dscnt 0x0
	v_dual_mul_f32 v8, v5, v3 :: v_dual_mul_f32 v10, v5, v0
	s_delay_alu instid0(VALU_DEP_1) | instskip(NEXT) | instid1(VALU_DEP_2)
	v_pk_fma_f32 v[8:9], v[4:5], v[24:25], v[8:9] op_sel_hi:[1,1,0] neg_lo:[0,0,1] neg_hi:[0,0,1]
	v_pk_fma_f32 v[4:5], v[4:5], v[24:25], v[10:11] op_sel:[1,0,0] op_sel_hi:[0,1,0]
	s_delay_alu instid0(VALU_DEP_1) | instskip(SKIP_1) | instid1(VALU_DEP_2)
	v_mov_b32_e32 v9, v5
	v_pk_mul_f32 v[4:5], v[6:7], v[2:3] op_sel:[0,1]
	v_pk_add_f32 v[60:61], v[60:61], v[8:9] neg_lo:[0,1] neg_hi:[0,1]
	s_delay_alu instid0(VALU_DEP_2) | instskip(SKIP_1) | instid1(VALU_DEP_1)
	v_pk_fma_f32 v[8:9], v[6:7], v[0:1], v[4:5] op_sel:[0,0,1] op_sel_hi:[1,1,0] neg_lo:[0,0,1] neg_hi:[0,0,1]
	v_pk_fma_f32 v[4:5], v[6:7], v[0:1], v[4:5] op_sel:[0,0,1] op_sel_hi:[1,0,0]
	v_mov_b32_e32 v9, v5
	ds_load_2addr_b64 v[4:7], v202 offset0:17 offset1:18
	v_pk_add_f32 v[82:83], v[82:83], v[8:9] neg_lo:[0,1] neg_hi:[0,1]
	s_wait_dscnt 0x0
	v_pk_mul_f32 v[8:9], v[4:5], v[2:3] op_sel:[0,1]
	s_delay_alu instid0(VALU_DEP_1) | instskip(SKIP_1) | instid1(VALU_DEP_1)
	v_pk_fma_f32 v[10:11], v[4:5], v[0:1], v[8:9] op_sel:[0,0,1] op_sel_hi:[1,1,0] neg_lo:[0,0,1] neg_hi:[0,0,1]
	v_pk_fma_f32 v[4:5], v[4:5], v[0:1], v[8:9] op_sel:[0,0,1] op_sel_hi:[1,0,0]
	v_mov_b32_e32 v11, v5
	v_pk_mul_f32 v[4:5], v[6:7], v[2:3] op_sel:[0,1]
	s_delay_alu instid0(VALU_DEP_2) | instskip(NEXT) | instid1(VALU_DEP_2)
	v_pk_add_f32 v[78:79], v[78:79], v[10:11] neg_lo:[0,1] neg_hi:[0,1]
	v_pk_fma_f32 v[8:9], v[6:7], v[0:1], v[4:5] op_sel:[0,0,1] op_sel_hi:[1,1,0] neg_lo:[0,0,1] neg_hi:[0,0,1]
	v_pk_fma_f32 v[4:5], v[6:7], v[0:1], v[4:5] op_sel:[0,0,1] op_sel_hi:[1,0,0]
	s_delay_alu instid0(VALU_DEP_1) | instskip(SKIP_4) | instid1(VALU_DEP_1)
	v_mov_b32_e32 v9, v5
	ds_load_2addr_b64 v[4:7], v202 offset0:19 offset1:20
	v_pk_add_f32 v[80:81], v[80:81], v[8:9] neg_lo:[0,1] neg_hi:[0,1]
	s_wait_dscnt 0x0
	v_pk_mul_f32 v[8:9], v[4:5], v[2:3] op_sel:[0,1]
	v_pk_fma_f32 v[10:11], v[4:5], v[0:1], v[8:9] op_sel:[0,0,1] op_sel_hi:[1,1,0] neg_lo:[0,0,1] neg_hi:[0,0,1]
	v_pk_fma_f32 v[4:5], v[4:5], v[0:1], v[8:9] op_sel:[0,0,1] op_sel_hi:[1,0,0]
	v_dual_mul_f32 v8, v7, v3 :: v_dual_mov_b32 v4, v7
	s_delay_alu instid0(VALU_DEP_2) | instskip(NEXT) | instid1(VALU_DEP_2)
	v_dual_mov_b32 v11, v5 :: v_dual_mov_b32 v5, v6
	v_pk_fma_f32 v[8:9], v[6:7], v[24:25], v[8:9] op_sel_hi:[1,1,0] neg_lo:[0,0,1] neg_hi:[0,0,1]
	v_mul_f32_e32 v6, v7, v0
	s_delay_alu instid0(VALU_DEP_3) | instskip(NEXT) | instid1(VALU_DEP_2)
	v_pk_add_f32 v[76:77], v[76:77], v[10:11] neg_lo:[0,1] neg_hi:[0,1]
	v_pk_fma_f32 v[4:5], v[4:5], v[24:25], v[6:7] op_sel_hi:[1,1,0]
	s_delay_alu instid0(VALU_DEP_1) | instskip(SKIP_4) | instid1(VALU_DEP_1)
	v_mov_b32_e32 v9, v5
	ds_load_2addr_b64 v[4:7], v202 offset0:21 offset1:22
	v_pk_add_f32 v[98:99], v[98:99], v[8:9] neg_lo:[0,1] neg_hi:[0,1]
	s_wait_dscnt 0x0
	v_pk_mul_f32 v[8:9], v[4:5], v[2:3] op_sel:[0,1]
	v_pk_fma_f32 v[10:11], v[4:5], v[0:1], v[8:9] op_sel:[0,0,1] op_sel_hi:[1,1,0] neg_lo:[0,0,1] neg_hi:[0,0,1]
	v_pk_fma_f32 v[4:5], v[4:5], v[0:1], v[8:9] op_sel:[0,0,1] op_sel_hi:[1,0,0]
	s_delay_alu instid0(VALU_DEP_1) | instskip(SKIP_1) | instid1(VALU_DEP_1)
	v_mov_b32_e32 v11, v5
	v_pk_mul_f32 v[4:5], v[6:7], v[2:3] op_sel:[0,1]
	v_pk_fma_f32 v[8:9], v[6:7], v[0:1], v[4:5] op_sel:[0,0,1] op_sel_hi:[1,1,0] neg_lo:[0,0,1] neg_hi:[0,0,1]
	v_pk_fma_f32 v[4:5], v[6:7], v[0:1], v[4:5] op_sel:[0,0,1] op_sel_hi:[1,0,0]
	s_delay_alu instid0(VALU_DEP_1)
	v_mov_b32_e32 v9, v5
	ds_load_2addr_b64 v[4:7], v202 offset0:23 offset1:24
	v_pk_add_f32 v[94:95], v[94:95], v[10:11] neg_lo:[0,1] neg_hi:[0,1]
	v_pk_add_f32 v[96:97], v[96:97], v[8:9] neg_lo:[0,1] neg_hi:[0,1]
	s_wait_dscnt 0x0
	v_pk_mul_f32 v[8:9], v[4:5], v[2:3] op_sel:[0,1]
	s_delay_alu instid0(VALU_DEP_1) | instskip(SKIP_1) | instid1(VALU_DEP_1)
	v_pk_fma_f32 v[10:11], v[4:5], v[0:1], v[8:9] op_sel:[0,0,1] op_sel_hi:[1,1,0] neg_lo:[0,0,1] neg_hi:[0,0,1]
	v_pk_fma_f32 v[4:5], v[4:5], v[0:1], v[8:9] op_sel:[0,0,1] op_sel_hi:[1,0,0]
	v_mov_b32_e32 v11, v5
	v_pk_mul_f32 v[4:5], v[6:7], v[2:3] op_sel:[0,1]
	s_delay_alu instid0(VALU_DEP_1) | instskip(SKIP_1) | instid1(VALU_DEP_1)
	v_pk_fma_f32 v[8:9], v[6:7], v[0:1], v[4:5] op_sel:[0,0,1] op_sel_hi:[1,1,0] neg_lo:[0,0,1] neg_hi:[0,0,1]
	v_pk_fma_f32 v[4:5], v[6:7], v[0:1], v[4:5] op_sel:[0,0,1] op_sel_hi:[1,0,0]
	v_mov_b32_e32 v9, v5
	ds_load_2addr_b64 v[4:7], v202 offset0:25 offset1:26
	v_pk_add_f32 v[92:93], v[92:93], v[10:11] neg_lo:[0,1] neg_hi:[0,1]
	v_pk_add_f32 v[114:115], v[114:115], v[8:9] neg_lo:[0,1] neg_hi:[0,1]
	s_wait_dscnt 0x0
	v_dual_mul_f32 v8, v5, v3 :: v_dual_mul_f32 v10, v5, v0
	s_delay_alu instid0(VALU_DEP_1) | instskip(NEXT) | instid1(VALU_DEP_2)
	v_pk_fma_f32 v[8:9], v[4:5], v[24:25], v[8:9] op_sel_hi:[1,1,0] neg_lo:[0,0,1] neg_hi:[0,0,1]
	v_pk_fma_f32 v[4:5], v[4:5], v[24:25], v[10:11] op_sel:[1,0,0] op_sel_hi:[0,1,0]
	s_delay_alu instid0(VALU_DEP_1) | instskip(SKIP_1) | instid1(VALU_DEP_2)
	v_mov_b32_e32 v9, v5
	v_pk_mul_f32 v[4:5], v[6:7], v[2:3] op_sel:[0,1]
	v_pk_add_f32 v[110:111], v[110:111], v[8:9] neg_lo:[0,1] neg_hi:[0,1]
	s_delay_alu instid0(VALU_DEP_2) | instskip(SKIP_1) | instid1(VALU_DEP_1)
	v_pk_fma_f32 v[8:9], v[6:7], v[0:1], v[4:5] op_sel:[0,0,1] op_sel_hi:[1,1,0] neg_lo:[0,0,1] neg_hi:[0,0,1]
	v_pk_fma_f32 v[4:5], v[6:7], v[0:1], v[4:5] op_sel:[0,0,1] op_sel_hi:[1,0,0]
	v_mov_b32_e32 v9, v5
	ds_load_2addr_b64 v[4:7], v202 offset0:27 offset1:28
	v_pk_add_f32 v[112:113], v[112:113], v[8:9] neg_lo:[0,1] neg_hi:[0,1]
	s_wait_dscnt 0x0
	v_pk_mul_f32 v[8:9], v[4:5], v[2:3] op_sel:[0,1]
	s_delay_alu instid0(VALU_DEP_1) | instskip(SKIP_1) | instid1(VALU_DEP_1)
	v_pk_fma_f32 v[10:11], v[4:5], v[0:1], v[8:9] op_sel:[0,0,1] op_sel_hi:[1,1,0] neg_lo:[0,0,1] neg_hi:[0,0,1]
	v_pk_fma_f32 v[4:5], v[4:5], v[0:1], v[8:9] op_sel:[0,0,1] op_sel_hi:[1,0,0]
	v_mov_b32_e32 v11, v5
	v_pk_mul_f32 v[4:5], v[6:7], v[2:3] op_sel:[0,1]
	s_delay_alu instid0(VALU_DEP_2) | instskip(NEXT) | instid1(VALU_DEP_2)
	v_pk_add_f32 v[108:109], v[108:109], v[10:11] neg_lo:[0,1] neg_hi:[0,1]
	v_pk_fma_f32 v[8:9], v[6:7], v[0:1], v[4:5] op_sel:[0,0,1] op_sel_hi:[1,1,0] neg_lo:[0,0,1] neg_hi:[0,0,1]
	v_pk_fma_f32 v[4:5], v[6:7], v[0:1], v[4:5] op_sel:[0,0,1] op_sel_hi:[1,0,0]
	s_delay_alu instid0(VALU_DEP_1) | instskip(SKIP_4) | instid1(VALU_DEP_1)
	v_mov_b32_e32 v9, v5
	ds_load_2addr_b64 v[4:7], v202 offset0:29 offset1:30
	v_pk_add_f32 v[130:131], v[130:131], v[8:9] neg_lo:[0,1] neg_hi:[0,1]
	s_wait_dscnt 0x0
	v_pk_mul_f32 v[8:9], v[4:5], v[2:3] op_sel:[0,1]
	v_pk_fma_f32 v[10:11], v[4:5], v[0:1], v[8:9] op_sel:[0,0,1] op_sel_hi:[1,1,0] neg_lo:[0,0,1] neg_hi:[0,0,1]
	v_pk_fma_f32 v[4:5], v[4:5], v[0:1], v[8:9] op_sel:[0,0,1] op_sel_hi:[1,0,0]
	v_dual_mul_f32 v8, v7, v3 :: v_dual_mov_b32 v4, v7
	s_delay_alu instid0(VALU_DEP_2) | instskip(NEXT) | instid1(VALU_DEP_2)
	v_dual_mov_b32 v11, v5 :: v_dual_mov_b32 v5, v6
	v_pk_fma_f32 v[8:9], v[6:7], v[24:25], v[8:9] op_sel_hi:[1,1,0] neg_lo:[0,0,1] neg_hi:[0,0,1]
	v_mul_f32_e32 v6, v7, v0
	s_delay_alu instid0(VALU_DEP_3) | instskip(NEXT) | instid1(VALU_DEP_2)
	v_pk_add_f32 v[126:127], v[126:127], v[10:11] neg_lo:[0,1] neg_hi:[0,1]
	v_pk_fma_f32 v[4:5], v[4:5], v[24:25], v[6:7] op_sel_hi:[1,1,0]
	s_delay_alu instid0(VALU_DEP_1) | instskip(SKIP_4) | instid1(VALU_DEP_1)
	v_mov_b32_e32 v9, v5
	ds_load_2addr_b64 v[4:7], v202 offset0:31 offset1:32
	v_pk_add_f32 v[128:129], v[128:129], v[8:9] neg_lo:[0,1] neg_hi:[0,1]
	s_wait_dscnt 0x0
	v_pk_mul_f32 v[8:9], v[4:5], v[2:3] op_sel:[0,1]
	v_pk_fma_f32 v[10:11], v[4:5], v[0:1], v[8:9] op_sel:[0,0,1] op_sel_hi:[1,1,0] neg_lo:[0,0,1] neg_hi:[0,0,1]
	v_pk_fma_f32 v[4:5], v[4:5], v[0:1], v[8:9] op_sel:[0,0,1] op_sel_hi:[1,0,0]
	s_delay_alu instid0(VALU_DEP_1) | instskip(SKIP_1) | instid1(VALU_DEP_1)
	v_mov_b32_e32 v11, v5
	v_pk_mul_f32 v[4:5], v[6:7], v[2:3] op_sel:[0,1]
	v_pk_fma_f32 v[8:9], v[6:7], v[0:1], v[4:5] op_sel:[0,0,1] op_sel_hi:[1,1,0] neg_lo:[0,0,1] neg_hi:[0,0,1]
	v_pk_fma_f32 v[4:5], v[6:7], v[0:1], v[4:5] op_sel:[0,0,1] op_sel_hi:[1,0,0]
	s_delay_alu instid0(VALU_DEP_1)
	v_mov_b32_e32 v9, v5
	ds_load_2addr_b64 v[4:7], v202 offset0:33 offset1:34
	v_pk_add_f32 v[124:125], v[124:125], v[10:11] neg_lo:[0,1] neg_hi:[0,1]
	v_pk_add_f32 v[146:147], v[146:147], v[8:9] neg_lo:[0,1] neg_hi:[0,1]
	s_wait_dscnt 0x0
	v_pk_mul_f32 v[8:9], v[4:5], v[2:3] op_sel:[0,1]
	s_delay_alu instid0(VALU_DEP_1) | instskip(SKIP_1) | instid1(VALU_DEP_1)
	v_pk_fma_f32 v[10:11], v[4:5], v[0:1], v[8:9] op_sel:[0,0,1] op_sel_hi:[1,1,0] neg_lo:[0,0,1] neg_hi:[0,0,1]
	v_pk_fma_f32 v[4:5], v[4:5], v[0:1], v[8:9] op_sel:[0,0,1] op_sel_hi:[1,0,0]
	v_mov_b32_e32 v11, v5
	v_pk_mul_f32 v[4:5], v[6:7], v[2:3] op_sel:[0,1]
	s_delay_alu instid0(VALU_DEP_1) | instskip(SKIP_1) | instid1(VALU_DEP_1)
	v_pk_fma_f32 v[8:9], v[6:7], v[0:1], v[4:5] op_sel:[0,0,1] op_sel_hi:[1,1,0] neg_lo:[0,0,1] neg_hi:[0,0,1]
	v_pk_fma_f32 v[4:5], v[6:7], v[0:1], v[4:5] op_sel:[0,0,1] op_sel_hi:[1,0,0]
	v_mov_b32_e32 v9, v5
	ds_load_2addr_b64 v[4:7], v202 offset0:35 offset1:36
	v_pk_add_f32 v[142:143], v[142:143], v[10:11] neg_lo:[0,1] neg_hi:[0,1]
	v_pk_add_f32 v[144:145], v[144:145], v[8:9] neg_lo:[0,1] neg_hi:[0,1]
	s_wait_dscnt 0x0
	v_dual_mul_f32 v8, v5, v3 :: v_dual_mul_f32 v10, v5, v0
	s_delay_alu instid0(VALU_DEP_1) | instskip(NEXT) | instid1(VALU_DEP_2)
	v_pk_fma_f32 v[8:9], v[4:5], v[24:25], v[8:9] op_sel_hi:[1,1,0] neg_lo:[0,0,1] neg_hi:[0,0,1]
	v_pk_fma_f32 v[4:5], v[4:5], v[24:25], v[10:11] op_sel:[1,0,0] op_sel_hi:[0,1,0]
	s_delay_alu instid0(VALU_DEP_1) | instskip(SKIP_1) | instid1(VALU_DEP_2)
	v_mov_b32_e32 v9, v5
	v_pk_mul_f32 v[4:5], v[6:7], v[2:3] op_sel:[0,1]
	v_pk_add_f32 v[140:141], v[140:141], v[8:9] neg_lo:[0,1] neg_hi:[0,1]
	s_delay_alu instid0(VALU_DEP_2) | instskip(SKIP_1) | instid1(VALU_DEP_1)
	v_pk_fma_f32 v[8:9], v[6:7], v[0:1], v[4:5] op_sel:[0,0,1] op_sel_hi:[1,1,0] neg_lo:[0,0,1] neg_hi:[0,0,1]
	v_pk_fma_f32 v[4:5], v[6:7], v[0:1], v[4:5] op_sel:[0,0,1] op_sel_hi:[1,0,0]
	v_mov_b32_e32 v9, v5
	ds_load_2addr_b64 v[4:7], v202 offset0:37 offset1:38
	v_pk_add_f32 v[162:163], v[162:163], v[8:9] neg_lo:[0,1] neg_hi:[0,1]
	s_wait_dscnt 0x0
	v_pk_mul_f32 v[8:9], v[4:5], v[2:3] op_sel:[0,1]
	s_delay_alu instid0(VALU_DEP_1) | instskip(SKIP_1) | instid1(VALU_DEP_1)
	v_pk_fma_f32 v[10:11], v[4:5], v[0:1], v[8:9] op_sel:[0,0,1] op_sel_hi:[1,1,0] neg_lo:[0,0,1] neg_hi:[0,0,1]
	v_pk_fma_f32 v[4:5], v[4:5], v[0:1], v[8:9] op_sel:[0,0,1] op_sel_hi:[1,0,0]
	v_mov_b32_e32 v11, v5
	v_pk_mul_f32 v[4:5], v[6:7], v[2:3] op_sel:[0,1]
	s_delay_alu instid0(VALU_DEP_2) | instskip(NEXT) | instid1(VALU_DEP_2)
	v_pk_add_f32 v[158:159], v[158:159], v[10:11] neg_lo:[0,1] neg_hi:[0,1]
	v_pk_fma_f32 v[8:9], v[6:7], v[0:1], v[4:5] op_sel:[0,0,1] op_sel_hi:[1,1,0] neg_lo:[0,0,1] neg_hi:[0,0,1]
	v_pk_fma_f32 v[4:5], v[6:7], v[0:1], v[4:5] op_sel:[0,0,1] op_sel_hi:[1,0,0]
	s_delay_alu instid0(VALU_DEP_1) | instskip(SKIP_4) | instid1(VALU_DEP_1)
	v_mov_b32_e32 v9, v5
	ds_load_2addr_b64 v[4:7], v202 offset0:39 offset1:40
	v_pk_add_f32 v[160:161], v[160:161], v[8:9] neg_lo:[0,1] neg_hi:[0,1]
	s_wait_dscnt 0x0
	v_pk_mul_f32 v[8:9], v[4:5], v[2:3] op_sel:[0,1]
	v_pk_fma_f32 v[10:11], v[4:5], v[0:1], v[8:9] op_sel:[0,0,1] op_sel_hi:[1,1,0] neg_lo:[0,0,1] neg_hi:[0,0,1]
	v_pk_fma_f32 v[4:5], v[4:5], v[0:1], v[8:9] op_sel:[0,0,1] op_sel_hi:[1,0,0]
	v_dual_mul_f32 v8, v7, v3 :: v_dual_mov_b32 v4, v7
	s_delay_alu instid0(VALU_DEP_2) | instskip(NEXT) | instid1(VALU_DEP_2)
	v_dual_mov_b32 v11, v5 :: v_dual_mov_b32 v5, v6
	v_pk_fma_f32 v[8:9], v[6:7], v[24:25], v[8:9] op_sel_hi:[1,1,0] neg_lo:[0,0,1] neg_hi:[0,0,1]
	v_mul_f32_e32 v6, v7, v0
	s_delay_alu instid0(VALU_DEP_3) | instskip(NEXT) | instid1(VALU_DEP_2)
	v_pk_add_f32 v[156:157], v[156:157], v[10:11] neg_lo:[0,1] neg_hi:[0,1]
	v_pk_fma_f32 v[4:5], v[4:5], v[24:25], v[6:7] op_sel_hi:[1,1,0]
	s_delay_alu instid0(VALU_DEP_1) | instskip(SKIP_4) | instid1(VALU_DEP_1)
	v_mov_b32_e32 v9, v5
	ds_load_2addr_b64 v[4:7], v202 offset0:41 offset1:42
	v_pk_add_f32 v[178:179], v[178:179], v[8:9] neg_lo:[0,1] neg_hi:[0,1]
	s_wait_dscnt 0x0
	v_pk_mul_f32 v[8:9], v[4:5], v[2:3] op_sel:[0,1]
	v_pk_fma_f32 v[10:11], v[4:5], v[0:1], v[8:9] op_sel:[0,0,1] op_sel_hi:[1,1,0] neg_lo:[0,0,1] neg_hi:[0,0,1]
	v_pk_fma_f32 v[4:5], v[4:5], v[0:1], v[8:9] op_sel:[0,0,1] op_sel_hi:[1,0,0]
	s_delay_alu instid0(VALU_DEP_1) | instskip(SKIP_1) | instid1(VALU_DEP_1)
	v_mov_b32_e32 v11, v5
	v_pk_mul_f32 v[4:5], v[6:7], v[2:3] op_sel:[0,1]
	v_pk_fma_f32 v[8:9], v[6:7], v[0:1], v[4:5] op_sel:[0,0,1] op_sel_hi:[1,1,0] neg_lo:[0,0,1] neg_hi:[0,0,1]
	v_pk_fma_f32 v[4:5], v[6:7], v[0:1], v[4:5] op_sel:[0,0,1] op_sel_hi:[1,0,0]
	s_delay_alu instid0(VALU_DEP_1)
	v_mov_b32_e32 v9, v5
	ds_load_2addr_b64 v[4:7], v202 offset0:43 offset1:44
	v_pk_add_f32 v[174:175], v[174:175], v[10:11] neg_lo:[0,1] neg_hi:[0,1]
	v_pk_add_f32 v[176:177], v[176:177], v[8:9] neg_lo:[0,1] neg_hi:[0,1]
	s_wait_dscnt 0x0
	v_pk_mul_f32 v[8:9], v[4:5], v[2:3] op_sel:[0,1]
	s_delay_alu instid0(VALU_DEP_1) | instskip(SKIP_1) | instid1(VALU_DEP_1)
	v_pk_fma_f32 v[10:11], v[4:5], v[0:1], v[8:9] op_sel:[0,0,1] op_sel_hi:[1,1,0] neg_lo:[0,0,1] neg_hi:[0,0,1]
	v_pk_fma_f32 v[4:5], v[4:5], v[0:1], v[8:9] op_sel:[0,0,1] op_sel_hi:[1,0,0]
	v_mov_b32_e32 v11, v5
	v_pk_mul_f32 v[4:5], v[6:7], v[2:3] op_sel:[0,1]
	s_delay_alu instid0(VALU_DEP_1) | instskip(SKIP_1) | instid1(VALU_DEP_1)
	v_pk_fma_f32 v[8:9], v[6:7], v[0:1], v[4:5] op_sel:[0,0,1] op_sel_hi:[1,1,0] neg_lo:[0,0,1] neg_hi:[0,0,1]
	v_pk_fma_f32 v[4:5], v[6:7], v[0:1], v[4:5] op_sel:[0,0,1] op_sel_hi:[1,0,0]
	v_mov_b32_e32 v9, v5
	ds_load_2addr_b64 v[4:7], v202 offset0:45 offset1:46
	v_pk_add_f32 v[172:173], v[172:173], v[10:11] neg_lo:[0,1] neg_hi:[0,1]
	v_pk_add_f32 v[194:195], v[194:195], v[8:9] neg_lo:[0,1] neg_hi:[0,1]
	s_wait_dscnt 0x0
	v_dual_mul_f32 v8, v5, v3 :: v_dual_mul_f32 v10, v5, v0
	s_delay_alu instid0(VALU_DEP_1) | instskip(NEXT) | instid1(VALU_DEP_2)
	v_pk_fma_f32 v[8:9], v[4:5], v[24:25], v[8:9] op_sel_hi:[1,1,0] neg_lo:[0,0,1] neg_hi:[0,0,1]
	v_pk_fma_f32 v[4:5], v[4:5], v[24:25], v[10:11] op_sel:[1,0,0] op_sel_hi:[0,1,0]
	s_delay_alu instid0(VALU_DEP_1) | instskip(SKIP_1) | instid1(VALU_DEP_2)
	v_mov_b32_e32 v9, v5
	v_pk_mul_f32 v[4:5], v[6:7], v[2:3] op_sel:[0,1]
	v_pk_add_f32 v[190:191], v[190:191], v[8:9] neg_lo:[0,1] neg_hi:[0,1]
	s_delay_alu instid0(VALU_DEP_2) | instskip(SKIP_1) | instid1(VALU_DEP_1)
	v_pk_fma_f32 v[8:9], v[6:7], v[0:1], v[4:5] op_sel:[0,0,1] op_sel_hi:[1,1,0] neg_lo:[0,0,1] neg_hi:[0,0,1]
	v_pk_fma_f32 v[4:5], v[6:7], v[0:1], v[4:5] op_sel:[0,0,1] op_sel_hi:[1,0,0]
	v_mov_b32_e32 v9, v5
	ds_load_2addr_b64 v[4:7], v202 offset0:47 offset1:48
	v_pk_add_f32 v[192:193], v[192:193], v[8:9] neg_lo:[0,1] neg_hi:[0,1]
	s_wait_dscnt 0x0
	v_pk_mul_f32 v[8:9], v[4:5], v[2:3] op_sel:[0,1]
	s_delay_alu instid0(VALU_DEP_1) | instskip(SKIP_1) | instid1(VALU_DEP_1)
	v_pk_fma_f32 v[10:11], v[4:5], v[0:1], v[8:9] op_sel:[0,0,1] op_sel_hi:[1,1,0] neg_lo:[0,0,1] neg_hi:[0,0,1]
	v_pk_fma_f32 v[4:5], v[4:5], v[0:1], v[8:9] op_sel:[0,0,1] op_sel_hi:[1,0,0]
	v_mov_b32_e32 v11, v5
	v_pk_mul_f32 v[4:5], v[6:7], v[2:3] op_sel:[0,1]
	s_delay_alu instid0(VALU_DEP_2) | instskip(NEXT) | instid1(VALU_DEP_2)
	v_pk_add_f32 v[188:189], v[188:189], v[10:11] neg_lo:[0,1] neg_hi:[0,1]
	v_pk_fma_f32 v[8:9], v[6:7], v[0:1], v[4:5] op_sel:[0,0,1] op_sel_hi:[1,1,0] neg_lo:[0,0,1] neg_hi:[0,0,1]
	v_pk_fma_f32 v[4:5], v[6:7], v[0:1], v[4:5] op_sel:[0,0,1] op_sel_hi:[1,0,0]
	s_delay_alu instid0(VALU_DEP_1) | instskip(SKIP_4) | instid1(VALU_DEP_1)
	v_mov_b32_e32 v9, v5
	ds_load_2addr_b64 v[4:7], v202 offset0:49 offset1:50
	v_pk_add_f32 v[212:213], v[212:213], v[8:9] neg_lo:[0,1] neg_hi:[0,1]
	s_wait_dscnt 0x0
	v_pk_mul_f32 v[8:9], v[4:5], v[2:3] op_sel:[0,1]
	v_pk_fma_f32 v[10:11], v[4:5], v[0:1], v[8:9] op_sel:[0,0,1] op_sel_hi:[1,1,0] neg_lo:[0,0,1] neg_hi:[0,0,1]
	v_pk_fma_f32 v[4:5], v[4:5], v[0:1], v[8:9] op_sel:[0,0,1] op_sel_hi:[1,0,0]
	v_dual_mul_f32 v8, v7, v3 :: v_dual_mov_b32 v4, v7
	s_delay_alu instid0(VALU_DEP_2) | instskip(NEXT) | instid1(VALU_DEP_2)
	v_dual_mov_b32 v11, v5 :: v_dual_mov_b32 v5, v6
	v_pk_fma_f32 v[8:9], v[6:7], v[24:25], v[8:9] op_sel_hi:[1,1,0] neg_lo:[0,0,1] neg_hi:[0,0,1]
	v_mul_f32_e32 v6, v7, v0
	s_delay_alu instid0(VALU_DEP_3) | instskip(NEXT) | instid1(VALU_DEP_2)
	v_pk_add_f32 v[208:209], v[208:209], v[10:11] neg_lo:[0,1] neg_hi:[0,1]
	v_pk_fma_f32 v[4:5], v[4:5], v[24:25], v[6:7] op_sel_hi:[1,1,0]
	s_delay_alu instid0(VALU_DEP_1) | instskip(SKIP_4) | instid1(VALU_DEP_1)
	v_mov_b32_e32 v9, v5
	ds_load_2addr_b64 v[4:7], v202 offset0:51 offset1:52
	v_pk_add_f32 v[210:211], v[210:211], v[8:9] neg_lo:[0,1] neg_hi:[0,1]
	s_wait_dscnt 0x0
	v_pk_mul_f32 v[8:9], v[4:5], v[2:3] op_sel:[0,1]
	v_pk_fma_f32 v[10:11], v[4:5], v[0:1], v[8:9] op_sel:[0,0,1] op_sel_hi:[1,1,0] neg_lo:[0,0,1] neg_hi:[0,0,1]
	v_pk_fma_f32 v[4:5], v[4:5], v[0:1], v[8:9] op_sel:[0,0,1] op_sel_hi:[1,0,0]
	s_delay_alu instid0(VALU_DEP_1) | instskip(SKIP_1) | instid1(VALU_DEP_1)
	v_mov_b32_e32 v11, v5
	v_pk_mul_f32 v[4:5], v[6:7], v[2:3] op_sel:[0,1]
	v_pk_fma_f32 v[8:9], v[6:7], v[0:1], v[4:5] op_sel:[0,0,1] op_sel_hi:[1,1,0] neg_lo:[0,0,1] neg_hi:[0,0,1]
	v_pk_fma_f32 v[4:5], v[6:7], v[0:1], v[4:5] op_sel:[0,0,1] op_sel_hi:[1,0,0]
	s_delay_alu instid0(VALU_DEP_1)
	v_mov_b32_e32 v9, v5
	ds_load_2addr_b64 v[4:7], v202 offset0:53 offset1:54
	v_pk_add_f32 v[206:207], v[206:207], v[10:11] neg_lo:[0,1] neg_hi:[0,1]
	v_pk_add_f32 v[232:233], v[232:233], v[8:9] neg_lo:[0,1] neg_hi:[0,1]
	s_wait_dscnt 0x0
	v_pk_mul_f32 v[8:9], v[4:5], v[2:3] op_sel:[0,1]
	s_delay_alu instid0(VALU_DEP_1) | instskip(SKIP_1) | instid1(VALU_DEP_1)
	v_pk_fma_f32 v[10:11], v[4:5], v[0:1], v[8:9] op_sel:[0,0,1] op_sel_hi:[1,1,0] neg_lo:[0,0,1] neg_hi:[0,0,1]
	v_pk_fma_f32 v[4:5], v[4:5], v[0:1], v[8:9] op_sel:[0,0,1] op_sel_hi:[1,0,0]
	v_mov_b32_e32 v11, v5
	v_pk_mul_f32 v[4:5], v[6:7], v[2:3] op_sel:[0,1]
	s_delay_alu instid0(VALU_DEP_1) | instskip(SKIP_1) | instid1(VALU_DEP_1)
	v_pk_fma_f32 v[8:9], v[6:7], v[0:1], v[4:5] op_sel:[0,0,1] op_sel_hi:[1,1,0] neg_lo:[0,0,1] neg_hi:[0,0,1]
	v_pk_fma_f32 v[4:5], v[6:7], v[0:1], v[4:5] op_sel:[0,0,1] op_sel_hi:[1,0,0]
	v_mov_b32_e32 v9, v5
	ds_load_2addr_b64 v[4:7], v202 offset0:55 offset1:56
	v_pk_add_f32 v[226:227], v[226:227], v[10:11] neg_lo:[0,1] neg_hi:[0,1]
	v_pk_add_f32 v[230:231], v[230:231], v[8:9] neg_lo:[0,1] neg_hi:[0,1]
	s_wait_dscnt 0x0
	v_dual_mul_f32 v8, v5, v3 :: v_dual_mul_f32 v10, v5, v0
	s_delay_alu instid0(VALU_DEP_1) | instskip(NEXT) | instid1(VALU_DEP_2)
	v_pk_fma_f32 v[8:9], v[4:5], v[24:25], v[8:9] op_sel_hi:[1,1,0] neg_lo:[0,0,1] neg_hi:[0,0,1]
	v_pk_fma_f32 v[4:5], v[4:5], v[24:25], v[10:11] op_sel:[1,0,0] op_sel_hi:[0,1,0]
	s_delay_alu instid0(VALU_DEP_1) | instskip(SKIP_1) | instid1(VALU_DEP_2)
	v_mov_b32_e32 v9, v5
	v_pk_mul_f32 v[4:5], v[6:7], v[2:3] op_sel:[0,1]
	v_pk_add_f32 v[224:225], v[224:225], v[8:9] neg_lo:[0,1] neg_hi:[0,1]
	s_delay_alu instid0(VALU_DEP_2) | instskip(SKIP_1) | instid1(VALU_DEP_1)
	v_pk_fma_f32 v[8:9], v[6:7], v[0:1], v[4:5] op_sel:[0,0,1] op_sel_hi:[1,1,0] neg_lo:[0,0,1] neg_hi:[0,0,1]
	v_pk_fma_f32 v[4:5], v[6:7], v[0:1], v[4:5] op_sel:[0,0,1] op_sel_hi:[1,0,0]
	v_mov_b32_e32 v9, v5
	ds_load_2addr_b64 v[4:7], v202 offset0:57 offset1:58
	v_pk_add_f32 v[228:229], v[228:229], v[8:9] neg_lo:[0,1] neg_hi:[0,1]
	s_wait_dscnt 0x0
	v_pk_mul_f32 v[8:9], v[4:5], v[2:3] op_sel:[0,1]
	v_pk_mul_f32 v[2:3], v[6:7], v[2:3] op_sel:[0,1]
	s_delay_alu instid0(VALU_DEP_2) | instskip(SKIP_1) | instid1(VALU_DEP_1)
	v_pk_fma_f32 v[10:11], v[4:5], v[0:1], v[8:9] op_sel:[0,0,1] op_sel_hi:[1,1,0] neg_lo:[0,0,1] neg_hi:[0,0,1]
	v_pk_fma_f32 v[4:5], v[4:5], v[0:1], v[8:9] op_sel:[0,0,1] op_sel_hi:[1,0,0]
	v_mov_b32_e32 v11, v5
	s_delay_alu instid0(VALU_DEP_4) | instskip(SKIP_1) | instid1(VALU_DEP_3)
	v_pk_fma_f32 v[4:5], v[6:7], v[0:1], v[2:3] op_sel:[0,0,1] op_sel_hi:[1,1,0] neg_lo:[0,0,1] neg_hi:[0,0,1]
	v_pk_fma_f32 v[0:1], v[6:7], v[0:1], v[2:3] op_sel:[0,0,1] op_sel_hi:[1,0,0]
	v_pk_add_f32 v[234:235], v[234:235], v[10:11] neg_lo:[0,1] neg_hi:[0,1]
	s_delay_alu instid0(VALU_DEP_2) | instskip(NEXT) | instid1(VALU_DEP_1)
	v_mov_b32_e32 v5, v1
	v_pk_add_f32 v[236:237], v[236:237], v[4:5] neg_lo:[0,1] neg_hi:[0,1]
.LBB117_64:
	s_wait_xcnt 0x0
	s_or_b32 exec_lo, exec_lo, s1
	s_delay_alu instid0(SALU_CYCLE_1)
	s_mov_b32 s2, exec_lo
	s_wait_storecnt 0x0
	s_barrier_signal -1
	s_barrier_wait -1
	v_cmpx_eq_u32_e32 7, v200
	s_cbranch_execz .LBB117_71
; %bb.65:
	v_dual_mov_b32 v0, v40 :: v_dual_mov_b32 v1, v41
	v_dual_mov_b32 v2, v36 :: v_dual_mov_b32 v3, v37
	ds_store_b64 v201, v[20:21]
	ds_store_2addr_b64 v202, v[0:1], v[2:3] offset0:8 offset1:9
	v_dual_mov_b32 v0, v38 :: v_dual_mov_b32 v1, v39
	v_dual_mov_b32 v2, v34 :: v_dual_mov_b32 v3, v35
	ds_store_2addr_b64 v202, v[0:1], v[2:3] offset0:10 offset1:11
	v_dual_mov_b32 v0, v66 :: v_dual_mov_b32 v1, v67
	v_dual_mov_b32 v2, v62 :: v_dual_mov_b32 v3, v63
	;; [unrolled: 3-line block ×24, first 2 shown]
	ds_store_2addr_b64 v202, v[0:1], v[2:3] offset0:56 offset1:57
	ds_store_b64 v202, v[236:237] offset:464
	ds_load_b64 v[0:1], v201
	s_wait_dscnt 0x0
	v_cmp_neq_f32_e32 vcc_lo, 0, v0
	v_cmp_neq_f32_e64 s1, 0, v1
	s_or_b32 s1, vcc_lo, s1
	s_delay_alu instid0(SALU_CYCLE_1)
	s_and_b32 exec_lo, exec_lo, s1
	s_cbranch_execz .LBB117_71
; %bb.66:
	v_cmp_ngt_f32_e64 s1, |v0|, |v1|
                                        ; implicit-def: $vgpr2_vgpr3
	s_and_saveexec_b32 s4, s1
	s_delay_alu instid0(SALU_CYCLE_1)
	s_xor_b32 s1, exec_lo, s4
	s_cbranch_execz .LBB117_68
; %bb.67:
	v_div_scale_f32 v2, null, v1, v1, v0
	v_div_scale_f32 v5, vcc_lo, v0, v1, v0
	s_delay_alu instid0(VALU_DEP_2) | instskip(SKIP_1) | instid1(TRANS32_DEP_1)
	v_rcp_f32_e32 v3, v2
	v_nop
	v_fma_f32 v4, -v2, v3, 1.0
	s_delay_alu instid0(VALU_DEP_1) | instskip(NEXT) | instid1(VALU_DEP_1)
	v_fmac_f32_e32 v3, v4, v3
	v_mul_f32_e32 v4, v5, v3
	s_delay_alu instid0(VALU_DEP_1) | instskip(NEXT) | instid1(VALU_DEP_1)
	v_fma_f32 v6, -v2, v4, v5
	v_fmac_f32_e32 v4, v6, v3
	s_delay_alu instid0(VALU_DEP_1) | instskip(NEXT) | instid1(VALU_DEP_1)
	v_fma_f32 v2, -v2, v4, v5
	v_div_fmas_f32 v2, v2, v3, v4
	s_delay_alu instid0(VALU_DEP_1) | instskip(NEXT) | instid1(VALU_DEP_1)
	v_div_fixup_f32 v2, v2, v1, v0
	v_fmac_f32_e32 v1, v0, v2
	s_delay_alu instid0(VALU_DEP_1) | instskip(SKIP_1) | instid1(VALU_DEP_2)
	v_div_scale_f32 v0, null, v1, v1, 1.0
	v_div_scale_f32 v5, vcc_lo, 1.0, v1, 1.0
	v_rcp_f32_e32 v3, v0
	v_nop
	s_delay_alu instid0(TRANS32_DEP_1) | instskip(NEXT) | instid1(VALU_DEP_1)
	v_fma_f32 v4, -v0, v3, 1.0
	v_fmac_f32_e32 v3, v4, v3
	s_delay_alu instid0(VALU_DEP_1) | instskip(NEXT) | instid1(VALU_DEP_1)
	v_mul_f32_e32 v4, v5, v3
	v_fma_f32 v6, -v0, v4, v5
	s_delay_alu instid0(VALU_DEP_1) | instskip(NEXT) | instid1(VALU_DEP_1)
	v_fmac_f32_e32 v4, v6, v3
	v_fma_f32 v0, -v0, v4, v5
	s_delay_alu instid0(VALU_DEP_1) | instskip(NEXT) | instid1(VALU_DEP_1)
	v_div_fmas_f32 v0, v0, v3, v4
	v_div_fixup_f32 v0, v0, v1, 1.0
	s_delay_alu instid0(VALU_DEP_1)
	v_mul_f32_e32 v2, v2, v0
	v_xor_b32_e32 v3, 0x80000000, v0
                                        ; implicit-def: $vgpr0_vgpr1
.LBB117_68:
	s_and_not1_saveexec_b32 s1, s1
	s_cbranch_execz .LBB117_70
; %bb.69:
	v_div_scale_f32 v2, null, v0, v0, v1
	v_div_scale_f32 v5, vcc_lo, v1, v0, v1
	s_delay_alu instid0(VALU_DEP_2) | instskip(SKIP_1) | instid1(TRANS32_DEP_1)
	v_rcp_f32_e32 v3, v2
	v_nop
	v_fma_f32 v4, -v2, v3, 1.0
	s_delay_alu instid0(VALU_DEP_1) | instskip(NEXT) | instid1(VALU_DEP_1)
	v_fmac_f32_e32 v3, v4, v3
	v_mul_f32_e32 v4, v5, v3
	s_delay_alu instid0(VALU_DEP_1) | instskip(NEXT) | instid1(VALU_DEP_1)
	v_fma_f32 v6, -v2, v4, v5
	v_fmac_f32_e32 v4, v6, v3
	s_delay_alu instid0(VALU_DEP_1) | instskip(NEXT) | instid1(VALU_DEP_1)
	v_fma_f32 v2, -v2, v4, v5
	v_div_fmas_f32 v2, v2, v3, v4
	s_delay_alu instid0(VALU_DEP_1) | instskip(NEXT) | instid1(VALU_DEP_1)
	v_div_fixup_f32 v3, v2, v0, v1
	v_fmac_f32_e32 v0, v1, v3
	s_delay_alu instid0(VALU_DEP_1) | instskip(NEXT) | instid1(VALU_DEP_1)
	v_div_scale_f32 v1, null, v0, v0, 1.0
	v_rcp_f32_e32 v2, v1
	v_nop
	s_delay_alu instid0(TRANS32_DEP_1) | instskip(NEXT) | instid1(VALU_DEP_1)
	v_fma_f32 v4, -v1, v2, 1.0
	v_fmac_f32_e32 v2, v4, v2
	v_div_scale_f32 v4, vcc_lo, 1.0, v0, 1.0
	s_delay_alu instid0(VALU_DEP_1) | instskip(NEXT) | instid1(VALU_DEP_1)
	v_mul_f32_e32 v5, v4, v2
	v_fma_f32 v6, -v1, v5, v4
	s_delay_alu instid0(VALU_DEP_1) | instskip(NEXT) | instid1(VALU_DEP_1)
	v_fmac_f32_e32 v5, v6, v2
	v_fma_f32 v1, -v1, v5, v4
	s_delay_alu instid0(VALU_DEP_1) | instskip(NEXT) | instid1(VALU_DEP_1)
	v_div_fmas_f32 v1, v1, v2, v5
	v_div_fixup_f32 v2, v1, v0, 1.0
	s_delay_alu instid0(VALU_DEP_1)
	v_mul_f32_e64 v3, v3, -v2
.LBB117_70:
	s_or_b32 exec_lo, exec_lo, s1
	ds_store_b64 v201, v[2:3]
.LBB117_71:
	s_or_b32 exec_lo, exec_lo, s2
	s_wait_dscnt 0x0
	s_barrier_signal -1
	s_barrier_wait -1
	ds_load_b64 v[0:1], v201
	s_mov_b32 s1, exec_lo
	s_wait_dscnt 0x0
	scratch_store_b64 off, v[0:1], off offset:424 ; 8-byte Folded Spill
	s_wait_xcnt 0x0
	v_cmpx_lt_u32_e32 7, v200
	s_cbranch_execz .LBB117_73
; %bb.72:
	scratch_load_b64 v[4:5], off, off offset:424 ; 8-byte Folded Reload
	s_wait_loadcnt 0x0
	v_pk_mul_f32 v[2:3], v[4:5], v[20:21] op_sel:[1,1] op_sel_hi:[0,1]
	s_delay_alu instid0(VALU_DEP_1)
	v_pk_fma_f32 v[0:1], v[4:5], v[20:21], v[2:3] op_sel_hi:[1,0,1] neg_lo:[0,0,1] neg_hi:[0,0,1]
	v_pk_fma_f32 v[2:3], v[4:5], v[20:21], v[2:3] op_sel_hi:[1,0,1]
	ds_load_2addr_b64 v[4:7], v202 offset0:8 offset1:9
	v_dual_mov_b32 v20, v0 :: v_dual_mov_b32 v21, v3
	s_wait_dscnt 0x0
	v_pk_mul_f32 v[8:9], v[4:5], v[2:3] op_sel:[0,1]
	s_delay_alu instid0(VALU_DEP_1) | instskip(SKIP_1) | instid1(VALU_DEP_1)
	v_pk_fma_f32 v[10:11], v[4:5], v[0:1], v[8:9] op_sel:[0,0,1] op_sel_hi:[1,1,0] neg_lo:[0,0,1] neg_hi:[0,0,1]
	v_pk_fma_f32 v[4:5], v[4:5], v[0:1], v[8:9] op_sel:[0,0,1] op_sel_hi:[1,0,0]
	v_mov_b32_e32 v11, v5
	v_pk_mul_f32 v[4:5], v[6:7], v[2:3] op_sel:[0,1]
	s_delay_alu instid0(VALU_DEP_1) | instskip(SKIP_1) | instid1(VALU_DEP_1)
	v_pk_fma_f32 v[8:9], v[6:7], v[0:1], v[4:5] op_sel:[0,0,1] op_sel_hi:[1,1,0] neg_lo:[0,0,1] neg_hi:[0,0,1]
	v_pk_fma_f32 v[4:5], v[6:7], v[0:1], v[4:5] op_sel:[0,0,1] op_sel_hi:[1,0,0]
	v_mov_b32_e32 v9, v5
	ds_load_2addr_b64 v[4:7], v202 offset0:10 offset1:11
	v_pk_add_f32 v[40:41], v[40:41], v[10:11] neg_lo:[0,1] neg_hi:[0,1]
	v_pk_add_f32 v[36:37], v[36:37], v[8:9] neg_lo:[0,1] neg_hi:[0,1]
	s_wait_dscnt 0x0
	v_pk_mul_f32 v[8:9], v[4:5], v[2:3] op_sel:[0,1]
	s_delay_alu instid0(VALU_DEP_1) | instskip(SKIP_2) | instid1(VALU_DEP_2)
	v_pk_fma_f32 v[10:11], v[4:5], v[0:1], v[8:9] op_sel:[0,0,1] op_sel_hi:[1,1,0] neg_lo:[0,0,1] neg_hi:[0,0,1]
	v_pk_fma_f32 v[4:5], v[4:5], v[0:1], v[8:9] op_sel:[0,0,1] op_sel_hi:[1,0,0]
	v_dual_mul_f32 v8, v7, v3 :: v_dual_mov_b32 v4, v7
	v_dual_mov_b32 v11, v5 :: v_dual_mov_b32 v5, v6
	s_delay_alu instid0(VALU_DEP_2) | instskip(SKIP_1) | instid1(VALU_DEP_3)
	v_pk_fma_f32 v[8:9], v[6:7], v[20:21], v[8:9] op_sel_hi:[1,1,0] neg_lo:[0,0,1] neg_hi:[0,0,1]
	v_mul_f32_e32 v6, v7, v0
	v_pk_add_f32 v[38:39], v[38:39], v[10:11] neg_lo:[0,1] neg_hi:[0,1]
	s_delay_alu instid0(VALU_DEP_2) | instskip(NEXT) | instid1(VALU_DEP_1)
	v_pk_fma_f32 v[4:5], v[4:5], v[20:21], v[6:7] op_sel_hi:[1,1,0]
	v_mov_b32_e32 v9, v5
	ds_load_2addr_b64 v[4:7], v202 offset0:12 offset1:13
	v_pk_add_f32 v[34:35], v[34:35], v[8:9] neg_lo:[0,1] neg_hi:[0,1]
	s_wait_dscnt 0x0
	v_pk_mul_f32 v[8:9], v[4:5], v[2:3] op_sel:[0,1]
	s_delay_alu instid0(VALU_DEP_1) | instskip(SKIP_1) | instid1(VALU_DEP_1)
	v_pk_fma_f32 v[10:11], v[4:5], v[0:1], v[8:9] op_sel:[0,0,1] op_sel_hi:[1,1,0] neg_lo:[0,0,1] neg_hi:[0,0,1]
	v_pk_fma_f32 v[4:5], v[4:5], v[0:1], v[8:9] op_sel:[0,0,1] op_sel_hi:[1,0,0]
	v_mov_b32_e32 v11, v5
	v_pk_mul_f32 v[4:5], v[6:7], v[2:3] op_sel:[0,1]
	s_delay_alu instid0(VALU_DEP_1) | instskip(SKIP_1) | instid1(VALU_DEP_1)
	v_pk_fma_f32 v[8:9], v[6:7], v[0:1], v[4:5] op_sel:[0,0,1] op_sel_hi:[1,1,0] neg_lo:[0,0,1] neg_hi:[0,0,1]
	v_pk_fma_f32 v[4:5], v[6:7], v[0:1], v[4:5] op_sel:[0,0,1] op_sel_hi:[1,0,0]
	v_mov_b32_e32 v9, v5
	ds_load_2addr_b64 v[4:7], v202 offset0:14 offset1:15
	v_pk_add_f32 v[66:67], v[66:67], v[10:11] neg_lo:[0,1] neg_hi:[0,1]
	v_pk_add_f32 v[62:63], v[62:63], v[8:9] neg_lo:[0,1] neg_hi:[0,1]
	s_wait_dscnt 0x0
	v_pk_mul_f32 v[8:9], v[4:5], v[2:3] op_sel:[0,1]
	s_delay_alu instid0(VALU_DEP_1) | instskip(SKIP_1) | instid1(VALU_DEP_1)
	v_pk_fma_f32 v[10:11], v[4:5], v[0:1], v[8:9] op_sel:[0,0,1] op_sel_hi:[1,1,0] neg_lo:[0,0,1] neg_hi:[0,0,1]
	v_pk_fma_f32 v[4:5], v[4:5], v[0:1], v[8:9] op_sel:[0,0,1] op_sel_hi:[1,0,0]
	v_mov_b32_e32 v11, v5
	v_pk_mul_f32 v[4:5], v[6:7], v[2:3] op_sel:[0,1]
	s_delay_alu instid0(VALU_DEP_1) | instskip(SKIP_1) | instid1(VALU_DEP_1)
	v_pk_fma_f32 v[8:9], v[6:7], v[0:1], v[4:5] op_sel:[0,0,1] op_sel_hi:[1,1,0] neg_lo:[0,0,1] neg_hi:[0,0,1]
	v_pk_fma_f32 v[4:5], v[6:7], v[0:1], v[4:5] op_sel:[0,0,1] op_sel_hi:[1,0,0]
	v_mov_b32_e32 v9, v5
	ds_load_2addr_b64 v[4:7], v202 offset0:16 offset1:17
	v_pk_add_f32 v[64:65], v[64:65], v[10:11] neg_lo:[0,1] neg_hi:[0,1]
	v_pk_add_f32 v[60:61], v[60:61], v[8:9] neg_lo:[0,1] neg_hi:[0,1]
	s_wait_dscnt 0x0
	v_dual_mul_f32 v8, v5, v3 :: v_dual_mul_f32 v10, v5, v0
	s_delay_alu instid0(VALU_DEP_1) | instskip(NEXT) | instid1(VALU_DEP_2)
	v_pk_fma_f32 v[8:9], v[4:5], v[20:21], v[8:9] op_sel_hi:[1,1,0] neg_lo:[0,0,1] neg_hi:[0,0,1]
	v_pk_fma_f32 v[4:5], v[4:5], v[20:21], v[10:11] op_sel:[1,0,0] op_sel_hi:[0,1,0]
	s_delay_alu instid0(VALU_DEP_1) | instskip(SKIP_1) | instid1(VALU_DEP_2)
	v_mov_b32_e32 v9, v5
	v_pk_mul_f32 v[4:5], v[6:7], v[2:3] op_sel:[0,1]
	v_pk_add_f32 v[82:83], v[82:83], v[8:9] neg_lo:[0,1] neg_hi:[0,1]
	s_delay_alu instid0(VALU_DEP_2) | instskip(SKIP_1) | instid1(VALU_DEP_1)
	v_pk_fma_f32 v[8:9], v[6:7], v[0:1], v[4:5] op_sel:[0,0,1] op_sel_hi:[1,1,0] neg_lo:[0,0,1] neg_hi:[0,0,1]
	v_pk_fma_f32 v[4:5], v[6:7], v[0:1], v[4:5] op_sel:[0,0,1] op_sel_hi:[1,0,0]
	v_mov_b32_e32 v9, v5
	ds_load_2addr_b64 v[4:7], v202 offset0:18 offset1:19
	v_pk_add_f32 v[78:79], v[78:79], v[8:9] neg_lo:[0,1] neg_hi:[0,1]
	s_wait_dscnt 0x0
	v_pk_mul_f32 v[8:9], v[4:5], v[2:3] op_sel:[0,1]
	s_delay_alu instid0(VALU_DEP_1) | instskip(SKIP_1) | instid1(VALU_DEP_1)
	v_pk_fma_f32 v[10:11], v[4:5], v[0:1], v[8:9] op_sel:[0,0,1] op_sel_hi:[1,1,0] neg_lo:[0,0,1] neg_hi:[0,0,1]
	v_pk_fma_f32 v[4:5], v[4:5], v[0:1], v[8:9] op_sel:[0,0,1] op_sel_hi:[1,0,0]
	v_mov_b32_e32 v11, v5
	v_pk_mul_f32 v[4:5], v[6:7], v[2:3] op_sel:[0,1]
	s_delay_alu instid0(VALU_DEP_2) | instskip(NEXT) | instid1(VALU_DEP_2)
	v_pk_add_f32 v[80:81], v[80:81], v[10:11] neg_lo:[0,1] neg_hi:[0,1]
	v_pk_fma_f32 v[8:9], v[6:7], v[0:1], v[4:5] op_sel:[0,0,1] op_sel_hi:[1,1,0] neg_lo:[0,0,1] neg_hi:[0,0,1]
	v_pk_fma_f32 v[4:5], v[6:7], v[0:1], v[4:5] op_sel:[0,0,1] op_sel_hi:[1,0,0]
	s_delay_alu instid0(VALU_DEP_1) | instskip(SKIP_4) | instid1(VALU_DEP_1)
	v_mov_b32_e32 v9, v5
	ds_load_2addr_b64 v[4:7], v202 offset0:20 offset1:21
	v_pk_add_f32 v[76:77], v[76:77], v[8:9] neg_lo:[0,1] neg_hi:[0,1]
	s_wait_dscnt 0x0
	v_pk_mul_f32 v[8:9], v[4:5], v[2:3] op_sel:[0,1]
	v_pk_fma_f32 v[10:11], v[4:5], v[0:1], v[8:9] op_sel:[0,0,1] op_sel_hi:[1,1,0] neg_lo:[0,0,1] neg_hi:[0,0,1]
	v_pk_fma_f32 v[4:5], v[4:5], v[0:1], v[8:9] op_sel:[0,0,1] op_sel_hi:[1,0,0]
	v_dual_mul_f32 v8, v7, v3 :: v_dual_mov_b32 v4, v7
	s_delay_alu instid0(VALU_DEP_2) | instskip(NEXT) | instid1(VALU_DEP_2)
	v_dual_mov_b32 v11, v5 :: v_dual_mov_b32 v5, v6
	v_pk_fma_f32 v[8:9], v[6:7], v[20:21], v[8:9] op_sel_hi:[1,1,0] neg_lo:[0,0,1] neg_hi:[0,0,1]
	v_mul_f32_e32 v6, v7, v0
	s_delay_alu instid0(VALU_DEP_3) | instskip(NEXT) | instid1(VALU_DEP_2)
	v_pk_add_f32 v[98:99], v[98:99], v[10:11] neg_lo:[0,1] neg_hi:[0,1]
	v_pk_fma_f32 v[4:5], v[4:5], v[20:21], v[6:7] op_sel_hi:[1,1,0]
	s_delay_alu instid0(VALU_DEP_1) | instskip(SKIP_4) | instid1(VALU_DEP_1)
	v_mov_b32_e32 v9, v5
	ds_load_2addr_b64 v[4:7], v202 offset0:22 offset1:23
	v_pk_add_f32 v[94:95], v[94:95], v[8:9] neg_lo:[0,1] neg_hi:[0,1]
	s_wait_dscnt 0x0
	v_pk_mul_f32 v[8:9], v[4:5], v[2:3] op_sel:[0,1]
	v_pk_fma_f32 v[10:11], v[4:5], v[0:1], v[8:9] op_sel:[0,0,1] op_sel_hi:[1,1,0] neg_lo:[0,0,1] neg_hi:[0,0,1]
	v_pk_fma_f32 v[4:5], v[4:5], v[0:1], v[8:9] op_sel:[0,0,1] op_sel_hi:[1,0,0]
	s_delay_alu instid0(VALU_DEP_1) | instskip(SKIP_1) | instid1(VALU_DEP_1)
	v_mov_b32_e32 v11, v5
	v_pk_mul_f32 v[4:5], v[6:7], v[2:3] op_sel:[0,1]
	v_pk_fma_f32 v[8:9], v[6:7], v[0:1], v[4:5] op_sel:[0,0,1] op_sel_hi:[1,1,0] neg_lo:[0,0,1] neg_hi:[0,0,1]
	v_pk_fma_f32 v[4:5], v[6:7], v[0:1], v[4:5] op_sel:[0,0,1] op_sel_hi:[1,0,0]
	s_delay_alu instid0(VALU_DEP_1)
	v_mov_b32_e32 v9, v5
	ds_load_2addr_b64 v[4:7], v202 offset0:24 offset1:25
	v_pk_add_f32 v[96:97], v[96:97], v[10:11] neg_lo:[0,1] neg_hi:[0,1]
	v_pk_add_f32 v[92:93], v[92:93], v[8:9] neg_lo:[0,1] neg_hi:[0,1]
	s_wait_dscnt 0x0
	v_pk_mul_f32 v[8:9], v[4:5], v[2:3] op_sel:[0,1]
	s_delay_alu instid0(VALU_DEP_1) | instskip(SKIP_1) | instid1(VALU_DEP_1)
	v_pk_fma_f32 v[10:11], v[4:5], v[0:1], v[8:9] op_sel:[0,0,1] op_sel_hi:[1,1,0] neg_lo:[0,0,1] neg_hi:[0,0,1]
	v_pk_fma_f32 v[4:5], v[4:5], v[0:1], v[8:9] op_sel:[0,0,1] op_sel_hi:[1,0,0]
	v_mov_b32_e32 v11, v5
	v_pk_mul_f32 v[4:5], v[6:7], v[2:3] op_sel:[0,1]
	s_delay_alu instid0(VALU_DEP_1) | instskip(SKIP_1) | instid1(VALU_DEP_1)
	v_pk_fma_f32 v[8:9], v[6:7], v[0:1], v[4:5] op_sel:[0,0,1] op_sel_hi:[1,1,0] neg_lo:[0,0,1] neg_hi:[0,0,1]
	v_pk_fma_f32 v[4:5], v[6:7], v[0:1], v[4:5] op_sel:[0,0,1] op_sel_hi:[1,0,0]
	v_mov_b32_e32 v9, v5
	ds_load_2addr_b64 v[4:7], v202 offset0:26 offset1:27
	v_pk_add_f32 v[114:115], v[114:115], v[10:11] neg_lo:[0,1] neg_hi:[0,1]
	v_pk_add_f32 v[110:111], v[110:111], v[8:9] neg_lo:[0,1] neg_hi:[0,1]
	s_wait_dscnt 0x0
	v_dual_mul_f32 v8, v5, v3 :: v_dual_mul_f32 v10, v5, v0
	s_delay_alu instid0(VALU_DEP_1) | instskip(NEXT) | instid1(VALU_DEP_2)
	v_pk_fma_f32 v[8:9], v[4:5], v[20:21], v[8:9] op_sel_hi:[1,1,0] neg_lo:[0,0,1] neg_hi:[0,0,1]
	v_pk_fma_f32 v[4:5], v[4:5], v[20:21], v[10:11] op_sel:[1,0,0] op_sel_hi:[0,1,0]
	s_delay_alu instid0(VALU_DEP_1) | instskip(SKIP_1) | instid1(VALU_DEP_2)
	v_mov_b32_e32 v9, v5
	v_pk_mul_f32 v[4:5], v[6:7], v[2:3] op_sel:[0,1]
	v_pk_add_f32 v[112:113], v[112:113], v[8:9] neg_lo:[0,1] neg_hi:[0,1]
	s_delay_alu instid0(VALU_DEP_2) | instskip(SKIP_1) | instid1(VALU_DEP_1)
	v_pk_fma_f32 v[8:9], v[6:7], v[0:1], v[4:5] op_sel:[0,0,1] op_sel_hi:[1,1,0] neg_lo:[0,0,1] neg_hi:[0,0,1]
	v_pk_fma_f32 v[4:5], v[6:7], v[0:1], v[4:5] op_sel:[0,0,1] op_sel_hi:[1,0,0]
	v_mov_b32_e32 v9, v5
	ds_load_2addr_b64 v[4:7], v202 offset0:28 offset1:29
	v_pk_add_f32 v[108:109], v[108:109], v[8:9] neg_lo:[0,1] neg_hi:[0,1]
	s_wait_dscnt 0x0
	v_pk_mul_f32 v[8:9], v[4:5], v[2:3] op_sel:[0,1]
	s_delay_alu instid0(VALU_DEP_1) | instskip(SKIP_1) | instid1(VALU_DEP_1)
	v_pk_fma_f32 v[10:11], v[4:5], v[0:1], v[8:9] op_sel:[0,0,1] op_sel_hi:[1,1,0] neg_lo:[0,0,1] neg_hi:[0,0,1]
	v_pk_fma_f32 v[4:5], v[4:5], v[0:1], v[8:9] op_sel:[0,0,1] op_sel_hi:[1,0,0]
	v_mov_b32_e32 v11, v5
	v_pk_mul_f32 v[4:5], v[6:7], v[2:3] op_sel:[0,1]
	s_delay_alu instid0(VALU_DEP_2) | instskip(NEXT) | instid1(VALU_DEP_2)
	v_pk_add_f32 v[130:131], v[130:131], v[10:11] neg_lo:[0,1] neg_hi:[0,1]
	v_pk_fma_f32 v[8:9], v[6:7], v[0:1], v[4:5] op_sel:[0,0,1] op_sel_hi:[1,1,0] neg_lo:[0,0,1] neg_hi:[0,0,1]
	v_pk_fma_f32 v[4:5], v[6:7], v[0:1], v[4:5] op_sel:[0,0,1] op_sel_hi:[1,0,0]
	s_delay_alu instid0(VALU_DEP_1) | instskip(SKIP_4) | instid1(VALU_DEP_1)
	v_mov_b32_e32 v9, v5
	ds_load_2addr_b64 v[4:7], v202 offset0:30 offset1:31
	v_pk_add_f32 v[126:127], v[126:127], v[8:9] neg_lo:[0,1] neg_hi:[0,1]
	s_wait_dscnt 0x0
	v_pk_mul_f32 v[8:9], v[4:5], v[2:3] op_sel:[0,1]
	v_pk_fma_f32 v[10:11], v[4:5], v[0:1], v[8:9] op_sel:[0,0,1] op_sel_hi:[1,1,0] neg_lo:[0,0,1] neg_hi:[0,0,1]
	v_pk_fma_f32 v[4:5], v[4:5], v[0:1], v[8:9] op_sel:[0,0,1] op_sel_hi:[1,0,0]
	v_dual_mul_f32 v8, v7, v3 :: v_dual_mov_b32 v4, v7
	s_delay_alu instid0(VALU_DEP_2) | instskip(NEXT) | instid1(VALU_DEP_2)
	v_dual_mov_b32 v11, v5 :: v_dual_mov_b32 v5, v6
	v_pk_fma_f32 v[8:9], v[6:7], v[20:21], v[8:9] op_sel_hi:[1,1,0] neg_lo:[0,0,1] neg_hi:[0,0,1]
	v_mul_f32_e32 v6, v7, v0
	s_delay_alu instid0(VALU_DEP_3) | instskip(NEXT) | instid1(VALU_DEP_2)
	v_pk_add_f32 v[128:129], v[128:129], v[10:11] neg_lo:[0,1] neg_hi:[0,1]
	v_pk_fma_f32 v[4:5], v[4:5], v[20:21], v[6:7] op_sel_hi:[1,1,0]
	s_delay_alu instid0(VALU_DEP_1) | instskip(SKIP_4) | instid1(VALU_DEP_1)
	v_mov_b32_e32 v9, v5
	ds_load_2addr_b64 v[4:7], v202 offset0:32 offset1:33
	v_pk_add_f32 v[124:125], v[124:125], v[8:9] neg_lo:[0,1] neg_hi:[0,1]
	s_wait_dscnt 0x0
	v_pk_mul_f32 v[8:9], v[4:5], v[2:3] op_sel:[0,1]
	v_pk_fma_f32 v[10:11], v[4:5], v[0:1], v[8:9] op_sel:[0,0,1] op_sel_hi:[1,1,0] neg_lo:[0,0,1] neg_hi:[0,0,1]
	v_pk_fma_f32 v[4:5], v[4:5], v[0:1], v[8:9] op_sel:[0,0,1] op_sel_hi:[1,0,0]
	s_delay_alu instid0(VALU_DEP_1) | instskip(SKIP_1) | instid1(VALU_DEP_1)
	v_mov_b32_e32 v11, v5
	v_pk_mul_f32 v[4:5], v[6:7], v[2:3] op_sel:[0,1]
	v_pk_fma_f32 v[8:9], v[6:7], v[0:1], v[4:5] op_sel:[0,0,1] op_sel_hi:[1,1,0] neg_lo:[0,0,1] neg_hi:[0,0,1]
	v_pk_fma_f32 v[4:5], v[6:7], v[0:1], v[4:5] op_sel:[0,0,1] op_sel_hi:[1,0,0]
	s_delay_alu instid0(VALU_DEP_1)
	v_mov_b32_e32 v9, v5
	ds_load_2addr_b64 v[4:7], v202 offset0:34 offset1:35
	v_pk_add_f32 v[146:147], v[146:147], v[10:11] neg_lo:[0,1] neg_hi:[0,1]
	v_pk_add_f32 v[142:143], v[142:143], v[8:9] neg_lo:[0,1] neg_hi:[0,1]
	s_wait_dscnt 0x0
	v_pk_mul_f32 v[8:9], v[4:5], v[2:3] op_sel:[0,1]
	s_delay_alu instid0(VALU_DEP_1) | instskip(SKIP_1) | instid1(VALU_DEP_1)
	v_pk_fma_f32 v[10:11], v[4:5], v[0:1], v[8:9] op_sel:[0,0,1] op_sel_hi:[1,1,0] neg_lo:[0,0,1] neg_hi:[0,0,1]
	v_pk_fma_f32 v[4:5], v[4:5], v[0:1], v[8:9] op_sel:[0,0,1] op_sel_hi:[1,0,0]
	v_mov_b32_e32 v11, v5
	v_pk_mul_f32 v[4:5], v[6:7], v[2:3] op_sel:[0,1]
	s_delay_alu instid0(VALU_DEP_1) | instskip(SKIP_1) | instid1(VALU_DEP_1)
	v_pk_fma_f32 v[8:9], v[6:7], v[0:1], v[4:5] op_sel:[0,0,1] op_sel_hi:[1,1,0] neg_lo:[0,0,1] neg_hi:[0,0,1]
	v_pk_fma_f32 v[4:5], v[6:7], v[0:1], v[4:5] op_sel:[0,0,1] op_sel_hi:[1,0,0]
	v_mov_b32_e32 v9, v5
	ds_load_2addr_b64 v[4:7], v202 offset0:36 offset1:37
	v_pk_add_f32 v[144:145], v[144:145], v[10:11] neg_lo:[0,1] neg_hi:[0,1]
	v_pk_add_f32 v[140:141], v[140:141], v[8:9] neg_lo:[0,1] neg_hi:[0,1]
	s_wait_dscnt 0x0
	v_dual_mul_f32 v8, v5, v3 :: v_dual_mul_f32 v10, v5, v0
	s_delay_alu instid0(VALU_DEP_1) | instskip(NEXT) | instid1(VALU_DEP_2)
	v_pk_fma_f32 v[8:9], v[4:5], v[20:21], v[8:9] op_sel_hi:[1,1,0] neg_lo:[0,0,1] neg_hi:[0,0,1]
	v_pk_fma_f32 v[4:5], v[4:5], v[20:21], v[10:11] op_sel:[1,0,0] op_sel_hi:[0,1,0]
	s_delay_alu instid0(VALU_DEP_1) | instskip(SKIP_1) | instid1(VALU_DEP_2)
	v_mov_b32_e32 v9, v5
	v_pk_mul_f32 v[4:5], v[6:7], v[2:3] op_sel:[0,1]
	v_pk_add_f32 v[162:163], v[162:163], v[8:9] neg_lo:[0,1] neg_hi:[0,1]
	s_delay_alu instid0(VALU_DEP_2) | instskip(SKIP_1) | instid1(VALU_DEP_1)
	v_pk_fma_f32 v[8:9], v[6:7], v[0:1], v[4:5] op_sel:[0,0,1] op_sel_hi:[1,1,0] neg_lo:[0,0,1] neg_hi:[0,0,1]
	v_pk_fma_f32 v[4:5], v[6:7], v[0:1], v[4:5] op_sel:[0,0,1] op_sel_hi:[1,0,0]
	v_mov_b32_e32 v9, v5
	ds_load_2addr_b64 v[4:7], v202 offset0:38 offset1:39
	v_pk_add_f32 v[158:159], v[158:159], v[8:9] neg_lo:[0,1] neg_hi:[0,1]
	s_wait_dscnt 0x0
	v_pk_mul_f32 v[8:9], v[4:5], v[2:3] op_sel:[0,1]
	s_delay_alu instid0(VALU_DEP_1) | instskip(SKIP_1) | instid1(VALU_DEP_1)
	v_pk_fma_f32 v[10:11], v[4:5], v[0:1], v[8:9] op_sel:[0,0,1] op_sel_hi:[1,1,0] neg_lo:[0,0,1] neg_hi:[0,0,1]
	v_pk_fma_f32 v[4:5], v[4:5], v[0:1], v[8:9] op_sel:[0,0,1] op_sel_hi:[1,0,0]
	v_mov_b32_e32 v11, v5
	v_pk_mul_f32 v[4:5], v[6:7], v[2:3] op_sel:[0,1]
	s_delay_alu instid0(VALU_DEP_2) | instskip(NEXT) | instid1(VALU_DEP_2)
	v_pk_add_f32 v[160:161], v[160:161], v[10:11] neg_lo:[0,1] neg_hi:[0,1]
	v_pk_fma_f32 v[8:9], v[6:7], v[0:1], v[4:5] op_sel:[0,0,1] op_sel_hi:[1,1,0] neg_lo:[0,0,1] neg_hi:[0,0,1]
	v_pk_fma_f32 v[4:5], v[6:7], v[0:1], v[4:5] op_sel:[0,0,1] op_sel_hi:[1,0,0]
	s_delay_alu instid0(VALU_DEP_1) | instskip(SKIP_4) | instid1(VALU_DEP_1)
	v_mov_b32_e32 v9, v5
	ds_load_2addr_b64 v[4:7], v202 offset0:40 offset1:41
	v_pk_add_f32 v[156:157], v[156:157], v[8:9] neg_lo:[0,1] neg_hi:[0,1]
	s_wait_dscnt 0x0
	v_pk_mul_f32 v[8:9], v[4:5], v[2:3] op_sel:[0,1]
	v_pk_fma_f32 v[10:11], v[4:5], v[0:1], v[8:9] op_sel:[0,0,1] op_sel_hi:[1,1,0] neg_lo:[0,0,1] neg_hi:[0,0,1]
	v_pk_fma_f32 v[4:5], v[4:5], v[0:1], v[8:9] op_sel:[0,0,1] op_sel_hi:[1,0,0]
	v_dual_mul_f32 v8, v7, v3 :: v_dual_mov_b32 v4, v7
	s_delay_alu instid0(VALU_DEP_2) | instskip(NEXT) | instid1(VALU_DEP_2)
	v_dual_mov_b32 v11, v5 :: v_dual_mov_b32 v5, v6
	v_pk_fma_f32 v[8:9], v[6:7], v[20:21], v[8:9] op_sel_hi:[1,1,0] neg_lo:[0,0,1] neg_hi:[0,0,1]
	v_mul_f32_e32 v6, v7, v0
	s_delay_alu instid0(VALU_DEP_3) | instskip(NEXT) | instid1(VALU_DEP_2)
	v_pk_add_f32 v[178:179], v[178:179], v[10:11] neg_lo:[0,1] neg_hi:[0,1]
	v_pk_fma_f32 v[4:5], v[4:5], v[20:21], v[6:7] op_sel_hi:[1,1,0]
	s_delay_alu instid0(VALU_DEP_1) | instskip(SKIP_4) | instid1(VALU_DEP_1)
	v_mov_b32_e32 v9, v5
	ds_load_2addr_b64 v[4:7], v202 offset0:42 offset1:43
	v_pk_add_f32 v[174:175], v[174:175], v[8:9] neg_lo:[0,1] neg_hi:[0,1]
	s_wait_dscnt 0x0
	v_pk_mul_f32 v[8:9], v[4:5], v[2:3] op_sel:[0,1]
	v_pk_fma_f32 v[10:11], v[4:5], v[0:1], v[8:9] op_sel:[0,0,1] op_sel_hi:[1,1,0] neg_lo:[0,0,1] neg_hi:[0,0,1]
	v_pk_fma_f32 v[4:5], v[4:5], v[0:1], v[8:9] op_sel:[0,0,1] op_sel_hi:[1,0,0]
	s_delay_alu instid0(VALU_DEP_1) | instskip(SKIP_1) | instid1(VALU_DEP_1)
	v_mov_b32_e32 v11, v5
	v_pk_mul_f32 v[4:5], v[6:7], v[2:3] op_sel:[0,1]
	v_pk_fma_f32 v[8:9], v[6:7], v[0:1], v[4:5] op_sel:[0,0,1] op_sel_hi:[1,1,0] neg_lo:[0,0,1] neg_hi:[0,0,1]
	v_pk_fma_f32 v[4:5], v[6:7], v[0:1], v[4:5] op_sel:[0,0,1] op_sel_hi:[1,0,0]
	s_delay_alu instid0(VALU_DEP_1)
	v_mov_b32_e32 v9, v5
	ds_load_2addr_b64 v[4:7], v202 offset0:44 offset1:45
	v_pk_add_f32 v[176:177], v[176:177], v[10:11] neg_lo:[0,1] neg_hi:[0,1]
	v_pk_add_f32 v[172:173], v[172:173], v[8:9] neg_lo:[0,1] neg_hi:[0,1]
	s_wait_dscnt 0x0
	v_pk_mul_f32 v[8:9], v[4:5], v[2:3] op_sel:[0,1]
	s_delay_alu instid0(VALU_DEP_1) | instskip(SKIP_1) | instid1(VALU_DEP_1)
	v_pk_fma_f32 v[10:11], v[4:5], v[0:1], v[8:9] op_sel:[0,0,1] op_sel_hi:[1,1,0] neg_lo:[0,0,1] neg_hi:[0,0,1]
	v_pk_fma_f32 v[4:5], v[4:5], v[0:1], v[8:9] op_sel:[0,0,1] op_sel_hi:[1,0,0]
	v_mov_b32_e32 v11, v5
	v_pk_mul_f32 v[4:5], v[6:7], v[2:3] op_sel:[0,1]
	s_delay_alu instid0(VALU_DEP_1) | instskip(SKIP_1) | instid1(VALU_DEP_1)
	v_pk_fma_f32 v[8:9], v[6:7], v[0:1], v[4:5] op_sel:[0,0,1] op_sel_hi:[1,1,0] neg_lo:[0,0,1] neg_hi:[0,0,1]
	v_pk_fma_f32 v[4:5], v[6:7], v[0:1], v[4:5] op_sel:[0,0,1] op_sel_hi:[1,0,0]
	v_mov_b32_e32 v9, v5
	ds_load_2addr_b64 v[4:7], v202 offset0:46 offset1:47
	v_pk_add_f32 v[194:195], v[194:195], v[10:11] neg_lo:[0,1] neg_hi:[0,1]
	v_pk_add_f32 v[190:191], v[190:191], v[8:9] neg_lo:[0,1] neg_hi:[0,1]
	s_wait_dscnt 0x0
	v_dual_mul_f32 v8, v5, v3 :: v_dual_mul_f32 v10, v5, v0
	s_delay_alu instid0(VALU_DEP_1) | instskip(NEXT) | instid1(VALU_DEP_2)
	v_pk_fma_f32 v[8:9], v[4:5], v[20:21], v[8:9] op_sel_hi:[1,1,0] neg_lo:[0,0,1] neg_hi:[0,0,1]
	v_pk_fma_f32 v[4:5], v[4:5], v[20:21], v[10:11] op_sel:[1,0,0] op_sel_hi:[0,1,0]
	s_delay_alu instid0(VALU_DEP_1) | instskip(SKIP_1) | instid1(VALU_DEP_2)
	v_mov_b32_e32 v9, v5
	v_pk_mul_f32 v[4:5], v[6:7], v[2:3] op_sel:[0,1]
	v_pk_add_f32 v[192:193], v[192:193], v[8:9] neg_lo:[0,1] neg_hi:[0,1]
	s_delay_alu instid0(VALU_DEP_2) | instskip(SKIP_1) | instid1(VALU_DEP_1)
	v_pk_fma_f32 v[8:9], v[6:7], v[0:1], v[4:5] op_sel:[0,0,1] op_sel_hi:[1,1,0] neg_lo:[0,0,1] neg_hi:[0,0,1]
	v_pk_fma_f32 v[4:5], v[6:7], v[0:1], v[4:5] op_sel:[0,0,1] op_sel_hi:[1,0,0]
	v_mov_b32_e32 v9, v5
	ds_load_2addr_b64 v[4:7], v202 offset0:48 offset1:49
	v_pk_add_f32 v[188:189], v[188:189], v[8:9] neg_lo:[0,1] neg_hi:[0,1]
	s_wait_dscnt 0x0
	v_pk_mul_f32 v[8:9], v[4:5], v[2:3] op_sel:[0,1]
	s_delay_alu instid0(VALU_DEP_1) | instskip(SKIP_1) | instid1(VALU_DEP_1)
	v_pk_fma_f32 v[10:11], v[4:5], v[0:1], v[8:9] op_sel:[0,0,1] op_sel_hi:[1,1,0] neg_lo:[0,0,1] neg_hi:[0,0,1]
	v_pk_fma_f32 v[4:5], v[4:5], v[0:1], v[8:9] op_sel:[0,0,1] op_sel_hi:[1,0,0]
	v_mov_b32_e32 v11, v5
	v_pk_mul_f32 v[4:5], v[6:7], v[2:3] op_sel:[0,1]
	s_delay_alu instid0(VALU_DEP_2) | instskip(NEXT) | instid1(VALU_DEP_2)
	v_pk_add_f32 v[212:213], v[212:213], v[10:11] neg_lo:[0,1] neg_hi:[0,1]
	v_pk_fma_f32 v[8:9], v[6:7], v[0:1], v[4:5] op_sel:[0,0,1] op_sel_hi:[1,1,0] neg_lo:[0,0,1] neg_hi:[0,0,1]
	v_pk_fma_f32 v[4:5], v[6:7], v[0:1], v[4:5] op_sel:[0,0,1] op_sel_hi:[1,0,0]
	s_delay_alu instid0(VALU_DEP_1) | instskip(SKIP_4) | instid1(VALU_DEP_1)
	v_mov_b32_e32 v9, v5
	ds_load_2addr_b64 v[4:7], v202 offset0:50 offset1:51
	v_pk_add_f32 v[208:209], v[208:209], v[8:9] neg_lo:[0,1] neg_hi:[0,1]
	s_wait_dscnt 0x0
	v_pk_mul_f32 v[8:9], v[4:5], v[2:3] op_sel:[0,1]
	v_pk_fma_f32 v[10:11], v[4:5], v[0:1], v[8:9] op_sel:[0,0,1] op_sel_hi:[1,1,0] neg_lo:[0,0,1] neg_hi:[0,0,1]
	v_pk_fma_f32 v[4:5], v[4:5], v[0:1], v[8:9] op_sel:[0,0,1] op_sel_hi:[1,0,0]
	v_dual_mul_f32 v8, v7, v3 :: v_dual_mov_b32 v4, v7
	s_delay_alu instid0(VALU_DEP_2) | instskip(NEXT) | instid1(VALU_DEP_2)
	v_dual_mov_b32 v11, v5 :: v_dual_mov_b32 v5, v6
	v_pk_fma_f32 v[8:9], v[6:7], v[20:21], v[8:9] op_sel_hi:[1,1,0] neg_lo:[0,0,1] neg_hi:[0,0,1]
	v_mul_f32_e32 v6, v7, v0
	s_delay_alu instid0(VALU_DEP_3) | instskip(NEXT) | instid1(VALU_DEP_2)
	v_pk_add_f32 v[210:211], v[210:211], v[10:11] neg_lo:[0,1] neg_hi:[0,1]
	v_pk_fma_f32 v[4:5], v[4:5], v[20:21], v[6:7] op_sel_hi:[1,1,0]
	s_delay_alu instid0(VALU_DEP_1) | instskip(SKIP_4) | instid1(VALU_DEP_1)
	v_mov_b32_e32 v9, v5
	ds_load_2addr_b64 v[4:7], v202 offset0:52 offset1:53
	v_pk_add_f32 v[206:207], v[206:207], v[8:9] neg_lo:[0,1] neg_hi:[0,1]
	s_wait_dscnt 0x0
	v_pk_mul_f32 v[8:9], v[4:5], v[2:3] op_sel:[0,1]
	v_pk_fma_f32 v[10:11], v[4:5], v[0:1], v[8:9] op_sel:[0,0,1] op_sel_hi:[1,1,0] neg_lo:[0,0,1] neg_hi:[0,0,1]
	v_pk_fma_f32 v[4:5], v[4:5], v[0:1], v[8:9] op_sel:[0,0,1] op_sel_hi:[1,0,0]
	s_delay_alu instid0(VALU_DEP_1) | instskip(SKIP_1) | instid1(VALU_DEP_1)
	v_mov_b32_e32 v11, v5
	v_pk_mul_f32 v[4:5], v[6:7], v[2:3] op_sel:[0,1]
	v_pk_fma_f32 v[8:9], v[6:7], v[0:1], v[4:5] op_sel:[0,0,1] op_sel_hi:[1,1,0] neg_lo:[0,0,1] neg_hi:[0,0,1]
	v_pk_fma_f32 v[4:5], v[6:7], v[0:1], v[4:5] op_sel:[0,0,1] op_sel_hi:[1,0,0]
	s_delay_alu instid0(VALU_DEP_1)
	v_mov_b32_e32 v9, v5
	ds_load_2addr_b64 v[4:7], v202 offset0:54 offset1:55
	v_pk_add_f32 v[232:233], v[232:233], v[10:11] neg_lo:[0,1] neg_hi:[0,1]
	v_pk_add_f32 v[226:227], v[226:227], v[8:9] neg_lo:[0,1] neg_hi:[0,1]
	s_wait_dscnt 0x0
	v_pk_mul_f32 v[8:9], v[4:5], v[2:3] op_sel:[0,1]
	s_delay_alu instid0(VALU_DEP_1) | instskip(SKIP_1) | instid1(VALU_DEP_1)
	v_pk_fma_f32 v[10:11], v[4:5], v[0:1], v[8:9] op_sel:[0,0,1] op_sel_hi:[1,1,0] neg_lo:[0,0,1] neg_hi:[0,0,1]
	v_pk_fma_f32 v[4:5], v[4:5], v[0:1], v[8:9] op_sel:[0,0,1] op_sel_hi:[1,0,0]
	v_mov_b32_e32 v11, v5
	v_pk_mul_f32 v[4:5], v[6:7], v[2:3] op_sel:[0,1]
	s_delay_alu instid0(VALU_DEP_1) | instskip(SKIP_1) | instid1(VALU_DEP_1)
	v_pk_fma_f32 v[8:9], v[6:7], v[0:1], v[4:5] op_sel:[0,0,1] op_sel_hi:[1,1,0] neg_lo:[0,0,1] neg_hi:[0,0,1]
	v_pk_fma_f32 v[4:5], v[6:7], v[0:1], v[4:5] op_sel:[0,0,1] op_sel_hi:[1,0,0]
	v_mov_b32_e32 v9, v5
	ds_load_2addr_b64 v[4:7], v202 offset0:56 offset1:57
	v_pk_add_f32 v[230:231], v[230:231], v[10:11] neg_lo:[0,1] neg_hi:[0,1]
	v_pk_add_f32 v[224:225], v[224:225], v[8:9] neg_lo:[0,1] neg_hi:[0,1]
	s_wait_dscnt 0x0
	v_dual_mul_f32 v8, v5, v3 :: v_dual_mul_f32 v10, v5, v0
	s_delay_alu instid0(VALU_DEP_1) | instskip(NEXT) | instid1(VALU_DEP_2)
	v_pk_fma_f32 v[8:9], v[4:5], v[20:21], v[8:9] op_sel_hi:[1,1,0] neg_lo:[0,0,1] neg_hi:[0,0,1]
	v_pk_fma_f32 v[4:5], v[4:5], v[20:21], v[10:11] op_sel:[1,0,0] op_sel_hi:[0,1,0]
	s_delay_alu instid0(VALU_DEP_1) | instskip(SKIP_1) | instid1(VALU_DEP_2)
	v_mov_b32_e32 v9, v5
	v_pk_mul_f32 v[4:5], v[6:7], v[2:3] op_sel:[0,1]
	v_pk_add_f32 v[228:229], v[228:229], v[8:9] neg_lo:[0,1] neg_hi:[0,1]
	s_delay_alu instid0(VALU_DEP_2) | instskip(SKIP_1) | instid1(VALU_DEP_1)
	v_pk_fma_f32 v[8:9], v[6:7], v[0:1], v[4:5] op_sel:[0,0,1] op_sel_hi:[1,1,0] neg_lo:[0,0,1] neg_hi:[0,0,1]
	v_pk_fma_f32 v[4:5], v[6:7], v[0:1], v[4:5] op_sel:[0,0,1] op_sel_hi:[1,0,0]
	v_mov_b32_e32 v9, v5
	ds_load_b64 v[4:5], v202 offset:464
	v_pk_add_f32 v[234:235], v[234:235], v[8:9] neg_lo:[0,1] neg_hi:[0,1]
	s_wait_dscnt 0x0
	v_pk_mul_f32 v[2:3], v[4:5], v[2:3] op_sel:[0,1]
	s_delay_alu instid0(VALU_DEP_1) | instskip(SKIP_1) | instid1(VALU_DEP_1)
	v_pk_fma_f32 v[6:7], v[4:5], v[0:1], v[2:3] op_sel:[0,0,1] op_sel_hi:[1,1,0] neg_lo:[0,0,1] neg_hi:[0,0,1]
	v_pk_fma_f32 v[0:1], v[4:5], v[0:1], v[2:3] op_sel:[0,0,1] op_sel_hi:[1,0,0]
	v_mov_b32_e32 v7, v1
	s_delay_alu instid0(VALU_DEP_1)
	v_pk_add_f32 v[236:237], v[236:237], v[6:7] neg_lo:[0,1] neg_hi:[0,1]
.LBB117_73:
	s_wait_xcnt 0x0
	s_or_b32 exec_lo, exec_lo, s1
	s_delay_alu instid0(SALU_CYCLE_1)
	s_mov_b32 s2, exec_lo
	s_wait_storecnt 0x0
	s_barrier_signal -1
	s_barrier_wait -1
	v_cmpx_eq_u32_e32 8, v200
	s_cbranch_execz .LBB117_80
; %bb.74:
	ds_store_b64 v201, v[40:41]
	ds_store_2addr_b64 v202, v[36:37], v[38:39] offset0:9 offset1:10
	ds_store_2addr_b64 v202, v[34:35], v[66:67] offset0:11 offset1:12
	;; [unrolled: 1-line block ×25, first 2 shown]
	ds_load_b64 v[0:1], v201
	s_wait_dscnt 0x0
	v_cmp_neq_f32_e32 vcc_lo, 0, v0
	v_cmp_neq_f32_e64 s1, 0, v1
	s_or_b32 s1, vcc_lo, s1
	s_delay_alu instid0(SALU_CYCLE_1)
	s_and_b32 exec_lo, exec_lo, s1
	s_cbranch_execz .LBB117_80
; %bb.75:
	v_cmp_ngt_f32_e64 s1, |v0|, |v1|
                                        ; implicit-def: $vgpr2_vgpr3
	s_and_saveexec_b32 s4, s1
	s_delay_alu instid0(SALU_CYCLE_1)
	s_xor_b32 s1, exec_lo, s4
	s_cbranch_execz .LBB117_77
; %bb.76:
	v_div_scale_f32 v2, null, v1, v1, v0
	v_div_scale_f32 v5, vcc_lo, v0, v1, v0
	s_delay_alu instid0(VALU_DEP_2) | instskip(SKIP_1) | instid1(TRANS32_DEP_1)
	v_rcp_f32_e32 v3, v2
	v_nop
	v_fma_f32 v4, -v2, v3, 1.0
	s_delay_alu instid0(VALU_DEP_1) | instskip(NEXT) | instid1(VALU_DEP_1)
	v_fmac_f32_e32 v3, v4, v3
	v_mul_f32_e32 v4, v5, v3
	s_delay_alu instid0(VALU_DEP_1) | instskip(NEXT) | instid1(VALU_DEP_1)
	v_fma_f32 v6, -v2, v4, v5
	v_fmac_f32_e32 v4, v6, v3
	s_delay_alu instid0(VALU_DEP_1) | instskip(NEXT) | instid1(VALU_DEP_1)
	v_fma_f32 v2, -v2, v4, v5
	v_div_fmas_f32 v2, v2, v3, v4
	s_delay_alu instid0(VALU_DEP_1) | instskip(NEXT) | instid1(VALU_DEP_1)
	v_div_fixup_f32 v2, v2, v1, v0
	v_fmac_f32_e32 v1, v0, v2
	s_delay_alu instid0(VALU_DEP_1) | instskip(SKIP_1) | instid1(VALU_DEP_2)
	v_div_scale_f32 v0, null, v1, v1, 1.0
	v_div_scale_f32 v5, vcc_lo, 1.0, v1, 1.0
	v_rcp_f32_e32 v3, v0
	v_nop
	s_delay_alu instid0(TRANS32_DEP_1) | instskip(NEXT) | instid1(VALU_DEP_1)
	v_fma_f32 v4, -v0, v3, 1.0
	v_fmac_f32_e32 v3, v4, v3
	s_delay_alu instid0(VALU_DEP_1) | instskip(NEXT) | instid1(VALU_DEP_1)
	v_mul_f32_e32 v4, v5, v3
	v_fma_f32 v6, -v0, v4, v5
	s_delay_alu instid0(VALU_DEP_1) | instskip(NEXT) | instid1(VALU_DEP_1)
	v_fmac_f32_e32 v4, v6, v3
	v_fma_f32 v0, -v0, v4, v5
	s_delay_alu instid0(VALU_DEP_1) | instskip(NEXT) | instid1(VALU_DEP_1)
	v_div_fmas_f32 v0, v0, v3, v4
	v_div_fixup_f32 v0, v0, v1, 1.0
	s_delay_alu instid0(VALU_DEP_1)
	v_mul_f32_e32 v2, v2, v0
	v_xor_b32_e32 v3, 0x80000000, v0
                                        ; implicit-def: $vgpr0_vgpr1
.LBB117_77:
	s_and_not1_saveexec_b32 s1, s1
	s_cbranch_execz .LBB117_79
; %bb.78:
	v_div_scale_f32 v2, null, v0, v0, v1
	v_div_scale_f32 v5, vcc_lo, v1, v0, v1
	s_delay_alu instid0(VALU_DEP_2) | instskip(SKIP_1) | instid1(TRANS32_DEP_1)
	v_rcp_f32_e32 v3, v2
	v_nop
	v_fma_f32 v4, -v2, v3, 1.0
	s_delay_alu instid0(VALU_DEP_1) | instskip(NEXT) | instid1(VALU_DEP_1)
	v_fmac_f32_e32 v3, v4, v3
	v_mul_f32_e32 v4, v5, v3
	s_delay_alu instid0(VALU_DEP_1) | instskip(NEXT) | instid1(VALU_DEP_1)
	v_fma_f32 v6, -v2, v4, v5
	v_fmac_f32_e32 v4, v6, v3
	s_delay_alu instid0(VALU_DEP_1) | instskip(NEXT) | instid1(VALU_DEP_1)
	v_fma_f32 v2, -v2, v4, v5
	v_div_fmas_f32 v2, v2, v3, v4
	s_delay_alu instid0(VALU_DEP_1) | instskip(NEXT) | instid1(VALU_DEP_1)
	v_div_fixup_f32 v3, v2, v0, v1
	v_fmac_f32_e32 v0, v1, v3
	s_delay_alu instid0(VALU_DEP_1) | instskip(NEXT) | instid1(VALU_DEP_1)
	v_div_scale_f32 v1, null, v0, v0, 1.0
	v_rcp_f32_e32 v2, v1
	v_nop
	s_delay_alu instid0(TRANS32_DEP_1) | instskip(NEXT) | instid1(VALU_DEP_1)
	v_fma_f32 v4, -v1, v2, 1.0
	v_fmac_f32_e32 v2, v4, v2
	v_div_scale_f32 v4, vcc_lo, 1.0, v0, 1.0
	s_delay_alu instid0(VALU_DEP_1) | instskip(NEXT) | instid1(VALU_DEP_1)
	v_mul_f32_e32 v5, v4, v2
	v_fma_f32 v6, -v1, v5, v4
	s_delay_alu instid0(VALU_DEP_1) | instskip(NEXT) | instid1(VALU_DEP_1)
	v_fmac_f32_e32 v5, v6, v2
	v_fma_f32 v1, -v1, v5, v4
	s_delay_alu instid0(VALU_DEP_1) | instskip(NEXT) | instid1(VALU_DEP_1)
	v_div_fmas_f32 v1, v1, v2, v5
	v_div_fixup_f32 v2, v1, v0, 1.0
	s_delay_alu instid0(VALU_DEP_1)
	v_mul_f32_e64 v3, v3, -v2
.LBB117_79:
	s_or_b32 exec_lo, exec_lo, s1
	ds_store_b64 v201, v[2:3]
.LBB117_80:
	s_or_b32 exec_lo, exec_lo, s2
	s_wait_dscnt 0x0
	s_barrier_signal -1
	s_barrier_wait -1
	ds_load_b64 v[0:1], v201
	s_mov_b32 s1, exec_lo
	s_wait_dscnt 0x0
	scratch_store_b64 off, v[0:1], off offset:432 ; 8-byte Folded Spill
	s_wait_xcnt 0x0
	v_cmpx_lt_u32_e32 8, v200
	s_cbranch_execz .LBB117_82
; %bb.81:
	scratch_load_b64 v[4:5], off, off offset:432 ; 8-byte Folded Reload
	s_wait_loadcnt 0x0
	v_pk_mul_f32 v[2:3], v[4:5], v[40:41] op_sel:[1,1] op_sel_hi:[0,1]
	s_delay_alu instid0(VALU_DEP_1)
	v_pk_fma_f32 v[0:1], v[4:5], v[40:41], v[2:3] op_sel_hi:[1,0,1] neg_lo:[0,0,1] neg_hi:[0,0,1]
	v_pk_fma_f32 v[2:3], v[4:5], v[40:41], v[2:3] op_sel_hi:[1,0,1]
	ds_load_2addr_b64 v[4:7], v202 offset0:9 offset1:10
	v_dual_mov_b32 v40, v0 :: v_dual_mov_b32 v41, v3
	s_wait_dscnt 0x0
	v_pk_mul_f32 v[8:9], v[4:5], v[2:3] op_sel:[0,1]
	s_delay_alu instid0(VALU_DEP_1) | instskip(SKIP_1) | instid1(VALU_DEP_1)
	v_pk_fma_f32 v[10:11], v[4:5], v[0:1], v[8:9] op_sel:[0,0,1] op_sel_hi:[1,1,0] neg_lo:[0,0,1] neg_hi:[0,0,1]
	v_pk_fma_f32 v[4:5], v[4:5], v[0:1], v[8:9] op_sel:[0,0,1] op_sel_hi:[1,0,0]
	v_mov_b32_e32 v11, v5
	v_pk_mul_f32 v[4:5], v[6:7], v[2:3] op_sel:[0,1]
	s_delay_alu instid0(VALU_DEP_1) | instskip(SKIP_1) | instid1(VALU_DEP_1)
	v_pk_fma_f32 v[8:9], v[6:7], v[0:1], v[4:5] op_sel:[0,0,1] op_sel_hi:[1,1,0] neg_lo:[0,0,1] neg_hi:[0,0,1]
	v_pk_fma_f32 v[4:5], v[6:7], v[0:1], v[4:5] op_sel:[0,0,1] op_sel_hi:[1,0,0]
	v_mov_b32_e32 v9, v5
	ds_load_2addr_b64 v[4:7], v202 offset0:11 offset1:12
	v_pk_add_f32 v[36:37], v[36:37], v[10:11] neg_lo:[0,1] neg_hi:[0,1]
	v_pk_add_f32 v[38:39], v[38:39], v[8:9] neg_lo:[0,1] neg_hi:[0,1]
	s_wait_dscnt 0x0
	v_pk_mul_f32 v[8:9], v[4:5], v[2:3] op_sel:[0,1]
	s_delay_alu instid0(VALU_DEP_1) | instskip(SKIP_2) | instid1(VALU_DEP_2)
	v_pk_fma_f32 v[10:11], v[4:5], v[0:1], v[8:9] op_sel:[0,0,1] op_sel_hi:[1,1,0] neg_lo:[0,0,1] neg_hi:[0,0,1]
	v_pk_fma_f32 v[4:5], v[4:5], v[0:1], v[8:9] op_sel:[0,0,1] op_sel_hi:[1,0,0]
	v_dual_mul_f32 v8, v7, v3 :: v_dual_mov_b32 v4, v7
	v_dual_mov_b32 v11, v5 :: v_dual_mov_b32 v5, v6
	s_delay_alu instid0(VALU_DEP_2) | instskip(SKIP_1) | instid1(VALU_DEP_3)
	v_pk_fma_f32 v[8:9], v[6:7], v[40:41], v[8:9] op_sel_hi:[1,1,0] neg_lo:[0,0,1] neg_hi:[0,0,1]
	v_mul_f32_e32 v6, v7, v0
	v_pk_add_f32 v[34:35], v[34:35], v[10:11] neg_lo:[0,1] neg_hi:[0,1]
	s_delay_alu instid0(VALU_DEP_2) | instskip(NEXT) | instid1(VALU_DEP_1)
	v_pk_fma_f32 v[4:5], v[4:5], v[40:41], v[6:7] op_sel_hi:[1,1,0]
	v_mov_b32_e32 v9, v5
	ds_load_2addr_b64 v[4:7], v202 offset0:13 offset1:14
	v_pk_add_f32 v[66:67], v[66:67], v[8:9] neg_lo:[0,1] neg_hi:[0,1]
	s_wait_dscnt 0x0
	v_pk_mul_f32 v[8:9], v[4:5], v[2:3] op_sel:[0,1]
	s_delay_alu instid0(VALU_DEP_1) | instskip(SKIP_1) | instid1(VALU_DEP_1)
	v_pk_fma_f32 v[10:11], v[4:5], v[0:1], v[8:9] op_sel:[0,0,1] op_sel_hi:[1,1,0] neg_lo:[0,0,1] neg_hi:[0,0,1]
	v_pk_fma_f32 v[4:5], v[4:5], v[0:1], v[8:9] op_sel:[0,0,1] op_sel_hi:[1,0,0]
	v_mov_b32_e32 v11, v5
	v_pk_mul_f32 v[4:5], v[6:7], v[2:3] op_sel:[0,1]
	s_delay_alu instid0(VALU_DEP_1) | instskip(SKIP_1) | instid1(VALU_DEP_1)
	v_pk_fma_f32 v[8:9], v[6:7], v[0:1], v[4:5] op_sel:[0,0,1] op_sel_hi:[1,1,0] neg_lo:[0,0,1] neg_hi:[0,0,1]
	v_pk_fma_f32 v[4:5], v[6:7], v[0:1], v[4:5] op_sel:[0,0,1] op_sel_hi:[1,0,0]
	v_mov_b32_e32 v9, v5
	ds_load_2addr_b64 v[4:7], v202 offset0:15 offset1:16
	v_pk_add_f32 v[62:63], v[62:63], v[10:11] neg_lo:[0,1] neg_hi:[0,1]
	v_pk_add_f32 v[64:65], v[64:65], v[8:9] neg_lo:[0,1] neg_hi:[0,1]
	s_wait_dscnt 0x0
	v_pk_mul_f32 v[8:9], v[4:5], v[2:3] op_sel:[0,1]
	s_delay_alu instid0(VALU_DEP_1) | instskip(SKIP_1) | instid1(VALU_DEP_1)
	v_pk_fma_f32 v[10:11], v[4:5], v[0:1], v[8:9] op_sel:[0,0,1] op_sel_hi:[1,1,0] neg_lo:[0,0,1] neg_hi:[0,0,1]
	v_pk_fma_f32 v[4:5], v[4:5], v[0:1], v[8:9] op_sel:[0,0,1] op_sel_hi:[1,0,0]
	v_mov_b32_e32 v11, v5
	v_pk_mul_f32 v[4:5], v[6:7], v[2:3] op_sel:[0,1]
	s_delay_alu instid0(VALU_DEP_1) | instskip(SKIP_1) | instid1(VALU_DEP_1)
	v_pk_fma_f32 v[8:9], v[6:7], v[0:1], v[4:5] op_sel:[0,0,1] op_sel_hi:[1,1,0] neg_lo:[0,0,1] neg_hi:[0,0,1]
	v_pk_fma_f32 v[4:5], v[6:7], v[0:1], v[4:5] op_sel:[0,0,1] op_sel_hi:[1,0,0]
	v_mov_b32_e32 v9, v5
	ds_load_2addr_b64 v[4:7], v202 offset0:17 offset1:18
	v_pk_add_f32 v[60:61], v[60:61], v[10:11] neg_lo:[0,1] neg_hi:[0,1]
	v_pk_add_f32 v[82:83], v[82:83], v[8:9] neg_lo:[0,1] neg_hi:[0,1]
	s_wait_dscnt 0x0
	v_dual_mul_f32 v8, v5, v3 :: v_dual_mul_f32 v10, v5, v0
	s_delay_alu instid0(VALU_DEP_1) | instskip(NEXT) | instid1(VALU_DEP_2)
	v_pk_fma_f32 v[8:9], v[4:5], v[40:41], v[8:9] op_sel_hi:[1,1,0] neg_lo:[0,0,1] neg_hi:[0,0,1]
	v_pk_fma_f32 v[4:5], v[4:5], v[40:41], v[10:11] op_sel:[1,0,0] op_sel_hi:[0,1,0]
	s_delay_alu instid0(VALU_DEP_1) | instskip(SKIP_1) | instid1(VALU_DEP_2)
	v_mov_b32_e32 v9, v5
	v_pk_mul_f32 v[4:5], v[6:7], v[2:3] op_sel:[0,1]
	v_pk_add_f32 v[78:79], v[78:79], v[8:9] neg_lo:[0,1] neg_hi:[0,1]
	s_delay_alu instid0(VALU_DEP_2) | instskip(SKIP_1) | instid1(VALU_DEP_1)
	v_pk_fma_f32 v[8:9], v[6:7], v[0:1], v[4:5] op_sel:[0,0,1] op_sel_hi:[1,1,0] neg_lo:[0,0,1] neg_hi:[0,0,1]
	v_pk_fma_f32 v[4:5], v[6:7], v[0:1], v[4:5] op_sel:[0,0,1] op_sel_hi:[1,0,0]
	v_mov_b32_e32 v9, v5
	ds_load_2addr_b64 v[4:7], v202 offset0:19 offset1:20
	v_pk_add_f32 v[80:81], v[80:81], v[8:9] neg_lo:[0,1] neg_hi:[0,1]
	s_wait_dscnt 0x0
	v_pk_mul_f32 v[8:9], v[4:5], v[2:3] op_sel:[0,1]
	s_delay_alu instid0(VALU_DEP_1) | instskip(SKIP_1) | instid1(VALU_DEP_1)
	v_pk_fma_f32 v[10:11], v[4:5], v[0:1], v[8:9] op_sel:[0,0,1] op_sel_hi:[1,1,0] neg_lo:[0,0,1] neg_hi:[0,0,1]
	v_pk_fma_f32 v[4:5], v[4:5], v[0:1], v[8:9] op_sel:[0,0,1] op_sel_hi:[1,0,0]
	v_mov_b32_e32 v11, v5
	v_pk_mul_f32 v[4:5], v[6:7], v[2:3] op_sel:[0,1]
	s_delay_alu instid0(VALU_DEP_2) | instskip(NEXT) | instid1(VALU_DEP_2)
	v_pk_add_f32 v[76:77], v[76:77], v[10:11] neg_lo:[0,1] neg_hi:[0,1]
	v_pk_fma_f32 v[8:9], v[6:7], v[0:1], v[4:5] op_sel:[0,0,1] op_sel_hi:[1,1,0] neg_lo:[0,0,1] neg_hi:[0,0,1]
	v_pk_fma_f32 v[4:5], v[6:7], v[0:1], v[4:5] op_sel:[0,0,1] op_sel_hi:[1,0,0]
	s_delay_alu instid0(VALU_DEP_1) | instskip(SKIP_4) | instid1(VALU_DEP_1)
	v_mov_b32_e32 v9, v5
	ds_load_2addr_b64 v[4:7], v202 offset0:21 offset1:22
	v_pk_add_f32 v[98:99], v[98:99], v[8:9] neg_lo:[0,1] neg_hi:[0,1]
	s_wait_dscnt 0x0
	v_pk_mul_f32 v[8:9], v[4:5], v[2:3] op_sel:[0,1]
	v_pk_fma_f32 v[10:11], v[4:5], v[0:1], v[8:9] op_sel:[0,0,1] op_sel_hi:[1,1,0] neg_lo:[0,0,1] neg_hi:[0,0,1]
	v_pk_fma_f32 v[4:5], v[4:5], v[0:1], v[8:9] op_sel:[0,0,1] op_sel_hi:[1,0,0]
	v_dual_mul_f32 v8, v7, v3 :: v_dual_mov_b32 v4, v7
	s_delay_alu instid0(VALU_DEP_2) | instskip(NEXT) | instid1(VALU_DEP_2)
	v_dual_mov_b32 v11, v5 :: v_dual_mov_b32 v5, v6
	v_pk_fma_f32 v[8:9], v[6:7], v[40:41], v[8:9] op_sel_hi:[1,1,0] neg_lo:[0,0,1] neg_hi:[0,0,1]
	v_mul_f32_e32 v6, v7, v0
	s_delay_alu instid0(VALU_DEP_3) | instskip(NEXT) | instid1(VALU_DEP_2)
	v_pk_add_f32 v[94:95], v[94:95], v[10:11] neg_lo:[0,1] neg_hi:[0,1]
	v_pk_fma_f32 v[4:5], v[4:5], v[40:41], v[6:7] op_sel_hi:[1,1,0]
	s_delay_alu instid0(VALU_DEP_1) | instskip(SKIP_4) | instid1(VALU_DEP_1)
	v_mov_b32_e32 v9, v5
	ds_load_2addr_b64 v[4:7], v202 offset0:23 offset1:24
	v_pk_add_f32 v[96:97], v[96:97], v[8:9] neg_lo:[0,1] neg_hi:[0,1]
	s_wait_dscnt 0x0
	v_pk_mul_f32 v[8:9], v[4:5], v[2:3] op_sel:[0,1]
	v_pk_fma_f32 v[10:11], v[4:5], v[0:1], v[8:9] op_sel:[0,0,1] op_sel_hi:[1,1,0] neg_lo:[0,0,1] neg_hi:[0,0,1]
	v_pk_fma_f32 v[4:5], v[4:5], v[0:1], v[8:9] op_sel:[0,0,1] op_sel_hi:[1,0,0]
	s_delay_alu instid0(VALU_DEP_1) | instskip(SKIP_1) | instid1(VALU_DEP_1)
	v_mov_b32_e32 v11, v5
	v_pk_mul_f32 v[4:5], v[6:7], v[2:3] op_sel:[0,1]
	v_pk_fma_f32 v[8:9], v[6:7], v[0:1], v[4:5] op_sel:[0,0,1] op_sel_hi:[1,1,0] neg_lo:[0,0,1] neg_hi:[0,0,1]
	v_pk_fma_f32 v[4:5], v[6:7], v[0:1], v[4:5] op_sel:[0,0,1] op_sel_hi:[1,0,0]
	s_delay_alu instid0(VALU_DEP_1)
	v_mov_b32_e32 v9, v5
	ds_load_2addr_b64 v[4:7], v202 offset0:25 offset1:26
	v_pk_add_f32 v[92:93], v[92:93], v[10:11] neg_lo:[0,1] neg_hi:[0,1]
	v_pk_add_f32 v[114:115], v[114:115], v[8:9] neg_lo:[0,1] neg_hi:[0,1]
	s_wait_dscnt 0x0
	v_pk_mul_f32 v[8:9], v[4:5], v[2:3] op_sel:[0,1]
	s_delay_alu instid0(VALU_DEP_1) | instskip(SKIP_1) | instid1(VALU_DEP_1)
	v_pk_fma_f32 v[10:11], v[4:5], v[0:1], v[8:9] op_sel:[0,0,1] op_sel_hi:[1,1,0] neg_lo:[0,0,1] neg_hi:[0,0,1]
	v_pk_fma_f32 v[4:5], v[4:5], v[0:1], v[8:9] op_sel:[0,0,1] op_sel_hi:[1,0,0]
	v_mov_b32_e32 v11, v5
	v_pk_mul_f32 v[4:5], v[6:7], v[2:3] op_sel:[0,1]
	s_delay_alu instid0(VALU_DEP_1) | instskip(SKIP_1) | instid1(VALU_DEP_1)
	v_pk_fma_f32 v[8:9], v[6:7], v[0:1], v[4:5] op_sel:[0,0,1] op_sel_hi:[1,1,0] neg_lo:[0,0,1] neg_hi:[0,0,1]
	v_pk_fma_f32 v[4:5], v[6:7], v[0:1], v[4:5] op_sel:[0,0,1] op_sel_hi:[1,0,0]
	v_mov_b32_e32 v9, v5
	ds_load_2addr_b64 v[4:7], v202 offset0:27 offset1:28
	v_pk_add_f32 v[110:111], v[110:111], v[10:11] neg_lo:[0,1] neg_hi:[0,1]
	v_pk_add_f32 v[112:113], v[112:113], v[8:9] neg_lo:[0,1] neg_hi:[0,1]
	s_wait_dscnt 0x0
	v_dual_mul_f32 v8, v5, v3 :: v_dual_mul_f32 v10, v5, v0
	s_delay_alu instid0(VALU_DEP_1) | instskip(NEXT) | instid1(VALU_DEP_2)
	v_pk_fma_f32 v[8:9], v[4:5], v[40:41], v[8:9] op_sel_hi:[1,1,0] neg_lo:[0,0,1] neg_hi:[0,0,1]
	v_pk_fma_f32 v[4:5], v[4:5], v[40:41], v[10:11] op_sel:[1,0,0] op_sel_hi:[0,1,0]
	s_delay_alu instid0(VALU_DEP_1) | instskip(SKIP_1) | instid1(VALU_DEP_2)
	v_mov_b32_e32 v9, v5
	v_pk_mul_f32 v[4:5], v[6:7], v[2:3] op_sel:[0,1]
	v_pk_add_f32 v[108:109], v[108:109], v[8:9] neg_lo:[0,1] neg_hi:[0,1]
	s_delay_alu instid0(VALU_DEP_2) | instskip(SKIP_1) | instid1(VALU_DEP_1)
	v_pk_fma_f32 v[8:9], v[6:7], v[0:1], v[4:5] op_sel:[0,0,1] op_sel_hi:[1,1,0] neg_lo:[0,0,1] neg_hi:[0,0,1]
	v_pk_fma_f32 v[4:5], v[6:7], v[0:1], v[4:5] op_sel:[0,0,1] op_sel_hi:[1,0,0]
	v_mov_b32_e32 v9, v5
	ds_load_2addr_b64 v[4:7], v202 offset0:29 offset1:30
	v_pk_add_f32 v[130:131], v[130:131], v[8:9] neg_lo:[0,1] neg_hi:[0,1]
	s_wait_dscnt 0x0
	v_pk_mul_f32 v[8:9], v[4:5], v[2:3] op_sel:[0,1]
	s_delay_alu instid0(VALU_DEP_1) | instskip(SKIP_1) | instid1(VALU_DEP_1)
	v_pk_fma_f32 v[10:11], v[4:5], v[0:1], v[8:9] op_sel:[0,0,1] op_sel_hi:[1,1,0] neg_lo:[0,0,1] neg_hi:[0,0,1]
	v_pk_fma_f32 v[4:5], v[4:5], v[0:1], v[8:9] op_sel:[0,0,1] op_sel_hi:[1,0,0]
	v_mov_b32_e32 v11, v5
	v_pk_mul_f32 v[4:5], v[6:7], v[2:3] op_sel:[0,1]
	s_delay_alu instid0(VALU_DEP_2) | instskip(NEXT) | instid1(VALU_DEP_2)
	v_pk_add_f32 v[126:127], v[126:127], v[10:11] neg_lo:[0,1] neg_hi:[0,1]
	v_pk_fma_f32 v[8:9], v[6:7], v[0:1], v[4:5] op_sel:[0,0,1] op_sel_hi:[1,1,0] neg_lo:[0,0,1] neg_hi:[0,0,1]
	v_pk_fma_f32 v[4:5], v[6:7], v[0:1], v[4:5] op_sel:[0,0,1] op_sel_hi:[1,0,0]
	s_delay_alu instid0(VALU_DEP_1) | instskip(SKIP_4) | instid1(VALU_DEP_1)
	v_mov_b32_e32 v9, v5
	ds_load_2addr_b64 v[4:7], v202 offset0:31 offset1:32
	v_pk_add_f32 v[128:129], v[128:129], v[8:9] neg_lo:[0,1] neg_hi:[0,1]
	s_wait_dscnt 0x0
	v_pk_mul_f32 v[8:9], v[4:5], v[2:3] op_sel:[0,1]
	v_pk_fma_f32 v[10:11], v[4:5], v[0:1], v[8:9] op_sel:[0,0,1] op_sel_hi:[1,1,0] neg_lo:[0,0,1] neg_hi:[0,0,1]
	v_pk_fma_f32 v[4:5], v[4:5], v[0:1], v[8:9] op_sel:[0,0,1] op_sel_hi:[1,0,0]
	v_dual_mul_f32 v8, v7, v3 :: v_dual_mov_b32 v4, v7
	s_delay_alu instid0(VALU_DEP_2) | instskip(NEXT) | instid1(VALU_DEP_2)
	v_dual_mov_b32 v11, v5 :: v_dual_mov_b32 v5, v6
	v_pk_fma_f32 v[8:9], v[6:7], v[40:41], v[8:9] op_sel_hi:[1,1,0] neg_lo:[0,0,1] neg_hi:[0,0,1]
	v_mul_f32_e32 v6, v7, v0
	s_delay_alu instid0(VALU_DEP_3) | instskip(NEXT) | instid1(VALU_DEP_2)
	v_pk_add_f32 v[124:125], v[124:125], v[10:11] neg_lo:[0,1] neg_hi:[0,1]
	v_pk_fma_f32 v[4:5], v[4:5], v[40:41], v[6:7] op_sel_hi:[1,1,0]
	s_delay_alu instid0(VALU_DEP_1) | instskip(SKIP_4) | instid1(VALU_DEP_1)
	v_mov_b32_e32 v9, v5
	ds_load_2addr_b64 v[4:7], v202 offset0:33 offset1:34
	v_pk_add_f32 v[146:147], v[146:147], v[8:9] neg_lo:[0,1] neg_hi:[0,1]
	s_wait_dscnt 0x0
	v_pk_mul_f32 v[8:9], v[4:5], v[2:3] op_sel:[0,1]
	v_pk_fma_f32 v[10:11], v[4:5], v[0:1], v[8:9] op_sel:[0,0,1] op_sel_hi:[1,1,0] neg_lo:[0,0,1] neg_hi:[0,0,1]
	v_pk_fma_f32 v[4:5], v[4:5], v[0:1], v[8:9] op_sel:[0,0,1] op_sel_hi:[1,0,0]
	s_delay_alu instid0(VALU_DEP_1) | instskip(SKIP_1) | instid1(VALU_DEP_1)
	v_mov_b32_e32 v11, v5
	v_pk_mul_f32 v[4:5], v[6:7], v[2:3] op_sel:[0,1]
	v_pk_fma_f32 v[8:9], v[6:7], v[0:1], v[4:5] op_sel:[0,0,1] op_sel_hi:[1,1,0] neg_lo:[0,0,1] neg_hi:[0,0,1]
	v_pk_fma_f32 v[4:5], v[6:7], v[0:1], v[4:5] op_sel:[0,0,1] op_sel_hi:[1,0,0]
	s_delay_alu instid0(VALU_DEP_1)
	v_mov_b32_e32 v9, v5
	ds_load_2addr_b64 v[4:7], v202 offset0:35 offset1:36
	v_pk_add_f32 v[142:143], v[142:143], v[10:11] neg_lo:[0,1] neg_hi:[0,1]
	v_pk_add_f32 v[144:145], v[144:145], v[8:9] neg_lo:[0,1] neg_hi:[0,1]
	s_wait_dscnt 0x0
	v_pk_mul_f32 v[8:9], v[4:5], v[2:3] op_sel:[0,1]
	s_delay_alu instid0(VALU_DEP_1) | instskip(SKIP_1) | instid1(VALU_DEP_1)
	v_pk_fma_f32 v[10:11], v[4:5], v[0:1], v[8:9] op_sel:[0,0,1] op_sel_hi:[1,1,0] neg_lo:[0,0,1] neg_hi:[0,0,1]
	v_pk_fma_f32 v[4:5], v[4:5], v[0:1], v[8:9] op_sel:[0,0,1] op_sel_hi:[1,0,0]
	v_mov_b32_e32 v11, v5
	v_pk_mul_f32 v[4:5], v[6:7], v[2:3] op_sel:[0,1]
	s_delay_alu instid0(VALU_DEP_1) | instskip(SKIP_1) | instid1(VALU_DEP_1)
	v_pk_fma_f32 v[8:9], v[6:7], v[0:1], v[4:5] op_sel:[0,0,1] op_sel_hi:[1,1,0] neg_lo:[0,0,1] neg_hi:[0,0,1]
	v_pk_fma_f32 v[4:5], v[6:7], v[0:1], v[4:5] op_sel:[0,0,1] op_sel_hi:[1,0,0]
	v_mov_b32_e32 v9, v5
	ds_load_2addr_b64 v[4:7], v202 offset0:37 offset1:38
	v_pk_add_f32 v[140:141], v[140:141], v[10:11] neg_lo:[0,1] neg_hi:[0,1]
	v_pk_add_f32 v[162:163], v[162:163], v[8:9] neg_lo:[0,1] neg_hi:[0,1]
	s_wait_dscnt 0x0
	v_dual_mul_f32 v8, v5, v3 :: v_dual_mul_f32 v10, v5, v0
	s_delay_alu instid0(VALU_DEP_1) | instskip(NEXT) | instid1(VALU_DEP_2)
	v_pk_fma_f32 v[8:9], v[4:5], v[40:41], v[8:9] op_sel_hi:[1,1,0] neg_lo:[0,0,1] neg_hi:[0,0,1]
	v_pk_fma_f32 v[4:5], v[4:5], v[40:41], v[10:11] op_sel:[1,0,0] op_sel_hi:[0,1,0]
	s_delay_alu instid0(VALU_DEP_1) | instskip(SKIP_1) | instid1(VALU_DEP_2)
	v_mov_b32_e32 v9, v5
	v_pk_mul_f32 v[4:5], v[6:7], v[2:3] op_sel:[0,1]
	v_pk_add_f32 v[158:159], v[158:159], v[8:9] neg_lo:[0,1] neg_hi:[0,1]
	s_delay_alu instid0(VALU_DEP_2) | instskip(SKIP_1) | instid1(VALU_DEP_1)
	v_pk_fma_f32 v[8:9], v[6:7], v[0:1], v[4:5] op_sel:[0,0,1] op_sel_hi:[1,1,0] neg_lo:[0,0,1] neg_hi:[0,0,1]
	v_pk_fma_f32 v[4:5], v[6:7], v[0:1], v[4:5] op_sel:[0,0,1] op_sel_hi:[1,0,0]
	v_mov_b32_e32 v9, v5
	ds_load_2addr_b64 v[4:7], v202 offset0:39 offset1:40
	v_pk_add_f32 v[160:161], v[160:161], v[8:9] neg_lo:[0,1] neg_hi:[0,1]
	s_wait_dscnt 0x0
	v_pk_mul_f32 v[8:9], v[4:5], v[2:3] op_sel:[0,1]
	s_delay_alu instid0(VALU_DEP_1) | instskip(SKIP_1) | instid1(VALU_DEP_1)
	v_pk_fma_f32 v[10:11], v[4:5], v[0:1], v[8:9] op_sel:[0,0,1] op_sel_hi:[1,1,0] neg_lo:[0,0,1] neg_hi:[0,0,1]
	v_pk_fma_f32 v[4:5], v[4:5], v[0:1], v[8:9] op_sel:[0,0,1] op_sel_hi:[1,0,0]
	v_mov_b32_e32 v11, v5
	v_pk_mul_f32 v[4:5], v[6:7], v[2:3] op_sel:[0,1]
	s_delay_alu instid0(VALU_DEP_2) | instskip(NEXT) | instid1(VALU_DEP_2)
	v_pk_add_f32 v[156:157], v[156:157], v[10:11] neg_lo:[0,1] neg_hi:[0,1]
	v_pk_fma_f32 v[8:9], v[6:7], v[0:1], v[4:5] op_sel:[0,0,1] op_sel_hi:[1,1,0] neg_lo:[0,0,1] neg_hi:[0,0,1]
	v_pk_fma_f32 v[4:5], v[6:7], v[0:1], v[4:5] op_sel:[0,0,1] op_sel_hi:[1,0,0]
	s_delay_alu instid0(VALU_DEP_1) | instskip(SKIP_4) | instid1(VALU_DEP_1)
	v_mov_b32_e32 v9, v5
	ds_load_2addr_b64 v[4:7], v202 offset0:41 offset1:42
	v_pk_add_f32 v[178:179], v[178:179], v[8:9] neg_lo:[0,1] neg_hi:[0,1]
	s_wait_dscnt 0x0
	v_pk_mul_f32 v[8:9], v[4:5], v[2:3] op_sel:[0,1]
	v_pk_fma_f32 v[10:11], v[4:5], v[0:1], v[8:9] op_sel:[0,0,1] op_sel_hi:[1,1,0] neg_lo:[0,0,1] neg_hi:[0,0,1]
	v_pk_fma_f32 v[4:5], v[4:5], v[0:1], v[8:9] op_sel:[0,0,1] op_sel_hi:[1,0,0]
	v_dual_mul_f32 v8, v7, v3 :: v_dual_mov_b32 v4, v7
	s_delay_alu instid0(VALU_DEP_2) | instskip(NEXT) | instid1(VALU_DEP_2)
	v_dual_mov_b32 v11, v5 :: v_dual_mov_b32 v5, v6
	v_pk_fma_f32 v[8:9], v[6:7], v[40:41], v[8:9] op_sel_hi:[1,1,0] neg_lo:[0,0,1] neg_hi:[0,0,1]
	v_mul_f32_e32 v6, v7, v0
	s_delay_alu instid0(VALU_DEP_3) | instskip(NEXT) | instid1(VALU_DEP_2)
	v_pk_add_f32 v[174:175], v[174:175], v[10:11] neg_lo:[0,1] neg_hi:[0,1]
	v_pk_fma_f32 v[4:5], v[4:5], v[40:41], v[6:7] op_sel_hi:[1,1,0]
	s_delay_alu instid0(VALU_DEP_1) | instskip(SKIP_4) | instid1(VALU_DEP_1)
	v_mov_b32_e32 v9, v5
	ds_load_2addr_b64 v[4:7], v202 offset0:43 offset1:44
	v_pk_add_f32 v[176:177], v[176:177], v[8:9] neg_lo:[0,1] neg_hi:[0,1]
	s_wait_dscnt 0x0
	v_pk_mul_f32 v[8:9], v[4:5], v[2:3] op_sel:[0,1]
	v_pk_fma_f32 v[10:11], v[4:5], v[0:1], v[8:9] op_sel:[0,0,1] op_sel_hi:[1,1,0] neg_lo:[0,0,1] neg_hi:[0,0,1]
	v_pk_fma_f32 v[4:5], v[4:5], v[0:1], v[8:9] op_sel:[0,0,1] op_sel_hi:[1,0,0]
	s_delay_alu instid0(VALU_DEP_1) | instskip(SKIP_1) | instid1(VALU_DEP_1)
	v_mov_b32_e32 v11, v5
	v_pk_mul_f32 v[4:5], v[6:7], v[2:3] op_sel:[0,1]
	v_pk_fma_f32 v[8:9], v[6:7], v[0:1], v[4:5] op_sel:[0,0,1] op_sel_hi:[1,1,0] neg_lo:[0,0,1] neg_hi:[0,0,1]
	v_pk_fma_f32 v[4:5], v[6:7], v[0:1], v[4:5] op_sel:[0,0,1] op_sel_hi:[1,0,0]
	s_delay_alu instid0(VALU_DEP_1)
	v_mov_b32_e32 v9, v5
	ds_load_2addr_b64 v[4:7], v202 offset0:45 offset1:46
	v_pk_add_f32 v[172:173], v[172:173], v[10:11] neg_lo:[0,1] neg_hi:[0,1]
	v_pk_add_f32 v[194:195], v[194:195], v[8:9] neg_lo:[0,1] neg_hi:[0,1]
	s_wait_dscnt 0x0
	v_pk_mul_f32 v[8:9], v[4:5], v[2:3] op_sel:[0,1]
	s_delay_alu instid0(VALU_DEP_1) | instskip(SKIP_1) | instid1(VALU_DEP_1)
	v_pk_fma_f32 v[10:11], v[4:5], v[0:1], v[8:9] op_sel:[0,0,1] op_sel_hi:[1,1,0] neg_lo:[0,0,1] neg_hi:[0,0,1]
	v_pk_fma_f32 v[4:5], v[4:5], v[0:1], v[8:9] op_sel:[0,0,1] op_sel_hi:[1,0,0]
	v_mov_b32_e32 v11, v5
	v_pk_mul_f32 v[4:5], v[6:7], v[2:3] op_sel:[0,1]
	s_delay_alu instid0(VALU_DEP_1) | instskip(SKIP_1) | instid1(VALU_DEP_1)
	v_pk_fma_f32 v[8:9], v[6:7], v[0:1], v[4:5] op_sel:[0,0,1] op_sel_hi:[1,1,0] neg_lo:[0,0,1] neg_hi:[0,0,1]
	v_pk_fma_f32 v[4:5], v[6:7], v[0:1], v[4:5] op_sel:[0,0,1] op_sel_hi:[1,0,0]
	v_mov_b32_e32 v9, v5
	ds_load_2addr_b64 v[4:7], v202 offset0:47 offset1:48
	v_pk_add_f32 v[190:191], v[190:191], v[10:11] neg_lo:[0,1] neg_hi:[0,1]
	v_pk_add_f32 v[192:193], v[192:193], v[8:9] neg_lo:[0,1] neg_hi:[0,1]
	s_wait_dscnt 0x0
	v_dual_mul_f32 v8, v5, v3 :: v_dual_mul_f32 v10, v5, v0
	s_delay_alu instid0(VALU_DEP_1) | instskip(NEXT) | instid1(VALU_DEP_2)
	v_pk_fma_f32 v[8:9], v[4:5], v[40:41], v[8:9] op_sel_hi:[1,1,0] neg_lo:[0,0,1] neg_hi:[0,0,1]
	v_pk_fma_f32 v[4:5], v[4:5], v[40:41], v[10:11] op_sel:[1,0,0] op_sel_hi:[0,1,0]
	s_delay_alu instid0(VALU_DEP_1) | instskip(SKIP_1) | instid1(VALU_DEP_2)
	v_mov_b32_e32 v9, v5
	v_pk_mul_f32 v[4:5], v[6:7], v[2:3] op_sel:[0,1]
	v_pk_add_f32 v[188:189], v[188:189], v[8:9] neg_lo:[0,1] neg_hi:[0,1]
	s_delay_alu instid0(VALU_DEP_2) | instskip(SKIP_1) | instid1(VALU_DEP_1)
	v_pk_fma_f32 v[8:9], v[6:7], v[0:1], v[4:5] op_sel:[0,0,1] op_sel_hi:[1,1,0] neg_lo:[0,0,1] neg_hi:[0,0,1]
	v_pk_fma_f32 v[4:5], v[6:7], v[0:1], v[4:5] op_sel:[0,0,1] op_sel_hi:[1,0,0]
	v_mov_b32_e32 v9, v5
	ds_load_2addr_b64 v[4:7], v202 offset0:49 offset1:50
	v_pk_add_f32 v[212:213], v[212:213], v[8:9] neg_lo:[0,1] neg_hi:[0,1]
	s_wait_dscnt 0x0
	v_pk_mul_f32 v[8:9], v[4:5], v[2:3] op_sel:[0,1]
	s_delay_alu instid0(VALU_DEP_1) | instskip(SKIP_1) | instid1(VALU_DEP_1)
	v_pk_fma_f32 v[10:11], v[4:5], v[0:1], v[8:9] op_sel:[0,0,1] op_sel_hi:[1,1,0] neg_lo:[0,0,1] neg_hi:[0,0,1]
	v_pk_fma_f32 v[4:5], v[4:5], v[0:1], v[8:9] op_sel:[0,0,1] op_sel_hi:[1,0,0]
	v_mov_b32_e32 v11, v5
	v_pk_mul_f32 v[4:5], v[6:7], v[2:3] op_sel:[0,1]
	s_delay_alu instid0(VALU_DEP_2) | instskip(NEXT) | instid1(VALU_DEP_2)
	v_pk_add_f32 v[208:209], v[208:209], v[10:11] neg_lo:[0,1] neg_hi:[0,1]
	v_pk_fma_f32 v[8:9], v[6:7], v[0:1], v[4:5] op_sel:[0,0,1] op_sel_hi:[1,1,0] neg_lo:[0,0,1] neg_hi:[0,0,1]
	v_pk_fma_f32 v[4:5], v[6:7], v[0:1], v[4:5] op_sel:[0,0,1] op_sel_hi:[1,0,0]
	s_delay_alu instid0(VALU_DEP_1) | instskip(SKIP_4) | instid1(VALU_DEP_1)
	v_mov_b32_e32 v9, v5
	ds_load_2addr_b64 v[4:7], v202 offset0:51 offset1:52
	v_pk_add_f32 v[210:211], v[210:211], v[8:9] neg_lo:[0,1] neg_hi:[0,1]
	s_wait_dscnt 0x0
	v_pk_mul_f32 v[8:9], v[4:5], v[2:3] op_sel:[0,1]
	v_pk_fma_f32 v[10:11], v[4:5], v[0:1], v[8:9] op_sel:[0,0,1] op_sel_hi:[1,1,0] neg_lo:[0,0,1] neg_hi:[0,0,1]
	v_pk_fma_f32 v[4:5], v[4:5], v[0:1], v[8:9] op_sel:[0,0,1] op_sel_hi:[1,0,0]
	v_dual_mul_f32 v8, v7, v3 :: v_dual_mov_b32 v4, v7
	s_delay_alu instid0(VALU_DEP_2) | instskip(NEXT) | instid1(VALU_DEP_2)
	v_dual_mov_b32 v11, v5 :: v_dual_mov_b32 v5, v6
	v_pk_fma_f32 v[8:9], v[6:7], v[40:41], v[8:9] op_sel_hi:[1,1,0] neg_lo:[0,0,1] neg_hi:[0,0,1]
	v_mul_f32_e32 v6, v7, v0
	s_delay_alu instid0(VALU_DEP_3) | instskip(NEXT) | instid1(VALU_DEP_2)
	v_pk_add_f32 v[206:207], v[206:207], v[10:11] neg_lo:[0,1] neg_hi:[0,1]
	v_pk_fma_f32 v[4:5], v[4:5], v[40:41], v[6:7] op_sel_hi:[1,1,0]
	s_delay_alu instid0(VALU_DEP_1) | instskip(SKIP_4) | instid1(VALU_DEP_1)
	v_mov_b32_e32 v9, v5
	ds_load_2addr_b64 v[4:7], v202 offset0:53 offset1:54
	v_pk_add_f32 v[232:233], v[232:233], v[8:9] neg_lo:[0,1] neg_hi:[0,1]
	s_wait_dscnt 0x0
	v_pk_mul_f32 v[8:9], v[4:5], v[2:3] op_sel:[0,1]
	v_pk_fma_f32 v[10:11], v[4:5], v[0:1], v[8:9] op_sel:[0,0,1] op_sel_hi:[1,1,0] neg_lo:[0,0,1] neg_hi:[0,0,1]
	v_pk_fma_f32 v[4:5], v[4:5], v[0:1], v[8:9] op_sel:[0,0,1] op_sel_hi:[1,0,0]
	s_delay_alu instid0(VALU_DEP_1) | instskip(SKIP_1) | instid1(VALU_DEP_1)
	v_mov_b32_e32 v11, v5
	v_pk_mul_f32 v[4:5], v[6:7], v[2:3] op_sel:[0,1]
	v_pk_fma_f32 v[8:9], v[6:7], v[0:1], v[4:5] op_sel:[0,0,1] op_sel_hi:[1,1,0] neg_lo:[0,0,1] neg_hi:[0,0,1]
	v_pk_fma_f32 v[4:5], v[6:7], v[0:1], v[4:5] op_sel:[0,0,1] op_sel_hi:[1,0,0]
	s_delay_alu instid0(VALU_DEP_1)
	v_mov_b32_e32 v9, v5
	ds_load_2addr_b64 v[4:7], v202 offset0:55 offset1:56
	v_pk_add_f32 v[226:227], v[226:227], v[10:11] neg_lo:[0,1] neg_hi:[0,1]
	v_pk_add_f32 v[230:231], v[230:231], v[8:9] neg_lo:[0,1] neg_hi:[0,1]
	s_wait_dscnt 0x0
	v_pk_mul_f32 v[8:9], v[4:5], v[2:3] op_sel:[0,1]
	s_delay_alu instid0(VALU_DEP_1) | instskip(SKIP_1) | instid1(VALU_DEP_1)
	v_pk_fma_f32 v[10:11], v[4:5], v[0:1], v[8:9] op_sel:[0,0,1] op_sel_hi:[1,1,0] neg_lo:[0,0,1] neg_hi:[0,0,1]
	v_pk_fma_f32 v[4:5], v[4:5], v[0:1], v[8:9] op_sel:[0,0,1] op_sel_hi:[1,0,0]
	v_mov_b32_e32 v11, v5
	v_pk_mul_f32 v[4:5], v[6:7], v[2:3] op_sel:[0,1]
	s_delay_alu instid0(VALU_DEP_1) | instskip(SKIP_1) | instid1(VALU_DEP_1)
	v_pk_fma_f32 v[8:9], v[6:7], v[0:1], v[4:5] op_sel:[0,0,1] op_sel_hi:[1,1,0] neg_lo:[0,0,1] neg_hi:[0,0,1]
	v_pk_fma_f32 v[4:5], v[6:7], v[0:1], v[4:5] op_sel:[0,0,1] op_sel_hi:[1,0,0]
	v_mov_b32_e32 v9, v5
	ds_load_2addr_b64 v[4:7], v202 offset0:57 offset1:58
	v_pk_add_f32 v[224:225], v[224:225], v[10:11] neg_lo:[0,1] neg_hi:[0,1]
	v_pk_add_f32 v[228:229], v[228:229], v[8:9] neg_lo:[0,1] neg_hi:[0,1]
	s_wait_dscnt 0x0
	v_dual_mul_f32 v8, v5, v3 :: v_dual_mul_f32 v10, v5, v0
	v_pk_mul_f32 v[2:3], v[6:7], v[2:3] op_sel:[0,1]
	s_delay_alu instid0(VALU_DEP_2) | instskip(NEXT) | instid1(VALU_DEP_3)
	v_pk_fma_f32 v[8:9], v[4:5], v[40:41], v[8:9] op_sel_hi:[1,1,0] neg_lo:[0,0,1] neg_hi:[0,0,1]
	v_pk_fma_f32 v[4:5], v[4:5], v[40:41], v[10:11] op_sel:[1,0,0] op_sel_hi:[0,1,0]
	s_delay_alu instid0(VALU_DEP_1) | instskip(NEXT) | instid1(VALU_DEP_4)
	v_mov_b32_e32 v9, v5
	v_pk_fma_f32 v[4:5], v[6:7], v[0:1], v[2:3] op_sel:[0,0,1] op_sel_hi:[1,1,0] neg_lo:[0,0,1] neg_hi:[0,0,1]
	v_pk_fma_f32 v[0:1], v[6:7], v[0:1], v[2:3] op_sel:[0,0,1] op_sel_hi:[1,0,0]
	s_delay_alu instid0(VALU_DEP_1) | instskip(NEXT) | instid1(VALU_DEP_4)
	v_mov_b32_e32 v5, v1
	v_pk_add_f32 v[234:235], v[234:235], v[8:9] neg_lo:[0,1] neg_hi:[0,1]
	s_delay_alu instid0(VALU_DEP_2)
	v_pk_add_f32 v[236:237], v[236:237], v[4:5] neg_lo:[0,1] neg_hi:[0,1]
.LBB117_82:
	s_wait_xcnt 0x0
	s_or_b32 exec_lo, exec_lo, s1
	s_delay_alu instid0(SALU_CYCLE_1)
	s_mov_b32 s2, exec_lo
	s_wait_storecnt 0x0
	s_barrier_signal -1
	s_barrier_wait -1
	v_cmpx_eq_u32_e32 9, v200
	s_cbranch_execz .LBB117_89
; %bb.83:
	v_dual_mov_b32 v0, v38 :: v_dual_mov_b32 v1, v39
	v_dual_mov_b32 v2, v34 :: v_dual_mov_b32 v3, v35
	ds_store_b64 v201, v[36:37]
	ds_store_2addr_b64 v202, v[0:1], v[2:3] offset0:10 offset1:11
	v_dual_mov_b32 v0, v66 :: v_dual_mov_b32 v1, v67
	v_dual_mov_b32 v2, v62 :: v_dual_mov_b32 v3, v63
	ds_store_2addr_b64 v202, v[0:1], v[2:3] offset0:12 offset1:13
	v_dual_mov_b32 v0, v64 :: v_dual_mov_b32 v1, v65
	v_dual_mov_b32 v2, v60 :: v_dual_mov_b32 v3, v61
	;; [unrolled: 3-line block ×23, first 2 shown]
	ds_store_2addr_b64 v202, v[0:1], v[2:3] offset0:56 offset1:57
	ds_store_b64 v202, v[236:237] offset:464
	ds_load_b64 v[0:1], v201
	s_wait_dscnt 0x0
	v_cmp_neq_f32_e32 vcc_lo, 0, v0
	v_cmp_neq_f32_e64 s1, 0, v1
	s_or_b32 s1, vcc_lo, s1
	s_delay_alu instid0(SALU_CYCLE_1)
	s_and_b32 exec_lo, exec_lo, s1
	s_cbranch_execz .LBB117_89
; %bb.84:
	v_cmp_ngt_f32_e64 s1, |v0|, |v1|
                                        ; implicit-def: $vgpr2_vgpr3
	s_and_saveexec_b32 s4, s1
	s_delay_alu instid0(SALU_CYCLE_1)
	s_xor_b32 s1, exec_lo, s4
	s_cbranch_execz .LBB117_86
; %bb.85:
	v_div_scale_f32 v2, null, v1, v1, v0
	v_div_scale_f32 v5, vcc_lo, v0, v1, v0
	s_delay_alu instid0(VALU_DEP_2) | instskip(SKIP_1) | instid1(TRANS32_DEP_1)
	v_rcp_f32_e32 v3, v2
	v_nop
	v_fma_f32 v4, -v2, v3, 1.0
	s_delay_alu instid0(VALU_DEP_1) | instskip(NEXT) | instid1(VALU_DEP_1)
	v_fmac_f32_e32 v3, v4, v3
	v_mul_f32_e32 v4, v5, v3
	s_delay_alu instid0(VALU_DEP_1) | instskip(NEXT) | instid1(VALU_DEP_1)
	v_fma_f32 v6, -v2, v4, v5
	v_fmac_f32_e32 v4, v6, v3
	s_delay_alu instid0(VALU_DEP_1) | instskip(NEXT) | instid1(VALU_DEP_1)
	v_fma_f32 v2, -v2, v4, v5
	v_div_fmas_f32 v2, v2, v3, v4
	s_delay_alu instid0(VALU_DEP_1) | instskip(NEXT) | instid1(VALU_DEP_1)
	v_div_fixup_f32 v2, v2, v1, v0
	v_fmac_f32_e32 v1, v0, v2
	s_delay_alu instid0(VALU_DEP_1) | instskip(SKIP_1) | instid1(VALU_DEP_2)
	v_div_scale_f32 v0, null, v1, v1, 1.0
	v_div_scale_f32 v5, vcc_lo, 1.0, v1, 1.0
	v_rcp_f32_e32 v3, v0
	v_nop
	s_delay_alu instid0(TRANS32_DEP_1) | instskip(NEXT) | instid1(VALU_DEP_1)
	v_fma_f32 v4, -v0, v3, 1.0
	v_fmac_f32_e32 v3, v4, v3
	s_delay_alu instid0(VALU_DEP_1) | instskip(NEXT) | instid1(VALU_DEP_1)
	v_mul_f32_e32 v4, v5, v3
	v_fma_f32 v6, -v0, v4, v5
	s_delay_alu instid0(VALU_DEP_1) | instskip(NEXT) | instid1(VALU_DEP_1)
	v_fmac_f32_e32 v4, v6, v3
	v_fma_f32 v0, -v0, v4, v5
	s_delay_alu instid0(VALU_DEP_1) | instskip(NEXT) | instid1(VALU_DEP_1)
	v_div_fmas_f32 v0, v0, v3, v4
	v_div_fixup_f32 v0, v0, v1, 1.0
	s_delay_alu instid0(VALU_DEP_1)
	v_mul_f32_e32 v2, v2, v0
	v_xor_b32_e32 v3, 0x80000000, v0
                                        ; implicit-def: $vgpr0_vgpr1
.LBB117_86:
	s_and_not1_saveexec_b32 s1, s1
	s_cbranch_execz .LBB117_88
; %bb.87:
	v_div_scale_f32 v2, null, v0, v0, v1
	v_div_scale_f32 v5, vcc_lo, v1, v0, v1
	s_delay_alu instid0(VALU_DEP_2) | instskip(SKIP_1) | instid1(TRANS32_DEP_1)
	v_rcp_f32_e32 v3, v2
	v_nop
	v_fma_f32 v4, -v2, v3, 1.0
	s_delay_alu instid0(VALU_DEP_1) | instskip(NEXT) | instid1(VALU_DEP_1)
	v_fmac_f32_e32 v3, v4, v3
	v_mul_f32_e32 v4, v5, v3
	s_delay_alu instid0(VALU_DEP_1) | instskip(NEXT) | instid1(VALU_DEP_1)
	v_fma_f32 v6, -v2, v4, v5
	v_fmac_f32_e32 v4, v6, v3
	s_delay_alu instid0(VALU_DEP_1) | instskip(NEXT) | instid1(VALU_DEP_1)
	v_fma_f32 v2, -v2, v4, v5
	v_div_fmas_f32 v2, v2, v3, v4
	s_delay_alu instid0(VALU_DEP_1) | instskip(NEXT) | instid1(VALU_DEP_1)
	v_div_fixup_f32 v3, v2, v0, v1
	v_fmac_f32_e32 v0, v1, v3
	s_delay_alu instid0(VALU_DEP_1) | instskip(NEXT) | instid1(VALU_DEP_1)
	v_div_scale_f32 v1, null, v0, v0, 1.0
	v_rcp_f32_e32 v2, v1
	v_nop
	s_delay_alu instid0(TRANS32_DEP_1) | instskip(NEXT) | instid1(VALU_DEP_1)
	v_fma_f32 v4, -v1, v2, 1.0
	v_fmac_f32_e32 v2, v4, v2
	v_div_scale_f32 v4, vcc_lo, 1.0, v0, 1.0
	s_delay_alu instid0(VALU_DEP_1) | instskip(NEXT) | instid1(VALU_DEP_1)
	v_mul_f32_e32 v5, v4, v2
	v_fma_f32 v6, -v1, v5, v4
	s_delay_alu instid0(VALU_DEP_1) | instskip(NEXT) | instid1(VALU_DEP_1)
	v_fmac_f32_e32 v5, v6, v2
	v_fma_f32 v1, -v1, v5, v4
	s_delay_alu instid0(VALU_DEP_1) | instskip(NEXT) | instid1(VALU_DEP_1)
	v_div_fmas_f32 v1, v1, v2, v5
	v_div_fixup_f32 v2, v1, v0, 1.0
	s_delay_alu instid0(VALU_DEP_1)
	v_mul_f32_e64 v3, v3, -v2
.LBB117_88:
	s_or_b32 exec_lo, exec_lo, s1
	ds_store_b64 v201, v[2:3]
.LBB117_89:
	s_or_b32 exec_lo, exec_lo, s2
	s_wait_dscnt 0x0
	s_barrier_signal -1
	s_barrier_wait -1
	ds_load_b64 v[0:1], v201
	s_mov_b32 s1, exec_lo
	s_wait_dscnt 0x0
	scratch_store_b64 off, v[0:1], off offset:440 ; 8-byte Folded Spill
	s_wait_xcnt 0x0
	v_cmpx_lt_u32_e32 9, v200
	s_cbranch_execz .LBB117_91
; %bb.90:
	scratch_load_b64 v[0:1], off, off offset:440 ; 8-byte Folded Reload
	ds_load_2addr_b64 v[6:9], v202 offset0:10 offset1:11
	s_wait_loadcnt 0x0
	v_pk_mul_f32 v[4:5], v[0:1], v[36:37] op_sel:[1,1] op_sel_hi:[0,1]
	s_delay_alu instid0(VALU_DEP_1) | instskip(SKIP_1) | instid1(VALU_DEP_1)
	v_pk_fma_f32 v[2:3], v[0:1], v[36:37], v[4:5] op_sel_hi:[1,0,1] neg_lo:[0,0,1] neg_hi:[0,0,1]
	v_pk_fma_f32 v[4:5], v[0:1], v[36:37], v[4:5] op_sel_hi:[1,0,1]
	v_dual_mov_b32 v36, v2 :: v_dual_mov_b32 v37, v5
	s_wait_dscnt 0x0
	s_delay_alu instid0(VALU_DEP_2) | instskip(NEXT) | instid1(VALU_DEP_1)
	v_pk_mul_f32 v[10:11], v[6:7], v[4:5] op_sel:[0,1]
	v_pk_fma_f32 v[12:13], v[6:7], v[2:3], v[10:11] op_sel:[0,0,1] op_sel_hi:[1,1,0] neg_lo:[0,0,1] neg_hi:[0,0,1]
	v_pk_fma_f32 v[6:7], v[6:7], v[2:3], v[10:11] op_sel:[0,0,1] op_sel_hi:[1,0,0]
	s_delay_alu instid0(VALU_DEP_1) | instskip(SKIP_1) | instid1(VALU_DEP_1)
	v_mov_b32_e32 v13, v7
	v_pk_mul_f32 v[6:7], v[8:9], v[4:5] op_sel:[0,1]
	v_pk_fma_f32 v[10:11], v[8:9], v[2:3], v[6:7] op_sel:[0,0,1] op_sel_hi:[1,1,0] neg_lo:[0,0,1] neg_hi:[0,0,1]
	v_pk_fma_f32 v[6:7], v[8:9], v[2:3], v[6:7] op_sel:[0,0,1] op_sel_hi:[1,0,0]
	s_delay_alu instid0(VALU_DEP_1)
	v_mov_b32_e32 v11, v7
	ds_load_2addr_b64 v[6:9], v202 offset0:12 offset1:13
	v_pk_add_f32 v[38:39], v[38:39], v[12:13] neg_lo:[0,1] neg_hi:[0,1]
	v_pk_add_f32 v[34:35], v[34:35], v[10:11] neg_lo:[0,1] neg_hi:[0,1]
	s_wait_dscnt 0x0
	v_pk_mul_f32 v[10:11], v[6:7], v[4:5] op_sel:[0,1]
	s_delay_alu instid0(VALU_DEP_1) | instskip(SKIP_2) | instid1(VALU_DEP_2)
	v_pk_fma_f32 v[12:13], v[6:7], v[2:3], v[10:11] op_sel:[0,0,1] op_sel_hi:[1,1,0] neg_lo:[0,0,1] neg_hi:[0,0,1]
	v_pk_fma_f32 v[6:7], v[6:7], v[2:3], v[10:11] op_sel:[0,0,1] op_sel_hi:[1,0,0]
	v_dual_mul_f32 v10, v9, v5 :: v_dual_mov_b32 v6, v9
	v_dual_mov_b32 v13, v7 :: v_dual_mov_b32 v7, v8
	s_delay_alu instid0(VALU_DEP_2) | instskip(SKIP_1) | instid1(VALU_DEP_3)
	v_pk_fma_f32 v[10:11], v[8:9], v[36:37], v[10:11] op_sel_hi:[1,1,0] neg_lo:[0,0,1] neg_hi:[0,0,1]
	v_mul_f32_e32 v8, v9, v2
	v_pk_add_f32 v[66:67], v[66:67], v[12:13] neg_lo:[0,1] neg_hi:[0,1]
	s_delay_alu instid0(VALU_DEP_2) | instskip(NEXT) | instid1(VALU_DEP_1)
	v_pk_fma_f32 v[6:7], v[6:7], v[36:37], v[8:9] op_sel_hi:[1,1,0]
	v_mov_b32_e32 v11, v7
	ds_load_2addr_b64 v[6:9], v202 offset0:14 offset1:15
	v_pk_add_f32 v[62:63], v[62:63], v[10:11] neg_lo:[0,1] neg_hi:[0,1]
	s_wait_dscnt 0x0
	v_pk_mul_f32 v[10:11], v[6:7], v[4:5] op_sel:[0,1]
	s_delay_alu instid0(VALU_DEP_1) | instskip(SKIP_1) | instid1(VALU_DEP_1)
	v_pk_fma_f32 v[12:13], v[6:7], v[2:3], v[10:11] op_sel:[0,0,1] op_sel_hi:[1,1,0] neg_lo:[0,0,1] neg_hi:[0,0,1]
	v_pk_fma_f32 v[6:7], v[6:7], v[2:3], v[10:11] op_sel:[0,0,1] op_sel_hi:[1,0,0]
	v_mov_b32_e32 v13, v7
	v_pk_mul_f32 v[6:7], v[8:9], v[4:5] op_sel:[0,1]
	s_delay_alu instid0(VALU_DEP_1) | instskip(SKIP_1) | instid1(VALU_DEP_1)
	v_pk_fma_f32 v[10:11], v[8:9], v[2:3], v[6:7] op_sel:[0,0,1] op_sel_hi:[1,1,0] neg_lo:[0,0,1] neg_hi:[0,0,1]
	v_pk_fma_f32 v[6:7], v[8:9], v[2:3], v[6:7] op_sel:[0,0,1] op_sel_hi:[1,0,0]
	v_mov_b32_e32 v11, v7
	ds_load_2addr_b64 v[6:9], v202 offset0:16 offset1:17
	v_pk_add_f32 v[64:65], v[64:65], v[12:13] neg_lo:[0,1] neg_hi:[0,1]
	v_pk_add_f32 v[60:61], v[60:61], v[10:11] neg_lo:[0,1] neg_hi:[0,1]
	s_wait_dscnt 0x0
	v_pk_mul_f32 v[10:11], v[6:7], v[4:5] op_sel:[0,1]
	s_delay_alu instid0(VALU_DEP_1) | instskip(SKIP_1) | instid1(VALU_DEP_1)
	v_pk_fma_f32 v[12:13], v[6:7], v[2:3], v[10:11] op_sel:[0,0,1] op_sel_hi:[1,1,0] neg_lo:[0,0,1] neg_hi:[0,0,1]
	v_pk_fma_f32 v[6:7], v[6:7], v[2:3], v[10:11] op_sel:[0,0,1] op_sel_hi:[1,0,0]
	v_mov_b32_e32 v13, v7
	v_pk_mul_f32 v[6:7], v[8:9], v[4:5] op_sel:[0,1]
	s_delay_alu instid0(VALU_DEP_1) | instskip(SKIP_1) | instid1(VALU_DEP_1)
	v_pk_fma_f32 v[10:11], v[8:9], v[2:3], v[6:7] op_sel:[0,0,1] op_sel_hi:[1,1,0] neg_lo:[0,0,1] neg_hi:[0,0,1]
	v_pk_fma_f32 v[6:7], v[8:9], v[2:3], v[6:7] op_sel:[0,0,1] op_sel_hi:[1,0,0]
	v_mov_b32_e32 v11, v7
	ds_load_2addr_b64 v[6:9], v202 offset0:18 offset1:19
	v_pk_add_f32 v[82:83], v[82:83], v[12:13] neg_lo:[0,1] neg_hi:[0,1]
	v_pk_add_f32 v[78:79], v[78:79], v[10:11] neg_lo:[0,1] neg_hi:[0,1]
	s_wait_dscnt 0x0
	v_dual_mul_f32 v10, v7, v5 :: v_dual_mul_f32 v12, v7, v2
	s_delay_alu instid0(VALU_DEP_1) | instskip(NEXT) | instid1(VALU_DEP_2)
	v_pk_fma_f32 v[10:11], v[6:7], v[36:37], v[10:11] op_sel_hi:[1,1,0] neg_lo:[0,0,1] neg_hi:[0,0,1]
	v_pk_fma_f32 v[6:7], v[6:7], v[36:37], v[12:13] op_sel:[1,0,0] op_sel_hi:[0,1,0]
	s_delay_alu instid0(VALU_DEP_1) | instskip(SKIP_1) | instid1(VALU_DEP_2)
	v_mov_b32_e32 v11, v7
	v_pk_mul_f32 v[6:7], v[8:9], v[4:5] op_sel:[0,1]
	v_pk_add_f32 v[80:81], v[80:81], v[10:11] neg_lo:[0,1] neg_hi:[0,1]
	s_delay_alu instid0(VALU_DEP_2) | instskip(SKIP_1) | instid1(VALU_DEP_1)
	v_pk_fma_f32 v[10:11], v[8:9], v[2:3], v[6:7] op_sel:[0,0,1] op_sel_hi:[1,1,0] neg_lo:[0,0,1] neg_hi:[0,0,1]
	v_pk_fma_f32 v[6:7], v[8:9], v[2:3], v[6:7] op_sel:[0,0,1] op_sel_hi:[1,0,0]
	v_mov_b32_e32 v11, v7
	ds_load_2addr_b64 v[6:9], v202 offset0:20 offset1:21
	v_pk_add_f32 v[76:77], v[76:77], v[10:11] neg_lo:[0,1] neg_hi:[0,1]
	s_wait_dscnt 0x0
	v_pk_mul_f32 v[10:11], v[6:7], v[4:5] op_sel:[0,1]
	s_delay_alu instid0(VALU_DEP_1) | instskip(SKIP_1) | instid1(VALU_DEP_1)
	v_pk_fma_f32 v[12:13], v[6:7], v[2:3], v[10:11] op_sel:[0,0,1] op_sel_hi:[1,1,0] neg_lo:[0,0,1] neg_hi:[0,0,1]
	v_pk_fma_f32 v[6:7], v[6:7], v[2:3], v[10:11] op_sel:[0,0,1] op_sel_hi:[1,0,0]
	v_mov_b32_e32 v13, v7
	v_pk_mul_f32 v[6:7], v[8:9], v[4:5] op_sel:[0,1]
	s_delay_alu instid0(VALU_DEP_2) | instskip(NEXT) | instid1(VALU_DEP_2)
	v_pk_add_f32 v[98:99], v[98:99], v[12:13] neg_lo:[0,1] neg_hi:[0,1]
	v_pk_fma_f32 v[10:11], v[8:9], v[2:3], v[6:7] op_sel:[0,0,1] op_sel_hi:[1,1,0] neg_lo:[0,0,1] neg_hi:[0,0,1]
	v_pk_fma_f32 v[6:7], v[8:9], v[2:3], v[6:7] op_sel:[0,0,1] op_sel_hi:[1,0,0]
	s_delay_alu instid0(VALU_DEP_1) | instskip(SKIP_4) | instid1(VALU_DEP_1)
	v_mov_b32_e32 v11, v7
	ds_load_2addr_b64 v[6:9], v202 offset0:22 offset1:23
	v_pk_add_f32 v[94:95], v[94:95], v[10:11] neg_lo:[0,1] neg_hi:[0,1]
	s_wait_dscnt 0x0
	v_pk_mul_f32 v[10:11], v[6:7], v[4:5] op_sel:[0,1]
	v_pk_fma_f32 v[12:13], v[6:7], v[2:3], v[10:11] op_sel:[0,0,1] op_sel_hi:[1,1,0] neg_lo:[0,0,1] neg_hi:[0,0,1]
	v_pk_fma_f32 v[6:7], v[6:7], v[2:3], v[10:11] op_sel:[0,0,1] op_sel_hi:[1,0,0]
	v_dual_mul_f32 v10, v9, v5 :: v_dual_mov_b32 v6, v9
	s_delay_alu instid0(VALU_DEP_2) | instskip(NEXT) | instid1(VALU_DEP_2)
	v_dual_mov_b32 v13, v7 :: v_dual_mov_b32 v7, v8
	v_pk_fma_f32 v[10:11], v[8:9], v[36:37], v[10:11] op_sel_hi:[1,1,0] neg_lo:[0,0,1] neg_hi:[0,0,1]
	v_mul_f32_e32 v8, v9, v2
	s_delay_alu instid0(VALU_DEP_3) | instskip(NEXT) | instid1(VALU_DEP_2)
	v_pk_add_f32 v[96:97], v[96:97], v[12:13] neg_lo:[0,1] neg_hi:[0,1]
	v_pk_fma_f32 v[6:7], v[6:7], v[36:37], v[8:9] op_sel_hi:[1,1,0]
	s_delay_alu instid0(VALU_DEP_1) | instskip(SKIP_4) | instid1(VALU_DEP_1)
	v_mov_b32_e32 v11, v7
	ds_load_2addr_b64 v[6:9], v202 offset0:24 offset1:25
	v_pk_add_f32 v[92:93], v[92:93], v[10:11] neg_lo:[0,1] neg_hi:[0,1]
	s_wait_dscnt 0x0
	v_pk_mul_f32 v[10:11], v[6:7], v[4:5] op_sel:[0,1]
	v_pk_fma_f32 v[12:13], v[6:7], v[2:3], v[10:11] op_sel:[0,0,1] op_sel_hi:[1,1,0] neg_lo:[0,0,1] neg_hi:[0,0,1]
	v_pk_fma_f32 v[6:7], v[6:7], v[2:3], v[10:11] op_sel:[0,0,1] op_sel_hi:[1,0,0]
	s_delay_alu instid0(VALU_DEP_1) | instskip(SKIP_1) | instid1(VALU_DEP_1)
	v_mov_b32_e32 v13, v7
	v_pk_mul_f32 v[6:7], v[8:9], v[4:5] op_sel:[0,1]
	v_pk_fma_f32 v[10:11], v[8:9], v[2:3], v[6:7] op_sel:[0,0,1] op_sel_hi:[1,1,0] neg_lo:[0,0,1] neg_hi:[0,0,1]
	v_pk_fma_f32 v[6:7], v[8:9], v[2:3], v[6:7] op_sel:[0,0,1] op_sel_hi:[1,0,0]
	s_delay_alu instid0(VALU_DEP_1)
	v_mov_b32_e32 v11, v7
	ds_load_2addr_b64 v[6:9], v202 offset0:26 offset1:27
	v_pk_add_f32 v[114:115], v[114:115], v[12:13] neg_lo:[0,1] neg_hi:[0,1]
	v_pk_add_f32 v[110:111], v[110:111], v[10:11] neg_lo:[0,1] neg_hi:[0,1]
	s_wait_dscnt 0x0
	v_pk_mul_f32 v[10:11], v[6:7], v[4:5] op_sel:[0,1]
	s_delay_alu instid0(VALU_DEP_1) | instskip(SKIP_1) | instid1(VALU_DEP_1)
	v_pk_fma_f32 v[12:13], v[6:7], v[2:3], v[10:11] op_sel:[0,0,1] op_sel_hi:[1,1,0] neg_lo:[0,0,1] neg_hi:[0,0,1]
	v_pk_fma_f32 v[6:7], v[6:7], v[2:3], v[10:11] op_sel:[0,0,1] op_sel_hi:[1,0,0]
	v_mov_b32_e32 v13, v7
	v_pk_mul_f32 v[6:7], v[8:9], v[4:5] op_sel:[0,1]
	s_delay_alu instid0(VALU_DEP_1) | instskip(SKIP_1) | instid1(VALU_DEP_1)
	v_pk_fma_f32 v[10:11], v[8:9], v[2:3], v[6:7] op_sel:[0,0,1] op_sel_hi:[1,1,0] neg_lo:[0,0,1] neg_hi:[0,0,1]
	v_pk_fma_f32 v[6:7], v[8:9], v[2:3], v[6:7] op_sel:[0,0,1] op_sel_hi:[1,0,0]
	v_mov_b32_e32 v11, v7
	ds_load_2addr_b64 v[6:9], v202 offset0:28 offset1:29
	v_pk_add_f32 v[112:113], v[112:113], v[12:13] neg_lo:[0,1] neg_hi:[0,1]
	v_pk_add_f32 v[108:109], v[108:109], v[10:11] neg_lo:[0,1] neg_hi:[0,1]
	s_wait_dscnt 0x0
	v_dual_mul_f32 v10, v7, v5 :: v_dual_mul_f32 v12, v7, v2
	s_delay_alu instid0(VALU_DEP_1) | instskip(NEXT) | instid1(VALU_DEP_2)
	v_pk_fma_f32 v[10:11], v[6:7], v[36:37], v[10:11] op_sel_hi:[1,1,0] neg_lo:[0,0,1] neg_hi:[0,0,1]
	v_pk_fma_f32 v[6:7], v[6:7], v[36:37], v[12:13] op_sel:[1,0,0] op_sel_hi:[0,1,0]
	s_delay_alu instid0(VALU_DEP_1) | instskip(SKIP_1) | instid1(VALU_DEP_2)
	v_mov_b32_e32 v11, v7
	v_pk_mul_f32 v[6:7], v[8:9], v[4:5] op_sel:[0,1]
	v_pk_add_f32 v[130:131], v[130:131], v[10:11] neg_lo:[0,1] neg_hi:[0,1]
	s_delay_alu instid0(VALU_DEP_2) | instskip(SKIP_1) | instid1(VALU_DEP_1)
	v_pk_fma_f32 v[10:11], v[8:9], v[2:3], v[6:7] op_sel:[0,0,1] op_sel_hi:[1,1,0] neg_lo:[0,0,1] neg_hi:[0,0,1]
	v_pk_fma_f32 v[6:7], v[8:9], v[2:3], v[6:7] op_sel:[0,0,1] op_sel_hi:[1,0,0]
	v_mov_b32_e32 v11, v7
	ds_load_2addr_b64 v[6:9], v202 offset0:30 offset1:31
	v_pk_add_f32 v[126:127], v[126:127], v[10:11] neg_lo:[0,1] neg_hi:[0,1]
	s_wait_dscnt 0x0
	v_pk_mul_f32 v[10:11], v[6:7], v[4:5] op_sel:[0,1]
	s_delay_alu instid0(VALU_DEP_1) | instskip(SKIP_1) | instid1(VALU_DEP_1)
	v_pk_fma_f32 v[12:13], v[6:7], v[2:3], v[10:11] op_sel:[0,0,1] op_sel_hi:[1,1,0] neg_lo:[0,0,1] neg_hi:[0,0,1]
	v_pk_fma_f32 v[6:7], v[6:7], v[2:3], v[10:11] op_sel:[0,0,1] op_sel_hi:[1,0,0]
	v_mov_b32_e32 v13, v7
	v_pk_mul_f32 v[6:7], v[8:9], v[4:5] op_sel:[0,1]
	s_delay_alu instid0(VALU_DEP_2) | instskip(NEXT) | instid1(VALU_DEP_2)
	v_pk_add_f32 v[128:129], v[128:129], v[12:13] neg_lo:[0,1] neg_hi:[0,1]
	v_pk_fma_f32 v[10:11], v[8:9], v[2:3], v[6:7] op_sel:[0,0,1] op_sel_hi:[1,1,0] neg_lo:[0,0,1] neg_hi:[0,0,1]
	v_pk_fma_f32 v[6:7], v[8:9], v[2:3], v[6:7] op_sel:[0,0,1] op_sel_hi:[1,0,0]
	s_delay_alu instid0(VALU_DEP_1) | instskip(SKIP_4) | instid1(VALU_DEP_1)
	v_mov_b32_e32 v11, v7
	ds_load_2addr_b64 v[6:9], v202 offset0:32 offset1:33
	v_pk_add_f32 v[124:125], v[124:125], v[10:11] neg_lo:[0,1] neg_hi:[0,1]
	s_wait_dscnt 0x0
	v_pk_mul_f32 v[10:11], v[6:7], v[4:5] op_sel:[0,1]
	v_pk_fma_f32 v[12:13], v[6:7], v[2:3], v[10:11] op_sel:[0,0,1] op_sel_hi:[1,1,0] neg_lo:[0,0,1] neg_hi:[0,0,1]
	v_pk_fma_f32 v[6:7], v[6:7], v[2:3], v[10:11] op_sel:[0,0,1] op_sel_hi:[1,0,0]
	v_dual_mul_f32 v10, v9, v5 :: v_dual_mov_b32 v6, v9
	s_delay_alu instid0(VALU_DEP_2) | instskip(NEXT) | instid1(VALU_DEP_2)
	v_dual_mov_b32 v13, v7 :: v_dual_mov_b32 v7, v8
	v_pk_fma_f32 v[10:11], v[8:9], v[36:37], v[10:11] op_sel_hi:[1,1,0] neg_lo:[0,0,1] neg_hi:[0,0,1]
	v_mul_f32_e32 v8, v9, v2
	s_delay_alu instid0(VALU_DEP_3) | instskip(NEXT) | instid1(VALU_DEP_2)
	v_pk_add_f32 v[146:147], v[146:147], v[12:13] neg_lo:[0,1] neg_hi:[0,1]
	v_pk_fma_f32 v[6:7], v[6:7], v[36:37], v[8:9] op_sel_hi:[1,1,0]
	s_delay_alu instid0(VALU_DEP_1) | instskip(SKIP_4) | instid1(VALU_DEP_1)
	v_mov_b32_e32 v11, v7
	ds_load_2addr_b64 v[6:9], v202 offset0:34 offset1:35
	v_pk_add_f32 v[142:143], v[142:143], v[10:11] neg_lo:[0,1] neg_hi:[0,1]
	s_wait_dscnt 0x0
	v_pk_mul_f32 v[10:11], v[6:7], v[4:5] op_sel:[0,1]
	v_pk_fma_f32 v[12:13], v[6:7], v[2:3], v[10:11] op_sel:[0,0,1] op_sel_hi:[1,1,0] neg_lo:[0,0,1] neg_hi:[0,0,1]
	v_pk_fma_f32 v[6:7], v[6:7], v[2:3], v[10:11] op_sel:[0,0,1] op_sel_hi:[1,0,0]
	s_delay_alu instid0(VALU_DEP_1) | instskip(SKIP_1) | instid1(VALU_DEP_1)
	v_mov_b32_e32 v13, v7
	v_pk_mul_f32 v[6:7], v[8:9], v[4:5] op_sel:[0,1]
	v_pk_fma_f32 v[10:11], v[8:9], v[2:3], v[6:7] op_sel:[0,0,1] op_sel_hi:[1,1,0] neg_lo:[0,0,1] neg_hi:[0,0,1]
	v_pk_fma_f32 v[6:7], v[8:9], v[2:3], v[6:7] op_sel:[0,0,1] op_sel_hi:[1,0,0]
	s_delay_alu instid0(VALU_DEP_1)
	v_mov_b32_e32 v11, v7
	ds_load_2addr_b64 v[6:9], v202 offset0:36 offset1:37
	v_pk_add_f32 v[144:145], v[144:145], v[12:13] neg_lo:[0,1] neg_hi:[0,1]
	v_pk_add_f32 v[140:141], v[140:141], v[10:11] neg_lo:[0,1] neg_hi:[0,1]
	s_wait_dscnt 0x0
	v_pk_mul_f32 v[10:11], v[6:7], v[4:5] op_sel:[0,1]
	s_delay_alu instid0(VALU_DEP_1) | instskip(SKIP_1) | instid1(VALU_DEP_1)
	v_pk_fma_f32 v[12:13], v[6:7], v[2:3], v[10:11] op_sel:[0,0,1] op_sel_hi:[1,1,0] neg_lo:[0,0,1] neg_hi:[0,0,1]
	v_pk_fma_f32 v[6:7], v[6:7], v[2:3], v[10:11] op_sel:[0,0,1] op_sel_hi:[1,0,0]
	v_mov_b32_e32 v13, v7
	v_pk_mul_f32 v[6:7], v[8:9], v[4:5] op_sel:[0,1]
	s_delay_alu instid0(VALU_DEP_1) | instskip(SKIP_1) | instid1(VALU_DEP_1)
	v_pk_fma_f32 v[10:11], v[8:9], v[2:3], v[6:7] op_sel:[0,0,1] op_sel_hi:[1,1,0] neg_lo:[0,0,1] neg_hi:[0,0,1]
	v_pk_fma_f32 v[6:7], v[8:9], v[2:3], v[6:7] op_sel:[0,0,1] op_sel_hi:[1,0,0]
	v_mov_b32_e32 v11, v7
	ds_load_2addr_b64 v[6:9], v202 offset0:38 offset1:39
	v_pk_add_f32 v[162:163], v[162:163], v[12:13] neg_lo:[0,1] neg_hi:[0,1]
	v_pk_add_f32 v[158:159], v[158:159], v[10:11] neg_lo:[0,1] neg_hi:[0,1]
	s_wait_dscnt 0x0
	v_dual_mul_f32 v10, v7, v5 :: v_dual_mul_f32 v12, v7, v2
	s_delay_alu instid0(VALU_DEP_1) | instskip(NEXT) | instid1(VALU_DEP_2)
	v_pk_fma_f32 v[10:11], v[6:7], v[36:37], v[10:11] op_sel_hi:[1,1,0] neg_lo:[0,0,1] neg_hi:[0,0,1]
	v_pk_fma_f32 v[6:7], v[6:7], v[36:37], v[12:13] op_sel:[1,0,0] op_sel_hi:[0,1,0]
	s_delay_alu instid0(VALU_DEP_1) | instskip(SKIP_1) | instid1(VALU_DEP_2)
	v_mov_b32_e32 v11, v7
	v_pk_mul_f32 v[6:7], v[8:9], v[4:5] op_sel:[0,1]
	v_pk_add_f32 v[160:161], v[160:161], v[10:11] neg_lo:[0,1] neg_hi:[0,1]
	s_delay_alu instid0(VALU_DEP_2) | instskip(SKIP_1) | instid1(VALU_DEP_1)
	v_pk_fma_f32 v[10:11], v[8:9], v[2:3], v[6:7] op_sel:[0,0,1] op_sel_hi:[1,1,0] neg_lo:[0,0,1] neg_hi:[0,0,1]
	v_pk_fma_f32 v[6:7], v[8:9], v[2:3], v[6:7] op_sel:[0,0,1] op_sel_hi:[1,0,0]
	v_mov_b32_e32 v11, v7
	ds_load_2addr_b64 v[6:9], v202 offset0:40 offset1:41
	v_pk_add_f32 v[156:157], v[156:157], v[10:11] neg_lo:[0,1] neg_hi:[0,1]
	s_wait_dscnt 0x0
	v_pk_mul_f32 v[10:11], v[6:7], v[4:5] op_sel:[0,1]
	s_delay_alu instid0(VALU_DEP_1) | instskip(SKIP_1) | instid1(VALU_DEP_1)
	v_pk_fma_f32 v[12:13], v[6:7], v[2:3], v[10:11] op_sel:[0,0,1] op_sel_hi:[1,1,0] neg_lo:[0,0,1] neg_hi:[0,0,1]
	v_pk_fma_f32 v[6:7], v[6:7], v[2:3], v[10:11] op_sel:[0,0,1] op_sel_hi:[1,0,0]
	v_mov_b32_e32 v13, v7
	v_pk_mul_f32 v[6:7], v[8:9], v[4:5] op_sel:[0,1]
	s_delay_alu instid0(VALU_DEP_2) | instskip(NEXT) | instid1(VALU_DEP_2)
	v_pk_add_f32 v[178:179], v[178:179], v[12:13] neg_lo:[0,1] neg_hi:[0,1]
	v_pk_fma_f32 v[10:11], v[8:9], v[2:3], v[6:7] op_sel:[0,0,1] op_sel_hi:[1,1,0] neg_lo:[0,0,1] neg_hi:[0,0,1]
	v_pk_fma_f32 v[6:7], v[8:9], v[2:3], v[6:7] op_sel:[0,0,1] op_sel_hi:[1,0,0]
	s_delay_alu instid0(VALU_DEP_1) | instskip(SKIP_4) | instid1(VALU_DEP_1)
	v_mov_b32_e32 v11, v7
	ds_load_2addr_b64 v[6:9], v202 offset0:42 offset1:43
	v_pk_add_f32 v[174:175], v[174:175], v[10:11] neg_lo:[0,1] neg_hi:[0,1]
	s_wait_dscnt 0x0
	v_pk_mul_f32 v[10:11], v[6:7], v[4:5] op_sel:[0,1]
	v_pk_fma_f32 v[12:13], v[6:7], v[2:3], v[10:11] op_sel:[0,0,1] op_sel_hi:[1,1,0] neg_lo:[0,0,1] neg_hi:[0,0,1]
	v_pk_fma_f32 v[6:7], v[6:7], v[2:3], v[10:11] op_sel:[0,0,1] op_sel_hi:[1,0,0]
	v_dual_mul_f32 v10, v9, v5 :: v_dual_mov_b32 v6, v9
	s_delay_alu instid0(VALU_DEP_2) | instskip(NEXT) | instid1(VALU_DEP_2)
	v_dual_mov_b32 v13, v7 :: v_dual_mov_b32 v7, v8
	v_pk_fma_f32 v[10:11], v[8:9], v[36:37], v[10:11] op_sel_hi:[1,1,0] neg_lo:[0,0,1] neg_hi:[0,0,1]
	v_mul_f32_e32 v8, v9, v2
	s_delay_alu instid0(VALU_DEP_3) | instskip(NEXT) | instid1(VALU_DEP_2)
	v_pk_add_f32 v[176:177], v[176:177], v[12:13] neg_lo:[0,1] neg_hi:[0,1]
	v_pk_fma_f32 v[6:7], v[6:7], v[36:37], v[8:9] op_sel_hi:[1,1,0]
	s_delay_alu instid0(VALU_DEP_1) | instskip(SKIP_4) | instid1(VALU_DEP_1)
	v_mov_b32_e32 v11, v7
	ds_load_2addr_b64 v[6:9], v202 offset0:44 offset1:45
	v_pk_add_f32 v[172:173], v[172:173], v[10:11] neg_lo:[0,1] neg_hi:[0,1]
	s_wait_dscnt 0x0
	v_pk_mul_f32 v[10:11], v[6:7], v[4:5] op_sel:[0,1]
	v_pk_fma_f32 v[12:13], v[6:7], v[2:3], v[10:11] op_sel:[0,0,1] op_sel_hi:[1,1,0] neg_lo:[0,0,1] neg_hi:[0,0,1]
	v_pk_fma_f32 v[6:7], v[6:7], v[2:3], v[10:11] op_sel:[0,0,1] op_sel_hi:[1,0,0]
	s_delay_alu instid0(VALU_DEP_1) | instskip(SKIP_1) | instid1(VALU_DEP_1)
	v_mov_b32_e32 v13, v7
	v_pk_mul_f32 v[6:7], v[8:9], v[4:5] op_sel:[0,1]
	v_pk_fma_f32 v[10:11], v[8:9], v[2:3], v[6:7] op_sel:[0,0,1] op_sel_hi:[1,1,0] neg_lo:[0,0,1] neg_hi:[0,0,1]
	v_pk_fma_f32 v[6:7], v[8:9], v[2:3], v[6:7] op_sel:[0,0,1] op_sel_hi:[1,0,0]
	s_delay_alu instid0(VALU_DEP_1)
	v_mov_b32_e32 v11, v7
	ds_load_2addr_b64 v[6:9], v202 offset0:46 offset1:47
	v_pk_add_f32 v[194:195], v[194:195], v[12:13] neg_lo:[0,1] neg_hi:[0,1]
	v_pk_add_f32 v[190:191], v[190:191], v[10:11] neg_lo:[0,1] neg_hi:[0,1]
	s_wait_dscnt 0x0
	v_pk_mul_f32 v[10:11], v[6:7], v[4:5] op_sel:[0,1]
	s_delay_alu instid0(VALU_DEP_1) | instskip(SKIP_1) | instid1(VALU_DEP_1)
	v_pk_fma_f32 v[12:13], v[6:7], v[2:3], v[10:11] op_sel:[0,0,1] op_sel_hi:[1,1,0] neg_lo:[0,0,1] neg_hi:[0,0,1]
	v_pk_fma_f32 v[6:7], v[6:7], v[2:3], v[10:11] op_sel:[0,0,1] op_sel_hi:[1,0,0]
	v_mov_b32_e32 v13, v7
	v_pk_mul_f32 v[6:7], v[8:9], v[4:5] op_sel:[0,1]
	s_delay_alu instid0(VALU_DEP_1) | instskip(SKIP_1) | instid1(VALU_DEP_1)
	v_pk_fma_f32 v[10:11], v[8:9], v[2:3], v[6:7] op_sel:[0,0,1] op_sel_hi:[1,1,0] neg_lo:[0,0,1] neg_hi:[0,0,1]
	v_pk_fma_f32 v[6:7], v[8:9], v[2:3], v[6:7] op_sel:[0,0,1] op_sel_hi:[1,0,0]
	v_mov_b32_e32 v11, v7
	ds_load_2addr_b64 v[6:9], v202 offset0:48 offset1:49
	v_pk_add_f32 v[192:193], v[192:193], v[12:13] neg_lo:[0,1] neg_hi:[0,1]
	v_pk_add_f32 v[188:189], v[188:189], v[10:11] neg_lo:[0,1] neg_hi:[0,1]
	s_wait_dscnt 0x0
	v_dual_mul_f32 v10, v7, v5 :: v_dual_mul_f32 v12, v7, v2
	s_delay_alu instid0(VALU_DEP_1) | instskip(NEXT) | instid1(VALU_DEP_2)
	v_pk_fma_f32 v[10:11], v[6:7], v[36:37], v[10:11] op_sel_hi:[1,1,0] neg_lo:[0,0,1] neg_hi:[0,0,1]
	v_pk_fma_f32 v[6:7], v[6:7], v[36:37], v[12:13] op_sel:[1,0,0] op_sel_hi:[0,1,0]
	s_delay_alu instid0(VALU_DEP_1) | instskip(SKIP_1) | instid1(VALU_DEP_2)
	v_mov_b32_e32 v11, v7
	v_pk_mul_f32 v[6:7], v[8:9], v[4:5] op_sel:[0,1]
	v_pk_add_f32 v[212:213], v[212:213], v[10:11] neg_lo:[0,1] neg_hi:[0,1]
	s_delay_alu instid0(VALU_DEP_2) | instskip(SKIP_1) | instid1(VALU_DEP_1)
	v_pk_fma_f32 v[10:11], v[8:9], v[2:3], v[6:7] op_sel:[0,0,1] op_sel_hi:[1,1,0] neg_lo:[0,0,1] neg_hi:[0,0,1]
	v_pk_fma_f32 v[6:7], v[8:9], v[2:3], v[6:7] op_sel:[0,0,1] op_sel_hi:[1,0,0]
	v_mov_b32_e32 v11, v7
	ds_load_2addr_b64 v[6:9], v202 offset0:50 offset1:51
	v_pk_add_f32 v[208:209], v[208:209], v[10:11] neg_lo:[0,1] neg_hi:[0,1]
	s_wait_dscnt 0x0
	v_pk_mul_f32 v[10:11], v[6:7], v[4:5] op_sel:[0,1]
	s_delay_alu instid0(VALU_DEP_1) | instskip(SKIP_1) | instid1(VALU_DEP_1)
	v_pk_fma_f32 v[12:13], v[6:7], v[2:3], v[10:11] op_sel:[0,0,1] op_sel_hi:[1,1,0] neg_lo:[0,0,1] neg_hi:[0,0,1]
	v_pk_fma_f32 v[6:7], v[6:7], v[2:3], v[10:11] op_sel:[0,0,1] op_sel_hi:[1,0,0]
	v_mov_b32_e32 v13, v7
	v_pk_mul_f32 v[6:7], v[8:9], v[4:5] op_sel:[0,1]
	s_delay_alu instid0(VALU_DEP_2) | instskip(NEXT) | instid1(VALU_DEP_2)
	v_pk_add_f32 v[210:211], v[210:211], v[12:13] neg_lo:[0,1] neg_hi:[0,1]
	v_pk_fma_f32 v[10:11], v[8:9], v[2:3], v[6:7] op_sel:[0,0,1] op_sel_hi:[1,1,0] neg_lo:[0,0,1] neg_hi:[0,0,1]
	v_pk_fma_f32 v[6:7], v[8:9], v[2:3], v[6:7] op_sel:[0,0,1] op_sel_hi:[1,0,0]
	s_delay_alu instid0(VALU_DEP_1) | instskip(SKIP_4) | instid1(VALU_DEP_1)
	v_mov_b32_e32 v11, v7
	ds_load_2addr_b64 v[6:9], v202 offset0:52 offset1:53
	v_pk_add_f32 v[206:207], v[206:207], v[10:11] neg_lo:[0,1] neg_hi:[0,1]
	s_wait_dscnt 0x0
	v_pk_mul_f32 v[10:11], v[6:7], v[4:5] op_sel:[0,1]
	v_pk_fma_f32 v[12:13], v[6:7], v[2:3], v[10:11] op_sel:[0,0,1] op_sel_hi:[1,1,0] neg_lo:[0,0,1] neg_hi:[0,0,1]
	v_pk_fma_f32 v[6:7], v[6:7], v[2:3], v[10:11] op_sel:[0,0,1] op_sel_hi:[1,0,0]
	v_dual_mul_f32 v10, v9, v5 :: v_dual_mov_b32 v6, v9
	s_delay_alu instid0(VALU_DEP_2) | instskip(NEXT) | instid1(VALU_DEP_2)
	v_dual_mov_b32 v13, v7 :: v_dual_mov_b32 v7, v8
	v_pk_fma_f32 v[10:11], v[8:9], v[36:37], v[10:11] op_sel_hi:[1,1,0] neg_lo:[0,0,1] neg_hi:[0,0,1]
	v_mul_f32_e32 v8, v9, v2
	s_delay_alu instid0(VALU_DEP_3) | instskip(NEXT) | instid1(VALU_DEP_2)
	v_pk_add_f32 v[232:233], v[232:233], v[12:13] neg_lo:[0,1] neg_hi:[0,1]
	v_pk_fma_f32 v[6:7], v[6:7], v[36:37], v[8:9] op_sel_hi:[1,1,0]
	s_delay_alu instid0(VALU_DEP_1) | instskip(SKIP_4) | instid1(VALU_DEP_1)
	v_mov_b32_e32 v11, v7
	ds_load_2addr_b64 v[6:9], v202 offset0:54 offset1:55
	v_pk_add_f32 v[226:227], v[226:227], v[10:11] neg_lo:[0,1] neg_hi:[0,1]
	s_wait_dscnt 0x0
	v_pk_mul_f32 v[10:11], v[6:7], v[4:5] op_sel:[0,1]
	v_pk_fma_f32 v[12:13], v[6:7], v[2:3], v[10:11] op_sel:[0,0,1] op_sel_hi:[1,1,0] neg_lo:[0,0,1] neg_hi:[0,0,1]
	v_pk_fma_f32 v[6:7], v[6:7], v[2:3], v[10:11] op_sel:[0,0,1] op_sel_hi:[1,0,0]
	s_delay_alu instid0(VALU_DEP_1) | instskip(SKIP_1) | instid1(VALU_DEP_1)
	v_mov_b32_e32 v13, v7
	v_pk_mul_f32 v[6:7], v[8:9], v[4:5] op_sel:[0,1]
	v_pk_fma_f32 v[10:11], v[8:9], v[2:3], v[6:7] op_sel:[0,0,1] op_sel_hi:[1,1,0] neg_lo:[0,0,1] neg_hi:[0,0,1]
	v_pk_fma_f32 v[6:7], v[8:9], v[2:3], v[6:7] op_sel:[0,0,1] op_sel_hi:[1,0,0]
	s_delay_alu instid0(VALU_DEP_1)
	v_mov_b32_e32 v11, v7
	ds_load_2addr_b64 v[6:9], v202 offset0:56 offset1:57
	v_pk_add_f32 v[230:231], v[230:231], v[12:13] neg_lo:[0,1] neg_hi:[0,1]
	v_pk_add_f32 v[224:225], v[224:225], v[10:11] neg_lo:[0,1] neg_hi:[0,1]
	s_wait_dscnt 0x0
	v_pk_mul_f32 v[10:11], v[6:7], v[4:5] op_sel:[0,1]
	s_delay_alu instid0(VALU_DEP_1) | instskip(SKIP_1) | instid1(VALU_DEP_1)
	v_pk_fma_f32 v[12:13], v[6:7], v[2:3], v[10:11] op_sel:[0,0,1] op_sel_hi:[1,1,0] neg_lo:[0,0,1] neg_hi:[0,0,1]
	v_pk_fma_f32 v[6:7], v[6:7], v[2:3], v[10:11] op_sel:[0,0,1] op_sel_hi:[1,0,0]
	v_mov_b32_e32 v13, v7
	v_pk_mul_f32 v[6:7], v[8:9], v[4:5] op_sel:[0,1]
	s_delay_alu instid0(VALU_DEP_1) | instskip(SKIP_1) | instid1(VALU_DEP_1)
	v_pk_fma_f32 v[10:11], v[8:9], v[2:3], v[6:7] op_sel:[0,0,1] op_sel_hi:[1,1,0] neg_lo:[0,0,1] neg_hi:[0,0,1]
	v_pk_fma_f32 v[6:7], v[8:9], v[2:3], v[6:7] op_sel:[0,0,1] op_sel_hi:[1,0,0]
	v_mov_b32_e32 v11, v7
	ds_load_b64 v[6:7], v202 offset:464
	v_pk_add_f32 v[228:229], v[228:229], v[12:13] neg_lo:[0,1] neg_hi:[0,1]
	v_pk_add_f32 v[234:235], v[234:235], v[10:11] neg_lo:[0,1] neg_hi:[0,1]
	s_wait_dscnt 0x0
	v_pk_mul_f32 v[4:5], v[6:7], v[4:5] op_sel:[0,1]
	s_delay_alu instid0(VALU_DEP_1) | instskip(SKIP_1) | instid1(VALU_DEP_1)
	v_pk_fma_f32 v[8:9], v[6:7], v[2:3], v[4:5] op_sel:[0,0,1] op_sel_hi:[1,1,0] neg_lo:[0,0,1] neg_hi:[0,0,1]
	v_pk_fma_f32 v[2:3], v[6:7], v[2:3], v[4:5] op_sel:[0,0,1] op_sel_hi:[1,0,0]
	v_mov_b32_e32 v9, v3
	s_delay_alu instid0(VALU_DEP_1)
	v_pk_add_f32 v[236:237], v[236:237], v[8:9] neg_lo:[0,1] neg_hi:[0,1]
.LBB117_91:
	s_wait_xcnt 0x0
	s_or_b32 exec_lo, exec_lo, s1
	s_delay_alu instid0(SALU_CYCLE_1)
	s_mov_b32 s2, exec_lo
	s_wait_storecnt 0x0
	s_barrier_signal -1
	s_barrier_wait -1
	v_cmpx_eq_u32_e32 10, v200
	s_cbranch_execz .LBB117_98
; %bb.92:
	ds_store_b64 v201, v[38:39]
	ds_store_2addr_b64 v202, v[34:35], v[66:67] offset0:11 offset1:12
	ds_store_2addr_b64 v202, v[62:63], v[64:65] offset0:13 offset1:14
	;; [unrolled: 1-line block ×24, first 2 shown]
	ds_load_b64 v[2:3], v201
	s_wait_dscnt 0x0
	v_cmp_neq_f32_e32 vcc_lo, 0, v2
	v_cmp_neq_f32_e64 s1, 0, v3
	s_or_b32 s1, vcc_lo, s1
	s_delay_alu instid0(SALU_CYCLE_1)
	s_and_b32 exec_lo, exec_lo, s1
	s_cbranch_execz .LBB117_98
; %bb.93:
	v_cmp_ngt_f32_e64 s1, |v2|, |v3|
                                        ; implicit-def: $vgpr4_vgpr5
	s_and_saveexec_b32 s4, s1
	s_delay_alu instid0(SALU_CYCLE_1)
	s_xor_b32 s1, exec_lo, s4
	s_cbranch_execz .LBB117_95
; %bb.94:
	v_div_scale_f32 v4, null, v3, v3, v2
	v_div_scale_f32 v7, vcc_lo, v2, v3, v2
	s_delay_alu instid0(VALU_DEP_2) | instskip(SKIP_1) | instid1(TRANS32_DEP_1)
	v_rcp_f32_e32 v5, v4
	v_nop
	v_fma_f32 v6, -v4, v5, 1.0
	s_delay_alu instid0(VALU_DEP_1) | instskip(NEXT) | instid1(VALU_DEP_1)
	v_fmac_f32_e32 v5, v6, v5
	v_mul_f32_e32 v6, v7, v5
	s_delay_alu instid0(VALU_DEP_1) | instskip(NEXT) | instid1(VALU_DEP_1)
	v_fma_f32 v8, -v4, v6, v7
	v_fmac_f32_e32 v6, v8, v5
	s_delay_alu instid0(VALU_DEP_1) | instskip(NEXT) | instid1(VALU_DEP_1)
	v_fma_f32 v4, -v4, v6, v7
	v_div_fmas_f32 v4, v4, v5, v6
	s_delay_alu instid0(VALU_DEP_1) | instskip(NEXT) | instid1(VALU_DEP_1)
	v_div_fixup_f32 v4, v4, v3, v2
	v_fmac_f32_e32 v3, v2, v4
	s_delay_alu instid0(VALU_DEP_1) | instskip(SKIP_1) | instid1(VALU_DEP_2)
	v_div_scale_f32 v2, null, v3, v3, 1.0
	v_div_scale_f32 v7, vcc_lo, 1.0, v3, 1.0
	v_rcp_f32_e32 v5, v2
	v_nop
	s_delay_alu instid0(TRANS32_DEP_1) | instskip(NEXT) | instid1(VALU_DEP_1)
	v_fma_f32 v6, -v2, v5, 1.0
	v_fmac_f32_e32 v5, v6, v5
	s_delay_alu instid0(VALU_DEP_1) | instskip(NEXT) | instid1(VALU_DEP_1)
	v_mul_f32_e32 v6, v7, v5
	v_fma_f32 v8, -v2, v6, v7
	s_delay_alu instid0(VALU_DEP_1) | instskip(NEXT) | instid1(VALU_DEP_1)
	v_fmac_f32_e32 v6, v8, v5
	v_fma_f32 v2, -v2, v6, v7
	s_delay_alu instid0(VALU_DEP_1) | instskip(NEXT) | instid1(VALU_DEP_1)
	v_div_fmas_f32 v2, v2, v5, v6
	v_div_fixup_f32 v2, v2, v3, 1.0
	s_delay_alu instid0(VALU_DEP_1)
	v_mul_f32_e32 v4, v4, v2
	v_xor_b32_e32 v5, 0x80000000, v2
                                        ; implicit-def: $vgpr2_vgpr3
.LBB117_95:
	s_and_not1_saveexec_b32 s1, s1
	s_cbranch_execz .LBB117_97
; %bb.96:
	v_div_scale_f32 v4, null, v2, v2, v3
	v_div_scale_f32 v7, vcc_lo, v3, v2, v3
	s_delay_alu instid0(VALU_DEP_2) | instskip(SKIP_1) | instid1(TRANS32_DEP_1)
	v_rcp_f32_e32 v5, v4
	v_nop
	v_fma_f32 v6, -v4, v5, 1.0
	s_delay_alu instid0(VALU_DEP_1) | instskip(NEXT) | instid1(VALU_DEP_1)
	v_fmac_f32_e32 v5, v6, v5
	v_mul_f32_e32 v6, v7, v5
	s_delay_alu instid0(VALU_DEP_1) | instskip(NEXT) | instid1(VALU_DEP_1)
	v_fma_f32 v8, -v4, v6, v7
	v_fmac_f32_e32 v6, v8, v5
	s_delay_alu instid0(VALU_DEP_1) | instskip(NEXT) | instid1(VALU_DEP_1)
	v_fma_f32 v4, -v4, v6, v7
	v_div_fmas_f32 v4, v4, v5, v6
	s_delay_alu instid0(VALU_DEP_1) | instskip(NEXT) | instid1(VALU_DEP_1)
	v_div_fixup_f32 v5, v4, v2, v3
	v_fmac_f32_e32 v2, v3, v5
	s_delay_alu instid0(VALU_DEP_1) | instskip(NEXT) | instid1(VALU_DEP_1)
	v_div_scale_f32 v3, null, v2, v2, 1.0
	v_rcp_f32_e32 v4, v3
	v_nop
	s_delay_alu instid0(TRANS32_DEP_1) | instskip(NEXT) | instid1(VALU_DEP_1)
	v_fma_f32 v6, -v3, v4, 1.0
	v_fmac_f32_e32 v4, v6, v4
	v_div_scale_f32 v6, vcc_lo, 1.0, v2, 1.0
	s_delay_alu instid0(VALU_DEP_1) | instskip(NEXT) | instid1(VALU_DEP_1)
	v_mul_f32_e32 v7, v6, v4
	v_fma_f32 v8, -v3, v7, v6
	s_delay_alu instid0(VALU_DEP_1) | instskip(NEXT) | instid1(VALU_DEP_1)
	v_fmac_f32_e32 v7, v8, v4
	v_fma_f32 v3, -v3, v7, v6
	s_delay_alu instid0(VALU_DEP_1) | instskip(NEXT) | instid1(VALU_DEP_1)
	v_div_fmas_f32 v3, v3, v4, v7
	v_div_fixup_f32 v4, v3, v2, 1.0
	s_delay_alu instid0(VALU_DEP_1)
	v_mul_f32_e64 v5, v5, -v4
.LBB117_97:
	s_or_b32 exec_lo, exec_lo, s1
	ds_store_b64 v201, v[4:5]
.LBB117_98:
	s_or_b32 exec_lo, exec_lo, s2
	s_wait_dscnt 0x0
	s_barrier_signal -1
	s_barrier_wait -1
	ds_load_b64 v[2:3], v201
	s_mov_b32 s1, exec_lo
	v_cmpx_lt_u32_e32 10, v200
	s_cbranch_execz .LBB117_100
; %bb.99:
	ds_load_2addr_b64 v[8:11], v202 offset0:11 offset1:12
	s_wait_dscnt 0x1
	v_pk_mul_f32 v[6:7], v[2:3], v[38:39] op_sel:[1,1] op_sel_hi:[0,1]
	s_delay_alu instid0(VALU_DEP_1) | instskip(SKIP_1) | instid1(VALU_DEP_1)
	v_pk_fma_f32 v[4:5], v[2:3], v[38:39], v[6:7] op_sel_hi:[1,0,1] neg_lo:[0,0,1] neg_hi:[0,0,1]
	v_pk_fma_f32 v[6:7], v[2:3], v[38:39], v[6:7] op_sel_hi:[1,0,1]
	v_dual_mov_b32 v38, v4 :: v_dual_mov_b32 v39, v7
	s_wait_dscnt 0x0
	s_delay_alu instid0(VALU_DEP_2) | instskip(NEXT) | instid1(VALU_DEP_1)
	v_pk_mul_f32 v[12:13], v[8:9], v[6:7] op_sel:[0,1]
	v_pk_fma_f32 v[14:15], v[8:9], v[4:5], v[12:13] op_sel:[0,0,1] op_sel_hi:[1,1,0] neg_lo:[0,0,1] neg_hi:[0,0,1]
	v_pk_fma_f32 v[8:9], v[8:9], v[4:5], v[12:13] op_sel:[0,0,1] op_sel_hi:[1,0,0]
	s_delay_alu instid0(VALU_DEP_1) | instskip(SKIP_1) | instid1(VALU_DEP_1)
	v_mov_b32_e32 v15, v9
	v_pk_mul_f32 v[8:9], v[10:11], v[6:7] op_sel:[0,1]
	v_pk_fma_f32 v[12:13], v[10:11], v[4:5], v[8:9] op_sel:[0,0,1] op_sel_hi:[1,1,0] neg_lo:[0,0,1] neg_hi:[0,0,1]
	v_pk_fma_f32 v[8:9], v[10:11], v[4:5], v[8:9] op_sel:[0,0,1] op_sel_hi:[1,0,0]
	s_delay_alu instid0(VALU_DEP_1)
	v_mov_b32_e32 v13, v9
	ds_load_2addr_b64 v[8:11], v202 offset0:13 offset1:14
	v_pk_add_f32 v[34:35], v[34:35], v[14:15] neg_lo:[0,1] neg_hi:[0,1]
	v_pk_add_f32 v[66:67], v[66:67], v[12:13] neg_lo:[0,1] neg_hi:[0,1]
	s_wait_dscnt 0x0
	v_pk_mul_f32 v[12:13], v[8:9], v[6:7] op_sel:[0,1]
	s_delay_alu instid0(VALU_DEP_1) | instskip(SKIP_2) | instid1(VALU_DEP_2)
	v_pk_fma_f32 v[14:15], v[8:9], v[4:5], v[12:13] op_sel:[0,0,1] op_sel_hi:[1,1,0] neg_lo:[0,0,1] neg_hi:[0,0,1]
	v_pk_fma_f32 v[8:9], v[8:9], v[4:5], v[12:13] op_sel:[0,0,1] op_sel_hi:[1,0,0]
	v_dual_mul_f32 v12, v11, v7 :: v_dual_mov_b32 v8, v11
	v_dual_mov_b32 v15, v9 :: v_dual_mov_b32 v9, v10
	s_delay_alu instid0(VALU_DEP_2) | instskip(SKIP_1) | instid1(VALU_DEP_3)
	v_pk_fma_f32 v[12:13], v[10:11], v[38:39], v[12:13] op_sel_hi:[1,1,0] neg_lo:[0,0,1] neg_hi:[0,0,1]
	v_mul_f32_e32 v10, v11, v4
	v_pk_add_f32 v[62:63], v[62:63], v[14:15] neg_lo:[0,1] neg_hi:[0,1]
	s_delay_alu instid0(VALU_DEP_2) | instskip(NEXT) | instid1(VALU_DEP_1)
	v_pk_fma_f32 v[8:9], v[8:9], v[38:39], v[10:11] op_sel_hi:[1,1,0]
	v_mov_b32_e32 v13, v9
	ds_load_2addr_b64 v[8:11], v202 offset0:15 offset1:16
	v_pk_add_f32 v[64:65], v[64:65], v[12:13] neg_lo:[0,1] neg_hi:[0,1]
	s_wait_dscnt 0x0
	v_pk_mul_f32 v[12:13], v[8:9], v[6:7] op_sel:[0,1]
	s_delay_alu instid0(VALU_DEP_1) | instskip(SKIP_1) | instid1(VALU_DEP_1)
	v_pk_fma_f32 v[14:15], v[8:9], v[4:5], v[12:13] op_sel:[0,0,1] op_sel_hi:[1,1,0] neg_lo:[0,0,1] neg_hi:[0,0,1]
	v_pk_fma_f32 v[8:9], v[8:9], v[4:5], v[12:13] op_sel:[0,0,1] op_sel_hi:[1,0,0]
	v_mov_b32_e32 v15, v9
	v_pk_mul_f32 v[8:9], v[10:11], v[6:7] op_sel:[0,1]
	s_delay_alu instid0(VALU_DEP_1) | instskip(SKIP_1) | instid1(VALU_DEP_1)
	v_pk_fma_f32 v[12:13], v[10:11], v[4:5], v[8:9] op_sel:[0,0,1] op_sel_hi:[1,1,0] neg_lo:[0,0,1] neg_hi:[0,0,1]
	v_pk_fma_f32 v[8:9], v[10:11], v[4:5], v[8:9] op_sel:[0,0,1] op_sel_hi:[1,0,0]
	v_mov_b32_e32 v13, v9
	ds_load_2addr_b64 v[8:11], v202 offset0:17 offset1:18
	v_pk_add_f32 v[60:61], v[60:61], v[14:15] neg_lo:[0,1] neg_hi:[0,1]
	v_pk_add_f32 v[82:83], v[82:83], v[12:13] neg_lo:[0,1] neg_hi:[0,1]
	s_wait_dscnt 0x0
	v_pk_mul_f32 v[12:13], v[8:9], v[6:7] op_sel:[0,1]
	s_delay_alu instid0(VALU_DEP_1) | instskip(SKIP_1) | instid1(VALU_DEP_1)
	v_pk_fma_f32 v[14:15], v[8:9], v[4:5], v[12:13] op_sel:[0,0,1] op_sel_hi:[1,1,0] neg_lo:[0,0,1] neg_hi:[0,0,1]
	v_pk_fma_f32 v[8:9], v[8:9], v[4:5], v[12:13] op_sel:[0,0,1] op_sel_hi:[1,0,0]
	v_mov_b32_e32 v15, v9
	v_pk_mul_f32 v[8:9], v[10:11], v[6:7] op_sel:[0,1]
	s_delay_alu instid0(VALU_DEP_1) | instskip(SKIP_1) | instid1(VALU_DEP_1)
	v_pk_fma_f32 v[12:13], v[10:11], v[4:5], v[8:9] op_sel:[0,0,1] op_sel_hi:[1,1,0] neg_lo:[0,0,1] neg_hi:[0,0,1]
	v_pk_fma_f32 v[8:9], v[10:11], v[4:5], v[8:9] op_sel:[0,0,1] op_sel_hi:[1,0,0]
	v_mov_b32_e32 v13, v9
	ds_load_2addr_b64 v[8:11], v202 offset0:19 offset1:20
	v_pk_add_f32 v[78:79], v[78:79], v[14:15] neg_lo:[0,1] neg_hi:[0,1]
	v_pk_add_f32 v[80:81], v[80:81], v[12:13] neg_lo:[0,1] neg_hi:[0,1]
	s_wait_dscnt 0x0
	v_dual_mul_f32 v12, v9, v7 :: v_dual_mul_f32 v14, v9, v4
	s_delay_alu instid0(VALU_DEP_1) | instskip(NEXT) | instid1(VALU_DEP_2)
	v_pk_fma_f32 v[12:13], v[8:9], v[38:39], v[12:13] op_sel_hi:[1,1,0] neg_lo:[0,0,1] neg_hi:[0,0,1]
	v_pk_fma_f32 v[8:9], v[8:9], v[38:39], v[14:15] op_sel:[1,0,0] op_sel_hi:[0,1,0]
	s_delay_alu instid0(VALU_DEP_1) | instskip(SKIP_1) | instid1(VALU_DEP_2)
	v_mov_b32_e32 v13, v9
	v_pk_mul_f32 v[8:9], v[10:11], v[6:7] op_sel:[0,1]
	v_pk_add_f32 v[76:77], v[76:77], v[12:13] neg_lo:[0,1] neg_hi:[0,1]
	s_delay_alu instid0(VALU_DEP_2) | instskip(SKIP_1) | instid1(VALU_DEP_1)
	v_pk_fma_f32 v[12:13], v[10:11], v[4:5], v[8:9] op_sel:[0,0,1] op_sel_hi:[1,1,0] neg_lo:[0,0,1] neg_hi:[0,0,1]
	v_pk_fma_f32 v[8:9], v[10:11], v[4:5], v[8:9] op_sel:[0,0,1] op_sel_hi:[1,0,0]
	v_mov_b32_e32 v13, v9
	ds_load_2addr_b64 v[8:11], v202 offset0:21 offset1:22
	v_pk_add_f32 v[98:99], v[98:99], v[12:13] neg_lo:[0,1] neg_hi:[0,1]
	s_wait_dscnt 0x0
	v_pk_mul_f32 v[12:13], v[8:9], v[6:7] op_sel:[0,1]
	s_delay_alu instid0(VALU_DEP_1) | instskip(SKIP_1) | instid1(VALU_DEP_1)
	v_pk_fma_f32 v[14:15], v[8:9], v[4:5], v[12:13] op_sel:[0,0,1] op_sel_hi:[1,1,0] neg_lo:[0,0,1] neg_hi:[0,0,1]
	v_pk_fma_f32 v[8:9], v[8:9], v[4:5], v[12:13] op_sel:[0,0,1] op_sel_hi:[1,0,0]
	v_mov_b32_e32 v15, v9
	v_pk_mul_f32 v[8:9], v[10:11], v[6:7] op_sel:[0,1]
	s_delay_alu instid0(VALU_DEP_2) | instskip(NEXT) | instid1(VALU_DEP_2)
	v_pk_add_f32 v[94:95], v[94:95], v[14:15] neg_lo:[0,1] neg_hi:[0,1]
	v_pk_fma_f32 v[12:13], v[10:11], v[4:5], v[8:9] op_sel:[0,0,1] op_sel_hi:[1,1,0] neg_lo:[0,0,1] neg_hi:[0,0,1]
	v_pk_fma_f32 v[8:9], v[10:11], v[4:5], v[8:9] op_sel:[0,0,1] op_sel_hi:[1,0,0]
	s_delay_alu instid0(VALU_DEP_1) | instskip(SKIP_4) | instid1(VALU_DEP_1)
	v_mov_b32_e32 v13, v9
	ds_load_2addr_b64 v[8:11], v202 offset0:23 offset1:24
	v_pk_add_f32 v[96:97], v[96:97], v[12:13] neg_lo:[0,1] neg_hi:[0,1]
	s_wait_dscnt 0x0
	v_pk_mul_f32 v[12:13], v[8:9], v[6:7] op_sel:[0,1]
	v_pk_fma_f32 v[14:15], v[8:9], v[4:5], v[12:13] op_sel:[0,0,1] op_sel_hi:[1,1,0] neg_lo:[0,0,1] neg_hi:[0,0,1]
	v_pk_fma_f32 v[8:9], v[8:9], v[4:5], v[12:13] op_sel:[0,0,1] op_sel_hi:[1,0,0]
	v_dual_mul_f32 v12, v11, v7 :: v_dual_mov_b32 v8, v11
	s_delay_alu instid0(VALU_DEP_2) | instskip(NEXT) | instid1(VALU_DEP_2)
	v_dual_mov_b32 v15, v9 :: v_dual_mov_b32 v9, v10
	v_pk_fma_f32 v[12:13], v[10:11], v[38:39], v[12:13] op_sel_hi:[1,1,0] neg_lo:[0,0,1] neg_hi:[0,0,1]
	v_mul_f32_e32 v10, v11, v4
	s_delay_alu instid0(VALU_DEP_3) | instskip(NEXT) | instid1(VALU_DEP_2)
	v_pk_add_f32 v[92:93], v[92:93], v[14:15] neg_lo:[0,1] neg_hi:[0,1]
	v_pk_fma_f32 v[8:9], v[8:9], v[38:39], v[10:11] op_sel_hi:[1,1,0]
	s_delay_alu instid0(VALU_DEP_1) | instskip(SKIP_4) | instid1(VALU_DEP_1)
	v_mov_b32_e32 v13, v9
	ds_load_2addr_b64 v[8:11], v202 offset0:25 offset1:26
	v_pk_add_f32 v[114:115], v[114:115], v[12:13] neg_lo:[0,1] neg_hi:[0,1]
	s_wait_dscnt 0x0
	v_pk_mul_f32 v[12:13], v[8:9], v[6:7] op_sel:[0,1]
	v_pk_fma_f32 v[14:15], v[8:9], v[4:5], v[12:13] op_sel:[0,0,1] op_sel_hi:[1,1,0] neg_lo:[0,0,1] neg_hi:[0,0,1]
	v_pk_fma_f32 v[8:9], v[8:9], v[4:5], v[12:13] op_sel:[0,0,1] op_sel_hi:[1,0,0]
	s_delay_alu instid0(VALU_DEP_1) | instskip(SKIP_1) | instid1(VALU_DEP_1)
	v_mov_b32_e32 v15, v9
	v_pk_mul_f32 v[8:9], v[10:11], v[6:7] op_sel:[0,1]
	v_pk_fma_f32 v[12:13], v[10:11], v[4:5], v[8:9] op_sel:[0,0,1] op_sel_hi:[1,1,0] neg_lo:[0,0,1] neg_hi:[0,0,1]
	v_pk_fma_f32 v[8:9], v[10:11], v[4:5], v[8:9] op_sel:[0,0,1] op_sel_hi:[1,0,0]
	s_delay_alu instid0(VALU_DEP_1)
	v_mov_b32_e32 v13, v9
	ds_load_2addr_b64 v[8:11], v202 offset0:27 offset1:28
	v_pk_add_f32 v[110:111], v[110:111], v[14:15] neg_lo:[0,1] neg_hi:[0,1]
	v_pk_add_f32 v[112:113], v[112:113], v[12:13] neg_lo:[0,1] neg_hi:[0,1]
	s_wait_dscnt 0x0
	v_pk_mul_f32 v[12:13], v[8:9], v[6:7] op_sel:[0,1]
	s_delay_alu instid0(VALU_DEP_1) | instskip(SKIP_1) | instid1(VALU_DEP_1)
	v_pk_fma_f32 v[14:15], v[8:9], v[4:5], v[12:13] op_sel:[0,0,1] op_sel_hi:[1,1,0] neg_lo:[0,0,1] neg_hi:[0,0,1]
	v_pk_fma_f32 v[8:9], v[8:9], v[4:5], v[12:13] op_sel:[0,0,1] op_sel_hi:[1,0,0]
	v_mov_b32_e32 v15, v9
	v_pk_mul_f32 v[8:9], v[10:11], v[6:7] op_sel:[0,1]
	s_delay_alu instid0(VALU_DEP_1) | instskip(SKIP_1) | instid1(VALU_DEP_1)
	v_pk_fma_f32 v[12:13], v[10:11], v[4:5], v[8:9] op_sel:[0,0,1] op_sel_hi:[1,1,0] neg_lo:[0,0,1] neg_hi:[0,0,1]
	v_pk_fma_f32 v[8:9], v[10:11], v[4:5], v[8:9] op_sel:[0,0,1] op_sel_hi:[1,0,0]
	v_mov_b32_e32 v13, v9
	ds_load_2addr_b64 v[8:11], v202 offset0:29 offset1:30
	v_pk_add_f32 v[108:109], v[108:109], v[14:15] neg_lo:[0,1] neg_hi:[0,1]
	v_pk_add_f32 v[130:131], v[130:131], v[12:13] neg_lo:[0,1] neg_hi:[0,1]
	s_wait_dscnt 0x0
	v_dual_mul_f32 v12, v9, v7 :: v_dual_mul_f32 v14, v9, v4
	s_delay_alu instid0(VALU_DEP_1) | instskip(NEXT) | instid1(VALU_DEP_2)
	v_pk_fma_f32 v[12:13], v[8:9], v[38:39], v[12:13] op_sel_hi:[1,1,0] neg_lo:[0,0,1] neg_hi:[0,0,1]
	v_pk_fma_f32 v[8:9], v[8:9], v[38:39], v[14:15] op_sel:[1,0,0] op_sel_hi:[0,1,0]
	s_delay_alu instid0(VALU_DEP_1) | instskip(SKIP_1) | instid1(VALU_DEP_2)
	v_mov_b32_e32 v13, v9
	v_pk_mul_f32 v[8:9], v[10:11], v[6:7] op_sel:[0,1]
	v_pk_add_f32 v[126:127], v[126:127], v[12:13] neg_lo:[0,1] neg_hi:[0,1]
	s_delay_alu instid0(VALU_DEP_2) | instskip(SKIP_1) | instid1(VALU_DEP_1)
	v_pk_fma_f32 v[12:13], v[10:11], v[4:5], v[8:9] op_sel:[0,0,1] op_sel_hi:[1,1,0] neg_lo:[0,0,1] neg_hi:[0,0,1]
	v_pk_fma_f32 v[8:9], v[10:11], v[4:5], v[8:9] op_sel:[0,0,1] op_sel_hi:[1,0,0]
	v_mov_b32_e32 v13, v9
	ds_load_2addr_b64 v[8:11], v202 offset0:31 offset1:32
	v_pk_add_f32 v[128:129], v[128:129], v[12:13] neg_lo:[0,1] neg_hi:[0,1]
	s_wait_dscnt 0x0
	v_pk_mul_f32 v[12:13], v[8:9], v[6:7] op_sel:[0,1]
	s_delay_alu instid0(VALU_DEP_1) | instskip(SKIP_1) | instid1(VALU_DEP_1)
	v_pk_fma_f32 v[14:15], v[8:9], v[4:5], v[12:13] op_sel:[0,0,1] op_sel_hi:[1,1,0] neg_lo:[0,0,1] neg_hi:[0,0,1]
	v_pk_fma_f32 v[8:9], v[8:9], v[4:5], v[12:13] op_sel:[0,0,1] op_sel_hi:[1,0,0]
	v_mov_b32_e32 v15, v9
	v_pk_mul_f32 v[8:9], v[10:11], v[6:7] op_sel:[0,1]
	s_delay_alu instid0(VALU_DEP_2) | instskip(NEXT) | instid1(VALU_DEP_2)
	v_pk_add_f32 v[124:125], v[124:125], v[14:15] neg_lo:[0,1] neg_hi:[0,1]
	v_pk_fma_f32 v[12:13], v[10:11], v[4:5], v[8:9] op_sel:[0,0,1] op_sel_hi:[1,1,0] neg_lo:[0,0,1] neg_hi:[0,0,1]
	v_pk_fma_f32 v[8:9], v[10:11], v[4:5], v[8:9] op_sel:[0,0,1] op_sel_hi:[1,0,0]
	s_delay_alu instid0(VALU_DEP_1) | instskip(SKIP_4) | instid1(VALU_DEP_1)
	v_mov_b32_e32 v13, v9
	ds_load_2addr_b64 v[8:11], v202 offset0:33 offset1:34
	v_pk_add_f32 v[146:147], v[146:147], v[12:13] neg_lo:[0,1] neg_hi:[0,1]
	s_wait_dscnt 0x0
	v_pk_mul_f32 v[12:13], v[8:9], v[6:7] op_sel:[0,1]
	v_pk_fma_f32 v[14:15], v[8:9], v[4:5], v[12:13] op_sel:[0,0,1] op_sel_hi:[1,1,0] neg_lo:[0,0,1] neg_hi:[0,0,1]
	v_pk_fma_f32 v[8:9], v[8:9], v[4:5], v[12:13] op_sel:[0,0,1] op_sel_hi:[1,0,0]
	v_dual_mul_f32 v12, v11, v7 :: v_dual_mov_b32 v8, v11
	s_delay_alu instid0(VALU_DEP_2) | instskip(NEXT) | instid1(VALU_DEP_2)
	v_dual_mov_b32 v15, v9 :: v_dual_mov_b32 v9, v10
	v_pk_fma_f32 v[12:13], v[10:11], v[38:39], v[12:13] op_sel_hi:[1,1,0] neg_lo:[0,0,1] neg_hi:[0,0,1]
	v_mul_f32_e32 v10, v11, v4
	s_delay_alu instid0(VALU_DEP_3) | instskip(NEXT) | instid1(VALU_DEP_2)
	v_pk_add_f32 v[142:143], v[142:143], v[14:15] neg_lo:[0,1] neg_hi:[0,1]
	v_pk_fma_f32 v[8:9], v[8:9], v[38:39], v[10:11] op_sel_hi:[1,1,0]
	s_delay_alu instid0(VALU_DEP_1) | instskip(SKIP_4) | instid1(VALU_DEP_1)
	v_mov_b32_e32 v13, v9
	ds_load_2addr_b64 v[8:11], v202 offset0:35 offset1:36
	v_pk_add_f32 v[144:145], v[144:145], v[12:13] neg_lo:[0,1] neg_hi:[0,1]
	s_wait_dscnt 0x0
	v_pk_mul_f32 v[12:13], v[8:9], v[6:7] op_sel:[0,1]
	v_pk_fma_f32 v[14:15], v[8:9], v[4:5], v[12:13] op_sel:[0,0,1] op_sel_hi:[1,1,0] neg_lo:[0,0,1] neg_hi:[0,0,1]
	v_pk_fma_f32 v[8:9], v[8:9], v[4:5], v[12:13] op_sel:[0,0,1] op_sel_hi:[1,0,0]
	s_delay_alu instid0(VALU_DEP_1) | instskip(SKIP_1) | instid1(VALU_DEP_1)
	v_mov_b32_e32 v15, v9
	v_pk_mul_f32 v[8:9], v[10:11], v[6:7] op_sel:[0,1]
	v_pk_fma_f32 v[12:13], v[10:11], v[4:5], v[8:9] op_sel:[0,0,1] op_sel_hi:[1,1,0] neg_lo:[0,0,1] neg_hi:[0,0,1]
	v_pk_fma_f32 v[8:9], v[10:11], v[4:5], v[8:9] op_sel:[0,0,1] op_sel_hi:[1,0,0]
	s_delay_alu instid0(VALU_DEP_1)
	v_mov_b32_e32 v13, v9
	ds_load_2addr_b64 v[8:11], v202 offset0:37 offset1:38
	v_pk_add_f32 v[140:141], v[140:141], v[14:15] neg_lo:[0,1] neg_hi:[0,1]
	v_pk_add_f32 v[162:163], v[162:163], v[12:13] neg_lo:[0,1] neg_hi:[0,1]
	s_wait_dscnt 0x0
	v_pk_mul_f32 v[12:13], v[8:9], v[6:7] op_sel:[0,1]
	s_delay_alu instid0(VALU_DEP_1) | instskip(SKIP_1) | instid1(VALU_DEP_1)
	v_pk_fma_f32 v[14:15], v[8:9], v[4:5], v[12:13] op_sel:[0,0,1] op_sel_hi:[1,1,0] neg_lo:[0,0,1] neg_hi:[0,0,1]
	v_pk_fma_f32 v[8:9], v[8:9], v[4:5], v[12:13] op_sel:[0,0,1] op_sel_hi:[1,0,0]
	v_mov_b32_e32 v15, v9
	v_pk_mul_f32 v[8:9], v[10:11], v[6:7] op_sel:[0,1]
	s_delay_alu instid0(VALU_DEP_1) | instskip(SKIP_1) | instid1(VALU_DEP_1)
	v_pk_fma_f32 v[12:13], v[10:11], v[4:5], v[8:9] op_sel:[0,0,1] op_sel_hi:[1,1,0] neg_lo:[0,0,1] neg_hi:[0,0,1]
	v_pk_fma_f32 v[8:9], v[10:11], v[4:5], v[8:9] op_sel:[0,0,1] op_sel_hi:[1,0,0]
	v_mov_b32_e32 v13, v9
	ds_load_2addr_b64 v[8:11], v202 offset0:39 offset1:40
	v_pk_add_f32 v[158:159], v[158:159], v[14:15] neg_lo:[0,1] neg_hi:[0,1]
	v_pk_add_f32 v[160:161], v[160:161], v[12:13] neg_lo:[0,1] neg_hi:[0,1]
	s_wait_dscnt 0x0
	v_dual_mul_f32 v12, v9, v7 :: v_dual_mul_f32 v14, v9, v4
	s_delay_alu instid0(VALU_DEP_1) | instskip(NEXT) | instid1(VALU_DEP_2)
	v_pk_fma_f32 v[12:13], v[8:9], v[38:39], v[12:13] op_sel_hi:[1,1,0] neg_lo:[0,0,1] neg_hi:[0,0,1]
	v_pk_fma_f32 v[8:9], v[8:9], v[38:39], v[14:15] op_sel:[1,0,0] op_sel_hi:[0,1,0]
	s_delay_alu instid0(VALU_DEP_1) | instskip(SKIP_1) | instid1(VALU_DEP_2)
	v_mov_b32_e32 v13, v9
	v_pk_mul_f32 v[8:9], v[10:11], v[6:7] op_sel:[0,1]
	v_pk_add_f32 v[156:157], v[156:157], v[12:13] neg_lo:[0,1] neg_hi:[0,1]
	s_delay_alu instid0(VALU_DEP_2) | instskip(SKIP_1) | instid1(VALU_DEP_1)
	v_pk_fma_f32 v[12:13], v[10:11], v[4:5], v[8:9] op_sel:[0,0,1] op_sel_hi:[1,1,0] neg_lo:[0,0,1] neg_hi:[0,0,1]
	v_pk_fma_f32 v[8:9], v[10:11], v[4:5], v[8:9] op_sel:[0,0,1] op_sel_hi:[1,0,0]
	v_mov_b32_e32 v13, v9
	ds_load_2addr_b64 v[8:11], v202 offset0:41 offset1:42
	v_pk_add_f32 v[178:179], v[178:179], v[12:13] neg_lo:[0,1] neg_hi:[0,1]
	s_wait_dscnt 0x0
	v_pk_mul_f32 v[12:13], v[8:9], v[6:7] op_sel:[0,1]
	s_delay_alu instid0(VALU_DEP_1) | instskip(SKIP_1) | instid1(VALU_DEP_1)
	v_pk_fma_f32 v[14:15], v[8:9], v[4:5], v[12:13] op_sel:[0,0,1] op_sel_hi:[1,1,0] neg_lo:[0,0,1] neg_hi:[0,0,1]
	v_pk_fma_f32 v[8:9], v[8:9], v[4:5], v[12:13] op_sel:[0,0,1] op_sel_hi:[1,0,0]
	v_mov_b32_e32 v15, v9
	v_pk_mul_f32 v[8:9], v[10:11], v[6:7] op_sel:[0,1]
	s_delay_alu instid0(VALU_DEP_2) | instskip(NEXT) | instid1(VALU_DEP_2)
	v_pk_add_f32 v[174:175], v[174:175], v[14:15] neg_lo:[0,1] neg_hi:[0,1]
	v_pk_fma_f32 v[12:13], v[10:11], v[4:5], v[8:9] op_sel:[0,0,1] op_sel_hi:[1,1,0] neg_lo:[0,0,1] neg_hi:[0,0,1]
	v_pk_fma_f32 v[8:9], v[10:11], v[4:5], v[8:9] op_sel:[0,0,1] op_sel_hi:[1,0,0]
	s_delay_alu instid0(VALU_DEP_1) | instskip(SKIP_4) | instid1(VALU_DEP_1)
	v_mov_b32_e32 v13, v9
	ds_load_2addr_b64 v[8:11], v202 offset0:43 offset1:44
	v_pk_add_f32 v[176:177], v[176:177], v[12:13] neg_lo:[0,1] neg_hi:[0,1]
	s_wait_dscnt 0x0
	v_pk_mul_f32 v[12:13], v[8:9], v[6:7] op_sel:[0,1]
	v_pk_fma_f32 v[14:15], v[8:9], v[4:5], v[12:13] op_sel:[0,0,1] op_sel_hi:[1,1,0] neg_lo:[0,0,1] neg_hi:[0,0,1]
	v_pk_fma_f32 v[8:9], v[8:9], v[4:5], v[12:13] op_sel:[0,0,1] op_sel_hi:[1,0,0]
	v_dual_mul_f32 v12, v11, v7 :: v_dual_mov_b32 v8, v11
	s_delay_alu instid0(VALU_DEP_2) | instskip(NEXT) | instid1(VALU_DEP_2)
	v_dual_mov_b32 v15, v9 :: v_dual_mov_b32 v9, v10
	v_pk_fma_f32 v[12:13], v[10:11], v[38:39], v[12:13] op_sel_hi:[1,1,0] neg_lo:[0,0,1] neg_hi:[0,0,1]
	v_mul_f32_e32 v10, v11, v4
	s_delay_alu instid0(VALU_DEP_3) | instskip(NEXT) | instid1(VALU_DEP_2)
	v_pk_add_f32 v[172:173], v[172:173], v[14:15] neg_lo:[0,1] neg_hi:[0,1]
	v_pk_fma_f32 v[8:9], v[8:9], v[38:39], v[10:11] op_sel_hi:[1,1,0]
	s_delay_alu instid0(VALU_DEP_1) | instskip(SKIP_4) | instid1(VALU_DEP_1)
	v_mov_b32_e32 v13, v9
	ds_load_2addr_b64 v[8:11], v202 offset0:45 offset1:46
	v_pk_add_f32 v[194:195], v[194:195], v[12:13] neg_lo:[0,1] neg_hi:[0,1]
	s_wait_dscnt 0x0
	v_pk_mul_f32 v[12:13], v[8:9], v[6:7] op_sel:[0,1]
	v_pk_fma_f32 v[14:15], v[8:9], v[4:5], v[12:13] op_sel:[0,0,1] op_sel_hi:[1,1,0] neg_lo:[0,0,1] neg_hi:[0,0,1]
	v_pk_fma_f32 v[8:9], v[8:9], v[4:5], v[12:13] op_sel:[0,0,1] op_sel_hi:[1,0,0]
	s_delay_alu instid0(VALU_DEP_1) | instskip(SKIP_1) | instid1(VALU_DEP_1)
	v_mov_b32_e32 v15, v9
	v_pk_mul_f32 v[8:9], v[10:11], v[6:7] op_sel:[0,1]
	v_pk_fma_f32 v[12:13], v[10:11], v[4:5], v[8:9] op_sel:[0,0,1] op_sel_hi:[1,1,0] neg_lo:[0,0,1] neg_hi:[0,0,1]
	v_pk_fma_f32 v[8:9], v[10:11], v[4:5], v[8:9] op_sel:[0,0,1] op_sel_hi:[1,0,0]
	s_delay_alu instid0(VALU_DEP_1)
	v_mov_b32_e32 v13, v9
	ds_load_2addr_b64 v[8:11], v202 offset0:47 offset1:48
	v_pk_add_f32 v[190:191], v[190:191], v[14:15] neg_lo:[0,1] neg_hi:[0,1]
	v_pk_add_f32 v[192:193], v[192:193], v[12:13] neg_lo:[0,1] neg_hi:[0,1]
	s_wait_dscnt 0x0
	v_pk_mul_f32 v[12:13], v[8:9], v[6:7] op_sel:[0,1]
	s_delay_alu instid0(VALU_DEP_1) | instskip(SKIP_1) | instid1(VALU_DEP_1)
	v_pk_fma_f32 v[14:15], v[8:9], v[4:5], v[12:13] op_sel:[0,0,1] op_sel_hi:[1,1,0] neg_lo:[0,0,1] neg_hi:[0,0,1]
	v_pk_fma_f32 v[8:9], v[8:9], v[4:5], v[12:13] op_sel:[0,0,1] op_sel_hi:[1,0,0]
	v_mov_b32_e32 v15, v9
	v_pk_mul_f32 v[8:9], v[10:11], v[6:7] op_sel:[0,1]
	s_delay_alu instid0(VALU_DEP_1) | instskip(SKIP_1) | instid1(VALU_DEP_1)
	v_pk_fma_f32 v[12:13], v[10:11], v[4:5], v[8:9] op_sel:[0,0,1] op_sel_hi:[1,1,0] neg_lo:[0,0,1] neg_hi:[0,0,1]
	v_pk_fma_f32 v[8:9], v[10:11], v[4:5], v[8:9] op_sel:[0,0,1] op_sel_hi:[1,0,0]
	v_mov_b32_e32 v13, v9
	ds_load_2addr_b64 v[8:11], v202 offset0:49 offset1:50
	v_pk_add_f32 v[188:189], v[188:189], v[14:15] neg_lo:[0,1] neg_hi:[0,1]
	v_pk_add_f32 v[212:213], v[212:213], v[12:13] neg_lo:[0,1] neg_hi:[0,1]
	s_wait_dscnt 0x0
	v_dual_mul_f32 v12, v9, v7 :: v_dual_mul_f32 v14, v9, v4
	s_delay_alu instid0(VALU_DEP_1) | instskip(NEXT) | instid1(VALU_DEP_2)
	v_pk_fma_f32 v[12:13], v[8:9], v[38:39], v[12:13] op_sel_hi:[1,1,0] neg_lo:[0,0,1] neg_hi:[0,0,1]
	v_pk_fma_f32 v[8:9], v[8:9], v[38:39], v[14:15] op_sel:[1,0,0] op_sel_hi:[0,1,0]
	s_delay_alu instid0(VALU_DEP_1) | instskip(SKIP_1) | instid1(VALU_DEP_2)
	v_mov_b32_e32 v13, v9
	v_pk_mul_f32 v[8:9], v[10:11], v[6:7] op_sel:[0,1]
	v_pk_add_f32 v[208:209], v[208:209], v[12:13] neg_lo:[0,1] neg_hi:[0,1]
	s_delay_alu instid0(VALU_DEP_2) | instskip(SKIP_1) | instid1(VALU_DEP_1)
	v_pk_fma_f32 v[12:13], v[10:11], v[4:5], v[8:9] op_sel:[0,0,1] op_sel_hi:[1,1,0] neg_lo:[0,0,1] neg_hi:[0,0,1]
	v_pk_fma_f32 v[8:9], v[10:11], v[4:5], v[8:9] op_sel:[0,0,1] op_sel_hi:[1,0,0]
	v_mov_b32_e32 v13, v9
	ds_load_2addr_b64 v[8:11], v202 offset0:51 offset1:52
	v_pk_add_f32 v[210:211], v[210:211], v[12:13] neg_lo:[0,1] neg_hi:[0,1]
	s_wait_dscnt 0x0
	v_pk_mul_f32 v[12:13], v[8:9], v[6:7] op_sel:[0,1]
	s_delay_alu instid0(VALU_DEP_1) | instskip(SKIP_1) | instid1(VALU_DEP_1)
	v_pk_fma_f32 v[14:15], v[8:9], v[4:5], v[12:13] op_sel:[0,0,1] op_sel_hi:[1,1,0] neg_lo:[0,0,1] neg_hi:[0,0,1]
	v_pk_fma_f32 v[8:9], v[8:9], v[4:5], v[12:13] op_sel:[0,0,1] op_sel_hi:[1,0,0]
	v_mov_b32_e32 v15, v9
	v_pk_mul_f32 v[8:9], v[10:11], v[6:7] op_sel:[0,1]
	s_delay_alu instid0(VALU_DEP_2) | instskip(NEXT) | instid1(VALU_DEP_2)
	v_pk_add_f32 v[206:207], v[206:207], v[14:15] neg_lo:[0,1] neg_hi:[0,1]
	v_pk_fma_f32 v[12:13], v[10:11], v[4:5], v[8:9] op_sel:[0,0,1] op_sel_hi:[1,1,0] neg_lo:[0,0,1] neg_hi:[0,0,1]
	v_pk_fma_f32 v[8:9], v[10:11], v[4:5], v[8:9] op_sel:[0,0,1] op_sel_hi:[1,0,0]
	s_delay_alu instid0(VALU_DEP_1) | instskip(SKIP_4) | instid1(VALU_DEP_1)
	v_mov_b32_e32 v13, v9
	ds_load_2addr_b64 v[8:11], v202 offset0:53 offset1:54
	v_pk_add_f32 v[232:233], v[232:233], v[12:13] neg_lo:[0,1] neg_hi:[0,1]
	s_wait_dscnt 0x0
	v_pk_mul_f32 v[12:13], v[8:9], v[6:7] op_sel:[0,1]
	v_pk_fma_f32 v[14:15], v[8:9], v[4:5], v[12:13] op_sel:[0,0,1] op_sel_hi:[1,1,0] neg_lo:[0,0,1] neg_hi:[0,0,1]
	v_pk_fma_f32 v[8:9], v[8:9], v[4:5], v[12:13] op_sel:[0,0,1] op_sel_hi:[1,0,0]
	v_dual_mul_f32 v12, v11, v7 :: v_dual_mov_b32 v8, v11
	s_delay_alu instid0(VALU_DEP_2) | instskip(NEXT) | instid1(VALU_DEP_2)
	v_dual_mov_b32 v15, v9 :: v_dual_mov_b32 v9, v10
	v_pk_fma_f32 v[12:13], v[10:11], v[38:39], v[12:13] op_sel_hi:[1,1,0] neg_lo:[0,0,1] neg_hi:[0,0,1]
	v_mul_f32_e32 v10, v11, v4
	s_delay_alu instid0(VALU_DEP_3) | instskip(NEXT) | instid1(VALU_DEP_2)
	v_pk_add_f32 v[226:227], v[226:227], v[14:15] neg_lo:[0,1] neg_hi:[0,1]
	v_pk_fma_f32 v[8:9], v[8:9], v[38:39], v[10:11] op_sel_hi:[1,1,0]
	s_delay_alu instid0(VALU_DEP_1) | instskip(SKIP_4) | instid1(VALU_DEP_1)
	v_mov_b32_e32 v13, v9
	ds_load_2addr_b64 v[8:11], v202 offset0:55 offset1:56
	v_pk_add_f32 v[230:231], v[230:231], v[12:13] neg_lo:[0,1] neg_hi:[0,1]
	s_wait_dscnt 0x0
	v_pk_mul_f32 v[12:13], v[8:9], v[6:7] op_sel:[0,1]
	v_pk_fma_f32 v[14:15], v[8:9], v[4:5], v[12:13] op_sel:[0,0,1] op_sel_hi:[1,1,0] neg_lo:[0,0,1] neg_hi:[0,0,1]
	v_pk_fma_f32 v[8:9], v[8:9], v[4:5], v[12:13] op_sel:[0,0,1] op_sel_hi:[1,0,0]
	s_delay_alu instid0(VALU_DEP_1) | instskip(SKIP_1) | instid1(VALU_DEP_1)
	v_mov_b32_e32 v15, v9
	v_pk_mul_f32 v[8:9], v[10:11], v[6:7] op_sel:[0,1]
	v_pk_fma_f32 v[12:13], v[10:11], v[4:5], v[8:9] op_sel:[0,0,1] op_sel_hi:[1,1,0] neg_lo:[0,0,1] neg_hi:[0,0,1]
	v_pk_fma_f32 v[8:9], v[10:11], v[4:5], v[8:9] op_sel:[0,0,1] op_sel_hi:[1,0,0]
	s_delay_alu instid0(VALU_DEP_1)
	v_mov_b32_e32 v13, v9
	ds_load_2addr_b64 v[8:11], v202 offset0:57 offset1:58
	v_pk_add_f32 v[224:225], v[224:225], v[14:15] neg_lo:[0,1] neg_hi:[0,1]
	v_pk_add_f32 v[228:229], v[228:229], v[12:13] neg_lo:[0,1] neg_hi:[0,1]
	s_wait_dscnt 0x0
	v_pk_mul_f32 v[12:13], v[8:9], v[6:7] op_sel:[0,1]
	v_mul_f32_e32 v6, v11, v7
	s_delay_alu instid0(VALU_DEP_2) | instskip(SKIP_2) | instid1(VALU_DEP_4)
	v_pk_fma_f32 v[14:15], v[8:9], v[4:5], v[12:13] op_sel:[0,0,1] op_sel_hi:[1,1,0] neg_lo:[0,0,1] neg_hi:[0,0,1]
	v_pk_fma_f32 v[8:9], v[8:9], v[4:5], v[12:13] op_sel:[0,0,1] op_sel_hi:[1,0,0]
	v_dual_mov_b32 v8, v11 :: v_dual_mul_f32 v4, v11, v4
	v_pk_fma_f32 v[6:7], v[10:11], v[38:39], v[6:7] op_sel_hi:[1,1,0] neg_lo:[0,0,1] neg_hi:[0,0,1]
	s_delay_alu instid0(VALU_DEP_3) | instskip(NEXT) | instid1(VALU_DEP_1)
	v_dual_mov_b32 v15, v9 :: v_dual_mov_b32 v9, v10
	v_pk_add_f32 v[234:235], v[234:235], v[14:15] neg_lo:[0,1] neg_hi:[0,1]
	s_delay_alu instid0(VALU_DEP_2) | instskip(NEXT) | instid1(VALU_DEP_1)
	v_pk_fma_f32 v[4:5], v[8:9], v[38:39], v[4:5] op_sel_hi:[1,1,0]
	v_mov_b32_e32 v7, v5
	s_delay_alu instid0(VALU_DEP_1)
	v_pk_add_f32 v[236:237], v[236:237], v[6:7] neg_lo:[0,1] neg_hi:[0,1]
.LBB117_100:
	s_or_b32 exec_lo, exec_lo, s1
	s_delay_alu instid0(SALU_CYCLE_1)
	s_mov_b32 s2, exec_lo
	s_wait_dscnt 0x0
	s_barrier_signal -1
	s_barrier_wait -1
	v_cmpx_eq_u32_e32 11, v200
	s_cbranch_execz .LBB117_107
; %bb.101:
	v_dual_mov_b32 v4, v66 :: v_dual_mov_b32 v5, v67
	v_dual_mov_b32 v6, v62 :: v_dual_mov_b32 v7, v63
	ds_store_b64 v201, v[34:35]
	ds_store_2addr_b64 v202, v[4:5], v[6:7] offset0:12 offset1:13
	v_dual_mov_b32 v4, v64 :: v_dual_mov_b32 v5, v65
	v_dual_mov_b32 v6, v60 :: v_dual_mov_b32 v7, v61
	ds_store_2addr_b64 v202, v[4:5], v[6:7] offset0:14 offset1:15
	v_dual_mov_b32 v4, v82 :: v_dual_mov_b32 v5, v83
	v_dual_mov_b32 v6, v78 :: v_dual_mov_b32 v7, v79
	;; [unrolled: 3-line block ×22, first 2 shown]
	ds_store_2addr_b64 v202, v[4:5], v[6:7] offset0:56 offset1:57
	ds_store_b64 v202, v[236:237] offset:464
	ds_load_b64 v[4:5], v201
	s_wait_dscnt 0x0
	v_cmp_neq_f32_e32 vcc_lo, 0, v4
	v_cmp_neq_f32_e64 s1, 0, v5
	s_or_b32 s1, vcc_lo, s1
	s_delay_alu instid0(SALU_CYCLE_1)
	s_and_b32 exec_lo, exec_lo, s1
	s_cbranch_execz .LBB117_107
; %bb.102:
	v_cmp_ngt_f32_e64 s1, |v4|, |v5|
                                        ; implicit-def: $vgpr6_vgpr7
	s_and_saveexec_b32 s4, s1
	s_delay_alu instid0(SALU_CYCLE_1)
	s_xor_b32 s1, exec_lo, s4
	s_cbranch_execz .LBB117_104
; %bb.103:
	v_div_scale_f32 v6, null, v5, v5, v4
	v_div_scale_f32 v9, vcc_lo, v4, v5, v4
	s_delay_alu instid0(VALU_DEP_2) | instskip(SKIP_1) | instid1(TRANS32_DEP_1)
	v_rcp_f32_e32 v7, v6
	v_nop
	v_fma_f32 v8, -v6, v7, 1.0
	s_delay_alu instid0(VALU_DEP_1) | instskip(NEXT) | instid1(VALU_DEP_1)
	v_fmac_f32_e32 v7, v8, v7
	v_mul_f32_e32 v8, v9, v7
	s_delay_alu instid0(VALU_DEP_1) | instskip(NEXT) | instid1(VALU_DEP_1)
	v_fma_f32 v10, -v6, v8, v9
	v_fmac_f32_e32 v8, v10, v7
	s_delay_alu instid0(VALU_DEP_1) | instskip(NEXT) | instid1(VALU_DEP_1)
	v_fma_f32 v6, -v6, v8, v9
	v_div_fmas_f32 v6, v6, v7, v8
	s_delay_alu instid0(VALU_DEP_1) | instskip(NEXT) | instid1(VALU_DEP_1)
	v_div_fixup_f32 v6, v6, v5, v4
	v_fmac_f32_e32 v5, v4, v6
	s_delay_alu instid0(VALU_DEP_1) | instskip(SKIP_1) | instid1(VALU_DEP_2)
	v_div_scale_f32 v4, null, v5, v5, 1.0
	v_div_scale_f32 v9, vcc_lo, 1.0, v5, 1.0
	v_rcp_f32_e32 v7, v4
	v_nop
	s_delay_alu instid0(TRANS32_DEP_1) | instskip(NEXT) | instid1(VALU_DEP_1)
	v_fma_f32 v8, -v4, v7, 1.0
	v_fmac_f32_e32 v7, v8, v7
	s_delay_alu instid0(VALU_DEP_1) | instskip(NEXT) | instid1(VALU_DEP_1)
	v_mul_f32_e32 v8, v9, v7
	v_fma_f32 v10, -v4, v8, v9
	s_delay_alu instid0(VALU_DEP_1) | instskip(NEXT) | instid1(VALU_DEP_1)
	v_fmac_f32_e32 v8, v10, v7
	v_fma_f32 v4, -v4, v8, v9
	s_delay_alu instid0(VALU_DEP_1) | instskip(NEXT) | instid1(VALU_DEP_1)
	v_div_fmas_f32 v4, v4, v7, v8
	v_div_fixup_f32 v4, v4, v5, 1.0
	s_delay_alu instid0(VALU_DEP_1)
	v_mul_f32_e32 v6, v6, v4
	v_xor_b32_e32 v7, 0x80000000, v4
                                        ; implicit-def: $vgpr4_vgpr5
.LBB117_104:
	s_and_not1_saveexec_b32 s1, s1
	s_cbranch_execz .LBB117_106
; %bb.105:
	v_div_scale_f32 v6, null, v4, v4, v5
	v_div_scale_f32 v9, vcc_lo, v5, v4, v5
	s_delay_alu instid0(VALU_DEP_2) | instskip(SKIP_1) | instid1(TRANS32_DEP_1)
	v_rcp_f32_e32 v7, v6
	v_nop
	v_fma_f32 v8, -v6, v7, 1.0
	s_delay_alu instid0(VALU_DEP_1) | instskip(NEXT) | instid1(VALU_DEP_1)
	v_fmac_f32_e32 v7, v8, v7
	v_mul_f32_e32 v8, v9, v7
	s_delay_alu instid0(VALU_DEP_1) | instskip(NEXT) | instid1(VALU_DEP_1)
	v_fma_f32 v10, -v6, v8, v9
	v_fmac_f32_e32 v8, v10, v7
	s_delay_alu instid0(VALU_DEP_1) | instskip(NEXT) | instid1(VALU_DEP_1)
	v_fma_f32 v6, -v6, v8, v9
	v_div_fmas_f32 v6, v6, v7, v8
	s_delay_alu instid0(VALU_DEP_1) | instskip(NEXT) | instid1(VALU_DEP_1)
	v_div_fixup_f32 v7, v6, v4, v5
	v_fmac_f32_e32 v4, v5, v7
	s_delay_alu instid0(VALU_DEP_1) | instskip(NEXT) | instid1(VALU_DEP_1)
	v_div_scale_f32 v5, null, v4, v4, 1.0
	v_rcp_f32_e32 v6, v5
	v_nop
	s_delay_alu instid0(TRANS32_DEP_1) | instskip(NEXT) | instid1(VALU_DEP_1)
	v_fma_f32 v8, -v5, v6, 1.0
	v_fmac_f32_e32 v6, v8, v6
	v_div_scale_f32 v8, vcc_lo, 1.0, v4, 1.0
	s_delay_alu instid0(VALU_DEP_1) | instskip(NEXT) | instid1(VALU_DEP_1)
	v_mul_f32_e32 v9, v8, v6
	v_fma_f32 v10, -v5, v9, v8
	s_delay_alu instid0(VALU_DEP_1) | instskip(NEXT) | instid1(VALU_DEP_1)
	v_fmac_f32_e32 v9, v10, v6
	v_fma_f32 v5, -v5, v9, v8
	s_delay_alu instid0(VALU_DEP_1) | instskip(NEXT) | instid1(VALU_DEP_1)
	v_div_fmas_f32 v5, v5, v6, v9
	v_div_fixup_f32 v6, v5, v4, 1.0
	s_delay_alu instid0(VALU_DEP_1)
	v_mul_f32_e64 v7, v7, -v6
.LBB117_106:
	s_or_b32 exec_lo, exec_lo, s1
	ds_store_b64 v201, v[6:7]
.LBB117_107:
	s_or_b32 exec_lo, exec_lo, s2
	s_wait_dscnt 0x0
	s_barrier_signal -1
	s_barrier_wait -1
	ds_load_b64 v[4:5], v201
	s_mov_b32 s1, exec_lo
	v_cmpx_lt_u32_e32 11, v200
	s_cbranch_execz .LBB117_109
; %bb.108:
	ds_load_2addr_b64 v[10:13], v202 offset0:12 offset1:13
	s_wait_dscnt 0x1
	v_pk_mul_f32 v[8:9], v[4:5], v[34:35] op_sel:[1,1] op_sel_hi:[0,1]
	s_delay_alu instid0(VALU_DEP_1) | instskip(SKIP_1) | instid1(VALU_DEP_1)
	v_pk_fma_f32 v[6:7], v[4:5], v[34:35], v[8:9] op_sel_hi:[1,0,1] neg_lo:[0,0,1] neg_hi:[0,0,1]
	v_pk_fma_f32 v[8:9], v[4:5], v[34:35], v[8:9] op_sel_hi:[1,0,1]
	v_dual_mov_b32 v34, v6 :: v_dual_mov_b32 v35, v9
	s_wait_dscnt 0x0
	s_delay_alu instid0(VALU_DEP_2) | instskip(NEXT) | instid1(VALU_DEP_1)
	v_pk_mul_f32 v[14:15], v[10:11], v[8:9] op_sel:[0,1]
	v_pk_fma_f32 v[18:19], v[10:11], v[6:7], v[14:15] op_sel:[0,0,1] op_sel_hi:[1,1,0] neg_lo:[0,0,1] neg_hi:[0,0,1]
	v_pk_fma_f32 v[10:11], v[10:11], v[6:7], v[14:15] op_sel:[0,0,1] op_sel_hi:[1,0,0]
	s_delay_alu instid0(VALU_DEP_1) | instskip(SKIP_1) | instid1(VALU_DEP_1)
	v_mov_b32_e32 v19, v11
	v_pk_mul_f32 v[10:11], v[12:13], v[8:9] op_sel:[0,1]
	v_pk_fma_f32 v[14:15], v[12:13], v[6:7], v[10:11] op_sel:[0,0,1] op_sel_hi:[1,1,0] neg_lo:[0,0,1] neg_hi:[0,0,1]
	v_pk_fma_f32 v[10:11], v[12:13], v[6:7], v[10:11] op_sel:[0,0,1] op_sel_hi:[1,0,0]
	s_delay_alu instid0(VALU_DEP_1)
	v_mov_b32_e32 v15, v11
	ds_load_2addr_b64 v[10:13], v202 offset0:14 offset1:15
	v_pk_add_f32 v[66:67], v[66:67], v[18:19] neg_lo:[0,1] neg_hi:[0,1]
	v_pk_add_f32 v[62:63], v[62:63], v[14:15] neg_lo:[0,1] neg_hi:[0,1]
	s_wait_dscnt 0x0
	v_pk_mul_f32 v[14:15], v[10:11], v[8:9] op_sel:[0,1]
	s_delay_alu instid0(VALU_DEP_1) | instskip(SKIP_2) | instid1(VALU_DEP_2)
	v_pk_fma_f32 v[18:19], v[10:11], v[6:7], v[14:15] op_sel:[0,0,1] op_sel_hi:[1,1,0] neg_lo:[0,0,1] neg_hi:[0,0,1]
	v_pk_fma_f32 v[10:11], v[10:11], v[6:7], v[14:15] op_sel:[0,0,1] op_sel_hi:[1,0,0]
	v_dual_mul_f32 v14, v13, v9 :: v_dual_mov_b32 v10, v13
	v_dual_mov_b32 v19, v11 :: v_dual_mov_b32 v11, v12
	s_delay_alu instid0(VALU_DEP_2) | instskip(SKIP_1) | instid1(VALU_DEP_3)
	v_pk_fma_f32 v[14:15], v[12:13], v[34:35], v[14:15] op_sel_hi:[1,1,0] neg_lo:[0,0,1] neg_hi:[0,0,1]
	v_mul_f32_e32 v12, v13, v6
	v_pk_add_f32 v[64:65], v[64:65], v[18:19] neg_lo:[0,1] neg_hi:[0,1]
	s_delay_alu instid0(VALU_DEP_2) | instskip(NEXT) | instid1(VALU_DEP_1)
	v_pk_fma_f32 v[10:11], v[10:11], v[34:35], v[12:13] op_sel_hi:[1,1,0]
	v_mov_b32_e32 v15, v11
	ds_load_2addr_b64 v[10:13], v202 offset0:16 offset1:17
	v_pk_add_f32 v[60:61], v[60:61], v[14:15] neg_lo:[0,1] neg_hi:[0,1]
	s_wait_dscnt 0x0
	v_pk_mul_f32 v[14:15], v[10:11], v[8:9] op_sel:[0,1]
	s_delay_alu instid0(VALU_DEP_1) | instskip(SKIP_1) | instid1(VALU_DEP_1)
	v_pk_fma_f32 v[18:19], v[10:11], v[6:7], v[14:15] op_sel:[0,0,1] op_sel_hi:[1,1,0] neg_lo:[0,0,1] neg_hi:[0,0,1]
	v_pk_fma_f32 v[10:11], v[10:11], v[6:7], v[14:15] op_sel:[0,0,1] op_sel_hi:[1,0,0]
	v_mov_b32_e32 v19, v11
	v_pk_mul_f32 v[10:11], v[12:13], v[8:9] op_sel:[0,1]
	s_delay_alu instid0(VALU_DEP_1) | instskip(SKIP_1) | instid1(VALU_DEP_1)
	v_pk_fma_f32 v[14:15], v[12:13], v[6:7], v[10:11] op_sel:[0,0,1] op_sel_hi:[1,1,0] neg_lo:[0,0,1] neg_hi:[0,0,1]
	v_pk_fma_f32 v[10:11], v[12:13], v[6:7], v[10:11] op_sel:[0,0,1] op_sel_hi:[1,0,0]
	v_mov_b32_e32 v15, v11
	ds_load_2addr_b64 v[10:13], v202 offset0:18 offset1:19
	v_pk_add_f32 v[82:83], v[82:83], v[18:19] neg_lo:[0,1] neg_hi:[0,1]
	v_pk_add_f32 v[78:79], v[78:79], v[14:15] neg_lo:[0,1] neg_hi:[0,1]
	s_wait_dscnt 0x0
	v_pk_mul_f32 v[14:15], v[10:11], v[8:9] op_sel:[0,1]
	s_delay_alu instid0(VALU_DEP_1) | instskip(SKIP_1) | instid1(VALU_DEP_1)
	v_pk_fma_f32 v[18:19], v[10:11], v[6:7], v[14:15] op_sel:[0,0,1] op_sel_hi:[1,1,0] neg_lo:[0,0,1] neg_hi:[0,0,1]
	v_pk_fma_f32 v[10:11], v[10:11], v[6:7], v[14:15] op_sel:[0,0,1] op_sel_hi:[1,0,0]
	v_mov_b32_e32 v19, v11
	v_pk_mul_f32 v[10:11], v[12:13], v[8:9] op_sel:[0,1]
	s_delay_alu instid0(VALU_DEP_1) | instskip(SKIP_1) | instid1(VALU_DEP_1)
	v_pk_fma_f32 v[14:15], v[12:13], v[6:7], v[10:11] op_sel:[0,0,1] op_sel_hi:[1,1,0] neg_lo:[0,0,1] neg_hi:[0,0,1]
	v_pk_fma_f32 v[10:11], v[12:13], v[6:7], v[10:11] op_sel:[0,0,1] op_sel_hi:[1,0,0]
	v_mov_b32_e32 v15, v11
	ds_load_2addr_b64 v[10:13], v202 offset0:20 offset1:21
	v_pk_add_f32 v[80:81], v[80:81], v[18:19] neg_lo:[0,1] neg_hi:[0,1]
	v_pk_add_f32 v[76:77], v[76:77], v[14:15] neg_lo:[0,1] neg_hi:[0,1]
	s_wait_dscnt 0x0
	v_dual_mul_f32 v14, v11, v9 :: v_dual_mul_f32 v18, v11, v6
	s_delay_alu instid0(VALU_DEP_1) | instskip(NEXT) | instid1(VALU_DEP_2)
	v_pk_fma_f32 v[14:15], v[10:11], v[34:35], v[14:15] op_sel_hi:[1,1,0] neg_lo:[0,0,1] neg_hi:[0,0,1]
	v_pk_fma_f32 v[10:11], v[10:11], v[34:35], v[18:19] op_sel:[1,0,0] op_sel_hi:[0,1,0]
	s_delay_alu instid0(VALU_DEP_1) | instskip(SKIP_1) | instid1(VALU_DEP_2)
	v_mov_b32_e32 v15, v11
	v_pk_mul_f32 v[10:11], v[12:13], v[8:9] op_sel:[0,1]
	v_pk_add_f32 v[98:99], v[98:99], v[14:15] neg_lo:[0,1] neg_hi:[0,1]
	s_delay_alu instid0(VALU_DEP_2) | instskip(SKIP_1) | instid1(VALU_DEP_1)
	v_pk_fma_f32 v[14:15], v[12:13], v[6:7], v[10:11] op_sel:[0,0,1] op_sel_hi:[1,1,0] neg_lo:[0,0,1] neg_hi:[0,0,1]
	v_pk_fma_f32 v[10:11], v[12:13], v[6:7], v[10:11] op_sel:[0,0,1] op_sel_hi:[1,0,0]
	v_mov_b32_e32 v15, v11
	ds_load_2addr_b64 v[10:13], v202 offset0:22 offset1:23
	v_pk_add_f32 v[94:95], v[94:95], v[14:15] neg_lo:[0,1] neg_hi:[0,1]
	s_wait_dscnt 0x0
	v_pk_mul_f32 v[14:15], v[10:11], v[8:9] op_sel:[0,1]
	s_delay_alu instid0(VALU_DEP_1) | instskip(SKIP_1) | instid1(VALU_DEP_1)
	v_pk_fma_f32 v[18:19], v[10:11], v[6:7], v[14:15] op_sel:[0,0,1] op_sel_hi:[1,1,0] neg_lo:[0,0,1] neg_hi:[0,0,1]
	v_pk_fma_f32 v[10:11], v[10:11], v[6:7], v[14:15] op_sel:[0,0,1] op_sel_hi:[1,0,0]
	v_mov_b32_e32 v19, v11
	v_pk_mul_f32 v[10:11], v[12:13], v[8:9] op_sel:[0,1]
	s_delay_alu instid0(VALU_DEP_2) | instskip(NEXT) | instid1(VALU_DEP_2)
	v_pk_add_f32 v[96:97], v[96:97], v[18:19] neg_lo:[0,1] neg_hi:[0,1]
	v_pk_fma_f32 v[14:15], v[12:13], v[6:7], v[10:11] op_sel:[0,0,1] op_sel_hi:[1,1,0] neg_lo:[0,0,1] neg_hi:[0,0,1]
	v_pk_fma_f32 v[10:11], v[12:13], v[6:7], v[10:11] op_sel:[0,0,1] op_sel_hi:[1,0,0]
	s_delay_alu instid0(VALU_DEP_1) | instskip(SKIP_4) | instid1(VALU_DEP_1)
	v_mov_b32_e32 v15, v11
	ds_load_2addr_b64 v[10:13], v202 offset0:24 offset1:25
	v_pk_add_f32 v[92:93], v[92:93], v[14:15] neg_lo:[0,1] neg_hi:[0,1]
	s_wait_dscnt 0x0
	v_pk_mul_f32 v[14:15], v[10:11], v[8:9] op_sel:[0,1]
	v_pk_fma_f32 v[18:19], v[10:11], v[6:7], v[14:15] op_sel:[0,0,1] op_sel_hi:[1,1,0] neg_lo:[0,0,1] neg_hi:[0,0,1]
	v_pk_fma_f32 v[10:11], v[10:11], v[6:7], v[14:15] op_sel:[0,0,1] op_sel_hi:[1,0,0]
	v_dual_mul_f32 v14, v13, v9 :: v_dual_mov_b32 v10, v13
	s_delay_alu instid0(VALU_DEP_2) | instskip(NEXT) | instid1(VALU_DEP_2)
	v_dual_mov_b32 v19, v11 :: v_dual_mov_b32 v11, v12
	v_pk_fma_f32 v[14:15], v[12:13], v[34:35], v[14:15] op_sel_hi:[1,1,0] neg_lo:[0,0,1] neg_hi:[0,0,1]
	v_mul_f32_e32 v12, v13, v6
	s_delay_alu instid0(VALU_DEP_3) | instskip(NEXT) | instid1(VALU_DEP_2)
	v_pk_add_f32 v[114:115], v[114:115], v[18:19] neg_lo:[0,1] neg_hi:[0,1]
	v_pk_fma_f32 v[10:11], v[10:11], v[34:35], v[12:13] op_sel_hi:[1,1,0]
	s_delay_alu instid0(VALU_DEP_1) | instskip(SKIP_4) | instid1(VALU_DEP_1)
	v_mov_b32_e32 v15, v11
	ds_load_2addr_b64 v[10:13], v202 offset0:26 offset1:27
	v_pk_add_f32 v[110:111], v[110:111], v[14:15] neg_lo:[0,1] neg_hi:[0,1]
	s_wait_dscnt 0x0
	v_pk_mul_f32 v[14:15], v[10:11], v[8:9] op_sel:[0,1]
	v_pk_fma_f32 v[18:19], v[10:11], v[6:7], v[14:15] op_sel:[0,0,1] op_sel_hi:[1,1,0] neg_lo:[0,0,1] neg_hi:[0,0,1]
	v_pk_fma_f32 v[10:11], v[10:11], v[6:7], v[14:15] op_sel:[0,0,1] op_sel_hi:[1,0,0]
	s_delay_alu instid0(VALU_DEP_1) | instskip(SKIP_1) | instid1(VALU_DEP_1)
	v_mov_b32_e32 v19, v11
	v_pk_mul_f32 v[10:11], v[12:13], v[8:9] op_sel:[0,1]
	v_pk_fma_f32 v[14:15], v[12:13], v[6:7], v[10:11] op_sel:[0,0,1] op_sel_hi:[1,1,0] neg_lo:[0,0,1] neg_hi:[0,0,1]
	v_pk_fma_f32 v[10:11], v[12:13], v[6:7], v[10:11] op_sel:[0,0,1] op_sel_hi:[1,0,0]
	s_delay_alu instid0(VALU_DEP_1)
	v_mov_b32_e32 v15, v11
	ds_load_2addr_b64 v[10:13], v202 offset0:28 offset1:29
	v_pk_add_f32 v[112:113], v[112:113], v[18:19] neg_lo:[0,1] neg_hi:[0,1]
	v_pk_add_f32 v[108:109], v[108:109], v[14:15] neg_lo:[0,1] neg_hi:[0,1]
	s_wait_dscnt 0x0
	v_pk_mul_f32 v[14:15], v[10:11], v[8:9] op_sel:[0,1]
	s_delay_alu instid0(VALU_DEP_1) | instskip(SKIP_1) | instid1(VALU_DEP_1)
	v_pk_fma_f32 v[18:19], v[10:11], v[6:7], v[14:15] op_sel:[0,0,1] op_sel_hi:[1,1,0] neg_lo:[0,0,1] neg_hi:[0,0,1]
	v_pk_fma_f32 v[10:11], v[10:11], v[6:7], v[14:15] op_sel:[0,0,1] op_sel_hi:[1,0,0]
	v_mov_b32_e32 v19, v11
	v_pk_mul_f32 v[10:11], v[12:13], v[8:9] op_sel:[0,1]
	s_delay_alu instid0(VALU_DEP_1) | instskip(SKIP_1) | instid1(VALU_DEP_1)
	v_pk_fma_f32 v[14:15], v[12:13], v[6:7], v[10:11] op_sel:[0,0,1] op_sel_hi:[1,1,0] neg_lo:[0,0,1] neg_hi:[0,0,1]
	v_pk_fma_f32 v[10:11], v[12:13], v[6:7], v[10:11] op_sel:[0,0,1] op_sel_hi:[1,0,0]
	v_mov_b32_e32 v15, v11
	ds_load_2addr_b64 v[10:13], v202 offset0:30 offset1:31
	v_pk_add_f32 v[130:131], v[130:131], v[18:19] neg_lo:[0,1] neg_hi:[0,1]
	v_pk_add_f32 v[126:127], v[126:127], v[14:15] neg_lo:[0,1] neg_hi:[0,1]
	s_wait_dscnt 0x0
	v_dual_mul_f32 v14, v11, v9 :: v_dual_mul_f32 v18, v11, v6
	s_delay_alu instid0(VALU_DEP_1) | instskip(NEXT) | instid1(VALU_DEP_2)
	v_pk_fma_f32 v[14:15], v[10:11], v[34:35], v[14:15] op_sel_hi:[1,1,0] neg_lo:[0,0,1] neg_hi:[0,0,1]
	v_pk_fma_f32 v[10:11], v[10:11], v[34:35], v[18:19] op_sel:[1,0,0] op_sel_hi:[0,1,0]
	s_delay_alu instid0(VALU_DEP_1) | instskip(SKIP_1) | instid1(VALU_DEP_2)
	v_mov_b32_e32 v15, v11
	v_pk_mul_f32 v[10:11], v[12:13], v[8:9] op_sel:[0,1]
	v_pk_add_f32 v[128:129], v[128:129], v[14:15] neg_lo:[0,1] neg_hi:[0,1]
	s_delay_alu instid0(VALU_DEP_2) | instskip(SKIP_1) | instid1(VALU_DEP_1)
	v_pk_fma_f32 v[14:15], v[12:13], v[6:7], v[10:11] op_sel:[0,0,1] op_sel_hi:[1,1,0] neg_lo:[0,0,1] neg_hi:[0,0,1]
	v_pk_fma_f32 v[10:11], v[12:13], v[6:7], v[10:11] op_sel:[0,0,1] op_sel_hi:[1,0,0]
	v_mov_b32_e32 v15, v11
	ds_load_2addr_b64 v[10:13], v202 offset0:32 offset1:33
	v_pk_add_f32 v[124:125], v[124:125], v[14:15] neg_lo:[0,1] neg_hi:[0,1]
	s_wait_dscnt 0x0
	v_pk_mul_f32 v[14:15], v[10:11], v[8:9] op_sel:[0,1]
	s_delay_alu instid0(VALU_DEP_1) | instskip(SKIP_1) | instid1(VALU_DEP_1)
	v_pk_fma_f32 v[18:19], v[10:11], v[6:7], v[14:15] op_sel:[0,0,1] op_sel_hi:[1,1,0] neg_lo:[0,0,1] neg_hi:[0,0,1]
	v_pk_fma_f32 v[10:11], v[10:11], v[6:7], v[14:15] op_sel:[0,0,1] op_sel_hi:[1,0,0]
	v_mov_b32_e32 v19, v11
	v_pk_mul_f32 v[10:11], v[12:13], v[8:9] op_sel:[0,1]
	s_delay_alu instid0(VALU_DEP_2) | instskip(NEXT) | instid1(VALU_DEP_2)
	v_pk_add_f32 v[146:147], v[146:147], v[18:19] neg_lo:[0,1] neg_hi:[0,1]
	v_pk_fma_f32 v[14:15], v[12:13], v[6:7], v[10:11] op_sel:[0,0,1] op_sel_hi:[1,1,0] neg_lo:[0,0,1] neg_hi:[0,0,1]
	v_pk_fma_f32 v[10:11], v[12:13], v[6:7], v[10:11] op_sel:[0,0,1] op_sel_hi:[1,0,0]
	s_delay_alu instid0(VALU_DEP_1) | instskip(SKIP_4) | instid1(VALU_DEP_1)
	v_mov_b32_e32 v15, v11
	ds_load_2addr_b64 v[10:13], v202 offset0:34 offset1:35
	v_pk_add_f32 v[142:143], v[142:143], v[14:15] neg_lo:[0,1] neg_hi:[0,1]
	s_wait_dscnt 0x0
	v_pk_mul_f32 v[14:15], v[10:11], v[8:9] op_sel:[0,1]
	v_pk_fma_f32 v[18:19], v[10:11], v[6:7], v[14:15] op_sel:[0,0,1] op_sel_hi:[1,1,0] neg_lo:[0,0,1] neg_hi:[0,0,1]
	v_pk_fma_f32 v[10:11], v[10:11], v[6:7], v[14:15] op_sel:[0,0,1] op_sel_hi:[1,0,0]
	v_dual_mul_f32 v14, v13, v9 :: v_dual_mov_b32 v10, v13
	s_delay_alu instid0(VALU_DEP_2) | instskip(NEXT) | instid1(VALU_DEP_2)
	v_dual_mov_b32 v19, v11 :: v_dual_mov_b32 v11, v12
	v_pk_fma_f32 v[14:15], v[12:13], v[34:35], v[14:15] op_sel_hi:[1,1,0] neg_lo:[0,0,1] neg_hi:[0,0,1]
	v_mul_f32_e32 v12, v13, v6
	s_delay_alu instid0(VALU_DEP_3) | instskip(NEXT) | instid1(VALU_DEP_2)
	v_pk_add_f32 v[144:145], v[144:145], v[18:19] neg_lo:[0,1] neg_hi:[0,1]
	v_pk_fma_f32 v[10:11], v[10:11], v[34:35], v[12:13] op_sel_hi:[1,1,0]
	s_delay_alu instid0(VALU_DEP_1) | instskip(SKIP_4) | instid1(VALU_DEP_1)
	v_mov_b32_e32 v15, v11
	ds_load_2addr_b64 v[10:13], v202 offset0:36 offset1:37
	v_pk_add_f32 v[140:141], v[140:141], v[14:15] neg_lo:[0,1] neg_hi:[0,1]
	s_wait_dscnt 0x0
	v_pk_mul_f32 v[14:15], v[10:11], v[8:9] op_sel:[0,1]
	v_pk_fma_f32 v[18:19], v[10:11], v[6:7], v[14:15] op_sel:[0,0,1] op_sel_hi:[1,1,0] neg_lo:[0,0,1] neg_hi:[0,0,1]
	v_pk_fma_f32 v[10:11], v[10:11], v[6:7], v[14:15] op_sel:[0,0,1] op_sel_hi:[1,0,0]
	s_delay_alu instid0(VALU_DEP_1) | instskip(SKIP_1) | instid1(VALU_DEP_1)
	v_mov_b32_e32 v19, v11
	v_pk_mul_f32 v[10:11], v[12:13], v[8:9] op_sel:[0,1]
	v_pk_fma_f32 v[14:15], v[12:13], v[6:7], v[10:11] op_sel:[0,0,1] op_sel_hi:[1,1,0] neg_lo:[0,0,1] neg_hi:[0,0,1]
	v_pk_fma_f32 v[10:11], v[12:13], v[6:7], v[10:11] op_sel:[0,0,1] op_sel_hi:[1,0,0]
	s_delay_alu instid0(VALU_DEP_1)
	v_mov_b32_e32 v15, v11
	ds_load_2addr_b64 v[10:13], v202 offset0:38 offset1:39
	v_pk_add_f32 v[162:163], v[162:163], v[18:19] neg_lo:[0,1] neg_hi:[0,1]
	v_pk_add_f32 v[158:159], v[158:159], v[14:15] neg_lo:[0,1] neg_hi:[0,1]
	s_wait_dscnt 0x0
	v_pk_mul_f32 v[14:15], v[10:11], v[8:9] op_sel:[0,1]
	s_delay_alu instid0(VALU_DEP_1) | instskip(SKIP_1) | instid1(VALU_DEP_1)
	v_pk_fma_f32 v[18:19], v[10:11], v[6:7], v[14:15] op_sel:[0,0,1] op_sel_hi:[1,1,0] neg_lo:[0,0,1] neg_hi:[0,0,1]
	v_pk_fma_f32 v[10:11], v[10:11], v[6:7], v[14:15] op_sel:[0,0,1] op_sel_hi:[1,0,0]
	v_mov_b32_e32 v19, v11
	v_pk_mul_f32 v[10:11], v[12:13], v[8:9] op_sel:[0,1]
	s_delay_alu instid0(VALU_DEP_1) | instskip(SKIP_1) | instid1(VALU_DEP_1)
	v_pk_fma_f32 v[14:15], v[12:13], v[6:7], v[10:11] op_sel:[0,0,1] op_sel_hi:[1,1,0] neg_lo:[0,0,1] neg_hi:[0,0,1]
	v_pk_fma_f32 v[10:11], v[12:13], v[6:7], v[10:11] op_sel:[0,0,1] op_sel_hi:[1,0,0]
	v_mov_b32_e32 v15, v11
	ds_load_2addr_b64 v[10:13], v202 offset0:40 offset1:41
	v_pk_add_f32 v[160:161], v[160:161], v[18:19] neg_lo:[0,1] neg_hi:[0,1]
	v_pk_add_f32 v[156:157], v[156:157], v[14:15] neg_lo:[0,1] neg_hi:[0,1]
	s_wait_dscnt 0x0
	v_dual_mul_f32 v14, v11, v9 :: v_dual_mul_f32 v18, v11, v6
	s_delay_alu instid0(VALU_DEP_1) | instskip(NEXT) | instid1(VALU_DEP_2)
	v_pk_fma_f32 v[14:15], v[10:11], v[34:35], v[14:15] op_sel_hi:[1,1,0] neg_lo:[0,0,1] neg_hi:[0,0,1]
	v_pk_fma_f32 v[10:11], v[10:11], v[34:35], v[18:19] op_sel:[1,0,0] op_sel_hi:[0,1,0]
	s_delay_alu instid0(VALU_DEP_1) | instskip(SKIP_1) | instid1(VALU_DEP_2)
	v_mov_b32_e32 v15, v11
	v_pk_mul_f32 v[10:11], v[12:13], v[8:9] op_sel:[0,1]
	v_pk_add_f32 v[178:179], v[178:179], v[14:15] neg_lo:[0,1] neg_hi:[0,1]
	s_delay_alu instid0(VALU_DEP_2) | instskip(SKIP_1) | instid1(VALU_DEP_1)
	v_pk_fma_f32 v[14:15], v[12:13], v[6:7], v[10:11] op_sel:[0,0,1] op_sel_hi:[1,1,0] neg_lo:[0,0,1] neg_hi:[0,0,1]
	v_pk_fma_f32 v[10:11], v[12:13], v[6:7], v[10:11] op_sel:[0,0,1] op_sel_hi:[1,0,0]
	v_mov_b32_e32 v15, v11
	ds_load_2addr_b64 v[10:13], v202 offset0:42 offset1:43
	v_pk_add_f32 v[174:175], v[174:175], v[14:15] neg_lo:[0,1] neg_hi:[0,1]
	s_wait_dscnt 0x0
	v_pk_mul_f32 v[14:15], v[10:11], v[8:9] op_sel:[0,1]
	s_delay_alu instid0(VALU_DEP_1) | instskip(SKIP_1) | instid1(VALU_DEP_1)
	v_pk_fma_f32 v[18:19], v[10:11], v[6:7], v[14:15] op_sel:[0,0,1] op_sel_hi:[1,1,0] neg_lo:[0,0,1] neg_hi:[0,0,1]
	v_pk_fma_f32 v[10:11], v[10:11], v[6:7], v[14:15] op_sel:[0,0,1] op_sel_hi:[1,0,0]
	v_mov_b32_e32 v19, v11
	v_pk_mul_f32 v[10:11], v[12:13], v[8:9] op_sel:[0,1]
	s_delay_alu instid0(VALU_DEP_2) | instskip(NEXT) | instid1(VALU_DEP_2)
	v_pk_add_f32 v[176:177], v[176:177], v[18:19] neg_lo:[0,1] neg_hi:[0,1]
	v_pk_fma_f32 v[14:15], v[12:13], v[6:7], v[10:11] op_sel:[0,0,1] op_sel_hi:[1,1,0] neg_lo:[0,0,1] neg_hi:[0,0,1]
	v_pk_fma_f32 v[10:11], v[12:13], v[6:7], v[10:11] op_sel:[0,0,1] op_sel_hi:[1,0,0]
	s_delay_alu instid0(VALU_DEP_1) | instskip(SKIP_4) | instid1(VALU_DEP_1)
	v_mov_b32_e32 v15, v11
	ds_load_2addr_b64 v[10:13], v202 offset0:44 offset1:45
	v_pk_add_f32 v[172:173], v[172:173], v[14:15] neg_lo:[0,1] neg_hi:[0,1]
	s_wait_dscnt 0x0
	v_pk_mul_f32 v[14:15], v[10:11], v[8:9] op_sel:[0,1]
	v_pk_fma_f32 v[18:19], v[10:11], v[6:7], v[14:15] op_sel:[0,0,1] op_sel_hi:[1,1,0] neg_lo:[0,0,1] neg_hi:[0,0,1]
	v_pk_fma_f32 v[10:11], v[10:11], v[6:7], v[14:15] op_sel:[0,0,1] op_sel_hi:[1,0,0]
	v_dual_mul_f32 v14, v13, v9 :: v_dual_mov_b32 v10, v13
	s_delay_alu instid0(VALU_DEP_2) | instskip(NEXT) | instid1(VALU_DEP_2)
	v_dual_mov_b32 v19, v11 :: v_dual_mov_b32 v11, v12
	v_pk_fma_f32 v[14:15], v[12:13], v[34:35], v[14:15] op_sel_hi:[1,1,0] neg_lo:[0,0,1] neg_hi:[0,0,1]
	v_mul_f32_e32 v12, v13, v6
	s_delay_alu instid0(VALU_DEP_3) | instskip(NEXT) | instid1(VALU_DEP_2)
	v_pk_add_f32 v[194:195], v[194:195], v[18:19] neg_lo:[0,1] neg_hi:[0,1]
	v_pk_fma_f32 v[10:11], v[10:11], v[34:35], v[12:13] op_sel_hi:[1,1,0]
	s_delay_alu instid0(VALU_DEP_1) | instskip(SKIP_4) | instid1(VALU_DEP_1)
	v_mov_b32_e32 v15, v11
	ds_load_2addr_b64 v[10:13], v202 offset0:46 offset1:47
	v_pk_add_f32 v[190:191], v[190:191], v[14:15] neg_lo:[0,1] neg_hi:[0,1]
	s_wait_dscnt 0x0
	v_pk_mul_f32 v[14:15], v[10:11], v[8:9] op_sel:[0,1]
	v_pk_fma_f32 v[18:19], v[10:11], v[6:7], v[14:15] op_sel:[0,0,1] op_sel_hi:[1,1,0] neg_lo:[0,0,1] neg_hi:[0,0,1]
	v_pk_fma_f32 v[10:11], v[10:11], v[6:7], v[14:15] op_sel:[0,0,1] op_sel_hi:[1,0,0]
	s_delay_alu instid0(VALU_DEP_1) | instskip(SKIP_1) | instid1(VALU_DEP_1)
	v_mov_b32_e32 v19, v11
	v_pk_mul_f32 v[10:11], v[12:13], v[8:9] op_sel:[0,1]
	v_pk_fma_f32 v[14:15], v[12:13], v[6:7], v[10:11] op_sel:[0,0,1] op_sel_hi:[1,1,0] neg_lo:[0,0,1] neg_hi:[0,0,1]
	v_pk_fma_f32 v[10:11], v[12:13], v[6:7], v[10:11] op_sel:[0,0,1] op_sel_hi:[1,0,0]
	s_delay_alu instid0(VALU_DEP_1)
	v_mov_b32_e32 v15, v11
	ds_load_2addr_b64 v[10:13], v202 offset0:48 offset1:49
	v_pk_add_f32 v[192:193], v[192:193], v[18:19] neg_lo:[0,1] neg_hi:[0,1]
	v_pk_add_f32 v[188:189], v[188:189], v[14:15] neg_lo:[0,1] neg_hi:[0,1]
	s_wait_dscnt 0x0
	v_pk_mul_f32 v[14:15], v[10:11], v[8:9] op_sel:[0,1]
	s_delay_alu instid0(VALU_DEP_1) | instskip(SKIP_1) | instid1(VALU_DEP_1)
	v_pk_fma_f32 v[18:19], v[10:11], v[6:7], v[14:15] op_sel:[0,0,1] op_sel_hi:[1,1,0] neg_lo:[0,0,1] neg_hi:[0,0,1]
	v_pk_fma_f32 v[10:11], v[10:11], v[6:7], v[14:15] op_sel:[0,0,1] op_sel_hi:[1,0,0]
	v_mov_b32_e32 v19, v11
	v_pk_mul_f32 v[10:11], v[12:13], v[8:9] op_sel:[0,1]
	s_delay_alu instid0(VALU_DEP_1) | instskip(SKIP_1) | instid1(VALU_DEP_1)
	v_pk_fma_f32 v[14:15], v[12:13], v[6:7], v[10:11] op_sel:[0,0,1] op_sel_hi:[1,1,0] neg_lo:[0,0,1] neg_hi:[0,0,1]
	v_pk_fma_f32 v[10:11], v[12:13], v[6:7], v[10:11] op_sel:[0,0,1] op_sel_hi:[1,0,0]
	v_mov_b32_e32 v15, v11
	ds_load_2addr_b64 v[10:13], v202 offset0:50 offset1:51
	v_pk_add_f32 v[212:213], v[212:213], v[18:19] neg_lo:[0,1] neg_hi:[0,1]
	v_pk_add_f32 v[208:209], v[208:209], v[14:15] neg_lo:[0,1] neg_hi:[0,1]
	s_wait_dscnt 0x0
	v_dual_mul_f32 v14, v11, v9 :: v_dual_mul_f32 v18, v11, v6
	s_delay_alu instid0(VALU_DEP_1) | instskip(NEXT) | instid1(VALU_DEP_2)
	v_pk_fma_f32 v[14:15], v[10:11], v[34:35], v[14:15] op_sel_hi:[1,1,0] neg_lo:[0,0,1] neg_hi:[0,0,1]
	v_pk_fma_f32 v[10:11], v[10:11], v[34:35], v[18:19] op_sel:[1,0,0] op_sel_hi:[0,1,0]
	s_delay_alu instid0(VALU_DEP_1) | instskip(SKIP_1) | instid1(VALU_DEP_2)
	v_mov_b32_e32 v15, v11
	v_pk_mul_f32 v[10:11], v[12:13], v[8:9] op_sel:[0,1]
	v_pk_add_f32 v[210:211], v[210:211], v[14:15] neg_lo:[0,1] neg_hi:[0,1]
	s_delay_alu instid0(VALU_DEP_2) | instskip(SKIP_1) | instid1(VALU_DEP_1)
	v_pk_fma_f32 v[14:15], v[12:13], v[6:7], v[10:11] op_sel:[0,0,1] op_sel_hi:[1,1,0] neg_lo:[0,0,1] neg_hi:[0,0,1]
	v_pk_fma_f32 v[10:11], v[12:13], v[6:7], v[10:11] op_sel:[0,0,1] op_sel_hi:[1,0,0]
	v_mov_b32_e32 v15, v11
	ds_load_2addr_b64 v[10:13], v202 offset0:52 offset1:53
	v_pk_add_f32 v[206:207], v[206:207], v[14:15] neg_lo:[0,1] neg_hi:[0,1]
	s_wait_dscnt 0x0
	v_pk_mul_f32 v[14:15], v[10:11], v[8:9] op_sel:[0,1]
	s_delay_alu instid0(VALU_DEP_1) | instskip(SKIP_1) | instid1(VALU_DEP_1)
	v_pk_fma_f32 v[18:19], v[10:11], v[6:7], v[14:15] op_sel:[0,0,1] op_sel_hi:[1,1,0] neg_lo:[0,0,1] neg_hi:[0,0,1]
	v_pk_fma_f32 v[10:11], v[10:11], v[6:7], v[14:15] op_sel:[0,0,1] op_sel_hi:[1,0,0]
	v_mov_b32_e32 v19, v11
	v_pk_mul_f32 v[10:11], v[12:13], v[8:9] op_sel:[0,1]
	s_delay_alu instid0(VALU_DEP_2) | instskip(NEXT) | instid1(VALU_DEP_2)
	v_pk_add_f32 v[232:233], v[232:233], v[18:19] neg_lo:[0,1] neg_hi:[0,1]
	v_pk_fma_f32 v[14:15], v[12:13], v[6:7], v[10:11] op_sel:[0,0,1] op_sel_hi:[1,1,0] neg_lo:[0,0,1] neg_hi:[0,0,1]
	v_pk_fma_f32 v[10:11], v[12:13], v[6:7], v[10:11] op_sel:[0,0,1] op_sel_hi:[1,0,0]
	s_delay_alu instid0(VALU_DEP_1) | instskip(SKIP_4) | instid1(VALU_DEP_1)
	v_mov_b32_e32 v15, v11
	ds_load_2addr_b64 v[10:13], v202 offset0:54 offset1:55
	v_pk_add_f32 v[226:227], v[226:227], v[14:15] neg_lo:[0,1] neg_hi:[0,1]
	s_wait_dscnt 0x0
	v_pk_mul_f32 v[14:15], v[10:11], v[8:9] op_sel:[0,1]
	v_pk_fma_f32 v[18:19], v[10:11], v[6:7], v[14:15] op_sel:[0,0,1] op_sel_hi:[1,1,0] neg_lo:[0,0,1] neg_hi:[0,0,1]
	v_pk_fma_f32 v[10:11], v[10:11], v[6:7], v[14:15] op_sel:[0,0,1] op_sel_hi:[1,0,0]
	v_dual_mul_f32 v14, v13, v9 :: v_dual_mov_b32 v10, v13
	s_delay_alu instid0(VALU_DEP_2) | instskip(NEXT) | instid1(VALU_DEP_2)
	v_dual_mov_b32 v19, v11 :: v_dual_mov_b32 v11, v12
	v_pk_fma_f32 v[14:15], v[12:13], v[34:35], v[14:15] op_sel_hi:[1,1,0] neg_lo:[0,0,1] neg_hi:[0,0,1]
	v_mul_f32_e32 v12, v13, v6
	s_delay_alu instid0(VALU_DEP_3) | instskip(NEXT) | instid1(VALU_DEP_2)
	v_pk_add_f32 v[230:231], v[230:231], v[18:19] neg_lo:[0,1] neg_hi:[0,1]
	v_pk_fma_f32 v[10:11], v[10:11], v[34:35], v[12:13] op_sel_hi:[1,1,0]
	s_delay_alu instid0(VALU_DEP_1) | instskip(SKIP_4) | instid1(VALU_DEP_1)
	v_mov_b32_e32 v15, v11
	ds_load_2addr_b64 v[10:13], v202 offset0:56 offset1:57
	v_pk_add_f32 v[224:225], v[224:225], v[14:15] neg_lo:[0,1] neg_hi:[0,1]
	s_wait_dscnt 0x0
	v_pk_mul_f32 v[14:15], v[10:11], v[8:9] op_sel:[0,1]
	v_pk_fma_f32 v[18:19], v[10:11], v[6:7], v[14:15] op_sel:[0,0,1] op_sel_hi:[1,1,0] neg_lo:[0,0,1] neg_hi:[0,0,1]
	v_pk_fma_f32 v[10:11], v[10:11], v[6:7], v[14:15] op_sel:[0,0,1] op_sel_hi:[1,0,0]
	s_delay_alu instid0(VALU_DEP_1) | instskip(SKIP_1) | instid1(VALU_DEP_1)
	v_mov_b32_e32 v19, v11
	v_pk_mul_f32 v[10:11], v[12:13], v[8:9] op_sel:[0,1]
	v_pk_fma_f32 v[14:15], v[12:13], v[6:7], v[10:11] op_sel:[0,0,1] op_sel_hi:[1,1,0] neg_lo:[0,0,1] neg_hi:[0,0,1]
	v_pk_fma_f32 v[10:11], v[12:13], v[6:7], v[10:11] op_sel:[0,0,1] op_sel_hi:[1,0,0]
	s_delay_alu instid0(VALU_DEP_1)
	v_mov_b32_e32 v15, v11
	ds_load_b64 v[10:11], v202 offset:464
	v_pk_add_f32 v[228:229], v[228:229], v[18:19] neg_lo:[0,1] neg_hi:[0,1]
	v_pk_add_f32 v[234:235], v[234:235], v[14:15] neg_lo:[0,1] neg_hi:[0,1]
	s_wait_dscnt 0x0
	v_pk_mul_f32 v[8:9], v[10:11], v[8:9] op_sel:[0,1]
	s_delay_alu instid0(VALU_DEP_1) | instskip(SKIP_1) | instid1(VALU_DEP_1)
	v_pk_fma_f32 v[12:13], v[10:11], v[6:7], v[8:9] op_sel:[0,0,1] op_sel_hi:[1,1,0] neg_lo:[0,0,1] neg_hi:[0,0,1]
	v_pk_fma_f32 v[6:7], v[10:11], v[6:7], v[8:9] op_sel:[0,0,1] op_sel_hi:[1,0,0]
	v_mov_b32_e32 v13, v7
	s_delay_alu instid0(VALU_DEP_1)
	v_pk_add_f32 v[236:237], v[236:237], v[12:13] neg_lo:[0,1] neg_hi:[0,1]
.LBB117_109:
	s_or_b32 exec_lo, exec_lo, s1
	s_delay_alu instid0(SALU_CYCLE_1)
	s_mov_b32 s2, exec_lo
	s_wait_dscnt 0x0
	s_barrier_signal -1
	s_barrier_wait -1
	v_cmpx_eq_u32_e32 12, v200
	s_cbranch_execz .LBB117_116
; %bb.110:
	ds_store_b64 v201, v[66:67]
	ds_store_2addr_b64 v202, v[62:63], v[64:65] offset0:13 offset1:14
	ds_store_2addr_b64 v202, v[60:61], v[82:83] offset0:15 offset1:16
	;; [unrolled: 1-line block ×23, first 2 shown]
	ds_load_b64 v[6:7], v201
	s_wait_dscnt 0x0
	v_cmp_neq_f32_e32 vcc_lo, 0, v6
	v_cmp_neq_f32_e64 s1, 0, v7
	s_or_b32 s1, vcc_lo, s1
	s_delay_alu instid0(SALU_CYCLE_1)
	s_and_b32 exec_lo, exec_lo, s1
	s_cbranch_execz .LBB117_116
; %bb.111:
	v_cmp_ngt_f32_e64 s1, |v6|, |v7|
                                        ; implicit-def: $vgpr8_vgpr9
	s_and_saveexec_b32 s4, s1
	s_delay_alu instid0(SALU_CYCLE_1)
	s_xor_b32 s1, exec_lo, s4
	s_cbranch_execz .LBB117_113
; %bb.112:
	v_div_scale_f32 v8, null, v7, v7, v6
	v_div_scale_f32 v11, vcc_lo, v6, v7, v6
	s_delay_alu instid0(VALU_DEP_2) | instskip(SKIP_1) | instid1(TRANS32_DEP_1)
	v_rcp_f32_e32 v9, v8
	v_nop
	v_fma_f32 v10, -v8, v9, 1.0
	s_delay_alu instid0(VALU_DEP_1) | instskip(NEXT) | instid1(VALU_DEP_1)
	v_fmac_f32_e32 v9, v10, v9
	v_mul_f32_e32 v10, v11, v9
	s_delay_alu instid0(VALU_DEP_1) | instskip(NEXT) | instid1(VALU_DEP_1)
	v_fma_f32 v12, -v8, v10, v11
	v_fmac_f32_e32 v10, v12, v9
	s_delay_alu instid0(VALU_DEP_1) | instskip(NEXT) | instid1(VALU_DEP_1)
	v_fma_f32 v8, -v8, v10, v11
	v_div_fmas_f32 v8, v8, v9, v10
	s_delay_alu instid0(VALU_DEP_1) | instskip(NEXT) | instid1(VALU_DEP_1)
	v_div_fixup_f32 v8, v8, v7, v6
	v_fmac_f32_e32 v7, v6, v8
	s_delay_alu instid0(VALU_DEP_1) | instskip(SKIP_1) | instid1(VALU_DEP_2)
	v_div_scale_f32 v6, null, v7, v7, 1.0
	v_div_scale_f32 v11, vcc_lo, 1.0, v7, 1.0
	v_rcp_f32_e32 v9, v6
	v_nop
	s_delay_alu instid0(TRANS32_DEP_1) | instskip(NEXT) | instid1(VALU_DEP_1)
	v_fma_f32 v10, -v6, v9, 1.0
	v_fmac_f32_e32 v9, v10, v9
	s_delay_alu instid0(VALU_DEP_1) | instskip(NEXT) | instid1(VALU_DEP_1)
	v_mul_f32_e32 v10, v11, v9
	v_fma_f32 v12, -v6, v10, v11
	s_delay_alu instid0(VALU_DEP_1) | instskip(NEXT) | instid1(VALU_DEP_1)
	v_fmac_f32_e32 v10, v12, v9
	v_fma_f32 v6, -v6, v10, v11
	s_delay_alu instid0(VALU_DEP_1) | instskip(NEXT) | instid1(VALU_DEP_1)
	v_div_fmas_f32 v6, v6, v9, v10
	v_div_fixup_f32 v6, v6, v7, 1.0
	s_delay_alu instid0(VALU_DEP_1)
	v_mul_f32_e32 v8, v8, v6
	v_xor_b32_e32 v9, 0x80000000, v6
                                        ; implicit-def: $vgpr6_vgpr7
.LBB117_113:
	s_and_not1_saveexec_b32 s1, s1
	s_cbranch_execz .LBB117_115
; %bb.114:
	v_div_scale_f32 v8, null, v6, v6, v7
	v_div_scale_f32 v11, vcc_lo, v7, v6, v7
	s_delay_alu instid0(VALU_DEP_2) | instskip(SKIP_1) | instid1(TRANS32_DEP_1)
	v_rcp_f32_e32 v9, v8
	v_nop
	v_fma_f32 v10, -v8, v9, 1.0
	s_delay_alu instid0(VALU_DEP_1) | instskip(NEXT) | instid1(VALU_DEP_1)
	v_fmac_f32_e32 v9, v10, v9
	v_mul_f32_e32 v10, v11, v9
	s_delay_alu instid0(VALU_DEP_1) | instskip(NEXT) | instid1(VALU_DEP_1)
	v_fma_f32 v12, -v8, v10, v11
	v_fmac_f32_e32 v10, v12, v9
	s_delay_alu instid0(VALU_DEP_1) | instskip(NEXT) | instid1(VALU_DEP_1)
	v_fma_f32 v8, -v8, v10, v11
	v_div_fmas_f32 v8, v8, v9, v10
	s_delay_alu instid0(VALU_DEP_1) | instskip(NEXT) | instid1(VALU_DEP_1)
	v_div_fixup_f32 v9, v8, v6, v7
	v_fmac_f32_e32 v6, v7, v9
	s_delay_alu instid0(VALU_DEP_1) | instskip(NEXT) | instid1(VALU_DEP_1)
	v_div_scale_f32 v7, null, v6, v6, 1.0
	v_rcp_f32_e32 v8, v7
	v_nop
	s_delay_alu instid0(TRANS32_DEP_1) | instskip(NEXT) | instid1(VALU_DEP_1)
	v_fma_f32 v10, -v7, v8, 1.0
	v_fmac_f32_e32 v8, v10, v8
	v_div_scale_f32 v10, vcc_lo, 1.0, v6, 1.0
	s_delay_alu instid0(VALU_DEP_1) | instskip(NEXT) | instid1(VALU_DEP_1)
	v_mul_f32_e32 v11, v10, v8
	v_fma_f32 v12, -v7, v11, v10
	s_delay_alu instid0(VALU_DEP_1) | instskip(NEXT) | instid1(VALU_DEP_1)
	v_fmac_f32_e32 v11, v12, v8
	v_fma_f32 v7, -v7, v11, v10
	s_delay_alu instid0(VALU_DEP_1) | instskip(NEXT) | instid1(VALU_DEP_1)
	v_div_fmas_f32 v7, v7, v8, v11
	v_div_fixup_f32 v8, v7, v6, 1.0
	s_delay_alu instid0(VALU_DEP_1)
	v_mul_f32_e64 v9, v9, -v8
.LBB117_115:
	s_or_b32 exec_lo, exec_lo, s1
	ds_store_b64 v201, v[8:9]
.LBB117_116:
	s_or_b32 exec_lo, exec_lo, s2
	s_wait_dscnt 0x0
	s_barrier_signal -1
	s_barrier_wait -1
	ds_load_b64 v[6:7], v201
	s_mov_b32 s1, exec_lo
	v_cmpx_lt_u32_e32 12, v200
	s_cbranch_execz .LBB117_118
; %bb.117:
	ds_load_2addr_b64 v[12:15], v202 offset0:13 offset1:14
	s_wait_dscnt 0x1
	v_pk_mul_f32 v[10:11], v[6:7], v[66:67] op_sel:[1,1] op_sel_hi:[0,1]
	s_delay_alu instid0(VALU_DEP_1) | instskip(SKIP_1) | instid1(VALU_DEP_1)
	v_pk_fma_f32 v[8:9], v[6:7], v[66:67], v[10:11] op_sel_hi:[1,0,1] neg_lo:[0,0,1] neg_hi:[0,0,1]
	v_pk_fma_f32 v[10:11], v[6:7], v[66:67], v[10:11] op_sel_hi:[1,0,1]
	v_dual_mov_b32 v66, v8 :: v_dual_mov_b32 v67, v11
	s_wait_dscnt 0x0
	s_delay_alu instid0(VALU_DEP_2) | instskip(NEXT) | instid1(VALU_DEP_1)
	v_pk_mul_f32 v[18:19], v[12:13], v[10:11] op_sel:[0,1]
	v_pk_fma_f32 v[28:29], v[12:13], v[8:9], v[18:19] op_sel:[0,0,1] op_sel_hi:[1,1,0] neg_lo:[0,0,1] neg_hi:[0,0,1]
	v_pk_fma_f32 v[12:13], v[12:13], v[8:9], v[18:19] op_sel:[0,0,1] op_sel_hi:[1,0,0]
	s_delay_alu instid0(VALU_DEP_1) | instskip(SKIP_1) | instid1(VALU_DEP_1)
	v_mov_b32_e32 v29, v13
	v_pk_mul_f32 v[12:13], v[14:15], v[10:11] op_sel:[0,1]
	v_pk_fma_f32 v[18:19], v[14:15], v[8:9], v[12:13] op_sel:[0,0,1] op_sel_hi:[1,1,0] neg_lo:[0,0,1] neg_hi:[0,0,1]
	v_pk_fma_f32 v[12:13], v[14:15], v[8:9], v[12:13] op_sel:[0,0,1] op_sel_hi:[1,0,0]
	s_delay_alu instid0(VALU_DEP_1)
	v_mov_b32_e32 v19, v13
	ds_load_2addr_b64 v[12:15], v202 offset0:15 offset1:16
	v_pk_add_f32 v[62:63], v[62:63], v[28:29] neg_lo:[0,1] neg_hi:[0,1]
	v_pk_add_f32 v[64:65], v[64:65], v[18:19] neg_lo:[0,1] neg_hi:[0,1]
	s_wait_dscnt 0x0
	v_pk_mul_f32 v[18:19], v[12:13], v[10:11] op_sel:[0,1]
	s_delay_alu instid0(VALU_DEP_1) | instskip(SKIP_2) | instid1(VALU_DEP_2)
	v_pk_fma_f32 v[28:29], v[12:13], v[8:9], v[18:19] op_sel:[0,0,1] op_sel_hi:[1,1,0] neg_lo:[0,0,1] neg_hi:[0,0,1]
	v_pk_fma_f32 v[12:13], v[12:13], v[8:9], v[18:19] op_sel:[0,0,1] op_sel_hi:[1,0,0]
	v_dual_mul_f32 v18, v15, v11 :: v_dual_mov_b32 v12, v15
	v_dual_mov_b32 v29, v13 :: v_dual_mov_b32 v13, v14
	s_delay_alu instid0(VALU_DEP_2) | instskip(SKIP_1) | instid1(VALU_DEP_3)
	v_pk_fma_f32 v[18:19], v[14:15], v[66:67], v[18:19] op_sel_hi:[1,1,0] neg_lo:[0,0,1] neg_hi:[0,0,1]
	v_mul_f32_e32 v14, v15, v8
	v_pk_add_f32 v[60:61], v[60:61], v[28:29] neg_lo:[0,1] neg_hi:[0,1]
	s_delay_alu instid0(VALU_DEP_2) | instskip(NEXT) | instid1(VALU_DEP_1)
	v_pk_fma_f32 v[12:13], v[12:13], v[66:67], v[14:15] op_sel_hi:[1,1,0]
	v_mov_b32_e32 v19, v13
	ds_load_2addr_b64 v[12:15], v202 offset0:17 offset1:18
	v_pk_add_f32 v[82:83], v[82:83], v[18:19] neg_lo:[0,1] neg_hi:[0,1]
	s_wait_dscnt 0x0
	v_pk_mul_f32 v[18:19], v[12:13], v[10:11] op_sel:[0,1]
	s_delay_alu instid0(VALU_DEP_1) | instskip(SKIP_1) | instid1(VALU_DEP_1)
	v_pk_fma_f32 v[28:29], v[12:13], v[8:9], v[18:19] op_sel:[0,0,1] op_sel_hi:[1,1,0] neg_lo:[0,0,1] neg_hi:[0,0,1]
	v_pk_fma_f32 v[12:13], v[12:13], v[8:9], v[18:19] op_sel:[0,0,1] op_sel_hi:[1,0,0]
	v_mov_b32_e32 v29, v13
	v_pk_mul_f32 v[12:13], v[14:15], v[10:11] op_sel:[0,1]
	s_delay_alu instid0(VALU_DEP_1) | instskip(SKIP_1) | instid1(VALU_DEP_1)
	v_pk_fma_f32 v[18:19], v[14:15], v[8:9], v[12:13] op_sel:[0,0,1] op_sel_hi:[1,1,0] neg_lo:[0,0,1] neg_hi:[0,0,1]
	v_pk_fma_f32 v[12:13], v[14:15], v[8:9], v[12:13] op_sel:[0,0,1] op_sel_hi:[1,0,0]
	v_mov_b32_e32 v19, v13
	ds_load_2addr_b64 v[12:15], v202 offset0:19 offset1:20
	v_pk_add_f32 v[78:79], v[78:79], v[28:29] neg_lo:[0,1] neg_hi:[0,1]
	v_pk_add_f32 v[80:81], v[80:81], v[18:19] neg_lo:[0,1] neg_hi:[0,1]
	s_wait_dscnt 0x0
	v_pk_mul_f32 v[18:19], v[12:13], v[10:11] op_sel:[0,1]
	s_delay_alu instid0(VALU_DEP_1) | instskip(SKIP_1) | instid1(VALU_DEP_1)
	v_pk_fma_f32 v[28:29], v[12:13], v[8:9], v[18:19] op_sel:[0,0,1] op_sel_hi:[1,1,0] neg_lo:[0,0,1] neg_hi:[0,0,1]
	v_pk_fma_f32 v[12:13], v[12:13], v[8:9], v[18:19] op_sel:[0,0,1] op_sel_hi:[1,0,0]
	v_mov_b32_e32 v29, v13
	v_pk_mul_f32 v[12:13], v[14:15], v[10:11] op_sel:[0,1]
	s_delay_alu instid0(VALU_DEP_1) | instskip(SKIP_1) | instid1(VALU_DEP_1)
	v_pk_fma_f32 v[18:19], v[14:15], v[8:9], v[12:13] op_sel:[0,0,1] op_sel_hi:[1,1,0] neg_lo:[0,0,1] neg_hi:[0,0,1]
	v_pk_fma_f32 v[12:13], v[14:15], v[8:9], v[12:13] op_sel:[0,0,1] op_sel_hi:[1,0,0]
	v_mov_b32_e32 v19, v13
	ds_load_2addr_b64 v[12:15], v202 offset0:21 offset1:22
	v_pk_add_f32 v[76:77], v[76:77], v[28:29] neg_lo:[0,1] neg_hi:[0,1]
	v_pk_add_f32 v[98:99], v[98:99], v[18:19] neg_lo:[0,1] neg_hi:[0,1]
	s_wait_dscnt 0x0
	v_dual_mul_f32 v18, v13, v11 :: v_dual_mul_f32 v28, v13, v8
	s_delay_alu instid0(VALU_DEP_1) | instskip(NEXT) | instid1(VALU_DEP_2)
	v_pk_fma_f32 v[18:19], v[12:13], v[66:67], v[18:19] op_sel_hi:[1,1,0] neg_lo:[0,0,1] neg_hi:[0,0,1]
	v_pk_fma_f32 v[12:13], v[12:13], v[66:67], v[28:29] op_sel:[1,0,0] op_sel_hi:[0,1,0]
	s_delay_alu instid0(VALU_DEP_1) | instskip(SKIP_1) | instid1(VALU_DEP_2)
	v_mov_b32_e32 v19, v13
	v_pk_mul_f32 v[12:13], v[14:15], v[10:11] op_sel:[0,1]
	v_pk_add_f32 v[94:95], v[94:95], v[18:19] neg_lo:[0,1] neg_hi:[0,1]
	s_delay_alu instid0(VALU_DEP_2) | instskip(SKIP_1) | instid1(VALU_DEP_1)
	v_pk_fma_f32 v[18:19], v[14:15], v[8:9], v[12:13] op_sel:[0,0,1] op_sel_hi:[1,1,0] neg_lo:[0,0,1] neg_hi:[0,0,1]
	v_pk_fma_f32 v[12:13], v[14:15], v[8:9], v[12:13] op_sel:[0,0,1] op_sel_hi:[1,0,0]
	v_mov_b32_e32 v19, v13
	ds_load_2addr_b64 v[12:15], v202 offset0:23 offset1:24
	v_pk_add_f32 v[96:97], v[96:97], v[18:19] neg_lo:[0,1] neg_hi:[0,1]
	s_wait_dscnt 0x0
	v_pk_mul_f32 v[18:19], v[12:13], v[10:11] op_sel:[0,1]
	s_delay_alu instid0(VALU_DEP_1) | instskip(SKIP_1) | instid1(VALU_DEP_1)
	v_pk_fma_f32 v[28:29], v[12:13], v[8:9], v[18:19] op_sel:[0,0,1] op_sel_hi:[1,1,0] neg_lo:[0,0,1] neg_hi:[0,0,1]
	v_pk_fma_f32 v[12:13], v[12:13], v[8:9], v[18:19] op_sel:[0,0,1] op_sel_hi:[1,0,0]
	v_mov_b32_e32 v29, v13
	v_pk_mul_f32 v[12:13], v[14:15], v[10:11] op_sel:[0,1]
	s_delay_alu instid0(VALU_DEP_2) | instskip(NEXT) | instid1(VALU_DEP_2)
	v_pk_add_f32 v[92:93], v[92:93], v[28:29] neg_lo:[0,1] neg_hi:[0,1]
	v_pk_fma_f32 v[18:19], v[14:15], v[8:9], v[12:13] op_sel:[0,0,1] op_sel_hi:[1,1,0] neg_lo:[0,0,1] neg_hi:[0,0,1]
	v_pk_fma_f32 v[12:13], v[14:15], v[8:9], v[12:13] op_sel:[0,0,1] op_sel_hi:[1,0,0]
	s_delay_alu instid0(VALU_DEP_1) | instskip(SKIP_4) | instid1(VALU_DEP_1)
	v_mov_b32_e32 v19, v13
	ds_load_2addr_b64 v[12:15], v202 offset0:25 offset1:26
	v_pk_add_f32 v[114:115], v[114:115], v[18:19] neg_lo:[0,1] neg_hi:[0,1]
	s_wait_dscnt 0x0
	v_pk_mul_f32 v[18:19], v[12:13], v[10:11] op_sel:[0,1]
	v_pk_fma_f32 v[28:29], v[12:13], v[8:9], v[18:19] op_sel:[0,0,1] op_sel_hi:[1,1,0] neg_lo:[0,0,1] neg_hi:[0,0,1]
	v_pk_fma_f32 v[12:13], v[12:13], v[8:9], v[18:19] op_sel:[0,0,1] op_sel_hi:[1,0,0]
	v_dual_mul_f32 v18, v15, v11 :: v_dual_mov_b32 v12, v15
	s_delay_alu instid0(VALU_DEP_2) | instskip(NEXT) | instid1(VALU_DEP_2)
	v_dual_mov_b32 v29, v13 :: v_dual_mov_b32 v13, v14
	v_pk_fma_f32 v[18:19], v[14:15], v[66:67], v[18:19] op_sel_hi:[1,1,0] neg_lo:[0,0,1] neg_hi:[0,0,1]
	v_mul_f32_e32 v14, v15, v8
	s_delay_alu instid0(VALU_DEP_3) | instskip(NEXT) | instid1(VALU_DEP_2)
	v_pk_add_f32 v[110:111], v[110:111], v[28:29] neg_lo:[0,1] neg_hi:[0,1]
	v_pk_fma_f32 v[12:13], v[12:13], v[66:67], v[14:15] op_sel_hi:[1,1,0]
	s_delay_alu instid0(VALU_DEP_1) | instskip(SKIP_4) | instid1(VALU_DEP_1)
	v_mov_b32_e32 v19, v13
	ds_load_2addr_b64 v[12:15], v202 offset0:27 offset1:28
	v_pk_add_f32 v[112:113], v[112:113], v[18:19] neg_lo:[0,1] neg_hi:[0,1]
	s_wait_dscnt 0x0
	v_pk_mul_f32 v[18:19], v[12:13], v[10:11] op_sel:[0,1]
	v_pk_fma_f32 v[28:29], v[12:13], v[8:9], v[18:19] op_sel:[0,0,1] op_sel_hi:[1,1,0] neg_lo:[0,0,1] neg_hi:[0,0,1]
	v_pk_fma_f32 v[12:13], v[12:13], v[8:9], v[18:19] op_sel:[0,0,1] op_sel_hi:[1,0,0]
	s_delay_alu instid0(VALU_DEP_1) | instskip(SKIP_1) | instid1(VALU_DEP_1)
	v_mov_b32_e32 v29, v13
	v_pk_mul_f32 v[12:13], v[14:15], v[10:11] op_sel:[0,1]
	v_pk_fma_f32 v[18:19], v[14:15], v[8:9], v[12:13] op_sel:[0,0,1] op_sel_hi:[1,1,0] neg_lo:[0,0,1] neg_hi:[0,0,1]
	v_pk_fma_f32 v[12:13], v[14:15], v[8:9], v[12:13] op_sel:[0,0,1] op_sel_hi:[1,0,0]
	s_delay_alu instid0(VALU_DEP_1)
	v_mov_b32_e32 v19, v13
	ds_load_2addr_b64 v[12:15], v202 offset0:29 offset1:30
	v_pk_add_f32 v[108:109], v[108:109], v[28:29] neg_lo:[0,1] neg_hi:[0,1]
	v_pk_add_f32 v[130:131], v[130:131], v[18:19] neg_lo:[0,1] neg_hi:[0,1]
	s_wait_dscnt 0x0
	v_pk_mul_f32 v[18:19], v[12:13], v[10:11] op_sel:[0,1]
	s_delay_alu instid0(VALU_DEP_1) | instskip(SKIP_1) | instid1(VALU_DEP_1)
	v_pk_fma_f32 v[28:29], v[12:13], v[8:9], v[18:19] op_sel:[0,0,1] op_sel_hi:[1,1,0] neg_lo:[0,0,1] neg_hi:[0,0,1]
	v_pk_fma_f32 v[12:13], v[12:13], v[8:9], v[18:19] op_sel:[0,0,1] op_sel_hi:[1,0,0]
	v_mov_b32_e32 v29, v13
	v_pk_mul_f32 v[12:13], v[14:15], v[10:11] op_sel:[0,1]
	s_delay_alu instid0(VALU_DEP_1) | instskip(SKIP_1) | instid1(VALU_DEP_1)
	v_pk_fma_f32 v[18:19], v[14:15], v[8:9], v[12:13] op_sel:[0,0,1] op_sel_hi:[1,1,0] neg_lo:[0,0,1] neg_hi:[0,0,1]
	v_pk_fma_f32 v[12:13], v[14:15], v[8:9], v[12:13] op_sel:[0,0,1] op_sel_hi:[1,0,0]
	v_mov_b32_e32 v19, v13
	ds_load_2addr_b64 v[12:15], v202 offset0:31 offset1:32
	v_pk_add_f32 v[126:127], v[126:127], v[28:29] neg_lo:[0,1] neg_hi:[0,1]
	v_pk_add_f32 v[128:129], v[128:129], v[18:19] neg_lo:[0,1] neg_hi:[0,1]
	s_wait_dscnt 0x0
	v_dual_mul_f32 v18, v13, v11 :: v_dual_mul_f32 v28, v13, v8
	s_delay_alu instid0(VALU_DEP_1) | instskip(NEXT) | instid1(VALU_DEP_2)
	v_pk_fma_f32 v[18:19], v[12:13], v[66:67], v[18:19] op_sel_hi:[1,1,0] neg_lo:[0,0,1] neg_hi:[0,0,1]
	v_pk_fma_f32 v[12:13], v[12:13], v[66:67], v[28:29] op_sel:[1,0,0] op_sel_hi:[0,1,0]
	s_delay_alu instid0(VALU_DEP_1) | instskip(SKIP_1) | instid1(VALU_DEP_2)
	v_mov_b32_e32 v19, v13
	v_pk_mul_f32 v[12:13], v[14:15], v[10:11] op_sel:[0,1]
	v_pk_add_f32 v[124:125], v[124:125], v[18:19] neg_lo:[0,1] neg_hi:[0,1]
	s_delay_alu instid0(VALU_DEP_2) | instskip(SKIP_1) | instid1(VALU_DEP_1)
	v_pk_fma_f32 v[18:19], v[14:15], v[8:9], v[12:13] op_sel:[0,0,1] op_sel_hi:[1,1,0] neg_lo:[0,0,1] neg_hi:[0,0,1]
	v_pk_fma_f32 v[12:13], v[14:15], v[8:9], v[12:13] op_sel:[0,0,1] op_sel_hi:[1,0,0]
	v_mov_b32_e32 v19, v13
	ds_load_2addr_b64 v[12:15], v202 offset0:33 offset1:34
	v_pk_add_f32 v[146:147], v[146:147], v[18:19] neg_lo:[0,1] neg_hi:[0,1]
	s_wait_dscnt 0x0
	v_pk_mul_f32 v[18:19], v[12:13], v[10:11] op_sel:[0,1]
	s_delay_alu instid0(VALU_DEP_1) | instskip(SKIP_1) | instid1(VALU_DEP_1)
	v_pk_fma_f32 v[28:29], v[12:13], v[8:9], v[18:19] op_sel:[0,0,1] op_sel_hi:[1,1,0] neg_lo:[0,0,1] neg_hi:[0,0,1]
	v_pk_fma_f32 v[12:13], v[12:13], v[8:9], v[18:19] op_sel:[0,0,1] op_sel_hi:[1,0,0]
	v_mov_b32_e32 v29, v13
	v_pk_mul_f32 v[12:13], v[14:15], v[10:11] op_sel:[0,1]
	s_delay_alu instid0(VALU_DEP_2) | instskip(NEXT) | instid1(VALU_DEP_2)
	v_pk_add_f32 v[142:143], v[142:143], v[28:29] neg_lo:[0,1] neg_hi:[0,1]
	v_pk_fma_f32 v[18:19], v[14:15], v[8:9], v[12:13] op_sel:[0,0,1] op_sel_hi:[1,1,0] neg_lo:[0,0,1] neg_hi:[0,0,1]
	v_pk_fma_f32 v[12:13], v[14:15], v[8:9], v[12:13] op_sel:[0,0,1] op_sel_hi:[1,0,0]
	s_delay_alu instid0(VALU_DEP_1) | instskip(SKIP_4) | instid1(VALU_DEP_1)
	v_mov_b32_e32 v19, v13
	ds_load_2addr_b64 v[12:15], v202 offset0:35 offset1:36
	v_pk_add_f32 v[144:145], v[144:145], v[18:19] neg_lo:[0,1] neg_hi:[0,1]
	s_wait_dscnt 0x0
	v_pk_mul_f32 v[18:19], v[12:13], v[10:11] op_sel:[0,1]
	v_pk_fma_f32 v[28:29], v[12:13], v[8:9], v[18:19] op_sel:[0,0,1] op_sel_hi:[1,1,0] neg_lo:[0,0,1] neg_hi:[0,0,1]
	v_pk_fma_f32 v[12:13], v[12:13], v[8:9], v[18:19] op_sel:[0,0,1] op_sel_hi:[1,0,0]
	v_dual_mul_f32 v18, v15, v11 :: v_dual_mov_b32 v12, v15
	s_delay_alu instid0(VALU_DEP_2) | instskip(NEXT) | instid1(VALU_DEP_2)
	v_dual_mov_b32 v29, v13 :: v_dual_mov_b32 v13, v14
	v_pk_fma_f32 v[18:19], v[14:15], v[66:67], v[18:19] op_sel_hi:[1,1,0] neg_lo:[0,0,1] neg_hi:[0,0,1]
	v_mul_f32_e32 v14, v15, v8
	s_delay_alu instid0(VALU_DEP_3) | instskip(NEXT) | instid1(VALU_DEP_2)
	v_pk_add_f32 v[140:141], v[140:141], v[28:29] neg_lo:[0,1] neg_hi:[0,1]
	v_pk_fma_f32 v[12:13], v[12:13], v[66:67], v[14:15] op_sel_hi:[1,1,0]
	s_delay_alu instid0(VALU_DEP_1) | instskip(SKIP_4) | instid1(VALU_DEP_1)
	v_mov_b32_e32 v19, v13
	ds_load_2addr_b64 v[12:15], v202 offset0:37 offset1:38
	v_pk_add_f32 v[162:163], v[162:163], v[18:19] neg_lo:[0,1] neg_hi:[0,1]
	s_wait_dscnt 0x0
	v_pk_mul_f32 v[18:19], v[12:13], v[10:11] op_sel:[0,1]
	v_pk_fma_f32 v[28:29], v[12:13], v[8:9], v[18:19] op_sel:[0,0,1] op_sel_hi:[1,1,0] neg_lo:[0,0,1] neg_hi:[0,0,1]
	v_pk_fma_f32 v[12:13], v[12:13], v[8:9], v[18:19] op_sel:[0,0,1] op_sel_hi:[1,0,0]
	s_delay_alu instid0(VALU_DEP_1) | instskip(SKIP_1) | instid1(VALU_DEP_1)
	v_mov_b32_e32 v29, v13
	v_pk_mul_f32 v[12:13], v[14:15], v[10:11] op_sel:[0,1]
	v_pk_fma_f32 v[18:19], v[14:15], v[8:9], v[12:13] op_sel:[0,0,1] op_sel_hi:[1,1,0] neg_lo:[0,0,1] neg_hi:[0,0,1]
	v_pk_fma_f32 v[12:13], v[14:15], v[8:9], v[12:13] op_sel:[0,0,1] op_sel_hi:[1,0,0]
	s_delay_alu instid0(VALU_DEP_1)
	v_mov_b32_e32 v19, v13
	ds_load_2addr_b64 v[12:15], v202 offset0:39 offset1:40
	v_pk_add_f32 v[158:159], v[158:159], v[28:29] neg_lo:[0,1] neg_hi:[0,1]
	v_pk_add_f32 v[160:161], v[160:161], v[18:19] neg_lo:[0,1] neg_hi:[0,1]
	s_wait_dscnt 0x0
	v_pk_mul_f32 v[18:19], v[12:13], v[10:11] op_sel:[0,1]
	s_delay_alu instid0(VALU_DEP_1) | instskip(SKIP_1) | instid1(VALU_DEP_1)
	v_pk_fma_f32 v[28:29], v[12:13], v[8:9], v[18:19] op_sel:[0,0,1] op_sel_hi:[1,1,0] neg_lo:[0,0,1] neg_hi:[0,0,1]
	v_pk_fma_f32 v[12:13], v[12:13], v[8:9], v[18:19] op_sel:[0,0,1] op_sel_hi:[1,0,0]
	v_mov_b32_e32 v29, v13
	v_pk_mul_f32 v[12:13], v[14:15], v[10:11] op_sel:[0,1]
	s_delay_alu instid0(VALU_DEP_1) | instskip(SKIP_1) | instid1(VALU_DEP_1)
	v_pk_fma_f32 v[18:19], v[14:15], v[8:9], v[12:13] op_sel:[0,0,1] op_sel_hi:[1,1,0] neg_lo:[0,0,1] neg_hi:[0,0,1]
	v_pk_fma_f32 v[12:13], v[14:15], v[8:9], v[12:13] op_sel:[0,0,1] op_sel_hi:[1,0,0]
	v_mov_b32_e32 v19, v13
	ds_load_2addr_b64 v[12:15], v202 offset0:41 offset1:42
	v_pk_add_f32 v[156:157], v[156:157], v[28:29] neg_lo:[0,1] neg_hi:[0,1]
	v_pk_add_f32 v[178:179], v[178:179], v[18:19] neg_lo:[0,1] neg_hi:[0,1]
	s_wait_dscnt 0x0
	v_dual_mul_f32 v18, v13, v11 :: v_dual_mul_f32 v28, v13, v8
	s_delay_alu instid0(VALU_DEP_1) | instskip(NEXT) | instid1(VALU_DEP_2)
	v_pk_fma_f32 v[18:19], v[12:13], v[66:67], v[18:19] op_sel_hi:[1,1,0] neg_lo:[0,0,1] neg_hi:[0,0,1]
	v_pk_fma_f32 v[12:13], v[12:13], v[66:67], v[28:29] op_sel:[1,0,0] op_sel_hi:[0,1,0]
	s_delay_alu instid0(VALU_DEP_1) | instskip(SKIP_1) | instid1(VALU_DEP_2)
	v_mov_b32_e32 v19, v13
	v_pk_mul_f32 v[12:13], v[14:15], v[10:11] op_sel:[0,1]
	v_pk_add_f32 v[174:175], v[174:175], v[18:19] neg_lo:[0,1] neg_hi:[0,1]
	s_delay_alu instid0(VALU_DEP_2) | instskip(SKIP_1) | instid1(VALU_DEP_1)
	v_pk_fma_f32 v[18:19], v[14:15], v[8:9], v[12:13] op_sel:[0,0,1] op_sel_hi:[1,1,0] neg_lo:[0,0,1] neg_hi:[0,0,1]
	v_pk_fma_f32 v[12:13], v[14:15], v[8:9], v[12:13] op_sel:[0,0,1] op_sel_hi:[1,0,0]
	v_mov_b32_e32 v19, v13
	ds_load_2addr_b64 v[12:15], v202 offset0:43 offset1:44
	v_pk_add_f32 v[176:177], v[176:177], v[18:19] neg_lo:[0,1] neg_hi:[0,1]
	s_wait_dscnt 0x0
	v_pk_mul_f32 v[18:19], v[12:13], v[10:11] op_sel:[0,1]
	s_delay_alu instid0(VALU_DEP_1) | instskip(SKIP_1) | instid1(VALU_DEP_1)
	v_pk_fma_f32 v[28:29], v[12:13], v[8:9], v[18:19] op_sel:[0,0,1] op_sel_hi:[1,1,0] neg_lo:[0,0,1] neg_hi:[0,0,1]
	v_pk_fma_f32 v[12:13], v[12:13], v[8:9], v[18:19] op_sel:[0,0,1] op_sel_hi:[1,0,0]
	v_mov_b32_e32 v29, v13
	v_pk_mul_f32 v[12:13], v[14:15], v[10:11] op_sel:[0,1]
	s_delay_alu instid0(VALU_DEP_2) | instskip(NEXT) | instid1(VALU_DEP_2)
	v_pk_add_f32 v[172:173], v[172:173], v[28:29] neg_lo:[0,1] neg_hi:[0,1]
	v_pk_fma_f32 v[18:19], v[14:15], v[8:9], v[12:13] op_sel:[0,0,1] op_sel_hi:[1,1,0] neg_lo:[0,0,1] neg_hi:[0,0,1]
	v_pk_fma_f32 v[12:13], v[14:15], v[8:9], v[12:13] op_sel:[0,0,1] op_sel_hi:[1,0,0]
	s_delay_alu instid0(VALU_DEP_1) | instskip(SKIP_4) | instid1(VALU_DEP_1)
	v_mov_b32_e32 v19, v13
	ds_load_2addr_b64 v[12:15], v202 offset0:45 offset1:46
	v_pk_add_f32 v[194:195], v[194:195], v[18:19] neg_lo:[0,1] neg_hi:[0,1]
	s_wait_dscnt 0x0
	v_pk_mul_f32 v[18:19], v[12:13], v[10:11] op_sel:[0,1]
	v_pk_fma_f32 v[28:29], v[12:13], v[8:9], v[18:19] op_sel:[0,0,1] op_sel_hi:[1,1,0] neg_lo:[0,0,1] neg_hi:[0,0,1]
	v_pk_fma_f32 v[12:13], v[12:13], v[8:9], v[18:19] op_sel:[0,0,1] op_sel_hi:[1,0,0]
	v_dual_mul_f32 v18, v15, v11 :: v_dual_mov_b32 v12, v15
	s_delay_alu instid0(VALU_DEP_2) | instskip(NEXT) | instid1(VALU_DEP_2)
	v_dual_mov_b32 v29, v13 :: v_dual_mov_b32 v13, v14
	v_pk_fma_f32 v[18:19], v[14:15], v[66:67], v[18:19] op_sel_hi:[1,1,0] neg_lo:[0,0,1] neg_hi:[0,0,1]
	v_mul_f32_e32 v14, v15, v8
	s_delay_alu instid0(VALU_DEP_3) | instskip(NEXT) | instid1(VALU_DEP_2)
	v_pk_add_f32 v[190:191], v[190:191], v[28:29] neg_lo:[0,1] neg_hi:[0,1]
	v_pk_fma_f32 v[12:13], v[12:13], v[66:67], v[14:15] op_sel_hi:[1,1,0]
	s_delay_alu instid0(VALU_DEP_1) | instskip(SKIP_4) | instid1(VALU_DEP_1)
	v_mov_b32_e32 v19, v13
	ds_load_2addr_b64 v[12:15], v202 offset0:47 offset1:48
	v_pk_add_f32 v[192:193], v[192:193], v[18:19] neg_lo:[0,1] neg_hi:[0,1]
	s_wait_dscnt 0x0
	v_pk_mul_f32 v[18:19], v[12:13], v[10:11] op_sel:[0,1]
	v_pk_fma_f32 v[28:29], v[12:13], v[8:9], v[18:19] op_sel:[0,0,1] op_sel_hi:[1,1,0] neg_lo:[0,0,1] neg_hi:[0,0,1]
	v_pk_fma_f32 v[12:13], v[12:13], v[8:9], v[18:19] op_sel:[0,0,1] op_sel_hi:[1,0,0]
	s_delay_alu instid0(VALU_DEP_1) | instskip(SKIP_1) | instid1(VALU_DEP_1)
	v_mov_b32_e32 v29, v13
	v_pk_mul_f32 v[12:13], v[14:15], v[10:11] op_sel:[0,1]
	v_pk_fma_f32 v[18:19], v[14:15], v[8:9], v[12:13] op_sel:[0,0,1] op_sel_hi:[1,1,0] neg_lo:[0,0,1] neg_hi:[0,0,1]
	v_pk_fma_f32 v[12:13], v[14:15], v[8:9], v[12:13] op_sel:[0,0,1] op_sel_hi:[1,0,0]
	s_delay_alu instid0(VALU_DEP_1)
	v_mov_b32_e32 v19, v13
	ds_load_2addr_b64 v[12:15], v202 offset0:49 offset1:50
	v_pk_add_f32 v[188:189], v[188:189], v[28:29] neg_lo:[0,1] neg_hi:[0,1]
	v_pk_add_f32 v[212:213], v[212:213], v[18:19] neg_lo:[0,1] neg_hi:[0,1]
	s_wait_dscnt 0x0
	v_pk_mul_f32 v[18:19], v[12:13], v[10:11] op_sel:[0,1]
	s_delay_alu instid0(VALU_DEP_1) | instskip(SKIP_1) | instid1(VALU_DEP_1)
	v_pk_fma_f32 v[28:29], v[12:13], v[8:9], v[18:19] op_sel:[0,0,1] op_sel_hi:[1,1,0] neg_lo:[0,0,1] neg_hi:[0,0,1]
	v_pk_fma_f32 v[12:13], v[12:13], v[8:9], v[18:19] op_sel:[0,0,1] op_sel_hi:[1,0,0]
	v_mov_b32_e32 v29, v13
	v_pk_mul_f32 v[12:13], v[14:15], v[10:11] op_sel:[0,1]
	s_delay_alu instid0(VALU_DEP_1) | instskip(SKIP_1) | instid1(VALU_DEP_1)
	v_pk_fma_f32 v[18:19], v[14:15], v[8:9], v[12:13] op_sel:[0,0,1] op_sel_hi:[1,1,0] neg_lo:[0,0,1] neg_hi:[0,0,1]
	v_pk_fma_f32 v[12:13], v[14:15], v[8:9], v[12:13] op_sel:[0,0,1] op_sel_hi:[1,0,0]
	v_mov_b32_e32 v19, v13
	ds_load_2addr_b64 v[12:15], v202 offset0:51 offset1:52
	v_pk_add_f32 v[208:209], v[208:209], v[28:29] neg_lo:[0,1] neg_hi:[0,1]
	v_pk_add_f32 v[210:211], v[210:211], v[18:19] neg_lo:[0,1] neg_hi:[0,1]
	s_wait_dscnt 0x0
	v_dual_mul_f32 v18, v13, v11 :: v_dual_mul_f32 v28, v13, v8
	s_delay_alu instid0(VALU_DEP_1) | instskip(NEXT) | instid1(VALU_DEP_2)
	v_pk_fma_f32 v[18:19], v[12:13], v[66:67], v[18:19] op_sel_hi:[1,1,0] neg_lo:[0,0,1] neg_hi:[0,0,1]
	v_pk_fma_f32 v[12:13], v[12:13], v[66:67], v[28:29] op_sel:[1,0,0] op_sel_hi:[0,1,0]
	s_delay_alu instid0(VALU_DEP_1) | instskip(SKIP_1) | instid1(VALU_DEP_2)
	v_mov_b32_e32 v19, v13
	v_pk_mul_f32 v[12:13], v[14:15], v[10:11] op_sel:[0,1]
	v_pk_add_f32 v[206:207], v[206:207], v[18:19] neg_lo:[0,1] neg_hi:[0,1]
	s_delay_alu instid0(VALU_DEP_2) | instskip(SKIP_1) | instid1(VALU_DEP_1)
	v_pk_fma_f32 v[18:19], v[14:15], v[8:9], v[12:13] op_sel:[0,0,1] op_sel_hi:[1,1,0] neg_lo:[0,0,1] neg_hi:[0,0,1]
	v_pk_fma_f32 v[12:13], v[14:15], v[8:9], v[12:13] op_sel:[0,0,1] op_sel_hi:[1,0,0]
	v_mov_b32_e32 v19, v13
	ds_load_2addr_b64 v[12:15], v202 offset0:53 offset1:54
	v_pk_add_f32 v[232:233], v[232:233], v[18:19] neg_lo:[0,1] neg_hi:[0,1]
	s_wait_dscnt 0x0
	v_pk_mul_f32 v[18:19], v[12:13], v[10:11] op_sel:[0,1]
	s_delay_alu instid0(VALU_DEP_1) | instskip(SKIP_1) | instid1(VALU_DEP_1)
	v_pk_fma_f32 v[28:29], v[12:13], v[8:9], v[18:19] op_sel:[0,0,1] op_sel_hi:[1,1,0] neg_lo:[0,0,1] neg_hi:[0,0,1]
	v_pk_fma_f32 v[12:13], v[12:13], v[8:9], v[18:19] op_sel:[0,0,1] op_sel_hi:[1,0,0]
	v_mov_b32_e32 v29, v13
	v_pk_mul_f32 v[12:13], v[14:15], v[10:11] op_sel:[0,1]
	s_delay_alu instid0(VALU_DEP_2) | instskip(NEXT) | instid1(VALU_DEP_2)
	v_pk_add_f32 v[226:227], v[226:227], v[28:29] neg_lo:[0,1] neg_hi:[0,1]
	v_pk_fma_f32 v[18:19], v[14:15], v[8:9], v[12:13] op_sel:[0,0,1] op_sel_hi:[1,1,0] neg_lo:[0,0,1] neg_hi:[0,0,1]
	v_pk_fma_f32 v[12:13], v[14:15], v[8:9], v[12:13] op_sel:[0,0,1] op_sel_hi:[1,0,0]
	s_delay_alu instid0(VALU_DEP_1) | instskip(SKIP_4) | instid1(VALU_DEP_1)
	v_mov_b32_e32 v19, v13
	ds_load_2addr_b64 v[12:15], v202 offset0:55 offset1:56
	v_pk_add_f32 v[230:231], v[230:231], v[18:19] neg_lo:[0,1] neg_hi:[0,1]
	s_wait_dscnt 0x0
	v_pk_mul_f32 v[18:19], v[12:13], v[10:11] op_sel:[0,1]
	v_pk_fma_f32 v[28:29], v[12:13], v[8:9], v[18:19] op_sel:[0,0,1] op_sel_hi:[1,1,0] neg_lo:[0,0,1] neg_hi:[0,0,1]
	v_pk_fma_f32 v[12:13], v[12:13], v[8:9], v[18:19] op_sel:[0,0,1] op_sel_hi:[1,0,0]
	v_dual_mul_f32 v18, v15, v11 :: v_dual_mov_b32 v12, v15
	s_delay_alu instid0(VALU_DEP_2) | instskip(NEXT) | instid1(VALU_DEP_2)
	v_dual_mov_b32 v29, v13 :: v_dual_mov_b32 v13, v14
	v_pk_fma_f32 v[18:19], v[14:15], v[66:67], v[18:19] op_sel_hi:[1,1,0] neg_lo:[0,0,1] neg_hi:[0,0,1]
	v_mul_f32_e32 v14, v15, v8
	s_delay_alu instid0(VALU_DEP_3) | instskip(NEXT) | instid1(VALU_DEP_2)
	v_pk_add_f32 v[224:225], v[224:225], v[28:29] neg_lo:[0,1] neg_hi:[0,1]
	v_pk_fma_f32 v[12:13], v[12:13], v[66:67], v[14:15] op_sel_hi:[1,1,0]
	s_delay_alu instid0(VALU_DEP_1)
	v_mov_b32_e32 v19, v13
	ds_load_2addr_b64 v[12:15], v202 offset0:57 offset1:58
	v_pk_add_f32 v[228:229], v[228:229], v[18:19] neg_lo:[0,1] neg_hi:[0,1]
	s_wait_dscnt 0x0
	v_pk_mul_f32 v[18:19], v[12:13], v[10:11] op_sel:[0,1]
	v_pk_mul_f32 v[10:11], v[14:15], v[10:11] op_sel:[0,1]
	s_delay_alu instid0(VALU_DEP_2) | instskip(SKIP_1) | instid1(VALU_DEP_1)
	v_pk_fma_f32 v[28:29], v[12:13], v[8:9], v[18:19] op_sel:[0,0,1] op_sel_hi:[1,1,0] neg_lo:[0,0,1] neg_hi:[0,0,1]
	v_pk_fma_f32 v[12:13], v[12:13], v[8:9], v[18:19] op_sel:[0,0,1] op_sel_hi:[1,0,0]
	v_mov_b32_e32 v29, v13
	s_delay_alu instid0(VALU_DEP_4) | instskip(SKIP_1) | instid1(VALU_DEP_1)
	v_pk_fma_f32 v[12:13], v[14:15], v[8:9], v[10:11] op_sel:[0,0,1] op_sel_hi:[1,1,0] neg_lo:[0,0,1] neg_hi:[0,0,1]
	v_pk_fma_f32 v[8:9], v[14:15], v[8:9], v[10:11] op_sel:[0,0,1] op_sel_hi:[1,0,0]
	v_mov_b32_e32 v13, v9
	s_delay_alu instid0(VALU_DEP_4) | instskip(NEXT) | instid1(VALU_DEP_2)
	v_pk_add_f32 v[234:235], v[234:235], v[28:29] neg_lo:[0,1] neg_hi:[0,1]
	v_pk_add_f32 v[236:237], v[236:237], v[12:13] neg_lo:[0,1] neg_hi:[0,1]
.LBB117_118:
	s_or_b32 exec_lo, exec_lo, s1
	s_delay_alu instid0(SALU_CYCLE_1)
	s_mov_b32 s2, exec_lo
	s_wait_dscnt 0x0
	s_barrier_signal -1
	s_barrier_wait -1
	v_cmpx_eq_u32_e32 13, v200
	s_cbranch_execz .LBB117_125
; %bb.119:
	v_dual_mov_b32 v8, v64 :: v_dual_mov_b32 v9, v65
	v_dual_mov_b32 v10, v60 :: v_dual_mov_b32 v11, v61
	ds_store_b64 v201, v[62:63]
	ds_store_2addr_b64 v202, v[8:9], v[10:11] offset0:14 offset1:15
	v_dual_mov_b32 v8, v82 :: v_dual_mov_b32 v9, v83
	v_dual_mov_b32 v10, v78 :: v_dual_mov_b32 v11, v79
	ds_store_2addr_b64 v202, v[8:9], v[10:11] offset0:16 offset1:17
	v_dual_mov_b32 v8, v80 :: v_dual_mov_b32 v9, v81
	v_dual_mov_b32 v10, v76 :: v_dual_mov_b32 v11, v77
	;; [unrolled: 3-line block ×21, first 2 shown]
	ds_store_2addr_b64 v202, v[8:9], v[10:11] offset0:56 offset1:57
	ds_store_b64 v202, v[236:237] offset:464
	ds_load_b64 v[8:9], v201
	s_wait_dscnt 0x0
	v_cmp_neq_f32_e32 vcc_lo, 0, v8
	v_cmp_neq_f32_e64 s1, 0, v9
	s_or_b32 s1, vcc_lo, s1
	s_delay_alu instid0(SALU_CYCLE_1)
	s_and_b32 exec_lo, exec_lo, s1
	s_cbranch_execz .LBB117_125
; %bb.120:
	v_cmp_ngt_f32_e64 s1, |v8|, |v9|
                                        ; implicit-def: $vgpr10_vgpr11
	s_and_saveexec_b32 s4, s1
	s_delay_alu instid0(SALU_CYCLE_1)
	s_xor_b32 s1, exec_lo, s4
	s_cbranch_execz .LBB117_122
; %bb.121:
	v_div_scale_f32 v10, null, v9, v9, v8
	v_div_scale_f32 v13, vcc_lo, v8, v9, v8
	s_delay_alu instid0(VALU_DEP_2) | instskip(SKIP_1) | instid1(TRANS32_DEP_1)
	v_rcp_f32_e32 v11, v10
	v_nop
	v_fma_f32 v12, -v10, v11, 1.0
	s_delay_alu instid0(VALU_DEP_1) | instskip(NEXT) | instid1(VALU_DEP_1)
	v_fmac_f32_e32 v11, v12, v11
	v_mul_f32_e32 v12, v13, v11
	s_delay_alu instid0(VALU_DEP_1) | instskip(NEXT) | instid1(VALU_DEP_1)
	v_fma_f32 v14, -v10, v12, v13
	v_fmac_f32_e32 v12, v14, v11
	s_delay_alu instid0(VALU_DEP_1) | instskip(NEXT) | instid1(VALU_DEP_1)
	v_fma_f32 v10, -v10, v12, v13
	v_div_fmas_f32 v10, v10, v11, v12
	s_delay_alu instid0(VALU_DEP_1) | instskip(NEXT) | instid1(VALU_DEP_1)
	v_div_fixup_f32 v10, v10, v9, v8
	v_fmac_f32_e32 v9, v8, v10
	s_delay_alu instid0(VALU_DEP_1) | instskip(SKIP_1) | instid1(VALU_DEP_2)
	v_div_scale_f32 v8, null, v9, v9, 1.0
	v_div_scale_f32 v13, vcc_lo, 1.0, v9, 1.0
	v_rcp_f32_e32 v11, v8
	v_nop
	s_delay_alu instid0(TRANS32_DEP_1) | instskip(NEXT) | instid1(VALU_DEP_1)
	v_fma_f32 v12, -v8, v11, 1.0
	v_fmac_f32_e32 v11, v12, v11
	s_delay_alu instid0(VALU_DEP_1) | instskip(NEXT) | instid1(VALU_DEP_1)
	v_mul_f32_e32 v12, v13, v11
	v_fma_f32 v14, -v8, v12, v13
	s_delay_alu instid0(VALU_DEP_1) | instskip(NEXT) | instid1(VALU_DEP_1)
	v_fmac_f32_e32 v12, v14, v11
	v_fma_f32 v8, -v8, v12, v13
	s_delay_alu instid0(VALU_DEP_1) | instskip(NEXT) | instid1(VALU_DEP_1)
	v_div_fmas_f32 v8, v8, v11, v12
	v_div_fixup_f32 v8, v8, v9, 1.0
	s_delay_alu instid0(VALU_DEP_1)
	v_mul_f32_e32 v10, v10, v8
	v_xor_b32_e32 v11, 0x80000000, v8
                                        ; implicit-def: $vgpr8_vgpr9
.LBB117_122:
	s_and_not1_saveexec_b32 s1, s1
	s_cbranch_execz .LBB117_124
; %bb.123:
	v_div_scale_f32 v10, null, v8, v8, v9
	v_div_scale_f32 v13, vcc_lo, v9, v8, v9
	s_delay_alu instid0(VALU_DEP_2) | instskip(SKIP_1) | instid1(TRANS32_DEP_1)
	v_rcp_f32_e32 v11, v10
	v_nop
	v_fma_f32 v12, -v10, v11, 1.0
	s_delay_alu instid0(VALU_DEP_1) | instskip(NEXT) | instid1(VALU_DEP_1)
	v_fmac_f32_e32 v11, v12, v11
	v_mul_f32_e32 v12, v13, v11
	s_delay_alu instid0(VALU_DEP_1) | instskip(NEXT) | instid1(VALU_DEP_1)
	v_fma_f32 v14, -v10, v12, v13
	v_fmac_f32_e32 v12, v14, v11
	s_delay_alu instid0(VALU_DEP_1) | instskip(NEXT) | instid1(VALU_DEP_1)
	v_fma_f32 v10, -v10, v12, v13
	v_div_fmas_f32 v10, v10, v11, v12
	s_delay_alu instid0(VALU_DEP_1) | instskip(NEXT) | instid1(VALU_DEP_1)
	v_div_fixup_f32 v11, v10, v8, v9
	v_fmac_f32_e32 v8, v9, v11
	s_delay_alu instid0(VALU_DEP_1) | instskip(NEXT) | instid1(VALU_DEP_1)
	v_div_scale_f32 v9, null, v8, v8, 1.0
	v_rcp_f32_e32 v10, v9
	v_nop
	s_delay_alu instid0(TRANS32_DEP_1) | instskip(NEXT) | instid1(VALU_DEP_1)
	v_fma_f32 v12, -v9, v10, 1.0
	v_fmac_f32_e32 v10, v12, v10
	v_div_scale_f32 v12, vcc_lo, 1.0, v8, 1.0
	s_delay_alu instid0(VALU_DEP_1) | instskip(NEXT) | instid1(VALU_DEP_1)
	v_mul_f32_e32 v13, v12, v10
	v_fma_f32 v14, -v9, v13, v12
	s_delay_alu instid0(VALU_DEP_1) | instskip(NEXT) | instid1(VALU_DEP_1)
	v_fmac_f32_e32 v13, v14, v10
	v_fma_f32 v9, -v9, v13, v12
	s_delay_alu instid0(VALU_DEP_1) | instskip(NEXT) | instid1(VALU_DEP_1)
	v_div_fmas_f32 v9, v9, v10, v13
	v_div_fixup_f32 v10, v9, v8, 1.0
	s_delay_alu instid0(VALU_DEP_1)
	v_mul_f32_e64 v11, v11, -v10
.LBB117_124:
	s_or_b32 exec_lo, exec_lo, s1
	ds_store_b64 v201, v[10:11]
.LBB117_125:
	s_or_b32 exec_lo, exec_lo, s2
	s_wait_dscnt 0x0
	s_barrier_signal -1
	s_barrier_wait -1
	ds_load_b64 v[8:9], v201
	s_mov_b32 s1, exec_lo
	v_cmpx_lt_u32_e32 13, v200
	s_cbranch_execz .LBB117_127
; %bb.126:
	ds_load_2addr_b64 v[28:31], v202 offset0:14 offset1:15
	s_wait_dscnt 0x1
	v_pk_mul_f32 v[12:13], v[8:9], v[62:63] op_sel:[1,1] op_sel_hi:[0,1]
	s_delay_alu instid0(VALU_DEP_1) | instskip(SKIP_1) | instid1(VALU_DEP_1)
	v_pk_fma_f32 v[10:11], v[8:9], v[62:63], v[12:13] op_sel_hi:[1,0,1] neg_lo:[0,0,1] neg_hi:[0,0,1]
	v_pk_fma_f32 v[12:13], v[8:9], v[62:63], v[12:13] op_sel_hi:[1,0,1]
	v_dual_mov_b32 v62, v10 :: v_dual_mov_b32 v63, v13
	s_wait_dscnt 0x0
	s_delay_alu instid0(VALU_DEP_2) | instskip(NEXT) | instid1(VALU_DEP_1)
	v_pk_mul_f32 v[14:15], v[28:29], v[12:13] op_sel:[0,1]
	v_pk_fma_f32 v[18:19], v[28:29], v[10:11], v[14:15] op_sel:[0,0,1] op_sel_hi:[1,1,0] neg_lo:[0,0,1] neg_hi:[0,0,1]
	v_pk_fma_f32 v[14:15], v[28:29], v[10:11], v[14:15] op_sel:[0,0,1] op_sel_hi:[1,0,0]
	s_delay_alu instid0(VALU_DEP_1) | instskip(SKIP_1) | instid1(VALU_DEP_2)
	v_mov_b32_e32 v19, v15
	v_pk_mul_f32 v[14:15], v[30:31], v[12:13] op_sel:[0,1]
	v_pk_add_f32 v[64:65], v[64:65], v[18:19] neg_lo:[0,1] neg_hi:[0,1]
	s_delay_alu instid0(VALU_DEP_2) | instskip(SKIP_3) | instid1(VALU_DEP_1)
	v_pk_fma_f32 v[18:19], v[30:31], v[10:11], v[14:15] op_sel:[0,0,1] op_sel_hi:[1,1,0] neg_lo:[0,0,1] neg_hi:[0,0,1]
	v_pk_fma_f32 v[14:15], v[30:31], v[10:11], v[14:15] op_sel:[0,0,1] op_sel_hi:[1,0,0]
	ds_load_2addr_b64 v[28:31], v202 offset0:16 offset1:17
	v_mov_b32_e32 v19, v15
	v_pk_add_f32 v[60:61], v[60:61], v[18:19] neg_lo:[0,1] neg_hi:[0,1]
	s_wait_dscnt 0x0
	v_pk_mul_f32 v[14:15], v[28:29], v[12:13] op_sel:[0,1]
	s_delay_alu instid0(VALU_DEP_1) | instskip(SKIP_2) | instid1(VALU_DEP_2)
	v_pk_fma_f32 v[18:19], v[28:29], v[10:11], v[14:15] op_sel:[0,0,1] op_sel_hi:[1,1,0] neg_lo:[0,0,1] neg_hi:[0,0,1]
	v_pk_fma_f32 v[14:15], v[28:29], v[10:11], v[14:15] op_sel:[0,0,1] op_sel_hi:[1,0,0]
	v_dual_mov_b32 v14, v31 :: v_dual_mul_f32 v28, v31, v10
	v_dual_mov_b32 v19, v15 :: v_dual_mov_b32 v15, v30
	s_delay_alu instid0(VALU_DEP_1) | instskip(SKIP_1) | instid1(VALU_DEP_3)
	v_pk_add_f32 v[82:83], v[82:83], v[18:19] neg_lo:[0,1] neg_hi:[0,1]
	v_mul_f32_e32 v18, v31, v13
	v_pk_fma_f32 v[14:15], v[14:15], v[62:63], v[28:29] op_sel_hi:[1,1,0]
	s_delay_alu instid0(VALU_DEP_2) | instskip(SKIP_2) | instid1(VALU_DEP_1)
	v_pk_fma_f32 v[18:19], v[30:31], v[62:63], v[18:19] op_sel_hi:[1,1,0] neg_lo:[0,0,1] neg_hi:[0,0,1]
	ds_load_2addr_b64 v[28:31], v202 offset0:18 offset1:19
	v_mov_b32_e32 v19, v15
	v_pk_add_f32 v[78:79], v[78:79], v[18:19] neg_lo:[0,1] neg_hi:[0,1]
	s_wait_dscnt 0x0
	v_pk_mul_f32 v[14:15], v[28:29], v[12:13] op_sel:[0,1]
	s_delay_alu instid0(VALU_DEP_1) | instskip(SKIP_1) | instid1(VALU_DEP_1)
	v_pk_fma_f32 v[18:19], v[28:29], v[10:11], v[14:15] op_sel:[0,0,1] op_sel_hi:[1,1,0] neg_lo:[0,0,1] neg_hi:[0,0,1]
	v_pk_fma_f32 v[14:15], v[28:29], v[10:11], v[14:15] op_sel:[0,0,1] op_sel_hi:[1,0,0]
	v_mov_b32_e32 v19, v15
	v_pk_mul_f32 v[14:15], v[30:31], v[12:13] op_sel:[0,1]
	s_delay_alu instid0(VALU_DEP_2) | instskip(NEXT) | instid1(VALU_DEP_2)
	v_pk_add_f32 v[80:81], v[80:81], v[18:19] neg_lo:[0,1] neg_hi:[0,1]
	v_pk_fma_f32 v[18:19], v[30:31], v[10:11], v[14:15] op_sel:[0,0,1] op_sel_hi:[1,1,0] neg_lo:[0,0,1] neg_hi:[0,0,1]
	v_pk_fma_f32 v[14:15], v[30:31], v[10:11], v[14:15] op_sel:[0,0,1] op_sel_hi:[1,0,0]
	ds_load_2addr_b64 v[28:31], v202 offset0:20 offset1:21
	v_mov_b32_e32 v19, v15
	s_delay_alu instid0(VALU_DEP_1) | instskip(SKIP_2) | instid1(VALU_DEP_1)
	v_pk_add_f32 v[76:77], v[76:77], v[18:19] neg_lo:[0,1] neg_hi:[0,1]
	s_wait_dscnt 0x0
	v_pk_mul_f32 v[14:15], v[28:29], v[12:13] op_sel:[0,1]
	v_pk_fma_f32 v[18:19], v[28:29], v[10:11], v[14:15] op_sel:[0,0,1] op_sel_hi:[1,1,0] neg_lo:[0,0,1] neg_hi:[0,0,1]
	v_pk_fma_f32 v[14:15], v[28:29], v[10:11], v[14:15] op_sel:[0,0,1] op_sel_hi:[1,0,0]
	s_delay_alu instid0(VALU_DEP_1) | instskip(SKIP_1) | instid1(VALU_DEP_2)
	v_mov_b32_e32 v19, v15
	v_pk_mul_f32 v[14:15], v[30:31], v[12:13] op_sel:[0,1]
	v_pk_add_f32 v[98:99], v[98:99], v[18:19] neg_lo:[0,1] neg_hi:[0,1]
	s_delay_alu instid0(VALU_DEP_2) | instskip(SKIP_3) | instid1(VALU_DEP_1)
	v_pk_fma_f32 v[18:19], v[30:31], v[10:11], v[14:15] op_sel:[0,0,1] op_sel_hi:[1,1,0] neg_lo:[0,0,1] neg_hi:[0,0,1]
	v_pk_fma_f32 v[14:15], v[30:31], v[10:11], v[14:15] op_sel:[0,0,1] op_sel_hi:[1,0,0]
	ds_load_2addr_b64 v[28:31], v202 offset0:22 offset1:23
	v_mov_b32_e32 v19, v15
	v_pk_add_f32 v[94:95], v[94:95], v[18:19] neg_lo:[0,1] neg_hi:[0,1]
	s_wait_dscnt 0x0
	v_dual_mul_f32 v18, v29, v10 :: v_dual_mul_f32 v14, v29, v13
	s_delay_alu instid0(VALU_DEP_1) | instskip(NEXT) | instid1(VALU_DEP_2)
	v_pk_fma_f32 v[18:19], v[28:29], v[62:63], v[18:19] op_sel:[1,0,0] op_sel_hi:[0,1,0]
	v_pk_fma_f32 v[14:15], v[28:29], v[62:63], v[14:15] op_sel_hi:[1,1,0] neg_lo:[0,0,1] neg_hi:[0,0,1]
	s_delay_alu instid0(VALU_DEP_2) | instskip(NEXT) | instid1(VALU_DEP_1)
	v_mov_b32_e32 v15, v19
	v_pk_add_f32 v[96:97], v[96:97], v[14:15] neg_lo:[0,1] neg_hi:[0,1]
	v_pk_mul_f32 v[14:15], v[30:31], v[12:13] op_sel:[0,1]
	s_delay_alu instid0(VALU_DEP_1) | instskip(SKIP_3) | instid1(VALU_DEP_1)
	v_pk_fma_f32 v[18:19], v[30:31], v[10:11], v[14:15] op_sel:[0,0,1] op_sel_hi:[1,1,0] neg_lo:[0,0,1] neg_hi:[0,0,1]
	v_pk_fma_f32 v[14:15], v[30:31], v[10:11], v[14:15] op_sel:[0,0,1] op_sel_hi:[1,0,0]
	ds_load_2addr_b64 v[28:31], v202 offset0:24 offset1:25
	v_mov_b32_e32 v19, v15
	v_pk_add_f32 v[92:93], v[92:93], v[18:19] neg_lo:[0,1] neg_hi:[0,1]
	s_wait_dscnt 0x0
	v_pk_mul_f32 v[14:15], v[28:29], v[12:13] op_sel:[0,1]
	s_delay_alu instid0(VALU_DEP_1) | instskip(SKIP_1) | instid1(VALU_DEP_1)
	v_pk_fma_f32 v[18:19], v[28:29], v[10:11], v[14:15] op_sel:[0,0,1] op_sel_hi:[1,1,0] neg_lo:[0,0,1] neg_hi:[0,0,1]
	v_pk_fma_f32 v[14:15], v[28:29], v[10:11], v[14:15] op_sel:[0,0,1] op_sel_hi:[1,0,0]
	v_mov_b32_e32 v19, v15
	v_pk_mul_f32 v[14:15], v[30:31], v[12:13] op_sel:[0,1]
	s_delay_alu instid0(VALU_DEP_2) | instskip(NEXT) | instid1(VALU_DEP_2)
	v_pk_add_f32 v[114:115], v[114:115], v[18:19] neg_lo:[0,1] neg_hi:[0,1]
	v_pk_fma_f32 v[18:19], v[30:31], v[10:11], v[14:15] op_sel:[0,0,1] op_sel_hi:[1,1,0] neg_lo:[0,0,1] neg_hi:[0,0,1]
	v_pk_fma_f32 v[14:15], v[30:31], v[10:11], v[14:15] op_sel:[0,0,1] op_sel_hi:[1,0,0]
	ds_load_2addr_b64 v[28:31], v202 offset0:26 offset1:27
	v_mov_b32_e32 v19, v15
	s_delay_alu instid0(VALU_DEP_1) | instskip(SKIP_2) | instid1(VALU_DEP_1)
	v_pk_add_f32 v[110:111], v[110:111], v[18:19] neg_lo:[0,1] neg_hi:[0,1]
	s_wait_dscnt 0x0
	v_pk_mul_f32 v[14:15], v[28:29], v[12:13] op_sel:[0,1]
	v_pk_fma_f32 v[18:19], v[28:29], v[10:11], v[14:15] op_sel:[0,0,1] op_sel_hi:[1,1,0] neg_lo:[0,0,1] neg_hi:[0,0,1]
	v_pk_fma_f32 v[14:15], v[28:29], v[10:11], v[14:15] op_sel:[0,0,1] op_sel_hi:[1,0,0]
	v_dual_mov_b32 v14, v31 :: v_dual_mul_f32 v28, v31, v10
	s_delay_alu instid0(VALU_DEP_2) | instskip(NEXT) | instid1(VALU_DEP_1)
	v_dual_mov_b32 v19, v15 :: v_dual_mov_b32 v15, v30
	v_pk_add_f32 v[112:113], v[112:113], v[18:19] neg_lo:[0,1] neg_hi:[0,1]
	v_mul_f32_e32 v18, v31, v13
	s_delay_alu instid0(VALU_DEP_3) | instskip(NEXT) | instid1(VALU_DEP_2)
	v_pk_fma_f32 v[14:15], v[14:15], v[62:63], v[28:29] op_sel_hi:[1,1,0]
	v_pk_fma_f32 v[18:19], v[30:31], v[62:63], v[18:19] op_sel_hi:[1,1,0] neg_lo:[0,0,1] neg_hi:[0,0,1]
	ds_load_2addr_b64 v[28:31], v202 offset0:28 offset1:29
	v_mov_b32_e32 v19, v15
	s_delay_alu instid0(VALU_DEP_1) | instskip(SKIP_2) | instid1(VALU_DEP_1)
	v_pk_add_f32 v[108:109], v[108:109], v[18:19] neg_lo:[0,1] neg_hi:[0,1]
	s_wait_dscnt 0x0
	v_pk_mul_f32 v[14:15], v[28:29], v[12:13] op_sel:[0,1]
	v_pk_fma_f32 v[18:19], v[28:29], v[10:11], v[14:15] op_sel:[0,0,1] op_sel_hi:[1,1,0] neg_lo:[0,0,1] neg_hi:[0,0,1]
	v_pk_fma_f32 v[14:15], v[28:29], v[10:11], v[14:15] op_sel:[0,0,1] op_sel_hi:[1,0,0]
	s_delay_alu instid0(VALU_DEP_1) | instskip(SKIP_1) | instid1(VALU_DEP_2)
	v_mov_b32_e32 v19, v15
	v_pk_mul_f32 v[14:15], v[30:31], v[12:13] op_sel:[0,1]
	v_pk_add_f32 v[130:131], v[130:131], v[18:19] neg_lo:[0,1] neg_hi:[0,1]
	s_delay_alu instid0(VALU_DEP_2) | instskip(SKIP_3) | instid1(VALU_DEP_1)
	v_pk_fma_f32 v[18:19], v[30:31], v[10:11], v[14:15] op_sel:[0,0,1] op_sel_hi:[1,1,0] neg_lo:[0,0,1] neg_hi:[0,0,1]
	v_pk_fma_f32 v[14:15], v[30:31], v[10:11], v[14:15] op_sel:[0,0,1] op_sel_hi:[1,0,0]
	ds_load_2addr_b64 v[28:31], v202 offset0:30 offset1:31
	v_mov_b32_e32 v19, v15
	v_pk_add_f32 v[126:127], v[126:127], v[18:19] neg_lo:[0,1] neg_hi:[0,1]
	s_wait_dscnt 0x0
	v_pk_mul_f32 v[14:15], v[28:29], v[12:13] op_sel:[0,1]
	s_delay_alu instid0(VALU_DEP_1) | instskip(SKIP_1) | instid1(VALU_DEP_1)
	v_pk_fma_f32 v[18:19], v[28:29], v[10:11], v[14:15] op_sel:[0,0,1] op_sel_hi:[1,1,0] neg_lo:[0,0,1] neg_hi:[0,0,1]
	v_pk_fma_f32 v[14:15], v[28:29], v[10:11], v[14:15] op_sel:[0,0,1] op_sel_hi:[1,0,0]
	v_mov_b32_e32 v19, v15
	v_pk_mul_f32 v[14:15], v[30:31], v[12:13] op_sel:[0,1]
	s_delay_alu instid0(VALU_DEP_2) | instskip(NEXT) | instid1(VALU_DEP_2)
	v_pk_add_f32 v[128:129], v[128:129], v[18:19] neg_lo:[0,1] neg_hi:[0,1]
	v_pk_fma_f32 v[18:19], v[30:31], v[10:11], v[14:15] op_sel:[0,0,1] op_sel_hi:[1,1,0] neg_lo:[0,0,1] neg_hi:[0,0,1]
	v_pk_fma_f32 v[14:15], v[30:31], v[10:11], v[14:15] op_sel:[0,0,1] op_sel_hi:[1,0,0]
	ds_load_2addr_b64 v[28:31], v202 offset0:32 offset1:33
	v_mov_b32_e32 v19, v15
	s_delay_alu instid0(VALU_DEP_1) | instskip(SKIP_2) | instid1(VALU_DEP_1)
	v_pk_add_f32 v[124:125], v[124:125], v[18:19] neg_lo:[0,1] neg_hi:[0,1]
	s_wait_dscnt 0x0
	v_dual_mul_f32 v18, v29, v10 :: v_dual_mul_f32 v14, v29, v13
	v_pk_fma_f32 v[18:19], v[28:29], v[62:63], v[18:19] op_sel:[1,0,0] op_sel_hi:[0,1,0]
	s_delay_alu instid0(VALU_DEP_2) | instskip(NEXT) | instid1(VALU_DEP_2)
	v_pk_fma_f32 v[14:15], v[28:29], v[62:63], v[14:15] op_sel_hi:[1,1,0] neg_lo:[0,0,1] neg_hi:[0,0,1]
	v_mov_b32_e32 v15, v19
	s_delay_alu instid0(VALU_DEP_1) | instskip(SKIP_1) | instid1(VALU_DEP_1)
	v_pk_add_f32 v[146:147], v[146:147], v[14:15] neg_lo:[0,1] neg_hi:[0,1]
	v_pk_mul_f32 v[14:15], v[30:31], v[12:13] op_sel:[0,1]
	v_pk_fma_f32 v[18:19], v[30:31], v[10:11], v[14:15] op_sel:[0,0,1] op_sel_hi:[1,1,0] neg_lo:[0,0,1] neg_hi:[0,0,1]
	v_pk_fma_f32 v[14:15], v[30:31], v[10:11], v[14:15] op_sel:[0,0,1] op_sel_hi:[1,0,0]
	ds_load_2addr_b64 v[28:31], v202 offset0:34 offset1:35
	v_mov_b32_e32 v19, v15
	s_delay_alu instid0(VALU_DEP_1) | instskip(SKIP_2) | instid1(VALU_DEP_1)
	v_pk_add_f32 v[142:143], v[142:143], v[18:19] neg_lo:[0,1] neg_hi:[0,1]
	s_wait_dscnt 0x0
	v_pk_mul_f32 v[14:15], v[28:29], v[12:13] op_sel:[0,1]
	v_pk_fma_f32 v[18:19], v[28:29], v[10:11], v[14:15] op_sel:[0,0,1] op_sel_hi:[1,1,0] neg_lo:[0,0,1] neg_hi:[0,0,1]
	v_pk_fma_f32 v[14:15], v[28:29], v[10:11], v[14:15] op_sel:[0,0,1] op_sel_hi:[1,0,0]
	s_delay_alu instid0(VALU_DEP_1) | instskip(SKIP_1) | instid1(VALU_DEP_2)
	v_mov_b32_e32 v19, v15
	v_pk_mul_f32 v[14:15], v[30:31], v[12:13] op_sel:[0,1]
	v_pk_add_f32 v[144:145], v[144:145], v[18:19] neg_lo:[0,1] neg_hi:[0,1]
	s_delay_alu instid0(VALU_DEP_2) | instskip(SKIP_3) | instid1(VALU_DEP_1)
	v_pk_fma_f32 v[18:19], v[30:31], v[10:11], v[14:15] op_sel:[0,0,1] op_sel_hi:[1,1,0] neg_lo:[0,0,1] neg_hi:[0,0,1]
	v_pk_fma_f32 v[14:15], v[30:31], v[10:11], v[14:15] op_sel:[0,0,1] op_sel_hi:[1,0,0]
	ds_load_2addr_b64 v[28:31], v202 offset0:36 offset1:37
	v_mov_b32_e32 v19, v15
	v_pk_add_f32 v[140:141], v[140:141], v[18:19] neg_lo:[0,1] neg_hi:[0,1]
	s_wait_dscnt 0x0
	v_pk_mul_f32 v[14:15], v[28:29], v[12:13] op_sel:[0,1]
	s_delay_alu instid0(VALU_DEP_1) | instskip(SKIP_2) | instid1(VALU_DEP_2)
	v_pk_fma_f32 v[18:19], v[28:29], v[10:11], v[14:15] op_sel:[0,0,1] op_sel_hi:[1,1,0] neg_lo:[0,0,1] neg_hi:[0,0,1]
	v_pk_fma_f32 v[14:15], v[28:29], v[10:11], v[14:15] op_sel:[0,0,1] op_sel_hi:[1,0,0]
	v_dual_mov_b32 v14, v31 :: v_dual_mul_f32 v28, v31, v10
	v_dual_mov_b32 v19, v15 :: v_dual_mov_b32 v15, v30
	s_delay_alu instid0(VALU_DEP_1) | instskip(SKIP_1) | instid1(VALU_DEP_3)
	v_pk_add_f32 v[162:163], v[162:163], v[18:19] neg_lo:[0,1] neg_hi:[0,1]
	v_mul_f32_e32 v18, v31, v13
	v_pk_fma_f32 v[14:15], v[14:15], v[62:63], v[28:29] op_sel_hi:[1,1,0]
	s_delay_alu instid0(VALU_DEP_2) | instskip(SKIP_2) | instid1(VALU_DEP_1)
	v_pk_fma_f32 v[18:19], v[30:31], v[62:63], v[18:19] op_sel_hi:[1,1,0] neg_lo:[0,0,1] neg_hi:[0,0,1]
	ds_load_2addr_b64 v[28:31], v202 offset0:38 offset1:39
	v_mov_b32_e32 v19, v15
	v_pk_add_f32 v[158:159], v[158:159], v[18:19] neg_lo:[0,1] neg_hi:[0,1]
	s_wait_dscnt 0x0
	v_pk_mul_f32 v[14:15], v[28:29], v[12:13] op_sel:[0,1]
	s_delay_alu instid0(VALU_DEP_1) | instskip(SKIP_1) | instid1(VALU_DEP_1)
	v_pk_fma_f32 v[18:19], v[28:29], v[10:11], v[14:15] op_sel:[0,0,1] op_sel_hi:[1,1,0] neg_lo:[0,0,1] neg_hi:[0,0,1]
	v_pk_fma_f32 v[14:15], v[28:29], v[10:11], v[14:15] op_sel:[0,0,1] op_sel_hi:[1,0,0]
	v_mov_b32_e32 v19, v15
	v_pk_mul_f32 v[14:15], v[30:31], v[12:13] op_sel:[0,1]
	s_delay_alu instid0(VALU_DEP_2) | instskip(NEXT) | instid1(VALU_DEP_2)
	v_pk_add_f32 v[160:161], v[160:161], v[18:19] neg_lo:[0,1] neg_hi:[0,1]
	v_pk_fma_f32 v[18:19], v[30:31], v[10:11], v[14:15] op_sel:[0,0,1] op_sel_hi:[1,1,0] neg_lo:[0,0,1] neg_hi:[0,0,1]
	v_pk_fma_f32 v[14:15], v[30:31], v[10:11], v[14:15] op_sel:[0,0,1] op_sel_hi:[1,0,0]
	ds_load_2addr_b64 v[28:31], v202 offset0:40 offset1:41
	v_mov_b32_e32 v19, v15
	s_delay_alu instid0(VALU_DEP_1) | instskip(SKIP_2) | instid1(VALU_DEP_1)
	v_pk_add_f32 v[156:157], v[156:157], v[18:19] neg_lo:[0,1] neg_hi:[0,1]
	s_wait_dscnt 0x0
	v_pk_mul_f32 v[14:15], v[28:29], v[12:13] op_sel:[0,1]
	v_pk_fma_f32 v[18:19], v[28:29], v[10:11], v[14:15] op_sel:[0,0,1] op_sel_hi:[1,1,0] neg_lo:[0,0,1] neg_hi:[0,0,1]
	v_pk_fma_f32 v[14:15], v[28:29], v[10:11], v[14:15] op_sel:[0,0,1] op_sel_hi:[1,0,0]
	s_delay_alu instid0(VALU_DEP_1) | instskip(SKIP_1) | instid1(VALU_DEP_2)
	v_mov_b32_e32 v19, v15
	v_pk_mul_f32 v[14:15], v[30:31], v[12:13] op_sel:[0,1]
	v_pk_add_f32 v[178:179], v[178:179], v[18:19] neg_lo:[0,1] neg_hi:[0,1]
	s_delay_alu instid0(VALU_DEP_2) | instskip(SKIP_3) | instid1(VALU_DEP_1)
	v_pk_fma_f32 v[18:19], v[30:31], v[10:11], v[14:15] op_sel:[0,0,1] op_sel_hi:[1,1,0] neg_lo:[0,0,1] neg_hi:[0,0,1]
	v_pk_fma_f32 v[14:15], v[30:31], v[10:11], v[14:15] op_sel:[0,0,1] op_sel_hi:[1,0,0]
	ds_load_2addr_b64 v[28:31], v202 offset0:42 offset1:43
	v_mov_b32_e32 v19, v15
	v_pk_add_f32 v[174:175], v[174:175], v[18:19] neg_lo:[0,1] neg_hi:[0,1]
	s_wait_dscnt 0x0
	v_dual_mul_f32 v18, v29, v10 :: v_dual_mul_f32 v14, v29, v13
	s_delay_alu instid0(VALU_DEP_1) | instskip(NEXT) | instid1(VALU_DEP_2)
	v_pk_fma_f32 v[18:19], v[28:29], v[62:63], v[18:19] op_sel:[1,0,0] op_sel_hi:[0,1,0]
	v_pk_fma_f32 v[14:15], v[28:29], v[62:63], v[14:15] op_sel_hi:[1,1,0] neg_lo:[0,0,1] neg_hi:[0,0,1]
	s_delay_alu instid0(VALU_DEP_2) | instskip(NEXT) | instid1(VALU_DEP_1)
	v_mov_b32_e32 v15, v19
	v_pk_add_f32 v[176:177], v[176:177], v[14:15] neg_lo:[0,1] neg_hi:[0,1]
	v_pk_mul_f32 v[14:15], v[30:31], v[12:13] op_sel:[0,1]
	s_delay_alu instid0(VALU_DEP_1) | instskip(SKIP_3) | instid1(VALU_DEP_1)
	v_pk_fma_f32 v[18:19], v[30:31], v[10:11], v[14:15] op_sel:[0,0,1] op_sel_hi:[1,1,0] neg_lo:[0,0,1] neg_hi:[0,0,1]
	v_pk_fma_f32 v[14:15], v[30:31], v[10:11], v[14:15] op_sel:[0,0,1] op_sel_hi:[1,0,0]
	ds_load_2addr_b64 v[28:31], v202 offset0:44 offset1:45
	v_mov_b32_e32 v19, v15
	v_pk_add_f32 v[172:173], v[172:173], v[18:19] neg_lo:[0,1] neg_hi:[0,1]
	s_wait_dscnt 0x0
	v_pk_mul_f32 v[14:15], v[28:29], v[12:13] op_sel:[0,1]
	s_delay_alu instid0(VALU_DEP_1) | instskip(SKIP_1) | instid1(VALU_DEP_1)
	v_pk_fma_f32 v[18:19], v[28:29], v[10:11], v[14:15] op_sel:[0,0,1] op_sel_hi:[1,1,0] neg_lo:[0,0,1] neg_hi:[0,0,1]
	v_pk_fma_f32 v[14:15], v[28:29], v[10:11], v[14:15] op_sel:[0,0,1] op_sel_hi:[1,0,0]
	v_mov_b32_e32 v19, v15
	v_pk_mul_f32 v[14:15], v[30:31], v[12:13] op_sel:[0,1]
	s_delay_alu instid0(VALU_DEP_2) | instskip(NEXT) | instid1(VALU_DEP_2)
	v_pk_add_f32 v[194:195], v[194:195], v[18:19] neg_lo:[0,1] neg_hi:[0,1]
	v_pk_fma_f32 v[18:19], v[30:31], v[10:11], v[14:15] op_sel:[0,0,1] op_sel_hi:[1,1,0] neg_lo:[0,0,1] neg_hi:[0,0,1]
	v_pk_fma_f32 v[14:15], v[30:31], v[10:11], v[14:15] op_sel:[0,0,1] op_sel_hi:[1,0,0]
	ds_load_2addr_b64 v[28:31], v202 offset0:46 offset1:47
	v_mov_b32_e32 v19, v15
	s_delay_alu instid0(VALU_DEP_1) | instskip(SKIP_2) | instid1(VALU_DEP_1)
	v_pk_add_f32 v[190:191], v[190:191], v[18:19] neg_lo:[0,1] neg_hi:[0,1]
	s_wait_dscnt 0x0
	v_pk_mul_f32 v[14:15], v[28:29], v[12:13] op_sel:[0,1]
	v_pk_fma_f32 v[18:19], v[28:29], v[10:11], v[14:15] op_sel:[0,0,1] op_sel_hi:[1,1,0] neg_lo:[0,0,1] neg_hi:[0,0,1]
	v_pk_fma_f32 v[14:15], v[28:29], v[10:11], v[14:15] op_sel:[0,0,1] op_sel_hi:[1,0,0]
	v_dual_mov_b32 v14, v31 :: v_dual_mul_f32 v28, v31, v10
	s_delay_alu instid0(VALU_DEP_2) | instskip(NEXT) | instid1(VALU_DEP_1)
	v_dual_mov_b32 v19, v15 :: v_dual_mov_b32 v15, v30
	v_pk_add_f32 v[192:193], v[192:193], v[18:19] neg_lo:[0,1] neg_hi:[0,1]
	v_mul_f32_e32 v18, v31, v13
	s_delay_alu instid0(VALU_DEP_3) | instskip(NEXT) | instid1(VALU_DEP_2)
	v_pk_fma_f32 v[14:15], v[14:15], v[62:63], v[28:29] op_sel_hi:[1,1,0]
	v_pk_fma_f32 v[18:19], v[30:31], v[62:63], v[18:19] op_sel_hi:[1,1,0] neg_lo:[0,0,1] neg_hi:[0,0,1]
	ds_load_2addr_b64 v[28:31], v202 offset0:48 offset1:49
	v_mov_b32_e32 v19, v15
	s_delay_alu instid0(VALU_DEP_1) | instskip(SKIP_2) | instid1(VALU_DEP_1)
	v_pk_add_f32 v[188:189], v[188:189], v[18:19] neg_lo:[0,1] neg_hi:[0,1]
	s_wait_dscnt 0x0
	v_pk_mul_f32 v[14:15], v[28:29], v[12:13] op_sel:[0,1]
	v_pk_fma_f32 v[18:19], v[28:29], v[10:11], v[14:15] op_sel:[0,0,1] op_sel_hi:[1,1,0] neg_lo:[0,0,1] neg_hi:[0,0,1]
	v_pk_fma_f32 v[14:15], v[28:29], v[10:11], v[14:15] op_sel:[0,0,1] op_sel_hi:[1,0,0]
	s_delay_alu instid0(VALU_DEP_1) | instskip(SKIP_1) | instid1(VALU_DEP_2)
	v_mov_b32_e32 v19, v15
	v_pk_mul_f32 v[14:15], v[30:31], v[12:13] op_sel:[0,1]
	v_pk_add_f32 v[212:213], v[212:213], v[18:19] neg_lo:[0,1] neg_hi:[0,1]
	s_delay_alu instid0(VALU_DEP_2) | instskip(SKIP_3) | instid1(VALU_DEP_1)
	v_pk_fma_f32 v[18:19], v[30:31], v[10:11], v[14:15] op_sel:[0,0,1] op_sel_hi:[1,1,0] neg_lo:[0,0,1] neg_hi:[0,0,1]
	v_pk_fma_f32 v[14:15], v[30:31], v[10:11], v[14:15] op_sel:[0,0,1] op_sel_hi:[1,0,0]
	ds_load_2addr_b64 v[28:31], v202 offset0:50 offset1:51
	v_mov_b32_e32 v19, v15
	v_pk_add_f32 v[208:209], v[208:209], v[18:19] neg_lo:[0,1] neg_hi:[0,1]
	s_wait_dscnt 0x0
	v_pk_mul_f32 v[14:15], v[28:29], v[12:13] op_sel:[0,1]
	s_delay_alu instid0(VALU_DEP_1) | instskip(SKIP_1) | instid1(VALU_DEP_1)
	v_pk_fma_f32 v[18:19], v[28:29], v[10:11], v[14:15] op_sel:[0,0,1] op_sel_hi:[1,1,0] neg_lo:[0,0,1] neg_hi:[0,0,1]
	v_pk_fma_f32 v[14:15], v[28:29], v[10:11], v[14:15] op_sel:[0,0,1] op_sel_hi:[1,0,0]
	v_mov_b32_e32 v19, v15
	v_pk_mul_f32 v[14:15], v[30:31], v[12:13] op_sel:[0,1]
	s_delay_alu instid0(VALU_DEP_2) | instskip(NEXT) | instid1(VALU_DEP_2)
	v_pk_add_f32 v[210:211], v[210:211], v[18:19] neg_lo:[0,1] neg_hi:[0,1]
	v_pk_fma_f32 v[18:19], v[30:31], v[10:11], v[14:15] op_sel:[0,0,1] op_sel_hi:[1,1,0] neg_lo:[0,0,1] neg_hi:[0,0,1]
	v_pk_fma_f32 v[14:15], v[30:31], v[10:11], v[14:15] op_sel:[0,0,1] op_sel_hi:[1,0,0]
	ds_load_2addr_b64 v[28:31], v202 offset0:52 offset1:53
	v_mov_b32_e32 v19, v15
	s_delay_alu instid0(VALU_DEP_1) | instskip(SKIP_2) | instid1(VALU_DEP_1)
	v_pk_add_f32 v[206:207], v[206:207], v[18:19] neg_lo:[0,1] neg_hi:[0,1]
	s_wait_dscnt 0x0
	v_dual_mul_f32 v18, v29, v10 :: v_dual_mul_f32 v14, v29, v13
	v_pk_fma_f32 v[18:19], v[28:29], v[62:63], v[18:19] op_sel:[1,0,0] op_sel_hi:[0,1,0]
	s_delay_alu instid0(VALU_DEP_2) | instskip(NEXT) | instid1(VALU_DEP_2)
	v_pk_fma_f32 v[14:15], v[28:29], v[62:63], v[14:15] op_sel_hi:[1,1,0] neg_lo:[0,0,1] neg_hi:[0,0,1]
	v_mov_b32_e32 v15, v19
	s_delay_alu instid0(VALU_DEP_1) | instskip(SKIP_1) | instid1(VALU_DEP_1)
	v_pk_add_f32 v[232:233], v[232:233], v[14:15] neg_lo:[0,1] neg_hi:[0,1]
	v_pk_mul_f32 v[14:15], v[30:31], v[12:13] op_sel:[0,1]
	v_pk_fma_f32 v[18:19], v[30:31], v[10:11], v[14:15] op_sel:[0,0,1] op_sel_hi:[1,1,0] neg_lo:[0,0,1] neg_hi:[0,0,1]
	v_pk_fma_f32 v[14:15], v[30:31], v[10:11], v[14:15] op_sel:[0,0,1] op_sel_hi:[1,0,0]
	ds_load_2addr_b64 v[28:31], v202 offset0:54 offset1:55
	v_mov_b32_e32 v19, v15
	s_delay_alu instid0(VALU_DEP_1) | instskip(SKIP_2) | instid1(VALU_DEP_1)
	v_pk_add_f32 v[226:227], v[226:227], v[18:19] neg_lo:[0,1] neg_hi:[0,1]
	s_wait_dscnt 0x0
	v_pk_mul_f32 v[14:15], v[28:29], v[12:13] op_sel:[0,1]
	v_pk_fma_f32 v[18:19], v[28:29], v[10:11], v[14:15] op_sel:[0,0,1] op_sel_hi:[1,1,0] neg_lo:[0,0,1] neg_hi:[0,0,1]
	v_pk_fma_f32 v[14:15], v[28:29], v[10:11], v[14:15] op_sel:[0,0,1] op_sel_hi:[1,0,0]
	s_delay_alu instid0(VALU_DEP_1) | instskip(SKIP_1) | instid1(VALU_DEP_2)
	v_mov_b32_e32 v19, v15
	v_pk_mul_f32 v[14:15], v[30:31], v[12:13] op_sel:[0,1]
	v_pk_add_f32 v[230:231], v[230:231], v[18:19] neg_lo:[0,1] neg_hi:[0,1]
	s_delay_alu instid0(VALU_DEP_2) | instskip(SKIP_3) | instid1(VALU_DEP_1)
	v_pk_fma_f32 v[18:19], v[30:31], v[10:11], v[14:15] op_sel:[0,0,1] op_sel_hi:[1,1,0] neg_lo:[0,0,1] neg_hi:[0,0,1]
	v_pk_fma_f32 v[14:15], v[30:31], v[10:11], v[14:15] op_sel:[0,0,1] op_sel_hi:[1,0,0]
	ds_load_2addr_b64 v[28:31], v202 offset0:56 offset1:57
	v_mov_b32_e32 v19, v15
	v_pk_add_f32 v[224:225], v[224:225], v[18:19] neg_lo:[0,1] neg_hi:[0,1]
	s_wait_dscnt 0x0
	v_pk_mul_f32 v[14:15], v[28:29], v[12:13] op_sel:[0,1]
	s_delay_alu instid0(VALU_DEP_1) | instskip(SKIP_2) | instid1(VALU_DEP_2)
	v_pk_fma_f32 v[18:19], v[28:29], v[10:11], v[14:15] op_sel:[0,0,1] op_sel_hi:[1,1,0] neg_lo:[0,0,1] neg_hi:[0,0,1]
	v_pk_fma_f32 v[14:15], v[28:29], v[10:11], v[14:15] op_sel:[0,0,1] op_sel_hi:[1,0,0]
	v_dual_mov_b32 v14, v31 :: v_dual_mul_f32 v28, v31, v10
	v_dual_mov_b32 v19, v15 :: v_dual_mov_b32 v15, v30
	s_delay_alu instid0(VALU_DEP_1) | instskip(SKIP_1) | instid1(VALU_DEP_3)
	v_pk_add_f32 v[228:229], v[228:229], v[18:19] neg_lo:[0,1] neg_hi:[0,1]
	v_mul_f32_e32 v18, v31, v13
	v_pk_fma_f32 v[14:15], v[14:15], v[62:63], v[28:29] op_sel_hi:[1,1,0]
	s_delay_alu instid0(VALU_DEP_2) | instskip(NEXT) | instid1(VALU_DEP_2)
	v_pk_fma_f32 v[18:19], v[30:31], v[62:63], v[18:19] op_sel_hi:[1,1,0] neg_lo:[0,0,1] neg_hi:[0,0,1]
	v_mov_b32_e32 v19, v15
	ds_load_b64 v[14:15], v202 offset:464
	v_pk_add_f32 v[234:235], v[234:235], v[18:19] neg_lo:[0,1] neg_hi:[0,1]
	s_wait_dscnt 0x0
	v_pk_mul_f32 v[12:13], v[14:15], v[12:13] op_sel:[0,1]
	s_delay_alu instid0(VALU_DEP_1) | instskip(SKIP_1) | instid1(VALU_DEP_1)
	v_pk_fma_f32 v[18:19], v[14:15], v[10:11], v[12:13] op_sel:[0,0,1] op_sel_hi:[1,1,0] neg_lo:[0,0,1] neg_hi:[0,0,1]
	v_pk_fma_f32 v[10:11], v[14:15], v[10:11], v[12:13] op_sel:[0,0,1] op_sel_hi:[1,0,0]
	v_mov_b32_e32 v19, v11
	s_delay_alu instid0(VALU_DEP_1)
	v_pk_add_f32 v[236:237], v[236:237], v[18:19] neg_lo:[0,1] neg_hi:[0,1]
.LBB117_127:
	s_or_b32 exec_lo, exec_lo, s1
	s_delay_alu instid0(SALU_CYCLE_1)
	s_mov_b32 s2, exec_lo
	s_wait_dscnt 0x0
	s_barrier_signal -1
	s_barrier_wait -1
	v_cmpx_eq_u32_e32 14, v200
	s_cbranch_execz .LBB117_134
; %bb.128:
	ds_store_b64 v201, v[64:65]
	ds_store_2addr_b64 v202, v[60:61], v[82:83] offset0:15 offset1:16
	ds_store_2addr_b64 v202, v[78:79], v[80:81] offset0:17 offset1:18
	ds_store_2addr_b64 v202, v[76:77], v[98:99] offset0:19 offset1:20
	ds_store_2addr_b64 v202, v[94:95], v[96:97] offset0:21 offset1:22
	ds_store_2addr_b64 v202, v[92:93], v[114:115] offset0:23 offset1:24
	ds_store_2addr_b64 v202, v[110:111], v[112:113] offset0:25 offset1:26
	ds_store_2addr_b64 v202, v[108:109], v[130:131] offset0:27 offset1:28
	ds_store_2addr_b64 v202, v[126:127], v[128:129] offset0:29 offset1:30
	ds_store_2addr_b64 v202, v[124:125], v[146:147] offset0:31 offset1:32
	ds_store_2addr_b64 v202, v[142:143], v[144:145] offset0:33 offset1:34
	ds_store_2addr_b64 v202, v[140:141], v[162:163] offset0:35 offset1:36
	ds_store_2addr_b64 v202, v[158:159], v[160:161] offset0:37 offset1:38
	ds_store_2addr_b64 v202, v[156:157], v[178:179] offset0:39 offset1:40
	ds_store_2addr_b64 v202, v[174:175], v[176:177] offset0:41 offset1:42
	ds_store_2addr_b64 v202, v[172:173], v[194:195] offset0:43 offset1:44
	ds_store_2addr_b64 v202, v[190:191], v[192:193] offset0:45 offset1:46
	ds_store_2addr_b64 v202, v[188:189], v[212:213] offset0:47 offset1:48
	ds_store_2addr_b64 v202, v[208:209], v[210:211] offset0:49 offset1:50
	ds_store_2addr_b64 v202, v[206:207], v[232:233] offset0:51 offset1:52
	ds_store_2addr_b64 v202, v[226:227], v[230:231] offset0:53 offset1:54
	ds_store_2addr_b64 v202, v[224:225], v[228:229] offset0:55 offset1:56
	ds_store_2addr_b64 v202, v[234:235], v[236:237] offset0:57 offset1:58
	ds_load_b64 v[10:11], v201
	s_wait_dscnt 0x0
	v_cmp_neq_f32_e32 vcc_lo, 0, v10
	v_cmp_neq_f32_e64 s1, 0, v11
	s_or_b32 s1, vcc_lo, s1
	s_delay_alu instid0(SALU_CYCLE_1)
	s_and_b32 exec_lo, exec_lo, s1
	s_cbranch_execz .LBB117_134
; %bb.129:
	v_cmp_ngt_f32_e64 s1, |v10|, |v11|
                                        ; implicit-def: $vgpr12_vgpr13
	s_and_saveexec_b32 s4, s1
	s_delay_alu instid0(SALU_CYCLE_1)
	s_xor_b32 s1, exec_lo, s4
	s_cbranch_execz .LBB117_131
; %bb.130:
	v_div_scale_f32 v12, null, v11, v11, v10
	v_div_scale_f32 v15, vcc_lo, v10, v11, v10
	s_delay_alu instid0(VALU_DEP_2) | instskip(SKIP_1) | instid1(TRANS32_DEP_1)
	v_rcp_f32_e32 v13, v12
	v_nop
	v_fma_f32 v14, -v12, v13, 1.0
	s_delay_alu instid0(VALU_DEP_1) | instskip(NEXT) | instid1(VALU_DEP_1)
	v_fmac_f32_e32 v13, v14, v13
	v_mul_f32_e32 v14, v15, v13
	s_delay_alu instid0(VALU_DEP_1) | instskip(NEXT) | instid1(VALU_DEP_1)
	v_fma_f32 v18, -v12, v14, v15
	v_fmac_f32_e32 v14, v18, v13
	s_delay_alu instid0(VALU_DEP_1) | instskip(NEXT) | instid1(VALU_DEP_1)
	v_fma_f32 v12, -v12, v14, v15
	v_div_fmas_f32 v12, v12, v13, v14
	s_delay_alu instid0(VALU_DEP_1) | instskip(NEXT) | instid1(VALU_DEP_1)
	v_div_fixup_f32 v12, v12, v11, v10
	v_fmac_f32_e32 v11, v10, v12
	s_delay_alu instid0(VALU_DEP_1) | instskip(SKIP_1) | instid1(VALU_DEP_2)
	v_div_scale_f32 v10, null, v11, v11, 1.0
	v_div_scale_f32 v15, vcc_lo, 1.0, v11, 1.0
	v_rcp_f32_e32 v13, v10
	v_nop
	s_delay_alu instid0(TRANS32_DEP_1) | instskip(NEXT) | instid1(VALU_DEP_1)
	v_fma_f32 v14, -v10, v13, 1.0
	v_fmac_f32_e32 v13, v14, v13
	s_delay_alu instid0(VALU_DEP_1) | instskip(NEXT) | instid1(VALU_DEP_1)
	v_mul_f32_e32 v14, v15, v13
	v_fma_f32 v18, -v10, v14, v15
	s_delay_alu instid0(VALU_DEP_1) | instskip(NEXT) | instid1(VALU_DEP_1)
	v_fmac_f32_e32 v14, v18, v13
	v_fma_f32 v10, -v10, v14, v15
	s_delay_alu instid0(VALU_DEP_1) | instskip(NEXT) | instid1(VALU_DEP_1)
	v_div_fmas_f32 v10, v10, v13, v14
	v_div_fixup_f32 v10, v10, v11, 1.0
	s_delay_alu instid0(VALU_DEP_1)
	v_mul_f32_e32 v12, v12, v10
	v_xor_b32_e32 v13, 0x80000000, v10
                                        ; implicit-def: $vgpr10_vgpr11
.LBB117_131:
	s_and_not1_saveexec_b32 s1, s1
	s_cbranch_execz .LBB117_133
; %bb.132:
	v_div_scale_f32 v12, null, v10, v10, v11
	v_div_scale_f32 v15, vcc_lo, v11, v10, v11
	s_delay_alu instid0(VALU_DEP_2) | instskip(SKIP_1) | instid1(TRANS32_DEP_1)
	v_rcp_f32_e32 v13, v12
	v_nop
	v_fma_f32 v14, -v12, v13, 1.0
	s_delay_alu instid0(VALU_DEP_1) | instskip(NEXT) | instid1(VALU_DEP_1)
	v_fmac_f32_e32 v13, v14, v13
	v_mul_f32_e32 v14, v15, v13
	s_delay_alu instid0(VALU_DEP_1) | instskip(NEXT) | instid1(VALU_DEP_1)
	v_fma_f32 v18, -v12, v14, v15
	v_fmac_f32_e32 v14, v18, v13
	s_delay_alu instid0(VALU_DEP_1) | instskip(NEXT) | instid1(VALU_DEP_1)
	v_fma_f32 v12, -v12, v14, v15
	v_div_fmas_f32 v12, v12, v13, v14
	s_delay_alu instid0(VALU_DEP_1) | instskip(NEXT) | instid1(VALU_DEP_1)
	v_div_fixup_f32 v13, v12, v10, v11
	v_fmac_f32_e32 v10, v11, v13
	s_delay_alu instid0(VALU_DEP_1) | instskip(NEXT) | instid1(VALU_DEP_1)
	v_div_scale_f32 v11, null, v10, v10, 1.0
	v_rcp_f32_e32 v12, v11
	v_nop
	s_delay_alu instid0(TRANS32_DEP_1) | instskip(NEXT) | instid1(VALU_DEP_1)
	v_fma_f32 v14, -v11, v12, 1.0
	v_fmac_f32_e32 v12, v14, v12
	v_div_scale_f32 v14, vcc_lo, 1.0, v10, 1.0
	s_delay_alu instid0(VALU_DEP_1) | instskip(NEXT) | instid1(VALU_DEP_1)
	v_mul_f32_e32 v15, v14, v12
	v_fma_f32 v18, -v11, v15, v14
	s_delay_alu instid0(VALU_DEP_1) | instskip(NEXT) | instid1(VALU_DEP_1)
	v_fmac_f32_e32 v15, v18, v12
	v_fma_f32 v11, -v11, v15, v14
	s_delay_alu instid0(VALU_DEP_1) | instskip(NEXT) | instid1(VALU_DEP_1)
	v_div_fmas_f32 v11, v11, v12, v15
	v_div_fixup_f32 v12, v11, v10, 1.0
	s_delay_alu instid0(VALU_DEP_1)
	v_mul_f32_e64 v13, v13, -v12
.LBB117_133:
	s_or_b32 exec_lo, exec_lo, s1
	ds_store_b64 v201, v[12:13]
.LBB117_134:
	s_or_b32 exec_lo, exec_lo, s2
	s_wait_dscnt 0x0
	s_barrier_signal -1
	s_barrier_wait -1
	ds_load_b64 v[10:11], v201
	s_mov_b32 s1, exec_lo
	v_cmpx_lt_u32_e32 14, v200
	s_cbranch_execz .LBB117_136
; %bb.135:
	ds_load_2addr_b64 v[28:31], v202 offset0:15 offset1:16
	s_wait_dscnt 0x1
	v_pk_mul_f32 v[14:15], v[10:11], v[64:65] op_sel:[1,1] op_sel_hi:[0,1]
	s_delay_alu instid0(VALU_DEP_1) | instskip(SKIP_1) | instid1(VALU_DEP_1)
	v_pk_fma_f32 v[12:13], v[10:11], v[64:65], v[14:15] op_sel_hi:[1,0,1] neg_lo:[0,0,1] neg_hi:[0,0,1]
	v_pk_fma_f32 v[14:15], v[10:11], v[64:65], v[14:15] op_sel_hi:[1,0,1]
	v_dual_mov_b32 v64, v12 :: v_dual_mov_b32 v65, v15
	s_wait_dscnt 0x0
	s_delay_alu instid0(VALU_DEP_2) | instskip(NEXT) | instid1(VALU_DEP_1)
	v_pk_mul_f32 v[18:19], v[28:29], v[14:15] op_sel:[0,1]
	v_pk_fma_f32 v[32:33], v[28:29], v[12:13], v[18:19] op_sel:[0,0,1] op_sel_hi:[1,1,0] neg_lo:[0,0,1] neg_hi:[0,0,1]
	v_pk_fma_f32 v[18:19], v[28:29], v[12:13], v[18:19] op_sel:[0,0,1] op_sel_hi:[1,0,0]
	s_delay_alu instid0(VALU_DEP_1) | instskip(SKIP_1) | instid1(VALU_DEP_1)
	v_mov_b32_e32 v33, v19
	v_pk_mul_f32 v[18:19], v[30:31], v[14:15] op_sel:[0,1]
	v_pk_fma_f32 v[28:29], v[30:31], v[12:13], v[18:19] op_sel:[0,0,1] op_sel_hi:[1,1,0] neg_lo:[0,0,1] neg_hi:[0,0,1]
	v_pk_fma_f32 v[18:19], v[30:31], v[12:13], v[18:19] op_sel:[0,0,1] op_sel_hi:[1,0,0]
	s_delay_alu instid0(VALU_DEP_1) | instskip(SKIP_1) | instid1(VALU_DEP_2)
	v_mov_b32_e32 v29, v19
	v_pk_add_f32 v[60:61], v[60:61], v[32:33] neg_lo:[0,1] neg_hi:[0,1]
	v_pk_add_f32 v[82:83], v[82:83], v[28:29] neg_lo:[0,1] neg_hi:[0,1]
	ds_load_2addr_b64 v[28:31], v202 offset0:17 offset1:18
	s_wait_dscnt 0x0
	v_pk_mul_f32 v[18:19], v[28:29], v[14:15] op_sel:[0,1]
	s_delay_alu instid0(VALU_DEP_1) | instskip(SKIP_2) | instid1(VALU_DEP_2)
	v_pk_fma_f32 v[32:33], v[28:29], v[12:13], v[18:19] op_sel:[0,0,1] op_sel_hi:[1,1,0] neg_lo:[0,0,1] neg_hi:[0,0,1]
	v_pk_fma_f32 v[18:19], v[28:29], v[12:13], v[18:19] op_sel:[0,0,1] op_sel_hi:[1,0,0]
	v_dual_mul_f32 v28, v31, v15 :: v_dual_mov_b32 v18, v31
	v_dual_mov_b32 v33, v19 :: v_dual_mov_b32 v19, v30
	s_delay_alu instid0(VALU_DEP_2) | instskip(SKIP_1) | instid1(VALU_DEP_3)
	v_pk_fma_f32 v[28:29], v[30:31], v[64:65], v[28:29] op_sel_hi:[1,1,0] neg_lo:[0,0,1] neg_hi:[0,0,1]
	v_mul_f32_e32 v30, v31, v12
	v_pk_add_f32 v[78:79], v[78:79], v[32:33] neg_lo:[0,1] neg_hi:[0,1]
	s_delay_alu instid0(VALU_DEP_2) | instskip(NEXT) | instid1(VALU_DEP_1)
	v_pk_fma_f32 v[18:19], v[18:19], v[64:65], v[30:31] op_sel_hi:[1,1,0]
	v_mov_b32_e32 v29, v19
	s_delay_alu instid0(VALU_DEP_1) | instskip(SKIP_3) | instid1(VALU_DEP_1)
	v_pk_add_f32 v[80:81], v[80:81], v[28:29] neg_lo:[0,1] neg_hi:[0,1]
	ds_load_2addr_b64 v[28:31], v202 offset0:19 offset1:20
	s_wait_dscnt 0x0
	v_pk_mul_f32 v[18:19], v[28:29], v[14:15] op_sel:[0,1]
	v_pk_fma_f32 v[32:33], v[28:29], v[12:13], v[18:19] op_sel:[0,0,1] op_sel_hi:[1,1,0] neg_lo:[0,0,1] neg_hi:[0,0,1]
	v_pk_fma_f32 v[18:19], v[28:29], v[12:13], v[18:19] op_sel:[0,0,1] op_sel_hi:[1,0,0]
	s_delay_alu instid0(VALU_DEP_1) | instskip(SKIP_1) | instid1(VALU_DEP_2)
	v_mov_b32_e32 v33, v19
	v_pk_mul_f32 v[18:19], v[30:31], v[14:15] op_sel:[0,1]
	v_pk_add_f32 v[76:77], v[76:77], v[32:33] neg_lo:[0,1] neg_hi:[0,1]
	s_delay_alu instid0(VALU_DEP_2) | instskip(SKIP_1) | instid1(VALU_DEP_1)
	v_pk_fma_f32 v[28:29], v[30:31], v[12:13], v[18:19] op_sel:[0,0,1] op_sel_hi:[1,1,0] neg_lo:[0,0,1] neg_hi:[0,0,1]
	v_pk_fma_f32 v[18:19], v[30:31], v[12:13], v[18:19] op_sel:[0,0,1] op_sel_hi:[1,0,0]
	v_mov_b32_e32 v29, v19
	s_delay_alu instid0(VALU_DEP_1) | instskip(SKIP_3) | instid1(VALU_DEP_1)
	v_pk_add_f32 v[98:99], v[98:99], v[28:29] neg_lo:[0,1] neg_hi:[0,1]
	ds_load_2addr_b64 v[28:31], v202 offset0:21 offset1:22
	s_wait_dscnt 0x0
	v_pk_mul_f32 v[18:19], v[28:29], v[14:15] op_sel:[0,1]
	v_pk_fma_f32 v[32:33], v[28:29], v[12:13], v[18:19] op_sel:[0,0,1] op_sel_hi:[1,1,0] neg_lo:[0,0,1] neg_hi:[0,0,1]
	v_pk_fma_f32 v[18:19], v[28:29], v[12:13], v[18:19] op_sel:[0,0,1] op_sel_hi:[1,0,0]
	s_delay_alu instid0(VALU_DEP_1) | instskip(SKIP_1) | instid1(VALU_DEP_2)
	v_mov_b32_e32 v33, v19
	v_pk_mul_f32 v[18:19], v[30:31], v[14:15] op_sel:[0,1]
	v_pk_add_f32 v[94:95], v[94:95], v[32:33] neg_lo:[0,1] neg_hi:[0,1]
	s_delay_alu instid0(VALU_DEP_2) | instskip(SKIP_1) | instid1(VALU_DEP_1)
	v_pk_fma_f32 v[28:29], v[30:31], v[12:13], v[18:19] op_sel:[0,0,1] op_sel_hi:[1,1,0] neg_lo:[0,0,1] neg_hi:[0,0,1]
	v_pk_fma_f32 v[18:19], v[30:31], v[12:13], v[18:19] op_sel:[0,0,1] op_sel_hi:[1,0,0]
	v_mov_b32_e32 v29, v19
	s_delay_alu instid0(VALU_DEP_1) | instskip(SKIP_3) | instid1(VALU_DEP_1)
	v_pk_add_f32 v[96:97], v[96:97], v[28:29] neg_lo:[0,1] neg_hi:[0,1]
	ds_load_2addr_b64 v[28:31], v202 offset0:23 offset1:24
	s_wait_dscnt 0x0
	v_dual_mul_f32 v18, v29, v15 :: v_dual_mul_f32 v32, v29, v12
	v_pk_fma_f32 v[18:19], v[28:29], v[64:65], v[18:19] op_sel_hi:[1,1,0] neg_lo:[0,0,1] neg_hi:[0,0,1]
	s_delay_alu instid0(VALU_DEP_2) | instskip(NEXT) | instid1(VALU_DEP_1)
	v_pk_fma_f32 v[28:29], v[28:29], v[64:65], v[32:33] op_sel:[1,0,0] op_sel_hi:[0,1,0]
	v_mov_b32_e32 v19, v29
	s_delay_alu instid0(VALU_DEP_1) | instskip(SKIP_1) | instid1(VALU_DEP_1)
	v_pk_add_f32 v[92:93], v[92:93], v[18:19] neg_lo:[0,1] neg_hi:[0,1]
	v_pk_mul_f32 v[18:19], v[30:31], v[14:15] op_sel:[0,1]
	v_pk_fma_f32 v[28:29], v[30:31], v[12:13], v[18:19] op_sel:[0,0,1] op_sel_hi:[1,1,0] neg_lo:[0,0,1] neg_hi:[0,0,1]
	v_pk_fma_f32 v[18:19], v[30:31], v[12:13], v[18:19] op_sel:[0,0,1] op_sel_hi:[1,0,0]
	s_delay_alu instid0(VALU_DEP_1) | instskip(NEXT) | instid1(VALU_DEP_1)
	v_mov_b32_e32 v29, v19
	v_pk_add_f32 v[114:115], v[114:115], v[28:29] neg_lo:[0,1] neg_hi:[0,1]
	ds_load_2addr_b64 v[28:31], v202 offset0:25 offset1:26
	s_wait_dscnt 0x0
	v_pk_mul_f32 v[18:19], v[28:29], v[14:15] op_sel:[0,1]
	s_delay_alu instid0(VALU_DEP_1) | instskip(SKIP_1) | instid1(VALU_DEP_1)
	v_pk_fma_f32 v[32:33], v[28:29], v[12:13], v[18:19] op_sel:[0,0,1] op_sel_hi:[1,1,0] neg_lo:[0,0,1] neg_hi:[0,0,1]
	v_pk_fma_f32 v[18:19], v[28:29], v[12:13], v[18:19] op_sel:[0,0,1] op_sel_hi:[1,0,0]
	v_mov_b32_e32 v33, v19
	v_pk_mul_f32 v[18:19], v[30:31], v[14:15] op_sel:[0,1]
	s_delay_alu instid0(VALU_DEP_2) | instskip(NEXT) | instid1(VALU_DEP_2)
	v_pk_add_f32 v[110:111], v[110:111], v[32:33] neg_lo:[0,1] neg_hi:[0,1]
	v_pk_fma_f32 v[28:29], v[30:31], v[12:13], v[18:19] op_sel:[0,0,1] op_sel_hi:[1,1,0] neg_lo:[0,0,1] neg_hi:[0,0,1]
	v_pk_fma_f32 v[18:19], v[30:31], v[12:13], v[18:19] op_sel:[0,0,1] op_sel_hi:[1,0,0]
	s_delay_alu instid0(VALU_DEP_1) | instskip(NEXT) | instid1(VALU_DEP_1)
	v_mov_b32_e32 v29, v19
	v_pk_add_f32 v[112:113], v[112:113], v[28:29] neg_lo:[0,1] neg_hi:[0,1]
	ds_load_2addr_b64 v[28:31], v202 offset0:27 offset1:28
	s_wait_dscnt 0x0
	v_pk_mul_f32 v[18:19], v[28:29], v[14:15] op_sel:[0,1]
	s_delay_alu instid0(VALU_DEP_1) | instskip(SKIP_2) | instid1(VALU_DEP_2)
	v_pk_fma_f32 v[32:33], v[28:29], v[12:13], v[18:19] op_sel:[0,0,1] op_sel_hi:[1,1,0] neg_lo:[0,0,1] neg_hi:[0,0,1]
	v_pk_fma_f32 v[18:19], v[28:29], v[12:13], v[18:19] op_sel:[0,0,1] op_sel_hi:[1,0,0]
	v_dual_mul_f32 v28, v31, v15 :: v_dual_mov_b32 v18, v31
	v_dual_mov_b32 v33, v19 :: v_dual_mov_b32 v19, v30
	s_delay_alu instid0(VALU_DEP_2) | instskip(SKIP_1) | instid1(VALU_DEP_3)
	v_pk_fma_f32 v[28:29], v[30:31], v[64:65], v[28:29] op_sel_hi:[1,1,0] neg_lo:[0,0,1] neg_hi:[0,0,1]
	v_mul_f32_e32 v30, v31, v12
	v_pk_add_f32 v[108:109], v[108:109], v[32:33] neg_lo:[0,1] neg_hi:[0,1]
	s_delay_alu instid0(VALU_DEP_2) | instskip(NEXT) | instid1(VALU_DEP_1)
	v_pk_fma_f32 v[18:19], v[18:19], v[64:65], v[30:31] op_sel_hi:[1,1,0]
	v_mov_b32_e32 v29, v19
	s_delay_alu instid0(VALU_DEP_1) | instskip(SKIP_3) | instid1(VALU_DEP_1)
	v_pk_add_f32 v[130:131], v[130:131], v[28:29] neg_lo:[0,1] neg_hi:[0,1]
	ds_load_2addr_b64 v[28:31], v202 offset0:29 offset1:30
	s_wait_dscnt 0x0
	v_pk_mul_f32 v[18:19], v[28:29], v[14:15] op_sel:[0,1]
	v_pk_fma_f32 v[32:33], v[28:29], v[12:13], v[18:19] op_sel:[0,0,1] op_sel_hi:[1,1,0] neg_lo:[0,0,1] neg_hi:[0,0,1]
	v_pk_fma_f32 v[18:19], v[28:29], v[12:13], v[18:19] op_sel:[0,0,1] op_sel_hi:[1,0,0]
	s_delay_alu instid0(VALU_DEP_1) | instskip(SKIP_1) | instid1(VALU_DEP_2)
	v_mov_b32_e32 v33, v19
	v_pk_mul_f32 v[18:19], v[30:31], v[14:15] op_sel:[0,1]
	v_pk_add_f32 v[126:127], v[126:127], v[32:33] neg_lo:[0,1] neg_hi:[0,1]
	s_delay_alu instid0(VALU_DEP_2) | instskip(SKIP_1) | instid1(VALU_DEP_1)
	v_pk_fma_f32 v[28:29], v[30:31], v[12:13], v[18:19] op_sel:[0,0,1] op_sel_hi:[1,1,0] neg_lo:[0,0,1] neg_hi:[0,0,1]
	v_pk_fma_f32 v[18:19], v[30:31], v[12:13], v[18:19] op_sel:[0,0,1] op_sel_hi:[1,0,0]
	v_mov_b32_e32 v29, v19
	s_delay_alu instid0(VALU_DEP_1) | instskip(SKIP_3) | instid1(VALU_DEP_1)
	v_pk_add_f32 v[128:129], v[128:129], v[28:29] neg_lo:[0,1] neg_hi:[0,1]
	ds_load_2addr_b64 v[28:31], v202 offset0:31 offset1:32
	s_wait_dscnt 0x0
	v_pk_mul_f32 v[18:19], v[28:29], v[14:15] op_sel:[0,1]
	v_pk_fma_f32 v[32:33], v[28:29], v[12:13], v[18:19] op_sel:[0,0,1] op_sel_hi:[1,1,0] neg_lo:[0,0,1] neg_hi:[0,0,1]
	v_pk_fma_f32 v[18:19], v[28:29], v[12:13], v[18:19] op_sel:[0,0,1] op_sel_hi:[1,0,0]
	s_delay_alu instid0(VALU_DEP_1) | instskip(SKIP_1) | instid1(VALU_DEP_2)
	v_mov_b32_e32 v33, v19
	v_pk_mul_f32 v[18:19], v[30:31], v[14:15] op_sel:[0,1]
	v_pk_add_f32 v[124:125], v[124:125], v[32:33] neg_lo:[0,1] neg_hi:[0,1]
	s_delay_alu instid0(VALU_DEP_2) | instskip(SKIP_1) | instid1(VALU_DEP_1)
	v_pk_fma_f32 v[28:29], v[30:31], v[12:13], v[18:19] op_sel:[0,0,1] op_sel_hi:[1,1,0] neg_lo:[0,0,1] neg_hi:[0,0,1]
	v_pk_fma_f32 v[18:19], v[30:31], v[12:13], v[18:19] op_sel:[0,0,1] op_sel_hi:[1,0,0]
	v_mov_b32_e32 v29, v19
	s_delay_alu instid0(VALU_DEP_1) | instskip(SKIP_3) | instid1(VALU_DEP_1)
	v_pk_add_f32 v[146:147], v[146:147], v[28:29] neg_lo:[0,1] neg_hi:[0,1]
	ds_load_2addr_b64 v[28:31], v202 offset0:33 offset1:34
	s_wait_dscnt 0x0
	v_dual_mul_f32 v18, v29, v15 :: v_dual_mul_f32 v32, v29, v12
	v_pk_fma_f32 v[18:19], v[28:29], v[64:65], v[18:19] op_sel_hi:[1,1,0] neg_lo:[0,0,1] neg_hi:[0,0,1]
	s_delay_alu instid0(VALU_DEP_2) | instskip(NEXT) | instid1(VALU_DEP_1)
	v_pk_fma_f32 v[28:29], v[28:29], v[64:65], v[32:33] op_sel:[1,0,0] op_sel_hi:[0,1,0]
	v_mov_b32_e32 v19, v29
	s_delay_alu instid0(VALU_DEP_1) | instskip(SKIP_1) | instid1(VALU_DEP_1)
	v_pk_add_f32 v[142:143], v[142:143], v[18:19] neg_lo:[0,1] neg_hi:[0,1]
	v_pk_mul_f32 v[18:19], v[30:31], v[14:15] op_sel:[0,1]
	v_pk_fma_f32 v[28:29], v[30:31], v[12:13], v[18:19] op_sel:[0,0,1] op_sel_hi:[1,1,0] neg_lo:[0,0,1] neg_hi:[0,0,1]
	v_pk_fma_f32 v[18:19], v[30:31], v[12:13], v[18:19] op_sel:[0,0,1] op_sel_hi:[1,0,0]
	s_delay_alu instid0(VALU_DEP_1) | instskip(NEXT) | instid1(VALU_DEP_1)
	v_mov_b32_e32 v29, v19
	v_pk_add_f32 v[144:145], v[144:145], v[28:29] neg_lo:[0,1] neg_hi:[0,1]
	ds_load_2addr_b64 v[28:31], v202 offset0:35 offset1:36
	s_wait_dscnt 0x0
	v_pk_mul_f32 v[18:19], v[28:29], v[14:15] op_sel:[0,1]
	s_delay_alu instid0(VALU_DEP_1) | instskip(SKIP_1) | instid1(VALU_DEP_1)
	v_pk_fma_f32 v[32:33], v[28:29], v[12:13], v[18:19] op_sel:[0,0,1] op_sel_hi:[1,1,0] neg_lo:[0,0,1] neg_hi:[0,0,1]
	v_pk_fma_f32 v[18:19], v[28:29], v[12:13], v[18:19] op_sel:[0,0,1] op_sel_hi:[1,0,0]
	v_mov_b32_e32 v33, v19
	v_pk_mul_f32 v[18:19], v[30:31], v[14:15] op_sel:[0,1]
	s_delay_alu instid0(VALU_DEP_2) | instskip(NEXT) | instid1(VALU_DEP_2)
	v_pk_add_f32 v[140:141], v[140:141], v[32:33] neg_lo:[0,1] neg_hi:[0,1]
	v_pk_fma_f32 v[28:29], v[30:31], v[12:13], v[18:19] op_sel:[0,0,1] op_sel_hi:[1,1,0] neg_lo:[0,0,1] neg_hi:[0,0,1]
	v_pk_fma_f32 v[18:19], v[30:31], v[12:13], v[18:19] op_sel:[0,0,1] op_sel_hi:[1,0,0]
	s_delay_alu instid0(VALU_DEP_1) | instskip(NEXT) | instid1(VALU_DEP_1)
	v_mov_b32_e32 v29, v19
	v_pk_add_f32 v[162:163], v[162:163], v[28:29] neg_lo:[0,1] neg_hi:[0,1]
	ds_load_2addr_b64 v[28:31], v202 offset0:37 offset1:38
	s_wait_dscnt 0x0
	v_pk_mul_f32 v[18:19], v[28:29], v[14:15] op_sel:[0,1]
	s_delay_alu instid0(VALU_DEP_1) | instskip(SKIP_2) | instid1(VALU_DEP_2)
	v_pk_fma_f32 v[32:33], v[28:29], v[12:13], v[18:19] op_sel:[0,0,1] op_sel_hi:[1,1,0] neg_lo:[0,0,1] neg_hi:[0,0,1]
	v_pk_fma_f32 v[18:19], v[28:29], v[12:13], v[18:19] op_sel:[0,0,1] op_sel_hi:[1,0,0]
	v_dual_mul_f32 v28, v31, v15 :: v_dual_mov_b32 v18, v31
	v_dual_mov_b32 v33, v19 :: v_dual_mov_b32 v19, v30
	s_delay_alu instid0(VALU_DEP_2) | instskip(SKIP_1) | instid1(VALU_DEP_3)
	v_pk_fma_f32 v[28:29], v[30:31], v[64:65], v[28:29] op_sel_hi:[1,1,0] neg_lo:[0,0,1] neg_hi:[0,0,1]
	v_mul_f32_e32 v30, v31, v12
	v_pk_add_f32 v[158:159], v[158:159], v[32:33] neg_lo:[0,1] neg_hi:[0,1]
	s_delay_alu instid0(VALU_DEP_2) | instskip(NEXT) | instid1(VALU_DEP_1)
	v_pk_fma_f32 v[18:19], v[18:19], v[64:65], v[30:31] op_sel_hi:[1,1,0]
	v_mov_b32_e32 v29, v19
	s_delay_alu instid0(VALU_DEP_1) | instskip(SKIP_3) | instid1(VALU_DEP_1)
	v_pk_add_f32 v[160:161], v[160:161], v[28:29] neg_lo:[0,1] neg_hi:[0,1]
	ds_load_2addr_b64 v[28:31], v202 offset0:39 offset1:40
	s_wait_dscnt 0x0
	v_pk_mul_f32 v[18:19], v[28:29], v[14:15] op_sel:[0,1]
	v_pk_fma_f32 v[32:33], v[28:29], v[12:13], v[18:19] op_sel:[0,0,1] op_sel_hi:[1,1,0] neg_lo:[0,0,1] neg_hi:[0,0,1]
	v_pk_fma_f32 v[18:19], v[28:29], v[12:13], v[18:19] op_sel:[0,0,1] op_sel_hi:[1,0,0]
	s_delay_alu instid0(VALU_DEP_1) | instskip(SKIP_1) | instid1(VALU_DEP_2)
	v_mov_b32_e32 v33, v19
	v_pk_mul_f32 v[18:19], v[30:31], v[14:15] op_sel:[0,1]
	v_pk_add_f32 v[156:157], v[156:157], v[32:33] neg_lo:[0,1] neg_hi:[0,1]
	s_delay_alu instid0(VALU_DEP_2) | instskip(SKIP_1) | instid1(VALU_DEP_1)
	v_pk_fma_f32 v[28:29], v[30:31], v[12:13], v[18:19] op_sel:[0,0,1] op_sel_hi:[1,1,0] neg_lo:[0,0,1] neg_hi:[0,0,1]
	v_pk_fma_f32 v[18:19], v[30:31], v[12:13], v[18:19] op_sel:[0,0,1] op_sel_hi:[1,0,0]
	v_mov_b32_e32 v29, v19
	s_delay_alu instid0(VALU_DEP_1) | instskip(SKIP_3) | instid1(VALU_DEP_1)
	v_pk_add_f32 v[178:179], v[178:179], v[28:29] neg_lo:[0,1] neg_hi:[0,1]
	ds_load_2addr_b64 v[28:31], v202 offset0:41 offset1:42
	s_wait_dscnt 0x0
	v_pk_mul_f32 v[18:19], v[28:29], v[14:15] op_sel:[0,1]
	v_pk_fma_f32 v[32:33], v[28:29], v[12:13], v[18:19] op_sel:[0,0,1] op_sel_hi:[1,1,0] neg_lo:[0,0,1] neg_hi:[0,0,1]
	v_pk_fma_f32 v[18:19], v[28:29], v[12:13], v[18:19] op_sel:[0,0,1] op_sel_hi:[1,0,0]
	s_delay_alu instid0(VALU_DEP_1) | instskip(SKIP_1) | instid1(VALU_DEP_2)
	v_mov_b32_e32 v33, v19
	v_pk_mul_f32 v[18:19], v[30:31], v[14:15] op_sel:[0,1]
	v_pk_add_f32 v[174:175], v[174:175], v[32:33] neg_lo:[0,1] neg_hi:[0,1]
	s_delay_alu instid0(VALU_DEP_2) | instskip(SKIP_1) | instid1(VALU_DEP_1)
	v_pk_fma_f32 v[28:29], v[30:31], v[12:13], v[18:19] op_sel:[0,0,1] op_sel_hi:[1,1,0] neg_lo:[0,0,1] neg_hi:[0,0,1]
	v_pk_fma_f32 v[18:19], v[30:31], v[12:13], v[18:19] op_sel:[0,0,1] op_sel_hi:[1,0,0]
	v_mov_b32_e32 v29, v19
	s_delay_alu instid0(VALU_DEP_1) | instskip(SKIP_3) | instid1(VALU_DEP_1)
	v_pk_add_f32 v[176:177], v[176:177], v[28:29] neg_lo:[0,1] neg_hi:[0,1]
	ds_load_2addr_b64 v[28:31], v202 offset0:43 offset1:44
	s_wait_dscnt 0x0
	v_dual_mul_f32 v18, v29, v15 :: v_dual_mul_f32 v32, v29, v12
	v_pk_fma_f32 v[18:19], v[28:29], v[64:65], v[18:19] op_sel_hi:[1,1,0] neg_lo:[0,0,1] neg_hi:[0,0,1]
	s_delay_alu instid0(VALU_DEP_2) | instskip(NEXT) | instid1(VALU_DEP_1)
	v_pk_fma_f32 v[28:29], v[28:29], v[64:65], v[32:33] op_sel:[1,0,0] op_sel_hi:[0,1,0]
	v_mov_b32_e32 v19, v29
	s_delay_alu instid0(VALU_DEP_1) | instskip(SKIP_1) | instid1(VALU_DEP_1)
	v_pk_add_f32 v[172:173], v[172:173], v[18:19] neg_lo:[0,1] neg_hi:[0,1]
	v_pk_mul_f32 v[18:19], v[30:31], v[14:15] op_sel:[0,1]
	v_pk_fma_f32 v[28:29], v[30:31], v[12:13], v[18:19] op_sel:[0,0,1] op_sel_hi:[1,1,0] neg_lo:[0,0,1] neg_hi:[0,0,1]
	v_pk_fma_f32 v[18:19], v[30:31], v[12:13], v[18:19] op_sel:[0,0,1] op_sel_hi:[1,0,0]
	s_delay_alu instid0(VALU_DEP_1) | instskip(NEXT) | instid1(VALU_DEP_1)
	v_mov_b32_e32 v29, v19
	v_pk_add_f32 v[194:195], v[194:195], v[28:29] neg_lo:[0,1] neg_hi:[0,1]
	ds_load_2addr_b64 v[28:31], v202 offset0:45 offset1:46
	s_wait_dscnt 0x0
	v_pk_mul_f32 v[18:19], v[28:29], v[14:15] op_sel:[0,1]
	s_delay_alu instid0(VALU_DEP_1) | instskip(SKIP_1) | instid1(VALU_DEP_1)
	v_pk_fma_f32 v[32:33], v[28:29], v[12:13], v[18:19] op_sel:[0,0,1] op_sel_hi:[1,1,0] neg_lo:[0,0,1] neg_hi:[0,0,1]
	v_pk_fma_f32 v[18:19], v[28:29], v[12:13], v[18:19] op_sel:[0,0,1] op_sel_hi:[1,0,0]
	v_mov_b32_e32 v33, v19
	v_pk_mul_f32 v[18:19], v[30:31], v[14:15] op_sel:[0,1]
	s_delay_alu instid0(VALU_DEP_2) | instskip(NEXT) | instid1(VALU_DEP_2)
	v_pk_add_f32 v[190:191], v[190:191], v[32:33] neg_lo:[0,1] neg_hi:[0,1]
	v_pk_fma_f32 v[28:29], v[30:31], v[12:13], v[18:19] op_sel:[0,0,1] op_sel_hi:[1,1,0] neg_lo:[0,0,1] neg_hi:[0,0,1]
	v_pk_fma_f32 v[18:19], v[30:31], v[12:13], v[18:19] op_sel:[0,0,1] op_sel_hi:[1,0,0]
	s_delay_alu instid0(VALU_DEP_1) | instskip(NEXT) | instid1(VALU_DEP_1)
	v_mov_b32_e32 v29, v19
	v_pk_add_f32 v[192:193], v[192:193], v[28:29] neg_lo:[0,1] neg_hi:[0,1]
	ds_load_2addr_b64 v[28:31], v202 offset0:47 offset1:48
	s_wait_dscnt 0x0
	v_pk_mul_f32 v[18:19], v[28:29], v[14:15] op_sel:[0,1]
	s_delay_alu instid0(VALU_DEP_1) | instskip(SKIP_2) | instid1(VALU_DEP_2)
	v_pk_fma_f32 v[32:33], v[28:29], v[12:13], v[18:19] op_sel:[0,0,1] op_sel_hi:[1,1,0] neg_lo:[0,0,1] neg_hi:[0,0,1]
	v_pk_fma_f32 v[18:19], v[28:29], v[12:13], v[18:19] op_sel:[0,0,1] op_sel_hi:[1,0,0]
	v_dual_mul_f32 v28, v31, v15 :: v_dual_mov_b32 v18, v31
	v_dual_mov_b32 v33, v19 :: v_dual_mov_b32 v19, v30
	s_delay_alu instid0(VALU_DEP_2) | instskip(SKIP_1) | instid1(VALU_DEP_3)
	v_pk_fma_f32 v[28:29], v[30:31], v[64:65], v[28:29] op_sel_hi:[1,1,0] neg_lo:[0,0,1] neg_hi:[0,0,1]
	v_mul_f32_e32 v30, v31, v12
	v_pk_add_f32 v[188:189], v[188:189], v[32:33] neg_lo:[0,1] neg_hi:[0,1]
	s_delay_alu instid0(VALU_DEP_2) | instskip(NEXT) | instid1(VALU_DEP_1)
	v_pk_fma_f32 v[18:19], v[18:19], v[64:65], v[30:31] op_sel_hi:[1,1,0]
	v_mov_b32_e32 v29, v19
	s_delay_alu instid0(VALU_DEP_1) | instskip(SKIP_3) | instid1(VALU_DEP_1)
	v_pk_add_f32 v[212:213], v[212:213], v[28:29] neg_lo:[0,1] neg_hi:[0,1]
	ds_load_2addr_b64 v[28:31], v202 offset0:49 offset1:50
	s_wait_dscnt 0x0
	v_pk_mul_f32 v[18:19], v[28:29], v[14:15] op_sel:[0,1]
	v_pk_fma_f32 v[32:33], v[28:29], v[12:13], v[18:19] op_sel:[0,0,1] op_sel_hi:[1,1,0] neg_lo:[0,0,1] neg_hi:[0,0,1]
	v_pk_fma_f32 v[18:19], v[28:29], v[12:13], v[18:19] op_sel:[0,0,1] op_sel_hi:[1,0,0]
	s_delay_alu instid0(VALU_DEP_1) | instskip(SKIP_1) | instid1(VALU_DEP_2)
	v_mov_b32_e32 v33, v19
	v_pk_mul_f32 v[18:19], v[30:31], v[14:15] op_sel:[0,1]
	v_pk_add_f32 v[208:209], v[208:209], v[32:33] neg_lo:[0,1] neg_hi:[0,1]
	s_delay_alu instid0(VALU_DEP_2) | instskip(SKIP_1) | instid1(VALU_DEP_1)
	v_pk_fma_f32 v[28:29], v[30:31], v[12:13], v[18:19] op_sel:[0,0,1] op_sel_hi:[1,1,0] neg_lo:[0,0,1] neg_hi:[0,0,1]
	v_pk_fma_f32 v[18:19], v[30:31], v[12:13], v[18:19] op_sel:[0,0,1] op_sel_hi:[1,0,0]
	v_mov_b32_e32 v29, v19
	s_delay_alu instid0(VALU_DEP_1) | instskip(SKIP_3) | instid1(VALU_DEP_1)
	v_pk_add_f32 v[210:211], v[210:211], v[28:29] neg_lo:[0,1] neg_hi:[0,1]
	ds_load_2addr_b64 v[28:31], v202 offset0:51 offset1:52
	s_wait_dscnt 0x0
	v_pk_mul_f32 v[18:19], v[28:29], v[14:15] op_sel:[0,1]
	v_pk_fma_f32 v[32:33], v[28:29], v[12:13], v[18:19] op_sel:[0,0,1] op_sel_hi:[1,1,0] neg_lo:[0,0,1] neg_hi:[0,0,1]
	v_pk_fma_f32 v[18:19], v[28:29], v[12:13], v[18:19] op_sel:[0,0,1] op_sel_hi:[1,0,0]
	s_delay_alu instid0(VALU_DEP_1) | instskip(SKIP_1) | instid1(VALU_DEP_2)
	v_mov_b32_e32 v33, v19
	v_pk_mul_f32 v[18:19], v[30:31], v[14:15] op_sel:[0,1]
	v_pk_add_f32 v[206:207], v[206:207], v[32:33] neg_lo:[0,1] neg_hi:[0,1]
	s_delay_alu instid0(VALU_DEP_2) | instskip(SKIP_1) | instid1(VALU_DEP_1)
	v_pk_fma_f32 v[28:29], v[30:31], v[12:13], v[18:19] op_sel:[0,0,1] op_sel_hi:[1,1,0] neg_lo:[0,0,1] neg_hi:[0,0,1]
	v_pk_fma_f32 v[18:19], v[30:31], v[12:13], v[18:19] op_sel:[0,0,1] op_sel_hi:[1,0,0]
	v_mov_b32_e32 v29, v19
	s_delay_alu instid0(VALU_DEP_1) | instskip(SKIP_3) | instid1(VALU_DEP_1)
	v_pk_add_f32 v[232:233], v[232:233], v[28:29] neg_lo:[0,1] neg_hi:[0,1]
	ds_load_2addr_b64 v[28:31], v202 offset0:53 offset1:54
	s_wait_dscnt 0x0
	v_dual_mul_f32 v18, v29, v15 :: v_dual_mul_f32 v32, v29, v12
	v_pk_fma_f32 v[18:19], v[28:29], v[64:65], v[18:19] op_sel_hi:[1,1,0] neg_lo:[0,0,1] neg_hi:[0,0,1]
	s_delay_alu instid0(VALU_DEP_2) | instskip(NEXT) | instid1(VALU_DEP_1)
	v_pk_fma_f32 v[28:29], v[28:29], v[64:65], v[32:33] op_sel:[1,0,0] op_sel_hi:[0,1,0]
	v_mov_b32_e32 v19, v29
	s_delay_alu instid0(VALU_DEP_1) | instskip(SKIP_1) | instid1(VALU_DEP_1)
	v_pk_add_f32 v[226:227], v[226:227], v[18:19] neg_lo:[0,1] neg_hi:[0,1]
	v_pk_mul_f32 v[18:19], v[30:31], v[14:15] op_sel:[0,1]
	v_pk_fma_f32 v[28:29], v[30:31], v[12:13], v[18:19] op_sel:[0,0,1] op_sel_hi:[1,1,0] neg_lo:[0,0,1] neg_hi:[0,0,1]
	v_pk_fma_f32 v[18:19], v[30:31], v[12:13], v[18:19] op_sel:[0,0,1] op_sel_hi:[1,0,0]
	s_delay_alu instid0(VALU_DEP_1) | instskip(NEXT) | instid1(VALU_DEP_1)
	v_mov_b32_e32 v29, v19
	v_pk_add_f32 v[230:231], v[230:231], v[28:29] neg_lo:[0,1] neg_hi:[0,1]
	ds_load_2addr_b64 v[28:31], v202 offset0:55 offset1:56
	s_wait_dscnt 0x0
	v_pk_mul_f32 v[18:19], v[28:29], v[14:15] op_sel:[0,1]
	s_delay_alu instid0(VALU_DEP_1) | instskip(SKIP_1) | instid1(VALU_DEP_1)
	v_pk_fma_f32 v[32:33], v[28:29], v[12:13], v[18:19] op_sel:[0,0,1] op_sel_hi:[1,1,0] neg_lo:[0,0,1] neg_hi:[0,0,1]
	v_pk_fma_f32 v[18:19], v[28:29], v[12:13], v[18:19] op_sel:[0,0,1] op_sel_hi:[1,0,0]
	v_mov_b32_e32 v33, v19
	v_pk_mul_f32 v[18:19], v[30:31], v[14:15] op_sel:[0,1]
	s_delay_alu instid0(VALU_DEP_2) | instskip(NEXT) | instid1(VALU_DEP_2)
	v_pk_add_f32 v[224:225], v[224:225], v[32:33] neg_lo:[0,1] neg_hi:[0,1]
	v_pk_fma_f32 v[28:29], v[30:31], v[12:13], v[18:19] op_sel:[0,0,1] op_sel_hi:[1,1,0] neg_lo:[0,0,1] neg_hi:[0,0,1]
	v_pk_fma_f32 v[18:19], v[30:31], v[12:13], v[18:19] op_sel:[0,0,1] op_sel_hi:[1,0,0]
	s_delay_alu instid0(VALU_DEP_1) | instskip(NEXT) | instid1(VALU_DEP_1)
	v_mov_b32_e32 v29, v19
	v_pk_add_f32 v[228:229], v[228:229], v[28:29] neg_lo:[0,1] neg_hi:[0,1]
	ds_load_2addr_b64 v[28:31], v202 offset0:57 offset1:58
	s_wait_dscnt 0x0
	v_pk_mul_f32 v[18:19], v[28:29], v[14:15] op_sel:[0,1]
	v_pk_mul_f32 v[14:15], v[30:31], v[14:15] op_sel:[0,1]
	s_delay_alu instid0(VALU_DEP_2) | instskip(SKIP_1) | instid1(VALU_DEP_1)
	v_pk_fma_f32 v[32:33], v[28:29], v[12:13], v[18:19] op_sel:[0,0,1] op_sel_hi:[1,1,0] neg_lo:[0,0,1] neg_hi:[0,0,1]
	v_pk_fma_f32 v[18:19], v[28:29], v[12:13], v[18:19] op_sel:[0,0,1] op_sel_hi:[1,0,0]
	v_mov_b32_e32 v33, v19
	s_delay_alu instid0(VALU_DEP_4) | instskip(SKIP_1) | instid1(VALU_DEP_3)
	v_pk_fma_f32 v[18:19], v[30:31], v[12:13], v[14:15] op_sel:[0,0,1] op_sel_hi:[1,1,0] neg_lo:[0,0,1] neg_hi:[0,0,1]
	v_pk_fma_f32 v[12:13], v[30:31], v[12:13], v[14:15] op_sel:[0,0,1] op_sel_hi:[1,0,0]
	v_pk_add_f32 v[234:235], v[234:235], v[32:33] neg_lo:[0,1] neg_hi:[0,1]
	s_delay_alu instid0(VALU_DEP_2) | instskip(NEXT) | instid1(VALU_DEP_1)
	v_mov_b32_e32 v19, v13
	v_pk_add_f32 v[236:237], v[236:237], v[18:19] neg_lo:[0,1] neg_hi:[0,1]
.LBB117_136:
	s_or_b32 exec_lo, exec_lo, s1
	s_delay_alu instid0(SALU_CYCLE_1)
	s_mov_b32 s2, exec_lo
	s_wait_dscnt 0x0
	s_barrier_signal -1
	s_barrier_wait -1
	v_cmpx_eq_u32_e32 15, v200
	s_cbranch_execz .LBB117_143
; %bb.137:
	v_dual_mov_b32 v12, v82 :: v_dual_mov_b32 v13, v83
	v_dual_mov_b32 v14, v78 :: v_dual_mov_b32 v15, v79
	ds_store_b64 v201, v[60:61]
	ds_store_2addr_b64 v202, v[12:13], v[14:15] offset0:16 offset1:17
	v_dual_mov_b32 v12, v80 :: v_dual_mov_b32 v13, v81
	v_dual_mov_b32 v14, v76 :: v_dual_mov_b32 v15, v77
	ds_store_2addr_b64 v202, v[12:13], v[14:15] offset0:18 offset1:19
	v_dual_mov_b32 v12, v98 :: v_dual_mov_b32 v13, v99
	v_dual_mov_b32 v14, v94 :: v_dual_mov_b32 v15, v95
	ds_store_2addr_b64 v202, v[12:13], v[14:15] offset0:20 offset1:21
	v_dual_mov_b32 v12, v96 :: v_dual_mov_b32 v13, v97
	v_dual_mov_b32 v14, v92 :: v_dual_mov_b32 v15, v93
	ds_store_2addr_b64 v202, v[12:13], v[14:15] offset0:22 offset1:23
	v_dual_mov_b32 v12, v114 :: v_dual_mov_b32 v13, v115
	v_dual_mov_b32 v14, v110 :: v_dual_mov_b32 v15, v111
	ds_store_2addr_b64 v202, v[12:13], v[14:15] offset0:24 offset1:25
	v_dual_mov_b32 v12, v112 :: v_dual_mov_b32 v13, v113
	v_dual_mov_b32 v14, v108 :: v_dual_mov_b32 v15, v109
	ds_store_2addr_b64 v202, v[12:13], v[14:15] offset0:26 offset1:27
	v_dual_mov_b32 v12, v130 :: v_dual_mov_b32 v13, v131
	v_dual_mov_b32 v14, v126 :: v_dual_mov_b32 v15, v127
	ds_store_2addr_b64 v202, v[12:13], v[14:15] offset0:28 offset1:29
	v_dual_mov_b32 v12, v128 :: v_dual_mov_b32 v13, v129
	v_dual_mov_b32 v14, v124 :: v_dual_mov_b32 v15, v125
	ds_store_2addr_b64 v202, v[12:13], v[14:15] offset0:30 offset1:31
	v_dual_mov_b32 v12, v146 :: v_dual_mov_b32 v13, v147
	v_dual_mov_b32 v14, v142 :: v_dual_mov_b32 v15, v143
	ds_store_2addr_b64 v202, v[12:13], v[14:15] offset0:32 offset1:33
	v_dual_mov_b32 v12, v144 :: v_dual_mov_b32 v13, v145
	v_dual_mov_b32 v14, v140 :: v_dual_mov_b32 v15, v141
	ds_store_2addr_b64 v202, v[12:13], v[14:15] offset0:34 offset1:35
	v_dual_mov_b32 v12, v162 :: v_dual_mov_b32 v13, v163
	v_dual_mov_b32 v14, v158 :: v_dual_mov_b32 v15, v159
	ds_store_2addr_b64 v202, v[12:13], v[14:15] offset0:36 offset1:37
	v_dual_mov_b32 v12, v160 :: v_dual_mov_b32 v13, v161
	v_dual_mov_b32 v14, v156 :: v_dual_mov_b32 v15, v157
	ds_store_2addr_b64 v202, v[12:13], v[14:15] offset0:38 offset1:39
	v_dual_mov_b32 v12, v178 :: v_dual_mov_b32 v13, v179
	v_dual_mov_b32 v14, v174 :: v_dual_mov_b32 v15, v175
	ds_store_2addr_b64 v202, v[12:13], v[14:15] offset0:40 offset1:41
	v_dual_mov_b32 v12, v176 :: v_dual_mov_b32 v13, v177
	v_dual_mov_b32 v14, v172 :: v_dual_mov_b32 v15, v173
	ds_store_2addr_b64 v202, v[12:13], v[14:15] offset0:42 offset1:43
	v_dual_mov_b32 v12, v194 :: v_dual_mov_b32 v13, v195
	v_dual_mov_b32 v14, v190 :: v_dual_mov_b32 v15, v191
	ds_store_2addr_b64 v202, v[12:13], v[14:15] offset0:44 offset1:45
	v_dual_mov_b32 v12, v192 :: v_dual_mov_b32 v13, v193
	v_dual_mov_b32 v14, v188 :: v_dual_mov_b32 v15, v189
	ds_store_2addr_b64 v202, v[12:13], v[14:15] offset0:46 offset1:47
	v_dual_mov_b32 v12, v212 :: v_dual_mov_b32 v13, v213
	v_dual_mov_b32 v14, v208 :: v_dual_mov_b32 v15, v209
	ds_store_2addr_b64 v202, v[12:13], v[14:15] offset0:48 offset1:49
	v_dual_mov_b32 v12, v210 :: v_dual_mov_b32 v13, v211
	v_dual_mov_b32 v14, v206 :: v_dual_mov_b32 v15, v207
	ds_store_2addr_b64 v202, v[12:13], v[14:15] offset0:50 offset1:51
	v_dual_mov_b32 v12, v232 :: v_dual_mov_b32 v13, v233
	v_dual_mov_b32 v14, v226 :: v_dual_mov_b32 v15, v227
	ds_store_2addr_b64 v202, v[12:13], v[14:15] offset0:52 offset1:53
	v_dual_mov_b32 v12, v230 :: v_dual_mov_b32 v13, v231
	v_dual_mov_b32 v14, v224 :: v_dual_mov_b32 v15, v225
	ds_store_2addr_b64 v202, v[12:13], v[14:15] offset0:54 offset1:55
	v_dual_mov_b32 v12, v228 :: v_dual_mov_b32 v13, v229
	v_dual_mov_b32 v14, v234 :: v_dual_mov_b32 v15, v235
	ds_store_2addr_b64 v202, v[12:13], v[14:15] offset0:56 offset1:57
	ds_store_b64 v202, v[236:237] offset:464
	ds_load_b64 v[12:13], v201
	s_wait_dscnt 0x0
	v_cmp_neq_f32_e32 vcc_lo, 0, v12
	v_cmp_neq_f32_e64 s1, 0, v13
	s_or_b32 s1, vcc_lo, s1
	s_delay_alu instid0(SALU_CYCLE_1)
	s_and_b32 exec_lo, exec_lo, s1
	s_cbranch_execz .LBB117_143
; %bb.138:
	v_cmp_ngt_f32_e64 s1, |v12|, |v13|
                                        ; implicit-def: $vgpr14_vgpr15
	s_and_saveexec_b32 s4, s1
	s_delay_alu instid0(SALU_CYCLE_1)
	s_xor_b32 s1, exec_lo, s4
	s_cbranch_execz .LBB117_140
; %bb.139:
	v_div_scale_f32 v14, null, v13, v13, v12
	v_div_scale_f32 v19, vcc_lo, v12, v13, v12
	s_delay_alu instid0(VALU_DEP_2) | instskip(SKIP_1) | instid1(TRANS32_DEP_1)
	v_rcp_f32_e32 v15, v14
	v_nop
	v_fma_f32 v18, -v14, v15, 1.0
	s_delay_alu instid0(VALU_DEP_1) | instskip(NEXT) | instid1(VALU_DEP_1)
	v_fmac_f32_e32 v15, v18, v15
	v_mul_f32_e32 v18, v19, v15
	s_delay_alu instid0(VALU_DEP_1) | instskip(NEXT) | instid1(VALU_DEP_1)
	v_fma_f32 v28, -v14, v18, v19
	v_fmac_f32_e32 v18, v28, v15
	s_delay_alu instid0(VALU_DEP_1) | instskip(NEXT) | instid1(VALU_DEP_1)
	v_fma_f32 v14, -v14, v18, v19
	v_div_fmas_f32 v14, v14, v15, v18
	s_delay_alu instid0(VALU_DEP_1) | instskip(NEXT) | instid1(VALU_DEP_1)
	v_div_fixup_f32 v14, v14, v13, v12
	v_fmac_f32_e32 v13, v12, v14
	s_delay_alu instid0(VALU_DEP_1) | instskip(SKIP_1) | instid1(VALU_DEP_2)
	v_div_scale_f32 v12, null, v13, v13, 1.0
	v_div_scale_f32 v19, vcc_lo, 1.0, v13, 1.0
	v_rcp_f32_e32 v15, v12
	v_nop
	s_delay_alu instid0(TRANS32_DEP_1) | instskip(NEXT) | instid1(VALU_DEP_1)
	v_fma_f32 v18, -v12, v15, 1.0
	v_fmac_f32_e32 v15, v18, v15
	s_delay_alu instid0(VALU_DEP_1) | instskip(NEXT) | instid1(VALU_DEP_1)
	v_mul_f32_e32 v18, v19, v15
	v_fma_f32 v28, -v12, v18, v19
	s_delay_alu instid0(VALU_DEP_1) | instskip(NEXT) | instid1(VALU_DEP_1)
	v_fmac_f32_e32 v18, v28, v15
	v_fma_f32 v12, -v12, v18, v19
	s_delay_alu instid0(VALU_DEP_1) | instskip(NEXT) | instid1(VALU_DEP_1)
	v_div_fmas_f32 v12, v12, v15, v18
	v_div_fixup_f32 v12, v12, v13, 1.0
	s_delay_alu instid0(VALU_DEP_1)
	v_mul_f32_e32 v14, v14, v12
	v_xor_b32_e32 v15, 0x80000000, v12
                                        ; implicit-def: $vgpr12_vgpr13
.LBB117_140:
	s_and_not1_saveexec_b32 s1, s1
	s_cbranch_execz .LBB117_142
; %bb.141:
	v_div_scale_f32 v14, null, v12, v12, v13
	v_div_scale_f32 v19, vcc_lo, v13, v12, v13
	s_delay_alu instid0(VALU_DEP_2) | instskip(SKIP_1) | instid1(TRANS32_DEP_1)
	v_rcp_f32_e32 v15, v14
	v_nop
	v_fma_f32 v18, -v14, v15, 1.0
	s_delay_alu instid0(VALU_DEP_1) | instskip(NEXT) | instid1(VALU_DEP_1)
	v_fmac_f32_e32 v15, v18, v15
	v_mul_f32_e32 v18, v19, v15
	s_delay_alu instid0(VALU_DEP_1) | instskip(NEXT) | instid1(VALU_DEP_1)
	v_fma_f32 v28, -v14, v18, v19
	v_fmac_f32_e32 v18, v28, v15
	s_delay_alu instid0(VALU_DEP_1) | instskip(NEXT) | instid1(VALU_DEP_1)
	v_fma_f32 v14, -v14, v18, v19
	v_div_fmas_f32 v14, v14, v15, v18
	s_delay_alu instid0(VALU_DEP_1) | instskip(NEXT) | instid1(VALU_DEP_1)
	v_div_fixup_f32 v15, v14, v12, v13
	v_fmac_f32_e32 v12, v13, v15
	s_delay_alu instid0(VALU_DEP_1) | instskip(NEXT) | instid1(VALU_DEP_1)
	v_div_scale_f32 v13, null, v12, v12, 1.0
	v_rcp_f32_e32 v14, v13
	v_nop
	s_delay_alu instid0(TRANS32_DEP_1) | instskip(NEXT) | instid1(VALU_DEP_1)
	v_fma_f32 v18, -v13, v14, 1.0
	v_fmac_f32_e32 v14, v18, v14
	v_div_scale_f32 v18, vcc_lo, 1.0, v12, 1.0
	s_delay_alu instid0(VALU_DEP_1) | instskip(NEXT) | instid1(VALU_DEP_1)
	v_mul_f32_e32 v19, v18, v14
	v_fma_f32 v28, -v13, v19, v18
	s_delay_alu instid0(VALU_DEP_1) | instskip(NEXT) | instid1(VALU_DEP_1)
	v_fmac_f32_e32 v19, v28, v14
	v_fma_f32 v13, -v13, v19, v18
	s_delay_alu instid0(VALU_DEP_1) | instskip(NEXT) | instid1(VALU_DEP_1)
	v_div_fmas_f32 v13, v13, v14, v19
	v_div_fixup_f32 v14, v13, v12, 1.0
	s_delay_alu instid0(VALU_DEP_1)
	v_mul_f32_e64 v15, v15, -v14
.LBB117_142:
	s_or_b32 exec_lo, exec_lo, s1
	ds_store_b64 v201, v[14:15]
.LBB117_143:
	s_or_b32 exec_lo, exec_lo, s2
	s_wait_dscnt 0x0
	s_barrier_signal -1
	s_barrier_wait -1
	ds_load_b64 v[12:13], v201
	s_mov_b32 s1, exec_lo
	v_cmpx_lt_u32_e32 15, v200
	s_cbranch_execz .LBB117_145
; %bb.144:
	ds_load_2addr_b64 v[28:31], v202 offset0:16 offset1:17
	s_wait_dscnt 0x1
	v_pk_mul_f32 v[18:19], v[12:13], v[60:61] op_sel:[1,1] op_sel_hi:[0,1]
	s_delay_alu instid0(VALU_DEP_1) | instskip(SKIP_1) | instid1(VALU_DEP_1)
	v_pk_fma_f32 v[14:15], v[12:13], v[60:61], v[18:19] op_sel_hi:[1,0,1] neg_lo:[0,0,1] neg_hi:[0,0,1]
	v_pk_fma_f32 v[18:19], v[12:13], v[60:61], v[18:19] op_sel_hi:[1,0,1]
	v_dual_mov_b32 v60, v14 :: v_dual_mov_b32 v61, v19
	s_wait_dscnt 0x0
	s_delay_alu instid0(VALU_DEP_2) | instskip(NEXT) | instid1(VALU_DEP_1)
	v_pk_mul_f32 v[32:33], v[28:29], v[18:19] op_sel:[0,1]
	v_pk_fma_f32 v[42:43], v[28:29], v[14:15], v[32:33] op_sel:[0,0,1] op_sel_hi:[1,1,0] neg_lo:[0,0,1] neg_hi:[0,0,1]
	v_pk_fma_f32 v[28:29], v[28:29], v[14:15], v[32:33] op_sel:[0,0,1] op_sel_hi:[1,0,0]
	s_delay_alu instid0(VALU_DEP_1) | instskip(SKIP_1) | instid1(VALU_DEP_1)
	v_mov_b32_e32 v43, v29
	v_pk_mul_f32 v[28:29], v[30:31], v[18:19] op_sel:[0,1]
	v_pk_fma_f32 v[32:33], v[30:31], v[14:15], v[28:29] op_sel:[0,0,1] op_sel_hi:[1,1,0] neg_lo:[0,0,1] neg_hi:[0,0,1]
	v_pk_fma_f32 v[28:29], v[30:31], v[14:15], v[28:29] op_sel:[0,0,1] op_sel_hi:[1,0,0]
	s_delay_alu instid0(VALU_DEP_1)
	v_mov_b32_e32 v33, v29
	ds_load_2addr_b64 v[28:31], v202 offset0:18 offset1:19
	v_pk_add_f32 v[82:83], v[82:83], v[42:43] neg_lo:[0,1] neg_hi:[0,1]
	v_pk_add_f32 v[78:79], v[78:79], v[32:33] neg_lo:[0,1] neg_hi:[0,1]
	s_wait_dscnt 0x0
	v_pk_mul_f32 v[32:33], v[28:29], v[18:19] op_sel:[0,1]
	s_delay_alu instid0(VALU_DEP_1) | instskip(SKIP_2) | instid1(VALU_DEP_2)
	v_pk_fma_f32 v[42:43], v[28:29], v[14:15], v[32:33] op_sel:[0,0,1] op_sel_hi:[1,1,0] neg_lo:[0,0,1] neg_hi:[0,0,1]
	v_pk_fma_f32 v[28:29], v[28:29], v[14:15], v[32:33] op_sel:[0,0,1] op_sel_hi:[1,0,0]
	v_dual_mul_f32 v32, v31, v19 :: v_dual_mov_b32 v28, v31
	v_dual_mov_b32 v43, v29 :: v_dual_mov_b32 v29, v30
	s_delay_alu instid0(VALU_DEP_2) | instskip(SKIP_1) | instid1(VALU_DEP_3)
	v_pk_fma_f32 v[32:33], v[30:31], v[60:61], v[32:33] op_sel_hi:[1,1,0] neg_lo:[0,0,1] neg_hi:[0,0,1]
	v_mul_f32_e32 v30, v31, v14
	v_pk_add_f32 v[80:81], v[80:81], v[42:43] neg_lo:[0,1] neg_hi:[0,1]
	s_delay_alu instid0(VALU_DEP_2) | instskip(NEXT) | instid1(VALU_DEP_1)
	v_pk_fma_f32 v[28:29], v[28:29], v[60:61], v[30:31] op_sel_hi:[1,1,0]
	v_mov_b32_e32 v33, v29
	ds_load_2addr_b64 v[28:31], v202 offset0:20 offset1:21
	v_pk_add_f32 v[76:77], v[76:77], v[32:33] neg_lo:[0,1] neg_hi:[0,1]
	s_wait_dscnt 0x0
	v_pk_mul_f32 v[32:33], v[28:29], v[18:19] op_sel:[0,1]
	s_delay_alu instid0(VALU_DEP_1) | instskip(SKIP_1) | instid1(VALU_DEP_1)
	v_pk_fma_f32 v[42:43], v[28:29], v[14:15], v[32:33] op_sel:[0,0,1] op_sel_hi:[1,1,0] neg_lo:[0,0,1] neg_hi:[0,0,1]
	v_pk_fma_f32 v[28:29], v[28:29], v[14:15], v[32:33] op_sel:[0,0,1] op_sel_hi:[1,0,0]
	v_mov_b32_e32 v43, v29
	v_pk_mul_f32 v[28:29], v[30:31], v[18:19] op_sel:[0,1]
	s_delay_alu instid0(VALU_DEP_1) | instskip(SKIP_1) | instid1(VALU_DEP_1)
	v_pk_fma_f32 v[32:33], v[30:31], v[14:15], v[28:29] op_sel:[0,0,1] op_sel_hi:[1,1,0] neg_lo:[0,0,1] neg_hi:[0,0,1]
	v_pk_fma_f32 v[28:29], v[30:31], v[14:15], v[28:29] op_sel:[0,0,1] op_sel_hi:[1,0,0]
	v_mov_b32_e32 v33, v29
	ds_load_2addr_b64 v[28:31], v202 offset0:22 offset1:23
	v_pk_add_f32 v[98:99], v[98:99], v[42:43] neg_lo:[0,1] neg_hi:[0,1]
	v_pk_add_f32 v[94:95], v[94:95], v[32:33] neg_lo:[0,1] neg_hi:[0,1]
	s_wait_dscnt 0x0
	v_pk_mul_f32 v[32:33], v[28:29], v[18:19] op_sel:[0,1]
	s_delay_alu instid0(VALU_DEP_1) | instskip(SKIP_1) | instid1(VALU_DEP_1)
	v_pk_fma_f32 v[42:43], v[28:29], v[14:15], v[32:33] op_sel:[0,0,1] op_sel_hi:[1,1,0] neg_lo:[0,0,1] neg_hi:[0,0,1]
	v_pk_fma_f32 v[28:29], v[28:29], v[14:15], v[32:33] op_sel:[0,0,1] op_sel_hi:[1,0,0]
	v_mov_b32_e32 v43, v29
	v_pk_mul_f32 v[28:29], v[30:31], v[18:19] op_sel:[0,1]
	s_delay_alu instid0(VALU_DEP_1) | instskip(SKIP_1) | instid1(VALU_DEP_1)
	v_pk_fma_f32 v[32:33], v[30:31], v[14:15], v[28:29] op_sel:[0,0,1] op_sel_hi:[1,1,0] neg_lo:[0,0,1] neg_hi:[0,0,1]
	v_pk_fma_f32 v[28:29], v[30:31], v[14:15], v[28:29] op_sel:[0,0,1] op_sel_hi:[1,0,0]
	v_mov_b32_e32 v33, v29
	ds_load_2addr_b64 v[28:31], v202 offset0:24 offset1:25
	v_pk_add_f32 v[96:97], v[96:97], v[42:43] neg_lo:[0,1] neg_hi:[0,1]
	v_pk_add_f32 v[92:93], v[92:93], v[32:33] neg_lo:[0,1] neg_hi:[0,1]
	s_wait_dscnt 0x0
	v_dual_mul_f32 v32, v29, v19 :: v_dual_mul_f32 v42, v29, v14
	s_delay_alu instid0(VALU_DEP_1) | instskip(NEXT) | instid1(VALU_DEP_2)
	v_pk_fma_f32 v[32:33], v[28:29], v[60:61], v[32:33] op_sel_hi:[1,1,0] neg_lo:[0,0,1] neg_hi:[0,0,1]
	v_pk_fma_f32 v[28:29], v[28:29], v[60:61], v[42:43] op_sel:[1,0,0] op_sel_hi:[0,1,0]
	s_delay_alu instid0(VALU_DEP_1) | instskip(SKIP_1) | instid1(VALU_DEP_2)
	v_mov_b32_e32 v33, v29
	v_pk_mul_f32 v[28:29], v[30:31], v[18:19] op_sel:[0,1]
	v_pk_add_f32 v[114:115], v[114:115], v[32:33] neg_lo:[0,1] neg_hi:[0,1]
	s_delay_alu instid0(VALU_DEP_2) | instskip(SKIP_1) | instid1(VALU_DEP_1)
	v_pk_fma_f32 v[32:33], v[30:31], v[14:15], v[28:29] op_sel:[0,0,1] op_sel_hi:[1,1,0] neg_lo:[0,0,1] neg_hi:[0,0,1]
	v_pk_fma_f32 v[28:29], v[30:31], v[14:15], v[28:29] op_sel:[0,0,1] op_sel_hi:[1,0,0]
	v_mov_b32_e32 v33, v29
	ds_load_2addr_b64 v[28:31], v202 offset0:26 offset1:27
	v_pk_add_f32 v[110:111], v[110:111], v[32:33] neg_lo:[0,1] neg_hi:[0,1]
	s_wait_dscnt 0x0
	v_pk_mul_f32 v[32:33], v[28:29], v[18:19] op_sel:[0,1]
	s_delay_alu instid0(VALU_DEP_1) | instskip(SKIP_1) | instid1(VALU_DEP_1)
	v_pk_fma_f32 v[42:43], v[28:29], v[14:15], v[32:33] op_sel:[0,0,1] op_sel_hi:[1,1,0] neg_lo:[0,0,1] neg_hi:[0,0,1]
	v_pk_fma_f32 v[28:29], v[28:29], v[14:15], v[32:33] op_sel:[0,0,1] op_sel_hi:[1,0,0]
	v_mov_b32_e32 v43, v29
	v_pk_mul_f32 v[28:29], v[30:31], v[18:19] op_sel:[0,1]
	s_delay_alu instid0(VALU_DEP_2) | instskip(NEXT) | instid1(VALU_DEP_2)
	v_pk_add_f32 v[112:113], v[112:113], v[42:43] neg_lo:[0,1] neg_hi:[0,1]
	v_pk_fma_f32 v[32:33], v[30:31], v[14:15], v[28:29] op_sel:[0,0,1] op_sel_hi:[1,1,0] neg_lo:[0,0,1] neg_hi:[0,0,1]
	v_pk_fma_f32 v[28:29], v[30:31], v[14:15], v[28:29] op_sel:[0,0,1] op_sel_hi:[1,0,0]
	s_delay_alu instid0(VALU_DEP_1) | instskip(SKIP_4) | instid1(VALU_DEP_1)
	v_mov_b32_e32 v33, v29
	ds_load_2addr_b64 v[28:31], v202 offset0:28 offset1:29
	v_pk_add_f32 v[108:109], v[108:109], v[32:33] neg_lo:[0,1] neg_hi:[0,1]
	s_wait_dscnt 0x0
	v_pk_mul_f32 v[32:33], v[28:29], v[18:19] op_sel:[0,1]
	v_pk_fma_f32 v[42:43], v[28:29], v[14:15], v[32:33] op_sel:[0,0,1] op_sel_hi:[1,1,0] neg_lo:[0,0,1] neg_hi:[0,0,1]
	v_pk_fma_f32 v[28:29], v[28:29], v[14:15], v[32:33] op_sel:[0,0,1] op_sel_hi:[1,0,0]
	v_dual_mul_f32 v32, v31, v19 :: v_dual_mov_b32 v28, v31
	s_delay_alu instid0(VALU_DEP_2) | instskip(NEXT) | instid1(VALU_DEP_2)
	v_dual_mov_b32 v43, v29 :: v_dual_mov_b32 v29, v30
	v_pk_fma_f32 v[32:33], v[30:31], v[60:61], v[32:33] op_sel_hi:[1,1,0] neg_lo:[0,0,1] neg_hi:[0,0,1]
	v_mul_f32_e32 v30, v31, v14
	s_delay_alu instid0(VALU_DEP_3) | instskip(NEXT) | instid1(VALU_DEP_2)
	v_pk_add_f32 v[130:131], v[130:131], v[42:43] neg_lo:[0,1] neg_hi:[0,1]
	v_pk_fma_f32 v[28:29], v[28:29], v[60:61], v[30:31] op_sel_hi:[1,1,0]
	s_delay_alu instid0(VALU_DEP_1) | instskip(SKIP_4) | instid1(VALU_DEP_1)
	v_mov_b32_e32 v33, v29
	ds_load_2addr_b64 v[28:31], v202 offset0:30 offset1:31
	v_pk_add_f32 v[126:127], v[126:127], v[32:33] neg_lo:[0,1] neg_hi:[0,1]
	s_wait_dscnt 0x0
	v_pk_mul_f32 v[32:33], v[28:29], v[18:19] op_sel:[0,1]
	v_pk_fma_f32 v[42:43], v[28:29], v[14:15], v[32:33] op_sel:[0,0,1] op_sel_hi:[1,1,0] neg_lo:[0,0,1] neg_hi:[0,0,1]
	v_pk_fma_f32 v[28:29], v[28:29], v[14:15], v[32:33] op_sel:[0,0,1] op_sel_hi:[1,0,0]
	s_delay_alu instid0(VALU_DEP_1) | instskip(SKIP_1) | instid1(VALU_DEP_1)
	v_mov_b32_e32 v43, v29
	v_pk_mul_f32 v[28:29], v[30:31], v[18:19] op_sel:[0,1]
	v_pk_fma_f32 v[32:33], v[30:31], v[14:15], v[28:29] op_sel:[0,0,1] op_sel_hi:[1,1,0] neg_lo:[0,0,1] neg_hi:[0,0,1]
	v_pk_fma_f32 v[28:29], v[30:31], v[14:15], v[28:29] op_sel:[0,0,1] op_sel_hi:[1,0,0]
	s_delay_alu instid0(VALU_DEP_1)
	v_mov_b32_e32 v33, v29
	ds_load_2addr_b64 v[28:31], v202 offset0:32 offset1:33
	v_pk_add_f32 v[128:129], v[128:129], v[42:43] neg_lo:[0,1] neg_hi:[0,1]
	v_pk_add_f32 v[124:125], v[124:125], v[32:33] neg_lo:[0,1] neg_hi:[0,1]
	s_wait_dscnt 0x0
	v_pk_mul_f32 v[32:33], v[28:29], v[18:19] op_sel:[0,1]
	s_delay_alu instid0(VALU_DEP_1) | instskip(SKIP_1) | instid1(VALU_DEP_1)
	v_pk_fma_f32 v[42:43], v[28:29], v[14:15], v[32:33] op_sel:[0,0,1] op_sel_hi:[1,1,0] neg_lo:[0,0,1] neg_hi:[0,0,1]
	v_pk_fma_f32 v[28:29], v[28:29], v[14:15], v[32:33] op_sel:[0,0,1] op_sel_hi:[1,0,0]
	v_mov_b32_e32 v43, v29
	v_pk_mul_f32 v[28:29], v[30:31], v[18:19] op_sel:[0,1]
	s_delay_alu instid0(VALU_DEP_1) | instskip(SKIP_1) | instid1(VALU_DEP_1)
	v_pk_fma_f32 v[32:33], v[30:31], v[14:15], v[28:29] op_sel:[0,0,1] op_sel_hi:[1,1,0] neg_lo:[0,0,1] neg_hi:[0,0,1]
	v_pk_fma_f32 v[28:29], v[30:31], v[14:15], v[28:29] op_sel:[0,0,1] op_sel_hi:[1,0,0]
	v_mov_b32_e32 v33, v29
	ds_load_2addr_b64 v[28:31], v202 offset0:34 offset1:35
	v_pk_add_f32 v[146:147], v[146:147], v[42:43] neg_lo:[0,1] neg_hi:[0,1]
	v_pk_add_f32 v[142:143], v[142:143], v[32:33] neg_lo:[0,1] neg_hi:[0,1]
	s_wait_dscnt 0x0
	v_dual_mul_f32 v32, v29, v19 :: v_dual_mul_f32 v42, v29, v14
	s_delay_alu instid0(VALU_DEP_1) | instskip(NEXT) | instid1(VALU_DEP_2)
	v_pk_fma_f32 v[32:33], v[28:29], v[60:61], v[32:33] op_sel_hi:[1,1,0] neg_lo:[0,0,1] neg_hi:[0,0,1]
	v_pk_fma_f32 v[28:29], v[28:29], v[60:61], v[42:43] op_sel:[1,0,0] op_sel_hi:[0,1,0]
	s_delay_alu instid0(VALU_DEP_1) | instskip(SKIP_1) | instid1(VALU_DEP_2)
	v_mov_b32_e32 v33, v29
	v_pk_mul_f32 v[28:29], v[30:31], v[18:19] op_sel:[0,1]
	v_pk_add_f32 v[144:145], v[144:145], v[32:33] neg_lo:[0,1] neg_hi:[0,1]
	s_delay_alu instid0(VALU_DEP_2) | instskip(SKIP_1) | instid1(VALU_DEP_1)
	v_pk_fma_f32 v[32:33], v[30:31], v[14:15], v[28:29] op_sel:[0,0,1] op_sel_hi:[1,1,0] neg_lo:[0,0,1] neg_hi:[0,0,1]
	v_pk_fma_f32 v[28:29], v[30:31], v[14:15], v[28:29] op_sel:[0,0,1] op_sel_hi:[1,0,0]
	v_mov_b32_e32 v33, v29
	ds_load_2addr_b64 v[28:31], v202 offset0:36 offset1:37
	v_pk_add_f32 v[140:141], v[140:141], v[32:33] neg_lo:[0,1] neg_hi:[0,1]
	s_wait_dscnt 0x0
	v_pk_mul_f32 v[32:33], v[28:29], v[18:19] op_sel:[0,1]
	s_delay_alu instid0(VALU_DEP_1) | instskip(SKIP_1) | instid1(VALU_DEP_1)
	v_pk_fma_f32 v[42:43], v[28:29], v[14:15], v[32:33] op_sel:[0,0,1] op_sel_hi:[1,1,0] neg_lo:[0,0,1] neg_hi:[0,0,1]
	v_pk_fma_f32 v[28:29], v[28:29], v[14:15], v[32:33] op_sel:[0,0,1] op_sel_hi:[1,0,0]
	v_mov_b32_e32 v43, v29
	v_pk_mul_f32 v[28:29], v[30:31], v[18:19] op_sel:[0,1]
	s_delay_alu instid0(VALU_DEP_2) | instskip(NEXT) | instid1(VALU_DEP_2)
	v_pk_add_f32 v[162:163], v[162:163], v[42:43] neg_lo:[0,1] neg_hi:[0,1]
	v_pk_fma_f32 v[32:33], v[30:31], v[14:15], v[28:29] op_sel:[0,0,1] op_sel_hi:[1,1,0] neg_lo:[0,0,1] neg_hi:[0,0,1]
	v_pk_fma_f32 v[28:29], v[30:31], v[14:15], v[28:29] op_sel:[0,0,1] op_sel_hi:[1,0,0]
	s_delay_alu instid0(VALU_DEP_1) | instskip(SKIP_4) | instid1(VALU_DEP_1)
	v_mov_b32_e32 v33, v29
	ds_load_2addr_b64 v[28:31], v202 offset0:38 offset1:39
	v_pk_add_f32 v[158:159], v[158:159], v[32:33] neg_lo:[0,1] neg_hi:[0,1]
	s_wait_dscnt 0x0
	v_pk_mul_f32 v[32:33], v[28:29], v[18:19] op_sel:[0,1]
	v_pk_fma_f32 v[42:43], v[28:29], v[14:15], v[32:33] op_sel:[0,0,1] op_sel_hi:[1,1,0] neg_lo:[0,0,1] neg_hi:[0,0,1]
	v_pk_fma_f32 v[28:29], v[28:29], v[14:15], v[32:33] op_sel:[0,0,1] op_sel_hi:[1,0,0]
	v_dual_mul_f32 v32, v31, v19 :: v_dual_mov_b32 v28, v31
	s_delay_alu instid0(VALU_DEP_2) | instskip(NEXT) | instid1(VALU_DEP_2)
	v_dual_mov_b32 v43, v29 :: v_dual_mov_b32 v29, v30
	v_pk_fma_f32 v[32:33], v[30:31], v[60:61], v[32:33] op_sel_hi:[1,1,0] neg_lo:[0,0,1] neg_hi:[0,0,1]
	v_mul_f32_e32 v30, v31, v14
	s_delay_alu instid0(VALU_DEP_3) | instskip(NEXT) | instid1(VALU_DEP_2)
	v_pk_add_f32 v[160:161], v[160:161], v[42:43] neg_lo:[0,1] neg_hi:[0,1]
	v_pk_fma_f32 v[28:29], v[28:29], v[60:61], v[30:31] op_sel_hi:[1,1,0]
	s_delay_alu instid0(VALU_DEP_1) | instskip(SKIP_4) | instid1(VALU_DEP_1)
	v_mov_b32_e32 v33, v29
	ds_load_2addr_b64 v[28:31], v202 offset0:40 offset1:41
	v_pk_add_f32 v[156:157], v[156:157], v[32:33] neg_lo:[0,1] neg_hi:[0,1]
	s_wait_dscnt 0x0
	v_pk_mul_f32 v[32:33], v[28:29], v[18:19] op_sel:[0,1]
	v_pk_fma_f32 v[42:43], v[28:29], v[14:15], v[32:33] op_sel:[0,0,1] op_sel_hi:[1,1,0] neg_lo:[0,0,1] neg_hi:[0,0,1]
	v_pk_fma_f32 v[28:29], v[28:29], v[14:15], v[32:33] op_sel:[0,0,1] op_sel_hi:[1,0,0]
	s_delay_alu instid0(VALU_DEP_1) | instskip(SKIP_1) | instid1(VALU_DEP_1)
	v_mov_b32_e32 v43, v29
	v_pk_mul_f32 v[28:29], v[30:31], v[18:19] op_sel:[0,1]
	v_pk_fma_f32 v[32:33], v[30:31], v[14:15], v[28:29] op_sel:[0,0,1] op_sel_hi:[1,1,0] neg_lo:[0,0,1] neg_hi:[0,0,1]
	v_pk_fma_f32 v[28:29], v[30:31], v[14:15], v[28:29] op_sel:[0,0,1] op_sel_hi:[1,0,0]
	s_delay_alu instid0(VALU_DEP_1)
	v_mov_b32_e32 v33, v29
	ds_load_2addr_b64 v[28:31], v202 offset0:42 offset1:43
	v_pk_add_f32 v[178:179], v[178:179], v[42:43] neg_lo:[0,1] neg_hi:[0,1]
	v_pk_add_f32 v[174:175], v[174:175], v[32:33] neg_lo:[0,1] neg_hi:[0,1]
	s_wait_dscnt 0x0
	v_pk_mul_f32 v[32:33], v[28:29], v[18:19] op_sel:[0,1]
	s_delay_alu instid0(VALU_DEP_1) | instskip(SKIP_1) | instid1(VALU_DEP_1)
	v_pk_fma_f32 v[42:43], v[28:29], v[14:15], v[32:33] op_sel:[0,0,1] op_sel_hi:[1,1,0] neg_lo:[0,0,1] neg_hi:[0,0,1]
	v_pk_fma_f32 v[28:29], v[28:29], v[14:15], v[32:33] op_sel:[0,0,1] op_sel_hi:[1,0,0]
	v_mov_b32_e32 v43, v29
	v_pk_mul_f32 v[28:29], v[30:31], v[18:19] op_sel:[0,1]
	s_delay_alu instid0(VALU_DEP_1) | instskip(SKIP_1) | instid1(VALU_DEP_1)
	v_pk_fma_f32 v[32:33], v[30:31], v[14:15], v[28:29] op_sel:[0,0,1] op_sel_hi:[1,1,0] neg_lo:[0,0,1] neg_hi:[0,0,1]
	v_pk_fma_f32 v[28:29], v[30:31], v[14:15], v[28:29] op_sel:[0,0,1] op_sel_hi:[1,0,0]
	v_mov_b32_e32 v33, v29
	ds_load_2addr_b64 v[28:31], v202 offset0:44 offset1:45
	v_pk_add_f32 v[176:177], v[176:177], v[42:43] neg_lo:[0,1] neg_hi:[0,1]
	v_pk_add_f32 v[172:173], v[172:173], v[32:33] neg_lo:[0,1] neg_hi:[0,1]
	s_wait_dscnt 0x0
	v_dual_mul_f32 v32, v29, v19 :: v_dual_mul_f32 v42, v29, v14
	s_delay_alu instid0(VALU_DEP_1) | instskip(NEXT) | instid1(VALU_DEP_2)
	v_pk_fma_f32 v[32:33], v[28:29], v[60:61], v[32:33] op_sel_hi:[1,1,0] neg_lo:[0,0,1] neg_hi:[0,0,1]
	v_pk_fma_f32 v[28:29], v[28:29], v[60:61], v[42:43] op_sel:[1,0,0] op_sel_hi:[0,1,0]
	s_delay_alu instid0(VALU_DEP_1) | instskip(SKIP_1) | instid1(VALU_DEP_2)
	v_mov_b32_e32 v33, v29
	v_pk_mul_f32 v[28:29], v[30:31], v[18:19] op_sel:[0,1]
	v_pk_add_f32 v[194:195], v[194:195], v[32:33] neg_lo:[0,1] neg_hi:[0,1]
	s_delay_alu instid0(VALU_DEP_2) | instskip(SKIP_1) | instid1(VALU_DEP_1)
	v_pk_fma_f32 v[32:33], v[30:31], v[14:15], v[28:29] op_sel:[0,0,1] op_sel_hi:[1,1,0] neg_lo:[0,0,1] neg_hi:[0,0,1]
	v_pk_fma_f32 v[28:29], v[30:31], v[14:15], v[28:29] op_sel:[0,0,1] op_sel_hi:[1,0,0]
	v_mov_b32_e32 v33, v29
	ds_load_2addr_b64 v[28:31], v202 offset0:46 offset1:47
	v_pk_add_f32 v[190:191], v[190:191], v[32:33] neg_lo:[0,1] neg_hi:[0,1]
	s_wait_dscnt 0x0
	v_pk_mul_f32 v[32:33], v[28:29], v[18:19] op_sel:[0,1]
	s_delay_alu instid0(VALU_DEP_1) | instskip(SKIP_1) | instid1(VALU_DEP_1)
	v_pk_fma_f32 v[42:43], v[28:29], v[14:15], v[32:33] op_sel:[0,0,1] op_sel_hi:[1,1,0] neg_lo:[0,0,1] neg_hi:[0,0,1]
	v_pk_fma_f32 v[28:29], v[28:29], v[14:15], v[32:33] op_sel:[0,0,1] op_sel_hi:[1,0,0]
	v_mov_b32_e32 v43, v29
	v_pk_mul_f32 v[28:29], v[30:31], v[18:19] op_sel:[0,1]
	s_delay_alu instid0(VALU_DEP_2) | instskip(NEXT) | instid1(VALU_DEP_2)
	v_pk_add_f32 v[192:193], v[192:193], v[42:43] neg_lo:[0,1] neg_hi:[0,1]
	v_pk_fma_f32 v[32:33], v[30:31], v[14:15], v[28:29] op_sel:[0,0,1] op_sel_hi:[1,1,0] neg_lo:[0,0,1] neg_hi:[0,0,1]
	v_pk_fma_f32 v[28:29], v[30:31], v[14:15], v[28:29] op_sel:[0,0,1] op_sel_hi:[1,0,0]
	s_delay_alu instid0(VALU_DEP_1) | instskip(SKIP_4) | instid1(VALU_DEP_1)
	v_mov_b32_e32 v33, v29
	ds_load_2addr_b64 v[28:31], v202 offset0:48 offset1:49
	v_pk_add_f32 v[188:189], v[188:189], v[32:33] neg_lo:[0,1] neg_hi:[0,1]
	s_wait_dscnt 0x0
	v_pk_mul_f32 v[32:33], v[28:29], v[18:19] op_sel:[0,1]
	v_pk_fma_f32 v[42:43], v[28:29], v[14:15], v[32:33] op_sel:[0,0,1] op_sel_hi:[1,1,0] neg_lo:[0,0,1] neg_hi:[0,0,1]
	v_pk_fma_f32 v[28:29], v[28:29], v[14:15], v[32:33] op_sel:[0,0,1] op_sel_hi:[1,0,0]
	v_dual_mul_f32 v32, v31, v19 :: v_dual_mov_b32 v28, v31
	s_delay_alu instid0(VALU_DEP_2) | instskip(NEXT) | instid1(VALU_DEP_2)
	v_dual_mov_b32 v43, v29 :: v_dual_mov_b32 v29, v30
	v_pk_fma_f32 v[32:33], v[30:31], v[60:61], v[32:33] op_sel_hi:[1,1,0] neg_lo:[0,0,1] neg_hi:[0,0,1]
	v_mul_f32_e32 v30, v31, v14
	s_delay_alu instid0(VALU_DEP_3) | instskip(NEXT) | instid1(VALU_DEP_2)
	v_pk_add_f32 v[212:213], v[212:213], v[42:43] neg_lo:[0,1] neg_hi:[0,1]
	v_pk_fma_f32 v[28:29], v[28:29], v[60:61], v[30:31] op_sel_hi:[1,1,0]
	s_delay_alu instid0(VALU_DEP_1) | instskip(SKIP_4) | instid1(VALU_DEP_1)
	v_mov_b32_e32 v33, v29
	ds_load_2addr_b64 v[28:31], v202 offset0:50 offset1:51
	v_pk_add_f32 v[208:209], v[208:209], v[32:33] neg_lo:[0,1] neg_hi:[0,1]
	s_wait_dscnt 0x0
	v_pk_mul_f32 v[32:33], v[28:29], v[18:19] op_sel:[0,1]
	v_pk_fma_f32 v[42:43], v[28:29], v[14:15], v[32:33] op_sel:[0,0,1] op_sel_hi:[1,1,0] neg_lo:[0,0,1] neg_hi:[0,0,1]
	v_pk_fma_f32 v[28:29], v[28:29], v[14:15], v[32:33] op_sel:[0,0,1] op_sel_hi:[1,0,0]
	s_delay_alu instid0(VALU_DEP_1) | instskip(SKIP_1) | instid1(VALU_DEP_1)
	v_mov_b32_e32 v43, v29
	v_pk_mul_f32 v[28:29], v[30:31], v[18:19] op_sel:[0,1]
	v_pk_fma_f32 v[32:33], v[30:31], v[14:15], v[28:29] op_sel:[0,0,1] op_sel_hi:[1,1,0] neg_lo:[0,0,1] neg_hi:[0,0,1]
	v_pk_fma_f32 v[28:29], v[30:31], v[14:15], v[28:29] op_sel:[0,0,1] op_sel_hi:[1,0,0]
	s_delay_alu instid0(VALU_DEP_1)
	v_mov_b32_e32 v33, v29
	ds_load_2addr_b64 v[28:31], v202 offset0:52 offset1:53
	v_pk_add_f32 v[210:211], v[210:211], v[42:43] neg_lo:[0,1] neg_hi:[0,1]
	v_pk_add_f32 v[206:207], v[206:207], v[32:33] neg_lo:[0,1] neg_hi:[0,1]
	s_wait_dscnt 0x0
	v_pk_mul_f32 v[32:33], v[28:29], v[18:19] op_sel:[0,1]
	s_delay_alu instid0(VALU_DEP_1) | instskip(SKIP_1) | instid1(VALU_DEP_1)
	v_pk_fma_f32 v[42:43], v[28:29], v[14:15], v[32:33] op_sel:[0,0,1] op_sel_hi:[1,1,0] neg_lo:[0,0,1] neg_hi:[0,0,1]
	v_pk_fma_f32 v[28:29], v[28:29], v[14:15], v[32:33] op_sel:[0,0,1] op_sel_hi:[1,0,0]
	v_mov_b32_e32 v43, v29
	v_pk_mul_f32 v[28:29], v[30:31], v[18:19] op_sel:[0,1]
	s_delay_alu instid0(VALU_DEP_1) | instskip(SKIP_1) | instid1(VALU_DEP_1)
	v_pk_fma_f32 v[32:33], v[30:31], v[14:15], v[28:29] op_sel:[0,0,1] op_sel_hi:[1,1,0] neg_lo:[0,0,1] neg_hi:[0,0,1]
	v_pk_fma_f32 v[28:29], v[30:31], v[14:15], v[28:29] op_sel:[0,0,1] op_sel_hi:[1,0,0]
	v_mov_b32_e32 v33, v29
	ds_load_2addr_b64 v[28:31], v202 offset0:54 offset1:55
	v_pk_add_f32 v[232:233], v[232:233], v[42:43] neg_lo:[0,1] neg_hi:[0,1]
	v_pk_add_f32 v[226:227], v[226:227], v[32:33] neg_lo:[0,1] neg_hi:[0,1]
	s_wait_dscnt 0x0
	v_dual_mul_f32 v32, v29, v19 :: v_dual_mul_f32 v42, v29, v14
	s_delay_alu instid0(VALU_DEP_1) | instskip(NEXT) | instid1(VALU_DEP_2)
	v_pk_fma_f32 v[32:33], v[28:29], v[60:61], v[32:33] op_sel_hi:[1,1,0] neg_lo:[0,0,1] neg_hi:[0,0,1]
	v_pk_fma_f32 v[28:29], v[28:29], v[60:61], v[42:43] op_sel:[1,0,0] op_sel_hi:[0,1,0]
	s_delay_alu instid0(VALU_DEP_1) | instskip(SKIP_1) | instid1(VALU_DEP_2)
	v_mov_b32_e32 v33, v29
	v_pk_mul_f32 v[28:29], v[30:31], v[18:19] op_sel:[0,1]
	v_pk_add_f32 v[230:231], v[230:231], v[32:33] neg_lo:[0,1] neg_hi:[0,1]
	s_delay_alu instid0(VALU_DEP_2) | instskip(SKIP_1) | instid1(VALU_DEP_1)
	v_pk_fma_f32 v[32:33], v[30:31], v[14:15], v[28:29] op_sel:[0,0,1] op_sel_hi:[1,1,0] neg_lo:[0,0,1] neg_hi:[0,0,1]
	v_pk_fma_f32 v[28:29], v[30:31], v[14:15], v[28:29] op_sel:[0,0,1] op_sel_hi:[1,0,0]
	v_mov_b32_e32 v33, v29
	ds_load_2addr_b64 v[28:31], v202 offset0:56 offset1:57
	v_pk_add_f32 v[224:225], v[224:225], v[32:33] neg_lo:[0,1] neg_hi:[0,1]
	s_wait_dscnt 0x0
	v_pk_mul_f32 v[32:33], v[28:29], v[18:19] op_sel:[0,1]
	s_delay_alu instid0(VALU_DEP_1) | instskip(SKIP_1) | instid1(VALU_DEP_1)
	v_pk_fma_f32 v[42:43], v[28:29], v[14:15], v[32:33] op_sel:[0,0,1] op_sel_hi:[1,1,0] neg_lo:[0,0,1] neg_hi:[0,0,1]
	v_pk_fma_f32 v[28:29], v[28:29], v[14:15], v[32:33] op_sel:[0,0,1] op_sel_hi:[1,0,0]
	v_mov_b32_e32 v43, v29
	v_pk_mul_f32 v[28:29], v[30:31], v[18:19] op_sel:[0,1]
	s_delay_alu instid0(VALU_DEP_2) | instskip(NEXT) | instid1(VALU_DEP_2)
	v_pk_add_f32 v[228:229], v[228:229], v[42:43] neg_lo:[0,1] neg_hi:[0,1]
	v_pk_fma_f32 v[32:33], v[30:31], v[14:15], v[28:29] op_sel:[0,0,1] op_sel_hi:[1,1,0] neg_lo:[0,0,1] neg_hi:[0,0,1]
	v_pk_fma_f32 v[28:29], v[30:31], v[14:15], v[28:29] op_sel:[0,0,1] op_sel_hi:[1,0,0]
	s_delay_alu instid0(VALU_DEP_1) | instskip(SKIP_4) | instid1(VALU_DEP_1)
	v_mov_b32_e32 v33, v29
	ds_load_b64 v[28:29], v202 offset:464
	v_pk_add_f32 v[234:235], v[234:235], v[32:33] neg_lo:[0,1] neg_hi:[0,1]
	s_wait_dscnt 0x0
	v_pk_mul_f32 v[18:19], v[28:29], v[18:19] op_sel:[0,1]
	v_pk_fma_f32 v[30:31], v[28:29], v[14:15], v[18:19] op_sel:[0,0,1] op_sel_hi:[1,1,0] neg_lo:[0,0,1] neg_hi:[0,0,1]
	v_pk_fma_f32 v[14:15], v[28:29], v[14:15], v[18:19] op_sel:[0,0,1] op_sel_hi:[1,0,0]
	s_delay_alu instid0(VALU_DEP_1) | instskip(NEXT) | instid1(VALU_DEP_1)
	v_mov_b32_e32 v31, v15
	v_pk_add_f32 v[236:237], v[236:237], v[30:31] neg_lo:[0,1] neg_hi:[0,1]
.LBB117_145:
	s_or_b32 exec_lo, exec_lo, s1
	s_delay_alu instid0(SALU_CYCLE_1)
	s_mov_b32 s2, exec_lo
	s_wait_dscnt 0x0
	s_barrier_signal -1
	s_barrier_wait -1
	v_cmpx_eq_u32_e32 16, v200
	s_cbranch_execz .LBB117_152
; %bb.146:
	ds_store_b64 v201, v[82:83]
	ds_store_2addr_b64 v202, v[78:79], v[80:81] offset0:17 offset1:18
	ds_store_2addr_b64 v202, v[76:77], v[98:99] offset0:19 offset1:20
	;; [unrolled: 1-line block ×21, first 2 shown]
	ds_load_b64 v[14:15], v201
	s_wait_dscnt 0x0
	v_cmp_neq_f32_e32 vcc_lo, 0, v14
	v_cmp_neq_f32_e64 s1, 0, v15
	s_or_b32 s1, vcc_lo, s1
	s_delay_alu instid0(SALU_CYCLE_1)
	s_and_b32 exec_lo, exec_lo, s1
	s_cbranch_execz .LBB117_152
; %bb.147:
	v_cmp_ngt_f32_e64 s1, |v14|, |v15|
                                        ; implicit-def: $vgpr18_vgpr19
	s_and_saveexec_b32 s4, s1
	s_delay_alu instid0(SALU_CYCLE_1)
	s_xor_b32 s1, exec_lo, s4
	s_cbranch_execz .LBB117_149
; %bb.148:
	v_div_scale_f32 v18, null, v15, v15, v14
	v_div_scale_f32 v29, vcc_lo, v14, v15, v14
	s_delay_alu instid0(VALU_DEP_2) | instskip(SKIP_1) | instid1(TRANS32_DEP_1)
	v_rcp_f32_e32 v19, v18
	v_nop
	v_fma_f32 v28, -v18, v19, 1.0
	s_delay_alu instid0(VALU_DEP_1) | instskip(NEXT) | instid1(VALU_DEP_1)
	v_fmac_f32_e32 v19, v28, v19
	v_mul_f32_e32 v28, v29, v19
	s_delay_alu instid0(VALU_DEP_1) | instskip(NEXT) | instid1(VALU_DEP_1)
	v_fma_f32 v30, -v18, v28, v29
	v_fmac_f32_e32 v28, v30, v19
	s_delay_alu instid0(VALU_DEP_1) | instskip(NEXT) | instid1(VALU_DEP_1)
	v_fma_f32 v18, -v18, v28, v29
	v_div_fmas_f32 v18, v18, v19, v28
	s_delay_alu instid0(VALU_DEP_1) | instskip(NEXT) | instid1(VALU_DEP_1)
	v_div_fixup_f32 v18, v18, v15, v14
	v_fmac_f32_e32 v15, v14, v18
	s_delay_alu instid0(VALU_DEP_1) | instskip(SKIP_1) | instid1(VALU_DEP_2)
	v_div_scale_f32 v14, null, v15, v15, 1.0
	v_div_scale_f32 v29, vcc_lo, 1.0, v15, 1.0
	v_rcp_f32_e32 v19, v14
	v_nop
	s_delay_alu instid0(TRANS32_DEP_1) | instskip(NEXT) | instid1(VALU_DEP_1)
	v_fma_f32 v28, -v14, v19, 1.0
	v_fmac_f32_e32 v19, v28, v19
	s_delay_alu instid0(VALU_DEP_1) | instskip(NEXT) | instid1(VALU_DEP_1)
	v_mul_f32_e32 v28, v29, v19
	v_fma_f32 v30, -v14, v28, v29
	s_delay_alu instid0(VALU_DEP_1) | instskip(NEXT) | instid1(VALU_DEP_1)
	v_fmac_f32_e32 v28, v30, v19
	v_fma_f32 v14, -v14, v28, v29
	s_delay_alu instid0(VALU_DEP_1) | instskip(NEXT) | instid1(VALU_DEP_1)
	v_div_fmas_f32 v14, v14, v19, v28
	v_div_fixup_f32 v14, v14, v15, 1.0
	s_delay_alu instid0(VALU_DEP_1)
	v_mul_f32_e32 v18, v18, v14
	v_xor_b32_e32 v19, 0x80000000, v14
                                        ; implicit-def: $vgpr14_vgpr15
.LBB117_149:
	s_and_not1_saveexec_b32 s1, s1
	s_cbranch_execz .LBB117_151
; %bb.150:
	v_div_scale_f32 v18, null, v14, v14, v15
	v_div_scale_f32 v29, vcc_lo, v15, v14, v15
	s_delay_alu instid0(VALU_DEP_2) | instskip(SKIP_1) | instid1(TRANS32_DEP_1)
	v_rcp_f32_e32 v19, v18
	v_nop
	v_fma_f32 v28, -v18, v19, 1.0
	s_delay_alu instid0(VALU_DEP_1) | instskip(NEXT) | instid1(VALU_DEP_1)
	v_fmac_f32_e32 v19, v28, v19
	v_mul_f32_e32 v28, v29, v19
	s_delay_alu instid0(VALU_DEP_1) | instskip(NEXT) | instid1(VALU_DEP_1)
	v_fma_f32 v30, -v18, v28, v29
	v_fmac_f32_e32 v28, v30, v19
	s_delay_alu instid0(VALU_DEP_1) | instskip(NEXT) | instid1(VALU_DEP_1)
	v_fma_f32 v18, -v18, v28, v29
	v_div_fmas_f32 v18, v18, v19, v28
	s_delay_alu instid0(VALU_DEP_1) | instskip(NEXT) | instid1(VALU_DEP_1)
	v_div_fixup_f32 v19, v18, v14, v15
	v_fmac_f32_e32 v14, v15, v19
	s_delay_alu instid0(VALU_DEP_1) | instskip(NEXT) | instid1(VALU_DEP_1)
	v_div_scale_f32 v15, null, v14, v14, 1.0
	v_rcp_f32_e32 v18, v15
	v_nop
	s_delay_alu instid0(TRANS32_DEP_1) | instskip(NEXT) | instid1(VALU_DEP_1)
	v_fma_f32 v28, -v15, v18, 1.0
	v_fmac_f32_e32 v18, v28, v18
	v_div_scale_f32 v28, vcc_lo, 1.0, v14, 1.0
	s_delay_alu instid0(VALU_DEP_1) | instskip(NEXT) | instid1(VALU_DEP_1)
	v_mul_f32_e32 v29, v28, v18
	v_fma_f32 v30, -v15, v29, v28
	s_delay_alu instid0(VALU_DEP_1) | instskip(NEXT) | instid1(VALU_DEP_1)
	v_fmac_f32_e32 v29, v30, v18
	v_fma_f32 v15, -v15, v29, v28
	s_delay_alu instid0(VALU_DEP_1) | instskip(NEXT) | instid1(VALU_DEP_1)
	v_div_fmas_f32 v15, v15, v18, v29
	v_div_fixup_f32 v18, v15, v14, 1.0
	s_delay_alu instid0(VALU_DEP_1)
	v_mul_f32_e64 v19, v19, -v18
.LBB117_151:
	s_or_b32 exec_lo, exec_lo, s1
	ds_store_b64 v201, v[18:19]
.LBB117_152:
	s_or_b32 exec_lo, exec_lo, s2
	s_wait_dscnt 0x0
	s_barrier_signal -1
	s_barrier_wait -1
	ds_load_b64 v[14:15], v201
	s_mov_b32 s1, exec_lo
	v_cmpx_lt_u32_e32 16, v200
	s_cbranch_execz .LBB117_154
; %bb.153:
	ds_load_2addr_b64 v[30:33], v202 offset0:17 offset1:18
	s_wait_dscnt 0x1
	v_pk_mul_f32 v[28:29], v[14:15], v[82:83] op_sel:[1,1] op_sel_hi:[0,1]
	s_delay_alu instid0(VALU_DEP_1) | instskip(SKIP_1) | instid1(VALU_DEP_1)
	v_pk_fma_f32 v[18:19], v[14:15], v[82:83], v[28:29] op_sel_hi:[1,0,1] neg_lo:[0,0,1] neg_hi:[0,0,1]
	v_pk_fma_f32 v[28:29], v[14:15], v[82:83], v[28:29] op_sel_hi:[1,0,1]
	v_dual_mov_b32 v82, v18 :: v_dual_mov_b32 v83, v29
	s_wait_dscnt 0x0
	s_delay_alu instid0(VALU_DEP_2) | instskip(NEXT) | instid1(VALU_DEP_1)
	v_pk_mul_f32 v[42:43], v[30:31], v[28:29] op_sel:[0,1]
	v_pk_fma_f32 v[48:49], v[30:31], v[18:19], v[42:43] op_sel:[0,0,1] op_sel_hi:[1,1,0] neg_lo:[0,0,1] neg_hi:[0,0,1]
	v_pk_fma_f32 v[30:31], v[30:31], v[18:19], v[42:43] op_sel:[0,0,1] op_sel_hi:[1,0,0]
	s_delay_alu instid0(VALU_DEP_1) | instskip(SKIP_1) | instid1(VALU_DEP_1)
	v_mov_b32_e32 v49, v31
	v_pk_mul_f32 v[30:31], v[32:33], v[28:29] op_sel:[0,1]
	v_pk_fma_f32 v[42:43], v[32:33], v[18:19], v[30:31] op_sel:[0,0,1] op_sel_hi:[1,1,0] neg_lo:[0,0,1] neg_hi:[0,0,1]
	v_pk_fma_f32 v[30:31], v[32:33], v[18:19], v[30:31] op_sel:[0,0,1] op_sel_hi:[1,0,0]
	s_delay_alu instid0(VALU_DEP_1)
	v_mov_b32_e32 v43, v31
	ds_load_2addr_b64 v[30:33], v202 offset0:19 offset1:20
	v_pk_add_f32 v[78:79], v[78:79], v[48:49] neg_lo:[0,1] neg_hi:[0,1]
	v_pk_add_f32 v[80:81], v[80:81], v[42:43] neg_lo:[0,1] neg_hi:[0,1]
	s_wait_dscnt 0x0
	v_pk_mul_f32 v[42:43], v[30:31], v[28:29] op_sel:[0,1]
	s_delay_alu instid0(VALU_DEP_1) | instskip(SKIP_2) | instid1(VALU_DEP_2)
	v_pk_fma_f32 v[48:49], v[30:31], v[18:19], v[42:43] op_sel:[0,0,1] op_sel_hi:[1,1,0] neg_lo:[0,0,1] neg_hi:[0,0,1]
	v_pk_fma_f32 v[30:31], v[30:31], v[18:19], v[42:43] op_sel:[0,0,1] op_sel_hi:[1,0,0]
	v_dual_mul_f32 v42, v33, v29 :: v_dual_mov_b32 v30, v33
	v_dual_mov_b32 v49, v31 :: v_dual_mov_b32 v31, v32
	s_delay_alu instid0(VALU_DEP_2) | instskip(SKIP_1) | instid1(VALU_DEP_3)
	v_pk_fma_f32 v[42:43], v[32:33], v[82:83], v[42:43] op_sel_hi:[1,1,0] neg_lo:[0,0,1] neg_hi:[0,0,1]
	v_mul_f32_e32 v32, v33, v18
	v_pk_add_f32 v[76:77], v[76:77], v[48:49] neg_lo:[0,1] neg_hi:[0,1]
	s_delay_alu instid0(VALU_DEP_2) | instskip(NEXT) | instid1(VALU_DEP_1)
	v_pk_fma_f32 v[30:31], v[30:31], v[82:83], v[32:33] op_sel_hi:[1,1,0]
	v_mov_b32_e32 v43, v31
	ds_load_2addr_b64 v[30:33], v202 offset0:21 offset1:22
	v_pk_add_f32 v[98:99], v[98:99], v[42:43] neg_lo:[0,1] neg_hi:[0,1]
	s_wait_dscnt 0x0
	v_pk_mul_f32 v[42:43], v[30:31], v[28:29] op_sel:[0,1]
	s_delay_alu instid0(VALU_DEP_1) | instskip(SKIP_1) | instid1(VALU_DEP_1)
	v_pk_fma_f32 v[48:49], v[30:31], v[18:19], v[42:43] op_sel:[0,0,1] op_sel_hi:[1,1,0] neg_lo:[0,0,1] neg_hi:[0,0,1]
	v_pk_fma_f32 v[30:31], v[30:31], v[18:19], v[42:43] op_sel:[0,0,1] op_sel_hi:[1,0,0]
	v_mov_b32_e32 v49, v31
	v_pk_mul_f32 v[30:31], v[32:33], v[28:29] op_sel:[0,1]
	s_delay_alu instid0(VALU_DEP_1) | instskip(SKIP_1) | instid1(VALU_DEP_1)
	v_pk_fma_f32 v[42:43], v[32:33], v[18:19], v[30:31] op_sel:[0,0,1] op_sel_hi:[1,1,0] neg_lo:[0,0,1] neg_hi:[0,0,1]
	v_pk_fma_f32 v[30:31], v[32:33], v[18:19], v[30:31] op_sel:[0,0,1] op_sel_hi:[1,0,0]
	v_mov_b32_e32 v43, v31
	ds_load_2addr_b64 v[30:33], v202 offset0:23 offset1:24
	v_pk_add_f32 v[94:95], v[94:95], v[48:49] neg_lo:[0,1] neg_hi:[0,1]
	v_pk_add_f32 v[96:97], v[96:97], v[42:43] neg_lo:[0,1] neg_hi:[0,1]
	s_wait_dscnt 0x0
	v_pk_mul_f32 v[42:43], v[30:31], v[28:29] op_sel:[0,1]
	s_delay_alu instid0(VALU_DEP_1) | instskip(SKIP_1) | instid1(VALU_DEP_1)
	v_pk_fma_f32 v[48:49], v[30:31], v[18:19], v[42:43] op_sel:[0,0,1] op_sel_hi:[1,1,0] neg_lo:[0,0,1] neg_hi:[0,0,1]
	v_pk_fma_f32 v[30:31], v[30:31], v[18:19], v[42:43] op_sel:[0,0,1] op_sel_hi:[1,0,0]
	v_mov_b32_e32 v49, v31
	v_pk_mul_f32 v[30:31], v[32:33], v[28:29] op_sel:[0,1]
	s_delay_alu instid0(VALU_DEP_1) | instskip(SKIP_1) | instid1(VALU_DEP_1)
	v_pk_fma_f32 v[42:43], v[32:33], v[18:19], v[30:31] op_sel:[0,0,1] op_sel_hi:[1,1,0] neg_lo:[0,0,1] neg_hi:[0,0,1]
	v_pk_fma_f32 v[30:31], v[32:33], v[18:19], v[30:31] op_sel:[0,0,1] op_sel_hi:[1,0,0]
	v_mov_b32_e32 v43, v31
	ds_load_2addr_b64 v[30:33], v202 offset0:25 offset1:26
	v_pk_add_f32 v[92:93], v[92:93], v[48:49] neg_lo:[0,1] neg_hi:[0,1]
	v_pk_add_f32 v[114:115], v[114:115], v[42:43] neg_lo:[0,1] neg_hi:[0,1]
	s_wait_dscnt 0x0
	v_dual_mul_f32 v42, v31, v29 :: v_dual_mul_f32 v48, v31, v18
	s_delay_alu instid0(VALU_DEP_1) | instskip(NEXT) | instid1(VALU_DEP_2)
	v_pk_fma_f32 v[42:43], v[30:31], v[82:83], v[42:43] op_sel_hi:[1,1,0] neg_lo:[0,0,1] neg_hi:[0,0,1]
	v_pk_fma_f32 v[30:31], v[30:31], v[82:83], v[48:49] op_sel:[1,0,0] op_sel_hi:[0,1,0]
	s_delay_alu instid0(VALU_DEP_1) | instskip(SKIP_1) | instid1(VALU_DEP_2)
	v_mov_b32_e32 v43, v31
	v_pk_mul_f32 v[30:31], v[32:33], v[28:29] op_sel:[0,1]
	v_pk_add_f32 v[110:111], v[110:111], v[42:43] neg_lo:[0,1] neg_hi:[0,1]
	s_delay_alu instid0(VALU_DEP_2) | instskip(SKIP_1) | instid1(VALU_DEP_1)
	v_pk_fma_f32 v[42:43], v[32:33], v[18:19], v[30:31] op_sel:[0,0,1] op_sel_hi:[1,1,0] neg_lo:[0,0,1] neg_hi:[0,0,1]
	v_pk_fma_f32 v[30:31], v[32:33], v[18:19], v[30:31] op_sel:[0,0,1] op_sel_hi:[1,0,0]
	v_mov_b32_e32 v43, v31
	ds_load_2addr_b64 v[30:33], v202 offset0:27 offset1:28
	v_pk_add_f32 v[112:113], v[112:113], v[42:43] neg_lo:[0,1] neg_hi:[0,1]
	s_wait_dscnt 0x0
	v_pk_mul_f32 v[42:43], v[30:31], v[28:29] op_sel:[0,1]
	s_delay_alu instid0(VALU_DEP_1) | instskip(SKIP_1) | instid1(VALU_DEP_1)
	v_pk_fma_f32 v[48:49], v[30:31], v[18:19], v[42:43] op_sel:[0,0,1] op_sel_hi:[1,1,0] neg_lo:[0,0,1] neg_hi:[0,0,1]
	v_pk_fma_f32 v[30:31], v[30:31], v[18:19], v[42:43] op_sel:[0,0,1] op_sel_hi:[1,0,0]
	v_mov_b32_e32 v49, v31
	v_pk_mul_f32 v[30:31], v[32:33], v[28:29] op_sel:[0,1]
	s_delay_alu instid0(VALU_DEP_2) | instskip(NEXT) | instid1(VALU_DEP_2)
	v_pk_add_f32 v[108:109], v[108:109], v[48:49] neg_lo:[0,1] neg_hi:[0,1]
	v_pk_fma_f32 v[42:43], v[32:33], v[18:19], v[30:31] op_sel:[0,0,1] op_sel_hi:[1,1,0] neg_lo:[0,0,1] neg_hi:[0,0,1]
	v_pk_fma_f32 v[30:31], v[32:33], v[18:19], v[30:31] op_sel:[0,0,1] op_sel_hi:[1,0,0]
	s_delay_alu instid0(VALU_DEP_1) | instskip(SKIP_4) | instid1(VALU_DEP_1)
	v_mov_b32_e32 v43, v31
	ds_load_2addr_b64 v[30:33], v202 offset0:29 offset1:30
	v_pk_add_f32 v[130:131], v[130:131], v[42:43] neg_lo:[0,1] neg_hi:[0,1]
	s_wait_dscnt 0x0
	v_pk_mul_f32 v[42:43], v[30:31], v[28:29] op_sel:[0,1]
	v_pk_fma_f32 v[48:49], v[30:31], v[18:19], v[42:43] op_sel:[0,0,1] op_sel_hi:[1,1,0] neg_lo:[0,0,1] neg_hi:[0,0,1]
	v_pk_fma_f32 v[30:31], v[30:31], v[18:19], v[42:43] op_sel:[0,0,1] op_sel_hi:[1,0,0]
	v_dual_mul_f32 v42, v33, v29 :: v_dual_mov_b32 v30, v33
	s_delay_alu instid0(VALU_DEP_2) | instskip(NEXT) | instid1(VALU_DEP_2)
	v_dual_mov_b32 v49, v31 :: v_dual_mov_b32 v31, v32
	v_pk_fma_f32 v[42:43], v[32:33], v[82:83], v[42:43] op_sel_hi:[1,1,0] neg_lo:[0,0,1] neg_hi:[0,0,1]
	v_mul_f32_e32 v32, v33, v18
	s_delay_alu instid0(VALU_DEP_3) | instskip(NEXT) | instid1(VALU_DEP_2)
	v_pk_add_f32 v[126:127], v[126:127], v[48:49] neg_lo:[0,1] neg_hi:[0,1]
	v_pk_fma_f32 v[30:31], v[30:31], v[82:83], v[32:33] op_sel_hi:[1,1,0]
	s_delay_alu instid0(VALU_DEP_1) | instskip(SKIP_4) | instid1(VALU_DEP_1)
	v_mov_b32_e32 v43, v31
	ds_load_2addr_b64 v[30:33], v202 offset0:31 offset1:32
	v_pk_add_f32 v[128:129], v[128:129], v[42:43] neg_lo:[0,1] neg_hi:[0,1]
	s_wait_dscnt 0x0
	v_pk_mul_f32 v[42:43], v[30:31], v[28:29] op_sel:[0,1]
	v_pk_fma_f32 v[48:49], v[30:31], v[18:19], v[42:43] op_sel:[0,0,1] op_sel_hi:[1,1,0] neg_lo:[0,0,1] neg_hi:[0,0,1]
	v_pk_fma_f32 v[30:31], v[30:31], v[18:19], v[42:43] op_sel:[0,0,1] op_sel_hi:[1,0,0]
	s_delay_alu instid0(VALU_DEP_1) | instskip(SKIP_1) | instid1(VALU_DEP_1)
	v_mov_b32_e32 v49, v31
	v_pk_mul_f32 v[30:31], v[32:33], v[28:29] op_sel:[0,1]
	v_pk_fma_f32 v[42:43], v[32:33], v[18:19], v[30:31] op_sel:[0,0,1] op_sel_hi:[1,1,0] neg_lo:[0,0,1] neg_hi:[0,0,1]
	v_pk_fma_f32 v[30:31], v[32:33], v[18:19], v[30:31] op_sel:[0,0,1] op_sel_hi:[1,0,0]
	s_delay_alu instid0(VALU_DEP_1)
	v_mov_b32_e32 v43, v31
	ds_load_2addr_b64 v[30:33], v202 offset0:33 offset1:34
	v_pk_add_f32 v[124:125], v[124:125], v[48:49] neg_lo:[0,1] neg_hi:[0,1]
	v_pk_add_f32 v[146:147], v[146:147], v[42:43] neg_lo:[0,1] neg_hi:[0,1]
	s_wait_dscnt 0x0
	v_pk_mul_f32 v[42:43], v[30:31], v[28:29] op_sel:[0,1]
	s_delay_alu instid0(VALU_DEP_1) | instskip(SKIP_1) | instid1(VALU_DEP_1)
	v_pk_fma_f32 v[48:49], v[30:31], v[18:19], v[42:43] op_sel:[0,0,1] op_sel_hi:[1,1,0] neg_lo:[0,0,1] neg_hi:[0,0,1]
	v_pk_fma_f32 v[30:31], v[30:31], v[18:19], v[42:43] op_sel:[0,0,1] op_sel_hi:[1,0,0]
	v_mov_b32_e32 v49, v31
	v_pk_mul_f32 v[30:31], v[32:33], v[28:29] op_sel:[0,1]
	s_delay_alu instid0(VALU_DEP_1) | instskip(SKIP_1) | instid1(VALU_DEP_1)
	v_pk_fma_f32 v[42:43], v[32:33], v[18:19], v[30:31] op_sel:[0,0,1] op_sel_hi:[1,1,0] neg_lo:[0,0,1] neg_hi:[0,0,1]
	v_pk_fma_f32 v[30:31], v[32:33], v[18:19], v[30:31] op_sel:[0,0,1] op_sel_hi:[1,0,0]
	v_mov_b32_e32 v43, v31
	ds_load_2addr_b64 v[30:33], v202 offset0:35 offset1:36
	v_pk_add_f32 v[142:143], v[142:143], v[48:49] neg_lo:[0,1] neg_hi:[0,1]
	v_pk_add_f32 v[144:145], v[144:145], v[42:43] neg_lo:[0,1] neg_hi:[0,1]
	s_wait_dscnt 0x0
	v_dual_mul_f32 v42, v31, v29 :: v_dual_mul_f32 v48, v31, v18
	s_delay_alu instid0(VALU_DEP_1) | instskip(NEXT) | instid1(VALU_DEP_2)
	v_pk_fma_f32 v[42:43], v[30:31], v[82:83], v[42:43] op_sel_hi:[1,1,0] neg_lo:[0,0,1] neg_hi:[0,0,1]
	v_pk_fma_f32 v[30:31], v[30:31], v[82:83], v[48:49] op_sel:[1,0,0] op_sel_hi:[0,1,0]
	s_delay_alu instid0(VALU_DEP_1) | instskip(SKIP_1) | instid1(VALU_DEP_2)
	v_mov_b32_e32 v43, v31
	v_pk_mul_f32 v[30:31], v[32:33], v[28:29] op_sel:[0,1]
	v_pk_add_f32 v[140:141], v[140:141], v[42:43] neg_lo:[0,1] neg_hi:[0,1]
	s_delay_alu instid0(VALU_DEP_2) | instskip(SKIP_1) | instid1(VALU_DEP_1)
	v_pk_fma_f32 v[42:43], v[32:33], v[18:19], v[30:31] op_sel:[0,0,1] op_sel_hi:[1,1,0] neg_lo:[0,0,1] neg_hi:[0,0,1]
	v_pk_fma_f32 v[30:31], v[32:33], v[18:19], v[30:31] op_sel:[0,0,1] op_sel_hi:[1,0,0]
	v_mov_b32_e32 v43, v31
	ds_load_2addr_b64 v[30:33], v202 offset0:37 offset1:38
	v_pk_add_f32 v[162:163], v[162:163], v[42:43] neg_lo:[0,1] neg_hi:[0,1]
	s_wait_dscnt 0x0
	v_pk_mul_f32 v[42:43], v[30:31], v[28:29] op_sel:[0,1]
	s_delay_alu instid0(VALU_DEP_1) | instskip(SKIP_1) | instid1(VALU_DEP_1)
	v_pk_fma_f32 v[48:49], v[30:31], v[18:19], v[42:43] op_sel:[0,0,1] op_sel_hi:[1,1,0] neg_lo:[0,0,1] neg_hi:[0,0,1]
	v_pk_fma_f32 v[30:31], v[30:31], v[18:19], v[42:43] op_sel:[0,0,1] op_sel_hi:[1,0,0]
	v_mov_b32_e32 v49, v31
	v_pk_mul_f32 v[30:31], v[32:33], v[28:29] op_sel:[0,1]
	s_delay_alu instid0(VALU_DEP_2) | instskip(NEXT) | instid1(VALU_DEP_2)
	v_pk_add_f32 v[158:159], v[158:159], v[48:49] neg_lo:[0,1] neg_hi:[0,1]
	v_pk_fma_f32 v[42:43], v[32:33], v[18:19], v[30:31] op_sel:[0,0,1] op_sel_hi:[1,1,0] neg_lo:[0,0,1] neg_hi:[0,0,1]
	v_pk_fma_f32 v[30:31], v[32:33], v[18:19], v[30:31] op_sel:[0,0,1] op_sel_hi:[1,0,0]
	s_delay_alu instid0(VALU_DEP_1) | instskip(SKIP_4) | instid1(VALU_DEP_1)
	v_mov_b32_e32 v43, v31
	ds_load_2addr_b64 v[30:33], v202 offset0:39 offset1:40
	v_pk_add_f32 v[160:161], v[160:161], v[42:43] neg_lo:[0,1] neg_hi:[0,1]
	s_wait_dscnt 0x0
	v_pk_mul_f32 v[42:43], v[30:31], v[28:29] op_sel:[0,1]
	v_pk_fma_f32 v[48:49], v[30:31], v[18:19], v[42:43] op_sel:[0,0,1] op_sel_hi:[1,1,0] neg_lo:[0,0,1] neg_hi:[0,0,1]
	v_pk_fma_f32 v[30:31], v[30:31], v[18:19], v[42:43] op_sel:[0,0,1] op_sel_hi:[1,0,0]
	v_dual_mul_f32 v42, v33, v29 :: v_dual_mov_b32 v30, v33
	s_delay_alu instid0(VALU_DEP_2) | instskip(NEXT) | instid1(VALU_DEP_2)
	v_dual_mov_b32 v49, v31 :: v_dual_mov_b32 v31, v32
	v_pk_fma_f32 v[42:43], v[32:33], v[82:83], v[42:43] op_sel_hi:[1,1,0] neg_lo:[0,0,1] neg_hi:[0,0,1]
	v_mul_f32_e32 v32, v33, v18
	s_delay_alu instid0(VALU_DEP_3) | instskip(NEXT) | instid1(VALU_DEP_2)
	v_pk_add_f32 v[156:157], v[156:157], v[48:49] neg_lo:[0,1] neg_hi:[0,1]
	v_pk_fma_f32 v[30:31], v[30:31], v[82:83], v[32:33] op_sel_hi:[1,1,0]
	s_delay_alu instid0(VALU_DEP_1) | instskip(SKIP_4) | instid1(VALU_DEP_1)
	v_mov_b32_e32 v43, v31
	ds_load_2addr_b64 v[30:33], v202 offset0:41 offset1:42
	v_pk_add_f32 v[178:179], v[178:179], v[42:43] neg_lo:[0,1] neg_hi:[0,1]
	s_wait_dscnt 0x0
	v_pk_mul_f32 v[42:43], v[30:31], v[28:29] op_sel:[0,1]
	v_pk_fma_f32 v[48:49], v[30:31], v[18:19], v[42:43] op_sel:[0,0,1] op_sel_hi:[1,1,0] neg_lo:[0,0,1] neg_hi:[0,0,1]
	v_pk_fma_f32 v[30:31], v[30:31], v[18:19], v[42:43] op_sel:[0,0,1] op_sel_hi:[1,0,0]
	s_delay_alu instid0(VALU_DEP_1) | instskip(SKIP_1) | instid1(VALU_DEP_1)
	v_mov_b32_e32 v49, v31
	v_pk_mul_f32 v[30:31], v[32:33], v[28:29] op_sel:[0,1]
	v_pk_fma_f32 v[42:43], v[32:33], v[18:19], v[30:31] op_sel:[0,0,1] op_sel_hi:[1,1,0] neg_lo:[0,0,1] neg_hi:[0,0,1]
	v_pk_fma_f32 v[30:31], v[32:33], v[18:19], v[30:31] op_sel:[0,0,1] op_sel_hi:[1,0,0]
	s_delay_alu instid0(VALU_DEP_1)
	v_mov_b32_e32 v43, v31
	ds_load_2addr_b64 v[30:33], v202 offset0:43 offset1:44
	v_pk_add_f32 v[174:175], v[174:175], v[48:49] neg_lo:[0,1] neg_hi:[0,1]
	v_pk_add_f32 v[176:177], v[176:177], v[42:43] neg_lo:[0,1] neg_hi:[0,1]
	s_wait_dscnt 0x0
	v_pk_mul_f32 v[42:43], v[30:31], v[28:29] op_sel:[0,1]
	s_delay_alu instid0(VALU_DEP_1) | instskip(SKIP_1) | instid1(VALU_DEP_1)
	v_pk_fma_f32 v[48:49], v[30:31], v[18:19], v[42:43] op_sel:[0,0,1] op_sel_hi:[1,1,0] neg_lo:[0,0,1] neg_hi:[0,0,1]
	v_pk_fma_f32 v[30:31], v[30:31], v[18:19], v[42:43] op_sel:[0,0,1] op_sel_hi:[1,0,0]
	v_mov_b32_e32 v49, v31
	v_pk_mul_f32 v[30:31], v[32:33], v[28:29] op_sel:[0,1]
	s_delay_alu instid0(VALU_DEP_1) | instskip(SKIP_1) | instid1(VALU_DEP_1)
	v_pk_fma_f32 v[42:43], v[32:33], v[18:19], v[30:31] op_sel:[0,0,1] op_sel_hi:[1,1,0] neg_lo:[0,0,1] neg_hi:[0,0,1]
	v_pk_fma_f32 v[30:31], v[32:33], v[18:19], v[30:31] op_sel:[0,0,1] op_sel_hi:[1,0,0]
	v_mov_b32_e32 v43, v31
	ds_load_2addr_b64 v[30:33], v202 offset0:45 offset1:46
	v_pk_add_f32 v[172:173], v[172:173], v[48:49] neg_lo:[0,1] neg_hi:[0,1]
	v_pk_add_f32 v[194:195], v[194:195], v[42:43] neg_lo:[0,1] neg_hi:[0,1]
	s_wait_dscnt 0x0
	v_dual_mul_f32 v42, v31, v29 :: v_dual_mul_f32 v48, v31, v18
	s_delay_alu instid0(VALU_DEP_1) | instskip(NEXT) | instid1(VALU_DEP_2)
	v_pk_fma_f32 v[42:43], v[30:31], v[82:83], v[42:43] op_sel_hi:[1,1,0] neg_lo:[0,0,1] neg_hi:[0,0,1]
	v_pk_fma_f32 v[30:31], v[30:31], v[82:83], v[48:49] op_sel:[1,0,0] op_sel_hi:[0,1,0]
	s_delay_alu instid0(VALU_DEP_1) | instskip(SKIP_1) | instid1(VALU_DEP_2)
	v_mov_b32_e32 v43, v31
	v_pk_mul_f32 v[30:31], v[32:33], v[28:29] op_sel:[0,1]
	v_pk_add_f32 v[190:191], v[190:191], v[42:43] neg_lo:[0,1] neg_hi:[0,1]
	s_delay_alu instid0(VALU_DEP_2) | instskip(SKIP_1) | instid1(VALU_DEP_1)
	v_pk_fma_f32 v[42:43], v[32:33], v[18:19], v[30:31] op_sel:[0,0,1] op_sel_hi:[1,1,0] neg_lo:[0,0,1] neg_hi:[0,0,1]
	v_pk_fma_f32 v[30:31], v[32:33], v[18:19], v[30:31] op_sel:[0,0,1] op_sel_hi:[1,0,0]
	v_mov_b32_e32 v43, v31
	ds_load_2addr_b64 v[30:33], v202 offset0:47 offset1:48
	v_pk_add_f32 v[192:193], v[192:193], v[42:43] neg_lo:[0,1] neg_hi:[0,1]
	s_wait_dscnt 0x0
	v_pk_mul_f32 v[42:43], v[30:31], v[28:29] op_sel:[0,1]
	s_delay_alu instid0(VALU_DEP_1) | instskip(SKIP_1) | instid1(VALU_DEP_1)
	v_pk_fma_f32 v[48:49], v[30:31], v[18:19], v[42:43] op_sel:[0,0,1] op_sel_hi:[1,1,0] neg_lo:[0,0,1] neg_hi:[0,0,1]
	v_pk_fma_f32 v[30:31], v[30:31], v[18:19], v[42:43] op_sel:[0,0,1] op_sel_hi:[1,0,0]
	v_mov_b32_e32 v49, v31
	v_pk_mul_f32 v[30:31], v[32:33], v[28:29] op_sel:[0,1]
	s_delay_alu instid0(VALU_DEP_2) | instskip(NEXT) | instid1(VALU_DEP_2)
	v_pk_add_f32 v[188:189], v[188:189], v[48:49] neg_lo:[0,1] neg_hi:[0,1]
	v_pk_fma_f32 v[42:43], v[32:33], v[18:19], v[30:31] op_sel:[0,0,1] op_sel_hi:[1,1,0] neg_lo:[0,0,1] neg_hi:[0,0,1]
	v_pk_fma_f32 v[30:31], v[32:33], v[18:19], v[30:31] op_sel:[0,0,1] op_sel_hi:[1,0,0]
	s_delay_alu instid0(VALU_DEP_1) | instskip(SKIP_4) | instid1(VALU_DEP_1)
	v_mov_b32_e32 v43, v31
	ds_load_2addr_b64 v[30:33], v202 offset0:49 offset1:50
	v_pk_add_f32 v[212:213], v[212:213], v[42:43] neg_lo:[0,1] neg_hi:[0,1]
	s_wait_dscnt 0x0
	v_pk_mul_f32 v[42:43], v[30:31], v[28:29] op_sel:[0,1]
	v_pk_fma_f32 v[48:49], v[30:31], v[18:19], v[42:43] op_sel:[0,0,1] op_sel_hi:[1,1,0] neg_lo:[0,0,1] neg_hi:[0,0,1]
	v_pk_fma_f32 v[30:31], v[30:31], v[18:19], v[42:43] op_sel:[0,0,1] op_sel_hi:[1,0,0]
	v_dual_mul_f32 v42, v33, v29 :: v_dual_mov_b32 v30, v33
	s_delay_alu instid0(VALU_DEP_2) | instskip(NEXT) | instid1(VALU_DEP_2)
	v_dual_mov_b32 v49, v31 :: v_dual_mov_b32 v31, v32
	v_pk_fma_f32 v[42:43], v[32:33], v[82:83], v[42:43] op_sel_hi:[1,1,0] neg_lo:[0,0,1] neg_hi:[0,0,1]
	v_mul_f32_e32 v32, v33, v18
	s_delay_alu instid0(VALU_DEP_3) | instskip(NEXT) | instid1(VALU_DEP_2)
	v_pk_add_f32 v[208:209], v[208:209], v[48:49] neg_lo:[0,1] neg_hi:[0,1]
	v_pk_fma_f32 v[30:31], v[30:31], v[82:83], v[32:33] op_sel_hi:[1,1,0]
	s_delay_alu instid0(VALU_DEP_1) | instskip(SKIP_4) | instid1(VALU_DEP_1)
	v_mov_b32_e32 v43, v31
	ds_load_2addr_b64 v[30:33], v202 offset0:51 offset1:52
	v_pk_add_f32 v[210:211], v[210:211], v[42:43] neg_lo:[0,1] neg_hi:[0,1]
	s_wait_dscnt 0x0
	v_pk_mul_f32 v[42:43], v[30:31], v[28:29] op_sel:[0,1]
	v_pk_fma_f32 v[48:49], v[30:31], v[18:19], v[42:43] op_sel:[0,0,1] op_sel_hi:[1,1,0] neg_lo:[0,0,1] neg_hi:[0,0,1]
	v_pk_fma_f32 v[30:31], v[30:31], v[18:19], v[42:43] op_sel:[0,0,1] op_sel_hi:[1,0,0]
	s_delay_alu instid0(VALU_DEP_1) | instskip(SKIP_1) | instid1(VALU_DEP_1)
	v_mov_b32_e32 v49, v31
	v_pk_mul_f32 v[30:31], v[32:33], v[28:29] op_sel:[0,1]
	v_pk_fma_f32 v[42:43], v[32:33], v[18:19], v[30:31] op_sel:[0,0,1] op_sel_hi:[1,1,0] neg_lo:[0,0,1] neg_hi:[0,0,1]
	v_pk_fma_f32 v[30:31], v[32:33], v[18:19], v[30:31] op_sel:[0,0,1] op_sel_hi:[1,0,0]
	s_delay_alu instid0(VALU_DEP_1)
	v_mov_b32_e32 v43, v31
	ds_load_2addr_b64 v[30:33], v202 offset0:53 offset1:54
	v_pk_add_f32 v[206:207], v[206:207], v[48:49] neg_lo:[0,1] neg_hi:[0,1]
	v_pk_add_f32 v[232:233], v[232:233], v[42:43] neg_lo:[0,1] neg_hi:[0,1]
	s_wait_dscnt 0x0
	v_pk_mul_f32 v[42:43], v[30:31], v[28:29] op_sel:[0,1]
	s_delay_alu instid0(VALU_DEP_1) | instskip(SKIP_1) | instid1(VALU_DEP_1)
	v_pk_fma_f32 v[48:49], v[30:31], v[18:19], v[42:43] op_sel:[0,0,1] op_sel_hi:[1,1,0] neg_lo:[0,0,1] neg_hi:[0,0,1]
	v_pk_fma_f32 v[30:31], v[30:31], v[18:19], v[42:43] op_sel:[0,0,1] op_sel_hi:[1,0,0]
	v_mov_b32_e32 v49, v31
	v_pk_mul_f32 v[30:31], v[32:33], v[28:29] op_sel:[0,1]
	s_delay_alu instid0(VALU_DEP_1) | instskip(SKIP_1) | instid1(VALU_DEP_1)
	v_pk_fma_f32 v[42:43], v[32:33], v[18:19], v[30:31] op_sel:[0,0,1] op_sel_hi:[1,1,0] neg_lo:[0,0,1] neg_hi:[0,0,1]
	v_pk_fma_f32 v[30:31], v[32:33], v[18:19], v[30:31] op_sel:[0,0,1] op_sel_hi:[1,0,0]
	v_mov_b32_e32 v43, v31
	ds_load_2addr_b64 v[30:33], v202 offset0:55 offset1:56
	v_pk_add_f32 v[226:227], v[226:227], v[48:49] neg_lo:[0,1] neg_hi:[0,1]
	v_pk_add_f32 v[230:231], v[230:231], v[42:43] neg_lo:[0,1] neg_hi:[0,1]
	s_wait_dscnt 0x0
	v_dual_mul_f32 v42, v31, v29 :: v_dual_mul_f32 v48, v31, v18
	s_delay_alu instid0(VALU_DEP_1) | instskip(NEXT) | instid1(VALU_DEP_2)
	v_pk_fma_f32 v[42:43], v[30:31], v[82:83], v[42:43] op_sel_hi:[1,1,0] neg_lo:[0,0,1] neg_hi:[0,0,1]
	v_pk_fma_f32 v[30:31], v[30:31], v[82:83], v[48:49] op_sel:[1,0,0] op_sel_hi:[0,1,0]
	s_delay_alu instid0(VALU_DEP_1) | instskip(SKIP_1) | instid1(VALU_DEP_2)
	v_mov_b32_e32 v43, v31
	v_pk_mul_f32 v[30:31], v[32:33], v[28:29] op_sel:[0,1]
	v_pk_add_f32 v[224:225], v[224:225], v[42:43] neg_lo:[0,1] neg_hi:[0,1]
	s_delay_alu instid0(VALU_DEP_2) | instskip(SKIP_1) | instid1(VALU_DEP_1)
	v_pk_fma_f32 v[42:43], v[32:33], v[18:19], v[30:31] op_sel:[0,0,1] op_sel_hi:[1,1,0] neg_lo:[0,0,1] neg_hi:[0,0,1]
	v_pk_fma_f32 v[30:31], v[32:33], v[18:19], v[30:31] op_sel:[0,0,1] op_sel_hi:[1,0,0]
	v_mov_b32_e32 v43, v31
	ds_load_2addr_b64 v[30:33], v202 offset0:57 offset1:58
	v_pk_add_f32 v[228:229], v[228:229], v[42:43] neg_lo:[0,1] neg_hi:[0,1]
	s_wait_dscnt 0x0
	v_pk_mul_f32 v[42:43], v[30:31], v[28:29] op_sel:[0,1]
	v_mul_f32_e32 v28, v33, v29
	s_delay_alu instid0(VALU_DEP_2) | instskip(SKIP_2) | instid1(VALU_DEP_4)
	v_pk_fma_f32 v[48:49], v[30:31], v[18:19], v[42:43] op_sel:[0,0,1] op_sel_hi:[1,1,0] neg_lo:[0,0,1] neg_hi:[0,0,1]
	v_pk_fma_f32 v[30:31], v[30:31], v[18:19], v[42:43] op_sel:[0,0,1] op_sel_hi:[1,0,0]
	v_dual_mov_b32 v30, v33 :: v_dual_mul_f32 v18, v33, v18
	v_pk_fma_f32 v[28:29], v[32:33], v[82:83], v[28:29] op_sel_hi:[1,1,0] neg_lo:[0,0,1] neg_hi:[0,0,1]
	s_delay_alu instid0(VALU_DEP_3) | instskip(NEXT) | instid1(VALU_DEP_1)
	v_dual_mov_b32 v49, v31 :: v_dual_mov_b32 v31, v32
	v_pk_add_f32 v[234:235], v[234:235], v[48:49] neg_lo:[0,1] neg_hi:[0,1]
	s_delay_alu instid0(VALU_DEP_2) | instskip(NEXT) | instid1(VALU_DEP_1)
	v_pk_fma_f32 v[18:19], v[30:31], v[82:83], v[18:19] op_sel_hi:[1,1,0]
	v_mov_b32_e32 v29, v19
	s_delay_alu instid0(VALU_DEP_1)
	v_pk_add_f32 v[236:237], v[236:237], v[28:29] neg_lo:[0,1] neg_hi:[0,1]
.LBB117_154:
	s_or_b32 exec_lo, exec_lo, s1
	s_delay_alu instid0(SALU_CYCLE_1)
	s_mov_b32 s2, exec_lo
	s_wait_dscnt 0x0
	s_barrier_signal -1
	s_barrier_wait -1
	v_cmpx_eq_u32_e32 17, v200
	s_cbranch_execz .LBB117_161
; %bb.155:
	v_dual_mov_b32 v18, v80 :: v_dual_mov_b32 v19, v81
	v_dual_mov_b32 v28, v76 :: v_dual_mov_b32 v29, v77
	ds_store_b64 v201, v[78:79]
	ds_store_2addr_b64 v202, v[18:19], v[28:29] offset0:18 offset1:19
	v_dual_mov_b32 v18, v98 :: v_dual_mov_b32 v19, v99
	v_dual_mov_b32 v28, v94 :: v_dual_mov_b32 v29, v95
	ds_store_2addr_b64 v202, v[18:19], v[28:29] offset0:20 offset1:21
	v_dual_mov_b32 v18, v96 :: v_dual_mov_b32 v19, v97
	v_dual_mov_b32 v28, v92 :: v_dual_mov_b32 v29, v93
	;; [unrolled: 3-line block ×19, first 2 shown]
	ds_store_2addr_b64 v202, v[18:19], v[28:29] offset0:56 offset1:57
	ds_store_b64 v202, v[236:237] offset:464
	ds_load_b64 v[18:19], v201
	s_wait_dscnt 0x0
	v_cmp_neq_f32_e32 vcc_lo, 0, v18
	v_cmp_neq_f32_e64 s1, 0, v19
	s_or_b32 s1, vcc_lo, s1
	s_delay_alu instid0(SALU_CYCLE_1)
	s_and_b32 exec_lo, exec_lo, s1
	s_cbranch_execz .LBB117_161
; %bb.156:
	v_cmp_ngt_f32_e64 s1, |v18|, |v19|
                                        ; implicit-def: $vgpr28_vgpr29
	s_and_saveexec_b32 s4, s1
	s_delay_alu instid0(SALU_CYCLE_1)
	s_xor_b32 s1, exec_lo, s4
	s_cbranch_execz .LBB117_158
; %bb.157:
	v_div_scale_f32 v28, null, v19, v19, v18
	v_div_scale_f32 v31, vcc_lo, v18, v19, v18
	s_delay_alu instid0(VALU_DEP_2) | instskip(SKIP_1) | instid1(TRANS32_DEP_1)
	v_rcp_f32_e32 v29, v28
	v_nop
	v_fma_f32 v30, -v28, v29, 1.0
	s_delay_alu instid0(VALU_DEP_1) | instskip(NEXT) | instid1(VALU_DEP_1)
	v_fmac_f32_e32 v29, v30, v29
	v_mul_f32_e32 v30, v31, v29
	s_delay_alu instid0(VALU_DEP_1) | instskip(NEXT) | instid1(VALU_DEP_1)
	v_fma_f32 v32, -v28, v30, v31
	v_fmac_f32_e32 v30, v32, v29
	s_delay_alu instid0(VALU_DEP_1) | instskip(NEXT) | instid1(VALU_DEP_1)
	v_fma_f32 v28, -v28, v30, v31
	v_div_fmas_f32 v28, v28, v29, v30
	s_delay_alu instid0(VALU_DEP_1) | instskip(NEXT) | instid1(VALU_DEP_1)
	v_div_fixup_f32 v28, v28, v19, v18
	v_fmac_f32_e32 v19, v18, v28
	s_delay_alu instid0(VALU_DEP_1) | instskip(SKIP_1) | instid1(VALU_DEP_2)
	v_div_scale_f32 v18, null, v19, v19, 1.0
	v_div_scale_f32 v31, vcc_lo, 1.0, v19, 1.0
	v_rcp_f32_e32 v29, v18
	v_nop
	s_delay_alu instid0(TRANS32_DEP_1) | instskip(NEXT) | instid1(VALU_DEP_1)
	v_fma_f32 v30, -v18, v29, 1.0
	v_fmac_f32_e32 v29, v30, v29
	s_delay_alu instid0(VALU_DEP_1) | instskip(NEXT) | instid1(VALU_DEP_1)
	v_mul_f32_e32 v30, v31, v29
	v_fma_f32 v32, -v18, v30, v31
	s_delay_alu instid0(VALU_DEP_1) | instskip(NEXT) | instid1(VALU_DEP_1)
	v_fmac_f32_e32 v30, v32, v29
	v_fma_f32 v18, -v18, v30, v31
	s_delay_alu instid0(VALU_DEP_1) | instskip(NEXT) | instid1(VALU_DEP_1)
	v_div_fmas_f32 v18, v18, v29, v30
	v_div_fixup_f32 v18, v18, v19, 1.0
	s_delay_alu instid0(VALU_DEP_1)
	v_mul_f32_e32 v28, v28, v18
	v_xor_b32_e32 v29, 0x80000000, v18
                                        ; implicit-def: $vgpr18_vgpr19
.LBB117_158:
	s_and_not1_saveexec_b32 s1, s1
	s_cbranch_execz .LBB117_160
; %bb.159:
	v_div_scale_f32 v28, null, v18, v18, v19
	v_div_scale_f32 v31, vcc_lo, v19, v18, v19
	s_delay_alu instid0(VALU_DEP_2) | instskip(SKIP_1) | instid1(TRANS32_DEP_1)
	v_rcp_f32_e32 v29, v28
	v_nop
	v_fma_f32 v30, -v28, v29, 1.0
	s_delay_alu instid0(VALU_DEP_1) | instskip(NEXT) | instid1(VALU_DEP_1)
	v_fmac_f32_e32 v29, v30, v29
	v_mul_f32_e32 v30, v31, v29
	s_delay_alu instid0(VALU_DEP_1) | instskip(NEXT) | instid1(VALU_DEP_1)
	v_fma_f32 v32, -v28, v30, v31
	v_fmac_f32_e32 v30, v32, v29
	s_delay_alu instid0(VALU_DEP_1) | instskip(NEXT) | instid1(VALU_DEP_1)
	v_fma_f32 v28, -v28, v30, v31
	v_div_fmas_f32 v28, v28, v29, v30
	s_delay_alu instid0(VALU_DEP_1) | instskip(NEXT) | instid1(VALU_DEP_1)
	v_div_fixup_f32 v29, v28, v18, v19
	v_fmac_f32_e32 v18, v19, v29
	s_delay_alu instid0(VALU_DEP_1) | instskip(NEXT) | instid1(VALU_DEP_1)
	v_div_scale_f32 v19, null, v18, v18, 1.0
	v_rcp_f32_e32 v28, v19
	v_nop
	s_delay_alu instid0(TRANS32_DEP_1) | instskip(NEXT) | instid1(VALU_DEP_1)
	v_fma_f32 v30, -v19, v28, 1.0
	v_fmac_f32_e32 v28, v30, v28
	v_div_scale_f32 v30, vcc_lo, 1.0, v18, 1.0
	s_delay_alu instid0(VALU_DEP_1) | instskip(NEXT) | instid1(VALU_DEP_1)
	v_mul_f32_e32 v31, v30, v28
	v_fma_f32 v32, -v19, v31, v30
	s_delay_alu instid0(VALU_DEP_1) | instskip(NEXT) | instid1(VALU_DEP_1)
	v_fmac_f32_e32 v31, v32, v28
	v_fma_f32 v19, -v19, v31, v30
	s_delay_alu instid0(VALU_DEP_1) | instskip(NEXT) | instid1(VALU_DEP_1)
	v_div_fmas_f32 v19, v19, v28, v31
	v_div_fixup_f32 v28, v19, v18, 1.0
	s_delay_alu instid0(VALU_DEP_1)
	v_mul_f32_e64 v29, v29, -v28
.LBB117_160:
	s_or_b32 exec_lo, exec_lo, s1
	ds_store_b64 v201, v[28:29]
.LBB117_161:
	s_or_b32 exec_lo, exec_lo, s2
	s_wait_dscnt 0x0
	s_barrier_signal -1
	s_barrier_wait -1
	ds_load_b64 v[18:19], v201
	s_mov_b32 s1, exec_lo
	v_cmpx_lt_u32_e32 17, v200
	s_cbranch_execz .LBB117_163
; %bb.162:
	ds_load_2addr_b64 v[48:51], v202 offset0:18 offset1:19
	s_wait_dscnt 0x1
	v_pk_mul_f32 v[30:31], v[18:19], v[78:79] op_sel:[1,1] op_sel_hi:[0,1]
	s_delay_alu instid0(VALU_DEP_1) | instskip(SKIP_1) | instid1(VALU_DEP_1)
	v_pk_fma_f32 v[28:29], v[18:19], v[78:79], v[30:31] op_sel_hi:[1,0,1] neg_lo:[0,0,1] neg_hi:[0,0,1]
	v_pk_fma_f32 v[30:31], v[18:19], v[78:79], v[30:31] op_sel_hi:[1,0,1]
	v_dual_mov_b32 v78, v28 :: v_dual_mov_b32 v79, v31
	s_wait_dscnt 0x0
	s_delay_alu instid0(VALU_DEP_2) | instskip(NEXT) | instid1(VALU_DEP_1)
	v_pk_mul_f32 v[32:33], v[48:49], v[30:31] op_sel:[0,1]
	v_pk_fma_f32 v[42:43], v[48:49], v[28:29], v[32:33] op_sel:[0,0,1] op_sel_hi:[1,1,0] neg_lo:[0,0,1] neg_hi:[0,0,1]
	v_pk_fma_f32 v[32:33], v[48:49], v[28:29], v[32:33] op_sel:[0,0,1] op_sel_hi:[1,0,0]
	s_delay_alu instid0(VALU_DEP_1) | instskip(SKIP_1) | instid1(VALU_DEP_2)
	v_mov_b32_e32 v43, v33
	v_pk_mul_f32 v[32:33], v[50:51], v[30:31] op_sel:[0,1]
	v_pk_add_f32 v[80:81], v[80:81], v[42:43] neg_lo:[0,1] neg_hi:[0,1]
	s_delay_alu instid0(VALU_DEP_2) | instskip(SKIP_3) | instid1(VALU_DEP_1)
	v_pk_fma_f32 v[42:43], v[50:51], v[28:29], v[32:33] op_sel:[0,0,1] op_sel_hi:[1,1,0] neg_lo:[0,0,1] neg_hi:[0,0,1]
	v_pk_fma_f32 v[32:33], v[50:51], v[28:29], v[32:33] op_sel:[0,0,1] op_sel_hi:[1,0,0]
	ds_load_2addr_b64 v[48:51], v202 offset0:20 offset1:21
	v_mov_b32_e32 v43, v33
	v_pk_add_f32 v[76:77], v[76:77], v[42:43] neg_lo:[0,1] neg_hi:[0,1]
	s_wait_dscnt 0x0
	v_pk_mul_f32 v[32:33], v[48:49], v[30:31] op_sel:[0,1]
	s_delay_alu instid0(VALU_DEP_1) | instskip(SKIP_2) | instid1(VALU_DEP_2)
	v_pk_fma_f32 v[42:43], v[48:49], v[28:29], v[32:33] op_sel:[0,0,1] op_sel_hi:[1,1,0] neg_lo:[0,0,1] neg_hi:[0,0,1]
	v_pk_fma_f32 v[32:33], v[48:49], v[28:29], v[32:33] op_sel:[0,0,1] op_sel_hi:[1,0,0]
	v_dual_mov_b32 v32, v51 :: v_dual_mul_f32 v48, v51, v28
	v_dual_mov_b32 v43, v33 :: v_dual_mov_b32 v33, v50
	s_delay_alu instid0(VALU_DEP_1) | instskip(SKIP_1) | instid1(VALU_DEP_3)
	v_pk_add_f32 v[98:99], v[98:99], v[42:43] neg_lo:[0,1] neg_hi:[0,1]
	v_mul_f32_e32 v42, v51, v31
	v_pk_fma_f32 v[32:33], v[32:33], v[78:79], v[48:49] op_sel_hi:[1,1,0]
	s_delay_alu instid0(VALU_DEP_2) | instskip(SKIP_2) | instid1(VALU_DEP_1)
	v_pk_fma_f32 v[42:43], v[50:51], v[78:79], v[42:43] op_sel_hi:[1,1,0] neg_lo:[0,0,1] neg_hi:[0,0,1]
	ds_load_2addr_b64 v[48:51], v202 offset0:22 offset1:23
	v_mov_b32_e32 v43, v33
	v_pk_add_f32 v[94:95], v[94:95], v[42:43] neg_lo:[0,1] neg_hi:[0,1]
	s_wait_dscnt 0x0
	v_pk_mul_f32 v[32:33], v[48:49], v[30:31] op_sel:[0,1]
	s_delay_alu instid0(VALU_DEP_1) | instskip(SKIP_1) | instid1(VALU_DEP_1)
	v_pk_fma_f32 v[42:43], v[48:49], v[28:29], v[32:33] op_sel:[0,0,1] op_sel_hi:[1,1,0] neg_lo:[0,0,1] neg_hi:[0,0,1]
	v_pk_fma_f32 v[32:33], v[48:49], v[28:29], v[32:33] op_sel:[0,0,1] op_sel_hi:[1,0,0]
	v_mov_b32_e32 v43, v33
	v_pk_mul_f32 v[32:33], v[50:51], v[30:31] op_sel:[0,1]
	s_delay_alu instid0(VALU_DEP_2) | instskip(NEXT) | instid1(VALU_DEP_2)
	v_pk_add_f32 v[96:97], v[96:97], v[42:43] neg_lo:[0,1] neg_hi:[0,1]
	v_pk_fma_f32 v[42:43], v[50:51], v[28:29], v[32:33] op_sel:[0,0,1] op_sel_hi:[1,1,0] neg_lo:[0,0,1] neg_hi:[0,0,1]
	v_pk_fma_f32 v[32:33], v[50:51], v[28:29], v[32:33] op_sel:[0,0,1] op_sel_hi:[1,0,0]
	ds_load_2addr_b64 v[48:51], v202 offset0:24 offset1:25
	v_mov_b32_e32 v43, v33
	s_delay_alu instid0(VALU_DEP_1) | instskip(SKIP_2) | instid1(VALU_DEP_1)
	v_pk_add_f32 v[92:93], v[92:93], v[42:43] neg_lo:[0,1] neg_hi:[0,1]
	s_wait_dscnt 0x0
	v_pk_mul_f32 v[32:33], v[48:49], v[30:31] op_sel:[0,1]
	v_pk_fma_f32 v[42:43], v[48:49], v[28:29], v[32:33] op_sel:[0,0,1] op_sel_hi:[1,1,0] neg_lo:[0,0,1] neg_hi:[0,0,1]
	v_pk_fma_f32 v[32:33], v[48:49], v[28:29], v[32:33] op_sel:[0,0,1] op_sel_hi:[1,0,0]
	s_delay_alu instid0(VALU_DEP_1) | instskip(SKIP_1) | instid1(VALU_DEP_2)
	v_mov_b32_e32 v43, v33
	v_pk_mul_f32 v[32:33], v[50:51], v[30:31] op_sel:[0,1]
	v_pk_add_f32 v[114:115], v[114:115], v[42:43] neg_lo:[0,1] neg_hi:[0,1]
	s_delay_alu instid0(VALU_DEP_2) | instskip(SKIP_3) | instid1(VALU_DEP_1)
	v_pk_fma_f32 v[42:43], v[50:51], v[28:29], v[32:33] op_sel:[0,0,1] op_sel_hi:[1,1,0] neg_lo:[0,0,1] neg_hi:[0,0,1]
	v_pk_fma_f32 v[32:33], v[50:51], v[28:29], v[32:33] op_sel:[0,0,1] op_sel_hi:[1,0,0]
	ds_load_2addr_b64 v[48:51], v202 offset0:26 offset1:27
	v_mov_b32_e32 v43, v33
	v_pk_add_f32 v[110:111], v[110:111], v[42:43] neg_lo:[0,1] neg_hi:[0,1]
	s_wait_dscnt 0x0
	v_dual_mul_f32 v32, v49, v31 :: v_dual_mul_f32 v42, v49, v28
	s_delay_alu instid0(VALU_DEP_1) | instskip(NEXT) | instid1(VALU_DEP_2)
	v_pk_fma_f32 v[32:33], v[48:49], v[78:79], v[32:33] op_sel_hi:[1,1,0] neg_lo:[0,0,1] neg_hi:[0,0,1]
	v_pk_fma_f32 v[42:43], v[48:49], v[78:79], v[42:43] op_sel:[1,0,0] op_sel_hi:[0,1,0]
	s_delay_alu instid0(VALU_DEP_1) | instskip(NEXT) | instid1(VALU_DEP_1)
	v_mov_b32_e32 v33, v43
	v_pk_add_f32 v[112:113], v[112:113], v[32:33] neg_lo:[0,1] neg_hi:[0,1]
	v_pk_mul_f32 v[32:33], v[50:51], v[30:31] op_sel:[0,1]
	s_delay_alu instid0(VALU_DEP_1) | instskip(SKIP_3) | instid1(VALU_DEP_1)
	v_pk_fma_f32 v[42:43], v[50:51], v[28:29], v[32:33] op_sel:[0,0,1] op_sel_hi:[1,1,0] neg_lo:[0,0,1] neg_hi:[0,0,1]
	v_pk_fma_f32 v[32:33], v[50:51], v[28:29], v[32:33] op_sel:[0,0,1] op_sel_hi:[1,0,0]
	ds_load_2addr_b64 v[48:51], v202 offset0:28 offset1:29
	v_mov_b32_e32 v43, v33
	v_pk_add_f32 v[108:109], v[108:109], v[42:43] neg_lo:[0,1] neg_hi:[0,1]
	s_wait_dscnt 0x0
	v_pk_mul_f32 v[32:33], v[48:49], v[30:31] op_sel:[0,1]
	s_delay_alu instid0(VALU_DEP_1) | instskip(SKIP_1) | instid1(VALU_DEP_1)
	v_pk_fma_f32 v[42:43], v[48:49], v[28:29], v[32:33] op_sel:[0,0,1] op_sel_hi:[1,1,0] neg_lo:[0,0,1] neg_hi:[0,0,1]
	v_pk_fma_f32 v[32:33], v[48:49], v[28:29], v[32:33] op_sel:[0,0,1] op_sel_hi:[1,0,0]
	v_mov_b32_e32 v43, v33
	v_pk_mul_f32 v[32:33], v[50:51], v[30:31] op_sel:[0,1]
	s_delay_alu instid0(VALU_DEP_2) | instskip(NEXT) | instid1(VALU_DEP_2)
	v_pk_add_f32 v[130:131], v[130:131], v[42:43] neg_lo:[0,1] neg_hi:[0,1]
	v_pk_fma_f32 v[42:43], v[50:51], v[28:29], v[32:33] op_sel:[0,0,1] op_sel_hi:[1,1,0] neg_lo:[0,0,1] neg_hi:[0,0,1]
	v_pk_fma_f32 v[32:33], v[50:51], v[28:29], v[32:33] op_sel:[0,0,1] op_sel_hi:[1,0,0]
	ds_load_2addr_b64 v[48:51], v202 offset0:30 offset1:31
	v_mov_b32_e32 v43, v33
	s_delay_alu instid0(VALU_DEP_1) | instskip(SKIP_2) | instid1(VALU_DEP_1)
	v_pk_add_f32 v[126:127], v[126:127], v[42:43] neg_lo:[0,1] neg_hi:[0,1]
	s_wait_dscnt 0x0
	v_pk_mul_f32 v[32:33], v[48:49], v[30:31] op_sel:[0,1]
	v_pk_fma_f32 v[42:43], v[48:49], v[28:29], v[32:33] op_sel:[0,0,1] op_sel_hi:[1,1,0] neg_lo:[0,0,1] neg_hi:[0,0,1]
	v_pk_fma_f32 v[32:33], v[48:49], v[28:29], v[32:33] op_sel:[0,0,1] op_sel_hi:[1,0,0]
	v_dual_mov_b32 v32, v51 :: v_dual_mul_f32 v48, v51, v28
	s_delay_alu instid0(VALU_DEP_2) | instskip(NEXT) | instid1(VALU_DEP_1)
	v_dual_mov_b32 v43, v33 :: v_dual_mov_b32 v33, v50
	v_pk_add_f32 v[128:129], v[128:129], v[42:43] neg_lo:[0,1] neg_hi:[0,1]
	v_mul_f32_e32 v42, v51, v31
	s_delay_alu instid0(VALU_DEP_3) | instskip(NEXT) | instid1(VALU_DEP_2)
	v_pk_fma_f32 v[32:33], v[32:33], v[78:79], v[48:49] op_sel_hi:[1,1,0]
	v_pk_fma_f32 v[42:43], v[50:51], v[78:79], v[42:43] op_sel_hi:[1,1,0] neg_lo:[0,0,1] neg_hi:[0,0,1]
	ds_load_2addr_b64 v[48:51], v202 offset0:32 offset1:33
	v_mov_b32_e32 v43, v33
	s_delay_alu instid0(VALU_DEP_1) | instskip(SKIP_2) | instid1(VALU_DEP_1)
	v_pk_add_f32 v[124:125], v[124:125], v[42:43] neg_lo:[0,1] neg_hi:[0,1]
	s_wait_dscnt 0x0
	v_pk_mul_f32 v[32:33], v[48:49], v[30:31] op_sel:[0,1]
	v_pk_fma_f32 v[42:43], v[48:49], v[28:29], v[32:33] op_sel:[0,0,1] op_sel_hi:[1,1,0] neg_lo:[0,0,1] neg_hi:[0,0,1]
	v_pk_fma_f32 v[32:33], v[48:49], v[28:29], v[32:33] op_sel:[0,0,1] op_sel_hi:[1,0,0]
	s_delay_alu instid0(VALU_DEP_1) | instskip(SKIP_1) | instid1(VALU_DEP_2)
	v_mov_b32_e32 v43, v33
	v_pk_mul_f32 v[32:33], v[50:51], v[30:31] op_sel:[0,1]
	v_pk_add_f32 v[146:147], v[146:147], v[42:43] neg_lo:[0,1] neg_hi:[0,1]
	s_delay_alu instid0(VALU_DEP_2) | instskip(SKIP_3) | instid1(VALU_DEP_1)
	v_pk_fma_f32 v[42:43], v[50:51], v[28:29], v[32:33] op_sel:[0,0,1] op_sel_hi:[1,1,0] neg_lo:[0,0,1] neg_hi:[0,0,1]
	v_pk_fma_f32 v[32:33], v[50:51], v[28:29], v[32:33] op_sel:[0,0,1] op_sel_hi:[1,0,0]
	ds_load_2addr_b64 v[48:51], v202 offset0:34 offset1:35
	v_mov_b32_e32 v43, v33
	v_pk_add_f32 v[142:143], v[142:143], v[42:43] neg_lo:[0,1] neg_hi:[0,1]
	s_wait_dscnt 0x0
	v_pk_mul_f32 v[32:33], v[48:49], v[30:31] op_sel:[0,1]
	s_delay_alu instid0(VALU_DEP_1) | instskip(SKIP_1) | instid1(VALU_DEP_1)
	v_pk_fma_f32 v[42:43], v[48:49], v[28:29], v[32:33] op_sel:[0,0,1] op_sel_hi:[1,1,0] neg_lo:[0,0,1] neg_hi:[0,0,1]
	v_pk_fma_f32 v[32:33], v[48:49], v[28:29], v[32:33] op_sel:[0,0,1] op_sel_hi:[1,0,0]
	v_mov_b32_e32 v43, v33
	v_pk_mul_f32 v[32:33], v[50:51], v[30:31] op_sel:[0,1]
	s_delay_alu instid0(VALU_DEP_2) | instskip(NEXT) | instid1(VALU_DEP_2)
	v_pk_add_f32 v[144:145], v[144:145], v[42:43] neg_lo:[0,1] neg_hi:[0,1]
	v_pk_fma_f32 v[42:43], v[50:51], v[28:29], v[32:33] op_sel:[0,0,1] op_sel_hi:[1,1,0] neg_lo:[0,0,1] neg_hi:[0,0,1]
	v_pk_fma_f32 v[32:33], v[50:51], v[28:29], v[32:33] op_sel:[0,0,1] op_sel_hi:[1,0,0]
	ds_load_2addr_b64 v[48:51], v202 offset0:36 offset1:37
	v_mov_b32_e32 v43, v33
	s_delay_alu instid0(VALU_DEP_1) | instskip(SKIP_2) | instid1(VALU_DEP_1)
	v_pk_add_f32 v[140:141], v[140:141], v[42:43] neg_lo:[0,1] neg_hi:[0,1]
	s_wait_dscnt 0x0
	v_dual_mul_f32 v42, v49, v28 :: v_dual_mul_f32 v32, v49, v31
	v_pk_fma_f32 v[42:43], v[48:49], v[78:79], v[42:43] op_sel:[1,0,0] op_sel_hi:[0,1,0]
	s_delay_alu instid0(VALU_DEP_2) | instskip(NEXT) | instid1(VALU_DEP_2)
	v_pk_fma_f32 v[32:33], v[48:49], v[78:79], v[32:33] op_sel_hi:[1,1,0] neg_lo:[0,0,1] neg_hi:[0,0,1]
	v_mov_b32_e32 v33, v43
	s_delay_alu instid0(VALU_DEP_1) | instskip(SKIP_1) | instid1(VALU_DEP_1)
	v_pk_add_f32 v[162:163], v[162:163], v[32:33] neg_lo:[0,1] neg_hi:[0,1]
	v_pk_mul_f32 v[32:33], v[50:51], v[30:31] op_sel:[0,1]
	v_pk_fma_f32 v[42:43], v[50:51], v[28:29], v[32:33] op_sel:[0,0,1] op_sel_hi:[1,1,0] neg_lo:[0,0,1] neg_hi:[0,0,1]
	v_pk_fma_f32 v[32:33], v[50:51], v[28:29], v[32:33] op_sel:[0,0,1] op_sel_hi:[1,0,0]
	ds_load_2addr_b64 v[48:51], v202 offset0:38 offset1:39
	v_mov_b32_e32 v43, v33
	s_delay_alu instid0(VALU_DEP_1) | instskip(SKIP_2) | instid1(VALU_DEP_1)
	v_pk_add_f32 v[158:159], v[158:159], v[42:43] neg_lo:[0,1] neg_hi:[0,1]
	s_wait_dscnt 0x0
	v_pk_mul_f32 v[32:33], v[48:49], v[30:31] op_sel:[0,1]
	v_pk_fma_f32 v[42:43], v[48:49], v[28:29], v[32:33] op_sel:[0,0,1] op_sel_hi:[1,1,0] neg_lo:[0,0,1] neg_hi:[0,0,1]
	v_pk_fma_f32 v[32:33], v[48:49], v[28:29], v[32:33] op_sel:[0,0,1] op_sel_hi:[1,0,0]
	s_delay_alu instid0(VALU_DEP_1) | instskip(SKIP_1) | instid1(VALU_DEP_2)
	v_mov_b32_e32 v43, v33
	v_pk_mul_f32 v[32:33], v[50:51], v[30:31] op_sel:[0,1]
	v_pk_add_f32 v[160:161], v[160:161], v[42:43] neg_lo:[0,1] neg_hi:[0,1]
	s_delay_alu instid0(VALU_DEP_2) | instskip(SKIP_3) | instid1(VALU_DEP_1)
	v_pk_fma_f32 v[42:43], v[50:51], v[28:29], v[32:33] op_sel:[0,0,1] op_sel_hi:[1,1,0] neg_lo:[0,0,1] neg_hi:[0,0,1]
	v_pk_fma_f32 v[32:33], v[50:51], v[28:29], v[32:33] op_sel:[0,0,1] op_sel_hi:[1,0,0]
	ds_load_2addr_b64 v[48:51], v202 offset0:40 offset1:41
	v_mov_b32_e32 v43, v33
	v_pk_add_f32 v[156:157], v[156:157], v[42:43] neg_lo:[0,1] neg_hi:[0,1]
	s_wait_dscnt 0x0
	v_pk_mul_f32 v[32:33], v[48:49], v[30:31] op_sel:[0,1]
	s_delay_alu instid0(VALU_DEP_1) | instskip(SKIP_2) | instid1(VALU_DEP_2)
	v_pk_fma_f32 v[42:43], v[48:49], v[28:29], v[32:33] op_sel:[0,0,1] op_sel_hi:[1,1,0] neg_lo:[0,0,1] neg_hi:[0,0,1]
	v_pk_fma_f32 v[32:33], v[48:49], v[28:29], v[32:33] op_sel:[0,0,1] op_sel_hi:[1,0,0]
	v_dual_mov_b32 v32, v51 :: v_dual_mul_f32 v48, v51, v28
	v_dual_mov_b32 v43, v33 :: v_dual_mov_b32 v33, v50
	s_delay_alu instid0(VALU_DEP_1) | instskip(SKIP_1) | instid1(VALU_DEP_3)
	v_pk_add_f32 v[178:179], v[178:179], v[42:43] neg_lo:[0,1] neg_hi:[0,1]
	v_mul_f32_e32 v42, v51, v31
	v_pk_fma_f32 v[32:33], v[32:33], v[78:79], v[48:49] op_sel_hi:[1,1,0]
	s_delay_alu instid0(VALU_DEP_2) | instskip(SKIP_2) | instid1(VALU_DEP_1)
	v_pk_fma_f32 v[42:43], v[50:51], v[78:79], v[42:43] op_sel_hi:[1,1,0] neg_lo:[0,0,1] neg_hi:[0,0,1]
	ds_load_2addr_b64 v[48:51], v202 offset0:42 offset1:43
	v_mov_b32_e32 v43, v33
	v_pk_add_f32 v[174:175], v[174:175], v[42:43] neg_lo:[0,1] neg_hi:[0,1]
	s_wait_dscnt 0x0
	v_pk_mul_f32 v[32:33], v[48:49], v[30:31] op_sel:[0,1]
	s_delay_alu instid0(VALU_DEP_1) | instskip(SKIP_1) | instid1(VALU_DEP_1)
	v_pk_fma_f32 v[42:43], v[48:49], v[28:29], v[32:33] op_sel:[0,0,1] op_sel_hi:[1,1,0] neg_lo:[0,0,1] neg_hi:[0,0,1]
	v_pk_fma_f32 v[32:33], v[48:49], v[28:29], v[32:33] op_sel:[0,0,1] op_sel_hi:[1,0,0]
	v_mov_b32_e32 v43, v33
	v_pk_mul_f32 v[32:33], v[50:51], v[30:31] op_sel:[0,1]
	s_delay_alu instid0(VALU_DEP_2) | instskip(NEXT) | instid1(VALU_DEP_2)
	v_pk_add_f32 v[176:177], v[176:177], v[42:43] neg_lo:[0,1] neg_hi:[0,1]
	v_pk_fma_f32 v[42:43], v[50:51], v[28:29], v[32:33] op_sel:[0,0,1] op_sel_hi:[1,1,0] neg_lo:[0,0,1] neg_hi:[0,0,1]
	v_pk_fma_f32 v[32:33], v[50:51], v[28:29], v[32:33] op_sel:[0,0,1] op_sel_hi:[1,0,0]
	ds_load_2addr_b64 v[48:51], v202 offset0:44 offset1:45
	v_mov_b32_e32 v43, v33
	s_delay_alu instid0(VALU_DEP_1) | instskip(SKIP_2) | instid1(VALU_DEP_1)
	v_pk_add_f32 v[172:173], v[172:173], v[42:43] neg_lo:[0,1] neg_hi:[0,1]
	s_wait_dscnt 0x0
	v_pk_mul_f32 v[32:33], v[48:49], v[30:31] op_sel:[0,1]
	v_pk_fma_f32 v[42:43], v[48:49], v[28:29], v[32:33] op_sel:[0,0,1] op_sel_hi:[1,1,0] neg_lo:[0,0,1] neg_hi:[0,0,1]
	v_pk_fma_f32 v[32:33], v[48:49], v[28:29], v[32:33] op_sel:[0,0,1] op_sel_hi:[1,0,0]
	s_delay_alu instid0(VALU_DEP_1) | instskip(SKIP_1) | instid1(VALU_DEP_2)
	v_mov_b32_e32 v43, v33
	v_pk_mul_f32 v[32:33], v[50:51], v[30:31] op_sel:[0,1]
	v_pk_add_f32 v[194:195], v[194:195], v[42:43] neg_lo:[0,1] neg_hi:[0,1]
	s_delay_alu instid0(VALU_DEP_2) | instskip(SKIP_3) | instid1(VALU_DEP_1)
	v_pk_fma_f32 v[42:43], v[50:51], v[28:29], v[32:33] op_sel:[0,0,1] op_sel_hi:[1,1,0] neg_lo:[0,0,1] neg_hi:[0,0,1]
	v_pk_fma_f32 v[32:33], v[50:51], v[28:29], v[32:33] op_sel:[0,0,1] op_sel_hi:[1,0,0]
	ds_load_2addr_b64 v[48:51], v202 offset0:46 offset1:47
	v_mov_b32_e32 v43, v33
	v_pk_add_f32 v[190:191], v[190:191], v[42:43] neg_lo:[0,1] neg_hi:[0,1]
	s_wait_dscnt 0x0
	v_dual_mul_f32 v32, v49, v31 :: v_dual_mul_f32 v42, v49, v28
	s_delay_alu instid0(VALU_DEP_1) | instskip(NEXT) | instid1(VALU_DEP_2)
	v_pk_fma_f32 v[32:33], v[48:49], v[78:79], v[32:33] op_sel_hi:[1,1,0] neg_lo:[0,0,1] neg_hi:[0,0,1]
	v_pk_fma_f32 v[42:43], v[48:49], v[78:79], v[42:43] op_sel:[1,0,0] op_sel_hi:[0,1,0]
	s_delay_alu instid0(VALU_DEP_1) | instskip(NEXT) | instid1(VALU_DEP_1)
	v_mov_b32_e32 v33, v43
	v_pk_add_f32 v[192:193], v[192:193], v[32:33] neg_lo:[0,1] neg_hi:[0,1]
	v_pk_mul_f32 v[32:33], v[50:51], v[30:31] op_sel:[0,1]
	s_delay_alu instid0(VALU_DEP_1) | instskip(SKIP_3) | instid1(VALU_DEP_1)
	v_pk_fma_f32 v[42:43], v[50:51], v[28:29], v[32:33] op_sel:[0,0,1] op_sel_hi:[1,1,0] neg_lo:[0,0,1] neg_hi:[0,0,1]
	v_pk_fma_f32 v[32:33], v[50:51], v[28:29], v[32:33] op_sel:[0,0,1] op_sel_hi:[1,0,0]
	ds_load_2addr_b64 v[48:51], v202 offset0:48 offset1:49
	v_mov_b32_e32 v43, v33
	v_pk_add_f32 v[188:189], v[188:189], v[42:43] neg_lo:[0,1] neg_hi:[0,1]
	s_wait_dscnt 0x0
	v_pk_mul_f32 v[32:33], v[48:49], v[30:31] op_sel:[0,1]
	s_delay_alu instid0(VALU_DEP_1) | instskip(SKIP_1) | instid1(VALU_DEP_1)
	v_pk_fma_f32 v[42:43], v[48:49], v[28:29], v[32:33] op_sel:[0,0,1] op_sel_hi:[1,1,0] neg_lo:[0,0,1] neg_hi:[0,0,1]
	v_pk_fma_f32 v[32:33], v[48:49], v[28:29], v[32:33] op_sel:[0,0,1] op_sel_hi:[1,0,0]
	v_mov_b32_e32 v43, v33
	v_pk_mul_f32 v[32:33], v[50:51], v[30:31] op_sel:[0,1]
	s_delay_alu instid0(VALU_DEP_2) | instskip(NEXT) | instid1(VALU_DEP_2)
	v_pk_add_f32 v[212:213], v[212:213], v[42:43] neg_lo:[0,1] neg_hi:[0,1]
	v_pk_fma_f32 v[42:43], v[50:51], v[28:29], v[32:33] op_sel:[0,0,1] op_sel_hi:[1,1,0] neg_lo:[0,0,1] neg_hi:[0,0,1]
	v_pk_fma_f32 v[32:33], v[50:51], v[28:29], v[32:33] op_sel:[0,0,1] op_sel_hi:[1,0,0]
	ds_load_2addr_b64 v[48:51], v202 offset0:50 offset1:51
	v_mov_b32_e32 v43, v33
	s_delay_alu instid0(VALU_DEP_1) | instskip(SKIP_2) | instid1(VALU_DEP_1)
	v_pk_add_f32 v[208:209], v[208:209], v[42:43] neg_lo:[0,1] neg_hi:[0,1]
	s_wait_dscnt 0x0
	v_pk_mul_f32 v[32:33], v[48:49], v[30:31] op_sel:[0,1]
	v_pk_fma_f32 v[42:43], v[48:49], v[28:29], v[32:33] op_sel:[0,0,1] op_sel_hi:[1,1,0] neg_lo:[0,0,1] neg_hi:[0,0,1]
	v_pk_fma_f32 v[32:33], v[48:49], v[28:29], v[32:33] op_sel:[0,0,1] op_sel_hi:[1,0,0]
	v_dual_mov_b32 v32, v51 :: v_dual_mul_f32 v48, v51, v28
	s_delay_alu instid0(VALU_DEP_2) | instskip(NEXT) | instid1(VALU_DEP_1)
	v_dual_mov_b32 v43, v33 :: v_dual_mov_b32 v33, v50
	v_pk_add_f32 v[210:211], v[210:211], v[42:43] neg_lo:[0,1] neg_hi:[0,1]
	v_mul_f32_e32 v42, v51, v31
	s_delay_alu instid0(VALU_DEP_3) | instskip(NEXT) | instid1(VALU_DEP_2)
	v_pk_fma_f32 v[32:33], v[32:33], v[78:79], v[48:49] op_sel_hi:[1,1,0]
	v_pk_fma_f32 v[42:43], v[50:51], v[78:79], v[42:43] op_sel_hi:[1,1,0] neg_lo:[0,0,1] neg_hi:[0,0,1]
	ds_load_2addr_b64 v[48:51], v202 offset0:52 offset1:53
	v_mov_b32_e32 v43, v33
	s_delay_alu instid0(VALU_DEP_1) | instskip(SKIP_2) | instid1(VALU_DEP_1)
	v_pk_add_f32 v[206:207], v[206:207], v[42:43] neg_lo:[0,1] neg_hi:[0,1]
	s_wait_dscnt 0x0
	v_pk_mul_f32 v[32:33], v[48:49], v[30:31] op_sel:[0,1]
	v_pk_fma_f32 v[42:43], v[48:49], v[28:29], v[32:33] op_sel:[0,0,1] op_sel_hi:[1,1,0] neg_lo:[0,0,1] neg_hi:[0,0,1]
	v_pk_fma_f32 v[32:33], v[48:49], v[28:29], v[32:33] op_sel:[0,0,1] op_sel_hi:[1,0,0]
	s_delay_alu instid0(VALU_DEP_1) | instskip(SKIP_1) | instid1(VALU_DEP_2)
	v_mov_b32_e32 v43, v33
	v_pk_mul_f32 v[32:33], v[50:51], v[30:31] op_sel:[0,1]
	v_pk_add_f32 v[232:233], v[232:233], v[42:43] neg_lo:[0,1] neg_hi:[0,1]
	s_delay_alu instid0(VALU_DEP_2) | instskip(SKIP_3) | instid1(VALU_DEP_1)
	v_pk_fma_f32 v[42:43], v[50:51], v[28:29], v[32:33] op_sel:[0,0,1] op_sel_hi:[1,1,0] neg_lo:[0,0,1] neg_hi:[0,0,1]
	v_pk_fma_f32 v[32:33], v[50:51], v[28:29], v[32:33] op_sel:[0,0,1] op_sel_hi:[1,0,0]
	ds_load_2addr_b64 v[48:51], v202 offset0:54 offset1:55
	v_mov_b32_e32 v43, v33
	v_pk_add_f32 v[226:227], v[226:227], v[42:43] neg_lo:[0,1] neg_hi:[0,1]
	s_wait_dscnt 0x0
	v_pk_mul_f32 v[32:33], v[48:49], v[30:31] op_sel:[0,1]
	s_delay_alu instid0(VALU_DEP_1) | instskip(SKIP_1) | instid1(VALU_DEP_1)
	v_pk_fma_f32 v[42:43], v[48:49], v[28:29], v[32:33] op_sel:[0,0,1] op_sel_hi:[1,1,0] neg_lo:[0,0,1] neg_hi:[0,0,1]
	v_pk_fma_f32 v[32:33], v[48:49], v[28:29], v[32:33] op_sel:[0,0,1] op_sel_hi:[1,0,0]
	v_mov_b32_e32 v43, v33
	v_pk_mul_f32 v[32:33], v[50:51], v[30:31] op_sel:[0,1]
	s_delay_alu instid0(VALU_DEP_2) | instskip(NEXT) | instid1(VALU_DEP_2)
	v_pk_add_f32 v[230:231], v[230:231], v[42:43] neg_lo:[0,1] neg_hi:[0,1]
	v_pk_fma_f32 v[42:43], v[50:51], v[28:29], v[32:33] op_sel:[0,0,1] op_sel_hi:[1,1,0] neg_lo:[0,0,1] neg_hi:[0,0,1]
	v_pk_fma_f32 v[32:33], v[50:51], v[28:29], v[32:33] op_sel:[0,0,1] op_sel_hi:[1,0,0]
	ds_load_2addr_b64 v[48:51], v202 offset0:56 offset1:57
	v_mov_b32_e32 v43, v33
	s_delay_alu instid0(VALU_DEP_1) | instskip(SKIP_2) | instid1(VALU_DEP_1)
	v_pk_add_f32 v[224:225], v[224:225], v[42:43] neg_lo:[0,1] neg_hi:[0,1]
	s_wait_dscnt 0x0
	v_dual_mul_f32 v42, v49, v28 :: v_dual_mul_f32 v32, v49, v31
	v_pk_fma_f32 v[42:43], v[48:49], v[78:79], v[42:43] op_sel:[1,0,0] op_sel_hi:[0,1,0]
	s_delay_alu instid0(VALU_DEP_2) | instskip(NEXT) | instid1(VALU_DEP_2)
	v_pk_fma_f32 v[32:33], v[48:49], v[78:79], v[32:33] op_sel_hi:[1,1,0] neg_lo:[0,0,1] neg_hi:[0,0,1]
	v_mov_b32_e32 v33, v43
	s_delay_alu instid0(VALU_DEP_1) | instskip(SKIP_1) | instid1(VALU_DEP_1)
	v_pk_add_f32 v[228:229], v[228:229], v[32:33] neg_lo:[0,1] neg_hi:[0,1]
	v_pk_mul_f32 v[32:33], v[50:51], v[30:31] op_sel:[0,1]
	v_pk_fma_f32 v[42:43], v[50:51], v[28:29], v[32:33] op_sel:[0,0,1] op_sel_hi:[1,1,0] neg_lo:[0,0,1] neg_hi:[0,0,1]
	v_pk_fma_f32 v[32:33], v[50:51], v[28:29], v[32:33] op_sel:[0,0,1] op_sel_hi:[1,0,0]
	s_delay_alu instid0(VALU_DEP_1) | instskip(SKIP_4) | instid1(VALU_DEP_1)
	v_mov_b32_e32 v43, v33
	ds_load_b64 v[32:33], v202 offset:464
	v_pk_add_f32 v[234:235], v[234:235], v[42:43] neg_lo:[0,1] neg_hi:[0,1]
	s_wait_dscnt 0x0
	v_pk_mul_f32 v[30:31], v[32:33], v[30:31] op_sel:[0,1]
	v_pk_fma_f32 v[42:43], v[32:33], v[28:29], v[30:31] op_sel:[0,0,1] op_sel_hi:[1,1,0] neg_lo:[0,0,1] neg_hi:[0,0,1]
	v_pk_fma_f32 v[28:29], v[32:33], v[28:29], v[30:31] op_sel:[0,0,1] op_sel_hi:[1,0,0]
	s_delay_alu instid0(VALU_DEP_1) | instskip(NEXT) | instid1(VALU_DEP_1)
	v_mov_b32_e32 v43, v29
	v_pk_add_f32 v[236:237], v[236:237], v[42:43] neg_lo:[0,1] neg_hi:[0,1]
.LBB117_163:
	s_or_b32 exec_lo, exec_lo, s1
	s_delay_alu instid0(SALU_CYCLE_1)
	s_mov_b32 s2, exec_lo
	s_wait_dscnt 0x0
	s_barrier_signal -1
	s_barrier_wait -1
	v_cmpx_eq_u32_e32 18, v200
	s_cbranch_execz .LBB117_170
; %bb.164:
	ds_store_b64 v201, v[80:81]
	ds_store_2addr_b64 v202, v[76:77], v[98:99] offset0:19 offset1:20
	ds_store_2addr_b64 v202, v[94:95], v[96:97] offset0:21 offset1:22
	;; [unrolled: 1-line block ×20, first 2 shown]
	ds_load_b64 v[28:29], v201
	s_wait_dscnt 0x0
	v_cmp_neq_f32_e32 vcc_lo, 0, v28
	v_cmp_neq_f32_e64 s1, 0, v29
	s_or_b32 s1, vcc_lo, s1
	s_delay_alu instid0(SALU_CYCLE_1)
	s_and_b32 exec_lo, exec_lo, s1
	s_cbranch_execz .LBB117_170
; %bb.165:
	v_cmp_ngt_f32_e64 s1, |v28|, |v29|
                                        ; implicit-def: $vgpr30_vgpr31
	s_and_saveexec_b32 s4, s1
	s_delay_alu instid0(SALU_CYCLE_1)
	s_xor_b32 s1, exec_lo, s4
	s_cbranch_execz .LBB117_167
; %bb.166:
	v_div_scale_f32 v30, null, v29, v29, v28
	v_div_scale_f32 v33, vcc_lo, v28, v29, v28
	s_delay_alu instid0(VALU_DEP_2) | instskip(SKIP_1) | instid1(TRANS32_DEP_1)
	v_rcp_f32_e32 v31, v30
	v_nop
	v_fma_f32 v32, -v30, v31, 1.0
	s_delay_alu instid0(VALU_DEP_1) | instskip(NEXT) | instid1(VALU_DEP_1)
	v_fmac_f32_e32 v31, v32, v31
	v_mul_f32_e32 v32, v33, v31
	s_delay_alu instid0(VALU_DEP_1) | instskip(NEXT) | instid1(VALU_DEP_1)
	v_fma_f32 v42, -v30, v32, v33
	v_fmac_f32_e32 v32, v42, v31
	s_delay_alu instid0(VALU_DEP_1) | instskip(NEXT) | instid1(VALU_DEP_1)
	v_fma_f32 v30, -v30, v32, v33
	v_div_fmas_f32 v30, v30, v31, v32
	s_delay_alu instid0(VALU_DEP_1) | instskip(NEXT) | instid1(VALU_DEP_1)
	v_div_fixup_f32 v30, v30, v29, v28
	v_fmac_f32_e32 v29, v28, v30
	s_delay_alu instid0(VALU_DEP_1) | instskip(SKIP_1) | instid1(VALU_DEP_2)
	v_div_scale_f32 v28, null, v29, v29, 1.0
	v_div_scale_f32 v33, vcc_lo, 1.0, v29, 1.0
	v_rcp_f32_e32 v31, v28
	v_nop
	s_delay_alu instid0(TRANS32_DEP_1) | instskip(NEXT) | instid1(VALU_DEP_1)
	v_fma_f32 v32, -v28, v31, 1.0
	v_fmac_f32_e32 v31, v32, v31
	s_delay_alu instid0(VALU_DEP_1) | instskip(NEXT) | instid1(VALU_DEP_1)
	v_mul_f32_e32 v32, v33, v31
	v_fma_f32 v42, -v28, v32, v33
	s_delay_alu instid0(VALU_DEP_1) | instskip(NEXT) | instid1(VALU_DEP_1)
	v_fmac_f32_e32 v32, v42, v31
	v_fma_f32 v28, -v28, v32, v33
	s_delay_alu instid0(VALU_DEP_1) | instskip(NEXT) | instid1(VALU_DEP_1)
	v_div_fmas_f32 v28, v28, v31, v32
	v_div_fixup_f32 v28, v28, v29, 1.0
	s_delay_alu instid0(VALU_DEP_1)
	v_mul_f32_e32 v30, v30, v28
	v_xor_b32_e32 v31, 0x80000000, v28
                                        ; implicit-def: $vgpr28_vgpr29
.LBB117_167:
	s_and_not1_saveexec_b32 s1, s1
	s_cbranch_execz .LBB117_169
; %bb.168:
	v_div_scale_f32 v30, null, v28, v28, v29
	v_div_scale_f32 v33, vcc_lo, v29, v28, v29
	s_delay_alu instid0(VALU_DEP_2) | instskip(SKIP_1) | instid1(TRANS32_DEP_1)
	v_rcp_f32_e32 v31, v30
	v_nop
	v_fma_f32 v32, -v30, v31, 1.0
	s_delay_alu instid0(VALU_DEP_1) | instskip(NEXT) | instid1(VALU_DEP_1)
	v_fmac_f32_e32 v31, v32, v31
	v_mul_f32_e32 v32, v33, v31
	s_delay_alu instid0(VALU_DEP_1) | instskip(NEXT) | instid1(VALU_DEP_1)
	v_fma_f32 v42, -v30, v32, v33
	v_fmac_f32_e32 v32, v42, v31
	s_delay_alu instid0(VALU_DEP_1) | instskip(NEXT) | instid1(VALU_DEP_1)
	v_fma_f32 v30, -v30, v32, v33
	v_div_fmas_f32 v30, v30, v31, v32
	s_delay_alu instid0(VALU_DEP_1) | instskip(NEXT) | instid1(VALU_DEP_1)
	v_div_fixup_f32 v31, v30, v28, v29
	v_fmac_f32_e32 v28, v29, v31
	s_delay_alu instid0(VALU_DEP_1) | instskip(NEXT) | instid1(VALU_DEP_1)
	v_div_scale_f32 v29, null, v28, v28, 1.0
	v_rcp_f32_e32 v30, v29
	v_nop
	s_delay_alu instid0(TRANS32_DEP_1) | instskip(NEXT) | instid1(VALU_DEP_1)
	v_fma_f32 v32, -v29, v30, 1.0
	v_fmac_f32_e32 v30, v32, v30
	v_div_scale_f32 v32, vcc_lo, 1.0, v28, 1.0
	s_delay_alu instid0(VALU_DEP_1) | instskip(NEXT) | instid1(VALU_DEP_1)
	v_mul_f32_e32 v33, v32, v30
	v_fma_f32 v42, -v29, v33, v32
	s_delay_alu instid0(VALU_DEP_1) | instskip(NEXT) | instid1(VALU_DEP_1)
	v_fmac_f32_e32 v33, v42, v30
	v_fma_f32 v29, -v29, v33, v32
	s_delay_alu instid0(VALU_DEP_1) | instskip(NEXT) | instid1(VALU_DEP_1)
	v_div_fmas_f32 v29, v29, v30, v33
	v_div_fixup_f32 v30, v29, v28, 1.0
	s_delay_alu instid0(VALU_DEP_1)
	v_mul_f32_e64 v31, v31, -v30
.LBB117_169:
	s_or_b32 exec_lo, exec_lo, s1
	ds_store_b64 v201, v[30:31]
.LBB117_170:
	s_or_b32 exec_lo, exec_lo, s2
	s_wait_dscnt 0x0
	s_barrier_signal -1
	s_barrier_wait -1
	ds_load_b64 v[28:29], v201
	s_mov_b32 s1, exec_lo
	v_cmpx_lt_u32_e32 18, v200
	s_cbranch_execz .LBB117_172
; %bb.171:
	ds_load_2addr_b64 v[48:51], v202 offset0:19 offset1:20
	s_wait_dscnt 0x1
	v_pk_mul_f32 v[32:33], v[28:29], v[80:81] op_sel:[1,1] op_sel_hi:[0,1]
	s_delay_alu instid0(VALU_DEP_1) | instskip(SKIP_1) | instid1(VALU_DEP_1)
	v_pk_fma_f32 v[30:31], v[28:29], v[80:81], v[32:33] op_sel_hi:[1,0,1] neg_lo:[0,0,1] neg_hi:[0,0,1]
	v_pk_fma_f32 v[32:33], v[28:29], v[80:81], v[32:33] op_sel_hi:[1,0,1]
	v_dual_mov_b32 v80, v30 :: v_dual_mov_b32 v81, v33
	s_wait_dscnt 0x0
	s_delay_alu instid0(VALU_DEP_2) | instskip(NEXT) | instid1(VALU_DEP_1)
	v_pk_mul_f32 v[42:43], v[48:49], v[32:33] op_sel:[0,1]
	v_pk_fma_f32 v[52:53], v[48:49], v[30:31], v[42:43] op_sel:[0,0,1] op_sel_hi:[1,1,0] neg_lo:[0,0,1] neg_hi:[0,0,1]
	v_pk_fma_f32 v[42:43], v[48:49], v[30:31], v[42:43] op_sel:[0,0,1] op_sel_hi:[1,0,0]
	s_delay_alu instid0(VALU_DEP_1) | instskip(SKIP_1) | instid1(VALU_DEP_1)
	v_mov_b32_e32 v53, v43
	v_pk_mul_f32 v[42:43], v[50:51], v[32:33] op_sel:[0,1]
	v_pk_fma_f32 v[48:49], v[50:51], v[30:31], v[42:43] op_sel:[0,0,1] op_sel_hi:[1,1,0] neg_lo:[0,0,1] neg_hi:[0,0,1]
	v_pk_fma_f32 v[42:43], v[50:51], v[30:31], v[42:43] op_sel:[0,0,1] op_sel_hi:[1,0,0]
	s_delay_alu instid0(VALU_DEP_1) | instskip(SKIP_1) | instid1(VALU_DEP_2)
	v_mov_b32_e32 v49, v43
	v_pk_add_f32 v[76:77], v[76:77], v[52:53] neg_lo:[0,1] neg_hi:[0,1]
	v_pk_add_f32 v[98:99], v[98:99], v[48:49] neg_lo:[0,1] neg_hi:[0,1]
	ds_load_2addr_b64 v[48:51], v202 offset0:21 offset1:22
	s_wait_dscnt 0x0
	v_pk_mul_f32 v[42:43], v[48:49], v[32:33] op_sel:[0,1]
	s_delay_alu instid0(VALU_DEP_1) | instskip(SKIP_2) | instid1(VALU_DEP_2)
	v_pk_fma_f32 v[52:53], v[48:49], v[30:31], v[42:43] op_sel:[0,0,1] op_sel_hi:[1,1,0] neg_lo:[0,0,1] neg_hi:[0,0,1]
	v_pk_fma_f32 v[42:43], v[48:49], v[30:31], v[42:43] op_sel:[0,0,1] op_sel_hi:[1,0,0]
	v_dual_mul_f32 v48, v51, v33 :: v_dual_mov_b32 v42, v51
	v_dual_mov_b32 v53, v43 :: v_dual_mov_b32 v43, v50
	s_delay_alu instid0(VALU_DEP_2) | instskip(SKIP_1) | instid1(VALU_DEP_3)
	v_pk_fma_f32 v[48:49], v[50:51], v[80:81], v[48:49] op_sel_hi:[1,1,0] neg_lo:[0,0,1] neg_hi:[0,0,1]
	v_mul_f32_e32 v50, v51, v30
	v_pk_add_f32 v[94:95], v[94:95], v[52:53] neg_lo:[0,1] neg_hi:[0,1]
	s_delay_alu instid0(VALU_DEP_2) | instskip(NEXT) | instid1(VALU_DEP_1)
	v_pk_fma_f32 v[42:43], v[42:43], v[80:81], v[50:51] op_sel_hi:[1,1,0]
	v_mov_b32_e32 v49, v43
	s_delay_alu instid0(VALU_DEP_1) | instskip(SKIP_3) | instid1(VALU_DEP_1)
	v_pk_add_f32 v[96:97], v[96:97], v[48:49] neg_lo:[0,1] neg_hi:[0,1]
	ds_load_2addr_b64 v[48:51], v202 offset0:23 offset1:24
	s_wait_dscnt 0x0
	v_pk_mul_f32 v[42:43], v[48:49], v[32:33] op_sel:[0,1]
	v_pk_fma_f32 v[52:53], v[48:49], v[30:31], v[42:43] op_sel:[0,0,1] op_sel_hi:[1,1,0] neg_lo:[0,0,1] neg_hi:[0,0,1]
	v_pk_fma_f32 v[42:43], v[48:49], v[30:31], v[42:43] op_sel:[0,0,1] op_sel_hi:[1,0,0]
	s_delay_alu instid0(VALU_DEP_1) | instskip(SKIP_1) | instid1(VALU_DEP_2)
	v_mov_b32_e32 v53, v43
	v_pk_mul_f32 v[42:43], v[50:51], v[32:33] op_sel:[0,1]
	v_pk_add_f32 v[92:93], v[92:93], v[52:53] neg_lo:[0,1] neg_hi:[0,1]
	s_delay_alu instid0(VALU_DEP_2) | instskip(SKIP_1) | instid1(VALU_DEP_1)
	v_pk_fma_f32 v[48:49], v[50:51], v[30:31], v[42:43] op_sel:[0,0,1] op_sel_hi:[1,1,0] neg_lo:[0,0,1] neg_hi:[0,0,1]
	v_pk_fma_f32 v[42:43], v[50:51], v[30:31], v[42:43] op_sel:[0,0,1] op_sel_hi:[1,0,0]
	v_mov_b32_e32 v49, v43
	s_delay_alu instid0(VALU_DEP_1) | instskip(SKIP_3) | instid1(VALU_DEP_1)
	v_pk_add_f32 v[114:115], v[114:115], v[48:49] neg_lo:[0,1] neg_hi:[0,1]
	ds_load_2addr_b64 v[48:51], v202 offset0:25 offset1:26
	s_wait_dscnt 0x0
	v_pk_mul_f32 v[42:43], v[48:49], v[32:33] op_sel:[0,1]
	v_pk_fma_f32 v[52:53], v[48:49], v[30:31], v[42:43] op_sel:[0,0,1] op_sel_hi:[1,1,0] neg_lo:[0,0,1] neg_hi:[0,0,1]
	v_pk_fma_f32 v[42:43], v[48:49], v[30:31], v[42:43] op_sel:[0,0,1] op_sel_hi:[1,0,0]
	s_delay_alu instid0(VALU_DEP_1) | instskip(SKIP_1) | instid1(VALU_DEP_2)
	v_mov_b32_e32 v53, v43
	v_pk_mul_f32 v[42:43], v[50:51], v[32:33] op_sel:[0,1]
	v_pk_add_f32 v[110:111], v[110:111], v[52:53] neg_lo:[0,1] neg_hi:[0,1]
	s_delay_alu instid0(VALU_DEP_2) | instskip(SKIP_1) | instid1(VALU_DEP_1)
	v_pk_fma_f32 v[48:49], v[50:51], v[30:31], v[42:43] op_sel:[0,0,1] op_sel_hi:[1,1,0] neg_lo:[0,0,1] neg_hi:[0,0,1]
	v_pk_fma_f32 v[42:43], v[50:51], v[30:31], v[42:43] op_sel:[0,0,1] op_sel_hi:[1,0,0]
	v_mov_b32_e32 v49, v43
	s_delay_alu instid0(VALU_DEP_1) | instskip(SKIP_3) | instid1(VALU_DEP_1)
	v_pk_add_f32 v[112:113], v[112:113], v[48:49] neg_lo:[0,1] neg_hi:[0,1]
	ds_load_2addr_b64 v[48:51], v202 offset0:27 offset1:28
	s_wait_dscnt 0x0
	v_dual_mul_f32 v42, v49, v33 :: v_dual_mul_f32 v52, v49, v30
	v_pk_fma_f32 v[42:43], v[48:49], v[80:81], v[42:43] op_sel_hi:[1,1,0] neg_lo:[0,0,1] neg_hi:[0,0,1]
	s_delay_alu instid0(VALU_DEP_2) | instskip(NEXT) | instid1(VALU_DEP_1)
	v_pk_fma_f32 v[48:49], v[48:49], v[80:81], v[52:53] op_sel:[1,0,0] op_sel_hi:[0,1,0]
	v_mov_b32_e32 v43, v49
	s_delay_alu instid0(VALU_DEP_1) | instskip(SKIP_1) | instid1(VALU_DEP_1)
	v_pk_add_f32 v[108:109], v[108:109], v[42:43] neg_lo:[0,1] neg_hi:[0,1]
	v_pk_mul_f32 v[42:43], v[50:51], v[32:33] op_sel:[0,1]
	v_pk_fma_f32 v[48:49], v[50:51], v[30:31], v[42:43] op_sel:[0,0,1] op_sel_hi:[1,1,0] neg_lo:[0,0,1] neg_hi:[0,0,1]
	v_pk_fma_f32 v[42:43], v[50:51], v[30:31], v[42:43] op_sel:[0,0,1] op_sel_hi:[1,0,0]
	s_delay_alu instid0(VALU_DEP_1) | instskip(NEXT) | instid1(VALU_DEP_1)
	v_mov_b32_e32 v49, v43
	v_pk_add_f32 v[130:131], v[130:131], v[48:49] neg_lo:[0,1] neg_hi:[0,1]
	ds_load_2addr_b64 v[48:51], v202 offset0:29 offset1:30
	s_wait_dscnt 0x0
	v_pk_mul_f32 v[42:43], v[48:49], v[32:33] op_sel:[0,1]
	s_delay_alu instid0(VALU_DEP_1) | instskip(SKIP_1) | instid1(VALU_DEP_1)
	v_pk_fma_f32 v[52:53], v[48:49], v[30:31], v[42:43] op_sel:[0,0,1] op_sel_hi:[1,1,0] neg_lo:[0,0,1] neg_hi:[0,0,1]
	v_pk_fma_f32 v[42:43], v[48:49], v[30:31], v[42:43] op_sel:[0,0,1] op_sel_hi:[1,0,0]
	v_mov_b32_e32 v53, v43
	v_pk_mul_f32 v[42:43], v[50:51], v[32:33] op_sel:[0,1]
	s_delay_alu instid0(VALU_DEP_2) | instskip(NEXT) | instid1(VALU_DEP_2)
	v_pk_add_f32 v[126:127], v[126:127], v[52:53] neg_lo:[0,1] neg_hi:[0,1]
	v_pk_fma_f32 v[48:49], v[50:51], v[30:31], v[42:43] op_sel:[0,0,1] op_sel_hi:[1,1,0] neg_lo:[0,0,1] neg_hi:[0,0,1]
	v_pk_fma_f32 v[42:43], v[50:51], v[30:31], v[42:43] op_sel:[0,0,1] op_sel_hi:[1,0,0]
	s_delay_alu instid0(VALU_DEP_1) | instskip(NEXT) | instid1(VALU_DEP_1)
	v_mov_b32_e32 v49, v43
	v_pk_add_f32 v[128:129], v[128:129], v[48:49] neg_lo:[0,1] neg_hi:[0,1]
	ds_load_2addr_b64 v[48:51], v202 offset0:31 offset1:32
	s_wait_dscnt 0x0
	v_pk_mul_f32 v[42:43], v[48:49], v[32:33] op_sel:[0,1]
	s_delay_alu instid0(VALU_DEP_1) | instskip(SKIP_2) | instid1(VALU_DEP_2)
	v_pk_fma_f32 v[52:53], v[48:49], v[30:31], v[42:43] op_sel:[0,0,1] op_sel_hi:[1,1,0] neg_lo:[0,0,1] neg_hi:[0,0,1]
	v_pk_fma_f32 v[42:43], v[48:49], v[30:31], v[42:43] op_sel:[0,0,1] op_sel_hi:[1,0,0]
	v_dual_mul_f32 v48, v51, v33 :: v_dual_mov_b32 v42, v51
	v_dual_mov_b32 v53, v43 :: v_dual_mov_b32 v43, v50
	s_delay_alu instid0(VALU_DEP_2) | instskip(SKIP_1) | instid1(VALU_DEP_3)
	v_pk_fma_f32 v[48:49], v[50:51], v[80:81], v[48:49] op_sel_hi:[1,1,0] neg_lo:[0,0,1] neg_hi:[0,0,1]
	v_mul_f32_e32 v50, v51, v30
	v_pk_add_f32 v[124:125], v[124:125], v[52:53] neg_lo:[0,1] neg_hi:[0,1]
	s_delay_alu instid0(VALU_DEP_2) | instskip(NEXT) | instid1(VALU_DEP_1)
	v_pk_fma_f32 v[42:43], v[42:43], v[80:81], v[50:51] op_sel_hi:[1,1,0]
	v_mov_b32_e32 v49, v43
	s_delay_alu instid0(VALU_DEP_1) | instskip(SKIP_3) | instid1(VALU_DEP_1)
	v_pk_add_f32 v[146:147], v[146:147], v[48:49] neg_lo:[0,1] neg_hi:[0,1]
	ds_load_2addr_b64 v[48:51], v202 offset0:33 offset1:34
	s_wait_dscnt 0x0
	v_pk_mul_f32 v[42:43], v[48:49], v[32:33] op_sel:[0,1]
	v_pk_fma_f32 v[52:53], v[48:49], v[30:31], v[42:43] op_sel:[0,0,1] op_sel_hi:[1,1,0] neg_lo:[0,0,1] neg_hi:[0,0,1]
	v_pk_fma_f32 v[42:43], v[48:49], v[30:31], v[42:43] op_sel:[0,0,1] op_sel_hi:[1,0,0]
	s_delay_alu instid0(VALU_DEP_1) | instskip(SKIP_1) | instid1(VALU_DEP_2)
	v_mov_b32_e32 v53, v43
	v_pk_mul_f32 v[42:43], v[50:51], v[32:33] op_sel:[0,1]
	v_pk_add_f32 v[142:143], v[142:143], v[52:53] neg_lo:[0,1] neg_hi:[0,1]
	s_delay_alu instid0(VALU_DEP_2) | instskip(SKIP_1) | instid1(VALU_DEP_1)
	v_pk_fma_f32 v[48:49], v[50:51], v[30:31], v[42:43] op_sel:[0,0,1] op_sel_hi:[1,1,0] neg_lo:[0,0,1] neg_hi:[0,0,1]
	v_pk_fma_f32 v[42:43], v[50:51], v[30:31], v[42:43] op_sel:[0,0,1] op_sel_hi:[1,0,0]
	v_mov_b32_e32 v49, v43
	s_delay_alu instid0(VALU_DEP_1) | instskip(SKIP_3) | instid1(VALU_DEP_1)
	v_pk_add_f32 v[144:145], v[144:145], v[48:49] neg_lo:[0,1] neg_hi:[0,1]
	ds_load_2addr_b64 v[48:51], v202 offset0:35 offset1:36
	s_wait_dscnt 0x0
	v_pk_mul_f32 v[42:43], v[48:49], v[32:33] op_sel:[0,1]
	v_pk_fma_f32 v[52:53], v[48:49], v[30:31], v[42:43] op_sel:[0,0,1] op_sel_hi:[1,1,0] neg_lo:[0,0,1] neg_hi:[0,0,1]
	v_pk_fma_f32 v[42:43], v[48:49], v[30:31], v[42:43] op_sel:[0,0,1] op_sel_hi:[1,0,0]
	s_delay_alu instid0(VALU_DEP_1) | instskip(SKIP_1) | instid1(VALU_DEP_2)
	v_mov_b32_e32 v53, v43
	v_pk_mul_f32 v[42:43], v[50:51], v[32:33] op_sel:[0,1]
	v_pk_add_f32 v[140:141], v[140:141], v[52:53] neg_lo:[0,1] neg_hi:[0,1]
	s_delay_alu instid0(VALU_DEP_2) | instskip(SKIP_1) | instid1(VALU_DEP_1)
	v_pk_fma_f32 v[48:49], v[50:51], v[30:31], v[42:43] op_sel:[0,0,1] op_sel_hi:[1,1,0] neg_lo:[0,0,1] neg_hi:[0,0,1]
	v_pk_fma_f32 v[42:43], v[50:51], v[30:31], v[42:43] op_sel:[0,0,1] op_sel_hi:[1,0,0]
	v_mov_b32_e32 v49, v43
	s_delay_alu instid0(VALU_DEP_1) | instskip(SKIP_3) | instid1(VALU_DEP_1)
	v_pk_add_f32 v[162:163], v[162:163], v[48:49] neg_lo:[0,1] neg_hi:[0,1]
	ds_load_2addr_b64 v[48:51], v202 offset0:37 offset1:38
	s_wait_dscnt 0x0
	v_dual_mul_f32 v42, v49, v33 :: v_dual_mul_f32 v52, v49, v30
	v_pk_fma_f32 v[42:43], v[48:49], v[80:81], v[42:43] op_sel_hi:[1,1,0] neg_lo:[0,0,1] neg_hi:[0,0,1]
	s_delay_alu instid0(VALU_DEP_2) | instskip(NEXT) | instid1(VALU_DEP_1)
	v_pk_fma_f32 v[48:49], v[48:49], v[80:81], v[52:53] op_sel:[1,0,0] op_sel_hi:[0,1,0]
	v_mov_b32_e32 v43, v49
	s_delay_alu instid0(VALU_DEP_1) | instskip(SKIP_1) | instid1(VALU_DEP_1)
	v_pk_add_f32 v[158:159], v[158:159], v[42:43] neg_lo:[0,1] neg_hi:[0,1]
	v_pk_mul_f32 v[42:43], v[50:51], v[32:33] op_sel:[0,1]
	v_pk_fma_f32 v[48:49], v[50:51], v[30:31], v[42:43] op_sel:[0,0,1] op_sel_hi:[1,1,0] neg_lo:[0,0,1] neg_hi:[0,0,1]
	v_pk_fma_f32 v[42:43], v[50:51], v[30:31], v[42:43] op_sel:[0,0,1] op_sel_hi:[1,0,0]
	s_delay_alu instid0(VALU_DEP_1) | instskip(NEXT) | instid1(VALU_DEP_1)
	v_mov_b32_e32 v49, v43
	v_pk_add_f32 v[160:161], v[160:161], v[48:49] neg_lo:[0,1] neg_hi:[0,1]
	ds_load_2addr_b64 v[48:51], v202 offset0:39 offset1:40
	s_wait_dscnt 0x0
	v_pk_mul_f32 v[42:43], v[48:49], v[32:33] op_sel:[0,1]
	s_delay_alu instid0(VALU_DEP_1) | instskip(SKIP_1) | instid1(VALU_DEP_1)
	v_pk_fma_f32 v[52:53], v[48:49], v[30:31], v[42:43] op_sel:[0,0,1] op_sel_hi:[1,1,0] neg_lo:[0,0,1] neg_hi:[0,0,1]
	v_pk_fma_f32 v[42:43], v[48:49], v[30:31], v[42:43] op_sel:[0,0,1] op_sel_hi:[1,0,0]
	v_mov_b32_e32 v53, v43
	v_pk_mul_f32 v[42:43], v[50:51], v[32:33] op_sel:[0,1]
	s_delay_alu instid0(VALU_DEP_2) | instskip(NEXT) | instid1(VALU_DEP_2)
	v_pk_add_f32 v[156:157], v[156:157], v[52:53] neg_lo:[0,1] neg_hi:[0,1]
	v_pk_fma_f32 v[48:49], v[50:51], v[30:31], v[42:43] op_sel:[0,0,1] op_sel_hi:[1,1,0] neg_lo:[0,0,1] neg_hi:[0,0,1]
	v_pk_fma_f32 v[42:43], v[50:51], v[30:31], v[42:43] op_sel:[0,0,1] op_sel_hi:[1,0,0]
	s_delay_alu instid0(VALU_DEP_1) | instskip(NEXT) | instid1(VALU_DEP_1)
	v_mov_b32_e32 v49, v43
	v_pk_add_f32 v[178:179], v[178:179], v[48:49] neg_lo:[0,1] neg_hi:[0,1]
	ds_load_2addr_b64 v[48:51], v202 offset0:41 offset1:42
	s_wait_dscnt 0x0
	v_pk_mul_f32 v[42:43], v[48:49], v[32:33] op_sel:[0,1]
	s_delay_alu instid0(VALU_DEP_1) | instskip(SKIP_2) | instid1(VALU_DEP_2)
	v_pk_fma_f32 v[52:53], v[48:49], v[30:31], v[42:43] op_sel:[0,0,1] op_sel_hi:[1,1,0] neg_lo:[0,0,1] neg_hi:[0,0,1]
	v_pk_fma_f32 v[42:43], v[48:49], v[30:31], v[42:43] op_sel:[0,0,1] op_sel_hi:[1,0,0]
	v_dual_mul_f32 v48, v51, v33 :: v_dual_mov_b32 v42, v51
	v_dual_mov_b32 v53, v43 :: v_dual_mov_b32 v43, v50
	s_delay_alu instid0(VALU_DEP_2) | instskip(SKIP_1) | instid1(VALU_DEP_3)
	v_pk_fma_f32 v[48:49], v[50:51], v[80:81], v[48:49] op_sel_hi:[1,1,0] neg_lo:[0,0,1] neg_hi:[0,0,1]
	v_mul_f32_e32 v50, v51, v30
	v_pk_add_f32 v[174:175], v[174:175], v[52:53] neg_lo:[0,1] neg_hi:[0,1]
	s_delay_alu instid0(VALU_DEP_2) | instskip(NEXT) | instid1(VALU_DEP_1)
	v_pk_fma_f32 v[42:43], v[42:43], v[80:81], v[50:51] op_sel_hi:[1,1,0]
	v_mov_b32_e32 v49, v43
	s_delay_alu instid0(VALU_DEP_1) | instskip(SKIP_3) | instid1(VALU_DEP_1)
	v_pk_add_f32 v[176:177], v[176:177], v[48:49] neg_lo:[0,1] neg_hi:[0,1]
	ds_load_2addr_b64 v[48:51], v202 offset0:43 offset1:44
	s_wait_dscnt 0x0
	v_pk_mul_f32 v[42:43], v[48:49], v[32:33] op_sel:[0,1]
	v_pk_fma_f32 v[52:53], v[48:49], v[30:31], v[42:43] op_sel:[0,0,1] op_sel_hi:[1,1,0] neg_lo:[0,0,1] neg_hi:[0,0,1]
	v_pk_fma_f32 v[42:43], v[48:49], v[30:31], v[42:43] op_sel:[0,0,1] op_sel_hi:[1,0,0]
	s_delay_alu instid0(VALU_DEP_1) | instskip(SKIP_1) | instid1(VALU_DEP_2)
	v_mov_b32_e32 v53, v43
	v_pk_mul_f32 v[42:43], v[50:51], v[32:33] op_sel:[0,1]
	v_pk_add_f32 v[172:173], v[172:173], v[52:53] neg_lo:[0,1] neg_hi:[0,1]
	s_delay_alu instid0(VALU_DEP_2) | instskip(SKIP_1) | instid1(VALU_DEP_1)
	v_pk_fma_f32 v[48:49], v[50:51], v[30:31], v[42:43] op_sel:[0,0,1] op_sel_hi:[1,1,0] neg_lo:[0,0,1] neg_hi:[0,0,1]
	v_pk_fma_f32 v[42:43], v[50:51], v[30:31], v[42:43] op_sel:[0,0,1] op_sel_hi:[1,0,0]
	v_mov_b32_e32 v49, v43
	s_delay_alu instid0(VALU_DEP_1) | instskip(SKIP_3) | instid1(VALU_DEP_1)
	v_pk_add_f32 v[194:195], v[194:195], v[48:49] neg_lo:[0,1] neg_hi:[0,1]
	ds_load_2addr_b64 v[48:51], v202 offset0:45 offset1:46
	s_wait_dscnt 0x0
	v_pk_mul_f32 v[42:43], v[48:49], v[32:33] op_sel:[0,1]
	v_pk_fma_f32 v[52:53], v[48:49], v[30:31], v[42:43] op_sel:[0,0,1] op_sel_hi:[1,1,0] neg_lo:[0,0,1] neg_hi:[0,0,1]
	v_pk_fma_f32 v[42:43], v[48:49], v[30:31], v[42:43] op_sel:[0,0,1] op_sel_hi:[1,0,0]
	s_delay_alu instid0(VALU_DEP_1) | instskip(SKIP_1) | instid1(VALU_DEP_2)
	v_mov_b32_e32 v53, v43
	v_pk_mul_f32 v[42:43], v[50:51], v[32:33] op_sel:[0,1]
	v_pk_add_f32 v[190:191], v[190:191], v[52:53] neg_lo:[0,1] neg_hi:[0,1]
	s_delay_alu instid0(VALU_DEP_2) | instskip(SKIP_1) | instid1(VALU_DEP_1)
	v_pk_fma_f32 v[48:49], v[50:51], v[30:31], v[42:43] op_sel:[0,0,1] op_sel_hi:[1,1,0] neg_lo:[0,0,1] neg_hi:[0,0,1]
	v_pk_fma_f32 v[42:43], v[50:51], v[30:31], v[42:43] op_sel:[0,0,1] op_sel_hi:[1,0,0]
	v_mov_b32_e32 v49, v43
	s_delay_alu instid0(VALU_DEP_1) | instskip(SKIP_3) | instid1(VALU_DEP_1)
	v_pk_add_f32 v[192:193], v[192:193], v[48:49] neg_lo:[0,1] neg_hi:[0,1]
	ds_load_2addr_b64 v[48:51], v202 offset0:47 offset1:48
	s_wait_dscnt 0x0
	v_dual_mul_f32 v42, v49, v33 :: v_dual_mul_f32 v52, v49, v30
	v_pk_fma_f32 v[42:43], v[48:49], v[80:81], v[42:43] op_sel_hi:[1,1,0] neg_lo:[0,0,1] neg_hi:[0,0,1]
	s_delay_alu instid0(VALU_DEP_2) | instskip(NEXT) | instid1(VALU_DEP_1)
	v_pk_fma_f32 v[48:49], v[48:49], v[80:81], v[52:53] op_sel:[1,0,0] op_sel_hi:[0,1,0]
	v_mov_b32_e32 v43, v49
	s_delay_alu instid0(VALU_DEP_1) | instskip(SKIP_1) | instid1(VALU_DEP_1)
	v_pk_add_f32 v[188:189], v[188:189], v[42:43] neg_lo:[0,1] neg_hi:[0,1]
	v_pk_mul_f32 v[42:43], v[50:51], v[32:33] op_sel:[0,1]
	v_pk_fma_f32 v[48:49], v[50:51], v[30:31], v[42:43] op_sel:[0,0,1] op_sel_hi:[1,1,0] neg_lo:[0,0,1] neg_hi:[0,0,1]
	v_pk_fma_f32 v[42:43], v[50:51], v[30:31], v[42:43] op_sel:[0,0,1] op_sel_hi:[1,0,0]
	s_delay_alu instid0(VALU_DEP_1) | instskip(NEXT) | instid1(VALU_DEP_1)
	v_mov_b32_e32 v49, v43
	v_pk_add_f32 v[212:213], v[212:213], v[48:49] neg_lo:[0,1] neg_hi:[0,1]
	ds_load_2addr_b64 v[48:51], v202 offset0:49 offset1:50
	s_wait_dscnt 0x0
	v_pk_mul_f32 v[42:43], v[48:49], v[32:33] op_sel:[0,1]
	s_delay_alu instid0(VALU_DEP_1) | instskip(SKIP_1) | instid1(VALU_DEP_1)
	v_pk_fma_f32 v[52:53], v[48:49], v[30:31], v[42:43] op_sel:[0,0,1] op_sel_hi:[1,1,0] neg_lo:[0,0,1] neg_hi:[0,0,1]
	v_pk_fma_f32 v[42:43], v[48:49], v[30:31], v[42:43] op_sel:[0,0,1] op_sel_hi:[1,0,0]
	v_mov_b32_e32 v53, v43
	v_pk_mul_f32 v[42:43], v[50:51], v[32:33] op_sel:[0,1]
	s_delay_alu instid0(VALU_DEP_2) | instskip(NEXT) | instid1(VALU_DEP_2)
	v_pk_add_f32 v[208:209], v[208:209], v[52:53] neg_lo:[0,1] neg_hi:[0,1]
	v_pk_fma_f32 v[48:49], v[50:51], v[30:31], v[42:43] op_sel:[0,0,1] op_sel_hi:[1,1,0] neg_lo:[0,0,1] neg_hi:[0,0,1]
	v_pk_fma_f32 v[42:43], v[50:51], v[30:31], v[42:43] op_sel:[0,0,1] op_sel_hi:[1,0,0]
	s_delay_alu instid0(VALU_DEP_1) | instskip(NEXT) | instid1(VALU_DEP_1)
	v_mov_b32_e32 v49, v43
	v_pk_add_f32 v[210:211], v[210:211], v[48:49] neg_lo:[0,1] neg_hi:[0,1]
	ds_load_2addr_b64 v[48:51], v202 offset0:51 offset1:52
	s_wait_dscnt 0x0
	v_pk_mul_f32 v[42:43], v[48:49], v[32:33] op_sel:[0,1]
	s_delay_alu instid0(VALU_DEP_1) | instskip(SKIP_2) | instid1(VALU_DEP_2)
	v_pk_fma_f32 v[52:53], v[48:49], v[30:31], v[42:43] op_sel:[0,0,1] op_sel_hi:[1,1,0] neg_lo:[0,0,1] neg_hi:[0,0,1]
	v_pk_fma_f32 v[42:43], v[48:49], v[30:31], v[42:43] op_sel:[0,0,1] op_sel_hi:[1,0,0]
	v_dual_mul_f32 v48, v51, v33 :: v_dual_mov_b32 v42, v51
	v_dual_mov_b32 v53, v43 :: v_dual_mov_b32 v43, v50
	s_delay_alu instid0(VALU_DEP_2) | instskip(SKIP_1) | instid1(VALU_DEP_3)
	v_pk_fma_f32 v[48:49], v[50:51], v[80:81], v[48:49] op_sel_hi:[1,1,0] neg_lo:[0,0,1] neg_hi:[0,0,1]
	v_mul_f32_e32 v50, v51, v30
	v_pk_add_f32 v[206:207], v[206:207], v[52:53] neg_lo:[0,1] neg_hi:[0,1]
	s_delay_alu instid0(VALU_DEP_2) | instskip(NEXT) | instid1(VALU_DEP_1)
	v_pk_fma_f32 v[42:43], v[42:43], v[80:81], v[50:51] op_sel_hi:[1,1,0]
	v_mov_b32_e32 v49, v43
	s_delay_alu instid0(VALU_DEP_1) | instskip(SKIP_3) | instid1(VALU_DEP_1)
	v_pk_add_f32 v[232:233], v[232:233], v[48:49] neg_lo:[0,1] neg_hi:[0,1]
	ds_load_2addr_b64 v[48:51], v202 offset0:53 offset1:54
	s_wait_dscnt 0x0
	v_pk_mul_f32 v[42:43], v[48:49], v[32:33] op_sel:[0,1]
	v_pk_fma_f32 v[52:53], v[48:49], v[30:31], v[42:43] op_sel:[0,0,1] op_sel_hi:[1,1,0] neg_lo:[0,0,1] neg_hi:[0,0,1]
	v_pk_fma_f32 v[42:43], v[48:49], v[30:31], v[42:43] op_sel:[0,0,1] op_sel_hi:[1,0,0]
	s_delay_alu instid0(VALU_DEP_1) | instskip(SKIP_1) | instid1(VALU_DEP_2)
	v_mov_b32_e32 v53, v43
	v_pk_mul_f32 v[42:43], v[50:51], v[32:33] op_sel:[0,1]
	v_pk_add_f32 v[226:227], v[226:227], v[52:53] neg_lo:[0,1] neg_hi:[0,1]
	s_delay_alu instid0(VALU_DEP_2) | instskip(SKIP_1) | instid1(VALU_DEP_1)
	v_pk_fma_f32 v[48:49], v[50:51], v[30:31], v[42:43] op_sel:[0,0,1] op_sel_hi:[1,1,0] neg_lo:[0,0,1] neg_hi:[0,0,1]
	v_pk_fma_f32 v[42:43], v[50:51], v[30:31], v[42:43] op_sel:[0,0,1] op_sel_hi:[1,0,0]
	v_mov_b32_e32 v49, v43
	s_delay_alu instid0(VALU_DEP_1) | instskip(SKIP_3) | instid1(VALU_DEP_1)
	v_pk_add_f32 v[230:231], v[230:231], v[48:49] neg_lo:[0,1] neg_hi:[0,1]
	ds_load_2addr_b64 v[48:51], v202 offset0:55 offset1:56
	s_wait_dscnt 0x0
	v_pk_mul_f32 v[42:43], v[48:49], v[32:33] op_sel:[0,1]
	v_pk_fma_f32 v[52:53], v[48:49], v[30:31], v[42:43] op_sel:[0,0,1] op_sel_hi:[1,1,0] neg_lo:[0,0,1] neg_hi:[0,0,1]
	v_pk_fma_f32 v[42:43], v[48:49], v[30:31], v[42:43] op_sel:[0,0,1] op_sel_hi:[1,0,0]
	s_delay_alu instid0(VALU_DEP_1) | instskip(SKIP_1) | instid1(VALU_DEP_2)
	v_mov_b32_e32 v53, v43
	v_pk_mul_f32 v[42:43], v[50:51], v[32:33] op_sel:[0,1]
	v_pk_add_f32 v[224:225], v[224:225], v[52:53] neg_lo:[0,1] neg_hi:[0,1]
	s_delay_alu instid0(VALU_DEP_2) | instskip(SKIP_1) | instid1(VALU_DEP_1)
	v_pk_fma_f32 v[48:49], v[50:51], v[30:31], v[42:43] op_sel:[0,0,1] op_sel_hi:[1,1,0] neg_lo:[0,0,1] neg_hi:[0,0,1]
	v_pk_fma_f32 v[42:43], v[50:51], v[30:31], v[42:43] op_sel:[0,0,1] op_sel_hi:[1,0,0]
	v_mov_b32_e32 v49, v43
	s_delay_alu instid0(VALU_DEP_1) | instskip(SKIP_4) | instid1(VALU_DEP_2)
	v_pk_add_f32 v[228:229], v[228:229], v[48:49] neg_lo:[0,1] neg_hi:[0,1]
	ds_load_2addr_b64 v[48:51], v202 offset0:57 offset1:58
	s_wait_dscnt 0x0
	v_dual_mul_f32 v42, v49, v33 :: v_dual_mul_f32 v52, v49, v30
	v_pk_mul_f32 v[32:33], v[50:51], v[32:33] op_sel:[0,1]
	v_pk_fma_f32 v[42:43], v[48:49], v[80:81], v[42:43] op_sel_hi:[1,1,0] neg_lo:[0,0,1] neg_hi:[0,0,1]
	s_delay_alu instid0(VALU_DEP_3) | instskip(NEXT) | instid1(VALU_DEP_1)
	v_pk_fma_f32 v[48:49], v[48:49], v[80:81], v[52:53] op_sel:[1,0,0] op_sel_hi:[0,1,0]
	v_mov_b32_e32 v43, v49
	s_delay_alu instid0(VALU_DEP_1) | instskip(SKIP_2) | instid1(VALU_DEP_1)
	v_pk_add_f32 v[234:235], v[234:235], v[42:43] neg_lo:[0,1] neg_hi:[0,1]
	v_pk_fma_f32 v[42:43], v[50:51], v[30:31], v[32:33] op_sel:[0,0,1] op_sel_hi:[1,1,0] neg_lo:[0,0,1] neg_hi:[0,0,1]
	v_pk_fma_f32 v[30:31], v[50:51], v[30:31], v[32:33] op_sel:[0,0,1] op_sel_hi:[1,0,0]
	v_mov_b32_e32 v43, v31
	s_delay_alu instid0(VALU_DEP_1)
	v_pk_add_f32 v[236:237], v[236:237], v[42:43] neg_lo:[0,1] neg_hi:[0,1]
.LBB117_172:
	s_or_b32 exec_lo, exec_lo, s1
	s_delay_alu instid0(SALU_CYCLE_1)
	s_mov_b32 s2, exec_lo
	s_wait_dscnt 0x0
	s_barrier_signal -1
	s_barrier_wait -1
	v_cmpx_eq_u32_e32 19, v200
	s_cbranch_execz .LBB117_179
; %bb.173:
	v_dual_mov_b32 v30, v98 :: v_dual_mov_b32 v31, v99
	v_dual_mov_b32 v32, v94 :: v_dual_mov_b32 v33, v95
	ds_store_b64 v201, v[76:77]
	ds_store_2addr_b64 v202, v[30:31], v[32:33] offset0:20 offset1:21
	v_dual_mov_b32 v30, v96 :: v_dual_mov_b32 v31, v97
	v_dual_mov_b32 v32, v92 :: v_dual_mov_b32 v33, v93
	ds_store_2addr_b64 v202, v[30:31], v[32:33] offset0:22 offset1:23
	v_dual_mov_b32 v30, v114 :: v_dual_mov_b32 v31, v115
	v_dual_mov_b32 v32, v110 :: v_dual_mov_b32 v33, v111
	;; [unrolled: 3-line block ×18, first 2 shown]
	ds_store_2addr_b64 v202, v[30:31], v[32:33] offset0:56 offset1:57
	ds_store_b64 v202, v[236:237] offset:464
	ds_load_b64 v[30:31], v201
	s_wait_dscnt 0x0
	v_cmp_neq_f32_e32 vcc_lo, 0, v30
	v_cmp_neq_f32_e64 s1, 0, v31
	s_or_b32 s1, vcc_lo, s1
	s_delay_alu instid0(SALU_CYCLE_1)
	s_and_b32 exec_lo, exec_lo, s1
	s_cbranch_execz .LBB117_179
; %bb.174:
	v_cmp_ngt_f32_e64 s1, |v30|, |v31|
                                        ; implicit-def: $vgpr32_vgpr33
	s_and_saveexec_b32 s4, s1
	s_delay_alu instid0(SALU_CYCLE_1)
	s_xor_b32 s1, exec_lo, s4
	s_cbranch_execz .LBB117_176
; %bb.175:
	v_div_scale_f32 v32, null, v31, v31, v30
	v_div_scale_f32 v43, vcc_lo, v30, v31, v30
	s_delay_alu instid0(VALU_DEP_2) | instskip(SKIP_1) | instid1(TRANS32_DEP_1)
	v_rcp_f32_e32 v33, v32
	v_nop
	v_fma_f32 v42, -v32, v33, 1.0
	s_delay_alu instid0(VALU_DEP_1) | instskip(NEXT) | instid1(VALU_DEP_1)
	v_fmac_f32_e32 v33, v42, v33
	v_mul_f32_e32 v42, v43, v33
	s_delay_alu instid0(VALU_DEP_1) | instskip(NEXT) | instid1(VALU_DEP_1)
	v_fma_f32 v48, -v32, v42, v43
	v_fmac_f32_e32 v42, v48, v33
	s_delay_alu instid0(VALU_DEP_1) | instskip(NEXT) | instid1(VALU_DEP_1)
	v_fma_f32 v32, -v32, v42, v43
	v_div_fmas_f32 v32, v32, v33, v42
	s_delay_alu instid0(VALU_DEP_1) | instskip(NEXT) | instid1(VALU_DEP_1)
	v_div_fixup_f32 v32, v32, v31, v30
	v_fmac_f32_e32 v31, v30, v32
	s_delay_alu instid0(VALU_DEP_1) | instskip(SKIP_1) | instid1(VALU_DEP_2)
	v_div_scale_f32 v30, null, v31, v31, 1.0
	v_div_scale_f32 v43, vcc_lo, 1.0, v31, 1.0
	v_rcp_f32_e32 v33, v30
	v_nop
	s_delay_alu instid0(TRANS32_DEP_1) | instskip(NEXT) | instid1(VALU_DEP_1)
	v_fma_f32 v42, -v30, v33, 1.0
	v_fmac_f32_e32 v33, v42, v33
	s_delay_alu instid0(VALU_DEP_1) | instskip(NEXT) | instid1(VALU_DEP_1)
	v_mul_f32_e32 v42, v43, v33
	v_fma_f32 v48, -v30, v42, v43
	s_delay_alu instid0(VALU_DEP_1) | instskip(NEXT) | instid1(VALU_DEP_1)
	v_fmac_f32_e32 v42, v48, v33
	v_fma_f32 v30, -v30, v42, v43
	s_delay_alu instid0(VALU_DEP_1) | instskip(NEXT) | instid1(VALU_DEP_1)
	v_div_fmas_f32 v30, v30, v33, v42
	v_div_fixup_f32 v30, v30, v31, 1.0
	s_delay_alu instid0(VALU_DEP_1)
	v_mul_f32_e32 v32, v32, v30
	v_xor_b32_e32 v33, 0x80000000, v30
                                        ; implicit-def: $vgpr30_vgpr31
.LBB117_176:
	s_and_not1_saveexec_b32 s1, s1
	s_cbranch_execz .LBB117_178
; %bb.177:
	v_div_scale_f32 v32, null, v30, v30, v31
	v_div_scale_f32 v43, vcc_lo, v31, v30, v31
	s_delay_alu instid0(VALU_DEP_2) | instskip(SKIP_1) | instid1(TRANS32_DEP_1)
	v_rcp_f32_e32 v33, v32
	v_nop
	v_fma_f32 v42, -v32, v33, 1.0
	s_delay_alu instid0(VALU_DEP_1) | instskip(NEXT) | instid1(VALU_DEP_1)
	v_fmac_f32_e32 v33, v42, v33
	v_mul_f32_e32 v42, v43, v33
	s_delay_alu instid0(VALU_DEP_1) | instskip(NEXT) | instid1(VALU_DEP_1)
	v_fma_f32 v48, -v32, v42, v43
	v_fmac_f32_e32 v42, v48, v33
	s_delay_alu instid0(VALU_DEP_1) | instskip(NEXT) | instid1(VALU_DEP_1)
	v_fma_f32 v32, -v32, v42, v43
	v_div_fmas_f32 v32, v32, v33, v42
	s_delay_alu instid0(VALU_DEP_1) | instskip(NEXT) | instid1(VALU_DEP_1)
	v_div_fixup_f32 v33, v32, v30, v31
	v_fmac_f32_e32 v30, v31, v33
	s_delay_alu instid0(VALU_DEP_1) | instskip(NEXT) | instid1(VALU_DEP_1)
	v_div_scale_f32 v31, null, v30, v30, 1.0
	v_rcp_f32_e32 v32, v31
	v_nop
	s_delay_alu instid0(TRANS32_DEP_1) | instskip(NEXT) | instid1(VALU_DEP_1)
	v_fma_f32 v42, -v31, v32, 1.0
	v_fmac_f32_e32 v32, v42, v32
	v_div_scale_f32 v42, vcc_lo, 1.0, v30, 1.0
	s_delay_alu instid0(VALU_DEP_1) | instskip(NEXT) | instid1(VALU_DEP_1)
	v_mul_f32_e32 v43, v42, v32
	v_fma_f32 v48, -v31, v43, v42
	s_delay_alu instid0(VALU_DEP_1) | instskip(NEXT) | instid1(VALU_DEP_1)
	v_fmac_f32_e32 v43, v48, v32
	v_fma_f32 v31, -v31, v43, v42
	s_delay_alu instid0(VALU_DEP_1) | instskip(NEXT) | instid1(VALU_DEP_1)
	v_div_fmas_f32 v31, v31, v32, v43
	v_div_fixup_f32 v32, v31, v30, 1.0
	s_delay_alu instid0(VALU_DEP_1)
	v_mul_f32_e64 v33, v33, -v32
.LBB117_178:
	s_or_b32 exec_lo, exec_lo, s1
	ds_store_b64 v201, v[32:33]
.LBB117_179:
	s_or_b32 exec_lo, exec_lo, s2
	s_wait_dscnt 0x0
	s_barrier_signal -1
	s_barrier_wait -1
	ds_load_b64 v[30:31], v201
	s_mov_b32 s1, exec_lo
	v_cmpx_lt_u32_e32 19, v200
	s_cbranch_execz .LBB117_181
; %bb.180:
	ds_load_2addr_b64 v[48:51], v202 offset0:20 offset1:21
	s_wait_dscnt 0x1
	v_pk_mul_f32 v[42:43], v[30:31], v[76:77] op_sel:[1,1] op_sel_hi:[0,1]
	s_delay_alu instid0(VALU_DEP_1) | instskip(SKIP_1) | instid1(VALU_DEP_1)
	v_pk_fma_f32 v[32:33], v[30:31], v[76:77], v[42:43] op_sel_hi:[1,0,1] neg_lo:[0,0,1] neg_hi:[0,0,1]
	v_pk_fma_f32 v[42:43], v[30:31], v[76:77], v[42:43] op_sel_hi:[1,0,1]
	v_dual_mov_b32 v76, v32 :: v_dual_mov_b32 v77, v43
	s_wait_dscnt 0x0
	s_delay_alu instid0(VALU_DEP_2) | instskip(NEXT) | instid1(VALU_DEP_1)
	v_pk_mul_f32 v[52:53], v[48:49], v[42:43] op_sel:[0,1]
	v_pk_fma_f32 v[68:69], v[48:49], v[32:33], v[52:53] op_sel:[0,0,1] op_sel_hi:[1,1,0] neg_lo:[0,0,1] neg_hi:[0,0,1]
	v_pk_fma_f32 v[48:49], v[48:49], v[32:33], v[52:53] op_sel:[0,0,1] op_sel_hi:[1,0,0]
	s_delay_alu instid0(VALU_DEP_1) | instskip(SKIP_1) | instid1(VALU_DEP_1)
	v_mov_b32_e32 v69, v49
	v_pk_mul_f32 v[48:49], v[50:51], v[42:43] op_sel:[0,1]
	v_pk_fma_f32 v[52:53], v[50:51], v[32:33], v[48:49] op_sel:[0,0,1] op_sel_hi:[1,1,0] neg_lo:[0,0,1] neg_hi:[0,0,1]
	v_pk_fma_f32 v[48:49], v[50:51], v[32:33], v[48:49] op_sel:[0,0,1] op_sel_hi:[1,0,0]
	s_delay_alu instid0(VALU_DEP_1)
	v_mov_b32_e32 v53, v49
	ds_load_2addr_b64 v[48:51], v202 offset0:22 offset1:23
	v_pk_add_f32 v[98:99], v[98:99], v[68:69] neg_lo:[0,1] neg_hi:[0,1]
	v_pk_add_f32 v[94:95], v[94:95], v[52:53] neg_lo:[0,1] neg_hi:[0,1]
	s_wait_dscnt 0x0
	v_pk_mul_f32 v[52:53], v[48:49], v[42:43] op_sel:[0,1]
	s_delay_alu instid0(VALU_DEP_1) | instskip(SKIP_2) | instid1(VALU_DEP_2)
	v_pk_fma_f32 v[68:69], v[48:49], v[32:33], v[52:53] op_sel:[0,0,1] op_sel_hi:[1,1,0] neg_lo:[0,0,1] neg_hi:[0,0,1]
	v_pk_fma_f32 v[48:49], v[48:49], v[32:33], v[52:53] op_sel:[0,0,1] op_sel_hi:[1,0,0]
	v_dual_mul_f32 v52, v51, v43 :: v_dual_mov_b32 v48, v51
	v_dual_mov_b32 v69, v49 :: v_dual_mov_b32 v49, v50
	s_delay_alu instid0(VALU_DEP_2) | instskip(SKIP_1) | instid1(VALU_DEP_3)
	v_pk_fma_f32 v[52:53], v[50:51], v[76:77], v[52:53] op_sel_hi:[1,1,0] neg_lo:[0,0,1] neg_hi:[0,0,1]
	v_mul_f32_e32 v50, v51, v32
	v_pk_add_f32 v[96:97], v[96:97], v[68:69] neg_lo:[0,1] neg_hi:[0,1]
	s_delay_alu instid0(VALU_DEP_2) | instskip(NEXT) | instid1(VALU_DEP_1)
	v_pk_fma_f32 v[48:49], v[48:49], v[76:77], v[50:51] op_sel_hi:[1,1,0]
	v_mov_b32_e32 v53, v49
	ds_load_2addr_b64 v[48:51], v202 offset0:24 offset1:25
	v_pk_add_f32 v[92:93], v[92:93], v[52:53] neg_lo:[0,1] neg_hi:[0,1]
	s_wait_dscnt 0x0
	v_pk_mul_f32 v[52:53], v[48:49], v[42:43] op_sel:[0,1]
	s_delay_alu instid0(VALU_DEP_1) | instskip(SKIP_1) | instid1(VALU_DEP_1)
	v_pk_fma_f32 v[68:69], v[48:49], v[32:33], v[52:53] op_sel:[0,0,1] op_sel_hi:[1,1,0] neg_lo:[0,0,1] neg_hi:[0,0,1]
	v_pk_fma_f32 v[48:49], v[48:49], v[32:33], v[52:53] op_sel:[0,0,1] op_sel_hi:[1,0,0]
	v_mov_b32_e32 v69, v49
	v_pk_mul_f32 v[48:49], v[50:51], v[42:43] op_sel:[0,1]
	s_delay_alu instid0(VALU_DEP_1) | instskip(SKIP_1) | instid1(VALU_DEP_1)
	v_pk_fma_f32 v[52:53], v[50:51], v[32:33], v[48:49] op_sel:[0,0,1] op_sel_hi:[1,1,0] neg_lo:[0,0,1] neg_hi:[0,0,1]
	v_pk_fma_f32 v[48:49], v[50:51], v[32:33], v[48:49] op_sel:[0,0,1] op_sel_hi:[1,0,0]
	v_mov_b32_e32 v53, v49
	ds_load_2addr_b64 v[48:51], v202 offset0:26 offset1:27
	v_pk_add_f32 v[114:115], v[114:115], v[68:69] neg_lo:[0,1] neg_hi:[0,1]
	v_pk_add_f32 v[110:111], v[110:111], v[52:53] neg_lo:[0,1] neg_hi:[0,1]
	s_wait_dscnt 0x0
	v_pk_mul_f32 v[52:53], v[48:49], v[42:43] op_sel:[0,1]
	s_delay_alu instid0(VALU_DEP_1) | instskip(SKIP_1) | instid1(VALU_DEP_1)
	v_pk_fma_f32 v[68:69], v[48:49], v[32:33], v[52:53] op_sel:[0,0,1] op_sel_hi:[1,1,0] neg_lo:[0,0,1] neg_hi:[0,0,1]
	v_pk_fma_f32 v[48:49], v[48:49], v[32:33], v[52:53] op_sel:[0,0,1] op_sel_hi:[1,0,0]
	v_mov_b32_e32 v69, v49
	v_pk_mul_f32 v[48:49], v[50:51], v[42:43] op_sel:[0,1]
	s_delay_alu instid0(VALU_DEP_1) | instskip(SKIP_1) | instid1(VALU_DEP_1)
	v_pk_fma_f32 v[52:53], v[50:51], v[32:33], v[48:49] op_sel:[0,0,1] op_sel_hi:[1,1,0] neg_lo:[0,0,1] neg_hi:[0,0,1]
	v_pk_fma_f32 v[48:49], v[50:51], v[32:33], v[48:49] op_sel:[0,0,1] op_sel_hi:[1,0,0]
	v_mov_b32_e32 v53, v49
	ds_load_2addr_b64 v[48:51], v202 offset0:28 offset1:29
	v_pk_add_f32 v[112:113], v[112:113], v[68:69] neg_lo:[0,1] neg_hi:[0,1]
	v_pk_add_f32 v[108:109], v[108:109], v[52:53] neg_lo:[0,1] neg_hi:[0,1]
	s_wait_dscnt 0x0
	v_dual_mul_f32 v52, v49, v43 :: v_dual_mul_f32 v68, v49, v32
	s_delay_alu instid0(VALU_DEP_1) | instskip(NEXT) | instid1(VALU_DEP_2)
	v_pk_fma_f32 v[52:53], v[48:49], v[76:77], v[52:53] op_sel_hi:[1,1,0] neg_lo:[0,0,1] neg_hi:[0,0,1]
	v_pk_fma_f32 v[48:49], v[48:49], v[76:77], v[68:69] op_sel:[1,0,0] op_sel_hi:[0,1,0]
	s_delay_alu instid0(VALU_DEP_1) | instskip(SKIP_1) | instid1(VALU_DEP_2)
	v_mov_b32_e32 v53, v49
	v_pk_mul_f32 v[48:49], v[50:51], v[42:43] op_sel:[0,1]
	v_pk_add_f32 v[130:131], v[130:131], v[52:53] neg_lo:[0,1] neg_hi:[0,1]
	s_delay_alu instid0(VALU_DEP_2) | instskip(SKIP_1) | instid1(VALU_DEP_1)
	v_pk_fma_f32 v[52:53], v[50:51], v[32:33], v[48:49] op_sel:[0,0,1] op_sel_hi:[1,1,0] neg_lo:[0,0,1] neg_hi:[0,0,1]
	v_pk_fma_f32 v[48:49], v[50:51], v[32:33], v[48:49] op_sel:[0,0,1] op_sel_hi:[1,0,0]
	v_mov_b32_e32 v53, v49
	ds_load_2addr_b64 v[48:51], v202 offset0:30 offset1:31
	v_pk_add_f32 v[126:127], v[126:127], v[52:53] neg_lo:[0,1] neg_hi:[0,1]
	s_wait_dscnt 0x0
	v_pk_mul_f32 v[52:53], v[48:49], v[42:43] op_sel:[0,1]
	s_delay_alu instid0(VALU_DEP_1) | instskip(SKIP_1) | instid1(VALU_DEP_1)
	v_pk_fma_f32 v[68:69], v[48:49], v[32:33], v[52:53] op_sel:[0,0,1] op_sel_hi:[1,1,0] neg_lo:[0,0,1] neg_hi:[0,0,1]
	v_pk_fma_f32 v[48:49], v[48:49], v[32:33], v[52:53] op_sel:[0,0,1] op_sel_hi:[1,0,0]
	v_mov_b32_e32 v69, v49
	v_pk_mul_f32 v[48:49], v[50:51], v[42:43] op_sel:[0,1]
	s_delay_alu instid0(VALU_DEP_2) | instskip(NEXT) | instid1(VALU_DEP_2)
	v_pk_add_f32 v[128:129], v[128:129], v[68:69] neg_lo:[0,1] neg_hi:[0,1]
	v_pk_fma_f32 v[52:53], v[50:51], v[32:33], v[48:49] op_sel:[0,0,1] op_sel_hi:[1,1,0] neg_lo:[0,0,1] neg_hi:[0,0,1]
	v_pk_fma_f32 v[48:49], v[50:51], v[32:33], v[48:49] op_sel:[0,0,1] op_sel_hi:[1,0,0]
	s_delay_alu instid0(VALU_DEP_1) | instskip(SKIP_4) | instid1(VALU_DEP_1)
	v_mov_b32_e32 v53, v49
	ds_load_2addr_b64 v[48:51], v202 offset0:32 offset1:33
	v_pk_add_f32 v[124:125], v[124:125], v[52:53] neg_lo:[0,1] neg_hi:[0,1]
	s_wait_dscnt 0x0
	v_pk_mul_f32 v[52:53], v[48:49], v[42:43] op_sel:[0,1]
	v_pk_fma_f32 v[68:69], v[48:49], v[32:33], v[52:53] op_sel:[0,0,1] op_sel_hi:[1,1,0] neg_lo:[0,0,1] neg_hi:[0,0,1]
	v_pk_fma_f32 v[48:49], v[48:49], v[32:33], v[52:53] op_sel:[0,0,1] op_sel_hi:[1,0,0]
	v_dual_mul_f32 v52, v51, v43 :: v_dual_mov_b32 v48, v51
	s_delay_alu instid0(VALU_DEP_2) | instskip(NEXT) | instid1(VALU_DEP_2)
	v_dual_mov_b32 v69, v49 :: v_dual_mov_b32 v49, v50
	v_pk_fma_f32 v[52:53], v[50:51], v[76:77], v[52:53] op_sel_hi:[1,1,0] neg_lo:[0,0,1] neg_hi:[0,0,1]
	v_mul_f32_e32 v50, v51, v32
	s_delay_alu instid0(VALU_DEP_3) | instskip(NEXT) | instid1(VALU_DEP_2)
	v_pk_add_f32 v[146:147], v[146:147], v[68:69] neg_lo:[0,1] neg_hi:[0,1]
	v_pk_fma_f32 v[48:49], v[48:49], v[76:77], v[50:51] op_sel_hi:[1,1,0]
	s_delay_alu instid0(VALU_DEP_1) | instskip(SKIP_4) | instid1(VALU_DEP_1)
	v_mov_b32_e32 v53, v49
	ds_load_2addr_b64 v[48:51], v202 offset0:34 offset1:35
	v_pk_add_f32 v[142:143], v[142:143], v[52:53] neg_lo:[0,1] neg_hi:[0,1]
	s_wait_dscnt 0x0
	v_pk_mul_f32 v[52:53], v[48:49], v[42:43] op_sel:[0,1]
	v_pk_fma_f32 v[68:69], v[48:49], v[32:33], v[52:53] op_sel:[0,0,1] op_sel_hi:[1,1,0] neg_lo:[0,0,1] neg_hi:[0,0,1]
	v_pk_fma_f32 v[48:49], v[48:49], v[32:33], v[52:53] op_sel:[0,0,1] op_sel_hi:[1,0,0]
	s_delay_alu instid0(VALU_DEP_1) | instskip(SKIP_1) | instid1(VALU_DEP_1)
	v_mov_b32_e32 v69, v49
	v_pk_mul_f32 v[48:49], v[50:51], v[42:43] op_sel:[0,1]
	v_pk_fma_f32 v[52:53], v[50:51], v[32:33], v[48:49] op_sel:[0,0,1] op_sel_hi:[1,1,0] neg_lo:[0,0,1] neg_hi:[0,0,1]
	v_pk_fma_f32 v[48:49], v[50:51], v[32:33], v[48:49] op_sel:[0,0,1] op_sel_hi:[1,0,0]
	s_delay_alu instid0(VALU_DEP_1)
	v_mov_b32_e32 v53, v49
	ds_load_2addr_b64 v[48:51], v202 offset0:36 offset1:37
	v_pk_add_f32 v[144:145], v[144:145], v[68:69] neg_lo:[0,1] neg_hi:[0,1]
	v_pk_add_f32 v[140:141], v[140:141], v[52:53] neg_lo:[0,1] neg_hi:[0,1]
	s_wait_dscnt 0x0
	v_pk_mul_f32 v[52:53], v[48:49], v[42:43] op_sel:[0,1]
	s_delay_alu instid0(VALU_DEP_1) | instskip(SKIP_1) | instid1(VALU_DEP_1)
	v_pk_fma_f32 v[68:69], v[48:49], v[32:33], v[52:53] op_sel:[0,0,1] op_sel_hi:[1,1,0] neg_lo:[0,0,1] neg_hi:[0,0,1]
	v_pk_fma_f32 v[48:49], v[48:49], v[32:33], v[52:53] op_sel:[0,0,1] op_sel_hi:[1,0,0]
	v_mov_b32_e32 v69, v49
	v_pk_mul_f32 v[48:49], v[50:51], v[42:43] op_sel:[0,1]
	s_delay_alu instid0(VALU_DEP_1) | instskip(SKIP_1) | instid1(VALU_DEP_1)
	v_pk_fma_f32 v[52:53], v[50:51], v[32:33], v[48:49] op_sel:[0,0,1] op_sel_hi:[1,1,0] neg_lo:[0,0,1] neg_hi:[0,0,1]
	v_pk_fma_f32 v[48:49], v[50:51], v[32:33], v[48:49] op_sel:[0,0,1] op_sel_hi:[1,0,0]
	v_mov_b32_e32 v53, v49
	ds_load_2addr_b64 v[48:51], v202 offset0:38 offset1:39
	v_pk_add_f32 v[162:163], v[162:163], v[68:69] neg_lo:[0,1] neg_hi:[0,1]
	v_pk_add_f32 v[158:159], v[158:159], v[52:53] neg_lo:[0,1] neg_hi:[0,1]
	s_wait_dscnt 0x0
	v_dual_mul_f32 v52, v49, v43 :: v_dual_mul_f32 v68, v49, v32
	s_delay_alu instid0(VALU_DEP_1) | instskip(NEXT) | instid1(VALU_DEP_2)
	v_pk_fma_f32 v[52:53], v[48:49], v[76:77], v[52:53] op_sel_hi:[1,1,0] neg_lo:[0,0,1] neg_hi:[0,0,1]
	v_pk_fma_f32 v[48:49], v[48:49], v[76:77], v[68:69] op_sel:[1,0,0] op_sel_hi:[0,1,0]
	s_delay_alu instid0(VALU_DEP_1) | instskip(SKIP_1) | instid1(VALU_DEP_2)
	v_mov_b32_e32 v53, v49
	v_pk_mul_f32 v[48:49], v[50:51], v[42:43] op_sel:[0,1]
	v_pk_add_f32 v[160:161], v[160:161], v[52:53] neg_lo:[0,1] neg_hi:[0,1]
	s_delay_alu instid0(VALU_DEP_2) | instskip(SKIP_1) | instid1(VALU_DEP_1)
	v_pk_fma_f32 v[52:53], v[50:51], v[32:33], v[48:49] op_sel:[0,0,1] op_sel_hi:[1,1,0] neg_lo:[0,0,1] neg_hi:[0,0,1]
	v_pk_fma_f32 v[48:49], v[50:51], v[32:33], v[48:49] op_sel:[0,0,1] op_sel_hi:[1,0,0]
	v_mov_b32_e32 v53, v49
	ds_load_2addr_b64 v[48:51], v202 offset0:40 offset1:41
	v_pk_add_f32 v[156:157], v[156:157], v[52:53] neg_lo:[0,1] neg_hi:[0,1]
	s_wait_dscnt 0x0
	v_pk_mul_f32 v[52:53], v[48:49], v[42:43] op_sel:[0,1]
	s_delay_alu instid0(VALU_DEP_1) | instskip(SKIP_1) | instid1(VALU_DEP_1)
	v_pk_fma_f32 v[68:69], v[48:49], v[32:33], v[52:53] op_sel:[0,0,1] op_sel_hi:[1,1,0] neg_lo:[0,0,1] neg_hi:[0,0,1]
	v_pk_fma_f32 v[48:49], v[48:49], v[32:33], v[52:53] op_sel:[0,0,1] op_sel_hi:[1,0,0]
	v_mov_b32_e32 v69, v49
	v_pk_mul_f32 v[48:49], v[50:51], v[42:43] op_sel:[0,1]
	s_delay_alu instid0(VALU_DEP_2) | instskip(NEXT) | instid1(VALU_DEP_2)
	v_pk_add_f32 v[178:179], v[178:179], v[68:69] neg_lo:[0,1] neg_hi:[0,1]
	v_pk_fma_f32 v[52:53], v[50:51], v[32:33], v[48:49] op_sel:[0,0,1] op_sel_hi:[1,1,0] neg_lo:[0,0,1] neg_hi:[0,0,1]
	v_pk_fma_f32 v[48:49], v[50:51], v[32:33], v[48:49] op_sel:[0,0,1] op_sel_hi:[1,0,0]
	s_delay_alu instid0(VALU_DEP_1) | instskip(SKIP_4) | instid1(VALU_DEP_1)
	v_mov_b32_e32 v53, v49
	ds_load_2addr_b64 v[48:51], v202 offset0:42 offset1:43
	v_pk_add_f32 v[174:175], v[174:175], v[52:53] neg_lo:[0,1] neg_hi:[0,1]
	s_wait_dscnt 0x0
	v_pk_mul_f32 v[52:53], v[48:49], v[42:43] op_sel:[0,1]
	v_pk_fma_f32 v[68:69], v[48:49], v[32:33], v[52:53] op_sel:[0,0,1] op_sel_hi:[1,1,0] neg_lo:[0,0,1] neg_hi:[0,0,1]
	v_pk_fma_f32 v[48:49], v[48:49], v[32:33], v[52:53] op_sel:[0,0,1] op_sel_hi:[1,0,0]
	v_dual_mul_f32 v52, v51, v43 :: v_dual_mov_b32 v48, v51
	s_delay_alu instid0(VALU_DEP_2) | instskip(NEXT) | instid1(VALU_DEP_2)
	v_dual_mov_b32 v69, v49 :: v_dual_mov_b32 v49, v50
	v_pk_fma_f32 v[52:53], v[50:51], v[76:77], v[52:53] op_sel_hi:[1,1,0] neg_lo:[0,0,1] neg_hi:[0,0,1]
	v_mul_f32_e32 v50, v51, v32
	s_delay_alu instid0(VALU_DEP_3) | instskip(NEXT) | instid1(VALU_DEP_2)
	v_pk_add_f32 v[176:177], v[176:177], v[68:69] neg_lo:[0,1] neg_hi:[0,1]
	v_pk_fma_f32 v[48:49], v[48:49], v[76:77], v[50:51] op_sel_hi:[1,1,0]
	s_delay_alu instid0(VALU_DEP_1) | instskip(SKIP_4) | instid1(VALU_DEP_1)
	v_mov_b32_e32 v53, v49
	ds_load_2addr_b64 v[48:51], v202 offset0:44 offset1:45
	v_pk_add_f32 v[172:173], v[172:173], v[52:53] neg_lo:[0,1] neg_hi:[0,1]
	s_wait_dscnt 0x0
	v_pk_mul_f32 v[52:53], v[48:49], v[42:43] op_sel:[0,1]
	v_pk_fma_f32 v[68:69], v[48:49], v[32:33], v[52:53] op_sel:[0,0,1] op_sel_hi:[1,1,0] neg_lo:[0,0,1] neg_hi:[0,0,1]
	v_pk_fma_f32 v[48:49], v[48:49], v[32:33], v[52:53] op_sel:[0,0,1] op_sel_hi:[1,0,0]
	s_delay_alu instid0(VALU_DEP_1) | instskip(SKIP_1) | instid1(VALU_DEP_1)
	v_mov_b32_e32 v69, v49
	v_pk_mul_f32 v[48:49], v[50:51], v[42:43] op_sel:[0,1]
	v_pk_fma_f32 v[52:53], v[50:51], v[32:33], v[48:49] op_sel:[0,0,1] op_sel_hi:[1,1,0] neg_lo:[0,0,1] neg_hi:[0,0,1]
	v_pk_fma_f32 v[48:49], v[50:51], v[32:33], v[48:49] op_sel:[0,0,1] op_sel_hi:[1,0,0]
	s_delay_alu instid0(VALU_DEP_1)
	v_mov_b32_e32 v53, v49
	ds_load_2addr_b64 v[48:51], v202 offset0:46 offset1:47
	v_pk_add_f32 v[194:195], v[194:195], v[68:69] neg_lo:[0,1] neg_hi:[0,1]
	v_pk_add_f32 v[190:191], v[190:191], v[52:53] neg_lo:[0,1] neg_hi:[0,1]
	s_wait_dscnt 0x0
	v_pk_mul_f32 v[52:53], v[48:49], v[42:43] op_sel:[0,1]
	s_delay_alu instid0(VALU_DEP_1) | instskip(SKIP_1) | instid1(VALU_DEP_1)
	v_pk_fma_f32 v[68:69], v[48:49], v[32:33], v[52:53] op_sel:[0,0,1] op_sel_hi:[1,1,0] neg_lo:[0,0,1] neg_hi:[0,0,1]
	v_pk_fma_f32 v[48:49], v[48:49], v[32:33], v[52:53] op_sel:[0,0,1] op_sel_hi:[1,0,0]
	v_mov_b32_e32 v69, v49
	v_pk_mul_f32 v[48:49], v[50:51], v[42:43] op_sel:[0,1]
	s_delay_alu instid0(VALU_DEP_1) | instskip(SKIP_1) | instid1(VALU_DEP_1)
	v_pk_fma_f32 v[52:53], v[50:51], v[32:33], v[48:49] op_sel:[0,0,1] op_sel_hi:[1,1,0] neg_lo:[0,0,1] neg_hi:[0,0,1]
	v_pk_fma_f32 v[48:49], v[50:51], v[32:33], v[48:49] op_sel:[0,0,1] op_sel_hi:[1,0,0]
	v_mov_b32_e32 v53, v49
	ds_load_2addr_b64 v[48:51], v202 offset0:48 offset1:49
	v_pk_add_f32 v[192:193], v[192:193], v[68:69] neg_lo:[0,1] neg_hi:[0,1]
	v_pk_add_f32 v[188:189], v[188:189], v[52:53] neg_lo:[0,1] neg_hi:[0,1]
	s_wait_dscnt 0x0
	v_dual_mul_f32 v52, v49, v43 :: v_dual_mul_f32 v68, v49, v32
	s_delay_alu instid0(VALU_DEP_1) | instskip(NEXT) | instid1(VALU_DEP_2)
	v_pk_fma_f32 v[52:53], v[48:49], v[76:77], v[52:53] op_sel_hi:[1,1,0] neg_lo:[0,0,1] neg_hi:[0,0,1]
	v_pk_fma_f32 v[48:49], v[48:49], v[76:77], v[68:69] op_sel:[1,0,0] op_sel_hi:[0,1,0]
	s_delay_alu instid0(VALU_DEP_1) | instskip(SKIP_1) | instid1(VALU_DEP_2)
	v_mov_b32_e32 v53, v49
	v_pk_mul_f32 v[48:49], v[50:51], v[42:43] op_sel:[0,1]
	v_pk_add_f32 v[212:213], v[212:213], v[52:53] neg_lo:[0,1] neg_hi:[0,1]
	s_delay_alu instid0(VALU_DEP_2) | instskip(SKIP_1) | instid1(VALU_DEP_1)
	v_pk_fma_f32 v[52:53], v[50:51], v[32:33], v[48:49] op_sel:[0,0,1] op_sel_hi:[1,1,0] neg_lo:[0,0,1] neg_hi:[0,0,1]
	v_pk_fma_f32 v[48:49], v[50:51], v[32:33], v[48:49] op_sel:[0,0,1] op_sel_hi:[1,0,0]
	v_mov_b32_e32 v53, v49
	ds_load_2addr_b64 v[48:51], v202 offset0:50 offset1:51
	v_pk_add_f32 v[208:209], v[208:209], v[52:53] neg_lo:[0,1] neg_hi:[0,1]
	s_wait_dscnt 0x0
	v_pk_mul_f32 v[52:53], v[48:49], v[42:43] op_sel:[0,1]
	s_delay_alu instid0(VALU_DEP_1) | instskip(SKIP_1) | instid1(VALU_DEP_1)
	v_pk_fma_f32 v[68:69], v[48:49], v[32:33], v[52:53] op_sel:[0,0,1] op_sel_hi:[1,1,0] neg_lo:[0,0,1] neg_hi:[0,0,1]
	v_pk_fma_f32 v[48:49], v[48:49], v[32:33], v[52:53] op_sel:[0,0,1] op_sel_hi:[1,0,0]
	v_mov_b32_e32 v69, v49
	v_pk_mul_f32 v[48:49], v[50:51], v[42:43] op_sel:[0,1]
	s_delay_alu instid0(VALU_DEP_2) | instskip(NEXT) | instid1(VALU_DEP_2)
	v_pk_add_f32 v[210:211], v[210:211], v[68:69] neg_lo:[0,1] neg_hi:[0,1]
	v_pk_fma_f32 v[52:53], v[50:51], v[32:33], v[48:49] op_sel:[0,0,1] op_sel_hi:[1,1,0] neg_lo:[0,0,1] neg_hi:[0,0,1]
	v_pk_fma_f32 v[48:49], v[50:51], v[32:33], v[48:49] op_sel:[0,0,1] op_sel_hi:[1,0,0]
	s_delay_alu instid0(VALU_DEP_1) | instskip(SKIP_4) | instid1(VALU_DEP_1)
	v_mov_b32_e32 v53, v49
	ds_load_2addr_b64 v[48:51], v202 offset0:52 offset1:53
	v_pk_add_f32 v[206:207], v[206:207], v[52:53] neg_lo:[0,1] neg_hi:[0,1]
	s_wait_dscnt 0x0
	v_pk_mul_f32 v[52:53], v[48:49], v[42:43] op_sel:[0,1]
	v_pk_fma_f32 v[68:69], v[48:49], v[32:33], v[52:53] op_sel:[0,0,1] op_sel_hi:[1,1,0] neg_lo:[0,0,1] neg_hi:[0,0,1]
	v_pk_fma_f32 v[48:49], v[48:49], v[32:33], v[52:53] op_sel:[0,0,1] op_sel_hi:[1,0,0]
	v_dual_mul_f32 v52, v51, v43 :: v_dual_mov_b32 v48, v51
	s_delay_alu instid0(VALU_DEP_2) | instskip(NEXT) | instid1(VALU_DEP_2)
	v_dual_mov_b32 v69, v49 :: v_dual_mov_b32 v49, v50
	v_pk_fma_f32 v[52:53], v[50:51], v[76:77], v[52:53] op_sel_hi:[1,1,0] neg_lo:[0,0,1] neg_hi:[0,0,1]
	v_mul_f32_e32 v50, v51, v32
	s_delay_alu instid0(VALU_DEP_3) | instskip(NEXT) | instid1(VALU_DEP_2)
	v_pk_add_f32 v[232:233], v[232:233], v[68:69] neg_lo:[0,1] neg_hi:[0,1]
	v_pk_fma_f32 v[48:49], v[48:49], v[76:77], v[50:51] op_sel_hi:[1,1,0]
	s_delay_alu instid0(VALU_DEP_1) | instskip(SKIP_4) | instid1(VALU_DEP_1)
	v_mov_b32_e32 v53, v49
	ds_load_2addr_b64 v[48:51], v202 offset0:54 offset1:55
	v_pk_add_f32 v[226:227], v[226:227], v[52:53] neg_lo:[0,1] neg_hi:[0,1]
	s_wait_dscnt 0x0
	v_pk_mul_f32 v[52:53], v[48:49], v[42:43] op_sel:[0,1]
	v_pk_fma_f32 v[68:69], v[48:49], v[32:33], v[52:53] op_sel:[0,0,1] op_sel_hi:[1,1,0] neg_lo:[0,0,1] neg_hi:[0,0,1]
	v_pk_fma_f32 v[48:49], v[48:49], v[32:33], v[52:53] op_sel:[0,0,1] op_sel_hi:[1,0,0]
	s_delay_alu instid0(VALU_DEP_1) | instskip(SKIP_1) | instid1(VALU_DEP_1)
	v_mov_b32_e32 v69, v49
	v_pk_mul_f32 v[48:49], v[50:51], v[42:43] op_sel:[0,1]
	v_pk_fma_f32 v[52:53], v[50:51], v[32:33], v[48:49] op_sel:[0,0,1] op_sel_hi:[1,1,0] neg_lo:[0,0,1] neg_hi:[0,0,1]
	v_pk_fma_f32 v[48:49], v[50:51], v[32:33], v[48:49] op_sel:[0,0,1] op_sel_hi:[1,0,0]
	s_delay_alu instid0(VALU_DEP_1)
	v_mov_b32_e32 v53, v49
	ds_load_2addr_b64 v[48:51], v202 offset0:56 offset1:57
	v_pk_add_f32 v[230:231], v[230:231], v[68:69] neg_lo:[0,1] neg_hi:[0,1]
	v_pk_add_f32 v[224:225], v[224:225], v[52:53] neg_lo:[0,1] neg_hi:[0,1]
	s_wait_dscnt 0x0
	v_pk_mul_f32 v[52:53], v[48:49], v[42:43] op_sel:[0,1]
	s_delay_alu instid0(VALU_DEP_1) | instskip(SKIP_1) | instid1(VALU_DEP_1)
	v_pk_fma_f32 v[68:69], v[48:49], v[32:33], v[52:53] op_sel:[0,0,1] op_sel_hi:[1,1,0] neg_lo:[0,0,1] neg_hi:[0,0,1]
	v_pk_fma_f32 v[48:49], v[48:49], v[32:33], v[52:53] op_sel:[0,0,1] op_sel_hi:[1,0,0]
	v_mov_b32_e32 v69, v49
	v_pk_mul_f32 v[48:49], v[50:51], v[42:43] op_sel:[0,1]
	s_delay_alu instid0(VALU_DEP_1) | instskip(SKIP_1) | instid1(VALU_DEP_1)
	v_pk_fma_f32 v[52:53], v[50:51], v[32:33], v[48:49] op_sel:[0,0,1] op_sel_hi:[1,1,0] neg_lo:[0,0,1] neg_hi:[0,0,1]
	v_pk_fma_f32 v[48:49], v[50:51], v[32:33], v[48:49] op_sel:[0,0,1] op_sel_hi:[1,0,0]
	v_mov_b32_e32 v53, v49
	ds_load_b64 v[48:49], v202 offset:464
	v_pk_add_f32 v[228:229], v[228:229], v[68:69] neg_lo:[0,1] neg_hi:[0,1]
	v_pk_add_f32 v[234:235], v[234:235], v[52:53] neg_lo:[0,1] neg_hi:[0,1]
	s_wait_dscnt 0x0
	v_pk_mul_f32 v[42:43], v[48:49], v[42:43] op_sel:[0,1]
	s_delay_alu instid0(VALU_DEP_1) | instskip(SKIP_1) | instid1(VALU_DEP_1)
	v_pk_fma_f32 v[50:51], v[48:49], v[32:33], v[42:43] op_sel:[0,0,1] op_sel_hi:[1,1,0] neg_lo:[0,0,1] neg_hi:[0,0,1]
	v_pk_fma_f32 v[32:33], v[48:49], v[32:33], v[42:43] op_sel:[0,0,1] op_sel_hi:[1,0,0]
	v_mov_b32_e32 v51, v33
	s_delay_alu instid0(VALU_DEP_1)
	v_pk_add_f32 v[236:237], v[236:237], v[50:51] neg_lo:[0,1] neg_hi:[0,1]
.LBB117_181:
	s_or_b32 exec_lo, exec_lo, s1
	s_delay_alu instid0(SALU_CYCLE_1)
	s_mov_b32 s2, exec_lo
	s_wait_dscnt 0x0
	s_barrier_signal -1
	s_barrier_wait -1
	v_cmpx_eq_u32_e32 20, v200
	s_cbranch_execz .LBB117_188
; %bb.182:
	ds_store_b64 v201, v[98:99]
	ds_store_2addr_b64 v202, v[94:95], v[96:97] offset0:21 offset1:22
	ds_store_2addr_b64 v202, v[92:93], v[114:115] offset0:23 offset1:24
	;; [unrolled: 1-line block ×19, first 2 shown]
	ds_load_b64 v[32:33], v201
	s_wait_dscnt 0x0
	v_cmp_neq_f32_e32 vcc_lo, 0, v32
	v_cmp_neq_f32_e64 s1, 0, v33
	s_or_b32 s1, vcc_lo, s1
	s_delay_alu instid0(SALU_CYCLE_1)
	s_and_b32 exec_lo, exec_lo, s1
	s_cbranch_execz .LBB117_188
; %bb.183:
	v_cmp_ngt_f32_e64 s1, |v32|, |v33|
                                        ; implicit-def: $vgpr42_vgpr43
	s_and_saveexec_b32 s4, s1
	s_delay_alu instid0(SALU_CYCLE_1)
	s_xor_b32 s1, exec_lo, s4
	s_cbranch_execz .LBB117_185
; %bb.184:
	v_div_scale_f32 v42, null, v33, v33, v32
	v_div_scale_f32 v49, vcc_lo, v32, v33, v32
	s_delay_alu instid0(VALU_DEP_2) | instskip(SKIP_1) | instid1(TRANS32_DEP_1)
	v_rcp_f32_e32 v43, v42
	v_nop
	v_fma_f32 v48, -v42, v43, 1.0
	s_delay_alu instid0(VALU_DEP_1) | instskip(NEXT) | instid1(VALU_DEP_1)
	v_fmac_f32_e32 v43, v48, v43
	v_mul_f32_e32 v48, v49, v43
	s_delay_alu instid0(VALU_DEP_1) | instskip(NEXT) | instid1(VALU_DEP_1)
	v_fma_f32 v50, -v42, v48, v49
	v_fmac_f32_e32 v48, v50, v43
	s_delay_alu instid0(VALU_DEP_1) | instskip(NEXT) | instid1(VALU_DEP_1)
	v_fma_f32 v42, -v42, v48, v49
	v_div_fmas_f32 v42, v42, v43, v48
	s_delay_alu instid0(VALU_DEP_1) | instskip(NEXT) | instid1(VALU_DEP_1)
	v_div_fixup_f32 v42, v42, v33, v32
	v_fmac_f32_e32 v33, v32, v42
	s_delay_alu instid0(VALU_DEP_1) | instskip(SKIP_1) | instid1(VALU_DEP_2)
	v_div_scale_f32 v32, null, v33, v33, 1.0
	v_div_scale_f32 v49, vcc_lo, 1.0, v33, 1.0
	v_rcp_f32_e32 v43, v32
	v_nop
	s_delay_alu instid0(TRANS32_DEP_1) | instskip(NEXT) | instid1(VALU_DEP_1)
	v_fma_f32 v48, -v32, v43, 1.0
	v_fmac_f32_e32 v43, v48, v43
	s_delay_alu instid0(VALU_DEP_1) | instskip(NEXT) | instid1(VALU_DEP_1)
	v_mul_f32_e32 v48, v49, v43
	v_fma_f32 v50, -v32, v48, v49
	s_delay_alu instid0(VALU_DEP_1) | instskip(NEXT) | instid1(VALU_DEP_1)
	v_fmac_f32_e32 v48, v50, v43
	v_fma_f32 v32, -v32, v48, v49
	s_delay_alu instid0(VALU_DEP_1) | instskip(NEXT) | instid1(VALU_DEP_1)
	v_div_fmas_f32 v32, v32, v43, v48
	v_div_fixup_f32 v32, v32, v33, 1.0
	s_delay_alu instid0(VALU_DEP_1)
	v_mul_f32_e32 v42, v42, v32
	v_xor_b32_e32 v43, 0x80000000, v32
                                        ; implicit-def: $vgpr32_vgpr33
.LBB117_185:
	s_and_not1_saveexec_b32 s1, s1
	s_cbranch_execz .LBB117_187
; %bb.186:
	v_div_scale_f32 v42, null, v32, v32, v33
	v_div_scale_f32 v49, vcc_lo, v33, v32, v33
	s_delay_alu instid0(VALU_DEP_2) | instskip(SKIP_1) | instid1(TRANS32_DEP_1)
	v_rcp_f32_e32 v43, v42
	v_nop
	v_fma_f32 v48, -v42, v43, 1.0
	s_delay_alu instid0(VALU_DEP_1) | instskip(NEXT) | instid1(VALU_DEP_1)
	v_fmac_f32_e32 v43, v48, v43
	v_mul_f32_e32 v48, v49, v43
	s_delay_alu instid0(VALU_DEP_1) | instskip(NEXT) | instid1(VALU_DEP_1)
	v_fma_f32 v50, -v42, v48, v49
	v_fmac_f32_e32 v48, v50, v43
	s_delay_alu instid0(VALU_DEP_1) | instskip(NEXT) | instid1(VALU_DEP_1)
	v_fma_f32 v42, -v42, v48, v49
	v_div_fmas_f32 v42, v42, v43, v48
	s_delay_alu instid0(VALU_DEP_1) | instskip(NEXT) | instid1(VALU_DEP_1)
	v_div_fixup_f32 v43, v42, v32, v33
	v_fmac_f32_e32 v32, v33, v43
	s_delay_alu instid0(VALU_DEP_1) | instskip(NEXT) | instid1(VALU_DEP_1)
	v_div_scale_f32 v33, null, v32, v32, 1.0
	v_rcp_f32_e32 v42, v33
	v_nop
	s_delay_alu instid0(TRANS32_DEP_1) | instskip(NEXT) | instid1(VALU_DEP_1)
	v_fma_f32 v48, -v33, v42, 1.0
	v_fmac_f32_e32 v42, v48, v42
	v_div_scale_f32 v48, vcc_lo, 1.0, v32, 1.0
	s_delay_alu instid0(VALU_DEP_1) | instskip(NEXT) | instid1(VALU_DEP_1)
	v_mul_f32_e32 v49, v48, v42
	v_fma_f32 v50, -v33, v49, v48
	s_delay_alu instid0(VALU_DEP_1) | instskip(NEXT) | instid1(VALU_DEP_1)
	v_fmac_f32_e32 v49, v50, v42
	v_fma_f32 v33, -v33, v49, v48
	s_delay_alu instid0(VALU_DEP_1) | instskip(NEXT) | instid1(VALU_DEP_1)
	v_div_fmas_f32 v33, v33, v42, v49
	v_div_fixup_f32 v42, v33, v32, 1.0
	s_delay_alu instid0(VALU_DEP_1)
	v_mul_f32_e64 v43, v43, -v42
.LBB117_187:
	s_or_b32 exec_lo, exec_lo, s1
	ds_store_b64 v201, v[42:43]
.LBB117_188:
	s_or_b32 exec_lo, exec_lo, s2
	s_wait_dscnt 0x0
	s_barrier_signal -1
	s_barrier_wait -1
	ds_load_b64 v[32:33], v201
	s_mov_b32 s1, exec_lo
	v_cmpx_lt_u32_e32 20, v200
	s_cbranch_execz .LBB117_190
; %bb.189:
	ds_load_2addr_b64 v[50:53], v202 offset0:21 offset1:22
	s_wait_dscnt 0x1
	v_pk_mul_f32 v[48:49], v[32:33], v[98:99] op_sel:[1,1] op_sel_hi:[0,1]
	s_delay_alu instid0(VALU_DEP_1) | instskip(SKIP_1) | instid1(VALU_DEP_1)
	v_pk_fma_f32 v[42:43], v[32:33], v[98:99], v[48:49] op_sel_hi:[1,0,1] neg_lo:[0,0,1] neg_hi:[0,0,1]
	v_pk_fma_f32 v[48:49], v[32:33], v[98:99], v[48:49] op_sel_hi:[1,0,1]
	v_dual_mov_b32 v98, v42 :: v_dual_mov_b32 v99, v49
	s_wait_dscnt 0x0
	s_delay_alu instid0(VALU_DEP_2) | instskip(NEXT) | instid1(VALU_DEP_1)
	v_pk_mul_f32 v[68:69], v[50:51], v[48:49] op_sel:[0,1]
	v_pk_fma_f32 v[70:71], v[50:51], v[42:43], v[68:69] op_sel:[0,0,1] op_sel_hi:[1,1,0] neg_lo:[0,0,1] neg_hi:[0,0,1]
	v_pk_fma_f32 v[50:51], v[50:51], v[42:43], v[68:69] op_sel:[0,0,1] op_sel_hi:[1,0,0]
	s_delay_alu instid0(VALU_DEP_1) | instskip(SKIP_1) | instid1(VALU_DEP_1)
	v_mov_b32_e32 v71, v51
	v_pk_mul_f32 v[50:51], v[52:53], v[48:49] op_sel:[0,1]
	v_pk_fma_f32 v[68:69], v[52:53], v[42:43], v[50:51] op_sel:[0,0,1] op_sel_hi:[1,1,0] neg_lo:[0,0,1] neg_hi:[0,0,1]
	v_pk_fma_f32 v[50:51], v[52:53], v[42:43], v[50:51] op_sel:[0,0,1] op_sel_hi:[1,0,0]
	s_delay_alu instid0(VALU_DEP_1)
	v_mov_b32_e32 v69, v51
	ds_load_2addr_b64 v[50:53], v202 offset0:23 offset1:24
	v_pk_add_f32 v[94:95], v[94:95], v[70:71] neg_lo:[0,1] neg_hi:[0,1]
	v_pk_add_f32 v[96:97], v[96:97], v[68:69] neg_lo:[0,1] neg_hi:[0,1]
	s_wait_dscnt 0x0
	v_pk_mul_f32 v[68:69], v[50:51], v[48:49] op_sel:[0,1]
	s_delay_alu instid0(VALU_DEP_1) | instskip(SKIP_2) | instid1(VALU_DEP_2)
	v_pk_fma_f32 v[70:71], v[50:51], v[42:43], v[68:69] op_sel:[0,0,1] op_sel_hi:[1,1,0] neg_lo:[0,0,1] neg_hi:[0,0,1]
	v_pk_fma_f32 v[50:51], v[50:51], v[42:43], v[68:69] op_sel:[0,0,1] op_sel_hi:[1,0,0]
	v_dual_mul_f32 v68, v53, v49 :: v_dual_mov_b32 v50, v53
	v_dual_mov_b32 v71, v51 :: v_dual_mov_b32 v51, v52
	s_delay_alu instid0(VALU_DEP_2) | instskip(SKIP_1) | instid1(VALU_DEP_3)
	v_pk_fma_f32 v[68:69], v[52:53], v[98:99], v[68:69] op_sel_hi:[1,1,0] neg_lo:[0,0,1] neg_hi:[0,0,1]
	v_mul_f32_e32 v52, v53, v42
	v_pk_add_f32 v[92:93], v[92:93], v[70:71] neg_lo:[0,1] neg_hi:[0,1]
	s_delay_alu instid0(VALU_DEP_2) | instskip(NEXT) | instid1(VALU_DEP_1)
	v_pk_fma_f32 v[50:51], v[50:51], v[98:99], v[52:53] op_sel_hi:[1,1,0]
	v_mov_b32_e32 v69, v51
	ds_load_2addr_b64 v[50:53], v202 offset0:25 offset1:26
	v_pk_add_f32 v[114:115], v[114:115], v[68:69] neg_lo:[0,1] neg_hi:[0,1]
	s_wait_dscnt 0x0
	v_pk_mul_f32 v[68:69], v[50:51], v[48:49] op_sel:[0,1]
	s_delay_alu instid0(VALU_DEP_1) | instskip(SKIP_1) | instid1(VALU_DEP_1)
	v_pk_fma_f32 v[70:71], v[50:51], v[42:43], v[68:69] op_sel:[0,0,1] op_sel_hi:[1,1,0] neg_lo:[0,0,1] neg_hi:[0,0,1]
	v_pk_fma_f32 v[50:51], v[50:51], v[42:43], v[68:69] op_sel:[0,0,1] op_sel_hi:[1,0,0]
	v_mov_b32_e32 v71, v51
	v_pk_mul_f32 v[50:51], v[52:53], v[48:49] op_sel:[0,1]
	s_delay_alu instid0(VALU_DEP_1) | instskip(SKIP_1) | instid1(VALU_DEP_1)
	v_pk_fma_f32 v[68:69], v[52:53], v[42:43], v[50:51] op_sel:[0,0,1] op_sel_hi:[1,1,0] neg_lo:[0,0,1] neg_hi:[0,0,1]
	v_pk_fma_f32 v[50:51], v[52:53], v[42:43], v[50:51] op_sel:[0,0,1] op_sel_hi:[1,0,0]
	v_mov_b32_e32 v69, v51
	ds_load_2addr_b64 v[50:53], v202 offset0:27 offset1:28
	v_pk_add_f32 v[110:111], v[110:111], v[70:71] neg_lo:[0,1] neg_hi:[0,1]
	v_pk_add_f32 v[112:113], v[112:113], v[68:69] neg_lo:[0,1] neg_hi:[0,1]
	s_wait_dscnt 0x0
	v_pk_mul_f32 v[68:69], v[50:51], v[48:49] op_sel:[0,1]
	s_delay_alu instid0(VALU_DEP_1) | instskip(SKIP_1) | instid1(VALU_DEP_1)
	v_pk_fma_f32 v[70:71], v[50:51], v[42:43], v[68:69] op_sel:[0,0,1] op_sel_hi:[1,1,0] neg_lo:[0,0,1] neg_hi:[0,0,1]
	v_pk_fma_f32 v[50:51], v[50:51], v[42:43], v[68:69] op_sel:[0,0,1] op_sel_hi:[1,0,0]
	v_mov_b32_e32 v71, v51
	v_pk_mul_f32 v[50:51], v[52:53], v[48:49] op_sel:[0,1]
	s_delay_alu instid0(VALU_DEP_1) | instskip(SKIP_1) | instid1(VALU_DEP_1)
	v_pk_fma_f32 v[68:69], v[52:53], v[42:43], v[50:51] op_sel:[0,0,1] op_sel_hi:[1,1,0] neg_lo:[0,0,1] neg_hi:[0,0,1]
	v_pk_fma_f32 v[50:51], v[52:53], v[42:43], v[50:51] op_sel:[0,0,1] op_sel_hi:[1,0,0]
	v_mov_b32_e32 v69, v51
	ds_load_2addr_b64 v[50:53], v202 offset0:29 offset1:30
	v_pk_add_f32 v[108:109], v[108:109], v[70:71] neg_lo:[0,1] neg_hi:[0,1]
	v_pk_add_f32 v[130:131], v[130:131], v[68:69] neg_lo:[0,1] neg_hi:[0,1]
	s_wait_dscnt 0x0
	v_dual_mul_f32 v68, v51, v49 :: v_dual_mul_f32 v70, v51, v42
	s_delay_alu instid0(VALU_DEP_1) | instskip(NEXT) | instid1(VALU_DEP_2)
	v_pk_fma_f32 v[68:69], v[50:51], v[98:99], v[68:69] op_sel_hi:[1,1,0] neg_lo:[0,0,1] neg_hi:[0,0,1]
	v_pk_fma_f32 v[50:51], v[50:51], v[98:99], v[70:71] op_sel:[1,0,0] op_sel_hi:[0,1,0]
	s_delay_alu instid0(VALU_DEP_1) | instskip(SKIP_1) | instid1(VALU_DEP_2)
	v_mov_b32_e32 v69, v51
	v_pk_mul_f32 v[50:51], v[52:53], v[48:49] op_sel:[0,1]
	v_pk_add_f32 v[126:127], v[126:127], v[68:69] neg_lo:[0,1] neg_hi:[0,1]
	s_delay_alu instid0(VALU_DEP_2) | instskip(SKIP_1) | instid1(VALU_DEP_1)
	v_pk_fma_f32 v[68:69], v[52:53], v[42:43], v[50:51] op_sel:[0,0,1] op_sel_hi:[1,1,0] neg_lo:[0,0,1] neg_hi:[0,0,1]
	v_pk_fma_f32 v[50:51], v[52:53], v[42:43], v[50:51] op_sel:[0,0,1] op_sel_hi:[1,0,0]
	v_mov_b32_e32 v69, v51
	ds_load_2addr_b64 v[50:53], v202 offset0:31 offset1:32
	v_pk_add_f32 v[128:129], v[128:129], v[68:69] neg_lo:[0,1] neg_hi:[0,1]
	s_wait_dscnt 0x0
	v_pk_mul_f32 v[68:69], v[50:51], v[48:49] op_sel:[0,1]
	s_delay_alu instid0(VALU_DEP_1) | instskip(SKIP_1) | instid1(VALU_DEP_1)
	v_pk_fma_f32 v[70:71], v[50:51], v[42:43], v[68:69] op_sel:[0,0,1] op_sel_hi:[1,1,0] neg_lo:[0,0,1] neg_hi:[0,0,1]
	v_pk_fma_f32 v[50:51], v[50:51], v[42:43], v[68:69] op_sel:[0,0,1] op_sel_hi:[1,0,0]
	v_mov_b32_e32 v71, v51
	v_pk_mul_f32 v[50:51], v[52:53], v[48:49] op_sel:[0,1]
	s_delay_alu instid0(VALU_DEP_2) | instskip(NEXT) | instid1(VALU_DEP_2)
	v_pk_add_f32 v[124:125], v[124:125], v[70:71] neg_lo:[0,1] neg_hi:[0,1]
	v_pk_fma_f32 v[68:69], v[52:53], v[42:43], v[50:51] op_sel:[0,0,1] op_sel_hi:[1,1,0] neg_lo:[0,0,1] neg_hi:[0,0,1]
	v_pk_fma_f32 v[50:51], v[52:53], v[42:43], v[50:51] op_sel:[0,0,1] op_sel_hi:[1,0,0]
	s_delay_alu instid0(VALU_DEP_1) | instskip(SKIP_4) | instid1(VALU_DEP_1)
	v_mov_b32_e32 v69, v51
	ds_load_2addr_b64 v[50:53], v202 offset0:33 offset1:34
	v_pk_add_f32 v[146:147], v[146:147], v[68:69] neg_lo:[0,1] neg_hi:[0,1]
	s_wait_dscnt 0x0
	v_pk_mul_f32 v[68:69], v[50:51], v[48:49] op_sel:[0,1]
	v_pk_fma_f32 v[70:71], v[50:51], v[42:43], v[68:69] op_sel:[0,0,1] op_sel_hi:[1,1,0] neg_lo:[0,0,1] neg_hi:[0,0,1]
	v_pk_fma_f32 v[50:51], v[50:51], v[42:43], v[68:69] op_sel:[0,0,1] op_sel_hi:[1,0,0]
	v_dual_mul_f32 v68, v53, v49 :: v_dual_mov_b32 v50, v53
	s_delay_alu instid0(VALU_DEP_2) | instskip(NEXT) | instid1(VALU_DEP_2)
	v_dual_mov_b32 v71, v51 :: v_dual_mov_b32 v51, v52
	v_pk_fma_f32 v[68:69], v[52:53], v[98:99], v[68:69] op_sel_hi:[1,1,0] neg_lo:[0,0,1] neg_hi:[0,0,1]
	v_mul_f32_e32 v52, v53, v42
	s_delay_alu instid0(VALU_DEP_3) | instskip(NEXT) | instid1(VALU_DEP_2)
	v_pk_add_f32 v[142:143], v[142:143], v[70:71] neg_lo:[0,1] neg_hi:[0,1]
	v_pk_fma_f32 v[50:51], v[50:51], v[98:99], v[52:53] op_sel_hi:[1,1,0]
	s_delay_alu instid0(VALU_DEP_1) | instskip(SKIP_4) | instid1(VALU_DEP_1)
	v_mov_b32_e32 v69, v51
	ds_load_2addr_b64 v[50:53], v202 offset0:35 offset1:36
	v_pk_add_f32 v[144:145], v[144:145], v[68:69] neg_lo:[0,1] neg_hi:[0,1]
	s_wait_dscnt 0x0
	v_pk_mul_f32 v[68:69], v[50:51], v[48:49] op_sel:[0,1]
	v_pk_fma_f32 v[70:71], v[50:51], v[42:43], v[68:69] op_sel:[0,0,1] op_sel_hi:[1,1,0] neg_lo:[0,0,1] neg_hi:[0,0,1]
	v_pk_fma_f32 v[50:51], v[50:51], v[42:43], v[68:69] op_sel:[0,0,1] op_sel_hi:[1,0,0]
	s_delay_alu instid0(VALU_DEP_1) | instskip(SKIP_1) | instid1(VALU_DEP_1)
	v_mov_b32_e32 v71, v51
	v_pk_mul_f32 v[50:51], v[52:53], v[48:49] op_sel:[0,1]
	v_pk_fma_f32 v[68:69], v[52:53], v[42:43], v[50:51] op_sel:[0,0,1] op_sel_hi:[1,1,0] neg_lo:[0,0,1] neg_hi:[0,0,1]
	v_pk_fma_f32 v[50:51], v[52:53], v[42:43], v[50:51] op_sel:[0,0,1] op_sel_hi:[1,0,0]
	s_delay_alu instid0(VALU_DEP_1)
	v_mov_b32_e32 v69, v51
	ds_load_2addr_b64 v[50:53], v202 offset0:37 offset1:38
	v_pk_add_f32 v[140:141], v[140:141], v[70:71] neg_lo:[0,1] neg_hi:[0,1]
	v_pk_add_f32 v[162:163], v[162:163], v[68:69] neg_lo:[0,1] neg_hi:[0,1]
	s_wait_dscnt 0x0
	v_pk_mul_f32 v[68:69], v[50:51], v[48:49] op_sel:[0,1]
	s_delay_alu instid0(VALU_DEP_1) | instskip(SKIP_1) | instid1(VALU_DEP_1)
	v_pk_fma_f32 v[70:71], v[50:51], v[42:43], v[68:69] op_sel:[0,0,1] op_sel_hi:[1,1,0] neg_lo:[0,0,1] neg_hi:[0,0,1]
	v_pk_fma_f32 v[50:51], v[50:51], v[42:43], v[68:69] op_sel:[0,0,1] op_sel_hi:[1,0,0]
	v_mov_b32_e32 v71, v51
	v_pk_mul_f32 v[50:51], v[52:53], v[48:49] op_sel:[0,1]
	s_delay_alu instid0(VALU_DEP_1) | instskip(SKIP_1) | instid1(VALU_DEP_1)
	v_pk_fma_f32 v[68:69], v[52:53], v[42:43], v[50:51] op_sel:[0,0,1] op_sel_hi:[1,1,0] neg_lo:[0,0,1] neg_hi:[0,0,1]
	v_pk_fma_f32 v[50:51], v[52:53], v[42:43], v[50:51] op_sel:[0,0,1] op_sel_hi:[1,0,0]
	v_mov_b32_e32 v69, v51
	ds_load_2addr_b64 v[50:53], v202 offset0:39 offset1:40
	v_pk_add_f32 v[158:159], v[158:159], v[70:71] neg_lo:[0,1] neg_hi:[0,1]
	v_pk_add_f32 v[160:161], v[160:161], v[68:69] neg_lo:[0,1] neg_hi:[0,1]
	s_wait_dscnt 0x0
	v_dual_mul_f32 v68, v51, v49 :: v_dual_mul_f32 v70, v51, v42
	s_delay_alu instid0(VALU_DEP_1) | instskip(NEXT) | instid1(VALU_DEP_2)
	v_pk_fma_f32 v[68:69], v[50:51], v[98:99], v[68:69] op_sel_hi:[1,1,0] neg_lo:[0,0,1] neg_hi:[0,0,1]
	v_pk_fma_f32 v[50:51], v[50:51], v[98:99], v[70:71] op_sel:[1,0,0] op_sel_hi:[0,1,0]
	s_delay_alu instid0(VALU_DEP_1) | instskip(SKIP_1) | instid1(VALU_DEP_2)
	v_mov_b32_e32 v69, v51
	v_pk_mul_f32 v[50:51], v[52:53], v[48:49] op_sel:[0,1]
	v_pk_add_f32 v[156:157], v[156:157], v[68:69] neg_lo:[0,1] neg_hi:[0,1]
	s_delay_alu instid0(VALU_DEP_2) | instskip(SKIP_1) | instid1(VALU_DEP_1)
	v_pk_fma_f32 v[68:69], v[52:53], v[42:43], v[50:51] op_sel:[0,0,1] op_sel_hi:[1,1,0] neg_lo:[0,0,1] neg_hi:[0,0,1]
	v_pk_fma_f32 v[50:51], v[52:53], v[42:43], v[50:51] op_sel:[0,0,1] op_sel_hi:[1,0,0]
	v_mov_b32_e32 v69, v51
	ds_load_2addr_b64 v[50:53], v202 offset0:41 offset1:42
	v_pk_add_f32 v[178:179], v[178:179], v[68:69] neg_lo:[0,1] neg_hi:[0,1]
	s_wait_dscnt 0x0
	v_pk_mul_f32 v[68:69], v[50:51], v[48:49] op_sel:[0,1]
	s_delay_alu instid0(VALU_DEP_1) | instskip(SKIP_1) | instid1(VALU_DEP_1)
	v_pk_fma_f32 v[70:71], v[50:51], v[42:43], v[68:69] op_sel:[0,0,1] op_sel_hi:[1,1,0] neg_lo:[0,0,1] neg_hi:[0,0,1]
	v_pk_fma_f32 v[50:51], v[50:51], v[42:43], v[68:69] op_sel:[0,0,1] op_sel_hi:[1,0,0]
	v_mov_b32_e32 v71, v51
	v_pk_mul_f32 v[50:51], v[52:53], v[48:49] op_sel:[0,1]
	s_delay_alu instid0(VALU_DEP_2) | instskip(NEXT) | instid1(VALU_DEP_2)
	v_pk_add_f32 v[174:175], v[174:175], v[70:71] neg_lo:[0,1] neg_hi:[0,1]
	v_pk_fma_f32 v[68:69], v[52:53], v[42:43], v[50:51] op_sel:[0,0,1] op_sel_hi:[1,1,0] neg_lo:[0,0,1] neg_hi:[0,0,1]
	v_pk_fma_f32 v[50:51], v[52:53], v[42:43], v[50:51] op_sel:[0,0,1] op_sel_hi:[1,0,0]
	s_delay_alu instid0(VALU_DEP_1) | instskip(SKIP_4) | instid1(VALU_DEP_1)
	v_mov_b32_e32 v69, v51
	ds_load_2addr_b64 v[50:53], v202 offset0:43 offset1:44
	v_pk_add_f32 v[176:177], v[176:177], v[68:69] neg_lo:[0,1] neg_hi:[0,1]
	s_wait_dscnt 0x0
	v_pk_mul_f32 v[68:69], v[50:51], v[48:49] op_sel:[0,1]
	v_pk_fma_f32 v[70:71], v[50:51], v[42:43], v[68:69] op_sel:[0,0,1] op_sel_hi:[1,1,0] neg_lo:[0,0,1] neg_hi:[0,0,1]
	v_pk_fma_f32 v[50:51], v[50:51], v[42:43], v[68:69] op_sel:[0,0,1] op_sel_hi:[1,0,0]
	v_dual_mul_f32 v68, v53, v49 :: v_dual_mov_b32 v50, v53
	s_delay_alu instid0(VALU_DEP_2) | instskip(NEXT) | instid1(VALU_DEP_2)
	v_dual_mov_b32 v71, v51 :: v_dual_mov_b32 v51, v52
	v_pk_fma_f32 v[68:69], v[52:53], v[98:99], v[68:69] op_sel_hi:[1,1,0] neg_lo:[0,0,1] neg_hi:[0,0,1]
	v_mul_f32_e32 v52, v53, v42
	s_delay_alu instid0(VALU_DEP_3) | instskip(NEXT) | instid1(VALU_DEP_2)
	v_pk_add_f32 v[172:173], v[172:173], v[70:71] neg_lo:[0,1] neg_hi:[0,1]
	v_pk_fma_f32 v[50:51], v[50:51], v[98:99], v[52:53] op_sel_hi:[1,1,0]
	s_delay_alu instid0(VALU_DEP_1) | instskip(SKIP_4) | instid1(VALU_DEP_1)
	v_mov_b32_e32 v69, v51
	ds_load_2addr_b64 v[50:53], v202 offset0:45 offset1:46
	v_pk_add_f32 v[194:195], v[194:195], v[68:69] neg_lo:[0,1] neg_hi:[0,1]
	s_wait_dscnt 0x0
	v_pk_mul_f32 v[68:69], v[50:51], v[48:49] op_sel:[0,1]
	v_pk_fma_f32 v[70:71], v[50:51], v[42:43], v[68:69] op_sel:[0,0,1] op_sel_hi:[1,1,0] neg_lo:[0,0,1] neg_hi:[0,0,1]
	v_pk_fma_f32 v[50:51], v[50:51], v[42:43], v[68:69] op_sel:[0,0,1] op_sel_hi:[1,0,0]
	s_delay_alu instid0(VALU_DEP_1) | instskip(SKIP_1) | instid1(VALU_DEP_1)
	v_mov_b32_e32 v71, v51
	v_pk_mul_f32 v[50:51], v[52:53], v[48:49] op_sel:[0,1]
	v_pk_fma_f32 v[68:69], v[52:53], v[42:43], v[50:51] op_sel:[0,0,1] op_sel_hi:[1,1,0] neg_lo:[0,0,1] neg_hi:[0,0,1]
	v_pk_fma_f32 v[50:51], v[52:53], v[42:43], v[50:51] op_sel:[0,0,1] op_sel_hi:[1,0,0]
	s_delay_alu instid0(VALU_DEP_1)
	v_mov_b32_e32 v69, v51
	ds_load_2addr_b64 v[50:53], v202 offset0:47 offset1:48
	v_pk_add_f32 v[190:191], v[190:191], v[70:71] neg_lo:[0,1] neg_hi:[0,1]
	v_pk_add_f32 v[192:193], v[192:193], v[68:69] neg_lo:[0,1] neg_hi:[0,1]
	s_wait_dscnt 0x0
	v_pk_mul_f32 v[68:69], v[50:51], v[48:49] op_sel:[0,1]
	s_delay_alu instid0(VALU_DEP_1) | instskip(SKIP_1) | instid1(VALU_DEP_1)
	v_pk_fma_f32 v[70:71], v[50:51], v[42:43], v[68:69] op_sel:[0,0,1] op_sel_hi:[1,1,0] neg_lo:[0,0,1] neg_hi:[0,0,1]
	v_pk_fma_f32 v[50:51], v[50:51], v[42:43], v[68:69] op_sel:[0,0,1] op_sel_hi:[1,0,0]
	v_mov_b32_e32 v71, v51
	v_pk_mul_f32 v[50:51], v[52:53], v[48:49] op_sel:[0,1]
	s_delay_alu instid0(VALU_DEP_1) | instskip(SKIP_1) | instid1(VALU_DEP_1)
	v_pk_fma_f32 v[68:69], v[52:53], v[42:43], v[50:51] op_sel:[0,0,1] op_sel_hi:[1,1,0] neg_lo:[0,0,1] neg_hi:[0,0,1]
	v_pk_fma_f32 v[50:51], v[52:53], v[42:43], v[50:51] op_sel:[0,0,1] op_sel_hi:[1,0,0]
	v_mov_b32_e32 v69, v51
	ds_load_2addr_b64 v[50:53], v202 offset0:49 offset1:50
	v_pk_add_f32 v[188:189], v[188:189], v[70:71] neg_lo:[0,1] neg_hi:[0,1]
	v_pk_add_f32 v[212:213], v[212:213], v[68:69] neg_lo:[0,1] neg_hi:[0,1]
	s_wait_dscnt 0x0
	v_dual_mul_f32 v68, v51, v49 :: v_dual_mul_f32 v70, v51, v42
	s_delay_alu instid0(VALU_DEP_1) | instskip(NEXT) | instid1(VALU_DEP_2)
	v_pk_fma_f32 v[68:69], v[50:51], v[98:99], v[68:69] op_sel_hi:[1,1,0] neg_lo:[0,0,1] neg_hi:[0,0,1]
	v_pk_fma_f32 v[50:51], v[50:51], v[98:99], v[70:71] op_sel:[1,0,0] op_sel_hi:[0,1,0]
	s_delay_alu instid0(VALU_DEP_1) | instskip(SKIP_1) | instid1(VALU_DEP_2)
	v_mov_b32_e32 v69, v51
	v_pk_mul_f32 v[50:51], v[52:53], v[48:49] op_sel:[0,1]
	v_pk_add_f32 v[208:209], v[208:209], v[68:69] neg_lo:[0,1] neg_hi:[0,1]
	s_delay_alu instid0(VALU_DEP_2) | instskip(SKIP_1) | instid1(VALU_DEP_1)
	v_pk_fma_f32 v[68:69], v[52:53], v[42:43], v[50:51] op_sel:[0,0,1] op_sel_hi:[1,1,0] neg_lo:[0,0,1] neg_hi:[0,0,1]
	v_pk_fma_f32 v[50:51], v[52:53], v[42:43], v[50:51] op_sel:[0,0,1] op_sel_hi:[1,0,0]
	v_mov_b32_e32 v69, v51
	ds_load_2addr_b64 v[50:53], v202 offset0:51 offset1:52
	v_pk_add_f32 v[210:211], v[210:211], v[68:69] neg_lo:[0,1] neg_hi:[0,1]
	s_wait_dscnt 0x0
	v_pk_mul_f32 v[68:69], v[50:51], v[48:49] op_sel:[0,1]
	s_delay_alu instid0(VALU_DEP_1) | instskip(SKIP_1) | instid1(VALU_DEP_1)
	v_pk_fma_f32 v[70:71], v[50:51], v[42:43], v[68:69] op_sel:[0,0,1] op_sel_hi:[1,1,0] neg_lo:[0,0,1] neg_hi:[0,0,1]
	v_pk_fma_f32 v[50:51], v[50:51], v[42:43], v[68:69] op_sel:[0,0,1] op_sel_hi:[1,0,0]
	v_mov_b32_e32 v71, v51
	v_pk_mul_f32 v[50:51], v[52:53], v[48:49] op_sel:[0,1]
	s_delay_alu instid0(VALU_DEP_2) | instskip(NEXT) | instid1(VALU_DEP_2)
	v_pk_add_f32 v[206:207], v[206:207], v[70:71] neg_lo:[0,1] neg_hi:[0,1]
	v_pk_fma_f32 v[68:69], v[52:53], v[42:43], v[50:51] op_sel:[0,0,1] op_sel_hi:[1,1,0] neg_lo:[0,0,1] neg_hi:[0,0,1]
	v_pk_fma_f32 v[50:51], v[52:53], v[42:43], v[50:51] op_sel:[0,0,1] op_sel_hi:[1,0,0]
	s_delay_alu instid0(VALU_DEP_1) | instskip(SKIP_4) | instid1(VALU_DEP_1)
	v_mov_b32_e32 v69, v51
	ds_load_2addr_b64 v[50:53], v202 offset0:53 offset1:54
	v_pk_add_f32 v[232:233], v[232:233], v[68:69] neg_lo:[0,1] neg_hi:[0,1]
	s_wait_dscnt 0x0
	v_pk_mul_f32 v[68:69], v[50:51], v[48:49] op_sel:[0,1]
	v_pk_fma_f32 v[70:71], v[50:51], v[42:43], v[68:69] op_sel:[0,0,1] op_sel_hi:[1,1,0] neg_lo:[0,0,1] neg_hi:[0,0,1]
	v_pk_fma_f32 v[50:51], v[50:51], v[42:43], v[68:69] op_sel:[0,0,1] op_sel_hi:[1,0,0]
	v_dual_mul_f32 v68, v53, v49 :: v_dual_mov_b32 v50, v53
	s_delay_alu instid0(VALU_DEP_2) | instskip(NEXT) | instid1(VALU_DEP_2)
	v_dual_mov_b32 v71, v51 :: v_dual_mov_b32 v51, v52
	v_pk_fma_f32 v[68:69], v[52:53], v[98:99], v[68:69] op_sel_hi:[1,1,0] neg_lo:[0,0,1] neg_hi:[0,0,1]
	v_mul_f32_e32 v52, v53, v42
	s_delay_alu instid0(VALU_DEP_3) | instskip(NEXT) | instid1(VALU_DEP_2)
	v_pk_add_f32 v[226:227], v[226:227], v[70:71] neg_lo:[0,1] neg_hi:[0,1]
	v_pk_fma_f32 v[50:51], v[50:51], v[98:99], v[52:53] op_sel_hi:[1,1,0]
	s_delay_alu instid0(VALU_DEP_1) | instskip(SKIP_4) | instid1(VALU_DEP_1)
	v_mov_b32_e32 v69, v51
	ds_load_2addr_b64 v[50:53], v202 offset0:55 offset1:56
	v_pk_add_f32 v[230:231], v[230:231], v[68:69] neg_lo:[0,1] neg_hi:[0,1]
	s_wait_dscnt 0x0
	v_pk_mul_f32 v[68:69], v[50:51], v[48:49] op_sel:[0,1]
	v_pk_fma_f32 v[70:71], v[50:51], v[42:43], v[68:69] op_sel:[0,0,1] op_sel_hi:[1,1,0] neg_lo:[0,0,1] neg_hi:[0,0,1]
	v_pk_fma_f32 v[50:51], v[50:51], v[42:43], v[68:69] op_sel:[0,0,1] op_sel_hi:[1,0,0]
	s_delay_alu instid0(VALU_DEP_1) | instskip(SKIP_1) | instid1(VALU_DEP_1)
	v_mov_b32_e32 v71, v51
	v_pk_mul_f32 v[50:51], v[52:53], v[48:49] op_sel:[0,1]
	v_pk_fma_f32 v[68:69], v[52:53], v[42:43], v[50:51] op_sel:[0,0,1] op_sel_hi:[1,1,0] neg_lo:[0,0,1] neg_hi:[0,0,1]
	v_pk_fma_f32 v[50:51], v[52:53], v[42:43], v[50:51] op_sel:[0,0,1] op_sel_hi:[1,0,0]
	s_delay_alu instid0(VALU_DEP_1)
	v_mov_b32_e32 v69, v51
	ds_load_2addr_b64 v[50:53], v202 offset0:57 offset1:58
	v_pk_add_f32 v[224:225], v[224:225], v[70:71] neg_lo:[0,1] neg_hi:[0,1]
	v_pk_add_f32 v[228:229], v[228:229], v[68:69] neg_lo:[0,1] neg_hi:[0,1]
	s_wait_dscnt 0x0
	v_pk_mul_f32 v[68:69], v[50:51], v[48:49] op_sel:[0,1]
	v_pk_mul_f32 v[48:49], v[52:53], v[48:49] op_sel:[0,1]
	s_delay_alu instid0(VALU_DEP_2) | instskip(SKIP_1) | instid1(VALU_DEP_1)
	v_pk_fma_f32 v[70:71], v[50:51], v[42:43], v[68:69] op_sel:[0,0,1] op_sel_hi:[1,1,0] neg_lo:[0,0,1] neg_hi:[0,0,1]
	v_pk_fma_f32 v[50:51], v[50:51], v[42:43], v[68:69] op_sel:[0,0,1] op_sel_hi:[1,0,0]
	v_mov_b32_e32 v71, v51
	s_delay_alu instid0(VALU_DEP_4) | instskip(SKIP_1) | instid1(VALU_DEP_1)
	v_pk_fma_f32 v[50:51], v[52:53], v[42:43], v[48:49] op_sel:[0,0,1] op_sel_hi:[1,1,0] neg_lo:[0,0,1] neg_hi:[0,0,1]
	v_pk_fma_f32 v[42:43], v[52:53], v[42:43], v[48:49] op_sel:[0,0,1] op_sel_hi:[1,0,0]
	v_mov_b32_e32 v51, v43
	s_delay_alu instid0(VALU_DEP_4) | instskip(NEXT) | instid1(VALU_DEP_2)
	v_pk_add_f32 v[234:235], v[234:235], v[70:71] neg_lo:[0,1] neg_hi:[0,1]
	v_pk_add_f32 v[236:237], v[236:237], v[50:51] neg_lo:[0,1] neg_hi:[0,1]
.LBB117_190:
	s_or_b32 exec_lo, exec_lo, s1
	s_delay_alu instid0(SALU_CYCLE_1)
	s_mov_b32 s2, exec_lo
	s_wait_dscnt 0x0
	s_barrier_signal -1
	s_barrier_wait -1
	v_cmpx_eq_u32_e32 21, v200
	s_cbranch_execz .LBB117_197
; %bb.191:
	v_dual_mov_b32 v42, v96 :: v_dual_mov_b32 v43, v97
	v_dual_mov_b32 v48, v92 :: v_dual_mov_b32 v49, v93
	ds_store_b64 v201, v[94:95]
	ds_store_2addr_b64 v202, v[42:43], v[48:49] offset0:22 offset1:23
	v_dual_mov_b32 v42, v114 :: v_dual_mov_b32 v43, v115
	v_dual_mov_b32 v48, v110 :: v_dual_mov_b32 v49, v111
	ds_store_2addr_b64 v202, v[42:43], v[48:49] offset0:24 offset1:25
	v_dual_mov_b32 v42, v112 :: v_dual_mov_b32 v43, v113
	v_dual_mov_b32 v48, v108 :: v_dual_mov_b32 v49, v109
	;; [unrolled: 3-line block ×17, first 2 shown]
	ds_store_2addr_b64 v202, v[42:43], v[48:49] offset0:56 offset1:57
	ds_store_b64 v202, v[236:237] offset:464
	ds_load_b64 v[42:43], v201
	s_wait_dscnt 0x0
	v_cmp_neq_f32_e32 vcc_lo, 0, v42
	v_cmp_neq_f32_e64 s1, 0, v43
	s_or_b32 s1, vcc_lo, s1
	s_delay_alu instid0(SALU_CYCLE_1)
	s_and_b32 exec_lo, exec_lo, s1
	s_cbranch_execz .LBB117_197
; %bb.192:
	v_cmp_ngt_f32_e64 s1, |v42|, |v43|
                                        ; implicit-def: $vgpr48_vgpr49
	s_and_saveexec_b32 s4, s1
	s_delay_alu instid0(SALU_CYCLE_1)
	s_xor_b32 s1, exec_lo, s4
	s_cbranch_execz .LBB117_194
; %bb.193:
	v_div_scale_f32 v48, null, v43, v43, v42
	v_div_scale_f32 v51, vcc_lo, v42, v43, v42
	s_delay_alu instid0(VALU_DEP_2) | instskip(SKIP_1) | instid1(TRANS32_DEP_1)
	v_rcp_f32_e32 v49, v48
	v_nop
	v_fma_f32 v50, -v48, v49, 1.0
	s_delay_alu instid0(VALU_DEP_1) | instskip(NEXT) | instid1(VALU_DEP_1)
	v_fmac_f32_e32 v49, v50, v49
	v_mul_f32_e32 v50, v51, v49
	s_delay_alu instid0(VALU_DEP_1) | instskip(NEXT) | instid1(VALU_DEP_1)
	v_fma_f32 v52, -v48, v50, v51
	v_fmac_f32_e32 v50, v52, v49
	s_delay_alu instid0(VALU_DEP_1) | instskip(NEXT) | instid1(VALU_DEP_1)
	v_fma_f32 v48, -v48, v50, v51
	v_div_fmas_f32 v48, v48, v49, v50
	s_delay_alu instid0(VALU_DEP_1) | instskip(NEXT) | instid1(VALU_DEP_1)
	v_div_fixup_f32 v48, v48, v43, v42
	v_fmac_f32_e32 v43, v42, v48
	s_delay_alu instid0(VALU_DEP_1) | instskip(SKIP_1) | instid1(VALU_DEP_2)
	v_div_scale_f32 v42, null, v43, v43, 1.0
	v_div_scale_f32 v51, vcc_lo, 1.0, v43, 1.0
	v_rcp_f32_e32 v49, v42
	v_nop
	s_delay_alu instid0(TRANS32_DEP_1) | instskip(NEXT) | instid1(VALU_DEP_1)
	v_fma_f32 v50, -v42, v49, 1.0
	v_fmac_f32_e32 v49, v50, v49
	s_delay_alu instid0(VALU_DEP_1) | instskip(NEXT) | instid1(VALU_DEP_1)
	v_mul_f32_e32 v50, v51, v49
	v_fma_f32 v52, -v42, v50, v51
	s_delay_alu instid0(VALU_DEP_1) | instskip(NEXT) | instid1(VALU_DEP_1)
	v_fmac_f32_e32 v50, v52, v49
	v_fma_f32 v42, -v42, v50, v51
	s_delay_alu instid0(VALU_DEP_1) | instskip(NEXT) | instid1(VALU_DEP_1)
	v_div_fmas_f32 v42, v42, v49, v50
	v_div_fixup_f32 v42, v42, v43, 1.0
	s_delay_alu instid0(VALU_DEP_1)
	v_mul_f32_e32 v48, v48, v42
	v_xor_b32_e32 v49, 0x80000000, v42
                                        ; implicit-def: $vgpr42_vgpr43
.LBB117_194:
	s_and_not1_saveexec_b32 s1, s1
	s_cbranch_execz .LBB117_196
; %bb.195:
	v_div_scale_f32 v48, null, v42, v42, v43
	v_div_scale_f32 v51, vcc_lo, v43, v42, v43
	s_delay_alu instid0(VALU_DEP_2) | instskip(SKIP_1) | instid1(TRANS32_DEP_1)
	v_rcp_f32_e32 v49, v48
	v_nop
	v_fma_f32 v50, -v48, v49, 1.0
	s_delay_alu instid0(VALU_DEP_1) | instskip(NEXT) | instid1(VALU_DEP_1)
	v_fmac_f32_e32 v49, v50, v49
	v_mul_f32_e32 v50, v51, v49
	s_delay_alu instid0(VALU_DEP_1) | instskip(NEXT) | instid1(VALU_DEP_1)
	v_fma_f32 v52, -v48, v50, v51
	v_fmac_f32_e32 v50, v52, v49
	s_delay_alu instid0(VALU_DEP_1) | instskip(NEXT) | instid1(VALU_DEP_1)
	v_fma_f32 v48, -v48, v50, v51
	v_div_fmas_f32 v48, v48, v49, v50
	s_delay_alu instid0(VALU_DEP_1) | instskip(NEXT) | instid1(VALU_DEP_1)
	v_div_fixup_f32 v49, v48, v42, v43
	v_fmac_f32_e32 v42, v43, v49
	s_delay_alu instid0(VALU_DEP_1) | instskip(NEXT) | instid1(VALU_DEP_1)
	v_div_scale_f32 v43, null, v42, v42, 1.0
	v_rcp_f32_e32 v48, v43
	v_nop
	s_delay_alu instid0(TRANS32_DEP_1) | instskip(NEXT) | instid1(VALU_DEP_1)
	v_fma_f32 v50, -v43, v48, 1.0
	v_fmac_f32_e32 v48, v50, v48
	v_div_scale_f32 v50, vcc_lo, 1.0, v42, 1.0
	s_delay_alu instid0(VALU_DEP_1) | instskip(NEXT) | instid1(VALU_DEP_1)
	v_mul_f32_e32 v51, v50, v48
	v_fma_f32 v52, -v43, v51, v50
	s_delay_alu instid0(VALU_DEP_1) | instskip(NEXT) | instid1(VALU_DEP_1)
	v_fmac_f32_e32 v51, v52, v48
	v_fma_f32 v43, -v43, v51, v50
	s_delay_alu instid0(VALU_DEP_1) | instskip(NEXT) | instid1(VALU_DEP_1)
	v_div_fmas_f32 v43, v43, v48, v51
	v_div_fixup_f32 v48, v43, v42, 1.0
	s_delay_alu instid0(VALU_DEP_1)
	v_mul_f32_e64 v49, v49, -v48
.LBB117_196:
	s_or_b32 exec_lo, exec_lo, s1
	ds_store_b64 v201, v[48:49]
.LBB117_197:
	s_or_b32 exec_lo, exec_lo, s2
	s_wait_dscnt 0x0
	s_barrier_signal -1
	s_barrier_wait -1
	ds_load_b64 v[42:43], v201
	s_mov_b32 s1, exec_lo
	v_cmpx_lt_u32_e32 21, v200
	s_cbranch_execz .LBB117_199
; %bb.198:
	ds_load_2addr_b64 v[68:71], v202 offset0:22 offset1:23
	s_wait_dscnt 0x1
	v_pk_mul_f32 v[50:51], v[42:43], v[94:95] op_sel:[1,1] op_sel_hi:[0,1]
	s_delay_alu instid0(VALU_DEP_1) | instskip(SKIP_1) | instid1(VALU_DEP_1)
	v_pk_fma_f32 v[48:49], v[42:43], v[94:95], v[50:51] op_sel_hi:[1,0,1] neg_lo:[0,0,1] neg_hi:[0,0,1]
	v_pk_fma_f32 v[50:51], v[42:43], v[94:95], v[50:51] op_sel_hi:[1,0,1]
	v_dual_mov_b32 v94, v48 :: v_dual_mov_b32 v95, v51
	s_wait_dscnt 0x0
	s_delay_alu instid0(VALU_DEP_2) | instskip(NEXT) | instid1(VALU_DEP_1)
	v_pk_mul_f32 v[52:53], v[68:69], v[50:51] op_sel:[0,1]
	v_pk_fma_f32 v[72:73], v[68:69], v[48:49], v[52:53] op_sel:[0,0,1] op_sel_hi:[1,1,0] neg_lo:[0,0,1] neg_hi:[0,0,1]
	v_pk_fma_f32 v[52:53], v[68:69], v[48:49], v[52:53] op_sel:[0,0,1] op_sel_hi:[1,0,0]
	s_delay_alu instid0(VALU_DEP_1) | instskip(SKIP_1) | instid1(VALU_DEP_1)
	v_mov_b32_e32 v73, v53
	v_pk_mul_f32 v[52:53], v[70:71], v[50:51] op_sel:[0,1]
	v_pk_fma_f32 v[68:69], v[70:71], v[48:49], v[52:53] op_sel:[0,0,1] op_sel_hi:[1,1,0] neg_lo:[0,0,1] neg_hi:[0,0,1]
	v_pk_fma_f32 v[52:53], v[70:71], v[48:49], v[52:53] op_sel:[0,0,1] op_sel_hi:[1,0,0]
	s_delay_alu instid0(VALU_DEP_1) | instskip(SKIP_1) | instid1(VALU_DEP_2)
	v_mov_b32_e32 v69, v53
	v_pk_add_f32 v[96:97], v[96:97], v[72:73] neg_lo:[0,1] neg_hi:[0,1]
	v_pk_add_f32 v[92:93], v[92:93], v[68:69] neg_lo:[0,1] neg_hi:[0,1]
	ds_load_2addr_b64 v[68:71], v202 offset0:24 offset1:25
	s_wait_dscnt 0x0
	v_pk_mul_f32 v[52:53], v[68:69], v[50:51] op_sel:[0,1]
	s_delay_alu instid0(VALU_DEP_1) | instskip(SKIP_2) | instid1(VALU_DEP_2)
	v_pk_fma_f32 v[72:73], v[68:69], v[48:49], v[52:53] op_sel:[0,0,1] op_sel_hi:[1,1,0] neg_lo:[0,0,1] neg_hi:[0,0,1]
	v_pk_fma_f32 v[52:53], v[68:69], v[48:49], v[52:53] op_sel:[0,0,1] op_sel_hi:[1,0,0]
	v_dual_mul_f32 v68, v71, v51 :: v_dual_mov_b32 v52, v71
	v_dual_mov_b32 v73, v53 :: v_dual_mov_b32 v53, v70
	s_delay_alu instid0(VALU_DEP_2) | instskip(SKIP_1) | instid1(VALU_DEP_3)
	v_pk_fma_f32 v[68:69], v[70:71], v[94:95], v[68:69] op_sel_hi:[1,1,0] neg_lo:[0,0,1] neg_hi:[0,0,1]
	v_mul_f32_e32 v70, v71, v48
	v_pk_add_f32 v[114:115], v[114:115], v[72:73] neg_lo:[0,1] neg_hi:[0,1]
	s_delay_alu instid0(VALU_DEP_2) | instskip(NEXT) | instid1(VALU_DEP_1)
	v_pk_fma_f32 v[52:53], v[52:53], v[94:95], v[70:71] op_sel_hi:[1,1,0]
	v_mov_b32_e32 v69, v53
	s_delay_alu instid0(VALU_DEP_1) | instskip(SKIP_3) | instid1(VALU_DEP_1)
	v_pk_add_f32 v[110:111], v[110:111], v[68:69] neg_lo:[0,1] neg_hi:[0,1]
	ds_load_2addr_b64 v[68:71], v202 offset0:26 offset1:27
	s_wait_dscnt 0x0
	v_pk_mul_f32 v[52:53], v[68:69], v[50:51] op_sel:[0,1]
	v_pk_fma_f32 v[72:73], v[68:69], v[48:49], v[52:53] op_sel:[0,0,1] op_sel_hi:[1,1,0] neg_lo:[0,0,1] neg_hi:[0,0,1]
	v_pk_fma_f32 v[52:53], v[68:69], v[48:49], v[52:53] op_sel:[0,0,1] op_sel_hi:[1,0,0]
	s_delay_alu instid0(VALU_DEP_1) | instskip(SKIP_1) | instid1(VALU_DEP_1)
	v_mov_b32_e32 v73, v53
	v_pk_mul_f32 v[52:53], v[70:71], v[50:51] op_sel:[0,1]
	v_pk_fma_f32 v[68:69], v[70:71], v[48:49], v[52:53] op_sel:[0,0,1] op_sel_hi:[1,1,0] neg_lo:[0,0,1] neg_hi:[0,0,1]
	v_pk_fma_f32 v[52:53], v[70:71], v[48:49], v[52:53] op_sel:[0,0,1] op_sel_hi:[1,0,0]
	s_delay_alu instid0(VALU_DEP_1) | instskip(SKIP_1) | instid1(VALU_DEP_2)
	v_mov_b32_e32 v69, v53
	v_pk_add_f32 v[112:113], v[112:113], v[72:73] neg_lo:[0,1] neg_hi:[0,1]
	v_pk_add_f32 v[108:109], v[108:109], v[68:69] neg_lo:[0,1] neg_hi:[0,1]
	ds_load_2addr_b64 v[68:71], v202 offset0:28 offset1:29
	s_wait_dscnt 0x0
	v_pk_mul_f32 v[52:53], v[68:69], v[50:51] op_sel:[0,1]
	s_delay_alu instid0(VALU_DEP_1) | instskip(SKIP_1) | instid1(VALU_DEP_1)
	v_pk_fma_f32 v[72:73], v[68:69], v[48:49], v[52:53] op_sel:[0,0,1] op_sel_hi:[1,1,0] neg_lo:[0,0,1] neg_hi:[0,0,1]
	v_pk_fma_f32 v[52:53], v[68:69], v[48:49], v[52:53] op_sel:[0,0,1] op_sel_hi:[1,0,0]
	v_mov_b32_e32 v73, v53
	v_pk_mul_f32 v[52:53], v[70:71], v[50:51] op_sel:[0,1]
	s_delay_alu instid0(VALU_DEP_1) | instskip(SKIP_1) | instid1(VALU_DEP_1)
	v_pk_fma_f32 v[68:69], v[70:71], v[48:49], v[52:53] op_sel:[0,0,1] op_sel_hi:[1,1,0] neg_lo:[0,0,1] neg_hi:[0,0,1]
	v_pk_fma_f32 v[52:53], v[70:71], v[48:49], v[52:53] op_sel:[0,0,1] op_sel_hi:[1,0,0]
	v_mov_b32_e32 v69, v53
	v_pk_add_f32 v[130:131], v[130:131], v[72:73] neg_lo:[0,1] neg_hi:[0,1]
	s_delay_alu instid0(VALU_DEP_2) | instskip(SKIP_3) | instid1(VALU_DEP_1)
	v_pk_add_f32 v[126:127], v[126:127], v[68:69] neg_lo:[0,1] neg_hi:[0,1]
	ds_load_2addr_b64 v[68:71], v202 offset0:30 offset1:31
	s_wait_dscnt 0x0
	v_dual_mul_f32 v52, v69, v51 :: v_dual_mul_f32 v72, v69, v48
	v_pk_fma_f32 v[52:53], v[68:69], v[94:95], v[52:53] op_sel_hi:[1,1,0] neg_lo:[0,0,1] neg_hi:[0,0,1]
	s_delay_alu instid0(VALU_DEP_2) | instskip(NEXT) | instid1(VALU_DEP_1)
	v_pk_fma_f32 v[68:69], v[68:69], v[94:95], v[72:73] op_sel:[1,0,0] op_sel_hi:[0,1,0]
	v_mov_b32_e32 v53, v69
	s_delay_alu instid0(VALU_DEP_1) | instskip(SKIP_1) | instid1(VALU_DEP_1)
	v_pk_add_f32 v[128:129], v[128:129], v[52:53] neg_lo:[0,1] neg_hi:[0,1]
	v_pk_mul_f32 v[52:53], v[70:71], v[50:51] op_sel:[0,1]
	v_pk_fma_f32 v[68:69], v[70:71], v[48:49], v[52:53] op_sel:[0,0,1] op_sel_hi:[1,1,0] neg_lo:[0,0,1] neg_hi:[0,0,1]
	v_pk_fma_f32 v[52:53], v[70:71], v[48:49], v[52:53] op_sel:[0,0,1] op_sel_hi:[1,0,0]
	s_delay_alu instid0(VALU_DEP_1) | instskip(NEXT) | instid1(VALU_DEP_1)
	v_mov_b32_e32 v69, v53
	v_pk_add_f32 v[124:125], v[124:125], v[68:69] neg_lo:[0,1] neg_hi:[0,1]
	ds_load_2addr_b64 v[68:71], v202 offset0:32 offset1:33
	s_wait_dscnt 0x0
	v_pk_mul_f32 v[52:53], v[68:69], v[50:51] op_sel:[0,1]
	s_delay_alu instid0(VALU_DEP_1) | instskip(SKIP_1) | instid1(VALU_DEP_1)
	v_pk_fma_f32 v[72:73], v[68:69], v[48:49], v[52:53] op_sel:[0,0,1] op_sel_hi:[1,1,0] neg_lo:[0,0,1] neg_hi:[0,0,1]
	v_pk_fma_f32 v[52:53], v[68:69], v[48:49], v[52:53] op_sel:[0,0,1] op_sel_hi:[1,0,0]
	v_mov_b32_e32 v73, v53
	v_pk_mul_f32 v[52:53], v[70:71], v[50:51] op_sel:[0,1]
	s_delay_alu instid0(VALU_DEP_2) | instskip(NEXT) | instid1(VALU_DEP_2)
	v_pk_add_f32 v[146:147], v[146:147], v[72:73] neg_lo:[0,1] neg_hi:[0,1]
	v_pk_fma_f32 v[68:69], v[70:71], v[48:49], v[52:53] op_sel:[0,0,1] op_sel_hi:[1,1,0] neg_lo:[0,0,1] neg_hi:[0,0,1]
	v_pk_fma_f32 v[52:53], v[70:71], v[48:49], v[52:53] op_sel:[0,0,1] op_sel_hi:[1,0,0]
	s_delay_alu instid0(VALU_DEP_1) | instskip(NEXT) | instid1(VALU_DEP_1)
	v_mov_b32_e32 v69, v53
	v_pk_add_f32 v[142:143], v[142:143], v[68:69] neg_lo:[0,1] neg_hi:[0,1]
	ds_load_2addr_b64 v[68:71], v202 offset0:34 offset1:35
	s_wait_dscnt 0x0
	v_pk_mul_f32 v[52:53], v[68:69], v[50:51] op_sel:[0,1]
	s_delay_alu instid0(VALU_DEP_1) | instskip(SKIP_2) | instid1(VALU_DEP_2)
	v_pk_fma_f32 v[72:73], v[68:69], v[48:49], v[52:53] op_sel:[0,0,1] op_sel_hi:[1,1,0] neg_lo:[0,0,1] neg_hi:[0,0,1]
	v_pk_fma_f32 v[52:53], v[68:69], v[48:49], v[52:53] op_sel:[0,0,1] op_sel_hi:[1,0,0]
	v_dual_mul_f32 v68, v71, v51 :: v_dual_mov_b32 v52, v71
	v_dual_mov_b32 v73, v53 :: v_dual_mov_b32 v53, v70
	s_delay_alu instid0(VALU_DEP_2) | instskip(SKIP_1) | instid1(VALU_DEP_3)
	v_pk_fma_f32 v[68:69], v[70:71], v[94:95], v[68:69] op_sel_hi:[1,1,0] neg_lo:[0,0,1] neg_hi:[0,0,1]
	v_mul_f32_e32 v70, v71, v48
	v_pk_add_f32 v[144:145], v[144:145], v[72:73] neg_lo:[0,1] neg_hi:[0,1]
	s_delay_alu instid0(VALU_DEP_2) | instskip(NEXT) | instid1(VALU_DEP_1)
	v_pk_fma_f32 v[52:53], v[52:53], v[94:95], v[70:71] op_sel_hi:[1,1,0]
	v_mov_b32_e32 v69, v53
	s_delay_alu instid0(VALU_DEP_1) | instskip(SKIP_3) | instid1(VALU_DEP_1)
	v_pk_add_f32 v[140:141], v[140:141], v[68:69] neg_lo:[0,1] neg_hi:[0,1]
	ds_load_2addr_b64 v[68:71], v202 offset0:36 offset1:37
	s_wait_dscnt 0x0
	v_pk_mul_f32 v[52:53], v[68:69], v[50:51] op_sel:[0,1]
	v_pk_fma_f32 v[72:73], v[68:69], v[48:49], v[52:53] op_sel:[0,0,1] op_sel_hi:[1,1,0] neg_lo:[0,0,1] neg_hi:[0,0,1]
	v_pk_fma_f32 v[52:53], v[68:69], v[48:49], v[52:53] op_sel:[0,0,1] op_sel_hi:[1,0,0]
	s_delay_alu instid0(VALU_DEP_1) | instskip(SKIP_1) | instid1(VALU_DEP_1)
	v_mov_b32_e32 v73, v53
	v_pk_mul_f32 v[52:53], v[70:71], v[50:51] op_sel:[0,1]
	v_pk_fma_f32 v[68:69], v[70:71], v[48:49], v[52:53] op_sel:[0,0,1] op_sel_hi:[1,1,0] neg_lo:[0,0,1] neg_hi:[0,0,1]
	v_pk_fma_f32 v[52:53], v[70:71], v[48:49], v[52:53] op_sel:[0,0,1] op_sel_hi:[1,0,0]
	s_delay_alu instid0(VALU_DEP_1) | instskip(SKIP_1) | instid1(VALU_DEP_2)
	v_mov_b32_e32 v69, v53
	v_pk_add_f32 v[162:163], v[162:163], v[72:73] neg_lo:[0,1] neg_hi:[0,1]
	v_pk_add_f32 v[158:159], v[158:159], v[68:69] neg_lo:[0,1] neg_hi:[0,1]
	ds_load_2addr_b64 v[68:71], v202 offset0:38 offset1:39
	s_wait_dscnt 0x0
	v_pk_mul_f32 v[52:53], v[68:69], v[50:51] op_sel:[0,1]
	s_delay_alu instid0(VALU_DEP_1) | instskip(SKIP_1) | instid1(VALU_DEP_1)
	v_pk_fma_f32 v[72:73], v[68:69], v[48:49], v[52:53] op_sel:[0,0,1] op_sel_hi:[1,1,0] neg_lo:[0,0,1] neg_hi:[0,0,1]
	v_pk_fma_f32 v[52:53], v[68:69], v[48:49], v[52:53] op_sel:[0,0,1] op_sel_hi:[1,0,0]
	v_mov_b32_e32 v73, v53
	v_pk_mul_f32 v[52:53], v[70:71], v[50:51] op_sel:[0,1]
	s_delay_alu instid0(VALU_DEP_1) | instskip(SKIP_1) | instid1(VALU_DEP_1)
	v_pk_fma_f32 v[68:69], v[70:71], v[48:49], v[52:53] op_sel:[0,0,1] op_sel_hi:[1,1,0] neg_lo:[0,0,1] neg_hi:[0,0,1]
	v_pk_fma_f32 v[52:53], v[70:71], v[48:49], v[52:53] op_sel:[0,0,1] op_sel_hi:[1,0,0]
	v_mov_b32_e32 v69, v53
	v_pk_add_f32 v[160:161], v[160:161], v[72:73] neg_lo:[0,1] neg_hi:[0,1]
	s_delay_alu instid0(VALU_DEP_2) | instskip(SKIP_3) | instid1(VALU_DEP_1)
	v_pk_add_f32 v[156:157], v[156:157], v[68:69] neg_lo:[0,1] neg_hi:[0,1]
	ds_load_2addr_b64 v[68:71], v202 offset0:40 offset1:41
	s_wait_dscnt 0x0
	v_dual_mul_f32 v52, v69, v51 :: v_dual_mul_f32 v72, v69, v48
	v_pk_fma_f32 v[52:53], v[68:69], v[94:95], v[52:53] op_sel_hi:[1,1,0] neg_lo:[0,0,1] neg_hi:[0,0,1]
	s_delay_alu instid0(VALU_DEP_2) | instskip(NEXT) | instid1(VALU_DEP_1)
	v_pk_fma_f32 v[68:69], v[68:69], v[94:95], v[72:73] op_sel:[1,0,0] op_sel_hi:[0,1,0]
	v_mov_b32_e32 v53, v69
	s_delay_alu instid0(VALU_DEP_1) | instskip(SKIP_1) | instid1(VALU_DEP_1)
	v_pk_add_f32 v[178:179], v[178:179], v[52:53] neg_lo:[0,1] neg_hi:[0,1]
	v_pk_mul_f32 v[52:53], v[70:71], v[50:51] op_sel:[0,1]
	v_pk_fma_f32 v[68:69], v[70:71], v[48:49], v[52:53] op_sel:[0,0,1] op_sel_hi:[1,1,0] neg_lo:[0,0,1] neg_hi:[0,0,1]
	v_pk_fma_f32 v[52:53], v[70:71], v[48:49], v[52:53] op_sel:[0,0,1] op_sel_hi:[1,0,0]
	s_delay_alu instid0(VALU_DEP_1) | instskip(NEXT) | instid1(VALU_DEP_1)
	v_mov_b32_e32 v69, v53
	v_pk_add_f32 v[174:175], v[174:175], v[68:69] neg_lo:[0,1] neg_hi:[0,1]
	ds_load_2addr_b64 v[68:71], v202 offset0:42 offset1:43
	s_wait_dscnt 0x0
	v_pk_mul_f32 v[52:53], v[68:69], v[50:51] op_sel:[0,1]
	s_delay_alu instid0(VALU_DEP_1) | instskip(SKIP_1) | instid1(VALU_DEP_1)
	v_pk_fma_f32 v[72:73], v[68:69], v[48:49], v[52:53] op_sel:[0,0,1] op_sel_hi:[1,1,0] neg_lo:[0,0,1] neg_hi:[0,0,1]
	v_pk_fma_f32 v[52:53], v[68:69], v[48:49], v[52:53] op_sel:[0,0,1] op_sel_hi:[1,0,0]
	v_mov_b32_e32 v73, v53
	v_pk_mul_f32 v[52:53], v[70:71], v[50:51] op_sel:[0,1]
	s_delay_alu instid0(VALU_DEP_2) | instskip(NEXT) | instid1(VALU_DEP_2)
	v_pk_add_f32 v[176:177], v[176:177], v[72:73] neg_lo:[0,1] neg_hi:[0,1]
	v_pk_fma_f32 v[68:69], v[70:71], v[48:49], v[52:53] op_sel:[0,0,1] op_sel_hi:[1,1,0] neg_lo:[0,0,1] neg_hi:[0,0,1]
	v_pk_fma_f32 v[52:53], v[70:71], v[48:49], v[52:53] op_sel:[0,0,1] op_sel_hi:[1,0,0]
	s_delay_alu instid0(VALU_DEP_1) | instskip(NEXT) | instid1(VALU_DEP_1)
	v_mov_b32_e32 v69, v53
	v_pk_add_f32 v[172:173], v[172:173], v[68:69] neg_lo:[0,1] neg_hi:[0,1]
	ds_load_2addr_b64 v[68:71], v202 offset0:44 offset1:45
	s_wait_dscnt 0x0
	v_pk_mul_f32 v[52:53], v[68:69], v[50:51] op_sel:[0,1]
	s_delay_alu instid0(VALU_DEP_1) | instskip(SKIP_2) | instid1(VALU_DEP_2)
	v_pk_fma_f32 v[72:73], v[68:69], v[48:49], v[52:53] op_sel:[0,0,1] op_sel_hi:[1,1,0] neg_lo:[0,0,1] neg_hi:[0,0,1]
	v_pk_fma_f32 v[52:53], v[68:69], v[48:49], v[52:53] op_sel:[0,0,1] op_sel_hi:[1,0,0]
	v_dual_mul_f32 v68, v71, v51 :: v_dual_mov_b32 v52, v71
	v_dual_mov_b32 v73, v53 :: v_dual_mov_b32 v53, v70
	s_delay_alu instid0(VALU_DEP_2) | instskip(SKIP_1) | instid1(VALU_DEP_3)
	v_pk_fma_f32 v[68:69], v[70:71], v[94:95], v[68:69] op_sel_hi:[1,1,0] neg_lo:[0,0,1] neg_hi:[0,0,1]
	v_mul_f32_e32 v70, v71, v48
	v_pk_add_f32 v[194:195], v[194:195], v[72:73] neg_lo:[0,1] neg_hi:[0,1]
	s_delay_alu instid0(VALU_DEP_2) | instskip(NEXT) | instid1(VALU_DEP_1)
	v_pk_fma_f32 v[52:53], v[52:53], v[94:95], v[70:71] op_sel_hi:[1,1,0]
	v_mov_b32_e32 v69, v53
	s_delay_alu instid0(VALU_DEP_1) | instskip(SKIP_3) | instid1(VALU_DEP_1)
	v_pk_add_f32 v[190:191], v[190:191], v[68:69] neg_lo:[0,1] neg_hi:[0,1]
	ds_load_2addr_b64 v[68:71], v202 offset0:46 offset1:47
	s_wait_dscnt 0x0
	v_pk_mul_f32 v[52:53], v[68:69], v[50:51] op_sel:[0,1]
	v_pk_fma_f32 v[72:73], v[68:69], v[48:49], v[52:53] op_sel:[0,0,1] op_sel_hi:[1,1,0] neg_lo:[0,0,1] neg_hi:[0,0,1]
	v_pk_fma_f32 v[52:53], v[68:69], v[48:49], v[52:53] op_sel:[0,0,1] op_sel_hi:[1,0,0]
	s_delay_alu instid0(VALU_DEP_1) | instskip(SKIP_1) | instid1(VALU_DEP_1)
	v_mov_b32_e32 v73, v53
	v_pk_mul_f32 v[52:53], v[70:71], v[50:51] op_sel:[0,1]
	v_pk_fma_f32 v[68:69], v[70:71], v[48:49], v[52:53] op_sel:[0,0,1] op_sel_hi:[1,1,0] neg_lo:[0,0,1] neg_hi:[0,0,1]
	v_pk_fma_f32 v[52:53], v[70:71], v[48:49], v[52:53] op_sel:[0,0,1] op_sel_hi:[1,0,0]
	s_delay_alu instid0(VALU_DEP_1) | instskip(SKIP_1) | instid1(VALU_DEP_2)
	v_mov_b32_e32 v69, v53
	v_pk_add_f32 v[192:193], v[192:193], v[72:73] neg_lo:[0,1] neg_hi:[0,1]
	v_pk_add_f32 v[188:189], v[188:189], v[68:69] neg_lo:[0,1] neg_hi:[0,1]
	ds_load_2addr_b64 v[68:71], v202 offset0:48 offset1:49
	s_wait_dscnt 0x0
	v_pk_mul_f32 v[52:53], v[68:69], v[50:51] op_sel:[0,1]
	s_delay_alu instid0(VALU_DEP_1) | instskip(SKIP_1) | instid1(VALU_DEP_1)
	v_pk_fma_f32 v[72:73], v[68:69], v[48:49], v[52:53] op_sel:[0,0,1] op_sel_hi:[1,1,0] neg_lo:[0,0,1] neg_hi:[0,0,1]
	v_pk_fma_f32 v[52:53], v[68:69], v[48:49], v[52:53] op_sel:[0,0,1] op_sel_hi:[1,0,0]
	v_mov_b32_e32 v73, v53
	v_pk_mul_f32 v[52:53], v[70:71], v[50:51] op_sel:[0,1]
	s_delay_alu instid0(VALU_DEP_1) | instskip(SKIP_1) | instid1(VALU_DEP_1)
	v_pk_fma_f32 v[68:69], v[70:71], v[48:49], v[52:53] op_sel:[0,0,1] op_sel_hi:[1,1,0] neg_lo:[0,0,1] neg_hi:[0,0,1]
	v_pk_fma_f32 v[52:53], v[70:71], v[48:49], v[52:53] op_sel:[0,0,1] op_sel_hi:[1,0,0]
	v_mov_b32_e32 v69, v53
	v_pk_add_f32 v[212:213], v[212:213], v[72:73] neg_lo:[0,1] neg_hi:[0,1]
	s_delay_alu instid0(VALU_DEP_2) | instskip(SKIP_3) | instid1(VALU_DEP_1)
	v_pk_add_f32 v[208:209], v[208:209], v[68:69] neg_lo:[0,1] neg_hi:[0,1]
	ds_load_2addr_b64 v[68:71], v202 offset0:50 offset1:51
	s_wait_dscnt 0x0
	v_dual_mul_f32 v52, v69, v51 :: v_dual_mul_f32 v72, v69, v48
	v_pk_fma_f32 v[52:53], v[68:69], v[94:95], v[52:53] op_sel_hi:[1,1,0] neg_lo:[0,0,1] neg_hi:[0,0,1]
	s_delay_alu instid0(VALU_DEP_2) | instskip(NEXT) | instid1(VALU_DEP_1)
	v_pk_fma_f32 v[68:69], v[68:69], v[94:95], v[72:73] op_sel:[1,0,0] op_sel_hi:[0,1,0]
	v_mov_b32_e32 v53, v69
	s_delay_alu instid0(VALU_DEP_1) | instskip(SKIP_1) | instid1(VALU_DEP_1)
	v_pk_add_f32 v[210:211], v[210:211], v[52:53] neg_lo:[0,1] neg_hi:[0,1]
	v_pk_mul_f32 v[52:53], v[70:71], v[50:51] op_sel:[0,1]
	v_pk_fma_f32 v[68:69], v[70:71], v[48:49], v[52:53] op_sel:[0,0,1] op_sel_hi:[1,1,0] neg_lo:[0,0,1] neg_hi:[0,0,1]
	v_pk_fma_f32 v[52:53], v[70:71], v[48:49], v[52:53] op_sel:[0,0,1] op_sel_hi:[1,0,0]
	s_delay_alu instid0(VALU_DEP_1) | instskip(NEXT) | instid1(VALU_DEP_1)
	v_mov_b32_e32 v69, v53
	v_pk_add_f32 v[206:207], v[206:207], v[68:69] neg_lo:[0,1] neg_hi:[0,1]
	ds_load_2addr_b64 v[68:71], v202 offset0:52 offset1:53
	s_wait_dscnt 0x0
	v_pk_mul_f32 v[52:53], v[68:69], v[50:51] op_sel:[0,1]
	s_delay_alu instid0(VALU_DEP_1) | instskip(SKIP_1) | instid1(VALU_DEP_1)
	v_pk_fma_f32 v[72:73], v[68:69], v[48:49], v[52:53] op_sel:[0,0,1] op_sel_hi:[1,1,0] neg_lo:[0,0,1] neg_hi:[0,0,1]
	v_pk_fma_f32 v[52:53], v[68:69], v[48:49], v[52:53] op_sel:[0,0,1] op_sel_hi:[1,0,0]
	v_mov_b32_e32 v73, v53
	v_pk_mul_f32 v[52:53], v[70:71], v[50:51] op_sel:[0,1]
	s_delay_alu instid0(VALU_DEP_2) | instskip(NEXT) | instid1(VALU_DEP_2)
	v_pk_add_f32 v[232:233], v[232:233], v[72:73] neg_lo:[0,1] neg_hi:[0,1]
	v_pk_fma_f32 v[68:69], v[70:71], v[48:49], v[52:53] op_sel:[0,0,1] op_sel_hi:[1,1,0] neg_lo:[0,0,1] neg_hi:[0,0,1]
	v_pk_fma_f32 v[52:53], v[70:71], v[48:49], v[52:53] op_sel:[0,0,1] op_sel_hi:[1,0,0]
	s_delay_alu instid0(VALU_DEP_1) | instskip(NEXT) | instid1(VALU_DEP_1)
	v_mov_b32_e32 v69, v53
	v_pk_add_f32 v[226:227], v[226:227], v[68:69] neg_lo:[0,1] neg_hi:[0,1]
	ds_load_2addr_b64 v[68:71], v202 offset0:54 offset1:55
	s_wait_dscnt 0x0
	v_pk_mul_f32 v[52:53], v[68:69], v[50:51] op_sel:[0,1]
	s_delay_alu instid0(VALU_DEP_1) | instskip(SKIP_2) | instid1(VALU_DEP_2)
	v_pk_fma_f32 v[72:73], v[68:69], v[48:49], v[52:53] op_sel:[0,0,1] op_sel_hi:[1,1,0] neg_lo:[0,0,1] neg_hi:[0,0,1]
	v_pk_fma_f32 v[52:53], v[68:69], v[48:49], v[52:53] op_sel:[0,0,1] op_sel_hi:[1,0,0]
	v_dual_mul_f32 v68, v71, v51 :: v_dual_mov_b32 v52, v71
	v_dual_mov_b32 v73, v53 :: v_dual_mov_b32 v53, v70
	s_delay_alu instid0(VALU_DEP_2) | instskip(SKIP_1) | instid1(VALU_DEP_3)
	v_pk_fma_f32 v[68:69], v[70:71], v[94:95], v[68:69] op_sel_hi:[1,1,0] neg_lo:[0,0,1] neg_hi:[0,0,1]
	v_mul_f32_e32 v70, v71, v48
	v_pk_add_f32 v[230:231], v[230:231], v[72:73] neg_lo:[0,1] neg_hi:[0,1]
	s_delay_alu instid0(VALU_DEP_2) | instskip(NEXT) | instid1(VALU_DEP_1)
	v_pk_fma_f32 v[52:53], v[52:53], v[94:95], v[70:71] op_sel_hi:[1,1,0]
	v_mov_b32_e32 v69, v53
	s_delay_alu instid0(VALU_DEP_1) | instskip(SKIP_3) | instid1(VALU_DEP_1)
	v_pk_add_f32 v[224:225], v[224:225], v[68:69] neg_lo:[0,1] neg_hi:[0,1]
	ds_load_2addr_b64 v[68:71], v202 offset0:56 offset1:57
	s_wait_dscnt 0x0
	v_pk_mul_f32 v[52:53], v[68:69], v[50:51] op_sel:[0,1]
	v_pk_fma_f32 v[72:73], v[68:69], v[48:49], v[52:53] op_sel:[0,0,1] op_sel_hi:[1,1,0] neg_lo:[0,0,1] neg_hi:[0,0,1]
	v_pk_fma_f32 v[52:53], v[68:69], v[48:49], v[52:53] op_sel:[0,0,1] op_sel_hi:[1,0,0]
	s_delay_alu instid0(VALU_DEP_1) | instskip(SKIP_1) | instid1(VALU_DEP_1)
	v_mov_b32_e32 v73, v53
	v_pk_mul_f32 v[52:53], v[70:71], v[50:51] op_sel:[0,1]
	v_pk_fma_f32 v[68:69], v[70:71], v[48:49], v[52:53] op_sel:[0,0,1] op_sel_hi:[1,1,0] neg_lo:[0,0,1] neg_hi:[0,0,1]
	v_pk_fma_f32 v[52:53], v[70:71], v[48:49], v[52:53] op_sel:[0,0,1] op_sel_hi:[1,0,0]
	s_delay_alu instid0(VALU_DEP_1)
	v_mov_b32_e32 v69, v53
	ds_load_b64 v[52:53], v202 offset:464
	v_pk_add_f32 v[228:229], v[228:229], v[72:73] neg_lo:[0,1] neg_hi:[0,1]
	v_pk_add_f32 v[234:235], v[234:235], v[68:69] neg_lo:[0,1] neg_hi:[0,1]
	s_wait_dscnt 0x0
	v_pk_mul_f32 v[50:51], v[52:53], v[50:51] op_sel:[0,1]
	s_delay_alu instid0(VALU_DEP_1) | instskip(SKIP_1) | instid1(VALU_DEP_1)
	v_pk_fma_f32 v[68:69], v[52:53], v[48:49], v[50:51] op_sel:[0,0,1] op_sel_hi:[1,1,0] neg_lo:[0,0,1] neg_hi:[0,0,1]
	v_pk_fma_f32 v[48:49], v[52:53], v[48:49], v[50:51] op_sel:[0,0,1] op_sel_hi:[1,0,0]
	v_mov_b32_e32 v69, v49
	s_delay_alu instid0(VALU_DEP_1)
	v_pk_add_f32 v[236:237], v[236:237], v[68:69] neg_lo:[0,1] neg_hi:[0,1]
.LBB117_199:
	s_or_b32 exec_lo, exec_lo, s1
	s_delay_alu instid0(SALU_CYCLE_1)
	s_mov_b32 s2, exec_lo
	s_wait_dscnt 0x0
	s_barrier_signal -1
	s_barrier_wait -1
	v_cmpx_eq_u32_e32 22, v200
	s_cbranch_execz .LBB117_206
; %bb.200:
	ds_store_b64 v201, v[96:97]
	ds_store_2addr_b64 v202, v[92:93], v[114:115] offset0:23 offset1:24
	ds_store_2addr_b64 v202, v[110:111], v[112:113] offset0:25 offset1:26
	;; [unrolled: 1-line block ×18, first 2 shown]
	ds_load_b64 v[48:49], v201
	s_wait_dscnt 0x0
	v_cmp_neq_f32_e32 vcc_lo, 0, v48
	v_cmp_neq_f32_e64 s1, 0, v49
	s_or_b32 s1, vcc_lo, s1
	s_delay_alu instid0(SALU_CYCLE_1)
	s_and_b32 exec_lo, exec_lo, s1
	s_cbranch_execz .LBB117_206
; %bb.201:
	v_cmp_ngt_f32_e64 s1, |v48|, |v49|
                                        ; implicit-def: $vgpr50_vgpr51
	s_and_saveexec_b32 s4, s1
	s_delay_alu instid0(SALU_CYCLE_1)
	s_xor_b32 s1, exec_lo, s4
	s_cbranch_execz .LBB117_203
; %bb.202:
	v_div_scale_f32 v50, null, v49, v49, v48
	v_div_scale_f32 v53, vcc_lo, v48, v49, v48
	s_delay_alu instid0(VALU_DEP_2) | instskip(SKIP_1) | instid1(TRANS32_DEP_1)
	v_rcp_f32_e32 v51, v50
	v_nop
	v_fma_f32 v52, -v50, v51, 1.0
	s_delay_alu instid0(VALU_DEP_1) | instskip(NEXT) | instid1(VALU_DEP_1)
	v_fmac_f32_e32 v51, v52, v51
	v_mul_f32_e32 v52, v53, v51
	s_delay_alu instid0(VALU_DEP_1) | instskip(NEXT) | instid1(VALU_DEP_1)
	v_fma_f32 v68, -v50, v52, v53
	v_fmac_f32_e32 v52, v68, v51
	s_delay_alu instid0(VALU_DEP_1) | instskip(NEXT) | instid1(VALU_DEP_1)
	v_fma_f32 v50, -v50, v52, v53
	v_div_fmas_f32 v50, v50, v51, v52
	s_delay_alu instid0(VALU_DEP_1) | instskip(NEXT) | instid1(VALU_DEP_1)
	v_div_fixup_f32 v50, v50, v49, v48
	v_fmac_f32_e32 v49, v48, v50
	s_delay_alu instid0(VALU_DEP_1) | instskip(SKIP_1) | instid1(VALU_DEP_2)
	v_div_scale_f32 v48, null, v49, v49, 1.0
	v_div_scale_f32 v53, vcc_lo, 1.0, v49, 1.0
	v_rcp_f32_e32 v51, v48
	v_nop
	s_delay_alu instid0(TRANS32_DEP_1) | instskip(NEXT) | instid1(VALU_DEP_1)
	v_fma_f32 v52, -v48, v51, 1.0
	v_fmac_f32_e32 v51, v52, v51
	s_delay_alu instid0(VALU_DEP_1) | instskip(NEXT) | instid1(VALU_DEP_1)
	v_mul_f32_e32 v52, v53, v51
	v_fma_f32 v68, -v48, v52, v53
	s_delay_alu instid0(VALU_DEP_1) | instskip(NEXT) | instid1(VALU_DEP_1)
	v_fmac_f32_e32 v52, v68, v51
	v_fma_f32 v48, -v48, v52, v53
	s_delay_alu instid0(VALU_DEP_1) | instskip(NEXT) | instid1(VALU_DEP_1)
	v_div_fmas_f32 v48, v48, v51, v52
	v_div_fixup_f32 v48, v48, v49, 1.0
	s_delay_alu instid0(VALU_DEP_1)
	v_mul_f32_e32 v50, v50, v48
	v_xor_b32_e32 v51, 0x80000000, v48
                                        ; implicit-def: $vgpr48_vgpr49
.LBB117_203:
	s_and_not1_saveexec_b32 s1, s1
	s_cbranch_execz .LBB117_205
; %bb.204:
	v_div_scale_f32 v50, null, v48, v48, v49
	v_div_scale_f32 v53, vcc_lo, v49, v48, v49
	s_delay_alu instid0(VALU_DEP_2) | instskip(SKIP_1) | instid1(TRANS32_DEP_1)
	v_rcp_f32_e32 v51, v50
	v_nop
	v_fma_f32 v52, -v50, v51, 1.0
	s_delay_alu instid0(VALU_DEP_1) | instskip(NEXT) | instid1(VALU_DEP_1)
	v_fmac_f32_e32 v51, v52, v51
	v_mul_f32_e32 v52, v53, v51
	s_delay_alu instid0(VALU_DEP_1) | instskip(NEXT) | instid1(VALU_DEP_1)
	v_fma_f32 v68, -v50, v52, v53
	v_fmac_f32_e32 v52, v68, v51
	s_delay_alu instid0(VALU_DEP_1) | instskip(NEXT) | instid1(VALU_DEP_1)
	v_fma_f32 v50, -v50, v52, v53
	v_div_fmas_f32 v50, v50, v51, v52
	s_delay_alu instid0(VALU_DEP_1) | instskip(NEXT) | instid1(VALU_DEP_1)
	v_div_fixup_f32 v51, v50, v48, v49
	v_fmac_f32_e32 v48, v49, v51
	s_delay_alu instid0(VALU_DEP_1) | instskip(NEXT) | instid1(VALU_DEP_1)
	v_div_scale_f32 v49, null, v48, v48, 1.0
	v_rcp_f32_e32 v50, v49
	v_nop
	s_delay_alu instid0(TRANS32_DEP_1) | instskip(NEXT) | instid1(VALU_DEP_1)
	v_fma_f32 v52, -v49, v50, 1.0
	v_fmac_f32_e32 v50, v52, v50
	v_div_scale_f32 v52, vcc_lo, 1.0, v48, 1.0
	s_delay_alu instid0(VALU_DEP_1) | instskip(NEXT) | instid1(VALU_DEP_1)
	v_mul_f32_e32 v53, v52, v50
	v_fma_f32 v68, -v49, v53, v52
	s_delay_alu instid0(VALU_DEP_1) | instskip(NEXT) | instid1(VALU_DEP_1)
	v_fmac_f32_e32 v53, v68, v50
	v_fma_f32 v49, -v49, v53, v52
	s_delay_alu instid0(VALU_DEP_1) | instskip(NEXT) | instid1(VALU_DEP_1)
	v_div_fmas_f32 v49, v49, v50, v53
	v_div_fixup_f32 v50, v49, v48, 1.0
	s_delay_alu instid0(VALU_DEP_1)
	v_mul_f32_e64 v51, v51, -v50
.LBB117_205:
	s_or_b32 exec_lo, exec_lo, s1
	ds_store_b64 v201, v[50:51]
.LBB117_206:
	s_or_b32 exec_lo, exec_lo, s2
	s_wait_dscnt 0x0
	s_barrier_signal -1
	s_barrier_wait -1
	ds_load_b64 v[48:49], v201
	s_mov_b32 s1, exec_lo
	v_cmpx_lt_u32_e32 22, v200
	s_cbranch_execz .LBB117_208
; %bb.207:
	ds_load_2addr_b64 v[68:71], v202 offset0:23 offset1:24
	s_wait_dscnt 0x1
	v_pk_mul_f32 v[52:53], v[48:49], v[96:97] op_sel:[1,1] op_sel_hi:[0,1]
	s_delay_alu instid0(VALU_DEP_1) | instskip(SKIP_1) | instid1(VALU_DEP_1)
	v_pk_fma_f32 v[50:51], v[48:49], v[96:97], v[52:53] op_sel_hi:[1,0,1] neg_lo:[0,0,1] neg_hi:[0,0,1]
	v_pk_fma_f32 v[52:53], v[48:49], v[96:97], v[52:53] op_sel_hi:[1,0,1]
	v_dual_mov_b32 v96, v50 :: v_dual_mov_b32 v97, v53
	s_wait_dscnt 0x0
	s_delay_alu instid0(VALU_DEP_2) | instskip(NEXT) | instid1(VALU_DEP_1)
	v_pk_mul_f32 v[72:73], v[68:69], v[52:53] op_sel:[0,1]
	v_pk_fma_f32 v[74:75], v[68:69], v[50:51], v[72:73] op_sel:[0,0,1] op_sel_hi:[1,1,0] neg_lo:[0,0,1] neg_hi:[0,0,1]
	v_pk_fma_f32 v[68:69], v[68:69], v[50:51], v[72:73] op_sel:[0,0,1] op_sel_hi:[1,0,0]
	s_delay_alu instid0(VALU_DEP_1) | instskip(SKIP_1) | instid1(VALU_DEP_1)
	v_mov_b32_e32 v75, v69
	v_pk_mul_f32 v[68:69], v[70:71], v[52:53] op_sel:[0,1]
	v_pk_fma_f32 v[72:73], v[70:71], v[50:51], v[68:69] op_sel:[0,0,1] op_sel_hi:[1,1,0] neg_lo:[0,0,1] neg_hi:[0,0,1]
	v_pk_fma_f32 v[68:69], v[70:71], v[50:51], v[68:69] op_sel:[0,0,1] op_sel_hi:[1,0,0]
	s_delay_alu instid0(VALU_DEP_1)
	v_mov_b32_e32 v73, v69
	ds_load_2addr_b64 v[68:71], v202 offset0:25 offset1:26
	v_pk_add_f32 v[92:93], v[92:93], v[74:75] neg_lo:[0,1] neg_hi:[0,1]
	v_pk_add_f32 v[114:115], v[114:115], v[72:73] neg_lo:[0,1] neg_hi:[0,1]
	s_wait_dscnt 0x0
	v_pk_mul_f32 v[72:73], v[68:69], v[52:53] op_sel:[0,1]
	s_delay_alu instid0(VALU_DEP_1) | instskip(SKIP_2) | instid1(VALU_DEP_2)
	v_pk_fma_f32 v[74:75], v[68:69], v[50:51], v[72:73] op_sel:[0,0,1] op_sel_hi:[1,1,0] neg_lo:[0,0,1] neg_hi:[0,0,1]
	v_pk_fma_f32 v[68:69], v[68:69], v[50:51], v[72:73] op_sel:[0,0,1] op_sel_hi:[1,0,0]
	v_dual_mul_f32 v72, v71, v53 :: v_dual_mov_b32 v68, v71
	v_dual_mov_b32 v75, v69 :: v_dual_mov_b32 v69, v70
	s_delay_alu instid0(VALU_DEP_2) | instskip(SKIP_1) | instid1(VALU_DEP_3)
	v_pk_fma_f32 v[72:73], v[70:71], v[96:97], v[72:73] op_sel_hi:[1,1,0] neg_lo:[0,0,1] neg_hi:[0,0,1]
	v_mul_f32_e32 v70, v71, v50
	v_pk_add_f32 v[110:111], v[110:111], v[74:75] neg_lo:[0,1] neg_hi:[0,1]
	s_delay_alu instid0(VALU_DEP_2) | instskip(NEXT) | instid1(VALU_DEP_1)
	v_pk_fma_f32 v[68:69], v[68:69], v[96:97], v[70:71] op_sel_hi:[1,1,0]
	v_mov_b32_e32 v73, v69
	ds_load_2addr_b64 v[68:71], v202 offset0:27 offset1:28
	v_pk_add_f32 v[112:113], v[112:113], v[72:73] neg_lo:[0,1] neg_hi:[0,1]
	s_wait_dscnt 0x0
	v_pk_mul_f32 v[72:73], v[68:69], v[52:53] op_sel:[0,1]
	s_delay_alu instid0(VALU_DEP_1) | instskip(SKIP_1) | instid1(VALU_DEP_1)
	v_pk_fma_f32 v[74:75], v[68:69], v[50:51], v[72:73] op_sel:[0,0,1] op_sel_hi:[1,1,0] neg_lo:[0,0,1] neg_hi:[0,0,1]
	v_pk_fma_f32 v[68:69], v[68:69], v[50:51], v[72:73] op_sel:[0,0,1] op_sel_hi:[1,0,0]
	v_mov_b32_e32 v75, v69
	v_pk_mul_f32 v[68:69], v[70:71], v[52:53] op_sel:[0,1]
	s_delay_alu instid0(VALU_DEP_1) | instskip(SKIP_1) | instid1(VALU_DEP_1)
	v_pk_fma_f32 v[72:73], v[70:71], v[50:51], v[68:69] op_sel:[0,0,1] op_sel_hi:[1,1,0] neg_lo:[0,0,1] neg_hi:[0,0,1]
	v_pk_fma_f32 v[68:69], v[70:71], v[50:51], v[68:69] op_sel:[0,0,1] op_sel_hi:[1,0,0]
	v_mov_b32_e32 v73, v69
	ds_load_2addr_b64 v[68:71], v202 offset0:29 offset1:30
	v_pk_add_f32 v[108:109], v[108:109], v[74:75] neg_lo:[0,1] neg_hi:[0,1]
	v_pk_add_f32 v[130:131], v[130:131], v[72:73] neg_lo:[0,1] neg_hi:[0,1]
	s_wait_dscnt 0x0
	v_pk_mul_f32 v[72:73], v[68:69], v[52:53] op_sel:[0,1]
	s_delay_alu instid0(VALU_DEP_1) | instskip(SKIP_1) | instid1(VALU_DEP_1)
	v_pk_fma_f32 v[74:75], v[68:69], v[50:51], v[72:73] op_sel:[0,0,1] op_sel_hi:[1,1,0] neg_lo:[0,0,1] neg_hi:[0,0,1]
	v_pk_fma_f32 v[68:69], v[68:69], v[50:51], v[72:73] op_sel:[0,0,1] op_sel_hi:[1,0,0]
	v_mov_b32_e32 v75, v69
	v_pk_mul_f32 v[68:69], v[70:71], v[52:53] op_sel:[0,1]
	s_delay_alu instid0(VALU_DEP_1) | instskip(SKIP_1) | instid1(VALU_DEP_1)
	v_pk_fma_f32 v[72:73], v[70:71], v[50:51], v[68:69] op_sel:[0,0,1] op_sel_hi:[1,1,0] neg_lo:[0,0,1] neg_hi:[0,0,1]
	v_pk_fma_f32 v[68:69], v[70:71], v[50:51], v[68:69] op_sel:[0,0,1] op_sel_hi:[1,0,0]
	v_mov_b32_e32 v73, v69
	ds_load_2addr_b64 v[68:71], v202 offset0:31 offset1:32
	v_pk_add_f32 v[126:127], v[126:127], v[74:75] neg_lo:[0,1] neg_hi:[0,1]
	v_pk_add_f32 v[128:129], v[128:129], v[72:73] neg_lo:[0,1] neg_hi:[0,1]
	s_wait_dscnt 0x0
	v_dual_mul_f32 v72, v69, v53 :: v_dual_mul_f32 v74, v69, v50
	s_delay_alu instid0(VALU_DEP_1) | instskip(NEXT) | instid1(VALU_DEP_2)
	v_pk_fma_f32 v[72:73], v[68:69], v[96:97], v[72:73] op_sel_hi:[1,1,0] neg_lo:[0,0,1] neg_hi:[0,0,1]
	v_pk_fma_f32 v[68:69], v[68:69], v[96:97], v[74:75] op_sel:[1,0,0] op_sel_hi:[0,1,0]
	s_delay_alu instid0(VALU_DEP_1) | instskip(SKIP_1) | instid1(VALU_DEP_2)
	v_mov_b32_e32 v73, v69
	v_pk_mul_f32 v[68:69], v[70:71], v[52:53] op_sel:[0,1]
	v_pk_add_f32 v[124:125], v[124:125], v[72:73] neg_lo:[0,1] neg_hi:[0,1]
	s_delay_alu instid0(VALU_DEP_2) | instskip(SKIP_1) | instid1(VALU_DEP_1)
	v_pk_fma_f32 v[72:73], v[70:71], v[50:51], v[68:69] op_sel:[0,0,1] op_sel_hi:[1,1,0] neg_lo:[0,0,1] neg_hi:[0,0,1]
	v_pk_fma_f32 v[68:69], v[70:71], v[50:51], v[68:69] op_sel:[0,0,1] op_sel_hi:[1,0,0]
	v_mov_b32_e32 v73, v69
	ds_load_2addr_b64 v[68:71], v202 offset0:33 offset1:34
	v_pk_add_f32 v[146:147], v[146:147], v[72:73] neg_lo:[0,1] neg_hi:[0,1]
	s_wait_dscnt 0x0
	v_pk_mul_f32 v[72:73], v[68:69], v[52:53] op_sel:[0,1]
	s_delay_alu instid0(VALU_DEP_1) | instskip(SKIP_1) | instid1(VALU_DEP_1)
	v_pk_fma_f32 v[74:75], v[68:69], v[50:51], v[72:73] op_sel:[0,0,1] op_sel_hi:[1,1,0] neg_lo:[0,0,1] neg_hi:[0,0,1]
	v_pk_fma_f32 v[68:69], v[68:69], v[50:51], v[72:73] op_sel:[0,0,1] op_sel_hi:[1,0,0]
	v_mov_b32_e32 v75, v69
	v_pk_mul_f32 v[68:69], v[70:71], v[52:53] op_sel:[0,1]
	s_delay_alu instid0(VALU_DEP_2) | instskip(NEXT) | instid1(VALU_DEP_2)
	v_pk_add_f32 v[142:143], v[142:143], v[74:75] neg_lo:[0,1] neg_hi:[0,1]
	v_pk_fma_f32 v[72:73], v[70:71], v[50:51], v[68:69] op_sel:[0,0,1] op_sel_hi:[1,1,0] neg_lo:[0,0,1] neg_hi:[0,0,1]
	v_pk_fma_f32 v[68:69], v[70:71], v[50:51], v[68:69] op_sel:[0,0,1] op_sel_hi:[1,0,0]
	s_delay_alu instid0(VALU_DEP_1) | instskip(SKIP_4) | instid1(VALU_DEP_1)
	v_mov_b32_e32 v73, v69
	ds_load_2addr_b64 v[68:71], v202 offset0:35 offset1:36
	v_pk_add_f32 v[144:145], v[144:145], v[72:73] neg_lo:[0,1] neg_hi:[0,1]
	s_wait_dscnt 0x0
	v_pk_mul_f32 v[72:73], v[68:69], v[52:53] op_sel:[0,1]
	v_pk_fma_f32 v[74:75], v[68:69], v[50:51], v[72:73] op_sel:[0,0,1] op_sel_hi:[1,1,0] neg_lo:[0,0,1] neg_hi:[0,0,1]
	v_pk_fma_f32 v[68:69], v[68:69], v[50:51], v[72:73] op_sel:[0,0,1] op_sel_hi:[1,0,0]
	v_dual_mul_f32 v72, v71, v53 :: v_dual_mov_b32 v68, v71
	s_delay_alu instid0(VALU_DEP_2) | instskip(NEXT) | instid1(VALU_DEP_2)
	v_dual_mov_b32 v75, v69 :: v_dual_mov_b32 v69, v70
	v_pk_fma_f32 v[72:73], v[70:71], v[96:97], v[72:73] op_sel_hi:[1,1,0] neg_lo:[0,0,1] neg_hi:[0,0,1]
	v_mul_f32_e32 v70, v71, v50
	s_delay_alu instid0(VALU_DEP_3) | instskip(NEXT) | instid1(VALU_DEP_2)
	v_pk_add_f32 v[140:141], v[140:141], v[74:75] neg_lo:[0,1] neg_hi:[0,1]
	v_pk_fma_f32 v[68:69], v[68:69], v[96:97], v[70:71] op_sel_hi:[1,1,0]
	s_delay_alu instid0(VALU_DEP_1) | instskip(SKIP_4) | instid1(VALU_DEP_1)
	v_mov_b32_e32 v73, v69
	ds_load_2addr_b64 v[68:71], v202 offset0:37 offset1:38
	v_pk_add_f32 v[162:163], v[162:163], v[72:73] neg_lo:[0,1] neg_hi:[0,1]
	s_wait_dscnt 0x0
	v_pk_mul_f32 v[72:73], v[68:69], v[52:53] op_sel:[0,1]
	v_pk_fma_f32 v[74:75], v[68:69], v[50:51], v[72:73] op_sel:[0,0,1] op_sel_hi:[1,1,0] neg_lo:[0,0,1] neg_hi:[0,0,1]
	v_pk_fma_f32 v[68:69], v[68:69], v[50:51], v[72:73] op_sel:[0,0,1] op_sel_hi:[1,0,0]
	s_delay_alu instid0(VALU_DEP_1) | instskip(SKIP_1) | instid1(VALU_DEP_1)
	v_mov_b32_e32 v75, v69
	v_pk_mul_f32 v[68:69], v[70:71], v[52:53] op_sel:[0,1]
	v_pk_fma_f32 v[72:73], v[70:71], v[50:51], v[68:69] op_sel:[0,0,1] op_sel_hi:[1,1,0] neg_lo:[0,0,1] neg_hi:[0,0,1]
	v_pk_fma_f32 v[68:69], v[70:71], v[50:51], v[68:69] op_sel:[0,0,1] op_sel_hi:[1,0,0]
	s_delay_alu instid0(VALU_DEP_1)
	v_mov_b32_e32 v73, v69
	ds_load_2addr_b64 v[68:71], v202 offset0:39 offset1:40
	v_pk_add_f32 v[158:159], v[158:159], v[74:75] neg_lo:[0,1] neg_hi:[0,1]
	v_pk_add_f32 v[160:161], v[160:161], v[72:73] neg_lo:[0,1] neg_hi:[0,1]
	s_wait_dscnt 0x0
	v_pk_mul_f32 v[72:73], v[68:69], v[52:53] op_sel:[0,1]
	s_delay_alu instid0(VALU_DEP_1) | instskip(SKIP_1) | instid1(VALU_DEP_1)
	v_pk_fma_f32 v[74:75], v[68:69], v[50:51], v[72:73] op_sel:[0,0,1] op_sel_hi:[1,1,0] neg_lo:[0,0,1] neg_hi:[0,0,1]
	v_pk_fma_f32 v[68:69], v[68:69], v[50:51], v[72:73] op_sel:[0,0,1] op_sel_hi:[1,0,0]
	v_mov_b32_e32 v75, v69
	v_pk_mul_f32 v[68:69], v[70:71], v[52:53] op_sel:[0,1]
	s_delay_alu instid0(VALU_DEP_1) | instskip(SKIP_1) | instid1(VALU_DEP_1)
	v_pk_fma_f32 v[72:73], v[70:71], v[50:51], v[68:69] op_sel:[0,0,1] op_sel_hi:[1,1,0] neg_lo:[0,0,1] neg_hi:[0,0,1]
	v_pk_fma_f32 v[68:69], v[70:71], v[50:51], v[68:69] op_sel:[0,0,1] op_sel_hi:[1,0,0]
	v_mov_b32_e32 v73, v69
	ds_load_2addr_b64 v[68:71], v202 offset0:41 offset1:42
	v_pk_add_f32 v[156:157], v[156:157], v[74:75] neg_lo:[0,1] neg_hi:[0,1]
	v_pk_add_f32 v[178:179], v[178:179], v[72:73] neg_lo:[0,1] neg_hi:[0,1]
	s_wait_dscnt 0x0
	v_dual_mul_f32 v72, v69, v53 :: v_dual_mul_f32 v74, v69, v50
	s_delay_alu instid0(VALU_DEP_1) | instskip(NEXT) | instid1(VALU_DEP_2)
	v_pk_fma_f32 v[72:73], v[68:69], v[96:97], v[72:73] op_sel_hi:[1,1,0] neg_lo:[0,0,1] neg_hi:[0,0,1]
	v_pk_fma_f32 v[68:69], v[68:69], v[96:97], v[74:75] op_sel:[1,0,0] op_sel_hi:[0,1,0]
	s_delay_alu instid0(VALU_DEP_1) | instskip(SKIP_1) | instid1(VALU_DEP_2)
	v_mov_b32_e32 v73, v69
	v_pk_mul_f32 v[68:69], v[70:71], v[52:53] op_sel:[0,1]
	v_pk_add_f32 v[174:175], v[174:175], v[72:73] neg_lo:[0,1] neg_hi:[0,1]
	s_delay_alu instid0(VALU_DEP_2) | instskip(SKIP_1) | instid1(VALU_DEP_1)
	v_pk_fma_f32 v[72:73], v[70:71], v[50:51], v[68:69] op_sel:[0,0,1] op_sel_hi:[1,1,0] neg_lo:[0,0,1] neg_hi:[0,0,1]
	v_pk_fma_f32 v[68:69], v[70:71], v[50:51], v[68:69] op_sel:[0,0,1] op_sel_hi:[1,0,0]
	v_mov_b32_e32 v73, v69
	ds_load_2addr_b64 v[68:71], v202 offset0:43 offset1:44
	v_pk_add_f32 v[176:177], v[176:177], v[72:73] neg_lo:[0,1] neg_hi:[0,1]
	s_wait_dscnt 0x0
	v_pk_mul_f32 v[72:73], v[68:69], v[52:53] op_sel:[0,1]
	s_delay_alu instid0(VALU_DEP_1) | instskip(SKIP_1) | instid1(VALU_DEP_1)
	v_pk_fma_f32 v[74:75], v[68:69], v[50:51], v[72:73] op_sel:[0,0,1] op_sel_hi:[1,1,0] neg_lo:[0,0,1] neg_hi:[0,0,1]
	v_pk_fma_f32 v[68:69], v[68:69], v[50:51], v[72:73] op_sel:[0,0,1] op_sel_hi:[1,0,0]
	v_mov_b32_e32 v75, v69
	v_pk_mul_f32 v[68:69], v[70:71], v[52:53] op_sel:[0,1]
	s_delay_alu instid0(VALU_DEP_2) | instskip(NEXT) | instid1(VALU_DEP_2)
	v_pk_add_f32 v[172:173], v[172:173], v[74:75] neg_lo:[0,1] neg_hi:[0,1]
	v_pk_fma_f32 v[72:73], v[70:71], v[50:51], v[68:69] op_sel:[0,0,1] op_sel_hi:[1,1,0] neg_lo:[0,0,1] neg_hi:[0,0,1]
	v_pk_fma_f32 v[68:69], v[70:71], v[50:51], v[68:69] op_sel:[0,0,1] op_sel_hi:[1,0,0]
	s_delay_alu instid0(VALU_DEP_1) | instskip(SKIP_4) | instid1(VALU_DEP_1)
	v_mov_b32_e32 v73, v69
	ds_load_2addr_b64 v[68:71], v202 offset0:45 offset1:46
	v_pk_add_f32 v[194:195], v[194:195], v[72:73] neg_lo:[0,1] neg_hi:[0,1]
	s_wait_dscnt 0x0
	v_pk_mul_f32 v[72:73], v[68:69], v[52:53] op_sel:[0,1]
	v_pk_fma_f32 v[74:75], v[68:69], v[50:51], v[72:73] op_sel:[0,0,1] op_sel_hi:[1,1,0] neg_lo:[0,0,1] neg_hi:[0,0,1]
	v_pk_fma_f32 v[68:69], v[68:69], v[50:51], v[72:73] op_sel:[0,0,1] op_sel_hi:[1,0,0]
	v_dual_mul_f32 v72, v71, v53 :: v_dual_mov_b32 v68, v71
	s_delay_alu instid0(VALU_DEP_2) | instskip(NEXT) | instid1(VALU_DEP_2)
	v_dual_mov_b32 v75, v69 :: v_dual_mov_b32 v69, v70
	v_pk_fma_f32 v[72:73], v[70:71], v[96:97], v[72:73] op_sel_hi:[1,1,0] neg_lo:[0,0,1] neg_hi:[0,0,1]
	v_mul_f32_e32 v70, v71, v50
	s_delay_alu instid0(VALU_DEP_3) | instskip(NEXT) | instid1(VALU_DEP_2)
	v_pk_add_f32 v[190:191], v[190:191], v[74:75] neg_lo:[0,1] neg_hi:[0,1]
	v_pk_fma_f32 v[68:69], v[68:69], v[96:97], v[70:71] op_sel_hi:[1,1,0]
	s_delay_alu instid0(VALU_DEP_1) | instskip(SKIP_4) | instid1(VALU_DEP_1)
	v_mov_b32_e32 v73, v69
	ds_load_2addr_b64 v[68:71], v202 offset0:47 offset1:48
	v_pk_add_f32 v[192:193], v[192:193], v[72:73] neg_lo:[0,1] neg_hi:[0,1]
	s_wait_dscnt 0x0
	v_pk_mul_f32 v[72:73], v[68:69], v[52:53] op_sel:[0,1]
	v_pk_fma_f32 v[74:75], v[68:69], v[50:51], v[72:73] op_sel:[0,0,1] op_sel_hi:[1,1,0] neg_lo:[0,0,1] neg_hi:[0,0,1]
	v_pk_fma_f32 v[68:69], v[68:69], v[50:51], v[72:73] op_sel:[0,0,1] op_sel_hi:[1,0,0]
	s_delay_alu instid0(VALU_DEP_1) | instskip(SKIP_1) | instid1(VALU_DEP_1)
	v_mov_b32_e32 v75, v69
	v_pk_mul_f32 v[68:69], v[70:71], v[52:53] op_sel:[0,1]
	v_pk_fma_f32 v[72:73], v[70:71], v[50:51], v[68:69] op_sel:[0,0,1] op_sel_hi:[1,1,0] neg_lo:[0,0,1] neg_hi:[0,0,1]
	v_pk_fma_f32 v[68:69], v[70:71], v[50:51], v[68:69] op_sel:[0,0,1] op_sel_hi:[1,0,0]
	s_delay_alu instid0(VALU_DEP_1)
	v_mov_b32_e32 v73, v69
	ds_load_2addr_b64 v[68:71], v202 offset0:49 offset1:50
	v_pk_add_f32 v[188:189], v[188:189], v[74:75] neg_lo:[0,1] neg_hi:[0,1]
	v_pk_add_f32 v[212:213], v[212:213], v[72:73] neg_lo:[0,1] neg_hi:[0,1]
	s_wait_dscnt 0x0
	v_pk_mul_f32 v[72:73], v[68:69], v[52:53] op_sel:[0,1]
	s_delay_alu instid0(VALU_DEP_1) | instskip(SKIP_1) | instid1(VALU_DEP_1)
	v_pk_fma_f32 v[74:75], v[68:69], v[50:51], v[72:73] op_sel:[0,0,1] op_sel_hi:[1,1,0] neg_lo:[0,0,1] neg_hi:[0,0,1]
	v_pk_fma_f32 v[68:69], v[68:69], v[50:51], v[72:73] op_sel:[0,0,1] op_sel_hi:[1,0,0]
	v_mov_b32_e32 v75, v69
	v_pk_mul_f32 v[68:69], v[70:71], v[52:53] op_sel:[0,1]
	s_delay_alu instid0(VALU_DEP_1) | instskip(SKIP_1) | instid1(VALU_DEP_1)
	v_pk_fma_f32 v[72:73], v[70:71], v[50:51], v[68:69] op_sel:[0,0,1] op_sel_hi:[1,1,0] neg_lo:[0,0,1] neg_hi:[0,0,1]
	v_pk_fma_f32 v[68:69], v[70:71], v[50:51], v[68:69] op_sel:[0,0,1] op_sel_hi:[1,0,0]
	v_mov_b32_e32 v73, v69
	ds_load_2addr_b64 v[68:71], v202 offset0:51 offset1:52
	v_pk_add_f32 v[208:209], v[208:209], v[74:75] neg_lo:[0,1] neg_hi:[0,1]
	v_pk_add_f32 v[210:211], v[210:211], v[72:73] neg_lo:[0,1] neg_hi:[0,1]
	s_wait_dscnt 0x0
	v_dual_mul_f32 v72, v69, v53 :: v_dual_mul_f32 v74, v69, v50
	s_delay_alu instid0(VALU_DEP_1) | instskip(NEXT) | instid1(VALU_DEP_2)
	v_pk_fma_f32 v[72:73], v[68:69], v[96:97], v[72:73] op_sel_hi:[1,1,0] neg_lo:[0,0,1] neg_hi:[0,0,1]
	v_pk_fma_f32 v[68:69], v[68:69], v[96:97], v[74:75] op_sel:[1,0,0] op_sel_hi:[0,1,0]
	s_delay_alu instid0(VALU_DEP_1) | instskip(SKIP_1) | instid1(VALU_DEP_2)
	v_mov_b32_e32 v73, v69
	v_pk_mul_f32 v[68:69], v[70:71], v[52:53] op_sel:[0,1]
	v_pk_add_f32 v[206:207], v[206:207], v[72:73] neg_lo:[0,1] neg_hi:[0,1]
	s_delay_alu instid0(VALU_DEP_2) | instskip(SKIP_1) | instid1(VALU_DEP_1)
	v_pk_fma_f32 v[72:73], v[70:71], v[50:51], v[68:69] op_sel:[0,0,1] op_sel_hi:[1,1,0] neg_lo:[0,0,1] neg_hi:[0,0,1]
	v_pk_fma_f32 v[68:69], v[70:71], v[50:51], v[68:69] op_sel:[0,0,1] op_sel_hi:[1,0,0]
	v_mov_b32_e32 v73, v69
	ds_load_2addr_b64 v[68:71], v202 offset0:53 offset1:54
	v_pk_add_f32 v[232:233], v[232:233], v[72:73] neg_lo:[0,1] neg_hi:[0,1]
	s_wait_dscnt 0x0
	v_pk_mul_f32 v[72:73], v[68:69], v[52:53] op_sel:[0,1]
	s_delay_alu instid0(VALU_DEP_1) | instskip(SKIP_1) | instid1(VALU_DEP_1)
	v_pk_fma_f32 v[74:75], v[68:69], v[50:51], v[72:73] op_sel:[0,0,1] op_sel_hi:[1,1,0] neg_lo:[0,0,1] neg_hi:[0,0,1]
	v_pk_fma_f32 v[68:69], v[68:69], v[50:51], v[72:73] op_sel:[0,0,1] op_sel_hi:[1,0,0]
	v_mov_b32_e32 v75, v69
	v_pk_mul_f32 v[68:69], v[70:71], v[52:53] op_sel:[0,1]
	s_delay_alu instid0(VALU_DEP_2) | instskip(NEXT) | instid1(VALU_DEP_2)
	v_pk_add_f32 v[226:227], v[226:227], v[74:75] neg_lo:[0,1] neg_hi:[0,1]
	v_pk_fma_f32 v[72:73], v[70:71], v[50:51], v[68:69] op_sel:[0,0,1] op_sel_hi:[1,1,0] neg_lo:[0,0,1] neg_hi:[0,0,1]
	v_pk_fma_f32 v[68:69], v[70:71], v[50:51], v[68:69] op_sel:[0,0,1] op_sel_hi:[1,0,0]
	s_delay_alu instid0(VALU_DEP_1) | instskip(SKIP_4) | instid1(VALU_DEP_1)
	v_mov_b32_e32 v73, v69
	ds_load_2addr_b64 v[68:71], v202 offset0:55 offset1:56
	v_pk_add_f32 v[230:231], v[230:231], v[72:73] neg_lo:[0,1] neg_hi:[0,1]
	s_wait_dscnt 0x0
	v_pk_mul_f32 v[72:73], v[68:69], v[52:53] op_sel:[0,1]
	v_pk_fma_f32 v[74:75], v[68:69], v[50:51], v[72:73] op_sel:[0,0,1] op_sel_hi:[1,1,0] neg_lo:[0,0,1] neg_hi:[0,0,1]
	v_pk_fma_f32 v[68:69], v[68:69], v[50:51], v[72:73] op_sel:[0,0,1] op_sel_hi:[1,0,0]
	v_dual_mul_f32 v72, v71, v53 :: v_dual_mov_b32 v68, v71
	s_delay_alu instid0(VALU_DEP_2) | instskip(NEXT) | instid1(VALU_DEP_2)
	v_dual_mov_b32 v75, v69 :: v_dual_mov_b32 v69, v70
	v_pk_fma_f32 v[72:73], v[70:71], v[96:97], v[72:73] op_sel_hi:[1,1,0] neg_lo:[0,0,1] neg_hi:[0,0,1]
	v_mul_f32_e32 v70, v71, v50
	s_delay_alu instid0(VALU_DEP_3) | instskip(NEXT) | instid1(VALU_DEP_2)
	v_pk_add_f32 v[224:225], v[224:225], v[74:75] neg_lo:[0,1] neg_hi:[0,1]
	v_pk_fma_f32 v[68:69], v[68:69], v[96:97], v[70:71] op_sel_hi:[1,1,0]
	s_delay_alu instid0(VALU_DEP_1)
	v_mov_b32_e32 v73, v69
	ds_load_2addr_b64 v[68:71], v202 offset0:57 offset1:58
	v_pk_add_f32 v[228:229], v[228:229], v[72:73] neg_lo:[0,1] neg_hi:[0,1]
	s_wait_dscnt 0x0
	v_pk_mul_f32 v[72:73], v[68:69], v[52:53] op_sel:[0,1]
	v_mul_f32_e32 v52, v71, v53
	s_delay_alu instid0(VALU_DEP_2) | instskip(SKIP_2) | instid1(VALU_DEP_4)
	v_pk_fma_f32 v[74:75], v[68:69], v[50:51], v[72:73] op_sel:[0,0,1] op_sel_hi:[1,1,0] neg_lo:[0,0,1] neg_hi:[0,0,1]
	v_pk_fma_f32 v[68:69], v[68:69], v[50:51], v[72:73] op_sel:[0,0,1] op_sel_hi:[1,0,0]
	v_dual_mov_b32 v68, v71 :: v_dual_mul_f32 v50, v71, v50
	v_pk_fma_f32 v[52:53], v[70:71], v[96:97], v[52:53] op_sel_hi:[1,1,0] neg_lo:[0,0,1] neg_hi:[0,0,1]
	s_delay_alu instid0(VALU_DEP_3) | instskip(NEXT) | instid1(VALU_DEP_1)
	v_dual_mov_b32 v75, v69 :: v_dual_mov_b32 v69, v70
	v_pk_add_f32 v[234:235], v[234:235], v[74:75] neg_lo:[0,1] neg_hi:[0,1]
	s_delay_alu instid0(VALU_DEP_2) | instskip(NEXT) | instid1(VALU_DEP_1)
	v_pk_fma_f32 v[50:51], v[68:69], v[96:97], v[50:51] op_sel_hi:[1,1,0]
	v_mov_b32_e32 v53, v51
	s_delay_alu instid0(VALU_DEP_1)
	v_pk_add_f32 v[236:237], v[236:237], v[52:53] neg_lo:[0,1] neg_hi:[0,1]
.LBB117_208:
	s_or_b32 exec_lo, exec_lo, s1
	s_delay_alu instid0(SALU_CYCLE_1)
	s_mov_b32 s2, exec_lo
	s_wait_dscnt 0x0
	s_barrier_signal -1
	s_barrier_wait -1
	v_cmpx_eq_u32_e32 23, v200
	s_cbranch_execz .LBB117_215
; %bb.209:
	v_dual_mov_b32 v50, v114 :: v_dual_mov_b32 v51, v115
	v_dual_mov_b32 v52, v110 :: v_dual_mov_b32 v53, v111
	ds_store_b64 v201, v[92:93]
	ds_store_2addr_b64 v202, v[50:51], v[52:53] offset0:24 offset1:25
	v_dual_mov_b32 v50, v112 :: v_dual_mov_b32 v51, v113
	v_dual_mov_b32 v52, v108 :: v_dual_mov_b32 v53, v109
	ds_store_2addr_b64 v202, v[50:51], v[52:53] offset0:26 offset1:27
	v_dual_mov_b32 v50, v130 :: v_dual_mov_b32 v51, v131
	v_dual_mov_b32 v52, v126 :: v_dual_mov_b32 v53, v127
	;; [unrolled: 3-line block ×16, first 2 shown]
	ds_store_2addr_b64 v202, v[50:51], v[52:53] offset0:56 offset1:57
	ds_store_b64 v202, v[236:237] offset:464
	ds_load_b64 v[50:51], v201
	s_wait_dscnt 0x0
	v_cmp_neq_f32_e32 vcc_lo, 0, v50
	v_cmp_neq_f32_e64 s1, 0, v51
	s_or_b32 s1, vcc_lo, s1
	s_delay_alu instid0(SALU_CYCLE_1)
	s_and_b32 exec_lo, exec_lo, s1
	s_cbranch_execz .LBB117_215
; %bb.210:
	v_cmp_ngt_f32_e64 s1, |v50|, |v51|
                                        ; implicit-def: $vgpr52_vgpr53
	s_and_saveexec_b32 s4, s1
	s_delay_alu instid0(SALU_CYCLE_1)
	s_xor_b32 s1, exec_lo, s4
	s_cbranch_execz .LBB117_212
; %bb.211:
	v_div_scale_f32 v52, null, v51, v51, v50
	v_div_scale_f32 v69, vcc_lo, v50, v51, v50
	s_delay_alu instid0(VALU_DEP_2) | instskip(SKIP_1) | instid1(TRANS32_DEP_1)
	v_rcp_f32_e32 v53, v52
	v_nop
	v_fma_f32 v68, -v52, v53, 1.0
	s_delay_alu instid0(VALU_DEP_1) | instskip(NEXT) | instid1(VALU_DEP_1)
	v_fmac_f32_e32 v53, v68, v53
	v_mul_f32_e32 v68, v69, v53
	s_delay_alu instid0(VALU_DEP_1) | instskip(NEXT) | instid1(VALU_DEP_1)
	v_fma_f32 v70, -v52, v68, v69
	v_fmac_f32_e32 v68, v70, v53
	s_delay_alu instid0(VALU_DEP_1) | instskip(NEXT) | instid1(VALU_DEP_1)
	v_fma_f32 v52, -v52, v68, v69
	v_div_fmas_f32 v52, v52, v53, v68
	s_delay_alu instid0(VALU_DEP_1) | instskip(NEXT) | instid1(VALU_DEP_1)
	v_div_fixup_f32 v52, v52, v51, v50
	v_fmac_f32_e32 v51, v50, v52
	s_delay_alu instid0(VALU_DEP_1) | instskip(SKIP_1) | instid1(VALU_DEP_2)
	v_div_scale_f32 v50, null, v51, v51, 1.0
	v_div_scale_f32 v69, vcc_lo, 1.0, v51, 1.0
	v_rcp_f32_e32 v53, v50
	v_nop
	s_delay_alu instid0(TRANS32_DEP_1) | instskip(NEXT) | instid1(VALU_DEP_1)
	v_fma_f32 v68, -v50, v53, 1.0
	v_fmac_f32_e32 v53, v68, v53
	s_delay_alu instid0(VALU_DEP_1) | instskip(NEXT) | instid1(VALU_DEP_1)
	v_mul_f32_e32 v68, v69, v53
	v_fma_f32 v70, -v50, v68, v69
	s_delay_alu instid0(VALU_DEP_1) | instskip(NEXT) | instid1(VALU_DEP_1)
	v_fmac_f32_e32 v68, v70, v53
	v_fma_f32 v50, -v50, v68, v69
	s_delay_alu instid0(VALU_DEP_1) | instskip(NEXT) | instid1(VALU_DEP_1)
	v_div_fmas_f32 v50, v50, v53, v68
	v_div_fixup_f32 v50, v50, v51, 1.0
	s_delay_alu instid0(VALU_DEP_1)
	v_mul_f32_e32 v52, v52, v50
	v_xor_b32_e32 v53, 0x80000000, v50
                                        ; implicit-def: $vgpr50_vgpr51
.LBB117_212:
	s_and_not1_saveexec_b32 s1, s1
	s_cbranch_execz .LBB117_214
; %bb.213:
	v_div_scale_f32 v52, null, v50, v50, v51
	v_div_scale_f32 v69, vcc_lo, v51, v50, v51
	s_delay_alu instid0(VALU_DEP_2) | instskip(SKIP_1) | instid1(TRANS32_DEP_1)
	v_rcp_f32_e32 v53, v52
	v_nop
	v_fma_f32 v68, -v52, v53, 1.0
	s_delay_alu instid0(VALU_DEP_1) | instskip(NEXT) | instid1(VALU_DEP_1)
	v_fmac_f32_e32 v53, v68, v53
	v_mul_f32_e32 v68, v69, v53
	s_delay_alu instid0(VALU_DEP_1) | instskip(NEXT) | instid1(VALU_DEP_1)
	v_fma_f32 v70, -v52, v68, v69
	v_fmac_f32_e32 v68, v70, v53
	s_delay_alu instid0(VALU_DEP_1) | instskip(NEXT) | instid1(VALU_DEP_1)
	v_fma_f32 v52, -v52, v68, v69
	v_div_fmas_f32 v52, v52, v53, v68
	s_delay_alu instid0(VALU_DEP_1) | instskip(NEXT) | instid1(VALU_DEP_1)
	v_div_fixup_f32 v53, v52, v50, v51
	v_fmac_f32_e32 v50, v51, v53
	s_delay_alu instid0(VALU_DEP_1) | instskip(NEXT) | instid1(VALU_DEP_1)
	v_div_scale_f32 v51, null, v50, v50, 1.0
	v_rcp_f32_e32 v52, v51
	v_nop
	s_delay_alu instid0(TRANS32_DEP_1) | instskip(NEXT) | instid1(VALU_DEP_1)
	v_fma_f32 v68, -v51, v52, 1.0
	v_fmac_f32_e32 v52, v68, v52
	v_div_scale_f32 v68, vcc_lo, 1.0, v50, 1.0
	s_delay_alu instid0(VALU_DEP_1) | instskip(NEXT) | instid1(VALU_DEP_1)
	v_mul_f32_e32 v69, v68, v52
	v_fma_f32 v70, -v51, v69, v68
	s_delay_alu instid0(VALU_DEP_1) | instskip(NEXT) | instid1(VALU_DEP_1)
	v_fmac_f32_e32 v69, v70, v52
	v_fma_f32 v51, -v51, v69, v68
	s_delay_alu instid0(VALU_DEP_1) | instskip(NEXT) | instid1(VALU_DEP_1)
	v_div_fmas_f32 v51, v51, v52, v69
	v_div_fixup_f32 v52, v51, v50, 1.0
	s_delay_alu instid0(VALU_DEP_1)
	v_mul_f32_e64 v53, v53, -v52
.LBB117_214:
	s_or_b32 exec_lo, exec_lo, s1
	ds_store_b64 v201, v[52:53]
.LBB117_215:
	s_or_b32 exec_lo, exec_lo, s2
	s_wait_dscnt 0x0
	s_barrier_signal -1
	s_barrier_wait -1
	ds_load_b64 v[50:51], v201
	s_mov_b32 s1, exec_lo
	v_cmpx_lt_u32_e32 23, v200
	s_cbranch_execz .LBB117_217
; %bb.216:
	ds_load_2addr_b64 v[70:73], v202 offset0:24 offset1:25
	s_wait_dscnt 0x1
	v_pk_mul_f32 v[68:69], v[50:51], v[92:93] op_sel:[1,1] op_sel_hi:[0,1]
	s_delay_alu instid0(VALU_DEP_1) | instskip(SKIP_1) | instid1(VALU_DEP_1)
	v_pk_fma_f32 v[52:53], v[50:51], v[92:93], v[68:69] op_sel_hi:[1,0,1] neg_lo:[0,0,1] neg_hi:[0,0,1]
	v_pk_fma_f32 v[68:69], v[50:51], v[92:93], v[68:69] op_sel_hi:[1,0,1]
	v_dual_mov_b32 v92, v52 :: v_dual_mov_b32 v93, v69
	s_wait_dscnt 0x0
	s_delay_alu instid0(VALU_DEP_2) | instskip(NEXT) | instid1(VALU_DEP_1)
	v_pk_mul_f32 v[74:75], v[70:71], v[68:69] op_sel:[0,1]
	v_pk_fma_f32 v[84:85], v[70:71], v[52:53], v[74:75] op_sel:[0,0,1] op_sel_hi:[1,1,0] neg_lo:[0,0,1] neg_hi:[0,0,1]
	v_pk_fma_f32 v[70:71], v[70:71], v[52:53], v[74:75] op_sel:[0,0,1] op_sel_hi:[1,0,0]
	s_delay_alu instid0(VALU_DEP_1) | instskip(SKIP_1) | instid1(VALU_DEP_1)
	v_mov_b32_e32 v85, v71
	v_pk_mul_f32 v[70:71], v[72:73], v[68:69] op_sel:[0,1]
	v_pk_fma_f32 v[74:75], v[72:73], v[52:53], v[70:71] op_sel:[0,0,1] op_sel_hi:[1,1,0] neg_lo:[0,0,1] neg_hi:[0,0,1]
	v_pk_fma_f32 v[70:71], v[72:73], v[52:53], v[70:71] op_sel:[0,0,1] op_sel_hi:[1,0,0]
	s_delay_alu instid0(VALU_DEP_1)
	v_mov_b32_e32 v75, v71
	ds_load_2addr_b64 v[70:73], v202 offset0:26 offset1:27
	v_pk_add_f32 v[114:115], v[114:115], v[84:85] neg_lo:[0,1] neg_hi:[0,1]
	v_pk_add_f32 v[110:111], v[110:111], v[74:75] neg_lo:[0,1] neg_hi:[0,1]
	s_wait_dscnt 0x0
	v_pk_mul_f32 v[74:75], v[70:71], v[68:69] op_sel:[0,1]
	s_delay_alu instid0(VALU_DEP_1) | instskip(SKIP_2) | instid1(VALU_DEP_2)
	v_pk_fma_f32 v[84:85], v[70:71], v[52:53], v[74:75] op_sel:[0,0,1] op_sel_hi:[1,1,0] neg_lo:[0,0,1] neg_hi:[0,0,1]
	v_pk_fma_f32 v[70:71], v[70:71], v[52:53], v[74:75] op_sel:[0,0,1] op_sel_hi:[1,0,0]
	v_dual_mul_f32 v74, v73, v69 :: v_dual_mov_b32 v70, v73
	v_dual_mov_b32 v85, v71 :: v_dual_mov_b32 v71, v72
	s_delay_alu instid0(VALU_DEP_2) | instskip(SKIP_1) | instid1(VALU_DEP_3)
	v_pk_fma_f32 v[74:75], v[72:73], v[92:93], v[74:75] op_sel_hi:[1,1,0] neg_lo:[0,0,1] neg_hi:[0,0,1]
	v_mul_f32_e32 v72, v73, v52
	v_pk_add_f32 v[112:113], v[112:113], v[84:85] neg_lo:[0,1] neg_hi:[0,1]
	s_delay_alu instid0(VALU_DEP_2) | instskip(NEXT) | instid1(VALU_DEP_1)
	v_pk_fma_f32 v[70:71], v[70:71], v[92:93], v[72:73] op_sel_hi:[1,1,0]
	v_mov_b32_e32 v75, v71
	ds_load_2addr_b64 v[70:73], v202 offset0:28 offset1:29
	v_pk_add_f32 v[108:109], v[108:109], v[74:75] neg_lo:[0,1] neg_hi:[0,1]
	s_wait_dscnt 0x0
	v_pk_mul_f32 v[74:75], v[70:71], v[68:69] op_sel:[0,1]
	s_delay_alu instid0(VALU_DEP_1) | instskip(SKIP_1) | instid1(VALU_DEP_1)
	v_pk_fma_f32 v[84:85], v[70:71], v[52:53], v[74:75] op_sel:[0,0,1] op_sel_hi:[1,1,0] neg_lo:[0,0,1] neg_hi:[0,0,1]
	v_pk_fma_f32 v[70:71], v[70:71], v[52:53], v[74:75] op_sel:[0,0,1] op_sel_hi:[1,0,0]
	v_mov_b32_e32 v85, v71
	v_pk_mul_f32 v[70:71], v[72:73], v[68:69] op_sel:[0,1]
	s_delay_alu instid0(VALU_DEP_1) | instskip(SKIP_1) | instid1(VALU_DEP_1)
	v_pk_fma_f32 v[74:75], v[72:73], v[52:53], v[70:71] op_sel:[0,0,1] op_sel_hi:[1,1,0] neg_lo:[0,0,1] neg_hi:[0,0,1]
	v_pk_fma_f32 v[70:71], v[72:73], v[52:53], v[70:71] op_sel:[0,0,1] op_sel_hi:[1,0,0]
	v_mov_b32_e32 v75, v71
	ds_load_2addr_b64 v[70:73], v202 offset0:30 offset1:31
	v_pk_add_f32 v[130:131], v[130:131], v[84:85] neg_lo:[0,1] neg_hi:[0,1]
	v_pk_add_f32 v[126:127], v[126:127], v[74:75] neg_lo:[0,1] neg_hi:[0,1]
	s_wait_dscnt 0x0
	v_pk_mul_f32 v[74:75], v[70:71], v[68:69] op_sel:[0,1]
	s_delay_alu instid0(VALU_DEP_1) | instskip(SKIP_1) | instid1(VALU_DEP_1)
	v_pk_fma_f32 v[84:85], v[70:71], v[52:53], v[74:75] op_sel:[0,0,1] op_sel_hi:[1,1,0] neg_lo:[0,0,1] neg_hi:[0,0,1]
	v_pk_fma_f32 v[70:71], v[70:71], v[52:53], v[74:75] op_sel:[0,0,1] op_sel_hi:[1,0,0]
	v_mov_b32_e32 v85, v71
	v_pk_mul_f32 v[70:71], v[72:73], v[68:69] op_sel:[0,1]
	s_delay_alu instid0(VALU_DEP_1) | instskip(SKIP_1) | instid1(VALU_DEP_1)
	v_pk_fma_f32 v[74:75], v[72:73], v[52:53], v[70:71] op_sel:[0,0,1] op_sel_hi:[1,1,0] neg_lo:[0,0,1] neg_hi:[0,0,1]
	v_pk_fma_f32 v[70:71], v[72:73], v[52:53], v[70:71] op_sel:[0,0,1] op_sel_hi:[1,0,0]
	v_mov_b32_e32 v75, v71
	ds_load_2addr_b64 v[70:73], v202 offset0:32 offset1:33
	v_pk_add_f32 v[128:129], v[128:129], v[84:85] neg_lo:[0,1] neg_hi:[0,1]
	v_pk_add_f32 v[124:125], v[124:125], v[74:75] neg_lo:[0,1] neg_hi:[0,1]
	s_wait_dscnt 0x0
	v_dual_mul_f32 v74, v71, v69 :: v_dual_mul_f32 v84, v71, v52
	s_delay_alu instid0(VALU_DEP_1) | instskip(NEXT) | instid1(VALU_DEP_2)
	v_pk_fma_f32 v[74:75], v[70:71], v[92:93], v[74:75] op_sel_hi:[1,1,0] neg_lo:[0,0,1] neg_hi:[0,0,1]
	v_pk_fma_f32 v[70:71], v[70:71], v[92:93], v[84:85] op_sel:[1,0,0] op_sel_hi:[0,1,0]
	s_delay_alu instid0(VALU_DEP_1) | instskip(SKIP_1) | instid1(VALU_DEP_2)
	v_mov_b32_e32 v75, v71
	v_pk_mul_f32 v[70:71], v[72:73], v[68:69] op_sel:[0,1]
	v_pk_add_f32 v[146:147], v[146:147], v[74:75] neg_lo:[0,1] neg_hi:[0,1]
	s_delay_alu instid0(VALU_DEP_2) | instskip(SKIP_1) | instid1(VALU_DEP_1)
	v_pk_fma_f32 v[74:75], v[72:73], v[52:53], v[70:71] op_sel:[0,0,1] op_sel_hi:[1,1,0] neg_lo:[0,0,1] neg_hi:[0,0,1]
	v_pk_fma_f32 v[70:71], v[72:73], v[52:53], v[70:71] op_sel:[0,0,1] op_sel_hi:[1,0,0]
	v_mov_b32_e32 v75, v71
	ds_load_2addr_b64 v[70:73], v202 offset0:34 offset1:35
	v_pk_add_f32 v[142:143], v[142:143], v[74:75] neg_lo:[0,1] neg_hi:[0,1]
	s_wait_dscnt 0x0
	v_pk_mul_f32 v[74:75], v[70:71], v[68:69] op_sel:[0,1]
	s_delay_alu instid0(VALU_DEP_1) | instskip(SKIP_1) | instid1(VALU_DEP_1)
	v_pk_fma_f32 v[84:85], v[70:71], v[52:53], v[74:75] op_sel:[0,0,1] op_sel_hi:[1,1,0] neg_lo:[0,0,1] neg_hi:[0,0,1]
	v_pk_fma_f32 v[70:71], v[70:71], v[52:53], v[74:75] op_sel:[0,0,1] op_sel_hi:[1,0,0]
	v_mov_b32_e32 v85, v71
	v_pk_mul_f32 v[70:71], v[72:73], v[68:69] op_sel:[0,1]
	s_delay_alu instid0(VALU_DEP_2) | instskip(NEXT) | instid1(VALU_DEP_2)
	v_pk_add_f32 v[144:145], v[144:145], v[84:85] neg_lo:[0,1] neg_hi:[0,1]
	v_pk_fma_f32 v[74:75], v[72:73], v[52:53], v[70:71] op_sel:[0,0,1] op_sel_hi:[1,1,0] neg_lo:[0,0,1] neg_hi:[0,0,1]
	v_pk_fma_f32 v[70:71], v[72:73], v[52:53], v[70:71] op_sel:[0,0,1] op_sel_hi:[1,0,0]
	s_delay_alu instid0(VALU_DEP_1) | instskip(SKIP_4) | instid1(VALU_DEP_1)
	v_mov_b32_e32 v75, v71
	ds_load_2addr_b64 v[70:73], v202 offset0:36 offset1:37
	v_pk_add_f32 v[140:141], v[140:141], v[74:75] neg_lo:[0,1] neg_hi:[0,1]
	s_wait_dscnt 0x0
	v_pk_mul_f32 v[74:75], v[70:71], v[68:69] op_sel:[0,1]
	v_pk_fma_f32 v[84:85], v[70:71], v[52:53], v[74:75] op_sel:[0,0,1] op_sel_hi:[1,1,0] neg_lo:[0,0,1] neg_hi:[0,0,1]
	v_pk_fma_f32 v[70:71], v[70:71], v[52:53], v[74:75] op_sel:[0,0,1] op_sel_hi:[1,0,0]
	v_dual_mul_f32 v74, v73, v69 :: v_dual_mov_b32 v70, v73
	s_delay_alu instid0(VALU_DEP_2) | instskip(NEXT) | instid1(VALU_DEP_2)
	v_dual_mov_b32 v85, v71 :: v_dual_mov_b32 v71, v72
	v_pk_fma_f32 v[74:75], v[72:73], v[92:93], v[74:75] op_sel_hi:[1,1,0] neg_lo:[0,0,1] neg_hi:[0,0,1]
	v_mul_f32_e32 v72, v73, v52
	s_delay_alu instid0(VALU_DEP_3) | instskip(NEXT) | instid1(VALU_DEP_2)
	v_pk_add_f32 v[162:163], v[162:163], v[84:85] neg_lo:[0,1] neg_hi:[0,1]
	v_pk_fma_f32 v[70:71], v[70:71], v[92:93], v[72:73] op_sel_hi:[1,1,0]
	s_delay_alu instid0(VALU_DEP_1) | instskip(SKIP_4) | instid1(VALU_DEP_1)
	v_mov_b32_e32 v75, v71
	ds_load_2addr_b64 v[70:73], v202 offset0:38 offset1:39
	v_pk_add_f32 v[158:159], v[158:159], v[74:75] neg_lo:[0,1] neg_hi:[0,1]
	s_wait_dscnt 0x0
	v_pk_mul_f32 v[74:75], v[70:71], v[68:69] op_sel:[0,1]
	v_pk_fma_f32 v[84:85], v[70:71], v[52:53], v[74:75] op_sel:[0,0,1] op_sel_hi:[1,1,0] neg_lo:[0,0,1] neg_hi:[0,0,1]
	v_pk_fma_f32 v[70:71], v[70:71], v[52:53], v[74:75] op_sel:[0,0,1] op_sel_hi:[1,0,0]
	s_delay_alu instid0(VALU_DEP_1) | instskip(SKIP_1) | instid1(VALU_DEP_1)
	v_mov_b32_e32 v85, v71
	v_pk_mul_f32 v[70:71], v[72:73], v[68:69] op_sel:[0,1]
	v_pk_fma_f32 v[74:75], v[72:73], v[52:53], v[70:71] op_sel:[0,0,1] op_sel_hi:[1,1,0] neg_lo:[0,0,1] neg_hi:[0,0,1]
	v_pk_fma_f32 v[70:71], v[72:73], v[52:53], v[70:71] op_sel:[0,0,1] op_sel_hi:[1,0,0]
	s_delay_alu instid0(VALU_DEP_1)
	v_mov_b32_e32 v75, v71
	ds_load_2addr_b64 v[70:73], v202 offset0:40 offset1:41
	v_pk_add_f32 v[160:161], v[160:161], v[84:85] neg_lo:[0,1] neg_hi:[0,1]
	v_pk_add_f32 v[156:157], v[156:157], v[74:75] neg_lo:[0,1] neg_hi:[0,1]
	s_wait_dscnt 0x0
	v_pk_mul_f32 v[74:75], v[70:71], v[68:69] op_sel:[0,1]
	s_delay_alu instid0(VALU_DEP_1) | instskip(SKIP_1) | instid1(VALU_DEP_1)
	v_pk_fma_f32 v[84:85], v[70:71], v[52:53], v[74:75] op_sel:[0,0,1] op_sel_hi:[1,1,0] neg_lo:[0,0,1] neg_hi:[0,0,1]
	v_pk_fma_f32 v[70:71], v[70:71], v[52:53], v[74:75] op_sel:[0,0,1] op_sel_hi:[1,0,0]
	v_mov_b32_e32 v85, v71
	v_pk_mul_f32 v[70:71], v[72:73], v[68:69] op_sel:[0,1]
	s_delay_alu instid0(VALU_DEP_1) | instskip(SKIP_1) | instid1(VALU_DEP_1)
	v_pk_fma_f32 v[74:75], v[72:73], v[52:53], v[70:71] op_sel:[0,0,1] op_sel_hi:[1,1,0] neg_lo:[0,0,1] neg_hi:[0,0,1]
	v_pk_fma_f32 v[70:71], v[72:73], v[52:53], v[70:71] op_sel:[0,0,1] op_sel_hi:[1,0,0]
	v_mov_b32_e32 v75, v71
	ds_load_2addr_b64 v[70:73], v202 offset0:42 offset1:43
	v_pk_add_f32 v[178:179], v[178:179], v[84:85] neg_lo:[0,1] neg_hi:[0,1]
	v_pk_add_f32 v[174:175], v[174:175], v[74:75] neg_lo:[0,1] neg_hi:[0,1]
	s_wait_dscnt 0x0
	v_dual_mul_f32 v74, v71, v69 :: v_dual_mul_f32 v84, v71, v52
	s_delay_alu instid0(VALU_DEP_1) | instskip(NEXT) | instid1(VALU_DEP_2)
	v_pk_fma_f32 v[74:75], v[70:71], v[92:93], v[74:75] op_sel_hi:[1,1,0] neg_lo:[0,0,1] neg_hi:[0,0,1]
	v_pk_fma_f32 v[70:71], v[70:71], v[92:93], v[84:85] op_sel:[1,0,0] op_sel_hi:[0,1,0]
	s_delay_alu instid0(VALU_DEP_1) | instskip(SKIP_1) | instid1(VALU_DEP_2)
	v_mov_b32_e32 v75, v71
	v_pk_mul_f32 v[70:71], v[72:73], v[68:69] op_sel:[0,1]
	v_pk_add_f32 v[176:177], v[176:177], v[74:75] neg_lo:[0,1] neg_hi:[0,1]
	s_delay_alu instid0(VALU_DEP_2) | instskip(SKIP_1) | instid1(VALU_DEP_1)
	v_pk_fma_f32 v[74:75], v[72:73], v[52:53], v[70:71] op_sel:[0,0,1] op_sel_hi:[1,1,0] neg_lo:[0,0,1] neg_hi:[0,0,1]
	v_pk_fma_f32 v[70:71], v[72:73], v[52:53], v[70:71] op_sel:[0,0,1] op_sel_hi:[1,0,0]
	v_mov_b32_e32 v75, v71
	ds_load_2addr_b64 v[70:73], v202 offset0:44 offset1:45
	v_pk_add_f32 v[172:173], v[172:173], v[74:75] neg_lo:[0,1] neg_hi:[0,1]
	s_wait_dscnt 0x0
	v_pk_mul_f32 v[74:75], v[70:71], v[68:69] op_sel:[0,1]
	s_delay_alu instid0(VALU_DEP_1) | instskip(SKIP_1) | instid1(VALU_DEP_1)
	v_pk_fma_f32 v[84:85], v[70:71], v[52:53], v[74:75] op_sel:[0,0,1] op_sel_hi:[1,1,0] neg_lo:[0,0,1] neg_hi:[0,0,1]
	v_pk_fma_f32 v[70:71], v[70:71], v[52:53], v[74:75] op_sel:[0,0,1] op_sel_hi:[1,0,0]
	v_mov_b32_e32 v85, v71
	v_pk_mul_f32 v[70:71], v[72:73], v[68:69] op_sel:[0,1]
	s_delay_alu instid0(VALU_DEP_2) | instskip(NEXT) | instid1(VALU_DEP_2)
	v_pk_add_f32 v[194:195], v[194:195], v[84:85] neg_lo:[0,1] neg_hi:[0,1]
	v_pk_fma_f32 v[74:75], v[72:73], v[52:53], v[70:71] op_sel:[0,0,1] op_sel_hi:[1,1,0] neg_lo:[0,0,1] neg_hi:[0,0,1]
	v_pk_fma_f32 v[70:71], v[72:73], v[52:53], v[70:71] op_sel:[0,0,1] op_sel_hi:[1,0,0]
	s_delay_alu instid0(VALU_DEP_1) | instskip(SKIP_4) | instid1(VALU_DEP_1)
	v_mov_b32_e32 v75, v71
	ds_load_2addr_b64 v[70:73], v202 offset0:46 offset1:47
	v_pk_add_f32 v[190:191], v[190:191], v[74:75] neg_lo:[0,1] neg_hi:[0,1]
	s_wait_dscnt 0x0
	v_pk_mul_f32 v[74:75], v[70:71], v[68:69] op_sel:[0,1]
	v_pk_fma_f32 v[84:85], v[70:71], v[52:53], v[74:75] op_sel:[0,0,1] op_sel_hi:[1,1,0] neg_lo:[0,0,1] neg_hi:[0,0,1]
	v_pk_fma_f32 v[70:71], v[70:71], v[52:53], v[74:75] op_sel:[0,0,1] op_sel_hi:[1,0,0]
	v_dual_mul_f32 v74, v73, v69 :: v_dual_mov_b32 v70, v73
	s_delay_alu instid0(VALU_DEP_2) | instskip(NEXT) | instid1(VALU_DEP_2)
	v_dual_mov_b32 v85, v71 :: v_dual_mov_b32 v71, v72
	v_pk_fma_f32 v[74:75], v[72:73], v[92:93], v[74:75] op_sel_hi:[1,1,0] neg_lo:[0,0,1] neg_hi:[0,0,1]
	v_mul_f32_e32 v72, v73, v52
	s_delay_alu instid0(VALU_DEP_3) | instskip(NEXT) | instid1(VALU_DEP_2)
	v_pk_add_f32 v[192:193], v[192:193], v[84:85] neg_lo:[0,1] neg_hi:[0,1]
	v_pk_fma_f32 v[70:71], v[70:71], v[92:93], v[72:73] op_sel_hi:[1,1,0]
	s_delay_alu instid0(VALU_DEP_1) | instskip(SKIP_4) | instid1(VALU_DEP_1)
	v_mov_b32_e32 v75, v71
	ds_load_2addr_b64 v[70:73], v202 offset0:48 offset1:49
	v_pk_add_f32 v[188:189], v[188:189], v[74:75] neg_lo:[0,1] neg_hi:[0,1]
	s_wait_dscnt 0x0
	v_pk_mul_f32 v[74:75], v[70:71], v[68:69] op_sel:[0,1]
	v_pk_fma_f32 v[84:85], v[70:71], v[52:53], v[74:75] op_sel:[0,0,1] op_sel_hi:[1,1,0] neg_lo:[0,0,1] neg_hi:[0,0,1]
	v_pk_fma_f32 v[70:71], v[70:71], v[52:53], v[74:75] op_sel:[0,0,1] op_sel_hi:[1,0,0]
	s_delay_alu instid0(VALU_DEP_1) | instskip(SKIP_1) | instid1(VALU_DEP_1)
	v_mov_b32_e32 v85, v71
	v_pk_mul_f32 v[70:71], v[72:73], v[68:69] op_sel:[0,1]
	v_pk_fma_f32 v[74:75], v[72:73], v[52:53], v[70:71] op_sel:[0,0,1] op_sel_hi:[1,1,0] neg_lo:[0,0,1] neg_hi:[0,0,1]
	v_pk_fma_f32 v[70:71], v[72:73], v[52:53], v[70:71] op_sel:[0,0,1] op_sel_hi:[1,0,0]
	s_delay_alu instid0(VALU_DEP_1)
	v_mov_b32_e32 v75, v71
	ds_load_2addr_b64 v[70:73], v202 offset0:50 offset1:51
	v_pk_add_f32 v[212:213], v[212:213], v[84:85] neg_lo:[0,1] neg_hi:[0,1]
	v_pk_add_f32 v[208:209], v[208:209], v[74:75] neg_lo:[0,1] neg_hi:[0,1]
	s_wait_dscnt 0x0
	v_pk_mul_f32 v[74:75], v[70:71], v[68:69] op_sel:[0,1]
	s_delay_alu instid0(VALU_DEP_1) | instskip(SKIP_1) | instid1(VALU_DEP_1)
	v_pk_fma_f32 v[84:85], v[70:71], v[52:53], v[74:75] op_sel:[0,0,1] op_sel_hi:[1,1,0] neg_lo:[0,0,1] neg_hi:[0,0,1]
	v_pk_fma_f32 v[70:71], v[70:71], v[52:53], v[74:75] op_sel:[0,0,1] op_sel_hi:[1,0,0]
	v_mov_b32_e32 v85, v71
	v_pk_mul_f32 v[70:71], v[72:73], v[68:69] op_sel:[0,1]
	s_delay_alu instid0(VALU_DEP_1) | instskip(SKIP_1) | instid1(VALU_DEP_1)
	v_pk_fma_f32 v[74:75], v[72:73], v[52:53], v[70:71] op_sel:[0,0,1] op_sel_hi:[1,1,0] neg_lo:[0,0,1] neg_hi:[0,0,1]
	v_pk_fma_f32 v[70:71], v[72:73], v[52:53], v[70:71] op_sel:[0,0,1] op_sel_hi:[1,0,0]
	v_mov_b32_e32 v75, v71
	ds_load_2addr_b64 v[70:73], v202 offset0:52 offset1:53
	v_pk_add_f32 v[210:211], v[210:211], v[84:85] neg_lo:[0,1] neg_hi:[0,1]
	v_pk_add_f32 v[206:207], v[206:207], v[74:75] neg_lo:[0,1] neg_hi:[0,1]
	s_wait_dscnt 0x0
	v_dual_mul_f32 v74, v71, v69 :: v_dual_mul_f32 v84, v71, v52
	s_delay_alu instid0(VALU_DEP_1) | instskip(NEXT) | instid1(VALU_DEP_2)
	v_pk_fma_f32 v[74:75], v[70:71], v[92:93], v[74:75] op_sel_hi:[1,1,0] neg_lo:[0,0,1] neg_hi:[0,0,1]
	v_pk_fma_f32 v[70:71], v[70:71], v[92:93], v[84:85] op_sel:[1,0,0] op_sel_hi:[0,1,0]
	s_delay_alu instid0(VALU_DEP_1) | instskip(SKIP_1) | instid1(VALU_DEP_2)
	v_mov_b32_e32 v75, v71
	v_pk_mul_f32 v[70:71], v[72:73], v[68:69] op_sel:[0,1]
	v_pk_add_f32 v[232:233], v[232:233], v[74:75] neg_lo:[0,1] neg_hi:[0,1]
	s_delay_alu instid0(VALU_DEP_2) | instskip(SKIP_1) | instid1(VALU_DEP_1)
	v_pk_fma_f32 v[74:75], v[72:73], v[52:53], v[70:71] op_sel:[0,0,1] op_sel_hi:[1,1,0] neg_lo:[0,0,1] neg_hi:[0,0,1]
	v_pk_fma_f32 v[70:71], v[72:73], v[52:53], v[70:71] op_sel:[0,0,1] op_sel_hi:[1,0,0]
	v_mov_b32_e32 v75, v71
	ds_load_2addr_b64 v[70:73], v202 offset0:54 offset1:55
	v_pk_add_f32 v[226:227], v[226:227], v[74:75] neg_lo:[0,1] neg_hi:[0,1]
	s_wait_dscnt 0x0
	v_pk_mul_f32 v[74:75], v[70:71], v[68:69] op_sel:[0,1]
	s_delay_alu instid0(VALU_DEP_1) | instskip(SKIP_1) | instid1(VALU_DEP_1)
	v_pk_fma_f32 v[84:85], v[70:71], v[52:53], v[74:75] op_sel:[0,0,1] op_sel_hi:[1,1,0] neg_lo:[0,0,1] neg_hi:[0,0,1]
	v_pk_fma_f32 v[70:71], v[70:71], v[52:53], v[74:75] op_sel:[0,0,1] op_sel_hi:[1,0,0]
	v_mov_b32_e32 v85, v71
	v_pk_mul_f32 v[70:71], v[72:73], v[68:69] op_sel:[0,1]
	s_delay_alu instid0(VALU_DEP_2) | instskip(NEXT) | instid1(VALU_DEP_2)
	v_pk_add_f32 v[230:231], v[230:231], v[84:85] neg_lo:[0,1] neg_hi:[0,1]
	v_pk_fma_f32 v[74:75], v[72:73], v[52:53], v[70:71] op_sel:[0,0,1] op_sel_hi:[1,1,0] neg_lo:[0,0,1] neg_hi:[0,0,1]
	v_pk_fma_f32 v[70:71], v[72:73], v[52:53], v[70:71] op_sel:[0,0,1] op_sel_hi:[1,0,0]
	s_delay_alu instid0(VALU_DEP_1) | instskip(SKIP_4) | instid1(VALU_DEP_1)
	v_mov_b32_e32 v75, v71
	ds_load_2addr_b64 v[70:73], v202 offset0:56 offset1:57
	v_pk_add_f32 v[224:225], v[224:225], v[74:75] neg_lo:[0,1] neg_hi:[0,1]
	s_wait_dscnt 0x0
	v_pk_mul_f32 v[74:75], v[70:71], v[68:69] op_sel:[0,1]
	v_pk_fma_f32 v[84:85], v[70:71], v[52:53], v[74:75] op_sel:[0,0,1] op_sel_hi:[1,1,0] neg_lo:[0,0,1] neg_hi:[0,0,1]
	v_pk_fma_f32 v[70:71], v[70:71], v[52:53], v[74:75] op_sel:[0,0,1] op_sel_hi:[1,0,0]
	v_dual_mul_f32 v74, v73, v69 :: v_dual_mov_b32 v70, v73
	s_delay_alu instid0(VALU_DEP_2) | instskip(NEXT) | instid1(VALU_DEP_2)
	v_dual_mov_b32 v85, v71 :: v_dual_mov_b32 v71, v72
	v_pk_fma_f32 v[74:75], v[72:73], v[92:93], v[74:75] op_sel_hi:[1,1,0] neg_lo:[0,0,1] neg_hi:[0,0,1]
	v_mul_f32_e32 v72, v73, v52
	s_delay_alu instid0(VALU_DEP_3) | instskip(NEXT) | instid1(VALU_DEP_2)
	v_pk_add_f32 v[228:229], v[228:229], v[84:85] neg_lo:[0,1] neg_hi:[0,1]
	v_pk_fma_f32 v[70:71], v[70:71], v[92:93], v[72:73] op_sel_hi:[1,1,0]
	s_delay_alu instid0(VALU_DEP_1) | instskip(SKIP_4) | instid1(VALU_DEP_1)
	v_mov_b32_e32 v75, v71
	ds_load_b64 v[70:71], v202 offset:464
	v_pk_add_f32 v[234:235], v[234:235], v[74:75] neg_lo:[0,1] neg_hi:[0,1]
	s_wait_dscnt 0x0
	v_pk_mul_f32 v[68:69], v[70:71], v[68:69] op_sel:[0,1]
	v_pk_fma_f32 v[72:73], v[70:71], v[52:53], v[68:69] op_sel:[0,0,1] op_sel_hi:[1,1,0] neg_lo:[0,0,1] neg_hi:[0,0,1]
	v_pk_fma_f32 v[52:53], v[70:71], v[52:53], v[68:69] op_sel:[0,0,1] op_sel_hi:[1,0,0]
	s_delay_alu instid0(VALU_DEP_1) | instskip(NEXT) | instid1(VALU_DEP_1)
	v_mov_b32_e32 v73, v53
	v_pk_add_f32 v[236:237], v[236:237], v[72:73] neg_lo:[0,1] neg_hi:[0,1]
.LBB117_217:
	s_or_b32 exec_lo, exec_lo, s1
	s_delay_alu instid0(SALU_CYCLE_1)
	s_mov_b32 s2, exec_lo
	s_wait_dscnt 0x0
	s_barrier_signal -1
	s_barrier_wait -1
	v_cmpx_eq_u32_e32 24, v200
	s_cbranch_execz .LBB117_224
; %bb.218:
	ds_store_b64 v201, v[114:115]
	ds_store_2addr_b64 v202, v[110:111], v[112:113] offset0:25 offset1:26
	ds_store_2addr_b64 v202, v[108:109], v[130:131] offset0:27 offset1:28
	;; [unrolled: 1-line block ×17, first 2 shown]
	ds_load_b64 v[52:53], v201
	s_wait_dscnt 0x0
	v_cmp_neq_f32_e32 vcc_lo, 0, v52
	v_cmp_neq_f32_e64 s1, 0, v53
	s_or_b32 s1, vcc_lo, s1
	s_delay_alu instid0(SALU_CYCLE_1)
	s_and_b32 exec_lo, exec_lo, s1
	s_cbranch_execz .LBB117_224
; %bb.219:
	v_cmp_ngt_f32_e64 s1, |v52|, |v53|
                                        ; implicit-def: $vgpr68_vgpr69
	s_and_saveexec_b32 s4, s1
	s_delay_alu instid0(SALU_CYCLE_1)
	s_xor_b32 s1, exec_lo, s4
	s_cbranch_execz .LBB117_221
; %bb.220:
	v_div_scale_f32 v68, null, v53, v53, v52
	v_div_scale_f32 v71, vcc_lo, v52, v53, v52
	s_delay_alu instid0(VALU_DEP_2) | instskip(SKIP_1) | instid1(TRANS32_DEP_1)
	v_rcp_f32_e32 v69, v68
	v_nop
	v_fma_f32 v70, -v68, v69, 1.0
	s_delay_alu instid0(VALU_DEP_1) | instskip(NEXT) | instid1(VALU_DEP_1)
	v_fmac_f32_e32 v69, v70, v69
	v_mul_f32_e32 v70, v71, v69
	s_delay_alu instid0(VALU_DEP_1) | instskip(NEXT) | instid1(VALU_DEP_1)
	v_fma_f32 v72, -v68, v70, v71
	v_fmac_f32_e32 v70, v72, v69
	s_delay_alu instid0(VALU_DEP_1) | instskip(NEXT) | instid1(VALU_DEP_1)
	v_fma_f32 v68, -v68, v70, v71
	v_div_fmas_f32 v68, v68, v69, v70
	s_delay_alu instid0(VALU_DEP_1) | instskip(NEXT) | instid1(VALU_DEP_1)
	v_div_fixup_f32 v68, v68, v53, v52
	v_fmac_f32_e32 v53, v52, v68
	s_delay_alu instid0(VALU_DEP_1) | instskip(SKIP_1) | instid1(VALU_DEP_2)
	v_div_scale_f32 v52, null, v53, v53, 1.0
	v_div_scale_f32 v71, vcc_lo, 1.0, v53, 1.0
	v_rcp_f32_e32 v69, v52
	v_nop
	s_delay_alu instid0(TRANS32_DEP_1) | instskip(NEXT) | instid1(VALU_DEP_1)
	v_fma_f32 v70, -v52, v69, 1.0
	v_fmac_f32_e32 v69, v70, v69
	s_delay_alu instid0(VALU_DEP_1) | instskip(NEXT) | instid1(VALU_DEP_1)
	v_mul_f32_e32 v70, v71, v69
	v_fma_f32 v72, -v52, v70, v71
	s_delay_alu instid0(VALU_DEP_1) | instskip(NEXT) | instid1(VALU_DEP_1)
	v_fmac_f32_e32 v70, v72, v69
	v_fma_f32 v52, -v52, v70, v71
	s_delay_alu instid0(VALU_DEP_1) | instskip(NEXT) | instid1(VALU_DEP_1)
	v_div_fmas_f32 v52, v52, v69, v70
	v_div_fixup_f32 v52, v52, v53, 1.0
	s_delay_alu instid0(VALU_DEP_1)
	v_mul_f32_e32 v68, v68, v52
	v_xor_b32_e32 v69, 0x80000000, v52
                                        ; implicit-def: $vgpr52_vgpr53
.LBB117_221:
	s_and_not1_saveexec_b32 s1, s1
	s_cbranch_execz .LBB117_223
; %bb.222:
	v_div_scale_f32 v68, null, v52, v52, v53
	v_div_scale_f32 v71, vcc_lo, v53, v52, v53
	s_delay_alu instid0(VALU_DEP_2) | instskip(SKIP_1) | instid1(TRANS32_DEP_1)
	v_rcp_f32_e32 v69, v68
	v_nop
	v_fma_f32 v70, -v68, v69, 1.0
	s_delay_alu instid0(VALU_DEP_1) | instskip(NEXT) | instid1(VALU_DEP_1)
	v_fmac_f32_e32 v69, v70, v69
	v_mul_f32_e32 v70, v71, v69
	s_delay_alu instid0(VALU_DEP_1) | instskip(NEXT) | instid1(VALU_DEP_1)
	v_fma_f32 v72, -v68, v70, v71
	v_fmac_f32_e32 v70, v72, v69
	s_delay_alu instid0(VALU_DEP_1) | instskip(NEXT) | instid1(VALU_DEP_1)
	v_fma_f32 v68, -v68, v70, v71
	v_div_fmas_f32 v68, v68, v69, v70
	s_delay_alu instid0(VALU_DEP_1) | instskip(NEXT) | instid1(VALU_DEP_1)
	v_div_fixup_f32 v69, v68, v52, v53
	v_fmac_f32_e32 v52, v53, v69
	s_delay_alu instid0(VALU_DEP_1) | instskip(NEXT) | instid1(VALU_DEP_1)
	v_div_scale_f32 v53, null, v52, v52, 1.0
	v_rcp_f32_e32 v68, v53
	v_nop
	s_delay_alu instid0(TRANS32_DEP_1) | instskip(NEXT) | instid1(VALU_DEP_1)
	v_fma_f32 v70, -v53, v68, 1.0
	v_fmac_f32_e32 v68, v70, v68
	v_div_scale_f32 v70, vcc_lo, 1.0, v52, 1.0
	s_delay_alu instid0(VALU_DEP_1) | instskip(NEXT) | instid1(VALU_DEP_1)
	v_mul_f32_e32 v71, v70, v68
	v_fma_f32 v72, -v53, v71, v70
	s_delay_alu instid0(VALU_DEP_1) | instskip(NEXT) | instid1(VALU_DEP_1)
	v_fmac_f32_e32 v71, v72, v68
	v_fma_f32 v53, -v53, v71, v70
	s_delay_alu instid0(VALU_DEP_1) | instskip(NEXT) | instid1(VALU_DEP_1)
	v_div_fmas_f32 v53, v53, v68, v71
	v_div_fixup_f32 v68, v53, v52, 1.0
	s_delay_alu instid0(VALU_DEP_1)
	v_mul_f32_e64 v69, v69, -v68
.LBB117_223:
	s_or_b32 exec_lo, exec_lo, s1
	ds_store_b64 v201, v[68:69]
.LBB117_224:
	s_or_b32 exec_lo, exec_lo, s2
	s_wait_dscnt 0x0
	s_barrier_signal -1
	s_barrier_wait -1
	ds_load_b64 v[52:53], v201
	s_mov_b32 s1, exec_lo
	v_cmpx_lt_u32_e32 24, v200
	s_cbranch_execz .LBB117_226
; %bb.225:
	ds_load_2addr_b64 v[72:75], v202 offset0:25 offset1:26
	s_wait_dscnt 0x1
	v_pk_mul_f32 v[70:71], v[52:53], v[114:115] op_sel:[1,1] op_sel_hi:[0,1]
	s_delay_alu instid0(VALU_DEP_1) | instskip(SKIP_1) | instid1(VALU_DEP_1)
	v_pk_fma_f32 v[68:69], v[52:53], v[114:115], v[70:71] op_sel_hi:[1,0,1] neg_lo:[0,0,1] neg_hi:[0,0,1]
	v_pk_fma_f32 v[70:71], v[52:53], v[114:115], v[70:71] op_sel_hi:[1,0,1]
	v_dual_mov_b32 v114, v68 :: v_dual_mov_b32 v115, v71
	s_wait_dscnt 0x0
	s_delay_alu instid0(VALU_DEP_2) | instskip(NEXT) | instid1(VALU_DEP_1)
	v_pk_mul_f32 v[84:85], v[72:73], v[70:71] op_sel:[0,1]
	v_pk_fma_f32 v[86:87], v[72:73], v[68:69], v[84:85] op_sel:[0,0,1] op_sel_hi:[1,1,0] neg_lo:[0,0,1] neg_hi:[0,0,1]
	v_pk_fma_f32 v[72:73], v[72:73], v[68:69], v[84:85] op_sel:[0,0,1] op_sel_hi:[1,0,0]
	s_delay_alu instid0(VALU_DEP_1) | instskip(SKIP_1) | instid1(VALU_DEP_1)
	v_mov_b32_e32 v87, v73
	v_pk_mul_f32 v[72:73], v[74:75], v[70:71] op_sel:[0,1]
	v_pk_fma_f32 v[84:85], v[74:75], v[68:69], v[72:73] op_sel:[0,0,1] op_sel_hi:[1,1,0] neg_lo:[0,0,1] neg_hi:[0,0,1]
	v_pk_fma_f32 v[72:73], v[74:75], v[68:69], v[72:73] op_sel:[0,0,1] op_sel_hi:[1,0,0]
	s_delay_alu instid0(VALU_DEP_1)
	v_mov_b32_e32 v85, v73
	ds_load_2addr_b64 v[72:75], v202 offset0:27 offset1:28
	v_pk_add_f32 v[110:111], v[110:111], v[86:87] neg_lo:[0,1] neg_hi:[0,1]
	v_pk_add_f32 v[112:113], v[112:113], v[84:85] neg_lo:[0,1] neg_hi:[0,1]
	s_wait_dscnt 0x0
	v_pk_mul_f32 v[84:85], v[72:73], v[70:71] op_sel:[0,1]
	s_delay_alu instid0(VALU_DEP_1) | instskip(SKIP_2) | instid1(VALU_DEP_2)
	v_pk_fma_f32 v[86:87], v[72:73], v[68:69], v[84:85] op_sel:[0,0,1] op_sel_hi:[1,1,0] neg_lo:[0,0,1] neg_hi:[0,0,1]
	v_pk_fma_f32 v[72:73], v[72:73], v[68:69], v[84:85] op_sel:[0,0,1] op_sel_hi:[1,0,0]
	v_dual_mul_f32 v84, v75, v71 :: v_dual_mov_b32 v72, v75
	v_dual_mov_b32 v87, v73 :: v_dual_mov_b32 v73, v74
	s_delay_alu instid0(VALU_DEP_2) | instskip(SKIP_1) | instid1(VALU_DEP_3)
	v_pk_fma_f32 v[84:85], v[74:75], v[114:115], v[84:85] op_sel_hi:[1,1,0] neg_lo:[0,0,1] neg_hi:[0,0,1]
	v_mul_f32_e32 v74, v75, v68
	v_pk_add_f32 v[108:109], v[108:109], v[86:87] neg_lo:[0,1] neg_hi:[0,1]
	s_delay_alu instid0(VALU_DEP_2) | instskip(NEXT) | instid1(VALU_DEP_1)
	v_pk_fma_f32 v[72:73], v[72:73], v[114:115], v[74:75] op_sel_hi:[1,1,0]
	v_mov_b32_e32 v85, v73
	ds_load_2addr_b64 v[72:75], v202 offset0:29 offset1:30
	v_pk_add_f32 v[130:131], v[130:131], v[84:85] neg_lo:[0,1] neg_hi:[0,1]
	s_wait_dscnt 0x0
	v_pk_mul_f32 v[84:85], v[72:73], v[70:71] op_sel:[0,1]
	s_delay_alu instid0(VALU_DEP_1) | instskip(SKIP_1) | instid1(VALU_DEP_1)
	v_pk_fma_f32 v[86:87], v[72:73], v[68:69], v[84:85] op_sel:[0,0,1] op_sel_hi:[1,1,0] neg_lo:[0,0,1] neg_hi:[0,0,1]
	v_pk_fma_f32 v[72:73], v[72:73], v[68:69], v[84:85] op_sel:[0,0,1] op_sel_hi:[1,0,0]
	v_mov_b32_e32 v87, v73
	v_pk_mul_f32 v[72:73], v[74:75], v[70:71] op_sel:[0,1]
	s_delay_alu instid0(VALU_DEP_1) | instskip(SKIP_1) | instid1(VALU_DEP_1)
	v_pk_fma_f32 v[84:85], v[74:75], v[68:69], v[72:73] op_sel:[0,0,1] op_sel_hi:[1,1,0] neg_lo:[0,0,1] neg_hi:[0,0,1]
	v_pk_fma_f32 v[72:73], v[74:75], v[68:69], v[72:73] op_sel:[0,0,1] op_sel_hi:[1,0,0]
	v_mov_b32_e32 v85, v73
	ds_load_2addr_b64 v[72:75], v202 offset0:31 offset1:32
	v_pk_add_f32 v[126:127], v[126:127], v[86:87] neg_lo:[0,1] neg_hi:[0,1]
	v_pk_add_f32 v[128:129], v[128:129], v[84:85] neg_lo:[0,1] neg_hi:[0,1]
	s_wait_dscnt 0x0
	v_pk_mul_f32 v[84:85], v[72:73], v[70:71] op_sel:[0,1]
	s_delay_alu instid0(VALU_DEP_1) | instskip(SKIP_1) | instid1(VALU_DEP_1)
	v_pk_fma_f32 v[86:87], v[72:73], v[68:69], v[84:85] op_sel:[0,0,1] op_sel_hi:[1,1,0] neg_lo:[0,0,1] neg_hi:[0,0,1]
	v_pk_fma_f32 v[72:73], v[72:73], v[68:69], v[84:85] op_sel:[0,0,1] op_sel_hi:[1,0,0]
	v_mov_b32_e32 v87, v73
	v_pk_mul_f32 v[72:73], v[74:75], v[70:71] op_sel:[0,1]
	s_delay_alu instid0(VALU_DEP_1) | instskip(SKIP_1) | instid1(VALU_DEP_1)
	v_pk_fma_f32 v[84:85], v[74:75], v[68:69], v[72:73] op_sel:[0,0,1] op_sel_hi:[1,1,0] neg_lo:[0,0,1] neg_hi:[0,0,1]
	v_pk_fma_f32 v[72:73], v[74:75], v[68:69], v[72:73] op_sel:[0,0,1] op_sel_hi:[1,0,0]
	v_mov_b32_e32 v85, v73
	ds_load_2addr_b64 v[72:75], v202 offset0:33 offset1:34
	v_pk_add_f32 v[124:125], v[124:125], v[86:87] neg_lo:[0,1] neg_hi:[0,1]
	v_pk_add_f32 v[146:147], v[146:147], v[84:85] neg_lo:[0,1] neg_hi:[0,1]
	s_wait_dscnt 0x0
	v_dual_mul_f32 v84, v73, v71 :: v_dual_mul_f32 v86, v73, v68
	s_delay_alu instid0(VALU_DEP_1) | instskip(NEXT) | instid1(VALU_DEP_2)
	v_pk_fma_f32 v[84:85], v[72:73], v[114:115], v[84:85] op_sel_hi:[1,1,0] neg_lo:[0,0,1] neg_hi:[0,0,1]
	v_pk_fma_f32 v[72:73], v[72:73], v[114:115], v[86:87] op_sel:[1,0,0] op_sel_hi:[0,1,0]
	s_delay_alu instid0(VALU_DEP_1) | instskip(SKIP_1) | instid1(VALU_DEP_2)
	v_mov_b32_e32 v85, v73
	v_pk_mul_f32 v[72:73], v[74:75], v[70:71] op_sel:[0,1]
	v_pk_add_f32 v[142:143], v[142:143], v[84:85] neg_lo:[0,1] neg_hi:[0,1]
	s_delay_alu instid0(VALU_DEP_2) | instskip(SKIP_1) | instid1(VALU_DEP_1)
	v_pk_fma_f32 v[84:85], v[74:75], v[68:69], v[72:73] op_sel:[0,0,1] op_sel_hi:[1,1,0] neg_lo:[0,0,1] neg_hi:[0,0,1]
	v_pk_fma_f32 v[72:73], v[74:75], v[68:69], v[72:73] op_sel:[0,0,1] op_sel_hi:[1,0,0]
	v_mov_b32_e32 v85, v73
	ds_load_2addr_b64 v[72:75], v202 offset0:35 offset1:36
	v_pk_add_f32 v[144:145], v[144:145], v[84:85] neg_lo:[0,1] neg_hi:[0,1]
	s_wait_dscnt 0x0
	v_pk_mul_f32 v[84:85], v[72:73], v[70:71] op_sel:[0,1]
	s_delay_alu instid0(VALU_DEP_1) | instskip(SKIP_1) | instid1(VALU_DEP_1)
	v_pk_fma_f32 v[86:87], v[72:73], v[68:69], v[84:85] op_sel:[0,0,1] op_sel_hi:[1,1,0] neg_lo:[0,0,1] neg_hi:[0,0,1]
	v_pk_fma_f32 v[72:73], v[72:73], v[68:69], v[84:85] op_sel:[0,0,1] op_sel_hi:[1,0,0]
	v_mov_b32_e32 v87, v73
	v_pk_mul_f32 v[72:73], v[74:75], v[70:71] op_sel:[0,1]
	s_delay_alu instid0(VALU_DEP_2) | instskip(NEXT) | instid1(VALU_DEP_2)
	v_pk_add_f32 v[140:141], v[140:141], v[86:87] neg_lo:[0,1] neg_hi:[0,1]
	v_pk_fma_f32 v[84:85], v[74:75], v[68:69], v[72:73] op_sel:[0,0,1] op_sel_hi:[1,1,0] neg_lo:[0,0,1] neg_hi:[0,0,1]
	v_pk_fma_f32 v[72:73], v[74:75], v[68:69], v[72:73] op_sel:[0,0,1] op_sel_hi:[1,0,0]
	s_delay_alu instid0(VALU_DEP_1) | instskip(SKIP_4) | instid1(VALU_DEP_1)
	v_mov_b32_e32 v85, v73
	ds_load_2addr_b64 v[72:75], v202 offset0:37 offset1:38
	v_pk_add_f32 v[162:163], v[162:163], v[84:85] neg_lo:[0,1] neg_hi:[0,1]
	s_wait_dscnt 0x0
	v_pk_mul_f32 v[84:85], v[72:73], v[70:71] op_sel:[0,1]
	v_pk_fma_f32 v[86:87], v[72:73], v[68:69], v[84:85] op_sel:[0,0,1] op_sel_hi:[1,1,0] neg_lo:[0,0,1] neg_hi:[0,0,1]
	v_pk_fma_f32 v[72:73], v[72:73], v[68:69], v[84:85] op_sel:[0,0,1] op_sel_hi:[1,0,0]
	v_dual_mul_f32 v84, v75, v71 :: v_dual_mov_b32 v72, v75
	s_delay_alu instid0(VALU_DEP_2) | instskip(NEXT) | instid1(VALU_DEP_2)
	v_dual_mov_b32 v87, v73 :: v_dual_mov_b32 v73, v74
	v_pk_fma_f32 v[84:85], v[74:75], v[114:115], v[84:85] op_sel_hi:[1,1,0] neg_lo:[0,0,1] neg_hi:[0,0,1]
	v_mul_f32_e32 v74, v75, v68
	s_delay_alu instid0(VALU_DEP_3) | instskip(NEXT) | instid1(VALU_DEP_2)
	v_pk_add_f32 v[158:159], v[158:159], v[86:87] neg_lo:[0,1] neg_hi:[0,1]
	v_pk_fma_f32 v[72:73], v[72:73], v[114:115], v[74:75] op_sel_hi:[1,1,0]
	s_delay_alu instid0(VALU_DEP_1) | instskip(SKIP_4) | instid1(VALU_DEP_1)
	v_mov_b32_e32 v85, v73
	ds_load_2addr_b64 v[72:75], v202 offset0:39 offset1:40
	v_pk_add_f32 v[160:161], v[160:161], v[84:85] neg_lo:[0,1] neg_hi:[0,1]
	s_wait_dscnt 0x0
	v_pk_mul_f32 v[84:85], v[72:73], v[70:71] op_sel:[0,1]
	v_pk_fma_f32 v[86:87], v[72:73], v[68:69], v[84:85] op_sel:[0,0,1] op_sel_hi:[1,1,0] neg_lo:[0,0,1] neg_hi:[0,0,1]
	v_pk_fma_f32 v[72:73], v[72:73], v[68:69], v[84:85] op_sel:[0,0,1] op_sel_hi:[1,0,0]
	s_delay_alu instid0(VALU_DEP_1) | instskip(SKIP_1) | instid1(VALU_DEP_1)
	v_mov_b32_e32 v87, v73
	v_pk_mul_f32 v[72:73], v[74:75], v[70:71] op_sel:[0,1]
	v_pk_fma_f32 v[84:85], v[74:75], v[68:69], v[72:73] op_sel:[0,0,1] op_sel_hi:[1,1,0] neg_lo:[0,0,1] neg_hi:[0,0,1]
	v_pk_fma_f32 v[72:73], v[74:75], v[68:69], v[72:73] op_sel:[0,0,1] op_sel_hi:[1,0,0]
	s_delay_alu instid0(VALU_DEP_1)
	v_mov_b32_e32 v85, v73
	ds_load_2addr_b64 v[72:75], v202 offset0:41 offset1:42
	v_pk_add_f32 v[156:157], v[156:157], v[86:87] neg_lo:[0,1] neg_hi:[0,1]
	v_pk_add_f32 v[178:179], v[178:179], v[84:85] neg_lo:[0,1] neg_hi:[0,1]
	s_wait_dscnt 0x0
	v_pk_mul_f32 v[84:85], v[72:73], v[70:71] op_sel:[0,1]
	s_delay_alu instid0(VALU_DEP_1) | instskip(SKIP_1) | instid1(VALU_DEP_1)
	v_pk_fma_f32 v[86:87], v[72:73], v[68:69], v[84:85] op_sel:[0,0,1] op_sel_hi:[1,1,0] neg_lo:[0,0,1] neg_hi:[0,0,1]
	v_pk_fma_f32 v[72:73], v[72:73], v[68:69], v[84:85] op_sel:[0,0,1] op_sel_hi:[1,0,0]
	v_mov_b32_e32 v87, v73
	v_pk_mul_f32 v[72:73], v[74:75], v[70:71] op_sel:[0,1]
	s_delay_alu instid0(VALU_DEP_1) | instskip(SKIP_1) | instid1(VALU_DEP_1)
	v_pk_fma_f32 v[84:85], v[74:75], v[68:69], v[72:73] op_sel:[0,0,1] op_sel_hi:[1,1,0] neg_lo:[0,0,1] neg_hi:[0,0,1]
	v_pk_fma_f32 v[72:73], v[74:75], v[68:69], v[72:73] op_sel:[0,0,1] op_sel_hi:[1,0,0]
	v_mov_b32_e32 v85, v73
	ds_load_2addr_b64 v[72:75], v202 offset0:43 offset1:44
	v_pk_add_f32 v[174:175], v[174:175], v[86:87] neg_lo:[0,1] neg_hi:[0,1]
	v_pk_add_f32 v[176:177], v[176:177], v[84:85] neg_lo:[0,1] neg_hi:[0,1]
	s_wait_dscnt 0x0
	v_dual_mul_f32 v84, v73, v71 :: v_dual_mul_f32 v86, v73, v68
	s_delay_alu instid0(VALU_DEP_1) | instskip(NEXT) | instid1(VALU_DEP_2)
	v_pk_fma_f32 v[84:85], v[72:73], v[114:115], v[84:85] op_sel_hi:[1,1,0] neg_lo:[0,0,1] neg_hi:[0,0,1]
	v_pk_fma_f32 v[72:73], v[72:73], v[114:115], v[86:87] op_sel:[1,0,0] op_sel_hi:[0,1,0]
	s_delay_alu instid0(VALU_DEP_1) | instskip(SKIP_1) | instid1(VALU_DEP_2)
	v_mov_b32_e32 v85, v73
	v_pk_mul_f32 v[72:73], v[74:75], v[70:71] op_sel:[0,1]
	v_pk_add_f32 v[172:173], v[172:173], v[84:85] neg_lo:[0,1] neg_hi:[0,1]
	s_delay_alu instid0(VALU_DEP_2) | instskip(SKIP_1) | instid1(VALU_DEP_1)
	v_pk_fma_f32 v[84:85], v[74:75], v[68:69], v[72:73] op_sel:[0,0,1] op_sel_hi:[1,1,0] neg_lo:[0,0,1] neg_hi:[0,0,1]
	v_pk_fma_f32 v[72:73], v[74:75], v[68:69], v[72:73] op_sel:[0,0,1] op_sel_hi:[1,0,0]
	v_mov_b32_e32 v85, v73
	ds_load_2addr_b64 v[72:75], v202 offset0:45 offset1:46
	v_pk_add_f32 v[194:195], v[194:195], v[84:85] neg_lo:[0,1] neg_hi:[0,1]
	s_wait_dscnt 0x0
	v_pk_mul_f32 v[84:85], v[72:73], v[70:71] op_sel:[0,1]
	s_delay_alu instid0(VALU_DEP_1) | instskip(SKIP_1) | instid1(VALU_DEP_1)
	v_pk_fma_f32 v[86:87], v[72:73], v[68:69], v[84:85] op_sel:[0,0,1] op_sel_hi:[1,1,0] neg_lo:[0,0,1] neg_hi:[0,0,1]
	v_pk_fma_f32 v[72:73], v[72:73], v[68:69], v[84:85] op_sel:[0,0,1] op_sel_hi:[1,0,0]
	v_mov_b32_e32 v87, v73
	v_pk_mul_f32 v[72:73], v[74:75], v[70:71] op_sel:[0,1]
	s_delay_alu instid0(VALU_DEP_2) | instskip(NEXT) | instid1(VALU_DEP_2)
	v_pk_add_f32 v[190:191], v[190:191], v[86:87] neg_lo:[0,1] neg_hi:[0,1]
	v_pk_fma_f32 v[84:85], v[74:75], v[68:69], v[72:73] op_sel:[0,0,1] op_sel_hi:[1,1,0] neg_lo:[0,0,1] neg_hi:[0,0,1]
	v_pk_fma_f32 v[72:73], v[74:75], v[68:69], v[72:73] op_sel:[0,0,1] op_sel_hi:[1,0,0]
	s_delay_alu instid0(VALU_DEP_1) | instskip(SKIP_4) | instid1(VALU_DEP_1)
	v_mov_b32_e32 v85, v73
	ds_load_2addr_b64 v[72:75], v202 offset0:47 offset1:48
	v_pk_add_f32 v[192:193], v[192:193], v[84:85] neg_lo:[0,1] neg_hi:[0,1]
	s_wait_dscnt 0x0
	v_pk_mul_f32 v[84:85], v[72:73], v[70:71] op_sel:[0,1]
	v_pk_fma_f32 v[86:87], v[72:73], v[68:69], v[84:85] op_sel:[0,0,1] op_sel_hi:[1,1,0] neg_lo:[0,0,1] neg_hi:[0,0,1]
	v_pk_fma_f32 v[72:73], v[72:73], v[68:69], v[84:85] op_sel:[0,0,1] op_sel_hi:[1,0,0]
	v_dual_mul_f32 v84, v75, v71 :: v_dual_mov_b32 v72, v75
	s_delay_alu instid0(VALU_DEP_2) | instskip(NEXT) | instid1(VALU_DEP_2)
	v_dual_mov_b32 v87, v73 :: v_dual_mov_b32 v73, v74
	v_pk_fma_f32 v[84:85], v[74:75], v[114:115], v[84:85] op_sel_hi:[1,1,0] neg_lo:[0,0,1] neg_hi:[0,0,1]
	v_mul_f32_e32 v74, v75, v68
	s_delay_alu instid0(VALU_DEP_3) | instskip(NEXT) | instid1(VALU_DEP_2)
	v_pk_add_f32 v[188:189], v[188:189], v[86:87] neg_lo:[0,1] neg_hi:[0,1]
	v_pk_fma_f32 v[72:73], v[72:73], v[114:115], v[74:75] op_sel_hi:[1,1,0]
	s_delay_alu instid0(VALU_DEP_1) | instskip(SKIP_4) | instid1(VALU_DEP_1)
	v_mov_b32_e32 v85, v73
	ds_load_2addr_b64 v[72:75], v202 offset0:49 offset1:50
	v_pk_add_f32 v[212:213], v[212:213], v[84:85] neg_lo:[0,1] neg_hi:[0,1]
	s_wait_dscnt 0x0
	v_pk_mul_f32 v[84:85], v[72:73], v[70:71] op_sel:[0,1]
	v_pk_fma_f32 v[86:87], v[72:73], v[68:69], v[84:85] op_sel:[0,0,1] op_sel_hi:[1,1,0] neg_lo:[0,0,1] neg_hi:[0,0,1]
	v_pk_fma_f32 v[72:73], v[72:73], v[68:69], v[84:85] op_sel:[0,0,1] op_sel_hi:[1,0,0]
	s_delay_alu instid0(VALU_DEP_1) | instskip(SKIP_1) | instid1(VALU_DEP_1)
	v_mov_b32_e32 v87, v73
	v_pk_mul_f32 v[72:73], v[74:75], v[70:71] op_sel:[0,1]
	v_pk_fma_f32 v[84:85], v[74:75], v[68:69], v[72:73] op_sel:[0,0,1] op_sel_hi:[1,1,0] neg_lo:[0,0,1] neg_hi:[0,0,1]
	v_pk_fma_f32 v[72:73], v[74:75], v[68:69], v[72:73] op_sel:[0,0,1] op_sel_hi:[1,0,0]
	s_delay_alu instid0(VALU_DEP_1)
	v_mov_b32_e32 v85, v73
	ds_load_2addr_b64 v[72:75], v202 offset0:51 offset1:52
	v_pk_add_f32 v[208:209], v[208:209], v[86:87] neg_lo:[0,1] neg_hi:[0,1]
	v_pk_add_f32 v[210:211], v[210:211], v[84:85] neg_lo:[0,1] neg_hi:[0,1]
	s_wait_dscnt 0x0
	v_pk_mul_f32 v[84:85], v[72:73], v[70:71] op_sel:[0,1]
	s_delay_alu instid0(VALU_DEP_1) | instskip(SKIP_1) | instid1(VALU_DEP_1)
	v_pk_fma_f32 v[86:87], v[72:73], v[68:69], v[84:85] op_sel:[0,0,1] op_sel_hi:[1,1,0] neg_lo:[0,0,1] neg_hi:[0,0,1]
	v_pk_fma_f32 v[72:73], v[72:73], v[68:69], v[84:85] op_sel:[0,0,1] op_sel_hi:[1,0,0]
	v_mov_b32_e32 v87, v73
	v_pk_mul_f32 v[72:73], v[74:75], v[70:71] op_sel:[0,1]
	s_delay_alu instid0(VALU_DEP_1) | instskip(SKIP_1) | instid1(VALU_DEP_1)
	v_pk_fma_f32 v[84:85], v[74:75], v[68:69], v[72:73] op_sel:[0,0,1] op_sel_hi:[1,1,0] neg_lo:[0,0,1] neg_hi:[0,0,1]
	v_pk_fma_f32 v[72:73], v[74:75], v[68:69], v[72:73] op_sel:[0,0,1] op_sel_hi:[1,0,0]
	v_mov_b32_e32 v85, v73
	ds_load_2addr_b64 v[72:75], v202 offset0:53 offset1:54
	v_pk_add_f32 v[206:207], v[206:207], v[86:87] neg_lo:[0,1] neg_hi:[0,1]
	v_pk_add_f32 v[232:233], v[232:233], v[84:85] neg_lo:[0,1] neg_hi:[0,1]
	s_wait_dscnt 0x0
	v_dual_mul_f32 v84, v73, v71 :: v_dual_mul_f32 v86, v73, v68
	s_delay_alu instid0(VALU_DEP_1) | instskip(NEXT) | instid1(VALU_DEP_2)
	v_pk_fma_f32 v[84:85], v[72:73], v[114:115], v[84:85] op_sel_hi:[1,1,0] neg_lo:[0,0,1] neg_hi:[0,0,1]
	v_pk_fma_f32 v[72:73], v[72:73], v[114:115], v[86:87] op_sel:[1,0,0] op_sel_hi:[0,1,0]
	s_delay_alu instid0(VALU_DEP_1) | instskip(SKIP_1) | instid1(VALU_DEP_2)
	v_mov_b32_e32 v85, v73
	v_pk_mul_f32 v[72:73], v[74:75], v[70:71] op_sel:[0,1]
	v_pk_add_f32 v[226:227], v[226:227], v[84:85] neg_lo:[0,1] neg_hi:[0,1]
	s_delay_alu instid0(VALU_DEP_2) | instskip(SKIP_1) | instid1(VALU_DEP_1)
	v_pk_fma_f32 v[84:85], v[74:75], v[68:69], v[72:73] op_sel:[0,0,1] op_sel_hi:[1,1,0] neg_lo:[0,0,1] neg_hi:[0,0,1]
	v_pk_fma_f32 v[72:73], v[74:75], v[68:69], v[72:73] op_sel:[0,0,1] op_sel_hi:[1,0,0]
	v_mov_b32_e32 v85, v73
	ds_load_2addr_b64 v[72:75], v202 offset0:55 offset1:56
	v_pk_add_f32 v[230:231], v[230:231], v[84:85] neg_lo:[0,1] neg_hi:[0,1]
	s_wait_dscnt 0x0
	v_pk_mul_f32 v[84:85], v[72:73], v[70:71] op_sel:[0,1]
	s_delay_alu instid0(VALU_DEP_1) | instskip(SKIP_1) | instid1(VALU_DEP_1)
	v_pk_fma_f32 v[86:87], v[72:73], v[68:69], v[84:85] op_sel:[0,0,1] op_sel_hi:[1,1,0] neg_lo:[0,0,1] neg_hi:[0,0,1]
	v_pk_fma_f32 v[72:73], v[72:73], v[68:69], v[84:85] op_sel:[0,0,1] op_sel_hi:[1,0,0]
	v_mov_b32_e32 v87, v73
	v_pk_mul_f32 v[72:73], v[74:75], v[70:71] op_sel:[0,1]
	s_delay_alu instid0(VALU_DEP_2) | instskip(NEXT) | instid1(VALU_DEP_2)
	v_pk_add_f32 v[224:225], v[224:225], v[86:87] neg_lo:[0,1] neg_hi:[0,1]
	v_pk_fma_f32 v[84:85], v[74:75], v[68:69], v[72:73] op_sel:[0,0,1] op_sel_hi:[1,1,0] neg_lo:[0,0,1] neg_hi:[0,0,1]
	v_pk_fma_f32 v[72:73], v[74:75], v[68:69], v[72:73] op_sel:[0,0,1] op_sel_hi:[1,0,0]
	s_delay_alu instid0(VALU_DEP_1)
	v_mov_b32_e32 v85, v73
	ds_load_2addr_b64 v[72:75], v202 offset0:57 offset1:58
	v_pk_add_f32 v[228:229], v[228:229], v[84:85] neg_lo:[0,1] neg_hi:[0,1]
	s_wait_dscnt 0x0
	v_pk_mul_f32 v[84:85], v[72:73], v[70:71] op_sel:[0,1]
	v_pk_mul_f32 v[70:71], v[74:75], v[70:71] op_sel:[0,1]
	s_delay_alu instid0(VALU_DEP_2) | instskip(SKIP_1) | instid1(VALU_DEP_1)
	v_pk_fma_f32 v[86:87], v[72:73], v[68:69], v[84:85] op_sel:[0,0,1] op_sel_hi:[1,1,0] neg_lo:[0,0,1] neg_hi:[0,0,1]
	v_pk_fma_f32 v[72:73], v[72:73], v[68:69], v[84:85] op_sel:[0,0,1] op_sel_hi:[1,0,0]
	v_mov_b32_e32 v87, v73
	s_delay_alu instid0(VALU_DEP_4) | instskip(SKIP_1) | instid1(VALU_DEP_3)
	v_pk_fma_f32 v[72:73], v[74:75], v[68:69], v[70:71] op_sel:[0,0,1] op_sel_hi:[1,1,0] neg_lo:[0,0,1] neg_hi:[0,0,1]
	v_pk_fma_f32 v[68:69], v[74:75], v[68:69], v[70:71] op_sel:[0,0,1] op_sel_hi:[1,0,0]
	v_pk_add_f32 v[234:235], v[234:235], v[86:87] neg_lo:[0,1] neg_hi:[0,1]
	s_delay_alu instid0(VALU_DEP_2) | instskip(NEXT) | instid1(VALU_DEP_1)
	v_mov_b32_e32 v73, v69
	v_pk_add_f32 v[236:237], v[236:237], v[72:73] neg_lo:[0,1] neg_hi:[0,1]
.LBB117_226:
	s_or_b32 exec_lo, exec_lo, s1
	s_delay_alu instid0(SALU_CYCLE_1)
	s_mov_b32 s2, exec_lo
	s_wait_dscnt 0x0
	s_barrier_signal -1
	s_barrier_wait -1
	v_cmpx_eq_u32_e32 25, v200
	s_cbranch_execz .LBB117_233
; %bb.227:
	v_dual_mov_b32 v68, v112 :: v_dual_mov_b32 v69, v113
	v_dual_mov_b32 v70, v108 :: v_dual_mov_b32 v71, v109
	ds_store_b64 v201, v[110:111]
	ds_store_2addr_b64 v202, v[68:69], v[70:71] offset0:26 offset1:27
	v_dual_mov_b32 v68, v130 :: v_dual_mov_b32 v69, v131
	v_dual_mov_b32 v70, v126 :: v_dual_mov_b32 v71, v127
	ds_store_2addr_b64 v202, v[68:69], v[70:71] offset0:28 offset1:29
	v_dual_mov_b32 v68, v128 :: v_dual_mov_b32 v69, v129
	v_dual_mov_b32 v70, v124 :: v_dual_mov_b32 v71, v125
	;; [unrolled: 3-line block ×15, first 2 shown]
	ds_store_2addr_b64 v202, v[68:69], v[70:71] offset0:56 offset1:57
	ds_store_b64 v202, v[236:237] offset:464
	ds_load_b64 v[68:69], v201
	s_wait_dscnt 0x0
	v_cmp_neq_f32_e32 vcc_lo, 0, v68
	v_cmp_neq_f32_e64 s1, 0, v69
	s_or_b32 s1, vcc_lo, s1
	s_delay_alu instid0(SALU_CYCLE_1)
	s_and_b32 exec_lo, exec_lo, s1
	s_cbranch_execz .LBB117_233
; %bb.228:
	v_cmp_ngt_f32_e64 s1, |v68|, |v69|
                                        ; implicit-def: $vgpr70_vgpr71
	s_and_saveexec_b32 s4, s1
	s_delay_alu instid0(SALU_CYCLE_1)
	s_xor_b32 s1, exec_lo, s4
	s_cbranch_execz .LBB117_230
; %bb.229:
	v_div_scale_f32 v70, null, v69, v69, v68
	v_div_scale_f32 v73, vcc_lo, v68, v69, v68
	s_delay_alu instid0(VALU_DEP_2) | instskip(SKIP_1) | instid1(TRANS32_DEP_1)
	v_rcp_f32_e32 v71, v70
	v_nop
	v_fma_f32 v72, -v70, v71, 1.0
	s_delay_alu instid0(VALU_DEP_1) | instskip(NEXT) | instid1(VALU_DEP_1)
	v_fmac_f32_e32 v71, v72, v71
	v_mul_f32_e32 v72, v73, v71
	s_delay_alu instid0(VALU_DEP_1) | instskip(NEXT) | instid1(VALU_DEP_1)
	v_fma_f32 v74, -v70, v72, v73
	v_fmac_f32_e32 v72, v74, v71
	s_delay_alu instid0(VALU_DEP_1) | instskip(NEXT) | instid1(VALU_DEP_1)
	v_fma_f32 v70, -v70, v72, v73
	v_div_fmas_f32 v70, v70, v71, v72
	s_delay_alu instid0(VALU_DEP_1) | instskip(NEXT) | instid1(VALU_DEP_1)
	v_div_fixup_f32 v70, v70, v69, v68
	v_fmac_f32_e32 v69, v68, v70
	s_delay_alu instid0(VALU_DEP_1) | instskip(SKIP_1) | instid1(VALU_DEP_2)
	v_div_scale_f32 v68, null, v69, v69, 1.0
	v_div_scale_f32 v73, vcc_lo, 1.0, v69, 1.0
	v_rcp_f32_e32 v71, v68
	v_nop
	s_delay_alu instid0(TRANS32_DEP_1) | instskip(NEXT) | instid1(VALU_DEP_1)
	v_fma_f32 v72, -v68, v71, 1.0
	v_fmac_f32_e32 v71, v72, v71
	s_delay_alu instid0(VALU_DEP_1) | instskip(NEXT) | instid1(VALU_DEP_1)
	v_mul_f32_e32 v72, v73, v71
	v_fma_f32 v74, -v68, v72, v73
	s_delay_alu instid0(VALU_DEP_1) | instskip(NEXT) | instid1(VALU_DEP_1)
	v_fmac_f32_e32 v72, v74, v71
	v_fma_f32 v68, -v68, v72, v73
	s_delay_alu instid0(VALU_DEP_1) | instskip(NEXT) | instid1(VALU_DEP_1)
	v_div_fmas_f32 v68, v68, v71, v72
	v_div_fixup_f32 v68, v68, v69, 1.0
	s_delay_alu instid0(VALU_DEP_1)
	v_mul_f32_e32 v70, v70, v68
	v_xor_b32_e32 v71, 0x80000000, v68
                                        ; implicit-def: $vgpr68_vgpr69
.LBB117_230:
	s_and_not1_saveexec_b32 s1, s1
	s_cbranch_execz .LBB117_232
; %bb.231:
	v_div_scale_f32 v70, null, v68, v68, v69
	v_div_scale_f32 v73, vcc_lo, v69, v68, v69
	s_delay_alu instid0(VALU_DEP_2) | instskip(SKIP_1) | instid1(TRANS32_DEP_1)
	v_rcp_f32_e32 v71, v70
	v_nop
	v_fma_f32 v72, -v70, v71, 1.0
	s_delay_alu instid0(VALU_DEP_1) | instskip(NEXT) | instid1(VALU_DEP_1)
	v_fmac_f32_e32 v71, v72, v71
	v_mul_f32_e32 v72, v73, v71
	s_delay_alu instid0(VALU_DEP_1) | instskip(NEXT) | instid1(VALU_DEP_1)
	v_fma_f32 v74, -v70, v72, v73
	v_fmac_f32_e32 v72, v74, v71
	s_delay_alu instid0(VALU_DEP_1) | instskip(NEXT) | instid1(VALU_DEP_1)
	v_fma_f32 v70, -v70, v72, v73
	v_div_fmas_f32 v70, v70, v71, v72
	s_delay_alu instid0(VALU_DEP_1) | instskip(NEXT) | instid1(VALU_DEP_1)
	v_div_fixup_f32 v71, v70, v68, v69
	v_fmac_f32_e32 v68, v69, v71
	s_delay_alu instid0(VALU_DEP_1) | instskip(NEXT) | instid1(VALU_DEP_1)
	v_div_scale_f32 v69, null, v68, v68, 1.0
	v_rcp_f32_e32 v70, v69
	v_nop
	s_delay_alu instid0(TRANS32_DEP_1) | instskip(NEXT) | instid1(VALU_DEP_1)
	v_fma_f32 v72, -v69, v70, 1.0
	v_fmac_f32_e32 v70, v72, v70
	v_div_scale_f32 v72, vcc_lo, 1.0, v68, 1.0
	s_delay_alu instid0(VALU_DEP_1) | instskip(NEXT) | instid1(VALU_DEP_1)
	v_mul_f32_e32 v73, v72, v70
	v_fma_f32 v74, -v69, v73, v72
	s_delay_alu instid0(VALU_DEP_1) | instskip(NEXT) | instid1(VALU_DEP_1)
	v_fmac_f32_e32 v73, v74, v70
	v_fma_f32 v69, -v69, v73, v72
	s_delay_alu instid0(VALU_DEP_1) | instskip(NEXT) | instid1(VALU_DEP_1)
	v_div_fmas_f32 v69, v69, v70, v73
	v_div_fixup_f32 v70, v69, v68, 1.0
	s_delay_alu instid0(VALU_DEP_1)
	v_mul_f32_e64 v71, v71, -v70
.LBB117_232:
	s_or_b32 exec_lo, exec_lo, s1
	ds_store_b64 v201, v[70:71]
.LBB117_233:
	s_or_b32 exec_lo, exec_lo, s2
	s_wait_dscnt 0x0
	s_barrier_signal -1
	s_barrier_wait -1
	ds_load_b64 v[68:69], v201
	s_mov_b32 s1, exec_lo
	v_cmpx_lt_u32_e32 25, v200
	s_cbranch_execz .LBB117_235
; %bb.234:
	ds_load_2addr_b64 v[84:87], v202 offset0:26 offset1:27
	s_wait_dscnt 0x1
	v_pk_mul_f32 v[72:73], v[68:69], v[110:111] op_sel:[1,1] op_sel_hi:[0,1]
	s_delay_alu instid0(VALU_DEP_1) | instskip(SKIP_1) | instid1(VALU_DEP_1)
	v_pk_fma_f32 v[70:71], v[68:69], v[110:111], v[72:73] op_sel_hi:[1,0,1] neg_lo:[0,0,1] neg_hi:[0,0,1]
	v_pk_fma_f32 v[72:73], v[68:69], v[110:111], v[72:73] op_sel_hi:[1,0,1]
	v_dual_mov_b32 v110, v70 :: v_dual_mov_b32 v111, v73
	s_wait_dscnt 0x0
	s_delay_alu instid0(VALU_DEP_2) | instskip(NEXT) | instid1(VALU_DEP_1)
	v_pk_mul_f32 v[74:75], v[84:85], v[72:73] op_sel:[0,1]
	v_pk_fma_f32 v[88:89], v[84:85], v[70:71], v[74:75] op_sel:[0,0,1] op_sel_hi:[1,1,0] neg_lo:[0,0,1] neg_hi:[0,0,1]
	v_pk_fma_f32 v[74:75], v[84:85], v[70:71], v[74:75] op_sel:[0,0,1] op_sel_hi:[1,0,0]
	s_delay_alu instid0(VALU_DEP_1) | instskip(SKIP_1) | instid1(VALU_DEP_1)
	v_mov_b32_e32 v89, v75
	v_pk_mul_f32 v[74:75], v[86:87], v[72:73] op_sel:[0,1]
	v_pk_fma_f32 v[84:85], v[86:87], v[70:71], v[74:75] op_sel:[0,0,1] op_sel_hi:[1,1,0] neg_lo:[0,0,1] neg_hi:[0,0,1]
	v_pk_fma_f32 v[74:75], v[86:87], v[70:71], v[74:75] op_sel:[0,0,1] op_sel_hi:[1,0,0]
	s_delay_alu instid0(VALU_DEP_1) | instskip(SKIP_1) | instid1(VALU_DEP_2)
	v_mov_b32_e32 v85, v75
	v_pk_add_f32 v[112:113], v[112:113], v[88:89] neg_lo:[0,1] neg_hi:[0,1]
	v_pk_add_f32 v[108:109], v[108:109], v[84:85] neg_lo:[0,1] neg_hi:[0,1]
	ds_load_2addr_b64 v[84:87], v202 offset0:28 offset1:29
	s_wait_dscnt 0x0
	v_pk_mul_f32 v[74:75], v[84:85], v[72:73] op_sel:[0,1]
	s_delay_alu instid0(VALU_DEP_1) | instskip(SKIP_2) | instid1(VALU_DEP_2)
	v_pk_fma_f32 v[88:89], v[84:85], v[70:71], v[74:75] op_sel:[0,0,1] op_sel_hi:[1,1,0] neg_lo:[0,0,1] neg_hi:[0,0,1]
	v_pk_fma_f32 v[74:75], v[84:85], v[70:71], v[74:75] op_sel:[0,0,1] op_sel_hi:[1,0,0]
	v_dual_mul_f32 v84, v87, v73 :: v_dual_mov_b32 v74, v87
	v_dual_mov_b32 v89, v75 :: v_dual_mov_b32 v75, v86
	s_delay_alu instid0(VALU_DEP_2) | instskip(SKIP_1) | instid1(VALU_DEP_3)
	v_pk_fma_f32 v[84:85], v[86:87], v[110:111], v[84:85] op_sel_hi:[1,1,0] neg_lo:[0,0,1] neg_hi:[0,0,1]
	v_mul_f32_e32 v86, v87, v70
	v_pk_add_f32 v[130:131], v[130:131], v[88:89] neg_lo:[0,1] neg_hi:[0,1]
	s_delay_alu instid0(VALU_DEP_2) | instskip(NEXT) | instid1(VALU_DEP_1)
	v_pk_fma_f32 v[74:75], v[74:75], v[110:111], v[86:87] op_sel_hi:[1,1,0]
	v_mov_b32_e32 v85, v75
	s_delay_alu instid0(VALU_DEP_1) | instskip(SKIP_3) | instid1(VALU_DEP_1)
	v_pk_add_f32 v[126:127], v[126:127], v[84:85] neg_lo:[0,1] neg_hi:[0,1]
	ds_load_2addr_b64 v[84:87], v202 offset0:30 offset1:31
	s_wait_dscnt 0x0
	v_pk_mul_f32 v[74:75], v[84:85], v[72:73] op_sel:[0,1]
	v_pk_fma_f32 v[88:89], v[84:85], v[70:71], v[74:75] op_sel:[0,0,1] op_sel_hi:[1,1,0] neg_lo:[0,0,1] neg_hi:[0,0,1]
	v_pk_fma_f32 v[74:75], v[84:85], v[70:71], v[74:75] op_sel:[0,0,1] op_sel_hi:[1,0,0]
	s_delay_alu instid0(VALU_DEP_1) | instskip(SKIP_1) | instid1(VALU_DEP_2)
	v_mov_b32_e32 v89, v75
	v_pk_mul_f32 v[74:75], v[86:87], v[72:73] op_sel:[0,1]
	v_pk_add_f32 v[128:129], v[128:129], v[88:89] neg_lo:[0,1] neg_hi:[0,1]
	s_delay_alu instid0(VALU_DEP_2) | instskip(SKIP_1) | instid1(VALU_DEP_1)
	v_pk_fma_f32 v[84:85], v[86:87], v[70:71], v[74:75] op_sel:[0,0,1] op_sel_hi:[1,1,0] neg_lo:[0,0,1] neg_hi:[0,0,1]
	v_pk_fma_f32 v[74:75], v[86:87], v[70:71], v[74:75] op_sel:[0,0,1] op_sel_hi:[1,0,0]
	v_mov_b32_e32 v85, v75
	s_delay_alu instid0(VALU_DEP_1) | instskip(SKIP_3) | instid1(VALU_DEP_1)
	v_pk_add_f32 v[124:125], v[124:125], v[84:85] neg_lo:[0,1] neg_hi:[0,1]
	ds_load_2addr_b64 v[84:87], v202 offset0:32 offset1:33
	s_wait_dscnt 0x0
	v_pk_mul_f32 v[74:75], v[84:85], v[72:73] op_sel:[0,1]
	v_pk_fma_f32 v[88:89], v[84:85], v[70:71], v[74:75] op_sel:[0,0,1] op_sel_hi:[1,1,0] neg_lo:[0,0,1] neg_hi:[0,0,1]
	v_pk_fma_f32 v[74:75], v[84:85], v[70:71], v[74:75] op_sel:[0,0,1] op_sel_hi:[1,0,0]
	s_delay_alu instid0(VALU_DEP_1) | instskip(SKIP_1) | instid1(VALU_DEP_2)
	v_mov_b32_e32 v89, v75
	v_pk_mul_f32 v[74:75], v[86:87], v[72:73] op_sel:[0,1]
	v_pk_add_f32 v[146:147], v[146:147], v[88:89] neg_lo:[0,1] neg_hi:[0,1]
	s_delay_alu instid0(VALU_DEP_2) | instskip(SKIP_1) | instid1(VALU_DEP_1)
	v_pk_fma_f32 v[84:85], v[86:87], v[70:71], v[74:75] op_sel:[0,0,1] op_sel_hi:[1,1,0] neg_lo:[0,0,1] neg_hi:[0,0,1]
	v_pk_fma_f32 v[74:75], v[86:87], v[70:71], v[74:75] op_sel:[0,0,1] op_sel_hi:[1,0,0]
	v_mov_b32_e32 v85, v75
	s_delay_alu instid0(VALU_DEP_1) | instskip(SKIP_3) | instid1(VALU_DEP_1)
	v_pk_add_f32 v[142:143], v[142:143], v[84:85] neg_lo:[0,1] neg_hi:[0,1]
	ds_load_2addr_b64 v[84:87], v202 offset0:34 offset1:35
	s_wait_dscnt 0x0
	v_dual_mul_f32 v74, v85, v73 :: v_dual_mul_f32 v88, v85, v70
	v_pk_fma_f32 v[74:75], v[84:85], v[110:111], v[74:75] op_sel_hi:[1,1,0] neg_lo:[0,0,1] neg_hi:[0,0,1]
	s_delay_alu instid0(VALU_DEP_2) | instskip(NEXT) | instid1(VALU_DEP_1)
	v_pk_fma_f32 v[84:85], v[84:85], v[110:111], v[88:89] op_sel:[1,0,0] op_sel_hi:[0,1,0]
	v_mov_b32_e32 v75, v85
	s_delay_alu instid0(VALU_DEP_1) | instskip(SKIP_1) | instid1(VALU_DEP_1)
	v_pk_add_f32 v[144:145], v[144:145], v[74:75] neg_lo:[0,1] neg_hi:[0,1]
	v_pk_mul_f32 v[74:75], v[86:87], v[72:73] op_sel:[0,1]
	v_pk_fma_f32 v[84:85], v[86:87], v[70:71], v[74:75] op_sel:[0,0,1] op_sel_hi:[1,1,0] neg_lo:[0,0,1] neg_hi:[0,0,1]
	v_pk_fma_f32 v[74:75], v[86:87], v[70:71], v[74:75] op_sel:[0,0,1] op_sel_hi:[1,0,0]
	s_delay_alu instid0(VALU_DEP_1) | instskip(NEXT) | instid1(VALU_DEP_1)
	v_mov_b32_e32 v85, v75
	v_pk_add_f32 v[140:141], v[140:141], v[84:85] neg_lo:[0,1] neg_hi:[0,1]
	ds_load_2addr_b64 v[84:87], v202 offset0:36 offset1:37
	s_wait_dscnt 0x0
	v_pk_mul_f32 v[74:75], v[84:85], v[72:73] op_sel:[0,1]
	s_delay_alu instid0(VALU_DEP_1) | instskip(SKIP_1) | instid1(VALU_DEP_1)
	v_pk_fma_f32 v[88:89], v[84:85], v[70:71], v[74:75] op_sel:[0,0,1] op_sel_hi:[1,1,0] neg_lo:[0,0,1] neg_hi:[0,0,1]
	v_pk_fma_f32 v[74:75], v[84:85], v[70:71], v[74:75] op_sel:[0,0,1] op_sel_hi:[1,0,0]
	v_mov_b32_e32 v89, v75
	v_pk_mul_f32 v[74:75], v[86:87], v[72:73] op_sel:[0,1]
	s_delay_alu instid0(VALU_DEP_2) | instskip(NEXT) | instid1(VALU_DEP_2)
	v_pk_add_f32 v[162:163], v[162:163], v[88:89] neg_lo:[0,1] neg_hi:[0,1]
	v_pk_fma_f32 v[84:85], v[86:87], v[70:71], v[74:75] op_sel:[0,0,1] op_sel_hi:[1,1,0] neg_lo:[0,0,1] neg_hi:[0,0,1]
	v_pk_fma_f32 v[74:75], v[86:87], v[70:71], v[74:75] op_sel:[0,0,1] op_sel_hi:[1,0,0]
	s_delay_alu instid0(VALU_DEP_1) | instskip(NEXT) | instid1(VALU_DEP_1)
	v_mov_b32_e32 v85, v75
	v_pk_add_f32 v[158:159], v[158:159], v[84:85] neg_lo:[0,1] neg_hi:[0,1]
	ds_load_2addr_b64 v[84:87], v202 offset0:38 offset1:39
	s_wait_dscnt 0x0
	v_pk_mul_f32 v[74:75], v[84:85], v[72:73] op_sel:[0,1]
	s_delay_alu instid0(VALU_DEP_1) | instskip(SKIP_2) | instid1(VALU_DEP_2)
	v_pk_fma_f32 v[88:89], v[84:85], v[70:71], v[74:75] op_sel:[0,0,1] op_sel_hi:[1,1,0] neg_lo:[0,0,1] neg_hi:[0,0,1]
	v_pk_fma_f32 v[74:75], v[84:85], v[70:71], v[74:75] op_sel:[0,0,1] op_sel_hi:[1,0,0]
	v_dual_mul_f32 v84, v87, v73 :: v_dual_mov_b32 v74, v87
	v_dual_mov_b32 v89, v75 :: v_dual_mov_b32 v75, v86
	s_delay_alu instid0(VALU_DEP_2) | instskip(SKIP_1) | instid1(VALU_DEP_3)
	v_pk_fma_f32 v[84:85], v[86:87], v[110:111], v[84:85] op_sel_hi:[1,1,0] neg_lo:[0,0,1] neg_hi:[0,0,1]
	v_mul_f32_e32 v86, v87, v70
	v_pk_add_f32 v[160:161], v[160:161], v[88:89] neg_lo:[0,1] neg_hi:[0,1]
	s_delay_alu instid0(VALU_DEP_2) | instskip(NEXT) | instid1(VALU_DEP_1)
	v_pk_fma_f32 v[74:75], v[74:75], v[110:111], v[86:87] op_sel_hi:[1,1,0]
	v_mov_b32_e32 v85, v75
	s_delay_alu instid0(VALU_DEP_1) | instskip(SKIP_3) | instid1(VALU_DEP_1)
	v_pk_add_f32 v[156:157], v[156:157], v[84:85] neg_lo:[0,1] neg_hi:[0,1]
	ds_load_2addr_b64 v[84:87], v202 offset0:40 offset1:41
	s_wait_dscnt 0x0
	v_pk_mul_f32 v[74:75], v[84:85], v[72:73] op_sel:[0,1]
	v_pk_fma_f32 v[88:89], v[84:85], v[70:71], v[74:75] op_sel:[0,0,1] op_sel_hi:[1,1,0] neg_lo:[0,0,1] neg_hi:[0,0,1]
	v_pk_fma_f32 v[74:75], v[84:85], v[70:71], v[74:75] op_sel:[0,0,1] op_sel_hi:[1,0,0]
	s_delay_alu instid0(VALU_DEP_1) | instskip(SKIP_1) | instid1(VALU_DEP_2)
	v_mov_b32_e32 v89, v75
	v_pk_mul_f32 v[74:75], v[86:87], v[72:73] op_sel:[0,1]
	v_pk_add_f32 v[178:179], v[178:179], v[88:89] neg_lo:[0,1] neg_hi:[0,1]
	s_delay_alu instid0(VALU_DEP_2) | instskip(SKIP_1) | instid1(VALU_DEP_1)
	v_pk_fma_f32 v[84:85], v[86:87], v[70:71], v[74:75] op_sel:[0,0,1] op_sel_hi:[1,1,0] neg_lo:[0,0,1] neg_hi:[0,0,1]
	v_pk_fma_f32 v[74:75], v[86:87], v[70:71], v[74:75] op_sel:[0,0,1] op_sel_hi:[1,0,0]
	v_mov_b32_e32 v85, v75
	s_delay_alu instid0(VALU_DEP_1) | instskip(SKIP_3) | instid1(VALU_DEP_1)
	v_pk_add_f32 v[174:175], v[174:175], v[84:85] neg_lo:[0,1] neg_hi:[0,1]
	ds_load_2addr_b64 v[84:87], v202 offset0:42 offset1:43
	s_wait_dscnt 0x0
	v_pk_mul_f32 v[74:75], v[84:85], v[72:73] op_sel:[0,1]
	v_pk_fma_f32 v[88:89], v[84:85], v[70:71], v[74:75] op_sel:[0,0,1] op_sel_hi:[1,1,0] neg_lo:[0,0,1] neg_hi:[0,0,1]
	v_pk_fma_f32 v[74:75], v[84:85], v[70:71], v[74:75] op_sel:[0,0,1] op_sel_hi:[1,0,0]
	s_delay_alu instid0(VALU_DEP_1) | instskip(SKIP_1) | instid1(VALU_DEP_2)
	v_mov_b32_e32 v89, v75
	v_pk_mul_f32 v[74:75], v[86:87], v[72:73] op_sel:[0,1]
	v_pk_add_f32 v[176:177], v[176:177], v[88:89] neg_lo:[0,1] neg_hi:[0,1]
	s_delay_alu instid0(VALU_DEP_2) | instskip(SKIP_1) | instid1(VALU_DEP_1)
	v_pk_fma_f32 v[84:85], v[86:87], v[70:71], v[74:75] op_sel:[0,0,1] op_sel_hi:[1,1,0] neg_lo:[0,0,1] neg_hi:[0,0,1]
	v_pk_fma_f32 v[74:75], v[86:87], v[70:71], v[74:75] op_sel:[0,0,1] op_sel_hi:[1,0,0]
	v_mov_b32_e32 v85, v75
	s_delay_alu instid0(VALU_DEP_1) | instskip(SKIP_3) | instid1(VALU_DEP_1)
	v_pk_add_f32 v[172:173], v[172:173], v[84:85] neg_lo:[0,1] neg_hi:[0,1]
	ds_load_2addr_b64 v[84:87], v202 offset0:44 offset1:45
	s_wait_dscnt 0x0
	v_dual_mul_f32 v74, v85, v73 :: v_dual_mul_f32 v88, v85, v70
	v_pk_fma_f32 v[74:75], v[84:85], v[110:111], v[74:75] op_sel_hi:[1,1,0] neg_lo:[0,0,1] neg_hi:[0,0,1]
	s_delay_alu instid0(VALU_DEP_2) | instskip(NEXT) | instid1(VALU_DEP_1)
	v_pk_fma_f32 v[84:85], v[84:85], v[110:111], v[88:89] op_sel:[1,0,0] op_sel_hi:[0,1,0]
	v_mov_b32_e32 v75, v85
	s_delay_alu instid0(VALU_DEP_1) | instskip(SKIP_1) | instid1(VALU_DEP_1)
	v_pk_add_f32 v[194:195], v[194:195], v[74:75] neg_lo:[0,1] neg_hi:[0,1]
	v_pk_mul_f32 v[74:75], v[86:87], v[72:73] op_sel:[0,1]
	v_pk_fma_f32 v[84:85], v[86:87], v[70:71], v[74:75] op_sel:[0,0,1] op_sel_hi:[1,1,0] neg_lo:[0,0,1] neg_hi:[0,0,1]
	v_pk_fma_f32 v[74:75], v[86:87], v[70:71], v[74:75] op_sel:[0,0,1] op_sel_hi:[1,0,0]
	s_delay_alu instid0(VALU_DEP_1) | instskip(NEXT) | instid1(VALU_DEP_1)
	v_mov_b32_e32 v85, v75
	v_pk_add_f32 v[190:191], v[190:191], v[84:85] neg_lo:[0,1] neg_hi:[0,1]
	ds_load_2addr_b64 v[84:87], v202 offset0:46 offset1:47
	s_wait_dscnt 0x0
	v_pk_mul_f32 v[74:75], v[84:85], v[72:73] op_sel:[0,1]
	s_delay_alu instid0(VALU_DEP_1) | instskip(SKIP_1) | instid1(VALU_DEP_1)
	v_pk_fma_f32 v[88:89], v[84:85], v[70:71], v[74:75] op_sel:[0,0,1] op_sel_hi:[1,1,0] neg_lo:[0,0,1] neg_hi:[0,0,1]
	v_pk_fma_f32 v[74:75], v[84:85], v[70:71], v[74:75] op_sel:[0,0,1] op_sel_hi:[1,0,0]
	v_mov_b32_e32 v89, v75
	v_pk_mul_f32 v[74:75], v[86:87], v[72:73] op_sel:[0,1]
	s_delay_alu instid0(VALU_DEP_2) | instskip(NEXT) | instid1(VALU_DEP_2)
	v_pk_add_f32 v[192:193], v[192:193], v[88:89] neg_lo:[0,1] neg_hi:[0,1]
	v_pk_fma_f32 v[84:85], v[86:87], v[70:71], v[74:75] op_sel:[0,0,1] op_sel_hi:[1,1,0] neg_lo:[0,0,1] neg_hi:[0,0,1]
	v_pk_fma_f32 v[74:75], v[86:87], v[70:71], v[74:75] op_sel:[0,0,1] op_sel_hi:[1,0,0]
	s_delay_alu instid0(VALU_DEP_1) | instskip(NEXT) | instid1(VALU_DEP_1)
	v_mov_b32_e32 v85, v75
	v_pk_add_f32 v[188:189], v[188:189], v[84:85] neg_lo:[0,1] neg_hi:[0,1]
	ds_load_2addr_b64 v[84:87], v202 offset0:48 offset1:49
	s_wait_dscnt 0x0
	v_pk_mul_f32 v[74:75], v[84:85], v[72:73] op_sel:[0,1]
	s_delay_alu instid0(VALU_DEP_1) | instskip(SKIP_2) | instid1(VALU_DEP_2)
	v_pk_fma_f32 v[88:89], v[84:85], v[70:71], v[74:75] op_sel:[0,0,1] op_sel_hi:[1,1,0] neg_lo:[0,0,1] neg_hi:[0,0,1]
	v_pk_fma_f32 v[74:75], v[84:85], v[70:71], v[74:75] op_sel:[0,0,1] op_sel_hi:[1,0,0]
	v_dual_mul_f32 v84, v87, v73 :: v_dual_mov_b32 v74, v87
	v_dual_mov_b32 v89, v75 :: v_dual_mov_b32 v75, v86
	s_delay_alu instid0(VALU_DEP_2) | instskip(SKIP_1) | instid1(VALU_DEP_3)
	v_pk_fma_f32 v[84:85], v[86:87], v[110:111], v[84:85] op_sel_hi:[1,1,0] neg_lo:[0,0,1] neg_hi:[0,0,1]
	v_mul_f32_e32 v86, v87, v70
	v_pk_add_f32 v[212:213], v[212:213], v[88:89] neg_lo:[0,1] neg_hi:[0,1]
	s_delay_alu instid0(VALU_DEP_2) | instskip(NEXT) | instid1(VALU_DEP_1)
	v_pk_fma_f32 v[74:75], v[74:75], v[110:111], v[86:87] op_sel_hi:[1,1,0]
	v_mov_b32_e32 v85, v75
	s_delay_alu instid0(VALU_DEP_1) | instskip(SKIP_3) | instid1(VALU_DEP_1)
	v_pk_add_f32 v[208:209], v[208:209], v[84:85] neg_lo:[0,1] neg_hi:[0,1]
	ds_load_2addr_b64 v[84:87], v202 offset0:50 offset1:51
	s_wait_dscnt 0x0
	v_pk_mul_f32 v[74:75], v[84:85], v[72:73] op_sel:[0,1]
	v_pk_fma_f32 v[88:89], v[84:85], v[70:71], v[74:75] op_sel:[0,0,1] op_sel_hi:[1,1,0] neg_lo:[0,0,1] neg_hi:[0,0,1]
	v_pk_fma_f32 v[74:75], v[84:85], v[70:71], v[74:75] op_sel:[0,0,1] op_sel_hi:[1,0,0]
	s_delay_alu instid0(VALU_DEP_1) | instskip(SKIP_1) | instid1(VALU_DEP_2)
	v_mov_b32_e32 v89, v75
	v_pk_mul_f32 v[74:75], v[86:87], v[72:73] op_sel:[0,1]
	v_pk_add_f32 v[210:211], v[210:211], v[88:89] neg_lo:[0,1] neg_hi:[0,1]
	s_delay_alu instid0(VALU_DEP_2) | instskip(SKIP_1) | instid1(VALU_DEP_1)
	v_pk_fma_f32 v[84:85], v[86:87], v[70:71], v[74:75] op_sel:[0,0,1] op_sel_hi:[1,1,0] neg_lo:[0,0,1] neg_hi:[0,0,1]
	v_pk_fma_f32 v[74:75], v[86:87], v[70:71], v[74:75] op_sel:[0,0,1] op_sel_hi:[1,0,0]
	v_mov_b32_e32 v85, v75
	s_delay_alu instid0(VALU_DEP_1) | instskip(SKIP_3) | instid1(VALU_DEP_1)
	v_pk_add_f32 v[206:207], v[206:207], v[84:85] neg_lo:[0,1] neg_hi:[0,1]
	ds_load_2addr_b64 v[84:87], v202 offset0:52 offset1:53
	s_wait_dscnt 0x0
	v_pk_mul_f32 v[74:75], v[84:85], v[72:73] op_sel:[0,1]
	v_pk_fma_f32 v[88:89], v[84:85], v[70:71], v[74:75] op_sel:[0,0,1] op_sel_hi:[1,1,0] neg_lo:[0,0,1] neg_hi:[0,0,1]
	v_pk_fma_f32 v[74:75], v[84:85], v[70:71], v[74:75] op_sel:[0,0,1] op_sel_hi:[1,0,0]
	s_delay_alu instid0(VALU_DEP_1) | instskip(SKIP_1) | instid1(VALU_DEP_2)
	v_mov_b32_e32 v89, v75
	v_pk_mul_f32 v[74:75], v[86:87], v[72:73] op_sel:[0,1]
	v_pk_add_f32 v[232:233], v[232:233], v[88:89] neg_lo:[0,1] neg_hi:[0,1]
	s_delay_alu instid0(VALU_DEP_2) | instskip(SKIP_1) | instid1(VALU_DEP_1)
	v_pk_fma_f32 v[84:85], v[86:87], v[70:71], v[74:75] op_sel:[0,0,1] op_sel_hi:[1,1,0] neg_lo:[0,0,1] neg_hi:[0,0,1]
	v_pk_fma_f32 v[74:75], v[86:87], v[70:71], v[74:75] op_sel:[0,0,1] op_sel_hi:[1,0,0]
	v_mov_b32_e32 v85, v75
	s_delay_alu instid0(VALU_DEP_1) | instskip(SKIP_3) | instid1(VALU_DEP_1)
	v_pk_add_f32 v[226:227], v[226:227], v[84:85] neg_lo:[0,1] neg_hi:[0,1]
	ds_load_2addr_b64 v[84:87], v202 offset0:54 offset1:55
	s_wait_dscnt 0x0
	v_dual_mul_f32 v74, v85, v73 :: v_dual_mul_f32 v88, v85, v70
	v_pk_fma_f32 v[74:75], v[84:85], v[110:111], v[74:75] op_sel_hi:[1,1,0] neg_lo:[0,0,1] neg_hi:[0,0,1]
	s_delay_alu instid0(VALU_DEP_2) | instskip(NEXT) | instid1(VALU_DEP_1)
	v_pk_fma_f32 v[84:85], v[84:85], v[110:111], v[88:89] op_sel:[1,0,0] op_sel_hi:[0,1,0]
	v_mov_b32_e32 v75, v85
	s_delay_alu instid0(VALU_DEP_1) | instskip(SKIP_1) | instid1(VALU_DEP_1)
	v_pk_add_f32 v[230:231], v[230:231], v[74:75] neg_lo:[0,1] neg_hi:[0,1]
	v_pk_mul_f32 v[74:75], v[86:87], v[72:73] op_sel:[0,1]
	v_pk_fma_f32 v[84:85], v[86:87], v[70:71], v[74:75] op_sel:[0,0,1] op_sel_hi:[1,1,0] neg_lo:[0,0,1] neg_hi:[0,0,1]
	v_pk_fma_f32 v[74:75], v[86:87], v[70:71], v[74:75] op_sel:[0,0,1] op_sel_hi:[1,0,0]
	s_delay_alu instid0(VALU_DEP_1) | instskip(NEXT) | instid1(VALU_DEP_1)
	v_mov_b32_e32 v85, v75
	v_pk_add_f32 v[224:225], v[224:225], v[84:85] neg_lo:[0,1] neg_hi:[0,1]
	ds_load_2addr_b64 v[84:87], v202 offset0:56 offset1:57
	s_wait_dscnt 0x0
	v_pk_mul_f32 v[74:75], v[84:85], v[72:73] op_sel:[0,1]
	s_delay_alu instid0(VALU_DEP_1) | instskip(SKIP_1) | instid1(VALU_DEP_1)
	v_pk_fma_f32 v[88:89], v[84:85], v[70:71], v[74:75] op_sel:[0,0,1] op_sel_hi:[1,1,0] neg_lo:[0,0,1] neg_hi:[0,0,1]
	v_pk_fma_f32 v[74:75], v[84:85], v[70:71], v[74:75] op_sel:[0,0,1] op_sel_hi:[1,0,0]
	v_mov_b32_e32 v89, v75
	v_pk_mul_f32 v[74:75], v[86:87], v[72:73] op_sel:[0,1]
	s_delay_alu instid0(VALU_DEP_2) | instskip(NEXT) | instid1(VALU_DEP_2)
	v_pk_add_f32 v[228:229], v[228:229], v[88:89] neg_lo:[0,1] neg_hi:[0,1]
	v_pk_fma_f32 v[84:85], v[86:87], v[70:71], v[74:75] op_sel:[0,0,1] op_sel_hi:[1,1,0] neg_lo:[0,0,1] neg_hi:[0,0,1]
	v_pk_fma_f32 v[74:75], v[86:87], v[70:71], v[74:75] op_sel:[0,0,1] op_sel_hi:[1,0,0]
	s_delay_alu instid0(VALU_DEP_1) | instskip(SKIP_4) | instid1(VALU_DEP_1)
	v_mov_b32_e32 v85, v75
	ds_load_b64 v[74:75], v202 offset:464
	v_pk_add_f32 v[234:235], v[234:235], v[84:85] neg_lo:[0,1] neg_hi:[0,1]
	s_wait_dscnt 0x0
	v_pk_mul_f32 v[72:73], v[74:75], v[72:73] op_sel:[0,1]
	v_pk_fma_f32 v[84:85], v[74:75], v[70:71], v[72:73] op_sel:[0,0,1] op_sel_hi:[1,1,0] neg_lo:[0,0,1] neg_hi:[0,0,1]
	v_pk_fma_f32 v[70:71], v[74:75], v[70:71], v[72:73] op_sel:[0,0,1] op_sel_hi:[1,0,0]
	s_delay_alu instid0(VALU_DEP_1) | instskip(NEXT) | instid1(VALU_DEP_1)
	v_mov_b32_e32 v85, v71
	v_pk_add_f32 v[236:237], v[236:237], v[84:85] neg_lo:[0,1] neg_hi:[0,1]
.LBB117_235:
	s_or_b32 exec_lo, exec_lo, s1
	s_delay_alu instid0(SALU_CYCLE_1)
	s_mov_b32 s2, exec_lo
	s_wait_dscnt 0x0
	s_barrier_signal -1
	s_barrier_wait -1
	v_cmpx_eq_u32_e32 26, v200
	s_cbranch_execz .LBB117_242
; %bb.236:
	ds_store_b64 v201, v[112:113]
	ds_store_2addr_b64 v202, v[108:109], v[130:131] offset0:27 offset1:28
	ds_store_2addr_b64 v202, v[126:127], v[128:129] offset0:29 offset1:30
	;; [unrolled: 1-line block ×16, first 2 shown]
	ds_load_b64 v[70:71], v201
	s_wait_dscnt 0x0
	v_cmp_neq_f32_e32 vcc_lo, 0, v70
	v_cmp_neq_f32_e64 s1, 0, v71
	s_or_b32 s1, vcc_lo, s1
	s_delay_alu instid0(SALU_CYCLE_1)
	s_and_b32 exec_lo, exec_lo, s1
	s_cbranch_execz .LBB117_242
; %bb.237:
	v_cmp_ngt_f32_e64 s1, |v70|, |v71|
                                        ; implicit-def: $vgpr72_vgpr73
	s_and_saveexec_b32 s4, s1
	s_delay_alu instid0(SALU_CYCLE_1)
	s_xor_b32 s1, exec_lo, s4
	s_cbranch_execz .LBB117_239
; %bb.238:
	v_div_scale_f32 v72, null, v71, v71, v70
	v_div_scale_f32 v75, vcc_lo, v70, v71, v70
	s_delay_alu instid0(VALU_DEP_2) | instskip(SKIP_1) | instid1(TRANS32_DEP_1)
	v_rcp_f32_e32 v73, v72
	v_nop
	v_fma_f32 v74, -v72, v73, 1.0
	s_delay_alu instid0(VALU_DEP_1) | instskip(NEXT) | instid1(VALU_DEP_1)
	v_fmac_f32_e32 v73, v74, v73
	v_mul_f32_e32 v74, v75, v73
	s_delay_alu instid0(VALU_DEP_1) | instskip(NEXT) | instid1(VALU_DEP_1)
	v_fma_f32 v84, -v72, v74, v75
	v_fmac_f32_e32 v74, v84, v73
	s_delay_alu instid0(VALU_DEP_1) | instskip(NEXT) | instid1(VALU_DEP_1)
	v_fma_f32 v72, -v72, v74, v75
	v_div_fmas_f32 v72, v72, v73, v74
	s_delay_alu instid0(VALU_DEP_1) | instskip(NEXT) | instid1(VALU_DEP_1)
	v_div_fixup_f32 v72, v72, v71, v70
	v_fmac_f32_e32 v71, v70, v72
	s_delay_alu instid0(VALU_DEP_1) | instskip(SKIP_1) | instid1(VALU_DEP_2)
	v_div_scale_f32 v70, null, v71, v71, 1.0
	v_div_scale_f32 v75, vcc_lo, 1.0, v71, 1.0
	v_rcp_f32_e32 v73, v70
	v_nop
	s_delay_alu instid0(TRANS32_DEP_1) | instskip(NEXT) | instid1(VALU_DEP_1)
	v_fma_f32 v74, -v70, v73, 1.0
	v_fmac_f32_e32 v73, v74, v73
	s_delay_alu instid0(VALU_DEP_1) | instskip(NEXT) | instid1(VALU_DEP_1)
	v_mul_f32_e32 v74, v75, v73
	v_fma_f32 v84, -v70, v74, v75
	s_delay_alu instid0(VALU_DEP_1) | instskip(NEXT) | instid1(VALU_DEP_1)
	v_fmac_f32_e32 v74, v84, v73
	v_fma_f32 v70, -v70, v74, v75
	s_delay_alu instid0(VALU_DEP_1) | instskip(NEXT) | instid1(VALU_DEP_1)
	v_div_fmas_f32 v70, v70, v73, v74
	v_div_fixup_f32 v70, v70, v71, 1.0
	s_delay_alu instid0(VALU_DEP_1)
	v_mul_f32_e32 v72, v72, v70
	v_xor_b32_e32 v73, 0x80000000, v70
                                        ; implicit-def: $vgpr70_vgpr71
.LBB117_239:
	s_and_not1_saveexec_b32 s1, s1
	s_cbranch_execz .LBB117_241
; %bb.240:
	v_div_scale_f32 v72, null, v70, v70, v71
	v_div_scale_f32 v75, vcc_lo, v71, v70, v71
	s_delay_alu instid0(VALU_DEP_2) | instskip(SKIP_1) | instid1(TRANS32_DEP_1)
	v_rcp_f32_e32 v73, v72
	v_nop
	v_fma_f32 v74, -v72, v73, 1.0
	s_delay_alu instid0(VALU_DEP_1) | instskip(NEXT) | instid1(VALU_DEP_1)
	v_fmac_f32_e32 v73, v74, v73
	v_mul_f32_e32 v74, v75, v73
	s_delay_alu instid0(VALU_DEP_1) | instskip(NEXT) | instid1(VALU_DEP_1)
	v_fma_f32 v84, -v72, v74, v75
	v_fmac_f32_e32 v74, v84, v73
	s_delay_alu instid0(VALU_DEP_1) | instskip(NEXT) | instid1(VALU_DEP_1)
	v_fma_f32 v72, -v72, v74, v75
	v_div_fmas_f32 v72, v72, v73, v74
	s_delay_alu instid0(VALU_DEP_1) | instskip(NEXT) | instid1(VALU_DEP_1)
	v_div_fixup_f32 v73, v72, v70, v71
	v_fmac_f32_e32 v70, v71, v73
	s_delay_alu instid0(VALU_DEP_1) | instskip(NEXT) | instid1(VALU_DEP_1)
	v_div_scale_f32 v71, null, v70, v70, 1.0
	v_rcp_f32_e32 v72, v71
	v_nop
	s_delay_alu instid0(TRANS32_DEP_1) | instskip(NEXT) | instid1(VALU_DEP_1)
	v_fma_f32 v74, -v71, v72, 1.0
	v_fmac_f32_e32 v72, v74, v72
	v_div_scale_f32 v74, vcc_lo, 1.0, v70, 1.0
	s_delay_alu instid0(VALU_DEP_1) | instskip(NEXT) | instid1(VALU_DEP_1)
	v_mul_f32_e32 v75, v74, v72
	v_fma_f32 v84, -v71, v75, v74
	s_delay_alu instid0(VALU_DEP_1) | instskip(NEXT) | instid1(VALU_DEP_1)
	v_fmac_f32_e32 v75, v84, v72
	v_fma_f32 v71, -v71, v75, v74
	s_delay_alu instid0(VALU_DEP_1) | instskip(NEXT) | instid1(VALU_DEP_1)
	v_div_fmas_f32 v71, v71, v72, v75
	v_div_fixup_f32 v72, v71, v70, 1.0
	s_delay_alu instid0(VALU_DEP_1)
	v_mul_f32_e64 v73, v73, -v72
.LBB117_241:
	s_or_b32 exec_lo, exec_lo, s1
	ds_store_b64 v201, v[72:73]
.LBB117_242:
	s_or_b32 exec_lo, exec_lo, s2
	s_wait_dscnt 0x0
	s_barrier_signal -1
	s_barrier_wait -1
	ds_load_b64 v[70:71], v201
	s_mov_b32 s1, exec_lo
	v_cmpx_lt_u32_e32 26, v200
	s_cbranch_execz .LBB117_244
; %bb.243:
	ds_load_2addr_b64 v[84:87], v202 offset0:27 offset1:28
	s_wait_dscnt 0x1
	v_pk_mul_f32 v[74:75], v[70:71], v[112:113] op_sel:[1,1] op_sel_hi:[0,1]
	s_delay_alu instid0(VALU_DEP_1) | instskip(SKIP_1) | instid1(VALU_DEP_1)
	v_pk_fma_f32 v[72:73], v[70:71], v[112:113], v[74:75] op_sel_hi:[1,0,1] neg_lo:[0,0,1] neg_hi:[0,0,1]
	v_pk_fma_f32 v[74:75], v[70:71], v[112:113], v[74:75] op_sel_hi:[1,0,1]
	v_dual_mov_b32 v112, v72 :: v_dual_mov_b32 v113, v75
	s_wait_dscnt 0x0
	s_delay_alu instid0(VALU_DEP_2) | instskip(NEXT) | instid1(VALU_DEP_1)
	v_pk_mul_f32 v[88:89], v[84:85], v[74:75] op_sel:[0,1]
	v_pk_fma_f32 v[90:91], v[84:85], v[72:73], v[88:89] op_sel:[0,0,1] op_sel_hi:[1,1,0] neg_lo:[0,0,1] neg_hi:[0,0,1]
	v_pk_fma_f32 v[84:85], v[84:85], v[72:73], v[88:89] op_sel:[0,0,1] op_sel_hi:[1,0,0]
	s_delay_alu instid0(VALU_DEP_1) | instskip(SKIP_1) | instid1(VALU_DEP_1)
	v_mov_b32_e32 v91, v85
	v_pk_mul_f32 v[84:85], v[86:87], v[74:75] op_sel:[0,1]
	v_pk_fma_f32 v[88:89], v[86:87], v[72:73], v[84:85] op_sel:[0,0,1] op_sel_hi:[1,1,0] neg_lo:[0,0,1] neg_hi:[0,0,1]
	v_pk_fma_f32 v[84:85], v[86:87], v[72:73], v[84:85] op_sel:[0,0,1] op_sel_hi:[1,0,0]
	s_delay_alu instid0(VALU_DEP_1)
	v_mov_b32_e32 v89, v85
	ds_load_2addr_b64 v[84:87], v202 offset0:29 offset1:30
	v_pk_add_f32 v[108:109], v[108:109], v[90:91] neg_lo:[0,1] neg_hi:[0,1]
	v_pk_add_f32 v[130:131], v[130:131], v[88:89] neg_lo:[0,1] neg_hi:[0,1]
	s_wait_dscnt 0x0
	v_pk_mul_f32 v[88:89], v[84:85], v[74:75] op_sel:[0,1]
	s_delay_alu instid0(VALU_DEP_1) | instskip(SKIP_2) | instid1(VALU_DEP_2)
	v_pk_fma_f32 v[90:91], v[84:85], v[72:73], v[88:89] op_sel:[0,0,1] op_sel_hi:[1,1,0] neg_lo:[0,0,1] neg_hi:[0,0,1]
	v_pk_fma_f32 v[84:85], v[84:85], v[72:73], v[88:89] op_sel:[0,0,1] op_sel_hi:[1,0,0]
	v_dual_mul_f32 v88, v87, v75 :: v_dual_mov_b32 v84, v87
	v_dual_mov_b32 v91, v85 :: v_dual_mov_b32 v85, v86
	s_delay_alu instid0(VALU_DEP_2) | instskip(SKIP_1) | instid1(VALU_DEP_3)
	v_pk_fma_f32 v[88:89], v[86:87], v[112:113], v[88:89] op_sel_hi:[1,1,0] neg_lo:[0,0,1] neg_hi:[0,0,1]
	v_mul_f32_e32 v86, v87, v72
	v_pk_add_f32 v[126:127], v[126:127], v[90:91] neg_lo:[0,1] neg_hi:[0,1]
	s_delay_alu instid0(VALU_DEP_2) | instskip(NEXT) | instid1(VALU_DEP_1)
	v_pk_fma_f32 v[84:85], v[84:85], v[112:113], v[86:87] op_sel_hi:[1,1,0]
	v_mov_b32_e32 v89, v85
	ds_load_2addr_b64 v[84:87], v202 offset0:31 offset1:32
	v_pk_add_f32 v[128:129], v[128:129], v[88:89] neg_lo:[0,1] neg_hi:[0,1]
	s_wait_dscnt 0x0
	v_pk_mul_f32 v[88:89], v[84:85], v[74:75] op_sel:[0,1]
	s_delay_alu instid0(VALU_DEP_1) | instskip(SKIP_1) | instid1(VALU_DEP_1)
	v_pk_fma_f32 v[90:91], v[84:85], v[72:73], v[88:89] op_sel:[0,0,1] op_sel_hi:[1,1,0] neg_lo:[0,0,1] neg_hi:[0,0,1]
	v_pk_fma_f32 v[84:85], v[84:85], v[72:73], v[88:89] op_sel:[0,0,1] op_sel_hi:[1,0,0]
	v_mov_b32_e32 v91, v85
	v_pk_mul_f32 v[84:85], v[86:87], v[74:75] op_sel:[0,1]
	s_delay_alu instid0(VALU_DEP_1) | instskip(SKIP_1) | instid1(VALU_DEP_1)
	v_pk_fma_f32 v[88:89], v[86:87], v[72:73], v[84:85] op_sel:[0,0,1] op_sel_hi:[1,1,0] neg_lo:[0,0,1] neg_hi:[0,0,1]
	v_pk_fma_f32 v[84:85], v[86:87], v[72:73], v[84:85] op_sel:[0,0,1] op_sel_hi:[1,0,0]
	v_mov_b32_e32 v89, v85
	ds_load_2addr_b64 v[84:87], v202 offset0:33 offset1:34
	v_pk_add_f32 v[124:125], v[124:125], v[90:91] neg_lo:[0,1] neg_hi:[0,1]
	v_pk_add_f32 v[146:147], v[146:147], v[88:89] neg_lo:[0,1] neg_hi:[0,1]
	s_wait_dscnt 0x0
	v_pk_mul_f32 v[88:89], v[84:85], v[74:75] op_sel:[0,1]
	s_delay_alu instid0(VALU_DEP_1) | instskip(SKIP_1) | instid1(VALU_DEP_1)
	v_pk_fma_f32 v[90:91], v[84:85], v[72:73], v[88:89] op_sel:[0,0,1] op_sel_hi:[1,1,0] neg_lo:[0,0,1] neg_hi:[0,0,1]
	v_pk_fma_f32 v[84:85], v[84:85], v[72:73], v[88:89] op_sel:[0,0,1] op_sel_hi:[1,0,0]
	v_mov_b32_e32 v91, v85
	v_pk_mul_f32 v[84:85], v[86:87], v[74:75] op_sel:[0,1]
	s_delay_alu instid0(VALU_DEP_1) | instskip(SKIP_1) | instid1(VALU_DEP_1)
	v_pk_fma_f32 v[88:89], v[86:87], v[72:73], v[84:85] op_sel:[0,0,1] op_sel_hi:[1,1,0] neg_lo:[0,0,1] neg_hi:[0,0,1]
	v_pk_fma_f32 v[84:85], v[86:87], v[72:73], v[84:85] op_sel:[0,0,1] op_sel_hi:[1,0,0]
	v_mov_b32_e32 v89, v85
	ds_load_2addr_b64 v[84:87], v202 offset0:35 offset1:36
	v_pk_add_f32 v[142:143], v[142:143], v[90:91] neg_lo:[0,1] neg_hi:[0,1]
	v_pk_add_f32 v[144:145], v[144:145], v[88:89] neg_lo:[0,1] neg_hi:[0,1]
	s_wait_dscnt 0x0
	v_dual_mul_f32 v88, v85, v75 :: v_dual_mul_f32 v90, v85, v72
	s_delay_alu instid0(VALU_DEP_1) | instskip(NEXT) | instid1(VALU_DEP_2)
	v_pk_fma_f32 v[88:89], v[84:85], v[112:113], v[88:89] op_sel_hi:[1,1,0] neg_lo:[0,0,1] neg_hi:[0,0,1]
	v_pk_fma_f32 v[84:85], v[84:85], v[112:113], v[90:91] op_sel:[1,0,0] op_sel_hi:[0,1,0]
	s_delay_alu instid0(VALU_DEP_1) | instskip(SKIP_1) | instid1(VALU_DEP_2)
	v_mov_b32_e32 v89, v85
	v_pk_mul_f32 v[84:85], v[86:87], v[74:75] op_sel:[0,1]
	v_pk_add_f32 v[140:141], v[140:141], v[88:89] neg_lo:[0,1] neg_hi:[0,1]
	s_delay_alu instid0(VALU_DEP_2) | instskip(SKIP_1) | instid1(VALU_DEP_1)
	v_pk_fma_f32 v[88:89], v[86:87], v[72:73], v[84:85] op_sel:[0,0,1] op_sel_hi:[1,1,0] neg_lo:[0,0,1] neg_hi:[0,0,1]
	v_pk_fma_f32 v[84:85], v[86:87], v[72:73], v[84:85] op_sel:[0,0,1] op_sel_hi:[1,0,0]
	v_mov_b32_e32 v89, v85
	ds_load_2addr_b64 v[84:87], v202 offset0:37 offset1:38
	v_pk_add_f32 v[162:163], v[162:163], v[88:89] neg_lo:[0,1] neg_hi:[0,1]
	s_wait_dscnt 0x0
	v_pk_mul_f32 v[88:89], v[84:85], v[74:75] op_sel:[0,1]
	s_delay_alu instid0(VALU_DEP_1) | instskip(SKIP_1) | instid1(VALU_DEP_1)
	v_pk_fma_f32 v[90:91], v[84:85], v[72:73], v[88:89] op_sel:[0,0,1] op_sel_hi:[1,1,0] neg_lo:[0,0,1] neg_hi:[0,0,1]
	v_pk_fma_f32 v[84:85], v[84:85], v[72:73], v[88:89] op_sel:[0,0,1] op_sel_hi:[1,0,0]
	v_mov_b32_e32 v91, v85
	v_pk_mul_f32 v[84:85], v[86:87], v[74:75] op_sel:[0,1]
	s_delay_alu instid0(VALU_DEP_2) | instskip(NEXT) | instid1(VALU_DEP_2)
	v_pk_add_f32 v[158:159], v[158:159], v[90:91] neg_lo:[0,1] neg_hi:[0,1]
	v_pk_fma_f32 v[88:89], v[86:87], v[72:73], v[84:85] op_sel:[0,0,1] op_sel_hi:[1,1,0] neg_lo:[0,0,1] neg_hi:[0,0,1]
	v_pk_fma_f32 v[84:85], v[86:87], v[72:73], v[84:85] op_sel:[0,0,1] op_sel_hi:[1,0,0]
	s_delay_alu instid0(VALU_DEP_1) | instskip(SKIP_4) | instid1(VALU_DEP_1)
	v_mov_b32_e32 v89, v85
	ds_load_2addr_b64 v[84:87], v202 offset0:39 offset1:40
	v_pk_add_f32 v[160:161], v[160:161], v[88:89] neg_lo:[0,1] neg_hi:[0,1]
	s_wait_dscnt 0x0
	v_pk_mul_f32 v[88:89], v[84:85], v[74:75] op_sel:[0,1]
	v_pk_fma_f32 v[90:91], v[84:85], v[72:73], v[88:89] op_sel:[0,0,1] op_sel_hi:[1,1,0] neg_lo:[0,0,1] neg_hi:[0,0,1]
	v_pk_fma_f32 v[84:85], v[84:85], v[72:73], v[88:89] op_sel:[0,0,1] op_sel_hi:[1,0,0]
	v_dual_mul_f32 v88, v87, v75 :: v_dual_mov_b32 v84, v87
	s_delay_alu instid0(VALU_DEP_2) | instskip(NEXT) | instid1(VALU_DEP_2)
	v_dual_mov_b32 v91, v85 :: v_dual_mov_b32 v85, v86
	v_pk_fma_f32 v[88:89], v[86:87], v[112:113], v[88:89] op_sel_hi:[1,1,0] neg_lo:[0,0,1] neg_hi:[0,0,1]
	v_mul_f32_e32 v86, v87, v72
	s_delay_alu instid0(VALU_DEP_3) | instskip(NEXT) | instid1(VALU_DEP_2)
	v_pk_add_f32 v[156:157], v[156:157], v[90:91] neg_lo:[0,1] neg_hi:[0,1]
	v_pk_fma_f32 v[84:85], v[84:85], v[112:113], v[86:87] op_sel_hi:[1,1,0]
	s_delay_alu instid0(VALU_DEP_1) | instskip(SKIP_4) | instid1(VALU_DEP_1)
	v_mov_b32_e32 v89, v85
	ds_load_2addr_b64 v[84:87], v202 offset0:41 offset1:42
	v_pk_add_f32 v[178:179], v[178:179], v[88:89] neg_lo:[0,1] neg_hi:[0,1]
	s_wait_dscnt 0x0
	v_pk_mul_f32 v[88:89], v[84:85], v[74:75] op_sel:[0,1]
	v_pk_fma_f32 v[90:91], v[84:85], v[72:73], v[88:89] op_sel:[0,0,1] op_sel_hi:[1,1,0] neg_lo:[0,0,1] neg_hi:[0,0,1]
	v_pk_fma_f32 v[84:85], v[84:85], v[72:73], v[88:89] op_sel:[0,0,1] op_sel_hi:[1,0,0]
	s_delay_alu instid0(VALU_DEP_1) | instskip(SKIP_1) | instid1(VALU_DEP_1)
	v_mov_b32_e32 v91, v85
	v_pk_mul_f32 v[84:85], v[86:87], v[74:75] op_sel:[0,1]
	v_pk_fma_f32 v[88:89], v[86:87], v[72:73], v[84:85] op_sel:[0,0,1] op_sel_hi:[1,1,0] neg_lo:[0,0,1] neg_hi:[0,0,1]
	v_pk_fma_f32 v[84:85], v[86:87], v[72:73], v[84:85] op_sel:[0,0,1] op_sel_hi:[1,0,0]
	s_delay_alu instid0(VALU_DEP_1)
	v_mov_b32_e32 v89, v85
	ds_load_2addr_b64 v[84:87], v202 offset0:43 offset1:44
	v_pk_add_f32 v[174:175], v[174:175], v[90:91] neg_lo:[0,1] neg_hi:[0,1]
	v_pk_add_f32 v[176:177], v[176:177], v[88:89] neg_lo:[0,1] neg_hi:[0,1]
	s_wait_dscnt 0x0
	v_pk_mul_f32 v[88:89], v[84:85], v[74:75] op_sel:[0,1]
	s_delay_alu instid0(VALU_DEP_1) | instskip(SKIP_1) | instid1(VALU_DEP_1)
	v_pk_fma_f32 v[90:91], v[84:85], v[72:73], v[88:89] op_sel:[0,0,1] op_sel_hi:[1,1,0] neg_lo:[0,0,1] neg_hi:[0,0,1]
	v_pk_fma_f32 v[84:85], v[84:85], v[72:73], v[88:89] op_sel:[0,0,1] op_sel_hi:[1,0,0]
	v_mov_b32_e32 v91, v85
	v_pk_mul_f32 v[84:85], v[86:87], v[74:75] op_sel:[0,1]
	s_delay_alu instid0(VALU_DEP_1) | instskip(SKIP_1) | instid1(VALU_DEP_1)
	v_pk_fma_f32 v[88:89], v[86:87], v[72:73], v[84:85] op_sel:[0,0,1] op_sel_hi:[1,1,0] neg_lo:[0,0,1] neg_hi:[0,0,1]
	v_pk_fma_f32 v[84:85], v[86:87], v[72:73], v[84:85] op_sel:[0,0,1] op_sel_hi:[1,0,0]
	v_mov_b32_e32 v89, v85
	ds_load_2addr_b64 v[84:87], v202 offset0:45 offset1:46
	v_pk_add_f32 v[172:173], v[172:173], v[90:91] neg_lo:[0,1] neg_hi:[0,1]
	v_pk_add_f32 v[194:195], v[194:195], v[88:89] neg_lo:[0,1] neg_hi:[0,1]
	s_wait_dscnt 0x0
	v_dual_mul_f32 v88, v85, v75 :: v_dual_mul_f32 v90, v85, v72
	s_delay_alu instid0(VALU_DEP_1) | instskip(NEXT) | instid1(VALU_DEP_2)
	v_pk_fma_f32 v[88:89], v[84:85], v[112:113], v[88:89] op_sel_hi:[1,1,0] neg_lo:[0,0,1] neg_hi:[0,0,1]
	v_pk_fma_f32 v[84:85], v[84:85], v[112:113], v[90:91] op_sel:[1,0,0] op_sel_hi:[0,1,0]
	s_delay_alu instid0(VALU_DEP_1) | instskip(SKIP_1) | instid1(VALU_DEP_2)
	v_mov_b32_e32 v89, v85
	v_pk_mul_f32 v[84:85], v[86:87], v[74:75] op_sel:[0,1]
	v_pk_add_f32 v[190:191], v[190:191], v[88:89] neg_lo:[0,1] neg_hi:[0,1]
	s_delay_alu instid0(VALU_DEP_2) | instskip(SKIP_1) | instid1(VALU_DEP_1)
	v_pk_fma_f32 v[88:89], v[86:87], v[72:73], v[84:85] op_sel:[0,0,1] op_sel_hi:[1,1,0] neg_lo:[0,0,1] neg_hi:[0,0,1]
	v_pk_fma_f32 v[84:85], v[86:87], v[72:73], v[84:85] op_sel:[0,0,1] op_sel_hi:[1,0,0]
	v_mov_b32_e32 v89, v85
	ds_load_2addr_b64 v[84:87], v202 offset0:47 offset1:48
	v_pk_add_f32 v[192:193], v[192:193], v[88:89] neg_lo:[0,1] neg_hi:[0,1]
	s_wait_dscnt 0x0
	v_pk_mul_f32 v[88:89], v[84:85], v[74:75] op_sel:[0,1]
	s_delay_alu instid0(VALU_DEP_1) | instskip(SKIP_1) | instid1(VALU_DEP_1)
	v_pk_fma_f32 v[90:91], v[84:85], v[72:73], v[88:89] op_sel:[0,0,1] op_sel_hi:[1,1,0] neg_lo:[0,0,1] neg_hi:[0,0,1]
	v_pk_fma_f32 v[84:85], v[84:85], v[72:73], v[88:89] op_sel:[0,0,1] op_sel_hi:[1,0,0]
	v_mov_b32_e32 v91, v85
	v_pk_mul_f32 v[84:85], v[86:87], v[74:75] op_sel:[0,1]
	s_delay_alu instid0(VALU_DEP_2) | instskip(NEXT) | instid1(VALU_DEP_2)
	v_pk_add_f32 v[188:189], v[188:189], v[90:91] neg_lo:[0,1] neg_hi:[0,1]
	v_pk_fma_f32 v[88:89], v[86:87], v[72:73], v[84:85] op_sel:[0,0,1] op_sel_hi:[1,1,0] neg_lo:[0,0,1] neg_hi:[0,0,1]
	v_pk_fma_f32 v[84:85], v[86:87], v[72:73], v[84:85] op_sel:[0,0,1] op_sel_hi:[1,0,0]
	s_delay_alu instid0(VALU_DEP_1) | instskip(SKIP_4) | instid1(VALU_DEP_1)
	v_mov_b32_e32 v89, v85
	ds_load_2addr_b64 v[84:87], v202 offset0:49 offset1:50
	v_pk_add_f32 v[212:213], v[212:213], v[88:89] neg_lo:[0,1] neg_hi:[0,1]
	s_wait_dscnt 0x0
	v_pk_mul_f32 v[88:89], v[84:85], v[74:75] op_sel:[0,1]
	v_pk_fma_f32 v[90:91], v[84:85], v[72:73], v[88:89] op_sel:[0,0,1] op_sel_hi:[1,1,0] neg_lo:[0,0,1] neg_hi:[0,0,1]
	v_pk_fma_f32 v[84:85], v[84:85], v[72:73], v[88:89] op_sel:[0,0,1] op_sel_hi:[1,0,0]
	v_dual_mul_f32 v88, v87, v75 :: v_dual_mov_b32 v84, v87
	s_delay_alu instid0(VALU_DEP_2) | instskip(NEXT) | instid1(VALU_DEP_2)
	v_dual_mov_b32 v91, v85 :: v_dual_mov_b32 v85, v86
	v_pk_fma_f32 v[88:89], v[86:87], v[112:113], v[88:89] op_sel_hi:[1,1,0] neg_lo:[0,0,1] neg_hi:[0,0,1]
	v_mul_f32_e32 v86, v87, v72
	s_delay_alu instid0(VALU_DEP_3) | instskip(NEXT) | instid1(VALU_DEP_2)
	v_pk_add_f32 v[208:209], v[208:209], v[90:91] neg_lo:[0,1] neg_hi:[0,1]
	v_pk_fma_f32 v[84:85], v[84:85], v[112:113], v[86:87] op_sel_hi:[1,1,0]
	s_delay_alu instid0(VALU_DEP_1) | instskip(SKIP_4) | instid1(VALU_DEP_1)
	v_mov_b32_e32 v89, v85
	ds_load_2addr_b64 v[84:87], v202 offset0:51 offset1:52
	v_pk_add_f32 v[210:211], v[210:211], v[88:89] neg_lo:[0,1] neg_hi:[0,1]
	s_wait_dscnt 0x0
	v_pk_mul_f32 v[88:89], v[84:85], v[74:75] op_sel:[0,1]
	v_pk_fma_f32 v[90:91], v[84:85], v[72:73], v[88:89] op_sel:[0,0,1] op_sel_hi:[1,1,0] neg_lo:[0,0,1] neg_hi:[0,0,1]
	v_pk_fma_f32 v[84:85], v[84:85], v[72:73], v[88:89] op_sel:[0,0,1] op_sel_hi:[1,0,0]
	s_delay_alu instid0(VALU_DEP_1) | instskip(SKIP_1) | instid1(VALU_DEP_1)
	v_mov_b32_e32 v91, v85
	v_pk_mul_f32 v[84:85], v[86:87], v[74:75] op_sel:[0,1]
	v_pk_fma_f32 v[88:89], v[86:87], v[72:73], v[84:85] op_sel:[0,0,1] op_sel_hi:[1,1,0] neg_lo:[0,0,1] neg_hi:[0,0,1]
	v_pk_fma_f32 v[84:85], v[86:87], v[72:73], v[84:85] op_sel:[0,0,1] op_sel_hi:[1,0,0]
	s_delay_alu instid0(VALU_DEP_1)
	v_mov_b32_e32 v89, v85
	ds_load_2addr_b64 v[84:87], v202 offset0:53 offset1:54
	v_pk_add_f32 v[206:207], v[206:207], v[90:91] neg_lo:[0,1] neg_hi:[0,1]
	v_pk_add_f32 v[232:233], v[232:233], v[88:89] neg_lo:[0,1] neg_hi:[0,1]
	s_wait_dscnt 0x0
	v_pk_mul_f32 v[88:89], v[84:85], v[74:75] op_sel:[0,1]
	s_delay_alu instid0(VALU_DEP_1) | instskip(SKIP_1) | instid1(VALU_DEP_1)
	v_pk_fma_f32 v[90:91], v[84:85], v[72:73], v[88:89] op_sel:[0,0,1] op_sel_hi:[1,1,0] neg_lo:[0,0,1] neg_hi:[0,0,1]
	v_pk_fma_f32 v[84:85], v[84:85], v[72:73], v[88:89] op_sel:[0,0,1] op_sel_hi:[1,0,0]
	v_mov_b32_e32 v91, v85
	v_pk_mul_f32 v[84:85], v[86:87], v[74:75] op_sel:[0,1]
	s_delay_alu instid0(VALU_DEP_1) | instskip(SKIP_1) | instid1(VALU_DEP_1)
	v_pk_fma_f32 v[88:89], v[86:87], v[72:73], v[84:85] op_sel:[0,0,1] op_sel_hi:[1,1,0] neg_lo:[0,0,1] neg_hi:[0,0,1]
	v_pk_fma_f32 v[84:85], v[86:87], v[72:73], v[84:85] op_sel:[0,0,1] op_sel_hi:[1,0,0]
	v_mov_b32_e32 v89, v85
	ds_load_2addr_b64 v[84:87], v202 offset0:55 offset1:56
	v_pk_add_f32 v[226:227], v[226:227], v[90:91] neg_lo:[0,1] neg_hi:[0,1]
	v_pk_add_f32 v[230:231], v[230:231], v[88:89] neg_lo:[0,1] neg_hi:[0,1]
	s_wait_dscnt 0x0
	v_dual_mul_f32 v88, v85, v75 :: v_dual_mul_f32 v90, v85, v72
	s_delay_alu instid0(VALU_DEP_1) | instskip(NEXT) | instid1(VALU_DEP_2)
	v_pk_fma_f32 v[88:89], v[84:85], v[112:113], v[88:89] op_sel_hi:[1,1,0] neg_lo:[0,0,1] neg_hi:[0,0,1]
	v_pk_fma_f32 v[84:85], v[84:85], v[112:113], v[90:91] op_sel:[1,0,0] op_sel_hi:[0,1,0]
	s_delay_alu instid0(VALU_DEP_1) | instskip(SKIP_1) | instid1(VALU_DEP_2)
	v_mov_b32_e32 v89, v85
	v_pk_mul_f32 v[84:85], v[86:87], v[74:75] op_sel:[0,1]
	v_pk_add_f32 v[224:225], v[224:225], v[88:89] neg_lo:[0,1] neg_hi:[0,1]
	s_delay_alu instid0(VALU_DEP_2) | instskip(SKIP_1) | instid1(VALU_DEP_1)
	v_pk_fma_f32 v[88:89], v[86:87], v[72:73], v[84:85] op_sel:[0,0,1] op_sel_hi:[1,1,0] neg_lo:[0,0,1] neg_hi:[0,0,1]
	v_pk_fma_f32 v[84:85], v[86:87], v[72:73], v[84:85] op_sel:[0,0,1] op_sel_hi:[1,0,0]
	v_mov_b32_e32 v89, v85
	ds_load_2addr_b64 v[84:87], v202 offset0:57 offset1:58
	v_pk_add_f32 v[228:229], v[228:229], v[88:89] neg_lo:[0,1] neg_hi:[0,1]
	s_wait_dscnt 0x0
	v_pk_mul_f32 v[88:89], v[84:85], v[74:75] op_sel:[0,1]
	v_pk_mul_f32 v[74:75], v[86:87], v[74:75] op_sel:[0,1]
	s_delay_alu instid0(VALU_DEP_2) | instskip(SKIP_1) | instid1(VALU_DEP_1)
	v_pk_fma_f32 v[90:91], v[84:85], v[72:73], v[88:89] op_sel:[0,0,1] op_sel_hi:[1,1,0] neg_lo:[0,0,1] neg_hi:[0,0,1]
	v_pk_fma_f32 v[84:85], v[84:85], v[72:73], v[88:89] op_sel:[0,0,1] op_sel_hi:[1,0,0]
	v_mov_b32_e32 v91, v85
	s_delay_alu instid0(VALU_DEP_4) | instskip(SKIP_1) | instid1(VALU_DEP_3)
	v_pk_fma_f32 v[84:85], v[86:87], v[72:73], v[74:75] op_sel:[0,0,1] op_sel_hi:[1,1,0] neg_lo:[0,0,1] neg_hi:[0,0,1]
	v_pk_fma_f32 v[72:73], v[86:87], v[72:73], v[74:75] op_sel:[0,0,1] op_sel_hi:[1,0,0]
	v_pk_add_f32 v[234:235], v[234:235], v[90:91] neg_lo:[0,1] neg_hi:[0,1]
	s_delay_alu instid0(VALU_DEP_2) | instskip(NEXT) | instid1(VALU_DEP_1)
	v_mov_b32_e32 v85, v73
	v_pk_add_f32 v[236:237], v[236:237], v[84:85] neg_lo:[0,1] neg_hi:[0,1]
.LBB117_244:
	s_or_b32 exec_lo, exec_lo, s1
	s_delay_alu instid0(SALU_CYCLE_1)
	s_mov_b32 s2, exec_lo
	s_wait_dscnt 0x0
	s_barrier_signal -1
	s_barrier_wait -1
	v_cmpx_eq_u32_e32 27, v200
	s_cbranch_execz .LBB117_251
; %bb.245:
	v_dual_mov_b32 v72, v130 :: v_dual_mov_b32 v73, v131
	v_dual_mov_b32 v74, v126 :: v_dual_mov_b32 v75, v127
	ds_store_b64 v201, v[108:109]
	ds_store_2addr_b64 v202, v[72:73], v[74:75] offset0:28 offset1:29
	v_dual_mov_b32 v72, v128 :: v_dual_mov_b32 v73, v129
	v_dual_mov_b32 v74, v124 :: v_dual_mov_b32 v75, v125
	ds_store_2addr_b64 v202, v[72:73], v[74:75] offset0:30 offset1:31
	v_dual_mov_b32 v72, v146 :: v_dual_mov_b32 v73, v147
	v_dual_mov_b32 v74, v142 :: v_dual_mov_b32 v75, v143
	;; [unrolled: 3-line block ×14, first 2 shown]
	ds_store_2addr_b64 v202, v[72:73], v[74:75] offset0:56 offset1:57
	ds_store_b64 v202, v[236:237] offset:464
	ds_load_b64 v[72:73], v201
	s_wait_dscnt 0x0
	v_cmp_neq_f32_e32 vcc_lo, 0, v72
	v_cmp_neq_f32_e64 s1, 0, v73
	s_or_b32 s1, vcc_lo, s1
	s_delay_alu instid0(SALU_CYCLE_1)
	s_and_b32 exec_lo, exec_lo, s1
	s_cbranch_execz .LBB117_251
; %bb.246:
	v_cmp_ngt_f32_e64 s1, |v72|, |v73|
                                        ; implicit-def: $vgpr74_vgpr75
	s_and_saveexec_b32 s4, s1
	s_delay_alu instid0(SALU_CYCLE_1)
	s_xor_b32 s1, exec_lo, s4
	s_cbranch_execz .LBB117_248
; %bb.247:
	v_div_scale_f32 v74, null, v73, v73, v72
	v_div_scale_f32 v85, vcc_lo, v72, v73, v72
	s_delay_alu instid0(VALU_DEP_2) | instskip(SKIP_1) | instid1(TRANS32_DEP_1)
	v_rcp_f32_e32 v75, v74
	v_nop
	v_fma_f32 v84, -v74, v75, 1.0
	s_delay_alu instid0(VALU_DEP_1) | instskip(NEXT) | instid1(VALU_DEP_1)
	v_fmac_f32_e32 v75, v84, v75
	v_mul_f32_e32 v84, v85, v75
	s_delay_alu instid0(VALU_DEP_1) | instskip(NEXT) | instid1(VALU_DEP_1)
	v_fma_f32 v86, -v74, v84, v85
	v_fmac_f32_e32 v84, v86, v75
	s_delay_alu instid0(VALU_DEP_1) | instskip(NEXT) | instid1(VALU_DEP_1)
	v_fma_f32 v74, -v74, v84, v85
	v_div_fmas_f32 v74, v74, v75, v84
	s_delay_alu instid0(VALU_DEP_1) | instskip(NEXT) | instid1(VALU_DEP_1)
	v_div_fixup_f32 v74, v74, v73, v72
	v_fmac_f32_e32 v73, v72, v74
	s_delay_alu instid0(VALU_DEP_1) | instskip(SKIP_1) | instid1(VALU_DEP_2)
	v_div_scale_f32 v72, null, v73, v73, 1.0
	v_div_scale_f32 v85, vcc_lo, 1.0, v73, 1.0
	v_rcp_f32_e32 v75, v72
	v_nop
	s_delay_alu instid0(TRANS32_DEP_1) | instskip(NEXT) | instid1(VALU_DEP_1)
	v_fma_f32 v84, -v72, v75, 1.0
	v_fmac_f32_e32 v75, v84, v75
	s_delay_alu instid0(VALU_DEP_1) | instskip(NEXT) | instid1(VALU_DEP_1)
	v_mul_f32_e32 v84, v85, v75
	v_fma_f32 v86, -v72, v84, v85
	s_delay_alu instid0(VALU_DEP_1) | instskip(NEXT) | instid1(VALU_DEP_1)
	v_fmac_f32_e32 v84, v86, v75
	v_fma_f32 v72, -v72, v84, v85
	s_delay_alu instid0(VALU_DEP_1) | instskip(NEXT) | instid1(VALU_DEP_1)
	v_div_fmas_f32 v72, v72, v75, v84
	v_div_fixup_f32 v72, v72, v73, 1.0
	s_delay_alu instid0(VALU_DEP_1)
	v_mul_f32_e32 v74, v74, v72
	v_xor_b32_e32 v75, 0x80000000, v72
                                        ; implicit-def: $vgpr72_vgpr73
.LBB117_248:
	s_and_not1_saveexec_b32 s1, s1
	s_cbranch_execz .LBB117_250
; %bb.249:
	v_div_scale_f32 v74, null, v72, v72, v73
	v_div_scale_f32 v85, vcc_lo, v73, v72, v73
	s_delay_alu instid0(VALU_DEP_2) | instskip(SKIP_1) | instid1(TRANS32_DEP_1)
	v_rcp_f32_e32 v75, v74
	v_nop
	v_fma_f32 v84, -v74, v75, 1.0
	s_delay_alu instid0(VALU_DEP_1) | instskip(NEXT) | instid1(VALU_DEP_1)
	v_fmac_f32_e32 v75, v84, v75
	v_mul_f32_e32 v84, v85, v75
	s_delay_alu instid0(VALU_DEP_1) | instskip(NEXT) | instid1(VALU_DEP_1)
	v_fma_f32 v86, -v74, v84, v85
	v_fmac_f32_e32 v84, v86, v75
	s_delay_alu instid0(VALU_DEP_1) | instskip(NEXT) | instid1(VALU_DEP_1)
	v_fma_f32 v74, -v74, v84, v85
	v_div_fmas_f32 v74, v74, v75, v84
	s_delay_alu instid0(VALU_DEP_1) | instskip(NEXT) | instid1(VALU_DEP_1)
	v_div_fixup_f32 v75, v74, v72, v73
	v_fmac_f32_e32 v72, v73, v75
	s_delay_alu instid0(VALU_DEP_1) | instskip(NEXT) | instid1(VALU_DEP_1)
	v_div_scale_f32 v73, null, v72, v72, 1.0
	v_rcp_f32_e32 v74, v73
	v_nop
	s_delay_alu instid0(TRANS32_DEP_1) | instskip(NEXT) | instid1(VALU_DEP_1)
	v_fma_f32 v84, -v73, v74, 1.0
	v_fmac_f32_e32 v74, v84, v74
	v_div_scale_f32 v84, vcc_lo, 1.0, v72, 1.0
	s_delay_alu instid0(VALU_DEP_1) | instskip(NEXT) | instid1(VALU_DEP_1)
	v_mul_f32_e32 v85, v84, v74
	v_fma_f32 v86, -v73, v85, v84
	s_delay_alu instid0(VALU_DEP_1) | instskip(NEXT) | instid1(VALU_DEP_1)
	v_fmac_f32_e32 v85, v86, v74
	v_fma_f32 v73, -v73, v85, v84
	s_delay_alu instid0(VALU_DEP_1) | instskip(NEXT) | instid1(VALU_DEP_1)
	v_div_fmas_f32 v73, v73, v74, v85
	v_div_fixup_f32 v74, v73, v72, 1.0
	s_delay_alu instid0(VALU_DEP_1)
	v_mul_f32_e64 v75, v75, -v74
.LBB117_250:
	s_or_b32 exec_lo, exec_lo, s1
	ds_store_b64 v201, v[74:75]
.LBB117_251:
	s_or_b32 exec_lo, exec_lo, s2
	s_wait_dscnt 0x0
	s_barrier_signal -1
	s_barrier_wait -1
	ds_load_b64 v[72:73], v201
	s_mov_b32 s1, exec_lo
	v_cmpx_lt_u32_e32 27, v200
	s_cbranch_execz .LBB117_253
; %bb.252:
	ds_load_2addr_b64 v[86:89], v202 offset0:28 offset1:29
	s_wait_dscnt 0x1
	v_pk_mul_f32 v[84:85], v[72:73], v[108:109] op_sel:[1,1] op_sel_hi:[0,1]
	s_delay_alu instid0(VALU_DEP_1) | instskip(SKIP_1) | instid1(VALU_DEP_1)
	v_pk_fma_f32 v[74:75], v[72:73], v[108:109], v[84:85] op_sel_hi:[1,0,1] neg_lo:[0,0,1] neg_hi:[0,0,1]
	v_pk_fma_f32 v[84:85], v[72:73], v[108:109], v[84:85] op_sel_hi:[1,0,1]
	v_dual_mov_b32 v108, v74 :: v_dual_mov_b32 v109, v85
	s_wait_dscnt 0x0
	s_delay_alu instid0(VALU_DEP_2) | instskip(NEXT) | instid1(VALU_DEP_1)
	v_pk_mul_f32 v[90:91], v[86:87], v[84:85] op_sel:[0,1]
	v_pk_fma_f32 v[100:101], v[86:87], v[74:75], v[90:91] op_sel:[0,0,1] op_sel_hi:[1,1,0] neg_lo:[0,0,1] neg_hi:[0,0,1]
	v_pk_fma_f32 v[86:87], v[86:87], v[74:75], v[90:91] op_sel:[0,0,1] op_sel_hi:[1,0,0]
	s_delay_alu instid0(VALU_DEP_1) | instskip(SKIP_1) | instid1(VALU_DEP_1)
	v_mov_b32_e32 v101, v87
	v_pk_mul_f32 v[86:87], v[88:89], v[84:85] op_sel:[0,1]
	v_pk_fma_f32 v[90:91], v[88:89], v[74:75], v[86:87] op_sel:[0,0,1] op_sel_hi:[1,1,0] neg_lo:[0,0,1] neg_hi:[0,0,1]
	v_pk_fma_f32 v[86:87], v[88:89], v[74:75], v[86:87] op_sel:[0,0,1] op_sel_hi:[1,0,0]
	s_delay_alu instid0(VALU_DEP_1)
	v_mov_b32_e32 v91, v87
	ds_load_2addr_b64 v[86:89], v202 offset0:30 offset1:31
	v_pk_add_f32 v[130:131], v[130:131], v[100:101] neg_lo:[0,1] neg_hi:[0,1]
	v_pk_add_f32 v[126:127], v[126:127], v[90:91] neg_lo:[0,1] neg_hi:[0,1]
	s_wait_dscnt 0x0
	v_pk_mul_f32 v[90:91], v[86:87], v[84:85] op_sel:[0,1]
	s_delay_alu instid0(VALU_DEP_1) | instskip(SKIP_2) | instid1(VALU_DEP_2)
	v_pk_fma_f32 v[100:101], v[86:87], v[74:75], v[90:91] op_sel:[0,0,1] op_sel_hi:[1,1,0] neg_lo:[0,0,1] neg_hi:[0,0,1]
	v_pk_fma_f32 v[86:87], v[86:87], v[74:75], v[90:91] op_sel:[0,0,1] op_sel_hi:[1,0,0]
	v_dual_mul_f32 v90, v89, v85 :: v_dual_mov_b32 v86, v89
	v_dual_mov_b32 v101, v87 :: v_dual_mov_b32 v87, v88
	s_delay_alu instid0(VALU_DEP_2) | instskip(SKIP_1) | instid1(VALU_DEP_3)
	v_pk_fma_f32 v[90:91], v[88:89], v[108:109], v[90:91] op_sel_hi:[1,1,0] neg_lo:[0,0,1] neg_hi:[0,0,1]
	v_mul_f32_e32 v88, v89, v74
	v_pk_add_f32 v[128:129], v[128:129], v[100:101] neg_lo:[0,1] neg_hi:[0,1]
	s_delay_alu instid0(VALU_DEP_2) | instskip(NEXT) | instid1(VALU_DEP_1)
	v_pk_fma_f32 v[86:87], v[86:87], v[108:109], v[88:89] op_sel_hi:[1,1,0]
	v_mov_b32_e32 v91, v87
	ds_load_2addr_b64 v[86:89], v202 offset0:32 offset1:33
	v_pk_add_f32 v[124:125], v[124:125], v[90:91] neg_lo:[0,1] neg_hi:[0,1]
	s_wait_dscnt 0x0
	v_pk_mul_f32 v[90:91], v[86:87], v[84:85] op_sel:[0,1]
	s_delay_alu instid0(VALU_DEP_1) | instskip(SKIP_1) | instid1(VALU_DEP_1)
	v_pk_fma_f32 v[100:101], v[86:87], v[74:75], v[90:91] op_sel:[0,0,1] op_sel_hi:[1,1,0] neg_lo:[0,0,1] neg_hi:[0,0,1]
	v_pk_fma_f32 v[86:87], v[86:87], v[74:75], v[90:91] op_sel:[0,0,1] op_sel_hi:[1,0,0]
	v_mov_b32_e32 v101, v87
	v_pk_mul_f32 v[86:87], v[88:89], v[84:85] op_sel:[0,1]
	s_delay_alu instid0(VALU_DEP_1) | instskip(SKIP_1) | instid1(VALU_DEP_1)
	v_pk_fma_f32 v[90:91], v[88:89], v[74:75], v[86:87] op_sel:[0,0,1] op_sel_hi:[1,1,0] neg_lo:[0,0,1] neg_hi:[0,0,1]
	v_pk_fma_f32 v[86:87], v[88:89], v[74:75], v[86:87] op_sel:[0,0,1] op_sel_hi:[1,0,0]
	v_mov_b32_e32 v91, v87
	ds_load_2addr_b64 v[86:89], v202 offset0:34 offset1:35
	v_pk_add_f32 v[146:147], v[146:147], v[100:101] neg_lo:[0,1] neg_hi:[0,1]
	v_pk_add_f32 v[142:143], v[142:143], v[90:91] neg_lo:[0,1] neg_hi:[0,1]
	s_wait_dscnt 0x0
	v_pk_mul_f32 v[90:91], v[86:87], v[84:85] op_sel:[0,1]
	s_delay_alu instid0(VALU_DEP_1) | instskip(SKIP_1) | instid1(VALU_DEP_1)
	v_pk_fma_f32 v[100:101], v[86:87], v[74:75], v[90:91] op_sel:[0,0,1] op_sel_hi:[1,1,0] neg_lo:[0,0,1] neg_hi:[0,0,1]
	v_pk_fma_f32 v[86:87], v[86:87], v[74:75], v[90:91] op_sel:[0,0,1] op_sel_hi:[1,0,0]
	v_mov_b32_e32 v101, v87
	v_pk_mul_f32 v[86:87], v[88:89], v[84:85] op_sel:[0,1]
	s_delay_alu instid0(VALU_DEP_1) | instskip(SKIP_1) | instid1(VALU_DEP_1)
	v_pk_fma_f32 v[90:91], v[88:89], v[74:75], v[86:87] op_sel:[0,0,1] op_sel_hi:[1,1,0] neg_lo:[0,0,1] neg_hi:[0,0,1]
	v_pk_fma_f32 v[86:87], v[88:89], v[74:75], v[86:87] op_sel:[0,0,1] op_sel_hi:[1,0,0]
	v_mov_b32_e32 v91, v87
	ds_load_2addr_b64 v[86:89], v202 offset0:36 offset1:37
	v_pk_add_f32 v[144:145], v[144:145], v[100:101] neg_lo:[0,1] neg_hi:[0,1]
	v_pk_add_f32 v[140:141], v[140:141], v[90:91] neg_lo:[0,1] neg_hi:[0,1]
	s_wait_dscnt 0x0
	v_dual_mul_f32 v90, v87, v85 :: v_dual_mul_f32 v100, v87, v74
	s_delay_alu instid0(VALU_DEP_1) | instskip(NEXT) | instid1(VALU_DEP_2)
	v_pk_fma_f32 v[90:91], v[86:87], v[108:109], v[90:91] op_sel_hi:[1,1,0] neg_lo:[0,0,1] neg_hi:[0,0,1]
	v_pk_fma_f32 v[86:87], v[86:87], v[108:109], v[100:101] op_sel:[1,0,0] op_sel_hi:[0,1,0]
	s_delay_alu instid0(VALU_DEP_1) | instskip(SKIP_1) | instid1(VALU_DEP_2)
	v_mov_b32_e32 v91, v87
	v_pk_mul_f32 v[86:87], v[88:89], v[84:85] op_sel:[0,1]
	v_pk_add_f32 v[162:163], v[162:163], v[90:91] neg_lo:[0,1] neg_hi:[0,1]
	s_delay_alu instid0(VALU_DEP_2) | instskip(SKIP_1) | instid1(VALU_DEP_1)
	v_pk_fma_f32 v[90:91], v[88:89], v[74:75], v[86:87] op_sel:[0,0,1] op_sel_hi:[1,1,0] neg_lo:[0,0,1] neg_hi:[0,0,1]
	v_pk_fma_f32 v[86:87], v[88:89], v[74:75], v[86:87] op_sel:[0,0,1] op_sel_hi:[1,0,0]
	v_mov_b32_e32 v91, v87
	ds_load_2addr_b64 v[86:89], v202 offset0:38 offset1:39
	v_pk_add_f32 v[158:159], v[158:159], v[90:91] neg_lo:[0,1] neg_hi:[0,1]
	s_wait_dscnt 0x0
	v_pk_mul_f32 v[90:91], v[86:87], v[84:85] op_sel:[0,1]
	s_delay_alu instid0(VALU_DEP_1) | instskip(SKIP_1) | instid1(VALU_DEP_1)
	v_pk_fma_f32 v[100:101], v[86:87], v[74:75], v[90:91] op_sel:[0,0,1] op_sel_hi:[1,1,0] neg_lo:[0,0,1] neg_hi:[0,0,1]
	v_pk_fma_f32 v[86:87], v[86:87], v[74:75], v[90:91] op_sel:[0,0,1] op_sel_hi:[1,0,0]
	v_mov_b32_e32 v101, v87
	v_pk_mul_f32 v[86:87], v[88:89], v[84:85] op_sel:[0,1]
	s_delay_alu instid0(VALU_DEP_2) | instskip(NEXT) | instid1(VALU_DEP_2)
	v_pk_add_f32 v[160:161], v[160:161], v[100:101] neg_lo:[0,1] neg_hi:[0,1]
	v_pk_fma_f32 v[90:91], v[88:89], v[74:75], v[86:87] op_sel:[0,0,1] op_sel_hi:[1,1,0] neg_lo:[0,0,1] neg_hi:[0,0,1]
	v_pk_fma_f32 v[86:87], v[88:89], v[74:75], v[86:87] op_sel:[0,0,1] op_sel_hi:[1,0,0]
	s_delay_alu instid0(VALU_DEP_1) | instskip(SKIP_4) | instid1(VALU_DEP_1)
	v_mov_b32_e32 v91, v87
	ds_load_2addr_b64 v[86:89], v202 offset0:40 offset1:41
	v_pk_add_f32 v[156:157], v[156:157], v[90:91] neg_lo:[0,1] neg_hi:[0,1]
	s_wait_dscnt 0x0
	v_pk_mul_f32 v[90:91], v[86:87], v[84:85] op_sel:[0,1]
	v_pk_fma_f32 v[100:101], v[86:87], v[74:75], v[90:91] op_sel:[0,0,1] op_sel_hi:[1,1,0] neg_lo:[0,0,1] neg_hi:[0,0,1]
	v_pk_fma_f32 v[86:87], v[86:87], v[74:75], v[90:91] op_sel:[0,0,1] op_sel_hi:[1,0,0]
	v_dual_mul_f32 v90, v89, v85 :: v_dual_mov_b32 v86, v89
	s_delay_alu instid0(VALU_DEP_2) | instskip(NEXT) | instid1(VALU_DEP_2)
	v_dual_mov_b32 v101, v87 :: v_dual_mov_b32 v87, v88
	v_pk_fma_f32 v[90:91], v[88:89], v[108:109], v[90:91] op_sel_hi:[1,1,0] neg_lo:[0,0,1] neg_hi:[0,0,1]
	v_mul_f32_e32 v88, v89, v74
	s_delay_alu instid0(VALU_DEP_3) | instskip(NEXT) | instid1(VALU_DEP_2)
	v_pk_add_f32 v[178:179], v[178:179], v[100:101] neg_lo:[0,1] neg_hi:[0,1]
	v_pk_fma_f32 v[86:87], v[86:87], v[108:109], v[88:89] op_sel_hi:[1,1,0]
	s_delay_alu instid0(VALU_DEP_1) | instskip(SKIP_4) | instid1(VALU_DEP_1)
	v_mov_b32_e32 v91, v87
	ds_load_2addr_b64 v[86:89], v202 offset0:42 offset1:43
	v_pk_add_f32 v[174:175], v[174:175], v[90:91] neg_lo:[0,1] neg_hi:[0,1]
	s_wait_dscnt 0x0
	v_pk_mul_f32 v[90:91], v[86:87], v[84:85] op_sel:[0,1]
	v_pk_fma_f32 v[100:101], v[86:87], v[74:75], v[90:91] op_sel:[0,0,1] op_sel_hi:[1,1,0] neg_lo:[0,0,1] neg_hi:[0,0,1]
	v_pk_fma_f32 v[86:87], v[86:87], v[74:75], v[90:91] op_sel:[0,0,1] op_sel_hi:[1,0,0]
	s_delay_alu instid0(VALU_DEP_1) | instskip(SKIP_1) | instid1(VALU_DEP_1)
	v_mov_b32_e32 v101, v87
	v_pk_mul_f32 v[86:87], v[88:89], v[84:85] op_sel:[0,1]
	v_pk_fma_f32 v[90:91], v[88:89], v[74:75], v[86:87] op_sel:[0,0,1] op_sel_hi:[1,1,0] neg_lo:[0,0,1] neg_hi:[0,0,1]
	v_pk_fma_f32 v[86:87], v[88:89], v[74:75], v[86:87] op_sel:[0,0,1] op_sel_hi:[1,0,0]
	s_delay_alu instid0(VALU_DEP_1)
	v_mov_b32_e32 v91, v87
	ds_load_2addr_b64 v[86:89], v202 offset0:44 offset1:45
	v_pk_add_f32 v[176:177], v[176:177], v[100:101] neg_lo:[0,1] neg_hi:[0,1]
	v_pk_add_f32 v[172:173], v[172:173], v[90:91] neg_lo:[0,1] neg_hi:[0,1]
	s_wait_dscnt 0x0
	v_pk_mul_f32 v[90:91], v[86:87], v[84:85] op_sel:[0,1]
	s_delay_alu instid0(VALU_DEP_1) | instskip(SKIP_1) | instid1(VALU_DEP_1)
	v_pk_fma_f32 v[100:101], v[86:87], v[74:75], v[90:91] op_sel:[0,0,1] op_sel_hi:[1,1,0] neg_lo:[0,0,1] neg_hi:[0,0,1]
	v_pk_fma_f32 v[86:87], v[86:87], v[74:75], v[90:91] op_sel:[0,0,1] op_sel_hi:[1,0,0]
	v_mov_b32_e32 v101, v87
	v_pk_mul_f32 v[86:87], v[88:89], v[84:85] op_sel:[0,1]
	s_delay_alu instid0(VALU_DEP_1) | instskip(SKIP_1) | instid1(VALU_DEP_1)
	v_pk_fma_f32 v[90:91], v[88:89], v[74:75], v[86:87] op_sel:[0,0,1] op_sel_hi:[1,1,0] neg_lo:[0,0,1] neg_hi:[0,0,1]
	v_pk_fma_f32 v[86:87], v[88:89], v[74:75], v[86:87] op_sel:[0,0,1] op_sel_hi:[1,0,0]
	v_mov_b32_e32 v91, v87
	ds_load_2addr_b64 v[86:89], v202 offset0:46 offset1:47
	v_pk_add_f32 v[194:195], v[194:195], v[100:101] neg_lo:[0,1] neg_hi:[0,1]
	v_pk_add_f32 v[190:191], v[190:191], v[90:91] neg_lo:[0,1] neg_hi:[0,1]
	s_wait_dscnt 0x0
	v_dual_mul_f32 v90, v87, v85 :: v_dual_mul_f32 v100, v87, v74
	s_delay_alu instid0(VALU_DEP_1) | instskip(NEXT) | instid1(VALU_DEP_2)
	v_pk_fma_f32 v[90:91], v[86:87], v[108:109], v[90:91] op_sel_hi:[1,1,0] neg_lo:[0,0,1] neg_hi:[0,0,1]
	v_pk_fma_f32 v[86:87], v[86:87], v[108:109], v[100:101] op_sel:[1,0,0] op_sel_hi:[0,1,0]
	s_delay_alu instid0(VALU_DEP_1) | instskip(SKIP_1) | instid1(VALU_DEP_2)
	v_mov_b32_e32 v91, v87
	v_pk_mul_f32 v[86:87], v[88:89], v[84:85] op_sel:[0,1]
	v_pk_add_f32 v[192:193], v[192:193], v[90:91] neg_lo:[0,1] neg_hi:[0,1]
	s_delay_alu instid0(VALU_DEP_2) | instskip(SKIP_1) | instid1(VALU_DEP_1)
	v_pk_fma_f32 v[90:91], v[88:89], v[74:75], v[86:87] op_sel:[0,0,1] op_sel_hi:[1,1,0] neg_lo:[0,0,1] neg_hi:[0,0,1]
	v_pk_fma_f32 v[86:87], v[88:89], v[74:75], v[86:87] op_sel:[0,0,1] op_sel_hi:[1,0,0]
	v_mov_b32_e32 v91, v87
	ds_load_2addr_b64 v[86:89], v202 offset0:48 offset1:49
	v_pk_add_f32 v[188:189], v[188:189], v[90:91] neg_lo:[0,1] neg_hi:[0,1]
	s_wait_dscnt 0x0
	v_pk_mul_f32 v[90:91], v[86:87], v[84:85] op_sel:[0,1]
	s_delay_alu instid0(VALU_DEP_1) | instskip(SKIP_1) | instid1(VALU_DEP_1)
	v_pk_fma_f32 v[100:101], v[86:87], v[74:75], v[90:91] op_sel:[0,0,1] op_sel_hi:[1,1,0] neg_lo:[0,0,1] neg_hi:[0,0,1]
	v_pk_fma_f32 v[86:87], v[86:87], v[74:75], v[90:91] op_sel:[0,0,1] op_sel_hi:[1,0,0]
	v_mov_b32_e32 v101, v87
	v_pk_mul_f32 v[86:87], v[88:89], v[84:85] op_sel:[0,1]
	s_delay_alu instid0(VALU_DEP_2) | instskip(NEXT) | instid1(VALU_DEP_2)
	v_pk_add_f32 v[212:213], v[212:213], v[100:101] neg_lo:[0,1] neg_hi:[0,1]
	v_pk_fma_f32 v[90:91], v[88:89], v[74:75], v[86:87] op_sel:[0,0,1] op_sel_hi:[1,1,0] neg_lo:[0,0,1] neg_hi:[0,0,1]
	v_pk_fma_f32 v[86:87], v[88:89], v[74:75], v[86:87] op_sel:[0,0,1] op_sel_hi:[1,0,0]
	s_delay_alu instid0(VALU_DEP_1) | instskip(SKIP_4) | instid1(VALU_DEP_1)
	v_mov_b32_e32 v91, v87
	ds_load_2addr_b64 v[86:89], v202 offset0:50 offset1:51
	v_pk_add_f32 v[208:209], v[208:209], v[90:91] neg_lo:[0,1] neg_hi:[0,1]
	s_wait_dscnt 0x0
	v_pk_mul_f32 v[90:91], v[86:87], v[84:85] op_sel:[0,1]
	v_pk_fma_f32 v[100:101], v[86:87], v[74:75], v[90:91] op_sel:[0,0,1] op_sel_hi:[1,1,0] neg_lo:[0,0,1] neg_hi:[0,0,1]
	v_pk_fma_f32 v[86:87], v[86:87], v[74:75], v[90:91] op_sel:[0,0,1] op_sel_hi:[1,0,0]
	v_dual_mul_f32 v90, v89, v85 :: v_dual_mov_b32 v86, v89
	s_delay_alu instid0(VALU_DEP_2) | instskip(NEXT) | instid1(VALU_DEP_2)
	v_dual_mov_b32 v101, v87 :: v_dual_mov_b32 v87, v88
	v_pk_fma_f32 v[90:91], v[88:89], v[108:109], v[90:91] op_sel_hi:[1,1,0] neg_lo:[0,0,1] neg_hi:[0,0,1]
	v_mul_f32_e32 v88, v89, v74
	s_delay_alu instid0(VALU_DEP_3) | instskip(NEXT) | instid1(VALU_DEP_2)
	v_pk_add_f32 v[210:211], v[210:211], v[100:101] neg_lo:[0,1] neg_hi:[0,1]
	v_pk_fma_f32 v[86:87], v[86:87], v[108:109], v[88:89] op_sel_hi:[1,1,0]
	s_delay_alu instid0(VALU_DEP_1) | instskip(SKIP_4) | instid1(VALU_DEP_1)
	v_mov_b32_e32 v91, v87
	ds_load_2addr_b64 v[86:89], v202 offset0:52 offset1:53
	v_pk_add_f32 v[206:207], v[206:207], v[90:91] neg_lo:[0,1] neg_hi:[0,1]
	s_wait_dscnt 0x0
	v_pk_mul_f32 v[90:91], v[86:87], v[84:85] op_sel:[0,1]
	v_pk_fma_f32 v[100:101], v[86:87], v[74:75], v[90:91] op_sel:[0,0,1] op_sel_hi:[1,1,0] neg_lo:[0,0,1] neg_hi:[0,0,1]
	v_pk_fma_f32 v[86:87], v[86:87], v[74:75], v[90:91] op_sel:[0,0,1] op_sel_hi:[1,0,0]
	s_delay_alu instid0(VALU_DEP_1) | instskip(SKIP_1) | instid1(VALU_DEP_1)
	v_mov_b32_e32 v101, v87
	v_pk_mul_f32 v[86:87], v[88:89], v[84:85] op_sel:[0,1]
	v_pk_fma_f32 v[90:91], v[88:89], v[74:75], v[86:87] op_sel:[0,0,1] op_sel_hi:[1,1,0] neg_lo:[0,0,1] neg_hi:[0,0,1]
	v_pk_fma_f32 v[86:87], v[88:89], v[74:75], v[86:87] op_sel:[0,0,1] op_sel_hi:[1,0,0]
	s_delay_alu instid0(VALU_DEP_1)
	v_mov_b32_e32 v91, v87
	ds_load_2addr_b64 v[86:89], v202 offset0:54 offset1:55
	v_pk_add_f32 v[232:233], v[232:233], v[100:101] neg_lo:[0,1] neg_hi:[0,1]
	v_pk_add_f32 v[226:227], v[226:227], v[90:91] neg_lo:[0,1] neg_hi:[0,1]
	s_wait_dscnt 0x0
	v_pk_mul_f32 v[90:91], v[86:87], v[84:85] op_sel:[0,1]
	s_delay_alu instid0(VALU_DEP_1) | instskip(SKIP_1) | instid1(VALU_DEP_1)
	v_pk_fma_f32 v[100:101], v[86:87], v[74:75], v[90:91] op_sel:[0,0,1] op_sel_hi:[1,1,0] neg_lo:[0,0,1] neg_hi:[0,0,1]
	v_pk_fma_f32 v[86:87], v[86:87], v[74:75], v[90:91] op_sel:[0,0,1] op_sel_hi:[1,0,0]
	v_mov_b32_e32 v101, v87
	v_pk_mul_f32 v[86:87], v[88:89], v[84:85] op_sel:[0,1]
	s_delay_alu instid0(VALU_DEP_1) | instskip(SKIP_1) | instid1(VALU_DEP_1)
	v_pk_fma_f32 v[90:91], v[88:89], v[74:75], v[86:87] op_sel:[0,0,1] op_sel_hi:[1,1,0] neg_lo:[0,0,1] neg_hi:[0,0,1]
	v_pk_fma_f32 v[86:87], v[88:89], v[74:75], v[86:87] op_sel:[0,0,1] op_sel_hi:[1,0,0]
	v_mov_b32_e32 v91, v87
	ds_load_2addr_b64 v[86:89], v202 offset0:56 offset1:57
	v_pk_add_f32 v[230:231], v[230:231], v[100:101] neg_lo:[0,1] neg_hi:[0,1]
	v_pk_add_f32 v[224:225], v[224:225], v[90:91] neg_lo:[0,1] neg_hi:[0,1]
	s_wait_dscnt 0x0
	v_dual_mul_f32 v90, v87, v85 :: v_dual_mul_f32 v100, v87, v74
	s_delay_alu instid0(VALU_DEP_1) | instskip(NEXT) | instid1(VALU_DEP_2)
	v_pk_fma_f32 v[90:91], v[86:87], v[108:109], v[90:91] op_sel_hi:[1,1,0] neg_lo:[0,0,1] neg_hi:[0,0,1]
	v_pk_fma_f32 v[86:87], v[86:87], v[108:109], v[100:101] op_sel:[1,0,0] op_sel_hi:[0,1,0]
	s_delay_alu instid0(VALU_DEP_1) | instskip(SKIP_1) | instid1(VALU_DEP_2)
	v_mov_b32_e32 v91, v87
	v_pk_mul_f32 v[86:87], v[88:89], v[84:85] op_sel:[0,1]
	v_pk_add_f32 v[228:229], v[228:229], v[90:91] neg_lo:[0,1] neg_hi:[0,1]
	s_delay_alu instid0(VALU_DEP_2) | instskip(SKIP_1) | instid1(VALU_DEP_1)
	v_pk_fma_f32 v[90:91], v[88:89], v[74:75], v[86:87] op_sel:[0,0,1] op_sel_hi:[1,1,0] neg_lo:[0,0,1] neg_hi:[0,0,1]
	v_pk_fma_f32 v[86:87], v[88:89], v[74:75], v[86:87] op_sel:[0,0,1] op_sel_hi:[1,0,0]
	v_mov_b32_e32 v91, v87
	ds_load_b64 v[86:87], v202 offset:464
	v_pk_add_f32 v[234:235], v[234:235], v[90:91] neg_lo:[0,1] neg_hi:[0,1]
	s_wait_dscnt 0x0
	v_pk_mul_f32 v[84:85], v[86:87], v[84:85] op_sel:[0,1]
	s_delay_alu instid0(VALU_DEP_1) | instskip(SKIP_1) | instid1(VALU_DEP_1)
	v_pk_fma_f32 v[88:89], v[86:87], v[74:75], v[84:85] op_sel:[0,0,1] op_sel_hi:[1,1,0] neg_lo:[0,0,1] neg_hi:[0,0,1]
	v_pk_fma_f32 v[74:75], v[86:87], v[74:75], v[84:85] op_sel:[0,0,1] op_sel_hi:[1,0,0]
	v_mov_b32_e32 v89, v75
	s_delay_alu instid0(VALU_DEP_1)
	v_pk_add_f32 v[236:237], v[236:237], v[88:89] neg_lo:[0,1] neg_hi:[0,1]
.LBB117_253:
	s_or_b32 exec_lo, exec_lo, s1
	s_delay_alu instid0(SALU_CYCLE_1)
	s_mov_b32 s2, exec_lo
	s_wait_dscnt 0x0
	s_barrier_signal -1
	s_barrier_wait -1
	v_cmpx_eq_u32_e32 28, v200
	s_cbranch_execz .LBB117_260
; %bb.254:
	ds_store_b64 v201, v[130:131]
	ds_store_2addr_b64 v202, v[126:127], v[128:129] offset0:29 offset1:30
	ds_store_2addr_b64 v202, v[124:125], v[146:147] offset0:31 offset1:32
	;; [unrolled: 1-line block ×15, first 2 shown]
	ds_load_b64 v[74:75], v201
	s_wait_dscnt 0x0
	v_cmp_neq_f32_e32 vcc_lo, 0, v74
	v_cmp_neq_f32_e64 s1, 0, v75
	s_or_b32 s1, vcc_lo, s1
	s_delay_alu instid0(SALU_CYCLE_1)
	s_and_b32 exec_lo, exec_lo, s1
	s_cbranch_execz .LBB117_260
; %bb.255:
	v_cmp_ngt_f32_e64 s1, |v74|, |v75|
                                        ; implicit-def: $vgpr84_vgpr85
	s_and_saveexec_b32 s4, s1
	s_delay_alu instid0(SALU_CYCLE_1)
	s_xor_b32 s1, exec_lo, s4
	s_cbranch_execz .LBB117_257
; %bb.256:
	v_div_scale_f32 v84, null, v75, v75, v74
	v_div_scale_f32 v87, vcc_lo, v74, v75, v74
	s_delay_alu instid0(VALU_DEP_2) | instskip(SKIP_1) | instid1(TRANS32_DEP_1)
	v_rcp_f32_e32 v85, v84
	v_nop
	v_fma_f32 v86, -v84, v85, 1.0
	s_delay_alu instid0(VALU_DEP_1) | instskip(NEXT) | instid1(VALU_DEP_1)
	v_fmac_f32_e32 v85, v86, v85
	v_mul_f32_e32 v86, v87, v85
	s_delay_alu instid0(VALU_DEP_1) | instskip(NEXT) | instid1(VALU_DEP_1)
	v_fma_f32 v88, -v84, v86, v87
	v_fmac_f32_e32 v86, v88, v85
	s_delay_alu instid0(VALU_DEP_1) | instskip(NEXT) | instid1(VALU_DEP_1)
	v_fma_f32 v84, -v84, v86, v87
	v_div_fmas_f32 v84, v84, v85, v86
	s_delay_alu instid0(VALU_DEP_1) | instskip(NEXT) | instid1(VALU_DEP_1)
	v_div_fixup_f32 v84, v84, v75, v74
	v_fmac_f32_e32 v75, v74, v84
	s_delay_alu instid0(VALU_DEP_1) | instskip(SKIP_1) | instid1(VALU_DEP_2)
	v_div_scale_f32 v74, null, v75, v75, 1.0
	v_div_scale_f32 v87, vcc_lo, 1.0, v75, 1.0
	v_rcp_f32_e32 v85, v74
	v_nop
	s_delay_alu instid0(TRANS32_DEP_1) | instskip(NEXT) | instid1(VALU_DEP_1)
	v_fma_f32 v86, -v74, v85, 1.0
	v_fmac_f32_e32 v85, v86, v85
	s_delay_alu instid0(VALU_DEP_1) | instskip(NEXT) | instid1(VALU_DEP_1)
	v_mul_f32_e32 v86, v87, v85
	v_fma_f32 v88, -v74, v86, v87
	s_delay_alu instid0(VALU_DEP_1) | instskip(NEXT) | instid1(VALU_DEP_1)
	v_fmac_f32_e32 v86, v88, v85
	v_fma_f32 v74, -v74, v86, v87
	s_delay_alu instid0(VALU_DEP_1) | instskip(NEXT) | instid1(VALU_DEP_1)
	v_div_fmas_f32 v74, v74, v85, v86
	v_div_fixup_f32 v74, v74, v75, 1.0
	s_delay_alu instid0(VALU_DEP_1)
	v_mul_f32_e32 v84, v84, v74
	v_xor_b32_e32 v85, 0x80000000, v74
                                        ; implicit-def: $vgpr74_vgpr75
.LBB117_257:
	s_and_not1_saveexec_b32 s1, s1
	s_cbranch_execz .LBB117_259
; %bb.258:
	v_div_scale_f32 v84, null, v74, v74, v75
	v_div_scale_f32 v87, vcc_lo, v75, v74, v75
	s_delay_alu instid0(VALU_DEP_2) | instskip(SKIP_1) | instid1(TRANS32_DEP_1)
	v_rcp_f32_e32 v85, v84
	v_nop
	v_fma_f32 v86, -v84, v85, 1.0
	s_delay_alu instid0(VALU_DEP_1) | instskip(NEXT) | instid1(VALU_DEP_1)
	v_fmac_f32_e32 v85, v86, v85
	v_mul_f32_e32 v86, v87, v85
	s_delay_alu instid0(VALU_DEP_1) | instskip(NEXT) | instid1(VALU_DEP_1)
	v_fma_f32 v88, -v84, v86, v87
	v_fmac_f32_e32 v86, v88, v85
	s_delay_alu instid0(VALU_DEP_1) | instskip(NEXT) | instid1(VALU_DEP_1)
	v_fma_f32 v84, -v84, v86, v87
	v_div_fmas_f32 v84, v84, v85, v86
	s_delay_alu instid0(VALU_DEP_1) | instskip(NEXT) | instid1(VALU_DEP_1)
	v_div_fixup_f32 v85, v84, v74, v75
	v_fmac_f32_e32 v74, v75, v85
	s_delay_alu instid0(VALU_DEP_1) | instskip(NEXT) | instid1(VALU_DEP_1)
	v_div_scale_f32 v75, null, v74, v74, 1.0
	v_rcp_f32_e32 v84, v75
	v_nop
	s_delay_alu instid0(TRANS32_DEP_1) | instskip(NEXT) | instid1(VALU_DEP_1)
	v_fma_f32 v86, -v75, v84, 1.0
	v_fmac_f32_e32 v84, v86, v84
	v_div_scale_f32 v86, vcc_lo, 1.0, v74, 1.0
	s_delay_alu instid0(VALU_DEP_1) | instskip(NEXT) | instid1(VALU_DEP_1)
	v_mul_f32_e32 v87, v86, v84
	v_fma_f32 v88, -v75, v87, v86
	s_delay_alu instid0(VALU_DEP_1) | instskip(NEXT) | instid1(VALU_DEP_1)
	v_fmac_f32_e32 v87, v88, v84
	v_fma_f32 v75, -v75, v87, v86
	s_delay_alu instid0(VALU_DEP_1) | instskip(NEXT) | instid1(VALU_DEP_1)
	v_div_fmas_f32 v75, v75, v84, v87
	v_div_fixup_f32 v84, v75, v74, 1.0
	s_delay_alu instid0(VALU_DEP_1)
	v_mul_f32_e64 v85, v85, -v84
.LBB117_259:
	s_or_b32 exec_lo, exec_lo, s1
	ds_store_b64 v201, v[84:85]
.LBB117_260:
	s_or_b32 exec_lo, exec_lo, s2
	s_wait_dscnt 0x0
	s_barrier_signal -1
	s_barrier_wait -1
	ds_load_b64 v[74:75], v201
	s_mov_b32 s1, exec_lo
	v_cmpx_lt_u32_e32 28, v200
	s_cbranch_execz .LBB117_262
; %bb.261:
	ds_load_2addr_b64 v[88:91], v202 offset0:29 offset1:30
	s_wait_dscnt 0x1
	v_pk_mul_f32 v[86:87], v[74:75], v[130:131] op_sel:[1,1] op_sel_hi:[0,1]
	s_delay_alu instid0(VALU_DEP_1) | instskip(SKIP_1) | instid1(VALU_DEP_1)
	v_pk_fma_f32 v[84:85], v[74:75], v[130:131], v[86:87] op_sel_hi:[1,0,1] neg_lo:[0,0,1] neg_hi:[0,0,1]
	v_pk_fma_f32 v[86:87], v[74:75], v[130:131], v[86:87] op_sel_hi:[1,0,1]
	v_dual_mov_b32 v130, v84 :: v_dual_mov_b32 v131, v87
	s_wait_dscnt 0x0
	s_delay_alu instid0(VALU_DEP_2) | instskip(NEXT) | instid1(VALU_DEP_1)
	v_pk_mul_f32 v[100:101], v[88:89], v[86:87] op_sel:[0,1]
	v_pk_fma_f32 v[102:103], v[88:89], v[84:85], v[100:101] op_sel:[0,0,1] op_sel_hi:[1,1,0] neg_lo:[0,0,1] neg_hi:[0,0,1]
	v_pk_fma_f32 v[88:89], v[88:89], v[84:85], v[100:101] op_sel:[0,0,1] op_sel_hi:[1,0,0]
	s_delay_alu instid0(VALU_DEP_1) | instskip(SKIP_1) | instid1(VALU_DEP_1)
	v_mov_b32_e32 v103, v89
	v_pk_mul_f32 v[88:89], v[90:91], v[86:87] op_sel:[0,1]
	v_pk_fma_f32 v[100:101], v[90:91], v[84:85], v[88:89] op_sel:[0,0,1] op_sel_hi:[1,1,0] neg_lo:[0,0,1] neg_hi:[0,0,1]
	v_pk_fma_f32 v[88:89], v[90:91], v[84:85], v[88:89] op_sel:[0,0,1] op_sel_hi:[1,0,0]
	s_delay_alu instid0(VALU_DEP_1)
	v_mov_b32_e32 v101, v89
	ds_load_2addr_b64 v[88:91], v202 offset0:31 offset1:32
	v_pk_add_f32 v[126:127], v[126:127], v[102:103] neg_lo:[0,1] neg_hi:[0,1]
	v_pk_add_f32 v[128:129], v[128:129], v[100:101] neg_lo:[0,1] neg_hi:[0,1]
	s_wait_dscnt 0x0
	v_pk_mul_f32 v[100:101], v[88:89], v[86:87] op_sel:[0,1]
	s_delay_alu instid0(VALU_DEP_1) | instskip(SKIP_2) | instid1(VALU_DEP_2)
	v_pk_fma_f32 v[102:103], v[88:89], v[84:85], v[100:101] op_sel:[0,0,1] op_sel_hi:[1,1,0] neg_lo:[0,0,1] neg_hi:[0,0,1]
	v_pk_fma_f32 v[88:89], v[88:89], v[84:85], v[100:101] op_sel:[0,0,1] op_sel_hi:[1,0,0]
	v_dual_mul_f32 v100, v91, v87 :: v_dual_mov_b32 v88, v91
	v_dual_mov_b32 v103, v89 :: v_dual_mov_b32 v89, v90
	s_delay_alu instid0(VALU_DEP_2) | instskip(SKIP_1) | instid1(VALU_DEP_3)
	v_pk_fma_f32 v[100:101], v[90:91], v[130:131], v[100:101] op_sel_hi:[1,1,0] neg_lo:[0,0,1] neg_hi:[0,0,1]
	v_mul_f32_e32 v90, v91, v84
	v_pk_add_f32 v[124:125], v[124:125], v[102:103] neg_lo:[0,1] neg_hi:[0,1]
	s_delay_alu instid0(VALU_DEP_2) | instskip(NEXT) | instid1(VALU_DEP_1)
	v_pk_fma_f32 v[88:89], v[88:89], v[130:131], v[90:91] op_sel_hi:[1,1,0]
	v_mov_b32_e32 v101, v89
	ds_load_2addr_b64 v[88:91], v202 offset0:33 offset1:34
	v_pk_add_f32 v[146:147], v[146:147], v[100:101] neg_lo:[0,1] neg_hi:[0,1]
	s_wait_dscnt 0x0
	v_pk_mul_f32 v[100:101], v[88:89], v[86:87] op_sel:[0,1]
	s_delay_alu instid0(VALU_DEP_1) | instskip(SKIP_1) | instid1(VALU_DEP_1)
	v_pk_fma_f32 v[102:103], v[88:89], v[84:85], v[100:101] op_sel:[0,0,1] op_sel_hi:[1,1,0] neg_lo:[0,0,1] neg_hi:[0,0,1]
	v_pk_fma_f32 v[88:89], v[88:89], v[84:85], v[100:101] op_sel:[0,0,1] op_sel_hi:[1,0,0]
	v_mov_b32_e32 v103, v89
	v_pk_mul_f32 v[88:89], v[90:91], v[86:87] op_sel:[0,1]
	s_delay_alu instid0(VALU_DEP_1) | instskip(SKIP_1) | instid1(VALU_DEP_1)
	v_pk_fma_f32 v[100:101], v[90:91], v[84:85], v[88:89] op_sel:[0,0,1] op_sel_hi:[1,1,0] neg_lo:[0,0,1] neg_hi:[0,0,1]
	v_pk_fma_f32 v[88:89], v[90:91], v[84:85], v[88:89] op_sel:[0,0,1] op_sel_hi:[1,0,0]
	v_mov_b32_e32 v101, v89
	ds_load_2addr_b64 v[88:91], v202 offset0:35 offset1:36
	v_pk_add_f32 v[142:143], v[142:143], v[102:103] neg_lo:[0,1] neg_hi:[0,1]
	v_pk_add_f32 v[144:145], v[144:145], v[100:101] neg_lo:[0,1] neg_hi:[0,1]
	s_wait_dscnt 0x0
	v_pk_mul_f32 v[100:101], v[88:89], v[86:87] op_sel:[0,1]
	s_delay_alu instid0(VALU_DEP_1) | instskip(SKIP_1) | instid1(VALU_DEP_1)
	v_pk_fma_f32 v[102:103], v[88:89], v[84:85], v[100:101] op_sel:[0,0,1] op_sel_hi:[1,1,0] neg_lo:[0,0,1] neg_hi:[0,0,1]
	v_pk_fma_f32 v[88:89], v[88:89], v[84:85], v[100:101] op_sel:[0,0,1] op_sel_hi:[1,0,0]
	v_mov_b32_e32 v103, v89
	v_pk_mul_f32 v[88:89], v[90:91], v[86:87] op_sel:[0,1]
	s_delay_alu instid0(VALU_DEP_1) | instskip(SKIP_1) | instid1(VALU_DEP_1)
	v_pk_fma_f32 v[100:101], v[90:91], v[84:85], v[88:89] op_sel:[0,0,1] op_sel_hi:[1,1,0] neg_lo:[0,0,1] neg_hi:[0,0,1]
	v_pk_fma_f32 v[88:89], v[90:91], v[84:85], v[88:89] op_sel:[0,0,1] op_sel_hi:[1,0,0]
	v_mov_b32_e32 v101, v89
	ds_load_2addr_b64 v[88:91], v202 offset0:37 offset1:38
	v_pk_add_f32 v[140:141], v[140:141], v[102:103] neg_lo:[0,1] neg_hi:[0,1]
	v_pk_add_f32 v[162:163], v[162:163], v[100:101] neg_lo:[0,1] neg_hi:[0,1]
	s_wait_dscnt 0x0
	v_dual_mul_f32 v100, v89, v87 :: v_dual_mul_f32 v102, v89, v84
	s_delay_alu instid0(VALU_DEP_1) | instskip(NEXT) | instid1(VALU_DEP_2)
	v_pk_fma_f32 v[100:101], v[88:89], v[130:131], v[100:101] op_sel_hi:[1,1,0] neg_lo:[0,0,1] neg_hi:[0,0,1]
	v_pk_fma_f32 v[88:89], v[88:89], v[130:131], v[102:103] op_sel:[1,0,0] op_sel_hi:[0,1,0]
	s_delay_alu instid0(VALU_DEP_1) | instskip(SKIP_1) | instid1(VALU_DEP_2)
	v_mov_b32_e32 v101, v89
	v_pk_mul_f32 v[88:89], v[90:91], v[86:87] op_sel:[0,1]
	v_pk_add_f32 v[158:159], v[158:159], v[100:101] neg_lo:[0,1] neg_hi:[0,1]
	s_delay_alu instid0(VALU_DEP_2) | instskip(SKIP_1) | instid1(VALU_DEP_1)
	v_pk_fma_f32 v[100:101], v[90:91], v[84:85], v[88:89] op_sel:[0,0,1] op_sel_hi:[1,1,0] neg_lo:[0,0,1] neg_hi:[0,0,1]
	v_pk_fma_f32 v[88:89], v[90:91], v[84:85], v[88:89] op_sel:[0,0,1] op_sel_hi:[1,0,0]
	v_mov_b32_e32 v101, v89
	ds_load_2addr_b64 v[88:91], v202 offset0:39 offset1:40
	v_pk_add_f32 v[160:161], v[160:161], v[100:101] neg_lo:[0,1] neg_hi:[0,1]
	s_wait_dscnt 0x0
	v_pk_mul_f32 v[100:101], v[88:89], v[86:87] op_sel:[0,1]
	s_delay_alu instid0(VALU_DEP_1) | instskip(SKIP_1) | instid1(VALU_DEP_1)
	v_pk_fma_f32 v[102:103], v[88:89], v[84:85], v[100:101] op_sel:[0,0,1] op_sel_hi:[1,1,0] neg_lo:[0,0,1] neg_hi:[0,0,1]
	v_pk_fma_f32 v[88:89], v[88:89], v[84:85], v[100:101] op_sel:[0,0,1] op_sel_hi:[1,0,0]
	v_mov_b32_e32 v103, v89
	v_pk_mul_f32 v[88:89], v[90:91], v[86:87] op_sel:[0,1]
	s_delay_alu instid0(VALU_DEP_2) | instskip(NEXT) | instid1(VALU_DEP_2)
	v_pk_add_f32 v[156:157], v[156:157], v[102:103] neg_lo:[0,1] neg_hi:[0,1]
	v_pk_fma_f32 v[100:101], v[90:91], v[84:85], v[88:89] op_sel:[0,0,1] op_sel_hi:[1,1,0] neg_lo:[0,0,1] neg_hi:[0,0,1]
	v_pk_fma_f32 v[88:89], v[90:91], v[84:85], v[88:89] op_sel:[0,0,1] op_sel_hi:[1,0,0]
	s_delay_alu instid0(VALU_DEP_1) | instskip(SKIP_4) | instid1(VALU_DEP_1)
	v_mov_b32_e32 v101, v89
	ds_load_2addr_b64 v[88:91], v202 offset0:41 offset1:42
	v_pk_add_f32 v[178:179], v[178:179], v[100:101] neg_lo:[0,1] neg_hi:[0,1]
	s_wait_dscnt 0x0
	v_pk_mul_f32 v[100:101], v[88:89], v[86:87] op_sel:[0,1]
	v_pk_fma_f32 v[102:103], v[88:89], v[84:85], v[100:101] op_sel:[0,0,1] op_sel_hi:[1,1,0] neg_lo:[0,0,1] neg_hi:[0,0,1]
	v_pk_fma_f32 v[88:89], v[88:89], v[84:85], v[100:101] op_sel:[0,0,1] op_sel_hi:[1,0,0]
	v_dual_mul_f32 v100, v91, v87 :: v_dual_mov_b32 v88, v91
	s_delay_alu instid0(VALU_DEP_2) | instskip(NEXT) | instid1(VALU_DEP_2)
	v_dual_mov_b32 v103, v89 :: v_dual_mov_b32 v89, v90
	v_pk_fma_f32 v[100:101], v[90:91], v[130:131], v[100:101] op_sel_hi:[1,1,0] neg_lo:[0,0,1] neg_hi:[0,0,1]
	v_mul_f32_e32 v90, v91, v84
	s_delay_alu instid0(VALU_DEP_3) | instskip(NEXT) | instid1(VALU_DEP_2)
	v_pk_add_f32 v[174:175], v[174:175], v[102:103] neg_lo:[0,1] neg_hi:[0,1]
	v_pk_fma_f32 v[88:89], v[88:89], v[130:131], v[90:91] op_sel_hi:[1,1,0]
	s_delay_alu instid0(VALU_DEP_1) | instskip(SKIP_4) | instid1(VALU_DEP_1)
	v_mov_b32_e32 v101, v89
	ds_load_2addr_b64 v[88:91], v202 offset0:43 offset1:44
	v_pk_add_f32 v[176:177], v[176:177], v[100:101] neg_lo:[0,1] neg_hi:[0,1]
	s_wait_dscnt 0x0
	v_pk_mul_f32 v[100:101], v[88:89], v[86:87] op_sel:[0,1]
	v_pk_fma_f32 v[102:103], v[88:89], v[84:85], v[100:101] op_sel:[0,0,1] op_sel_hi:[1,1,0] neg_lo:[0,0,1] neg_hi:[0,0,1]
	v_pk_fma_f32 v[88:89], v[88:89], v[84:85], v[100:101] op_sel:[0,0,1] op_sel_hi:[1,0,0]
	s_delay_alu instid0(VALU_DEP_1) | instskip(SKIP_1) | instid1(VALU_DEP_1)
	v_mov_b32_e32 v103, v89
	v_pk_mul_f32 v[88:89], v[90:91], v[86:87] op_sel:[0,1]
	v_pk_fma_f32 v[100:101], v[90:91], v[84:85], v[88:89] op_sel:[0,0,1] op_sel_hi:[1,1,0] neg_lo:[0,0,1] neg_hi:[0,0,1]
	v_pk_fma_f32 v[88:89], v[90:91], v[84:85], v[88:89] op_sel:[0,0,1] op_sel_hi:[1,0,0]
	s_delay_alu instid0(VALU_DEP_1)
	v_mov_b32_e32 v101, v89
	ds_load_2addr_b64 v[88:91], v202 offset0:45 offset1:46
	v_pk_add_f32 v[172:173], v[172:173], v[102:103] neg_lo:[0,1] neg_hi:[0,1]
	v_pk_add_f32 v[194:195], v[194:195], v[100:101] neg_lo:[0,1] neg_hi:[0,1]
	s_wait_dscnt 0x0
	v_pk_mul_f32 v[100:101], v[88:89], v[86:87] op_sel:[0,1]
	s_delay_alu instid0(VALU_DEP_1) | instskip(SKIP_1) | instid1(VALU_DEP_1)
	v_pk_fma_f32 v[102:103], v[88:89], v[84:85], v[100:101] op_sel:[0,0,1] op_sel_hi:[1,1,0] neg_lo:[0,0,1] neg_hi:[0,0,1]
	v_pk_fma_f32 v[88:89], v[88:89], v[84:85], v[100:101] op_sel:[0,0,1] op_sel_hi:[1,0,0]
	v_mov_b32_e32 v103, v89
	v_pk_mul_f32 v[88:89], v[90:91], v[86:87] op_sel:[0,1]
	s_delay_alu instid0(VALU_DEP_1) | instskip(SKIP_1) | instid1(VALU_DEP_1)
	v_pk_fma_f32 v[100:101], v[90:91], v[84:85], v[88:89] op_sel:[0,0,1] op_sel_hi:[1,1,0] neg_lo:[0,0,1] neg_hi:[0,0,1]
	v_pk_fma_f32 v[88:89], v[90:91], v[84:85], v[88:89] op_sel:[0,0,1] op_sel_hi:[1,0,0]
	v_mov_b32_e32 v101, v89
	ds_load_2addr_b64 v[88:91], v202 offset0:47 offset1:48
	v_pk_add_f32 v[190:191], v[190:191], v[102:103] neg_lo:[0,1] neg_hi:[0,1]
	v_pk_add_f32 v[192:193], v[192:193], v[100:101] neg_lo:[0,1] neg_hi:[0,1]
	s_wait_dscnt 0x0
	v_dual_mul_f32 v100, v89, v87 :: v_dual_mul_f32 v102, v89, v84
	s_delay_alu instid0(VALU_DEP_1) | instskip(NEXT) | instid1(VALU_DEP_2)
	v_pk_fma_f32 v[100:101], v[88:89], v[130:131], v[100:101] op_sel_hi:[1,1,0] neg_lo:[0,0,1] neg_hi:[0,0,1]
	v_pk_fma_f32 v[88:89], v[88:89], v[130:131], v[102:103] op_sel:[1,0,0] op_sel_hi:[0,1,0]
	s_delay_alu instid0(VALU_DEP_1) | instskip(SKIP_1) | instid1(VALU_DEP_2)
	v_mov_b32_e32 v101, v89
	v_pk_mul_f32 v[88:89], v[90:91], v[86:87] op_sel:[0,1]
	v_pk_add_f32 v[188:189], v[188:189], v[100:101] neg_lo:[0,1] neg_hi:[0,1]
	s_delay_alu instid0(VALU_DEP_2) | instskip(SKIP_1) | instid1(VALU_DEP_1)
	v_pk_fma_f32 v[100:101], v[90:91], v[84:85], v[88:89] op_sel:[0,0,1] op_sel_hi:[1,1,0] neg_lo:[0,0,1] neg_hi:[0,0,1]
	v_pk_fma_f32 v[88:89], v[90:91], v[84:85], v[88:89] op_sel:[0,0,1] op_sel_hi:[1,0,0]
	v_mov_b32_e32 v101, v89
	ds_load_2addr_b64 v[88:91], v202 offset0:49 offset1:50
	v_pk_add_f32 v[212:213], v[212:213], v[100:101] neg_lo:[0,1] neg_hi:[0,1]
	s_wait_dscnt 0x0
	v_pk_mul_f32 v[100:101], v[88:89], v[86:87] op_sel:[0,1]
	s_delay_alu instid0(VALU_DEP_1) | instskip(SKIP_1) | instid1(VALU_DEP_1)
	v_pk_fma_f32 v[102:103], v[88:89], v[84:85], v[100:101] op_sel:[0,0,1] op_sel_hi:[1,1,0] neg_lo:[0,0,1] neg_hi:[0,0,1]
	v_pk_fma_f32 v[88:89], v[88:89], v[84:85], v[100:101] op_sel:[0,0,1] op_sel_hi:[1,0,0]
	v_mov_b32_e32 v103, v89
	v_pk_mul_f32 v[88:89], v[90:91], v[86:87] op_sel:[0,1]
	s_delay_alu instid0(VALU_DEP_2) | instskip(NEXT) | instid1(VALU_DEP_2)
	v_pk_add_f32 v[208:209], v[208:209], v[102:103] neg_lo:[0,1] neg_hi:[0,1]
	v_pk_fma_f32 v[100:101], v[90:91], v[84:85], v[88:89] op_sel:[0,0,1] op_sel_hi:[1,1,0] neg_lo:[0,0,1] neg_hi:[0,0,1]
	v_pk_fma_f32 v[88:89], v[90:91], v[84:85], v[88:89] op_sel:[0,0,1] op_sel_hi:[1,0,0]
	s_delay_alu instid0(VALU_DEP_1) | instskip(SKIP_4) | instid1(VALU_DEP_1)
	v_mov_b32_e32 v101, v89
	ds_load_2addr_b64 v[88:91], v202 offset0:51 offset1:52
	v_pk_add_f32 v[210:211], v[210:211], v[100:101] neg_lo:[0,1] neg_hi:[0,1]
	s_wait_dscnt 0x0
	v_pk_mul_f32 v[100:101], v[88:89], v[86:87] op_sel:[0,1]
	v_pk_fma_f32 v[102:103], v[88:89], v[84:85], v[100:101] op_sel:[0,0,1] op_sel_hi:[1,1,0] neg_lo:[0,0,1] neg_hi:[0,0,1]
	v_pk_fma_f32 v[88:89], v[88:89], v[84:85], v[100:101] op_sel:[0,0,1] op_sel_hi:[1,0,0]
	v_dual_mul_f32 v100, v91, v87 :: v_dual_mov_b32 v88, v91
	s_delay_alu instid0(VALU_DEP_2) | instskip(NEXT) | instid1(VALU_DEP_2)
	v_dual_mov_b32 v103, v89 :: v_dual_mov_b32 v89, v90
	v_pk_fma_f32 v[100:101], v[90:91], v[130:131], v[100:101] op_sel_hi:[1,1,0] neg_lo:[0,0,1] neg_hi:[0,0,1]
	v_mul_f32_e32 v90, v91, v84
	s_delay_alu instid0(VALU_DEP_3) | instskip(NEXT) | instid1(VALU_DEP_2)
	v_pk_add_f32 v[206:207], v[206:207], v[102:103] neg_lo:[0,1] neg_hi:[0,1]
	v_pk_fma_f32 v[88:89], v[88:89], v[130:131], v[90:91] op_sel_hi:[1,1,0]
	s_delay_alu instid0(VALU_DEP_1) | instskip(SKIP_4) | instid1(VALU_DEP_1)
	v_mov_b32_e32 v101, v89
	ds_load_2addr_b64 v[88:91], v202 offset0:53 offset1:54
	v_pk_add_f32 v[232:233], v[232:233], v[100:101] neg_lo:[0,1] neg_hi:[0,1]
	s_wait_dscnt 0x0
	v_pk_mul_f32 v[100:101], v[88:89], v[86:87] op_sel:[0,1]
	v_pk_fma_f32 v[102:103], v[88:89], v[84:85], v[100:101] op_sel:[0,0,1] op_sel_hi:[1,1,0] neg_lo:[0,0,1] neg_hi:[0,0,1]
	v_pk_fma_f32 v[88:89], v[88:89], v[84:85], v[100:101] op_sel:[0,0,1] op_sel_hi:[1,0,0]
	s_delay_alu instid0(VALU_DEP_1) | instskip(SKIP_1) | instid1(VALU_DEP_1)
	v_mov_b32_e32 v103, v89
	v_pk_mul_f32 v[88:89], v[90:91], v[86:87] op_sel:[0,1]
	v_pk_fma_f32 v[100:101], v[90:91], v[84:85], v[88:89] op_sel:[0,0,1] op_sel_hi:[1,1,0] neg_lo:[0,0,1] neg_hi:[0,0,1]
	v_pk_fma_f32 v[88:89], v[90:91], v[84:85], v[88:89] op_sel:[0,0,1] op_sel_hi:[1,0,0]
	s_delay_alu instid0(VALU_DEP_1)
	v_mov_b32_e32 v101, v89
	ds_load_2addr_b64 v[88:91], v202 offset0:55 offset1:56
	v_pk_add_f32 v[226:227], v[226:227], v[102:103] neg_lo:[0,1] neg_hi:[0,1]
	v_pk_add_f32 v[230:231], v[230:231], v[100:101] neg_lo:[0,1] neg_hi:[0,1]
	s_wait_dscnt 0x0
	v_pk_mul_f32 v[100:101], v[88:89], v[86:87] op_sel:[0,1]
	s_delay_alu instid0(VALU_DEP_1) | instskip(SKIP_1) | instid1(VALU_DEP_1)
	v_pk_fma_f32 v[102:103], v[88:89], v[84:85], v[100:101] op_sel:[0,0,1] op_sel_hi:[1,1,0] neg_lo:[0,0,1] neg_hi:[0,0,1]
	v_pk_fma_f32 v[88:89], v[88:89], v[84:85], v[100:101] op_sel:[0,0,1] op_sel_hi:[1,0,0]
	v_mov_b32_e32 v103, v89
	v_pk_mul_f32 v[88:89], v[90:91], v[86:87] op_sel:[0,1]
	s_delay_alu instid0(VALU_DEP_1) | instskip(SKIP_1) | instid1(VALU_DEP_1)
	v_pk_fma_f32 v[100:101], v[90:91], v[84:85], v[88:89] op_sel:[0,0,1] op_sel_hi:[1,1,0] neg_lo:[0,0,1] neg_hi:[0,0,1]
	v_pk_fma_f32 v[88:89], v[90:91], v[84:85], v[88:89] op_sel:[0,0,1] op_sel_hi:[1,0,0]
	v_mov_b32_e32 v101, v89
	ds_load_2addr_b64 v[88:91], v202 offset0:57 offset1:58
	v_pk_add_f32 v[224:225], v[224:225], v[102:103] neg_lo:[0,1] neg_hi:[0,1]
	v_pk_add_f32 v[228:229], v[228:229], v[100:101] neg_lo:[0,1] neg_hi:[0,1]
	s_wait_dscnt 0x0
	v_mul_f32_e32 v86, v89, v87
	s_delay_alu instid0(VALU_DEP_1) | instskip(SKIP_1) | instid1(VALU_DEP_1)
	v_pk_fma_f32 v[100:101], v[88:89], v[130:131], v[86:87] op_sel_hi:[1,1,0] neg_lo:[0,0,1] neg_hi:[0,0,1]
	v_dual_mul_f32 v86, v89, v84 :: v_dual_mul_f32 v84, v91, v84
	v_pk_fma_f32 v[88:89], v[88:89], v[130:131], v[86:87] op_sel:[1,0,0] op_sel_hi:[0,1,0]
	v_dual_mov_b32 v88, v91 :: v_dual_mul_f32 v86, v91, v87
	s_delay_alu instid0(VALU_DEP_2) | instskip(NEXT) | instid1(VALU_DEP_2)
	v_dual_mov_b32 v101, v89 :: v_dual_mov_b32 v89, v90
	v_pk_fma_f32 v[86:87], v[90:91], v[130:131], v[86:87] op_sel_hi:[1,1,0] neg_lo:[0,0,1] neg_hi:[0,0,1]
	s_delay_alu instid0(VALU_DEP_2) | instskip(NEXT) | instid1(VALU_DEP_3)
	v_pk_add_f32 v[234:235], v[234:235], v[100:101] neg_lo:[0,1] neg_hi:[0,1]
	v_pk_fma_f32 v[84:85], v[88:89], v[130:131], v[84:85] op_sel_hi:[1,1,0]
	s_delay_alu instid0(VALU_DEP_1) | instskip(NEXT) | instid1(VALU_DEP_1)
	v_mov_b32_e32 v87, v85
	v_pk_add_f32 v[236:237], v[236:237], v[86:87] neg_lo:[0,1] neg_hi:[0,1]
.LBB117_262:
	s_or_b32 exec_lo, exec_lo, s1
	s_delay_alu instid0(SALU_CYCLE_1)
	s_mov_b32 s2, exec_lo
	s_wait_dscnt 0x0
	s_barrier_signal -1
	s_barrier_wait -1
	v_cmpx_eq_u32_e32 29, v200
	s_cbranch_execz .LBB117_269
; %bb.263:
	v_dual_mov_b32 v84, v128 :: v_dual_mov_b32 v85, v129
	v_dual_mov_b32 v86, v124 :: v_dual_mov_b32 v87, v125
	ds_store_b64 v201, v[126:127]
	ds_store_2addr_b64 v202, v[84:85], v[86:87] offset0:30 offset1:31
	v_dual_mov_b32 v84, v146 :: v_dual_mov_b32 v85, v147
	v_dual_mov_b32 v86, v142 :: v_dual_mov_b32 v87, v143
	ds_store_2addr_b64 v202, v[84:85], v[86:87] offset0:32 offset1:33
	v_dual_mov_b32 v84, v144 :: v_dual_mov_b32 v85, v145
	v_dual_mov_b32 v86, v140 :: v_dual_mov_b32 v87, v141
	;; [unrolled: 3-line block ×13, first 2 shown]
	ds_store_2addr_b64 v202, v[84:85], v[86:87] offset0:56 offset1:57
	ds_store_b64 v202, v[236:237] offset:464
	ds_load_b64 v[84:85], v201
	s_wait_dscnt 0x0
	v_cmp_neq_f32_e32 vcc_lo, 0, v84
	v_cmp_neq_f32_e64 s1, 0, v85
	s_or_b32 s1, vcc_lo, s1
	s_delay_alu instid0(SALU_CYCLE_1)
	s_and_b32 exec_lo, exec_lo, s1
	s_cbranch_execz .LBB117_269
; %bb.264:
	v_cmp_ngt_f32_e64 s1, |v84|, |v85|
                                        ; implicit-def: $vgpr86_vgpr87
	s_and_saveexec_b32 s4, s1
	s_delay_alu instid0(SALU_CYCLE_1)
	s_xor_b32 s1, exec_lo, s4
	s_cbranch_execz .LBB117_266
; %bb.265:
	v_div_scale_f32 v86, null, v85, v85, v84
	v_div_scale_f32 v89, vcc_lo, v84, v85, v84
	s_delay_alu instid0(VALU_DEP_2) | instskip(SKIP_1) | instid1(TRANS32_DEP_1)
	v_rcp_f32_e32 v87, v86
	v_nop
	v_fma_f32 v88, -v86, v87, 1.0
	s_delay_alu instid0(VALU_DEP_1) | instskip(NEXT) | instid1(VALU_DEP_1)
	v_fmac_f32_e32 v87, v88, v87
	v_mul_f32_e32 v88, v89, v87
	s_delay_alu instid0(VALU_DEP_1) | instskip(NEXT) | instid1(VALU_DEP_1)
	v_fma_f32 v90, -v86, v88, v89
	v_fmac_f32_e32 v88, v90, v87
	s_delay_alu instid0(VALU_DEP_1) | instskip(NEXT) | instid1(VALU_DEP_1)
	v_fma_f32 v86, -v86, v88, v89
	v_div_fmas_f32 v86, v86, v87, v88
	s_delay_alu instid0(VALU_DEP_1) | instskip(NEXT) | instid1(VALU_DEP_1)
	v_div_fixup_f32 v86, v86, v85, v84
	v_fmac_f32_e32 v85, v84, v86
	s_delay_alu instid0(VALU_DEP_1) | instskip(SKIP_1) | instid1(VALU_DEP_2)
	v_div_scale_f32 v84, null, v85, v85, 1.0
	v_div_scale_f32 v89, vcc_lo, 1.0, v85, 1.0
	v_rcp_f32_e32 v87, v84
	v_nop
	s_delay_alu instid0(TRANS32_DEP_1) | instskip(NEXT) | instid1(VALU_DEP_1)
	v_fma_f32 v88, -v84, v87, 1.0
	v_fmac_f32_e32 v87, v88, v87
	s_delay_alu instid0(VALU_DEP_1) | instskip(NEXT) | instid1(VALU_DEP_1)
	v_mul_f32_e32 v88, v89, v87
	v_fma_f32 v90, -v84, v88, v89
	s_delay_alu instid0(VALU_DEP_1) | instskip(NEXT) | instid1(VALU_DEP_1)
	v_fmac_f32_e32 v88, v90, v87
	v_fma_f32 v84, -v84, v88, v89
	s_delay_alu instid0(VALU_DEP_1) | instskip(NEXT) | instid1(VALU_DEP_1)
	v_div_fmas_f32 v84, v84, v87, v88
	v_div_fixup_f32 v84, v84, v85, 1.0
	s_delay_alu instid0(VALU_DEP_1)
	v_mul_f32_e32 v86, v86, v84
	v_xor_b32_e32 v87, 0x80000000, v84
                                        ; implicit-def: $vgpr84_vgpr85
.LBB117_266:
	s_and_not1_saveexec_b32 s1, s1
	s_cbranch_execz .LBB117_268
; %bb.267:
	v_div_scale_f32 v86, null, v84, v84, v85
	v_div_scale_f32 v89, vcc_lo, v85, v84, v85
	s_delay_alu instid0(VALU_DEP_2) | instskip(SKIP_1) | instid1(TRANS32_DEP_1)
	v_rcp_f32_e32 v87, v86
	v_nop
	v_fma_f32 v88, -v86, v87, 1.0
	s_delay_alu instid0(VALU_DEP_1) | instskip(NEXT) | instid1(VALU_DEP_1)
	v_fmac_f32_e32 v87, v88, v87
	v_mul_f32_e32 v88, v89, v87
	s_delay_alu instid0(VALU_DEP_1) | instskip(NEXT) | instid1(VALU_DEP_1)
	v_fma_f32 v90, -v86, v88, v89
	v_fmac_f32_e32 v88, v90, v87
	s_delay_alu instid0(VALU_DEP_1) | instskip(NEXT) | instid1(VALU_DEP_1)
	v_fma_f32 v86, -v86, v88, v89
	v_div_fmas_f32 v86, v86, v87, v88
	s_delay_alu instid0(VALU_DEP_1) | instskip(NEXT) | instid1(VALU_DEP_1)
	v_div_fixup_f32 v87, v86, v84, v85
	v_fmac_f32_e32 v84, v85, v87
	s_delay_alu instid0(VALU_DEP_1) | instskip(NEXT) | instid1(VALU_DEP_1)
	v_div_scale_f32 v85, null, v84, v84, 1.0
	v_rcp_f32_e32 v86, v85
	v_nop
	s_delay_alu instid0(TRANS32_DEP_1) | instskip(NEXT) | instid1(VALU_DEP_1)
	v_fma_f32 v88, -v85, v86, 1.0
	v_fmac_f32_e32 v86, v88, v86
	v_div_scale_f32 v88, vcc_lo, 1.0, v84, 1.0
	s_delay_alu instid0(VALU_DEP_1) | instskip(NEXT) | instid1(VALU_DEP_1)
	v_mul_f32_e32 v89, v88, v86
	v_fma_f32 v90, -v85, v89, v88
	s_delay_alu instid0(VALU_DEP_1) | instskip(NEXT) | instid1(VALU_DEP_1)
	v_fmac_f32_e32 v89, v90, v86
	v_fma_f32 v85, -v85, v89, v88
	s_delay_alu instid0(VALU_DEP_1) | instskip(NEXT) | instid1(VALU_DEP_1)
	v_div_fmas_f32 v85, v85, v86, v89
	v_div_fixup_f32 v86, v85, v84, 1.0
	s_delay_alu instid0(VALU_DEP_1)
	v_mul_f32_e64 v87, v87, -v86
.LBB117_268:
	s_or_b32 exec_lo, exec_lo, s1
	ds_store_b64 v201, v[86:87]
.LBB117_269:
	s_or_b32 exec_lo, exec_lo, s2
	s_wait_dscnt 0x0
	s_barrier_signal -1
	s_barrier_wait -1
	ds_load_b64 v[84:85], v201
	s_mov_b32 s1, exec_lo
	v_cmpx_lt_u32_e32 29, v200
	s_cbranch_execz .LBB117_271
; %bb.270:
	ds_load_2addr_b64 v[100:103], v202 offset0:30 offset1:31
	s_wait_dscnt 0x1
	v_pk_mul_f32 v[88:89], v[84:85], v[126:127] op_sel:[1,1] op_sel_hi:[0,1]
	s_delay_alu instid0(VALU_DEP_1) | instskip(SKIP_1) | instid1(VALU_DEP_1)
	v_pk_fma_f32 v[86:87], v[84:85], v[126:127], v[88:89] op_sel_hi:[1,0,1] neg_lo:[0,0,1] neg_hi:[0,0,1]
	v_pk_fma_f32 v[88:89], v[84:85], v[126:127], v[88:89] op_sel_hi:[1,0,1]
	v_dual_mov_b32 v126, v86 :: v_dual_mov_b32 v127, v89
	s_wait_dscnt 0x0
	s_delay_alu instid0(VALU_DEP_2) | instskip(NEXT) | instid1(VALU_DEP_1)
	v_pk_mul_f32 v[90:91], v[100:101], v[88:89] op_sel:[0,1]
	v_pk_fma_f32 v[104:105], v[100:101], v[86:87], v[90:91] op_sel:[0,0,1] op_sel_hi:[1,1,0] neg_lo:[0,0,1] neg_hi:[0,0,1]
	v_pk_fma_f32 v[90:91], v[100:101], v[86:87], v[90:91] op_sel:[0,0,1] op_sel_hi:[1,0,0]
	s_delay_alu instid0(VALU_DEP_1) | instskip(SKIP_1) | instid1(VALU_DEP_1)
	v_mov_b32_e32 v105, v91
	v_pk_mul_f32 v[90:91], v[102:103], v[88:89] op_sel:[0,1]
	v_pk_fma_f32 v[100:101], v[102:103], v[86:87], v[90:91] op_sel:[0,0,1] op_sel_hi:[1,1,0] neg_lo:[0,0,1] neg_hi:[0,0,1]
	v_pk_fma_f32 v[90:91], v[102:103], v[86:87], v[90:91] op_sel:[0,0,1] op_sel_hi:[1,0,0]
	s_delay_alu instid0(VALU_DEP_1) | instskip(SKIP_1) | instid1(VALU_DEP_2)
	v_mov_b32_e32 v101, v91
	v_pk_add_f32 v[128:129], v[128:129], v[104:105] neg_lo:[0,1] neg_hi:[0,1]
	v_pk_add_f32 v[124:125], v[124:125], v[100:101] neg_lo:[0,1] neg_hi:[0,1]
	ds_load_2addr_b64 v[100:103], v202 offset0:32 offset1:33
	s_wait_dscnt 0x0
	v_pk_mul_f32 v[90:91], v[100:101], v[88:89] op_sel:[0,1]
	s_delay_alu instid0(VALU_DEP_1) | instskip(SKIP_2) | instid1(VALU_DEP_2)
	v_pk_fma_f32 v[104:105], v[100:101], v[86:87], v[90:91] op_sel:[0,0,1] op_sel_hi:[1,1,0] neg_lo:[0,0,1] neg_hi:[0,0,1]
	v_pk_fma_f32 v[90:91], v[100:101], v[86:87], v[90:91] op_sel:[0,0,1] op_sel_hi:[1,0,0]
	v_dual_mul_f32 v100, v103, v89 :: v_dual_mov_b32 v90, v103
	v_dual_mov_b32 v105, v91 :: v_dual_mov_b32 v91, v102
	s_delay_alu instid0(VALU_DEP_2) | instskip(SKIP_1) | instid1(VALU_DEP_3)
	v_pk_fma_f32 v[100:101], v[102:103], v[126:127], v[100:101] op_sel_hi:[1,1,0] neg_lo:[0,0,1] neg_hi:[0,0,1]
	v_mul_f32_e32 v102, v103, v86
	v_pk_add_f32 v[146:147], v[146:147], v[104:105] neg_lo:[0,1] neg_hi:[0,1]
	s_delay_alu instid0(VALU_DEP_2) | instskip(NEXT) | instid1(VALU_DEP_1)
	v_pk_fma_f32 v[90:91], v[90:91], v[126:127], v[102:103] op_sel_hi:[1,1,0]
	v_mov_b32_e32 v101, v91
	s_delay_alu instid0(VALU_DEP_1) | instskip(SKIP_3) | instid1(VALU_DEP_1)
	v_pk_add_f32 v[142:143], v[142:143], v[100:101] neg_lo:[0,1] neg_hi:[0,1]
	ds_load_2addr_b64 v[100:103], v202 offset0:34 offset1:35
	s_wait_dscnt 0x0
	v_pk_mul_f32 v[90:91], v[100:101], v[88:89] op_sel:[0,1]
	v_pk_fma_f32 v[104:105], v[100:101], v[86:87], v[90:91] op_sel:[0,0,1] op_sel_hi:[1,1,0] neg_lo:[0,0,1] neg_hi:[0,0,1]
	v_pk_fma_f32 v[90:91], v[100:101], v[86:87], v[90:91] op_sel:[0,0,1] op_sel_hi:[1,0,0]
	s_delay_alu instid0(VALU_DEP_1) | instskip(SKIP_1) | instid1(VALU_DEP_2)
	v_mov_b32_e32 v105, v91
	v_pk_mul_f32 v[90:91], v[102:103], v[88:89] op_sel:[0,1]
	v_pk_add_f32 v[144:145], v[144:145], v[104:105] neg_lo:[0,1] neg_hi:[0,1]
	s_delay_alu instid0(VALU_DEP_2) | instskip(SKIP_1) | instid1(VALU_DEP_1)
	v_pk_fma_f32 v[100:101], v[102:103], v[86:87], v[90:91] op_sel:[0,0,1] op_sel_hi:[1,1,0] neg_lo:[0,0,1] neg_hi:[0,0,1]
	v_pk_fma_f32 v[90:91], v[102:103], v[86:87], v[90:91] op_sel:[0,0,1] op_sel_hi:[1,0,0]
	v_mov_b32_e32 v101, v91
	s_delay_alu instid0(VALU_DEP_1) | instskip(SKIP_3) | instid1(VALU_DEP_1)
	v_pk_add_f32 v[140:141], v[140:141], v[100:101] neg_lo:[0,1] neg_hi:[0,1]
	ds_load_2addr_b64 v[100:103], v202 offset0:36 offset1:37
	s_wait_dscnt 0x0
	v_pk_mul_f32 v[90:91], v[100:101], v[88:89] op_sel:[0,1]
	v_pk_fma_f32 v[104:105], v[100:101], v[86:87], v[90:91] op_sel:[0,0,1] op_sel_hi:[1,1,0] neg_lo:[0,0,1] neg_hi:[0,0,1]
	v_pk_fma_f32 v[90:91], v[100:101], v[86:87], v[90:91] op_sel:[0,0,1] op_sel_hi:[1,0,0]
	s_delay_alu instid0(VALU_DEP_1) | instskip(SKIP_1) | instid1(VALU_DEP_2)
	v_mov_b32_e32 v105, v91
	v_pk_mul_f32 v[90:91], v[102:103], v[88:89] op_sel:[0,1]
	v_pk_add_f32 v[162:163], v[162:163], v[104:105] neg_lo:[0,1] neg_hi:[0,1]
	s_delay_alu instid0(VALU_DEP_2) | instskip(SKIP_1) | instid1(VALU_DEP_1)
	v_pk_fma_f32 v[100:101], v[102:103], v[86:87], v[90:91] op_sel:[0,0,1] op_sel_hi:[1,1,0] neg_lo:[0,0,1] neg_hi:[0,0,1]
	v_pk_fma_f32 v[90:91], v[102:103], v[86:87], v[90:91] op_sel:[0,0,1] op_sel_hi:[1,0,0]
	v_mov_b32_e32 v101, v91
	s_delay_alu instid0(VALU_DEP_1) | instskip(SKIP_3) | instid1(VALU_DEP_1)
	v_pk_add_f32 v[158:159], v[158:159], v[100:101] neg_lo:[0,1] neg_hi:[0,1]
	ds_load_2addr_b64 v[100:103], v202 offset0:38 offset1:39
	s_wait_dscnt 0x0
	v_dual_mul_f32 v90, v101, v89 :: v_dual_mul_f32 v104, v101, v86
	v_pk_fma_f32 v[90:91], v[100:101], v[126:127], v[90:91] op_sel_hi:[1,1,0] neg_lo:[0,0,1] neg_hi:[0,0,1]
	s_delay_alu instid0(VALU_DEP_2) | instskip(NEXT) | instid1(VALU_DEP_1)
	v_pk_fma_f32 v[100:101], v[100:101], v[126:127], v[104:105] op_sel:[1,0,0] op_sel_hi:[0,1,0]
	v_mov_b32_e32 v91, v101
	s_delay_alu instid0(VALU_DEP_1) | instskip(SKIP_1) | instid1(VALU_DEP_1)
	v_pk_add_f32 v[160:161], v[160:161], v[90:91] neg_lo:[0,1] neg_hi:[0,1]
	v_pk_mul_f32 v[90:91], v[102:103], v[88:89] op_sel:[0,1]
	v_pk_fma_f32 v[100:101], v[102:103], v[86:87], v[90:91] op_sel:[0,0,1] op_sel_hi:[1,1,0] neg_lo:[0,0,1] neg_hi:[0,0,1]
	v_pk_fma_f32 v[90:91], v[102:103], v[86:87], v[90:91] op_sel:[0,0,1] op_sel_hi:[1,0,0]
	s_delay_alu instid0(VALU_DEP_1) | instskip(NEXT) | instid1(VALU_DEP_1)
	v_mov_b32_e32 v101, v91
	v_pk_add_f32 v[156:157], v[156:157], v[100:101] neg_lo:[0,1] neg_hi:[0,1]
	ds_load_2addr_b64 v[100:103], v202 offset0:40 offset1:41
	s_wait_dscnt 0x0
	v_pk_mul_f32 v[90:91], v[100:101], v[88:89] op_sel:[0,1]
	s_delay_alu instid0(VALU_DEP_1) | instskip(SKIP_1) | instid1(VALU_DEP_1)
	v_pk_fma_f32 v[104:105], v[100:101], v[86:87], v[90:91] op_sel:[0,0,1] op_sel_hi:[1,1,0] neg_lo:[0,0,1] neg_hi:[0,0,1]
	v_pk_fma_f32 v[90:91], v[100:101], v[86:87], v[90:91] op_sel:[0,0,1] op_sel_hi:[1,0,0]
	v_mov_b32_e32 v105, v91
	v_pk_mul_f32 v[90:91], v[102:103], v[88:89] op_sel:[0,1]
	s_delay_alu instid0(VALU_DEP_2) | instskip(NEXT) | instid1(VALU_DEP_2)
	v_pk_add_f32 v[178:179], v[178:179], v[104:105] neg_lo:[0,1] neg_hi:[0,1]
	v_pk_fma_f32 v[100:101], v[102:103], v[86:87], v[90:91] op_sel:[0,0,1] op_sel_hi:[1,1,0] neg_lo:[0,0,1] neg_hi:[0,0,1]
	v_pk_fma_f32 v[90:91], v[102:103], v[86:87], v[90:91] op_sel:[0,0,1] op_sel_hi:[1,0,0]
	s_delay_alu instid0(VALU_DEP_1) | instskip(NEXT) | instid1(VALU_DEP_1)
	v_mov_b32_e32 v101, v91
	v_pk_add_f32 v[174:175], v[174:175], v[100:101] neg_lo:[0,1] neg_hi:[0,1]
	ds_load_2addr_b64 v[100:103], v202 offset0:42 offset1:43
	s_wait_dscnt 0x0
	v_pk_mul_f32 v[90:91], v[100:101], v[88:89] op_sel:[0,1]
	s_delay_alu instid0(VALU_DEP_1) | instskip(SKIP_2) | instid1(VALU_DEP_2)
	v_pk_fma_f32 v[104:105], v[100:101], v[86:87], v[90:91] op_sel:[0,0,1] op_sel_hi:[1,1,0] neg_lo:[0,0,1] neg_hi:[0,0,1]
	v_pk_fma_f32 v[90:91], v[100:101], v[86:87], v[90:91] op_sel:[0,0,1] op_sel_hi:[1,0,0]
	v_dual_mul_f32 v100, v103, v89 :: v_dual_mov_b32 v90, v103
	v_dual_mov_b32 v105, v91 :: v_dual_mov_b32 v91, v102
	s_delay_alu instid0(VALU_DEP_2) | instskip(SKIP_1) | instid1(VALU_DEP_3)
	v_pk_fma_f32 v[100:101], v[102:103], v[126:127], v[100:101] op_sel_hi:[1,1,0] neg_lo:[0,0,1] neg_hi:[0,0,1]
	v_mul_f32_e32 v102, v103, v86
	v_pk_add_f32 v[176:177], v[176:177], v[104:105] neg_lo:[0,1] neg_hi:[0,1]
	s_delay_alu instid0(VALU_DEP_2) | instskip(NEXT) | instid1(VALU_DEP_1)
	v_pk_fma_f32 v[90:91], v[90:91], v[126:127], v[102:103] op_sel_hi:[1,1,0]
	v_mov_b32_e32 v101, v91
	s_delay_alu instid0(VALU_DEP_1) | instskip(SKIP_3) | instid1(VALU_DEP_1)
	v_pk_add_f32 v[172:173], v[172:173], v[100:101] neg_lo:[0,1] neg_hi:[0,1]
	ds_load_2addr_b64 v[100:103], v202 offset0:44 offset1:45
	s_wait_dscnt 0x0
	v_pk_mul_f32 v[90:91], v[100:101], v[88:89] op_sel:[0,1]
	v_pk_fma_f32 v[104:105], v[100:101], v[86:87], v[90:91] op_sel:[0,0,1] op_sel_hi:[1,1,0] neg_lo:[0,0,1] neg_hi:[0,0,1]
	v_pk_fma_f32 v[90:91], v[100:101], v[86:87], v[90:91] op_sel:[0,0,1] op_sel_hi:[1,0,0]
	s_delay_alu instid0(VALU_DEP_1) | instskip(SKIP_1) | instid1(VALU_DEP_2)
	v_mov_b32_e32 v105, v91
	v_pk_mul_f32 v[90:91], v[102:103], v[88:89] op_sel:[0,1]
	v_pk_add_f32 v[194:195], v[194:195], v[104:105] neg_lo:[0,1] neg_hi:[0,1]
	s_delay_alu instid0(VALU_DEP_2) | instskip(SKIP_1) | instid1(VALU_DEP_1)
	v_pk_fma_f32 v[100:101], v[102:103], v[86:87], v[90:91] op_sel:[0,0,1] op_sel_hi:[1,1,0] neg_lo:[0,0,1] neg_hi:[0,0,1]
	v_pk_fma_f32 v[90:91], v[102:103], v[86:87], v[90:91] op_sel:[0,0,1] op_sel_hi:[1,0,0]
	v_mov_b32_e32 v101, v91
	s_delay_alu instid0(VALU_DEP_1) | instskip(SKIP_3) | instid1(VALU_DEP_1)
	v_pk_add_f32 v[190:191], v[190:191], v[100:101] neg_lo:[0,1] neg_hi:[0,1]
	ds_load_2addr_b64 v[100:103], v202 offset0:46 offset1:47
	s_wait_dscnt 0x0
	v_pk_mul_f32 v[90:91], v[100:101], v[88:89] op_sel:[0,1]
	v_pk_fma_f32 v[104:105], v[100:101], v[86:87], v[90:91] op_sel:[0,0,1] op_sel_hi:[1,1,0] neg_lo:[0,0,1] neg_hi:[0,0,1]
	v_pk_fma_f32 v[90:91], v[100:101], v[86:87], v[90:91] op_sel:[0,0,1] op_sel_hi:[1,0,0]
	s_delay_alu instid0(VALU_DEP_1) | instskip(SKIP_1) | instid1(VALU_DEP_2)
	v_mov_b32_e32 v105, v91
	v_pk_mul_f32 v[90:91], v[102:103], v[88:89] op_sel:[0,1]
	v_pk_add_f32 v[192:193], v[192:193], v[104:105] neg_lo:[0,1] neg_hi:[0,1]
	s_delay_alu instid0(VALU_DEP_2) | instskip(SKIP_1) | instid1(VALU_DEP_1)
	v_pk_fma_f32 v[100:101], v[102:103], v[86:87], v[90:91] op_sel:[0,0,1] op_sel_hi:[1,1,0] neg_lo:[0,0,1] neg_hi:[0,0,1]
	v_pk_fma_f32 v[90:91], v[102:103], v[86:87], v[90:91] op_sel:[0,0,1] op_sel_hi:[1,0,0]
	v_mov_b32_e32 v101, v91
	s_delay_alu instid0(VALU_DEP_1) | instskip(SKIP_3) | instid1(VALU_DEP_1)
	v_pk_add_f32 v[188:189], v[188:189], v[100:101] neg_lo:[0,1] neg_hi:[0,1]
	ds_load_2addr_b64 v[100:103], v202 offset0:48 offset1:49
	s_wait_dscnt 0x0
	v_dual_mul_f32 v90, v101, v89 :: v_dual_mul_f32 v104, v101, v86
	v_pk_fma_f32 v[90:91], v[100:101], v[126:127], v[90:91] op_sel_hi:[1,1,0] neg_lo:[0,0,1] neg_hi:[0,0,1]
	s_delay_alu instid0(VALU_DEP_2) | instskip(NEXT) | instid1(VALU_DEP_1)
	v_pk_fma_f32 v[100:101], v[100:101], v[126:127], v[104:105] op_sel:[1,0,0] op_sel_hi:[0,1,0]
	v_mov_b32_e32 v91, v101
	s_delay_alu instid0(VALU_DEP_1) | instskip(SKIP_1) | instid1(VALU_DEP_1)
	v_pk_add_f32 v[212:213], v[212:213], v[90:91] neg_lo:[0,1] neg_hi:[0,1]
	v_pk_mul_f32 v[90:91], v[102:103], v[88:89] op_sel:[0,1]
	v_pk_fma_f32 v[100:101], v[102:103], v[86:87], v[90:91] op_sel:[0,0,1] op_sel_hi:[1,1,0] neg_lo:[0,0,1] neg_hi:[0,0,1]
	v_pk_fma_f32 v[90:91], v[102:103], v[86:87], v[90:91] op_sel:[0,0,1] op_sel_hi:[1,0,0]
	s_delay_alu instid0(VALU_DEP_1) | instskip(NEXT) | instid1(VALU_DEP_1)
	v_mov_b32_e32 v101, v91
	v_pk_add_f32 v[208:209], v[208:209], v[100:101] neg_lo:[0,1] neg_hi:[0,1]
	ds_load_2addr_b64 v[100:103], v202 offset0:50 offset1:51
	s_wait_dscnt 0x0
	v_pk_mul_f32 v[90:91], v[100:101], v[88:89] op_sel:[0,1]
	s_delay_alu instid0(VALU_DEP_1) | instskip(SKIP_1) | instid1(VALU_DEP_1)
	v_pk_fma_f32 v[104:105], v[100:101], v[86:87], v[90:91] op_sel:[0,0,1] op_sel_hi:[1,1,0] neg_lo:[0,0,1] neg_hi:[0,0,1]
	v_pk_fma_f32 v[90:91], v[100:101], v[86:87], v[90:91] op_sel:[0,0,1] op_sel_hi:[1,0,0]
	v_mov_b32_e32 v105, v91
	v_pk_mul_f32 v[90:91], v[102:103], v[88:89] op_sel:[0,1]
	s_delay_alu instid0(VALU_DEP_2) | instskip(NEXT) | instid1(VALU_DEP_2)
	v_pk_add_f32 v[210:211], v[210:211], v[104:105] neg_lo:[0,1] neg_hi:[0,1]
	v_pk_fma_f32 v[100:101], v[102:103], v[86:87], v[90:91] op_sel:[0,0,1] op_sel_hi:[1,1,0] neg_lo:[0,0,1] neg_hi:[0,0,1]
	v_pk_fma_f32 v[90:91], v[102:103], v[86:87], v[90:91] op_sel:[0,0,1] op_sel_hi:[1,0,0]
	s_delay_alu instid0(VALU_DEP_1) | instskip(NEXT) | instid1(VALU_DEP_1)
	v_mov_b32_e32 v101, v91
	v_pk_add_f32 v[206:207], v[206:207], v[100:101] neg_lo:[0,1] neg_hi:[0,1]
	ds_load_2addr_b64 v[100:103], v202 offset0:52 offset1:53
	s_wait_dscnt 0x0
	v_pk_mul_f32 v[90:91], v[100:101], v[88:89] op_sel:[0,1]
	s_delay_alu instid0(VALU_DEP_1) | instskip(SKIP_2) | instid1(VALU_DEP_2)
	v_pk_fma_f32 v[104:105], v[100:101], v[86:87], v[90:91] op_sel:[0,0,1] op_sel_hi:[1,1,0] neg_lo:[0,0,1] neg_hi:[0,0,1]
	v_pk_fma_f32 v[90:91], v[100:101], v[86:87], v[90:91] op_sel:[0,0,1] op_sel_hi:[1,0,0]
	v_dual_mul_f32 v100, v103, v89 :: v_dual_mov_b32 v90, v103
	v_dual_mov_b32 v105, v91 :: v_dual_mov_b32 v91, v102
	s_delay_alu instid0(VALU_DEP_2) | instskip(SKIP_1) | instid1(VALU_DEP_3)
	v_pk_fma_f32 v[100:101], v[102:103], v[126:127], v[100:101] op_sel_hi:[1,1,0] neg_lo:[0,0,1] neg_hi:[0,0,1]
	v_mul_f32_e32 v102, v103, v86
	v_pk_add_f32 v[232:233], v[232:233], v[104:105] neg_lo:[0,1] neg_hi:[0,1]
	s_delay_alu instid0(VALU_DEP_2) | instskip(NEXT) | instid1(VALU_DEP_1)
	v_pk_fma_f32 v[90:91], v[90:91], v[126:127], v[102:103] op_sel_hi:[1,1,0]
	v_mov_b32_e32 v101, v91
	s_delay_alu instid0(VALU_DEP_1) | instskip(SKIP_3) | instid1(VALU_DEP_1)
	v_pk_add_f32 v[226:227], v[226:227], v[100:101] neg_lo:[0,1] neg_hi:[0,1]
	ds_load_2addr_b64 v[100:103], v202 offset0:54 offset1:55
	s_wait_dscnt 0x0
	v_pk_mul_f32 v[90:91], v[100:101], v[88:89] op_sel:[0,1]
	v_pk_fma_f32 v[104:105], v[100:101], v[86:87], v[90:91] op_sel:[0,0,1] op_sel_hi:[1,1,0] neg_lo:[0,0,1] neg_hi:[0,0,1]
	v_pk_fma_f32 v[90:91], v[100:101], v[86:87], v[90:91] op_sel:[0,0,1] op_sel_hi:[1,0,0]
	s_delay_alu instid0(VALU_DEP_1) | instskip(SKIP_1) | instid1(VALU_DEP_2)
	v_mov_b32_e32 v105, v91
	v_pk_mul_f32 v[90:91], v[102:103], v[88:89] op_sel:[0,1]
	v_pk_add_f32 v[230:231], v[230:231], v[104:105] neg_lo:[0,1] neg_hi:[0,1]
	s_delay_alu instid0(VALU_DEP_2) | instskip(SKIP_1) | instid1(VALU_DEP_1)
	v_pk_fma_f32 v[100:101], v[102:103], v[86:87], v[90:91] op_sel:[0,0,1] op_sel_hi:[1,1,0] neg_lo:[0,0,1] neg_hi:[0,0,1]
	v_pk_fma_f32 v[90:91], v[102:103], v[86:87], v[90:91] op_sel:[0,0,1] op_sel_hi:[1,0,0]
	v_mov_b32_e32 v101, v91
	s_delay_alu instid0(VALU_DEP_1) | instskip(SKIP_3) | instid1(VALU_DEP_1)
	v_pk_add_f32 v[224:225], v[224:225], v[100:101] neg_lo:[0,1] neg_hi:[0,1]
	ds_load_2addr_b64 v[100:103], v202 offset0:56 offset1:57
	s_wait_dscnt 0x0
	v_pk_mul_f32 v[90:91], v[100:101], v[88:89] op_sel:[0,1]
	v_pk_fma_f32 v[104:105], v[100:101], v[86:87], v[90:91] op_sel:[0,0,1] op_sel_hi:[1,1,0] neg_lo:[0,0,1] neg_hi:[0,0,1]
	v_pk_fma_f32 v[90:91], v[100:101], v[86:87], v[90:91] op_sel:[0,0,1] op_sel_hi:[1,0,0]
	s_delay_alu instid0(VALU_DEP_1) | instskip(SKIP_1) | instid1(VALU_DEP_2)
	v_mov_b32_e32 v105, v91
	v_pk_mul_f32 v[90:91], v[102:103], v[88:89] op_sel:[0,1]
	v_pk_add_f32 v[228:229], v[228:229], v[104:105] neg_lo:[0,1] neg_hi:[0,1]
	s_delay_alu instid0(VALU_DEP_2) | instskip(SKIP_1) | instid1(VALU_DEP_1)
	v_pk_fma_f32 v[100:101], v[102:103], v[86:87], v[90:91] op_sel:[0,0,1] op_sel_hi:[1,1,0] neg_lo:[0,0,1] neg_hi:[0,0,1]
	v_pk_fma_f32 v[90:91], v[102:103], v[86:87], v[90:91] op_sel:[0,0,1] op_sel_hi:[1,0,0]
	v_mov_b32_e32 v101, v91
	ds_load_b64 v[90:91], v202 offset:464
	v_pk_add_f32 v[234:235], v[234:235], v[100:101] neg_lo:[0,1] neg_hi:[0,1]
	s_wait_dscnt 0x0
	v_pk_mul_f32 v[88:89], v[90:91], v[88:89] op_sel:[0,1]
	s_delay_alu instid0(VALU_DEP_1) | instskip(SKIP_1) | instid1(VALU_DEP_1)
	v_pk_fma_f32 v[100:101], v[90:91], v[86:87], v[88:89] op_sel:[0,0,1] op_sel_hi:[1,1,0] neg_lo:[0,0,1] neg_hi:[0,0,1]
	v_pk_fma_f32 v[86:87], v[90:91], v[86:87], v[88:89] op_sel:[0,0,1] op_sel_hi:[1,0,0]
	v_mov_b32_e32 v101, v87
	s_delay_alu instid0(VALU_DEP_1)
	v_pk_add_f32 v[236:237], v[236:237], v[100:101] neg_lo:[0,1] neg_hi:[0,1]
.LBB117_271:
	s_or_b32 exec_lo, exec_lo, s1
	s_delay_alu instid0(SALU_CYCLE_1)
	s_mov_b32 s2, exec_lo
	s_wait_dscnt 0x0
	s_barrier_signal -1
	s_barrier_wait -1
	v_cmpx_eq_u32_e32 30, v200
	s_cbranch_execz .LBB117_278
; %bb.272:
	ds_store_b64 v201, v[128:129]
	ds_store_2addr_b64 v202, v[124:125], v[146:147] offset0:31 offset1:32
	ds_store_2addr_b64 v202, v[142:143], v[144:145] offset0:33 offset1:34
	;; [unrolled: 1-line block ×14, first 2 shown]
	ds_load_b64 v[86:87], v201
	s_wait_dscnt 0x0
	v_cmp_neq_f32_e32 vcc_lo, 0, v86
	v_cmp_neq_f32_e64 s1, 0, v87
	s_or_b32 s1, vcc_lo, s1
	s_delay_alu instid0(SALU_CYCLE_1)
	s_and_b32 exec_lo, exec_lo, s1
	s_cbranch_execz .LBB117_278
; %bb.273:
	v_cmp_ngt_f32_e64 s1, |v86|, |v87|
                                        ; implicit-def: $vgpr88_vgpr89
	s_and_saveexec_b32 s4, s1
	s_delay_alu instid0(SALU_CYCLE_1)
	s_xor_b32 s1, exec_lo, s4
	s_cbranch_execz .LBB117_275
; %bb.274:
	v_div_scale_f32 v88, null, v87, v87, v86
	v_div_scale_f32 v91, vcc_lo, v86, v87, v86
	s_delay_alu instid0(VALU_DEP_2) | instskip(SKIP_1) | instid1(TRANS32_DEP_1)
	v_rcp_f32_e32 v89, v88
	v_nop
	v_fma_f32 v90, -v88, v89, 1.0
	s_delay_alu instid0(VALU_DEP_1) | instskip(NEXT) | instid1(VALU_DEP_1)
	v_fmac_f32_e32 v89, v90, v89
	v_mul_f32_e32 v90, v91, v89
	s_delay_alu instid0(VALU_DEP_1) | instskip(NEXT) | instid1(VALU_DEP_1)
	v_fma_f32 v100, -v88, v90, v91
	v_fmac_f32_e32 v90, v100, v89
	s_delay_alu instid0(VALU_DEP_1) | instskip(NEXT) | instid1(VALU_DEP_1)
	v_fma_f32 v88, -v88, v90, v91
	v_div_fmas_f32 v88, v88, v89, v90
	s_delay_alu instid0(VALU_DEP_1) | instskip(NEXT) | instid1(VALU_DEP_1)
	v_div_fixup_f32 v88, v88, v87, v86
	v_fmac_f32_e32 v87, v86, v88
	s_delay_alu instid0(VALU_DEP_1) | instskip(SKIP_1) | instid1(VALU_DEP_2)
	v_div_scale_f32 v86, null, v87, v87, 1.0
	v_div_scale_f32 v91, vcc_lo, 1.0, v87, 1.0
	v_rcp_f32_e32 v89, v86
	v_nop
	s_delay_alu instid0(TRANS32_DEP_1) | instskip(NEXT) | instid1(VALU_DEP_1)
	v_fma_f32 v90, -v86, v89, 1.0
	v_fmac_f32_e32 v89, v90, v89
	s_delay_alu instid0(VALU_DEP_1) | instskip(NEXT) | instid1(VALU_DEP_1)
	v_mul_f32_e32 v90, v91, v89
	v_fma_f32 v100, -v86, v90, v91
	s_delay_alu instid0(VALU_DEP_1) | instskip(NEXT) | instid1(VALU_DEP_1)
	v_fmac_f32_e32 v90, v100, v89
	v_fma_f32 v86, -v86, v90, v91
	s_delay_alu instid0(VALU_DEP_1) | instskip(NEXT) | instid1(VALU_DEP_1)
	v_div_fmas_f32 v86, v86, v89, v90
	v_div_fixup_f32 v86, v86, v87, 1.0
	s_delay_alu instid0(VALU_DEP_1)
	v_mul_f32_e32 v88, v88, v86
	v_xor_b32_e32 v89, 0x80000000, v86
                                        ; implicit-def: $vgpr86_vgpr87
.LBB117_275:
	s_and_not1_saveexec_b32 s1, s1
	s_cbranch_execz .LBB117_277
; %bb.276:
	v_div_scale_f32 v88, null, v86, v86, v87
	v_div_scale_f32 v91, vcc_lo, v87, v86, v87
	s_delay_alu instid0(VALU_DEP_2) | instskip(SKIP_1) | instid1(TRANS32_DEP_1)
	v_rcp_f32_e32 v89, v88
	v_nop
	v_fma_f32 v90, -v88, v89, 1.0
	s_delay_alu instid0(VALU_DEP_1) | instskip(NEXT) | instid1(VALU_DEP_1)
	v_fmac_f32_e32 v89, v90, v89
	v_mul_f32_e32 v90, v91, v89
	s_delay_alu instid0(VALU_DEP_1) | instskip(NEXT) | instid1(VALU_DEP_1)
	v_fma_f32 v100, -v88, v90, v91
	v_fmac_f32_e32 v90, v100, v89
	s_delay_alu instid0(VALU_DEP_1) | instskip(NEXT) | instid1(VALU_DEP_1)
	v_fma_f32 v88, -v88, v90, v91
	v_div_fmas_f32 v88, v88, v89, v90
	s_delay_alu instid0(VALU_DEP_1) | instskip(NEXT) | instid1(VALU_DEP_1)
	v_div_fixup_f32 v89, v88, v86, v87
	v_fmac_f32_e32 v86, v87, v89
	s_delay_alu instid0(VALU_DEP_1) | instskip(NEXT) | instid1(VALU_DEP_1)
	v_div_scale_f32 v87, null, v86, v86, 1.0
	v_rcp_f32_e32 v88, v87
	v_nop
	s_delay_alu instid0(TRANS32_DEP_1) | instskip(NEXT) | instid1(VALU_DEP_1)
	v_fma_f32 v90, -v87, v88, 1.0
	v_fmac_f32_e32 v88, v90, v88
	v_div_scale_f32 v90, vcc_lo, 1.0, v86, 1.0
	s_delay_alu instid0(VALU_DEP_1) | instskip(NEXT) | instid1(VALU_DEP_1)
	v_mul_f32_e32 v91, v90, v88
	v_fma_f32 v100, -v87, v91, v90
	s_delay_alu instid0(VALU_DEP_1) | instskip(NEXT) | instid1(VALU_DEP_1)
	v_fmac_f32_e32 v91, v100, v88
	v_fma_f32 v87, -v87, v91, v90
	s_delay_alu instid0(VALU_DEP_1) | instskip(NEXT) | instid1(VALU_DEP_1)
	v_div_fmas_f32 v87, v87, v88, v91
	v_div_fixup_f32 v88, v87, v86, 1.0
	s_delay_alu instid0(VALU_DEP_1)
	v_mul_f32_e64 v89, v89, -v88
.LBB117_277:
	s_or_b32 exec_lo, exec_lo, s1
	ds_store_b64 v201, v[88:89]
.LBB117_278:
	s_or_b32 exec_lo, exec_lo, s2
	s_wait_dscnt 0x0
	s_barrier_signal -1
	s_barrier_wait -1
	ds_load_b64 v[86:87], v201
	s_mov_b32 s1, exec_lo
	v_cmpx_lt_u32_e32 30, v200
	s_cbranch_execz .LBB117_280
; %bb.279:
	ds_load_2addr_b64 v[100:103], v202 offset0:31 offset1:32
	s_wait_dscnt 0x1
	v_pk_mul_f32 v[90:91], v[86:87], v[128:129] op_sel:[1,1] op_sel_hi:[0,1]
	s_delay_alu instid0(VALU_DEP_1) | instskip(SKIP_1) | instid1(VALU_DEP_1)
	v_pk_fma_f32 v[88:89], v[86:87], v[128:129], v[90:91] op_sel_hi:[1,0,1] neg_lo:[0,0,1] neg_hi:[0,0,1]
	v_pk_fma_f32 v[90:91], v[86:87], v[128:129], v[90:91] op_sel_hi:[1,0,1]
	v_dual_mov_b32 v128, v88 :: v_dual_mov_b32 v129, v91
	s_wait_dscnt 0x0
	s_delay_alu instid0(VALU_DEP_2) | instskip(NEXT) | instid1(VALU_DEP_1)
	v_pk_mul_f32 v[104:105], v[100:101], v[90:91] op_sel:[0,1]
	v_pk_fma_f32 v[106:107], v[100:101], v[88:89], v[104:105] op_sel:[0,0,1] op_sel_hi:[1,1,0] neg_lo:[0,0,1] neg_hi:[0,0,1]
	v_pk_fma_f32 v[100:101], v[100:101], v[88:89], v[104:105] op_sel:[0,0,1] op_sel_hi:[1,0,0]
	s_delay_alu instid0(VALU_DEP_1) | instskip(SKIP_1) | instid1(VALU_DEP_1)
	v_mov_b32_e32 v107, v101
	v_pk_mul_f32 v[100:101], v[102:103], v[90:91] op_sel:[0,1]
	v_pk_fma_f32 v[104:105], v[102:103], v[88:89], v[100:101] op_sel:[0,0,1] op_sel_hi:[1,1,0] neg_lo:[0,0,1] neg_hi:[0,0,1]
	v_pk_fma_f32 v[100:101], v[102:103], v[88:89], v[100:101] op_sel:[0,0,1] op_sel_hi:[1,0,0]
	s_delay_alu instid0(VALU_DEP_1)
	v_mov_b32_e32 v105, v101
	ds_load_2addr_b64 v[100:103], v202 offset0:33 offset1:34
	v_pk_add_f32 v[124:125], v[124:125], v[106:107] neg_lo:[0,1] neg_hi:[0,1]
	v_pk_add_f32 v[146:147], v[146:147], v[104:105] neg_lo:[0,1] neg_hi:[0,1]
	s_wait_dscnt 0x0
	v_pk_mul_f32 v[104:105], v[100:101], v[90:91] op_sel:[0,1]
	s_delay_alu instid0(VALU_DEP_1) | instskip(SKIP_2) | instid1(VALU_DEP_2)
	v_pk_fma_f32 v[106:107], v[100:101], v[88:89], v[104:105] op_sel:[0,0,1] op_sel_hi:[1,1,0] neg_lo:[0,0,1] neg_hi:[0,0,1]
	v_pk_fma_f32 v[100:101], v[100:101], v[88:89], v[104:105] op_sel:[0,0,1] op_sel_hi:[1,0,0]
	v_dual_mul_f32 v104, v103, v91 :: v_dual_mov_b32 v100, v103
	v_dual_mov_b32 v107, v101 :: v_dual_mov_b32 v101, v102
	s_delay_alu instid0(VALU_DEP_2) | instskip(SKIP_1) | instid1(VALU_DEP_3)
	v_pk_fma_f32 v[104:105], v[102:103], v[128:129], v[104:105] op_sel_hi:[1,1,0] neg_lo:[0,0,1] neg_hi:[0,0,1]
	v_mul_f32_e32 v102, v103, v88
	v_pk_add_f32 v[142:143], v[142:143], v[106:107] neg_lo:[0,1] neg_hi:[0,1]
	s_delay_alu instid0(VALU_DEP_2) | instskip(NEXT) | instid1(VALU_DEP_1)
	v_pk_fma_f32 v[100:101], v[100:101], v[128:129], v[102:103] op_sel_hi:[1,1,0]
	v_mov_b32_e32 v105, v101
	ds_load_2addr_b64 v[100:103], v202 offset0:35 offset1:36
	v_pk_add_f32 v[144:145], v[144:145], v[104:105] neg_lo:[0,1] neg_hi:[0,1]
	s_wait_dscnt 0x0
	v_pk_mul_f32 v[104:105], v[100:101], v[90:91] op_sel:[0,1]
	s_delay_alu instid0(VALU_DEP_1) | instskip(SKIP_1) | instid1(VALU_DEP_1)
	v_pk_fma_f32 v[106:107], v[100:101], v[88:89], v[104:105] op_sel:[0,0,1] op_sel_hi:[1,1,0] neg_lo:[0,0,1] neg_hi:[0,0,1]
	v_pk_fma_f32 v[100:101], v[100:101], v[88:89], v[104:105] op_sel:[0,0,1] op_sel_hi:[1,0,0]
	v_mov_b32_e32 v107, v101
	v_pk_mul_f32 v[100:101], v[102:103], v[90:91] op_sel:[0,1]
	s_delay_alu instid0(VALU_DEP_1) | instskip(SKIP_1) | instid1(VALU_DEP_1)
	v_pk_fma_f32 v[104:105], v[102:103], v[88:89], v[100:101] op_sel:[0,0,1] op_sel_hi:[1,1,0] neg_lo:[0,0,1] neg_hi:[0,0,1]
	v_pk_fma_f32 v[100:101], v[102:103], v[88:89], v[100:101] op_sel:[0,0,1] op_sel_hi:[1,0,0]
	v_mov_b32_e32 v105, v101
	ds_load_2addr_b64 v[100:103], v202 offset0:37 offset1:38
	v_pk_add_f32 v[140:141], v[140:141], v[106:107] neg_lo:[0,1] neg_hi:[0,1]
	v_pk_add_f32 v[162:163], v[162:163], v[104:105] neg_lo:[0,1] neg_hi:[0,1]
	s_wait_dscnt 0x0
	v_pk_mul_f32 v[104:105], v[100:101], v[90:91] op_sel:[0,1]
	s_delay_alu instid0(VALU_DEP_1) | instskip(SKIP_1) | instid1(VALU_DEP_1)
	v_pk_fma_f32 v[106:107], v[100:101], v[88:89], v[104:105] op_sel:[0,0,1] op_sel_hi:[1,1,0] neg_lo:[0,0,1] neg_hi:[0,0,1]
	v_pk_fma_f32 v[100:101], v[100:101], v[88:89], v[104:105] op_sel:[0,0,1] op_sel_hi:[1,0,0]
	v_mov_b32_e32 v107, v101
	v_pk_mul_f32 v[100:101], v[102:103], v[90:91] op_sel:[0,1]
	s_delay_alu instid0(VALU_DEP_1) | instskip(SKIP_1) | instid1(VALU_DEP_1)
	v_pk_fma_f32 v[104:105], v[102:103], v[88:89], v[100:101] op_sel:[0,0,1] op_sel_hi:[1,1,0] neg_lo:[0,0,1] neg_hi:[0,0,1]
	v_pk_fma_f32 v[100:101], v[102:103], v[88:89], v[100:101] op_sel:[0,0,1] op_sel_hi:[1,0,0]
	v_mov_b32_e32 v105, v101
	ds_load_2addr_b64 v[100:103], v202 offset0:39 offset1:40
	v_pk_add_f32 v[158:159], v[158:159], v[106:107] neg_lo:[0,1] neg_hi:[0,1]
	v_pk_add_f32 v[160:161], v[160:161], v[104:105] neg_lo:[0,1] neg_hi:[0,1]
	s_wait_dscnt 0x0
	v_dual_mul_f32 v104, v101, v91 :: v_dual_mul_f32 v106, v101, v88
	s_delay_alu instid0(VALU_DEP_1) | instskip(NEXT) | instid1(VALU_DEP_2)
	v_pk_fma_f32 v[104:105], v[100:101], v[128:129], v[104:105] op_sel_hi:[1,1,0] neg_lo:[0,0,1] neg_hi:[0,0,1]
	v_pk_fma_f32 v[100:101], v[100:101], v[128:129], v[106:107] op_sel:[1,0,0] op_sel_hi:[0,1,0]
	s_delay_alu instid0(VALU_DEP_1) | instskip(SKIP_1) | instid1(VALU_DEP_2)
	v_mov_b32_e32 v105, v101
	v_pk_mul_f32 v[100:101], v[102:103], v[90:91] op_sel:[0,1]
	v_pk_add_f32 v[156:157], v[156:157], v[104:105] neg_lo:[0,1] neg_hi:[0,1]
	s_delay_alu instid0(VALU_DEP_2) | instskip(SKIP_1) | instid1(VALU_DEP_1)
	v_pk_fma_f32 v[104:105], v[102:103], v[88:89], v[100:101] op_sel:[0,0,1] op_sel_hi:[1,1,0] neg_lo:[0,0,1] neg_hi:[0,0,1]
	v_pk_fma_f32 v[100:101], v[102:103], v[88:89], v[100:101] op_sel:[0,0,1] op_sel_hi:[1,0,0]
	v_mov_b32_e32 v105, v101
	ds_load_2addr_b64 v[100:103], v202 offset0:41 offset1:42
	v_pk_add_f32 v[178:179], v[178:179], v[104:105] neg_lo:[0,1] neg_hi:[0,1]
	s_wait_dscnt 0x0
	v_pk_mul_f32 v[104:105], v[100:101], v[90:91] op_sel:[0,1]
	s_delay_alu instid0(VALU_DEP_1) | instskip(SKIP_1) | instid1(VALU_DEP_1)
	v_pk_fma_f32 v[106:107], v[100:101], v[88:89], v[104:105] op_sel:[0,0,1] op_sel_hi:[1,1,0] neg_lo:[0,0,1] neg_hi:[0,0,1]
	v_pk_fma_f32 v[100:101], v[100:101], v[88:89], v[104:105] op_sel:[0,0,1] op_sel_hi:[1,0,0]
	v_mov_b32_e32 v107, v101
	v_pk_mul_f32 v[100:101], v[102:103], v[90:91] op_sel:[0,1]
	s_delay_alu instid0(VALU_DEP_2) | instskip(NEXT) | instid1(VALU_DEP_2)
	v_pk_add_f32 v[174:175], v[174:175], v[106:107] neg_lo:[0,1] neg_hi:[0,1]
	v_pk_fma_f32 v[104:105], v[102:103], v[88:89], v[100:101] op_sel:[0,0,1] op_sel_hi:[1,1,0] neg_lo:[0,0,1] neg_hi:[0,0,1]
	v_pk_fma_f32 v[100:101], v[102:103], v[88:89], v[100:101] op_sel:[0,0,1] op_sel_hi:[1,0,0]
	s_delay_alu instid0(VALU_DEP_1) | instskip(SKIP_4) | instid1(VALU_DEP_1)
	v_mov_b32_e32 v105, v101
	ds_load_2addr_b64 v[100:103], v202 offset0:43 offset1:44
	v_pk_add_f32 v[176:177], v[176:177], v[104:105] neg_lo:[0,1] neg_hi:[0,1]
	s_wait_dscnt 0x0
	v_pk_mul_f32 v[104:105], v[100:101], v[90:91] op_sel:[0,1]
	v_pk_fma_f32 v[106:107], v[100:101], v[88:89], v[104:105] op_sel:[0,0,1] op_sel_hi:[1,1,0] neg_lo:[0,0,1] neg_hi:[0,0,1]
	v_pk_fma_f32 v[100:101], v[100:101], v[88:89], v[104:105] op_sel:[0,0,1] op_sel_hi:[1,0,0]
	v_dual_mul_f32 v104, v103, v91 :: v_dual_mov_b32 v100, v103
	s_delay_alu instid0(VALU_DEP_2) | instskip(NEXT) | instid1(VALU_DEP_2)
	v_dual_mov_b32 v107, v101 :: v_dual_mov_b32 v101, v102
	v_pk_fma_f32 v[104:105], v[102:103], v[128:129], v[104:105] op_sel_hi:[1,1,0] neg_lo:[0,0,1] neg_hi:[0,0,1]
	v_mul_f32_e32 v102, v103, v88
	s_delay_alu instid0(VALU_DEP_3) | instskip(NEXT) | instid1(VALU_DEP_2)
	v_pk_add_f32 v[172:173], v[172:173], v[106:107] neg_lo:[0,1] neg_hi:[0,1]
	v_pk_fma_f32 v[100:101], v[100:101], v[128:129], v[102:103] op_sel_hi:[1,1,0]
	s_delay_alu instid0(VALU_DEP_1) | instskip(SKIP_4) | instid1(VALU_DEP_1)
	v_mov_b32_e32 v105, v101
	ds_load_2addr_b64 v[100:103], v202 offset0:45 offset1:46
	v_pk_add_f32 v[194:195], v[194:195], v[104:105] neg_lo:[0,1] neg_hi:[0,1]
	s_wait_dscnt 0x0
	v_pk_mul_f32 v[104:105], v[100:101], v[90:91] op_sel:[0,1]
	v_pk_fma_f32 v[106:107], v[100:101], v[88:89], v[104:105] op_sel:[0,0,1] op_sel_hi:[1,1,0] neg_lo:[0,0,1] neg_hi:[0,0,1]
	v_pk_fma_f32 v[100:101], v[100:101], v[88:89], v[104:105] op_sel:[0,0,1] op_sel_hi:[1,0,0]
	s_delay_alu instid0(VALU_DEP_1) | instskip(SKIP_1) | instid1(VALU_DEP_1)
	v_mov_b32_e32 v107, v101
	v_pk_mul_f32 v[100:101], v[102:103], v[90:91] op_sel:[0,1]
	v_pk_fma_f32 v[104:105], v[102:103], v[88:89], v[100:101] op_sel:[0,0,1] op_sel_hi:[1,1,0] neg_lo:[0,0,1] neg_hi:[0,0,1]
	v_pk_fma_f32 v[100:101], v[102:103], v[88:89], v[100:101] op_sel:[0,0,1] op_sel_hi:[1,0,0]
	s_delay_alu instid0(VALU_DEP_1)
	v_mov_b32_e32 v105, v101
	ds_load_2addr_b64 v[100:103], v202 offset0:47 offset1:48
	v_pk_add_f32 v[190:191], v[190:191], v[106:107] neg_lo:[0,1] neg_hi:[0,1]
	v_pk_add_f32 v[192:193], v[192:193], v[104:105] neg_lo:[0,1] neg_hi:[0,1]
	s_wait_dscnt 0x0
	v_pk_mul_f32 v[104:105], v[100:101], v[90:91] op_sel:[0,1]
	s_delay_alu instid0(VALU_DEP_1) | instskip(SKIP_1) | instid1(VALU_DEP_1)
	v_pk_fma_f32 v[106:107], v[100:101], v[88:89], v[104:105] op_sel:[0,0,1] op_sel_hi:[1,1,0] neg_lo:[0,0,1] neg_hi:[0,0,1]
	v_pk_fma_f32 v[100:101], v[100:101], v[88:89], v[104:105] op_sel:[0,0,1] op_sel_hi:[1,0,0]
	v_mov_b32_e32 v107, v101
	v_pk_mul_f32 v[100:101], v[102:103], v[90:91] op_sel:[0,1]
	s_delay_alu instid0(VALU_DEP_1) | instskip(SKIP_1) | instid1(VALU_DEP_1)
	v_pk_fma_f32 v[104:105], v[102:103], v[88:89], v[100:101] op_sel:[0,0,1] op_sel_hi:[1,1,0] neg_lo:[0,0,1] neg_hi:[0,0,1]
	v_pk_fma_f32 v[100:101], v[102:103], v[88:89], v[100:101] op_sel:[0,0,1] op_sel_hi:[1,0,0]
	v_mov_b32_e32 v105, v101
	ds_load_2addr_b64 v[100:103], v202 offset0:49 offset1:50
	v_pk_add_f32 v[188:189], v[188:189], v[106:107] neg_lo:[0,1] neg_hi:[0,1]
	v_pk_add_f32 v[212:213], v[212:213], v[104:105] neg_lo:[0,1] neg_hi:[0,1]
	s_wait_dscnt 0x0
	v_dual_mul_f32 v104, v101, v91 :: v_dual_mul_f32 v106, v101, v88
	s_delay_alu instid0(VALU_DEP_1) | instskip(NEXT) | instid1(VALU_DEP_2)
	v_pk_fma_f32 v[104:105], v[100:101], v[128:129], v[104:105] op_sel_hi:[1,1,0] neg_lo:[0,0,1] neg_hi:[0,0,1]
	v_pk_fma_f32 v[100:101], v[100:101], v[128:129], v[106:107] op_sel:[1,0,0] op_sel_hi:[0,1,0]
	s_delay_alu instid0(VALU_DEP_1) | instskip(SKIP_1) | instid1(VALU_DEP_2)
	v_mov_b32_e32 v105, v101
	v_pk_mul_f32 v[100:101], v[102:103], v[90:91] op_sel:[0,1]
	v_pk_add_f32 v[208:209], v[208:209], v[104:105] neg_lo:[0,1] neg_hi:[0,1]
	s_delay_alu instid0(VALU_DEP_2) | instskip(SKIP_1) | instid1(VALU_DEP_1)
	v_pk_fma_f32 v[104:105], v[102:103], v[88:89], v[100:101] op_sel:[0,0,1] op_sel_hi:[1,1,0] neg_lo:[0,0,1] neg_hi:[0,0,1]
	v_pk_fma_f32 v[100:101], v[102:103], v[88:89], v[100:101] op_sel:[0,0,1] op_sel_hi:[1,0,0]
	v_mov_b32_e32 v105, v101
	ds_load_2addr_b64 v[100:103], v202 offset0:51 offset1:52
	v_pk_add_f32 v[210:211], v[210:211], v[104:105] neg_lo:[0,1] neg_hi:[0,1]
	s_wait_dscnt 0x0
	v_pk_mul_f32 v[104:105], v[100:101], v[90:91] op_sel:[0,1]
	s_delay_alu instid0(VALU_DEP_1) | instskip(SKIP_1) | instid1(VALU_DEP_1)
	v_pk_fma_f32 v[106:107], v[100:101], v[88:89], v[104:105] op_sel:[0,0,1] op_sel_hi:[1,1,0] neg_lo:[0,0,1] neg_hi:[0,0,1]
	v_pk_fma_f32 v[100:101], v[100:101], v[88:89], v[104:105] op_sel:[0,0,1] op_sel_hi:[1,0,0]
	v_mov_b32_e32 v107, v101
	v_pk_mul_f32 v[100:101], v[102:103], v[90:91] op_sel:[0,1]
	s_delay_alu instid0(VALU_DEP_2) | instskip(NEXT) | instid1(VALU_DEP_2)
	v_pk_add_f32 v[206:207], v[206:207], v[106:107] neg_lo:[0,1] neg_hi:[0,1]
	v_pk_fma_f32 v[104:105], v[102:103], v[88:89], v[100:101] op_sel:[0,0,1] op_sel_hi:[1,1,0] neg_lo:[0,0,1] neg_hi:[0,0,1]
	v_pk_fma_f32 v[100:101], v[102:103], v[88:89], v[100:101] op_sel:[0,0,1] op_sel_hi:[1,0,0]
	s_delay_alu instid0(VALU_DEP_1) | instskip(SKIP_4) | instid1(VALU_DEP_1)
	v_mov_b32_e32 v105, v101
	ds_load_2addr_b64 v[100:103], v202 offset0:53 offset1:54
	v_pk_add_f32 v[232:233], v[232:233], v[104:105] neg_lo:[0,1] neg_hi:[0,1]
	s_wait_dscnt 0x0
	v_pk_mul_f32 v[104:105], v[100:101], v[90:91] op_sel:[0,1]
	v_pk_fma_f32 v[106:107], v[100:101], v[88:89], v[104:105] op_sel:[0,0,1] op_sel_hi:[1,1,0] neg_lo:[0,0,1] neg_hi:[0,0,1]
	v_pk_fma_f32 v[100:101], v[100:101], v[88:89], v[104:105] op_sel:[0,0,1] op_sel_hi:[1,0,0]
	v_dual_mul_f32 v104, v103, v91 :: v_dual_mov_b32 v100, v103
	s_delay_alu instid0(VALU_DEP_2) | instskip(NEXT) | instid1(VALU_DEP_2)
	v_dual_mov_b32 v107, v101 :: v_dual_mov_b32 v101, v102
	v_pk_fma_f32 v[104:105], v[102:103], v[128:129], v[104:105] op_sel_hi:[1,1,0] neg_lo:[0,0,1] neg_hi:[0,0,1]
	v_mul_f32_e32 v102, v103, v88
	s_delay_alu instid0(VALU_DEP_3) | instskip(NEXT) | instid1(VALU_DEP_2)
	v_pk_add_f32 v[226:227], v[226:227], v[106:107] neg_lo:[0,1] neg_hi:[0,1]
	v_pk_fma_f32 v[100:101], v[100:101], v[128:129], v[102:103] op_sel_hi:[1,1,0]
	s_delay_alu instid0(VALU_DEP_1) | instskip(SKIP_4) | instid1(VALU_DEP_1)
	v_mov_b32_e32 v105, v101
	ds_load_2addr_b64 v[100:103], v202 offset0:55 offset1:56
	v_pk_add_f32 v[230:231], v[230:231], v[104:105] neg_lo:[0,1] neg_hi:[0,1]
	s_wait_dscnt 0x0
	v_pk_mul_f32 v[104:105], v[100:101], v[90:91] op_sel:[0,1]
	v_pk_fma_f32 v[106:107], v[100:101], v[88:89], v[104:105] op_sel:[0,0,1] op_sel_hi:[1,1,0] neg_lo:[0,0,1] neg_hi:[0,0,1]
	v_pk_fma_f32 v[100:101], v[100:101], v[88:89], v[104:105] op_sel:[0,0,1] op_sel_hi:[1,0,0]
	s_delay_alu instid0(VALU_DEP_1) | instskip(SKIP_1) | instid1(VALU_DEP_1)
	v_mov_b32_e32 v107, v101
	v_pk_mul_f32 v[100:101], v[102:103], v[90:91] op_sel:[0,1]
	v_pk_fma_f32 v[104:105], v[102:103], v[88:89], v[100:101] op_sel:[0,0,1] op_sel_hi:[1,1,0] neg_lo:[0,0,1] neg_hi:[0,0,1]
	v_pk_fma_f32 v[100:101], v[102:103], v[88:89], v[100:101] op_sel:[0,0,1] op_sel_hi:[1,0,0]
	s_delay_alu instid0(VALU_DEP_1)
	v_mov_b32_e32 v105, v101
	ds_load_2addr_b64 v[100:103], v202 offset0:57 offset1:58
	v_pk_add_f32 v[224:225], v[224:225], v[106:107] neg_lo:[0,1] neg_hi:[0,1]
	v_pk_add_f32 v[228:229], v[228:229], v[104:105] neg_lo:[0,1] neg_hi:[0,1]
	s_wait_dscnt 0x0
	v_pk_mul_f32 v[104:105], v[100:101], v[90:91] op_sel:[0,1]
	v_pk_mul_f32 v[90:91], v[102:103], v[90:91] op_sel:[0,1]
	s_delay_alu instid0(VALU_DEP_2) | instskip(SKIP_1) | instid1(VALU_DEP_1)
	v_pk_fma_f32 v[106:107], v[100:101], v[88:89], v[104:105] op_sel:[0,0,1] op_sel_hi:[1,1,0] neg_lo:[0,0,1] neg_hi:[0,0,1]
	v_pk_fma_f32 v[100:101], v[100:101], v[88:89], v[104:105] op_sel:[0,0,1] op_sel_hi:[1,0,0]
	v_mov_b32_e32 v107, v101
	s_delay_alu instid0(VALU_DEP_4) | instskip(SKIP_1) | instid1(VALU_DEP_1)
	v_pk_fma_f32 v[100:101], v[102:103], v[88:89], v[90:91] op_sel:[0,0,1] op_sel_hi:[1,1,0] neg_lo:[0,0,1] neg_hi:[0,0,1]
	v_pk_fma_f32 v[88:89], v[102:103], v[88:89], v[90:91] op_sel:[0,0,1] op_sel_hi:[1,0,0]
	v_mov_b32_e32 v101, v89
	s_delay_alu instid0(VALU_DEP_4) | instskip(NEXT) | instid1(VALU_DEP_2)
	v_pk_add_f32 v[234:235], v[234:235], v[106:107] neg_lo:[0,1] neg_hi:[0,1]
	v_pk_add_f32 v[236:237], v[236:237], v[100:101] neg_lo:[0,1] neg_hi:[0,1]
.LBB117_280:
	s_or_b32 exec_lo, exec_lo, s1
	s_delay_alu instid0(SALU_CYCLE_1)
	s_mov_b32 s2, exec_lo
	s_wait_dscnt 0x0
	s_barrier_signal -1
	s_barrier_wait -1
	v_cmpx_eq_u32_e32 31, v200
	s_cbranch_execz .LBB117_287
; %bb.281:
	v_dual_mov_b32 v88, v146 :: v_dual_mov_b32 v89, v147
	v_dual_mov_b32 v90, v142 :: v_dual_mov_b32 v91, v143
	ds_store_b64 v201, v[124:125]
	ds_store_2addr_b64 v202, v[88:89], v[90:91] offset0:32 offset1:33
	v_dual_mov_b32 v88, v144 :: v_dual_mov_b32 v89, v145
	v_dual_mov_b32 v90, v140 :: v_dual_mov_b32 v91, v141
	ds_store_2addr_b64 v202, v[88:89], v[90:91] offset0:34 offset1:35
	v_dual_mov_b32 v88, v162 :: v_dual_mov_b32 v89, v163
	v_dual_mov_b32 v90, v158 :: v_dual_mov_b32 v91, v159
	;; [unrolled: 3-line block ×12, first 2 shown]
	ds_store_2addr_b64 v202, v[88:89], v[90:91] offset0:56 offset1:57
	ds_store_b64 v202, v[236:237] offset:464
	ds_load_b64 v[88:89], v201
	s_wait_dscnt 0x0
	v_cmp_neq_f32_e32 vcc_lo, 0, v88
	v_cmp_neq_f32_e64 s1, 0, v89
	s_or_b32 s1, vcc_lo, s1
	s_delay_alu instid0(SALU_CYCLE_1)
	s_and_b32 exec_lo, exec_lo, s1
	s_cbranch_execz .LBB117_287
; %bb.282:
	v_cmp_ngt_f32_e64 s1, |v88|, |v89|
                                        ; implicit-def: $vgpr90_vgpr91
	s_and_saveexec_b32 s4, s1
	s_delay_alu instid0(SALU_CYCLE_1)
	s_xor_b32 s1, exec_lo, s4
	s_cbranch_execz .LBB117_284
; %bb.283:
	v_div_scale_f32 v90, null, v89, v89, v88
	v_div_scale_f32 v101, vcc_lo, v88, v89, v88
	s_delay_alu instid0(VALU_DEP_2) | instskip(SKIP_1) | instid1(TRANS32_DEP_1)
	v_rcp_f32_e32 v91, v90
	v_nop
	v_fma_f32 v100, -v90, v91, 1.0
	s_delay_alu instid0(VALU_DEP_1) | instskip(NEXT) | instid1(VALU_DEP_1)
	v_fmac_f32_e32 v91, v100, v91
	v_mul_f32_e32 v100, v101, v91
	s_delay_alu instid0(VALU_DEP_1) | instskip(NEXT) | instid1(VALU_DEP_1)
	v_fma_f32 v102, -v90, v100, v101
	v_fmac_f32_e32 v100, v102, v91
	s_delay_alu instid0(VALU_DEP_1) | instskip(NEXT) | instid1(VALU_DEP_1)
	v_fma_f32 v90, -v90, v100, v101
	v_div_fmas_f32 v90, v90, v91, v100
	s_delay_alu instid0(VALU_DEP_1) | instskip(NEXT) | instid1(VALU_DEP_1)
	v_div_fixup_f32 v90, v90, v89, v88
	v_fmac_f32_e32 v89, v88, v90
	s_delay_alu instid0(VALU_DEP_1) | instskip(SKIP_1) | instid1(VALU_DEP_2)
	v_div_scale_f32 v88, null, v89, v89, 1.0
	v_div_scale_f32 v101, vcc_lo, 1.0, v89, 1.0
	v_rcp_f32_e32 v91, v88
	v_nop
	s_delay_alu instid0(TRANS32_DEP_1) | instskip(NEXT) | instid1(VALU_DEP_1)
	v_fma_f32 v100, -v88, v91, 1.0
	v_fmac_f32_e32 v91, v100, v91
	s_delay_alu instid0(VALU_DEP_1) | instskip(NEXT) | instid1(VALU_DEP_1)
	v_mul_f32_e32 v100, v101, v91
	v_fma_f32 v102, -v88, v100, v101
	s_delay_alu instid0(VALU_DEP_1) | instskip(NEXT) | instid1(VALU_DEP_1)
	v_fmac_f32_e32 v100, v102, v91
	v_fma_f32 v88, -v88, v100, v101
	s_delay_alu instid0(VALU_DEP_1) | instskip(NEXT) | instid1(VALU_DEP_1)
	v_div_fmas_f32 v88, v88, v91, v100
	v_div_fixup_f32 v88, v88, v89, 1.0
	s_delay_alu instid0(VALU_DEP_1)
	v_mul_f32_e32 v90, v90, v88
	v_xor_b32_e32 v91, 0x80000000, v88
                                        ; implicit-def: $vgpr88_vgpr89
.LBB117_284:
	s_and_not1_saveexec_b32 s1, s1
	s_cbranch_execz .LBB117_286
; %bb.285:
	v_div_scale_f32 v90, null, v88, v88, v89
	v_div_scale_f32 v101, vcc_lo, v89, v88, v89
	s_delay_alu instid0(VALU_DEP_2) | instskip(SKIP_1) | instid1(TRANS32_DEP_1)
	v_rcp_f32_e32 v91, v90
	v_nop
	v_fma_f32 v100, -v90, v91, 1.0
	s_delay_alu instid0(VALU_DEP_1) | instskip(NEXT) | instid1(VALU_DEP_1)
	v_fmac_f32_e32 v91, v100, v91
	v_mul_f32_e32 v100, v101, v91
	s_delay_alu instid0(VALU_DEP_1) | instskip(NEXT) | instid1(VALU_DEP_1)
	v_fma_f32 v102, -v90, v100, v101
	v_fmac_f32_e32 v100, v102, v91
	s_delay_alu instid0(VALU_DEP_1) | instskip(NEXT) | instid1(VALU_DEP_1)
	v_fma_f32 v90, -v90, v100, v101
	v_div_fmas_f32 v90, v90, v91, v100
	s_delay_alu instid0(VALU_DEP_1) | instskip(NEXT) | instid1(VALU_DEP_1)
	v_div_fixup_f32 v91, v90, v88, v89
	v_fmac_f32_e32 v88, v89, v91
	s_delay_alu instid0(VALU_DEP_1) | instskip(NEXT) | instid1(VALU_DEP_1)
	v_div_scale_f32 v89, null, v88, v88, 1.0
	v_rcp_f32_e32 v90, v89
	v_nop
	s_delay_alu instid0(TRANS32_DEP_1) | instskip(NEXT) | instid1(VALU_DEP_1)
	v_fma_f32 v100, -v89, v90, 1.0
	v_fmac_f32_e32 v90, v100, v90
	v_div_scale_f32 v100, vcc_lo, 1.0, v88, 1.0
	s_delay_alu instid0(VALU_DEP_1) | instskip(NEXT) | instid1(VALU_DEP_1)
	v_mul_f32_e32 v101, v100, v90
	v_fma_f32 v102, -v89, v101, v100
	s_delay_alu instid0(VALU_DEP_1) | instskip(NEXT) | instid1(VALU_DEP_1)
	v_fmac_f32_e32 v101, v102, v90
	v_fma_f32 v89, -v89, v101, v100
	s_delay_alu instid0(VALU_DEP_1) | instskip(NEXT) | instid1(VALU_DEP_1)
	v_div_fmas_f32 v89, v89, v90, v101
	v_div_fixup_f32 v90, v89, v88, 1.0
	s_delay_alu instid0(VALU_DEP_1)
	v_mul_f32_e64 v91, v91, -v90
.LBB117_286:
	s_or_b32 exec_lo, exec_lo, s1
	ds_store_b64 v201, v[90:91]
.LBB117_287:
	s_or_b32 exec_lo, exec_lo, s2
	s_wait_dscnt 0x0
	s_barrier_signal -1
	s_barrier_wait -1
	ds_load_b64 v[88:89], v201
	s_mov_b32 s1, exec_lo
	v_cmpx_lt_u32_e32 31, v200
	s_cbranch_execz .LBB117_289
; %bb.288:
	ds_load_2addr_b64 v[102:105], v202 offset0:32 offset1:33
	s_wait_dscnt 0x1
	v_pk_mul_f32 v[100:101], v[88:89], v[124:125] op_sel:[1,1] op_sel_hi:[0,1]
	s_delay_alu instid0(VALU_DEP_1) | instskip(SKIP_1) | instid1(VALU_DEP_1)
	v_pk_fma_f32 v[90:91], v[88:89], v[124:125], v[100:101] op_sel_hi:[1,0,1] neg_lo:[0,0,1] neg_hi:[0,0,1]
	v_pk_fma_f32 v[100:101], v[88:89], v[124:125], v[100:101] op_sel_hi:[1,0,1]
	v_dual_mov_b32 v124, v90 :: v_dual_mov_b32 v125, v101
	s_wait_dscnt 0x0
	s_delay_alu instid0(VALU_DEP_2) | instskip(NEXT) | instid1(VALU_DEP_1)
	v_pk_mul_f32 v[106:107], v[102:103], v[100:101] op_sel:[0,1]
	v_pk_fma_f32 v[116:117], v[102:103], v[90:91], v[106:107] op_sel:[0,0,1] op_sel_hi:[1,1,0] neg_lo:[0,0,1] neg_hi:[0,0,1]
	v_pk_fma_f32 v[102:103], v[102:103], v[90:91], v[106:107] op_sel:[0,0,1] op_sel_hi:[1,0,0]
	s_delay_alu instid0(VALU_DEP_1) | instskip(SKIP_1) | instid1(VALU_DEP_1)
	v_mov_b32_e32 v117, v103
	v_pk_mul_f32 v[102:103], v[104:105], v[100:101] op_sel:[0,1]
	v_pk_fma_f32 v[106:107], v[104:105], v[90:91], v[102:103] op_sel:[0,0,1] op_sel_hi:[1,1,0] neg_lo:[0,0,1] neg_hi:[0,0,1]
	v_pk_fma_f32 v[102:103], v[104:105], v[90:91], v[102:103] op_sel:[0,0,1] op_sel_hi:[1,0,0]
	s_delay_alu instid0(VALU_DEP_1)
	v_mov_b32_e32 v107, v103
	ds_load_2addr_b64 v[102:105], v202 offset0:34 offset1:35
	v_pk_add_f32 v[146:147], v[146:147], v[116:117] neg_lo:[0,1] neg_hi:[0,1]
	v_pk_add_f32 v[142:143], v[142:143], v[106:107] neg_lo:[0,1] neg_hi:[0,1]
	s_wait_dscnt 0x0
	v_pk_mul_f32 v[106:107], v[102:103], v[100:101] op_sel:[0,1]
	s_delay_alu instid0(VALU_DEP_1) | instskip(SKIP_2) | instid1(VALU_DEP_2)
	v_pk_fma_f32 v[116:117], v[102:103], v[90:91], v[106:107] op_sel:[0,0,1] op_sel_hi:[1,1,0] neg_lo:[0,0,1] neg_hi:[0,0,1]
	v_pk_fma_f32 v[102:103], v[102:103], v[90:91], v[106:107] op_sel:[0,0,1] op_sel_hi:[1,0,0]
	v_dual_mul_f32 v106, v105, v101 :: v_dual_mov_b32 v102, v105
	v_dual_mov_b32 v117, v103 :: v_dual_mov_b32 v103, v104
	s_delay_alu instid0(VALU_DEP_2) | instskip(SKIP_1) | instid1(VALU_DEP_3)
	v_pk_fma_f32 v[106:107], v[104:105], v[124:125], v[106:107] op_sel_hi:[1,1,0] neg_lo:[0,0,1] neg_hi:[0,0,1]
	v_mul_f32_e32 v104, v105, v90
	v_pk_add_f32 v[144:145], v[144:145], v[116:117] neg_lo:[0,1] neg_hi:[0,1]
	s_delay_alu instid0(VALU_DEP_2) | instskip(NEXT) | instid1(VALU_DEP_1)
	v_pk_fma_f32 v[102:103], v[102:103], v[124:125], v[104:105] op_sel_hi:[1,1,0]
	v_mov_b32_e32 v107, v103
	ds_load_2addr_b64 v[102:105], v202 offset0:36 offset1:37
	v_pk_add_f32 v[140:141], v[140:141], v[106:107] neg_lo:[0,1] neg_hi:[0,1]
	s_wait_dscnt 0x0
	v_pk_mul_f32 v[106:107], v[102:103], v[100:101] op_sel:[0,1]
	s_delay_alu instid0(VALU_DEP_1) | instskip(SKIP_1) | instid1(VALU_DEP_1)
	v_pk_fma_f32 v[116:117], v[102:103], v[90:91], v[106:107] op_sel:[0,0,1] op_sel_hi:[1,1,0] neg_lo:[0,0,1] neg_hi:[0,0,1]
	v_pk_fma_f32 v[102:103], v[102:103], v[90:91], v[106:107] op_sel:[0,0,1] op_sel_hi:[1,0,0]
	v_mov_b32_e32 v117, v103
	v_pk_mul_f32 v[102:103], v[104:105], v[100:101] op_sel:[0,1]
	s_delay_alu instid0(VALU_DEP_1) | instskip(SKIP_1) | instid1(VALU_DEP_1)
	v_pk_fma_f32 v[106:107], v[104:105], v[90:91], v[102:103] op_sel:[0,0,1] op_sel_hi:[1,1,0] neg_lo:[0,0,1] neg_hi:[0,0,1]
	v_pk_fma_f32 v[102:103], v[104:105], v[90:91], v[102:103] op_sel:[0,0,1] op_sel_hi:[1,0,0]
	v_mov_b32_e32 v107, v103
	ds_load_2addr_b64 v[102:105], v202 offset0:38 offset1:39
	v_pk_add_f32 v[162:163], v[162:163], v[116:117] neg_lo:[0,1] neg_hi:[0,1]
	v_pk_add_f32 v[158:159], v[158:159], v[106:107] neg_lo:[0,1] neg_hi:[0,1]
	s_wait_dscnt 0x0
	v_pk_mul_f32 v[106:107], v[102:103], v[100:101] op_sel:[0,1]
	s_delay_alu instid0(VALU_DEP_1) | instskip(SKIP_1) | instid1(VALU_DEP_1)
	v_pk_fma_f32 v[116:117], v[102:103], v[90:91], v[106:107] op_sel:[0,0,1] op_sel_hi:[1,1,0] neg_lo:[0,0,1] neg_hi:[0,0,1]
	v_pk_fma_f32 v[102:103], v[102:103], v[90:91], v[106:107] op_sel:[0,0,1] op_sel_hi:[1,0,0]
	v_mov_b32_e32 v117, v103
	v_pk_mul_f32 v[102:103], v[104:105], v[100:101] op_sel:[0,1]
	s_delay_alu instid0(VALU_DEP_1) | instskip(SKIP_1) | instid1(VALU_DEP_1)
	v_pk_fma_f32 v[106:107], v[104:105], v[90:91], v[102:103] op_sel:[0,0,1] op_sel_hi:[1,1,0] neg_lo:[0,0,1] neg_hi:[0,0,1]
	v_pk_fma_f32 v[102:103], v[104:105], v[90:91], v[102:103] op_sel:[0,0,1] op_sel_hi:[1,0,0]
	v_mov_b32_e32 v107, v103
	ds_load_2addr_b64 v[102:105], v202 offset0:40 offset1:41
	v_pk_add_f32 v[160:161], v[160:161], v[116:117] neg_lo:[0,1] neg_hi:[0,1]
	v_pk_add_f32 v[156:157], v[156:157], v[106:107] neg_lo:[0,1] neg_hi:[0,1]
	s_wait_dscnt 0x0
	v_dual_mul_f32 v106, v103, v101 :: v_dual_mul_f32 v116, v103, v90
	s_delay_alu instid0(VALU_DEP_1) | instskip(NEXT) | instid1(VALU_DEP_2)
	v_pk_fma_f32 v[106:107], v[102:103], v[124:125], v[106:107] op_sel_hi:[1,1,0] neg_lo:[0,0,1] neg_hi:[0,0,1]
	v_pk_fma_f32 v[102:103], v[102:103], v[124:125], v[116:117] op_sel:[1,0,0] op_sel_hi:[0,1,0]
	s_delay_alu instid0(VALU_DEP_1) | instskip(SKIP_1) | instid1(VALU_DEP_2)
	v_mov_b32_e32 v107, v103
	v_pk_mul_f32 v[102:103], v[104:105], v[100:101] op_sel:[0,1]
	v_pk_add_f32 v[178:179], v[178:179], v[106:107] neg_lo:[0,1] neg_hi:[0,1]
	s_delay_alu instid0(VALU_DEP_2) | instskip(SKIP_1) | instid1(VALU_DEP_1)
	v_pk_fma_f32 v[106:107], v[104:105], v[90:91], v[102:103] op_sel:[0,0,1] op_sel_hi:[1,1,0] neg_lo:[0,0,1] neg_hi:[0,0,1]
	v_pk_fma_f32 v[102:103], v[104:105], v[90:91], v[102:103] op_sel:[0,0,1] op_sel_hi:[1,0,0]
	v_mov_b32_e32 v107, v103
	ds_load_2addr_b64 v[102:105], v202 offset0:42 offset1:43
	v_pk_add_f32 v[174:175], v[174:175], v[106:107] neg_lo:[0,1] neg_hi:[0,1]
	s_wait_dscnt 0x0
	v_pk_mul_f32 v[106:107], v[102:103], v[100:101] op_sel:[0,1]
	s_delay_alu instid0(VALU_DEP_1) | instskip(SKIP_1) | instid1(VALU_DEP_1)
	v_pk_fma_f32 v[116:117], v[102:103], v[90:91], v[106:107] op_sel:[0,0,1] op_sel_hi:[1,1,0] neg_lo:[0,0,1] neg_hi:[0,0,1]
	v_pk_fma_f32 v[102:103], v[102:103], v[90:91], v[106:107] op_sel:[0,0,1] op_sel_hi:[1,0,0]
	v_mov_b32_e32 v117, v103
	v_pk_mul_f32 v[102:103], v[104:105], v[100:101] op_sel:[0,1]
	s_delay_alu instid0(VALU_DEP_2) | instskip(NEXT) | instid1(VALU_DEP_2)
	v_pk_add_f32 v[176:177], v[176:177], v[116:117] neg_lo:[0,1] neg_hi:[0,1]
	v_pk_fma_f32 v[106:107], v[104:105], v[90:91], v[102:103] op_sel:[0,0,1] op_sel_hi:[1,1,0] neg_lo:[0,0,1] neg_hi:[0,0,1]
	v_pk_fma_f32 v[102:103], v[104:105], v[90:91], v[102:103] op_sel:[0,0,1] op_sel_hi:[1,0,0]
	s_delay_alu instid0(VALU_DEP_1) | instskip(SKIP_4) | instid1(VALU_DEP_1)
	v_mov_b32_e32 v107, v103
	ds_load_2addr_b64 v[102:105], v202 offset0:44 offset1:45
	v_pk_add_f32 v[172:173], v[172:173], v[106:107] neg_lo:[0,1] neg_hi:[0,1]
	s_wait_dscnt 0x0
	v_pk_mul_f32 v[106:107], v[102:103], v[100:101] op_sel:[0,1]
	v_pk_fma_f32 v[116:117], v[102:103], v[90:91], v[106:107] op_sel:[0,0,1] op_sel_hi:[1,1,0] neg_lo:[0,0,1] neg_hi:[0,0,1]
	v_pk_fma_f32 v[102:103], v[102:103], v[90:91], v[106:107] op_sel:[0,0,1] op_sel_hi:[1,0,0]
	v_dual_mul_f32 v106, v105, v101 :: v_dual_mov_b32 v102, v105
	s_delay_alu instid0(VALU_DEP_2) | instskip(NEXT) | instid1(VALU_DEP_2)
	v_dual_mov_b32 v117, v103 :: v_dual_mov_b32 v103, v104
	v_pk_fma_f32 v[106:107], v[104:105], v[124:125], v[106:107] op_sel_hi:[1,1,0] neg_lo:[0,0,1] neg_hi:[0,0,1]
	v_mul_f32_e32 v104, v105, v90
	s_delay_alu instid0(VALU_DEP_3) | instskip(NEXT) | instid1(VALU_DEP_2)
	v_pk_add_f32 v[194:195], v[194:195], v[116:117] neg_lo:[0,1] neg_hi:[0,1]
	v_pk_fma_f32 v[102:103], v[102:103], v[124:125], v[104:105] op_sel_hi:[1,1,0]
	s_delay_alu instid0(VALU_DEP_1) | instskip(SKIP_4) | instid1(VALU_DEP_1)
	v_mov_b32_e32 v107, v103
	ds_load_2addr_b64 v[102:105], v202 offset0:46 offset1:47
	v_pk_add_f32 v[190:191], v[190:191], v[106:107] neg_lo:[0,1] neg_hi:[0,1]
	s_wait_dscnt 0x0
	v_pk_mul_f32 v[106:107], v[102:103], v[100:101] op_sel:[0,1]
	v_pk_fma_f32 v[116:117], v[102:103], v[90:91], v[106:107] op_sel:[0,0,1] op_sel_hi:[1,1,0] neg_lo:[0,0,1] neg_hi:[0,0,1]
	v_pk_fma_f32 v[102:103], v[102:103], v[90:91], v[106:107] op_sel:[0,0,1] op_sel_hi:[1,0,0]
	s_delay_alu instid0(VALU_DEP_1) | instskip(SKIP_1) | instid1(VALU_DEP_1)
	v_mov_b32_e32 v117, v103
	v_pk_mul_f32 v[102:103], v[104:105], v[100:101] op_sel:[0,1]
	v_pk_fma_f32 v[106:107], v[104:105], v[90:91], v[102:103] op_sel:[0,0,1] op_sel_hi:[1,1,0] neg_lo:[0,0,1] neg_hi:[0,0,1]
	v_pk_fma_f32 v[102:103], v[104:105], v[90:91], v[102:103] op_sel:[0,0,1] op_sel_hi:[1,0,0]
	s_delay_alu instid0(VALU_DEP_1)
	v_mov_b32_e32 v107, v103
	ds_load_2addr_b64 v[102:105], v202 offset0:48 offset1:49
	v_pk_add_f32 v[192:193], v[192:193], v[116:117] neg_lo:[0,1] neg_hi:[0,1]
	v_pk_add_f32 v[188:189], v[188:189], v[106:107] neg_lo:[0,1] neg_hi:[0,1]
	s_wait_dscnt 0x0
	v_pk_mul_f32 v[106:107], v[102:103], v[100:101] op_sel:[0,1]
	s_delay_alu instid0(VALU_DEP_1) | instskip(SKIP_1) | instid1(VALU_DEP_1)
	v_pk_fma_f32 v[116:117], v[102:103], v[90:91], v[106:107] op_sel:[0,0,1] op_sel_hi:[1,1,0] neg_lo:[0,0,1] neg_hi:[0,0,1]
	v_pk_fma_f32 v[102:103], v[102:103], v[90:91], v[106:107] op_sel:[0,0,1] op_sel_hi:[1,0,0]
	v_mov_b32_e32 v117, v103
	v_pk_mul_f32 v[102:103], v[104:105], v[100:101] op_sel:[0,1]
	s_delay_alu instid0(VALU_DEP_1) | instskip(SKIP_1) | instid1(VALU_DEP_1)
	v_pk_fma_f32 v[106:107], v[104:105], v[90:91], v[102:103] op_sel:[0,0,1] op_sel_hi:[1,1,0] neg_lo:[0,0,1] neg_hi:[0,0,1]
	v_pk_fma_f32 v[102:103], v[104:105], v[90:91], v[102:103] op_sel:[0,0,1] op_sel_hi:[1,0,0]
	v_mov_b32_e32 v107, v103
	ds_load_2addr_b64 v[102:105], v202 offset0:50 offset1:51
	v_pk_add_f32 v[212:213], v[212:213], v[116:117] neg_lo:[0,1] neg_hi:[0,1]
	v_pk_add_f32 v[208:209], v[208:209], v[106:107] neg_lo:[0,1] neg_hi:[0,1]
	s_wait_dscnt 0x0
	v_dual_mul_f32 v106, v103, v101 :: v_dual_mul_f32 v116, v103, v90
	s_delay_alu instid0(VALU_DEP_1) | instskip(NEXT) | instid1(VALU_DEP_2)
	v_pk_fma_f32 v[106:107], v[102:103], v[124:125], v[106:107] op_sel_hi:[1,1,0] neg_lo:[0,0,1] neg_hi:[0,0,1]
	v_pk_fma_f32 v[102:103], v[102:103], v[124:125], v[116:117] op_sel:[1,0,0] op_sel_hi:[0,1,0]
	s_delay_alu instid0(VALU_DEP_1) | instskip(SKIP_1) | instid1(VALU_DEP_2)
	v_mov_b32_e32 v107, v103
	v_pk_mul_f32 v[102:103], v[104:105], v[100:101] op_sel:[0,1]
	v_pk_add_f32 v[210:211], v[210:211], v[106:107] neg_lo:[0,1] neg_hi:[0,1]
	s_delay_alu instid0(VALU_DEP_2) | instskip(SKIP_1) | instid1(VALU_DEP_1)
	v_pk_fma_f32 v[106:107], v[104:105], v[90:91], v[102:103] op_sel:[0,0,1] op_sel_hi:[1,1,0] neg_lo:[0,0,1] neg_hi:[0,0,1]
	v_pk_fma_f32 v[102:103], v[104:105], v[90:91], v[102:103] op_sel:[0,0,1] op_sel_hi:[1,0,0]
	v_mov_b32_e32 v107, v103
	ds_load_2addr_b64 v[102:105], v202 offset0:52 offset1:53
	v_pk_add_f32 v[206:207], v[206:207], v[106:107] neg_lo:[0,1] neg_hi:[0,1]
	s_wait_dscnt 0x0
	v_pk_mul_f32 v[106:107], v[102:103], v[100:101] op_sel:[0,1]
	s_delay_alu instid0(VALU_DEP_1) | instskip(SKIP_1) | instid1(VALU_DEP_1)
	v_pk_fma_f32 v[116:117], v[102:103], v[90:91], v[106:107] op_sel:[0,0,1] op_sel_hi:[1,1,0] neg_lo:[0,0,1] neg_hi:[0,0,1]
	v_pk_fma_f32 v[102:103], v[102:103], v[90:91], v[106:107] op_sel:[0,0,1] op_sel_hi:[1,0,0]
	v_mov_b32_e32 v117, v103
	v_pk_mul_f32 v[102:103], v[104:105], v[100:101] op_sel:[0,1]
	s_delay_alu instid0(VALU_DEP_2) | instskip(NEXT) | instid1(VALU_DEP_2)
	v_pk_add_f32 v[232:233], v[232:233], v[116:117] neg_lo:[0,1] neg_hi:[0,1]
	v_pk_fma_f32 v[106:107], v[104:105], v[90:91], v[102:103] op_sel:[0,0,1] op_sel_hi:[1,1,0] neg_lo:[0,0,1] neg_hi:[0,0,1]
	v_pk_fma_f32 v[102:103], v[104:105], v[90:91], v[102:103] op_sel:[0,0,1] op_sel_hi:[1,0,0]
	s_delay_alu instid0(VALU_DEP_1) | instskip(SKIP_4) | instid1(VALU_DEP_1)
	v_mov_b32_e32 v107, v103
	ds_load_2addr_b64 v[102:105], v202 offset0:54 offset1:55
	v_pk_add_f32 v[226:227], v[226:227], v[106:107] neg_lo:[0,1] neg_hi:[0,1]
	s_wait_dscnt 0x0
	v_pk_mul_f32 v[106:107], v[102:103], v[100:101] op_sel:[0,1]
	v_pk_fma_f32 v[116:117], v[102:103], v[90:91], v[106:107] op_sel:[0,0,1] op_sel_hi:[1,1,0] neg_lo:[0,0,1] neg_hi:[0,0,1]
	v_pk_fma_f32 v[102:103], v[102:103], v[90:91], v[106:107] op_sel:[0,0,1] op_sel_hi:[1,0,0]
	v_dual_mul_f32 v106, v105, v101 :: v_dual_mov_b32 v102, v105
	s_delay_alu instid0(VALU_DEP_2) | instskip(NEXT) | instid1(VALU_DEP_2)
	v_dual_mov_b32 v117, v103 :: v_dual_mov_b32 v103, v104
	v_pk_fma_f32 v[106:107], v[104:105], v[124:125], v[106:107] op_sel_hi:[1,1,0] neg_lo:[0,0,1] neg_hi:[0,0,1]
	v_mul_f32_e32 v104, v105, v90
	s_delay_alu instid0(VALU_DEP_3) | instskip(NEXT) | instid1(VALU_DEP_2)
	v_pk_add_f32 v[230:231], v[230:231], v[116:117] neg_lo:[0,1] neg_hi:[0,1]
	v_pk_fma_f32 v[102:103], v[102:103], v[124:125], v[104:105] op_sel_hi:[1,1,0]
	s_delay_alu instid0(VALU_DEP_1) | instskip(SKIP_4) | instid1(VALU_DEP_1)
	v_mov_b32_e32 v107, v103
	ds_load_2addr_b64 v[102:105], v202 offset0:56 offset1:57
	v_pk_add_f32 v[224:225], v[224:225], v[106:107] neg_lo:[0,1] neg_hi:[0,1]
	s_wait_dscnt 0x0
	v_pk_mul_f32 v[106:107], v[102:103], v[100:101] op_sel:[0,1]
	v_pk_fma_f32 v[116:117], v[102:103], v[90:91], v[106:107] op_sel:[0,0,1] op_sel_hi:[1,1,0] neg_lo:[0,0,1] neg_hi:[0,0,1]
	v_pk_fma_f32 v[102:103], v[102:103], v[90:91], v[106:107] op_sel:[0,0,1] op_sel_hi:[1,0,0]
	s_delay_alu instid0(VALU_DEP_1) | instskip(SKIP_1) | instid1(VALU_DEP_1)
	v_mov_b32_e32 v117, v103
	v_pk_mul_f32 v[102:103], v[104:105], v[100:101] op_sel:[0,1]
	v_pk_fma_f32 v[106:107], v[104:105], v[90:91], v[102:103] op_sel:[0,0,1] op_sel_hi:[1,1,0] neg_lo:[0,0,1] neg_hi:[0,0,1]
	v_pk_fma_f32 v[102:103], v[104:105], v[90:91], v[102:103] op_sel:[0,0,1] op_sel_hi:[1,0,0]
	s_delay_alu instid0(VALU_DEP_1)
	v_mov_b32_e32 v107, v103
	ds_load_b64 v[102:103], v202 offset:464
	v_pk_add_f32 v[228:229], v[228:229], v[116:117] neg_lo:[0,1] neg_hi:[0,1]
	v_pk_add_f32 v[234:235], v[234:235], v[106:107] neg_lo:[0,1] neg_hi:[0,1]
	s_wait_dscnt 0x0
	v_pk_mul_f32 v[100:101], v[102:103], v[100:101] op_sel:[0,1]
	s_delay_alu instid0(VALU_DEP_1) | instskip(SKIP_1) | instid1(VALU_DEP_1)
	v_pk_fma_f32 v[104:105], v[102:103], v[90:91], v[100:101] op_sel:[0,0,1] op_sel_hi:[1,1,0] neg_lo:[0,0,1] neg_hi:[0,0,1]
	v_pk_fma_f32 v[90:91], v[102:103], v[90:91], v[100:101] op_sel:[0,0,1] op_sel_hi:[1,0,0]
	v_mov_b32_e32 v105, v91
	s_delay_alu instid0(VALU_DEP_1)
	v_pk_add_f32 v[236:237], v[236:237], v[104:105] neg_lo:[0,1] neg_hi:[0,1]
.LBB117_289:
	s_or_b32 exec_lo, exec_lo, s1
	s_delay_alu instid0(SALU_CYCLE_1)
	s_mov_b32 s2, exec_lo
	s_wait_dscnt 0x0
	s_barrier_signal -1
	s_barrier_wait -1
	v_cmpx_eq_u32_e32 32, v200
	s_cbranch_execz .LBB117_296
; %bb.290:
	ds_store_b64 v201, v[146:147]
	ds_store_2addr_b64 v202, v[142:143], v[144:145] offset0:33 offset1:34
	ds_store_2addr_b64 v202, v[140:141], v[162:163] offset0:35 offset1:36
	;; [unrolled: 1-line block ×13, first 2 shown]
	ds_load_b64 v[90:91], v201
	s_wait_dscnt 0x0
	v_cmp_neq_f32_e32 vcc_lo, 0, v90
	v_cmp_neq_f32_e64 s1, 0, v91
	s_or_b32 s1, vcc_lo, s1
	s_delay_alu instid0(SALU_CYCLE_1)
	s_and_b32 exec_lo, exec_lo, s1
	s_cbranch_execz .LBB117_296
; %bb.291:
	v_cmp_ngt_f32_e64 s1, |v90|, |v91|
                                        ; implicit-def: $vgpr100_vgpr101
	s_and_saveexec_b32 s4, s1
	s_delay_alu instid0(SALU_CYCLE_1)
	s_xor_b32 s1, exec_lo, s4
	s_cbranch_execz .LBB117_293
; %bb.292:
	v_div_scale_f32 v100, null, v91, v91, v90
	v_div_scale_f32 v103, vcc_lo, v90, v91, v90
	s_delay_alu instid0(VALU_DEP_2) | instskip(SKIP_1) | instid1(TRANS32_DEP_1)
	v_rcp_f32_e32 v101, v100
	v_nop
	v_fma_f32 v102, -v100, v101, 1.0
	s_delay_alu instid0(VALU_DEP_1) | instskip(NEXT) | instid1(VALU_DEP_1)
	v_fmac_f32_e32 v101, v102, v101
	v_mul_f32_e32 v102, v103, v101
	s_delay_alu instid0(VALU_DEP_1) | instskip(NEXT) | instid1(VALU_DEP_1)
	v_fma_f32 v104, -v100, v102, v103
	v_fmac_f32_e32 v102, v104, v101
	s_delay_alu instid0(VALU_DEP_1) | instskip(NEXT) | instid1(VALU_DEP_1)
	v_fma_f32 v100, -v100, v102, v103
	v_div_fmas_f32 v100, v100, v101, v102
	s_delay_alu instid0(VALU_DEP_1) | instskip(NEXT) | instid1(VALU_DEP_1)
	v_div_fixup_f32 v100, v100, v91, v90
	v_fmac_f32_e32 v91, v90, v100
	s_delay_alu instid0(VALU_DEP_1) | instskip(SKIP_1) | instid1(VALU_DEP_2)
	v_div_scale_f32 v90, null, v91, v91, 1.0
	v_div_scale_f32 v103, vcc_lo, 1.0, v91, 1.0
	v_rcp_f32_e32 v101, v90
	v_nop
	s_delay_alu instid0(TRANS32_DEP_1) | instskip(NEXT) | instid1(VALU_DEP_1)
	v_fma_f32 v102, -v90, v101, 1.0
	v_fmac_f32_e32 v101, v102, v101
	s_delay_alu instid0(VALU_DEP_1) | instskip(NEXT) | instid1(VALU_DEP_1)
	v_mul_f32_e32 v102, v103, v101
	v_fma_f32 v104, -v90, v102, v103
	s_delay_alu instid0(VALU_DEP_1) | instskip(NEXT) | instid1(VALU_DEP_1)
	v_fmac_f32_e32 v102, v104, v101
	v_fma_f32 v90, -v90, v102, v103
	s_delay_alu instid0(VALU_DEP_1) | instskip(NEXT) | instid1(VALU_DEP_1)
	v_div_fmas_f32 v90, v90, v101, v102
	v_div_fixup_f32 v90, v90, v91, 1.0
	s_delay_alu instid0(VALU_DEP_1)
	v_mul_f32_e32 v100, v100, v90
	v_xor_b32_e32 v101, 0x80000000, v90
                                        ; implicit-def: $vgpr90_vgpr91
.LBB117_293:
	s_and_not1_saveexec_b32 s1, s1
	s_cbranch_execz .LBB117_295
; %bb.294:
	v_div_scale_f32 v100, null, v90, v90, v91
	v_div_scale_f32 v103, vcc_lo, v91, v90, v91
	s_delay_alu instid0(VALU_DEP_2) | instskip(SKIP_1) | instid1(TRANS32_DEP_1)
	v_rcp_f32_e32 v101, v100
	v_nop
	v_fma_f32 v102, -v100, v101, 1.0
	s_delay_alu instid0(VALU_DEP_1) | instskip(NEXT) | instid1(VALU_DEP_1)
	v_fmac_f32_e32 v101, v102, v101
	v_mul_f32_e32 v102, v103, v101
	s_delay_alu instid0(VALU_DEP_1) | instskip(NEXT) | instid1(VALU_DEP_1)
	v_fma_f32 v104, -v100, v102, v103
	v_fmac_f32_e32 v102, v104, v101
	s_delay_alu instid0(VALU_DEP_1) | instskip(NEXT) | instid1(VALU_DEP_1)
	v_fma_f32 v100, -v100, v102, v103
	v_div_fmas_f32 v100, v100, v101, v102
	s_delay_alu instid0(VALU_DEP_1) | instskip(NEXT) | instid1(VALU_DEP_1)
	v_div_fixup_f32 v101, v100, v90, v91
	v_fmac_f32_e32 v90, v91, v101
	s_delay_alu instid0(VALU_DEP_1) | instskip(NEXT) | instid1(VALU_DEP_1)
	v_div_scale_f32 v91, null, v90, v90, 1.0
	v_rcp_f32_e32 v100, v91
	v_nop
	s_delay_alu instid0(TRANS32_DEP_1) | instskip(NEXT) | instid1(VALU_DEP_1)
	v_fma_f32 v102, -v91, v100, 1.0
	v_fmac_f32_e32 v100, v102, v100
	v_div_scale_f32 v102, vcc_lo, 1.0, v90, 1.0
	s_delay_alu instid0(VALU_DEP_1) | instskip(NEXT) | instid1(VALU_DEP_1)
	v_mul_f32_e32 v103, v102, v100
	v_fma_f32 v104, -v91, v103, v102
	s_delay_alu instid0(VALU_DEP_1) | instskip(NEXT) | instid1(VALU_DEP_1)
	v_fmac_f32_e32 v103, v104, v100
	v_fma_f32 v91, -v91, v103, v102
	s_delay_alu instid0(VALU_DEP_1) | instskip(NEXT) | instid1(VALU_DEP_1)
	v_div_fmas_f32 v91, v91, v100, v103
	v_div_fixup_f32 v100, v91, v90, 1.0
	s_delay_alu instid0(VALU_DEP_1)
	v_mul_f32_e64 v101, v101, -v100
.LBB117_295:
	s_or_b32 exec_lo, exec_lo, s1
	ds_store_b64 v201, v[100:101]
.LBB117_296:
	s_or_b32 exec_lo, exec_lo, s2
	s_wait_dscnt 0x0
	s_barrier_signal -1
	s_barrier_wait -1
	ds_load_b64 v[90:91], v201
	s_mov_b32 s1, exec_lo
	v_cmpx_lt_u32_e32 32, v200
	s_cbranch_execz .LBB117_298
; %bb.297:
	ds_load_2addr_b64 v[104:107], v202 offset0:33 offset1:34
	s_wait_dscnt 0x1
	v_pk_mul_f32 v[102:103], v[90:91], v[146:147] op_sel:[1,1] op_sel_hi:[0,1]
	s_delay_alu instid0(VALU_DEP_1) | instskip(SKIP_1) | instid1(VALU_DEP_1)
	v_pk_fma_f32 v[100:101], v[90:91], v[146:147], v[102:103] op_sel_hi:[1,0,1] neg_lo:[0,0,1] neg_hi:[0,0,1]
	v_pk_fma_f32 v[102:103], v[90:91], v[146:147], v[102:103] op_sel_hi:[1,0,1]
	v_dual_mov_b32 v146, v100 :: v_dual_mov_b32 v147, v103
	s_wait_dscnt 0x0
	s_delay_alu instid0(VALU_DEP_2) | instskip(NEXT) | instid1(VALU_DEP_1)
	v_pk_mul_f32 v[116:117], v[104:105], v[102:103] op_sel:[0,1]
	v_pk_fma_f32 v[118:119], v[104:105], v[100:101], v[116:117] op_sel:[0,0,1] op_sel_hi:[1,1,0] neg_lo:[0,0,1] neg_hi:[0,0,1]
	v_pk_fma_f32 v[104:105], v[104:105], v[100:101], v[116:117] op_sel:[0,0,1] op_sel_hi:[1,0,0]
	s_delay_alu instid0(VALU_DEP_1) | instskip(SKIP_1) | instid1(VALU_DEP_1)
	v_mov_b32_e32 v119, v105
	v_pk_mul_f32 v[104:105], v[106:107], v[102:103] op_sel:[0,1]
	v_pk_fma_f32 v[116:117], v[106:107], v[100:101], v[104:105] op_sel:[0,0,1] op_sel_hi:[1,1,0] neg_lo:[0,0,1] neg_hi:[0,0,1]
	v_pk_fma_f32 v[104:105], v[106:107], v[100:101], v[104:105] op_sel:[0,0,1] op_sel_hi:[1,0,0]
	s_delay_alu instid0(VALU_DEP_1)
	v_mov_b32_e32 v117, v105
	ds_load_2addr_b64 v[104:107], v202 offset0:35 offset1:36
	v_pk_add_f32 v[142:143], v[142:143], v[118:119] neg_lo:[0,1] neg_hi:[0,1]
	v_pk_add_f32 v[144:145], v[144:145], v[116:117] neg_lo:[0,1] neg_hi:[0,1]
	s_wait_dscnt 0x0
	v_pk_mul_f32 v[116:117], v[104:105], v[102:103] op_sel:[0,1]
	s_delay_alu instid0(VALU_DEP_1) | instskip(SKIP_2) | instid1(VALU_DEP_2)
	v_pk_fma_f32 v[118:119], v[104:105], v[100:101], v[116:117] op_sel:[0,0,1] op_sel_hi:[1,1,0] neg_lo:[0,0,1] neg_hi:[0,0,1]
	v_pk_fma_f32 v[104:105], v[104:105], v[100:101], v[116:117] op_sel:[0,0,1] op_sel_hi:[1,0,0]
	v_dual_mul_f32 v116, v107, v103 :: v_dual_mov_b32 v104, v107
	v_dual_mov_b32 v119, v105 :: v_dual_mov_b32 v105, v106
	s_delay_alu instid0(VALU_DEP_2) | instskip(SKIP_1) | instid1(VALU_DEP_3)
	v_pk_fma_f32 v[116:117], v[106:107], v[146:147], v[116:117] op_sel_hi:[1,1,0] neg_lo:[0,0,1] neg_hi:[0,0,1]
	v_mul_f32_e32 v106, v107, v100
	v_pk_add_f32 v[140:141], v[140:141], v[118:119] neg_lo:[0,1] neg_hi:[0,1]
	s_delay_alu instid0(VALU_DEP_2) | instskip(NEXT) | instid1(VALU_DEP_1)
	v_pk_fma_f32 v[104:105], v[104:105], v[146:147], v[106:107] op_sel_hi:[1,1,0]
	v_mov_b32_e32 v117, v105
	ds_load_2addr_b64 v[104:107], v202 offset0:37 offset1:38
	v_pk_add_f32 v[162:163], v[162:163], v[116:117] neg_lo:[0,1] neg_hi:[0,1]
	s_wait_dscnt 0x0
	v_pk_mul_f32 v[116:117], v[104:105], v[102:103] op_sel:[0,1]
	s_delay_alu instid0(VALU_DEP_1) | instskip(SKIP_1) | instid1(VALU_DEP_1)
	v_pk_fma_f32 v[118:119], v[104:105], v[100:101], v[116:117] op_sel:[0,0,1] op_sel_hi:[1,1,0] neg_lo:[0,0,1] neg_hi:[0,0,1]
	v_pk_fma_f32 v[104:105], v[104:105], v[100:101], v[116:117] op_sel:[0,0,1] op_sel_hi:[1,0,0]
	v_mov_b32_e32 v119, v105
	v_pk_mul_f32 v[104:105], v[106:107], v[102:103] op_sel:[0,1]
	s_delay_alu instid0(VALU_DEP_1) | instskip(SKIP_1) | instid1(VALU_DEP_1)
	v_pk_fma_f32 v[116:117], v[106:107], v[100:101], v[104:105] op_sel:[0,0,1] op_sel_hi:[1,1,0] neg_lo:[0,0,1] neg_hi:[0,0,1]
	v_pk_fma_f32 v[104:105], v[106:107], v[100:101], v[104:105] op_sel:[0,0,1] op_sel_hi:[1,0,0]
	v_mov_b32_e32 v117, v105
	ds_load_2addr_b64 v[104:107], v202 offset0:39 offset1:40
	v_pk_add_f32 v[158:159], v[158:159], v[118:119] neg_lo:[0,1] neg_hi:[0,1]
	v_pk_add_f32 v[160:161], v[160:161], v[116:117] neg_lo:[0,1] neg_hi:[0,1]
	s_wait_dscnt 0x0
	v_pk_mul_f32 v[116:117], v[104:105], v[102:103] op_sel:[0,1]
	s_delay_alu instid0(VALU_DEP_1) | instskip(SKIP_1) | instid1(VALU_DEP_1)
	v_pk_fma_f32 v[118:119], v[104:105], v[100:101], v[116:117] op_sel:[0,0,1] op_sel_hi:[1,1,0] neg_lo:[0,0,1] neg_hi:[0,0,1]
	v_pk_fma_f32 v[104:105], v[104:105], v[100:101], v[116:117] op_sel:[0,0,1] op_sel_hi:[1,0,0]
	v_mov_b32_e32 v119, v105
	v_pk_mul_f32 v[104:105], v[106:107], v[102:103] op_sel:[0,1]
	s_delay_alu instid0(VALU_DEP_1) | instskip(SKIP_1) | instid1(VALU_DEP_1)
	v_pk_fma_f32 v[116:117], v[106:107], v[100:101], v[104:105] op_sel:[0,0,1] op_sel_hi:[1,1,0] neg_lo:[0,0,1] neg_hi:[0,0,1]
	v_pk_fma_f32 v[104:105], v[106:107], v[100:101], v[104:105] op_sel:[0,0,1] op_sel_hi:[1,0,0]
	v_mov_b32_e32 v117, v105
	ds_load_2addr_b64 v[104:107], v202 offset0:41 offset1:42
	v_pk_add_f32 v[156:157], v[156:157], v[118:119] neg_lo:[0,1] neg_hi:[0,1]
	v_pk_add_f32 v[178:179], v[178:179], v[116:117] neg_lo:[0,1] neg_hi:[0,1]
	s_wait_dscnt 0x0
	v_dual_mul_f32 v116, v105, v103 :: v_dual_mul_f32 v118, v105, v100
	s_delay_alu instid0(VALU_DEP_1) | instskip(NEXT) | instid1(VALU_DEP_2)
	v_pk_fma_f32 v[116:117], v[104:105], v[146:147], v[116:117] op_sel_hi:[1,1,0] neg_lo:[0,0,1] neg_hi:[0,0,1]
	v_pk_fma_f32 v[104:105], v[104:105], v[146:147], v[118:119] op_sel:[1,0,0] op_sel_hi:[0,1,0]
	s_delay_alu instid0(VALU_DEP_1) | instskip(SKIP_1) | instid1(VALU_DEP_2)
	v_mov_b32_e32 v117, v105
	v_pk_mul_f32 v[104:105], v[106:107], v[102:103] op_sel:[0,1]
	v_pk_add_f32 v[174:175], v[174:175], v[116:117] neg_lo:[0,1] neg_hi:[0,1]
	s_delay_alu instid0(VALU_DEP_2) | instskip(SKIP_1) | instid1(VALU_DEP_1)
	v_pk_fma_f32 v[116:117], v[106:107], v[100:101], v[104:105] op_sel:[0,0,1] op_sel_hi:[1,1,0] neg_lo:[0,0,1] neg_hi:[0,0,1]
	v_pk_fma_f32 v[104:105], v[106:107], v[100:101], v[104:105] op_sel:[0,0,1] op_sel_hi:[1,0,0]
	v_mov_b32_e32 v117, v105
	ds_load_2addr_b64 v[104:107], v202 offset0:43 offset1:44
	v_pk_add_f32 v[176:177], v[176:177], v[116:117] neg_lo:[0,1] neg_hi:[0,1]
	s_wait_dscnt 0x0
	v_pk_mul_f32 v[116:117], v[104:105], v[102:103] op_sel:[0,1]
	s_delay_alu instid0(VALU_DEP_1) | instskip(SKIP_1) | instid1(VALU_DEP_1)
	v_pk_fma_f32 v[118:119], v[104:105], v[100:101], v[116:117] op_sel:[0,0,1] op_sel_hi:[1,1,0] neg_lo:[0,0,1] neg_hi:[0,0,1]
	v_pk_fma_f32 v[104:105], v[104:105], v[100:101], v[116:117] op_sel:[0,0,1] op_sel_hi:[1,0,0]
	v_mov_b32_e32 v119, v105
	v_pk_mul_f32 v[104:105], v[106:107], v[102:103] op_sel:[0,1]
	s_delay_alu instid0(VALU_DEP_2) | instskip(NEXT) | instid1(VALU_DEP_2)
	v_pk_add_f32 v[172:173], v[172:173], v[118:119] neg_lo:[0,1] neg_hi:[0,1]
	v_pk_fma_f32 v[116:117], v[106:107], v[100:101], v[104:105] op_sel:[0,0,1] op_sel_hi:[1,1,0] neg_lo:[0,0,1] neg_hi:[0,0,1]
	v_pk_fma_f32 v[104:105], v[106:107], v[100:101], v[104:105] op_sel:[0,0,1] op_sel_hi:[1,0,0]
	s_delay_alu instid0(VALU_DEP_1) | instskip(SKIP_4) | instid1(VALU_DEP_1)
	v_mov_b32_e32 v117, v105
	ds_load_2addr_b64 v[104:107], v202 offset0:45 offset1:46
	v_pk_add_f32 v[194:195], v[194:195], v[116:117] neg_lo:[0,1] neg_hi:[0,1]
	s_wait_dscnt 0x0
	v_pk_mul_f32 v[116:117], v[104:105], v[102:103] op_sel:[0,1]
	v_pk_fma_f32 v[118:119], v[104:105], v[100:101], v[116:117] op_sel:[0,0,1] op_sel_hi:[1,1,0] neg_lo:[0,0,1] neg_hi:[0,0,1]
	v_pk_fma_f32 v[104:105], v[104:105], v[100:101], v[116:117] op_sel:[0,0,1] op_sel_hi:[1,0,0]
	v_dual_mul_f32 v116, v107, v103 :: v_dual_mov_b32 v104, v107
	s_delay_alu instid0(VALU_DEP_2) | instskip(NEXT) | instid1(VALU_DEP_2)
	v_dual_mov_b32 v119, v105 :: v_dual_mov_b32 v105, v106
	v_pk_fma_f32 v[116:117], v[106:107], v[146:147], v[116:117] op_sel_hi:[1,1,0] neg_lo:[0,0,1] neg_hi:[0,0,1]
	v_mul_f32_e32 v106, v107, v100
	s_delay_alu instid0(VALU_DEP_3) | instskip(NEXT) | instid1(VALU_DEP_2)
	v_pk_add_f32 v[190:191], v[190:191], v[118:119] neg_lo:[0,1] neg_hi:[0,1]
	v_pk_fma_f32 v[104:105], v[104:105], v[146:147], v[106:107] op_sel_hi:[1,1,0]
	s_delay_alu instid0(VALU_DEP_1) | instskip(SKIP_4) | instid1(VALU_DEP_1)
	v_mov_b32_e32 v117, v105
	ds_load_2addr_b64 v[104:107], v202 offset0:47 offset1:48
	v_pk_add_f32 v[192:193], v[192:193], v[116:117] neg_lo:[0,1] neg_hi:[0,1]
	s_wait_dscnt 0x0
	v_pk_mul_f32 v[116:117], v[104:105], v[102:103] op_sel:[0,1]
	v_pk_fma_f32 v[118:119], v[104:105], v[100:101], v[116:117] op_sel:[0,0,1] op_sel_hi:[1,1,0] neg_lo:[0,0,1] neg_hi:[0,0,1]
	v_pk_fma_f32 v[104:105], v[104:105], v[100:101], v[116:117] op_sel:[0,0,1] op_sel_hi:[1,0,0]
	s_delay_alu instid0(VALU_DEP_1) | instskip(SKIP_1) | instid1(VALU_DEP_1)
	v_mov_b32_e32 v119, v105
	v_pk_mul_f32 v[104:105], v[106:107], v[102:103] op_sel:[0,1]
	v_pk_fma_f32 v[116:117], v[106:107], v[100:101], v[104:105] op_sel:[0,0,1] op_sel_hi:[1,1,0] neg_lo:[0,0,1] neg_hi:[0,0,1]
	v_pk_fma_f32 v[104:105], v[106:107], v[100:101], v[104:105] op_sel:[0,0,1] op_sel_hi:[1,0,0]
	s_delay_alu instid0(VALU_DEP_1)
	v_mov_b32_e32 v117, v105
	ds_load_2addr_b64 v[104:107], v202 offset0:49 offset1:50
	v_pk_add_f32 v[188:189], v[188:189], v[118:119] neg_lo:[0,1] neg_hi:[0,1]
	v_pk_add_f32 v[212:213], v[212:213], v[116:117] neg_lo:[0,1] neg_hi:[0,1]
	s_wait_dscnt 0x0
	v_pk_mul_f32 v[116:117], v[104:105], v[102:103] op_sel:[0,1]
	s_delay_alu instid0(VALU_DEP_1) | instskip(SKIP_1) | instid1(VALU_DEP_1)
	v_pk_fma_f32 v[118:119], v[104:105], v[100:101], v[116:117] op_sel:[0,0,1] op_sel_hi:[1,1,0] neg_lo:[0,0,1] neg_hi:[0,0,1]
	v_pk_fma_f32 v[104:105], v[104:105], v[100:101], v[116:117] op_sel:[0,0,1] op_sel_hi:[1,0,0]
	v_mov_b32_e32 v119, v105
	v_pk_mul_f32 v[104:105], v[106:107], v[102:103] op_sel:[0,1]
	s_delay_alu instid0(VALU_DEP_1) | instskip(SKIP_1) | instid1(VALU_DEP_1)
	v_pk_fma_f32 v[116:117], v[106:107], v[100:101], v[104:105] op_sel:[0,0,1] op_sel_hi:[1,1,0] neg_lo:[0,0,1] neg_hi:[0,0,1]
	v_pk_fma_f32 v[104:105], v[106:107], v[100:101], v[104:105] op_sel:[0,0,1] op_sel_hi:[1,0,0]
	v_mov_b32_e32 v117, v105
	ds_load_2addr_b64 v[104:107], v202 offset0:51 offset1:52
	v_pk_add_f32 v[208:209], v[208:209], v[118:119] neg_lo:[0,1] neg_hi:[0,1]
	v_pk_add_f32 v[210:211], v[210:211], v[116:117] neg_lo:[0,1] neg_hi:[0,1]
	s_wait_dscnt 0x0
	v_dual_mul_f32 v116, v105, v103 :: v_dual_mul_f32 v118, v105, v100
	s_delay_alu instid0(VALU_DEP_1) | instskip(NEXT) | instid1(VALU_DEP_2)
	v_pk_fma_f32 v[116:117], v[104:105], v[146:147], v[116:117] op_sel_hi:[1,1,0] neg_lo:[0,0,1] neg_hi:[0,0,1]
	v_pk_fma_f32 v[104:105], v[104:105], v[146:147], v[118:119] op_sel:[1,0,0] op_sel_hi:[0,1,0]
	s_delay_alu instid0(VALU_DEP_1) | instskip(SKIP_1) | instid1(VALU_DEP_2)
	v_mov_b32_e32 v117, v105
	v_pk_mul_f32 v[104:105], v[106:107], v[102:103] op_sel:[0,1]
	v_pk_add_f32 v[206:207], v[206:207], v[116:117] neg_lo:[0,1] neg_hi:[0,1]
	s_delay_alu instid0(VALU_DEP_2) | instskip(SKIP_1) | instid1(VALU_DEP_1)
	v_pk_fma_f32 v[116:117], v[106:107], v[100:101], v[104:105] op_sel:[0,0,1] op_sel_hi:[1,1,0] neg_lo:[0,0,1] neg_hi:[0,0,1]
	v_pk_fma_f32 v[104:105], v[106:107], v[100:101], v[104:105] op_sel:[0,0,1] op_sel_hi:[1,0,0]
	v_mov_b32_e32 v117, v105
	ds_load_2addr_b64 v[104:107], v202 offset0:53 offset1:54
	v_pk_add_f32 v[232:233], v[232:233], v[116:117] neg_lo:[0,1] neg_hi:[0,1]
	s_wait_dscnt 0x0
	v_pk_mul_f32 v[116:117], v[104:105], v[102:103] op_sel:[0,1]
	s_delay_alu instid0(VALU_DEP_1) | instskip(SKIP_1) | instid1(VALU_DEP_1)
	v_pk_fma_f32 v[118:119], v[104:105], v[100:101], v[116:117] op_sel:[0,0,1] op_sel_hi:[1,1,0] neg_lo:[0,0,1] neg_hi:[0,0,1]
	v_pk_fma_f32 v[104:105], v[104:105], v[100:101], v[116:117] op_sel:[0,0,1] op_sel_hi:[1,0,0]
	v_mov_b32_e32 v119, v105
	v_pk_mul_f32 v[104:105], v[106:107], v[102:103] op_sel:[0,1]
	s_delay_alu instid0(VALU_DEP_2) | instskip(NEXT) | instid1(VALU_DEP_2)
	v_pk_add_f32 v[226:227], v[226:227], v[118:119] neg_lo:[0,1] neg_hi:[0,1]
	v_pk_fma_f32 v[116:117], v[106:107], v[100:101], v[104:105] op_sel:[0,0,1] op_sel_hi:[1,1,0] neg_lo:[0,0,1] neg_hi:[0,0,1]
	v_pk_fma_f32 v[104:105], v[106:107], v[100:101], v[104:105] op_sel:[0,0,1] op_sel_hi:[1,0,0]
	s_delay_alu instid0(VALU_DEP_1) | instskip(SKIP_4) | instid1(VALU_DEP_1)
	v_mov_b32_e32 v117, v105
	ds_load_2addr_b64 v[104:107], v202 offset0:55 offset1:56
	v_pk_add_f32 v[230:231], v[230:231], v[116:117] neg_lo:[0,1] neg_hi:[0,1]
	s_wait_dscnt 0x0
	v_pk_mul_f32 v[116:117], v[104:105], v[102:103] op_sel:[0,1]
	v_pk_fma_f32 v[118:119], v[104:105], v[100:101], v[116:117] op_sel:[0,0,1] op_sel_hi:[1,1,0] neg_lo:[0,0,1] neg_hi:[0,0,1]
	v_pk_fma_f32 v[104:105], v[104:105], v[100:101], v[116:117] op_sel:[0,0,1] op_sel_hi:[1,0,0]
	v_dual_mul_f32 v116, v107, v103 :: v_dual_mov_b32 v104, v107
	s_delay_alu instid0(VALU_DEP_2) | instskip(NEXT) | instid1(VALU_DEP_2)
	v_dual_mov_b32 v119, v105 :: v_dual_mov_b32 v105, v106
	v_pk_fma_f32 v[116:117], v[106:107], v[146:147], v[116:117] op_sel_hi:[1,1,0] neg_lo:[0,0,1] neg_hi:[0,0,1]
	v_mul_f32_e32 v106, v107, v100
	s_delay_alu instid0(VALU_DEP_3) | instskip(NEXT) | instid1(VALU_DEP_2)
	v_pk_add_f32 v[224:225], v[224:225], v[118:119] neg_lo:[0,1] neg_hi:[0,1]
	v_pk_fma_f32 v[104:105], v[104:105], v[146:147], v[106:107] op_sel_hi:[1,1,0]
	s_delay_alu instid0(VALU_DEP_1)
	v_mov_b32_e32 v117, v105
	ds_load_2addr_b64 v[104:107], v202 offset0:57 offset1:58
	v_pk_add_f32 v[228:229], v[228:229], v[116:117] neg_lo:[0,1] neg_hi:[0,1]
	s_wait_dscnt 0x0
	v_pk_mul_f32 v[116:117], v[104:105], v[102:103] op_sel:[0,1]
	v_pk_mul_f32 v[102:103], v[106:107], v[102:103] op_sel:[0,1]
	s_delay_alu instid0(VALU_DEP_2) | instskip(SKIP_1) | instid1(VALU_DEP_1)
	v_pk_fma_f32 v[118:119], v[104:105], v[100:101], v[116:117] op_sel:[0,0,1] op_sel_hi:[1,1,0] neg_lo:[0,0,1] neg_hi:[0,0,1]
	v_pk_fma_f32 v[104:105], v[104:105], v[100:101], v[116:117] op_sel:[0,0,1] op_sel_hi:[1,0,0]
	v_mov_b32_e32 v119, v105
	s_delay_alu instid0(VALU_DEP_4) | instskip(SKIP_1) | instid1(VALU_DEP_1)
	v_pk_fma_f32 v[104:105], v[106:107], v[100:101], v[102:103] op_sel:[0,0,1] op_sel_hi:[1,1,0] neg_lo:[0,0,1] neg_hi:[0,0,1]
	v_pk_fma_f32 v[100:101], v[106:107], v[100:101], v[102:103] op_sel:[0,0,1] op_sel_hi:[1,0,0]
	v_mov_b32_e32 v105, v101
	s_delay_alu instid0(VALU_DEP_4) | instskip(NEXT) | instid1(VALU_DEP_2)
	v_pk_add_f32 v[234:235], v[234:235], v[118:119] neg_lo:[0,1] neg_hi:[0,1]
	v_pk_add_f32 v[236:237], v[236:237], v[104:105] neg_lo:[0,1] neg_hi:[0,1]
.LBB117_298:
	s_or_b32 exec_lo, exec_lo, s1
	s_delay_alu instid0(SALU_CYCLE_1)
	s_mov_b32 s2, exec_lo
	s_wait_dscnt 0x0
	s_barrier_signal -1
	s_barrier_wait -1
	v_cmpx_eq_u32_e32 33, v200
	s_cbranch_execz .LBB117_305
; %bb.299:
	v_dual_mov_b32 v100, v144 :: v_dual_mov_b32 v101, v145
	v_dual_mov_b32 v102, v140 :: v_dual_mov_b32 v103, v141
	ds_store_b64 v201, v[142:143]
	ds_store_2addr_b64 v202, v[100:101], v[102:103] offset0:34 offset1:35
	v_dual_mov_b32 v100, v162 :: v_dual_mov_b32 v101, v163
	v_dual_mov_b32 v102, v158 :: v_dual_mov_b32 v103, v159
	ds_store_2addr_b64 v202, v[100:101], v[102:103] offset0:36 offset1:37
	v_dual_mov_b32 v100, v160 :: v_dual_mov_b32 v101, v161
	v_dual_mov_b32 v102, v156 :: v_dual_mov_b32 v103, v157
	;; [unrolled: 3-line block ×11, first 2 shown]
	ds_store_2addr_b64 v202, v[100:101], v[102:103] offset0:56 offset1:57
	ds_store_b64 v202, v[236:237] offset:464
	ds_load_b64 v[100:101], v201
	s_wait_dscnt 0x0
	v_cmp_neq_f32_e32 vcc_lo, 0, v100
	v_cmp_neq_f32_e64 s1, 0, v101
	s_or_b32 s1, vcc_lo, s1
	s_delay_alu instid0(SALU_CYCLE_1)
	s_and_b32 exec_lo, exec_lo, s1
	s_cbranch_execz .LBB117_305
; %bb.300:
	v_cmp_ngt_f32_e64 s1, |v100|, |v101|
                                        ; implicit-def: $vgpr102_vgpr103
	s_and_saveexec_b32 s4, s1
	s_delay_alu instid0(SALU_CYCLE_1)
	s_xor_b32 s1, exec_lo, s4
	s_cbranch_execz .LBB117_302
; %bb.301:
	v_div_scale_f32 v102, null, v101, v101, v100
	v_div_scale_f32 v105, vcc_lo, v100, v101, v100
	s_delay_alu instid0(VALU_DEP_2) | instskip(SKIP_1) | instid1(TRANS32_DEP_1)
	v_rcp_f32_e32 v103, v102
	v_nop
	v_fma_f32 v104, -v102, v103, 1.0
	s_delay_alu instid0(VALU_DEP_1) | instskip(NEXT) | instid1(VALU_DEP_1)
	v_fmac_f32_e32 v103, v104, v103
	v_mul_f32_e32 v104, v105, v103
	s_delay_alu instid0(VALU_DEP_1) | instskip(NEXT) | instid1(VALU_DEP_1)
	v_fma_f32 v106, -v102, v104, v105
	v_fmac_f32_e32 v104, v106, v103
	s_delay_alu instid0(VALU_DEP_1) | instskip(NEXT) | instid1(VALU_DEP_1)
	v_fma_f32 v102, -v102, v104, v105
	v_div_fmas_f32 v102, v102, v103, v104
	s_delay_alu instid0(VALU_DEP_1) | instskip(NEXT) | instid1(VALU_DEP_1)
	v_div_fixup_f32 v102, v102, v101, v100
	v_fmac_f32_e32 v101, v100, v102
	s_delay_alu instid0(VALU_DEP_1) | instskip(SKIP_1) | instid1(VALU_DEP_2)
	v_div_scale_f32 v100, null, v101, v101, 1.0
	v_div_scale_f32 v105, vcc_lo, 1.0, v101, 1.0
	v_rcp_f32_e32 v103, v100
	v_nop
	s_delay_alu instid0(TRANS32_DEP_1) | instskip(NEXT) | instid1(VALU_DEP_1)
	v_fma_f32 v104, -v100, v103, 1.0
	v_fmac_f32_e32 v103, v104, v103
	s_delay_alu instid0(VALU_DEP_1) | instskip(NEXT) | instid1(VALU_DEP_1)
	v_mul_f32_e32 v104, v105, v103
	v_fma_f32 v106, -v100, v104, v105
	s_delay_alu instid0(VALU_DEP_1) | instskip(NEXT) | instid1(VALU_DEP_1)
	v_fmac_f32_e32 v104, v106, v103
	v_fma_f32 v100, -v100, v104, v105
	s_delay_alu instid0(VALU_DEP_1) | instskip(NEXT) | instid1(VALU_DEP_1)
	v_div_fmas_f32 v100, v100, v103, v104
	v_div_fixup_f32 v100, v100, v101, 1.0
	s_delay_alu instid0(VALU_DEP_1)
	v_mul_f32_e32 v102, v102, v100
	v_xor_b32_e32 v103, 0x80000000, v100
                                        ; implicit-def: $vgpr100_vgpr101
.LBB117_302:
	s_and_not1_saveexec_b32 s1, s1
	s_cbranch_execz .LBB117_304
; %bb.303:
	v_div_scale_f32 v102, null, v100, v100, v101
	v_div_scale_f32 v105, vcc_lo, v101, v100, v101
	s_delay_alu instid0(VALU_DEP_2) | instskip(SKIP_1) | instid1(TRANS32_DEP_1)
	v_rcp_f32_e32 v103, v102
	v_nop
	v_fma_f32 v104, -v102, v103, 1.0
	s_delay_alu instid0(VALU_DEP_1) | instskip(NEXT) | instid1(VALU_DEP_1)
	v_fmac_f32_e32 v103, v104, v103
	v_mul_f32_e32 v104, v105, v103
	s_delay_alu instid0(VALU_DEP_1) | instskip(NEXT) | instid1(VALU_DEP_1)
	v_fma_f32 v106, -v102, v104, v105
	v_fmac_f32_e32 v104, v106, v103
	s_delay_alu instid0(VALU_DEP_1) | instskip(NEXT) | instid1(VALU_DEP_1)
	v_fma_f32 v102, -v102, v104, v105
	v_div_fmas_f32 v102, v102, v103, v104
	s_delay_alu instid0(VALU_DEP_1) | instskip(NEXT) | instid1(VALU_DEP_1)
	v_div_fixup_f32 v103, v102, v100, v101
	v_fmac_f32_e32 v100, v101, v103
	s_delay_alu instid0(VALU_DEP_1) | instskip(NEXT) | instid1(VALU_DEP_1)
	v_div_scale_f32 v101, null, v100, v100, 1.0
	v_rcp_f32_e32 v102, v101
	v_nop
	s_delay_alu instid0(TRANS32_DEP_1) | instskip(NEXT) | instid1(VALU_DEP_1)
	v_fma_f32 v104, -v101, v102, 1.0
	v_fmac_f32_e32 v102, v104, v102
	v_div_scale_f32 v104, vcc_lo, 1.0, v100, 1.0
	s_delay_alu instid0(VALU_DEP_1) | instskip(NEXT) | instid1(VALU_DEP_1)
	v_mul_f32_e32 v105, v104, v102
	v_fma_f32 v106, -v101, v105, v104
	s_delay_alu instid0(VALU_DEP_1) | instskip(NEXT) | instid1(VALU_DEP_1)
	v_fmac_f32_e32 v105, v106, v102
	v_fma_f32 v101, -v101, v105, v104
	s_delay_alu instid0(VALU_DEP_1) | instskip(NEXT) | instid1(VALU_DEP_1)
	v_div_fmas_f32 v101, v101, v102, v105
	v_div_fixup_f32 v102, v101, v100, 1.0
	s_delay_alu instid0(VALU_DEP_1)
	v_mul_f32_e64 v103, v103, -v102
.LBB117_304:
	s_or_b32 exec_lo, exec_lo, s1
	ds_store_b64 v201, v[102:103]
.LBB117_305:
	s_or_b32 exec_lo, exec_lo, s2
	s_wait_dscnt 0x0
	s_barrier_signal -1
	s_barrier_wait -1
	ds_load_b64 v[100:101], v201
	s_mov_b32 s1, exec_lo
	v_cmpx_lt_u32_e32 33, v200
	s_cbranch_execz .LBB117_307
; %bb.306:
	ds_load_2addr_b64 v[116:119], v202 offset0:34 offset1:35
	s_wait_dscnt 0x1
	v_pk_mul_f32 v[104:105], v[100:101], v[142:143] op_sel:[1,1] op_sel_hi:[0,1]
	s_delay_alu instid0(VALU_DEP_1) | instskip(SKIP_1) | instid1(VALU_DEP_1)
	v_pk_fma_f32 v[102:103], v[100:101], v[142:143], v[104:105] op_sel_hi:[1,0,1] neg_lo:[0,0,1] neg_hi:[0,0,1]
	v_pk_fma_f32 v[104:105], v[100:101], v[142:143], v[104:105] op_sel_hi:[1,0,1]
	v_dual_mov_b32 v142, v102 :: v_dual_mov_b32 v143, v105
	s_wait_dscnt 0x0
	s_delay_alu instid0(VALU_DEP_2) | instskip(NEXT) | instid1(VALU_DEP_1)
	v_pk_mul_f32 v[106:107], v[116:117], v[104:105] op_sel:[0,1]
	v_pk_fma_f32 v[120:121], v[116:117], v[102:103], v[106:107] op_sel:[0,0,1] op_sel_hi:[1,1,0] neg_lo:[0,0,1] neg_hi:[0,0,1]
	v_pk_fma_f32 v[106:107], v[116:117], v[102:103], v[106:107] op_sel:[0,0,1] op_sel_hi:[1,0,0]
	s_delay_alu instid0(VALU_DEP_1) | instskip(SKIP_1) | instid1(VALU_DEP_1)
	v_mov_b32_e32 v121, v107
	v_pk_mul_f32 v[106:107], v[118:119], v[104:105] op_sel:[0,1]
	v_pk_fma_f32 v[116:117], v[118:119], v[102:103], v[106:107] op_sel:[0,0,1] op_sel_hi:[1,1,0] neg_lo:[0,0,1] neg_hi:[0,0,1]
	v_pk_fma_f32 v[106:107], v[118:119], v[102:103], v[106:107] op_sel:[0,0,1] op_sel_hi:[1,0,0]
	s_delay_alu instid0(VALU_DEP_1) | instskip(SKIP_1) | instid1(VALU_DEP_2)
	v_mov_b32_e32 v117, v107
	v_pk_add_f32 v[144:145], v[144:145], v[120:121] neg_lo:[0,1] neg_hi:[0,1]
	v_pk_add_f32 v[140:141], v[140:141], v[116:117] neg_lo:[0,1] neg_hi:[0,1]
	ds_load_2addr_b64 v[116:119], v202 offset0:36 offset1:37
	s_wait_dscnt 0x0
	v_pk_mul_f32 v[106:107], v[116:117], v[104:105] op_sel:[0,1]
	s_delay_alu instid0(VALU_DEP_1) | instskip(SKIP_2) | instid1(VALU_DEP_2)
	v_pk_fma_f32 v[120:121], v[116:117], v[102:103], v[106:107] op_sel:[0,0,1] op_sel_hi:[1,1,0] neg_lo:[0,0,1] neg_hi:[0,0,1]
	v_pk_fma_f32 v[106:107], v[116:117], v[102:103], v[106:107] op_sel:[0,0,1] op_sel_hi:[1,0,0]
	v_dual_mul_f32 v116, v119, v105 :: v_dual_mov_b32 v106, v119
	v_dual_mov_b32 v121, v107 :: v_dual_mov_b32 v107, v118
	s_delay_alu instid0(VALU_DEP_2) | instskip(SKIP_1) | instid1(VALU_DEP_3)
	v_pk_fma_f32 v[116:117], v[118:119], v[142:143], v[116:117] op_sel_hi:[1,1,0] neg_lo:[0,0,1] neg_hi:[0,0,1]
	v_mul_f32_e32 v118, v119, v102
	v_pk_add_f32 v[162:163], v[162:163], v[120:121] neg_lo:[0,1] neg_hi:[0,1]
	s_delay_alu instid0(VALU_DEP_2) | instskip(NEXT) | instid1(VALU_DEP_1)
	v_pk_fma_f32 v[106:107], v[106:107], v[142:143], v[118:119] op_sel_hi:[1,1,0]
	v_mov_b32_e32 v117, v107
	s_delay_alu instid0(VALU_DEP_1) | instskip(SKIP_3) | instid1(VALU_DEP_1)
	v_pk_add_f32 v[158:159], v[158:159], v[116:117] neg_lo:[0,1] neg_hi:[0,1]
	ds_load_2addr_b64 v[116:119], v202 offset0:38 offset1:39
	s_wait_dscnt 0x0
	v_pk_mul_f32 v[106:107], v[116:117], v[104:105] op_sel:[0,1]
	v_pk_fma_f32 v[120:121], v[116:117], v[102:103], v[106:107] op_sel:[0,0,1] op_sel_hi:[1,1,0] neg_lo:[0,0,1] neg_hi:[0,0,1]
	v_pk_fma_f32 v[106:107], v[116:117], v[102:103], v[106:107] op_sel:[0,0,1] op_sel_hi:[1,0,0]
	s_delay_alu instid0(VALU_DEP_1) | instskip(SKIP_1) | instid1(VALU_DEP_2)
	v_mov_b32_e32 v121, v107
	v_pk_mul_f32 v[106:107], v[118:119], v[104:105] op_sel:[0,1]
	v_pk_add_f32 v[160:161], v[160:161], v[120:121] neg_lo:[0,1] neg_hi:[0,1]
	s_delay_alu instid0(VALU_DEP_2) | instskip(SKIP_1) | instid1(VALU_DEP_1)
	v_pk_fma_f32 v[116:117], v[118:119], v[102:103], v[106:107] op_sel:[0,0,1] op_sel_hi:[1,1,0] neg_lo:[0,0,1] neg_hi:[0,0,1]
	v_pk_fma_f32 v[106:107], v[118:119], v[102:103], v[106:107] op_sel:[0,0,1] op_sel_hi:[1,0,0]
	v_mov_b32_e32 v117, v107
	s_delay_alu instid0(VALU_DEP_1) | instskip(SKIP_3) | instid1(VALU_DEP_1)
	v_pk_add_f32 v[156:157], v[156:157], v[116:117] neg_lo:[0,1] neg_hi:[0,1]
	ds_load_2addr_b64 v[116:119], v202 offset0:40 offset1:41
	s_wait_dscnt 0x0
	v_pk_mul_f32 v[106:107], v[116:117], v[104:105] op_sel:[0,1]
	v_pk_fma_f32 v[120:121], v[116:117], v[102:103], v[106:107] op_sel:[0,0,1] op_sel_hi:[1,1,0] neg_lo:[0,0,1] neg_hi:[0,0,1]
	v_pk_fma_f32 v[106:107], v[116:117], v[102:103], v[106:107] op_sel:[0,0,1] op_sel_hi:[1,0,0]
	s_delay_alu instid0(VALU_DEP_1) | instskip(SKIP_1) | instid1(VALU_DEP_2)
	v_mov_b32_e32 v121, v107
	v_pk_mul_f32 v[106:107], v[118:119], v[104:105] op_sel:[0,1]
	v_pk_add_f32 v[178:179], v[178:179], v[120:121] neg_lo:[0,1] neg_hi:[0,1]
	s_delay_alu instid0(VALU_DEP_2) | instskip(SKIP_1) | instid1(VALU_DEP_1)
	v_pk_fma_f32 v[116:117], v[118:119], v[102:103], v[106:107] op_sel:[0,0,1] op_sel_hi:[1,1,0] neg_lo:[0,0,1] neg_hi:[0,0,1]
	v_pk_fma_f32 v[106:107], v[118:119], v[102:103], v[106:107] op_sel:[0,0,1] op_sel_hi:[1,0,0]
	v_mov_b32_e32 v117, v107
	s_delay_alu instid0(VALU_DEP_1) | instskip(SKIP_3) | instid1(VALU_DEP_1)
	v_pk_add_f32 v[174:175], v[174:175], v[116:117] neg_lo:[0,1] neg_hi:[0,1]
	ds_load_2addr_b64 v[116:119], v202 offset0:42 offset1:43
	s_wait_dscnt 0x0
	v_dual_mul_f32 v106, v117, v105 :: v_dual_mul_f32 v120, v117, v102
	v_pk_fma_f32 v[106:107], v[116:117], v[142:143], v[106:107] op_sel_hi:[1,1,0] neg_lo:[0,0,1] neg_hi:[0,0,1]
	s_delay_alu instid0(VALU_DEP_2) | instskip(NEXT) | instid1(VALU_DEP_1)
	v_pk_fma_f32 v[116:117], v[116:117], v[142:143], v[120:121] op_sel:[1,0,0] op_sel_hi:[0,1,0]
	v_mov_b32_e32 v107, v117
	s_delay_alu instid0(VALU_DEP_1) | instskip(SKIP_1) | instid1(VALU_DEP_1)
	v_pk_add_f32 v[176:177], v[176:177], v[106:107] neg_lo:[0,1] neg_hi:[0,1]
	v_pk_mul_f32 v[106:107], v[118:119], v[104:105] op_sel:[0,1]
	v_pk_fma_f32 v[116:117], v[118:119], v[102:103], v[106:107] op_sel:[0,0,1] op_sel_hi:[1,1,0] neg_lo:[0,0,1] neg_hi:[0,0,1]
	v_pk_fma_f32 v[106:107], v[118:119], v[102:103], v[106:107] op_sel:[0,0,1] op_sel_hi:[1,0,0]
	s_delay_alu instid0(VALU_DEP_1) | instskip(NEXT) | instid1(VALU_DEP_1)
	v_mov_b32_e32 v117, v107
	v_pk_add_f32 v[172:173], v[172:173], v[116:117] neg_lo:[0,1] neg_hi:[0,1]
	ds_load_2addr_b64 v[116:119], v202 offset0:44 offset1:45
	s_wait_dscnt 0x0
	v_pk_mul_f32 v[106:107], v[116:117], v[104:105] op_sel:[0,1]
	s_delay_alu instid0(VALU_DEP_1) | instskip(SKIP_1) | instid1(VALU_DEP_1)
	v_pk_fma_f32 v[120:121], v[116:117], v[102:103], v[106:107] op_sel:[0,0,1] op_sel_hi:[1,1,0] neg_lo:[0,0,1] neg_hi:[0,0,1]
	v_pk_fma_f32 v[106:107], v[116:117], v[102:103], v[106:107] op_sel:[0,0,1] op_sel_hi:[1,0,0]
	v_mov_b32_e32 v121, v107
	v_pk_mul_f32 v[106:107], v[118:119], v[104:105] op_sel:[0,1]
	s_delay_alu instid0(VALU_DEP_2) | instskip(NEXT) | instid1(VALU_DEP_2)
	v_pk_add_f32 v[194:195], v[194:195], v[120:121] neg_lo:[0,1] neg_hi:[0,1]
	v_pk_fma_f32 v[116:117], v[118:119], v[102:103], v[106:107] op_sel:[0,0,1] op_sel_hi:[1,1,0] neg_lo:[0,0,1] neg_hi:[0,0,1]
	v_pk_fma_f32 v[106:107], v[118:119], v[102:103], v[106:107] op_sel:[0,0,1] op_sel_hi:[1,0,0]
	s_delay_alu instid0(VALU_DEP_1) | instskip(NEXT) | instid1(VALU_DEP_1)
	v_mov_b32_e32 v117, v107
	v_pk_add_f32 v[190:191], v[190:191], v[116:117] neg_lo:[0,1] neg_hi:[0,1]
	ds_load_2addr_b64 v[116:119], v202 offset0:46 offset1:47
	s_wait_dscnt 0x0
	v_pk_mul_f32 v[106:107], v[116:117], v[104:105] op_sel:[0,1]
	s_delay_alu instid0(VALU_DEP_1) | instskip(SKIP_2) | instid1(VALU_DEP_2)
	v_pk_fma_f32 v[120:121], v[116:117], v[102:103], v[106:107] op_sel:[0,0,1] op_sel_hi:[1,1,0] neg_lo:[0,0,1] neg_hi:[0,0,1]
	v_pk_fma_f32 v[106:107], v[116:117], v[102:103], v[106:107] op_sel:[0,0,1] op_sel_hi:[1,0,0]
	v_dual_mul_f32 v116, v119, v105 :: v_dual_mov_b32 v106, v119
	v_dual_mov_b32 v121, v107 :: v_dual_mov_b32 v107, v118
	s_delay_alu instid0(VALU_DEP_2) | instskip(SKIP_1) | instid1(VALU_DEP_3)
	v_pk_fma_f32 v[116:117], v[118:119], v[142:143], v[116:117] op_sel_hi:[1,1,0] neg_lo:[0,0,1] neg_hi:[0,0,1]
	v_mul_f32_e32 v118, v119, v102
	v_pk_add_f32 v[192:193], v[192:193], v[120:121] neg_lo:[0,1] neg_hi:[0,1]
	s_delay_alu instid0(VALU_DEP_2) | instskip(NEXT) | instid1(VALU_DEP_1)
	v_pk_fma_f32 v[106:107], v[106:107], v[142:143], v[118:119] op_sel_hi:[1,1,0]
	v_mov_b32_e32 v117, v107
	s_delay_alu instid0(VALU_DEP_1) | instskip(SKIP_3) | instid1(VALU_DEP_1)
	v_pk_add_f32 v[188:189], v[188:189], v[116:117] neg_lo:[0,1] neg_hi:[0,1]
	ds_load_2addr_b64 v[116:119], v202 offset0:48 offset1:49
	s_wait_dscnt 0x0
	v_pk_mul_f32 v[106:107], v[116:117], v[104:105] op_sel:[0,1]
	v_pk_fma_f32 v[120:121], v[116:117], v[102:103], v[106:107] op_sel:[0,0,1] op_sel_hi:[1,1,0] neg_lo:[0,0,1] neg_hi:[0,0,1]
	v_pk_fma_f32 v[106:107], v[116:117], v[102:103], v[106:107] op_sel:[0,0,1] op_sel_hi:[1,0,0]
	s_delay_alu instid0(VALU_DEP_1) | instskip(SKIP_1) | instid1(VALU_DEP_2)
	v_mov_b32_e32 v121, v107
	v_pk_mul_f32 v[106:107], v[118:119], v[104:105] op_sel:[0,1]
	v_pk_add_f32 v[212:213], v[212:213], v[120:121] neg_lo:[0,1] neg_hi:[0,1]
	s_delay_alu instid0(VALU_DEP_2) | instskip(SKIP_1) | instid1(VALU_DEP_1)
	v_pk_fma_f32 v[116:117], v[118:119], v[102:103], v[106:107] op_sel:[0,0,1] op_sel_hi:[1,1,0] neg_lo:[0,0,1] neg_hi:[0,0,1]
	v_pk_fma_f32 v[106:107], v[118:119], v[102:103], v[106:107] op_sel:[0,0,1] op_sel_hi:[1,0,0]
	v_mov_b32_e32 v117, v107
	s_delay_alu instid0(VALU_DEP_1) | instskip(SKIP_3) | instid1(VALU_DEP_1)
	v_pk_add_f32 v[208:209], v[208:209], v[116:117] neg_lo:[0,1] neg_hi:[0,1]
	ds_load_2addr_b64 v[116:119], v202 offset0:50 offset1:51
	s_wait_dscnt 0x0
	v_pk_mul_f32 v[106:107], v[116:117], v[104:105] op_sel:[0,1]
	v_pk_fma_f32 v[120:121], v[116:117], v[102:103], v[106:107] op_sel:[0,0,1] op_sel_hi:[1,1,0] neg_lo:[0,0,1] neg_hi:[0,0,1]
	v_pk_fma_f32 v[106:107], v[116:117], v[102:103], v[106:107] op_sel:[0,0,1] op_sel_hi:[1,0,0]
	s_delay_alu instid0(VALU_DEP_1) | instskip(SKIP_1) | instid1(VALU_DEP_2)
	v_mov_b32_e32 v121, v107
	v_pk_mul_f32 v[106:107], v[118:119], v[104:105] op_sel:[0,1]
	v_pk_add_f32 v[210:211], v[210:211], v[120:121] neg_lo:[0,1] neg_hi:[0,1]
	s_delay_alu instid0(VALU_DEP_2) | instskip(SKIP_1) | instid1(VALU_DEP_1)
	v_pk_fma_f32 v[116:117], v[118:119], v[102:103], v[106:107] op_sel:[0,0,1] op_sel_hi:[1,1,0] neg_lo:[0,0,1] neg_hi:[0,0,1]
	v_pk_fma_f32 v[106:107], v[118:119], v[102:103], v[106:107] op_sel:[0,0,1] op_sel_hi:[1,0,0]
	v_mov_b32_e32 v117, v107
	s_delay_alu instid0(VALU_DEP_1) | instskip(SKIP_3) | instid1(VALU_DEP_1)
	v_pk_add_f32 v[206:207], v[206:207], v[116:117] neg_lo:[0,1] neg_hi:[0,1]
	ds_load_2addr_b64 v[116:119], v202 offset0:52 offset1:53
	s_wait_dscnt 0x0
	v_dual_mul_f32 v106, v117, v105 :: v_dual_mul_f32 v120, v117, v102
	v_pk_fma_f32 v[106:107], v[116:117], v[142:143], v[106:107] op_sel_hi:[1,1,0] neg_lo:[0,0,1] neg_hi:[0,0,1]
	s_delay_alu instid0(VALU_DEP_2) | instskip(NEXT) | instid1(VALU_DEP_1)
	v_pk_fma_f32 v[116:117], v[116:117], v[142:143], v[120:121] op_sel:[1,0,0] op_sel_hi:[0,1,0]
	v_mov_b32_e32 v107, v117
	s_delay_alu instid0(VALU_DEP_1) | instskip(SKIP_1) | instid1(VALU_DEP_1)
	v_pk_add_f32 v[232:233], v[232:233], v[106:107] neg_lo:[0,1] neg_hi:[0,1]
	v_pk_mul_f32 v[106:107], v[118:119], v[104:105] op_sel:[0,1]
	v_pk_fma_f32 v[116:117], v[118:119], v[102:103], v[106:107] op_sel:[0,0,1] op_sel_hi:[1,1,0] neg_lo:[0,0,1] neg_hi:[0,0,1]
	v_pk_fma_f32 v[106:107], v[118:119], v[102:103], v[106:107] op_sel:[0,0,1] op_sel_hi:[1,0,0]
	s_delay_alu instid0(VALU_DEP_1) | instskip(NEXT) | instid1(VALU_DEP_1)
	v_mov_b32_e32 v117, v107
	v_pk_add_f32 v[226:227], v[226:227], v[116:117] neg_lo:[0,1] neg_hi:[0,1]
	ds_load_2addr_b64 v[116:119], v202 offset0:54 offset1:55
	s_wait_dscnt 0x0
	v_pk_mul_f32 v[106:107], v[116:117], v[104:105] op_sel:[0,1]
	s_delay_alu instid0(VALU_DEP_1) | instskip(SKIP_1) | instid1(VALU_DEP_1)
	v_pk_fma_f32 v[120:121], v[116:117], v[102:103], v[106:107] op_sel:[0,0,1] op_sel_hi:[1,1,0] neg_lo:[0,0,1] neg_hi:[0,0,1]
	v_pk_fma_f32 v[106:107], v[116:117], v[102:103], v[106:107] op_sel:[0,0,1] op_sel_hi:[1,0,0]
	v_mov_b32_e32 v121, v107
	v_pk_mul_f32 v[106:107], v[118:119], v[104:105] op_sel:[0,1]
	s_delay_alu instid0(VALU_DEP_2) | instskip(NEXT) | instid1(VALU_DEP_2)
	v_pk_add_f32 v[230:231], v[230:231], v[120:121] neg_lo:[0,1] neg_hi:[0,1]
	v_pk_fma_f32 v[116:117], v[118:119], v[102:103], v[106:107] op_sel:[0,0,1] op_sel_hi:[1,1,0] neg_lo:[0,0,1] neg_hi:[0,0,1]
	v_pk_fma_f32 v[106:107], v[118:119], v[102:103], v[106:107] op_sel:[0,0,1] op_sel_hi:[1,0,0]
	s_delay_alu instid0(VALU_DEP_1) | instskip(NEXT) | instid1(VALU_DEP_1)
	v_mov_b32_e32 v117, v107
	v_pk_add_f32 v[224:225], v[224:225], v[116:117] neg_lo:[0,1] neg_hi:[0,1]
	ds_load_2addr_b64 v[116:119], v202 offset0:56 offset1:57
	s_wait_dscnt 0x0
	v_pk_mul_f32 v[106:107], v[116:117], v[104:105] op_sel:[0,1]
	s_delay_alu instid0(VALU_DEP_1) | instskip(SKIP_2) | instid1(VALU_DEP_2)
	v_pk_fma_f32 v[120:121], v[116:117], v[102:103], v[106:107] op_sel:[0,0,1] op_sel_hi:[1,1,0] neg_lo:[0,0,1] neg_hi:[0,0,1]
	v_pk_fma_f32 v[106:107], v[116:117], v[102:103], v[106:107] op_sel:[0,0,1] op_sel_hi:[1,0,0]
	v_dual_mul_f32 v116, v119, v105 :: v_dual_mov_b32 v106, v119
	v_dual_mov_b32 v121, v107 :: v_dual_mov_b32 v107, v118
	s_delay_alu instid0(VALU_DEP_2) | instskip(SKIP_1) | instid1(VALU_DEP_3)
	v_pk_fma_f32 v[116:117], v[118:119], v[142:143], v[116:117] op_sel_hi:[1,1,0] neg_lo:[0,0,1] neg_hi:[0,0,1]
	v_mul_f32_e32 v118, v119, v102
	v_pk_add_f32 v[228:229], v[228:229], v[120:121] neg_lo:[0,1] neg_hi:[0,1]
	s_delay_alu instid0(VALU_DEP_2) | instskip(NEXT) | instid1(VALU_DEP_1)
	v_pk_fma_f32 v[106:107], v[106:107], v[142:143], v[118:119] op_sel_hi:[1,1,0]
	v_mov_b32_e32 v117, v107
	ds_load_b64 v[106:107], v202 offset:464
	v_pk_add_f32 v[234:235], v[234:235], v[116:117] neg_lo:[0,1] neg_hi:[0,1]
	s_wait_dscnt 0x0
	v_pk_mul_f32 v[104:105], v[106:107], v[104:105] op_sel:[0,1]
	s_delay_alu instid0(VALU_DEP_1) | instskip(SKIP_1) | instid1(VALU_DEP_1)
	v_pk_fma_f32 v[116:117], v[106:107], v[102:103], v[104:105] op_sel:[0,0,1] op_sel_hi:[1,1,0] neg_lo:[0,0,1] neg_hi:[0,0,1]
	v_pk_fma_f32 v[102:103], v[106:107], v[102:103], v[104:105] op_sel:[0,0,1] op_sel_hi:[1,0,0]
	v_mov_b32_e32 v117, v103
	s_delay_alu instid0(VALU_DEP_1)
	v_pk_add_f32 v[236:237], v[236:237], v[116:117] neg_lo:[0,1] neg_hi:[0,1]
.LBB117_307:
	s_or_b32 exec_lo, exec_lo, s1
	s_delay_alu instid0(SALU_CYCLE_1)
	s_mov_b32 s2, exec_lo
	s_wait_dscnt 0x0
	s_barrier_signal -1
	s_barrier_wait -1
	v_cmpx_eq_u32_e32 34, v200
	s_cbranch_execz .LBB117_314
; %bb.308:
	ds_store_b64 v201, v[144:145]
	ds_store_2addr_b64 v202, v[140:141], v[162:163] offset0:35 offset1:36
	ds_store_2addr_b64 v202, v[158:159], v[160:161] offset0:37 offset1:38
	;; [unrolled: 1-line block ×12, first 2 shown]
	ds_load_b64 v[102:103], v201
	s_wait_dscnt 0x0
	v_cmp_neq_f32_e32 vcc_lo, 0, v102
	v_cmp_neq_f32_e64 s1, 0, v103
	s_or_b32 s1, vcc_lo, s1
	s_delay_alu instid0(SALU_CYCLE_1)
	s_and_b32 exec_lo, exec_lo, s1
	s_cbranch_execz .LBB117_314
; %bb.309:
	v_cmp_ngt_f32_e64 s1, |v102|, |v103|
                                        ; implicit-def: $vgpr104_vgpr105
	s_and_saveexec_b32 s4, s1
	s_delay_alu instid0(SALU_CYCLE_1)
	s_xor_b32 s1, exec_lo, s4
	s_cbranch_execz .LBB117_311
; %bb.310:
	v_div_scale_f32 v104, null, v103, v103, v102
	v_div_scale_f32 v107, vcc_lo, v102, v103, v102
	s_delay_alu instid0(VALU_DEP_2) | instskip(SKIP_1) | instid1(TRANS32_DEP_1)
	v_rcp_f32_e32 v105, v104
	v_nop
	v_fma_f32 v106, -v104, v105, 1.0
	s_delay_alu instid0(VALU_DEP_1) | instskip(NEXT) | instid1(VALU_DEP_1)
	v_fmac_f32_e32 v105, v106, v105
	v_mul_f32_e32 v106, v107, v105
	s_delay_alu instid0(VALU_DEP_1) | instskip(NEXT) | instid1(VALU_DEP_1)
	v_fma_f32 v116, -v104, v106, v107
	v_fmac_f32_e32 v106, v116, v105
	s_delay_alu instid0(VALU_DEP_1) | instskip(NEXT) | instid1(VALU_DEP_1)
	v_fma_f32 v104, -v104, v106, v107
	v_div_fmas_f32 v104, v104, v105, v106
	s_delay_alu instid0(VALU_DEP_1) | instskip(NEXT) | instid1(VALU_DEP_1)
	v_div_fixup_f32 v104, v104, v103, v102
	v_fmac_f32_e32 v103, v102, v104
	s_delay_alu instid0(VALU_DEP_1) | instskip(SKIP_1) | instid1(VALU_DEP_2)
	v_div_scale_f32 v102, null, v103, v103, 1.0
	v_div_scale_f32 v107, vcc_lo, 1.0, v103, 1.0
	v_rcp_f32_e32 v105, v102
	v_nop
	s_delay_alu instid0(TRANS32_DEP_1) | instskip(NEXT) | instid1(VALU_DEP_1)
	v_fma_f32 v106, -v102, v105, 1.0
	v_fmac_f32_e32 v105, v106, v105
	s_delay_alu instid0(VALU_DEP_1) | instskip(NEXT) | instid1(VALU_DEP_1)
	v_mul_f32_e32 v106, v107, v105
	v_fma_f32 v116, -v102, v106, v107
	s_delay_alu instid0(VALU_DEP_1) | instskip(NEXT) | instid1(VALU_DEP_1)
	v_fmac_f32_e32 v106, v116, v105
	v_fma_f32 v102, -v102, v106, v107
	s_delay_alu instid0(VALU_DEP_1) | instskip(NEXT) | instid1(VALU_DEP_1)
	v_div_fmas_f32 v102, v102, v105, v106
	v_div_fixup_f32 v102, v102, v103, 1.0
	s_delay_alu instid0(VALU_DEP_1)
	v_mul_f32_e32 v104, v104, v102
	v_xor_b32_e32 v105, 0x80000000, v102
                                        ; implicit-def: $vgpr102_vgpr103
.LBB117_311:
	s_and_not1_saveexec_b32 s1, s1
	s_cbranch_execz .LBB117_313
; %bb.312:
	v_div_scale_f32 v104, null, v102, v102, v103
	v_div_scale_f32 v107, vcc_lo, v103, v102, v103
	s_delay_alu instid0(VALU_DEP_2) | instskip(SKIP_1) | instid1(TRANS32_DEP_1)
	v_rcp_f32_e32 v105, v104
	v_nop
	v_fma_f32 v106, -v104, v105, 1.0
	s_delay_alu instid0(VALU_DEP_1) | instskip(NEXT) | instid1(VALU_DEP_1)
	v_fmac_f32_e32 v105, v106, v105
	v_mul_f32_e32 v106, v107, v105
	s_delay_alu instid0(VALU_DEP_1) | instskip(NEXT) | instid1(VALU_DEP_1)
	v_fma_f32 v116, -v104, v106, v107
	v_fmac_f32_e32 v106, v116, v105
	s_delay_alu instid0(VALU_DEP_1) | instskip(NEXT) | instid1(VALU_DEP_1)
	v_fma_f32 v104, -v104, v106, v107
	v_div_fmas_f32 v104, v104, v105, v106
	s_delay_alu instid0(VALU_DEP_1) | instskip(NEXT) | instid1(VALU_DEP_1)
	v_div_fixup_f32 v105, v104, v102, v103
	v_fmac_f32_e32 v102, v103, v105
	s_delay_alu instid0(VALU_DEP_1) | instskip(NEXT) | instid1(VALU_DEP_1)
	v_div_scale_f32 v103, null, v102, v102, 1.0
	v_rcp_f32_e32 v104, v103
	v_nop
	s_delay_alu instid0(TRANS32_DEP_1) | instskip(NEXT) | instid1(VALU_DEP_1)
	v_fma_f32 v106, -v103, v104, 1.0
	v_fmac_f32_e32 v104, v106, v104
	v_div_scale_f32 v106, vcc_lo, 1.0, v102, 1.0
	s_delay_alu instid0(VALU_DEP_1) | instskip(NEXT) | instid1(VALU_DEP_1)
	v_mul_f32_e32 v107, v106, v104
	v_fma_f32 v116, -v103, v107, v106
	s_delay_alu instid0(VALU_DEP_1) | instskip(NEXT) | instid1(VALU_DEP_1)
	v_fmac_f32_e32 v107, v116, v104
	v_fma_f32 v103, -v103, v107, v106
	s_delay_alu instid0(VALU_DEP_1) | instskip(NEXT) | instid1(VALU_DEP_1)
	v_div_fmas_f32 v103, v103, v104, v107
	v_div_fixup_f32 v104, v103, v102, 1.0
	s_delay_alu instid0(VALU_DEP_1)
	v_mul_f32_e64 v105, v105, -v104
.LBB117_313:
	s_or_b32 exec_lo, exec_lo, s1
	ds_store_b64 v201, v[104:105]
.LBB117_314:
	s_or_b32 exec_lo, exec_lo, s2
	s_wait_dscnt 0x0
	s_barrier_signal -1
	s_barrier_wait -1
	ds_load_b64 v[102:103], v201
	s_mov_b32 s1, exec_lo
	v_cmpx_lt_u32_e32 34, v200
	s_cbranch_execz .LBB117_316
; %bb.315:
	ds_load_2addr_b64 v[116:119], v202 offset0:35 offset1:36
	s_wait_dscnt 0x1
	v_pk_mul_f32 v[106:107], v[102:103], v[144:145] op_sel:[1,1] op_sel_hi:[0,1]
	s_delay_alu instid0(VALU_DEP_1) | instskip(SKIP_1) | instid1(VALU_DEP_1)
	v_pk_fma_f32 v[104:105], v[102:103], v[144:145], v[106:107] op_sel_hi:[1,0,1] neg_lo:[0,0,1] neg_hi:[0,0,1]
	v_pk_fma_f32 v[106:107], v[102:103], v[144:145], v[106:107] op_sel_hi:[1,0,1]
	v_dual_mov_b32 v144, v104 :: v_dual_mov_b32 v145, v107
	s_wait_dscnt 0x0
	s_delay_alu instid0(VALU_DEP_2) | instskip(NEXT) | instid1(VALU_DEP_1)
	v_pk_mul_f32 v[120:121], v[116:117], v[106:107] op_sel:[0,1]
	v_pk_fma_f32 v[122:123], v[116:117], v[104:105], v[120:121] op_sel:[0,0,1] op_sel_hi:[1,1,0] neg_lo:[0,0,1] neg_hi:[0,0,1]
	v_pk_fma_f32 v[116:117], v[116:117], v[104:105], v[120:121] op_sel:[0,0,1] op_sel_hi:[1,0,0]
	s_delay_alu instid0(VALU_DEP_1) | instskip(SKIP_1) | instid1(VALU_DEP_1)
	v_mov_b32_e32 v123, v117
	v_pk_mul_f32 v[116:117], v[118:119], v[106:107] op_sel:[0,1]
	v_pk_fma_f32 v[120:121], v[118:119], v[104:105], v[116:117] op_sel:[0,0,1] op_sel_hi:[1,1,0] neg_lo:[0,0,1] neg_hi:[0,0,1]
	v_pk_fma_f32 v[116:117], v[118:119], v[104:105], v[116:117] op_sel:[0,0,1] op_sel_hi:[1,0,0]
	s_delay_alu instid0(VALU_DEP_1)
	v_mov_b32_e32 v121, v117
	ds_load_2addr_b64 v[116:119], v202 offset0:37 offset1:38
	v_pk_add_f32 v[140:141], v[140:141], v[122:123] neg_lo:[0,1] neg_hi:[0,1]
	v_pk_add_f32 v[162:163], v[162:163], v[120:121] neg_lo:[0,1] neg_hi:[0,1]
	s_wait_dscnt 0x0
	v_pk_mul_f32 v[120:121], v[116:117], v[106:107] op_sel:[0,1]
	s_delay_alu instid0(VALU_DEP_1) | instskip(SKIP_2) | instid1(VALU_DEP_2)
	v_pk_fma_f32 v[122:123], v[116:117], v[104:105], v[120:121] op_sel:[0,0,1] op_sel_hi:[1,1,0] neg_lo:[0,0,1] neg_hi:[0,0,1]
	v_pk_fma_f32 v[116:117], v[116:117], v[104:105], v[120:121] op_sel:[0,0,1] op_sel_hi:[1,0,0]
	v_dual_mul_f32 v120, v119, v107 :: v_dual_mov_b32 v116, v119
	v_dual_mov_b32 v123, v117 :: v_dual_mov_b32 v117, v118
	s_delay_alu instid0(VALU_DEP_2) | instskip(SKIP_1) | instid1(VALU_DEP_3)
	v_pk_fma_f32 v[120:121], v[118:119], v[144:145], v[120:121] op_sel_hi:[1,1,0] neg_lo:[0,0,1] neg_hi:[0,0,1]
	v_mul_f32_e32 v118, v119, v104
	v_pk_add_f32 v[158:159], v[158:159], v[122:123] neg_lo:[0,1] neg_hi:[0,1]
	s_delay_alu instid0(VALU_DEP_2) | instskip(NEXT) | instid1(VALU_DEP_1)
	v_pk_fma_f32 v[116:117], v[116:117], v[144:145], v[118:119] op_sel_hi:[1,1,0]
	v_mov_b32_e32 v121, v117
	ds_load_2addr_b64 v[116:119], v202 offset0:39 offset1:40
	v_pk_add_f32 v[160:161], v[160:161], v[120:121] neg_lo:[0,1] neg_hi:[0,1]
	s_wait_dscnt 0x0
	v_pk_mul_f32 v[120:121], v[116:117], v[106:107] op_sel:[0,1]
	s_delay_alu instid0(VALU_DEP_1) | instskip(SKIP_1) | instid1(VALU_DEP_1)
	v_pk_fma_f32 v[122:123], v[116:117], v[104:105], v[120:121] op_sel:[0,0,1] op_sel_hi:[1,1,0] neg_lo:[0,0,1] neg_hi:[0,0,1]
	v_pk_fma_f32 v[116:117], v[116:117], v[104:105], v[120:121] op_sel:[0,0,1] op_sel_hi:[1,0,0]
	v_mov_b32_e32 v123, v117
	v_pk_mul_f32 v[116:117], v[118:119], v[106:107] op_sel:[0,1]
	s_delay_alu instid0(VALU_DEP_1) | instskip(SKIP_1) | instid1(VALU_DEP_1)
	v_pk_fma_f32 v[120:121], v[118:119], v[104:105], v[116:117] op_sel:[0,0,1] op_sel_hi:[1,1,0] neg_lo:[0,0,1] neg_hi:[0,0,1]
	v_pk_fma_f32 v[116:117], v[118:119], v[104:105], v[116:117] op_sel:[0,0,1] op_sel_hi:[1,0,0]
	v_mov_b32_e32 v121, v117
	ds_load_2addr_b64 v[116:119], v202 offset0:41 offset1:42
	v_pk_add_f32 v[156:157], v[156:157], v[122:123] neg_lo:[0,1] neg_hi:[0,1]
	v_pk_add_f32 v[178:179], v[178:179], v[120:121] neg_lo:[0,1] neg_hi:[0,1]
	s_wait_dscnt 0x0
	v_pk_mul_f32 v[120:121], v[116:117], v[106:107] op_sel:[0,1]
	s_delay_alu instid0(VALU_DEP_1) | instskip(SKIP_1) | instid1(VALU_DEP_1)
	v_pk_fma_f32 v[122:123], v[116:117], v[104:105], v[120:121] op_sel:[0,0,1] op_sel_hi:[1,1,0] neg_lo:[0,0,1] neg_hi:[0,0,1]
	v_pk_fma_f32 v[116:117], v[116:117], v[104:105], v[120:121] op_sel:[0,0,1] op_sel_hi:[1,0,0]
	v_mov_b32_e32 v123, v117
	v_pk_mul_f32 v[116:117], v[118:119], v[106:107] op_sel:[0,1]
	s_delay_alu instid0(VALU_DEP_1) | instskip(SKIP_1) | instid1(VALU_DEP_1)
	v_pk_fma_f32 v[120:121], v[118:119], v[104:105], v[116:117] op_sel:[0,0,1] op_sel_hi:[1,1,0] neg_lo:[0,0,1] neg_hi:[0,0,1]
	v_pk_fma_f32 v[116:117], v[118:119], v[104:105], v[116:117] op_sel:[0,0,1] op_sel_hi:[1,0,0]
	v_mov_b32_e32 v121, v117
	ds_load_2addr_b64 v[116:119], v202 offset0:43 offset1:44
	v_pk_add_f32 v[174:175], v[174:175], v[122:123] neg_lo:[0,1] neg_hi:[0,1]
	v_pk_add_f32 v[176:177], v[176:177], v[120:121] neg_lo:[0,1] neg_hi:[0,1]
	s_wait_dscnt 0x0
	v_dual_mul_f32 v120, v117, v107 :: v_dual_mul_f32 v122, v117, v104
	s_delay_alu instid0(VALU_DEP_1) | instskip(NEXT) | instid1(VALU_DEP_2)
	v_pk_fma_f32 v[120:121], v[116:117], v[144:145], v[120:121] op_sel_hi:[1,1,0] neg_lo:[0,0,1] neg_hi:[0,0,1]
	v_pk_fma_f32 v[116:117], v[116:117], v[144:145], v[122:123] op_sel:[1,0,0] op_sel_hi:[0,1,0]
	s_delay_alu instid0(VALU_DEP_1) | instskip(SKIP_1) | instid1(VALU_DEP_2)
	v_mov_b32_e32 v121, v117
	v_pk_mul_f32 v[116:117], v[118:119], v[106:107] op_sel:[0,1]
	v_pk_add_f32 v[172:173], v[172:173], v[120:121] neg_lo:[0,1] neg_hi:[0,1]
	s_delay_alu instid0(VALU_DEP_2) | instskip(SKIP_1) | instid1(VALU_DEP_1)
	v_pk_fma_f32 v[120:121], v[118:119], v[104:105], v[116:117] op_sel:[0,0,1] op_sel_hi:[1,1,0] neg_lo:[0,0,1] neg_hi:[0,0,1]
	v_pk_fma_f32 v[116:117], v[118:119], v[104:105], v[116:117] op_sel:[0,0,1] op_sel_hi:[1,0,0]
	v_mov_b32_e32 v121, v117
	ds_load_2addr_b64 v[116:119], v202 offset0:45 offset1:46
	v_pk_add_f32 v[194:195], v[194:195], v[120:121] neg_lo:[0,1] neg_hi:[0,1]
	s_wait_dscnt 0x0
	v_pk_mul_f32 v[120:121], v[116:117], v[106:107] op_sel:[0,1]
	s_delay_alu instid0(VALU_DEP_1) | instskip(SKIP_1) | instid1(VALU_DEP_1)
	v_pk_fma_f32 v[122:123], v[116:117], v[104:105], v[120:121] op_sel:[0,0,1] op_sel_hi:[1,1,0] neg_lo:[0,0,1] neg_hi:[0,0,1]
	v_pk_fma_f32 v[116:117], v[116:117], v[104:105], v[120:121] op_sel:[0,0,1] op_sel_hi:[1,0,0]
	v_mov_b32_e32 v123, v117
	v_pk_mul_f32 v[116:117], v[118:119], v[106:107] op_sel:[0,1]
	s_delay_alu instid0(VALU_DEP_2) | instskip(NEXT) | instid1(VALU_DEP_2)
	v_pk_add_f32 v[190:191], v[190:191], v[122:123] neg_lo:[0,1] neg_hi:[0,1]
	v_pk_fma_f32 v[120:121], v[118:119], v[104:105], v[116:117] op_sel:[0,0,1] op_sel_hi:[1,1,0] neg_lo:[0,0,1] neg_hi:[0,0,1]
	v_pk_fma_f32 v[116:117], v[118:119], v[104:105], v[116:117] op_sel:[0,0,1] op_sel_hi:[1,0,0]
	s_delay_alu instid0(VALU_DEP_1) | instskip(SKIP_4) | instid1(VALU_DEP_1)
	v_mov_b32_e32 v121, v117
	ds_load_2addr_b64 v[116:119], v202 offset0:47 offset1:48
	v_pk_add_f32 v[192:193], v[192:193], v[120:121] neg_lo:[0,1] neg_hi:[0,1]
	s_wait_dscnt 0x0
	v_pk_mul_f32 v[120:121], v[116:117], v[106:107] op_sel:[0,1]
	v_pk_fma_f32 v[122:123], v[116:117], v[104:105], v[120:121] op_sel:[0,0,1] op_sel_hi:[1,1,0] neg_lo:[0,0,1] neg_hi:[0,0,1]
	v_pk_fma_f32 v[116:117], v[116:117], v[104:105], v[120:121] op_sel:[0,0,1] op_sel_hi:[1,0,0]
	v_dual_mul_f32 v120, v119, v107 :: v_dual_mov_b32 v116, v119
	s_delay_alu instid0(VALU_DEP_2) | instskip(NEXT) | instid1(VALU_DEP_2)
	v_dual_mov_b32 v123, v117 :: v_dual_mov_b32 v117, v118
	v_pk_fma_f32 v[120:121], v[118:119], v[144:145], v[120:121] op_sel_hi:[1,1,0] neg_lo:[0,0,1] neg_hi:[0,0,1]
	v_mul_f32_e32 v118, v119, v104
	s_delay_alu instid0(VALU_DEP_3) | instskip(NEXT) | instid1(VALU_DEP_2)
	v_pk_add_f32 v[188:189], v[188:189], v[122:123] neg_lo:[0,1] neg_hi:[0,1]
	v_pk_fma_f32 v[116:117], v[116:117], v[144:145], v[118:119] op_sel_hi:[1,1,0]
	s_delay_alu instid0(VALU_DEP_1) | instskip(SKIP_4) | instid1(VALU_DEP_1)
	v_mov_b32_e32 v121, v117
	ds_load_2addr_b64 v[116:119], v202 offset0:49 offset1:50
	v_pk_add_f32 v[212:213], v[212:213], v[120:121] neg_lo:[0,1] neg_hi:[0,1]
	s_wait_dscnt 0x0
	v_pk_mul_f32 v[120:121], v[116:117], v[106:107] op_sel:[0,1]
	v_pk_fma_f32 v[122:123], v[116:117], v[104:105], v[120:121] op_sel:[0,0,1] op_sel_hi:[1,1,0] neg_lo:[0,0,1] neg_hi:[0,0,1]
	v_pk_fma_f32 v[116:117], v[116:117], v[104:105], v[120:121] op_sel:[0,0,1] op_sel_hi:[1,0,0]
	s_delay_alu instid0(VALU_DEP_1) | instskip(SKIP_1) | instid1(VALU_DEP_1)
	v_mov_b32_e32 v123, v117
	v_pk_mul_f32 v[116:117], v[118:119], v[106:107] op_sel:[0,1]
	v_pk_fma_f32 v[120:121], v[118:119], v[104:105], v[116:117] op_sel:[0,0,1] op_sel_hi:[1,1,0] neg_lo:[0,0,1] neg_hi:[0,0,1]
	v_pk_fma_f32 v[116:117], v[118:119], v[104:105], v[116:117] op_sel:[0,0,1] op_sel_hi:[1,0,0]
	s_delay_alu instid0(VALU_DEP_1)
	v_mov_b32_e32 v121, v117
	ds_load_2addr_b64 v[116:119], v202 offset0:51 offset1:52
	v_pk_add_f32 v[208:209], v[208:209], v[122:123] neg_lo:[0,1] neg_hi:[0,1]
	v_pk_add_f32 v[210:211], v[210:211], v[120:121] neg_lo:[0,1] neg_hi:[0,1]
	s_wait_dscnt 0x0
	v_pk_mul_f32 v[120:121], v[116:117], v[106:107] op_sel:[0,1]
	s_delay_alu instid0(VALU_DEP_1) | instskip(SKIP_1) | instid1(VALU_DEP_1)
	v_pk_fma_f32 v[122:123], v[116:117], v[104:105], v[120:121] op_sel:[0,0,1] op_sel_hi:[1,1,0] neg_lo:[0,0,1] neg_hi:[0,0,1]
	v_pk_fma_f32 v[116:117], v[116:117], v[104:105], v[120:121] op_sel:[0,0,1] op_sel_hi:[1,0,0]
	v_mov_b32_e32 v123, v117
	v_pk_mul_f32 v[116:117], v[118:119], v[106:107] op_sel:[0,1]
	s_delay_alu instid0(VALU_DEP_1) | instskip(SKIP_1) | instid1(VALU_DEP_1)
	v_pk_fma_f32 v[120:121], v[118:119], v[104:105], v[116:117] op_sel:[0,0,1] op_sel_hi:[1,1,0] neg_lo:[0,0,1] neg_hi:[0,0,1]
	v_pk_fma_f32 v[116:117], v[118:119], v[104:105], v[116:117] op_sel:[0,0,1] op_sel_hi:[1,0,0]
	v_mov_b32_e32 v121, v117
	ds_load_2addr_b64 v[116:119], v202 offset0:53 offset1:54
	v_pk_add_f32 v[206:207], v[206:207], v[122:123] neg_lo:[0,1] neg_hi:[0,1]
	v_pk_add_f32 v[232:233], v[232:233], v[120:121] neg_lo:[0,1] neg_hi:[0,1]
	s_wait_dscnt 0x0
	v_dual_mul_f32 v120, v117, v107 :: v_dual_mul_f32 v122, v117, v104
	s_delay_alu instid0(VALU_DEP_1) | instskip(NEXT) | instid1(VALU_DEP_2)
	v_pk_fma_f32 v[120:121], v[116:117], v[144:145], v[120:121] op_sel_hi:[1,1,0] neg_lo:[0,0,1] neg_hi:[0,0,1]
	v_pk_fma_f32 v[116:117], v[116:117], v[144:145], v[122:123] op_sel:[1,0,0] op_sel_hi:[0,1,0]
	s_delay_alu instid0(VALU_DEP_1) | instskip(SKIP_1) | instid1(VALU_DEP_2)
	v_mov_b32_e32 v121, v117
	v_pk_mul_f32 v[116:117], v[118:119], v[106:107] op_sel:[0,1]
	v_pk_add_f32 v[226:227], v[226:227], v[120:121] neg_lo:[0,1] neg_hi:[0,1]
	s_delay_alu instid0(VALU_DEP_2) | instskip(SKIP_1) | instid1(VALU_DEP_1)
	v_pk_fma_f32 v[120:121], v[118:119], v[104:105], v[116:117] op_sel:[0,0,1] op_sel_hi:[1,1,0] neg_lo:[0,0,1] neg_hi:[0,0,1]
	v_pk_fma_f32 v[116:117], v[118:119], v[104:105], v[116:117] op_sel:[0,0,1] op_sel_hi:[1,0,0]
	v_mov_b32_e32 v121, v117
	ds_load_2addr_b64 v[116:119], v202 offset0:55 offset1:56
	v_pk_add_f32 v[230:231], v[230:231], v[120:121] neg_lo:[0,1] neg_hi:[0,1]
	s_wait_dscnt 0x0
	v_pk_mul_f32 v[120:121], v[116:117], v[106:107] op_sel:[0,1]
	s_delay_alu instid0(VALU_DEP_1) | instskip(SKIP_1) | instid1(VALU_DEP_1)
	v_pk_fma_f32 v[122:123], v[116:117], v[104:105], v[120:121] op_sel:[0,0,1] op_sel_hi:[1,1,0] neg_lo:[0,0,1] neg_hi:[0,0,1]
	v_pk_fma_f32 v[116:117], v[116:117], v[104:105], v[120:121] op_sel:[0,0,1] op_sel_hi:[1,0,0]
	v_mov_b32_e32 v123, v117
	v_pk_mul_f32 v[116:117], v[118:119], v[106:107] op_sel:[0,1]
	s_delay_alu instid0(VALU_DEP_2) | instskip(NEXT) | instid1(VALU_DEP_2)
	v_pk_add_f32 v[224:225], v[224:225], v[122:123] neg_lo:[0,1] neg_hi:[0,1]
	v_pk_fma_f32 v[120:121], v[118:119], v[104:105], v[116:117] op_sel:[0,0,1] op_sel_hi:[1,1,0] neg_lo:[0,0,1] neg_hi:[0,0,1]
	v_pk_fma_f32 v[116:117], v[118:119], v[104:105], v[116:117] op_sel:[0,0,1] op_sel_hi:[1,0,0]
	s_delay_alu instid0(VALU_DEP_1)
	v_mov_b32_e32 v121, v117
	ds_load_2addr_b64 v[116:119], v202 offset0:57 offset1:58
	v_pk_add_f32 v[228:229], v[228:229], v[120:121] neg_lo:[0,1] neg_hi:[0,1]
	s_wait_dscnt 0x0
	v_pk_mul_f32 v[120:121], v[116:117], v[106:107] op_sel:[0,1]
	v_mul_f32_e32 v106, v119, v107
	s_delay_alu instid0(VALU_DEP_2) | instskip(SKIP_2) | instid1(VALU_DEP_4)
	v_pk_fma_f32 v[122:123], v[116:117], v[104:105], v[120:121] op_sel:[0,0,1] op_sel_hi:[1,1,0] neg_lo:[0,0,1] neg_hi:[0,0,1]
	v_pk_fma_f32 v[116:117], v[116:117], v[104:105], v[120:121] op_sel:[0,0,1] op_sel_hi:[1,0,0]
	v_dual_mov_b32 v116, v119 :: v_dual_mul_f32 v104, v119, v104
	v_pk_fma_f32 v[106:107], v[118:119], v[144:145], v[106:107] op_sel_hi:[1,1,0] neg_lo:[0,0,1] neg_hi:[0,0,1]
	s_delay_alu instid0(VALU_DEP_3) | instskip(NEXT) | instid1(VALU_DEP_1)
	v_dual_mov_b32 v123, v117 :: v_dual_mov_b32 v117, v118
	v_pk_add_f32 v[234:235], v[234:235], v[122:123] neg_lo:[0,1] neg_hi:[0,1]
	s_delay_alu instid0(VALU_DEP_2) | instskip(NEXT) | instid1(VALU_DEP_1)
	v_pk_fma_f32 v[104:105], v[116:117], v[144:145], v[104:105] op_sel_hi:[1,1,0]
	v_mov_b32_e32 v107, v105
	s_delay_alu instid0(VALU_DEP_1)
	v_pk_add_f32 v[236:237], v[236:237], v[106:107] neg_lo:[0,1] neg_hi:[0,1]
.LBB117_316:
	s_or_b32 exec_lo, exec_lo, s1
	s_delay_alu instid0(SALU_CYCLE_1)
	s_mov_b32 s2, exec_lo
	s_wait_dscnt 0x0
	s_barrier_signal -1
	s_barrier_wait -1
	v_cmpx_eq_u32_e32 35, v200
	s_cbranch_execz .LBB117_323
; %bb.317:
	v_dual_mov_b32 v104, v162 :: v_dual_mov_b32 v105, v163
	v_dual_mov_b32 v106, v158 :: v_dual_mov_b32 v107, v159
	ds_store_b64 v201, v[140:141]
	ds_store_2addr_b64 v202, v[104:105], v[106:107] offset0:36 offset1:37
	v_dual_mov_b32 v104, v160 :: v_dual_mov_b32 v105, v161
	v_dual_mov_b32 v106, v156 :: v_dual_mov_b32 v107, v157
	ds_store_2addr_b64 v202, v[104:105], v[106:107] offset0:38 offset1:39
	v_dual_mov_b32 v104, v178 :: v_dual_mov_b32 v105, v179
	v_dual_mov_b32 v106, v174 :: v_dual_mov_b32 v107, v175
	;; [unrolled: 3-line block ×10, first 2 shown]
	ds_store_2addr_b64 v202, v[104:105], v[106:107] offset0:56 offset1:57
	ds_store_b64 v202, v[236:237] offset:464
	ds_load_b64 v[104:105], v201
	s_wait_dscnt 0x0
	v_cmp_neq_f32_e32 vcc_lo, 0, v104
	v_cmp_neq_f32_e64 s1, 0, v105
	s_or_b32 s1, vcc_lo, s1
	s_delay_alu instid0(SALU_CYCLE_1)
	s_and_b32 exec_lo, exec_lo, s1
	s_cbranch_execz .LBB117_323
; %bb.318:
	v_cmp_ngt_f32_e64 s1, |v104|, |v105|
                                        ; implicit-def: $vgpr106_vgpr107
	s_and_saveexec_b32 s4, s1
	s_delay_alu instid0(SALU_CYCLE_1)
	s_xor_b32 s1, exec_lo, s4
	s_cbranch_execz .LBB117_320
; %bb.319:
	v_div_scale_f32 v106, null, v105, v105, v104
	v_div_scale_f32 v117, vcc_lo, v104, v105, v104
	s_delay_alu instid0(VALU_DEP_2) | instskip(SKIP_1) | instid1(TRANS32_DEP_1)
	v_rcp_f32_e32 v107, v106
	v_nop
	v_fma_f32 v116, -v106, v107, 1.0
	s_delay_alu instid0(VALU_DEP_1) | instskip(NEXT) | instid1(VALU_DEP_1)
	v_fmac_f32_e32 v107, v116, v107
	v_mul_f32_e32 v116, v117, v107
	s_delay_alu instid0(VALU_DEP_1) | instskip(NEXT) | instid1(VALU_DEP_1)
	v_fma_f32 v118, -v106, v116, v117
	v_fmac_f32_e32 v116, v118, v107
	s_delay_alu instid0(VALU_DEP_1) | instskip(NEXT) | instid1(VALU_DEP_1)
	v_fma_f32 v106, -v106, v116, v117
	v_div_fmas_f32 v106, v106, v107, v116
	s_delay_alu instid0(VALU_DEP_1) | instskip(NEXT) | instid1(VALU_DEP_1)
	v_div_fixup_f32 v106, v106, v105, v104
	v_fmac_f32_e32 v105, v104, v106
	s_delay_alu instid0(VALU_DEP_1) | instskip(SKIP_1) | instid1(VALU_DEP_2)
	v_div_scale_f32 v104, null, v105, v105, 1.0
	v_div_scale_f32 v117, vcc_lo, 1.0, v105, 1.0
	v_rcp_f32_e32 v107, v104
	v_nop
	s_delay_alu instid0(TRANS32_DEP_1) | instskip(NEXT) | instid1(VALU_DEP_1)
	v_fma_f32 v116, -v104, v107, 1.0
	v_fmac_f32_e32 v107, v116, v107
	s_delay_alu instid0(VALU_DEP_1) | instskip(NEXT) | instid1(VALU_DEP_1)
	v_mul_f32_e32 v116, v117, v107
	v_fma_f32 v118, -v104, v116, v117
	s_delay_alu instid0(VALU_DEP_1) | instskip(NEXT) | instid1(VALU_DEP_1)
	v_fmac_f32_e32 v116, v118, v107
	v_fma_f32 v104, -v104, v116, v117
	s_delay_alu instid0(VALU_DEP_1) | instskip(NEXT) | instid1(VALU_DEP_1)
	v_div_fmas_f32 v104, v104, v107, v116
	v_div_fixup_f32 v104, v104, v105, 1.0
	s_delay_alu instid0(VALU_DEP_1)
	v_mul_f32_e32 v106, v106, v104
	v_xor_b32_e32 v107, 0x80000000, v104
                                        ; implicit-def: $vgpr104_vgpr105
.LBB117_320:
	s_and_not1_saveexec_b32 s1, s1
	s_cbranch_execz .LBB117_322
; %bb.321:
	v_div_scale_f32 v106, null, v104, v104, v105
	v_div_scale_f32 v117, vcc_lo, v105, v104, v105
	s_delay_alu instid0(VALU_DEP_2) | instskip(SKIP_1) | instid1(TRANS32_DEP_1)
	v_rcp_f32_e32 v107, v106
	v_nop
	v_fma_f32 v116, -v106, v107, 1.0
	s_delay_alu instid0(VALU_DEP_1) | instskip(NEXT) | instid1(VALU_DEP_1)
	v_fmac_f32_e32 v107, v116, v107
	v_mul_f32_e32 v116, v117, v107
	s_delay_alu instid0(VALU_DEP_1) | instskip(NEXT) | instid1(VALU_DEP_1)
	v_fma_f32 v118, -v106, v116, v117
	v_fmac_f32_e32 v116, v118, v107
	s_delay_alu instid0(VALU_DEP_1) | instskip(NEXT) | instid1(VALU_DEP_1)
	v_fma_f32 v106, -v106, v116, v117
	v_div_fmas_f32 v106, v106, v107, v116
	s_delay_alu instid0(VALU_DEP_1) | instskip(NEXT) | instid1(VALU_DEP_1)
	v_div_fixup_f32 v107, v106, v104, v105
	v_fmac_f32_e32 v104, v105, v107
	s_delay_alu instid0(VALU_DEP_1) | instskip(NEXT) | instid1(VALU_DEP_1)
	v_div_scale_f32 v105, null, v104, v104, 1.0
	v_rcp_f32_e32 v106, v105
	v_nop
	s_delay_alu instid0(TRANS32_DEP_1) | instskip(NEXT) | instid1(VALU_DEP_1)
	v_fma_f32 v116, -v105, v106, 1.0
	v_fmac_f32_e32 v106, v116, v106
	v_div_scale_f32 v116, vcc_lo, 1.0, v104, 1.0
	s_delay_alu instid0(VALU_DEP_1) | instskip(NEXT) | instid1(VALU_DEP_1)
	v_mul_f32_e32 v117, v116, v106
	v_fma_f32 v118, -v105, v117, v116
	s_delay_alu instid0(VALU_DEP_1) | instskip(NEXT) | instid1(VALU_DEP_1)
	v_fmac_f32_e32 v117, v118, v106
	v_fma_f32 v105, -v105, v117, v116
	s_delay_alu instid0(VALU_DEP_1) | instskip(NEXT) | instid1(VALU_DEP_1)
	v_div_fmas_f32 v105, v105, v106, v117
	v_div_fixup_f32 v106, v105, v104, 1.0
	s_delay_alu instid0(VALU_DEP_1)
	v_mul_f32_e64 v107, v107, -v106
.LBB117_322:
	s_or_b32 exec_lo, exec_lo, s1
	ds_store_b64 v201, v[106:107]
.LBB117_323:
	s_or_b32 exec_lo, exec_lo, s2
	s_wait_dscnt 0x0
	s_barrier_signal -1
	s_barrier_wait -1
	ds_load_b64 v[104:105], v201
	s_mov_b32 s1, exec_lo
	v_cmpx_lt_u32_e32 35, v200
	s_cbranch_execz .LBB117_325
; %bb.324:
	ds_load_2addr_b64 v[118:121], v202 offset0:36 offset1:37
	s_wait_dscnt 0x1
	v_pk_mul_f32 v[116:117], v[104:105], v[140:141] op_sel:[1,1] op_sel_hi:[0,1]
	s_delay_alu instid0(VALU_DEP_1) | instskip(SKIP_1) | instid1(VALU_DEP_1)
	v_pk_fma_f32 v[106:107], v[104:105], v[140:141], v[116:117] op_sel_hi:[1,0,1] neg_lo:[0,0,1] neg_hi:[0,0,1]
	v_pk_fma_f32 v[116:117], v[104:105], v[140:141], v[116:117] op_sel_hi:[1,0,1]
	v_dual_mov_b32 v140, v106 :: v_dual_mov_b32 v141, v117
	s_wait_dscnt 0x0
	s_delay_alu instid0(VALU_DEP_2) | instskip(NEXT) | instid1(VALU_DEP_1)
	v_pk_mul_f32 v[122:123], v[118:119], v[116:117] op_sel:[0,1]
	v_pk_fma_f32 v[132:133], v[118:119], v[106:107], v[122:123] op_sel:[0,0,1] op_sel_hi:[1,1,0] neg_lo:[0,0,1] neg_hi:[0,0,1]
	v_pk_fma_f32 v[118:119], v[118:119], v[106:107], v[122:123] op_sel:[0,0,1] op_sel_hi:[1,0,0]
	s_delay_alu instid0(VALU_DEP_1) | instskip(SKIP_1) | instid1(VALU_DEP_1)
	v_mov_b32_e32 v133, v119
	v_pk_mul_f32 v[118:119], v[120:121], v[116:117] op_sel:[0,1]
	v_pk_fma_f32 v[122:123], v[120:121], v[106:107], v[118:119] op_sel:[0,0,1] op_sel_hi:[1,1,0] neg_lo:[0,0,1] neg_hi:[0,0,1]
	v_pk_fma_f32 v[118:119], v[120:121], v[106:107], v[118:119] op_sel:[0,0,1] op_sel_hi:[1,0,0]
	s_delay_alu instid0(VALU_DEP_1)
	v_mov_b32_e32 v123, v119
	ds_load_2addr_b64 v[118:121], v202 offset0:38 offset1:39
	v_pk_add_f32 v[162:163], v[162:163], v[132:133] neg_lo:[0,1] neg_hi:[0,1]
	v_pk_add_f32 v[158:159], v[158:159], v[122:123] neg_lo:[0,1] neg_hi:[0,1]
	s_wait_dscnt 0x0
	v_pk_mul_f32 v[122:123], v[118:119], v[116:117] op_sel:[0,1]
	s_delay_alu instid0(VALU_DEP_1) | instskip(SKIP_2) | instid1(VALU_DEP_2)
	v_pk_fma_f32 v[132:133], v[118:119], v[106:107], v[122:123] op_sel:[0,0,1] op_sel_hi:[1,1,0] neg_lo:[0,0,1] neg_hi:[0,0,1]
	v_pk_fma_f32 v[118:119], v[118:119], v[106:107], v[122:123] op_sel:[0,0,1] op_sel_hi:[1,0,0]
	v_dual_mul_f32 v122, v121, v117 :: v_dual_mov_b32 v118, v121
	v_dual_mov_b32 v133, v119 :: v_dual_mov_b32 v119, v120
	s_delay_alu instid0(VALU_DEP_2) | instskip(SKIP_1) | instid1(VALU_DEP_3)
	v_pk_fma_f32 v[122:123], v[120:121], v[140:141], v[122:123] op_sel_hi:[1,1,0] neg_lo:[0,0,1] neg_hi:[0,0,1]
	v_mul_f32_e32 v120, v121, v106
	v_pk_add_f32 v[160:161], v[160:161], v[132:133] neg_lo:[0,1] neg_hi:[0,1]
	s_delay_alu instid0(VALU_DEP_2) | instskip(NEXT) | instid1(VALU_DEP_1)
	v_pk_fma_f32 v[118:119], v[118:119], v[140:141], v[120:121] op_sel_hi:[1,1,0]
	v_mov_b32_e32 v123, v119
	ds_load_2addr_b64 v[118:121], v202 offset0:40 offset1:41
	v_pk_add_f32 v[156:157], v[156:157], v[122:123] neg_lo:[0,1] neg_hi:[0,1]
	s_wait_dscnt 0x0
	v_pk_mul_f32 v[122:123], v[118:119], v[116:117] op_sel:[0,1]
	s_delay_alu instid0(VALU_DEP_1) | instskip(SKIP_1) | instid1(VALU_DEP_1)
	v_pk_fma_f32 v[132:133], v[118:119], v[106:107], v[122:123] op_sel:[0,0,1] op_sel_hi:[1,1,0] neg_lo:[0,0,1] neg_hi:[0,0,1]
	v_pk_fma_f32 v[118:119], v[118:119], v[106:107], v[122:123] op_sel:[0,0,1] op_sel_hi:[1,0,0]
	v_mov_b32_e32 v133, v119
	v_pk_mul_f32 v[118:119], v[120:121], v[116:117] op_sel:[0,1]
	s_delay_alu instid0(VALU_DEP_1) | instskip(SKIP_1) | instid1(VALU_DEP_1)
	v_pk_fma_f32 v[122:123], v[120:121], v[106:107], v[118:119] op_sel:[0,0,1] op_sel_hi:[1,1,0] neg_lo:[0,0,1] neg_hi:[0,0,1]
	v_pk_fma_f32 v[118:119], v[120:121], v[106:107], v[118:119] op_sel:[0,0,1] op_sel_hi:[1,0,0]
	v_mov_b32_e32 v123, v119
	ds_load_2addr_b64 v[118:121], v202 offset0:42 offset1:43
	v_pk_add_f32 v[178:179], v[178:179], v[132:133] neg_lo:[0,1] neg_hi:[0,1]
	v_pk_add_f32 v[174:175], v[174:175], v[122:123] neg_lo:[0,1] neg_hi:[0,1]
	s_wait_dscnt 0x0
	v_pk_mul_f32 v[122:123], v[118:119], v[116:117] op_sel:[0,1]
	s_delay_alu instid0(VALU_DEP_1) | instskip(SKIP_1) | instid1(VALU_DEP_1)
	v_pk_fma_f32 v[132:133], v[118:119], v[106:107], v[122:123] op_sel:[0,0,1] op_sel_hi:[1,1,0] neg_lo:[0,0,1] neg_hi:[0,0,1]
	v_pk_fma_f32 v[118:119], v[118:119], v[106:107], v[122:123] op_sel:[0,0,1] op_sel_hi:[1,0,0]
	v_mov_b32_e32 v133, v119
	v_pk_mul_f32 v[118:119], v[120:121], v[116:117] op_sel:[0,1]
	s_delay_alu instid0(VALU_DEP_1) | instskip(SKIP_1) | instid1(VALU_DEP_1)
	v_pk_fma_f32 v[122:123], v[120:121], v[106:107], v[118:119] op_sel:[0,0,1] op_sel_hi:[1,1,0] neg_lo:[0,0,1] neg_hi:[0,0,1]
	v_pk_fma_f32 v[118:119], v[120:121], v[106:107], v[118:119] op_sel:[0,0,1] op_sel_hi:[1,0,0]
	v_mov_b32_e32 v123, v119
	ds_load_2addr_b64 v[118:121], v202 offset0:44 offset1:45
	v_pk_add_f32 v[176:177], v[176:177], v[132:133] neg_lo:[0,1] neg_hi:[0,1]
	v_pk_add_f32 v[172:173], v[172:173], v[122:123] neg_lo:[0,1] neg_hi:[0,1]
	s_wait_dscnt 0x0
	v_dual_mul_f32 v122, v119, v117 :: v_dual_mul_f32 v132, v119, v106
	s_delay_alu instid0(VALU_DEP_1) | instskip(NEXT) | instid1(VALU_DEP_2)
	v_pk_fma_f32 v[122:123], v[118:119], v[140:141], v[122:123] op_sel_hi:[1,1,0] neg_lo:[0,0,1] neg_hi:[0,0,1]
	v_pk_fma_f32 v[118:119], v[118:119], v[140:141], v[132:133] op_sel:[1,0,0] op_sel_hi:[0,1,0]
	s_delay_alu instid0(VALU_DEP_1) | instskip(SKIP_1) | instid1(VALU_DEP_2)
	v_mov_b32_e32 v123, v119
	v_pk_mul_f32 v[118:119], v[120:121], v[116:117] op_sel:[0,1]
	v_pk_add_f32 v[194:195], v[194:195], v[122:123] neg_lo:[0,1] neg_hi:[0,1]
	s_delay_alu instid0(VALU_DEP_2) | instskip(SKIP_1) | instid1(VALU_DEP_1)
	v_pk_fma_f32 v[122:123], v[120:121], v[106:107], v[118:119] op_sel:[0,0,1] op_sel_hi:[1,1,0] neg_lo:[0,0,1] neg_hi:[0,0,1]
	v_pk_fma_f32 v[118:119], v[120:121], v[106:107], v[118:119] op_sel:[0,0,1] op_sel_hi:[1,0,0]
	v_mov_b32_e32 v123, v119
	ds_load_2addr_b64 v[118:121], v202 offset0:46 offset1:47
	v_pk_add_f32 v[190:191], v[190:191], v[122:123] neg_lo:[0,1] neg_hi:[0,1]
	s_wait_dscnt 0x0
	v_pk_mul_f32 v[122:123], v[118:119], v[116:117] op_sel:[0,1]
	s_delay_alu instid0(VALU_DEP_1) | instskip(SKIP_1) | instid1(VALU_DEP_1)
	v_pk_fma_f32 v[132:133], v[118:119], v[106:107], v[122:123] op_sel:[0,0,1] op_sel_hi:[1,1,0] neg_lo:[0,0,1] neg_hi:[0,0,1]
	v_pk_fma_f32 v[118:119], v[118:119], v[106:107], v[122:123] op_sel:[0,0,1] op_sel_hi:[1,0,0]
	v_mov_b32_e32 v133, v119
	v_pk_mul_f32 v[118:119], v[120:121], v[116:117] op_sel:[0,1]
	s_delay_alu instid0(VALU_DEP_2) | instskip(NEXT) | instid1(VALU_DEP_2)
	v_pk_add_f32 v[192:193], v[192:193], v[132:133] neg_lo:[0,1] neg_hi:[0,1]
	v_pk_fma_f32 v[122:123], v[120:121], v[106:107], v[118:119] op_sel:[0,0,1] op_sel_hi:[1,1,0] neg_lo:[0,0,1] neg_hi:[0,0,1]
	v_pk_fma_f32 v[118:119], v[120:121], v[106:107], v[118:119] op_sel:[0,0,1] op_sel_hi:[1,0,0]
	s_delay_alu instid0(VALU_DEP_1) | instskip(SKIP_4) | instid1(VALU_DEP_1)
	v_mov_b32_e32 v123, v119
	ds_load_2addr_b64 v[118:121], v202 offset0:48 offset1:49
	v_pk_add_f32 v[188:189], v[188:189], v[122:123] neg_lo:[0,1] neg_hi:[0,1]
	s_wait_dscnt 0x0
	v_pk_mul_f32 v[122:123], v[118:119], v[116:117] op_sel:[0,1]
	v_pk_fma_f32 v[132:133], v[118:119], v[106:107], v[122:123] op_sel:[0,0,1] op_sel_hi:[1,1,0] neg_lo:[0,0,1] neg_hi:[0,0,1]
	v_pk_fma_f32 v[118:119], v[118:119], v[106:107], v[122:123] op_sel:[0,0,1] op_sel_hi:[1,0,0]
	v_dual_mul_f32 v122, v121, v117 :: v_dual_mov_b32 v118, v121
	s_delay_alu instid0(VALU_DEP_2) | instskip(NEXT) | instid1(VALU_DEP_2)
	v_dual_mov_b32 v133, v119 :: v_dual_mov_b32 v119, v120
	v_pk_fma_f32 v[122:123], v[120:121], v[140:141], v[122:123] op_sel_hi:[1,1,0] neg_lo:[0,0,1] neg_hi:[0,0,1]
	v_mul_f32_e32 v120, v121, v106
	s_delay_alu instid0(VALU_DEP_3) | instskip(NEXT) | instid1(VALU_DEP_2)
	v_pk_add_f32 v[212:213], v[212:213], v[132:133] neg_lo:[0,1] neg_hi:[0,1]
	v_pk_fma_f32 v[118:119], v[118:119], v[140:141], v[120:121] op_sel_hi:[1,1,0]
	s_delay_alu instid0(VALU_DEP_1) | instskip(SKIP_4) | instid1(VALU_DEP_1)
	v_mov_b32_e32 v123, v119
	ds_load_2addr_b64 v[118:121], v202 offset0:50 offset1:51
	v_pk_add_f32 v[208:209], v[208:209], v[122:123] neg_lo:[0,1] neg_hi:[0,1]
	s_wait_dscnt 0x0
	v_pk_mul_f32 v[122:123], v[118:119], v[116:117] op_sel:[0,1]
	v_pk_fma_f32 v[132:133], v[118:119], v[106:107], v[122:123] op_sel:[0,0,1] op_sel_hi:[1,1,0] neg_lo:[0,0,1] neg_hi:[0,0,1]
	v_pk_fma_f32 v[118:119], v[118:119], v[106:107], v[122:123] op_sel:[0,0,1] op_sel_hi:[1,0,0]
	s_delay_alu instid0(VALU_DEP_1) | instskip(SKIP_1) | instid1(VALU_DEP_1)
	v_mov_b32_e32 v133, v119
	v_pk_mul_f32 v[118:119], v[120:121], v[116:117] op_sel:[0,1]
	v_pk_fma_f32 v[122:123], v[120:121], v[106:107], v[118:119] op_sel:[0,0,1] op_sel_hi:[1,1,0] neg_lo:[0,0,1] neg_hi:[0,0,1]
	v_pk_fma_f32 v[118:119], v[120:121], v[106:107], v[118:119] op_sel:[0,0,1] op_sel_hi:[1,0,0]
	s_delay_alu instid0(VALU_DEP_1)
	v_mov_b32_e32 v123, v119
	ds_load_2addr_b64 v[118:121], v202 offset0:52 offset1:53
	v_pk_add_f32 v[210:211], v[210:211], v[132:133] neg_lo:[0,1] neg_hi:[0,1]
	v_pk_add_f32 v[206:207], v[206:207], v[122:123] neg_lo:[0,1] neg_hi:[0,1]
	s_wait_dscnt 0x0
	v_pk_mul_f32 v[122:123], v[118:119], v[116:117] op_sel:[0,1]
	s_delay_alu instid0(VALU_DEP_1) | instskip(SKIP_1) | instid1(VALU_DEP_1)
	v_pk_fma_f32 v[132:133], v[118:119], v[106:107], v[122:123] op_sel:[0,0,1] op_sel_hi:[1,1,0] neg_lo:[0,0,1] neg_hi:[0,0,1]
	v_pk_fma_f32 v[118:119], v[118:119], v[106:107], v[122:123] op_sel:[0,0,1] op_sel_hi:[1,0,0]
	v_mov_b32_e32 v133, v119
	v_pk_mul_f32 v[118:119], v[120:121], v[116:117] op_sel:[0,1]
	s_delay_alu instid0(VALU_DEP_1) | instskip(SKIP_1) | instid1(VALU_DEP_1)
	v_pk_fma_f32 v[122:123], v[120:121], v[106:107], v[118:119] op_sel:[0,0,1] op_sel_hi:[1,1,0] neg_lo:[0,0,1] neg_hi:[0,0,1]
	v_pk_fma_f32 v[118:119], v[120:121], v[106:107], v[118:119] op_sel:[0,0,1] op_sel_hi:[1,0,0]
	v_mov_b32_e32 v123, v119
	ds_load_2addr_b64 v[118:121], v202 offset0:54 offset1:55
	v_pk_add_f32 v[232:233], v[232:233], v[132:133] neg_lo:[0,1] neg_hi:[0,1]
	v_pk_add_f32 v[226:227], v[226:227], v[122:123] neg_lo:[0,1] neg_hi:[0,1]
	s_wait_dscnt 0x0
	v_dual_mul_f32 v122, v119, v117 :: v_dual_mul_f32 v132, v119, v106
	s_delay_alu instid0(VALU_DEP_1) | instskip(NEXT) | instid1(VALU_DEP_2)
	v_pk_fma_f32 v[122:123], v[118:119], v[140:141], v[122:123] op_sel_hi:[1,1,0] neg_lo:[0,0,1] neg_hi:[0,0,1]
	v_pk_fma_f32 v[118:119], v[118:119], v[140:141], v[132:133] op_sel:[1,0,0] op_sel_hi:[0,1,0]
	s_delay_alu instid0(VALU_DEP_1) | instskip(SKIP_1) | instid1(VALU_DEP_2)
	v_mov_b32_e32 v123, v119
	v_pk_mul_f32 v[118:119], v[120:121], v[116:117] op_sel:[0,1]
	v_pk_add_f32 v[230:231], v[230:231], v[122:123] neg_lo:[0,1] neg_hi:[0,1]
	s_delay_alu instid0(VALU_DEP_2) | instskip(SKIP_1) | instid1(VALU_DEP_1)
	v_pk_fma_f32 v[122:123], v[120:121], v[106:107], v[118:119] op_sel:[0,0,1] op_sel_hi:[1,1,0] neg_lo:[0,0,1] neg_hi:[0,0,1]
	v_pk_fma_f32 v[118:119], v[120:121], v[106:107], v[118:119] op_sel:[0,0,1] op_sel_hi:[1,0,0]
	v_mov_b32_e32 v123, v119
	ds_load_2addr_b64 v[118:121], v202 offset0:56 offset1:57
	v_pk_add_f32 v[224:225], v[224:225], v[122:123] neg_lo:[0,1] neg_hi:[0,1]
	s_wait_dscnt 0x0
	v_pk_mul_f32 v[122:123], v[118:119], v[116:117] op_sel:[0,1]
	s_delay_alu instid0(VALU_DEP_1) | instskip(SKIP_1) | instid1(VALU_DEP_1)
	v_pk_fma_f32 v[132:133], v[118:119], v[106:107], v[122:123] op_sel:[0,0,1] op_sel_hi:[1,1,0] neg_lo:[0,0,1] neg_hi:[0,0,1]
	v_pk_fma_f32 v[118:119], v[118:119], v[106:107], v[122:123] op_sel:[0,0,1] op_sel_hi:[1,0,0]
	v_mov_b32_e32 v133, v119
	v_pk_mul_f32 v[118:119], v[120:121], v[116:117] op_sel:[0,1]
	s_delay_alu instid0(VALU_DEP_2) | instskip(NEXT) | instid1(VALU_DEP_2)
	v_pk_add_f32 v[228:229], v[228:229], v[132:133] neg_lo:[0,1] neg_hi:[0,1]
	v_pk_fma_f32 v[122:123], v[120:121], v[106:107], v[118:119] op_sel:[0,0,1] op_sel_hi:[1,1,0] neg_lo:[0,0,1] neg_hi:[0,0,1]
	v_pk_fma_f32 v[118:119], v[120:121], v[106:107], v[118:119] op_sel:[0,0,1] op_sel_hi:[1,0,0]
	s_delay_alu instid0(VALU_DEP_1) | instskip(SKIP_4) | instid1(VALU_DEP_1)
	v_mov_b32_e32 v123, v119
	ds_load_b64 v[118:119], v202 offset:464
	v_pk_add_f32 v[234:235], v[234:235], v[122:123] neg_lo:[0,1] neg_hi:[0,1]
	s_wait_dscnt 0x0
	v_pk_mul_f32 v[116:117], v[118:119], v[116:117] op_sel:[0,1]
	v_pk_fma_f32 v[120:121], v[118:119], v[106:107], v[116:117] op_sel:[0,0,1] op_sel_hi:[1,1,0] neg_lo:[0,0,1] neg_hi:[0,0,1]
	v_pk_fma_f32 v[106:107], v[118:119], v[106:107], v[116:117] op_sel:[0,0,1] op_sel_hi:[1,0,0]
	s_delay_alu instid0(VALU_DEP_1) | instskip(NEXT) | instid1(VALU_DEP_1)
	v_mov_b32_e32 v121, v107
	v_pk_add_f32 v[236:237], v[236:237], v[120:121] neg_lo:[0,1] neg_hi:[0,1]
.LBB117_325:
	s_or_b32 exec_lo, exec_lo, s1
	s_delay_alu instid0(SALU_CYCLE_1)
	s_mov_b32 s2, exec_lo
	s_wait_dscnt 0x0
	s_barrier_signal -1
	s_barrier_wait -1
	v_cmpx_eq_u32_e32 36, v200
	s_cbranch_execz .LBB117_332
; %bb.326:
	ds_store_b64 v201, v[162:163]
	ds_store_2addr_b64 v202, v[158:159], v[160:161] offset0:37 offset1:38
	ds_store_2addr_b64 v202, v[156:157], v[178:179] offset0:39 offset1:40
	;; [unrolled: 1-line block ×11, first 2 shown]
	ds_load_b64 v[106:107], v201
	s_wait_dscnt 0x0
	v_cmp_neq_f32_e32 vcc_lo, 0, v106
	v_cmp_neq_f32_e64 s1, 0, v107
	s_or_b32 s1, vcc_lo, s1
	s_delay_alu instid0(SALU_CYCLE_1)
	s_and_b32 exec_lo, exec_lo, s1
	s_cbranch_execz .LBB117_332
; %bb.327:
	v_cmp_ngt_f32_e64 s1, |v106|, |v107|
                                        ; implicit-def: $vgpr116_vgpr117
	s_and_saveexec_b32 s4, s1
	s_delay_alu instid0(SALU_CYCLE_1)
	s_xor_b32 s1, exec_lo, s4
	s_cbranch_execz .LBB117_329
; %bb.328:
	v_div_scale_f32 v116, null, v107, v107, v106
	v_div_scale_f32 v119, vcc_lo, v106, v107, v106
	s_delay_alu instid0(VALU_DEP_2) | instskip(SKIP_1) | instid1(TRANS32_DEP_1)
	v_rcp_f32_e32 v117, v116
	v_nop
	v_fma_f32 v118, -v116, v117, 1.0
	s_delay_alu instid0(VALU_DEP_1) | instskip(NEXT) | instid1(VALU_DEP_1)
	v_fmac_f32_e32 v117, v118, v117
	v_mul_f32_e32 v118, v119, v117
	s_delay_alu instid0(VALU_DEP_1) | instskip(NEXT) | instid1(VALU_DEP_1)
	v_fma_f32 v120, -v116, v118, v119
	v_fmac_f32_e32 v118, v120, v117
	s_delay_alu instid0(VALU_DEP_1) | instskip(NEXT) | instid1(VALU_DEP_1)
	v_fma_f32 v116, -v116, v118, v119
	v_div_fmas_f32 v116, v116, v117, v118
	s_delay_alu instid0(VALU_DEP_1) | instskip(NEXT) | instid1(VALU_DEP_1)
	v_div_fixup_f32 v116, v116, v107, v106
	v_fmac_f32_e32 v107, v106, v116
	s_delay_alu instid0(VALU_DEP_1) | instskip(SKIP_1) | instid1(VALU_DEP_2)
	v_div_scale_f32 v106, null, v107, v107, 1.0
	v_div_scale_f32 v119, vcc_lo, 1.0, v107, 1.0
	v_rcp_f32_e32 v117, v106
	v_nop
	s_delay_alu instid0(TRANS32_DEP_1) | instskip(NEXT) | instid1(VALU_DEP_1)
	v_fma_f32 v118, -v106, v117, 1.0
	v_fmac_f32_e32 v117, v118, v117
	s_delay_alu instid0(VALU_DEP_1) | instskip(NEXT) | instid1(VALU_DEP_1)
	v_mul_f32_e32 v118, v119, v117
	v_fma_f32 v120, -v106, v118, v119
	s_delay_alu instid0(VALU_DEP_1) | instskip(NEXT) | instid1(VALU_DEP_1)
	v_fmac_f32_e32 v118, v120, v117
	v_fma_f32 v106, -v106, v118, v119
	s_delay_alu instid0(VALU_DEP_1) | instskip(NEXT) | instid1(VALU_DEP_1)
	v_div_fmas_f32 v106, v106, v117, v118
	v_div_fixup_f32 v106, v106, v107, 1.0
	s_delay_alu instid0(VALU_DEP_1)
	v_mul_f32_e32 v116, v116, v106
	v_xor_b32_e32 v117, 0x80000000, v106
                                        ; implicit-def: $vgpr106_vgpr107
.LBB117_329:
	s_and_not1_saveexec_b32 s1, s1
	s_cbranch_execz .LBB117_331
; %bb.330:
	v_div_scale_f32 v116, null, v106, v106, v107
	v_div_scale_f32 v119, vcc_lo, v107, v106, v107
	s_delay_alu instid0(VALU_DEP_2) | instskip(SKIP_1) | instid1(TRANS32_DEP_1)
	v_rcp_f32_e32 v117, v116
	v_nop
	v_fma_f32 v118, -v116, v117, 1.0
	s_delay_alu instid0(VALU_DEP_1) | instskip(NEXT) | instid1(VALU_DEP_1)
	v_fmac_f32_e32 v117, v118, v117
	v_mul_f32_e32 v118, v119, v117
	s_delay_alu instid0(VALU_DEP_1) | instskip(NEXT) | instid1(VALU_DEP_1)
	v_fma_f32 v120, -v116, v118, v119
	v_fmac_f32_e32 v118, v120, v117
	s_delay_alu instid0(VALU_DEP_1) | instskip(NEXT) | instid1(VALU_DEP_1)
	v_fma_f32 v116, -v116, v118, v119
	v_div_fmas_f32 v116, v116, v117, v118
	s_delay_alu instid0(VALU_DEP_1) | instskip(NEXT) | instid1(VALU_DEP_1)
	v_div_fixup_f32 v117, v116, v106, v107
	v_fmac_f32_e32 v106, v107, v117
	s_delay_alu instid0(VALU_DEP_1) | instskip(NEXT) | instid1(VALU_DEP_1)
	v_div_scale_f32 v107, null, v106, v106, 1.0
	v_rcp_f32_e32 v116, v107
	v_nop
	s_delay_alu instid0(TRANS32_DEP_1) | instskip(NEXT) | instid1(VALU_DEP_1)
	v_fma_f32 v118, -v107, v116, 1.0
	v_fmac_f32_e32 v116, v118, v116
	v_div_scale_f32 v118, vcc_lo, 1.0, v106, 1.0
	s_delay_alu instid0(VALU_DEP_1) | instskip(NEXT) | instid1(VALU_DEP_1)
	v_mul_f32_e32 v119, v118, v116
	v_fma_f32 v120, -v107, v119, v118
	s_delay_alu instid0(VALU_DEP_1) | instskip(NEXT) | instid1(VALU_DEP_1)
	v_fmac_f32_e32 v119, v120, v116
	v_fma_f32 v107, -v107, v119, v118
	s_delay_alu instid0(VALU_DEP_1) | instskip(NEXT) | instid1(VALU_DEP_1)
	v_div_fmas_f32 v107, v107, v116, v119
	v_div_fixup_f32 v116, v107, v106, 1.0
	s_delay_alu instid0(VALU_DEP_1)
	v_mul_f32_e64 v117, v117, -v116
.LBB117_331:
	s_or_b32 exec_lo, exec_lo, s1
	ds_store_b64 v201, v[116:117]
.LBB117_332:
	s_or_b32 exec_lo, exec_lo, s2
	s_wait_dscnt 0x0
	s_barrier_signal -1
	s_barrier_wait -1
	ds_load_b64 v[106:107], v201
	s_mov_b32 s1, exec_lo
	v_cmpx_lt_u32_e32 36, v200
	s_cbranch_execz .LBB117_334
; %bb.333:
	ds_load_2addr_b64 v[120:123], v202 offset0:37 offset1:38
	s_wait_dscnt 0x1
	v_pk_mul_f32 v[118:119], v[106:107], v[162:163] op_sel:[1,1] op_sel_hi:[0,1]
	s_delay_alu instid0(VALU_DEP_1) | instskip(SKIP_1) | instid1(VALU_DEP_1)
	v_pk_fma_f32 v[116:117], v[106:107], v[162:163], v[118:119] op_sel_hi:[1,0,1] neg_lo:[0,0,1] neg_hi:[0,0,1]
	v_pk_fma_f32 v[118:119], v[106:107], v[162:163], v[118:119] op_sel_hi:[1,0,1]
	v_dual_mov_b32 v162, v116 :: v_dual_mov_b32 v163, v119
	s_wait_dscnt 0x0
	s_delay_alu instid0(VALU_DEP_2) | instskip(NEXT) | instid1(VALU_DEP_1)
	v_pk_mul_f32 v[132:133], v[120:121], v[118:119] op_sel:[0,1]
	v_pk_fma_f32 v[134:135], v[120:121], v[116:117], v[132:133] op_sel:[0,0,1] op_sel_hi:[1,1,0] neg_lo:[0,0,1] neg_hi:[0,0,1]
	v_pk_fma_f32 v[120:121], v[120:121], v[116:117], v[132:133] op_sel:[0,0,1] op_sel_hi:[1,0,0]
	s_delay_alu instid0(VALU_DEP_1) | instskip(SKIP_1) | instid1(VALU_DEP_1)
	v_mov_b32_e32 v135, v121
	v_pk_mul_f32 v[120:121], v[122:123], v[118:119] op_sel:[0,1]
	v_pk_fma_f32 v[132:133], v[122:123], v[116:117], v[120:121] op_sel:[0,0,1] op_sel_hi:[1,1,0] neg_lo:[0,0,1] neg_hi:[0,0,1]
	v_pk_fma_f32 v[120:121], v[122:123], v[116:117], v[120:121] op_sel:[0,0,1] op_sel_hi:[1,0,0]
	s_delay_alu instid0(VALU_DEP_1)
	v_mov_b32_e32 v133, v121
	ds_load_2addr_b64 v[120:123], v202 offset0:39 offset1:40
	v_pk_add_f32 v[158:159], v[158:159], v[134:135] neg_lo:[0,1] neg_hi:[0,1]
	v_pk_add_f32 v[160:161], v[160:161], v[132:133] neg_lo:[0,1] neg_hi:[0,1]
	s_wait_dscnt 0x0
	v_pk_mul_f32 v[132:133], v[120:121], v[118:119] op_sel:[0,1]
	s_delay_alu instid0(VALU_DEP_1) | instskip(SKIP_2) | instid1(VALU_DEP_2)
	v_pk_fma_f32 v[134:135], v[120:121], v[116:117], v[132:133] op_sel:[0,0,1] op_sel_hi:[1,1,0] neg_lo:[0,0,1] neg_hi:[0,0,1]
	v_pk_fma_f32 v[120:121], v[120:121], v[116:117], v[132:133] op_sel:[0,0,1] op_sel_hi:[1,0,0]
	v_dual_mul_f32 v132, v123, v119 :: v_dual_mov_b32 v120, v123
	v_dual_mov_b32 v135, v121 :: v_dual_mov_b32 v121, v122
	s_delay_alu instid0(VALU_DEP_2) | instskip(SKIP_1) | instid1(VALU_DEP_3)
	v_pk_fma_f32 v[132:133], v[122:123], v[162:163], v[132:133] op_sel_hi:[1,1,0] neg_lo:[0,0,1] neg_hi:[0,0,1]
	v_mul_f32_e32 v122, v123, v116
	v_pk_add_f32 v[156:157], v[156:157], v[134:135] neg_lo:[0,1] neg_hi:[0,1]
	s_delay_alu instid0(VALU_DEP_2) | instskip(NEXT) | instid1(VALU_DEP_1)
	v_pk_fma_f32 v[120:121], v[120:121], v[162:163], v[122:123] op_sel_hi:[1,1,0]
	v_mov_b32_e32 v133, v121
	ds_load_2addr_b64 v[120:123], v202 offset0:41 offset1:42
	v_pk_add_f32 v[178:179], v[178:179], v[132:133] neg_lo:[0,1] neg_hi:[0,1]
	s_wait_dscnt 0x0
	v_pk_mul_f32 v[132:133], v[120:121], v[118:119] op_sel:[0,1]
	s_delay_alu instid0(VALU_DEP_1) | instskip(SKIP_1) | instid1(VALU_DEP_1)
	v_pk_fma_f32 v[134:135], v[120:121], v[116:117], v[132:133] op_sel:[0,0,1] op_sel_hi:[1,1,0] neg_lo:[0,0,1] neg_hi:[0,0,1]
	v_pk_fma_f32 v[120:121], v[120:121], v[116:117], v[132:133] op_sel:[0,0,1] op_sel_hi:[1,0,0]
	v_mov_b32_e32 v135, v121
	v_pk_mul_f32 v[120:121], v[122:123], v[118:119] op_sel:[0,1]
	s_delay_alu instid0(VALU_DEP_1) | instskip(SKIP_1) | instid1(VALU_DEP_1)
	v_pk_fma_f32 v[132:133], v[122:123], v[116:117], v[120:121] op_sel:[0,0,1] op_sel_hi:[1,1,0] neg_lo:[0,0,1] neg_hi:[0,0,1]
	v_pk_fma_f32 v[120:121], v[122:123], v[116:117], v[120:121] op_sel:[0,0,1] op_sel_hi:[1,0,0]
	v_mov_b32_e32 v133, v121
	ds_load_2addr_b64 v[120:123], v202 offset0:43 offset1:44
	v_pk_add_f32 v[174:175], v[174:175], v[134:135] neg_lo:[0,1] neg_hi:[0,1]
	v_pk_add_f32 v[176:177], v[176:177], v[132:133] neg_lo:[0,1] neg_hi:[0,1]
	s_wait_dscnt 0x0
	v_pk_mul_f32 v[132:133], v[120:121], v[118:119] op_sel:[0,1]
	s_delay_alu instid0(VALU_DEP_1) | instskip(SKIP_1) | instid1(VALU_DEP_1)
	v_pk_fma_f32 v[134:135], v[120:121], v[116:117], v[132:133] op_sel:[0,0,1] op_sel_hi:[1,1,0] neg_lo:[0,0,1] neg_hi:[0,0,1]
	v_pk_fma_f32 v[120:121], v[120:121], v[116:117], v[132:133] op_sel:[0,0,1] op_sel_hi:[1,0,0]
	v_mov_b32_e32 v135, v121
	v_pk_mul_f32 v[120:121], v[122:123], v[118:119] op_sel:[0,1]
	s_delay_alu instid0(VALU_DEP_1) | instskip(SKIP_1) | instid1(VALU_DEP_1)
	v_pk_fma_f32 v[132:133], v[122:123], v[116:117], v[120:121] op_sel:[0,0,1] op_sel_hi:[1,1,0] neg_lo:[0,0,1] neg_hi:[0,0,1]
	v_pk_fma_f32 v[120:121], v[122:123], v[116:117], v[120:121] op_sel:[0,0,1] op_sel_hi:[1,0,0]
	v_mov_b32_e32 v133, v121
	ds_load_2addr_b64 v[120:123], v202 offset0:45 offset1:46
	v_pk_add_f32 v[172:173], v[172:173], v[134:135] neg_lo:[0,1] neg_hi:[0,1]
	v_pk_add_f32 v[194:195], v[194:195], v[132:133] neg_lo:[0,1] neg_hi:[0,1]
	s_wait_dscnt 0x0
	v_dual_mul_f32 v132, v121, v119 :: v_dual_mul_f32 v134, v121, v116
	s_delay_alu instid0(VALU_DEP_1) | instskip(NEXT) | instid1(VALU_DEP_2)
	v_pk_fma_f32 v[132:133], v[120:121], v[162:163], v[132:133] op_sel_hi:[1,1,0] neg_lo:[0,0,1] neg_hi:[0,0,1]
	v_pk_fma_f32 v[120:121], v[120:121], v[162:163], v[134:135] op_sel:[1,0,0] op_sel_hi:[0,1,0]
	s_delay_alu instid0(VALU_DEP_1) | instskip(SKIP_1) | instid1(VALU_DEP_2)
	v_mov_b32_e32 v133, v121
	v_pk_mul_f32 v[120:121], v[122:123], v[118:119] op_sel:[0,1]
	v_pk_add_f32 v[190:191], v[190:191], v[132:133] neg_lo:[0,1] neg_hi:[0,1]
	s_delay_alu instid0(VALU_DEP_2) | instskip(SKIP_1) | instid1(VALU_DEP_1)
	v_pk_fma_f32 v[132:133], v[122:123], v[116:117], v[120:121] op_sel:[0,0,1] op_sel_hi:[1,1,0] neg_lo:[0,0,1] neg_hi:[0,0,1]
	v_pk_fma_f32 v[120:121], v[122:123], v[116:117], v[120:121] op_sel:[0,0,1] op_sel_hi:[1,0,0]
	v_mov_b32_e32 v133, v121
	ds_load_2addr_b64 v[120:123], v202 offset0:47 offset1:48
	v_pk_add_f32 v[192:193], v[192:193], v[132:133] neg_lo:[0,1] neg_hi:[0,1]
	s_wait_dscnt 0x0
	v_pk_mul_f32 v[132:133], v[120:121], v[118:119] op_sel:[0,1]
	s_delay_alu instid0(VALU_DEP_1) | instskip(SKIP_1) | instid1(VALU_DEP_1)
	v_pk_fma_f32 v[134:135], v[120:121], v[116:117], v[132:133] op_sel:[0,0,1] op_sel_hi:[1,1,0] neg_lo:[0,0,1] neg_hi:[0,0,1]
	v_pk_fma_f32 v[120:121], v[120:121], v[116:117], v[132:133] op_sel:[0,0,1] op_sel_hi:[1,0,0]
	v_mov_b32_e32 v135, v121
	v_pk_mul_f32 v[120:121], v[122:123], v[118:119] op_sel:[0,1]
	s_delay_alu instid0(VALU_DEP_2) | instskip(NEXT) | instid1(VALU_DEP_2)
	v_pk_add_f32 v[188:189], v[188:189], v[134:135] neg_lo:[0,1] neg_hi:[0,1]
	v_pk_fma_f32 v[132:133], v[122:123], v[116:117], v[120:121] op_sel:[0,0,1] op_sel_hi:[1,1,0] neg_lo:[0,0,1] neg_hi:[0,0,1]
	v_pk_fma_f32 v[120:121], v[122:123], v[116:117], v[120:121] op_sel:[0,0,1] op_sel_hi:[1,0,0]
	s_delay_alu instid0(VALU_DEP_1) | instskip(SKIP_4) | instid1(VALU_DEP_1)
	v_mov_b32_e32 v133, v121
	ds_load_2addr_b64 v[120:123], v202 offset0:49 offset1:50
	v_pk_add_f32 v[212:213], v[212:213], v[132:133] neg_lo:[0,1] neg_hi:[0,1]
	s_wait_dscnt 0x0
	v_pk_mul_f32 v[132:133], v[120:121], v[118:119] op_sel:[0,1]
	v_pk_fma_f32 v[134:135], v[120:121], v[116:117], v[132:133] op_sel:[0,0,1] op_sel_hi:[1,1,0] neg_lo:[0,0,1] neg_hi:[0,0,1]
	v_pk_fma_f32 v[120:121], v[120:121], v[116:117], v[132:133] op_sel:[0,0,1] op_sel_hi:[1,0,0]
	v_dual_mul_f32 v132, v123, v119 :: v_dual_mov_b32 v120, v123
	s_delay_alu instid0(VALU_DEP_2) | instskip(NEXT) | instid1(VALU_DEP_2)
	v_dual_mov_b32 v135, v121 :: v_dual_mov_b32 v121, v122
	v_pk_fma_f32 v[132:133], v[122:123], v[162:163], v[132:133] op_sel_hi:[1,1,0] neg_lo:[0,0,1] neg_hi:[0,0,1]
	v_mul_f32_e32 v122, v123, v116
	s_delay_alu instid0(VALU_DEP_3) | instskip(NEXT) | instid1(VALU_DEP_2)
	v_pk_add_f32 v[208:209], v[208:209], v[134:135] neg_lo:[0,1] neg_hi:[0,1]
	v_pk_fma_f32 v[120:121], v[120:121], v[162:163], v[122:123] op_sel_hi:[1,1,0]
	s_delay_alu instid0(VALU_DEP_1) | instskip(SKIP_4) | instid1(VALU_DEP_1)
	v_mov_b32_e32 v133, v121
	ds_load_2addr_b64 v[120:123], v202 offset0:51 offset1:52
	v_pk_add_f32 v[210:211], v[210:211], v[132:133] neg_lo:[0,1] neg_hi:[0,1]
	s_wait_dscnt 0x0
	v_pk_mul_f32 v[132:133], v[120:121], v[118:119] op_sel:[0,1]
	v_pk_fma_f32 v[134:135], v[120:121], v[116:117], v[132:133] op_sel:[0,0,1] op_sel_hi:[1,1,0] neg_lo:[0,0,1] neg_hi:[0,0,1]
	v_pk_fma_f32 v[120:121], v[120:121], v[116:117], v[132:133] op_sel:[0,0,1] op_sel_hi:[1,0,0]
	s_delay_alu instid0(VALU_DEP_1) | instskip(SKIP_1) | instid1(VALU_DEP_1)
	v_mov_b32_e32 v135, v121
	v_pk_mul_f32 v[120:121], v[122:123], v[118:119] op_sel:[0,1]
	v_pk_fma_f32 v[132:133], v[122:123], v[116:117], v[120:121] op_sel:[0,0,1] op_sel_hi:[1,1,0] neg_lo:[0,0,1] neg_hi:[0,0,1]
	v_pk_fma_f32 v[120:121], v[122:123], v[116:117], v[120:121] op_sel:[0,0,1] op_sel_hi:[1,0,0]
	s_delay_alu instid0(VALU_DEP_1)
	v_mov_b32_e32 v133, v121
	ds_load_2addr_b64 v[120:123], v202 offset0:53 offset1:54
	v_pk_add_f32 v[206:207], v[206:207], v[134:135] neg_lo:[0,1] neg_hi:[0,1]
	v_pk_add_f32 v[232:233], v[232:233], v[132:133] neg_lo:[0,1] neg_hi:[0,1]
	s_wait_dscnt 0x0
	v_pk_mul_f32 v[132:133], v[120:121], v[118:119] op_sel:[0,1]
	s_delay_alu instid0(VALU_DEP_1) | instskip(SKIP_1) | instid1(VALU_DEP_1)
	v_pk_fma_f32 v[134:135], v[120:121], v[116:117], v[132:133] op_sel:[0,0,1] op_sel_hi:[1,1,0] neg_lo:[0,0,1] neg_hi:[0,0,1]
	v_pk_fma_f32 v[120:121], v[120:121], v[116:117], v[132:133] op_sel:[0,0,1] op_sel_hi:[1,0,0]
	v_mov_b32_e32 v135, v121
	v_pk_mul_f32 v[120:121], v[122:123], v[118:119] op_sel:[0,1]
	s_delay_alu instid0(VALU_DEP_1) | instskip(SKIP_1) | instid1(VALU_DEP_1)
	v_pk_fma_f32 v[132:133], v[122:123], v[116:117], v[120:121] op_sel:[0,0,1] op_sel_hi:[1,1,0] neg_lo:[0,0,1] neg_hi:[0,0,1]
	v_pk_fma_f32 v[120:121], v[122:123], v[116:117], v[120:121] op_sel:[0,0,1] op_sel_hi:[1,0,0]
	v_mov_b32_e32 v133, v121
	ds_load_2addr_b64 v[120:123], v202 offset0:55 offset1:56
	v_pk_add_f32 v[226:227], v[226:227], v[134:135] neg_lo:[0,1] neg_hi:[0,1]
	v_pk_add_f32 v[230:231], v[230:231], v[132:133] neg_lo:[0,1] neg_hi:[0,1]
	s_wait_dscnt 0x0
	v_dual_mul_f32 v132, v121, v119 :: v_dual_mul_f32 v134, v121, v116
	s_delay_alu instid0(VALU_DEP_1) | instskip(NEXT) | instid1(VALU_DEP_2)
	v_pk_fma_f32 v[132:133], v[120:121], v[162:163], v[132:133] op_sel_hi:[1,1,0] neg_lo:[0,0,1] neg_hi:[0,0,1]
	v_pk_fma_f32 v[120:121], v[120:121], v[162:163], v[134:135] op_sel:[1,0,0] op_sel_hi:[0,1,0]
	s_delay_alu instid0(VALU_DEP_1) | instskip(SKIP_1) | instid1(VALU_DEP_2)
	v_mov_b32_e32 v133, v121
	v_pk_mul_f32 v[120:121], v[122:123], v[118:119] op_sel:[0,1]
	v_pk_add_f32 v[224:225], v[224:225], v[132:133] neg_lo:[0,1] neg_hi:[0,1]
	s_delay_alu instid0(VALU_DEP_2) | instskip(SKIP_1) | instid1(VALU_DEP_1)
	v_pk_fma_f32 v[132:133], v[122:123], v[116:117], v[120:121] op_sel:[0,0,1] op_sel_hi:[1,1,0] neg_lo:[0,0,1] neg_hi:[0,0,1]
	v_pk_fma_f32 v[120:121], v[122:123], v[116:117], v[120:121] op_sel:[0,0,1] op_sel_hi:[1,0,0]
	v_mov_b32_e32 v133, v121
	ds_load_2addr_b64 v[120:123], v202 offset0:57 offset1:58
	v_pk_add_f32 v[228:229], v[228:229], v[132:133] neg_lo:[0,1] neg_hi:[0,1]
	s_wait_dscnt 0x0
	v_pk_mul_f32 v[132:133], v[120:121], v[118:119] op_sel:[0,1]
	v_pk_mul_f32 v[118:119], v[122:123], v[118:119] op_sel:[0,1]
	s_delay_alu instid0(VALU_DEP_2) | instskip(SKIP_1) | instid1(VALU_DEP_1)
	v_pk_fma_f32 v[134:135], v[120:121], v[116:117], v[132:133] op_sel:[0,0,1] op_sel_hi:[1,1,0] neg_lo:[0,0,1] neg_hi:[0,0,1]
	v_pk_fma_f32 v[120:121], v[120:121], v[116:117], v[132:133] op_sel:[0,0,1] op_sel_hi:[1,0,0]
	v_mov_b32_e32 v135, v121
	s_delay_alu instid0(VALU_DEP_4) | instskip(SKIP_1) | instid1(VALU_DEP_3)
	v_pk_fma_f32 v[120:121], v[122:123], v[116:117], v[118:119] op_sel:[0,0,1] op_sel_hi:[1,1,0] neg_lo:[0,0,1] neg_hi:[0,0,1]
	v_pk_fma_f32 v[116:117], v[122:123], v[116:117], v[118:119] op_sel:[0,0,1] op_sel_hi:[1,0,0]
	v_pk_add_f32 v[234:235], v[234:235], v[134:135] neg_lo:[0,1] neg_hi:[0,1]
	s_delay_alu instid0(VALU_DEP_2) | instskip(NEXT) | instid1(VALU_DEP_1)
	v_mov_b32_e32 v121, v117
	v_pk_add_f32 v[236:237], v[236:237], v[120:121] neg_lo:[0,1] neg_hi:[0,1]
.LBB117_334:
	s_or_b32 exec_lo, exec_lo, s1
	s_delay_alu instid0(SALU_CYCLE_1)
	s_mov_b32 s2, exec_lo
	s_wait_dscnt 0x0
	s_barrier_signal -1
	s_barrier_wait -1
	v_cmpx_eq_u32_e32 37, v200
	s_cbranch_execz .LBB117_341
; %bb.335:
	v_dual_mov_b32 v116, v160 :: v_dual_mov_b32 v117, v161
	v_dual_mov_b32 v118, v156 :: v_dual_mov_b32 v119, v157
	ds_store_b64 v201, v[158:159]
	ds_store_2addr_b64 v202, v[116:117], v[118:119] offset0:38 offset1:39
	v_dual_mov_b32 v116, v178 :: v_dual_mov_b32 v117, v179
	v_dual_mov_b32 v118, v174 :: v_dual_mov_b32 v119, v175
	ds_store_2addr_b64 v202, v[116:117], v[118:119] offset0:40 offset1:41
	v_dual_mov_b32 v116, v176 :: v_dual_mov_b32 v117, v177
	v_dual_mov_b32 v118, v172 :: v_dual_mov_b32 v119, v173
	ds_store_2addr_b64 v202, v[116:117], v[118:119] offset0:42 offset1:43
	v_dual_mov_b32 v116, v194 :: v_dual_mov_b32 v117, v195
	v_dual_mov_b32 v118, v190 :: v_dual_mov_b32 v119, v191
	ds_store_2addr_b64 v202, v[116:117], v[118:119] offset0:44 offset1:45
	v_dual_mov_b32 v116, v192 :: v_dual_mov_b32 v117, v193
	v_dual_mov_b32 v118, v188 :: v_dual_mov_b32 v119, v189
	ds_store_2addr_b64 v202, v[116:117], v[118:119] offset0:46 offset1:47
	v_dual_mov_b32 v116, v212 :: v_dual_mov_b32 v117, v213
	v_dual_mov_b32 v118, v208 :: v_dual_mov_b32 v119, v209
	ds_store_2addr_b64 v202, v[116:117], v[118:119] offset0:48 offset1:49
	v_dual_mov_b32 v116, v210 :: v_dual_mov_b32 v117, v211
	v_dual_mov_b32 v118, v206 :: v_dual_mov_b32 v119, v207
	ds_store_2addr_b64 v202, v[116:117], v[118:119] offset0:50 offset1:51
	v_dual_mov_b32 v116, v232 :: v_dual_mov_b32 v117, v233
	v_dual_mov_b32 v118, v226 :: v_dual_mov_b32 v119, v227
	ds_store_2addr_b64 v202, v[116:117], v[118:119] offset0:52 offset1:53
	v_dual_mov_b32 v116, v230 :: v_dual_mov_b32 v117, v231
	v_dual_mov_b32 v118, v224 :: v_dual_mov_b32 v119, v225
	ds_store_2addr_b64 v202, v[116:117], v[118:119] offset0:54 offset1:55
	v_dual_mov_b32 v116, v228 :: v_dual_mov_b32 v117, v229
	v_dual_mov_b32 v118, v234 :: v_dual_mov_b32 v119, v235
	ds_store_2addr_b64 v202, v[116:117], v[118:119] offset0:56 offset1:57
	ds_store_b64 v202, v[236:237] offset:464
	ds_load_b64 v[116:117], v201
	s_wait_dscnt 0x0
	v_cmp_neq_f32_e32 vcc_lo, 0, v116
	v_cmp_neq_f32_e64 s1, 0, v117
	s_or_b32 s1, vcc_lo, s1
	s_delay_alu instid0(SALU_CYCLE_1)
	s_and_b32 exec_lo, exec_lo, s1
	s_cbranch_execz .LBB117_341
; %bb.336:
	v_cmp_ngt_f32_e64 s1, |v116|, |v117|
                                        ; implicit-def: $vgpr118_vgpr119
	s_and_saveexec_b32 s4, s1
	s_delay_alu instid0(SALU_CYCLE_1)
	s_xor_b32 s1, exec_lo, s4
	s_cbranch_execz .LBB117_338
; %bb.337:
	v_div_scale_f32 v118, null, v117, v117, v116
	v_div_scale_f32 v121, vcc_lo, v116, v117, v116
	s_delay_alu instid0(VALU_DEP_2) | instskip(SKIP_1) | instid1(TRANS32_DEP_1)
	v_rcp_f32_e32 v119, v118
	v_nop
	v_fma_f32 v120, -v118, v119, 1.0
	s_delay_alu instid0(VALU_DEP_1) | instskip(NEXT) | instid1(VALU_DEP_1)
	v_fmac_f32_e32 v119, v120, v119
	v_mul_f32_e32 v120, v121, v119
	s_delay_alu instid0(VALU_DEP_1) | instskip(NEXT) | instid1(VALU_DEP_1)
	v_fma_f32 v122, -v118, v120, v121
	v_fmac_f32_e32 v120, v122, v119
	s_delay_alu instid0(VALU_DEP_1) | instskip(NEXT) | instid1(VALU_DEP_1)
	v_fma_f32 v118, -v118, v120, v121
	v_div_fmas_f32 v118, v118, v119, v120
	s_delay_alu instid0(VALU_DEP_1) | instskip(NEXT) | instid1(VALU_DEP_1)
	v_div_fixup_f32 v118, v118, v117, v116
	v_fmac_f32_e32 v117, v116, v118
	s_delay_alu instid0(VALU_DEP_1) | instskip(SKIP_1) | instid1(VALU_DEP_2)
	v_div_scale_f32 v116, null, v117, v117, 1.0
	v_div_scale_f32 v121, vcc_lo, 1.0, v117, 1.0
	v_rcp_f32_e32 v119, v116
	v_nop
	s_delay_alu instid0(TRANS32_DEP_1) | instskip(NEXT) | instid1(VALU_DEP_1)
	v_fma_f32 v120, -v116, v119, 1.0
	v_fmac_f32_e32 v119, v120, v119
	s_delay_alu instid0(VALU_DEP_1) | instskip(NEXT) | instid1(VALU_DEP_1)
	v_mul_f32_e32 v120, v121, v119
	v_fma_f32 v122, -v116, v120, v121
	s_delay_alu instid0(VALU_DEP_1) | instskip(NEXT) | instid1(VALU_DEP_1)
	v_fmac_f32_e32 v120, v122, v119
	v_fma_f32 v116, -v116, v120, v121
	s_delay_alu instid0(VALU_DEP_1) | instskip(NEXT) | instid1(VALU_DEP_1)
	v_div_fmas_f32 v116, v116, v119, v120
	v_div_fixup_f32 v116, v116, v117, 1.0
	s_delay_alu instid0(VALU_DEP_1)
	v_mul_f32_e32 v118, v118, v116
	v_xor_b32_e32 v119, 0x80000000, v116
                                        ; implicit-def: $vgpr116_vgpr117
.LBB117_338:
	s_and_not1_saveexec_b32 s1, s1
	s_cbranch_execz .LBB117_340
; %bb.339:
	v_div_scale_f32 v118, null, v116, v116, v117
	v_div_scale_f32 v121, vcc_lo, v117, v116, v117
	s_delay_alu instid0(VALU_DEP_2) | instskip(SKIP_1) | instid1(TRANS32_DEP_1)
	v_rcp_f32_e32 v119, v118
	v_nop
	v_fma_f32 v120, -v118, v119, 1.0
	s_delay_alu instid0(VALU_DEP_1) | instskip(NEXT) | instid1(VALU_DEP_1)
	v_fmac_f32_e32 v119, v120, v119
	v_mul_f32_e32 v120, v121, v119
	s_delay_alu instid0(VALU_DEP_1) | instskip(NEXT) | instid1(VALU_DEP_1)
	v_fma_f32 v122, -v118, v120, v121
	v_fmac_f32_e32 v120, v122, v119
	s_delay_alu instid0(VALU_DEP_1) | instskip(NEXT) | instid1(VALU_DEP_1)
	v_fma_f32 v118, -v118, v120, v121
	v_div_fmas_f32 v118, v118, v119, v120
	s_delay_alu instid0(VALU_DEP_1) | instskip(NEXT) | instid1(VALU_DEP_1)
	v_div_fixup_f32 v119, v118, v116, v117
	v_fmac_f32_e32 v116, v117, v119
	s_delay_alu instid0(VALU_DEP_1) | instskip(NEXT) | instid1(VALU_DEP_1)
	v_div_scale_f32 v117, null, v116, v116, 1.0
	v_rcp_f32_e32 v118, v117
	v_nop
	s_delay_alu instid0(TRANS32_DEP_1) | instskip(NEXT) | instid1(VALU_DEP_1)
	v_fma_f32 v120, -v117, v118, 1.0
	v_fmac_f32_e32 v118, v120, v118
	v_div_scale_f32 v120, vcc_lo, 1.0, v116, 1.0
	s_delay_alu instid0(VALU_DEP_1) | instskip(NEXT) | instid1(VALU_DEP_1)
	v_mul_f32_e32 v121, v120, v118
	v_fma_f32 v122, -v117, v121, v120
	s_delay_alu instid0(VALU_DEP_1) | instskip(NEXT) | instid1(VALU_DEP_1)
	v_fmac_f32_e32 v121, v122, v118
	v_fma_f32 v117, -v117, v121, v120
	s_delay_alu instid0(VALU_DEP_1) | instskip(NEXT) | instid1(VALU_DEP_1)
	v_div_fmas_f32 v117, v117, v118, v121
	v_div_fixup_f32 v118, v117, v116, 1.0
	s_delay_alu instid0(VALU_DEP_1)
	v_mul_f32_e64 v119, v119, -v118
.LBB117_340:
	s_or_b32 exec_lo, exec_lo, s1
	ds_store_b64 v201, v[118:119]
.LBB117_341:
	s_or_b32 exec_lo, exec_lo, s2
	s_wait_dscnt 0x0
	s_barrier_signal -1
	s_barrier_wait -1
	ds_load_b64 v[116:117], v201
	s_mov_b32 s1, exec_lo
	v_cmpx_lt_u32_e32 37, v200
	s_cbranch_execz .LBB117_343
; %bb.342:
	ds_load_2addr_b64 v[132:135], v202 offset0:38 offset1:39
	s_wait_dscnt 0x1
	v_pk_mul_f32 v[120:121], v[116:117], v[158:159] op_sel:[1,1] op_sel_hi:[0,1]
	s_delay_alu instid0(VALU_DEP_1) | instskip(SKIP_1) | instid1(VALU_DEP_1)
	v_pk_fma_f32 v[118:119], v[116:117], v[158:159], v[120:121] op_sel_hi:[1,0,1] neg_lo:[0,0,1] neg_hi:[0,0,1]
	v_pk_fma_f32 v[120:121], v[116:117], v[158:159], v[120:121] op_sel_hi:[1,0,1]
	v_dual_mov_b32 v158, v118 :: v_dual_mov_b32 v159, v121
	s_wait_dscnt 0x0
	s_delay_alu instid0(VALU_DEP_2) | instskip(NEXT) | instid1(VALU_DEP_1)
	v_pk_mul_f32 v[122:123], v[132:133], v[120:121] op_sel:[0,1]
	v_pk_fma_f32 v[136:137], v[132:133], v[118:119], v[122:123] op_sel:[0,0,1] op_sel_hi:[1,1,0] neg_lo:[0,0,1] neg_hi:[0,0,1]
	v_pk_fma_f32 v[122:123], v[132:133], v[118:119], v[122:123] op_sel:[0,0,1] op_sel_hi:[1,0,0]
	s_delay_alu instid0(VALU_DEP_1) | instskip(SKIP_1) | instid1(VALU_DEP_1)
	v_mov_b32_e32 v137, v123
	v_pk_mul_f32 v[122:123], v[134:135], v[120:121] op_sel:[0,1]
	v_pk_fma_f32 v[132:133], v[134:135], v[118:119], v[122:123] op_sel:[0,0,1] op_sel_hi:[1,1,0] neg_lo:[0,0,1] neg_hi:[0,0,1]
	v_pk_fma_f32 v[122:123], v[134:135], v[118:119], v[122:123] op_sel:[0,0,1] op_sel_hi:[1,0,0]
	s_delay_alu instid0(VALU_DEP_1) | instskip(SKIP_1) | instid1(VALU_DEP_2)
	v_mov_b32_e32 v133, v123
	v_pk_add_f32 v[160:161], v[160:161], v[136:137] neg_lo:[0,1] neg_hi:[0,1]
	v_pk_add_f32 v[156:157], v[156:157], v[132:133] neg_lo:[0,1] neg_hi:[0,1]
	ds_load_2addr_b64 v[132:135], v202 offset0:40 offset1:41
	s_wait_dscnt 0x0
	v_pk_mul_f32 v[122:123], v[132:133], v[120:121] op_sel:[0,1]
	s_delay_alu instid0(VALU_DEP_1) | instskip(SKIP_2) | instid1(VALU_DEP_2)
	v_pk_fma_f32 v[136:137], v[132:133], v[118:119], v[122:123] op_sel:[0,0,1] op_sel_hi:[1,1,0] neg_lo:[0,0,1] neg_hi:[0,0,1]
	v_pk_fma_f32 v[122:123], v[132:133], v[118:119], v[122:123] op_sel:[0,0,1] op_sel_hi:[1,0,0]
	v_dual_mul_f32 v132, v135, v121 :: v_dual_mov_b32 v122, v135
	v_dual_mov_b32 v137, v123 :: v_dual_mov_b32 v123, v134
	s_delay_alu instid0(VALU_DEP_2) | instskip(SKIP_1) | instid1(VALU_DEP_3)
	v_pk_fma_f32 v[132:133], v[134:135], v[158:159], v[132:133] op_sel_hi:[1,1,0] neg_lo:[0,0,1] neg_hi:[0,0,1]
	v_mul_f32_e32 v134, v135, v118
	v_pk_add_f32 v[178:179], v[178:179], v[136:137] neg_lo:[0,1] neg_hi:[0,1]
	s_delay_alu instid0(VALU_DEP_2) | instskip(NEXT) | instid1(VALU_DEP_1)
	v_pk_fma_f32 v[122:123], v[122:123], v[158:159], v[134:135] op_sel_hi:[1,1,0]
	v_mov_b32_e32 v133, v123
	s_delay_alu instid0(VALU_DEP_1) | instskip(SKIP_3) | instid1(VALU_DEP_1)
	v_pk_add_f32 v[174:175], v[174:175], v[132:133] neg_lo:[0,1] neg_hi:[0,1]
	ds_load_2addr_b64 v[132:135], v202 offset0:42 offset1:43
	s_wait_dscnt 0x0
	v_pk_mul_f32 v[122:123], v[132:133], v[120:121] op_sel:[0,1]
	v_pk_fma_f32 v[136:137], v[132:133], v[118:119], v[122:123] op_sel:[0,0,1] op_sel_hi:[1,1,0] neg_lo:[0,0,1] neg_hi:[0,0,1]
	v_pk_fma_f32 v[122:123], v[132:133], v[118:119], v[122:123] op_sel:[0,0,1] op_sel_hi:[1,0,0]
	s_delay_alu instid0(VALU_DEP_1) | instskip(SKIP_1) | instid1(VALU_DEP_2)
	v_mov_b32_e32 v137, v123
	v_pk_mul_f32 v[122:123], v[134:135], v[120:121] op_sel:[0,1]
	v_pk_add_f32 v[176:177], v[176:177], v[136:137] neg_lo:[0,1] neg_hi:[0,1]
	s_delay_alu instid0(VALU_DEP_2) | instskip(SKIP_1) | instid1(VALU_DEP_1)
	v_pk_fma_f32 v[132:133], v[134:135], v[118:119], v[122:123] op_sel:[0,0,1] op_sel_hi:[1,1,0] neg_lo:[0,0,1] neg_hi:[0,0,1]
	v_pk_fma_f32 v[122:123], v[134:135], v[118:119], v[122:123] op_sel:[0,0,1] op_sel_hi:[1,0,0]
	v_mov_b32_e32 v133, v123
	s_delay_alu instid0(VALU_DEP_1) | instskip(SKIP_3) | instid1(VALU_DEP_1)
	v_pk_add_f32 v[172:173], v[172:173], v[132:133] neg_lo:[0,1] neg_hi:[0,1]
	ds_load_2addr_b64 v[132:135], v202 offset0:44 offset1:45
	s_wait_dscnt 0x0
	v_pk_mul_f32 v[122:123], v[132:133], v[120:121] op_sel:[0,1]
	v_pk_fma_f32 v[136:137], v[132:133], v[118:119], v[122:123] op_sel:[0,0,1] op_sel_hi:[1,1,0] neg_lo:[0,0,1] neg_hi:[0,0,1]
	v_pk_fma_f32 v[122:123], v[132:133], v[118:119], v[122:123] op_sel:[0,0,1] op_sel_hi:[1,0,0]
	s_delay_alu instid0(VALU_DEP_1) | instskip(SKIP_1) | instid1(VALU_DEP_2)
	v_mov_b32_e32 v137, v123
	v_pk_mul_f32 v[122:123], v[134:135], v[120:121] op_sel:[0,1]
	v_pk_add_f32 v[194:195], v[194:195], v[136:137] neg_lo:[0,1] neg_hi:[0,1]
	s_delay_alu instid0(VALU_DEP_2) | instskip(SKIP_1) | instid1(VALU_DEP_1)
	v_pk_fma_f32 v[132:133], v[134:135], v[118:119], v[122:123] op_sel:[0,0,1] op_sel_hi:[1,1,0] neg_lo:[0,0,1] neg_hi:[0,0,1]
	v_pk_fma_f32 v[122:123], v[134:135], v[118:119], v[122:123] op_sel:[0,0,1] op_sel_hi:[1,0,0]
	v_mov_b32_e32 v133, v123
	s_delay_alu instid0(VALU_DEP_1) | instskip(SKIP_3) | instid1(VALU_DEP_1)
	v_pk_add_f32 v[190:191], v[190:191], v[132:133] neg_lo:[0,1] neg_hi:[0,1]
	ds_load_2addr_b64 v[132:135], v202 offset0:46 offset1:47
	s_wait_dscnt 0x0
	v_dual_mul_f32 v122, v133, v121 :: v_dual_mul_f32 v136, v133, v118
	v_pk_fma_f32 v[122:123], v[132:133], v[158:159], v[122:123] op_sel_hi:[1,1,0] neg_lo:[0,0,1] neg_hi:[0,0,1]
	s_delay_alu instid0(VALU_DEP_2) | instskip(NEXT) | instid1(VALU_DEP_1)
	v_pk_fma_f32 v[132:133], v[132:133], v[158:159], v[136:137] op_sel:[1,0,0] op_sel_hi:[0,1,0]
	v_mov_b32_e32 v123, v133
	s_delay_alu instid0(VALU_DEP_1) | instskip(SKIP_1) | instid1(VALU_DEP_1)
	v_pk_add_f32 v[192:193], v[192:193], v[122:123] neg_lo:[0,1] neg_hi:[0,1]
	v_pk_mul_f32 v[122:123], v[134:135], v[120:121] op_sel:[0,1]
	v_pk_fma_f32 v[132:133], v[134:135], v[118:119], v[122:123] op_sel:[0,0,1] op_sel_hi:[1,1,0] neg_lo:[0,0,1] neg_hi:[0,0,1]
	v_pk_fma_f32 v[122:123], v[134:135], v[118:119], v[122:123] op_sel:[0,0,1] op_sel_hi:[1,0,0]
	s_delay_alu instid0(VALU_DEP_1) | instskip(NEXT) | instid1(VALU_DEP_1)
	v_mov_b32_e32 v133, v123
	v_pk_add_f32 v[188:189], v[188:189], v[132:133] neg_lo:[0,1] neg_hi:[0,1]
	ds_load_2addr_b64 v[132:135], v202 offset0:48 offset1:49
	s_wait_dscnt 0x0
	v_pk_mul_f32 v[122:123], v[132:133], v[120:121] op_sel:[0,1]
	s_delay_alu instid0(VALU_DEP_1) | instskip(SKIP_1) | instid1(VALU_DEP_1)
	v_pk_fma_f32 v[136:137], v[132:133], v[118:119], v[122:123] op_sel:[0,0,1] op_sel_hi:[1,1,0] neg_lo:[0,0,1] neg_hi:[0,0,1]
	v_pk_fma_f32 v[122:123], v[132:133], v[118:119], v[122:123] op_sel:[0,0,1] op_sel_hi:[1,0,0]
	v_mov_b32_e32 v137, v123
	v_pk_mul_f32 v[122:123], v[134:135], v[120:121] op_sel:[0,1]
	s_delay_alu instid0(VALU_DEP_2) | instskip(NEXT) | instid1(VALU_DEP_2)
	v_pk_add_f32 v[212:213], v[212:213], v[136:137] neg_lo:[0,1] neg_hi:[0,1]
	v_pk_fma_f32 v[132:133], v[134:135], v[118:119], v[122:123] op_sel:[0,0,1] op_sel_hi:[1,1,0] neg_lo:[0,0,1] neg_hi:[0,0,1]
	v_pk_fma_f32 v[122:123], v[134:135], v[118:119], v[122:123] op_sel:[0,0,1] op_sel_hi:[1,0,0]
	s_delay_alu instid0(VALU_DEP_1) | instskip(NEXT) | instid1(VALU_DEP_1)
	v_mov_b32_e32 v133, v123
	v_pk_add_f32 v[208:209], v[208:209], v[132:133] neg_lo:[0,1] neg_hi:[0,1]
	ds_load_2addr_b64 v[132:135], v202 offset0:50 offset1:51
	s_wait_dscnt 0x0
	v_pk_mul_f32 v[122:123], v[132:133], v[120:121] op_sel:[0,1]
	s_delay_alu instid0(VALU_DEP_1) | instskip(SKIP_2) | instid1(VALU_DEP_2)
	v_pk_fma_f32 v[136:137], v[132:133], v[118:119], v[122:123] op_sel:[0,0,1] op_sel_hi:[1,1,0] neg_lo:[0,0,1] neg_hi:[0,0,1]
	v_pk_fma_f32 v[122:123], v[132:133], v[118:119], v[122:123] op_sel:[0,0,1] op_sel_hi:[1,0,0]
	v_dual_mul_f32 v132, v135, v121 :: v_dual_mov_b32 v122, v135
	v_dual_mov_b32 v137, v123 :: v_dual_mov_b32 v123, v134
	s_delay_alu instid0(VALU_DEP_2) | instskip(SKIP_1) | instid1(VALU_DEP_3)
	v_pk_fma_f32 v[132:133], v[134:135], v[158:159], v[132:133] op_sel_hi:[1,1,0] neg_lo:[0,0,1] neg_hi:[0,0,1]
	v_mul_f32_e32 v134, v135, v118
	v_pk_add_f32 v[210:211], v[210:211], v[136:137] neg_lo:[0,1] neg_hi:[0,1]
	s_delay_alu instid0(VALU_DEP_2) | instskip(NEXT) | instid1(VALU_DEP_1)
	v_pk_fma_f32 v[122:123], v[122:123], v[158:159], v[134:135] op_sel_hi:[1,1,0]
	v_mov_b32_e32 v133, v123
	s_delay_alu instid0(VALU_DEP_1) | instskip(SKIP_3) | instid1(VALU_DEP_1)
	v_pk_add_f32 v[206:207], v[206:207], v[132:133] neg_lo:[0,1] neg_hi:[0,1]
	ds_load_2addr_b64 v[132:135], v202 offset0:52 offset1:53
	s_wait_dscnt 0x0
	v_pk_mul_f32 v[122:123], v[132:133], v[120:121] op_sel:[0,1]
	v_pk_fma_f32 v[136:137], v[132:133], v[118:119], v[122:123] op_sel:[0,0,1] op_sel_hi:[1,1,0] neg_lo:[0,0,1] neg_hi:[0,0,1]
	v_pk_fma_f32 v[122:123], v[132:133], v[118:119], v[122:123] op_sel:[0,0,1] op_sel_hi:[1,0,0]
	s_delay_alu instid0(VALU_DEP_1) | instskip(SKIP_1) | instid1(VALU_DEP_2)
	v_mov_b32_e32 v137, v123
	v_pk_mul_f32 v[122:123], v[134:135], v[120:121] op_sel:[0,1]
	v_pk_add_f32 v[232:233], v[232:233], v[136:137] neg_lo:[0,1] neg_hi:[0,1]
	s_delay_alu instid0(VALU_DEP_2) | instskip(SKIP_1) | instid1(VALU_DEP_1)
	v_pk_fma_f32 v[132:133], v[134:135], v[118:119], v[122:123] op_sel:[0,0,1] op_sel_hi:[1,1,0] neg_lo:[0,0,1] neg_hi:[0,0,1]
	v_pk_fma_f32 v[122:123], v[134:135], v[118:119], v[122:123] op_sel:[0,0,1] op_sel_hi:[1,0,0]
	v_mov_b32_e32 v133, v123
	s_delay_alu instid0(VALU_DEP_1) | instskip(SKIP_3) | instid1(VALU_DEP_1)
	v_pk_add_f32 v[226:227], v[226:227], v[132:133] neg_lo:[0,1] neg_hi:[0,1]
	ds_load_2addr_b64 v[132:135], v202 offset0:54 offset1:55
	s_wait_dscnt 0x0
	v_pk_mul_f32 v[122:123], v[132:133], v[120:121] op_sel:[0,1]
	v_pk_fma_f32 v[136:137], v[132:133], v[118:119], v[122:123] op_sel:[0,0,1] op_sel_hi:[1,1,0] neg_lo:[0,0,1] neg_hi:[0,0,1]
	v_pk_fma_f32 v[122:123], v[132:133], v[118:119], v[122:123] op_sel:[0,0,1] op_sel_hi:[1,0,0]
	s_delay_alu instid0(VALU_DEP_1) | instskip(SKIP_1) | instid1(VALU_DEP_2)
	v_mov_b32_e32 v137, v123
	v_pk_mul_f32 v[122:123], v[134:135], v[120:121] op_sel:[0,1]
	v_pk_add_f32 v[230:231], v[230:231], v[136:137] neg_lo:[0,1] neg_hi:[0,1]
	s_delay_alu instid0(VALU_DEP_2) | instskip(SKIP_1) | instid1(VALU_DEP_1)
	v_pk_fma_f32 v[132:133], v[134:135], v[118:119], v[122:123] op_sel:[0,0,1] op_sel_hi:[1,1,0] neg_lo:[0,0,1] neg_hi:[0,0,1]
	v_pk_fma_f32 v[122:123], v[134:135], v[118:119], v[122:123] op_sel:[0,0,1] op_sel_hi:[1,0,0]
	v_mov_b32_e32 v133, v123
	s_delay_alu instid0(VALU_DEP_1) | instskip(SKIP_3) | instid1(VALU_DEP_1)
	v_pk_add_f32 v[224:225], v[224:225], v[132:133] neg_lo:[0,1] neg_hi:[0,1]
	ds_load_2addr_b64 v[132:135], v202 offset0:56 offset1:57
	s_wait_dscnt 0x0
	v_dual_mul_f32 v122, v133, v121 :: v_dual_mul_f32 v136, v133, v118
	v_pk_fma_f32 v[122:123], v[132:133], v[158:159], v[122:123] op_sel_hi:[1,1,0] neg_lo:[0,0,1] neg_hi:[0,0,1]
	s_delay_alu instid0(VALU_DEP_2) | instskip(NEXT) | instid1(VALU_DEP_1)
	v_pk_fma_f32 v[132:133], v[132:133], v[158:159], v[136:137] op_sel:[1,0,0] op_sel_hi:[0,1,0]
	v_mov_b32_e32 v123, v133
	s_delay_alu instid0(VALU_DEP_1) | instskip(SKIP_1) | instid1(VALU_DEP_1)
	v_pk_add_f32 v[228:229], v[228:229], v[122:123] neg_lo:[0,1] neg_hi:[0,1]
	v_pk_mul_f32 v[122:123], v[134:135], v[120:121] op_sel:[0,1]
	v_pk_fma_f32 v[132:133], v[134:135], v[118:119], v[122:123] op_sel:[0,0,1] op_sel_hi:[1,1,0] neg_lo:[0,0,1] neg_hi:[0,0,1]
	v_pk_fma_f32 v[122:123], v[134:135], v[118:119], v[122:123] op_sel:[0,0,1] op_sel_hi:[1,0,0]
	s_delay_alu instid0(VALU_DEP_1) | instskip(SKIP_4) | instid1(VALU_DEP_1)
	v_mov_b32_e32 v133, v123
	ds_load_b64 v[122:123], v202 offset:464
	v_pk_add_f32 v[234:235], v[234:235], v[132:133] neg_lo:[0,1] neg_hi:[0,1]
	s_wait_dscnt 0x0
	v_pk_mul_f32 v[120:121], v[122:123], v[120:121] op_sel:[0,1]
	v_pk_fma_f32 v[132:133], v[122:123], v[118:119], v[120:121] op_sel:[0,0,1] op_sel_hi:[1,1,0] neg_lo:[0,0,1] neg_hi:[0,0,1]
	v_pk_fma_f32 v[118:119], v[122:123], v[118:119], v[120:121] op_sel:[0,0,1] op_sel_hi:[1,0,0]
	s_delay_alu instid0(VALU_DEP_1) | instskip(NEXT) | instid1(VALU_DEP_1)
	v_mov_b32_e32 v133, v119
	v_pk_add_f32 v[236:237], v[236:237], v[132:133] neg_lo:[0,1] neg_hi:[0,1]
.LBB117_343:
	s_or_b32 exec_lo, exec_lo, s1
	s_delay_alu instid0(SALU_CYCLE_1)
	s_mov_b32 s2, exec_lo
	s_wait_dscnt 0x0
	s_barrier_signal -1
	s_barrier_wait -1
	v_cmpx_eq_u32_e32 38, v200
	s_cbranch_execz .LBB117_350
; %bb.344:
	ds_store_b64 v201, v[160:161]
	ds_store_2addr_b64 v202, v[156:157], v[178:179] offset0:39 offset1:40
	ds_store_2addr_b64 v202, v[174:175], v[176:177] offset0:41 offset1:42
	;; [unrolled: 1-line block ×10, first 2 shown]
	ds_load_b64 v[118:119], v201
	s_wait_dscnt 0x0
	v_cmp_neq_f32_e32 vcc_lo, 0, v118
	v_cmp_neq_f32_e64 s1, 0, v119
	s_or_b32 s1, vcc_lo, s1
	s_delay_alu instid0(SALU_CYCLE_1)
	s_and_b32 exec_lo, exec_lo, s1
	s_cbranch_execz .LBB117_350
; %bb.345:
	v_cmp_ngt_f32_e64 s1, |v118|, |v119|
                                        ; implicit-def: $vgpr120_vgpr121
	s_and_saveexec_b32 s4, s1
	s_delay_alu instid0(SALU_CYCLE_1)
	s_xor_b32 s1, exec_lo, s4
	s_cbranch_execz .LBB117_347
; %bb.346:
	v_div_scale_f32 v120, null, v119, v119, v118
	v_div_scale_f32 v123, vcc_lo, v118, v119, v118
	s_delay_alu instid0(VALU_DEP_2) | instskip(SKIP_1) | instid1(TRANS32_DEP_1)
	v_rcp_f32_e32 v121, v120
	v_nop
	v_fma_f32 v122, -v120, v121, 1.0
	s_delay_alu instid0(VALU_DEP_1) | instskip(NEXT) | instid1(VALU_DEP_1)
	v_fmac_f32_e32 v121, v122, v121
	v_mul_f32_e32 v122, v123, v121
	s_delay_alu instid0(VALU_DEP_1) | instskip(NEXT) | instid1(VALU_DEP_1)
	v_fma_f32 v132, -v120, v122, v123
	v_fmac_f32_e32 v122, v132, v121
	s_delay_alu instid0(VALU_DEP_1) | instskip(NEXT) | instid1(VALU_DEP_1)
	v_fma_f32 v120, -v120, v122, v123
	v_div_fmas_f32 v120, v120, v121, v122
	s_delay_alu instid0(VALU_DEP_1) | instskip(NEXT) | instid1(VALU_DEP_1)
	v_div_fixup_f32 v120, v120, v119, v118
	v_fmac_f32_e32 v119, v118, v120
	s_delay_alu instid0(VALU_DEP_1) | instskip(SKIP_1) | instid1(VALU_DEP_2)
	v_div_scale_f32 v118, null, v119, v119, 1.0
	v_div_scale_f32 v123, vcc_lo, 1.0, v119, 1.0
	v_rcp_f32_e32 v121, v118
	v_nop
	s_delay_alu instid0(TRANS32_DEP_1) | instskip(NEXT) | instid1(VALU_DEP_1)
	v_fma_f32 v122, -v118, v121, 1.0
	v_fmac_f32_e32 v121, v122, v121
	s_delay_alu instid0(VALU_DEP_1) | instskip(NEXT) | instid1(VALU_DEP_1)
	v_mul_f32_e32 v122, v123, v121
	v_fma_f32 v132, -v118, v122, v123
	s_delay_alu instid0(VALU_DEP_1) | instskip(NEXT) | instid1(VALU_DEP_1)
	v_fmac_f32_e32 v122, v132, v121
	v_fma_f32 v118, -v118, v122, v123
	s_delay_alu instid0(VALU_DEP_1) | instskip(NEXT) | instid1(VALU_DEP_1)
	v_div_fmas_f32 v118, v118, v121, v122
	v_div_fixup_f32 v118, v118, v119, 1.0
	s_delay_alu instid0(VALU_DEP_1)
	v_mul_f32_e32 v120, v120, v118
	v_xor_b32_e32 v121, 0x80000000, v118
                                        ; implicit-def: $vgpr118_vgpr119
.LBB117_347:
	s_and_not1_saveexec_b32 s1, s1
	s_cbranch_execz .LBB117_349
; %bb.348:
	v_div_scale_f32 v120, null, v118, v118, v119
	v_div_scale_f32 v123, vcc_lo, v119, v118, v119
	s_delay_alu instid0(VALU_DEP_2) | instskip(SKIP_1) | instid1(TRANS32_DEP_1)
	v_rcp_f32_e32 v121, v120
	v_nop
	v_fma_f32 v122, -v120, v121, 1.0
	s_delay_alu instid0(VALU_DEP_1) | instskip(NEXT) | instid1(VALU_DEP_1)
	v_fmac_f32_e32 v121, v122, v121
	v_mul_f32_e32 v122, v123, v121
	s_delay_alu instid0(VALU_DEP_1) | instskip(NEXT) | instid1(VALU_DEP_1)
	v_fma_f32 v132, -v120, v122, v123
	v_fmac_f32_e32 v122, v132, v121
	s_delay_alu instid0(VALU_DEP_1) | instskip(NEXT) | instid1(VALU_DEP_1)
	v_fma_f32 v120, -v120, v122, v123
	v_div_fmas_f32 v120, v120, v121, v122
	s_delay_alu instid0(VALU_DEP_1) | instskip(NEXT) | instid1(VALU_DEP_1)
	v_div_fixup_f32 v121, v120, v118, v119
	v_fmac_f32_e32 v118, v119, v121
	s_delay_alu instid0(VALU_DEP_1) | instskip(NEXT) | instid1(VALU_DEP_1)
	v_div_scale_f32 v119, null, v118, v118, 1.0
	v_rcp_f32_e32 v120, v119
	v_nop
	s_delay_alu instid0(TRANS32_DEP_1) | instskip(NEXT) | instid1(VALU_DEP_1)
	v_fma_f32 v122, -v119, v120, 1.0
	v_fmac_f32_e32 v120, v122, v120
	v_div_scale_f32 v122, vcc_lo, 1.0, v118, 1.0
	s_delay_alu instid0(VALU_DEP_1) | instskip(NEXT) | instid1(VALU_DEP_1)
	v_mul_f32_e32 v123, v122, v120
	v_fma_f32 v132, -v119, v123, v122
	s_delay_alu instid0(VALU_DEP_1) | instskip(NEXT) | instid1(VALU_DEP_1)
	v_fmac_f32_e32 v123, v132, v120
	v_fma_f32 v119, -v119, v123, v122
	s_delay_alu instid0(VALU_DEP_1) | instskip(NEXT) | instid1(VALU_DEP_1)
	v_div_fmas_f32 v119, v119, v120, v123
	v_div_fixup_f32 v120, v119, v118, 1.0
	s_delay_alu instid0(VALU_DEP_1)
	v_mul_f32_e64 v121, v121, -v120
.LBB117_349:
	s_or_b32 exec_lo, exec_lo, s1
	ds_store_b64 v201, v[120:121]
.LBB117_350:
	s_or_b32 exec_lo, exec_lo, s2
	s_wait_dscnt 0x0
	s_barrier_signal -1
	s_barrier_wait -1
	ds_load_b64 v[118:119], v201
	s_mov_b32 s1, exec_lo
	v_cmpx_lt_u32_e32 38, v200
	s_cbranch_execz .LBB117_352
; %bb.351:
	ds_load_2addr_b64 v[132:135], v202 offset0:39 offset1:40
	s_wait_dscnt 0x1
	v_pk_mul_f32 v[122:123], v[118:119], v[160:161] op_sel:[1,1] op_sel_hi:[0,1]
	s_delay_alu instid0(VALU_DEP_1) | instskip(SKIP_1) | instid1(VALU_DEP_1)
	v_pk_fma_f32 v[120:121], v[118:119], v[160:161], v[122:123] op_sel_hi:[1,0,1] neg_lo:[0,0,1] neg_hi:[0,0,1]
	v_pk_fma_f32 v[122:123], v[118:119], v[160:161], v[122:123] op_sel_hi:[1,0,1]
	v_dual_mov_b32 v160, v120 :: v_dual_mov_b32 v161, v123
	s_wait_dscnt 0x0
	s_delay_alu instid0(VALU_DEP_2) | instskip(NEXT) | instid1(VALU_DEP_1)
	v_pk_mul_f32 v[136:137], v[132:133], v[122:123] op_sel:[0,1]
	v_pk_fma_f32 v[138:139], v[132:133], v[120:121], v[136:137] op_sel:[0,0,1] op_sel_hi:[1,1,0] neg_lo:[0,0,1] neg_hi:[0,0,1]
	v_pk_fma_f32 v[132:133], v[132:133], v[120:121], v[136:137] op_sel:[0,0,1] op_sel_hi:[1,0,0]
	s_delay_alu instid0(VALU_DEP_1) | instskip(SKIP_1) | instid1(VALU_DEP_1)
	v_mov_b32_e32 v139, v133
	v_pk_mul_f32 v[132:133], v[134:135], v[122:123] op_sel:[0,1]
	v_pk_fma_f32 v[136:137], v[134:135], v[120:121], v[132:133] op_sel:[0,0,1] op_sel_hi:[1,1,0] neg_lo:[0,0,1] neg_hi:[0,0,1]
	v_pk_fma_f32 v[132:133], v[134:135], v[120:121], v[132:133] op_sel:[0,0,1] op_sel_hi:[1,0,0]
	s_delay_alu instid0(VALU_DEP_1)
	v_mov_b32_e32 v137, v133
	ds_load_2addr_b64 v[132:135], v202 offset0:41 offset1:42
	v_pk_add_f32 v[156:157], v[156:157], v[138:139] neg_lo:[0,1] neg_hi:[0,1]
	v_pk_add_f32 v[178:179], v[178:179], v[136:137] neg_lo:[0,1] neg_hi:[0,1]
	s_wait_dscnt 0x0
	v_pk_mul_f32 v[136:137], v[132:133], v[122:123] op_sel:[0,1]
	s_delay_alu instid0(VALU_DEP_1) | instskip(SKIP_2) | instid1(VALU_DEP_2)
	v_pk_fma_f32 v[138:139], v[132:133], v[120:121], v[136:137] op_sel:[0,0,1] op_sel_hi:[1,1,0] neg_lo:[0,0,1] neg_hi:[0,0,1]
	v_pk_fma_f32 v[132:133], v[132:133], v[120:121], v[136:137] op_sel:[0,0,1] op_sel_hi:[1,0,0]
	v_dual_mul_f32 v136, v135, v123 :: v_dual_mov_b32 v132, v135
	v_dual_mov_b32 v139, v133 :: v_dual_mov_b32 v133, v134
	s_delay_alu instid0(VALU_DEP_2) | instskip(SKIP_1) | instid1(VALU_DEP_3)
	v_pk_fma_f32 v[136:137], v[134:135], v[160:161], v[136:137] op_sel_hi:[1,1,0] neg_lo:[0,0,1] neg_hi:[0,0,1]
	v_mul_f32_e32 v134, v135, v120
	v_pk_add_f32 v[174:175], v[174:175], v[138:139] neg_lo:[0,1] neg_hi:[0,1]
	s_delay_alu instid0(VALU_DEP_2) | instskip(NEXT) | instid1(VALU_DEP_1)
	v_pk_fma_f32 v[132:133], v[132:133], v[160:161], v[134:135] op_sel_hi:[1,1,0]
	v_mov_b32_e32 v137, v133
	ds_load_2addr_b64 v[132:135], v202 offset0:43 offset1:44
	v_pk_add_f32 v[176:177], v[176:177], v[136:137] neg_lo:[0,1] neg_hi:[0,1]
	s_wait_dscnt 0x0
	v_pk_mul_f32 v[136:137], v[132:133], v[122:123] op_sel:[0,1]
	s_delay_alu instid0(VALU_DEP_1) | instskip(SKIP_1) | instid1(VALU_DEP_1)
	v_pk_fma_f32 v[138:139], v[132:133], v[120:121], v[136:137] op_sel:[0,0,1] op_sel_hi:[1,1,0] neg_lo:[0,0,1] neg_hi:[0,0,1]
	v_pk_fma_f32 v[132:133], v[132:133], v[120:121], v[136:137] op_sel:[0,0,1] op_sel_hi:[1,0,0]
	v_mov_b32_e32 v139, v133
	v_pk_mul_f32 v[132:133], v[134:135], v[122:123] op_sel:[0,1]
	s_delay_alu instid0(VALU_DEP_1) | instskip(SKIP_1) | instid1(VALU_DEP_1)
	v_pk_fma_f32 v[136:137], v[134:135], v[120:121], v[132:133] op_sel:[0,0,1] op_sel_hi:[1,1,0] neg_lo:[0,0,1] neg_hi:[0,0,1]
	v_pk_fma_f32 v[132:133], v[134:135], v[120:121], v[132:133] op_sel:[0,0,1] op_sel_hi:[1,0,0]
	v_mov_b32_e32 v137, v133
	ds_load_2addr_b64 v[132:135], v202 offset0:45 offset1:46
	v_pk_add_f32 v[172:173], v[172:173], v[138:139] neg_lo:[0,1] neg_hi:[0,1]
	v_pk_add_f32 v[194:195], v[194:195], v[136:137] neg_lo:[0,1] neg_hi:[0,1]
	s_wait_dscnt 0x0
	v_pk_mul_f32 v[136:137], v[132:133], v[122:123] op_sel:[0,1]
	s_delay_alu instid0(VALU_DEP_1) | instskip(SKIP_1) | instid1(VALU_DEP_1)
	v_pk_fma_f32 v[138:139], v[132:133], v[120:121], v[136:137] op_sel:[0,0,1] op_sel_hi:[1,1,0] neg_lo:[0,0,1] neg_hi:[0,0,1]
	v_pk_fma_f32 v[132:133], v[132:133], v[120:121], v[136:137] op_sel:[0,0,1] op_sel_hi:[1,0,0]
	v_mov_b32_e32 v139, v133
	v_pk_mul_f32 v[132:133], v[134:135], v[122:123] op_sel:[0,1]
	s_delay_alu instid0(VALU_DEP_1) | instskip(SKIP_1) | instid1(VALU_DEP_1)
	v_pk_fma_f32 v[136:137], v[134:135], v[120:121], v[132:133] op_sel:[0,0,1] op_sel_hi:[1,1,0] neg_lo:[0,0,1] neg_hi:[0,0,1]
	v_pk_fma_f32 v[132:133], v[134:135], v[120:121], v[132:133] op_sel:[0,0,1] op_sel_hi:[1,0,0]
	v_mov_b32_e32 v137, v133
	ds_load_2addr_b64 v[132:135], v202 offset0:47 offset1:48
	v_pk_add_f32 v[190:191], v[190:191], v[138:139] neg_lo:[0,1] neg_hi:[0,1]
	v_pk_add_f32 v[192:193], v[192:193], v[136:137] neg_lo:[0,1] neg_hi:[0,1]
	s_wait_dscnt 0x0
	v_dual_mul_f32 v136, v133, v123 :: v_dual_mul_f32 v138, v133, v120
	s_delay_alu instid0(VALU_DEP_1) | instskip(NEXT) | instid1(VALU_DEP_2)
	v_pk_fma_f32 v[136:137], v[132:133], v[160:161], v[136:137] op_sel_hi:[1,1,0] neg_lo:[0,0,1] neg_hi:[0,0,1]
	v_pk_fma_f32 v[132:133], v[132:133], v[160:161], v[138:139] op_sel:[1,0,0] op_sel_hi:[0,1,0]
	s_delay_alu instid0(VALU_DEP_1) | instskip(SKIP_1) | instid1(VALU_DEP_2)
	v_mov_b32_e32 v137, v133
	v_pk_mul_f32 v[132:133], v[134:135], v[122:123] op_sel:[0,1]
	v_pk_add_f32 v[188:189], v[188:189], v[136:137] neg_lo:[0,1] neg_hi:[0,1]
	s_delay_alu instid0(VALU_DEP_2) | instskip(SKIP_1) | instid1(VALU_DEP_1)
	v_pk_fma_f32 v[136:137], v[134:135], v[120:121], v[132:133] op_sel:[0,0,1] op_sel_hi:[1,1,0] neg_lo:[0,0,1] neg_hi:[0,0,1]
	v_pk_fma_f32 v[132:133], v[134:135], v[120:121], v[132:133] op_sel:[0,0,1] op_sel_hi:[1,0,0]
	v_mov_b32_e32 v137, v133
	ds_load_2addr_b64 v[132:135], v202 offset0:49 offset1:50
	v_pk_add_f32 v[212:213], v[212:213], v[136:137] neg_lo:[0,1] neg_hi:[0,1]
	s_wait_dscnt 0x0
	v_pk_mul_f32 v[136:137], v[132:133], v[122:123] op_sel:[0,1]
	s_delay_alu instid0(VALU_DEP_1) | instskip(SKIP_1) | instid1(VALU_DEP_1)
	v_pk_fma_f32 v[138:139], v[132:133], v[120:121], v[136:137] op_sel:[0,0,1] op_sel_hi:[1,1,0] neg_lo:[0,0,1] neg_hi:[0,0,1]
	v_pk_fma_f32 v[132:133], v[132:133], v[120:121], v[136:137] op_sel:[0,0,1] op_sel_hi:[1,0,0]
	v_mov_b32_e32 v139, v133
	v_pk_mul_f32 v[132:133], v[134:135], v[122:123] op_sel:[0,1]
	s_delay_alu instid0(VALU_DEP_2) | instskip(NEXT) | instid1(VALU_DEP_2)
	v_pk_add_f32 v[208:209], v[208:209], v[138:139] neg_lo:[0,1] neg_hi:[0,1]
	v_pk_fma_f32 v[136:137], v[134:135], v[120:121], v[132:133] op_sel:[0,0,1] op_sel_hi:[1,1,0] neg_lo:[0,0,1] neg_hi:[0,0,1]
	v_pk_fma_f32 v[132:133], v[134:135], v[120:121], v[132:133] op_sel:[0,0,1] op_sel_hi:[1,0,0]
	s_delay_alu instid0(VALU_DEP_1) | instskip(SKIP_4) | instid1(VALU_DEP_1)
	v_mov_b32_e32 v137, v133
	ds_load_2addr_b64 v[132:135], v202 offset0:51 offset1:52
	v_pk_add_f32 v[210:211], v[210:211], v[136:137] neg_lo:[0,1] neg_hi:[0,1]
	s_wait_dscnt 0x0
	v_pk_mul_f32 v[136:137], v[132:133], v[122:123] op_sel:[0,1]
	v_pk_fma_f32 v[138:139], v[132:133], v[120:121], v[136:137] op_sel:[0,0,1] op_sel_hi:[1,1,0] neg_lo:[0,0,1] neg_hi:[0,0,1]
	v_pk_fma_f32 v[132:133], v[132:133], v[120:121], v[136:137] op_sel:[0,0,1] op_sel_hi:[1,0,0]
	v_dual_mul_f32 v136, v135, v123 :: v_dual_mov_b32 v132, v135
	s_delay_alu instid0(VALU_DEP_2) | instskip(NEXT) | instid1(VALU_DEP_2)
	v_dual_mov_b32 v139, v133 :: v_dual_mov_b32 v133, v134
	v_pk_fma_f32 v[136:137], v[134:135], v[160:161], v[136:137] op_sel_hi:[1,1,0] neg_lo:[0,0,1] neg_hi:[0,0,1]
	v_mul_f32_e32 v134, v135, v120
	s_delay_alu instid0(VALU_DEP_3) | instskip(NEXT) | instid1(VALU_DEP_2)
	v_pk_add_f32 v[206:207], v[206:207], v[138:139] neg_lo:[0,1] neg_hi:[0,1]
	v_pk_fma_f32 v[132:133], v[132:133], v[160:161], v[134:135] op_sel_hi:[1,1,0]
	s_delay_alu instid0(VALU_DEP_1) | instskip(SKIP_4) | instid1(VALU_DEP_1)
	v_mov_b32_e32 v137, v133
	ds_load_2addr_b64 v[132:135], v202 offset0:53 offset1:54
	v_pk_add_f32 v[232:233], v[232:233], v[136:137] neg_lo:[0,1] neg_hi:[0,1]
	s_wait_dscnt 0x0
	v_pk_mul_f32 v[136:137], v[132:133], v[122:123] op_sel:[0,1]
	v_pk_fma_f32 v[138:139], v[132:133], v[120:121], v[136:137] op_sel:[0,0,1] op_sel_hi:[1,1,0] neg_lo:[0,0,1] neg_hi:[0,0,1]
	v_pk_fma_f32 v[132:133], v[132:133], v[120:121], v[136:137] op_sel:[0,0,1] op_sel_hi:[1,0,0]
	s_delay_alu instid0(VALU_DEP_1) | instskip(SKIP_1) | instid1(VALU_DEP_1)
	v_mov_b32_e32 v139, v133
	v_pk_mul_f32 v[132:133], v[134:135], v[122:123] op_sel:[0,1]
	v_pk_fma_f32 v[136:137], v[134:135], v[120:121], v[132:133] op_sel:[0,0,1] op_sel_hi:[1,1,0] neg_lo:[0,0,1] neg_hi:[0,0,1]
	v_pk_fma_f32 v[132:133], v[134:135], v[120:121], v[132:133] op_sel:[0,0,1] op_sel_hi:[1,0,0]
	s_delay_alu instid0(VALU_DEP_1)
	v_mov_b32_e32 v137, v133
	ds_load_2addr_b64 v[132:135], v202 offset0:55 offset1:56
	v_pk_add_f32 v[226:227], v[226:227], v[138:139] neg_lo:[0,1] neg_hi:[0,1]
	v_pk_add_f32 v[230:231], v[230:231], v[136:137] neg_lo:[0,1] neg_hi:[0,1]
	s_wait_dscnt 0x0
	v_pk_mul_f32 v[136:137], v[132:133], v[122:123] op_sel:[0,1]
	s_delay_alu instid0(VALU_DEP_1) | instskip(SKIP_1) | instid1(VALU_DEP_1)
	v_pk_fma_f32 v[138:139], v[132:133], v[120:121], v[136:137] op_sel:[0,0,1] op_sel_hi:[1,1,0] neg_lo:[0,0,1] neg_hi:[0,0,1]
	v_pk_fma_f32 v[132:133], v[132:133], v[120:121], v[136:137] op_sel:[0,0,1] op_sel_hi:[1,0,0]
	v_mov_b32_e32 v139, v133
	v_pk_mul_f32 v[132:133], v[134:135], v[122:123] op_sel:[0,1]
	s_delay_alu instid0(VALU_DEP_1) | instskip(SKIP_1) | instid1(VALU_DEP_1)
	v_pk_fma_f32 v[136:137], v[134:135], v[120:121], v[132:133] op_sel:[0,0,1] op_sel_hi:[1,1,0] neg_lo:[0,0,1] neg_hi:[0,0,1]
	v_pk_fma_f32 v[132:133], v[134:135], v[120:121], v[132:133] op_sel:[0,0,1] op_sel_hi:[1,0,0]
	v_mov_b32_e32 v137, v133
	ds_load_2addr_b64 v[132:135], v202 offset0:57 offset1:58
	v_pk_add_f32 v[224:225], v[224:225], v[138:139] neg_lo:[0,1] neg_hi:[0,1]
	v_pk_add_f32 v[228:229], v[228:229], v[136:137] neg_lo:[0,1] neg_hi:[0,1]
	s_wait_dscnt 0x0
	v_dual_mul_f32 v136, v133, v123 :: v_dual_mul_f32 v138, v133, v120
	v_pk_mul_f32 v[122:123], v[134:135], v[122:123] op_sel:[0,1]
	s_delay_alu instid0(VALU_DEP_2) | instskip(NEXT) | instid1(VALU_DEP_3)
	v_pk_fma_f32 v[136:137], v[132:133], v[160:161], v[136:137] op_sel_hi:[1,1,0] neg_lo:[0,0,1] neg_hi:[0,0,1]
	v_pk_fma_f32 v[132:133], v[132:133], v[160:161], v[138:139] op_sel:[1,0,0] op_sel_hi:[0,1,0]
	s_delay_alu instid0(VALU_DEP_1) | instskip(NEXT) | instid1(VALU_DEP_4)
	v_mov_b32_e32 v137, v133
	v_pk_fma_f32 v[132:133], v[134:135], v[120:121], v[122:123] op_sel:[0,0,1] op_sel_hi:[1,1,0] neg_lo:[0,0,1] neg_hi:[0,0,1]
	v_pk_fma_f32 v[120:121], v[134:135], v[120:121], v[122:123] op_sel:[0,0,1] op_sel_hi:[1,0,0]
	s_delay_alu instid0(VALU_DEP_1) | instskip(NEXT) | instid1(VALU_DEP_4)
	v_mov_b32_e32 v133, v121
	v_pk_add_f32 v[234:235], v[234:235], v[136:137] neg_lo:[0,1] neg_hi:[0,1]
	s_delay_alu instid0(VALU_DEP_2)
	v_pk_add_f32 v[236:237], v[236:237], v[132:133] neg_lo:[0,1] neg_hi:[0,1]
.LBB117_352:
	s_or_b32 exec_lo, exec_lo, s1
	s_delay_alu instid0(SALU_CYCLE_1)
	s_mov_b32 s2, exec_lo
	s_wait_dscnt 0x0
	s_barrier_signal -1
	s_barrier_wait -1
	v_cmpx_eq_u32_e32 39, v200
	s_cbranch_execz .LBB117_359
; %bb.353:
	v_dual_mov_b32 v120, v178 :: v_dual_mov_b32 v121, v179
	v_dual_mov_b32 v122, v174 :: v_dual_mov_b32 v123, v175
	ds_store_b64 v201, v[156:157]
	ds_store_2addr_b64 v202, v[120:121], v[122:123] offset0:40 offset1:41
	v_dual_mov_b32 v120, v176 :: v_dual_mov_b32 v121, v177
	v_dual_mov_b32 v122, v172 :: v_dual_mov_b32 v123, v173
	ds_store_2addr_b64 v202, v[120:121], v[122:123] offset0:42 offset1:43
	v_dual_mov_b32 v120, v194 :: v_dual_mov_b32 v121, v195
	v_dual_mov_b32 v122, v190 :: v_dual_mov_b32 v123, v191
	;; [unrolled: 3-line block ×8, first 2 shown]
	ds_store_2addr_b64 v202, v[120:121], v[122:123] offset0:56 offset1:57
	ds_store_b64 v202, v[236:237] offset:464
	ds_load_b64 v[120:121], v201
	s_wait_dscnt 0x0
	v_cmp_neq_f32_e32 vcc_lo, 0, v120
	v_cmp_neq_f32_e64 s1, 0, v121
	s_or_b32 s1, vcc_lo, s1
	s_delay_alu instid0(SALU_CYCLE_1)
	s_and_b32 exec_lo, exec_lo, s1
	s_cbranch_execz .LBB117_359
; %bb.354:
	v_cmp_ngt_f32_e64 s1, |v120|, |v121|
                                        ; implicit-def: $vgpr122_vgpr123
	s_and_saveexec_b32 s4, s1
	s_delay_alu instid0(SALU_CYCLE_1)
	s_xor_b32 s1, exec_lo, s4
	s_cbranch_execz .LBB117_356
; %bb.355:
	v_div_scale_f32 v122, null, v121, v121, v120
	v_div_scale_f32 v133, vcc_lo, v120, v121, v120
	s_delay_alu instid0(VALU_DEP_2) | instskip(SKIP_1) | instid1(TRANS32_DEP_1)
	v_rcp_f32_e32 v123, v122
	v_nop
	v_fma_f32 v132, -v122, v123, 1.0
	s_delay_alu instid0(VALU_DEP_1) | instskip(NEXT) | instid1(VALU_DEP_1)
	v_fmac_f32_e32 v123, v132, v123
	v_mul_f32_e32 v132, v133, v123
	s_delay_alu instid0(VALU_DEP_1) | instskip(NEXT) | instid1(VALU_DEP_1)
	v_fma_f32 v134, -v122, v132, v133
	v_fmac_f32_e32 v132, v134, v123
	s_delay_alu instid0(VALU_DEP_1) | instskip(NEXT) | instid1(VALU_DEP_1)
	v_fma_f32 v122, -v122, v132, v133
	v_div_fmas_f32 v122, v122, v123, v132
	s_delay_alu instid0(VALU_DEP_1) | instskip(NEXT) | instid1(VALU_DEP_1)
	v_div_fixup_f32 v122, v122, v121, v120
	v_fmac_f32_e32 v121, v120, v122
	s_delay_alu instid0(VALU_DEP_1) | instskip(SKIP_1) | instid1(VALU_DEP_2)
	v_div_scale_f32 v120, null, v121, v121, 1.0
	v_div_scale_f32 v133, vcc_lo, 1.0, v121, 1.0
	v_rcp_f32_e32 v123, v120
	v_nop
	s_delay_alu instid0(TRANS32_DEP_1) | instskip(NEXT) | instid1(VALU_DEP_1)
	v_fma_f32 v132, -v120, v123, 1.0
	v_fmac_f32_e32 v123, v132, v123
	s_delay_alu instid0(VALU_DEP_1) | instskip(NEXT) | instid1(VALU_DEP_1)
	v_mul_f32_e32 v132, v133, v123
	v_fma_f32 v134, -v120, v132, v133
	s_delay_alu instid0(VALU_DEP_1) | instskip(NEXT) | instid1(VALU_DEP_1)
	v_fmac_f32_e32 v132, v134, v123
	v_fma_f32 v120, -v120, v132, v133
	s_delay_alu instid0(VALU_DEP_1) | instskip(NEXT) | instid1(VALU_DEP_1)
	v_div_fmas_f32 v120, v120, v123, v132
	v_div_fixup_f32 v120, v120, v121, 1.0
	s_delay_alu instid0(VALU_DEP_1)
	v_mul_f32_e32 v122, v122, v120
	v_xor_b32_e32 v123, 0x80000000, v120
                                        ; implicit-def: $vgpr120_vgpr121
.LBB117_356:
	s_and_not1_saveexec_b32 s1, s1
	s_cbranch_execz .LBB117_358
; %bb.357:
	v_div_scale_f32 v122, null, v120, v120, v121
	v_div_scale_f32 v133, vcc_lo, v121, v120, v121
	s_delay_alu instid0(VALU_DEP_2) | instskip(SKIP_1) | instid1(TRANS32_DEP_1)
	v_rcp_f32_e32 v123, v122
	v_nop
	v_fma_f32 v132, -v122, v123, 1.0
	s_delay_alu instid0(VALU_DEP_1) | instskip(NEXT) | instid1(VALU_DEP_1)
	v_fmac_f32_e32 v123, v132, v123
	v_mul_f32_e32 v132, v133, v123
	s_delay_alu instid0(VALU_DEP_1) | instskip(NEXT) | instid1(VALU_DEP_1)
	v_fma_f32 v134, -v122, v132, v133
	v_fmac_f32_e32 v132, v134, v123
	s_delay_alu instid0(VALU_DEP_1) | instskip(NEXT) | instid1(VALU_DEP_1)
	v_fma_f32 v122, -v122, v132, v133
	v_div_fmas_f32 v122, v122, v123, v132
	s_delay_alu instid0(VALU_DEP_1) | instskip(NEXT) | instid1(VALU_DEP_1)
	v_div_fixup_f32 v123, v122, v120, v121
	v_fmac_f32_e32 v120, v121, v123
	s_delay_alu instid0(VALU_DEP_1) | instskip(NEXT) | instid1(VALU_DEP_1)
	v_div_scale_f32 v121, null, v120, v120, 1.0
	v_rcp_f32_e32 v122, v121
	v_nop
	s_delay_alu instid0(TRANS32_DEP_1) | instskip(NEXT) | instid1(VALU_DEP_1)
	v_fma_f32 v132, -v121, v122, 1.0
	v_fmac_f32_e32 v122, v132, v122
	v_div_scale_f32 v132, vcc_lo, 1.0, v120, 1.0
	s_delay_alu instid0(VALU_DEP_1) | instskip(NEXT) | instid1(VALU_DEP_1)
	v_mul_f32_e32 v133, v132, v122
	v_fma_f32 v134, -v121, v133, v132
	s_delay_alu instid0(VALU_DEP_1) | instskip(NEXT) | instid1(VALU_DEP_1)
	v_fmac_f32_e32 v133, v134, v122
	v_fma_f32 v121, -v121, v133, v132
	s_delay_alu instid0(VALU_DEP_1) | instskip(NEXT) | instid1(VALU_DEP_1)
	v_div_fmas_f32 v121, v121, v122, v133
	v_div_fixup_f32 v122, v121, v120, 1.0
	s_delay_alu instid0(VALU_DEP_1)
	v_mul_f32_e64 v123, v123, -v122
.LBB117_358:
	s_or_b32 exec_lo, exec_lo, s1
	ds_store_b64 v201, v[122:123]
.LBB117_359:
	s_or_b32 exec_lo, exec_lo, s2
	s_wait_dscnt 0x0
	s_barrier_signal -1
	s_barrier_wait -1
	ds_load_b64 v[120:121], v201
	s_mov_b32 s1, exec_lo
	v_cmpx_lt_u32_e32 39, v200
	s_cbranch_execz .LBB117_361
; %bb.360:
	ds_load_2addr_b64 v[134:137], v202 offset0:40 offset1:41
	s_wait_dscnt 0x1
	v_pk_mul_f32 v[132:133], v[120:121], v[156:157] op_sel:[1,1] op_sel_hi:[0,1]
	s_delay_alu instid0(VALU_DEP_1) | instskip(SKIP_1) | instid1(VALU_DEP_1)
	v_pk_fma_f32 v[122:123], v[120:121], v[156:157], v[132:133] op_sel_hi:[1,0,1] neg_lo:[0,0,1] neg_hi:[0,0,1]
	v_pk_fma_f32 v[132:133], v[120:121], v[156:157], v[132:133] op_sel_hi:[1,0,1]
	v_dual_mov_b32 v156, v122 :: v_dual_mov_b32 v157, v133
	s_wait_dscnt 0x0
	s_delay_alu instid0(VALU_DEP_2) | instskip(NEXT) | instid1(VALU_DEP_1)
	v_pk_mul_f32 v[138:139], v[134:135], v[132:133] op_sel:[0,1]
	v_pk_fma_f32 v[148:149], v[134:135], v[122:123], v[138:139] op_sel:[0,0,1] op_sel_hi:[1,1,0] neg_lo:[0,0,1] neg_hi:[0,0,1]
	v_pk_fma_f32 v[134:135], v[134:135], v[122:123], v[138:139] op_sel:[0,0,1] op_sel_hi:[1,0,0]
	s_delay_alu instid0(VALU_DEP_1) | instskip(SKIP_1) | instid1(VALU_DEP_1)
	v_mov_b32_e32 v149, v135
	v_pk_mul_f32 v[134:135], v[136:137], v[132:133] op_sel:[0,1]
	v_pk_fma_f32 v[138:139], v[136:137], v[122:123], v[134:135] op_sel:[0,0,1] op_sel_hi:[1,1,0] neg_lo:[0,0,1] neg_hi:[0,0,1]
	v_pk_fma_f32 v[134:135], v[136:137], v[122:123], v[134:135] op_sel:[0,0,1] op_sel_hi:[1,0,0]
	s_delay_alu instid0(VALU_DEP_1)
	v_mov_b32_e32 v139, v135
	ds_load_2addr_b64 v[134:137], v202 offset0:42 offset1:43
	v_pk_add_f32 v[178:179], v[178:179], v[148:149] neg_lo:[0,1] neg_hi:[0,1]
	v_pk_add_f32 v[174:175], v[174:175], v[138:139] neg_lo:[0,1] neg_hi:[0,1]
	s_wait_dscnt 0x0
	v_pk_mul_f32 v[138:139], v[134:135], v[132:133] op_sel:[0,1]
	s_delay_alu instid0(VALU_DEP_1) | instskip(SKIP_2) | instid1(VALU_DEP_2)
	v_pk_fma_f32 v[148:149], v[134:135], v[122:123], v[138:139] op_sel:[0,0,1] op_sel_hi:[1,1,0] neg_lo:[0,0,1] neg_hi:[0,0,1]
	v_pk_fma_f32 v[134:135], v[134:135], v[122:123], v[138:139] op_sel:[0,0,1] op_sel_hi:[1,0,0]
	v_dual_mul_f32 v138, v137, v133 :: v_dual_mov_b32 v134, v137
	v_dual_mov_b32 v149, v135 :: v_dual_mov_b32 v135, v136
	s_delay_alu instid0(VALU_DEP_2) | instskip(SKIP_1) | instid1(VALU_DEP_3)
	v_pk_fma_f32 v[138:139], v[136:137], v[156:157], v[138:139] op_sel_hi:[1,1,0] neg_lo:[0,0,1] neg_hi:[0,0,1]
	v_mul_f32_e32 v136, v137, v122
	v_pk_add_f32 v[176:177], v[176:177], v[148:149] neg_lo:[0,1] neg_hi:[0,1]
	s_delay_alu instid0(VALU_DEP_2) | instskip(NEXT) | instid1(VALU_DEP_1)
	v_pk_fma_f32 v[134:135], v[134:135], v[156:157], v[136:137] op_sel_hi:[1,1,0]
	v_mov_b32_e32 v139, v135
	ds_load_2addr_b64 v[134:137], v202 offset0:44 offset1:45
	v_pk_add_f32 v[172:173], v[172:173], v[138:139] neg_lo:[0,1] neg_hi:[0,1]
	s_wait_dscnt 0x0
	v_pk_mul_f32 v[138:139], v[134:135], v[132:133] op_sel:[0,1]
	s_delay_alu instid0(VALU_DEP_1) | instskip(SKIP_1) | instid1(VALU_DEP_1)
	v_pk_fma_f32 v[148:149], v[134:135], v[122:123], v[138:139] op_sel:[0,0,1] op_sel_hi:[1,1,0] neg_lo:[0,0,1] neg_hi:[0,0,1]
	v_pk_fma_f32 v[134:135], v[134:135], v[122:123], v[138:139] op_sel:[0,0,1] op_sel_hi:[1,0,0]
	v_mov_b32_e32 v149, v135
	v_pk_mul_f32 v[134:135], v[136:137], v[132:133] op_sel:[0,1]
	s_delay_alu instid0(VALU_DEP_1) | instskip(SKIP_1) | instid1(VALU_DEP_1)
	v_pk_fma_f32 v[138:139], v[136:137], v[122:123], v[134:135] op_sel:[0,0,1] op_sel_hi:[1,1,0] neg_lo:[0,0,1] neg_hi:[0,0,1]
	v_pk_fma_f32 v[134:135], v[136:137], v[122:123], v[134:135] op_sel:[0,0,1] op_sel_hi:[1,0,0]
	v_mov_b32_e32 v139, v135
	ds_load_2addr_b64 v[134:137], v202 offset0:46 offset1:47
	v_pk_add_f32 v[194:195], v[194:195], v[148:149] neg_lo:[0,1] neg_hi:[0,1]
	v_pk_add_f32 v[190:191], v[190:191], v[138:139] neg_lo:[0,1] neg_hi:[0,1]
	s_wait_dscnt 0x0
	v_pk_mul_f32 v[138:139], v[134:135], v[132:133] op_sel:[0,1]
	s_delay_alu instid0(VALU_DEP_1) | instskip(SKIP_1) | instid1(VALU_DEP_1)
	v_pk_fma_f32 v[148:149], v[134:135], v[122:123], v[138:139] op_sel:[0,0,1] op_sel_hi:[1,1,0] neg_lo:[0,0,1] neg_hi:[0,0,1]
	v_pk_fma_f32 v[134:135], v[134:135], v[122:123], v[138:139] op_sel:[0,0,1] op_sel_hi:[1,0,0]
	v_mov_b32_e32 v149, v135
	v_pk_mul_f32 v[134:135], v[136:137], v[132:133] op_sel:[0,1]
	s_delay_alu instid0(VALU_DEP_1) | instskip(SKIP_1) | instid1(VALU_DEP_1)
	v_pk_fma_f32 v[138:139], v[136:137], v[122:123], v[134:135] op_sel:[0,0,1] op_sel_hi:[1,1,0] neg_lo:[0,0,1] neg_hi:[0,0,1]
	v_pk_fma_f32 v[134:135], v[136:137], v[122:123], v[134:135] op_sel:[0,0,1] op_sel_hi:[1,0,0]
	v_mov_b32_e32 v139, v135
	ds_load_2addr_b64 v[134:137], v202 offset0:48 offset1:49
	v_pk_add_f32 v[192:193], v[192:193], v[148:149] neg_lo:[0,1] neg_hi:[0,1]
	v_pk_add_f32 v[188:189], v[188:189], v[138:139] neg_lo:[0,1] neg_hi:[0,1]
	s_wait_dscnt 0x0
	v_dual_mul_f32 v138, v135, v133 :: v_dual_mul_f32 v148, v135, v122
	s_delay_alu instid0(VALU_DEP_1) | instskip(NEXT) | instid1(VALU_DEP_2)
	v_pk_fma_f32 v[138:139], v[134:135], v[156:157], v[138:139] op_sel_hi:[1,1,0] neg_lo:[0,0,1] neg_hi:[0,0,1]
	v_pk_fma_f32 v[134:135], v[134:135], v[156:157], v[148:149] op_sel:[1,0,0] op_sel_hi:[0,1,0]
	s_delay_alu instid0(VALU_DEP_1) | instskip(SKIP_1) | instid1(VALU_DEP_2)
	v_mov_b32_e32 v139, v135
	v_pk_mul_f32 v[134:135], v[136:137], v[132:133] op_sel:[0,1]
	v_pk_add_f32 v[212:213], v[212:213], v[138:139] neg_lo:[0,1] neg_hi:[0,1]
	s_delay_alu instid0(VALU_DEP_2) | instskip(SKIP_1) | instid1(VALU_DEP_1)
	v_pk_fma_f32 v[138:139], v[136:137], v[122:123], v[134:135] op_sel:[0,0,1] op_sel_hi:[1,1,0] neg_lo:[0,0,1] neg_hi:[0,0,1]
	v_pk_fma_f32 v[134:135], v[136:137], v[122:123], v[134:135] op_sel:[0,0,1] op_sel_hi:[1,0,0]
	v_mov_b32_e32 v139, v135
	ds_load_2addr_b64 v[134:137], v202 offset0:50 offset1:51
	v_pk_add_f32 v[208:209], v[208:209], v[138:139] neg_lo:[0,1] neg_hi:[0,1]
	s_wait_dscnt 0x0
	v_pk_mul_f32 v[138:139], v[134:135], v[132:133] op_sel:[0,1]
	s_delay_alu instid0(VALU_DEP_1) | instskip(SKIP_1) | instid1(VALU_DEP_1)
	v_pk_fma_f32 v[148:149], v[134:135], v[122:123], v[138:139] op_sel:[0,0,1] op_sel_hi:[1,1,0] neg_lo:[0,0,1] neg_hi:[0,0,1]
	v_pk_fma_f32 v[134:135], v[134:135], v[122:123], v[138:139] op_sel:[0,0,1] op_sel_hi:[1,0,0]
	v_mov_b32_e32 v149, v135
	v_pk_mul_f32 v[134:135], v[136:137], v[132:133] op_sel:[0,1]
	s_delay_alu instid0(VALU_DEP_2) | instskip(NEXT) | instid1(VALU_DEP_2)
	v_pk_add_f32 v[210:211], v[210:211], v[148:149] neg_lo:[0,1] neg_hi:[0,1]
	v_pk_fma_f32 v[138:139], v[136:137], v[122:123], v[134:135] op_sel:[0,0,1] op_sel_hi:[1,1,0] neg_lo:[0,0,1] neg_hi:[0,0,1]
	v_pk_fma_f32 v[134:135], v[136:137], v[122:123], v[134:135] op_sel:[0,0,1] op_sel_hi:[1,0,0]
	s_delay_alu instid0(VALU_DEP_1) | instskip(SKIP_4) | instid1(VALU_DEP_1)
	v_mov_b32_e32 v139, v135
	ds_load_2addr_b64 v[134:137], v202 offset0:52 offset1:53
	v_pk_add_f32 v[206:207], v[206:207], v[138:139] neg_lo:[0,1] neg_hi:[0,1]
	s_wait_dscnt 0x0
	v_pk_mul_f32 v[138:139], v[134:135], v[132:133] op_sel:[0,1]
	v_pk_fma_f32 v[148:149], v[134:135], v[122:123], v[138:139] op_sel:[0,0,1] op_sel_hi:[1,1,0] neg_lo:[0,0,1] neg_hi:[0,0,1]
	v_pk_fma_f32 v[134:135], v[134:135], v[122:123], v[138:139] op_sel:[0,0,1] op_sel_hi:[1,0,0]
	v_dual_mul_f32 v138, v137, v133 :: v_dual_mov_b32 v134, v137
	s_delay_alu instid0(VALU_DEP_2) | instskip(NEXT) | instid1(VALU_DEP_2)
	v_dual_mov_b32 v149, v135 :: v_dual_mov_b32 v135, v136
	v_pk_fma_f32 v[138:139], v[136:137], v[156:157], v[138:139] op_sel_hi:[1,1,0] neg_lo:[0,0,1] neg_hi:[0,0,1]
	v_mul_f32_e32 v136, v137, v122
	s_delay_alu instid0(VALU_DEP_3) | instskip(NEXT) | instid1(VALU_DEP_2)
	v_pk_add_f32 v[232:233], v[232:233], v[148:149] neg_lo:[0,1] neg_hi:[0,1]
	v_pk_fma_f32 v[134:135], v[134:135], v[156:157], v[136:137] op_sel_hi:[1,1,0]
	s_delay_alu instid0(VALU_DEP_1) | instskip(SKIP_4) | instid1(VALU_DEP_1)
	v_mov_b32_e32 v139, v135
	ds_load_2addr_b64 v[134:137], v202 offset0:54 offset1:55
	v_pk_add_f32 v[226:227], v[226:227], v[138:139] neg_lo:[0,1] neg_hi:[0,1]
	s_wait_dscnt 0x0
	v_pk_mul_f32 v[138:139], v[134:135], v[132:133] op_sel:[0,1]
	v_pk_fma_f32 v[148:149], v[134:135], v[122:123], v[138:139] op_sel:[0,0,1] op_sel_hi:[1,1,0] neg_lo:[0,0,1] neg_hi:[0,0,1]
	v_pk_fma_f32 v[134:135], v[134:135], v[122:123], v[138:139] op_sel:[0,0,1] op_sel_hi:[1,0,0]
	s_delay_alu instid0(VALU_DEP_1) | instskip(SKIP_1) | instid1(VALU_DEP_1)
	v_mov_b32_e32 v149, v135
	v_pk_mul_f32 v[134:135], v[136:137], v[132:133] op_sel:[0,1]
	v_pk_fma_f32 v[138:139], v[136:137], v[122:123], v[134:135] op_sel:[0,0,1] op_sel_hi:[1,1,0] neg_lo:[0,0,1] neg_hi:[0,0,1]
	v_pk_fma_f32 v[134:135], v[136:137], v[122:123], v[134:135] op_sel:[0,0,1] op_sel_hi:[1,0,0]
	s_delay_alu instid0(VALU_DEP_1)
	v_mov_b32_e32 v139, v135
	ds_load_2addr_b64 v[134:137], v202 offset0:56 offset1:57
	v_pk_add_f32 v[230:231], v[230:231], v[148:149] neg_lo:[0,1] neg_hi:[0,1]
	v_pk_add_f32 v[224:225], v[224:225], v[138:139] neg_lo:[0,1] neg_hi:[0,1]
	s_wait_dscnt 0x0
	v_pk_mul_f32 v[138:139], v[134:135], v[132:133] op_sel:[0,1]
	s_delay_alu instid0(VALU_DEP_1) | instskip(SKIP_1) | instid1(VALU_DEP_1)
	v_pk_fma_f32 v[148:149], v[134:135], v[122:123], v[138:139] op_sel:[0,0,1] op_sel_hi:[1,1,0] neg_lo:[0,0,1] neg_hi:[0,0,1]
	v_pk_fma_f32 v[134:135], v[134:135], v[122:123], v[138:139] op_sel:[0,0,1] op_sel_hi:[1,0,0]
	v_mov_b32_e32 v149, v135
	v_pk_mul_f32 v[134:135], v[136:137], v[132:133] op_sel:[0,1]
	s_delay_alu instid0(VALU_DEP_1) | instskip(SKIP_1) | instid1(VALU_DEP_1)
	v_pk_fma_f32 v[138:139], v[136:137], v[122:123], v[134:135] op_sel:[0,0,1] op_sel_hi:[1,1,0] neg_lo:[0,0,1] neg_hi:[0,0,1]
	v_pk_fma_f32 v[134:135], v[136:137], v[122:123], v[134:135] op_sel:[0,0,1] op_sel_hi:[1,0,0]
	v_mov_b32_e32 v139, v135
	ds_load_b64 v[134:135], v202 offset:464
	v_pk_add_f32 v[228:229], v[228:229], v[148:149] neg_lo:[0,1] neg_hi:[0,1]
	v_pk_add_f32 v[234:235], v[234:235], v[138:139] neg_lo:[0,1] neg_hi:[0,1]
	s_wait_dscnt 0x0
	v_pk_mul_f32 v[132:133], v[134:135], v[132:133] op_sel:[0,1]
	s_delay_alu instid0(VALU_DEP_1) | instskip(SKIP_1) | instid1(VALU_DEP_1)
	v_pk_fma_f32 v[136:137], v[134:135], v[122:123], v[132:133] op_sel:[0,0,1] op_sel_hi:[1,1,0] neg_lo:[0,0,1] neg_hi:[0,0,1]
	v_pk_fma_f32 v[122:123], v[134:135], v[122:123], v[132:133] op_sel:[0,0,1] op_sel_hi:[1,0,0]
	v_mov_b32_e32 v137, v123
	s_delay_alu instid0(VALU_DEP_1)
	v_pk_add_f32 v[236:237], v[236:237], v[136:137] neg_lo:[0,1] neg_hi:[0,1]
.LBB117_361:
	s_or_b32 exec_lo, exec_lo, s1
	s_delay_alu instid0(SALU_CYCLE_1)
	s_mov_b32 s2, exec_lo
	s_wait_dscnt 0x0
	s_barrier_signal -1
	s_barrier_wait -1
	v_cmpx_eq_u32_e32 40, v200
	s_cbranch_execz .LBB117_368
; %bb.362:
	ds_store_b64 v201, v[178:179]
	ds_store_2addr_b64 v202, v[174:175], v[176:177] offset0:41 offset1:42
	ds_store_2addr_b64 v202, v[172:173], v[194:195] offset0:43 offset1:44
	;; [unrolled: 1-line block ×9, first 2 shown]
	ds_load_b64 v[122:123], v201
	s_wait_dscnt 0x0
	v_cmp_neq_f32_e32 vcc_lo, 0, v122
	v_cmp_neq_f32_e64 s1, 0, v123
	s_or_b32 s1, vcc_lo, s1
	s_delay_alu instid0(SALU_CYCLE_1)
	s_and_b32 exec_lo, exec_lo, s1
	s_cbranch_execz .LBB117_368
; %bb.363:
	v_cmp_ngt_f32_e64 s1, |v122|, |v123|
                                        ; implicit-def: $vgpr132_vgpr133
	s_and_saveexec_b32 s4, s1
	s_delay_alu instid0(SALU_CYCLE_1)
	s_xor_b32 s1, exec_lo, s4
	s_cbranch_execz .LBB117_365
; %bb.364:
	v_div_scale_f32 v132, null, v123, v123, v122
	v_div_scale_f32 v135, vcc_lo, v122, v123, v122
	s_delay_alu instid0(VALU_DEP_2) | instskip(SKIP_1) | instid1(TRANS32_DEP_1)
	v_rcp_f32_e32 v133, v132
	v_nop
	v_fma_f32 v134, -v132, v133, 1.0
	s_delay_alu instid0(VALU_DEP_1) | instskip(NEXT) | instid1(VALU_DEP_1)
	v_fmac_f32_e32 v133, v134, v133
	v_mul_f32_e32 v134, v135, v133
	s_delay_alu instid0(VALU_DEP_1) | instskip(NEXT) | instid1(VALU_DEP_1)
	v_fma_f32 v136, -v132, v134, v135
	v_fmac_f32_e32 v134, v136, v133
	s_delay_alu instid0(VALU_DEP_1) | instskip(NEXT) | instid1(VALU_DEP_1)
	v_fma_f32 v132, -v132, v134, v135
	v_div_fmas_f32 v132, v132, v133, v134
	s_delay_alu instid0(VALU_DEP_1) | instskip(NEXT) | instid1(VALU_DEP_1)
	v_div_fixup_f32 v132, v132, v123, v122
	v_fmac_f32_e32 v123, v122, v132
	s_delay_alu instid0(VALU_DEP_1) | instskip(SKIP_1) | instid1(VALU_DEP_2)
	v_div_scale_f32 v122, null, v123, v123, 1.0
	v_div_scale_f32 v135, vcc_lo, 1.0, v123, 1.0
	v_rcp_f32_e32 v133, v122
	v_nop
	s_delay_alu instid0(TRANS32_DEP_1) | instskip(NEXT) | instid1(VALU_DEP_1)
	v_fma_f32 v134, -v122, v133, 1.0
	v_fmac_f32_e32 v133, v134, v133
	s_delay_alu instid0(VALU_DEP_1) | instskip(NEXT) | instid1(VALU_DEP_1)
	v_mul_f32_e32 v134, v135, v133
	v_fma_f32 v136, -v122, v134, v135
	s_delay_alu instid0(VALU_DEP_1) | instskip(NEXT) | instid1(VALU_DEP_1)
	v_fmac_f32_e32 v134, v136, v133
	v_fma_f32 v122, -v122, v134, v135
	s_delay_alu instid0(VALU_DEP_1) | instskip(NEXT) | instid1(VALU_DEP_1)
	v_div_fmas_f32 v122, v122, v133, v134
	v_div_fixup_f32 v122, v122, v123, 1.0
	s_delay_alu instid0(VALU_DEP_1)
	v_mul_f32_e32 v132, v132, v122
	v_xor_b32_e32 v133, 0x80000000, v122
                                        ; implicit-def: $vgpr122_vgpr123
.LBB117_365:
	s_and_not1_saveexec_b32 s1, s1
	s_cbranch_execz .LBB117_367
; %bb.366:
	v_div_scale_f32 v132, null, v122, v122, v123
	v_div_scale_f32 v135, vcc_lo, v123, v122, v123
	s_delay_alu instid0(VALU_DEP_2) | instskip(SKIP_1) | instid1(TRANS32_DEP_1)
	v_rcp_f32_e32 v133, v132
	v_nop
	v_fma_f32 v134, -v132, v133, 1.0
	s_delay_alu instid0(VALU_DEP_1) | instskip(NEXT) | instid1(VALU_DEP_1)
	v_fmac_f32_e32 v133, v134, v133
	v_mul_f32_e32 v134, v135, v133
	s_delay_alu instid0(VALU_DEP_1) | instskip(NEXT) | instid1(VALU_DEP_1)
	v_fma_f32 v136, -v132, v134, v135
	v_fmac_f32_e32 v134, v136, v133
	s_delay_alu instid0(VALU_DEP_1) | instskip(NEXT) | instid1(VALU_DEP_1)
	v_fma_f32 v132, -v132, v134, v135
	v_div_fmas_f32 v132, v132, v133, v134
	s_delay_alu instid0(VALU_DEP_1) | instskip(NEXT) | instid1(VALU_DEP_1)
	v_div_fixup_f32 v133, v132, v122, v123
	v_fmac_f32_e32 v122, v123, v133
	s_delay_alu instid0(VALU_DEP_1) | instskip(NEXT) | instid1(VALU_DEP_1)
	v_div_scale_f32 v123, null, v122, v122, 1.0
	v_rcp_f32_e32 v132, v123
	v_nop
	s_delay_alu instid0(TRANS32_DEP_1) | instskip(NEXT) | instid1(VALU_DEP_1)
	v_fma_f32 v134, -v123, v132, 1.0
	v_fmac_f32_e32 v132, v134, v132
	v_div_scale_f32 v134, vcc_lo, 1.0, v122, 1.0
	s_delay_alu instid0(VALU_DEP_1) | instskip(NEXT) | instid1(VALU_DEP_1)
	v_mul_f32_e32 v135, v134, v132
	v_fma_f32 v136, -v123, v135, v134
	s_delay_alu instid0(VALU_DEP_1) | instskip(NEXT) | instid1(VALU_DEP_1)
	v_fmac_f32_e32 v135, v136, v132
	v_fma_f32 v123, -v123, v135, v134
	s_delay_alu instid0(VALU_DEP_1) | instskip(NEXT) | instid1(VALU_DEP_1)
	v_div_fmas_f32 v123, v123, v132, v135
	v_div_fixup_f32 v132, v123, v122, 1.0
	s_delay_alu instid0(VALU_DEP_1)
	v_mul_f32_e64 v133, v133, -v132
.LBB117_367:
	s_or_b32 exec_lo, exec_lo, s1
	ds_store_b64 v201, v[132:133]
.LBB117_368:
	s_or_b32 exec_lo, exec_lo, s2
	s_wait_dscnt 0x0
	s_barrier_signal -1
	s_barrier_wait -1
	ds_load_b64 v[122:123], v201
	s_mov_b32 s1, exec_lo
	v_cmpx_lt_u32_e32 40, v200
	s_cbranch_execz .LBB117_370
; %bb.369:
	ds_load_2addr_b64 v[136:139], v202 offset0:41 offset1:42
	s_wait_dscnt 0x1
	v_pk_mul_f32 v[134:135], v[122:123], v[178:179] op_sel:[1,1] op_sel_hi:[0,1]
	s_delay_alu instid0(VALU_DEP_1) | instskip(SKIP_1) | instid1(VALU_DEP_1)
	v_pk_fma_f32 v[132:133], v[122:123], v[178:179], v[134:135] op_sel_hi:[1,0,1] neg_lo:[0,0,1] neg_hi:[0,0,1]
	v_pk_fma_f32 v[134:135], v[122:123], v[178:179], v[134:135] op_sel_hi:[1,0,1]
	v_dual_mov_b32 v178, v132 :: v_dual_mov_b32 v179, v135
	s_wait_dscnt 0x0
	s_delay_alu instid0(VALU_DEP_2) | instskip(NEXT) | instid1(VALU_DEP_1)
	v_pk_mul_f32 v[148:149], v[136:137], v[134:135] op_sel:[0,1]
	v_pk_fma_f32 v[150:151], v[136:137], v[132:133], v[148:149] op_sel:[0,0,1] op_sel_hi:[1,1,0] neg_lo:[0,0,1] neg_hi:[0,0,1]
	v_pk_fma_f32 v[136:137], v[136:137], v[132:133], v[148:149] op_sel:[0,0,1] op_sel_hi:[1,0,0]
	s_delay_alu instid0(VALU_DEP_1) | instskip(SKIP_1) | instid1(VALU_DEP_1)
	v_mov_b32_e32 v151, v137
	v_pk_mul_f32 v[136:137], v[138:139], v[134:135] op_sel:[0,1]
	v_pk_fma_f32 v[148:149], v[138:139], v[132:133], v[136:137] op_sel:[0,0,1] op_sel_hi:[1,1,0] neg_lo:[0,0,1] neg_hi:[0,0,1]
	v_pk_fma_f32 v[136:137], v[138:139], v[132:133], v[136:137] op_sel:[0,0,1] op_sel_hi:[1,0,0]
	s_delay_alu instid0(VALU_DEP_1)
	v_mov_b32_e32 v149, v137
	ds_load_2addr_b64 v[136:139], v202 offset0:43 offset1:44
	v_pk_add_f32 v[174:175], v[174:175], v[150:151] neg_lo:[0,1] neg_hi:[0,1]
	v_pk_add_f32 v[176:177], v[176:177], v[148:149] neg_lo:[0,1] neg_hi:[0,1]
	s_wait_dscnt 0x0
	v_pk_mul_f32 v[148:149], v[136:137], v[134:135] op_sel:[0,1]
	s_delay_alu instid0(VALU_DEP_1) | instskip(SKIP_2) | instid1(VALU_DEP_2)
	v_pk_fma_f32 v[150:151], v[136:137], v[132:133], v[148:149] op_sel:[0,0,1] op_sel_hi:[1,1,0] neg_lo:[0,0,1] neg_hi:[0,0,1]
	v_pk_fma_f32 v[136:137], v[136:137], v[132:133], v[148:149] op_sel:[0,0,1] op_sel_hi:[1,0,0]
	v_dual_mul_f32 v148, v139, v135 :: v_dual_mov_b32 v136, v139
	v_dual_mov_b32 v151, v137 :: v_dual_mov_b32 v137, v138
	s_delay_alu instid0(VALU_DEP_2) | instskip(SKIP_1) | instid1(VALU_DEP_3)
	v_pk_fma_f32 v[148:149], v[138:139], v[178:179], v[148:149] op_sel_hi:[1,1,0] neg_lo:[0,0,1] neg_hi:[0,0,1]
	v_mul_f32_e32 v138, v139, v132
	v_pk_add_f32 v[172:173], v[172:173], v[150:151] neg_lo:[0,1] neg_hi:[0,1]
	s_delay_alu instid0(VALU_DEP_2) | instskip(NEXT) | instid1(VALU_DEP_1)
	v_pk_fma_f32 v[136:137], v[136:137], v[178:179], v[138:139] op_sel_hi:[1,1,0]
	v_mov_b32_e32 v149, v137
	ds_load_2addr_b64 v[136:139], v202 offset0:45 offset1:46
	v_pk_add_f32 v[194:195], v[194:195], v[148:149] neg_lo:[0,1] neg_hi:[0,1]
	s_wait_dscnt 0x0
	v_pk_mul_f32 v[148:149], v[136:137], v[134:135] op_sel:[0,1]
	s_delay_alu instid0(VALU_DEP_1) | instskip(SKIP_1) | instid1(VALU_DEP_1)
	v_pk_fma_f32 v[150:151], v[136:137], v[132:133], v[148:149] op_sel:[0,0,1] op_sel_hi:[1,1,0] neg_lo:[0,0,1] neg_hi:[0,0,1]
	v_pk_fma_f32 v[136:137], v[136:137], v[132:133], v[148:149] op_sel:[0,0,1] op_sel_hi:[1,0,0]
	v_mov_b32_e32 v151, v137
	v_pk_mul_f32 v[136:137], v[138:139], v[134:135] op_sel:[0,1]
	s_delay_alu instid0(VALU_DEP_1) | instskip(SKIP_1) | instid1(VALU_DEP_1)
	v_pk_fma_f32 v[148:149], v[138:139], v[132:133], v[136:137] op_sel:[0,0,1] op_sel_hi:[1,1,0] neg_lo:[0,0,1] neg_hi:[0,0,1]
	v_pk_fma_f32 v[136:137], v[138:139], v[132:133], v[136:137] op_sel:[0,0,1] op_sel_hi:[1,0,0]
	v_mov_b32_e32 v149, v137
	ds_load_2addr_b64 v[136:139], v202 offset0:47 offset1:48
	v_pk_add_f32 v[190:191], v[190:191], v[150:151] neg_lo:[0,1] neg_hi:[0,1]
	v_pk_add_f32 v[192:193], v[192:193], v[148:149] neg_lo:[0,1] neg_hi:[0,1]
	s_wait_dscnt 0x0
	v_pk_mul_f32 v[148:149], v[136:137], v[134:135] op_sel:[0,1]
	s_delay_alu instid0(VALU_DEP_1) | instskip(SKIP_1) | instid1(VALU_DEP_1)
	v_pk_fma_f32 v[150:151], v[136:137], v[132:133], v[148:149] op_sel:[0,0,1] op_sel_hi:[1,1,0] neg_lo:[0,0,1] neg_hi:[0,0,1]
	v_pk_fma_f32 v[136:137], v[136:137], v[132:133], v[148:149] op_sel:[0,0,1] op_sel_hi:[1,0,0]
	v_mov_b32_e32 v151, v137
	v_pk_mul_f32 v[136:137], v[138:139], v[134:135] op_sel:[0,1]
	s_delay_alu instid0(VALU_DEP_1) | instskip(SKIP_1) | instid1(VALU_DEP_1)
	v_pk_fma_f32 v[148:149], v[138:139], v[132:133], v[136:137] op_sel:[0,0,1] op_sel_hi:[1,1,0] neg_lo:[0,0,1] neg_hi:[0,0,1]
	v_pk_fma_f32 v[136:137], v[138:139], v[132:133], v[136:137] op_sel:[0,0,1] op_sel_hi:[1,0,0]
	v_mov_b32_e32 v149, v137
	ds_load_2addr_b64 v[136:139], v202 offset0:49 offset1:50
	v_pk_add_f32 v[188:189], v[188:189], v[150:151] neg_lo:[0,1] neg_hi:[0,1]
	v_pk_add_f32 v[212:213], v[212:213], v[148:149] neg_lo:[0,1] neg_hi:[0,1]
	s_wait_dscnt 0x0
	v_dual_mul_f32 v148, v137, v135 :: v_dual_mul_f32 v150, v137, v132
	s_delay_alu instid0(VALU_DEP_1) | instskip(NEXT) | instid1(VALU_DEP_2)
	v_pk_fma_f32 v[148:149], v[136:137], v[178:179], v[148:149] op_sel_hi:[1,1,0] neg_lo:[0,0,1] neg_hi:[0,0,1]
	v_pk_fma_f32 v[136:137], v[136:137], v[178:179], v[150:151] op_sel:[1,0,0] op_sel_hi:[0,1,0]
	s_delay_alu instid0(VALU_DEP_1) | instskip(SKIP_1) | instid1(VALU_DEP_2)
	v_mov_b32_e32 v149, v137
	v_pk_mul_f32 v[136:137], v[138:139], v[134:135] op_sel:[0,1]
	v_pk_add_f32 v[208:209], v[208:209], v[148:149] neg_lo:[0,1] neg_hi:[0,1]
	s_delay_alu instid0(VALU_DEP_2) | instskip(SKIP_1) | instid1(VALU_DEP_1)
	v_pk_fma_f32 v[148:149], v[138:139], v[132:133], v[136:137] op_sel:[0,0,1] op_sel_hi:[1,1,0] neg_lo:[0,0,1] neg_hi:[0,0,1]
	v_pk_fma_f32 v[136:137], v[138:139], v[132:133], v[136:137] op_sel:[0,0,1] op_sel_hi:[1,0,0]
	v_mov_b32_e32 v149, v137
	ds_load_2addr_b64 v[136:139], v202 offset0:51 offset1:52
	v_pk_add_f32 v[210:211], v[210:211], v[148:149] neg_lo:[0,1] neg_hi:[0,1]
	s_wait_dscnt 0x0
	v_pk_mul_f32 v[148:149], v[136:137], v[134:135] op_sel:[0,1]
	s_delay_alu instid0(VALU_DEP_1) | instskip(SKIP_1) | instid1(VALU_DEP_1)
	v_pk_fma_f32 v[150:151], v[136:137], v[132:133], v[148:149] op_sel:[0,0,1] op_sel_hi:[1,1,0] neg_lo:[0,0,1] neg_hi:[0,0,1]
	v_pk_fma_f32 v[136:137], v[136:137], v[132:133], v[148:149] op_sel:[0,0,1] op_sel_hi:[1,0,0]
	v_mov_b32_e32 v151, v137
	v_pk_mul_f32 v[136:137], v[138:139], v[134:135] op_sel:[0,1]
	s_delay_alu instid0(VALU_DEP_2) | instskip(NEXT) | instid1(VALU_DEP_2)
	v_pk_add_f32 v[206:207], v[206:207], v[150:151] neg_lo:[0,1] neg_hi:[0,1]
	v_pk_fma_f32 v[148:149], v[138:139], v[132:133], v[136:137] op_sel:[0,0,1] op_sel_hi:[1,1,0] neg_lo:[0,0,1] neg_hi:[0,0,1]
	v_pk_fma_f32 v[136:137], v[138:139], v[132:133], v[136:137] op_sel:[0,0,1] op_sel_hi:[1,0,0]
	s_delay_alu instid0(VALU_DEP_1) | instskip(SKIP_4) | instid1(VALU_DEP_1)
	v_mov_b32_e32 v149, v137
	ds_load_2addr_b64 v[136:139], v202 offset0:53 offset1:54
	v_pk_add_f32 v[232:233], v[232:233], v[148:149] neg_lo:[0,1] neg_hi:[0,1]
	s_wait_dscnt 0x0
	v_pk_mul_f32 v[148:149], v[136:137], v[134:135] op_sel:[0,1]
	v_pk_fma_f32 v[150:151], v[136:137], v[132:133], v[148:149] op_sel:[0,0,1] op_sel_hi:[1,1,0] neg_lo:[0,0,1] neg_hi:[0,0,1]
	v_pk_fma_f32 v[136:137], v[136:137], v[132:133], v[148:149] op_sel:[0,0,1] op_sel_hi:[1,0,0]
	v_dual_mul_f32 v148, v139, v135 :: v_dual_mov_b32 v136, v139
	s_delay_alu instid0(VALU_DEP_2) | instskip(NEXT) | instid1(VALU_DEP_2)
	v_dual_mov_b32 v151, v137 :: v_dual_mov_b32 v137, v138
	v_pk_fma_f32 v[148:149], v[138:139], v[178:179], v[148:149] op_sel_hi:[1,1,0] neg_lo:[0,0,1] neg_hi:[0,0,1]
	v_mul_f32_e32 v138, v139, v132
	s_delay_alu instid0(VALU_DEP_3) | instskip(NEXT) | instid1(VALU_DEP_2)
	v_pk_add_f32 v[226:227], v[226:227], v[150:151] neg_lo:[0,1] neg_hi:[0,1]
	v_pk_fma_f32 v[136:137], v[136:137], v[178:179], v[138:139] op_sel_hi:[1,1,0]
	s_delay_alu instid0(VALU_DEP_1) | instskip(SKIP_4) | instid1(VALU_DEP_1)
	v_mov_b32_e32 v149, v137
	ds_load_2addr_b64 v[136:139], v202 offset0:55 offset1:56
	v_pk_add_f32 v[230:231], v[230:231], v[148:149] neg_lo:[0,1] neg_hi:[0,1]
	s_wait_dscnt 0x0
	v_pk_mul_f32 v[148:149], v[136:137], v[134:135] op_sel:[0,1]
	v_pk_fma_f32 v[150:151], v[136:137], v[132:133], v[148:149] op_sel:[0,0,1] op_sel_hi:[1,1,0] neg_lo:[0,0,1] neg_hi:[0,0,1]
	v_pk_fma_f32 v[136:137], v[136:137], v[132:133], v[148:149] op_sel:[0,0,1] op_sel_hi:[1,0,0]
	s_delay_alu instid0(VALU_DEP_1) | instskip(SKIP_1) | instid1(VALU_DEP_1)
	v_mov_b32_e32 v151, v137
	v_pk_mul_f32 v[136:137], v[138:139], v[134:135] op_sel:[0,1]
	v_pk_fma_f32 v[148:149], v[138:139], v[132:133], v[136:137] op_sel:[0,0,1] op_sel_hi:[1,1,0] neg_lo:[0,0,1] neg_hi:[0,0,1]
	v_pk_fma_f32 v[136:137], v[138:139], v[132:133], v[136:137] op_sel:[0,0,1] op_sel_hi:[1,0,0]
	s_delay_alu instid0(VALU_DEP_1)
	v_mov_b32_e32 v149, v137
	ds_load_2addr_b64 v[136:139], v202 offset0:57 offset1:58
	v_pk_add_f32 v[224:225], v[224:225], v[150:151] neg_lo:[0,1] neg_hi:[0,1]
	v_pk_add_f32 v[228:229], v[228:229], v[148:149] neg_lo:[0,1] neg_hi:[0,1]
	s_wait_dscnt 0x0
	v_pk_mul_f32 v[148:149], v[136:137], v[134:135] op_sel:[0,1]
	v_mul_f32_e32 v134, v139, v135
	s_delay_alu instid0(VALU_DEP_2) | instskip(SKIP_2) | instid1(VALU_DEP_4)
	v_pk_fma_f32 v[150:151], v[136:137], v[132:133], v[148:149] op_sel:[0,0,1] op_sel_hi:[1,1,0] neg_lo:[0,0,1] neg_hi:[0,0,1]
	v_pk_fma_f32 v[136:137], v[136:137], v[132:133], v[148:149] op_sel:[0,0,1] op_sel_hi:[1,0,0]
	v_dual_mov_b32 v136, v139 :: v_dual_mul_f32 v132, v139, v132
	v_pk_fma_f32 v[134:135], v[138:139], v[178:179], v[134:135] op_sel_hi:[1,1,0] neg_lo:[0,0,1] neg_hi:[0,0,1]
	s_delay_alu instid0(VALU_DEP_3) | instskip(NEXT) | instid1(VALU_DEP_1)
	v_dual_mov_b32 v151, v137 :: v_dual_mov_b32 v137, v138
	v_pk_add_f32 v[234:235], v[234:235], v[150:151] neg_lo:[0,1] neg_hi:[0,1]
	s_delay_alu instid0(VALU_DEP_2) | instskip(NEXT) | instid1(VALU_DEP_1)
	v_pk_fma_f32 v[132:133], v[136:137], v[178:179], v[132:133] op_sel_hi:[1,1,0]
	v_mov_b32_e32 v135, v133
	s_delay_alu instid0(VALU_DEP_1)
	v_pk_add_f32 v[236:237], v[236:237], v[134:135] neg_lo:[0,1] neg_hi:[0,1]
.LBB117_370:
	s_or_b32 exec_lo, exec_lo, s1
	s_delay_alu instid0(SALU_CYCLE_1)
	s_mov_b32 s2, exec_lo
	s_wait_dscnt 0x0
	s_barrier_signal -1
	s_barrier_wait -1
	v_cmpx_eq_u32_e32 41, v200
	s_cbranch_execz .LBB117_377
; %bb.371:
	v_dual_mov_b32 v132, v176 :: v_dual_mov_b32 v133, v177
	v_dual_mov_b32 v134, v172 :: v_dual_mov_b32 v135, v173
	ds_store_b64 v201, v[174:175]
	ds_store_2addr_b64 v202, v[132:133], v[134:135] offset0:42 offset1:43
	v_dual_mov_b32 v132, v194 :: v_dual_mov_b32 v133, v195
	v_dual_mov_b32 v134, v190 :: v_dual_mov_b32 v135, v191
	ds_store_2addr_b64 v202, v[132:133], v[134:135] offset0:44 offset1:45
	v_dual_mov_b32 v132, v192 :: v_dual_mov_b32 v133, v193
	v_dual_mov_b32 v134, v188 :: v_dual_mov_b32 v135, v189
	;; [unrolled: 3-line block ×7, first 2 shown]
	ds_store_2addr_b64 v202, v[132:133], v[134:135] offset0:56 offset1:57
	ds_store_b64 v202, v[236:237] offset:464
	ds_load_b64 v[132:133], v201
	s_wait_dscnt 0x0
	v_cmp_neq_f32_e32 vcc_lo, 0, v132
	v_cmp_neq_f32_e64 s1, 0, v133
	s_or_b32 s1, vcc_lo, s1
	s_delay_alu instid0(SALU_CYCLE_1)
	s_and_b32 exec_lo, exec_lo, s1
	s_cbranch_execz .LBB117_377
; %bb.372:
	v_cmp_ngt_f32_e64 s1, |v132|, |v133|
                                        ; implicit-def: $vgpr134_vgpr135
	s_and_saveexec_b32 s4, s1
	s_delay_alu instid0(SALU_CYCLE_1)
	s_xor_b32 s1, exec_lo, s4
	s_cbranch_execz .LBB117_374
; %bb.373:
	v_div_scale_f32 v134, null, v133, v133, v132
	v_div_scale_f32 v137, vcc_lo, v132, v133, v132
	s_delay_alu instid0(VALU_DEP_2) | instskip(SKIP_1) | instid1(TRANS32_DEP_1)
	v_rcp_f32_e32 v135, v134
	v_nop
	v_fma_f32 v136, -v134, v135, 1.0
	s_delay_alu instid0(VALU_DEP_1) | instskip(NEXT) | instid1(VALU_DEP_1)
	v_fmac_f32_e32 v135, v136, v135
	v_mul_f32_e32 v136, v137, v135
	s_delay_alu instid0(VALU_DEP_1) | instskip(NEXT) | instid1(VALU_DEP_1)
	v_fma_f32 v138, -v134, v136, v137
	v_fmac_f32_e32 v136, v138, v135
	s_delay_alu instid0(VALU_DEP_1) | instskip(NEXT) | instid1(VALU_DEP_1)
	v_fma_f32 v134, -v134, v136, v137
	v_div_fmas_f32 v134, v134, v135, v136
	s_delay_alu instid0(VALU_DEP_1) | instskip(NEXT) | instid1(VALU_DEP_1)
	v_div_fixup_f32 v134, v134, v133, v132
	v_fmac_f32_e32 v133, v132, v134
	s_delay_alu instid0(VALU_DEP_1) | instskip(SKIP_1) | instid1(VALU_DEP_2)
	v_div_scale_f32 v132, null, v133, v133, 1.0
	v_div_scale_f32 v137, vcc_lo, 1.0, v133, 1.0
	v_rcp_f32_e32 v135, v132
	v_nop
	s_delay_alu instid0(TRANS32_DEP_1) | instskip(NEXT) | instid1(VALU_DEP_1)
	v_fma_f32 v136, -v132, v135, 1.0
	v_fmac_f32_e32 v135, v136, v135
	s_delay_alu instid0(VALU_DEP_1) | instskip(NEXT) | instid1(VALU_DEP_1)
	v_mul_f32_e32 v136, v137, v135
	v_fma_f32 v138, -v132, v136, v137
	s_delay_alu instid0(VALU_DEP_1) | instskip(NEXT) | instid1(VALU_DEP_1)
	v_fmac_f32_e32 v136, v138, v135
	v_fma_f32 v132, -v132, v136, v137
	s_delay_alu instid0(VALU_DEP_1) | instskip(NEXT) | instid1(VALU_DEP_1)
	v_div_fmas_f32 v132, v132, v135, v136
	v_div_fixup_f32 v132, v132, v133, 1.0
	s_delay_alu instid0(VALU_DEP_1)
	v_mul_f32_e32 v134, v134, v132
	v_xor_b32_e32 v135, 0x80000000, v132
                                        ; implicit-def: $vgpr132_vgpr133
.LBB117_374:
	s_and_not1_saveexec_b32 s1, s1
	s_cbranch_execz .LBB117_376
; %bb.375:
	v_div_scale_f32 v134, null, v132, v132, v133
	v_div_scale_f32 v137, vcc_lo, v133, v132, v133
	s_delay_alu instid0(VALU_DEP_2) | instskip(SKIP_1) | instid1(TRANS32_DEP_1)
	v_rcp_f32_e32 v135, v134
	v_nop
	v_fma_f32 v136, -v134, v135, 1.0
	s_delay_alu instid0(VALU_DEP_1) | instskip(NEXT) | instid1(VALU_DEP_1)
	v_fmac_f32_e32 v135, v136, v135
	v_mul_f32_e32 v136, v137, v135
	s_delay_alu instid0(VALU_DEP_1) | instskip(NEXT) | instid1(VALU_DEP_1)
	v_fma_f32 v138, -v134, v136, v137
	v_fmac_f32_e32 v136, v138, v135
	s_delay_alu instid0(VALU_DEP_1) | instskip(NEXT) | instid1(VALU_DEP_1)
	v_fma_f32 v134, -v134, v136, v137
	v_div_fmas_f32 v134, v134, v135, v136
	s_delay_alu instid0(VALU_DEP_1) | instskip(NEXT) | instid1(VALU_DEP_1)
	v_div_fixup_f32 v135, v134, v132, v133
	v_fmac_f32_e32 v132, v133, v135
	s_delay_alu instid0(VALU_DEP_1) | instskip(NEXT) | instid1(VALU_DEP_1)
	v_div_scale_f32 v133, null, v132, v132, 1.0
	v_rcp_f32_e32 v134, v133
	v_nop
	s_delay_alu instid0(TRANS32_DEP_1) | instskip(NEXT) | instid1(VALU_DEP_1)
	v_fma_f32 v136, -v133, v134, 1.0
	v_fmac_f32_e32 v134, v136, v134
	v_div_scale_f32 v136, vcc_lo, 1.0, v132, 1.0
	s_delay_alu instid0(VALU_DEP_1) | instskip(NEXT) | instid1(VALU_DEP_1)
	v_mul_f32_e32 v137, v136, v134
	v_fma_f32 v138, -v133, v137, v136
	s_delay_alu instid0(VALU_DEP_1) | instskip(NEXT) | instid1(VALU_DEP_1)
	v_fmac_f32_e32 v137, v138, v134
	v_fma_f32 v133, -v133, v137, v136
	s_delay_alu instid0(VALU_DEP_1) | instskip(NEXT) | instid1(VALU_DEP_1)
	v_div_fmas_f32 v133, v133, v134, v137
	v_div_fixup_f32 v134, v133, v132, 1.0
	s_delay_alu instid0(VALU_DEP_1)
	v_mul_f32_e64 v135, v135, -v134
.LBB117_376:
	s_or_b32 exec_lo, exec_lo, s1
	ds_store_b64 v201, v[134:135]
.LBB117_377:
	s_or_b32 exec_lo, exec_lo, s2
	s_wait_dscnt 0x0
	s_barrier_signal -1
	s_barrier_wait -1
	ds_load_b64 v[132:133], v201
	s_mov_b32 s1, exec_lo
	v_cmpx_lt_u32_e32 41, v200
	s_cbranch_execz .LBB117_379
; %bb.378:
	ds_load_2addr_b64 v[148:151], v202 offset0:42 offset1:43
	s_wait_dscnt 0x1
	v_pk_mul_f32 v[136:137], v[132:133], v[174:175] op_sel:[1,1] op_sel_hi:[0,1]
	s_delay_alu instid0(VALU_DEP_1) | instskip(SKIP_1) | instid1(VALU_DEP_1)
	v_pk_fma_f32 v[134:135], v[132:133], v[174:175], v[136:137] op_sel_hi:[1,0,1] neg_lo:[0,0,1] neg_hi:[0,0,1]
	v_pk_fma_f32 v[136:137], v[132:133], v[174:175], v[136:137] op_sel_hi:[1,0,1]
	v_dual_mov_b32 v174, v134 :: v_dual_mov_b32 v175, v137
	s_wait_dscnt 0x0
	s_delay_alu instid0(VALU_DEP_2) | instskip(NEXT) | instid1(VALU_DEP_1)
	v_pk_mul_f32 v[138:139], v[148:149], v[136:137] op_sel:[0,1]
	v_pk_fma_f32 v[152:153], v[148:149], v[134:135], v[138:139] op_sel:[0,0,1] op_sel_hi:[1,1,0] neg_lo:[0,0,1] neg_hi:[0,0,1]
	v_pk_fma_f32 v[138:139], v[148:149], v[134:135], v[138:139] op_sel:[0,0,1] op_sel_hi:[1,0,0]
	s_delay_alu instid0(VALU_DEP_1) | instskip(SKIP_1) | instid1(VALU_DEP_1)
	v_mov_b32_e32 v153, v139
	v_pk_mul_f32 v[138:139], v[150:151], v[136:137] op_sel:[0,1]
	v_pk_fma_f32 v[148:149], v[150:151], v[134:135], v[138:139] op_sel:[0,0,1] op_sel_hi:[1,1,0] neg_lo:[0,0,1] neg_hi:[0,0,1]
	v_pk_fma_f32 v[138:139], v[150:151], v[134:135], v[138:139] op_sel:[0,0,1] op_sel_hi:[1,0,0]
	s_delay_alu instid0(VALU_DEP_1) | instskip(SKIP_1) | instid1(VALU_DEP_2)
	v_mov_b32_e32 v149, v139
	v_pk_add_f32 v[176:177], v[176:177], v[152:153] neg_lo:[0,1] neg_hi:[0,1]
	v_pk_add_f32 v[172:173], v[172:173], v[148:149] neg_lo:[0,1] neg_hi:[0,1]
	ds_load_2addr_b64 v[148:151], v202 offset0:44 offset1:45
	s_wait_dscnt 0x0
	v_pk_mul_f32 v[138:139], v[148:149], v[136:137] op_sel:[0,1]
	s_delay_alu instid0(VALU_DEP_1) | instskip(SKIP_2) | instid1(VALU_DEP_2)
	v_pk_fma_f32 v[152:153], v[148:149], v[134:135], v[138:139] op_sel:[0,0,1] op_sel_hi:[1,1,0] neg_lo:[0,0,1] neg_hi:[0,0,1]
	v_pk_fma_f32 v[138:139], v[148:149], v[134:135], v[138:139] op_sel:[0,0,1] op_sel_hi:[1,0,0]
	v_dual_mul_f32 v148, v151, v137 :: v_dual_mov_b32 v138, v151
	v_dual_mov_b32 v153, v139 :: v_dual_mov_b32 v139, v150
	s_delay_alu instid0(VALU_DEP_2) | instskip(SKIP_1) | instid1(VALU_DEP_3)
	v_pk_fma_f32 v[148:149], v[150:151], v[174:175], v[148:149] op_sel_hi:[1,1,0] neg_lo:[0,0,1] neg_hi:[0,0,1]
	v_mul_f32_e32 v150, v151, v134
	v_pk_add_f32 v[194:195], v[194:195], v[152:153] neg_lo:[0,1] neg_hi:[0,1]
	s_delay_alu instid0(VALU_DEP_2) | instskip(NEXT) | instid1(VALU_DEP_1)
	v_pk_fma_f32 v[138:139], v[138:139], v[174:175], v[150:151] op_sel_hi:[1,1,0]
	v_mov_b32_e32 v149, v139
	s_delay_alu instid0(VALU_DEP_1) | instskip(SKIP_3) | instid1(VALU_DEP_1)
	v_pk_add_f32 v[190:191], v[190:191], v[148:149] neg_lo:[0,1] neg_hi:[0,1]
	ds_load_2addr_b64 v[148:151], v202 offset0:46 offset1:47
	s_wait_dscnt 0x0
	v_pk_mul_f32 v[138:139], v[148:149], v[136:137] op_sel:[0,1]
	v_pk_fma_f32 v[152:153], v[148:149], v[134:135], v[138:139] op_sel:[0,0,1] op_sel_hi:[1,1,0] neg_lo:[0,0,1] neg_hi:[0,0,1]
	v_pk_fma_f32 v[138:139], v[148:149], v[134:135], v[138:139] op_sel:[0,0,1] op_sel_hi:[1,0,0]
	s_delay_alu instid0(VALU_DEP_1) | instskip(SKIP_1) | instid1(VALU_DEP_2)
	v_mov_b32_e32 v153, v139
	v_pk_mul_f32 v[138:139], v[150:151], v[136:137] op_sel:[0,1]
	v_pk_add_f32 v[192:193], v[192:193], v[152:153] neg_lo:[0,1] neg_hi:[0,1]
	s_delay_alu instid0(VALU_DEP_2) | instskip(SKIP_1) | instid1(VALU_DEP_1)
	v_pk_fma_f32 v[148:149], v[150:151], v[134:135], v[138:139] op_sel:[0,0,1] op_sel_hi:[1,1,0] neg_lo:[0,0,1] neg_hi:[0,0,1]
	v_pk_fma_f32 v[138:139], v[150:151], v[134:135], v[138:139] op_sel:[0,0,1] op_sel_hi:[1,0,0]
	v_mov_b32_e32 v149, v139
	s_delay_alu instid0(VALU_DEP_1) | instskip(SKIP_3) | instid1(VALU_DEP_1)
	v_pk_add_f32 v[188:189], v[188:189], v[148:149] neg_lo:[0,1] neg_hi:[0,1]
	ds_load_2addr_b64 v[148:151], v202 offset0:48 offset1:49
	s_wait_dscnt 0x0
	v_pk_mul_f32 v[138:139], v[148:149], v[136:137] op_sel:[0,1]
	v_pk_fma_f32 v[152:153], v[148:149], v[134:135], v[138:139] op_sel:[0,0,1] op_sel_hi:[1,1,0] neg_lo:[0,0,1] neg_hi:[0,0,1]
	v_pk_fma_f32 v[138:139], v[148:149], v[134:135], v[138:139] op_sel:[0,0,1] op_sel_hi:[1,0,0]
	s_delay_alu instid0(VALU_DEP_1) | instskip(SKIP_1) | instid1(VALU_DEP_2)
	v_mov_b32_e32 v153, v139
	v_pk_mul_f32 v[138:139], v[150:151], v[136:137] op_sel:[0,1]
	v_pk_add_f32 v[212:213], v[212:213], v[152:153] neg_lo:[0,1] neg_hi:[0,1]
	s_delay_alu instid0(VALU_DEP_2) | instskip(SKIP_1) | instid1(VALU_DEP_1)
	v_pk_fma_f32 v[148:149], v[150:151], v[134:135], v[138:139] op_sel:[0,0,1] op_sel_hi:[1,1,0] neg_lo:[0,0,1] neg_hi:[0,0,1]
	v_pk_fma_f32 v[138:139], v[150:151], v[134:135], v[138:139] op_sel:[0,0,1] op_sel_hi:[1,0,0]
	v_mov_b32_e32 v149, v139
	s_delay_alu instid0(VALU_DEP_1) | instskip(SKIP_3) | instid1(VALU_DEP_1)
	v_pk_add_f32 v[208:209], v[208:209], v[148:149] neg_lo:[0,1] neg_hi:[0,1]
	ds_load_2addr_b64 v[148:151], v202 offset0:50 offset1:51
	s_wait_dscnt 0x0
	v_dual_mul_f32 v138, v149, v137 :: v_dual_mul_f32 v152, v149, v134
	v_pk_fma_f32 v[138:139], v[148:149], v[174:175], v[138:139] op_sel_hi:[1,1,0] neg_lo:[0,0,1] neg_hi:[0,0,1]
	s_delay_alu instid0(VALU_DEP_2) | instskip(NEXT) | instid1(VALU_DEP_1)
	v_pk_fma_f32 v[148:149], v[148:149], v[174:175], v[152:153] op_sel:[1,0,0] op_sel_hi:[0,1,0]
	v_mov_b32_e32 v139, v149
	s_delay_alu instid0(VALU_DEP_1) | instskip(SKIP_1) | instid1(VALU_DEP_1)
	v_pk_add_f32 v[210:211], v[210:211], v[138:139] neg_lo:[0,1] neg_hi:[0,1]
	v_pk_mul_f32 v[138:139], v[150:151], v[136:137] op_sel:[0,1]
	v_pk_fma_f32 v[148:149], v[150:151], v[134:135], v[138:139] op_sel:[0,0,1] op_sel_hi:[1,1,0] neg_lo:[0,0,1] neg_hi:[0,0,1]
	v_pk_fma_f32 v[138:139], v[150:151], v[134:135], v[138:139] op_sel:[0,0,1] op_sel_hi:[1,0,0]
	s_delay_alu instid0(VALU_DEP_1) | instskip(NEXT) | instid1(VALU_DEP_1)
	v_mov_b32_e32 v149, v139
	v_pk_add_f32 v[206:207], v[206:207], v[148:149] neg_lo:[0,1] neg_hi:[0,1]
	ds_load_2addr_b64 v[148:151], v202 offset0:52 offset1:53
	s_wait_dscnt 0x0
	v_pk_mul_f32 v[138:139], v[148:149], v[136:137] op_sel:[0,1]
	s_delay_alu instid0(VALU_DEP_1) | instskip(SKIP_1) | instid1(VALU_DEP_1)
	v_pk_fma_f32 v[152:153], v[148:149], v[134:135], v[138:139] op_sel:[0,0,1] op_sel_hi:[1,1,0] neg_lo:[0,0,1] neg_hi:[0,0,1]
	v_pk_fma_f32 v[138:139], v[148:149], v[134:135], v[138:139] op_sel:[0,0,1] op_sel_hi:[1,0,0]
	v_mov_b32_e32 v153, v139
	v_pk_mul_f32 v[138:139], v[150:151], v[136:137] op_sel:[0,1]
	s_delay_alu instid0(VALU_DEP_2) | instskip(NEXT) | instid1(VALU_DEP_2)
	v_pk_add_f32 v[232:233], v[232:233], v[152:153] neg_lo:[0,1] neg_hi:[0,1]
	v_pk_fma_f32 v[148:149], v[150:151], v[134:135], v[138:139] op_sel:[0,0,1] op_sel_hi:[1,1,0] neg_lo:[0,0,1] neg_hi:[0,0,1]
	v_pk_fma_f32 v[138:139], v[150:151], v[134:135], v[138:139] op_sel:[0,0,1] op_sel_hi:[1,0,0]
	s_delay_alu instid0(VALU_DEP_1) | instskip(NEXT) | instid1(VALU_DEP_1)
	v_mov_b32_e32 v149, v139
	v_pk_add_f32 v[226:227], v[226:227], v[148:149] neg_lo:[0,1] neg_hi:[0,1]
	ds_load_2addr_b64 v[148:151], v202 offset0:54 offset1:55
	s_wait_dscnt 0x0
	v_pk_mul_f32 v[138:139], v[148:149], v[136:137] op_sel:[0,1]
	s_delay_alu instid0(VALU_DEP_1) | instskip(SKIP_2) | instid1(VALU_DEP_2)
	v_pk_fma_f32 v[152:153], v[148:149], v[134:135], v[138:139] op_sel:[0,0,1] op_sel_hi:[1,1,0] neg_lo:[0,0,1] neg_hi:[0,0,1]
	v_pk_fma_f32 v[138:139], v[148:149], v[134:135], v[138:139] op_sel:[0,0,1] op_sel_hi:[1,0,0]
	v_dual_mul_f32 v148, v151, v137 :: v_dual_mov_b32 v138, v151
	v_dual_mov_b32 v153, v139 :: v_dual_mov_b32 v139, v150
	s_delay_alu instid0(VALU_DEP_2) | instskip(SKIP_1) | instid1(VALU_DEP_3)
	v_pk_fma_f32 v[148:149], v[150:151], v[174:175], v[148:149] op_sel_hi:[1,1,0] neg_lo:[0,0,1] neg_hi:[0,0,1]
	v_mul_f32_e32 v150, v151, v134
	v_pk_add_f32 v[230:231], v[230:231], v[152:153] neg_lo:[0,1] neg_hi:[0,1]
	s_delay_alu instid0(VALU_DEP_2) | instskip(NEXT) | instid1(VALU_DEP_1)
	v_pk_fma_f32 v[138:139], v[138:139], v[174:175], v[150:151] op_sel_hi:[1,1,0]
	v_mov_b32_e32 v149, v139
	s_delay_alu instid0(VALU_DEP_1) | instskip(SKIP_3) | instid1(VALU_DEP_1)
	v_pk_add_f32 v[224:225], v[224:225], v[148:149] neg_lo:[0,1] neg_hi:[0,1]
	ds_load_2addr_b64 v[148:151], v202 offset0:56 offset1:57
	s_wait_dscnt 0x0
	v_pk_mul_f32 v[138:139], v[148:149], v[136:137] op_sel:[0,1]
	v_pk_fma_f32 v[152:153], v[148:149], v[134:135], v[138:139] op_sel:[0,0,1] op_sel_hi:[1,1,0] neg_lo:[0,0,1] neg_hi:[0,0,1]
	v_pk_fma_f32 v[138:139], v[148:149], v[134:135], v[138:139] op_sel:[0,0,1] op_sel_hi:[1,0,0]
	s_delay_alu instid0(VALU_DEP_1) | instskip(SKIP_1) | instid1(VALU_DEP_2)
	v_mov_b32_e32 v153, v139
	v_pk_mul_f32 v[138:139], v[150:151], v[136:137] op_sel:[0,1]
	v_pk_add_f32 v[228:229], v[228:229], v[152:153] neg_lo:[0,1] neg_hi:[0,1]
	s_delay_alu instid0(VALU_DEP_2) | instskip(SKIP_1) | instid1(VALU_DEP_1)
	v_pk_fma_f32 v[148:149], v[150:151], v[134:135], v[138:139] op_sel:[0,0,1] op_sel_hi:[1,1,0] neg_lo:[0,0,1] neg_hi:[0,0,1]
	v_pk_fma_f32 v[138:139], v[150:151], v[134:135], v[138:139] op_sel:[0,0,1] op_sel_hi:[1,0,0]
	v_mov_b32_e32 v149, v139
	ds_load_b64 v[138:139], v202 offset:464
	v_pk_add_f32 v[234:235], v[234:235], v[148:149] neg_lo:[0,1] neg_hi:[0,1]
	s_wait_dscnt 0x0
	v_pk_mul_f32 v[136:137], v[138:139], v[136:137] op_sel:[0,1]
	s_delay_alu instid0(VALU_DEP_1) | instskip(SKIP_1) | instid1(VALU_DEP_1)
	v_pk_fma_f32 v[148:149], v[138:139], v[134:135], v[136:137] op_sel:[0,0,1] op_sel_hi:[1,1,0] neg_lo:[0,0,1] neg_hi:[0,0,1]
	v_pk_fma_f32 v[134:135], v[138:139], v[134:135], v[136:137] op_sel:[0,0,1] op_sel_hi:[1,0,0]
	v_mov_b32_e32 v149, v135
	s_delay_alu instid0(VALU_DEP_1)
	v_pk_add_f32 v[236:237], v[236:237], v[148:149] neg_lo:[0,1] neg_hi:[0,1]
.LBB117_379:
	s_or_b32 exec_lo, exec_lo, s1
	s_delay_alu instid0(SALU_CYCLE_1)
	s_mov_b32 s2, exec_lo
	s_wait_dscnt 0x0
	s_barrier_signal -1
	s_barrier_wait -1
	v_cmpx_eq_u32_e32 42, v200
	s_cbranch_execz .LBB117_386
; %bb.380:
	ds_store_b64 v201, v[176:177]
	ds_store_2addr_b64 v202, v[172:173], v[194:195] offset0:43 offset1:44
	ds_store_2addr_b64 v202, v[190:191], v[192:193] offset0:45 offset1:46
	;; [unrolled: 1-line block ×8, first 2 shown]
	ds_load_b64 v[134:135], v201
	s_wait_dscnt 0x0
	v_cmp_neq_f32_e32 vcc_lo, 0, v134
	v_cmp_neq_f32_e64 s1, 0, v135
	s_or_b32 s1, vcc_lo, s1
	s_delay_alu instid0(SALU_CYCLE_1)
	s_and_b32 exec_lo, exec_lo, s1
	s_cbranch_execz .LBB117_386
; %bb.381:
	v_cmp_ngt_f32_e64 s1, |v134|, |v135|
                                        ; implicit-def: $vgpr136_vgpr137
	s_and_saveexec_b32 s4, s1
	s_delay_alu instid0(SALU_CYCLE_1)
	s_xor_b32 s1, exec_lo, s4
	s_cbranch_execz .LBB117_383
; %bb.382:
	v_div_scale_f32 v136, null, v135, v135, v134
	v_div_scale_f32 v139, vcc_lo, v134, v135, v134
	s_delay_alu instid0(VALU_DEP_2) | instskip(SKIP_1) | instid1(TRANS32_DEP_1)
	v_rcp_f32_e32 v137, v136
	v_nop
	v_fma_f32 v138, -v136, v137, 1.0
	s_delay_alu instid0(VALU_DEP_1) | instskip(NEXT) | instid1(VALU_DEP_1)
	v_fmac_f32_e32 v137, v138, v137
	v_mul_f32_e32 v138, v139, v137
	s_delay_alu instid0(VALU_DEP_1) | instskip(NEXT) | instid1(VALU_DEP_1)
	v_fma_f32 v148, -v136, v138, v139
	v_fmac_f32_e32 v138, v148, v137
	s_delay_alu instid0(VALU_DEP_1) | instskip(NEXT) | instid1(VALU_DEP_1)
	v_fma_f32 v136, -v136, v138, v139
	v_div_fmas_f32 v136, v136, v137, v138
	s_delay_alu instid0(VALU_DEP_1) | instskip(NEXT) | instid1(VALU_DEP_1)
	v_div_fixup_f32 v136, v136, v135, v134
	v_fmac_f32_e32 v135, v134, v136
	s_delay_alu instid0(VALU_DEP_1) | instskip(SKIP_1) | instid1(VALU_DEP_2)
	v_div_scale_f32 v134, null, v135, v135, 1.0
	v_div_scale_f32 v139, vcc_lo, 1.0, v135, 1.0
	v_rcp_f32_e32 v137, v134
	v_nop
	s_delay_alu instid0(TRANS32_DEP_1) | instskip(NEXT) | instid1(VALU_DEP_1)
	v_fma_f32 v138, -v134, v137, 1.0
	v_fmac_f32_e32 v137, v138, v137
	s_delay_alu instid0(VALU_DEP_1) | instskip(NEXT) | instid1(VALU_DEP_1)
	v_mul_f32_e32 v138, v139, v137
	v_fma_f32 v148, -v134, v138, v139
	s_delay_alu instid0(VALU_DEP_1) | instskip(NEXT) | instid1(VALU_DEP_1)
	v_fmac_f32_e32 v138, v148, v137
	v_fma_f32 v134, -v134, v138, v139
	s_delay_alu instid0(VALU_DEP_1) | instskip(NEXT) | instid1(VALU_DEP_1)
	v_div_fmas_f32 v134, v134, v137, v138
	v_div_fixup_f32 v134, v134, v135, 1.0
	s_delay_alu instid0(VALU_DEP_1)
	v_mul_f32_e32 v136, v136, v134
	v_xor_b32_e32 v137, 0x80000000, v134
                                        ; implicit-def: $vgpr134_vgpr135
.LBB117_383:
	s_and_not1_saveexec_b32 s1, s1
	s_cbranch_execz .LBB117_385
; %bb.384:
	v_div_scale_f32 v136, null, v134, v134, v135
	v_div_scale_f32 v139, vcc_lo, v135, v134, v135
	s_delay_alu instid0(VALU_DEP_2) | instskip(SKIP_1) | instid1(TRANS32_DEP_1)
	v_rcp_f32_e32 v137, v136
	v_nop
	v_fma_f32 v138, -v136, v137, 1.0
	s_delay_alu instid0(VALU_DEP_1) | instskip(NEXT) | instid1(VALU_DEP_1)
	v_fmac_f32_e32 v137, v138, v137
	v_mul_f32_e32 v138, v139, v137
	s_delay_alu instid0(VALU_DEP_1) | instskip(NEXT) | instid1(VALU_DEP_1)
	v_fma_f32 v148, -v136, v138, v139
	v_fmac_f32_e32 v138, v148, v137
	s_delay_alu instid0(VALU_DEP_1) | instskip(NEXT) | instid1(VALU_DEP_1)
	v_fma_f32 v136, -v136, v138, v139
	v_div_fmas_f32 v136, v136, v137, v138
	s_delay_alu instid0(VALU_DEP_1) | instskip(NEXT) | instid1(VALU_DEP_1)
	v_div_fixup_f32 v137, v136, v134, v135
	v_fmac_f32_e32 v134, v135, v137
	s_delay_alu instid0(VALU_DEP_1) | instskip(NEXT) | instid1(VALU_DEP_1)
	v_div_scale_f32 v135, null, v134, v134, 1.0
	v_rcp_f32_e32 v136, v135
	v_nop
	s_delay_alu instid0(TRANS32_DEP_1) | instskip(NEXT) | instid1(VALU_DEP_1)
	v_fma_f32 v138, -v135, v136, 1.0
	v_fmac_f32_e32 v136, v138, v136
	v_div_scale_f32 v138, vcc_lo, 1.0, v134, 1.0
	s_delay_alu instid0(VALU_DEP_1) | instskip(NEXT) | instid1(VALU_DEP_1)
	v_mul_f32_e32 v139, v138, v136
	v_fma_f32 v148, -v135, v139, v138
	s_delay_alu instid0(VALU_DEP_1) | instskip(NEXT) | instid1(VALU_DEP_1)
	v_fmac_f32_e32 v139, v148, v136
	v_fma_f32 v135, -v135, v139, v138
	s_delay_alu instid0(VALU_DEP_1) | instskip(NEXT) | instid1(VALU_DEP_1)
	v_div_fmas_f32 v135, v135, v136, v139
	v_div_fixup_f32 v136, v135, v134, 1.0
	s_delay_alu instid0(VALU_DEP_1)
	v_mul_f32_e64 v137, v137, -v136
.LBB117_385:
	s_or_b32 exec_lo, exec_lo, s1
	ds_store_b64 v201, v[136:137]
.LBB117_386:
	s_or_b32 exec_lo, exec_lo, s2
	s_wait_dscnt 0x0
	s_barrier_signal -1
	s_barrier_wait -1
	ds_load_b64 v[134:135], v201
	s_mov_b32 s1, exec_lo
	v_cmpx_lt_u32_e32 42, v200
	s_cbranch_execz .LBB117_388
; %bb.387:
	ds_load_2addr_b64 v[148:151], v202 offset0:43 offset1:44
	s_wait_dscnt 0x1
	v_pk_mul_f32 v[138:139], v[134:135], v[176:177] op_sel:[1,1] op_sel_hi:[0,1]
	s_delay_alu instid0(VALU_DEP_1) | instskip(SKIP_1) | instid1(VALU_DEP_1)
	v_pk_fma_f32 v[136:137], v[134:135], v[176:177], v[138:139] op_sel_hi:[1,0,1] neg_lo:[0,0,1] neg_hi:[0,0,1]
	v_pk_fma_f32 v[138:139], v[134:135], v[176:177], v[138:139] op_sel_hi:[1,0,1]
	v_dual_mov_b32 v176, v136 :: v_dual_mov_b32 v177, v139
	s_wait_dscnt 0x0
	s_delay_alu instid0(VALU_DEP_2) | instskip(NEXT) | instid1(VALU_DEP_1)
	v_pk_mul_f32 v[152:153], v[148:149], v[138:139] op_sel:[0,1]
	v_pk_fma_f32 v[154:155], v[148:149], v[136:137], v[152:153] op_sel:[0,0,1] op_sel_hi:[1,1,0] neg_lo:[0,0,1] neg_hi:[0,0,1]
	v_pk_fma_f32 v[148:149], v[148:149], v[136:137], v[152:153] op_sel:[0,0,1] op_sel_hi:[1,0,0]
	s_delay_alu instid0(VALU_DEP_1) | instskip(SKIP_1) | instid1(VALU_DEP_1)
	v_mov_b32_e32 v155, v149
	v_pk_mul_f32 v[148:149], v[150:151], v[138:139] op_sel:[0,1]
	v_pk_fma_f32 v[152:153], v[150:151], v[136:137], v[148:149] op_sel:[0,0,1] op_sel_hi:[1,1,0] neg_lo:[0,0,1] neg_hi:[0,0,1]
	v_pk_fma_f32 v[148:149], v[150:151], v[136:137], v[148:149] op_sel:[0,0,1] op_sel_hi:[1,0,0]
	s_delay_alu instid0(VALU_DEP_1)
	v_mov_b32_e32 v153, v149
	ds_load_2addr_b64 v[148:151], v202 offset0:45 offset1:46
	v_pk_add_f32 v[172:173], v[172:173], v[154:155] neg_lo:[0,1] neg_hi:[0,1]
	v_pk_add_f32 v[194:195], v[194:195], v[152:153] neg_lo:[0,1] neg_hi:[0,1]
	s_wait_dscnt 0x0
	v_pk_mul_f32 v[152:153], v[148:149], v[138:139] op_sel:[0,1]
	s_delay_alu instid0(VALU_DEP_1) | instskip(SKIP_2) | instid1(VALU_DEP_2)
	v_pk_fma_f32 v[154:155], v[148:149], v[136:137], v[152:153] op_sel:[0,0,1] op_sel_hi:[1,1,0] neg_lo:[0,0,1] neg_hi:[0,0,1]
	v_pk_fma_f32 v[148:149], v[148:149], v[136:137], v[152:153] op_sel:[0,0,1] op_sel_hi:[1,0,0]
	v_dual_mul_f32 v152, v151, v139 :: v_dual_mov_b32 v148, v151
	v_dual_mov_b32 v155, v149 :: v_dual_mov_b32 v149, v150
	s_delay_alu instid0(VALU_DEP_2) | instskip(SKIP_1) | instid1(VALU_DEP_3)
	v_pk_fma_f32 v[152:153], v[150:151], v[176:177], v[152:153] op_sel_hi:[1,1,0] neg_lo:[0,0,1] neg_hi:[0,0,1]
	v_mul_f32_e32 v150, v151, v136
	v_pk_add_f32 v[190:191], v[190:191], v[154:155] neg_lo:[0,1] neg_hi:[0,1]
	s_delay_alu instid0(VALU_DEP_2) | instskip(NEXT) | instid1(VALU_DEP_1)
	v_pk_fma_f32 v[148:149], v[148:149], v[176:177], v[150:151] op_sel_hi:[1,1,0]
	v_mov_b32_e32 v153, v149
	ds_load_2addr_b64 v[148:151], v202 offset0:47 offset1:48
	v_pk_add_f32 v[192:193], v[192:193], v[152:153] neg_lo:[0,1] neg_hi:[0,1]
	s_wait_dscnt 0x0
	v_pk_mul_f32 v[152:153], v[148:149], v[138:139] op_sel:[0,1]
	s_delay_alu instid0(VALU_DEP_1) | instskip(SKIP_1) | instid1(VALU_DEP_1)
	v_pk_fma_f32 v[154:155], v[148:149], v[136:137], v[152:153] op_sel:[0,0,1] op_sel_hi:[1,1,0] neg_lo:[0,0,1] neg_hi:[0,0,1]
	v_pk_fma_f32 v[148:149], v[148:149], v[136:137], v[152:153] op_sel:[0,0,1] op_sel_hi:[1,0,0]
	v_mov_b32_e32 v155, v149
	v_pk_mul_f32 v[148:149], v[150:151], v[138:139] op_sel:[0,1]
	s_delay_alu instid0(VALU_DEP_1) | instskip(SKIP_1) | instid1(VALU_DEP_1)
	v_pk_fma_f32 v[152:153], v[150:151], v[136:137], v[148:149] op_sel:[0,0,1] op_sel_hi:[1,1,0] neg_lo:[0,0,1] neg_hi:[0,0,1]
	v_pk_fma_f32 v[148:149], v[150:151], v[136:137], v[148:149] op_sel:[0,0,1] op_sel_hi:[1,0,0]
	v_mov_b32_e32 v153, v149
	ds_load_2addr_b64 v[148:151], v202 offset0:49 offset1:50
	v_pk_add_f32 v[188:189], v[188:189], v[154:155] neg_lo:[0,1] neg_hi:[0,1]
	v_pk_add_f32 v[212:213], v[212:213], v[152:153] neg_lo:[0,1] neg_hi:[0,1]
	s_wait_dscnt 0x0
	v_pk_mul_f32 v[152:153], v[148:149], v[138:139] op_sel:[0,1]
	s_delay_alu instid0(VALU_DEP_1) | instskip(SKIP_1) | instid1(VALU_DEP_1)
	v_pk_fma_f32 v[154:155], v[148:149], v[136:137], v[152:153] op_sel:[0,0,1] op_sel_hi:[1,1,0] neg_lo:[0,0,1] neg_hi:[0,0,1]
	v_pk_fma_f32 v[148:149], v[148:149], v[136:137], v[152:153] op_sel:[0,0,1] op_sel_hi:[1,0,0]
	v_mov_b32_e32 v155, v149
	v_pk_mul_f32 v[148:149], v[150:151], v[138:139] op_sel:[0,1]
	s_delay_alu instid0(VALU_DEP_1) | instskip(SKIP_1) | instid1(VALU_DEP_1)
	v_pk_fma_f32 v[152:153], v[150:151], v[136:137], v[148:149] op_sel:[0,0,1] op_sel_hi:[1,1,0] neg_lo:[0,0,1] neg_hi:[0,0,1]
	v_pk_fma_f32 v[148:149], v[150:151], v[136:137], v[148:149] op_sel:[0,0,1] op_sel_hi:[1,0,0]
	v_mov_b32_e32 v153, v149
	ds_load_2addr_b64 v[148:151], v202 offset0:51 offset1:52
	v_pk_add_f32 v[208:209], v[208:209], v[154:155] neg_lo:[0,1] neg_hi:[0,1]
	v_pk_add_f32 v[210:211], v[210:211], v[152:153] neg_lo:[0,1] neg_hi:[0,1]
	s_wait_dscnt 0x0
	v_dual_mul_f32 v152, v149, v139 :: v_dual_mul_f32 v154, v149, v136
	s_delay_alu instid0(VALU_DEP_1) | instskip(NEXT) | instid1(VALU_DEP_2)
	v_pk_fma_f32 v[152:153], v[148:149], v[176:177], v[152:153] op_sel_hi:[1,1,0] neg_lo:[0,0,1] neg_hi:[0,0,1]
	v_pk_fma_f32 v[148:149], v[148:149], v[176:177], v[154:155] op_sel:[1,0,0] op_sel_hi:[0,1,0]
	s_delay_alu instid0(VALU_DEP_1) | instskip(SKIP_1) | instid1(VALU_DEP_2)
	v_mov_b32_e32 v153, v149
	v_pk_mul_f32 v[148:149], v[150:151], v[138:139] op_sel:[0,1]
	v_pk_add_f32 v[206:207], v[206:207], v[152:153] neg_lo:[0,1] neg_hi:[0,1]
	s_delay_alu instid0(VALU_DEP_2) | instskip(SKIP_1) | instid1(VALU_DEP_1)
	v_pk_fma_f32 v[152:153], v[150:151], v[136:137], v[148:149] op_sel:[0,0,1] op_sel_hi:[1,1,0] neg_lo:[0,0,1] neg_hi:[0,0,1]
	v_pk_fma_f32 v[148:149], v[150:151], v[136:137], v[148:149] op_sel:[0,0,1] op_sel_hi:[1,0,0]
	v_mov_b32_e32 v153, v149
	ds_load_2addr_b64 v[148:151], v202 offset0:53 offset1:54
	v_pk_add_f32 v[232:233], v[232:233], v[152:153] neg_lo:[0,1] neg_hi:[0,1]
	s_wait_dscnt 0x0
	v_pk_mul_f32 v[152:153], v[148:149], v[138:139] op_sel:[0,1]
	s_delay_alu instid0(VALU_DEP_1) | instskip(SKIP_1) | instid1(VALU_DEP_1)
	v_pk_fma_f32 v[154:155], v[148:149], v[136:137], v[152:153] op_sel:[0,0,1] op_sel_hi:[1,1,0] neg_lo:[0,0,1] neg_hi:[0,0,1]
	v_pk_fma_f32 v[148:149], v[148:149], v[136:137], v[152:153] op_sel:[0,0,1] op_sel_hi:[1,0,0]
	v_mov_b32_e32 v155, v149
	v_pk_mul_f32 v[148:149], v[150:151], v[138:139] op_sel:[0,1]
	s_delay_alu instid0(VALU_DEP_2) | instskip(NEXT) | instid1(VALU_DEP_2)
	v_pk_add_f32 v[226:227], v[226:227], v[154:155] neg_lo:[0,1] neg_hi:[0,1]
	v_pk_fma_f32 v[152:153], v[150:151], v[136:137], v[148:149] op_sel:[0,0,1] op_sel_hi:[1,1,0] neg_lo:[0,0,1] neg_hi:[0,0,1]
	v_pk_fma_f32 v[148:149], v[150:151], v[136:137], v[148:149] op_sel:[0,0,1] op_sel_hi:[1,0,0]
	s_delay_alu instid0(VALU_DEP_1) | instskip(SKIP_4) | instid1(VALU_DEP_1)
	v_mov_b32_e32 v153, v149
	ds_load_2addr_b64 v[148:151], v202 offset0:55 offset1:56
	v_pk_add_f32 v[230:231], v[230:231], v[152:153] neg_lo:[0,1] neg_hi:[0,1]
	s_wait_dscnt 0x0
	v_pk_mul_f32 v[152:153], v[148:149], v[138:139] op_sel:[0,1]
	v_pk_fma_f32 v[154:155], v[148:149], v[136:137], v[152:153] op_sel:[0,0,1] op_sel_hi:[1,1,0] neg_lo:[0,0,1] neg_hi:[0,0,1]
	v_pk_fma_f32 v[148:149], v[148:149], v[136:137], v[152:153] op_sel:[0,0,1] op_sel_hi:[1,0,0]
	v_dual_mul_f32 v152, v151, v139 :: v_dual_mov_b32 v148, v151
	s_delay_alu instid0(VALU_DEP_2) | instskip(NEXT) | instid1(VALU_DEP_2)
	v_dual_mov_b32 v155, v149 :: v_dual_mov_b32 v149, v150
	v_pk_fma_f32 v[152:153], v[150:151], v[176:177], v[152:153] op_sel_hi:[1,1,0] neg_lo:[0,0,1] neg_hi:[0,0,1]
	v_mul_f32_e32 v150, v151, v136
	s_delay_alu instid0(VALU_DEP_3) | instskip(NEXT) | instid1(VALU_DEP_2)
	v_pk_add_f32 v[224:225], v[224:225], v[154:155] neg_lo:[0,1] neg_hi:[0,1]
	v_pk_fma_f32 v[148:149], v[148:149], v[176:177], v[150:151] op_sel_hi:[1,1,0]
	s_delay_alu instid0(VALU_DEP_1)
	v_mov_b32_e32 v153, v149
	ds_load_2addr_b64 v[148:151], v202 offset0:57 offset1:58
	v_pk_add_f32 v[228:229], v[228:229], v[152:153] neg_lo:[0,1] neg_hi:[0,1]
	s_wait_dscnt 0x0
	v_pk_mul_f32 v[152:153], v[148:149], v[138:139] op_sel:[0,1]
	v_pk_mul_f32 v[138:139], v[150:151], v[138:139] op_sel:[0,1]
	s_delay_alu instid0(VALU_DEP_2) | instskip(SKIP_1) | instid1(VALU_DEP_1)
	v_pk_fma_f32 v[154:155], v[148:149], v[136:137], v[152:153] op_sel:[0,0,1] op_sel_hi:[1,1,0] neg_lo:[0,0,1] neg_hi:[0,0,1]
	v_pk_fma_f32 v[148:149], v[148:149], v[136:137], v[152:153] op_sel:[0,0,1] op_sel_hi:[1,0,0]
	v_mov_b32_e32 v155, v149
	s_delay_alu instid0(VALU_DEP_4) | instskip(SKIP_1) | instid1(VALU_DEP_1)
	v_pk_fma_f32 v[148:149], v[150:151], v[136:137], v[138:139] op_sel:[0,0,1] op_sel_hi:[1,1,0] neg_lo:[0,0,1] neg_hi:[0,0,1]
	v_pk_fma_f32 v[136:137], v[150:151], v[136:137], v[138:139] op_sel:[0,0,1] op_sel_hi:[1,0,0]
	v_mov_b32_e32 v149, v137
	s_delay_alu instid0(VALU_DEP_4) | instskip(NEXT) | instid1(VALU_DEP_2)
	v_pk_add_f32 v[234:235], v[234:235], v[154:155] neg_lo:[0,1] neg_hi:[0,1]
	v_pk_add_f32 v[236:237], v[236:237], v[148:149] neg_lo:[0,1] neg_hi:[0,1]
.LBB117_388:
	s_or_b32 exec_lo, exec_lo, s1
	s_delay_alu instid0(SALU_CYCLE_1)
	s_mov_b32 s2, exec_lo
	s_wait_dscnt 0x0
	s_barrier_signal -1
	s_barrier_wait -1
	v_cmpx_eq_u32_e32 43, v200
	s_cbranch_execz .LBB117_395
; %bb.389:
	v_dual_mov_b32 v136, v194 :: v_dual_mov_b32 v137, v195
	v_dual_mov_b32 v138, v190 :: v_dual_mov_b32 v139, v191
	ds_store_b64 v201, v[172:173]
	ds_store_2addr_b64 v202, v[136:137], v[138:139] offset0:44 offset1:45
	v_dual_mov_b32 v136, v192 :: v_dual_mov_b32 v137, v193
	v_dual_mov_b32 v138, v188 :: v_dual_mov_b32 v139, v189
	ds_store_2addr_b64 v202, v[136:137], v[138:139] offset0:46 offset1:47
	v_dual_mov_b32 v136, v212 :: v_dual_mov_b32 v137, v213
	v_dual_mov_b32 v138, v208 :: v_dual_mov_b32 v139, v209
	;; [unrolled: 3-line block ×6, first 2 shown]
	ds_store_2addr_b64 v202, v[136:137], v[138:139] offset0:56 offset1:57
	ds_store_b64 v202, v[236:237] offset:464
	ds_load_b64 v[136:137], v201
	s_wait_dscnt 0x0
	v_cmp_neq_f32_e32 vcc_lo, 0, v136
	v_cmp_neq_f32_e64 s1, 0, v137
	s_or_b32 s1, vcc_lo, s1
	s_delay_alu instid0(SALU_CYCLE_1)
	s_and_b32 exec_lo, exec_lo, s1
	s_cbranch_execz .LBB117_395
; %bb.390:
	v_cmp_ngt_f32_e64 s1, |v136|, |v137|
                                        ; implicit-def: $vgpr138_vgpr139
	s_and_saveexec_b32 s4, s1
	s_delay_alu instid0(SALU_CYCLE_1)
	s_xor_b32 s1, exec_lo, s4
	s_cbranch_execz .LBB117_392
; %bb.391:
	v_div_scale_f32 v138, null, v137, v137, v136
	v_div_scale_f32 v149, vcc_lo, v136, v137, v136
	s_delay_alu instid0(VALU_DEP_2) | instskip(SKIP_1) | instid1(TRANS32_DEP_1)
	v_rcp_f32_e32 v139, v138
	v_nop
	v_fma_f32 v148, -v138, v139, 1.0
	s_delay_alu instid0(VALU_DEP_1) | instskip(NEXT) | instid1(VALU_DEP_1)
	v_fmac_f32_e32 v139, v148, v139
	v_mul_f32_e32 v148, v149, v139
	s_delay_alu instid0(VALU_DEP_1) | instskip(NEXT) | instid1(VALU_DEP_1)
	v_fma_f32 v150, -v138, v148, v149
	v_fmac_f32_e32 v148, v150, v139
	s_delay_alu instid0(VALU_DEP_1) | instskip(NEXT) | instid1(VALU_DEP_1)
	v_fma_f32 v138, -v138, v148, v149
	v_div_fmas_f32 v138, v138, v139, v148
	s_delay_alu instid0(VALU_DEP_1) | instskip(NEXT) | instid1(VALU_DEP_1)
	v_div_fixup_f32 v138, v138, v137, v136
	v_fmac_f32_e32 v137, v136, v138
	s_delay_alu instid0(VALU_DEP_1) | instskip(SKIP_1) | instid1(VALU_DEP_2)
	v_div_scale_f32 v136, null, v137, v137, 1.0
	v_div_scale_f32 v149, vcc_lo, 1.0, v137, 1.0
	v_rcp_f32_e32 v139, v136
	v_nop
	s_delay_alu instid0(TRANS32_DEP_1) | instskip(NEXT) | instid1(VALU_DEP_1)
	v_fma_f32 v148, -v136, v139, 1.0
	v_fmac_f32_e32 v139, v148, v139
	s_delay_alu instid0(VALU_DEP_1) | instskip(NEXT) | instid1(VALU_DEP_1)
	v_mul_f32_e32 v148, v149, v139
	v_fma_f32 v150, -v136, v148, v149
	s_delay_alu instid0(VALU_DEP_1) | instskip(NEXT) | instid1(VALU_DEP_1)
	v_fmac_f32_e32 v148, v150, v139
	v_fma_f32 v136, -v136, v148, v149
	s_delay_alu instid0(VALU_DEP_1) | instskip(NEXT) | instid1(VALU_DEP_1)
	v_div_fmas_f32 v136, v136, v139, v148
	v_div_fixup_f32 v136, v136, v137, 1.0
	s_delay_alu instid0(VALU_DEP_1)
	v_mul_f32_e32 v138, v138, v136
	v_xor_b32_e32 v139, 0x80000000, v136
                                        ; implicit-def: $vgpr136_vgpr137
.LBB117_392:
	s_and_not1_saveexec_b32 s1, s1
	s_cbranch_execz .LBB117_394
; %bb.393:
	v_div_scale_f32 v138, null, v136, v136, v137
	v_div_scale_f32 v149, vcc_lo, v137, v136, v137
	s_delay_alu instid0(VALU_DEP_2) | instskip(SKIP_1) | instid1(TRANS32_DEP_1)
	v_rcp_f32_e32 v139, v138
	v_nop
	v_fma_f32 v148, -v138, v139, 1.0
	s_delay_alu instid0(VALU_DEP_1) | instskip(NEXT) | instid1(VALU_DEP_1)
	v_fmac_f32_e32 v139, v148, v139
	v_mul_f32_e32 v148, v149, v139
	s_delay_alu instid0(VALU_DEP_1) | instskip(NEXT) | instid1(VALU_DEP_1)
	v_fma_f32 v150, -v138, v148, v149
	v_fmac_f32_e32 v148, v150, v139
	s_delay_alu instid0(VALU_DEP_1) | instskip(NEXT) | instid1(VALU_DEP_1)
	v_fma_f32 v138, -v138, v148, v149
	v_div_fmas_f32 v138, v138, v139, v148
	s_delay_alu instid0(VALU_DEP_1) | instskip(NEXT) | instid1(VALU_DEP_1)
	v_div_fixup_f32 v139, v138, v136, v137
	v_fmac_f32_e32 v136, v137, v139
	s_delay_alu instid0(VALU_DEP_1) | instskip(NEXT) | instid1(VALU_DEP_1)
	v_div_scale_f32 v137, null, v136, v136, 1.0
	v_rcp_f32_e32 v138, v137
	v_nop
	s_delay_alu instid0(TRANS32_DEP_1) | instskip(NEXT) | instid1(VALU_DEP_1)
	v_fma_f32 v148, -v137, v138, 1.0
	v_fmac_f32_e32 v138, v148, v138
	v_div_scale_f32 v148, vcc_lo, 1.0, v136, 1.0
	s_delay_alu instid0(VALU_DEP_1) | instskip(NEXT) | instid1(VALU_DEP_1)
	v_mul_f32_e32 v149, v148, v138
	v_fma_f32 v150, -v137, v149, v148
	s_delay_alu instid0(VALU_DEP_1) | instskip(NEXT) | instid1(VALU_DEP_1)
	v_fmac_f32_e32 v149, v150, v138
	v_fma_f32 v137, -v137, v149, v148
	s_delay_alu instid0(VALU_DEP_1) | instskip(NEXT) | instid1(VALU_DEP_1)
	v_div_fmas_f32 v137, v137, v138, v149
	v_div_fixup_f32 v138, v137, v136, 1.0
	s_delay_alu instid0(VALU_DEP_1)
	v_mul_f32_e64 v139, v139, -v138
.LBB117_394:
	s_or_b32 exec_lo, exec_lo, s1
	ds_store_b64 v201, v[138:139]
.LBB117_395:
	s_or_b32 exec_lo, exec_lo, s2
	s_wait_dscnt 0x0
	s_barrier_signal -1
	s_barrier_wait -1
	ds_load_b64 v[136:137], v201
	s_mov_b32 s1, exec_lo
	v_cmpx_lt_u32_e32 43, v200
	s_cbranch_execz .LBB117_397
; %bb.396:
	ds_load_2addr_b64 v[150:153], v202 offset0:44 offset1:45
	s_wait_dscnt 0x1
	v_pk_mul_f32 v[148:149], v[136:137], v[172:173] op_sel:[1,1] op_sel_hi:[0,1]
	s_delay_alu instid0(VALU_DEP_1) | instskip(SKIP_1) | instid1(VALU_DEP_1)
	v_pk_fma_f32 v[138:139], v[136:137], v[172:173], v[148:149] op_sel_hi:[1,0,1] neg_lo:[0,0,1] neg_hi:[0,0,1]
	v_pk_fma_f32 v[148:149], v[136:137], v[172:173], v[148:149] op_sel_hi:[1,0,1]
	v_dual_mov_b32 v172, v138 :: v_dual_mov_b32 v173, v149
	s_wait_dscnt 0x0
	s_delay_alu instid0(VALU_DEP_2) | instskip(NEXT) | instid1(VALU_DEP_1)
	v_pk_mul_f32 v[154:155], v[150:151], v[148:149] op_sel:[0,1]
	v_pk_fma_f32 v[164:165], v[150:151], v[138:139], v[154:155] op_sel:[0,0,1] op_sel_hi:[1,1,0] neg_lo:[0,0,1] neg_hi:[0,0,1]
	v_pk_fma_f32 v[150:151], v[150:151], v[138:139], v[154:155] op_sel:[0,0,1] op_sel_hi:[1,0,0]
	s_delay_alu instid0(VALU_DEP_1) | instskip(SKIP_1) | instid1(VALU_DEP_1)
	v_mov_b32_e32 v165, v151
	v_pk_mul_f32 v[150:151], v[152:153], v[148:149] op_sel:[0,1]
	v_pk_fma_f32 v[154:155], v[152:153], v[138:139], v[150:151] op_sel:[0,0,1] op_sel_hi:[1,1,0] neg_lo:[0,0,1] neg_hi:[0,0,1]
	v_pk_fma_f32 v[150:151], v[152:153], v[138:139], v[150:151] op_sel:[0,0,1] op_sel_hi:[1,0,0]
	s_delay_alu instid0(VALU_DEP_1)
	v_mov_b32_e32 v155, v151
	ds_load_2addr_b64 v[150:153], v202 offset0:46 offset1:47
	v_pk_add_f32 v[194:195], v[194:195], v[164:165] neg_lo:[0,1] neg_hi:[0,1]
	v_pk_add_f32 v[190:191], v[190:191], v[154:155] neg_lo:[0,1] neg_hi:[0,1]
	s_wait_dscnt 0x0
	v_pk_mul_f32 v[154:155], v[150:151], v[148:149] op_sel:[0,1]
	s_delay_alu instid0(VALU_DEP_1) | instskip(SKIP_2) | instid1(VALU_DEP_2)
	v_pk_fma_f32 v[164:165], v[150:151], v[138:139], v[154:155] op_sel:[0,0,1] op_sel_hi:[1,1,0] neg_lo:[0,0,1] neg_hi:[0,0,1]
	v_pk_fma_f32 v[150:151], v[150:151], v[138:139], v[154:155] op_sel:[0,0,1] op_sel_hi:[1,0,0]
	v_dual_mul_f32 v154, v153, v149 :: v_dual_mov_b32 v150, v153
	v_dual_mov_b32 v165, v151 :: v_dual_mov_b32 v151, v152
	s_delay_alu instid0(VALU_DEP_2) | instskip(SKIP_1) | instid1(VALU_DEP_3)
	v_pk_fma_f32 v[154:155], v[152:153], v[172:173], v[154:155] op_sel_hi:[1,1,0] neg_lo:[0,0,1] neg_hi:[0,0,1]
	v_mul_f32_e32 v152, v153, v138
	v_pk_add_f32 v[192:193], v[192:193], v[164:165] neg_lo:[0,1] neg_hi:[0,1]
	s_delay_alu instid0(VALU_DEP_2) | instskip(NEXT) | instid1(VALU_DEP_1)
	v_pk_fma_f32 v[150:151], v[150:151], v[172:173], v[152:153] op_sel_hi:[1,1,0]
	v_mov_b32_e32 v155, v151
	ds_load_2addr_b64 v[150:153], v202 offset0:48 offset1:49
	v_pk_add_f32 v[188:189], v[188:189], v[154:155] neg_lo:[0,1] neg_hi:[0,1]
	s_wait_dscnt 0x0
	v_pk_mul_f32 v[154:155], v[150:151], v[148:149] op_sel:[0,1]
	s_delay_alu instid0(VALU_DEP_1) | instskip(SKIP_1) | instid1(VALU_DEP_1)
	v_pk_fma_f32 v[164:165], v[150:151], v[138:139], v[154:155] op_sel:[0,0,1] op_sel_hi:[1,1,0] neg_lo:[0,0,1] neg_hi:[0,0,1]
	v_pk_fma_f32 v[150:151], v[150:151], v[138:139], v[154:155] op_sel:[0,0,1] op_sel_hi:[1,0,0]
	v_mov_b32_e32 v165, v151
	v_pk_mul_f32 v[150:151], v[152:153], v[148:149] op_sel:[0,1]
	s_delay_alu instid0(VALU_DEP_1) | instskip(SKIP_1) | instid1(VALU_DEP_1)
	v_pk_fma_f32 v[154:155], v[152:153], v[138:139], v[150:151] op_sel:[0,0,1] op_sel_hi:[1,1,0] neg_lo:[0,0,1] neg_hi:[0,0,1]
	v_pk_fma_f32 v[150:151], v[152:153], v[138:139], v[150:151] op_sel:[0,0,1] op_sel_hi:[1,0,0]
	v_mov_b32_e32 v155, v151
	ds_load_2addr_b64 v[150:153], v202 offset0:50 offset1:51
	v_pk_add_f32 v[212:213], v[212:213], v[164:165] neg_lo:[0,1] neg_hi:[0,1]
	v_pk_add_f32 v[208:209], v[208:209], v[154:155] neg_lo:[0,1] neg_hi:[0,1]
	s_wait_dscnt 0x0
	v_pk_mul_f32 v[154:155], v[150:151], v[148:149] op_sel:[0,1]
	s_delay_alu instid0(VALU_DEP_1) | instskip(SKIP_1) | instid1(VALU_DEP_1)
	v_pk_fma_f32 v[164:165], v[150:151], v[138:139], v[154:155] op_sel:[0,0,1] op_sel_hi:[1,1,0] neg_lo:[0,0,1] neg_hi:[0,0,1]
	v_pk_fma_f32 v[150:151], v[150:151], v[138:139], v[154:155] op_sel:[0,0,1] op_sel_hi:[1,0,0]
	v_mov_b32_e32 v165, v151
	v_pk_mul_f32 v[150:151], v[152:153], v[148:149] op_sel:[0,1]
	s_delay_alu instid0(VALU_DEP_1) | instskip(SKIP_1) | instid1(VALU_DEP_1)
	v_pk_fma_f32 v[154:155], v[152:153], v[138:139], v[150:151] op_sel:[0,0,1] op_sel_hi:[1,1,0] neg_lo:[0,0,1] neg_hi:[0,0,1]
	v_pk_fma_f32 v[150:151], v[152:153], v[138:139], v[150:151] op_sel:[0,0,1] op_sel_hi:[1,0,0]
	v_mov_b32_e32 v155, v151
	ds_load_2addr_b64 v[150:153], v202 offset0:52 offset1:53
	v_pk_add_f32 v[210:211], v[210:211], v[164:165] neg_lo:[0,1] neg_hi:[0,1]
	v_pk_add_f32 v[206:207], v[206:207], v[154:155] neg_lo:[0,1] neg_hi:[0,1]
	s_wait_dscnt 0x0
	v_dual_mul_f32 v154, v151, v149 :: v_dual_mul_f32 v164, v151, v138
	s_delay_alu instid0(VALU_DEP_1) | instskip(NEXT) | instid1(VALU_DEP_2)
	v_pk_fma_f32 v[154:155], v[150:151], v[172:173], v[154:155] op_sel_hi:[1,1,0] neg_lo:[0,0,1] neg_hi:[0,0,1]
	v_pk_fma_f32 v[150:151], v[150:151], v[172:173], v[164:165] op_sel:[1,0,0] op_sel_hi:[0,1,0]
	s_delay_alu instid0(VALU_DEP_1) | instskip(SKIP_1) | instid1(VALU_DEP_2)
	v_mov_b32_e32 v155, v151
	v_pk_mul_f32 v[150:151], v[152:153], v[148:149] op_sel:[0,1]
	v_pk_add_f32 v[232:233], v[232:233], v[154:155] neg_lo:[0,1] neg_hi:[0,1]
	s_delay_alu instid0(VALU_DEP_2) | instskip(SKIP_1) | instid1(VALU_DEP_1)
	v_pk_fma_f32 v[154:155], v[152:153], v[138:139], v[150:151] op_sel:[0,0,1] op_sel_hi:[1,1,0] neg_lo:[0,0,1] neg_hi:[0,0,1]
	v_pk_fma_f32 v[150:151], v[152:153], v[138:139], v[150:151] op_sel:[0,0,1] op_sel_hi:[1,0,0]
	v_mov_b32_e32 v155, v151
	ds_load_2addr_b64 v[150:153], v202 offset0:54 offset1:55
	v_pk_add_f32 v[226:227], v[226:227], v[154:155] neg_lo:[0,1] neg_hi:[0,1]
	s_wait_dscnt 0x0
	v_pk_mul_f32 v[154:155], v[150:151], v[148:149] op_sel:[0,1]
	s_delay_alu instid0(VALU_DEP_1) | instskip(SKIP_1) | instid1(VALU_DEP_1)
	v_pk_fma_f32 v[164:165], v[150:151], v[138:139], v[154:155] op_sel:[0,0,1] op_sel_hi:[1,1,0] neg_lo:[0,0,1] neg_hi:[0,0,1]
	v_pk_fma_f32 v[150:151], v[150:151], v[138:139], v[154:155] op_sel:[0,0,1] op_sel_hi:[1,0,0]
	v_mov_b32_e32 v165, v151
	v_pk_mul_f32 v[150:151], v[152:153], v[148:149] op_sel:[0,1]
	s_delay_alu instid0(VALU_DEP_2) | instskip(NEXT) | instid1(VALU_DEP_2)
	v_pk_add_f32 v[230:231], v[230:231], v[164:165] neg_lo:[0,1] neg_hi:[0,1]
	v_pk_fma_f32 v[154:155], v[152:153], v[138:139], v[150:151] op_sel:[0,0,1] op_sel_hi:[1,1,0] neg_lo:[0,0,1] neg_hi:[0,0,1]
	v_pk_fma_f32 v[150:151], v[152:153], v[138:139], v[150:151] op_sel:[0,0,1] op_sel_hi:[1,0,0]
	s_delay_alu instid0(VALU_DEP_1) | instskip(SKIP_4) | instid1(VALU_DEP_1)
	v_mov_b32_e32 v155, v151
	ds_load_2addr_b64 v[150:153], v202 offset0:56 offset1:57
	v_pk_add_f32 v[224:225], v[224:225], v[154:155] neg_lo:[0,1] neg_hi:[0,1]
	s_wait_dscnt 0x0
	v_pk_mul_f32 v[154:155], v[150:151], v[148:149] op_sel:[0,1]
	v_pk_fma_f32 v[164:165], v[150:151], v[138:139], v[154:155] op_sel:[0,0,1] op_sel_hi:[1,1,0] neg_lo:[0,0,1] neg_hi:[0,0,1]
	v_pk_fma_f32 v[150:151], v[150:151], v[138:139], v[154:155] op_sel:[0,0,1] op_sel_hi:[1,0,0]
	v_dual_mul_f32 v154, v153, v149 :: v_dual_mov_b32 v150, v153
	s_delay_alu instid0(VALU_DEP_2) | instskip(NEXT) | instid1(VALU_DEP_2)
	v_dual_mov_b32 v165, v151 :: v_dual_mov_b32 v151, v152
	v_pk_fma_f32 v[154:155], v[152:153], v[172:173], v[154:155] op_sel_hi:[1,1,0] neg_lo:[0,0,1] neg_hi:[0,0,1]
	v_mul_f32_e32 v152, v153, v138
	s_delay_alu instid0(VALU_DEP_3) | instskip(NEXT) | instid1(VALU_DEP_2)
	v_pk_add_f32 v[228:229], v[228:229], v[164:165] neg_lo:[0,1] neg_hi:[0,1]
	v_pk_fma_f32 v[150:151], v[150:151], v[172:173], v[152:153] op_sel_hi:[1,1,0]
	s_delay_alu instid0(VALU_DEP_1) | instskip(SKIP_4) | instid1(VALU_DEP_1)
	v_mov_b32_e32 v155, v151
	ds_load_b64 v[150:151], v202 offset:464
	v_pk_add_f32 v[234:235], v[234:235], v[154:155] neg_lo:[0,1] neg_hi:[0,1]
	s_wait_dscnt 0x0
	v_pk_mul_f32 v[148:149], v[150:151], v[148:149] op_sel:[0,1]
	v_pk_fma_f32 v[152:153], v[150:151], v[138:139], v[148:149] op_sel:[0,0,1] op_sel_hi:[1,1,0] neg_lo:[0,0,1] neg_hi:[0,0,1]
	v_pk_fma_f32 v[138:139], v[150:151], v[138:139], v[148:149] op_sel:[0,0,1] op_sel_hi:[1,0,0]
	s_delay_alu instid0(VALU_DEP_1) | instskip(NEXT) | instid1(VALU_DEP_1)
	v_mov_b32_e32 v153, v139
	v_pk_add_f32 v[236:237], v[236:237], v[152:153] neg_lo:[0,1] neg_hi:[0,1]
.LBB117_397:
	s_or_b32 exec_lo, exec_lo, s1
	s_delay_alu instid0(SALU_CYCLE_1)
	s_mov_b32 s2, exec_lo
	s_wait_dscnt 0x0
	s_barrier_signal -1
	s_barrier_wait -1
	v_cmpx_eq_u32_e32 44, v200
	s_cbranch_execz .LBB117_404
; %bb.398:
	ds_store_b64 v201, v[194:195]
	ds_store_2addr_b64 v202, v[190:191], v[192:193] offset0:45 offset1:46
	ds_store_2addr_b64 v202, v[188:189], v[212:213] offset0:47 offset1:48
	;; [unrolled: 1-line block ×7, first 2 shown]
	ds_load_b64 v[138:139], v201
	s_wait_dscnt 0x0
	v_cmp_neq_f32_e32 vcc_lo, 0, v138
	v_cmp_neq_f32_e64 s1, 0, v139
	s_or_b32 s1, vcc_lo, s1
	s_delay_alu instid0(SALU_CYCLE_1)
	s_and_b32 exec_lo, exec_lo, s1
	s_cbranch_execz .LBB117_404
; %bb.399:
	v_cmp_ngt_f32_e64 s1, |v138|, |v139|
                                        ; implicit-def: $vgpr148_vgpr149
	s_and_saveexec_b32 s4, s1
	s_delay_alu instid0(SALU_CYCLE_1)
	s_xor_b32 s1, exec_lo, s4
	s_cbranch_execz .LBB117_401
; %bb.400:
	v_div_scale_f32 v148, null, v139, v139, v138
	v_div_scale_f32 v151, vcc_lo, v138, v139, v138
	s_delay_alu instid0(VALU_DEP_2) | instskip(SKIP_1) | instid1(TRANS32_DEP_1)
	v_rcp_f32_e32 v149, v148
	v_nop
	v_fma_f32 v150, -v148, v149, 1.0
	s_delay_alu instid0(VALU_DEP_1) | instskip(NEXT) | instid1(VALU_DEP_1)
	v_fmac_f32_e32 v149, v150, v149
	v_mul_f32_e32 v150, v151, v149
	s_delay_alu instid0(VALU_DEP_1) | instskip(NEXT) | instid1(VALU_DEP_1)
	v_fma_f32 v152, -v148, v150, v151
	v_fmac_f32_e32 v150, v152, v149
	s_delay_alu instid0(VALU_DEP_1) | instskip(NEXT) | instid1(VALU_DEP_1)
	v_fma_f32 v148, -v148, v150, v151
	v_div_fmas_f32 v148, v148, v149, v150
	s_delay_alu instid0(VALU_DEP_1) | instskip(NEXT) | instid1(VALU_DEP_1)
	v_div_fixup_f32 v148, v148, v139, v138
	v_fmac_f32_e32 v139, v138, v148
	s_delay_alu instid0(VALU_DEP_1) | instskip(SKIP_1) | instid1(VALU_DEP_2)
	v_div_scale_f32 v138, null, v139, v139, 1.0
	v_div_scale_f32 v151, vcc_lo, 1.0, v139, 1.0
	v_rcp_f32_e32 v149, v138
	v_nop
	s_delay_alu instid0(TRANS32_DEP_1) | instskip(NEXT) | instid1(VALU_DEP_1)
	v_fma_f32 v150, -v138, v149, 1.0
	v_fmac_f32_e32 v149, v150, v149
	s_delay_alu instid0(VALU_DEP_1) | instskip(NEXT) | instid1(VALU_DEP_1)
	v_mul_f32_e32 v150, v151, v149
	v_fma_f32 v152, -v138, v150, v151
	s_delay_alu instid0(VALU_DEP_1) | instskip(NEXT) | instid1(VALU_DEP_1)
	v_fmac_f32_e32 v150, v152, v149
	v_fma_f32 v138, -v138, v150, v151
	s_delay_alu instid0(VALU_DEP_1) | instskip(NEXT) | instid1(VALU_DEP_1)
	v_div_fmas_f32 v138, v138, v149, v150
	v_div_fixup_f32 v138, v138, v139, 1.0
	s_delay_alu instid0(VALU_DEP_1)
	v_mul_f32_e32 v148, v148, v138
	v_xor_b32_e32 v149, 0x80000000, v138
                                        ; implicit-def: $vgpr138_vgpr139
.LBB117_401:
	s_and_not1_saveexec_b32 s1, s1
	s_cbranch_execz .LBB117_403
; %bb.402:
	v_div_scale_f32 v148, null, v138, v138, v139
	v_div_scale_f32 v151, vcc_lo, v139, v138, v139
	s_delay_alu instid0(VALU_DEP_2) | instskip(SKIP_1) | instid1(TRANS32_DEP_1)
	v_rcp_f32_e32 v149, v148
	v_nop
	v_fma_f32 v150, -v148, v149, 1.0
	s_delay_alu instid0(VALU_DEP_1) | instskip(NEXT) | instid1(VALU_DEP_1)
	v_fmac_f32_e32 v149, v150, v149
	v_mul_f32_e32 v150, v151, v149
	s_delay_alu instid0(VALU_DEP_1) | instskip(NEXT) | instid1(VALU_DEP_1)
	v_fma_f32 v152, -v148, v150, v151
	v_fmac_f32_e32 v150, v152, v149
	s_delay_alu instid0(VALU_DEP_1) | instskip(NEXT) | instid1(VALU_DEP_1)
	v_fma_f32 v148, -v148, v150, v151
	v_div_fmas_f32 v148, v148, v149, v150
	s_delay_alu instid0(VALU_DEP_1) | instskip(NEXT) | instid1(VALU_DEP_1)
	v_div_fixup_f32 v149, v148, v138, v139
	v_fmac_f32_e32 v138, v139, v149
	s_delay_alu instid0(VALU_DEP_1) | instskip(NEXT) | instid1(VALU_DEP_1)
	v_div_scale_f32 v139, null, v138, v138, 1.0
	v_rcp_f32_e32 v148, v139
	v_nop
	s_delay_alu instid0(TRANS32_DEP_1) | instskip(NEXT) | instid1(VALU_DEP_1)
	v_fma_f32 v150, -v139, v148, 1.0
	v_fmac_f32_e32 v148, v150, v148
	v_div_scale_f32 v150, vcc_lo, 1.0, v138, 1.0
	s_delay_alu instid0(VALU_DEP_1) | instskip(NEXT) | instid1(VALU_DEP_1)
	v_mul_f32_e32 v151, v150, v148
	v_fma_f32 v152, -v139, v151, v150
	s_delay_alu instid0(VALU_DEP_1) | instskip(NEXT) | instid1(VALU_DEP_1)
	v_fmac_f32_e32 v151, v152, v148
	v_fma_f32 v139, -v139, v151, v150
	s_delay_alu instid0(VALU_DEP_1) | instskip(NEXT) | instid1(VALU_DEP_1)
	v_div_fmas_f32 v139, v139, v148, v151
	v_div_fixup_f32 v148, v139, v138, 1.0
	s_delay_alu instid0(VALU_DEP_1)
	v_mul_f32_e64 v149, v149, -v148
.LBB117_403:
	s_or_b32 exec_lo, exec_lo, s1
	ds_store_b64 v201, v[148:149]
.LBB117_404:
	s_or_b32 exec_lo, exec_lo, s2
	s_wait_dscnt 0x0
	s_barrier_signal -1
	s_barrier_wait -1
	ds_load_b64 v[138:139], v201
	s_mov_b32 s1, exec_lo
	v_cmpx_lt_u32_e32 44, v200
	s_cbranch_execz .LBB117_406
; %bb.405:
	ds_load_2addr_b64 v[152:155], v202 offset0:45 offset1:46
	s_wait_dscnt 0x1
	v_pk_mul_f32 v[150:151], v[138:139], v[194:195] op_sel:[1,1] op_sel_hi:[0,1]
	s_delay_alu instid0(VALU_DEP_1) | instskip(SKIP_1) | instid1(VALU_DEP_1)
	v_pk_fma_f32 v[148:149], v[138:139], v[194:195], v[150:151] op_sel_hi:[1,0,1] neg_lo:[0,0,1] neg_hi:[0,0,1]
	v_pk_fma_f32 v[150:151], v[138:139], v[194:195], v[150:151] op_sel_hi:[1,0,1]
	v_dual_mov_b32 v194, v148 :: v_dual_mov_b32 v195, v151
	s_wait_dscnt 0x0
	s_delay_alu instid0(VALU_DEP_2) | instskip(NEXT) | instid1(VALU_DEP_1)
	v_pk_mul_f32 v[164:165], v[152:153], v[150:151] op_sel:[0,1]
	v_pk_fma_f32 v[166:167], v[152:153], v[148:149], v[164:165] op_sel:[0,0,1] op_sel_hi:[1,1,0] neg_lo:[0,0,1] neg_hi:[0,0,1]
	v_pk_fma_f32 v[152:153], v[152:153], v[148:149], v[164:165] op_sel:[0,0,1] op_sel_hi:[1,0,0]
	s_delay_alu instid0(VALU_DEP_1) | instskip(SKIP_1) | instid1(VALU_DEP_1)
	v_mov_b32_e32 v167, v153
	v_pk_mul_f32 v[152:153], v[154:155], v[150:151] op_sel:[0,1]
	v_pk_fma_f32 v[164:165], v[154:155], v[148:149], v[152:153] op_sel:[0,0,1] op_sel_hi:[1,1,0] neg_lo:[0,0,1] neg_hi:[0,0,1]
	v_pk_fma_f32 v[152:153], v[154:155], v[148:149], v[152:153] op_sel:[0,0,1] op_sel_hi:[1,0,0]
	s_delay_alu instid0(VALU_DEP_1)
	v_mov_b32_e32 v165, v153
	ds_load_2addr_b64 v[152:155], v202 offset0:47 offset1:48
	v_pk_add_f32 v[190:191], v[190:191], v[166:167] neg_lo:[0,1] neg_hi:[0,1]
	v_pk_add_f32 v[192:193], v[192:193], v[164:165] neg_lo:[0,1] neg_hi:[0,1]
	s_wait_dscnt 0x0
	v_pk_mul_f32 v[164:165], v[152:153], v[150:151] op_sel:[0,1]
	s_delay_alu instid0(VALU_DEP_1) | instskip(SKIP_2) | instid1(VALU_DEP_2)
	v_pk_fma_f32 v[166:167], v[152:153], v[148:149], v[164:165] op_sel:[0,0,1] op_sel_hi:[1,1,0] neg_lo:[0,0,1] neg_hi:[0,0,1]
	v_pk_fma_f32 v[152:153], v[152:153], v[148:149], v[164:165] op_sel:[0,0,1] op_sel_hi:[1,0,0]
	v_dual_mul_f32 v164, v155, v151 :: v_dual_mov_b32 v152, v155
	v_dual_mov_b32 v167, v153 :: v_dual_mov_b32 v153, v154
	s_delay_alu instid0(VALU_DEP_2) | instskip(SKIP_1) | instid1(VALU_DEP_3)
	v_pk_fma_f32 v[164:165], v[154:155], v[194:195], v[164:165] op_sel_hi:[1,1,0] neg_lo:[0,0,1] neg_hi:[0,0,1]
	v_mul_f32_e32 v154, v155, v148
	v_pk_add_f32 v[188:189], v[188:189], v[166:167] neg_lo:[0,1] neg_hi:[0,1]
	s_delay_alu instid0(VALU_DEP_2) | instskip(NEXT) | instid1(VALU_DEP_1)
	v_pk_fma_f32 v[152:153], v[152:153], v[194:195], v[154:155] op_sel_hi:[1,1,0]
	v_mov_b32_e32 v165, v153
	ds_load_2addr_b64 v[152:155], v202 offset0:49 offset1:50
	v_pk_add_f32 v[212:213], v[212:213], v[164:165] neg_lo:[0,1] neg_hi:[0,1]
	s_wait_dscnt 0x0
	v_pk_mul_f32 v[164:165], v[152:153], v[150:151] op_sel:[0,1]
	s_delay_alu instid0(VALU_DEP_1) | instskip(SKIP_1) | instid1(VALU_DEP_1)
	v_pk_fma_f32 v[166:167], v[152:153], v[148:149], v[164:165] op_sel:[0,0,1] op_sel_hi:[1,1,0] neg_lo:[0,0,1] neg_hi:[0,0,1]
	v_pk_fma_f32 v[152:153], v[152:153], v[148:149], v[164:165] op_sel:[0,0,1] op_sel_hi:[1,0,0]
	v_mov_b32_e32 v167, v153
	v_pk_mul_f32 v[152:153], v[154:155], v[150:151] op_sel:[0,1]
	s_delay_alu instid0(VALU_DEP_1) | instskip(SKIP_1) | instid1(VALU_DEP_1)
	v_pk_fma_f32 v[164:165], v[154:155], v[148:149], v[152:153] op_sel:[0,0,1] op_sel_hi:[1,1,0] neg_lo:[0,0,1] neg_hi:[0,0,1]
	v_pk_fma_f32 v[152:153], v[154:155], v[148:149], v[152:153] op_sel:[0,0,1] op_sel_hi:[1,0,0]
	v_mov_b32_e32 v165, v153
	ds_load_2addr_b64 v[152:155], v202 offset0:51 offset1:52
	v_pk_add_f32 v[208:209], v[208:209], v[166:167] neg_lo:[0,1] neg_hi:[0,1]
	v_pk_add_f32 v[210:211], v[210:211], v[164:165] neg_lo:[0,1] neg_hi:[0,1]
	s_wait_dscnt 0x0
	v_pk_mul_f32 v[164:165], v[152:153], v[150:151] op_sel:[0,1]
	s_delay_alu instid0(VALU_DEP_1) | instskip(SKIP_1) | instid1(VALU_DEP_1)
	v_pk_fma_f32 v[166:167], v[152:153], v[148:149], v[164:165] op_sel:[0,0,1] op_sel_hi:[1,1,0] neg_lo:[0,0,1] neg_hi:[0,0,1]
	v_pk_fma_f32 v[152:153], v[152:153], v[148:149], v[164:165] op_sel:[0,0,1] op_sel_hi:[1,0,0]
	v_mov_b32_e32 v167, v153
	v_pk_mul_f32 v[152:153], v[154:155], v[150:151] op_sel:[0,1]
	s_delay_alu instid0(VALU_DEP_1) | instskip(SKIP_1) | instid1(VALU_DEP_1)
	v_pk_fma_f32 v[164:165], v[154:155], v[148:149], v[152:153] op_sel:[0,0,1] op_sel_hi:[1,1,0] neg_lo:[0,0,1] neg_hi:[0,0,1]
	v_pk_fma_f32 v[152:153], v[154:155], v[148:149], v[152:153] op_sel:[0,0,1] op_sel_hi:[1,0,0]
	v_mov_b32_e32 v165, v153
	ds_load_2addr_b64 v[152:155], v202 offset0:53 offset1:54
	v_pk_add_f32 v[206:207], v[206:207], v[166:167] neg_lo:[0,1] neg_hi:[0,1]
	v_pk_add_f32 v[232:233], v[232:233], v[164:165] neg_lo:[0,1] neg_hi:[0,1]
	s_wait_dscnt 0x0
	v_dual_mul_f32 v164, v153, v151 :: v_dual_mul_f32 v166, v153, v148
	s_delay_alu instid0(VALU_DEP_1) | instskip(NEXT) | instid1(VALU_DEP_2)
	v_pk_fma_f32 v[164:165], v[152:153], v[194:195], v[164:165] op_sel_hi:[1,1,0] neg_lo:[0,0,1] neg_hi:[0,0,1]
	v_pk_fma_f32 v[152:153], v[152:153], v[194:195], v[166:167] op_sel:[1,0,0] op_sel_hi:[0,1,0]
	s_delay_alu instid0(VALU_DEP_1) | instskip(SKIP_1) | instid1(VALU_DEP_2)
	v_mov_b32_e32 v165, v153
	v_pk_mul_f32 v[152:153], v[154:155], v[150:151] op_sel:[0,1]
	v_pk_add_f32 v[226:227], v[226:227], v[164:165] neg_lo:[0,1] neg_hi:[0,1]
	s_delay_alu instid0(VALU_DEP_2) | instskip(SKIP_1) | instid1(VALU_DEP_1)
	v_pk_fma_f32 v[164:165], v[154:155], v[148:149], v[152:153] op_sel:[0,0,1] op_sel_hi:[1,1,0] neg_lo:[0,0,1] neg_hi:[0,0,1]
	v_pk_fma_f32 v[152:153], v[154:155], v[148:149], v[152:153] op_sel:[0,0,1] op_sel_hi:[1,0,0]
	v_mov_b32_e32 v165, v153
	ds_load_2addr_b64 v[152:155], v202 offset0:55 offset1:56
	v_pk_add_f32 v[230:231], v[230:231], v[164:165] neg_lo:[0,1] neg_hi:[0,1]
	s_wait_dscnt 0x0
	v_pk_mul_f32 v[164:165], v[152:153], v[150:151] op_sel:[0,1]
	s_delay_alu instid0(VALU_DEP_1) | instskip(SKIP_1) | instid1(VALU_DEP_1)
	v_pk_fma_f32 v[166:167], v[152:153], v[148:149], v[164:165] op_sel:[0,0,1] op_sel_hi:[1,1,0] neg_lo:[0,0,1] neg_hi:[0,0,1]
	v_pk_fma_f32 v[152:153], v[152:153], v[148:149], v[164:165] op_sel:[0,0,1] op_sel_hi:[1,0,0]
	v_mov_b32_e32 v167, v153
	v_pk_mul_f32 v[152:153], v[154:155], v[150:151] op_sel:[0,1]
	s_delay_alu instid0(VALU_DEP_2) | instskip(NEXT) | instid1(VALU_DEP_2)
	v_pk_add_f32 v[224:225], v[224:225], v[166:167] neg_lo:[0,1] neg_hi:[0,1]
	v_pk_fma_f32 v[164:165], v[154:155], v[148:149], v[152:153] op_sel:[0,0,1] op_sel_hi:[1,1,0] neg_lo:[0,0,1] neg_hi:[0,0,1]
	v_pk_fma_f32 v[152:153], v[154:155], v[148:149], v[152:153] op_sel:[0,0,1] op_sel_hi:[1,0,0]
	s_delay_alu instid0(VALU_DEP_1)
	v_mov_b32_e32 v165, v153
	ds_load_2addr_b64 v[152:155], v202 offset0:57 offset1:58
	v_pk_add_f32 v[228:229], v[228:229], v[164:165] neg_lo:[0,1] neg_hi:[0,1]
	s_wait_dscnt 0x0
	v_pk_mul_f32 v[164:165], v[152:153], v[150:151] op_sel:[0,1]
	v_pk_mul_f32 v[150:151], v[154:155], v[150:151] op_sel:[0,1]
	s_delay_alu instid0(VALU_DEP_2) | instskip(SKIP_1) | instid1(VALU_DEP_1)
	v_pk_fma_f32 v[166:167], v[152:153], v[148:149], v[164:165] op_sel:[0,0,1] op_sel_hi:[1,1,0] neg_lo:[0,0,1] neg_hi:[0,0,1]
	v_pk_fma_f32 v[152:153], v[152:153], v[148:149], v[164:165] op_sel:[0,0,1] op_sel_hi:[1,0,0]
	v_mov_b32_e32 v167, v153
	s_delay_alu instid0(VALU_DEP_4) | instskip(SKIP_1) | instid1(VALU_DEP_3)
	v_pk_fma_f32 v[152:153], v[154:155], v[148:149], v[150:151] op_sel:[0,0,1] op_sel_hi:[1,1,0] neg_lo:[0,0,1] neg_hi:[0,0,1]
	v_pk_fma_f32 v[148:149], v[154:155], v[148:149], v[150:151] op_sel:[0,0,1] op_sel_hi:[1,0,0]
	v_pk_add_f32 v[234:235], v[234:235], v[166:167] neg_lo:[0,1] neg_hi:[0,1]
	s_delay_alu instid0(VALU_DEP_2) | instskip(NEXT) | instid1(VALU_DEP_1)
	v_mov_b32_e32 v153, v149
	v_pk_add_f32 v[236:237], v[236:237], v[152:153] neg_lo:[0,1] neg_hi:[0,1]
.LBB117_406:
	s_or_b32 exec_lo, exec_lo, s1
	s_delay_alu instid0(SALU_CYCLE_1)
	s_mov_b32 s2, exec_lo
	s_wait_dscnt 0x0
	s_barrier_signal -1
	s_barrier_wait -1
	v_cmpx_eq_u32_e32 45, v200
	s_cbranch_execz .LBB117_413
; %bb.407:
	v_dual_mov_b32 v148, v192 :: v_dual_mov_b32 v149, v193
	v_dual_mov_b32 v150, v188 :: v_dual_mov_b32 v151, v189
	ds_store_b64 v201, v[190:191]
	ds_store_2addr_b64 v202, v[148:149], v[150:151] offset0:46 offset1:47
	v_dual_mov_b32 v148, v212 :: v_dual_mov_b32 v149, v213
	v_dual_mov_b32 v150, v208 :: v_dual_mov_b32 v151, v209
	ds_store_2addr_b64 v202, v[148:149], v[150:151] offset0:48 offset1:49
	v_dual_mov_b32 v148, v210 :: v_dual_mov_b32 v149, v211
	v_dual_mov_b32 v150, v206 :: v_dual_mov_b32 v151, v207
	;; [unrolled: 3-line block ×5, first 2 shown]
	ds_store_2addr_b64 v202, v[148:149], v[150:151] offset0:56 offset1:57
	ds_store_b64 v202, v[236:237] offset:464
	ds_load_b64 v[148:149], v201
	s_wait_dscnt 0x0
	v_cmp_neq_f32_e32 vcc_lo, 0, v148
	v_cmp_neq_f32_e64 s1, 0, v149
	s_or_b32 s1, vcc_lo, s1
	s_delay_alu instid0(SALU_CYCLE_1)
	s_and_b32 exec_lo, exec_lo, s1
	s_cbranch_execz .LBB117_413
; %bb.408:
	v_cmp_ngt_f32_e64 s1, |v148|, |v149|
                                        ; implicit-def: $vgpr150_vgpr151
	s_and_saveexec_b32 s4, s1
	s_delay_alu instid0(SALU_CYCLE_1)
	s_xor_b32 s1, exec_lo, s4
	s_cbranch_execz .LBB117_410
; %bb.409:
	v_div_scale_f32 v150, null, v149, v149, v148
	v_div_scale_f32 v153, vcc_lo, v148, v149, v148
	s_delay_alu instid0(VALU_DEP_2) | instskip(SKIP_1) | instid1(TRANS32_DEP_1)
	v_rcp_f32_e32 v151, v150
	v_nop
	v_fma_f32 v152, -v150, v151, 1.0
	s_delay_alu instid0(VALU_DEP_1) | instskip(NEXT) | instid1(VALU_DEP_1)
	v_fmac_f32_e32 v151, v152, v151
	v_mul_f32_e32 v152, v153, v151
	s_delay_alu instid0(VALU_DEP_1) | instskip(NEXT) | instid1(VALU_DEP_1)
	v_fma_f32 v154, -v150, v152, v153
	v_fmac_f32_e32 v152, v154, v151
	s_delay_alu instid0(VALU_DEP_1) | instskip(NEXT) | instid1(VALU_DEP_1)
	v_fma_f32 v150, -v150, v152, v153
	v_div_fmas_f32 v150, v150, v151, v152
	s_delay_alu instid0(VALU_DEP_1) | instskip(NEXT) | instid1(VALU_DEP_1)
	v_div_fixup_f32 v150, v150, v149, v148
	v_fmac_f32_e32 v149, v148, v150
	s_delay_alu instid0(VALU_DEP_1) | instskip(SKIP_1) | instid1(VALU_DEP_2)
	v_div_scale_f32 v148, null, v149, v149, 1.0
	v_div_scale_f32 v153, vcc_lo, 1.0, v149, 1.0
	v_rcp_f32_e32 v151, v148
	v_nop
	s_delay_alu instid0(TRANS32_DEP_1) | instskip(NEXT) | instid1(VALU_DEP_1)
	v_fma_f32 v152, -v148, v151, 1.0
	v_fmac_f32_e32 v151, v152, v151
	s_delay_alu instid0(VALU_DEP_1) | instskip(NEXT) | instid1(VALU_DEP_1)
	v_mul_f32_e32 v152, v153, v151
	v_fma_f32 v154, -v148, v152, v153
	s_delay_alu instid0(VALU_DEP_1) | instskip(NEXT) | instid1(VALU_DEP_1)
	v_fmac_f32_e32 v152, v154, v151
	v_fma_f32 v148, -v148, v152, v153
	s_delay_alu instid0(VALU_DEP_1) | instskip(NEXT) | instid1(VALU_DEP_1)
	v_div_fmas_f32 v148, v148, v151, v152
	v_div_fixup_f32 v148, v148, v149, 1.0
	s_delay_alu instid0(VALU_DEP_1)
	v_mul_f32_e32 v150, v150, v148
	v_xor_b32_e32 v151, 0x80000000, v148
                                        ; implicit-def: $vgpr148_vgpr149
.LBB117_410:
	s_and_not1_saveexec_b32 s1, s1
	s_cbranch_execz .LBB117_412
; %bb.411:
	v_div_scale_f32 v150, null, v148, v148, v149
	v_div_scale_f32 v153, vcc_lo, v149, v148, v149
	s_delay_alu instid0(VALU_DEP_2) | instskip(SKIP_1) | instid1(TRANS32_DEP_1)
	v_rcp_f32_e32 v151, v150
	v_nop
	v_fma_f32 v152, -v150, v151, 1.0
	s_delay_alu instid0(VALU_DEP_1) | instskip(NEXT) | instid1(VALU_DEP_1)
	v_fmac_f32_e32 v151, v152, v151
	v_mul_f32_e32 v152, v153, v151
	s_delay_alu instid0(VALU_DEP_1) | instskip(NEXT) | instid1(VALU_DEP_1)
	v_fma_f32 v154, -v150, v152, v153
	v_fmac_f32_e32 v152, v154, v151
	s_delay_alu instid0(VALU_DEP_1) | instskip(NEXT) | instid1(VALU_DEP_1)
	v_fma_f32 v150, -v150, v152, v153
	v_div_fmas_f32 v150, v150, v151, v152
	s_delay_alu instid0(VALU_DEP_1) | instskip(NEXT) | instid1(VALU_DEP_1)
	v_div_fixup_f32 v151, v150, v148, v149
	v_fmac_f32_e32 v148, v149, v151
	s_delay_alu instid0(VALU_DEP_1) | instskip(NEXT) | instid1(VALU_DEP_1)
	v_div_scale_f32 v149, null, v148, v148, 1.0
	v_rcp_f32_e32 v150, v149
	v_nop
	s_delay_alu instid0(TRANS32_DEP_1) | instskip(NEXT) | instid1(VALU_DEP_1)
	v_fma_f32 v152, -v149, v150, 1.0
	v_fmac_f32_e32 v150, v152, v150
	v_div_scale_f32 v152, vcc_lo, 1.0, v148, 1.0
	s_delay_alu instid0(VALU_DEP_1) | instskip(NEXT) | instid1(VALU_DEP_1)
	v_mul_f32_e32 v153, v152, v150
	v_fma_f32 v154, -v149, v153, v152
	s_delay_alu instid0(VALU_DEP_1) | instskip(NEXT) | instid1(VALU_DEP_1)
	v_fmac_f32_e32 v153, v154, v150
	v_fma_f32 v149, -v149, v153, v152
	s_delay_alu instid0(VALU_DEP_1) | instskip(NEXT) | instid1(VALU_DEP_1)
	v_div_fmas_f32 v149, v149, v150, v153
	v_div_fixup_f32 v150, v149, v148, 1.0
	s_delay_alu instid0(VALU_DEP_1)
	v_mul_f32_e64 v151, v151, -v150
.LBB117_412:
	s_or_b32 exec_lo, exec_lo, s1
	ds_store_b64 v201, v[150:151]
.LBB117_413:
	s_or_b32 exec_lo, exec_lo, s2
	s_wait_dscnt 0x0
	s_barrier_signal -1
	s_barrier_wait -1
	ds_load_b64 v[148:149], v201
	s_mov_b32 s1, exec_lo
	v_cmpx_lt_u32_e32 45, v200
	s_cbranch_execz .LBB117_415
; %bb.414:
	ds_load_2addr_b64 v[164:167], v202 offset0:46 offset1:47
	s_wait_dscnt 0x1
	v_pk_mul_f32 v[152:153], v[148:149], v[190:191] op_sel:[1,1] op_sel_hi:[0,1]
	s_delay_alu instid0(VALU_DEP_1) | instskip(SKIP_1) | instid1(VALU_DEP_1)
	v_pk_fma_f32 v[150:151], v[148:149], v[190:191], v[152:153] op_sel_hi:[1,0,1] neg_lo:[0,0,1] neg_hi:[0,0,1]
	v_pk_fma_f32 v[152:153], v[148:149], v[190:191], v[152:153] op_sel_hi:[1,0,1]
	v_dual_mov_b32 v190, v150 :: v_dual_mov_b32 v191, v153
	s_wait_dscnt 0x0
	s_delay_alu instid0(VALU_DEP_2) | instskip(NEXT) | instid1(VALU_DEP_1)
	v_pk_mul_f32 v[154:155], v[164:165], v[152:153] op_sel:[0,1]
	v_pk_fma_f32 v[168:169], v[164:165], v[150:151], v[154:155] op_sel:[0,0,1] op_sel_hi:[1,1,0] neg_lo:[0,0,1] neg_hi:[0,0,1]
	v_pk_fma_f32 v[154:155], v[164:165], v[150:151], v[154:155] op_sel:[0,0,1] op_sel_hi:[1,0,0]
	s_delay_alu instid0(VALU_DEP_1) | instskip(SKIP_1) | instid1(VALU_DEP_1)
	v_mov_b32_e32 v169, v155
	v_pk_mul_f32 v[154:155], v[166:167], v[152:153] op_sel:[0,1]
	v_pk_fma_f32 v[164:165], v[166:167], v[150:151], v[154:155] op_sel:[0,0,1] op_sel_hi:[1,1,0] neg_lo:[0,0,1] neg_hi:[0,0,1]
	v_pk_fma_f32 v[154:155], v[166:167], v[150:151], v[154:155] op_sel:[0,0,1] op_sel_hi:[1,0,0]
	s_delay_alu instid0(VALU_DEP_1) | instskip(SKIP_1) | instid1(VALU_DEP_2)
	v_mov_b32_e32 v165, v155
	v_pk_add_f32 v[192:193], v[192:193], v[168:169] neg_lo:[0,1] neg_hi:[0,1]
	v_pk_add_f32 v[188:189], v[188:189], v[164:165] neg_lo:[0,1] neg_hi:[0,1]
	ds_load_2addr_b64 v[164:167], v202 offset0:48 offset1:49
	s_wait_dscnt 0x0
	v_pk_mul_f32 v[154:155], v[164:165], v[152:153] op_sel:[0,1]
	s_delay_alu instid0(VALU_DEP_1) | instskip(SKIP_2) | instid1(VALU_DEP_2)
	v_pk_fma_f32 v[168:169], v[164:165], v[150:151], v[154:155] op_sel:[0,0,1] op_sel_hi:[1,1,0] neg_lo:[0,0,1] neg_hi:[0,0,1]
	v_pk_fma_f32 v[154:155], v[164:165], v[150:151], v[154:155] op_sel:[0,0,1] op_sel_hi:[1,0,0]
	v_dual_mul_f32 v164, v167, v153 :: v_dual_mov_b32 v154, v167
	v_dual_mov_b32 v169, v155 :: v_dual_mov_b32 v155, v166
	s_delay_alu instid0(VALU_DEP_2) | instskip(SKIP_1) | instid1(VALU_DEP_3)
	v_pk_fma_f32 v[164:165], v[166:167], v[190:191], v[164:165] op_sel_hi:[1,1,0] neg_lo:[0,0,1] neg_hi:[0,0,1]
	v_mul_f32_e32 v166, v167, v150
	v_pk_add_f32 v[212:213], v[212:213], v[168:169] neg_lo:[0,1] neg_hi:[0,1]
	s_delay_alu instid0(VALU_DEP_2) | instskip(NEXT) | instid1(VALU_DEP_1)
	v_pk_fma_f32 v[154:155], v[154:155], v[190:191], v[166:167] op_sel_hi:[1,1,0]
	v_mov_b32_e32 v165, v155
	s_delay_alu instid0(VALU_DEP_1) | instskip(SKIP_3) | instid1(VALU_DEP_1)
	v_pk_add_f32 v[208:209], v[208:209], v[164:165] neg_lo:[0,1] neg_hi:[0,1]
	ds_load_2addr_b64 v[164:167], v202 offset0:50 offset1:51
	s_wait_dscnt 0x0
	v_pk_mul_f32 v[154:155], v[164:165], v[152:153] op_sel:[0,1]
	v_pk_fma_f32 v[168:169], v[164:165], v[150:151], v[154:155] op_sel:[0,0,1] op_sel_hi:[1,1,0] neg_lo:[0,0,1] neg_hi:[0,0,1]
	v_pk_fma_f32 v[154:155], v[164:165], v[150:151], v[154:155] op_sel:[0,0,1] op_sel_hi:[1,0,0]
	s_delay_alu instid0(VALU_DEP_1) | instskip(SKIP_1) | instid1(VALU_DEP_2)
	v_mov_b32_e32 v169, v155
	v_pk_mul_f32 v[154:155], v[166:167], v[152:153] op_sel:[0,1]
	v_pk_add_f32 v[210:211], v[210:211], v[168:169] neg_lo:[0,1] neg_hi:[0,1]
	s_delay_alu instid0(VALU_DEP_2) | instskip(SKIP_1) | instid1(VALU_DEP_1)
	v_pk_fma_f32 v[164:165], v[166:167], v[150:151], v[154:155] op_sel:[0,0,1] op_sel_hi:[1,1,0] neg_lo:[0,0,1] neg_hi:[0,0,1]
	v_pk_fma_f32 v[154:155], v[166:167], v[150:151], v[154:155] op_sel:[0,0,1] op_sel_hi:[1,0,0]
	v_mov_b32_e32 v165, v155
	s_delay_alu instid0(VALU_DEP_1) | instskip(SKIP_3) | instid1(VALU_DEP_1)
	v_pk_add_f32 v[206:207], v[206:207], v[164:165] neg_lo:[0,1] neg_hi:[0,1]
	ds_load_2addr_b64 v[164:167], v202 offset0:52 offset1:53
	s_wait_dscnt 0x0
	v_pk_mul_f32 v[154:155], v[164:165], v[152:153] op_sel:[0,1]
	v_pk_fma_f32 v[168:169], v[164:165], v[150:151], v[154:155] op_sel:[0,0,1] op_sel_hi:[1,1,0] neg_lo:[0,0,1] neg_hi:[0,0,1]
	v_pk_fma_f32 v[154:155], v[164:165], v[150:151], v[154:155] op_sel:[0,0,1] op_sel_hi:[1,0,0]
	s_delay_alu instid0(VALU_DEP_1) | instskip(SKIP_1) | instid1(VALU_DEP_2)
	v_mov_b32_e32 v169, v155
	v_pk_mul_f32 v[154:155], v[166:167], v[152:153] op_sel:[0,1]
	v_pk_add_f32 v[232:233], v[232:233], v[168:169] neg_lo:[0,1] neg_hi:[0,1]
	s_delay_alu instid0(VALU_DEP_2) | instskip(SKIP_1) | instid1(VALU_DEP_1)
	v_pk_fma_f32 v[164:165], v[166:167], v[150:151], v[154:155] op_sel:[0,0,1] op_sel_hi:[1,1,0] neg_lo:[0,0,1] neg_hi:[0,0,1]
	v_pk_fma_f32 v[154:155], v[166:167], v[150:151], v[154:155] op_sel:[0,0,1] op_sel_hi:[1,0,0]
	v_mov_b32_e32 v165, v155
	s_delay_alu instid0(VALU_DEP_1) | instskip(SKIP_3) | instid1(VALU_DEP_1)
	v_pk_add_f32 v[226:227], v[226:227], v[164:165] neg_lo:[0,1] neg_hi:[0,1]
	ds_load_2addr_b64 v[164:167], v202 offset0:54 offset1:55
	s_wait_dscnt 0x0
	v_dual_mul_f32 v154, v165, v153 :: v_dual_mul_f32 v168, v165, v150
	v_pk_fma_f32 v[154:155], v[164:165], v[190:191], v[154:155] op_sel_hi:[1,1,0] neg_lo:[0,0,1] neg_hi:[0,0,1]
	s_delay_alu instid0(VALU_DEP_2) | instskip(NEXT) | instid1(VALU_DEP_1)
	v_pk_fma_f32 v[164:165], v[164:165], v[190:191], v[168:169] op_sel:[1,0,0] op_sel_hi:[0,1,0]
	v_mov_b32_e32 v155, v165
	s_delay_alu instid0(VALU_DEP_1) | instskip(SKIP_1) | instid1(VALU_DEP_1)
	v_pk_add_f32 v[230:231], v[230:231], v[154:155] neg_lo:[0,1] neg_hi:[0,1]
	v_pk_mul_f32 v[154:155], v[166:167], v[152:153] op_sel:[0,1]
	v_pk_fma_f32 v[164:165], v[166:167], v[150:151], v[154:155] op_sel:[0,0,1] op_sel_hi:[1,1,0] neg_lo:[0,0,1] neg_hi:[0,0,1]
	v_pk_fma_f32 v[154:155], v[166:167], v[150:151], v[154:155] op_sel:[0,0,1] op_sel_hi:[1,0,0]
	s_delay_alu instid0(VALU_DEP_1) | instskip(NEXT) | instid1(VALU_DEP_1)
	v_mov_b32_e32 v165, v155
	v_pk_add_f32 v[224:225], v[224:225], v[164:165] neg_lo:[0,1] neg_hi:[0,1]
	ds_load_2addr_b64 v[164:167], v202 offset0:56 offset1:57
	s_wait_dscnt 0x0
	v_pk_mul_f32 v[154:155], v[164:165], v[152:153] op_sel:[0,1]
	s_delay_alu instid0(VALU_DEP_1) | instskip(SKIP_1) | instid1(VALU_DEP_1)
	v_pk_fma_f32 v[168:169], v[164:165], v[150:151], v[154:155] op_sel:[0,0,1] op_sel_hi:[1,1,0] neg_lo:[0,0,1] neg_hi:[0,0,1]
	v_pk_fma_f32 v[154:155], v[164:165], v[150:151], v[154:155] op_sel:[0,0,1] op_sel_hi:[1,0,0]
	v_mov_b32_e32 v169, v155
	v_pk_mul_f32 v[154:155], v[166:167], v[152:153] op_sel:[0,1]
	s_delay_alu instid0(VALU_DEP_2) | instskip(NEXT) | instid1(VALU_DEP_2)
	v_pk_add_f32 v[228:229], v[228:229], v[168:169] neg_lo:[0,1] neg_hi:[0,1]
	v_pk_fma_f32 v[164:165], v[166:167], v[150:151], v[154:155] op_sel:[0,0,1] op_sel_hi:[1,1,0] neg_lo:[0,0,1] neg_hi:[0,0,1]
	v_pk_fma_f32 v[154:155], v[166:167], v[150:151], v[154:155] op_sel:[0,0,1] op_sel_hi:[1,0,0]
	s_delay_alu instid0(VALU_DEP_1) | instskip(SKIP_4) | instid1(VALU_DEP_1)
	v_mov_b32_e32 v165, v155
	ds_load_b64 v[154:155], v202 offset:464
	v_pk_add_f32 v[234:235], v[234:235], v[164:165] neg_lo:[0,1] neg_hi:[0,1]
	s_wait_dscnt 0x0
	v_pk_mul_f32 v[152:153], v[154:155], v[152:153] op_sel:[0,1]
	v_pk_fma_f32 v[164:165], v[154:155], v[150:151], v[152:153] op_sel:[0,0,1] op_sel_hi:[1,1,0] neg_lo:[0,0,1] neg_hi:[0,0,1]
	v_pk_fma_f32 v[150:151], v[154:155], v[150:151], v[152:153] op_sel:[0,0,1] op_sel_hi:[1,0,0]
	s_delay_alu instid0(VALU_DEP_1) | instskip(NEXT) | instid1(VALU_DEP_1)
	v_mov_b32_e32 v165, v151
	v_pk_add_f32 v[236:237], v[236:237], v[164:165] neg_lo:[0,1] neg_hi:[0,1]
.LBB117_415:
	s_or_b32 exec_lo, exec_lo, s1
	s_delay_alu instid0(SALU_CYCLE_1)
	s_mov_b32 s2, exec_lo
	s_wait_dscnt 0x0
	s_barrier_signal -1
	s_barrier_wait -1
	v_cmpx_eq_u32_e32 46, v200
	s_cbranch_execz .LBB117_422
; %bb.416:
	ds_store_b64 v201, v[192:193]
	ds_store_2addr_b64 v202, v[188:189], v[212:213] offset0:47 offset1:48
	ds_store_2addr_b64 v202, v[208:209], v[210:211] offset0:49 offset1:50
	;; [unrolled: 1-line block ×6, first 2 shown]
	ds_load_b64 v[150:151], v201
	s_wait_dscnt 0x0
	v_cmp_neq_f32_e32 vcc_lo, 0, v150
	v_cmp_neq_f32_e64 s1, 0, v151
	s_or_b32 s1, vcc_lo, s1
	s_delay_alu instid0(SALU_CYCLE_1)
	s_and_b32 exec_lo, exec_lo, s1
	s_cbranch_execz .LBB117_422
; %bb.417:
	v_cmp_ngt_f32_e64 s1, |v150|, |v151|
                                        ; implicit-def: $vgpr152_vgpr153
	s_and_saveexec_b32 s4, s1
	s_delay_alu instid0(SALU_CYCLE_1)
	s_xor_b32 s1, exec_lo, s4
	s_cbranch_execz .LBB117_419
; %bb.418:
	v_div_scale_f32 v152, null, v151, v151, v150
	v_div_scale_f32 v155, vcc_lo, v150, v151, v150
	s_delay_alu instid0(VALU_DEP_2) | instskip(SKIP_1) | instid1(TRANS32_DEP_1)
	v_rcp_f32_e32 v153, v152
	v_nop
	v_fma_f32 v154, -v152, v153, 1.0
	s_delay_alu instid0(VALU_DEP_1) | instskip(NEXT) | instid1(VALU_DEP_1)
	v_fmac_f32_e32 v153, v154, v153
	v_mul_f32_e32 v154, v155, v153
	s_delay_alu instid0(VALU_DEP_1) | instskip(NEXT) | instid1(VALU_DEP_1)
	v_fma_f32 v164, -v152, v154, v155
	v_fmac_f32_e32 v154, v164, v153
	s_delay_alu instid0(VALU_DEP_1) | instskip(NEXT) | instid1(VALU_DEP_1)
	v_fma_f32 v152, -v152, v154, v155
	v_div_fmas_f32 v152, v152, v153, v154
	s_delay_alu instid0(VALU_DEP_1) | instskip(NEXT) | instid1(VALU_DEP_1)
	v_div_fixup_f32 v152, v152, v151, v150
	v_fmac_f32_e32 v151, v150, v152
	s_delay_alu instid0(VALU_DEP_1) | instskip(SKIP_1) | instid1(VALU_DEP_2)
	v_div_scale_f32 v150, null, v151, v151, 1.0
	v_div_scale_f32 v155, vcc_lo, 1.0, v151, 1.0
	v_rcp_f32_e32 v153, v150
	v_nop
	s_delay_alu instid0(TRANS32_DEP_1) | instskip(NEXT) | instid1(VALU_DEP_1)
	v_fma_f32 v154, -v150, v153, 1.0
	v_fmac_f32_e32 v153, v154, v153
	s_delay_alu instid0(VALU_DEP_1) | instskip(NEXT) | instid1(VALU_DEP_1)
	v_mul_f32_e32 v154, v155, v153
	v_fma_f32 v164, -v150, v154, v155
	s_delay_alu instid0(VALU_DEP_1) | instskip(NEXT) | instid1(VALU_DEP_1)
	v_fmac_f32_e32 v154, v164, v153
	v_fma_f32 v150, -v150, v154, v155
	s_delay_alu instid0(VALU_DEP_1) | instskip(NEXT) | instid1(VALU_DEP_1)
	v_div_fmas_f32 v150, v150, v153, v154
	v_div_fixup_f32 v150, v150, v151, 1.0
	s_delay_alu instid0(VALU_DEP_1)
	v_mul_f32_e32 v152, v152, v150
	v_xor_b32_e32 v153, 0x80000000, v150
                                        ; implicit-def: $vgpr150_vgpr151
.LBB117_419:
	s_and_not1_saveexec_b32 s1, s1
	s_cbranch_execz .LBB117_421
; %bb.420:
	v_div_scale_f32 v152, null, v150, v150, v151
	v_div_scale_f32 v155, vcc_lo, v151, v150, v151
	s_delay_alu instid0(VALU_DEP_2) | instskip(SKIP_1) | instid1(TRANS32_DEP_1)
	v_rcp_f32_e32 v153, v152
	v_nop
	v_fma_f32 v154, -v152, v153, 1.0
	s_delay_alu instid0(VALU_DEP_1) | instskip(NEXT) | instid1(VALU_DEP_1)
	v_fmac_f32_e32 v153, v154, v153
	v_mul_f32_e32 v154, v155, v153
	s_delay_alu instid0(VALU_DEP_1) | instskip(NEXT) | instid1(VALU_DEP_1)
	v_fma_f32 v164, -v152, v154, v155
	v_fmac_f32_e32 v154, v164, v153
	s_delay_alu instid0(VALU_DEP_1) | instskip(NEXT) | instid1(VALU_DEP_1)
	v_fma_f32 v152, -v152, v154, v155
	v_div_fmas_f32 v152, v152, v153, v154
	s_delay_alu instid0(VALU_DEP_1) | instskip(NEXT) | instid1(VALU_DEP_1)
	v_div_fixup_f32 v153, v152, v150, v151
	v_fmac_f32_e32 v150, v151, v153
	s_delay_alu instid0(VALU_DEP_1) | instskip(NEXT) | instid1(VALU_DEP_1)
	v_div_scale_f32 v151, null, v150, v150, 1.0
	v_rcp_f32_e32 v152, v151
	v_nop
	s_delay_alu instid0(TRANS32_DEP_1) | instskip(NEXT) | instid1(VALU_DEP_1)
	v_fma_f32 v154, -v151, v152, 1.0
	v_fmac_f32_e32 v152, v154, v152
	v_div_scale_f32 v154, vcc_lo, 1.0, v150, 1.0
	s_delay_alu instid0(VALU_DEP_1) | instskip(NEXT) | instid1(VALU_DEP_1)
	v_mul_f32_e32 v155, v154, v152
	v_fma_f32 v164, -v151, v155, v154
	s_delay_alu instid0(VALU_DEP_1) | instskip(NEXT) | instid1(VALU_DEP_1)
	v_fmac_f32_e32 v155, v164, v152
	v_fma_f32 v151, -v151, v155, v154
	s_delay_alu instid0(VALU_DEP_1) | instskip(NEXT) | instid1(VALU_DEP_1)
	v_div_fmas_f32 v151, v151, v152, v155
	v_div_fixup_f32 v152, v151, v150, 1.0
	s_delay_alu instid0(VALU_DEP_1)
	v_mul_f32_e64 v153, v153, -v152
.LBB117_421:
	s_or_b32 exec_lo, exec_lo, s1
	ds_store_b64 v201, v[152:153]
.LBB117_422:
	s_or_b32 exec_lo, exec_lo, s2
	s_wait_dscnt 0x0
	s_barrier_signal -1
	s_barrier_wait -1
	ds_load_b64 v[150:151], v201
	s_mov_b32 s1, exec_lo
	v_cmpx_lt_u32_e32 46, v200
	s_cbranch_execz .LBB117_424
; %bb.423:
	ds_load_2addr_b64 v[164:167], v202 offset0:47 offset1:48
	s_wait_dscnt 0x1
	v_pk_mul_f32 v[154:155], v[150:151], v[192:193] op_sel:[1,1] op_sel_hi:[0,1]
	s_delay_alu instid0(VALU_DEP_1) | instskip(SKIP_1) | instid1(VALU_DEP_1)
	v_pk_fma_f32 v[152:153], v[150:151], v[192:193], v[154:155] op_sel_hi:[1,0,1] neg_lo:[0,0,1] neg_hi:[0,0,1]
	v_pk_fma_f32 v[154:155], v[150:151], v[192:193], v[154:155] op_sel_hi:[1,0,1]
	v_dual_mov_b32 v192, v152 :: v_dual_mov_b32 v193, v155
	s_wait_dscnt 0x0
	s_delay_alu instid0(VALU_DEP_2) | instskip(NEXT) | instid1(VALU_DEP_1)
	v_pk_mul_f32 v[168:169], v[164:165], v[154:155] op_sel:[0,1]
	v_pk_fma_f32 v[170:171], v[164:165], v[152:153], v[168:169] op_sel:[0,0,1] op_sel_hi:[1,1,0] neg_lo:[0,0,1] neg_hi:[0,0,1]
	v_pk_fma_f32 v[164:165], v[164:165], v[152:153], v[168:169] op_sel:[0,0,1] op_sel_hi:[1,0,0]
	s_delay_alu instid0(VALU_DEP_1) | instskip(SKIP_1) | instid1(VALU_DEP_1)
	v_mov_b32_e32 v171, v165
	v_pk_mul_f32 v[164:165], v[166:167], v[154:155] op_sel:[0,1]
	v_pk_fma_f32 v[168:169], v[166:167], v[152:153], v[164:165] op_sel:[0,0,1] op_sel_hi:[1,1,0] neg_lo:[0,0,1] neg_hi:[0,0,1]
	v_pk_fma_f32 v[164:165], v[166:167], v[152:153], v[164:165] op_sel:[0,0,1] op_sel_hi:[1,0,0]
	s_delay_alu instid0(VALU_DEP_1)
	v_mov_b32_e32 v169, v165
	ds_load_2addr_b64 v[164:167], v202 offset0:49 offset1:50
	v_pk_add_f32 v[188:189], v[188:189], v[170:171] neg_lo:[0,1] neg_hi:[0,1]
	v_pk_add_f32 v[212:213], v[212:213], v[168:169] neg_lo:[0,1] neg_hi:[0,1]
	s_wait_dscnt 0x0
	v_pk_mul_f32 v[168:169], v[164:165], v[154:155] op_sel:[0,1]
	s_delay_alu instid0(VALU_DEP_1) | instskip(SKIP_2) | instid1(VALU_DEP_2)
	v_pk_fma_f32 v[170:171], v[164:165], v[152:153], v[168:169] op_sel:[0,0,1] op_sel_hi:[1,1,0] neg_lo:[0,0,1] neg_hi:[0,0,1]
	v_pk_fma_f32 v[164:165], v[164:165], v[152:153], v[168:169] op_sel:[0,0,1] op_sel_hi:[1,0,0]
	v_dual_mul_f32 v168, v167, v155 :: v_dual_mov_b32 v164, v167
	v_dual_mov_b32 v171, v165 :: v_dual_mov_b32 v165, v166
	s_delay_alu instid0(VALU_DEP_2) | instskip(SKIP_1) | instid1(VALU_DEP_3)
	v_pk_fma_f32 v[168:169], v[166:167], v[192:193], v[168:169] op_sel_hi:[1,1,0] neg_lo:[0,0,1] neg_hi:[0,0,1]
	v_mul_f32_e32 v166, v167, v152
	v_pk_add_f32 v[208:209], v[208:209], v[170:171] neg_lo:[0,1] neg_hi:[0,1]
	s_delay_alu instid0(VALU_DEP_2) | instskip(NEXT) | instid1(VALU_DEP_1)
	v_pk_fma_f32 v[164:165], v[164:165], v[192:193], v[166:167] op_sel_hi:[1,1,0]
	v_mov_b32_e32 v169, v165
	ds_load_2addr_b64 v[164:167], v202 offset0:51 offset1:52
	v_pk_add_f32 v[210:211], v[210:211], v[168:169] neg_lo:[0,1] neg_hi:[0,1]
	s_wait_dscnt 0x0
	v_pk_mul_f32 v[168:169], v[164:165], v[154:155] op_sel:[0,1]
	s_delay_alu instid0(VALU_DEP_1) | instskip(SKIP_1) | instid1(VALU_DEP_1)
	v_pk_fma_f32 v[170:171], v[164:165], v[152:153], v[168:169] op_sel:[0,0,1] op_sel_hi:[1,1,0] neg_lo:[0,0,1] neg_hi:[0,0,1]
	v_pk_fma_f32 v[164:165], v[164:165], v[152:153], v[168:169] op_sel:[0,0,1] op_sel_hi:[1,0,0]
	v_mov_b32_e32 v171, v165
	v_pk_mul_f32 v[164:165], v[166:167], v[154:155] op_sel:[0,1]
	s_delay_alu instid0(VALU_DEP_1) | instskip(SKIP_1) | instid1(VALU_DEP_1)
	v_pk_fma_f32 v[168:169], v[166:167], v[152:153], v[164:165] op_sel:[0,0,1] op_sel_hi:[1,1,0] neg_lo:[0,0,1] neg_hi:[0,0,1]
	v_pk_fma_f32 v[164:165], v[166:167], v[152:153], v[164:165] op_sel:[0,0,1] op_sel_hi:[1,0,0]
	v_mov_b32_e32 v169, v165
	ds_load_2addr_b64 v[164:167], v202 offset0:53 offset1:54
	v_pk_add_f32 v[206:207], v[206:207], v[170:171] neg_lo:[0,1] neg_hi:[0,1]
	v_pk_add_f32 v[232:233], v[232:233], v[168:169] neg_lo:[0,1] neg_hi:[0,1]
	s_wait_dscnt 0x0
	v_pk_mul_f32 v[168:169], v[164:165], v[154:155] op_sel:[0,1]
	s_delay_alu instid0(VALU_DEP_1) | instskip(SKIP_1) | instid1(VALU_DEP_1)
	v_pk_fma_f32 v[170:171], v[164:165], v[152:153], v[168:169] op_sel:[0,0,1] op_sel_hi:[1,1,0] neg_lo:[0,0,1] neg_hi:[0,0,1]
	v_pk_fma_f32 v[164:165], v[164:165], v[152:153], v[168:169] op_sel:[0,0,1] op_sel_hi:[1,0,0]
	v_mov_b32_e32 v171, v165
	v_pk_mul_f32 v[164:165], v[166:167], v[154:155] op_sel:[0,1]
	s_delay_alu instid0(VALU_DEP_1) | instskip(SKIP_1) | instid1(VALU_DEP_1)
	v_pk_fma_f32 v[168:169], v[166:167], v[152:153], v[164:165] op_sel:[0,0,1] op_sel_hi:[1,1,0] neg_lo:[0,0,1] neg_hi:[0,0,1]
	v_pk_fma_f32 v[164:165], v[166:167], v[152:153], v[164:165] op_sel:[0,0,1] op_sel_hi:[1,0,0]
	v_mov_b32_e32 v169, v165
	ds_load_2addr_b64 v[164:167], v202 offset0:55 offset1:56
	v_pk_add_f32 v[226:227], v[226:227], v[170:171] neg_lo:[0,1] neg_hi:[0,1]
	v_pk_add_f32 v[230:231], v[230:231], v[168:169] neg_lo:[0,1] neg_hi:[0,1]
	s_wait_dscnt 0x0
	v_dual_mul_f32 v168, v165, v155 :: v_dual_mul_f32 v170, v165, v152
	s_delay_alu instid0(VALU_DEP_1) | instskip(NEXT) | instid1(VALU_DEP_2)
	v_pk_fma_f32 v[168:169], v[164:165], v[192:193], v[168:169] op_sel_hi:[1,1,0] neg_lo:[0,0,1] neg_hi:[0,0,1]
	v_pk_fma_f32 v[164:165], v[164:165], v[192:193], v[170:171] op_sel:[1,0,0] op_sel_hi:[0,1,0]
	s_delay_alu instid0(VALU_DEP_1) | instskip(SKIP_1) | instid1(VALU_DEP_2)
	v_mov_b32_e32 v169, v165
	v_pk_mul_f32 v[164:165], v[166:167], v[154:155] op_sel:[0,1]
	v_pk_add_f32 v[224:225], v[224:225], v[168:169] neg_lo:[0,1] neg_hi:[0,1]
	s_delay_alu instid0(VALU_DEP_2) | instskip(SKIP_1) | instid1(VALU_DEP_1)
	v_pk_fma_f32 v[168:169], v[166:167], v[152:153], v[164:165] op_sel:[0,0,1] op_sel_hi:[1,1,0] neg_lo:[0,0,1] neg_hi:[0,0,1]
	v_pk_fma_f32 v[164:165], v[166:167], v[152:153], v[164:165] op_sel:[0,0,1] op_sel_hi:[1,0,0]
	v_mov_b32_e32 v169, v165
	ds_load_2addr_b64 v[164:167], v202 offset0:57 offset1:58
	v_pk_add_f32 v[228:229], v[228:229], v[168:169] neg_lo:[0,1] neg_hi:[0,1]
	s_wait_dscnt 0x0
	v_pk_mul_f32 v[168:169], v[164:165], v[154:155] op_sel:[0,1]
	v_mul_f32_e32 v154, v167, v155
	s_delay_alu instid0(VALU_DEP_2) | instskip(SKIP_2) | instid1(VALU_DEP_4)
	v_pk_fma_f32 v[170:171], v[164:165], v[152:153], v[168:169] op_sel:[0,0,1] op_sel_hi:[1,1,0] neg_lo:[0,0,1] neg_hi:[0,0,1]
	v_pk_fma_f32 v[164:165], v[164:165], v[152:153], v[168:169] op_sel:[0,0,1] op_sel_hi:[1,0,0]
	v_dual_mov_b32 v164, v167 :: v_dual_mul_f32 v152, v167, v152
	v_pk_fma_f32 v[154:155], v[166:167], v[192:193], v[154:155] op_sel_hi:[1,1,0] neg_lo:[0,0,1] neg_hi:[0,0,1]
	s_delay_alu instid0(VALU_DEP_3) | instskip(NEXT) | instid1(VALU_DEP_1)
	v_dual_mov_b32 v171, v165 :: v_dual_mov_b32 v165, v166
	v_pk_add_f32 v[234:235], v[234:235], v[170:171] neg_lo:[0,1] neg_hi:[0,1]
	s_delay_alu instid0(VALU_DEP_2) | instskip(NEXT) | instid1(VALU_DEP_1)
	v_pk_fma_f32 v[152:153], v[164:165], v[192:193], v[152:153] op_sel_hi:[1,1,0]
	v_mov_b32_e32 v155, v153
	s_delay_alu instid0(VALU_DEP_1)
	v_pk_add_f32 v[236:237], v[236:237], v[154:155] neg_lo:[0,1] neg_hi:[0,1]
.LBB117_424:
	s_or_b32 exec_lo, exec_lo, s1
	s_delay_alu instid0(SALU_CYCLE_1)
	s_mov_b32 s2, exec_lo
	s_wait_dscnt 0x0
	s_barrier_signal -1
	s_barrier_wait -1
	v_cmpx_eq_u32_e32 47, v200
	s_cbranch_execz .LBB117_431
; %bb.425:
	v_dual_mov_b32 v152, v212 :: v_dual_mov_b32 v153, v213
	v_dual_mov_b32 v154, v208 :: v_dual_mov_b32 v155, v209
	ds_store_b64 v201, v[188:189]
	ds_store_2addr_b64 v202, v[152:153], v[154:155] offset0:48 offset1:49
	v_dual_mov_b32 v152, v210 :: v_dual_mov_b32 v153, v211
	v_dual_mov_b32 v154, v206 :: v_dual_mov_b32 v155, v207
	ds_store_2addr_b64 v202, v[152:153], v[154:155] offset0:50 offset1:51
	v_dual_mov_b32 v152, v232 :: v_dual_mov_b32 v153, v233
	v_dual_mov_b32 v154, v226 :: v_dual_mov_b32 v155, v227
	;; [unrolled: 3-line block ×4, first 2 shown]
	ds_store_2addr_b64 v202, v[152:153], v[154:155] offset0:56 offset1:57
	ds_store_b64 v202, v[236:237] offset:464
	ds_load_b64 v[152:153], v201
	s_wait_dscnt 0x0
	v_cmp_neq_f32_e32 vcc_lo, 0, v152
	v_cmp_neq_f32_e64 s1, 0, v153
	s_or_b32 s1, vcc_lo, s1
	s_delay_alu instid0(SALU_CYCLE_1)
	s_and_b32 exec_lo, exec_lo, s1
	s_cbranch_execz .LBB117_431
; %bb.426:
	v_cmp_ngt_f32_e64 s1, |v152|, |v153|
                                        ; implicit-def: $vgpr154_vgpr155
	s_and_saveexec_b32 s4, s1
	s_delay_alu instid0(SALU_CYCLE_1)
	s_xor_b32 s1, exec_lo, s4
	s_cbranch_execz .LBB117_428
; %bb.427:
	v_div_scale_f32 v154, null, v153, v153, v152
	v_div_scale_f32 v165, vcc_lo, v152, v153, v152
	s_delay_alu instid0(VALU_DEP_2) | instskip(SKIP_1) | instid1(TRANS32_DEP_1)
	v_rcp_f32_e32 v155, v154
	v_nop
	v_fma_f32 v164, -v154, v155, 1.0
	s_delay_alu instid0(VALU_DEP_1) | instskip(NEXT) | instid1(VALU_DEP_1)
	v_fmac_f32_e32 v155, v164, v155
	v_mul_f32_e32 v164, v165, v155
	s_delay_alu instid0(VALU_DEP_1) | instskip(NEXT) | instid1(VALU_DEP_1)
	v_fma_f32 v166, -v154, v164, v165
	v_fmac_f32_e32 v164, v166, v155
	s_delay_alu instid0(VALU_DEP_1) | instskip(NEXT) | instid1(VALU_DEP_1)
	v_fma_f32 v154, -v154, v164, v165
	v_div_fmas_f32 v154, v154, v155, v164
	s_delay_alu instid0(VALU_DEP_1) | instskip(NEXT) | instid1(VALU_DEP_1)
	v_div_fixup_f32 v154, v154, v153, v152
	v_fmac_f32_e32 v153, v152, v154
	s_delay_alu instid0(VALU_DEP_1) | instskip(SKIP_1) | instid1(VALU_DEP_2)
	v_div_scale_f32 v152, null, v153, v153, 1.0
	v_div_scale_f32 v165, vcc_lo, 1.0, v153, 1.0
	v_rcp_f32_e32 v155, v152
	v_nop
	s_delay_alu instid0(TRANS32_DEP_1) | instskip(NEXT) | instid1(VALU_DEP_1)
	v_fma_f32 v164, -v152, v155, 1.0
	v_fmac_f32_e32 v155, v164, v155
	s_delay_alu instid0(VALU_DEP_1) | instskip(NEXT) | instid1(VALU_DEP_1)
	v_mul_f32_e32 v164, v165, v155
	v_fma_f32 v166, -v152, v164, v165
	s_delay_alu instid0(VALU_DEP_1) | instskip(NEXT) | instid1(VALU_DEP_1)
	v_fmac_f32_e32 v164, v166, v155
	v_fma_f32 v152, -v152, v164, v165
	s_delay_alu instid0(VALU_DEP_1) | instskip(NEXT) | instid1(VALU_DEP_1)
	v_div_fmas_f32 v152, v152, v155, v164
	v_div_fixup_f32 v152, v152, v153, 1.0
	s_delay_alu instid0(VALU_DEP_1)
	v_mul_f32_e32 v154, v154, v152
	v_xor_b32_e32 v155, 0x80000000, v152
                                        ; implicit-def: $vgpr152_vgpr153
.LBB117_428:
	s_and_not1_saveexec_b32 s1, s1
	s_cbranch_execz .LBB117_430
; %bb.429:
	v_div_scale_f32 v154, null, v152, v152, v153
	v_div_scale_f32 v165, vcc_lo, v153, v152, v153
	s_delay_alu instid0(VALU_DEP_2) | instskip(SKIP_1) | instid1(TRANS32_DEP_1)
	v_rcp_f32_e32 v155, v154
	v_nop
	v_fma_f32 v164, -v154, v155, 1.0
	s_delay_alu instid0(VALU_DEP_1) | instskip(NEXT) | instid1(VALU_DEP_1)
	v_fmac_f32_e32 v155, v164, v155
	v_mul_f32_e32 v164, v165, v155
	s_delay_alu instid0(VALU_DEP_1) | instskip(NEXT) | instid1(VALU_DEP_1)
	v_fma_f32 v166, -v154, v164, v165
	v_fmac_f32_e32 v164, v166, v155
	s_delay_alu instid0(VALU_DEP_1) | instskip(NEXT) | instid1(VALU_DEP_1)
	v_fma_f32 v154, -v154, v164, v165
	v_div_fmas_f32 v154, v154, v155, v164
	s_delay_alu instid0(VALU_DEP_1) | instskip(NEXT) | instid1(VALU_DEP_1)
	v_div_fixup_f32 v155, v154, v152, v153
	v_fmac_f32_e32 v152, v153, v155
	s_delay_alu instid0(VALU_DEP_1) | instskip(NEXT) | instid1(VALU_DEP_1)
	v_div_scale_f32 v153, null, v152, v152, 1.0
	v_rcp_f32_e32 v154, v153
	v_nop
	s_delay_alu instid0(TRANS32_DEP_1) | instskip(NEXT) | instid1(VALU_DEP_1)
	v_fma_f32 v164, -v153, v154, 1.0
	v_fmac_f32_e32 v154, v164, v154
	v_div_scale_f32 v164, vcc_lo, 1.0, v152, 1.0
	s_delay_alu instid0(VALU_DEP_1) | instskip(NEXT) | instid1(VALU_DEP_1)
	v_mul_f32_e32 v165, v164, v154
	v_fma_f32 v166, -v153, v165, v164
	s_delay_alu instid0(VALU_DEP_1) | instskip(NEXT) | instid1(VALU_DEP_1)
	v_fmac_f32_e32 v165, v166, v154
	v_fma_f32 v153, -v153, v165, v164
	s_delay_alu instid0(VALU_DEP_1) | instskip(NEXT) | instid1(VALU_DEP_1)
	v_div_fmas_f32 v153, v153, v154, v165
	v_div_fixup_f32 v154, v153, v152, 1.0
	s_delay_alu instid0(VALU_DEP_1)
	v_mul_f32_e64 v155, v155, -v154
.LBB117_430:
	s_or_b32 exec_lo, exec_lo, s1
	ds_store_b64 v201, v[154:155]
.LBB117_431:
	s_or_b32 exec_lo, exec_lo, s2
	s_wait_dscnt 0x0
	s_barrier_signal -1
	s_barrier_wait -1
	ds_load_b64 v[152:153], v201
	s_mov_b32 s1, exec_lo
	v_cmpx_lt_u32_e32 47, v200
	s_cbranch_execz .LBB117_433
; %bb.432:
	ds_load_2addr_b64 v[166:169], v202 offset0:48 offset1:49
	s_wait_dscnt 0x1
	v_pk_mul_f32 v[164:165], v[152:153], v[188:189] op_sel:[1,1] op_sel_hi:[0,1]
	s_delay_alu instid0(VALU_DEP_1) | instskip(SKIP_1) | instid1(VALU_DEP_1)
	v_pk_fma_f32 v[154:155], v[152:153], v[188:189], v[164:165] op_sel_hi:[1,0,1] neg_lo:[0,0,1] neg_hi:[0,0,1]
	v_pk_fma_f32 v[164:165], v[152:153], v[188:189], v[164:165] op_sel_hi:[1,0,1]
	v_dual_mov_b32 v188, v154 :: v_dual_mov_b32 v189, v165
	s_wait_dscnt 0x0
	s_delay_alu instid0(VALU_DEP_2) | instskip(NEXT) | instid1(VALU_DEP_1)
	v_pk_mul_f32 v[170:171], v[166:167], v[164:165] op_sel:[0,1]
	v_pk_fma_f32 v[180:181], v[166:167], v[154:155], v[170:171] op_sel:[0,0,1] op_sel_hi:[1,1,0] neg_lo:[0,0,1] neg_hi:[0,0,1]
	v_pk_fma_f32 v[166:167], v[166:167], v[154:155], v[170:171] op_sel:[0,0,1] op_sel_hi:[1,0,0]
	s_delay_alu instid0(VALU_DEP_1) | instskip(SKIP_1) | instid1(VALU_DEP_1)
	v_mov_b32_e32 v181, v167
	v_pk_mul_f32 v[166:167], v[168:169], v[164:165] op_sel:[0,1]
	v_pk_fma_f32 v[170:171], v[168:169], v[154:155], v[166:167] op_sel:[0,0,1] op_sel_hi:[1,1,0] neg_lo:[0,0,1] neg_hi:[0,0,1]
	v_pk_fma_f32 v[166:167], v[168:169], v[154:155], v[166:167] op_sel:[0,0,1] op_sel_hi:[1,0,0]
	s_delay_alu instid0(VALU_DEP_1)
	v_mov_b32_e32 v171, v167
	ds_load_2addr_b64 v[166:169], v202 offset0:50 offset1:51
	v_pk_add_f32 v[212:213], v[212:213], v[180:181] neg_lo:[0,1] neg_hi:[0,1]
	v_pk_add_f32 v[208:209], v[208:209], v[170:171] neg_lo:[0,1] neg_hi:[0,1]
	s_wait_dscnt 0x0
	v_pk_mul_f32 v[170:171], v[166:167], v[164:165] op_sel:[0,1]
	s_delay_alu instid0(VALU_DEP_1) | instskip(SKIP_2) | instid1(VALU_DEP_2)
	v_pk_fma_f32 v[180:181], v[166:167], v[154:155], v[170:171] op_sel:[0,0,1] op_sel_hi:[1,1,0] neg_lo:[0,0,1] neg_hi:[0,0,1]
	v_pk_fma_f32 v[166:167], v[166:167], v[154:155], v[170:171] op_sel:[0,0,1] op_sel_hi:[1,0,0]
	v_dual_mul_f32 v170, v169, v165 :: v_dual_mov_b32 v166, v169
	v_dual_mov_b32 v181, v167 :: v_dual_mov_b32 v167, v168
	s_delay_alu instid0(VALU_DEP_2) | instskip(SKIP_1) | instid1(VALU_DEP_3)
	v_pk_fma_f32 v[170:171], v[168:169], v[188:189], v[170:171] op_sel_hi:[1,1,0] neg_lo:[0,0,1] neg_hi:[0,0,1]
	v_mul_f32_e32 v168, v169, v154
	v_pk_add_f32 v[210:211], v[210:211], v[180:181] neg_lo:[0,1] neg_hi:[0,1]
	s_delay_alu instid0(VALU_DEP_2) | instskip(NEXT) | instid1(VALU_DEP_1)
	v_pk_fma_f32 v[166:167], v[166:167], v[188:189], v[168:169] op_sel_hi:[1,1,0]
	v_mov_b32_e32 v171, v167
	ds_load_2addr_b64 v[166:169], v202 offset0:52 offset1:53
	v_pk_add_f32 v[206:207], v[206:207], v[170:171] neg_lo:[0,1] neg_hi:[0,1]
	s_wait_dscnt 0x0
	v_pk_mul_f32 v[170:171], v[166:167], v[164:165] op_sel:[0,1]
	s_delay_alu instid0(VALU_DEP_1) | instskip(SKIP_1) | instid1(VALU_DEP_1)
	v_pk_fma_f32 v[180:181], v[166:167], v[154:155], v[170:171] op_sel:[0,0,1] op_sel_hi:[1,1,0] neg_lo:[0,0,1] neg_hi:[0,0,1]
	v_pk_fma_f32 v[166:167], v[166:167], v[154:155], v[170:171] op_sel:[0,0,1] op_sel_hi:[1,0,0]
	v_mov_b32_e32 v181, v167
	v_pk_mul_f32 v[166:167], v[168:169], v[164:165] op_sel:[0,1]
	s_delay_alu instid0(VALU_DEP_1) | instskip(SKIP_1) | instid1(VALU_DEP_1)
	v_pk_fma_f32 v[170:171], v[168:169], v[154:155], v[166:167] op_sel:[0,0,1] op_sel_hi:[1,1,0] neg_lo:[0,0,1] neg_hi:[0,0,1]
	v_pk_fma_f32 v[166:167], v[168:169], v[154:155], v[166:167] op_sel:[0,0,1] op_sel_hi:[1,0,0]
	v_mov_b32_e32 v171, v167
	ds_load_2addr_b64 v[166:169], v202 offset0:54 offset1:55
	v_pk_add_f32 v[232:233], v[232:233], v[180:181] neg_lo:[0,1] neg_hi:[0,1]
	v_pk_add_f32 v[226:227], v[226:227], v[170:171] neg_lo:[0,1] neg_hi:[0,1]
	s_wait_dscnt 0x0
	v_pk_mul_f32 v[170:171], v[166:167], v[164:165] op_sel:[0,1]
	s_delay_alu instid0(VALU_DEP_1) | instskip(SKIP_1) | instid1(VALU_DEP_1)
	v_pk_fma_f32 v[180:181], v[166:167], v[154:155], v[170:171] op_sel:[0,0,1] op_sel_hi:[1,1,0] neg_lo:[0,0,1] neg_hi:[0,0,1]
	v_pk_fma_f32 v[166:167], v[166:167], v[154:155], v[170:171] op_sel:[0,0,1] op_sel_hi:[1,0,0]
	v_mov_b32_e32 v181, v167
	v_pk_mul_f32 v[166:167], v[168:169], v[164:165] op_sel:[0,1]
	s_delay_alu instid0(VALU_DEP_1) | instskip(SKIP_1) | instid1(VALU_DEP_1)
	v_pk_fma_f32 v[170:171], v[168:169], v[154:155], v[166:167] op_sel:[0,0,1] op_sel_hi:[1,1,0] neg_lo:[0,0,1] neg_hi:[0,0,1]
	v_pk_fma_f32 v[166:167], v[168:169], v[154:155], v[166:167] op_sel:[0,0,1] op_sel_hi:[1,0,0]
	v_mov_b32_e32 v171, v167
	ds_load_2addr_b64 v[166:169], v202 offset0:56 offset1:57
	v_pk_add_f32 v[230:231], v[230:231], v[180:181] neg_lo:[0,1] neg_hi:[0,1]
	v_pk_add_f32 v[224:225], v[224:225], v[170:171] neg_lo:[0,1] neg_hi:[0,1]
	s_wait_dscnt 0x0
	v_dual_mul_f32 v170, v167, v165 :: v_dual_mul_f32 v180, v167, v154
	s_delay_alu instid0(VALU_DEP_1) | instskip(NEXT) | instid1(VALU_DEP_2)
	v_pk_fma_f32 v[170:171], v[166:167], v[188:189], v[170:171] op_sel_hi:[1,1,0] neg_lo:[0,0,1] neg_hi:[0,0,1]
	v_pk_fma_f32 v[166:167], v[166:167], v[188:189], v[180:181] op_sel:[1,0,0] op_sel_hi:[0,1,0]
	s_delay_alu instid0(VALU_DEP_1) | instskip(SKIP_1) | instid1(VALU_DEP_2)
	v_mov_b32_e32 v171, v167
	v_pk_mul_f32 v[166:167], v[168:169], v[164:165] op_sel:[0,1]
	v_pk_add_f32 v[228:229], v[228:229], v[170:171] neg_lo:[0,1] neg_hi:[0,1]
	s_delay_alu instid0(VALU_DEP_2) | instskip(SKIP_1) | instid1(VALU_DEP_1)
	v_pk_fma_f32 v[170:171], v[168:169], v[154:155], v[166:167] op_sel:[0,0,1] op_sel_hi:[1,1,0] neg_lo:[0,0,1] neg_hi:[0,0,1]
	v_pk_fma_f32 v[166:167], v[168:169], v[154:155], v[166:167] op_sel:[0,0,1] op_sel_hi:[1,0,0]
	v_mov_b32_e32 v171, v167
	ds_load_b64 v[166:167], v202 offset:464
	v_pk_add_f32 v[234:235], v[234:235], v[170:171] neg_lo:[0,1] neg_hi:[0,1]
	s_wait_dscnt 0x0
	v_pk_mul_f32 v[164:165], v[166:167], v[164:165] op_sel:[0,1]
	s_delay_alu instid0(VALU_DEP_1) | instskip(SKIP_1) | instid1(VALU_DEP_1)
	v_pk_fma_f32 v[168:169], v[166:167], v[154:155], v[164:165] op_sel:[0,0,1] op_sel_hi:[1,1,0] neg_lo:[0,0,1] neg_hi:[0,0,1]
	v_pk_fma_f32 v[154:155], v[166:167], v[154:155], v[164:165] op_sel:[0,0,1] op_sel_hi:[1,0,0]
	v_mov_b32_e32 v169, v155
	s_delay_alu instid0(VALU_DEP_1)
	v_pk_add_f32 v[236:237], v[236:237], v[168:169] neg_lo:[0,1] neg_hi:[0,1]
.LBB117_433:
	s_or_b32 exec_lo, exec_lo, s1
	s_delay_alu instid0(SALU_CYCLE_1)
	s_mov_b32 s2, exec_lo
	s_wait_dscnt 0x0
	s_barrier_signal -1
	s_barrier_wait -1
	v_cmpx_eq_u32_e32 48, v200
	s_cbranch_execz .LBB117_440
; %bb.434:
	ds_store_b64 v201, v[212:213]
	ds_store_2addr_b64 v202, v[208:209], v[210:211] offset0:49 offset1:50
	ds_store_2addr_b64 v202, v[206:207], v[232:233] offset0:51 offset1:52
	;; [unrolled: 1-line block ×5, first 2 shown]
	ds_load_b64 v[154:155], v201
	s_wait_dscnt 0x0
	v_cmp_neq_f32_e32 vcc_lo, 0, v154
	v_cmp_neq_f32_e64 s1, 0, v155
	s_or_b32 s1, vcc_lo, s1
	s_delay_alu instid0(SALU_CYCLE_1)
	s_and_b32 exec_lo, exec_lo, s1
	s_cbranch_execz .LBB117_440
; %bb.435:
	v_cmp_ngt_f32_e64 s1, |v154|, |v155|
                                        ; implicit-def: $vgpr164_vgpr165
	s_and_saveexec_b32 s4, s1
	s_delay_alu instid0(SALU_CYCLE_1)
	s_xor_b32 s1, exec_lo, s4
	s_cbranch_execz .LBB117_437
; %bb.436:
	v_div_scale_f32 v164, null, v155, v155, v154
	v_div_scale_f32 v167, vcc_lo, v154, v155, v154
	s_delay_alu instid0(VALU_DEP_2) | instskip(SKIP_1) | instid1(TRANS32_DEP_1)
	v_rcp_f32_e32 v165, v164
	v_nop
	v_fma_f32 v166, -v164, v165, 1.0
	s_delay_alu instid0(VALU_DEP_1) | instskip(NEXT) | instid1(VALU_DEP_1)
	v_fmac_f32_e32 v165, v166, v165
	v_mul_f32_e32 v166, v167, v165
	s_delay_alu instid0(VALU_DEP_1) | instskip(NEXT) | instid1(VALU_DEP_1)
	v_fma_f32 v168, -v164, v166, v167
	v_fmac_f32_e32 v166, v168, v165
	s_delay_alu instid0(VALU_DEP_1) | instskip(NEXT) | instid1(VALU_DEP_1)
	v_fma_f32 v164, -v164, v166, v167
	v_div_fmas_f32 v164, v164, v165, v166
	s_delay_alu instid0(VALU_DEP_1) | instskip(NEXT) | instid1(VALU_DEP_1)
	v_div_fixup_f32 v164, v164, v155, v154
	v_fmac_f32_e32 v155, v154, v164
	s_delay_alu instid0(VALU_DEP_1) | instskip(SKIP_1) | instid1(VALU_DEP_2)
	v_div_scale_f32 v154, null, v155, v155, 1.0
	v_div_scale_f32 v167, vcc_lo, 1.0, v155, 1.0
	v_rcp_f32_e32 v165, v154
	v_nop
	s_delay_alu instid0(TRANS32_DEP_1) | instskip(NEXT) | instid1(VALU_DEP_1)
	v_fma_f32 v166, -v154, v165, 1.0
	v_fmac_f32_e32 v165, v166, v165
	s_delay_alu instid0(VALU_DEP_1) | instskip(NEXT) | instid1(VALU_DEP_1)
	v_mul_f32_e32 v166, v167, v165
	v_fma_f32 v168, -v154, v166, v167
	s_delay_alu instid0(VALU_DEP_1) | instskip(NEXT) | instid1(VALU_DEP_1)
	v_fmac_f32_e32 v166, v168, v165
	v_fma_f32 v154, -v154, v166, v167
	s_delay_alu instid0(VALU_DEP_1) | instskip(NEXT) | instid1(VALU_DEP_1)
	v_div_fmas_f32 v154, v154, v165, v166
	v_div_fixup_f32 v154, v154, v155, 1.0
	s_delay_alu instid0(VALU_DEP_1)
	v_mul_f32_e32 v164, v164, v154
	v_xor_b32_e32 v165, 0x80000000, v154
                                        ; implicit-def: $vgpr154_vgpr155
.LBB117_437:
	s_and_not1_saveexec_b32 s1, s1
	s_cbranch_execz .LBB117_439
; %bb.438:
	v_div_scale_f32 v164, null, v154, v154, v155
	v_div_scale_f32 v167, vcc_lo, v155, v154, v155
	s_delay_alu instid0(VALU_DEP_2) | instskip(SKIP_1) | instid1(TRANS32_DEP_1)
	v_rcp_f32_e32 v165, v164
	v_nop
	v_fma_f32 v166, -v164, v165, 1.0
	s_delay_alu instid0(VALU_DEP_1) | instskip(NEXT) | instid1(VALU_DEP_1)
	v_fmac_f32_e32 v165, v166, v165
	v_mul_f32_e32 v166, v167, v165
	s_delay_alu instid0(VALU_DEP_1) | instskip(NEXT) | instid1(VALU_DEP_1)
	v_fma_f32 v168, -v164, v166, v167
	v_fmac_f32_e32 v166, v168, v165
	s_delay_alu instid0(VALU_DEP_1) | instskip(NEXT) | instid1(VALU_DEP_1)
	v_fma_f32 v164, -v164, v166, v167
	v_div_fmas_f32 v164, v164, v165, v166
	s_delay_alu instid0(VALU_DEP_1) | instskip(NEXT) | instid1(VALU_DEP_1)
	v_div_fixup_f32 v165, v164, v154, v155
	v_fmac_f32_e32 v154, v155, v165
	s_delay_alu instid0(VALU_DEP_1) | instskip(NEXT) | instid1(VALU_DEP_1)
	v_div_scale_f32 v155, null, v154, v154, 1.0
	v_rcp_f32_e32 v164, v155
	v_nop
	s_delay_alu instid0(TRANS32_DEP_1) | instskip(NEXT) | instid1(VALU_DEP_1)
	v_fma_f32 v166, -v155, v164, 1.0
	v_fmac_f32_e32 v164, v166, v164
	v_div_scale_f32 v166, vcc_lo, 1.0, v154, 1.0
	s_delay_alu instid0(VALU_DEP_1) | instskip(NEXT) | instid1(VALU_DEP_1)
	v_mul_f32_e32 v167, v166, v164
	v_fma_f32 v168, -v155, v167, v166
	s_delay_alu instid0(VALU_DEP_1) | instskip(NEXT) | instid1(VALU_DEP_1)
	v_fmac_f32_e32 v167, v168, v164
	v_fma_f32 v155, -v155, v167, v166
	s_delay_alu instid0(VALU_DEP_1) | instskip(NEXT) | instid1(VALU_DEP_1)
	v_div_fmas_f32 v155, v155, v164, v167
	v_div_fixup_f32 v164, v155, v154, 1.0
	s_delay_alu instid0(VALU_DEP_1)
	v_mul_f32_e64 v165, v165, -v164
.LBB117_439:
	s_or_b32 exec_lo, exec_lo, s1
	ds_store_b64 v201, v[164:165]
.LBB117_440:
	s_or_b32 exec_lo, exec_lo, s2
	s_wait_dscnt 0x0
	s_barrier_signal -1
	s_barrier_wait -1
	ds_load_b64 v[154:155], v201
	s_mov_b32 s1, exec_lo
	v_cmpx_lt_u32_e32 48, v200
	s_cbranch_execz .LBB117_442
; %bb.441:
	ds_load_2addr_b64 v[168:171], v202 offset0:49 offset1:50
	s_wait_dscnt 0x1
	v_pk_mul_f32 v[166:167], v[154:155], v[212:213] op_sel:[1,1] op_sel_hi:[0,1]
	s_delay_alu instid0(VALU_DEP_1) | instskip(SKIP_1) | instid1(VALU_DEP_1)
	v_pk_fma_f32 v[164:165], v[154:155], v[212:213], v[166:167] op_sel_hi:[1,0,1] neg_lo:[0,0,1] neg_hi:[0,0,1]
	v_pk_fma_f32 v[166:167], v[154:155], v[212:213], v[166:167] op_sel_hi:[1,0,1]
	v_dual_mov_b32 v212, v164 :: v_dual_mov_b32 v213, v167
	s_wait_dscnt 0x0
	s_delay_alu instid0(VALU_DEP_2) | instskip(NEXT) | instid1(VALU_DEP_1)
	v_pk_mul_f32 v[180:181], v[168:169], v[166:167] op_sel:[0,1]
	v_pk_fma_f32 v[182:183], v[168:169], v[164:165], v[180:181] op_sel:[0,0,1] op_sel_hi:[1,1,0] neg_lo:[0,0,1] neg_hi:[0,0,1]
	v_pk_fma_f32 v[168:169], v[168:169], v[164:165], v[180:181] op_sel:[0,0,1] op_sel_hi:[1,0,0]
	s_delay_alu instid0(VALU_DEP_1) | instskip(SKIP_1) | instid1(VALU_DEP_1)
	v_mov_b32_e32 v183, v169
	v_pk_mul_f32 v[168:169], v[170:171], v[166:167] op_sel:[0,1]
	v_pk_fma_f32 v[180:181], v[170:171], v[164:165], v[168:169] op_sel:[0,0,1] op_sel_hi:[1,1,0] neg_lo:[0,0,1] neg_hi:[0,0,1]
	v_pk_fma_f32 v[168:169], v[170:171], v[164:165], v[168:169] op_sel:[0,0,1] op_sel_hi:[1,0,0]
	s_delay_alu instid0(VALU_DEP_1)
	v_mov_b32_e32 v181, v169
	ds_load_2addr_b64 v[168:171], v202 offset0:51 offset1:52
	v_pk_add_f32 v[208:209], v[208:209], v[182:183] neg_lo:[0,1] neg_hi:[0,1]
	v_pk_add_f32 v[210:211], v[210:211], v[180:181] neg_lo:[0,1] neg_hi:[0,1]
	s_wait_dscnt 0x0
	v_pk_mul_f32 v[180:181], v[168:169], v[166:167] op_sel:[0,1]
	s_delay_alu instid0(VALU_DEP_1) | instskip(SKIP_2) | instid1(VALU_DEP_2)
	v_pk_fma_f32 v[182:183], v[168:169], v[164:165], v[180:181] op_sel:[0,0,1] op_sel_hi:[1,1,0] neg_lo:[0,0,1] neg_hi:[0,0,1]
	v_pk_fma_f32 v[168:169], v[168:169], v[164:165], v[180:181] op_sel:[0,0,1] op_sel_hi:[1,0,0]
	v_dual_mul_f32 v180, v171, v167 :: v_dual_mov_b32 v168, v171
	v_dual_mov_b32 v183, v169 :: v_dual_mov_b32 v169, v170
	s_delay_alu instid0(VALU_DEP_2) | instskip(SKIP_1) | instid1(VALU_DEP_3)
	v_pk_fma_f32 v[180:181], v[170:171], v[212:213], v[180:181] op_sel_hi:[1,1,0] neg_lo:[0,0,1] neg_hi:[0,0,1]
	v_mul_f32_e32 v170, v171, v164
	v_pk_add_f32 v[206:207], v[206:207], v[182:183] neg_lo:[0,1] neg_hi:[0,1]
	s_delay_alu instid0(VALU_DEP_2) | instskip(NEXT) | instid1(VALU_DEP_1)
	v_pk_fma_f32 v[168:169], v[168:169], v[212:213], v[170:171] op_sel_hi:[1,1,0]
	v_mov_b32_e32 v181, v169
	ds_load_2addr_b64 v[168:171], v202 offset0:53 offset1:54
	v_pk_add_f32 v[232:233], v[232:233], v[180:181] neg_lo:[0,1] neg_hi:[0,1]
	s_wait_dscnt 0x0
	v_pk_mul_f32 v[180:181], v[168:169], v[166:167] op_sel:[0,1]
	s_delay_alu instid0(VALU_DEP_1) | instskip(SKIP_1) | instid1(VALU_DEP_1)
	v_pk_fma_f32 v[182:183], v[168:169], v[164:165], v[180:181] op_sel:[0,0,1] op_sel_hi:[1,1,0] neg_lo:[0,0,1] neg_hi:[0,0,1]
	v_pk_fma_f32 v[168:169], v[168:169], v[164:165], v[180:181] op_sel:[0,0,1] op_sel_hi:[1,0,0]
	v_mov_b32_e32 v183, v169
	v_pk_mul_f32 v[168:169], v[170:171], v[166:167] op_sel:[0,1]
	s_delay_alu instid0(VALU_DEP_1) | instskip(SKIP_1) | instid1(VALU_DEP_1)
	v_pk_fma_f32 v[180:181], v[170:171], v[164:165], v[168:169] op_sel:[0,0,1] op_sel_hi:[1,1,0] neg_lo:[0,0,1] neg_hi:[0,0,1]
	v_pk_fma_f32 v[168:169], v[170:171], v[164:165], v[168:169] op_sel:[0,0,1] op_sel_hi:[1,0,0]
	v_mov_b32_e32 v181, v169
	ds_load_2addr_b64 v[168:171], v202 offset0:55 offset1:56
	v_pk_add_f32 v[226:227], v[226:227], v[182:183] neg_lo:[0,1] neg_hi:[0,1]
	v_pk_add_f32 v[230:231], v[230:231], v[180:181] neg_lo:[0,1] neg_hi:[0,1]
	s_wait_dscnt 0x0
	v_pk_mul_f32 v[180:181], v[168:169], v[166:167] op_sel:[0,1]
	s_delay_alu instid0(VALU_DEP_1) | instskip(SKIP_1) | instid1(VALU_DEP_1)
	v_pk_fma_f32 v[182:183], v[168:169], v[164:165], v[180:181] op_sel:[0,0,1] op_sel_hi:[1,1,0] neg_lo:[0,0,1] neg_hi:[0,0,1]
	v_pk_fma_f32 v[168:169], v[168:169], v[164:165], v[180:181] op_sel:[0,0,1] op_sel_hi:[1,0,0]
	v_mov_b32_e32 v183, v169
	v_pk_mul_f32 v[168:169], v[170:171], v[166:167] op_sel:[0,1]
	s_delay_alu instid0(VALU_DEP_1) | instskip(SKIP_1) | instid1(VALU_DEP_1)
	v_pk_fma_f32 v[180:181], v[170:171], v[164:165], v[168:169] op_sel:[0,0,1] op_sel_hi:[1,1,0] neg_lo:[0,0,1] neg_hi:[0,0,1]
	v_pk_fma_f32 v[168:169], v[170:171], v[164:165], v[168:169] op_sel:[0,0,1] op_sel_hi:[1,0,0]
	v_mov_b32_e32 v181, v169
	ds_load_2addr_b64 v[168:171], v202 offset0:57 offset1:58
	v_pk_add_f32 v[224:225], v[224:225], v[182:183] neg_lo:[0,1] neg_hi:[0,1]
	v_pk_add_f32 v[228:229], v[228:229], v[180:181] neg_lo:[0,1] neg_hi:[0,1]
	s_wait_dscnt 0x0
	v_dual_mul_f32 v180, v169, v167 :: v_dual_mul_f32 v182, v169, v164
	v_pk_mul_f32 v[166:167], v[170:171], v[166:167] op_sel:[0,1]
	s_delay_alu instid0(VALU_DEP_2) | instskip(NEXT) | instid1(VALU_DEP_3)
	v_pk_fma_f32 v[180:181], v[168:169], v[212:213], v[180:181] op_sel_hi:[1,1,0] neg_lo:[0,0,1] neg_hi:[0,0,1]
	v_pk_fma_f32 v[168:169], v[168:169], v[212:213], v[182:183] op_sel:[1,0,0] op_sel_hi:[0,1,0]
	s_delay_alu instid0(VALU_DEP_1) | instskip(NEXT) | instid1(VALU_DEP_4)
	v_mov_b32_e32 v181, v169
	v_pk_fma_f32 v[168:169], v[170:171], v[164:165], v[166:167] op_sel:[0,0,1] op_sel_hi:[1,1,0] neg_lo:[0,0,1] neg_hi:[0,0,1]
	v_pk_fma_f32 v[164:165], v[170:171], v[164:165], v[166:167] op_sel:[0,0,1] op_sel_hi:[1,0,0]
	s_delay_alu instid0(VALU_DEP_1) | instskip(NEXT) | instid1(VALU_DEP_4)
	v_mov_b32_e32 v169, v165
	v_pk_add_f32 v[234:235], v[234:235], v[180:181] neg_lo:[0,1] neg_hi:[0,1]
	s_delay_alu instid0(VALU_DEP_2)
	v_pk_add_f32 v[236:237], v[236:237], v[168:169] neg_lo:[0,1] neg_hi:[0,1]
.LBB117_442:
	s_or_b32 exec_lo, exec_lo, s1
	s_delay_alu instid0(SALU_CYCLE_1)
	s_mov_b32 s2, exec_lo
	s_wait_dscnt 0x0
	s_barrier_signal -1
	s_barrier_wait -1
	v_cmpx_eq_u32_e32 49, v200
	s_cbranch_execz .LBB117_449
; %bb.443:
	v_dual_mov_b32 v164, v210 :: v_dual_mov_b32 v165, v211
	v_dual_mov_b32 v166, v206 :: v_dual_mov_b32 v167, v207
	ds_store_b64 v201, v[208:209]
	ds_store_2addr_b64 v202, v[164:165], v[166:167] offset0:50 offset1:51
	v_dual_mov_b32 v164, v232 :: v_dual_mov_b32 v165, v233
	v_dual_mov_b32 v166, v226 :: v_dual_mov_b32 v167, v227
	ds_store_2addr_b64 v202, v[164:165], v[166:167] offset0:52 offset1:53
	v_dual_mov_b32 v164, v230 :: v_dual_mov_b32 v165, v231
	v_dual_mov_b32 v166, v224 :: v_dual_mov_b32 v167, v225
	;; [unrolled: 3-line block ×3, first 2 shown]
	ds_store_2addr_b64 v202, v[164:165], v[166:167] offset0:56 offset1:57
	ds_store_b64 v202, v[236:237] offset:464
	ds_load_b64 v[164:165], v201
	s_wait_dscnt 0x0
	v_cmp_neq_f32_e32 vcc_lo, 0, v164
	v_cmp_neq_f32_e64 s1, 0, v165
	s_or_b32 s1, vcc_lo, s1
	s_delay_alu instid0(SALU_CYCLE_1)
	s_and_b32 exec_lo, exec_lo, s1
	s_cbranch_execz .LBB117_449
; %bb.444:
	v_cmp_ngt_f32_e64 s1, |v164|, |v165|
                                        ; implicit-def: $vgpr166_vgpr167
	s_and_saveexec_b32 s4, s1
	s_delay_alu instid0(SALU_CYCLE_1)
	s_xor_b32 s1, exec_lo, s4
	s_cbranch_execz .LBB117_446
; %bb.445:
	v_div_scale_f32 v166, null, v165, v165, v164
	v_div_scale_f32 v169, vcc_lo, v164, v165, v164
	s_delay_alu instid0(VALU_DEP_2) | instskip(SKIP_1) | instid1(TRANS32_DEP_1)
	v_rcp_f32_e32 v167, v166
	v_nop
	v_fma_f32 v168, -v166, v167, 1.0
	s_delay_alu instid0(VALU_DEP_1) | instskip(NEXT) | instid1(VALU_DEP_1)
	v_fmac_f32_e32 v167, v168, v167
	v_mul_f32_e32 v168, v169, v167
	s_delay_alu instid0(VALU_DEP_1) | instskip(NEXT) | instid1(VALU_DEP_1)
	v_fma_f32 v170, -v166, v168, v169
	v_fmac_f32_e32 v168, v170, v167
	s_delay_alu instid0(VALU_DEP_1) | instskip(NEXT) | instid1(VALU_DEP_1)
	v_fma_f32 v166, -v166, v168, v169
	v_div_fmas_f32 v166, v166, v167, v168
	s_delay_alu instid0(VALU_DEP_1) | instskip(NEXT) | instid1(VALU_DEP_1)
	v_div_fixup_f32 v166, v166, v165, v164
	v_fmac_f32_e32 v165, v164, v166
	s_delay_alu instid0(VALU_DEP_1) | instskip(SKIP_1) | instid1(VALU_DEP_2)
	v_div_scale_f32 v164, null, v165, v165, 1.0
	v_div_scale_f32 v169, vcc_lo, 1.0, v165, 1.0
	v_rcp_f32_e32 v167, v164
	v_nop
	s_delay_alu instid0(TRANS32_DEP_1) | instskip(NEXT) | instid1(VALU_DEP_1)
	v_fma_f32 v168, -v164, v167, 1.0
	v_fmac_f32_e32 v167, v168, v167
	s_delay_alu instid0(VALU_DEP_1) | instskip(NEXT) | instid1(VALU_DEP_1)
	v_mul_f32_e32 v168, v169, v167
	v_fma_f32 v170, -v164, v168, v169
	s_delay_alu instid0(VALU_DEP_1) | instskip(NEXT) | instid1(VALU_DEP_1)
	v_fmac_f32_e32 v168, v170, v167
	v_fma_f32 v164, -v164, v168, v169
	s_delay_alu instid0(VALU_DEP_1) | instskip(NEXT) | instid1(VALU_DEP_1)
	v_div_fmas_f32 v164, v164, v167, v168
	v_div_fixup_f32 v164, v164, v165, 1.0
	s_delay_alu instid0(VALU_DEP_1)
	v_mul_f32_e32 v166, v166, v164
	v_xor_b32_e32 v167, 0x80000000, v164
                                        ; implicit-def: $vgpr164_vgpr165
.LBB117_446:
	s_and_not1_saveexec_b32 s1, s1
	s_cbranch_execz .LBB117_448
; %bb.447:
	v_div_scale_f32 v166, null, v164, v164, v165
	v_div_scale_f32 v169, vcc_lo, v165, v164, v165
	s_delay_alu instid0(VALU_DEP_2) | instskip(SKIP_1) | instid1(TRANS32_DEP_1)
	v_rcp_f32_e32 v167, v166
	v_nop
	v_fma_f32 v168, -v166, v167, 1.0
	s_delay_alu instid0(VALU_DEP_1) | instskip(NEXT) | instid1(VALU_DEP_1)
	v_fmac_f32_e32 v167, v168, v167
	v_mul_f32_e32 v168, v169, v167
	s_delay_alu instid0(VALU_DEP_1) | instskip(NEXT) | instid1(VALU_DEP_1)
	v_fma_f32 v170, -v166, v168, v169
	v_fmac_f32_e32 v168, v170, v167
	s_delay_alu instid0(VALU_DEP_1) | instskip(NEXT) | instid1(VALU_DEP_1)
	v_fma_f32 v166, -v166, v168, v169
	v_div_fmas_f32 v166, v166, v167, v168
	s_delay_alu instid0(VALU_DEP_1) | instskip(NEXT) | instid1(VALU_DEP_1)
	v_div_fixup_f32 v167, v166, v164, v165
	v_fmac_f32_e32 v164, v165, v167
	s_delay_alu instid0(VALU_DEP_1) | instskip(NEXT) | instid1(VALU_DEP_1)
	v_div_scale_f32 v165, null, v164, v164, 1.0
	v_rcp_f32_e32 v166, v165
	v_nop
	s_delay_alu instid0(TRANS32_DEP_1) | instskip(NEXT) | instid1(VALU_DEP_1)
	v_fma_f32 v168, -v165, v166, 1.0
	v_fmac_f32_e32 v166, v168, v166
	v_div_scale_f32 v168, vcc_lo, 1.0, v164, 1.0
	s_delay_alu instid0(VALU_DEP_1) | instskip(NEXT) | instid1(VALU_DEP_1)
	v_mul_f32_e32 v169, v168, v166
	v_fma_f32 v170, -v165, v169, v168
	s_delay_alu instid0(VALU_DEP_1) | instskip(NEXT) | instid1(VALU_DEP_1)
	v_fmac_f32_e32 v169, v170, v166
	v_fma_f32 v165, -v165, v169, v168
	s_delay_alu instid0(VALU_DEP_1) | instskip(NEXT) | instid1(VALU_DEP_1)
	v_div_fmas_f32 v165, v165, v166, v169
	v_div_fixup_f32 v166, v165, v164, 1.0
	s_delay_alu instid0(VALU_DEP_1)
	v_mul_f32_e64 v167, v167, -v166
.LBB117_448:
	s_or_b32 exec_lo, exec_lo, s1
	ds_store_b64 v201, v[166:167]
.LBB117_449:
	s_or_b32 exec_lo, exec_lo, s2
	s_wait_dscnt 0x0
	s_barrier_signal -1
	s_barrier_wait -1
	ds_load_b64 v[164:165], v201
	s_mov_b32 s1, exec_lo
	v_cmpx_lt_u32_e32 49, v200
	s_cbranch_execz .LBB117_451
; %bb.450:
	ds_load_2addr_b64 v[180:183], v202 offset0:50 offset1:51
	s_wait_dscnt 0x1
	v_pk_mul_f32 v[168:169], v[164:165], v[208:209] op_sel:[1,1] op_sel_hi:[0,1]
	s_delay_alu instid0(VALU_DEP_1) | instskip(SKIP_1) | instid1(VALU_DEP_1)
	v_pk_fma_f32 v[166:167], v[164:165], v[208:209], v[168:169] op_sel_hi:[1,0,1] neg_lo:[0,0,1] neg_hi:[0,0,1]
	v_pk_fma_f32 v[168:169], v[164:165], v[208:209], v[168:169] op_sel_hi:[1,0,1]
	v_dual_mov_b32 v208, v166 :: v_dual_mov_b32 v209, v169
	s_wait_dscnt 0x0
	s_delay_alu instid0(VALU_DEP_2) | instskip(NEXT) | instid1(VALU_DEP_1)
	v_pk_mul_f32 v[170:171], v[180:181], v[168:169] op_sel:[0,1]
	v_pk_fma_f32 v[184:185], v[180:181], v[166:167], v[170:171] op_sel:[0,0,1] op_sel_hi:[1,1,0] neg_lo:[0,0,1] neg_hi:[0,0,1]
	v_pk_fma_f32 v[170:171], v[180:181], v[166:167], v[170:171] op_sel:[0,0,1] op_sel_hi:[1,0,0]
	s_delay_alu instid0(VALU_DEP_1) | instskip(SKIP_1) | instid1(VALU_DEP_1)
	v_mov_b32_e32 v185, v171
	v_pk_mul_f32 v[170:171], v[182:183], v[168:169] op_sel:[0,1]
	v_pk_fma_f32 v[180:181], v[182:183], v[166:167], v[170:171] op_sel:[0,0,1] op_sel_hi:[1,1,0] neg_lo:[0,0,1] neg_hi:[0,0,1]
	v_pk_fma_f32 v[170:171], v[182:183], v[166:167], v[170:171] op_sel:[0,0,1] op_sel_hi:[1,0,0]
	s_delay_alu instid0(VALU_DEP_1) | instskip(SKIP_1) | instid1(VALU_DEP_2)
	v_mov_b32_e32 v181, v171
	v_pk_add_f32 v[210:211], v[210:211], v[184:185] neg_lo:[0,1] neg_hi:[0,1]
	v_pk_add_f32 v[206:207], v[206:207], v[180:181] neg_lo:[0,1] neg_hi:[0,1]
	ds_load_2addr_b64 v[180:183], v202 offset0:52 offset1:53
	s_wait_dscnt 0x0
	v_pk_mul_f32 v[170:171], v[180:181], v[168:169] op_sel:[0,1]
	s_delay_alu instid0(VALU_DEP_1) | instskip(SKIP_2) | instid1(VALU_DEP_2)
	v_pk_fma_f32 v[184:185], v[180:181], v[166:167], v[170:171] op_sel:[0,0,1] op_sel_hi:[1,1,0] neg_lo:[0,0,1] neg_hi:[0,0,1]
	v_pk_fma_f32 v[170:171], v[180:181], v[166:167], v[170:171] op_sel:[0,0,1] op_sel_hi:[1,0,0]
	v_dual_mul_f32 v180, v183, v169 :: v_dual_mov_b32 v170, v183
	v_dual_mov_b32 v185, v171 :: v_dual_mov_b32 v171, v182
	s_delay_alu instid0(VALU_DEP_2) | instskip(SKIP_1) | instid1(VALU_DEP_3)
	v_pk_fma_f32 v[180:181], v[182:183], v[208:209], v[180:181] op_sel_hi:[1,1,0] neg_lo:[0,0,1] neg_hi:[0,0,1]
	v_mul_f32_e32 v182, v183, v166
	v_pk_add_f32 v[232:233], v[232:233], v[184:185] neg_lo:[0,1] neg_hi:[0,1]
	s_delay_alu instid0(VALU_DEP_2) | instskip(NEXT) | instid1(VALU_DEP_1)
	v_pk_fma_f32 v[170:171], v[170:171], v[208:209], v[182:183] op_sel_hi:[1,1,0]
	v_mov_b32_e32 v181, v171
	s_delay_alu instid0(VALU_DEP_1) | instskip(SKIP_3) | instid1(VALU_DEP_1)
	v_pk_add_f32 v[226:227], v[226:227], v[180:181] neg_lo:[0,1] neg_hi:[0,1]
	ds_load_2addr_b64 v[180:183], v202 offset0:54 offset1:55
	s_wait_dscnt 0x0
	v_pk_mul_f32 v[170:171], v[180:181], v[168:169] op_sel:[0,1]
	v_pk_fma_f32 v[184:185], v[180:181], v[166:167], v[170:171] op_sel:[0,0,1] op_sel_hi:[1,1,0] neg_lo:[0,0,1] neg_hi:[0,0,1]
	v_pk_fma_f32 v[170:171], v[180:181], v[166:167], v[170:171] op_sel:[0,0,1] op_sel_hi:[1,0,0]
	s_delay_alu instid0(VALU_DEP_1) | instskip(SKIP_1) | instid1(VALU_DEP_2)
	v_mov_b32_e32 v185, v171
	v_pk_mul_f32 v[170:171], v[182:183], v[168:169] op_sel:[0,1]
	v_pk_add_f32 v[230:231], v[230:231], v[184:185] neg_lo:[0,1] neg_hi:[0,1]
	s_delay_alu instid0(VALU_DEP_2) | instskip(SKIP_1) | instid1(VALU_DEP_1)
	v_pk_fma_f32 v[180:181], v[182:183], v[166:167], v[170:171] op_sel:[0,0,1] op_sel_hi:[1,1,0] neg_lo:[0,0,1] neg_hi:[0,0,1]
	v_pk_fma_f32 v[170:171], v[182:183], v[166:167], v[170:171] op_sel:[0,0,1] op_sel_hi:[1,0,0]
	v_mov_b32_e32 v181, v171
	s_delay_alu instid0(VALU_DEP_1) | instskip(SKIP_3) | instid1(VALU_DEP_1)
	v_pk_add_f32 v[224:225], v[224:225], v[180:181] neg_lo:[0,1] neg_hi:[0,1]
	ds_load_2addr_b64 v[180:183], v202 offset0:56 offset1:57
	s_wait_dscnt 0x0
	v_pk_mul_f32 v[170:171], v[180:181], v[168:169] op_sel:[0,1]
	v_pk_fma_f32 v[184:185], v[180:181], v[166:167], v[170:171] op_sel:[0,0,1] op_sel_hi:[1,1,0] neg_lo:[0,0,1] neg_hi:[0,0,1]
	v_pk_fma_f32 v[170:171], v[180:181], v[166:167], v[170:171] op_sel:[0,0,1] op_sel_hi:[1,0,0]
	s_delay_alu instid0(VALU_DEP_1) | instskip(SKIP_1) | instid1(VALU_DEP_2)
	v_mov_b32_e32 v185, v171
	v_pk_mul_f32 v[170:171], v[182:183], v[168:169] op_sel:[0,1]
	v_pk_add_f32 v[228:229], v[228:229], v[184:185] neg_lo:[0,1] neg_hi:[0,1]
	s_delay_alu instid0(VALU_DEP_2) | instskip(SKIP_1) | instid1(VALU_DEP_1)
	v_pk_fma_f32 v[180:181], v[182:183], v[166:167], v[170:171] op_sel:[0,0,1] op_sel_hi:[1,1,0] neg_lo:[0,0,1] neg_hi:[0,0,1]
	v_pk_fma_f32 v[170:171], v[182:183], v[166:167], v[170:171] op_sel:[0,0,1] op_sel_hi:[1,0,0]
	v_mov_b32_e32 v181, v171
	ds_load_b64 v[170:171], v202 offset:464
	v_pk_add_f32 v[234:235], v[234:235], v[180:181] neg_lo:[0,1] neg_hi:[0,1]
	s_wait_dscnt 0x0
	v_pk_mul_f32 v[168:169], v[170:171], v[168:169] op_sel:[0,1]
	s_delay_alu instid0(VALU_DEP_1) | instskip(SKIP_1) | instid1(VALU_DEP_1)
	v_pk_fma_f32 v[180:181], v[170:171], v[166:167], v[168:169] op_sel:[0,0,1] op_sel_hi:[1,1,0] neg_lo:[0,0,1] neg_hi:[0,0,1]
	v_pk_fma_f32 v[166:167], v[170:171], v[166:167], v[168:169] op_sel:[0,0,1] op_sel_hi:[1,0,0]
	v_mov_b32_e32 v181, v167
	s_delay_alu instid0(VALU_DEP_1)
	v_pk_add_f32 v[236:237], v[236:237], v[180:181] neg_lo:[0,1] neg_hi:[0,1]
.LBB117_451:
	s_or_b32 exec_lo, exec_lo, s1
	s_delay_alu instid0(SALU_CYCLE_1)
	s_mov_b32 s2, exec_lo
	s_wait_dscnt 0x0
	s_barrier_signal -1
	s_barrier_wait -1
	v_cmpx_eq_u32_e32 50, v200
	s_cbranch_execz .LBB117_458
; %bb.452:
	ds_store_b64 v201, v[210:211]
	ds_store_2addr_b64 v202, v[206:207], v[232:233] offset0:51 offset1:52
	ds_store_2addr_b64 v202, v[226:227], v[230:231] offset0:53 offset1:54
	;; [unrolled: 1-line block ×4, first 2 shown]
	ds_load_b64 v[166:167], v201
	s_wait_dscnt 0x0
	v_cmp_neq_f32_e32 vcc_lo, 0, v166
	v_cmp_neq_f32_e64 s1, 0, v167
	s_or_b32 s1, vcc_lo, s1
	s_delay_alu instid0(SALU_CYCLE_1)
	s_and_b32 exec_lo, exec_lo, s1
	s_cbranch_execz .LBB117_458
; %bb.453:
	v_cmp_ngt_f32_e64 s1, |v166|, |v167|
                                        ; implicit-def: $vgpr168_vgpr169
	s_and_saveexec_b32 s4, s1
	s_delay_alu instid0(SALU_CYCLE_1)
	s_xor_b32 s1, exec_lo, s4
	s_cbranch_execz .LBB117_455
; %bb.454:
	v_div_scale_f32 v168, null, v167, v167, v166
	v_div_scale_f32 v171, vcc_lo, v166, v167, v166
	s_delay_alu instid0(VALU_DEP_2) | instskip(SKIP_1) | instid1(TRANS32_DEP_1)
	v_rcp_f32_e32 v169, v168
	v_nop
	v_fma_f32 v170, -v168, v169, 1.0
	s_delay_alu instid0(VALU_DEP_1) | instskip(NEXT) | instid1(VALU_DEP_1)
	v_fmac_f32_e32 v169, v170, v169
	v_mul_f32_e32 v170, v171, v169
	s_delay_alu instid0(VALU_DEP_1) | instskip(NEXT) | instid1(VALU_DEP_1)
	v_fma_f32 v180, -v168, v170, v171
	v_fmac_f32_e32 v170, v180, v169
	s_delay_alu instid0(VALU_DEP_1) | instskip(NEXT) | instid1(VALU_DEP_1)
	v_fma_f32 v168, -v168, v170, v171
	v_div_fmas_f32 v168, v168, v169, v170
	s_delay_alu instid0(VALU_DEP_1) | instskip(NEXT) | instid1(VALU_DEP_1)
	v_div_fixup_f32 v168, v168, v167, v166
	v_fmac_f32_e32 v167, v166, v168
	s_delay_alu instid0(VALU_DEP_1) | instskip(SKIP_1) | instid1(VALU_DEP_2)
	v_div_scale_f32 v166, null, v167, v167, 1.0
	v_div_scale_f32 v171, vcc_lo, 1.0, v167, 1.0
	v_rcp_f32_e32 v169, v166
	v_nop
	s_delay_alu instid0(TRANS32_DEP_1) | instskip(NEXT) | instid1(VALU_DEP_1)
	v_fma_f32 v170, -v166, v169, 1.0
	v_fmac_f32_e32 v169, v170, v169
	s_delay_alu instid0(VALU_DEP_1) | instskip(NEXT) | instid1(VALU_DEP_1)
	v_mul_f32_e32 v170, v171, v169
	v_fma_f32 v180, -v166, v170, v171
	s_delay_alu instid0(VALU_DEP_1) | instskip(NEXT) | instid1(VALU_DEP_1)
	v_fmac_f32_e32 v170, v180, v169
	v_fma_f32 v166, -v166, v170, v171
	s_delay_alu instid0(VALU_DEP_1) | instskip(NEXT) | instid1(VALU_DEP_1)
	v_div_fmas_f32 v166, v166, v169, v170
	v_div_fixup_f32 v166, v166, v167, 1.0
	s_delay_alu instid0(VALU_DEP_1)
	v_mul_f32_e32 v168, v168, v166
	v_xor_b32_e32 v169, 0x80000000, v166
                                        ; implicit-def: $vgpr166_vgpr167
.LBB117_455:
	s_and_not1_saveexec_b32 s1, s1
	s_cbranch_execz .LBB117_457
; %bb.456:
	v_div_scale_f32 v168, null, v166, v166, v167
	v_div_scale_f32 v171, vcc_lo, v167, v166, v167
	s_delay_alu instid0(VALU_DEP_2) | instskip(SKIP_1) | instid1(TRANS32_DEP_1)
	v_rcp_f32_e32 v169, v168
	v_nop
	v_fma_f32 v170, -v168, v169, 1.0
	s_delay_alu instid0(VALU_DEP_1) | instskip(NEXT) | instid1(VALU_DEP_1)
	v_fmac_f32_e32 v169, v170, v169
	v_mul_f32_e32 v170, v171, v169
	s_delay_alu instid0(VALU_DEP_1) | instskip(NEXT) | instid1(VALU_DEP_1)
	v_fma_f32 v180, -v168, v170, v171
	v_fmac_f32_e32 v170, v180, v169
	s_delay_alu instid0(VALU_DEP_1) | instskip(NEXT) | instid1(VALU_DEP_1)
	v_fma_f32 v168, -v168, v170, v171
	v_div_fmas_f32 v168, v168, v169, v170
	s_delay_alu instid0(VALU_DEP_1) | instskip(NEXT) | instid1(VALU_DEP_1)
	v_div_fixup_f32 v169, v168, v166, v167
	v_fmac_f32_e32 v166, v167, v169
	s_delay_alu instid0(VALU_DEP_1) | instskip(NEXT) | instid1(VALU_DEP_1)
	v_div_scale_f32 v167, null, v166, v166, 1.0
	v_rcp_f32_e32 v168, v167
	v_nop
	s_delay_alu instid0(TRANS32_DEP_1) | instskip(NEXT) | instid1(VALU_DEP_1)
	v_fma_f32 v170, -v167, v168, 1.0
	v_fmac_f32_e32 v168, v170, v168
	v_div_scale_f32 v170, vcc_lo, 1.0, v166, 1.0
	s_delay_alu instid0(VALU_DEP_1) | instskip(NEXT) | instid1(VALU_DEP_1)
	v_mul_f32_e32 v171, v170, v168
	v_fma_f32 v180, -v167, v171, v170
	s_delay_alu instid0(VALU_DEP_1) | instskip(NEXT) | instid1(VALU_DEP_1)
	v_fmac_f32_e32 v171, v180, v168
	v_fma_f32 v167, -v167, v171, v170
	s_delay_alu instid0(VALU_DEP_1) | instskip(NEXT) | instid1(VALU_DEP_1)
	v_div_fmas_f32 v167, v167, v168, v171
	v_div_fixup_f32 v168, v167, v166, 1.0
	s_delay_alu instid0(VALU_DEP_1)
	v_mul_f32_e64 v169, v169, -v168
.LBB117_457:
	s_or_b32 exec_lo, exec_lo, s1
	ds_store_b64 v201, v[168:169]
.LBB117_458:
	s_or_b32 exec_lo, exec_lo, s2
	s_wait_dscnt 0x0
	s_barrier_signal -1
	s_barrier_wait -1
	ds_load_b64 v[166:167], v201
	s_mov_b32 s1, exec_lo
	v_cmpx_lt_u32_e32 50, v200
	s_cbranch_execz .LBB117_460
; %bb.459:
	ds_load_2addr_b64 v[180:183], v202 offset0:51 offset1:52
	s_wait_dscnt 0x1
	v_pk_mul_f32 v[170:171], v[166:167], v[210:211] op_sel:[1,1] op_sel_hi:[0,1]
	s_delay_alu instid0(VALU_DEP_1) | instskip(SKIP_1) | instid1(VALU_DEP_1)
	v_pk_fma_f32 v[168:169], v[166:167], v[210:211], v[170:171] op_sel_hi:[1,0,1] neg_lo:[0,0,1] neg_hi:[0,0,1]
	v_pk_fma_f32 v[170:171], v[166:167], v[210:211], v[170:171] op_sel_hi:[1,0,1]
	v_dual_mov_b32 v210, v168 :: v_dual_mov_b32 v211, v171
	s_wait_dscnt 0x0
	s_delay_alu instid0(VALU_DEP_2) | instskip(NEXT) | instid1(VALU_DEP_1)
	v_pk_mul_f32 v[184:185], v[180:181], v[170:171] op_sel:[0,1]
	v_pk_fma_f32 v[186:187], v[180:181], v[168:169], v[184:185] op_sel:[0,0,1] op_sel_hi:[1,1,0] neg_lo:[0,0,1] neg_hi:[0,0,1]
	v_pk_fma_f32 v[180:181], v[180:181], v[168:169], v[184:185] op_sel:[0,0,1] op_sel_hi:[1,0,0]
	s_delay_alu instid0(VALU_DEP_1) | instskip(SKIP_1) | instid1(VALU_DEP_1)
	v_mov_b32_e32 v187, v181
	v_pk_mul_f32 v[180:181], v[182:183], v[170:171] op_sel:[0,1]
	v_pk_fma_f32 v[184:185], v[182:183], v[168:169], v[180:181] op_sel:[0,0,1] op_sel_hi:[1,1,0] neg_lo:[0,0,1] neg_hi:[0,0,1]
	v_pk_fma_f32 v[180:181], v[182:183], v[168:169], v[180:181] op_sel:[0,0,1] op_sel_hi:[1,0,0]
	s_delay_alu instid0(VALU_DEP_1)
	v_mov_b32_e32 v185, v181
	ds_load_2addr_b64 v[180:183], v202 offset0:53 offset1:54
	v_pk_add_f32 v[206:207], v[206:207], v[186:187] neg_lo:[0,1] neg_hi:[0,1]
	v_pk_add_f32 v[232:233], v[232:233], v[184:185] neg_lo:[0,1] neg_hi:[0,1]
	s_wait_dscnt 0x0
	v_pk_mul_f32 v[184:185], v[180:181], v[170:171] op_sel:[0,1]
	s_delay_alu instid0(VALU_DEP_1) | instskip(SKIP_2) | instid1(VALU_DEP_2)
	v_pk_fma_f32 v[186:187], v[180:181], v[168:169], v[184:185] op_sel:[0,0,1] op_sel_hi:[1,1,0] neg_lo:[0,0,1] neg_hi:[0,0,1]
	v_pk_fma_f32 v[180:181], v[180:181], v[168:169], v[184:185] op_sel:[0,0,1] op_sel_hi:[1,0,0]
	v_dual_mul_f32 v184, v183, v171 :: v_dual_mov_b32 v180, v183
	v_dual_mov_b32 v187, v181 :: v_dual_mov_b32 v181, v182
	s_delay_alu instid0(VALU_DEP_2) | instskip(SKIP_1) | instid1(VALU_DEP_3)
	v_pk_fma_f32 v[184:185], v[182:183], v[210:211], v[184:185] op_sel_hi:[1,1,0] neg_lo:[0,0,1] neg_hi:[0,0,1]
	v_mul_f32_e32 v182, v183, v168
	v_pk_add_f32 v[226:227], v[226:227], v[186:187] neg_lo:[0,1] neg_hi:[0,1]
	s_delay_alu instid0(VALU_DEP_2) | instskip(NEXT) | instid1(VALU_DEP_1)
	v_pk_fma_f32 v[180:181], v[180:181], v[210:211], v[182:183] op_sel_hi:[1,1,0]
	v_mov_b32_e32 v185, v181
	ds_load_2addr_b64 v[180:183], v202 offset0:55 offset1:56
	v_pk_add_f32 v[230:231], v[230:231], v[184:185] neg_lo:[0,1] neg_hi:[0,1]
	s_wait_dscnt 0x0
	v_pk_mul_f32 v[184:185], v[180:181], v[170:171] op_sel:[0,1]
	s_delay_alu instid0(VALU_DEP_1) | instskip(SKIP_1) | instid1(VALU_DEP_1)
	v_pk_fma_f32 v[186:187], v[180:181], v[168:169], v[184:185] op_sel:[0,0,1] op_sel_hi:[1,1,0] neg_lo:[0,0,1] neg_hi:[0,0,1]
	v_pk_fma_f32 v[180:181], v[180:181], v[168:169], v[184:185] op_sel:[0,0,1] op_sel_hi:[1,0,0]
	v_mov_b32_e32 v187, v181
	v_pk_mul_f32 v[180:181], v[182:183], v[170:171] op_sel:[0,1]
	s_delay_alu instid0(VALU_DEP_1) | instskip(SKIP_1) | instid1(VALU_DEP_1)
	v_pk_fma_f32 v[184:185], v[182:183], v[168:169], v[180:181] op_sel:[0,0,1] op_sel_hi:[1,1,0] neg_lo:[0,0,1] neg_hi:[0,0,1]
	v_pk_fma_f32 v[180:181], v[182:183], v[168:169], v[180:181] op_sel:[0,0,1] op_sel_hi:[1,0,0]
	v_mov_b32_e32 v185, v181
	ds_load_2addr_b64 v[180:183], v202 offset0:57 offset1:58
	v_pk_add_f32 v[224:225], v[224:225], v[186:187] neg_lo:[0,1] neg_hi:[0,1]
	v_pk_add_f32 v[228:229], v[228:229], v[184:185] neg_lo:[0,1] neg_hi:[0,1]
	s_wait_dscnt 0x0
	v_pk_mul_f32 v[184:185], v[180:181], v[170:171] op_sel:[0,1]
	v_pk_mul_f32 v[170:171], v[182:183], v[170:171] op_sel:[0,1]
	s_delay_alu instid0(VALU_DEP_2) | instskip(SKIP_1) | instid1(VALU_DEP_1)
	v_pk_fma_f32 v[186:187], v[180:181], v[168:169], v[184:185] op_sel:[0,0,1] op_sel_hi:[1,1,0] neg_lo:[0,0,1] neg_hi:[0,0,1]
	v_pk_fma_f32 v[180:181], v[180:181], v[168:169], v[184:185] op_sel:[0,0,1] op_sel_hi:[1,0,0]
	v_mov_b32_e32 v187, v181
	s_delay_alu instid0(VALU_DEP_4) | instskip(SKIP_1) | instid1(VALU_DEP_1)
	v_pk_fma_f32 v[180:181], v[182:183], v[168:169], v[170:171] op_sel:[0,0,1] op_sel_hi:[1,1,0] neg_lo:[0,0,1] neg_hi:[0,0,1]
	v_pk_fma_f32 v[168:169], v[182:183], v[168:169], v[170:171] op_sel:[0,0,1] op_sel_hi:[1,0,0]
	v_mov_b32_e32 v181, v169
	s_delay_alu instid0(VALU_DEP_4) | instskip(NEXT) | instid1(VALU_DEP_2)
	v_pk_add_f32 v[234:235], v[234:235], v[186:187] neg_lo:[0,1] neg_hi:[0,1]
	v_pk_add_f32 v[236:237], v[236:237], v[180:181] neg_lo:[0,1] neg_hi:[0,1]
.LBB117_460:
	s_or_b32 exec_lo, exec_lo, s1
	s_delay_alu instid0(SALU_CYCLE_1)
	s_mov_b32 s2, exec_lo
	s_wait_dscnt 0x0
	s_barrier_signal -1
	s_barrier_wait -1
	v_cmpx_eq_u32_e32 51, v200
	s_cbranch_execz .LBB117_467
; %bb.461:
	v_dual_mov_b32 v168, v232 :: v_dual_mov_b32 v169, v233
	v_dual_mov_b32 v170, v226 :: v_dual_mov_b32 v171, v227
	ds_store_b64 v201, v[206:207]
	ds_store_2addr_b64 v202, v[168:169], v[170:171] offset0:52 offset1:53
	v_dual_mov_b32 v168, v230 :: v_dual_mov_b32 v169, v231
	v_dual_mov_b32 v170, v224 :: v_dual_mov_b32 v171, v225
	ds_store_2addr_b64 v202, v[168:169], v[170:171] offset0:54 offset1:55
	v_dual_mov_b32 v168, v228 :: v_dual_mov_b32 v169, v229
	v_dual_mov_b32 v170, v234 :: v_dual_mov_b32 v171, v235
	ds_store_2addr_b64 v202, v[168:169], v[170:171] offset0:56 offset1:57
	ds_store_b64 v202, v[236:237] offset:464
	ds_load_b64 v[168:169], v201
	s_wait_dscnt 0x0
	v_cmp_neq_f32_e32 vcc_lo, 0, v168
	v_cmp_neq_f32_e64 s1, 0, v169
	s_or_b32 s1, vcc_lo, s1
	s_delay_alu instid0(SALU_CYCLE_1)
	s_and_b32 exec_lo, exec_lo, s1
	s_cbranch_execz .LBB117_467
; %bb.462:
	v_cmp_ngt_f32_e64 s1, |v168|, |v169|
                                        ; implicit-def: $vgpr170_vgpr171
	s_and_saveexec_b32 s4, s1
	s_delay_alu instid0(SALU_CYCLE_1)
	s_xor_b32 s1, exec_lo, s4
	s_cbranch_execz .LBB117_464
; %bb.463:
	v_div_scale_f32 v170, null, v169, v169, v168
	v_div_scale_f32 v181, vcc_lo, v168, v169, v168
	s_delay_alu instid0(VALU_DEP_2) | instskip(SKIP_1) | instid1(TRANS32_DEP_1)
	v_rcp_f32_e32 v171, v170
	v_nop
	v_fma_f32 v180, -v170, v171, 1.0
	s_delay_alu instid0(VALU_DEP_1) | instskip(NEXT) | instid1(VALU_DEP_1)
	v_fmac_f32_e32 v171, v180, v171
	v_mul_f32_e32 v180, v181, v171
	s_delay_alu instid0(VALU_DEP_1) | instskip(NEXT) | instid1(VALU_DEP_1)
	v_fma_f32 v182, -v170, v180, v181
	v_fmac_f32_e32 v180, v182, v171
	s_delay_alu instid0(VALU_DEP_1) | instskip(NEXT) | instid1(VALU_DEP_1)
	v_fma_f32 v170, -v170, v180, v181
	v_div_fmas_f32 v170, v170, v171, v180
	s_delay_alu instid0(VALU_DEP_1) | instskip(NEXT) | instid1(VALU_DEP_1)
	v_div_fixup_f32 v170, v170, v169, v168
	v_fmac_f32_e32 v169, v168, v170
	s_delay_alu instid0(VALU_DEP_1) | instskip(SKIP_1) | instid1(VALU_DEP_2)
	v_div_scale_f32 v168, null, v169, v169, 1.0
	v_div_scale_f32 v181, vcc_lo, 1.0, v169, 1.0
	v_rcp_f32_e32 v171, v168
	v_nop
	s_delay_alu instid0(TRANS32_DEP_1) | instskip(NEXT) | instid1(VALU_DEP_1)
	v_fma_f32 v180, -v168, v171, 1.0
	v_fmac_f32_e32 v171, v180, v171
	s_delay_alu instid0(VALU_DEP_1) | instskip(NEXT) | instid1(VALU_DEP_1)
	v_mul_f32_e32 v180, v181, v171
	v_fma_f32 v182, -v168, v180, v181
	s_delay_alu instid0(VALU_DEP_1) | instskip(NEXT) | instid1(VALU_DEP_1)
	v_fmac_f32_e32 v180, v182, v171
	v_fma_f32 v168, -v168, v180, v181
	s_delay_alu instid0(VALU_DEP_1) | instskip(NEXT) | instid1(VALU_DEP_1)
	v_div_fmas_f32 v168, v168, v171, v180
	v_div_fixup_f32 v168, v168, v169, 1.0
	s_delay_alu instid0(VALU_DEP_1)
	v_mul_f32_e32 v170, v170, v168
	v_xor_b32_e32 v171, 0x80000000, v168
                                        ; implicit-def: $vgpr168_vgpr169
.LBB117_464:
	s_and_not1_saveexec_b32 s1, s1
	s_cbranch_execz .LBB117_466
; %bb.465:
	v_div_scale_f32 v170, null, v168, v168, v169
	v_div_scale_f32 v181, vcc_lo, v169, v168, v169
	s_delay_alu instid0(VALU_DEP_2) | instskip(SKIP_1) | instid1(TRANS32_DEP_1)
	v_rcp_f32_e32 v171, v170
	v_nop
	v_fma_f32 v180, -v170, v171, 1.0
	s_delay_alu instid0(VALU_DEP_1) | instskip(NEXT) | instid1(VALU_DEP_1)
	v_fmac_f32_e32 v171, v180, v171
	v_mul_f32_e32 v180, v181, v171
	s_delay_alu instid0(VALU_DEP_1) | instskip(NEXT) | instid1(VALU_DEP_1)
	v_fma_f32 v182, -v170, v180, v181
	v_fmac_f32_e32 v180, v182, v171
	s_delay_alu instid0(VALU_DEP_1) | instskip(NEXT) | instid1(VALU_DEP_1)
	v_fma_f32 v170, -v170, v180, v181
	v_div_fmas_f32 v170, v170, v171, v180
	s_delay_alu instid0(VALU_DEP_1) | instskip(NEXT) | instid1(VALU_DEP_1)
	v_div_fixup_f32 v171, v170, v168, v169
	v_fmac_f32_e32 v168, v169, v171
	s_delay_alu instid0(VALU_DEP_1) | instskip(NEXT) | instid1(VALU_DEP_1)
	v_div_scale_f32 v169, null, v168, v168, 1.0
	v_rcp_f32_e32 v170, v169
	v_nop
	s_delay_alu instid0(TRANS32_DEP_1) | instskip(NEXT) | instid1(VALU_DEP_1)
	v_fma_f32 v180, -v169, v170, 1.0
	v_fmac_f32_e32 v170, v180, v170
	v_div_scale_f32 v180, vcc_lo, 1.0, v168, 1.0
	s_delay_alu instid0(VALU_DEP_1) | instskip(NEXT) | instid1(VALU_DEP_1)
	v_mul_f32_e32 v181, v180, v170
	v_fma_f32 v182, -v169, v181, v180
	s_delay_alu instid0(VALU_DEP_1) | instskip(NEXT) | instid1(VALU_DEP_1)
	v_fmac_f32_e32 v181, v182, v170
	v_fma_f32 v169, -v169, v181, v180
	s_delay_alu instid0(VALU_DEP_1) | instskip(NEXT) | instid1(VALU_DEP_1)
	v_div_fmas_f32 v169, v169, v170, v181
	v_div_fixup_f32 v170, v169, v168, 1.0
	s_delay_alu instid0(VALU_DEP_1)
	v_mul_f32_e64 v171, v171, -v170
.LBB117_466:
	s_or_b32 exec_lo, exec_lo, s1
	ds_store_b64 v201, v[170:171]
.LBB117_467:
	s_or_b32 exec_lo, exec_lo, s2
	s_wait_dscnt 0x0
	s_barrier_signal -1
	s_barrier_wait -1
	ds_load_b64 v[168:169], v201
	s_mov_b32 s1, exec_lo
	v_cmpx_lt_u32_e32 51, v200
	s_cbranch_execz .LBB117_469
; %bb.468:
	s_wait_dscnt 0x0
	v_pk_mul_f32 v[180:181], v[168:169], v[206:207] op_sel:[1,1] op_sel_hi:[0,1]
	s_delay_alu instid0(VALU_DEP_1)
	v_pk_fma_f32 v[170:171], v[168:169], v[206:207], v[180:181] op_sel_hi:[1,0,1] neg_lo:[0,0,1] neg_hi:[0,0,1]
	v_pk_fma_f32 v[184:185], v[168:169], v[206:207], v[180:181] op_sel_hi:[1,0,1]
	ds_load_2addr_b64 v[180:183], v202 offset0:52 offset1:53
	v_dual_mov_b32 v206, v170 :: v_dual_mov_b32 v207, v185
	s_wait_dscnt 0x0
	v_pk_mul_f32 v[186:187], v[180:181], v[184:185] op_sel:[0,1]
	s_delay_alu instid0(VALU_DEP_1) | instskip(SKIP_1) | instid1(VALU_DEP_1)
	v_pk_fma_f32 v[196:197], v[180:181], v[170:171], v[186:187] op_sel:[0,0,1] op_sel_hi:[1,1,0] neg_lo:[0,0,1] neg_hi:[0,0,1]
	v_pk_fma_f32 v[180:181], v[180:181], v[170:171], v[186:187] op_sel:[0,0,1] op_sel_hi:[1,0,0]
	v_mov_b32_e32 v197, v181
	v_pk_mul_f32 v[180:181], v[182:183], v[184:185] op_sel:[0,1]
	s_delay_alu instid0(VALU_DEP_1) | instskip(SKIP_1) | instid1(VALU_DEP_1)
	v_pk_fma_f32 v[186:187], v[182:183], v[170:171], v[180:181] op_sel:[0,0,1] op_sel_hi:[1,1,0] neg_lo:[0,0,1] neg_hi:[0,0,1]
	v_pk_fma_f32 v[180:181], v[182:183], v[170:171], v[180:181] op_sel:[0,0,1] op_sel_hi:[1,0,0]
	v_mov_b32_e32 v187, v181
	ds_load_2addr_b64 v[180:183], v202 offset0:54 offset1:55
	v_pk_add_f32 v[232:233], v[232:233], v[196:197] neg_lo:[0,1] neg_hi:[0,1]
	v_pk_add_f32 v[226:227], v[226:227], v[186:187] neg_lo:[0,1] neg_hi:[0,1]
	s_wait_dscnt 0x0
	v_pk_mul_f32 v[186:187], v[180:181], v[184:185] op_sel:[0,1]
	s_delay_alu instid0(VALU_DEP_1) | instskip(SKIP_2) | instid1(VALU_DEP_2)
	v_pk_fma_f32 v[196:197], v[180:181], v[170:171], v[186:187] op_sel:[0,0,1] op_sel_hi:[1,1,0] neg_lo:[0,0,1] neg_hi:[0,0,1]
	v_pk_fma_f32 v[180:181], v[180:181], v[170:171], v[186:187] op_sel:[0,0,1] op_sel_hi:[1,0,0]
	v_dual_mul_f32 v186, v183, v185 :: v_dual_mov_b32 v180, v183
	v_dual_mov_b32 v197, v181 :: v_dual_mov_b32 v181, v182
	s_delay_alu instid0(VALU_DEP_2) | instskip(SKIP_1) | instid1(VALU_DEP_3)
	v_pk_fma_f32 v[186:187], v[182:183], v[206:207], v[186:187] op_sel_hi:[1,1,0] neg_lo:[0,0,1] neg_hi:[0,0,1]
	v_mul_f32_e32 v182, v183, v170
	v_pk_add_f32 v[230:231], v[230:231], v[196:197] neg_lo:[0,1] neg_hi:[0,1]
	s_delay_alu instid0(VALU_DEP_2) | instskip(NEXT) | instid1(VALU_DEP_1)
	v_pk_fma_f32 v[180:181], v[180:181], v[206:207], v[182:183] op_sel_hi:[1,1,0]
	v_mov_b32_e32 v187, v181
	ds_load_2addr_b64 v[180:183], v202 offset0:56 offset1:57
	v_pk_add_f32 v[224:225], v[224:225], v[186:187] neg_lo:[0,1] neg_hi:[0,1]
	s_wait_dscnt 0x0
	v_pk_mul_f32 v[186:187], v[180:181], v[184:185] op_sel:[0,1]
	s_delay_alu instid0(VALU_DEP_1) | instskip(SKIP_1) | instid1(VALU_DEP_1)
	v_pk_fma_f32 v[196:197], v[180:181], v[170:171], v[186:187] op_sel:[0,0,1] op_sel_hi:[1,1,0] neg_lo:[0,0,1] neg_hi:[0,0,1]
	v_pk_fma_f32 v[180:181], v[180:181], v[170:171], v[186:187] op_sel:[0,0,1] op_sel_hi:[1,0,0]
	v_mov_b32_e32 v197, v181
	v_pk_mul_f32 v[180:181], v[182:183], v[184:185] op_sel:[0,1]
	s_delay_alu instid0(VALU_DEP_1) | instskip(SKIP_1) | instid1(VALU_DEP_1)
	v_pk_fma_f32 v[186:187], v[182:183], v[170:171], v[180:181] op_sel:[0,0,1] op_sel_hi:[1,1,0] neg_lo:[0,0,1] neg_hi:[0,0,1]
	v_pk_fma_f32 v[180:181], v[182:183], v[170:171], v[180:181] op_sel:[0,0,1] op_sel_hi:[1,0,0]
	v_mov_b32_e32 v187, v181
	ds_load_b64 v[180:181], v202 offset:464
	v_pk_add_f32 v[228:229], v[228:229], v[196:197] neg_lo:[0,1] neg_hi:[0,1]
	v_pk_add_f32 v[234:235], v[234:235], v[186:187] neg_lo:[0,1] neg_hi:[0,1]
	s_wait_dscnt 0x0
	v_pk_mul_f32 v[182:183], v[180:181], v[184:185] op_sel:[0,1]
	s_delay_alu instid0(VALU_DEP_1) | instskip(SKIP_1) | instid1(VALU_DEP_1)
	v_pk_fma_f32 v[184:185], v[180:181], v[170:171], v[182:183] op_sel:[0,0,1] op_sel_hi:[1,1,0] neg_lo:[0,0,1] neg_hi:[0,0,1]
	v_pk_fma_f32 v[170:171], v[180:181], v[170:171], v[182:183] op_sel:[0,0,1] op_sel_hi:[1,0,0]
	v_mov_b32_e32 v185, v171
	s_delay_alu instid0(VALU_DEP_1)
	v_pk_add_f32 v[236:237], v[236:237], v[184:185] neg_lo:[0,1] neg_hi:[0,1]
.LBB117_469:
	s_or_b32 exec_lo, exec_lo, s1
	s_delay_alu instid0(SALU_CYCLE_1)
	s_mov_b32 s2, exec_lo
	s_wait_dscnt 0x0
	s_barrier_signal -1
	s_barrier_wait -1
	v_cmpx_eq_u32_e32 52, v200
	s_cbranch_execz .LBB117_476
; %bb.470:
	ds_store_b64 v201, v[232:233]
	ds_store_2addr_b64 v202, v[226:227], v[230:231] offset0:53 offset1:54
	ds_store_2addr_b64 v202, v[224:225], v[228:229] offset0:55 offset1:56
	;; [unrolled: 1-line block ×3, first 2 shown]
	ds_load_b64 v[170:171], v201
	s_wait_dscnt 0x0
	v_cmp_neq_f32_e32 vcc_lo, 0, v170
	v_cmp_neq_f32_e64 s1, 0, v171
	s_or_b32 s1, vcc_lo, s1
	s_delay_alu instid0(SALU_CYCLE_1)
	s_and_b32 exec_lo, exec_lo, s1
	s_cbranch_execz .LBB117_476
; %bb.471:
	v_cmp_ngt_f32_e64 s1, |v170|, |v171|
                                        ; implicit-def: $vgpr180_vgpr181
	s_and_saveexec_b32 s4, s1
	s_delay_alu instid0(SALU_CYCLE_1)
	s_xor_b32 s1, exec_lo, s4
	s_cbranch_execz .LBB117_473
; %bb.472:
	v_div_scale_f32 v180, null, v171, v171, v170
	v_div_scale_f32 v183, vcc_lo, v170, v171, v170
	s_delay_alu instid0(VALU_DEP_2) | instskip(SKIP_1) | instid1(TRANS32_DEP_1)
	v_rcp_f32_e32 v181, v180
	v_nop
	v_fma_f32 v182, -v180, v181, 1.0
	s_delay_alu instid0(VALU_DEP_1) | instskip(NEXT) | instid1(VALU_DEP_1)
	v_fmac_f32_e32 v181, v182, v181
	v_mul_f32_e32 v182, v183, v181
	s_delay_alu instid0(VALU_DEP_1) | instskip(NEXT) | instid1(VALU_DEP_1)
	v_fma_f32 v184, -v180, v182, v183
	v_fmac_f32_e32 v182, v184, v181
	s_delay_alu instid0(VALU_DEP_1) | instskip(NEXT) | instid1(VALU_DEP_1)
	v_fma_f32 v180, -v180, v182, v183
	v_div_fmas_f32 v180, v180, v181, v182
	s_delay_alu instid0(VALU_DEP_1) | instskip(NEXT) | instid1(VALU_DEP_1)
	v_div_fixup_f32 v180, v180, v171, v170
	v_fmac_f32_e32 v171, v170, v180
	s_delay_alu instid0(VALU_DEP_1) | instskip(SKIP_1) | instid1(VALU_DEP_2)
	v_div_scale_f32 v170, null, v171, v171, 1.0
	v_div_scale_f32 v183, vcc_lo, 1.0, v171, 1.0
	v_rcp_f32_e32 v181, v170
	v_nop
	s_delay_alu instid0(TRANS32_DEP_1) | instskip(NEXT) | instid1(VALU_DEP_1)
	v_fma_f32 v182, -v170, v181, 1.0
	v_fmac_f32_e32 v181, v182, v181
	s_delay_alu instid0(VALU_DEP_1) | instskip(NEXT) | instid1(VALU_DEP_1)
	v_mul_f32_e32 v182, v183, v181
	v_fma_f32 v184, -v170, v182, v183
	s_delay_alu instid0(VALU_DEP_1) | instskip(NEXT) | instid1(VALU_DEP_1)
	v_fmac_f32_e32 v182, v184, v181
	v_fma_f32 v170, -v170, v182, v183
	s_delay_alu instid0(VALU_DEP_1) | instskip(NEXT) | instid1(VALU_DEP_1)
	v_div_fmas_f32 v170, v170, v181, v182
	v_div_fixup_f32 v170, v170, v171, 1.0
	s_delay_alu instid0(VALU_DEP_1)
	v_mul_f32_e32 v180, v180, v170
	v_xor_b32_e32 v181, 0x80000000, v170
                                        ; implicit-def: $vgpr170_vgpr171
.LBB117_473:
	s_and_not1_saveexec_b32 s1, s1
	s_cbranch_execz .LBB117_475
; %bb.474:
	v_div_scale_f32 v180, null, v170, v170, v171
	v_div_scale_f32 v183, vcc_lo, v171, v170, v171
	s_delay_alu instid0(VALU_DEP_2) | instskip(SKIP_1) | instid1(TRANS32_DEP_1)
	v_rcp_f32_e32 v181, v180
	v_nop
	v_fma_f32 v182, -v180, v181, 1.0
	s_delay_alu instid0(VALU_DEP_1) | instskip(NEXT) | instid1(VALU_DEP_1)
	v_fmac_f32_e32 v181, v182, v181
	v_mul_f32_e32 v182, v183, v181
	s_delay_alu instid0(VALU_DEP_1) | instskip(NEXT) | instid1(VALU_DEP_1)
	v_fma_f32 v184, -v180, v182, v183
	v_fmac_f32_e32 v182, v184, v181
	s_delay_alu instid0(VALU_DEP_1) | instskip(NEXT) | instid1(VALU_DEP_1)
	v_fma_f32 v180, -v180, v182, v183
	v_div_fmas_f32 v180, v180, v181, v182
	s_delay_alu instid0(VALU_DEP_1) | instskip(NEXT) | instid1(VALU_DEP_1)
	v_div_fixup_f32 v181, v180, v170, v171
	v_fmac_f32_e32 v170, v171, v181
	s_delay_alu instid0(VALU_DEP_1) | instskip(NEXT) | instid1(VALU_DEP_1)
	v_div_scale_f32 v171, null, v170, v170, 1.0
	v_rcp_f32_e32 v180, v171
	v_nop
	s_delay_alu instid0(TRANS32_DEP_1) | instskip(NEXT) | instid1(VALU_DEP_1)
	v_fma_f32 v182, -v171, v180, 1.0
	v_fmac_f32_e32 v180, v182, v180
	v_div_scale_f32 v182, vcc_lo, 1.0, v170, 1.0
	s_delay_alu instid0(VALU_DEP_1) | instskip(NEXT) | instid1(VALU_DEP_1)
	v_mul_f32_e32 v183, v182, v180
	v_fma_f32 v184, -v171, v183, v182
	s_delay_alu instid0(VALU_DEP_1) | instskip(NEXT) | instid1(VALU_DEP_1)
	v_fmac_f32_e32 v183, v184, v180
	v_fma_f32 v171, -v171, v183, v182
	s_delay_alu instid0(VALU_DEP_1) | instskip(NEXT) | instid1(VALU_DEP_1)
	v_div_fmas_f32 v171, v171, v180, v183
	v_div_fixup_f32 v180, v171, v170, 1.0
	s_delay_alu instid0(VALU_DEP_1)
	v_mul_f32_e64 v181, v181, -v180
.LBB117_475:
	s_or_b32 exec_lo, exec_lo, s1
	ds_store_b64 v201, v[180:181]
.LBB117_476:
	s_or_b32 exec_lo, exec_lo, s2
	s_wait_dscnt 0x0
	s_barrier_signal -1
	s_barrier_wait -1
	ds_load_b64 v[170:171], v201
	s_mov_b32 s1, exec_lo
	v_cmpx_lt_u32_e32 52, v200
	s_cbranch_execz .LBB117_478
; %bb.477:
	s_wait_dscnt 0x0
	v_pk_mul_f32 v[180:181], v[170:171], v[232:233] op_sel:[1,1] op_sel_hi:[0,1]
	s_delay_alu instid0(VALU_DEP_1)
	v_pk_fma_f32 v[184:185], v[170:171], v[232:233], v[180:181] op_sel_hi:[1,0,1] neg_lo:[0,0,1] neg_hi:[0,0,1]
	v_pk_fma_f32 v[186:187], v[170:171], v[232:233], v[180:181] op_sel_hi:[1,0,1]
	ds_load_2addr_b64 v[180:183], v202 offset0:53 offset1:54
	v_dual_mov_b32 v232, v184 :: v_dual_mov_b32 v233, v187
	s_wait_dscnt 0x0
	v_pk_mul_f32 v[196:197], v[180:181], v[186:187] op_sel:[0,1]
	s_delay_alu instid0(VALU_DEP_1) | instskip(SKIP_1) | instid1(VALU_DEP_1)
	v_pk_fma_f32 v[198:199], v[180:181], v[184:185], v[196:197] op_sel:[0,0,1] op_sel_hi:[1,1,0] neg_lo:[0,0,1] neg_hi:[0,0,1]
	v_pk_fma_f32 v[180:181], v[180:181], v[184:185], v[196:197] op_sel:[0,0,1] op_sel_hi:[1,0,0]
	v_mov_b32_e32 v199, v181
	v_pk_mul_f32 v[180:181], v[182:183], v[186:187] op_sel:[0,1]
	s_delay_alu instid0(VALU_DEP_1) | instskip(SKIP_1) | instid1(VALU_DEP_1)
	v_pk_fma_f32 v[196:197], v[182:183], v[184:185], v[180:181] op_sel:[0,0,1] op_sel_hi:[1,1,0] neg_lo:[0,0,1] neg_hi:[0,0,1]
	v_pk_fma_f32 v[180:181], v[182:183], v[184:185], v[180:181] op_sel:[0,0,1] op_sel_hi:[1,0,0]
	v_mov_b32_e32 v197, v181
	ds_load_2addr_b64 v[180:183], v202 offset0:55 offset1:56
	v_pk_add_f32 v[226:227], v[226:227], v[198:199] neg_lo:[0,1] neg_hi:[0,1]
	v_pk_add_f32 v[230:231], v[230:231], v[196:197] neg_lo:[0,1] neg_hi:[0,1]
	s_wait_dscnt 0x0
	v_pk_mul_f32 v[196:197], v[180:181], v[186:187] op_sel:[0,1]
	s_delay_alu instid0(VALU_DEP_1) | instskip(SKIP_2) | instid1(VALU_DEP_2)
	v_pk_fma_f32 v[198:199], v[180:181], v[184:185], v[196:197] op_sel:[0,0,1] op_sel_hi:[1,1,0] neg_lo:[0,0,1] neg_hi:[0,0,1]
	v_pk_fma_f32 v[180:181], v[180:181], v[184:185], v[196:197] op_sel:[0,0,1] op_sel_hi:[1,0,0]
	v_dual_mul_f32 v196, v183, v187 :: v_dual_mov_b32 v180, v183
	v_dual_mov_b32 v199, v181 :: v_dual_mov_b32 v181, v182
	s_delay_alu instid0(VALU_DEP_2) | instskip(SKIP_1) | instid1(VALU_DEP_3)
	v_pk_fma_f32 v[196:197], v[182:183], v[232:233], v[196:197] op_sel_hi:[1,1,0] neg_lo:[0,0,1] neg_hi:[0,0,1]
	v_mul_f32_e32 v182, v183, v184
	v_pk_add_f32 v[224:225], v[224:225], v[198:199] neg_lo:[0,1] neg_hi:[0,1]
	s_delay_alu instid0(VALU_DEP_2) | instskip(NEXT) | instid1(VALU_DEP_1)
	v_pk_fma_f32 v[180:181], v[180:181], v[232:233], v[182:183] op_sel_hi:[1,1,0]
	v_mov_b32_e32 v197, v181
	ds_load_2addr_b64 v[180:183], v202 offset0:57 offset1:58
	v_pk_add_f32 v[228:229], v[228:229], v[196:197] neg_lo:[0,1] neg_hi:[0,1]
	s_wait_dscnt 0x0
	v_pk_mul_f32 v[196:197], v[180:181], v[186:187] op_sel:[0,1]
	v_mul_f32_e32 v186, v183, v187
	s_delay_alu instid0(VALU_DEP_2) | instskip(SKIP_2) | instid1(VALU_DEP_4)
	v_pk_fma_f32 v[198:199], v[180:181], v[184:185], v[196:197] op_sel:[0,0,1] op_sel_hi:[1,1,0] neg_lo:[0,0,1] neg_hi:[0,0,1]
	v_pk_fma_f32 v[180:181], v[180:181], v[184:185], v[196:197] op_sel:[0,0,1] op_sel_hi:[1,0,0]
	v_mov_b32_e32 v180, v183
	v_pk_fma_f32 v[186:187], v[182:183], v[232:233], v[186:187] op_sel_hi:[1,1,0] neg_lo:[0,0,1] neg_hi:[0,0,1]
	s_delay_alu instid0(VALU_DEP_3) | instskip(SKIP_1) | instid1(VALU_DEP_2)
	v_dual_mov_b32 v199, v181 :: v_dual_mov_b32 v181, v182
	v_mul_f32_e32 v182, v183, v184
	v_pk_add_f32 v[234:235], v[234:235], v[198:199] neg_lo:[0,1] neg_hi:[0,1]
	s_delay_alu instid0(VALU_DEP_2) | instskip(NEXT) | instid1(VALU_DEP_1)
	v_pk_fma_f32 v[180:181], v[180:181], v[232:233], v[182:183] op_sel_hi:[1,1,0]
	v_mov_b32_e32 v187, v181
	s_delay_alu instid0(VALU_DEP_1)
	v_pk_add_f32 v[236:237], v[236:237], v[186:187] neg_lo:[0,1] neg_hi:[0,1]
.LBB117_478:
	s_or_b32 exec_lo, exec_lo, s1
	s_delay_alu instid0(SALU_CYCLE_1)
	s_mov_b32 s2, exec_lo
	s_wait_dscnt 0x0
	s_barrier_signal -1
	s_barrier_wait -1
	v_cmpx_eq_u32_e32 53, v200
	s_cbranch_execz .LBB117_485
; %bb.479:
	v_dual_mov_b32 v180, v230 :: v_dual_mov_b32 v181, v231
	v_dual_mov_b32 v182, v224 :: v_dual_mov_b32 v183, v225
	ds_store_b64 v201, v[226:227]
	ds_store_2addr_b64 v202, v[180:181], v[182:183] offset0:54 offset1:55
	v_dual_mov_b32 v180, v228 :: v_dual_mov_b32 v181, v229
	v_dual_mov_b32 v182, v234 :: v_dual_mov_b32 v183, v235
	ds_store_2addr_b64 v202, v[180:181], v[182:183] offset0:56 offset1:57
	ds_store_b64 v202, v[236:237] offset:464
	ds_load_b64 v[180:181], v201
	s_wait_dscnt 0x0
	v_cmp_neq_f32_e32 vcc_lo, 0, v180
	v_cmp_neq_f32_e64 s1, 0, v181
	s_or_b32 s1, vcc_lo, s1
	s_delay_alu instid0(SALU_CYCLE_1)
	s_and_b32 exec_lo, exec_lo, s1
	s_cbranch_execz .LBB117_485
; %bb.480:
	v_cmp_ngt_f32_e64 s1, |v180|, |v181|
                                        ; implicit-def: $vgpr182_vgpr183
	s_and_saveexec_b32 s4, s1
	s_delay_alu instid0(SALU_CYCLE_1)
	s_xor_b32 s1, exec_lo, s4
	s_cbranch_execz .LBB117_482
; %bb.481:
	v_div_scale_f32 v182, null, v181, v181, v180
	v_div_scale_f32 v185, vcc_lo, v180, v181, v180
	s_delay_alu instid0(VALU_DEP_2) | instskip(SKIP_1) | instid1(TRANS32_DEP_1)
	v_rcp_f32_e32 v183, v182
	v_nop
	v_fma_f32 v184, -v182, v183, 1.0
	s_delay_alu instid0(VALU_DEP_1) | instskip(NEXT) | instid1(VALU_DEP_1)
	v_fmac_f32_e32 v183, v184, v183
	v_mul_f32_e32 v184, v185, v183
	s_delay_alu instid0(VALU_DEP_1) | instskip(NEXT) | instid1(VALU_DEP_1)
	v_fma_f32 v186, -v182, v184, v185
	v_fmac_f32_e32 v184, v186, v183
	s_delay_alu instid0(VALU_DEP_1) | instskip(NEXT) | instid1(VALU_DEP_1)
	v_fma_f32 v182, -v182, v184, v185
	v_div_fmas_f32 v182, v182, v183, v184
	s_delay_alu instid0(VALU_DEP_1) | instskip(NEXT) | instid1(VALU_DEP_1)
	v_div_fixup_f32 v182, v182, v181, v180
	v_fmac_f32_e32 v181, v180, v182
	s_delay_alu instid0(VALU_DEP_1) | instskip(SKIP_1) | instid1(VALU_DEP_2)
	v_div_scale_f32 v180, null, v181, v181, 1.0
	v_div_scale_f32 v185, vcc_lo, 1.0, v181, 1.0
	v_rcp_f32_e32 v183, v180
	v_nop
	s_delay_alu instid0(TRANS32_DEP_1) | instskip(NEXT) | instid1(VALU_DEP_1)
	v_fma_f32 v184, -v180, v183, 1.0
	v_fmac_f32_e32 v183, v184, v183
	s_delay_alu instid0(VALU_DEP_1) | instskip(NEXT) | instid1(VALU_DEP_1)
	v_mul_f32_e32 v184, v185, v183
	v_fma_f32 v186, -v180, v184, v185
	s_delay_alu instid0(VALU_DEP_1) | instskip(NEXT) | instid1(VALU_DEP_1)
	v_fmac_f32_e32 v184, v186, v183
	v_fma_f32 v180, -v180, v184, v185
	s_delay_alu instid0(VALU_DEP_1) | instskip(NEXT) | instid1(VALU_DEP_1)
	v_div_fmas_f32 v180, v180, v183, v184
	v_div_fixup_f32 v180, v180, v181, 1.0
	s_delay_alu instid0(VALU_DEP_1)
	v_mul_f32_e32 v182, v182, v180
	v_xor_b32_e32 v183, 0x80000000, v180
                                        ; implicit-def: $vgpr180_vgpr181
.LBB117_482:
	s_and_not1_saveexec_b32 s1, s1
	s_cbranch_execz .LBB117_484
; %bb.483:
	v_div_scale_f32 v182, null, v180, v180, v181
	v_div_scale_f32 v185, vcc_lo, v181, v180, v181
	s_delay_alu instid0(VALU_DEP_2) | instskip(SKIP_1) | instid1(TRANS32_DEP_1)
	v_rcp_f32_e32 v183, v182
	v_nop
	v_fma_f32 v184, -v182, v183, 1.0
	s_delay_alu instid0(VALU_DEP_1) | instskip(NEXT) | instid1(VALU_DEP_1)
	v_fmac_f32_e32 v183, v184, v183
	v_mul_f32_e32 v184, v185, v183
	s_delay_alu instid0(VALU_DEP_1) | instskip(NEXT) | instid1(VALU_DEP_1)
	v_fma_f32 v186, -v182, v184, v185
	v_fmac_f32_e32 v184, v186, v183
	s_delay_alu instid0(VALU_DEP_1) | instskip(NEXT) | instid1(VALU_DEP_1)
	v_fma_f32 v182, -v182, v184, v185
	v_div_fmas_f32 v182, v182, v183, v184
	s_delay_alu instid0(VALU_DEP_1) | instskip(NEXT) | instid1(VALU_DEP_1)
	v_div_fixup_f32 v183, v182, v180, v181
	v_fmac_f32_e32 v180, v181, v183
	s_delay_alu instid0(VALU_DEP_1) | instskip(NEXT) | instid1(VALU_DEP_1)
	v_div_scale_f32 v181, null, v180, v180, 1.0
	v_rcp_f32_e32 v182, v181
	v_nop
	s_delay_alu instid0(TRANS32_DEP_1) | instskip(NEXT) | instid1(VALU_DEP_1)
	v_fma_f32 v184, -v181, v182, 1.0
	v_fmac_f32_e32 v182, v184, v182
	v_div_scale_f32 v184, vcc_lo, 1.0, v180, 1.0
	s_delay_alu instid0(VALU_DEP_1) | instskip(NEXT) | instid1(VALU_DEP_1)
	v_mul_f32_e32 v185, v184, v182
	v_fma_f32 v186, -v181, v185, v184
	s_delay_alu instid0(VALU_DEP_1) | instskip(NEXT) | instid1(VALU_DEP_1)
	v_fmac_f32_e32 v185, v186, v182
	v_fma_f32 v181, -v181, v185, v184
	s_delay_alu instid0(VALU_DEP_1) | instskip(NEXT) | instid1(VALU_DEP_1)
	v_div_fmas_f32 v181, v181, v182, v185
	v_div_fixup_f32 v182, v181, v180, 1.0
	s_delay_alu instid0(VALU_DEP_1)
	v_mul_f32_e64 v183, v183, -v182
.LBB117_484:
	s_or_b32 exec_lo, exec_lo, s1
	ds_store_b64 v201, v[182:183]
.LBB117_485:
	s_or_b32 exec_lo, exec_lo, s2
	s_wait_dscnt 0x0
	s_barrier_signal -1
	s_barrier_wait -1
	ds_load_b64 v[180:181], v201
	s_mov_b32 s1, exec_lo
	v_cmpx_lt_u32_e32 53, v200
	s_cbranch_execz .LBB117_487
; %bb.486:
	s_wait_dscnt 0x0
	v_pk_mul_f32 v[182:183], v[180:181], v[226:227] op_sel:[1,1] op_sel_hi:[0,1]
	s_delay_alu instid0(VALU_DEP_1)
	v_pk_fma_f32 v[186:187], v[180:181], v[226:227], v[182:183] op_sel_hi:[1,0,1] neg_lo:[0,0,1] neg_hi:[0,0,1]
	v_pk_fma_f32 v[196:197], v[180:181], v[226:227], v[182:183] op_sel_hi:[1,0,1]
	ds_load_2addr_b64 v[182:185], v202 offset0:54 offset1:55
	v_dual_mov_b32 v226, v186 :: v_dual_mov_b32 v227, v197
	s_wait_dscnt 0x0
	v_pk_mul_f32 v[198:199], v[182:183], v[196:197] op_sel:[0,1]
	s_delay_alu instid0(VALU_DEP_1) | instskip(SKIP_1) | instid1(VALU_DEP_1)
	v_pk_fma_f32 v[214:215], v[182:183], v[186:187], v[198:199] op_sel:[0,0,1] op_sel_hi:[1,1,0] neg_lo:[0,0,1] neg_hi:[0,0,1]
	v_pk_fma_f32 v[182:183], v[182:183], v[186:187], v[198:199] op_sel:[0,0,1] op_sel_hi:[1,0,0]
	v_mov_b32_e32 v215, v183
	v_pk_mul_f32 v[182:183], v[184:185], v[196:197] op_sel:[0,1]
	s_delay_alu instid0(VALU_DEP_1) | instskip(SKIP_1) | instid1(VALU_DEP_1)
	v_pk_fma_f32 v[198:199], v[184:185], v[186:187], v[182:183] op_sel:[0,0,1] op_sel_hi:[1,1,0] neg_lo:[0,0,1] neg_hi:[0,0,1]
	v_pk_fma_f32 v[182:183], v[184:185], v[186:187], v[182:183] op_sel:[0,0,1] op_sel_hi:[1,0,0]
	v_mov_b32_e32 v199, v183
	ds_load_2addr_b64 v[182:185], v202 offset0:56 offset1:57
	v_pk_add_f32 v[230:231], v[230:231], v[214:215] neg_lo:[0,1] neg_hi:[0,1]
	v_pk_add_f32 v[224:225], v[224:225], v[198:199] neg_lo:[0,1] neg_hi:[0,1]
	s_wait_dscnt 0x0
	v_pk_mul_f32 v[198:199], v[182:183], v[196:197] op_sel:[0,1]
	s_delay_alu instid0(VALU_DEP_1) | instskip(SKIP_2) | instid1(VALU_DEP_2)
	v_pk_fma_f32 v[214:215], v[182:183], v[186:187], v[198:199] op_sel:[0,0,1] op_sel_hi:[1,1,0] neg_lo:[0,0,1] neg_hi:[0,0,1]
	v_pk_fma_f32 v[182:183], v[182:183], v[186:187], v[198:199] op_sel:[0,0,1] op_sel_hi:[1,0,0]
	v_dual_mul_f32 v198, v185, v197 :: v_dual_mov_b32 v182, v185
	v_dual_mov_b32 v215, v183 :: v_dual_mov_b32 v183, v184
	s_delay_alu instid0(VALU_DEP_2) | instskip(SKIP_1) | instid1(VALU_DEP_3)
	v_pk_fma_f32 v[198:199], v[184:185], v[226:227], v[198:199] op_sel_hi:[1,1,0] neg_lo:[0,0,1] neg_hi:[0,0,1]
	v_mul_f32_e32 v184, v185, v186
	v_pk_add_f32 v[228:229], v[228:229], v[214:215] neg_lo:[0,1] neg_hi:[0,1]
	s_delay_alu instid0(VALU_DEP_2) | instskip(NEXT) | instid1(VALU_DEP_1)
	v_pk_fma_f32 v[182:183], v[182:183], v[226:227], v[184:185] op_sel_hi:[1,1,0]
	v_mov_b32_e32 v199, v183
	ds_load_b64 v[182:183], v202 offset:464
	v_pk_add_f32 v[234:235], v[234:235], v[198:199] neg_lo:[0,1] neg_hi:[0,1]
	s_wait_dscnt 0x0
	v_pk_mul_f32 v[184:185], v[182:183], v[196:197] op_sel:[0,1]
	s_delay_alu instid0(VALU_DEP_1) | instskip(SKIP_1) | instid1(VALU_DEP_1)
	v_pk_fma_f32 v[196:197], v[182:183], v[186:187], v[184:185] op_sel:[0,0,1] op_sel_hi:[1,1,0] neg_lo:[0,0,1] neg_hi:[0,0,1]
	v_pk_fma_f32 v[182:183], v[182:183], v[186:187], v[184:185] op_sel:[0,0,1] op_sel_hi:[1,0,0]
	v_mov_b32_e32 v197, v183
	s_delay_alu instid0(VALU_DEP_1)
	v_pk_add_f32 v[236:237], v[236:237], v[196:197] neg_lo:[0,1] neg_hi:[0,1]
.LBB117_487:
	s_or_b32 exec_lo, exec_lo, s1
	s_delay_alu instid0(SALU_CYCLE_1)
	s_mov_b32 s2, exec_lo
	s_wait_dscnt 0x0
	s_barrier_signal -1
	s_barrier_wait -1
	v_cmpx_eq_u32_e32 54, v200
	s_cbranch_execz .LBB117_494
; %bb.488:
	ds_store_b64 v201, v[230:231]
	ds_store_2addr_b64 v202, v[224:225], v[228:229] offset0:55 offset1:56
	ds_store_2addr_b64 v202, v[234:235], v[236:237] offset0:57 offset1:58
	ds_load_b64 v[182:183], v201
	s_wait_dscnt 0x0
	v_cmp_neq_f32_e32 vcc_lo, 0, v182
	v_cmp_neq_f32_e64 s1, 0, v183
	s_or_b32 s1, vcc_lo, s1
	s_delay_alu instid0(SALU_CYCLE_1)
	s_and_b32 exec_lo, exec_lo, s1
	s_cbranch_execz .LBB117_494
; %bb.489:
	v_cmp_ngt_f32_e64 s1, |v182|, |v183|
                                        ; implicit-def: $vgpr184_vgpr185
	s_and_saveexec_b32 s4, s1
	s_delay_alu instid0(SALU_CYCLE_1)
	s_xor_b32 s1, exec_lo, s4
	s_cbranch_execz .LBB117_491
; %bb.490:
	v_div_scale_f32 v184, null, v183, v183, v182
	v_div_scale_f32 v187, vcc_lo, v182, v183, v182
	s_delay_alu instid0(VALU_DEP_2) | instskip(SKIP_1) | instid1(TRANS32_DEP_1)
	v_rcp_f32_e32 v185, v184
	v_nop
	v_fma_f32 v186, -v184, v185, 1.0
	s_delay_alu instid0(VALU_DEP_1) | instskip(NEXT) | instid1(VALU_DEP_1)
	v_fmac_f32_e32 v185, v186, v185
	v_mul_f32_e32 v186, v187, v185
	s_delay_alu instid0(VALU_DEP_1) | instskip(NEXT) | instid1(VALU_DEP_1)
	v_fma_f32 v196, -v184, v186, v187
	v_fmac_f32_e32 v186, v196, v185
	s_delay_alu instid0(VALU_DEP_1) | instskip(NEXT) | instid1(VALU_DEP_1)
	v_fma_f32 v184, -v184, v186, v187
	v_div_fmas_f32 v184, v184, v185, v186
	s_delay_alu instid0(VALU_DEP_1) | instskip(NEXT) | instid1(VALU_DEP_1)
	v_div_fixup_f32 v184, v184, v183, v182
	v_fmac_f32_e32 v183, v182, v184
	s_delay_alu instid0(VALU_DEP_1) | instskip(SKIP_1) | instid1(VALU_DEP_2)
	v_div_scale_f32 v182, null, v183, v183, 1.0
	v_div_scale_f32 v187, vcc_lo, 1.0, v183, 1.0
	v_rcp_f32_e32 v185, v182
	v_nop
	s_delay_alu instid0(TRANS32_DEP_1) | instskip(NEXT) | instid1(VALU_DEP_1)
	v_fma_f32 v186, -v182, v185, 1.0
	v_fmac_f32_e32 v185, v186, v185
	s_delay_alu instid0(VALU_DEP_1) | instskip(NEXT) | instid1(VALU_DEP_1)
	v_mul_f32_e32 v186, v187, v185
	v_fma_f32 v196, -v182, v186, v187
	s_delay_alu instid0(VALU_DEP_1) | instskip(NEXT) | instid1(VALU_DEP_1)
	v_fmac_f32_e32 v186, v196, v185
	v_fma_f32 v182, -v182, v186, v187
	s_delay_alu instid0(VALU_DEP_1) | instskip(NEXT) | instid1(VALU_DEP_1)
	v_div_fmas_f32 v182, v182, v185, v186
	v_div_fixup_f32 v182, v182, v183, 1.0
	s_delay_alu instid0(VALU_DEP_1)
	v_mul_f32_e32 v184, v184, v182
	v_xor_b32_e32 v185, 0x80000000, v182
                                        ; implicit-def: $vgpr182_vgpr183
.LBB117_491:
	s_and_not1_saveexec_b32 s1, s1
	s_cbranch_execz .LBB117_493
; %bb.492:
	v_div_scale_f32 v184, null, v182, v182, v183
	v_div_scale_f32 v187, vcc_lo, v183, v182, v183
	s_delay_alu instid0(VALU_DEP_2) | instskip(SKIP_1) | instid1(TRANS32_DEP_1)
	v_rcp_f32_e32 v185, v184
	v_nop
	v_fma_f32 v186, -v184, v185, 1.0
	s_delay_alu instid0(VALU_DEP_1) | instskip(NEXT) | instid1(VALU_DEP_1)
	v_fmac_f32_e32 v185, v186, v185
	v_mul_f32_e32 v186, v187, v185
	s_delay_alu instid0(VALU_DEP_1) | instskip(NEXT) | instid1(VALU_DEP_1)
	v_fma_f32 v196, -v184, v186, v187
	v_fmac_f32_e32 v186, v196, v185
	s_delay_alu instid0(VALU_DEP_1) | instskip(NEXT) | instid1(VALU_DEP_1)
	v_fma_f32 v184, -v184, v186, v187
	v_div_fmas_f32 v184, v184, v185, v186
	s_delay_alu instid0(VALU_DEP_1) | instskip(NEXT) | instid1(VALU_DEP_1)
	v_div_fixup_f32 v185, v184, v182, v183
	v_fmac_f32_e32 v182, v183, v185
	s_delay_alu instid0(VALU_DEP_1) | instskip(NEXT) | instid1(VALU_DEP_1)
	v_div_scale_f32 v183, null, v182, v182, 1.0
	v_rcp_f32_e32 v184, v183
	v_nop
	s_delay_alu instid0(TRANS32_DEP_1) | instskip(NEXT) | instid1(VALU_DEP_1)
	v_fma_f32 v186, -v183, v184, 1.0
	v_fmac_f32_e32 v184, v186, v184
	v_div_scale_f32 v186, vcc_lo, 1.0, v182, 1.0
	s_delay_alu instid0(VALU_DEP_1) | instskip(NEXT) | instid1(VALU_DEP_1)
	v_mul_f32_e32 v187, v186, v184
	v_fma_f32 v196, -v183, v187, v186
	s_delay_alu instid0(VALU_DEP_1) | instskip(NEXT) | instid1(VALU_DEP_1)
	v_fmac_f32_e32 v187, v196, v184
	v_fma_f32 v183, -v183, v187, v186
	s_delay_alu instid0(VALU_DEP_1) | instskip(NEXT) | instid1(VALU_DEP_1)
	v_div_fmas_f32 v183, v183, v184, v187
	v_div_fixup_f32 v184, v183, v182, 1.0
	s_delay_alu instid0(VALU_DEP_1)
	v_mul_f32_e64 v185, v185, -v184
.LBB117_493:
	s_or_b32 exec_lo, exec_lo, s1
	ds_store_b64 v201, v[184:185]
.LBB117_494:
	s_or_b32 exec_lo, exec_lo, s2
	s_wait_dscnt 0x0
	s_barrier_signal -1
	s_barrier_wait -1
	ds_load_b64 v[184:185], v201
	s_mov_b32 s1, exec_lo
	v_cmpx_lt_u32_e32 54, v200
	s_cbranch_execz .LBB117_496
; %bb.495:
	ds_load_2addr_b64 v[196:199], v202 offset0:55 offset1:56
	s_wait_dscnt 0x1
	v_pk_mul_f32 v[182:183], v[184:185], v[230:231] op_sel:[1,1] op_sel_hi:[0,1]
	s_delay_alu instid0(VALU_DEP_1) | instskip(SKIP_1) | instid1(VALU_DEP_1)
	v_pk_fma_f32 v[186:187], v[184:185], v[230:231], v[182:183] op_sel_hi:[1,0,1] neg_lo:[0,0,1] neg_hi:[0,0,1]
	v_pk_fma_f32 v[182:183], v[184:185], v[230:231], v[182:183] op_sel_hi:[1,0,1]
	v_dual_mov_b32 v230, v186 :: v_dual_mov_b32 v231, v183
	s_wait_dscnt 0x0
	s_delay_alu instid0(VALU_DEP_2) | instskip(NEXT) | instid1(VALU_DEP_1)
	v_pk_mul_f32 v[214:215], v[196:197], v[182:183] op_sel:[0,1]
	v_pk_fma_f32 v[216:217], v[196:197], v[186:187], v[214:215] op_sel:[0,0,1] op_sel_hi:[1,1,0] neg_lo:[0,0,1] neg_hi:[0,0,1]
	v_pk_fma_f32 v[196:197], v[196:197], v[186:187], v[214:215] op_sel:[0,0,1] op_sel_hi:[1,0,0]
	s_delay_alu instid0(VALU_DEP_1) | instskip(SKIP_1) | instid1(VALU_DEP_1)
	v_mov_b32_e32 v217, v197
	v_pk_mul_f32 v[196:197], v[198:199], v[182:183] op_sel:[0,1]
	v_pk_fma_f32 v[214:215], v[198:199], v[186:187], v[196:197] op_sel:[0,0,1] op_sel_hi:[1,1,0] neg_lo:[0,0,1] neg_hi:[0,0,1]
	v_pk_fma_f32 v[196:197], v[198:199], v[186:187], v[196:197] op_sel:[0,0,1] op_sel_hi:[1,0,0]
	s_delay_alu instid0(VALU_DEP_1)
	v_mov_b32_e32 v215, v197
	ds_load_2addr_b64 v[196:199], v202 offset0:57 offset1:58
	v_pk_add_f32 v[224:225], v[224:225], v[216:217] neg_lo:[0,1] neg_hi:[0,1]
	v_pk_add_f32 v[228:229], v[228:229], v[214:215] neg_lo:[0,1] neg_hi:[0,1]
	s_wait_dscnt 0x0
	v_pk_mul_f32 v[214:215], v[196:197], v[182:183] op_sel:[0,1]
	s_delay_alu instid0(VALU_DEP_1) | instskip(SKIP_1) | instid1(VALU_DEP_1)
	v_pk_fma_f32 v[216:217], v[196:197], v[186:187], v[214:215] op_sel:[0,0,1] op_sel_hi:[1,1,0] neg_lo:[0,0,1] neg_hi:[0,0,1]
	v_pk_fma_f32 v[196:197], v[196:197], v[186:187], v[214:215] op_sel:[0,0,1] op_sel_hi:[1,0,0]
	v_dual_mov_b32 v196, v199 :: v_dual_mov_b32 v217, v197
	v_mov_b32_e32 v197, v198
	s_delay_alu instid0(VALU_DEP_2) | instskip(NEXT) | instid1(VALU_DEP_2)
	v_pk_add_f32 v[234:235], v[234:235], v[216:217] neg_lo:[0,1] neg_hi:[0,1]
	v_pk_mul_f32 v[182:183], v[196:197], v[182:183] op_sel:[0,1]
	s_delay_alu instid0(VALU_DEP_1) | instskip(SKIP_1) | instid1(VALU_DEP_1)
	v_pk_fma_f32 v[196:197], v[198:199], v[186:187], v[182:183] neg_lo:[0,0,1] neg_hi:[0,0,1]
	v_pk_fma_f32 v[182:183], v[198:199], v[186:187], v[182:183] op_sel_hi:[1,0,1]
	v_mov_b32_e32 v197, v183
	s_delay_alu instid0(VALU_DEP_1)
	v_pk_add_f32 v[236:237], v[236:237], v[196:197] neg_lo:[0,1] neg_hi:[0,1]
.LBB117_496:
	s_or_b32 exec_lo, exec_lo, s1
	s_delay_alu instid0(SALU_CYCLE_1)
	s_mov_b32 s2, exec_lo
	s_wait_dscnt 0x0
	s_barrier_signal -1
	s_barrier_wait -1
	v_cmpx_eq_u32_e32 55, v200
	s_cbranch_execz .LBB117_503
; %bb.497:
	v_dual_mov_b32 v182, v228 :: v_dual_mov_b32 v183, v229
	v_dual_mov_b32 v186, v234 :: v_dual_mov_b32 v187, v235
	ds_store_b64 v201, v[224:225]
	ds_store_2addr_b64 v202, v[182:183], v[186:187] offset0:56 offset1:57
	ds_store_b64 v202, v[236:237] offset:464
	ds_load_b64 v[182:183], v201
	s_wait_dscnt 0x0
	v_cmp_neq_f32_e32 vcc_lo, 0, v182
	v_cmp_neq_f32_e64 s1, 0, v183
	s_or_b32 s1, vcc_lo, s1
	s_delay_alu instid0(SALU_CYCLE_1)
	s_and_b32 exec_lo, exec_lo, s1
	s_cbranch_execz .LBB117_503
; %bb.498:
	v_cmp_ngt_f32_e64 s1, |v182|, |v183|
                                        ; implicit-def: $vgpr186_vgpr187
	s_and_saveexec_b32 s4, s1
	s_delay_alu instid0(SALU_CYCLE_1)
	s_xor_b32 s1, exec_lo, s4
	s_cbranch_execz .LBB117_500
; %bb.499:
	v_div_scale_f32 v186, null, v183, v183, v182
	v_div_scale_f32 v197, vcc_lo, v182, v183, v182
	s_delay_alu instid0(VALU_DEP_2) | instskip(SKIP_1) | instid1(TRANS32_DEP_1)
	v_rcp_f32_e32 v187, v186
	v_nop
	v_fma_f32 v196, -v186, v187, 1.0
	s_delay_alu instid0(VALU_DEP_1) | instskip(NEXT) | instid1(VALU_DEP_1)
	v_fmac_f32_e32 v187, v196, v187
	v_mul_f32_e32 v196, v197, v187
	s_delay_alu instid0(VALU_DEP_1) | instskip(NEXT) | instid1(VALU_DEP_1)
	v_fma_f32 v198, -v186, v196, v197
	v_fmac_f32_e32 v196, v198, v187
	s_delay_alu instid0(VALU_DEP_1) | instskip(NEXT) | instid1(VALU_DEP_1)
	v_fma_f32 v186, -v186, v196, v197
	v_div_fmas_f32 v186, v186, v187, v196
	s_delay_alu instid0(VALU_DEP_1) | instskip(NEXT) | instid1(VALU_DEP_1)
	v_div_fixup_f32 v186, v186, v183, v182
	v_fmac_f32_e32 v183, v182, v186
	s_delay_alu instid0(VALU_DEP_1) | instskip(SKIP_1) | instid1(VALU_DEP_2)
	v_div_scale_f32 v182, null, v183, v183, 1.0
	v_div_scale_f32 v197, vcc_lo, 1.0, v183, 1.0
	v_rcp_f32_e32 v187, v182
	v_nop
	s_delay_alu instid0(TRANS32_DEP_1) | instskip(NEXT) | instid1(VALU_DEP_1)
	v_fma_f32 v196, -v182, v187, 1.0
	v_fmac_f32_e32 v187, v196, v187
	s_delay_alu instid0(VALU_DEP_1) | instskip(NEXT) | instid1(VALU_DEP_1)
	v_mul_f32_e32 v196, v197, v187
	v_fma_f32 v198, -v182, v196, v197
	s_delay_alu instid0(VALU_DEP_1) | instskip(NEXT) | instid1(VALU_DEP_1)
	v_fmac_f32_e32 v196, v198, v187
	v_fma_f32 v182, -v182, v196, v197
	s_delay_alu instid0(VALU_DEP_1) | instskip(NEXT) | instid1(VALU_DEP_1)
	v_div_fmas_f32 v182, v182, v187, v196
	v_div_fixup_f32 v182, v182, v183, 1.0
	s_delay_alu instid0(VALU_DEP_1)
	v_mul_f32_e32 v186, v186, v182
	v_xor_b32_e32 v187, 0x80000000, v182
                                        ; implicit-def: $vgpr182_vgpr183
.LBB117_500:
	s_and_not1_saveexec_b32 s1, s1
	s_cbranch_execz .LBB117_502
; %bb.501:
	v_div_scale_f32 v186, null, v182, v182, v183
	v_div_scale_f32 v197, vcc_lo, v183, v182, v183
	s_delay_alu instid0(VALU_DEP_2) | instskip(SKIP_1) | instid1(TRANS32_DEP_1)
	v_rcp_f32_e32 v187, v186
	v_nop
	v_fma_f32 v196, -v186, v187, 1.0
	s_delay_alu instid0(VALU_DEP_1) | instskip(NEXT) | instid1(VALU_DEP_1)
	v_fmac_f32_e32 v187, v196, v187
	v_mul_f32_e32 v196, v197, v187
	s_delay_alu instid0(VALU_DEP_1) | instskip(NEXT) | instid1(VALU_DEP_1)
	v_fma_f32 v198, -v186, v196, v197
	v_fmac_f32_e32 v196, v198, v187
	s_delay_alu instid0(VALU_DEP_1) | instskip(NEXT) | instid1(VALU_DEP_1)
	v_fma_f32 v186, -v186, v196, v197
	v_div_fmas_f32 v186, v186, v187, v196
	s_delay_alu instid0(VALU_DEP_1) | instskip(NEXT) | instid1(VALU_DEP_1)
	v_div_fixup_f32 v187, v186, v182, v183
	v_fmac_f32_e32 v182, v183, v187
	s_delay_alu instid0(VALU_DEP_1) | instskip(NEXT) | instid1(VALU_DEP_1)
	v_div_scale_f32 v183, null, v182, v182, 1.0
	v_rcp_f32_e32 v186, v183
	v_nop
	s_delay_alu instid0(TRANS32_DEP_1) | instskip(NEXT) | instid1(VALU_DEP_1)
	v_fma_f32 v196, -v183, v186, 1.0
	v_fmac_f32_e32 v186, v196, v186
	v_div_scale_f32 v196, vcc_lo, 1.0, v182, 1.0
	s_delay_alu instid0(VALU_DEP_1) | instskip(NEXT) | instid1(VALU_DEP_1)
	v_mul_f32_e32 v197, v196, v186
	v_fma_f32 v198, -v183, v197, v196
	s_delay_alu instid0(VALU_DEP_1) | instskip(NEXT) | instid1(VALU_DEP_1)
	v_fmac_f32_e32 v197, v198, v186
	v_fma_f32 v183, -v183, v197, v196
	s_delay_alu instid0(VALU_DEP_1) | instskip(NEXT) | instid1(VALU_DEP_1)
	v_div_fmas_f32 v183, v183, v186, v197
	v_div_fixup_f32 v186, v183, v182, 1.0
	s_delay_alu instid0(VALU_DEP_1)
	v_mul_f32_e64 v187, v187, -v186
.LBB117_502:
	s_or_b32 exec_lo, exec_lo, s1
	ds_store_b64 v201, v[186:187]
.LBB117_503:
	s_or_b32 exec_lo, exec_lo, s2
	s_wait_dscnt 0x0
	s_barrier_signal -1
	s_barrier_wait -1
	ds_load_b64 v[186:187], v201
	s_mov_b32 s1, exec_lo
	v_cmpx_lt_u32_e32 55, v200
	s_cbranch_execz .LBB117_505
; %bb.504:
	ds_load_2addr_b64 v[196:199], v202 offset0:56 offset1:57
	s_wait_dscnt 0x1
	v_pk_mul_f32 v[182:183], v[186:187], v[224:225] op_sel:[1,1] op_sel_hi:[0,1]
	s_delay_alu instid0(VALU_DEP_1) | instskip(SKIP_1) | instid1(VALU_DEP_1)
	v_pk_fma_f32 v[214:215], v[186:187], v[224:225], v[182:183] op_sel_hi:[1,0,1] neg_lo:[0,0,1] neg_hi:[0,0,1]
	v_pk_fma_f32 v[182:183], v[186:187], v[224:225], v[182:183] op_sel_hi:[1,0,1]
	v_dual_mov_b32 v224, v214 :: v_dual_mov_b32 v225, v183
	s_wait_dscnt 0x0
	s_delay_alu instid0(VALU_DEP_2) | instskip(NEXT) | instid1(VALU_DEP_1)
	v_pk_mul_f32 v[216:217], v[196:197], v[182:183] op_sel:[0,1]
	v_pk_fma_f32 v[204:205], v[196:197], v[214:215], v[216:217] op_sel:[0,0,1] op_sel_hi:[1,1,0] neg_lo:[0,0,1] neg_hi:[0,0,1]
	v_pk_fma_f32 v[196:197], v[196:197], v[214:215], v[216:217] op_sel:[0,0,1] op_sel_hi:[1,0,0]
	s_delay_alu instid0(VALU_DEP_1) | instskip(SKIP_1) | instid1(VALU_DEP_2)
	v_mov_b32_e32 v205, v197
	v_pk_mul_f32 v[196:197], v[198:199], v[182:183] op_sel:[0,1]
	v_pk_add_f32 v[228:229], v[228:229], v[204:205] neg_lo:[0,1] neg_hi:[0,1]
	s_delay_alu instid0(VALU_DEP_2) | instskip(SKIP_1) | instid1(VALU_DEP_1)
	v_pk_fma_f32 v[204:205], v[198:199], v[214:215], v[196:197] op_sel:[0,0,1] op_sel_hi:[1,1,0] neg_lo:[0,0,1] neg_hi:[0,0,1]
	v_pk_fma_f32 v[196:197], v[198:199], v[214:215], v[196:197] op_sel:[0,0,1] op_sel_hi:[1,0,0]
	v_mov_b32_e32 v205, v197
	ds_load_b64 v[196:197], v202 offset:464
	v_pk_add_f32 v[234:235], v[234:235], v[204:205] neg_lo:[0,1] neg_hi:[0,1]
	s_wait_dscnt 0x0
	v_pk_mul_f32 v[182:183], v[196:197], v[182:183] op_sel:[1,1] op_sel_hi:[0,1]
	s_delay_alu instid0(VALU_DEP_1) | instskip(SKIP_1) | instid1(VALU_DEP_1)
	v_pk_fma_f32 v[198:199], v[196:197], v[214:215], v[182:183] neg_lo:[0,0,1] neg_hi:[0,0,1]
	v_pk_fma_f32 v[182:183], v[196:197], v[214:215], v[182:183] op_sel_hi:[1,0,1]
	v_mov_b32_e32 v199, v183
	s_delay_alu instid0(VALU_DEP_1)
	v_pk_add_f32 v[236:237], v[236:237], v[198:199] neg_lo:[0,1] neg_hi:[0,1]
.LBB117_505:
	s_or_b32 exec_lo, exec_lo, s1
	s_delay_alu instid0(SALU_CYCLE_1)
	s_mov_b32 s2, exec_lo
	s_wait_dscnt 0x0
	s_barrier_signal -1
	s_barrier_wait -1
	v_cmpx_eq_u32_e32 56, v200
	s_cbranch_execz .LBB117_512
; %bb.506:
	ds_store_b64 v201, v[228:229]
	ds_store_2addr_b64 v202, v[234:235], v[236:237] offset0:57 offset1:58
	ds_load_b64 v[182:183], v201
	s_wait_dscnt 0x0
	v_cmp_neq_f32_e32 vcc_lo, 0, v182
	v_cmp_neq_f32_e64 s1, 0, v183
	s_or_b32 s1, vcc_lo, s1
	s_delay_alu instid0(SALU_CYCLE_1)
	s_and_b32 exec_lo, exec_lo, s1
	s_cbranch_execz .LBB117_512
; %bb.507:
	v_cmp_ngt_f32_e64 s1, |v182|, |v183|
                                        ; implicit-def: $vgpr196_vgpr197
	s_and_saveexec_b32 s4, s1
	s_delay_alu instid0(SALU_CYCLE_1)
	s_xor_b32 s1, exec_lo, s4
	s_cbranch_execz .LBB117_509
; %bb.508:
	v_div_scale_f32 v196, null, v183, v183, v182
	v_div_scale_f32 v199, vcc_lo, v182, v183, v182
	s_delay_alu instid0(VALU_DEP_2) | instskip(SKIP_1) | instid1(TRANS32_DEP_1)
	v_rcp_f32_e32 v197, v196
	v_nop
	v_fma_f32 v198, -v196, v197, 1.0
	s_delay_alu instid0(VALU_DEP_1) | instskip(NEXT) | instid1(VALU_DEP_1)
	v_fmac_f32_e32 v197, v198, v197
	v_mul_f32_e32 v198, v199, v197
	s_delay_alu instid0(VALU_DEP_1) | instskip(NEXT) | instid1(VALU_DEP_1)
	v_fma_f32 v203, -v196, v198, v199
	v_fmac_f32_e32 v198, v203, v197
	s_delay_alu instid0(VALU_DEP_1) | instskip(NEXT) | instid1(VALU_DEP_1)
	v_fma_f32 v196, -v196, v198, v199
	v_div_fmas_f32 v196, v196, v197, v198
	s_delay_alu instid0(VALU_DEP_1) | instskip(NEXT) | instid1(VALU_DEP_1)
	v_div_fixup_f32 v196, v196, v183, v182
	v_fmac_f32_e32 v183, v182, v196
	s_delay_alu instid0(VALU_DEP_1) | instskip(SKIP_1) | instid1(VALU_DEP_2)
	v_div_scale_f32 v182, null, v183, v183, 1.0
	v_div_scale_f32 v199, vcc_lo, 1.0, v183, 1.0
	v_rcp_f32_e32 v197, v182
	v_nop
	s_delay_alu instid0(TRANS32_DEP_1) | instskip(NEXT) | instid1(VALU_DEP_1)
	v_fma_f32 v198, -v182, v197, 1.0
	v_fmac_f32_e32 v197, v198, v197
	s_delay_alu instid0(VALU_DEP_1) | instskip(NEXT) | instid1(VALU_DEP_1)
	v_mul_f32_e32 v198, v199, v197
	v_fma_f32 v203, -v182, v198, v199
	s_delay_alu instid0(VALU_DEP_1) | instskip(NEXT) | instid1(VALU_DEP_1)
	v_fmac_f32_e32 v198, v203, v197
	v_fma_f32 v182, -v182, v198, v199
	s_delay_alu instid0(VALU_DEP_1) | instskip(NEXT) | instid1(VALU_DEP_1)
	v_div_fmas_f32 v182, v182, v197, v198
	v_div_fixup_f32 v182, v182, v183, 1.0
	s_delay_alu instid0(VALU_DEP_1)
	v_mul_f32_e32 v196, v196, v182
	v_xor_b32_e32 v197, 0x80000000, v182
                                        ; implicit-def: $vgpr182_vgpr183
.LBB117_509:
	s_and_not1_saveexec_b32 s1, s1
	s_cbranch_execz .LBB117_511
; %bb.510:
	v_div_scale_f32 v196, null, v182, v182, v183
	v_div_scale_f32 v199, vcc_lo, v183, v182, v183
	s_delay_alu instid0(VALU_DEP_2) | instskip(SKIP_1) | instid1(TRANS32_DEP_1)
	v_rcp_f32_e32 v197, v196
	v_nop
	v_fma_f32 v198, -v196, v197, 1.0
	s_delay_alu instid0(VALU_DEP_1) | instskip(NEXT) | instid1(VALU_DEP_1)
	v_fmac_f32_e32 v197, v198, v197
	v_mul_f32_e32 v198, v199, v197
	s_delay_alu instid0(VALU_DEP_1) | instskip(NEXT) | instid1(VALU_DEP_1)
	v_fma_f32 v203, -v196, v198, v199
	v_fmac_f32_e32 v198, v203, v197
	s_delay_alu instid0(VALU_DEP_1) | instskip(NEXT) | instid1(VALU_DEP_1)
	v_fma_f32 v196, -v196, v198, v199
	v_div_fmas_f32 v196, v196, v197, v198
	s_delay_alu instid0(VALU_DEP_1) | instskip(NEXT) | instid1(VALU_DEP_1)
	v_div_fixup_f32 v197, v196, v182, v183
	v_fmac_f32_e32 v182, v183, v197
	s_delay_alu instid0(VALU_DEP_1) | instskip(NEXT) | instid1(VALU_DEP_1)
	v_div_scale_f32 v183, null, v182, v182, 1.0
	v_rcp_f32_e32 v196, v183
	v_nop
	s_delay_alu instid0(TRANS32_DEP_1) | instskip(NEXT) | instid1(VALU_DEP_1)
	v_fma_f32 v198, -v183, v196, 1.0
	v_fmac_f32_e32 v196, v198, v196
	v_div_scale_f32 v198, vcc_lo, 1.0, v182, 1.0
	s_delay_alu instid0(VALU_DEP_1) | instskip(NEXT) | instid1(VALU_DEP_1)
	v_mul_f32_e32 v199, v198, v196
	v_fma_f32 v203, -v183, v199, v198
	s_delay_alu instid0(VALU_DEP_1) | instskip(NEXT) | instid1(VALU_DEP_1)
	v_fmac_f32_e32 v199, v203, v196
	v_fma_f32 v183, -v183, v199, v198
	s_delay_alu instid0(VALU_DEP_1) | instskip(NEXT) | instid1(VALU_DEP_1)
	v_div_fmas_f32 v183, v183, v196, v199
	v_div_fixup_f32 v196, v183, v182, 1.0
	s_delay_alu instid0(VALU_DEP_1)
	v_mul_f32_e64 v197, v197, -v196
.LBB117_511:
	s_or_b32 exec_lo, exec_lo, s1
	ds_store_b64 v201, v[196:197]
.LBB117_512:
	s_or_b32 exec_lo, exec_lo, s2
	s_wait_dscnt 0x0
	s_barrier_signal -1
	s_barrier_wait -1
	ds_load_b64 v[196:197], v201
	s_mov_b32 s1, exec_lo
	v_cmpx_lt_u32_e32 56, v200
	s_cbranch_execz .LBB117_514
; %bb.513:
	ds_load_2addr_b64 v[214:217], v202 offset0:57 offset1:58
	s_wait_dscnt 0x1
	v_pk_mul_f32 v[182:183], v[196:197], v[228:229] op_sel:[1,1] op_sel_hi:[0,1]
	v_mov_b64_e32 v[0:1], v[254:255]
	v_mov_b64_e32 v[254:255], v[252:253]
	;; [unrolled: 1-line block ×4, first 2 shown]
	v_pk_fma_f32 v[198:199], v[196:197], v[228:229], v[182:183] op_sel_hi:[1,0,1] neg_lo:[0,0,1] neg_hi:[0,0,1]
	v_pk_fma_f32 v[182:183], v[196:197], v[228:229], v[182:183] op_sel_hi:[1,0,1]
	v_mov_b64_e32 v[248:249], v[246:247]
	v_mov_b64_e32 v[246:247], v[16:17]
	;; [unrolled: 1-line block ×9, first 2 shown]
	v_dual_mov_b32 v228, v198 :: v_dual_mov_b32 v229, v183
	s_wait_dscnt 0x0
	v_pk_mul_f32 v[204:205], v[214:215], v[182:183] op_sel:[0,1]
	s_delay_alu instid0(VALU_DEP_1) | instskip(SKIP_1) | instid1(VALU_DEP_1)
	v_pk_fma_f32 v[218:219], v[214:215], v[198:199], v[204:205] op_sel:[0,0,1] op_sel_hi:[1,1,0] neg_lo:[0,0,1] neg_hi:[0,0,1]
	v_pk_fma_f32 v[204:205], v[214:215], v[198:199], v[204:205] op_sel:[0,0,1] op_sel_hi:[1,0,0]
	v_dual_mov_b32 v204, v217 :: v_dual_mov_b32 v219, v205
	v_mov_b32_e32 v205, v216
	s_delay_alu instid0(VALU_DEP_2) | instskip(NEXT) | instid1(VALU_DEP_2)
	v_pk_add_f32 v[234:235], v[234:235], v[218:219] neg_lo:[0,1] neg_hi:[0,1]
	v_pk_mul_f32 v[182:183], v[204:205], v[182:183] op_sel:[0,1]
	v_mov_b64_e32 v[218:219], v[220:221]
	v_mov_b64_e32 v[220:221], v[222:223]
	;; [unrolled: 1-line block ×4, first 2 shown]
	v_pk_fma_f32 v[204:205], v[216:217], v[198:199], v[182:183] neg_lo:[0,0,1] neg_hi:[0,0,1]
	v_pk_fma_f32 v[182:183], v[216:217], v[198:199], v[182:183] op_sel_hi:[1,0,1]
	v_mov_b64_e32 v[240:241], v[242:243]
	v_mov_b64_e32 v[242:243], v[244:245]
	;; [unrolled: 1-line block ×4, first 2 shown]
	v_mov_b32_e32 v205, v183
	v_mov_b64_e32 v[246:247], v[248:249]
	v_mov_b64_e32 v[248:249], v[250:251]
	;; [unrolled: 1-line block ×5, first 2 shown]
	v_pk_add_f32 v[236:237], v[236:237], v[204:205] neg_lo:[0,1] neg_hi:[0,1]
.LBB117_514:
	s_or_b32 exec_lo, exec_lo, s1
	s_delay_alu instid0(SALU_CYCLE_1)
	s_mov_b32 s2, exec_lo
	s_wait_dscnt 0x0
	s_barrier_signal -1
	s_barrier_wait -1
	v_cmpx_eq_u32_e32 57, v200
	s_cbranch_execz .LBB117_521
; %bb.515:
	ds_store_b64 v201, v[234:235]
	ds_store_b64 v202, v[236:237] offset:464
	ds_load_b64 v[182:183], v201
	s_wait_dscnt 0x0
	v_cmp_neq_f32_e32 vcc_lo, 0, v182
	v_cmp_neq_f32_e64 s1, 0, v183
	s_or_b32 s1, vcc_lo, s1
	s_delay_alu instid0(SALU_CYCLE_1)
	s_and_b32 exec_lo, exec_lo, s1
	s_cbranch_execz .LBB117_521
; %bb.516:
	v_cmp_ngt_f32_e64 s1, |v182|, |v183|
                                        ; implicit-def: $vgpr198_vgpr199
	s_and_saveexec_b32 s4, s1
	s_delay_alu instid0(SALU_CYCLE_1)
	s_xor_b32 s1, exec_lo, s4
	s_cbranch_execz .LBB117_518
; %bb.517:
	v_div_scale_f32 v198, null, v183, v183, v182
	v_div_scale_f32 v204, vcc_lo, v182, v183, v182
	s_delay_alu instid0(VALU_DEP_2) | instskip(SKIP_1) | instid1(TRANS32_DEP_1)
	v_rcp_f32_e32 v199, v198
	v_nop
	v_fma_f32 v203, -v198, v199, 1.0
	s_delay_alu instid0(VALU_DEP_1) | instskip(NEXT) | instid1(VALU_DEP_1)
	v_fmac_f32_e32 v199, v203, v199
	v_mul_f32_e32 v203, v204, v199
	s_delay_alu instid0(VALU_DEP_1) | instskip(NEXT) | instid1(VALU_DEP_1)
	v_fma_f32 v205, -v198, v203, v204
	v_fmac_f32_e32 v203, v205, v199
	s_delay_alu instid0(VALU_DEP_1) | instskip(NEXT) | instid1(VALU_DEP_1)
	v_fma_f32 v198, -v198, v203, v204
	v_div_fmas_f32 v198, v198, v199, v203
	s_delay_alu instid0(VALU_DEP_1) | instskip(NEXT) | instid1(VALU_DEP_1)
	v_div_fixup_f32 v198, v198, v183, v182
	v_fmac_f32_e32 v183, v182, v198
	s_delay_alu instid0(VALU_DEP_1) | instskip(SKIP_1) | instid1(VALU_DEP_2)
	v_div_scale_f32 v182, null, v183, v183, 1.0
	v_div_scale_f32 v204, vcc_lo, 1.0, v183, 1.0
	v_rcp_f32_e32 v199, v182
	v_nop
	s_delay_alu instid0(TRANS32_DEP_1) | instskip(NEXT) | instid1(VALU_DEP_1)
	v_fma_f32 v203, -v182, v199, 1.0
	v_fmac_f32_e32 v199, v203, v199
	s_delay_alu instid0(VALU_DEP_1) | instskip(NEXT) | instid1(VALU_DEP_1)
	v_mul_f32_e32 v203, v204, v199
	v_fma_f32 v205, -v182, v203, v204
	s_delay_alu instid0(VALU_DEP_1) | instskip(NEXT) | instid1(VALU_DEP_1)
	v_fmac_f32_e32 v203, v205, v199
	v_fma_f32 v182, -v182, v203, v204
	s_delay_alu instid0(VALU_DEP_1) | instskip(NEXT) | instid1(VALU_DEP_1)
	v_div_fmas_f32 v182, v182, v199, v203
	v_div_fixup_f32 v182, v182, v183, 1.0
	s_delay_alu instid0(VALU_DEP_1)
	v_mul_f32_e32 v198, v198, v182
	v_xor_b32_e32 v199, 0x80000000, v182
                                        ; implicit-def: $vgpr182_vgpr183
.LBB117_518:
	s_and_not1_saveexec_b32 s1, s1
	s_cbranch_execz .LBB117_520
; %bb.519:
	v_div_scale_f32 v198, null, v182, v182, v183
	v_div_scale_f32 v204, vcc_lo, v183, v182, v183
	s_delay_alu instid0(VALU_DEP_2) | instskip(SKIP_1) | instid1(TRANS32_DEP_1)
	v_rcp_f32_e32 v199, v198
	v_nop
	v_fma_f32 v203, -v198, v199, 1.0
	s_delay_alu instid0(VALU_DEP_1) | instskip(NEXT) | instid1(VALU_DEP_1)
	v_fmac_f32_e32 v199, v203, v199
	v_mul_f32_e32 v203, v204, v199
	s_delay_alu instid0(VALU_DEP_1) | instskip(NEXT) | instid1(VALU_DEP_1)
	v_fma_f32 v205, -v198, v203, v204
	v_fmac_f32_e32 v203, v205, v199
	s_delay_alu instid0(VALU_DEP_1) | instskip(NEXT) | instid1(VALU_DEP_1)
	v_fma_f32 v198, -v198, v203, v204
	v_div_fmas_f32 v198, v198, v199, v203
	s_delay_alu instid0(VALU_DEP_1) | instskip(NEXT) | instid1(VALU_DEP_1)
	v_div_fixup_f32 v199, v198, v182, v183
	v_fmac_f32_e32 v182, v183, v199
	s_delay_alu instid0(VALU_DEP_1) | instskip(NEXT) | instid1(VALU_DEP_1)
	v_div_scale_f32 v183, null, v182, v182, 1.0
	v_rcp_f32_e32 v198, v183
	v_nop
	s_delay_alu instid0(TRANS32_DEP_1) | instskip(NEXT) | instid1(VALU_DEP_1)
	v_fma_f32 v203, -v183, v198, 1.0
	v_fmac_f32_e32 v198, v203, v198
	v_div_scale_f32 v203, vcc_lo, 1.0, v182, 1.0
	s_delay_alu instid0(VALU_DEP_1) | instskip(NEXT) | instid1(VALU_DEP_1)
	v_mul_f32_e32 v204, v203, v198
	v_fma_f32 v205, -v183, v204, v203
	s_delay_alu instid0(VALU_DEP_1) | instskip(NEXT) | instid1(VALU_DEP_1)
	v_fmac_f32_e32 v204, v205, v198
	v_fma_f32 v183, -v183, v204, v203
	s_delay_alu instid0(VALU_DEP_1) | instskip(NEXT) | instid1(VALU_DEP_1)
	v_div_fmas_f32 v183, v183, v198, v204
	v_div_fixup_f32 v198, v183, v182, 1.0
	s_delay_alu instid0(VALU_DEP_1)
	v_mul_f32_e64 v199, v199, -v198
.LBB117_520:
	s_or_b32 exec_lo, exec_lo, s1
	ds_store_b64 v201, v[198:199]
.LBB117_521:
	s_or_b32 exec_lo, exec_lo, s2
	s_wait_dscnt 0x0
	s_barrier_signal -1
	s_barrier_wait -1
	ds_load_b64 v[198:199], v201
	s_mov_b32 s1, exec_lo
	v_cmpx_lt_u32_e32 57, v200
	s_cbranch_execz .LBB117_523
; %bb.522:
	ds_load_b64 v[182:183], v202 offset:464
	s_wait_dscnt 0x1
	v_pk_mul_f32 v[202:203], v[198:199], v[234:235] op_sel:[1,1] op_sel_hi:[0,1]
	s_delay_alu instid0(VALU_DEP_1) | instskip(SKIP_2) | instid1(VALU_DEP_2)
	v_pk_fma_f32 v[204:205], v[198:199], v[234:235], v[202:203] op_sel_hi:[1,0,1]
	v_pk_fma_f32 v[234:235], v[198:199], v[234:235], v[202:203] op_sel_hi:[1,0,1] neg_lo:[0,0,1] neg_hi:[0,0,1]
	s_wait_dscnt 0x0
	v_pk_mul_f32 v[202:203], v[182:183], v[204:205] op_sel:[1,1] op_sel_hi:[0,1]
	s_delay_alu instid0(VALU_DEP_1) | instskip(SKIP_1) | instid1(VALU_DEP_2)
	v_pk_fma_f32 v[214:215], v[182:183], v[234:235], v[202:203] op_sel_hi:[1,0,1]
	v_pk_fma_f32 v[182:183], v[182:183], v[234:235], v[202:203] neg_lo:[0,0,1] neg_hi:[0,0,1]
	v_dual_mov_b32 v235, v205 :: v_dual_mov_b32 v183, v215
	s_delay_alu instid0(VALU_DEP_1)
	v_pk_add_f32 v[236:237], v[236:237], v[182:183] neg_lo:[0,1] neg_hi:[0,1]
.LBB117_523:
	s_or_b32 exec_lo, exec_lo, s1
	s_delay_alu instid0(SALU_CYCLE_1)
	s_mov_b32 s2, exec_lo
	s_wait_dscnt 0x0
	s_barrier_signal -1
	s_barrier_wait -1
	v_cmpx_eq_u32_e32 58, v200
	s_cbranch_execz .LBB117_530
; %bb.524:
	v_cmp_neq_f32_e32 vcc_lo, 0, v236
	v_cmp_neq_f32_e64 s1, 0, v237
	ds_store_b64 v201, v[236:237]
	s_or_b32 s1, vcc_lo, s1
	s_delay_alu instid0(SALU_CYCLE_1)
	s_and_b32 exec_lo, exec_lo, s1
	s_cbranch_execz .LBB117_530
; %bb.525:
	v_cmp_ngt_f32_e64 s1, |v236|, |v237|
                                        ; implicit-def: $vgpr182_vgpr183
	s_and_saveexec_b32 s4, s1
	s_delay_alu instid0(SALU_CYCLE_1)
	s_xor_b32 s1, exec_lo, s4
	s_cbranch_execz .LBB117_527
; %bb.526:
	v_div_scale_f32 v182, null, v237, v237, v236
	v_div_scale_f32 v203, vcc_lo, v236, v237, v236
	s_delay_alu instid0(VALU_DEP_2) | instskip(SKIP_1) | instid1(TRANS32_DEP_1)
	v_rcp_f32_e32 v183, v182
	v_nop
	v_fma_f32 v202, -v182, v183, 1.0
	s_delay_alu instid0(VALU_DEP_1) | instskip(NEXT) | instid1(VALU_DEP_1)
	v_fmac_f32_e32 v183, v202, v183
	v_mul_f32_e32 v202, v203, v183
	s_delay_alu instid0(VALU_DEP_1) | instskip(NEXT) | instid1(VALU_DEP_1)
	v_fma_f32 v204, -v182, v202, v203
	v_fmac_f32_e32 v202, v204, v183
	s_delay_alu instid0(VALU_DEP_1) | instskip(NEXT) | instid1(VALU_DEP_1)
	v_fma_f32 v182, -v182, v202, v203
	v_div_fmas_f32 v182, v182, v183, v202
	s_delay_alu instid0(VALU_DEP_1) | instskip(NEXT) | instid1(VALU_DEP_1)
	v_div_fixup_f32 v182, v182, v237, v236
	v_fma_f32 v183, v236, v182, v237
	s_delay_alu instid0(VALU_DEP_1) | instskip(SKIP_1) | instid1(VALU_DEP_2)
	v_div_scale_f32 v202, null, v183, v183, 1.0
	v_div_scale_f32 v205, vcc_lo, 1.0, v183, 1.0
	v_rcp_f32_e32 v203, v202
	v_nop
	s_delay_alu instid0(TRANS32_DEP_1) | instskip(NEXT) | instid1(VALU_DEP_1)
	v_fma_f32 v204, -v202, v203, 1.0
	v_fmac_f32_e32 v203, v204, v203
	s_delay_alu instid0(VALU_DEP_1) | instskip(NEXT) | instid1(VALU_DEP_1)
	v_mul_f32_e32 v204, v205, v203
	v_fma_f32 v214, -v202, v204, v205
	s_delay_alu instid0(VALU_DEP_1) | instskip(NEXT) | instid1(VALU_DEP_1)
	v_fmac_f32_e32 v204, v214, v203
	v_fma_f32 v202, -v202, v204, v205
	s_delay_alu instid0(VALU_DEP_1) | instskip(NEXT) | instid1(VALU_DEP_1)
	v_div_fmas_f32 v202, v202, v203, v204
	v_div_fixup_f32 v183, v202, v183, 1.0
	s_delay_alu instid0(VALU_DEP_1)
	v_mul_f32_e32 v182, v182, v183
	v_xor_b32_e32 v183, 0x80000000, v183
.LBB117_527:
	s_and_not1_saveexec_b32 s1, s1
	s_cbranch_execz .LBB117_529
; %bb.528:
	v_div_scale_f32 v182, null, v236, v236, v237
	v_div_scale_f32 v203, vcc_lo, v237, v236, v237
	s_delay_alu instid0(VALU_DEP_2) | instskip(SKIP_1) | instid1(TRANS32_DEP_1)
	v_rcp_f32_e32 v183, v182
	v_nop
	v_fma_f32 v202, -v182, v183, 1.0
	s_delay_alu instid0(VALU_DEP_1) | instskip(NEXT) | instid1(VALU_DEP_1)
	v_fmac_f32_e32 v183, v202, v183
	v_mul_f32_e32 v202, v203, v183
	s_delay_alu instid0(VALU_DEP_1) | instskip(NEXT) | instid1(VALU_DEP_1)
	v_fma_f32 v204, -v182, v202, v203
	v_fmac_f32_e32 v202, v204, v183
	s_delay_alu instid0(VALU_DEP_1) | instskip(NEXT) | instid1(VALU_DEP_1)
	v_fma_f32 v182, -v182, v202, v203
	v_div_fmas_f32 v182, v182, v183, v202
	s_delay_alu instid0(VALU_DEP_1) | instskip(NEXT) | instid1(VALU_DEP_1)
	v_div_fixup_f32 v183, v182, v236, v237
	v_fma_f32 v182, v237, v183, v236
	s_delay_alu instid0(VALU_DEP_1) | instskip(NEXT) | instid1(VALU_DEP_1)
	v_div_scale_f32 v202, null, v182, v182, 1.0
	v_rcp_f32_e32 v203, v202
	v_nop
	s_delay_alu instid0(TRANS32_DEP_1) | instskip(NEXT) | instid1(VALU_DEP_1)
	v_fma_f32 v204, -v202, v203, 1.0
	v_fmac_f32_e32 v203, v204, v203
	v_div_scale_f32 v204, vcc_lo, 1.0, v182, 1.0
	s_delay_alu instid0(VALU_DEP_1) | instskip(NEXT) | instid1(VALU_DEP_1)
	v_mul_f32_e32 v205, v204, v203
	v_fma_f32 v214, -v202, v205, v204
	s_delay_alu instid0(VALU_DEP_1) | instskip(NEXT) | instid1(VALU_DEP_1)
	v_fmac_f32_e32 v205, v214, v203
	v_fma_f32 v202, -v202, v205, v204
	s_delay_alu instid0(VALU_DEP_1) | instskip(NEXT) | instid1(VALU_DEP_1)
	v_div_fmas_f32 v202, v202, v203, v205
	v_div_fixup_f32 v182, v202, v182, 1.0
	s_delay_alu instid0(VALU_DEP_1)
	v_mul_f32_e64 v183, v183, -v182
.LBB117_529:
	s_or_b32 exec_lo, exec_lo, s1
	ds_store_b64 v201, v[182:183]
.LBB117_530:
	s_or_b32 exec_lo, exec_lo, s2
	s_wait_dscnt 0x0
	s_barrier_signal -1
	s_barrier_wait -1
	ds_load_b64 v[182:183], v201
	s_wait_dscnt 0x0
	s_barrier_signal -1
	s_barrier_wait -1
	s_and_saveexec_b32 s2, s0
	s_cbranch_execz .LBB117_533
; %bb.531:
	scratch_load_b64 v[0:1], off, off offset:368 th:TH_LOAD_LU ; 8-byte Folded Reload
	s_wait_loadcnt 0x0
	v_cmp_eq_f32_e32 vcc_lo, 0, v0
	v_cmp_eq_f32_e64 s0, 0, v1
	scratch_load_b64 v[0:1], off, off offset:376 th:TH_LOAD_LU ; 8-byte Folded Reload
	s_and_b32 s1, vcc_lo, s0
	s_delay_alu instid0(SALU_CYCLE_1)
	v_cndmask_b32_e64 v201, 0, 1, s1
	s_wait_loadcnt 0x0
	v_cmp_neq_f32_e32 vcc_lo, 0, v0
	v_cmp_neq_f32_e64 s0, 0, v1
	scratch_load_b64 v[0:1], off, off offset:384 th:TH_LOAD_LU ; 8-byte Folded Reload
	s_or_b32 s0, vcc_lo, s0
	s_delay_alu instid0(SALU_CYCLE_1)
	s_or_b32 vcc_lo, s0, s1
	v_cmp_eq_f32_e64 s1, 0, v183
	v_cndmask_b32_e32 v201, 2, v201, vcc_lo
	s_wait_loadcnt 0x0
	v_cmp_eq_f32_e32 vcc_lo, 0, v0
	v_cmp_eq_f32_e64 s0, 0, v1
	scratch_load_b64 v[0:1], off, off offset:392 th:TH_LOAD_LU ; 8-byte Folded Reload
	s_and_b32 s0, vcc_lo, s0
	v_cmp_eq_u32_e32 vcc_lo, 0, v201
	s_and_b32 s0, s0, vcc_lo
	s_delay_alu instid0(SALU_CYCLE_1)
	v_cndmask_b32_e64 v201, v201, 3, s0
	s_wait_loadcnt 0x0
	v_cmp_eq_f32_e32 vcc_lo, 0, v0
	v_cmp_eq_f32_e64 s0, 0, v1
	scratch_load_b64 v[0:1], off, off offset:400 th:TH_LOAD_LU ; 8-byte Folded Reload
	s_and_b32 s0, vcc_lo, s0
	v_cmp_eq_u32_e32 vcc_lo, 0, v201
	s_and_b32 s0, s0, vcc_lo
	s_delay_alu instid0(SALU_CYCLE_1)
	v_cndmask_b32_e64 v201, v201, 4, s0
	;; [unrolled: 9-line block ×7, first 2 shown]
	s_wait_loadcnt 0x0
	v_cmp_eq_f32_e32 vcc_lo, 0, v0
	v_cmp_eq_f32_e64 s0, 0, v1
	s_and_b32 s0, vcc_lo, s0
	v_cmp_eq_u32_e32 vcc_lo, 0, v201
	s_and_b32 s0, s0, vcc_lo
	v_cmp_eq_f32_e32 vcc_lo, 0, v2
	v_cndmask_b32_e64 v0, v201, 10, s0
	v_cmp_eq_f32_e64 s0, 0, v3
	s_and_b32 s0, vcc_lo, s0
	v_cmp_eq_u32_e32 vcc_lo, 0, v0
	s_and_b32 s0, s0, vcc_lo
	v_cmp_eq_f32_e32 vcc_lo, 0, v4
	v_cndmask_b32_e64 v0, v0, 11, s0
	;; [unrolled: 6-line block ×48, first 2 shown]
	v_cmp_eq_f32_e64 s0, 0, v199
	s_and_b32 s0, vcc_lo, s0
	v_cmp_eq_u32_e32 vcc_lo, 0, v0
	s_and_b32 s0, s0, vcc_lo
	s_delay_alu instid0(SALU_CYCLE_1) | instskip(SKIP_1) | instid1(VALU_DEP_2)
	v_cndmask_b32_e64 v0, v0, 58, s0
	v_cmp_eq_f32_e64 s0, 0, v182
	v_cmp_eq_u32_e32 vcc_lo, 0, v0
	s_and_b32 s0, s0, s1
	s_delay_alu instid0(SALU_CYCLE_1) | instskip(NEXT) | instid1(SALU_CYCLE_1)
	s_and_b32 s0, s0, vcc_lo
	v_cndmask_b32_e64 v2, v0, 59, s0
	v_lshl_add_u64 v[0:1], v[58:59], 2, s[6:7]
	s_delay_alu instid0(VALU_DEP_2) | instskip(SKIP_4) | instid1(SALU_CYCLE_1)
	v_cmp_ne_u32_e64 s0, 0, v2
	global_load_b32 v3, v[0:1], off
	s_wait_loadcnt 0x0
	v_cmp_eq_u32_e32 vcc_lo, 0, v3
	s_and_b32 s0, vcc_lo, s0
	s_and_b32 exec_lo, exec_lo, s0
	s_cbranch_execz .LBB117_533
; %bb.532:
	v_add_nc_u32_e32 v2, s3, v2
	global_store_b32 v[0:1], v2, off
.LBB117_533:
	s_wait_xcnt 0x0
	s_or_b32 exec_lo, exec_lo, s2
	v_pk_mul_f32 v[0:1], v[182:183], v[236:237] op_sel:[1,1] op_sel_hi:[0,1]
	v_cmp_lt_u32_e32 vcc_lo, 58, v200
	s_clause 0xc
	global_store_b64 v[246:247], v[54:55], off
	global_store_b64 v[254:255], v[56:57], off
	;; [unrolled: 1-line block ×13, first 2 shown]
	v_pk_fma_f32 v[2:3], v[182:183], v[236:237], v[0:1] op_sel_hi:[1,0,1]
	v_pk_fma_f32 v[0:1], v[182:183], v[236:237], v[0:1] neg_lo:[0,0,1] neg_hi:[0,0,1]
	s_delay_alu instid0(VALU_DEP_1)
	v_dual_cndmask_b32 v1, v237, v3 :: v_dual_cndmask_b32 v0, v236, v0
	scratch_load_b64 v[2:3], off, off th:TH_LOAD_LU ; 8-byte Folded Reload
	s_wait_loadcnt 0x0
	global_store_b64 v[2:3], v[62:63], off
	scratch_load_b64 v[2:3], off, off offset:8 th:TH_LOAD_LU ; 8-byte Folded Reload
	s_wait_loadcnt 0x0
	global_store_b64 v[2:3], v[64:65], off
	scratch_load_b64 v[2:3], off, off offset:16 th:TH_LOAD_LU ; 8-byte Folded Reload
	;; [unrolled: 3-line block ×45, first 2 shown]
	s_wait_loadcnt 0x0
	global_store_b64 v[2:3], v[0:1], off
.LBB117_534:
	s_sendmsg sendmsg(MSG_DEALLOC_VGPRS)
	s_endpgm
	.section	.rodata,"a",@progbits
	.p2align	6, 0x0
	.amdhsa_kernel _ZN9rocsolver6v33100L23getf2_npvt_small_kernelILi59E19rocblas_complex_numIfEiiPS3_EEvT1_T3_lS5_lPT2_S5_S5_
		.amdhsa_group_segment_fixed_size 0
		.amdhsa_private_segment_fixed_size 452
		.amdhsa_kernarg_size 312
		.amdhsa_user_sgpr_count 2
		.amdhsa_user_sgpr_dispatch_ptr 0
		.amdhsa_user_sgpr_queue_ptr 0
		.amdhsa_user_sgpr_kernarg_segment_ptr 1
		.amdhsa_user_sgpr_dispatch_id 0
		.amdhsa_user_sgpr_kernarg_preload_length 0
		.amdhsa_user_sgpr_kernarg_preload_offset 0
		.amdhsa_user_sgpr_private_segment_size 0
		.amdhsa_wavefront_size32 1
		.amdhsa_uses_dynamic_stack 0
		.amdhsa_enable_private_segment 1
		.amdhsa_system_sgpr_workgroup_id_x 1
		.amdhsa_system_sgpr_workgroup_id_y 1
		.amdhsa_system_sgpr_workgroup_id_z 0
		.amdhsa_system_sgpr_workgroup_info 0
		.amdhsa_system_vgpr_workitem_id 1
		.amdhsa_next_free_vgpr 256
		.amdhsa_next_free_sgpr 15
		.amdhsa_named_barrier_count 0
		.amdhsa_reserve_vcc 1
		.amdhsa_float_round_mode_32 0
		.amdhsa_float_round_mode_16_64 0
		.amdhsa_float_denorm_mode_32 3
		.amdhsa_float_denorm_mode_16_64 3
		.amdhsa_fp16_overflow 0
		.amdhsa_memory_ordered 1
		.amdhsa_forward_progress 1
		.amdhsa_inst_pref_size 255
		.amdhsa_round_robin_scheduling 0
		.amdhsa_exception_fp_ieee_invalid_op 0
		.amdhsa_exception_fp_denorm_src 0
		.amdhsa_exception_fp_ieee_div_zero 0
		.amdhsa_exception_fp_ieee_overflow 0
		.amdhsa_exception_fp_ieee_underflow 0
		.amdhsa_exception_fp_ieee_inexact 0
		.amdhsa_exception_int_div_zero 0
	.end_amdhsa_kernel
	.section	.text._ZN9rocsolver6v33100L23getf2_npvt_small_kernelILi59E19rocblas_complex_numIfEiiPS3_EEvT1_T3_lS5_lPT2_S5_S5_,"axG",@progbits,_ZN9rocsolver6v33100L23getf2_npvt_small_kernelILi59E19rocblas_complex_numIfEiiPS3_EEvT1_T3_lS5_lPT2_S5_S5_,comdat
.Lfunc_end117:
	.size	_ZN9rocsolver6v33100L23getf2_npvt_small_kernelILi59E19rocblas_complex_numIfEiiPS3_EEvT1_T3_lS5_lPT2_S5_S5_, .Lfunc_end117-_ZN9rocsolver6v33100L23getf2_npvt_small_kernelILi59E19rocblas_complex_numIfEiiPS3_EEvT1_T3_lS5_lPT2_S5_S5_
                                        ; -- End function
	.set _ZN9rocsolver6v33100L23getf2_npvt_small_kernelILi59E19rocblas_complex_numIfEiiPS3_EEvT1_T3_lS5_lPT2_S5_S5_.num_vgpr, 256
	.set _ZN9rocsolver6v33100L23getf2_npvt_small_kernelILi59E19rocblas_complex_numIfEiiPS3_EEvT1_T3_lS5_lPT2_S5_S5_.num_agpr, 0
	.set _ZN9rocsolver6v33100L23getf2_npvt_small_kernelILi59E19rocblas_complex_numIfEiiPS3_EEvT1_T3_lS5_lPT2_S5_S5_.numbered_sgpr, 15
	.set _ZN9rocsolver6v33100L23getf2_npvt_small_kernelILi59E19rocblas_complex_numIfEiiPS3_EEvT1_T3_lS5_lPT2_S5_S5_.num_named_barrier, 0
	.set _ZN9rocsolver6v33100L23getf2_npvt_small_kernelILi59E19rocblas_complex_numIfEiiPS3_EEvT1_T3_lS5_lPT2_S5_S5_.private_seg_size, 452
	.set _ZN9rocsolver6v33100L23getf2_npvt_small_kernelILi59E19rocblas_complex_numIfEiiPS3_EEvT1_T3_lS5_lPT2_S5_S5_.uses_vcc, 1
	.set _ZN9rocsolver6v33100L23getf2_npvt_small_kernelILi59E19rocblas_complex_numIfEiiPS3_EEvT1_T3_lS5_lPT2_S5_S5_.uses_flat_scratch, 1
	.set _ZN9rocsolver6v33100L23getf2_npvt_small_kernelILi59E19rocblas_complex_numIfEiiPS3_EEvT1_T3_lS5_lPT2_S5_S5_.has_dyn_sized_stack, 0
	.set _ZN9rocsolver6v33100L23getf2_npvt_small_kernelILi59E19rocblas_complex_numIfEiiPS3_EEvT1_T3_lS5_lPT2_S5_S5_.has_recursion, 0
	.set _ZN9rocsolver6v33100L23getf2_npvt_small_kernelILi59E19rocblas_complex_numIfEiiPS3_EEvT1_T3_lS5_lPT2_S5_S5_.has_indirect_call, 0
	.section	.AMDGPU.csdata,"",@progbits
; Kernel info:
; codeLenInByte = 141804
; TotalNumSgprs: 17
; NumVgprs: 256
; ScratchSize: 452
; MemoryBound: 0
; FloatMode: 240
; IeeeMode: 1
; LDSByteSize: 0 bytes/workgroup (compile time only)
; SGPRBlocks: 0
; VGPRBlocks: 15
; NumSGPRsForWavesPerEU: 17
; NumVGPRsForWavesPerEU: 256
; NamedBarCnt: 0
; Occupancy: 4
; WaveLimiterHint : 0
; COMPUTE_PGM_RSRC2:SCRATCH_EN: 1
; COMPUTE_PGM_RSRC2:USER_SGPR: 2
; COMPUTE_PGM_RSRC2:TRAP_HANDLER: 0
; COMPUTE_PGM_RSRC2:TGID_X_EN: 1
; COMPUTE_PGM_RSRC2:TGID_Y_EN: 1
; COMPUTE_PGM_RSRC2:TGID_Z_EN: 0
; COMPUTE_PGM_RSRC2:TIDIG_COMP_CNT: 1
	.section	.text._ZN9rocsolver6v33100L18getf2_small_kernelILi60E19rocblas_complex_numIfEiiPS3_EEvT1_T3_lS5_lPS5_llPT2_S5_S5_S7_l,"axG",@progbits,_ZN9rocsolver6v33100L18getf2_small_kernelILi60E19rocblas_complex_numIfEiiPS3_EEvT1_T3_lS5_lPS5_llPT2_S5_S5_S7_l,comdat
	.globl	_ZN9rocsolver6v33100L18getf2_small_kernelILi60E19rocblas_complex_numIfEiiPS3_EEvT1_T3_lS5_lPS5_llPT2_S5_S5_S7_l ; -- Begin function _ZN9rocsolver6v33100L18getf2_small_kernelILi60E19rocblas_complex_numIfEiiPS3_EEvT1_T3_lS5_lPS5_llPT2_S5_S5_S7_l
	.p2align	8
	.type	_ZN9rocsolver6v33100L18getf2_small_kernelILi60E19rocblas_complex_numIfEiiPS3_EEvT1_T3_lS5_lPS5_llPT2_S5_S5_S7_l,@function
_ZN9rocsolver6v33100L18getf2_small_kernelILi60E19rocblas_complex_numIfEiiPS3_EEvT1_T3_lS5_lPS5_llPT2_S5_S5_S7_l: ; @_ZN9rocsolver6v33100L18getf2_small_kernelILi60E19rocblas_complex_numIfEiiPS3_EEvT1_T3_lS5_lPS5_llPT2_S5_S5_S7_l
; %bb.0:
	s_clause 0x1
	s_load_u16 s2, s[0:1], 0x6e
	s_load_b64 s[16:17], s[0:1], 0x48
	s_bfe_u32 s3, ttmp6, 0x40010
	s_bfe_u32 s4, ttmp6, 0x40004
	s_add_co_i32 s3, s3, 1
	s_getreg_b32 s5, hwreg(HW_REG_IB_STS2, 6, 4)
	s_mul_i32 s3, ttmp7, s3
	v_bfe_u32 v128, v0, 10, 10
	s_add_co_i32 s4, s4, s3
	s_cmp_eq_u32 s5, 0
	s_cselect_b32 s3, ttmp7, s4
	s_wait_kmcnt 0x0
	v_mad_u32 v2, s3, s2, v128
	s_mov_b32 s2, exec_lo
	s_delay_alu instid0(VALU_DEP_1)
	v_cmpx_gt_i32_e64 s16, v2
	s_cbranch_execnz .LBB118_1
; %bb.1262:
	s_add_pc_i64 .LBB118_1261-.Lpost_addpc10
.Lpost_addpc10:
.LBB118_1:
	s_load_b128 s[4:7], s[0:1], 0x50
	v_mov_b64_e32 v[4:5], 0
	v_ashrrev_i32_e32 v3, 31, v2
	s_wait_kmcnt 0x0
	s_cmp_eq_u64 s[4:5], 0
	s_cselect_b32 s16, -1, 0
	s_delay_alu instid0(SALU_CYCLE_1)
	s_and_b32 vcc_lo, exec_lo, s16
	s_cbranch_vccnz .LBB118_3
; %bb.2:
	v_mul_u64_e32 v[4:5], s[6:7], v[2:3]
	s_delay_alu instid0(VALU_DEP_1)
	v_lshl_add_u64 v[4:5], v[4:5], 2, s[4:5]
.LBB118_3:
	s_clause 0x2
	s_load_b32 s2, s[0:1], 0x18
	s_load_b128 s[12:15], s[0:1], 0x8
	s_load_b32 s18, s[0:1], 0x0
	v_and_b32_e32 v133, 0x3ff, v0
	s_load_b256 s[4:11], s[0:1], 0x20
	s_delay_alu instid0(VALU_DEP_1) | instskip(SKIP_4) | instid1(VALU_DEP_2)
	v_dual_mov_b32 v127, 0 :: v_dual_lshlrev_b32 v126, 3, v133
	s_wait_kmcnt 0x0
	v_add3_u32 v8, s2, s2, v133
	s_ashr_i32 s3, s2, 31
	v_mul_u64_e32 v[0:1], s[4:5], v[2:3]
	v_add_nc_u32_e32 v6, s2, v8
	s_max_i32 s4, s18, 60
	s_cmp_lt_i32 s18, 2
	s_delay_alu instid0(VALU_DEP_1) | instskip(NEXT) | instid1(VALU_DEP_1)
	v_add_nc_u32_e32 v10, s2, v6
	v_add_nc_u32_e32 v12, s2, v10
	s_delay_alu instid0(VALU_DEP_1) | instskip(SKIP_1) | instid1(VALU_DEP_2)
	v_dual_ashrrev_i32 v7, 31, v6 :: v_dual_add_nc_u32 v14, s2, v12
	v_dual_ashrrev_i32 v9, 31, v8 :: v_dual_ashrrev_i32 v11, 31, v10
	v_dual_ashrrev_i32 v13, 31, v12 :: v_dual_add_nc_u32 v16, s2, v14
	s_delay_alu instid0(VALU_DEP_1) | instskip(NEXT) | instid1(VALU_DEP_1)
	v_add_nc_u32_e32 v18, s2, v16
	v_add_nc_u32_e32 v20, s2, v18
	v_lshl_add_u64 v[0:1], v[0:1], 3, s[12:13]
	s_delay_alu instid0(VALU_DEP_2) | instskip(NEXT) | instid1(VALU_DEP_2)
	v_add_nc_u32_e32 v22, s2, v20
	v_lshl_add_u64 v[0:1], s[14:15], 3, v[0:1]
	v_dual_ashrrev_i32 v15, 31, v14 :: v_dual_ashrrev_i32 v17, 31, v16
	s_delay_alu instid0(VALU_DEP_3) | instskip(NEXT) | instid1(VALU_DEP_3)
	v_add_nc_u32_e32 v24, s2, v22
	v_lshl_add_u64 v[10:11], v[10:11], 3, v[0:1]
	v_add_nc_u64_e32 v[38:39], v[0:1], v[126:127]
	s_delay_alu instid0(VALU_DEP_4)
	v_lshl_add_u64 v[14:15], v[14:15], 3, v[0:1]
	v_lshl_add_u64 v[16:17], v[16:17], 3, v[0:1]
	v_add_nc_u32_e32 v26, s2, v24
	v_lshl_add_u64 v[8:9], v[8:9], 3, v[0:1]
	v_lshl_add_u64 v[6:7], v[6:7], 3, v[0:1]
	v_ashrrev_i32_e32 v19, 31, v18
	v_lshl_add_u64 v[12:13], v[12:13], 3, v[0:1]
	v_add_nc_u32_e32 v28, s2, v26
	s_clause 0x3
	global_load_b64 v[114:115], v[10:11], off
	global_load_b64 v[110:111], v[12:13], off
	;; [unrolled: 1-line block ×4, first 2 shown]
	s_wait_xcnt 0x3
	v_lshl_add_u64 v[10:11], s[2:3], 3, v[38:39]
	v_add_nc_u32_e32 v30, s2, v28
	v_lshl_add_u64 v[18:19], v[18:19], 3, v[0:1]
	s_clause 0x3
	global_load_b64 v[118:119], v[8:9], off
	global_load_b64 v[116:117], v[6:7], off
	;; [unrolled: 1-line block ×4, first 2 shown]
	v_dual_ashrrev_i32 v23, 31, v22 :: v_dual_ashrrev_i32 v25, 31, v24
	v_add_nc_u32_e32 v32, s2, v30
	v_ashrrev_i32_e32 v27, 31, v26
	s_wait_xcnt 0x6
	s_delay_alu instid0(VALU_DEP_3)
	v_lshl_add_u64 v[12:13], v[22:23], 3, v[0:1]
	s_wait_xcnt 0x2
	v_lshl_add_u64 v[6:7], v[24:25], 3, v[0:1]
	v_add_nc_u32_e32 v34, s2, v32
	v_ashrrev_i32_e32 v29, 31, v28
	s_wait_xcnt 0x0
	v_lshl_add_u64 v[10:11], v[26:27], 3, v[0:1]
	s_delay_alu instid0(VALU_DEP_3) | instskip(SKIP_2) | instid1(VALU_DEP_3)
	v_add_nc_u32_e32 v36, s2, v34
	v_ashrrev_i32_e32 v31, 31, v30
	v_lshl_add_u64 v[16:17], v[28:29], 3, v[0:1]
	v_dual_add_nc_u32 v44, s2, v36 :: v_dual_ashrrev_i32 v37, 31, v36
	s_delay_alu instid0(VALU_DEP_1) | instskip(NEXT) | instid1(VALU_DEP_1)
	v_dual_add_nc_u32 v46, s2, v44 :: v_dual_ashrrev_i32 v45, 31, v44
	v_dual_ashrrev_i32 v47, 31, v46 :: v_dual_add_nc_u32 v48, s2, v46
	s_delay_alu instid0(VALU_DEP_2) | instskip(NEXT) | instid1(VALU_DEP_2)
	v_lshl_add_u64 v[24:25], v[44:45], 3, v[0:1]
	v_lshl_add_u64 v[26:27], v[46:47], 3, v[0:1]
	s_delay_alu instid0(VALU_DEP_3) | instskip(NEXT) | instid1(VALU_DEP_1)
	v_dual_add_nc_u32 v50, s2, v48 :: v_dual_ashrrev_i32 v49, 31, v48
	v_dual_add_nc_u32 v52, s2, v50 :: v_dual_ashrrev_i32 v51, 31, v50
	s_delay_alu instid0(VALU_DEP_1) | instskip(SKIP_1) | instid1(VALU_DEP_2)
	v_add_nc_u32_e32 v54, s2, v52
	v_ashrrev_i32_e32 v21, 31, v20
	v_dual_ashrrev_i32 v53, 31, v52 :: v_dual_add_nc_u32 v56, s2, v54
	s_delay_alu instid0(VALU_DEP_2)
	v_lshl_add_u64 v[20:21], v[20:21], 3, v[0:1]
	s_clause 0x3
	global_load_b64 v[108:109], v[18:19], off
	global_load_b64 v[104:105], v[20:21], off
	;; [unrolled: 1-line block ×4, first 2 shown]
	v_add_nc_u32_e32 v58, s2, v56
	s_wait_xcnt 0x3
	v_lshl_add_u64 v[18:19], v[30:31], 3, v[0:1]
	s_delay_alu instid0(VALU_DEP_2) | instskip(NEXT) | instid1(VALU_DEP_1)
	v_dual_add_nc_u32 v60, s2, v58 :: v_dual_ashrrev_i32 v59, 31, v58
	v_dual_add_nc_u32 v14, s2, v60 :: v_dual_ashrrev_i32 v61, 31, v60
	s_delay_alu instid0(VALU_DEP_2) | instskip(NEXT) | instid1(VALU_DEP_2)
	v_lshl_add_u64 v[46:47], v[58:59], 3, v[0:1]
	v_dual_add_nc_u32 v8, s2, v14 :: v_dual_ashrrev_i32 v15, 31, v14
	s_wait_xcnt 0x0
	s_delay_alu instid0(VALU_DEP_1) | instskip(SKIP_1) | instid1(VALU_DEP_3)
	v_add_nc_u32_e32 v6, s2, v8
	v_ashrrev_i32_e32 v33, 31, v32
	v_lshl_add_u64 v[14:15], v[14:15], 3, v[0:1]
	s_delay_alu instid0(VALU_DEP_3) | instskip(SKIP_1) | instid1(VALU_DEP_4)
	v_add_nc_u32_e32 v12, s2, v6
	v_ashrrev_i32_e32 v35, 31, v34
	v_lshl_add_u64 v[20:21], v[32:33], 3, v[0:1]
	s_clause 0x3
	global_load_b64 v[102:103], v[10:11], off
	global_load_b64 v[98:99], v[16:17], off
	;; [unrolled: 1-line block ×4, first 2 shown]
	v_add_nc_u32_e32 v22, s2, v12
	s_wait_xcnt 0x2
	v_lshl_add_u64 v[16:17], v[34:35], 3, v[0:1]
	s_wait_xcnt 0x0
	v_lshl_add_u64 v[20:21], v[36:37], 3, v[0:1]
	s_clause 0x3
	global_load_b64 v[96:97], v[16:17], off
	global_load_b64 v[92:93], v[20:21], off
	;; [unrolled: 1-line block ×4, first 2 shown]
	v_add_nc_u32_e32 v10, s2, v22
	s_wait_xcnt 0x2
	v_lshl_add_u64 v[20:21], v[48:49], 3, v[0:1]
	s_wait_xcnt 0x1
	v_lshl_add_u64 v[24:25], v[50:51], 3, v[0:1]
	v_lshl_add_u64 v[32:33], v[52:53], 3, v[0:1]
	;; [unrolled: 1-line block ×3, first 2 shown]
	v_add_nc_u32_e32 v18, s2, v10
	v_dual_ashrrev_i32 v7, 31, v6 :: v_dual_ashrrev_i32 v13, 31, v12
	s_delay_alu instid0(VALU_DEP_2) | instskip(NEXT) | instid1(VALU_DEP_2)
	v_add_nc_u32_e32 v28, s2, v18
	v_lshl_add_u64 v[6:7], v[6:7], 3, v[0:1]
	s_delay_alu instid0(VALU_DEP_3) | instskip(NEXT) | instid1(VALU_DEP_3)
	v_lshl_add_u64 v[12:13], v[12:13], 3, v[0:1]
	v_dual_add_nc_u32 v16, s2, v28 :: v_dual_ashrrev_i32 v55, 31, v54
	v_dual_ashrrev_i32 v11, 31, v10 :: v_dual_ashrrev_i32 v29, 31, v28
	s_wait_xcnt 0x0
	s_delay_alu instid0(VALU_DEP_2)
	v_add_nc_u32_e32 v26, s2, v16
	v_ashrrev_i32_e32 v57, 31, v56
	v_lshl_add_u64 v[34:35], v[54:55], 3, v[0:1]
	s_clause 0x3
	global_load_b64 v[90:91], v[20:21], off
	global_load_b64 v[86:87], v[24:25], off
	;; [unrolled: 1-line block ×4, first 2 shown]
	v_add_nc_u32_e32 v44, s2, v26
	s_wait_xcnt 0x3
	v_lshl_add_u64 v[20:21], v[56:57], 3, v[0:1]
	s_clause 0x3
	global_load_b64 v[84:85], v[20:21], off
	global_load_b64 v[80:81], v[46:47], off
	;; [unrolled: 1-line block ×4, first 2 shown]
	s_wait_xcnt 0x5
	v_dual_add_nc_u32 v32, s2, v44 :: v_dual_ashrrev_i32 v19, 31, v18
	v_ashrrev_i32_e32 v45, 31, v44
	v_ashrrev_i32_e32 v17, 31, v16
	s_wait_xcnt 0x4
	s_delay_alu instid0(VALU_DEP_3) | instskip(SKIP_3) | instid1(VALU_DEP_4)
	v_add_nc_u32_e32 v34, s2, v32
	v_ashrrev_i32_e32 v9, 31, v8
	v_ashrrev_i32_e32 v33, 31, v32
	v_lshl_add_u64 v[16:17], v[16:17], 3, v[0:1]
	v_add_nc_u32_e32 v50, s2, v34
	s_delay_alu instid0(VALU_DEP_4) | instskip(NEXT) | instid1(VALU_DEP_4)
	v_lshl_add_u64 v[8:9], v[8:9], 3, v[0:1]
	v_lshl_add_u64 v[32:33], v[32:33], 3, v[0:1]
	s_wait_xcnt 0x0
	s_delay_alu instid0(VALU_DEP_3) | instskip(NEXT) | instid1(VALU_DEP_1)
	v_add_nc_u32_e32 v14, s2, v50
	v_add_nc_u32_e32 v46, s2, v14
	s_delay_alu instid0(VALU_DEP_1) | instskip(SKIP_1) | instid1(VALU_DEP_1)
	v_add_nc_u32_e32 v48, s2, v46
	v_ashrrev_i32_e32 v23, 31, v22
	v_lshl_add_u64 v[20:21], v[22:23], 3, v[0:1]
	s_clause 0x3
	global_load_b64 v[78:79], v[8:9], off
	global_load_b64 v[74:75], v[6:7], off
	;; [unrolled: 1-line block ×4, first 2 shown]
	s_wait_xcnt 0x2
	v_add_nc_u32_e32 v6, s2, v48
	v_lshl_add_u64 v[8:9], v[10:11], 3, v[0:1]
	s_wait_xcnt 0x1
	v_lshl_add_u64 v[12:13], v[18:19], 3, v[0:1]
	v_lshl_add_u64 v[18:19], v[28:29], 3, v[0:1]
	s_clause 0x3
	global_load_b64 v[72:73], v[8:9], off
	global_load_b64 v[68:69], v[12:13], off
	;; [unrolled: 1-line block ×4, first 2 shown]
	v_add_nc_u32_e32 v10, s2, v6
	s_delay_alu instid0(VALU_DEP_1) | instskip(SKIP_1) | instid1(VALU_DEP_1)
	v_add_nc_u32_e32 v28, s2, v10
	s_wait_xcnt 0x3
	v_dual_add_nc_u32 v8, s2, v28 :: v_dual_ashrrev_i32 v27, 31, v26
	v_dual_ashrrev_i32 v51, 31, v50 :: v_dual_ashrrev_i32 v49, 31, v48
	s_wait_xcnt 0x0
	s_delay_alu instid0(VALU_DEP_2) | instskip(NEXT) | instid1(VALU_DEP_3)
	v_add_nc_u32_e32 v16, s2, v8
	v_lshl_add_u64 v[12:13], v[26:27], 3, v[0:1]
	v_lshl_add_u64 v[26:27], v[44:45], 3, v[0:1]
	;; [unrolled: 1-line block ×3, first 2 shown]
	s_delay_alu instid0(VALU_DEP_4) | instskip(SKIP_3) | instid1(VALU_DEP_3)
	v_dual_ashrrev_i32 v7, 31, v6 :: v_dual_ashrrev_i32 v17, 31, v16
	v_dual_add_nc_u32 v44, s2, v16 :: v_dual_ashrrev_i32 v35, 31, v34
	v_dual_ashrrev_i32 v9, 31, v8 :: v_dual_ashrrev_i32 v47, 31, v46
	v_dual_ashrrev_i32 v29, 31, v28 :: v_dual_ashrrev_i32 v11, 31, v10
	v_ashrrev_i32_e32 v45, 31, v44
	s_delay_alu instid0(VALU_DEP_4)
	v_lshl_add_u64 v[34:35], v[34:35], 3, v[0:1]
	s_clause 0x3
	global_load_b64 v[66:67], v[12:13], off
	global_load_b64 v[62:63], v[26:27], off
	;; [unrolled: 1-line block ×4, first 2 shown]
	s_wait_xcnt 0x2
	v_add_nc_u32_e32 v26, s2, v44
	s_wait_xcnt 0x1
	v_lshl_add_u64 v[32:33], v[50:51], 3, v[0:1]
	v_lshl_add_u64 v[46:47], v[46:47], 3, v[0:1]
	;; [unrolled: 1-line block ×4, first 2 shown]
	s_wait_xcnt 0x0
	v_add_nc_u32_e32 v34, s2, v26
	v_lshl_add_u64 v[8:9], v[8:9], 3, v[0:1]
	s_delay_alu instid0(VALU_DEP_2) | instskip(SKIP_1) | instid1(VALU_DEP_1)
	v_add_nc_u32_e32 v124, s2, v34
	v_ashrrev_i32_e32 v15, 31, v14
	v_lshl_add_u64 v[14:15], v[14:15], 3, v[0:1]
	s_clause 0x3
	global_load_b64 v[60:61], v[32:33], off
	global_load_b64 v[56:57], v[14:15], off
	;; [unrolled: 1-line block ×4, first 2 shown]
	s_wait_xcnt 0x2
	v_add_nc_u32_e32 v14, s2, v124
	s_wait_xcnt 0x1
	v_lshl_add_u64 v[46:47], v[10:11], 3, v[0:1]
	s_clause 0x3
	global_load_b64 v[54:55], v[6:7], off
	global_load_b64 v[50:51], v[46:47], off
	;; [unrolled: 1-line block ×4, first 2 shown]
	v_add_nc_u32_e32 v32, s2, v14
	s_wait_xcnt 0x0
	v_lshl_add_u64 v[8:9], v[16:17], 3, v[0:1]
	v_lshl_add_u64 v[16:17], v[44:45], 3, v[0:1]
	s_delay_alu instid0(VALU_DEP_3) | instskip(SKIP_1) | instid1(VALU_DEP_2)
	v_add_nc_u32_e32 v130, s2, v32
	v_dual_ashrrev_i32 v125, 31, v124 :: v_dual_ashrrev_i32 v27, 31, v26
	v_dual_ashrrev_i32 v33, 31, v32 :: v_dual_add_nc_u32 v6, s2, v130
	v_ashrrev_i32_e32 v131, 31, v130
	s_delay_alu instid0(VALU_DEP_3) | instskip(NEXT) | instid1(VALU_DEP_3)
	v_lshl_add_u64 v[26:27], v[26:27], 3, v[0:1]
	v_add_nc_u32_e32 v28, s2, v6
	s_delay_alu instid0(VALU_DEP_1) | instskip(SKIP_1) | instid1(VALU_DEP_2)
	v_dual_add_nc_u32 v134, s2, v28 :: v_dual_ashrrev_i32 v7, 31, v6
	v_dual_ashrrev_i32 v35, 31, v34 :: v_dual_ashrrev_i32 v29, 31, v28
	v_ashrrev_i32_e32 v135, 31, v134
	s_delay_alu instid0(VALU_DEP_2)
	v_lshl_add_u64 v[34:35], v[34:35], 3, v[0:1]
	s_clause 0x3
	global_load_b64 v[46:47], v[8:9], off
	global_load_b64 v[44:45], v[16:17], off
	; meta instruction
	; meta instruction
	global_load_b64 v[48:49], v[26:27], off
	global_load_b64 v[8:9], v[34:35], off
	s_wait_xcnt 0x1
	v_lshl_add_u64 v[26:27], v[32:33], 3, v[0:1]
	v_add_nc_u32_e32 v32, s2, v134
	v_ashrrev_i32_e32 v15, 31, v14
	v_lshl_add_u64 v[16:17], v[124:125], 3, v[0:1]
	v_lshl_add_u64 v[124:125], v[130:131], 3, v[0:1]
	;; [unrolled: 1-line block ×3, first 2 shown]
	v_ashrrev_i32_e32 v33, 31, v32
	v_lshl_add_u64 v[14:15], v[14:15], 3, v[0:1]
	v_lshl_add_u64 v[136:137], v[28:29], 3, v[0:1]
	;; [unrolled: 1-line block ×3, first 2 shown]
	s_delay_alu instid0(VALU_DEP_4)
	v_lshl_add_u64 v[138:139], v[32:33], 3, v[0:1]
	s_clause 0x7
	global_load_b64 v[34:35], v[16:17], off
	global_load_b64 v[28:29], v[14:15], off
	;; [unrolled: 1-line block ×8, first 2 shown]
	s_wait_xcnt 0x3
	v_mul_lo_u32 v131, s4, v128
	s_load_b64 s[4:5], s[0:1], 0x40
	s_delay_alu instid0(VALU_DEP_1) | instskip(NEXT) | instid1(VALU_DEP_1)
	v_lshl_add_u32 v130, v131, 3, 0
	v_dual_lshlrev_b32 v131, 3, v131 :: v_dual_add_nc_u32 v126, v130, v126
	s_wait_loadcnt 0x35
	ds_store_b64 v126, v[122:123]
	s_wait_loadcnt_dscnt 0x0
	s_barrier_signal -1
	s_barrier_wait -1
	ds_load_b64 v[128:129], v130
	s_cbranch_scc1 .LBB118_6
; %bb.4:
	v_add3_u32 v126, v131, 0, 8
	v_mov_b32_e32 v127, 0
	s_wait_xcnt 0x0
	s_mov_b32 s0, 1
.LBB118_5:                              ; =>This Inner Loop Header: Depth=1
	ds_load_b64 v[134:135], v126
	s_wait_dscnt 0x1
	v_cmp_gt_f32_e32 vcc_lo, 0, v128
	v_cndmask_b32_e64 v136, v128, -v128, vcc_lo
	v_cmp_gt_f32_e32 vcc_lo, 0, v129
	v_cndmask_b32_e64 v138, v129, -v129, vcc_lo
	s_wait_dscnt 0x0
	v_cmp_gt_f32_e32 vcc_lo, 0, v134
	v_cndmask_b32_e64 v137, v134, -v134, vcc_lo
	v_cmp_gt_f32_e32 vcc_lo, 0, v135
	v_cndmask_b32_e64 v139, v135, -v135, vcc_lo
	s_delay_alu instid0(VALU_DEP_1) | instskip(NEXT) | instid1(VALU_DEP_1)
	v_pk_add_f32 v[136:137], v[136:137], v[138:139]
	v_cmp_lt_f32_e32 vcc_lo, v136, v137
	v_dual_cndmask_b32 v129, v129, v135 :: v_dual_add_nc_u32 v126, 8, v126
	v_cndmask_b32_e32 v128, v128, v134, vcc_lo
	v_cndmask_b32_e64 v127, v127, s0, vcc_lo
	s_add_co_i32 s0, s0, 1
	s_delay_alu instid0(SALU_CYCLE_1)
	s_cmp_eq_u32 s18, s0
	s_cbranch_scc0 .LBB118_5
.LBB118_6:
	s_wait_dscnt 0x0
	v_cmp_neq_f32_e32 vcc_lo, 0, v128
	s_wait_xcnt 0x0
	v_cmp_neq_f32_e64 s0, 0, v129
	v_dual_mov_b32 v132, 1 :: v_dual_mov_b32 v135, 1
	s_or_b32 s1, vcc_lo, s0
	s_delay_alu instid0(SALU_CYCLE_1)
	s_and_saveexec_b32 s0, s1
	s_cbranch_execz .LBB118_12
; %bb.7:
	v_cmp_ngt_f32_e64 s1, |v128|, |v129|
	s_and_saveexec_b32 s12, s1
	s_delay_alu instid0(SALU_CYCLE_1)
	s_xor_b32 s1, exec_lo, s12
	s_cbranch_execz .LBB118_9
; %bb.8:
	v_div_scale_f32 v126, null, v129, v129, v128
	v_div_scale_f32 v135, vcc_lo, v128, v129, v128
	s_delay_alu instid0(VALU_DEP_2) | instskip(SKIP_1) | instid1(TRANS32_DEP_1)
	v_rcp_f32_e32 v132, v126
	v_nop
	v_fma_f32 v134, -v126, v132, 1.0
	s_delay_alu instid0(VALU_DEP_1) | instskip(NEXT) | instid1(VALU_DEP_1)
	v_fmac_f32_e32 v132, v134, v132
	v_mul_f32_e32 v134, v135, v132
	s_delay_alu instid0(VALU_DEP_1) | instskip(NEXT) | instid1(VALU_DEP_1)
	v_fma_f32 v136, -v126, v134, v135
	v_fmac_f32_e32 v134, v136, v132
	s_delay_alu instid0(VALU_DEP_1) | instskip(NEXT) | instid1(VALU_DEP_1)
	v_fma_f32 v126, -v126, v134, v135
	v_div_fmas_f32 v126, v126, v132, v134
	s_delay_alu instid0(VALU_DEP_1) | instskip(NEXT) | instid1(VALU_DEP_1)
	v_div_fixup_f32 v126, v126, v129, v128
	v_fmac_f32_e32 v129, v128, v126
	s_delay_alu instid0(VALU_DEP_1) | instskip(SKIP_1) | instid1(VALU_DEP_2)
	v_div_scale_f32 v128, null, v129, v129, 1.0
	v_div_scale_f32 v135, vcc_lo, 1.0, v129, 1.0
	v_rcp_f32_e32 v132, v128
	v_nop
	s_delay_alu instid0(TRANS32_DEP_1) | instskip(NEXT) | instid1(VALU_DEP_1)
	v_fma_f32 v134, -v128, v132, 1.0
	v_fmac_f32_e32 v132, v134, v132
	s_delay_alu instid0(VALU_DEP_1) | instskip(NEXT) | instid1(VALU_DEP_1)
	v_mul_f32_e32 v134, v135, v132
	v_fma_f32 v136, -v128, v134, v135
	s_delay_alu instid0(VALU_DEP_1) | instskip(NEXT) | instid1(VALU_DEP_1)
	v_fmac_f32_e32 v134, v136, v132
	v_fma_f32 v128, -v128, v134, v135
	s_delay_alu instid0(VALU_DEP_1) | instskip(NEXT) | instid1(VALU_DEP_1)
	v_div_fmas_f32 v128, v128, v132, v134
	v_div_fixup_f32 v129, v128, v129, 1.0
	s_delay_alu instid0(VALU_DEP_1)
	v_mul_f32_e32 v128, v126, v129
	v_xor_b32_e32 v129, 0x80000000, v129
.LBB118_9:
	s_and_not1_saveexec_b32 s1, s1
	s_cbranch_execz .LBB118_11
; %bb.10:
	s_delay_alu instid0(VALU_DEP_1) | instskip(SKIP_1) | instid1(VALU_DEP_2)
	v_div_scale_f32 v126, null, v128, v128, v129
	v_div_scale_f32 v135, vcc_lo, v129, v128, v129
	v_rcp_f32_e32 v132, v126
	v_nop
	s_delay_alu instid0(TRANS32_DEP_1) | instskip(NEXT) | instid1(VALU_DEP_1)
	v_fma_f32 v134, -v126, v132, 1.0
	v_fmac_f32_e32 v132, v134, v132
	s_delay_alu instid0(VALU_DEP_1) | instskip(NEXT) | instid1(VALU_DEP_1)
	v_mul_f32_e32 v134, v135, v132
	v_fma_f32 v136, -v126, v134, v135
	s_delay_alu instid0(VALU_DEP_1) | instskip(NEXT) | instid1(VALU_DEP_1)
	v_fmac_f32_e32 v134, v136, v132
	v_fma_f32 v126, -v126, v134, v135
	s_delay_alu instid0(VALU_DEP_1) | instskip(NEXT) | instid1(VALU_DEP_1)
	v_div_fmas_f32 v126, v126, v132, v134
	v_div_fixup_f32 v126, v126, v128, v129
	s_delay_alu instid0(VALU_DEP_1) | instskip(NEXT) | instid1(VALU_DEP_1)
	v_fmac_f32_e32 v128, v129, v126
	v_div_scale_f32 v129, null, v128, v128, 1.0
	s_delay_alu instid0(VALU_DEP_1) | instskip(SKIP_1) | instid1(TRANS32_DEP_1)
	v_rcp_f32_e32 v132, v129
	v_nop
	v_fma_f32 v134, -v129, v132, 1.0
	s_delay_alu instid0(VALU_DEP_1) | instskip(SKIP_1) | instid1(VALU_DEP_1)
	v_fmac_f32_e32 v132, v134, v132
	v_div_scale_f32 v134, vcc_lo, 1.0, v128, 1.0
	v_mul_f32_e32 v135, v134, v132
	s_delay_alu instid0(VALU_DEP_1) | instskip(NEXT) | instid1(VALU_DEP_1)
	v_fma_f32 v136, -v129, v135, v134
	v_fmac_f32_e32 v135, v136, v132
	s_delay_alu instid0(VALU_DEP_1) | instskip(NEXT) | instid1(VALU_DEP_1)
	v_fma_f32 v129, -v129, v135, v134
	v_div_fmas_f32 v129, v129, v132, v135
	s_delay_alu instid0(VALU_DEP_1) | instskip(NEXT) | instid1(VALU_DEP_1)
	v_div_fixup_f32 v128, v129, v128, 1.0
	v_mul_f32_e64 v129, v126, -v128
.LBB118_11:
	s_or_b32 exec_lo, exec_lo, s1
	v_dual_mov_b32 v135, 0 :: v_dual_mov_b32 v132, 2
.LBB118_12:
	s_or_b32 exec_lo, exec_lo, s0
	s_delay_alu instid0(SALU_CYCLE_1)
	s_mov_b32 s0, exec_lo
	v_cmpx_ne_u32_e64 v133, v127
	s_xor_b32 s0, exec_lo, s0
	s_cbranch_execz .LBB118_18
; %bb.13:
	s_mov_b32 s1, exec_lo
	v_cmpx_eq_u32_e32 0, v133
	s_cbranch_execz .LBB118_17
; %bb.14:
	v_cmp_ne_u32_e32 vcc_lo, 0, v127
	s_xor_b32 s12, s16, -1
	s_delay_alu instid0(SALU_CYCLE_1) | instskip(NEXT) | instid1(SALU_CYCLE_1)
	s_and_b32 s13, s12, vcc_lo
	s_and_saveexec_b32 s12, s13
	s_cbranch_execz .LBB118_16
; %bb.15:
	v_dual_mov_b32 v136, v127 :: v_dual_ashrrev_i32 v137, 31, v127
	s_delay_alu instid0(VALU_DEP_1)
	v_lshl_add_u64 v[136:137], v[136:137], 2, v[4:5]
	s_clause 0x1
	global_load_b32 v126, v[136:137], off
	global_load_b32 v133, v[4:5], off
	s_wait_loadcnt 0x1
	global_store_b32 v[4:5], v126, off
	s_wait_loadcnt 0x0
	global_store_b32 v[136:137], v133, off
.LBB118_16:
	s_wait_xcnt 0x0
	s_or_b32 exec_lo, exec_lo, s12
	v_mov_b32_e32 v133, v127
.LBB118_17:
	s_or_b32 exec_lo, exec_lo, s1
.LBB118_18:
	s_or_saveexec_b32 s0, s0
	s_delay_alu instid0(VALU_DEP_1)
	v_mov_b32_e32 v134, v133
	s_xor_b32 exec_lo, exec_lo, s0
	s_cbranch_execz .LBB118_20
; %bb.19:
	v_mov_b32_e32 v134, 0
	ds_store_2addr_b64 v130, v[120:121], v[118:119] offset0:1 offset1:2
	ds_store_2addr_b64 v130, v[116:117], v[114:115] offset0:3 offset1:4
	;; [unrolled: 1-line block ×29, first 2 shown]
	ds_store_b64 v130, v[124:125] offset:472
.LBB118_20:
	s_or_b32 exec_lo, exec_lo, s0
	s_delay_alu instid0(SALU_CYCLE_1)
	s_mov_b32 s0, exec_lo
	s_wait_storecnt_dscnt 0x0
	s_barrier_signal -1
	s_barrier_wait -1
	v_cmpx_lt_i32_e32 0, v134
	s_cbranch_execz .LBB118_22
; %bb.21:
	v_pk_mul_f32 v[136:137], v[128:129], v[122:123] op_sel:[1,1] op_sel_hi:[0,1]
	s_delay_alu instid0(VALU_DEP_1)
	v_pk_fma_f32 v[126:127], v[128:129], v[122:123], v[136:137] op_sel_hi:[1,0,1] neg_lo:[0,0,1] neg_hi:[0,0,1]
	v_pk_fma_f32 v[128:129], v[128:129], v[122:123], v[136:137] op_sel_hi:[1,0,1]
	ds_load_2addr_b64 v[136:139], v130 offset0:1 offset1:2
	v_dual_mov_b32 v122, v126 :: v_dual_mov_b32 v123, v129
	s_wait_dscnt 0x0
	v_pk_mul_f32 v[140:141], v[136:137], v[128:129] op_sel:[0,1]
	s_delay_alu instid0(VALU_DEP_1) | instskip(SKIP_1) | instid1(VALU_DEP_1)
	v_pk_fma_f32 v[142:143], v[136:137], v[126:127], v[140:141] op_sel:[0,0,1] op_sel_hi:[1,1,0] neg_lo:[0,0,1] neg_hi:[0,0,1]
	v_pk_fma_f32 v[136:137], v[136:137], v[126:127], v[140:141] op_sel:[0,0,1] op_sel_hi:[1,0,0]
	v_mov_b32_e32 v143, v137
	v_pk_mul_f32 v[136:137], v[138:139], v[128:129] op_sel:[0,1]
	s_delay_alu instid0(VALU_DEP_1) | instskip(SKIP_1) | instid1(VALU_DEP_1)
	v_pk_fma_f32 v[140:141], v[138:139], v[126:127], v[136:137] op_sel:[0,0,1] op_sel_hi:[1,1,0] neg_lo:[0,0,1] neg_hi:[0,0,1]
	v_pk_fma_f32 v[136:137], v[138:139], v[126:127], v[136:137] op_sel:[0,0,1] op_sel_hi:[1,0,0]
	v_mov_b32_e32 v141, v137
	ds_load_2addr_b64 v[136:139], v130 offset0:3 offset1:4
	v_pk_add_f32 v[120:121], v[120:121], v[142:143] neg_lo:[0,1] neg_hi:[0,1]
	v_pk_add_f32 v[118:119], v[118:119], v[140:141] neg_lo:[0,1] neg_hi:[0,1]
	s_wait_dscnt 0x0
	v_pk_mul_f32 v[140:141], v[136:137], v[128:129] op_sel:[0,1]
	s_delay_alu instid0(VALU_DEP_1) | instskip(SKIP_2) | instid1(VALU_DEP_2)
	v_pk_fma_f32 v[142:143], v[136:137], v[126:127], v[140:141] op_sel:[0,0,1] op_sel_hi:[1,1,0] neg_lo:[0,0,1] neg_hi:[0,0,1]
	v_pk_fma_f32 v[136:137], v[136:137], v[126:127], v[140:141] op_sel:[0,0,1] op_sel_hi:[1,0,0]
	v_dual_mul_f32 v140, v139, v129 :: v_dual_mov_b32 v136, v139
	v_dual_mov_b32 v143, v137 :: v_dual_mov_b32 v137, v138
	s_delay_alu instid0(VALU_DEP_2) | instskip(SKIP_1) | instid1(VALU_DEP_3)
	v_pk_fma_f32 v[140:141], v[138:139], v[122:123], v[140:141] op_sel_hi:[1,1,0] neg_lo:[0,0,1] neg_hi:[0,0,1]
	v_mul_f32_e32 v138, v139, v126
	v_pk_add_f32 v[116:117], v[116:117], v[142:143] neg_lo:[0,1] neg_hi:[0,1]
	s_delay_alu instid0(VALU_DEP_2) | instskip(NEXT) | instid1(VALU_DEP_1)
	v_pk_fma_f32 v[136:137], v[136:137], v[122:123], v[138:139] op_sel_hi:[1,1,0]
	v_mov_b32_e32 v141, v137
	ds_load_2addr_b64 v[136:139], v130 offset0:5 offset1:6
	v_pk_add_f32 v[114:115], v[114:115], v[140:141] neg_lo:[0,1] neg_hi:[0,1]
	s_wait_dscnt 0x0
	v_pk_mul_f32 v[140:141], v[136:137], v[128:129] op_sel:[0,1]
	s_delay_alu instid0(VALU_DEP_1) | instskip(SKIP_1) | instid1(VALU_DEP_1)
	v_pk_fma_f32 v[142:143], v[136:137], v[126:127], v[140:141] op_sel:[0,0,1] op_sel_hi:[1,1,0] neg_lo:[0,0,1] neg_hi:[0,0,1]
	v_pk_fma_f32 v[136:137], v[136:137], v[126:127], v[140:141] op_sel:[0,0,1] op_sel_hi:[1,0,0]
	v_mov_b32_e32 v143, v137
	v_pk_mul_f32 v[136:137], v[138:139], v[128:129] op_sel:[0,1]
	s_delay_alu instid0(VALU_DEP_1) | instskip(SKIP_1) | instid1(VALU_DEP_1)
	v_pk_fma_f32 v[140:141], v[138:139], v[126:127], v[136:137] op_sel:[0,0,1] op_sel_hi:[1,1,0] neg_lo:[0,0,1] neg_hi:[0,0,1]
	v_pk_fma_f32 v[136:137], v[138:139], v[126:127], v[136:137] op_sel:[0,0,1] op_sel_hi:[1,0,0]
	v_mov_b32_e32 v141, v137
	ds_load_2addr_b64 v[136:139], v130 offset0:7 offset1:8
	v_pk_add_f32 v[110:111], v[110:111], v[142:143] neg_lo:[0,1] neg_hi:[0,1]
	v_pk_add_f32 v[112:113], v[112:113], v[140:141] neg_lo:[0,1] neg_hi:[0,1]
	s_wait_dscnt 0x0
	v_pk_mul_f32 v[140:141], v[136:137], v[128:129] op_sel:[0,1]
	s_delay_alu instid0(VALU_DEP_1) | instskip(SKIP_1) | instid1(VALU_DEP_1)
	v_pk_fma_f32 v[142:143], v[136:137], v[126:127], v[140:141] op_sel:[0,0,1] op_sel_hi:[1,1,0] neg_lo:[0,0,1] neg_hi:[0,0,1]
	v_pk_fma_f32 v[136:137], v[136:137], v[126:127], v[140:141] op_sel:[0,0,1] op_sel_hi:[1,0,0]
	v_mov_b32_e32 v143, v137
	v_pk_mul_f32 v[136:137], v[138:139], v[128:129] op_sel:[0,1]
	s_delay_alu instid0(VALU_DEP_1) | instskip(SKIP_1) | instid1(VALU_DEP_1)
	v_pk_fma_f32 v[140:141], v[138:139], v[126:127], v[136:137] op_sel:[0,0,1] op_sel_hi:[1,1,0] neg_lo:[0,0,1] neg_hi:[0,0,1]
	v_pk_fma_f32 v[136:137], v[138:139], v[126:127], v[136:137] op_sel:[0,0,1] op_sel_hi:[1,0,0]
	v_mov_b32_e32 v141, v137
	ds_load_2addr_b64 v[136:139], v130 offset0:9 offset1:10
	v_pk_add_f32 v[42:43], v[42:43], v[142:143] neg_lo:[0,1] neg_hi:[0,1]
	v_pk_add_f32 v[108:109], v[108:109], v[140:141] neg_lo:[0,1] neg_hi:[0,1]
	s_wait_dscnt 0x0
	v_dual_mul_f32 v140, v137, v129 :: v_dual_mul_f32 v142, v137, v126
	s_delay_alu instid0(VALU_DEP_1) | instskip(NEXT) | instid1(VALU_DEP_2)
	v_pk_fma_f32 v[140:141], v[136:137], v[122:123], v[140:141] op_sel_hi:[1,1,0] neg_lo:[0,0,1] neg_hi:[0,0,1]
	v_pk_fma_f32 v[136:137], v[136:137], v[122:123], v[142:143] op_sel:[1,0,0] op_sel_hi:[0,1,0]
	s_delay_alu instid0(VALU_DEP_1) | instskip(SKIP_1) | instid1(VALU_DEP_2)
	v_mov_b32_e32 v141, v137
	v_pk_mul_f32 v[136:137], v[138:139], v[128:129] op_sel:[0,1]
	v_pk_add_f32 v[104:105], v[104:105], v[140:141] neg_lo:[0,1] neg_hi:[0,1]
	s_delay_alu instid0(VALU_DEP_2) | instskip(SKIP_1) | instid1(VALU_DEP_1)
	v_pk_fma_f32 v[140:141], v[138:139], v[126:127], v[136:137] op_sel:[0,0,1] op_sel_hi:[1,1,0] neg_lo:[0,0,1] neg_hi:[0,0,1]
	v_pk_fma_f32 v[136:137], v[138:139], v[126:127], v[136:137] op_sel:[0,0,1] op_sel_hi:[1,0,0]
	v_mov_b32_e32 v141, v137
	ds_load_2addr_b64 v[136:139], v130 offset0:11 offset1:12
	v_pk_add_f32 v[106:107], v[106:107], v[140:141] neg_lo:[0,1] neg_hi:[0,1]
	s_wait_dscnt 0x0
	v_pk_mul_f32 v[140:141], v[136:137], v[128:129] op_sel:[0,1]
	s_delay_alu instid0(VALU_DEP_1) | instskip(SKIP_1) | instid1(VALU_DEP_1)
	v_pk_fma_f32 v[142:143], v[136:137], v[126:127], v[140:141] op_sel:[0,0,1] op_sel_hi:[1,1,0] neg_lo:[0,0,1] neg_hi:[0,0,1]
	v_pk_fma_f32 v[136:137], v[136:137], v[126:127], v[140:141] op_sel:[0,0,1] op_sel_hi:[1,0,0]
	v_mov_b32_e32 v143, v137
	v_pk_mul_f32 v[136:137], v[138:139], v[128:129] op_sel:[0,1]
	s_delay_alu instid0(VALU_DEP_2) | instskip(NEXT) | instid1(VALU_DEP_2)
	v_pk_add_f32 v[40:41], v[40:41], v[142:143] neg_lo:[0,1] neg_hi:[0,1]
	v_pk_fma_f32 v[140:141], v[138:139], v[126:127], v[136:137] op_sel:[0,0,1] op_sel_hi:[1,1,0] neg_lo:[0,0,1] neg_hi:[0,0,1]
	v_pk_fma_f32 v[136:137], v[138:139], v[126:127], v[136:137] op_sel:[0,0,1] op_sel_hi:[1,0,0]
	s_delay_alu instid0(VALU_DEP_1) | instskip(SKIP_4) | instid1(VALU_DEP_1)
	v_mov_b32_e32 v141, v137
	ds_load_2addr_b64 v[136:139], v130 offset0:13 offset1:14
	v_pk_add_f32 v[102:103], v[102:103], v[140:141] neg_lo:[0,1] neg_hi:[0,1]
	s_wait_dscnt 0x0
	v_pk_mul_f32 v[140:141], v[136:137], v[128:129] op_sel:[0,1]
	v_pk_fma_f32 v[142:143], v[136:137], v[126:127], v[140:141] op_sel:[0,0,1] op_sel_hi:[1,1,0] neg_lo:[0,0,1] neg_hi:[0,0,1]
	v_pk_fma_f32 v[136:137], v[136:137], v[126:127], v[140:141] op_sel:[0,0,1] op_sel_hi:[1,0,0]
	v_dual_mul_f32 v140, v139, v129 :: v_dual_mov_b32 v136, v139
	s_delay_alu instid0(VALU_DEP_2) | instskip(NEXT) | instid1(VALU_DEP_2)
	v_dual_mov_b32 v143, v137 :: v_dual_mov_b32 v137, v138
	v_pk_fma_f32 v[140:141], v[138:139], v[122:123], v[140:141] op_sel_hi:[1,1,0] neg_lo:[0,0,1] neg_hi:[0,0,1]
	v_mul_f32_e32 v138, v139, v126
	s_delay_alu instid0(VALU_DEP_3) | instskip(NEXT) | instid1(VALU_DEP_2)
	v_pk_add_f32 v[98:99], v[98:99], v[142:143] neg_lo:[0,1] neg_hi:[0,1]
	v_pk_fma_f32 v[136:137], v[136:137], v[122:123], v[138:139] op_sel_hi:[1,1,0]
	s_delay_alu instid0(VALU_DEP_1) | instskip(SKIP_4) | instid1(VALU_DEP_1)
	v_mov_b32_e32 v141, v137
	ds_load_2addr_b64 v[136:139], v130 offset0:15 offset1:16
	v_pk_add_f32 v[100:101], v[100:101], v[140:141] neg_lo:[0,1] neg_hi:[0,1]
	s_wait_dscnt 0x0
	v_pk_mul_f32 v[140:141], v[136:137], v[128:129] op_sel:[0,1]
	v_pk_fma_f32 v[142:143], v[136:137], v[126:127], v[140:141] op_sel:[0,0,1] op_sel_hi:[1,1,0] neg_lo:[0,0,1] neg_hi:[0,0,1]
	v_pk_fma_f32 v[136:137], v[136:137], v[126:127], v[140:141] op_sel:[0,0,1] op_sel_hi:[1,0,0]
	s_delay_alu instid0(VALU_DEP_1) | instskip(SKIP_1) | instid1(VALU_DEP_1)
	v_mov_b32_e32 v143, v137
	v_pk_mul_f32 v[136:137], v[138:139], v[128:129] op_sel:[0,1]
	v_pk_fma_f32 v[140:141], v[138:139], v[126:127], v[136:137] op_sel:[0,0,1] op_sel_hi:[1,1,0] neg_lo:[0,0,1] neg_hi:[0,0,1]
	v_pk_fma_f32 v[136:137], v[138:139], v[126:127], v[136:137] op_sel:[0,0,1] op_sel_hi:[1,0,0]
	s_delay_alu instid0(VALU_DEP_1)
	v_mov_b32_e32 v141, v137
	ds_load_2addr_b64 v[136:139], v130 offset0:17 offset1:18
	v_pk_add_f32 v[38:39], v[38:39], v[142:143] neg_lo:[0,1] neg_hi:[0,1]
	v_pk_add_f32 v[96:97], v[96:97], v[140:141] neg_lo:[0,1] neg_hi:[0,1]
	s_wait_dscnt 0x0
	v_pk_mul_f32 v[140:141], v[136:137], v[128:129] op_sel:[0,1]
	s_delay_alu instid0(VALU_DEP_1) | instskip(SKIP_1) | instid1(VALU_DEP_1)
	v_pk_fma_f32 v[142:143], v[136:137], v[126:127], v[140:141] op_sel:[0,0,1] op_sel_hi:[1,1,0] neg_lo:[0,0,1] neg_hi:[0,0,1]
	v_pk_fma_f32 v[136:137], v[136:137], v[126:127], v[140:141] op_sel:[0,0,1] op_sel_hi:[1,0,0]
	v_mov_b32_e32 v143, v137
	v_pk_mul_f32 v[136:137], v[138:139], v[128:129] op_sel:[0,1]
	s_delay_alu instid0(VALU_DEP_1) | instskip(SKIP_1) | instid1(VALU_DEP_1)
	v_pk_fma_f32 v[140:141], v[138:139], v[126:127], v[136:137] op_sel:[0,0,1] op_sel_hi:[1,1,0] neg_lo:[0,0,1] neg_hi:[0,0,1]
	v_pk_fma_f32 v[136:137], v[138:139], v[126:127], v[136:137] op_sel:[0,0,1] op_sel_hi:[1,0,0]
	v_mov_b32_e32 v141, v137
	ds_load_2addr_b64 v[136:139], v130 offset0:19 offset1:20
	v_pk_add_f32 v[92:93], v[92:93], v[142:143] neg_lo:[0,1] neg_hi:[0,1]
	v_pk_add_f32 v[94:95], v[94:95], v[140:141] neg_lo:[0,1] neg_hi:[0,1]
	s_wait_dscnt 0x0
	v_dual_mul_f32 v140, v137, v129 :: v_dual_mul_f32 v142, v137, v126
	s_delay_alu instid0(VALU_DEP_1) | instskip(NEXT) | instid1(VALU_DEP_2)
	v_pk_fma_f32 v[140:141], v[136:137], v[122:123], v[140:141] op_sel_hi:[1,1,0] neg_lo:[0,0,1] neg_hi:[0,0,1]
	v_pk_fma_f32 v[136:137], v[136:137], v[122:123], v[142:143] op_sel:[1,0,0] op_sel_hi:[0,1,0]
	s_delay_alu instid0(VALU_DEP_1) | instskip(SKIP_1) | instid1(VALU_DEP_2)
	v_mov_b32_e32 v141, v137
	v_pk_mul_f32 v[136:137], v[138:139], v[128:129] op_sel:[0,1]
	v_pk_add_f32 v[36:37], v[36:37], v[140:141] neg_lo:[0,1] neg_hi:[0,1]
	s_delay_alu instid0(VALU_DEP_2) | instskip(SKIP_1) | instid1(VALU_DEP_1)
	v_pk_fma_f32 v[140:141], v[138:139], v[126:127], v[136:137] op_sel:[0,0,1] op_sel_hi:[1,1,0] neg_lo:[0,0,1] neg_hi:[0,0,1]
	v_pk_fma_f32 v[136:137], v[138:139], v[126:127], v[136:137] op_sel:[0,0,1] op_sel_hi:[1,0,0]
	v_mov_b32_e32 v141, v137
	ds_load_2addr_b64 v[136:139], v130 offset0:21 offset1:22
	v_pk_add_f32 v[90:91], v[90:91], v[140:141] neg_lo:[0,1] neg_hi:[0,1]
	s_wait_dscnt 0x0
	v_pk_mul_f32 v[140:141], v[136:137], v[128:129] op_sel:[0,1]
	s_delay_alu instid0(VALU_DEP_1) | instskip(SKIP_1) | instid1(VALU_DEP_1)
	v_pk_fma_f32 v[142:143], v[136:137], v[126:127], v[140:141] op_sel:[0,0,1] op_sel_hi:[1,1,0] neg_lo:[0,0,1] neg_hi:[0,0,1]
	v_pk_fma_f32 v[136:137], v[136:137], v[126:127], v[140:141] op_sel:[0,0,1] op_sel_hi:[1,0,0]
	v_mov_b32_e32 v143, v137
	v_pk_mul_f32 v[136:137], v[138:139], v[128:129] op_sel:[0,1]
	s_delay_alu instid0(VALU_DEP_2) | instskip(NEXT) | instid1(VALU_DEP_2)
	v_pk_add_f32 v[86:87], v[86:87], v[142:143] neg_lo:[0,1] neg_hi:[0,1]
	v_pk_fma_f32 v[140:141], v[138:139], v[126:127], v[136:137] op_sel:[0,0,1] op_sel_hi:[1,1,0] neg_lo:[0,0,1] neg_hi:[0,0,1]
	v_pk_fma_f32 v[136:137], v[138:139], v[126:127], v[136:137] op_sel:[0,0,1] op_sel_hi:[1,0,0]
	s_delay_alu instid0(VALU_DEP_1) | instskip(SKIP_4) | instid1(VALU_DEP_1)
	v_mov_b32_e32 v141, v137
	ds_load_2addr_b64 v[136:139], v130 offset0:23 offset1:24
	v_pk_add_f32 v[88:89], v[88:89], v[140:141] neg_lo:[0,1] neg_hi:[0,1]
	s_wait_dscnt 0x0
	v_pk_mul_f32 v[140:141], v[136:137], v[128:129] op_sel:[0,1]
	v_pk_fma_f32 v[142:143], v[136:137], v[126:127], v[140:141] op_sel:[0,0,1] op_sel_hi:[1,1,0] neg_lo:[0,0,1] neg_hi:[0,0,1]
	v_pk_fma_f32 v[136:137], v[136:137], v[126:127], v[140:141] op_sel:[0,0,1] op_sel_hi:[1,0,0]
	v_dual_mul_f32 v140, v139, v129 :: v_dual_mov_b32 v136, v139
	s_delay_alu instid0(VALU_DEP_2) | instskip(NEXT) | instid1(VALU_DEP_2)
	v_dual_mov_b32 v143, v137 :: v_dual_mov_b32 v137, v138
	v_pk_fma_f32 v[140:141], v[138:139], v[122:123], v[140:141] op_sel_hi:[1,1,0] neg_lo:[0,0,1] neg_hi:[0,0,1]
	v_mul_f32_e32 v138, v139, v126
	s_delay_alu instid0(VALU_DEP_3) | instskip(NEXT) | instid1(VALU_DEP_2)
	v_pk_add_f32 v[30:31], v[30:31], v[142:143] neg_lo:[0,1] neg_hi:[0,1]
	v_pk_fma_f32 v[136:137], v[136:137], v[122:123], v[138:139] op_sel_hi:[1,1,0]
	s_delay_alu instid0(VALU_DEP_1) | instskip(SKIP_4) | instid1(VALU_DEP_1)
	v_mov_b32_e32 v141, v137
	ds_load_2addr_b64 v[136:139], v130 offset0:25 offset1:26
	v_pk_add_f32 v[84:85], v[84:85], v[140:141] neg_lo:[0,1] neg_hi:[0,1]
	s_wait_dscnt 0x0
	v_pk_mul_f32 v[140:141], v[136:137], v[128:129] op_sel:[0,1]
	v_pk_fma_f32 v[142:143], v[136:137], v[126:127], v[140:141] op_sel:[0,0,1] op_sel_hi:[1,1,0] neg_lo:[0,0,1] neg_hi:[0,0,1]
	v_pk_fma_f32 v[136:137], v[136:137], v[126:127], v[140:141] op_sel:[0,0,1] op_sel_hi:[1,0,0]
	s_delay_alu instid0(VALU_DEP_1) | instskip(SKIP_1) | instid1(VALU_DEP_1)
	v_mov_b32_e32 v143, v137
	v_pk_mul_f32 v[136:137], v[138:139], v[128:129] op_sel:[0,1]
	v_pk_fma_f32 v[140:141], v[138:139], v[126:127], v[136:137] op_sel:[0,0,1] op_sel_hi:[1,1,0] neg_lo:[0,0,1] neg_hi:[0,0,1]
	v_pk_fma_f32 v[136:137], v[138:139], v[126:127], v[136:137] op_sel:[0,0,1] op_sel_hi:[1,0,0]
	s_delay_alu instid0(VALU_DEP_1)
	v_mov_b32_e32 v141, v137
	ds_load_2addr_b64 v[136:139], v130 offset0:27 offset1:28
	v_pk_add_f32 v[80:81], v[80:81], v[142:143] neg_lo:[0,1] neg_hi:[0,1]
	v_pk_add_f32 v[82:83], v[82:83], v[140:141] neg_lo:[0,1] neg_hi:[0,1]
	s_wait_dscnt 0x0
	v_pk_mul_f32 v[140:141], v[136:137], v[128:129] op_sel:[0,1]
	s_delay_alu instid0(VALU_DEP_1) | instskip(SKIP_1) | instid1(VALU_DEP_1)
	v_pk_fma_f32 v[142:143], v[136:137], v[126:127], v[140:141] op_sel:[0,0,1] op_sel_hi:[1,1,0] neg_lo:[0,0,1] neg_hi:[0,0,1]
	v_pk_fma_f32 v[136:137], v[136:137], v[126:127], v[140:141] op_sel:[0,0,1] op_sel_hi:[1,0,0]
	v_mov_b32_e32 v143, v137
	v_pk_mul_f32 v[136:137], v[138:139], v[128:129] op_sel:[0,1]
	s_delay_alu instid0(VALU_DEP_1) | instskip(SKIP_1) | instid1(VALU_DEP_1)
	v_pk_fma_f32 v[140:141], v[138:139], v[126:127], v[136:137] op_sel:[0,0,1] op_sel_hi:[1,1,0] neg_lo:[0,0,1] neg_hi:[0,0,1]
	v_pk_fma_f32 v[136:137], v[138:139], v[126:127], v[136:137] op_sel:[0,0,1] op_sel_hi:[1,0,0]
	v_mov_b32_e32 v141, v137
	ds_load_2addr_b64 v[136:139], v130 offset0:29 offset1:30
	v_pk_add_f32 v[24:25], v[24:25], v[142:143] neg_lo:[0,1] neg_hi:[0,1]
	v_pk_add_f32 v[78:79], v[78:79], v[140:141] neg_lo:[0,1] neg_hi:[0,1]
	s_wait_dscnt 0x0
	v_dual_mul_f32 v140, v137, v129 :: v_dual_mul_f32 v142, v137, v126
	s_delay_alu instid0(VALU_DEP_1) | instskip(NEXT) | instid1(VALU_DEP_2)
	v_pk_fma_f32 v[140:141], v[136:137], v[122:123], v[140:141] op_sel_hi:[1,1,0] neg_lo:[0,0,1] neg_hi:[0,0,1]
	v_pk_fma_f32 v[136:137], v[136:137], v[122:123], v[142:143] op_sel:[1,0,0] op_sel_hi:[0,1,0]
	s_delay_alu instid0(VALU_DEP_1) | instskip(SKIP_1) | instid1(VALU_DEP_2)
	v_mov_b32_e32 v141, v137
	v_pk_mul_f32 v[136:137], v[138:139], v[128:129] op_sel:[0,1]
	v_pk_add_f32 v[74:75], v[74:75], v[140:141] neg_lo:[0,1] neg_hi:[0,1]
	s_delay_alu instid0(VALU_DEP_2) | instskip(SKIP_1) | instid1(VALU_DEP_1)
	v_pk_fma_f32 v[140:141], v[138:139], v[126:127], v[136:137] op_sel:[0,0,1] op_sel_hi:[1,1,0] neg_lo:[0,0,1] neg_hi:[0,0,1]
	v_pk_fma_f32 v[136:137], v[138:139], v[126:127], v[136:137] op_sel:[0,0,1] op_sel_hi:[1,0,0]
	v_mov_b32_e32 v141, v137
	ds_load_2addr_b64 v[136:139], v130 offset0:31 offset1:32
	v_pk_add_f32 v[76:77], v[76:77], v[140:141] neg_lo:[0,1] neg_hi:[0,1]
	s_wait_dscnt 0x0
	v_pk_mul_f32 v[140:141], v[136:137], v[128:129] op_sel:[0,1]
	s_delay_alu instid0(VALU_DEP_1) | instskip(SKIP_1) | instid1(VALU_DEP_1)
	v_pk_fma_f32 v[142:143], v[136:137], v[126:127], v[140:141] op_sel:[0,0,1] op_sel_hi:[1,1,0] neg_lo:[0,0,1] neg_hi:[0,0,1]
	v_pk_fma_f32 v[136:137], v[136:137], v[126:127], v[140:141] op_sel:[0,0,1] op_sel_hi:[1,0,0]
	v_mov_b32_e32 v143, v137
	v_pk_mul_f32 v[136:137], v[138:139], v[128:129] op_sel:[0,1]
	s_delay_alu instid0(VALU_DEP_2) | instskip(NEXT) | instid1(VALU_DEP_2)
	v_pk_add_f32 v[22:23], v[22:23], v[142:143] neg_lo:[0,1] neg_hi:[0,1]
	v_pk_fma_f32 v[140:141], v[138:139], v[126:127], v[136:137] op_sel:[0,0,1] op_sel_hi:[1,1,0] neg_lo:[0,0,1] neg_hi:[0,0,1]
	v_pk_fma_f32 v[136:137], v[138:139], v[126:127], v[136:137] op_sel:[0,0,1] op_sel_hi:[1,0,0]
	s_delay_alu instid0(VALU_DEP_1) | instskip(SKIP_4) | instid1(VALU_DEP_1)
	v_mov_b32_e32 v141, v137
	ds_load_2addr_b64 v[136:139], v130 offset0:33 offset1:34
	v_pk_add_f32 v[72:73], v[72:73], v[140:141] neg_lo:[0,1] neg_hi:[0,1]
	s_wait_dscnt 0x0
	v_pk_mul_f32 v[140:141], v[136:137], v[128:129] op_sel:[0,1]
	v_pk_fma_f32 v[142:143], v[136:137], v[126:127], v[140:141] op_sel:[0,0,1] op_sel_hi:[1,1,0] neg_lo:[0,0,1] neg_hi:[0,0,1]
	v_pk_fma_f32 v[136:137], v[136:137], v[126:127], v[140:141] op_sel:[0,0,1] op_sel_hi:[1,0,0]
	v_dual_mul_f32 v140, v139, v129 :: v_dual_mov_b32 v136, v139
	s_delay_alu instid0(VALU_DEP_2) | instskip(NEXT) | instid1(VALU_DEP_2)
	v_dual_mov_b32 v143, v137 :: v_dual_mov_b32 v137, v138
	v_pk_fma_f32 v[140:141], v[138:139], v[122:123], v[140:141] op_sel_hi:[1,1,0] neg_lo:[0,0,1] neg_hi:[0,0,1]
	v_mul_f32_e32 v138, v139, v126
	s_delay_alu instid0(VALU_DEP_3) | instskip(NEXT) | instid1(VALU_DEP_2)
	v_pk_add_f32 v[68:69], v[68:69], v[142:143] neg_lo:[0,1] neg_hi:[0,1]
	v_pk_fma_f32 v[136:137], v[136:137], v[122:123], v[138:139] op_sel_hi:[1,1,0]
	s_delay_alu instid0(VALU_DEP_1) | instskip(SKIP_4) | instid1(VALU_DEP_1)
	v_mov_b32_e32 v141, v137
	ds_load_2addr_b64 v[136:139], v130 offset0:35 offset1:36
	v_pk_add_f32 v[70:71], v[70:71], v[140:141] neg_lo:[0,1] neg_hi:[0,1]
	s_wait_dscnt 0x0
	v_pk_mul_f32 v[140:141], v[136:137], v[128:129] op_sel:[0,1]
	v_pk_fma_f32 v[142:143], v[136:137], v[126:127], v[140:141] op_sel:[0,0,1] op_sel_hi:[1,1,0] neg_lo:[0,0,1] neg_hi:[0,0,1]
	v_pk_fma_f32 v[136:137], v[136:137], v[126:127], v[140:141] op_sel:[0,0,1] op_sel_hi:[1,0,0]
	s_delay_alu instid0(VALU_DEP_1) | instskip(SKIP_1) | instid1(VALU_DEP_1)
	v_mov_b32_e32 v143, v137
	v_pk_mul_f32 v[136:137], v[138:139], v[128:129] op_sel:[0,1]
	v_pk_fma_f32 v[140:141], v[138:139], v[126:127], v[136:137] op_sel:[0,0,1] op_sel_hi:[1,1,0] neg_lo:[0,0,1] neg_hi:[0,0,1]
	v_pk_fma_f32 v[136:137], v[138:139], v[126:127], v[136:137] op_sel:[0,0,1] op_sel_hi:[1,0,0]
	s_delay_alu instid0(VALU_DEP_1)
	v_mov_b32_e32 v141, v137
	ds_load_2addr_b64 v[136:139], v130 offset0:37 offset1:38
	v_pk_add_f32 v[20:21], v[20:21], v[142:143] neg_lo:[0,1] neg_hi:[0,1]
	v_pk_add_f32 v[66:67], v[66:67], v[140:141] neg_lo:[0,1] neg_hi:[0,1]
	s_wait_dscnt 0x0
	v_pk_mul_f32 v[140:141], v[136:137], v[128:129] op_sel:[0,1]
	s_delay_alu instid0(VALU_DEP_1) | instskip(SKIP_1) | instid1(VALU_DEP_1)
	v_pk_fma_f32 v[142:143], v[136:137], v[126:127], v[140:141] op_sel:[0,0,1] op_sel_hi:[1,1,0] neg_lo:[0,0,1] neg_hi:[0,0,1]
	v_pk_fma_f32 v[136:137], v[136:137], v[126:127], v[140:141] op_sel:[0,0,1] op_sel_hi:[1,0,0]
	v_mov_b32_e32 v143, v137
	v_pk_mul_f32 v[136:137], v[138:139], v[128:129] op_sel:[0,1]
	s_delay_alu instid0(VALU_DEP_1) | instskip(SKIP_1) | instid1(VALU_DEP_1)
	v_pk_fma_f32 v[140:141], v[138:139], v[126:127], v[136:137] op_sel:[0,0,1] op_sel_hi:[1,1,0] neg_lo:[0,0,1] neg_hi:[0,0,1]
	v_pk_fma_f32 v[136:137], v[138:139], v[126:127], v[136:137] op_sel:[0,0,1] op_sel_hi:[1,0,0]
	v_mov_b32_e32 v141, v137
	ds_load_2addr_b64 v[136:139], v130 offset0:39 offset1:40
	v_pk_add_f32 v[62:63], v[62:63], v[142:143] neg_lo:[0,1] neg_hi:[0,1]
	v_pk_add_f32 v[64:65], v[64:65], v[140:141] neg_lo:[0,1] neg_hi:[0,1]
	s_wait_dscnt 0x0
	v_dual_mul_f32 v140, v137, v129 :: v_dual_mul_f32 v142, v137, v126
	s_delay_alu instid0(VALU_DEP_1) | instskip(NEXT) | instid1(VALU_DEP_2)
	v_pk_fma_f32 v[140:141], v[136:137], v[122:123], v[140:141] op_sel_hi:[1,1,0] neg_lo:[0,0,1] neg_hi:[0,0,1]
	v_pk_fma_f32 v[136:137], v[136:137], v[122:123], v[142:143] op_sel:[1,0,0] op_sel_hi:[0,1,0]
	s_delay_alu instid0(VALU_DEP_1) | instskip(SKIP_1) | instid1(VALU_DEP_2)
	v_mov_b32_e32 v141, v137
	v_pk_mul_f32 v[136:137], v[138:139], v[128:129] op_sel:[0,1]
	v_pk_add_f32 v[18:19], v[18:19], v[140:141] neg_lo:[0,1] neg_hi:[0,1]
	s_delay_alu instid0(VALU_DEP_2) | instskip(SKIP_1) | instid1(VALU_DEP_1)
	v_pk_fma_f32 v[140:141], v[138:139], v[126:127], v[136:137] op_sel:[0,0,1] op_sel_hi:[1,1,0] neg_lo:[0,0,1] neg_hi:[0,0,1]
	v_pk_fma_f32 v[136:137], v[138:139], v[126:127], v[136:137] op_sel:[0,0,1] op_sel_hi:[1,0,0]
	v_mov_b32_e32 v141, v137
	ds_load_2addr_b64 v[136:139], v130 offset0:41 offset1:42
	v_pk_add_f32 v[60:61], v[60:61], v[140:141] neg_lo:[0,1] neg_hi:[0,1]
	s_wait_dscnt 0x0
	v_pk_mul_f32 v[140:141], v[136:137], v[128:129] op_sel:[0,1]
	s_delay_alu instid0(VALU_DEP_1) | instskip(SKIP_1) | instid1(VALU_DEP_1)
	v_pk_fma_f32 v[142:143], v[136:137], v[126:127], v[140:141] op_sel:[0,0,1] op_sel_hi:[1,1,0] neg_lo:[0,0,1] neg_hi:[0,0,1]
	v_pk_fma_f32 v[136:137], v[136:137], v[126:127], v[140:141] op_sel:[0,0,1] op_sel_hi:[1,0,0]
	v_mov_b32_e32 v143, v137
	v_pk_mul_f32 v[136:137], v[138:139], v[128:129] op_sel:[0,1]
	s_delay_alu instid0(VALU_DEP_2) | instskip(NEXT) | instid1(VALU_DEP_2)
	v_pk_add_f32 v[56:57], v[56:57], v[142:143] neg_lo:[0,1] neg_hi:[0,1]
	v_pk_fma_f32 v[140:141], v[138:139], v[126:127], v[136:137] op_sel:[0,0,1] op_sel_hi:[1,1,0] neg_lo:[0,0,1] neg_hi:[0,0,1]
	v_pk_fma_f32 v[136:137], v[138:139], v[126:127], v[136:137] op_sel:[0,0,1] op_sel_hi:[1,0,0]
	s_delay_alu instid0(VALU_DEP_1) | instskip(SKIP_4) | instid1(VALU_DEP_1)
	v_mov_b32_e32 v141, v137
	ds_load_2addr_b64 v[136:139], v130 offset0:43 offset1:44
	v_pk_add_f32 v[58:59], v[58:59], v[140:141] neg_lo:[0,1] neg_hi:[0,1]
	s_wait_dscnt 0x0
	v_pk_mul_f32 v[140:141], v[136:137], v[128:129] op_sel:[0,1]
	v_pk_fma_f32 v[142:143], v[136:137], v[126:127], v[140:141] op_sel:[0,0,1] op_sel_hi:[1,1,0] neg_lo:[0,0,1] neg_hi:[0,0,1]
	v_pk_fma_f32 v[136:137], v[136:137], v[126:127], v[140:141] op_sel:[0,0,1] op_sel_hi:[1,0,0]
	v_dual_mul_f32 v140, v139, v129 :: v_dual_mov_b32 v136, v139
	s_delay_alu instid0(VALU_DEP_2) | instskip(NEXT) | instid1(VALU_DEP_2)
	v_dual_mov_b32 v143, v137 :: v_dual_mov_b32 v137, v138
	v_pk_fma_f32 v[140:141], v[138:139], v[122:123], v[140:141] op_sel_hi:[1,1,0] neg_lo:[0,0,1] neg_hi:[0,0,1]
	v_mul_f32_e32 v138, v139, v126
	s_delay_alu instid0(VALU_DEP_3) | instskip(NEXT) | instid1(VALU_DEP_2)
	v_pk_add_f32 v[12:13], v[12:13], v[142:143] neg_lo:[0,1] neg_hi:[0,1]
	v_pk_fma_f32 v[136:137], v[136:137], v[122:123], v[138:139] op_sel_hi:[1,1,0]
	s_delay_alu instid0(VALU_DEP_1) | instskip(SKIP_4) | instid1(VALU_DEP_1)
	v_mov_b32_e32 v141, v137
	ds_load_2addr_b64 v[136:139], v130 offset0:45 offset1:46
	v_pk_add_f32 v[54:55], v[54:55], v[140:141] neg_lo:[0,1] neg_hi:[0,1]
	s_wait_dscnt 0x0
	v_pk_mul_f32 v[140:141], v[136:137], v[128:129] op_sel:[0,1]
	v_pk_fma_f32 v[142:143], v[136:137], v[126:127], v[140:141] op_sel:[0,0,1] op_sel_hi:[1,1,0] neg_lo:[0,0,1] neg_hi:[0,0,1]
	v_pk_fma_f32 v[136:137], v[136:137], v[126:127], v[140:141] op_sel:[0,0,1] op_sel_hi:[1,0,0]
	s_delay_alu instid0(VALU_DEP_1) | instskip(SKIP_1) | instid1(VALU_DEP_1)
	v_mov_b32_e32 v143, v137
	v_pk_mul_f32 v[136:137], v[138:139], v[128:129] op_sel:[0,1]
	v_pk_fma_f32 v[140:141], v[138:139], v[126:127], v[136:137] op_sel:[0,0,1] op_sel_hi:[1,1,0] neg_lo:[0,0,1] neg_hi:[0,0,1]
	v_pk_fma_f32 v[136:137], v[138:139], v[126:127], v[136:137] op_sel:[0,0,1] op_sel_hi:[1,0,0]
	s_delay_alu instid0(VALU_DEP_1)
	v_mov_b32_e32 v141, v137
	ds_load_2addr_b64 v[136:139], v130 offset0:47 offset1:48
	v_pk_add_f32 v[50:51], v[50:51], v[142:143] neg_lo:[0,1] neg_hi:[0,1]
	v_pk_add_f32 v[52:53], v[52:53], v[140:141] neg_lo:[0,1] neg_hi:[0,1]
	s_wait_dscnt 0x0
	v_pk_mul_f32 v[140:141], v[136:137], v[128:129] op_sel:[0,1]
	s_delay_alu instid0(VALU_DEP_1) | instskip(SKIP_1) | instid1(VALU_DEP_1)
	v_pk_fma_f32 v[142:143], v[136:137], v[126:127], v[140:141] op_sel:[0,0,1] op_sel_hi:[1,1,0] neg_lo:[0,0,1] neg_hi:[0,0,1]
	v_pk_fma_f32 v[136:137], v[136:137], v[126:127], v[140:141] op_sel:[0,0,1] op_sel_hi:[1,0,0]
	v_mov_b32_e32 v143, v137
	v_pk_mul_f32 v[136:137], v[138:139], v[128:129] op_sel:[0,1]
	s_delay_alu instid0(VALU_DEP_1) | instskip(SKIP_1) | instid1(VALU_DEP_1)
	v_pk_fma_f32 v[140:141], v[138:139], v[126:127], v[136:137] op_sel:[0,0,1] op_sel_hi:[1,1,0] neg_lo:[0,0,1] neg_hi:[0,0,1]
	v_pk_fma_f32 v[136:137], v[138:139], v[126:127], v[136:137] op_sel:[0,0,1] op_sel_hi:[1,0,0]
	v_mov_b32_e32 v141, v137
	ds_load_2addr_b64 v[136:139], v130 offset0:49 offset1:50
	v_pk_add_f32 v[10:11], v[10:11], v[142:143] neg_lo:[0,1] neg_hi:[0,1]
	v_pk_add_f32 v[46:47], v[46:47], v[140:141] neg_lo:[0,1] neg_hi:[0,1]
	s_wait_dscnt 0x0
	v_dual_mul_f32 v140, v137, v129 :: v_dual_mul_f32 v142, v137, v126
	s_delay_alu instid0(VALU_DEP_1) | instskip(NEXT) | instid1(VALU_DEP_2)
	v_pk_fma_f32 v[140:141], v[136:137], v[122:123], v[140:141] op_sel_hi:[1,1,0] neg_lo:[0,0,1] neg_hi:[0,0,1]
	v_pk_fma_f32 v[136:137], v[136:137], v[122:123], v[142:143] op_sel:[1,0,0] op_sel_hi:[0,1,0]
	s_delay_alu instid0(VALU_DEP_1) | instskip(SKIP_1) | instid1(VALU_DEP_2)
	v_mov_b32_e32 v141, v137
	v_pk_mul_f32 v[136:137], v[138:139], v[128:129] op_sel:[0,1]
	v_pk_add_f32 v[44:45], v[44:45], v[140:141] neg_lo:[0,1] neg_hi:[0,1]
	s_delay_alu instid0(VALU_DEP_2) | instskip(SKIP_1) | instid1(VALU_DEP_1)
	v_pk_fma_f32 v[140:141], v[138:139], v[126:127], v[136:137] op_sel:[0,0,1] op_sel_hi:[1,1,0] neg_lo:[0,0,1] neg_hi:[0,0,1]
	v_pk_fma_f32 v[136:137], v[138:139], v[126:127], v[136:137] op_sel:[0,0,1] op_sel_hi:[1,0,0]
	v_mov_b32_e32 v141, v137
	ds_load_2addr_b64 v[136:139], v130 offset0:51 offset1:52
	v_pk_add_f32 v[48:49], v[48:49], v[140:141] neg_lo:[0,1] neg_hi:[0,1]
	s_wait_dscnt 0x0
	v_pk_mul_f32 v[140:141], v[136:137], v[128:129] op_sel:[0,1]
	s_delay_alu instid0(VALU_DEP_1) | instskip(SKIP_1) | instid1(VALU_DEP_1)
	v_pk_fma_f32 v[142:143], v[136:137], v[126:127], v[140:141] op_sel:[0,0,1] op_sel_hi:[1,1,0] neg_lo:[0,0,1] neg_hi:[0,0,1]
	v_pk_fma_f32 v[136:137], v[136:137], v[126:127], v[140:141] op_sel:[0,0,1] op_sel_hi:[1,0,0]
	v_mov_b32_e32 v143, v137
	v_pk_mul_f32 v[136:137], v[138:139], v[128:129] op_sel:[0,1]
	s_delay_alu instid0(VALU_DEP_2) | instskip(NEXT) | instid1(VALU_DEP_2)
	v_pk_add_f32 v[8:9], v[8:9], v[142:143] neg_lo:[0,1] neg_hi:[0,1]
	v_pk_fma_f32 v[140:141], v[138:139], v[126:127], v[136:137] op_sel:[0,0,1] op_sel_hi:[1,1,0] neg_lo:[0,0,1] neg_hi:[0,0,1]
	v_pk_fma_f32 v[136:137], v[138:139], v[126:127], v[136:137] op_sel:[0,0,1] op_sel_hi:[1,0,0]
	s_delay_alu instid0(VALU_DEP_1) | instskip(SKIP_4) | instid1(VALU_DEP_1)
	v_mov_b32_e32 v141, v137
	ds_load_2addr_b64 v[136:139], v130 offset0:53 offset1:54
	v_pk_add_f32 v[34:35], v[34:35], v[140:141] neg_lo:[0,1] neg_hi:[0,1]
	s_wait_dscnt 0x0
	v_pk_mul_f32 v[140:141], v[136:137], v[128:129] op_sel:[0,1]
	v_pk_fma_f32 v[142:143], v[136:137], v[126:127], v[140:141] op_sel:[0,0,1] op_sel_hi:[1,1,0] neg_lo:[0,0,1] neg_hi:[0,0,1]
	v_pk_fma_f32 v[136:137], v[136:137], v[126:127], v[140:141] op_sel:[0,0,1] op_sel_hi:[1,0,0]
	v_dual_mul_f32 v140, v139, v129 :: v_dual_mov_b32 v136, v139
	s_delay_alu instid0(VALU_DEP_2) | instskip(NEXT) | instid1(VALU_DEP_2)
	v_dual_mov_b32 v143, v137 :: v_dual_mov_b32 v137, v138
	v_pk_fma_f32 v[140:141], v[138:139], v[122:123], v[140:141] op_sel_hi:[1,1,0] neg_lo:[0,0,1] neg_hi:[0,0,1]
	v_mul_f32_e32 v138, v139, v126
	s_delay_alu instid0(VALU_DEP_3) | instskip(NEXT) | instid1(VALU_DEP_2)
	v_pk_add_f32 v[28:29], v[28:29], v[142:143] neg_lo:[0,1] neg_hi:[0,1]
	v_pk_fma_f32 v[136:137], v[136:137], v[122:123], v[138:139] op_sel_hi:[1,1,0]
	s_delay_alu instid0(VALU_DEP_1) | instskip(SKIP_4) | instid1(VALU_DEP_1)
	v_mov_b32_e32 v141, v137
	ds_load_2addr_b64 v[136:139], v130 offset0:55 offset1:56
	v_pk_add_f32 v[32:33], v[32:33], v[140:141] neg_lo:[0,1] neg_hi:[0,1]
	s_wait_dscnt 0x0
	v_pk_mul_f32 v[140:141], v[136:137], v[128:129] op_sel:[0,1]
	v_pk_fma_f32 v[142:143], v[136:137], v[126:127], v[140:141] op_sel:[0,0,1] op_sel_hi:[1,1,0] neg_lo:[0,0,1] neg_hi:[0,0,1]
	v_pk_fma_f32 v[136:137], v[136:137], v[126:127], v[140:141] op_sel:[0,0,1] op_sel_hi:[1,0,0]
	s_delay_alu instid0(VALU_DEP_1) | instskip(SKIP_1) | instid1(VALU_DEP_1)
	v_mov_b32_e32 v143, v137
	v_pk_mul_f32 v[136:137], v[138:139], v[128:129] op_sel:[0,1]
	v_pk_fma_f32 v[140:141], v[138:139], v[126:127], v[136:137] op_sel:[0,0,1] op_sel_hi:[1,1,0] neg_lo:[0,0,1] neg_hi:[0,0,1]
	v_pk_fma_f32 v[136:137], v[138:139], v[126:127], v[136:137] op_sel:[0,0,1] op_sel_hi:[1,0,0]
	s_delay_alu instid0(VALU_DEP_1)
	v_mov_b32_e32 v141, v137
	ds_load_2addr_b64 v[136:139], v130 offset0:57 offset1:58
	v_pk_add_f32 v[6:7], v[6:7], v[142:143] neg_lo:[0,1] neg_hi:[0,1]
	v_pk_add_f32 v[26:27], v[26:27], v[140:141] neg_lo:[0,1] neg_hi:[0,1]
	s_wait_dscnt 0x0
	v_pk_mul_f32 v[140:141], v[136:137], v[128:129] op_sel:[0,1]
	s_delay_alu instid0(VALU_DEP_1) | instskip(SKIP_1) | instid1(VALU_DEP_1)
	v_pk_fma_f32 v[142:143], v[136:137], v[126:127], v[140:141] op_sel:[0,0,1] op_sel_hi:[1,1,0] neg_lo:[0,0,1] neg_hi:[0,0,1]
	v_pk_fma_f32 v[136:137], v[136:137], v[126:127], v[140:141] op_sel:[0,0,1] op_sel_hi:[1,0,0]
	v_mov_b32_e32 v143, v137
	v_pk_mul_f32 v[136:137], v[138:139], v[128:129] op_sel:[0,1]
	s_delay_alu instid0(VALU_DEP_1) | instskip(SKIP_1) | instid1(VALU_DEP_1)
	v_pk_fma_f32 v[140:141], v[138:139], v[126:127], v[136:137] op_sel:[0,0,1] op_sel_hi:[1,1,0] neg_lo:[0,0,1] neg_hi:[0,0,1]
	v_pk_fma_f32 v[136:137], v[138:139], v[126:127], v[136:137] op_sel:[0,0,1] op_sel_hi:[1,0,0]
	v_mov_b32_e32 v141, v137
	ds_load_b64 v[136:137], v130 offset:472
	v_pk_add_f32 v[16:17], v[16:17], v[142:143] neg_lo:[0,1] neg_hi:[0,1]
	v_pk_add_f32 v[14:15], v[14:15], v[140:141] neg_lo:[0,1] neg_hi:[0,1]
	s_wait_dscnt 0x0
	v_pk_mul_f32 v[128:129], v[136:137], v[128:129] op_sel:[0,1]
	s_delay_alu instid0(VALU_DEP_1) | instskip(SKIP_1) | instid1(VALU_DEP_1)
	v_pk_fma_f32 v[138:139], v[136:137], v[126:127], v[128:129] op_sel:[0,0,1] op_sel_hi:[1,1,0] neg_lo:[0,0,1] neg_hi:[0,0,1]
	v_pk_fma_f32 v[126:127], v[136:137], v[126:127], v[128:129] op_sel:[0,0,1] op_sel_hi:[1,0,0]
	v_mov_b32_e32 v139, v127
	s_delay_alu instid0(VALU_DEP_1)
	v_pk_add_f32 v[124:125], v[124:125], v[138:139] neg_lo:[0,1] neg_hi:[0,1]
.LBB118_22:
	s_or_b32 exec_lo, exec_lo, s0
	v_lshl_add_u32 v126, v134, 3, v130
	s_barrier_signal -1
	s_barrier_wait -1
	ds_store_b64 v126, v[120:121]
	s_wait_dscnt 0x0
	s_barrier_signal -1
	s_barrier_wait -1
	ds_load_b64 v[128:129], v130 offset:8
	v_mov_b32_e32 v126, 1
	s_cmp_lt_i32 s18, 3
	s_cbranch_scc1 .LBB118_25
; %bb.23:
	v_add3_u32 v127, v131, 0, 16
	v_mov_b32_e32 v126, 1
	s_mov_b32 s0, 2
.LBB118_24:                             ; =>This Inner Loop Header: Depth=1
	ds_load_b64 v[136:137], v127
	s_wait_dscnt 0x1
	v_cmp_gt_f32_e32 vcc_lo, 0, v128
	v_cndmask_b32_e64 v138, v128, -v128, vcc_lo
	v_cmp_gt_f32_e32 vcc_lo, 0, v129
	v_cndmask_b32_e64 v140, v129, -v129, vcc_lo
	s_wait_dscnt 0x0
	v_cmp_gt_f32_e32 vcc_lo, 0, v136
	v_cndmask_b32_e64 v139, v136, -v136, vcc_lo
	v_cmp_gt_f32_e32 vcc_lo, 0, v137
	v_cndmask_b32_e64 v141, v137, -v137, vcc_lo
	s_delay_alu instid0(VALU_DEP_1) | instskip(NEXT) | instid1(VALU_DEP_1)
	v_pk_add_f32 v[138:139], v[138:139], v[140:141]
	v_cmp_lt_f32_e32 vcc_lo, v138, v139
	v_dual_add_nc_u32 v127, 8, v127 :: v_dual_cndmask_b32 v129, v129, v137, vcc_lo
	v_cndmask_b32_e32 v128, v128, v136, vcc_lo
	v_cndmask_b32_e64 v126, v126, s0, vcc_lo
	s_add_co_i32 s0, s0, 1
	s_delay_alu instid0(SALU_CYCLE_1)
	s_cmp_lg_u32 s18, s0
	s_cbranch_scc1 .LBB118_24
.LBB118_25:
	s_wait_dscnt 0x0
	v_cmp_neq_f32_e32 vcc_lo, 0, v128
	v_cmp_neq_f32_e64 s0, 0, v129
	s_or_b32 s1, vcc_lo, s0
	s_delay_alu instid0(SALU_CYCLE_1)
	s_and_saveexec_b32 s0, s1
	s_cbranch_execz .LBB118_31
; %bb.26:
	v_cmp_ngt_f32_e64 s1, |v128|, |v129|
	s_and_saveexec_b32 s12, s1
	s_delay_alu instid0(SALU_CYCLE_1)
	s_xor_b32 s1, exec_lo, s12
	s_cbranch_execz .LBB118_28
; %bb.27:
	v_div_scale_f32 v127, null, v129, v129, v128
	v_div_scale_f32 v137, vcc_lo, v128, v129, v128
	s_delay_alu instid0(VALU_DEP_2) | instskip(SKIP_1) | instid1(TRANS32_DEP_1)
	v_rcp_f32_e32 v132, v127
	v_nop
	v_fma_f32 v136, -v127, v132, 1.0
	s_delay_alu instid0(VALU_DEP_1) | instskip(NEXT) | instid1(VALU_DEP_1)
	v_fmac_f32_e32 v132, v136, v132
	v_mul_f32_e32 v136, v137, v132
	s_delay_alu instid0(VALU_DEP_1) | instskip(NEXT) | instid1(VALU_DEP_1)
	v_fma_f32 v138, -v127, v136, v137
	v_fmac_f32_e32 v136, v138, v132
	s_delay_alu instid0(VALU_DEP_1) | instskip(NEXT) | instid1(VALU_DEP_1)
	v_fma_f32 v127, -v127, v136, v137
	v_div_fmas_f32 v127, v127, v132, v136
	s_delay_alu instid0(VALU_DEP_1) | instskip(NEXT) | instid1(VALU_DEP_1)
	v_div_fixup_f32 v127, v127, v129, v128
	v_fmac_f32_e32 v129, v128, v127
	s_delay_alu instid0(VALU_DEP_1) | instskip(SKIP_1) | instid1(VALU_DEP_2)
	v_div_scale_f32 v128, null, v129, v129, 1.0
	v_div_scale_f32 v137, vcc_lo, 1.0, v129, 1.0
	v_rcp_f32_e32 v132, v128
	v_nop
	s_delay_alu instid0(TRANS32_DEP_1) | instskip(NEXT) | instid1(VALU_DEP_1)
	v_fma_f32 v136, -v128, v132, 1.0
	v_fmac_f32_e32 v132, v136, v132
	s_delay_alu instid0(VALU_DEP_1) | instskip(NEXT) | instid1(VALU_DEP_1)
	v_mul_f32_e32 v136, v137, v132
	v_fma_f32 v138, -v128, v136, v137
	s_delay_alu instid0(VALU_DEP_1) | instskip(NEXT) | instid1(VALU_DEP_1)
	v_fmac_f32_e32 v136, v138, v132
	v_fma_f32 v128, -v128, v136, v137
	s_delay_alu instid0(VALU_DEP_1) | instskip(NEXT) | instid1(VALU_DEP_1)
	v_div_fmas_f32 v128, v128, v132, v136
	v_div_fixup_f32 v129, v128, v129, 1.0
	s_delay_alu instid0(VALU_DEP_1)
	v_mul_f32_e32 v128, v127, v129
	v_xor_b32_e32 v129, 0x80000000, v129
.LBB118_28:
	s_and_not1_saveexec_b32 s1, s1
	s_cbranch_execz .LBB118_30
; %bb.29:
	s_delay_alu instid0(VALU_DEP_1) | instskip(SKIP_1) | instid1(VALU_DEP_2)
	v_div_scale_f32 v127, null, v128, v128, v129
	v_div_scale_f32 v137, vcc_lo, v129, v128, v129
	v_rcp_f32_e32 v132, v127
	v_nop
	s_delay_alu instid0(TRANS32_DEP_1) | instskip(NEXT) | instid1(VALU_DEP_1)
	v_fma_f32 v136, -v127, v132, 1.0
	v_fmac_f32_e32 v132, v136, v132
	s_delay_alu instid0(VALU_DEP_1) | instskip(NEXT) | instid1(VALU_DEP_1)
	v_mul_f32_e32 v136, v137, v132
	v_fma_f32 v138, -v127, v136, v137
	s_delay_alu instid0(VALU_DEP_1) | instskip(NEXT) | instid1(VALU_DEP_1)
	v_fmac_f32_e32 v136, v138, v132
	v_fma_f32 v127, -v127, v136, v137
	s_delay_alu instid0(VALU_DEP_1) | instskip(NEXT) | instid1(VALU_DEP_1)
	v_div_fmas_f32 v127, v127, v132, v136
	v_div_fixup_f32 v127, v127, v128, v129
	s_delay_alu instid0(VALU_DEP_1) | instskip(NEXT) | instid1(VALU_DEP_1)
	v_fmac_f32_e32 v128, v129, v127
	v_div_scale_f32 v129, null, v128, v128, 1.0
	s_delay_alu instid0(VALU_DEP_1) | instskip(SKIP_1) | instid1(TRANS32_DEP_1)
	v_rcp_f32_e32 v132, v129
	v_nop
	v_fma_f32 v136, -v129, v132, 1.0
	s_delay_alu instid0(VALU_DEP_1) | instskip(SKIP_1) | instid1(VALU_DEP_1)
	v_fmac_f32_e32 v132, v136, v132
	v_div_scale_f32 v136, vcc_lo, 1.0, v128, 1.0
	v_mul_f32_e32 v137, v136, v132
	s_delay_alu instid0(VALU_DEP_1) | instskip(NEXT) | instid1(VALU_DEP_1)
	v_fma_f32 v138, -v129, v137, v136
	v_fmac_f32_e32 v137, v138, v132
	s_delay_alu instid0(VALU_DEP_1) | instskip(NEXT) | instid1(VALU_DEP_1)
	v_fma_f32 v129, -v129, v137, v136
	v_div_fmas_f32 v129, v129, v132, v137
	s_delay_alu instid0(VALU_DEP_1) | instskip(NEXT) | instid1(VALU_DEP_1)
	v_div_fixup_f32 v128, v129, v128, 1.0
	v_mul_f32_e64 v129, v127, -v128
.LBB118_30:
	s_or_b32 exec_lo, exec_lo, s1
	v_mov_b32_e32 v132, v135
.LBB118_31:
	s_or_b32 exec_lo, exec_lo, s0
	s_delay_alu instid0(SALU_CYCLE_1)
	s_mov_b32 s0, exec_lo
	v_cmpx_ne_u32_e64 v134, v126
	s_xor_b32 s0, exec_lo, s0
	s_cbranch_execz .LBB118_37
; %bb.32:
	s_mov_b32 s1, exec_lo
	v_cmpx_eq_u32_e32 1, v134
	s_cbranch_execz .LBB118_36
; %bb.33:
	v_cmp_ne_u32_e32 vcc_lo, 1, v126
	s_xor_b32 s12, s16, -1
	s_delay_alu instid0(SALU_CYCLE_1) | instskip(NEXT) | instid1(SALU_CYCLE_1)
	s_and_b32 s13, s12, vcc_lo
	s_and_saveexec_b32 s12, s13
	s_cbranch_execz .LBB118_35
; %bb.34:
	v_ashrrev_i32_e32 v127, 31, v126
	s_delay_alu instid0(VALU_DEP_1)
	v_lshl_add_u64 v[134:135], v[126:127], 2, v[4:5]
	s_clause 0x1
	global_load_b32 v127, v[134:135], off
	global_load_b32 v133, v[4:5], off offset:4
	s_wait_loadcnt 0x1
	global_store_b32 v[4:5], v127, off offset:4
	s_wait_loadcnt 0x0
	global_store_b32 v[134:135], v133, off
.LBB118_35:
	s_wait_xcnt 0x0
	s_or_b32 exec_lo, exec_lo, s12
	v_dual_mov_b32 v134, v126 :: v_dual_mov_b32 v133, v126
.LBB118_36:
	s_or_b32 exec_lo, exec_lo, s1
.LBB118_37:
	s_and_not1_saveexec_b32 s0, s0
	s_cbranch_execz .LBB118_39
; %bb.38:
	v_dual_mov_b32 v126, v118 :: v_dual_mov_b32 v127, v119
	v_dual_mov_b32 v134, v116 :: v_dual_mov_b32 v135, v117
	v_dual_mov_b32 v136, v114 :: v_dual_mov_b32 v137, v115
	v_dual_mov_b32 v138, v110 :: v_dual_mov_b32 v139, v111
	v_dual_mov_b32 v140, v112 :: v_dual_mov_b32 v141, v113
	v_dual_mov_b32 v142, v42 :: v_dual_mov_b32 v143, v43
	v_dual_mov_b32 v144, v108 :: v_dual_mov_b32 v145, v109
	v_dual_mov_b32 v146, v104 :: v_dual_mov_b32 v147, v105
	v_dual_mov_b32 v148, v106 :: v_dual_mov_b32 v149, v107
	v_dual_mov_b32 v150, v40 :: v_dual_mov_b32 v151, v41
	v_dual_mov_b32 v152, v102 :: v_dual_mov_b32 v153, v103
	v_dual_mov_b32 v154, v98 :: v_dual_mov_b32 v155, v99
	ds_store_2addr_b64 v130, v[126:127], v[134:135] offset0:2 offset1:3
	ds_store_2addr_b64 v130, v[136:137], v[138:139] offset0:4 offset1:5
	ds_store_2addr_b64 v130, v[140:141], v[142:143] offset0:6 offset1:7
	ds_store_2addr_b64 v130, v[144:145], v[146:147] offset0:8 offset1:9
	ds_store_2addr_b64 v130, v[148:149], v[150:151] offset0:10 offset1:11
	ds_store_2addr_b64 v130, v[152:153], v[154:155] offset0:12 offset1:13
	v_dual_mov_b32 v126, v100 :: v_dual_mov_b32 v127, v101
	v_dual_mov_b32 v134, v38 :: v_dual_mov_b32 v135, v39
	v_dual_mov_b32 v136, v96 :: v_dual_mov_b32 v137, v97
	v_dual_mov_b32 v138, v92 :: v_dual_mov_b32 v139, v93
	v_dual_mov_b32 v140, v94 :: v_dual_mov_b32 v141, v95
	v_dual_mov_b32 v142, v36 :: v_dual_mov_b32 v143, v37
	v_dual_mov_b32 v144, v90 :: v_dual_mov_b32 v145, v91
	v_dual_mov_b32 v146, v86 :: v_dual_mov_b32 v147, v87
	v_dual_mov_b32 v148, v88 :: v_dual_mov_b32 v149, v89
	v_dual_mov_b32 v150, v30 :: v_dual_mov_b32 v151, v31
	v_dual_mov_b32 v152, v84 :: v_dual_mov_b32 v153, v85
	v_dual_mov_b32 v154, v80 :: v_dual_mov_b32 v155, v81
	ds_store_2addr_b64 v130, v[126:127], v[134:135] offset0:14 offset1:15
	ds_store_2addr_b64 v130, v[136:137], v[138:139] offset0:16 offset1:17
	ds_store_2addr_b64 v130, v[140:141], v[142:143] offset0:18 offset1:19
	ds_store_2addr_b64 v130, v[144:145], v[146:147] offset0:20 offset1:21
	ds_store_2addr_b64 v130, v[148:149], v[150:151] offset0:22 offset1:23
	ds_store_2addr_b64 v130, v[152:153], v[154:155] offset0:24 offset1:25
	;; [unrolled: 18-line block ×4, first 2 shown]
	v_dual_mov_b32 v126, v48 :: v_dual_mov_b32 v127, v49
	v_dual_mov_b32 v136, v8 :: v_dual_mov_b32 v137, v9
	;; [unrolled: 1-line block ×9, first 2 shown]
	v_mov_b32_e32 v151, v15
	ds_store_2addr_b64 v130, v[126:127], v[136:137] offset0:50 offset1:51
	ds_store_2addr_b64 v130, v[138:139], v[140:141] offset0:52 offset1:53
	ds_store_2addr_b64 v130, v[142:143], v[144:145] offset0:54 offset1:55
	ds_store_2addr_b64 v130, v[146:147], v[148:149] offset0:56 offset1:57
	ds_store_2addr_b64 v130, v[150:151], v[124:125] offset0:58 offset1:59
.LBB118_39:
	s_or_b32 exec_lo, exec_lo, s0
	s_delay_alu instid0(SALU_CYCLE_1)
	s_mov_b32 s0, exec_lo
	s_wait_storecnt_dscnt 0x0
	s_barrier_signal -1
	s_barrier_wait -1
	v_cmpx_lt_i32_e32 1, v134
	s_cbranch_execz .LBB118_41
; %bb.40:
	v_pk_mul_f32 v[136:137], v[128:129], v[120:121] op_sel:[1,1] op_sel_hi:[0,1]
	s_delay_alu instid0(VALU_DEP_1)
	v_pk_fma_f32 v[126:127], v[128:129], v[120:121], v[136:137] op_sel_hi:[1,0,1] neg_lo:[0,0,1] neg_hi:[0,0,1]
	v_pk_fma_f32 v[128:129], v[128:129], v[120:121], v[136:137] op_sel_hi:[1,0,1]
	ds_load_2addr_b64 v[136:139], v130 offset0:2 offset1:3
	v_dual_mov_b32 v120, v126 :: v_dual_mov_b32 v121, v129
	s_wait_dscnt 0x0
	v_pk_mul_f32 v[140:141], v[136:137], v[128:129] op_sel:[0,1]
	s_delay_alu instid0(VALU_DEP_1) | instskip(SKIP_1) | instid1(VALU_DEP_1)
	v_pk_fma_f32 v[142:143], v[136:137], v[126:127], v[140:141] op_sel:[0,0,1] op_sel_hi:[1,1,0] neg_lo:[0,0,1] neg_hi:[0,0,1]
	v_pk_fma_f32 v[136:137], v[136:137], v[126:127], v[140:141] op_sel:[0,0,1] op_sel_hi:[1,0,0]
	v_mov_b32_e32 v143, v137
	v_pk_mul_f32 v[136:137], v[138:139], v[128:129] op_sel:[0,1]
	s_delay_alu instid0(VALU_DEP_1) | instskip(SKIP_1) | instid1(VALU_DEP_1)
	v_pk_fma_f32 v[140:141], v[138:139], v[126:127], v[136:137] op_sel:[0,0,1] op_sel_hi:[1,1,0] neg_lo:[0,0,1] neg_hi:[0,0,1]
	v_pk_fma_f32 v[136:137], v[138:139], v[126:127], v[136:137] op_sel:[0,0,1] op_sel_hi:[1,0,0]
	v_mov_b32_e32 v141, v137
	ds_load_2addr_b64 v[136:139], v130 offset0:4 offset1:5
	v_pk_add_f32 v[118:119], v[118:119], v[142:143] neg_lo:[0,1] neg_hi:[0,1]
	v_pk_add_f32 v[116:117], v[116:117], v[140:141] neg_lo:[0,1] neg_hi:[0,1]
	s_wait_dscnt 0x0
	v_pk_mul_f32 v[140:141], v[136:137], v[128:129] op_sel:[0,1]
	s_delay_alu instid0(VALU_DEP_1) | instskip(SKIP_2) | instid1(VALU_DEP_2)
	v_pk_fma_f32 v[142:143], v[136:137], v[126:127], v[140:141] op_sel:[0,0,1] op_sel_hi:[1,1,0] neg_lo:[0,0,1] neg_hi:[0,0,1]
	v_pk_fma_f32 v[136:137], v[136:137], v[126:127], v[140:141] op_sel:[0,0,1] op_sel_hi:[1,0,0]
	v_dual_mul_f32 v140, v139, v129 :: v_dual_mov_b32 v136, v139
	v_dual_mov_b32 v143, v137 :: v_dual_mov_b32 v137, v138
	s_delay_alu instid0(VALU_DEP_2) | instskip(SKIP_1) | instid1(VALU_DEP_3)
	v_pk_fma_f32 v[140:141], v[138:139], v[120:121], v[140:141] op_sel_hi:[1,1,0] neg_lo:[0,0,1] neg_hi:[0,0,1]
	v_mul_f32_e32 v138, v139, v126
	v_pk_add_f32 v[114:115], v[114:115], v[142:143] neg_lo:[0,1] neg_hi:[0,1]
	s_delay_alu instid0(VALU_DEP_2) | instskip(NEXT) | instid1(VALU_DEP_1)
	v_pk_fma_f32 v[136:137], v[136:137], v[120:121], v[138:139] op_sel_hi:[1,1,0]
	v_mov_b32_e32 v141, v137
	ds_load_2addr_b64 v[136:139], v130 offset0:6 offset1:7
	v_pk_add_f32 v[110:111], v[110:111], v[140:141] neg_lo:[0,1] neg_hi:[0,1]
	s_wait_dscnt 0x0
	v_pk_mul_f32 v[140:141], v[136:137], v[128:129] op_sel:[0,1]
	s_delay_alu instid0(VALU_DEP_1) | instskip(SKIP_1) | instid1(VALU_DEP_1)
	v_pk_fma_f32 v[142:143], v[136:137], v[126:127], v[140:141] op_sel:[0,0,1] op_sel_hi:[1,1,0] neg_lo:[0,0,1] neg_hi:[0,0,1]
	v_pk_fma_f32 v[136:137], v[136:137], v[126:127], v[140:141] op_sel:[0,0,1] op_sel_hi:[1,0,0]
	v_mov_b32_e32 v143, v137
	v_pk_mul_f32 v[136:137], v[138:139], v[128:129] op_sel:[0,1]
	s_delay_alu instid0(VALU_DEP_1) | instskip(SKIP_1) | instid1(VALU_DEP_1)
	v_pk_fma_f32 v[140:141], v[138:139], v[126:127], v[136:137] op_sel:[0,0,1] op_sel_hi:[1,1,0] neg_lo:[0,0,1] neg_hi:[0,0,1]
	v_pk_fma_f32 v[136:137], v[138:139], v[126:127], v[136:137] op_sel:[0,0,1] op_sel_hi:[1,0,0]
	v_mov_b32_e32 v141, v137
	ds_load_2addr_b64 v[136:139], v130 offset0:8 offset1:9
	v_pk_add_f32 v[112:113], v[112:113], v[142:143] neg_lo:[0,1] neg_hi:[0,1]
	v_pk_add_f32 v[42:43], v[42:43], v[140:141] neg_lo:[0,1] neg_hi:[0,1]
	s_wait_dscnt 0x0
	v_pk_mul_f32 v[140:141], v[136:137], v[128:129] op_sel:[0,1]
	s_delay_alu instid0(VALU_DEP_1) | instskip(SKIP_1) | instid1(VALU_DEP_1)
	v_pk_fma_f32 v[142:143], v[136:137], v[126:127], v[140:141] op_sel:[0,0,1] op_sel_hi:[1,1,0] neg_lo:[0,0,1] neg_hi:[0,0,1]
	v_pk_fma_f32 v[136:137], v[136:137], v[126:127], v[140:141] op_sel:[0,0,1] op_sel_hi:[1,0,0]
	v_mov_b32_e32 v143, v137
	v_pk_mul_f32 v[136:137], v[138:139], v[128:129] op_sel:[0,1]
	s_delay_alu instid0(VALU_DEP_1) | instskip(SKIP_1) | instid1(VALU_DEP_1)
	v_pk_fma_f32 v[140:141], v[138:139], v[126:127], v[136:137] op_sel:[0,0,1] op_sel_hi:[1,1,0] neg_lo:[0,0,1] neg_hi:[0,0,1]
	v_pk_fma_f32 v[136:137], v[138:139], v[126:127], v[136:137] op_sel:[0,0,1] op_sel_hi:[1,0,0]
	v_mov_b32_e32 v141, v137
	ds_load_2addr_b64 v[136:139], v130 offset0:10 offset1:11
	v_pk_add_f32 v[108:109], v[108:109], v[142:143] neg_lo:[0,1] neg_hi:[0,1]
	v_pk_add_f32 v[104:105], v[104:105], v[140:141] neg_lo:[0,1] neg_hi:[0,1]
	s_wait_dscnt 0x0
	v_dual_mul_f32 v140, v137, v129 :: v_dual_mul_f32 v142, v137, v126
	s_delay_alu instid0(VALU_DEP_1) | instskip(NEXT) | instid1(VALU_DEP_2)
	v_pk_fma_f32 v[140:141], v[136:137], v[120:121], v[140:141] op_sel_hi:[1,1,0] neg_lo:[0,0,1] neg_hi:[0,0,1]
	v_pk_fma_f32 v[136:137], v[136:137], v[120:121], v[142:143] op_sel:[1,0,0] op_sel_hi:[0,1,0]
	s_delay_alu instid0(VALU_DEP_1) | instskip(SKIP_1) | instid1(VALU_DEP_2)
	v_mov_b32_e32 v141, v137
	v_pk_mul_f32 v[136:137], v[138:139], v[128:129] op_sel:[0,1]
	v_pk_add_f32 v[106:107], v[106:107], v[140:141] neg_lo:[0,1] neg_hi:[0,1]
	s_delay_alu instid0(VALU_DEP_2) | instskip(SKIP_1) | instid1(VALU_DEP_1)
	v_pk_fma_f32 v[140:141], v[138:139], v[126:127], v[136:137] op_sel:[0,0,1] op_sel_hi:[1,1,0] neg_lo:[0,0,1] neg_hi:[0,0,1]
	v_pk_fma_f32 v[136:137], v[138:139], v[126:127], v[136:137] op_sel:[0,0,1] op_sel_hi:[1,0,0]
	v_mov_b32_e32 v141, v137
	ds_load_2addr_b64 v[136:139], v130 offset0:12 offset1:13
	v_pk_add_f32 v[40:41], v[40:41], v[140:141] neg_lo:[0,1] neg_hi:[0,1]
	s_wait_dscnt 0x0
	v_pk_mul_f32 v[140:141], v[136:137], v[128:129] op_sel:[0,1]
	s_delay_alu instid0(VALU_DEP_1) | instskip(SKIP_1) | instid1(VALU_DEP_1)
	v_pk_fma_f32 v[142:143], v[136:137], v[126:127], v[140:141] op_sel:[0,0,1] op_sel_hi:[1,1,0] neg_lo:[0,0,1] neg_hi:[0,0,1]
	v_pk_fma_f32 v[136:137], v[136:137], v[126:127], v[140:141] op_sel:[0,0,1] op_sel_hi:[1,0,0]
	v_mov_b32_e32 v143, v137
	v_pk_mul_f32 v[136:137], v[138:139], v[128:129] op_sel:[0,1]
	s_delay_alu instid0(VALU_DEP_2) | instskip(NEXT) | instid1(VALU_DEP_2)
	v_pk_add_f32 v[102:103], v[102:103], v[142:143] neg_lo:[0,1] neg_hi:[0,1]
	v_pk_fma_f32 v[140:141], v[138:139], v[126:127], v[136:137] op_sel:[0,0,1] op_sel_hi:[1,1,0] neg_lo:[0,0,1] neg_hi:[0,0,1]
	v_pk_fma_f32 v[136:137], v[138:139], v[126:127], v[136:137] op_sel:[0,0,1] op_sel_hi:[1,0,0]
	s_delay_alu instid0(VALU_DEP_1) | instskip(SKIP_4) | instid1(VALU_DEP_1)
	v_mov_b32_e32 v141, v137
	ds_load_2addr_b64 v[136:139], v130 offset0:14 offset1:15
	v_pk_add_f32 v[98:99], v[98:99], v[140:141] neg_lo:[0,1] neg_hi:[0,1]
	s_wait_dscnt 0x0
	v_pk_mul_f32 v[140:141], v[136:137], v[128:129] op_sel:[0,1]
	v_pk_fma_f32 v[142:143], v[136:137], v[126:127], v[140:141] op_sel:[0,0,1] op_sel_hi:[1,1,0] neg_lo:[0,0,1] neg_hi:[0,0,1]
	v_pk_fma_f32 v[136:137], v[136:137], v[126:127], v[140:141] op_sel:[0,0,1] op_sel_hi:[1,0,0]
	v_dual_mul_f32 v140, v139, v129 :: v_dual_mov_b32 v136, v139
	s_delay_alu instid0(VALU_DEP_2) | instskip(NEXT) | instid1(VALU_DEP_2)
	v_dual_mov_b32 v143, v137 :: v_dual_mov_b32 v137, v138
	v_pk_fma_f32 v[140:141], v[138:139], v[120:121], v[140:141] op_sel_hi:[1,1,0] neg_lo:[0,0,1] neg_hi:[0,0,1]
	v_mul_f32_e32 v138, v139, v126
	s_delay_alu instid0(VALU_DEP_3) | instskip(NEXT) | instid1(VALU_DEP_2)
	v_pk_add_f32 v[100:101], v[100:101], v[142:143] neg_lo:[0,1] neg_hi:[0,1]
	v_pk_fma_f32 v[136:137], v[136:137], v[120:121], v[138:139] op_sel_hi:[1,1,0]
	s_delay_alu instid0(VALU_DEP_1) | instskip(SKIP_4) | instid1(VALU_DEP_1)
	v_mov_b32_e32 v141, v137
	ds_load_2addr_b64 v[136:139], v130 offset0:16 offset1:17
	v_pk_add_f32 v[38:39], v[38:39], v[140:141] neg_lo:[0,1] neg_hi:[0,1]
	s_wait_dscnt 0x0
	v_pk_mul_f32 v[140:141], v[136:137], v[128:129] op_sel:[0,1]
	v_pk_fma_f32 v[142:143], v[136:137], v[126:127], v[140:141] op_sel:[0,0,1] op_sel_hi:[1,1,0] neg_lo:[0,0,1] neg_hi:[0,0,1]
	v_pk_fma_f32 v[136:137], v[136:137], v[126:127], v[140:141] op_sel:[0,0,1] op_sel_hi:[1,0,0]
	s_delay_alu instid0(VALU_DEP_1) | instskip(SKIP_1) | instid1(VALU_DEP_1)
	v_mov_b32_e32 v143, v137
	v_pk_mul_f32 v[136:137], v[138:139], v[128:129] op_sel:[0,1]
	v_pk_fma_f32 v[140:141], v[138:139], v[126:127], v[136:137] op_sel:[0,0,1] op_sel_hi:[1,1,0] neg_lo:[0,0,1] neg_hi:[0,0,1]
	v_pk_fma_f32 v[136:137], v[138:139], v[126:127], v[136:137] op_sel:[0,0,1] op_sel_hi:[1,0,0]
	s_delay_alu instid0(VALU_DEP_1)
	v_mov_b32_e32 v141, v137
	ds_load_2addr_b64 v[136:139], v130 offset0:18 offset1:19
	v_pk_add_f32 v[96:97], v[96:97], v[142:143] neg_lo:[0,1] neg_hi:[0,1]
	v_pk_add_f32 v[92:93], v[92:93], v[140:141] neg_lo:[0,1] neg_hi:[0,1]
	s_wait_dscnt 0x0
	v_pk_mul_f32 v[140:141], v[136:137], v[128:129] op_sel:[0,1]
	s_delay_alu instid0(VALU_DEP_1) | instskip(SKIP_1) | instid1(VALU_DEP_1)
	v_pk_fma_f32 v[142:143], v[136:137], v[126:127], v[140:141] op_sel:[0,0,1] op_sel_hi:[1,1,0] neg_lo:[0,0,1] neg_hi:[0,0,1]
	v_pk_fma_f32 v[136:137], v[136:137], v[126:127], v[140:141] op_sel:[0,0,1] op_sel_hi:[1,0,0]
	v_mov_b32_e32 v143, v137
	v_pk_mul_f32 v[136:137], v[138:139], v[128:129] op_sel:[0,1]
	s_delay_alu instid0(VALU_DEP_1) | instskip(SKIP_1) | instid1(VALU_DEP_1)
	v_pk_fma_f32 v[140:141], v[138:139], v[126:127], v[136:137] op_sel:[0,0,1] op_sel_hi:[1,1,0] neg_lo:[0,0,1] neg_hi:[0,0,1]
	v_pk_fma_f32 v[136:137], v[138:139], v[126:127], v[136:137] op_sel:[0,0,1] op_sel_hi:[1,0,0]
	v_mov_b32_e32 v141, v137
	ds_load_2addr_b64 v[136:139], v130 offset0:20 offset1:21
	v_pk_add_f32 v[94:95], v[94:95], v[142:143] neg_lo:[0,1] neg_hi:[0,1]
	v_pk_add_f32 v[36:37], v[36:37], v[140:141] neg_lo:[0,1] neg_hi:[0,1]
	s_wait_dscnt 0x0
	v_dual_mul_f32 v140, v137, v129 :: v_dual_mul_f32 v142, v137, v126
	s_delay_alu instid0(VALU_DEP_1) | instskip(NEXT) | instid1(VALU_DEP_2)
	v_pk_fma_f32 v[140:141], v[136:137], v[120:121], v[140:141] op_sel_hi:[1,1,0] neg_lo:[0,0,1] neg_hi:[0,0,1]
	v_pk_fma_f32 v[136:137], v[136:137], v[120:121], v[142:143] op_sel:[1,0,0] op_sel_hi:[0,1,0]
	s_delay_alu instid0(VALU_DEP_1) | instskip(SKIP_1) | instid1(VALU_DEP_2)
	v_mov_b32_e32 v141, v137
	v_pk_mul_f32 v[136:137], v[138:139], v[128:129] op_sel:[0,1]
	v_pk_add_f32 v[90:91], v[90:91], v[140:141] neg_lo:[0,1] neg_hi:[0,1]
	s_delay_alu instid0(VALU_DEP_2) | instskip(SKIP_1) | instid1(VALU_DEP_1)
	v_pk_fma_f32 v[140:141], v[138:139], v[126:127], v[136:137] op_sel:[0,0,1] op_sel_hi:[1,1,0] neg_lo:[0,0,1] neg_hi:[0,0,1]
	v_pk_fma_f32 v[136:137], v[138:139], v[126:127], v[136:137] op_sel:[0,0,1] op_sel_hi:[1,0,0]
	v_mov_b32_e32 v141, v137
	ds_load_2addr_b64 v[136:139], v130 offset0:22 offset1:23
	v_pk_add_f32 v[86:87], v[86:87], v[140:141] neg_lo:[0,1] neg_hi:[0,1]
	s_wait_dscnt 0x0
	v_pk_mul_f32 v[140:141], v[136:137], v[128:129] op_sel:[0,1]
	s_delay_alu instid0(VALU_DEP_1) | instskip(SKIP_1) | instid1(VALU_DEP_1)
	v_pk_fma_f32 v[142:143], v[136:137], v[126:127], v[140:141] op_sel:[0,0,1] op_sel_hi:[1,1,0] neg_lo:[0,0,1] neg_hi:[0,0,1]
	v_pk_fma_f32 v[136:137], v[136:137], v[126:127], v[140:141] op_sel:[0,0,1] op_sel_hi:[1,0,0]
	v_mov_b32_e32 v143, v137
	v_pk_mul_f32 v[136:137], v[138:139], v[128:129] op_sel:[0,1]
	s_delay_alu instid0(VALU_DEP_2) | instskip(NEXT) | instid1(VALU_DEP_2)
	v_pk_add_f32 v[88:89], v[88:89], v[142:143] neg_lo:[0,1] neg_hi:[0,1]
	v_pk_fma_f32 v[140:141], v[138:139], v[126:127], v[136:137] op_sel:[0,0,1] op_sel_hi:[1,1,0] neg_lo:[0,0,1] neg_hi:[0,0,1]
	v_pk_fma_f32 v[136:137], v[138:139], v[126:127], v[136:137] op_sel:[0,0,1] op_sel_hi:[1,0,0]
	s_delay_alu instid0(VALU_DEP_1) | instskip(SKIP_4) | instid1(VALU_DEP_1)
	v_mov_b32_e32 v141, v137
	ds_load_2addr_b64 v[136:139], v130 offset0:24 offset1:25
	v_pk_add_f32 v[30:31], v[30:31], v[140:141] neg_lo:[0,1] neg_hi:[0,1]
	s_wait_dscnt 0x0
	v_pk_mul_f32 v[140:141], v[136:137], v[128:129] op_sel:[0,1]
	v_pk_fma_f32 v[142:143], v[136:137], v[126:127], v[140:141] op_sel:[0,0,1] op_sel_hi:[1,1,0] neg_lo:[0,0,1] neg_hi:[0,0,1]
	v_pk_fma_f32 v[136:137], v[136:137], v[126:127], v[140:141] op_sel:[0,0,1] op_sel_hi:[1,0,0]
	v_dual_mul_f32 v140, v139, v129 :: v_dual_mov_b32 v136, v139
	s_delay_alu instid0(VALU_DEP_2) | instskip(NEXT) | instid1(VALU_DEP_2)
	v_dual_mov_b32 v143, v137 :: v_dual_mov_b32 v137, v138
	v_pk_fma_f32 v[140:141], v[138:139], v[120:121], v[140:141] op_sel_hi:[1,1,0] neg_lo:[0,0,1] neg_hi:[0,0,1]
	v_mul_f32_e32 v138, v139, v126
	s_delay_alu instid0(VALU_DEP_3) | instskip(NEXT) | instid1(VALU_DEP_2)
	v_pk_add_f32 v[84:85], v[84:85], v[142:143] neg_lo:[0,1] neg_hi:[0,1]
	v_pk_fma_f32 v[136:137], v[136:137], v[120:121], v[138:139] op_sel_hi:[1,1,0]
	s_delay_alu instid0(VALU_DEP_1) | instskip(SKIP_4) | instid1(VALU_DEP_1)
	v_mov_b32_e32 v141, v137
	ds_load_2addr_b64 v[136:139], v130 offset0:26 offset1:27
	v_pk_add_f32 v[80:81], v[80:81], v[140:141] neg_lo:[0,1] neg_hi:[0,1]
	s_wait_dscnt 0x0
	v_pk_mul_f32 v[140:141], v[136:137], v[128:129] op_sel:[0,1]
	v_pk_fma_f32 v[142:143], v[136:137], v[126:127], v[140:141] op_sel:[0,0,1] op_sel_hi:[1,1,0] neg_lo:[0,0,1] neg_hi:[0,0,1]
	v_pk_fma_f32 v[136:137], v[136:137], v[126:127], v[140:141] op_sel:[0,0,1] op_sel_hi:[1,0,0]
	s_delay_alu instid0(VALU_DEP_1) | instskip(SKIP_1) | instid1(VALU_DEP_1)
	v_mov_b32_e32 v143, v137
	v_pk_mul_f32 v[136:137], v[138:139], v[128:129] op_sel:[0,1]
	v_pk_fma_f32 v[140:141], v[138:139], v[126:127], v[136:137] op_sel:[0,0,1] op_sel_hi:[1,1,0] neg_lo:[0,0,1] neg_hi:[0,0,1]
	v_pk_fma_f32 v[136:137], v[138:139], v[126:127], v[136:137] op_sel:[0,0,1] op_sel_hi:[1,0,0]
	s_delay_alu instid0(VALU_DEP_1)
	v_mov_b32_e32 v141, v137
	ds_load_2addr_b64 v[136:139], v130 offset0:28 offset1:29
	v_pk_add_f32 v[82:83], v[82:83], v[142:143] neg_lo:[0,1] neg_hi:[0,1]
	v_pk_add_f32 v[24:25], v[24:25], v[140:141] neg_lo:[0,1] neg_hi:[0,1]
	s_wait_dscnt 0x0
	v_pk_mul_f32 v[140:141], v[136:137], v[128:129] op_sel:[0,1]
	s_delay_alu instid0(VALU_DEP_1) | instskip(SKIP_1) | instid1(VALU_DEP_1)
	v_pk_fma_f32 v[142:143], v[136:137], v[126:127], v[140:141] op_sel:[0,0,1] op_sel_hi:[1,1,0] neg_lo:[0,0,1] neg_hi:[0,0,1]
	v_pk_fma_f32 v[136:137], v[136:137], v[126:127], v[140:141] op_sel:[0,0,1] op_sel_hi:[1,0,0]
	v_mov_b32_e32 v143, v137
	v_pk_mul_f32 v[136:137], v[138:139], v[128:129] op_sel:[0,1]
	s_delay_alu instid0(VALU_DEP_1) | instskip(SKIP_1) | instid1(VALU_DEP_1)
	v_pk_fma_f32 v[140:141], v[138:139], v[126:127], v[136:137] op_sel:[0,0,1] op_sel_hi:[1,1,0] neg_lo:[0,0,1] neg_hi:[0,0,1]
	v_pk_fma_f32 v[136:137], v[138:139], v[126:127], v[136:137] op_sel:[0,0,1] op_sel_hi:[1,0,0]
	v_mov_b32_e32 v141, v137
	ds_load_2addr_b64 v[136:139], v130 offset0:30 offset1:31
	v_pk_add_f32 v[78:79], v[78:79], v[142:143] neg_lo:[0,1] neg_hi:[0,1]
	v_pk_add_f32 v[74:75], v[74:75], v[140:141] neg_lo:[0,1] neg_hi:[0,1]
	s_wait_dscnt 0x0
	v_dual_mul_f32 v140, v137, v129 :: v_dual_mul_f32 v142, v137, v126
	s_delay_alu instid0(VALU_DEP_1) | instskip(NEXT) | instid1(VALU_DEP_2)
	v_pk_fma_f32 v[140:141], v[136:137], v[120:121], v[140:141] op_sel_hi:[1,1,0] neg_lo:[0,0,1] neg_hi:[0,0,1]
	v_pk_fma_f32 v[136:137], v[136:137], v[120:121], v[142:143] op_sel:[1,0,0] op_sel_hi:[0,1,0]
	s_delay_alu instid0(VALU_DEP_1) | instskip(SKIP_1) | instid1(VALU_DEP_2)
	v_mov_b32_e32 v141, v137
	v_pk_mul_f32 v[136:137], v[138:139], v[128:129] op_sel:[0,1]
	v_pk_add_f32 v[76:77], v[76:77], v[140:141] neg_lo:[0,1] neg_hi:[0,1]
	s_delay_alu instid0(VALU_DEP_2) | instskip(SKIP_1) | instid1(VALU_DEP_1)
	v_pk_fma_f32 v[140:141], v[138:139], v[126:127], v[136:137] op_sel:[0,0,1] op_sel_hi:[1,1,0] neg_lo:[0,0,1] neg_hi:[0,0,1]
	v_pk_fma_f32 v[136:137], v[138:139], v[126:127], v[136:137] op_sel:[0,0,1] op_sel_hi:[1,0,0]
	v_mov_b32_e32 v141, v137
	ds_load_2addr_b64 v[136:139], v130 offset0:32 offset1:33
	v_pk_add_f32 v[22:23], v[22:23], v[140:141] neg_lo:[0,1] neg_hi:[0,1]
	s_wait_dscnt 0x0
	v_pk_mul_f32 v[140:141], v[136:137], v[128:129] op_sel:[0,1]
	s_delay_alu instid0(VALU_DEP_1) | instskip(SKIP_1) | instid1(VALU_DEP_1)
	v_pk_fma_f32 v[142:143], v[136:137], v[126:127], v[140:141] op_sel:[0,0,1] op_sel_hi:[1,1,0] neg_lo:[0,0,1] neg_hi:[0,0,1]
	v_pk_fma_f32 v[136:137], v[136:137], v[126:127], v[140:141] op_sel:[0,0,1] op_sel_hi:[1,0,0]
	v_mov_b32_e32 v143, v137
	v_pk_mul_f32 v[136:137], v[138:139], v[128:129] op_sel:[0,1]
	s_delay_alu instid0(VALU_DEP_2) | instskip(NEXT) | instid1(VALU_DEP_2)
	v_pk_add_f32 v[72:73], v[72:73], v[142:143] neg_lo:[0,1] neg_hi:[0,1]
	v_pk_fma_f32 v[140:141], v[138:139], v[126:127], v[136:137] op_sel:[0,0,1] op_sel_hi:[1,1,0] neg_lo:[0,0,1] neg_hi:[0,0,1]
	v_pk_fma_f32 v[136:137], v[138:139], v[126:127], v[136:137] op_sel:[0,0,1] op_sel_hi:[1,0,0]
	s_delay_alu instid0(VALU_DEP_1) | instskip(SKIP_4) | instid1(VALU_DEP_1)
	v_mov_b32_e32 v141, v137
	ds_load_2addr_b64 v[136:139], v130 offset0:34 offset1:35
	v_pk_add_f32 v[68:69], v[68:69], v[140:141] neg_lo:[0,1] neg_hi:[0,1]
	s_wait_dscnt 0x0
	v_pk_mul_f32 v[140:141], v[136:137], v[128:129] op_sel:[0,1]
	v_pk_fma_f32 v[142:143], v[136:137], v[126:127], v[140:141] op_sel:[0,0,1] op_sel_hi:[1,1,0] neg_lo:[0,0,1] neg_hi:[0,0,1]
	v_pk_fma_f32 v[136:137], v[136:137], v[126:127], v[140:141] op_sel:[0,0,1] op_sel_hi:[1,0,0]
	v_dual_mul_f32 v140, v139, v129 :: v_dual_mov_b32 v136, v139
	s_delay_alu instid0(VALU_DEP_2) | instskip(NEXT) | instid1(VALU_DEP_2)
	v_dual_mov_b32 v143, v137 :: v_dual_mov_b32 v137, v138
	v_pk_fma_f32 v[140:141], v[138:139], v[120:121], v[140:141] op_sel_hi:[1,1,0] neg_lo:[0,0,1] neg_hi:[0,0,1]
	v_mul_f32_e32 v138, v139, v126
	s_delay_alu instid0(VALU_DEP_3) | instskip(NEXT) | instid1(VALU_DEP_2)
	v_pk_add_f32 v[70:71], v[70:71], v[142:143] neg_lo:[0,1] neg_hi:[0,1]
	v_pk_fma_f32 v[136:137], v[136:137], v[120:121], v[138:139] op_sel_hi:[1,1,0]
	s_delay_alu instid0(VALU_DEP_1) | instskip(SKIP_4) | instid1(VALU_DEP_1)
	v_mov_b32_e32 v141, v137
	ds_load_2addr_b64 v[136:139], v130 offset0:36 offset1:37
	v_pk_add_f32 v[20:21], v[20:21], v[140:141] neg_lo:[0,1] neg_hi:[0,1]
	s_wait_dscnt 0x0
	v_pk_mul_f32 v[140:141], v[136:137], v[128:129] op_sel:[0,1]
	v_pk_fma_f32 v[142:143], v[136:137], v[126:127], v[140:141] op_sel:[0,0,1] op_sel_hi:[1,1,0] neg_lo:[0,0,1] neg_hi:[0,0,1]
	v_pk_fma_f32 v[136:137], v[136:137], v[126:127], v[140:141] op_sel:[0,0,1] op_sel_hi:[1,0,0]
	s_delay_alu instid0(VALU_DEP_1) | instskip(SKIP_1) | instid1(VALU_DEP_1)
	v_mov_b32_e32 v143, v137
	v_pk_mul_f32 v[136:137], v[138:139], v[128:129] op_sel:[0,1]
	v_pk_fma_f32 v[140:141], v[138:139], v[126:127], v[136:137] op_sel:[0,0,1] op_sel_hi:[1,1,0] neg_lo:[0,0,1] neg_hi:[0,0,1]
	v_pk_fma_f32 v[136:137], v[138:139], v[126:127], v[136:137] op_sel:[0,0,1] op_sel_hi:[1,0,0]
	s_delay_alu instid0(VALU_DEP_1)
	v_mov_b32_e32 v141, v137
	ds_load_2addr_b64 v[136:139], v130 offset0:38 offset1:39
	v_pk_add_f32 v[66:67], v[66:67], v[142:143] neg_lo:[0,1] neg_hi:[0,1]
	v_pk_add_f32 v[62:63], v[62:63], v[140:141] neg_lo:[0,1] neg_hi:[0,1]
	s_wait_dscnt 0x0
	v_pk_mul_f32 v[140:141], v[136:137], v[128:129] op_sel:[0,1]
	s_delay_alu instid0(VALU_DEP_1) | instskip(SKIP_1) | instid1(VALU_DEP_1)
	v_pk_fma_f32 v[142:143], v[136:137], v[126:127], v[140:141] op_sel:[0,0,1] op_sel_hi:[1,1,0] neg_lo:[0,0,1] neg_hi:[0,0,1]
	v_pk_fma_f32 v[136:137], v[136:137], v[126:127], v[140:141] op_sel:[0,0,1] op_sel_hi:[1,0,0]
	v_mov_b32_e32 v143, v137
	v_pk_mul_f32 v[136:137], v[138:139], v[128:129] op_sel:[0,1]
	s_delay_alu instid0(VALU_DEP_1) | instskip(SKIP_1) | instid1(VALU_DEP_1)
	v_pk_fma_f32 v[140:141], v[138:139], v[126:127], v[136:137] op_sel:[0,0,1] op_sel_hi:[1,1,0] neg_lo:[0,0,1] neg_hi:[0,0,1]
	v_pk_fma_f32 v[136:137], v[138:139], v[126:127], v[136:137] op_sel:[0,0,1] op_sel_hi:[1,0,0]
	v_mov_b32_e32 v141, v137
	ds_load_2addr_b64 v[136:139], v130 offset0:40 offset1:41
	v_pk_add_f32 v[64:65], v[64:65], v[142:143] neg_lo:[0,1] neg_hi:[0,1]
	v_pk_add_f32 v[18:19], v[18:19], v[140:141] neg_lo:[0,1] neg_hi:[0,1]
	s_wait_dscnt 0x0
	v_dual_mul_f32 v140, v137, v129 :: v_dual_mul_f32 v142, v137, v126
	s_delay_alu instid0(VALU_DEP_1) | instskip(NEXT) | instid1(VALU_DEP_2)
	v_pk_fma_f32 v[140:141], v[136:137], v[120:121], v[140:141] op_sel_hi:[1,1,0] neg_lo:[0,0,1] neg_hi:[0,0,1]
	v_pk_fma_f32 v[136:137], v[136:137], v[120:121], v[142:143] op_sel:[1,0,0] op_sel_hi:[0,1,0]
	s_delay_alu instid0(VALU_DEP_1) | instskip(SKIP_1) | instid1(VALU_DEP_2)
	v_mov_b32_e32 v141, v137
	v_pk_mul_f32 v[136:137], v[138:139], v[128:129] op_sel:[0,1]
	v_pk_add_f32 v[60:61], v[60:61], v[140:141] neg_lo:[0,1] neg_hi:[0,1]
	s_delay_alu instid0(VALU_DEP_2) | instskip(SKIP_1) | instid1(VALU_DEP_1)
	v_pk_fma_f32 v[140:141], v[138:139], v[126:127], v[136:137] op_sel:[0,0,1] op_sel_hi:[1,1,0] neg_lo:[0,0,1] neg_hi:[0,0,1]
	v_pk_fma_f32 v[136:137], v[138:139], v[126:127], v[136:137] op_sel:[0,0,1] op_sel_hi:[1,0,0]
	v_mov_b32_e32 v141, v137
	ds_load_2addr_b64 v[136:139], v130 offset0:42 offset1:43
	v_pk_add_f32 v[56:57], v[56:57], v[140:141] neg_lo:[0,1] neg_hi:[0,1]
	s_wait_dscnt 0x0
	v_pk_mul_f32 v[140:141], v[136:137], v[128:129] op_sel:[0,1]
	s_delay_alu instid0(VALU_DEP_1) | instskip(SKIP_1) | instid1(VALU_DEP_1)
	v_pk_fma_f32 v[142:143], v[136:137], v[126:127], v[140:141] op_sel:[0,0,1] op_sel_hi:[1,1,0] neg_lo:[0,0,1] neg_hi:[0,0,1]
	v_pk_fma_f32 v[136:137], v[136:137], v[126:127], v[140:141] op_sel:[0,0,1] op_sel_hi:[1,0,0]
	v_mov_b32_e32 v143, v137
	v_pk_mul_f32 v[136:137], v[138:139], v[128:129] op_sel:[0,1]
	s_delay_alu instid0(VALU_DEP_2) | instskip(NEXT) | instid1(VALU_DEP_2)
	v_pk_add_f32 v[58:59], v[58:59], v[142:143] neg_lo:[0,1] neg_hi:[0,1]
	v_pk_fma_f32 v[140:141], v[138:139], v[126:127], v[136:137] op_sel:[0,0,1] op_sel_hi:[1,1,0] neg_lo:[0,0,1] neg_hi:[0,0,1]
	v_pk_fma_f32 v[136:137], v[138:139], v[126:127], v[136:137] op_sel:[0,0,1] op_sel_hi:[1,0,0]
	s_delay_alu instid0(VALU_DEP_1) | instskip(SKIP_4) | instid1(VALU_DEP_1)
	v_mov_b32_e32 v141, v137
	ds_load_2addr_b64 v[136:139], v130 offset0:44 offset1:45
	v_pk_add_f32 v[12:13], v[12:13], v[140:141] neg_lo:[0,1] neg_hi:[0,1]
	s_wait_dscnt 0x0
	v_pk_mul_f32 v[140:141], v[136:137], v[128:129] op_sel:[0,1]
	v_pk_fma_f32 v[142:143], v[136:137], v[126:127], v[140:141] op_sel:[0,0,1] op_sel_hi:[1,1,0] neg_lo:[0,0,1] neg_hi:[0,0,1]
	v_pk_fma_f32 v[136:137], v[136:137], v[126:127], v[140:141] op_sel:[0,0,1] op_sel_hi:[1,0,0]
	v_dual_mul_f32 v140, v139, v129 :: v_dual_mov_b32 v136, v139
	s_delay_alu instid0(VALU_DEP_2) | instskip(NEXT) | instid1(VALU_DEP_2)
	v_dual_mov_b32 v143, v137 :: v_dual_mov_b32 v137, v138
	v_pk_fma_f32 v[140:141], v[138:139], v[120:121], v[140:141] op_sel_hi:[1,1,0] neg_lo:[0,0,1] neg_hi:[0,0,1]
	v_mul_f32_e32 v138, v139, v126
	s_delay_alu instid0(VALU_DEP_3) | instskip(NEXT) | instid1(VALU_DEP_2)
	v_pk_add_f32 v[54:55], v[54:55], v[142:143] neg_lo:[0,1] neg_hi:[0,1]
	v_pk_fma_f32 v[136:137], v[136:137], v[120:121], v[138:139] op_sel_hi:[1,1,0]
	s_delay_alu instid0(VALU_DEP_1) | instskip(SKIP_4) | instid1(VALU_DEP_1)
	v_mov_b32_e32 v141, v137
	ds_load_2addr_b64 v[136:139], v130 offset0:46 offset1:47
	v_pk_add_f32 v[50:51], v[50:51], v[140:141] neg_lo:[0,1] neg_hi:[0,1]
	s_wait_dscnt 0x0
	v_pk_mul_f32 v[140:141], v[136:137], v[128:129] op_sel:[0,1]
	v_pk_fma_f32 v[142:143], v[136:137], v[126:127], v[140:141] op_sel:[0,0,1] op_sel_hi:[1,1,0] neg_lo:[0,0,1] neg_hi:[0,0,1]
	v_pk_fma_f32 v[136:137], v[136:137], v[126:127], v[140:141] op_sel:[0,0,1] op_sel_hi:[1,0,0]
	s_delay_alu instid0(VALU_DEP_1) | instskip(SKIP_1) | instid1(VALU_DEP_1)
	v_mov_b32_e32 v143, v137
	v_pk_mul_f32 v[136:137], v[138:139], v[128:129] op_sel:[0,1]
	v_pk_fma_f32 v[140:141], v[138:139], v[126:127], v[136:137] op_sel:[0,0,1] op_sel_hi:[1,1,0] neg_lo:[0,0,1] neg_hi:[0,0,1]
	v_pk_fma_f32 v[136:137], v[138:139], v[126:127], v[136:137] op_sel:[0,0,1] op_sel_hi:[1,0,0]
	s_delay_alu instid0(VALU_DEP_1)
	v_mov_b32_e32 v141, v137
	ds_load_2addr_b64 v[136:139], v130 offset0:48 offset1:49
	v_pk_add_f32 v[52:53], v[52:53], v[142:143] neg_lo:[0,1] neg_hi:[0,1]
	v_pk_add_f32 v[10:11], v[10:11], v[140:141] neg_lo:[0,1] neg_hi:[0,1]
	s_wait_dscnt 0x0
	v_pk_mul_f32 v[140:141], v[136:137], v[128:129] op_sel:[0,1]
	s_delay_alu instid0(VALU_DEP_1) | instskip(SKIP_1) | instid1(VALU_DEP_1)
	v_pk_fma_f32 v[142:143], v[136:137], v[126:127], v[140:141] op_sel:[0,0,1] op_sel_hi:[1,1,0] neg_lo:[0,0,1] neg_hi:[0,0,1]
	v_pk_fma_f32 v[136:137], v[136:137], v[126:127], v[140:141] op_sel:[0,0,1] op_sel_hi:[1,0,0]
	v_mov_b32_e32 v143, v137
	v_pk_mul_f32 v[136:137], v[138:139], v[128:129] op_sel:[0,1]
	s_delay_alu instid0(VALU_DEP_1) | instskip(SKIP_1) | instid1(VALU_DEP_1)
	v_pk_fma_f32 v[140:141], v[138:139], v[126:127], v[136:137] op_sel:[0,0,1] op_sel_hi:[1,1,0] neg_lo:[0,0,1] neg_hi:[0,0,1]
	v_pk_fma_f32 v[136:137], v[138:139], v[126:127], v[136:137] op_sel:[0,0,1] op_sel_hi:[1,0,0]
	v_mov_b32_e32 v141, v137
	ds_load_2addr_b64 v[136:139], v130 offset0:50 offset1:51
	v_pk_add_f32 v[46:47], v[46:47], v[142:143] neg_lo:[0,1] neg_hi:[0,1]
	v_pk_add_f32 v[44:45], v[44:45], v[140:141] neg_lo:[0,1] neg_hi:[0,1]
	s_wait_dscnt 0x0
	v_dual_mul_f32 v140, v137, v129 :: v_dual_mul_f32 v142, v137, v126
	s_delay_alu instid0(VALU_DEP_1) | instskip(NEXT) | instid1(VALU_DEP_2)
	v_pk_fma_f32 v[140:141], v[136:137], v[120:121], v[140:141] op_sel_hi:[1,1,0] neg_lo:[0,0,1] neg_hi:[0,0,1]
	v_pk_fma_f32 v[136:137], v[136:137], v[120:121], v[142:143] op_sel:[1,0,0] op_sel_hi:[0,1,0]
	s_delay_alu instid0(VALU_DEP_1) | instskip(SKIP_1) | instid1(VALU_DEP_2)
	v_mov_b32_e32 v141, v137
	v_pk_mul_f32 v[136:137], v[138:139], v[128:129] op_sel:[0,1]
	v_pk_add_f32 v[48:49], v[48:49], v[140:141] neg_lo:[0,1] neg_hi:[0,1]
	s_delay_alu instid0(VALU_DEP_2) | instskip(SKIP_1) | instid1(VALU_DEP_1)
	v_pk_fma_f32 v[140:141], v[138:139], v[126:127], v[136:137] op_sel:[0,0,1] op_sel_hi:[1,1,0] neg_lo:[0,0,1] neg_hi:[0,0,1]
	v_pk_fma_f32 v[136:137], v[138:139], v[126:127], v[136:137] op_sel:[0,0,1] op_sel_hi:[1,0,0]
	v_mov_b32_e32 v141, v137
	ds_load_2addr_b64 v[136:139], v130 offset0:52 offset1:53
	v_pk_add_f32 v[8:9], v[8:9], v[140:141] neg_lo:[0,1] neg_hi:[0,1]
	s_wait_dscnt 0x0
	v_pk_mul_f32 v[140:141], v[136:137], v[128:129] op_sel:[0,1]
	s_delay_alu instid0(VALU_DEP_1) | instskip(SKIP_1) | instid1(VALU_DEP_1)
	v_pk_fma_f32 v[142:143], v[136:137], v[126:127], v[140:141] op_sel:[0,0,1] op_sel_hi:[1,1,0] neg_lo:[0,0,1] neg_hi:[0,0,1]
	v_pk_fma_f32 v[136:137], v[136:137], v[126:127], v[140:141] op_sel:[0,0,1] op_sel_hi:[1,0,0]
	v_mov_b32_e32 v143, v137
	v_pk_mul_f32 v[136:137], v[138:139], v[128:129] op_sel:[0,1]
	s_delay_alu instid0(VALU_DEP_2) | instskip(NEXT) | instid1(VALU_DEP_2)
	v_pk_add_f32 v[34:35], v[34:35], v[142:143] neg_lo:[0,1] neg_hi:[0,1]
	v_pk_fma_f32 v[140:141], v[138:139], v[126:127], v[136:137] op_sel:[0,0,1] op_sel_hi:[1,1,0] neg_lo:[0,0,1] neg_hi:[0,0,1]
	v_pk_fma_f32 v[136:137], v[138:139], v[126:127], v[136:137] op_sel:[0,0,1] op_sel_hi:[1,0,0]
	s_delay_alu instid0(VALU_DEP_1) | instskip(SKIP_4) | instid1(VALU_DEP_1)
	v_mov_b32_e32 v141, v137
	ds_load_2addr_b64 v[136:139], v130 offset0:54 offset1:55
	v_pk_add_f32 v[28:29], v[28:29], v[140:141] neg_lo:[0,1] neg_hi:[0,1]
	s_wait_dscnt 0x0
	v_pk_mul_f32 v[140:141], v[136:137], v[128:129] op_sel:[0,1]
	v_pk_fma_f32 v[142:143], v[136:137], v[126:127], v[140:141] op_sel:[0,0,1] op_sel_hi:[1,1,0] neg_lo:[0,0,1] neg_hi:[0,0,1]
	v_pk_fma_f32 v[136:137], v[136:137], v[126:127], v[140:141] op_sel:[0,0,1] op_sel_hi:[1,0,0]
	v_dual_mul_f32 v140, v139, v129 :: v_dual_mov_b32 v136, v139
	s_delay_alu instid0(VALU_DEP_2) | instskip(NEXT) | instid1(VALU_DEP_2)
	v_dual_mov_b32 v143, v137 :: v_dual_mov_b32 v137, v138
	v_pk_fma_f32 v[140:141], v[138:139], v[120:121], v[140:141] op_sel_hi:[1,1,0] neg_lo:[0,0,1] neg_hi:[0,0,1]
	v_mul_f32_e32 v138, v139, v126
	s_delay_alu instid0(VALU_DEP_3) | instskip(NEXT) | instid1(VALU_DEP_2)
	v_pk_add_f32 v[32:33], v[32:33], v[142:143] neg_lo:[0,1] neg_hi:[0,1]
	v_pk_fma_f32 v[136:137], v[136:137], v[120:121], v[138:139] op_sel_hi:[1,1,0]
	s_delay_alu instid0(VALU_DEP_1) | instskip(SKIP_4) | instid1(VALU_DEP_1)
	v_mov_b32_e32 v141, v137
	ds_load_2addr_b64 v[136:139], v130 offset0:56 offset1:57
	v_pk_add_f32 v[6:7], v[6:7], v[140:141] neg_lo:[0,1] neg_hi:[0,1]
	s_wait_dscnt 0x0
	v_pk_mul_f32 v[140:141], v[136:137], v[128:129] op_sel:[0,1]
	v_pk_fma_f32 v[142:143], v[136:137], v[126:127], v[140:141] op_sel:[0,0,1] op_sel_hi:[1,1,0] neg_lo:[0,0,1] neg_hi:[0,0,1]
	v_pk_fma_f32 v[136:137], v[136:137], v[126:127], v[140:141] op_sel:[0,0,1] op_sel_hi:[1,0,0]
	s_delay_alu instid0(VALU_DEP_1) | instskip(SKIP_1) | instid1(VALU_DEP_1)
	v_mov_b32_e32 v143, v137
	v_pk_mul_f32 v[136:137], v[138:139], v[128:129] op_sel:[0,1]
	v_pk_fma_f32 v[140:141], v[138:139], v[126:127], v[136:137] op_sel:[0,0,1] op_sel_hi:[1,1,0] neg_lo:[0,0,1] neg_hi:[0,0,1]
	v_pk_fma_f32 v[136:137], v[138:139], v[126:127], v[136:137] op_sel:[0,0,1] op_sel_hi:[1,0,0]
	s_delay_alu instid0(VALU_DEP_1)
	v_mov_b32_e32 v141, v137
	ds_load_2addr_b64 v[136:139], v130 offset0:58 offset1:59
	v_pk_add_f32 v[26:27], v[26:27], v[142:143] neg_lo:[0,1] neg_hi:[0,1]
	v_pk_add_f32 v[16:17], v[16:17], v[140:141] neg_lo:[0,1] neg_hi:[0,1]
	s_wait_dscnt 0x0
	v_pk_mul_f32 v[140:141], v[136:137], v[128:129] op_sel:[0,1]
	v_pk_mul_f32 v[128:129], v[138:139], v[128:129] op_sel:[0,1]
	s_delay_alu instid0(VALU_DEP_2) | instskip(SKIP_1) | instid1(VALU_DEP_1)
	v_pk_fma_f32 v[142:143], v[136:137], v[126:127], v[140:141] op_sel:[0,0,1] op_sel_hi:[1,1,0] neg_lo:[0,0,1] neg_hi:[0,0,1]
	v_pk_fma_f32 v[136:137], v[136:137], v[126:127], v[140:141] op_sel:[0,0,1] op_sel_hi:[1,0,0]
	v_mov_b32_e32 v143, v137
	s_delay_alu instid0(VALU_DEP_4) | instskip(SKIP_1) | instid1(VALU_DEP_1)
	v_pk_fma_f32 v[136:137], v[138:139], v[126:127], v[128:129] op_sel:[0,0,1] op_sel_hi:[1,1,0] neg_lo:[0,0,1] neg_hi:[0,0,1]
	v_pk_fma_f32 v[126:127], v[138:139], v[126:127], v[128:129] op_sel:[0,0,1] op_sel_hi:[1,0,0]
	v_mov_b32_e32 v137, v127
	s_delay_alu instid0(VALU_DEP_4) | instskip(NEXT) | instid1(VALU_DEP_2)
	v_pk_add_f32 v[14:15], v[14:15], v[142:143] neg_lo:[0,1] neg_hi:[0,1]
	v_pk_add_f32 v[124:125], v[124:125], v[136:137] neg_lo:[0,1] neg_hi:[0,1]
.LBB118_41:
	s_or_b32 exec_lo, exec_lo, s0
	v_lshl_add_u32 v126, v134, 3, v130
	s_barrier_signal -1
	s_barrier_wait -1
	ds_store_b64 v126, v[118:119]
	s_wait_dscnt 0x0
	s_barrier_signal -1
	s_barrier_wait -1
	ds_load_b64 v[128:129], v130 offset:16
	v_mov_b32_e32 v126, 2
	s_cmp_lt_i32 s18, 4
	s_mov_b32 s0, 3
	s_cbranch_scc1 .LBB118_44
; %bb.42:
	v_add3_u32 v127, v131, 0, 24
	v_mov_b32_e32 v126, 2
.LBB118_43:                             ; =>This Inner Loop Header: Depth=1
	ds_load_b64 v[136:137], v127
	s_wait_dscnt 0x1
	v_cmp_gt_f32_e32 vcc_lo, 0, v128
	v_cndmask_b32_e64 v138, v128, -v128, vcc_lo
	v_cmp_gt_f32_e32 vcc_lo, 0, v129
	v_cndmask_b32_e64 v140, v129, -v129, vcc_lo
	s_wait_dscnt 0x0
	v_cmp_gt_f32_e32 vcc_lo, 0, v136
	v_cndmask_b32_e64 v139, v136, -v136, vcc_lo
	v_cmp_gt_f32_e32 vcc_lo, 0, v137
	v_cndmask_b32_e64 v141, v137, -v137, vcc_lo
	s_delay_alu instid0(VALU_DEP_1) | instskip(NEXT) | instid1(VALU_DEP_1)
	v_pk_add_f32 v[138:139], v[138:139], v[140:141]
	v_cmp_lt_f32_e32 vcc_lo, v138, v139
	v_dual_add_nc_u32 v127, 8, v127 :: v_dual_cndmask_b32 v129, v129, v137, vcc_lo
	v_cndmask_b32_e32 v128, v128, v136, vcc_lo
	v_cndmask_b32_e64 v126, v126, s0, vcc_lo
	s_add_co_i32 s0, s0, 1
	s_delay_alu instid0(SALU_CYCLE_1)
	s_cmp_lg_u32 s18, s0
	s_cbranch_scc1 .LBB118_43
.LBB118_44:
	s_wait_dscnt 0x0
	v_cmp_eq_f32_e32 vcc_lo, 0, v128
	v_cmp_eq_f32_e64 s0, 0, v129
	s_and_b32 s0, vcc_lo, s0
	s_delay_alu instid0(SALU_CYCLE_1) | instskip(NEXT) | instid1(SALU_CYCLE_1)
	s_and_saveexec_b32 s1, s0
	s_xor_b32 s0, exec_lo, s1
; %bb.45:
	v_cmp_ne_u32_e32 vcc_lo, 0, v132
	v_cndmask_b32_e32 v132, 3, v132, vcc_lo
; %bb.46:
	s_and_not1_saveexec_b32 s0, s0
	s_cbranch_execz .LBB118_52
; %bb.47:
	v_cmp_ngt_f32_e64 s1, |v128|, |v129|
	s_and_saveexec_b32 s12, s1
	s_delay_alu instid0(SALU_CYCLE_1)
	s_xor_b32 s1, exec_lo, s12
	s_cbranch_execz .LBB118_49
; %bb.48:
	v_div_scale_f32 v127, null, v129, v129, v128
	v_div_scale_f32 v137, vcc_lo, v128, v129, v128
	s_delay_alu instid0(VALU_DEP_2) | instskip(SKIP_1) | instid1(TRANS32_DEP_1)
	v_rcp_f32_e32 v135, v127
	v_nop
	v_fma_f32 v136, -v127, v135, 1.0
	s_delay_alu instid0(VALU_DEP_1) | instskip(NEXT) | instid1(VALU_DEP_1)
	v_fmac_f32_e32 v135, v136, v135
	v_mul_f32_e32 v136, v137, v135
	s_delay_alu instid0(VALU_DEP_1) | instskip(NEXT) | instid1(VALU_DEP_1)
	v_fma_f32 v138, -v127, v136, v137
	v_fmac_f32_e32 v136, v138, v135
	s_delay_alu instid0(VALU_DEP_1) | instskip(NEXT) | instid1(VALU_DEP_1)
	v_fma_f32 v127, -v127, v136, v137
	v_div_fmas_f32 v127, v127, v135, v136
	s_delay_alu instid0(VALU_DEP_1) | instskip(NEXT) | instid1(VALU_DEP_1)
	v_div_fixup_f32 v127, v127, v129, v128
	v_fmac_f32_e32 v129, v128, v127
	s_delay_alu instid0(VALU_DEP_1) | instskip(SKIP_1) | instid1(VALU_DEP_2)
	v_div_scale_f32 v128, null, v129, v129, 1.0
	v_div_scale_f32 v137, vcc_lo, 1.0, v129, 1.0
	v_rcp_f32_e32 v135, v128
	v_nop
	s_delay_alu instid0(TRANS32_DEP_1) | instskip(NEXT) | instid1(VALU_DEP_1)
	v_fma_f32 v136, -v128, v135, 1.0
	v_fmac_f32_e32 v135, v136, v135
	s_delay_alu instid0(VALU_DEP_1) | instskip(NEXT) | instid1(VALU_DEP_1)
	v_mul_f32_e32 v136, v137, v135
	v_fma_f32 v138, -v128, v136, v137
	s_delay_alu instid0(VALU_DEP_1) | instskip(NEXT) | instid1(VALU_DEP_1)
	v_fmac_f32_e32 v136, v138, v135
	v_fma_f32 v128, -v128, v136, v137
	s_delay_alu instid0(VALU_DEP_1) | instskip(NEXT) | instid1(VALU_DEP_1)
	v_div_fmas_f32 v128, v128, v135, v136
	v_div_fixup_f32 v129, v128, v129, 1.0
	s_delay_alu instid0(VALU_DEP_1)
	v_mul_f32_e32 v128, v127, v129
	v_xor_b32_e32 v129, 0x80000000, v129
.LBB118_49:
	s_and_not1_saveexec_b32 s1, s1
	s_cbranch_execz .LBB118_51
; %bb.50:
	s_delay_alu instid0(VALU_DEP_1) | instskip(SKIP_1) | instid1(VALU_DEP_2)
	v_div_scale_f32 v127, null, v128, v128, v129
	v_div_scale_f32 v137, vcc_lo, v129, v128, v129
	v_rcp_f32_e32 v135, v127
	v_nop
	s_delay_alu instid0(TRANS32_DEP_1) | instskip(NEXT) | instid1(VALU_DEP_1)
	v_fma_f32 v136, -v127, v135, 1.0
	v_fmac_f32_e32 v135, v136, v135
	s_delay_alu instid0(VALU_DEP_1) | instskip(NEXT) | instid1(VALU_DEP_1)
	v_mul_f32_e32 v136, v137, v135
	v_fma_f32 v138, -v127, v136, v137
	s_delay_alu instid0(VALU_DEP_1) | instskip(NEXT) | instid1(VALU_DEP_1)
	v_fmac_f32_e32 v136, v138, v135
	v_fma_f32 v127, -v127, v136, v137
	s_delay_alu instid0(VALU_DEP_1) | instskip(NEXT) | instid1(VALU_DEP_1)
	v_div_fmas_f32 v127, v127, v135, v136
	v_div_fixup_f32 v127, v127, v128, v129
	s_delay_alu instid0(VALU_DEP_1) | instskip(NEXT) | instid1(VALU_DEP_1)
	v_fmac_f32_e32 v128, v129, v127
	v_div_scale_f32 v129, null, v128, v128, 1.0
	s_delay_alu instid0(VALU_DEP_1) | instskip(SKIP_1) | instid1(TRANS32_DEP_1)
	v_rcp_f32_e32 v135, v129
	v_nop
	v_fma_f32 v136, -v129, v135, 1.0
	s_delay_alu instid0(VALU_DEP_1) | instskip(SKIP_1) | instid1(VALU_DEP_1)
	v_fmac_f32_e32 v135, v136, v135
	v_div_scale_f32 v136, vcc_lo, 1.0, v128, 1.0
	v_mul_f32_e32 v137, v136, v135
	s_delay_alu instid0(VALU_DEP_1) | instskip(NEXT) | instid1(VALU_DEP_1)
	v_fma_f32 v138, -v129, v137, v136
	v_fmac_f32_e32 v137, v138, v135
	s_delay_alu instid0(VALU_DEP_1) | instskip(NEXT) | instid1(VALU_DEP_1)
	v_fma_f32 v129, -v129, v137, v136
	v_div_fmas_f32 v129, v129, v135, v137
	s_delay_alu instid0(VALU_DEP_1) | instskip(NEXT) | instid1(VALU_DEP_1)
	v_div_fixup_f32 v128, v129, v128, 1.0
	v_mul_f32_e64 v129, v127, -v128
.LBB118_51:
	s_or_b32 exec_lo, exec_lo, s1
.LBB118_52:
	s_delay_alu instid0(SALU_CYCLE_1) | instskip(NEXT) | instid1(SALU_CYCLE_1)
	s_or_b32 exec_lo, exec_lo, s0
	s_mov_b32 s0, exec_lo
	v_cmpx_ne_u32_e64 v134, v126
	s_xor_b32 s0, exec_lo, s0
	s_cbranch_execz .LBB118_58
; %bb.53:
	s_mov_b32 s1, exec_lo
	v_cmpx_eq_u32_e32 2, v134
	s_cbranch_execz .LBB118_57
; %bb.54:
	v_cmp_ne_u32_e32 vcc_lo, 2, v126
	s_xor_b32 s12, s16, -1
	s_delay_alu instid0(SALU_CYCLE_1) | instskip(NEXT) | instid1(SALU_CYCLE_1)
	s_and_b32 s13, s12, vcc_lo
	s_and_saveexec_b32 s12, s13
	s_cbranch_execz .LBB118_56
; %bb.55:
	v_ashrrev_i32_e32 v127, 31, v126
	s_delay_alu instid0(VALU_DEP_1)
	v_lshl_add_u64 v[134:135], v[126:127], 2, v[4:5]
	s_clause 0x1
	global_load_b32 v127, v[134:135], off
	global_load_b32 v133, v[4:5], off offset:8
	s_wait_loadcnt 0x1
	global_store_b32 v[4:5], v127, off offset:8
	s_wait_loadcnt 0x0
	global_store_b32 v[134:135], v133, off
.LBB118_56:
	s_wait_xcnt 0x0
	s_or_b32 exec_lo, exec_lo, s12
	v_dual_mov_b32 v134, v126 :: v_dual_mov_b32 v133, v126
.LBB118_57:
	s_or_b32 exec_lo, exec_lo, s1
.LBB118_58:
	s_and_not1_saveexec_b32 s0, s0
	s_cbranch_execz .LBB118_60
; %bb.59:
	v_mov_b32_e32 v134, 2
	ds_store_2addr_b64 v130, v[116:117], v[114:115] offset0:3 offset1:4
	ds_store_2addr_b64 v130, v[110:111], v[112:113] offset0:5 offset1:6
	;; [unrolled: 1-line block ×28, first 2 shown]
	ds_store_b64 v130, v[124:125] offset:472
.LBB118_60:
	s_or_b32 exec_lo, exec_lo, s0
	s_delay_alu instid0(SALU_CYCLE_1)
	s_mov_b32 s0, exec_lo
	s_wait_storecnt_dscnt 0x0
	s_barrier_signal -1
	s_barrier_wait -1
	v_cmpx_lt_i32_e32 2, v134
	s_cbranch_execz .LBB118_62
; %bb.61:
	v_pk_mul_f32 v[136:137], v[128:129], v[118:119] op_sel:[1,1] op_sel_hi:[0,1]
	s_delay_alu instid0(VALU_DEP_1)
	v_pk_fma_f32 v[126:127], v[128:129], v[118:119], v[136:137] op_sel_hi:[1,0,1] neg_lo:[0,0,1] neg_hi:[0,0,1]
	v_pk_fma_f32 v[128:129], v[128:129], v[118:119], v[136:137] op_sel_hi:[1,0,1]
	ds_load_2addr_b64 v[136:139], v130 offset0:3 offset1:4
	v_dual_mov_b32 v118, v126 :: v_dual_mov_b32 v119, v129
	s_wait_dscnt 0x0
	v_pk_mul_f32 v[140:141], v[136:137], v[128:129] op_sel:[0,1]
	s_delay_alu instid0(VALU_DEP_1) | instskip(SKIP_1) | instid1(VALU_DEP_1)
	v_pk_fma_f32 v[142:143], v[136:137], v[126:127], v[140:141] op_sel:[0,0,1] op_sel_hi:[1,1,0] neg_lo:[0,0,1] neg_hi:[0,0,1]
	v_pk_fma_f32 v[136:137], v[136:137], v[126:127], v[140:141] op_sel:[0,0,1] op_sel_hi:[1,0,0]
	v_mov_b32_e32 v143, v137
	v_pk_mul_f32 v[136:137], v[138:139], v[128:129] op_sel:[0,1]
	s_delay_alu instid0(VALU_DEP_1) | instskip(SKIP_1) | instid1(VALU_DEP_1)
	v_pk_fma_f32 v[140:141], v[138:139], v[126:127], v[136:137] op_sel:[0,0,1] op_sel_hi:[1,1,0] neg_lo:[0,0,1] neg_hi:[0,0,1]
	v_pk_fma_f32 v[136:137], v[138:139], v[126:127], v[136:137] op_sel:[0,0,1] op_sel_hi:[1,0,0]
	v_mov_b32_e32 v141, v137
	ds_load_2addr_b64 v[136:139], v130 offset0:5 offset1:6
	v_pk_add_f32 v[116:117], v[116:117], v[142:143] neg_lo:[0,1] neg_hi:[0,1]
	v_pk_add_f32 v[114:115], v[114:115], v[140:141] neg_lo:[0,1] neg_hi:[0,1]
	s_wait_dscnt 0x0
	v_pk_mul_f32 v[140:141], v[136:137], v[128:129] op_sel:[0,1]
	s_delay_alu instid0(VALU_DEP_1) | instskip(SKIP_2) | instid1(VALU_DEP_2)
	v_pk_fma_f32 v[142:143], v[136:137], v[126:127], v[140:141] op_sel:[0,0,1] op_sel_hi:[1,1,0] neg_lo:[0,0,1] neg_hi:[0,0,1]
	v_pk_fma_f32 v[136:137], v[136:137], v[126:127], v[140:141] op_sel:[0,0,1] op_sel_hi:[1,0,0]
	v_dual_mul_f32 v140, v139, v129 :: v_dual_mov_b32 v136, v139
	v_dual_mov_b32 v143, v137 :: v_dual_mov_b32 v137, v138
	s_delay_alu instid0(VALU_DEP_2) | instskip(SKIP_1) | instid1(VALU_DEP_3)
	v_pk_fma_f32 v[140:141], v[138:139], v[118:119], v[140:141] op_sel_hi:[1,1,0] neg_lo:[0,0,1] neg_hi:[0,0,1]
	v_mul_f32_e32 v138, v139, v126
	v_pk_add_f32 v[110:111], v[110:111], v[142:143] neg_lo:[0,1] neg_hi:[0,1]
	s_delay_alu instid0(VALU_DEP_2) | instskip(NEXT) | instid1(VALU_DEP_1)
	v_pk_fma_f32 v[136:137], v[136:137], v[118:119], v[138:139] op_sel_hi:[1,1,0]
	v_mov_b32_e32 v141, v137
	ds_load_2addr_b64 v[136:139], v130 offset0:7 offset1:8
	v_pk_add_f32 v[112:113], v[112:113], v[140:141] neg_lo:[0,1] neg_hi:[0,1]
	s_wait_dscnt 0x0
	v_pk_mul_f32 v[140:141], v[136:137], v[128:129] op_sel:[0,1]
	s_delay_alu instid0(VALU_DEP_1) | instskip(SKIP_1) | instid1(VALU_DEP_1)
	v_pk_fma_f32 v[142:143], v[136:137], v[126:127], v[140:141] op_sel:[0,0,1] op_sel_hi:[1,1,0] neg_lo:[0,0,1] neg_hi:[0,0,1]
	v_pk_fma_f32 v[136:137], v[136:137], v[126:127], v[140:141] op_sel:[0,0,1] op_sel_hi:[1,0,0]
	v_mov_b32_e32 v143, v137
	v_pk_mul_f32 v[136:137], v[138:139], v[128:129] op_sel:[0,1]
	s_delay_alu instid0(VALU_DEP_1) | instskip(SKIP_1) | instid1(VALU_DEP_1)
	v_pk_fma_f32 v[140:141], v[138:139], v[126:127], v[136:137] op_sel:[0,0,1] op_sel_hi:[1,1,0] neg_lo:[0,0,1] neg_hi:[0,0,1]
	v_pk_fma_f32 v[136:137], v[138:139], v[126:127], v[136:137] op_sel:[0,0,1] op_sel_hi:[1,0,0]
	v_mov_b32_e32 v141, v137
	ds_load_2addr_b64 v[136:139], v130 offset0:9 offset1:10
	v_pk_add_f32 v[42:43], v[42:43], v[142:143] neg_lo:[0,1] neg_hi:[0,1]
	v_pk_add_f32 v[108:109], v[108:109], v[140:141] neg_lo:[0,1] neg_hi:[0,1]
	s_wait_dscnt 0x0
	v_pk_mul_f32 v[140:141], v[136:137], v[128:129] op_sel:[0,1]
	s_delay_alu instid0(VALU_DEP_1) | instskip(SKIP_1) | instid1(VALU_DEP_1)
	v_pk_fma_f32 v[142:143], v[136:137], v[126:127], v[140:141] op_sel:[0,0,1] op_sel_hi:[1,1,0] neg_lo:[0,0,1] neg_hi:[0,0,1]
	v_pk_fma_f32 v[136:137], v[136:137], v[126:127], v[140:141] op_sel:[0,0,1] op_sel_hi:[1,0,0]
	v_mov_b32_e32 v143, v137
	v_pk_mul_f32 v[136:137], v[138:139], v[128:129] op_sel:[0,1]
	s_delay_alu instid0(VALU_DEP_1) | instskip(SKIP_1) | instid1(VALU_DEP_1)
	v_pk_fma_f32 v[140:141], v[138:139], v[126:127], v[136:137] op_sel:[0,0,1] op_sel_hi:[1,1,0] neg_lo:[0,0,1] neg_hi:[0,0,1]
	v_pk_fma_f32 v[136:137], v[138:139], v[126:127], v[136:137] op_sel:[0,0,1] op_sel_hi:[1,0,0]
	v_mov_b32_e32 v141, v137
	ds_load_2addr_b64 v[136:139], v130 offset0:11 offset1:12
	v_pk_add_f32 v[104:105], v[104:105], v[142:143] neg_lo:[0,1] neg_hi:[0,1]
	v_pk_add_f32 v[106:107], v[106:107], v[140:141] neg_lo:[0,1] neg_hi:[0,1]
	s_wait_dscnt 0x0
	v_dual_mul_f32 v140, v137, v129 :: v_dual_mul_f32 v142, v137, v126
	s_delay_alu instid0(VALU_DEP_1) | instskip(NEXT) | instid1(VALU_DEP_2)
	v_pk_fma_f32 v[140:141], v[136:137], v[118:119], v[140:141] op_sel_hi:[1,1,0] neg_lo:[0,0,1] neg_hi:[0,0,1]
	v_pk_fma_f32 v[136:137], v[136:137], v[118:119], v[142:143] op_sel:[1,0,0] op_sel_hi:[0,1,0]
	s_delay_alu instid0(VALU_DEP_1) | instskip(SKIP_1) | instid1(VALU_DEP_2)
	v_mov_b32_e32 v141, v137
	v_pk_mul_f32 v[136:137], v[138:139], v[128:129] op_sel:[0,1]
	v_pk_add_f32 v[40:41], v[40:41], v[140:141] neg_lo:[0,1] neg_hi:[0,1]
	s_delay_alu instid0(VALU_DEP_2) | instskip(SKIP_1) | instid1(VALU_DEP_1)
	v_pk_fma_f32 v[140:141], v[138:139], v[126:127], v[136:137] op_sel:[0,0,1] op_sel_hi:[1,1,0] neg_lo:[0,0,1] neg_hi:[0,0,1]
	v_pk_fma_f32 v[136:137], v[138:139], v[126:127], v[136:137] op_sel:[0,0,1] op_sel_hi:[1,0,0]
	v_mov_b32_e32 v141, v137
	ds_load_2addr_b64 v[136:139], v130 offset0:13 offset1:14
	v_pk_add_f32 v[102:103], v[102:103], v[140:141] neg_lo:[0,1] neg_hi:[0,1]
	s_wait_dscnt 0x0
	v_pk_mul_f32 v[140:141], v[136:137], v[128:129] op_sel:[0,1]
	s_delay_alu instid0(VALU_DEP_1) | instskip(SKIP_1) | instid1(VALU_DEP_1)
	v_pk_fma_f32 v[142:143], v[136:137], v[126:127], v[140:141] op_sel:[0,0,1] op_sel_hi:[1,1,0] neg_lo:[0,0,1] neg_hi:[0,0,1]
	v_pk_fma_f32 v[136:137], v[136:137], v[126:127], v[140:141] op_sel:[0,0,1] op_sel_hi:[1,0,0]
	v_mov_b32_e32 v143, v137
	v_pk_mul_f32 v[136:137], v[138:139], v[128:129] op_sel:[0,1]
	s_delay_alu instid0(VALU_DEP_2) | instskip(NEXT) | instid1(VALU_DEP_2)
	v_pk_add_f32 v[98:99], v[98:99], v[142:143] neg_lo:[0,1] neg_hi:[0,1]
	v_pk_fma_f32 v[140:141], v[138:139], v[126:127], v[136:137] op_sel:[0,0,1] op_sel_hi:[1,1,0] neg_lo:[0,0,1] neg_hi:[0,0,1]
	v_pk_fma_f32 v[136:137], v[138:139], v[126:127], v[136:137] op_sel:[0,0,1] op_sel_hi:[1,0,0]
	s_delay_alu instid0(VALU_DEP_1) | instskip(SKIP_4) | instid1(VALU_DEP_1)
	v_mov_b32_e32 v141, v137
	ds_load_2addr_b64 v[136:139], v130 offset0:15 offset1:16
	v_pk_add_f32 v[100:101], v[100:101], v[140:141] neg_lo:[0,1] neg_hi:[0,1]
	s_wait_dscnt 0x0
	v_pk_mul_f32 v[140:141], v[136:137], v[128:129] op_sel:[0,1]
	v_pk_fma_f32 v[142:143], v[136:137], v[126:127], v[140:141] op_sel:[0,0,1] op_sel_hi:[1,1,0] neg_lo:[0,0,1] neg_hi:[0,0,1]
	v_pk_fma_f32 v[136:137], v[136:137], v[126:127], v[140:141] op_sel:[0,0,1] op_sel_hi:[1,0,0]
	v_dual_mul_f32 v140, v139, v129 :: v_dual_mov_b32 v136, v139
	s_delay_alu instid0(VALU_DEP_2) | instskip(NEXT) | instid1(VALU_DEP_2)
	v_dual_mov_b32 v143, v137 :: v_dual_mov_b32 v137, v138
	v_pk_fma_f32 v[140:141], v[138:139], v[118:119], v[140:141] op_sel_hi:[1,1,0] neg_lo:[0,0,1] neg_hi:[0,0,1]
	v_mul_f32_e32 v138, v139, v126
	s_delay_alu instid0(VALU_DEP_3) | instskip(NEXT) | instid1(VALU_DEP_2)
	v_pk_add_f32 v[38:39], v[38:39], v[142:143] neg_lo:[0,1] neg_hi:[0,1]
	v_pk_fma_f32 v[136:137], v[136:137], v[118:119], v[138:139] op_sel_hi:[1,1,0]
	s_delay_alu instid0(VALU_DEP_1) | instskip(SKIP_4) | instid1(VALU_DEP_1)
	v_mov_b32_e32 v141, v137
	ds_load_2addr_b64 v[136:139], v130 offset0:17 offset1:18
	v_pk_add_f32 v[96:97], v[96:97], v[140:141] neg_lo:[0,1] neg_hi:[0,1]
	s_wait_dscnt 0x0
	v_pk_mul_f32 v[140:141], v[136:137], v[128:129] op_sel:[0,1]
	v_pk_fma_f32 v[142:143], v[136:137], v[126:127], v[140:141] op_sel:[0,0,1] op_sel_hi:[1,1,0] neg_lo:[0,0,1] neg_hi:[0,0,1]
	v_pk_fma_f32 v[136:137], v[136:137], v[126:127], v[140:141] op_sel:[0,0,1] op_sel_hi:[1,0,0]
	s_delay_alu instid0(VALU_DEP_1) | instskip(SKIP_1) | instid1(VALU_DEP_1)
	v_mov_b32_e32 v143, v137
	v_pk_mul_f32 v[136:137], v[138:139], v[128:129] op_sel:[0,1]
	v_pk_fma_f32 v[140:141], v[138:139], v[126:127], v[136:137] op_sel:[0,0,1] op_sel_hi:[1,1,0] neg_lo:[0,0,1] neg_hi:[0,0,1]
	v_pk_fma_f32 v[136:137], v[138:139], v[126:127], v[136:137] op_sel:[0,0,1] op_sel_hi:[1,0,0]
	s_delay_alu instid0(VALU_DEP_1)
	v_mov_b32_e32 v141, v137
	ds_load_2addr_b64 v[136:139], v130 offset0:19 offset1:20
	v_pk_add_f32 v[92:93], v[92:93], v[142:143] neg_lo:[0,1] neg_hi:[0,1]
	v_pk_add_f32 v[94:95], v[94:95], v[140:141] neg_lo:[0,1] neg_hi:[0,1]
	s_wait_dscnt 0x0
	v_pk_mul_f32 v[140:141], v[136:137], v[128:129] op_sel:[0,1]
	s_delay_alu instid0(VALU_DEP_1) | instskip(SKIP_1) | instid1(VALU_DEP_1)
	v_pk_fma_f32 v[142:143], v[136:137], v[126:127], v[140:141] op_sel:[0,0,1] op_sel_hi:[1,1,0] neg_lo:[0,0,1] neg_hi:[0,0,1]
	v_pk_fma_f32 v[136:137], v[136:137], v[126:127], v[140:141] op_sel:[0,0,1] op_sel_hi:[1,0,0]
	v_mov_b32_e32 v143, v137
	v_pk_mul_f32 v[136:137], v[138:139], v[128:129] op_sel:[0,1]
	s_delay_alu instid0(VALU_DEP_1) | instskip(SKIP_1) | instid1(VALU_DEP_1)
	v_pk_fma_f32 v[140:141], v[138:139], v[126:127], v[136:137] op_sel:[0,0,1] op_sel_hi:[1,1,0] neg_lo:[0,0,1] neg_hi:[0,0,1]
	v_pk_fma_f32 v[136:137], v[138:139], v[126:127], v[136:137] op_sel:[0,0,1] op_sel_hi:[1,0,0]
	v_mov_b32_e32 v141, v137
	ds_load_2addr_b64 v[136:139], v130 offset0:21 offset1:22
	v_pk_add_f32 v[36:37], v[36:37], v[142:143] neg_lo:[0,1] neg_hi:[0,1]
	v_pk_add_f32 v[90:91], v[90:91], v[140:141] neg_lo:[0,1] neg_hi:[0,1]
	s_wait_dscnt 0x0
	v_dual_mul_f32 v140, v137, v129 :: v_dual_mul_f32 v142, v137, v126
	s_delay_alu instid0(VALU_DEP_1) | instskip(NEXT) | instid1(VALU_DEP_2)
	v_pk_fma_f32 v[140:141], v[136:137], v[118:119], v[140:141] op_sel_hi:[1,1,0] neg_lo:[0,0,1] neg_hi:[0,0,1]
	v_pk_fma_f32 v[136:137], v[136:137], v[118:119], v[142:143] op_sel:[1,0,0] op_sel_hi:[0,1,0]
	s_delay_alu instid0(VALU_DEP_1) | instskip(SKIP_1) | instid1(VALU_DEP_2)
	v_mov_b32_e32 v141, v137
	v_pk_mul_f32 v[136:137], v[138:139], v[128:129] op_sel:[0,1]
	v_pk_add_f32 v[86:87], v[86:87], v[140:141] neg_lo:[0,1] neg_hi:[0,1]
	s_delay_alu instid0(VALU_DEP_2) | instskip(SKIP_1) | instid1(VALU_DEP_1)
	v_pk_fma_f32 v[140:141], v[138:139], v[126:127], v[136:137] op_sel:[0,0,1] op_sel_hi:[1,1,0] neg_lo:[0,0,1] neg_hi:[0,0,1]
	v_pk_fma_f32 v[136:137], v[138:139], v[126:127], v[136:137] op_sel:[0,0,1] op_sel_hi:[1,0,0]
	v_mov_b32_e32 v141, v137
	ds_load_2addr_b64 v[136:139], v130 offset0:23 offset1:24
	v_pk_add_f32 v[88:89], v[88:89], v[140:141] neg_lo:[0,1] neg_hi:[0,1]
	s_wait_dscnt 0x0
	v_pk_mul_f32 v[140:141], v[136:137], v[128:129] op_sel:[0,1]
	s_delay_alu instid0(VALU_DEP_1) | instskip(SKIP_1) | instid1(VALU_DEP_1)
	v_pk_fma_f32 v[142:143], v[136:137], v[126:127], v[140:141] op_sel:[0,0,1] op_sel_hi:[1,1,0] neg_lo:[0,0,1] neg_hi:[0,0,1]
	v_pk_fma_f32 v[136:137], v[136:137], v[126:127], v[140:141] op_sel:[0,0,1] op_sel_hi:[1,0,0]
	v_mov_b32_e32 v143, v137
	v_pk_mul_f32 v[136:137], v[138:139], v[128:129] op_sel:[0,1]
	s_delay_alu instid0(VALU_DEP_2) | instskip(NEXT) | instid1(VALU_DEP_2)
	v_pk_add_f32 v[30:31], v[30:31], v[142:143] neg_lo:[0,1] neg_hi:[0,1]
	v_pk_fma_f32 v[140:141], v[138:139], v[126:127], v[136:137] op_sel:[0,0,1] op_sel_hi:[1,1,0] neg_lo:[0,0,1] neg_hi:[0,0,1]
	v_pk_fma_f32 v[136:137], v[138:139], v[126:127], v[136:137] op_sel:[0,0,1] op_sel_hi:[1,0,0]
	s_delay_alu instid0(VALU_DEP_1) | instskip(SKIP_4) | instid1(VALU_DEP_1)
	v_mov_b32_e32 v141, v137
	ds_load_2addr_b64 v[136:139], v130 offset0:25 offset1:26
	v_pk_add_f32 v[84:85], v[84:85], v[140:141] neg_lo:[0,1] neg_hi:[0,1]
	s_wait_dscnt 0x0
	v_pk_mul_f32 v[140:141], v[136:137], v[128:129] op_sel:[0,1]
	v_pk_fma_f32 v[142:143], v[136:137], v[126:127], v[140:141] op_sel:[0,0,1] op_sel_hi:[1,1,0] neg_lo:[0,0,1] neg_hi:[0,0,1]
	v_pk_fma_f32 v[136:137], v[136:137], v[126:127], v[140:141] op_sel:[0,0,1] op_sel_hi:[1,0,0]
	v_dual_mul_f32 v140, v139, v129 :: v_dual_mov_b32 v136, v139
	s_delay_alu instid0(VALU_DEP_2) | instskip(NEXT) | instid1(VALU_DEP_2)
	v_dual_mov_b32 v143, v137 :: v_dual_mov_b32 v137, v138
	v_pk_fma_f32 v[140:141], v[138:139], v[118:119], v[140:141] op_sel_hi:[1,1,0] neg_lo:[0,0,1] neg_hi:[0,0,1]
	v_mul_f32_e32 v138, v139, v126
	s_delay_alu instid0(VALU_DEP_3) | instskip(NEXT) | instid1(VALU_DEP_2)
	v_pk_add_f32 v[80:81], v[80:81], v[142:143] neg_lo:[0,1] neg_hi:[0,1]
	v_pk_fma_f32 v[136:137], v[136:137], v[118:119], v[138:139] op_sel_hi:[1,1,0]
	s_delay_alu instid0(VALU_DEP_1) | instskip(SKIP_4) | instid1(VALU_DEP_1)
	v_mov_b32_e32 v141, v137
	ds_load_2addr_b64 v[136:139], v130 offset0:27 offset1:28
	v_pk_add_f32 v[82:83], v[82:83], v[140:141] neg_lo:[0,1] neg_hi:[0,1]
	s_wait_dscnt 0x0
	v_pk_mul_f32 v[140:141], v[136:137], v[128:129] op_sel:[0,1]
	v_pk_fma_f32 v[142:143], v[136:137], v[126:127], v[140:141] op_sel:[0,0,1] op_sel_hi:[1,1,0] neg_lo:[0,0,1] neg_hi:[0,0,1]
	v_pk_fma_f32 v[136:137], v[136:137], v[126:127], v[140:141] op_sel:[0,0,1] op_sel_hi:[1,0,0]
	s_delay_alu instid0(VALU_DEP_1) | instskip(SKIP_1) | instid1(VALU_DEP_1)
	v_mov_b32_e32 v143, v137
	v_pk_mul_f32 v[136:137], v[138:139], v[128:129] op_sel:[0,1]
	v_pk_fma_f32 v[140:141], v[138:139], v[126:127], v[136:137] op_sel:[0,0,1] op_sel_hi:[1,1,0] neg_lo:[0,0,1] neg_hi:[0,0,1]
	v_pk_fma_f32 v[136:137], v[138:139], v[126:127], v[136:137] op_sel:[0,0,1] op_sel_hi:[1,0,0]
	s_delay_alu instid0(VALU_DEP_1)
	v_mov_b32_e32 v141, v137
	ds_load_2addr_b64 v[136:139], v130 offset0:29 offset1:30
	v_pk_add_f32 v[24:25], v[24:25], v[142:143] neg_lo:[0,1] neg_hi:[0,1]
	v_pk_add_f32 v[78:79], v[78:79], v[140:141] neg_lo:[0,1] neg_hi:[0,1]
	s_wait_dscnt 0x0
	v_pk_mul_f32 v[140:141], v[136:137], v[128:129] op_sel:[0,1]
	s_delay_alu instid0(VALU_DEP_1) | instskip(SKIP_1) | instid1(VALU_DEP_1)
	v_pk_fma_f32 v[142:143], v[136:137], v[126:127], v[140:141] op_sel:[0,0,1] op_sel_hi:[1,1,0] neg_lo:[0,0,1] neg_hi:[0,0,1]
	v_pk_fma_f32 v[136:137], v[136:137], v[126:127], v[140:141] op_sel:[0,0,1] op_sel_hi:[1,0,0]
	v_mov_b32_e32 v143, v137
	v_pk_mul_f32 v[136:137], v[138:139], v[128:129] op_sel:[0,1]
	s_delay_alu instid0(VALU_DEP_1) | instskip(SKIP_1) | instid1(VALU_DEP_1)
	v_pk_fma_f32 v[140:141], v[138:139], v[126:127], v[136:137] op_sel:[0,0,1] op_sel_hi:[1,1,0] neg_lo:[0,0,1] neg_hi:[0,0,1]
	v_pk_fma_f32 v[136:137], v[138:139], v[126:127], v[136:137] op_sel:[0,0,1] op_sel_hi:[1,0,0]
	v_mov_b32_e32 v141, v137
	ds_load_2addr_b64 v[136:139], v130 offset0:31 offset1:32
	v_pk_add_f32 v[74:75], v[74:75], v[142:143] neg_lo:[0,1] neg_hi:[0,1]
	v_pk_add_f32 v[76:77], v[76:77], v[140:141] neg_lo:[0,1] neg_hi:[0,1]
	s_wait_dscnt 0x0
	v_dual_mul_f32 v140, v137, v129 :: v_dual_mul_f32 v142, v137, v126
	s_delay_alu instid0(VALU_DEP_1) | instskip(NEXT) | instid1(VALU_DEP_2)
	v_pk_fma_f32 v[140:141], v[136:137], v[118:119], v[140:141] op_sel_hi:[1,1,0] neg_lo:[0,0,1] neg_hi:[0,0,1]
	v_pk_fma_f32 v[136:137], v[136:137], v[118:119], v[142:143] op_sel:[1,0,0] op_sel_hi:[0,1,0]
	s_delay_alu instid0(VALU_DEP_1) | instskip(SKIP_1) | instid1(VALU_DEP_2)
	v_mov_b32_e32 v141, v137
	v_pk_mul_f32 v[136:137], v[138:139], v[128:129] op_sel:[0,1]
	v_pk_add_f32 v[22:23], v[22:23], v[140:141] neg_lo:[0,1] neg_hi:[0,1]
	s_delay_alu instid0(VALU_DEP_2) | instskip(SKIP_1) | instid1(VALU_DEP_1)
	v_pk_fma_f32 v[140:141], v[138:139], v[126:127], v[136:137] op_sel:[0,0,1] op_sel_hi:[1,1,0] neg_lo:[0,0,1] neg_hi:[0,0,1]
	v_pk_fma_f32 v[136:137], v[138:139], v[126:127], v[136:137] op_sel:[0,0,1] op_sel_hi:[1,0,0]
	v_mov_b32_e32 v141, v137
	ds_load_2addr_b64 v[136:139], v130 offset0:33 offset1:34
	v_pk_add_f32 v[72:73], v[72:73], v[140:141] neg_lo:[0,1] neg_hi:[0,1]
	s_wait_dscnt 0x0
	v_pk_mul_f32 v[140:141], v[136:137], v[128:129] op_sel:[0,1]
	s_delay_alu instid0(VALU_DEP_1) | instskip(SKIP_1) | instid1(VALU_DEP_1)
	v_pk_fma_f32 v[142:143], v[136:137], v[126:127], v[140:141] op_sel:[0,0,1] op_sel_hi:[1,1,0] neg_lo:[0,0,1] neg_hi:[0,0,1]
	v_pk_fma_f32 v[136:137], v[136:137], v[126:127], v[140:141] op_sel:[0,0,1] op_sel_hi:[1,0,0]
	v_mov_b32_e32 v143, v137
	v_pk_mul_f32 v[136:137], v[138:139], v[128:129] op_sel:[0,1]
	s_delay_alu instid0(VALU_DEP_2) | instskip(NEXT) | instid1(VALU_DEP_2)
	v_pk_add_f32 v[68:69], v[68:69], v[142:143] neg_lo:[0,1] neg_hi:[0,1]
	v_pk_fma_f32 v[140:141], v[138:139], v[126:127], v[136:137] op_sel:[0,0,1] op_sel_hi:[1,1,0] neg_lo:[0,0,1] neg_hi:[0,0,1]
	v_pk_fma_f32 v[136:137], v[138:139], v[126:127], v[136:137] op_sel:[0,0,1] op_sel_hi:[1,0,0]
	s_delay_alu instid0(VALU_DEP_1) | instskip(SKIP_4) | instid1(VALU_DEP_1)
	v_mov_b32_e32 v141, v137
	ds_load_2addr_b64 v[136:139], v130 offset0:35 offset1:36
	v_pk_add_f32 v[70:71], v[70:71], v[140:141] neg_lo:[0,1] neg_hi:[0,1]
	s_wait_dscnt 0x0
	v_pk_mul_f32 v[140:141], v[136:137], v[128:129] op_sel:[0,1]
	v_pk_fma_f32 v[142:143], v[136:137], v[126:127], v[140:141] op_sel:[0,0,1] op_sel_hi:[1,1,0] neg_lo:[0,0,1] neg_hi:[0,0,1]
	v_pk_fma_f32 v[136:137], v[136:137], v[126:127], v[140:141] op_sel:[0,0,1] op_sel_hi:[1,0,0]
	v_dual_mul_f32 v140, v139, v129 :: v_dual_mov_b32 v136, v139
	s_delay_alu instid0(VALU_DEP_2) | instskip(NEXT) | instid1(VALU_DEP_2)
	v_dual_mov_b32 v143, v137 :: v_dual_mov_b32 v137, v138
	v_pk_fma_f32 v[140:141], v[138:139], v[118:119], v[140:141] op_sel_hi:[1,1,0] neg_lo:[0,0,1] neg_hi:[0,0,1]
	v_mul_f32_e32 v138, v139, v126
	s_delay_alu instid0(VALU_DEP_3) | instskip(NEXT) | instid1(VALU_DEP_2)
	v_pk_add_f32 v[20:21], v[20:21], v[142:143] neg_lo:[0,1] neg_hi:[0,1]
	v_pk_fma_f32 v[136:137], v[136:137], v[118:119], v[138:139] op_sel_hi:[1,1,0]
	s_delay_alu instid0(VALU_DEP_1) | instskip(SKIP_4) | instid1(VALU_DEP_1)
	v_mov_b32_e32 v141, v137
	ds_load_2addr_b64 v[136:139], v130 offset0:37 offset1:38
	v_pk_add_f32 v[66:67], v[66:67], v[140:141] neg_lo:[0,1] neg_hi:[0,1]
	s_wait_dscnt 0x0
	v_pk_mul_f32 v[140:141], v[136:137], v[128:129] op_sel:[0,1]
	v_pk_fma_f32 v[142:143], v[136:137], v[126:127], v[140:141] op_sel:[0,0,1] op_sel_hi:[1,1,0] neg_lo:[0,0,1] neg_hi:[0,0,1]
	v_pk_fma_f32 v[136:137], v[136:137], v[126:127], v[140:141] op_sel:[0,0,1] op_sel_hi:[1,0,0]
	s_delay_alu instid0(VALU_DEP_1) | instskip(SKIP_1) | instid1(VALU_DEP_1)
	v_mov_b32_e32 v143, v137
	v_pk_mul_f32 v[136:137], v[138:139], v[128:129] op_sel:[0,1]
	v_pk_fma_f32 v[140:141], v[138:139], v[126:127], v[136:137] op_sel:[0,0,1] op_sel_hi:[1,1,0] neg_lo:[0,0,1] neg_hi:[0,0,1]
	v_pk_fma_f32 v[136:137], v[138:139], v[126:127], v[136:137] op_sel:[0,0,1] op_sel_hi:[1,0,0]
	s_delay_alu instid0(VALU_DEP_1)
	v_mov_b32_e32 v141, v137
	ds_load_2addr_b64 v[136:139], v130 offset0:39 offset1:40
	v_pk_add_f32 v[62:63], v[62:63], v[142:143] neg_lo:[0,1] neg_hi:[0,1]
	v_pk_add_f32 v[64:65], v[64:65], v[140:141] neg_lo:[0,1] neg_hi:[0,1]
	s_wait_dscnt 0x0
	v_pk_mul_f32 v[140:141], v[136:137], v[128:129] op_sel:[0,1]
	s_delay_alu instid0(VALU_DEP_1) | instskip(SKIP_1) | instid1(VALU_DEP_1)
	v_pk_fma_f32 v[142:143], v[136:137], v[126:127], v[140:141] op_sel:[0,0,1] op_sel_hi:[1,1,0] neg_lo:[0,0,1] neg_hi:[0,0,1]
	v_pk_fma_f32 v[136:137], v[136:137], v[126:127], v[140:141] op_sel:[0,0,1] op_sel_hi:[1,0,0]
	v_mov_b32_e32 v143, v137
	v_pk_mul_f32 v[136:137], v[138:139], v[128:129] op_sel:[0,1]
	s_delay_alu instid0(VALU_DEP_1) | instskip(SKIP_1) | instid1(VALU_DEP_1)
	v_pk_fma_f32 v[140:141], v[138:139], v[126:127], v[136:137] op_sel:[0,0,1] op_sel_hi:[1,1,0] neg_lo:[0,0,1] neg_hi:[0,0,1]
	v_pk_fma_f32 v[136:137], v[138:139], v[126:127], v[136:137] op_sel:[0,0,1] op_sel_hi:[1,0,0]
	v_mov_b32_e32 v141, v137
	ds_load_2addr_b64 v[136:139], v130 offset0:41 offset1:42
	v_pk_add_f32 v[18:19], v[18:19], v[142:143] neg_lo:[0,1] neg_hi:[0,1]
	v_pk_add_f32 v[60:61], v[60:61], v[140:141] neg_lo:[0,1] neg_hi:[0,1]
	s_wait_dscnt 0x0
	v_dual_mul_f32 v140, v137, v129 :: v_dual_mul_f32 v142, v137, v126
	s_delay_alu instid0(VALU_DEP_1) | instskip(NEXT) | instid1(VALU_DEP_2)
	v_pk_fma_f32 v[140:141], v[136:137], v[118:119], v[140:141] op_sel_hi:[1,1,0] neg_lo:[0,0,1] neg_hi:[0,0,1]
	v_pk_fma_f32 v[136:137], v[136:137], v[118:119], v[142:143] op_sel:[1,0,0] op_sel_hi:[0,1,0]
	s_delay_alu instid0(VALU_DEP_1) | instskip(SKIP_1) | instid1(VALU_DEP_2)
	v_mov_b32_e32 v141, v137
	v_pk_mul_f32 v[136:137], v[138:139], v[128:129] op_sel:[0,1]
	v_pk_add_f32 v[56:57], v[56:57], v[140:141] neg_lo:[0,1] neg_hi:[0,1]
	s_delay_alu instid0(VALU_DEP_2) | instskip(SKIP_1) | instid1(VALU_DEP_1)
	v_pk_fma_f32 v[140:141], v[138:139], v[126:127], v[136:137] op_sel:[0,0,1] op_sel_hi:[1,1,0] neg_lo:[0,0,1] neg_hi:[0,0,1]
	v_pk_fma_f32 v[136:137], v[138:139], v[126:127], v[136:137] op_sel:[0,0,1] op_sel_hi:[1,0,0]
	v_mov_b32_e32 v141, v137
	ds_load_2addr_b64 v[136:139], v130 offset0:43 offset1:44
	v_pk_add_f32 v[58:59], v[58:59], v[140:141] neg_lo:[0,1] neg_hi:[0,1]
	s_wait_dscnt 0x0
	v_pk_mul_f32 v[140:141], v[136:137], v[128:129] op_sel:[0,1]
	s_delay_alu instid0(VALU_DEP_1) | instskip(SKIP_1) | instid1(VALU_DEP_1)
	v_pk_fma_f32 v[142:143], v[136:137], v[126:127], v[140:141] op_sel:[0,0,1] op_sel_hi:[1,1,0] neg_lo:[0,0,1] neg_hi:[0,0,1]
	v_pk_fma_f32 v[136:137], v[136:137], v[126:127], v[140:141] op_sel:[0,0,1] op_sel_hi:[1,0,0]
	v_mov_b32_e32 v143, v137
	v_pk_mul_f32 v[136:137], v[138:139], v[128:129] op_sel:[0,1]
	s_delay_alu instid0(VALU_DEP_2) | instskip(NEXT) | instid1(VALU_DEP_2)
	v_pk_add_f32 v[12:13], v[12:13], v[142:143] neg_lo:[0,1] neg_hi:[0,1]
	v_pk_fma_f32 v[140:141], v[138:139], v[126:127], v[136:137] op_sel:[0,0,1] op_sel_hi:[1,1,0] neg_lo:[0,0,1] neg_hi:[0,0,1]
	v_pk_fma_f32 v[136:137], v[138:139], v[126:127], v[136:137] op_sel:[0,0,1] op_sel_hi:[1,0,0]
	s_delay_alu instid0(VALU_DEP_1) | instskip(SKIP_4) | instid1(VALU_DEP_1)
	v_mov_b32_e32 v141, v137
	ds_load_2addr_b64 v[136:139], v130 offset0:45 offset1:46
	v_pk_add_f32 v[54:55], v[54:55], v[140:141] neg_lo:[0,1] neg_hi:[0,1]
	s_wait_dscnt 0x0
	v_pk_mul_f32 v[140:141], v[136:137], v[128:129] op_sel:[0,1]
	v_pk_fma_f32 v[142:143], v[136:137], v[126:127], v[140:141] op_sel:[0,0,1] op_sel_hi:[1,1,0] neg_lo:[0,0,1] neg_hi:[0,0,1]
	v_pk_fma_f32 v[136:137], v[136:137], v[126:127], v[140:141] op_sel:[0,0,1] op_sel_hi:[1,0,0]
	v_dual_mul_f32 v140, v139, v129 :: v_dual_mov_b32 v136, v139
	s_delay_alu instid0(VALU_DEP_2) | instskip(NEXT) | instid1(VALU_DEP_2)
	v_dual_mov_b32 v143, v137 :: v_dual_mov_b32 v137, v138
	v_pk_fma_f32 v[140:141], v[138:139], v[118:119], v[140:141] op_sel_hi:[1,1,0] neg_lo:[0,0,1] neg_hi:[0,0,1]
	v_mul_f32_e32 v138, v139, v126
	s_delay_alu instid0(VALU_DEP_3) | instskip(NEXT) | instid1(VALU_DEP_2)
	v_pk_add_f32 v[50:51], v[50:51], v[142:143] neg_lo:[0,1] neg_hi:[0,1]
	v_pk_fma_f32 v[136:137], v[136:137], v[118:119], v[138:139] op_sel_hi:[1,1,0]
	s_delay_alu instid0(VALU_DEP_1) | instskip(SKIP_4) | instid1(VALU_DEP_1)
	v_mov_b32_e32 v141, v137
	ds_load_2addr_b64 v[136:139], v130 offset0:47 offset1:48
	v_pk_add_f32 v[52:53], v[52:53], v[140:141] neg_lo:[0,1] neg_hi:[0,1]
	s_wait_dscnt 0x0
	v_pk_mul_f32 v[140:141], v[136:137], v[128:129] op_sel:[0,1]
	v_pk_fma_f32 v[142:143], v[136:137], v[126:127], v[140:141] op_sel:[0,0,1] op_sel_hi:[1,1,0] neg_lo:[0,0,1] neg_hi:[0,0,1]
	v_pk_fma_f32 v[136:137], v[136:137], v[126:127], v[140:141] op_sel:[0,0,1] op_sel_hi:[1,0,0]
	s_delay_alu instid0(VALU_DEP_1) | instskip(SKIP_1) | instid1(VALU_DEP_1)
	v_mov_b32_e32 v143, v137
	v_pk_mul_f32 v[136:137], v[138:139], v[128:129] op_sel:[0,1]
	v_pk_fma_f32 v[140:141], v[138:139], v[126:127], v[136:137] op_sel:[0,0,1] op_sel_hi:[1,1,0] neg_lo:[0,0,1] neg_hi:[0,0,1]
	v_pk_fma_f32 v[136:137], v[138:139], v[126:127], v[136:137] op_sel:[0,0,1] op_sel_hi:[1,0,0]
	s_delay_alu instid0(VALU_DEP_1)
	v_mov_b32_e32 v141, v137
	ds_load_2addr_b64 v[136:139], v130 offset0:49 offset1:50
	v_pk_add_f32 v[10:11], v[10:11], v[142:143] neg_lo:[0,1] neg_hi:[0,1]
	v_pk_add_f32 v[46:47], v[46:47], v[140:141] neg_lo:[0,1] neg_hi:[0,1]
	s_wait_dscnt 0x0
	v_pk_mul_f32 v[140:141], v[136:137], v[128:129] op_sel:[0,1]
	s_delay_alu instid0(VALU_DEP_1) | instskip(SKIP_1) | instid1(VALU_DEP_1)
	v_pk_fma_f32 v[142:143], v[136:137], v[126:127], v[140:141] op_sel:[0,0,1] op_sel_hi:[1,1,0] neg_lo:[0,0,1] neg_hi:[0,0,1]
	v_pk_fma_f32 v[136:137], v[136:137], v[126:127], v[140:141] op_sel:[0,0,1] op_sel_hi:[1,0,0]
	v_mov_b32_e32 v143, v137
	v_pk_mul_f32 v[136:137], v[138:139], v[128:129] op_sel:[0,1]
	s_delay_alu instid0(VALU_DEP_1) | instskip(SKIP_1) | instid1(VALU_DEP_1)
	v_pk_fma_f32 v[140:141], v[138:139], v[126:127], v[136:137] op_sel:[0,0,1] op_sel_hi:[1,1,0] neg_lo:[0,0,1] neg_hi:[0,0,1]
	v_pk_fma_f32 v[136:137], v[138:139], v[126:127], v[136:137] op_sel:[0,0,1] op_sel_hi:[1,0,0]
	v_mov_b32_e32 v141, v137
	ds_load_2addr_b64 v[136:139], v130 offset0:51 offset1:52
	v_pk_add_f32 v[44:45], v[44:45], v[142:143] neg_lo:[0,1] neg_hi:[0,1]
	v_pk_add_f32 v[48:49], v[48:49], v[140:141] neg_lo:[0,1] neg_hi:[0,1]
	s_wait_dscnt 0x0
	v_dual_mul_f32 v140, v137, v129 :: v_dual_mul_f32 v142, v137, v126
	s_delay_alu instid0(VALU_DEP_1) | instskip(NEXT) | instid1(VALU_DEP_2)
	v_pk_fma_f32 v[140:141], v[136:137], v[118:119], v[140:141] op_sel_hi:[1,1,0] neg_lo:[0,0,1] neg_hi:[0,0,1]
	v_pk_fma_f32 v[136:137], v[136:137], v[118:119], v[142:143] op_sel:[1,0,0] op_sel_hi:[0,1,0]
	s_delay_alu instid0(VALU_DEP_1) | instskip(SKIP_1) | instid1(VALU_DEP_2)
	v_mov_b32_e32 v141, v137
	v_pk_mul_f32 v[136:137], v[138:139], v[128:129] op_sel:[0,1]
	v_pk_add_f32 v[8:9], v[8:9], v[140:141] neg_lo:[0,1] neg_hi:[0,1]
	s_delay_alu instid0(VALU_DEP_2) | instskip(SKIP_1) | instid1(VALU_DEP_1)
	v_pk_fma_f32 v[140:141], v[138:139], v[126:127], v[136:137] op_sel:[0,0,1] op_sel_hi:[1,1,0] neg_lo:[0,0,1] neg_hi:[0,0,1]
	v_pk_fma_f32 v[136:137], v[138:139], v[126:127], v[136:137] op_sel:[0,0,1] op_sel_hi:[1,0,0]
	v_mov_b32_e32 v141, v137
	ds_load_2addr_b64 v[136:139], v130 offset0:53 offset1:54
	v_pk_add_f32 v[34:35], v[34:35], v[140:141] neg_lo:[0,1] neg_hi:[0,1]
	s_wait_dscnt 0x0
	v_pk_mul_f32 v[140:141], v[136:137], v[128:129] op_sel:[0,1]
	s_delay_alu instid0(VALU_DEP_1) | instskip(SKIP_1) | instid1(VALU_DEP_1)
	v_pk_fma_f32 v[142:143], v[136:137], v[126:127], v[140:141] op_sel:[0,0,1] op_sel_hi:[1,1,0] neg_lo:[0,0,1] neg_hi:[0,0,1]
	v_pk_fma_f32 v[136:137], v[136:137], v[126:127], v[140:141] op_sel:[0,0,1] op_sel_hi:[1,0,0]
	v_mov_b32_e32 v143, v137
	v_pk_mul_f32 v[136:137], v[138:139], v[128:129] op_sel:[0,1]
	s_delay_alu instid0(VALU_DEP_2) | instskip(NEXT) | instid1(VALU_DEP_2)
	v_pk_add_f32 v[28:29], v[28:29], v[142:143] neg_lo:[0,1] neg_hi:[0,1]
	v_pk_fma_f32 v[140:141], v[138:139], v[126:127], v[136:137] op_sel:[0,0,1] op_sel_hi:[1,1,0] neg_lo:[0,0,1] neg_hi:[0,0,1]
	v_pk_fma_f32 v[136:137], v[138:139], v[126:127], v[136:137] op_sel:[0,0,1] op_sel_hi:[1,0,0]
	s_delay_alu instid0(VALU_DEP_1) | instskip(SKIP_4) | instid1(VALU_DEP_1)
	v_mov_b32_e32 v141, v137
	ds_load_2addr_b64 v[136:139], v130 offset0:55 offset1:56
	v_pk_add_f32 v[32:33], v[32:33], v[140:141] neg_lo:[0,1] neg_hi:[0,1]
	s_wait_dscnt 0x0
	v_pk_mul_f32 v[140:141], v[136:137], v[128:129] op_sel:[0,1]
	v_pk_fma_f32 v[142:143], v[136:137], v[126:127], v[140:141] op_sel:[0,0,1] op_sel_hi:[1,1,0] neg_lo:[0,0,1] neg_hi:[0,0,1]
	v_pk_fma_f32 v[136:137], v[136:137], v[126:127], v[140:141] op_sel:[0,0,1] op_sel_hi:[1,0,0]
	v_dual_mul_f32 v140, v139, v129 :: v_dual_mov_b32 v136, v139
	s_delay_alu instid0(VALU_DEP_2) | instskip(NEXT) | instid1(VALU_DEP_2)
	v_dual_mov_b32 v143, v137 :: v_dual_mov_b32 v137, v138
	v_pk_fma_f32 v[140:141], v[138:139], v[118:119], v[140:141] op_sel_hi:[1,1,0] neg_lo:[0,0,1] neg_hi:[0,0,1]
	v_mul_f32_e32 v138, v139, v126
	s_delay_alu instid0(VALU_DEP_3) | instskip(NEXT) | instid1(VALU_DEP_2)
	v_pk_add_f32 v[6:7], v[6:7], v[142:143] neg_lo:[0,1] neg_hi:[0,1]
	v_pk_fma_f32 v[136:137], v[136:137], v[118:119], v[138:139] op_sel_hi:[1,1,0]
	s_delay_alu instid0(VALU_DEP_1) | instskip(SKIP_4) | instid1(VALU_DEP_1)
	v_mov_b32_e32 v141, v137
	ds_load_2addr_b64 v[136:139], v130 offset0:57 offset1:58
	v_pk_add_f32 v[26:27], v[26:27], v[140:141] neg_lo:[0,1] neg_hi:[0,1]
	s_wait_dscnt 0x0
	v_pk_mul_f32 v[140:141], v[136:137], v[128:129] op_sel:[0,1]
	v_pk_fma_f32 v[142:143], v[136:137], v[126:127], v[140:141] op_sel:[0,0,1] op_sel_hi:[1,1,0] neg_lo:[0,0,1] neg_hi:[0,0,1]
	v_pk_fma_f32 v[136:137], v[136:137], v[126:127], v[140:141] op_sel:[0,0,1] op_sel_hi:[1,0,0]
	s_delay_alu instid0(VALU_DEP_1) | instskip(SKIP_1) | instid1(VALU_DEP_1)
	v_mov_b32_e32 v143, v137
	v_pk_mul_f32 v[136:137], v[138:139], v[128:129] op_sel:[0,1]
	v_pk_fma_f32 v[140:141], v[138:139], v[126:127], v[136:137] op_sel:[0,0,1] op_sel_hi:[1,1,0] neg_lo:[0,0,1] neg_hi:[0,0,1]
	v_pk_fma_f32 v[136:137], v[138:139], v[126:127], v[136:137] op_sel:[0,0,1] op_sel_hi:[1,0,0]
	s_delay_alu instid0(VALU_DEP_1)
	v_mov_b32_e32 v141, v137
	ds_load_b64 v[136:137], v130 offset:472
	v_pk_add_f32 v[16:17], v[16:17], v[142:143] neg_lo:[0,1] neg_hi:[0,1]
	v_pk_add_f32 v[14:15], v[14:15], v[140:141] neg_lo:[0,1] neg_hi:[0,1]
	s_wait_dscnt 0x0
	v_pk_mul_f32 v[128:129], v[136:137], v[128:129] op_sel:[0,1]
	s_delay_alu instid0(VALU_DEP_1) | instskip(SKIP_1) | instid1(VALU_DEP_1)
	v_pk_fma_f32 v[138:139], v[136:137], v[126:127], v[128:129] op_sel:[0,0,1] op_sel_hi:[1,1,0] neg_lo:[0,0,1] neg_hi:[0,0,1]
	v_pk_fma_f32 v[126:127], v[136:137], v[126:127], v[128:129] op_sel:[0,0,1] op_sel_hi:[1,0,0]
	v_mov_b32_e32 v139, v127
	s_delay_alu instid0(VALU_DEP_1)
	v_pk_add_f32 v[124:125], v[124:125], v[138:139] neg_lo:[0,1] neg_hi:[0,1]
.LBB118_62:
	s_or_b32 exec_lo, exec_lo, s0
	v_lshl_add_u32 v126, v134, 3, v130
	s_barrier_signal -1
	s_barrier_wait -1
	ds_store_b64 v126, v[116:117]
	s_wait_dscnt 0x0
	s_barrier_signal -1
	s_barrier_wait -1
	ds_load_b64 v[128:129], v130 offset:24
	v_mov_b32_e32 v126, 3
	s_cmp_lt_i32 s18, 5
	s_cbranch_scc1 .LBB118_65
; %bb.63:
	v_mov_b32_e32 v126, 3
	v_add3_u32 v127, v131, 0, 32
	s_mov_b32 s0, 4
.LBB118_64:                             ; =>This Inner Loop Header: Depth=1
	ds_load_b64 v[136:137], v127
	s_wait_dscnt 0x1
	v_cmp_gt_f32_e32 vcc_lo, 0, v128
	v_cndmask_b32_e64 v138, v128, -v128, vcc_lo
	v_cmp_gt_f32_e32 vcc_lo, 0, v129
	v_cndmask_b32_e64 v140, v129, -v129, vcc_lo
	s_wait_dscnt 0x0
	v_cmp_gt_f32_e32 vcc_lo, 0, v136
	v_cndmask_b32_e64 v139, v136, -v136, vcc_lo
	v_cmp_gt_f32_e32 vcc_lo, 0, v137
	v_cndmask_b32_e64 v141, v137, -v137, vcc_lo
	s_delay_alu instid0(VALU_DEP_1) | instskip(NEXT) | instid1(VALU_DEP_1)
	v_pk_add_f32 v[138:139], v[138:139], v[140:141]
	v_cmp_lt_f32_e32 vcc_lo, v138, v139
	v_dual_add_nc_u32 v127, 8, v127 :: v_dual_cndmask_b32 v129, v129, v137, vcc_lo
	v_cndmask_b32_e32 v128, v128, v136, vcc_lo
	v_cndmask_b32_e64 v126, v126, s0, vcc_lo
	s_add_co_i32 s0, s0, 1
	s_delay_alu instid0(SALU_CYCLE_1)
	s_cmp_lg_u32 s18, s0
	s_cbranch_scc1 .LBB118_64
.LBB118_65:
	s_wait_dscnt 0x0
	v_cmp_eq_f32_e32 vcc_lo, 0, v128
	v_cmp_eq_f32_e64 s0, 0, v129
	s_and_b32 s0, vcc_lo, s0
	s_delay_alu instid0(SALU_CYCLE_1) | instskip(NEXT) | instid1(SALU_CYCLE_1)
	s_and_saveexec_b32 s1, s0
	s_xor_b32 s0, exec_lo, s1
; %bb.66:
	v_cmp_ne_u32_e32 vcc_lo, 0, v132
	v_cndmask_b32_e32 v132, 4, v132, vcc_lo
; %bb.67:
	s_and_not1_saveexec_b32 s0, s0
	s_cbranch_execz .LBB118_73
; %bb.68:
	v_cmp_ngt_f32_e64 s1, |v128|, |v129|
	s_and_saveexec_b32 s12, s1
	s_delay_alu instid0(SALU_CYCLE_1)
	s_xor_b32 s1, exec_lo, s12
	s_cbranch_execz .LBB118_70
; %bb.69:
	v_div_scale_f32 v127, null, v129, v129, v128
	v_div_scale_f32 v137, vcc_lo, v128, v129, v128
	s_delay_alu instid0(VALU_DEP_2) | instskip(SKIP_1) | instid1(TRANS32_DEP_1)
	v_rcp_f32_e32 v135, v127
	v_nop
	v_fma_f32 v136, -v127, v135, 1.0
	s_delay_alu instid0(VALU_DEP_1) | instskip(NEXT) | instid1(VALU_DEP_1)
	v_fmac_f32_e32 v135, v136, v135
	v_mul_f32_e32 v136, v137, v135
	s_delay_alu instid0(VALU_DEP_1) | instskip(NEXT) | instid1(VALU_DEP_1)
	v_fma_f32 v138, -v127, v136, v137
	v_fmac_f32_e32 v136, v138, v135
	s_delay_alu instid0(VALU_DEP_1) | instskip(NEXT) | instid1(VALU_DEP_1)
	v_fma_f32 v127, -v127, v136, v137
	v_div_fmas_f32 v127, v127, v135, v136
	s_delay_alu instid0(VALU_DEP_1) | instskip(NEXT) | instid1(VALU_DEP_1)
	v_div_fixup_f32 v127, v127, v129, v128
	v_fmac_f32_e32 v129, v128, v127
	s_delay_alu instid0(VALU_DEP_1) | instskip(SKIP_1) | instid1(VALU_DEP_2)
	v_div_scale_f32 v128, null, v129, v129, 1.0
	v_div_scale_f32 v137, vcc_lo, 1.0, v129, 1.0
	v_rcp_f32_e32 v135, v128
	v_nop
	s_delay_alu instid0(TRANS32_DEP_1) | instskip(NEXT) | instid1(VALU_DEP_1)
	v_fma_f32 v136, -v128, v135, 1.0
	v_fmac_f32_e32 v135, v136, v135
	s_delay_alu instid0(VALU_DEP_1) | instskip(NEXT) | instid1(VALU_DEP_1)
	v_mul_f32_e32 v136, v137, v135
	v_fma_f32 v138, -v128, v136, v137
	s_delay_alu instid0(VALU_DEP_1) | instskip(NEXT) | instid1(VALU_DEP_1)
	v_fmac_f32_e32 v136, v138, v135
	v_fma_f32 v128, -v128, v136, v137
	s_delay_alu instid0(VALU_DEP_1) | instskip(NEXT) | instid1(VALU_DEP_1)
	v_div_fmas_f32 v128, v128, v135, v136
	v_div_fixup_f32 v129, v128, v129, 1.0
	s_delay_alu instid0(VALU_DEP_1)
	v_mul_f32_e32 v128, v127, v129
	v_xor_b32_e32 v129, 0x80000000, v129
.LBB118_70:
	s_and_not1_saveexec_b32 s1, s1
	s_cbranch_execz .LBB118_72
; %bb.71:
	s_delay_alu instid0(VALU_DEP_1) | instskip(SKIP_1) | instid1(VALU_DEP_2)
	v_div_scale_f32 v127, null, v128, v128, v129
	v_div_scale_f32 v137, vcc_lo, v129, v128, v129
	v_rcp_f32_e32 v135, v127
	v_nop
	s_delay_alu instid0(TRANS32_DEP_1) | instskip(NEXT) | instid1(VALU_DEP_1)
	v_fma_f32 v136, -v127, v135, 1.0
	v_fmac_f32_e32 v135, v136, v135
	s_delay_alu instid0(VALU_DEP_1) | instskip(NEXT) | instid1(VALU_DEP_1)
	v_mul_f32_e32 v136, v137, v135
	v_fma_f32 v138, -v127, v136, v137
	s_delay_alu instid0(VALU_DEP_1) | instskip(NEXT) | instid1(VALU_DEP_1)
	v_fmac_f32_e32 v136, v138, v135
	v_fma_f32 v127, -v127, v136, v137
	s_delay_alu instid0(VALU_DEP_1) | instskip(NEXT) | instid1(VALU_DEP_1)
	v_div_fmas_f32 v127, v127, v135, v136
	v_div_fixup_f32 v127, v127, v128, v129
	s_delay_alu instid0(VALU_DEP_1) | instskip(NEXT) | instid1(VALU_DEP_1)
	v_fmac_f32_e32 v128, v129, v127
	v_div_scale_f32 v129, null, v128, v128, 1.0
	s_delay_alu instid0(VALU_DEP_1) | instskip(SKIP_1) | instid1(TRANS32_DEP_1)
	v_rcp_f32_e32 v135, v129
	v_nop
	v_fma_f32 v136, -v129, v135, 1.0
	s_delay_alu instid0(VALU_DEP_1) | instskip(SKIP_1) | instid1(VALU_DEP_1)
	v_fmac_f32_e32 v135, v136, v135
	v_div_scale_f32 v136, vcc_lo, 1.0, v128, 1.0
	v_mul_f32_e32 v137, v136, v135
	s_delay_alu instid0(VALU_DEP_1) | instskip(NEXT) | instid1(VALU_DEP_1)
	v_fma_f32 v138, -v129, v137, v136
	v_fmac_f32_e32 v137, v138, v135
	s_delay_alu instid0(VALU_DEP_1) | instskip(NEXT) | instid1(VALU_DEP_1)
	v_fma_f32 v129, -v129, v137, v136
	v_div_fmas_f32 v129, v129, v135, v137
	s_delay_alu instid0(VALU_DEP_1) | instskip(NEXT) | instid1(VALU_DEP_1)
	v_div_fixup_f32 v128, v129, v128, 1.0
	v_mul_f32_e64 v129, v127, -v128
.LBB118_72:
	s_or_b32 exec_lo, exec_lo, s1
.LBB118_73:
	s_delay_alu instid0(SALU_CYCLE_1) | instskip(NEXT) | instid1(SALU_CYCLE_1)
	s_or_b32 exec_lo, exec_lo, s0
	s_mov_b32 s0, exec_lo
	v_cmpx_ne_u32_e64 v134, v126
	s_xor_b32 s0, exec_lo, s0
	s_cbranch_execz .LBB118_79
; %bb.74:
	s_mov_b32 s1, exec_lo
	v_cmpx_eq_u32_e32 3, v134
	s_cbranch_execz .LBB118_78
; %bb.75:
	v_cmp_ne_u32_e32 vcc_lo, 3, v126
	s_xor_b32 s12, s16, -1
	s_delay_alu instid0(SALU_CYCLE_1) | instskip(NEXT) | instid1(SALU_CYCLE_1)
	s_and_b32 s13, s12, vcc_lo
	s_and_saveexec_b32 s12, s13
	s_cbranch_execz .LBB118_77
; %bb.76:
	v_ashrrev_i32_e32 v127, 31, v126
	s_delay_alu instid0(VALU_DEP_1)
	v_lshl_add_u64 v[134:135], v[126:127], 2, v[4:5]
	s_clause 0x1
	global_load_b32 v127, v[134:135], off
	global_load_b32 v133, v[4:5], off offset:12
	s_wait_loadcnt 0x1
	global_store_b32 v[4:5], v127, off offset:12
	s_wait_loadcnt 0x0
	global_store_b32 v[134:135], v133, off
.LBB118_77:
	s_wait_xcnt 0x0
	s_or_b32 exec_lo, exec_lo, s12
	v_dual_mov_b32 v134, v126 :: v_dual_mov_b32 v133, v126
.LBB118_78:
	s_or_b32 exec_lo, exec_lo, s1
.LBB118_79:
	s_and_not1_saveexec_b32 s0, s0
	s_cbranch_execz .LBB118_81
; %bb.80:
	v_dual_mov_b32 v126, v114 :: v_dual_mov_b32 v127, v115
	v_dual_mov_b32 v134, v110 :: v_dual_mov_b32 v135, v111
	v_dual_mov_b32 v136, v112 :: v_dual_mov_b32 v137, v113
	v_dual_mov_b32 v138, v42 :: v_dual_mov_b32 v139, v43
	v_dual_mov_b32 v140, v108 :: v_dual_mov_b32 v141, v109
	v_dual_mov_b32 v142, v104 :: v_dual_mov_b32 v143, v105
	v_dual_mov_b32 v144, v106 :: v_dual_mov_b32 v145, v107
	v_dual_mov_b32 v146, v40 :: v_dual_mov_b32 v147, v41
	v_dual_mov_b32 v148, v102 :: v_dual_mov_b32 v149, v103
	v_dual_mov_b32 v150, v98 :: v_dual_mov_b32 v151, v99
	v_dual_mov_b32 v152, v100 :: v_dual_mov_b32 v153, v101
	v_dual_mov_b32 v154, v38 :: v_dual_mov_b32 v155, v39
	ds_store_2addr_b64 v130, v[126:127], v[134:135] offset0:4 offset1:5
	ds_store_2addr_b64 v130, v[136:137], v[138:139] offset0:6 offset1:7
	ds_store_2addr_b64 v130, v[140:141], v[142:143] offset0:8 offset1:9
	ds_store_2addr_b64 v130, v[144:145], v[146:147] offset0:10 offset1:11
	ds_store_2addr_b64 v130, v[148:149], v[150:151] offset0:12 offset1:13
	ds_store_2addr_b64 v130, v[152:153], v[154:155] offset0:14 offset1:15
	v_dual_mov_b32 v126, v96 :: v_dual_mov_b32 v127, v97
	v_dual_mov_b32 v134, v92 :: v_dual_mov_b32 v135, v93
	v_dual_mov_b32 v136, v94 :: v_dual_mov_b32 v137, v95
	v_dual_mov_b32 v138, v36 :: v_dual_mov_b32 v139, v37
	v_dual_mov_b32 v140, v90 :: v_dual_mov_b32 v141, v91
	v_dual_mov_b32 v142, v86 :: v_dual_mov_b32 v143, v87
	v_dual_mov_b32 v144, v88 :: v_dual_mov_b32 v145, v89
	v_dual_mov_b32 v146, v30 :: v_dual_mov_b32 v147, v31
	v_dual_mov_b32 v148, v84 :: v_dual_mov_b32 v149, v85
	v_dual_mov_b32 v150, v80 :: v_dual_mov_b32 v151, v81
	v_dual_mov_b32 v152, v82 :: v_dual_mov_b32 v153, v83
	v_dual_mov_b32 v154, v24 :: v_dual_mov_b32 v155, v25
	ds_store_2addr_b64 v130, v[126:127], v[134:135] offset0:16 offset1:17
	ds_store_2addr_b64 v130, v[136:137], v[138:139] offset0:18 offset1:19
	ds_store_2addr_b64 v130, v[140:141], v[142:143] offset0:20 offset1:21
	ds_store_2addr_b64 v130, v[144:145], v[146:147] offset0:22 offset1:23
	ds_store_2addr_b64 v130, v[148:149], v[150:151] offset0:24 offset1:25
	ds_store_2addr_b64 v130, v[152:153], v[154:155] offset0:26 offset1:27
	;; [unrolled: 18-line block ×4, first 2 shown]
	v_dual_mov_b32 v126, v34 :: v_dual_mov_b32 v127, v35
	v_dual_mov_b32 v136, v28 :: v_dual_mov_b32 v137, v29
	;; [unrolled: 1-line block ×7, first 2 shown]
	v_mov_b32_e32 v147, v15
	ds_store_2addr_b64 v130, v[126:127], v[136:137] offset0:52 offset1:53
	ds_store_2addr_b64 v130, v[138:139], v[140:141] offset0:54 offset1:55
	;; [unrolled: 1-line block ×4, first 2 shown]
.LBB118_81:
	s_or_b32 exec_lo, exec_lo, s0
	s_delay_alu instid0(SALU_CYCLE_1)
	s_mov_b32 s0, exec_lo
	s_wait_storecnt_dscnt 0x0
	s_barrier_signal -1
	s_barrier_wait -1
	v_cmpx_lt_i32_e32 3, v134
	s_cbranch_execz .LBB118_83
; %bb.82:
	v_pk_mul_f32 v[136:137], v[128:129], v[116:117] op_sel:[1,1] op_sel_hi:[0,1]
	s_delay_alu instid0(VALU_DEP_1)
	v_pk_fma_f32 v[126:127], v[128:129], v[116:117], v[136:137] op_sel_hi:[1,0,1] neg_lo:[0,0,1] neg_hi:[0,0,1]
	v_pk_fma_f32 v[128:129], v[128:129], v[116:117], v[136:137] op_sel_hi:[1,0,1]
	ds_load_2addr_b64 v[136:139], v130 offset0:4 offset1:5
	v_dual_mov_b32 v116, v126 :: v_dual_mov_b32 v117, v129
	s_wait_dscnt 0x0
	v_pk_mul_f32 v[140:141], v[136:137], v[128:129] op_sel:[0,1]
	s_delay_alu instid0(VALU_DEP_1) | instskip(SKIP_1) | instid1(VALU_DEP_1)
	v_pk_fma_f32 v[142:143], v[136:137], v[126:127], v[140:141] op_sel:[0,0,1] op_sel_hi:[1,1,0] neg_lo:[0,0,1] neg_hi:[0,0,1]
	v_pk_fma_f32 v[136:137], v[136:137], v[126:127], v[140:141] op_sel:[0,0,1] op_sel_hi:[1,0,0]
	v_mov_b32_e32 v143, v137
	v_pk_mul_f32 v[136:137], v[138:139], v[128:129] op_sel:[0,1]
	s_delay_alu instid0(VALU_DEP_1) | instskip(SKIP_1) | instid1(VALU_DEP_1)
	v_pk_fma_f32 v[140:141], v[138:139], v[126:127], v[136:137] op_sel:[0,0,1] op_sel_hi:[1,1,0] neg_lo:[0,0,1] neg_hi:[0,0,1]
	v_pk_fma_f32 v[136:137], v[138:139], v[126:127], v[136:137] op_sel:[0,0,1] op_sel_hi:[1,0,0]
	v_mov_b32_e32 v141, v137
	ds_load_2addr_b64 v[136:139], v130 offset0:6 offset1:7
	v_pk_add_f32 v[114:115], v[114:115], v[142:143] neg_lo:[0,1] neg_hi:[0,1]
	v_pk_add_f32 v[110:111], v[110:111], v[140:141] neg_lo:[0,1] neg_hi:[0,1]
	s_wait_dscnt 0x0
	v_pk_mul_f32 v[140:141], v[136:137], v[128:129] op_sel:[0,1]
	s_delay_alu instid0(VALU_DEP_1) | instskip(SKIP_2) | instid1(VALU_DEP_2)
	v_pk_fma_f32 v[142:143], v[136:137], v[126:127], v[140:141] op_sel:[0,0,1] op_sel_hi:[1,1,0] neg_lo:[0,0,1] neg_hi:[0,0,1]
	v_pk_fma_f32 v[136:137], v[136:137], v[126:127], v[140:141] op_sel:[0,0,1] op_sel_hi:[1,0,0]
	v_dual_mul_f32 v140, v139, v129 :: v_dual_mov_b32 v136, v139
	v_dual_mov_b32 v143, v137 :: v_dual_mov_b32 v137, v138
	s_delay_alu instid0(VALU_DEP_2) | instskip(SKIP_1) | instid1(VALU_DEP_3)
	v_pk_fma_f32 v[140:141], v[138:139], v[116:117], v[140:141] op_sel_hi:[1,1,0] neg_lo:[0,0,1] neg_hi:[0,0,1]
	v_mul_f32_e32 v138, v139, v126
	v_pk_add_f32 v[112:113], v[112:113], v[142:143] neg_lo:[0,1] neg_hi:[0,1]
	s_delay_alu instid0(VALU_DEP_2) | instskip(NEXT) | instid1(VALU_DEP_1)
	v_pk_fma_f32 v[136:137], v[136:137], v[116:117], v[138:139] op_sel_hi:[1,1,0]
	v_mov_b32_e32 v141, v137
	ds_load_2addr_b64 v[136:139], v130 offset0:8 offset1:9
	v_pk_add_f32 v[42:43], v[42:43], v[140:141] neg_lo:[0,1] neg_hi:[0,1]
	s_wait_dscnt 0x0
	v_pk_mul_f32 v[140:141], v[136:137], v[128:129] op_sel:[0,1]
	s_delay_alu instid0(VALU_DEP_1) | instskip(SKIP_1) | instid1(VALU_DEP_1)
	v_pk_fma_f32 v[142:143], v[136:137], v[126:127], v[140:141] op_sel:[0,0,1] op_sel_hi:[1,1,0] neg_lo:[0,0,1] neg_hi:[0,0,1]
	v_pk_fma_f32 v[136:137], v[136:137], v[126:127], v[140:141] op_sel:[0,0,1] op_sel_hi:[1,0,0]
	v_mov_b32_e32 v143, v137
	v_pk_mul_f32 v[136:137], v[138:139], v[128:129] op_sel:[0,1]
	s_delay_alu instid0(VALU_DEP_1) | instskip(SKIP_1) | instid1(VALU_DEP_1)
	v_pk_fma_f32 v[140:141], v[138:139], v[126:127], v[136:137] op_sel:[0,0,1] op_sel_hi:[1,1,0] neg_lo:[0,0,1] neg_hi:[0,0,1]
	v_pk_fma_f32 v[136:137], v[138:139], v[126:127], v[136:137] op_sel:[0,0,1] op_sel_hi:[1,0,0]
	v_mov_b32_e32 v141, v137
	ds_load_2addr_b64 v[136:139], v130 offset0:10 offset1:11
	v_pk_add_f32 v[108:109], v[108:109], v[142:143] neg_lo:[0,1] neg_hi:[0,1]
	v_pk_add_f32 v[104:105], v[104:105], v[140:141] neg_lo:[0,1] neg_hi:[0,1]
	s_wait_dscnt 0x0
	v_pk_mul_f32 v[140:141], v[136:137], v[128:129] op_sel:[0,1]
	s_delay_alu instid0(VALU_DEP_1) | instskip(SKIP_1) | instid1(VALU_DEP_1)
	v_pk_fma_f32 v[142:143], v[136:137], v[126:127], v[140:141] op_sel:[0,0,1] op_sel_hi:[1,1,0] neg_lo:[0,0,1] neg_hi:[0,0,1]
	v_pk_fma_f32 v[136:137], v[136:137], v[126:127], v[140:141] op_sel:[0,0,1] op_sel_hi:[1,0,0]
	v_mov_b32_e32 v143, v137
	v_pk_mul_f32 v[136:137], v[138:139], v[128:129] op_sel:[0,1]
	s_delay_alu instid0(VALU_DEP_1) | instskip(SKIP_1) | instid1(VALU_DEP_1)
	v_pk_fma_f32 v[140:141], v[138:139], v[126:127], v[136:137] op_sel:[0,0,1] op_sel_hi:[1,1,0] neg_lo:[0,0,1] neg_hi:[0,0,1]
	v_pk_fma_f32 v[136:137], v[138:139], v[126:127], v[136:137] op_sel:[0,0,1] op_sel_hi:[1,0,0]
	v_mov_b32_e32 v141, v137
	ds_load_2addr_b64 v[136:139], v130 offset0:12 offset1:13
	v_pk_add_f32 v[106:107], v[106:107], v[142:143] neg_lo:[0,1] neg_hi:[0,1]
	v_pk_add_f32 v[40:41], v[40:41], v[140:141] neg_lo:[0,1] neg_hi:[0,1]
	s_wait_dscnt 0x0
	v_dual_mul_f32 v140, v137, v129 :: v_dual_mul_f32 v142, v137, v126
	s_delay_alu instid0(VALU_DEP_1) | instskip(NEXT) | instid1(VALU_DEP_2)
	v_pk_fma_f32 v[140:141], v[136:137], v[116:117], v[140:141] op_sel_hi:[1,1,0] neg_lo:[0,0,1] neg_hi:[0,0,1]
	v_pk_fma_f32 v[136:137], v[136:137], v[116:117], v[142:143] op_sel:[1,0,0] op_sel_hi:[0,1,0]
	s_delay_alu instid0(VALU_DEP_1) | instskip(SKIP_1) | instid1(VALU_DEP_2)
	v_mov_b32_e32 v141, v137
	v_pk_mul_f32 v[136:137], v[138:139], v[128:129] op_sel:[0,1]
	v_pk_add_f32 v[102:103], v[102:103], v[140:141] neg_lo:[0,1] neg_hi:[0,1]
	s_delay_alu instid0(VALU_DEP_2) | instskip(SKIP_1) | instid1(VALU_DEP_1)
	v_pk_fma_f32 v[140:141], v[138:139], v[126:127], v[136:137] op_sel:[0,0,1] op_sel_hi:[1,1,0] neg_lo:[0,0,1] neg_hi:[0,0,1]
	v_pk_fma_f32 v[136:137], v[138:139], v[126:127], v[136:137] op_sel:[0,0,1] op_sel_hi:[1,0,0]
	v_mov_b32_e32 v141, v137
	ds_load_2addr_b64 v[136:139], v130 offset0:14 offset1:15
	v_pk_add_f32 v[98:99], v[98:99], v[140:141] neg_lo:[0,1] neg_hi:[0,1]
	s_wait_dscnt 0x0
	v_pk_mul_f32 v[140:141], v[136:137], v[128:129] op_sel:[0,1]
	s_delay_alu instid0(VALU_DEP_1) | instskip(SKIP_1) | instid1(VALU_DEP_1)
	v_pk_fma_f32 v[142:143], v[136:137], v[126:127], v[140:141] op_sel:[0,0,1] op_sel_hi:[1,1,0] neg_lo:[0,0,1] neg_hi:[0,0,1]
	v_pk_fma_f32 v[136:137], v[136:137], v[126:127], v[140:141] op_sel:[0,0,1] op_sel_hi:[1,0,0]
	v_mov_b32_e32 v143, v137
	v_pk_mul_f32 v[136:137], v[138:139], v[128:129] op_sel:[0,1]
	s_delay_alu instid0(VALU_DEP_2) | instskip(NEXT) | instid1(VALU_DEP_2)
	v_pk_add_f32 v[100:101], v[100:101], v[142:143] neg_lo:[0,1] neg_hi:[0,1]
	v_pk_fma_f32 v[140:141], v[138:139], v[126:127], v[136:137] op_sel:[0,0,1] op_sel_hi:[1,1,0] neg_lo:[0,0,1] neg_hi:[0,0,1]
	v_pk_fma_f32 v[136:137], v[138:139], v[126:127], v[136:137] op_sel:[0,0,1] op_sel_hi:[1,0,0]
	s_delay_alu instid0(VALU_DEP_1) | instskip(SKIP_4) | instid1(VALU_DEP_1)
	v_mov_b32_e32 v141, v137
	ds_load_2addr_b64 v[136:139], v130 offset0:16 offset1:17
	v_pk_add_f32 v[38:39], v[38:39], v[140:141] neg_lo:[0,1] neg_hi:[0,1]
	s_wait_dscnt 0x0
	v_pk_mul_f32 v[140:141], v[136:137], v[128:129] op_sel:[0,1]
	v_pk_fma_f32 v[142:143], v[136:137], v[126:127], v[140:141] op_sel:[0,0,1] op_sel_hi:[1,1,0] neg_lo:[0,0,1] neg_hi:[0,0,1]
	v_pk_fma_f32 v[136:137], v[136:137], v[126:127], v[140:141] op_sel:[0,0,1] op_sel_hi:[1,0,0]
	v_dual_mul_f32 v140, v139, v129 :: v_dual_mov_b32 v136, v139
	s_delay_alu instid0(VALU_DEP_2) | instskip(NEXT) | instid1(VALU_DEP_2)
	v_dual_mov_b32 v143, v137 :: v_dual_mov_b32 v137, v138
	v_pk_fma_f32 v[140:141], v[138:139], v[116:117], v[140:141] op_sel_hi:[1,1,0] neg_lo:[0,0,1] neg_hi:[0,0,1]
	v_mul_f32_e32 v138, v139, v126
	s_delay_alu instid0(VALU_DEP_3) | instskip(NEXT) | instid1(VALU_DEP_2)
	v_pk_add_f32 v[96:97], v[96:97], v[142:143] neg_lo:[0,1] neg_hi:[0,1]
	v_pk_fma_f32 v[136:137], v[136:137], v[116:117], v[138:139] op_sel_hi:[1,1,0]
	s_delay_alu instid0(VALU_DEP_1) | instskip(SKIP_4) | instid1(VALU_DEP_1)
	v_mov_b32_e32 v141, v137
	ds_load_2addr_b64 v[136:139], v130 offset0:18 offset1:19
	v_pk_add_f32 v[92:93], v[92:93], v[140:141] neg_lo:[0,1] neg_hi:[0,1]
	s_wait_dscnt 0x0
	v_pk_mul_f32 v[140:141], v[136:137], v[128:129] op_sel:[0,1]
	v_pk_fma_f32 v[142:143], v[136:137], v[126:127], v[140:141] op_sel:[0,0,1] op_sel_hi:[1,1,0] neg_lo:[0,0,1] neg_hi:[0,0,1]
	v_pk_fma_f32 v[136:137], v[136:137], v[126:127], v[140:141] op_sel:[0,0,1] op_sel_hi:[1,0,0]
	s_delay_alu instid0(VALU_DEP_1) | instskip(SKIP_1) | instid1(VALU_DEP_1)
	v_mov_b32_e32 v143, v137
	v_pk_mul_f32 v[136:137], v[138:139], v[128:129] op_sel:[0,1]
	v_pk_fma_f32 v[140:141], v[138:139], v[126:127], v[136:137] op_sel:[0,0,1] op_sel_hi:[1,1,0] neg_lo:[0,0,1] neg_hi:[0,0,1]
	v_pk_fma_f32 v[136:137], v[138:139], v[126:127], v[136:137] op_sel:[0,0,1] op_sel_hi:[1,0,0]
	s_delay_alu instid0(VALU_DEP_1)
	v_mov_b32_e32 v141, v137
	ds_load_2addr_b64 v[136:139], v130 offset0:20 offset1:21
	v_pk_add_f32 v[94:95], v[94:95], v[142:143] neg_lo:[0,1] neg_hi:[0,1]
	v_pk_add_f32 v[36:37], v[36:37], v[140:141] neg_lo:[0,1] neg_hi:[0,1]
	s_wait_dscnt 0x0
	v_pk_mul_f32 v[140:141], v[136:137], v[128:129] op_sel:[0,1]
	s_delay_alu instid0(VALU_DEP_1) | instskip(SKIP_1) | instid1(VALU_DEP_1)
	v_pk_fma_f32 v[142:143], v[136:137], v[126:127], v[140:141] op_sel:[0,0,1] op_sel_hi:[1,1,0] neg_lo:[0,0,1] neg_hi:[0,0,1]
	v_pk_fma_f32 v[136:137], v[136:137], v[126:127], v[140:141] op_sel:[0,0,1] op_sel_hi:[1,0,0]
	v_mov_b32_e32 v143, v137
	v_pk_mul_f32 v[136:137], v[138:139], v[128:129] op_sel:[0,1]
	s_delay_alu instid0(VALU_DEP_1) | instskip(SKIP_1) | instid1(VALU_DEP_1)
	v_pk_fma_f32 v[140:141], v[138:139], v[126:127], v[136:137] op_sel:[0,0,1] op_sel_hi:[1,1,0] neg_lo:[0,0,1] neg_hi:[0,0,1]
	v_pk_fma_f32 v[136:137], v[138:139], v[126:127], v[136:137] op_sel:[0,0,1] op_sel_hi:[1,0,0]
	v_mov_b32_e32 v141, v137
	ds_load_2addr_b64 v[136:139], v130 offset0:22 offset1:23
	v_pk_add_f32 v[90:91], v[90:91], v[142:143] neg_lo:[0,1] neg_hi:[0,1]
	v_pk_add_f32 v[86:87], v[86:87], v[140:141] neg_lo:[0,1] neg_hi:[0,1]
	s_wait_dscnt 0x0
	v_dual_mul_f32 v140, v137, v129 :: v_dual_mul_f32 v142, v137, v126
	s_delay_alu instid0(VALU_DEP_1) | instskip(NEXT) | instid1(VALU_DEP_2)
	v_pk_fma_f32 v[140:141], v[136:137], v[116:117], v[140:141] op_sel_hi:[1,1,0] neg_lo:[0,0,1] neg_hi:[0,0,1]
	v_pk_fma_f32 v[136:137], v[136:137], v[116:117], v[142:143] op_sel:[1,0,0] op_sel_hi:[0,1,0]
	s_delay_alu instid0(VALU_DEP_1) | instskip(SKIP_1) | instid1(VALU_DEP_2)
	v_mov_b32_e32 v141, v137
	v_pk_mul_f32 v[136:137], v[138:139], v[128:129] op_sel:[0,1]
	v_pk_add_f32 v[88:89], v[88:89], v[140:141] neg_lo:[0,1] neg_hi:[0,1]
	s_delay_alu instid0(VALU_DEP_2) | instskip(SKIP_1) | instid1(VALU_DEP_1)
	v_pk_fma_f32 v[140:141], v[138:139], v[126:127], v[136:137] op_sel:[0,0,1] op_sel_hi:[1,1,0] neg_lo:[0,0,1] neg_hi:[0,0,1]
	v_pk_fma_f32 v[136:137], v[138:139], v[126:127], v[136:137] op_sel:[0,0,1] op_sel_hi:[1,0,0]
	v_mov_b32_e32 v141, v137
	ds_load_2addr_b64 v[136:139], v130 offset0:24 offset1:25
	v_pk_add_f32 v[30:31], v[30:31], v[140:141] neg_lo:[0,1] neg_hi:[0,1]
	s_wait_dscnt 0x0
	v_pk_mul_f32 v[140:141], v[136:137], v[128:129] op_sel:[0,1]
	s_delay_alu instid0(VALU_DEP_1) | instskip(SKIP_1) | instid1(VALU_DEP_1)
	v_pk_fma_f32 v[142:143], v[136:137], v[126:127], v[140:141] op_sel:[0,0,1] op_sel_hi:[1,1,0] neg_lo:[0,0,1] neg_hi:[0,0,1]
	v_pk_fma_f32 v[136:137], v[136:137], v[126:127], v[140:141] op_sel:[0,0,1] op_sel_hi:[1,0,0]
	v_mov_b32_e32 v143, v137
	v_pk_mul_f32 v[136:137], v[138:139], v[128:129] op_sel:[0,1]
	s_delay_alu instid0(VALU_DEP_2) | instskip(NEXT) | instid1(VALU_DEP_2)
	v_pk_add_f32 v[84:85], v[84:85], v[142:143] neg_lo:[0,1] neg_hi:[0,1]
	v_pk_fma_f32 v[140:141], v[138:139], v[126:127], v[136:137] op_sel:[0,0,1] op_sel_hi:[1,1,0] neg_lo:[0,0,1] neg_hi:[0,0,1]
	v_pk_fma_f32 v[136:137], v[138:139], v[126:127], v[136:137] op_sel:[0,0,1] op_sel_hi:[1,0,0]
	s_delay_alu instid0(VALU_DEP_1) | instskip(SKIP_4) | instid1(VALU_DEP_1)
	v_mov_b32_e32 v141, v137
	ds_load_2addr_b64 v[136:139], v130 offset0:26 offset1:27
	v_pk_add_f32 v[80:81], v[80:81], v[140:141] neg_lo:[0,1] neg_hi:[0,1]
	s_wait_dscnt 0x0
	v_pk_mul_f32 v[140:141], v[136:137], v[128:129] op_sel:[0,1]
	v_pk_fma_f32 v[142:143], v[136:137], v[126:127], v[140:141] op_sel:[0,0,1] op_sel_hi:[1,1,0] neg_lo:[0,0,1] neg_hi:[0,0,1]
	v_pk_fma_f32 v[136:137], v[136:137], v[126:127], v[140:141] op_sel:[0,0,1] op_sel_hi:[1,0,0]
	v_dual_mul_f32 v140, v139, v129 :: v_dual_mov_b32 v136, v139
	s_delay_alu instid0(VALU_DEP_2) | instskip(NEXT) | instid1(VALU_DEP_2)
	v_dual_mov_b32 v143, v137 :: v_dual_mov_b32 v137, v138
	v_pk_fma_f32 v[140:141], v[138:139], v[116:117], v[140:141] op_sel_hi:[1,1,0] neg_lo:[0,0,1] neg_hi:[0,0,1]
	v_mul_f32_e32 v138, v139, v126
	s_delay_alu instid0(VALU_DEP_3) | instskip(NEXT) | instid1(VALU_DEP_2)
	v_pk_add_f32 v[82:83], v[82:83], v[142:143] neg_lo:[0,1] neg_hi:[0,1]
	v_pk_fma_f32 v[136:137], v[136:137], v[116:117], v[138:139] op_sel_hi:[1,1,0]
	s_delay_alu instid0(VALU_DEP_1) | instskip(SKIP_4) | instid1(VALU_DEP_1)
	v_mov_b32_e32 v141, v137
	ds_load_2addr_b64 v[136:139], v130 offset0:28 offset1:29
	v_pk_add_f32 v[24:25], v[24:25], v[140:141] neg_lo:[0,1] neg_hi:[0,1]
	s_wait_dscnt 0x0
	v_pk_mul_f32 v[140:141], v[136:137], v[128:129] op_sel:[0,1]
	v_pk_fma_f32 v[142:143], v[136:137], v[126:127], v[140:141] op_sel:[0,0,1] op_sel_hi:[1,1,0] neg_lo:[0,0,1] neg_hi:[0,0,1]
	v_pk_fma_f32 v[136:137], v[136:137], v[126:127], v[140:141] op_sel:[0,0,1] op_sel_hi:[1,0,0]
	s_delay_alu instid0(VALU_DEP_1) | instskip(SKIP_1) | instid1(VALU_DEP_1)
	v_mov_b32_e32 v143, v137
	v_pk_mul_f32 v[136:137], v[138:139], v[128:129] op_sel:[0,1]
	v_pk_fma_f32 v[140:141], v[138:139], v[126:127], v[136:137] op_sel:[0,0,1] op_sel_hi:[1,1,0] neg_lo:[0,0,1] neg_hi:[0,0,1]
	v_pk_fma_f32 v[136:137], v[138:139], v[126:127], v[136:137] op_sel:[0,0,1] op_sel_hi:[1,0,0]
	s_delay_alu instid0(VALU_DEP_1)
	v_mov_b32_e32 v141, v137
	ds_load_2addr_b64 v[136:139], v130 offset0:30 offset1:31
	v_pk_add_f32 v[78:79], v[78:79], v[142:143] neg_lo:[0,1] neg_hi:[0,1]
	v_pk_add_f32 v[74:75], v[74:75], v[140:141] neg_lo:[0,1] neg_hi:[0,1]
	s_wait_dscnt 0x0
	v_pk_mul_f32 v[140:141], v[136:137], v[128:129] op_sel:[0,1]
	s_delay_alu instid0(VALU_DEP_1) | instskip(SKIP_1) | instid1(VALU_DEP_1)
	v_pk_fma_f32 v[142:143], v[136:137], v[126:127], v[140:141] op_sel:[0,0,1] op_sel_hi:[1,1,0] neg_lo:[0,0,1] neg_hi:[0,0,1]
	v_pk_fma_f32 v[136:137], v[136:137], v[126:127], v[140:141] op_sel:[0,0,1] op_sel_hi:[1,0,0]
	v_mov_b32_e32 v143, v137
	v_pk_mul_f32 v[136:137], v[138:139], v[128:129] op_sel:[0,1]
	s_delay_alu instid0(VALU_DEP_1) | instskip(SKIP_1) | instid1(VALU_DEP_1)
	v_pk_fma_f32 v[140:141], v[138:139], v[126:127], v[136:137] op_sel:[0,0,1] op_sel_hi:[1,1,0] neg_lo:[0,0,1] neg_hi:[0,0,1]
	v_pk_fma_f32 v[136:137], v[138:139], v[126:127], v[136:137] op_sel:[0,0,1] op_sel_hi:[1,0,0]
	v_mov_b32_e32 v141, v137
	ds_load_2addr_b64 v[136:139], v130 offset0:32 offset1:33
	v_pk_add_f32 v[76:77], v[76:77], v[142:143] neg_lo:[0,1] neg_hi:[0,1]
	v_pk_add_f32 v[22:23], v[22:23], v[140:141] neg_lo:[0,1] neg_hi:[0,1]
	s_wait_dscnt 0x0
	v_dual_mul_f32 v140, v137, v129 :: v_dual_mul_f32 v142, v137, v126
	s_delay_alu instid0(VALU_DEP_1) | instskip(NEXT) | instid1(VALU_DEP_2)
	v_pk_fma_f32 v[140:141], v[136:137], v[116:117], v[140:141] op_sel_hi:[1,1,0] neg_lo:[0,0,1] neg_hi:[0,0,1]
	v_pk_fma_f32 v[136:137], v[136:137], v[116:117], v[142:143] op_sel:[1,0,0] op_sel_hi:[0,1,0]
	s_delay_alu instid0(VALU_DEP_1) | instskip(SKIP_1) | instid1(VALU_DEP_2)
	v_mov_b32_e32 v141, v137
	v_pk_mul_f32 v[136:137], v[138:139], v[128:129] op_sel:[0,1]
	v_pk_add_f32 v[72:73], v[72:73], v[140:141] neg_lo:[0,1] neg_hi:[0,1]
	s_delay_alu instid0(VALU_DEP_2) | instskip(SKIP_1) | instid1(VALU_DEP_1)
	v_pk_fma_f32 v[140:141], v[138:139], v[126:127], v[136:137] op_sel:[0,0,1] op_sel_hi:[1,1,0] neg_lo:[0,0,1] neg_hi:[0,0,1]
	v_pk_fma_f32 v[136:137], v[138:139], v[126:127], v[136:137] op_sel:[0,0,1] op_sel_hi:[1,0,0]
	v_mov_b32_e32 v141, v137
	ds_load_2addr_b64 v[136:139], v130 offset0:34 offset1:35
	v_pk_add_f32 v[68:69], v[68:69], v[140:141] neg_lo:[0,1] neg_hi:[0,1]
	s_wait_dscnt 0x0
	v_pk_mul_f32 v[140:141], v[136:137], v[128:129] op_sel:[0,1]
	s_delay_alu instid0(VALU_DEP_1) | instskip(SKIP_1) | instid1(VALU_DEP_1)
	v_pk_fma_f32 v[142:143], v[136:137], v[126:127], v[140:141] op_sel:[0,0,1] op_sel_hi:[1,1,0] neg_lo:[0,0,1] neg_hi:[0,0,1]
	v_pk_fma_f32 v[136:137], v[136:137], v[126:127], v[140:141] op_sel:[0,0,1] op_sel_hi:[1,0,0]
	v_mov_b32_e32 v143, v137
	v_pk_mul_f32 v[136:137], v[138:139], v[128:129] op_sel:[0,1]
	s_delay_alu instid0(VALU_DEP_2) | instskip(NEXT) | instid1(VALU_DEP_2)
	v_pk_add_f32 v[70:71], v[70:71], v[142:143] neg_lo:[0,1] neg_hi:[0,1]
	v_pk_fma_f32 v[140:141], v[138:139], v[126:127], v[136:137] op_sel:[0,0,1] op_sel_hi:[1,1,0] neg_lo:[0,0,1] neg_hi:[0,0,1]
	v_pk_fma_f32 v[136:137], v[138:139], v[126:127], v[136:137] op_sel:[0,0,1] op_sel_hi:[1,0,0]
	s_delay_alu instid0(VALU_DEP_1) | instskip(SKIP_4) | instid1(VALU_DEP_1)
	v_mov_b32_e32 v141, v137
	ds_load_2addr_b64 v[136:139], v130 offset0:36 offset1:37
	v_pk_add_f32 v[20:21], v[20:21], v[140:141] neg_lo:[0,1] neg_hi:[0,1]
	s_wait_dscnt 0x0
	v_pk_mul_f32 v[140:141], v[136:137], v[128:129] op_sel:[0,1]
	v_pk_fma_f32 v[142:143], v[136:137], v[126:127], v[140:141] op_sel:[0,0,1] op_sel_hi:[1,1,0] neg_lo:[0,0,1] neg_hi:[0,0,1]
	v_pk_fma_f32 v[136:137], v[136:137], v[126:127], v[140:141] op_sel:[0,0,1] op_sel_hi:[1,0,0]
	v_dual_mul_f32 v140, v139, v129 :: v_dual_mov_b32 v136, v139
	s_delay_alu instid0(VALU_DEP_2) | instskip(NEXT) | instid1(VALU_DEP_2)
	v_dual_mov_b32 v143, v137 :: v_dual_mov_b32 v137, v138
	v_pk_fma_f32 v[140:141], v[138:139], v[116:117], v[140:141] op_sel_hi:[1,1,0] neg_lo:[0,0,1] neg_hi:[0,0,1]
	v_mul_f32_e32 v138, v139, v126
	s_delay_alu instid0(VALU_DEP_3) | instskip(NEXT) | instid1(VALU_DEP_2)
	v_pk_add_f32 v[66:67], v[66:67], v[142:143] neg_lo:[0,1] neg_hi:[0,1]
	v_pk_fma_f32 v[136:137], v[136:137], v[116:117], v[138:139] op_sel_hi:[1,1,0]
	s_delay_alu instid0(VALU_DEP_1) | instskip(SKIP_4) | instid1(VALU_DEP_1)
	v_mov_b32_e32 v141, v137
	ds_load_2addr_b64 v[136:139], v130 offset0:38 offset1:39
	v_pk_add_f32 v[62:63], v[62:63], v[140:141] neg_lo:[0,1] neg_hi:[0,1]
	s_wait_dscnt 0x0
	v_pk_mul_f32 v[140:141], v[136:137], v[128:129] op_sel:[0,1]
	v_pk_fma_f32 v[142:143], v[136:137], v[126:127], v[140:141] op_sel:[0,0,1] op_sel_hi:[1,1,0] neg_lo:[0,0,1] neg_hi:[0,0,1]
	v_pk_fma_f32 v[136:137], v[136:137], v[126:127], v[140:141] op_sel:[0,0,1] op_sel_hi:[1,0,0]
	s_delay_alu instid0(VALU_DEP_1) | instskip(SKIP_1) | instid1(VALU_DEP_1)
	v_mov_b32_e32 v143, v137
	v_pk_mul_f32 v[136:137], v[138:139], v[128:129] op_sel:[0,1]
	v_pk_fma_f32 v[140:141], v[138:139], v[126:127], v[136:137] op_sel:[0,0,1] op_sel_hi:[1,1,0] neg_lo:[0,0,1] neg_hi:[0,0,1]
	v_pk_fma_f32 v[136:137], v[138:139], v[126:127], v[136:137] op_sel:[0,0,1] op_sel_hi:[1,0,0]
	s_delay_alu instid0(VALU_DEP_1)
	v_mov_b32_e32 v141, v137
	ds_load_2addr_b64 v[136:139], v130 offset0:40 offset1:41
	v_pk_add_f32 v[64:65], v[64:65], v[142:143] neg_lo:[0,1] neg_hi:[0,1]
	v_pk_add_f32 v[18:19], v[18:19], v[140:141] neg_lo:[0,1] neg_hi:[0,1]
	s_wait_dscnt 0x0
	v_pk_mul_f32 v[140:141], v[136:137], v[128:129] op_sel:[0,1]
	s_delay_alu instid0(VALU_DEP_1) | instskip(SKIP_1) | instid1(VALU_DEP_1)
	v_pk_fma_f32 v[142:143], v[136:137], v[126:127], v[140:141] op_sel:[0,0,1] op_sel_hi:[1,1,0] neg_lo:[0,0,1] neg_hi:[0,0,1]
	v_pk_fma_f32 v[136:137], v[136:137], v[126:127], v[140:141] op_sel:[0,0,1] op_sel_hi:[1,0,0]
	v_mov_b32_e32 v143, v137
	v_pk_mul_f32 v[136:137], v[138:139], v[128:129] op_sel:[0,1]
	s_delay_alu instid0(VALU_DEP_1) | instskip(SKIP_1) | instid1(VALU_DEP_1)
	v_pk_fma_f32 v[140:141], v[138:139], v[126:127], v[136:137] op_sel:[0,0,1] op_sel_hi:[1,1,0] neg_lo:[0,0,1] neg_hi:[0,0,1]
	v_pk_fma_f32 v[136:137], v[138:139], v[126:127], v[136:137] op_sel:[0,0,1] op_sel_hi:[1,0,0]
	v_mov_b32_e32 v141, v137
	ds_load_2addr_b64 v[136:139], v130 offset0:42 offset1:43
	v_pk_add_f32 v[60:61], v[60:61], v[142:143] neg_lo:[0,1] neg_hi:[0,1]
	v_pk_add_f32 v[56:57], v[56:57], v[140:141] neg_lo:[0,1] neg_hi:[0,1]
	s_wait_dscnt 0x0
	v_dual_mul_f32 v140, v137, v129 :: v_dual_mul_f32 v142, v137, v126
	s_delay_alu instid0(VALU_DEP_1) | instskip(NEXT) | instid1(VALU_DEP_2)
	v_pk_fma_f32 v[140:141], v[136:137], v[116:117], v[140:141] op_sel_hi:[1,1,0] neg_lo:[0,0,1] neg_hi:[0,0,1]
	v_pk_fma_f32 v[136:137], v[136:137], v[116:117], v[142:143] op_sel:[1,0,0] op_sel_hi:[0,1,0]
	s_delay_alu instid0(VALU_DEP_1) | instskip(SKIP_1) | instid1(VALU_DEP_2)
	v_mov_b32_e32 v141, v137
	v_pk_mul_f32 v[136:137], v[138:139], v[128:129] op_sel:[0,1]
	v_pk_add_f32 v[58:59], v[58:59], v[140:141] neg_lo:[0,1] neg_hi:[0,1]
	s_delay_alu instid0(VALU_DEP_2) | instskip(SKIP_1) | instid1(VALU_DEP_1)
	v_pk_fma_f32 v[140:141], v[138:139], v[126:127], v[136:137] op_sel:[0,0,1] op_sel_hi:[1,1,0] neg_lo:[0,0,1] neg_hi:[0,0,1]
	v_pk_fma_f32 v[136:137], v[138:139], v[126:127], v[136:137] op_sel:[0,0,1] op_sel_hi:[1,0,0]
	v_mov_b32_e32 v141, v137
	ds_load_2addr_b64 v[136:139], v130 offset0:44 offset1:45
	v_pk_add_f32 v[12:13], v[12:13], v[140:141] neg_lo:[0,1] neg_hi:[0,1]
	s_wait_dscnt 0x0
	v_pk_mul_f32 v[140:141], v[136:137], v[128:129] op_sel:[0,1]
	s_delay_alu instid0(VALU_DEP_1) | instskip(SKIP_1) | instid1(VALU_DEP_1)
	v_pk_fma_f32 v[142:143], v[136:137], v[126:127], v[140:141] op_sel:[0,0,1] op_sel_hi:[1,1,0] neg_lo:[0,0,1] neg_hi:[0,0,1]
	v_pk_fma_f32 v[136:137], v[136:137], v[126:127], v[140:141] op_sel:[0,0,1] op_sel_hi:[1,0,0]
	v_mov_b32_e32 v143, v137
	v_pk_mul_f32 v[136:137], v[138:139], v[128:129] op_sel:[0,1]
	s_delay_alu instid0(VALU_DEP_2) | instskip(NEXT) | instid1(VALU_DEP_2)
	v_pk_add_f32 v[54:55], v[54:55], v[142:143] neg_lo:[0,1] neg_hi:[0,1]
	v_pk_fma_f32 v[140:141], v[138:139], v[126:127], v[136:137] op_sel:[0,0,1] op_sel_hi:[1,1,0] neg_lo:[0,0,1] neg_hi:[0,0,1]
	v_pk_fma_f32 v[136:137], v[138:139], v[126:127], v[136:137] op_sel:[0,0,1] op_sel_hi:[1,0,0]
	s_delay_alu instid0(VALU_DEP_1) | instskip(SKIP_4) | instid1(VALU_DEP_1)
	v_mov_b32_e32 v141, v137
	ds_load_2addr_b64 v[136:139], v130 offset0:46 offset1:47
	v_pk_add_f32 v[50:51], v[50:51], v[140:141] neg_lo:[0,1] neg_hi:[0,1]
	s_wait_dscnt 0x0
	v_pk_mul_f32 v[140:141], v[136:137], v[128:129] op_sel:[0,1]
	v_pk_fma_f32 v[142:143], v[136:137], v[126:127], v[140:141] op_sel:[0,0,1] op_sel_hi:[1,1,0] neg_lo:[0,0,1] neg_hi:[0,0,1]
	v_pk_fma_f32 v[136:137], v[136:137], v[126:127], v[140:141] op_sel:[0,0,1] op_sel_hi:[1,0,0]
	v_dual_mul_f32 v140, v139, v129 :: v_dual_mov_b32 v136, v139
	s_delay_alu instid0(VALU_DEP_2) | instskip(NEXT) | instid1(VALU_DEP_2)
	v_dual_mov_b32 v143, v137 :: v_dual_mov_b32 v137, v138
	v_pk_fma_f32 v[140:141], v[138:139], v[116:117], v[140:141] op_sel_hi:[1,1,0] neg_lo:[0,0,1] neg_hi:[0,0,1]
	v_mul_f32_e32 v138, v139, v126
	s_delay_alu instid0(VALU_DEP_3) | instskip(NEXT) | instid1(VALU_DEP_2)
	v_pk_add_f32 v[52:53], v[52:53], v[142:143] neg_lo:[0,1] neg_hi:[0,1]
	v_pk_fma_f32 v[136:137], v[136:137], v[116:117], v[138:139] op_sel_hi:[1,1,0]
	s_delay_alu instid0(VALU_DEP_1) | instskip(SKIP_4) | instid1(VALU_DEP_1)
	v_mov_b32_e32 v141, v137
	ds_load_2addr_b64 v[136:139], v130 offset0:48 offset1:49
	v_pk_add_f32 v[10:11], v[10:11], v[140:141] neg_lo:[0,1] neg_hi:[0,1]
	s_wait_dscnt 0x0
	v_pk_mul_f32 v[140:141], v[136:137], v[128:129] op_sel:[0,1]
	v_pk_fma_f32 v[142:143], v[136:137], v[126:127], v[140:141] op_sel:[0,0,1] op_sel_hi:[1,1,0] neg_lo:[0,0,1] neg_hi:[0,0,1]
	v_pk_fma_f32 v[136:137], v[136:137], v[126:127], v[140:141] op_sel:[0,0,1] op_sel_hi:[1,0,0]
	s_delay_alu instid0(VALU_DEP_1) | instskip(SKIP_1) | instid1(VALU_DEP_1)
	v_mov_b32_e32 v143, v137
	v_pk_mul_f32 v[136:137], v[138:139], v[128:129] op_sel:[0,1]
	v_pk_fma_f32 v[140:141], v[138:139], v[126:127], v[136:137] op_sel:[0,0,1] op_sel_hi:[1,1,0] neg_lo:[0,0,1] neg_hi:[0,0,1]
	v_pk_fma_f32 v[136:137], v[138:139], v[126:127], v[136:137] op_sel:[0,0,1] op_sel_hi:[1,0,0]
	s_delay_alu instid0(VALU_DEP_1)
	v_mov_b32_e32 v141, v137
	ds_load_2addr_b64 v[136:139], v130 offset0:50 offset1:51
	v_pk_add_f32 v[46:47], v[46:47], v[142:143] neg_lo:[0,1] neg_hi:[0,1]
	v_pk_add_f32 v[44:45], v[44:45], v[140:141] neg_lo:[0,1] neg_hi:[0,1]
	s_wait_dscnt 0x0
	v_pk_mul_f32 v[140:141], v[136:137], v[128:129] op_sel:[0,1]
	s_delay_alu instid0(VALU_DEP_1) | instskip(SKIP_1) | instid1(VALU_DEP_1)
	v_pk_fma_f32 v[142:143], v[136:137], v[126:127], v[140:141] op_sel:[0,0,1] op_sel_hi:[1,1,0] neg_lo:[0,0,1] neg_hi:[0,0,1]
	v_pk_fma_f32 v[136:137], v[136:137], v[126:127], v[140:141] op_sel:[0,0,1] op_sel_hi:[1,0,0]
	v_mov_b32_e32 v143, v137
	v_pk_mul_f32 v[136:137], v[138:139], v[128:129] op_sel:[0,1]
	s_delay_alu instid0(VALU_DEP_1) | instskip(SKIP_1) | instid1(VALU_DEP_1)
	v_pk_fma_f32 v[140:141], v[138:139], v[126:127], v[136:137] op_sel:[0,0,1] op_sel_hi:[1,1,0] neg_lo:[0,0,1] neg_hi:[0,0,1]
	v_pk_fma_f32 v[136:137], v[138:139], v[126:127], v[136:137] op_sel:[0,0,1] op_sel_hi:[1,0,0]
	v_mov_b32_e32 v141, v137
	ds_load_2addr_b64 v[136:139], v130 offset0:52 offset1:53
	v_pk_add_f32 v[48:49], v[48:49], v[142:143] neg_lo:[0,1] neg_hi:[0,1]
	v_pk_add_f32 v[8:9], v[8:9], v[140:141] neg_lo:[0,1] neg_hi:[0,1]
	s_wait_dscnt 0x0
	v_dual_mul_f32 v140, v137, v129 :: v_dual_mul_f32 v142, v137, v126
	s_delay_alu instid0(VALU_DEP_1) | instskip(NEXT) | instid1(VALU_DEP_2)
	v_pk_fma_f32 v[140:141], v[136:137], v[116:117], v[140:141] op_sel_hi:[1,1,0] neg_lo:[0,0,1] neg_hi:[0,0,1]
	v_pk_fma_f32 v[136:137], v[136:137], v[116:117], v[142:143] op_sel:[1,0,0] op_sel_hi:[0,1,0]
	s_delay_alu instid0(VALU_DEP_1) | instskip(SKIP_1) | instid1(VALU_DEP_2)
	v_mov_b32_e32 v141, v137
	v_pk_mul_f32 v[136:137], v[138:139], v[128:129] op_sel:[0,1]
	v_pk_add_f32 v[34:35], v[34:35], v[140:141] neg_lo:[0,1] neg_hi:[0,1]
	s_delay_alu instid0(VALU_DEP_2) | instskip(SKIP_1) | instid1(VALU_DEP_1)
	v_pk_fma_f32 v[140:141], v[138:139], v[126:127], v[136:137] op_sel:[0,0,1] op_sel_hi:[1,1,0] neg_lo:[0,0,1] neg_hi:[0,0,1]
	v_pk_fma_f32 v[136:137], v[138:139], v[126:127], v[136:137] op_sel:[0,0,1] op_sel_hi:[1,0,0]
	v_mov_b32_e32 v141, v137
	ds_load_2addr_b64 v[136:139], v130 offset0:54 offset1:55
	v_pk_add_f32 v[28:29], v[28:29], v[140:141] neg_lo:[0,1] neg_hi:[0,1]
	s_wait_dscnt 0x0
	v_pk_mul_f32 v[140:141], v[136:137], v[128:129] op_sel:[0,1]
	s_delay_alu instid0(VALU_DEP_1) | instskip(SKIP_1) | instid1(VALU_DEP_1)
	v_pk_fma_f32 v[142:143], v[136:137], v[126:127], v[140:141] op_sel:[0,0,1] op_sel_hi:[1,1,0] neg_lo:[0,0,1] neg_hi:[0,0,1]
	v_pk_fma_f32 v[136:137], v[136:137], v[126:127], v[140:141] op_sel:[0,0,1] op_sel_hi:[1,0,0]
	v_mov_b32_e32 v143, v137
	v_pk_mul_f32 v[136:137], v[138:139], v[128:129] op_sel:[0,1]
	s_delay_alu instid0(VALU_DEP_2) | instskip(NEXT) | instid1(VALU_DEP_2)
	v_pk_add_f32 v[32:33], v[32:33], v[142:143] neg_lo:[0,1] neg_hi:[0,1]
	v_pk_fma_f32 v[140:141], v[138:139], v[126:127], v[136:137] op_sel:[0,0,1] op_sel_hi:[1,1,0] neg_lo:[0,0,1] neg_hi:[0,0,1]
	v_pk_fma_f32 v[136:137], v[138:139], v[126:127], v[136:137] op_sel:[0,0,1] op_sel_hi:[1,0,0]
	s_delay_alu instid0(VALU_DEP_1) | instskip(SKIP_4) | instid1(VALU_DEP_1)
	v_mov_b32_e32 v141, v137
	ds_load_2addr_b64 v[136:139], v130 offset0:56 offset1:57
	v_pk_add_f32 v[6:7], v[6:7], v[140:141] neg_lo:[0,1] neg_hi:[0,1]
	s_wait_dscnt 0x0
	v_pk_mul_f32 v[140:141], v[136:137], v[128:129] op_sel:[0,1]
	v_pk_fma_f32 v[142:143], v[136:137], v[126:127], v[140:141] op_sel:[0,0,1] op_sel_hi:[1,1,0] neg_lo:[0,0,1] neg_hi:[0,0,1]
	v_pk_fma_f32 v[136:137], v[136:137], v[126:127], v[140:141] op_sel:[0,0,1] op_sel_hi:[1,0,0]
	v_dual_mul_f32 v140, v139, v129 :: v_dual_mov_b32 v136, v139
	s_delay_alu instid0(VALU_DEP_2) | instskip(NEXT) | instid1(VALU_DEP_2)
	v_dual_mov_b32 v143, v137 :: v_dual_mov_b32 v137, v138
	v_pk_fma_f32 v[140:141], v[138:139], v[116:117], v[140:141] op_sel_hi:[1,1,0] neg_lo:[0,0,1] neg_hi:[0,0,1]
	v_mul_f32_e32 v138, v139, v126
	s_delay_alu instid0(VALU_DEP_3) | instskip(NEXT) | instid1(VALU_DEP_2)
	v_pk_add_f32 v[26:27], v[26:27], v[142:143] neg_lo:[0,1] neg_hi:[0,1]
	v_pk_fma_f32 v[136:137], v[136:137], v[116:117], v[138:139] op_sel_hi:[1,1,0]
	s_delay_alu instid0(VALU_DEP_1)
	v_mov_b32_e32 v141, v137
	ds_load_2addr_b64 v[136:139], v130 offset0:58 offset1:59
	v_pk_add_f32 v[16:17], v[16:17], v[140:141] neg_lo:[0,1] neg_hi:[0,1]
	s_wait_dscnt 0x0
	v_pk_mul_f32 v[140:141], v[136:137], v[128:129] op_sel:[0,1]
	v_pk_mul_f32 v[128:129], v[138:139], v[128:129] op_sel:[0,1]
	s_delay_alu instid0(VALU_DEP_2) | instskip(SKIP_1) | instid1(VALU_DEP_1)
	v_pk_fma_f32 v[142:143], v[136:137], v[126:127], v[140:141] op_sel:[0,0,1] op_sel_hi:[1,1,0] neg_lo:[0,0,1] neg_hi:[0,0,1]
	v_pk_fma_f32 v[136:137], v[136:137], v[126:127], v[140:141] op_sel:[0,0,1] op_sel_hi:[1,0,0]
	v_mov_b32_e32 v143, v137
	s_delay_alu instid0(VALU_DEP_4) | instskip(SKIP_1) | instid1(VALU_DEP_1)
	v_pk_fma_f32 v[136:137], v[138:139], v[126:127], v[128:129] op_sel:[0,0,1] op_sel_hi:[1,1,0] neg_lo:[0,0,1] neg_hi:[0,0,1]
	v_pk_fma_f32 v[126:127], v[138:139], v[126:127], v[128:129] op_sel:[0,0,1] op_sel_hi:[1,0,0]
	v_mov_b32_e32 v137, v127
	s_delay_alu instid0(VALU_DEP_4) | instskip(NEXT) | instid1(VALU_DEP_2)
	v_pk_add_f32 v[14:15], v[14:15], v[142:143] neg_lo:[0,1] neg_hi:[0,1]
	v_pk_add_f32 v[124:125], v[124:125], v[136:137] neg_lo:[0,1] neg_hi:[0,1]
.LBB118_83:
	s_or_b32 exec_lo, exec_lo, s0
	v_lshl_add_u32 v126, v134, 3, v130
	s_barrier_signal -1
	s_barrier_wait -1
	ds_store_b64 v126, v[114:115]
	s_wait_dscnt 0x0
	s_barrier_signal -1
	s_barrier_wait -1
	ds_load_b64 v[128:129], v130 offset:32
	v_mov_b32_e32 v126, 4
	s_cmp_lt_i32 s18, 6
	s_cbranch_scc1 .LBB118_86
; %bb.84:
	v_add3_u32 v127, v131, 0, 40
	v_mov_b32_e32 v126, 4
	s_mov_b32 s0, 5
.LBB118_85:                             ; =>This Inner Loop Header: Depth=1
	ds_load_b64 v[136:137], v127
	s_wait_dscnt 0x1
	v_cmp_gt_f32_e32 vcc_lo, 0, v128
	v_cndmask_b32_e64 v138, v128, -v128, vcc_lo
	v_cmp_gt_f32_e32 vcc_lo, 0, v129
	v_cndmask_b32_e64 v140, v129, -v129, vcc_lo
	s_wait_dscnt 0x0
	v_cmp_gt_f32_e32 vcc_lo, 0, v136
	v_cndmask_b32_e64 v139, v136, -v136, vcc_lo
	v_cmp_gt_f32_e32 vcc_lo, 0, v137
	v_cndmask_b32_e64 v141, v137, -v137, vcc_lo
	s_delay_alu instid0(VALU_DEP_1) | instskip(NEXT) | instid1(VALU_DEP_1)
	v_pk_add_f32 v[138:139], v[138:139], v[140:141]
	v_cmp_lt_f32_e32 vcc_lo, v138, v139
	v_dual_add_nc_u32 v127, 8, v127 :: v_dual_cndmask_b32 v129, v129, v137, vcc_lo
	v_cndmask_b32_e32 v128, v128, v136, vcc_lo
	v_cndmask_b32_e64 v126, v126, s0, vcc_lo
	s_add_co_i32 s0, s0, 1
	s_delay_alu instid0(SALU_CYCLE_1)
	s_cmp_lg_u32 s18, s0
	s_cbranch_scc1 .LBB118_85
.LBB118_86:
	s_wait_dscnt 0x0
	v_cmp_eq_f32_e32 vcc_lo, 0, v128
	v_cmp_eq_f32_e64 s0, 0, v129
	s_and_b32 s0, vcc_lo, s0
	s_delay_alu instid0(SALU_CYCLE_1) | instskip(NEXT) | instid1(SALU_CYCLE_1)
	s_and_saveexec_b32 s1, s0
	s_xor_b32 s0, exec_lo, s1
; %bb.87:
	v_cmp_ne_u32_e32 vcc_lo, 0, v132
	v_cndmask_b32_e32 v132, 5, v132, vcc_lo
; %bb.88:
	s_and_not1_saveexec_b32 s0, s0
	s_cbranch_execz .LBB118_94
; %bb.89:
	v_cmp_ngt_f32_e64 s1, |v128|, |v129|
	s_and_saveexec_b32 s12, s1
	s_delay_alu instid0(SALU_CYCLE_1)
	s_xor_b32 s1, exec_lo, s12
	s_cbranch_execz .LBB118_91
; %bb.90:
	v_div_scale_f32 v127, null, v129, v129, v128
	v_div_scale_f32 v137, vcc_lo, v128, v129, v128
	s_delay_alu instid0(VALU_DEP_2) | instskip(SKIP_1) | instid1(TRANS32_DEP_1)
	v_rcp_f32_e32 v135, v127
	v_nop
	v_fma_f32 v136, -v127, v135, 1.0
	s_delay_alu instid0(VALU_DEP_1) | instskip(NEXT) | instid1(VALU_DEP_1)
	v_fmac_f32_e32 v135, v136, v135
	v_mul_f32_e32 v136, v137, v135
	s_delay_alu instid0(VALU_DEP_1) | instskip(NEXT) | instid1(VALU_DEP_1)
	v_fma_f32 v138, -v127, v136, v137
	v_fmac_f32_e32 v136, v138, v135
	s_delay_alu instid0(VALU_DEP_1) | instskip(NEXT) | instid1(VALU_DEP_1)
	v_fma_f32 v127, -v127, v136, v137
	v_div_fmas_f32 v127, v127, v135, v136
	s_delay_alu instid0(VALU_DEP_1) | instskip(NEXT) | instid1(VALU_DEP_1)
	v_div_fixup_f32 v127, v127, v129, v128
	v_fmac_f32_e32 v129, v128, v127
	s_delay_alu instid0(VALU_DEP_1) | instskip(SKIP_1) | instid1(VALU_DEP_2)
	v_div_scale_f32 v128, null, v129, v129, 1.0
	v_div_scale_f32 v137, vcc_lo, 1.0, v129, 1.0
	v_rcp_f32_e32 v135, v128
	v_nop
	s_delay_alu instid0(TRANS32_DEP_1) | instskip(NEXT) | instid1(VALU_DEP_1)
	v_fma_f32 v136, -v128, v135, 1.0
	v_fmac_f32_e32 v135, v136, v135
	s_delay_alu instid0(VALU_DEP_1) | instskip(NEXT) | instid1(VALU_DEP_1)
	v_mul_f32_e32 v136, v137, v135
	v_fma_f32 v138, -v128, v136, v137
	s_delay_alu instid0(VALU_DEP_1) | instskip(NEXT) | instid1(VALU_DEP_1)
	v_fmac_f32_e32 v136, v138, v135
	v_fma_f32 v128, -v128, v136, v137
	s_delay_alu instid0(VALU_DEP_1) | instskip(NEXT) | instid1(VALU_DEP_1)
	v_div_fmas_f32 v128, v128, v135, v136
	v_div_fixup_f32 v129, v128, v129, 1.0
	s_delay_alu instid0(VALU_DEP_1)
	v_mul_f32_e32 v128, v127, v129
	v_xor_b32_e32 v129, 0x80000000, v129
.LBB118_91:
	s_and_not1_saveexec_b32 s1, s1
	s_cbranch_execz .LBB118_93
; %bb.92:
	s_delay_alu instid0(VALU_DEP_1) | instskip(SKIP_1) | instid1(VALU_DEP_2)
	v_div_scale_f32 v127, null, v128, v128, v129
	v_div_scale_f32 v137, vcc_lo, v129, v128, v129
	v_rcp_f32_e32 v135, v127
	v_nop
	s_delay_alu instid0(TRANS32_DEP_1) | instskip(NEXT) | instid1(VALU_DEP_1)
	v_fma_f32 v136, -v127, v135, 1.0
	v_fmac_f32_e32 v135, v136, v135
	s_delay_alu instid0(VALU_DEP_1) | instskip(NEXT) | instid1(VALU_DEP_1)
	v_mul_f32_e32 v136, v137, v135
	v_fma_f32 v138, -v127, v136, v137
	s_delay_alu instid0(VALU_DEP_1) | instskip(NEXT) | instid1(VALU_DEP_1)
	v_fmac_f32_e32 v136, v138, v135
	v_fma_f32 v127, -v127, v136, v137
	s_delay_alu instid0(VALU_DEP_1) | instskip(NEXT) | instid1(VALU_DEP_1)
	v_div_fmas_f32 v127, v127, v135, v136
	v_div_fixup_f32 v127, v127, v128, v129
	s_delay_alu instid0(VALU_DEP_1) | instskip(NEXT) | instid1(VALU_DEP_1)
	v_fmac_f32_e32 v128, v129, v127
	v_div_scale_f32 v129, null, v128, v128, 1.0
	s_delay_alu instid0(VALU_DEP_1) | instskip(SKIP_1) | instid1(TRANS32_DEP_1)
	v_rcp_f32_e32 v135, v129
	v_nop
	v_fma_f32 v136, -v129, v135, 1.0
	s_delay_alu instid0(VALU_DEP_1) | instskip(SKIP_1) | instid1(VALU_DEP_1)
	v_fmac_f32_e32 v135, v136, v135
	v_div_scale_f32 v136, vcc_lo, 1.0, v128, 1.0
	v_mul_f32_e32 v137, v136, v135
	s_delay_alu instid0(VALU_DEP_1) | instskip(NEXT) | instid1(VALU_DEP_1)
	v_fma_f32 v138, -v129, v137, v136
	v_fmac_f32_e32 v137, v138, v135
	s_delay_alu instid0(VALU_DEP_1) | instskip(NEXT) | instid1(VALU_DEP_1)
	v_fma_f32 v129, -v129, v137, v136
	v_div_fmas_f32 v129, v129, v135, v137
	s_delay_alu instid0(VALU_DEP_1) | instskip(NEXT) | instid1(VALU_DEP_1)
	v_div_fixup_f32 v128, v129, v128, 1.0
	v_mul_f32_e64 v129, v127, -v128
.LBB118_93:
	s_or_b32 exec_lo, exec_lo, s1
.LBB118_94:
	s_delay_alu instid0(SALU_CYCLE_1) | instskip(NEXT) | instid1(SALU_CYCLE_1)
	s_or_b32 exec_lo, exec_lo, s0
	s_mov_b32 s0, exec_lo
	v_cmpx_ne_u32_e64 v134, v126
	s_xor_b32 s0, exec_lo, s0
	s_cbranch_execz .LBB118_100
; %bb.95:
	s_mov_b32 s1, exec_lo
	v_cmpx_eq_u32_e32 4, v134
	s_cbranch_execz .LBB118_99
; %bb.96:
	v_cmp_ne_u32_e32 vcc_lo, 4, v126
	s_xor_b32 s12, s16, -1
	s_delay_alu instid0(SALU_CYCLE_1) | instskip(NEXT) | instid1(SALU_CYCLE_1)
	s_and_b32 s13, s12, vcc_lo
	s_and_saveexec_b32 s12, s13
	s_cbranch_execz .LBB118_98
; %bb.97:
	v_ashrrev_i32_e32 v127, 31, v126
	s_delay_alu instid0(VALU_DEP_1)
	v_lshl_add_u64 v[134:135], v[126:127], 2, v[4:5]
	s_clause 0x1
	global_load_b32 v127, v[134:135], off
	global_load_b32 v133, v[4:5], off offset:16
	s_wait_loadcnt 0x1
	global_store_b32 v[4:5], v127, off offset:16
	s_wait_loadcnt 0x0
	global_store_b32 v[134:135], v133, off
.LBB118_98:
	s_wait_xcnt 0x0
	s_or_b32 exec_lo, exec_lo, s12
	v_dual_mov_b32 v134, v126 :: v_dual_mov_b32 v133, v126
.LBB118_99:
	s_or_b32 exec_lo, exec_lo, s1
.LBB118_100:
	s_and_not1_saveexec_b32 s0, s0
	s_cbranch_execz .LBB118_102
; %bb.101:
	v_mov_b32_e32 v134, 4
	ds_store_2addr_b64 v130, v[110:111], v[112:113] offset0:5 offset1:6
	ds_store_2addr_b64 v130, v[42:43], v[108:109] offset0:7 offset1:8
	;; [unrolled: 1-line block ×27, first 2 shown]
	ds_store_b64 v130, v[124:125] offset:472
.LBB118_102:
	s_or_b32 exec_lo, exec_lo, s0
	s_delay_alu instid0(SALU_CYCLE_1)
	s_mov_b32 s0, exec_lo
	s_wait_storecnt_dscnt 0x0
	s_barrier_signal -1
	s_barrier_wait -1
	v_cmpx_lt_i32_e32 4, v134
	s_cbranch_execz .LBB118_104
; %bb.103:
	v_pk_mul_f32 v[136:137], v[128:129], v[114:115] op_sel:[1,1] op_sel_hi:[0,1]
	s_delay_alu instid0(VALU_DEP_1)
	v_pk_fma_f32 v[126:127], v[128:129], v[114:115], v[136:137] op_sel_hi:[1,0,1] neg_lo:[0,0,1] neg_hi:[0,0,1]
	v_pk_fma_f32 v[128:129], v[128:129], v[114:115], v[136:137] op_sel_hi:[1,0,1]
	ds_load_2addr_b64 v[136:139], v130 offset0:5 offset1:6
	v_dual_mov_b32 v114, v126 :: v_dual_mov_b32 v115, v129
	s_wait_dscnt 0x0
	v_pk_mul_f32 v[140:141], v[136:137], v[128:129] op_sel:[0,1]
	s_delay_alu instid0(VALU_DEP_1) | instskip(SKIP_1) | instid1(VALU_DEP_1)
	v_pk_fma_f32 v[142:143], v[136:137], v[126:127], v[140:141] op_sel:[0,0,1] op_sel_hi:[1,1,0] neg_lo:[0,0,1] neg_hi:[0,0,1]
	v_pk_fma_f32 v[136:137], v[136:137], v[126:127], v[140:141] op_sel:[0,0,1] op_sel_hi:[1,0,0]
	v_mov_b32_e32 v143, v137
	v_pk_mul_f32 v[136:137], v[138:139], v[128:129] op_sel:[0,1]
	s_delay_alu instid0(VALU_DEP_1) | instskip(SKIP_1) | instid1(VALU_DEP_1)
	v_pk_fma_f32 v[140:141], v[138:139], v[126:127], v[136:137] op_sel:[0,0,1] op_sel_hi:[1,1,0] neg_lo:[0,0,1] neg_hi:[0,0,1]
	v_pk_fma_f32 v[136:137], v[138:139], v[126:127], v[136:137] op_sel:[0,0,1] op_sel_hi:[1,0,0]
	v_mov_b32_e32 v141, v137
	ds_load_2addr_b64 v[136:139], v130 offset0:7 offset1:8
	v_pk_add_f32 v[110:111], v[110:111], v[142:143] neg_lo:[0,1] neg_hi:[0,1]
	v_pk_add_f32 v[112:113], v[112:113], v[140:141] neg_lo:[0,1] neg_hi:[0,1]
	s_wait_dscnt 0x0
	v_pk_mul_f32 v[140:141], v[136:137], v[128:129] op_sel:[0,1]
	s_delay_alu instid0(VALU_DEP_1) | instskip(SKIP_2) | instid1(VALU_DEP_2)
	v_pk_fma_f32 v[142:143], v[136:137], v[126:127], v[140:141] op_sel:[0,0,1] op_sel_hi:[1,1,0] neg_lo:[0,0,1] neg_hi:[0,0,1]
	v_pk_fma_f32 v[136:137], v[136:137], v[126:127], v[140:141] op_sel:[0,0,1] op_sel_hi:[1,0,0]
	v_dual_mul_f32 v140, v139, v129 :: v_dual_mov_b32 v136, v139
	v_dual_mov_b32 v143, v137 :: v_dual_mov_b32 v137, v138
	s_delay_alu instid0(VALU_DEP_2) | instskip(SKIP_1) | instid1(VALU_DEP_3)
	v_pk_fma_f32 v[140:141], v[138:139], v[114:115], v[140:141] op_sel_hi:[1,1,0] neg_lo:[0,0,1] neg_hi:[0,0,1]
	v_mul_f32_e32 v138, v139, v126
	v_pk_add_f32 v[42:43], v[42:43], v[142:143] neg_lo:[0,1] neg_hi:[0,1]
	s_delay_alu instid0(VALU_DEP_2) | instskip(NEXT) | instid1(VALU_DEP_1)
	v_pk_fma_f32 v[136:137], v[136:137], v[114:115], v[138:139] op_sel_hi:[1,1,0]
	v_mov_b32_e32 v141, v137
	ds_load_2addr_b64 v[136:139], v130 offset0:9 offset1:10
	v_pk_add_f32 v[108:109], v[108:109], v[140:141] neg_lo:[0,1] neg_hi:[0,1]
	s_wait_dscnt 0x0
	v_pk_mul_f32 v[140:141], v[136:137], v[128:129] op_sel:[0,1]
	s_delay_alu instid0(VALU_DEP_1) | instskip(SKIP_1) | instid1(VALU_DEP_1)
	v_pk_fma_f32 v[142:143], v[136:137], v[126:127], v[140:141] op_sel:[0,0,1] op_sel_hi:[1,1,0] neg_lo:[0,0,1] neg_hi:[0,0,1]
	v_pk_fma_f32 v[136:137], v[136:137], v[126:127], v[140:141] op_sel:[0,0,1] op_sel_hi:[1,0,0]
	v_mov_b32_e32 v143, v137
	v_pk_mul_f32 v[136:137], v[138:139], v[128:129] op_sel:[0,1]
	s_delay_alu instid0(VALU_DEP_1) | instskip(SKIP_1) | instid1(VALU_DEP_1)
	v_pk_fma_f32 v[140:141], v[138:139], v[126:127], v[136:137] op_sel:[0,0,1] op_sel_hi:[1,1,0] neg_lo:[0,0,1] neg_hi:[0,0,1]
	v_pk_fma_f32 v[136:137], v[138:139], v[126:127], v[136:137] op_sel:[0,0,1] op_sel_hi:[1,0,0]
	v_mov_b32_e32 v141, v137
	ds_load_2addr_b64 v[136:139], v130 offset0:11 offset1:12
	v_pk_add_f32 v[104:105], v[104:105], v[142:143] neg_lo:[0,1] neg_hi:[0,1]
	v_pk_add_f32 v[106:107], v[106:107], v[140:141] neg_lo:[0,1] neg_hi:[0,1]
	s_wait_dscnt 0x0
	v_pk_mul_f32 v[140:141], v[136:137], v[128:129] op_sel:[0,1]
	s_delay_alu instid0(VALU_DEP_1) | instskip(SKIP_1) | instid1(VALU_DEP_1)
	v_pk_fma_f32 v[142:143], v[136:137], v[126:127], v[140:141] op_sel:[0,0,1] op_sel_hi:[1,1,0] neg_lo:[0,0,1] neg_hi:[0,0,1]
	v_pk_fma_f32 v[136:137], v[136:137], v[126:127], v[140:141] op_sel:[0,0,1] op_sel_hi:[1,0,0]
	v_mov_b32_e32 v143, v137
	v_pk_mul_f32 v[136:137], v[138:139], v[128:129] op_sel:[0,1]
	s_delay_alu instid0(VALU_DEP_1) | instskip(SKIP_1) | instid1(VALU_DEP_1)
	v_pk_fma_f32 v[140:141], v[138:139], v[126:127], v[136:137] op_sel:[0,0,1] op_sel_hi:[1,1,0] neg_lo:[0,0,1] neg_hi:[0,0,1]
	v_pk_fma_f32 v[136:137], v[138:139], v[126:127], v[136:137] op_sel:[0,0,1] op_sel_hi:[1,0,0]
	v_mov_b32_e32 v141, v137
	ds_load_2addr_b64 v[136:139], v130 offset0:13 offset1:14
	v_pk_add_f32 v[40:41], v[40:41], v[142:143] neg_lo:[0,1] neg_hi:[0,1]
	v_pk_add_f32 v[102:103], v[102:103], v[140:141] neg_lo:[0,1] neg_hi:[0,1]
	s_wait_dscnt 0x0
	v_dual_mul_f32 v140, v137, v129 :: v_dual_mul_f32 v142, v137, v126
	s_delay_alu instid0(VALU_DEP_1) | instskip(NEXT) | instid1(VALU_DEP_2)
	v_pk_fma_f32 v[140:141], v[136:137], v[114:115], v[140:141] op_sel_hi:[1,1,0] neg_lo:[0,0,1] neg_hi:[0,0,1]
	v_pk_fma_f32 v[136:137], v[136:137], v[114:115], v[142:143] op_sel:[1,0,0] op_sel_hi:[0,1,0]
	s_delay_alu instid0(VALU_DEP_1) | instskip(SKIP_1) | instid1(VALU_DEP_2)
	v_mov_b32_e32 v141, v137
	v_pk_mul_f32 v[136:137], v[138:139], v[128:129] op_sel:[0,1]
	v_pk_add_f32 v[98:99], v[98:99], v[140:141] neg_lo:[0,1] neg_hi:[0,1]
	s_delay_alu instid0(VALU_DEP_2) | instskip(SKIP_1) | instid1(VALU_DEP_1)
	v_pk_fma_f32 v[140:141], v[138:139], v[126:127], v[136:137] op_sel:[0,0,1] op_sel_hi:[1,1,0] neg_lo:[0,0,1] neg_hi:[0,0,1]
	v_pk_fma_f32 v[136:137], v[138:139], v[126:127], v[136:137] op_sel:[0,0,1] op_sel_hi:[1,0,0]
	v_mov_b32_e32 v141, v137
	ds_load_2addr_b64 v[136:139], v130 offset0:15 offset1:16
	v_pk_add_f32 v[100:101], v[100:101], v[140:141] neg_lo:[0,1] neg_hi:[0,1]
	s_wait_dscnt 0x0
	v_pk_mul_f32 v[140:141], v[136:137], v[128:129] op_sel:[0,1]
	s_delay_alu instid0(VALU_DEP_1) | instskip(SKIP_1) | instid1(VALU_DEP_1)
	v_pk_fma_f32 v[142:143], v[136:137], v[126:127], v[140:141] op_sel:[0,0,1] op_sel_hi:[1,1,0] neg_lo:[0,0,1] neg_hi:[0,0,1]
	v_pk_fma_f32 v[136:137], v[136:137], v[126:127], v[140:141] op_sel:[0,0,1] op_sel_hi:[1,0,0]
	v_mov_b32_e32 v143, v137
	v_pk_mul_f32 v[136:137], v[138:139], v[128:129] op_sel:[0,1]
	s_delay_alu instid0(VALU_DEP_2) | instskip(NEXT) | instid1(VALU_DEP_2)
	v_pk_add_f32 v[38:39], v[38:39], v[142:143] neg_lo:[0,1] neg_hi:[0,1]
	v_pk_fma_f32 v[140:141], v[138:139], v[126:127], v[136:137] op_sel:[0,0,1] op_sel_hi:[1,1,0] neg_lo:[0,0,1] neg_hi:[0,0,1]
	v_pk_fma_f32 v[136:137], v[138:139], v[126:127], v[136:137] op_sel:[0,0,1] op_sel_hi:[1,0,0]
	s_delay_alu instid0(VALU_DEP_1) | instskip(SKIP_4) | instid1(VALU_DEP_1)
	v_mov_b32_e32 v141, v137
	ds_load_2addr_b64 v[136:139], v130 offset0:17 offset1:18
	v_pk_add_f32 v[96:97], v[96:97], v[140:141] neg_lo:[0,1] neg_hi:[0,1]
	s_wait_dscnt 0x0
	v_pk_mul_f32 v[140:141], v[136:137], v[128:129] op_sel:[0,1]
	v_pk_fma_f32 v[142:143], v[136:137], v[126:127], v[140:141] op_sel:[0,0,1] op_sel_hi:[1,1,0] neg_lo:[0,0,1] neg_hi:[0,0,1]
	v_pk_fma_f32 v[136:137], v[136:137], v[126:127], v[140:141] op_sel:[0,0,1] op_sel_hi:[1,0,0]
	v_dual_mul_f32 v140, v139, v129 :: v_dual_mov_b32 v136, v139
	s_delay_alu instid0(VALU_DEP_2) | instskip(NEXT) | instid1(VALU_DEP_2)
	v_dual_mov_b32 v143, v137 :: v_dual_mov_b32 v137, v138
	v_pk_fma_f32 v[140:141], v[138:139], v[114:115], v[140:141] op_sel_hi:[1,1,0] neg_lo:[0,0,1] neg_hi:[0,0,1]
	v_mul_f32_e32 v138, v139, v126
	s_delay_alu instid0(VALU_DEP_3) | instskip(NEXT) | instid1(VALU_DEP_2)
	v_pk_add_f32 v[92:93], v[92:93], v[142:143] neg_lo:[0,1] neg_hi:[0,1]
	v_pk_fma_f32 v[136:137], v[136:137], v[114:115], v[138:139] op_sel_hi:[1,1,0]
	s_delay_alu instid0(VALU_DEP_1) | instskip(SKIP_4) | instid1(VALU_DEP_1)
	v_mov_b32_e32 v141, v137
	ds_load_2addr_b64 v[136:139], v130 offset0:19 offset1:20
	v_pk_add_f32 v[94:95], v[94:95], v[140:141] neg_lo:[0,1] neg_hi:[0,1]
	s_wait_dscnt 0x0
	v_pk_mul_f32 v[140:141], v[136:137], v[128:129] op_sel:[0,1]
	v_pk_fma_f32 v[142:143], v[136:137], v[126:127], v[140:141] op_sel:[0,0,1] op_sel_hi:[1,1,0] neg_lo:[0,0,1] neg_hi:[0,0,1]
	v_pk_fma_f32 v[136:137], v[136:137], v[126:127], v[140:141] op_sel:[0,0,1] op_sel_hi:[1,0,0]
	s_delay_alu instid0(VALU_DEP_1) | instskip(SKIP_1) | instid1(VALU_DEP_1)
	v_mov_b32_e32 v143, v137
	v_pk_mul_f32 v[136:137], v[138:139], v[128:129] op_sel:[0,1]
	v_pk_fma_f32 v[140:141], v[138:139], v[126:127], v[136:137] op_sel:[0,0,1] op_sel_hi:[1,1,0] neg_lo:[0,0,1] neg_hi:[0,0,1]
	v_pk_fma_f32 v[136:137], v[138:139], v[126:127], v[136:137] op_sel:[0,0,1] op_sel_hi:[1,0,0]
	s_delay_alu instid0(VALU_DEP_1)
	v_mov_b32_e32 v141, v137
	ds_load_2addr_b64 v[136:139], v130 offset0:21 offset1:22
	v_pk_add_f32 v[36:37], v[36:37], v[142:143] neg_lo:[0,1] neg_hi:[0,1]
	v_pk_add_f32 v[90:91], v[90:91], v[140:141] neg_lo:[0,1] neg_hi:[0,1]
	s_wait_dscnt 0x0
	v_pk_mul_f32 v[140:141], v[136:137], v[128:129] op_sel:[0,1]
	s_delay_alu instid0(VALU_DEP_1) | instskip(SKIP_1) | instid1(VALU_DEP_1)
	v_pk_fma_f32 v[142:143], v[136:137], v[126:127], v[140:141] op_sel:[0,0,1] op_sel_hi:[1,1,0] neg_lo:[0,0,1] neg_hi:[0,0,1]
	v_pk_fma_f32 v[136:137], v[136:137], v[126:127], v[140:141] op_sel:[0,0,1] op_sel_hi:[1,0,0]
	v_mov_b32_e32 v143, v137
	v_pk_mul_f32 v[136:137], v[138:139], v[128:129] op_sel:[0,1]
	s_delay_alu instid0(VALU_DEP_1) | instskip(SKIP_1) | instid1(VALU_DEP_1)
	v_pk_fma_f32 v[140:141], v[138:139], v[126:127], v[136:137] op_sel:[0,0,1] op_sel_hi:[1,1,0] neg_lo:[0,0,1] neg_hi:[0,0,1]
	v_pk_fma_f32 v[136:137], v[138:139], v[126:127], v[136:137] op_sel:[0,0,1] op_sel_hi:[1,0,0]
	v_mov_b32_e32 v141, v137
	ds_load_2addr_b64 v[136:139], v130 offset0:23 offset1:24
	v_pk_add_f32 v[86:87], v[86:87], v[142:143] neg_lo:[0,1] neg_hi:[0,1]
	v_pk_add_f32 v[88:89], v[88:89], v[140:141] neg_lo:[0,1] neg_hi:[0,1]
	s_wait_dscnt 0x0
	v_dual_mul_f32 v140, v137, v129 :: v_dual_mul_f32 v142, v137, v126
	s_delay_alu instid0(VALU_DEP_1) | instskip(NEXT) | instid1(VALU_DEP_2)
	v_pk_fma_f32 v[140:141], v[136:137], v[114:115], v[140:141] op_sel_hi:[1,1,0] neg_lo:[0,0,1] neg_hi:[0,0,1]
	v_pk_fma_f32 v[136:137], v[136:137], v[114:115], v[142:143] op_sel:[1,0,0] op_sel_hi:[0,1,0]
	s_delay_alu instid0(VALU_DEP_1) | instskip(SKIP_1) | instid1(VALU_DEP_2)
	v_mov_b32_e32 v141, v137
	v_pk_mul_f32 v[136:137], v[138:139], v[128:129] op_sel:[0,1]
	v_pk_add_f32 v[30:31], v[30:31], v[140:141] neg_lo:[0,1] neg_hi:[0,1]
	s_delay_alu instid0(VALU_DEP_2) | instskip(SKIP_1) | instid1(VALU_DEP_1)
	v_pk_fma_f32 v[140:141], v[138:139], v[126:127], v[136:137] op_sel:[0,0,1] op_sel_hi:[1,1,0] neg_lo:[0,0,1] neg_hi:[0,0,1]
	v_pk_fma_f32 v[136:137], v[138:139], v[126:127], v[136:137] op_sel:[0,0,1] op_sel_hi:[1,0,0]
	v_mov_b32_e32 v141, v137
	ds_load_2addr_b64 v[136:139], v130 offset0:25 offset1:26
	v_pk_add_f32 v[84:85], v[84:85], v[140:141] neg_lo:[0,1] neg_hi:[0,1]
	s_wait_dscnt 0x0
	v_pk_mul_f32 v[140:141], v[136:137], v[128:129] op_sel:[0,1]
	s_delay_alu instid0(VALU_DEP_1) | instskip(SKIP_1) | instid1(VALU_DEP_1)
	v_pk_fma_f32 v[142:143], v[136:137], v[126:127], v[140:141] op_sel:[0,0,1] op_sel_hi:[1,1,0] neg_lo:[0,0,1] neg_hi:[0,0,1]
	v_pk_fma_f32 v[136:137], v[136:137], v[126:127], v[140:141] op_sel:[0,0,1] op_sel_hi:[1,0,0]
	v_mov_b32_e32 v143, v137
	v_pk_mul_f32 v[136:137], v[138:139], v[128:129] op_sel:[0,1]
	s_delay_alu instid0(VALU_DEP_2) | instskip(NEXT) | instid1(VALU_DEP_2)
	v_pk_add_f32 v[80:81], v[80:81], v[142:143] neg_lo:[0,1] neg_hi:[0,1]
	v_pk_fma_f32 v[140:141], v[138:139], v[126:127], v[136:137] op_sel:[0,0,1] op_sel_hi:[1,1,0] neg_lo:[0,0,1] neg_hi:[0,0,1]
	v_pk_fma_f32 v[136:137], v[138:139], v[126:127], v[136:137] op_sel:[0,0,1] op_sel_hi:[1,0,0]
	s_delay_alu instid0(VALU_DEP_1) | instskip(SKIP_4) | instid1(VALU_DEP_1)
	v_mov_b32_e32 v141, v137
	ds_load_2addr_b64 v[136:139], v130 offset0:27 offset1:28
	v_pk_add_f32 v[82:83], v[82:83], v[140:141] neg_lo:[0,1] neg_hi:[0,1]
	s_wait_dscnt 0x0
	v_pk_mul_f32 v[140:141], v[136:137], v[128:129] op_sel:[0,1]
	v_pk_fma_f32 v[142:143], v[136:137], v[126:127], v[140:141] op_sel:[0,0,1] op_sel_hi:[1,1,0] neg_lo:[0,0,1] neg_hi:[0,0,1]
	v_pk_fma_f32 v[136:137], v[136:137], v[126:127], v[140:141] op_sel:[0,0,1] op_sel_hi:[1,0,0]
	v_dual_mul_f32 v140, v139, v129 :: v_dual_mov_b32 v136, v139
	s_delay_alu instid0(VALU_DEP_2) | instskip(NEXT) | instid1(VALU_DEP_2)
	v_dual_mov_b32 v143, v137 :: v_dual_mov_b32 v137, v138
	v_pk_fma_f32 v[140:141], v[138:139], v[114:115], v[140:141] op_sel_hi:[1,1,0] neg_lo:[0,0,1] neg_hi:[0,0,1]
	v_mul_f32_e32 v138, v139, v126
	s_delay_alu instid0(VALU_DEP_3) | instskip(NEXT) | instid1(VALU_DEP_2)
	v_pk_add_f32 v[24:25], v[24:25], v[142:143] neg_lo:[0,1] neg_hi:[0,1]
	v_pk_fma_f32 v[136:137], v[136:137], v[114:115], v[138:139] op_sel_hi:[1,1,0]
	s_delay_alu instid0(VALU_DEP_1) | instskip(SKIP_4) | instid1(VALU_DEP_1)
	v_mov_b32_e32 v141, v137
	ds_load_2addr_b64 v[136:139], v130 offset0:29 offset1:30
	v_pk_add_f32 v[78:79], v[78:79], v[140:141] neg_lo:[0,1] neg_hi:[0,1]
	s_wait_dscnt 0x0
	v_pk_mul_f32 v[140:141], v[136:137], v[128:129] op_sel:[0,1]
	v_pk_fma_f32 v[142:143], v[136:137], v[126:127], v[140:141] op_sel:[0,0,1] op_sel_hi:[1,1,0] neg_lo:[0,0,1] neg_hi:[0,0,1]
	v_pk_fma_f32 v[136:137], v[136:137], v[126:127], v[140:141] op_sel:[0,0,1] op_sel_hi:[1,0,0]
	s_delay_alu instid0(VALU_DEP_1) | instskip(SKIP_1) | instid1(VALU_DEP_1)
	v_mov_b32_e32 v143, v137
	v_pk_mul_f32 v[136:137], v[138:139], v[128:129] op_sel:[0,1]
	v_pk_fma_f32 v[140:141], v[138:139], v[126:127], v[136:137] op_sel:[0,0,1] op_sel_hi:[1,1,0] neg_lo:[0,0,1] neg_hi:[0,0,1]
	v_pk_fma_f32 v[136:137], v[138:139], v[126:127], v[136:137] op_sel:[0,0,1] op_sel_hi:[1,0,0]
	s_delay_alu instid0(VALU_DEP_1)
	v_mov_b32_e32 v141, v137
	ds_load_2addr_b64 v[136:139], v130 offset0:31 offset1:32
	v_pk_add_f32 v[74:75], v[74:75], v[142:143] neg_lo:[0,1] neg_hi:[0,1]
	v_pk_add_f32 v[76:77], v[76:77], v[140:141] neg_lo:[0,1] neg_hi:[0,1]
	s_wait_dscnt 0x0
	v_pk_mul_f32 v[140:141], v[136:137], v[128:129] op_sel:[0,1]
	s_delay_alu instid0(VALU_DEP_1) | instskip(SKIP_1) | instid1(VALU_DEP_1)
	v_pk_fma_f32 v[142:143], v[136:137], v[126:127], v[140:141] op_sel:[0,0,1] op_sel_hi:[1,1,0] neg_lo:[0,0,1] neg_hi:[0,0,1]
	v_pk_fma_f32 v[136:137], v[136:137], v[126:127], v[140:141] op_sel:[0,0,1] op_sel_hi:[1,0,0]
	v_mov_b32_e32 v143, v137
	v_pk_mul_f32 v[136:137], v[138:139], v[128:129] op_sel:[0,1]
	s_delay_alu instid0(VALU_DEP_1) | instskip(SKIP_1) | instid1(VALU_DEP_1)
	v_pk_fma_f32 v[140:141], v[138:139], v[126:127], v[136:137] op_sel:[0,0,1] op_sel_hi:[1,1,0] neg_lo:[0,0,1] neg_hi:[0,0,1]
	v_pk_fma_f32 v[136:137], v[138:139], v[126:127], v[136:137] op_sel:[0,0,1] op_sel_hi:[1,0,0]
	v_mov_b32_e32 v141, v137
	ds_load_2addr_b64 v[136:139], v130 offset0:33 offset1:34
	v_pk_add_f32 v[22:23], v[22:23], v[142:143] neg_lo:[0,1] neg_hi:[0,1]
	v_pk_add_f32 v[72:73], v[72:73], v[140:141] neg_lo:[0,1] neg_hi:[0,1]
	s_wait_dscnt 0x0
	v_dual_mul_f32 v140, v137, v129 :: v_dual_mul_f32 v142, v137, v126
	s_delay_alu instid0(VALU_DEP_1) | instskip(NEXT) | instid1(VALU_DEP_2)
	v_pk_fma_f32 v[140:141], v[136:137], v[114:115], v[140:141] op_sel_hi:[1,1,0] neg_lo:[0,0,1] neg_hi:[0,0,1]
	v_pk_fma_f32 v[136:137], v[136:137], v[114:115], v[142:143] op_sel:[1,0,0] op_sel_hi:[0,1,0]
	s_delay_alu instid0(VALU_DEP_1) | instskip(SKIP_1) | instid1(VALU_DEP_2)
	v_mov_b32_e32 v141, v137
	v_pk_mul_f32 v[136:137], v[138:139], v[128:129] op_sel:[0,1]
	v_pk_add_f32 v[68:69], v[68:69], v[140:141] neg_lo:[0,1] neg_hi:[0,1]
	s_delay_alu instid0(VALU_DEP_2) | instskip(SKIP_1) | instid1(VALU_DEP_1)
	v_pk_fma_f32 v[140:141], v[138:139], v[126:127], v[136:137] op_sel:[0,0,1] op_sel_hi:[1,1,0] neg_lo:[0,0,1] neg_hi:[0,0,1]
	v_pk_fma_f32 v[136:137], v[138:139], v[126:127], v[136:137] op_sel:[0,0,1] op_sel_hi:[1,0,0]
	v_mov_b32_e32 v141, v137
	ds_load_2addr_b64 v[136:139], v130 offset0:35 offset1:36
	v_pk_add_f32 v[70:71], v[70:71], v[140:141] neg_lo:[0,1] neg_hi:[0,1]
	s_wait_dscnt 0x0
	v_pk_mul_f32 v[140:141], v[136:137], v[128:129] op_sel:[0,1]
	s_delay_alu instid0(VALU_DEP_1) | instskip(SKIP_1) | instid1(VALU_DEP_1)
	v_pk_fma_f32 v[142:143], v[136:137], v[126:127], v[140:141] op_sel:[0,0,1] op_sel_hi:[1,1,0] neg_lo:[0,0,1] neg_hi:[0,0,1]
	v_pk_fma_f32 v[136:137], v[136:137], v[126:127], v[140:141] op_sel:[0,0,1] op_sel_hi:[1,0,0]
	v_mov_b32_e32 v143, v137
	v_pk_mul_f32 v[136:137], v[138:139], v[128:129] op_sel:[0,1]
	s_delay_alu instid0(VALU_DEP_2) | instskip(NEXT) | instid1(VALU_DEP_2)
	v_pk_add_f32 v[20:21], v[20:21], v[142:143] neg_lo:[0,1] neg_hi:[0,1]
	v_pk_fma_f32 v[140:141], v[138:139], v[126:127], v[136:137] op_sel:[0,0,1] op_sel_hi:[1,1,0] neg_lo:[0,0,1] neg_hi:[0,0,1]
	v_pk_fma_f32 v[136:137], v[138:139], v[126:127], v[136:137] op_sel:[0,0,1] op_sel_hi:[1,0,0]
	s_delay_alu instid0(VALU_DEP_1) | instskip(SKIP_4) | instid1(VALU_DEP_1)
	v_mov_b32_e32 v141, v137
	ds_load_2addr_b64 v[136:139], v130 offset0:37 offset1:38
	v_pk_add_f32 v[66:67], v[66:67], v[140:141] neg_lo:[0,1] neg_hi:[0,1]
	s_wait_dscnt 0x0
	v_pk_mul_f32 v[140:141], v[136:137], v[128:129] op_sel:[0,1]
	v_pk_fma_f32 v[142:143], v[136:137], v[126:127], v[140:141] op_sel:[0,0,1] op_sel_hi:[1,1,0] neg_lo:[0,0,1] neg_hi:[0,0,1]
	v_pk_fma_f32 v[136:137], v[136:137], v[126:127], v[140:141] op_sel:[0,0,1] op_sel_hi:[1,0,0]
	v_dual_mul_f32 v140, v139, v129 :: v_dual_mov_b32 v136, v139
	s_delay_alu instid0(VALU_DEP_2) | instskip(NEXT) | instid1(VALU_DEP_2)
	v_dual_mov_b32 v143, v137 :: v_dual_mov_b32 v137, v138
	v_pk_fma_f32 v[140:141], v[138:139], v[114:115], v[140:141] op_sel_hi:[1,1,0] neg_lo:[0,0,1] neg_hi:[0,0,1]
	v_mul_f32_e32 v138, v139, v126
	s_delay_alu instid0(VALU_DEP_3) | instskip(NEXT) | instid1(VALU_DEP_2)
	v_pk_add_f32 v[62:63], v[62:63], v[142:143] neg_lo:[0,1] neg_hi:[0,1]
	v_pk_fma_f32 v[136:137], v[136:137], v[114:115], v[138:139] op_sel_hi:[1,1,0]
	s_delay_alu instid0(VALU_DEP_1) | instskip(SKIP_4) | instid1(VALU_DEP_1)
	v_mov_b32_e32 v141, v137
	ds_load_2addr_b64 v[136:139], v130 offset0:39 offset1:40
	v_pk_add_f32 v[64:65], v[64:65], v[140:141] neg_lo:[0,1] neg_hi:[0,1]
	s_wait_dscnt 0x0
	v_pk_mul_f32 v[140:141], v[136:137], v[128:129] op_sel:[0,1]
	v_pk_fma_f32 v[142:143], v[136:137], v[126:127], v[140:141] op_sel:[0,0,1] op_sel_hi:[1,1,0] neg_lo:[0,0,1] neg_hi:[0,0,1]
	v_pk_fma_f32 v[136:137], v[136:137], v[126:127], v[140:141] op_sel:[0,0,1] op_sel_hi:[1,0,0]
	s_delay_alu instid0(VALU_DEP_1) | instskip(SKIP_1) | instid1(VALU_DEP_1)
	v_mov_b32_e32 v143, v137
	v_pk_mul_f32 v[136:137], v[138:139], v[128:129] op_sel:[0,1]
	v_pk_fma_f32 v[140:141], v[138:139], v[126:127], v[136:137] op_sel:[0,0,1] op_sel_hi:[1,1,0] neg_lo:[0,0,1] neg_hi:[0,0,1]
	v_pk_fma_f32 v[136:137], v[138:139], v[126:127], v[136:137] op_sel:[0,0,1] op_sel_hi:[1,0,0]
	s_delay_alu instid0(VALU_DEP_1)
	v_mov_b32_e32 v141, v137
	ds_load_2addr_b64 v[136:139], v130 offset0:41 offset1:42
	v_pk_add_f32 v[18:19], v[18:19], v[142:143] neg_lo:[0,1] neg_hi:[0,1]
	v_pk_add_f32 v[60:61], v[60:61], v[140:141] neg_lo:[0,1] neg_hi:[0,1]
	s_wait_dscnt 0x0
	v_pk_mul_f32 v[140:141], v[136:137], v[128:129] op_sel:[0,1]
	s_delay_alu instid0(VALU_DEP_1) | instskip(SKIP_1) | instid1(VALU_DEP_1)
	v_pk_fma_f32 v[142:143], v[136:137], v[126:127], v[140:141] op_sel:[0,0,1] op_sel_hi:[1,1,0] neg_lo:[0,0,1] neg_hi:[0,0,1]
	v_pk_fma_f32 v[136:137], v[136:137], v[126:127], v[140:141] op_sel:[0,0,1] op_sel_hi:[1,0,0]
	v_mov_b32_e32 v143, v137
	v_pk_mul_f32 v[136:137], v[138:139], v[128:129] op_sel:[0,1]
	s_delay_alu instid0(VALU_DEP_1) | instskip(SKIP_1) | instid1(VALU_DEP_1)
	v_pk_fma_f32 v[140:141], v[138:139], v[126:127], v[136:137] op_sel:[0,0,1] op_sel_hi:[1,1,0] neg_lo:[0,0,1] neg_hi:[0,0,1]
	v_pk_fma_f32 v[136:137], v[138:139], v[126:127], v[136:137] op_sel:[0,0,1] op_sel_hi:[1,0,0]
	v_mov_b32_e32 v141, v137
	ds_load_2addr_b64 v[136:139], v130 offset0:43 offset1:44
	v_pk_add_f32 v[56:57], v[56:57], v[142:143] neg_lo:[0,1] neg_hi:[0,1]
	v_pk_add_f32 v[58:59], v[58:59], v[140:141] neg_lo:[0,1] neg_hi:[0,1]
	s_wait_dscnt 0x0
	v_dual_mul_f32 v140, v137, v129 :: v_dual_mul_f32 v142, v137, v126
	s_delay_alu instid0(VALU_DEP_1) | instskip(NEXT) | instid1(VALU_DEP_2)
	v_pk_fma_f32 v[140:141], v[136:137], v[114:115], v[140:141] op_sel_hi:[1,1,0] neg_lo:[0,0,1] neg_hi:[0,0,1]
	v_pk_fma_f32 v[136:137], v[136:137], v[114:115], v[142:143] op_sel:[1,0,0] op_sel_hi:[0,1,0]
	s_delay_alu instid0(VALU_DEP_1) | instskip(SKIP_1) | instid1(VALU_DEP_2)
	v_mov_b32_e32 v141, v137
	v_pk_mul_f32 v[136:137], v[138:139], v[128:129] op_sel:[0,1]
	v_pk_add_f32 v[12:13], v[12:13], v[140:141] neg_lo:[0,1] neg_hi:[0,1]
	s_delay_alu instid0(VALU_DEP_2) | instskip(SKIP_1) | instid1(VALU_DEP_1)
	v_pk_fma_f32 v[140:141], v[138:139], v[126:127], v[136:137] op_sel:[0,0,1] op_sel_hi:[1,1,0] neg_lo:[0,0,1] neg_hi:[0,0,1]
	v_pk_fma_f32 v[136:137], v[138:139], v[126:127], v[136:137] op_sel:[0,0,1] op_sel_hi:[1,0,0]
	v_mov_b32_e32 v141, v137
	ds_load_2addr_b64 v[136:139], v130 offset0:45 offset1:46
	v_pk_add_f32 v[54:55], v[54:55], v[140:141] neg_lo:[0,1] neg_hi:[0,1]
	s_wait_dscnt 0x0
	v_pk_mul_f32 v[140:141], v[136:137], v[128:129] op_sel:[0,1]
	s_delay_alu instid0(VALU_DEP_1) | instskip(SKIP_1) | instid1(VALU_DEP_1)
	v_pk_fma_f32 v[142:143], v[136:137], v[126:127], v[140:141] op_sel:[0,0,1] op_sel_hi:[1,1,0] neg_lo:[0,0,1] neg_hi:[0,0,1]
	v_pk_fma_f32 v[136:137], v[136:137], v[126:127], v[140:141] op_sel:[0,0,1] op_sel_hi:[1,0,0]
	v_mov_b32_e32 v143, v137
	v_pk_mul_f32 v[136:137], v[138:139], v[128:129] op_sel:[0,1]
	s_delay_alu instid0(VALU_DEP_2) | instskip(NEXT) | instid1(VALU_DEP_2)
	v_pk_add_f32 v[50:51], v[50:51], v[142:143] neg_lo:[0,1] neg_hi:[0,1]
	v_pk_fma_f32 v[140:141], v[138:139], v[126:127], v[136:137] op_sel:[0,0,1] op_sel_hi:[1,1,0] neg_lo:[0,0,1] neg_hi:[0,0,1]
	v_pk_fma_f32 v[136:137], v[138:139], v[126:127], v[136:137] op_sel:[0,0,1] op_sel_hi:[1,0,0]
	s_delay_alu instid0(VALU_DEP_1) | instskip(SKIP_4) | instid1(VALU_DEP_1)
	v_mov_b32_e32 v141, v137
	ds_load_2addr_b64 v[136:139], v130 offset0:47 offset1:48
	v_pk_add_f32 v[52:53], v[52:53], v[140:141] neg_lo:[0,1] neg_hi:[0,1]
	s_wait_dscnt 0x0
	v_pk_mul_f32 v[140:141], v[136:137], v[128:129] op_sel:[0,1]
	v_pk_fma_f32 v[142:143], v[136:137], v[126:127], v[140:141] op_sel:[0,0,1] op_sel_hi:[1,1,0] neg_lo:[0,0,1] neg_hi:[0,0,1]
	v_pk_fma_f32 v[136:137], v[136:137], v[126:127], v[140:141] op_sel:[0,0,1] op_sel_hi:[1,0,0]
	v_dual_mul_f32 v140, v139, v129 :: v_dual_mov_b32 v136, v139
	s_delay_alu instid0(VALU_DEP_2) | instskip(NEXT) | instid1(VALU_DEP_2)
	v_dual_mov_b32 v143, v137 :: v_dual_mov_b32 v137, v138
	v_pk_fma_f32 v[140:141], v[138:139], v[114:115], v[140:141] op_sel_hi:[1,1,0] neg_lo:[0,0,1] neg_hi:[0,0,1]
	v_mul_f32_e32 v138, v139, v126
	s_delay_alu instid0(VALU_DEP_3) | instskip(NEXT) | instid1(VALU_DEP_2)
	v_pk_add_f32 v[10:11], v[10:11], v[142:143] neg_lo:[0,1] neg_hi:[0,1]
	v_pk_fma_f32 v[136:137], v[136:137], v[114:115], v[138:139] op_sel_hi:[1,1,0]
	s_delay_alu instid0(VALU_DEP_1) | instskip(SKIP_4) | instid1(VALU_DEP_1)
	v_mov_b32_e32 v141, v137
	ds_load_2addr_b64 v[136:139], v130 offset0:49 offset1:50
	v_pk_add_f32 v[46:47], v[46:47], v[140:141] neg_lo:[0,1] neg_hi:[0,1]
	s_wait_dscnt 0x0
	v_pk_mul_f32 v[140:141], v[136:137], v[128:129] op_sel:[0,1]
	v_pk_fma_f32 v[142:143], v[136:137], v[126:127], v[140:141] op_sel:[0,0,1] op_sel_hi:[1,1,0] neg_lo:[0,0,1] neg_hi:[0,0,1]
	v_pk_fma_f32 v[136:137], v[136:137], v[126:127], v[140:141] op_sel:[0,0,1] op_sel_hi:[1,0,0]
	s_delay_alu instid0(VALU_DEP_1) | instskip(SKIP_1) | instid1(VALU_DEP_1)
	v_mov_b32_e32 v143, v137
	v_pk_mul_f32 v[136:137], v[138:139], v[128:129] op_sel:[0,1]
	v_pk_fma_f32 v[140:141], v[138:139], v[126:127], v[136:137] op_sel:[0,0,1] op_sel_hi:[1,1,0] neg_lo:[0,0,1] neg_hi:[0,0,1]
	v_pk_fma_f32 v[136:137], v[138:139], v[126:127], v[136:137] op_sel:[0,0,1] op_sel_hi:[1,0,0]
	s_delay_alu instid0(VALU_DEP_1)
	v_mov_b32_e32 v141, v137
	ds_load_2addr_b64 v[136:139], v130 offset0:51 offset1:52
	v_pk_add_f32 v[44:45], v[44:45], v[142:143] neg_lo:[0,1] neg_hi:[0,1]
	v_pk_add_f32 v[48:49], v[48:49], v[140:141] neg_lo:[0,1] neg_hi:[0,1]
	s_wait_dscnt 0x0
	v_pk_mul_f32 v[140:141], v[136:137], v[128:129] op_sel:[0,1]
	s_delay_alu instid0(VALU_DEP_1) | instskip(SKIP_1) | instid1(VALU_DEP_1)
	v_pk_fma_f32 v[142:143], v[136:137], v[126:127], v[140:141] op_sel:[0,0,1] op_sel_hi:[1,1,0] neg_lo:[0,0,1] neg_hi:[0,0,1]
	v_pk_fma_f32 v[136:137], v[136:137], v[126:127], v[140:141] op_sel:[0,0,1] op_sel_hi:[1,0,0]
	v_mov_b32_e32 v143, v137
	v_pk_mul_f32 v[136:137], v[138:139], v[128:129] op_sel:[0,1]
	s_delay_alu instid0(VALU_DEP_1) | instskip(SKIP_1) | instid1(VALU_DEP_1)
	v_pk_fma_f32 v[140:141], v[138:139], v[126:127], v[136:137] op_sel:[0,0,1] op_sel_hi:[1,1,0] neg_lo:[0,0,1] neg_hi:[0,0,1]
	v_pk_fma_f32 v[136:137], v[138:139], v[126:127], v[136:137] op_sel:[0,0,1] op_sel_hi:[1,0,0]
	v_mov_b32_e32 v141, v137
	ds_load_2addr_b64 v[136:139], v130 offset0:53 offset1:54
	v_pk_add_f32 v[8:9], v[8:9], v[142:143] neg_lo:[0,1] neg_hi:[0,1]
	v_pk_add_f32 v[34:35], v[34:35], v[140:141] neg_lo:[0,1] neg_hi:[0,1]
	s_wait_dscnt 0x0
	v_dual_mul_f32 v140, v137, v129 :: v_dual_mul_f32 v142, v137, v126
	s_delay_alu instid0(VALU_DEP_1) | instskip(NEXT) | instid1(VALU_DEP_2)
	v_pk_fma_f32 v[140:141], v[136:137], v[114:115], v[140:141] op_sel_hi:[1,1,0] neg_lo:[0,0,1] neg_hi:[0,0,1]
	v_pk_fma_f32 v[136:137], v[136:137], v[114:115], v[142:143] op_sel:[1,0,0] op_sel_hi:[0,1,0]
	s_delay_alu instid0(VALU_DEP_1) | instskip(SKIP_1) | instid1(VALU_DEP_2)
	v_mov_b32_e32 v141, v137
	v_pk_mul_f32 v[136:137], v[138:139], v[128:129] op_sel:[0,1]
	v_pk_add_f32 v[28:29], v[28:29], v[140:141] neg_lo:[0,1] neg_hi:[0,1]
	s_delay_alu instid0(VALU_DEP_2) | instskip(SKIP_1) | instid1(VALU_DEP_1)
	v_pk_fma_f32 v[140:141], v[138:139], v[126:127], v[136:137] op_sel:[0,0,1] op_sel_hi:[1,1,0] neg_lo:[0,0,1] neg_hi:[0,0,1]
	v_pk_fma_f32 v[136:137], v[138:139], v[126:127], v[136:137] op_sel:[0,0,1] op_sel_hi:[1,0,0]
	v_mov_b32_e32 v141, v137
	ds_load_2addr_b64 v[136:139], v130 offset0:55 offset1:56
	v_pk_add_f32 v[32:33], v[32:33], v[140:141] neg_lo:[0,1] neg_hi:[0,1]
	s_wait_dscnt 0x0
	v_pk_mul_f32 v[140:141], v[136:137], v[128:129] op_sel:[0,1]
	s_delay_alu instid0(VALU_DEP_1) | instskip(SKIP_1) | instid1(VALU_DEP_1)
	v_pk_fma_f32 v[142:143], v[136:137], v[126:127], v[140:141] op_sel:[0,0,1] op_sel_hi:[1,1,0] neg_lo:[0,0,1] neg_hi:[0,0,1]
	v_pk_fma_f32 v[136:137], v[136:137], v[126:127], v[140:141] op_sel:[0,0,1] op_sel_hi:[1,0,0]
	v_mov_b32_e32 v143, v137
	v_pk_mul_f32 v[136:137], v[138:139], v[128:129] op_sel:[0,1]
	s_delay_alu instid0(VALU_DEP_2) | instskip(NEXT) | instid1(VALU_DEP_2)
	v_pk_add_f32 v[6:7], v[6:7], v[142:143] neg_lo:[0,1] neg_hi:[0,1]
	v_pk_fma_f32 v[140:141], v[138:139], v[126:127], v[136:137] op_sel:[0,0,1] op_sel_hi:[1,1,0] neg_lo:[0,0,1] neg_hi:[0,0,1]
	v_pk_fma_f32 v[136:137], v[138:139], v[126:127], v[136:137] op_sel:[0,0,1] op_sel_hi:[1,0,0]
	s_delay_alu instid0(VALU_DEP_1) | instskip(SKIP_4) | instid1(VALU_DEP_1)
	v_mov_b32_e32 v141, v137
	ds_load_2addr_b64 v[136:139], v130 offset0:57 offset1:58
	v_pk_add_f32 v[26:27], v[26:27], v[140:141] neg_lo:[0,1] neg_hi:[0,1]
	s_wait_dscnt 0x0
	v_pk_mul_f32 v[140:141], v[136:137], v[128:129] op_sel:[0,1]
	v_pk_fma_f32 v[142:143], v[136:137], v[126:127], v[140:141] op_sel:[0,0,1] op_sel_hi:[1,1,0] neg_lo:[0,0,1] neg_hi:[0,0,1]
	v_pk_fma_f32 v[136:137], v[136:137], v[126:127], v[140:141] op_sel:[0,0,1] op_sel_hi:[1,0,0]
	v_dual_mul_f32 v140, v139, v129 :: v_dual_mov_b32 v136, v139
	s_delay_alu instid0(VALU_DEP_2) | instskip(NEXT) | instid1(VALU_DEP_2)
	v_dual_mov_b32 v143, v137 :: v_dual_mov_b32 v137, v138
	v_pk_fma_f32 v[140:141], v[138:139], v[114:115], v[140:141] op_sel_hi:[1,1,0] neg_lo:[0,0,1] neg_hi:[0,0,1]
	v_mul_f32_e32 v138, v139, v126
	s_delay_alu instid0(VALU_DEP_3) | instskip(NEXT) | instid1(VALU_DEP_2)
	v_pk_add_f32 v[16:17], v[16:17], v[142:143] neg_lo:[0,1] neg_hi:[0,1]
	v_pk_fma_f32 v[136:137], v[136:137], v[114:115], v[138:139] op_sel_hi:[1,1,0]
	s_delay_alu instid0(VALU_DEP_1) | instskip(SKIP_4) | instid1(VALU_DEP_1)
	v_mov_b32_e32 v141, v137
	ds_load_b64 v[136:137], v130 offset:472
	v_pk_add_f32 v[14:15], v[14:15], v[140:141] neg_lo:[0,1] neg_hi:[0,1]
	s_wait_dscnt 0x0
	v_pk_mul_f32 v[128:129], v[136:137], v[128:129] op_sel:[0,1]
	v_pk_fma_f32 v[138:139], v[136:137], v[126:127], v[128:129] op_sel:[0,0,1] op_sel_hi:[1,1,0] neg_lo:[0,0,1] neg_hi:[0,0,1]
	v_pk_fma_f32 v[126:127], v[136:137], v[126:127], v[128:129] op_sel:[0,0,1] op_sel_hi:[1,0,0]
	s_delay_alu instid0(VALU_DEP_1) | instskip(NEXT) | instid1(VALU_DEP_1)
	v_mov_b32_e32 v139, v127
	v_pk_add_f32 v[124:125], v[124:125], v[138:139] neg_lo:[0,1] neg_hi:[0,1]
.LBB118_104:
	s_or_b32 exec_lo, exec_lo, s0
	v_lshl_add_u32 v126, v134, 3, v130
	s_barrier_signal -1
	s_barrier_wait -1
	ds_store_b64 v126, v[110:111]
	s_wait_dscnt 0x0
	s_barrier_signal -1
	s_barrier_wait -1
	ds_load_b64 v[128:129], v130 offset:40
	v_mov_b32_e32 v126, 5
	s_cmp_lt_i32 s18, 7
	s_cbranch_scc1 .LBB118_107
; %bb.105:
	v_add3_u32 v127, v131, 0, 48
	v_mov_b32_e32 v126, 5
	s_mov_b32 s0, 6
.LBB118_106:                            ; =>This Inner Loop Header: Depth=1
	ds_load_b64 v[136:137], v127
	s_wait_dscnt 0x1
	v_cmp_gt_f32_e32 vcc_lo, 0, v128
	v_cndmask_b32_e64 v138, v128, -v128, vcc_lo
	v_cmp_gt_f32_e32 vcc_lo, 0, v129
	v_cndmask_b32_e64 v140, v129, -v129, vcc_lo
	s_wait_dscnt 0x0
	v_cmp_gt_f32_e32 vcc_lo, 0, v136
	v_cndmask_b32_e64 v139, v136, -v136, vcc_lo
	v_cmp_gt_f32_e32 vcc_lo, 0, v137
	v_cndmask_b32_e64 v141, v137, -v137, vcc_lo
	s_delay_alu instid0(VALU_DEP_1) | instskip(NEXT) | instid1(VALU_DEP_1)
	v_pk_add_f32 v[138:139], v[138:139], v[140:141]
	v_cmp_lt_f32_e32 vcc_lo, v138, v139
	v_dual_add_nc_u32 v127, 8, v127 :: v_dual_cndmask_b32 v129, v129, v137, vcc_lo
	v_cndmask_b32_e32 v128, v128, v136, vcc_lo
	v_cndmask_b32_e64 v126, v126, s0, vcc_lo
	s_add_co_i32 s0, s0, 1
	s_delay_alu instid0(SALU_CYCLE_1)
	s_cmp_lg_u32 s18, s0
	s_cbranch_scc1 .LBB118_106
.LBB118_107:
	s_wait_dscnt 0x0
	v_cmp_eq_f32_e32 vcc_lo, 0, v128
	v_cmp_eq_f32_e64 s0, 0, v129
	s_and_b32 s0, vcc_lo, s0
	s_delay_alu instid0(SALU_CYCLE_1) | instskip(NEXT) | instid1(SALU_CYCLE_1)
	s_and_saveexec_b32 s1, s0
	s_xor_b32 s0, exec_lo, s1
; %bb.108:
	v_cmp_ne_u32_e32 vcc_lo, 0, v132
	v_cndmask_b32_e32 v132, 6, v132, vcc_lo
; %bb.109:
	s_and_not1_saveexec_b32 s0, s0
	s_cbranch_execz .LBB118_115
; %bb.110:
	v_cmp_ngt_f32_e64 s1, |v128|, |v129|
	s_and_saveexec_b32 s12, s1
	s_delay_alu instid0(SALU_CYCLE_1)
	s_xor_b32 s1, exec_lo, s12
	s_cbranch_execz .LBB118_112
; %bb.111:
	v_div_scale_f32 v127, null, v129, v129, v128
	v_div_scale_f32 v137, vcc_lo, v128, v129, v128
	s_delay_alu instid0(VALU_DEP_2) | instskip(SKIP_1) | instid1(TRANS32_DEP_1)
	v_rcp_f32_e32 v135, v127
	v_nop
	v_fma_f32 v136, -v127, v135, 1.0
	s_delay_alu instid0(VALU_DEP_1) | instskip(NEXT) | instid1(VALU_DEP_1)
	v_fmac_f32_e32 v135, v136, v135
	v_mul_f32_e32 v136, v137, v135
	s_delay_alu instid0(VALU_DEP_1) | instskip(NEXT) | instid1(VALU_DEP_1)
	v_fma_f32 v138, -v127, v136, v137
	v_fmac_f32_e32 v136, v138, v135
	s_delay_alu instid0(VALU_DEP_1) | instskip(NEXT) | instid1(VALU_DEP_1)
	v_fma_f32 v127, -v127, v136, v137
	v_div_fmas_f32 v127, v127, v135, v136
	s_delay_alu instid0(VALU_DEP_1) | instskip(NEXT) | instid1(VALU_DEP_1)
	v_div_fixup_f32 v127, v127, v129, v128
	v_fmac_f32_e32 v129, v128, v127
	s_delay_alu instid0(VALU_DEP_1) | instskip(SKIP_1) | instid1(VALU_DEP_2)
	v_div_scale_f32 v128, null, v129, v129, 1.0
	v_div_scale_f32 v137, vcc_lo, 1.0, v129, 1.0
	v_rcp_f32_e32 v135, v128
	v_nop
	s_delay_alu instid0(TRANS32_DEP_1) | instskip(NEXT) | instid1(VALU_DEP_1)
	v_fma_f32 v136, -v128, v135, 1.0
	v_fmac_f32_e32 v135, v136, v135
	s_delay_alu instid0(VALU_DEP_1) | instskip(NEXT) | instid1(VALU_DEP_1)
	v_mul_f32_e32 v136, v137, v135
	v_fma_f32 v138, -v128, v136, v137
	s_delay_alu instid0(VALU_DEP_1) | instskip(NEXT) | instid1(VALU_DEP_1)
	v_fmac_f32_e32 v136, v138, v135
	v_fma_f32 v128, -v128, v136, v137
	s_delay_alu instid0(VALU_DEP_1) | instskip(NEXT) | instid1(VALU_DEP_1)
	v_div_fmas_f32 v128, v128, v135, v136
	v_div_fixup_f32 v129, v128, v129, 1.0
	s_delay_alu instid0(VALU_DEP_1)
	v_mul_f32_e32 v128, v127, v129
	v_xor_b32_e32 v129, 0x80000000, v129
.LBB118_112:
	s_and_not1_saveexec_b32 s1, s1
	s_cbranch_execz .LBB118_114
; %bb.113:
	s_delay_alu instid0(VALU_DEP_1) | instskip(SKIP_1) | instid1(VALU_DEP_2)
	v_div_scale_f32 v127, null, v128, v128, v129
	v_div_scale_f32 v137, vcc_lo, v129, v128, v129
	v_rcp_f32_e32 v135, v127
	v_nop
	s_delay_alu instid0(TRANS32_DEP_1) | instskip(NEXT) | instid1(VALU_DEP_1)
	v_fma_f32 v136, -v127, v135, 1.0
	v_fmac_f32_e32 v135, v136, v135
	s_delay_alu instid0(VALU_DEP_1) | instskip(NEXT) | instid1(VALU_DEP_1)
	v_mul_f32_e32 v136, v137, v135
	v_fma_f32 v138, -v127, v136, v137
	s_delay_alu instid0(VALU_DEP_1) | instskip(NEXT) | instid1(VALU_DEP_1)
	v_fmac_f32_e32 v136, v138, v135
	v_fma_f32 v127, -v127, v136, v137
	s_delay_alu instid0(VALU_DEP_1) | instskip(NEXT) | instid1(VALU_DEP_1)
	v_div_fmas_f32 v127, v127, v135, v136
	v_div_fixup_f32 v127, v127, v128, v129
	s_delay_alu instid0(VALU_DEP_1) | instskip(NEXT) | instid1(VALU_DEP_1)
	v_fmac_f32_e32 v128, v129, v127
	v_div_scale_f32 v129, null, v128, v128, 1.0
	s_delay_alu instid0(VALU_DEP_1) | instskip(SKIP_1) | instid1(TRANS32_DEP_1)
	v_rcp_f32_e32 v135, v129
	v_nop
	v_fma_f32 v136, -v129, v135, 1.0
	s_delay_alu instid0(VALU_DEP_1) | instskip(SKIP_1) | instid1(VALU_DEP_1)
	v_fmac_f32_e32 v135, v136, v135
	v_div_scale_f32 v136, vcc_lo, 1.0, v128, 1.0
	v_mul_f32_e32 v137, v136, v135
	s_delay_alu instid0(VALU_DEP_1) | instskip(NEXT) | instid1(VALU_DEP_1)
	v_fma_f32 v138, -v129, v137, v136
	v_fmac_f32_e32 v137, v138, v135
	s_delay_alu instid0(VALU_DEP_1) | instskip(NEXT) | instid1(VALU_DEP_1)
	v_fma_f32 v129, -v129, v137, v136
	v_div_fmas_f32 v129, v129, v135, v137
	s_delay_alu instid0(VALU_DEP_1) | instskip(NEXT) | instid1(VALU_DEP_1)
	v_div_fixup_f32 v128, v129, v128, 1.0
	v_mul_f32_e64 v129, v127, -v128
.LBB118_114:
	s_or_b32 exec_lo, exec_lo, s1
.LBB118_115:
	s_delay_alu instid0(SALU_CYCLE_1) | instskip(NEXT) | instid1(SALU_CYCLE_1)
	s_or_b32 exec_lo, exec_lo, s0
	s_mov_b32 s0, exec_lo
	v_cmpx_ne_u32_e64 v134, v126
	s_xor_b32 s0, exec_lo, s0
	s_cbranch_execz .LBB118_121
; %bb.116:
	s_mov_b32 s1, exec_lo
	v_cmpx_eq_u32_e32 5, v134
	s_cbranch_execz .LBB118_120
; %bb.117:
	v_cmp_ne_u32_e32 vcc_lo, 5, v126
	s_xor_b32 s12, s16, -1
	s_delay_alu instid0(SALU_CYCLE_1) | instskip(NEXT) | instid1(SALU_CYCLE_1)
	s_and_b32 s13, s12, vcc_lo
	s_and_saveexec_b32 s12, s13
	s_cbranch_execz .LBB118_119
; %bb.118:
	v_ashrrev_i32_e32 v127, 31, v126
	s_delay_alu instid0(VALU_DEP_1)
	v_lshl_add_u64 v[134:135], v[126:127], 2, v[4:5]
	s_clause 0x1
	global_load_b32 v127, v[134:135], off
	global_load_b32 v133, v[4:5], off offset:20
	s_wait_loadcnt 0x1
	global_store_b32 v[4:5], v127, off offset:20
	s_wait_loadcnt 0x0
	global_store_b32 v[134:135], v133, off
.LBB118_119:
	s_wait_xcnt 0x0
	s_or_b32 exec_lo, exec_lo, s12
	v_dual_mov_b32 v134, v126 :: v_dual_mov_b32 v133, v126
.LBB118_120:
	s_or_b32 exec_lo, exec_lo, s1
.LBB118_121:
	s_and_not1_saveexec_b32 s0, s0
	s_cbranch_execz .LBB118_123
; %bb.122:
	v_dual_mov_b32 v126, v112 :: v_dual_mov_b32 v127, v113
	v_dual_mov_b32 v134, v42 :: v_dual_mov_b32 v135, v43
	;; [unrolled: 1-line block ×8, first 2 shown]
	ds_store_2addr_b64 v130, v[126:127], v[134:135] offset0:6 offset1:7
	ds_store_2addr_b64 v130, v[136:137], v[138:139] offset0:8 offset1:9
	ds_store_2addr_b64 v130, v[140:141], v[142:143] offset0:10 offset1:11
	ds_store_2addr_b64 v130, v[144:145], v[146:147] offset0:12 offset1:13
	v_dual_mov_b32 v126, v100 :: v_dual_mov_b32 v127, v101
	v_dual_mov_b32 v134, v38 :: v_dual_mov_b32 v135, v39
	v_dual_mov_b32 v136, v96 :: v_dual_mov_b32 v137, v97
	v_dual_mov_b32 v138, v92 :: v_dual_mov_b32 v139, v93
	v_dual_mov_b32 v140, v94 :: v_dual_mov_b32 v141, v95
	v_dual_mov_b32 v142, v36 :: v_dual_mov_b32 v143, v37
	v_dual_mov_b32 v144, v90 :: v_dual_mov_b32 v145, v91
	v_dual_mov_b32 v146, v86 :: v_dual_mov_b32 v147, v87
	v_dual_mov_b32 v148, v88 :: v_dual_mov_b32 v149, v89
	v_dual_mov_b32 v150, v30 :: v_dual_mov_b32 v151, v31
	v_dual_mov_b32 v152, v84 :: v_dual_mov_b32 v153, v85
	v_dual_mov_b32 v154, v80 :: v_dual_mov_b32 v155, v81
	ds_store_2addr_b64 v130, v[126:127], v[134:135] offset0:14 offset1:15
	ds_store_2addr_b64 v130, v[136:137], v[138:139] offset0:16 offset1:17
	ds_store_2addr_b64 v130, v[140:141], v[142:143] offset0:18 offset1:19
	ds_store_2addr_b64 v130, v[144:145], v[146:147] offset0:20 offset1:21
	ds_store_2addr_b64 v130, v[148:149], v[150:151] offset0:22 offset1:23
	ds_store_2addr_b64 v130, v[152:153], v[154:155] offset0:24 offset1:25
	v_dual_mov_b32 v126, v82 :: v_dual_mov_b32 v127, v83
	v_dual_mov_b32 v134, v24 :: v_dual_mov_b32 v135, v25
	v_dual_mov_b32 v136, v78 :: v_dual_mov_b32 v137, v79
	v_dual_mov_b32 v138, v74 :: v_dual_mov_b32 v139, v75
	v_dual_mov_b32 v140, v76 :: v_dual_mov_b32 v141, v77
	v_dual_mov_b32 v142, v22 :: v_dual_mov_b32 v143, v23
	v_dual_mov_b32 v144, v72 :: v_dual_mov_b32 v145, v73
	v_dual_mov_b32 v146, v68 :: v_dual_mov_b32 v147, v69
	v_dual_mov_b32 v148, v70 :: v_dual_mov_b32 v149, v71
	v_dual_mov_b32 v150, v20 :: v_dual_mov_b32 v151, v21
	v_dual_mov_b32 v152, v66 :: v_dual_mov_b32 v153, v67
	v_dual_mov_b32 v154, v62 :: v_dual_mov_b32 v155, v63
	ds_store_2addr_b64 v130, v[126:127], v[134:135] offset0:26 offset1:27
	ds_store_2addr_b64 v130, v[136:137], v[138:139] offset0:28 offset1:29
	ds_store_2addr_b64 v130, v[140:141], v[142:143] offset0:30 offset1:31
	ds_store_2addr_b64 v130, v[144:145], v[146:147] offset0:32 offset1:33
	ds_store_2addr_b64 v130, v[148:149], v[150:151] offset0:34 offset1:35
	ds_store_2addr_b64 v130, v[152:153], v[154:155] offset0:36 offset1:37
	v_dual_mov_b32 v126, v64 :: v_dual_mov_b32 v127, v65
	v_dual_mov_b32 v134, v18 :: v_dual_mov_b32 v135, v19
	v_dual_mov_b32 v136, v60 :: v_dual_mov_b32 v137, v61
	v_dual_mov_b32 v138, v56 :: v_dual_mov_b32 v139, v57
	v_dual_mov_b32 v140, v58 :: v_dual_mov_b32 v141, v59
	v_dual_mov_b32 v142, v12 :: v_dual_mov_b32 v143, v13
	v_dual_mov_b32 v144, v54 :: v_dual_mov_b32 v145, v55
	v_dual_mov_b32 v146, v50 :: v_dual_mov_b32 v147, v51
	v_dual_mov_b32 v148, v52 :: v_dual_mov_b32 v149, v53
	v_dual_mov_b32 v150, v10 :: v_dual_mov_b32 v151, v11
	v_dual_mov_b32 v152, v46 :: v_dual_mov_b32 v153, v47
	v_dual_mov_b32 v154, v44 :: v_dual_mov_b32 v155, v45
	ds_store_2addr_b64 v130, v[126:127], v[134:135] offset0:38 offset1:39
	ds_store_2addr_b64 v130, v[136:137], v[138:139] offset0:40 offset1:41
	ds_store_2addr_b64 v130, v[140:141], v[142:143] offset0:42 offset1:43
	ds_store_2addr_b64 v130, v[144:145], v[146:147] offset0:44 offset1:45
	;; [unrolled: 1-line block ×4, first 2 shown]
	v_dual_mov_b32 v126, v48 :: v_dual_mov_b32 v127, v49
	v_dual_mov_b32 v136, v8 :: v_dual_mov_b32 v137, v9
	;; [unrolled: 1-line block ×9, first 2 shown]
	v_mov_b32_e32 v151, v15
	ds_store_2addr_b64 v130, v[126:127], v[136:137] offset0:50 offset1:51
	ds_store_2addr_b64 v130, v[138:139], v[140:141] offset0:52 offset1:53
	;; [unrolled: 1-line block ×5, first 2 shown]
.LBB118_123:
	s_or_b32 exec_lo, exec_lo, s0
	s_delay_alu instid0(SALU_CYCLE_1)
	s_mov_b32 s0, exec_lo
	s_wait_storecnt_dscnt 0x0
	s_barrier_signal -1
	s_barrier_wait -1
	v_cmpx_lt_i32_e32 5, v134
	s_cbranch_execz .LBB118_125
; %bb.124:
	v_pk_mul_f32 v[136:137], v[128:129], v[110:111] op_sel:[1,1] op_sel_hi:[0,1]
	s_delay_alu instid0(VALU_DEP_1)
	v_pk_fma_f32 v[126:127], v[128:129], v[110:111], v[136:137] op_sel_hi:[1,0,1] neg_lo:[0,0,1] neg_hi:[0,0,1]
	v_pk_fma_f32 v[128:129], v[128:129], v[110:111], v[136:137] op_sel_hi:[1,0,1]
	ds_load_2addr_b64 v[136:139], v130 offset0:6 offset1:7
	v_dual_mov_b32 v110, v126 :: v_dual_mov_b32 v111, v129
	s_wait_dscnt 0x0
	v_pk_mul_f32 v[140:141], v[136:137], v[128:129] op_sel:[0,1]
	s_delay_alu instid0(VALU_DEP_1) | instskip(SKIP_1) | instid1(VALU_DEP_1)
	v_pk_fma_f32 v[142:143], v[136:137], v[126:127], v[140:141] op_sel:[0,0,1] op_sel_hi:[1,1,0] neg_lo:[0,0,1] neg_hi:[0,0,1]
	v_pk_fma_f32 v[136:137], v[136:137], v[126:127], v[140:141] op_sel:[0,0,1] op_sel_hi:[1,0,0]
	v_mov_b32_e32 v143, v137
	v_pk_mul_f32 v[136:137], v[138:139], v[128:129] op_sel:[0,1]
	s_delay_alu instid0(VALU_DEP_1) | instskip(SKIP_1) | instid1(VALU_DEP_1)
	v_pk_fma_f32 v[140:141], v[138:139], v[126:127], v[136:137] op_sel:[0,0,1] op_sel_hi:[1,1,0] neg_lo:[0,0,1] neg_hi:[0,0,1]
	v_pk_fma_f32 v[136:137], v[138:139], v[126:127], v[136:137] op_sel:[0,0,1] op_sel_hi:[1,0,0]
	v_mov_b32_e32 v141, v137
	ds_load_2addr_b64 v[136:139], v130 offset0:8 offset1:9
	v_pk_add_f32 v[112:113], v[112:113], v[142:143] neg_lo:[0,1] neg_hi:[0,1]
	v_pk_add_f32 v[42:43], v[42:43], v[140:141] neg_lo:[0,1] neg_hi:[0,1]
	s_wait_dscnt 0x0
	v_pk_mul_f32 v[140:141], v[136:137], v[128:129] op_sel:[0,1]
	s_delay_alu instid0(VALU_DEP_1) | instskip(SKIP_2) | instid1(VALU_DEP_2)
	v_pk_fma_f32 v[142:143], v[136:137], v[126:127], v[140:141] op_sel:[0,0,1] op_sel_hi:[1,1,0] neg_lo:[0,0,1] neg_hi:[0,0,1]
	v_pk_fma_f32 v[136:137], v[136:137], v[126:127], v[140:141] op_sel:[0,0,1] op_sel_hi:[1,0,0]
	v_dual_mul_f32 v140, v139, v129 :: v_dual_mov_b32 v136, v139
	v_dual_mov_b32 v143, v137 :: v_dual_mov_b32 v137, v138
	s_delay_alu instid0(VALU_DEP_2) | instskip(SKIP_1) | instid1(VALU_DEP_3)
	v_pk_fma_f32 v[140:141], v[138:139], v[110:111], v[140:141] op_sel_hi:[1,1,0] neg_lo:[0,0,1] neg_hi:[0,0,1]
	v_mul_f32_e32 v138, v139, v126
	v_pk_add_f32 v[108:109], v[108:109], v[142:143] neg_lo:[0,1] neg_hi:[0,1]
	s_delay_alu instid0(VALU_DEP_2) | instskip(NEXT) | instid1(VALU_DEP_1)
	v_pk_fma_f32 v[136:137], v[136:137], v[110:111], v[138:139] op_sel_hi:[1,1,0]
	v_mov_b32_e32 v141, v137
	ds_load_2addr_b64 v[136:139], v130 offset0:10 offset1:11
	v_pk_add_f32 v[104:105], v[104:105], v[140:141] neg_lo:[0,1] neg_hi:[0,1]
	s_wait_dscnt 0x0
	v_pk_mul_f32 v[140:141], v[136:137], v[128:129] op_sel:[0,1]
	s_delay_alu instid0(VALU_DEP_1) | instskip(SKIP_1) | instid1(VALU_DEP_1)
	v_pk_fma_f32 v[142:143], v[136:137], v[126:127], v[140:141] op_sel:[0,0,1] op_sel_hi:[1,1,0] neg_lo:[0,0,1] neg_hi:[0,0,1]
	v_pk_fma_f32 v[136:137], v[136:137], v[126:127], v[140:141] op_sel:[0,0,1] op_sel_hi:[1,0,0]
	v_mov_b32_e32 v143, v137
	v_pk_mul_f32 v[136:137], v[138:139], v[128:129] op_sel:[0,1]
	s_delay_alu instid0(VALU_DEP_1) | instskip(SKIP_1) | instid1(VALU_DEP_1)
	v_pk_fma_f32 v[140:141], v[138:139], v[126:127], v[136:137] op_sel:[0,0,1] op_sel_hi:[1,1,0] neg_lo:[0,0,1] neg_hi:[0,0,1]
	v_pk_fma_f32 v[136:137], v[138:139], v[126:127], v[136:137] op_sel:[0,0,1] op_sel_hi:[1,0,0]
	v_mov_b32_e32 v141, v137
	ds_load_2addr_b64 v[136:139], v130 offset0:12 offset1:13
	v_pk_add_f32 v[106:107], v[106:107], v[142:143] neg_lo:[0,1] neg_hi:[0,1]
	v_pk_add_f32 v[40:41], v[40:41], v[140:141] neg_lo:[0,1] neg_hi:[0,1]
	s_wait_dscnt 0x0
	v_pk_mul_f32 v[140:141], v[136:137], v[128:129] op_sel:[0,1]
	s_delay_alu instid0(VALU_DEP_1) | instskip(SKIP_1) | instid1(VALU_DEP_1)
	v_pk_fma_f32 v[142:143], v[136:137], v[126:127], v[140:141] op_sel:[0,0,1] op_sel_hi:[1,1,0] neg_lo:[0,0,1] neg_hi:[0,0,1]
	v_pk_fma_f32 v[136:137], v[136:137], v[126:127], v[140:141] op_sel:[0,0,1] op_sel_hi:[1,0,0]
	v_mov_b32_e32 v143, v137
	v_pk_mul_f32 v[136:137], v[138:139], v[128:129] op_sel:[0,1]
	s_delay_alu instid0(VALU_DEP_1) | instskip(SKIP_1) | instid1(VALU_DEP_1)
	v_pk_fma_f32 v[140:141], v[138:139], v[126:127], v[136:137] op_sel:[0,0,1] op_sel_hi:[1,1,0] neg_lo:[0,0,1] neg_hi:[0,0,1]
	v_pk_fma_f32 v[136:137], v[138:139], v[126:127], v[136:137] op_sel:[0,0,1] op_sel_hi:[1,0,0]
	v_mov_b32_e32 v141, v137
	ds_load_2addr_b64 v[136:139], v130 offset0:14 offset1:15
	v_pk_add_f32 v[102:103], v[102:103], v[142:143] neg_lo:[0,1] neg_hi:[0,1]
	v_pk_add_f32 v[98:99], v[98:99], v[140:141] neg_lo:[0,1] neg_hi:[0,1]
	s_wait_dscnt 0x0
	v_dual_mul_f32 v140, v137, v129 :: v_dual_mul_f32 v142, v137, v126
	s_delay_alu instid0(VALU_DEP_1) | instskip(NEXT) | instid1(VALU_DEP_2)
	v_pk_fma_f32 v[140:141], v[136:137], v[110:111], v[140:141] op_sel_hi:[1,1,0] neg_lo:[0,0,1] neg_hi:[0,0,1]
	v_pk_fma_f32 v[136:137], v[136:137], v[110:111], v[142:143] op_sel:[1,0,0] op_sel_hi:[0,1,0]
	s_delay_alu instid0(VALU_DEP_1) | instskip(SKIP_1) | instid1(VALU_DEP_2)
	v_mov_b32_e32 v141, v137
	v_pk_mul_f32 v[136:137], v[138:139], v[128:129] op_sel:[0,1]
	v_pk_add_f32 v[100:101], v[100:101], v[140:141] neg_lo:[0,1] neg_hi:[0,1]
	s_delay_alu instid0(VALU_DEP_2) | instskip(SKIP_1) | instid1(VALU_DEP_1)
	v_pk_fma_f32 v[140:141], v[138:139], v[126:127], v[136:137] op_sel:[0,0,1] op_sel_hi:[1,1,0] neg_lo:[0,0,1] neg_hi:[0,0,1]
	v_pk_fma_f32 v[136:137], v[138:139], v[126:127], v[136:137] op_sel:[0,0,1] op_sel_hi:[1,0,0]
	v_mov_b32_e32 v141, v137
	ds_load_2addr_b64 v[136:139], v130 offset0:16 offset1:17
	v_pk_add_f32 v[38:39], v[38:39], v[140:141] neg_lo:[0,1] neg_hi:[0,1]
	s_wait_dscnt 0x0
	v_pk_mul_f32 v[140:141], v[136:137], v[128:129] op_sel:[0,1]
	s_delay_alu instid0(VALU_DEP_1) | instskip(SKIP_1) | instid1(VALU_DEP_1)
	v_pk_fma_f32 v[142:143], v[136:137], v[126:127], v[140:141] op_sel:[0,0,1] op_sel_hi:[1,1,0] neg_lo:[0,0,1] neg_hi:[0,0,1]
	v_pk_fma_f32 v[136:137], v[136:137], v[126:127], v[140:141] op_sel:[0,0,1] op_sel_hi:[1,0,0]
	v_mov_b32_e32 v143, v137
	v_pk_mul_f32 v[136:137], v[138:139], v[128:129] op_sel:[0,1]
	s_delay_alu instid0(VALU_DEP_2) | instskip(NEXT) | instid1(VALU_DEP_2)
	v_pk_add_f32 v[96:97], v[96:97], v[142:143] neg_lo:[0,1] neg_hi:[0,1]
	v_pk_fma_f32 v[140:141], v[138:139], v[126:127], v[136:137] op_sel:[0,0,1] op_sel_hi:[1,1,0] neg_lo:[0,0,1] neg_hi:[0,0,1]
	v_pk_fma_f32 v[136:137], v[138:139], v[126:127], v[136:137] op_sel:[0,0,1] op_sel_hi:[1,0,0]
	s_delay_alu instid0(VALU_DEP_1) | instskip(SKIP_4) | instid1(VALU_DEP_1)
	v_mov_b32_e32 v141, v137
	ds_load_2addr_b64 v[136:139], v130 offset0:18 offset1:19
	v_pk_add_f32 v[92:93], v[92:93], v[140:141] neg_lo:[0,1] neg_hi:[0,1]
	s_wait_dscnt 0x0
	v_pk_mul_f32 v[140:141], v[136:137], v[128:129] op_sel:[0,1]
	v_pk_fma_f32 v[142:143], v[136:137], v[126:127], v[140:141] op_sel:[0,0,1] op_sel_hi:[1,1,0] neg_lo:[0,0,1] neg_hi:[0,0,1]
	v_pk_fma_f32 v[136:137], v[136:137], v[126:127], v[140:141] op_sel:[0,0,1] op_sel_hi:[1,0,0]
	v_dual_mul_f32 v140, v139, v129 :: v_dual_mov_b32 v136, v139
	s_delay_alu instid0(VALU_DEP_2) | instskip(NEXT) | instid1(VALU_DEP_2)
	v_dual_mov_b32 v143, v137 :: v_dual_mov_b32 v137, v138
	v_pk_fma_f32 v[140:141], v[138:139], v[110:111], v[140:141] op_sel_hi:[1,1,0] neg_lo:[0,0,1] neg_hi:[0,0,1]
	v_mul_f32_e32 v138, v139, v126
	s_delay_alu instid0(VALU_DEP_3) | instskip(NEXT) | instid1(VALU_DEP_2)
	v_pk_add_f32 v[94:95], v[94:95], v[142:143] neg_lo:[0,1] neg_hi:[0,1]
	v_pk_fma_f32 v[136:137], v[136:137], v[110:111], v[138:139] op_sel_hi:[1,1,0]
	s_delay_alu instid0(VALU_DEP_1) | instskip(SKIP_4) | instid1(VALU_DEP_1)
	v_mov_b32_e32 v141, v137
	ds_load_2addr_b64 v[136:139], v130 offset0:20 offset1:21
	v_pk_add_f32 v[36:37], v[36:37], v[140:141] neg_lo:[0,1] neg_hi:[0,1]
	s_wait_dscnt 0x0
	v_pk_mul_f32 v[140:141], v[136:137], v[128:129] op_sel:[0,1]
	v_pk_fma_f32 v[142:143], v[136:137], v[126:127], v[140:141] op_sel:[0,0,1] op_sel_hi:[1,1,0] neg_lo:[0,0,1] neg_hi:[0,0,1]
	v_pk_fma_f32 v[136:137], v[136:137], v[126:127], v[140:141] op_sel:[0,0,1] op_sel_hi:[1,0,0]
	s_delay_alu instid0(VALU_DEP_1) | instskip(SKIP_1) | instid1(VALU_DEP_1)
	v_mov_b32_e32 v143, v137
	v_pk_mul_f32 v[136:137], v[138:139], v[128:129] op_sel:[0,1]
	v_pk_fma_f32 v[140:141], v[138:139], v[126:127], v[136:137] op_sel:[0,0,1] op_sel_hi:[1,1,0] neg_lo:[0,0,1] neg_hi:[0,0,1]
	v_pk_fma_f32 v[136:137], v[138:139], v[126:127], v[136:137] op_sel:[0,0,1] op_sel_hi:[1,0,0]
	s_delay_alu instid0(VALU_DEP_1)
	v_mov_b32_e32 v141, v137
	ds_load_2addr_b64 v[136:139], v130 offset0:22 offset1:23
	v_pk_add_f32 v[90:91], v[90:91], v[142:143] neg_lo:[0,1] neg_hi:[0,1]
	v_pk_add_f32 v[86:87], v[86:87], v[140:141] neg_lo:[0,1] neg_hi:[0,1]
	s_wait_dscnt 0x0
	v_pk_mul_f32 v[140:141], v[136:137], v[128:129] op_sel:[0,1]
	s_delay_alu instid0(VALU_DEP_1) | instskip(SKIP_1) | instid1(VALU_DEP_1)
	v_pk_fma_f32 v[142:143], v[136:137], v[126:127], v[140:141] op_sel:[0,0,1] op_sel_hi:[1,1,0] neg_lo:[0,0,1] neg_hi:[0,0,1]
	v_pk_fma_f32 v[136:137], v[136:137], v[126:127], v[140:141] op_sel:[0,0,1] op_sel_hi:[1,0,0]
	v_mov_b32_e32 v143, v137
	v_pk_mul_f32 v[136:137], v[138:139], v[128:129] op_sel:[0,1]
	s_delay_alu instid0(VALU_DEP_1) | instskip(SKIP_1) | instid1(VALU_DEP_1)
	v_pk_fma_f32 v[140:141], v[138:139], v[126:127], v[136:137] op_sel:[0,0,1] op_sel_hi:[1,1,0] neg_lo:[0,0,1] neg_hi:[0,0,1]
	v_pk_fma_f32 v[136:137], v[138:139], v[126:127], v[136:137] op_sel:[0,0,1] op_sel_hi:[1,0,0]
	v_mov_b32_e32 v141, v137
	ds_load_2addr_b64 v[136:139], v130 offset0:24 offset1:25
	v_pk_add_f32 v[88:89], v[88:89], v[142:143] neg_lo:[0,1] neg_hi:[0,1]
	v_pk_add_f32 v[30:31], v[30:31], v[140:141] neg_lo:[0,1] neg_hi:[0,1]
	s_wait_dscnt 0x0
	v_dual_mul_f32 v140, v137, v129 :: v_dual_mul_f32 v142, v137, v126
	s_delay_alu instid0(VALU_DEP_1) | instskip(NEXT) | instid1(VALU_DEP_2)
	v_pk_fma_f32 v[140:141], v[136:137], v[110:111], v[140:141] op_sel_hi:[1,1,0] neg_lo:[0,0,1] neg_hi:[0,0,1]
	v_pk_fma_f32 v[136:137], v[136:137], v[110:111], v[142:143] op_sel:[1,0,0] op_sel_hi:[0,1,0]
	s_delay_alu instid0(VALU_DEP_1) | instskip(SKIP_1) | instid1(VALU_DEP_2)
	v_mov_b32_e32 v141, v137
	v_pk_mul_f32 v[136:137], v[138:139], v[128:129] op_sel:[0,1]
	v_pk_add_f32 v[84:85], v[84:85], v[140:141] neg_lo:[0,1] neg_hi:[0,1]
	s_delay_alu instid0(VALU_DEP_2) | instskip(SKIP_1) | instid1(VALU_DEP_1)
	v_pk_fma_f32 v[140:141], v[138:139], v[126:127], v[136:137] op_sel:[0,0,1] op_sel_hi:[1,1,0] neg_lo:[0,0,1] neg_hi:[0,0,1]
	v_pk_fma_f32 v[136:137], v[138:139], v[126:127], v[136:137] op_sel:[0,0,1] op_sel_hi:[1,0,0]
	v_mov_b32_e32 v141, v137
	ds_load_2addr_b64 v[136:139], v130 offset0:26 offset1:27
	v_pk_add_f32 v[80:81], v[80:81], v[140:141] neg_lo:[0,1] neg_hi:[0,1]
	s_wait_dscnt 0x0
	v_pk_mul_f32 v[140:141], v[136:137], v[128:129] op_sel:[0,1]
	s_delay_alu instid0(VALU_DEP_1) | instskip(SKIP_1) | instid1(VALU_DEP_1)
	v_pk_fma_f32 v[142:143], v[136:137], v[126:127], v[140:141] op_sel:[0,0,1] op_sel_hi:[1,1,0] neg_lo:[0,0,1] neg_hi:[0,0,1]
	v_pk_fma_f32 v[136:137], v[136:137], v[126:127], v[140:141] op_sel:[0,0,1] op_sel_hi:[1,0,0]
	v_mov_b32_e32 v143, v137
	v_pk_mul_f32 v[136:137], v[138:139], v[128:129] op_sel:[0,1]
	s_delay_alu instid0(VALU_DEP_2) | instskip(NEXT) | instid1(VALU_DEP_2)
	v_pk_add_f32 v[82:83], v[82:83], v[142:143] neg_lo:[0,1] neg_hi:[0,1]
	v_pk_fma_f32 v[140:141], v[138:139], v[126:127], v[136:137] op_sel:[0,0,1] op_sel_hi:[1,1,0] neg_lo:[0,0,1] neg_hi:[0,0,1]
	v_pk_fma_f32 v[136:137], v[138:139], v[126:127], v[136:137] op_sel:[0,0,1] op_sel_hi:[1,0,0]
	s_delay_alu instid0(VALU_DEP_1) | instskip(SKIP_4) | instid1(VALU_DEP_1)
	v_mov_b32_e32 v141, v137
	ds_load_2addr_b64 v[136:139], v130 offset0:28 offset1:29
	v_pk_add_f32 v[24:25], v[24:25], v[140:141] neg_lo:[0,1] neg_hi:[0,1]
	s_wait_dscnt 0x0
	v_pk_mul_f32 v[140:141], v[136:137], v[128:129] op_sel:[0,1]
	v_pk_fma_f32 v[142:143], v[136:137], v[126:127], v[140:141] op_sel:[0,0,1] op_sel_hi:[1,1,0] neg_lo:[0,0,1] neg_hi:[0,0,1]
	v_pk_fma_f32 v[136:137], v[136:137], v[126:127], v[140:141] op_sel:[0,0,1] op_sel_hi:[1,0,0]
	v_dual_mul_f32 v140, v139, v129 :: v_dual_mov_b32 v136, v139
	s_delay_alu instid0(VALU_DEP_2) | instskip(NEXT) | instid1(VALU_DEP_2)
	v_dual_mov_b32 v143, v137 :: v_dual_mov_b32 v137, v138
	v_pk_fma_f32 v[140:141], v[138:139], v[110:111], v[140:141] op_sel_hi:[1,1,0] neg_lo:[0,0,1] neg_hi:[0,0,1]
	v_mul_f32_e32 v138, v139, v126
	s_delay_alu instid0(VALU_DEP_3) | instskip(NEXT) | instid1(VALU_DEP_2)
	v_pk_add_f32 v[78:79], v[78:79], v[142:143] neg_lo:[0,1] neg_hi:[0,1]
	v_pk_fma_f32 v[136:137], v[136:137], v[110:111], v[138:139] op_sel_hi:[1,1,0]
	s_delay_alu instid0(VALU_DEP_1) | instskip(SKIP_4) | instid1(VALU_DEP_1)
	v_mov_b32_e32 v141, v137
	ds_load_2addr_b64 v[136:139], v130 offset0:30 offset1:31
	v_pk_add_f32 v[74:75], v[74:75], v[140:141] neg_lo:[0,1] neg_hi:[0,1]
	s_wait_dscnt 0x0
	v_pk_mul_f32 v[140:141], v[136:137], v[128:129] op_sel:[0,1]
	v_pk_fma_f32 v[142:143], v[136:137], v[126:127], v[140:141] op_sel:[0,0,1] op_sel_hi:[1,1,0] neg_lo:[0,0,1] neg_hi:[0,0,1]
	v_pk_fma_f32 v[136:137], v[136:137], v[126:127], v[140:141] op_sel:[0,0,1] op_sel_hi:[1,0,0]
	s_delay_alu instid0(VALU_DEP_1) | instskip(SKIP_1) | instid1(VALU_DEP_1)
	v_mov_b32_e32 v143, v137
	v_pk_mul_f32 v[136:137], v[138:139], v[128:129] op_sel:[0,1]
	v_pk_fma_f32 v[140:141], v[138:139], v[126:127], v[136:137] op_sel:[0,0,1] op_sel_hi:[1,1,0] neg_lo:[0,0,1] neg_hi:[0,0,1]
	v_pk_fma_f32 v[136:137], v[138:139], v[126:127], v[136:137] op_sel:[0,0,1] op_sel_hi:[1,0,0]
	s_delay_alu instid0(VALU_DEP_1)
	v_mov_b32_e32 v141, v137
	ds_load_2addr_b64 v[136:139], v130 offset0:32 offset1:33
	v_pk_add_f32 v[76:77], v[76:77], v[142:143] neg_lo:[0,1] neg_hi:[0,1]
	v_pk_add_f32 v[22:23], v[22:23], v[140:141] neg_lo:[0,1] neg_hi:[0,1]
	s_wait_dscnt 0x0
	v_pk_mul_f32 v[140:141], v[136:137], v[128:129] op_sel:[0,1]
	s_delay_alu instid0(VALU_DEP_1) | instskip(SKIP_1) | instid1(VALU_DEP_1)
	v_pk_fma_f32 v[142:143], v[136:137], v[126:127], v[140:141] op_sel:[0,0,1] op_sel_hi:[1,1,0] neg_lo:[0,0,1] neg_hi:[0,0,1]
	v_pk_fma_f32 v[136:137], v[136:137], v[126:127], v[140:141] op_sel:[0,0,1] op_sel_hi:[1,0,0]
	v_mov_b32_e32 v143, v137
	v_pk_mul_f32 v[136:137], v[138:139], v[128:129] op_sel:[0,1]
	s_delay_alu instid0(VALU_DEP_1) | instskip(SKIP_1) | instid1(VALU_DEP_1)
	v_pk_fma_f32 v[140:141], v[138:139], v[126:127], v[136:137] op_sel:[0,0,1] op_sel_hi:[1,1,0] neg_lo:[0,0,1] neg_hi:[0,0,1]
	v_pk_fma_f32 v[136:137], v[138:139], v[126:127], v[136:137] op_sel:[0,0,1] op_sel_hi:[1,0,0]
	v_mov_b32_e32 v141, v137
	ds_load_2addr_b64 v[136:139], v130 offset0:34 offset1:35
	v_pk_add_f32 v[72:73], v[72:73], v[142:143] neg_lo:[0,1] neg_hi:[0,1]
	v_pk_add_f32 v[68:69], v[68:69], v[140:141] neg_lo:[0,1] neg_hi:[0,1]
	s_wait_dscnt 0x0
	v_dual_mul_f32 v140, v137, v129 :: v_dual_mul_f32 v142, v137, v126
	s_delay_alu instid0(VALU_DEP_1) | instskip(NEXT) | instid1(VALU_DEP_2)
	v_pk_fma_f32 v[140:141], v[136:137], v[110:111], v[140:141] op_sel_hi:[1,1,0] neg_lo:[0,0,1] neg_hi:[0,0,1]
	v_pk_fma_f32 v[136:137], v[136:137], v[110:111], v[142:143] op_sel:[1,0,0] op_sel_hi:[0,1,0]
	s_delay_alu instid0(VALU_DEP_1) | instskip(SKIP_1) | instid1(VALU_DEP_2)
	v_mov_b32_e32 v141, v137
	v_pk_mul_f32 v[136:137], v[138:139], v[128:129] op_sel:[0,1]
	v_pk_add_f32 v[70:71], v[70:71], v[140:141] neg_lo:[0,1] neg_hi:[0,1]
	s_delay_alu instid0(VALU_DEP_2) | instskip(SKIP_1) | instid1(VALU_DEP_1)
	v_pk_fma_f32 v[140:141], v[138:139], v[126:127], v[136:137] op_sel:[0,0,1] op_sel_hi:[1,1,0] neg_lo:[0,0,1] neg_hi:[0,0,1]
	v_pk_fma_f32 v[136:137], v[138:139], v[126:127], v[136:137] op_sel:[0,0,1] op_sel_hi:[1,0,0]
	v_mov_b32_e32 v141, v137
	ds_load_2addr_b64 v[136:139], v130 offset0:36 offset1:37
	v_pk_add_f32 v[20:21], v[20:21], v[140:141] neg_lo:[0,1] neg_hi:[0,1]
	s_wait_dscnt 0x0
	v_pk_mul_f32 v[140:141], v[136:137], v[128:129] op_sel:[0,1]
	s_delay_alu instid0(VALU_DEP_1) | instskip(SKIP_1) | instid1(VALU_DEP_1)
	v_pk_fma_f32 v[142:143], v[136:137], v[126:127], v[140:141] op_sel:[0,0,1] op_sel_hi:[1,1,0] neg_lo:[0,0,1] neg_hi:[0,0,1]
	v_pk_fma_f32 v[136:137], v[136:137], v[126:127], v[140:141] op_sel:[0,0,1] op_sel_hi:[1,0,0]
	v_mov_b32_e32 v143, v137
	v_pk_mul_f32 v[136:137], v[138:139], v[128:129] op_sel:[0,1]
	s_delay_alu instid0(VALU_DEP_2) | instskip(NEXT) | instid1(VALU_DEP_2)
	v_pk_add_f32 v[66:67], v[66:67], v[142:143] neg_lo:[0,1] neg_hi:[0,1]
	v_pk_fma_f32 v[140:141], v[138:139], v[126:127], v[136:137] op_sel:[0,0,1] op_sel_hi:[1,1,0] neg_lo:[0,0,1] neg_hi:[0,0,1]
	v_pk_fma_f32 v[136:137], v[138:139], v[126:127], v[136:137] op_sel:[0,0,1] op_sel_hi:[1,0,0]
	s_delay_alu instid0(VALU_DEP_1) | instskip(SKIP_4) | instid1(VALU_DEP_1)
	v_mov_b32_e32 v141, v137
	ds_load_2addr_b64 v[136:139], v130 offset0:38 offset1:39
	v_pk_add_f32 v[62:63], v[62:63], v[140:141] neg_lo:[0,1] neg_hi:[0,1]
	s_wait_dscnt 0x0
	v_pk_mul_f32 v[140:141], v[136:137], v[128:129] op_sel:[0,1]
	v_pk_fma_f32 v[142:143], v[136:137], v[126:127], v[140:141] op_sel:[0,0,1] op_sel_hi:[1,1,0] neg_lo:[0,0,1] neg_hi:[0,0,1]
	v_pk_fma_f32 v[136:137], v[136:137], v[126:127], v[140:141] op_sel:[0,0,1] op_sel_hi:[1,0,0]
	v_dual_mul_f32 v140, v139, v129 :: v_dual_mov_b32 v136, v139
	s_delay_alu instid0(VALU_DEP_2) | instskip(NEXT) | instid1(VALU_DEP_2)
	v_dual_mov_b32 v143, v137 :: v_dual_mov_b32 v137, v138
	v_pk_fma_f32 v[140:141], v[138:139], v[110:111], v[140:141] op_sel_hi:[1,1,0] neg_lo:[0,0,1] neg_hi:[0,0,1]
	v_mul_f32_e32 v138, v139, v126
	s_delay_alu instid0(VALU_DEP_3) | instskip(NEXT) | instid1(VALU_DEP_2)
	v_pk_add_f32 v[64:65], v[64:65], v[142:143] neg_lo:[0,1] neg_hi:[0,1]
	v_pk_fma_f32 v[136:137], v[136:137], v[110:111], v[138:139] op_sel_hi:[1,1,0]
	s_delay_alu instid0(VALU_DEP_1) | instskip(SKIP_4) | instid1(VALU_DEP_1)
	v_mov_b32_e32 v141, v137
	ds_load_2addr_b64 v[136:139], v130 offset0:40 offset1:41
	v_pk_add_f32 v[18:19], v[18:19], v[140:141] neg_lo:[0,1] neg_hi:[0,1]
	s_wait_dscnt 0x0
	v_pk_mul_f32 v[140:141], v[136:137], v[128:129] op_sel:[0,1]
	v_pk_fma_f32 v[142:143], v[136:137], v[126:127], v[140:141] op_sel:[0,0,1] op_sel_hi:[1,1,0] neg_lo:[0,0,1] neg_hi:[0,0,1]
	v_pk_fma_f32 v[136:137], v[136:137], v[126:127], v[140:141] op_sel:[0,0,1] op_sel_hi:[1,0,0]
	s_delay_alu instid0(VALU_DEP_1) | instskip(SKIP_1) | instid1(VALU_DEP_1)
	v_mov_b32_e32 v143, v137
	v_pk_mul_f32 v[136:137], v[138:139], v[128:129] op_sel:[0,1]
	v_pk_fma_f32 v[140:141], v[138:139], v[126:127], v[136:137] op_sel:[0,0,1] op_sel_hi:[1,1,0] neg_lo:[0,0,1] neg_hi:[0,0,1]
	v_pk_fma_f32 v[136:137], v[138:139], v[126:127], v[136:137] op_sel:[0,0,1] op_sel_hi:[1,0,0]
	s_delay_alu instid0(VALU_DEP_1)
	v_mov_b32_e32 v141, v137
	ds_load_2addr_b64 v[136:139], v130 offset0:42 offset1:43
	v_pk_add_f32 v[60:61], v[60:61], v[142:143] neg_lo:[0,1] neg_hi:[0,1]
	v_pk_add_f32 v[56:57], v[56:57], v[140:141] neg_lo:[0,1] neg_hi:[0,1]
	s_wait_dscnt 0x0
	v_pk_mul_f32 v[140:141], v[136:137], v[128:129] op_sel:[0,1]
	s_delay_alu instid0(VALU_DEP_1) | instskip(SKIP_1) | instid1(VALU_DEP_1)
	v_pk_fma_f32 v[142:143], v[136:137], v[126:127], v[140:141] op_sel:[0,0,1] op_sel_hi:[1,1,0] neg_lo:[0,0,1] neg_hi:[0,0,1]
	v_pk_fma_f32 v[136:137], v[136:137], v[126:127], v[140:141] op_sel:[0,0,1] op_sel_hi:[1,0,0]
	v_mov_b32_e32 v143, v137
	v_pk_mul_f32 v[136:137], v[138:139], v[128:129] op_sel:[0,1]
	s_delay_alu instid0(VALU_DEP_1) | instskip(SKIP_1) | instid1(VALU_DEP_1)
	v_pk_fma_f32 v[140:141], v[138:139], v[126:127], v[136:137] op_sel:[0,0,1] op_sel_hi:[1,1,0] neg_lo:[0,0,1] neg_hi:[0,0,1]
	v_pk_fma_f32 v[136:137], v[138:139], v[126:127], v[136:137] op_sel:[0,0,1] op_sel_hi:[1,0,0]
	v_mov_b32_e32 v141, v137
	ds_load_2addr_b64 v[136:139], v130 offset0:44 offset1:45
	v_pk_add_f32 v[58:59], v[58:59], v[142:143] neg_lo:[0,1] neg_hi:[0,1]
	v_pk_add_f32 v[12:13], v[12:13], v[140:141] neg_lo:[0,1] neg_hi:[0,1]
	s_wait_dscnt 0x0
	v_dual_mul_f32 v140, v137, v129 :: v_dual_mul_f32 v142, v137, v126
	s_delay_alu instid0(VALU_DEP_1) | instskip(NEXT) | instid1(VALU_DEP_2)
	v_pk_fma_f32 v[140:141], v[136:137], v[110:111], v[140:141] op_sel_hi:[1,1,0] neg_lo:[0,0,1] neg_hi:[0,0,1]
	v_pk_fma_f32 v[136:137], v[136:137], v[110:111], v[142:143] op_sel:[1,0,0] op_sel_hi:[0,1,0]
	s_delay_alu instid0(VALU_DEP_1) | instskip(SKIP_1) | instid1(VALU_DEP_2)
	v_mov_b32_e32 v141, v137
	v_pk_mul_f32 v[136:137], v[138:139], v[128:129] op_sel:[0,1]
	v_pk_add_f32 v[54:55], v[54:55], v[140:141] neg_lo:[0,1] neg_hi:[0,1]
	s_delay_alu instid0(VALU_DEP_2) | instskip(SKIP_1) | instid1(VALU_DEP_1)
	v_pk_fma_f32 v[140:141], v[138:139], v[126:127], v[136:137] op_sel:[0,0,1] op_sel_hi:[1,1,0] neg_lo:[0,0,1] neg_hi:[0,0,1]
	v_pk_fma_f32 v[136:137], v[138:139], v[126:127], v[136:137] op_sel:[0,0,1] op_sel_hi:[1,0,0]
	v_mov_b32_e32 v141, v137
	ds_load_2addr_b64 v[136:139], v130 offset0:46 offset1:47
	v_pk_add_f32 v[50:51], v[50:51], v[140:141] neg_lo:[0,1] neg_hi:[0,1]
	s_wait_dscnt 0x0
	v_pk_mul_f32 v[140:141], v[136:137], v[128:129] op_sel:[0,1]
	s_delay_alu instid0(VALU_DEP_1) | instskip(SKIP_1) | instid1(VALU_DEP_1)
	v_pk_fma_f32 v[142:143], v[136:137], v[126:127], v[140:141] op_sel:[0,0,1] op_sel_hi:[1,1,0] neg_lo:[0,0,1] neg_hi:[0,0,1]
	v_pk_fma_f32 v[136:137], v[136:137], v[126:127], v[140:141] op_sel:[0,0,1] op_sel_hi:[1,0,0]
	v_mov_b32_e32 v143, v137
	v_pk_mul_f32 v[136:137], v[138:139], v[128:129] op_sel:[0,1]
	s_delay_alu instid0(VALU_DEP_2) | instskip(NEXT) | instid1(VALU_DEP_2)
	v_pk_add_f32 v[52:53], v[52:53], v[142:143] neg_lo:[0,1] neg_hi:[0,1]
	v_pk_fma_f32 v[140:141], v[138:139], v[126:127], v[136:137] op_sel:[0,0,1] op_sel_hi:[1,1,0] neg_lo:[0,0,1] neg_hi:[0,0,1]
	v_pk_fma_f32 v[136:137], v[138:139], v[126:127], v[136:137] op_sel:[0,0,1] op_sel_hi:[1,0,0]
	s_delay_alu instid0(VALU_DEP_1) | instskip(SKIP_4) | instid1(VALU_DEP_1)
	v_mov_b32_e32 v141, v137
	ds_load_2addr_b64 v[136:139], v130 offset0:48 offset1:49
	v_pk_add_f32 v[10:11], v[10:11], v[140:141] neg_lo:[0,1] neg_hi:[0,1]
	s_wait_dscnt 0x0
	v_pk_mul_f32 v[140:141], v[136:137], v[128:129] op_sel:[0,1]
	v_pk_fma_f32 v[142:143], v[136:137], v[126:127], v[140:141] op_sel:[0,0,1] op_sel_hi:[1,1,0] neg_lo:[0,0,1] neg_hi:[0,0,1]
	v_pk_fma_f32 v[136:137], v[136:137], v[126:127], v[140:141] op_sel:[0,0,1] op_sel_hi:[1,0,0]
	v_dual_mul_f32 v140, v139, v129 :: v_dual_mov_b32 v136, v139
	s_delay_alu instid0(VALU_DEP_2) | instskip(NEXT) | instid1(VALU_DEP_2)
	v_dual_mov_b32 v143, v137 :: v_dual_mov_b32 v137, v138
	v_pk_fma_f32 v[140:141], v[138:139], v[110:111], v[140:141] op_sel_hi:[1,1,0] neg_lo:[0,0,1] neg_hi:[0,0,1]
	v_mul_f32_e32 v138, v139, v126
	s_delay_alu instid0(VALU_DEP_3) | instskip(NEXT) | instid1(VALU_DEP_2)
	v_pk_add_f32 v[46:47], v[46:47], v[142:143] neg_lo:[0,1] neg_hi:[0,1]
	v_pk_fma_f32 v[136:137], v[136:137], v[110:111], v[138:139] op_sel_hi:[1,1,0]
	s_delay_alu instid0(VALU_DEP_1) | instskip(SKIP_4) | instid1(VALU_DEP_1)
	v_mov_b32_e32 v141, v137
	ds_load_2addr_b64 v[136:139], v130 offset0:50 offset1:51
	v_pk_add_f32 v[44:45], v[44:45], v[140:141] neg_lo:[0,1] neg_hi:[0,1]
	s_wait_dscnt 0x0
	v_pk_mul_f32 v[140:141], v[136:137], v[128:129] op_sel:[0,1]
	v_pk_fma_f32 v[142:143], v[136:137], v[126:127], v[140:141] op_sel:[0,0,1] op_sel_hi:[1,1,0] neg_lo:[0,0,1] neg_hi:[0,0,1]
	v_pk_fma_f32 v[136:137], v[136:137], v[126:127], v[140:141] op_sel:[0,0,1] op_sel_hi:[1,0,0]
	s_delay_alu instid0(VALU_DEP_1) | instskip(SKIP_1) | instid1(VALU_DEP_1)
	v_mov_b32_e32 v143, v137
	v_pk_mul_f32 v[136:137], v[138:139], v[128:129] op_sel:[0,1]
	v_pk_fma_f32 v[140:141], v[138:139], v[126:127], v[136:137] op_sel:[0,0,1] op_sel_hi:[1,1,0] neg_lo:[0,0,1] neg_hi:[0,0,1]
	v_pk_fma_f32 v[136:137], v[138:139], v[126:127], v[136:137] op_sel:[0,0,1] op_sel_hi:[1,0,0]
	s_delay_alu instid0(VALU_DEP_1)
	v_mov_b32_e32 v141, v137
	ds_load_2addr_b64 v[136:139], v130 offset0:52 offset1:53
	v_pk_add_f32 v[48:49], v[48:49], v[142:143] neg_lo:[0,1] neg_hi:[0,1]
	v_pk_add_f32 v[8:9], v[8:9], v[140:141] neg_lo:[0,1] neg_hi:[0,1]
	s_wait_dscnt 0x0
	v_pk_mul_f32 v[140:141], v[136:137], v[128:129] op_sel:[0,1]
	s_delay_alu instid0(VALU_DEP_1) | instskip(SKIP_1) | instid1(VALU_DEP_1)
	v_pk_fma_f32 v[142:143], v[136:137], v[126:127], v[140:141] op_sel:[0,0,1] op_sel_hi:[1,1,0] neg_lo:[0,0,1] neg_hi:[0,0,1]
	v_pk_fma_f32 v[136:137], v[136:137], v[126:127], v[140:141] op_sel:[0,0,1] op_sel_hi:[1,0,0]
	v_mov_b32_e32 v143, v137
	v_pk_mul_f32 v[136:137], v[138:139], v[128:129] op_sel:[0,1]
	s_delay_alu instid0(VALU_DEP_1) | instskip(SKIP_1) | instid1(VALU_DEP_1)
	v_pk_fma_f32 v[140:141], v[138:139], v[126:127], v[136:137] op_sel:[0,0,1] op_sel_hi:[1,1,0] neg_lo:[0,0,1] neg_hi:[0,0,1]
	v_pk_fma_f32 v[136:137], v[138:139], v[126:127], v[136:137] op_sel:[0,0,1] op_sel_hi:[1,0,0]
	v_mov_b32_e32 v141, v137
	ds_load_2addr_b64 v[136:139], v130 offset0:54 offset1:55
	v_pk_add_f32 v[34:35], v[34:35], v[142:143] neg_lo:[0,1] neg_hi:[0,1]
	v_pk_add_f32 v[28:29], v[28:29], v[140:141] neg_lo:[0,1] neg_hi:[0,1]
	s_wait_dscnt 0x0
	v_dual_mul_f32 v140, v137, v129 :: v_dual_mul_f32 v142, v137, v126
	s_delay_alu instid0(VALU_DEP_1) | instskip(NEXT) | instid1(VALU_DEP_2)
	v_pk_fma_f32 v[140:141], v[136:137], v[110:111], v[140:141] op_sel_hi:[1,1,0] neg_lo:[0,0,1] neg_hi:[0,0,1]
	v_pk_fma_f32 v[136:137], v[136:137], v[110:111], v[142:143] op_sel:[1,0,0] op_sel_hi:[0,1,0]
	s_delay_alu instid0(VALU_DEP_1) | instskip(SKIP_1) | instid1(VALU_DEP_2)
	v_mov_b32_e32 v141, v137
	v_pk_mul_f32 v[136:137], v[138:139], v[128:129] op_sel:[0,1]
	v_pk_add_f32 v[32:33], v[32:33], v[140:141] neg_lo:[0,1] neg_hi:[0,1]
	s_delay_alu instid0(VALU_DEP_2) | instskip(SKIP_1) | instid1(VALU_DEP_1)
	v_pk_fma_f32 v[140:141], v[138:139], v[126:127], v[136:137] op_sel:[0,0,1] op_sel_hi:[1,1,0] neg_lo:[0,0,1] neg_hi:[0,0,1]
	v_pk_fma_f32 v[136:137], v[138:139], v[126:127], v[136:137] op_sel:[0,0,1] op_sel_hi:[1,0,0]
	v_mov_b32_e32 v141, v137
	ds_load_2addr_b64 v[136:139], v130 offset0:56 offset1:57
	v_pk_add_f32 v[6:7], v[6:7], v[140:141] neg_lo:[0,1] neg_hi:[0,1]
	s_wait_dscnt 0x0
	v_pk_mul_f32 v[140:141], v[136:137], v[128:129] op_sel:[0,1]
	s_delay_alu instid0(VALU_DEP_1) | instskip(SKIP_1) | instid1(VALU_DEP_1)
	v_pk_fma_f32 v[142:143], v[136:137], v[126:127], v[140:141] op_sel:[0,0,1] op_sel_hi:[1,1,0] neg_lo:[0,0,1] neg_hi:[0,0,1]
	v_pk_fma_f32 v[136:137], v[136:137], v[126:127], v[140:141] op_sel:[0,0,1] op_sel_hi:[1,0,0]
	v_mov_b32_e32 v143, v137
	v_pk_mul_f32 v[136:137], v[138:139], v[128:129] op_sel:[0,1]
	s_delay_alu instid0(VALU_DEP_2) | instskip(NEXT) | instid1(VALU_DEP_2)
	v_pk_add_f32 v[26:27], v[26:27], v[142:143] neg_lo:[0,1] neg_hi:[0,1]
	v_pk_fma_f32 v[140:141], v[138:139], v[126:127], v[136:137] op_sel:[0,0,1] op_sel_hi:[1,1,0] neg_lo:[0,0,1] neg_hi:[0,0,1]
	v_pk_fma_f32 v[136:137], v[138:139], v[126:127], v[136:137] op_sel:[0,0,1] op_sel_hi:[1,0,0]
	s_delay_alu instid0(VALU_DEP_1)
	v_mov_b32_e32 v141, v137
	ds_load_2addr_b64 v[136:139], v130 offset0:58 offset1:59
	v_pk_add_f32 v[16:17], v[16:17], v[140:141] neg_lo:[0,1] neg_hi:[0,1]
	s_wait_dscnt 0x0
	v_pk_mul_f32 v[140:141], v[136:137], v[128:129] op_sel:[0,1]
	v_mul_f32_e32 v128, v139, v129
	s_delay_alu instid0(VALU_DEP_2) | instskip(SKIP_2) | instid1(VALU_DEP_4)
	v_pk_fma_f32 v[142:143], v[136:137], v[126:127], v[140:141] op_sel:[0,0,1] op_sel_hi:[1,1,0] neg_lo:[0,0,1] neg_hi:[0,0,1]
	v_pk_fma_f32 v[136:137], v[136:137], v[126:127], v[140:141] op_sel:[0,0,1] op_sel_hi:[1,0,0]
	v_dual_mov_b32 v136, v139 :: v_dual_mul_f32 v126, v139, v126
	v_pk_fma_f32 v[128:129], v[138:139], v[110:111], v[128:129] op_sel_hi:[1,1,0] neg_lo:[0,0,1] neg_hi:[0,0,1]
	s_delay_alu instid0(VALU_DEP_3) | instskip(NEXT) | instid1(VALU_DEP_1)
	v_dual_mov_b32 v143, v137 :: v_dual_mov_b32 v137, v138
	v_pk_add_f32 v[14:15], v[14:15], v[142:143] neg_lo:[0,1] neg_hi:[0,1]
	s_delay_alu instid0(VALU_DEP_2) | instskip(NEXT) | instid1(VALU_DEP_1)
	v_pk_fma_f32 v[126:127], v[136:137], v[110:111], v[126:127] op_sel_hi:[1,1,0]
	v_mov_b32_e32 v129, v127
	s_delay_alu instid0(VALU_DEP_1)
	v_pk_add_f32 v[124:125], v[124:125], v[128:129] neg_lo:[0,1] neg_hi:[0,1]
.LBB118_125:
	s_or_b32 exec_lo, exec_lo, s0
	v_lshl_add_u32 v126, v134, 3, v130
	s_barrier_signal -1
	s_barrier_wait -1
	ds_store_b64 v126, v[112:113]
	s_wait_dscnt 0x0
	s_barrier_signal -1
	s_barrier_wait -1
	ds_load_b64 v[128:129], v130 offset:48
	v_mov_b32_e32 v126, 6
	s_cmp_lt_i32 s18, 8
	s_cbranch_scc1 .LBB118_128
; %bb.126:
	v_add3_u32 v127, v131, 0, 56
	v_mov_b32_e32 v126, 6
	s_mov_b32 s0, 7
.LBB118_127:                            ; =>This Inner Loop Header: Depth=1
	ds_load_b64 v[136:137], v127
	s_wait_dscnt 0x1
	v_cmp_gt_f32_e32 vcc_lo, 0, v128
	v_cndmask_b32_e64 v138, v128, -v128, vcc_lo
	v_cmp_gt_f32_e32 vcc_lo, 0, v129
	v_cndmask_b32_e64 v140, v129, -v129, vcc_lo
	s_wait_dscnt 0x0
	v_cmp_gt_f32_e32 vcc_lo, 0, v136
	v_cndmask_b32_e64 v139, v136, -v136, vcc_lo
	v_cmp_gt_f32_e32 vcc_lo, 0, v137
	v_cndmask_b32_e64 v141, v137, -v137, vcc_lo
	s_delay_alu instid0(VALU_DEP_1) | instskip(NEXT) | instid1(VALU_DEP_1)
	v_pk_add_f32 v[138:139], v[138:139], v[140:141]
	v_cmp_lt_f32_e32 vcc_lo, v138, v139
	v_dual_add_nc_u32 v127, 8, v127 :: v_dual_cndmask_b32 v129, v129, v137, vcc_lo
	v_cndmask_b32_e32 v128, v128, v136, vcc_lo
	v_cndmask_b32_e64 v126, v126, s0, vcc_lo
	s_add_co_i32 s0, s0, 1
	s_delay_alu instid0(SALU_CYCLE_1)
	s_cmp_lg_u32 s18, s0
	s_cbranch_scc1 .LBB118_127
.LBB118_128:
	s_wait_dscnt 0x0
	v_cmp_eq_f32_e32 vcc_lo, 0, v128
	v_cmp_eq_f32_e64 s0, 0, v129
	s_and_b32 s0, vcc_lo, s0
	s_delay_alu instid0(SALU_CYCLE_1) | instskip(NEXT) | instid1(SALU_CYCLE_1)
	s_and_saveexec_b32 s1, s0
	s_xor_b32 s0, exec_lo, s1
; %bb.129:
	v_cmp_ne_u32_e32 vcc_lo, 0, v132
	v_cndmask_b32_e32 v132, 7, v132, vcc_lo
; %bb.130:
	s_and_not1_saveexec_b32 s0, s0
	s_cbranch_execz .LBB118_136
; %bb.131:
	v_cmp_ngt_f32_e64 s1, |v128|, |v129|
	s_and_saveexec_b32 s12, s1
	s_delay_alu instid0(SALU_CYCLE_1)
	s_xor_b32 s1, exec_lo, s12
	s_cbranch_execz .LBB118_133
; %bb.132:
	v_div_scale_f32 v127, null, v129, v129, v128
	v_div_scale_f32 v137, vcc_lo, v128, v129, v128
	s_delay_alu instid0(VALU_DEP_2) | instskip(SKIP_1) | instid1(TRANS32_DEP_1)
	v_rcp_f32_e32 v135, v127
	v_nop
	v_fma_f32 v136, -v127, v135, 1.0
	s_delay_alu instid0(VALU_DEP_1) | instskip(NEXT) | instid1(VALU_DEP_1)
	v_fmac_f32_e32 v135, v136, v135
	v_mul_f32_e32 v136, v137, v135
	s_delay_alu instid0(VALU_DEP_1) | instskip(NEXT) | instid1(VALU_DEP_1)
	v_fma_f32 v138, -v127, v136, v137
	v_fmac_f32_e32 v136, v138, v135
	s_delay_alu instid0(VALU_DEP_1) | instskip(NEXT) | instid1(VALU_DEP_1)
	v_fma_f32 v127, -v127, v136, v137
	v_div_fmas_f32 v127, v127, v135, v136
	s_delay_alu instid0(VALU_DEP_1) | instskip(NEXT) | instid1(VALU_DEP_1)
	v_div_fixup_f32 v127, v127, v129, v128
	v_fmac_f32_e32 v129, v128, v127
	s_delay_alu instid0(VALU_DEP_1) | instskip(SKIP_1) | instid1(VALU_DEP_2)
	v_div_scale_f32 v128, null, v129, v129, 1.0
	v_div_scale_f32 v137, vcc_lo, 1.0, v129, 1.0
	v_rcp_f32_e32 v135, v128
	v_nop
	s_delay_alu instid0(TRANS32_DEP_1) | instskip(NEXT) | instid1(VALU_DEP_1)
	v_fma_f32 v136, -v128, v135, 1.0
	v_fmac_f32_e32 v135, v136, v135
	s_delay_alu instid0(VALU_DEP_1) | instskip(NEXT) | instid1(VALU_DEP_1)
	v_mul_f32_e32 v136, v137, v135
	v_fma_f32 v138, -v128, v136, v137
	s_delay_alu instid0(VALU_DEP_1) | instskip(NEXT) | instid1(VALU_DEP_1)
	v_fmac_f32_e32 v136, v138, v135
	v_fma_f32 v128, -v128, v136, v137
	s_delay_alu instid0(VALU_DEP_1) | instskip(NEXT) | instid1(VALU_DEP_1)
	v_div_fmas_f32 v128, v128, v135, v136
	v_div_fixup_f32 v129, v128, v129, 1.0
	s_delay_alu instid0(VALU_DEP_1)
	v_mul_f32_e32 v128, v127, v129
	v_xor_b32_e32 v129, 0x80000000, v129
.LBB118_133:
	s_and_not1_saveexec_b32 s1, s1
	s_cbranch_execz .LBB118_135
; %bb.134:
	s_delay_alu instid0(VALU_DEP_1) | instskip(SKIP_1) | instid1(VALU_DEP_2)
	v_div_scale_f32 v127, null, v128, v128, v129
	v_div_scale_f32 v137, vcc_lo, v129, v128, v129
	v_rcp_f32_e32 v135, v127
	v_nop
	s_delay_alu instid0(TRANS32_DEP_1) | instskip(NEXT) | instid1(VALU_DEP_1)
	v_fma_f32 v136, -v127, v135, 1.0
	v_fmac_f32_e32 v135, v136, v135
	s_delay_alu instid0(VALU_DEP_1) | instskip(NEXT) | instid1(VALU_DEP_1)
	v_mul_f32_e32 v136, v137, v135
	v_fma_f32 v138, -v127, v136, v137
	s_delay_alu instid0(VALU_DEP_1) | instskip(NEXT) | instid1(VALU_DEP_1)
	v_fmac_f32_e32 v136, v138, v135
	v_fma_f32 v127, -v127, v136, v137
	s_delay_alu instid0(VALU_DEP_1) | instskip(NEXT) | instid1(VALU_DEP_1)
	v_div_fmas_f32 v127, v127, v135, v136
	v_div_fixup_f32 v127, v127, v128, v129
	s_delay_alu instid0(VALU_DEP_1) | instskip(NEXT) | instid1(VALU_DEP_1)
	v_fmac_f32_e32 v128, v129, v127
	v_div_scale_f32 v129, null, v128, v128, 1.0
	s_delay_alu instid0(VALU_DEP_1) | instskip(SKIP_1) | instid1(TRANS32_DEP_1)
	v_rcp_f32_e32 v135, v129
	v_nop
	v_fma_f32 v136, -v129, v135, 1.0
	s_delay_alu instid0(VALU_DEP_1) | instskip(SKIP_1) | instid1(VALU_DEP_1)
	v_fmac_f32_e32 v135, v136, v135
	v_div_scale_f32 v136, vcc_lo, 1.0, v128, 1.0
	v_mul_f32_e32 v137, v136, v135
	s_delay_alu instid0(VALU_DEP_1) | instskip(NEXT) | instid1(VALU_DEP_1)
	v_fma_f32 v138, -v129, v137, v136
	v_fmac_f32_e32 v137, v138, v135
	s_delay_alu instid0(VALU_DEP_1) | instskip(NEXT) | instid1(VALU_DEP_1)
	v_fma_f32 v129, -v129, v137, v136
	v_div_fmas_f32 v129, v129, v135, v137
	s_delay_alu instid0(VALU_DEP_1) | instskip(NEXT) | instid1(VALU_DEP_1)
	v_div_fixup_f32 v128, v129, v128, 1.0
	v_mul_f32_e64 v129, v127, -v128
.LBB118_135:
	s_or_b32 exec_lo, exec_lo, s1
.LBB118_136:
	s_delay_alu instid0(SALU_CYCLE_1) | instskip(NEXT) | instid1(SALU_CYCLE_1)
	s_or_b32 exec_lo, exec_lo, s0
	s_mov_b32 s0, exec_lo
	v_cmpx_ne_u32_e64 v134, v126
	s_xor_b32 s0, exec_lo, s0
	s_cbranch_execz .LBB118_142
; %bb.137:
	s_mov_b32 s1, exec_lo
	v_cmpx_eq_u32_e32 6, v134
	s_cbranch_execz .LBB118_141
; %bb.138:
	v_cmp_ne_u32_e32 vcc_lo, 6, v126
	s_xor_b32 s12, s16, -1
	s_delay_alu instid0(SALU_CYCLE_1) | instskip(NEXT) | instid1(SALU_CYCLE_1)
	s_and_b32 s13, s12, vcc_lo
	s_and_saveexec_b32 s12, s13
	s_cbranch_execz .LBB118_140
; %bb.139:
	v_ashrrev_i32_e32 v127, 31, v126
	s_delay_alu instid0(VALU_DEP_1)
	v_lshl_add_u64 v[134:135], v[126:127], 2, v[4:5]
	s_clause 0x1
	global_load_b32 v127, v[134:135], off
	global_load_b32 v133, v[4:5], off offset:24
	s_wait_loadcnt 0x1
	global_store_b32 v[4:5], v127, off offset:24
	s_wait_loadcnt 0x0
	global_store_b32 v[134:135], v133, off
.LBB118_140:
	s_wait_xcnt 0x0
	s_or_b32 exec_lo, exec_lo, s12
	v_dual_mov_b32 v134, v126 :: v_dual_mov_b32 v133, v126
.LBB118_141:
	s_or_b32 exec_lo, exec_lo, s1
.LBB118_142:
	s_and_not1_saveexec_b32 s0, s0
	s_cbranch_execz .LBB118_144
; %bb.143:
	v_mov_b32_e32 v134, 6
	ds_store_2addr_b64 v130, v[42:43], v[108:109] offset0:7 offset1:8
	ds_store_2addr_b64 v130, v[104:105], v[106:107] offset0:9 offset1:10
	;; [unrolled: 1-line block ×26, first 2 shown]
	ds_store_b64 v130, v[124:125] offset:472
.LBB118_144:
	s_or_b32 exec_lo, exec_lo, s0
	s_delay_alu instid0(SALU_CYCLE_1)
	s_mov_b32 s0, exec_lo
	s_wait_storecnt_dscnt 0x0
	s_barrier_signal -1
	s_barrier_wait -1
	v_cmpx_lt_i32_e32 6, v134
	s_cbranch_execz .LBB118_146
; %bb.145:
	v_pk_mul_f32 v[136:137], v[128:129], v[112:113] op_sel:[1,1] op_sel_hi:[0,1]
	s_delay_alu instid0(VALU_DEP_1)
	v_pk_fma_f32 v[126:127], v[128:129], v[112:113], v[136:137] op_sel_hi:[1,0,1] neg_lo:[0,0,1] neg_hi:[0,0,1]
	v_pk_fma_f32 v[128:129], v[128:129], v[112:113], v[136:137] op_sel_hi:[1,0,1]
	ds_load_2addr_b64 v[136:139], v130 offset0:7 offset1:8
	v_dual_mov_b32 v112, v126 :: v_dual_mov_b32 v113, v129
	s_wait_dscnt 0x0
	v_pk_mul_f32 v[140:141], v[136:137], v[128:129] op_sel:[0,1]
	s_delay_alu instid0(VALU_DEP_1) | instskip(SKIP_1) | instid1(VALU_DEP_1)
	v_pk_fma_f32 v[142:143], v[136:137], v[126:127], v[140:141] op_sel:[0,0,1] op_sel_hi:[1,1,0] neg_lo:[0,0,1] neg_hi:[0,0,1]
	v_pk_fma_f32 v[136:137], v[136:137], v[126:127], v[140:141] op_sel:[0,0,1] op_sel_hi:[1,0,0]
	v_mov_b32_e32 v143, v137
	v_pk_mul_f32 v[136:137], v[138:139], v[128:129] op_sel:[0,1]
	s_delay_alu instid0(VALU_DEP_1) | instskip(SKIP_1) | instid1(VALU_DEP_1)
	v_pk_fma_f32 v[140:141], v[138:139], v[126:127], v[136:137] op_sel:[0,0,1] op_sel_hi:[1,1,0] neg_lo:[0,0,1] neg_hi:[0,0,1]
	v_pk_fma_f32 v[136:137], v[138:139], v[126:127], v[136:137] op_sel:[0,0,1] op_sel_hi:[1,0,0]
	v_mov_b32_e32 v141, v137
	ds_load_2addr_b64 v[136:139], v130 offset0:9 offset1:10
	v_pk_add_f32 v[42:43], v[42:43], v[142:143] neg_lo:[0,1] neg_hi:[0,1]
	v_pk_add_f32 v[108:109], v[108:109], v[140:141] neg_lo:[0,1] neg_hi:[0,1]
	s_wait_dscnt 0x0
	v_pk_mul_f32 v[140:141], v[136:137], v[128:129] op_sel:[0,1]
	s_delay_alu instid0(VALU_DEP_1) | instskip(SKIP_2) | instid1(VALU_DEP_2)
	v_pk_fma_f32 v[142:143], v[136:137], v[126:127], v[140:141] op_sel:[0,0,1] op_sel_hi:[1,1,0] neg_lo:[0,0,1] neg_hi:[0,0,1]
	v_pk_fma_f32 v[136:137], v[136:137], v[126:127], v[140:141] op_sel:[0,0,1] op_sel_hi:[1,0,0]
	v_dual_mul_f32 v140, v139, v129 :: v_dual_mov_b32 v136, v139
	v_dual_mov_b32 v143, v137 :: v_dual_mov_b32 v137, v138
	s_delay_alu instid0(VALU_DEP_2) | instskip(SKIP_1) | instid1(VALU_DEP_3)
	v_pk_fma_f32 v[140:141], v[138:139], v[112:113], v[140:141] op_sel_hi:[1,1,0] neg_lo:[0,0,1] neg_hi:[0,0,1]
	v_mul_f32_e32 v138, v139, v126
	v_pk_add_f32 v[104:105], v[104:105], v[142:143] neg_lo:[0,1] neg_hi:[0,1]
	s_delay_alu instid0(VALU_DEP_2) | instskip(NEXT) | instid1(VALU_DEP_1)
	v_pk_fma_f32 v[136:137], v[136:137], v[112:113], v[138:139] op_sel_hi:[1,1,0]
	v_mov_b32_e32 v141, v137
	ds_load_2addr_b64 v[136:139], v130 offset0:11 offset1:12
	v_pk_add_f32 v[106:107], v[106:107], v[140:141] neg_lo:[0,1] neg_hi:[0,1]
	s_wait_dscnt 0x0
	v_pk_mul_f32 v[140:141], v[136:137], v[128:129] op_sel:[0,1]
	s_delay_alu instid0(VALU_DEP_1) | instskip(SKIP_1) | instid1(VALU_DEP_1)
	v_pk_fma_f32 v[142:143], v[136:137], v[126:127], v[140:141] op_sel:[0,0,1] op_sel_hi:[1,1,0] neg_lo:[0,0,1] neg_hi:[0,0,1]
	v_pk_fma_f32 v[136:137], v[136:137], v[126:127], v[140:141] op_sel:[0,0,1] op_sel_hi:[1,0,0]
	v_mov_b32_e32 v143, v137
	v_pk_mul_f32 v[136:137], v[138:139], v[128:129] op_sel:[0,1]
	s_delay_alu instid0(VALU_DEP_1) | instskip(SKIP_1) | instid1(VALU_DEP_1)
	v_pk_fma_f32 v[140:141], v[138:139], v[126:127], v[136:137] op_sel:[0,0,1] op_sel_hi:[1,1,0] neg_lo:[0,0,1] neg_hi:[0,0,1]
	v_pk_fma_f32 v[136:137], v[138:139], v[126:127], v[136:137] op_sel:[0,0,1] op_sel_hi:[1,0,0]
	v_mov_b32_e32 v141, v137
	ds_load_2addr_b64 v[136:139], v130 offset0:13 offset1:14
	v_pk_add_f32 v[40:41], v[40:41], v[142:143] neg_lo:[0,1] neg_hi:[0,1]
	v_pk_add_f32 v[102:103], v[102:103], v[140:141] neg_lo:[0,1] neg_hi:[0,1]
	s_wait_dscnt 0x0
	v_pk_mul_f32 v[140:141], v[136:137], v[128:129] op_sel:[0,1]
	s_delay_alu instid0(VALU_DEP_1) | instskip(SKIP_1) | instid1(VALU_DEP_1)
	v_pk_fma_f32 v[142:143], v[136:137], v[126:127], v[140:141] op_sel:[0,0,1] op_sel_hi:[1,1,0] neg_lo:[0,0,1] neg_hi:[0,0,1]
	v_pk_fma_f32 v[136:137], v[136:137], v[126:127], v[140:141] op_sel:[0,0,1] op_sel_hi:[1,0,0]
	v_mov_b32_e32 v143, v137
	v_pk_mul_f32 v[136:137], v[138:139], v[128:129] op_sel:[0,1]
	s_delay_alu instid0(VALU_DEP_1) | instskip(SKIP_1) | instid1(VALU_DEP_1)
	v_pk_fma_f32 v[140:141], v[138:139], v[126:127], v[136:137] op_sel:[0,0,1] op_sel_hi:[1,1,0] neg_lo:[0,0,1] neg_hi:[0,0,1]
	v_pk_fma_f32 v[136:137], v[138:139], v[126:127], v[136:137] op_sel:[0,0,1] op_sel_hi:[1,0,0]
	v_mov_b32_e32 v141, v137
	ds_load_2addr_b64 v[136:139], v130 offset0:15 offset1:16
	v_pk_add_f32 v[98:99], v[98:99], v[142:143] neg_lo:[0,1] neg_hi:[0,1]
	v_pk_add_f32 v[100:101], v[100:101], v[140:141] neg_lo:[0,1] neg_hi:[0,1]
	s_wait_dscnt 0x0
	v_dual_mul_f32 v140, v137, v129 :: v_dual_mul_f32 v142, v137, v126
	s_delay_alu instid0(VALU_DEP_1) | instskip(NEXT) | instid1(VALU_DEP_2)
	v_pk_fma_f32 v[140:141], v[136:137], v[112:113], v[140:141] op_sel_hi:[1,1,0] neg_lo:[0,0,1] neg_hi:[0,0,1]
	v_pk_fma_f32 v[136:137], v[136:137], v[112:113], v[142:143] op_sel:[1,0,0] op_sel_hi:[0,1,0]
	s_delay_alu instid0(VALU_DEP_1) | instskip(SKIP_1) | instid1(VALU_DEP_2)
	v_mov_b32_e32 v141, v137
	v_pk_mul_f32 v[136:137], v[138:139], v[128:129] op_sel:[0,1]
	v_pk_add_f32 v[38:39], v[38:39], v[140:141] neg_lo:[0,1] neg_hi:[0,1]
	s_delay_alu instid0(VALU_DEP_2) | instskip(SKIP_1) | instid1(VALU_DEP_1)
	v_pk_fma_f32 v[140:141], v[138:139], v[126:127], v[136:137] op_sel:[0,0,1] op_sel_hi:[1,1,0] neg_lo:[0,0,1] neg_hi:[0,0,1]
	v_pk_fma_f32 v[136:137], v[138:139], v[126:127], v[136:137] op_sel:[0,0,1] op_sel_hi:[1,0,0]
	v_mov_b32_e32 v141, v137
	ds_load_2addr_b64 v[136:139], v130 offset0:17 offset1:18
	v_pk_add_f32 v[96:97], v[96:97], v[140:141] neg_lo:[0,1] neg_hi:[0,1]
	s_wait_dscnt 0x0
	v_pk_mul_f32 v[140:141], v[136:137], v[128:129] op_sel:[0,1]
	s_delay_alu instid0(VALU_DEP_1) | instskip(SKIP_1) | instid1(VALU_DEP_1)
	v_pk_fma_f32 v[142:143], v[136:137], v[126:127], v[140:141] op_sel:[0,0,1] op_sel_hi:[1,1,0] neg_lo:[0,0,1] neg_hi:[0,0,1]
	v_pk_fma_f32 v[136:137], v[136:137], v[126:127], v[140:141] op_sel:[0,0,1] op_sel_hi:[1,0,0]
	v_mov_b32_e32 v143, v137
	v_pk_mul_f32 v[136:137], v[138:139], v[128:129] op_sel:[0,1]
	s_delay_alu instid0(VALU_DEP_2) | instskip(NEXT) | instid1(VALU_DEP_2)
	v_pk_add_f32 v[92:93], v[92:93], v[142:143] neg_lo:[0,1] neg_hi:[0,1]
	v_pk_fma_f32 v[140:141], v[138:139], v[126:127], v[136:137] op_sel:[0,0,1] op_sel_hi:[1,1,0] neg_lo:[0,0,1] neg_hi:[0,0,1]
	v_pk_fma_f32 v[136:137], v[138:139], v[126:127], v[136:137] op_sel:[0,0,1] op_sel_hi:[1,0,0]
	s_delay_alu instid0(VALU_DEP_1) | instskip(SKIP_4) | instid1(VALU_DEP_1)
	v_mov_b32_e32 v141, v137
	ds_load_2addr_b64 v[136:139], v130 offset0:19 offset1:20
	v_pk_add_f32 v[94:95], v[94:95], v[140:141] neg_lo:[0,1] neg_hi:[0,1]
	s_wait_dscnt 0x0
	v_pk_mul_f32 v[140:141], v[136:137], v[128:129] op_sel:[0,1]
	v_pk_fma_f32 v[142:143], v[136:137], v[126:127], v[140:141] op_sel:[0,0,1] op_sel_hi:[1,1,0] neg_lo:[0,0,1] neg_hi:[0,0,1]
	v_pk_fma_f32 v[136:137], v[136:137], v[126:127], v[140:141] op_sel:[0,0,1] op_sel_hi:[1,0,0]
	v_dual_mul_f32 v140, v139, v129 :: v_dual_mov_b32 v136, v139
	s_delay_alu instid0(VALU_DEP_2) | instskip(NEXT) | instid1(VALU_DEP_2)
	v_dual_mov_b32 v143, v137 :: v_dual_mov_b32 v137, v138
	v_pk_fma_f32 v[140:141], v[138:139], v[112:113], v[140:141] op_sel_hi:[1,1,0] neg_lo:[0,0,1] neg_hi:[0,0,1]
	v_mul_f32_e32 v138, v139, v126
	s_delay_alu instid0(VALU_DEP_3) | instskip(NEXT) | instid1(VALU_DEP_2)
	v_pk_add_f32 v[36:37], v[36:37], v[142:143] neg_lo:[0,1] neg_hi:[0,1]
	v_pk_fma_f32 v[136:137], v[136:137], v[112:113], v[138:139] op_sel_hi:[1,1,0]
	s_delay_alu instid0(VALU_DEP_1) | instskip(SKIP_4) | instid1(VALU_DEP_1)
	v_mov_b32_e32 v141, v137
	ds_load_2addr_b64 v[136:139], v130 offset0:21 offset1:22
	v_pk_add_f32 v[90:91], v[90:91], v[140:141] neg_lo:[0,1] neg_hi:[0,1]
	s_wait_dscnt 0x0
	v_pk_mul_f32 v[140:141], v[136:137], v[128:129] op_sel:[0,1]
	v_pk_fma_f32 v[142:143], v[136:137], v[126:127], v[140:141] op_sel:[0,0,1] op_sel_hi:[1,1,0] neg_lo:[0,0,1] neg_hi:[0,0,1]
	v_pk_fma_f32 v[136:137], v[136:137], v[126:127], v[140:141] op_sel:[0,0,1] op_sel_hi:[1,0,0]
	s_delay_alu instid0(VALU_DEP_1) | instskip(SKIP_1) | instid1(VALU_DEP_1)
	v_mov_b32_e32 v143, v137
	v_pk_mul_f32 v[136:137], v[138:139], v[128:129] op_sel:[0,1]
	v_pk_fma_f32 v[140:141], v[138:139], v[126:127], v[136:137] op_sel:[0,0,1] op_sel_hi:[1,1,0] neg_lo:[0,0,1] neg_hi:[0,0,1]
	v_pk_fma_f32 v[136:137], v[138:139], v[126:127], v[136:137] op_sel:[0,0,1] op_sel_hi:[1,0,0]
	s_delay_alu instid0(VALU_DEP_1)
	v_mov_b32_e32 v141, v137
	ds_load_2addr_b64 v[136:139], v130 offset0:23 offset1:24
	v_pk_add_f32 v[86:87], v[86:87], v[142:143] neg_lo:[0,1] neg_hi:[0,1]
	v_pk_add_f32 v[88:89], v[88:89], v[140:141] neg_lo:[0,1] neg_hi:[0,1]
	s_wait_dscnt 0x0
	v_pk_mul_f32 v[140:141], v[136:137], v[128:129] op_sel:[0,1]
	s_delay_alu instid0(VALU_DEP_1) | instskip(SKIP_1) | instid1(VALU_DEP_1)
	v_pk_fma_f32 v[142:143], v[136:137], v[126:127], v[140:141] op_sel:[0,0,1] op_sel_hi:[1,1,0] neg_lo:[0,0,1] neg_hi:[0,0,1]
	v_pk_fma_f32 v[136:137], v[136:137], v[126:127], v[140:141] op_sel:[0,0,1] op_sel_hi:[1,0,0]
	v_mov_b32_e32 v143, v137
	v_pk_mul_f32 v[136:137], v[138:139], v[128:129] op_sel:[0,1]
	s_delay_alu instid0(VALU_DEP_1) | instskip(SKIP_1) | instid1(VALU_DEP_1)
	v_pk_fma_f32 v[140:141], v[138:139], v[126:127], v[136:137] op_sel:[0,0,1] op_sel_hi:[1,1,0] neg_lo:[0,0,1] neg_hi:[0,0,1]
	v_pk_fma_f32 v[136:137], v[138:139], v[126:127], v[136:137] op_sel:[0,0,1] op_sel_hi:[1,0,0]
	v_mov_b32_e32 v141, v137
	ds_load_2addr_b64 v[136:139], v130 offset0:25 offset1:26
	v_pk_add_f32 v[30:31], v[30:31], v[142:143] neg_lo:[0,1] neg_hi:[0,1]
	v_pk_add_f32 v[84:85], v[84:85], v[140:141] neg_lo:[0,1] neg_hi:[0,1]
	s_wait_dscnt 0x0
	v_dual_mul_f32 v140, v137, v129 :: v_dual_mul_f32 v142, v137, v126
	s_delay_alu instid0(VALU_DEP_1) | instskip(NEXT) | instid1(VALU_DEP_2)
	v_pk_fma_f32 v[140:141], v[136:137], v[112:113], v[140:141] op_sel_hi:[1,1,0] neg_lo:[0,0,1] neg_hi:[0,0,1]
	v_pk_fma_f32 v[136:137], v[136:137], v[112:113], v[142:143] op_sel:[1,0,0] op_sel_hi:[0,1,0]
	s_delay_alu instid0(VALU_DEP_1) | instskip(SKIP_1) | instid1(VALU_DEP_2)
	v_mov_b32_e32 v141, v137
	v_pk_mul_f32 v[136:137], v[138:139], v[128:129] op_sel:[0,1]
	v_pk_add_f32 v[80:81], v[80:81], v[140:141] neg_lo:[0,1] neg_hi:[0,1]
	s_delay_alu instid0(VALU_DEP_2) | instskip(SKIP_1) | instid1(VALU_DEP_1)
	v_pk_fma_f32 v[140:141], v[138:139], v[126:127], v[136:137] op_sel:[0,0,1] op_sel_hi:[1,1,0] neg_lo:[0,0,1] neg_hi:[0,0,1]
	v_pk_fma_f32 v[136:137], v[138:139], v[126:127], v[136:137] op_sel:[0,0,1] op_sel_hi:[1,0,0]
	v_mov_b32_e32 v141, v137
	ds_load_2addr_b64 v[136:139], v130 offset0:27 offset1:28
	v_pk_add_f32 v[82:83], v[82:83], v[140:141] neg_lo:[0,1] neg_hi:[0,1]
	s_wait_dscnt 0x0
	v_pk_mul_f32 v[140:141], v[136:137], v[128:129] op_sel:[0,1]
	s_delay_alu instid0(VALU_DEP_1) | instskip(SKIP_1) | instid1(VALU_DEP_1)
	v_pk_fma_f32 v[142:143], v[136:137], v[126:127], v[140:141] op_sel:[0,0,1] op_sel_hi:[1,1,0] neg_lo:[0,0,1] neg_hi:[0,0,1]
	v_pk_fma_f32 v[136:137], v[136:137], v[126:127], v[140:141] op_sel:[0,0,1] op_sel_hi:[1,0,0]
	v_mov_b32_e32 v143, v137
	v_pk_mul_f32 v[136:137], v[138:139], v[128:129] op_sel:[0,1]
	s_delay_alu instid0(VALU_DEP_2) | instskip(NEXT) | instid1(VALU_DEP_2)
	v_pk_add_f32 v[24:25], v[24:25], v[142:143] neg_lo:[0,1] neg_hi:[0,1]
	v_pk_fma_f32 v[140:141], v[138:139], v[126:127], v[136:137] op_sel:[0,0,1] op_sel_hi:[1,1,0] neg_lo:[0,0,1] neg_hi:[0,0,1]
	v_pk_fma_f32 v[136:137], v[138:139], v[126:127], v[136:137] op_sel:[0,0,1] op_sel_hi:[1,0,0]
	s_delay_alu instid0(VALU_DEP_1) | instskip(SKIP_4) | instid1(VALU_DEP_1)
	v_mov_b32_e32 v141, v137
	ds_load_2addr_b64 v[136:139], v130 offset0:29 offset1:30
	v_pk_add_f32 v[78:79], v[78:79], v[140:141] neg_lo:[0,1] neg_hi:[0,1]
	s_wait_dscnt 0x0
	v_pk_mul_f32 v[140:141], v[136:137], v[128:129] op_sel:[0,1]
	v_pk_fma_f32 v[142:143], v[136:137], v[126:127], v[140:141] op_sel:[0,0,1] op_sel_hi:[1,1,0] neg_lo:[0,0,1] neg_hi:[0,0,1]
	v_pk_fma_f32 v[136:137], v[136:137], v[126:127], v[140:141] op_sel:[0,0,1] op_sel_hi:[1,0,0]
	v_dual_mul_f32 v140, v139, v129 :: v_dual_mov_b32 v136, v139
	s_delay_alu instid0(VALU_DEP_2) | instskip(NEXT) | instid1(VALU_DEP_2)
	v_dual_mov_b32 v143, v137 :: v_dual_mov_b32 v137, v138
	v_pk_fma_f32 v[140:141], v[138:139], v[112:113], v[140:141] op_sel_hi:[1,1,0] neg_lo:[0,0,1] neg_hi:[0,0,1]
	v_mul_f32_e32 v138, v139, v126
	s_delay_alu instid0(VALU_DEP_3) | instskip(NEXT) | instid1(VALU_DEP_2)
	v_pk_add_f32 v[74:75], v[74:75], v[142:143] neg_lo:[0,1] neg_hi:[0,1]
	v_pk_fma_f32 v[136:137], v[136:137], v[112:113], v[138:139] op_sel_hi:[1,1,0]
	s_delay_alu instid0(VALU_DEP_1) | instskip(SKIP_4) | instid1(VALU_DEP_1)
	v_mov_b32_e32 v141, v137
	ds_load_2addr_b64 v[136:139], v130 offset0:31 offset1:32
	v_pk_add_f32 v[76:77], v[76:77], v[140:141] neg_lo:[0,1] neg_hi:[0,1]
	s_wait_dscnt 0x0
	v_pk_mul_f32 v[140:141], v[136:137], v[128:129] op_sel:[0,1]
	v_pk_fma_f32 v[142:143], v[136:137], v[126:127], v[140:141] op_sel:[0,0,1] op_sel_hi:[1,1,0] neg_lo:[0,0,1] neg_hi:[0,0,1]
	v_pk_fma_f32 v[136:137], v[136:137], v[126:127], v[140:141] op_sel:[0,0,1] op_sel_hi:[1,0,0]
	s_delay_alu instid0(VALU_DEP_1) | instskip(SKIP_1) | instid1(VALU_DEP_1)
	v_mov_b32_e32 v143, v137
	v_pk_mul_f32 v[136:137], v[138:139], v[128:129] op_sel:[0,1]
	v_pk_fma_f32 v[140:141], v[138:139], v[126:127], v[136:137] op_sel:[0,0,1] op_sel_hi:[1,1,0] neg_lo:[0,0,1] neg_hi:[0,0,1]
	v_pk_fma_f32 v[136:137], v[138:139], v[126:127], v[136:137] op_sel:[0,0,1] op_sel_hi:[1,0,0]
	s_delay_alu instid0(VALU_DEP_1)
	v_mov_b32_e32 v141, v137
	ds_load_2addr_b64 v[136:139], v130 offset0:33 offset1:34
	v_pk_add_f32 v[22:23], v[22:23], v[142:143] neg_lo:[0,1] neg_hi:[0,1]
	v_pk_add_f32 v[72:73], v[72:73], v[140:141] neg_lo:[0,1] neg_hi:[0,1]
	s_wait_dscnt 0x0
	v_pk_mul_f32 v[140:141], v[136:137], v[128:129] op_sel:[0,1]
	s_delay_alu instid0(VALU_DEP_1) | instskip(SKIP_1) | instid1(VALU_DEP_1)
	v_pk_fma_f32 v[142:143], v[136:137], v[126:127], v[140:141] op_sel:[0,0,1] op_sel_hi:[1,1,0] neg_lo:[0,0,1] neg_hi:[0,0,1]
	v_pk_fma_f32 v[136:137], v[136:137], v[126:127], v[140:141] op_sel:[0,0,1] op_sel_hi:[1,0,0]
	v_mov_b32_e32 v143, v137
	v_pk_mul_f32 v[136:137], v[138:139], v[128:129] op_sel:[0,1]
	s_delay_alu instid0(VALU_DEP_1) | instskip(SKIP_1) | instid1(VALU_DEP_1)
	v_pk_fma_f32 v[140:141], v[138:139], v[126:127], v[136:137] op_sel:[0,0,1] op_sel_hi:[1,1,0] neg_lo:[0,0,1] neg_hi:[0,0,1]
	v_pk_fma_f32 v[136:137], v[138:139], v[126:127], v[136:137] op_sel:[0,0,1] op_sel_hi:[1,0,0]
	v_mov_b32_e32 v141, v137
	ds_load_2addr_b64 v[136:139], v130 offset0:35 offset1:36
	v_pk_add_f32 v[68:69], v[68:69], v[142:143] neg_lo:[0,1] neg_hi:[0,1]
	v_pk_add_f32 v[70:71], v[70:71], v[140:141] neg_lo:[0,1] neg_hi:[0,1]
	s_wait_dscnt 0x0
	v_dual_mul_f32 v140, v137, v129 :: v_dual_mul_f32 v142, v137, v126
	s_delay_alu instid0(VALU_DEP_1) | instskip(NEXT) | instid1(VALU_DEP_2)
	v_pk_fma_f32 v[140:141], v[136:137], v[112:113], v[140:141] op_sel_hi:[1,1,0] neg_lo:[0,0,1] neg_hi:[0,0,1]
	v_pk_fma_f32 v[136:137], v[136:137], v[112:113], v[142:143] op_sel:[1,0,0] op_sel_hi:[0,1,0]
	s_delay_alu instid0(VALU_DEP_1) | instskip(SKIP_1) | instid1(VALU_DEP_2)
	v_mov_b32_e32 v141, v137
	v_pk_mul_f32 v[136:137], v[138:139], v[128:129] op_sel:[0,1]
	v_pk_add_f32 v[20:21], v[20:21], v[140:141] neg_lo:[0,1] neg_hi:[0,1]
	s_delay_alu instid0(VALU_DEP_2) | instskip(SKIP_1) | instid1(VALU_DEP_1)
	v_pk_fma_f32 v[140:141], v[138:139], v[126:127], v[136:137] op_sel:[0,0,1] op_sel_hi:[1,1,0] neg_lo:[0,0,1] neg_hi:[0,0,1]
	v_pk_fma_f32 v[136:137], v[138:139], v[126:127], v[136:137] op_sel:[0,0,1] op_sel_hi:[1,0,0]
	v_mov_b32_e32 v141, v137
	ds_load_2addr_b64 v[136:139], v130 offset0:37 offset1:38
	v_pk_add_f32 v[66:67], v[66:67], v[140:141] neg_lo:[0,1] neg_hi:[0,1]
	s_wait_dscnt 0x0
	v_pk_mul_f32 v[140:141], v[136:137], v[128:129] op_sel:[0,1]
	s_delay_alu instid0(VALU_DEP_1) | instskip(SKIP_1) | instid1(VALU_DEP_1)
	v_pk_fma_f32 v[142:143], v[136:137], v[126:127], v[140:141] op_sel:[0,0,1] op_sel_hi:[1,1,0] neg_lo:[0,0,1] neg_hi:[0,0,1]
	v_pk_fma_f32 v[136:137], v[136:137], v[126:127], v[140:141] op_sel:[0,0,1] op_sel_hi:[1,0,0]
	v_mov_b32_e32 v143, v137
	v_pk_mul_f32 v[136:137], v[138:139], v[128:129] op_sel:[0,1]
	s_delay_alu instid0(VALU_DEP_2) | instskip(NEXT) | instid1(VALU_DEP_2)
	v_pk_add_f32 v[62:63], v[62:63], v[142:143] neg_lo:[0,1] neg_hi:[0,1]
	v_pk_fma_f32 v[140:141], v[138:139], v[126:127], v[136:137] op_sel:[0,0,1] op_sel_hi:[1,1,0] neg_lo:[0,0,1] neg_hi:[0,0,1]
	v_pk_fma_f32 v[136:137], v[138:139], v[126:127], v[136:137] op_sel:[0,0,1] op_sel_hi:[1,0,0]
	s_delay_alu instid0(VALU_DEP_1) | instskip(SKIP_4) | instid1(VALU_DEP_1)
	v_mov_b32_e32 v141, v137
	ds_load_2addr_b64 v[136:139], v130 offset0:39 offset1:40
	v_pk_add_f32 v[64:65], v[64:65], v[140:141] neg_lo:[0,1] neg_hi:[0,1]
	s_wait_dscnt 0x0
	v_pk_mul_f32 v[140:141], v[136:137], v[128:129] op_sel:[0,1]
	v_pk_fma_f32 v[142:143], v[136:137], v[126:127], v[140:141] op_sel:[0,0,1] op_sel_hi:[1,1,0] neg_lo:[0,0,1] neg_hi:[0,0,1]
	v_pk_fma_f32 v[136:137], v[136:137], v[126:127], v[140:141] op_sel:[0,0,1] op_sel_hi:[1,0,0]
	v_dual_mul_f32 v140, v139, v129 :: v_dual_mov_b32 v136, v139
	s_delay_alu instid0(VALU_DEP_2) | instskip(NEXT) | instid1(VALU_DEP_2)
	v_dual_mov_b32 v143, v137 :: v_dual_mov_b32 v137, v138
	v_pk_fma_f32 v[140:141], v[138:139], v[112:113], v[140:141] op_sel_hi:[1,1,0] neg_lo:[0,0,1] neg_hi:[0,0,1]
	v_mul_f32_e32 v138, v139, v126
	s_delay_alu instid0(VALU_DEP_3) | instskip(NEXT) | instid1(VALU_DEP_2)
	v_pk_add_f32 v[18:19], v[18:19], v[142:143] neg_lo:[0,1] neg_hi:[0,1]
	v_pk_fma_f32 v[136:137], v[136:137], v[112:113], v[138:139] op_sel_hi:[1,1,0]
	s_delay_alu instid0(VALU_DEP_1) | instskip(SKIP_4) | instid1(VALU_DEP_1)
	v_mov_b32_e32 v141, v137
	ds_load_2addr_b64 v[136:139], v130 offset0:41 offset1:42
	v_pk_add_f32 v[60:61], v[60:61], v[140:141] neg_lo:[0,1] neg_hi:[0,1]
	s_wait_dscnt 0x0
	v_pk_mul_f32 v[140:141], v[136:137], v[128:129] op_sel:[0,1]
	v_pk_fma_f32 v[142:143], v[136:137], v[126:127], v[140:141] op_sel:[0,0,1] op_sel_hi:[1,1,0] neg_lo:[0,0,1] neg_hi:[0,0,1]
	v_pk_fma_f32 v[136:137], v[136:137], v[126:127], v[140:141] op_sel:[0,0,1] op_sel_hi:[1,0,0]
	s_delay_alu instid0(VALU_DEP_1) | instskip(SKIP_1) | instid1(VALU_DEP_1)
	v_mov_b32_e32 v143, v137
	v_pk_mul_f32 v[136:137], v[138:139], v[128:129] op_sel:[0,1]
	v_pk_fma_f32 v[140:141], v[138:139], v[126:127], v[136:137] op_sel:[0,0,1] op_sel_hi:[1,1,0] neg_lo:[0,0,1] neg_hi:[0,0,1]
	v_pk_fma_f32 v[136:137], v[138:139], v[126:127], v[136:137] op_sel:[0,0,1] op_sel_hi:[1,0,0]
	s_delay_alu instid0(VALU_DEP_1)
	v_mov_b32_e32 v141, v137
	ds_load_2addr_b64 v[136:139], v130 offset0:43 offset1:44
	v_pk_add_f32 v[56:57], v[56:57], v[142:143] neg_lo:[0,1] neg_hi:[0,1]
	v_pk_add_f32 v[58:59], v[58:59], v[140:141] neg_lo:[0,1] neg_hi:[0,1]
	s_wait_dscnt 0x0
	v_pk_mul_f32 v[140:141], v[136:137], v[128:129] op_sel:[0,1]
	s_delay_alu instid0(VALU_DEP_1) | instskip(SKIP_1) | instid1(VALU_DEP_1)
	v_pk_fma_f32 v[142:143], v[136:137], v[126:127], v[140:141] op_sel:[0,0,1] op_sel_hi:[1,1,0] neg_lo:[0,0,1] neg_hi:[0,0,1]
	v_pk_fma_f32 v[136:137], v[136:137], v[126:127], v[140:141] op_sel:[0,0,1] op_sel_hi:[1,0,0]
	v_mov_b32_e32 v143, v137
	v_pk_mul_f32 v[136:137], v[138:139], v[128:129] op_sel:[0,1]
	s_delay_alu instid0(VALU_DEP_1) | instskip(SKIP_1) | instid1(VALU_DEP_1)
	v_pk_fma_f32 v[140:141], v[138:139], v[126:127], v[136:137] op_sel:[0,0,1] op_sel_hi:[1,1,0] neg_lo:[0,0,1] neg_hi:[0,0,1]
	v_pk_fma_f32 v[136:137], v[138:139], v[126:127], v[136:137] op_sel:[0,0,1] op_sel_hi:[1,0,0]
	v_mov_b32_e32 v141, v137
	ds_load_2addr_b64 v[136:139], v130 offset0:45 offset1:46
	v_pk_add_f32 v[12:13], v[12:13], v[142:143] neg_lo:[0,1] neg_hi:[0,1]
	v_pk_add_f32 v[54:55], v[54:55], v[140:141] neg_lo:[0,1] neg_hi:[0,1]
	s_wait_dscnt 0x0
	v_dual_mul_f32 v140, v137, v129 :: v_dual_mul_f32 v142, v137, v126
	s_delay_alu instid0(VALU_DEP_1) | instskip(NEXT) | instid1(VALU_DEP_2)
	v_pk_fma_f32 v[140:141], v[136:137], v[112:113], v[140:141] op_sel_hi:[1,1,0] neg_lo:[0,0,1] neg_hi:[0,0,1]
	v_pk_fma_f32 v[136:137], v[136:137], v[112:113], v[142:143] op_sel:[1,0,0] op_sel_hi:[0,1,0]
	s_delay_alu instid0(VALU_DEP_1) | instskip(SKIP_1) | instid1(VALU_DEP_2)
	v_mov_b32_e32 v141, v137
	v_pk_mul_f32 v[136:137], v[138:139], v[128:129] op_sel:[0,1]
	v_pk_add_f32 v[50:51], v[50:51], v[140:141] neg_lo:[0,1] neg_hi:[0,1]
	s_delay_alu instid0(VALU_DEP_2) | instskip(SKIP_1) | instid1(VALU_DEP_1)
	v_pk_fma_f32 v[140:141], v[138:139], v[126:127], v[136:137] op_sel:[0,0,1] op_sel_hi:[1,1,0] neg_lo:[0,0,1] neg_hi:[0,0,1]
	v_pk_fma_f32 v[136:137], v[138:139], v[126:127], v[136:137] op_sel:[0,0,1] op_sel_hi:[1,0,0]
	v_mov_b32_e32 v141, v137
	ds_load_2addr_b64 v[136:139], v130 offset0:47 offset1:48
	v_pk_add_f32 v[52:53], v[52:53], v[140:141] neg_lo:[0,1] neg_hi:[0,1]
	s_wait_dscnt 0x0
	v_pk_mul_f32 v[140:141], v[136:137], v[128:129] op_sel:[0,1]
	s_delay_alu instid0(VALU_DEP_1) | instskip(SKIP_1) | instid1(VALU_DEP_1)
	v_pk_fma_f32 v[142:143], v[136:137], v[126:127], v[140:141] op_sel:[0,0,1] op_sel_hi:[1,1,0] neg_lo:[0,0,1] neg_hi:[0,0,1]
	v_pk_fma_f32 v[136:137], v[136:137], v[126:127], v[140:141] op_sel:[0,0,1] op_sel_hi:[1,0,0]
	v_mov_b32_e32 v143, v137
	v_pk_mul_f32 v[136:137], v[138:139], v[128:129] op_sel:[0,1]
	s_delay_alu instid0(VALU_DEP_2) | instskip(NEXT) | instid1(VALU_DEP_2)
	v_pk_add_f32 v[10:11], v[10:11], v[142:143] neg_lo:[0,1] neg_hi:[0,1]
	v_pk_fma_f32 v[140:141], v[138:139], v[126:127], v[136:137] op_sel:[0,0,1] op_sel_hi:[1,1,0] neg_lo:[0,0,1] neg_hi:[0,0,1]
	v_pk_fma_f32 v[136:137], v[138:139], v[126:127], v[136:137] op_sel:[0,0,1] op_sel_hi:[1,0,0]
	s_delay_alu instid0(VALU_DEP_1) | instskip(SKIP_4) | instid1(VALU_DEP_1)
	v_mov_b32_e32 v141, v137
	ds_load_2addr_b64 v[136:139], v130 offset0:49 offset1:50
	v_pk_add_f32 v[46:47], v[46:47], v[140:141] neg_lo:[0,1] neg_hi:[0,1]
	s_wait_dscnt 0x0
	v_pk_mul_f32 v[140:141], v[136:137], v[128:129] op_sel:[0,1]
	v_pk_fma_f32 v[142:143], v[136:137], v[126:127], v[140:141] op_sel:[0,0,1] op_sel_hi:[1,1,0] neg_lo:[0,0,1] neg_hi:[0,0,1]
	v_pk_fma_f32 v[136:137], v[136:137], v[126:127], v[140:141] op_sel:[0,0,1] op_sel_hi:[1,0,0]
	v_dual_mul_f32 v140, v139, v129 :: v_dual_mov_b32 v136, v139
	s_delay_alu instid0(VALU_DEP_2) | instskip(NEXT) | instid1(VALU_DEP_2)
	v_dual_mov_b32 v143, v137 :: v_dual_mov_b32 v137, v138
	v_pk_fma_f32 v[140:141], v[138:139], v[112:113], v[140:141] op_sel_hi:[1,1,0] neg_lo:[0,0,1] neg_hi:[0,0,1]
	v_mul_f32_e32 v138, v139, v126
	s_delay_alu instid0(VALU_DEP_3) | instskip(NEXT) | instid1(VALU_DEP_2)
	v_pk_add_f32 v[44:45], v[44:45], v[142:143] neg_lo:[0,1] neg_hi:[0,1]
	v_pk_fma_f32 v[136:137], v[136:137], v[112:113], v[138:139] op_sel_hi:[1,1,0]
	s_delay_alu instid0(VALU_DEP_1) | instskip(SKIP_4) | instid1(VALU_DEP_1)
	v_mov_b32_e32 v141, v137
	ds_load_2addr_b64 v[136:139], v130 offset0:51 offset1:52
	v_pk_add_f32 v[48:49], v[48:49], v[140:141] neg_lo:[0,1] neg_hi:[0,1]
	s_wait_dscnt 0x0
	v_pk_mul_f32 v[140:141], v[136:137], v[128:129] op_sel:[0,1]
	v_pk_fma_f32 v[142:143], v[136:137], v[126:127], v[140:141] op_sel:[0,0,1] op_sel_hi:[1,1,0] neg_lo:[0,0,1] neg_hi:[0,0,1]
	v_pk_fma_f32 v[136:137], v[136:137], v[126:127], v[140:141] op_sel:[0,0,1] op_sel_hi:[1,0,0]
	s_delay_alu instid0(VALU_DEP_1) | instskip(SKIP_1) | instid1(VALU_DEP_1)
	v_mov_b32_e32 v143, v137
	v_pk_mul_f32 v[136:137], v[138:139], v[128:129] op_sel:[0,1]
	v_pk_fma_f32 v[140:141], v[138:139], v[126:127], v[136:137] op_sel:[0,0,1] op_sel_hi:[1,1,0] neg_lo:[0,0,1] neg_hi:[0,0,1]
	v_pk_fma_f32 v[136:137], v[138:139], v[126:127], v[136:137] op_sel:[0,0,1] op_sel_hi:[1,0,0]
	s_delay_alu instid0(VALU_DEP_1)
	v_mov_b32_e32 v141, v137
	ds_load_2addr_b64 v[136:139], v130 offset0:53 offset1:54
	v_pk_add_f32 v[8:9], v[8:9], v[142:143] neg_lo:[0,1] neg_hi:[0,1]
	v_pk_add_f32 v[34:35], v[34:35], v[140:141] neg_lo:[0,1] neg_hi:[0,1]
	s_wait_dscnt 0x0
	v_pk_mul_f32 v[140:141], v[136:137], v[128:129] op_sel:[0,1]
	s_delay_alu instid0(VALU_DEP_1) | instskip(SKIP_1) | instid1(VALU_DEP_1)
	v_pk_fma_f32 v[142:143], v[136:137], v[126:127], v[140:141] op_sel:[0,0,1] op_sel_hi:[1,1,0] neg_lo:[0,0,1] neg_hi:[0,0,1]
	v_pk_fma_f32 v[136:137], v[136:137], v[126:127], v[140:141] op_sel:[0,0,1] op_sel_hi:[1,0,0]
	v_mov_b32_e32 v143, v137
	v_pk_mul_f32 v[136:137], v[138:139], v[128:129] op_sel:[0,1]
	s_delay_alu instid0(VALU_DEP_1) | instskip(SKIP_1) | instid1(VALU_DEP_1)
	v_pk_fma_f32 v[140:141], v[138:139], v[126:127], v[136:137] op_sel:[0,0,1] op_sel_hi:[1,1,0] neg_lo:[0,0,1] neg_hi:[0,0,1]
	v_pk_fma_f32 v[136:137], v[138:139], v[126:127], v[136:137] op_sel:[0,0,1] op_sel_hi:[1,0,0]
	v_mov_b32_e32 v141, v137
	ds_load_2addr_b64 v[136:139], v130 offset0:55 offset1:56
	v_pk_add_f32 v[28:29], v[28:29], v[142:143] neg_lo:[0,1] neg_hi:[0,1]
	v_pk_add_f32 v[32:33], v[32:33], v[140:141] neg_lo:[0,1] neg_hi:[0,1]
	s_wait_dscnt 0x0
	v_dual_mul_f32 v140, v137, v129 :: v_dual_mul_f32 v142, v137, v126
	s_delay_alu instid0(VALU_DEP_1) | instskip(NEXT) | instid1(VALU_DEP_2)
	v_pk_fma_f32 v[140:141], v[136:137], v[112:113], v[140:141] op_sel_hi:[1,1,0] neg_lo:[0,0,1] neg_hi:[0,0,1]
	v_pk_fma_f32 v[136:137], v[136:137], v[112:113], v[142:143] op_sel:[1,0,0] op_sel_hi:[0,1,0]
	s_delay_alu instid0(VALU_DEP_1) | instskip(SKIP_1) | instid1(VALU_DEP_2)
	v_mov_b32_e32 v141, v137
	v_pk_mul_f32 v[136:137], v[138:139], v[128:129] op_sel:[0,1]
	v_pk_add_f32 v[6:7], v[6:7], v[140:141] neg_lo:[0,1] neg_hi:[0,1]
	s_delay_alu instid0(VALU_DEP_2) | instskip(SKIP_1) | instid1(VALU_DEP_1)
	v_pk_fma_f32 v[140:141], v[138:139], v[126:127], v[136:137] op_sel:[0,0,1] op_sel_hi:[1,1,0] neg_lo:[0,0,1] neg_hi:[0,0,1]
	v_pk_fma_f32 v[136:137], v[138:139], v[126:127], v[136:137] op_sel:[0,0,1] op_sel_hi:[1,0,0]
	v_mov_b32_e32 v141, v137
	ds_load_2addr_b64 v[136:139], v130 offset0:57 offset1:58
	v_pk_add_f32 v[26:27], v[26:27], v[140:141] neg_lo:[0,1] neg_hi:[0,1]
	s_wait_dscnt 0x0
	v_pk_mul_f32 v[140:141], v[136:137], v[128:129] op_sel:[0,1]
	s_delay_alu instid0(VALU_DEP_1) | instskip(SKIP_1) | instid1(VALU_DEP_1)
	v_pk_fma_f32 v[142:143], v[136:137], v[126:127], v[140:141] op_sel:[0,0,1] op_sel_hi:[1,1,0] neg_lo:[0,0,1] neg_hi:[0,0,1]
	v_pk_fma_f32 v[136:137], v[136:137], v[126:127], v[140:141] op_sel:[0,0,1] op_sel_hi:[1,0,0]
	v_mov_b32_e32 v143, v137
	v_pk_mul_f32 v[136:137], v[138:139], v[128:129] op_sel:[0,1]
	s_delay_alu instid0(VALU_DEP_2) | instskip(NEXT) | instid1(VALU_DEP_2)
	v_pk_add_f32 v[16:17], v[16:17], v[142:143] neg_lo:[0,1] neg_hi:[0,1]
	v_pk_fma_f32 v[140:141], v[138:139], v[126:127], v[136:137] op_sel:[0,0,1] op_sel_hi:[1,1,0] neg_lo:[0,0,1] neg_hi:[0,0,1]
	v_pk_fma_f32 v[136:137], v[138:139], v[126:127], v[136:137] op_sel:[0,0,1] op_sel_hi:[1,0,0]
	s_delay_alu instid0(VALU_DEP_1) | instskip(SKIP_4) | instid1(VALU_DEP_1)
	v_mov_b32_e32 v141, v137
	ds_load_b64 v[136:137], v130 offset:472
	v_pk_add_f32 v[14:15], v[14:15], v[140:141] neg_lo:[0,1] neg_hi:[0,1]
	s_wait_dscnt 0x0
	v_pk_mul_f32 v[128:129], v[136:137], v[128:129] op_sel:[0,1]
	v_pk_fma_f32 v[138:139], v[136:137], v[126:127], v[128:129] op_sel:[0,0,1] op_sel_hi:[1,1,0] neg_lo:[0,0,1] neg_hi:[0,0,1]
	v_pk_fma_f32 v[126:127], v[136:137], v[126:127], v[128:129] op_sel:[0,0,1] op_sel_hi:[1,0,0]
	s_delay_alu instid0(VALU_DEP_1) | instskip(NEXT) | instid1(VALU_DEP_1)
	v_mov_b32_e32 v139, v127
	v_pk_add_f32 v[124:125], v[124:125], v[138:139] neg_lo:[0,1] neg_hi:[0,1]
.LBB118_146:
	s_or_b32 exec_lo, exec_lo, s0
	v_lshl_add_u32 v126, v134, 3, v130
	s_barrier_signal -1
	s_barrier_wait -1
	ds_store_b64 v126, v[42:43]
	s_wait_dscnt 0x0
	s_barrier_signal -1
	s_barrier_wait -1
	ds_load_b64 v[128:129], v130 offset:56
	v_mov_b32_e32 v126, 7
	s_cmp_lt_i32 s18, 9
	s_cbranch_scc1 .LBB118_149
; %bb.147:
	v_add3_u32 v127, v131, 0, 64
	v_mov_b32_e32 v126, 7
	s_mov_b32 s0, 8
.LBB118_148:                            ; =>This Inner Loop Header: Depth=1
	ds_load_b64 v[136:137], v127
	s_wait_dscnt 0x1
	v_cmp_gt_f32_e32 vcc_lo, 0, v128
	v_cndmask_b32_e64 v138, v128, -v128, vcc_lo
	v_cmp_gt_f32_e32 vcc_lo, 0, v129
	v_cndmask_b32_e64 v140, v129, -v129, vcc_lo
	s_wait_dscnt 0x0
	v_cmp_gt_f32_e32 vcc_lo, 0, v136
	v_cndmask_b32_e64 v139, v136, -v136, vcc_lo
	v_cmp_gt_f32_e32 vcc_lo, 0, v137
	v_cndmask_b32_e64 v141, v137, -v137, vcc_lo
	s_delay_alu instid0(VALU_DEP_1) | instskip(NEXT) | instid1(VALU_DEP_1)
	v_pk_add_f32 v[138:139], v[138:139], v[140:141]
	v_cmp_lt_f32_e32 vcc_lo, v138, v139
	v_dual_add_nc_u32 v127, 8, v127 :: v_dual_cndmask_b32 v129, v129, v137, vcc_lo
	v_cndmask_b32_e32 v128, v128, v136, vcc_lo
	v_cndmask_b32_e64 v126, v126, s0, vcc_lo
	s_add_co_i32 s0, s0, 1
	s_delay_alu instid0(SALU_CYCLE_1)
	s_cmp_lg_u32 s18, s0
	s_cbranch_scc1 .LBB118_148
.LBB118_149:
	s_wait_dscnt 0x0
	v_cmp_eq_f32_e32 vcc_lo, 0, v128
	v_cmp_eq_f32_e64 s0, 0, v129
	s_and_b32 s0, vcc_lo, s0
	s_delay_alu instid0(SALU_CYCLE_1) | instskip(NEXT) | instid1(SALU_CYCLE_1)
	s_and_saveexec_b32 s1, s0
	s_xor_b32 s0, exec_lo, s1
; %bb.150:
	v_cmp_ne_u32_e32 vcc_lo, 0, v132
	v_cndmask_b32_e32 v132, 8, v132, vcc_lo
; %bb.151:
	s_and_not1_saveexec_b32 s0, s0
	s_cbranch_execz .LBB118_157
; %bb.152:
	v_cmp_ngt_f32_e64 s1, |v128|, |v129|
	s_and_saveexec_b32 s12, s1
	s_delay_alu instid0(SALU_CYCLE_1)
	s_xor_b32 s1, exec_lo, s12
	s_cbranch_execz .LBB118_154
; %bb.153:
	v_div_scale_f32 v127, null, v129, v129, v128
	v_div_scale_f32 v137, vcc_lo, v128, v129, v128
	s_delay_alu instid0(VALU_DEP_2) | instskip(SKIP_1) | instid1(TRANS32_DEP_1)
	v_rcp_f32_e32 v135, v127
	v_nop
	v_fma_f32 v136, -v127, v135, 1.0
	s_delay_alu instid0(VALU_DEP_1) | instskip(NEXT) | instid1(VALU_DEP_1)
	v_fmac_f32_e32 v135, v136, v135
	v_mul_f32_e32 v136, v137, v135
	s_delay_alu instid0(VALU_DEP_1) | instskip(NEXT) | instid1(VALU_DEP_1)
	v_fma_f32 v138, -v127, v136, v137
	v_fmac_f32_e32 v136, v138, v135
	s_delay_alu instid0(VALU_DEP_1) | instskip(NEXT) | instid1(VALU_DEP_1)
	v_fma_f32 v127, -v127, v136, v137
	v_div_fmas_f32 v127, v127, v135, v136
	s_delay_alu instid0(VALU_DEP_1) | instskip(NEXT) | instid1(VALU_DEP_1)
	v_div_fixup_f32 v127, v127, v129, v128
	v_fmac_f32_e32 v129, v128, v127
	s_delay_alu instid0(VALU_DEP_1) | instskip(SKIP_1) | instid1(VALU_DEP_2)
	v_div_scale_f32 v128, null, v129, v129, 1.0
	v_div_scale_f32 v137, vcc_lo, 1.0, v129, 1.0
	v_rcp_f32_e32 v135, v128
	v_nop
	s_delay_alu instid0(TRANS32_DEP_1) | instskip(NEXT) | instid1(VALU_DEP_1)
	v_fma_f32 v136, -v128, v135, 1.0
	v_fmac_f32_e32 v135, v136, v135
	s_delay_alu instid0(VALU_DEP_1) | instskip(NEXT) | instid1(VALU_DEP_1)
	v_mul_f32_e32 v136, v137, v135
	v_fma_f32 v138, -v128, v136, v137
	s_delay_alu instid0(VALU_DEP_1) | instskip(NEXT) | instid1(VALU_DEP_1)
	v_fmac_f32_e32 v136, v138, v135
	v_fma_f32 v128, -v128, v136, v137
	s_delay_alu instid0(VALU_DEP_1) | instskip(NEXT) | instid1(VALU_DEP_1)
	v_div_fmas_f32 v128, v128, v135, v136
	v_div_fixup_f32 v129, v128, v129, 1.0
	s_delay_alu instid0(VALU_DEP_1)
	v_mul_f32_e32 v128, v127, v129
	v_xor_b32_e32 v129, 0x80000000, v129
.LBB118_154:
	s_and_not1_saveexec_b32 s1, s1
	s_cbranch_execz .LBB118_156
; %bb.155:
	s_delay_alu instid0(VALU_DEP_1) | instskip(SKIP_1) | instid1(VALU_DEP_2)
	v_div_scale_f32 v127, null, v128, v128, v129
	v_div_scale_f32 v137, vcc_lo, v129, v128, v129
	v_rcp_f32_e32 v135, v127
	v_nop
	s_delay_alu instid0(TRANS32_DEP_1) | instskip(NEXT) | instid1(VALU_DEP_1)
	v_fma_f32 v136, -v127, v135, 1.0
	v_fmac_f32_e32 v135, v136, v135
	s_delay_alu instid0(VALU_DEP_1) | instskip(NEXT) | instid1(VALU_DEP_1)
	v_mul_f32_e32 v136, v137, v135
	v_fma_f32 v138, -v127, v136, v137
	s_delay_alu instid0(VALU_DEP_1) | instskip(NEXT) | instid1(VALU_DEP_1)
	v_fmac_f32_e32 v136, v138, v135
	v_fma_f32 v127, -v127, v136, v137
	s_delay_alu instid0(VALU_DEP_1) | instskip(NEXT) | instid1(VALU_DEP_1)
	v_div_fmas_f32 v127, v127, v135, v136
	v_div_fixup_f32 v127, v127, v128, v129
	s_delay_alu instid0(VALU_DEP_1) | instskip(NEXT) | instid1(VALU_DEP_1)
	v_fmac_f32_e32 v128, v129, v127
	v_div_scale_f32 v129, null, v128, v128, 1.0
	s_delay_alu instid0(VALU_DEP_1) | instskip(SKIP_1) | instid1(TRANS32_DEP_1)
	v_rcp_f32_e32 v135, v129
	v_nop
	v_fma_f32 v136, -v129, v135, 1.0
	s_delay_alu instid0(VALU_DEP_1) | instskip(SKIP_1) | instid1(VALU_DEP_1)
	v_fmac_f32_e32 v135, v136, v135
	v_div_scale_f32 v136, vcc_lo, 1.0, v128, 1.0
	v_mul_f32_e32 v137, v136, v135
	s_delay_alu instid0(VALU_DEP_1) | instskip(NEXT) | instid1(VALU_DEP_1)
	v_fma_f32 v138, -v129, v137, v136
	v_fmac_f32_e32 v137, v138, v135
	s_delay_alu instid0(VALU_DEP_1) | instskip(NEXT) | instid1(VALU_DEP_1)
	v_fma_f32 v129, -v129, v137, v136
	v_div_fmas_f32 v129, v129, v135, v137
	s_delay_alu instid0(VALU_DEP_1) | instskip(NEXT) | instid1(VALU_DEP_1)
	v_div_fixup_f32 v128, v129, v128, 1.0
	v_mul_f32_e64 v129, v127, -v128
.LBB118_156:
	s_or_b32 exec_lo, exec_lo, s1
.LBB118_157:
	s_delay_alu instid0(SALU_CYCLE_1) | instskip(NEXT) | instid1(SALU_CYCLE_1)
	s_or_b32 exec_lo, exec_lo, s0
	s_mov_b32 s0, exec_lo
	v_cmpx_ne_u32_e64 v134, v126
	s_xor_b32 s0, exec_lo, s0
	s_cbranch_execz .LBB118_163
; %bb.158:
	s_mov_b32 s1, exec_lo
	v_cmpx_eq_u32_e32 7, v134
	s_cbranch_execz .LBB118_162
; %bb.159:
	v_cmp_ne_u32_e32 vcc_lo, 7, v126
	s_xor_b32 s12, s16, -1
	s_delay_alu instid0(SALU_CYCLE_1) | instskip(NEXT) | instid1(SALU_CYCLE_1)
	s_and_b32 s13, s12, vcc_lo
	s_and_saveexec_b32 s12, s13
	s_cbranch_execz .LBB118_161
; %bb.160:
	v_ashrrev_i32_e32 v127, 31, v126
	s_delay_alu instid0(VALU_DEP_1)
	v_lshl_add_u64 v[134:135], v[126:127], 2, v[4:5]
	s_clause 0x1
	global_load_b32 v127, v[134:135], off
	global_load_b32 v133, v[4:5], off offset:28
	s_wait_loadcnt 0x1
	global_store_b32 v[4:5], v127, off offset:28
	s_wait_loadcnt 0x0
	global_store_b32 v[134:135], v133, off
.LBB118_161:
	s_wait_xcnt 0x0
	s_or_b32 exec_lo, exec_lo, s12
	v_dual_mov_b32 v134, v126 :: v_dual_mov_b32 v133, v126
.LBB118_162:
	s_or_b32 exec_lo, exec_lo, s1
.LBB118_163:
	s_and_not1_saveexec_b32 s0, s0
	s_cbranch_execz .LBB118_165
; %bb.164:
	v_dual_mov_b32 v126, v108 :: v_dual_mov_b32 v127, v109
	v_dual_mov_b32 v134, v104 :: v_dual_mov_b32 v135, v105
	;; [unrolled: 1-line block ×8, first 2 shown]
	ds_store_2addr_b64 v130, v[126:127], v[134:135] offset0:8 offset1:9
	ds_store_2addr_b64 v130, v[136:137], v[138:139] offset0:10 offset1:11
	ds_store_2addr_b64 v130, v[140:141], v[142:143] offset0:12 offset1:13
	ds_store_2addr_b64 v130, v[144:145], v[146:147] offset0:14 offset1:15
	v_dual_mov_b32 v126, v96 :: v_dual_mov_b32 v127, v97
	v_dual_mov_b32 v134, v92 :: v_dual_mov_b32 v135, v93
	v_dual_mov_b32 v136, v94 :: v_dual_mov_b32 v137, v95
	v_dual_mov_b32 v138, v36 :: v_dual_mov_b32 v139, v37
	v_dual_mov_b32 v140, v90 :: v_dual_mov_b32 v141, v91
	v_dual_mov_b32 v142, v86 :: v_dual_mov_b32 v143, v87
	v_dual_mov_b32 v144, v88 :: v_dual_mov_b32 v145, v89
	v_dual_mov_b32 v146, v30 :: v_dual_mov_b32 v147, v31
	v_dual_mov_b32 v148, v84 :: v_dual_mov_b32 v149, v85
	v_dual_mov_b32 v150, v80 :: v_dual_mov_b32 v151, v81
	v_dual_mov_b32 v152, v82 :: v_dual_mov_b32 v153, v83
	v_dual_mov_b32 v154, v24 :: v_dual_mov_b32 v155, v25
	ds_store_2addr_b64 v130, v[126:127], v[134:135] offset0:16 offset1:17
	ds_store_2addr_b64 v130, v[136:137], v[138:139] offset0:18 offset1:19
	ds_store_2addr_b64 v130, v[140:141], v[142:143] offset0:20 offset1:21
	ds_store_2addr_b64 v130, v[144:145], v[146:147] offset0:22 offset1:23
	ds_store_2addr_b64 v130, v[148:149], v[150:151] offset0:24 offset1:25
	ds_store_2addr_b64 v130, v[152:153], v[154:155] offset0:26 offset1:27
	v_dual_mov_b32 v126, v78 :: v_dual_mov_b32 v127, v79
	v_dual_mov_b32 v134, v74 :: v_dual_mov_b32 v135, v75
	v_dual_mov_b32 v136, v76 :: v_dual_mov_b32 v137, v77
	v_dual_mov_b32 v138, v22 :: v_dual_mov_b32 v139, v23
	v_dual_mov_b32 v140, v72 :: v_dual_mov_b32 v141, v73
	v_dual_mov_b32 v142, v68 :: v_dual_mov_b32 v143, v69
	v_dual_mov_b32 v144, v70 :: v_dual_mov_b32 v145, v71
	v_dual_mov_b32 v146, v20 :: v_dual_mov_b32 v147, v21
	v_dual_mov_b32 v148, v66 :: v_dual_mov_b32 v149, v67
	v_dual_mov_b32 v150, v62 :: v_dual_mov_b32 v151, v63
	v_dual_mov_b32 v152, v64 :: v_dual_mov_b32 v153, v65
	v_dual_mov_b32 v154, v18 :: v_dual_mov_b32 v155, v19
	ds_store_2addr_b64 v130, v[126:127], v[134:135] offset0:28 offset1:29
	ds_store_2addr_b64 v130, v[136:137], v[138:139] offset0:30 offset1:31
	;; [unrolled: 18-line block ×3, first 2 shown]
	ds_store_2addr_b64 v130, v[140:141], v[142:143] offset0:44 offset1:45
	ds_store_2addr_b64 v130, v[144:145], v[146:147] offset0:46 offset1:47
	;; [unrolled: 1-line block ×4, first 2 shown]
	v_dual_mov_b32 v126, v34 :: v_dual_mov_b32 v127, v35
	v_dual_mov_b32 v136, v28 :: v_dual_mov_b32 v137, v29
	;; [unrolled: 1-line block ×7, first 2 shown]
	v_mov_b32_e32 v147, v15
	ds_store_2addr_b64 v130, v[126:127], v[136:137] offset0:52 offset1:53
	ds_store_2addr_b64 v130, v[138:139], v[140:141] offset0:54 offset1:55
	;; [unrolled: 1-line block ×4, first 2 shown]
.LBB118_165:
	s_or_b32 exec_lo, exec_lo, s0
	s_delay_alu instid0(SALU_CYCLE_1)
	s_mov_b32 s0, exec_lo
	s_wait_storecnt_dscnt 0x0
	s_barrier_signal -1
	s_barrier_wait -1
	v_cmpx_lt_i32_e32 7, v134
	s_cbranch_execz .LBB118_167
; %bb.166:
	v_pk_mul_f32 v[136:137], v[128:129], v[42:43] op_sel:[1,1] op_sel_hi:[0,1]
	s_delay_alu instid0(VALU_DEP_1)
	v_pk_fma_f32 v[126:127], v[128:129], v[42:43], v[136:137] op_sel_hi:[1,0,1] neg_lo:[0,0,1] neg_hi:[0,0,1]
	v_pk_fma_f32 v[128:129], v[128:129], v[42:43], v[136:137] op_sel_hi:[1,0,1]
	ds_load_2addr_b64 v[136:139], v130 offset0:8 offset1:9
	v_dual_mov_b32 v42, v126 :: v_dual_mov_b32 v43, v129
	s_wait_dscnt 0x0
	v_pk_mul_f32 v[140:141], v[136:137], v[128:129] op_sel:[0,1]
	s_delay_alu instid0(VALU_DEP_1) | instskip(SKIP_1) | instid1(VALU_DEP_1)
	v_pk_fma_f32 v[142:143], v[136:137], v[126:127], v[140:141] op_sel:[0,0,1] op_sel_hi:[1,1,0] neg_lo:[0,0,1] neg_hi:[0,0,1]
	v_pk_fma_f32 v[136:137], v[136:137], v[126:127], v[140:141] op_sel:[0,0,1] op_sel_hi:[1,0,0]
	v_mov_b32_e32 v143, v137
	v_pk_mul_f32 v[136:137], v[138:139], v[128:129] op_sel:[0,1]
	s_delay_alu instid0(VALU_DEP_1) | instskip(SKIP_1) | instid1(VALU_DEP_1)
	v_pk_fma_f32 v[140:141], v[138:139], v[126:127], v[136:137] op_sel:[0,0,1] op_sel_hi:[1,1,0] neg_lo:[0,0,1] neg_hi:[0,0,1]
	v_pk_fma_f32 v[136:137], v[138:139], v[126:127], v[136:137] op_sel:[0,0,1] op_sel_hi:[1,0,0]
	v_mov_b32_e32 v141, v137
	ds_load_2addr_b64 v[136:139], v130 offset0:10 offset1:11
	v_pk_add_f32 v[108:109], v[108:109], v[142:143] neg_lo:[0,1] neg_hi:[0,1]
	v_pk_add_f32 v[104:105], v[104:105], v[140:141] neg_lo:[0,1] neg_hi:[0,1]
	s_wait_dscnt 0x0
	v_pk_mul_f32 v[140:141], v[136:137], v[128:129] op_sel:[0,1]
	s_delay_alu instid0(VALU_DEP_1) | instskip(SKIP_2) | instid1(VALU_DEP_2)
	v_pk_fma_f32 v[142:143], v[136:137], v[126:127], v[140:141] op_sel:[0,0,1] op_sel_hi:[1,1,0] neg_lo:[0,0,1] neg_hi:[0,0,1]
	v_pk_fma_f32 v[136:137], v[136:137], v[126:127], v[140:141] op_sel:[0,0,1] op_sel_hi:[1,0,0]
	v_dual_mul_f32 v140, v139, v129 :: v_dual_mov_b32 v136, v139
	v_dual_mov_b32 v143, v137 :: v_dual_mov_b32 v137, v138
	s_delay_alu instid0(VALU_DEP_2) | instskip(SKIP_1) | instid1(VALU_DEP_3)
	v_pk_fma_f32 v[140:141], v[138:139], v[42:43], v[140:141] op_sel_hi:[1,1,0] neg_lo:[0,0,1] neg_hi:[0,0,1]
	v_mul_f32_e32 v138, v139, v126
	v_pk_add_f32 v[106:107], v[106:107], v[142:143] neg_lo:[0,1] neg_hi:[0,1]
	s_delay_alu instid0(VALU_DEP_2) | instskip(NEXT) | instid1(VALU_DEP_1)
	v_pk_fma_f32 v[136:137], v[136:137], v[42:43], v[138:139] op_sel_hi:[1,1,0]
	v_mov_b32_e32 v141, v137
	ds_load_2addr_b64 v[136:139], v130 offset0:12 offset1:13
	v_pk_add_f32 v[40:41], v[40:41], v[140:141] neg_lo:[0,1] neg_hi:[0,1]
	s_wait_dscnt 0x0
	v_pk_mul_f32 v[140:141], v[136:137], v[128:129] op_sel:[0,1]
	s_delay_alu instid0(VALU_DEP_1) | instskip(SKIP_1) | instid1(VALU_DEP_1)
	v_pk_fma_f32 v[142:143], v[136:137], v[126:127], v[140:141] op_sel:[0,0,1] op_sel_hi:[1,1,0] neg_lo:[0,0,1] neg_hi:[0,0,1]
	v_pk_fma_f32 v[136:137], v[136:137], v[126:127], v[140:141] op_sel:[0,0,1] op_sel_hi:[1,0,0]
	v_mov_b32_e32 v143, v137
	v_pk_mul_f32 v[136:137], v[138:139], v[128:129] op_sel:[0,1]
	s_delay_alu instid0(VALU_DEP_1) | instskip(SKIP_1) | instid1(VALU_DEP_1)
	v_pk_fma_f32 v[140:141], v[138:139], v[126:127], v[136:137] op_sel:[0,0,1] op_sel_hi:[1,1,0] neg_lo:[0,0,1] neg_hi:[0,0,1]
	v_pk_fma_f32 v[136:137], v[138:139], v[126:127], v[136:137] op_sel:[0,0,1] op_sel_hi:[1,0,0]
	v_mov_b32_e32 v141, v137
	ds_load_2addr_b64 v[136:139], v130 offset0:14 offset1:15
	v_pk_add_f32 v[102:103], v[102:103], v[142:143] neg_lo:[0,1] neg_hi:[0,1]
	v_pk_add_f32 v[98:99], v[98:99], v[140:141] neg_lo:[0,1] neg_hi:[0,1]
	s_wait_dscnt 0x0
	v_pk_mul_f32 v[140:141], v[136:137], v[128:129] op_sel:[0,1]
	s_delay_alu instid0(VALU_DEP_1) | instskip(SKIP_1) | instid1(VALU_DEP_1)
	v_pk_fma_f32 v[142:143], v[136:137], v[126:127], v[140:141] op_sel:[0,0,1] op_sel_hi:[1,1,0] neg_lo:[0,0,1] neg_hi:[0,0,1]
	v_pk_fma_f32 v[136:137], v[136:137], v[126:127], v[140:141] op_sel:[0,0,1] op_sel_hi:[1,0,0]
	v_mov_b32_e32 v143, v137
	v_pk_mul_f32 v[136:137], v[138:139], v[128:129] op_sel:[0,1]
	s_delay_alu instid0(VALU_DEP_1) | instskip(SKIP_1) | instid1(VALU_DEP_1)
	v_pk_fma_f32 v[140:141], v[138:139], v[126:127], v[136:137] op_sel:[0,0,1] op_sel_hi:[1,1,0] neg_lo:[0,0,1] neg_hi:[0,0,1]
	v_pk_fma_f32 v[136:137], v[138:139], v[126:127], v[136:137] op_sel:[0,0,1] op_sel_hi:[1,0,0]
	v_mov_b32_e32 v141, v137
	ds_load_2addr_b64 v[136:139], v130 offset0:16 offset1:17
	v_pk_add_f32 v[100:101], v[100:101], v[142:143] neg_lo:[0,1] neg_hi:[0,1]
	v_pk_add_f32 v[38:39], v[38:39], v[140:141] neg_lo:[0,1] neg_hi:[0,1]
	s_wait_dscnt 0x0
	v_dual_mul_f32 v140, v137, v129 :: v_dual_mul_f32 v142, v137, v126
	s_delay_alu instid0(VALU_DEP_1) | instskip(NEXT) | instid1(VALU_DEP_2)
	v_pk_fma_f32 v[140:141], v[136:137], v[42:43], v[140:141] op_sel_hi:[1,1,0] neg_lo:[0,0,1] neg_hi:[0,0,1]
	v_pk_fma_f32 v[136:137], v[136:137], v[42:43], v[142:143] op_sel:[1,0,0] op_sel_hi:[0,1,0]
	s_delay_alu instid0(VALU_DEP_1) | instskip(SKIP_1) | instid1(VALU_DEP_2)
	v_mov_b32_e32 v141, v137
	v_pk_mul_f32 v[136:137], v[138:139], v[128:129] op_sel:[0,1]
	v_pk_add_f32 v[96:97], v[96:97], v[140:141] neg_lo:[0,1] neg_hi:[0,1]
	s_delay_alu instid0(VALU_DEP_2) | instskip(SKIP_1) | instid1(VALU_DEP_1)
	v_pk_fma_f32 v[140:141], v[138:139], v[126:127], v[136:137] op_sel:[0,0,1] op_sel_hi:[1,1,0] neg_lo:[0,0,1] neg_hi:[0,0,1]
	v_pk_fma_f32 v[136:137], v[138:139], v[126:127], v[136:137] op_sel:[0,0,1] op_sel_hi:[1,0,0]
	v_mov_b32_e32 v141, v137
	ds_load_2addr_b64 v[136:139], v130 offset0:18 offset1:19
	v_pk_add_f32 v[92:93], v[92:93], v[140:141] neg_lo:[0,1] neg_hi:[0,1]
	s_wait_dscnt 0x0
	v_pk_mul_f32 v[140:141], v[136:137], v[128:129] op_sel:[0,1]
	s_delay_alu instid0(VALU_DEP_1) | instskip(SKIP_1) | instid1(VALU_DEP_1)
	v_pk_fma_f32 v[142:143], v[136:137], v[126:127], v[140:141] op_sel:[0,0,1] op_sel_hi:[1,1,0] neg_lo:[0,0,1] neg_hi:[0,0,1]
	v_pk_fma_f32 v[136:137], v[136:137], v[126:127], v[140:141] op_sel:[0,0,1] op_sel_hi:[1,0,0]
	v_mov_b32_e32 v143, v137
	v_pk_mul_f32 v[136:137], v[138:139], v[128:129] op_sel:[0,1]
	s_delay_alu instid0(VALU_DEP_2) | instskip(NEXT) | instid1(VALU_DEP_2)
	v_pk_add_f32 v[94:95], v[94:95], v[142:143] neg_lo:[0,1] neg_hi:[0,1]
	v_pk_fma_f32 v[140:141], v[138:139], v[126:127], v[136:137] op_sel:[0,0,1] op_sel_hi:[1,1,0] neg_lo:[0,0,1] neg_hi:[0,0,1]
	v_pk_fma_f32 v[136:137], v[138:139], v[126:127], v[136:137] op_sel:[0,0,1] op_sel_hi:[1,0,0]
	s_delay_alu instid0(VALU_DEP_1) | instskip(SKIP_4) | instid1(VALU_DEP_1)
	v_mov_b32_e32 v141, v137
	ds_load_2addr_b64 v[136:139], v130 offset0:20 offset1:21
	v_pk_add_f32 v[36:37], v[36:37], v[140:141] neg_lo:[0,1] neg_hi:[0,1]
	s_wait_dscnt 0x0
	v_pk_mul_f32 v[140:141], v[136:137], v[128:129] op_sel:[0,1]
	v_pk_fma_f32 v[142:143], v[136:137], v[126:127], v[140:141] op_sel:[0,0,1] op_sel_hi:[1,1,0] neg_lo:[0,0,1] neg_hi:[0,0,1]
	v_pk_fma_f32 v[136:137], v[136:137], v[126:127], v[140:141] op_sel:[0,0,1] op_sel_hi:[1,0,0]
	v_dual_mul_f32 v140, v139, v129 :: v_dual_mov_b32 v136, v139
	s_delay_alu instid0(VALU_DEP_2) | instskip(NEXT) | instid1(VALU_DEP_2)
	v_dual_mov_b32 v143, v137 :: v_dual_mov_b32 v137, v138
	v_pk_fma_f32 v[140:141], v[138:139], v[42:43], v[140:141] op_sel_hi:[1,1,0] neg_lo:[0,0,1] neg_hi:[0,0,1]
	v_mul_f32_e32 v138, v139, v126
	s_delay_alu instid0(VALU_DEP_3) | instskip(NEXT) | instid1(VALU_DEP_2)
	v_pk_add_f32 v[90:91], v[90:91], v[142:143] neg_lo:[0,1] neg_hi:[0,1]
	v_pk_fma_f32 v[136:137], v[136:137], v[42:43], v[138:139] op_sel_hi:[1,1,0]
	s_delay_alu instid0(VALU_DEP_1) | instskip(SKIP_4) | instid1(VALU_DEP_1)
	v_mov_b32_e32 v141, v137
	ds_load_2addr_b64 v[136:139], v130 offset0:22 offset1:23
	v_pk_add_f32 v[86:87], v[86:87], v[140:141] neg_lo:[0,1] neg_hi:[0,1]
	s_wait_dscnt 0x0
	v_pk_mul_f32 v[140:141], v[136:137], v[128:129] op_sel:[0,1]
	v_pk_fma_f32 v[142:143], v[136:137], v[126:127], v[140:141] op_sel:[0,0,1] op_sel_hi:[1,1,0] neg_lo:[0,0,1] neg_hi:[0,0,1]
	v_pk_fma_f32 v[136:137], v[136:137], v[126:127], v[140:141] op_sel:[0,0,1] op_sel_hi:[1,0,0]
	s_delay_alu instid0(VALU_DEP_1) | instskip(SKIP_1) | instid1(VALU_DEP_1)
	v_mov_b32_e32 v143, v137
	v_pk_mul_f32 v[136:137], v[138:139], v[128:129] op_sel:[0,1]
	v_pk_fma_f32 v[140:141], v[138:139], v[126:127], v[136:137] op_sel:[0,0,1] op_sel_hi:[1,1,0] neg_lo:[0,0,1] neg_hi:[0,0,1]
	v_pk_fma_f32 v[136:137], v[138:139], v[126:127], v[136:137] op_sel:[0,0,1] op_sel_hi:[1,0,0]
	s_delay_alu instid0(VALU_DEP_1)
	v_mov_b32_e32 v141, v137
	ds_load_2addr_b64 v[136:139], v130 offset0:24 offset1:25
	v_pk_add_f32 v[88:89], v[88:89], v[142:143] neg_lo:[0,1] neg_hi:[0,1]
	v_pk_add_f32 v[30:31], v[30:31], v[140:141] neg_lo:[0,1] neg_hi:[0,1]
	s_wait_dscnt 0x0
	v_pk_mul_f32 v[140:141], v[136:137], v[128:129] op_sel:[0,1]
	s_delay_alu instid0(VALU_DEP_1) | instskip(SKIP_1) | instid1(VALU_DEP_1)
	v_pk_fma_f32 v[142:143], v[136:137], v[126:127], v[140:141] op_sel:[0,0,1] op_sel_hi:[1,1,0] neg_lo:[0,0,1] neg_hi:[0,0,1]
	v_pk_fma_f32 v[136:137], v[136:137], v[126:127], v[140:141] op_sel:[0,0,1] op_sel_hi:[1,0,0]
	v_mov_b32_e32 v143, v137
	v_pk_mul_f32 v[136:137], v[138:139], v[128:129] op_sel:[0,1]
	s_delay_alu instid0(VALU_DEP_1) | instskip(SKIP_1) | instid1(VALU_DEP_1)
	v_pk_fma_f32 v[140:141], v[138:139], v[126:127], v[136:137] op_sel:[0,0,1] op_sel_hi:[1,1,0] neg_lo:[0,0,1] neg_hi:[0,0,1]
	v_pk_fma_f32 v[136:137], v[138:139], v[126:127], v[136:137] op_sel:[0,0,1] op_sel_hi:[1,0,0]
	v_mov_b32_e32 v141, v137
	ds_load_2addr_b64 v[136:139], v130 offset0:26 offset1:27
	v_pk_add_f32 v[84:85], v[84:85], v[142:143] neg_lo:[0,1] neg_hi:[0,1]
	v_pk_add_f32 v[80:81], v[80:81], v[140:141] neg_lo:[0,1] neg_hi:[0,1]
	s_wait_dscnt 0x0
	v_dual_mul_f32 v140, v137, v129 :: v_dual_mul_f32 v142, v137, v126
	s_delay_alu instid0(VALU_DEP_1) | instskip(NEXT) | instid1(VALU_DEP_2)
	v_pk_fma_f32 v[140:141], v[136:137], v[42:43], v[140:141] op_sel_hi:[1,1,0] neg_lo:[0,0,1] neg_hi:[0,0,1]
	v_pk_fma_f32 v[136:137], v[136:137], v[42:43], v[142:143] op_sel:[1,0,0] op_sel_hi:[0,1,0]
	s_delay_alu instid0(VALU_DEP_1) | instskip(SKIP_1) | instid1(VALU_DEP_2)
	v_mov_b32_e32 v141, v137
	v_pk_mul_f32 v[136:137], v[138:139], v[128:129] op_sel:[0,1]
	v_pk_add_f32 v[82:83], v[82:83], v[140:141] neg_lo:[0,1] neg_hi:[0,1]
	s_delay_alu instid0(VALU_DEP_2) | instskip(SKIP_1) | instid1(VALU_DEP_1)
	v_pk_fma_f32 v[140:141], v[138:139], v[126:127], v[136:137] op_sel:[0,0,1] op_sel_hi:[1,1,0] neg_lo:[0,0,1] neg_hi:[0,0,1]
	v_pk_fma_f32 v[136:137], v[138:139], v[126:127], v[136:137] op_sel:[0,0,1] op_sel_hi:[1,0,0]
	v_mov_b32_e32 v141, v137
	ds_load_2addr_b64 v[136:139], v130 offset0:28 offset1:29
	v_pk_add_f32 v[24:25], v[24:25], v[140:141] neg_lo:[0,1] neg_hi:[0,1]
	s_wait_dscnt 0x0
	v_pk_mul_f32 v[140:141], v[136:137], v[128:129] op_sel:[0,1]
	s_delay_alu instid0(VALU_DEP_1) | instskip(SKIP_1) | instid1(VALU_DEP_1)
	v_pk_fma_f32 v[142:143], v[136:137], v[126:127], v[140:141] op_sel:[0,0,1] op_sel_hi:[1,1,0] neg_lo:[0,0,1] neg_hi:[0,0,1]
	v_pk_fma_f32 v[136:137], v[136:137], v[126:127], v[140:141] op_sel:[0,0,1] op_sel_hi:[1,0,0]
	v_mov_b32_e32 v143, v137
	v_pk_mul_f32 v[136:137], v[138:139], v[128:129] op_sel:[0,1]
	s_delay_alu instid0(VALU_DEP_2) | instskip(NEXT) | instid1(VALU_DEP_2)
	v_pk_add_f32 v[78:79], v[78:79], v[142:143] neg_lo:[0,1] neg_hi:[0,1]
	v_pk_fma_f32 v[140:141], v[138:139], v[126:127], v[136:137] op_sel:[0,0,1] op_sel_hi:[1,1,0] neg_lo:[0,0,1] neg_hi:[0,0,1]
	v_pk_fma_f32 v[136:137], v[138:139], v[126:127], v[136:137] op_sel:[0,0,1] op_sel_hi:[1,0,0]
	s_delay_alu instid0(VALU_DEP_1) | instskip(SKIP_4) | instid1(VALU_DEP_1)
	v_mov_b32_e32 v141, v137
	ds_load_2addr_b64 v[136:139], v130 offset0:30 offset1:31
	v_pk_add_f32 v[74:75], v[74:75], v[140:141] neg_lo:[0,1] neg_hi:[0,1]
	s_wait_dscnt 0x0
	v_pk_mul_f32 v[140:141], v[136:137], v[128:129] op_sel:[0,1]
	v_pk_fma_f32 v[142:143], v[136:137], v[126:127], v[140:141] op_sel:[0,0,1] op_sel_hi:[1,1,0] neg_lo:[0,0,1] neg_hi:[0,0,1]
	v_pk_fma_f32 v[136:137], v[136:137], v[126:127], v[140:141] op_sel:[0,0,1] op_sel_hi:[1,0,0]
	v_dual_mul_f32 v140, v139, v129 :: v_dual_mov_b32 v136, v139
	s_delay_alu instid0(VALU_DEP_2) | instskip(NEXT) | instid1(VALU_DEP_2)
	v_dual_mov_b32 v143, v137 :: v_dual_mov_b32 v137, v138
	v_pk_fma_f32 v[140:141], v[138:139], v[42:43], v[140:141] op_sel_hi:[1,1,0] neg_lo:[0,0,1] neg_hi:[0,0,1]
	v_mul_f32_e32 v138, v139, v126
	s_delay_alu instid0(VALU_DEP_3) | instskip(NEXT) | instid1(VALU_DEP_2)
	v_pk_add_f32 v[76:77], v[76:77], v[142:143] neg_lo:[0,1] neg_hi:[0,1]
	v_pk_fma_f32 v[136:137], v[136:137], v[42:43], v[138:139] op_sel_hi:[1,1,0]
	s_delay_alu instid0(VALU_DEP_1) | instskip(SKIP_4) | instid1(VALU_DEP_1)
	v_mov_b32_e32 v141, v137
	ds_load_2addr_b64 v[136:139], v130 offset0:32 offset1:33
	v_pk_add_f32 v[22:23], v[22:23], v[140:141] neg_lo:[0,1] neg_hi:[0,1]
	s_wait_dscnt 0x0
	v_pk_mul_f32 v[140:141], v[136:137], v[128:129] op_sel:[0,1]
	v_pk_fma_f32 v[142:143], v[136:137], v[126:127], v[140:141] op_sel:[0,0,1] op_sel_hi:[1,1,0] neg_lo:[0,0,1] neg_hi:[0,0,1]
	v_pk_fma_f32 v[136:137], v[136:137], v[126:127], v[140:141] op_sel:[0,0,1] op_sel_hi:[1,0,0]
	s_delay_alu instid0(VALU_DEP_1) | instskip(SKIP_1) | instid1(VALU_DEP_1)
	v_mov_b32_e32 v143, v137
	v_pk_mul_f32 v[136:137], v[138:139], v[128:129] op_sel:[0,1]
	v_pk_fma_f32 v[140:141], v[138:139], v[126:127], v[136:137] op_sel:[0,0,1] op_sel_hi:[1,1,0] neg_lo:[0,0,1] neg_hi:[0,0,1]
	v_pk_fma_f32 v[136:137], v[138:139], v[126:127], v[136:137] op_sel:[0,0,1] op_sel_hi:[1,0,0]
	s_delay_alu instid0(VALU_DEP_1)
	v_mov_b32_e32 v141, v137
	ds_load_2addr_b64 v[136:139], v130 offset0:34 offset1:35
	v_pk_add_f32 v[72:73], v[72:73], v[142:143] neg_lo:[0,1] neg_hi:[0,1]
	v_pk_add_f32 v[68:69], v[68:69], v[140:141] neg_lo:[0,1] neg_hi:[0,1]
	s_wait_dscnt 0x0
	v_pk_mul_f32 v[140:141], v[136:137], v[128:129] op_sel:[0,1]
	s_delay_alu instid0(VALU_DEP_1) | instskip(SKIP_1) | instid1(VALU_DEP_1)
	v_pk_fma_f32 v[142:143], v[136:137], v[126:127], v[140:141] op_sel:[0,0,1] op_sel_hi:[1,1,0] neg_lo:[0,0,1] neg_hi:[0,0,1]
	v_pk_fma_f32 v[136:137], v[136:137], v[126:127], v[140:141] op_sel:[0,0,1] op_sel_hi:[1,0,0]
	v_mov_b32_e32 v143, v137
	v_pk_mul_f32 v[136:137], v[138:139], v[128:129] op_sel:[0,1]
	s_delay_alu instid0(VALU_DEP_1) | instskip(SKIP_1) | instid1(VALU_DEP_1)
	v_pk_fma_f32 v[140:141], v[138:139], v[126:127], v[136:137] op_sel:[0,0,1] op_sel_hi:[1,1,0] neg_lo:[0,0,1] neg_hi:[0,0,1]
	v_pk_fma_f32 v[136:137], v[138:139], v[126:127], v[136:137] op_sel:[0,0,1] op_sel_hi:[1,0,0]
	v_mov_b32_e32 v141, v137
	ds_load_2addr_b64 v[136:139], v130 offset0:36 offset1:37
	v_pk_add_f32 v[70:71], v[70:71], v[142:143] neg_lo:[0,1] neg_hi:[0,1]
	v_pk_add_f32 v[20:21], v[20:21], v[140:141] neg_lo:[0,1] neg_hi:[0,1]
	s_wait_dscnt 0x0
	v_dual_mul_f32 v140, v137, v129 :: v_dual_mul_f32 v142, v137, v126
	s_delay_alu instid0(VALU_DEP_1) | instskip(NEXT) | instid1(VALU_DEP_2)
	v_pk_fma_f32 v[140:141], v[136:137], v[42:43], v[140:141] op_sel_hi:[1,1,0] neg_lo:[0,0,1] neg_hi:[0,0,1]
	v_pk_fma_f32 v[136:137], v[136:137], v[42:43], v[142:143] op_sel:[1,0,0] op_sel_hi:[0,1,0]
	s_delay_alu instid0(VALU_DEP_1) | instskip(SKIP_1) | instid1(VALU_DEP_2)
	v_mov_b32_e32 v141, v137
	v_pk_mul_f32 v[136:137], v[138:139], v[128:129] op_sel:[0,1]
	v_pk_add_f32 v[66:67], v[66:67], v[140:141] neg_lo:[0,1] neg_hi:[0,1]
	s_delay_alu instid0(VALU_DEP_2) | instskip(SKIP_1) | instid1(VALU_DEP_1)
	v_pk_fma_f32 v[140:141], v[138:139], v[126:127], v[136:137] op_sel:[0,0,1] op_sel_hi:[1,1,0] neg_lo:[0,0,1] neg_hi:[0,0,1]
	v_pk_fma_f32 v[136:137], v[138:139], v[126:127], v[136:137] op_sel:[0,0,1] op_sel_hi:[1,0,0]
	v_mov_b32_e32 v141, v137
	ds_load_2addr_b64 v[136:139], v130 offset0:38 offset1:39
	v_pk_add_f32 v[62:63], v[62:63], v[140:141] neg_lo:[0,1] neg_hi:[0,1]
	s_wait_dscnt 0x0
	v_pk_mul_f32 v[140:141], v[136:137], v[128:129] op_sel:[0,1]
	s_delay_alu instid0(VALU_DEP_1) | instskip(SKIP_1) | instid1(VALU_DEP_1)
	v_pk_fma_f32 v[142:143], v[136:137], v[126:127], v[140:141] op_sel:[0,0,1] op_sel_hi:[1,1,0] neg_lo:[0,0,1] neg_hi:[0,0,1]
	v_pk_fma_f32 v[136:137], v[136:137], v[126:127], v[140:141] op_sel:[0,0,1] op_sel_hi:[1,0,0]
	v_mov_b32_e32 v143, v137
	v_pk_mul_f32 v[136:137], v[138:139], v[128:129] op_sel:[0,1]
	s_delay_alu instid0(VALU_DEP_2) | instskip(NEXT) | instid1(VALU_DEP_2)
	v_pk_add_f32 v[64:65], v[64:65], v[142:143] neg_lo:[0,1] neg_hi:[0,1]
	v_pk_fma_f32 v[140:141], v[138:139], v[126:127], v[136:137] op_sel:[0,0,1] op_sel_hi:[1,1,0] neg_lo:[0,0,1] neg_hi:[0,0,1]
	v_pk_fma_f32 v[136:137], v[138:139], v[126:127], v[136:137] op_sel:[0,0,1] op_sel_hi:[1,0,0]
	s_delay_alu instid0(VALU_DEP_1) | instskip(SKIP_4) | instid1(VALU_DEP_1)
	v_mov_b32_e32 v141, v137
	ds_load_2addr_b64 v[136:139], v130 offset0:40 offset1:41
	v_pk_add_f32 v[18:19], v[18:19], v[140:141] neg_lo:[0,1] neg_hi:[0,1]
	s_wait_dscnt 0x0
	v_pk_mul_f32 v[140:141], v[136:137], v[128:129] op_sel:[0,1]
	v_pk_fma_f32 v[142:143], v[136:137], v[126:127], v[140:141] op_sel:[0,0,1] op_sel_hi:[1,1,0] neg_lo:[0,0,1] neg_hi:[0,0,1]
	v_pk_fma_f32 v[136:137], v[136:137], v[126:127], v[140:141] op_sel:[0,0,1] op_sel_hi:[1,0,0]
	v_dual_mul_f32 v140, v139, v129 :: v_dual_mov_b32 v136, v139
	s_delay_alu instid0(VALU_DEP_2) | instskip(NEXT) | instid1(VALU_DEP_2)
	v_dual_mov_b32 v143, v137 :: v_dual_mov_b32 v137, v138
	v_pk_fma_f32 v[140:141], v[138:139], v[42:43], v[140:141] op_sel_hi:[1,1,0] neg_lo:[0,0,1] neg_hi:[0,0,1]
	v_mul_f32_e32 v138, v139, v126
	s_delay_alu instid0(VALU_DEP_3) | instskip(NEXT) | instid1(VALU_DEP_2)
	v_pk_add_f32 v[60:61], v[60:61], v[142:143] neg_lo:[0,1] neg_hi:[0,1]
	v_pk_fma_f32 v[136:137], v[136:137], v[42:43], v[138:139] op_sel_hi:[1,1,0]
	s_delay_alu instid0(VALU_DEP_1) | instskip(SKIP_4) | instid1(VALU_DEP_1)
	v_mov_b32_e32 v141, v137
	ds_load_2addr_b64 v[136:139], v130 offset0:42 offset1:43
	v_pk_add_f32 v[56:57], v[56:57], v[140:141] neg_lo:[0,1] neg_hi:[0,1]
	s_wait_dscnt 0x0
	v_pk_mul_f32 v[140:141], v[136:137], v[128:129] op_sel:[0,1]
	v_pk_fma_f32 v[142:143], v[136:137], v[126:127], v[140:141] op_sel:[0,0,1] op_sel_hi:[1,1,0] neg_lo:[0,0,1] neg_hi:[0,0,1]
	v_pk_fma_f32 v[136:137], v[136:137], v[126:127], v[140:141] op_sel:[0,0,1] op_sel_hi:[1,0,0]
	s_delay_alu instid0(VALU_DEP_1) | instskip(SKIP_1) | instid1(VALU_DEP_1)
	v_mov_b32_e32 v143, v137
	v_pk_mul_f32 v[136:137], v[138:139], v[128:129] op_sel:[0,1]
	v_pk_fma_f32 v[140:141], v[138:139], v[126:127], v[136:137] op_sel:[0,0,1] op_sel_hi:[1,1,0] neg_lo:[0,0,1] neg_hi:[0,0,1]
	v_pk_fma_f32 v[136:137], v[138:139], v[126:127], v[136:137] op_sel:[0,0,1] op_sel_hi:[1,0,0]
	s_delay_alu instid0(VALU_DEP_1)
	v_mov_b32_e32 v141, v137
	ds_load_2addr_b64 v[136:139], v130 offset0:44 offset1:45
	v_pk_add_f32 v[58:59], v[58:59], v[142:143] neg_lo:[0,1] neg_hi:[0,1]
	v_pk_add_f32 v[12:13], v[12:13], v[140:141] neg_lo:[0,1] neg_hi:[0,1]
	s_wait_dscnt 0x0
	v_pk_mul_f32 v[140:141], v[136:137], v[128:129] op_sel:[0,1]
	s_delay_alu instid0(VALU_DEP_1) | instskip(SKIP_1) | instid1(VALU_DEP_1)
	v_pk_fma_f32 v[142:143], v[136:137], v[126:127], v[140:141] op_sel:[0,0,1] op_sel_hi:[1,1,0] neg_lo:[0,0,1] neg_hi:[0,0,1]
	v_pk_fma_f32 v[136:137], v[136:137], v[126:127], v[140:141] op_sel:[0,0,1] op_sel_hi:[1,0,0]
	v_mov_b32_e32 v143, v137
	v_pk_mul_f32 v[136:137], v[138:139], v[128:129] op_sel:[0,1]
	s_delay_alu instid0(VALU_DEP_1) | instskip(SKIP_1) | instid1(VALU_DEP_1)
	v_pk_fma_f32 v[140:141], v[138:139], v[126:127], v[136:137] op_sel:[0,0,1] op_sel_hi:[1,1,0] neg_lo:[0,0,1] neg_hi:[0,0,1]
	v_pk_fma_f32 v[136:137], v[138:139], v[126:127], v[136:137] op_sel:[0,0,1] op_sel_hi:[1,0,0]
	v_mov_b32_e32 v141, v137
	ds_load_2addr_b64 v[136:139], v130 offset0:46 offset1:47
	v_pk_add_f32 v[54:55], v[54:55], v[142:143] neg_lo:[0,1] neg_hi:[0,1]
	v_pk_add_f32 v[50:51], v[50:51], v[140:141] neg_lo:[0,1] neg_hi:[0,1]
	s_wait_dscnt 0x0
	v_dual_mul_f32 v140, v137, v129 :: v_dual_mul_f32 v142, v137, v126
	s_delay_alu instid0(VALU_DEP_1) | instskip(NEXT) | instid1(VALU_DEP_2)
	v_pk_fma_f32 v[140:141], v[136:137], v[42:43], v[140:141] op_sel_hi:[1,1,0] neg_lo:[0,0,1] neg_hi:[0,0,1]
	v_pk_fma_f32 v[136:137], v[136:137], v[42:43], v[142:143] op_sel:[1,0,0] op_sel_hi:[0,1,0]
	s_delay_alu instid0(VALU_DEP_1) | instskip(SKIP_1) | instid1(VALU_DEP_2)
	v_mov_b32_e32 v141, v137
	v_pk_mul_f32 v[136:137], v[138:139], v[128:129] op_sel:[0,1]
	v_pk_add_f32 v[52:53], v[52:53], v[140:141] neg_lo:[0,1] neg_hi:[0,1]
	s_delay_alu instid0(VALU_DEP_2) | instskip(SKIP_1) | instid1(VALU_DEP_1)
	v_pk_fma_f32 v[140:141], v[138:139], v[126:127], v[136:137] op_sel:[0,0,1] op_sel_hi:[1,1,0] neg_lo:[0,0,1] neg_hi:[0,0,1]
	v_pk_fma_f32 v[136:137], v[138:139], v[126:127], v[136:137] op_sel:[0,0,1] op_sel_hi:[1,0,0]
	v_mov_b32_e32 v141, v137
	ds_load_2addr_b64 v[136:139], v130 offset0:48 offset1:49
	v_pk_add_f32 v[10:11], v[10:11], v[140:141] neg_lo:[0,1] neg_hi:[0,1]
	s_wait_dscnt 0x0
	v_pk_mul_f32 v[140:141], v[136:137], v[128:129] op_sel:[0,1]
	s_delay_alu instid0(VALU_DEP_1) | instskip(SKIP_1) | instid1(VALU_DEP_1)
	v_pk_fma_f32 v[142:143], v[136:137], v[126:127], v[140:141] op_sel:[0,0,1] op_sel_hi:[1,1,0] neg_lo:[0,0,1] neg_hi:[0,0,1]
	v_pk_fma_f32 v[136:137], v[136:137], v[126:127], v[140:141] op_sel:[0,0,1] op_sel_hi:[1,0,0]
	v_mov_b32_e32 v143, v137
	v_pk_mul_f32 v[136:137], v[138:139], v[128:129] op_sel:[0,1]
	s_delay_alu instid0(VALU_DEP_2) | instskip(NEXT) | instid1(VALU_DEP_2)
	v_pk_add_f32 v[46:47], v[46:47], v[142:143] neg_lo:[0,1] neg_hi:[0,1]
	v_pk_fma_f32 v[140:141], v[138:139], v[126:127], v[136:137] op_sel:[0,0,1] op_sel_hi:[1,1,0] neg_lo:[0,0,1] neg_hi:[0,0,1]
	v_pk_fma_f32 v[136:137], v[138:139], v[126:127], v[136:137] op_sel:[0,0,1] op_sel_hi:[1,0,0]
	s_delay_alu instid0(VALU_DEP_1) | instskip(SKIP_4) | instid1(VALU_DEP_1)
	v_mov_b32_e32 v141, v137
	ds_load_2addr_b64 v[136:139], v130 offset0:50 offset1:51
	v_pk_add_f32 v[44:45], v[44:45], v[140:141] neg_lo:[0,1] neg_hi:[0,1]
	s_wait_dscnt 0x0
	v_pk_mul_f32 v[140:141], v[136:137], v[128:129] op_sel:[0,1]
	v_pk_fma_f32 v[142:143], v[136:137], v[126:127], v[140:141] op_sel:[0,0,1] op_sel_hi:[1,1,0] neg_lo:[0,0,1] neg_hi:[0,0,1]
	v_pk_fma_f32 v[136:137], v[136:137], v[126:127], v[140:141] op_sel:[0,0,1] op_sel_hi:[1,0,0]
	v_dual_mul_f32 v140, v139, v129 :: v_dual_mov_b32 v136, v139
	s_delay_alu instid0(VALU_DEP_2) | instskip(NEXT) | instid1(VALU_DEP_2)
	v_dual_mov_b32 v143, v137 :: v_dual_mov_b32 v137, v138
	v_pk_fma_f32 v[140:141], v[138:139], v[42:43], v[140:141] op_sel_hi:[1,1,0] neg_lo:[0,0,1] neg_hi:[0,0,1]
	v_mul_f32_e32 v138, v139, v126
	s_delay_alu instid0(VALU_DEP_3) | instskip(NEXT) | instid1(VALU_DEP_2)
	v_pk_add_f32 v[48:49], v[48:49], v[142:143] neg_lo:[0,1] neg_hi:[0,1]
	v_pk_fma_f32 v[136:137], v[136:137], v[42:43], v[138:139] op_sel_hi:[1,1,0]
	s_delay_alu instid0(VALU_DEP_1) | instskip(SKIP_4) | instid1(VALU_DEP_1)
	v_mov_b32_e32 v141, v137
	ds_load_2addr_b64 v[136:139], v130 offset0:52 offset1:53
	v_pk_add_f32 v[8:9], v[8:9], v[140:141] neg_lo:[0,1] neg_hi:[0,1]
	s_wait_dscnt 0x0
	v_pk_mul_f32 v[140:141], v[136:137], v[128:129] op_sel:[0,1]
	v_pk_fma_f32 v[142:143], v[136:137], v[126:127], v[140:141] op_sel:[0,0,1] op_sel_hi:[1,1,0] neg_lo:[0,0,1] neg_hi:[0,0,1]
	v_pk_fma_f32 v[136:137], v[136:137], v[126:127], v[140:141] op_sel:[0,0,1] op_sel_hi:[1,0,0]
	s_delay_alu instid0(VALU_DEP_1) | instskip(SKIP_1) | instid1(VALU_DEP_1)
	v_mov_b32_e32 v143, v137
	v_pk_mul_f32 v[136:137], v[138:139], v[128:129] op_sel:[0,1]
	v_pk_fma_f32 v[140:141], v[138:139], v[126:127], v[136:137] op_sel:[0,0,1] op_sel_hi:[1,1,0] neg_lo:[0,0,1] neg_hi:[0,0,1]
	v_pk_fma_f32 v[136:137], v[138:139], v[126:127], v[136:137] op_sel:[0,0,1] op_sel_hi:[1,0,0]
	s_delay_alu instid0(VALU_DEP_1)
	v_mov_b32_e32 v141, v137
	ds_load_2addr_b64 v[136:139], v130 offset0:54 offset1:55
	v_pk_add_f32 v[34:35], v[34:35], v[142:143] neg_lo:[0,1] neg_hi:[0,1]
	v_pk_add_f32 v[28:29], v[28:29], v[140:141] neg_lo:[0,1] neg_hi:[0,1]
	s_wait_dscnt 0x0
	v_pk_mul_f32 v[140:141], v[136:137], v[128:129] op_sel:[0,1]
	s_delay_alu instid0(VALU_DEP_1) | instskip(SKIP_1) | instid1(VALU_DEP_1)
	v_pk_fma_f32 v[142:143], v[136:137], v[126:127], v[140:141] op_sel:[0,0,1] op_sel_hi:[1,1,0] neg_lo:[0,0,1] neg_hi:[0,0,1]
	v_pk_fma_f32 v[136:137], v[136:137], v[126:127], v[140:141] op_sel:[0,0,1] op_sel_hi:[1,0,0]
	v_mov_b32_e32 v143, v137
	v_pk_mul_f32 v[136:137], v[138:139], v[128:129] op_sel:[0,1]
	s_delay_alu instid0(VALU_DEP_1) | instskip(SKIP_1) | instid1(VALU_DEP_1)
	v_pk_fma_f32 v[140:141], v[138:139], v[126:127], v[136:137] op_sel:[0,0,1] op_sel_hi:[1,1,0] neg_lo:[0,0,1] neg_hi:[0,0,1]
	v_pk_fma_f32 v[136:137], v[138:139], v[126:127], v[136:137] op_sel:[0,0,1] op_sel_hi:[1,0,0]
	v_mov_b32_e32 v141, v137
	ds_load_2addr_b64 v[136:139], v130 offset0:56 offset1:57
	v_pk_add_f32 v[32:33], v[32:33], v[142:143] neg_lo:[0,1] neg_hi:[0,1]
	v_pk_add_f32 v[6:7], v[6:7], v[140:141] neg_lo:[0,1] neg_hi:[0,1]
	s_wait_dscnt 0x0
	v_dual_mul_f32 v140, v137, v129 :: v_dual_mul_f32 v142, v137, v126
	s_delay_alu instid0(VALU_DEP_1) | instskip(NEXT) | instid1(VALU_DEP_2)
	v_pk_fma_f32 v[140:141], v[136:137], v[42:43], v[140:141] op_sel_hi:[1,1,0] neg_lo:[0,0,1] neg_hi:[0,0,1]
	v_pk_fma_f32 v[136:137], v[136:137], v[42:43], v[142:143] op_sel:[1,0,0] op_sel_hi:[0,1,0]
	s_delay_alu instid0(VALU_DEP_1) | instskip(SKIP_1) | instid1(VALU_DEP_2)
	v_mov_b32_e32 v141, v137
	v_pk_mul_f32 v[136:137], v[138:139], v[128:129] op_sel:[0,1]
	v_pk_add_f32 v[26:27], v[26:27], v[140:141] neg_lo:[0,1] neg_hi:[0,1]
	s_delay_alu instid0(VALU_DEP_2) | instskip(SKIP_1) | instid1(VALU_DEP_1)
	v_pk_fma_f32 v[140:141], v[138:139], v[126:127], v[136:137] op_sel:[0,0,1] op_sel_hi:[1,1,0] neg_lo:[0,0,1] neg_hi:[0,0,1]
	v_pk_fma_f32 v[136:137], v[138:139], v[126:127], v[136:137] op_sel:[0,0,1] op_sel_hi:[1,0,0]
	v_mov_b32_e32 v141, v137
	ds_load_2addr_b64 v[136:139], v130 offset0:58 offset1:59
	v_pk_add_f32 v[16:17], v[16:17], v[140:141] neg_lo:[0,1] neg_hi:[0,1]
	s_wait_dscnt 0x0
	v_pk_mul_f32 v[140:141], v[136:137], v[128:129] op_sel:[0,1]
	v_pk_mul_f32 v[128:129], v[138:139], v[128:129] op_sel:[0,1]
	s_delay_alu instid0(VALU_DEP_2) | instskip(SKIP_1) | instid1(VALU_DEP_1)
	v_pk_fma_f32 v[142:143], v[136:137], v[126:127], v[140:141] op_sel:[0,0,1] op_sel_hi:[1,1,0] neg_lo:[0,0,1] neg_hi:[0,0,1]
	v_pk_fma_f32 v[136:137], v[136:137], v[126:127], v[140:141] op_sel:[0,0,1] op_sel_hi:[1,0,0]
	v_mov_b32_e32 v143, v137
	s_delay_alu instid0(VALU_DEP_4) | instskip(SKIP_1) | instid1(VALU_DEP_3)
	v_pk_fma_f32 v[136:137], v[138:139], v[126:127], v[128:129] op_sel:[0,0,1] op_sel_hi:[1,1,0] neg_lo:[0,0,1] neg_hi:[0,0,1]
	v_pk_fma_f32 v[126:127], v[138:139], v[126:127], v[128:129] op_sel:[0,0,1] op_sel_hi:[1,0,0]
	v_pk_add_f32 v[14:15], v[14:15], v[142:143] neg_lo:[0,1] neg_hi:[0,1]
	s_delay_alu instid0(VALU_DEP_2) | instskip(NEXT) | instid1(VALU_DEP_1)
	v_mov_b32_e32 v137, v127
	v_pk_add_f32 v[124:125], v[124:125], v[136:137] neg_lo:[0,1] neg_hi:[0,1]
.LBB118_167:
	s_or_b32 exec_lo, exec_lo, s0
	v_lshl_add_u32 v126, v134, 3, v130
	s_barrier_signal -1
	s_barrier_wait -1
	ds_store_b64 v126, v[108:109]
	s_wait_dscnt 0x0
	s_barrier_signal -1
	s_barrier_wait -1
	ds_load_b64 v[128:129], v130 offset:64
	v_mov_b32_e32 v126, 8
	s_cmp_lt_i32 s18, 10
	s_cbranch_scc1 .LBB118_170
; %bb.168:
	v_add3_u32 v127, v131, 0, 0x48
	v_mov_b32_e32 v126, 8
	s_mov_b32 s0, 9
.LBB118_169:                            ; =>This Inner Loop Header: Depth=1
	ds_load_b64 v[136:137], v127
	s_wait_dscnt 0x1
	v_cmp_gt_f32_e32 vcc_lo, 0, v128
	v_cndmask_b32_e64 v138, v128, -v128, vcc_lo
	v_cmp_gt_f32_e32 vcc_lo, 0, v129
	v_cndmask_b32_e64 v140, v129, -v129, vcc_lo
	s_wait_dscnt 0x0
	v_cmp_gt_f32_e32 vcc_lo, 0, v136
	v_cndmask_b32_e64 v139, v136, -v136, vcc_lo
	v_cmp_gt_f32_e32 vcc_lo, 0, v137
	v_cndmask_b32_e64 v141, v137, -v137, vcc_lo
	s_delay_alu instid0(VALU_DEP_1) | instskip(NEXT) | instid1(VALU_DEP_1)
	v_pk_add_f32 v[138:139], v[138:139], v[140:141]
	v_cmp_lt_f32_e32 vcc_lo, v138, v139
	v_dual_add_nc_u32 v127, 8, v127 :: v_dual_cndmask_b32 v129, v129, v137, vcc_lo
	v_cndmask_b32_e32 v128, v128, v136, vcc_lo
	v_cndmask_b32_e64 v126, v126, s0, vcc_lo
	s_add_co_i32 s0, s0, 1
	s_delay_alu instid0(SALU_CYCLE_1)
	s_cmp_lg_u32 s18, s0
	s_cbranch_scc1 .LBB118_169
.LBB118_170:
	s_wait_dscnt 0x0
	v_cmp_eq_f32_e32 vcc_lo, 0, v128
	v_cmp_eq_f32_e64 s0, 0, v129
	s_and_b32 s0, vcc_lo, s0
	s_delay_alu instid0(SALU_CYCLE_1) | instskip(NEXT) | instid1(SALU_CYCLE_1)
	s_and_saveexec_b32 s1, s0
	s_xor_b32 s0, exec_lo, s1
; %bb.171:
	v_cmp_ne_u32_e32 vcc_lo, 0, v132
	v_cndmask_b32_e32 v132, 9, v132, vcc_lo
; %bb.172:
	s_and_not1_saveexec_b32 s0, s0
	s_cbranch_execz .LBB118_178
; %bb.173:
	v_cmp_ngt_f32_e64 s1, |v128|, |v129|
	s_and_saveexec_b32 s12, s1
	s_delay_alu instid0(SALU_CYCLE_1)
	s_xor_b32 s1, exec_lo, s12
	s_cbranch_execz .LBB118_175
; %bb.174:
	v_div_scale_f32 v127, null, v129, v129, v128
	v_div_scale_f32 v137, vcc_lo, v128, v129, v128
	s_delay_alu instid0(VALU_DEP_2) | instskip(SKIP_1) | instid1(TRANS32_DEP_1)
	v_rcp_f32_e32 v135, v127
	v_nop
	v_fma_f32 v136, -v127, v135, 1.0
	s_delay_alu instid0(VALU_DEP_1) | instskip(NEXT) | instid1(VALU_DEP_1)
	v_fmac_f32_e32 v135, v136, v135
	v_mul_f32_e32 v136, v137, v135
	s_delay_alu instid0(VALU_DEP_1) | instskip(NEXT) | instid1(VALU_DEP_1)
	v_fma_f32 v138, -v127, v136, v137
	v_fmac_f32_e32 v136, v138, v135
	s_delay_alu instid0(VALU_DEP_1) | instskip(NEXT) | instid1(VALU_DEP_1)
	v_fma_f32 v127, -v127, v136, v137
	v_div_fmas_f32 v127, v127, v135, v136
	s_delay_alu instid0(VALU_DEP_1) | instskip(NEXT) | instid1(VALU_DEP_1)
	v_div_fixup_f32 v127, v127, v129, v128
	v_fmac_f32_e32 v129, v128, v127
	s_delay_alu instid0(VALU_DEP_1) | instskip(SKIP_1) | instid1(VALU_DEP_2)
	v_div_scale_f32 v128, null, v129, v129, 1.0
	v_div_scale_f32 v137, vcc_lo, 1.0, v129, 1.0
	v_rcp_f32_e32 v135, v128
	v_nop
	s_delay_alu instid0(TRANS32_DEP_1) | instskip(NEXT) | instid1(VALU_DEP_1)
	v_fma_f32 v136, -v128, v135, 1.0
	v_fmac_f32_e32 v135, v136, v135
	s_delay_alu instid0(VALU_DEP_1) | instskip(NEXT) | instid1(VALU_DEP_1)
	v_mul_f32_e32 v136, v137, v135
	v_fma_f32 v138, -v128, v136, v137
	s_delay_alu instid0(VALU_DEP_1) | instskip(NEXT) | instid1(VALU_DEP_1)
	v_fmac_f32_e32 v136, v138, v135
	v_fma_f32 v128, -v128, v136, v137
	s_delay_alu instid0(VALU_DEP_1) | instskip(NEXT) | instid1(VALU_DEP_1)
	v_div_fmas_f32 v128, v128, v135, v136
	v_div_fixup_f32 v129, v128, v129, 1.0
	s_delay_alu instid0(VALU_DEP_1)
	v_mul_f32_e32 v128, v127, v129
	v_xor_b32_e32 v129, 0x80000000, v129
.LBB118_175:
	s_and_not1_saveexec_b32 s1, s1
	s_cbranch_execz .LBB118_177
; %bb.176:
	s_delay_alu instid0(VALU_DEP_1) | instskip(SKIP_1) | instid1(VALU_DEP_2)
	v_div_scale_f32 v127, null, v128, v128, v129
	v_div_scale_f32 v137, vcc_lo, v129, v128, v129
	v_rcp_f32_e32 v135, v127
	v_nop
	s_delay_alu instid0(TRANS32_DEP_1) | instskip(NEXT) | instid1(VALU_DEP_1)
	v_fma_f32 v136, -v127, v135, 1.0
	v_fmac_f32_e32 v135, v136, v135
	s_delay_alu instid0(VALU_DEP_1) | instskip(NEXT) | instid1(VALU_DEP_1)
	v_mul_f32_e32 v136, v137, v135
	v_fma_f32 v138, -v127, v136, v137
	s_delay_alu instid0(VALU_DEP_1) | instskip(NEXT) | instid1(VALU_DEP_1)
	v_fmac_f32_e32 v136, v138, v135
	v_fma_f32 v127, -v127, v136, v137
	s_delay_alu instid0(VALU_DEP_1) | instskip(NEXT) | instid1(VALU_DEP_1)
	v_div_fmas_f32 v127, v127, v135, v136
	v_div_fixup_f32 v127, v127, v128, v129
	s_delay_alu instid0(VALU_DEP_1) | instskip(NEXT) | instid1(VALU_DEP_1)
	v_fmac_f32_e32 v128, v129, v127
	v_div_scale_f32 v129, null, v128, v128, 1.0
	s_delay_alu instid0(VALU_DEP_1) | instskip(SKIP_1) | instid1(TRANS32_DEP_1)
	v_rcp_f32_e32 v135, v129
	v_nop
	v_fma_f32 v136, -v129, v135, 1.0
	s_delay_alu instid0(VALU_DEP_1) | instskip(SKIP_1) | instid1(VALU_DEP_1)
	v_fmac_f32_e32 v135, v136, v135
	v_div_scale_f32 v136, vcc_lo, 1.0, v128, 1.0
	v_mul_f32_e32 v137, v136, v135
	s_delay_alu instid0(VALU_DEP_1) | instskip(NEXT) | instid1(VALU_DEP_1)
	v_fma_f32 v138, -v129, v137, v136
	v_fmac_f32_e32 v137, v138, v135
	s_delay_alu instid0(VALU_DEP_1) | instskip(NEXT) | instid1(VALU_DEP_1)
	v_fma_f32 v129, -v129, v137, v136
	v_div_fmas_f32 v129, v129, v135, v137
	s_delay_alu instid0(VALU_DEP_1) | instskip(NEXT) | instid1(VALU_DEP_1)
	v_div_fixup_f32 v128, v129, v128, 1.0
	v_mul_f32_e64 v129, v127, -v128
.LBB118_177:
	s_or_b32 exec_lo, exec_lo, s1
.LBB118_178:
	s_delay_alu instid0(SALU_CYCLE_1) | instskip(NEXT) | instid1(SALU_CYCLE_1)
	s_or_b32 exec_lo, exec_lo, s0
	s_mov_b32 s0, exec_lo
	v_cmpx_ne_u32_e64 v134, v126
	s_xor_b32 s0, exec_lo, s0
	s_cbranch_execz .LBB118_184
; %bb.179:
	s_mov_b32 s1, exec_lo
	v_cmpx_eq_u32_e32 8, v134
	s_cbranch_execz .LBB118_183
; %bb.180:
	v_cmp_ne_u32_e32 vcc_lo, 8, v126
	s_xor_b32 s12, s16, -1
	s_delay_alu instid0(SALU_CYCLE_1) | instskip(NEXT) | instid1(SALU_CYCLE_1)
	s_and_b32 s13, s12, vcc_lo
	s_and_saveexec_b32 s12, s13
	s_cbranch_execz .LBB118_182
; %bb.181:
	v_ashrrev_i32_e32 v127, 31, v126
	s_delay_alu instid0(VALU_DEP_1)
	v_lshl_add_u64 v[134:135], v[126:127], 2, v[4:5]
	s_clause 0x1
	global_load_b32 v127, v[134:135], off
	global_load_b32 v133, v[4:5], off offset:32
	s_wait_loadcnt 0x1
	global_store_b32 v[4:5], v127, off offset:32
	s_wait_loadcnt 0x0
	global_store_b32 v[134:135], v133, off
.LBB118_182:
	s_wait_xcnt 0x0
	s_or_b32 exec_lo, exec_lo, s12
	v_dual_mov_b32 v134, v126 :: v_dual_mov_b32 v133, v126
.LBB118_183:
	s_or_b32 exec_lo, exec_lo, s1
.LBB118_184:
	s_and_not1_saveexec_b32 s0, s0
	s_cbranch_execz .LBB118_186
; %bb.185:
	v_mov_b32_e32 v134, 8
	ds_store_2addr_b64 v130, v[104:105], v[106:107] offset0:9 offset1:10
	ds_store_2addr_b64 v130, v[40:41], v[102:103] offset0:11 offset1:12
	;; [unrolled: 1-line block ×25, first 2 shown]
	ds_store_b64 v130, v[124:125] offset:472
.LBB118_186:
	s_or_b32 exec_lo, exec_lo, s0
	s_delay_alu instid0(SALU_CYCLE_1)
	s_mov_b32 s0, exec_lo
	s_wait_storecnt_dscnt 0x0
	s_barrier_signal -1
	s_barrier_wait -1
	v_cmpx_lt_i32_e32 8, v134
	s_cbranch_execz .LBB118_188
; %bb.187:
	v_pk_mul_f32 v[136:137], v[128:129], v[108:109] op_sel:[1,1] op_sel_hi:[0,1]
	s_delay_alu instid0(VALU_DEP_1)
	v_pk_fma_f32 v[126:127], v[128:129], v[108:109], v[136:137] op_sel_hi:[1,0,1] neg_lo:[0,0,1] neg_hi:[0,0,1]
	v_pk_fma_f32 v[128:129], v[128:129], v[108:109], v[136:137] op_sel_hi:[1,0,1]
	ds_load_2addr_b64 v[136:139], v130 offset0:9 offset1:10
	v_dual_mov_b32 v108, v126 :: v_dual_mov_b32 v109, v129
	s_wait_dscnt 0x0
	v_pk_mul_f32 v[140:141], v[136:137], v[128:129] op_sel:[0,1]
	s_delay_alu instid0(VALU_DEP_1) | instskip(SKIP_1) | instid1(VALU_DEP_1)
	v_pk_fma_f32 v[142:143], v[136:137], v[126:127], v[140:141] op_sel:[0,0,1] op_sel_hi:[1,1,0] neg_lo:[0,0,1] neg_hi:[0,0,1]
	v_pk_fma_f32 v[136:137], v[136:137], v[126:127], v[140:141] op_sel:[0,0,1] op_sel_hi:[1,0,0]
	v_mov_b32_e32 v143, v137
	v_pk_mul_f32 v[136:137], v[138:139], v[128:129] op_sel:[0,1]
	s_delay_alu instid0(VALU_DEP_1) | instskip(SKIP_1) | instid1(VALU_DEP_1)
	v_pk_fma_f32 v[140:141], v[138:139], v[126:127], v[136:137] op_sel:[0,0,1] op_sel_hi:[1,1,0] neg_lo:[0,0,1] neg_hi:[0,0,1]
	v_pk_fma_f32 v[136:137], v[138:139], v[126:127], v[136:137] op_sel:[0,0,1] op_sel_hi:[1,0,0]
	v_mov_b32_e32 v141, v137
	ds_load_2addr_b64 v[136:139], v130 offset0:11 offset1:12
	v_pk_add_f32 v[104:105], v[104:105], v[142:143] neg_lo:[0,1] neg_hi:[0,1]
	v_pk_add_f32 v[106:107], v[106:107], v[140:141] neg_lo:[0,1] neg_hi:[0,1]
	s_wait_dscnt 0x0
	v_pk_mul_f32 v[140:141], v[136:137], v[128:129] op_sel:[0,1]
	s_delay_alu instid0(VALU_DEP_1) | instskip(SKIP_2) | instid1(VALU_DEP_2)
	v_pk_fma_f32 v[142:143], v[136:137], v[126:127], v[140:141] op_sel:[0,0,1] op_sel_hi:[1,1,0] neg_lo:[0,0,1] neg_hi:[0,0,1]
	v_pk_fma_f32 v[136:137], v[136:137], v[126:127], v[140:141] op_sel:[0,0,1] op_sel_hi:[1,0,0]
	v_dual_mul_f32 v140, v139, v129 :: v_dual_mov_b32 v136, v139
	v_dual_mov_b32 v143, v137 :: v_dual_mov_b32 v137, v138
	s_delay_alu instid0(VALU_DEP_2) | instskip(SKIP_1) | instid1(VALU_DEP_3)
	v_pk_fma_f32 v[140:141], v[138:139], v[108:109], v[140:141] op_sel_hi:[1,1,0] neg_lo:[0,0,1] neg_hi:[0,0,1]
	v_mul_f32_e32 v138, v139, v126
	v_pk_add_f32 v[40:41], v[40:41], v[142:143] neg_lo:[0,1] neg_hi:[0,1]
	s_delay_alu instid0(VALU_DEP_2) | instskip(NEXT) | instid1(VALU_DEP_1)
	v_pk_fma_f32 v[136:137], v[136:137], v[108:109], v[138:139] op_sel_hi:[1,1,0]
	v_mov_b32_e32 v141, v137
	ds_load_2addr_b64 v[136:139], v130 offset0:13 offset1:14
	v_pk_add_f32 v[102:103], v[102:103], v[140:141] neg_lo:[0,1] neg_hi:[0,1]
	s_wait_dscnt 0x0
	v_pk_mul_f32 v[140:141], v[136:137], v[128:129] op_sel:[0,1]
	s_delay_alu instid0(VALU_DEP_1) | instskip(SKIP_1) | instid1(VALU_DEP_1)
	v_pk_fma_f32 v[142:143], v[136:137], v[126:127], v[140:141] op_sel:[0,0,1] op_sel_hi:[1,1,0] neg_lo:[0,0,1] neg_hi:[0,0,1]
	v_pk_fma_f32 v[136:137], v[136:137], v[126:127], v[140:141] op_sel:[0,0,1] op_sel_hi:[1,0,0]
	v_mov_b32_e32 v143, v137
	v_pk_mul_f32 v[136:137], v[138:139], v[128:129] op_sel:[0,1]
	s_delay_alu instid0(VALU_DEP_1) | instskip(SKIP_1) | instid1(VALU_DEP_1)
	v_pk_fma_f32 v[140:141], v[138:139], v[126:127], v[136:137] op_sel:[0,0,1] op_sel_hi:[1,1,0] neg_lo:[0,0,1] neg_hi:[0,0,1]
	v_pk_fma_f32 v[136:137], v[138:139], v[126:127], v[136:137] op_sel:[0,0,1] op_sel_hi:[1,0,0]
	v_mov_b32_e32 v141, v137
	ds_load_2addr_b64 v[136:139], v130 offset0:15 offset1:16
	v_pk_add_f32 v[98:99], v[98:99], v[142:143] neg_lo:[0,1] neg_hi:[0,1]
	v_pk_add_f32 v[100:101], v[100:101], v[140:141] neg_lo:[0,1] neg_hi:[0,1]
	s_wait_dscnt 0x0
	v_pk_mul_f32 v[140:141], v[136:137], v[128:129] op_sel:[0,1]
	s_delay_alu instid0(VALU_DEP_1) | instskip(SKIP_1) | instid1(VALU_DEP_1)
	v_pk_fma_f32 v[142:143], v[136:137], v[126:127], v[140:141] op_sel:[0,0,1] op_sel_hi:[1,1,0] neg_lo:[0,0,1] neg_hi:[0,0,1]
	v_pk_fma_f32 v[136:137], v[136:137], v[126:127], v[140:141] op_sel:[0,0,1] op_sel_hi:[1,0,0]
	v_mov_b32_e32 v143, v137
	v_pk_mul_f32 v[136:137], v[138:139], v[128:129] op_sel:[0,1]
	s_delay_alu instid0(VALU_DEP_1) | instskip(SKIP_1) | instid1(VALU_DEP_1)
	v_pk_fma_f32 v[140:141], v[138:139], v[126:127], v[136:137] op_sel:[0,0,1] op_sel_hi:[1,1,0] neg_lo:[0,0,1] neg_hi:[0,0,1]
	v_pk_fma_f32 v[136:137], v[138:139], v[126:127], v[136:137] op_sel:[0,0,1] op_sel_hi:[1,0,0]
	v_mov_b32_e32 v141, v137
	ds_load_2addr_b64 v[136:139], v130 offset0:17 offset1:18
	v_pk_add_f32 v[38:39], v[38:39], v[142:143] neg_lo:[0,1] neg_hi:[0,1]
	v_pk_add_f32 v[96:97], v[96:97], v[140:141] neg_lo:[0,1] neg_hi:[0,1]
	s_wait_dscnt 0x0
	v_dual_mul_f32 v140, v137, v129 :: v_dual_mul_f32 v142, v137, v126
	s_delay_alu instid0(VALU_DEP_1) | instskip(NEXT) | instid1(VALU_DEP_2)
	v_pk_fma_f32 v[140:141], v[136:137], v[108:109], v[140:141] op_sel_hi:[1,1,0] neg_lo:[0,0,1] neg_hi:[0,0,1]
	v_pk_fma_f32 v[136:137], v[136:137], v[108:109], v[142:143] op_sel:[1,0,0] op_sel_hi:[0,1,0]
	s_delay_alu instid0(VALU_DEP_1) | instskip(SKIP_1) | instid1(VALU_DEP_2)
	v_mov_b32_e32 v141, v137
	v_pk_mul_f32 v[136:137], v[138:139], v[128:129] op_sel:[0,1]
	v_pk_add_f32 v[92:93], v[92:93], v[140:141] neg_lo:[0,1] neg_hi:[0,1]
	s_delay_alu instid0(VALU_DEP_2) | instskip(SKIP_1) | instid1(VALU_DEP_1)
	v_pk_fma_f32 v[140:141], v[138:139], v[126:127], v[136:137] op_sel:[0,0,1] op_sel_hi:[1,1,0] neg_lo:[0,0,1] neg_hi:[0,0,1]
	v_pk_fma_f32 v[136:137], v[138:139], v[126:127], v[136:137] op_sel:[0,0,1] op_sel_hi:[1,0,0]
	v_mov_b32_e32 v141, v137
	ds_load_2addr_b64 v[136:139], v130 offset0:19 offset1:20
	v_pk_add_f32 v[94:95], v[94:95], v[140:141] neg_lo:[0,1] neg_hi:[0,1]
	s_wait_dscnt 0x0
	v_pk_mul_f32 v[140:141], v[136:137], v[128:129] op_sel:[0,1]
	s_delay_alu instid0(VALU_DEP_1) | instskip(SKIP_1) | instid1(VALU_DEP_1)
	v_pk_fma_f32 v[142:143], v[136:137], v[126:127], v[140:141] op_sel:[0,0,1] op_sel_hi:[1,1,0] neg_lo:[0,0,1] neg_hi:[0,0,1]
	v_pk_fma_f32 v[136:137], v[136:137], v[126:127], v[140:141] op_sel:[0,0,1] op_sel_hi:[1,0,0]
	v_mov_b32_e32 v143, v137
	v_pk_mul_f32 v[136:137], v[138:139], v[128:129] op_sel:[0,1]
	s_delay_alu instid0(VALU_DEP_2) | instskip(NEXT) | instid1(VALU_DEP_2)
	v_pk_add_f32 v[36:37], v[36:37], v[142:143] neg_lo:[0,1] neg_hi:[0,1]
	v_pk_fma_f32 v[140:141], v[138:139], v[126:127], v[136:137] op_sel:[0,0,1] op_sel_hi:[1,1,0] neg_lo:[0,0,1] neg_hi:[0,0,1]
	v_pk_fma_f32 v[136:137], v[138:139], v[126:127], v[136:137] op_sel:[0,0,1] op_sel_hi:[1,0,0]
	s_delay_alu instid0(VALU_DEP_1) | instskip(SKIP_4) | instid1(VALU_DEP_1)
	v_mov_b32_e32 v141, v137
	ds_load_2addr_b64 v[136:139], v130 offset0:21 offset1:22
	v_pk_add_f32 v[90:91], v[90:91], v[140:141] neg_lo:[0,1] neg_hi:[0,1]
	s_wait_dscnt 0x0
	v_pk_mul_f32 v[140:141], v[136:137], v[128:129] op_sel:[0,1]
	v_pk_fma_f32 v[142:143], v[136:137], v[126:127], v[140:141] op_sel:[0,0,1] op_sel_hi:[1,1,0] neg_lo:[0,0,1] neg_hi:[0,0,1]
	v_pk_fma_f32 v[136:137], v[136:137], v[126:127], v[140:141] op_sel:[0,0,1] op_sel_hi:[1,0,0]
	v_dual_mul_f32 v140, v139, v129 :: v_dual_mov_b32 v136, v139
	s_delay_alu instid0(VALU_DEP_2) | instskip(NEXT) | instid1(VALU_DEP_2)
	v_dual_mov_b32 v143, v137 :: v_dual_mov_b32 v137, v138
	v_pk_fma_f32 v[140:141], v[138:139], v[108:109], v[140:141] op_sel_hi:[1,1,0] neg_lo:[0,0,1] neg_hi:[0,0,1]
	v_mul_f32_e32 v138, v139, v126
	s_delay_alu instid0(VALU_DEP_3) | instskip(NEXT) | instid1(VALU_DEP_2)
	v_pk_add_f32 v[86:87], v[86:87], v[142:143] neg_lo:[0,1] neg_hi:[0,1]
	v_pk_fma_f32 v[136:137], v[136:137], v[108:109], v[138:139] op_sel_hi:[1,1,0]
	s_delay_alu instid0(VALU_DEP_1) | instskip(SKIP_4) | instid1(VALU_DEP_1)
	v_mov_b32_e32 v141, v137
	ds_load_2addr_b64 v[136:139], v130 offset0:23 offset1:24
	v_pk_add_f32 v[88:89], v[88:89], v[140:141] neg_lo:[0,1] neg_hi:[0,1]
	s_wait_dscnt 0x0
	v_pk_mul_f32 v[140:141], v[136:137], v[128:129] op_sel:[0,1]
	v_pk_fma_f32 v[142:143], v[136:137], v[126:127], v[140:141] op_sel:[0,0,1] op_sel_hi:[1,1,0] neg_lo:[0,0,1] neg_hi:[0,0,1]
	v_pk_fma_f32 v[136:137], v[136:137], v[126:127], v[140:141] op_sel:[0,0,1] op_sel_hi:[1,0,0]
	s_delay_alu instid0(VALU_DEP_1) | instskip(SKIP_1) | instid1(VALU_DEP_1)
	v_mov_b32_e32 v143, v137
	v_pk_mul_f32 v[136:137], v[138:139], v[128:129] op_sel:[0,1]
	v_pk_fma_f32 v[140:141], v[138:139], v[126:127], v[136:137] op_sel:[0,0,1] op_sel_hi:[1,1,0] neg_lo:[0,0,1] neg_hi:[0,0,1]
	v_pk_fma_f32 v[136:137], v[138:139], v[126:127], v[136:137] op_sel:[0,0,1] op_sel_hi:[1,0,0]
	s_delay_alu instid0(VALU_DEP_1)
	v_mov_b32_e32 v141, v137
	ds_load_2addr_b64 v[136:139], v130 offset0:25 offset1:26
	v_pk_add_f32 v[30:31], v[30:31], v[142:143] neg_lo:[0,1] neg_hi:[0,1]
	v_pk_add_f32 v[84:85], v[84:85], v[140:141] neg_lo:[0,1] neg_hi:[0,1]
	s_wait_dscnt 0x0
	v_pk_mul_f32 v[140:141], v[136:137], v[128:129] op_sel:[0,1]
	s_delay_alu instid0(VALU_DEP_1) | instskip(SKIP_1) | instid1(VALU_DEP_1)
	v_pk_fma_f32 v[142:143], v[136:137], v[126:127], v[140:141] op_sel:[0,0,1] op_sel_hi:[1,1,0] neg_lo:[0,0,1] neg_hi:[0,0,1]
	v_pk_fma_f32 v[136:137], v[136:137], v[126:127], v[140:141] op_sel:[0,0,1] op_sel_hi:[1,0,0]
	v_mov_b32_e32 v143, v137
	v_pk_mul_f32 v[136:137], v[138:139], v[128:129] op_sel:[0,1]
	s_delay_alu instid0(VALU_DEP_1) | instskip(SKIP_1) | instid1(VALU_DEP_1)
	v_pk_fma_f32 v[140:141], v[138:139], v[126:127], v[136:137] op_sel:[0,0,1] op_sel_hi:[1,1,0] neg_lo:[0,0,1] neg_hi:[0,0,1]
	v_pk_fma_f32 v[136:137], v[138:139], v[126:127], v[136:137] op_sel:[0,0,1] op_sel_hi:[1,0,0]
	v_mov_b32_e32 v141, v137
	ds_load_2addr_b64 v[136:139], v130 offset0:27 offset1:28
	v_pk_add_f32 v[80:81], v[80:81], v[142:143] neg_lo:[0,1] neg_hi:[0,1]
	v_pk_add_f32 v[82:83], v[82:83], v[140:141] neg_lo:[0,1] neg_hi:[0,1]
	s_wait_dscnt 0x0
	v_dual_mul_f32 v140, v137, v129 :: v_dual_mul_f32 v142, v137, v126
	s_delay_alu instid0(VALU_DEP_1) | instskip(NEXT) | instid1(VALU_DEP_2)
	v_pk_fma_f32 v[140:141], v[136:137], v[108:109], v[140:141] op_sel_hi:[1,1,0] neg_lo:[0,0,1] neg_hi:[0,0,1]
	v_pk_fma_f32 v[136:137], v[136:137], v[108:109], v[142:143] op_sel:[1,0,0] op_sel_hi:[0,1,0]
	s_delay_alu instid0(VALU_DEP_1) | instskip(SKIP_1) | instid1(VALU_DEP_2)
	v_mov_b32_e32 v141, v137
	v_pk_mul_f32 v[136:137], v[138:139], v[128:129] op_sel:[0,1]
	v_pk_add_f32 v[24:25], v[24:25], v[140:141] neg_lo:[0,1] neg_hi:[0,1]
	s_delay_alu instid0(VALU_DEP_2) | instskip(SKIP_1) | instid1(VALU_DEP_1)
	v_pk_fma_f32 v[140:141], v[138:139], v[126:127], v[136:137] op_sel:[0,0,1] op_sel_hi:[1,1,0] neg_lo:[0,0,1] neg_hi:[0,0,1]
	v_pk_fma_f32 v[136:137], v[138:139], v[126:127], v[136:137] op_sel:[0,0,1] op_sel_hi:[1,0,0]
	v_mov_b32_e32 v141, v137
	ds_load_2addr_b64 v[136:139], v130 offset0:29 offset1:30
	v_pk_add_f32 v[78:79], v[78:79], v[140:141] neg_lo:[0,1] neg_hi:[0,1]
	s_wait_dscnt 0x0
	v_pk_mul_f32 v[140:141], v[136:137], v[128:129] op_sel:[0,1]
	s_delay_alu instid0(VALU_DEP_1) | instskip(SKIP_1) | instid1(VALU_DEP_1)
	v_pk_fma_f32 v[142:143], v[136:137], v[126:127], v[140:141] op_sel:[0,0,1] op_sel_hi:[1,1,0] neg_lo:[0,0,1] neg_hi:[0,0,1]
	v_pk_fma_f32 v[136:137], v[136:137], v[126:127], v[140:141] op_sel:[0,0,1] op_sel_hi:[1,0,0]
	v_mov_b32_e32 v143, v137
	v_pk_mul_f32 v[136:137], v[138:139], v[128:129] op_sel:[0,1]
	s_delay_alu instid0(VALU_DEP_2) | instskip(NEXT) | instid1(VALU_DEP_2)
	v_pk_add_f32 v[74:75], v[74:75], v[142:143] neg_lo:[0,1] neg_hi:[0,1]
	v_pk_fma_f32 v[140:141], v[138:139], v[126:127], v[136:137] op_sel:[0,0,1] op_sel_hi:[1,1,0] neg_lo:[0,0,1] neg_hi:[0,0,1]
	v_pk_fma_f32 v[136:137], v[138:139], v[126:127], v[136:137] op_sel:[0,0,1] op_sel_hi:[1,0,0]
	s_delay_alu instid0(VALU_DEP_1) | instskip(SKIP_4) | instid1(VALU_DEP_1)
	v_mov_b32_e32 v141, v137
	ds_load_2addr_b64 v[136:139], v130 offset0:31 offset1:32
	v_pk_add_f32 v[76:77], v[76:77], v[140:141] neg_lo:[0,1] neg_hi:[0,1]
	s_wait_dscnt 0x0
	v_pk_mul_f32 v[140:141], v[136:137], v[128:129] op_sel:[0,1]
	v_pk_fma_f32 v[142:143], v[136:137], v[126:127], v[140:141] op_sel:[0,0,1] op_sel_hi:[1,1,0] neg_lo:[0,0,1] neg_hi:[0,0,1]
	v_pk_fma_f32 v[136:137], v[136:137], v[126:127], v[140:141] op_sel:[0,0,1] op_sel_hi:[1,0,0]
	v_dual_mul_f32 v140, v139, v129 :: v_dual_mov_b32 v136, v139
	s_delay_alu instid0(VALU_DEP_2) | instskip(NEXT) | instid1(VALU_DEP_2)
	v_dual_mov_b32 v143, v137 :: v_dual_mov_b32 v137, v138
	v_pk_fma_f32 v[140:141], v[138:139], v[108:109], v[140:141] op_sel_hi:[1,1,0] neg_lo:[0,0,1] neg_hi:[0,0,1]
	v_mul_f32_e32 v138, v139, v126
	s_delay_alu instid0(VALU_DEP_3) | instskip(NEXT) | instid1(VALU_DEP_2)
	v_pk_add_f32 v[22:23], v[22:23], v[142:143] neg_lo:[0,1] neg_hi:[0,1]
	v_pk_fma_f32 v[136:137], v[136:137], v[108:109], v[138:139] op_sel_hi:[1,1,0]
	s_delay_alu instid0(VALU_DEP_1) | instskip(SKIP_4) | instid1(VALU_DEP_1)
	v_mov_b32_e32 v141, v137
	ds_load_2addr_b64 v[136:139], v130 offset0:33 offset1:34
	v_pk_add_f32 v[72:73], v[72:73], v[140:141] neg_lo:[0,1] neg_hi:[0,1]
	s_wait_dscnt 0x0
	v_pk_mul_f32 v[140:141], v[136:137], v[128:129] op_sel:[0,1]
	v_pk_fma_f32 v[142:143], v[136:137], v[126:127], v[140:141] op_sel:[0,0,1] op_sel_hi:[1,1,0] neg_lo:[0,0,1] neg_hi:[0,0,1]
	v_pk_fma_f32 v[136:137], v[136:137], v[126:127], v[140:141] op_sel:[0,0,1] op_sel_hi:[1,0,0]
	s_delay_alu instid0(VALU_DEP_1) | instskip(SKIP_1) | instid1(VALU_DEP_1)
	v_mov_b32_e32 v143, v137
	v_pk_mul_f32 v[136:137], v[138:139], v[128:129] op_sel:[0,1]
	v_pk_fma_f32 v[140:141], v[138:139], v[126:127], v[136:137] op_sel:[0,0,1] op_sel_hi:[1,1,0] neg_lo:[0,0,1] neg_hi:[0,0,1]
	v_pk_fma_f32 v[136:137], v[138:139], v[126:127], v[136:137] op_sel:[0,0,1] op_sel_hi:[1,0,0]
	s_delay_alu instid0(VALU_DEP_1)
	v_mov_b32_e32 v141, v137
	ds_load_2addr_b64 v[136:139], v130 offset0:35 offset1:36
	v_pk_add_f32 v[68:69], v[68:69], v[142:143] neg_lo:[0,1] neg_hi:[0,1]
	v_pk_add_f32 v[70:71], v[70:71], v[140:141] neg_lo:[0,1] neg_hi:[0,1]
	s_wait_dscnt 0x0
	v_pk_mul_f32 v[140:141], v[136:137], v[128:129] op_sel:[0,1]
	s_delay_alu instid0(VALU_DEP_1) | instskip(SKIP_1) | instid1(VALU_DEP_1)
	v_pk_fma_f32 v[142:143], v[136:137], v[126:127], v[140:141] op_sel:[0,0,1] op_sel_hi:[1,1,0] neg_lo:[0,0,1] neg_hi:[0,0,1]
	v_pk_fma_f32 v[136:137], v[136:137], v[126:127], v[140:141] op_sel:[0,0,1] op_sel_hi:[1,0,0]
	v_mov_b32_e32 v143, v137
	v_pk_mul_f32 v[136:137], v[138:139], v[128:129] op_sel:[0,1]
	s_delay_alu instid0(VALU_DEP_1) | instskip(SKIP_1) | instid1(VALU_DEP_1)
	v_pk_fma_f32 v[140:141], v[138:139], v[126:127], v[136:137] op_sel:[0,0,1] op_sel_hi:[1,1,0] neg_lo:[0,0,1] neg_hi:[0,0,1]
	v_pk_fma_f32 v[136:137], v[138:139], v[126:127], v[136:137] op_sel:[0,0,1] op_sel_hi:[1,0,0]
	v_mov_b32_e32 v141, v137
	ds_load_2addr_b64 v[136:139], v130 offset0:37 offset1:38
	v_pk_add_f32 v[20:21], v[20:21], v[142:143] neg_lo:[0,1] neg_hi:[0,1]
	v_pk_add_f32 v[66:67], v[66:67], v[140:141] neg_lo:[0,1] neg_hi:[0,1]
	s_wait_dscnt 0x0
	v_dual_mul_f32 v140, v137, v129 :: v_dual_mul_f32 v142, v137, v126
	s_delay_alu instid0(VALU_DEP_1) | instskip(NEXT) | instid1(VALU_DEP_2)
	v_pk_fma_f32 v[140:141], v[136:137], v[108:109], v[140:141] op_sel_hi:[1,1,0] neg_lo:[0,0,1] neg_hi:[0,0,1]
	v_pk_fma_f32 v[136:137], v[136:137], v[108:109], v[142:143] op_sel:[1,0,0] op_sel_hi:[0,1,0]
	s_delay_alu instid0(VALU_DEP_1) | instskip(SKIP_1) | instid1(VALU_DEP_2)
	v_mov_b32_e32 v141, v137
	v_pk_mul_f32 v[136:137], v[138:139], v[128:129] op_sel:[0,1]
	v_pk_add_f32 v[62:63], v[62:63], v[140:141] neg_lo:[0,1] neg_hi:[0,1]
	s_delay_alu instid0(VALU_DEP_2) | instskip(SKIP_1) | instid1(VALU_DEP_1)
	v_pk_fma_f32 v[140:141], v[138:139], v[126:127], v[136:137] op_sel:[0,0,1] op_sel_hi:[1,1,0] neg_lo:[0,0,1] neg_hi:[0,0,1]
	v_pk_fma_f32 v[136:137], v[138:139], v[126:127], v[136:137] op_sel:[0,0,1] op_sel_hi:[1,0,0]
	v_mov_b32_e32 v141, v137
	ds_load_2addr_b64 v[136:139], v130 offset0:39 offset1:40
	v_pk_add_f32 v[64:65], v[64:65], v[140:141] neg_lo:[0,1] neg_hi:[0,1]
	s_wait_dscnt 0x0
	v_pk_mul_f32 v[140:141], v[136:137], v[128:129] op_sel:[0,1]
	s_delay_alu instid0(VALU_DEP_1) | instskip(SKIP_1) | instid1(VALU_DEP_1)
	v_pk_fma_f32 v[142:143], v[136:137], v[126:127], v[140:141] op_sel:[0,0,1] op_sel_hi:[1,1,0] neg_lo:[0,0,1] neg_hi:[0,0,1]
	v_pk_fma_f32 v[136:137], v[136:137], v[126:127], v[140:141] op_sel:[0,0,1] op_sel_hi:[1,0,0]
	v_mov_b32_e32 v143, v137
	v_pk_mul_f32 v[136:137], v[138:139], v[128:129] op_sel:[0,1]
	s_delay_alu instid0(VALU_DEP_2) | instskip(NEXT) | instid1(VALU_DEP_2)
	v_pk_add_f32 v[18:19], v[18:19], v[142:143] neg_lo:[0,1] neg_hi:[0,1]
	v_pk_fma_f32 v[140:141], v[138:139], v[126:127], v[136:137] op_sel:[0,0,1] op_sel_hi:[1,1,0] neg_lo:[0,0,1] neg_hi:[0,0,1]
	v_pk_fma_f32 v[136:137], v[138:139], v[126:127], v[136:137] op_sel:[0,0,1] op_sel_hi:[1,0,0]
	s_delay_alu instid0(VALU_DEP_1) | instskip(SKIP_4) | instid1(VALU_DEP_1)
	v_mov_b32_e32 v141, v137
	ds_load_2addr_b64 v[136:139], v130 offset0:41 offset1:42
	v_pk_add_f32 v[60:61], v[60:61], v[140:141] neg_lo:[0,1] neg_hi:[0,1]
	s_wait_dscnt 0x0
	v_pk_mul_f32 v[140:141], v[136:137], v[128:129] op_sel:[0,1]
	v_pk_fma_f32 v[142:143], v[136:137], v[126:127], v[140:141] op_sel:[0,0,1] op_sel_hi:[1,1,0] neg_lo:[0,0,1] neg_hi:[0,0,1]
	v_pk_fma_f32 v[136:137], v[136:137], v[126:127], v[140:141] op_sel:[0,0,1] op_sel_hi:[1,0,0]
	v_dual_mul_f32 v140, v139, v129 :: v_dual_mov_b32 v136, v139
	s_delay_alu instid0(VALU_DEP_2) | instskip(NEXT) | instid1(VALU_DEP_2)
	v_dual_mov_b32 v143, v137 :: v_dual_mov_b32 v137, v138
	v_pk_fma_f32 v[140:141], v[138:139], v[108:109], v[140:141] op_sel_hi:[1,1,0] neg_lo:[0,0,1] neg_hi:[0,0,1]
	v_mul_f32_e32 v138, v139, v126
	s_delay_alu instid0(VALU_DEP_3) | instskip(NEXT) | instid1(VALU_DEP_2)
	v_pk_add_f32 v[56:57], v[56:57], v[142:143] neg_lo:[0,1] neg_hi:[0,1]
	v_pk_fma_f32 v[136:137], v[136:137], v[108:109], v[138:139] op_sel_hi:[1,1,0]
	s_delay_alu instid0(VALU_DEP_1) | instskip(SKIP_4) | instid1(VALU_DEP_1)
	v_mov_b32_e32 v141, v137
	ds_load_2addr_b64 v[136:139], v130 offset0:43 offset1:44
	v_pk_add_f32 v[58:59], v[58:59], v[140:141] neg_lo:[0,1] neg_hi:[0,1]
	s_wait_dscnt 0x0
	v_pk_mul_f32 v[140:141], v[136:137], v[128:129] op_sel:[0,1]
	v_pk_fma_f32 v[142:143], v[136:137], v[126:127], v[140:141] op_sel:[0,0,1] op_sel_hi:[1,1,0] neg_lo:[0,0,1] neg_hi:[0,0,1]
	v_pk_fma_f32 v[136:137], v[136:137], v[126:127], v[140:141] op_sel:[0,0,1] op_sel_hi:[1,0,0]
	s_delay_alu instid0(VALU_DEP_1) | instskip(SKIP_1) | instid1(VALU_DEP_1)
	v_mov_b32_e32 v143, v137
	v_pk_mul_f32 v[136:137], v[138:139], v[128:129] op_sel:[0,1]
	v_pk_fma_f32 v[140:141], v[138:139], v[126:127], v[136:137] op_sel:[0,0,1] op_sel_hi:[1,1,0] neg_lo:[0,0,1] neg_hi:[0,0,1]
	v_pk_fma_f32 v[136:137], v[138:139], v[126:127], v[136:137] op_sel:[0,0,1] op_sel_hi:[1,0,0]
	s_delay_alu instid0(VALU_DEP_1)
	v_mov_b32_e32 v141, v137
	ds_load_2addr_b64 v[136:139], v130 offset0:45 offset1:46
	v_pk_add_f32 v[12:13], v[12:13], v[142:143] neg_lo:[0,1] neg_hi:[0,1]
	v_pk_add_f32 v[54:55], v[54:55], v[140:141] neg_lo:[0,1] neg_hi:[0,1]
	s_wait_dscnt 0x0
	v_pk_mul_f32 v[140:141], v[136:137], v[128:129] op_sel:[0,1]
	s_delay_alu instid0(VALU_DEP_1) | instskip(SKIP_1) | instid1(VALU_DEP_1)
	v_pk_fma_f32 v[142:143], v[136:137], v[126:127], v[140:141] op_sel:[0,0,1] op_sel_hi:[1,1,0] neg_lo:[0,0,1] neg_hi:[0,0,1]
	v_pk_fma_f32 v[136:137], v[136:137], v[126:127], v[140:141] op_sel:[0,0,1] op_sel_hi:[1,0,0]
	v_mov_b32_e32 v143, v137
	v_pk_mul_f32 v[136:137], v[138:139], v[128:129] op_sel:[0,1]
	s_delay_alu instid0(VALU_DEP_1) | instskip(SKIP_1) | instid1(VALU_DEP_1)
	v_pk_fma_f32 v[140:141], v[138:139], v[126:127], v[136:137] op_sel:[0,0,1] op_sel_hi:[1,1,0] neg_lo:[0,0,1] neg_hi:[0,0,1]
	v_pk_fma_f32 v[136:137], v[138:139], v[126:127], v[136:137] op_sel:[0,0,1] op_sel_hi:[1,0,0]
	v_mov_b32_e32 v141, v137
	ds_load_2addr_b64 v[136:139], v130 offset0:47 offset1:48
	v_pk_add_f32 v[50:51], v[50:51], v[142:143] neg_lo:[0,1] neg_hi:[0,1]
	v_pk_add_f32 v[52:53], v[52:53], v[140:141] neg_lo:[0,1] neg_hi:[0,1]
	s_wait_dscnt 0x0
	v_dual_mul_f32 v140, v137, v129 :: v_dual_mul_f32 v142, v137, v126
	s_delay_alu instid0(VALU_DEP_1) | instskip(NEXT) | instid1(VALU_DEP_2)
	v_pk_fma_f32 v[140:141], v[136:137], v[108:109], v[140:141] op_sel_hi:[1,1,0] neg_lo:[0,0,1] neg_hi:[0,0,1]
	v_pk_fma_f32 v[136:137], v[136:137], v[108:109], v[142:143] op_sel:[1,0,0] op_sel_hi:[0,1,0]
	s_delay_alu instid0(VALU_DEP_1) | instskip(SKIP_1) | instid1(VALU_DEP_2)
	v_mov_b32_e32 v141, v137
	v_pk_mul_f32 v[136:137], v[138:139], v[128:129] op_sel:[0,1]
	v_pk_add_f32 v[10:11], v[10:11], v[140:141] neg_lo:[0,1] neg_hi:[0,1]
	s_delay_alu instid0(VALU_DEP_2) | instskip(SKIP_1) | instid1(VALU_DEP_1)
	v_pk_fma_f32 v[140:141], v[138:139], v[126:127], v[136:137] op_sel:[0,0,1] op_sel_hi:[1,1,0] neg_lo:[0,0,1] neg_hi:[0,0,1]
	v_pk_fma_f32 v[136:137], v[138:139], v[126:127], v[136:137] op_sel:[0,0,1] op_sel_hi:[1,0,0]
	v_mov_b32_e32 v141, v137
	ds_load_2addr_b64 v[136:139], v130 offset0:49 offset1:50
	v_pk_add_f32 v[46:47], v[46:47], v[140:141] neg_lo:[0,1] neg_hi:[0,1]
	s_wait_dscnt 0x0
	v_pk_mul_f32 v[140:141], v[136:137], v[128:129] op_sel:[0,1]
	s_delay_alu instid0(VALU_DEP_1) | instskip(SKIP_1) | instid1(VALU_DEP_1)
	v_pk_fma_f32 v[142:143], v[136:137], v[126:127], v[140:141] op_sel:[0,0,1] op_sel_hi:[1,1,0] neg_lo:[0,0,1] neg_hi:[0,0,1]
	v_pk_fma_f32 v[136:137], v[136:137], v[126:127], v[140:141] op_sel:[0,0,1] op_sel_hi:[1,0,0]
	v_mov_b32_e32 v143, v137
	v_pk_mul_f32 v[136:137], v[138:139], v[128:129] op_sel:[0,1]
	s_delay_alu instid0(VALU_DEP_2) | instskip(NEXT) | instid1(VALU_DEP_2)
	v_pk_add_f32 v[44:45], v[44:45], v[142:143] neg_lo:[0,1] neg_hi:[0,1]
	v_pk_fma_f32 v[140:141], v[138:139], v[126:127], v[136:137] op_sel:[0,0,1] op_sel_hi:[1,1,0] neg_lo:[0,0,1] neg_hi:[0,0,1]
	v_pk_fma_f32 v[136:137], v[138:139], v[126:127], v[136:137] op_sel:[0,0,1] op_sel_hi:[1,0,0]
	s_delay_alu instid0(VALU_DEP_1) | instskip(SKIP_4) | instid1(VALU_DEP_1)
	v_mov_b32_e32 v141, v137
	ds_load_2addr_b64 v[136:139], v130 offset0:51 offset1:52
	v_pk_add_f32 v[48:49], v[48:49], v[140:141] neg_lo:[0,1] neg_hi:[0,1]
	s_wait_dscnt 0x0
	v_pk_mul_f32 v[140:141], v[136:137], v[128:129] op_sel:[0,1]
	v_pk_fma_f32 v[142:143], v[136:137], v[126:127], v[140:141] op_sel:[0,0,1] op_sel_hi:[1,1,0] neg_lo:[0,0,1] neg_hi:[0,0,1]
	v_pk_fma_f32 v[136:137], v[136:137], v[126:127], v[140:141] op_sel:[0,0,1] op_sel_hi:[1,0,0]
	v_dual_mul_f32 v140, v139, v129 :: v_dual_mov_b32 v136, v139
	s_delay_alu instid0(VALU_DEP_2) | instskip(NEXT) | instid1(VALU_DEP_2)
	v_dual_mov_b32 v143, v137 :: v_dual_mov_b32 v137, v138
	v_pk_fma_f32 v[140:141], v[138:139], v[108:109], v[140:141] op_sel_hi:[1,1,0] neg_lo:[0,0,1] neg_hi:[0,0,1]
	v_mul_f32_e32 v138, v139, v126
	s_delay_alu instid0(VALU_DEP_3) | instskip(NEXT) | instid1(VALU_DEP_2)
	v_pk_add_f32 v[8:9], v[8:9], v[142:143] neg_lo:[0,1] neg_hi:[0,1]
	v_pk_fma_f32 v[136:137], v[136:137], v[108:109], v[138:139] op_sel_hi:[1,1,0]
	s_delay_alu instid0(VALU_DEP_1) | instskip(SKIP_4) | instid1(VALU_DEP_1)
	v_mov_b32_e32 v141, v137
	ds_load_2addr_b64 v[136:139], v130 offset0:53 offset1:54
	v_pk_add_f32 v[34:35], v[34:35], v[140:141] neg_lo:[0,1] neg_hi:[0,1]
	s_wait_dscnt 0x0
	v_pk_mul_f32 v[140:141], v[136:137], v[128:129] op_sel:[0,1]
	v_pk_fma_f32 v[142:143], v[136:137], v[126:127], v[140:141] op_sel:[0,0,1] op_sel_hi:[1,1,0] neg_lo:[0,0,1] neg_hi:[0,0,1]
	v_pk_fma_f32 v[136:137], v[136:137], v[126:127], v[140:141] op_sel:[0,0,1] op_sel_hi:[1,0,0]
	s_delay_alu instid0(VALU_DEP_1) | instskip(SKIP_1) | instid1(VALU_DEP_1)
	v_mov_b32_e32 v143, v137
	v_pk_mul_f32 v[136:137], v[138:139], v[128:129] op_sel:[0,1]
	v_pk_fma_f32 v[140:141], v[138:139], v[126:127], v[136:137] op_sel:[0,0,1] op_sel_hi:[1,1,0] neg_lo:[0,0,1] neg_hi:[0,0,1]
	v_pk_fma_f32 v[136:137], v[138:139], v[126:127], v[136:137] op_sel:[0,0,1] op_sel_hi:[1,0,0]
	s_delay_alu instid0(VALU_DEP_1)
	v_mov_b32_e32 v141, v137
	ds_load_2addr_b64 v[136:139], v130 offset0:55 offset1:56
	v_pk_add_f32 v[28:29], v[28:29], v[142:143] neg_lo:[0,1] neg_hi:[0,1]
	v_pk_add_f32 v[32:33], v[32:33], v[140:141] neg_lo:[0,1] neg_hi:[0,1]
	s_wait_dscnt 0x0
	v_pk_mul_f32 v[140:141], v[136:137], v[128:129] op_sel:[0,1]
	s_delay_alu instid0(VALU_DEP_1) | instskip(SKIP_1) | instid1(VALU_DEP_1)
	v_pk_fma_f32 v[142:143], v[136:137], v[126:127], v[140:141] op_sel:[0,0,1] op_sel_hi:[1,1,0] neg_lo:[0,0,1] neg_hi:[0,0,1]
	v_pk_fma_f32 v[136:137], v[136:137], v[126:127], v[140:141] op_sel:[0,0,1] op_sel_hi:[1,0,0]
	v_mov_b32_e32 v143, v137
	v_pk_mul_f32 v[136:137], v[138:139], v[128:129] op_sel:[0,1]
	s_delay_alu instid0(VALU_DEP_1) | instskip(SKIP_1) | instid1(VALU_DEP_1)
	v_pk_fma_f32 v[140:141], v[138:139], v[126:127], v[136:137] op_sel:[0,0,1] op_sel_hi:[1,1,0] neg_lo:[0,0,1] neg_hi:[0,0,1]
	v_pk_fma_f32 v[136:137], v[138:139], v[126:127], v[136:137] op_sel:[0,0,1] op_sel_hi:[1,0,0]
	v_mov_b32_e32 v141, v137
	ds_load_2addr_b64 v[136:139], v130 offset0:57 offset1:58
	v_pk_add_f32 v[6:7], v[6:7], v[142:143] neg_lo:[0,1] neg_hi:[0,1]
	v_pk_add_f32 v[26:27], v[26:27], v[140:141] neg_lo:[0,1] neg_hi:[0,1]
	s_wait_dscnt 0x0
	v_dual_mul_f32 v140, v137, v129 :: v_dual_mul_f32 v142, v137, v126
	s_delay_alu instid0(VALU_DEP_1) | instskip(NEXT) | instid1(VALU_DEP_2)
	v_pk_fma_f32 v[140:141], v[136:137], v[108:109], v[140:141] op_sel_hi:[1,1,0] neg_lo:[0,0,1] neg_hi:[0,0,1]
	v_pk_fma_f32 v[136:137], v[136:137], v[108:109], v[142:143] op_sel:[1,0,0] op_sel_hi:[0,1,0]
	s_delay_alu instid0(VALU_DEP_1) | instskip(SKIP_1) | instid1(VALU_DEP_2)
	v_mov_b32_e32 v141, v137
	v_pk_mul_f32 v[136:137], v[138:139], v[128:129] op_sel:[0,1]
	v_pk_add_f32 v[16:17], v[16:17], v[140:141] neg_lo:[0,1] neg_hi:[0,1]
	s_delay_alu instid0(VALU_DEP_2) | instskip(SKIP_1) | instid1(VALU_DEP_1)
	v_pk_fma_f32 v[140:141], v[138:139], v[126:127], v[136:137] op_sel:[0,0,1] op_sel_hi:[1,1,0] neg_lo:[0,0,1] neg_hi:[0,0,1]
	v_pk_fma_f32 v[136:137], v[138:139], v[126:127], v[136:137] op_sel:[0,0,1] op_sel_hi:[1,0,0]
	v_mov_b32_e32 v141, v137
	ds_load_b64 v[136:137], v130 offset:472
	v_pk_add_f32 v[14:15], v[14:15], v[140:141] neg_lo:[0,1] neg_hi:[0,1]
	s_wait_dscnt 0x0
	v_pk_mul_f32 v[128:129], v[136:137], v[128:129] op_sel:[0,1]
	s_delay_alu instid0(VALU_DEP_1) | instskip(SKIP_1) | instid1(VALU_DEP_1)
	v_pk_fma_f32 v[138:139], v[136:137], v[126:127], v[128:129] op_sel:[0,0,1] op_sel_hi:[1,1,0] neg_lo:[0,0,1] neg_hi:[0,0,1]
	v_pk_fma_f32 v[126:127], v[136:137], v[126:127], v[128:129] op_sel:[0,0,1] op_sel_hi:[1,0,0]
	v_mov_b32_e32 v139, v127
	s_delay_alu instid0(VALU_DEP_1)
	v_pk_add_f32 v[124:125], v[124:125], v[138:139] neg_lo:[0,1] neg_hi:[0,1]
.LBB118_188:
	s_or_b32 exec_lo, exec_lo, s0
	v_lshl_add_u32 v126, v134, 3, v130
	s_barrier_signal -1
	s_barrier_wait -1
	ds_store_b64 v126, v[104:105]
	s_wait_dscnt 0x0
	s_barrier_signal -1
	s_barrier_wait -1
	ds_load_b64 v[128:129], v130 offset:72
	v_mov_b32_e32 v126, 9
	s_cmp_lt_i32 s18, 11
	s_cbranch_scc1 .LBB118_191
; %bb.189:
	v_add3_u32 v127, v131, 0, 0x50
	v_mov_b32_e32 v126, 9
	s_mov_b32 s0, 10
.LBB118_190:                            ; =>This Inner Loop Header: Depth=1
	ds_load_b64 v[136:137], v127
	s_wait_dscnt 0x1
	v_cmp_gt_f32_e32 vcc_lo, 0, v128
	v_cndmask_b32_e64 v138, v128, -v128, vcc_lo
	v_cmp_gt_f32_e32 vcc_lo, 0, v129
	v_cndmask_b32_e64 v140, v129, -v129, vcc_lo
	s_wait_dscnt 0x0
	v_cmp_gt_f32_e32 vcc_lo, 0, v136
	v_cndmask_b32_e64 v139, v136, -v136, vcc_lo
	v_cmp_gt_f32_e32 vcc_lo, 0, v137
	v_cndmask_b32_e64 v141, v137, -v137, vcc_lo
	s_delay_alu instid0(VALU_DEP_1) | instskip(NEXT) | instid1(VALU_DEP_1)
	v_pk_add_f32 v[138:139], v[138:139], v[140:141]
	v_cmp_lt_f32_e32 vcc_lo, v138, v139
	v_dual_add_nc_u32 v127, 8, v127 :: v_dual_cndmask_b32 v129, v129, v137, vcc_lo
	v_cndmask_b32_e32 v128, v128, v136, vcc_lo
	v_cndmask_b32_e64 v126, v126, s0, vcc_lo
	s_add_co_i32 s0, s0, 1
	s_delay_alu instid0(SALU_CYCLE_1)
	s_cmp_lg_u32 s18, s0
	s_cbranch_scc1 .LBB118_190
.LBB118_191:
	s_wait_dscnt 0x0
	v_cmp_eq_f32_e32 vcc_lo, 0, v128
	v_cmp_eq_f32_e64 s0, 0, v129
	s_and_b32 s0, vcc_lo, s0
	s_delay_alu instid0(SALU_CYCLE_1) | instskip(NEXT) | instid1(SALU_CYCLE_1)
	s_and_saveexec_b32 s1, s0
	s_xor_b32 s0, exec_lo, s1
; %bb.192:
	v_cmp_ne_u32_e32 vcc_lo, 0, v132
	v_cndmask_b32_e32 v132, 10, v132, vcc_lo
; %bb.193:
	s_and_not1_saveexec_b32 s0, s0
	s_cbranch_execz .LBB118_199
; %bb.194:
	v_cmp_ngt_f32_e64 s1, |v128|, |v129|
	s_and_saveexec_b32 s12, s1
	s_delay_alu instid0(SALU_CYCLE_1)
	s_xor_b32 s1, exec_lo, s12
	s_cbranch_execz .LBB118_196
; %bb.195:
	v_div_scale_f32 v127, null, v129, v129, v128
	v_div_scale_f32 v137, vcc_lo, v128, v129, v128
	s_delay_alu instid0(VALU_DEP_2) | instskip(SKIP_1) | instid1(TRANS32_DEP_1)
	v_rcp_f32_e32 v135, v127
	v_nop
	v_fma_f32 v136, -v127, v135, 1.0
	s_delay_alu instid0(VALU_DEP_1) | instskip(NEXT) | instid1(VALU_DEP_1)
	v_fmac_f32_e32 v135, v136, v135
	v_mul_f32_e32 v136, v137, v135
	s_delay_alu instid0(VALU_DEP_1) | instskip(NEXT) | instid1(VALU_DEP_1)
	v_fma_f32 v138, -v127, v136, v137
	v_fmac_f32_e32 v136, v138, v135
	s_delay_alu instid0(VALU_DEP_1) | instskip(NEXT) | instid1(VALU_DEP_1)
	v_fma_f32 v127, -v127, v136, v137
	v_div_fmas_f32 v127, v127, v135, v136
	s_delay_alu instid0(VALU_DEP_1) | instskip(NEXT) | instid1(VALU_DEP_1)
	v_div_fixup_f32 v127, v127, v129, v128
	v_fmac_f32_e32 v129, v128, v127
	s_delay_alu instid0(VALU_DEP_1) | instskip(SKIP_1) | instid1(VALU_DEP_2)
	v_div_scale_f32 v128, null, v129, v129, 1.0
	v_div_scale_f32 v137, vcc_lo, 1.0, v129, 1.0
	v_rcp_f32_e32 v135, v128
	v_nop
	s_delay_alu instid0(TRANS32_DEP_1) | instskip(NEXT) | instid1(VALU_DEP_1)
	v_fma_f32 v136, -v128, v135, 1.0
	v_fmac_f32_e32 v135, v136, v135
	s_delay_alu instid0(VALU_DEP_1) | instskip(NEXT) | instid1(VALU_DEP_1)
	v_mul_f32_e32 v136, v137, v135
	v_fma_f32 v138, -v128, v136, v137
	s_delay_alu instid0(VALU_DEP_1) | instskip(NEXT) | instid1(VALU_DEP_1)
	v_fmac_f32_e32 v136, v138, v135
	v_fma_f32 v128, -v128, v136, v137
	s_delay_alu instid0(VALU_DEP_1) | instskip(NEXT) | instid1(VALU_DEP_1)
	v_div_fmas_f32 v128, v128, v135, v136
	v_div_fixup_f32 v129, v128, v129, 1.0
	s_delay_alu instid0(VALU_DEP_1)
	v_mul_f32_e32 v128, v127, v129
	v_xor_b32_e32 v129, 0x80000000, v129
.LBB118_196:
	s_and_not1_saveexec_b32 s1, s1
	s_cbranch_execz .LBB118_198
; %bb.197:
	s_delay_alu instid0(VALU_DEP_1) | instskip(SKIP_1) | instid1(VALU_DEP_2)
	v_div_scale_f32 v127, null, v128, v128, v129
	v_div_scale_f32 v137, vcc_lo, v129, v128, v129
	v_rcp_f32_e32 v135, v127
	v_nop
	s_delay_alu instid0(TRANS32_DEP_1) | instskip(NEXT) | instid1(VALU_DEP_1)
	v_fma_f32 v136, -v127, v135, 1.0
	v_fmac_f32_e32 v135, v136, v135
	s_delay_alu instid0(VALU_DEP_1) | instskip(NEXT) | instid1(VALU_DEP_1)
	v_mul_f32_e32 v136, v137, v135
	v_fma_f32 v138, -v127, v136, v137
	s_delay_alu instid0(VALU_DEP_1) | instskip(NEXT) | instid1(VALU_DEP_1)
	v_fmac_f32_e32 v136, v138, v135
	v_fma_f32 v127, -v127, v136, v137
	s_delay_alu instid0(VALU_DEP_1) | instskip(NEXT) | instid1(VALU_DEP_1)
	v_div_fmas_f32 v127, v127, v135, v136
	v_div_fixup_f32 v127, v127, v128, v129
	s_delay_alu instid0(VALU_DEP_1) | instskip(NEXT) | instid1(VALU_DEP_1)
	v_fmac_f32_e32 v128, v129, v127
	v_div_scale_f32 v129, null, v128, v128, 1.0
	s_delay_alu instid0(VALU_DEP_1) | instskip(SKIP_1) | instid1(TRANS32_DEP_1)
	v_rcp_f32_e32 v135, v129
	v_nop
	v_fma_f32 v136, -v129, v135, 1.0
	s_delay_alu instid0(VALU_DEP_1) | instskip(SKIP_1) | instid1(VALU_DEP_1)
	v_fmac_f32_e32 v135, v136, v135
	v_div_scale_f32 v136, vcc_lo, 1.0, v128, 1.0
	v_mul_f32_e32 v137, v136, v135
	s_delay_alu instid0(VALU_DEP_1) | instskip(NEXT) | instid1(VALU_DEP_1)
	v_fma_f32 v138, -v129, v137, v136
	v_fmac_f32_e32 v137, v138, v135
	s_delay_alu instid0(VALU_DEP_1) | instskip(NEXT) | instid1(VALU_DEP_1)
	v_fma_f32 v129, -v129, v137, v136
	v_div_fmas_f32 v129, v129, v135, v137
	s_delay_alu instid0(VALU_DEP_1) | instskip(NEXT) | instid1(VALU_DEP_1)
	v_div_fixup_f32 v128, v129, v128, 1.0
	v_mul_f32_e64 v129, v127, -v128
.LBB118_198:
	s_or_b32 exec_lo, exec_lo, s1
.LBB118_199:
	s_delay_alu instid0(SALU_CYCLE_1) | instskip(NEXT) | instid1(SALU_CYCLE_1)
	s_or_b32 exec_lo, exec_lo, s0
	s_mov_b32 s0, exec_lo
	v_cmpx_ne_u32_e64 v134, v126
	s_xor_b32 s0, exec_lo, s0
	s_cbranch_execz .LBB118_205
; %bb.200:
	s_mov_b32 s1, exec_lo
	v_cmpx_eq_u32_e32 9, v134
	s_cbranch_execz .LBB118_204
; %bb.201:
	v_cmp_ne_u32_e32 vcc_lo, 9, v126
	s_xor_b32 s12, s16, -1
	s_delay_alu instid0(SALU_CYCLE_1) | instskip(NEXT) | instid1(SALU_CYCLE_1)
	s_and_b32 s13, s12, vcc_lo
	s_and_saveexec_b32 s12, s13
	s_cbranch_execz .LBB118_203
; %bb.202:
	v_ashrrev_i32_e32 v127, 31, v126
	s_delay_alu instid0(VALU_DEP_1)
	v_lshl_add_u64 v[134:135], v[126:127], 2, v[4:5]
	s_clause 0x1
	global_load_b32 v127, v[134:135], off
	global_load_b32 v133, v[4:5], off offset:36
	s_wait_loadcnt 0x1
	global_store_b32 v[4:5], v127, off offset:36
	s_wait_loadcnt 0x0
	global_store_b32 v[134:135], v133, off
.LBB118_203:
	s_wait_xcnt 0x0
	s_or_b32 exec_lo, exec_lo, s12
	v_dual_mov_b32 v134, v126 :: v_dual_mov_b32 v133, v126
.LBB118_204:
	s_or_b32 exec_lo, exec_lo, s1
.LBB118_205:
	s_and_not1_saveexec_b32 s0, s0
	s_cbranch_execz .LBB118_207
; %bb.206:
	v_dual_mov_b32 v126, v106 :: v_dual_mov_b32 v127, v107
	v_dual_mov_b32 v134, v40 :: v_dual_mov_b32 v135, v41
	;; [unrolled: 1-line block ×4, first 2 shown]
	ds_store_2addr_b64 v130, v[126:127], v[134:135] offset0:10 offset1:11
	ds_store_2addr_b64 v130, v[136:137], v[138:139] offset0:12 offset1:13
	v_dual_mov_b32 v126, v100 :: v_dual_mov_b32 v127, v101
	v_dual_mov_b32 v134, v38 :: v_dual_mov_b32 v135, v39
	v_dual_mov_b32 v136, v96 :: v_dual_mov_b32 v137, v97
	v_dual_mov_b32 v138, v92 :: v_dual_mov_b32 v139, v93
	v_dual_mov_b32 v140, v94 :: v_dual_mov_b32 v141, v95
	v_dual_mov_b32 v142, v36 :: v_dual_mov_b32 v143, v37
	v_dual_mov_b32 v144, v90 :: v_dual_mov_b32 v145, v91
	v_dual_mov_b32 v146, v86 :: v_dual_mov_b32 v147, v87
	v_dual_mov_b32 v148, v88 :: v_dual_mov_b32 v149, v89
	v_dual_mov_b32 v150, v30 :: v_dual_mov_b32 v151, v31
	v_dual_mov_b32 v152, v84 :: v_dual_mov_b32 v153, v85
	v_dual_mov_b32 v154, v80 :: v_dual_mov_b32 v155, v81
	ds_store_2addr_b64 v130, v[126:127], v[134:135] offset0:14 offset1:15
	ds_store_2addr_b64 v130, v[136:137], v[138:139] offset0:16 offset1:17
	ds_store_2addr_b64 v130, v[140:141], v[142:143] offset0:18 offset1:19
	ds_store_2addr_b64 v130, v[144:145], v[146:147] offset0:20 offset1:21
	ds_store_2addr_b64 v130, v[148:149], v[150:151] offset0:22 offset1:23
	ds_store_2addr_b64 v130, v[152:153], v[154:155] offset0:24 offset1:25
	v_dual_mov_b32 v126, v82 :: v_dual_mov_b32 v127, v83
	v_dual_mov_b32 v134, v24 :: v_dual_mov_b32 v135, v25
	v_dual_mov_b32 v136, v78 :: v_dual_mov_b32 v137, v79
	v_dual_mov_b32 v138, v74 :: v_dual_mov_b32 v139, v75
	v_dual_mov_b32 v140, v76 :: v_dual_mov_b32 v141, v77
	v_dual_mov_b32 v142, v22 :: v_dual_mov_b32 v143, v23
	v_dual_mov_b32 v144, v72 :: v_dual_mov_b32 v145, v73
	v_dual_mov_b32 v146, v68 :: v_dual_mov_b32 v147, v69
	v_dual_mov_b32 v148, v70 :: v_dual_mov_b32 v149, v71
	v_dual_mov_b32 v150, v20 :: v_dual_mov_b32 v151, v21
	v_dual_mov_b32 v152, v66 :: v_dual_mov_b32 v153, v67
	v_dual_mov_b32 v154, v62 :: v_dual_mov_b32 v155, v63
	ds_store_2addr_b64 v130, v[126:127], v[134:135] offset0:26 offset1:27
	ds_store_2addr_b64 v130, v[136:137], v[138:139] offset0:28 offset1:29
	ds_store_2addr_b64 v130, v[140:141], v[142:143] offset0:30 offset1:31
	ds_store_2addr_b64 v130, v[144:145], v[146:147] offset0:32 offset1:33
	;; [unrolled: 18-line block ×3, first 2 shown]
	ds_store_2addr_b64 v130, v[148:149], v[150:151] offset0:46 offset1:47
	ds_store_2addr_b64 v130, v[152:153], v[154:155] offset0:48 offset1:49
	v_dual_mov_b32 v126, v48 :: v_dual_mov_b32 v127, v49
	v_dual_mov_b32 v136, v8 :: v_dual_mov_b32 v137, v9
	v_dual_mov_b32 v134, 9 :: v_dual_mov_b32 v138, v34
	v_dual_mov_b32 v139, v35 :: v_dual_mov_b32 v140, v28
	v_dual_mov_b32 v141, v29 :: v_dual_mov_b32 v142, v32
	v_dual_mov_b32 v143, v33 :: v_dual_mov_b32 v144, v6
	v_dual_mov_b32 v145, v7 :: v_dual_mov_b32 v146, v26
	v_dual_mov_b32 v147, v27 :: v_dual_mov_b32 v148, v16
	v_dual_mov_b32 v149, v17 :: v_dual_mov_b32 v150, v14
	v_mov_b32_e32 v151, v15
	ds_store_2addr_b64 v130, v[126:127], v[136:137] offset0:50 offset1:51
	ds_store_2addr_b64 v130, v[138:139], v[140:141] offset0:52 offset1:53
	ds_store_2addr_b64 v130, v[142:143], v[144:145] offset0:54 offset1:55
	ds_store_2addr_b64 v130, v[146:147], v[148:149] offset0:56 offset1:57
	ds_store_2addr_b64 v130, v[150:151], v[124:125] offset0:58 offset1:59
.LBB118_207:
	s_or_b32 exec_lo, exec_lo, s0
	s_delay_alu instid0(SALU_CYCLE_1)
	s_mov_b32 s0, exec_lo
	s_wait_storecnt_dscnt 0x0
	s_barrier_signal -1
	s_barrier_wait -1
	v_cmpx_lt_i32_e32 9, v134
	s_cbranch_execz .LBB118_209
; %bb.208:
	v_pk_mul_f32 v[136:137], v[128:129], v[104:105] op_sel:[1,1] op_sel_hi:[0,1]
	s_delay_alu instid0(VALU_DEP_1)
	v_pk_fma_f32 v[126:127], v[128:129], v[104:105], v[136:137] op_sel_hi:[1,0,1] neg_lo:[0,0,1] neg_hi:[0,0,1]
	v_pk_fma_f32 v[128:129], v[128:129], v[104:105], v[136:137] op_sel_hi:[1,0,1]
	ds_load_2addr_b64 v[136:139], v130 offset0:10 offset1:11
	v_dual_mov_b32 v104, v126 :: v_dual_mov_b32 v105, v129
	s_wait_dscnt 0x0
	v_pk_mul_f32 v[140:141], v[136:137], v[128:129] op_sel:[0,1]
	s_delay_alu instid0(VALU_DEP_1) | instskip(SKIP_1) | instid1(VALU_DEP_1)
	v_pk_fma_f32 v[142:143], v[136:137], v[126:127], v[140:141] op_sel:[0,0,1] op_sel_hi:[1,1,0] neg_lo:[0,0,1] neg_hi:[0,0,1]
	v_pk_fma_f32 v[136:137], v[136:137], v[126:127], v[140:141] op_sel:[0,0,1] op_sel_hi:[1,0,0]
	v_mov_b32_e32 v143, v137
	v_pk_mul_f32 v[136:137], v[138:139], v[128:129] op_sel:[0,1]
	s_delay_alu instid0(VALU_DEP_1) | instskip(SKIP_1) | instid1(VALU_DEP_1)
	v_pk_fma_f32 v[140:141], v[138:139], v[126:127], v[136:137] op_sel:[0,0,1] op_sel_hi:[1,1,0] neg_lo:[0,0,1] neg_hi:[0,0,1]
	v_pk_fma_f32 v[136:137], v[138:139], v[126:127], v[136:137] op_sel:[0,0,1] op_sel_hi:[1,0,0]
	v_mov_b32_e32 v141, v137
	ds_load_2addr_b64 v[136:139], v130 offset0:12 offset1:13
	v_pk_add_f32 v[106:107], v[106:107], v[142:143] neg_lo:[0,1] neg_hi:[0,1]
	v_pk_add_f32 v[40:41], v[40:41], v[140:141] neg_lo:[0,1] neg_hi:[0,1]
	s_wait_dscnt 0x0
	v_pk_mul_f32 v[140:141], v[136:137], v[128:129] op_sel:[0,1]
	s_delay_alu instid0(VALU_DEP_1) | instskip(SKIP_2) | instid1(VALU_DEP_2)
	v_pk_fma_f32 v[142:143], v[136:137], v[126:127], v[140:141] op_sel:[0,0,1] op_sel_hi:[1,1,0] neg_lo:[0,0,1] neg_hi:[0,0,1]
	v_pk_fma_f32 v[136:137], v[136:137], v[126:127], v[140:141] op_sel:[0,0,1] op_sel_hi:[1,0,0]
	v_dual_mul_f32 v140, v139, v129 :: v_dual_mov_b32 v136, v139
	v_dual_mov_b32 v143, v137 :: v_dual_mov_b32 v137, v138
	s_delay_alu instid0(VALU_DEP_2) | instskip(SKIP_1) | instid1(VALU_DEP_3)
	v_pk_fma_f32 v[140:141], v[138:139], v[104:105], v[140:141] op_sel_hi:[1,1,0] neg_lo:[0,0,1] neg_hi:[0,0,1]
	v_mul_f32_e32 v138, v139, v126
	v_pk_add_f32 v[102:103], v[102:103], v[142:143] neg_lo:[0,1] neg_hi:[0,1]
	s_delay_alu instid0(VALU_DEP_2) | instskip(NEXT) | instid1(VALU_DEP_1)
	v_pk_fma_f32 v[136:137], v[136:137], v[104:105], v[138:139] op_sel_hi:[1,1,0]
	v_mov_b32_e32 v141, v137
	ds_load_2addr_b64 v[136:139], v130 offset0:14 offset1:15
	v_pk_add_f32 v[98:99], v[98:99], v[140:141] neg_lo:[0,1] neg_hi:[0,1]
	s_wait_dscnt 0x0
	v_pk_mul_f32 v[140:141], v[136:137], v[128:129] op_sel:[0,1]
	s_delay_alu instid0(VALU_DEP_1) | instskip(SKIP_1) | instid1(VALU_DEP_1)
	v_pk_fma_f32 v[142:143], v[136:137], v[126:127], v[140:141] op_sel:[0,0,1] op_sel_hi:[1,1,0] neg_lo:[0,0,1] neg_hi:[0,0,1]
	v_pk_fma_f32 v[136:137], v[136:137], v[126:127], v[140:141] op_sel:[0,0,1] op_sel_hi:[1,0,0]
	v_mov_b32_e32 v143, v137
	v_pk_mul_f32 v[136:137], v[138:139], v[128:129] op_sel:[0,1]
	s_delay_alu instid0(VALU_DEP_1) | instskip(SKIP_1) | instid1(VALU_DEP_1)
	v_pk_fma_f32 v[140:141], v[138:139], v[126:127], v[136:137] op_sel:[0,0,1] op_sel_hi:[1,1,0] neg_lo:[0,0,1] neg_hi:[0,0,1]
	v_pk_fma_f32 v[136:137], v[138:139], v[126:127], v[136:137] op_sel:[0,0,1] op_sel_hi:[1,0,0]
	v_mov_b32_e32 v141, v137
	ds_load_2addr_b64 v[136:139], v130 offset0:16 offset1:17
	v_pk_add_f32 v[100:101], v[100:101], v[142:143] neg_lo:[0,1] neg_hi:[0,1]
	v_pk_add_f32 v[38:39], v[38:39], v[140:141] neg_lo:[0,1] neg_hi:[0,1]
	s_wait_dscnt 0x0
	v_pk_mul_f32 v[140:141], v[136:137], v[128:129] op_sel:[0,1]
	s_delay_alu instid0(VALU_DEP_1) | instskip(SKIP_1) | instid1(VALU_DEP_1)
	v_pk_fma_f32 v[142:143], v[136:137], v[126:127], v[140:141] op_sel:[0,0,1] op_sel_hi:[1,1,0] neg_lo:[0,0,1] neg_hi:[0,0,1]
	v_pk_fma_f32 v[136:137], v[136:137], v[126:127], v[140:141] op_sel:[0,0,1] op_sel_hi:[1,0,0]
	v_mov_b32_e32 v143, v137
	v_pk_mul_f32 v[136:137], v[138:139], v[128:129] op_sel:[0,1]
	s_delay_alu instid0(VALU_DEP_1) | instskip(SKIP_1) | instid1(VALU_DEP_1)
	v_pk_fma_f32 v[140:141], v[138:139], v[126:127], v[136:137] op_sel:[0,0,1] op_sel_hi:[1,1,0] neg_lo:[0,0,1] neg_hi:[0,0,1]
	v_pk_fma_f32 v[136:137], v[138:139], v[126:127], v[136:137] op_sel:[0,0,1] op_sel_hi:[1,0,0]
	v_mov_b32_e32 v141, v137
	ds_load_2addr_b64 v[136:139], v130 offset0:18 offset1:19
	v_pk_add_f32 v[96:97], v[96:97], v[142:143] neg_lo:[0,1] neg_hi:[0,1]
	v_pk_add_f32 v[92:93], v[92:93], v[140:141] neg_lo:[0,1] neg_hi:[0,1]
	s_wait_dscnt 0x0
	v_dual_mul_f32 v140, v137, v129 :: v_dual_mul_f32 v142, v137, v126
	s_delay_alu instid0(VALU_DEP_1) | instskip(NEXT) | instid1(VALU_DEP_2)
	v_pk_fma_f32 v[140:141], v[136:137], v[104:105], v[140:141] op_sel_hi:[1,1,0] neg_lo:[0,0,1] neg_hi:[0,0,1]
	v_pk_fma_f32 v[136:137], v[136:137], v[104:105], v[142:143] op_sel:[1,0,0] op_sel_hi:[0,1,0]
	s_delay_alu instid0(VALU_DEP_1) | instskip(SKIP_1) | instid1(VALU_DEP_2)
	v_mov_b32_e32 v141, v137
	v_pk_mul_f32 v[136:137], v[138:139], v[128:129] op_sel:[0,1]
	v_pk_add_f32 v[94:95], v[94:95], v[140:141] neg_lo:[0,1] neg_hi:[0,1]
	s_delay_alu instid0(VALU_DEP_2) | instskip(SKIP_1) | instid1(VALU_DEP_1)
	v_pk_fma_f32 v[140:141], v[138:139], v[126:127], v[136:137] op_sel:[0,0,1] op_sel_hi:[1,1,0] neg_lo:[0,0,1] neg_hi:[0,0,1]
	v_pk_fma_f32 v[136:137], v[138:139], v[126:127], v[136:137] op_sel:[0,0,1] op_sel_hi:[1,0,0]
	v_mov_b32_e32 v141, v137
	ds_load_2addr_b64 v[136:139], v130 offset0:20 offset1:21
	v_pk_add_f32 v[36:37], v[36:37], v[140:141] neg_lo:[0,1] neg_hi:[0,1]
	s_wait_dscnt 0x0
	v_pk_mul_f32 v[140:141], v[136:137], v[128:129] op_sel:[0,1]
	s_delay_alu instid0(VALU_DEP_1) | instskip(SKIP_1) | instid1(VALU_DEP_1)
	v_pk_fma_f32 v[142:143], v[136:137], v[126:127], v[140:141] op_sel:[0,0,1] op_sel_hi:[1,1,0] neg_lo:[0,0,1] neg_hi:[0,0,1]
	v_pk_fma_f32 v[136:137], v[136:137], v[126:127], v[140:141] op_sel:[0,0,1] op_sel_hi:[1,0,0]
	v_mov_b32_e32 v143, v137
	v_pk_mul_f32 v[136:137], v[138:139], v[128:129] op_sel:[0,1]
	s_delay_alu instid0(VALU_DEP_2) | instskip(NEXT) | instid1(VALU_DEP_2)
	v_pk_add_f32 v[90:91], v[90:91], v[142:143] neg_lo:[0,1] neg_hi:[0,1]
	v_pk_fma_f32 v[140:141], v[138:139], v[126:127], v[136:137] op_sel:[0,0,1] op_sel_hi:[1,1,0] neg_lo:[0,0,1] neg_hi:[0,0,1]
	v_pk_fma_f32 v[136:137], v[138:139], v[126:127], v[136:137] op_sel:[0,0,1] op_sel_hi:[1,0,0]
	s_delay_alu instid0(VALU_DEP_1) | instskip(SKIP_4) | instid1(VALU_DEP_1)
	v_mov_b32_e32 v141, v137
	ds_load_2addr_b64 v[136:139], v130 offset0:22 offset1:23
	v_pk_add_f32 v[86:87], v[86:87], v[140:141] neg_lo:[0,1] neg_hi:[0,1]
	s_wait_dscnt 0x0
	v_pk_mul_f32 v[140:141], v[136:137], v[128:129] op_sel:[0,1]
	v_pk_fma_f32 v[142:143], v[136:137], v[126:127], v[140:141] op_sel:[0,0,1] op_sel_hi:[1,1,0] neg_lo:[0,0,1] neg_hi:[0,0,1]
	v_pk_fma_f32 v[136:137], v[136:137], v[126:127], v[140:141] op_sel:[0,0,1] op_sel_hi:[1,0,0]
	v_dual_mul_f32 v140, v139, v129 :: v_dual_mov_b32 v136, v139
	s_delay_alu instid0(VALU_DEP_2) | instskip(NEXT) | instid1(VALU_DEP_2)
	v_dual_mov_b32 v143, v137 :: v_dual_mov_b32 v137, v138
	v_pk_fma_f32 v[140:141], v[138:139], v[104:105], v[140:141] op_sel_hi:[1,1,0] neg_lo:[0,0,1] neg_hi:[0,0,1]
	v_mul_f32_e32 v138, v139, v126
	s_delay_alu instid0(VALU_DEP_3) | instskip(NEXT) | instid1(VALU_DEP_2)
	v_pk_add_f32 v[88:89], v[88:89], v[142:143] neg_lo:[0,1] neg_hi:[0,1]
	v_pk_fma_f32 v[136:137], v[136:137], v[104:105], v[138:139] op_sel_hi:[1,1,0]
	s_delay_alu instid0(VALU_DEP_1) | instskip(SKIP_4) | instid1(VALU_DEP_1)
	v_mov_b32_e32 v141, v137
	ds_load_2addr_b64 v[136:139], v130 offset0:24 offset1:25
	v_pk_add_f32 v[30:31], v[30:31], v[140:141] neg_lo:[0,1] neg_hi:[0,1]
	s_wait_dscnt 0x0
	v_pk_mul_f32 v[140:141], v[136:137], v[128:129] op_sel:[0,1]
	v_pk_fma_f32 v[142:143], v[136:137], v[126:127], v[140:141] op_sel:[0,0,1] op_sel_hi:[1,1,0] neg_lo:[0,0,1] neg_hi:[0,0,1]
	v_pk_fma_f32 v[136:137], v[136:137], v[126:127], v[140:141] op_sel:[0,0,1] op_sel_hi:[1,0,0]
	s_delay_alu instid0(VALU_DEP_1) | instskip(SKIP_1) | instid1(VALU_DEP_1)
	v_mov_b32_e32 v143, v137
	v_pk_mul_f32 v[136:137], v[138:139], v[128:129] op_sel:[0,1]
	v_pk_fma_f32 v[140:141], v[138:139], v[126:127], v[136:137] op_sel:[0,0,1] op_sel_hi:[1,1,0] neg_lo:[0,0,1] neg_hi:[0,0,1]
	v_pk_fma_f32 v[136:137], v[138:139], v[126:127], v[136:137] op_sel:[0,0,1] op_sel_hi:[1,0,0]
	s_delay_alu instid0(VALU_DEP_1)
	v_mov_b32_e32 v141, v137
	ds_load_2addr_b64 v[136:139], v130 offset0:26 offset1:27
	v_pk_add_f32 v[84:85], v[84:85], v[142:143] neg_lo:[0,1] neg_hi:[0,1]
	v_pk_add_f32 v[80:81], v[80:81], v[140:141] neg_lo:[0,1] neg_hi:[0,1]
	s_wait_dscnt 0x0
	v_pk_mul_f32 v[140:141], v[136:137], v[128:129] op_sel:[0,1]
	s_delay_alu instid0(VALU_DEP_1) | instskip(SKIP_1) | instid1(VALU_DEP_1)
	v_pk_fma_f32 v[142:143], v[136:137], v[126:127], v[140:141] op_sel:[0,0,1] op_sel_hi:[1,1,0] neg_lo:[0,0,1] neg_hi:[0,0,1]
	v_pk_fma_f32 v[136:137], v[136:137], v[126:127], v[140:141] op_sel:[0,0,1] op_sel_hi:[1,0,0]
	v_mov_b32_e32 v143, v137
	v_pk_mul_f32 v[136:137], v[138:139], v[128:129] op_sel:[0,1]
	s_delay_alu instid0(VALU_DEP_1) | instskip(SKIP_1) | instid1(VALU_DEP_1)
	v_pk_fma_f32 v[140:141], v[138:139], v[126:127], v[136:137] op_sel:[0,0,1] op_sel_hi:[1,1,0] neg_lo:[0,0,1] neg_hi:[0,0,1]
	v_pk_fma_f32 v[136:137], v[138:139], v[126:127], v[136:137] op_sel:[0,0,1] op_sel_hi:[1,0,0]
	v_mov_b32_e32 v141, v137
	ds_load_2addr_b64 v[136:139], v130 offset0:28 offset1:29
	v_pk_add_f32 v[82:83], v[82:83], v[142:143] neg_lo:[0,1] neg_hi:[0,1]
	v_pk_add_f32 v[24:25], v[24:25], v[140:141] neg_lo:[0,1] neg_hi:[0,1]
	s_wait_dscnt 0x0
	v_dual_mul_f32 v140, v137, v129 :: v_dual_mul_f32 v142, v137, v126
	s_delay_alu instid0(VALU_DEP_1) | instskip(NEXT) | instid1(VALU_DEP_2)
	v_pk_fma_f32 v[140:141], v[136:137], v[104:105], v[140:141] op_sel_hi:[1,1,0] neg_lo:[0,0,1] neg_hi:[0,0,1]
	v_pk_fma_f32 v[136:137], v[136:137], v[104:105], v[142:143] op_sel:[1,0,0] op_sel_hi:[0,1,0]
	s_delay_alu instid0(VALU_DEP_1) | instskip(SKIP_1) | instid1(VALU_DEP_2)
	v_mov_b32_e32 v141, v137
	v_pk_mul_f32 v[136:137], v[138:139], v[128:129] op_sel:[0,1]
	v_pk_add_f32 v[78:79], v[78:79], v[140:141] neg_lo:[0,1] neg_hi:[0,1]
	s_delay_alu instid0(VALU_DEP_2) | instskip(SKIP_1) | instid1(VALU_DEP_1)
	v_pk_fma_f32 v[140:141], v[138:139], v[126:127], v[136:137] op_sel:[0,0,1] op_sel_hi:[1,1,0] neg_lo:[0,0,1] neg_hi:[0,0,1]
	v_pk_fma_f32 v[136:137], v[138:139], v[126:127], v[136:137] op_sel:[0,0,1] op_sel_hi:[1,0,0]
	v_mov_b32_e32 v141, v137
	ds_load_2addr_b64 v[136:139], v130 offset0:30 offset1:31
	v_pk_add_f32 v[74:75], v[74:75], v[140:141] neg_lo:[0,1] neg_hi:[0,1]
	s_wait_dscnt 0x0
	v_pk_mul_f32 v[140:141], v[136:137], v[128:129] op_sel:[0,1]
	s_delay_alu instid0(VALU_DEP_1) | instskip(SKIP_1) | instid1(VALU_DEP_1)
	v_pk_fma_f32 v[142:143], v[136:137], v[126:127], v[140:141] op_sel:[0,0,1] op_sel_hi:[1,1,0] neg_lo:[0,0,1] neg_hi:[0,0,1]
	v_pk_fma_f32 v[136:137], v[136:137], v[126:127], v[140:141] op_sel:[0,0,1] op_sel_hi:[1,0,0]
	v_mov_b32_e32 v143, v137
	v_pk_mul_f32 v[136:137], v[138:139], v[128:129] op_sel:[0,1]
	s_delay_alu instid0(VALU_DEP_2) | instskip(NEXT) | instid1(VALU_DEP_2)
	v_pk_add_f32 v[76:77], v[76:77], v[142:143] neg_lo:[0,1] neg_hi:[0,1]
	v_pk_fma_f32 v[140:141], v[138:139], v[126:127], v[136:137] op_sel:[0,0,1] op_sel_hi:[1,1,0] neg_lo:[0,0,1] neg_hi:[0,0,1]
	v_pk_fma_f32 v[136:137], v[138:139], v[126:127], v[136:137] op_sel:[0,0,1] op_sel_hi:[1,0,0]
	s_delay_alu instid0(VALU_DEP_1) | instskip(SKIP_4) | instid1(VALU_DEP_1)
	v_mov_b32_e32 v141, v137
	ds_load_2addr_b64 v[136:139], v130 offset0:32 offset1:33
	v_pk_add_f32 v[22:23], v[22:23], v[140:141] neg_lo:[0,1] neg_hi:[0,1]
	s_wait_dscnt 0x0
	v_pk_mul_f32 v[140:141], v[136:137], v[128:129] op_sel:[0,1]
	v_pk_fma_f32 v[142:143], v[136:137], v[126:127], v[140:141] op_sel:[0,0,1] op_sel_hi:[1,1,0] neg_lo:[0,0,1] neg_hi:[0,0,1]
	v_pk_fma_f32 v[136:137], v[136:137], v[126:127], v[140:141] op_sel:[0,0,1] op_sel_hi:[1,0,0]
	v_dual_mul_f32 v140, v139, v129 :: v_dual_mov_b32 v136, v139
	s_delay_alu instid0(VALU_DEP_2) | instskip(NEXT) | instid1(VALU_DEP_2)
	v_dual_mov_b32 v143, v137 :: v_dual_mov_b32 v137, v138
	v_pk_fma_f32 v[140:141], v[138:139], v[104:105], v[140:141] op_sel_hi:[1,1,0] neg_lo:[0,0,1] neg_hi:[0,0,1]
	v_mul_f32_e32 v138, v139, v126
	s_delay_alu instid0(VALU_DEP_3) | instskip(NEXT) | instid1(VALU_DEP_2)
	v_pk_add_f32 v[72:73], v[72:73], v[142:143] neg_lo:[0,1] neg_hi:[0,1]
	v_pk_fma_f32 v[136:137], v[136:137], v[104:105], v[138:139] op_sel_hi:[1,1,0]
	s_delay_alu instid0(VALU_DEP_1) | instskip(SKIP_4) | instid1(VALU_DEP_1)
	v_mov_b32_e32 v141, v137
	ds_load_2addr_b64 v[136:139], v130 offset0:34 offset1:35
	v_pk_add_f32 v[68:69], v[68:69], v[140:141] neg_lo:[0,1] neg_hi:[0,1]
	s_wait_dscnt 0x0
	v_pk_mul_f32 v[140:141], v[136:137], v[128:129] op_sel:[0,1]
	v_pk_fma_f32 v[142:143], v[136:137], v[126:127], v[140:141] op_sel:[0,0,1] op_sel_hi:[1,1,0] neg_lo:[0,0,1] neg_hi:[0,0,1]
	v_pk_fma_f32 v[136:137], v[136:137], v[126:127], v[140:141] op_sel:[0,0,1] op_sel_hi:[1,0,0]
	s_delay_alu instid0(VALU_DEP_1) | instskip(SKIP_1) | instid1(VALU_DEP_1)
	v_mov_b32_e32 v143, v137
	v_pk_mul_f32 v[136:137], v[138:139], v[128:129] op_sel:[0,1]
	v_pk_fma_f32 v[140:141], v[138:139], v[126:127], v[136:137] op_sel:[0,0,1] op_sel_hi:[1,1,0] neg_lo:[0,0,1] neg_hi:[0,0,1]
	v_pk_fma_f32 v[136:137], v[138:139], v[126:127], v[136:137] op_sel:[0,0,1] op_sel_hi:[1,0,0]
	s_delay_alu instid0(VALU_DEP_1)
	v_mov_b32_e32 v141, v137
	ds_load_2addr_b64 v[136:139], v130 offset0:36 offset1:37
	v_pk_add_f32 v[70:71], v[70:71], v[142:143] neg_lo:[0,1] neg_hi:[0,1]
	v_pk_add_f32 v[20:21], v[20:21], v[140:141] neg_lo:[0,1] neg_hi:[0,1]
	s_wait_dscnt 0x0
	v_pk_mul_f32 v[140:141], v[136:137], v[128:129] op_sel:[0,1]
	s_delay_alu instid0(VALU_DEP_1) | instskip(SKIP_1) | instid1(VALU_DEP_1)
	v_pk_fma_f32 v[142:143], v[136:137], v[126:127], v[140:141] op_sel:[0,0,1] op_sel_hi:[1,1,0] neg_lo:[0,0,1] neg_hi:[0,0,1]
	v_pk_fma_f32 v[136:137], v[136:137], v[126:127], v[140:141] op_sel:[0,0,1] op_sel_hi:[1,0,0]
	v_mov_b32_e32 v143, v137
	v_pk_mul_f32 v[136:137], v[138:139], v[128:129] op_sel:[0,1]
	s_delay_alu instid0(VALU_DEP_1) | instskip(SKIP_1) | instid1(VALU_DEP_1)
	v_pk_fma_f32 v[140:141], v[138:139], v[126:127], v[136:137] op_sel:[0,0,1] op_sel_hi:[1,1,0] neg_lo:[0,0,1] neg_hi:[0,0,1]
	v_pk_fma_f32 v[136:137], v[138:139], v[126:127], v[136:137] op_sel:[0,0,1] op_sel_hi:[1,0,0]
	v_mov_b32_e32 v141, v137
	ds_load_2addr_b64 v[136:139], v130 offset0:38 offset1:39
	v_pk_add_f32 v[66:67], v[66:67], v[142:143] neg_lo:[0,1] neg_hi:[0,1]
	v_pk_add_f32 v[62:63], v[62:63], v[140:141] neg_lo:[0,1] neg_hi:[0,1]
	s_wait_dscnt 0x0
	v_dual_mul_f32 v140, v137, v129 :: v_dual_mul_f32 v142, v137, v126
	s_delay_alu instid0(VALU_DEP_1) | instskip(NEXT) | instid1(VALU_DEP_2)
	v_pk_fma_f32 v[140:141], v[136:137], v[104:105], v[140:141] op_sel_hi:[1,1,0] neg_lo:[0,0,1] neg_hi:[0,0,1]
	v_pk_fma_f32 v[136:137], v[136:137], v[104:105], v[142:143] op_sel:[1,0,0] op_sel_hi:[0,1,0]
	s_delay_alu instid0(VALU_DEP_1) | instskip(SKIP_1) | instid1(VALU_DEP_2)
	v_mov_b32_e32 v141, v137
	v_pk_mul_f32 v[136:137], v[138:139], v[128:129] op_sel:[0,1]
	v_pk_add_f32 v[64:65], v[64:65], v[140:141] neg_lo:[0,1] neg_hi:[0,1]
	s_delay_alu instid0(VALU_DEP_2) | instskip(SKIP_1) | instid1(VALU_DEP_1)
	v_pk_fma_f32 v[140:141], v[138:139], v[126:127], v[136:137] op_sel:[0,0,1] op_sel_hi:[1,1,0] neg_lo:[0,0,1] neg_hi:[0,0,1]
	v_pk_fma_f32 v[136:137], v[138:139], v[126:127], v[136:137] op_sel:[0,0,1] op_sel_hi:[1,0,0]
	v_mov_b32_e32 v141, v137
	ds_load_2addr_b64 v[136:139], v130 offset0:40 offset1:41
	v_pk_add_f32 v[18:19], v[18:19], v[140:141] neg_lo:[0,1] neg_hi:[0,1]
	s_wait_dscnt 0x0
	v_pk_mul_f32 v[140:141], v[136:137], v[128:129] op_sel:[0,1]
	s_delay_alu instid0(VALU_DEP_1) | instskip(SKIP_1) | instid1(VALU_DEP_1)
	v_pk_fma_f32 v[142:143], v[136:137], v[126:127], v[140:141] op_sel:[0,0,1] op_sel_hi:[1,1,0] neg_lo:[0,0,1] neg_hi:[0,0,1]
	v_pk_fma_f32 v[136:137], v[136:137], v[126:127], v[140:141] op_sel:[0,0,1] op_sel_hi:[1,0,0]
	v_mov_b32_e32 v143, v137
	v_pk_mul_f32 v[136:137], v[138:139], v[128:129] op_sel:[0,1]
	s_delay_alu instid0(VALU_DEP_2) | instskip(NEXT) | instid1(VALU_DEP_2)
	v_pk_add_f32 v[60:61], v[60:61], v[142:143] neg_lo:[0,1] neg_hi:[0,1]
	v_pk_fma_f32 v[140:141], v[138:139], v[126:127], v[136:137] op_sel:[0,0,1] op_sel_hi:[1,1,0] neg_lo:[0,0,1] neg_hi:[0,0,1]
	v_pk_fma_f32 v[136:137], v[138:139], v[126:127], v[136:137] op_sel:[0,0,1] op_sel_hi:[1,0,0]
	s_delay_alu instid0(VALU_DEP_1) | instskip(SKIP_4) | instid1(VALU_DEP_1)
	v_mov_b32_e32 v141, v137
	ds_load_2addr_b64 v[136:139], v130 offset0:42 offset1:43
	v_pk_add_f32 v[56:57], v[56:57], v[140:141] neg_lo:[0,1] neg_hi:[0,1]
	s_wait_dscnt 0x0
	v_pk_mul_f32 v[140:141], v[136:137], v[128:129] op_sel:[0,1]
	v_pk_fma_f32 v[142:143], v[136:137], v[126:127], v[140:141] op_sel:[0,0,1] op_sel_hi:[1,1,0] neg_lo:[0,0,1] neg_hi:[0,0,1]
	v_pk_fma_f32 v[136:137], v[136:137], v[126:127], v[140:141] op_sel:[0,0,1] op_sel_hi:[1,0,0]
	v_dual_mul_f32 v140, v139, v129 :: v_dual_mov_b32 v136, v139
	s_delay_alu instid0(VALU_DEP_2) | instskip(NEXT) | instid1(VALU_DEP_2)
	v_dual_mov_b32 v143, v137 :: v_dual_mov_b32 v137, v138
	v_pk_fma_f32 v[140:141], v[138:139], v[104:105], v[140:141] op_sel_hi:[1,1,0] neg_lo:[0,0,1] neg_hi:[0,0,1]
	v_mul_f32_e32 v138, v139, v126
	s_delay_alu instid0(VALU_DEP_3) | instskip(NEXT) | instid1(VALU_DEP_2)
	v_pk_add_f32 v[58:59], v[58:59], v[142:143] neg_lo:[0,1] neg_hi:[0,1]
	v_pk_fma_f32 v[136:137], v[136:137], v[104:105], v[138:139] op_sel_hi:[1,1,0]
	s_delay_alu instid0(VALU_DEP_1) | instskip(SKIP_4) | instid1(VALU_DEP_1)
	v_mov_b32_e32 v141, v137
	ds_load_2addr_b64 v[136:139], v130 offset0:44 offset1:45
	v_pk_add_f32 v[12:13], v[12:13], v[140:141] neg_lo:[0,1] neg_hi:[0,1]
	s_wait_dscnt 0x0
	v_pk_mul_f32 v[140:141], v[136:137], v[128:129] op_sel:[0,1]
	v_pk_fma_f32 v[142:143], v[136:137], v[126:127], v[140:141] op_sel:[0,0,1] op_sel_hi:[1,1,0] neg_lo:[0,0,1] neg_hi:[0,0,1]
	v_pk_fma_f32 v[136:137], v[136:137], v[126:127], v[140:141] op_sel:[0,0,1] op_sel_hi:[1,0,0]
	s_delay_alu instid0(VALU_DEP_1) | instskip(SKIP_1) | instid1(VALU_DEP_1)
	v_mov_b32_e32 v143, v137
	v_pk_mul_f32 v[136:137], v[138:139], v[128:129] op_sel:[0,1]
	v_pk_fma_f32 v[140:141], v[138:139], v[126:127], v[136:137] op_sel:[0,0,1] op_sel_hi:[1,1,0] neg_lo:[0,0,1] neg_hi:[0,0,1]
	v_pk_fma_f32 v[136:137], v[138:139], v[126:127], v[136:137] op_sel:[0,0,1] op_sel_hi:[1,0,0]
	s_delay_alu instid0(VALU_DEP_1)
	v_mov_b32_e32 v141, v137
	ds_load_2addr_b64 v[136:139], v130 offset0:46 offset1:47
	v_pk_add_f32 v[54:55], v[54:55], v[142:143] neg_lo:[0,1] neg_hi:[0,1]
	v_pk_add_f32 v[50:51], v[50:51], v[140:141] neg_lo:[0,1] neg_hi:[0,1]
	s_wait_dscnt 0x0
	v_pk_mul_f32 v[140:141], v[136:137], v[128:129] op_sel:[0,1]
	s_delay_alu instid0(VALU_DEP_1) | instskip(SKIP_1) | instid1(VALU_DEP_1)
	v_pk_fma_f32 v[142:143], v[136:137], v[126:127], v[140:141] op_sel:[0,0,1] op_sel_hi:[1,1,0] neg_lo:[0,0,1] neg_hi:[0,0,1]
	v_pk_fma_f32 v[136:137], v[136:137], v[126:127], v[140:141] op_sel:[0,0,1] op_sel_hi:[1,0,0]
	v_mov_b32_e32 v143, v137
	v_pk_mul_f32 v[136:137], v[138:139], v[128:129] op_sel:[0,1]
	s_delay_alu instid0(VALU_DEP_1) | instskip(SKIP_1) | instid1(VALU_DEP_1)
	v_pk_fma_f32 v[140:141], v[138:139], v[126:127], v[136:137] op_sel:[0,0,1] op_sel_hi:[1,1,0] neg_lo:[0,0,1] neg_hi:[0,0,1]
	v_pk_fma_f32 v[136:137], v[138:139], v[126:127], v[136:137] op_sel:[0,0,1] op_sel_hi:[1,0,0]
	v_mov_b32_e32 v141, v137
	ds_load_2addr_b64 v[136:139], v130 offset0:48 offset1:49
	v_pk_add_f32 v[52:53], v[52:53], v[142:143] neg_lo:[0,1] neg_hi:[0,1]
	v_pk_add_f32 v[10:11], v[10:11], v[140:141] neg_lo:[0,1] neg_hi:[0,1]
	s_wait_dscnt 0x0
	v_dual_mul_f32 v140, v137, v129 :: v_dual_mul_f32 v142, v137, v126
	s_delay_alu instid0(VALU_DEP_1) | instskip(NEXT) | instid1(VALU_DEP_2)
	v_pk_fma_f32 v[140:141], v[136:137], v[104:105], v[140:141] op_sel_hi:[1,1,0] neg_lo:[0,0,1] neg_hi:[0,0,1]
	v_pk_fma_f32 v[136:137], v[136:137], v[104:105], v[142:143] op_sel:[1,0,0] op_sel_hi:[0,1,0]
	s_delay_alu instid0(VALU_DEP_1) | instskip(SKIP_1) | instid1(VALU_DEP_2)
	v_mov_b32_e32 v141, v137
	v_pk_mul_f32 v[136:137], v[138:139], v[128:129] op_sel:[0,1]
	v_pk_add_f32 v[46:47], v[46:47], v[140:141] neg_lo:[0,1] neg_hi:[0,1]
	s_delay_alu instid0(VALU_DEP_2) | instskip(SKIP_1) | instid1(VALU_DEP_1)
	v_pk_fma_f32 v[140:141], v[138:139], v[126:127], v[136:137] op_sel:[0,0,1] op_sel_hi:[1,1,0] neg_lo:[0,0,1] neg_hi:[0,0,1]
	v_pk_fma_f32 v[136:137], v[138:139], v[126:127], v[136:137] op_sel:[0,0,1] op_sel_hi:[1,0,0]
	v_mov_b32_e32 v141, v137
	ds_load_2addr_b64 v[136:139], v130 offset0:50 offset1:51
	v_pk_add_f32 v[44:45], v[44:45], v[140:141] neg_lo:[0,1] neg_hi:[0,1]
	s_wait_dscnt 0x0
	v_pk_mul_f32 v[140:141], v[136:137], v[128:129] op_sel:[0,1]
	s_delay_alu instid0(VALU_DEP_1) | instskip(SKIP_1) | instid1(VALU_DEP_1)
	v_pk_fma_f32 v[142:143], v[136:137], v[126:127], v[140:141] op_sel:[0,0,1] op_sel_hi:[1,1,0] neg_lo:[0,0,1] neg_hi:[0,0,1]
	v_pk_fma_f32 v[136:137], v[136:137], v[126:127], v[140:141] op_sel:[0,0,1] op_sel_hi:[1,0,0]
	v_mov_b32_e32 v143, v137
	v_pk_mul_f32 v[136:137], v[138:139], v[128:129] op_sel:[0,1]
	s_delay_alu instid0(VALU_DEP_2) | instskip(NEXT) | instid1(VALU_DEP_2)
	v_pk_add_f32 v[48:49], v[48:49], v[142:143] neg_lo:[0,1] neg_hi:[0,1]
	v_pk_fma_f32 v[140:141], v[138:139], v[126:127], v[136:137] op_sel:[0,0,1] op_sel_hi:[1,1,0] neg_lo:[0,0,1] neg_hi:[0,0,1]
	v_pk_fma_f32 v[136:137], v[138:139], v[126:127], v[136:137] op_sel:[0,0,1] op_sel_hi:[1,0,0]
	s_delay_alu instid0(VALU_DEP_1) | instskip(SKIP_4) | instid1(VALU_DEP_1)
	v_mov_b32_e32 v141, v137
	ds_load_2addr_b64 v[136:139], v130 offset0:52 offset1:53
	v_pk_add_f32 v[8:9], v[8:9], v[140:141] neg_lo:[0,1] neg_hi:[0,1]
	s_wait_dscnt 0x0
	v_pk_mul_f32 v[140:141], v[136:137], v[128:129] op_sel:[0,1]
	v_pk_fma_f32 v[142:143], v[136:137], v[126:127], v[140:141] op_sel:[0,0,1] op_sel_hi:[1,1,0] neg_lo:[0,0,1] neg_hi:[0,0,1]
	v_pk_fma_f32 v[136:137], v[136:137], v[126:127], v[140:141] op_sel:[0,0,1] op_sel_hi:[1,0,0]
	v_dual_mul_f32 v140, v139, v129 :: v_dual_mov_b32 v136, v139
	s_delay_alu instid0(VALU_DEP_2) | instskip(NEXT) | instid1(VALU_DEP_2)
	v_dual_mov_b32 v143, v137 :: v_dual_mov_b32 v137, v138
	v_pk_fma_f32 v[140:141], v[138:139], v[104:105], v[140:141] op_sel_hi:[1,1,0] neg_lo:[0,0,1] neg_hi:[0,0,1]
	v_mul_f32_e32 v138, v139, v126
	s_delay_alu instid0(VALU_DEP_3) | instskip(NEXT) | instid1(VALU_DEP_2)
	v_pk_add_f32 v[34:35], v[34:35], v[142:143] neg_lo:[0,1] neg_hi:[0,1]
	v_pk_fma_f32 v[136:137], v[136:137], v[104:105], v[138:139] op_sel_hi:[1,1,0]
	s_delay_alu instid0(VALU_DEP_1) | instskip(SKIP_4) | instid1(VALU_DEP_1)
	v_mov_b32_e32 v141, v137
	ds_load_2addr_b64 v[136:139], v130 offset0:54 offset1:55
	v_pk_add_f32 v[28:29], v[28:29], v[140:141] neg_lo:[0,1] neg_hi:[0,1]
	s_wait_dscnt 0x0
	v_pk_mul_f32 v[140:141], v[136:137], v[128:129] op_sel:[0,1]
	v_pk_fma_f32 v[142:143], v[136:137], v[126:127], v[140:141] op_sel:[0,0,1] op_sel_hi:[1,1,0] neg_lo:[0,0,1] neg_hi:[0,0,1]
	v_pk_fma_f32 v[136:137], v[136:137], v[126:127], v[140:141] op_sel:[0,0,1] op_sel_hi:[1,0,0]
	s_delay_alu instid0(VALU_DEP_1) | instskip(SKIP_1) | instid1(VALU_DEP_1)
	v_mov_b32_e32 v143, v137
	v_pk_mul_f32 v[136:137], v[138:139], v[128:129] op_sel:[0,1]
	v_pk_fma_f32 v[140:141], v[138:139], v[126:127], v[136:137] op_sel:[0,0,1] op_sel_hi:[1,1,0] neg_lo:[0,0,1] neg_hi:[0,0,1]
	v_pk_fma_f32 v[136:137], v[138:139], v[126:127], v[136:137] op_sel:[0,0,1] op_sel_hi:[1,0,0]
	s_delay_alu instid0(VALU_DEP_1)
	v_mov_b32_e32 v141, v137
	ds_load_2addr_b64 v[136:139], v130 offset0:56 offset1:57
	v_pk_add_f32 v[32:33], v[32:33], v[142:143] neg_lo:[0,1] neg_hi:[0,1]
	v_pk_add_f32 v[6:7], v[6:7], v[140:141] neg_lo:[0,1] neg_hi:[0,1]
	s_wait_dscnt 0x0
	v_pk_mul_f32 v[140:141], v[136:137], v[128:129] op_sel:[0,1]
	s_delay_alu instid0(VALU_DEP_1) | instskip(SKIP_1) | instid1(VALU_DEP_1)
	v_pk_fma_f32 v[142:143], v[136:137], v[126:127], v[140:141] op_sel:[0,0,1] op_sel_hi:[1,1,0] neg_lo:[0,0,1] neg_hi:[0,0,1]
	v_pk_fma_f32 v[136:137], v[136:137], v[126:127], v[140:141] op_sel:[0,0,1] op_sel_hi:[1,0,0]
	v_mov_b32_e32 v143, v137
	v_pk_mul_f32 v[136:137], v[138:139], v[128:129] op_sel:[0,1]
	s_delay_alu instid0(VALU_DEP_1) | instskip(SKIP_1) | instid1(VALU_DEP_1)
	v_pk_fma_f32 v[140:141], v[138:139], v[126:127], v[136:137] op_sel:[0,0,1] op_sel_hi:[1,1,0] neg_lo:[0,0,1] neg_hi:[0,0,1]
	v_pk_fma_f32 v[136:137], v[138:139], v[126:127], v[136:137] op_sel:[0,0,1] op_sel_hi:[1,0,0]
	v_mov_b32_e32 v141, v137
	ds_load_2addr_b64 v[136:139], v130 offset0:58 offset1:59
	v_pk_add_f32 v[26:27], v[26:27], v[142:143] neg_lo:[0,1] neg_hi:[0,1]
	v_pk_add_f32 v[16:17], v[16:17], v[140:141] neg_lo:[0,1] neg_hi:[0,1]
	s_wait_dscnt 0x0
	v_dual_mul_f32 v140, v137, v129 :: v_dual_mul_f32 v142, v137, v126
	v_pk_mul_f32 v[128:129], v[138:139], v[128:129] op_sel:[0,1]
	s_delay_alu instid0(VALU_DEP_2) | instskip(NEXT) | instid1(VALU_DEP_3)
	v_pk_fma_f32 v[140:141], v[136:137], v[104:105], v[140:141] op_sel_hi:[1,1,0] neg_lo:[0,0,1] neg_hi:[0,0,1]
	v_pk_fma_f32 v[136:137], v[136:137], v[104:105], v[142:143] op_sel:[1,0,0] op_sel_hi:[0,1,0]
	s_delay_alu instid0(VALU_DEP_1) | instskip(NEXT) | instid1(VALU_DEP_4)
	v_mov_b32_e32 v141, v137
	v_pk_fma_f32 v[136:137], v[138:139], v[126:127], v[128:129] op_sel:[0,0,1] op_sel_hi:[1,1,0] neg_lo:[0,0,1] neg_hi:[0,0,1]
	v_pk_fma_f32 v[126:127], v[138:139], v[126:127], v[128:129] op_sel:[0,0,1] op_sel_hi:[1,0,0]
	s_delay_alu instid0(VALU_DEP_1) | instskip(NEXT) | instid1(VALU_DEP_4)
	v_mov_b32_e32 v137, v127
	v_pk_add_f32 v[14:15], v[14:15], v[140:141] neg_lo:[0,1] neg_hi:[0,1]
	s_delay_alu instid0(VALU_DEP_2)
	v_pk_add_f32 v[124:125], v[124:125], v[136:137] neg_lo:[0,1] neg_hi:[0,1]
.LBB118_209:
	s_or_b32 exec_lo, exec_lo, s0
	v_lshl_add_u32 v126, v134, 3, v130
	s_barrier_signal -1
	s_barrier_wait -1
	ds_store_b64 v126, v[106:107]
	s_wait_dscnt 0x0
	s_barrier_signal -1
	s_barrier_wait -1
	ds_load_b64 v[128:129], v130 offset:80
	v_mov_b32_e32 v126, 10
	s_cmp_lt_i32 s18, 12
	s_cbranch_scc1 .LBB118_212
; %bb.210:
	v_add3_u32 v127, v131, 0, 0x58
	v_mov_b32_e32 v126, 10
	s_mov_b32 s0, 11
.LBB118_211:                            ; =>This Inner Loop Header: Depth=1
	ds_load_b64 v[136:137], v127
	s_wait_dscnt 0x1
	v_cmp_gt_f32_e32 vcc_lo, 0, v128
	v_cndmask_b32_e64 v138, v128, -v128, vcc_lo
	v_cmp_gt_f32_e32 vcc_lo, 0, v129
	v_cndmask_b32_e64 v140, v129, -v129, vcc_lo
	s_wait_dscnt 0x0
	v_cmp_gt_f32_e32 vcc_lo, 0, v136
	v_cndmask_b32_e64 v139, v136, -v136, vcc_lo
	v_cmp_gt_f32_e32 vcc_lo, 0, v137
	v_cndmask_b32_e64 v141, v137, -v137, vcc_lo
	s_delay_alu instid0(VALU_DEP_1) | instskip(NEXT) | instid1(VALU_DEP_1)
	v_pk_add_f32 v[138:139], v[138:139], v[140:141]
	v_cmp_lt_f32_e32 vcc_lo, v138, v139
	v_dual_add_nc_u32 v127, 8, v127 :: v_dual_cndmask_b32 v129, v129, v137, vcc_lo
	v_cndmask_b32_e32 v128, v128, v136, vcc_lo
	v_cndmask_b32_e64 v126, v126, s0, vcc_lo
	s_add_co_i32 s0, s0, 1
	s_delay_alu instid0(SALU_CYCLE_1)
	s_cmp_lg_u32 s18, s0
	s_cbranch_scc1 .LBB118_211
.LBB118_212:
	s_wait_dscnt 0x0
	v_cmp_eq_f32_e32 vcc_lo, 0, v128
	v_cmp_eq_f32_e64 s0, 0, v129
	s_and_b32 s0, vcc_lo, s0
	s_delay_alu instid0(SALU_CYCLE_1) | instskip(NEXT) | instid1(SALU_CYCLE_1)
	s_and_saveexec_b32 s1, s0
	s_xor_b32 s0, exec_lo, s1
; %bb.213:
	v_cmp_ne_u32_e32 vcc_lo, 0, v132
	v_cndmask_b32_e32 v132, 11, v132, vcc_lo
; %bb.214:
	s_and_not1_saveexec_b32 s0, s0
	s_cbranch_execz .LBB118_220
; %bb.215:
	v_cmp_ngt_f32_e64 s1, |v128|, |v129|
	s_and_saveexec_b32 s12, s1
	s_delay_alu instid0(SALU_CYCLE_1)
	s_xor_b32 s1, exec_lo, s12
	s_cbranch_execz .LBB118_217
; %bb.216:
	v_div_scale_f32 v127, null, v129, v129, v128
	v_div_scale_f32 v137, vcc_lo, v128, v129, v128
	s_delay_alu instid0(VALU_DEP_2) | instskip(SKIP_1) | instid1(TRANS32_DEP_1)
	v_rcp_f32_e32 v135, v127
	v_nop
	v_fma_f32 v136, -v127, v135, 1.0
	s_delay_alu instid0(VALU_DEP_1) | instskip(NEXT) | instid1(VALU_DEP_1)
	v_fmac_f32_e32 v135, v136, v135
	v_mul_f32_e32 v136, v137, v135
	s_delay_alu instid0(VALU_DEP_1) | instskip(NEXT) | instid1(VALU_DEP_1)
	v_fma_f32 v138, -v127, v136, v137
	v_fmac_f32_e32 v136, v138, v135
	s_delay_alu instid0(VALU_DEP_1) | instskip(NEXT) | instid1(VALU_DEP_1)
	v_fma_f32 v127, -v127, v136, v137
	v_div_fmas_f32 v127, v127, v135, v136
	s_delay_alu instid0(VALU_DEP_1) | instskip(NEXT) | instid1(VALU_DEP_1)
	v_div_fixup_f32 v127, v127, v129, v128
	v_fmac_f32_e32 v129, v128, v127
	s_delay_alu instid0(VALU_DEP_1) | instskip(SKIP_1) | instid1(VALU_DEP_2)
	v_div_scale_f32 v128, null, v129, v129, 1.0
	v_div_scale_f32 v137, vcc_lo, 1.0, v129, 1.0
	v_rcp_f32_e32 v135, v128
	v_nop
	s_delay_alu instid0(TRANS32_DEP_1) | instskip(NEXT) | instid1(VALU_DEP_1)
	v_fma_f32 v136, -v128, v135, 1.0
	v_fmac_f32_e32 v135, v136, v135
	s_delay_alu instid0(VALU_DEP_1) | instskip(NEXT) | instid1(VALU_DEP_1)
	v_mul_f32_e32 v136, v137, v135
	v_fma_f32 v138, -v128, v136, v137
	s_delay_alu instid0(VALU_DEP_1) | instskip(NEXT) | instid1(VALU_DEP_1)
	v_fmac_f32_e32 v136, v138, v135
	v_fma_f32 v128, -v128, v136, v137
	s_delay_alu instid0(VALU_DEP_1) | instskip(NEXT) | instid1(VALU_DEP_1)
	v_div_fmas_f32 v128, v128, v135, v136
	v_div_fixup_f32 v129, v128, v129, 1.0
	s_delay_alu instid0(VALU_DEP_1)
	v_mul_f32_e32 v128, v127, v129
	v_xor_b32_e32 v129, 0x80000000, v129
.LBB118_217:
	s_and_not1_saveexec_b32 s1, s1
	s_cbranch_execz .LBB118_219
; %bb.218:
	s_delay_alu instid0(VALU_DEP_1) | instskip(SKIP_1) | instid1(VALU_DEP_2)
	v_div_scale_f32 v127, null, v128, v128, v129
	v_div_scale_f32 v137, vcc_lo, v129, v128, v129
	v_rcp_f32_e32 v135, v127
	v_nop
	s_delay_alu instid0(TRANS32_DEP_1) | instskip(NEXT) | instid1(VALU_DEP_1)
	v_fma_f32 v136, -v127, v135, 1.0
	v_fmac_f32_e32 v135, v136, v135
	s_delay_alu instid0(VALU_DEP_1) | instskip(NEXT) | instid1(VALU_DEP_1)
	v_mul_f32_e32 v136, v137, v135
	v_fma_f32 v138, -v127, v136, v137
	s_delay_alu instid0(VALU_DEP_1) | instskip(NEXT) | instid1(VALU_DEP_1)
	v_fmac_f32_e32 v136, v138, v135
	v_fma_f32 v127, -v127, v136, v137
	s_delay_alu instid0(VALU_DEP_1) | instskip(NEXT) | instid1(VALU_DEP_1)
	v_div_fmas_f32 v127, v127, v135, v136
	v_div_fixup_f32 v127, v127, v128, v129
	s_delay_alu instid0(VALU_DEP_1) | instskip(NEXT) | instid1(VALU_DEP_1)
	v_fmac_f32_e32 v128, v129, v127
	v_div_scale_f32 v129, null, v128, v128, 1.0
	s_delay_alu instid0(VALU_DEP_1) | instskip(SKIP_1) | instid1(TRANS32_DEP_1)
	v_rcp_f32_e32 v135, v129
	v_nop
	v_fma_f32 v136, -v129, v135, 1.0
	s_delay_alu instid0(VALU_DEP_1) | instskip(SKIP_1) | instid1(VALU_DEP_1)
	v_fmac_f32_e32 v135, v136, v135
	v_div_scale_f32 v136, vcc_lo, 1.0, v128, 1.0
	v_mul_f32_e32 v137, v136, v135
	s_delay_alu instid0(VALU_DEP_1) | instskip(NEXT) | instid1(VALU_DEP_1)
	v_fma_f32 v138, -v129, v137, v136
	v_fmac_f32_e32 v137, v138, v135
	s_delay_alu instid0(VALU_DEP_1) | instskip(NEXT) | instid1(VALU_DEP_1)
	v_fma_f32 v129, -v129, v137, v136
	v_div_fmas_f32 v129, v129, v135, v137
	s_delay_alu instid0(VALU_DEP_1) | instskip(NEXT) | instid1(VALU_DEP_1)
	v_div_fixup_f32 v128, v129, v128, 1.0
	v_mul_f32_e64 v129, v127, -v128
.LBB118_219:
	s_or_b32 exec_lo, exec_lo, s1
.LBB118_220:
	s_delay_alu instid0(SALU_CYCLE_1) | instskip(NEXT) | instid1(SALU_CYCLE_1)
	s_or_b32 exec_lo, exec_lo, s0
	s_mov_b32 s0, exec_lo
	v_cmpx_ne_u32_e64 v134, v126
	s_xor_b32 s0, exec_lo, s0
	s_cbranch_execz .LBB118_226
; %bb.221:
	s_mov_b32 s1, exec_lo
	v_cmpx_eq_u32_e32 10, v134
	s_cbranch_execz .LBB118_225
; %bb.222:
	v_cmp_ne_u32_e32 vcc_lo, 10, v126
	s_xor_b32 s12, s16, -1
	s_delay_alu instid0(SALU_CYCLE_1) | instskip(NEXT) | instid1(SALU_CYCLE_1)
	s_and_b32 s13, s12, vcc_lo
	s_and_saveexec_b32 s12, s13
	s_cbranch_execz .LBB118_224
; %bb.223:
	v_ashrrev_i32_e32 v127, 31, v126
	s_delay_alu instid0(VALU_DEP_1)
	v_lshl_add_u64 v[134:135], v[126:127], 2, v[4:5]
	s_clause 0x1
	global_load_b32 v127, v[134:135], off
	global_load_b32 v133, v[4:5], off offset:40
	s_wait_loadcnt 0x1
	global_store_b32 v[4:5], v127, off offset:40
	s_wait_loadcnt 0x0
	global_store_b32 v[134:135], v133, off
.LBB118_224:
	s_wait_xcnt 0x0
	s_or_b32 exec_lo, exec_lo, s12
	v_dual_mov_b32 v134, v126 :: v_dual_mov_b32 v133, v126
.LBB118_225:
	s_or_b32 exec_lo, exec_lo, s1
.LBB118_226:
	s_and_not1_saveexec_b32 s0, s0
	s_cbranch_execz .LBB118_228
; %bb.227:
	v_mov_b32_e32 v134, 10
	ds_store_2addr_b64 v130, v[40:41], v[102:103] offset0:11 offset1:12
	ds_store_2addr_b64 v130, v[98:99], v[100:101] offset0:13 offset1:14
	;; [unrolled: 1-line block ×24, first 2 shown]
	ds_store_b64 v130, v[124:125] offset:472
.LBB118_228:
	s_or_b32 exec_lo, exec_lo, s0
	s_delay_alu instid0(SALU_CYCLE_1)
	s_mov_b32 s0, exec_lo
	s_wait_storecnt_dscnt 0x0
	s_barrier_signal -1
	s_barrier_wait -1
	v_cmpx_lt_i32_e32 10, v134
	s_cbranch_execz .LBB118_230
; %bb.229:
	v_pk_mul_f32 v[136:137], v[128:129], v[106:107] op_sel:[1,1] op_sel_hi:[0,1]
	s_delay_alu instid0(VALU_DEP_1)
	v_pk_fma_f32 v[126:127], v[128:129], v[106:107], v[136:137] op_sel_hi:[1,0,1] neg_lo:[0,0,1] neg_hi:[0,0,1]
	v_pk_fma_f32 v[128:129], v[128:129], v[106:107], v[136:137] op_sel_hi:[1,0,1]
	ds_load_2addr_b64 v[136:139], v130 offset0:11 offset1:12
	v_dual_mov_b32 v106, v126 :: v_dual_mov_b32 v107, v129
	s_wait_dscnt 0x0
	v_pk_mul_f32 v[140:141], v[136:137], v[128:129] op_sel:[0,1]
	s_delay_alu instid0(VALU_DEP_1) | instskip(SKIP_1) | instid1(VALU_DEP_1)
	v_pk_fma_f32 v[142:143], v[136:137], v[126:127], v[140:141] op_sel:[0,0,1] op_sel_hi:[1,1,0] neg_lo:[0,0,1] neg_hi:[0,0,1]
	v_pk_fma_f32 v[136:137], v[136:137], v[126:127], v[140:141] op_sel:[0,0,1] op_sel_hi:[1,0,0]
	v_mov_b32_e32 v143, v137
	v_pk_mul_f32 v[136:137], v[138:139], v[128:129] op_sel:[0,1]
	s_delay_alu instid0(VALU_DEP_1) | instskip(SKIP_1) | instid1(VALU_DEP_1)
	v_pk_fma_f32 v[140:141], v[138:139], v[126:127], v[136:137] op_sel:[0,0,1] op_sel_hi:[1,1,0] neg_lo:[0,0,1] neg_hi:[0,0,1]
	v_pk_fma_f32 v[136:137], v[138:139], v[126:127], v[136:137] op_sel:[0,0,1] op_sel_hi:[1,0,0]
	v_mov_b32_e32 v141, v137
	ds_load_2addr_b64 v[136:139], v130 offset0:13 offset1:14
	v_pk_add_f32 v[40:41], v[40:41], v[142:143] neg_lo:[0,1] neg_hi:[0,1]
	v_pk_add_f32 v[102:103], v[102:103], v[140:141] neg_lo:[0,1] neg_hi:[0,1]
	s_wait_dscnt 0x0
	v_pk_mul_f32 v[140:141], v[136:137], v[128:129] op_sel:[0,1]
	s_delay_alu instid0(VALU_DEP_1) | instskip(SKIP_2) | instid1(VALU_DEP_2)
	v_pk_fma_f32 v[142:143], v[136:137], v[126:127], v[140:141] op_sel:[0,0,1] op_sel_hi:[1,1,0] neg_lo:[0,0,1] neg_hi:[0,0,1]
	v_pk_fma_f32 v[136:137], v[136:137], v[126:127], v[140:141] op_sel:[0,0,1] op_sel_hi:[1,0,0]
	v_dual_mul_f32 v140, v139, v129 :: v_dual_mov_b32 v136, v139
	v_dual_mov_b32 v143, v137 :: v_dual_mov_b32 v137, v138
	s_delay_alu instid0(VALU_DEP_2) | instskip(SKIP_1) | instid1(VALU_DEP_3)
	v_pk_fma_f32 v[140:141], v[138:139], v[106:107], v[140:141] op_sel_hi:[1,1,0] neg_lo:[0,0,1] neg_hi:[0,0,1]
	v_mul_f32_e32 v138, v139, v126
	v_pk_add_f32 v[98:99], v[98:99], v[142:143] neg_lo:[0,1] neg_hi:[0,1]
	s_delay_alu instid0(VALU_DEP_2) | instskip(NEXT) | instid1(VALU_DEP_1)
	v_pk_fma_f32 v[136:137], v[136:137], v[106:107], v[138:139] op_sel_hi:[1,1,0]
	v_mov_b32_e32 v141, v137
	ds_load_2addr_b64 v[136:139], v130 offset0:15 offset1:16
	v_pk_add_f32 v[100:101], v[100:101], v[140:141] neg_lo:[0,1] neg_hi:[0,1]
	s_wait_dscnt 0x0
	v_pk_mul_f32 v[140:141], v[136:137], v[128:129] op_sel:[0,1]
	s_delay_alu instid0(VALU_DEP_1) | instskip(SKIP_1) | instid1(VALU_DEP_1)
	v_pk_fma_f32 v[142:143], v[136:137], v[126:127], v[140:141] op_sel:[0,0,1] op_sel_hi:[1,1,0] neg_lo:[0,0,1] neg_hi:[0,0,1]
	v_pk_fma_f32 v[136:137], v[136:137], v[126:127], v[140:141] op_sel:[0,0,1] op_sel_hi:[1,0,0]
	v_mov_b32_e32 v143, v137
	v_pk_mul_f32 v[136:137], v[138:139], v[128:129] op_sel:[0,1]
	s_delay_alu instid0(VALU_DEP_1) | instskip(SKIP_1) | instid1(VALU_DEP_1)
	v_pk_fma_f32 v[140:141], v[138:139], v[126:127], v[136:137] op_sel:[0,0,1] op_sel_hi:[1,1,0] neg_lo:[0,0,1] neg_hi:[0,0,1]
	v_pk_fma_f32 v[136:137], v[138:139], v[126:127], v[136:137] op_sel:[0,0,1] op_sel_hi:[1,0,0]
	v_mov_b32_e32 v141, v137
	ds_load_2addr_b64 v[136:139], v130 offset0:17 offset1:18
	v_pk_add_f32 v[38:39], v[38:39], v[142:143] neg_lo:[0,1] neg_hi:[0,1]
	v_pk_add_f32 v[96:97], v[96:97], v[140:141] neg_lo:[0,1] neg_hi:[0,1]
	s_wait_dscnt 0x0
	v_pk_mul_f32 v[140:141], v[136:137], v[128:129] op_sel:[0,1]
	s_delay_alu instid0(VALU_DEP_1) | instskip(SKIP_1) | instid1(VALU_DEP_1)
	v_pk_fma_f32 v[142:143], v[136:137], v[126:127], v[140:141] op_sel:[0,0,1] op_sel_hi:[1,1,0] neg_lo:[0,0,1] neg_hi:[0,0,1]
	v_pk_fma_f32 v[136:137], v[136:137], v[126:127], v[140:141] op_sel:[0,0,1] op_sel_hi:[1,0,0]
	v_mov_b32_e32 v143, v137
	v_pk_mul_f32 v[136:137], v[138:139], v[128:129] op_sel:[0,1]
	s_delay_alu instid0(VALU_DEP_1) | instskip(SKIP_1) | instid1(VALU_DEP_1)
	v_pk_fma_f32 v[140:141], v[138:139], v[126:127], v[136:137] op_sel:[0,0,1] op_sel_hi:[1,1,0] neg_lo:[0,0,1] neg_hi:[0,0,1]
	v_pk_fma_f32 v[136:137], v[138:139], v[126:127], v[136:137] op_sel:[0,0,1] op_sel_hi:[1,0,0]
	v_mov_b32_e32 v141, v137
	ds_load_2addr_b64 v[136:139], v130 offset0:19 offset1:20
	v_pk_add_f32 v[92:93], v[92:93], v[142:143] neg_lo:[0,1] neg_hi:[0,1]
	v_pk_add_f32 v[94:95], v[94:95], v[140:141] neg_lo:[0,1] neg_hi:[0,1]
	s_wait_dscnt 0x0
	v_dual_mul_f32 v140, v137, v129 :: v_dual_mul_f32 v142, v137, v126
	s_delay_alu instid0(VALU_DEP_1) | instskip(NEXT) | instid1(VALU_DEP_2)
	v_pk_fma_f32 v[140:141], v[136:137], v[106:107], v[140:141] op_sel_hi:[1,1,0] neg_lo:[0,0,1] neg_hi:[0,0,1]
	v_pk_fma_f32 v[136:137], v[136:137], v[106:107], v[142:143] op_sel:[1,0,0] op_sel_hi:[0,1,0]
	s_delay_alu instid0(VALU_DEP_1) | instskip(SKIP_1) | instid1(VALU_DEP_2)
	v_mov_b32_e32 v141, v137
	v_pk_mul_f32 v[136:137], v[138:139], v[128:129] op_sel:[0,1]
	v_pk_add_f32 v[36:37], v[36:37], v[140:141] neg_lo:[0,1] neg_hi:[0,1]
	s_delay_alu instid0(VALU_DEP_2) | instskip(SKIP_1) | instid1(VALU_DEP_1)
	v_pk_fma_f32 v[140:141], v[138:139], v[126:127], v[136:137] op_sel:[0,0,1] op_sel_hi:[1,1,0] neg_lo:[0,0,1] neg_hi:[0,0,1]
	v_pk_fma_f32 v[136:137], v[138:139], v[126:127], v[136:137] op_sel:[0,0,1] op_sel_hi:[1,0,0]
	v_mov_b32_e32 v141, v137
	ds_load_2addr_b64 v[136:139], v130 offset0:21 offset1:22
	v_pk_add_f32 v[90:91], v[90:91], v[140:141] neg_lo:[0,1] neg_hi:[0,1]
	s_wait_dscnt 0x0
	v_pk_mul_f32 v[140:141], v[136:137], v[128:129] op_sel:[0,1]
	s_delay_alu instid0(VALU_DEP_1) | instskip(SKIP_1) | instid1(VALU_DEP_1)
	v_pk_fma_f32 v[142:143], v[136:137], v[126:127], v[140:141] op_sel:[0,0,1] op_sel_hi:[1,1,0] neg_lo:[0,0,1] neg_hi:[0,0,1]
	v_pk_fma_f32 v[136:137], v[136:137], v[126:127], v[140:141] op_sel:[0,0,1] op_sel_hi:[1,0,0]
	v_mov_b32_e32 v143, v137
	v_pk_mul_f32 v[136:137], v[138:139], v[128:129] op_sel:[0,1]
	s_delay_alu instid0(VALU_DEP_2) | instskip(NEXT) | instid1(VALU_DEP_2)
	v_pk_add_f32 v[86:87], v[86:87], v[142:143] neg_lo:[0,1] neg_hi:[0,1]
	v_pk_fma_f32 v[140:141], v[138:139], v[126:127], v[136:137] op_sel:[0,0,1] op_sel_hi:[1,1,0] neg_lo:[0,0,1] neg_hi:[0,0,1]
	v_pk_fma_f32 v[136:137], v[138:139], v[126:127], v[136:137] op_sel:[0,0,1] op_sel_hi:[1,0,0]
	s_delay_alu instid0(VALU_DEP_1) | instskip(SKIP_4) | instid1(VALU_DEP_1)
	v_mov_b32_e32 v141, v137
	ds_load_2addr_b64 v[136:139], v130 offset0:23 offset1:24
	v_pk_add_f32 v[88:89], v[88:89], v[140:141] neg_lo:[0,1] neg_hi:[0,1]
	s_wait_dscnt 0x0
	v_pk_mul_f32 v[140:141], v[136:137], v[128:129] op_sel:[0,1]
	v_pk_fma_f32 v[142:143], v[136:137], v[126:127], v[140:141] op_sel:[0,0,1] op_sel_hi:[1,1,0] neg_lo:[0,0,1] neg_hi:[0,0,1]
	v_pk_fma_f32 v[136:137], v[136:137], v[126:127], v[140:141] op_sel:[0,0,1] op_sel_hi:[1,0,0]
	v_dual_mul_f32 v140, v139, v129 :: v_dual_mov_b32 v136, v139
	s_delay_alu instid0(VALU_DEP_2) | instskip(NEXT) | instid1(VALU_DEP_2)
	v_dual_mov_b32 v143, v137 :: v_dual_mov_b32 v137, v138
	v_pk_fma_f32 v[140:141], v[138:139], v[106:107], v[140:141] op_sel_hi:[1,1,0] neg_lo:[0,0,1] neg_hi:[0,0,1]
	v_mul_f32_e32 v138, v139, v126
	s_delay_alu instid0(VALU_DEP_3) | instskip(NEXT) | instid1(VALU_DEP_2)
	v_pk_add_f32 v[30:31], v[30:31], v[142:143] neg_lo:[0,1] neg_hi:[0,1]
	v_pk_fma_f32 v[136:137], v[136:137], v[106:107], v[138:139] op_sel_hi:[1,1,0]
	s_delay_alu instid0(VALU_DEP_1) | instskip(SKIP_4) | instid1(VALU_DEP_1)
	v_mov_b32_e32 v141, v137
	ds_load_2addr_b64 v[136:139], v130 offset0:25 offset1:26
	v_pk_add_f32 v[84:85], v[84:85], v[140:141] neg_lo:[0,1] neg_hi:[0,1]
	s_wait_dscnt 0x0
	v_pk_mul_f32 v[140:141], v[136:137], v[128:129] op_sel:[0,1]
	v_pk_fma_f32 v[142:143], v[136:137], v[126:127], v[140:141] op_sel:[0,0,1] op_sel_hi:[1,1,0] neg_lo:[0,0,1] neg_hi:[0,0,1]
	v_pk_fma_f32 v[136:137], v[136:137], v[126:127], v[140:141] op_sel:[0,0,1] op_sel_hi:[1,0,0]
	s_delay_alu instid0(VALU_DEP_1) | instskip(SKIP_1) | instid1(VALU_DEP_1)
	v_mov_b32_e32 v143, v137
	v_pk_mul_f32 v[136:137], v[138:139], v[128:129] op_sel:[0,1]
	v_pk_fma_f32 v[140:141], v[138:139], v[126:127], v[136:137] op_sel:[0,0,1] op_sel_hi:[1,1,0] neg_lo:[0,0,1] neg_hi:[0,0,1]
	v_pk_fma_f32 v[136:137], v[138:139], v[126:127], v[136:137] op_sel:[0,0,1] op_sel_hi:[1,0,0]
	s_delay_alu instid0(VALU_DEP_1)
	v_mov_b32_e32 v141, v137
	ds_load_2addr_b64 v[136:139], v130 offset0:27 offset1:28
	v_pk_add_f32 v[80:81], v[80:81], v[142:143] neg_lo:[0,1] neg_hi:[0,1]
	v_pk_add_f32 v[82:83], v[82:83], v[140:141] neg_lo:[0,1] neg_hi:[0,1]
	s_wait_dscnt 0x0
	v_pk_mul_f32 v[140:141], v[136:137], v[128:129] op_sel:[0,1]
	s_delay_alu instid0(VALU_DEP_1) | instskip(SKIP_1) | instid1(VALU_DEP_1)
	v_pk_fma_f32 v[142:143], v[136:137], v[126:127], v[140:141] op_sel:[0,0,1] op_sel_hi:[1,1,0] neg_lo:[0,0,1] neg_hi:[0,0,1]
	v_pk_fma_f32 v[136:137], v[136:137], v[126:127], v[140:141] op_sel:[0,0,1] op_sel_hi:[1,0,0]
	v_mov_b32_e32 v143, v137
	v_pk_mul_f32 v[136:137], v[138:139], v[128:129] op_sel:[0,1]
	s_delay_alu instid0(VALU_DEP_1) | instskip(SKIP_1) | instid1(VALU_DEP_1)
	v_pk_fma_f32 v[140:141], v[138:139], v[126:127], v[136:137] op_sel:[0,0,1] op_sel_hi:[1,1,0] neg_lo:[0,0,1] neg_hi:[0,0,1]
	v_pk_fma_f32 v[136:137], v[138:139], v[126:127], v[136:137] op_sel:[0,0,1] op_sel_hi:[1,0,0]
	v_mov_b32_e32 v141, v137
	ds_load_2addr_b64 v[136:139], v130 offset0:29 offset1:30
	v_pk_add_f32 v[24:25], v[24:25], v[142:143] neg_lo:[0,1] neg_hi:[0,1]
	v_pk_add_f32 v[78:79], v[78:79], v[140:141] neg_lo:[0,1] neg_hi:[0,1]
	s_wait_dscnt 0x0
	v_dual_mul_f32 v140, v137, v129 :: v_dual_mul_f32 v142, v137, v126
	s_delay_alu instid0(VALU_DEP_1) | instskip(NEXT) | instid1(VALU_DEP_2)
	v_pk_fma_f32 v[140:141], v[136:137], v[106:107], v[140:141] op_sel_hi:[1,1,0] neg_lo:[0,0,1] neg_hi:[0,0,1]
	v_pk_fma_f32 v[136:137], v[136:137], v[106:107], v[142:143] op_sel:[1,0,0] op_sel_hi:[0,1,0]
	s_delay_alu instid0(VALU_DEP_1) | instskip(SKIP_1) | instid1(VALU_DEP_2)
	v_mov_b32_e32 v141, v137
	v_pk_mul_f32 v[136:137], v[138:139], v[128:129] op_sel:[0,1]
	v_pk_add_f32 v[74:75], v[74:75], v[140:141] neg_lo:[0,1] neg_hi:[0,1]
	s_delay_alu instid0(VALU_DEP_2) | instskip(SKIP_1) | instid1(VALU_DEP_1)
	v_pk_fma_f32 v[140:141], v[138:139], v[126:127], v[136:137] op_sel:[0,0,1] op_sel_hi:[1,1,0] neg_lo:[0,0,1] neg_hi:[0,0,1]
	v_pk_fma_f32 v[136:137], v[138:139], v[126:127], v[136:137] op_sel:[0,0,1] op_sel_hi:[1,0,0]
	v_mov_b32_e32 v141, v137
	ds_load_2addr_b64 v[136:139], v130 offset0:31 offset1:32
	v_pk_add_f32 v[76:77], v[76:77], v[140:141] neg_lo:[0,1] neg_hi:[0,1]
	s_wait_dscnt 0x0
	v_pk_mul_f32 v[140:141], v[136:137], v[128:129] op_sel:[0,1]
	s_delay_alu instid0(VALU_DEP_1) | instskip(SKIP_1) | instid1(VALU_DEP_1)
	v_pk_fma_f32 v[142:143], v[136:137], v[126:127], v[140:141] op_sel:[0,0,1] op_sel_hi:[1,1,0] neg_lo:[0,0,1] neg_hi:[0,0,1]
	v_pk_fma_f32 v[136:137], v[136:137], v[126:127], v[140:141] op_sel:[0,0,1] op_sel_hi:[1,0,0]
	v_mov_b32_e32 v143, v137
	v_pk_mul_f32 v[136:137], v[138:139], v[128:129] op_sel:[0,1]
	s_delay_alu instid0(VALU_DEP_2) | instskip(NEXT) | instid1(VALU_DEP_2)
	v_pk_add_f32 v[22:23], v[22:23], v[142:143] neg_lo:[0,1] neg_hi:[0,1]
	v_pk_fma_f32 v[140:141], v[138:139], v[126:127], v[136:137] op_sel:[0,0,1] op_sel_hi:[1,1,0] neg_lo:[0,0,1] neg_hi:[0,0,1]
	v_pk_fma_f32 v[136:137], v[138:139], v[126:127], v[136:137] op_sel:[0,0,1] op_sel_hi:[1,0,0]
	s_delay_alu instid0(VALU_DEP_1) | instskip(SKIP_4) | instid1(VALU_DEP_1)
	v_mov_b32_e32 v141, v137
	ds_load_2addr_b64 v[136:139], v130 offset0:33 offset1:34
	v_pk_add_f32 v[72:73], v[72:73], v[140:141] neg_lo:[0,1] neg_hi:[0,1]
	s_wait_dscnt 0x0
	v_pk_mul_f32 v[140:141], v[136:137], v[128:129] op_sel:[0,1]
	v_pk_fma_f32 v[142:143], v[136:137], v[126:127], v[140:141] op_sel:[0,0,1] op_sel_hi:[1,1,0] neg_lo:[0,0,1] neg_hi:[0,0,1]
	v_pk_fma_f32 v[136:137], v[136:137], v[126:127], v[140:141] op_sel:[0,0,1] op_sel_hi:[1,0,0]
	v_dual_mul_f32 v140, v139, v129 :: v_dual_mov_b32 v136, v139
	s_delay_alu instid0(VALU_DEP_2) | instskip(NEXT) | instid1(VALU_DEP_2)
	v_dual_mov_b32 v143, v137 :: v_dual_mov_b32 v137, v138
	v_pk_fma_f32 v[140:141], v[138:139], v[106:107], v[140:141] op_sel_hi:[1,1,0] neg_lo:[0,0,1] neg_hi:[0,0,1]
	v_mul_f32_e32 v138, v139, v126
	s_delay_alu instid0(VALU_DEP_3) | instskip(NEXT) | instid1(VALU_DEP_2)
	v_pk_add_f32 v[68:69], v[68:69], v[142:143] neg_lo:[0,1] neg_hi:[0,1]
	v_pk_fma_f32 v[136:137], v[136:137], v[106:107], v[138:139] op_sel_hi:[1,1,0]
	s_delay_alu instid0(VALU_DEP_1) | instskip(SKIP_4) | instid1(VALU_DEP_1)
	v_mov_b32_e32 v141, v137
	ds_load_2addr_b64 v[136:139], v130 offset0:35 offset1:36
	v_pk_add_f32 v[70:71], v[70:71], v[140:141] neg_lo:[0,1] neg_hi:[0,1]
	s_wait_dscnt 0x0
	v_pk_mul_f32 v[140:141], v[136:137], v[128:129] op_sel:[0,1]
	v_pk_fma_f32 v[142:143], v[136:137], v[126:127], v[140:141] op_sel:[0,0,1] op_sel_hi:[1,1,0] neg_lo:[0,0,1] neg_hi:[0,0,1]
	v_pk_fma_f32 v[136:137], v[136:137], v[126:127], v[140:141] op_sel:[0,0,1] op_sel_hi:[1,0,0]
	s_delay_alu instid0(VALU_DEP_1) | instskip(SKIP_1) | instid1(VALU_DEP_1)
	v_mov_b32_e32 v143, v137
	v_pk_mul_f32 v[136:137], v[138:139], v[128:129] op_sel:[0,1]
	v_pk_fma_f32 v[140:141], v[138:139], v[126:127], v[136:137] op_sel:[0,0,1] op_sel_hi:[1,1,0] neg_lo:[0,0,1] neg_hi:[0,0,1]
	v_pk_fma_f32 v[136:137], v[138:139], v[126:127], v[136:137] op_sel:[0,0,1] op_sel_hi:[1,0,0]
	s_delay_alu instid0(VALU_DEP_1)
	v_mov_b32_e32 v141, v137
	ds_load_2addr_b64 v[136:139], v130 offset0:37 offset1:38
	v_pk_add_f32 v[20:21], v[20:21], v[142:143] neg_lo:[0,1] neg_hi:[0,1]
	v_pk_add_f32 v[66:67], v[66:67], v[140:141] neg_lo:[0,1] neg_hi:[0,1]
	s_wait_dscnt 0x0
	v_pk_mul_f32 v[140:141], v[136:137], v[128:129] op_sel:[0,1]
	s_delay_alu instid0(VALU_DEP_1) | instskip(SKIP_1) | instid1(VALU_DEP_1)
	v_pk_fma_f32 v[142:143], v[136:137], v[126:127], v[140:141] op_sel:[0,0,1] op_sel_hi:[1,1,0] neg_lo:[0,0,1] neg_hi:[0,0,1]
	v_pk_fma_f32 v[136:137], v[136:137], v[126:127], v[140:141] op_sel:[0,0,1] op_sel_hi:[1,0,0]
	v_mov_b32_e32 v143, v137
	v_pk_mul_f32 v[136:137], v[138:139], v[128:129] op_sel:[0,1]
	s_delay_alu instid0(VALU_DEP_1) | instskip(SKIP_1) | instid1(VALU_DEP_1)
	v_pk_fma_f32 v[140:141], v[138:139], v[126:127], v[136:137] op_sel:[0,0,1] op_sel_hi:[1,1,0] neg_lo:[0,0,1] neg_hi:[0,0,1]
	v_pk_fma_f32 v[136:137], v[138:139], v[126:127], v[136:137] op_sel:[0,0,1] op_sel_hi:[1,0,0]
	v_mov_b32_e32 v141, v137
	ds_load_2addr_b64 v[136:139], v130 offset0:39 offset1:40
	v_pk_add_f32 v[62:63], v[62:63], v[142:143] neg_lo:[0,1] neg_hi:[0,1]
	v_pk_add_f32 v[64:65], v[64:65], v[140:141] neg_lo:[0,1] neg_hi:[0,1]
	s_wait_dscnt 0x0
	v_dual_mul_f32 v140, v137, v129 :: v_dual_mul_f32 v142, v137, v126
	s_delay_alu instid0(VALU_DEP_1) | instskip(NEXT) | instid1(VALU_DEP_2)
	v_pk_fma_f32 v[140:141], v[136:137], v[106:107], v[140:141] op_sel_hi:[1,1,0] neg_lo:[0,0,1] neg_hi:[0,0,1]
	v_pk_fma_f32 v[136:137], v[136:137], v[106:107], v[142:143] op_sel:[1,0,0] op_sel_hi:[0,1,0]
	s_delay_alu instid0(VALU_DEP_1) | instskip(SKIP_1) | instid1(VALU_DEP_2)
	v_mov_b32_e32 v141, v137
	v_pk_mul_f32 v[136:137], v[138:139], v[128:129] op_sel:[0,1]
	v_pk_add_f32 v[18:19], v[18:19], v[140:141] neg_lo:[0,1] neg_hi:[0,1]
	s_delay_alu instid0(VALU_DEP_2) | instskip(SKIP_1) | instid1(VALU_DEP_1)
	v_pk_fma_f32 v[140:141], v[138:139], v[126:127], v[136:137] op_sel:[0,0,1] op_sel_hi:[1,1,0] neg_lo:[0,0,1] neg_hi:[0,0,1]
	v_pk_fma_f32 v[136:137], v[138:139], v[126:127], v[136:137] op_sel:[0,0,1] op_sel_hi:[1,0,0]
	v_mov_b32_e32 v141, v137
	ds_load_2addr_b64 v[136:139], v130 offset0:41 offset1:42
	v_pk_add_f32 v[60:61], v[60:61], v[140:141] neg_lo:[0,1] neg_hi:[0,1]
	s_wait_dscnt 0x0
	v_pk_mul_f32 v[140:141], v[136:137], v[128:129] op_sel:[0,1]
	s_delay_alu instid0(VALU_DEP_1) | instskip(SKIP_1) | instid1(VALU_DEP_1)
	v_pk_fma_f32 v[142:143], v[136:137], v[126:127], v[140:141] op_sel:[0,0,1] op_sel_hi:[1,1,0] neg_lo:[0,0,1] neg_hi:[0,0,1]
	v_pk_fma_f32 v[136:137], v[136:137], v[126:127], v[140:141] op_sel:[0,0,1] op_sel_hi:[1,0,0]
	v_mov_b32_e32 v143, v137
	v_pk_mul_f32 v[136:137], v[138:139], v[128:129] op_sel:[0,1]
	s_delay_alu instid0(VALU_DEP_2) | instskip(NEXT) | instid1(VALU_DEP_2)
	v_pk_add_f32 v[56:57], v[56:57], v[142:143] neg_lo:[0,1] neg_hi:[0,1]
	v_pk_fma_f32 v[140:141], v[138:139], v[126:127], v[136:137] op_sel:[0,0,1] op_sel_hi:[1,1,0] neg_lo:[0,0,1] neg_hi:[0,0,1]
	v_pk_fma_f32 v[136:137], v[138:139], v[126:127], v[136:137] op_sel:[0,0,1] op_sel_hi:[1,0,0]
	s_delay_alu instid0(VALU_DEP_1) | instskip(SKIP_4) | instid1(VALU_DEP_1)
	v_mov_b32_e32 v141, v137
	ds_load_2addr_b64 v[136:139], v130 offset0:43 offset1:44
	v_pk_add_f32 v[58:59], v[58:59], v[140:141] neg_lo:[0,1] neg_hi:[0,1]
	s_wait_dscnt 0x0
	v_pk_mul_f32 v[140:141], v[136:137], v[128:129] op_sel:[0,1]
	v_pk_fma_f32 v[142:143], v[136:137], v[126:127], v[140:141] op_sel:[0,0,1] op_sel_hi:[1,1,0] neg_lo:[0,0,1] neg_hi:[0,0,1]
	v_pk_fma_f32 v[136:137], v[136:137], v[126:127], v[140:141] op_sel:[0,0,1] op_sel_hi:[1,0,0]
	v_dual_mul_f32 v140, v139, v129 :: v_dual_mov_b32 v136, v139
	s_delay_alu instid0(VALU_DEP_2) | instskip(NEXT) | instid1(VALU_DEP_2)
	v_dual_mov_b32 v143, v137 :: v_dual_mov_b32 v137, v138
	v_pk_fma_f32 v[140:141], v[138:139], v[106:107], v[140:141] op_sel_hi:[1,1,0] neg_lo:[0,0,1] neg_hi:[0,0,1]
	v_mul_f32_e32 v138, v139, v126
	s_delay_alu instid0(VALU_DEP_3) | instskip(NEXT) | instid1(VALU_DEP_2)
	v_pk_add_f32 v[12:13], v[12:13], v[142:143] neg_lo:[0,1] neg_hi:[0,1]
	v_pk_fma_f32 v[136:137], v[136:137], v[106:107], v[138:139] op_sel_hi:[1,1,0]
	s_delay_alu instid0(VALU_DEP_1) | instskip(SKIP_4) | instid1(VALU_DEP_1)
	v_mov_b32_e32 v141, v137
	ds_load_2addr_b64 v[136:139], v130 offset0:45 offset1:46
	v_pk_add_f32 v[54:55], v[54:55], v[140:141] neg_lo:[0,1] neg_hi:[0,1]
	s_wait_dscnt 0x0
	v_pk_mul_f32 v[140:141], v[136:137], v[128:129] op_sel:[0,1]
	v_pk_fma_f32 v[142:143], v[136:137], v[126:127], v[140:141] op_sel:[0,0,1] op_sel_hi:[1,1,0] neg_lo:[0,0,1] neg_hi:[0,0,1]
	v_pk_fma_f32 v[136:137], v[136:137], v[126:127], v[140:141] op_sel:[0,0,1] op_sel_hi:[1,0,0]
	s_delay_alu instid0(VALU_DEP_1) | instskip(SKIP_1) | instid1(VALU_DEP_1)
	v_mov_b32_e32 v143, v137
	v_pk_mul_f32 v[136:137], v[138:139], v[128:129] op_sel:[0,1]
	v_pk_fma_f32 v[140:141], v[138:139], v[126:127], v[136:137] op_sel:[0,0,1] op_sel_hi:[1,1,0] neg_lo:[0,0,1] neg_hi:[0,0,1]
	v_pk_fma_f32 v[136:137], v[138:139], v[126:127], v[136:137] op_sel:[0,0,1] op_sel_hi:[1,0,0]
	s_delay_alu instid0(VALU_DEP_1)
	v_mov_b32_e32 v141, v137
	ds_load_2addr_b64 v[136:139], v130 offset0:47 offset1:48
	v_pk_add_f32 v[50:51], v[50:51], v[142:143] neg_lo:[0,1] neg_hi:[0,1]
	v_pk_add_f32 v[52:53], v[52:53], v[140:141] neg_lo:[0,1] neg_hi:[0,1]
	s_wait_dscnt 0x0
	v_pk_mul_f32 v[140:141], v[136:137], v[128:129] op_sel:[0,1]
	s_delay_alu instid0(VALU_DEP_1) | instskip(SKIP_1) | instid1(VALU_DEP_1)
	v_pk_fma_f32 v[142:143], v[136:137], v[126:127], v[140:141] op_sel:[0,0,1] op_sel_hi:[1,1,0] neg_lo:[0,0,1] neg_hi:[0,0,1]
	v_pk_fma_f32 v[136:137], v[136:137], v[126:127], v[140:141] op_sel:[0,0,1] op_sel_hi:[1,0,0]
	v_mov_b32_e32 v143, v137
	v_pk_mul_f32 v[136:137], v[138:139], v[128:129] op_sel:[0,1]
	s_delay_alu instid0(VALU_DEP_1) | instskip(SKIP_1) | instid1(VALU_DEP_1)
	v_pk_fma_f32 v[140:141], v[138:139], v[126:127], v[136:137] op_sel:[0,0,1] op_sel_hi:[1,1,0] neg_lo:[0,0,1] neg_hi:[0,0,1]
	v_pk_fma_f32 v[136:137], v[138:139], v[126:127], v[136:137] op_sel:[0,0,1] op_sel_hi:[1,0,0]
	v_mov_b32_e32 v141, v137
	ds_load_2addr_b64 v[136:139], v130 offset0:49 offset1:50
	v_pk_add_f32 v[10:11], v[10:11], v[142:143] neg_lo:[0,1] neg_hi:[0,1]
	v_pk_add_f32 v[46:47], v[46:47], v[140:141] neg_lo:[0,1] neg_hi:[0,1]
	s_wait_dscnt 0x0
	v_dual_mul_f32 v140, v137, v129 :: v_dual_mul_f32 v142, v137, v126
	s_delay_alu instid0(VALU_DEP_1) | instskip(NEXT) | instid1(VALU_DEP_2)
	v_pk_fma_f32 v[140:141], v[136:137], v[106:107], v[140:141] op_sel_hi:[1,1,0] neg_lo:[0,0,1] neg_hi:[0,0,1]
	v_pk_fma_f32 v[136:137], v[136:137], v[106:107], v[142:143] op_sel:[1,0,0] op_sel_hi:[0,1,0]
	s_delay_alu instid0(VALU_DEP_1) | instskip(SKIP_1) | instid1(VALU_DEP_2)
	v_mov_b32_e32 v141, v137
	v_pk_mul_f32 v[136:137], v[138:139], v[128:129] op_sel:[0,1]
	v_pk_add_f32 v[44:45], v[44:45], v[140:141] neg_lo:[0,1] neg_hi:[0,1]
	s_delay_alu instid0(VALU_DEP_2) | instskip(SKIP_1) | instid1(VALU_DEP_1)
	v_pk_fma_f32 v[140:141], v[138:139], v[126:127], v[136:137] op_sel:[0,0,1] op_sel_hi:[1,1,0] neg_lo:[0,0,1] neg_hi:[0,0,1]
	v_pk_fma_f32 v[136:137], v[138:139], v[126:127], v[136:137] op_sel:[0,0,1] op_sel_hi:[1,0,0]
	v_mov_b32_e32 v141, v137
	ds_load_2addr_b64 v[136:139], v130 offset0:51 offset1:52
	v_pk_add_f32 v[48:49], v[48:49], v[140:141] neg_lo:[0,1] neg_hi:[0,1]
	s_wait_dscnt 0x0
	v_pk_mul_f32 v[140:141], v[136:137], v[128:129] op_sel:[0,1]
	s_delay_alu instid0(VALU_DEP_1) | instskip(SKIP_1) | instid1(VALU_DEP_1)
	v_pk_fma_f32 v[142:143], v[136:137], v[126:127], v[140:141] op_sel:[0,0,1] op_sel_hi:[1,1,0] neg_lo:[0,0,1] neg_hi:[0,0,1]
	v_pk_fma_f32 v[136:137], v[136:137], v[126:127], v[140:141] op_sel:[0,0,1] op_sel_hi:[1,0,0]
	v_mov_b32_e32 v143, v137
	v_pk_mul_f32 v[136:137], v[138:139], v[128:129] op_sel:[0,1]
	s_delay_alu instid0(VALU_DEP_2) | instskip(NEXT) | instid1(VALU_DEP_2)
	v_pk_add_f32 v[8:9], v[8:9], v[142:143] neg_lo:[0,1] neg_hi:[0,1]
	v_pk_fma_f32 v[140:141], v[138:139], v[126:127], v[136:137] op_sel:[0,0,1] op_sel_hi:[1,1,0] neg_lo:[0,0,1] neg_hi:[0,0,1]
	v_pk_fma_f32 v[136:137], v[138:139], v[126:127], v[136:137] op_sel:[0,0,1] op_sel_hi:[1,0,0]
	s_delay_alu instid0(VALU_DEP_1) | instskip(SKIP_4) | instid1(VALU_DEP_1)
	v_mov_b32_e32 v141, v137
	ds_load_2addr_b64 v[136:139], v130 offset0:53 offset1:54
	v_pk_add_f32 v[34:35], v[34:35], v[140:141] neg_lo:[0,1] neg_hi:[0,1]
	s_wait_dscnt 0x0
	v_pk_mul_f32 v[140:141], v[136:137], v[128:129] op_sel:[0,1]
	v_pk_fma_f32 v[142:143], v[136:137], v[126:127], v[140:141] op_sel:[0,0,1] op_sel_hi:[1,1,0] neg_lo:[0,0,1] neg_hi:[0,0,1]
	v_pk_fma_f32 v[136:137], v[136:137], v[126:127], v[140:141] op_sel:[0,0,1] op_sel_hi:[1,0,0]
	v_dual_mul_f32 v140, v139, v129 :: v_dual_mov_b32 v136, v139
	s_delay_alu instid0(VALU_DEP_2) | instskip(NEXT) | instid1(VALU_DEP_2)
	v_dual_mov_b32 v143, v137 :: v_dual_mov_b32 v137, v138
	v_pk_fma_f32 v[140:141], v[138:139], v[106:107], v[140:141] op_sel_hi:[1,1,0] neg_lo:[0,0,1] neg_hi:[0,0,1]
	v_mul_f32_e32 v138, v139, v126
	s_delay_alu instid0(VALU_DEP_3) | instskip(NEXT) | instid1(VALU_DEP_2)
	v_pk_add_f32 v[28:29], v[28:29], v[142:143] neg_lo:[0,1] neg_hi:[0,1]
	v_pk_fma_f32 v[136:137], v[136:137], v[106:107], v[138:139] op_sel_hi:[1,1,0]
	s_delay_alu instid0(VALU_DEP_1) | instskip(SKIP_4) | instid1(VALU_DEP_1)
	v_mov_b32_e32 v141, v137
	ds_load_2addr_b64 v[136:139], v130 offset0:55 offset1:56
	v_pk_add_f32 v[32:33], v[32:33], v[140:141] neg_lo:[0,1] neg_hi:[0,1]
	s_wait_dscnt 0x0
	v_pk_mul_f32 v[140:141], v[136:137], v[128:129] op_sel:[0,1]
	v_pk_fma_f32 v[142:143], v[136:137], v[126:127], v[140:141] op_sel:[0,0,1] op_sel_hi:[1,1,0] neg_lo:[0,0,1] neg_hi:[0,0,1]
	v_pk_fma_f32 v[136:137], v[136:137], v[126:127], v[140:141] op_sel:[0,0,1] op_sel_hi:[1,0,0]
	s_delay_alu instid0(VALU_DEP_1) | instskip(SKIP_1) | instid1(VALU_DEP_1)
	v_mov_b32_e32 v143, v137
	v_pk_mul_f32 v[136:137], v[138:139], v[128:129] op_sel:[0,1]
	v_pk_fma_f32 v[140:141], v[138:139], v[126:127], v[136:137] op_sel:[0,0,1] op_sel_hi:[1,1,0] neg_lo:[0,0,1] neg_hi:[0,0,1]
	v_pk_fma_f32 v[136:137], v[138:139], v[126:127], v[136:137] op_sel:[0,0,1] op_sel_hi:[1,0,0]
	s_delay_alu instid0(VALU_DEP_1)
	v_mov_b32_e32 v141, v137
	ds_load_2addr_b64 v[136:139], v130 offset0:57 offset1:58
	v_pk_add_f32 v[6:7], v[6:7], v[142:143] neg_lo:[0,1] neg_hi:[0,1]
	v_pk_add_f32 v[26:27], v[26:27], v[140:141] neg_lo:[0,1] neg_hi:[0,1]
	s_wait_dscnt 0x0
	v_pk_mul_f32 v[140:141], v[136:137], v[128:129] op_sel:[0,1]
	s_delay_alu instid0(VALU_DEP_1) | instskip(SKIP_1) | instid1(VALU_DEP_1)
	v_pk_fma_f32 v[142:143], v[136:137], v[126:127], v[140:141] op_sel:[0,0,1] op_sel_hi:[1,1,0] neg_lo:[0,0,1] neg_hi:[0,0,1]
	v_pk_fma_f32 v[136:137], v[136:137], v[126:127], v[140:141] op_sel:[0,0,1] op_sel_hi:[1,0,0]
	v_mov_b32_e32 v143, v137
	v_pk_mul_f32 v[136:137], v[138:139], v[128:129] op_sel:[0,1]
	s_delay_alu instid0(VALU_DEP_1) | instskip(SKIP_1) | instid1(VALU_DEP_1)
	v_pk_fma_f32 v[140:141], v[138:139], v[126:127], v[136:137] op_sel:[0,0,1] op_sel_hi:[1,1,0] neg_lo:[0,0,1] neg_hi:[0,0,1]
	v_pk_fma_f32 v[136:137], v[138:139], v[126:127], v[136:137] op_sel:[0,0,1] op_sel_hi:[1,0,0]
	v_mov_b32_e32 v141, v137
	ds_load_b64 v[136:137], v130 offset:472
	v_pk_add_f32 v[16:17], v[16:17], v[142:143] neg_lo:[0,1] neg_hi:[0,1]
	v_pk_add_f32 v[14:15], v[14:15], v[140:141] neg_lo:[0,1] neg_hi:[0,1]
	s_wait_dscnt 0x0
	v_pk_mul_f32 v[128:129], v[136:137], v[128:129] op_sel:[0,1]
	s_delay_alu instid0(VALU_DEP_1) | instskip(SKIP_1) | instid1(VALU_DEP_1)
	v_pk_fma_f32 v[138:139], v[136:137], v[126:127], v[128:129] op_sel:[0,0,1] op_sel_hi:[1,1,0] neg_lo:[0,0,1] neg_hi:[0,0,1]
	v_pk_fma_f32 v[126:127], v[136:137], v[126:127], v[128:129] op_sel:[0,0,1] op_sel_hi:[1,0,0]
	v_mov_b32_e32 v139, v127
	s_delay_alu instid0(VALU_DEP_1)
	v_pk_add_f32 v[124:125], v[124:125], v[138:139] neg_lo:[0,1] neg_hi:[0,1]
.LBB118_230:
	s_or_b32 exec_lo, exec_lo, s0
	v_lshl_add_u32 v126, v134, 3, v130
	s_barrier_signal -1
	s_barrier_wait -1
	ds_store_b64 v126, v[40:41]
	s_wait_dscnt 0x0
	s_barrier_signal -1
	s_barrier_wait -1
	ds_load_b64 v[128:129], v130 offset:88
	v_mov_b32_e32 v126, 11
	s_cmp_lt_i32 s18, 13
	s_cbranch_scc1 .LBB118_233
; %bb.231:
	v_add3_u32 v127, v131, 0, 0x60
	v_mov_b32_e32 v126, 11
	s_mov_b32 s0, 12
.LBB118_232:                            ; =>This Inner Loop Header: Depth=1
	ds_load_b64 v[136:137], v127
	s_wait_dscnt 0x1
	v_cmp_gt_f32_e32 vcc_lo, 0, v128
	v_cndmask_b32_e64 v138, v128, -v128, vcc_lo
	v_cmp_gt_f32_e32 vcc_lo, 0, v129
	v_cndmask_b32_e64 v140, v129, -v129, vcc_lo
	s_wait_dscnt 0x0
	v_cmp_gt_f32_e32 vcc_lo, 0, v136
	v_cndmask_b32_e64 v139, v136, -v136, vcc_lo
	v_cmp_gt_f32_e32 vcc_lo, 0, v137
	v_cndmask_b32_e64 v141, v137, -v137, vcc_lo
	s_delay_alu instid0(VALU_DEP_1) | instskip(NEXT) | instid1(VALU_DEP_1)
	v_pk_add_f32 v[138:139], v[138:139], v[140:141]
	v_cmp_lt_f32_e32 vcc_lo, v138, v139
	v_dual_add_nc_u32 v127, 8, v127 :: v_dual_cndmask_b32 v129, v129, v137, vcc_lo
	v_cndmask_b32_e32 v128, v128, v136, vcc_lo
	v_cndmask_b32_e64 v126, v126, s0, vcc_lo
	s_add_co_i32 s0, s0, 1
	s_delay_alu instid0(SALU_CYCLE_1)
	s_cmp_lg_u32 s18, s0
	s_cbranch_scc1 .LBB118_232
.LBB118_233:
	s_wait_dscnt 0x0
	v_cmp_eq_f32_e32 vcc_lo, 0, v128
	v_cmp_eq_f32_e64 s0, 0, v129
	s_and_b32 s0, vcc_lo, s0
	s_delay_alu instid0(SALU_CYCLE_1) | instskip(NEXT) | instid1(SALU_CYCLE_1)
	s_and_saveexec_b32 s1, s0
	s_xor_b32 s0, exec_lo, s1
; %bb.234:
	v_cmp_ne_u32_e32 vcc_lo, 0, v132
	v_cndmask_b32_e32 v132, 12, v132, vcc_lo
; %bb.235:
	s_and_not1_saveexec_b32 s0, s0
	s_cbranch_execz .LBB118_241
; %bb.236:
	v_cmp_ngt_f32_e64 s1, |v128|, |v129|
	s_and_saveexec_b32 s12, s1
	s_delay_alu instid0(SALU_CYCLE_1)
	s_xor_b32 s1, exec_lo, s12
	s_cbranch_execz .LBB118_238
; %bb.237:
	v_div_scale_f32 v127, null, v129, v129, v128
	v_div_scale_f32 v137, vcc_lo, v128, v129, v128
	s_delay_alu instid0(VALU_DEP_2) | instskip(SKIP_1) | instid1(TRANS32_DEP_1)
	v_rcp_f32_e32 v135, v127
	v_nop
	v_fma_f32 v136, -v127, v135, 1.0
	s_delay_alu instid0(VALU_DEP_1) | instskip(NEXT) | instid1(VALU_DEP_1)
	v_fmac_f32_e32 v135, v136, v135
	v_mul_f32_e32 v136, v137, v135
	s_delay_alu instid0(VALU_DEP_1) | instskip(NEXT) | instid1(VALU_DEP_1)
	v_fma_f32 v138, -v127, v136, v137
	v_fmac_f32_e32 v136, v138, v135
	s_delay_alu instid0(VALU_DEP_1) | instskip(NEXT) | instid1(VALU_DEP_1)
	v_fma_f32 v127, -v127, v136, v137
	v_div_fmas_f32 v127, v127, v135, v136
	s_delay_alu instid0(VALU_DEP_1) | instskip(NEXT) | instid1(VALU_DEP_1)
	v_div_fixup_f32 v127, v127, v129, v128
	v_fmac_f32_e32 v129, v128, v127
	s_delay_alu instid0(VALU_DEP_1) | instskip(SKIP_1) | instid1(VALU_DEP_2)
	v_div_scale_f32 v128, null, v129, v129, 1.0
	v_div_scale_f32 v137, vcc_lo, 1.0, v129, 1.0
	v_rcp_f32_e32 v135, v128
	v_nop
	s_delay_alu instid0(TRANS32_DEP_1) | instskip(NEXT) | instid1(VALU_DEP_1)
	v_fma_f32 v136, -v128, v135, 1.0
	v_fmac_f32_e32 v135, v136, v135
	s_delay_alu instid0(VALU_DEP_1) | instskip(NEXT) | instid1(VALU_DEP_1)
	v_mul_f32_e32 v136, v137, v135
	v_fma_f32 v138, -v128, v136, v137
	s_delay_alu instid0(VALU_DEP_1) | instskip(NEXT) | instid1(VALU_DEP_1)
	v_fmac_f32_e32 v136, v138, v135
	v_fma_f32 v128, -v128, v136, v137
	s_delay_alu instid0(VALU_DEP_1) | instskip(NEXT) | instid1(VALU_DEP_1)
	v_div_fmas_f32 v128, v128, v135, v136
	v_div_fixup_f32 v129, v128, v129, 1.0
	s_delay_alu instid0(VALU_DEP_1)
	v_mul_f32_e32 v128, v127, v129
	v_xor_b32_e32 v129, 0x80000000, v129
.LBB118_238:
	s_and_not1_saveexec_b32 s1, s1
	s_cbranch_execz .LBB118_240
; %bb.239:
	s_delay_alu instid0(VALU_DEP_1) | instskip(SKIP_1) | instid1(VALU_DEP_2)
	v_div_scale_f32 v127, null, v128, v128, v129
	v_div_scale_f32 v137, vcc_lo, v129, v128, v129
	v_rcp_f32_e32 v135, v127
	v_nop
	s_delay_alu instid0(TRANS32_DEP_1) | instskip(NEXT) | instid1(VALU_DEP_1)
	v_fma_f32 v136, -v127, v135, 1.0
	v_fmac_f32_e32 v135, v136, v135
	s_delay_alu instid0(VALU_DEP_1) | instskip(NEXT) | instid1(VALU_DEP_1)
	v_mul_f32_e32 v136, v137, v135
	v_fma_f32 v138, -v127, v136, v137
	s_delay_alu instid0(VALU_DEP_1) | instskip(NEXT) | instid1(VALU_DEP_1)
	v_fmac_f32_e32 v136, v138, v135
	v_fma_f32 v127, -v127, v136, v137
	s_delay_alu instid0(VALU_DEP_1) | instskip(NEXT) | instid1(VALU_DEP_1)
	v_div_fmas_f32 v127, v127, v135, v136
	v_div_fixup_f32 v127, v127, v128, v129
	s_delay_alu instid0(VALU_DEP_1) | instskip(NEXT) | instid1(VALU_DEP_1)
	v_fmac_f32_e32 v128, v129, v127
	v_div_scale_f32 v129, null, v128, v128, 1.0
	s_delay_alu instid0(VALU_DEP_1) | instskip(SKIP_1) | instid1(TRANS32_DEP_1)
	v_rcp_f32_e32 v135, v129
	v_nop
	v_fma_f32 v136, -v129, v135, 1.0
	s_delay_alu instid0(VALU_DEP_1) | instskip(SKIP_1) | instid1(VALU_DEP_1)
	v_fmac_f32_e32 v135, v136, v135
	v_div_scale_f32 v136, vcc_lo, 1.0, v128, 1.0
	v_mul_f32_e32 v137, v136, v135
	s_delay_alu instid0(VALU_DEP_1) | instskip(NEXT) | instid1(VALU_DEP_1)
	v_fma_f32 v138, -v129, v137, v136
	v_fmac_f32_e32 v137, v138, v135
	s_delay_alu instid0(VALU_DEP_1) | instskip(NEXT) | instid1(VALU_DEP_1)
	v_fma_f32 v129, -v129, v137, v136
	v_div_fmas_f32 v129, v129, v135, v137
	s_delay_alu instid0(VALU_DEP_1) | instskip(NEXT) | instid1(VALU_DEP_1)
	v_div_fixup_f32 v128, v129, v128, 1.0
	v_mul_f32_e64 v129, v127, -v128
.LBB118_240:
	s_or_b32 exec_lo, exec_lo, s1
.LBB118_241:
	s_delay_alu instid0(SALU_CYCLE_1) | instskip(NEXT) | instid1(SALU_CYCLE_1)
	s_or_b32 exec_lo, exec_lo, s0
	s_mov_b32 s0, exec_lo
	v_cmpx_ne_u32_e64 v134, v126
	s_xor_b32 s0, exec_lo, s0
	s_cbranch_execz .LBB118_247
; %bb.242:
	s_mov_b32 s1, exec_lo
	v_cmpx_eq_u32_e32 11, v134
	s_cbranch_execz .LBB118_246
; %bb.243:
	v_cmp_ne_u32_e32 vcc_lo, 11, v126
	s_xor_b32 s12, s16, -1
	s_delay_alu instid0(SALU_CYCLE_1) | instskip(NEXT) | instid1(SALU_CYCLE_1)
	s_and_b32 s13, s12, vcc_lo
	s_and_saveexec_b32 s12, s13
	s_cbranch_execz .LBB118_245
; %bb.244:
	v_ashrrev_i32_e32 v127, 31, v126
	s_delay_alu instid0(VALU_DEP_1)
	v_lshl_add_u64 v[134:135], v[126:127], 2, v[4:5]
	s_clause 0x1
	global_load_b32 v127, v[134:135], off
	global_load_b32 v133, v[4:5], off offset:44
	s_wait_loadcnt 0x1
	global_store_b32 v[4:5], v127, off offset:44
	s_wait_loadcnt 0x0
	global_store_b32 v[134:135], v133, off
.LBB118_245:
	s_wait_xcnt 0x0
	s_or_b32 exec_lo, exec_lo, s12
	v_dual_mov_b32 v134, v126 :: v_dual_mov_b32 v133, v126
.LBB118_246:
	s_or_b32 exec_lo, exec_lo, s1
.LBB118_247:
	s_and_not1_saveexec_b32 s0, s0
	s_cbranch_execz .LBB118_249
; %bb.248:
	v_dual_mov_b32 v126, v102 :: v_dual_mov_b32 v127, v103
	v_dual_mov_b32 v134, v98 :: v_dual_mov_b32 v135, v99
	;; [unrolled: 1-line block ×4, first 2 shown]
	ds_store_2addr_b64 v130, v[126:127], v[134:135] offset0:12 offset1:13
	ds_store_2addr_b64 v130, v[136:137], v[138:139] offset0:14 offset1:15
	v_dual_mov_b32 v126, v96 :: v_dual_mov_b32 v127, v97
	v_dual_mov_b32 v134, v92 :: v_dual_mov_b32 v135, v93
	v_dual_mov_b32 v136, v94 :: v_dual_mov_b32 v137, v95
	v_dual_mov_b32 v138, v36 :: v_dual_mov_b32 v139, v37
	v_dual_mov_b32 v140, v90 :: v_dual_mov_b32 v141, v91
	v_dual_mov_b32 v142, v86 :: v_dual_mov_b32 v143, v87
	v_dual_mov_b32 v144, v88 :: v_dual_mov_b32 v145, v89
	v_dual_mov_b32 v146, v30 :: v_dual_mov_b32 v147, v31
	v_dual_mov_b32 v148, v84 :: v_dual_mov_b32 v149, v85
	v_dual_mov_b32 v150, v80 :: v_dual_mov_b32 v151, v81
	v_dual_mov_b32 v152, v82 :: v_dual_mov_b32 v153, v83
	v_dual_mov_b32 v154, v24 :: v_dual_mov_b32 v155, v25
	ds_store_2addr_b64 v130, v[126:127], v[134:135] offset0:16 offset1:17
	ds_store_2addr_b64 v130, v[136:137], v[138:139] offset0:18 offset1:19
	ds_store_2addr_b64 v130, v[140:141], v[142:143] offset0:20 offset1:21
	ds_store_2addr_b64 v130, v[144:145], v[146:147] offset0:22 offset1:23
	ds_store_2addr_b64 v130, v[148:149], v[150:151] offset0:24 offset1:25
	ds_store_2addr_b64 v130, v[152:153], v[154:155] offset0:26 offset1:27
	v_dual_mov_b32 v126, v78 :: v_dual_mov_b32 v127, v79
	v_dual_mov_b32 v134, v74 :: v_dual_mov_b32 v135, v75
	v_dual_mov_b32 v136, v76 :: v_dual_mov_b32 v137, v77
	v_dual_mov_b32 v138, v22 :: v_dual_mov_b32 v139, v23
	v_dual_mov_b32 v140, v72 :: v_dual_mov_b32 v141, v73
	v_dual_mov_b32 v142, v68 :: v_dual_mov_b32 v143, v69
	v_dual_mov_b32 v144, v70 :: v_dual_mov_b32 v145, v71
	v_dual_mov_b32 v146, v20 :: v_dual_mov_b32 v147, v21
	v_dual_mov_b32 v148, v66 :: v_dual_mov_b32 v149, v67
	v_dual_mov_b32 v150, v62 :: v_dual_mov_b32 v151, v63
	v_dual_mov_b32 v152, v64 :: v_dual_mov_b32 v153, v65
	v_dual_mov_b32 v154, v18 :: v_dual_mov_b32 v155, v19
	ds_store_2addr_b64 v130, v[126:127], v[134:135] offset0:28 offset1:29
	ds_store_2addr_b64 v130, v[136:137], v[138:139] offset0:30 offset1:31
	ds_store_2addr_b64 v130, v[140:141], v[142:143] offset0:32 offset1:33
	ds_store_2addr_b64 v130, v[144:145], v[146:147] offset0:34 offset1:35
	;; [unrolled: 18-line block ×3, first 2 shown]
	ds_store_2addr_b64 v130, v[148:149], v[150:151] offset0:48 offset1:49
	ds_store_2addr_b64 v130, v[152:153], v[154:155] offset0:50 offset1:51
	v_dual_mov_b32 v126, v34 :: v_dual_mov_b32 v127, v35
	v_dual_mov_b32 v136, v28 :: v_dual_mov_b32 v137, v29
	;; [unrolled: 1-line block ×7, first 2 shown]
	v_mov_b32_e32 v147, v15
	ds_store_2addr_b64 v130, v[126:127], v[136:137] offset0:52 offset1:53
	ds_store_2addr_b64 v130, v[138:139], v[140:141] offset0:54 offset1:55
	;; [unrolled: 1-line block ×4, first 2 shown]
.LBB118_249:
	s_or_b32 exec_lo, exec_lo, s0
	s_delay_alu instid0(SALU_CYCLE_1)
	s_mov_b32 s0, exec_lo
	s_wait_storecnt_dscnt 0x0
	s_barrier_signal -1
	s_barrier_wait -1
	v_cmpx_lt_i32_e32 11, v134
	s_cbranch_execz .LBB118_251
; %bb.250:
	v_pk_mul_f32 v[136:137], v[128:129], v[40:41] op_sel:[1,1] op_sel_hi:[0,1]
	s_delay_alu instid0(VALU_DEP_1)
	v_pk_fma_f32 v[126:127], v[128:129], v[40:41], v[136:137] op_sel_hi:[1,0,1] neg_lo:[0,0,1] neg_hi:[0,0,1]
	v_pk_fma_f32 v[128:129], v[128:129], v[40:41], v[136:137] op_sel_hi:[1,0,1]
	ds_load_2addr_b64 v[136:139], v130 offset0:12 offset1:13
	v_dual_mov_b32 v40, v126 :: v_dual_mov_b32 v41, v129
	s_wait_dscnt 0x0
	v_pk_mul_f32 v[140:141], v[136:137], v[128:129] op_sel:[0,1]
	s_delay_alu instid0(VALU_DEP_1) | instskip(SKIP_1) | instid1(VALU_DEP_1)
	v_pk_fma_f32 v[142:143], v[136:137], v[126:127], v[140:141] op_sel:[0,0,1] op_sel_hi:[1,1,0] neg_lo:[0,0,1] neg_hi:[0,0,1]
	v_pk_fma_f32 v[136:137], v[136:137], v[126:127], v[140:141] op_sel:[0,0,1] op_sel_hi:[1,0,0]
	v_mov_b32_e32 v143, v137
	v_pk_mul_f32 v[136:137], v[138:139], v[128:129] op_sel:[0,1]
	s_delay_alu instid0(VALU_DEP_1) | instskip(SKIP_1) | instid1(VALU_DEP_1)
	v_pk_fma_f32 v[140:141], v[138:139], v[126:127], v[136:137] op_sel:[0,0,1] op_sel_hi:[1,1,0] neg_lo:[0,0,1] neg_hi:[0,0,1]
	v_pk_fma_f32 v[136:137], v[138:139], v[126:127], v[136:137] op_sel:[0,0,1] op_sel_hi:[1,0,0]
	v_mov_b32_e32 v141, v137
	ds_load_2addr_b64 v[136:139], v130 offset0:14 offset1:15
	v_pk_add_f32 v[102:103], v[102:103], v[142:143] neg_lo:[0,1] neg_hi:[0,1]
	v_pk_add_f32 v[98:99], v[98:99], v[140:141] neg_lo:[0,1] neg_hi:[0,1]
	s_wait_dscnt 0x0
	v_pk_mul_f32 v[140:141], v[136:137], v[128:129] op_sel:[0,1]
	s_delay_alu instid0(VALU_DEP_1) | instskip(SKIP_2) | instid1(VALU_DEP_2)
	v_pk_fma_f32 v[142:143], v[136:137], v[126:127], v[140:141] op_sel:[0,0,1] op_sel_hi:[1,1,0] neg_lo:[0,0,1] neg_hi:[0,0,1]
	v_pk_fma_f32 v[136:137], v[136:137], v[126:127], v[140:141] op_sel:[0,0,1] op_sel_hi:[1,0,0]
	v_dual_mul_f32 v140, v139, v129 :: v_dual_mov_b32 v136, v139
	v_dual_mov_b32 v143, v137 :: v_dual_mov_b32 v137, v138
	s_delay_alu instid0(VALU_DEP_2) | instskip(SKIP_1) | instid1(VALU_DEP_3)
	v_pk_fma_f32 v[140:141], v[138:139], v[40:41], v[140:141] op_sel_hi:[1,1,0] neg_lo:[0,0,1] neg_hi:[0,0,1]
	v_mul_f32_e32 v138, v139, v126
	v_pk_add_f32 v[100:101], v[100:101], v[142:143] neg_lo:[0,1] neg_hi:[0,1]
	s_delay_alu instid0(VALU_DEP_2) | instskip(NEXT) | instid1(VALU_DEP_1)
	v_pk_fma_f32 v[136:137], v[136:137], v[40:41], v[138:139] op_sel_hi:[1,1,0]
	v_mov_b32_e32 v141, v137
	ds_load_2addr_b64 v[136:139], v130 offset0:16 offset1:17
	v_pk_add_f32 v[38:39], v[38:39], v[140:141] neg_lo:[0,1] neg_hi:[0,1]
	s_wait_dscnt 0x0
	v_pk_mul_f32 v[140:141], v[136:137], v[128:129] op_sel:[0,1]
	s_delay_alu instid0(VALU_DEP_1) | instskip(SKIP_1) | instid1(VALU_DEP_1)
	v_pk_fma_f32 v[142:143], v[136:137], v[126:127], v[140:141] op_sel:[0,0,1] op_sel_hi:[1,1,0] neg_lo:[0,0,1] neg_hi:[0,0,1]
	v_pk_fma_f32 v[136:137], v[136:137], v[126:127], v[140:141] op_sel:[0,0,1] op_sel_hi:[1,0,0]
	v_mov_b32_e32 v143, v137
	v_pk_mul_f32 v[136:137], v[138:139], v[128:129] op_sel:[0,1]
	s_delay_alu instid0(VALU_DEP_1) | instskip(SKIP_1) | instid1(VALU_DEP_1)
	v_pk_fma_f32 v[140:141], v[138:139], v[126:127], v[136:137] op_sel:[0,0,1] op_sel_hi:[1,1,0] neg_lo:[0,0,1] neg_hi:[0,0,1]
	v_pk_fma_f32 v[136:137], v[138:139], v[126:127], v[136:137] op_sel:[0,0,1] op_sel_hi:[1,0,0]
	v_mov_b32_e32 v141, v137
	ds_load_2addr_b64 v[136:139], v130 offset0:18 offset1:19
	v_pk_add_f32 v[96:97], v[96:97], v[142:143] neg_lo:[0,1] neg_hi:[0,1]
	v_pk_add_f32 v[92:93], v[92:93], v[140:141] neg_lo:[0,1] neg_hi:[0,1]
	s_wait_dscnt 0x0
	v_pk_mul_f32 v[140:141], v[136:137], v[128:129] op_sel:[0,1]
	s_delay_alu instid0(VALU_DEP_1) | instskip(SKIP_1) | instid1(VALU_DEP_1)
	v_pk_fma_f32 v[142:143], v[136:137], v[126:127], v[140:141] op_sel:[0,0,1] op_sel_hi:[1,1,0] neg_lo:[0,0,1] neg_hi:[0,0,1]
	v_pk_fma_f32 v[136:137], v[136:137], v[126:127], v[140:141] op_sel:[0,0,1] op_sel_hi:[1,0,0]
	v_mov_b32_e32 v143, v137
	v_pk_mul_f32 v[136:137], v[138:139], v[128:129] op_sel:[0,1]
	s_delay_alu instid0(VALU_DEP_1) | instskip(SKIP_1) | instid1(VALU_DEP_1)
	v_pk_fma_f32 v[140:141], v[138:139], v[126:127], v[136:137] op_sel:[0,0,1] op_sel_hi:[1,1,0] neg_lo:[0,0,1] neg_hi:[0,0,1]
	v_pk_fma_f32 v[136:137], v[138:139], v[126:127], v[136:137] op_sel:[0,0,1] op_sel_hi:[1,0,0]
	v_mov_b32_e32 v141, v137
	ds_load_2addr_b64 v[136:139], v130 offset0:20 offset1:21
	v_pk_add_f32 v[94:95], v[94:95], v[142:143] neg_lo:[0,1] neg_hi:[0,1]
	v_pk_add_f32 v[36:37], v[36:37], v[140:141] neg_lo:[0,1] neg_hi:[0,1]
	s_wait_dscnt 0x0
	v_dual_mul_f32 v140, v137, v129 :: v_dual_mul_f32 v142, v137, v126
	s_delay_alu instid0(VALU_DEP_1) | instskip(NEXT) | instid1(VALU_DEP_2)
	v_pk_fma_f32 v[140:141], v[136:137], v[40:41], v[140:141] op_sel_hi:[1,1,0] neg_lo:[0,0,1] neg_hi:[0,0,1]
	v_pk_fma_f32 v[136:137], v[136:137], v[40:41], v[142:143] op_sel:[1,0,0] op_sel_hi:[0,1,0]
	s_delay_alu instid0(VALU_DEP_1) | instskip(SKIP_1) | instid1(VALU_DEP_2)
	v_mov_b32_e32 v141, v137
	v_pk_mul_f32 v[136:137], v[138:139], v[128:129] op_sel:[0,1]
	v_pk_add_f32 v[90:91], v[90:91], v[140:141] neg_lo:[0,1] neg_hi:[0,1]
	s_delay_alu instid0(VALU_DEP_2) | instskip(SKIP_1) | instid1(VALU_DEP_1)
	v_pk_fma_f32 v[140:141], v[138:139], v[126:127], v[136:137] op_sel:[0,0,1] op_sel_hi:[1,1,0] neg_lo:[0,0,1] neg_hi:[0,0,1]
	v_pk_fma_f32 v[136:137], v[138:139], v[126:127], v[136:137] op_sel:[0,0,1] op_sel_hi:[1,0,0]
	v_mov_b32_e32 v141, v137
	ds_load_2addr_b64 v[136:139], v130 offset0:22 offset1:23
	v_pk_add_f32 v[86:87], v[86:87], v[140:141] neg_lo:[0,1] neg_hi:[0,1]
	s_wait_dscnt 0x0
	v_pk_mul_f32 v[140:141], v[136:137], v[128:129] op_sel:[0,1]
	s_delay_alu instid0(VALU_DEP_1) | instskip(SKIP_1) | instid1(VALU_DEP_1)
	v_pk_fma_f32 v[142:143], v[136:137], v[126:127], v[140:141] op_sel:[0,0,1] op_sel_hi:[1,1,0] neg_lo:[0,0,1] neg_hi:[0,0,1]
	v_pk_fma_f32 v[136:137], v[136:137], v[126:127], v[140:141] op_sel:[0,0,1] op_sel_hi:[1,0,0]
	v_mov_b32_e32 v143, v137
	v_pk_mul_f32 v[136:137], v[138:139], v[128:129] op_sel:[0,1]
	s_delay_alu instid0(VALU_DEP_2) | instskip(NEXT) | instid1(VALU_DEP_2)
	v_pk_add_f32 v[88:89], v[88:89], v[142:143] neg_lo:[0,1] neg_hi:[0,1]
	v_pk_fma_f32 v[140:141], v[138:139], v[126:127], v[136:137] op_sel:[0,0,1] op_sel_hi:[1,1,0] neg_lo:[0,0,1] neg_hi:[0,0,1]
	v_pk_fma_f32 v[136:137], v[138:139], v[126:127], v[136:137] op_sel:[0,0,1] op_sel_hi:[1,0,0]
	s_delay_alu instid0(VALU_DEP_1) | instskip(SKIP_4) | instid1(VALU_DEP_1)
	v_mov_b32_e32 v141, v137
	ds_load_2addr_b64 v[136:139], v130 offset0:24 offset1:25
	v_pk_add_f32 v[30:31], v[30:31], v[140:141] neg_lo:[0,1] neg_hi:[0,1]
	s_wait_dscnt 0x0
	v_pk_mul_f32 v[140:141], v[136:137], v[128:129] op_sel:[0,1]
	v_pk_fma_f32 v[142:143], v[136:137], v[126:127], v[140:141] op_sel:[0,0,1] op_sel_hi:[1,1,0] neg_lo:[0,0,1] neg_hi:[0,0,1]
	v_pk_fma_f32 v[136:137], v[136:137], v[126:127], v[140:141] op_sel:[0,0,1] op_sel_hi:[1,0,0]
	v_dual_mul_f32 v140, v139, v129 :: v_dual_mov_b32 v136, v139
	s_delay_alu instid0(VALU_DEP_2) | instskip(NEXT) | instid1(VALU_DEP_2)
	v_dual_mov_b32 v143, v137 :: v_dual_mov_b32 v137, v138
	v_pk_fma_f32 v[140:141], v[138:139], v[40:41], v[140:141] op_sel_hi:[1,1,0] neg_lo:[0,0,1] neg_hi:[0,0,1]
	v_mul_f32_e32 v138, v139, v126
	s_delay_alu instid0(VALU_DEP_3) | instskip(NEXT) | instid1(VALU_DEP_2)
	v_pk_add_f32 v[84:85], v[84:85], v[142:143] neg_lo:[0,1] neg_hi:[0,1]
	v_pk_fma_f32 v[136:137], v[136:137], v[40:41], v[138:139] op_sel_hi:[1,1,0]
	s_delay_alu instid0(VALU_DEP_1) | instskip(SKIP_4) | instid1(VALU_DEP_1)
	v_mov_b32_e32 v141, v137
	ds_load_2addr_b64 v[136:139], v130 offset0:26 offset1:27
	v_pk_add_f32 v[80:81], v[80:81], v[140:141] neg_lo:[0,1] neg_hi:[0,1]
	s_wait_dscnt 0x0
	v_pk_mul_f32 v[140:141], v[136:137], v[128:129] op_sel:[0,1]
	v_pk_fma_f32 v[142:143], v[136:137], v[126:127], v[140:141] op_sel:[0,0,1] op_sel_hi:[1,1,0] neg_lo:[0,0,1] neg_hi:[0,0,1]
	v_pk_fma_f32 v[136:137], v[136:137], v[126:127], v[140:141] op_sel:[0,0,1] op_sel_hi:[1,0,0]
	s_delay_alu instid0(VALU_DEP_1) | instskip(SKIP_1) | instid1(VALU_DEP_1)
	v_mov_b32_e32 v143, v137
	v_pk_mul_f32 v[136:137], v[138:139], v[128:129] op_sel:[0,1]
	v_pk_fma_f32 v[140:141], v[138:139], v[126:127], v[136:137] op_sel:[0,0,1] op_sel_hi:[1,1,0] neg_lo:[0,0,1] neg_hi:[0,0,1]
	v_pk_fma_f32 v[136:137], v[138:139], v[126:127], v[136:137] op_sel:[0,0,1] op_sel_hi:[1,0,0]
	s_delay_alu instid0(VALU_DEP_1)
	v_mov_b32_e32 v141, v137
	ds_load_2addr_b64 v[136:139], v130 offset0:28 offset1:29
	v_pk_add_f32 v[82:83], v[82:83], v[142:143] neg_lo:[0,1] neg_hi:[0,1]
	v_pk_add_f32 v[24:25], v[24:25], v[140:141] neg_lo:[0,1] neg_hi:[0,1]
	s_wait_dscnt 0x0
	v_pk_mul_f32 v[140:141], v[136:137], v[128:129] op_sel:[0,1]
	s_delay_alu instid0(VALU_DEP_1) | instskip(SKIP_1) | instid1(VALU_DEP_1)
	v_pk_fma_f32 v[142:143], v[136:137], v[126:127], v[140:141] op_sel:[0,0,1] op_sel_hi:[1,1,0] neg_lo:[0,0,1] neg_hi:[0,0,1]
	v_pk_fma_f32 v[136:137], v[136:137], v[126:127], v[140:141] op_sel:[0,0,1] op_sel_hi:[1,0,0]
	v_mov_b32_e32 v143, v137
	v_pk_mul_f32 v[136:137], v[138:139], v[128:129] op_sel:[0,1]
	s_delay_alu instid0(VALU_DEP_1) | instskip(SKIP_1) | instid1(VALU_DEP_1)
	v_pk_fma_f32 v[140:141], v[138:139], v[126:127], v[136:137] op_sel:[0,0,1] op_sel_hi:[1,1,0] neg_lo:[0,0,1] neg_hi:[0,0,1]
	v_pk_fma_f32 v[136:137], v[138:139], v[126:127], v[136:137] op_sel:[0,0,1] op_sel_hi:[1,0,0]
	v_mov_b32_e32 v141, v137
	ds_load_2addr_b64 v[136:139], v130 offset0:30 offset1:31
	v_pk_add_f32 v[78:79], v[78:79], v[142:143] neg_lo:[0,1] neg_hi:[0,1]
	v_pk_add_f32 v[74:75], v[74:75], v[140:141] neg_lo:[0,1] neg_hi:[0,1]
	s_wait_dscnt 0x0
	v_dual_mul_f32 v140, v137, v129 :: v_dual_mul_f32 v142, v137, v126
	s_delay_alu instid0(VALU_DEP_1) | instskip(NEXT) | instid1(VALU_DEP_2)
	v_pk_fma_f32 v[140:141], v[136:137], v[40:41], v[140:141] op_sel_hi:[1,1,0] neg_lo:[0,0,1] neg_hi:[0,0,1]
	v_pk_fma_f32 v[136:137], v[136:137], v[40:41], v[142:143] op_sel:[1,0,0] op_sel_hi:[0,1,0]
	s_delay_alu instid0(VALU_DEP_1) | instskip(SKIP_1) | instid1(VALU_DEP_2)
	v_mov_b32_e32 v141, v137
	v_pk_mul_f32 v[136:137], v[138:139], v[128:129] op_sel:[0,1]
	v_pk_add_f32 v[76:77], v[76:77], v[140:141] neg_lo:[0,1] neg_hi:[0,1]
	s_delay_alu instid0(VALU_DEP_2) | instskip(SKIP_1) | instid1(VALU_DEP_1)
	v_pk_fma_f32 v[140:141], v[138:139], v[126:127], v[136:137] op_sel:[0,0,1] op_sel_hi:[1,1,0] neg_lo:[0,0,1] neg_hi:[0,0,1]
	v_pk_fma_f32 v[136:137], v[138:139], v[126:127], v[136:137] op_sel:[0,0,1] op_sel_hi:[1,0,0]
	v_mov_b32_e32 v141, v137
	ds_load_2addr_b64 v[136:139], v130 offset0:32 offset1:33
	v_pk_add_f32 v[22:23], v[22:23], v[140:141] neg_lo:[0,1] neg_hi:[0,1]
	s_wait_dscnt 0x0
	v_pk_mul_f32 v[140:141], v[136:137], v[128:129] op_sel:[0,1]
	s_delay_alu instid0(VALU_DEP_1) | instskip(SKIP_1) | instid1(VALU_DEP_1)
	v_pk_fma_f32 v[142:143], v[136:137], v[126:127], v[140:141] op_sel:[0,0,1] op_sel_hi:[1,1,0] neg_lo:[0,0,1] neg_hi:[0,0,1]
	v_pk_fma_f32 v[136:137], v[136:137], v[126:127], v[140:141] op_sel:[0,0,1] op_sel_hi:[1,0,0]
	v_mov_b32_e32 v143, v137
	v_pk_mul_f32 v[136:137], v[138:139], v[128:129] op_sel:[0,1]
	s_delay_alu instid0(VALU_DEP_2) | instskip(NEXT) | instid1(VALU_DEP_2)
	v_pk_add_f32 v[72:73], v[72:73], v[142:143] neg_lo:[0,1] neg_hi:[0,1]
	v_pk_fma_f32 v[140:141], v[138:139], v[126:127], v[136:137] op_sel:[0,0,1] op_sel_hi:[1,1,0] neg_lo:[0,0,1] neg_hi:[0,0,1]
	v_pk_fma_f32 v[136:137], v[138:139], v[126:127], v[136:137] op_sel:[0,0,1] op_sel_hi:[1,0,0]
	s_delay_alu instid0(VALU_DEP_1) | instskip(SKIP_4) | instid1(VALU_DEP_1)
	v_mov_b32_e32 v141, v137
	ds_load_2addr_b64 v[136:139], v130 offset0:34 offset1:35
	v_pk_add_f32 v[68:69], v[68:69], v[140:141] neg_lo:[0,1] neg_hi:[0,1]
	s_wait_dscnt 0x0
	v_pk_mul_f32 v[140:141], v[136:137], v[128:129] op_sel:[0,1]
	v_pk_fma_f32 v[142:143], v[136:137], v[126:127], v[140:141] op_sel:[0,0,1] op_sel_hi:[1,1,0] neg_lo:[0,0,1] neg_hi:[0,0,1]
	v_pk_fma_f32 v[136:137], v[136:137], v[126:127], v[140:141] op_sel:[0,0,1] op_sel_hi:[1,0,0]
	v_dual_mul_f32 v140, v139, v129 :: v_dual_mov_b32 v136, v139
	s_delay_alu instid0(VALU_DEP_2) | instskip(NEXT) | instid1(VALU_DEP_2)
	v_dual_mov_b32 v143, v137 :: v_dual_mov_b32 v137, v138
	v_pk_fma_f32 v[140:141], v[138:139], v[40:41], v[140:141] op_sel_hi:[1,1,0] neg_lo:[0,0,1] neg_hi:[0,0,1]
	v_mul_f32_e32 v138, v139, v126
	s_delay_alu instid0(VALU_DEP_3) | instskip(NEXT) | instid1(VALU_DEP_2)
	v_pk_add_f32 v[70:71], v[70:71], v[142:143] neg_lo:[0,1] neg_hi:[0,1]
	v_pk_fma_f32 v[136:137], v[136:137], v[40:41], v[138:139] op_sel_hi:[1,1,0]
	s_delay_alu instid0(VALU_DEP_1) | instskip(SKIP_4) | instid1(VALU_DEP_1)
	v_mov_b32_e32 v141, v137
	ds_load_2addr_b64 v[136:139], v130 offset0:36 offset1:37
	v_pk_add_f32 v[20:21], v[20:21], v[140:141] neg_lo:[0,1] neg_hi:[0,1]
	s_wait_dscnt 0x0
	v_pk_mul_f32 v[140:141], v[136:137], v[128:129] op_sel:[0,1]
	v_pk_fma_f32 v[142:143], v[136:137], v[126:127], v[140:141] op_sel:[0,0,1] op_sel_hi:[1,1,0] neg_lo:[0,0,1] neg_hi:[0,0,1]
	v_pk_fma_f32 v[136:137], v[136:137], v[126:127], v[140:141] op_sel:[0,0,1] op_sel_hi:[1,0,0]
	s_delay_alu instid0(VALU_DEP_1) | instskip(SKIP_1) | instid1(VALU_DEP_1)
	v_mov_b32_e32 v143, v137
	v_pk_mul_f32 v[136:137], v[138:139], v[128:129] op_sel:[0,1]
	v_pk_fma_f32 v[140:141], v[138:139], v[126:127], v[136:137] op_sel:[0,0,1] op_sel_hi:[1,1,0] neg_lo:[0,0,1] neg_hi:[0,0,1]
	v_pk_fma_f32 v[136:137], v[138:139], v[126:127], v[136:137] op_sel:[0,0,1] op_sel_hi:[1,0,0]
	s_delay_alu instid0(VALU_DEP_1)
	v_mov_b32_e32 v141, v137
	ds_load_2addr_b64 v[136:139], v130 offset0:38 offset1:39
	v_pk_add_f32 v[66:67], v[66:67], v[142:143] neg_lo:[0,1] neg_hi:[0,1]
	v_pk_add_f32 v[62:63], v[62:63], v[140:141] neg_lo:[0,1] neg_hi:[0,1]
	s_wait_dscnt 0x0
	v_pk_mul_f32 v[140:141], v[136:137], v[128:129] op_sel:[0,1]
	s_delay_alu instid0(VALU_DEP_1) | instskip(SKIP_1) | instid1(VALU_DEP_1)
	v_pk_fma_f32 v[142:143], v[136:137], v[126:127], v[140:141] op_sel:[0,0,1] op_sel_hi:[1,1,0] neg_lo:[0,0,1] neg_hi:[0,0,1]
	v_pk_fma_f32 v[136:137], v[136:137], v[126:127], v[140:141] op_sel:[0,0,1] op_sel_hi:[1,0,0]
	v_mov_b32_e32 v143, v137
	v_pk_mul_f32 v[136:137], v[138:139], v[128:129] op_sel:[0,1]
	s_delay_alu instid0(VALU_DEP_1) | instskip(SKIP_1) | instid1(VALU_DEP_1)
	v_pk_fma_f32 v[140:141], v[138:139], v[126:127], v[136:137] op_sel:[0,0,1] op_sel_hi:[1,1,0] neg_lo:[0,0,1] neg_hi:[0,0,1]
	v_pk_fma_f32 v[136:137], v[138:139], v[126:127], v[136:137] op_sel:[0,0,1] op_sel_hi:[1,0,0]
	v_mov_b32_e32 v141, v137
	ds_load_2addr_b64 v[136:139], v130 offset0:40 offset1:41
	v_pk_add_f32 v[64:65], v[64:65], v[142:143] neg_lo:[0,1] neg_hi:[0,1]
	v_pk_add_f32 v[18:19], v[18:19], v[140:141] neg_lo:[0,1] neg_hi:[0,1]
	s_wait_dscnt 0x0
	v_dual_mul_f32 v140, v137, v129 :: v_dual_mul_f32 v142, v137, v126
	s_delay_alu instid0(VALU_DEP_1) | instskip(NEXT) | instid1(VALU_DEP_2)
	v_pk_fma_f32 v[140:141], v[136:137], v[40:41], v[140:141] op_sel_hi:[1,1,0] neg_lo:[0,0,1] neg_hi:[0,0,1]
	v_pk_fma_f32 v[136:137], v[136:137], v[40:41], v[142:143] op_sel:[1,0,0] op_sel_hi:[0,1,0]
	s_delay_alu instid0(VALU_DEP_1) | instskip(SKIP_1) | instid1(VALU_DEP_2)
	v_mov_b32_e32 v141, v137
	v_pk_mul_f32 v[136:137], v[138:139], v[128:129] op_sel:[0,1]
	v_pk_add_f32 v[60:61], v[60:61], v[140:141] neg_lo:[0,1] neg_hi:[0,1]
	s_delay_alu instid0(VALU_DEP_2) | instskip(SKIP_1) | instid1(VALU_DEP_1)
	v_pk_fma_f32 v[140:141], v[138:139], v[126:127], v[136:137] op_sel:[0,0,1] op_sel_hi:[1,1,0] neg_lo:[0,0,1] neg_hi:[0,0,1]
	v_pk_fma_f32 v[136:137], v[138:139], v[126:127], v[136:137] op_sel:[0,0,1] op_sel_hi:[1,0,0]
	v_mov_b32_e32 v141, v137
	ds_load_2addr_b64 v[136:139], v130 offset0:42 offset1:43
	v_pk_add_f32 v[56:57], v[56:57], v[140:141] neg_lo:[0,1] neg_hi:[0,1]
	s_wait_dscnt 0x0
	v_pk_mul_f32 v[140:141], v[136:137], v[128:129] op_sel:[0,1]
	s_delay_alu instid0(VALU_DEP_1) | instskip(SKIP_1) | instid1(VALU_DEP_1)
	v_pk_fma_f32 v[142:143], v[136:137], v[126:127], v[140:141] op_sel:[0,0,1] op_sel_hi:[1,1,0] neg_lo:[0,0,1] neg_hi:[0,0,1]
	v_pk_fma_f32 v[136:137], v[136:137], v[126:127], v[140:141] op_sel:[0,0,1] op_sel_hi:[1,0,0]
	v_mov_b32_e32 v143, v137
	v_pk_mul_f32 v[136:137], v[138:139], v[128:129] op_sel:[0,1]
	s_delay_alu instid0(VALU_DEP_2) | instskip(NEXT) | instid1(VALU_DEP_2)
	v_pk_add_f32 v[58:59], v[58:59], v[142:143] neg_lo:[0,1] neg_hi:[0,1]
	v_pk_fma_f32 v[140:141], v[138:139], v[126:127], v[136:137] op_sel:[0,0,1] op_sel_hi:[1,1,0] neg_lo:[0,0,1] neg_hi:[0,0,1]
	v_pk_fma_f32 v[136:137], v[138:139], v[126:127], v[136:137] op_sel:[0,0,1] op_sel_hi:[1,0,0]
	s_delay_alu instid0(VALU_DEP_1) | instskip(SKIP_4) | instid1(VALU_DEP_1)
	v_mov_b32_e32 v141, v137
	ds_load_2addr_b64 v[136:139], v130 offset0:44 offset1:45
	v_pk_add_f32 v[12:13], v[12:13], v[140:141] neg_lo:[0,1] neg_hi:[0,1]
	s_wait_dscnt 0x0
	v_pk_mul_f32 v[140:141], v[136:137], v[128:129] op_sel:[0,1]
	v_pk_fma_f32 v[142:143], v[136:137], v[126:127], v[140:141] op_sel:[0,0,1] op_sel_hi:[1,1,0] neg_lo:[0,0,1] neg_hi:[0,0,1]
	v_pk_fma_f32 v[136:137], v[136:137], v[126:127], v[140:141] op_sel:[0,0,1] op_sel_hi:[1,0,0]
	v_dual_mul_f32 v140, v139, v129 :: v_dual_mov_b32 v136, v139
	s_delay_alu instid0(VALU_DEP_2) | instskip(NEXT) | instid1(VALU_DEP_2)
	v_dual_mov_b32 v143, v137 :: v_dual_mov_b32 v137, v138
	v_pk_fma_f32 v[140:141], v[138:139], v[40:41], v[140:141] op_sel_hi:[1,1,0] neg_lo:[0,0,1] neg_hi:[0,0,1]
	v_mul_f32_e32 v138, v139, v126
	s_delay_alu instid0(VALU_DEP_3) | instskip(NEXT) | instid1(VALU_DEP_2)
	v_pk_add_f32 v[54:55], v[54:55], v[142:143] neg_lo:[0,1] neg_hi:[0,1]
	v_pk_fma_f32 v[136:137], v[136:137], v[40:41], v[138:139] op_sel_hi:[1,1,0]
	s_delay_alu instid0(VALU_DEP_1) | instskip(SKIP_4) | instid1(VALU_DEP_1)
	v_mov_b32_e32 v141, v137
	ds_load_2addr_b64 v[136:139], v130 offset0:46 offset1:47
	v_pk_add_f32 v[50:51], v[50:51], v[140:141] neg_lo:[0,1] neg_hi:[0,1]
	s_wait_dscnt 0x0
	v_pk_mul_f32 v[140:141], v[136:137], v[128:129] op_sel:[0,1]
	v_pk_fma_f32 v[142:143], v[136:137], v[126:127], v[140:141] op_sel:[0,0,1] op_sel_hi:[1,1,0] neg_lo:[0,0,1] neg_hi:[0,0,1]
	v_pk_fma_f32 v[136:137], v[136:137], v[126:127], v[140:141] op_sel:[0,0,1] op_sel_hi:[1,0,0]
	s_delay_alu instid0(VALU_DEP_1) | instskip(SKIP_1) | instid1(VALU_DEP_1)
	v_mov_b32_e32 v143, v137
	v_pk_mul_f32 v[136:137], v[138:139], v[128:129] op_sel:[0,1]
	v_pk_fma_f32 v[140:141], v[138:139], v[126:127], v[136:137] op_sel:[0,0,1] op_sel_hi:[1,1,0] neg_lo:[0,0,1] neg_hi:[0,0,1]
	v_pk_fma_f32 v[136:137], v[138:139], v[126:127], v[136:137] op_sel:[0,0,1] op_sel_hi:[1,0,0]
	s_delay_alu instid0(VALU_DEP_1)
	v_mov_b32_e32 v141, v137
	ds_load_2addr_b64 v[136:139], v130 offset0:48 offset1:49
	v_pk_add_f32 v[52:53], v[52:53], v[142:143] neg_lo:[0,1] neg_hi:[0,1]
	v_pk_add_f32 v[10:11], v[10:11], v[140:141] neg_lo:[0,1] neg_hi:[0,1]
	s_wait_dscnt 0x0
	v_pk_mul_f32 v[140:141], v[136:137], v[128:129] op_sel:[0,1]
	s_delay_alu instid0(VALU_DEP_1) | instskip(SKIP_1) | instid1(VALU_DEP_1)
	v_pk_fma_f32 v[142:143], v[136:137], v[126:127], v[140:141] op_sel:[0,0,1] op_sel_hi:[1,1,0] neg_lo:[0,0,1] neg_hi:[0,0,1]
	v_pk_fma_f32 v[136:137], v[136:137], v[126:127], v[140:141] op_sel:[0,0,1] op_sel_hi:[1,0,0]
	v_mov_b32_e32 v143, v137
	v_pk_mul_f32 v[136:137], v[138:139], v[128:129] op_sel:[0,1]
	s_delay_alu instid0(VALU_DEP_1) | instskip(SKIP_1) | instid1(VALU_DEP_1)
	v_pk_fma_f32 v[140:141], v[138:139], v[126:127], v[136:137] op_sel:[0,0,1] op_sel_hi:[1,1,0] neg_lo:[0,0,1] neg_hi:[0,0,1]
	v_pk_fma_f32 v[136:137], v[138:139], v[126:127], v[136:137] op_sel:[0,0,1] op_sel_hi:[1,0,0]
	v_mov_b32_e32 v141, v137
	ds_load_2addr_b64 v[136:139], v130 offset0:50 offset1:51
	v_pk_add_f32 v[46:47], v[46:47], v[142:143] neg_lo:[0,1] neg_hi:[0,1]
	v_pk_add_f32 v[44:45], v[44:45], v[140:141] neg_lo:[0,1] neg_hi:[0,1]
	s_wait_dscnt 0x0
	v_dual_mul_f32 v140, v137, v129 :: v_dual_mul_f32 v142, v137, v126
	s_delay_alu instid0(VALU_DEP_1) | instskip(NEXT) | instid1(VALU_DEP_2)
	v_pk_fma_f32 v[140:141], v[136:137], v[40:41], v[140:141] op_sel_hi:[1,1,0] neg_lo:[0,0,1] neg_hi:[0,0,1]
	v_pk_fma_f32 v[136:137], v[136:137], v[40:41], v[142:143] op_sel:[1,0,0] op_sel_hi:[0,1,0]
	s_delay_alu instid0(VALU_DEP_1) | instskip(SKIP_1) | instid1(VALU_DEP_2)
	v_mov_b32_e32 v141, v137
	v_pk_mul_f32 v[136:137], v[138:139], v[128:129] op_sel:[0,1]
	v_pk_add_f32 v[48:49], v[48:49], v[140:141] neg_lo:[0,1] neg_hi:[0,1]
	s_delay_alu instid0(VALU_DEP_2) | instskip(SKIP_1) | instid1(VALU_DEP_1)
	v_pk_fma_f32 v[140:141], v[138:139], v[126:127], v[136:137] op_sel:[0,0,1] op_sel_hi:[1,1,0] neg_lo:[0,0,1] neg_hi:[0,0,1]
	v_pk_fma_f32 v[136:137], v[138:139], v[126:127], v[136:137] op_sel:[0,0,1] op_sel_hi:[1,0,0]
	v_mov_b32_e32 v141, v137
	ds_load_2addr_b64 v[136:139], v130 offset0:52 offset1:53
	v_pk_add_f32 v[8:9], v[8:9], v[140:141] neg_lo:[0,1] neg_hi:[0,1]
	s_wait_dscnt 0x0
	v_pk_mul_f32 v[140:141], v[136:137], v[128:129] op_sel:[0,1]
	s_delay_alu instid0(VALU_DEP_1) | instskip(SKIP_1) | instid1(VALU_DEP_1)
	v_pk_fma_f32 v[142:143], v[136:137], v[126:127], v[140:141] op_sel:[0,0,1] op_sel_hi:[1,1,0] neg_lo:[0,0,1] neg_hi:[0,0,1]
	v_pk_fma_f32 v[136:137], v[136:137], v[126:127], v[140:141] op_sel:[0,0,1] op_sel_hi:[1,0,0]
	v_mov_b32_e32 v143, v137
	v_pk_mul_f32 v[136:137], v[138:139], v[128:129] op_sel:[0,1]
	s_delay_alu instid0(VALU_DEP_2) | instskip(NEXT) | instid1(VALU_DEP_2)
	v_pk_add_f32 v[34:35], v[34:35], v[142:143] neg_lo:[0,1] neg_hi:[0,1]
	v_pk_fma_f32 v[140:141], v[138:139], v[126:127], v[136:137] op_sel:[0,0,1] op_sel_hi:[1,1,0] neg_lo:[0,0,1] neg_hi:[0,0,1]
	v_pk_fma_f32 v[136:137], v[138:139], v[126:127], v[136:137] op_sel:[0,0,1] op_sel_hi:[1,0,0]
	s_delay_alu instid0(VALU_DEP_1) | instskip(SKIP_4) | instid1(VALU_DEP_1)
	v_mov_b32_e32 v141, v137
	ds_load_2addr_b64 v[136:139], v130 offset0:54 offset1:55
	v_pk_add_f32 v[28:29], v[28:29], v[140:141] neg_lo:[0,1] neg_hi:[0,1]
	s_wait_dscnt 0x0
	v_pk_mul_f32 v[140:141], v[136:137], v[128:129] op_sel:[0,1]
	v_pk_fma_f32 v[142:143], v[136:137], v[126:127], v[140:141] op_sel:[0,0,1] op_sel_hi:[1,1,0] neg_lo:[0,0,1] neg_hi:[0,0,1]
	v_pk_fma_f32 v[136:137], v[136:137], v[126:127], v[140:141] op_sel:[0,0,1] op_sel_hi:[1,0,0]
	v_dual_mul_f32 v140, v139, v129 :: v_dual_mov_b32 v136, v139
	s_delay_alu instid0(VALU_DEP_2) | instskip(NEXT) | instid1(VALU_DEP_2)
	v_dual_mov_b32 v143, v137 :: v_dual_mov_b32 v137, v138
	v_pk_fma_f32 v[140:141], v[138:139], v[40:41], v[140:141] op_sel_hi:[1,1,0] neg_lo:[0,0,1] neg_hi:[0,0,1]
	v_mul_f32_e32 v138, v139, v126
	s_delay_alu instid0(VALU_DEP_3) | instskip(NEXT) | instid1(VALU_DEP_2)
	v_pk_add_f32 v[32:33], v[32:33], v[142:143] neg_lo:[0,1] neg_hi:[0,1]
	v_pk_fma_f32 v[136:137], v[136:137], v[40:41], v[138:139] op_sel_hi:[1,1,0]
	s_delay_alu instid0(VALU_DEP_1) | instskip(SKIP_4) | instid1(VALU_DEP_1)
	v_mov_b32_e32 v141, v137
	ds_load_2addr_b64 v[136:139], v130 offset0:56 offset1:57
	v_pk_add_f32 v[6:7], v[6:7], v[140:141] neg_lo:[0,1] neg_hi:[0,1]
	s_wait_dscnt 0x0
	v_pk_mul_f32 v[140:141], v[136:137], v[128:129] op_sel:[0,1]
	v_pk_fma_f32 v[142:143], v[136:137], v[126:127], v[140:141] op_sel:[0,0,1] op_sel_hi:[1,1,0] neg_lo:[0,0,1] neg_hi:[0,0,1]
	v_pk_fma_f32 v[136:137], v[136:137], v[126:127], v[140:141] op_sel:[0,0,1] op_sel_hi:[1,0,0]
	s_delay_alu instid0(VALU_DEP_1) | instskip(SKIP_1) | instid1(VALU_DEP_1)
	v_mov_b32_e32 v143, v137
	v_pk_mul_f32 v[136:137], v[138:139], v[128:129] op_sel:[0,1]
	v_pk_fma_f32 v[140:141], v[138:139], v[126:127], v[136:137] op_sel:[0,0,1] op_sel_hi:[1,1,0] neg_lo:[0,0,1] neg_hi:[0,0,1]
	v_pk_fma_f32 v[136:137], v[138:139], v[126:127], v[136:137] op_sel:[0,0,1] op_sel_hi:[1,0,0]
	s_delay_alu instid0(VALU_DEP_1)
	v_mov_b32_e32 v141, v137
	ds_load_2addr_b64 v[136:139], v130 offset0:58 offset1:59
	v_pk_add_f32 v[26:27], v[26:27], v[142:143] neg_lo:[0,1] neg_hi:[0,1]
	v_pk_add_f32 v[16:17], v[16:17], v[140:141] neg_lo:[0,1] neg_hi:[0,1]
	s_wait_dscnt 0x0
	v_pk_mul_f32 v[140:141], v[136:137], v[128:129] op_sel:[0,1]
	v_mul_f32_e32 v128, v139, v129
	s_delay_alu instid0(VALU_DEP_2) | instskip(SKIP_2) | instid1(VALU_DEP_4)
	v_pk_fma_f32 v[142:143], v[136:137], v[126:127], v[140:141] op_sel:[0,0,1] op_sel_hi:[1,1,0] neg_lo:[0,0,1] neg_hi:[0,0,1]
	v_pk_fma_f32 v[136:137], v[136:137], v[126:127], v[140:141] op_sel:[0,0,1] op_sel_hi:[1,0,0]
	v_dual_mov_b32 v136, v139 :: v_dual_mul_f32 v126, v139, v126
	v_pk_fma_f32 v[128:129], v[138:139], v[40:41], v[128:129] op_sel_hi:[1,1,0] neg_lo:[0,0,1] neg_hi:[0,0,1]
	s_delay_alu instid0(VALU_DEP_3) | instskip(NEXT) | instid1(VALU_DEP_1)
	v_dual_mov_b32 v143, v137 :: v_dual_mov_b32 v137, v138
	v_pk_add_f32 v[14:15], v[14:15], v[142:143] neg_lo:[0,1] neg_hi:[0,1]
	s_delay_alu instid0(VALU_DEP_2) | instskip(NEXT) | instid1(VALU_DEP_1)
	v_pk_fma_f32 v[126:127], v[136:137], v[40:41], v[126:127] op_sel_hi:[1,1,0]
	v_mov_b32_e32 v129, v127
	s_delay_alu instid0(VALU_DEP_1)
	v_pk_add_f32 v[124:125], v[124:125], v[128:129] neg_lo:[0,1] neg_hi:[0,1]
.LBB118_251:
	s_or_b32 exec_lo, exec_lo, s0
	v_lshl_add_u32 v126, v134, 3, v130
	s_barrier_signal -1
	s_barrier_wait -1
	ds_store_b64 v126, v[102:103]
	s_wait_dscnt 0x0
	s_barrier_signal -1
	s_barrier_wait -1
	ds_load_b64 v[128:129], v130 offset:96
	v_mov_b32_e32 v126, 12
	s_cmp_lt_i32 s18, 14
	s_cbranch_scc1 .LBB118_254
; %bb.252:
	v_add3_u32 v127, v131, 0, 0x68
	v_mov_b32_e32 v126, 12
	s_mov_b32 s0, 13
.LBB118_253:                            ; =>This Inner Loop Header: Depth=1
	ds_load_b64 v[136:137], v127
	s_wait_dscnt 0x1
	v_cmp_gt_f32_e32 vcc_lo, 0, v128
	v_cndmask_b32_e64 v138, v128, -v128, vcc_lo
	v_cmp_gt_f32_e32 vcc_lo, 0, v129
	v_cndmask_b32_e64 v140, v129, -v129, vcc_lo
	s_wait_dscnt 0x0
	v_cmp_gt_f32_e32 vcc_lo, 0, v136
	v_cndmask_b32_e64 v139, v136, -v136, vcc_lo
	v_cmp_gt_f32_e32 vcc_lo, 0, v137
	v_cndmask_b32_e64 v141, v137, -v137, vcc_lo
	s_delay_alu instid0(VALU_DEP_1) | instskip(NEXT) | instid1(VALU_DEP_1)
	v_pk_add_f32 v[138:139], v[138:139], v[140:141]
	v_cmp_lt_f32_e32 vcc_lo, v138, v139
	v_dual_add_nc_u32 v127, 8, v127 :: v_dual_cndmask_b32 v129, v129, v137, vcc_lo
	v_cndmask_b32_e32 v128, v128, v136, vcc_lo
	v_cndmask_b32_e64 v126, v126, s0, vcc_lo
	s_add_co_i32 s0, s0, 1
	s_delay_alu instid0(SALU_CYCLE_1)
	s_cmp_lg_u32 s18, s0
	s_cbranch_scc1 .LBB118_253
.LBB118_254:
	s_wait_dscnt 0x0
	v_cmp_eq_f32_e32 vcc_lo, 0, v128
	v_cmp_eq_f32_e64 s0, 0, v129
	s_and_b32 s0, vcc_lo, s0
	s_delay_alu instid0(SALU_CYCLE_1) | instskip(NEXT) | instid1(SALU_CYCLE_1)
	s_and_saveexec_b32 s1, s0
	s_xor_b32 s0, exec_lo, s1
; %bb.255:
	v_cmp_ne_u32_e32 vcc_lo, 0, v132
	v_cndmask_b32_e32 v132, 13, v132, vcc_lo
; %bb.256:
	s_and_not1_saveexec_b32 s0, s0
	s_cbranch_execz .LBB118_262
; %bb.257:
	v_cmp_ngt_f32_e64 s1, |v128|, |v129|
	s_and_saveexec_b32 s12, s1
	s_delay_alu instid0(SALU_CYCLE_1)
	s_xor_b32 s1, exec_lo, s12
	s_cbranch_execz .LBB118_259
; %bb.258:
	v_div_scale_f32 v127, null, v129, v129, v128
	v_div_scale_f32 v137, vcc_lo, v128, v129, v128
	s_delay_alu instid0(VALU_DEP_2) | instskip(SKIP_1) | instid1(TRANS32_DEP_1)
	v_rcp_f32_e32 v135, v127
	v_nop
	v_fma_f32 v136, -v127, v135, 1.0
	s_delay_alu instid0(VALU_DEP_1) | instskip(NEXT) | instid1(VALU_DEP_1)
	v_fmac_f32_e32 v135, v136, v135
	v_mul_f32_e32 v136, v137, v135
	s_delay_alu instid0(VALU_DEP_1) | instskip(NEXT) | instid1(VALU_DEP_1)
	v_fma_f32 v138, -v127, v136, v137
	v_fmac_f32_e32 v136, v138, v135
	s_delay_alu instid0(VALU_DEP_1) | instskip(NEXT) | instid1(VALU_DEP_1)
	v_fma_f32 v127, -v127, v136, v137
	v_div_fmas_f32 v127, v127, v135, v136
	s_delay_alu instid0(VALU_DEP_1) | instskip(NEXT) | instid1(VALU_DEP_1)
	v_div_fixup_f32 v127, v127, v129, v128
	v_fmac_f32_e32 v129, v128, v127
	s_delay_alu instid0(VALU_DEP_1) | instskip(SKIP_1) | instid1(VALU_DEP_2)
	v_div_scale_f32 v128, null, v129, v129, 1.0
	v_div_scale_f32 v137, vcc_lo, 1.0, v129, 1.0
	v_rcp_f32_e32 v135, v128
	v_nop
	s_delay_alu instid0(TRANS32_DEP_1) | instskip(NEXT) | instid1(VALU_DEP_1)
	v_fma_f32 v136, -v128, v135, 1.0
	v_fmac_f32_e32 v135, v136, v135
	s_delay_alu instid0(VALU_DEP_1) | instskip(NEXT) | instid1(VALU_DEP_1)
	v_mul_f32_e32 v136, v137, v135
	v_fma_f32 v138, -v128, v136, v137
	s_delay_alu instid0(VALU_DEP_1) | instskip(NEXT) | instid1(VALU_DEP_1)
	v_fmac_f32_e32 v136, v138, v135
	v_fma_f32 v128, -v128, v136, v137
	s_delay_alu instid0(VALU_DEP_1) | instskip(NEXT) | instid1(VALU_DEP_1)
	v_div_fmas_f32 v128, v128, v135, v136
	v_div_fixup_f32 v129, v128, v129, 1.0
	s_delay_alu instid0(VALU_DEP_1)
	v_mul_f32_e32 v128, v127, v129
	v_xor_b32_e32 v129, 0x80000000, v129
.LBB118_259:
	s_and_not1_saveexec_b32 s1, s1
	s_cbranch_execz .LBB118_261
; %bb.260:
	s_delay_alu instid0(VALU_DEP_1) | instskip(SKIP_1) | instid1(VALU_DEP_2)
	v_div_scale_f32 v127, null, v128, v128, v129
	v_div_scale_f32 v137, vcc_lo, v129, v128, v129
	v_rcp_f32_e32 v135, v127
	v_nop
	s_delay_alu instid0(TRANS32_DEP_1) | instskip(NEXT) | instid1(VALU_DEP_1)
	v_fma_f32 v136, -v127, v135, 1.0
	v_fmac_f32_e32 v135, v136, v135
	s_delay_alu instid0(VALU_DEP_1) | instskip(NEXT) | instid1(VALU_DEP_1)
	v_mul_f32_e32 v136, v137, v135
	v_fma_f32 v138, -v127, v136, v137
	s_delay_alu instid0(VALU_DEP_1) | instskip(NEXT) | instid1(VALU_DEP_1)
	v_fmac_f32_e32 v136, v138, v135
	v_fma_f32 v127, -v127, v136, v137
	s_delay_alu instid0(VALU_DEP_1) | instskip(NEXT) | instid1(VALU_DEP_1)
	v_div_fmas_f32 v127, v127, v135, v136
	v_div_fixup_f32 v127, v127, v128, v129
	s_delay_alu instid0(VALU_DEP_1) | instskip(NEXT) | instid1(VALU_DEP_1)
	v_fmac_f32_e32 v128, v129, v127
	v_div_scale_f32 v129, null, v128, v128, 1.0
	s_delay_alu instid0(VALU_DEP_1) | instskip(SKIP_1) | instid1(TRANS32_DEP_1)
	v_rcp_f32_e32 v135, v129
	v_nop
	v_fma_f32 v136, -v129, v135, 1.0
	s_delay_alu instid0(VALU_DEP_1) | instskip(SKIP_1) | instid1(VALU_DEP_1)
	v_fmac_f32_e32 v135, v136, v135
	v_div_scale_f32 v136, vcc_lo, 1.0, v128, 1.0
	v_mul_f32_e32 v137, v136, v135
	s_delay_alu instid0(VALU_DEP_1) | instskip(NEXT) | instid1(VALU_DEP_1)
	v_fma_f32 v138, -v129, v137, v136
	v_fmac_f32_e32 v137, v138, v135
	s_delay_alu instid0(VALU_DEP_1) | instskip(NEXT) | instid1(VALU_DEP_1)
	v_fma_f32 v129, -v129, v137, v136
	v_div_fmas_f32 v129, v129, v135, v137
	s_delay_alu instid0(VALU_DEP_1) | instskip(NEXT) | instid1(VALU_DEP_1)
	v_div_fixup_f32 v128, v129, v128, 1.0
	v_mul_f32_e64 v129, v127, -v128
.LBB118_261:
	s_or_b32 exec_lo, exec_lo, s1
.LBB118_262:
	s_delay_alu instid0(SALU_CYCLE_1) | instskip(NEXT) | instid1(SALU_CYCLE_1)
	s_or_b32 exec_lo, exec_lo, s0
	s_mov_b32 s0, exec_lo
	v_cmpx_ne_u32_e64 v134, v126
	s_xor_b32 s0, exec_lo, s0
	s_cbranch_execz .LBB118_268
; %bb.263:
	s_mov_b32 s1, exec_lo
	v_cmpx_eq_u32_e32 12, v134
	s_cbranch_execz .LBB118_267
; %bb.264:
	v_cmp_ne_u32_e32 vcc_lo, 12, v126
	s_xor_b32 s12, s16, -1
	s_delay_alu instid0(SALU_CYCLE_1) | instskip(NEXT) | instid1(SALU_CYCLE_1)
	s_and_b32 s13, s12, vcc_lo
	s_and_saveexec_b32 s12, s13
	s_cbranch_execz .LBB118_266
; %bb.265:
	v_ashrrev_i32_e32 v127, 31, v126
	s_delay_alu instid0(VALU_DEP_1)
	v_lshl_add_u64 v[134:135], v[126:127], 2, v[4:5]
	s_clause 0x1
	global_load_b32 v127, v[134:135], off
	global_load_b32 v133, v[4:5], off offset:48
	s_wait_loadcnt 0x1
	global_store_b32 v[4:5], v127, off offset:48
	s_wait_loadcnt 0x0
	global_store_b32 v[134:135], v133, off
.LBB118_266:
	s_wait_xcnt 0x0
	s_or_b32 exec_lo, exec_lo, s12
	v_dual_mov_b32 v134, v126 :: v_dual_mov_b32 v133, v126
.LBB118_267:
	s_or_b32 exec_lo, exec_lo, s1
.LBB118_268:
	s_and_not1_saveexec_b32 s0, s0
	s_cbranch_execz .LBB118_270
; %bb.269:
	v_mov_b32_e32 v134, 12
	ds_store_2addr_b64 v130, v[98:99], v[100:101] offset0:13 offset1:14
	ds_store_2addr_b64 v130, v[38:39], v[96:97] offset0:15 offset1:16
	;; [unrolled: 1-line block ×23, first 2 shown]
	ds_store_b64 v130, v[124:125] offset:472
.LBB118_270:
	s_or_b32 exec_lo, exec_lo, s0
	s_delay_alu instid0(SALU_CYCLE_1)
	s_mov_b32 s0, exec_lo
	s_wait_storecnt_dscnt 0x0
	s_barrier_signal -1
	s_barrier_wait -1
	v_cmpx_lt_i32_e32 12, v134
	s_cbranch_execz .LBB118_272
; %bb.271:
	v_pk_mul_f32 v[136:137], v[128:129], v[102:103] op_sel:[1,1] op_sel_hi:[0,1]
	s_delay_alu instid0(VALU_DEP_1)
	v_pk_fma_f32 v[126:127], v[128:129], v[102:103], v[136:137] op_sel_hi:[1,0,1] neg_lo:[0,0,1] neg_hi:[0,0,1]
	v_pk_fma_f32 v[128:129], v[128:129], v[102:103], v[136:137] op_sel_hi:[1,0,1]
	ds_load_2addr_b64 v[136:139], v130 offset0:13 offset1:14
	v_dual_mov_b32 v102, v126 :: v_dual_mov_b32 v103, v129
	s_wait_dscnt 0x0
	v_pk_mul_f32 v[140:141], v[136:137], v[128:129] op_sel:[0,1]
	s_delay_alu instid0(VALU_DEP_1) | instskip(SKIP_1) | instid1(VALU_DEP_1)
	v_pk_fma_f32 v[142:143], v[136:137], v[126:127], v[140:141] op_sel:[0,0,1] op_sel_hi:[1,1,0] neg_lo:[0,0,1] neg_hi:[0,0,1]
	v_pk_fma_f32 v[136:137], v[136:137], v[126:127], v[140:141] op_sel:[0,0,1] op_sel_hi:[1,0,0]
	v_mov_b32_e32 v143, v137
	v_pk_mul_f32 v[136:137], v[138:139], v[128:129] op_sel:[0,1]
	s_delay_alu instid0(VALU_DEP_1) | instskip(SKIP_1) | instid1(VALU_DEP_1)
	v_pk_fma_f32 v[140:141], v[138:139], v[126:127], v[136:137] op_sel:[0,0,1] op_sel_hi:[1,1,0] neg_lo:[0,0,1] neg_hi:[0,0,1]
	v_pk_fma_f32 v[136:137], v[138:139], v[126:127], v[136:137] op_sel:[0,0,1] op_sel_hi:[1,0,0]
	v_mov_b32_e32 v141, v137
	ds_load_2addr_b64 v[136:139], v130 offset0:15 offset1:16
	v_pk_add_f32 v[98:99], v[98:99], v[142:143] neg_lo:[0,1] neg_hi:[0,1]
	v_pk_add_f32 v[100:101], v[100:101], v[140:141] neg_lo:[0,1] neg_hi:[0,1]
	s_wait_dscnt 0x0
	v_pk_mul_f32 v[140:141], v[136:137], v[128:129] op_sel:[0,1]
	s_delay_alu instid0(VALU_DEP_1) | instskip(SKIP_2) | instid1(VALU_DEP_2)
	v_pk_fma_f32 v[142:143], v[136:137], v[126:127], v[140:141] op_sel:[0,0,1] op_sel_hi:[1,1,0] neg_lo:[0,0,1] neg_hi:[0,0,1]
	v_pk_fma_f32 v[136:137], v[136:137], v[126:127], v[140:141] op_sel:[0,0,1] op_sel_hi:[1,0,0]
	v_dual_mul_f32 v140, v139, v129 :: v_dual_mov_b32 v136, v139
	v_dual_mov_b32 v143, v137 :: v_dual_mov_b32 v137, v138
	s_delay_alu instid0(VALU_DEP_2) | instskip(SKIP_1) | instid1(VALU_DEP_3)
	v_pk_fma_f32 v[140:141], v[138:139], v[102:103], v[140:141] op_sel_hi:[1,1,0] neg_lo:[0,0,1] neg_hi:[0,0,1]
	v_mul_f32_e32 v138, v139, v126
	v_pk_add_f32 v[38:39], v[38:39], v[142:143] neg_lo:[0,1] neg_hi:[0,1]
	s_delay_alu instid0(VALU_DEP_2) | instskip(NEXT) | instid1(VALU_DEP_1)
	v_pk_fma_f32 v[136:137], v[136:137], v[102:103], v[138:139] op_sel_hi:[1,1,0]
	v_mov_b32_e32 v141, v137
	ds_load_2addr_b64 v[136:139], v130 offset0:17 offset1:18
	v_pk_add_f32 v[96:97], v[96:97], v[140:141] neg_lo:[0,1] neg_hi:[0,1]
	s_wait_dscnt 0x0
	v_pk_mul_f32 v[140:141], v[136:137], v[128:129] op_sel:[0,1]
	s_delay_alu instid0(VALU_DEP_1) | instskip(SKIP_1) | instid1(VALU_DEP_1)
	v_pk_fma_f32 v[142:143], v[136:137], v[126:127], v[140:141] op_sel:[0,0,1] op_sel_hi:[1,1,0] neg_lo:[0,0,1] neg_hi:[0,0,1]
	v_pk_fma_f32 v[136:137], v[136:137], v[126:127], v[140:141] op_sel:[0,0,1] op_sel_hi:[1,0,0]
	v_mov_b32_e32 v143, v137
	v_pk_mul_f32 v[136:137], v[138:139], v[128:129] op_sel:[0,1]
	s_delay_alu instid0(VALU_DEP_1) | instskip(SKIP_1) | instid1(VALU_DEP_1)
	v_pk_fma_f32 v[140:141], v[138:139], v[126:127], v[136:137] op_sel:[0,0,1] op_sel_hi:[1,1,0] neg_lo:[0,0,1] neg_hi:[0,0,1]
	v_pk_fma_f32 v[136:137], v[138:139], v[126:127], v[136:137] op_sel:[0,0,1] op_sel_hi:[1,0,0]
	v_mov_b32_e32 v141, v137
	ds_load_2addr_b64 v[136:139], v130 offset0:19 offset1:20
	v_pk_add_f32 v[92:93], v[92:93], v[142:143] neg_lo:[0,1] neg_hi:[0,1]
	v_pk_add_f32 v[94:95], v[94:95], v[140:141] neg_lo:[0,1] neg_hi:[0,1]
	s_wait_dscnt 0x0
	v_pk_mul_f32 v[140:141], v[136:137], v[128:129] op_sel:[0,1]
	s_delay_alu instid0(VALU_DEP_1) | instskip(SKIP_1) | instid1(VALU_DEP_1)
	v_pk_fma_f32 v[142:143], v[136:137], v[126:127], v[140:141] op_sel:[0,0,1] op_sel_hi:[1,1,0] neg_lo:[0,0,1] neg_hi:[0,0,1]
	v_pk_fma_f32 v[136:137], v[136:137], v[126:127], v[140:141] op_sel:[0,0,1] op_sel_hi:[1,0,0]
	v_mov_b32_e32 v143, v137
	v_pk_mul_f32 v[136:137], v[138:139], v[128:129] op_sel:[0,1]
	s_delay_alu instid0(VALU_DEP_1) | instskip(SKIP_1) | instid1(VALU_DEP_1)
	v_pk_fma_f32 v[140:141], v[138:139], v[126:127], v[136:137] op_sel:[0,0,1] op_sel_hi:[1,1,0] neg_lo:[0,0,1] neg_hi:[0,0,1]
	v_pk_fma_f32 v[136:137], v[138:139], v[126:127], v[136:137] op_sel:[0,0,1] op_sel_hi:[1,0,0]
	v_mov_b32_e32 v141, v137
	ds_load_2addr_b64 v[136:139], v130 offset0:21 offset1:22
	v_pk_add_f32 v[36:37], v[36:37], v[142:143] neg_lo:[0,1] neg_hi:[0,1]
	v_pk_add_f32 v[90:91], v[90:91], v[140:141] neg_lo:[0,1] neg_hi:[0,1]
	s_wait_dscnt 0x0
	v_dual_mul_f32 v140, v137, v129 :: v_dual_mul_f32 v142, v137, v126
	s_delay_alu instid0(VALU_DEP_1) | instskip(NEXT) | instid1(VALU_DEP_2)
	v_pk_fma_f32 v[140:141], v[136:137], v[102:103], v[140:141] op_sel_hi:[1,1,0] neg_lo:[0,0,1] neg_hi:[0,0,1]
	v_pk_fma_f32 v[136:137], v[136:137], v[102:103], v[142:143] op_sel:[1,0,0] op_sel_hi:[0,1,0]
	s_delay_alu instid0(VALU_DEP_1) | instskip(SKIP_1) | instid1(VALU_DEP_2)
	v_mov_b32_e32 v141, v137
	v_pk_mul_f32 v[136:137], v[138:139], v[128:129] op_sel:[0,1]
	v_pk_add_f32 v[86:87], v[86:87], v[140:141] neg_lo:[0,1] neg_hi:[0,1]
	s_delay_alu instid0(VALU_DEP_2) | instskip(SKIP_1) | instid1(VALU_DEP_1)
	v_pk_fma_f32 v[140:141], v[138:139], v[126:127], v[136:137] op_sel:[0,0,1] op_sel_hi:[1,1,0] neg_lo:[0,0,1] neg_hi:[0,0,1]
	v_pk_fma_f32 v[136:137], v[138:139], v[126:127], v[136:137] op_sel:[0,0,1] op_sel_hi:[1,0,0]
	v_mov_b32_e32 v141, v137
	ds_load_2addr_b64 v[136:139], v130 offset0:23 offset1:24
	v_pk_add_f32 v[88:89], v[88:89], v[140:141] neg_lo:[0,1] neg_hi:[0,1]
	s_wait_dscnt 0x0
	v_pk_mul_f32 v[140:141], v[136:137], v[128:129] op_sel:[0,1]
	s_delay_alu instid0(VALU_DEP_1) | instskip(SKIP_1) | instid1(VALU_DEP_1)
	v_pk_fma_f32 v[142:143], v[136:137], v[126:127], v[140:141] op_sel:[0,0,1] op_sel_hi:[1,1,0] neg_lo:[0,0,1] neg_hi:[0,0,1]
	v_pk_fma_f32 v[136:137], v[136:137], v[126:127], v[140:141] op_sel:[0,0,1] op_sel_hi:[1,0,0]
	v_mov_b32_e32 v143, v137
	v_pk_mul_f32 v[136:137], v[138:139], v[128:129] op_sel:[0,1]
	s_delay_alu instid0(VALU_DEP_2) | instskip(NEXT) | instid1(VALU_DEP_2)
	v_pk_add_f32 v[30:31], v[30:31], v[142:143] neg_lo:[0,1] neg_hi:[0,1]
	v_pk_fma_f32 v[140:141], v[138:139], v[126:127], v[136:137] op_sel:[0,0,1] op_sel_hi:[1,1,0] neg_lo:[0,0,1] neg_hi:[0,0,1]
	v_pk_fma_f32 v[136:137], v[138:139], v[126:127], v[136:137] op_sel:[0,0,1] op_sel_hi:[1,0,0]
	s_delay_alu instid0(VALU_DEP_1) | instskip(SKIP_4) | instid1(VALU_DEP_1)
	v_mov_b32_e32 v141, v137
	ds_load_2addr_b64 v[136:139], v130 offset0:25 offset1:26
	v_pk_add_f32 v[84:85], v[84:85], v[140:141] neg_lo:[0,1] neg_hi:[0,1]
	s_wait_dscnt 0x0
	v_pk_mul_f32 v[140:141], v[136:137], v[128:129] op_sel:[0,1]
	v_pk_fma_f32 v[142:143], v[136:137], v[126:127], v[140:141] op_sel:[0,0,1] op_sel_hi:[1,1,0] neg_lo:[0,0,1] neg_hi:[0,0,1]
	v_pk_fma_f32 v[136:137], v[136:137], v[126:127], v[140:141] op_sel:[0,0,1] op_sel_hi:[1,0,0]
	v_dual_mul_f32 v140, v139, v129 :: v_dual_mov_b32 v136, v139
	s_delay_alu instid0(VALU_DEP_2) | instskip(NEXT) | instid1(VALU_DEP_2)
	v_dual_mov_b32 v143, v137 :: v_dual_mov_b32 v137, v138
	v_pk_fma_f32 v[140:141], v[138:139], v[102:103], v[140:141] op_sel_hi:[1,1,0] neg_lo:[0,0,1] neg_hi:[0,0,1]
	v_mul_f32_e32 v138, v139, v126
	s_delay_alu instid0(VALU_DEP_3) | instskip(NEXT) | instid1(VALU_DEP_2)
	v_pk_add_f32 v[80:81], v[80:81], v[142:143] neg_lo:[0,1] neg_hi:[0,1]
	v_pk_fma_f32 v[136:137], v[136:137], v[102:103], v[138:139] op_sel_hi:[1,1,0]
	s_delay_alu instid0(VALU_DEP_1) | instskip(SKIP_4) | instid1(VALU_DEP_1)
	v_mov_b32_e32 v141, v137
	ds_load_2addr_b64 v[136:139], v130 offset0:27 offset1:28
	v_pk_add_f32 v[82:83], v[82:83], v[140:141] neg_lo:[0,1] neg_hi:[0,1]
	s_wait_dscnt 0x0
	v_pk_mul_f32 v[140:141], v[136:137], v[128:129] op_sel:[0,1]
	v_pk_fma_f32 v[142:143], v[136:137], v[126:127], v[140:141] op_sel:[0,0,1] op_sel_hi:[1,1,0] neg_lo:[0,0,1] neg_hi:[0,0,1]
	v_pk_fma_f32 v[136:137], v[136:137], v[126:127], v[140:141] op_sel:[0,0,1] op_sel_hi:[1,0,0]
	s_delay_alu instid0(VALU_DEP_1) | instskip(SKIP_1) | instid1(VALU_DEP_1)
	v_mov_b32_e32 v143, v137
	v_pk_mul_f32 v[136:137], v[138:139], v[128:129] op_sel:[0,1]
	v_pk_fma_f32 v[140:141], v[138:139], v[126:127], v[136:137] op_sel:[0,0,1] op_sel_hi:[1,1,0] neg_lo:[0,0,1] neg_hi:[0,0,1]
	v_pk_fma_f32 v[136:137], v[138:139], v[126:127], v[136:137] op_sel:[0,0,1] op_sel_hi:[1,0,0]
	s_delay_alu instid0(VALU_DEP_1)
	v_mov_b32_e32 v141, v137
	ds_load_2addr_b64 v[136:139], v130 offset0:29 offset1:30
	v_pk_add_f32 v[24:25], v[24:25], v[142:143] neg_lo:[0,1] neg_hi:[0,1]
	v_pk_add_f32 v[78:79], v[78:79], v[140:141] neg_lo:[0,1] neg_hi:[0,1]
	s_wait_dscnt 0x0
	v_pk_mul_f32 v[140:141], v[136:137], v[128:129] op_sel:[0,1]
	s_delay_alu instid0(VALU_DEP_1) | instskip(SKIP_1) | instid1(VALU_DEP_1)
	v_pk_fma_f32 v[142:143], v[136:137], v[126:127], v[140:141] op_sel:[0,0,1] op_sel_hi:[1,1,0] neg_lo:[0,0,1] neg_hi:[0,0,1]
	v_pk_fma_f32 v[136:137], v[136:137], v[126:127], v[140:141] op_sel:[0,0,1] op_sel_hi:[1,0,0]
	v_mov_b32_e32 v143, v137
	v_pk_mul_f32 v[136:137], v[138:139], v[128:129] op_sel:[0,1]
	s_delay_alu instid0(VALU_DEP_1) | instskip(SKIP_1) | instid1(VALU_DEP_1)
	v_pk_fma_f32 v[140:141], v[138:139], v[126:127], v[136:137] op_sel:[0,0,1] op_sel_hi:[1,1,0] neg_lo:[0,0,1] neg_hi:[0,0,1]
	v_pk_fma_f32 v[136:137], v[138:139], v[126:127], v[136:137] op_sel:[0,0,1] op_sel_hi:[1,0,0]
	v_mov_b32_e32 v141, v137
	ds_load_2addr_b64 v[136:139], v130 offset0:31 offset1:32
	v_pk_add_f32 v[74:75], v[74:75], v[142:143] neg_lo:[0,1] neg_hi:[0,1]
	v_pk_add_f32 v[76:77], v[76:77], v[140:141] neg_lo:[0,1] neg_hi:[0,1]
	s_wait_dscnt 0x0
	v_dual_mul_f32 v140, v137, v129 :: v_dual_mul_f32 v142, v137, v126
	s_delay_alu instid0(VALU_DEP_1) | instskip(NEXT) | instid1(VALU_DEP_2)
	v_pk_fma_f32 v[140:141], v[136:137], v[102:103], v[140:141] op_sel_hi:[1,1,0] neg_lo:[0,0,1] neg_hi:[0,0,1]
	v_pk_fma_f32 v[136:137], v[136:137], v[102:103], v[142:143] op_sel:[1,0,0] op_sel_hi:[0,1,0]
	s_delay_alu instid0(VALU_DEP_1) | instskip(SKIP_1) | instid1(VALU_DEP_2)
	v_mov_b32_e32 v141, v137
	v_pk_mul_f32 v[136:137], v[138:139], v[128:129] op_sel:[0,1]
	v_pk_add_f32 v[22:23], v[22:23], v[140:141] neg_lo:[0,1] neg_hi:[0,1]
	s_delay_alu instid0(VALU_DEP_2) | instskip(SKIP_1) | instid1(VALU_DEP_1)
	v_pk_fma_f32 v[140:141], v[138:139], v[126:127], v[136:137] op_sel:[0,0,1] op_sel_hi:[1,1,0] neg_lo:[0,0,1] neg_hi:[0,0,1]
	v_pk_fma_f32 v[136:137], v[138:139], v[126:127], v[136:137] op_sel:[0,0,1] op_sel_hi:[1,0,0]
	v_mov_b32_e32 v141, v137
	ds_load_2addr_b64 v[136:139], v130 offset0:33 offset1:34
	v_pk_add_f32 v[72:73], v[72:73], v[140:141] neg_lo:[0,1] neg_hi:[0,1]
	s_wait_dscnt 0x0
	v_pk_mul_f32 v[140:141], v[136:137], v[128:129] op_sel:[0,1]
	s_delay_alu instid0(VALU_DEP_1) | instskip(SKIP_1) | instid1(VALU_DEP_1)
	v_pk_fma_f32 v[142:143], v[136:137], v[126:127], v[140:141] op_sel:[0,0,1] op_sel_hi:[1,1,0] neg_lo:[0,0,1] neg_hi:[0,0,1]
	v_pk_fma_f32 v[136:137], v[136:137], v[126:127], v[140:141] op_sel:[0,0,1] op_sel_hi:[1,0,0]
	v_mov_b32_e32 v143, v137
	v_pk_mul_f32 v[136:137], v[138:139], v[128:129] op_sel:[0,1]
	s_delay_alu instid0(VALU_DEP_2) | instskip(NEXT) | instid1(VALU_DEP_2)
	v_pk_add_f32 v[68:69], v[68:69], v[142:143] neg_lo:[0,1] neg_hi:[0,1]
	v_pk_fma_f32 v[140:141], v[138:139], v[126:127], v[136:137] op_sel:[0,0,1] op_sel_hi:[1,1,0] neg_lo:[0,0,1] neg_hi:[0,0,1]
	v_pk_fma_f32 v[136:137], v[138:139], v[126:127], v[136:137] op_sel:[0,0,1] op_sel_hi:[1,0,0]
	s_delay_alu instid0(VALU_DEP_1) | instskip(SKIP_4) | instid1(VALU_DEP_1)
	v_mov_b32_e32 v141, v137
	ds_load_2addr_b64 v[136:139], v130 offset0:35 offset1:36
	v_pk_add_f32 v[70:71], v[70:71], v[140:141] neg_lo:[0,1] neg_hi:[0,1]
	s_wait_dscnt 0x0
	v_pk_mul_f32 v[140:141], v[136:137], v[128:129] op_sel:[0,1]
	v_pk_fma_f32 v[142:143], v[136:137], v[126:127], v[140:141] op_sel:[0,0,1] op_sel_hi:[1,1,0] neg_lo:[0,0,1] neg_hi:[0,0,1]
	v_pk_fma_f32 v[136:137], v[136:137], v[126:127], v[140:141] op_sel:[0,0,1] op_sel_hi:[1,0,0]
	v_dual_mul_f32 v140, v139, v129 :: v_dual_mov_b32 v136, v139
	s_delay_alu instid0(VALU_DEP_2) | instskip(NEXT) | instid1(VALU_DEP_2)
	v_dual_mov_b32 v143, v137 :: v_dual_mov_b32 v137, v138
	v_pk_fma_f32 v[140:141], v[138:139], v[102:103], v[140:141] op_sel_hi:[1,1,0] neg_lo:[0,0,1] neg_hi:[0,0,1]
	v_mul_f32_e32 v138, v139, v126
	s_delay_alu instid0(VALU_DEP_3) | instskip(NEXT) | instid1(VALU_DEP_2)
	v_pk_add_f32 v[20:21], v[20:21], v[142:143] neg_lo:[0,1] neg_hi:[0,1]
	v_pk_fma_f32 v[136:137], v[136:137], v[102:103], v[138:139] op_sel_hi:[1,1,0]
	s_delay_alu instid0(VALU_DEP_1) | instskip(SKIP_4) | instid1(VALU_DEP_1)
	v_mov_b32_e32 v141, v137
	ds_load_2addr_b64 v[136:139], v130 offset0:37 offset1:38
	v_pk_add_f32 v[66:67], v[66:67], v[140:141] neg_lo:[0,1] neg_hi:[0,1]
	s_wait_dscnt 0x0
	v_pk_mul_f32 v[140:141], v[136:137], v[128:129] op_sel:[0,1]
	v_pk_fma_f32 v[142:143], v[136:137], v[126:127], v[140:141] op_sel:[0,0,1] op_sel_hi:[1,1,0] neg_lo:[0,0,1] neg_hi:[0,0,1]
	v_pk_fma_f32 v[136:137], v[136:137], v[126:127], v[140:141] op_sel:[0,0,1] op_sel_hi:[1,0,0]
	s_delay_alu instid0(VALU_DEP_1) | instskip(SKIP_1) | instid1(VALU_DEP_1)
	v_mov_b32_e32 v143, v137
	v_pk_mul_f32 v[136:137], v[138:139], v[128:129] op_sel:[0,1]
	v_pk_fma_f32 v[140:141], v[138:139], v[126:127], v[136:137] op_sel:[0,0,1] op_sel_hi:[1,1,0] neg_lo:[0,0,1] neg_hi:[0,0,1]
	v_pk_fma_f32 v[136:137], v[138:139], v[126:127], v[136:137] op_sel:[0,0,1] op_sel_hi:[1,0,0]
	s_delay_alu instid0(VALU_DEP_1)
	v_mov_b32_e32 v141, v137
	ds_load_2addr_b64 v[136:139], v130 offset0:39 offset1:40
	v_pk_add_f32 v[62:63], v[62:63], v[142:143] neg_lo:[0,1] neg_hi:[0,1]
	v_pk_add_f32 v[64:65], v[64:65], v[140:141] neg_lo:[0,1] neg_hi:[0,1]
	s_wait_dscnt 0x0
	v_pk_mul_f32 v[140:141], v[136:137], v[128:129] op_sel:[0,1]
	s_delay_alu instid0(VALU_DEP_1) | instskip(SKIP_1) | instid1(VALU_DEP_1)
	v_pk_fma_f32 v[142:143], v[136:137], v[126:127], v[140:141] op_sel:[0,0,1] op_sel_hi:[1,1,0] neg_lo:[0,0,1] neg_hi:[0,0,1]
	v_pk_fma_f32 v[136:137], v[136:137], v[126:127], v[140:141] op_sel:[0,0,1] op_sel_hi:[1,0,0]
	v_mov_b32_e32 v143, v137
	v_pk_mul_f32 v[136:137], v[138:139], v[128:129] op_sel:[0,1]
	s_delay_alu instid0(VALU_DEP_1) | instskip(SKIP_1) | instid1(VALU_DEP_1)
	v_pk_fma_f32 v[140:141], v[138:139], v[126:127], v[136:137] op_sel:[0,0,1] op_sel_hi:[1,1,0] neg_lo:[0,0,1] neg_hi:[0,0,1]
	v_pk_fma_f32 v[136:137], v[138:139], v[126:127], v[136:137] op_sel:[0,0,1] op_sel_hi:[1,0,0]
	v_mov_b32_e32 v141, v137
	ds_load_2addr_b64 v[136:139], v130 offset0:41 offset1:42
	v_pk_add_f32 v[18:19], v[18:19], v[142:143] neg_lo:[0,1] neg_hi:[0,1]
	v_pk_add_f32 v[60:61], v[60:61], v[140:141] neg_lo:[0,1] neg_hi:[0,1]
	s_wait_dscnt 0x0
	v_dual_mul_f32 v140, v137, v129 :: v_dual_mul_f32 v142, v137, v126
	s_delay_alu instid0(VALU_DEP_1) | instskip(NEXT) | instid1(VALU_DEP_2)
	v_pk_fma_f32 v[140:141], v[136:137], v[102:103], v[140:141] op_sel_hi:[1,1,0] neg_lo:[0,0,1] neg_hi:[0,0,1]
	v_pk_fma_f32 v[136:137], v[136:137], v[102:103], v[142:143] op_sel:[1,0,0] op_sel_hi:[0,1,0]
	s_delay_alu instid0(VALU_DEP_1) | instskip(SKIP_1) | instid1(VALU_DEP_2)
	v_mov_b32_e32 v141, v137
	v_pk_mul_f32 v[136:137], v[138:139], v[128:129] op_sel:[0,1]
	v_pk_add_f32 v[56:57], v[56:57], v[140:141] neg_lo:[0,1] neg_hi:[0,1]
	s_delay_alu instid0(VALU_DEP_2) | instskip(SKIP_1) | instid1(VALU_DEP_1)
	v_pk_fma_f32 v[140:141], v[138:139], v[126:127], v[136:137] op_sel:[0,0,1] op_sel_hi:[1,1,0] neg_lo:[0,0,1] neg_hi:[0,0,1]
	v_pk_fma_f32 v[136:137], v[138:139], v[126:127], v[136:137] op_sel:[0,0,1] op_sel_hi:[1,0,0]
	v_mov_b32_e32 v141, v137
	ds_load_2addr_b64 v[136:139], v130 offset0:43 offset1:44
	v_pk_add_f32 v[58:59], v[58:59], v[140:141] neg_lo:[0,1] neg_hi:[0,1]
	s_wait_dscnt 0x0
	v_pk_mul_f32 v[140:141], v[136:137], v[128:129] op_sel:[0,1]
	s_delay_alu instid0(VALU_DEP_1) | instskip(SKIP_1) | instid1(VALU_DEP_1)
	v_pk_fma_f32 v[142:143], v[136:137], v[126:127], v[140:141] op_sel:[0,0,1] op_sel_hi:[1,1,0] neg_lo:[0,0,1] neg_hi:[0,0,1]
	v_pk_fma_f32 v[136:137], v[136:137], v[126:127], v[140:141] op_sel:[0,0,1] op_sel_hi:[1,0,0]
	v_mov_b32_e32 v143, v137
	v_pk_mul_f32 v[136:137], v[138:139], v[128:129] op_sel:[0,1]
	s_delay_alu instid0(VALU_DEP_2) | instskip(NEXT) | instid1(VALU_DEP_2)
	v_pk_add_f32 v[12:13], v[12:13], v[142:143] neg_lo:[0,1] neg_hi:[0,1]
	v_pk_fma_f32 v[140:141], v[138:139], v[126:127], v[136:137] op_sel:[0,0,1] op_sel_hi:[1,1,0] neg_lo:[0,0,1] neg_hi:[0,0,1]
	v_pk_fma_f32 v[136:137], v[138:139], v[126:127], v[136:137] op_sel:[0,0,1] op_sel_hi:[1,0,0]
	s_delay_alu instid0(VALU_DEP_1) | instskip(SKIP_4) | instid1(VALU_DEP_1)
	v_mov_b32_e32 v141, v137
	ds_load_2addr_b64 v[136:139], v130 offset0:45 offset1:46
	v_pk_add_f32 v[54:55], v[54:55], v[140:141] neg_lo:[0,1] neg_hi:[0,1]
	s_wait_dscnt 0x0
	v_pk_mul_f32 v[140:141], v[136:137], v[128:129] op_sel:[0,1]
	v_pk_fma_f32 v[142:143], v[136:137], v[126:127], v[140:141] op_sel:[0,0,1] op_sel_hi:[1,1,0] neg_lo:[0,0,1] neg_hi:[0,0,1]
	v_pk_fma_f32 v[136:137], v[136:137], v[126:127], v[140:141] op_sel:[0,0,1] op_sel_hi:[1,0,0]
	v_dual_mul_f32 v140, v139, v129 :: v_dual_mov_b32 v136, v139
	s_delay_alu instid0(VALU_DEP_2) | instskip(NEXT) | instid1(VALU_DEP_2)
	v_dual_mov_b32 v143, v137 :: v_dual_mov_b32 v137, v138
	v_pk_fma_f32 v[140:141], v[138:139], v[102:103], v[140:141] op_sel_hi:[1,1,0] neg_lo:[0,0,1] neg_hi:[0,0,1]
	v_mul_f32_e32 v138, v139, v126
	s_delay_alu instid0(VALU_DEP_3) | instskip(NEXT) | instid1(VALU_DEP_2)
	v_pk_add_f32 v[50:51], v[50:51], v[142:143] neg_lo:[0,1] neg_hi:[0,1]
	v_pk_fma_f32 v[136:137], v[136:137], v[102:103], v[138:139] op_sel_hi:[1,1,0]
	s_delay_alu instid0(VALU_DEP_1) | instskip(SKIP_4) | instid1(VALU_DEP_1)
	v_mov_b32_e32 v141, v137
	ds_load_2addr_b64 v[136:139], v130 offset0:47 offset1:48
	v_pk_add_f32 v[52:53], v[52:53], v[140:141] neg_lo:[0,1] neg_hi:[0,1]
	s_wait_dscnt 0x0
	v_pk_mul_f32 v[140:141], v[136:137], v[128:129] op_sel:[0,1]
	v_pk_fma_f32 v[142:143], v[136:137], v[126:127], v[140:141] op_sel:[0,0,1] op_sel_hi:[1,1,0] neg_lo:[0,0,1] neg_hi:[0,0,1]
	v_pk_fma_f32 v[136:137], v[136:137], v[126:127], v[140:141] op_sel:[0,0,1] op_sel_hi:[1,0,0]
	s_delay_alu instid0(VALU_DEP_1) | instskip(SKIP_1) | instid1(VALU_DEP_1)
	v_mov_b32_e32 v143, v137
	v_pk_mul_f32 v[136:137], v[138:139], v[128:129] op_sel:[0,1]
	v_pk_fma_f32 v[140:141], v[138:139], v[126:127], v[136:137] op_sel:[0,0,1] op_sel_hi:[1,1,0] neg_lo:[0,0,1] neg_hi:[0,0,1]
	v_pk_fma_f32 v[136:137], v[138:139], v[126:127], v[136:137] op_sel:[0,0,1] op_sel_hi:[1,0,0]
	s_delay_alu instid0(VALU_DEP_1)
	v_mov_b32_e32 v141, v137
	ds_load_2addr_b64 v[136:139], v130 offset0:49 offset1:50
	v_pk_add_f32 v[10:11], v[10:11], v[142:143] neg_lo:[0,1] neg_hi:[0,1]
	v_pk_add_f32 v[46:47], v[46:47], v[140:141] neg_lo:[0,1] neg_hi:[0,1]
	s_wait_dscnt 0x0
	v_pk_mul_f32 v[140:141], v[136:137], v[128:129] op_sel:[0,1]
	s_delay_alu instid0(VALU_DEP_1) | instskip(SKIP_1) | instid1(VALU_DEP_1)
	v_pk_fma_f32 v[142:143], v[136:137], v[126:127], v[140:141] op_sel:[0,0,1] op_sel_hi:[1,1,0] neg_lo:[0,0,1] neg_hi:[0,0,1]
	v_pk_fma_f32 v[136:137], v[136:137], v[126:127], v[140:141] op_sel:[0,0,1] op_sel_hi:[1,0,0]
	v_mov_b32_e32 v143, v137
	v_pk_mul_f32 v[136:137], v[138:139], v[128:129] op_sel:[0,1]
	s_delay_alu instid0(VALU_DEP_1) | instskip(SKIP_1) | instid1(VALU_DEP_1)
	v_pk_fma_f32 v[140:141], v[138:139], v[126:127], v[136:137] op_sel:[0,0,1] op_sel_hi:[1,1,0] neg_lo:[0,0,1] neg_hi:[0,0,1]
	v_pk_fma_f32 v[136:137], v[138:139], v[126:127], v[136:137] op_sel:[0,0,1] op_sel_hi:[1,0,0]
	v_mov_b32_e32 v141, v137
	ds_load_2addr_b64 v[136:139], v130 offset0:51 offset1:52
	v_pk_add_f32 v[44:45], v[44:45], v[142:143] neg_lo:[0,1] neg_hi:[0,1]
	v_pk_add_f32 v[48:49], v[48:49], v[140:141] neg_lo:[0,1] neg_hi:[0,1]
	s_wait_dscnt 0x0
	v_dual_mul_f32 v140, v137, v129 :: v_dual_mul_f32 v142, v137, v126
	s_delay_alu instid0(VALU_DEP_1) | instskip(NEXT) | instid1(VALU_DEP_2)
	v_pk_fma_f32 v[140:141], v[136:137], v[102:103], v[140:141] op_sel_hi:[1,1,0] neg_lo:[0,0,1] neg_hi:[0,0,1]
	v_pk_fma_f32 v[136:137], v[136:137], v[102:103], v[142:143] op_sel:[1,0,0] op_sel_hi:[0,1,0]
	s_delay_alu instid0(VALU_DEP_1) | instskip(SKIP_1) | instid1(VALU_DEP_2)
	v_mov_b32_e32 v141, v137
	v_pk_mul_f32 v[136:137], v[138:139], v[128:129] op_sel:[0,1]
	v_pk_add_f32 v[8:9], v[8:9], v[140:141] neg_lo:[0,1] neg_hi:[0,1]
	s_delay_alu instid0(VALU_DEP_2) | instskip(SKIP_1) | instid1(VALU_DEP_1)
	v_pk_fma_f32 v[140:141], v[138:139], v[126:127], v[136:137] op_sel:[0,0,1] op_sel_hi:[1,1,0] neg_lo:[0,0,1] neg_hi:[0,0,1]
	v_pk_fma_f32 v[136:137], v[138:139], v[126:127], v[136:137] op_sel:[0,0,1] op_sel_hi:[1,0,0]
	v_mov_b32_e32 v141, v137
	ds_load_2addr_b64 v[136:139], v130 offset0:53 offset1:54
	v_pk_add_f32 v[34:35], v[34:35], v[140:141] neg_lo:[0,1] neg_hi:[0,1]
	s_wait_dscnt 0x0
	v_pk_mul_f32 v[140:141], v[136:137], v[128:129] op_sel:[0,1]
	s_delay_alu instid0(VALU_DEP_1) | instskip(SKIP_1) | instid1(VALU_DEP_1)
	v_pk_fma_f32 v[142:143], v[136:137], v[126:127], v[140:141] op_sel:[0,0,1] op_sel_hi:[1,1,0] neg_lo:[0,0,1] neg_hi:[0,0,1]
	v_pk_fma_f32 v[136:137], v[136:137], v[126:127], v[140:141] op_sel:[0,0,1] op_sel_hi:[1,0,0]
	v_mov_b32_e32 v143, v137
	v_pk_mul_f32 v[136:137], v[138:139], v[128:129] op_sel:[0,1]
	s_delay_alu instid0(VALU_DEP_2) | instskip(NEXT) | instid1(VALU_DEP_2)
	v_pk_add_f32 v[28:29], v[28:29], v[142:143] neg_lo:[0,1] neg_hi:[0,1]
	v_pk_fma_f32 v[140:141], v[138:139], v[126:127], v[136:137] op_sel:[0,0,1] op_sel_hi:[1,1,0] neg_lo:[0,0,1] neg_hi:[0,0,1]
	v_pk_fma_f32 v[136:137], v[138:139], v[126:127], v[136:137] op_sel:[0,0,1] op_sel_hi:[1,0,0]
	s_delay_alu instid0(VALU_DEP_1) | instskip(SKIP_4) | instid1(VALU_DEP_1)
	v_mov_b32_e32 v141, v137
	ds_load_2addr_b64 v[136:139], v130 offset0:55 offset1:56
	v_pk_add_f32 v[32:33], v[32:33], v[140:141] neg_lo:[0,1] neg_hi:[0,1]
	s_wait_dscnt 0x0
	v_pk_mul_f32 v[140:141], v[136:137], v[128:129] op_sel:[0,1]
	v_pk_fma_f32 v[142:143], v[136:137], v[126:127], v[140:141] op_sel:[0,0,1] op_sel_hi:[1,1,0] neg_lo:[0,0,1] neg_hi:[0,0,1]
	v_pk_fma_f32 v[136:137], v[136:137], v[126:127], v[140:141] op_sel:[0,0,1] op_sel_hi:[1,0,0]
	v_dual_mul_f32 v140, v139, v129 :: v_dual_mov_b32 v136, v139
	s_delay_alu instid0(VALU_DEP_2) | instskip(NEXT) | instid1(VALU_DEP_2)
	v_dual_mov_b32 v143, v137 :: v_dual_mov_b32 v137, v138
	v_pk_fma_f32 v[140:141], v[138:139], v[102:103], v[140:141] op_sel_hi:[1,1,0] neg_lo:[0,0,1] neg_hi:[0,0,1]
	v_mul_f32_e32 v138, v139, v126
	s_delay_alu instid0(VALU_DEP_3) | instskip(NEXT) | instid1(VALU_DEP_2)
	v_pk_add_f32 v[6:7], v[6:7], v[142:143] neg_lo:[0,1] neg_hi:[0,1]
	v_pk_fma_f32 v[136:137], v[136:137], v[102:103], v[138:139] op_sel_hi:[1,1,0]
	s_delay_alu instid0(VALU_DEP_1) | instskip(SKIP_4) | instid1(VALU_DEP_1)
	v_mov_b32_e32 v141, v137
	ds_load_2addr_b64 v[136:139], v130 offset0:57 offset1:58
	v_pk_add_f32 v[26:27], v[26:27], v[140:141] neg_lo:[0,1] neg_hi:[0,1]
	s_wait_dscnt 0x0
	v_pk_mul_f32 v[140:141], v[136:137], v[128:129] op_sel:[0,1]
	v_pk_fma_f32 v[142:143], v[136:137], v[126:127], v[140:141] op_sel:[0,0,1] op_sel_hi:[1,1,0] neg_lo:[0,0,1] neg_hi:[0,0,1]
	v_pk_fma_f32 v[136:137], v[136:137], v[126:127], v[140:141] op_sel:[0,0,1] op_sel_hi:[1,0,0]
	s_delay_alu instid0(VALU_DEP_1) | instskip(SKIP_1) | instid1(VALU_DEP_1)
	v_mov_b32_e32 v143, v137
	v_pk_mul_f32 v[136:137], v[138:139], v[128:129] op_sel:[0,1]
	v_pk_fma_f32 v[140:141], v[138:139], v[126:127], v[136:137] op_sel:[0,0,1] op_sel_hi:[1,1,0] neg_lo:[0,0,1] neg_hi:[0,0,1]
	v_pk_fma_f32 v[136:137], v[138:139], v[126:127], v[136:137] op_sel:[0,0,1] op_sel_hi:[1,0,0]
	s_delay_alu instid0(VALU_DEP_1)
	v_mov_b32_e32 v141, v137
	ds_load_b64 v[136:137], v130 offset:472
	v_pk_add_f32 v[16:17], v[16:17], v[142:143] neg_lo:[0,1] neg_hi:[0,1]
	v_pk_add_f32 v[14:15], v[14:15], v[140:141] neg_lo:[0,1] neg_hi:[0,1]
	s_wait_dscnt 0x0
	v_pk_mul_f32 v[128:129], v[136:137], v[128:129] op_sel:[0,1]
	s_delay_alu instid0(VALU_DEP_1) | instskip(SKIP_1) | instid1(VALU_DEP_1)
	v_pk_fma_f32 v[138:139], v[136:137], v[126:127], v[128:129] op_sel:[0,0,1] op_sel_hi:[1,1,0] neg_lo:[0,0,1] neg_hi:[0,0,1]
	v_pk_fma_f32 v[126:127], v[136:137], v[126:127], v[128:129] op_sel:[0,0,1] op_sel_hi:[1,0,0]
	v_mov_b32_e32 v139, v127
	s_delay_alu instid0(VALU_DEP_1)
	v_pk_add_f32 v[124:125], v[124:125], v[138:139] neg_lo:[0,1] neg_hi:[0,1]
.LBB118_272:
	s_or_b32 exec_lo, exec_lo, s0
	v_lshl_add_u32 v126, v134, 3, v130
	s_barrier_signal -1
	s_barrier_wait -1
	ds_store_b64 v126, v[98:99]
	s_wait_dscnt 0x0
	s_barrier_signal -1
	s_barrier_wait -1
	ds_load_b64 v[128:129], v130 offset:104
	v_mov_b32_e32 v126, 13
	s_cmp_lt_i32 s18, 15
	s_cbranch_scc1 .LBB118_275
; %bb.273:
	v_add3_u32 v127, v131, 0, 0x70
	v_mov_b32_e32 v126, 13
	s_mov_b32 s0, 14
.LBB118_274:                            ; =>This Inner Loop Header: Depth=1
	ds_load_b64 v[136:137], v127
	s_wait_dscnt 0x1
	v_cmp_gt_f32_e32 vcc_lo, 0, v128
	v_cndmask_b32_e64 v138, v128, -v128, vcc_lo
	v_cmp_gt_f32_e32 vcc_lo, 0, v129
	v_cndmask_b32_e64 v140, v129, -v129, vcc_lo
	s_wait_dscnt 0x0
	v_cmp_gt_f32_e32 vcc_lo, 0, v136
	v_cndmask_b32_e64 v139, v136, -v136, vcc_lo
	v_cmp_gt_f32_e32 vcc_lo, 0, v137
	v_cndmask_b32_e64 v141, v137, -v137, vcc_lo
	s_delay_alu instid0(VALU_DEP_1) | instskip(NEXT) | instid1(VALU_DEP_1)
	v_pk_add_f32 v[138:139], v[138:139], v[140:141]
	v_cmp_lt_f32_e32 vcc_lo, v138, v139
	v_dual_add_nc_u32 v127, 8, v127 :: v_dual_cndmask_b32 v129, v129, v137, vcc_lo
	v_cndmask_b32_e32 v128, v128, v136, vcc_lo
	v_cndmask_b32_e64 v126, v126, s0, vcc_lo
	s_add_co_i32 s0, s0, 1
	s_delay_alu instid0(SALU_CYCLE_1)
	s_cmp_lg_u32 s18, s0
	s_cbranch_scc1 .LBB118_274
.LBB118_275:
	s_wait_dscnt 0x0
	v_cmp_eq_f32_e32 vcc_lo, 0, v128
	v_cmp_eq_f32_e64 s0, 0, v129
	s_and_b32 s0, vcc_lo, s0
	s_delay_alu instid0(SALU_CYCLE_1) | instskip(NEXT) | instid1(SALU_CYCLE_1)
	s_and_saveexec_b32 s1, s0
	s_xor_b32 s0, exec_lo, s1
; %bb.276:
	v_cmp_ne_u32_e32 vcc_lo, 0, v132
	v_cndmask_b32_e32 v132, 14, v132, vcc_lo
; %bb.277:
	s_and_not1_saveexec_b32 s0, s0
	s_cbranch_execz .LBB118_283
; %bb.278:
	v_cmp_ngt_f32_e64 s1, |v128|, |v129|
	s_and_saveexec_b32 s12, s1
	s_delay_alu instid0(SALU_CYCLE_1)
	s_xor_b32 s1, exec_lo, s12
	s_cbranch_execz .LBB118_280
; %bb.279:
	v_div_scale_f32 v127, null, v129, v129, v128
	v_div_scale_f32 v137, vcc_lo, v128, v129, v128
	s_delay_alu instid0(VALU_DEP_2) | instskip(SKIP_1) | instid1(TRANS32_DEP_1)
	v_rcp_f32_e32 v135, v127
	v_nop
	v_fma_f32 v136, -v127, v135, 1.0
	s_delay_alu instid0(VALU_DEP_1) | instskip(NEXT) | instid1(VALU_DEP_1)
	v_fmac_f32_e32 v135, v136, v135
	v_mul_f32_e32 v136, v137, v135
	s_delay_alu instid0(VALU_DEP_1) | instskip(NEXT) | instid1(VALU_DEP_1)
	v_fma_f32 v138, -v127, v136, v137
	v_fmac_f32_e32 v136, v138, v135
	s_delay_alu instid0(VALU_DEP_1) | instskip(NEXT) | instid1(VALU_DEP_1)
	v_fma_f32 v127, -v127, v136, v137
	v_div_fmas_f32 v127, v127, v135, v136
	s_delay_alu instid0(VALU_DEP_1) | instskip(NEXT) | instid1(VALU_DEP_1)
	v_div_fixup_f32 v127, v127, v129, v128
	v_fmac_f32_e32 v129, v128, v127
	s_delay_alu instid0(VALU_DEP_1) | instskip(SKIP_1) | instid1(VALU_DEP_2)
	v_div_scale_f32 v128, null, v129, v129, 1.0
	v_div_scale_f32 v137, vcc_lo, 1.0, v129, 1.0
	v_rcp_f32_e32 v135, v128
	v_nop
	s_delay_alu instid0(TRANS32_DEP_1) | instskip(NEXT) | instid1(VALU_DEP_1)
	v_fma_f32 v136, -v128, v135, 1.0
	v_fmac_f32_e32 v135, v136, v135
	s_delay_alu instid0(VALU_DEP_1) | instskip(NEXT) | instid1(VALU_DEP_1)
	v_mul_f32_e32 v136, v137, v135
	v_fma_f32 v138, -v128, v136, v137
	s_delay_alu instid0(VALU_DEP_1) | instskip(NEXT) | instid1(VALU_DEP_1)
	v_fmac_f32_e32 v136, v138, v135
	v_fma_f32 v128, -v128, v136, v137
	s_delay_alu instid0(VALU_DEP_1) | instskip(NEXT) | instid1(VALU_DEP_1)
	v_div_fmas_f32 v128, v128, v135, v136
	v_div_fixup_f32 v129, v128, v129, 1.0
	s_delay_alu instid0(VALU_DEP_1)
	v_mul_f32_e32 v128, v127, v129
	v_xor_b32_e32 v129, 0x80000000, v129
.LBB118_280:
	s_and_not1_saveexec_b32 s1, s1
	s_cbranch_execz .LBB118_282
; %bb.281:
	s_delay_alu instid0(VALU_DEP_1) | instskip(SKIP_1) | instid1(VALU_DEP_2)
	v_div_scale_f32 v127, null, v128, v128, v129
	v_div_scale_f32 v137, vcc_lo, v129, v128, v129
	v_rcp_f32_e32 v135, v127
	v_nop
	s_delay_alu instid0(TRANS32_DEP_1) | instskip(NEXT) | instid1(VALU_DEP_1)
	v_fma_f32 v136, -v127, v135, 1.0
	v_fmac_f32_e32 v135, v136, v135
	s_delay_alu instid0(VALU_DEP_1) | instskip(NEXT) | instid1(VALU_DEP_1)
	v_mul_f32_e32 v136, v137, v135
	v_fma_f32 v138, -v127, v136, v137
	s_delay_alu instid0(VALU_DEP_1) | instskip(NEXT) | instid1(VALU_DEP_1)
	v_fmac_f32_e32 v136, v138, v135
	v_fma_f32 v127, -v127, v136, v137
	s_delay_alu instid0(VALU_DEP_1) | instskip(NEXT) | instid1(VALU_DEP_1)
	v_div_fmas_f32 v127, v127, v135, v136
	v_div_fixup_f32 v127, v127, v128, v129
	s_delay_alu instid0(VALU_DEP_1) | instskip(NEXT) | instid1(VALU_DEP_1)
	v_fmac_f32_e32 v128, v129, v127
	v_div_scale_f32 v129, null, v128, v128, 1.0
	s_delay_alu instid0(VALU_DEP_1) | instskip(SKIP_1) | instid1(TRANS32_DEP_1)
	v_rcp_f32_e32 v135, v129
	v_nop
	v_fma_f32 v136, -v129, v135, 1.0
	s_delay_alu instid0(VALU_DEP_1) | instskip(SKIP_1) | instid1(VALU_DEP_1)
	v_fmac_f32_e32 v135, v136, v135
	v_div_scale_f32 v136, vcc_lo, 1.0, v128, 1.0
	v_mul_f32_e32 v137, v136, v135
	s_delay_alu instid0(VALU_DEP_1) | instskip(NEXT) | instid1(VALU_DEP_1)
	v_fma_f32 v138, -v129, v137, v136
	v_fmac_f32_e32 v137, v138, v135
	s_delay_alu instid0(VALU_DEP_1) | instskip(NEXT) | instid1(VALU_DEP_1)
	v_fma_f32 v129, -v129, v137, v136
	v_div_fmas_f32 v129, v129, v135, v137
	s_delay_alu instid0(VALU_DEP_1) | instskip(NEXT) | instid1(VALU_DEP_1)
	v_div_fixup_f32 v128, v129, v128, 1.0
	v_mul_f32_e64 v129, v127, -v128
.LBB118_282:
	s_or_b32 exec_lo, exec_lo, s1
.LBB118_283:
	s_delay_alu instid0(SALU_CYCLE_1) | instskip(NEXT) | instid1(SALU_CYCLE_1)
	s_or_b32 exec_lo, exec_lo, s0
	s_mov_b32 s0, exec_lo
	v_cmpx_ne_u32_e64 v134, v126
	s_xor_b32 s0, exec_lo, s0
	s_cbranch_execz .LBB118_289
; %bb.284:
	s_mov_b32 s1, exec_lo
	v_cmpx_eq_u32_e32 13, v134
	s_cbranch_execz .LBB118_288
; %bb.285:
	v_cmp_ne_u32_e32 vcc_lo, 13, v126
	s_xor_b32 s12, s16, -1
	s_delay_alu instid0(SALU_CYCLE_1) | instskip(NEXT) | instid1(SALU_CYCLE_1)
	s_and_b32 s13, s12, vcc_lo
	s_and_saveexec_b32 s12, s13
	s_cbranch_execz .LBB118_287
; %bb.286:
	v_ashrrev_i32_e32 v127, 31, v126
	s_delay_alu instid0(VALU_DEP_1)
	v_lshl_add_u64 v[134:135], v[126:127], 2, v[4:5]
	s_clause 0x1
	global_load_b32 v127, v[134:135], off
	global_load_b32 v133, v[4:5], off offset:52
	s_wait_loadcnt 0x1
	global_store_b32 v[4:5], v127, off offset:52
	s_wait_loadcnt 0x0
	global_store_b32 v[134:135], v133, off
.LBB118_287:
	s_wait_xcnt 0x0
	s_or_b32 exec_lo, exec_lo, s12
	v_dual_mov_b32 v134, v126 :: v_dual_mov_b32 v133, v126
.LBB118_288:
	s_or_b32 exec_lo, exec_lo, s1
.LBB118_289:
	s_and_not1_saveexec_b32 s0, s0
	s_cbranch_execz .LBB118_291
; %bb.290:
	v_dual_mov_b32 v126, v100 :: v_dual_mov_b32 v127, v101
	v_dual_mov_b32 v134, v38 :: v_dual_mov_b32 v135, v39
	v_dual_mov_b32 v136, v96 :: v_dual_mov_b32 v137, v97
	v_dual_mov_b32 v138, v92 :: v_dual_mov_b32 v139, v93
	v_dual_mov_b32 v140, v94 :: v_dual_mov_b32 v141, v95
	v_dual_mov_b32 v142, v36 :: v_dual_mov_b32 v143, v37
	v_dual_mov_b32 v144, v90 :: v_dual_mov_b32 v145, v91
	v_dual_mov_b32 v146, v86 :: v_dual_mov_b32 v147, v87
	v_dual_mov_b32 v148, v88 :: v_dual_mov_b32 v149, v89
	v_dual_mov_b32 v150, v30 :: v_dual_mov_b32 v151, v31
	v_dual_mov_b32 v152, v84 :: v_dual_mov_b32 v153, v85
	v_dual_mov_b32 v154, v80 :: v_dual_mov_b32 v155, v81
	ds_store_2addr_b64 v130, v[126:127], v[134:135] offset0:14 offset1:15
	ds_store_2addr_b64 v130, v[136:137], v[138:139] offset0:16 offset1:17
	ds_store_2addr_b64 v130, v[140:141], v[142:143] offset0:18 offset1:19
	ds_store_2addr_b64 v130, v[144:145], v[146:147] offset0:20 offset1:21
	ds_store_2addr_b64 v130, v[148:149], v[150:151] offset0:22 offset1:23
	ds_store_2addr_b64 v130, v[152:153], v[154:155] offset0:24 offset1:25
	v_dual_mov_b32 v126, v82 :: v_dual_mov_b32 v127, v83
	v_dual_mov_b32 v134, v24 :: v_dual_mov_b32 v135, v25
	v_dual_mov_b32 v136, v78 :: v_dual_mov_b32 v137, v79
	v_dual_mov_b32 v138, v74 :: v_dual_mov_b32 v139, v75
	v_dual_mov_b32 v140, v76 :: v_dual_mov_b32 v141, v77
	v_dual_mov_b32 v142, v22 :: v_dual_mov_b32 v143, v23
	v_dual_mov_b32 v144, v72 :: v_dual_mov_b32 v145, v73
	v_dual_mov_b32 v146, v68 :: v_dual_mov_b32 v147, v69
	v_dual_mov_b32 v148, v70 :: v_dual_mov_b32 v149, v71
	v_dual_mov_b32 v150, v20 :: v_dual_mov_b32 v151, v21
	v_dual_mov_b32 v152, v66 :: v_dual_mov_b32 v153, v67
	v_dual_mov_b32 v154, v62 :: v_dual_mov_b32 v155, v63
	ds_store_2addr_b64 v130, v[126:127], v[134:135] offset0:26 offset1:27
	ds_store_2addr_b64 v130, v[136:137], v[138:139] offset0:28 offset1:29
	ds_store_2addr_b64 v130, v[140:141], v[142:143] offset0:30 offset1:31
	ds_store_2addr_b64 v130, v[144:145], v[146:147] offset0:32 offset1:33
	ds_store_2addr_b64 v130, v[148:149], v[150:151] offset0:34 offset1:35
	ds_store_2addr_b64 v130, v[152:153], v[154:155] offset0:36 offset1:37
	;; [unrolled: 18-line block ×3, first 2 shown]
	v_dual_mov_b32 v126, v48 :: v_dual_mov_b32 v127, v49
	v_dual_mov_b32 v136, v8 :: v_dual_mov_b32 v137, v9
	v_dual_mov_b32 v134, 13 :: v_dual_mov_b32 v138, v34
	v_dual_mov_b32 v139, v35 :: v_dual_mov_b32 v140, v28
	v_dual_mov_b32 v141, v29 :: v_dual_mov_b32 v142, v32
	v_dual_mov_b32 v143, v33 :: v_dual_mov_b32 v144, v6
	v_dual_mov_b32 v145, v7 :: v_dual_mov_b32 v146, v26
	v_dual_mov_b32 v147, v27 :: v_dual_mov_b32 v148, v16
	v_dual_mov_b32 v149, v17 :: v_dual_mov_b32 v150, v14
	v_mov_b32_e32 v151, v15
	ds_store_2addr_b64 v130, v[126:127], v[136:137] offset0:50 offset1:51
	ds_store_2addr_b64 v130, v[138:139], v[140:141] offset0:52 offset1:53
	;; [unrolled: 1-line block ×5, first 2 shown]
.LBB118_291:
	s_or_b32 exec_lo, exec_lo, s0
	s_delay_alu instid0(SALU_CYCLE_1)
	s_mov_b32 s0, exec_lo
	s_wait_storecnt_dscnt 0x0
	s_barrier_signal -1
	s_barrier_wait -1
	v_cmpx_lt_i32_e32 13, v134
	s_cbranch_execz .LBB118_293
; %bb.292:
	v_pk_mul_f32 v[136:137], v[128:129], v[98:99] op_sel:[1,1] op_sel_hi:[0,1]
	s_delay_alu instid0(VALU_DEP_1)
	v_pk_fma_f32 v[126:127], v[128:129], v[98:99], v[136:137] op_sel_hi:[1,0,1] neg_lo:[0,0,1] neg_hi:[0,0,1]
	v_pk_fma_f32 v[128:129], v[128:129], v[98:99], v[136:137] op_sel_hi:[1,0,1]
	ds_load_2addr_b64 v[136:139], v130 offset0:14 offset1:15
	v_dual_mov_b32 v98, v126 :: v_dual_mov_b32 v99, v129
	s_wait_dscnt 0x0
	v_pk_mul_f32 v[140:141], v[136:137], v[128:129] op_sel:[0,1]
	s_delay_alu instid0(VALU_DEP_1) | instskip(SKIP_1) | instid1(VALU_DEP_1)
	v_pk_fma_f32 v[142:143], v[136:137], v[126:127], v[140:141] op_sel:[0,0,1] op_sel_hi:[1,1,0] neg_lo:[0,0,1] neg_hi:[0,0,1]
	v_pk_fma_f32 v[136:137], v[136:137], v[126:127], v[140:141] op_sel:[0,0,1] op_sel_hi:[1,0,0]
	v_mov_b32_e32 v143, v137
	v_pk_mul_f32 v[136:137], v[138:139], v[128:129] op_sel:[0,1]
	s_delay_alu instid0(VALU_DEP_1) | instskip(SKIP_1) | instid1(VALU_DEP_1)
	v_pk_fma_f32 v[140:141], v[138:139], v[126:127], v[136:137] op_sel:[0,0,1] op_sel_hi:[1,1,0] neg_lo:[0,0,1] neg_hi:[0,0,1]
	v_pk_fma_f32 v[136:137], v[138:139], v[126:127], v[136:137] op_sel:[0,0,1] op_sel_hi:[1,0,0]
	v_mov_b32_e32 v141, v137
	ds_load_2addr_b64 v[136:139], v130 offset0:16 offset1:17
	v_pk_add_f32 v[100:101], v[100:101], v[142:143] neg_lo:[0,1] neg_hi:[0,1]
	v_pk_add_f32 v[38:39], v[38:39], v[140:141] neg_lo:[0,1] neg_hi:[0,1]
	s_wait_dscnt 0x0
	v_pk_mul_f32 v[140:141], v[136:137], v[128:129] op_sel:[0,1]
	s_delay_alu instid0(VALU_DEP_1) | instskip(SKIP_2) | instid1(VALU_DEP_2)
	v_pk_fma_f32 v[142:143], v[136:137], v[126:127], v[140:141] op_sel:[0,0,1] op_sel_hi:[1,1,0] neg_lo:[0,0,1] neg_hi:[0,0,1]
	v_pk_fma_f32 v[136:137], v[136:137], v[126:127], v[140:141] op_sel:[0,0,1] op_sel_hi:[1,0,0]
	v_dual_mul_f32 v140, v139, v129 :: v_dual_mov_b32 v136, v139
	v_dual_mov_b32 v143, v137 :: v_dual_mov_b32 v137, v138
	s_delay_alu instid0(VALU_DEP_2) | instskip(SKIP_1) | instid1(VALU_DEP_3)
	v_pk_fma_f32 v[140:141], v[138:139], v[98:99], v[140:141] op_sel_hi:[1,1,0] neg_lo:[0,0,1] neg_hi:[0,0,1]
	v_mul_f32_e32 v138, v139, v126
	v_pk_add_f32 v[96:97], v[96:97], v[142:143] neg_lo:[0,1] neg_hi:[0,1]
	s_delay_alu instid0(VALU_DEP_2) | instskip(NEXT) | instid1(VALU_DEP_1)
	v_pk_fma_f32 v[136:137], v[136:137], v[98:99], v[138:139] op_sel_hi:[1,1,0]
	v_mov_b32_e32 v141, v137
	ds_load_2addr_b64 v[136:139], v130 offset0:18 offset1:19
	v_pk_add_f32 v[92:93], v[92:93], v[140:141] neg_lo:[0,1] neg_hi:[0,1]
	s_wait_dscnt 0x0
	v_pk_mul_f32 v[140:141], v[136:137], v[128:129] op_sel:[0,1]
	s_delay_alu instid0(VALU_DEP_1) | instskip(SKIP_1) | instid1(VALU_DEP_1)
	v_pk_fma_f32 v[142:143], v[136:137], v[126:127], v[140:141] op_sel:[0,0,1] op_sel_hi:[1,1,0] neg_lo:[0,0,1] neg_hi:[0,0,1]
	v_pk_fma_f32 v[136:137], v[136:137], v[126:127], v[140:141] op_sel:[0,0,1] op_sel_hi:[1,0,0]
	v_mov_b32_e32 v143, v137
	v_pk_mul_f32 v[136:137], v[138:139], v[128:129] op_sel:[0,1]
	s_delay_alu instid0(VALU_DEP_1) | instskip(SKIP_1) | instid1(VALU_DEP_1)
	v_pk_fma_f32 v[140:141], v[138:139], v[126:127], v[136:137] op_sel:[0,0,1] op_sel_hi:[1,1,0] neg_lo:[0,0,1] neg_hi:[0,0,1]
	v_pk_fma_f32 v[136:137], v[138:139], v[126:127], v[136:137] op_sel:[0,0,1] op_sel_hi:[1,0,0]
	v_mov_b32_e32 v141, v137
	ds_load_2addr_b64 v[136:139], v130 offset0:20 offset1:21
	v_pk_add_f32 v[94:95], v[94:95], v[142:143] neg_lo:[0,1] neg_hi:[0,1]
	v_pk_add_f32 v[36:37], v[36:37], v[140:141] neg_lo:[0,1] neg_hi:[0,1]
	s_wait_dscnt 0x0
	v_pk_mul_f32 v[140:141], v[136:137], v[128:129] op_sel:[0,1]
	s_delay_alu instid0(VALU_DEP_1) | instskip(SKIP_1) | instid1(VALU_DEP_1)
	v_pk_fma_f32 v[142:143], v[136:137], v[126:127], v[140:141] op_sel:[0,0,1] op_sel_hi:[1,1,0] neg_lo:[0,0,1] neg_hi:[0,0,1]
	v_pk_fma_f32 v[136:137], v[136:137], v[126:127], v[140:141] op_sel:[0,0,1] op_sel_hi:[1,0,0]
	v_mov_b32_e32 v143, v137
	v_pk_mul_f32 v[136:137], v[138:139], v[128:129] op_sel:[0,1]
	s_delay_alu instid0(VALU_DEP_1) | instskip(SKIP_1) | instid1(VALU_DEP_1)
	v_pk_fma_f32 v[140:141], v[138:139], v[126:127], v[136:137] op_sel:[0,0,1] op_sel_hi:[1,1,0] neg_lo:[0,0,1] neg_hi:[0,0,1]
	v_pk_fma_f32 v[136:137], v[138:139], v[126:127], v[136:137] op_sel:[0,0,1] op_sel_hi:[1,0,0]
	v_mov_b32_e32 v141, v137
	ds_load_2addr_b64 v[136:139], v130 offset0:22 offset1:23
	v_pk_add_f32 v[90:91], v[90:91], v[142:143] neg_lo:[0,1] neg_hi:[0,1]
	v_pk_add_f32 v[86:87], v[86:87], v[140:141] neg_lo:[0,1] neg_hi:[0,1]
	s_wait_dscnt 0x0
	v_dual_mul_f32 v140, v137, v129 :: v_dual_mul_f32 v142, v137, v126
	s_delay_alu instid0(VALU_DEP_1) | instskip(NEXT) | instid1(VALU_DEP_2)
	v_pk_fma_f32 v[140:141], v[136:137], v[98:99], v[140:141] op_sel_hi:[1,1,0] neg_lo:[0,0,1] neg_hi:[0,0,1]
	v_pk_fma_f32 v[136:137], v[136:137], v[98:99], v[142:143] op_sel:[1,0,0] op_sel_hi:[0,1,0]
	s_delay_alu instid0(VALU_DEP_1) | instskip(SKIP_1) | instid1(VALU_DEP_2)
	v_mov_b32_e32 v141, v137
	v_pk_mul_f32 v[136:137], v[138:139], v[128:129] op_sel:[0,1]
	v_pk_add_f32 v[88:89], v[88:89], v[140:141] neg_lo:[0,1] neg_hi:[0,1]
	s_delay_alu instid0(VALU_DEP_2) | instskip(SKIP_1) | instid1(VALU_DEP_1)
	v_pk_fma_f32 v[140:141], v[138:139], v[126:127], v[136:137] op_sel:[0,0,1] op_sel_hi:[1,1,0] neg_lo:[0,0,1] neg_hi:[0,0,1]
	v_pk_fma_f32 v[136:137], v[138:139], v[126:127], v[136:137] op_sel:[0,0,1] op_sel_hi:[1,0,0]
	v_mov_b32_e32 v141, v137
	ds_load_2addr_b64 v[136:139], v130 offset0:24 offset1:25
	v_pk_add_f32 v[30:31], v[30:31], v[140:141] neg_lo:[0,1] neg_hi:[0,1]
	s_wait_dscnt 0x0
	v_pk_mul_f32 v[140:141], v[136:137], v[128:129] op_sel:[0,1]
	s_delay_alu instid0(VALU_DEP_1) | instskip(SKIP_1) | instid1(VALU_DEP_1)
	v_pk_fma_f32 v[142:143], v[136:137], v[126:127], v[140:141] op_sel:[0,0,1] op_sel_hi:[1,1,0] neg_lo:[0,0,1] neg_hi:[0,0,1]
	v_pk_fma_f32 v[136:137], v[136:137], v[126:127], v[140:141] op_sel:[0,0,1] op_sel_hi:[1,0,0]
	v_mov_b32_e32 v143, v137
	v_pk_mul_f32 v[136:137], v[138:139], v[128:129] op_sel:[0,1]
	s_delay_alu instid0(VALU_DEP_2) | instskip(NEXT) | instid1(VALU_DEP_2)
	v_pk_add_f32 v[84:85], v[84:85], v[142:143] neg_lo:[0,1] neg_hi:[0,1]
	v_pk_fma_f32 v[140:141], v[138:139], v[126:127], v[136:137] op_sel:[0,0,1] op_sel_hi:[1,1,0] neg_lo:[0,0,1] neg_hi:[0,0,1]
	v_pk_fma_f32 v[136:137], v[138:139], v[126:127], v[136:137] op_sel:[0,0,1] op_sel_hi:[1,0,0]
	s_delay_alu instid0(VALU_DEP_1) | instskip(SKIP_4) | instid1(VALU_DEP_1)
	v_mov_b32_e32 v141, v137
	ds_load_2addr_b64 v[136:139], v130 offset0:26 offset1:27
	v_pk_add_f32 v[80:81], v[80:81], v[140:141] neg_lo:[0,1] neg_hi:[0,1]
	s_wait_dscnt 0x0
	v_pk_mul_f32 v[140:141], v[136:137], v[128:129] op_sel:[0,1]
	v_pk_fma_f32 v[142:143], v[136:137], v[126:127], v[140:141] op_sel:[0,0,1] op_sel_hi:[1,1,0] neg_lo:[0,0,1] neg_hi:[0,0,1]
	v_pk_fma_f32 v[136:137], v[136:137], v[126:127], v[140:141] op_sel:[0,0,1] op_sel_hi:[1,0,0]
	v_dual_mul_f32 v140, v139, v129 :: v_dual_mov_b32 v136, v139
	s_delay_alu instid0(VALU_DEP_2) | instskip(NEXT) | instid1(VALU_DEP_2)
	v_dual_mov_b32 v143, v137 :: v_dual_mov_b32 v137, v138
	v_pk_fma_f32 v[140:141], v[138:139], v[98:99], v[140:141] op_sel_hi:[1,1,0] neg_lo:[0,0,1] neg_hi:[0,0,1]
	v_mul_f32_e32 v138, v139, v126
	s_delay_alu instid0(VALU_DEP_3) | instskip(NEXT) | instid1(VALU_DEP_2)
	v_pk_add_f32 v[82:83], v[82:83], v[142:143] neg_lo:[0,1] neg_hi:[0,1]
	v_pk_fma_f32 v[136:137], v[136:137], v[98:99], v[138:139] op_sel_hi:[1,1,0]
	s_delay_alu instid0(VALU_DEP_1) | instskip(SKIP_4) | instid1(VALU_DEP_1)
	v_mov_b32_e32 v141, v137
	ds_load_2addr_b64 v[136:139], v130 offset0:28 offset1:29
	v_pk_add_f32 v[24:25], v[24:25], v[140:141] neg_lo:[0,1] neg_hi:[0,1]
	s_wait_dscnt 0x0
	v_pk_mul_f32 v[140:141], v[136:137], v[128:129] op_sel:[0,1]
	v_pk_fma_f32 v[142:143], v[136:137], v[126:127], v[140:141] op_sel:[0,0,1] op_sel_hi:[1,1,0] neg_lo:[0,0,1] neg_hi:[0,0,1]
	v_pk_fma_f32 v[136:137], v[136:137], v[126:127], v[140:141] op_sel:[0,0,1] op_sel_hi:[1,0,0]
	s_delay_alu instid0(VALU_DEP_1) | instskip(SKIP_1) | instid1(VALU_DEP_1)
	v_mov_b32_e32 v143, v137
	v_pk_mul_f32 v[136:137], v[138:139], v[128:129] op_sel:[0,1]
	v_pk_fma_f32 v[140:141], v[138:139], v[126:127], v[136:137] op_sel:[0,0,1] op_sel_hi:[1,1,0] neg_lo:[0,0,1] neg_hi:[0,0,1]
	v_pk_fma_f32 v[136:137], v[138:139], v[126:127], v[136:137] op_sel:[0,0,1] op_sel_hi:[1,0,0]
	s_delay_alu instid0(VALU_DEP_1)
	v_mov_b32_e32 v141, v137
	ds_load_2addr_b64 v[136:139], v130 offset0:30 offset1:31
	v_pk_add_f32 v[78:79], v[78:79], v[142:143] neg_lo:[0,1] neg_hi:[0,1]
	v_pk_add_f32 v[74:75], v[74:75], v[140:141] neg_lo:[0,1] neg_hi:[0,1]
	s_wait_dscnt 0x0
	v_pk_mul_f32 v[140:141], v[136:137], v[128:129] op_sel:[0,1]
	s_delay_alu instid0(VALU_DEP_1) | instskip(SKIP_1) | instid1(VALU_DEP_1)
	v_pk_fma_f32 v[142:143], v[136:137], v[126:127], v[140:141] op_sel:[0,0,1] op_sel_hi:[1,1,0] neg_lo:[0,0,1] neg_hi:[0,0,1]
	v_pk_fma_f32 v[136:137], v[136:137], v[126:127], v[140:141] op_sel:[0,0,1] op_sel_hi:[1,0,0]
	v_mov_b32_e32 v143, v137
	v_pk_mul_f32 v[136:137], v[138:139], v[128:129] op_sel:[0,1]
	s_delay_alu instid0(VALU_DEP_1) | instskip(SKIP_1) | instid1(VALU_DEP_1)
	v_pk_fma_f32 v[140:141], v[138:139], v[126:127], v[136:137] op_sel:[0,0,1] op_sel_hi:[1,1,0] neg_lo:[0,0,1] neg_hi:[0,0,1]
	v_pk_fma_f32 v[136:137], v[138:139], v[126:127], v[136:137] op_sel:[0,0,1] op_sel_hi:[1,0,0]
	v_mov_b32_e32 v141, v137
	ds_load_2addr_b64 v[136:139], v130 offset0:32 offset1:33
	v_pk_add_f32 v[76:77], v[76:77], v[142:143] neg_lo:[0,1] neg_hi:[0,1]
	v_pk_add_f32 v[22:23], v[22:23], v[140:141] neg_lo:[0,1] neg_hi:[0,1]
	s_wait_dscnt 0x0
	v_dual_mul_f32 v140, v137, v129 :: v_dual_mul_f32 v142, v137, v126
	s_delay_alu instid0(VALU_DEP_1) | instskip(NEXT) | instid1(VALU_DEP_2)
	v_pk_fma_f32 v[140:141], v[136:137], v[98:99], v[140:141] op_sel_hi:[1,1,0] neg_lo:[0,0,1] neg_hi:[0,0,1]
	v_pk_fma_f32 v[136:137], v[136:137], v[98:99], v[142:143] op_sel:[1,0,0] op_sel_hi:[0,1,0]
	s_delay_alu instid0(VALU_DEP_1) | instskip(SKIP_1) | instid1(VALU_DEP_2)
	v_mov_b32_e32 v141, v137
	v_pk_mul_f32 v[136:137], v[138:139], v[128:129] op_sel:[0,1]
	v_pk_add_f32 v[72:73], v[72:73], v[140:141] neg_lo:[0,1] neg_hi:[0,1]
	s_delay_alu instid0(VALU_DEP_2) | instskip(SKIP_1) | instid1(VALU_DEP_1)
	v_pk_fma_f32 v[140:141], v[138:139], v[126:127], v[136:137] op_sel:[0,0,1] op_sel_hi:[1,1,0] neg_lo:[0,0,1] neg_hi:[0,0,1]
	v_pk_fma_f32 v[136:137], v[138:139], v[126:127], v[136:137] op_sel:[0,0,1] op_sel_hi:[1,0,0]
	v_mov_b32_e32 v141, v137
	ds_load_2addr_b64 v[136:139], v130 offset0:34 offset1:35
	v_pk_add_f32 v[68:69], v[68:69], v[140:141] neg_lo:[0,1] neg_hi:[0,1]
	s_wait_dscnt 0x0
	v_pk_mul_f32 v[140:141], v[136:137], v[128:129] op_sel:[0,1]
	s_delay_alu instid0(VALU_DEP_1) | instskip(SKIP_1) | instid1(VALU_DEP_1)
	v_pk_fma_f32 v[142:143], v[136:137], v[126:127], v[140:141] op_sel:[0,0,1] op_sel_hi:[1,1,0] neg_lo:[0,0,1] neg_hi:[0,0,1]
	v_pk_fma_f32 v[136:137], v[136:137], v[126:127], v[140:141] op_sel:[0,0,1] op_sel_hi:[1,0,0]
	v_mov_b32_e32 v143, v137
	v_pk_mul_f32 v[136:137], v[138:139], v[128:129] op_sel:[0,1]
	s_delay_alu instid0(VALU_DEP_2) | instskip(NEXT) | instid1(VALU_DEP_2)
	v_pk_add_f32 v[70:71], v[70:71], v[142:143] neg_lo:[0,1] neg_hi:[0,1]
	v_pk_fma_f32 v[140:141], v[138:139], v[126:127], v[136:137] op_sel:[0,0,1] op_sel_hi:[1,1,0] neg_lo:[0,0,1] neg_hi:[0,0,1]
	v_pk_fma_f32 v[136:137], v[138:139], v[126:127], v[136:137] op_sel:[0,0,1] op_sel_hi:[1,0,0]
	s_delay_alu instid0(VALU_DEP_1) | instskip(SKIP_4) | instid1(VALU_DEP_1)
	v_mov_b32_e32 v141, v137
	ds_load_2addr_b64 v[136:139], v130 offset0:36 offset1:37
	v_pk_add_f32 v[20:21], v[20:21], v[140:141] neg_lo:[0,1] neg_hi:[0,1]
	s_wait_dscnt 0x0
	v_pk_mul_f32 v[140:141], v[136:137], v[128:129] op_sel:[0,1]
	v_pk_fma_f32 v[142:143], v[136:137], v[126:127], v[140:141] op_sel:[0,0,1] op_sel_hi:[1,1,0] neg_lo:[0,0,1] neg_hi:[0,0,1]
	v_pk_fma_f32 v[136:137], v[136:137], v[126:127], v[140:141] op_sel:[0,0,1] op_sel_hi:[1,0,0]
	v_dual_mul_f32 v140, v139, v129 :: v_dual_mov_b32 v136, v139
	s_delay_alu instid0(VALU_DEP_2) | instskip(NEXT) | instid1(VALU_DEP_2)
	v_dual_mov_b32 v143, v137 :: v_dual_mov_b32 v137, v138
	v_pk_fma_f32 v[140:141], v[138:139], v[98:99], v[140:141] op_sel_hi:[1,1,0] neg_lo:[0,0,1] neg_hi:[0,0,1]
	v_mul_f32_e32 v138, v139, v126
	s_delay_alu instid0(VALU_DEP_3) | instskip(NEXT) | instid1(VALU_DEP_2)
	v_pk_add_f32 v[66:67], v[66:67], v[142:143] neg_lo:[0,1] neg_hi:[0,1]
	v_pk_fma_f32 v[136:137], v[136:137], v[98:99], v[138:139] op_sel_hi:[1,1,0]
	s_delay_alu instid0(VALU_DEP_1) | instskip(SKIP_4) | instid1(VALU_DEP_1)
	v_mov_b32_e32 v141, v137
	ds_load_2addr_b64 v[136:139], v130 offset0:38 offset1:39
	v_pk_add_f32 v[62:63], v[62:63], v[140:141] neg_lo:[0,1] neg_hi:[0,1]
	s_wait_dscnt 0x0
	v_pk_mul_f32 v[140:141], v[136:137], v[128:129] op_sel:[0,1]
	v_pk_fma_f32 v[142:143], v[136:137], v[126:127], v[140:141] op_sel:[0,0,1] op_sel_hi:[1,1,0] neg_lo:[0,0,1] neg_hi:[0,0,1]
	v_pk_fma_f32 v[136:137], v[136:137], v[126:127], v[140:141] op_sel:[0,0,1] op_sel_hi:[1,0,0]
	s_delay_alu instid0(VALU_DEP_1) | instskip(SKIP_1) | instid1(VALU_DEP_1)
	v_mov_b32_e32 v143, v137
	v_pk_mul_f32 v[136:137], v[138:139], v[128:129] op_sel:[0,1]
	v_pk_fma_f32 v[140:141], v[138:139], v[126:127], v[136:137] op_sel:[0,0,1] op_sel_hi:[1,1,0] neg_lo:[0,0,1] neg_hi:[0,0,1]
	v_pk_fma_f32 v[136:137], v[138:139], v[126:127], v[136:137] op_sel:[0,0,1] op_sel_hi:[1,0,0]
	s_delay_alu instid0(VALU_DEP_1)
	v_mov_b32_e32 v141, v137
	ds_load_2addr_b64 v[136:139], v130 offset0:40 offset1:41
	v_pk_add_f32 v[64:65], v[64:65], v[142:143] neg_lo:[0,1] neg_hi:[0,1]
	v_pk_add_f32 v[18:19], v[18:19], v[140:141] neg_lo:[0,1] neg_hi:[0,1]
	s_wait_dscnt 0x0
	v_pk_mul_f32 v[140:141], v[136:137], v[128:129] op_sel:[0,1]
	s_delay_alu instid0(VALU_DEP_1) | instskip(SKIP_1) | instid1(VALU_DEP_1)
	v_pk_fma_f32 v[142:143], v[136:137], v[126:127], v[140:141] op_sel:[0,0,1] op_sel_hi:[1,1,0] neg_lo:[0,0,1] neg_hi:[0,0,1]
	v_pk_fma_f32 v[136:137], v[136:137], v[126:127], v[140:141] op_sel:[0,0,1] op_sel_hi:[1,0,0]
	v_mov_b32_e32 v143, v137
	v_pk_mul_f32 v[136:137], v[138:139], v[128:129] op_sel:[0,1]
	s_delay_alu instid0(VALU_DEP_1) | instskip(SKIP_1) | instid1(VALU_DEP_1)
	v_pk_fma_f32 v[140:141], v[138:139], v[126:127], v[136:137] op_sel:[0,0,1] op_sel_hi:[1,1,0] neg_lo:[0,0,1] neg_hi:[0,0,1]
	v_pk_fma_f32 v[136:137], v[138:139], v[126:127], v[136:137] op_sel:[0,0,1] op_sel_hi:[1,0,0]
	v_mov_b32_e32 v141, v137
	ds_load_2addr_b64 v[136:139], v130 offset0:42 offset1:43
	v_pk_add_f32 v[60:61], v[60:61], v[142:143] neg_lo:[0,1] neg_hi:[0,1]
	v_pk_add_f32 v[56:57], v[56:57], v[140:141] neg_lo:[0,1] neg_hi:[0,1]
	s_wait_dscnt 0x0
	v_dual_mul_f32 v140, v137, v129 :: v_dual_mul_f32 v142, v137, v126
	s_delay_alu instid0(VALU_DEP_1) | instskip(NEXT) | instid1(VALU_DEP_2)
	v_pk_fma_f32 v[140:141], v[136:137], v[98:99], v[140:141] op_sel_hi:[1,1,0] neg_lo:[0,0,1] neg_hi:[0,0,1]
	v_pk_fma_f32 v[136:137], v[136:137], v[98:99], v[142:143] op_sel:[1,0,0] op_sel_hi:[0,1,0]
	s_delay_alu instid0(VALU_DEP_1) | instskip(SKIP_1) | instid1(VALU_DEP_2)
	v_mov_b32_e32 v141, v137
	v_pk_mul_f32 v[136:137], v[138:139], v[128:129] op_sel:[0,1]
	v_pk_add_f32 v[58:59], v[58:59], v[140:141] neg_lo:[0,1] neg_hi:[0,1]
	s_delay_alu instid0(VALU_DEP_2) | instskip(SKIP_1) | instid1(VALU_DEP_1)
	v_pk_fma_f32 v[140:141], v[138:139], v[126:127], v[136:137] op_sel:[0,0,1] op_sel_hi:[1,1,0] neg_lo:[0,0,1] neg_hi:[0,0,1]
	v_pk_fma_f32 v[136:137], v[138:139], v[126:127], v[136:137] op_sel:[0,0,1] op_sel_hi:[1,0,0]
	v_mov_b32_e32 v141, v137
	ds_load_2addr_b64 v[136:139], v130 offset0:44 offset1:45
	v_pk_add_f32 v[12:13], v[12:13], v[140:141] neg_lo:[0,1] neg_hi:[0,1]
	s_wait_dscnt 0x0
	v_pk_mul_f32 v[140:141], v[136:137], v[128:129] op_sel:[0,1]
	s_delay_alu instid0(VALU_DEP_1) | instskip(SKIP_1) | instid1(VALU_DEP_1)
	v_pk_fma_f32 v[142:143], v[136:137], v[126:127], v[140:141] op_sel:[0,0,1] op_sel_hi:[1,1,0] neg_lo:[0,0,1] neg_hi:[0,0,1]
	v_pk_fma_f32 v[136:137], v[136:137], v[126:127], v[140:141] op_sel:[0,0,1] op_sel_hi:[1,0,0]
	v_mov_b32_e32 v143, v137
	v_pk_mul_f32 v[136:137], v[138:139], v[128:129] op_sel:[0,1]
	s_delay_alu instid0(VALU_DEP_2) | instskip(NEXT) | instid1(VALU_DEP_2)
	v_pk_add_f32 v[54:55], v[54:55], v[142:143] neg_lo:[0,1] neg_hi:[0,1]
	v_pk_fma_f32 v[140:141], v[138:139], v[126:127], v[136:137] op_sel:[0,0,1] op_sel_hi:[1,1,0] neg_lo:[0,0,1] neg_hi:[0,0,1]
	v_pk_fma_f32 v[136:137], v[138:139], v[126:127], v[136:137] op_sel:[0,0,1] op_sel_hi:[1,0,0]
	s_delay_alu instid0(VALU_DEP_1) | instskip(SKIP_4) | instid1(VALU_DEP_1)
	v_mov_b32_e32 v141, v137
	ds_load_2addr_b64 v[136:139], v130 offset0:46 offset1:47
	v_pk_add_f32 v[50:51], v[50:51], v[140:141] neg_lo:[0,1] neg_hi:[0,1]
	s_wait_dscnt 0x0
	v_pk_mul_f32 v[140:141], v[136:137], v[128:129] op_sel:[0,1]
	v_pk_fma_f32 v[142:143], v[136:137], v[126:127], v[140:141] op_sel:[0,0,1] op_sel_hi:[1,1,0] neg_lo:[0,0,1] neg_hi:[0,0,1]
	v_pk_fma_f32 v[136:137], v[136:137], v[126:127], v[140:141] op_sel:[0,0,1] op_sel_hi:[1,0,0]
	v_dual_mul_f32 v140, v139, v129 :: v_dual_mov_b32 v136, v139
	s_delay_alu instid0(VALU_DEP_2) | instskip(NEXT) | instid1(VALU_DEP_2)
	v_dual_mov_b32 v143, v137 :: v_dual_mov_b32 v137, v138
	v_pk_fma_f32 v[140:141], v[138:139], v[98:99], v[140:141] op_sel_hi:[1,1,0] neg_lo:[0,0,1] neg_hi:[0,0,1]
	v_mul_f32_e32 v138, v139, v126
	s_delay_alu instid0(VALU_DEP_3) | instskip(NEXT) | instid1(VALU_DEP_2)
	v_pk_add_f32 v[52:53], v[52:53], v[142:143] neg_lo:[0,1] neg_hi:[0,1]
	v_pk_fma_f32 v[136:137], v[136:137], v[98:99], v[138:139] op_sel_hi:[1,1,0]
	s_delay_alu instid0(VALU_DEP_1) | instskip(SKIP_4) | instid1(VALU_DEP_1)
	v_mov_b32_e32 v141, v137
	ds_load_2addr_b64 v[136:139], v130 offset0:48 offset1:49
	v_pk_add_f32 v[10:11], v[10:11], v[140:141] neg_lo:[0,1] neg_hi:[0,1]
	s_wait_dscnt 0x0
	v_pk_mul_f32 v[140:141], v[136:137], v[128:129] op_sel:[0,1]
	v_pk_fma_f32 v[142:143], v[136:137], v[126:127], v[140:141] op_sel:[0,0,1] op_sel_hi:[1,1,0] neg_lo:[0,0,1] neg_hi:[0,0,1]
	v_pk_fma_f32 v[136:137], v[136:137], v[126:127], v[140:141] op_sel:[0,0,1] op_sel_hi:[1,0,0]
	s_delay_alu instid0(VALU_DEP_1) | instskip(SKIP_1) | instid1(VALU_DEP_1)
	v_mov_b32_e32 v143, v137
	v_pk_mul_f32 v[136:137], v[138:139], v[128:129] op_sel:[0,1]
	v_pk_fma_f32 v[140:141], v[138:139], v[126:127], v[136:137] op_sel:[0,0,1] op_sel_hi:[1,1,0] neg_lo:[0,0,1] neg_hi:[0,0,1]
	v_pk_fma_f32 v[136:137], v[138:139], v[126:127], v[136:137] op_sel:[0,0,1] op_sel_hi:[1,0,0]
	s_delay_alu instid0(VALU_DEP_1)
	v_mov_b32_e32 v141, v137
	ds_load_2addr_b64 v[136:139], v130 offset0:50 offset1:51
	v_pk_add_f32 v[46:47], v[46:47], v[142:143] neg_lo:[0,1] neg_hi:[0,1]
	v_pk_add_f32 v[44:45], v[44:45], v[140:141] neg_lo:[0,1] neg_hi:[0,1]
	s_wait_dscnt 0x0
	v_pk_mul_f32 v[140:141], v[136:137], v[128:129] op_sel:[0,1]
	s_delay_alu instid0(VALU_DEP_1) | instskip(SKIP_1) | instid1(VALU_DEP_1)
	v_pk_fma_f32 v[142:143], v[136:137], v[126:127], v[140:141] op_sel:[0,0,1] op_sel_hi:[1,1,0] neg_lo:[0,0,1] neg_hi:[0,0,1]
	v_pk_fma_f32 v[136:137], v[136:137], v[126:127], v[140:141] op_sel:[0,0,1] op_sel_hi:[1,0,0]
	v_mov_b32_e32 v143, v137
	v_pk_mul_f32 v[136:137], v[138:139], v[128:129] op_sel:[0,1]
	s_delay_alu instid0(VALU_DEP_1) | instskip(SKIP_1) | instid1(VALU_DEP_1)
	v_pk_fma_f32 v[140:141], v[138:139], v[126:127], v[136:137] op_sel:[0,0,1] op_sel_hi:[1,1,0] neg_lo:[0,0,1] neg_hi:[0,0,1]
	v_pk_fma_f32 v[136:137], v[138:139], v[126:127], v[136:137] op_sel:[0,0,1] op_sel_hi:[1,0,0]
	v_mov_b32_e32 v141, v137
	ds_load_2addr_b64 v[136:139], v130 offset0:52 offset1:53
	v_pk_add_f32 v[48:49], v[48:49], v[142:143] neg_lo:[0,1] neg_hi:[0,1]
	v_pk_add_f32 v[8:9], v[8:9], v[140:141] neg_lo:[0,1] neg_hi:[0,1]
	s_wait_dscnt 0x0
	v_dual_mul_f32 v140, v137, v129 :: v_dual_mul_f32 v142, v137, v126
	s_delay_alu instid0(VALU_DEP_1) | instskip(NEXT) | instid1(VALU_DEP_2)
	v_pk_fma_f32 v[140:141], v[136:137], v[98:99], v[140:141] op_sel_hi:[1,1,0] neg_lo:[0,0,1] neg_hi:[0,0,1]
	v_pk_fma_f32 v[136:137], v[136:137], v[98:99], v[142:143] op_sel:[1,0,0] op_sel_hi:[0,1,0]
	s_delay_alu instid0(VALU_DEP_1) | instskip(SKIP_1) | instid1(VALU_DEP_2)
	v_mov_b32_e32 v141, v137
	v_pk_mul_f32 v[136:137], v[138:139], v[128:129] op_sel:[0,1]
	v_pk_add_f32 v[34:35], v[34:35], v[140:141] neg_lo:[0,1] neg_hi:[0,1]
	s_delay_alu instid0(VALU_DEP_2) | instskip(SKIP_1) | instid1(VALU_DEP_1)
	v_pk_fma_f32 v[140:141], v[138:139], v[126:127], v[136:137] op_sel:[0,0,1] op_sel_hi:[1,1,0] neg_lo:[0,0,1] neg_hi:[0,0,1]
	v_pk_fma_f32 v[136:137], v[138:139], v[126:127], v[136:137] op_sel:[0,0,1] op_sel_hi:[1,0,0]
	v_mov_b32_e32 v141, v137
	ds_load_2addr_b64 v[136:139], v130 offset0:54 offset1:55
	v_pk_add_f32 v[28:29], v[28:29], v[140:141] neg_lo:[0,1] neg_hi:[0,1]
	s_wait_dscnt 0x0
	v_pk_mul_f32 v[140:141], v[136:137], v[128:129] op_sel:[0,1]
	s_delay_alu instid0(VALU_DEP_1) | instskip(SKIP_1) | instid1(VALU_DEP_1)
	v_pk_fma_f32 v[142:143], v[136:137], v[126:127], v[140:141] op_sel:[0,0,1] op_sel_hi:[1,1,0] neg_lo:[0,0,1] neg_hi:[0,0,1]
	v_pk_fma_f32 v[136:137], v[136:137], v[126:127], v[140:141] op_sel:[0,0,1] op_sel_hi:[1,0,0]
	v_mov_b32_e32 v143, v137
	v_pk_mul_f32 v[136:137], v[138:139], v[128:129] op_sel:[0,1]
	s_delay_alu instid0(VALU_DEP_2) | instskip(NEXT) | instid1(VALU_DEP_2)
	v_pk_add_f32 v[32:33], v[32:33], v[142:143] neg_lo:[0,1] neg_hi:[0,1]
	v_pk_fma_f32 v[140:141], v[138:139], v[126:127], v[136:137] op_sel:[0,0,1] op_sel_hi:[1,1,0] neg_lo:[0,0,1] neg_hi:[0,0,1]
	v_pk_fma_f32 v[136:137], v[138:139], v[126:127], v[136:137] op_sel:[0,0,1] op_sel_hi:[1,0,0]
	s_delay_alu instid0(VALU_DEP_1) | instskip(SKIP_4) | instid1(VALU_DEP_1)
	v_mov_b32_e32 v141, v137
	ds_load_2addr_b64 v[136:139], v130 offset0:56 offset1:57
	v_pk_add_f32 v[6:7], v[6:7], v[140:141] neg_lo:[0,1] neg_hi:[0,1]
	s_wait_dscnt 0x0
	v_pk_mul_f32 v[140:141], v[136:137], v[128:129] op_sel:[0,1]
	v_pk_fma_f32 v[142:143], v[136:137], v[126:127], v[140:141] op_sel:[0,0,1] op_sel_hi:[1,1,0] neg_lo:[0,0,1] neg_hi:[0,0,1]
	v_pk_fma_f32 v[136:137], v[136:137], v[126:127], v[140:141] op_sel:[0,0,1] op_sel_hi:[1,0,0]
	v_dual_mul_f32 v140, v139, v129 :: v_dual_mov_b32 v136, v139
	s_delay_alu instid0(VALU_DEP_2) | instskip(NEXT) | instid1(VALU_DEP_2)
	v_dual_mov_b32 v143, v137 :: v_dual_mov_b32 v137, v138
	v_pk_fma_f32 v[140:141], v[138:139], v[98:99], v[140:141] op_sel_hi:[1,1,0] neg_lo:[0,0,1] neg_hi:[0,0,1]
	v_mul_f32_e32 v138, v139, v126
	s_delay_alu instid0(VALU_DEP_3) | instskip(NEXT) | instid1(VALU_DEP_2)
	v_pk_add_f32 v[26:27], v[26:27], v[142:143] neg_lo:[0,1] neg_hi:[0,1]
	v_pk_fma_f32 v[136:137], v[136:137], v[98:99], v[138:139] op_sel_hi:[1,1,0]
	s_delay_alu instid0(VALU_DEP_1)
	v_mov_b32_e32 v141, v137
	ds_load_2addr_b64 v[136:139], v130 offset0:58 offset1:59
	v_pk_add_f32 v[16:17], v[16:17], v[140:141] neg_lo:[0,1] neg_hi:[0,1]
	s_wait_dscnt 0x0
	v_pk_mul_f32 v[140:141], v[136:137], v[128:129] op_sel:[0,1]
	v_pk_mul_f32 v[128:129], v[138:139], v[128:129] op_sel:[0,1]
	s_delay_alu instid0(VALU_DEP_2) | instskip(SKIP_1) | instid1(VALU_DEP_1)
	v_pk_fma_f32 v[142:143], v[136:137], v[126:127], v[140:141] op_sel:[0,0,1] op_sel_hi:[1,1,0] neg_lo:[0,0,1] neg_hi:[0,0,1]
	v_pk_fma_f32 v[136:137], v[136:137], v[126:127], v[140:141] op_sel:[0,0,1] op_sel_hi:[1,0,0]
	v_mov_b32_e32 v143, v137
	s_delay_alu instid0(VALU_DEP_4) | instskip(SKIP_1) | instid1(VALU_DEP_1)
	v_pk_fma_f32 v[136:137], v[138:139], v[126:127], v[128:129] op_sel:[0,0,1] op_sel_hi:[1,1,0] neg_lo:[0,0,1] neg_hi:[0,0,1]
	v_pk_fma_f32 v[126:127], v[138:139], v[126:127], v[128:129] op_sel:[0,0,1] op_sel_hi:[1,0,0]
	v_mov_b32_e32 v137, v127
	s_delay_alu instid0(VALU_DEP_4) | instskip(NEXT) | instid1(VALU_DEP_2)
	v_pk_add_f32 v[14:15], v[14:15], v[142:143] neg_lo:[0,1] neg_hi:[0,1]
	v_pk_add_f32 v[124:125], v[124:125], v[136:137] neg_lo:[0,1] neg_hi:[0,1]
.LBB118_293:
	s_or_b32 exec_lo, exec_lo, s0
	v_lshl_add_u32 v126, v134, 3, v130
	s_barrier_signal -1
	s_barrier_wait -1
	ds_store_b64 v126, v[100:101]
	s_wait_dscnt 0x0
	s_barrier_signal -1
	s_barrier_wait -1
	ds_load_b64 v[128:129], v130 offset:112
	v_mov_b32_e32 v126, 14
	s_cmp_lt_i32 s18, 16
	s_cbranch_scc1 .LBB118_296
; %bb.294:
	v_add3_u32 v127, v131, 0, 0x78
	v_mov_b32_e32 v126, 14
	s_mov_b32 s0, 15
.LBB118_295:                            ; =>This Inner Loop Header: Depth=1
	ds_load_b64 v[136:137], v127
	s_wait_dscnt 0x1
	v_cmp_gt_f32_e32 vcc_lo, 0, v128
	v_cndmask_b32_e64 v138, v128, -v128, vcc_lo
	v_cmp_gt_f32_e32 vcc_lo, 0, v129
	v_cndmask_b32_e64 v140, v129, -v129, vcc_lo
	s_wait_dscnt 0x0
	v_cmp_gt_f32_e32 vcc_lo, 0, v136
	v_cndmask_b32_e64 v139, v136, -v136, vcc_lo
	v_cmp_gt_f32_e32 vcc_lo, 0, v137
	v_cndmask_b32_e64 v141, v137, -v137, vcc_lo
	s_delay_alu instid0(VALU_DEP_1) | instskip(NEXT) | instid1(VALU_DEP_1)
	v_pk_add_f32 v[138:139], v[138:139], v[140:141]
	v_cmp_lt_f32_e32 vcc_lo, v138, v139
	v_dual_add_nc_u32 v127, 8, v127 :: v_dual_cndmask_b32 v129, v129, v137, vcc_lo
	v_cndmask_b32_e32 v128, v128, v136, vcc_lo
	v_cndmask_b32_e64 v126, v126, s0, vcc_lo
	s_add_co_i32 s0, s0, 1
	s_delay_alu instid0(SALU_CYCLE_1)
	s_cmp_lg_u32 s18, s0
	s_cbranch_scc1 .LBB118_295
.LBB118_296:
	s_wait_dscnt 0x0
	v_cmp_eq_f32_e32 vcc_lo, 0, v128
	v_cmp_eq_f32_e64 s0, 0, v129
	s_and_b32 s0, vcc_lo, s0
	s_delay_alu instid0(SALU_CYCLE_1) | instskip(NEXT) | instid1(SALU_CYCLE_1)
	s_and_saveexec_b32 s1, s0
	s_xor_b32 s0, exec_lo, s1
; %bb.297:
	v_cmp_ne_u32_e32 vcc_lo, 0, v132
	v_cndmask_b32_e32 v132, 15, v132, vcc_lo
; %bb.298:
	s_and_not1_saveexec_b32 s0, s0
	s_cbranch_execz .LBB118_304
; %bb.299:
	v_cmp_ngt_f32_e64 s1, |v128|, |v129|
	s_and_saveexec_b32 s12, s1
	s_delay_alu instid0(SALU_CYCLE_1)
	s_xor_b32 s1, exec_lo, s12
	s_cbranch_execz .LBB118_301
; %bb.300:
	v_div_scale_f32 v127, null, v129, v129, v128
	v_div_scale_f32 v137, vcc_lo, v128, v129, v128
	s_delay_alu instid0(VALU_DEP_2) | instskip(SKIP_1) | instid1(TRANS32_DEP_1)
	v_rcp_f32_e32 v135, v127
	v_nop
	v_fma_f32 v136, -v127, v135, 1.0
	s_delay_alu instid0(VALU_DEP_1) | instskip(NEXT) | instid1(VALU_DEP_1)
	v_fmac_f32_e32 v135, v136, v135
	v_mul_f32_e32 v136, v137, v135
	s_delay_alu instid0(VALU_DEP_1) | instskip(NEXT) | instid1(VALU_DEP_1)
	v_fma_f32 v138, -v127, v136, v137
	v_fmac_f32_e32 v136, v138, v135
	s_delay_alu instid0(VALU_DEP_1) | instskip(NEXT) | instid1(VALU_DEP_1)
	v_fma_f32 v127, -v127, v136, v137
	v_div_fmas_f32 v127, v127, v135, v136
	s_delay_alu instid0(VALU_DEP_1) | instskip(NEXT) | instid1(VALU_DEP_1)
	v_div_fixup_f32 v127, v127, v129, v128
	v_fmac_f32_e32 v129, v128, v127
	s_delay_alu instid0(VALU_DEP_1) | instskip(SKIP_1) | instid1(VALU_DEP_2)
	v_div_scale_f32 v128, null, v129, v129, 1.0
	v_div_scale_f32 v137, vcc_lo, 1.0, v129, 1.0
	v_rcp_f32_e32 v135, v128
	v_nop
	s_delay_alu instid0(TRANS32_DEP_1) | instskip(NEXT) | instid1(VALU_DEP_1)
	v_fma_f32 v136, -v128, v135, 1.0
	v_fmac_f32_e32 v135, v136, v135
	s_delay_alu instid0(VALU_DEP_1) | instskip(NEXT) | instid1(VALU_DEP_1)
	v_mul_f32_e32 v136, v137, v135
	v_fma_f32 v138, -v128, v136, v137
	s_delay_alu instid0(VALU_DEP_1) | instskip(NEXT) | instid1(VALU_DEP_1)
	v_fmac_f32_e32 v136, v138, v135
	v_fma_f32 v128, -v128, v136, v137
	s_delay_alu instid0(VALU_DEP_1) | instskip(NEXT) | instid1(VALU_DEP_1)
	v_div_fmas_f32 v128, v128, v135, v136
	v_div_fixup_f32 v129, v128, v129, 1.0
	s_delay_alu instid0(VALU_DEP_1)
	v_mul_f32_e32 v128, v127, v129
	v_xor_b32_e32 v129, 0x80000000, v129
.LBB118_301:
	s_and_not1_saveexec_b32 s1, s1
	s_cbranch_execz .LBB118_303
; %bb.302:
	s_delay_alu instid0(VALU_DEP_1) | instskip(SKIP_1) | instid1(VALU_DEP_2)
	v_div_scale_f32 v127, null, v128, v128, v129
	v_div_scale_f32 v137, vcc_lo, v129, v128, v129
	v_rcp_f32_e32 v135, v127
	v_nop
	s_delay_alu instid0(TRANS32_DEP_1) | instskip(NEXT) | instid1(VALU_DEP_1)
	v_fma_f32 v136, -v127, v135, 1.0
	v_fmac_f32_e32 v135, v136, v135
	s_delay_alu instid0(VALU_DEP_1) | instskip(NEXT) | instid1(VALU_DEP_1)
	v_mul_f32_e32 v136, v137, v135
	v_fma_f32 v138, -v127, v136, v137
	s_delay_alu instid0(VALU_DEP_1) | instskip(NEXT) | instid1(VALU_DEP_1)
	v_fmac_f32_e32 v136, v138, v135
	v_fma_f32 v127, -v127, v136, v137
	s_delay_alu instid0(VALU_DEP_1) | instskip(NEXT) | instid1(VALU_DEP_1)
	v_div_fmas_f32 v127, v127, v135, v136
	v_div_fixup_f32 v127, v127, v128, v129
	s_delay_alu instid0(VALU_DEP_1) | instskip(NEXT) | instid1(VALU_DEP_1)
	v_fmac_f32_e32 v128, v129, v127
	v_div_scale_f32 v129, null, v128, v128, 1.0
	s_delay_alu instid0(VALU_DEP_1) | instskip(SKIP_1) | instid1(TRANS32_DEP_1)
	v_rcp_f32_e32 v135, v129
	v_nop
	v_fma_f32 v136, -v129, v135, 1.0
	s_delay_alu instid0(VALU_DEP_1) | instskip(SKIP_1) | instid1(VALU_DEP_1)
	v_fmac_f32_e32 v135, v136, v135
	v_div_scale_f32 v136, vcc_lo, 1.0, v128, 1.0
	v_mul_f32_e32 v137, v136, v135
	s_delay_alu instid0(VALU_DEP_1) | instskip(NEXT) | instid1(VALU_DEP_1)
	v_fma_f32 v138, -v129, v137, v136
	v_fmac_f32_e32 v137, v138, v135
	s_delay_alu instid0(VALU_DEP_1) | instskip(NEXT) | instid1(VALU_DEP_1)
	v_fma_f32 v129, -v129, v137, v136
	v_div_fmas_f32 v129, v129, v135, v137
	s_delay_alu instid0(VALU_DEP_1) | instskip(NEXT) | instid1(VALU_DEP_1)
	v_div_fixup_f32 v128, v129, v128, 1.0
	v_mul_f32_e64 v129, v127, -v128
.LBB118_303:
	s_or_b32 exec_lo, exec_lo, s1
.LBB118_304:
	s_delay_alu instid0(SALU_CYCLE_1) | instskip(NEXT) | instid1(SALU_CYCLE_1)
	s_or_b32 exec_lo, exec_lo, s0
	s_mov_b32 s0, exec_lo
	v_cmpx_ne_u32_e64 v134, v126
	s_xor_b32 s0, exec_lo, s0
	s_cbranch_execz .LBB118_310
; %bb.305:
	s_mov_b32 s1, exec_lo
	v_cmpx_eq_u32_e32 14, v134
	s_cbranch_execz .LBB118_309
; %bb.306:
	v_cmp_ne_u32_e32 vcc_lo, 14, v126
	s_xor_b32 s12, s16, -1
	s_delay_alu instid0(SALU_CYCLE_1) | instskip(NEXT) | instid1(SALU_CYCLE_1)
	s_and_b32 s13, s12, vcc_lo
	s_and_saveexec_b32 s12, s13
	s_cbranch_execz .LBB118_308
; %bb.307:
	v_ashrrev_i32_e32 v127, 31, v126
	s_delay_alu instid0(VALU_DEP_1)
	v_lshl_add_u64 v[134:135], v[126:127], 2, v[4:5]
	s_clause 0x1
	global_load_b32 v127, v[134:135], off
	global_load_b32 v133, v[4:5], off offset:56
	s_wait_loadcnt 0x1
	global_store_b32 v[4:5], v127, off offset:56
	s_wait_loadcnt 0x0
	global_store_b32 v[134:135], v133, off
.LBB118_308:
	s_wait_xcnt 0x0
	s_or_b32 exec_lo, exec_lo, s12
	v_dual_mov_b32 v134, v126 :: v_dual_mov_b32 v133, v126
.LBB118_309:
	s_or_b32 exec_lo, exec_lo, s1
.LBB118_310:
	s_and_not1_saveexec_b32 s0, s0
	s_cbranch_execz .LBB118_312
; %bb.311:
	v_mov_b32_e32 v134, 14
	ds_store_2addr_b64 v130, v[38:39], v[96:97] offset0:15 offset1:16
	ds_store_2addr_b64 v130, v[92:93], v[94:95] offset0:17 offset1:18
	;; [unrolled: 1-line block ×22, first 2 shown]
	ds_store_b64 v130, v[124:125] offset:472
.LBB118_312:
	s_or_b32 exec_lo, exec_lo, s0
	s_delay_alu instid0(SALU_CYCLE_1)
	s_mov_b32 s0, exec_lo
	s_wait_storecnt_dscnt 0x0
	s_barrier_signal -1
	s_barrier_wait -1
	v_cmpx_lt_i32_e32 14, v134
	s_cbranch_execz .LBB118_314
; %bb.313:
	v_pk_mul_f32 v[136:137], v[128:129], v[100:101] op_sel:[1,1] op_sel_hi:[0,1]
	s_delay_alu instid0(VALU_DEP_1)
	v_pk_fma_f32 v[126:127], v[128:129], v[100:101], v[136:137] op_sel_hi:[1,0,1] neg_lo:[0,0,1] neg_hi:[0,0,1]
	v_pk_fma_f32 v[128:129], v[128:129], v[100:101], v[136:137] op_sel_hi:[1,0,1]
	ds_load_2addr_b64 v[136:139], v130 offset0:15 offset1:16
	v_dual_mov_b32 v100, v126 :: v_dual_mov_b32 v101, v129
	s_wait_dscnt 0x0
	v_pk_mul_f32 v[140:141], v[136:137], v[128:129] op_sel:[0,1]
	s_delay_alu instid0(VALU_DEP_1) | instskip(SKIP_1) | instid1(VALU_DEP_1)
	v_pk_fma_f32 v[142:143], v[136:137], v[126:127], v[140:141] op_sel:[0,0,1] op_sel_hi:[1,1,0] neg_lo:[0,0,1] neg_hi:[0,0,1]
	v_pk_fma_f32 v[136:137], v[136:137], v[126:127], v[140:141] op_sel:[0,0,1] op_sel_hi:[1,0,0]
	v_mov_b32_e32 v143, v137
	v_pk_mul_f32 v[136:137], v[138:139], v[128:129] op_sel:[0,1]
	s_delay_alu instid0(VALU_DEP_1) | instskip(SKIP_1) | instid1(VALU_DEP_1)
	v_pk_fma_f32 v[140:141], v[138:139], v[126:127], v[136:137] op_sel:[0,0,1] op_sel_hi:[1,1,0] neg_lo:[0,0,1] neg_hi:[0,0,1]
	v_pk_fma_f32 v[136:137], v[138:139], v[126:127], v[136:137] op_sel:[0,0,1] op_sel_hi:[1,0,0]
	v_mov_b32_e32 v141, v137
	ds_load_2addr_b64 v[136:139], v130 offset0:17 offset1:18
	v_pk_add_f32 v[38:39], v[38:39], v[142:143] neg_lo:[0,1] neg_hi:[0,1]
	v_pk_add_f32 v[96:97], v[96:97], v[140:141] neg_lo:[0,1] neg_hi:[0,1]
	s_wait_dscnt 0x0
	v_pk_mul_f32 v[140:141], v[136:137], v[128:129] op_sel:[0,1]
	s_delay_alu instid0(VALU_DEP_1) | instskip(SKIP_2) | instid1(VALU_DEP_2)
	v_pk_fma_f32 v[142:143], v[136:137], v[126:127], v[140:141] op_sel:[0,0,1] op_sel_hi:[1,1,0] neg_lo:[0,0,1] neg_hi:[0,0,1]
	v_pk_fma_f32 v[136:137], v[136:137], v[126:127], v[140:141] op_sel:[0,0,1] op_sel_hi:[1,0,0]
	v_dual_mul_f32 v140, v139, v129 :: v_dual_mov_b32 v136, v139
	v_dual_mov_b32 v143, v137 :: v_dual_mov_b32 v137, v138
	s_delay_alu instid0(VALU_DEP_2) | instskip(SKIP_1) | instid1(VALU_DEP_3)
	v_pk_fma_f32 v[140:141], v[138:139], v[100:101], v[140:141] op_sel_hi:[1,1,0] neg_lo:[0,0,1] neg_hi:[0,0,1]
	v_mul_f32_e32 v138, v139, v126
	v_pk_add_f32 v[92:93], v[92:93], v[142:143] neg_lo:[0,1] neg_hi:[0,1]
	s_delay_alu instid0(VALU_DEP_2) | instskip(NEXT) | instid1(VALU_DEP_1)
	v_pk_fma_f32 v[136:137], v[136:137], v[100:101], v[138:139] op_sel_hi:[1,1,0]
	v_mov_b32_e32 v141, v137
	ds_load_2addr_b64 v[136:139], v130 offset0:19 offset1:20
	v_pk_add_f32 v[94:95], v[94:95], v[140:141] neg_lo:[0,1] neg_hi:[0,1]
	s_wait_dscnt 0x0
	v_pk_mul_f32 v[140:141], v[136:137], v[128:129] op_sel:[0,1]
	s_delay_alu instid0(VALU_DEP_1) | instskip(SKIP_1) | instid1(VALU_DEP_1)
	v_pk_fma_f32 v[142:143], v[136:137], v[126:127], v[140:141] op_sel:[0,0,1] op_sel_hi:[1,1,0] neg_lo:[0,0,1] neg_hi:[0,0,1]
	v_pk_fma_f32 v[136:137], v[136:137], v[126:127], v[140:141] op_sel:[0,0,1] op_sel_hi:[1,0,0]
	v_mov_b32_e32 v143, v137
	v_pk_mul_f32 v[136:137], v[138:139], v[128:129] op_sel:[0,1]
	s_delay_alu instid0(VALU_DEP_1) | instskip(SKIP_1) | instid1(VALU_DEP_1)
	v_pk_fma_f32 v[140:141], v[138:139], v[126:127], v[136:137] op_sel:[0,0,1] op_sel_hi:[1,1,0] neg_lo:[0,0,1] neg_hi:[0,0,1]
	v_pk_fma_f32 v[136:137], v[138:139], v[126:127], v[136:137] op_sel:[0,0,1] op_sel_hi:[1,0,0]
	v_mov_b32_e32 v141, v137
	ds_load_2addr_b64 v[136:139], v130 offset0:21 offset1:22
	v_pk_add_f32 v[36:37], v[36:37], v[142:143] neg_lo:[0,1] neg_hi:[0,1]
	v_pk_add_f32 v[90:91], v[90:91], v[140:141] neg_lo:[0,1] neg_hi:[0,1]
	s_wait_dscnt 0x0
	v_pk_mul_f32 v[140:141], v[136:137], v[128:129] op_sel:[0,1]
	s_delay_alu instid0(VALU_DEP_1) | instskip(SKIP_1) | instid1(VALU_DEP_1)
	v_pk_fma_f32 v[142:143], v[136:137], v[126:127], v[140:141] op_sel:[0,0,1] op_sel_hi:[1,1,0] neg_lo:[0,0,1] neg_hi:[0,0,1]
	v_pk_fma_f32 v[136:137], v[136:137], v[126:127], v[140:141] op_sel:[0,0,1] op_sel_hi:[1,0,0]
	v_mov_b32_e32 v143, v137
	v_pk_mul_f32 v[136:137], v[138:139], v[128:129] op_sel:[0,1]
	s_delay_alu instid0(VALU_DEP_1) | instskip(SKIP_1) | instid1(VALU_DEP_1)
	v_pk_fma_f32 v[140:141], v[138:139], v[126:127], v[136:137] op_sel:[0,0,1] op_sel_hi:[1,1,0] neg_lo:[0,0,1] neg_hi:[0,0,1]
	v_pk_fma_f32 v[136:137], v[138:139], v[126:127], v[136:137] op_sel:[0,0,1] op_sel_hi:[1,0,0]
	v_mov_b32_e32 v141, v137
	ds_load_2addr_b64 v[136:139], v130 offset0:23 offset1:24
	v_pk_add_f32 v[86:87], v[86:87], v[142:143] neg_lo:[0,1] neg_hi:[0,1]
	v_pk_add_f32 v[88:89], v[88:89], v[140:141] neg_lo:[0,1] neg_hi:[0,1]
	s_wait_dscnt 0x0
	v_dual_mul_f32 v140, v137, v129 :: v_dual_mul_f32 v142, v137, v126
	s_delay_alu instid0(VALU_DEP_1) | instskip(NEXT) | instid1(VALU_DEP_2)
	v_pk_fma_f32 v[140:141], v[136:137], v[100:101], v[140:141] op_sel_hi:[1,1,0] neg_lo:[0,0,1] neg_hi:[0,0,1]
	v_pk_fma_f32 v[136:137], v[136:137], v[100:101], v[142:143] op_sel:[1,0,0] op_sel_hi:[0,1,0]
	s_delay_alu instid0(VALU_DEP_1) | instskip(SKIP_1) | instid1(VALU_DEP_2)
	v_mov_b32_e32 v141, v137
	v_pk_mul_f32 v[136:137], v[138:139], v[128:129] op_sel:[0,1]
	v_pk_add_f32 v[30:31], v[30:31], v[140:141] neg_lo:[0,1] neg_hi:[0,1]
	s_delay_alu instid0(VALU_DEP_2) | instskip(SKIP_1) | instid1(VALU_DEP_1)
	v_pk_fma_f32 v[140:141], v[138:139], v[126:127], v[136:137] op_sel:[0,0,1] op_sel_hi:[1,1,0] neg_lo:[0,0,1] neg_hi:[0,0,1]
	v_pk_fma_f32 v[136:137], v[138:139], v[126:127], v[136:137] op_sel:[0,0,1] op_sel_hi:[1,0,0]
	v_mov_b32_e32 v141, v137
	ds_load_2addr_b64 v[136:139], v130 offset0:25 offset1:26
	v_pk_add_f32 v[84:85], v[84:85], v[140:141] neg_lo:[0,1] neg_hi:[0,1]
	s_wait_dscnt 0x0
	v_pk_mul_f32 v[140:141], v[136:137], v[128:129] op_sel:[0,1]
	s_delay_alu instid0(VALU_DEP_1) | instskip(SKIP_1) | instid1(VALU_DEP_1)
	v_pk_fma_f32 v[142:143], v[136:137], v[126:127], v[140:141] op_sel:[0,0,1] op_sel_hi:[1,1,0] neg_lo:[0,0,1] neg_hi:[0,0,1]
	v_pk_fma_f32 v[136:137], v[136:137], v[126:127], v[140:141] op_sel:[0,0,1] op_sel_hi:[1,0,0]
	v_mov_b32_e32 v143, v137
	v_pk_mul_f32 v[136:137], v[138:139], v[128:129] op_sel:[0,1]
	s_delay_alu instid0(VALU_DEP_2) | instskip(NEXT) | instid1(VALU_DEP_2)
	v_pk_add_f32 v[80:81], v[80:81], v[142:143] neg_lo:[0,1] neg_hi:[0,1]
	v_pk_fma_f32 v[140:141], v[138:139], v[126:127], v[136:137] op_sel:[0,0,1] op_sel_hi:[1,1,0] neg_lo:[0,0,1] neg_hi:[0,0,1]
	v_pk_fma_f32 v[136:137], v[138:139], v[126:127], v[136:137] op_sel:[0,0,1] op_sel_hi:[1,0,0]
	s_delay_alu instid0(VALU_DEP_1) | instskip(SKIP_4) | instid1(VALU_DEP_1)
	v_mov_b32_e32 v141, v137
	ds_load_2addr_b64 v[136:139], v130 offset0:27 offset1:28
	v_pk_add_f32 v[82:83], v[82:83], v[140:141] neg_lo:[0,1] neg_hi:[0,1]
	s_wait_dscnt 0x0
	v_pk_mul_f32 v[140:141], v[136:137], v[128:129] op_sel:[0,1]
	v_pk_fma_f32 v[142:143], v[136:137], v[126:127], v[140:141] op_sel:[0,0,1] op_sel_hi:[1,1,0] neg_lo:[0,0,1] neg_hi:[0,0,1]
	v_pk_fma_f32 v[136:137], v[136:137], v[126:127], v[140:141] op_sel:[0,0,1] op_sel_hi:[1,0,0]
	v_dual_mul_f32 v140, v139, v129 :: v_dual_mov_b32 v136, v139
	s_delay_alu instid0(VALU_DEP_2) | instskip(NEXT) | instid1(VALU_DEP_2)
	v_dual_mov_b32 v143, v137 :: v_dual_mov_b32 v137, v138
	v_pk_fma_f32 v[140:141], v[138:139], v[100:101], v[140:141] op_sel_hi:[1,1,0] neg_lo:[0,0,1] neg_hi:[0,0,1]
	v_mul_f32_e32 v138, v139, v126
	s_delay_alu instid0(VALU_DEP_3) | instskip(NEXT) | instid1(VALU_DEP_2)
	v_pk_add_f32 v[24:25], v[24:25], v[142:143] neg_lo:[0,1] neg_hi:[0,1]
	v_pk_fma_f32 v[136:137], v[136:137], v[100:101], v[138:139] op_sel_hi:[1,1,0]
	s_delay_alu instid0(VALU_DEP_1) | instskip(SKIP_4) | instid1(VALU_DEP_1)
	v_mov_b32_e32 v141, v137
	ds_load_2addr_b64 v[136:139], v130 offset0:29 offset1:30
	v_pk_add_f32 v[78:79], v[78:79], v[140:141] neg_lo:[0,1] neg_hi:[0,1]
	s_wait_dscnt 0x0
	v_pk_mul_f32 v[140:141], v[136:137], v[128:129] op_sel:[0,1]
	v_pk_fma_f32 v[142:143], v[136:137], v[126:127], v[140:141] op_sel:[0,0,1] op_sel_hi:[1,1,0] neg_lo:[0,0,1] neg_hi:[0,0,1]
	v_pk_fma_f32 v[136:137], v[136:137], v[126:127], v[140:141] op_sel:[0,0,1] op_sel_hi:[1,0,0]
	s_delay_alu instid0(VALU_DEP_1) | instskip(SKIP_1) | instid1(VALU_DEP_1)
	v_mov_b32_e32 v143, v137
	v_pk_mul_f32 v[136:137], v[138:139], v[128:129] op_sel:[0,1]
	v_pk_fma_f32 v[140:141], v[138:139], v[126:127], v[136:137] op_sel:[0,0,1] op_sel_hi:[1,1,0] neg_lo:[0,0,1] neg_hi:[0,0,1]
	v_pk_fma_f32 v[136:137], v[138:139], v[126:127], v[136:137] op_sel:[0,0,1] op_sel_hi:[1,0,0]
	s_delay_alu instid0(VALU_DEP_1)
	v_mov_b32_e32 v141, v137
	ds_load_2addr_b64 v[136:139], v130 offset0:31 offset1:32
	v_pk_add_f32 v[74:75], v[74:75], v[142:143] neg_lo:[0,1] neg_hi:[0,1]
	v_pk_add_f32 v[76:77], v[76:77], v[140:141] neg_lo:[0,1] neg_hi:[0,1]
	s_wait_dscnt 0x0
	v_pk_mul_f32 v[140:141], v[136:137], v[128:129] op_sel:[0,1]
	s_delay_alu instid0(VALU_DEP_1) | instskip(SKIP_1) | instid1(VALU_DEP_1)
	v_pk_fma_f32 v[142:143], v[136:137], v[126:127], v[140:141] op_sel:[0,0,1] op_sel_hi:[1,1,0] neg_lo:[0,0,1] neg_hi:[0,0,1]
	v_pk_fma_f32 v[136:137], v[136:137], v[126:127], v[140:141] op_sel:[0,0,1] op_sel_hi:[1,0,0]
	v_mov_b32_e32 v143, v137
	v_pk_mul_f32 v[136:137], v[138:139], v[128:129] op_sel:[0,1]
	s_delay_alu instid0(VALU_DEP_1) | instskip(SKIP_1) | instid1(VALU_DEP_1)
	v_pk_fma_f32 v[140:141], v[138:139], v[126:127], v[136:137] op_sel:[0,0,1] op_sel_hi:[1,1,0] neg_lo:[0,0,1] neg_hi:[0,0,1]
	v_pk_fma_f32 v[136:137], v[138:139], v[126:127], v[136:137] op_sel:[0,0,1] op_sel_hi:[1,0,0]
	v_mov_b32_e32 v141, v137
	ds_load_2addr_b64 v[136:139], v130 offset0:33 offset1:34
	v_pk_add_f32 v[22:23], v[22:23], v[142:143] neg_lo:[0,1] neg_hi:[0,1]
	v_pk_add_f32 v[72:73], v[72:73], v[140:141] neg_lo:[0,1] neg_hi:[0,1]
	s_wait_dscnt 0x0
	v_dual_mul_f32 v140, v137, v129 :: v_dual_mul_f32 v142, v137, v126
	s_delay_alu instid0(VALU_DEP_1) | instskip(NEXT) | instid1(VALU_DEP_2)
	v_pk_fma_f32 v[140:141], v[136:137], v[100:101], v[140:141] op_sel_hi:[1,1,0] neg_lo:[0,0,1] neg_hi:[0,0,1]
	v_pk_fma_f32 v[136:137], v[136:137], v[100:101], v[142:143] op_sel:[1,0,0] op_sel_hi:[0,1,0]
	s_delay_alu instid0(VALU_DEP_1) | instskip(SKIP_1) | instid1(VALU_DEP_2)
	v_mov_b32_e32 v141, v137
	v_pk_mul_f32 v[136:137], v[138:139], v[128:129] op_sel:[0,1]
	v_pk_add_f32 v[68:69], v[68:69], v[140:141] neg_lo:[0,1] neg_hi:[0,1]
	s_delay_alu instid0(VALU_DEP_2) | instskip(SKIP_1) | instid1(VALU_DEP_1)
	v_pk_fma_f32 v[140:141], v[138:139], v[126:127], v[136:137] op_sel:[0,0,1] op_sel_hi:[1,1,0] neg_lo:[0,0,1] neg_hi:[0,0,1]
	v_pk_fma_f32 v[136:137], v[138:139], v[126:127], v[136:137] op_sel:[0,0,1] op_sel_hi:[1,0,0]
	v_mov_b32_e32 v141, v137
	ds_load_2addr_b64 v[136:139], v130 offset0:35 offset1:36
	v_pk_add_f32 v[70:71], v[70:71], v[140:141] neg_lo:[0,1] neg_hi:[0,1]
	s_wait_dscnt 0x0
	v_pk_mul_f32 v[140:141], v[136:137], v[128:129] op_sel:[0,1]
	s_delay_alu instid0(VALU_DEP_1) | instskip(SKIP_1) | instid1(VALU_DEP_1)
	v_pk_fma_f32 v[142:143], v[136:137], v[126:127], v[140:141] op_sel:[0,0,1] op_sel_hi:[1,1,0] neg_lo:[0,0,1] neg_hi:[0,0,1]
	v_pk_fma_f32 v[136:137], v[136:137], v[126:127], v[140:141] op_sel:[0,0,1] op_sel_hi:[1,0,0]
	v_mov_b32_e32 v143, v137
	v_pk_mul_f32 v[136:137], v[138:139], v[128:129] op_sel:[0,1]
	s_delay_alu instid0(VALU_DEP_2) | instskip(NEXT) | instid1(VALU_DEP_2)
	v_pk_add_f32 v[20:21], v[20:21], v[142:143] neg_lo:[0,1] neg_hi:[0,1]
	v_pk_fma_f32 v[140:141], v[138:139], v[126:127], v[136:137] op_sel:[0,0,1] op_sel_hi:[1,1,0] neg_lo:[0,0,1] neg_hi:[0,0,1]
	v_pk_fma_f32 v[136:137], v[138:139], v[126:127], v[136:137] op_sel:[0,0,1] op_sel_hi:[1,0,0]
	s_delay_alu instid0(VALU_DEP_1) | instskip(SKIP_4) | instid1(VALU_DEP_1)
	v_mov_b32_e32 v141, v137
	ds_load_2addr_b64 v[136:139], v130 offset0:37 offset1:38
	v_pk_add_f32 v[66:67], v[66:67], v[140:141] neg_lo:[0,1] neg_hi:[0,1]
	s_wait_dscnt 0x0
	v_pk_mul_f32 v[140:141], v[136:137], v[128:129] op_sel:[0,1]
	v_pk_fma_f32 v[142:143], v[136:137], v[126:127], v[140:141] op_sel:[0,0,1] op_sel_hi:[1,1,0] neg_lo:[0,0,1] neg_hi:[0,0,1]
	v_pk_fma_f32 v[136:137], v[136:137], v[126:127], v[140:141] op_sel:[0,0,1] op_sel_hi:[1,0,0]
	v_dual_mul_f32 v140, v139, v129 :: v_dual_mov_b32 v136, v139
	s_delay_alu instid0(VALU_DEP_2) | instskip(NEXT) | instid1(VALU_DEP_2)
	v_dual_mov_b32 v143, v137 :: v_dual_mov_b32 v137, v138
	v_pk_fma_f32 v[140:141], v[138:139], v[100:101], v[140:141] op_sel_hi:[1,1,0] neg_lo:[0,0,1] neg_hi:[0,0,1]
	v_mul_f32_e32 v138, v139, v126
	s_delay_alu instid0(VALU_DEP_3) | instskip(NEXT) | instid1(VALU_DEP_2)
	v_pk_add_f32 v[62:63], v[62:63], v[142:143] neg_lo:[0,1] neg_hi:[0,1]
	v_pk_fma_f32 v[136:137], v[136:137], v[100:101], v[138:139] op_sel_hi:[1,1,0]
	s_delay_alu instid0(VALU_DEP_1) | instskip(SKIP_4) | instid1(VALU_DEP_1)
	v_mov_b32_e32 v141, v137
	ds_load_2addr_b64 v[136:139], v130 offset0:39 offset1:40
	v_pk_add_f32 v[64:65], v[64:65], v[140:141] neg_lo:[0,1] neg_hi:[0,1]
	s_wait_dscnt 0x0
	v_pk_mul_f32 v[140:141], v[136:137], v[128:129] op_sel:[0,1]
	v_pk_fma_f32 v[142:143], v[136:137], v[126:127], v[140:141] op_sel:[0,0,1] op_sel_hi:[1,1,0] neg_lo:[0,0,1] neg_hi:[0,0,1]
	v_pk_fma_f32 v[136:137], v[136:137], v[126:127], v[140:141] op_sel:[0,0,1] op_sel_hi:[1,0,0]
	s_delay_alu instid0(VALU_DEP_1) | instskip(SKIP_1) | instid1(VALU_DEP_1)
	v_mov_b32_e32 v143, v137
	v_pk_mul_f32 v[136:137], v[138:139], v[128:129] op_sel:[0,1]
	v_pk_fma_f32 v[140:141], v[138:139], v[126:127], v[136:137] op_sel:[0,0,1] op_sel_hi:[1,1,0] neg_lo:[0,0,1] neg_hi:[0,0,1]
	v_pk_fma_f32 v[136:137], v[138:139], v[126:127], v[136:137] op_sel:[0,0,1] op_sel_hi:[1,0,0]
	s_delay_alu instid0(VALU_DEP_1)
	v_mov_b32_e32 v141, v137
	ds_load_2addr_b64 v[136:139], v130 offset0:41 offset1:42
	v_pk_add_f32 v[18:19], v[18:19], v[142:143] neg_lo:[0,1] neg_hi:[0,1]
	v_pk_add_f32 v[60:61], v[60:61], v[140:141] neg_lo:[0,1] neg_hi:[0,1]
	s_wait_dscnt 0x0
	v_pk_mul_f32 v[140:141], v[136:137], v[128:129] op_sel:[0,1]
	s_delay_alu instid0(VALU_DEP_1) | instskip(SKIP_1) | instid1(VALU_DEP_1)
	v_pk_fma_f32 v[142:143], v[136:137], v[126:127], v[140:141] op_sel:[0,0,1] op_sel_hi:[1,1,0] neg_lo:[0,0,1] neg_hi:[0,0,1]
	v_pk_fma_f32 v[136:137], v[136:137], v[126:127], v[140:141] op_sel:[0,0,1] op_sel_hi:[1,0,0]
	v_mov_b32_e32 v143, v137
	v_pk_mul_f32 v[136:137], v[138:139], v[128:129] op_sel:[0,1]
	s_delay_alu instid0(VALU_DEP_1) | instskip(SKIP_1) | instid1(VALU_DEP_1)
	v_pk_fma_f32 v[140:141], v[138:139], v[126:127], v[136:137] op_sel:[0,0,1] op_sel_hi:[1,1,0] neg_lo:[0,0,1] neg_hi:[0,0,1]
	v_pk_fma_f32 v[136:137], v[138:139], v[126:127], v[136:137] op_sel:[0,0,1] op_sel_hi:[1,0,0]
	v_mov_b32_e32 v141, v137
	ds_load_2addr_b64 v[136:139], v130 offset0:43 offset1:44
	v_pk_add_f32 v[56:57], v[56:57], v[142:143] neg_lo:[0,1] neg_hi:[0,1]
	v_pk_add_f32 v[58:59], v[58:59], v[140:141] neg_lo:[0,1] neg_hi:[0,1]
	s_wait_dscnt 0x0
	v_dual_mul_f32 v140, v137, v129 :: v_dual_mul_f32 v142, v137, v126
	s_delay_alu instid0(VALU_DEP_1) | instskip(NEXT) | instid1(VALU_DEP_2)
	v_pk_fma_f32 v[140:141], v[136:137], v[100:101], v[140:141] op_sel_hi:[1,1,0] neg_lo:[0,0,1] neg_hi:[0,0,1]
	v_pk_fma_f32 v[136:137], v[136:137], v[100:101], v[142:143] op_sel:[1,0,0] op_sel_hi:[0,1,0]
	s_delay_alu instid0(VALU_DEP_1) | instskip(SKIP_1) | instid1(VALU_DEP_2)
	v_mov_b32_e32 v141, v137
	v_pk_mul_f32 v[136:137], v[138:139], v[128:129] op_sel:[0,1]
	v_pk_add_f32 v[12:13], v[12:13], v[140:141] neg_lo:[0,1] neg_hi:[0,1]
	s_delay_alu instid0(VALU_DEP_2) | instskip(SKIP_1) | instid1(VALU_DEP_1)
	v_pk_fma_f32 v[140:141], v[138:139], v[126:127], v[136:137] op_sel:[0,0,1] op_sel_hi:[1,1,0] neg_lo:[0,0,1] neg_hi:[0,0,1]
	v_pk_fma_f32 v[136:137], v[138:139], v[126:127], v[136:137] op_sel:[0,0,1] op_sel_hi:[1,0,0]
	v_mov_b32_e32 v141, v137
	ds_load_2addr_b64 v[136:139], v130 offset0:45 offset1:46
	v_pk_add_f32 v[54:55], v[54:55], v[140:141] neg_lo:[0,1] neg_hi:[0,1]
	s_wait_dscnt 0x0
	v_pk_mul_f32 v[140:141], v[136:137], v[128:129] op_sel:[0,1]
	s_delay_alu instid0(VALU_DEP_1) | instskip(SKIP_1) | instid1(VALU_DEP_1)
	v_pk_fma_f32 v[142:143], v[136:137], v[126:127], v[140:141] op_sel:[0,0,1] op_sel_hi:[1,1,0] neg_lo:[0,0,1] neg_hi:[0,0,1]
	v_pk_fma_f32 v[136:137], v[136:137], v[126:127], v[140:141] op_sel:[0,0,1] op_sel_hi:[1,0,0]
	v_mov_b32_e32 v143, v137
	v_pk_mul_f32 v[136:137], v[138:139], v[128:129] op_sel:[0,1]
	s_delay_alu instid0(VALU_DEP_2) | instskip(NEXT) | instid1(VALU_DEP_2)
	v_pk_add_f32 v[50:51], v[50:51], v[142:143] neg_lo:[0,1] neg_hi:[0,1]
	v_pk_fma_f32 v[140:141], v[138:139], v[126:127], v[136:137] op_sel:[0,0,1] op_sel_hi:[1,1,0] neg_lo:[0,0,1] neg_hi:[0,0,1]
	v_pk_fma_f32 v[136:137], v[138:139], v[126:127], v[136:137] op_sel:[0,0,1] op_sel_hi:[1,0,0]
	s_delay_alu instid0(VALU_DEP_1) | instskip(SKIP_4) | instid1(VALU_DEP_1)
	v_mov_b32_e32 v141, v137
	ds_load_2addr_b64 v[136:139], v130 offset0:47 offset1:48
	v_pk_add_f32 v[52:53], v[52:53], v[140:141] neg_lo:[0,1] neg_hi:[0,1]
	s_wait_dscnt 0x0
	v_pk_mul_f32 v[140:141], v[136:137], v[128:129] op_sel:[0,1]
	v_pk_fma_f32 v[142:143], v[136:137], v[126:127], v[140:141] op_sel:[0,0,1] op_sel_hi:[1,1,0] neg_lo:[0,0,1] neg_hi:[0,0,1]
	v_pk_fma_f32 v[136:137], v[136:137], v[126:127], v[140:141] op_sel:[0,0,1] op_sel_hi:[1,0,0]
	v_dual_mul_f32 v140, v139, v129 :: v_dual_mov_b32 v136, v139
	s_delay_alu instid0(VALU_DEP_2) | instskip(NEXT) | instid1(VALU_DEP_2)
	v_dual_mov_b32 v143, v137 :: v_dual_mov_b32 v137, v138
	v_pk_fma_f32 v[140:141], v[138:139], v[100:101], v[140:141] op_sel_hi:[1,1,0] neg_lo:[0,0,1] neg_hi:[0,0,1]
	v_mul_f32_e32 v138, v139, v126
	s_delay_alu instid0(VALU_DEP_3) | instskip(NEXT) | instid1(VALU_DEP_2)
	v_pk_add_f32 v[10:11], v[10:11], v[142:143] neg_lo:[0,1] neg_hi:[0,1]
	v_pk_fma_f32 v[136:137], v[136:137], v[100:101], v[138:139] op_sel_hi:[1,1,0]
	s_delay_alu instid0(VALU_DEP_1) | instskip(SKIP_4) | instid1(VALU_DEP_1)
	v_mov_b32_e32 v141, v137
	ds_load_2addr_b64 v[136:139], v130 offset0:49 offset1:50
	v_pk_add_f32 v[46:47], v[46:47], v[140:141] neg_lo:[0,1] neg_hi:[0,1]
	s_wait_dscnt 0x0
	v_pk_mul_f32 v[140:141], v[136:137], v[128:129] op_sel:[0,1]
	v_pk_fma_f32 v[142:143], v[136:137], v[126:127], v[140:141] op_sel:[0,0,1] op_sel_hi:[1,1,0] neg_lo:[0,0,1] neg_hi:[0,0,1]
	v_pk_fma_f32 v[136:137], v[136:137], v[126:127], v[140:141] op_sel:[0,0,1] op_sel_hi:[1,0,0]
	s_delay_alu instid0(VALU_DEP_1) | instskip(SKIP_1) | instid1(VALU_DEP_1)
	v_mov_b32_e32 v143, v137
	v_pk_mul_f32 v[136:137], v[138:139], v[128:129] op_sel:[0,1]
	v_pk_fma_f32 v[140:141], v[138:139], v[126:127], v[136:137] op_sel:[0,0,1] op_sel_hi:[1,1,0] neg_lo:[0,0,1] neg_hi:[0,0,1]
	v_pk_fma_f32 v[136:137], v[138:139], v[126:127], v[136:137] op_sel:[0,0,1] op_sel_hi:[1,0,0]
	s_delay_alu instid0(VALU_DEP_1)
	v_mov_b32_e32 v141, v137
	ds_load_2addr_b64 v[136:139], v130 offset0:51 offset1:52
	v_pk_add_f32 v[44:45], v[44:45], v[142:143] neg_lo:[0,1] neg_hi:[0,1]
	v_pk_add_f32 v[48:49], v[48:49], v[140:141] neg_lo:[0,1] neg_hi:[0,1]
	s_wait_dscnt 0x0
	v_pk_mul_f32 v[140:141], v[136:137], v[128:129] op_sel:[0,1]
	s_delay_alu instid0(VALU_DEP_1) | instskip(SKIP_1) | instid1(VALU_DEP_1)
	v_pk_fma_f32 v[142:143], v[136:137], v[126:127], v[140:141] op_sel:[0,0,1] op_sel_hi:[1,1,0] neg_lo:[0,0,1] neg_hi:[0,0,1]
	v_pk_fma_f32 v[136:137], v[136:137], v[126:127], v[140:141] op_sel:[0,0,1] op_sel_hi:[1,0,0]
	v_mov_b32_e32 v143, v137
	v_pk_mul_f32 v[136:137], v[138:139], v[128:129] op_sel:[0,1]
	s_delay_alu instid0(VALU_DEP_1) | instskip(SKIP_1) | instid1(VALU_DEP_1)
	v_pk_fma_f32 v[140:141], v[138:139], v[126:127], v[136:137] op_sel:[0,0,1] op_sel_hi:[1,1,0] neg_lo:[0,0,1] neg_hi:[0,0,1]
	v_pk_fma_f32 v[136:137], v[138:139], v[126:127], v[136:137] op_sel:[0,0,1] op_sel_hi:[1,0,0]
	v_mov_b32_e32 v141, v137
	ds_load_2addr_b64 v[136:139], v130 offset0:53 offset1:54
	v_pk_add_f32 v[8:9], v[8:9], v[142:143] neg_lo:[0,1] neg_hi:[0,1]
	v_pk_add_f32 v[34:35], v[34:35], v[140:141] neg_lo:[0,1] neg_hi:[0,1]
	s_wait_dscnt 0x0
	v_dual_mul_f32 v140, v137, v129 :: v_dual_mul_f32 v142, v137, v126
	s_delay_alu instid0(VALU_DEP_1) | instskip(NEXT) | instid1(VALU_DEP_2)
	v_pk_fma_f32 v[140:141], v[136:137], v[100:101], v[140:141] op_sel_hi:[1,1,0] neg_lo:[0,0,1] neg_hi:[0,0,1]
	v_pk_fma_f32 v[136:137], v[136:137], v[100:101], v[142:143] op_sel:[1,0,0] op_sel_hi:[0,1,0]
	s_delay_alu instid0(VALU_DEP_1) | instskip(SKIP_1) | instid1(VALU_DEP_2)
	v_mov_b32_e32 v141, v137
	v_pk_mul_f32 v[136:137], v[138:139], v[128:129] op_sel:[0,1]
	v_pk_add_f32 v[28:29], v[28:29], v[140:141] neg_lo:[0,1] neg_hi:[0,1]
	s_delay_alu instid0(VALU_DEP_2) | instskip(SKIP_1) | instid1(VALU_DEP_1)
	v_pk_fma_f32 v[140:141], v[138:139], v[126:127], v[136:137] op_sel:[0,0,1] op_sel_hi:[1,1,0] neg_lo:[0,0,1] neg_hi:[0,0,1]
	v_pk_fma_f32 v[136:137], v[138:139], v[126:127], v[136:137] op_sel:[0,0,1] op_sel_hi:[1,0,0]
	v_mov_b32_e32 v141, v137
	ds_load_2addr_b64 v[136:139], v130 offset0:55 offset1:56
	v_pk_add_f32 v[32:33], v[32:33], v[140:141] neg_lo:[0,1] neg_hi:[0,1]
	s_wait_dscnt 0x0
	v_pk_mul_f32 v[140:141], v[136:137], v[128:129] op_sel:[0,1]
	s_delay_alu instid0(VALU_DEP_1) | instskip(SKIP_1) | instid1(VALU_DEP_1)
	v_pk_fma_f32 v[142:143], v[136:137], v[126:127], v[140:141] op_sel:[0,0,1] op_sel_hi:[1,1,0] neg_lo:[0,0,1] neg_hi:[0,0,1]
	v_pk_fma_f32 v[136:137], v[136:137], v[126:127], v[140:141] op_sel:[0,0,1] op_sel_hi:[1,0,0]
	v_mov_b32_e32 v143, v137
	v_pk_mul_f32 v[136:137], v[138:139], v[128:129] op_sel:[0,1]
	s_delay_alu instid0(VALU_DEP_2) | instskip(NEXT) | instid1(VALU_DEP_2)
	v_pk_add_f32 v[6:7], v[6:7], v[142:143] neg_lo:[0,1] neg_hi:[0,1]
	v_pk_fma_f32 v[140:141], v[138:139], v[126:127], v[136:137] op_sel:[0,0,1] op_sel_hi:[1,1,0] neg_lo:[0,0,1] neg_hi:[0,0,1]
	v_pk_fma_f32 v[136:137], v[138:139], v[126:127], v[136:137] op_sel:[0,0,1] op_sel_hi:[1,0,0]
	s_delay_alu instid0(VALU_DEP_1) | instskip(SKIP_4) | instid1(VALU_DEP_1)
	v_mov_b32_e32 v141, v137
	ds_load_2addr_b64 v[136:139], v130 offset0:57 offset1:58
	v_pk_add_f32 v[26:27], v[26:27], v[140:141] neg_lo:[0,1] neg_hi:[0,1]
	s_wait_dscnt 0x0
	v_pk_mul_f32 v[140:141], v[136:137], v[128:129] op_sel:[0,1]
	v_pk_fma_f32 v[142:143], v[136:137], v[126:127], v[140:141] op_sel:[0,0,1] op_sel_hi:[1,1,0] neg_lo:[0,0,1] neg_hi:[0,0,1]
	v_pk_fma_f32 v[136:137], v[136:137], v[126:127], v[140:141] op_sel:[0,0,1] op_sel_hi:[1,0,0]
	v_dual_mul_f32 v140, v139, v129 :: v_dual_mov_b32 v136, v139
	s_delay_alu instid0(VALU_DEP_2) | instskip(NEXT) | instid1(VALU_DEP_2)
	v_dual_mov_b32 v143, v137 :: v_dual_mov_b32 v137, v138
	v_pk_fma_f32 v[140:141], v[138:139], v[100:101], v[140:141] op_sel_hi:[1,1,0] neg_lo:[0,0,1] neg_hi:[0,0,1]
	v_mul_f32_e32 v138, v139, v126
	s_delay_alu instid0(VALU_DEP_3) | instskip(NEXT) | instid1(VALU_DEP_2)
	v_pk_add_f32 v[16:17], v[16:17], v[142:143] neg_lo:[0,1] neg_hi:[0,1]
	v_pk_fma_f32 v[136:137], v[136:137], v[100:101], v[138:139] op_sel_hi:[1,1,0]
	s_delay_alu instid0(VALU_DEP_1) | instskip(SKIP_4) | instid1(VALU_DEP_1)
	v_mov_b32_e32 v141, v137
	ds_load_b64 v[136:137], v130 offset:472
	v_pk_add_f32 v[14:15], v[14:15], v[140:141] neg_lo:[0,1] neg_hi:[0,1]
	s_wait_dscnt 0x0
	v_pk_mul_f32 v[128:129], v[136:137], v[128:129] op_sel:[0,1]
	v_pk_fma_f32 v[138:139], v[136:137], v[126:127], v[128:129] op_sel:[0,0,1] op_sel_hi:[1,1,0] neg_lo:[0,0,1] neg_hi:[0,0,1]
	v_pk_fma_f32 v[126:127], v[136:137], v[126:127], v[128:129] op_sel:[0,0,1] op_sel_hi:[1,0,0]
	s_delay_alu instid0(VALU_DEP_1) | instskip(NEXT) | instid1(VALU_DEP_1)
	v_mov_b32_e32 v139, v127
	v_pk_add_f32 v[124:125], v[124:125], v[138:139] neg_lo:[0,1] neg_hi:[0,1]
.LBB118_314:
	s_or_b32 exec_lo, exec_lo, s0
	v_lshl_add_u32 v126, v134, 3, v130
	s_barrier_signal -1
	s_barrier_wait -1
	ds_store_b64 v126, v[38:39]
	s_wait_dscnt 0x0
	s_barrier_signal -1
	s_barrier_wait -1
	ds_load_b64 v[128:129], v130 offset:120
	v_mov_b32_e32 v126, 15
	s_cmp_lt_i32 s18, 17
	s_cbranch_scc1 .LBB118_317
; %bb.315:
	v_add3_u32 v127, v131, 0, 0x80
	v_mov_b32_e32 v126, 15
	s_mov_b32 s0, 16
.LBB118_316:                            ; =>This Inner Loop Header: Depth=1
	ds_load_b64 v[136:137], v127
	s_wait_dscnt 0x1
	v_cmp_gt_f32_e32 vcc_lo, 0, v128
	v_cndmask_b32_e64 v138, v128, -v128, vcc_lo
	v_cmp_gt_f32_e32 vcc_lo, 0, v129
	v_cndmask_b32_e64 v140, v129, -v129, vcc_lo
	s_wait_dscnt 0x0
	v_cmp_gt_f32_e32 vcc_lo, 0, v136
	v_cndmask_b32_e64 v139, v136, -v136, vcc_lo
	v_cmp_gt_f32_e32 vcc_lo, 0, v137
	v_cndmask_b32_e64 v141, v137, -v137, vcc_lo
	s_delay_alu instid0(VALU_DEP_1) | instskip(NEXT) | instid1(VALU_DEP_1)
	v_pk_add_f32 v[138:139], v[138:139], v[140:141]
	v_cmp_lt_f32_e32 vcc_lo, v138, v139
	v_dual_add_nc_u32 v127, 8, v127 :: v_dual_cndmask_b32 v129, v129, v137, vcc_lo
	v_cndmask_b32_e32 v128, v128, v136, vcc_lo
	v_cndmask_b32_e64 v126, v126, s0, vcc_lo
	s_add_co_i32 s0, s0, 1
	s_delay_alu instid0(SALU_CYCLE_1)
	s_cmp_lg_u32 s18, s0
	s_cbranch_scc1 .LBB118_316
.LBB118_317:
	s_wait_dscnt 0x0
	v_cmp_eq_f32_e32 vcc_lo, 0, v128
	v_cmp_eq_f32_e64 s0, 0, v129
	s_and_b32 s0, vcc_lo, s0
	s_delay_alu instid0(SALU_CYCLE_1) | instskip(NEXT) | instid1(SALU_CYCLE_1)
	s_and_saveexec_b32 s1, s0
	s_xor_b32 s0, exec_lo, s1
; %bb.318:
	v_cmp_ne_u32_e32 vcc_lo, 0, v132
	v_cndmask_b32_e32 v132, 16, v132, vcc_lo
; %bb.319:
	s_and_not1_saveexec_b32 s0, s0
	s_cbranch_execz .LBB118_325
; %bb.320:
	v_cmp_ngt_f32_e64 s1, |v128|, |v129|
	s_and_saveexec_b32 s12, s1
	s_delay_alu instid0(SALU_CYCLE_1)
	s_xor_b32 s1, exec_lo, s12
	s_cbranch_execz .LBB118_322
; %bb.321:
	v_div_scale_f32 v127, null, v129, v129, v128
	v_div_scale_f32 v137, vcc_lo, v128, v129, v128
	s_delay_alu instid0(VALU_DEP_2) | instskip(SKIP_1) | instid1(TRANS32_DEP_1)
	v_rcp_f32_e32 v135, v127
	v_nop
	v_fma_f32 v136, -v127, v135, 1.0
	s_delay_alu instid0(VALU_DEP_1) | instskip(NEXT) | instid1(VALU_DEP_1)
	v_fmac_f32_e32 v135, v136, v135
	v_mul_f32_e32 v136, v137, v135
	s_delay_alu instid0(VALU_DEP_1) | instskip(NEXT) | instid1(VALU_DEP_1)
	v_fma_f32 v138, -v127, v136, v137
	v_fmac_f32_e32 v136, v138, v135
	s_delay_alu instid0(VALU_DEP_1) | instskip(NEXT) | instid1(VALU_DEP_1)
	v_fma_f32 v127, -v127, v136, v137
	v_div_fmas_f32 v127, v127, v135, v136
	s_delay_alu instid0(VALU_DEP_1) | instskip(NEXT) | instid1(VALU_DEP_1)
	v_div_fixup_f32 v127, v127, v129, v128
	v_fmac_f32_e32 v129, v128, v127
	s_delay_alu instid0(VALU_DEP_1) | instskip(SKIP_1) | instid1(VALU_DEP_2)
	v_div_scale_f32 v128, null, v129, v129, 1.0
	v_div_scale_f32 v137, vcc_lo, 1.0, v129, 1.0
	v_rcp_f32_e32 v135, v128
	v_nop
	s_delay_alu instid0(TRANS32_DEP_1) | instskip(NEXT) | instid1(VALU_DEP_1)
	v_fma_f32 v136, -v128, v135, 1.0
	v_fmac_f32_e32 v135, v136, v135
	s_delay_alu instid0(VALU_DEP_1) | instskip(NEXT) | instid1(VALU_DEP_1)
	v_mul_f32_e32 v136, v137, v135
	v_fma_f32 v138, -v128, v136, v137
	s_delay_alu instid0(VALU_DEP_1) | instskip(NEXT) | instid1(VALU_DEP_1)
	v_fmac_f32_e32 v136, v138, v135
	v_fma_f32 v128, -v128, v136, v137
	s_delay_alu instid0(VALU_DEP_1) | instskip(NEXT) | instid1(VALU_DEP_1)
	v_div_fmas_f32 v128, v128, v135, v136
	v_div_fixup_f32 v129, v128, v129, 1.0
	s_delay_alu instid0(VALU_DEP_1)
	v_mul_f32_e32 v128, v127, v129
	v_xor_b32_e32 v129, 0x80000000, v129
.LBB118_322:
	s_and_not1_saveexec_b32 s1, s1
	s_cbranch_execz .LBB118_324
; %bb.323:
	s_delay_alu instid0(VALU_DEP_1) | instskip(SKIP_1) | instid1(VALU_DEP_2)
	v_div_scale_f32 v127, null, v128, v128, v129
	v_div_scale_f32 v137, vcc_lo, v129, v128, v129
	v_rcp_f32_e32 v135, v127
	v_nop
	s_delay_alu instid0(TRANS32_DEP_1) | instskip(NEXT) | instid1(VALU_DEP_1)
	v_fma_f32 v136, -v127, v135, 1.0
	v_fmac_f32_e32 v135, v136, v135
	s_delay_alu instid0(VALU_DEP_1) | instskip(NEXT) | instid1(VALU_DEP_1)
	v_mul_f32_e32 v136, v137, v135
	v_fma_f32 v138, -v127, v136, v137
	s_delay_alu instid0(VALU_DEP_1) | instskip(NEXT) | instid1(VALU_DEP_1)
	v_fmac_f32_e32 v136, v138, v135
	v_fma_f32 v127, -v127, v136, v137
	s_delay_alu instid0(VALU_DEP_1) | instskip(NEXT) | instid1(VALU_DEP_1)
	v_div_fmas_f32 v127, v127, v135, v136
	v_div_fixup_f32 v127, v127, v128, v129
	s_delay_alu instid0(VALU_DEP_1) | instskip(NEXT) | instid1(VALU_DEP_1)
	v_fmac_f32_e32 v128, v129, v127
	v_div_scale_f32 v129, null, v128, v128, 1.0
	s_delay_alu instid0(VALU_DEP_1) | instskip(SKIP_1) | instid1(TRANS32_DEP_1)
	v_rcp_f32_e32 v135, v129
	v_nop
	v_fma_f32 v136, -v129, v135, 1.0
	s_delay_alu instid0(VALU_DEP_1) | instskip(SKIP_1) | instid1(VALU_DEP_1)
	v_fmac_f32_e32 v135, v136, v135
	v_div_scale_f32 v136, vcc_lo, 1.0, v128, 1.0
	v_mul_f32_e32 v137, v136, v135
	s_delay_alu instid0(VALU_DEP_1) | instskip(NEXT) | instid1(VALU_DEP_1)
	v_fma_f32 v138, -v129, v137, v136
	v_fmac_f32_e32 v137, v138, v135
	s_delay_alu instid0(VALU_DEP_1) | instskip(NEXT) | instid1(VALU_DEP_1)
	v_fma_f32 v129, -v129, v137, v136
	v_div_fmas_f32 v129, v129, v135, v137
	s_delay_alu instid0(VALU_DEP_1) | instskip(NEXT) | instid1(VALU_DEP_1)
	v_div_fixup_f32 v128, v129, v128, 1.0
	v_mul_f32_e64 v129, v127, -v128
.LBB118_324:
	s_or_b32 exec_lo, exec_lo, s1
.LBB118_325:
	s_delay_alu instid0(SALU_CYCLE_1) | instskip(NEXT) | instid1(SALU_CYCLE_1)
	s_or_b32 exec_lo, exec_lo, s0
	s_mov_b32 s0, exec_lo
	v_cmpx_ne_u32_e64 v134, v126
	s_xor_b32 s0, exec_lo, s0
	s_cbranch_execz .LBB118_331
; %bb.326:
	s_mov_b32 s1, exec_lo
	v_cmpx_eq_u32_e32 15, v134
	s_cbranch_execz .LBB118_330
; %bb.327:
	v_cmp_ne_u32_e32 vcc_lo, 15, v126
	s_xor_b32 s12, s16, -1
	s_delay_alu instid0(SALU_CYCLE_1) | instskip(NEXT) | instid1(SALU_CYCLE_1)
	s_and_b32 s13, s12, vcc_lo
	s_and_saveexec_b32 s12, s13
	s_cbranch_execz .LBB118_329
; %bb.328:
	v_ashrrev_i32_e32 v127, 31, v126
	s_delay_alu instid0(VALU_DEP_1)
	v_lshl_add_u64 v[134:135], v[126:127], 2, v[4:5]
	s_clause 0x1
	global_load_b32 v127, v[134:135], off
	global_load_b32 v133, v[4:5], off offset:60
	s_wait_loadcnt 0x1
	global_store_b32 v[4:5], v127, off offset:60
	s_wait_loadcnt 0x0
	global_store_b32 v[134:135], v133, off
.LBB118_329:
	s_wait_xcnt 0x0
	s_or_b32 exec_lo, exec_lo, s12
	v_dual_mov_b32 v134, v126 :: v_dual_mov_b32 v133, v126
.LBB118_330:
	s_or_b32 exec_lo, exec_lo, s1
.LBB118_331:
	s_and_not1_saveexec_b32 s0, s0
	s_cbranch_execz .LBB118_333
; %bb.332:
	v_dual_mov_b32 v126, v96 :: v_dual_mov_b32 v127, v97
	v_dual_mov_b32 v134, v92 :: v_dual_mov_b32 v135, v93
	v_dual_mov_b32 v136, v94 :: v_dual_mov_b32 v137, v95
	v_dual_mov_b32 v138, v36 :: v_dual_mov_b32 v139, v37
	v_dual_mov_b32 v140, v90 :: v_dual_mov_b32 v141, v91
	v_dual_mov_b32 v142, v86 :: v_dual_mov_b32 v143, v87
	v_dual_mov_b32 v144, v88 :: v_dual_mov_b32 v145, v89
	v_dual_mov_b32 v146, v30 :: v_dual_mov_b32 v147, v31
	v_dual_mov_b32 v148, v84 :: v_dual_mov_b32 v149, v85
	v_dual_mov_b32 v150, v80 :: v_dual_mov_b32 v151, v81
	v_dual_mov_b32 v152, v82 :: v_dual_mov_b32 v153, v83
	v_dual_mov_b32 v154, v24 :: v_dual_mov_b32 v155, v25
	ds_store_2addr_b64 v130, v[126:127], v[134:135] offset0:16 offset1:17
	ds_store_2addr_b64 v130, v[136:137], v[138:139] offset0:18 offset1:19
	ds_store_2addr_b64 v130, v[140:141], v[142:143] offset0:20 offset1:21
	ds_store_2addr_b64 v130, v[144:145], v[146:147] offset0:22 offset1:23
	ds_store_2addr_b64 v130, v[148:149], v[150:151] offset0:24 offset1:25
	ds_store_2addr_b64 v130, v[152:153], v[154:155] offset0:26 offset1:27
	v_dual_mov_b32 v126, v78 :: v_dual_mov_b32 v127, v79
	v_dual_mov_b32 v134, v74 :: v_dual_mov_b32 v135, v75
	v_dual_mov_b32 v136, v76 :: v_dual_mov_b32 v137, v77
	v_dual_mov_b32 v138, v22 :: v_dual_mov_b32 v139, v23
	v_dual_mov_b32 v140, v72 :: v_dual_mov_b32 v141, v73
	v_dual_mov_b32 v142, v68 :: v_dual_mov_b32 v143, v69
	v_dual_mov_b32 v144, v70 :: v_dual_mov_b32 v145, v71
	v_dual_mov_b32 v146, v20 :: v_dual_mov_b32 v147, v21
	v_dual_mov_b32 v148, v66 :: v_dual_mov_b32 v149, v67
	v_dual_mov_b32 v150, v62 :: v_dual_mov_b32 v151, v63
	v_dual_mov_b32 v152, v64 :: v_dual_mov_b32 v153, v65
	v_dual_mov_b32 v154, v18 :: v_dual_mov_b32 v155, v19
	ds_store_2addr_b64 v130, v[126:127], v[134:135] offset0:28 offset1:29
	ds_store_2addr_b64 v130, v[136:137], v[138:139] offset0:30 offset1:31
	ds_store_2addr_b64 v130, v[140:141], v[142:143] offset0:32 offset1:33
	ds_store_2addr_b64 v130, v[144:145], v[146:147] offset0:34 offset1:35
	ds_store_2addr_b64 v130, v[148:149], v[150:151] offset0:36 offset1:37
	ds_store_2addr_b64 v130, v[152:153], v[154:155] offset0:38 offset1:39
	;; [unrolled: 18-line block ×3, first 2 shown]
	v_dual_mov_b32 v126, v34 :: v_dual_mov_b32 v127, v35
	v_dual_mov_b32 v136, v28 :: v_dual_mov_b32 v137, v29
	;; [unrolled: 1-line block ×7, first 2 shown]
	v_mov_b32_e32 v147, v15
	ds_store_2addr_b64 v130, v[126:127], v[136:137] offset0:52 offset1:53
	ds_store_2addr_b64 v130, v[138:139], v[140:141] offset0:54 offset1:55
	;; [unrolled: 1-line block ×4, first 2 shown]
.LBB118_333:
	s_or_b32 exec_lo, exec_lo, s0
	s_delay_alu instid0(SALU_CYCLE_1)
	s_mov_b32 s0, exec_lo
	s_wait_storecnt_dscnt 0x0
	s_barrier_signal -1
	s_barrier_wait -1
	v_cmpx_lt_i32_e32 15, v134
	s_cbranch_execz .LBB118_335
; %bb.334:
	v_pk_mul_f32 v[136:137], v[128:129], v[38:39] op_sel:[1,1] op_sel_hi:[0,1]
	s_delay_alu instid0(VALU_DEP_1)
	v_pk_fma_f32 v[126:127], v[128:129], v[38:39], v[136:137] op_sel_hi:[1,0,1] neg_lo:[0,0,1] neg_hi:[0,0,1]
	v_pk_fma_f32 v[128:129], v[128:129], v[38:39], v[136:137] op_sel_hi:[1,0,1]
	ds_load_2addr_b64 v[136:139], v130 offset0:16 offset1:17
	v_dual_mov_b32 v38, v126 :: v_dual_mov_b32 v39, v129
	s_wait_dscnt 0x0
	v_pk_mul_f32 v[140:141], v[136:137], v[128:129] op_sel:[0,1]
	s_delay_alu instid0(VALU_DEP_1) | instskip(SKIP_1) | instid1(VALU_DEP_1)
	v_pk_fma_f32 v[142:143], v[136:137], v[126:127], v[140:141] op_sel:[0,0,1] op_sel_hi:[1,1,0] neg_lo:[0,0,1] neg_hi:[0,0,1]
	v_pk_fma_f32 v[136:137], v[136:137], v[126:127], v[140:141] op_sel:[0,0,1] op_sel_hi:[1,0,0]
	v_mov_b32_e32 v143, v137
	v_pk_mul_f32 v[136:137], v[138:139], v[128:129] op_sel:[0,1]
	s_delay_alu instid0(VALU_DEP_1) | instskip(SKIP_1) | instid1(VALU_DEP_1)
	v_pk_fma_f32 v[140:141], v[138:139], v[126:127], v[136:137] op_sel:[0,0,1] op_sel_hi:[1,1,0] neg_lo:[0,0,1] neg_hi:[0,0,1]
	v_pk_fma_f32 v[136:137], v[138:139], v[126:127], v[136:137] op_sel:[0,0,1] op_sel_hi:[1,0,0]
	v_mov_b32_e32 v141, v137
	ds_load_2addr_b64 v[136:139], v130 offset0:18 offset1:19
	v_pk_add_f32 v[96:97], v[96:97], v[142:143] neg_lo:[0,1] neg_hi:[0,1]
	v_pk_add_f32 v[92:93], v[92:93], v[140:141] neg_lo:[0,1] neg_hi:[0,1]
	s_wait_dscnt 0x0
	v_pk_mul_f32 v[140:141], v[136:137], v[128:129] op_sel:[0,1]
	s_delay_alu instid0(VALU_DEP_1) | instskip(SKIP_2) | instid1(VALU_DEP_2)
	v_pk_fma_f32 v[142:143], v[136:137], v[126:127], v[140:141] op_sel:[0,0,1] op_sel_hi:[1,1,0] neg_lo:[0,0,1] neg_hi:[0,0,1]
	v_pk_fma_f32 v[136:137], v[136:137], v[126:127], v[140:141] op_sel:[0,0,1] op_sel_hi:[1,0,0]
	v_dual_mul_f32 v140, v139, v129 :: v_dual_mov_b32 v136, v139
	v_dual_mov_b32 v143, v137 :: v_dual_mov_b32 v137, v138
	s_delay_alu instid0(VALU_DEP_2) | instskip(SKIP_1) | instid1(VALU_DEP_3)
	v_pk_fma_f32 v[140:141], v[138:139], v[38:39], v[140:141] op_sel_hi:[1,1,0] neg_lo:[0,0,1] neg_hi:[0,0,1]
	v_mul_f32_e32 v138, v139, v126
	v_pk_add_f32 v[94:95], v[94:95], v[142:143] neg_lo:[0,1] neg_hi:[0,1]
	s_delay_alu instid0(VALU_DEP_2) | instskip(NEXT) | instid1(VALU_DEP_1)
	v_pk_fma_f32 v[136:137], v[136:137], v[38:39], v[138:139] op_sel_hi:[1,1,0]
	v_mov_b32_e32 v141, v137
	ds_load_2addr_b64 v[136:139], v130 offset0:20 offset1:21
	v_pk_add_f32 v[36:37], v[36:37], v[140:141] neg_lo:[0,1] neg_hi:[0,1]
	s_wait_dscnt 0x0
	v_pk_mul_f32 v[140:141], v[136:137], v[128:129] op_sel:[0,1]
	s_delay_alu instid0(VALU_DEP_1) | instskip(SKIP_1) | instid1(VALU_DEP_1)
	v_pk_fma_f32 v[142:143], v[136:137], v[126:127], v[140:141] op_sel:[0,0,1] op_sel_hi:[1,1,0] neg_lo:[0,0,1] neg_hi:[0,0,1]
	v_pk_fma_f32 v[136:137], v[136:137], v[126:127], v[140:141] op_sel:[0,0,1] op_sel_hi:[1,0,0]
	v_mov_b32_e32 v143, v137
	v_pk_mul_f32 v[136:137], v[138:139], v[128:129] op_sel:[0,1]
	s_delay_alu instid0(VALU_DEP_1) | instskip(SKIP_1) | instid1(VALU_DEP_1)
	v_pk_fma_f32 v[140:141], v[138:139], v[126:127], v[136:137] op_sel:[0,0,1] op_sel_hi:[1,1,0] neg_lo:[0,0,1] neg_hi:[0,0,1]
	v_pk_fma_f32 v[136:137], v[138:139], v[126:127], v[136:137] op_sel:[0,0,1] op_sel_hi:[1,0,0]
	v_mov_b32_e32 v141, v137
	ds_load_2addr_b64 v[136:139], v130 offset0:22 offset1:23
	v_pk_add_f32 v[90:91], v[90:91], v[142:143] neg_lo:[0,1] neg_hi:[0,1]
	v_pk_add_f32 v[86:87], v[86:87], v[140:141] neg_lo:[0,1] neg_hi:[0,1]
	s_wait_dscnt 0x0
	v_pk_mul_f32 v[140:141], v[136:137], v[128:129] op_sel:[0,1]
	s_delay_alu instid0(VALU_DEP_1) | instskip(SKIP_1) | instid1(VALU_DEP_1)
	v_pk_fma_f32 v[142:143], v[136:137], v[126:127], v[140:141] op_sel:[0,0,1] op_sel_hi:[1,1,0] neg_lo:[0,0,1] neg_hi:[0,0,1]
	v_pk_fma_f32 v[136:137], v[136:137], v[126:127], v[140:141] op_sel:[0,0,1] op_sel_hi:[1,0,0]
	v_mov_b32_e32 v143, v137
	v_pk_mul_f32 v[136:137], v[138:139], v[128:129] op_sel:[0,1]
	s_delay_alu instid0(VALU_DEP_1) | instskip(SKIP_1) | instid1(VALU_DEP_1)
	v_pk_fma_f32 v[140:141], v[138:139], v[126:127], v[136:137] op_sel:[0,0,1] op_sel_hi:[1,1,0] neg_lo:[0,0,1] neg_hi:[0,0,1]
	v_pk_fma_f32 v[136:137], v[138:139], v[126:127], v[136:137] op_sel:[0,0,1] op_sel_hi:[1,0,0]
	v_mov_b32_e32 v141, v137
	ds_load_2addr_b64 v[136:139], v130 offset0:24 offset1:25
	v_pk_add_f32 v[88:89], v[88:89], v[142:143] neg_lo:[0,1] neg_hi:[0,1]
	v_pk_add_f32 v[30:31], v[30:31], v[140:141] neg_lo:[0,1] neg_hi:[0,1]
	s_wait_dscnt 0x0
	v_dual_mul_f32 v140, v137, v129 :: v_dual_mul_f32 v142, v137, v126
	s_delay_alu instid0(VALU_DEP_1) | instskip(NEXT) | instid1(VALU_DEP_2)
	v_pk_fma_f32 v[140:141], v[136:137], v[38:39], v[140:141] op_sel_hi:[1,1,0] neg_lo:[0,0,1] neg_hi:[0,0,1]
	v_pk_fma_f32 v[136:137], v[136:137], v[38:39], v[142:143] op_sel:[1,0,0] op_sel_hi:[0,1,0]
	s_delay_alu instid0(VALU_DEP_1) | instskip(SKIP_1) | instid1(VALU_DEP_2)
	v_mov_b32_e32 v141, v137
	v_pk_mul_f32 v[136:137], v[138:139], v[128:129] op_sel:[0,1]
	v_pk_add_f32 v[84:85], v[84:85], v[140:141] neg_lo:[0,1] neg_hi:[0,1]
	s_delay_alu instid0(VALU_DEP_2) | instskip(SKIP_1) | instid1(VALU_DEP_1)
	v_pk_fma_f32 v[140:141], v[138:139], v[126:127], v[136:137] op_sel:[0,0,1] op_sel_hi:[1,1,0] neg_lo:[0,0,1] neg_hi:[0,0,1]
	v_pk_fma_f32 v[136:137], v[138:139], v[126:127], v[136:137] op_sel:[0,0,1] op_sel_hi:[1,0,0]
	v_mov_b32_e32 v141, v137
	ds_load_2addr_b64 v[136:139], v130 offset0:26 offset1:27
	v_pk_add_f32 v[80:81], v[80:81], v[140:141] neg_lo:[0,1] neg_hi:[0,1]
	s_wait_dscnt 0x0
	v_pk_mul_f32 v[140:141], v[136:137], v[128:129] op_sel:[0,1]
	s_delay_alu instid0(VALU_DEP_1) | instskip(SKIP_1) | instid1(VALU_DEP_1)
	v_pk_fma_f32 v[142:143], v[136:137], v[126:127], v[140:141] op_sel:[0,0,1] op_sel_hi:[1,1,0] neg_lo:[0,0,1] neg_hi:[0,0,1]
	v_pk_fma_f32 v[136:137], v[136:137], v[126:127], v[140:141] op_sel:[0,0,1] op_sel_hi:[1,0,0]
	v_mov_b32_e32 v143, v137
	v_pk_mul_f32 v[136:137], v[138:139], v[128:129] op_sel:[0,1]
	s_delay_alu instid0(VALU_DEP_2) | instskip(NEXT) | instid1(VALU_DEP_2)
	v_pk_add_f32 v[82:83], v[82:83], v[142:143] neg_lo:[0,1] neg_hi:[0,1]
	v_pk_fma_f32 v[140:141], v[138:139], v[126:127], v[136:137] op_sel:[0,0,1] op_sel_hi:[1,1,0] neg_lo:[0,0,1] neg_hi:[0,0,1]
	v_pk_fma_f32 v[136:137], v[138:139], v[126:127], v[136:137] op_sel:[0,0,1] op_sel_hi:[1,0,0]
	s_delay_alu instid0(VALU_DEP_1) | instskip(SKIP_4) | instid1(VALU_DEP_1)
	v_mov_b32_e32 v141, v137
	ds_load_2addr_b64 v[136:139], v130 offset0:28 offset1:29
	v_pk_add_f32 v[24:25], v[24:25], v[140:141] neg_lo:[0,1] neg_hi:[0,1]
	s_wait_dscnt 0x0
	v_pk_mul_f32 v[140:141], v[136:137], v[128:129] op_sel:[0,1]
	v_pk_fma_f32 v[142:143], v[136:137], v[126:127], v[140:141] op_sel:[0,0,1] op_sel_hi:[1,1,0] neg_lo:[0,0,1] neg_hi:[0,0,1]
	v_pk_fma_f32 v[136:137], v[136:137], v[126:127], v[140:141] op_sel:[0,0,1] op_sel_hi:[1,0,0]
	v_dual_mul_f32 v140, v139, v129 :: v_dual_mov_b32 v136, v139
	s_delay_alu instid0(VALU_DEP_2) | instskip(NEXT) | instid1(VALU_DEP_2)
	v_dual_mov_b32 v143, v137 :: v_dual_mov_b32 v137, v138
	v_pk_fma_f32 v[140:141], v[138:139], v[38:39], v[140:141] op_sel_hi:[1,1,0] neg_lo:[0,0,1] neg_hi:[0,0,1]
	v_mul_f32_e32 v138, v139, v126
	s_delay_alu instid0(VALU_DEP_3) | instskip(NEXT) | instid1(VALU_DEP_2)
	v_pk_add_f32 v[78:79], v[78:79], v[142:143] neg_lo:[0,1] neg_hi:[0,1]
	v_pk_fma_f32 v[136:137], v[136:137], v[38:39], v[138:139] op_sel_hi:[1,1,0]
	s_delay_alu instid0(VALU_DEP_1) | instskip(SKIP_4) | instid1(VALU_DEP_1)
	v_mov_b32_e32 v141, v137
	ds_load_2addr_b64 v[136:139], v130 offset0:30 offset1:31
	v_pk_add_f32 v[74:75], v[74:75], v[140:141] neg_lo:[0,1] neg_hi:[0,1]
	s_wait_dscnt 0x0
	v_pk_mul_f32 v[140:141], v[136:137], v[128:129] op_sel:[0,1]
	v_pk_fma_f32 v[142:143], v[136:137], v[126:127], v[140:141] op_sel:[0,0,1] op_sel_hi:[1,1,0] neg_lo:[0,0,1] neg_hi:[0,0,1]
	v_pk_fma_f32 v[136:137], v[136:137], v[126:127], v[140:141] op_sel:[0,0,1] op_sel_hi:[1,0,0]
	s_delay_alu instid0(VALU_DEP_1) | instskip(SKIP_1) | instid1(VALU_DEP_1)
	v_mov_b32_e32 v143, v137
	v_pk_mul_f32 v[136:137], v[138:139], v[128:129] op_sel:[0,1]
	v_pk_fma_f32 v[140:141], v[138:139], v[126:127], v[136:137] op_sel:[0,0,1] op_sel_hi:[1,1,0] neg_lo:[0,0,1] neg_hi:[0,0,1]
	v_pk_fma_f32 v[136:137], v[138:139], v[126:127], v[136:137] op_sel:[0,0,1] op_sel_hi:[1,0,0]
	s_delay_alu instid0(VALU_DEP_1)
	v_mov_b32_e32 v141, v137
	ds_load_2addr_b64 v[136:139], v130 offset0:32 offset1:33
	v_pk_add_f32 v[76:77], v[76:77], v[142:143] neg_lo:[0,1] neg_hi:[0,1]
	v_pk_add_f32 v[22:23], v[22:23], v[140:141] neg_lo:[0,1] neg_hi:[0,1]
	s_wait_dscnt 0x0
	v_pk_mul_f32 v[140:141], v[136:137], v[128:129] op_sel:[0,1]
	s_delay_alu instid0(VALU_DEP_1) | instskip(SKIP_1) | instid1(VALU_DEP_1)
	v_pk_fma_f32 v[142:143], v[136:137], v[126:127], v[140:141] op_sel:[0,0,1] op_sel_hi:[1,1,0] neg_lo:[0,0,1] neg_hi:[0,0,1]
	v_pk_fma_f32 v[136:137], v[136:137], v[126:127], v[140:141] op_sel:[0,0,1] op_sel_hi:[1,0,0]
	v_mov_b32_e32 v143, v137
	v_pk_mul_f32 v[136:137], v[138:139], v[128:129] op_sel:[0,1]
	s_delay_alu instid0(VALU_DEP_1) | instskip(SKIP_1) | instid1(VALU_DEP_1)
	v_pk_fma_f32 v[140:141], v[138:139], v[126:127], v[136:137] op_sel:[0,0,1] op_sel_hi:[1,1,0] neg_lo:[0,0,1] neg_hi:[0,0,1]
	v_pk_fma_f32 v[136:137], v[138:139], v[126:127], v[136:137] op_sel:[0,0,1] op_sel_hi:[1,0,0]
	v_mov_b32_e32 v141, v137
	ds_load_2addr_b64 v[136:139], v130 offset0:34 offset1:35
	v_pk_add_f32 v[72:73], v[72:73], v[142:143] neg_lo:[0,1] neg_hi:[0,1]
	v_pk_add_f32 v[68:69], v[68:69], v[140:141] neg_lo:[0,1] neg_hi:[0,1]
	s_wait_dscnt 0x0
	v_dual_mul_f32 v140, v137, v129 :: v_dual_mul_f32 v142, v137, v126
	s_delay_alu instid0(VALU_DEP_1) | instskip(NEXT) | instid1(VALU_DEP_2)
	v_pk_fma_f32 v[140:141], v[136:137], v[38:39], v[140:141] op_sel_hi:[1,1,0] neg_lo:[0,0,1] neg_hi:[0,0,1]
	v_pk_fma_f32 v[136:137], v[136:137], v[38:39], v[142:143] op_sel:[1,0,0] op_sel_hi:[0,1,0]
	s_delay_alu instid0(VALU_DEP_1) | instskip(SKIP_1) | instid1(VALU_DEP_2)
	v_mov_b32_e32 v141, v137
	v_pk_mul_f32 v[136:137], v[138:139], v[128:129] op_sel:[0,1]
	v_pk_add_f32 v[70:71], v[70:71], v[140:141] neg_lo:[0,1] neg_hi:[0,1]
	s_delay_alu instid0(VALU_DEP_2) | instskip(SKIP_1) | instid1(VALU_DEP_1)
	v_pk_fma_f32 v[140:141], v[138:139], v[126:127], v[136:137] op_sel:[0,0,1] op_sel_hi:[1,1,0] neg_lo:[0,0,1] neg_hi:[0,0,1]
	v_pk_fma_f32 v[136:137], v[138:139], v[126:127], v[136:137] op_sel:[0,0,1] op_sel_hi:[1,0,0]
	v_mov_b32_e32 v141, v137
	ds_load_2addr_b64 v[136:139], v130 offset0:36 offset1:37
	v_pk_add_f32 v[20:21], v[20:21], v[140:141] neg_lo:[0,1] neg_hi:[0,1]
	s_wait_dscnt 0x0
	v_pk_mul_f32 v[140:141], v[136:137], v[128:129] op_sel:[0,1]
	s_delay_alu instid0(VALU_DEP_1) | instskip(SKIP_1) | instid1(VALU_DEP_1)
	v_pk_fma_f32 v[142:143], v[136:137], v[126:127], v[140:141] op_sel:[0,0,1] op_sel_hi:[1,1,0] neg_lo:[0,0,1] neg_hi:[0,0,1]
	v_pk_fma_f32 v[136:137], v[136:137], v[126:127], v[140:141] op_sel:[0,0,1] op_sel_hi:[1,0,0]
	v_mov_b32_e32 v143, v137
	v_pk_mul_f32 v[136:137], v[138:139], v[128:129] op_sel:[0,1]
	s_delay_alu instid0(VALU_DEP_2) | instskip(NEXT) | instid1(VALU_DEP_2)
	v_pk_add_f32 v[66:67], v[66:67], v[142:143] neg_lo:[0,1] neg_hi:[0,1]
	v_pk_fma_f32 v[140:141], v[138:139], v[126:127], v[136:137] op_sel:[0,0,1] op_sel_hi:[1,1,0] neg_lo:[0,0,1] neg_hi:[0,0,1]
	v_pk_fma_f32 v[136:137], v[138:139], v[126:127], v[136:137] op_sel:[0,0,1] op_sel_hi:[1,0,0]
	s_delay_alu instid0(VALU_DEP_1) | instskip(SKIP_4) | instid1(VALU_DEP_1)
	v_mov_b32_e32 v141, v137
	ds_load_2addr_b64 v[136:139], v130 offset0:38 offset1:39
	v_pk_add_f32 v[62:63], v[62:63], v[140:141] neg_lo:[0,1] neg_hi:[0,1]
	s_wait_dscnt 0x0
	v_pk_mul_f32 v[140:141], v[136:137], v[128:129] op_sel:[0,1]
	v_pk_fma_f32 v[142:143], v[136:137], v[126:127], v[140:141] op_sel:[0,0,1] op_sel_hi:[1,1,0] neg_lo:[0,0,1] neg_hi:[0,0,1]
	v_pk_fma_f32 v[136:137], v[136:137], v[126:127], v[140:141] op_sel:[0,0,1] op_sel_hi:[1,0,0]
	v_dual_mul_f32 v140, v139, v129 :: v_dual_mov_b32 v136, v139
	s_delay_alu instid0(VALU_DEP_2) | instskip(NEXT) | instid1(VALU_DEP_2)
	v_dual_mov_b32 v143, v137 :: v_dual_mov_b32 v137, v138
	v_pk_fma_f32 v[140:141], v[138:139], v[38:39], v[140:141] op_sel_hi:[1,1,0] neg_lo:[0,0,1] neg_hi:[0,0,1]
	v_mul_f32_e32 v138, v139, v126
	s_delay_alu instid0(VALU_DEP_3) | instskip(NEXT) | instid1(VALU_DEP_2)
	v_pk_add_f32 v[64:65], v[64:65], v[142:143] neg_lo:[0,1] neg_hi:[0,1]
	v_pk_fma_f32 v[136:137], v[136:137], v[38:39], v[138:139] op_sel_hi:[1,1,0]
	s_delay_alu instid0(VALU_DEP_1) | instskip(SKIP_4) | instid1(VALU_DEP_1)
	v_mov_b32_e32 v141, v137
	ds_load_2addr_b64 v[136:139], v130 offset0:40 offset1:41
	v_pk_add_f32 v[18:19], v[18:19], v[140:141] neg_lo:[0,1] neg_hi:[0,1]
	s_wait_dscnt 0x0
	v_pk_mul_f32 v[140:141], v[136:137], v[128:129] op_sel:[0,1]
	v_pk_fma_f32 v[142:143], v[136:137], v[126:127], v[140:141] op_sel:[0,0,1] op_sel_hi:[1,1,0] neg_lo:[0,0,1] neg_hi:[0,0,1]
	v_pk_fma_f32 v[136:137], v[136:137], v[126:127], v[140:141] op_sel:[0,0,1] op_sel_hi:[1,0,0]
	s_delay_alu instid0(VALU_DEP_1) | instskip(SKIP_1) | instid1(VALU_DEP_1)
	v_mov_b32_e32 v143, v137
	v_pk_mul_f32 v[136:137], v[138:139], v[128:129] op_sel:[0,1]
	v_pk_fma_f32 v[140:141], v[138:139], v[126:127], v[136:137] op_sel:[0,0,1] op_sel_hi:[1,1,0] neg_lo:[0,0,1] neg_hi:[0,0,1]
	v_pk_fma_f32 v[136:137], v[138:139], v[126:127], v[136:137] op_sel:[0,0,1] op_sel_hi:[1,0,0]
	s_delay_alu instid0(VALU_DEP_1)
	v_mov_b32_e32 v141, v137
	ds_load_2addr_b64 v[136:139], v130 offset0:42 offset1:43
	v_pk_add_f32 v[60:61], v[60:61], v[142:143] neg_lo:[0,1] neg_hi:[0,1]
	v_pk_add_f32 v[56:57], v[56:57], v[140:141] neg_lo:[0,1] neg_hi:[0,1]
	s_wait_dscnt 0x0
	v_pk_mul_f32 v[140:141], v[136:137], v[128:129] op_sel:[0,1]
	s_delay_alu instid0(VALU_DEP_1) | instskip(SKIP_1) | instid1(VALU_DEP_1)
	v_pk_fma_f32 v[142:143], v[136:137], v[126:127], v[140:141] op_sel:[0,0,1] op_sel_hi:[1,1,0] neg_lo:[0,0,1] neg_hi:[0,0,1]
	v_pk_fma_f32 v[136:137], v[136:137], v[126:127], v[140:141] op_sel:[0,0,1] op_sel_hi:[1,0,0]
	v_mov_b32_e32 v143, v137
	v_pk_mul_f32 v[136:137], v[138:139], v[128:129] op_sel:[0,1]
	s_delay_alu instid0(VALU_DEP_1) | instskip(SKIP_1) | instid1(VALU_DEP_1)
	v_pk_fma_f32 v[140:141], v[138:139], v[126:127], v[136:137] op_sel:[0,0,1] op_sel_hi:[1,1,0] neg_lo:[0,0,1] neg_hi:[0,0,1]
	v_pk_fma_f32 v[136:137], v[138:139], v[126:127], v[136:137] op_sel:[0,0,1] op_sel_hi:[1,0,0]
	v_mov_b32_e32 v141, v137
	ds_load_2addr_b64 v[136:139], v130 offset0:44 offset1:45
	v_pk_add_f32 v[58:59], v[58:59], v[142:143] neg_lo:[0,1] neg_hi:[0,1]
	v_pk_add_f32 v[12:13], v[12:13], v[140:141] neg_lo:[0,1] neg_hi:[0,1]
	s_wait_dscnt 0x0
	v_dual_mul_f32 v140, v137, v129 :: v_dual_mul_f32 v142, v137, v126
	s_delay_alu instid0(VALU_DEP_1) | instskip(NEXT) | instid1(VALU_DEP_2)
	v_pk_fma_f32 v[140:141], v[136:137], v[38:39], v[140:141] op_sel_hi:[1,1,0] neg_lo:[0,0,1] neg_hi:[0,0,1]
	v_pk_fma_f32 v[136:137], v[136:137], v[38:39], v[142:143] op_sel:[1,0,0] op_sel_hi:[0,1,0]
	s_delay_alu instid0(VALU_DEP_1) | instskip(SKIP_1) | instid1(VALU_DEP_2)
	v_mov_b32_e32 v141, v137
	v_pk_mul_f32 v[136:137], v[138:139], v[128:129] op_sel:[0,1]
	v_pk_add_f32 v[54:55], v[54:55], v[140:141] neg_lo:[0,1] neg_hi:[0,1]
	s_delay_alu instid0(VALU_DEP_2) | instskip(SKIP_1) | instid1(VALU_DEP_1)
	v_pk_fma_f32 v[140:141], v[138:139], v[126:127], v[136:137] op_sel:[0,0,1] op_sel_hi:[1,1,0] neg_lo:[0,0,1] neg_hi:[0,0,1]
	v_pk_fma_f32 v[136:137], v[138:139], v[126:127], v[136:137] op_sel:[0,0,1] op_sel_hi:[1,0,0]
	v_mov_b32_e32 v141, v137
	ds_load_2addr_b64 v[136:139], v130 offset0:46 offset1:47
	v_pk_add_f32 v[50:51], v[50:51], v[140:141] neg_lo:[0,1] neg_hi:[0,1]
	s_wait_dscnt 0x0
	v_pk_mul_f32 v[140:141], v[136:137], v[128:129] op_sel:[0,1]
	s_delay_alu instid0(VALU_DEP_1) | instskip(SKIP_1) | instid1(VALU_DEP_1)
	v_pk_fma_f32 v[142:143], v[136:137], v[126:127], v[140:141] op_sel:[0,0,1] op_sel_hi:[1,1,0] neg_lo:[0,0,1] neg_hi:[0,0,1]
	v_pk_fma_f32 v[136:137], v[136:137], v[126:127], v[140:141] op_sel:[0,0,1] op_sel_hi:[1,0,0]
	v_mov_b32_e32 v143, v137
	v_pk_mul_f32 v[136:137], v[138:139], v[128:129] op_sel:[0,1]
	s_delay_alu instid0(VALU_DEP_2) | instskip(NEXT) | instid1(VALU_DEP_2)
	v_pk_add_f32 v[52:53], v[52:53], v[142:143] neg_lo:[0,1] neg_hi:[0,1]
	v_pk_fma_f32 v[140:141], v[138:139], v[126:127], v[136:137] op_sel:[0,0,1] op_sel_hi:[1,1,0] neg_lo:[0,0,1] neg_hi:[0,0,1]
	v_pk_fma_f32 v[136:137], v[138:139], v[126:127], v[136:137] op_sel:[0,0,1] op_sel_hi:[1,0,0]
	s_delay_alu instid0(VALU_DEP_1) | instskip(SKIP_4) | instid1(VALU_DEP_1)
	v_mov_b32_e32 v141, v137
	ds_load_2addr_b64 v[136:139], v130 offset0:48 offset1:49
	v_pk_add_f32 v[10:11], v[10:11], v[140:141] neg_lo:[0,1] neg_hi:[0,1]
	s_wait_dscnt 0x0
	v_pk_mul_f32 v[140:141], v[136:137], v[128:129] op_sel:[0,1]
	v_pk_fma_f32 v[142:143], v[136:137], v[126:127], v[140:141] op_sel:[0,0,1] op_sel_hi:[1,1,0] neg_lo:[0,0,1] neg_hi:[0,0,1]
	v_pk_fma_f32 v[136:137], v[136:137], v[126:127], v[140:141] op_sel:[0,0,1] op_sel_hi:[1,0,0]
	v_dual_mul_f32 v140, v139, v129 :: v_dual_mov_b32 v136, v139
	s_delay_alu instid0(VALU_DEP_2) | instskip(NEXT) | instid1(VALU_DEP_2)
	v_dual_mov_b32 v143, v137 :: v_dual_mov_b32 v137, v138
	v_pk_fma_f32 v[140:141], v[138:139], v[38:39], v[140:141] op_sel_hi:[1,1,0] neg_lo:[0,0,1] neg_hi:[0,0,1]
	v_mul_f32_e32 v138, v139, v126
	s_delay_alu instid0(VALU_DEP_3) | instskip(NEXT) | instid1(VALU_DEP_2)
	v_pk_add_f32 v[46:47], v[46:47], v[142:143] neg_lo:[0,1] neg_hi:[0,1]
	v_pk_fma_f32 v[136:137], v[136:137], v[38:39], v[138:139] op_sel_hi:[1,1,0]
	s_delay_alu instid0(VALU_DEP_1) | instskip(SKIP_4) | instid1(VALU_DEP_1)
	v_mov_b32_e32 v141, v137
	ds_load_2addr_b64 v[136:139], v130 offset0:50 offset1:51
	v_pk_add_f32 v[44:45], v[44:45], v[140:141] neg_lo:[0,1] neg_hi:[0,1]
	s_wait_dscnt 0x0
	v_pk_mul_f32 v[140:141], v[136:137], v[128:129] op_sel:[0,1]
	v_pk_fma_f32 v[142:143], v[136:137], v[126:127], v[140:141] op_sel:[0,0,1] op_sel_hi:[1,1,0] neg_lo:[0,0,1] neg_hi:[0,0,1]
	v_pk_fma_f32 v[136:137], v[136:137], v[126:127], v[140:141] op_sel:[0,0,1] op_sel_hi:[1,0,0]
	s_delay_alu instid0(VALU_DEP_1) | instskip(SKIP_1) | instid1(VALU_DEP_1)
	v_mov_b32_e32 v143, v137
	v_pk_mul_f32 v[136:137], v[138:139], v[128:129] op_sel:[0,1]
	v_pk_fma_f32 v[140:141], v[138:139], v[126:127], v[136:137] op_sel:[0,0,1] op_sel_hi:[1,1,0] neg_lo:[0,0,1] neg_hi:[0,0,1]
	v_pk_fma_f32 v[136:137], v[138:139], v[126:127], v[136:137] op_sel:[0,0,1] op_sel_hi:[1,0,0]
	s_delay_alu instid0(VALU_DEP_1)
	v_mov_b32_e32 v141, v137
	ds_load_2addr_b64 v[136:139], v130 offset0:52 offset1:53
	v_pk_add_f32 v[48:49], v[48:49], v[142:143] neg_lo:[0,1] neg_hi:[0,1]
	v_pk_add_f32 v[8:9], v[8:9], v[140:141] neg_lo:[0,1] neg_hi:[0,1]
	s_wait_dscnt 0x0
	v_pk_mul_f32 v[140:141], v[136:137], v[128:129] op_sel:[0,1]
	s_delay_alu instid0(VALU_DEP_1) | instskip(SKIP_1) | instid1(VALU_DEP_1)
	v_pk_fma_f32 v[142:143], v[136:137], v[126:127], v[140:141] op_sel:[0,0,1] op_sel_hi:[1,1,0] neg_lo:[0,0,1] neg_hi:[0,0,1]
	v_pk_fma_f32 v[136:137], v[136:137], v[126:127], v[140:141] op_sel:[0,0,1] op_sel_hi:[1,0,0]
	v_mov_b32_e32 v143, v137
	v_pk_mul_f32 v[136:137], v[138:139], v[128:129] op_sel:[0,1]
	s_delay_alu instid0(VALU_DEP_1) | instskip(SKIP_1) | instid1(VALU_DEP_1)
	v_pk_fma_f32 v[140:141], v[138:139], v[126:127], v[136:137] op_sel:[0,0,1] op_sel_hi:[1,1,0] neg_lo:[0,0,1] neg_hi:[0,0,1]
	v_pk_fma_f32 v[136:137], v[138:139], v[126:127], v[136:137] op_sel:[0,0,1] op_sel_hi:[1,0,0]
	v_mov_b32_e32 v141, v137
	ds_load_2addr_b64 v[136:139], v130 offset0:54 offset1:55
	v_pk_add_f32 v[34:35], v[34:35], v[142:143] neg_lo:[0,1] neg_hi:[0,1]
	v_pk_add_f32 v[28:29], v[28:29], v[140:141] neg_lo:[0,1] neg_hi:[0,1]
	s_wait_dscnt 0x0
	v_dual_mul_f32 v140, v137, v129 :: v_dual_mul_f32 v142, v137, v126
	s_delay_alu instid0(VALU_DEP_1) | instskip(NEXT) | instid1(VALU_DEP_2)
	v_pk_fma_f32 v[140:141], v[136:137], v[38:39], v[140:141] op_sel_hi:[1,1,0] neg_lo:[0,0,1] neg_hi:[0,0,1]
	v_pk_fma_f32 v[136:137], v[136:137], v[38:39], v[142:143] op_sel:[1,0,0] op_sel_hi:[0,1,0]
	s_delay_alu instid0(VALU_DEP_1) | instskip(SKIP_1) | instid1(VALU_DEP_2)
	v_mov_b32_e32 v141, v137
	v_pk_mul_f32 v[136:137], v[138:139], v[128:129] op_sel:[0,1]
	v_pk_add_f32 v[32:33], v[32:33], v[140:141] neg_lo:[0,1] neg_hi:[0,1]
	s_delay_alu instid0(VALU_DEP_2) | instskip(SKIP_1) | instid1(VALU_DEP_1)
	v_pk_fma_f32 v[140:141], v[138:139], v[126:127], v[136:137] op_sel:[0,0,1] op_sel_hi:[1,1,0] neg_lo:[0,0,1] neg_hi:[0,0,1]
	v_pk_fma_f32 v[136:137], v[138:139], v[126:127], v[136:137] op_sel:[0,0,1] op_sel_hi:[1,0,0]
	v_mov_b32_e32 v141, v137
	ds_load_2addr_b64 v[136:139], v130 offset0:56 offset1:57
	v_pk_add_f32 v[6:7], v[6:7], v[140:141] neg_lo:[0,1] neg_hi:[0,1]
	s_wait_dscnt 0x0
	v_pk_mul_f32 v[140:141], v[136:137], v[128:129] op_sel:[0,1]
	s_delay_alu instid0(VALU_DEP_1) | instskip(SKIP_1) | instid1(VALU_DEP_1)
	v_pk_fma_f32 v[142:143], v[136:137], v[126:127], v[140:141] op_sel:[0,0,1] op_sel_hi:[1,1,0] neg_lo:[0,0,1] neg_hi:[0,0,1]
	v_pk_fma_f32 v[136:137], v[136:137], v[126:127], v[140:141] op_sel:[0,0,1] op_sel_hi:[1,0,0]
	v_mov_b32_e32 v143, v137
	v_pk_mul_f32 v[136:137], v[138:139], v[128:129] op_sel:[0,1]
	s_delay_alu instid0(VALU_DEP_2) | instskip(NEXT) | instid1(VALU_DEP_2)
	v_pk_add_f32 v[26:27], v[26:27], v[142:143] neg_lo:[0,1] neg_hi:[0,1]
	v_pk_fma_f32 v[140:141], v[138:139], v[126:127], v[136:137] op_sel:[0,0,1] op_sel_hi:[1,1,0] neg_lo:[0,0,1] neg_hi:[0,0,1]
	v_pk_fma_f32 v[136:137], v[138:139], v[126:127], v[136:137] op_sel:[0,0,1] op_sel_hi:[1,0,0]
	s_delay_alu instid0(VALU_DEP_1)
	v_mov_b32_e32 v141, v137
	ds_load_2addr_b64 v[136:139], v130 offset0:58 offset1:59
	v_pk_add_f32 v[16:17], v[16:17], v[140:141] neg_lo:[0,1] neg_hi:[0,1]
	s_wait_dscnt 0x0
	v_pk_mul_f32 v[140:141], v[136:137], v[128:129] op_sel:[0,1]
	v_pk_mul_f32 v[128:129], v[138:139], v[128:129] op_sel:[0,1]
	s_delay_alu instid0(VALU_DEP_2) | instskip(SKIP_1) | instid1(VALU_DEP_1)
	v_pk_fma_f32 v[142:143], v[136:137], v[126:127], v[140:141] op_sel:[0,0,1] op_sel_hi:[1,1,0] neg_lo:[0,0,1] neg_hi:[0,0,1]
	v_pk_fma_f32 v[136:137], v[136:137], v[126:127], v[140:141] op_sel:[0,0,1] op_sel_hi:[1,0,0]
	v_mov_b32_e32 v143, v137
	s_delay_alu instid0(VALU_DEP_4) | instskip(SKIP_1) | instid1(VALU_DEP_3)
	v_pk_fma_f32 v[136:137], v[138:139], v[126:127], v[128:129] op_sel:[0,0,1] op_sel_hi:[1,1,0] neg_lo:[0,0,1] neg_hi:[0,0,1]
	v_pk_fma_f32 v[126:127], v[138:139], v[126:127], v[128:129] op_sel:[0,0,1] op_sel_hi:[1,0,0]
	v_pk_add_f32 v[14:15], v[14:15], v[142:143] neg_lo:[0,1] neg_hi:[0,1]
	s_delay_alu instid0(VALU_DEP_2) | instskip(NEXT) | instid1(VALU_DEP_1)
	v_mov_b32_e32 v137, v127
	v_pk_add_f32 v[124:125], v[124:125], v[136:137] neg_lo:[0,1] neg_hi:[0,1]
.LBB118_335:
	s_or_b32 exec_lo, exec_lo, s0
	v_lshl_add_u32 v126, v134, 3, v130
	s_barrier_signal -1
	s_barrier_wait -1
	ds_store_b64 v126, v[96:97]
	s_wait_dscnt 0x0
	s_barrier_signal -1
	s_barrier_wait -1
	ds_load_b64 v[128:129], v130 offset:128
	v_mov_b32_e32 v126, 16
	s_cmp_lt_i32 s18, 18
	s_cbranch_scc1 .LBB118_338
; %bb.336:
	v_add3_u32 v127, v131, 0, 0x88
	v_mov_b32_e32 v126, 16
	s_mov_b32 s0, 17
.LBB118_337:                            ; =>This Inner Loop Header: Depth=1
	ds_load_b64 v[136:137], v127
	s_wait_dscnt 0x1
	v_cmp_gt_f32_e32 vcc_lo, 0, v128
	v_cndmask_b32_e64 v138, v128, -v128, vcc_lo
	v_cmp_gt_f32_e32 vcc_lo, 0, v129
	v_cndmask_b32_e64 v140, v129, -v129, vcc_lo
	s_wait_dscnt 0x0
	v_cmp_gt_f32_e32 vcc_lo, 0, v136
	v_cndmask_b32_e64 v139, v136, -v136, vcc_lo
	v_cmp_gt_f32_e32 vcc_lo, 0, v137
	v_cndmask_b32_e64 v141, v137, -v137, vcc_lo
	s_delay_alu instid0(VALU_DEP_1) | instskip(NEXT) | instid1(VALU_DEP_1)
	v_pk_add_f32 v[138:139], v[138:139], v[140:141]
	v_cmp_lt_f32_e32 vcc_lo, v138, v139
	v_dual_add_nc_u32 v127, 8, v127 :: v_dual_cndmask_b32 v129, v129, v137, vcc_lo
	v_cndmask_b32_e32 v128, v128, v136, vcc_lo
	v_cndmask_b32_e64 v126, v126, s0, vcc_lo
	s_add_co_i32 s0, s0, 1
	s_delay_alu instid0(SALU_CYCLE_1)
	s_cmp_lg_u32 s18, s0
	s_cbranch_scc1 .LBB118_337
.LBB118_338:
	s_wait_dscnt 0x0
	v_cmp_eq_f32_e32 vcc_lo, 0, v128
	v_cmp_eq_f32_e64 s0, 0, v129
	s_and_b32 s0, vcc_lo, s0
	s_delay_alu instid0(SALU_CYCLE_1) | instskip(NEXT) | instid1(SALU_CYCLE_1)
	s_and_saveexec_b32 s1, s0
	s_xor_b32 s0, exec_lo, s1
; %bb.339:
	v_cmp_ne_u32_e32 vcc_lo, 0, v132
	v_cndmask_b32_e32 v132, 17, v132, vcc_lo
; %bb.340:
	s_and_not1_saveexec_b32 s0, s0
	s_cbranch_execz .LBB118_346
; %bb.341:
	v_cmp_ngt_f32_e64 s1, |v128|, |v129|
	s_and_saveexec_b32 s12, s1
	s_delay_alu instid0(SALU_CYCLE_1)
	s_xor_b32 s1, exec_lo, s12
	s_cbranch_execz .LBB118_343
; %bb.342:
	v_div_scale_f32 v127, null, v129, v129, v128
	v_div_scale_f32 v137, vcc_lo, v128, v129, v128
	s_delay_alu instid0(VALU_DEP_2) | instskip(SKIP_1) | instid1(TRANS32_DEP_1)
	v_rcp_f32_e32 v135, v127
	v_nop
	v_fma_f32 v136, -v127, v135, 1.0
	s_delay_alu instid0(VALU_DEP_1) | instskip(NEXT) | instid1(VALU_DEP_1)
	v_fmac_f32_e32 v135, v136, v135
	v_mul_f32_e32 v136, v137, v135
	s_delay_alu instid0(VALU_DEP_1) | instskip(NEXT) | instid1(VALU_DEP_1)
	v_fma_f32 v138, -v127, v136, v137
	v_fmac_f32_e32 v136, v138, v135
	s_delay_alu instid0(VALU_DEP_1) | instskip(NEXT) | instid1(VALU_DEP_1)
	v_fma_f32 v127, -v127, v136, v137
	v_div_fmas_f32 v127, v127, v135, v136
	s_delay_alu instid0(VALU_DEP_1) | instskip(NEXT) | instid1(VALU_DEP_1)
	v_div_fixup_f32 v127, v127, v129, v128
	v_fmac_f32_e32 v129, v128, v127
	s_delay_alu instid0(VALU_DEP_1) | instskip(SKIP_1) | instid1(VALU_DEP_2)
	v_div_scale_f32 v128, null, v129, v129, 1.0
	v_div_scale_f32 v137, vcc_lo, 1.0, v129, 1.0
	v_rcp_f32_e32 v135, v128
	v_nop
	s_delay_alu instid0(TRANS32_DEP_1) | instskip(NEXT) | instid1(VALU_DEP_1)
	v_fma_f32 v136, -v128, v135, 1.0
	v_fmac_f32_e32 v135, v136, v135
	s_delay_alu instid0(VALU_DEP_1) | instskip(NEXT) | instid1(VALU_DEP_1)
	v_mul_f32_e32 v136, v137, v135
	v_fma_f32 v138, -v128, v136, v137
	s_delay_alu instid0(VALU_DEP_1) | instskip(NEXT) | instid1(VALU_DEP_1)
	v_fmac_f32_e32 v136, v138, v135
	v_fma_f32 v128, -v128, v136, v137
	s_delay_alu instid0(VALU_DEP_1) | instskip(NEXT) | instid1(VALU_DEP_1)
	v_div_fmas_f32 v128, v128, v135, v136
	v_div_fixup_f32 v129, v128, v129, 1.0
	s_delay_alu instid0(VALU_DEP_1)
	v_mul_f32_e32 v128, v127, v129
	v_xor_b32_e32 v129, 0x80000000, v129
.LBB118_343:
	s_and_not1_saveexec_b32 s1, s1
	s_cbranch_execz .LBB118_345
; %bb.344:
	s_delay_alu instid0(VALU_DEP_1) | instskip(SKIP_1) | instid1(VALU_DEP_2)
	v_div_scale_f32 v127, null, v128, v128, v129
	v_div_scale_f32 v137, vcc_lo, v129, v128, v129
	v_rcp_f32_e32 v135, v127
	v_nop
	s_delay_alu instid0(TRANS32_DEP_1) | instskip(NEXT) | instid1(VALU_DEP_1)
	v_fma_f32 v136, -v127, v135, 1.0
	v_fmac_f32_e32 v135, v136, v135
	s_delay_alu instid0(VALU_DEP_1) | instskip(NEXT) | instid1(VALU_DEP_1)
	v_mul_f32_e32 v136, v137, v135
	v_fma_f32 v138, -v127, v136, v137
	s_delay_alu instid0(VALU_DEP_1) | instskip(NEXT) | instid1(VALU_DEP_1)
	v_fmac_f32_e32 v136, v138, v135
	v_fma_f32 v127, -v127, v136, v137
	s_delay_alu instid0(VALU_DEP_1) | instskip(NEXT) | instid1(VALU_DEP_1)
	v_div_fmas_f32 v127, v127, v135, v136
	v_div_fixup_f32 v127, v127, v128, v129
	s_delay_alu instid0(VALU_DEP_1) | instskip(NEXT) | instid1(VALU_DEP_1)
	v_fmac_f32_e32 v128, v129, v127
	v_div_scale_f32 v129, null, v128, v128, 1.0
	s_delay_alu instid0(VALU_DEP_1) | instskip(SKIP_1) | instid1(TRANS32_DEP_1)
	v_rcp_f32_e32 v135, v129
	v_nop
	v_fma_f32 v136, -v129, v135, 1.0
	s_delay_alu instid0(VALU_DEP_1) | instskip(SKIP_1) | instid1(VALU_DEP_1)
	v_fmac_f32_e32 v135, v136, v135
	v_div_scale_f32 v136, vcc_lo, 1.0, v128, 1.0
	v_mul_f32_e32 v137, v136, v135
	s_delay_alu instid0(VALU_DEP_1) | instskip(NEXT) | instid1(VALU_DEP_1)
	v_fma_f32 v138, -v129, v137, v136
	v_fmac_f32_e32 v137, v138, v135
	s_delay_alu instid0(VALU_DEP_1) | instskip(NEXT) | instid1(VALU_DEP_1)
	v_fma_f32 v129, -v129, v137, v136
	v_div_fmas_f32 v129, v129, v135, v137
	s_delay_alu instid0(VALU_DEP_1) | instskip(NEXT) | instid1(VALU_DEP_1)
	v_div_fixup_f32 v128, v129, v128, 1.0
	v_mul_f32_e64 v129, v127, -v128
.LBB118_345:
	s_or_b32 exec_lo, exec_lo, s1
.LBB118_346:
	s_delay_alu instid0(SALU_CYCLE_1) | instskip(NEXT) | instid1(SALU_CYCLE_1)
	s_or_b32 exec_lo, exec_lo, s0
	s_mov_b32 s0, exec_lo
	v_cmpx_ne_u32_e64 v134, v126
	s_xor_b32 s0, exec_lo, s0
	s_cbranch_execz .LBB118_352
; %bb.347:
	s_mov_b32 s1, exec_lo
	v_cmpx_eq_u32_e32 16, v134
	s_cbranch_execz .LBB118_351
; %bb.348:
	v_cmp_ne_u32_e32 vcc_lo, 16, v126
	s_xor_b32 s12, s16, -1
	s_delay_alu instid0(SALU_CYCLE_1) | instskip(NEXT) | instid1(SALU_CYCLE_1)
	s_and_b32 s13, s12, vcc_lo
	s_and_saveexec_b32 s12, s13
	s_cbranch_execz .LBB118_350
; %bb.349:
	v_ashrrev_i32_e32 v127, 31, v126
	s_delay_alu instid0(VALU_DEP_1)
	v_lshl_add_u64 v[134:135], v[126:127], 2, v[4:5]
	s_clause 0x1
	global_load_b32 v127, v[134:135], off
	global_load_b32 v133, v[4:5], off offset:64
	s_wait_loadcnt 0x1
	global_store_b32 v[4:5], v127, off offset:64
	s_wait_loadcnt 0x0
	global_store_b32 v[134:135], v133, off
.LBB118_350:
	s_wait_xcnt 0x0
	s_or_b32 exec_lo, exec_lo, s12
	v_dual_mov_b32 v134, v126 :: v_dual_mov_b32 v133, v126
.LBB118_351:
	s_or_b32 exec_lo, exec_lo, s1
.LBB118_352:
	s_and_not1_saveexec_b32 s0, s0
	s_cbranch_execz .LBB118_354
; %bb.353:
	v_mov_b32_e32 v134, 16
	ds_store_2addr_b64 v130, v[92:93], v[94:95] offset0:17 offset1:18
	ds_store_2addr_b64 v130, v[36:37], v[90:91] offset0:19 offset1:20
	;; [unrolled: 1-line block ×21, first 2 shown]
	ds_store_b64 v130, v[124:125] offset:472
.LBB118_354:
	s_or_b32 exec_lo, exec_lo, s0
	s_delay_alu instid0(SALU_CYCLE_1)
	s_mov_b32 s0, exec_lo
	s_wait_storecnt_dscnt 0x0
	s_barrier_signal -1
	s_barrier_wait -1
	v_cmpx_lt_i32_e32 16, v134
	s_cbranch_execz .LBB118_356
; %bb.355:
	v_pk_mul_f32 v[136:137], v[128:129], v[96:97] op_sel:[1,1] op_sel_hi:[0,1]
	s_delay_alu instid0(VALU_DEP_1)
	v_pk_fma_f32 v[126:127], v[128:129], v[96:97], v[136:137] op_sel_hi:[1,0,1] neg_lo:[0,0,1] neg_hi:[0,0,1]
	v_pk_fma_f32 v[128:129], v[128:129], v[96:97], v[136:137] op_sel_hi:[1,0,1]
	ds_load_2addr_b64 v[136:139], v130 offset0:17 offset1:18
	v_dual_mov_b32 v96, v126 :: v_dual_mov_b32 v97, v129
	s_wait_dscnt 0x0
	v_pk_mul_f32 v[140:141], v[136:137], v[128:129] op_sel:[0,1]
	s_delay_alu instid0(VALU_DEP_1) | instskip(SKIP_1) | instid1(VALU_DEP_1)
	v_pk_fma_f32 v[142:143], v[136:137], v[126:127], v[140:141] op_sel:[0,0,1] op_sel_hi:[1,1,0] neg_lo:[0,0,1] neg_hi:[0,0,1]
	v_pk_fma_f32 v[136:137], v[136:137], v[126:127], v[140:141] op_sel:[0,0,1] op_sel_hi:[1,0,0]
	v_mov_b32_e32 v143, v137
	v_pk_mul_f32 v[136:137], v[138:139], v[128:129] op_sel:[0,1]
	s_delay_alu instid0(VALU_DEP_1) | instskip(SKIP_1) | instid1(VALU_DEP_1)
	v_pk_fma_f32 v[140:141], v[138:139], v[126:127], v[136:137] op_sel:[0,0,1] op_sel_hi:[1,1,0] neg_lo:[0,0,1] neg_hi:[0,0,1]
	v_pk_fma_f32 v[136:137], v[138:139], v[126:127], v[136:137] op_sel:[0,0,1] op_sel_hi:[1,0,0]
	v_mov_b32_e32 v141, v137
	ds_load_2addr_b64 v[136:139], v130 offset0:19 offset1:20
	v_pk_add_f32 v[92:93], v[92:93], v[142:143] neg_lo:[0,1] neg_hi:[0,1]
	v_pk_add_f32 v[94:95], v[94:95], v[140:141] neg_lo:[0,1] neg_hi:[0,1]
	s_wait_dscnt 0x0
	v_pk_mul_f32 v[140:141], v[136:137], v[128:129] op_sel:[0,1]
	s_delay_alu instid0(VALU_DEP_1) | instskip(SKIP_2) | instid1(VALU_DEP_2)
	v_pk_fma_f32 v[142:143], v[136:137], v[126:127], v[140:141] op_sel:[0,0,1] op_sel_hi:[1,1,0] neg_lo:[0,0,1] neg_hi:[0,0,1]
	v_pk_fma_f32 v[136:137], v[136:137], v[126:127], v[140:141] op_sel:[0,0,1] op_sel_hi:[1,0,0]
	v_dual_mul_f32 v140, v139, v129 :: v_dual_mov_b32 v136, v139
	v_dual_mov_b32 v143, v137 :: v_dual_mov_b32 v137, v138
	s_delay_alu instid0(VALU_DEP_2) | instskip(SKIP_1) | instid1(VALU_DEP_3)
	v_pk_fma_f32 v[140:141], v[138:139], v[96:97], v[140:141] op_sel_hi:[1,1,0] neg_lo:[0,0,1] neg_hi:[0,0,1]
	v_mul_f32_e32 v138, v139, v126
	v_pk_add_f32 v[36:37], v[36:37], v[142:143] neg_lo:[0,1] neg_hi:[0,1]
	s_delay_alu instid0(VALU_DEP_2) | instskip(NEXT) | instid1(VALU_DEP_1)
	v_pk_fma_f32 v[136:137], v[136:137], v[96:97], v[138:139] op_sel_hi:[1,1,0]
	v_mov_b32_e32 v141, v137
	ds_load_2addr_b64 v[136:139], v130 offset0:21 offset1:22
	v_pk_add_f32 v[90:91], v[90:91], v[140:141] neg_lo:[0,1] neg_hi:[0,1]
	s_wait_dscnt 0x0
	v_pk_mul_f32 v[140:141], v[136:137], v[128:129] op_sel:[0,1]
	s_delay_alu instid0(VALU_DEP_1) | instskip(SKIP_1) | instid1(VALU_DEP_1)
	v_pk_fma_f32 v[142:143], v[136:137], v[126:127], v[140:141] op_sel:[0,0,1] op_sel_hi:[1,1,0] neg_lo:[0,0,1] neg_hi:[0,0,1]
	v_pk_fma_f32 v[136:137], v[136:137], v[126:127], v[140:141] op_sel:[0,0,1] op_sel_hi:[1,0,0]
	v_mov_b32_e32 v143, v137
	v_pk_mul_f32 v[136:137], v[138:139], v[128:129] op_sel:[0,1]
	s_delay_alu instid0(VALU_DEP_1) | instskip(SKIP_1) | instid1(VALU_DEP_1)
	v_pk_fma_f32 v[140:141], v[138:139], v[126:127], v[136:137] op_sel:[0,0,1] op_sel_hi:[1,1,0] neg_lo:[0,0,1] neg_hi:[0,0,1]
	v_pk_fma_f32 v[136:137], v[138:139], v[126:127], v[136:137] op_sel:[0,0,1] op_sel_hi:[1,0,0]
	v_mov_b32_e32 v141, v137
	ds_load_2addr_b64 v[136:139], v130 offset0:23 offset1:24
	v_pk_add_f32 v[86:87], v[86:87], v[142:143] neg_lo:[0,1] neg_hi:[0,1]
	v_pk_add_f32 v[88:89], v[88:89], v[140:141] neg_lo:[0,1] neg_hi:[0,1]
	s_wait_dscnt 0x0
	v_pk_mul_f32 v[140:141], v[136:137], v[128:129] op_sel:[0,1]
	s_delay_alu instid0(VALU_DEP_1) | instskip(SKIP_1) | instid1(VALU_DEP_1)
	v_pk_fma_f32 v[142:143], v[136:137], v[126:127], v[140:141] op_sel:[0,0,1] op_sel_hi:[1,1,0] neg_lo:[0,0,1] neg_hi:[0,0,1]
	v_pk_fma_f32 v[136:137], v[136:137], v[126:127], v[140:141] op_sel:[0,0,1] op_sel_hi:[1,0,0]
	v_mov_b32_e32 v143, v137
	v_pk_mul_f32 v[136:137], v[138:139], v[128:129] op_sel:[0,1]
	s_delay_alu instid0(VALU_DEP_1) | instskip(SKIP_1) | instid1(VALU_DEP_1)
	v_pk_fma_f32 v[140:141], v[138:139], v[126:127], v[136:137] op_sel:[0,0,1] op_sel_hi:[1,1,0] neg_lo:[0,0,1] neg_hi:[0,0,1]
	v_pk_fma_f32 v[136:137], v[138:139], v[126:127], v[136:137] op_sel:[0,0,1] op_sel_hi:[1,0,0]
	v_mov_b32_e32 v141, v137
	ds_load_2addr_b64 v[136:139], v130 offset0:25 offset1:26
	v_pk_add_f32 v[30:31], v[30:31], v[142:143] neg_lo:[0,1] neg_hi:[0,1]
	v_pk_add_f32 v[84:85], v[84:85], v[140:141] neg_lo:[0,1] neg_hi:[0,1]
	s_wait_dscnt 0x0
	v_dual_mul_f32 v140, v137, v129 :: v_dual_mul_f32 v142, v137, v126
	s_delay_alu instid0(VALU_DEP_1) | instskip(NEXT) | instid1(VALU_DEP_2)
	v_pk_fma_f32 v[140:141], v[136:137], v[96:97], v[140:141] op_sel_hi:[1,1,0] neg_lo:[0,0,1] neg_hi:[0,0,1]
	v_pk_fma_f32 v[136:137], v[136:137], v[96:97], v[142:143] op_sel:[1,0,0] op_sel_hi:[0,1,0]
	s_delay_alu instid0(VALU_DEP_1) | instskip(SKIP_1) | instid1(VALU_DEP_2)
	v_mov_b32_e32 v141, v137
	v_pk_mul_f32 v[136:137], v[138:139], v[128:129] op_sel:[0,1]
	v_pk_add_f32 v[80:81], v[80:81], v[140:141] neg_lo:[0,1] neg_hi:[0,1]
	s_delay_alu instid0(VALU_DEP_2) | instskip(SKIP_1) | instid1(VALU_DEP_1)
	v_pk_fma_f32 v[140:141], v[138:139], v[126:127], v[136:137] op_sel:[0,0,1] op_sel_hi:[1,1,0] neg_lo:[0,0,1] neg_hi:[0,0,1]
	v_pk_fma_f32 v[136:137], v[138:139], v[126:127], v[136:137] op_sel:[0,0,1] op_sel_hi:[1,0,0]
	v_mov_b32_e32 v141, v137
	ds_load_2addr_b64 v[136:139], v130 offset0:27 offset1:28
	v_pk_add_f32 v[82:83], v[82:83], v[140:141] neg_lo:[0,1] neg_hi:[0,1]
	s_wait_dscnt 0x0
	v_pk_mul_f32 v[140:141], v[136:137], v[128:129] op_sel:[0,1]
	s_delay_alu instid0(VALU_DEP_1) | instskip(SKIP_1) | instid1(VALU_DEP_1)
	v_pk_fma_f32 v[142:143], v[136:137], v[126:127], v[140:141] op_sel:[0,0,1] op_sel_hi:[1,1,0] neg_lo:[0,0,1] neg_hi:[0,0,1]
	v_pk_fma_f32 v[136:137], v[136:137], v[126:127], v[140:141] op_sel:[0,0,1] op_sel_hi:[1,0,0]
	v_mov_b32_e32 v143, v137
	v_pk_mul_f32 v[136:137], v[138:139], v[128:129] op_sel:[0,1]
	s_delay_alu instid0(VALU_DEP_2) | instskip(NEXT) | instid1(VALU_DEP_2)
	v_pk_add_f32 v[24:25], v[24:25], v[142:143] neg_lo:[0,1] neg_hi:[0,1]
	v_pk_fma_f32 v[140:141], v[138:139], v[126:127], v[136:137] op_sel:[0,0,1] op_sel_hi:[1,1,0] neg_lo:[0,0,1] neg_hi:[0,0,1]
	v_pk_fma_f32 v[136:137], v[138:139], v[126:127], v[136:137] op_sel:[0,0,1] op_sel_hi:[1,0,0]
	s_delay_alu instid0(VALU_DEP_1) | instskip(SKIP_4) | instid1(VALU_DEP_1)
	v_mov_b32_e32 v141, v137
	ds_load_2addr_b64 v[136:139], v130 offset0:29 offset1:30
	v_pk_add_f32 v[78:79], v[78:79], v[140:141] neg_lo:[0,1] neg_hi:[0,1]
	s_wait_dscnt 0x0
	v_pk_mul_f32 v[140:141], v[136:137], v[128:129] op_sel:[0,1]
	v_pk_fma_f32 v[142:143], v[136:137], v[126:127], v[140:141] op_sel:[0,0,1] op_sel_hi:[1,1,0] neg_lo:[0,0,1] neg_hi:[0,0,1]
	v_pk_fma_f32 v[136:137], v[136:137], v[126:127], v[140:141] op_sel:[0,0,1] op_sel_hi:[1,0,0]
	v_dual_mul_f32 v140, v139, v129 :: v_dual_mov_b32 v136, v139
	s_delay_alu instid0(VALU_DEP_2) | instskip(NEXT) | instid1(VALU_DEP_2)
	v_dual_mov_b32 v143, v137 :: v_dual_mov_b32 v137, v138
	v_pk_fma_f32 v[140:141], v[138:139], v[96:97], v[140:141] op_sel_hi:[1,1,0] neg_lo:[0,0,1] neg_hi:[0,0,1]
	v_mul_f32_e32 v138, v139, v126
	s_delay_alu instid0(VALU_DEP_3) | instskip(NEXT) | instid1(VALU_DEP_2)
	v_pk_add_f32 v[74:75], v[74:75], v[142:143] neg_lo:[0,1] neg_hi:[0,1]
	v_pk_fma_f32 v[136:137], v[136:137], v[96:97], v[138:139] op_sel_hi:[1,1,0]
	s_delay_alu instid0(VALU_DEP_1) | instskip(SKIP_4) | instid1(VALU_DEP_1)
	v_mov_b32_e32 v141, v137
	ds_load_2addr_b64 v[136:139], v130 offset0:31 offset1:32
	v_pk_add_f32 v[76:77], v[76:77], v[140:141] neg_lo:[0,1] neg_hi:[0,1]
	s_wait_dscnt 0x0
	v_pk_mul_f32 v[140:141], v[136:137], v[128:129] op_sel:[0,1]
	v_pk_fma_f32 v[142:143], v[136:137], v[126:127], v[140:141] op_sel:[0,0,1] op_sel_hi:[1,1,0] neg_lo:[0,0,1] neg_hi:[0,0,1]
	v_pk_fma_f32 v[136:137], v[136:137], v[126:127], v[140:141] op_sel:[0,0,1] op_sel_hi:[1,0,0]
	s_delay_alu instid0(VALU_DEP_1) | instskip(SKIP_1) | instid1(VALU_DEP_1)
	v_mov_b32_e32 v143, v137
	v_pk_mul_f32 v[136:137], v[138:139], v[128:129] op_sel:[0,1]
	v_pk_fma_f32 v[140:141], v[138:139], v[126:127], v[136:137] op_sel:[0,0,1] op_sel_hi:[1,1,0] neg_lo:[0,0,1] neg_hi:[0,0,1]
	v_pk_fma_f32 v[136:137], v[138:139], v[126:127], v[136:137] op_sel:[0,0,1] op_sel_hi:[1,0,0]
	s_delay_alu instid0(VALU_DEP_1)
	v_mov_b32_e32 v141, v137
	ds_load_2addr_b64 v[136:139], v130 offset0:33 offset1:34
	v_pk_add_f32 v[22:23], v[22:23], v[142:143] neg_lo:[0,1] neg_hi:[0,1]
	v_pk_add_f32 v[72:73], v[72:73], v[140:141] neg_lo:[0,1] neg_hi:[0,1]
	s_wait_dscnt 0x0
	v_pk_mul_f32 v[140:141], v[136:137], v[128:129] op_sel:[0,1]
	s_delay_alu instid0(VALU_DEP_1) | instskip(SKIP_1) | instid1(VALU_DEP_1)
	v_pk_fma_f32 v[142:143], v[136:137], v[126:127], v[140:141] op_sel:[0,0,1] op_sel_hi:[1,1,0] neg_lo:[0,0,1] neg_hi:[0,0,1]
	v_pk_fma_f32 v[136:137], v[136:137], v[126:127], v[140:141] op_sel:[0,0,1] op_sel_hi:[1,0,0]
	v_mov_b32_e32 v143, v137
	v_pk_mul_f32 v[136:137], v[138:139], v[128:129] op_sel:[0,1]
	s_delay_alu instid0(VALU_DEP_1) | instskip(SKIP_1) | instid1(VALU_DEP_1)
	v_pk_fma_f32 v[140:141], v[138:139], v[126:127], v[136:137] op_sel:[0,0,1] op_sel_hi:[1,1,0] neg_lo:[0,0,1] neg_hi:[0,0,1]
	v_pk_fma_f32 v[136:137], v[138:139], v[126:127], v[136:137] op_sel:[0,0,1] op_sel_hi:[1,0,0]
	v_mov_b32_e32 v141, v137
	ds_load_2addr_b64 v[136:139], v130 offset0:35 offset1:36
	v_pk_add_f32 v[68:69], v[68:69], v[142:143] neg_lo:[0,1] neg_hi:[0,1]
	v_pk_add_f32 v[70:71], v[70:71], v[140:141] neg_lo:[0,1] neg_hi:[0,1]
	s_wait_dscnt 0x0
	v_dual_mul_f32 v140, v137, v129 :: v_dual_mul_f32 v142, v137, v126
	s_delay_alu instid0(VALU_DEP_1) | instskip(NEXT) | instid1(VALU_DEP_2)
	v_pk_fma_f32 v[140:141], v[136:137], v[96:97], v[140:141] op_sel_hi:[1,1,0] neg_lo:[0,0,1] neg_hi:[0,0,1]
	v_pk_fma_f32 v[136:137], v[136:137], v[96:97], v[142:143] op_sel:[1,0,0] op_sel_hi:[0,1,0]
	s_delay_alu instid0(VALU_DEP_1) | instskip(SKIP_1) | instid1(VALU_DEP_2)
	v_mov_b32_e32 v141, v137
	v_pk_mul_f32 v[136:137], v[138:139], v[128:129] op_sel:[0,1]
	v_pk_add_f32 v[20:21], v[20:21], v[140:141] neg_lo:[0,1] neg_hi:[0,1]
	s_delay_alu instid0(VALU_DEP_2) | instskip(SKIP_1) | instid1(VALU_DEP_1)
	v_pk_fma_f32 v[140:141], v[138:139], v[126:127], v[136:137] op_sel:[0,0,1] op_sel_hi:[1,1,0] neg_lo:[0,0,1] neg_hi:[0,0,1]
	v_pk_fma_f32 v[136:137], v[138:139], v[126:127], v[136:137] op_sel:[0,0,1] op_sel_hi:[1,0,0]
	v_mov_b32_e32 v141, v137
	ds_load_2addr_b64 v[136:139], v130 offset0:37 offset1:38
	v_pk_add_f32 v[66:67], v[66:67], v[140:141] neg_lo:[0,1] neg_hi:[0,1]
	s_wait_dscnt 0x0
	v_pk_mul_f32 v[140:141], v[136:137], v[128:129] op_sel:[0,1]
	s_delay_alu instid0(VALU_DEP_1) | instskip(SKIP_1) | instid1(VALU_DEP_1)
	v_pk_fma_f32 v[142:143], v[136:137], v[126:127], v[140:141] op_sel:[0,0,1] op_sel_hi:[1,1,0] neg_lo:[0,0,1] neg_hi:[0,0,1]
	v_pk_fma_f32 v[136:137], v[136:137], v[126:127], v[140:141] op_sel:[0,0,1] op_sel_hi:[1,0,0]
	v_mov_b32_e32 v143, v137
	v_pk_mul_f32 v[136:137], v[138:139], v[128:129] op_sel:[0,1]
	s_delay_alu instid0(VALU_DEP_2) | instskip(NEXT) | instid1(VALU_DEP_2)
	v_pk_add_f32 v[62:63], v[62:63], v[142:143] neg_lo:[0,1] neg_hi:[0,1]
	v_pk_fma_f32 v[140:141], v[138:139], v[126:127], v[136:137] op_sel:[0,0,1] op_sel_hi:[1,1,0] neg_lo:[0,0,1] neg_hi:[0,0,1]
	v_pk_fma_f32 v[136:137], v[138:139], v[126:127], v[136:137] op_sel:[0,0,1] op_sel_hi:[1,0,0]
	s_delay_alu instid0(VALU_DEP_1) | instskip(SKIP_4) | instid1(VALU_DEP_1)
	v_mov_b32_e32 v141, v137
	ds_load_2addr_b64 v[136:139], v130 offset0:39 offset1:40
	v_pk_add_f32 v[64:65], v[64:65], v[140:141] neg_lo:[0,1] neg_hi:[0,1]
	s_wait_dscnt 0x0
	v_pk_mul_f32 v[140:141], v[136:137], v[128:129] op_sel:[0,1]
	v_pk_fma_f32 v[142:143], v[136:137], v[126:127], v[140:141] op_sel:[0,0,1] op_sel_hi:[1,1,0] neg_lo:[0,0,1] neg_hi:[0,0,1]
	v_pk_fma_f32 v[136:137], v[136:137], v[126:127], v[140:141] op_sel:[0,0,1] op_sel_hi:[1,0,0]
	v_dual_mul_f32 v140, v139, v129 :: v_dual_mov_b32 v136, v139
	s_delay_alu instid0(VALU_DEP_2) | instskip(NEXT) | instid1(VALU_DEP_2)
	v_dual_mov_b32 v143, v137 :: v_dual_mov_b32 v137, v138
	v_pk_fma_f32 v[140:141], v[138:139], v[96:97], v[140:141] op_sel_hi:[1,1,0] neg_lo:[0,0,1] neg_hi:[0,0,1]
	v_mul_f32_e32 v138, v139, v126
	s_delay_alu instid0(VALU_DEP_3) | instskip(NEXT) | instid1(VALU_DEP_2)
	v_pk_add_f32 v[18:19], v[18:19], v[142:143] neg_lo:[0,1] neg_hi:[0,1]
	v_pk_fma_f32 v[136:137], v[136:137], v[96:97], v[138:139] op_sel_hi:[1,1,0]
	s_delay_alu instid0(VALU_DEP_1) | instskip(SKIP_4) | instid1(VALU_DEP_1)
	v_mov_b32_e32 v141, v137
	ds_load_2addr_b64 v[136:139], v130 offset0:41 offset1:42
	v_pk_add_f32 v[60:61], v[60:61], v[140:141] neg_lo:[0,1] neg_hi:[0,1]
	s_wait_dscnt 0x0
	v_pk_mul_f32 v[140:141], v[136:137], v[128:129] op_sel:[0,1]
	v_pk_fma_f32 v[142:143], v[136:137], v[126:127], v[140:141] op_sel:[0,0,1] op_sel_hi:[1,1,0] neg_lo:[0,0,1] neg_hi:[0,0,1]
	v_pk_fma_f32 v[136:137], v[136:137], v[126:127], v[140:141] op_sel:[0,0,1] op_sel_hi:[1,0,0]
	s_delay_alu instid0(VALU_DEP_1) | instskip(SKIP_1) | instid1(VALU_DEP_1)
	v_mov_b32_e32 v143, v137
	v_pk_mul_f32 v[136:137], v[138:139], v[128:129] op_sel:[0,1]
	v_pk_fma_f32 v[140:141], v[138:139], v[126:127], v[136:137] op_sel:[0,0,1] op_sel_hi:[1,1,0] neg_lo:[0,0,1] neg_hi:[0,0,1]
	v_pk_fma_f32 v[136:137], v[138:139], v[126:127], v[136:137] op_sel:[0,0,1] op_sel_hi:[1,0,0]
	s_delay_alu instid0(VALU_DEP_1)
	v_mov_b32_e32 v141, v137
	ds_load_2addr_b64 v[136:139], v130 offset0:43 offset1:44
	v_pk_add_f32 v[56:57], v[56:57], v[142:143] neg_lo:[0,1] neg_hi:[0,1]
	v_pk_add_f32 v[58:59], v[58:59], v[140:141] neg_lo:[0,1] neg_hi:[0,1]
	s_wait_dscnt 0x0
	v_pk_mul_f32 v[140:141], v[136:137], v[128:129] op_sel:[0,1]
	s_delay_alu instid0(VALU_DEP_1) | instskip(SKIP_1) | instid1(VALU_DEP_1)
	v_pk_fma_f32 v[142:143], v[136:137], v[126:127], v[140:141] op_sel:[0,0,1] op_sel_hi:[1,1,0] neg_lo:[0,0,1] neg_hi:[0,0,1]
	v_pk_fma_f32 v[136:137], v[136:137], v[126:127], v[140:141] op_sel:[0,0,1] op_sel_hi:[1,0,0]
	v_mov_b32_e32 v143, v137
	v_pk_mul_f32 v[136:137], v[138:139], v[128:129] op_sel:[0,1]
	s_delay_alu instid0(VALU_DEP_1) | instskip(SKIP_1) | instid1(VALU_DEP_1)
	v_pk_fma_f32 v[140:141], v[138:139], v[126:127], v[136:137] op_sel:[0,0,1] op_sel_hi:[1,1,0] neg_lo:[0,0,1] neg_hi:[0,0,1]
	v_pk_fma_f32 v[136:137], v[138:139], v[126:127], v[136:137] op_sel:[0,0,1] op_sel_hi:[1,0,0]
	v_mov_b32_e32 v141, v137
	ds_load_2addr_b64 v[136:139], v130 offset0:45 offset1:46
	v_pk_add_f32 v[12:13], v[12:13], v[142:143] neg_lo:[0,1] neg_hi:[0,1]
	v_pk_add_f32 v[54:55], v[54:55], v[140:141] neg_lo:[0,1] neg_hi:[0,1]
	s_wait_dscnt 0x0
	v_dual_mul_f32 v140, v137, v129 :: v_dual_mul_f32 v142, v137, v126
	s_delay_alu instid0(VALU_DEP_1) | instskip(NEXT) | instid1(VALU_DEP_2)
	v_pk_fma_f32 v[140:141], v[136:137], v[96:97], v[140:141] op_sel_hi:[1,1,0] neg_lo:[0,0,1] neg_hi:[0,0,1]
	v_pk_fma_f32 v[136:137], v[136:137], v[96:97], v[142:143] op_sel:[1,0,0] op_sel_hi:[0,1,0]
	s_delay_alu instid0(VALU_DEP_1) | instskip(SKIP_1) | instid1(VALU_DEP_2)
	v_mov_b32_e32 v141, v137
	v_pk_mul_f32 v[136:137], v[138:139], v[128:129] op_sel:[0,1]
	v_pk_add_f32 v[50:51], v[50:51], v[140:141] neg_lo:[0,1] neg_hi:[0,1]
	s_delay_alu instid0(VALU_DEP_2) | instskip(SKIP_1) | instid1(VALU_DEP_1)
	v_pk_fma_f32 v[140:141], v[138:139], v[126:127], v[136:137] op_sel:[0,0,1] op_sel_hi:[1,1,0] neg_lo:[0,0,1] neg_hi:[0,0,1]
	v_pk_fma_f32 v[136:137], v[138:139], v[126:127], v[136:137] op_sel:[0,0,1] op_sel_hi:[1,0,0]
	v_mov_b32_e32 v141, v137
	ds_load_2addr_b64 v[136:139], v130 offset0:47 offset1:48
	v_pk_add_f32 v[52:53], v[52:53], v[140:141] neg_lo:[0,1] neg_hi:[0,1]
	s_wait_dscnt 0x0
	v_pk_mul_f32 v[140:141], v[136:137], v[128:129] op_sel:[0,1]
	s_delay_alu instid0(VALU_DEP_1) | instskip(SKIP_1) | instid1(VALU_DEP_1)
	v_pk_fma_f32 v[142:143], v[136:137], v[126:127], v[140:141] op_sel:[0,0,1] op_sel_hi:[1,1,0] neg_lo:[0,0,1] neg_hi:[0,0,1]
	v_pk_fma_f32 v[136:137], v[136:137], v[126:127], v[140:141] op_sel:[0,0,1] op_sel_hi:[1,0,0]
	v_mov_b32_e32 v143, v137
	v_pk_mul_f32 v[136:137], v[138:139], v[128:129] op_sel:[0,1]
	s_delay_alu instid0(VALU_DEP_2) | instskip(NEXT) | instid1(VALU_DEP_2)
	v_pk_add_f32 v[10:11], v[10:11], v[142:143] neg_lo:[0,1] neg_hi:[0,1]
	v_pk_fma_f32 v[140:141], v[138:139], v[126:127], v[136:137] op_sel:[0,0,1] op_sel_hi:[1,1,0] neg_lo:[0,0,1] neg_hi:[0,0,1]
	v_pk_fma_f32 v[136:137], v[138:139], v[126:127], v[136:137] op_sel:[0,0,1] op_sel_hi:[1,0,0]
	s_delay_alu instid0(VALU_DEP_1) | instskip(SKIP_4) | instid1(VALU_DEP_1)
	v_mov_b32_e32 v141, v137
	ds_load_2addr_b64 v[136:139], v130 offset0:49 offset1:50
	v_pk_add_f32 v[46:47], v[46:47], v[140:141] neg_lo:[0,1] neg_hi:[0,1]
	s_wait_dscnt 0x0
	v_pk_mul_f32 v[140:141], v[136:137], v[128:129] op_sel:[0,1]
	v_pk_fma_f32 v[142:143], v[136:137], v[126:127], v[140:141] op_sel:[0,0,1] op_sel_hi:[1,1,0] neg_lo:[0,0,1] neg_hi:[0,0,1]
	v_pk_fma_f32 v[136:137], v[136:137], v[126:127], v[140:141] op_sel:[0,0,1] op_sel_hi:[1,0,0]
	v_dual_mul_f32 v140, v139, v129 :: v_dual_mov_b32 v136, v139
	s_delay_alu instid0(VALU_DEP_2) | instskip(NEXT) | instid1(VALU_DEP_2)
	v_dual_mov_b32 v143, v137 :: v_dual_mov_b32 v137, v138
	v_pk_fma_f32 v[140:141], v[138:139], v[96:97], v[140:141] op_sel_hi:[1,1,0] neg_lo:[0,0,1] neg_hi:[0,0,1]
	v_mul_f32_e32 v138, v139, v126
	s_delay_alu instid0(VALU_DEP_3) | instskip(NEXT) | instid1(VALU_DEP_2)
	v_pk_add_f32 v[44:45], v[44:45], v[142:143] neg_lo:[0,1] neg_hi:[0,1]
	v_pk_fma_f32 v[136:137], v[136:137], v[96:97], v[138:139] op_sel_hi:[1,1,0]
	s_delay_alu instid0(VALU_DEP_1) | instskip(SKIP_4) | instid1(VALU_DEP_1)
	v_mov_b32_e32 v141, v137
	ds_load_2addr_b64 v[136:139], v130 offset0:51 offset1:52
	v_pk_add_f32 v[48:49], v[48:49], v[140:141] neg_lo:[0,1] neg_hi:[0,1]
	s_wait_dscnt 0x0
	v_pk_mul_f32 v[140:141], v[136:137], v[128:129] op_sel:[0,1]
	v_pk_fma_f32 v[142:143], v[136:137], v[126:127], v[140:141] op_sel:[0,0,1] op_sel_hi:[1,1,0] neg_lo:[0,0,1] neg_hi:[0,0,1]
	v_pk_fma_f32 v[136:137], v[136:137], v[126:127], v[140:141] op_sel:[0,0,1] op_sel_hi:[1,0,0]
	s_delay_alu instid0(VALU_DEP_1) | instskip(SKIP_1) | instid1(VALU_DEP_1)
	v_mov_b32_e32 v143, v137
	v_pk_mul_f32 v[136:137], v[138:139], v[128:129] op_sel:[0,1]
	v_pk_fma_f32 v[140:141], v[138:139], v[126:127], v[136:137] op_sel:[0,0,1] op_sel_hi:[1,1,0] neg_lo:[0,0,1] neg_hi:[0,0,1]
	v_pk_fma_f32 v[136:137], v[138:139], v[126:127], v[136:137] op_sel:[0,0,1] op_sel_hi:[1,0,0]
	s_delay_alu instid0(VALU_DEP_1)
	v_mov_b32_e32 v141, v137
	ds_load_2addr_b64 v[136:139], v130 offset0:53 offset1:54
	v_pk_add_f32 v[8:9], v[8:9], v[142:143] neg_lo:[0,1] neg_hi:[0,1]
	v_pk_add_f32 v[34:35], v[34:35], v[140:141] neg_lo:[0,1] neg_hi:[0,1]
	s_wait_dscnt 0x0
	v_pk_mul_f32 v[140:141], v[136:137], v[128:129] op_sel:[0,1]
	s_delay_alu instid0(VALU_DEP_1) | instskip(SKIP_1) | instid1(VALU_DEP_1)
	v_pk_fma_f32 v[142:143], v[136:137], v[126:127], v[140:141] op_sel:[0,0,1] op_sel_hi:[1,1,0] neg_lo:[0,0,1] neg_hi:[0,0,1]
	v_pk_fma_f32 v[136:137], v[136:137], v[126:127], v[140:141] op_sel:[0,0,1] op_sel_hi:[1,0,0]
	v_mov_b32_e32 v143, v137
	v_pk_mul_f32 v[136:137], v[138:139], v[128:129] op_sel:[0,1]
	s_delay_alu instid0(VALU_DEP_1) | instskip(SKIP_1) | instid1(VALU_DEP_1)
	v_pk_fma_f32 v[140:141], v[138:139], v[126:127], v[136:137] op_sel:[0,0,1] op_sel_hi:[1,1,0] neg_lo:[0,0,1] neg_hi:[0,0,1]
	v_pk_fma_f32 v[136:137], v[138:139], v[126:127], v[136:137] op_sel:[0,0,1] op_sel_hi:[1,0,0]
	v_mov_b32_e32 v141, v137
	ds_load_2addr_b64 v[136:139], v130 offset0:55 offset1:56
	v_pk_add_f32 v[28:29], v[28:29], v[142:143] neg_lo:[0,1] neg_hi:[0,1]
	v_pk_add_f32 v[32:33], v[32:33], v[140:141] neg_lo:[0,1] neg_hi:[0,1]
	s_wait_dscnt 0x0
	v_dual_mul_f32 v140, v137, v129 :: v_dual_mul_f32 v142, v137, v126
	s_delay_alu instid0(VALU_DEP_1) | instskip(NEXT) | instid1(VALU_DEP_2)
	v_pk_fma_f32 v[140:141], v[136:137], v[96:97], v[140:141] op_sel_hi:[1,1,0] neg_lo:[0,0,1] neg_hi:[0,0,1]
	v_pk_fma_f32 v[136:137], v[136:137], v[96:97], v[142:143] op_sel:[1,0,0] op_sel_hi:[0,1,0]
	s_delay_alu instid0(VALU_DEP_1) | instskip(SKIP_1) | instid1(VALU_DEP_2)
	v_mov_b32_e32 v141, v137
	v_pk_mul_f32 v[136:137], v[138:139], v[128:129] op_sel:[0,1]
	v_pk_add_f32 v[6:7], v[6:7], v[140:141] neg_lo:[0,1] neg_hi:[0,1]
	s_delay_alu instid0(VALU_DEP_2) | instskip(SKIP_1) | instid1(VALU_DEP_1)
	v_pk_fma_f32 v[140:141], v[138:139], v[126:127], v[136:137] op_sel:[0,0,1] op_sel_hi:[1,1,0] neg_lo:[0,0,1] neg_hi:[0,0,1]
	v_pk_fma_f32 v[136:137], v[138:139], v[126:127], v[136:137] op_sel:[0,0,1] op_sel_hi:[1,0,0]
	v_mov_b32_e32 v141, v137
	ds_load_2addr_b64 v[136:139], v130 offset0:57 offset1:58
	v_pk_add_f32 v[26:27], v[26:27], v[140:141] neg_lo:[0,1] neg_hi:[0,1]
	s_wait_dscnt 0x0
	v_pk_mul_f32 v[140:141], v[136:137], v[128:129] op_sel:[0,1]
	s_delay_alu instid0(VALU_DEP_1) | instskip(SKIP_1) | instid1(VALU_DEP_1)
	v_pk_fma_f32 v[142:143], v[136:137], v[126:127], v[140:141] op_sel:[0,0,1] op_sel_hi:[1,1,0] neg_lo:[0,0,1] neg_hi:[0,0,1]
	v_pk_fma_f32 v[136:137], v[136:137], v[126:127], v[140:141] op_sel:[0,0,1] op_sel_hi:[1,0,0]
	v_mov_b32_e32 v143, v137
	v_pk_mul_f32 v[136:137], v[138:139], v[128:129] op_sel:[0,1]
	s_delay_alu instid0(VALU_DEP_2) | instskip(NEXT) | instid1(VALU_DEP_2)
	v_pk_add_f32 v[16:17], v[16:17], v[142:143] neg_lo:[0,1] neg_hi:[0,1]
	v_pk_fma_f32 v[140:141], v[138:139], v[126:127], v[136:137] op_sel:[0,0,1] op_sel_hi:[1,1,0] neg_lo:[0,0,1] neg_hi:[0,0,1]
	v_pk_fma_f32 v[136:137], v[138:139], v[126:127], v[136:137] op_sel:[0,0,1] op_sel_hi:[1,0,0]
	s_delay_alu instid0(VALU_DEP_1) | instskip(SKIP_4) | instid1(VALU_DEP_1)
	v_mov_b32_e32 v141, v137
	ds_load_b64 v[136:137], v130 offset:472
	v_pk_add_f32 v[14:15], v[14:15], v[140:141] neg_lo:[0,1] neg_hi:[0,1]
	s_wait_dscnt 0x0
	v_pk_mul_f32 v[128:129], v[136:137], v[128:129] op_sel:[0,1]
	v_pk_fma_f32 v[138:139], v[136:137], v[126:127], v[128:129] op_sel:[0,0,1] op_sel_hi:[1,1,0] neg_lo:[0,0,1] neg_hi:[0,0,1]
	v_pk_fma_f32 v[126:127], v[136:137], v[126:127], v[128:129] op_sel:[0,0,1] op_sel_hi:[1,0,0]
	s_delay_alu instid0(VALU_DEP_1) | instskip(NEXT) | instid1(VALU_DEP_1)
	v_mov_b32_e32 v139, v127
	v_pk_add_f32 v[124:125], v[124:125], v[138:139] neg_lo:[0,1] neg_hi:[0,1]
.LBB118_356:
	s_or_b32 exec_lo, exec_lo, s0
	v_lshl_add_u32 v126, v134, 3, v130
	s_barrier_signal -1
	s_barrier_wait -1
	ds_store_b64 v126, v[92:93]
	s_wait_dscnt 0x0
	s_barrier_signal -1
	s_barrier_wait -1
	ds_load_b64 v[128:129], v130 offset:136
	v_mov_b32_e32 v126, 17
	s_cmp_lt_i32 s18, 19
	s_cbranch_scc1 .LBB118_359
; %bb.357:
	v_add3_u32 v127, v131, 0, 0x90
	v_mov_b32_e32 v126, 17
	s_mov_b32 s0, 18
.LBB118_358:                            ; =>This Inner Loop Header: Depth=1
	ds_load_b64 v[136:137], v127
	s_wait_dscnt 0x1
	v_cmp_gt_f32_e32 vcc_lo, 0, v128
	v_cndmask_b32_e64 v138, v128, -v128, vcc_lo
	v_cmp_gt_f32_e32 vcc_lo, 0, v129
	v_cndmask_b32_e64 v140, v129, -v129, vcc_lo
	s_wait_dscnt 0x0
	v_cmp_gt_f32_e32 vcc_lo, 0, v136
	v_cndmask_b32_e64 v139, v136, -v136, vcc_lo
	v_cmp_gt_f32_e32 vcc_lo, 0, v137
	v_cndmask_b32_e64 v141, v137, -v137, vcc_lo
	s_delay_alu instid0(VALU_DEP_1) | instskip(NEXT) | instid1(VALU_DEP_1)
	v_pk_add_f32 v[138:139], v[138:139], v[140:141]
	v_cmp_lt_f32_e32 vcc_lo, v138, v139
	v_dual_add_nc_u32 v127, 8, v127 :: v_dual_cndmask_b32 v129, v129, v137, vcc_lo
	v_cndmask_b32_e32 v128, v128, v136, vcc_lo
	v_cndmask_b32_e64 v126, v126, s0, vcc_lo
	s_add_co_i32 s0, s0, 1
	s_delay_alu instid0(SALU_CYCLE_1)
	s_cmp_lg_u32 s18, s0
	s_cbranch_scc1 .LBB118_358
.LBB118_359:
	s_wait_dscnt 0x0
	v_cmp_eq_f32_e32 vcc_lo, 0, v128
	v_cmp_eq_f32_e64 s0, 0, v129
	s_and_b32 s0, vcc_lo, s0
	s_delay_alu instid0(SALU_CYCLE_1) | instskip(NEXT) | instid1(SALU_CYCLE_1)
	s_and_saveexec_b32 s1, s0
	s_xor_b32 s0, exec_lo, s1
; %bb.360:
	v_cmp_ne_u32_e32 vcc_lo, 0, v132
	v_cndmask_b32_e32 v132, 18, v132, vcc_lo
; %bb.361:
	s_and_not1_saveexec_b32 s0, s0
	s_cbranch_execz .LBB118_367
; %bb.362:
	v_cmp_ngt_f32_e64 s1, |v128|, |v129|
	s_and_saveexec_b32 s12, s1
	s_delay_alu instid0(SALU_CYCLE_1)
	s_xor_b32 s1, exec_lo, s12
	s_cbranch_execz .LBB118_364
; %bb.363:
	v_div_scale_f32 v127, null, v129, v129, v128
	v_div_scale_f32 v137, vcc_lo, v128, v129, v128
	s_delay_alu instid0(VALU_DEP_2) | instskip(SKIP_1) | instid1(TRANS32_DEP_1)
	v_rcp_f32_e32 v135, v127
	v_nop
	v_fma_f32 v136, -v127, v135, 1.0
	s_delay_alu instid0(VALU_DEP_1) | instskip(NEXT) | instid1(VALU_DEP_1)
	v_fmac_f32_e32 v135, v136, v135
	v_mul_f32_e32 v136, v137, v135
	s_delay_alu instid0(VALU_DEP_1) | instskip(NEXT) | instid1(VALU_DEP_1)
	v_fma_f32 v138, -v127, v136, v137
	v_fmac_f32_e32 v136, v138, v135
	s_delay_alu instid0(VALU_DEP_1) | instskip(NEXT) | instid1(VALU_DEP_1)
	v_fma_f32 v127, -v127, v136, v137
	v_div_fmas_f32 v127, v127, v135, v136
	s_delay_alu instid0(VALU_DEP_1) | instskip(NEXT) | instid1(VALU_DEP_1)
	v_div_fixup_f32 v127, v127, v129, v128
	v_fmac_f32_e32 v129, v128, v127
	s_delay_alu instid0(VALU_DEP_1) | instskip(SKIP_1) | instid1(VALU_DEP_2)
	v_div_scale_f32 v128, null, v129, v129, 1.0
	v_div_scale_f32 v137, vcc_lo, 1.0, v129, 1.0
	v_rcp_f32_e32 v135, v128
	v_nop
	s_delay_alu instid0(TRANS32_DEP_1) | instskip(NEXT) | instid1(VALU_DEP_1)
	v_fma_f32 v136, -v128, v135, 1.0
	v_fmac_f32_e32 v135, v136, v135
	s_delay_alu instid0(VALU_DEP_1) | instskip(NEXT) | instid1(VALU_DEP_1)
	v_mul_f32_e32 v136, v137, v135
	v_fma_f32 v138, -v128, v136, v137
	s_delay_alu instid0(VALU_DEP_1) | instskip(NEXT) | instid1(VALU_DEP_1)
	v_fmac_f32_e32 v136, v138, v135
	v_fma_f32 v128, -v128, v136, v137
	s_delay_alu instid0(VALU_DEP_1) | instskip(NEXT) | instid1(VALU_DEP_1)
	v_div_fmas_f32 v128, v128, v135, v136
	v_div_fixup_f32 v129, v128, v129, 1.0
	s_delay_alu instid0(VALU_DEP_1)
	v_mul_f32_e32 v128, v127, v129
	v_xor_b32_e32 v129, 0x80000000, v129
.LBB118_364:
	s_and_not1_saveexec_b32 s1, s1
	s_cbranch_execz .LBB118_366
; %bb.365:
	s_delay_alu instid0(VALU_DEP_1) | instskip(SKIP_1) | instid1(VALU_DEP_2)
	v_div_scale_f32 v127, null, v128, v128, v129
	v_div_scale_f32 v137, vcc_lo, v129, v128, v129
	v_rcp_f32_e32 v135, v127
	v_nop
	s_delay_alu instid0(TRANS32_DEP_1) | instskip(NEXT) | instid1(VALU_DEP_1)
	v_fma_f32 v136, -v127, v135, 1.0
	v_fmac_f32_e32 v135, v136, v135
	s_delay_alu instid0(VALU_DEP_1) | instskip(NEXT) | instid1(VALU_DEP_1)
	v_mul_f32_e32 v136, v137, v135
	v_fma_f32 v138, -v127, v136, v137
	s_delay_alu instid0(VALU_DEP_1) | instskip(NEXT) | instid1(VALU_DEP_1)
	v_fmac_f32_e32 v136, v138, v135
	v_fma_f32 v127, -v127, v136, v137
	s_delay_alu instid0(VALU_DEP_1) | instskip(NEXT) | instid1(VALU_DEP_1)
	v_div_fmas_f32 v127, v127, v135, v136
	v_div_fixup_f32 v127, v127, v128, v129
	s_delay_alu instid0(VALU_DEP_1) | instskip(NEXT) | instid1(VALU_DEP_1)
	v_fmac_f32_e32 v128, v129, v127
	v_div_scale_f32 v129, null, v128, v128, 1.0
	s_delay_alu instid0(VALU_DEP_1) | instskip(SKIP_1) | instid1(TRANS32_DEP_1)
	v_rcp_f32_e32 v135, v129
	v_nop
	v_fma_f32 v136, -v129, v135, 1.0
	s_delay_alu instid0(VALU_DEP_1) | instskip(SKIP_1) | instid1(VALU_DEP_1)
	v_fmac_f32_e32 v135, v136, v135
	v_div_scale_f32 v136, vcc_lo, 1.0, v128, 1.0
	v_mul_f32_e32 v137, v136, v135
	s_delay_alu instid0(VALU_DEP_1) | instskip(NEXT) | instid1(VALU_DEP_1)
	v_fma_f32 v138, -v129, v137, v136
	v_fmac_f32_e32 v137, v138, v135
	s_delay_alu instid0(VALU_DEP_1) | instskip(NEXT) | instid1(VALU_DEP_1)
	v_fma_f32 v129, -v129, v137, v136
	v_div_fmas_f32 v129, v129, v135, v137
	s_delay_alu instid0(VALU_DEP_1) | instskip(NEXT) | instid1(VALU_DEP_1)
	v_div_fixup_f32 v128, v129, v128, 1.0
	v_mul_f32_e64 v129, v127, -v128
.LBB118_366:
	s_or_b32 exec_lo, exec_lo, s1
.LBB118_367:
	s_delay_alu instid0(SALU_CYCLE_1) | instskip(NEXT) | instid1(SALU_CYCLE_1)
	s_or_b32 exec_lo, exec_lo, s0
	s_mov_b32 s0, exec_lo
	v_cmpx_ne_u32_e64 v134, v126
	s_xor_b32 s0, exec_lo, s0
	s_cbranch_execz .LBB118_373
; %bb.368:
	s_mov_b32 s1, exec_lo
	v_cmpx_eq_u32_e32 17, v134
	s_cbranch_execz .LBB118_372
; %bb.369:
	v_cmp_ne_u32_e32 vcc_lo, 17, v126
	s_xor_b32 s12, s16, -1
	s_delay_alu instid0(SALU_CYCLE_1) | instskip(NEXT) | instid1(SALU_CYCLE_1)
	s_and_b32 s13, s12, vcc_lo
	s_and_saveexec_b32 s12, s13
	s_cbranch_execz .LBB118_371
; %bb.370:
	v_ashrrev_i32_e32 v127, 31, v126
	s_delay_alu instid0(VALU_DEP_1)
	v_lshl_add_u64 v[134:135], v[126:127], 2, v[4:5]
	s_clause 0x1
	global_load_b32 v127, v[134:135], off
	global_load_b32 v133, v[4:5], off offset:68
	s_wait_loadcnt 0x1
	global_store_b32 v[4:5], v127, off offset:68
	s_wait_loadcnt 0x0
	global_store_b32 v[134:135], v133, off
.LBB118_371:
	s_wait_xcnt 0x0
	s_or_b32 exec_lo, exec_lo, s12
	v_dual_mov_b32 v134, v126 :: v_dual_mov_b32 v133, v126
.LBB118_372:
	s_or_b32 exec_lo, exec_lo, s1
.LBB118_373:
	s_and_not1_saveexec_b32 s0, s0
	s_cbranch_execz .LBB118_375
; %bb.374:
	v_dual_mov_b32 v126, v94 :: v_dual_mov_b32 v127, v95
	v_dual_mov_b32 v134, v36 :: v_dual_mov_b32 v135, v37
	;; [unrolled: 1-line block ×8, first 2 shown]
	ds_store_2addr_b64 v130, v[126:127], v[134:135] offset0:18 offset1:19
	ds_store_2addr_b64 v130, v[136:137], v[138:139] offset0:20 offset1:21
	ds_store_2addr_b64 v130, v[140:141], v[142:143] offset0:22 offset1:23
	ds_store_2addr_b64 v130, v[144:145], v[146:147] offset0:24 offset1:25
	v_dual_mov_b32 v126, v82 :: v_dual_mov_b32 v127, v83
	v_dual_mov_b32 v134, v24 :: v_dual_mov_b32 v135, v25
	;; [unrolled: 1-line block ×12, first 2 shown]
	ds_store_2addr_b64 v130, v[126:127], v[134:135] offset0:26 offset1:27
	ds_store_2addr_b64 v130, v[136:137], v[138:139] offset0:28 offset1:29
	;; [unrolled: 1-line block ×6, first 2 shown]
	v_dual_mov_b32 v126, v64 :: v_dual_mov_b32 v127, v65
	v_dual_mov_b32 v134, v18 :: v_dual_mov_b32 v135, v19
	;; [unrolled: 1-line block ×12, first 2 shown]
	ds_store_2addr_b64 v130, v[126:127], v[134:135] offset0:38 offset1:39
	ds_store_2addr_b64 v130, v[136:137], v[138:139] offset0:40 offset1:41
	ds_store_2addr_b64 v130, v[140:141], v[142:143] offset0:42 offset1:43
	ds_store_2addr_b64 v130, v[144:145], v[146:147] offset0:44 offset1:45
	ds_store_2addr_b64 v130, v[148:149], v[150:151] offset0:46 offset1:47
	ds_store_2addr_b64 v130, v[152:153], v[154:155] offset0:48 offset1:49
	v_dual_mov_b32 v126, v48 :: v_dual_mov_b32 v127, v49
	v_dual_mov_b32 v136, v8 :: v_dual_mov_b32 v137, v9
	;; [unrolled: 1-line block ×9, first 2 shown]
	v_mov_b32_e32 v151, v15
	ds_store_2addr_b64 v130, v[126:127], v[136:137] offset0:50 offset1:51
	ds_store_2addr_b64 v130, v[138:139], v[140:141] offset0:52 offset1:53
	;; [unrolled: 1-line block ×5, first 2 shown]
.LBB118_375:
	s_or_b32 exec_lo, exec_lo, s0
	s_delay_alu instid0(SALU_CYCLE_1)
	s_mov_b32 s0, exec_lo
	s_wait_storecnt_dscnt 0x0
	s_barrier_signal -1
	s_barrier_wait -1
	v_cmpx_lt_i32_e32 17, v134
	s_cbranch_execz .LBB118_377
; %bb.376:
	v_pk_mul_f32 v[136:137], v[128:129], v[92:93] op_sel:[1,1] op_sel_hi:[0,1]
	s_delay_alu instid0(VALU_DEP_1)
	v_pk_fma_f32 v[126:127], v[128:129], v[92:93], v[136:137] op_sel_hi:[1,0,1] neg_lo:[0,0,1] neg_hi:[0,0,1]
	v_pk_fma_f32 v[128:129], v[128:129], v[92:93], v[136:137] op_sel_hi:[1,0,1]
	ds_load_2addr_b64 v[136:139], v130 offset0:18 offset1:19
	v_dual_mov_b32 v92, v126 :: v_dual_mov_b32 v93, v129
	s_wait_dscnt 0x0
	v_pk_mul_f32 v[140:141], v[136:137], v[128:129] op_sel:[0,1]
	s_delay_alu instid0(VALU_DEP_1) | instskip(SKIP_1) | instid1(VALU_DEP_1)
	v_pk_fma_f32 v[142:143], v[136:137], v[126:127], v[140:141] op_sel:[0,0,1] op_sel_hi:[1,1,0] neg_lo:[0,0,1] neg_hi:[0,0,1]
	v_pk_fma_f32 v[136:137], v[136:137], v[126:127], v[140:141] op_sel:[0,0,1] op_sel_hi:[1,0,0]
	v_mov_b32_e32 v143, v137
	v_pk_mul_f32 v[136:137], v[138:139], v[128:129] op_sel:[0,1]
	s_delay_alu instid0(VALU_DEP_1) | instskip(SKIP_1) | instid1(VALU_DEP_1)
	v_pk_fma_f32 v[140:141], v[138:139], v[126:127], v[136:137] op_sel:[0,0,1] op_sel_hi:[1,1,0] neg_lo:[0,0,1] neg_hi:[0,0,1]
	v_pk_fma_f32 v[136:137], v[138:139], v[126:127], v[136:137] op_sel:[0,0,1] op_sel_hi:[1,0,0]
	v_mov_b32_e32 v141, v137
	ds_load_2addr_b64 v[136:139], v130 offset0:20 offset1:21
	v_pk_add_f32 v[94:95], v[94:95], v[142:143] neg_lo:[0,1] neg_hi:[0,1]
	v_pk_add_f32 v[36:37], v[36:37], v[140:141] neg_lo:[0,1] neg_hi:[0,1]
	s_wait_dscnt 0x0
	v_pk_mul_f32 v[140:141], v[136:137], v[128:129] op_sel:[0,1]
	s_delay_alu instid0(VALU_DEP_1) | instskip(SKIP_2) | instid1(VALU_DEP_2)
	v_pk_fma_f32 v[142:143], v[136:137], v[126:127], v[140:141] op_sel:[0,0,1] op_sel_hi:[1,1,0] neg_lo:[0,0,1] neg_hi:[0,0,1]
	v_pk_fma_f32 v[136:137], v[136:137], v[126:127], v[140:141] op_sel:[0,0,1] op_sel_hi:[1,0,0]
	v_dual_mul_f32 v140, v139, v129 :: v_dual_mov_b32 v136, v139
	v_dual_mov_b32 v143, v137 :: v_dual_mov_b32 v137, v138
	s_delay_alu instid0(VALU_DEP_2) | instskip(SKIP_1) | instid1(VALU_DEP_3)
	v_pk_fma_f32 v[140:141], v[138:139], v[92:93], v[140:141] op_sel_hi:[1,1,0] neg_lo:[0,0,1] neg_hi:[0,0,1]
	v_mul_f32_e32 v138, v139, v126
	v_pk_add_f32 v[90:91], v[90:91], v[142:143] neg_lo:[0,1] neg_hi:[0,1]
	s_delay_alu instid0(VALU_DEP_2) | instskip(NEXT) | instid1(VALU_DEP_1)
	v_pk_fma_f32 v[136:137], v[136:137], v[92:93], v[138:139] op_sel_hi:[1,1,0]
	v_mov_b32_e32 v141, v137
	ds_load_2addr_b64 v[136:139], v130 offset0:22 offset1:23
	v_pk_add_f32 v[86:87], v[86:87], v[140:141] neg_lo:[0,1] neg_hi:[0,1]
	s_wait_dscnt 0x0
	v_pk_mul_f32 v[140:141], v[136:137], v[128:129] op_sel:[0,1]
	s_delay_alu instid0(VALU_DEP_1) | instskip(SKIP_1) | instid1(VALU_DEP_1)
	v_pk_fma_f32 v[142:143], v[136:137], v[126:127], v[140:141] op_sel:[0,0,1] op_sel_hi:[1,1,0] neg_lo:[0,0,1] neg_hi:[0,0,1]
	v_pk_fma_f32 v[136:137], v[136:137], v[126:127], v[140:141] op_sel:[0,0,1] op_sel_hi:[1,0,0]
	v_mov_b32_e32 v143, v137
	v_pk_mul_f32 v[136:137], v[138:139], v[128:129] op_sel:[0,1]
	s_delay_alu instid0(VALU_DEP_1) | instskip(SKIP_1) | instid1(VALU_DEP_1)
	v_pk_fma_f32 v[140:141], v[138:139], v[126:127], v[136:137] op_sel:[0,0,1] op_sel_hi:[1,1,0] neg_lo:[0,0,1] neg_hi:[0,0,1]
	v_pk_fma_f32 v[136:137], v[138:139], v[126:127], v[136:137] op_sel:[0,0,1] op_sel_hi:[1,0,0]
	v_mov_b32_e32 v141, v137
	ds_load_2addr_b64 v[136:139], v130 offset0:24 offset1:25
	v_pk_add_f32 v[88:89], v[88:89], v[142:143] neg_lo:[0,1] neg_hi:[0,1]
	v_pk_add_f32 v[30:31], v[30:31], v[140:141] neg_lo:[0,1] neg_hi:[0,1]
	s_wait_dscnt 0x0
	v_pk_mul_f32 v[140:141], v[136:137], v[128:129] op_sel:[0,1]
	s_delay_alu instid0(VALU_DEP_1) | instskip(SKIP_1) | instid1(VALU_DEP_1)
	v_pk_fma_f32 v[142:143], v[136:137], v[126:127], v[140:141] op_sel:[0,0,1] op_sel_hi:[1,1,0] neg_lo:[0,0,1] neg_hi:[0,0,1]
	v_pk_fma_f32 v[136:137], v[136:137], v[126:127], v[140:141] op_sel:[0,0,1] op_sel_hi:[1,0,0]
	v_mov_b32_e32 v143, v137
	v_pk_mul_f32 v[136:137], v[138:139], v[128:129] op_sel:[0,1]
	s_delay_alu instid0(VALU_DEP_1) | instskip(SKIP_1) | instid1(VALU_DEP_1)
	v_pk_fma_f32 v[140:141], v[138:139], v[126:127], v[136:137] op_sel:[0,0,1] op_sel_hi:[1,1,0] neg_lo:[0,0,1] neg_hi:[0,0,1]
	v_pk_fma_f32 v[136:137], v[138:139], v[126:127], v[136:137] op_sel:[0,0,1] op_sel_hi:[1,0,0]
	v_mov_b32_e32 v141, v137
	ds_load_2addr_b64 v[136:139], v130 offset0:26 offset1:27
	v_pk_add_f32 v[84:85], v[84:85], v[142:143] neg_lo:[0,1] neg_hi:[0,1]
	v_pk_add_f32 v[80:81], v[80:81], v[140:141] neg_lo:[0,1] neg_hi:[0,1]
	s_wait_dscnt 0x0
	v_dual_mul_f32 v140, v137, v129 :: v_dual_mul_f32 v142, v137, v126
	s_delay_alu instid0(VALU_DEP_1) | instskip(NEXT) | instid1(VALU_DEP_2)
	v_pk_fma_f32 v[140:141], v[136:137], v[92:93], v[140:141] op_sel_hi:[1,1,0] neg_lo:[0,0,1] neg_hi:[0,0,1]
	v_pk_fma_f32 v[136:137], v[136:137], v[92:93], v[142:143] op_sel:[1,0,0] op_sel_hi:[0,1,0]
	s_delay_alu instid0(VALU_DEP_1) | instskip(SKIP_1) | instid1(VALU_DEP_2)
	v_mov_b32_e32 v141, v137
	v_pk_mul_f32 v[136:137], v[138:139], v[128:129] op_sel:[0,1]
	v_pk_add_f32 v[82:83], v[82:83], v[140:141] neg_lo:[0,1] neg_hi:[0,1]
	s_delay_alu instid0(VALU_DEP_2) | instskip(SKIP_1) | instid1(VALU_DEP_1)
	v_pk_fma_f32 v[140:141], v[138:139], v[126:127], v[136:137] op_sel:[0,0,1] op_sel_hi:[1,1,0] neg_lo:[0,0,1] neg_hi:[0,0,1]
	v_pk_fma_f32 v[136:137], v[138:139], v[126:127], v[136:137] op_sel:[0,0,1] op_sel_hi:[1,0,0]
	v_mov_b32_e32 v141, v137
	ds_load_2addr_b64 v[136:139], v130 offset0:28 offset1:29
	v_pk_add_f32 v[24:25], v[24:25], v[140:141] neg_lo:[0,1] neg_hi:[0,1]
	s_wait_dscnt 0x0
	v_pk_mul_f32 v[140:141], v[136:137], v[128:129] op_sel:[0,1]
	s_delay_alu instid0(VALU_DEP_1) | instskip(SKIP_1) | instid1(VALU_DEP_1)
	v_pk_fma_f32 v[142:143], v[136:137], v[126:127], v[140:141] op_sel:[0,0,1] op_sel_hi:[1,1,0] neg_lo:[0,0,1] neg_hi:[0,0,1]
	v_pk_fma_f32 v[136:137], v[136:137], v[126:127], v[140:141] op_sel:[0,0,1] op_sel_hi:[1,0,0]
	v_mov_b32_e32 v143, v137
	v_pk_mul_f32 v[136:137], v[138:139], v[128:129] op_sel:[0,1]
	s_delay_alu instid0(VALU_DEP_2) | instskip(NEXT) | instid1(VALU_DEP_2)
	v_pk_add_f32 v[78:79], v[78:79], v[142:143] neg_lo:[0,1] neg_hi:[0,1]
	v_pk_fma_f32 v[140:141], v[138:139], v[126:127], v[136:137] op_sel:[0,0,1] op_sel_hi:[1,1,0] neg_lo:[0,0,1] neg_hi:[0,0,1]
	v_pk_fma_f32 v[136:137], v[138:139], v[126:127], v[136:137] op_sel:[0,0,1] op_sel_hi:[1,0,0]
	s_delay_alu instid0(VALU_DEP_1) | instskip(SKIP_4) | instid1(VALU_DEP_1)
	v_mov_b32_e32 v141, v137
	ds_load_2addr_b64 v[136:139], v130 offset0:30 offset1:31
	v_pk_add_f32 v[74:75], v[74:75], v[140:141] neg_lo:[0,1] neg_hi:[0,1]
	s_wait_dscnt 0x0
	v_pk_mul_f32 v[140:141], v[136:137], v[128:129] op_sel:[0,1]
	v_pk_fma_f32 v[142:143], v[136:137], v[126:127], v[140:141] op_sel:[0,0,1] op_sel_hi:[1,1,0] neg_lo:[0,0,1] neg_hi:[0,0,1]
	v_pk_fma_f32 v[136:137], v[136:137], v[126:127], v[140:141] op_sel:[0,0,1] op_sel_hi:[1,0,0]
	v_dual_mul_f32 v140, v139, v129 :: v_dual_mov_b32 v136, v139
	s_delay_alu instid0(VALU_DEP_2) | instskip(NEXT) | instid1(VALU_DEP_2)
	v_dual_mov_b32 v143, v137 :: v_dual_mov_b32 v137, v138
	v_pk_fma_f32 v[140:141], v[138:139], v[92:93], v[140:141] op_sel_hi:[1,1,0] neg_lo:[0,0,1] neg_hi:[0,0,1]
	v_mul_f32_e32 v138, v139, v126
	s_delay_alu instid0(VALU_DEP_3) | instskip(NEXT) | instid1(VALU_DEP_2)
	v_pk_add_f32 v[76:77], v[76:77], v[142:143] neg_lo:[0,1] neg_hi:[0,1]
	v_pk_fma_f32 v[136:137], v[136:137], v[92:93], v[138:139] op_sel_hi:[1,1,0]
	s_delay_alu instid0(VALU_DEP_1) | instskip(SKIP_4) | instid1(VALU_DEP_1)
	v_mov_b32_e32 v141, v137
	ds_load_2addr_b64 v[136:139], v130 offset0:32 offset1:33
	v_pk_add_f32 v[22:23], v[22:23], v[140:141] neg_lo:[0,1] neg_hi:[0,1]
	s_wait_dscnt 0x0
	v_pk_mul_f32 v[140:141], v[136:137], v[128:129] op_sel:[0,1]
	v_pk_fma_f32 v[142:143], v[136:137], v[126:127], v[140:141] op_sel:[0,0,1] op_sel_hi:[1,1,0] neg_lo:[0,0,1] neg_hi:[0,0,1]
	v_pk_fma_f32 v[136:137], v[136:137], v[126:127], v[140:141] op_sel:[0,0,1] op_sel_hi:[1,0,0]
	s_delay_alu instid0(VALU_DEP_1) | instskip(SKIP_1) | instid1(VALU_DEP_1)
	v_mov_b32_e32 v143, v137
	v_pk_mul_f32 v[136:137], v[138:139], v[128:129] op_sel:[0,1]
	v_pk_fma_f32 v[140:141], v[138:139], v[126:127], v[136:137] op_sel:[0,0,1] op_sel_hi:[1,1,0] neg_lo:[0,0,1] neg_hi:[0,0,1]
	v_pk_fma_f32 v[136:137], v[138:139], v[126:127], v[136:137] op_sel:[0,0,1] op_sel_hi:[1,0,0]
	s_delay_alu instid0(VALU_DEP_1)
	v_mov_b32_e32 v141, v137
	ds_load_2addr_b64 v[136:139], v130 offset0:34 offset1:35
	v_pk_add_f32 v[72:73], v[72:73], v[142:143] neg_lo:[0,1] neg_hi:[0,1]
	v_pk_add_f32 v[68:69], v[68:69], v[140:141] neg_lo:[0,1] neg_hi:[0,1]
	s_wait_dscnt 0x0
	v_pk_mul_f32 v[140:141], v[136:137], v[128:129] op_sel:[0,1]
	s_delay_alu instid0(VALU_DEP_1) | instskip(SKIP_1) | instid1(VALU_DEP_1)
	v_pk_fma_f32 v[142:143], v[136:137], v[126:127], v[140:141] op_sel:[0,0,1] op_sel_hi:[1,1,0] neg_lo:[0,0,1] neg_hi:[0,0,1]
	v_pk_fma_f32 v[136:137], v[136:137], v[126:127], v[140:141] op_sel:[0,0,1] op_sel_hi:[1,0,0]
	v_mov_b32_e32 v143, v137
	v_pk_mul_f32 v[136:137], v[138:139], v[128:129] op_sel:[0,1]
	s_delay_alu instid0(VALU_DEP_1) | instskip(SKIP_1) | instid1(VALU_DEP_1)
	v_pk_fma_f32 v[140:141], v[138:139], v[126:127], v[136:137] op_sel:[0,0,1] op_sel_hi:[1,1,0] neg_lo:[0,0,1] neg_hi:[0,0,1]
	v_pk_fma_f32 v[136:137], v[138:139], v[126:127], v[136:137] op_sel:[0,0,1] op_sel_hi:[1,0,0]
	v_mov_b32_e32 v141, v137
	ds_load_2addr_b64 v[136:139], v130 offset0:36 offset1:37
	v_pk_add_f32 v[70:71], v[70:71], v[142:143] neg_lo:[0,1] neg_hi:[0,1]
	v_pk_add_f32 v[20:21], v[20:21], v[140:141] neg_lo:[0,1] neg_hi:[0,1]
	s_wait_dscnt 0x0
	v_dual_mul_f32 v140, v137, v129 :: v_dual_mul_f32 v142, v137, v126
	s_delay_alu instid0(VALU_DEP_1) | instskip(NEXT) | instid1(VALU_DEP_2)
	v_pk_fma_f32 v[140:141], v[136:137], v[92:93], v[140:141] op_sel_hi:[1,1,0] neg_lo:[0,0,1] neg_hi:[0,0,1]
	v_pk_fma_f32 v[136:137], v[136:137], v[92:93], v[142:143] op_sel:[1,0,0] op_sel_hi:[0,1,0]
	s_delay_alu instid0(VALU_DEP_1) | instskip(SKIP_1) | instid1(VALU_DEP_2)
	v_mov_b32_e32 v141, v137
	v_pk_mul_f32 v[136:137], v[138:139], v[128:129] op_sel:[0,1]
	v_pk_add_f32 v[66:67], v[66:67], v[140:141] neg_lo:[0,1] neg_hi:[0,1]
	s_delay_alu instid0(VALU_DEP_2) | instskip(SKIP_1) | instid1(VALU_DEP_1)
	v_pk_fma_f32 v[140:141], v[138:139], v[126:127], v[136:137] op_sel:[0,0,1] op_sel_hi:[1,1,0] neg_lo:[0,0,1] neg_hi:[0,0,1]
	v_pk_fma_f32 v[136:137], v[138:139], v[126:127], v[136:137] op_sel:[0,0,1] op_sel_hi:[1,0,0]
	v_mov_b32_e32 v141, v137
	ds_load_2addr_b64 v[136:139], v130 offset0:38 offset1:39
	v_pk_add_f32 v[62:63], v[62:63], v[140:141] neg_lo:[0,1] neg_hi:[0,1]
	s_wait_dscnt 0x0
	v_pk_mul_f32 v[140:141], v[136:137], v[128:129] op_sel:[0,1]
	s_delay_alu instid0(VALU_DEP_1) | instskip(SKIP_1) | instid1(VALU_DEP_1)
	v_pk_fma_f32 v[142:143], v[136:137], v[126:127], v[140:141] op_sel:[0,0,1] op_sel_hi:[1,1,0] neg_lo:[0,0,1] neg_hi:[0,0,1]
	v_pk_fma_f32 v[136:137], v[136:137], v[126:127], v[140:141] op_sel:[0,0,1] op_sel_hi:[1,0,0]
	v_mov_b32_e32 v143, v137
	v_pk_mul_f32 v[136:137], v[138:139], v[128:129] op_sel:[0,1]
	s_delay_alu instid0(VALU_DEP_2) | instskip(NEXT) | instid1(VALU_DEP_2)
	v_pk_add_f32 v[64:65], v[64:65], v[142:143] neg_lo:[0,1] neg_hi:[0,1]
	v_pk_fma_f32 v[140:141], v[138:139], v[126:127], v[136:137] op_sel:[0,0,1] op_sel_hi:[1,1,0] neg_lo:[0,0,1] neg_hi:[0,0,1]
	v_pk_fma_f32 v[136:137], v[138:139], v[126:127], v[136:137] op_sel:[0,0,1] op_sel_hi:[1,0,0]
	s_delay_alu instid0(VALU_DEP_1) | instskip(SKIP_4) | instid1(VALU_DEP_1)
	v_mov_b32_e32 v141, v137
	ds_load_2addr_b64 v[136:139], v130 offset0:40 offset1:41
	v_pk_add_f32 v[18:19], v[18:19], v[140:141] neg_lo:[0,1] neg_hi:[0,1]
	s_wait_dscnt 0x0
	v_pk_mul_f32 v[140:141], v[136:137], v[128:129] op_sel:[0,1]
	v_pk_fma_f32 v[142:143], v[136:137], v[126:127], v[140:141] op_sel:[0,0,1] op_sel_hi:[1,1,0] neg_lo:[0,0,1] neg_hi:[0,0,1]
	v_pk_fma_f32 v[136:137], v[136:137], v[126:127], v[140:141] op_sel:[0,0,1] op_sel_hi:[1,0,0]
	v_dual_mul_f32 v140, v139, v129 :: v_dual_mov_b32 v136, v139
	s_delay_alu instid0(VALU_DEP_2) | instskip(NEXT) | instid1(VALU_DEP_2)
	v_dual_mov_b32 v143, v137 :: v_dual_mov_b32 v137, v138
	v_pk_fma_f32 v[140:141], v[138:139], v[92:93], v[140:141] op_sel_hi:[1,1,0] neg_lo:[0,0,1] neg_hi:[0,0,1]
	v_mul_f32_e32 v138, v139, v126
	s_delay_alu instid0(VALU_DEP_3) | instskip(NEXT) | instid1(VALU_DEP_2)
	v_pk_add_f32 v[60:61], v[60:61], v[142:143] neg_lo:[0,1] neg_hi:[0,1]
	v_pk_fma_f32 v[136:137], v[136:137], v[92:93], v[138:139] op_sel_hi:[1,1,0]
	s_delay_alu instid0(VALU_DEP_1) | instskip(SKIP_4) | instid1(VALU_DEP_1)
	v_mov_b32_e32 v141, v137
	ds_load_2addr_b64 v[136:139], v130 offset0:42 offset1:43
	v_pk_add_f32 v[56:57], v[56:57], v[140:141] neg_lo:[0,1] neg_hi:[0,1]
	s_wait_dscnt 0x0
	v_pk_mul_f32 v[140:141], v[136:137], v[128:129] op_sel:[0,1]
	v_pk_fma_f32 v[142:143], v[136:137], v[126:127], v[140:141] op_sel:[0,0,1] op_sel_hi:[1,1,0] neg_lo:[0,0,1] neg_hi:[0,0,1]
	v_pk_fma_f32 v[136:137], v[136:137], v[126:127], v[140:141] op_sel:[0,0,1] op_sel_hi:[1,0,0]
	s_delay_alu instid0(VALU_DEP_1) | instskip(SKIP_1) | instid1(VALU_DEP_1)
	v_mov_b32_e32 v143, v137
	v_pk_mul_f32 v[136:137], v[138:139], v[128:129] op_sel:[0,1]
	v_pk_fma_f32 v[140:141], v[138:139], v[126:127], v[136:137] op_sel:[0,0,1] op_sel_hi:[1,1,0] neg_lo:[0,0,1] neg_hi:[0,0,1]
	v_pk_fma_f32 v[136:137], v[138:139], v[126:127], v[136:137] op_sel:[0,0,1] op_sel_hi:[1,0,0]
	s_delay_alu instid0(VALU_DEP_1)
	v_mov_b32_e32 v141, v137
	ds_load_2addr_b64 v[136:139], v130 offset0:44 offset1:45
	v_pk_add_f32 v[58:59], v[58:59], v[142:143] neg_lo:[0,1] neg_hi:[0,1]
	v_pk_add_f32 v[12:13], v[12:13], v[140:141] neg_lo:[0,1] neg_hi:[0,1]
	s_wait_dscnt 0x0
	v_pk_mul_f32 v[140:141], v[136:137], v[128:129] op_sel:[0,1]
	s_delay_alu instid0(VALU_DEP_1) | instskip(SKIP_1) | instid1(VALU_DEP_1)
	v_pk_fma_f32 v[142:143], v[136:137], v[126:127], v[140:141] op_sel:[0,0,1] op_sel_hi:[1,1,0] neg_lo:[0,0,1] neg_hi:[0,0,1]
	v_pk_fma_f32 v[136:137], v[136:137], v[126:127], v[140:141] op_sel:[0,0,1] op_sel_hi:[1,0,0]
	v_mov_b32_e32 v143, v137
	v_pk_mul_f32 v[136:137], v[138:139], v[128:129] op_sel:[0,1]
	s_delay_alu instid0(VALU_DEP_1) | instskip(SKIP_1) | instid1(VALU_DEP_1)
	v_pk_fma_f32 v[140:141], v[138:139], v[126:127], v[136:137] op_sel:[0,0,1] op_sel_hi:[1,1,0] neg_lo:[0,0,1] neg_hi:[0,0,1]
	v_pk_fma_f32 v[136:137], v[138:139], v[126:127], v[136:137] op_sel:[0,0,1] op_sel_hi:[1,0,0]
	v_mov_b32_e32 v141, v137
	ds_load_2addr_b64 v[136:139], v130 offset0:46 offset1:47
	v_pk_add_f32 v[54:55], v[54:55], v[142:143] neg_lo:[0,1] neg_hi:[0,1]
	v_pk_add_f32 v[50:51], v[50:51], v[140:141] neg_lo:[0,1] neg_hi:[0,1]
	s_wait_dscnt 0x0
	v_dual_mul_f32 v140, v137, v129 :: v_dual_mul_f32 v142, v137, v126
	s_delay_alu instid0(VALU_DEP_1) | instskip(NEXT) | instid1(VALU_DEP_2)
	v_pk_fma_f32 v[140:141], v[136:137], v[92:93], v[140:141] op_sel_hi:[1,1,0] neg_lo:[0,0,1] neg_hi:[0,0,1]
	v_pk_fma_f32 v[136:137], v[136:137], v[92:93], v[142:143] op_sel:[1,0,0] op_sel_hi:[0,1,0]
	s_delay_alu instid0(VALU_DEP_1) | instskip(SKIP_1) | instid1(VALU_DEP_2)
	v_mov_b32_e32 v141, v137
	v_pk_mul_f32 v[136:137], v[138:139], v[128:129] op_sel:[0,1]
	v_pk_add_f32 v[52:53], v[52:53], v[140:141] neg_lo:[0,1] neg_hi:[0,1]
	s_delay_alu instid0(VALU_DEP_2) | instskip(SKIP_1) | instid1(VALU_DEP_1)
	v_pk_fma_f32 v[140:141], v[138:139], v[126:127], v[136:137] op_sel:[0,0,1] op_sel_hi:[1,1,0] neg_lo:[0,0,1] neg_hi:[0,0,1]
	v_pk_fma_f32 v[136:137], v[138:139], v[126:127], v[136:137] op_sel:[0,0,1] op_sel_hi:[1,0,0]
	v_mov_b32_e32 v141, v137
	ds_load_2addr_b64 v[136:139], v130 offset0:48 offset1:49
	v_pk_add_f32 v[10:11], v[10:11], v[140:141] neg_lo:[0,1] neg_hi:[0,1]
	s_wait_dscnt 0x0
	v_pk_mul_f32 v[140:141], v[136:137], v[128:129] op_sel:[0,1]
	s_delay_alu instid0(VALU_DEP_1) | instskip(SKIP_1) | instid1(VALU_DEP_1)
	v_pk_fma_f32 v[142:143], v[136:137], v[126:127], v[140:141] op_sel:[0,0,1] op_sel_hi:[1,1,0] neg_lo:[0,0,1] neg_hi:[0,0,1]
	v_pk_fma_f32 v[136:137], v[136:137], v[126:127], v[140:141] op_sel:[0,0,1] op_sel_hi:[1,0,0]
	v_mov_b32_e32 v143, v137
	v_pk_mul_f32 v[136:137], v[138:139], v[128:129] op_sel:[0,1]
	s_delay_alu instid0(VALU_DEP_2) | instskip(NEXT) | instid1(VALU_DEP_2)
	v_pk_add_f32 v[46:47], v[46:47], v[142:143] neg_lo:[0,1] neg_hi:[0,1]
	v_pk_fma_f32 v[140:141], v[138:139], v[126:127], v[136:137] op_sel:[0,0,1] op_sel_hi:[1,1,0] neg_lo:[0,0,1] neg_hi:[0,0,1]
	v_pk_fma_f32 v[136:137], v[138:139], v[126:127], v[136:137] op_sel:[0,0,1] op_sel_hi:[1,0,0]
	s_delay_alu instid0(VALU_DEP_1) | instskip(SKIP_4) | instid1(VALU_DEP_1)
	v_mov_b32_e32 v141, v137
	ds_load_2addr_b64 v[136:139], v130 offset0:50 offset1:51
	v_pk_add_f32 v[44:45], v[44:45], v[140:141] neg_lo:[0,1] neg_hi:[0,1]
	s_wait_dscnt 0x0
	v_pk_mul_f32 v[140:141], v[136:137], v[128:129] op_sel:[0,1]
	v_pk_fma_f32 v[142:143], v[136:137], v[126:127], v[140:141] op_sel:[0,0,1] op_sel_hi:[1,1,0] neg_lo:[0,0,1] neg_hi:[0,0,1]
	v_pk_fma_f32 v[136:137], v[136:137], v[126:127], v[140:141] op_sel:[0,0,1] op_sel_hi:[1,0,0]
	v_dual_mul_f32 v140, v139, v129 :: v_dual_mov_b32 v136, v139
	s_delay_alu instid0(VALU_DEP_2) | instskip(NEXT) | instid1(VALU_DEP_2)
	v_dual_mov_b32 v143, v137 :: v_dual_mov_b32 v137, v138
	v_pk_fma_f32 v[140:141], v[138:139], v[92:93], v[140:141] op_sel_hi:[1,1,0] neg_lo:[0,0,1] neg_hi:[0,0,1]
	v_mul_f32_e32 v138, v139, v126
	s_delay_alu instid0(VALU_DEP_3) | instskip(NEXT) | instid1(VALU_DEP_2)
	v_pk_add_f32 v[48:49], v[48:49], v[142:143] neg_lo:[0,1] neg_hi:[0,1]
	v_pk_fma_f32 v[136:137], v[136:137], v[92:93], v[138:139] op_sel_hi:[1,1,0]
	s_delay_alu instid0(VALU_DEP_1) | instskip(SKIP_4) | instid1(VALU_DEP_1)
	v_mov_b32_e32 v141, v137
	ds_load_2addr_b64 v[136:139], v130 offset0:52 offset1:53
	v_pk_add_f32 v[8:9], v[8:9], v[140:141] neg_lo:[0,1] neg_hi:[0,1]
	s_wait_dscnt 0x0
	v_pk_mul_f32 v[140:141], v[136:137], v[128:129] op_sel:[0,1]
	v_pk_fma_f32 v[142:143], v[136:137], v[126:127], v[140:141] op_sel:[0,0,1] op_sel_hi:[1,1,0] neg_lo:[0,0,1] neg_hi:[0,0,1]
	v_pk_fma_f32 v[136:137], v[136:137], v[126:127], v[140:141] op_sel:[0,0,1] op_sel_hi:[1,0,0]
	s_delay_alu instid0(VALU_DEP_1) | instskip(SKIP_1) | instid1(VALU_DEP_1)
	v_mov_b32_e32 v143, v137
	v_pk_mul_f32 v[136:137], v[138:139], v[128:129] op_sel:[0,1]
	v_pk_fma_f32 v[140:141], v[138:139], v[126:127], v[136:137] op_sel:[0,0,1] op_sel_hi:[1,1,0] neg_lo:[0,0,1] neg_hi:[0,0,1]
	v_pk_fma_f32 v[136:137], v[138:139], v[126:127], v[136:137] op_sel:[0,0,1] op_sel_hi:[1,0,0]
	s_delay_alu instid0(VALU_DEP_1)
	v_mov_b32_e32 v141, v137
	ds_load_2addr_b64 v[136:139], v130 offset0:54 offset1:55
	v_pk_add_f32 v[34:35], v[34:35], v[142:143] neg_lo:[0,1] neg_hi:[0,1]
	v_pk_add_f32 v[28:29], v[28:29], v[140:141] neg_lo:[0,1] neg_hi:[0,1]
	s_wait_dscnt 0x0
	v_pk_mul_f32 v[140:141], v[136:137], v[128:129] op_sel:[0,1]
	s_delay_alu instid0(VALU_DEP_1) | instskip(SKIP_1) | instid1(VALU_DEP_1)
	v_pk_fma_f32 v[142:143], v[136:137], v[126:127], v[140:141] op_sel:[0,0,1] op_sel_hi:[1,1,0] neg_lo:[0,0,1] neg_hi:[0,0,1]
	v_pk_fma_f32 v[136:137], v[136:137], v[126:127], v[140:141] op_sel:[0,0,1] op_sel_hi:[1,0,0]
	v_mov_b32_e32 v143, v137
	v_pk_mul_f32 v[136:137], v[138:139], v[128:129] op_sel:[0,1]
	s_delay_alu instid0(VALU_DEP_1) | instskip(SKIP_1) | instid1(VALU_DEP_1)
	v_pk_fma_f32 v[140:141], v[138:139], v[126:127], v[136:137] op_sel:[0,0,1] op_sel_hi:[1,1,0] neg_lo:[0,0,1] neg_hi:[0,0,1]
	v_pk_fma_f32 v[136:137], v[138:139], v[126:127], v[136:137] op_sel:[0,0,1] op_sel_hi:[1,0,0]
	v_mov_b32_e32 v141, v137
	ds_load_2addr_b64 v[136:139], v130 offset0:56 offset1:57
	v_pk_add_f32 v[32:33], v[32:33], v[142:143] neg_lo:[0,1] neg_hi:[0,1]
	v_pk_add_f32 v[6:7], v[6:7], v[140:141] neg_lo:[0,1] neg_hi:[0,1]
	s_wait_dscnt 0x0
	v_dual_mul_f32 v140, v137, v129 :: v_dual_mul_f32 v142, v137, v126
	s_delay_alu instid0(VALU_DEP_1) | instskip(NEXT) | instid1(VALU_DEP_2)
	v_pk_fma_f32 v[140:141], v[136:137], v[92:93], v[140:141] op_sel_hi:[1,1,0] neg_lo:[0,0,1] neg_hi:[0,0,1]
	v_pk_fma_f32 v[136:137], v[136:137], v[92:93], v[142:143] op_sel:[1,0,0] op_sel_hi:[0,1,0]
	s_delay_alu instid0(VALU_DEP_1) | instskip(SKIP_1) | instid1(VALU_DEP_2)
	v_mov_b32_e32 v141, v137
	v_pk_mul_f32 v[136:137], v[138:139], v[128:129] op_sel:[0,1]
	v_pk_add_f32 v[26:27], v[26:27], v[140:141] neg_lo:[0,1] neg_hi:[0,1]
	s_delay_alu instid0(VALU_DEP_2) | instskip(SKIP_1) | instid1(VALU_DEP_1)
	v_pk_fma_f32 v[140:141], v[138:139], v[126:127], v[136:137] op_sel:[0,0,1] op_sel_hi:[1,1,0] neg_lo:[0,0,1] neg_hi:[0,0,1]
	v_pk_fma_f32 v[136:137], v[138:139], v[126:127], v[136:137] op_sel:[0,0,1] op_sel_hi:[1,0,0]
	v_mov_b32_e32 v141, v137
	ds_load_2addr_b64 v[136:139], v130 offset0:58 offset1:59
	v_pk_add_f32 v[16:17], v[16:17], v[140:141] neg_lo:[0,1] neg_hi:[0,1]
	s_wait_dscnt 0x0
	v_pk_mul_f32 v[140:141], v[136:137], v[128:129] op_sel:[0,1]
	v_mul_f32_e32 v128, v139, v129
	s_delay_alu instid0(VALU_DEP_2) | instskip(SKIP_2) | instid1(VALU_DEP_4)
	v_pk_fma_f32 v[142:143], v[136:137], v[126:127], v[140:141] op_sel:[0,0,1] op_sel_hi:[1,1,0] neg_lo:[0,0,1] neg_hi:[0,0,1]
	v_pk_fma_f32 v[136:137], v[136:137], v[126:127], v[140:141] op_sel:[0,0,1] op_sel_hi:[1,0,0]
	v_dual_mov_b32 v136, v139 :: v_dual_mul_f32 v126, v139, v126
	v_pk_fma_f32 v[128:129], v[138:139], v[92:93], v[128:129] op_sel_hi:[1,1,0] neg_lo:[0,0,1] neg_hi:[0,0,1]
	s_delay_alu instid0(VALU_DEP_3) | instskip(NEXT) | instid1(VALU_DEP_1)
	v_dual_mov_b32 v143, v137 :: v_dual_mov_b32 v137, v138
	v_pk_add_f32 v[14:15], v[14:15], v[142:143] neg_lo:[0,1] neg_hi:[0,1]
	s_delay_alu instid0(VALU_DEP_2) | instskip(NEXT) | instid1(VALU_DEP_1)
	v_pk_fma_f32 v[126:127], v[136:137], v[92:93], v[126:127] op_sel_hi:[1,1,0]
	v_mov_b32_e32 v129, v127
	s_delay_alu instid0(VALU_DEP_1)
	v_pk_add_f32 v[124:125], v[124:125], v[128:129] neg_lo:[0,1] neg_hi:[0,1]
.LBB118_377:
	s_or_b32 exec_lo, exec_lo, s0
	v_lshl_add_u32 v126, v134, 3, v130
	s_barrier_signal -1
	s_barrier_wait -1
	ds_store_b64 v126, v[94:95]
	s_wait_dscnt 0x0
	s_barrier_signal -1
	s_barrier_wait -1
	ds_load_b64 v[128:129], v130 offset:144
	v_mov_b32_e32 v126, 18
	s_cmp_lt_i32 s18, 20
	s_cbranch_scc1 .LBB118_380
; %bb.378:
	v_add3_u32 v127, v131, 0, 0x98
	v_mov_b32_e32 v126, 18
	s_mov_b32 s0, 19
.LBB118_379:                            ; =>This Inner Loop Header: Depth=1
	ds_load_b64 v[136:137], v127
	s_wait_dscnt 0x1
	v_cmp_gt_f32_e32 vcc_lo, 0, v128
	v_cndmask_b32_e64 v138, v128, -v128, vcc_lo
	v_cmp_gt_f32_e32 vcc_lo, 0, v129
	v_cndmask_b32_e64 v140, v129, -v129, vcc_lo
	s_wait_dscnt 0x0
	v_cmp_gt_f32_e32 vcc_lo, 0, v136
	v_cndmask_b32_e64 v139, v136, -v136, vcc_lo
	v_cmp_gt_f32_e32 vcc_lo, 0, v137
	v_cndmask_b32_e64 v141, v137, -v137, vcc_lo
	s_delay_alu instid0(VALU_DEP_1) | instskip(NEXT) | instid1(VALU_DEP_1)
	v_pk_add_f32 v[138:139], v[138:139], v[140:141]
	v_cmp_lt_f32_e32 vcc_lo, v138, v139
	v_dual_add_nc_u32 v127, 8, v127 :: v_dual_cndmask_b32 v129, v129, v137, vcc_lo
	v_cndmask_b32_e32 v128, v128, v136, vcc_lo
	v_cndmask_b32_e64 v126, v126, s0, vcc_lo
	s_add_co_i32 s0, s0, 1
	s_delay_alu instid0(SALU_CYCLE_1)
	s_cmp_lg_u32 s18, s0
	s_cbranch_scc1 .LBB118_379
.LBB118_380:
	s_wait_dscnt 0x0
	v_cmp_eq_f32_e32 vcc_lo, 0, v128
	v_cmp_eq_f32_e64 s0, 0, v129
	s_and_b32 s0, vcc_lo, s0
	s_delay_alu instid0(SALU_CYCLE_1) | instskip(NEXT) | instid1(SALU_CYCLE_1)
	s_and_saveexec_b32 s1, s0
	s_xor_b32 s0, exec_lo, s1
; %bb.381:
	v_cmp_ne_u32_e32 vcc_lo, 0, v132
	v_cndmask_b32_e32 v132, 19, v132, vcc_lo
; %bb.382:
	s_and_not1_saveexec_b32 s0, s0
	s_cbranch_execz .LBB118_388
; %bb.383:
	v_cmp_ngt_f32_e64 s1, |v128|, |v129|
	s_and_saveexec_b32 s12, s1
	s_delay_alu instid0(SALU_CYCLE_1)
	s_xor_b32 s1, exec_lo, s12
	s_cbranch_execz .LBB118_385
; %bb.384:
	v_div_scale_f32 v127, null, v129, v129, v128
	v_div_scale_f32 v137, vcc_lo, v128, v129, v128
	s_delay_alu instid0(VALU_DEP_2) | instskip(SKIP_1) | instid1(TRANS32_DEP_1)
	v_rcp_f32_e32 v135, v127
	v_nop
	v_fma_f32 v136, -v127, v135, 1.0
	s_delay_alu instid0(VALU_DEP_1) | instskip(NEXT) | instid1(VALU_DEP_1)
	v_fmac_f32_e32 v135, v136, v135
	v_mul_f32_e32 v136, v137, v135
	s_delay_alu instid0(VALU_DEP_1) | instskip(NEXT) | instid1(VALU_DEP_1)
	v_fma_f32 v138, -v127, v136, v137
	v_fmac_f32_e32 v136, v138, v135
	s_delay_alu instid0(VALU_DEP_1) | instskip(NEXT) | instid1(VALU_DEP_1)
	v_fma_f32 v127, -v127, v136, v137
	v_div_fmas_f32 v127, v127, v135, v136
	s_delay_alu instid0(VALU_DEP_1) | instskip(NEXT) | instid1(VALU_DEP_1)
	v_div_fixup_f32 v127, v127, v129, v128
	v_fmac_f32_e32 v129, v128, v127
	s_delay_alu instid0(VALU_DEP_1) | instskip(SKIP_1) | instid1(VALU_DEP_2)
	v_div_scale_f32 v128, null, v129, v129, 1.0
	v_div_scale_f32 v137, vcc_lo, 1.0, v129, 1.0
	v_rcp_f32_e32 v135, v128
	v_nop
	s_delay_alu instid0(TRANS32_DEP_1) | instskip(NEXT) | instid1(VALU_DEP_1)
	v_fma_f32 v136, -v128, v135, 1.0
	v_fmac_f32_e32 v135, v136, v135
	s_delay_alu instid0(VALU_DEP_1) | instskip(NEXT) | instid1(VALU_DEP_1)
	v_mul_f32_e32 v136, v137, v135
	v_fma_f32 v138, -v128, v136, v137
	s_delay_alu instid0(VALU_DEP_1) | instskip(NEXT) | instid1(VALU_DEP_1)
	v_fmac_f32_e32 v136, v138, v135
	v_fma_f32 v128, -v128, v136, v137
	s_delay_alu instid0(VALU_DEP_1) | instskip(NEXT) | instid1(VALU_DEP_1)
	v_div_fmas_f32 v128, v128, v135, v136
	v_div_fixup_f32 v129, v128, v129, 1.0
	s_delay_alu instid0(VALU_DEP_1)
	v_mul_f32_e32 v128, v127, v129
	v_xor_b32_e32 v129, 0x80000000, v129
.LBB118_385:
	s_and_not1_saveexec_b32 s1, s1
	s_cbranch_execz .LBB118_387
; %bb.386:
	s_delay_alu instid0(VALU_DEP_1) | instskip(SKIP_1) | instid1(VALU_DEP_2)
	v_div_scale_f32 v127, null, v128, v128, v129
	v_div_scale_f32 v137, vcc_lo, v129, v128, v129
	v_rcp_f32_e32 v135, v127
	v_nop
	s_delay_alu instid0(TRANS32_DEP_1) | instskip(NEXT) | instid1(VALU_DEP_1)
	v_fma_f32 v136, -v127, v135, 1.0
	v_fmac_f32_e32 v135, v136, v135
	s_delay_alu instid0(VALU_DEP_1) | instskip(NEXT) | instid1(VALU_DEP_1)
	v_mul_f32_e32 v136, v137, v135
	v_fma_f32 v138, -v127, v136, v137
	s_delay_alu instid0(VALU_DEP_1) | instskip(NEXT) | instid1(VALU_DEP_1)
	v_fmac_f32_e32 v136, v138, v135
	v_fma_f32 v127, -v127, v136, v137
	s_delay_alu instid0(VALU_DEP_1) | instskip(NEXT) | instid1(VALU_DEP_1)
	v_div_fmas_f32 v127, v127, v135, v136
	v_div_fixup_f32 v127, v127, v128, v129
	s_delay_alu instid0(VALU_DEP_1) | instskip(NEXT) | instid1(VALU_DEP_1)
	v_fmac_f32_e32 v128, v129, v127
	v_div_scale_f32 v129, null, v128, v128, 1.0
	s_delay_alu instid0(VALU_DEP_1) | instskip(SKIP_1) | instid1(TRANS32_DEP_1)
	v_rcp_f32_e32 v135, v129
	v_nop
	v_fma_f32 v136, -v129, v135, 1.0
	s_delay_alu instid0(VALU_DEP_1) | instskip(SKIP_1) | instid1(VALU_DEP_1)
	v_fmac_f32_e32 v135, v136, v135
	v_div_scale_f32 v136, vcc_lo, 1.0, v128, 1.0
	v_mul_f32_e32 v137, v136, v135
	s_delay_alu instid0(VALU_DEP_1) | instskip(NEXT) | instid1(VALU_DEP_1)
	v_fma_f32 v138, -v129, v137, v136
	v_fmac_f32_e32 v137, v138, v135
	s_delay_alu instid0(VALU_DEP_1) | instskip(NEXT) | instid1(VALU_DEP_1)
	v_fma_f32 v129, -v129, v137, v136
	v_div_fmas_f32 v129, v129, v135, v137
	s_delay_alu instid0(VALU_DEP_1) | instskip(NEXT) | instid1(VALU_DEP_1)
	v_div_fixup_f32 v128, v129, v128, 1.0
	v_mul_f32_e64 v129, v127, -v128
.LBB118_387:
	s_or_b32 exec_lo, exec_lo, s1
.LBB118_388:
	s_delay_alu instid0(SALU_CYCLE_1) | instskip(NEXT) | instid1(SALU_CYCLE_1)
	s_or_b32 exec_lo, exec_lo, s0
	s_mov_b32 s0, exec_lo
	v_cmpx_ne_u32_e64 v134, v126
	s_xor_b32 s0, exec_lo, s0
	s_cbranch_execz .LBB118_394
; %bb.389:
	s_mov_b32 s1, exec_lo
	v_cmpx_eq_u32_e32 18, v134
	s_cbranch_execz .LBB118_393
; %bb.390:
	v_cmp_ne_u32_e32 vcc_lo, 18, v126
	s_xor_b32 s12, s16, -1
	s_delay_alu instid0(SALU_CYCLE_1) | instskip(NEXT) | instid1(SALU_CYCLE_1)
	s_and_b32 s13, s12, vcc_lo
	s_and_saveexec_b32 s12, s13
	s_cbranch_execz .LBB118_392
; %bb.391:
	v_ashrrev_i32_e32 v127, 31, v126
	s_delay_alu instid0(VALU_DEP_1)
	v_lshl_add_u64 v[134:135], v[126:127], 2, v[4:5]
	s_clause 0x1
	global_load_b32 v127, v[134:135], off
	global_load_b32 v133, v[4:5], off offset:72
	s_wait_loadcnt 0x1
	global_store_b32 v[4:5], v127, off offset:72
	s_wait_loadcnt 0x0
	global_store_b32 v[134:135], v133, off
.LBB118_392:
	s_wait_xcnt 0x0
	s_or_b32 exec_lo, exec_lo, s12
	v_dual_mov_b32 v134, v126 :: v_dual_mov_b32 v133, v126
.LBB118_393:
	s_or_b32 exec_lo, exec_lo, s1
.LBB118_394:
	s_and_not1_saveexec_b32 s0, s0
	s_cbranch_execz .LBB118_396
; %bb.395:
	v_mov_b32_e32 v134, 18
	ds_store_2addr_b64 v130, v[36:37], v[90:91] offset0:19 offset1:20
	ds_store_2addr_b64 v130, v[86:87], v[88:89] offset0:21 offset1:22
	;; [unrolled: 1-line block ×20, first 2 shown]
	ds_store_b64 v130, v[124:125] offset:472
.LBB118_396:
	s_or_b32 exec_lo, exec_lo, s0
	s_delay_alu instid0(SALU_CYCLE_1)
	s_mov_b32 s0, exec_lo
	s_wait_storecnt_dscnt 0x0
	s_barrier_signal -1
	s_barrier_wait -1
	v_cmpx_lt_i32_e32 18, v134
	s_cbranch_execz .LBB118_398
; %bb.397:
	v_pk_mul_f32 v[136:137], v[128:129], v[94:95] op_sel:[1,1] op_sel_hi:[0,1]
	s_delay_alu instid0(VALU_DEP_1)
	v_pk_fma_f32 v[126:127], v[128:129], v[94:95], v[136:137] op_sel_hi:[1,0,1] neg_lo:[0,0,1] neg_hi:[0,0,1]
	v_pk_fma_f32 v[128:129], v[128:129], v[94:95], v[136:137] op_sel_hi:[1,0,1]
	ds_load_2addr_b64 v[136:139], v130 offset0:19 offset1:20
	v_dual_mov_b32 v94, v126 :: v_dual_mov_b32 v95, v129
	s_wait_dscnt 0x0
	v_pk_mul_f32 v[140:141], v[136:137], v[128:129] op_sel:[0,1]
	s_delay_alu instid0(VALU_DEP_1) | instskip(SKIP_1) | instid1(VALU_DEP_1)
	v_pk_fma_f32 v[142:143], v[136:137], v[126:127], v[140:141] op_sel:[0,0,1] op_sel_hi:[1,1,0] neg_lo:[0,0,1] neg_hi:[0,0,1]
	v_pk_fma_f32 v[136:137], v[136:137], v[126:127], v[140:141] op_sel:[0,0,1] op_sel_hi:[1,0,0]
	v_mov_b32_e32 v143, v137
	v_pk_mul_f32 v[136:137], v[138:139], v[128:129] op_sel:[0,1]
	s_delay_alu instid0(VALU_DEP_1) | instskip(SKIP_1) | instid1(VALU_DEP_1)
	v_pk_fma_f32 v[140:141], v[138:139], v[126:127], v[136:137] op_sel:[0,0,1] op_sel_hi:[1,1,0] neg_lo:[0,0,1] neg_hi:[0,0,1]
	v_pk_fma_f32 v[136:137], v[138:139], v[126:127], v[136:137] op_sel:[0,0,1] op_sel_hi:[1,0,0]
	v_mov_b32_e32 v141, v137
	ds_load_2addr_b64 v[136:139], v130 offset0:21 offset1:22
	v_pk_add_f32 v[36:37], v[36:37], v[142:143] neg_lo:[0,1] neg_hi:[0,1]
	v_pk_add_f32 v[90:91], v[90:91], v[140:141] neg_lo:[0,1] neg_hi:[0,1]
	s_wait_dscnt 0x0
	v_pk_mul_f32 v[140:141], v[136:137], v[128:129] op_sel:[0,1]
	s_delay_alu instid0(VALU_DEP_1) | instskip(SKIP_2) | instid1(VALU_DEP_2)
	v_pk_fma_f32 v[142:143], v[136:137], v[126:127], v[140:141] op_sel:[0,0,1] op_sel_hi:[1,1,0] neg_lo:[0,0,1] neg_hi:[0,0,1]
	v_pk_fma_f32 v[136:137], v[136:137], v[126:127], v[140:141] op_sel:[0,0,1] op_sel_hi:[1,0,0]
	v_dual_mul_f32 v140, v139, v129 :: v_dual_mov_b32 v136, v139
	v_dual_mov_b32 v143, v137 :: v_dual_mov_b32 v137, v138
	s_delay_alu instid0(VALU_DEP_2) | instskip(SKIP_1) | instid1(VALU_DEP_3)
	v_pk_fma_f32 v[140:141], v[138:139], v[94:95], v[140:141] op_sel_hi:[1,1,0] neg_lo:[0,0,1] neg_hi:[0,0,1]
	v_mul_f32_e32 v138, v139, v126
	v_pk_add_f32 v[86:87], v[86:87], v[142:143] neg_lo:[0,1] neg_hi:[0,1]
	s_delay_alu instid0(VALU_DEP_2) | instskip(NEXT) | instid1(VALU_DEP_1)
	v_pk_fma_f32 v[136:137], v[136:137], v[94:95], v[138:139] op_sel_hi:[1,1,0]
	v_mov_b32_e32 v141, v137
	ds_load_2addr_b64 v[136:139], v130 offset0:23 offset1:24
	v_pk_add_f32 v[88:89], v[88:89], v[140:141] neg_lo:[0,1] neg_hi:[0,1]
	s_wait_dscnt 0x0
	v_pk_mul_f32 v[140:141], v[136:137], v[128:129] op_sel:[0,1]
	s_delay_alu instid0(VALU_DEP_1) | instskip(SKIP_1) | instid1(VALU_DEP_1)
	v_pk_fma_f32 v[142:143], v[136:137], v[126:127], v[140:141] op_sel:[0,0,1] op_sel_hi:[1,1,0] neg_lo:[0,0,1] neg_hi:[0,0,1]
	v_pk_fma_f32 v[136:137], v[136:137], v[126:127], v[140:141] op_sel:[0,0,1] op_sel_hi:[1,0,0]
	v_mov_b32_e32 v143, v137
	v_pk_mul_f32 v[136:137], v[138:139], v[128:129] op_sel:[0,1]
	s_delay_alu instid0(VALU_DEP_1) | instskip(SKIP_1) | instid1(VALU_DEP_1)
	v_pk_fma_f32 v[140:141], v[138:139], v[126:127], v[136:137] op_sel:[0,0,1] op_sel_hi:[1,1,0] neg_lo:[0,0,1] neg_hi:[0,0,1]
	v_pk_fma_f32 v[136:137], v[138:139], v[126:127], v[136:137] op_sel:[0,0,1] op_sel_hi:[1,0,0]
	v_mov_b32_e32 v141, v137
	ds_load_2addr_b64 v[136:139], v130 offset0:25 offset1:26
	v_pk_add_f32 v[30:31], v[30:31], v[142:143] neg_lo:[0,1] neg_hi:[0,1]
	v_pk_add_f32 v[84:85], v[84:85], v[140:141] neg_lo:[0,1] neg_hi:[0,1]
	s_wait_dscnt 0x0
	v_pk_mul_f32 v[140:141], v[136:137], v[128:129] op_sel:[0,1]
	s_delay_alu instid0(VALU_DEP_1) | instskip(SKIP_1) | instid1(VALU_DEP_1)
	v_pk_fma_f32 v[142:143], v[136:137], v[126:127], v[140:141] op_sel:[0,0,1] op_sel_hi:[1,1,0] neg_lo:[0,0,1] neg_hi:[0,0,1]
	v_pk_fma_f32 v[136:137], v[136:137], v[126:127], v[140:141] op_sel:[0,0,1] op_sel_hi:[1,0,0]
	v_mov_b32_e32 v143, v137
	v_pk_mul_f32 v[136:137], v[138:139], v[128:129] op_sel:[0,1]
	s_delay_alu instid0(VALU_DEP_1) | instskip(SKIP_1) | instid1(VALU_DEP_1)
	v_pk_fma_f32 v[140:141], v[138:139], v[126:127], v[136:137] op_sel:[0,0,1] op_sel_hi:[1,1,0] neg_lo:[0,0,1] neg_hi:[0,0,1]
	v_pk_fma_f32 v[136:137], v[138:139], v[126:127], v[136:137] op_sel:[0,0,1] op_sel_hi:[1,0,0]
	v_mov_b32_e32 v141, v137
	ds_load_2addr_b64 v[136:139], v130 offset0:27 offset1:28
	v_pk_add_f32 v[80:81], v[80:81], v[142:143] neg_lo:[0,1] neg_hi:[0,1]
	v_pk_add_f32 v[82:83], v[82:83], v[140:141] neg_lo:[0,1] neg_hi:[0,1]
	s_wait_dscnt 0x0
	v_dual_mul_f32 v140, v137, v129 :: v_dual_mul_f32 v142, v137, v126
	s_delay_alu instid0(VALU_DEP_1) | instskip(NEXT) | instid1(VALU_DEP_2)
	v_pk_fma_f32 v[140:141], v[136:137], v[94:95], v[140:141] op_sel_hi:[1,1,0] neg_lo:[0,0,1] neg_hi:[0,0,1]
	v_pk_fma_f32 v[136:137], v[136:137], v[94:95], v[142:143] op_sel:[1,0,0] op_sel_hi:[0,1,0]
	s_delay_alu instid0(VALU_DEP_1) | instskip(SKIP_1) | instid1(VALU_DEP_2)
	v_mov_b32_e32 v141, v137
	v_pk_mul_f32 v[136:137], v[138:139], v[128:129] op_sel:[0,1]
	v_pk_add_f32 v[24:25], v[24:25], v[140:141] neg_lo:[0,1] neg_hi:[0,1]
	s_delay_alu instid0(VALU_DEP_2) | instskip(SKIP_1) | instid1(VALU_DEP_1)
	v_pk_fma_f32 v[140:141], v[138:139], v[126:127], v[136:137] op_sel:[0,0,1] op_sel_hi:[1,1,0] neg_lo:[0,0,1] neg_hi:[0,0,1]
	v_pk_fma_f32 v[136:137], v[138:139], v[126:127], v[136:137] op_sel:[0,0,1] op_sel_hi:[1,0,0]
	v_mov_b32_e32 v141, v137
	ds_load_2addr_b64 v[136:139], v130 offset0:29 offset1:30
	v_pk_add_f32 v[78:79], v[78:79], v[140:141] neg_lo:[0,1] neg_hi:[0,1]
	s_wait_dscnt 0x0
	v_pk_mul_f32 v[140:141], v[136:137], v[128:129] op_sel:[0,1]
	s_delay_alu instid0(VALU_DEP_1) | instskip(SKIP_1) | instid1(VALU_DEP_1)
	v_pk_fma_f32 v[142:143], v[136:137], v[126:127], v[140:141] op_sel:[0,0,1] op_sel_hi:[1,1,0] neg_lo:[0,0,1] neg_hi:[0,0,1]
	v_pk_fma_f32 v[136:137], v[136:137], v[126:127], v[140:141] op_sel:[0,0,1] op_sel_hi:[1,0,0]
	v_mov_b32_e32 v143, v137
	v_pk_mul_f32 v[136:137], v[138:139], v[128:129] op_sel:[0,1]
	s_delay_alu instid0(VALU_DEP_2) | instskip(NEXT) | instid1(VALU_DEP_2)
	v_pk_add_f32 v[74:75], v[74:75], v[142:143] neg_lo:[0,1] neg_hi:[0,1]
	v_pk_fma_f32 v[140:141], v[138:139], v[126:127], v[136:137] op_sel:[0,0,1] op_sel_hi:[1,1,0] neg_lo:[0,0,1] neg_hi:[0,0,1]
	v_pk_fma_f32 v[136:137], v[138:139], v[126:127], v[136:137] op_sel:[0,0,1] op_sel_hi:[1,0,0]
	s_delay_alu instid0(VALU_DEP_1) | instskip(SKIP_4) | instid1(VALU_DEP_1)
	v_mov_b32_e32 v141, v137
	ds_load_2addr_b64 v[136:139], v130 offset0:31 offset1:32
	v_pk_add_f32 v[76:77], v[76:77], v[140:141] neg_lo:[0,1] neg_hi:[0,1]
	s_wait_dscnt 0x0
	v_pk_mul_f32 v[140:141], v[136:137], v[128:129] op_sel:[0,1]
	v_pk_fma_f32 v[142:143], v[136:137], v[126:127], v[140:141] op_sel:[0,0,1] op_sel_hi:[1,1,0] neg_lo:[0,0,1] neg_hi:[0,0,1]
	v_pk_fma_f32 v[136:137], v[136:137], v[126:127], v[140:141] op_sel:[0,0,1] op_sel_hi:[1,0,0]
	v_dual_mul_f32 v140, v139, v129 :: v_dual_mov_b32 v136, v139
	s_delay_alu instid0(VALU_DEP_2) | instskip(NEXT) | instid1(VALU_DEP_2)
	v_dual_mov_b32 v143, v137 :: v_dual_mov_b32 v137, v138
	v_pk_fma_f32 v[140:141], v[138:139], v[94:95], v[140:141] op_sel_hi:[1,1,0] neg_lo:[0,0,1] neg_hi:[0,0,1]
	v_mul_f32_e32 v138, v139, v126
	s_delay_alu instid0(VALU_DEP_3) | instskip(NEXT) | instid1(VALU_DEP_2)
	v_pk_add_f32 v[22:23], v[22:23], v[142:143] neg_lo:[0,1] neg_hi:[0,1]
	v_pk_fma_f32 v[136:137], v[136:137], v[94:95], v[138:139] op_sel_hi:[1,1,0]
	s_delay_alu instid0(VALU_DEP_1) | instskip(SKIP_4) | instid1(VALU_DEP_1)
	v_mov_b32_e32 v141, v137
	ds_load_2addr_b64 v[136:139], v130 offset0:33 offset1:34
	v_pk_add_f32 v[72:73], v[72:73], v[140:141] neg_lo:[0,1] neg_hi:[0,1]
	s_wait_dscnt 0x0
	v_pk_mul_f32 v[140:141], v[136:137], v[128:129] op_sel:[0,1]
	v_pk_fma_f32 v[142:143], v[136:137], v[126:127], v[140:141] op_sel:[0,0,1] op_sel_hi:[1,1,0] neg_lo:[0,0,1] neg_hi:[0,0,1]
	v_pk_fma_f32 v[136:137], v[136:137], v[126:127], v[140:141] op_sel:[0,0,1] op_sel_hi:[1,0,0]
	s_delay_alu instid0(VALU_DEP_1) | instskip(SKIP_1) | instid1(VALU_DEP_1)
	v_mov_b32_e32 v143, v137
	v_pk_mul_f32 v[136:137], v[138:139], v[128:129] op_sel:[0,1]
	v_pk_fma_f32 v[140:141], v[138:139], v[126:127], v[136:137] op_sel:[0,0,1] op_sel_hi:[1,1,0] neg_lo:[0,0,1] neg_hi:[0,0,1]
	v_pk_fma_f32 v[136:137], v[138:139], v[126:127], v[136:137] op_sel:[0,0,1] op_sel_hi:[1,0,0]
	s_delay_alu instid0(VALU_DEP_1)
	v_mov_b32_e32 v141, v137
	ds_load_2addr_b64 v[136:139], v130 offset0:35 offset1:36
	v_pk_add_f32 v[68:69], v[68:69], v[142:143] neg_lo:[0,1] neg_hi:[0,1]
	v_pk_add_f32 v[70:71], v[70:71], v[140:141] neg_lo:[0,1] neg_hi:[0,1]
	s_wait_dscnt 0x0
	v_pk_mul_f32 v[140:141], v[136:137], v[128:129] op_sel:[0,1]
	s_delay_alu instid0(VALU_DEP_1) | instskip(SKIP_1) | instid1(VALU_DEP_1)
	v_pk_fma_f32 v[142:143], v[136:137], v[126:127], v[140:141] op_sel:[0,0,1] op_sel_hi:[1,1,0] neg_lo:[0,0,1] neg_hi:[0,0,1]
	v_pk_fma_f32 v[136:137], v[136:137], v[126:127], v[140:141] op_sel:[0,0,1] op_sel_hi:[1,0,0]
	v_mov_b32_e32 v143, v137
	v_pk_mul_f32 v[136:137], v[138:139], v[128:129] op_sel:[0,1]
	s_delay_alu instid0(VALU_DEP_1) | instskip(SKIP_1) | instid1(VALU_DEP_1)
	v_pk_fma_f32 v[140:141], v[138:139], v[126:127], v[136:137] op_sel:[0,0,1] op_sel_hi:[1,1,0] neg_lo:[0,0,1] neg_hi:[0,0,1]
	v_pk_fma_f32 v[136:137], v[138:139], v[126:127], v[136:137] op_sel:[0,0,1] op_sel_hi:[1,0,0]
	v_mov_b32_e32 v141, v137
	ds_load_2addr_b64 v[136:139], v130 offset0:37 offset1:38
	v_pk_add_f32 v[20:21], v[20:21], v[142:143] neg_lo:[0,1] neg_hi:[0,1]
	v_pk_add_f32 v[66:67], v[66:67], v[140:141] neg_lo:[0,1] neg_hi:[0,1]
	s_wait_dscnt 0x0
	v_dual_mul_f32 v140, v137, v129 :: v_dual_mul_f32 v142, v137, v126
	s_delay_alu instid0(VALU_DEP_1) | instskip(NEXT) | instid1(VALU_DEP_2)
	v_pk_fma_f32 v[140:141], v[136:137], v[94:95], v[140:141] op_sel_hi:[1,1,0] neg_lo:[0,0,1] neg_hi:[0,0,1]
	v_pk_fma_f32 v[136:137], v[136:137], v[94:95], v[142:143] op_sel:[1,0,0] op_sel_hi:[0,1,0]
	s_delay_alu instid0(VALU_DEP_1) | instskip(SKIP_1) | instid1(VALU_DEP_2)
	v_mov_b32_e32 v141, v137
	v_pk_mul_f32 v[136:137], v[138:139], v[128:129] op_sel:[0,1]
	v_pk_add_f32 v[62:63], v[62:63], v[140:141] neg_lo:[0,1] neg_hi:[0,1]
	s_delay_alu instid0(VALU_DEP_2) | instskip(SKIP_1) | instid1(VALU_DEP_1)
	v_pk_fma_f32 v[140:141], v[138:139], v[126:127], v[136:137] op_sel:[0,0,1] op_sel_hi:[1,1,0] neg_lo:[0,0,1] neg_hi:[0,0,1]
	v_pk_fma_f32 v[136:137], v[138:139], v[126:127], v[136:137] op_sel:[0,0,1] op_sel_hi:[1,0,0]
	v_mov_b32_e32 v141, v137
	ds_load_2addr_b64 v[136:139], v130 offset0:39 offset1:40
	v_pk_add_f32 v[64:65], v[64:65], v[140:141] neg_lo:[0,1] neg_hi:[0,1]
	s_wait_dscnt 0x0
	v_pk_mul_f32 v[140:141], v[136:137], v[128:129] op_sel:[0,1]
	s_delay_alu instid0(VALU_DEP_1) | instskip(SKIP_1) | instid1(VALU_DEP_1)
	v_pk_fma_f32 v[142:143], v[136:137], v[126:127], v[140:141] op_sel:[0,0,1] op_sel_hi:[1,1,0] neg_lo:[0,0,1] neg_hi:[0,0,1]
	v_pk_fma_f32 v[136:137], v[136:137], v[126:127], v[140:141] op_sel:[0,0,1] op_sel_hi:[1,0,0]
	v_mov_b32_e32 v143, v137
	v_pk_mul_f32 v[136:137], v[138:139], v[128:129] op_sel:[0,1]
	s_delay_alu instid0(VALU_DEP_2) | instskip(NEXT) | instid1(VALU_DEP_2)
	v_pk_add_f32 v[18:19], v[18:19], v[142:143] neg_lo:[0,1] neg_hi:[0,1]
	v_pk_fma_f32 v[140:141], v[138:139], v[126:127], v[136:137] op_sel:[0,0,1] op_sel_hi:[1,1,0] neg_lo:[0,0,1] neg_hi:[0,0,1]
	v_pk_fma_f32 v[136:137], v[138:139], v[126:127], v[136:137] op_sel:[0,0,1] op_sel_hi:[1,0,0]
	s_delay_alu instid0(VALU_DEP_1) | instskip(SKIP_4) | instid1(VALU_DEP_1)
	v_mov_b32_e32 v141, v137
	ds_load_2addr_b64 v[136:139], v130 offset0:41 offset1:42
	v_pk_add_f32 v[60:61], v[60:61], v[140:141] neg_lo:[0,1] neg_hi:[0,1]
	s_wait_dscnt 0x0
	v_pk_mul_f32 v[140:141], v[136:137], v[128:129] op_sel:[0,1]
	v_pk_fma_f32 v[142:143], v[136:137], v[126:127], v[140:141] op_sel:[0,0,1] op_sel_hi:[1,1,0] neg_lo:[0,0,1] neg_hi:[0,0,1]
	v_pk_fma_f32 v[136:137], v[136:137], v[126:127], v[140:141] op_sel:[0,0,1] op_sel_hi:[1,0,0]
	v_dual_mul_f32 v140, v139, v129 :: v_dual_mov_b32 v136, v139
	s_delay_alu instid0(VALU_DEP_2) | instskip(NEXT) | instid1(VALU_DEP_2)
	v_dual_mov_b32 v143, v137 :: v_dual_mov_b32 v137, v138
	v_pk_fma_f32 v[140:141], v[138:139], v[94:95], v[140:141] op_sel_hi:[1,1,0] neg_lo:[0,0,1] neg_hi:[0,0,1]
	v_mul_f32_e32 v138, v139, v126
	s_delay_alu instid0(VALU_DEP_3) | instskip(NEXT) | instid1(VALU_DEP_2)
	v_pk_add_f32 v[56:57], v[56:57], v[142:143] neg_lo:[0,1] neg_hi:[0,1]
	v_pk_fma_f32 v[136:137], v[136:137], v[94:95], v[138:139] op_sel_hi:[1,1,0]
	s_delay_alu instid0(VALU_DEP_1) | instskip(SKIP_4) | instid1(VALU_DEP_1)
	v_mov_b32_e32 v141, v137
	ds_load_2addr_b64 v[136:139], v130 offset0:43 offset1:44
	v_pk_add_f32 v[58:59], v[58:59], v[140:141] neg_lo:[0,1] neg_hi:[0,1]
	s_wait_dscnt 0x0
	v_pk_mul_f32 v[140:141], v[136:137], v[128:129] op_sel:[0,1]
	v_pk_fma_f32 v[142:143], v[136:137], v[126:127], v[140:141] op_sel:[0,0,1] op_sel_hi:[1,1,0] neg_lo:[0,0,1] neg_hi:[0,0,1]
	v_pk_fma_f32 v[136:137], v[136:137], v[126:127], v[140:141] op_sel:[0,0,1] op_sel_hi:[1,0,0]
	s_delay_alu instid0(VALU_DEP_1) | instskip(SKIP_1) | instid1(VALU_DEP_1)
	v_mov_b32_e32 v143, v137
	v_pk_mul_f32 v[136:137], v[138:139], v[128:129] op_sel:[0,1]
	v_pk_fma_f32 v[140:141], v[138:139], v[126:127], v[136:137] op_sel:[0,0,1] op_sel_hi:[1,1,0] neg_lo:[0,0,1] neg_hi:[0,0,1]
	v_pk_fma_f32 v[136:137], v[138:139], v[126:127], v[136:137] op_sel:[0,0,1] op_sel_hi:[1,0,0]
	s_delay_alu instid0(VALU_DEP_1)
	v_mov_b32_e32 v141, v137
	ds_load_2addr_b64 v[136:139], v130 offset0:45 offset1:46
	v_pk_add_f32 v[12:13], v[12:13], v[142:143] neg_lo:[0,1] neg_hi:[0,1]
	v_pk_add_f32 v[54:55], v[54:55], v[140:141] neg_lo:[0,1] neg_hi:[0,1]
	s_wait_dscnt 0x0
	v_pk_mul_f32 v[140:141], v[136:137], v[128:129] op_sel:[0,1]
	s_delay_alu instid0(VALU_DEP_1) | instskip(SKIP_1) | instid1(VALU_DEP_1)
	v_pk_fma_f32 v[142:143], v[136:137], v[126:127], v[140:141] op_sel:[0,0,1] op_sel_hi:[1,1,0] neg_lo:[0,0,1] neg_hi:[0,0,1]
	v_pk_fma_f32 v[136:137], v[136:137], v[126:127], v[140:141] op_sel:[0,0,1] op_sel_hi:[1,0,0]
	v_mov_b32_e32 v143, v137
	v_pk_mul_f32 v[136:137], v[138:139], v[128:129] op_sel:[0,1]
	s_delay_alu instid0(VALU_DEP_1) | instskip(SKIP_1) | instid1(VALU_DEP_1)
	v_pk_fma_f32 v[140:141], v[138:139], v[126:127], v[136:137] op_sel:[0,0,1] op_sel_hi:[1,1,0] neg_lo:[0,0,1] neg_hi:[0,0,1]
	v_pk_fma_f32 v[136:137], v[138:139], v[126:127], v[136:137] op_sel:[0,0,1] op_sel_hi:[1,0,0]
	v_mov_b32_e32 v141, v137
	ds_load_2addr_b64 v[136:139], v130 offset0:47 offset1:48
	v_pk_add_f32 v[50:51], v[50:51], v[142:143] neg_lo:[0,1] neg_hi:[0,1]
	v_pk_add_f32 v[52:53], v[52:53], v[140:141] neg_lo:[0,1] neg_hi:[0,1]
	s_wait_dscnt 0x0
	v_dual_mul_f32 v140, v137, v129 :: v_dual_mul_f32 v142, v137, v126
	s_delay_alu instid0(VALU_DEP_1) | instskip(NEXT) | instid1(VALU_DEP_2)
	v_pk_fma_f32 v[140:141], v[136:137], v[94:95], v[140:141] op_sel_hi:[1,1,0] neg_lo:[0,0,1] neg_hi:[0,0,1]
	v_pk_fma_f32 v[136:137], v[136:137], v[94:95], v[142:143] op_sel:[1,0,0] op_sel_hi:[0,1,0]
	s_delay_alu instid0(VALU_DEP_1) | instskip(SKIP_1) | instid1(VALU_DEP_2)
	v_mov_b32_e32 v141, v137
	v_pk_mul_f32 v[136:137], v[138:139], v[128:129] op_sel:[0,1]
	v_pk_add_f32 v[10:11], v[10:11], v[140:141] neg_lo:[0,1] neg_hi:[0,1]
	s_delay_alu instid0(VALU_DEP_2) | instskip(SKIP_1) | instid1(VALU_DEP_1)
	v_pk_fma_f32 v[140:141], v[138:139], v[126:127], v[136:137] op_sel:[0,0,1] op_sel_hi:[1,1,0] neg_lo:[0,0,1] neg_hi:[0,0,1]
	v_pk_fma_f32 v[136:137], v[138:139], v[126:127], v[136:137] op_sel:[0,0,1] op_sel_hi:[1,0,0]
	v_mov_b32_e32 v141, v137
	ds_load_2addr_b64 v[136:139], v130 offset0:49 offset1:50
	v_pk_add_f32 v[46:47], v[46:47], v[140:141] neg_lo:[0,1] neg_hi:[0,1]
	s_wait_dscnt 0x0
	v_pk_mul_f32 v[140:141], v[136:137], v[128:129] op_sel:[0,1]
	s_delay_alu instid0(VALU_DEP_1) | instskip(SKIP_1) | instid1(VALU_DEP_1)
	v_pk_fma_f32 v[142:143], v[136:137], v[126:127], v[140:141] op_sel:[0,0,1] op_sel_hi:[1,1,0] neg_lo:[0,0,1] neg_hi:[0,0,1]
	v_pk_fma_f32 v[136:137], v[136:137], v[126:127], v[140:141] op_sel:[0,0,1] op_sel_hi:[1,0,0]
	v_mov_b32_e32 v143, v137
	v_pk_mul_f32 v[136:137], v[138:139], v[128:129] op_sel:[0,1]
	s_delay_alu instid0(VALU_DEP_2) | instskip(NEXT) | instid1(VALU_DEP_2)
	v_pk_add_f32 v[44:45], v[44:45], v[142:143] neg_lo:[0,1] neg_hi:[0,1]
	v_pk_fma_f32 v[140:141], v[138:139], v[126:127], v[136:137] op_sel:[0,0,1] op_sel_hi:[1,1,0] neg_lo:[0,0,1] neg_hi:[0,0,1]
	v_pk_fma_f32 v[136:137], v[138:139], v[126:127], v[136:137] op_sel:[0,0,1] op_sel_hi:[1,0,0]
	s_delay_alu instid0(VALU_DEP_1) | instskip(SKIP_4) | instid1(VALU_DEP_1)
	v_mov_b32_e32 v141, v137
	ds_load_2addr_b64 v[136:139], v130 offset0:51 offset1:52
	v_pk_add_f32 v[48:49], v[48:49], v[140:141] neg_lo:[0,1] neg_hi:[0,1]
	s_wait_dscnt 0x0
	v_pk_mul_f32 v[140:141], v[136:137], v[128:129] op_sel:[0,1]
	v_pk_fma_f32 v[142:143], v[136:137], v[126:127], v[140:141] op_sel:[0,0,1] op_sel_hi:[1,1,0] neg_lo:[0,0,1] neg_hi:[0,0,1]
	v_pk_fma_f32 v[136:137], v[136:137], v[126:127], v[140:141] op_sel:[0,0,1] op_sel_hi:[1,0,0]
	v_dual_mul_f32 v140, v139, v129 :: v_dual_mov_b32 v136, v139
	s_delay_alu instid0(VALU_DEP_2) | instskip(NEXT) | instid1(VALU_DEP_2)
	v_dual_mov_b32 v143, v137 :: v_dual_mov_b32 v137, v138
	v_pk_fma_f32 v[140:141], v[138:139], v[94:95], v[140:141] op_sel_hi:[1,1,0] neg_lo:[0,0,1] neg_hi:[0,0,1]
	v_mul_f32_e32 v138, v139, v126
	s_delay_alu instid0(VALU_DEP_3) | instskip(NEXT) | instid1(VALU_DEP_2)
	v_pk_add_f32 v[8:9], v[8:9], v[142:143] neg_lo:[0,1] neg_hi:[0,1]
	v_pk_fma_f32 v[136:137], v[136:137], v[94:95], v[138:139] op_sel_hi:[1,1,0]
	s_delay_alu instid0(VALU_DEP_1) | instskip(SKIP_4) | instid1(VALU_DEP_1)
	v_mov_b32_e32 v141, v137
	ds_load_2addr_b64 v[136:139], v130 offset0:53 offset1:54
	v_pk_add_f32 v[34:35], v[34:35], v[140:141] neg_lo:[0,1] neg_hi:[0,1]
	s_wait_dscnt 0x0
	v_pk_mul_f32 v[140:141], v[136:137], v[128:129] op_sel:[0,1]
	v_pk_fma_f32 v[142:143], v[136:137], v[126:127], v[140:141] op_sel:[0,0,1] op_sel_hi:[1,1,0] neg_lo:[0,0,1] neg_hi:[0,0,1]
	v_pk_fma_f32 v[136:137], v[136:137], v[126:127], v[140:141] op_sel:[0,0,1] op_sel_hi:[1,0,0]
	s_delay_alu instid0(VALU_DEP_1) | instskip(SKIP_1) | instid1(VALU_DEP_1)
	v_mov_b32_e32 v143, v137
	v_pk_mul_f32 v[136:137], v[138:139], v[128:129] op_sel:[0,1]
	v_pk_fma_f32 v[140:141], v[138:139], v[126:127], v[136:137] op_sel:[0,0,1] op_sel_hi:[1,1,0] neg_lo:[0,0,1] neg_hi:[0,0,1]
	v_pk_fma_f32 v[136:137], v[138:139], v[126:127], v[136:137] op_sel:[0,0,1] op_sel_hi:[1,0,0]
	s_delay_alu instid0(VALU_DEP_1)
	v_mov_b32_e32 v141, v137
	ds_load_2addr_b64 v[136:139], v130 offset0:55 offset1:56
	v_pk_add_f32 v[28:29], v[28:29], v[142:143] neg_lo:[0,1] neg_hi:[0,1]
	v_pk_add_f32 v[32:33], v[32:33], v[140:141] neg_lo:[0,1] neg_hi:[0,1]
	s_wait_dscnt 0x0
	v_pk_mul_f32 v[140:141], v[136:137], v[128:129] op_sel:[0,1]
	s_delay_alu instid0(VALU_DEP_1) | instskip(SKIP_1) | instid1(VALU_DEP_1)
	v_pk_fma_f32 v[142:143], v[136:137], v[126:127], v[140:141] op_sel:[0,0,1] op_sel_hi:[1,1,0] neg_lo:[0,0,1] neg_hi:[0,0,1]
	v_pk_fma_f32 v[136:137], v[136:137], v[126:127], v[140:141] op_sel:[0,0,1] op_sel_hi:[1,0,0]
	v_mov_b32_e32 v143, v137
	v_pk_mul_f32 v[136:137], v[138:139], v[128:129] op_sel:[0,1]
	s_delay_alu instid0(VALU_DEP_1) | instskip(SKIP_1) | instid1(VALU_DEP_1)
	v_pk_fma_f32 v[140:141], v[138:139], v[126:127], v[136:137] op_sel:[0,0,1] op_sel_hi:[1,1,0] neg_lo:[0,0,1] neg_hi:[0,0,1]
	v_pk_fma_f32 v[136:137], v[138:139], v[126:127], v[136:137] op_sel:[0,0,1] op_sel_hi:[1,0,0]
	v_mov_b32_e32 v141, v137
	ds_load_2addr_b64 v[136:139], v130 offset0:57 offset1:58
	v_pk_add_f32 v[6:7], v[6:7], v[142:143] neg_lo:[0,1] neg_hi:[0,1]
	v_pk_add_f32 v[26:27], v[26:27], v[140:141] neg_lo:[0,1] neg_hi:[0,1]
	s_wait_dscnt 0x0
	v_dual_mul_f32 v140, v137, v129 :: v_dual_mul_f32 v142, v137, v126
	s_delay_alu instid0(VALU_DEP_1) | instskip(NEXT) | instid1(VALU_DEP_2)
	v_pk_fma_f32 v[140:141], v[136:137], v[94:95], v[140:141] op_sel_hi:[1,1,0] neg_lo:[0,0,1] neg_hi:[0,0,1]
	v_pk_fma_f32 v[136:137], v[136:137], v[94:95], v[142:143] op_sel:[1,0,0] op_sel_hi:[0,1,0]
	s_delay_alu instid0(VALU_DEP_1) | instskip(SKIP_1) | instid1(VALU_DEP_2)
	v_mov_b32_e32 v141, v137
	v_pk_mul_f32 v[136:137], v[138:139], v[128:129] op_sel:[0,1]
	v_pk_add_f32 v[16:17], v[16:17], v[140:141] neg_lo:[0,1] neg_hi:[0,1]
	s_delay_alu instid0(VALU_DEP_2) | instskip(SKIP_1) | instid1(VALU_DEP_1)
	v_pk_fma_f32 v[140:141], v[138:139], v[126:127], v[136:137] op_sel:[0,0,1] op_sel_hi:[1,1,0] neg_lo:[0,0,1] neg_hi:[0,0,1]
	v_pk_fma_f32 v[136:137], v[138:139], v[126:127], v[136:137] op_sel:[0,0,1] op_sel_hi:[1,0,0]
	v_mov_b32_e32 v141, v137
	ds_load_b64 v[136:137], v130 offset:472
	v_pk_add_f32 v[14:15], v[14:15], v[140:141] neg_lo:[0,1] neg_hi:[0,1]
	s_wait_dscnt 0x0
	v_pk_mul_f32 v[128:129], v[136:137], v[128:129] op_sel:[0,1]
	s_delay_alu instid0(VALU_DEP_1) | instskip(SKIP_1) | instid1(VALU_DEP_1)
	v_pk_fma_f32 v[138:139], v[136:137], v[126:127], v[128:129] op_sel:[0,0,1] op_sel_hi:[1,1,0] neg_lo:[0,0,1] neg_hi:[0,0,1]
	v_pk_fma_f32 v[126:127], v[136:137], v[126:127], v[128:129] op_sel:[0,0,1] op_sel_hi:[1,0,0]
	v_mov_b32_e32 v139, v127
	s_delay_alu instid0(VALU_DEP_1)
	v_pk_add_f32 v[124:125], v[124:125], v[138:139] neg_lo:[0,1] neg_hi:[0,1]
.LBB118_398:
	s_or_b32 exec_lo, exec_lo, s0
	v_lshl_add_u32 v126, v134, 3, v130
	s_barrier_signal -1
	s_barrier_wait -1
	ds_store_b64 v126, v[36:37]
	s_wait_dscnt 0x0
	s_barrier_signal -1
	s_barrier_wait -1
	ds_load_b64 v[128:129], v130 offset:152
	v_mov_b32_e32 v126, 19
	s_cmp_lt_i32 s18, 21
	s_cbranch_scc1 .LBB118_401
; %bb.399:
	v_add3_u32 v127, v131, 0, 0xa0
	v_mov_b32_e32 v126, 19
	s_mov_b32 s0, 20
.LBB118_400:                            ; =>This Inner Loop Header: Depth=1
	ds_load_b64 v[136:137], v127
	s_wait_dscnt 0x1
	v_cmp_gt_f32_e32 vcc_lo, 0, v128
	v_cndmask_b32_e64 v138, v128, -v128, vcc_lo
	v_cmp_gt_f32_e32 vcc_lo, 0, v129
	v_cndmask_b32_e64 v140, v129, -v129, vcc_lo
	s_wait_dscnt 0x0
	v_cmp_gt_f32_e32 vcc_lo, 0, v136
	v_cndmask_b32_e64 v139, v136, -v136, vcc_lo
	v_cmp_gt_f32_e32 vcc_lo, 0, v137
	v_cndmask_b32_e64 v141, v137, -v137, vcc_lo
	s_delay_alu instid0(VALU_DEP_1) | instskip(NEXT) | instid1(VALU_DEP_1)
	v_pk_add_f32 v[138:139], v[138:139], v[140:141]
	v_cmp_lt_f32_e32 vcc_lo, v138, v139
	v_dual_add_nc_u32 v127, 8, v127 :: v_dual_cndmask_b32 v129, v129, v137, vcc_lo
	v_cndmask_b32_e32 v128, v128, v136, vcc_lo
	v_cndmask_b32_e64 v126, v126, s0, vcc_lo
	s_add_co_i32 s0, s0, 1
	s_delay_alu instid0(SALU_CYCLE_1)
	s_cmp_lg_u32 s18, s0
	s_cbranch_scc1 .LBB118_400
.LBB118_401:
	s_wait_dscnt 0x0
	v_cmp_eq_f32_e32 vcc_lo, 0, v128
	v_cmp_eq_f32_e64 s0, 0, v129
	s_and_b32 s0, vcc_lo, s0
	s_delay_alu instid0(SALU_CYCLE_1) | instskip(NEXT) | instid1(SALU_CYCLE_1)
	s_and_saveexec_b32 s1, s0
	s_xor_b32 s0, exec_lo, s1
; %bb.402:
	v_cmp_ne_u32_e32 vcc_lo, 0, v132
	v_cndmask_b32_e32 v132, 20, v132, vcc_lo
; %bb.403:
	s_and_not1_saveexec_b32 s0, s0
	s_cbranch_execz .LBB118_409
; %bb.404:
	v_cmp_ngt_f32_e64 s1, |v128|, |v129|
	s_and_saveexec_b32 s12, s1
	s_delay_alu instid0(SALU_CYCLE_1)
	s_xor_b32 s1, exec_lo, s12
	s_cbranch_execz .LBB118_406
; %bb.405:
	v_div_scale_f32 v127, null, v129, v129, v128
	v_div_scale_f32 v137, vcc_lo, v128, v129, v128
	s_delay_alu instid0(VALU_DEP_2) | instskip(SKIP_1) | instid1(TRANS32_DEP_1)
	v_rcp_f32_e32 v135, v127
	v_nop
	v_fma_f32 v136, -v127, v135, 1.0
	s_delay_alu instid0(VALU_DEP_1) | instskip(NEXT) | instid1(VALU_DEP_1)
	v_fmac_f32_e32 v135, v136, v135
	v_mul_f32_e32 v136, v137, v135
	s_delay_alu instid0(VALU_DEP_1) | instskip(NEXT) | instid1(VALU_DEP_1)
	v_fma_f32 v138, -v127, v136, v137
	v_fmac_f32_e32 v136, v138, v135
	s_delay_alu instid0(VALU_DEP_1) | instskip(NEXT) | instid1(VALU_DEP_1)
	v_fma_f32 v127, -v127, v136, v137
	v_div_fmas_f32 v127, v127, v135, v136
	s_delay_alu instid0(VALU_DEP_1) | instskip(NEXT) | instid1(VALU_DEP_1)
	v_div_fixup_f32 v127, v127, v129, v128
	v_fmac_f32_e32 v129, v128, v127
	s_delay_alu instid0(VALU_DEP_1) | instskip(SKIP_1) | instid1(VALU_DEP_2)
	v_div_scale_f32 v128, null, v129, v129, 1.0
	v_div_scale_f32 v137, vcc_lo, 1.0, v129, 1.0
	v_rcp_f32_e32 v135, v128
	v_nop
	s_delay_alu instid0(TRANS32_DEP_1) | instskip(NEXT) | instid1(VALU_DEP_1)
	v_fma_f32 v136, -v128, v135, 1.0
	v_fmac_f32_e32 v135, v136, v135
	s_delay_alu instid0(VALU_DEP_1) | instskip(NEXT) | instid1(VALU_DEP_1)
	v_mul_f32_e32 v136, v137, v135
	v_fma_f32 v138, -v128, v136, v137
	s_delay_alu instid0(VALU_DEP_1) | instskip(NEXT) | instid1(VALU_DEP_1)
	v_fmac_f32_e32 v136, v138, v135
	v_fma_f32 v128, -v128, v136, v137
	s_delay_alu instid0(VALU_DEP_1) | instskip(NEXT) | instid1(VALU_DEP_1)
	v_div_fmas_f32 v128, v128, v135, v136
	v_div_fixup_f32 v129, v128, v129, 1.0
	s_delay_alu instid0(VALU_DEP_1)
	v_mul_f32_e32 v128, v127, v129
	v_xor_b32_e32 v129, 0x80000000, v129
.LBB118_406:
	s_and_not1_saveexec_b32 s1, s1
	s_cbranch_execz .LBB118_408
; %bb.407:
	s_delay_alu instid0(VALU_DEP_1) | instskip(SKIP_1) | instid1(VALU_DEP_2)
	v_div_scale_f32 v127, null, v128, v128, v129
	v_div_scale_f32 v137, vcc_lo, v129, v128, v129
	v_rcp_f32_e32 v135, v127
	v_nop
	s_delay_alu instid0(TRANS32_DEP_1) | instskip(NEXT) | instid1(VALU_DEP_1)
	v_fma_f32 v136, -v127, v135, 1.0
	v_fmac_f32_e32 v135, v136, v135
	s_delay_alu instid0(VALU_DEP_1) | instskip(NEXT) | instid1(VALU_DEP_1)
	v_mul_f32_e32 v136, v137, v135
	v_fma_f32 v138, -v127, v136, v137
	s_delay_alu instid0(VALU_DEP_1) | instskip(NEXT) | instid1(VALU_DEP_1)
	v_fmac_f32_e32 v136, v138, v135
	v_fma_f32 v127, -v127, v136, v137
	s_delay_alu instid0(VALU_DEP_1) | instskip(NEXT) | instid1(VALU_DEP_1)
	v_div_fmas_f32 v127, v127, v135, v136
	v_div_fixup_f32 v127, v127, v128, v129
	s_delay_alu instid0(VALU_DEP_1) | instskip(NEXT) | instid1(VALU_DEP_1)
	v_fmac_f32_e32 v128, v129, v127
	v_div_scale_f32 v129, null, v128, v128, 1.0
	s_delay_alu instid0(VALU_DEP_1) | instskip(SKIP_1) | instid1(TRANS32_DEP_1)
	v_rcp_f32_e32 v135, v129
	v_nop
	v_fma_f32 v136, -v129, v135, 1.0
	s_delay_alu instid0(VALU_DEP_1) | instskip(SKIP_1) | instid1(VALU_DEP_1)
	v_fmac_f32_e32 v135, v136, v135
	v_div_scale_f32 v136, vcc_lo, 1.0, v128, 1.0
	v_mul_f32_e32 v137, v136, v135
	s_delay_alu instid0(VALU_DEP_1) | instskip(NEXT) | instid1(VALU_DEP_1)
	v_fma_f32 v138, -v129, v137, v136
	v_fmac_f32_e32 v137, v138, v135
	s_delay_alu instid0(VALU_DEP_1) | instskip(NEXT) | instid1(VALU_DEP_1)
	v_fma_f32 v129, -v129, v137, v136
	v_div_fmas_f32 v129, v129, v135, v137
	s_delay_alu instid0(VALU_DEP_1) | instskip(NEXT) | instid1(VALU_DEP_1)
	v_div_fixup_f32 v128, v129, v128, 1.0
	v_mul_f32_e64 v129, v127, -v128
.LBB118_408:
	s_or_b32 exec_lo, exec_lo, s1
.LBB118_409:
	s_delay_alu instid0(SALU_CYCLE_1) | instskip(NEXT) | instid1(SALU_CYCLE_1)
	s_or_b32 exec_lo, exec_lo, s0
	s_mov_b32 s0, exec_lo
	v_cmpx_ne_u32_e64 v134, v126
	s_xor_b32 s0, exec_lo, s0
	s_cbranch_execz .LBB118_415
; %bb.410:
	s_mov_b32 s1, exec_lo
	v_cmpx_eq_u32_e32 19, v134
	s_cbranch_execz .LBB118_414
; %bb.411:
	v_cmp_ne_u32_e32 vcc_lo, 19, v126
	s_xor_b32 s12, s16, -1
	s_delay_alu instid0(SALU_CYCLE_1) | instskip(NEXT) | instid1(SALU_CYCLE_1)
	s_and_b32 s13, s12, vcc_lo
	s_and_saveexec_b32 s12, s13
	s_cbranch_execz .LBB118_413
; %bb.412:
	v_ashrrev_i32_e32 v127, 31, v126
	s_delay_alu instid0(VALU_DEP_1)
	v_lshl_add_u64 v[134:135], v[126:127], 2, v[4:5]
	s_clause 0x1
	global_load_b32 v127, v[134:135], off
	global_load_b32 v133, v[4:5], off offset:76
	s_wait_loadcnt 0x1
	global_store_b32 v[4:5], v127, off offset:76
	s_wait_loadcnt 0x0
	global_store_b32 v[134:135], v133, off
.LBB118_413:
	s_wait_xcnt 0x0
	s_or_b32 exec_lo, exec_lo, s12
	v_dual_mov_b32 v134, v126 :: v_dual_mov_b32 v133, v126
.LBB118_414:
	s_or_b32 exec_lo, exec_lo, s1
.LBB118_415:
	s_and_not1_saveexec_b32 s0, s0
	s_cbranch_execz .LBB118_417
; %bb.416:
	v_dual_mov_b32 v126, v90 :: v_dual_mov_b32 v127, v91
	v_dual_mov_b32 v134, v86 :: v_dual_mov_b32 v135, v87
	v_dual_mov_b32 v136, v88 :: v_dual_mov_b32 v137, v89
	v_dual_mov_b32 v138, v30 :: v_dual_mov_b32 v139, v31
	v_dual_mov_b32 v140, v84 :: v_dual_mov_b32 v141, v85
	v_dual_mov_b32 v142, v80 :: v_dual_mov_b32 v143, v81
	v_dual_mov_b32 v144, v82 :: v_dual_mov_b32 v145, v83
	v_dual_mov_b32 v146, v24 :: v_dual_mov_b32 v147, v25
	ds_store_2addr_b64 v130, v[126:127], v[134:135] offset0:20 offset1:21
	ds_store_2addr_b64 v130, v[136:137], v[138:139] offset0:22 offset1:23
	ds_store_2addr_b64 v130, v[140:141], v[142:143] offset0:24 offset1:25
	ds_store_2addr_b64 v130, v[144:145], v[146:147] offset0:26 offset1:27
	v_dual_mov_b32 v126, v78 :: v_dual_mov_b32 v127, v79
	v_dual_mov_b32 v134, v74 :: v_dual_mov_b32 v135, v75
	;; [unrolled: 1-line block ×12, first 2 shown]
	ds_store_2addr_b64 v130, v[126:127], v[134:135] offset0:28 offset1:29
	ds_store_2addr_b64 v130, v[136:137], v[138:139] offset0:30 offset1:31
	;; [unrolled: 1-line block ×6, first 2 shown]
	v_dual_mov_b32 v126, v60 :: v_dual_mov_b32 v127, v61
	v_dual_mov_b32 v134, v56 :: v_dual_mov_b32 v135, v57
	;; [unrolled: 1-line block ×12, first 2 shown]
	ds_store_2addr_b64 v130, v[126:127], v[134:135] offset0:40 offset1:41
	ds_store_2addr_b64 v130, v[136:137], v[138:139] offset0:42 offset1:43
	ds_store_2addr_b64 v130, v[140:141], v[142:143] offset0:44 offset1:45
	ds_store_2addr_b64 v130, v[144:145], v[146:147] offset0:46 offset1:47
	ds_store_2addr_b64 v130, v[148:149], v[150:151] offset0:48 offset1:49
	ds_store_2addr_b64 v130, v[152:153], v[154:155] offset0:50 offset1:51
	v_dual_mov_b32 v126, v34 :: v_dual_mov_b32 v127, v35
	v_dual_mov_b32 v136, v28 :: v_dual_mov_b32 v137, v29
	;; [unrolled: 1-line block ×7, first 2 shown]
	v_mov_b32_e32 v147, v15
	ds_store_2addr_b64 v130, v[126:127], v[136:137] offset0:52 offset1:53
	ds_store_2addr_b64 v130, v[138:139], v[140:141] offset0:54 offset1:55
	;; [unrolled: 1-line block ×4, first 2 shown]
.LBB118_417:
	s_or_b32 exec_lo, exec_lo, s0
	s_delay_alu instid0(SALU_CYCLE_1)
	s_mov_b32 s0, exec_lo
	s_wait_storecnt_dscnt 0x0
	s_barrier_signal -1
	s_barrier_wait -1
	v_cmpx_lt_i32_e32 19, v134
	s_cbranch_execz .LBB118_419
; %bb.418:
	v_pk_mul_f32 v[136:137], v[128:129], v[36:37] op_sel:[1,1] op_sel_hi:[0,1]
	s_delay_alu instid0(VALU_DEP_1)
	v_pk_fma_f32 v[126:127], v[128:129], v[36:37], v[136:137] op_sel_hi:[1,0,1] neg_lo:[0,0,1] neg_hi:[0,0,1]
	v_pk_fma_f32 v[128:129], v[128:129], v[36:37], v[136:137] op_sel_hi:[1,0,1]
	ds_load_2addr_b64 v[136:139], v130 offset0:20 offset1:21
	v_dual_mov_b32 v36, v126 :: v_dual_mov_b32 v37, v129
	s_wait_dscnt 0x0
	v_pk_mul_f32 v[140:141], v[136:137], v[128:129] op_sel:[0,1]
	s_delay_alu instid0(VALU_DEP_1) | instskip(SKIP_1) | instid1(VALU_DEP_1)
	v_pk_fma_f32 v[142:143], v[136:137], v[126:127], v[140:141] op_sel:[0,0,1] op_sel_hi:[1,1,0] neg_lo:[0,0,1] neg_hi:[0,0,1]
	v_pk_fma_f32 v[136:137], v[136:137], v[126:127], v[140:141] op_sel:[0,0,1] op_sel_hi:[1,0,0]
	v_mov_b32_e32 v143, v137
	v_pk_mul_f32 v[136:137], v[138:139], v[128:129] op_sel:[0,1]
	s_delay_alu instid0(VALU_DEP_1) | instskip(SKIP_1) | instid1(VALU_DEP_1)
	v_pk_fma_f32 v[140:141], v[138:139], v[126:127], v[136:137] op_sel:[0,0,1] op_sel_hi:[1,1,0] neg_lo:[0,0,1] neg_hi:[0,0,1]
	v_pk_fma_f32 v[136:137], v[138:139], v[126:127], v[136:137] op_sel:[0,0,1] op_sel_hi:[1,0,0]
	v_mov_b32_e32 v141, v137
	ds_load_2addr_b64 v[136:139], v130 offset0:22 offset1:23
	v_pk_add_f32 v[90:91], v[90:91], v[142:143] neg_lo:[0,1] neg_hi:[0,1]
	v_pk_add_f32 v[86:87], v[86:87], v[140:141] neg_lo:[0,1] neg_hi:[0,1]
	s_wait_dscnt 0x0
	v_pk_mul_f32 v[140:141], v[136:137], v[128:129] op_sel:[0,1]
	s_delay_alu instid0(VALU_DEP_1) | instskip(SKIP_2) | instid1(VALU_DEP_2)
	v_pk_fma_f32 v[142:143], v[136:137], v[126:127], v[140:141] op_sel:[0,0,1] op_sel_hi:[1,1,0] neg_lo:[0,0,1] neg_hi:[0,0,1]
	v_pk_fma_f32 v[136:137], v[136:137], v[126:127], v[140:141] op_sel:[0,0,1] op_sel_hi:[1,0,0]
	v_dual_mul_f32 v140, v139, v129 :: v_dual_mov_b32 v136, v139
	v_dual_mov_b32 v143, v137 :: v_dual_mov_b32 v137, v138
	s_delay_alu instid0(VALU_DEP_2) | instskip(SKIP_1) | instid1(VALU_DEP_3)
	v_pk_fma_f32 v[140:141], v[138:139], v[36:37], v[140:141] op_sel_hi:[1,1,0] neg_lo:[0,0,1] neg_hi:[0,0,1]
	v_mul_f32_e32 v138, v139, v126
	v_pk_add_f32 v[88:89], v[88:89], v[142:143] neg_lo:[0,1] neg_hi:[0,1]
	s_delay_alu instid0(VALU_DEP_2) | instskip(NEXT) | instid1(VALU_DEP_1)
	v_pk_fma_f32 v[136:137], v[136:137], v[36:37], v[138:139] op_sel_hi:[1,1,0]
	v_mov_b32_e32 v141, v137
	ds_load_2addr_b64 v[136:139], v130 offset0:24 offset1:25
	v_pk_add_f32 v[30:31], v[30:31], v[140:141] neg_lo:[0,1] neg_hi:[0,1]
	s_wait_dscnt 0x0
	v_pk_mul_f32 v[140:141], v[136:137], v[128:129] op_sel:[0,1]
	s_delay_alu instid0(VALU_DEP_1) | instskip(SKIP_1) | instid1(VALU_DEP_1)
	v_pk_fma_f32 v[142:143], v[136:137], v[126:127], v[140:141] op_sel:[0,0,1] op_sel_hi:[1,1,0] neg_lo:[0,0,1] neg_hi:[0,0,1]
	v_pk_fma_f32 v[136:137], v[136:137], v[126:127], v[140:141] op_sel:[0,0,1] op_sel_hi:[1,0,0]
	v_mov_b32_e32 v143, v137
	v_pk_mul_f32 v[136:137], v[138:139], v[128:129] op_sel:[0,1]
	s_delay_alu instid0(VALU_DEP_1) | instskip(SKIP_1) | instid1(VALU_DEP_1)
	v_pk_fma_f32 v[140:141], v[138:139], v[126:127], v[136:137] op_sel:[0,0,1] op_sel_hi:[1,1,0] neg_lo:[0,0,1] neg_hi:[0,0,1]
	v_pk_fma_f32 v[136:137], v[138:139], v[126:127], v[136:137] op_sel:[0,0,1] op_sel_hi:[1,0,0]
	v_mov_b32_e32 v141, v137
	ds_load_2addr_b64 v[136:139], v130 offset0:26 offset1:27
	v_pk_add_f32 v[84:85], v[84:85], v[142:143] neg_lo:[0,1] neg_hi:[0,1]
	v_pk_add_f32 v[80:81], v[80:81], v[140:141] neg_lo:[0,1] neg_hi:[0,1]
	s_wait_dscnt 0x0
	v_pk_mul_f32 v[140:141], v[136:137], v[128:129] op_sel:[0,1]
	s_delay_alu instid0(VALU_DEP_1) | instskip(SKIP_1) | instid1(VALU_DEP_1)
	v_pk_fma_f32 v[142:143], v[136:137], v[126:127], v[140:141] op_sel:[0,0,1] op_sel_hi:[1,1,0] neg_lo:[0,0,1] neg_hi:[0,0,1]
	v_pk_fma_f32 v[136:137], v[136:137], v[126:127], v[140:141] op_sel:[0,0,1] op_sel_hi:[1,0,0]
	v_mov_b32_e32 v143, v137
	v_pk_mul_f32 v[136:137], v[138:139], v[128:129] op_sel:[0,1]
	s_delay_alu instid0(VALU_DEP_1) | instskip(SKIP_1) | instid1(VALU_DEP_1)
	v_pk_fma_f32 v[140:141], v[138:139], v[126:127], v[136:137] op_sel:[0,0,1] op_sel_hi:[1,1,0] neg_lo:[0,0,1] neg_hi:[0,0,1]
	v_pk_fma_f32 v[136:137], v[138:139], v[126:127], v[136:137] op_sel:[0,0,1] op_sel_hi:[1,0,0]
	v_mov_b32_e32 v141, v137
	ds_load_2addr_b64 v[136:139], v130 offset0:28 offset1:29
	v_pk_add_f32 v[82:83], v[82:83], v[142:143] neg_lo:[0,1] neg_hi:[0,1]
	v_pk_add_f32 v[24:25], v[24:25], v[140:141] neg_lo:[0,1] neg_hi:[0,1]
	s_wait_dscnt 0x0
	v_dual_mul_f32 v140, v137, v129 :: v_dual_mul_f32 v142, v137, v126
	s_delay_alu instid0(VALU_DEP_1) | instskip(NEXT) | instid1(VALU_DEP_2)
	v_pk_fma_f32 v[140:141], v[136:137], v[36:37], v[140:141] op_sel_hi:[1,1,0] neg_lo:[0,0,1] neg_hi:[0,0,1]
	v_pk_fma_f32 v[136:137], v[136:137], v[36:37], v[142:143] op_sel:[1,0,0] op_sel_hi:[0,1,0]
	s_delay_alu instid0(VALU_DEP_1) | instskip(SKIP_1) | instid1(VALU_DEP_2)
	v_mov_b32_e32 v141, v137
	v_pk_mul_f32 v[136:137], v[138:139], v[128:129] op_sel:[0,1]
	v_pk_add_f32 v[78:79], v[78:79], v[140:141] neg_lo:[0,1] neg_hi:[0,1]
	s_delay_alu instid0(VALU_DEP_2) | instskip(SKIP_1) | instid1(VALU_DEP_1)
	v_pk_fma_f32 v[140:141], v[138:139], v[126:127], v[136:137] op_sel:[0,0,1] op_sel_hi:[1,1,0] neg_lo:[0,0,1] neg_hi:[0,0,1]
	v_pk_fma_f32 v[136:137], v[138:139], v[126:127], v[136:137] op_sel:[0,0,1] op_sel_hi:[1,0,0]
	v_mov_b32_e32 v141, v137
	ds_load_2addr_b64 v[136:139], v130 offset0:30 offset1:31
	v_pk_add_f32 v[74:75], v[74:75], v[140:141] neg_lo:[0,1] neg_hi:[0,1]
	s_wait_dscnt 0x0
	v_pk_mul_f32 v[140:141], v[136:137], v[128:129] op_sel:[0,1]
	s_delay_alu instid0(VALU_DEP_1) | instskip(SKIP_1) | instid1(VALU_DEP_1)
	v_pk_fma_f32 v[142:143], v[136:137], v[126:127], v[140:141] op_sel:[0,0,1] op_sel_hi:[1,1,0] neg_lo:[0,0,1] neg_hi:[0,0,1]
	v_pk_fma_f32 v[136:137], v[136:137], v[126:127], v[140:141] op_sel:[0,0,1] op_sel_hi:[1,0,0]
	v_mov_b32_e32 v143, v137
	v_pk_mul_f32 v[136:137], v[138:139], v[128:129] op_sel:[0,1]
	s_delay_alu instid0(VALU_DEP_2) | instskip(NEXT) | instid1(VALU_DEP_2)
	v_pk_add_f32 v[76:77], v[76:77], v[142:143] neg_lo:[0,1] neg_hi:[0,1]
	v_pk_fma_f32 v[140:141], v[138:139], v[126:127], v[136:137] op_sel:[0,0,1] op_sel_hi:[1,1,0] neg_lo:[0,0,1] neg_hi:[0,0,1]
	v_pk_fma_f32 v[136:137], v[138:139], v[126:127], v[136:137] op_sel:[0,0,1] op_sel_hi:[1,0,0]
	s_delay_alu instid0(VALU_DEP_1) | instskip(SKIP_4) | instid1(VALU_DEP_1)
	v_mov_b32_e32 v141, v137
	ds_load_2addr_b64 v[136:139], v130 offset0:32 offset1:33
	v_pk_add_f32 v[22:23], v[22:23], v[140:141] neg_lo:[0,1] neg_hi:[0,1]
	s_wait_dscnt 0x0
	v_pk_mul_f32 v[140:141], v[136:137], v[128:129] op_sel:[0,1]
	v_pk_fma_f32 v[142:143], v[136:137], v[126:127], v[140:141] op_sel:[0,0,1] op_sel_hi:[1,1,0] neg_lo:[0,0,1] neg_hi:[0,0,1]
	v_pk_fma_f32 v[136:137], v[136:137], v[126:127], v[140:141] op_sel:[0,0,1] op_sel_hi:[1,0,0]
	v_dual_mul_f32 v140, v139, v129 :: v_dual_mov_b32 v136, v139
	s_delay_alu instid0(VALU_DEP_2) | instskip(NEXT) | instid1(VALU_DEP_2)
	v_dual_mov_b32 v143, v137 :: v_dual_mov_b32 v137, v138
	v_pk_fma_f32 v[140:141], v[138:139], v[36:37], v[140:141] op_sel_hi:[1,1,0] neg_lo:[0,0,1] neg_hi:[0,0,1]
	v_mul_f32_e32 v138, v139, v126
	s_delay_alu instid0(VALU_DEP_3) | instskip(NEXT) | instid1(VALU_DEP_2)
	v_pk_add_f32 v[72:73], v[72:73], v[142:143] neg_lo:[0,1] neg_hi:[0,1]
	v_pk_fma_f32 v[136:137], v[136:137], v[36:37], v[138:139] op_sel_hi:[1,1,0]
	s_delay_alu instid0(VALU_DEP_1) | instskip(SKIP_4) | instid1(VALU_DEP_1)
	v_mov_b32_e32 v141, v137
	ds_load_2addr_b64 v[136:139], v130 offset0:34 offset1:35
	v_pk_add_f32 v[68:69], v[68:69], v[140:141] neg_lo:[0,1] neg_hi:[0,1]
	s_wait_dscnt 0x0
	v_pk_mul_f32 v[140:141], v[136:137], v[128:129] op_sel:[0,1]
	v_pk_fma_f32 v[142:143], v[136:137], v[126:127], v[140:141] op_sel:[0,0,1] op_sel_hi:[1,1,0] neg_lo:[0,0,1] neg_hi:[0,0,1]
	v_pk_fma_f32 v[136:137], v[136:137], v[126:127], v[140:141] op_sel:[0,0,1] op_sel_hi:[1,0,0]
	s_delay_alu instid0(VALU_DEP_1) | instskip(SKIP_1) | instid1(VALU_DEP_1)
	v_mov_b32_e32 v143, v137
	v_pk_mul_f32 v[136:137], v[138:139], v[128:129] op_sel:[0,1]
	v_pk_fma_f32 v[140:141], v[138:139], v[126:127], v[136:137] op_sel:[0,0,1] op_sel_hi:[1,1,0] neg_lo:[0,0,1] neg_hi:[0,0,1]
	v_pk_fma_f32 v[136:137], v[138:139], v[126:127], v[136:137] op_sel:[0,0,1] op_sel_hi:[1,0,0]
	s_delay_alu instid0(VALU_DEP_1)
	v_mov_b32_e32 v141, v137
	ds_load_2addr_b64 v[136:139], v130 offset0:36 offset1:37
	v_pk_add_f32 v[70:71], v[70:71], v[142:143] neg_lo:[0,1] neg_hi:[0,1]
	v_pk_add_f32 v[20:21], v[20:21], v[140:141] neg_lo:[0,1] neg_hi:[0,1]
	s_wait_dscnt 0x0
	v_pk_mul_f32 v[140:141], v[136:137], v[128:129] op_sel:[0,1]
	s_delay_alu instid0(VALU_DEP_1) | instskip(SKIP_1) | instid1(VALU_DEP_1)
	v_pk_fma_f32 v[142:143], v[136:137], v[126:127], v[140:141] op_sel:[0,0,1] op_sel_hi:[1,1,0] neg_lo:[0,0,1] neg_hi:[0,0,1]
	v_pk_fma_f32 v[136:137], v[136:137], v[126:127], v[140:141] op_sel:[0,0,1] op_sel_hi:[1,0,0]
	v_mov_b32_e32 v143, v137
	v_pk_mul_f32 v[136:137], v[138:139], v[128:129] op_sel:[0,1]
	s_delay_alu instid0(VALU_DEP_1) | instskip(SKIP_1) | instid1(VALU_DEP_1)
	v_pk_fma_f32 v[140:141], v[138:139], v[126:127], v[136:137] op_sel:[0,0,1] op_sel_hi:[1,1,0] neg_lo:[0,0,1] neg_hi:[0,0,1]
	v_pk_fma_f32 v[136:137], v[138:139], v[126:127], v[136:137] op_sel:[0,0,1] op_sel_hi:[1,0,0]
	v_mov_b32_e32 v141, v137
	ds_load_2addr_b64 v[136:139], v130 offset0:38 offset1:39
	v_pk_add_f32 v[66:67], v[66:67], v[142:143] neg_lo:[0,1] neg_hi:[0,1]
	v_pk_add_f32 v[62:63], v[62:63], v[140:141] neg_lo:[0,1] neg_hi:[0,1]
	s_wait_dscnt 0x0
	v_dual_mul_f32 v140, v137, v129 :: v_dual_mul_f32 v142, v137, v126
	s_delay_alu instid0(VALU_DEP_1) | instskip(NEXT) | instid1(VALU_DEP_2)
	v_pk_fma_f32 v[140:141], v[136:137], v[36:37], v[140:141] op_sel_hi:[1,1,0] neg_lo:[0,0,1] neg_hi:[0,0,1]
	v_pk_fma_f32 v[136:137], v[136:137], v[36:37], v[142:143] op_sel:[1,0,0] op_sel_hi:[0,1,0]
	s_delay_alu instid0(VALU_DEP_1) | instskip(SKIP_1) | instid1(VALU_DEP_2)
	v_mov_b32_e32 v141, v137
	v_pk_mul_f32 v[136:137], v[138:139], v[128:129] op_sel:[0,1]
	v_pk_add_f32 v[64:65], v[64:65], v[140:141] neg_lo:[0,1] neg_hi:[0,1]
	s_delay_alu instid0(VALU_DEP_2) | instskip(SKIP_1) | instid1(VALU_DEP_1)
	v_pk_fma_f32 v[140:141], v[138:139], v[126:127], v[136:137] op_sel:[0,0,1] op_sel_hi:[1,1,0] neg_lo:[0,0,1] neg_hi:[0,0,1]
	v_pk_fma_f32 v[136:137], v[138:139], v[126:127], v[136:137] op_sel:[0,0,1] op_sel_hi:[1,0,0]
	v_mov_b32_e32 v141, v137
	ds_load_2addr_b64 v[136:139], v130 offset0:40 offset1:41
	v_pk_add_f32 v[18:19], v[18:19], v[140:141] neg_lo:[0,1] neg_hi:[0,1]
	s_wait_dscnt 0x0
	v_pk_mul_f32 v[140:141], v[136:137], v[128:129] op_sel:[0,1]
	s_delay_alu instid0(VALU_DEP_1) | instskip(SKIP_1) | instid1(VALU_DEP_1)
	v_pk_fma_f32 v[142:143], v[136:137], v[126:127], v[140:141] op_sel:[0,0,1] op_sel_hi:[1,1,0] neg_lo:[0,0,1] neg_hi:[0,0,1]
	v_pk_fma_f32 v[136:137], v[136:137], v[126:127], v[140:141] op_sel:[0,0,1] op_sel_hi:[1,0,0]
	v_mov_b32_e32 v143, v137
	v_pk_mul_f32 v[136:137], v[138:139], v[128:129] op_sel:[0,1]
	s_delay_alu instid0(VALU_DEP_2) | instskip(NEXT) | instid1(VALU_DEP_2)
	v_pk_add_f32 v[60:61], v[60:61], v[142:143] neg_lo:[0,1] neg_hi:[0,1]
	v_pk_fma_f32 v[140:141], v[138:139], v[126:127], v[136:137] op_sel:[0,0,1] op_sel_hi:[1,1,0] neg_lo:[0,0,1] neg_hi:[0,0,1]
	v_pk_fma_f32 v[136:137], v[138:139], v[126:127], v[136:137] op_sel:[0,0,1] op_sel_hi:[1,0,0]
	s_delay_alu instid0(VALU_DEP_1) | instskip(SKIP_4) | instid1(VALU_DEP_1)
	v_mov_b32_e32 v141, v137
	ds_load_2addr_b64 v[136:139], v130 offset0:42 offset1:43
	v_pk_add_f32 v[56:57], v[56:57], v[140:141] neg_lo:[0,1] neg_hi:[0,1]
	s_wait_dscnt 0x0
	v_pk_mul_f32 v[140:141], v[136:137], v[128:129] op_sel:[0,1]
	v_pk_fma_f32 v[142:143], v[136:137], v[126:127], v[140:141] op_sel:[0,0,1] op_sel_hi:[1,1,0] neg_lo:[0,0,1] neg_hi:[0,0,1]
	v_pk_fma_f32 v[136:137], v[136:137], v[126:127], v[140:141] op_sel:[0,0,1] op_sel_hi:[1,0,0]
	v_dual_mul_f32 v140, v139, v129 :: v_dual_mov_b32 v136, v139
	s_delay_alu instid0(VALU_DEP_2) | instskip(NEXT) | instid1(VALU_DEP_2)
	v_dual_mov_b32 v143, v137 :: v_dual_mov_b32 v137, v138
	v_pk_fma_f32 v[140:141], v[138:139], v[36:37], v[140:141] op_sel_hi:[1,1,0] neg_lo:[0,0,1] neg_hi:[0,0,1]
	v_mul_f32_e32 v138, v139, v126
	s_delay_alu instid0(VALU_DEP_3) | instskip(NEXT) | instid1(VALU_DEP_2)
	v_pk_add_f32 v[58:59], v[58:59], v[142:143] neg_lo:[0,1] neg_hi:[0,1]
	v_pk_fma_f32 v[136:137], v[136:137], v[36:37], v[138:139] op_sel_hi:[1,1,0]
	s_delay_alu instid0(VALU_DEP_1) | instskip(SKIP_4) | instid1(VALU_DEP_1)
	v_mov_b32_e32 v141, v137
	ds_load_2addr_b64 v[136:139], v130 offset0:44 offset1:45
	v_pk_add_f32 v[12:13], v[12:13], v[140:141] neg_lo:[0,1] neg_hi:[0,1]
	s_wait_dscnt 0x0
	v_pk_mul_f32 v[140:141], v[136:137], v[128:129] op_sel:[0,1]
	v_pk_fma_f32 v[142:143], v[136:137], v[126:127], v[140:141] op_sel:[0,0,1] op_sel_hi:[1,1,0] neg_lo:[0,0,1] neg_hi:[0,0,1]
	v_pk_fma_f32 v[136:137], v[136:137], v[126:127], v[140:141] op_sel:[0,0,1] op_sel_hi:[1,0,0]
	s_delay_alu instid0(VALU_DEP_1) | instskip(SKIP_1) | instid1(VALU_DEP_1)
	v_mov_b32_e32 v143, v137
	v_pk_mul_f32 v[136:137], v[138:139], v[128:129] op_sel:[0,1]
	v_pk_fma_f32 v[140:141], v[138:139], v[126:127], v[136:137] op_sel:[0,0,1] op_sel_hi:[1,1,0] neg_lo:[0,0,1] neg_hi:[0,0,1]
	v_pk_fma_f32 v[136:137], v[138:139], v[126:127], v[136:137] op_sel:[0,0,1] op_sel_hi:[1,0,0]
	s_delay_alu instid0(VALU_DEP_1)
	v_mov_b32_e32 v141, v137
	ds_load_2addr_b64 v[136:139], v130 offset0:46 offset1:47
	v_pk_add_f32 v[54:55], v[54:55], v[142:143] neg_lo:[0,1] neg_hi:[0,1]
	v_pk_add_f32 v[50:51], v[50:51], v[140:141] neg_lo:[0,1] neg_hi:[0,1]
	s_wait_dscnt 0x0
	v_pk_mul_f32 v[140:141], v[136:137], v[128:129] op_sel:[0,1]
	s_delay_alu instid0(VALU_DEP_1) | instskip(SKIP_1) | instid1(VALU_DEP_1)
	v_pk_fma_f32 v[142:143], v[136:137], v[126:127], v[140:141] op_sel:[0,0,1] op_sel_hi:[1,1,0] neg_lo:[0,0,1] neg_hi:[0,0,1]
	v_pk_fma_f32 v[136:137], v[136:137], v[126:127], v[140:141] op_sel:[0,0,1] op_sel_hi:[1,0,0]
	v_mov_b32_e32 v143, v137
	v_pk_mul_f32 v[136:137], v[138:139], v[128:129] op_sel:[0,1]
	s_delay_alu instid0(VALU_DEP_1) | instskip(SKIP_1) | instid1(VALU_DEP_1)
	v_pk_fma_f32 v[140:141], v[138:139], v[126:127], v[136:137] op_sel:[0,0,1] op_sel_hi:[1,1,0] neg_lo:[0,0,1] neg_hi:[0,0,1]
	v_pk_fma_f32 v[136:137], v[138:139], v[126:127], v[136:137] op_sel:[0,0,1] op_sel_hi:[1,0,0]
	v_mov_b32_e32 v141, v137
	ds_load_2addr_b64 v[136:139], v130 offset0:48 offset1:49
	v_pk_add_f32 v[52:53], v[52:53], v[142:143] neg_lo:[0,1] neg_hi:[0,1]
	v_pk_add_f32 v[10:11], v[10:11], v[140:141] neg_lo:[0,1] neg_hi:[0,1]
	s_wait_dscnt 0x0
	v_dual_mul_f32 v140, v137, v129 :: v_dual_mul_f32 v142, v137, v126
	s_delay_alu instid0(VALU_DEP_1) | instskip(NEXT) | instid1(VALU_DEP_2)
	v_pk_fma_f32 v[140:141], v[136:137], v[36:37], v[140:141] op_sel_hi:[1,1,0] neg_lo:[0,0,1] neg_hi:[0,0,1]
	v_pk_fma_f32 v[136:137], v[136:137], v[36:37], v[142:143] op_sel:[1,0,0] op_sel_hi:[0,1,0]
	s_delay_alu instid0(VALU_DEP_1) | instskip(SKIP_1) | instid1(VALU_DEP_2)
	v_mov_b32_e32 v141, v137
	v_pk_mul_f32 v[136:137], v[138:139], v[128:129] op_sel:[0,1]
	v_pk_add_f32 v[46:47], v[46:47], v[140:141] neg_lo:[0,1] neg_hi:[0,1]
	s_delay_alu instid0(VALU_DEP_2) | instskip(SKIP_1) | instid1(VALU_DEP_1)
	v_pk_fma_f32 v[140:141], v[138:139], v[126:127], v[136:137] op_sel:[0,0,1] op_sel_hi:[1,1,0] neg_lo:[0,0,1] neg_hi:[0,0,1]
	v_pk_fma_f32 v[136:137], v[138:139], v[126:127], v[136:137] op_sel:[0,0,1] op_sel_hi:[1,0,0]
	v_mov_b32_e32 v141, v137
	ds_load_2addr_b64 v[136:139], v130 offset0:50 offset1:51
	v_pk_add_f32 v[44:45], v[44:45], v[140:141] neg_lo:[0,1] neg_hi:[0,1]
	s_wait_dscnt 0x0
	v_pk_mul_f32 v[140:141], v[136:137], v[128:129] op_sel:[0,1]
	s_delay_alu instid0(VALU_DEP_1) | instskip(SKIP_1) | instid1(VALU_DEP_1)
	v_pk_fma_f32 v[142:143], v[136:137], v[126:127], v[140:141] op_sel:[0,0,1] op_sel_hi:[1,1,0] neg_lo:[0,0,1] neg_hi:[0,0,1]
	v_pk_fma_f32 v[136:137], v[136:137], v[126:127], v[140:141] op_sel:[0,0,1] op_sel_hi:[1,0,0]
	v_mov_b32_e32 v143, v137
	v_pk_mul_f32 v[136:137], v[138:139], v[128:129] op_sel:[0,1]
	s_delay_alu instid0(VALU_DEP_2) | instskip(NEXT) | instid1(VALU_DEP_2)
	v_pk_add_f32 v[48:49], v[48:49], v[142:143] neg_lo:[0,1] neg_hi:[0,1]
	v_pk_fma_f32 v[140:141], v[138:139], v[126:127], v[136:137] op_sel:[0,0,1] op_sel_hi:[1,1,0] neg_lo:[0,0,1] neg_hi:[0,0,1]
	v_pk_fma_f32 v[136:137], v[138:139], v[126:127], v[136:137] op_sel:[0,0,1] op_sel_hi:[1,0,0]
	s_delay_alu instid0(VALU_DEP_1) | instskip(SKIP_4) | instid1(VALU_DEP_1)
	v_mov_b32_e32 v141, v137
	ds_load_2addr_b64 v[136:139], v130 offset0:52 offset1:53
	v_pk_add_f32 v[8:9], v[8:9], v[140:141] neg_lo:[0,1] neg_hi:[0,1]
	s_wait_dscnt 0x0
	v_pk_mul_f32 v[140:141], v[136:137], v[128:129] op_sel:[0,1]
	v_pk_fma_f32 v[142:143], v[136:137], v[126:127], v[140:141] op_sel:[0,0,1] op_sel_hi:[1,1,0] neg_lo:[0,0,1] neg_hi:[0,0,1]
	v_pk_fma_f32 v[136:137], v[136:137], v[126:127], v[140:141] op_sel:[0,0,1] op_sel_hi:[1,0,0]
	v_dual_mul_f32 v140, v139, v129 :: v_dual_mov_b32 v136, v139
	s_delay_alu instid0(VALU_DEP_2) | instskip(NEXT) | instid1(VALU_DEP_2)
	v_dual_mov_b32 v143, v137 :: v_dual_mov_b32 v137, v138
	v_pk_fma_f32 v[140:141], v[138:139], v[36:37], v[140:141] op_sel_hi:[1,1,0] neg_lo:[0,0,1] neg_hi:[0,0,1]
	v_mul_f32_e32 v138, v139, v126
	s_delay_alu instid0(VALU_DEP_3) | instskip(NEXT) | instid1(VALU_DEP_2)
	v_pk_add_f32 v[34:35], v[34:35], v[142:143] neg_lo:[0,1] neg_hi:[0,1]
	v_pk_fma_f32 v[136:137], v[136:137], v[36:37], v[138:139] op_sel_hi:[1,1,0]
	s_delay_alu instid0(VALU_DEP_1) | instskip(SKIP_4) | instid1(VALU_DEP_1)
	v_mov_b32_e32 v141, v137
	ds_load_2addr_b64 v[136:139], v130 offset0:54 offset1:55
	v_pk_add_f32 v[28:29], v[28:29], v[140:141] neg_lo:[0,1] neg_hi:[0,1]
	s_wait_dscnt 0x0
	v_pk_mul_f32 v[140:141], v[136:137], v[128:129] op_sel:[0,1]
	v_pk_fma_f32 v[142:143], v[136:137], v[126:127], v[140:141] op_sel:[0,0,1] op_sel_hi:[1,1,0] neg_lo:[0,0,1] neg_hi:[0,0,1]
	v_pk_fma_f32 v[136:137], v[136:137], v[126:127], v[140:141] op_sel:[0,0,1] op_sel_hi:[1,0,0]
	s_delay_alu instid0(VALU_DEP_1) | instskip(SKIP_1) | instid1(VALU_DEP_1)
	v_mov_b32_e32 v143, v137
	v_pk_mul_f32 v[136:137], v[138:139], v[128:129] op_sel:[0,1]
	v_pk_fma_f32 v[140:141], v[138:139], v[126:127], v[136:137] op_sel:[0,0,1] op_sel_hi:[1,1,0] neg_lo:[0,0,1] neg_hi:[0,0,1]
	v_pk_fma_f32 v[136:137], v[138:139], v[126:127], v[136:137] op_sel:[0,0,1] op_sel_hi:[1,0,0]
	s_delay_alu instid0(VALU_DEP_1)
	v_mov_b32_e32 v141, v137
	ds_load_2addr_b64 v[136:139], v130 offset0:56 offset1:57
	v_pk_add_f32 v[32:33], v[32:33], v[142:143] neg_lo:[0,1] neg_hi:[0,1]
	v_pk_add_f32 v[6:7], v[6:7], v[140:141] neg_lo:[0,1] neg_hi:[0,1]
	s_wait_dscnt 0x0
	v_pk_mul_f32 v[140:141], v[136:137], v[128:129] op_sel:[0,1]
	s_delay_alu instid0(VALU_DEP_1) | instskip(SKIP_1) | instid1(VALU_DEP_1)
	v_pk_fma_f32 v[142:143], v[136:137], v[126:127], v[140:141] op_sel:[0,0,1] op_sel_hi:[1,1,0] neg_lo:[0,0,1] neg_hi:[0,0,1]
	v_pk_fma_f32 v[136:137], v[136:137], v[126:127], v[140:141] op_sel:[0,0,1] op_sel_hi:[1,0,0]
	v_mov_b32_e32 v143, v137
	v_pk_mul_f32 v[136:137], v[138:139], v[128:129] op_sel:[0,1]
	s_delay_alu instid0(VALU_DEP_1) | instskip(SKIP_1) | instid1(VALU_DEP_1)
	v_pk_fma_f32 v[140:141], v[138:139], v[126:127], v[136:137] op_sel:[0,0,1] op_sel_hi:[1,1,0] neg_lo:[0,0,1] neg_hi:[0,0,1]
	v_pk_fma_f32 v[136:137], v[138:139], v[126:127], v[136:137] op_sel:[0,0,1] op_sel_hi:[1,0,0]
	v_mov_b32_e32 v141, v137
	ds_load_2addr_b64 v[136:139], v130 offset0:58 offset1:59
	v_pk_add_f32 v[26:27], v[26:27], v[142:143] neg_lo:[0,1] neg_hi:[0,1]
	v_pk_add_f32 v[16:17], v[16:17], v[140:141] neg_lo:[0,1] neg_hi:[0,1]
	s_wait_dscnt 0x0
	v_dual_mul_f32 v140, v137, v129 :: v_dual_mul_f32 v142, v137, v126
	v_pk_mul_f32 v[128:129], v[138:139], v[128:129] op_sel:[0,1]
	s_delay_alu instid0(VALU_DEP_2) | instskip(NEXT) | instid1(VALU_DEP_3)
	v_pk_fma_f32 v[140:141], v[136:137], v[36:37], v[140:141] op_sel_hi:[1,1,0] neg_lo:[0,0,1] neg_hi:[0,0,1]
	v_pk_fma_f32 v[136:137], v[136:137], v[36:37], v[142:143] op_sel:[1,0,0] op_sel_hi:[0,1,0]
	s_delay_alu instid0(VALU_DEP_1) | instskip(NEXT) | instid1(VALU_DEP_4)
	v_mov_b32_e32 v141, v137
	v_pk_fma_f32 v[136:137], v[138:139], v[126:127], v[128:129] op_sel:[0,0,1] op_sel_hi:[1,1,0] neg_lo:[0,0,1] neg_hi:[0,0,1]
	v_pk_fma_f32 v[126:127], v[138:139], v[126:127], v[128:129] op_sel:[0,0,1] op_sel_hi:[1,0,0]
	s_delay_alu instid0(VALU_DEP_1) | instskip(NEXT) | instid1(VALU_DEP_4)
	v_mov_b32_e32 v137, v127
	v_pk_add_f32 v[14:15], v[14:15], v[140:141] neg_lo:[0,1] neg_hi:[0,1]
	s_delay_alu instid0(VALU_DEP_2)
	v_pk_add_f32 v[124:125], v[124:125], v[136:137] neg_lo:[0,1] neg_hi:[0,1]
.LBB118_419:
	s_or_b32 exec_lo, exec_lo, s0
	v_lshl_add_u32 v126, v134, 3, v130
	s_barrier_signal -1
	s_barrier_wait -1
	ds_store_b64 v126, v[90:91]
	s_wait_dscnt 0x0
	s_barrier_signal -1
	s_barrier_wait -1
	ds_load_b64 v[128:129], v130 offset:160
	v_mov_b32_e32 v126, 20
	s_cmp_lt_i32 s18, 22
	s_cbranch_scc1 .LBB118_422
; %bb.420:
	v_add3_u32 v127, v131, 0, 0xa8
	v_mov_b32_e32 v126, 20
	s_mov_b32 s0, 21
.LBB118_421:                            ; =>This Inner Loop Header: Depth=1
	ds_load_b64 v[136:137], v127
	s_wait_dscnt 0x1
	v_cmp_gt_f32_e32 vcc_lo, 0, v128
	v_cndmask_b32_e64 v138, v128, -v128, vcc_lo
	v_cmp_gt_f32_e32 vcc_lo, 0, v129
	v_cndmask_b32_e64 v140, v129, -v129, vcc_lo
	s_wait_dscnt 0x0
	v_cmp_gt_f32_e32 vcc_lo, 0, v136
	v_cndmask_b32_e64 v139, v136, -v136, vcc_lo
	v_cmp_gt_f32_e32 vcc_lo, 0, v137
	v_cndmask_b32_e64 v141, v137, -v137, vcc_lo
	s_delay_alu instid0(VALU_DEP_1) | instskip(NEXT) | instid1(VALU_DEP_1)
	v_pk_add_f32 v[138:139], v[138:139], v[140:141]
	v_cmp_lt_f32_e32 vcc_lo, v138, v139
	v_dual_add_nc_u32 v127, 8, v127 :: v_dual_cndmask_b32 v129, v129, v137, vcc_lo
	v_cndmask_b32_e32 v128, v128, v136, vcc_lo
	v_cndmask_b32_e64 v126, v126, s0, vcc_lo
	s_add_co_i32 s0, s0, 1
	s_delay_alu instid0(SALU_CYCLE_1)
	s_cmp_lg_u32 s18, s0
	s_cbranch_scc1 .LBB118_421
.LBB118_422:
	s_wait_dscnt 0x0
	v_cmp_eq_f32_e32 vcc_lo, 0, v128
	v_cmp_eq_f32_e64 s0, 0, v129
	s_and_b32 s0, vcc_lo, s0
	s_delay_alu instid0(SALU_CYCLE_1) | instskip(NEXT) | instid1(SALU_CYCLE_1)
	s_and_saveexec_b32 s1, s0
	s_xor_b32 s0, exec_lo, s1
; %bb.423:
	v_cmp_ne_u32_e32 vcc_lo, 0, v132
	v_cndmask_b32_e32 v132, 21, v132, vcc_lo
; %bb.424:
	s_and_not1_saveexec_b32 s0, s0
	s_cbranch_execz .LBB118_430
; %bb.425:
	v_cmp_ngt_f32_e64 s1, |v128|, |v129|
	s_and_saveexec_b32 s12, s1
	s_delay_alu instid0(SALU_CYCLE_1)
	s_xor_b32 s1, exec_lo, s12
	s_cbranch_execz .LBB118_427
; %bb.426:
	v_div_scale_f32 v127, null, v129, v129, v128
	v_div_scale_f32 v137, vcc_lo, v128, v129, v128
	s_delay_alu instid0(VALU_DEP_2) | instskip(SKIP_1) | instid1(TRANS32_DEP_1)
	v_rcp_f32_e32 v135, v127
	v_nop
	v_fma_f32 v136, -v127, v135, 1.0
	s_delay_alu instid0(VALU_DEP_1) | instskip(NEXT) | instid1(VALU_DEP_1)
	v_fmac_f32_e32 v135, v136, v135
	v_mul_f32_e32 v136, v137, v135
	s_delay_alu instid0(VALU_DEP_1) | instskip(NEXT) | instid1(VALU_DEP_1)
	v_fma_f32 v138, -v127, v136, v137
	v_fmac_f32_e32 v136, v138, v135
	s_delay_alu instid0(VALU_DEP_1) | instskip(NEXT) | instid1(VALU_DEP_1)
	v_fma_f32 v127, -v127, v136, v137
	v_div_fmas_f32 v127, v127, v135, v136
	s_delay_alu instid0(VALU_DEP_1) | instskip(NEXT) | instid1(VALU_DEP_1)
	v_div_fixup_f32 v127, v127, v129, v128
	v_fmac_f32_e32 v129, v128, v127
	s_delay_alu instid0(VALU_DEP_1) | instskip(SKIP_1) | instid1(VALU_DEP_2)
	v_div_scale_f32 v128, null, v129, v129, 1.0
	v_div_scale_f32 v137, vcc_lo, 1.0, v129, 1.0
	v_rcp_f32_e32 v135, v128
	v_nop
	s_delay_alu instid0(TRANS32_DEP_1) | instskip(NEXT) | instid1(VALU_DEP_1)
	v_fma_f32 v136, -v128, v135, 1.0
	v_fmac_f32_e32 v135, v136, v135
	s_delay_alu instid0(VALU_DEP_1) | instskip(NEXT) | instid1(VALU_DEP_1)
	v_mul_f32_e32 v136, v137, v135
	v_fma_f32 v138, -v128, v136, v137
	s_delay_alu instid0(VALU_DEP_1) | instskip(NEXT) | instid1(VALU_DEP_1)
	v_fmac_f32_e32 v136, v138, v135
	v_fma_f32 v128, -v128, v136, v137
	s_delay_alu instid0(VALU_DEP_1) | instskip(NEXT) | instid1(VALU_DEP_1)
	v_div_fmas_f32 v128, v128, v135, v136
	v_div_fixup_f32 v129, v128, v129, 1.0
	s_delay_alu instid0(VALU_DEP_1)
	v_mul_f32_e32 v128, v127, v129
	v_xor_b32_e32 v129, 0x80000000, v129
.LBB118_427:
	s_and_not1_saveexec_b32 s1, s1
	s_cbranch_execz .LBB118_429
; %bb.428:
	s_delay_alu instid0(VALU_DEP_1) | instskip(SKIP_1) | instid1(VALU_DEP_2)
	v_div_scale_f32 v127, null, v128, v128, v129
	v_div_scale_f32 v137, vcc_lo, v129, v128, v129
	v_rcp_f32_e32 v135, v127
	v_nop
	s_delay_alu instid0(TRANS32_DEP_1) | instskip(NEXT) | instid1(VALU_DEP_1)
	v_fma_f32 v136, -v127, v135, 1.0
	v_fmac_f32_e32 v135, v136, v135
	s_delay_alu instid0(VALU_DEP_1) | instskip(NEXT) | instid1(VALU_DEP_1)
	v_mul_f32_e32 v136, v137, v135
	v_fma_f32 v138, -v127, v136, v137
	s_delay_alu instid0(VALU_DEP_1) | instskip(NEXT) | instid1(VALU_DEP_1)
	v_fmac_f32_e32 v136, v138, v135
	v_fma_f32 v127, -v127, v136, v137
	s_delay_alu instid0(VALU_DEP_1) | instskip(NEXT) | instid1(VALU_DEP_1)
	v_div_fmas_f32 v127, v127, v135, v136
	v_div_fixup_f32 v127, v127, v128, v129
	s_delay_alu instid0(VALU_DEP_1) | instskip(NEXT) | instid1(VALU_DEP_1)
	v_fmac_f32_e32 v128, v129, v127
	v_div_scale_f32 v129, null, v128, v128, 1.0
	s_delay_alu instid0(VALU_DEP_1) | instskip(SKIP_1) | instid1(TRANS32_DEP_1)
	v_rcp_f32_e32 v135, v129
	v_nop
	v_fma_f32 v136, -v129, v135, 1.0
	s_delay_alu instid0(VALU_DEP_1) | instskip(SKIP_1) | instid1(VALU_DEP_1)
	v_fmac_f32_e32 v135, v136, v135
	v_div_scale_f32 v136, vcc_lo, 1.0, v128, 1.0
	v_mul_f32_e32 v137, v136, v135
	s_delay_alu instid0(VALU_DEP_1) | instskip(NEXT) | instid1(VALU_DEP_1)
	v_fma_f32 v138, -v129, v137, v136
	v_fmac_f32_e32 v137, v138, v135
	s_delay_alu instid0(VALU_DEP_1) | instskip(NEXT) | instid1(VALU_DEP_1)
	v_fma_f32 v129, -v129, v137, v136
	v_div_fmas_f32 v129, v129, v135, v137
	s_delay_alu instid0(VALU_DEP_1) | instskip(NEXT) | instid1(VALU_DEP_1)
	v_div_fixup_f32 v128, v129, v128, 1.0
	v_mul_f32_e64 v129, v127, -v128
.LBB118_429:
	s_or_b32 exec_lo, exec_lo, s1
.LBB118_430:
	s_delay_alu instid0(SALU_CYCLE_1) | instskip(NEXT) | instid1(SALU_CYCLE_1)
	s_or_b32 exec_lo, exec_lo, s0
	s_mov_b32 s0, exec_lo
	v_cmpx_ne_u32_e64 v134, v126
	s_xor_b32 s0, exec_lo, s0
	s_cbranch_execz .LBB118_436
; %bb.431:
	s_mov_b32 s1, exec_lo
	v_cmpx_eq_u32_e32 20, v134
	s_cbranch_execz .LBB118_435
; %bb.432:
	v_cmp_ne_u32_e32 vcc_lo, 20, v126
	s_xor_b32 s12, s16, -1
	s_delay_alu instid0(SALU_CYCLE_1) | instskip(NEXT) | instid1(SALU_CYCLE_1)
	s_and_b32 s13, s12, vcc_lo
	s_and_saveexec_b32 s12, s13
	s_cbranch_execz .LBB118_434
; %bb.433:
	v_ashrrev_i32_e32 v127, 31, v126
	s_delay_alu instid0(VALU_DEP_1)
	v_lshl_add_u64 v[134:135], v[126:127], 2, v[4:5]
	s_clause 0x1
	global_load_b32 v127, v[134:135], off
	global_load_b32 v133, v[4:5], off offset:80
	s_wait_loadcnt 0x1
	global_store_b32 v[4:5], v127, off offset:80
	s_wait_loadcnt 0x0
	global_store_b32 v[134:135], v133, off
.LBB118_434:
	s_wait_xcnt 0x0
	s_or_b32 exec_lo, exec_lo, s12
	v_dual_mov_b32 v134, v126 :: v_dual_mov_b32 v133, v126
.LBB118_435:
	s_or_b32 exec_lo, exec_lo, s1
.LBB118_436:
	s_and_not1_saveexec_b32 s0, s0
	s_cbranch_execz .LBB118_438
; %bb.437:
	v_mov_b32_e32 v134, 20
	ds_store_2addr_b64 v130, v[86:87], v[88:89] offset0:21 offset1:22
	ds_store_2addr_b64 v130, v[30:31], v[84:85] offset0:23 offset1:24
	;; [unrolled: 1-line block ×19, first 2 shown]
	ds_store_b64 v130, v[124:125] offset:472
.LBB118_438:
	s_or_b32 exec_lo, exec_lo, s0
	s_delay_alu instid0(SALU_CYCLE_1)
	s_mov_b32 s0, exec_lo
	s_wait_storecnt_dscnt 0x0
	s_barrier_signal -1
	s_barrier_wait -1
	v_cmpx_lt_i32_e32 20, v134
	s_cbranch_execz .LBB118_440
; %bb.439:
	v_pk_mul_f32 v[136:137], v[128:129], v[90:91] op_sel:[1,1] op_sel_hi:[0,1]
	s_delay_alu instid0(VALU_DEP_1)
	v_pk_fma_f32 v[126:127], v[128:129], v[90:91], v[136:137] op_sel_hi:[1,0,1] neg_lo:[0,0,1] neg_hi:[0,0,1]
	v_pk_fma_f32 v[128:129], v[128:129], v[90:91], v[136:137] op_sel_hi:[1,0,1]
	ds_load_2addr_b64 v[136:139], v130 offset0:21 offset1:22
	v_dual_mov_b32 v90, v126 :: v_dual_mov_b32 v91, v129
	s_wait_dscnt 0x0
	v_pk_mul_f32 v[140:141], v[136:137], v[128:129] op_sel:[0,1]
	s_delay_alu instid0(VALU_DEP_1) | instskip(SKIP_1) | instid1(VALU_DEP_1)
	v_pk_fma_f32 v[142:143], v[136:137], v[126:127], v[140:141] op_sel:[0,0,1] op_sel_hi:[1,1,0] neg_lo:[0,0,1] neg_hi:[0,0,1]
	v_pk_fma_f32 v[136:137], v[136:137], v[126:127], v[140:141] op_sel:[0,0,1] op_sel_hi:[1,0,0]
	v_mov_b32_e32 v143, v137
	v_pk_mul_f32 v[136:137], v[138:139], v[128:129] op_sel:[0,1]
	s_delay_alu instid0(VALU_DEP_1) | instskip(SKIP_1) | instid1(VALU_DEP_1)
	v_pk_fma_f32 v[140:141], v[138:139], v[126:127], v[136:137] op_sel:[0,0,1] op_sel_hi:[1,1,0] neg_lo:[0,0,1] neg_hi:[0,0,1]
	v_pk_fma_f32 v[136:137], v[138:139], v[126:127], v[136:137] op_sel:[0,0,1] op_sel_hi:[1,0,0]
	v_mov_b32_e32 v141, v137
	ds_load_2addr_b64 v[136:139], v130 offset0:23 offset1:24
	v_pk_add_f32 v[86:87], v[86:87], v[142:143] neg_lo:[0,1] neg_hi:[0,1]
	v_pk_add_f32 v[88:89], v[88:89], v[140:141] neg_lo:[0,1] neg_hi:[0,1]
	s_wait_dscnt 0x0
	v_pk_mul_f32 v[140:141], v[136:137], v[128:129] op_sel:[0,1]
	s_delay_alu instid0(VALU_DEP_1) | instskip(SKIP_2) | instid1(VALU_DEP_2)
	v_pk_fma_f32 v[142:143], v[136:137], v[126:127], v[140:141] op_sel:[0,0,1] op_sel_hi:[1,1,0] neg_lo:[0,0,1] neg_hi:[0,0,1]
	v_pk_fma_f32 v[136:137], v[136:137], v[126:127], v[140:141] op_sel:[0,0,1] op_sel_hi:[1,0,0]
	v_dual_mul_f32 v140, v139, v129 :: v_dual_mov_b32 v136, v139
	v_dual_mov_b32 v143, v137 :: v_dual_mov_b32 v137, v138
	s_delay_alu instid0(VALU_DEP_2) | instskip(SKIP_1) | instid1(VALU_DEP_3)
	v_pk_fma_f32 v[140:141], v[138:139], v[90:91], v[140:141] op_sel_hi:[1,1,0] neg_lo:[0,0,1] neg_hi:[0,0,1]
	v_mul_f32_e32 v138, v139, v126
	v_pk_add_f32 v[30:31], v[30:31], v[142:143] neg_lo:[0,1] neg_hi:[0,1]
	s_delay_alu instid0(VALU_DEP_2) | instskip(NEXT) | instid1(VALU_DEP_1)
	v_pk_fma_f32 v[136:137], v[136:137], v[90:91], v[138:139] op_sel_hi:[1,1,0]
	v_mov_b32_e32 v141, v137
	ds_load_2addr_b64 v[136:139], v130 offset0:25 offset1:26
	v_pk_add_f32 v[84:85], v[84:85], v[140:141] neg_lo:[0,1] neg_hi:[0,1]
	s_wait_dscnt 0x0
	v_pk_mul_f32 v[140:141], v[136:137], v[128:129] op_sel:[0,1]
	s_delay_alu instid0(VALU_DEP_1) | instskip(SKIP_1) | instid1(VALU_DEP_1)
	v_pk_fma_f32 v[142:143], v[136:137], v[126:127], v[140:141] op_sel:[0,0,1] op_sel_hi:[1,1,0] neg_lo:[0,0,1] neg_hi:[0,0,1]
	v_pk_fma_f32 v[136:137], v[136:137], v[126:127], v[140:141] op_sel:[0,0,1] op_sel_hi:[1,0,0]
	v_mov_b32_e32 v143, v137
	v_pk_mul_f32 v[136:137], v[138:139], v[128:129] op_sel:[0,1]
	s_delay_alu instid0(VALU_DEP_1) | instskip(SKIP_1) | instid1(VALU_DEP_1)
	v_pk_fma_f32 v[140:141], v[138:139], v[126:127], v[136:137] op_sel:[0,0,1] op_sel_hi:[1,1,0] neg_lo:[0,0,1] neg_hi:[0,0,1]
	v_pk_fma_f32 v[136:137], v[138:139], v[126:127], v[136:137] op_sel:[0,0,1] op_sel_hi:[1,0,0]
	v_mov_b32_e32 v141, v137
	ds_load_2addr_b64 v[136:139], v130 offset0:27 offset1:28
	v_pk_add_f32 v[80:81], v[80:81], v[142:143] neg_lo:[0,1] neg_hi:[0,1]
	v_pk_add_f32 v[82:83], v[82:83], v[140:141] neg_lo:[0,1] neg_hi:[0,1]
	s_wait_dscnt 0x0
	v_pk_mul_f32 v[140:141], v[136:137], v[128:129] op_sel:[0,1]
	s_delay_alu instid0(VALU_DEP_1) | instskip(SKIP_1) | instid1(VALU_DEP_1)
	v_pk_fma_f32 v[142:143], v[136:137], v[126:127], v[140:141] op_sel:[0,0,1] op_sel_hi:[1,1,0] neg_lo:[0,0,1] neg_hi:[0,0,1]
	v_pk_fma_f32 v[136:137], v[136:137], v[126:127], v[140:141] op_sel:[0,0,1] op_sel_hi:[1,0,0]
	v_mov_b32_e32 v143, v137
	v_pk_mul_f32 v[136:137], v[138:139], v[128:129] op_sel:[0,1]
	s_delay_alu instid0(VALU_DEP_1) | instskip(SKIP_1) | instid1(VALU_DEP_1)
	v_pk_fma_f32 v[140:141], v[138:139], v[126:127], v[136:137] op_sel:[0,0,1] op_sel_hi:[1,1,0] neg_lo:[0,0,1] neg_hi:[0,0,1]
	v_pk_fma_f32 v[136:137], v[138:139], v[126:127], v[136:137] op_sel:[0,0,1] op_sel_hi:[1,0,0]
	v_mov_b32_e32 v141, v137
	ds_load_2addr_b64 v[136:139], v130 offset0:29 offset1:30
	v_pk_add_f32 v[24:25], v[24:25], v[142:143] neg_lo:[0,1] neg_hi:[0,1]
	v_pk_add_f32 v[78:79], v[78:79], v[140:141] neg_lo:[0,1] neg_hi:[0,1]
	s_wait_dscnt 0x0
	v_dual_mul_f32 v140, v137, v129 :: v_dual_mul_f32 v142, v137, v126
	s_delay_alu instid0(VALU_DEP_1) | instskip(NEXT) | instid1(VALU_DEP_2)
	v_pk_fma_f32 v[140:141], v[136:137], v[90:91], v[140:141] op_sel_hi:[1,1,0] neg_lo:[0,0,1] neg_hi:[0,0,1]
	v_pk_fma_f32 v[136:137], v[136:137], v[90:91], v[142:143] op_sel:[1,0,0] op_sel_hi:[0,1,0]
	s_delay_alu instid0(VALU_DEP_1) | instskip(SKIP_1) | instid1(VALU_DEP_2)
	v_mov_b32_e32 v141, v137
	v_pk_mul_f32 v[136:137], v[138:139], v[128:129] op_sel:[0,1]
	v_pk_add_f32 v[74:75], v[74:75], v[140:141] neg_lo:[0,1] neg_hi:[0,1]
	s_delay_alu instid0(VALU_DEP_2) | instskip(SKIP_1) | instid1(VALU_DEP_1)
	v_pk_fma_f32 v[140:141], v[138:139], v[126:127], v[136:137] op_sel:[0,0,1] op_sel_hi:[1,1,0] neg_lo:[0,0,1] neg_hi:[0,0,1]
	v_pk_fma_f32 v[136:137], v[138:139], v[126:127], v[136:137] op_sel:[0,0,1] op_sel_hi:[1,0,0]
	v_mov_b32_e32 v141, v137
	ds_load_2addr_b64 v[136:139], v130 offset0:31 offset1:32
	v_pk_add_f32 v[76:77], v[76:77], v[140:141] neg_lo:[0,1] neg_hi:[0,1]
	s_wait_dscnt 0x0
	v_pk_mul_f32 v[140:141], v[136:137], v[128:129] op_sel:[0,1]
	s_delay_alu instid0(VALU_DEP_1) | instskip(SKIP_1) | instid1(VALU_DEP_1)
	v_pk_fma_f32 v[142:143], v[136:137], v[126:127], v[140:141] op_sel:[0,0,1] op_sel_hi:[1,1,0] neg_lo:[0,0,1] neg_hi:[0,0,1]
	v_pk_fma_f32 v[136:137], v[136:137], v[126:127], v[140:141] op_sel:[0,0,1] op_sel_hi:[1,0,0]
	v_mov_b32_e32 v143, v137
	v_pk_mul_f32 v[136:137], v[138:139], v[128:129] op_sel:[0,1]
	s_delay_alu instid0(VALU_DEP_2) | instskip(NEXT) | instid1(VALU_DEP_2)
	v_pk_add_f32 v[22:23], v[22:23], v[142:143] neg_lo:[0,1] neg_hi:[0,1]
	v_pk_fma_f32 v[140:141], v[138:139], v[126:127], v[136:137] op_sel:[0,0,1] op_sel_hi:[1,1,0] neg_lo:[0,0,1] neg_hi:[0,0,1]
	v_pk_fma_f32 v[136:137], v[138:139], v[126:127], v[136:137] op_sel:[0,0,1] op_sel_hi:[1,0,0]
	s_delay_alu instid0(VALU_DEP_1) | instskip(SKIP_4) | instid1(VALU_DEP_1)
	v_mov_b32_e32 v141, v137
	ds_load_2addr_b64 v[136:139], v130 offset0:33 offset1:34
	v_pk_add_f32 v[72:73], v[72:73], v[140:141] neg_lo:[0,1] neg_hi:[0,1]
	s_wait_dscnt 0x0
	v_pk_mul_f32 v[140:141], v[136:137], v[128:129] op_sel:[0,1]
	v_pk_fma_f32 v[142:143], v[136:137], v[126:127], v[140:141] op_sel:[0,0,1] op_sel_hi:[1,1,0] neg_lo:[0,0,1] neg_hi:[0,0,1]
	v_pk_fma_f32 v[136:137], v[136:137], v[126:127], v[140:141] op_sel:[0,0,1] op_sel_hi:[1,0,0]
	v_dual_mul_f32 v140, v139, v129 :: v_dual_mov_b32 v136, v139
	s_delay_alu instid0(VALU_DEP_2) | instskip(NEXT) | instid1(VALU_DEP_2)
	v_dual_mov_b32 v143, v137 :: v_dual_mov_b32 v137, v138
	v_pk_fma_f32 v[140:141], v[138:139], v[90:91], v[140:141] op_sel_hi:[1,1,0] neg_lo:[0,0,1] neg_hi:[0,0,1]
	v_mul_f32_e32 v138, v139, v126
	s_delay_alu instid0(VALU_DEP_3) | instskip(NEXT) | instid1(VALU_DEP_2)
	v_pk_add_f32 v[68:69], v[68:69], v[142:143] neg_lo:[0,1] neg_hi:[0,1]
	v_pk_fma_f32 v[136:137], v[136:137], v[90:91], v[138:139] op_sel_hi:[1,1,0]
	s_delay_alu instid0(VALU_DEP_1) | instskip(SKIP_4) | instid1(VALU_DEP_1)
	v_mov_b32_e32 v141, v137
	ds_load_2addr_b64 v[136:139], v130 offset0:35 offset1:36
	v_pk_add_f32 v[70:71], v[70:71], v[140:141] neg_lo:[0,1] neg_hi:[0,1]
	s_wait_dscnt 0x0
	v_pk_mul_f32 v[140:141], v[136:137], v[128:129] op_sel:[0,1]
	v_pk_fma_f32 v[142:143], v[136:137], v[126:127], v[140:141] op_sel:[0,0,1] op_sel_hi:[1,1,0] neg_lo:[0,0,1] neg_hi:[0,0,1]
	v_pk_fma_f32 v[136:137], v[136:137], v[126:127], v[140:141] op_sel:[0,0,1] op_sel_hi:[1,0,0]
	s_delay_alu instid0(VALU_DEP_1) | instskip(SKIP_1) | instid1(VALU_DEP_1)
	v_mov_b32_e32 v143, v137
	v_pk_mul_f32 v[136:137], v[138:139], v[128:129] op_sel:[0,1]
	v_pk_fma_f32 v[140:141], v[138:139], v[126:127], v[136:137] op_sel:[0,0,1] op_sel_hi:[1,1,0] neg_lo:[0,0,1] neg_hi:[0,0,1]
	v_pk_fma_f32 v[136:137], v[138:139], v[126:127], v[136:137] op_sel:[0,0,1] op_sel_hi:[1,0,0]
	s_delay_alu instid0(VALU_DEP_1)
	v_mov_b32_e32 v141, v137
	ds_load_2addr_b64 v[136:139], v130 offset0:37 offset1:38
	v_pk_add_f32 v[20:21], v[20:21], v[142:143] neg_lo:[0,1] neg_hi:[0,1]
	v_pk_add_f32 v[66:67], v[66:67], v[140:141] neg_lo:[0,1] neg_hi:[0,1]
	s_wait_dscnt 0x0
	v_pk_mul_f32 v[140:141], v[136:137], v[128:129] op_sel:[0,1]
	s_delay_alu instid0(VALU_DEP_1) | instskip(SKIP_1) | instid1(VALU_DEP_1)
	v_pk_fma_f32 v[142:143], v[136:137], v[126:127], v[140:141] op_sel:[0,0,1] op_sel_hi:[1,1,0] neg_lo:[0,0,1] neg_hi:[0,0,1]
	v_pk_fma_f32 v[136:137], v[136:137], v[126:127], v[140:141] op_sel:[0,0,1] op_sel_hi:[1,0,0]
	v_mov_b32_e32 v143, v137
	v_pk_mul_f32 v[136:137], v[138:139], v[128:129] op_sel:[0,1]
	s_delay_alu instid0(VALU_DEP_1) | instskip(SKIP_1) | instid1(VALU_DEP_1)
	v_pk_fma_f32 v[140:141], v[138:139], v[126:127], v[136:137] op_sel:[0,0,1] op_sel_hi:[1,1,0] neg_lo:[0,0,1] neg_hi:[0,0,1]
	v_pk_fma_f32 v[136:137], v[138:139], v[126:127], v[136:137] op_sel:[0,0,1] op_sel_hi:[1,0,0]
	v_mov_b32_e32 v141, v137
	ds_load_2addr_b64 v[136:139], v130 offset0:39 offset1:40
	v_pk_add_f32 v[62:63], v[62:63], v[142:143] neg_lo:[0,1] neg_hi:[0,1]
	v_pk_add_f32 v[64:65], v[64:65], v[140:141] neg_lo:[0,1] neg_hi:[0,1]
	s_wait_dscnt 0x0
	v_dual_mul_f32 v140, v137, v129 :: v_dual_mul_f32 v142, v137, v126
	s_delay_alu instid0(VALU_DEP_1) | instskip(NEXT) | instid1(VALU_DEP_2)
	v_pk_fma_f32 v[140:141], v[136:137], v[90:91], v[140:141] op_sel_hi:[1,1,0] neg_lo:[0,0,1] neg_hi:[0,0,1]
	v_pk_fma_f32 v[136:137], v[136:137], v[90:91], v[142:143] op_sel:[1,0,0] op_sel_hi:[0,1,0]
	s_delay_alu instid0(VALU_DEP_1) | instskip(SKIP_1) | instid1(VALU_DEP_2)
	v_mov_b32_e32 v141, v137
	v_pk_mul_f32 v[136:137], v[138:139], v[128:129] op_sel:[0,1]
	v_pk_add_f32 v[18:19], v[18:19], v[140:141] neg_lo:[0,1] neg_hi:[0,1]
	s_delay_alu instid0(VALU_DEP_2) | instskip(SKIP_1) | instid1(VALU_DEP_1)
	v_pk_fma_f32 v[140:141], v[138:139], v[126:127], v[136:137] op_sel:[0,0,1] op_sel_hi:[1,1,0] neg_lo:[0,0,1] neg_hi:[0,0,1]
	v_pk_fma_f32 v[136:137], v[138:139], v[126:127], v[136:137] op_sel:[0,0,1] op_sel_hi:[1,0,0]
	v_mov_b32_e32 v141, v137
	ds_load_2addr_b64 v[136:139], v130 offset0:41 offset1:42
	v_pk_add_f32 v[60:61], v[60:61], v[140:141] neg_lo:[0,1] neg_hi:[0,1]
	s_wait_dscnt 0x0
	v_pk_mul_f32 v[140:141], v[136:137], v[128:129] op_sel:[0,1]
	s_delay_alu instid0(VALU_DEP_1) | instskip(SKIP_1) | instid1(VALU_DEP_1)
	v_pk_fma_f32 v[142:143], v[136:137], v[126:127], v[140:141] op_sel:[0,0,1] op_sel_hi:[1,1,0] neg_lo:[0,0,1] neg_hi:[0,0,1]
	v_pk_fma_f32 v[136:137], v[136:137], v[126:127], v[140:141] op_sel:[0,0,1] op_sel_hi:[1,0,0]
	v_mov_b32_e32 v143, v137
	v_pk_mul_f32 v[136:137], v[138:139], v[128:129] op_sel:[0,1]
	s_delay_alu instid0(VALU_DEP_2) | instskip(NEXT) | instid1(VALU_DEP_2)
	v_pk_add_f32 v[56:57], v[56:57], v[142:143] neg_lo:[0,1] neg_hi:[0,1]
	v_pk_fma_f32 v[140:141], v[138:139], v[126:127], v[136:137] op_sel:[0,0,1] op_sel_hi:[1,1,0] neg_lo:[0,0,1] neg_hi:[0,0,1]
	v_pk_fma_f32 v[136:137], v[138:139], v[126:127], v[136:137] op_sel:[0,0,1] op_sel_hi:[1,0,0]
	s_delay_alu instid0(VALU_DEP_1) | instskip(SKIP_4) | instid1(VALU_DEP_1)
	v_mov_b32_e32 v141, v137
	ds_load_2addr_b64 v[136:139], v130 offset0:43 offset1:44
	v_pk_add_f32 v[58:59], v[58:59], v[140:141] neg_lo:[0,1] neg_hi:[0,1]
	s_wait_dscnt 0x0
	v_pk_mul_f32 v[140:141], v[136:137], v[128:129] op_sel:[0,1]
	v_pk_fma_f32 v[142:143], v[136:137], v[126:127], v[140:141] op_sel:[0,0,1] op_sel_hi:[1,1,0] neg_lo:[0,0,1] neg_hi:[0,0,1]
	v_pk_fma_f32 v[136:137], v[136:137], v[126:127], v[140:141] op_sel:[0,0,1] op_sel_hi:[1,0,0]
	v_dual_mul_f32 v140, v139, v129 :: v_dual_mov_b32 v136, v139
	s_delay_alu instid0(VALU_DEP_2) | instskip(NEXT) | instid1(VALU_DEP_2)
	v_dual_mov_b32 v143, v137 :: v_dual_mov_b32 v137, v138
	v_pk_fma_f32 v[140:141], v[138:139], v[90:91], v[140:141] op_sel_hi:[1,1,0] neg_lo:[0,0,1] neg_hi:[0,0,1]
	v_mul_f32_e32 v138, v139, v126
	s_delay_alu instid0(VALU_DEP_3) | instskip(NEXT) | instid1(VALU_DEP_2)
	v_pk_add_f32 v[12:13], v[12:13], v[142:143] neg_lo:[0,1] neg_hi:[0,1]
	v_pk_fma_f32 v[136:137], v[136:137], v[90:91], v[138:139] op_sel_hi:[1,1,0]
	s_delay_alu instid0(VALU_DEP_1) | instskip(SKIP_4) | instid1(VALU_DEP_1)
	v_mov_b32_e32 v141, v137
	ds_load_2addr_b64 v[136:139], v130 offset0:45 offset1:46
	v_pk_add_f32 v[54:55], v[54:55], v[140:141] neg_lo:[0,1] neg_hi:[0,1]
	s_wait_dscnt 0x0
	v_pk_mul_f32 v[140:141], v[136:137], v[128:129] op_sel:[0,1]
	v_pk_fma_f32 v[142:143], v[136:137], v[126:127], v[140:141] op_sel:[0,0,1] op_sel_hi:[1,1,0] neg_lo:[0,0,1] neg_hi:[0,0,1]
	v_pk_fma_f32 v[136:137], v[136:137], v[126:127], v[140:141] op_sel:[0,0,1] op_sel_hi:[1,0,0]
	s_delay_alu instid0(VALU_DEP_1) | instskip(SKIP_1) | instid1(VALU_DEP_1)
	v_mov_b32_e32 v143, v137
	v_pk_mul_f32 v[136:137], v[138:139], v[128:129] op_sel:[0,1]
	v_pk_fma_f32 v[140:141], v[138:139], v[126:127], v[136:137] op_sel:[0,0,1] op_sel_hi:[1,1,0] neg_lo:[0,0,1] neg_hi:[0,0,1]
	v_pk_fma_f32 v[136:137], v[138:139], v[126:127], v[136:137] op_sel:[0,0,1] op_sel_hi:[1,0,0]
	s_delay_alu instid0(VALU_DEP_1)
	v_mov_b32_e32 v141, v137
	ds_load_2addr_b64 v[136:139], v130 offset0:47 offset1:48
	v_pk_add_f32 v[50:51], v[50:51], v[142:143] neg_lo:[0,1] neg_hi:[0,1]
	v_pk_add_f32 v[52:53], v[52:53], v[140:141] neg_lo:[0,1] neg_hi:[0,1]
	s_wait_dscnt 0x0
	v_pk_mul_f32 v[140:141], v[136:137], v[128:129] op_sel:[0,1]
	s_delay_alu instid0(VALU_DEP_1) | instskip(SKIP_1) | instid1(VALU_DEP_1)
	v_pk_fma_f32 v[142:143], v[136:137], v[126:127], v[140:141] op_sel:[0,0,1] op_sel_hi:[1,1,0] neg_lo:[0,0,1] neg_hi:[0,0,1]
	v_pk_fma_f32 v[136:137], v[136:137], v[126:127], v[140:141] op_sel:[0,0,1] op_sel_hi:[1,0,0]
	v_mov_b32_e32 v143, v137
	v_pk_mul_f32 v[136:137], v[138:139], v[128:129] op_sel:[0,1]
	s_delay_alu instid0(VALU_DEP_1) | instskip(SKIP_1) | instid1(VALU_DEP_1)
	v_pk_fma_f32 v[140:141], v[138:139], v[126:127], v[136:137] op_sel:[0,0,1] op_sel_hi:[1,1,0] neg_lo:[0,0,1] neg_hi:[0,0,1]
	v_pk_fma_f32 v[136:137], v[138:139], v[126:127], v[136:137] op_sel:[0,0,1] op_sel_hi:[1,0,0]
	v_mov_b32_e32 v141, v137
	ds_load_2addr_b64 v[136:139], v130 offset0:49 offset1:50
	v_pk_add_f32 v[10:11], v[10:11], v[142:143] neg_lo:[0,1] neg_hi:[0,1]
	v_pk_add_f32 v[46:47], v[46:47], v[140:141] neg_lo:[0,1] neg_hi:[0,1]
	s_wait_dscnt 0x0
	v_dual_mul_f32 v140, v137, v129 :: v_dual_mul_f32 v142, v137, v126
	s_delay_alu instid0(VALU_DEP_1) | instskip(NEXT) | instid1(VALU_DEP_2)
	v_pk_fma_f32 v[140:141], v[136:137], v[90:91], v[140:141] op_sel_hi:[1,1,0] neg_lo:[0,0,1] neg_hi:[0,0,1]
	v_pk_fma_f32 v[136:137], v[136:137], v[90:91], v[142:143] op_sel:[1,0,0] op_sel_hi:[0,1,0]
	s_delay_alu instid0(VALU_DEP_1) | instskip(SKIP_1) | instid1(VALU_DEP_2)
	v_mov_b32_e32 v141, v137
	v_pk_mul_f32 v[136:137], v[138:139], v[128:129] op_sel:[0,1]
	v_pk_add_f32 v[44:45], v[44:45], v[140:141] neg_lo:[0,1] neg_hi:[0,1]
	s_delay_alu instid0(VALU_DEP_2) | instskip(SKIP_1) | instid1(VALU_DEP_1)
	v_pk_fma_f32 v[140:141], v[138:139], v[126:127], v[136:137] op_sel:[0,0,1] op_sel_hi:[1,1,0] neg_lo:[0,0,1] neg_hi:[0,0,1]
	v_pk_fma_f32 v[136:137], v[138:139], v[126:127], v[136:137] op_sel:[0,0,1] op_sel_hi:[1,0,0]
	v_mov_b32_e32 v141, v137
	ds_load_2addr_b64 v[136:139], v130 offset0:51 offset1:52
	v_pk_add_f32 v[48:49], v[48:49], v[140:141] neg_lo:[0,1] neg_hi:[0,1]
	s_wait_dscnt 0x0
	v_pk_mul_f32 v[140:141], v[136:137], v[128:129] op_sel:[0,1]
	s_delay_alu instid0(VALU_DEP_1) | instskip(SKIP_1) | instid1(VALU_DEP_1)
	v_pk_fma_f32 v[142:143], v[136:137], v[126:127], v[140:141] op_sel:[0,0,1] op_sel_hi:[1,1,0] neg_lo:[0,0,1] neg_hi:[0,0,1]
	v_pk_fma_f32 v[136:137], v[136:137], v[126:127], v[140:141] op_sel:[0,0,1] op_sel_hi:[1,0,0]
	v_mov_b32_e32 v143, v137
	v_pk_mul_f32 v[136:137], v[138:139], v[128:129] op_sel:[0,1]
	s_delay_alu instid0(VALU_DEP_2) | instskip(NEXT) | instid1(VALU_DEP_2)
	v_pk_add_f32 v[8:9], v[8:9], v[142:143] neg_lo:[0,1] neg_hi:[0,1]
	v_pk_fma_f32 v[140:141], v[138:139], v[126:127], v[136:137] op_sel:[0,0,1] op_sel_hi:[1,1,0] neg_lo:[0,0,1] neg_hi:[0,0,1]
	v_pk_fma_f32 v[136:137], v[138:139], v[126:127], v[136:137] op_sel:[0,0,1] op_sel_hi:[1,0,0]
	s_delay_alu instid0(VALU_DEP_1) | instskip(SKIP_4) | instid1(VALU_DEP_1)
	v_mov_b32_e32 v141, v137
	ds_load_2addr_b64 v[136:139], v130 offset0:53 offset1:54
	v_pk_add_f32 v[34:35], v[34:35], v[140:141] neg_lo:[0,1] neg_hi:[0,1]
	s_wait_dscnt 0x0
	v_pk_mul_f32 v[140:141], v[136:137], v[128:129] op_sel:[0,1]
	v_pk_fma_f32 v[142:143], v[136:137], v[126:127], v[140:141] op_sel:[0,0,1] op_sel_hi:[1,1,0] neg_lo:[0,0,1] neg_hi:[0,0,1]
	v_pk_fma_f32 v[136:137], v[136:137], v[126:127], v[140:141] op_sel:[0,0,1] op_sel_hi:[1,0,0]
	v_dual_mul_f32 v140, v139, v129 :: v_dual_mov_b32 v136, v139
	s_delay_alu instid0(VALU_DEP_2) | instskip(NEXT) | instid1(VALU_DEP_2)
	v_dual_mov_b32 v143, v137 :: v_dual_mov_b32 v137, v138
	v_pk_fma_f32 v[140:141], v[138:139], v[90:91], v[140:141] op_sel_hi:[1,1,0] neg_lo:[0,0,1] neg_hi:[0,0,1]
	v_mul_f32_e32 v138, v139, v126
	s_delay_alu instid0(VALU_DEP_3) | instskip(NEXT) | instid1(VALU_DEP_2)
	v_pk_add_f32 v[28:29], v[28:29], v[142:143] neg_lo:[0,1] neg_hi:[0,1]
	v_pk_fma_f32 v[136:137], v[136:137], v[90:91], v[138:139] op_sel_hi:[1,1,0]
	s_delay_alu instid0(VALU_DEP_1) | instskip(SKIP_4) | instid1(VALU_DEP_1)
	v_mov_b32_e32 v141, v137
	ds_load_2addr_b64 v[136:139], v130 offset0:55 offset1:56
	v_pk_add_f32 v[32:33], v[32:33], v[140:141] neg_lo:[0,1] neg_hi:[0,1]
	s_wait_dscnt 0x0
	v_pk_mul_f32 v[140:141], v[136:137], v[128:129] op_sel:[0,1]
	v_pk_fma_f32 v[142:143], v[136:137], v[126:127], v[140:141] op_sel:[0,0,1] op_sel_hi:[1,1,0] neg_lo:[0,0,1] neg_hi:[0,0,1]
	v_pk_fma_f32 v[136:137], v[136:137], v[126:127], v[140:141] op_sel:[0,0,1] op_sel_hi:[1,0,0]
	s_delay_alu instid0(VALU_DEP_1) | instskip(SKIP_1) | instid1(VALU_DEP_1)
	v_mov_b32_e32 v143, v137
	v_pk_mul_f32 v[136:137], v[138:139], v[128:129] op_sel:[0,1]
	v_pk_fma_f32 v[140:141], v[138:139], v[126:127], v[136:137] op_sel:[0,0,1] op_sel_hi:[1,1,0] neg_lo:[0,0,1] neg_hi:[0,0,1]
	v_pk_fma_f32 v[136:137], v[138:139], v[126:127], v[136:137] op_sel:[0,0,1] op_sel_hi:[1,0,0]
	s_delay_alu instid0(VALU_DEP_1)
	v_mov_b32_e32 v141, v137
	ds_load_2addr_b64 v[136:139], v130 offset0:57 offset1:58
	v_pk_add_f32 v[6:7], v[6:7], v[142:143] neg_lo:[0,1] neg_hi:[0,1]
	v_pk_add_f32 v[26:27], v[26:27], v[140:141] neg_lo:[0,1] neg_hi:[0,1]
	s_wait_dscnt 0x0
	v_pk_mul_f32 v[140:141], v[136:137], v[128:129] op_sel:[0,1]
	s_delay_alu instid0(VALU_DEP_1) | instskip(SKIP_1) | instid1(VALU_DEP_1)
	v_pk_fma_f32 v[142:143], v[136:137], v[126:127], v[140:141] op_sel:[0,0,1] op_sel_hi:[1,1,0] neg_lo:[0,0,1] neg_hi:[0,0,1]
	v_pk_fma_f32 v[136:137], v[136:137], v[126:127], v[140:141] op_sel:[0,0,1] op_sel_hi:[1,0,0]
	v_mov_b32_e32 v143, v137
	v_pk_mul_f32 v[136:137], v[138:139], v[128:129] op_sel:[0,1]
	s_delay_alu instid0(VALU_DEP_1) | instskip(SKIP_1) | instid1(VALU_DEP_1)
	v_pk_fma_f32 v[140:141], v[138:139], v[126:127], v[136:137] op_sel:[0,0,1] op_sel_hi:[1,1,0] neg_lo:[0,0,1] neg_hi:[0,0,1]
	v_pk_fma_f32 v[136:137], v[138:139], v[126:127], v[136:137] op_sel:[0,0,1] op_sel_hi:[1,0,0]
	v_mov_b32_e32 v141, v137
	ds_load_b64 v[136:137], v130 offset:472
	v_pk_add_f32 v[16:17], v[16:17], v[142:143] neg_lo:[0,1] neg_hi:[0,1]
	v_pk_add_f32 v[14:15], v[14:15], v[140:141] neg_lo:[0,1] neg_hi:[0,1]
	s_wait_dscnt 0x0
	v_pk_mul_f32 v[128:129], v[136:137], v[128:129] op_sel:[0,1]
	s_delay_alu instid0(VALU_DEP_1) | instskip(SKIP_1) | instid1(VALU_DEP_1)
	v_pk_fma_f32 v[138:139], v[136:137], v[126:127], v[128:129] op_sel:[0,0,1] op_sel_hi:[1,1,0] neg_lo:[0,0,1] neg_hi:[0,0,1]
	v_pk_fma_f32 v[126:127], v[136:137], v[126:127], v[128:129] op_sel:[0,0,1] op_sel_hi:[1,0,0]
	v_mov_b32_e32 v139, v127
	s_delay_alu instid0(VALU_DEP_1)
	v_pk_add_f32 v[124:125], v[124:125], v[138:139] neg_lo:[0,1] neg_hi:[0,1]
.LBB118_440:
	s_or_b32 exec_lo, exec_lo, s0
	v_lshl_add_u32 v126, v134, 3, v130
	s_barrier_signal -1
	s_barrier_wait -1
	ds_store_b64 v126, v[86:87]
	s_wait_dscnt 0x0
	s_barrier_signal -1
	s_barrier_wait -1
	ds_load_b64 v[128:129], v130 offset:168
	v_mov_b32_e32 v126, 21
	s_cmp_lt_i32 s18, 23
	s_cbranch_scc1 .LBB118_443
; %bb.441:
	v_add3_u32 v127, v131, 0, 0xb0
	v_mov_b32_e32 v126, 21
	s_mov_b32 s0, 22
.LBB118_442:                            ; =>This Inner Loop Header: Depth=1
	ds_load_b64 v[136:137], v127
	s_wait_dscnt 0x1
	v_cmp_gt_f32_e32 vcc_lo, 0, v128
	v_cndmask_b32_e64 v138, v128, -v128, vcc_lo
	v_cmp_gt_f32_e32 vcc_lo, 0, v129
	v_cndmask_b32_e64 v140, v129, -v129, vcc_lo
	s_wait_dscnt 0x0
	v_cmp_gt_f32_e32 vcc_lo, 0, v136
	v_cndmask_b32_e64 v139, v136, -v136, vcc_lo
	v_cmp_gt_f32_e32 vcc_lo, 0, v137
	v_cndmask_b32_e64 v141, v137, -v137, vcc_lo
	s_delay_alu instid0(VALU_DEP_1) | instskip(NEXT) | instid1(VALU_DEP_1)
	v_pk_add_f32 v[138:139], v[138:139], v[140:141]
	v_cmp_lt_f32_e32 vcc_lo, v138, v139
	v_dual_add_nc_u32 v127, 8, v127 :: v_dual_cndmask_b32 v129, v129, v137, vcc_lo
	v_cndmask_b32_e32 v128, v128, v136, vcc_lo
	v_cndmask_b32_e64 v126, v126, s0, vcc_lo
	s_add_co_i32 s0, s0, 1
	s_delay_alu instid0(SALU_CYCLE_1)
	s_cmp_lg_u32 s18, s0
	s_cbranch_scc1 .LBB118_442
.LBB118_443:
	s_wait_dscnt 0x0
	v_cmp_eq_f32_e32 vcc_lo, 0, v128
	v_cmp_eq_f32_e64 s0, 0, v129
	s_and_b32 s0, vcc_lo, s0
	s_delay_alu instid0(SALU_CYCLE_1) | instskip(NEXT) | instid1(SALU_CYCLE_1)
	s_and_saveexec_b32 s1, s0
	s_xor_b32 s0, exec_lo, s1
; %bb.444:
	v_cmp_ne_u32_e32 vcc_lo, 0, v132
	v_cndmask_b32_e32 v132, 22, v132, vcc_lo
; %bb.445:
	s_and_not1_saveexec_b32 s0, s0
	s_cbranch_execz .LBB118_451
; %bb.446:
	v_cmp_ngt_f32_e64 s1, |v128|, |v129|
	s_and_saveexec_b32 s12, s1
	s_delay_alu instid0(SALU_CYCLE_1)
	s_xor_b32 s1, exec_lo, s12
	s_cbranch_execz .LBB118_448
; %bb.447:
	v_div_scale_f32 v127, null, v129, v129, v128
	v_div_scale_f32 v137, vcc_lo, v128, v129, v128
	s_delay_alu instid0(VALU_DEP_2) | instskip(SKIP_1) | instid1(TRANS32_DEP_1)
	v_rcp_f32_e32 v135, v127
	v_nop
	v_fma_f32 v136, -v127, v135, 1.0
	s_delay_alu instid0(VALU_DEP_1) | instskip(NEXT) | instid1(VALU_DEP_1)
	v_fmac_f32_e32 v135, v136, v135
	v_mul_f32_e32 v136, v137, v135
	s_delay_alu instid0(VALU_DEP_1) | instskip(NEXT) | instid1(VALU_DEP_1)
	v_fma_f32 v138, -v127, v136, v137
	v_fmac_f32_e32 v136, v138, v135
	s_delay_alu instid0(VALU_DEP_1) | instskip(NEXT) | instid1(VALU_DEP_1)
	v_fma_f32 v127, -v127, v136, v137
	v_div_fmas_f32 v127, v127, v135, v136
	s_delay_alu instid0(VALU_DEP_1) | instskip(NEXT) | instid1(VALU_DEP_1)
	v_div_fixup_f32 v127, v127, v129, v128
	v_fmac_f32_e32 v129, v128, v127
	s_delay_alu instid0(VALU_DEP_1) | instskip(SKIP_1) | instid1(VALU_DEP_2)
	v_div_scale_f32 v128, null, v129, v129, 1.0
	v_div_scale_f32 v137, vcc_lo, 1.0, v129, 1.0
	v_rcp_f32_e32 v135, v128
	v_nop
	s_delay_alu instid0(TRANS32_DEP_1) | instskip(NEXT) | instid1(VALU_DEP_1)
	v_fma_f32 v136, -v128, v135, 1.0
	v_fmac_f32_e32 v135, v136, v135
	s_delay_alu instid0(VALU_DEP_1) | instskip(NEXT) | instid1(VALU_DEP_1)
	v_mul_f32_e32 v136, v137, v135
	v_fma_f32 v138, -v128, v136, v137
	s_delay_alu instid0(VALU_DEP_1) | instskip(NEXT) | instid1(VALU_DEP_1)
	v_fmac_f32_e32 v136, v138, v135
	v_fma_f32 v128, -v128, v136, v137
	s_delay_alu instid0(VALU_DEP_1) | instskip(NEXT) | instid1(VALU_DEP_1)
	v_div_fmas_f32 v128, v128, v135, v136
	v_div_fixup_f32 v129, v128, v129, 1.0
	s_delay_alu instid0(VALU_DEP_1)
	v_mul_f32_e32 v128, v127, v129
	v_xor_b32_e32 v129, 0x80000000, v129
.LBB118_448:
	s_and_not1_saveexec_b32 s1, s1
	s_cbranch_execz .LBB118_450
; %bb.449:
	s_delay_alu instid0(VALU_DEP_1) | instskip(SKIP_1) | instid1(VALU_DEP_2)
	v_div_scale_f32 v127, null, v128, v128, v129
	v_div_scale_f32 v137, vcc_lo, v129, v128, v129
	v_rcp_f32_e32 v135, v127
	v_nop
	s_delay_alu instid0(TRANS32_DEP_1) | instskip(NEXT) | instid1(VALU_DEP_1)
	v_fma_f32 v136, -v127, v135, 1.0
	v_fmac_f32_e32 v135, v136, v135
	s_delay_alu instid0(VALU_DEP_1) | instskip(NEXT) | instid1(VALU_DEP_1)
	v_mul_f32_e32 v136, v137, v135
	v_fma_f32 v138, -v127, v136, v137
	s_delay_alu instid0(VALU_DEP_1) | instskip(NEXT) | instid1(VALU_DEP_1)
	v_fmac_f32_e32 v136, v138, v135
	v_fma_f32 v127, -v127, v136, v137
	s_delay_alu instid0(VALU_DEP_1) | instskip(NEXT) | instid1(VALU_DEP_1)
	v_div_fmas_f32 v127, v127, v135, v136
	v_div_fixup_f32 v127, v127, v128, v129
	s_delay_alu instid0(VALU_DEP_1) | instskip(NEXT) | instid1(VALU_DEP_1)
	v_fmac_f32_e32 v128, v129, v127
	v_div_scale_f32 v129, null, v128, v128, 1.0
	s_delay_alu instid0(VALU_DEP_1) | instskip(SKIP_1) | instid1(TRANS32_DEP_1)
	v_rcp_f32_e32 v135, v129
	v_nop
	v_fma_f32 v136, -v129, v135, 1.0
	s_delay_alu instid0(VALU_DEP_1) | instskip(SKIP_1) | instid1(VALU_DEP_1)
	v_fmac_f32_e32 v135, v136, v135
	v_div_scale_f32 v136, vcc_lo, 1.0, v128, 1.0
	v_mul_f32_e32 v137, v136, v135
	s_delay_alu instid0(VALU_DEP_1) | instskip(NEXT) | instid1(VALU_DEP_1)
	v_fma_f32 v138, -v129, v137, v136
	v_fmac_f32_e32 v137, v138, v135
	s_delay_alu instid0(VALU_DEP_1) | instskip(NEXT) | instid1(VALU_DEP_1)
	v_fma_f32 v129, -v129, v137, v136
	v_div_fmas_f32 v129, v129, v135, v137
	s_delay_alu instid0(VALU_DEP_1) | instskip(NEXT) | instid1(VALU_DEP_1)
	v_div_fixup_f32 v128, v129, v128, 1.0
	v_mul_f32_e64 v129, v127, -v128
.LBB118_450:
	s_or_b32 exec_lo, exec_lo, s1
.LBB118_451:
	s_delay_alu instid0(SALU_CYCLE_1) | instskip(NEXT) | instid1(SALU_CYCLE_1)
	s_or_b32 exec_lo, exec_lo, s0
	s_mov_b32 s0, exec_lo
	v_cmpx_ne_u32_e64 v134, v126
	s_xor_b32 s0, exec_lo, s0
	s_cbranch_execz .LBB118_457
; %bb.452:
	s_mov_b32 s1, exec_lo
	v_cmpx_eq_u32_e32 21, v134
	s_cbranch_execz .LBB118_456
; %bb.453:
	v_cmp_ne_u32_e32 vcc_lo, 21, v126
	s_xor_b32 s12, s16, -1
	s_delay_alu instid0(SALU_CYCLE_1) | instskip(NEXT) | instid1(SALU_CYCLE_1)
	s_and_b32 s13, s12, vcc_lo
	s_and_saveexec_b32 s12, s13
	s_cbranch_execz .LBB118_455
; %bb.454:
	v_ashrrev_i32_e32 v127, 31, v126
	s_delay_alu instid0(VALU_DEP_1)
	v_lshl_add_u64 v[134:135], v[126:127], 2, v[4:5]
	s_clause 0x1
	global_load_b32 v127, v[134:135], off
	global_load_b32 v133, v[4:5], off offset:84
	s_wait_loadcnt 0x1
	global_store_b32 v[4:5], v127, off offset:84
	s_wait_loadcnt 0x0
	global_store_b32 v[134:135], v133, off
.LBB118_455:
	s_wait_xcnt 0x0
	s_or_b32 exec_lo, exec_lo, s12
	v_dual_mov_b32 v134, v126 :: v_dual_mov_b32 v133, v126
.LBB118_456:
	s_or_b32 exec_lo, exec_lo, s1
.LBB118_457:
	s_and_not1_saveexec_b32 s0, s0
	s_cbranch_execz .LBB118_459
; %bb.458:
	v_dual_mov_b32 v126, v88 :: v_dual_mov_b32 v127, v89
	v_dual_mov_b32 v134, v30 :: v_dual_mov_b32 v135, v31
	;; [unrolled: 1-line block ×4, first 2 shown]
	ds_store_2addr_b64 v130, v[126:127], v[134:135] offset0:22 offset1:23
	ds_store_2addr_b64 v130, v[136:137], v[138:139] offset0:24 offset1:25
	v_dual_mov_b32 v126, v82 :: v_dual_mov_b32 v127, v83
	v_dual_mov_b32 v134, v24 :: v_dual_mov_b32 v135, v25
	;; [unrolled: 1-line block ×12, first 2 shown]
	ds_store_2addr_b64 v130, v[126:127], v[134:135] offset0:26 offset1:27
	ds_store_2addr_b64 v130, v[136:137], v[138:139] offset0:28 offset1:29
	;; [unrolled: 1-line block ×6, first 2 shown]
	v_dual_mov_b32 v126, v64 :: v_dual_mov_b32 v127, v65
	v_dual_mov_b32 v134, v18 :: v_dual_mov_b32 v135, v19
	;; [unrolled: 1-line block ×12, first 2 shown]
	ds_store_2addr_b64 v130, v[126:127], v[134:135] offset0:38 offset1:39
	ds_store_2addr_b64 v130, v[136:137], v[138:139] offset0:40 offset1:41
	;; [unrolled: 1-line block ×6, first 2 shown]
	v_dual_mov_b32 v126, v48 :: v_dual_mov_b32 v127, v49
	v_dual_mov_b32 v136, v8 :: v_dual_mov_b32 v137, v9
	;; [unrolled: 1-line block ×9, first 2 shown]
	v_mov_b32_e32 v151, v15
	ds_store_2addr_b64 v130, v[126:127], v[136:137] offset0:50 offset1:51
	ds_store_2addr_b64 v130, v[138:139], v[140:141] offset0:52 offset1:53
	;; [unrolled: 1-line block ×5, first 2 shown]
.LBB118_459:
	s_or_b32 exec_lo, exec_lo, s0
	s_delay_alu instid0(SALU_CYCLE_1)
	s_mov_b32 s0, exec_lo
	s_wait_storecnt_dscnt 0x0
	s_barrier_signal -1
	s_barrier_wait -1
	v_cmpx_lt_i32_e32 21, v134
	s_cbranch_execz .LBB118_461
; %bb.460:
	v_pk_mul_f32 v[136:137], v[128:129], v[86:87] op_sel:[1,1] op_sel_hi:[0,1]
	s_delay_alu instid0(VALU_DEP_1)
	v_pk_fma_f32 v[126:127], v[128:129], v[86:87], v[136:137] op_sel_hi:[1,0,1] neg_lo:[0,0,1] neg_hi:[0,0,1]
	v_pk_fma_f32 v[128:129], v[128:129], v[86:87], v[136:137] op_sel_hi:[1,0,1]
	ds_load_2addr_b64 v[136:139], v130 offset0:22 offset1:23
	v_dual_mov_b32 v86, v126 :: v_dual_mov_b32 v87, v129
	s_wait_dscnt 0x0
	v_pk_mul_f32 v[140:141], v[136:137], v[128:129] op_sel:[0,1]
	s_delay_alu instid0(VALU_DEP_1) | instskip(SKIP_1) | instid1(VALU_DEP_1)
	v_pk_fma_f32 v[142:143], v[136:137], v[126:127], v[140:141] op_sel:[0,0,1] op_sel_hi:[1,1,0] neg_lo:[0,0,1] neg_hi:[0,0,1]
	v_pk_fma_f32 v[136:137], v[136:137], v[126:127], v[140:141] op_sel:[0,0,1] op_sel_hi:[1,0,0]
	v_mov_b32_e32 v143, v137
	v_pk_mul_f32 v[136:137], v[138:139], v[128:129] op_sel:[0,1]
	s_delay_alu instid0(VALU_DEP_1) | instskip(SKIP_1) | instid1(VALU_DEP_1)
	v_pk_fma_f32 v[140:141], v[138:139], v[126:127], v[136:137] op_sel:[0,0,1] op_sel_hi:[1,1,0] neg_lo:[0,0,1] neg_hi:[0,0,1]
	v_pk_fma_f32 v[136:137], v[138:139], v[126:127], v[136:137] op_sel:[0,0,1] op_sel_hi:[1,0,0]
	v_mov_b32_e32 v141, v137
	ds_load_2addr_b64 v[136:139], v130 offset0:24 offset1:25
	v_pk_add_f32 v[88:89], v[88:89], v[142:143] neg_lo:[0,1] neg_hi:[0,1]
	v_pk_add_f32 v[30:31], v[30:31], v[140:141] neg_lo:[0,1] neg_hi:[0,1]
	s_wait_dscnt 0x0
	v_pk_mul_f32 v[140:141], v[136:137], v[128:129] op_sel:[0,1]
	s_delay_alu instid0(VALU_DEP_1) | instskip(SKIP_2) | instid1(VALU_DEP_2)
	v_pk_fma_f32 v[142:143], v[136:137], v[126:127], v[140:141] op_sel:[0,0,1] op_sel_hi:[1,1,0] neg_lo:[0,0,1] neg_hi:[0,0,1]
	v_pk_fma_f32 v[136:137], v[136:137], v[126:127], v[140:141] op_sel:[0,0,1] op_sel_hi:[1,0,0]
	v_dual_mul_f32 v140, v139, v129 :: v_dual_mov_b32 v136, v139
	v_dual_mov_b32 v143, v137 :: v_dual_mov_b32 v137, v138
	s_delay_alu instid0(VALU_DEP_2) | instskip(SKIP_1) | instid1(VALU_DEP_3)
	v_pk_fma_f32 v[140:141], v[138:139], v[86:87], v[140:141] op_sel_hi:[1,1,0] neg_lo:[0,0,1] neg_hi:[0,0,1]
	v_mul_f32_e32 v138, v139, v126
	v_pk_add_f32 v[84:85], v[84:85], v[142:143] neg_lo:[0,1] neg_hi:[0,1]
	s_delay_alu instid0(VALU_DEP_2) | instskip(NEXT) | instid1(VALU_DEP_1)
	v_pk_fma_f32 v[136:137], v[136:137], v[86:87], v[138:139] op_sel_hi:[1,1,0]
	v_mov_b32_e32 v141, v137
	ds_load_2addr_b64 v[136:139], v130 offset0:26 offset1:27
	v_pk_add_f32 v[80:81], v[80:81], v[140:141] neg_lo:[0,1] neg_hi:[0,1]
	s_wait_dscnt 0x0
	v_pk_mul_f32 v[140:141], v[136:137], v[128:129] op_sel:[0,1]
	s_delay_alu instid0(VALU_DEP_1) | instskip(SKIP_1) | instid1(VALU_DEP_1)
	v_pk_fma_f32 v[142:143], v[136:137], v[126:127], v[140:141] op_sel:[0,0,1] op_sel_hi:[1,1,0] neg_lo:[0,0,1] neg_hi:[0,0,1]
	v_pk_fma_f32 v[136:137], v[136:137], v[126:127], v[140:141] op_sel:[0,0,1] op_sel_hi:[1,0,0]
	v_mov_b32_e32 v143, v137
	v_pk_mul_f32 v[136:137], v[138:139], v[128:129] op_sel:[0,1]
	s_delay_alu instid0(VALU_DEP_1) | instskip(SKIP_1) | instid1(VALU_DEP_1)
	v_pk_fma_f32 v[140:141], v[138:139], v[126:127], v[136:137] op_sel:[0,0,1] op_sel_hi:[1,1,0] neg_lo:[0,0,1] neg_hi:[0,0,1]
	v_pk_fma_f32 v[136:137], v[138:139], v[126:127], v[136:137] op_sel:[0,0,1] op_sel_hi:[1,0,0]
	v_mov_b32_e32 v141, v137
	ds_load_2addr_b64 v[136:139], v130 offset0:28 offset1:29
	v_pk_add_f32 v[82:83], v[82:83], v[142:143] neg_lo:[0,1] neg_hi:[0,1]
	v_pk_add_f32 v[24:25], v[24:25], v[140:141] neg_lo:[0,1] neg_hi:[0,1]
	s_wait_dscnt 0x0
	v_pk_mul_f32 v[140:141], v[136:137], v[128:129] op_sel:[0,1]
	s_delay_alu instid0(VALU_DEP_1) | instskip(SKIP_1) | instid1(VALU_DEP_1)
	v_pk_fma_f32 v[142:143], v[136:137], v[126:127], v[140:141] op_sel:[0,0,1] op_sel_hi:[1,1,0] neg_lo:[0,0,1] neg_hi:[0,0,1]
	v_pk_fma_f32 v[136:137], v[136:137], v[126:127], v[140:141] op_sel:[0,0,1] op_sel_hi:[1,0,0]
	v_mov_b32_e32 v143, v137
	v_pk_mul_f32 v[136:137], v[138:139], v[128:129] op_sel:[0,1]
	s_delay_alu instid0(VALU_DEP_1) | instskip(SKIP_1) | instid1(VALU_DEP_1)
	v_pk_fma_f32 v[140:141], v[138:139], v[126:127], v[136:137] op_sel:[0,0,1] op_sel_hi:[1,1,0] neg_lo:[0,0,1] neg_hi:[0,0,1]
	v_pk_fma_f32 v[136:137], v[138:139], v[126:127], v[136:137] op_sel:[0,0,1] op_sel_hi:[1,0,0]
	v_mov_b32_e32 v141, v137
	ds_load_2addr_b64 v[136:139], v130 offset0:30 offset1:31
	v_pk_add_f32 v[78:79], v[78:79], v[142:143] neg_lo:[0,1] neg_hi:[0,1]
	v_pk_add_f32 v[74:75], v[74:75], v[140:141] neg_lo:[0,1] neg_hi:[0,1]
	s_wait_dscnt 0x0
	v_dual_mul_f32 v140, v137, v129 :: v_dual_mul_f32 v142, v137, v126
	s_delay_alu instid0(VALU_DEP_1) | instskip(NEXT) | instid1(VALU_DEP_2)
	v_pk_fma_f32 v[140:141], v[136:137], v[86:87], v[140:141] op_sel_hi:[1,1,0] neg_lo:[0,0,1] neg_hi:[0,0,1]
	v_pk_fma_f32 v[136:137], v[136:137], v[86:87], v[142:143] op_sel:[1,0,0] op_sel_hi:[0,1,0]
	s_delay_alu instid0(VALU_DEP_1) | instskip(SKIP_1) | instid1(VALU_DEP_2)
	v_mov_b32_e32 v141, v137
	v_pk_mul_f32 v[136:137], v[138:139], v[128:129] op_sel:[0,1]
	v_pk_add_f32 v[76:77], v[76:77], v[140:141] neg_lo:[0,1] neg_hi:[0,1]
	s_delay_alu instid0(VALU_DEP_2) | instskip(SKIP_1) | instid1(VALU_DEP_1)
	v_pk_fma_f32 v[140:141], v[138:139], v[126:127], v[136:137] op_sel:[0,0,1] op_sel_hi:[1,1,0] neg_lo:[0,0,1] neg_hi:[0,0,1]
	v_pk_fma_f32 v[136:137], v[138:139], v[126:127], v[136:137] op_sel:[0,0,1] op_sel_hi:[1,0,0]
	v_mov_b32_e32 v141, v137
	ds_load_2addr_b64 v[136:139], v130 offset0:32 offset1:33
	v_pk_add_f32 v[22:23], v[22:23], v[140:141] neg_lo:[0,1] neg_hi:[0,1]
	s_wait_dscnt 0x0
	v_pk_mul_f32 v[140:141], v[136:137], v[128:129] op_sel:[0,1]
	s_delay_alu instid0(VALU_DEP_1) | instskip(SKIP_1) | instid1(VALU_DEP_1)
	v_pk_fma_f32 v[142:143], v[136:137], v[126:127], v[140:141] op_sel:[0,0,1] op_sel_hi:[1,1,0] neg_lo:[0,0,1] neg_hi:[0,0,1]
	v_pk_fma_f32 v[136:137], v[136:137], v[126:127], v[140:141] op_sel:[0,0,1] op_sel_hi:[1,0,0]
	v_mov_b32_e32 v143, v137
	v_pk_mul_f32 v[136:137], v[138:139], v[128:129] op_sel:[0,1]
	s_delay_alu instid0(VALU_DEP_2) | instskip(NEXT) | instid1(VALU_DEP_2)
	v_pk_add_f32 v[72:73], v[72:73], v[142:143] neg_lo:[0,1] neg_hi:[0,1]
	v_pk_fma_f32 v[140:141], v[138:139], v[126:127], v[136:137] op_sel:[0,0,1] op_sel_hi:[1,1,0] neg_lo:[0,0,1] neg_hi:[0,0,1]
	v_pk_fma_f32 v[136:137], v[138:139], v[126:127], v[136:137] op_sel:[0,0,1] op_sel_hi:[1,0,0]
	s_delay_alu instid0(VALU_DEP_1) | instskip(SKIP_4) | instid1(VALU_DEP_1)
	v_mov_b32_e32 v141, v137
	ds_load_2addr_b64 v[136:139], v130 offset0:34 offset1:35
	v_pk_add_f32 v[68:69], v[68:69], v[140:141] neg_lo:[0,1] neg_hi:[0,1]
	s_wait_dscnt 0x0
	v_pk_mul_f32 v[140:141], v[136:137], v[128:129] op_sel:[0,1]
	v_pk_fma_f32 v[142:143], v[136:137], v[126:127], v[140:141] op_sel:[0,0,1] op_sel_hi:[1,1,0] neg_lo:[0,0,1] neg_hi:[0,0,1]
	v_pk_fma_f32 v[136:137], v[136:137], v[126:127], v[140:141] op_sel:[0,0,1] op_sel_hi:[1,0,0]
	v_dual_mul_f32 v140, v139, v129 :: v_dual_mov_b32 v136, v139
	s_delay_alu instid0(VALU_DEP_2) | instskip(NEXT) | instid1(VALU_DEP_2)
	v_dual_mov_b32 v143, v137 :: v_dual_mov_b32 v137, v138
	v_pk_fma_f32 v[140:141], v[138:139], v[86:87], v[140:141] op_sel_hi:[1,1,0] neg_lo:[0,0,1] neg_hi:[0,0,1]
	v_mul_f32_e32 v138, v139, v126
	s_delay_alu instid0(VALU_DEP_3) | instskip(NEXT) | instid1(VALU_DEP_2)
	v_pk_add_f32 v[70:71], v[70:71], v[142:143] neg_lo:[0,1] neg_hi:[0,1]
	v_pk_fma_f32 v[136:137], v[136:137], v[86:87], v[138:139] op_sel_hi:[1,1,0]
	s_delay_alu instid0(VALU_DEP_1) | instskip(SKIP_4) | instid1(VALU_DEP_1)
	v_mov_b32_e32 v141, v137
	ds_load_2addr_b64 v[136:139], v130 offset0:36 offset1:37
	v_pk_add_f32 v[20:21], v[20:21], v[140:141] neg_lo:[0,1] neg_hi:[0,1]
	s_wait_dscnt 0x0
	v_pk_mul_f32 v[140:141], v[136:137], v[128:129] op_sel:[0,1]
	v_pk_fma_f32 v[142:143], v[136:137], v[126:127], v[140:141] op_sel:[0,0,1] op_sel_hi:[1,1,0] neg_lo:[0,0,1] neg_hi:[0,0,1]
	v_pk_fma_f32 v[136:137], v[136:137], v[126:127], v[140:141] op_sel:[0,0,1] op_sel_hi:[1,0,0]
	s_delay_alu instid0(VALU_DEP_1) | instskip(SKIP_1) | instid1(VALU_DEP_1)
	v_mov_b32_e32 v143, v137
	v_pk_mul_f32 v[136:137], v[138:139], v[128:129] op_sel:[0,1]
	v_pk_fma_f32 v[140:141], v[138:139], v[126:127], v[136:137] op_sel:[0,0,1] op_sel_hi:[1,1,0] neg_lo:[0,0,1] neg_hi:[0,0,1]
	v_pk_fma_f32 v[136:137], v[138:139], v[126:127], v[136:137] op_sel:[0,0,1] op_sel_hi:[1,0,0]
	s_delay_alu instid0(VALU_DEP_1)
	v_mov_b32_e32 v141, v137
	ds_load_2addr_b64 v[136:139], v130 offset0:38 offset1:39
	v_pk_add_f32 v[66:67], v[66:67], v[142:143] neg_lo:[0,1] neg_hi:[0,1]
	v_pk_add_f32 v[62:63], v[62:63], v[140:141] neg_lo:[0,1] neg_hi:[0,1]
	s_wait_dscnt 0x0
	v_pk_mul_f32 v[140:141], v[136:137], v[128:129] op_sel:[0,1]
	s_delay_alu instid0(VALU_DEP_1) | instskip(SKIP_1) | instid1(VALU_DEP_1)
	v_pk_fma_f32 v[142:143], v[136:137], v[126:127], v[140:141] op_sel:[0,0,1] op_sel_hi:[1,1,0] neg_lo:[0,0,1] neg_hi:[0,0,1]
	v_pk_fma_f32 v[136:137], v[136:137], v[126:127], v[140:141] op_sel:[0,0,1] op_sel_hi:[1,0,0]
	v_mov_b32_e32 v143, v137
	v_pk_mul_f32 v[136:137], v[138:139], v[128:129] op_sel:[0,1]
	s_delay_alu instid0(VALU_DEP_1) | instskip(SKIP_1) | instid1(VALU_DEP_1)
	v_pk_fma_f32 v[140:141], v[138:139], v[126:127], v[136:137] op_sel:[0,0,1] op_sel_hi:[1,1,0] neg_lo:[0,0,1] neg_hi:[0,0,1]
	v_pk_fma_f32 v[136:137], v[138:139], v[126:127], v[136:137] op_sel:[0,0,1] op_sel_hi:[1,0,0]
	v_mov_b32_e32 v141, v137
	ds_load_2addr_b64 v[136:139], v130 offset0:40 offset1:41
	v_pk_add_f32 v[64:65], v[64:65], v[142:143] neg_lo:[0,1] neg_hi:[0,1]
	v_pk_add_f32 v[18:19], v[18:19], v[140:141] neg_lo:[0,1] neg_hi:[0,1]
	s_wait_dscnt 0x0
	v_dual_mul_f32 v140, v137, v129 :: v_dual_mul_f32 v142, v137, v126
	s_delay_alu instid0(VALU_DEP_1) | instskip(NEXT) | instid1(VALU_DEP_2)
	v_pk_fma_f32 v[140:141], v[136:137], v[86:87], v[140:141] op_sel_hi:[1,1,0] neg_lo:[0,0,1] neg_hi:[0,0,1]
	v_pk_fma_f32 v[136:137], v[136:137], v[86:87], v[142:143] op_sel:[1,0,0] op_sel_hi:[0,1,0]
	s_delay_alu instid0(VALU_DEP_1) | instskip(SKIP_1) | instid1(VALU_DEP_2)
	v_mov_b32_e32 v141, v137
	v_pk_mul_f32 v[136:137], v[138:139], v[128:129] op_sel:[0,1]
	v_pk_add_f32 v[60:61], v[60:61], v[140:141] neg_lo:[0,1] neg_hi:[0,1]
	s_delay_alu instid0(VALU_DEP_2) | instskip(SKIP_1) | instid1(VALU_DEP_1)
	v_pk_fma_f32 v[140:141], v[138:139], v[126:127], v[136:137] op_sel:[0,0,1] op_sel_hi:[1,1,0] neg_lo:[0,0,1] neg_hi:[0,0,1]
	v_pk_fma_f32 v[136:137], v[138:139], v[126:127], v[136:137] op_sel:[0,0,1] op_sel_hi:[1,0,0]
	v_mov_b32_e32 v141, v137
	ds_load_2addr_b64 v[136:139], v130 offset0:42 offset1:43
	v_pk_add_f32 v[56:57], v[56:57], v[140:141] neg_lo:[0,1] neg_hi:[0,1]
	s_wait_dscnt 0x0
	v_pk_mul_f32 v[140:141], v[136:137], v[128:129] op_sel:[0,1]
	s_delay_alu instid0(VALU_DEP_1) | instskip(SKIP_1) | instid1(VALU_DEP_1)
	v_pk_fma_f32 v[142:143], v[136:137], v[126:127], v[140:141] op_sel:[0,0,1] op_sel_hi:[1,1,0] neg_lo:[0,0,1] neg_hi:[0,0,1]
	v_pk_fma_f32 v[136:137], v[136:137], v[126:127], v[140:141] op_sel:[0,0,1] op_sel_hi:[1,0,0]
	v_mov_b32_e32 v143, v137
	v_pk_mul_f32 v[136:137], v[138:139], v[128:129] op_sel:[0,1]
	s_delay_alu instid0(VALU_DEP_2) | instskip(NEXT) | instid1(VALU_DEP_2)
	v_pk_add_f32 v[58:59], v[58:59], v[142:143] neg_lo:[0,1] neg_hi:[0,1]
	v_pk_fma_f32 v[140:141], v[138:139], v[126:127], v[136:137] op_sel:[0,0,1] op_sel_hi:[1,1,0] neg_lo:[0,0,1] neg_hi:[0,0,1]
	v_pk_fma_f32 v[136:137], v[138:139], v[126:127], v[136:137] op_sel:[0,0,1] op_sel_hi:[1,0,0]
	s_delay_alu instid0(VALU_DEP_1) | instskip(SKIP_4) | instid1(VALU_DEP_1)
	v_mov_b32_e32 v141, v137
	ds_load_2addr_b64 v[136:139], v130 offset0:44 offset1:45
	v_pk_add_f32 v[12:13], v[12:13], v[140:141] neg_lo:[0,1] neg_hi:[0,1]
	s_wait_dscnt 0x0
	v_pk_mul_f32 v[140:141], v[136:137], v[128:129] op_sel:[0,1]
	v_pk_fma_f32 v[142:143], v[136:137], v[126:127], v[140:141] op_sel:[0,0,1] op_sel_hi:[1,1,0] neg_lo:[0,0,1] neg_hi:[0,0,1]
	v_pk_fma_f32 v[136:137], v[136:137], v[126:127], v[140:141] op_sel:[0,0,1] op_sel_hi:[1,0,0]
	v_dual_mul_f32 v140, v139, v129 :: v_dual_mov_b32 v136, v139
	s_delay_alu instid0(VALU_DEP_2) | instskip(NEXT) | instid1(VALU_DEP_2)
	v_dual_mov_b32 v143, v137 :: v_dual_mov_b32 v137, v138
	v_pk_fma_f32 v[140:141], v[138:139], v[86:87], v[140:141] op_sel_hi:[1,1,0] neg_lo:[0,0,1] neg_hi:[0,0,1]
	v_mul_f32_e32 v138, v139, v126
	s_delay_alu instid0(VALU_DEP_3) | instskip(NEXT) | instid1(VALU_DEP_2)
	v_pk_add_f32 v[54:55], v[54:55], v[142:143] neg_lo:[0,1] neg_hi:[0,1]
	v_pk_fma_f32 v[136:137], v[136:137], v[86:87], v[138:139] op_sel_hi:[1,1,0]
	s_delay_alu instid0(VALU_DEP_1) | instskip(SKIP_4) | instid1(VALU_DEP_1)
	v_mov_b32_e32 v141, v137
	ds_load_2addr_b64 v[136:139], v130 offset0:46 offset1:47
	v_pk_add_f32 v[50:51], v[50:51], v[140:141] neg_lo:[0,1] neg_hi:[0,1]
	s_wait_dscnt 0x0
	v_pk_mul_f32 v[140:141], v[136:137], v[128:129] op_sel:[0,1]
	v_pk_fma_f32 v[142:143], v[136:137], v[126:127], v[140:141] op_sel:[0,0,1] op_sel_hi:[1,1,0] neg_lo:[0,0,1] neg_hi:[0,0,1]
	v_pk_fma_f32 v[136:137], v[136:137], v[126:127], v[140:141] op_sel:[0,0,1] op_sel_hi:[1,0,0]
	s_delay_alu instid0(VALU_DEP_1) | instskip(SKIP_1) | instid1(VALU_DEP_1)
	v_mov_b32_e32 v143, v137
	v_pk_mul_f32 v[136:137], v[138:139], v[128:129] op_sel:[0,1]
	v_pk_fma_f32 v[140:141], v[138:139], v[126:127], v[136:137] op_sel:[0,0,1] op_sel_hi:[1,1,0] neg_lo:[0,0,1] neg_hi:[0,0,1]
	v_pk_fma_f32 v[136:137], v[138:139], v[126:127], v[136:137] op_sel:[0,0,1] op_sel_hi:[1,0,0]
	s_delay_alu instid0(VALU_DEP_1)
	v_mov_b32_e32 v141, v137
	ds_load_2addr_b64 v[136:139], v130 offset0:48 offset1:49
	v_pk_add_f32 v[52:53], v[52:53], v[142:143] neg_lo:[0,1] neg_hi:[0,1]
	v_pk_add_f32 v[10:11], v[10:11], v[140:141] neg_lo:[0,1] neg_hi:[0,1]
	s_wait_dscnt 0x0
	v_pk_mul_f32 v[140:141], v[136:137], v[128:129] op_sel:[0,1]
	s_delay_alu instid0(VALU_DEP_1) | instskip(SKIP_1) | instid1(VALU_DEP_1)
	v_pk_fma_f32 v[142:143], v[136:137], v[126:127], v[140:141] op_sel:[0,0,1] op_sel_hi:[1,1,0] neg_lo:[0,0,1] neg_hi:[0,0,1]
	v_pk_fma_f32 v[136:137], v[136:137], v[126:127], v[140:141] op_sel:[0,0,1] op_sel_hi:[1,0,0]
	v_mov_b32_e32 v143, v137
	v_pk_mul_f32 v[136:137], v[138:139], v[128:129] op_sel:[0,1]
	s_delay_alu instid0(VALU_DEP_1) | instskip(SKIP_1) | instid1(VALU_DEP_1)
	v_pk_fma_f32 v[140:141], v[138:139], v[126:127], v[136:137] op_sel:[0,0,1] op_sel_hi:[1,1,0] neg_lo:[0,0,1] neg_hi:[0,0,1]
	v_pk_fma_f32 v[136:137], v[138:139], v[126:127], v[136:137] op_sel:[0,0,1] op_sel_hi:[1,0,0]
	v_mov_b32_e32 v141, v137
	ds_load_2addr_b64 v[136:139], v130 offset0:50 offset1:51
	v_pk_add_f32 v[46:47], v[46:47], v[142:143] neg_lo:[0,1] neg_hi:[0,1]
	v_pk_add_f32 v[44:45], v[44:45], v[140:141] neg_lo:[0,1] neg_hi:[0,1]
	s_wait_dscnt 0x0
	v_dual_mul_f32 v140, v137, v129 :: v_dual_mul_f32 v142, v137, v126
	s_delay_alu instid0(VALU_DEP_1) | instskip(NEXT) | instid1(VALU_DEP_2)
	v_pk_fma_f32 v[140:141], v[136:137], v[86:87], v[140:141] op_sel_hi:[1,1,0] neg_lo:[0,0,1] neg_hi:[0,0,1]
	v_pk_fma_f32 v[136:137], v[136:137], v[86:87], v[142:143] op_sel:[1,0,0] op_sel_hi:[0,1,0]
	s_delay_alu instid0(VALU_DEP_1) | instskip(SKIP_1) | instid1(VALU_DEP_2)
	v_mov_b32_e32 v141, v137
	v_pk_mul_f32 v[136:137], v[138:139], v[128:129] op_sel:[0,1]
	v_pk_add_f32 v[48:49], v[48:49], v[140:141] neg_lo:[0,1] neg_hi:[0,1]
	s_delay_alu instid0(VALU_DEP_2) | instskip(SKIP_1) | instid1(VALU_DEP_1)
	v_pk_fma_f32 v[140:141], v[138:139], v[126:127], v[136:137] op_sel:[0,0,1] op_sel_hi:[1,1,0] neg_lo:[0,0,1] neg_hi:[0,0,1]
	v_pk_fma_f32 v[136:137], v[138:139], v[126:127], v[136:137] op_sel:[0,0,1] op_sel_hi:[1,0,0]
	v_mov_b32_e32 v141, v137
	ds_load_2addr_b64 v[136:139], v130 offset0:52 offset1:53
	v_pk_add_f32 v[8:9], v[8:9], v[140:141] neg_lo:[0,1] neg_hi:[0,1]
	s_wait_dscnt 0x0
	v_pk_mul_f32 v[140:141], v[136:137], v[128:129] op_sel:[0,1]
	s_delay_alu instid0(VALU_DEP_1) | instskip(SKIP_1) | instid1(VALU_DEP_1)
	v_pk_fma_f32 v[142:143], v[136:137], v[126:127], v[140:141] op_sel:[0,0,1] op_sel_hi:[1,1,0] neg_lo:[0,0,1] neg_hi:[0,0,1]
	v_pk_fma_f32 v[136:137], v[136:137], v[126:127], v[140:141] op_sel:[0,0,1] op_sel_hi:[1,0,0]
	v_mov_b32_e32 v143, v137
	v_pk_mul_f32 v[136:137], v[138:139], v[128:129] op_sel:[0,1]
	s_delay_alu instid0(VALU_DEP_2) | instskip(NEXT) | instid1(VALU_DEP_2)
	v_pk_add_f32 v[34:35], v[34:35], v[142:143] neg_lo:[0,1] neg_hi:[0,1]
	v_pk_fma_f32 v[140:141], v[138:139], v[126:127], v[136:137] op_sel:[0,0,1] op_sel_hi:[1,1,0] neg_lo:[0,0,1] neg_hi:[0,0,1]
	v_pk_fma_f32 v[136:137], v[138:139], v[126:127], v[136:137] op_sel:[0,0,1] op_sel_hi:[1,0,0]
	s_delay_alu instid0(VALU_DEP_1) | instskip(SKIP_4) | instid1(VALU_DEP_1)
	v_mov_b32_e32 v141, v137
	ds_load_2addr_b64 v[136:139], v130 offset0:54 offset1:55
	v_pk_add_f32 v[28:29], v[28:29], v[140:141] neg_lo:[0,1] neg_hi:[0,1]
	s_wait_dscnt 0x0
	v_pk_mul_f32 v[140:141], v[136:137], v[128:129] op_sel:[0,1]
	v_pk_fma_f32 v[142:143], v[136:137], v[126:127], v[140:141] op_sel:[0,0,1] op_sel_hi:[1,1,0] neg_lo:[0,0,1] neg_hi:[0,0,1]
	v_pk_fma_f32 v[136:137], v[136:137], v[126:127], v[140:141] op_sel:[0,0,1] op_sel_hi:[1,0,0]
	v_dual_mul_f32 v140, v139, v129 :: v_dual_mov_b32 v136, v139
	s_delay_alu instid0(VALU_DEP_2) | instskip(NEXT) | instid1(VALU_DEP_2)
	v_dual_mov_b32 v143, v137 :: v_dual_mov_b32 v137, v138
	v_pk_fma_f32 v[140:141], v[138:139], v[86:87], v[140:141] op_sel_hi:[1,1,0] neg_lo:[0,0,1] neg_hi:[0,0,1]
	v_mul_f32_e32 v138, v139, v126
	s_delay_alu instid0(VALU_DEP_3) | instskip(NEXT) | instid1(VALU_DEP_2)
	v_pk_add_f32 v[32:33], v[32:33], v[142:143] neg_lo:[0,1] neg_hi:[0,1]
	v_pk_fma_f32 v[136:137], v[136:137], v[86:87], v[138:139] op_sel_hi:[1,1,0]
	s_delay_alu instid0(VALU_DEP_1) | instskip(SKIP_4) | instid1(VALU_DEP_1)
	v_mov_b32_e32 v141, v137
	ds_load_2addr_b64 v[136:139], v130 offset0:56 offset1:57
	v_pk_add_f32 v[6:7], v[6:7], v[140:141] neg_lo:[0,1] neg_hi:[0,1]
	s_wait_dscnt 0x0
	v_pk_mul_f32 v[140:141], v[136:137], v[128:129] op_sel:[0,1]
	v_pk_fma_f32 v[142:143], v[136:137], v[126:127], v[140:141] op_sel:[0,0,1] op_sel_hi:[1,1,0] neg_lo:[0,0,1] neg_hi:[0,0,1]
	v_pk_fma_f32 v[136:137], v[136:137], v[126:127], v[140:141] op_sel:[0,0,1] op_sel_hi:[1,0,0]
	s_delay_alu instid0(VALU_DEP_1) | instskip(SKIP_1) | instid1(VALU_DEP_1)
	v_mov_b32_e32 v143, v137
	v_pk_mul_f32 v[136:137], v[138:139], v[128:129] op_sel:[0,1]
	v_pk_fma_f32 v[140:141], v[138:139], v[126:127], v[136:137] op_sel:[0,0,1] op_sel_hi:[1,1,0] neg_lo:[0,0,1] neg_hi:[0,0,1]
	v_pk_fma_f32 v[136:137], v[138:139], v[126:127], v[136:137] op_sel:[0,0,1] op_sel_hi:[1,0,0]
	s_delay_alu instid0(VALU_DEP_1)
	v_mov_b32_e32 v141, v137
	ds_load_2addr_b64 v[136:139], v130 offset0:58 offset1:59
	v_pk_add_f32 v[26:27], v[26:27], v[142:143] neg_lo:[0,1] neg_hi:[0,1]
	v_pk_add_f32 v[16:17], v[16:17], v[140:141] neg_lo:[0,1] neg_hi:[0,1]
	s_wait_dscnt 0x0
	v_pk_mul_f32 v[140:141], v[136:137], v[128:129] op_sel:[0,1]
	v_pk_mul_f32 v[128:129], v[138:139], v[128:129] op_sel:[0,1]
	s_delay_alu instid0(VALU_DEP_2) | instskip(SKIP_1) | instid1(VALU_DEP_1)
	v_pk_fma_f32 v[142:143], v[136:137], v[126:127], v[140:141] op_sel:[0,0,1] op_sel_hi:[1,1,0] neg_lo:[0,0,1] neg_hi:[0,0,1]
	v_pk_fma_f32 v[136:137], v[136:137], v[126:127], v[140:141] op_sel:[0,0,1] op_sel_hi:[1,0,0]
	v_mov_b32_e32 v143, v137
	s_delay_alu instid0(VALU_DEP_4) | instskip(SKIP_1) | instid1(VALU_DEP_1)
	v_pk_fma_f32 v[136:137], v[138:139], v[126:127], v[128:129] op_sel:[0,0,1] op_sel_hi:[1,1,0] neg_lo:[0,0,1] neg_hi:[0,0,1]
	v_pk_fma_f32 v[126:127], v[138:139], v[126:127], v[128:129] op_sel:[0,0,1] op_sel_hi:[1,0,0]
	v_mov_b32_e32 v137, v127
	s_delay_alu instid0(VALU_DEP_4) | instskip(NEXT) | instid1(VALU_DEP_2)
	v_pk_add_f32 v[14:15], v[14:15], v[142:143] neg_lo:[0,1] neg_hi:[0,1]
	v_pk_add_f32 v[124:125], v[124:125], v[136:137] neg_lo:[0,1] neg_hi:[0,1]
.LBB118_461:
	s_or_b32 exec_lo, exec_lo, s0
	v_lshl_add_u32 v126, v134, 3, v130
	s_barrier_signal -1
	s_barrier_wait -1
	ds_store_b64 v126, v[88:89]
	s_wait_dscnt 0x0
	s_barrier_signal -1
	s_barrier_wait -1
	ds_load_b64 v[128:129], v130 offset:176
	v_mov_b32_e32 v126, 22
	s_cmp_lt_i32 s18, 24
	s_cbranch_scc1 .LBB118_464
; %bb.462:
	v_add3_u32 v127, v131, 0, 0xb8
	v_mov_b32_e32 v126, 22
	s_mov_b32 s0, 23
.LBB118_463:                            ; =>This Inner Loop Header: Depth=1
	ds_load_b64 v[136:137], v127
	s_wait_dscnt 0x1
	v_cmp_gt_f32_e32 vcc_lo, 0, v128
	v_cndmask_b32_e64 v138, v128, -v128, vcc_lo
	v_cmp_gt_f32_e32 vcc_lo, 0, v129
	v_cndmask_b32_e64 v140, v129, -v129, vcc_lo
	s_wait_dscnt 0x0
	v_cmp_gt_f32_e32 vcc_lo, 0, v136
	v_cndmask_b32_e64 v139, v136, -v136, vcc_lo
	v_cmp_gt_f32_e32 vcc_lo, 0, v137
	v_cndmask_b32_e64 v141, v137, -v137, vcc_lo
	s_delay_alu instid0(VALU_DEP_1) | instskip(NEXT) | instid1(VALU_DEP_1)
	v_pk_add_f32 v[138:139], v[138:139], v[140:141]
	v_cmp_lt_f32_e32 vcc_lo, v138, v139
	v_dual_add_nc_u32 v127, 8, v127 :: v_dual_cndmask_b32 v129, v129, v137, vcc_lo
	v_cndmask_b32_e32 v128, v128, v136, vcc_lo
	v_cndmask_b32_e64 v126, v126, s0, vcc_lo
	s_add_co_i32 s0, s0, 1
	s_delay_alu instid0(SALU_CYCLE_1)
	s_cmp_lg_u32 s18, s0
	s_cbranch_scc1 .LBB118_463
.LBB118_464:
	s_wait_dscnt 0x0
	v_cmp_eq_f32_e32 vcc_lo, 0, v128
	v_cmp_eq_f32_e64 s0, 0, v129
	s_and_b32 s0, vcc_lo, s0
	s_delay_alu instid0(SALU_CYCLE_1) | instskip(NEXT) | instid1(SALU_CYCLE_1)
	s_and_saveexec_b32 s1, s0
	s_xor_b32 s0, exec_lo, s1
; %bb.465:
	v_cmp_ne_u32_e32 vcc_lo, 0, v132
	v_cndmask_b32_e32 v132, 23, v132, vcc_lo
; %bb.466:
	s_and_not1_saveexec_b32 s0, s0
	s_cbranch_execz .LBB118_472
; %bb.467:
	v_cmp_ngt_f32_e64 s1, |v128|, |v129|
	s_and_saveexec_b32 s12, s1
	s_delay_alu instid0(SALU_CYCLE_1)
	s_xor_b32 s1, exec_lo, s12
	s_cbranch_execz .LBB118_469
; %bb.468:
	v_div_scale_f32 v127, null, v129, v129, v128
	v_div_scale_f32 v137, vcc_lo, v128, v129, v128
	s_delay_alu instid0(VALU_DEP_2) | instskip(SKIP_1) | instid1(TRANS32_DEP_1)
	v_rcp_f32_e32 v135, v127
	v_nop
	v_fma_f32 v136, -v127, v135, 1.0
	s_delay_alu instid0(VALU_DEP_1) | instskip(NEXT) | instid1(VALU_DEP_1)
	v_fmac_f32_e32 v135, v136, v135
	v_mul_f32_e32 v136, v137, v135
	s_delay_alu instid0(VALU_DEP_1) | instskip(NEXT) | instid1(VALU_DEP_1)
	v_fma_f32 v138, -v127, v136, v137
	v_fmac_f32_e32 v136, v138, v135
	s_delay_alu instid0(VALU_DEP_1) | instskip(NEXT) | instid1(VALU_DEP_1)
	v_fma_f32 v127, -v127, v136, v137
	v_div_fmas_f32 v127, v127, v135, v136
	s_delay_alu instid0(VALU_DEP_1) | instskip(NEXT) | instid1(VALU_DEP_1)
	v_div_fixup_f32 v127, v127, v129, v128
	v_fmac_f32_e32 v129, v128, v127
	s_delay_alu instid0(VALU_DEP_1) | instskip(SKIP_1) | instid1(VALU_DEP_2)
	v_div_scale_f32 v128, null, v129, v129, 1.0
	v_div_scale_f32 v137, vcc_lo, 1.0, v129, 1.0
	v_rcp_f32_e32 v135, v128
	v_nop
	s_delay_alu instid0(TRANS32_DEP_1) | instskip(NEXT) | instid1(VALU_DEP_1)
	v_fma_f32 v136, -v128, v135, 1.0
	v_fmac_f32_e32 v135, v136, v135
	s_delay_alu instid0(VALU_DEP_1) | instskip(NEXT) | instid1(VALU_DEP_1)
	v_mul_f32_e32 v136, v137, v135
	v_fma_f32 v138, -v128, v136, v137
	s_delay_alu instid0(VALU_DEP_1) | instskip(NEXT) | instid1(VALU_DEP_1)
	v_fmac_f32_e32 v136, v138, v135
	v_fma_f32 v128, -v128, v136, v137
	s_delay_alu instid0(VALU_DEP_1) | instskip(NEXT) | instid1(VALU_DEP_1)
	v_div_fmas_f32 v128, v128, v135, v136
	v_div_fixup_f32 v129, v128, v129, 1.0
	s_delay_alu instid0(VALU_DEP_1)
	v_mul_f32_e32 v128, v127, v129
	v_xor_b32_e32 v129, 0x80000000, v129
.LBB118_469:
	s_and_not1_saveexec_b32 s1, s1
	s_cbranch_execz .LBB118_471
; %bb.470:
	s_delay_alu instid0(VALU_DEP_1) | instskip(SKIP_1) | instid1(VALU_DEP_2)
	v_div_scale_f32 v127, null, v128, v128, v129
	v_div_scale_f32 v137, vcc_lo, v129, v128, v129
	v_rcp_f32_e32 v135, v127
	v_nop
	s_delay_alu instid0(TRANS32_DEP_1) | instskip(NEXT) | instid1(VALU_DEP_1)
	v_fma_f32 v136, -v127, v135, 1.0
	v_fmac_f32_e32 v135, v136, v135
	s_delay_alu instid0(VALU_DEP_1) | instskip(NEXT) | instid1(VALU_DEP_1)
	v_mul_f32_e32 v136, v137, v135
	v_fma_f32 v138, -v127, v136, v137
	s_delay_alu instid0(VALU_DEP_1) | instskip(NEXT) | instid1(VALU_DEP_1)
	v_fmac_f32_e32 v136, v138, v135
	v_fma_f32 v127, -v127, v136, v137
	s_delay_alu instid0(VALU_DEP_1) | instskip(NEXT) | instid1(VALU_DEP_1)
	v_div_fmas_f32 v127, v127, v135, v136
	v_div_fixup_f32 v127, v127, v128, v129
	s_delay_alu instid0(VALU_DEP_1) | instskip(NEXT) | instid1(VALU_DEP_1)
	v_fmac_f32_e32 v128, v129, v127
	v_div_scale_f32 v129, null, v128, v128, 1.0
	s_delay_alu instid0(VALU_DEP_1) | instskip(SKIP_1) | instid1(TRANS32_DEP_1)
	v_rcp_f32_e32 v135, v129
	v_nop
	v_fma_f32 v136, -v129, v135, 1.0
	s_delay_alu instid0(VALU_DEP_1) | instskip(SKIP_1) | instid1(VALU_DEP_1)
	v_fmac_f32_e32 v135, v136, v135
	v_div_scale_f32 v136, vcc_lo, 1.0, v128, 1.0
	v_mul_f32_e32 v137, v136, v135
	s_delay_alu instid0(VALU_DEP_1) | instskip(NEXT) | instid1(VALU_DEP_1)
	v_fma_f32 v138, -v129, v137, v136
	v_fmac_f32_e32 v137, v138, v135
	s_delay_alu instid0(VALU_DEP_1) | instskip(NEXT) | instid1(VALU_DEP_1)
	v_fma_f32 v129, -v129, v137, v136
	v_div_fmas_f32 v129, v129, v135, v137
	s_delay_alu instid0(VALU_DEP_1) | instskip(NEXT) | instid1(VALU_DEP_1)
	v_div_fixup_f32 v128, v129, v128, 1.0
	v_mul_f32_e64 v129, v127, -v128
.LBB118_471:
	s_or_b32 exec_lo, exec_lo, s1
.LBB118_472:
	s_delay_alu instid0(SALU_CYCLE_1) | instskip(NEXT) | instid1(SALU_CYCLE_1)
	s_or_b32 exec_lo, exec_lo, s0
	s_mov_b32 s0, exec_lo
	v_cmpx_ne_u32_e64 v134, v126
	s_xor_b32 s0, exec_lo, s0
	s_cbranch_execz .LBB118_478
; %bb.473:
	s_mov_b32 s1, exec_lo
	v_cmpx_eq_u32_e32 22, v134
	s_cbranch_execz .LBB118_477
; %bb.474:
	v_cmp_ne_u32_e32 vcc_lo, 22, v126
	s_xor_b32 s12, s16, -1
	s_delay_alu instid0(SALU_CYCLE_1) | instskip(NEXT) | instid1(SALU_CYCLE_1)
	s_and_b32 s13, s12, vcc_lo
	s_and_saveexec_b32 s12, s13
	s_cbranch_execz .LBB118_476
; %bb.475:
	v_ashrrev_i32_e32 v127, 31, v126
	s_delay_alu instid0(VALU_DEP_1)
	v_lshl_add_u64 v[134:135], v[126:127], 2, v[4:5]
	s_clause 0x1
	global_load_b32 v127, v[134:135], off
	global_load_b32 v133, v[4:5], off offset:88
	s_wait_loadcnt 0x1
	global_store_b32 v[4:5], v127, off offset:88
	s_wait_loadcnt 0x0
	global_store_b32 v[134:135], v133, off
.LBB118_476:
	s_wait_xcnt 0x0
	s_or_b32 exec_lo, exec_lo, s12
	v_dual_mov_b32 v134, v126 :: v_dual_mov_b32 v133, v126
.LBB118_477:
	s_or_b32 exec_lo, exec_lo, s1
.LBB118_478:
	s_and_not1_saveexec_b32 s0, s0
	s_cbranch_execz .LBB118_480
; %bb.479:
	v_mov_b32_e32 v134, 22
	ds_store_2addr_b64 v130, v[30:31], v[84:85] offset0:23 offset1:24
	ds_store_2addr_b64 v130, v[80:81], v[82:83] offset0:25 offset1:26
	;; [unrolled: 1-line block ×18, first 2 shown]
	ds_store_b64 v130, v[124:125] offset:472
.LBB118_480:
	s_or_b32 exec_lo, exec_lo, s0
	s_delay_alu instid0(SALU_CYCLE_1)
	s_mov_b32 s0, exec_lo
	s_wait_storecnt_dscnt 0x0
	s_barrier_signal -1
	s_barrier_wait -1
	v_cmpx_lt_i32_e32 22, v134
	s_cbranch_execz .LBB118_482
; %bb.481:
	v_pk_mul_f32 v[136:137], v[128:129], v[88:89] op_sel:[1,1] op_sel_hi:[0,1]
	s_delay_alu instid0(VALU_DEP_1)
	v_pk_fma_f32 v[126:127], v[128:129], v[88:89], v[136:137] op_sel_hi:[1,0,1] neg_lo:[0,0,1] neg_hi:[0,0,1]
	v_pk_fma_f32 v[128:129], v[128:129], v[88:89], v[136:137] op_sel_hi:[1,0,1]
	ds_load_2addr_b64 v[136:139], v130 offset0:23 offset1:24
	v_dual_mov_b32 v88, v126 :: v_dual_mov_b32 v89, v129
	s_wait_dscnt 0x0
	v_pk_mul_f32 v[140:141], v[136:137], v[128:129] op_sel:[0,1]
	s_delay_alu instid0(VALU_DEP_1) | instskip(SKIP_1) | instid1(VALU_DEP_1)
	v_pk_fma_f32 v[142:143], v[136:137], v[126:127], v[140:141] op_sel:[0,0,1] op_sel_hi:[1,1,0] neg_lo:[0,0,1] neg_hi:[0,0,1]
	v_pk_fma_f32 v[136:137], v[136:137], v[126:127], v[140:141] op_sel:[0,0,1] op_sel_hi:[1,0,0]
	v_mov_b32_e32 v143, v137
	v_pk_mul_f32 v[136:137], v[138:139], v[128:129] op_sel:[0,1]
	s_delay_alu instid0(VALU_DEP_1) | instskip(SKIP_1) | instid1(VALU_DEP_1)
	v_pk_fma_f32 v[140:141], v[138:139], v[126:127], v[136:137] op_sel:[0,0,1] op_sel_hi:[1,1,0] neg_lo:[0,0,1] neg_hi:[0,0,1]
	v_pk_fma_f32 v[136:137], v[138:139], v[126:127], v[136:137] op_sel:[0,0,1] op_sel_hi:[1,0,0]
	v_mov_b32_e32 v141, v137
	ds_load_2addr_b64 v[136:139], v130 offset0:25 offset1:26
	v_pk_add_f32 v[30:31], v[30:31], v[142:143] neg_lo:[0,1] neg_hi:[0,1]
	v_pk_add_f32 v[84:85], v[84:85], v[140:141] neg_lo:[0,1] neg_hi:[0,1]
	s_wait_dscnt 0x0
	v_pk_mul_f32 v[140:141], v[136:137], v[128:129] op_sel:[0,1]
	s_delay_alu instid0(VALU_DEP_1) | instskip(SKIP_2) | instid1(VALU_DEP_2)
	v_pk_fma_f32 v[142:143], v[136:137], v[126:127], v[140:141] op_sel:[0,0,1] op_sel_hi:[1,1,0] neg_lo:[0,0,1] neg_hi:[0,0,1]
	v_pk_fma_f32 v[136:137], v[136:137], v[126:127], v[140:141] op_sel:[0,0,1] op_sel_hi:[1,0,0]
	v_dual_mul_f32 v140, v139, v129 :: v_dual_mov_b32 v136, v139
	v_dual_mov_b32 v143, v137 :: v_dual_mov_b32 v137, v138
	s_delay_alu instid0(VALU_DEP_2) | instskip(SKIP_1) | instid1(VALU_DEP_3)
	v_pk_fma_f32 v[140:141], v[138:139], v[88:89], v[140:141] op_sel_hi:[1,1,0] neg_lo:[0,0,1] neg_hi:[0,0,1]
	v_mul_f32_e32 v138, v139, v126
	v_pk_add_f32 v[80:81], v[80:81], v[142:143] neg_lo:[0,1] neg_hi:[0,1]
	s_delay_alu instid0(VALU_DEP_2) | instskip(NEXT) | instid1(VALU_DEP_1)
	v_pk_fma_f32 v[136:137], v[136:137], v[88:89], v[138:139] op_sel_hi:[1,1,0]
	v_mov_b32_e32 v141, v137
	ds_load_2addr_b64 v[136:139], v130 offset0:27 offset1:28
	v_pk_add_f32 v[82:83], v[82:83], v[140:141] neg_lo:[0,1] neg_hi:[0,1]
	s_wait_dscnt 0x0
	v_pk_mul_f32 v[140:141], v[136:137], v[128:129] op_sel:[0,1]
	s_delay_alu instid0(VALU_DEP_1) | instskip(SKIP_1) | instid1(VALU_DEP_1)
	v_pk_fma_f32 v[142:143], v[136:137], v[126:127], v[140:141] op_sel:[0,0,1] op_sel_hi:[1,1,0] neg_lo:[0,0,1] neg_hi:[0,0,1]
	v_pk_fma_f32 v[136:137], v[136:137], v[126:127], v[140:141] op_sel:[0,0,1] op_sel_hi:[1,0,0]
	v_mov_b32_e32 v143, v137
	v_pk_mul_f32 v[136:137], v[138:139], v[128:129] op_sel:[0,1]
	s_delay_alu instid0(VALU_DEP_1) | instskip(SKIP_1) | instid1(VALU_DEP_1)
	v_pk_fma_f32 v[140:141], v[138:139], v[126:127], v[136:137] op_sel:[0,0,1] op_sel_hi:[1,1,0] neg_lo:[0,0,1] neg_hi:[0,0,1]
	v_pk_fma_f32 v[136:137], v[138:139], v[126:127], v[136:137] op_sel:[0,0,1] op_sel_hi:[1,0,0]
	v_mov_b32_e32 v141, v137
	ds_load_2addr_b64 v[136:139], v130 offset0:29 offset1:30
	v_pk_add_f32 v[24:25], v[24:25], v[142:143] neg_lo:[0,1] neg_hi:[0,1]
	v_pk_add_f32 v[78:79], v[78:79], v[140:141] neg_lo:[0,1] neg_hi:[0,1]
	s_wait_dscnt 0x0
	v_pk_mul_f32 v[140:141], v[136:137], v[128:129] op_sel:[0,1]
	s_delay_alu instid0(VALU_DEP_1) | instskip(SKIP_1) | instid1(VALU_DEP_1)
	v_pk_fma_f32 v[142:143], v[136:137], v[126:127], v[140:141] op_sel:[0,0,1] op_sel_hi:[1,1,0] neg_lo:[0,0,1] neg_hi:[0,0,1]
	v_pk_fma_f32 v[136:137], v[136:137], v[126:127], v[140:141] op_sel:[0,0,1] op_sel_hi:[1,0,0]
	v_mov_b32_e32 v143, v137
	v_pk_mul_f32 v[136:137], v[138:139], v[128:129] op_sel:[0,1]
	s_delay_alu instid0(VALU_DEP_1) | instskip(SKIP_1) | instid1(VALU_DEP_1)
	v_pk_fma_f32 v[140:141], v[138:139], v[126:127], v[136:137] op_sel:[0,0,1] op_sel_hi:[1,1,0] neg_lo:[0,0,1] neg_hi:[0,0,1]
	v_pk_fma_f32 v[136:137], v[138:139], v[126:127], v[136:137] op_sel:[0,0,1] op_sel_hi:[1,0,0]
	v_mov_b32_e32 v141, v137
	ds_load_2addr_b64 v[136:139], v130 offset0:31 offset1:32
	v_pk_add_f32 v[74:75], v[74:75], v[142:143] neg_lo:[0,1] neg_hi:[0,1]
	v_pk_add_f32 v[76:77], v[76:77], v[140:141] neg_lo:[0,1] neg_hi:[0,1]
	s_wait_dscnt 0x0
	v_dual_mul_f32 v140, v137, v129 :: v_dual_mul_f32 v142, v137, v126
	s_delay_alu instid0(VALU_DEP_1) | instskip(NEXT) | instid1(VALU_DEP_2)
	v_pk_fma_f32 v[140:141], v[136:137], v[88:89], v[140:141] op_sel_hi:[1,1,0] neg_lo:[0,0,1] neg_hi:[0,0,1]
	v_pk_fma_f32 v[136:137], v[136:137], v[88:89], v[142:143] op_sel:[1,0,0] op_sel_hi:[0,1,0]
	s_delay_alu instid0(VALU_DEP_1) | instskip(SKIP_1) | instid1(VALU_DEP_2)
	v_mov_b32_e32 v141, v137
	v_pk_mul_f32 v[136:137], v[138:139], v[128:129] op_sel:[0,1]
	v_pk_add_f32 v[22:23], v[22:23], v[140:141] neg_lo:[0,1] neg_hi:[0,1]
	s_delay_alu instid0(VALU_DEP_2) | instskip(SKIP_1) | instid1(VALU_DEP_1)
	v_pk_fma_f32 v[140:141], v[138:139], v[126:127], v[136:137] op_sel:[0,0,1] op_sel_hi:[1,1,0] neg_lo:[0,0,1] neg_hi:[0,0,1]
	v_pk_fma_f32 v[136:137], v[138:139], v[126:127], v[136:137] op_sel:[0,0,1] op_sel_hi:[1,0,0]
	v_mov_b32_e32 v141, v137
	ds_load_2addr_b64 v[136:139], v130 offset0:33 offset1:34
	v_pk_add_f32 v[72:73], v[72:73], v[140:141] neg_lo:[0,1] neg_hi:[0,1]
	s_wait_dscnt 0x0
	v_pk_mul_f32 v[140:141], v[136:137], v[128:129] op_sel:[0,1]
	s_delay_alu instid0(VALU_DEP_1) | instskip(SKIP_1) | instid1(VALU_DEP_1)
	v_pk_fma_f32 v[142:143], v[136:137], v[126:127], v[140:141] op_sel:[0,0,1] op_sel_hi:[1,1,0] neg_lo:[0,0,1] neg_hi:[0,0,1]
	v_pk_fma_f32 v[136:137], v[136:137], v[126:127], v[140:141] op_sel:[0,0,1] op_sel_hi:[1,0,0]
	v_mov_b32_e32 v143, v137
	v_pk_mul_f32 v[136:137], v[138:139], v[128:129] op_sel:[0,1]
	s_delay_alu instid0(VALU_DEP_2) | instskip(NEXT) | instid1(VALU_DEP_2)
	v_pk_add_f32 v[68:69], v[68:69], v[142:143] neg_lo:[0,1] neg_hi:[0,1]
	v_pk_fma_f32 v[140:141], v[138:139], v[126:127], v[136:137] op_sel:[0,0,1] op_sel_hi:[1,1,0] neg_lo:[0,0,1] neg_hi:[0,0,1]
	v_pk_fma_f32 v[136:137], v[138:139], v[126:127], v[136:137] op_sel:[0,0,1] op_sel_hi:[1,0,0]
	s_delay_alu instid0(VALU_DEP_1) | instskip(SKIP_4) | instid1(VALU_DEP_1)
	v_mov_b32_e32 v141, v137
	ds_load_2addr_b64 v[136:139], v130 offset0:35 offset1:36
	v_pk_add_f32 v[70:71], v[70:71], v[140:141] neg_lo:[0,1] neg_hi:[0,1]
	s_wait_dscnt 0x0
	v_pk_mul_f32 v[140:141], v[136:137], v[128:129] op_sel:[0,1]
	v_pk_fma_f32 v[142:143], v[136:137], v[126:127], v[140:141] op_sel:[0,0,1] op_sel_hi:[1,1,0] neg_lo:[0,0,1] neg_hi:[0,0,1]
	v_pk_fma_f32 v[136:137], v[136:137], v[126:127], v[140:141] op_sel:[0,0,1] op_sel_hi:[1,0,0]
	v_dual_mul_f32 v140, v139, v129 :: v_dual_mov_b32 v136, v139
	s_delay_alu instid0(VALU_DEP_2) | instskip(NEXT) | instid1(VALU_DEP_2)
	v_dual_mov_b32 v143, v137 :: v_dual_mov_b32 v137, v138
	v_pk_fma_f32 v[140:141], v[138:139], v[88:89], v[140:141] op_sel_hi:[1,1,0] neg_lo:[0,0,1] neg_hi:[0,0,1]
	v_mul_f32_e32 v138, v139, v126
	s_delay_alu instid0(VALU_DEP_3) | instskip(NEXT) | instid1(VALU_DEP_2)
	v_pk_add_f32 v[20:21], v[20:21], v[142:143] neg_lo:[0,1] neg_hi:[0,1]
	v_pk_fma_f32 v[136:137], v[136:137], v[88:89], v[138:139] op_sel_hi:[1,1,0]
	s_delay_alu instid0(VALU_DEP_1) | instskip(SKIP_4) | instid1(VALU_DEP_1)
	v_mov_b32_e32 v141, v137
	ds_load_2addr_b64 v[136:139], v130 offset0:37 offset1:38
	v_pk_add_f32 v[66:67], v[66:67], v[140:141] neg_lo:[0,1] neg_hi:[0,1]
	s_wait_dscnt 0x0
	v_pk_mul_f32 v[140:141], v[136:137], v[128:129] op_sel:[0,1]
	v_pk_fma_f32 v[142:143], v[136:137], v[126:127], v[140:141] op_sel:[0,0,1] op_sel_hi:[1,1,0] neg_lo:[0,0,1] neg_hi:[0,0,1]
	v_pk_fma_f32 v[136:137], v[136:137], v[126:127], v[140:141] op_sel:[0,0,1] op_sel_hi:[1,0,0]
	s_delay_alu instid0(VALU_DEP_1) | instskip(SKIP_1) | instid1(VALU_DEP_1)
	v_mov_b32_e32 v143, v137
	v_pk_mul_f32 v[136:137], v[138:139], v[128:129] op_sel:[0,1]
	v_pk_fma_f32 v[140:141], v[138:139], v[126:127], v[136:137] op_sel:[0,0,1] op_sel_hi:[1,1,0] neg_lo:[0,0,1] neg_hi:[0,0,1]
	v_pk_fma_f32 v[136:137], v[138:139], v[126:127], v[136:137] op_sel:[0,0,1] op_sel_hi:[1,0,0]
	s_delay_alu instid0(VALU_DEP_1)
	v_mov_b32_e32 v141, v137
	ds_load_2addr_b64 v[136:139], v130 offset0:39 offset1:40
	v_pk_add_f32 v[62:63], v[62:63], v[142:143] neg_lo:[0,1] neg_hi:[0,1]
	v_pk_add_f32 v[64:65], v[64:65], v[140:141] neg_lo:[0,1] neg_hi:[0,1]
	s_wait_dscnt 0x0
	v_pk_mul_f32 v[140:141], v[136:137], v[128:129] op_sel:[0,1]
	s_delay_alu instid0(VALU_DEP_1) | instskip(SKIP_1) | instid1(VALU_DEP_1)
	v_pk_fma_f32 v[142:143], v[136:137], v[126:127], v[140:141] op_sel:[0,0,1] op_sel_hi:[1,1,0] neg_lo:[0,0,1] neg_hi:[0,0,1]
	v_pk_fma_f32 v[136:137], v[136:137], v[126:127], v[140:141] op_sel:[0,0,1] op_sel_hi:[1,0,0]
	v_mov_b32_e32 v143, v137
	v_pk_mul_f32 v[136:137], v[138:139], v[128:129] op_sel:[0,1]
	s_delay_alu instid0(VALU_DEP_1) | instskip(SKIP_1) | instid1(VALU_DEP_1)
	v_pk_fma_f32 v[140:141], v[138:139], v[126:127], v[136:137] op_sel:[0,0,1] op_sel_hi:[1,1,0] neg_lo:[0,0,1] neg_hi:[0,0,1]
	v_pk_fma_f32 v[136:137], v[138:139], v[126:127], v[136:137] op_sel:[0,0,1] op_sel_hi:[1,0,0]
	v_mov_b32_e32 v141, v137
	ds_load_2addr_b64 v[136:139], v130 offset0:41 offset1:42
	v_pk_add_f32 v[18:19], v[18:19], v[142:143] neg_lo:[0,1] neg_hi:[0,1]
	v_pk_add_f32 v[60:61], v[60:61], v[140:141] neg_lo:[0,1] neg_hi:[0,1]
	s_wait_dscnt 0x0
	v_dual_mul_f32 v140, v137, v129 :: v_dual_mul_f32 v142, v137, v126
	s_delay_alu instid0(VALU_DEP_1) | instskip(NEXT) | instid1(VALU_DEP_2)
	v_pk_fma_f32 v[140:141], v[136:137], v[88:89], v[140:141] op_sel_hi:[1,1,0] neg_lo:[0,0,1] neg_hi:[0,0,1]
	v_pk_fma_f32 v[136:137], v[136:137], v[88:89], v[142:143] op_sel:[1,0,0] op_sel_hi:[0,1,0]
	s_delay_alu instid0(VALU_DEP_1) | instskip(SKIP_1) | instid1(VALU_DEP_2)
	v_mov_b32_e32 v141, v137
	v_pk_mul_f32 v[136:137], v[138:139], v[128:129] op_sel:[0,1]
	v_pk_add_f32 v[56:57], v[56:57], v[140:141] neg_lo:[0,1] neg_hi:[0,1]
	s_delay_alu instid0(VALU_DEP_2) | instskip(SKIP_1) | instid1(VALU_DEP_1)
	v_pk_fma_f32 v[140:141], v[138:139], v[126:127], v[136:137] op_sel:[0,0,1] op_sel_hi:[1,1,0] neg_lo:[0,0,1] neg_hi:[0,0,1]
	v_pk_fma_f32 v[136:137], v[138:139], v[126:127], v[136:137] op_sel:[0,0,1] op_sel_hi:[1,0,0]
	v_mov_b32_e32 v141, v137
	ds_load_2addr_b64 v[136:139], v130 offset0:43 offset1:44
	v_pk_add_f32 v[58:59], v[58:59], v[140:141] neg_lo:[0,1] neg_hi:[0,1]
	s_wait_dscnt 0x0
	v_pk_mul_f32 v[140:141], v[136:137], v[128:129] op_sel:[0,1]
	s_delay_alu instid0(VALU_DEP_1) | instskip(SKIP_1) | instid1(VALU_DEP_1)
	v_pk_fma_f32 v[142:143], v[136:137], v[126:127], v[140:141] op_sel:[0,0,1] op_sel_hi:[1,1,0] neg_lo:[0,0,1] neg_hi:[0,0,1]
	v_pk_fma_f32 v[136:137], v[136:137], v[126:127], v[140:141] op_sel:[0,0,1] op_sel_hi:[1,0,0]
	v_mov_b32_e32 v143, v137
	v_pk_mul_f32 v[136:137], v[138:139], v[128:129] op_sel:[0,1]
	s_delay_alu instid0(VALU_DEP_2) | instskip(NEXT) | instid1(VALU_DEP_2)
	v_pk_add_f32 v[12:13], v[12:13], v[142:143] neg_lo:[0,1] neg_hi:[0,1]
	v_pk_fma_f32 v[140:141], v[138:139], v[126:127], v[136:137] op_sel:[0,0,1] op_sel_hi:[1,1,0] neg_lo:[0,0,1] neg_hi:[0,0,1]
	v_pk_fma_f32 v[136:137], v[138:139], v[126:127], v[136:137] op_sel:[0,0,1] op_sel_hi:[1,0,0]
	s_delay_alu instid0(VALU_DEP_1) | instskip(SKIP_4) | instid1(VALU_DEP_1)
	v_mov_b32_e32 v141, v137
	ds_load_2addr_b64 v[136:139], v130 offset0:45 offset1:46
	v_pk_add_f32 v[54:55], v[54:55], v[140:141] neg_lo:[0,1] neg_hi:[0,1]
	s_wait_dscnt 0x0
	v_pk_mul_f32 v[140:141], v[136:137], v[128:129] op_sel:[0,1]
	v_pk_fma_f32 v[142:143], v[136:137], v[126:127], v[140:141] op_sel:[0,0,1] op_sel_hi:[1,1,0] neg_lo:[0,0,1] neg_hi:[0,0,1]
	v_pk_fma_f32 v[136:137], v[136:137], v[126:127], v[140:141] op_sel:[0,0,1] op_sel_hi:[1,0,0]
	v_dual_mul_f32 v140, v139, v129 :: v_dual_mov_b32 v136, v139
	s_delay_alu instid0(VALU_DEP_2) | instskip(NEXT) | instid1(VALU_DEP_2)
	v_dual_mov_b32 v143, v137 :: v_dual_mov_b32 v137, v138
	v_pk_fma_f32 v[140:141], v[138:139], v[88:89], v[140:141] op_sel_hi:[1,1,0] neg_lo:[0,0,1] neg_hi:[0,0,1]
	v_mul_f32_e32 v138, v139, v126
	s_delay_alu instid0(VALU_DEP_3) | instskip(NEXT) | instid1(VALU_DEP_2)
	v_pk_add_f32 v[50:51], v[50:51], v[142:143] neg_lo:[0,1] neg_hi:[0,1]
	v_pk_fma_f32 v[136:137], v[136:137], v[88:89], v[138:139] op_sel_hi:[1,1,0]
	s_delay_alu instid0(VALU_DEP_1) | instskip(SKIP_4) | instid1(VALU_DEP_1)
	v_mov_b32_e32 v141, v137
	ds_load_2addr_b64 v[136:139], v130 offset0:47 offset1:48
	v_pk_add_f32 v[52:53], v[52:53], v[140:141] neg_lo:[0,1] neg_hi:[0,1]
	s_wait_dscnt 0x0
	v_pk_mul_f32 v[140:141], v[136:137], v[128:129] op_sel:[0,1]
	v_pk_fma_f32 v[142:143], v[136:137], v[126:127], v[140:141] op_sel:[0,0,1] op_sel_hi:[1,1,0] neg_lo:[0,0,1] neg_hi:[0,0,1]
	v_pk_fma_f32 v[136:137], v[136:137], v[126:127], v[140:141] op_sel:[0,0,1] op_sel_hi:[1,0,0]
	s_delay_alu instid0(VALU_DEP_1) | instskip(SKIP_1) | instid1(VALU_DEP_1)
	v_mov_b32_e32 v143, v137
	v_pk_mul_f32 v[136:137], v[138:139], v[128:129] op_sel:[0,1]
	v_pk_fma_f32 v[140:141], v[138:139], v[126:127], v[136:137] op_sel:[0,0,1] op_sel_hi:[1,1,0] neg_lo:[0,0,1] neg_hi:[0,0,1]
	v_pk_fma_f32 v[136:137], v[138:139], v[126:127], v[136:137] op_sel:[0,0,1] op_sel_hi:[1,0,0]
	s_delay_alu instid0(VALU_DEP_1)
	v_mov_b32_e32 v141, v137
	ds_load_2addr_b64 v[136:139], v130 offset0:49 offset1:50
	v_pk_add_f32 v[10:11], v[10:11], v[142:143] neg_lo:[0,1] neg_hi:[0,1]
	v_pk_add_f32 v[46:47], v[46:47], v[140:141] neg_lo:[0,1] neg_hi:[0,1]
	s_wait_dscnt 0x0
	v_pk_mul_f32 v[140:141], v[136:137], v[128:129] op_sel:[0,1]
	s_delay_alu instid0(VALU_DEP_1) | instskip(SKIP_1) | instid1(VALU_DEP_1)
	v_pk_fma_f32 v[142:143], v[136:137], v[126:127], v[140:141] op_sel:[0,0,1] op_sel_hi:[1,1,0] neg_lo:[0,0,1] neg_hi:[0,0,1]
	v_pk_fma_f32 v[136:137], v[136:137], v[126:127], v[140:141] op_sel:[0,0,1] op_sel_hi:[1,0,0]
	v_mov_b32_e32 v143, v137
	v_pk_mul_f32 v[136:137], v[138:139], v[128:129] op_sel:[0,1]
	s_delay_alu instid0(VALU_DEP_1) | instskip(SKIP_1) | instid1(VALU_DEP_1)
	v_pk_fma_f32 v[140:141], v[138:139], v[126:127], v[136:137] op_sel:[0,0,1] op_sel_hi:[1,1,0] neg_lo:[0,0,1] neg_hi:[0,0,1]
	v_pk_fma_f32 v[136:137], v[138:139], v[126:127], v[136:137] op_sel:[0,0,1] op_sel_hi:[1,0,0]
	v_mov_b32_e32 v141, v137
	ds_load_2addr_b64 v[136:139], v130 offset0:51 offset1:52
	v_pk_add_f32 v[44:45], v[44:45], v[142:143] neg_lo:[0,1] neg_hi:[0,1]
	v_pk_add_f32 v[48:49], v[48:49], v[140:141] neg_lo:[0,1] neg_hi:[0,1]
	s_wait_dscnt 0x0
	v_dual_mul_f32 v140, v137, v129 :: v_dual_mul_f32 v142, v137, v126
	s_delay_alu instid0(VALU_DEP_1) | instskip(NEXT) | instid1(VALU_DEP_2)
	v_pk_fma_f32 v[140:141], v[136:137], v[88:89], v[140:141] op_sel_hi:[1,1,0] neg_lo:[0,0,1] neg_hi:[0,0,1]
	v_pk_fma_f32 v[136:137], v[136:137], v[88:89], v[142:143] op_sel:[1,0,0] op_sel_hi:[0,1,0]
	s_delay_alu instid0(VALU_DEP_1) | instskip(SKIP_1) | instid1(VALU_DEP_2)
	v_mov_b32_e32 v141, v137
	v_pk_mul_f32 v[136:137], v[138:139], v[128:129] op_sel:[0,1]
	v_pk_add_f32 v[8:9], v[8:9], v[140:141] neg_lo:[0,1] neg_hi:[0,1]
	s_delay_alu instid0(VALU_DEP_2) | instskip(SKIP_1) | instid1(VALU_DEP_1)
	v_pk_fma_f32 v[140:141], v[138:139], v[126:127], v[136:137] op_sel:[0,0,1] op_sel_hi:[1,1,0] neg_lo:[0,0,1] neg_hi:[0,0,1]
	v_pk_fma_f32 v[136:137], v[138:139], v[126:127], v[136:137] op_sel:[0,0,1] op_sel_hi:[1,0,0]
	v_mov_b32_e32 v141, v137
	ds_load_2addr_b64 v[136:139], v130 offset0:53 offset1:54
	v_pk_add_f32 v[34:35], v[34:35], v[140:141] neg_lo:[0,1] neg_hi:[0,1]
	s_wait_dscnt 0x0
	v_pk_mul_f32 v[140:141], v[136:137], v[128:129] op_sel:[0,1]
	s_delay_alu instid0(VALU_DEP_1) | instskip(SKIP_1) | instid1(VALU_DEP_1)
	v_pk_fma_f32 v[142:143], v[136:137], v[126:127], v[140:141] op_sel:[0,0,1] op_sel_hi:[1,1,0] neg_lo:[0,0,1] neg_hi:[0,0,1]
	v_pk_fma_f32 v[136:137], v[136:137], v[126:127], v[140:141] op_sel:[0,0,1] op_sel_hi:[1,0,0]
	v_mov_b32_e32 v143, v137
	v_pk_mul_f32 v[136:137], v[138:139], v[128:129] op_sel:[0,1]
	s_delay_alu instid0(VALU_DEP_2) | instskip(NEXT) | instid1(VALU_DEP_2)
	v_pk_add_f32 v[28:29], v[28:29], v[142:143] neg_lo:[0,1] neg_hi:[0,1]
	v_pk_fma_f32 v[140:141], v[138:139], v[126:127], v[136:137] op_sel:[0,0,1] op_sel_hi:[1,1,0] neg_lo:[0,0,1] neg_hi:[0,0,1]
	v_pk_fma_f32 v[136:137], v[138:139], v[126:127], v[136:137] op_sel:[0,0,1] op_sel_hi:[1,0,0]
	s_delay_alu instid0(VALU_DEP_1) | instskip(SKIP_4) | instid1(VALU_DEP_1)
	v_mov_b32_e32 v141, v137
	ds_load_2addr_b64 v[136:139], v130 offset0:55 offset1:56
	v_pk_add_f32 v[32:33], v[32:33], v[140:141] neg_lo:[0,1] neg_hi:[0,1]
	s_wait_dscnt 0x0
	v_pk_mul_f32 v[140:141], v[136:137], v[128:129] op_sel:[0,1]
	v_pk_fma_f32 v[142:143], v[136:137], v[126:127], v[140:141] op_sel:[0,0,1] op_sel_hi:[1,1,0] neg_lo:[0,0,1] neg_hi:[0,0,1]
	v_pk_fma_f32 v[136:137], v[136:137], v[126:127], v[140:141] op_sel:[0,0,1] op_sel_hi:[1,0,0]
	v_dual_mul_f32 v140, v139, v129 :: v_dual_mov_b32 v136, v139
	s_delay_alu instid0(VALU_DEP_2) | instskip(NEXT) | instid1(VALU_DEP_2)
	v_dual_mov_b32 v143, v137 :: v_dual_mov_b32 v137, v138
	v_pk_fma_f32 v[140:141], v[138:139], v[88:89], v[140:141] op_sel_hi:[1,1,0] neg_lo:[0,0,1] neg_hi:[0,0,1]
	v_mul_f32_e32 v138, v139, v126
	s_delay_alu instid0(VALU_DEP_3) | instskip(NEXT) | instid1(VALU_DEP_2)
	v_pk_add_f32 v[6:7], v[6:7], v[142:143] neg_lo:[0,1] neg_hi:[0,1]
	v_pk_fma_f32 v[136:137], v[136:137], v[88:89], v[138:139] op_sel_hi:[1,1,0]
	s_delay_alu instid0(VALU_DEP_1) | instskip(SKIP_4) | instid1(VALU_DEP_1)
	v_mov_b32_e32 v141, v137
	ds_load_2addr_b64 v[136:139], v130 offset0:57 offset1:58
	v_pk_add_f32 v[26:27], v[26:27], v[140:141] neg_lo:[0,1] neg_hi:[0,1]
	s_wait_dscnt 0x0
	v_pk_mul_f32 v[140:141], v[136:137], v[128:129] op_sel:[0,1]
	v_pk_fma_f32 v[142:143], v[136:137], v[126:127], v[140:141] op_sel:[0,0,1] op_sel_hi:[1,1,0] neg_lo:[0,0,1] neg_hi:[0,0,1]
	v_pk_fma_f32 v[136:137], v[136:137], v[126:127], v[140:141] op_sel:[0,0,1] op_sel_hi:[1,0,0]
	s_delay_alu instid0(VALU_DEP_1) | instskip(SKIP_1) | instid1(VALU_DEP_1)
	v_mov_b32_e32 v143, v137
	v_pk_mul_f32 v[136:137], v[138:139], v[128:129] op_sel:[0,1]
	v_pk_fma_f32 v[140:141], v[138:139], v[126:127], v[136:137] op_sel:[0,0,1] op_sel_hi:[1,1,0] neg_lo:[0,0,1] neg_hi:[0,0,1]
	v_pk_fma_f32 v[136:137], v[138:139], v[126:127], v[136:137] op_sel:[0,0,1] op_sel_hi:[1,0,0]
	s_delay_alu instid0(VALU_DEP_1)
	v_mov_b32_e32 v141, v137
	ds_load_b64 v[136:137], v130 offset:472
	v_pk_add_f32 v[16:17], v[16:17], v[142:143] neg_lo:[0,1] neg_hi:[0,1]
	v_pk_add_f32 v[14:15], v[14:15], v[140:141] neg_lo:[0,1] neg_hi:[0,1]
	s_wait_dscnt 0x0
	v_pk_mul_f32 v[128:129], v[136:137], v[128:129] op_sel:[0,1]
	s_delay_alu instid0(VALU_DEP_1) | instskip(SKIP_1) | instid1(VALU_DEP_1)
	v_pk_fma_f32 v[138:139], v[136:137], v[126:127], v[128:129] op_sel:[0,0,1] op_sel_hi:[1,1,0] neg_lo:[0,0,1] neg_hi:[0,0,1]
	v_pk_fma_f32 v[126:127], v[136:137], v[126:127], v[128:129] op_sel:[0,0,1] op_sel_hi:[1,0,0]
	v_mov_b32_e32 v139, v127
	s_delay_alu instid0(VALU_DEP_1)
	v_pk_add_f32 v[124:125], v[124:125], v[138:139] neg_lo:[0,1] neg_hi:[0,1]
.LBB118_482:
	s_or_b32 exec_lo, exec_lo, s0
	v_lshl_add_u32 v126, v134, 3, v130
	s_barrier_signal -1
	s_barrier_wait -1
	ds_store_b64 v126, v[30:31]
	s_wait_dscnt 0x0
	s_barrier_signal -1
	s_barrier_wait -1
	ds_load_b64 v[128:129], v130 offset:184
	v_mov_b32_e32 v126, 23
	s_cmp_lt_i32 s18, 25
	s_cbranch_scc1 .LBB118_485
; %bb.483:
	v_add3_u32 v127, v131, 0, 0xc0
	v_mov_b32_e32 v126, 23
	s_mov_b32 s0, 24
.LBB118_484:                            ; =>This Inner Loop Header: Depth=1
	ds_load_b64 v[136:137], v127
	s_wait_dscnt 0x1
	v_cmp_gt_f32_e32 vcc_lo, 0, v128
	v_cndmask_b32_e64 v138, v128, -v128, vcc_lo
	v_cmp_gt_f32_e32 vcc_lo, 0, v129
	v_cndmask_b32_e64 v140, v129, -v129, vcc_lo
	s_wait_dscnt 0x0
	v_cmp_gt_f32_e32 vcc_lo, 0, v136
	v_cndmask_b32_e64 v139, v136, -v136, vcc_lo
	v_cmp_gt_f32_e32 vcc_lo, 0, v137
	v_cndmask_b32_e64 v141, v137, -v137, vcc_lo
	s_delay_alu instid0(VALU_DEP_1) | instskip(NEXT) | instid1(VALU_DEP_1)
	v_pk_add_f32 v[138:139], v[138:139], v[140:141]
	v_cmp_lt_f32_e32 vcc_lo, v138, v139
	v_dual_add_nc_u32 v127, 8, v127 :: v_dual_cndmask_b32 v129, v129, v137, vcc_lo
	v_cndmask_b32_e32 v128, v128, v136, vcc_lo
	v_cndmask_b32_e64 v126, v126, s0, vcc_lo
	s_add_co_i32 s0, s0, 1
	s_delay_alu instid0(SALU_CYCLE_1)
	s_cmp_lg_u32 s18, s0
	s_cbranch_scc1 .LBB118_484
.LBB118_485:
	s_wait_dscnt 0x0
	v_cmp_eq_f32_e32 vcc_lo, 0, v128
	v_cmp_eq_f32_e64 s0, 0, v129
	s_and_b32 s0, vcc_lo, s0
	s_delay_alu instid0(SALU_CYCLE_1) | instskip(NEXT) | instid1(SALU_CYCLE_1)
	s_and_saveexec_b32 s1, s0
	s_xor_b32 s0, exec_lo, s1
; %bb.486:
	v_cmp_ne_u32_e32 vcc_lo, 0, v132
	v_cndmask_b32_e32 v132, 24, v132, vcc_lo
; %bb.487:
	s_and_not1_saveexec_b32 s0, s0
	s_cbranch_execz .LBB118_493
; %bb.488:
	v_cmp_ngt_f32_e64 s1, |v128|, |v129|
	s_and_saveexec_b32 s12, s1
	s_delay_alu instid0(SALU_CYCLE_1)
	s_xor_b32 s1, exec_lo, s12
	s_cbranch_execz .LBB118_490
; %bb.489:
	v_div_scale_f32 v127, null, v129, v129, v128
	v_div_scale_f32 v137, vcc_lo, v128, v129, v128
	s_delay_alu instid0(VALU_DEP_2) | instskip(SKIP_1) | instid1(TRANS32_DEP_1)
	v_rcp_f32_e32 v135, v127
	v_nop
	v_fma_f32 v136, -v127, v135, 1.0
	s_delay_alu instid0(VALU_DEP_1) | instskip(NEXT) | instid1(VALU_DEP_1)
	v_fmac_f32_e32 v135, v136, v135
	v_mul_f32_e32 v136, v137, v135
	s_delay_alu instid0(VALU_DEP_1) | instskip(NEXT) | instid1(VALU_DEP_1)
	v_fma_f32 v138, -v127, v136, v137
	v_fmac_f32_e32 v136, v138, v135
	s_delay_alu instid0(VALU_DEP_1) | instskip(NEXT) | instid1(VALU_DEP_1)
	v_fma_f32 v127, -v127, v136, v137
	v_div_fmas_f32 v127, v127, v135, v136
	s_delay_alu instid0(VALU_DEP_1) | instskip(NEXT) | instid1(VALU_DEP_1)
	v_div_fixup_f32 v127, v127, v129, v128
	v_fmac_f32_e32 v129, v128, v127
	s_delay_alu instid0(VALU_DEP_1) | instskip(SKIP_1) | instid1(VALU_DEP_2)
	v_div_scale_f32 v128, null, v129, v129, 1.0
	v_div_scale_f32 v137, vcc_lo, 1.0, v129, 1.0
	v_rcp_f32_e32 v135, v128
	v_nop
	s_delay_alu instid0(TRANS32_DEP_1) | instskip(NEXT) | instid1(VALU_DEP_1)
	v_fma_f32 v136, -v128, v135, 1.0
	v_fmac_f32_e32 v135, v136, v135
	s_delay_alu instid0(VALU_DEP_1) | instskip(NEXT) | instid1(VALU_DEP_1)
	v_mul_f32_e32 v136, v137, v135
	v_fma_f32 v138, -v128, v136, v137
	s_delay_alu instid0(VALU_DEP_1) | instskip(NEXT) | instid1(VALU_DEP_1)
	v_fmac_f32_e32 v136, v138, v135
	v_fma_f32 v128, -v128, v136, v137
	s_delay_alu instid0(VALU_DEP_1) | instskip(NEXT) | instid1(VALU_DEP_1)
	v_div_fmas_f32 v128, v128, v135, v136
	v_div_fixup_f32 v129, v128, v129, 1.0
	s_delay_alu instid0(VALU_DEP_1)
	v_mul_f32_e32 v128, v127, v129
	v_xor_b32_e32 v129, 0x80000000, v129
.LBB118_490:
	s_and_not1_saveexec_b32 s1, s1
	s_cbranch_execz .LBB118_492
; %bb.491:
	s_delay_alu instid0(VALU_DEP_1) | instskip(SKIP_1) | instid1(VALU_DEP_2)
	v_div_scale_f32 v127, null, v128, v128, v129
	v_div_scale_f32 v137, vcc_lo, v129, v128, v129
	v_rcp_f32_e32 v135, v127
	v_nop
	s_delay_alu instid0(TRANS32_DEP_1) | instskip(NEXT) | instid1(VALU_DEP_1)
	v_fma_f32 v136, -v127, v135, 1.0
	v_fmac_f32_e32 v135, v136, v135
	s_delay_alu instid0(VALU_DEP_1) | instskip(NEXT) | instid1(VALU_DEP_1)
	v_mul_f32_e32 v136, v137, v135
	v_fma_f32 v138, -v127, v136, v137
	s_delay_alu instid0(VALU_DEP_1) | instskip(NEXT) | instid1(VALU_DEP_1)
	v_fmac_f32_e32 v136, v138, v135
	v_fma_f32 v127, -v127, v136, v137
	s_delay_alu instid0(VALU_DEP_1) | instskip(NEXT) | instid1(VALU_DEP_1)
	v_div_fmas_f32 v127, v127, v135, v136
	v_div_fixup_f32 v127, v127, v128, v129
	s_delay_alu instid0(VALU_DEP_1) | instskip(NEXT) | instid1(VALU_DEP_1)
	v_fmac_f32_e32 v128, v129, v127
	v_div_scale_f32 v129, null, v128, v128, 1.0
	s_delay_alu instid0(VALU_DEP_1) | instskip(SKIP_1) | instid1(TRANS32_DEP_1)
	v_rcp_f32_e32 v135, v129
	v_nop
	v_fma_f32 v136, -v129, v135, 1.0
	s_delay_alu instid0(VALU_DEP_1) | instskip(SKIP_1) | instid1(VALU_DEP_1)
	v_fmac_f32_e32 v135, v136, v135
	v_div_scale_f32 v136, vcc_lo, 1.0, v128, 1.0
	v_mul_f32_e32 v137, v136, v135
	s_delay_alu instid0(VALU_DEP_1) | instskip(NEXT) | instid1(VALU_DEP_1)
	v_fma_f32 v138, -v129, v137, v136
	v_fmac_f32_e32 v137, v138, v135
	s_delay_alu instid0(VALU_DEP_1) | instskip(NEXT) | instid1(VALU_DEP_1)
	v_fma_f32 v129, -v129, v137, v136
	v_div_fmas_f32 v129, v129, v135, v137
	s_delay_alu instid0(VALU_DEP_1) | instskip(NEXT) | instid1(VALU_DEP_1)
	v_div_fixup_f32 v128, v129, v128, 1.0
	v_mul_f32_e64 v129, v127, -v128
.LBB118_492:
	s_or_b32 exec_lo, exec_lo, s1
.LBB118_493:
	s_delay_alu instid0(SALU_CYCLE_1) | instskip(NEXT) | instid1(SALU_CYCLE_1)
	s_or_b32 exec_lo, exec_lo, s0
	s_mov_b32 s0, exec_lo
	v_cmpx_ne_u32_e64 v134, v126
	s_xor_b32 s0, exec_lo, s0
	s_cbranch_execz .LBB118_499
; %bb.494:
	s_mov_b32 s1, exec_lo
	v_cmpx_eq_u32_e32 23, v134
	s_cbranch_execz .LBB118_498
; %bb.495:
	v_cmp_ne_u32_e32 vcc_lo, 23, v126
	s_xor_b32 s12, s16, -1
	s_delay_alu instid0(SALU_CYCLE_1) | instskip(NEXT) | instid1(SALU_CYCLE_1)
	s_and_b32 s13, s12, vcc_lo
	s_and_saveexec_b32 s12, s13
	s_cbranch_execz .LBB118_497
; %bb.496:
	v_ashrrev_i32_e32 v127, 31, v126
	s_delay_alu instid0(VALU_DEP_1)
	v_lshl_add_u64 v[134:135], v[126:127], 2, v[4:5]
	s_clause 0x1
	global_load_b32 v127, v[134:135], off
	global_load_b32 v133, v[4:5], off offset:92
	s_wait_loadcnt 0x1
	global_store_b32 v[4:5], v127, off offset:92
	s_wait_loadcnt 0x0
	global_store_b32 v[134:135], v133, off
.LBB118_497:
	s_wait_xcnt 0x0
	s_or_b32 exec_lo, exec_lo, s12
	v_dual_mov_b32 v134, v126 :: v_dual_mov_b32 v133, v126
.LBB118_498:
	s_or_b32 exec_lo, exec_lo, s1
.LBB118_499:
	s_and_not1_saveexec_b32 s0, s0
	s_cbranch_execz .LBB118_501
; %bb.500:
	v_dual_mov_b32 v126, v84 :: v_dual_mov_b32 v127, v85
	v_dual_mov_b32 v134, v80 :: v_dual_mov_b32 v135, v81
	;; [unrolled: 1-line block ×4, first 2 shown]
	ds_store_2addr_b64 v130, v[126:127], v[134:135] offset0:24 offset1:25
	ds_store_2addr_b64 v130, v[136:137], v[138:139] offset0:26 offset1:27
	v_dual_mov_b32 v126, v78 :: v_dual_mov_b32 v127, v79
	v_dual_mov_b32 v134, v74 :: v_dual_mov_b32 v135, v75
	v_dual_mov_b32 v136, v76 :: v_dual_mov_b32 v137, v77
	v_dual_mov_b32 v138, v22 :: v_dual_mov_b32 v139, v23
	v_dual_mov_b32 v140, v72 :: v_dual_mov_b32 v141, v73
	v_dual_mov_b32 v142, v68 :: v_dual_mov_b32 v143, v69
	v_dual_mov_b32 v144, v70 :: v_dual_mov_b32 v145, v71
	v_dual_mov_b32 v146, v20 :: v_dual_mov_b32 v147, v21
	v_dual_mov_b32 v148, v66 :: v_dual_mov_b32 v149, v67
	v_dual_mov_b32 v150, v62 :: v_dual_mov_b32 v151, v63
	v_dual_mov_b32 v152, v64 :: v_dual_mov_b32 v153, v65
	v_dual_mov_b32 v154, v18 :: v_dual_mov_b32 v155, v19
	ds_store_2addr_b64 v130, v[126:127], v[134:135] offset0:28 offset1:29
	ds_store_2addr_b64 v130, v[136:137], v[138:139] offset0:30 offset1:31
	;; [unrolled: 1-line block ×6, first 2 shown]
	v_dual_mov_b32 v126, v60 :: v_dual_mov_b32 v127, v61
	v_dual_mov_b32 v134, v56 :: v_dual_mov_b32 v135, v57
	;; [unrolled: 1-line block ×12, first 2 shown]
	ds_store_2addr_b64 v130, v[126:127], v[134:135] offset0:40 offset1:41
	ds_store_2addr_b64 v130, v[136:137], v[138:139] offset0:42 offset1:43
	;; [unrolled: 1-line block ×6, first 2 shown]
	v_dual_mov_b32 v126, v34 :: v_dual_mov_b32 v127, v35
	v_dual_mov_b32 v136, v28 :: v_dual_mov_b32 v137, v29
	;; [unrolled: 1-line block ×7, first 2 shown]
	v_mov_b32_e32 v147, v15
	ds_store_2addr_b64 v130, v[126:127], v[136:137] offset0:52 offset1:53
	ds_store_2addr_b64 v130, v[138:139], v[140:141] offset0:54 offset1:55
	;; [unrolled: 1-line block ×4, first 2 shown]
.LBB118_501:
	s_or_b32 exec_lo, exec_lo, s0
	s_delay_alu instid0(SALU_CYCLE_1)
	s_mov_b32 s0, exec_lo
	s_wait_storecnt_dscnt 0x0
	s_barrier_signal -1
	s_barrier_wait -1
	v_cmpx_lt_i32_e32 23, v134
	s_cbranch_execz .LBB118_503
; %bb.502:
	v_pk_mul_f32 v[136:137], v[128:129], v[30:31] op_sel:[1,1] op_sel_hi:[0,1]
	s_delay_alu instid0(VALU_DEP_1)
	v_pk_fma_f32 v[126:127], v[128:129], v[30:31], v[136:137] op_sel_hi:[1,0,1] neg_lo:[0,0,1] neg_hi:[0,0,1]
	v_pk_fma_f32 v[128:129], v[128:129], v[30:31], v[136:137] op_sel_hi:[1,0,1]
	ds_load_2addr_b64 v[136:139], v130 offset0:24 offset1:25
	v_dual_mov_b32 v30, v126 :: v_dual_mov_b32 v31, v129
	s_wait_dscnt 0x0
	v_pk_mul_f32 v[140:141], v[136:137], v[128:129] op_sel:[0,1]
	s_delay_alu instid0(VALU_DEP_1) | instskip(SKIP_1) | instid1(VALU_DEP_1)
	v_pk_fma_f32 v[142:143], v[136:137], v[126:127], v[140:141] op_sel:[0,0,1] op_sel_hi:[1,1,0] neg_lo:[0,0,1] neg_hi:[0,0,1]
	v_pk_fma_f32 v[136:137], v[136:137], v[126:127], v[140:141] op_sel:[0,0,1] op_sel_hi:[1,0,0]
	v_mov_b32_e32 v143, v137
	v_pk_mul_f32 v[136:137], v[138:139], v[128:129] op_sel:[0,1]
	s_delay_alu instid0(VALU_DEP_1) | instskip(SKIP_1) | instid1(VALU_DEP_1)
	v_pk_fma_f32 v[140:141], v[138:139], v[126:127], v[136:137] op_sel:[0,0,1] op_sel_hi:[1,1,0] neg_lo:[0,0,1] neg_hi:[0,0,1]
	v_pk_fma_f32 v[136:137], v[138:139], v[126:127], v[136:137] op_sel:[0,0,1] op_sel_hi:[1,0,0]
	v_mov_b32_e32 v141, v137
	ds_load_2addr_b64 v[136:139], v130 offset0:26 offset1:27
	v_pk_add_f32 v[84:85], v[84:85], v[142:143] neg_lo:[0,1] neg_hi:[0,1]
	v_pk_add_f32 v[80:81], v[80:81], v[140:141] neg_lo:[0,1] neg_hi:[0,1]
	s_wait_dscnt 0x0
	v_pk_mul_f32 v[140:141], v[136:137], v[128:129] op_sel:[0,1]
	s_delay_alu instid0(VALU_DEP_1) | instskip(SKIP_2) | instid1(VALU_DEP_2)
	v_pk_fma_f32 v[142:143], v[136:137], v[126:127], v[140:141] op_sel:[0,0,1] op_sel_hi:[1,1,0] neg_lo:[0,0,1] neg_hi:[0,0,1]
	v_pk_fma_f32 v[136:137], v[136:137], v[126:127], v[140:141] op_sel:[0,0,1] op_sel_hi:[1,0,0]
	v_dual_mul_f32 v140, v139, v129 :: v_dual_mov_b32 v136, v139
	v_dual_mov_b32 v143, v137 :: v_dual_mov_b32 v137, v138
	s_delay_alu instid0(VALU_DEP_2) | instskip(SKIP_1) | instid1(VALU_DEP_3)
	v_pk_fma_f32 v[140:141], v[138:139], v[30:31], v[140:141] op_sel_hi:[1,1,0] neg_lo:[0,0,1] neg_hi:[0,0,1]
	v_mul_f32_e32 v138, v139, v126
	v_pk_add_f32 v[82:83], v[82:83], v[142:143] neg_lo:[0,1] neg_hi:[0,1]
	s_delay_alu instid0(VALU_DEP_2) | instskip(NEXT) | instid1(VALU_DEP_1)
	v_pk_fma_f32 v[136:137], v[136:137], v[30:31], v[138:139] op_sel_hi:[1,1,0]
	v_mov_b32_e32 v141, v137
	ds_load_2addr_b64 v[136:139], v130 offset0:28 offset1:29
	v_pk_add_f32 v[24:25], v[24:25], v[140:141] neg_lo:[0,1] neg_hi:[0,1]
	s_wait_dscnt 0x0
	v_pk_mul_f32 v[140:141], v[136:137], v[128:129] op_sel:[0,1]
	s_delay_alu instid0(VALU_DEP_1) | instskip(SKIP_1) | instid1(VALU_DEP_1)
	v_pk_fma_f32 v[142:143], v[136:137], v[126:127], v[140:141] op_sel:[0,0,1] op_sel_hi:[1,1,0] neg_lo:[0,0,1] neg_hi:[0,0,1]
	v_pk_fma_f32 v[136:137], v[136:137], v[126:127], v[140:141] op_sel:[0,0,1] op_sel_hi:[1,0,0]
	v_mov_b32_e32 v143, v137
	v_pk_mul_f32 v[136:137], v[138:139], v[128:129] op_sel:[0,1]
	s_delay_alu instid0(VALU_DEP_1) | instskip(SKIP_1) | instid1(VALU_DEP_1)
	v_pk_fma_f32 v[140:141], v[138:139], v[126:127], v[136:137] op_sel:[0,0,1] op_sel_hi:[1,1,0] neg_lo:[0,0,1] neg_hi:[0,0,1]
	v_pk_fma_f32 v[136:137], v[138:139], v[126:127], v[136:137] op_sel:[0,0,1] op_sel_hi:[1,0,0]
	v_mov_b32_e32 v141, v137
	ds_load_2addr_b64 v[136:139], v130 offset0:30 offset1:31
	v_pk_add_f32 v[78:79], v[78:79], v[142:143] neg_lo:[0,1] neg_hi:[0,1]
	v_pk_add_f32 v[74:75], v[74:75], v[140:141] neg_lo:[0,1] neg_hi:[0,1]
	s_wait_dscnt 0x0
	v_pk_mul_f32 v[140:141], v[136:137], v[128:129] op_sel:[0,1]
	s_delay_alu instid0(VALU_DEP_1) | instskip(SKIP_1) | instid1(VALU_DEP_1)
	v_pk_fma_f32 v[142:143], v[136:137], v[126:127], v[140:141] op_sel:[0,0,1] op_sel_hi:[1,1,0] neg_lo:[0,0,1] neg_hi:[0,0,1]
	v_pk_fma_f32 v[136:137], v[136:137], v[126:127], v[140:141] op_sel:[0,0,1] op_sel_hi:[1,0,0]
	v_mov_b32_e32 v143, v137
	v_pk_mul_f32 v[136:137], v[138:139], v[128:129] op_sel:[0,1]
	s_delay_alu instid0(VALU_DEP_1) | instskip(SKIP_1) | instid1(VALU_DEP_1)
	v_pk_fma_f32 v[140:141], v[138:139], v[126:127], v[136:137] op_sel:[0,0,1] op_sel_hi:[1,1,0] neg_lo:[0,0,1] neg_hi:[0,0,1]
	v_pk_fma_f32 v[136:137], v[138:139], v[126:127], v[136:137] op_sel:[0,0,1] op_sel_hi:[1,0,0]
	v_mov_b32_e32 v141, v137
	ds_load_2addr_b64 v[136:139], v130 offset0:32 offset1:33
	v_pk_add_f32 v[76:77], v[76:77], v[142:143] neg_lo:[0,1] neg_hi:[0,1]
	v_pk_add_f32 v[22:23], v[22:23], v[140:141] neg_lo:[0,1] neg_hi:[0,1]
	s_wait_dscnt 0x0
	v_dual_mul_f32 v140, v137, v129 :: v_dual_mul_f32 v142, v137, v126
	s_delay_alu instid0(VALU_DEP_1) | instskip(NEXT) | instid1(VALU_DEP_2)
	v_pk_fma_f32 v[140:141], v[136:137], v[30:31], v[140:141] op_sel_hi:[1,1,0] neg_lo:[0,0,1] neg_hi:[0,0,1]
	v_pk_fma_f32 v[136:137], v[136:137], v[30:31], v[142:143] op_sel:[1,0,0] op_sel_hi:[0,1,0]
	s_delay_alu instid0(VALU_DEP_1) | instskip(SKIP_1) | instid1(VALU_DEP_2)
	v_mov_b32_e32 v141, v137
	v_pk_mul_f32 v[136:137], v[138:139], v[128:129] op_sel:[0,1]
	v_pk_add_f32 v[72:73], v[72:73], v[140:141] neg_lo:[0,1] neg_hi:[0,1]
	s_delay_alu instid0(VALU_DEP_2) | instskip(SKIP_1) | instid1(VALU_DEP_1)
	v_pk_fma_f32 v[140:141], v[138:139], v[126:127], v[136:137] op_sel:[0,0,1] op_sel_hi:[1,1,0] neg_lo:[0,0,1] neg_hi:[0,0,1]
	v_pk_fma_f32 v[136:137], v[138:139], v[126:127], v[136:137] op_sel:[0,0,1] op_sel_hi:[1,0,0]
	v_mov_b32_e32 v141, v137
	ds_load_2addr_b64 v[136:139], v130 offset0:34 offset1:35
	v_pk_add_f32 v[68:69], v[68:69], v[140:141] neg_lo:[0,1] neg_hi:[0,1]
	s_wait_dscnt 0x0
	v_pk_mul_f32 v[140:141], v[136:137], v[128:129] op_sel:[0,1]
	s_delay_alu instid0(VALU_DEP_1) | instskip(SKIP_1) | instid1(VALU_DEP_1)
	v_pk_fma_f32 v[142:143], v[136:137], v[126:127], v[140:141] op_sel:[0,0,1] op_sel_hi:[1,1,0] neg_lo:[0,0,1] neg_hi:[0,0,1]
	v_pk_fma_f32 v[136:137], v[136:137], v[126:127], v[140:141] op_sel:[0,0,1] op_sel_hi:[1,0,0]
	v_mov_b32_e32 v143, v137
	v_pk_mul_f32 v[136:137], v[138:139], v[128:129] op_sel:[0,1]
	s_delay_alu instid0(VALU_DEP_2) | instskip(NEXT) | instid1(VALU_DEP_2)
	v_pk_add_f32 v[70:71], v[70:71], v[142:143] neg_lo:[0,1] neg_hi:[0,1]
	v_pk_fma_f32 v[140:141], v[138:139], v[126:127], v[136:137] op_sel:[0,0,1] op_sel_hi:[1,1,0] neg_lo:[0,0,1] neg_hi:[0,0,1]
	v_pk_fma_f32 v[136:137], v[138:139], v[126:127], v[136:137] op_sel:[0,0,1] op_sel_hi:[1,0,0]
	s_delay_alu instid0(VALU_DEP_1) | instskip(SKIP_4) | instid1(VALU_DEP_1)
	v_mov_b32_e32 v141, v137
	ds_load_2addr_b64 v[136:139], v130 offset0:36 offset1:37
	v_pk_add_f32 v[20:21], v[20:21], v[140:141] neg_lo:[0,1] neg_hi:[0,1]
	s_wait_dscnt 0x0
	v_pk_mul_f32 v[140:141], v[136:137], v[128:129] op_sel:[0,1]
	v_pk_fma_f32 v[142:143], v[136:137], v[126:127], v[140:141] op_sel:[0,0,1] op_sel_hi:[1,1,0] neg_lo:[0,0,1] neg_hi:[0,0,1]
	v_pk_fma_f32 v[136:137], v[136:137], v[126:127], v[140:141] op_sel:[0,0,1] op_sel_hi:[1,0,0]
	v_dual_mul_f32 v140, v139, v129 :: v_dual_mov_b32 v136, v139
	s_delay_alu instid0(VALU_DEP_2) | instskip(NEXT) | instid1(VALU_DEP_2)
	v_dual_mov_b32 v143, v137 :: v_dual_mov_b32 v137, v138
	v_pk_fma_f32 v[140:141], v[138:139], v[30:31], v[140:141] op_sel_hi:[1,1,0] neg_lo:[0,0,1] neg_hi:[0,0,1]
	v_mul_f32_e32 v138, v139, v126
	s_delay_alu instid0(VALU_DEP_3) | instskip(NEXT) | instid1(VALU_DEP_2)
	v_pk_add_f32 v[66:67], v[66:67], v[142:143] neg_lo:[0,1] neg_hi:[0,1]
	v_pk_fma_f32 v[136:137], v[136:137], v[30:31], v[138:139] op_sel_hi:[1,1,0]
	s_delay_alu instid0(VALU_DEP_1) | instskip(SKIP_4) | instid1(VALU_DEP_1)
	v_mov_b32_e32 v141, v137
	ds_load_2addr_b64 v[136:139], v130 offset0:38 offset1:39
	v_pk_add_f32 v[62:63], v[62:63], v[140:141] neg_lo:[0,1] neg_hi:[0,1]
	s_wait_dscnt 0x0
	v_pk_mul_f32 v[140:141], v[136:137], v[128:129] op_sel:[0,1]
	v_pk_fma_f32 v[142:143], v[136:137], v[126:127], v[140:141] op_sel:[0,0,1] op_sel_hi:[1,1,0] neg_lo:[0,0,1] neg_hi:[0,0,1]
	v_pk_fma_f32 v[136:137], v[136:137], v[126:127], v[140:141] op_sel:[0,0,1] op_sel_hi:[1,0,0]
	s_delay_alu instid0(VALU_DEP_1) | instskip(SKIP_1) | instid1(VALU_DEP_1)
	v_mov_b32_e32 v143, v137
	v_pk_mul_f32 v[136:137], v[138:139], v[128:129] op_sel:[0,1]
	v_pk_fma_f32 v[140:141], v[138:139], v[126:127], v[136:137] op_sel:[0,0,1] op_sel_hi:[1,1,0] neg_lo:[0,0,1] neg_hi:[0,0,1]
	v_pk_fma_f32 v[136:137], v[138:139], v[126:127], v[136:137] op_sel:[0,0,1] op_sel_hi:[1,0,0]
	s_delay_alu instid0(VALU_DEP_1)
	v_mov_b32_e32 v141, v137
	ds_load_2addr_b64 v[136:139], v130 offset0:40 offset1:41
	v_pk_add_f32 v[64:65], v[64:65], v[142:143] neg_lo:[0,1] neg_hi:[0,1]
	v_pk_add_f32 v[18:19], v[18:19], v[140:141] neg_lo:[0,1] neg_hi:[0,1]
	s_wait_dscnt 0x0
	v_pk_mul_f32 v[140:141], v[136:137], v[128:129] op_sel:[0,1]
	s_delay_alu instid0(VALU_DEP_1) | instskip(SKIP_1) | instid1(VALU_DEP_1)
	v_pk_fma_f32 v[142:143], v[136:137], v[126:127], v[140:141] op_sel:[0,0,1] op_sel_hi:[1,1,0] neg_lo:[0,0,1] neg_hi:[0,0,1]
	v_pk_fma_f32 v[136:137], v[136:137], v[126:127], v[140:141] op_sel:[0,0,1] op_sel_hi:[1,0,0]
	v_mov_b32_e32 v143, v137
	v_pk_mul_f32 v[136:137], v[138:139], v[128:129] op_sel:[0,1]
	s_delay_alu instid0(VALU_DEP_1) | instskip(SKIP_1) | instid1(VALU_DEP_1)
	v_pk_fma_f32 v[140:141], v[138:139], v[126:127], v[136:137] op_sel:[0,0,1] op_sel_hi:[1,1,0] neg_lo:[0,0,1] neg_hi:[0,0,1]
	v_pk_fma_f32 v[136:137], v[138:139], v[126:127], v[136:137] op_sel:[0,0,1] op_sel_hi:[1,0,0]
	v_mov_b32_e32 v141, v137
	ds_load_2addr_b64 v[136:139], v130 offset0:42 offset1:43
	v_pk_add_f32 v[60:61], v[60:61], v[142:143] neg_lo:[0,1] neg_hi:[0,1]
	v_pk_add_f32 v[56:57], v[56:57], v[140:141] neg_lo:[0,1] neg_hi:[0,1]
	s_wait_dscnt 0x0
	v_dual_mul_f32 v140, v137, v129 :: v_dual_mul_f32 v142, v137, v126
	s_delay_alu instid0(VALU_DEP_1) | instskip(NEXT) | instid1(VALU_DEP_2)
	v_pk_fma_f32 v[140:141], v[136:137], v[30:31], v[140:141] op_sel_hi:[1,1,0] neg_lo:[0,0,1] neg_hi:[0,0,1]
	v_pk_fma_f32 v[136:137], v[136:137], v[30:31], v[142:143] op_sel:[1,0,0] op_sel_hi:[0,1,0]
	s_delay_alu instid0(VALU_DEP_1) | instskip(SKIP_1) | instid1(VALU_DEP_2)
	v_mov_b32_e32 v141, v137
	v_pk_mul_f32 v[136:137], v[138:139], v[128:129] op_sel:[0,1]
	v_pk_add_f32 v[58:59], v[58:59], v[140:141] neg_lo:[0,1] neg_hi:[0,1]
	s_delay_alu instid0(VALU_DEP_2) | instskip(SKIP_1) | instid1(VALU_DEP_1)
	v_pk_fma_f32 v[140:141], v[138:139], v[126:127], v[136:137] op_sel:[0,0,1] op_sel_hi:[1,1,0] neg_lo:[0,0,1] neg_hi:[0,0,1]
	v_pk_fma_f32 v[136:137], v[138:139], v[126:127], v[136:137] op_sel:[0,0,1] op_sel_hi:[1,0,0]
	v_mov_b32_e32 v141, v137
	ds_load_2addr_b64 v[136:139], v130 offset0:44 offset1:45
	v_pk_add_f32 v[12:13], v[12:13], v[140:141] neg_lo:[0,1] neg_hi:[0,1]
	s_wait_dscnt 0x0
	v_pk_mul_f32 v[140:141], v[136:137], v[128:129] op_sel:[0,1]
	s_delay_alu instid0(VALU_DEP_1) | instskip(SKIP_1) | instid1(VALU_DEP_1)
	v_pk_fma_f32 v[142:143], v[136:137], v[126:127], v[140:141] op_sel:[0,0,1] op_sel_hi:[1,1,0] neg_lo:[0,0,1] neg_hi:[0,0,1]
	v_pk_fma_f32 v[136:137], v[136:137], v[126:127], v[140:141] op_sel:[0,0,1] op_sel_hi:[1,0,0]
	v_mov_b32_e32 v143, v137
	v_pk_mul_f32 v[136:137], v[138:139], v[128:129] op_sel:[0,1]
	s_delay_alu instid0(VALU_DEP_2) | instskip(NEXT) | instid1(VALU_DEP_2)
	v_pk_add_f32 v[54:55], v[54:55], v[142:143] neg_lo:[0,1] neg_hi:[0,1]
	v_pk_fma_f32 v[140:141], v[138:139], v[126:127], v[136:137] op_sel:[0,0,1] op_sel_hi:[1,1,0] neg_lo:[0,0,1] neg_hi:[0,0,1]
	v_pk_fma_f32 v[136:137], v[138:139], v[126:127], v[136:137] op_sel:[0,0,1] op_sel_hi:[1,0,0]
	s_delay_alu instid0(VALU_DEP_1) | instskip(SKIP_4) | instid1(VALU_DEP_1)
	v_mov_b32_e32 v141, v137
	ds_load_2addr_b64 v[136:139], v130 offset0:46 offset1:47
	v_pk_add_f32 v[50:51], v[50:51], v[140:141] neg_lo:[0,1] neg_hi:[0,1]
	s_wait_dscnt 0x0
	v_pk_mul_f32 v[140:141], v[136:137], v[128:129] op_sel:[0,1]
	v_pk_fma_f32 v[142:143], v[136:137], v[126:127], v[140:141] op_sel:[0,0,1] op_sel_hi:[1,1,0] neg_lo:[0,0,1] neg_hi:[0,0,1]
	v_pk_fma_f32 v[136:137], v[136:137], v[126:127], v[140:141] op_sel:[0,0,1] op_sel_hi:[1,0,0]
	v_dual_mul_f32 v140, v139, v129 :: v_dual_mov_b32 v136, v139
	s_delay_alu instid0(VALU_DEP_2) | instskip(NEXT) | instid1(VALU_DEP_2)
	v_dual_mov_b32 v143, v137 :: v_dual_mov_b32 v137, v138
	v_pk_fma_f32 v[140:141], v[138:139], v[30:31], v[140:141] op_sel_hi:[1,1,0] neg_lo:[0,0,1] neg_hi:[0,0,1]
	v_mul_f32_e32 v138, v139, v126
	s_delay_alu instid0(VALU_DEP_3) | instskip(NEXT) | instid1(VALU_DEP_2)
	v_pk_add_f32 v[52:53], v[52:53], v[142:143] neg_lo:[0,1] neg_hi:[0,1]
	v_pk_fma_f32 v[136:137], v[136:137], v[30:31], v[138:139] op_sel_hi:[1,1,0]
	s_delay_alu instid0(VALU_DEP_1) | instskip(SKIP_4) | instid1(VALU_DEP_1)
	v_mov_b32_e32 v141, v137
	ds_load_2addr_b64 v[136:139], v130 offset0:48 offset1:49
	v_pk_add_f32 v[10:11], v[10:11], v[140:141] neg_lo:[0,1] neg_hi:[0,1]
	s_wait_dscnt 0x0
	v_pk_mul_f32 v[140:141], v[136:137], v[128:129] op_sel:[0,1]
	v_pk_fma_f32 v[142:143], v[136:137], v[126:127], v[140:141] op_sel:[0,0,1] op_sel_hi:[1,1,0] neg_lo:[0,0,1] neg_hi:[0,0,1]
	v_pk_fma_f32 v[136:137], v[136:137], v[126:127], v[140:141] op_sel:[0,0,1] op_sel_hi:[1,0,0]
	s_delay_alu instid0(VALU_DEP_1) | instskip(SKIP_1) | instid1(VALU_DEP_1)
	v_mov_b32_e32 v143, v137
	v_pk_mul_f32 v[136:137], v[138:139], v[128:129] op_sel:[0,1]
	v_pk_fma_f32 v[140:141], v[138:139], v[126:127], v[136:137] op_sel:[0,0,1] op_sel_hi:[1,1,0] neg_lo:[0,0,1] neg_hi:[0,0,1]
	v_pk_fma_f32 v[136:137], v[138:139], v[126:127], v[136:137] op_sel:[0,0,1] op_sel_hi:[1,0,0]
	s_delay_alu instid0(VALU_DEP_1)
	v_mov_b32_e32 v141, v137
	ds_load_2addr_b64 v[136:139], v130 offset0:50 offset1:51
	v_pk_add_f32 v[46:47], v[46:47], v[142:143] neg_lo:[0,1] neg_hi:[0,1]
	v_pk_add_f32 v[44:45], v[44:45], v[140:141] neg_lo:[0,1] neg_hi:[0,1]
	s_wait_dscnt 0x0
	v_pk_mul_f32 v[140:141], v[136:137], v[128:129] op_sel:[0,1]
	s_delay_alu instid0(VALU_DEP_1) | instskip(SKIP_1) | instid1(VALU_DEP_1)
	v_pk_fma_f32 v[142:143], v[136:137], v[126:127], v[140:141] op_sel:[0,0,1] op_sel_hi:[1,1,0] neg_lo:[0,0,1] neg_hi:[0,0,1]
	v_pk_fma_f32 v[136:137], v[136:137], v[126:127], v[140:141] op_sel:[0,0,1] op_sel_hi:[1,0,0]
	v_mov_b32_e32 v143, v137
	v_pk_mul_f32 v[136:137], v[138:139], v[128:129] op_sel:[0,1]
	s_delay_alu instid0(VALU_DEP_1) | instskip(SKIP_1) | instid1(VALU_DEP_1)
	v_pk_fma_f32 v[140:141], v[138:139], v[126:127], v[136:137] op_sel:[0,0,1] op_sel_hi:[1,1,0] neg_lo:[0,0,1] neg_hi:[0,0,1]
	v_pk_fma_f32 v[136:137], v[138:139], v[126:127], v[136:137] op_sel:[0,0,1] op_sel_hi:[1,0,0]
	v_mov_b32_e32 v141, v137
	ds_load_2addr_b64 v[136:139], v130 offset0:52 offset1:53
	v_pk_add_f32 v[48:49], v[48:49], v[142:143] neg_lo:[0,1] neg_hi:[0,1]
	v_pk_add_f32 v[8:9], v[8:9], v[140:141] neg_lo:[0,1] neg_hi:[0,1]
	s_wait_dscnt 0x0
	v_dual_mul_f32 v140, v137, v129 :: v_dual_mul_f32 v142, v137, v126
	s_delay_alu instid0(VALU_DEP_1) | instskip(NEXT) | instid1(VALU_DEP_2)
	v_pk_fma_f32 v[140:141], v[136:137], v[30:31], v[140:141] op_sel_hi:[1,1,0] neg_lo:[0,0,1] neg_hi:[0,0,1]
	v_pk_fma_f32 v[136:137], v[136:137], v[30:31], v[142:143] op_sel:[1,0,0] op_sel_hi:[0,1,0]
	s_delay_alu instid0(VALU_DEP_1) | instskip(SKIP_1) | instid1(VALU_DEP_2)
	v_mov_b32_e32 v141, v137
	v_pk_mul_f32 v[136:137], v[138:139], v[128:129] op_sel:[0,1]
	v_pk_add_f32 v[34:35], v[34:35], v[140:141] neg_lo:[0,1] neg_hi:[0,1]
	s_delay_alu instid0(VALU_DEP_2) | instskip(SKIP_1) | instid1(VALU_DEP_1)
	v_pk_fma_f32 v[140:141], v[138:139], v[126:127], v[136:137] op_sel:[0,0,1] op_sel_hi:[1,1,0] neg_lo:[0,0,1] neg_hi:[0,0,1]
	v_pk_fma_f32 v[136:137], v[138:139], v[126:127], v[136:137] op_sel:[0,0,1] op_sel_hi:[1,0,0]
	v_mov_b32_e32 v141, v137
	ds_load_2addr_b64 v[136:139], v130 offset0:54 offset1:55
	v_pk_add_f32 v[28:29], v[28:29], v[140:141] neg_lo:[0,1] neg_hi:[0,1]
	s_wait_dscnt 0x0
	v_pk_mul_f32 v[140:141], v[136:137], v[128:129] op_sel:[0,1]
	s_delay_alu instid0(VALU_DEP_1) | instskip(SKIP_1) | instid1(VALU_DEP_1)
	v_pk_fma_f32 v[142:143], v[136:137], v[126:127], v[140:141] op_sel:[0,0,1] op_sel_hi:[1,1,0] neg_lo:[0,0,1] neg_hi:[0,0,1]
	v_pk_fma_f32 v[136:137], v[136:137], v[126:127], v[140:141] op_sel:[0,0,1] op_sel_hi:[1,0,0]
	v_mov_b32_e32 v143, v137
	v_pk_mul_f32 v[136:137], v[138:139], v[128:129] op_sel:[0,1]
	s_delay_alu instid0(VALU_DEP_2) | instskip(NEXT) | instid1(VALU_DEP_2)
	v_pk_add_f32 v[32:33], v[32:33], v[142:143] neg_lo:[0,1] neg_hi:[0,1]
	v_pk_fma_f32 v[140:141], v[138:139], v[126:127], v[136:137] op_sel:[0,0,1] op_sel_hi:[1,1,0] neg_lo:[0,0,1] neg_hi:[0,0,1]
	v_pk_fma_f32 v[136:137], v[138:139], v[126:127], v[136:137] op_sel:[0,0,1] op_sel_hi:[1,0,0]
	s_delay_alu instid0(VALU_DEP_1) | instskip(SKIP_4) | instid1(VALU_DEP_1)
	v_mov_b32_e32 v141, v137
	ds_load_2addr_b64 v[136:139], v130 offset0:56 offset1:57
	v_pk_add_f32 v[6:7], v[6:7], v[140:141] neg_lo:[0,1] neg_hi:[0,1]
	s_wait_dscnt 0x0
	v_pk_mul_f32 v[140:141], v[136:137], v[128:129] op_sel:[0,1]
	v_pk_fma_f32 v[142:143], v[136:137], v[126:127], v[140:141] op_sel:[0,0,1] op_sel_hi:[1,1,0] neg_lo:[0,0,1] neg_hi:[0,0,1]
	v_pk_fma_f32 v[136:137], v[136:137], v[126:127], v[140:141] op_sel:[0,0,1] op_sel_hi:[1,0,0]
	v_dual_mul_f32 v140, v139, v129 :: v_dual_mov_b32 v136, v139
	s_delay_alu instid0(VALU_DEP_2) | instskip(NEXT) | instid1(VALU_DEP_2)
	v_dual_mov_b32 v143, v137 :: v_dual_mov_b32 v137, v138
	v_pk_fma_f32 v[140:141], v[138:139], v[30:31], v[140:141] op_sel_hi:[1,1,0] neg_lo:[0,0,1] neg_hi:[0,0,1]
	v_mul_f32_e32 v138, v139, v126
	s_delay_alu instid0(VALU_DEP_3) | instskip(NEXT) | instid1(VALU_DEP_2)
	v_pk_add_f32 v[26:27], v[26:27], v[142:143] neg_lo:[0,1] neg_hi:[0,1]
	v_pk_fma_f32 v[136:137], v[136:137], v[30:31], v[138:139] op_sel_hi:[1,1,0]
	s_delay_alu instid0(VALU_DEP_1)
	v_mov_b32_e32 v141, v137
	ds_load_2addr_b64 v[136:139], v130 offset0:58 offset1:59
	v_pk_add_f32 v[16:17], v[16:17], v[140:141] neg_lo:[0,1] neg_hi:[0,1]
	s_wait_dscnt 0x0
	v_pk_mul_f32 v[140:141], v[136:137], v[128:129] op_sel:[0,1]
	v_mul_f32_e32 v128, v139, v129
	s_delay_alu instid0(VALU_DEP_2) | instskip(SKIP_2) | instid1(VALU_DEP_4)
	v_pk_fma_f32 v[142:143], v[136:137], v[126:127], v[140:141] op_sel:[0,0,1] op_sel_hi:[1,1,0] neg_lo:[0,0,1] neg_hi:[0,0,1]
	v_pk_fma_f32 v[136:137], v[136:137], v[126:127], v[140:141] op_sel:[0,0,1] op_sel_hi:[1,0,0]
	v_dual_mov_b32 v136, v139 :: v_dual_mul_f32 v126, v139, v126
	v_pk_fma_f32 v[128:129], v[138:139], v[30:31], v[128:129] op_sel_hi:[1,1,0] neg_lo:[0,0,1] neg_hi:[0,0,1]
	s_delay_alu instid0(VALU_DEP_3) | instskip(NEXT) | instid1(VALU_DEP_1)
	v_dual_mov_b32 v143, v137 :: v_dual_mov_b32 v137, v138
	v_pk_add_f32 v[14:15], v[14:15], v[142:143] neg_lo:[0,1] neg_hi:[0,1]
	s_delay_alu instid0(VALU_DEP_2) | instskip(NEXT) | instid1(VALU_DEP_1)
	v_pk_fma_f32 v[126:127], v[136:137], v[30:31], v[126:127] op_sel_hi:[1,1,0]
	v_mov_b32_e32 v129, v127
	s_delay_alu instid0(VALU_DEP_1)
	v_pk_add_f32 v[124:125], v[124:125], v[128:129] neg_lo:[0,1] neg_hi:[0,1]
.LBB118_503:
	s_or_b32 exec_lo, exec_lo, s0
	v_lshl_add_u32 v126, v134, 3, v130
	s_barrier_signal -1
	s_barrier_wait -1
	ds_store_b64 v126, v[84:85]
	s_wait_dscnt 0x0
	s_barrier_signal -1
	s_barrier_wait -1
	ds_load_b64 v[128:129], v130 offset:192
	v_mov_b32_e32 v126, 24
	s_cmp_lt_i32 s18, 26
	s_cbranch_scc1 .LBB118_506
; %bb.504:
	v_add3_u32 v127, v131, 0, 0xc8
	v_mov_b32_e32 v126, 24
	s_mov_b32 s0, 25
.LBB118_505:                            ; =>This Inner Loop Header: Depth=1
	ds_load_b64 v[136:137], v127
	s_wait_dscnt 0x1
	v_cmp_gt_f32_e32 vcc_lo, 0, v128
	v_cndmask_b32_e64 v138, v128, -v128, vcc_lo
	v_cmp_gt_f32_e32 vcc_lo, 0, v129
	v_cndmask_b32_e64 v140, v129, -v129, vcc_lo
	s_wait_dscnt 0x0
	v_cmp_gt_f32_e32 vcc_lo, 0, v136
	v_cndmask_b32_e64 v139, v136, -v136, vcc_lo
	v_cmp_gt_f32_e32 vcc_lo, 0, v137
	v_cndmask_b32_e64 v141, v137, -v137, vcc_lo
	s_delay_alu instid0(VALU_DEP_1) | instskip(NEXT) | instid1(VALU_DEP_1)
	v_pk_add_f32 v[138:139], v[138:139], v[140:141]
	v_cmp_lt_f32_e32 vcc_lo, v138, v139
	v_dual_add_nc_u32 v127, 8, v127 :: v_dual_cndmask_b32 v129, v129, v137, vcc_lo
	v_cndmask_b32_e32 v128, v128, v136, vcc_lo
	v_cndmask_b32_e64 v126, v126, s0, vcc_lo
	s_add_co_i32 s0, s0, 1
	s_delay_alu instid0(SALU_CYCLE_1)
	s_cmp_lg_u32 s18, s0
	s_cbranch_scc1 .LBB118_505
.LBB118_506:
	s_wait_dscnt 0x0
	v_cmp_eq_f32_e32 vcc_lo, 0, v128
	v_cmp_eq_f32_e64 s0, 0, v129
	s_and_b32 s0, vcc_lo, s0
	s_delay_alu instid0(SALU_CYCLE_1) | instskip(NEXT) | instid1(SALU_CYCLE_1)
	s_and_saveexec_b32 s1, s0
	s_xor_b32 s0, exec_lo, s1
; %bb.507:
	v_cmp_ne_u32_e32 vcc_lo, 0, v132
	v_cndmask_b32_e32 v132, 25, v132, vcc_lo
; %bb.508:
	s_and_not1_saveexec_b32 s0, s0
	s_cbranch_execz .LBB118_514
; %bb.509:
	v_cmp_ngt_f32_e64 s1, |v128|, |v129|
	s_and_saveexec_b32 s12, s1
	s_delay_alu instid0(SALU_CYCLE_1)
	s_xor_b32 s1, exec_lo, s12
	s_cbranch_execz .LBB118_511
; %bb.510:
	v_div_scale_f32 v127, null, v129, v129, v128
	v_div_scale_f32 v137, vcc_lo, v128, v129, v128
	s_delay_alu instid0(VALU_DEP_2) | instskip(SKIP_1) | instid1(TRANS32_DEP_1)
	v_rcp_f32_e32 v135, v127
	v_nop
	v_fma_f32 v136, -v127, v135, 1.0
	s_delay_alu instid0(VALU_DEP_1) | instskip(NEXT) | instid1(VALU_DEP_1)
	v_fmac_f32_e32 v135, v136, v135
	v_mul_f32_e32 v136, v137, v135
	s_delay_alu instid0(VALU_DEP_1) | instskip(NEXT) | instid1(VALU_DEP_1)
	v_fma_f32 v138, -v127, v136, v137
	v_fmac_f32_e32 v136, v138, v135
	s_delay_alu instid0(VALU_DEP_1) | instskip(NEXT) | instid1(VALU_DEP_1)
	v_fma_f32 v127, -v127, v136, v137
	v_div_fmas_f32 v127, v127, v135, v136
	s_delay_alu instid0(VALU_DEP_1) | instskip(NEXT) | instid1(VALU_DEP_1)
	v_div_fixup_f32 v127, v127, v129, v128
	v_fmac_f32_e32 v129, v128, v127
	s_delay_alu instid0(VALU_DEP_1) | instskip(SKIP_1) | instid1(VALU_DEP_2)
	v_div_scale_f32 v128, null, v129, v129, 1.0
	v_div_scale_f32 v137, vcc_lo, 1.0, v129, 1.0
	v_rcp_f32_e32 v135, v128
	v_nop
	s_delay_alu instid0(TRANS32_DEP_1) | instskip(NEXT) | instid1(VALU_DEP_1)
	v_fma_f32 v136, -v128, v135, 1.0
	v_fmac_f32_e32 v135, v136, v135
	s_delay_alu instid0(VALU_DEP_1) | instskip(NEXT) | instid1(VALU_DEP_1)
	v_mul_f32_e32 v136, v137, v135
	v_fma_f32 v138, -v128, v136, v137
	s_delay_alu instid0(VALU_DEP_1) | instskip(NEXT) | instid1(VALU_DEP_1)
	v_fmac_f32_e32 v136, v138, v135
	v_fma_f32 v128, -v128, v136, v137
	s_delay_alu instid0(VALU_DEP_1) | instskip(NEXT) | instid1(VALU_DEP_1)
	v_div_fmas_f32 v128, v128, v135, v136
	v_div_fixup_f32 v129, v128, v129, 1.0
	s_delay_alu instid0(VALU_DEP_1)
	v_mul_f32_e32 v128, v127, v129
	v_xor_b32_e32 v129, 0x80000000, v129
.LBB118_511:
	s_and_not1_saveexec_b32 s1, s1
	s_cbranch_execz .LBB118_513
; %bb.512:
	s_delay_alu instid0(VALU_DEP_1) | instskip(SKIP_1) | instid1(VALU_DEP_2)
	v_div_scale_f32 v127, null, v128, v128, v129
	v_div_scale_f32 v137, vcc_lo, v129, v128, v129
	v_rcp_f32_e32 v135, v127
	v_nop
	s_delay_alu instid0(TRANS32_DEP_1) | instskip(NEXT) | instid1(VALU_DEP_1)
	v_fma_f32 v136, -v127, v135, 1.0
	v_fmac_f32_e32 v135, v136, v135
	s_delay_alu instid0(VALU_DEP_1) | instskip(NEXT) | instid1(VALU_DEP_1)
	v_mul_f32_e32 v136, v137, v135
	v_fma_f32 v138, -v127, v136, v137
	s_delay_alu instid0(VALU_DEP_1) | instskip(NEXT) | instid1(VALU_DEP_1)
	v_fmac_f32_e32 v136, v138, v135
	v_fma_f32 v127, -v127, v136, v137
	s_delay_alu instid0(VALU_DEP_1) | instskip(NEXT) | instid1(VALU_DEP_1)
	v_div_fmas_f32 v127, v127, v135, v136
	v_div_fixup_f32 v127, v127, v128, v129
	s_delay_alu instid0(VALU_DEP_1) | instskip(NEXT) | instid1(VALU_DEP_1)
	v_fmac_f32_e32 v128, v129, v127
	v_div_scale_f32 v129, null, v128, v128, 1.0
	s_delay_alu instid0(VALU_DEP_1) | instskip(SKIP_1) | instid1(TRANS32_DEP_1)
	v_rcp_f32_e32 v135, v129
	v_nop
	v_fma_f32 v136, -v129, v135, 1.0
	s_delay_alu instid0(VALU_DEP_1) | instskip(SKIP_1) | instid1(VALU_DEP_1)
	v_fmac_f32_e32 v135, v136, v135
	v_div_scale_f32 v136, vcc_lo, 1.0, v128, 1.0
	v_mul_f32_e32 v137, v136, v135
	s_delay_alu instid0(VALU_DEP_1) | instskip(NEXT) | instid1(VALU_DEP_1)
	v_fma_f32 v138, -v129, v137, v136
	v_fmac_f32_e32 v137, v138, v135
	s_delay_alu instid0(VALU_DEP_1) | instskip(NEXT) | instid1(VALU_DEP_1)
	v_fma_f32 v129, -v129, v137, v136
	v_div_fmas_f32 v129, v129, v135, v137
	s_delay_alu instid0(VALU_DEP_1) | instskip(NEXT) | instid1(VALU_DEP_1)
	v_div_fixup_f32 v128, v129, v128, 1.0
	v_mul_f32_e64 v129, v127, -v128
.LBB118_513:
	s_or_b32 exec_lo, exec_lo, s1
.LBB118_514:
	s_delay_alu instid0(SALU_CYCLE_1) | instskip(NEXT) | instid1(SALU_CYCLE_1)
	s_or_b32 exec_lo, exec_lo, s0
	s_mov_b32 s0, exec_lo
	v_cmpx_ne_u32_e64 v134, v126
	s_xor_b32 s0, exec_lo, s0
	s_cbranch_execz .LBB118_520
; %bb.515:
	s_mov_b32 s1, exec_lo
	v_cmpx_eq_u32_e32 24, v134
	s_cbranch_execz .LBB118_519
; %bb.516:
	v_cmp_ne_u32_e32 vcc_lo, 24, v126
	s_xor_b32 s12, s16, -1
	s_delay_alu instid0(SALU_CYCLE_1) | instskip(NEXT) | instid1(SALU_CYCLE_1)
	s_and_b32 s13, s12, vcc_lo
	s_and_saveexec_b32 s12, s13
	s_cbranch_execz .LBB118_518
; %bb.517:
	v_ashrrev_i32_e32 v127, 31, v126
	s_delay_alu instid0(VALU_DEP_1)
	v_lshl_add_u64 v[134:135], v[126:127], 2, v[4:5]
	s_clause 0x1
	global_load_b32 v127, v[134:135], off
	global_load_b32 v133, v[4:5], off offset:96
	s_wait_loadcnt 0x1
	global_store_b32 v[4:5], v127, off offset:96
	s_wait_loadcnt 0x0
	global_store_b32 v[134:135], v133, off
.LBB118_518:
	s_wait_xcnt 0x0
	s_or_b32 exec_lo, exec_lo, s12
	v_dual_mov_b32 v134, v126 :: v_dual_mov_b32 v133, v126
.LBB118_519:
	s_or_b32 exec_lo, exec_lo, s1
.LBB118_520:
	s_and_not1_saveexec_b32 s0, s0
	s_cbranch_execz .LBB118_522
; %bb.521:
	v_mov_b32_e32 v134, 24
	ds_store_2addr_b64 v130, v[80:81], v[82:83] offset0:25 offset1:26
	ds_store_2addr_b64 v130, v[24:25], v[78:79] offset0:27 offset1:28
	;; [unrolled: 1-line block ×17, first 2 shown]
	ds_store_b64 v130, v[124:125] offset:472
.LBB118_522:
	s_or_b32 exec_lo, exec_lo, s0
	s_delay_alu instid0(SALU_CYCLE_1)
	s_mov_b32 s0, exec_lo
	s_wait_storecnt_dscnt 0x0
	s_barrier_signal -1
	s_barrier_wait -1
	v_cmpx_lt_i32_e32 24, v134
	s_cbranch_execz .LBB118_524
; %bb.523:
	v_pk_mul_f32 v[136:137], v[128:129], v[84:85] op_sel:[1,1] op_sel_hi:[0,1]
	s_delay_alu instid0(VALU_DEP_1)
	v_pk_fma_f32 v[126:127], v[128:129], v[84:85], v[136:137] op_sel_hi:[1,0,1] neg_lo:[0,0,1] neg_hi:[0,0,1]
	v_pk_fma_f32 v[128:129], v[128:129], v[84:85], v[136:137] op_sel_hi:[1,0,1]
	ds_load_2addr_b64 v[136:139], v130 offset0:25 offset1:26
	v_dual_mov_b32 v84, v126 :: v_dual_mov_b32 v85, v129
	s_wait_dscnt 0x0
	v_pk_mul_f32 v[140:141], v[136:137], v[128:129] op_sel:[0,1]
	s_delay_alu instid0(VALU_DEP_1) | instskip(SKIP_1) | instid1(VALU_DEP_1)
	v_pk_fma_f32 v[142:143], v[136:137], v[126:127], v[140:141] op_sel:[0,0,1] op_sel_hi:[1,1,0] neg_lo:[0,0,1] neg_hi:[0,0,1]
	v_pk_fma_f32 v[136:137], v[136:137], v[126:127], v[140:141] op_sel:[0,0,1] op_sel_hi:[1,0,0]
	v_mov_b32_e32 v143, v137
	v_pk_mul_f32 v[136:137], v[138:139], v[128:129] op_sel:[0,1]
	s_delay_alu instid0(VALU_DEP_1) | instskip(SKIP_1) | instid1(VALU_DEP_1)
	v_pk_fma_f32 v[140:141], v[138:139], v[126:127], v[136:137] op_sel:[0,0,1] op_sel_hi:[1,1,0] neg_lo:[0,0,1] neg_hi:[0,0,1]
	v_pk_fma_f32 v[136:137], v[138:139], v[126:127], v[136:137] op_sel:[0,0,1] op_sel_hi:[1,0,0]
	v_mov_b32_e32 v141, v137
	ds_load_2addr_b64 v[136:139], v130 offset0:27 offset1:28
	v_pk_add_f32 v[80:81], v[80:81], v[142:143] neg_lo:[0,1] neg_hi:[0,1]
	v_pk_add_f32 v[82:83], v[82:83], v[140:141] neg_lo:[0,1] neg_hi:[0,1]
	s_wait_dscnt 0x0
	v_pk_mul_f32 v[140:141], v[136:137], v[128:129] op_sel:[0,1]
	s_delay_alu instid0(VALU_DEP_1) | instskip(SKIP_2) | instid1(VALU_DEP_2)
	v_pk_fma_f32 v[142:143], v[136:137], v[126:127], v[140:141] op_sel:[0,0,1] op_sel_hi:[1,1,0] neg_lo:[0,0,1] neg_hi:[0,0,1]
	v_pk_fma_f32 v[136:137], v[136:137], v[126:127], v[140:141] op_sel:[0,0,1] op_sel_hi:[1,0,0]
	v_dual_mul_f32 v140, v139, v129 :: v_dual_mov_b32 v136, v139
	v_dual_mov_b32 v143, v137 :: v_dual_mov_b32 v137, v138
	s_delay_alu instid0(VALU_DEP_2) | instskip(SKIP_1) | instid1(VALU_DEP_3)
	v_pk_fma_f32 v[140:141], v[138:139], v[84:85], v[140:141] op_sel_hi:[1,1,0] neg_lo:[0,0,1] neg_hi:[0,0,1]
	v_mul_f32_e32 v138, v139, v126
	v_pk_add_f32 v[24:25], v[24:25], v[142:143] neg_lo:[0,1] neg_hi:[0,1]
	s_delay_alu instid0(VALU_DEP_2) | instskip(NEXT) | instid1(VALU_DEP_1)
	v_pk_fma_f32 v[136:137], v[136:137], v[84:85], v[138:139] op_sel_hi:[1,1,0]
	v_mov_b32_e32 v141, v137
	ds_load_2addr_b64 v[136:139], v130 offset0:29 offset1:30
	v_pk_add_f32 v[78:79], v[78:79], v[140:141] neg_lo:[0,1] neg_hi:[0,1]
	s_wait_dscnt 0x0
	v_pk_mul_f32 v[140:141], v[136:137], v[128:129] op_sel:[0,1]
	s_delay_alu instid0(VALU_DEP_1) | instskip(SKIP_1) | instid1(VALU_DEP_1)
	v_pk_fma_f32 v[142:143], v[136:137], v[126:127], v[140:141] op_sel:[0,0,1] op_sel_hi:[1,1,0] neg_lo:[0,0,1] neg_hi:[0,0,1]
	v_pk_fma_f32 v[136:137], v[136:137], v[126:127], v[140:141] op_sel:[0,0,1] op_sel_hi:[1,0,0]
	v_mov_b32_e32 v143, v137
	v_pk_mul_f32 v[136:137], v[138:139], v[128:129] op_sel:[0,1]
	s_delay_alu instid0(VALU_DEP_1) | instskip(SKIP_1) | instid1(VALU_DEP_1)
	v_pk_fma_f32 v[140:141], v[138:139], v[126:127], v[136:137] op_sel:[0,0,1] op_sel_hi:[1,1,0] neg_lo:[0,0,1] neg_hi:[0,0,1]
	v_pk_fma_f32 v[136:137], v[138:139], v[126:127], v[136:137] op_sel:[0,0,1] op_sel_hi:[1,0,0]
	v_mov_b32_e32 v141, v137
	ds_load_2addr_b64 v[136:139], v130 offset0:31 offset1:32
	v_pk_add_f32 v[74:75], v[74:75], v[142:143] neg_lo:[0,1] neg_hi:[0,1]
	v_pk_add_f32 v[76:77], v[76:77], v[140:141] neg_lo:[0,1] neg_hi:[0,1]
	s_wait_dscnt 0x0
	v_pk_mul_f32 v[140:141], v[136:137], v[128:129] op_sel:[0,1]
	s_delay_alu instid0(VALU_DEP_1) | instskip(SKIP_1) | instid1(VALU_DEP_1)
	v_pk_fma_f32 v[142:143], v[136:137], v[126:127], v[140:141] op_sel:[0,0,1] op_sel_hi:[1,1,0] neg_lo:[0,0,1] neg_hi:[0,0,1]
	v_pk_fma_f32 v[136:137], v[136:137], v[126:127], v[140:141] op_sel:[0,0,1] op_sel_hi:[1,0,0]
	v_mov_b32_e32 v143, v137
	v_pk_mul_f32 v[136:137], v[138:139], v[128:129] op_sel:[0,1]
	s_delay_alu instid0(VALU_DEP_1) | instskip(SKIP_1) | instid1(VALU_DEP_1)
	v_pk_fma_f32 v[140:141], v[138:139], v[126:127], v[136:137] op_sel:[0,0,1] op_sel_hi:[1,1,0] neg_lo:[0,0,1] neg_hi:[0,0,1]
	v_pk_fma_f32 v[136:137], v[138:139], v[126:127], v[136:137] op_sel:[0,0,1] op_sel_hi:[1,0,0]
	v_mov_b32_e32 v141, v137
	ds_load_2addr_b64 v[136:139], v130 offset0:33 offset1:34
	v_pk_add_f32 v[22:23], v[22:23], v[142:143] neg_lo:[0,1] neg_hi:[0,1]
	v_pk_add_f32 v[72:73], v[72:73], v[140:141] neg_lo:[0,1] neg_hi:[0,1]
	s_wait_dscnt 0x0
	v_dual_mul_f32 v140, v137, v129 :: v_dual_mul_f32 v142, v137, v126
	s_delay_alu instid0(VALU_DEP_1) | instskip(NEXT) | instid1(VALU_DEP_2)
	v_pk_fma_f32 v[140:141], v[136:137], v[84:85], v[140:141] op_sel_hi:[1,1,0] neg_lo:[0,0,1] neg_hi:[0,0,1]
	v_pk_fma_f32 v[136:137], v[136:137], v[84:85], v[142:143] op_sel:[1,0,0] op_sel_hi:[0,1,0]
	s_delay_alu instid0(VALU_DEP_1) | instskip(SKIP_1) | instid1(VALU_DEP_2)
	v_mov_b32_e32 v141, v137
	v_pk_mul_f32 v[136:137], v[138:139], v[128:129] op_sel:[0,1]
	v_pk_add_f32 v[68:69], v[68:69], v[140:141] neg_lo:[0,1] neg_hi:[0,1]
	s_delay_alu instid0(VALU_DEP_2) | instskip(SKIP_1) | instid1(VALU_DEP_1)
	v_pk_fma_f32 v[140:141], v[138:139], v[126:127], v[136:137] op_sel:[0,0,1] op_sel_hi:[1,1,0] neg_lo:[0,0,1] neg_hi:[0,0,1]
	v_pk_fma_f32 v[136:137], v[138:139], v[126:127], v[136:137] op_sel:[0,0,1] op_sel_hi:[1,0,0]
	v_mov_b32_e32 v141, v137
	ds_load_2addr_b64 v[136:139], v130 offset0:35 offset1:36
	v_pk_add_f32 v[70:71], v[70:71], v[140:141] neg_lo:[0,1] neg_hi:[0,1]
	s_wait_dscnt 0x0
	v_pk_mul_f32 v[140:141], v[136:137], v[128:129] op_sel:[0,1]
	s_delay_alu instid0(VALU_DEP_1) | instskip(SKIP_1) | instid1(VALU_DEP_1)
	v_pk_fma_f32 v[142:143], v[136:137], v[126:127], v[140:141] op_sel:[0,0,1] op_sel_hi:[1,1,0] neg_lo:[0,0,1] neg_hi:[0,0,1]
	v_pk_fma_f32 v[136:137], v[136:137], v[126:127], v[140:141] op_sel:[0,0,1] op_sel_hi:[1,0,0]
	v_mov_b32_e32 v143, v137
	v_pk_mul_f32 v[136:137], v[138:139], v[128:129] op_sel:[0,1]
	s_delay_alu instid0(VALU_DEP_2) | instskip(NEXT) | instid1(VALU_DEP_2)
	v_pk_add_f32 v[20:21], v[20:21], v[142:143] neg_lo:[0,1] neg_hi:[0,1]
	v_pk_fma_f32 v[140:141], v[138:139], v[126:127], v[136:137] op_sel:[0,0,1] op_sel_hi:[1,1,0] neg_lo:[0,0,1] neg_hi:[0,0,1]
	v_pk_fma_f32 v[136:137], v[138:139], v[126:127], v[136:137] op_sel:[0,0,1] op_sel_hi:[1,0,0]
	s_delay_alu instid0(VALU_DEP_1) | instskip(SKIP_4) | instid1(VALU_DEP_1)
	v_mov_b32_e32 v141, v137
	ds_load_2addr_b64 v[136:139], v130 offset0:37 offset1:38
	v_pk_add_f32 v[66:67], v[66:67], v[140:141] neg_lo:[0,1] neg_hi:[0,1]
	s_wait_dscnt 0x0
	v_pk_mul_f32 v[140:141], v[136:137], v[128:129] op_sel:[0,1]
	v_pk_fma_f32 v[142:143], v[136:137], v[126:127], v[140:141] op_sel:[0,0,1] op_sel_hi:[1,1,0] neg_lo:[0,0,1] neg_hi:[0,0,1]
	v_pk_fma_f32 v[136:137], v[136:137], v[126:127], v[140:141] op_sel:[0,0,1] op_sel_hi:[1,0,0]
	v_dual_mul_f32 v140, v139, v129 :: v_dual_mov_b32 v136, v139
	s_delay_alu instid0(VALU_DEP_2) | instskip(NEXT) | instid1(VALU_DEP_2)
	v_dual_mov_b32 v143, v137 :: v_dual_mov_b32 v137, v138
	v_pk_fma_f32 v[140:141], v[138:139], v[84:85], v[140:141] op_sel_hi:[1,1,0] neg_lo:[0,0,1] neg_hi:[0,0,1]
	v_mul_f32_e32 v138, v139, v126
	s_delay_alu instid0(VALU_DEP_3) | instskip(NEXT) | instid1(VALU_DEP_2)
	v_pk_add_f32 v[62:63], v[62:63], v[142:143] neg_lo:[0,1] neg_hi:[0,1]
	v_pk_fma_f32 v[136:137], v[136:137], v[84:85], v[138:139] op_sel_hi:[1,1,0]
	s_delay_alu instid0(VALU_DEP_1) | instskip(SKIP_4) | instid1(VALU_DEP_1)
	v_mov_b32_e32 v141, v137
	ds_load_2addr_b64 v[136:139], v130 offset0:39 offset1:40
	v_pk_add_f32 v[64:65], v[64:65], v[140:141] neg_lo:[0,1] neg_hi:[0,1]
	s_wait_dscnt 0x0
	v_pk_mul_f32 v[140:141], v[136:137], v[128:129] op_sel:[0,1]
	v_pk_fma_f32 v[142:143], v[136:137], v[126:127], v[140:141] op_sel:[0,0,1] op_sel_hi:[1,1,0] neg_lo:[0,0,1] neg_hi:[0,0,1]
	v_pk_fma_f32 v[136:137], v[136:137], v[126:127], v[140:141] op_sel:[0,0,1] op_sel_hi:[1,0,0]
	s_delay_alu instid0(VALU_DEP_1) | instskip(SKIP_1) | instid1(VALU_DEP_1)
	v_mov_b32_e32 v143, v137
	v_pk_mul_f32 v[136:137], v[138:139], v[128:129] op_sel:[0,1]
	v_pk_fma_f32 v[140:141], v[138:139], v[126:127], v[136:137] op_sel:[0,0,1] op_sel_hi:[1,1,0] neg_lo:[0,0,1] neg_hi:[0,0,1]
	v_pk_fma_f32 v[136:137], v[138:139], v[126:127], v[136:137] op_sel:[0,0,1] op_sel_hi:[1,0,0]
	s_delay_alu instid0(VALU_DEP_1)
	v_mov_b32_e32 v141, v137
	ds_load_2addr_b64 v[136:139], v130 offset0:41 offset1:42
	v_pk_add_f32 v[18:19], v[18:19], v[142:143] neg_lo:[0,1] neg_hi:[0,1]
	v_pk_add_f32 v[60:61], v[60:61], v[140:141] neg_lo:[0,1] neg_hi:[0,1]
	s_wait_dscnt 0x0
	v_pk_mul_f32 v[140:141], v[136:137], v[128:129] op_sel:[0,1]
	s_delay_alu instid0(VALU_DEP_1) | instskip(SKIP_1) | instid1(VALU_DEP_1)
	v_pk_fma_f32 v[142:143], v[136:137], v[126:127], v[140:141] op_sel:[0,0,1] op_sel_hi:[1,1,0] neg_lo:[0,0,1] neg_hi:[0,0,1]
	v_pk_fma_f32 v[136:137], v[136:137], v[126:127], v[140:141] op_sel:[0,0,1] op_sel_hi:[1,0,0]
	v_mov_b32_e32 v143, v137
	v_pk_mul_f32 v[136:137], v[138:139], v[128:129] op_sel:[0,1]
	s_delay_alu instid0(VALU_DEP_1) | instskip(SKIP_1) | instid1(VALU_DEP_1)
	v_pk_fma_f32 v[140:141], v[138:139], v[126:127], v[136:137] op_sel:[0,0,1] op_sel_hi:[1,1,0] neg_lo:[0,0,1] neg_hi:[0,0,1]
	v_pk_fma_f32 v[136:137], v[138:139], v[126:127], v[136:137] op_sel:[0,0,1] op_sel_hi:[1,0,0]
	v_mov_b32_e32 v141, v137
	ds_load_2addr_b64 v[136:139], v130 offset0:43 offset1:44
	v_pk_add_f32 v[56:57], v[56:57], v[142:143] neg_lo:[0,1] neg_hi:[0,1]
	v_pk_add_f32 v[58:59], v[58:59], v[140:141] neg_lo:[0,1] neg_hi:[0,1]
	s_wait_dscnt 0x0
	v_dual_mul_f32 v140, v137, v129 :: v_dual_mul_f32 v142, v137, v126
	s_delay_alu instid0(VALU_DEP_1) | instskip(NEXT) | instid1(VALU_DEP_2)
	v_pk_fma_f32 v[140:141], v[136:137], v[84:85], v[140:141] op_sel_hi:[1,1,0] neg_lo:[0,0,1] neg_hi:[0,0,1]
	v_pk_fma_f32 v[136:137], v[136:137], v[84:85], v[142:143] op_sel:[1,0,0] op_sel_hi:[0,1,0]
	s_delay_alu instid0(VALU_DEP_1) | instskip(SKIP_1) | instid1(VALU_DEP_2)
	v_mov_b32_e32 v141, v137
	v_pk_mul_f32 v[136:137], v[138:139], v[128:129] op_sel:[0,1]
	v_pk_add_f32 v[12:13], v[12:13], v[140:141] neg_lo:[0,1] neg_hi:[0,1]
	s_delay_alu instid0(VALU_DEP_2) | instskip(SKIP_1) | instid1(VALU_DEP_1)
	v_pk_fma_f32 v[140:141], v[138:139], v[126:127], v[136:137] op_sel:[0,0,1] op_sel_hi:[1,1,0] neg_lo:[0,0,1] neg_hi:[0,0,1]
	v_pk_fma_f32 v[136:137], v[138:139], v[126:127], v[136:137] op_sel:[0,0,1] op_sel_hi:[1,0,0]
	v_mov_b32_e32 v141, v137
	ds_load_2addr_b64 v[136:139], v130 offset0:45 offset1:46
	v_pk_add_f32 v[54:55], v[54:55], v[140:141] neg_lo:[0,1] neg_hi:[0,1]
	s_wait_dscnt 0x0
	v_pk_mul_f32 v[140:141], v[136:137], v[128:129] op_sel:[0,1]
	s_delay_alu instid0(VALU_DEP_1) | instskip(SKIP_1) | instid1(VALU_DEP_1)
	v_pk_fma_f32 v[142:143], v[136:137], v[126:127], v[140:141] op_sel:[0,0,1] op_sel_hi:[1,1,0] neg_lo:[0,0,1] neg_hi:[0,0,1]
	v_pk_fma_f32 v[136:137], v[136:137], v[126:127], v[140:141] op_sel:[0,0,1] op_sel_hi:[1,0,0]
	v_mov_b32_e32 v143, v137
	v_pk_mul_f32 v[136:137], v[138:139], v[128:129] op_sel:[0,1]
	s_delay_alu instid0(VALU_DEP_2) | instskip(NEXT) | instid1(VALU_DEP_2)
	v_pk_add_f32 v[50:51], v[50:51], v[142:143] neg_lo:[0,1] neg_hi:[0,1]
	v_pk_fma_f32 v[140:141], v[138:139], v[126:127], v[136:137] op_sel:[0,0,1] op_sel_hi:[1,1,0] neg_lo:[0,0,1] neg_hi:[0,0,1]
	v_pk_fma_f32 v[136:137], v[138:139], v[126:127], v[136:137] op_sel:[0,0,1] op_sel_hi:[1,0,0]
	s_delay_alu instid0(VALU_DEP_1) | instskip(SKIP_4) | instid1(VALU_DEP_1)
	v_mov_b32_e32 v141, v137
	ds_load_2addr_b64 v[136:139], v130 offset0:47 offset1:48
	v_pk_add_f32 v[52:53], v[52:53], v[140:141] neg_lo:[0,1] neg_hi:[0,1]
	s_wait_dscnt 0x0
	v_pk_mul_f32 v[140:141], v[136:137], v[128:129] op_sel:[0,1]
	v_pk_fma_f32 v[142:143], v[136:137], v[126:127], v[140:141] op_sel:[0,0,1] op_sel_hi:[1,1,0] neg_lo:[0,0,1] neg_hi:[0,0,1]
	v_pk_fma_f32 v[136:137], v[136:137], v[126:127], v[140:141] op_sel:[0,0,1] op_sel_hi:[1,0,0]
	v_dual_mul_f32 v140, v139, v129 :: v_dual_mov_b32 v136, v139
	s_delay_alu instid0(VALU_DEP_2) | instskip(NEXT) | instid1(VALU_DEP_2)
	v_dual_mov_b32 v143, v137 :: v_dual_mov_b32 v137, v138
	v_pk_fma_f32 v[140:141], v[138:139], v[84:85], v[140:141] op_sel_hi:[1,1,0] neg_lo:[0,0,1] neg_hi:[0,0,1]
	v_mul_f32_e32 v138, v139, v126
	s_delay_alu instid0(VALU_DEP_3) | instskip(NEXT) | instid1(VALU_DEP_2)
	v_pk_add_f32 v[10:11], v[10:11], v[142:143] neg_lo:[0,1] neg_hi:[0,1]
	v_pk_fma_f32 v[136:137], v[136:137], v[84:85], v[138:139] op_sel_hi:[1,1,0]
	s_delay_alu instid0(VALU_DEP_1) | instskip(SKIP_4) | instid1(VALU_DEP_1)
	v_mov_b32_e32 v141, v137
	ds_load_2addr_b64 v[136:139], v130 offset0:49 offset1:50
	v_pk_add_f32 v[46:47], v[46:47], v[140:141] neg_lo:[0,1] neg_hi:[0,1]
	s_wait_dscnt 0x0
	v_pk_mul_f32 v[140:141], v[136:137], v[128:129] op_sel:[0,1]
	v_pk_fma_f32 v[142:143], v[136:137], v[126:127], v[140:141] op_sel:[0,0,1] op_sel_hi:[1,1,0] neg_lo:[0,0,1] neg_hi:[0,0,1]
	v_pk_fma_f32 v[136:137], v[136:137], v[126:127], v[140:141] op_sel:[0,0,1] op_sel_hi:[1,0,0]
	s_delay_alu instid0(VALU_DEP_1) | instskip(SKIP_1) | instid1(VALU_DEP_1)
	v_mov_b32_e32 v143, v137
	v_pk_mul_f32 v[136:137], v[138:139], v[128:129] op_sel:[0,1]
	v_pk_fma_f32 v[140:141], v[138:139], v[126:127], v[136:137] op_sel:[0,0,1] op_sel_hi:[1,1,0] neg_lo:[0,0,1] neg_hi:[0,0,1]
	v_pk_fma_f32 v[136:137], v[138:139], v[126:127], v[136:137] op_sel:[0,0,1] op_sel_hi:[1,0,0]
	s_delay_alu instid0(VALU_DEP_1)
	v_mov_b32_e32 v141, v137
	ds_load_2addr_b64 v[136:139], v130 offset0:51 offset1:52
	v_pk_add_f32 v[44:45], v[44:45], v[142:143] neg_lo:[0,1] neg_hi:[0,1]
	v_pk_add_f32 v[48:49], v[48:49], v[140:141] neg_lo:[0,1] neg_hi:[0,1]
	s_wait_dscnt 0x0
	v_pk_mul_f32 v[140:141], v[136:137], v[128:129] op_sel:[0,1]
	s_delay_alu instid0(VALU_DEP_1) | instskip(SKIP_1) | instid1(VALU_DEP_1)
	v_pk_fma_f32 v[142:143], v[136:137], v[126:127], v[140:141] op_sel:[0,0,1] op_sel_hi:[1,1,0] neg_lo:[0,0,1] neg_hi:[0,0,1]
	v_pk_fma_f32 v[136:137], v[136:137], v[126:127], v[140:141] op_sel:[0,0,1] op_sel_hi:[1,0,0]
	v_mov_b32_e32 v143, v137
	v_pk_mul_f32 v[136:137], v[138:139], v[128:129] op_sel:[0,1]
	s_delay_alu instid0(VALU_DEP_1) | instskip(SKIP_1) | instid1(VALU_DEP_1)
	v_pk_fma_f32 v[140:141], v[138:139], v[126:127], v[136:137] op_sel:[0,0,1] op_sel_hi:[1,1,0] neg_lo:[0,0,1] neg_hi:[0,0,1]
	v_pk_fma_f32 v[136:137], v[138:139], v[126:127], v[136:137] op_sel:[0,0,1] op_sel_hi:[1,0,0]
	v_mov_b32_e32 v141, v137
	ds_load_2addr_b64 v[136:139], v130 offset0:53 offset1:54
	v_pk_add_f32 v[8:9], v[8:9], v[142:143] neg_lo:[0,1] neg_hi:[0,1]
	v_pk_add_f32 v[34:35], v[34:35], v[140:141] neg_lo:[0,1] neg_hi:[0,1]
	s_wait_dscnt 0x0
	v_dual_mul_f32 v140, v137, v129 :: v_dual_mul_f32 v142, v137, v126
	s_delay_alu instid0(VALU_DEP_1) | instskip(NEXT) | instid1(VALU_DEP_2)
	v_pk_fma_f32 v[140:141], v[136:137], v[84:85], v[140:141] op_sel_hi:[1,1,0] neg_lo:[0,0,1] neg_hi:[0,0,1]
	v_pk_fma_f32 v[136:137], v[136:137], v[84:85], v[142:143] op_sel:[1,0,0] op_sel_hi:[0,1,0]
	s_delay_alu instid0(VALU_DEP_1) | instskip(SKIP_1) | instid1(VALU_DEP_2)
	v_mov_b32_e32 v141, v137
	v_pk_mul_f32 v[136:137], v[138:139], v[128:129] op_sel:[0,1]
	v_pk_add_f32 v[28:29], v[28:29], v[140:141] neg_lo:[0,1] neg_hi:[0,1]
	s_delay_alu instid0(VALU_DEP_2) | instskip(SKIP_1) | instid1(VALU_DEP_1)
	v_pk_fma_f32 v[140:141], v[138:139], v[126:127], v[136:137] op_sel:[0,0,1] op_sel_hi:[1,1,0] neg_lo:[0,0,1] neg_hi:[0,0,1]
	v_pk_fma_f32 v[136:137], v[138:139], v[126:127], v[136:137] op_sel:[0,0,1] op_sel_hi:[1,0,0]
	v_mov_b32_e32 v141, v137
	ds_load_2addr_b64 v[136:139], v130 offset0:55 offset1:56
	v_pk_add_f32 v[32:33], v[32:33], v[140:141] neg_lo:[0,1] neg_hi:[0,1]
	s_wait_dscnt 0x0
	v_pk_mul_f32 v[140:141], v[136:137], v[128:129] op_sel:[0,1]
	s_delay_alu instid0(VALU_DEP_1) | instskip(SKIP_1) | instid1(VALU_DEP_1)
	v_pk_fma_f32 v[142:143], v[136:137], v[126:127], v[140:141] op_sel:[0,0,1] op_sel_hi:[1,1,0] neg_lo:[0,0,1] neg_hi:[0,0,1]
	v_pk_fma_f32 v[136:137], v[136:137], v[126:127], v[140:141] op_sel:[0,0,1] op_sel_hi:[1,0,0]
	v_mov_b32_e32 v143, v137
	v_pk_mul_f32 v[136:137], v[138:139], v[128:129] op_sel:[0,1]
	s_delay_alu instid0(VALU_DEP_2) | instskip(NEXT) | instid1(VALU_DEP_2)
	v_pk_add_f32 v[6:7], v[6:7], v[142:143] neg_lo:[0,1] neg_hi:[0,1]
	v_pk_fma_f32 v[140:141], v[138:139], v[126:127], v[136:137] op_sel:[0,0,1] op_sel_hi:[1,1,0] neg_lo:[0,0,1] neg_hi:[0,0,1]
	v_pk_fma_f32 v[136:137], v[138:139], v[126:127], v[136:137] op_sel:[0,0,1] op_sel_hi:[1,0,0]
	s_delay_alu instid0(VALU_DEP_1) | instskip(SKIP_4) | instid1(VALU_DEP_1)
	v_mov_b32_e32 v141, v137
	ds_load_2addr_b64 v[136:139], v130 offset0:57 offset1:58
	v_pk_add_f32 v[26:27], v[26:27], v[140:141] neg_lo:[0,1] neg_hi:[0,1]
	s_wait_dscnt 0x0
	v_pk_mul_f32 v[140:141], v[136:137], v[128:129] op_sel:[0,1]
	v_pk_fma_f32 v[142:143], v[136:137], v[126:127], v[140:141] op_sel:[0,0,1] op_sel_hi:[1,1,0] neg_lo:[0,0,1] neg_hi:[0,0,1]
	v_pk_fma_f32 v[136:137], v[136:137], v[126:127], v[140:141] op_sel:[0,0,1] op_sel_hi:[1,0,0]
	v_dual_mul_f32 v140, v139, v129 :: v_dual_mov_b32 v136, v139
	s_delay_alu instid0(VALU_DEP_2) | instskip(NEXT) | instid1(VALU_DEP_2)
	v_dual_mov_b32 v143, v137 :: v_dual_mov_b32 v137, v138
	v_pk_fma_f32 v[140:141], v[138:139], v[84:85], v[140:141] op_sel_hi:[1,1,0] neg_lo:[0,0,1] neg_hi:[0,0,1]
	v_mul_f32_e32 v138, v139, v126
	s_delay_alu instid0(VALU_DEP_3) | instskip(NEXT) | instid1(VALU_DEP_2)
	v_pk_add_f32 v[16:17], v[16:17], v[142:143] neg_lo:[0,1] neg_hi:[0,1]
	v_pk_fma_f32 v[136:137], v[136:137], v[84:85], v[138:139] op_sel_hi:[1,1,0]
	s_delay_alu instid0(VALU_DEP_1) | instskip(SKIP_4) | instid1(VALU_DEP_1)
	v_mov_b32_e32 v141, v137
	ds_load_b64 v[136:137], v130 offset:472
	v_pk_add_f32 v[14:15], v[14:15], v[140:141] neg_lo:[0,1] neg_hi:[0,1]
	s_wait_dscnt 0x0
	v_pk_mul_f32 v[128:129], v[136:137], v[128:129] op_sel:[0,1]
	v_pk_fma_f32 v[138:139], v[136:137], v[126:127], v[128:129] op_sel:[0,0,1] op_sel_hi:[1,1,0] neg_lo:[0,0,1] neg_hi:[0,0,1]
	v_pk_fma_f32 v[126:127], v[136:137], v[126:127], v[128:129] op_sel:[0,0,1] op_sel_hi:[1,0,0]
	s_delay_alu instid0(VALU_DEP_1) | instskip(NEXT) | instid1(VALU_DEP_1)
	v_mov_b32_e32 v139, v127
	v_pk_add_f32 v[124:125], v[124:125], v[138:139] neg_lo:[0,1] neg_hi:[0,1]
.LBB118_524:
	s_or_b32 exec_lo, exec_lo, s0
	v_lshl_add_u32 v126, v134, 3, v130
	s_barrier_signal -1
	s_barrier_wait -1
	ds_store_b64 v126, v[80:81]
	s_wait_dscnt 0x0
	s_barrier_signal -1
	s_barrier_wait -1
	ds_load_b64 v[128:129], v130 offset:200
	v_mov_b32_e32 v126, 25
	s_cmp_lt_i32 s18, 27
	s_cbranch_scc1 .LBB118_527
; %bb.525:
	v_add3_u32 v127, v131, 0, 0xd0
	v_mov_b32_e32 v126, 25
	s_mov_b32 s0, 26
.LBB118_526:                            ; =>This Inner Loop Header: Depth=1
	ds_load_b64 v[136:137], v127
	s_wait_dscnt 0x1
	v_cmp_gt_f32_e32 vcc_lo, 0, v128
	v_cndmask_b32_e64 v138, v128, -v128, vcc_lo
	v_cmp_gt_f32_e32 vcc_lo, 0, v129
	v_cndmask_b32_e64 v140, v129, -v129, vcc_lo
	s_wait_dscnt 0x0
	v_cmp_gt_f32_e32 vcc_lo, 0, v136
	v_cndmask_b32_e64 v139, v136, -v136, vcc_lo
	v_cmp_gt_f32_e32 vcc_lo, 0, v137
	v_cndmask_b32_e64 v141, v137, -v137, vcc_lo
	s_delay_alu instid0(VALU_DEP_1) | instskip(NEXT) | instid1(VALU_DEP_1)
	v_pk_add_f32 v[138:139], v[138:139], v[140:141]
	v_cmp_lt_f32_e32 vcc_lo, v138, v139
	v_dual_add_nc_u32 v127, 8, v127 :: v_dual_cndmask_b32 v129, v129, v137, vcc_lo
	v_cndmask_b32_e32 v128, v128, v136, vcc_lo
	v_cndmask_b32_e64 v126, v126, s0, vcc_lo
	s_add_co_i32 s0, s0, 1
	s_delay_alu instid0(SALU_CYCLE_1)
	s_cmp_lg_u32 s18, s0
	s_cbranch_scc1 .LBB118_526
.LBB118_527:
	s_wait_dscnt 0x0
	v_cmp_eq_f32_e32 vcc_lo, 0, v128
	v_cmp_eq_f32_e64 s0, 0, v129
	s_and_b32 s0, vcc_lo, s0
	s_delay_alu instid0(SALU_CYCLE_1) | instskip(NEXT) | instid1(SALU_CYCLE_1)
	s_and_saveexec_b32 s1, s0
	s_xor_b32 s0, exec_lo, s1
; %bb.528:
	v_cmp_ne_u32_e32 vcc_lo, 0, v132
	v_cndmask_b32_e32 v132, 26, v132, vcc_lo
; %bb.529:
	s_and_not1_saveexec_b32 s0, s0
	s_cbranch_execz .LBB118_535
; %bb.530:
	v_cmp_ngt_f32_e64 s1, |v128|, |v129|
	s_and_saveexec_b32 s12, s1
	s_delay_alu instid0(SALU_CYCLE_1)
	s_xor_b32 s1, exec_lo, s12
	s_cbranch_execz .LBB118_532
; %bb.531:
	v_div_scale_f32 v127, null, v129, v129, v128
	v_div_scale_f32 v137, vcc_lo, v128, v129, v128
	s_delay_alu instid0(VALU_DEP_2) | instskip(SKIP_1) | instid1(TRANS32_DEP_1)
	v_rcp_f32_e32 v135, v127
	v_nop
	v_fma_f32 v136, -v127, v135, 1.0
	s_delay_alu instid0(VALU_DEP_1) | instskip(NEXT) | instid1(VALU_DEP_1)
	v_fmac_f32_e32 v135, v136, v135
	v_mul_f32_e32 v136, v137, v135
	s_delay_alu instid0(VALU_DEP_1) | instskip(NEXT) | instid1(VALU_DEP_1)
	v_fma_f32 v138, -v127, v136, v137
	v_fmac_f32_e32 v136, v138, v135
	s_delay_alu instid0(VALU_DEP_1) | instskip(NEXT) | instid1(VALU_DEP_1)
	v_fma_f32 v127, -v127, v136, v137
	v_div_fmas_f32 v127, v127, v135, v136
	s_delay_alu instid0(VALU_DEP_1) | instskip(NEXT) | instid1(VALU_DEP_1)
	v_div_fixup_f32 v127, v127, v129, v128
	v_fmac_f32_e32 v129, v128, v127
	s_delay_alu instid0(VALU_DEP_1) | instskip(SKIP_1) | instid1(VALU_DEP_2)
	v_div_scale_f32 v128, null, v129, v129, 1.0
	v_div_scale_f32 v137, vcc_lo, 1.0, v129, 1.0
	v_rcp_f32_e32 v135, v128
	v_nop
	s_delay_alu instid0(TRANS32_DEP_1) | instskip(NEXT) | instid1(VALU_DEP_1)
	v_fma_f32 v136, -v128, v135, 1.0
	v_fmac_f32_e32 v135, v136, v135
	s_delay_alu instid0(VALU_DEP_1) | instskip(NEXT) | instid1(VALU_DEP_1)
	v_mul_f32_e32 v136, v137, v135
	v_fma_f32 v138, -v128, v136, v137
	s_delay_alu instid0(VALU_DEP_1) | instskip(NEXT) | instid1(VALU_DEP_1)
	v_fmac_f32_e32 v136, v138, v135
	v_fma_f32 v128, -v128, v136, v137
	s_delay_alu instid0(VALU_DEP_1) | instskip(NEXT) | instid1(VALU_DEP_1)
	v_div_fmas_f32 v128, v128, v135, v136
	v_div_fixup_f32 v129, v128, v129, 1.0
	s_delay_alu instid0(VALU_DEP_1)
	v_mul_f32_e32 v128, v127, v129
	v_xor_b32_e32 v129, 0x80000000, v129
.LBB118_532:
	s_and_not1_saveexec_b32 s1, s1
	s_cbranch_execz .LBB118_534
; %bb.533:
	s_delay_alu instid0(VALU_DEP_1) | instskip(SKIP_1) | instid1(VALU_DEP_2)
	v_div_scale_f32 v127, null, v128, v128, v129
	v_div_scale_f32 v137, vcc_lo, v129, v128, v129
	v_rcp_f32_e32 v135, v127
	v_nop
	s_delay_alu instid0(TRANS32_DEP_1) | instskip(NEXT) | instid1(VALU_DEP_1)
	v_fma_f32 v136, -v127, v135, 1.0
	v_fmac_f32_e32 v135, v136, v135
	s_delay_alu instid0(VALU_DEP_1) | instskip(NEXT) | instid1(VALU_DEP_1)
	v_mul_f32_e32 v136, v137, v135
	v_fma_f32 v138, -v127, v136, v137
	s_delay_alu instid0(VALU_DEP_1) | instskip(NEXT) | instid1(VALU_DEP_1)
	v_fmac_f32_e32 v136, v138, v135
	v_fma_f32 v127, -v127, v136, v137
	s_delay_alu instid0(VALU_DEP_1) | instskip(NEXT) | instid1(VALU_DEP_1)
	v_div_fmas_f32 v127, v127, v135, v136
	v_div_fixup_f32 v127, v127, v128, v129
	s_delay_alu instid0(VALU_DEP_1) | instskip(NEXT) | instid1(VALU_DEP_1)
	v_fmac_f32_e32 v128, v129, v127
	v_div_scale_f32 v129, null, v128, v128, 1.0
	s_delay_alu instid0(VALU_DEP_1) | instskip(SKIP_1) | instid1(TRANS32_DEP_1)
	v_rcp_f32_e32 v135, v129
	v_nop
	v_fma_f32 v136, -v129, v135, 1.0
	s_delay_alu instid0(VALU_DEP_1) | instskip(SKIP_1) | instid1(VALU_DEP_1)
	v_fmac_f32_e32 v135, v136, v135
	v_div_scale_f32 v136, vcc_lo, 1.0, v128, 1.0
	v_mul_f32_e32 v137, v136, v135
	s_delay_alu instid0(VALU_DEP_1) | instskip(NEXT) | instid1(VALU_DEP_1)
	v_fma_f32 v138, -v129, v137, v136
	v_fmac_f32_e32 v137, v138, v135
	s_delay_alu instid0(VALU_DEP_1) | instskip(NEXT) | instid1(VALU_DEP_1)
	v_fma_f32 v129, -v129, v137, v136
	v_div_fmas_f32 v129, v129, v135, v137
	s_delay_alu instid0(VALU_DEP_1) | instskip(NEXT) | instid1(VALU_DEP_1)
	v_div_fixup_f32 v128, v129, v128, 1.0
	v_mul_f32_e64 v129, v127, -v128
.LBB118_534:
	s_or_b32 exec_lo, exec_lo, s1
.LBB118_535:
	s_delay_alu instid0(SALU_CYCLE_1) | instskip(NEXT) | instid1(SALU_CYCLE_1)
	s_or_b32 exec_lo, exec_lo, s0
	s_mov_b32 s0, exec_lo
	v_cmpx_ne_u32_e64 v134, v126
	s_xor_b32 s0, exec_lo, s0
	s_cbranch_execz .LBB118_541
; %bb.536:
	s_mov_b32 s1, exec_lo
	v_cmpx_eq_u32_e32 25, v134
	s_cbranch_execz .LBB118_540
; %bb.537:
	v_cmp_ne_u32_e32 vcc_lo, 25, v126
	s_xor_b32 s12, s16, -1
	s_delay_alu instid0(SALU_CYCLE_1) | instskip(NEXT) | instid1(SALU_CYCLE_1)
	s_and_b32 s13, s12, vcc_lo
	s_and_saveexec_b32 s12, s13
	s_cbranch_execz .LBB118_539
; %bb.538:
	v_ashrrev_i32_e32 v127, 31, v126
	s_delay_alu instid0(VALU_DEP_1)
	v_lshl_add_u64 v[134:135], v[126:127], 2, v[4:5]
	s_clause 0x1
	global_load_b32 v127, v[134:135], off
	global_load_b32 v133, v[4:5], off offset:100
	s_wait_loadcnt 0x1
	global_store_b32 v[4:5], v127, off offset:100
	s_wait_loadcnt 0x0
	global_store_b32 v[134:135], v133, off
.LBB118_539:
	s_wait_xcnt 0x0
	s_or_b32 exec_lo, exec_lo, s12
	v_dual_mov_b32 v134, v126 :: v_dual_mov_b32 v133, v126
.LBB118_540:
	s_or_b32 exec_lo, exec_lo, s1
.LBB118_541:
	s_and_not1_saveexec_b32 s0, s0
	s_cbranch_execz .LBB118_543
; %bb.542:
	v_dual_mov_b32 v126, v82 :: v_dual_mov_b32 v127, v83
	v_dual_mov_b32 v134, v24 :: v_dual_mov_b32 v135, v25
	;; [unrolled: 1-line block ×12, first 2 shown]
	ds_store_2addr_b64 v130, v[126:127], v[134:135] offset0:26 offset1:27
	ds_store_2addr_b64 v130, v[136:137], v[138:139] offset0:28 offset1:29
	;; [unrolled: 1-line block ×6, first 2 shown]
	v_dual_mov_b32 v126, v64 :: v_dual_mov_b32 v127, v65
	v_dual_mov_b32 v134, v18 :: v_dual_mov_b32 v135, v19
	;; [unrolled: 1-line block ×12, first 2 shown]
	ds_store_2addr_b64 v130, v[126:127], v[134:135] offset0:38 offset1:39
	ds_store_2addr_b64 v130, v[136:137], v[138:139] offset0:40 offset1:41
	;; [unrolled: 1-line block ×6, first 2 shown]
	v_dual_mov_b32 v126, v48 :: v_dual_mov_b32 v127, v49
	v_dual_mov_b32 v136, v8 :: v_dual_mov_b32 v137, v9
	;; [unrolled: 1-line block ×9, first 2 shown]
	v_mov_b32_e32 v151, v15
	ds_store_2addr_b64 v130, v[126:127], v[136:137] offset0:50 offset1:51
	ds_store_2addr_b64 v130, v[138:139], v[140:141] offset0:52 offset1:53
	;; [unrolled: 1-line block ×5, first 2 shown]
.LBB118_543:
	s_or_b32 exec_lo, exec_lo, s0
	s_delay_alu instid0(SALU_CYCLE_1)
	s_mov_b32 s0, exec_lo
	s_wait_storecnt_dscnt 0x0
	s_barrier_signal -1
	s_barrier_wait -1
	v_cmpx_lt_i32_e32 25, v134
	s_cbranch_execz .LBB118_545
; %bb.544:
	v_pk_mul_f32 v[136:137], v[128:129], v[80:81] op_sel:[1,1] op_sel_hi:[0,1]
	s_delay_alu instid0(VALU_DEP_1)
	v_pk_fma_f32 v[126:127], v[128:129], v[80:81], v[136:137] op_sel_hi:[1,0,1] neg_lo:[0,0,1] neg_hi:[0,0,1]
	v_pk_fma_f32 v[128:129], v[128:129], v[80:81], v[136:137] op_sel_hi:[1,0,1]
	ds_load_2addr_b64 v[136:139], v130 offset0:26 offset1:27
	v_dual_mov_b32 v80, v126 :: v_dual_mov_b32 v81, v129
	s_wait_dscnt 0x0
	v_pk_mul_f32 v[140:141], v[136:137], v[128:129] op_sel:[0,1]
	s_delay_alu instid0(VALU_DEP_1) | instskip(SKIP_1) | instid1(VALU_DEP_1)
	v_pk_fma_f32 v[142:143], v[136:137], v[126:127], v[140:141] op_sel:[0,0,1] op_sel_hi:[1,1,0] neg_lo:[0,0,1] neg_hi:[0,0,1]
	v_pk_fma_f32 v[136:137], v[136:137], v[126:127], v[140:141] op_sel:[0,0,1] op_sel_hi:[1,0,0]
	v_mov_b32_e32 v143, v137
	v_pk_mul_f32 v[136:137], v[138:139], v[128:129] op_sel:[0,1]
	s_delay_alu instid0(VALU_DEP_1) | instskip(SKIP_1) | instid1(VALU_DEP_1)
	v_pk_fma_f32 v[140:141], v[138:139], v[126:127], v[136:137] op_sel:[0,0,1] op_sel_hi:[1,1,0] neg_lo:[0,0,1] neg_hi:[0,0,1]
	v_pk_fma_f32 v[136:137], v[138:139], v[126:127], v[136:137] op_sel:[0,0,1] op_sel_hi:[1,0,0]
	v_mov_b32_e32 v141, v137
	ds_load_2addr_b64 v[136:139], v130 offset0:28 offset1:29
	v_pk_add_f32 v[82:83], v[82:83], v[142:143] neg_lo:[0,1] neg_hi:[0,1]
	v_pk_add_f32 v[24:25], v[24:25], v[140:141] neg_lo:[0,1] neg_hi:[0,1]
	s_wait_dscnt 0x0
	v_pk_mul_f32 v[140:141], v[136:137], v[128:129] op_sel:[0,1]
	s_delay_alu instid0(VALU_DEP_1) | instskip(SKIP_2) | instid1(VALU_DEP_2)
	v_pk_fma_f32 v[142:143], v[136:137], v[126:127], v[140:141] op_sel:[0,0,1] op_sel_hi:[1,1,0] neg_lo:[0,0,1] neg_hi:[0,0,1]
	v_pk_fma_f32 v[136:137], v[136:137], v[126:127], v[140:141] op_sel:[0,0,1] op_sel_hi:[1,0,0]
	v_dual_mul_f32 v140, v139, v129 :: v_dual_mov_b32 v136, v139
	v_dual_mov_b32 v143, v137 :: v_dual_mov_b32 v137, v138
	s_delay_alu instid0(VALU_DEP_2) | instskip(SKIP_1) | instid1(VALU_DEP_3)
	v_pk_fma_f32 v[140:141], v[138:139], v[80:81], v[140:141] op_sel_hi:[1,1,0] neg_lo:[0,0,1] neg_hi:[0,0,1]
	v_mul_f32_e32 v138, v139, v126
	v_pk_add_f32 v[78:79], v[78:79], v[142:143] neg_lo:[0,1] neg_hi:[0,1]
	s_delay_alu instid0(VALU_DEP_2) | instskip(NEXT) | instid1(VALU_DEP_1)
	v_pk_fma_f32 v[136:137], v[136:137], v[80:81], v[138:139] op_sel_hi:[1,1,0]
	v_mov_b32_e32 v141, v137
	ds_load_2addr_b64 v[136:139], v130 offset0:30 offset1:31
	v_pk_add_f32 v[74:75], v[74:75], v[140:141] neg_lo:[0,1] neg_hi:[0,1]
	s_wait_dscnt 0x0
	v_pk_mul_f32 v[140:141], v[136:137], v[128:129] op_sel:[0,1]
	s_delay_alu instid0(VALU_DEP_1) | instskip(SKIP_1) | instid1(VALU_DEP_1)
	v_pk_fma_f32 v[142:143], v[136:137], v[126:127], v[140:141] op_sel:[0,0,1] op_sel_hi:[1,1,0] neg_lo:[0,0,1] neg_hi:[0,0,1]
	v_pk_fma_f32 v[136:137], v[136:137], v[126:127], v[140:141] op_sel:[0,0,1] op_sel_hi:[1,0,0]
	v_mov_b32_e32 v143, v137
	v_pk_mul_f32 v[136:137], v[138:139], v[128:129] op_sel:[0,1]
	s_delay_alu instid0(VALU_DEP_1) | instskip(SKIP_1) | instid1(VALU_DEP_1)
	v_pk_fma_f32 v[140:141], v[138:139], v[126:127], v[136:137] op_sel:[0,0,1] op_sel_hi:[1,1,0] neg_lo:[0,0,1] neg_hi:[0,0,1]
	v_pk_fma_f32 v[136:137], v[138:139], v[126:127], v[136:137] op_sel:[0,0,1] op_sel_hi:[1,0,0]
	v_mov_b32_e32 v141, v137
	ds_load_2addr_b64 v[136:139], v130 offset0:32 offset1:33
	v_pk_add_f32 v[76:77], v[76:77], v[142:143] neg_lo:[0,1] neg_hi:[0,1]
	v_pk_add_f32 v[22:23], v[22:23], v[140:141] neg_lo:[0,1] neg_hi:[0,1]
	s_wait_dscnt 0x0
	v_pk_mul_f32 v[140:141], v[136:137], v[128:129] op_sel:[0,1]
	s_delay_alu instid0(VALU_DEP_1) | instskip(SKIP_1) | instid1(VALU_DEP_1)
	v_pk_fma_f32 v[142:143], v[136:137], v[126:127], v[140:141] op_sel:[0,0,1] op_sel_hi:[1,1,0] neg_lo:[0,0,1] neg_hi:[0,0,1]
	v_pk_fma_f32 v[136:137], v[136:137], v[126:127], v[140:141] op_sel:[0,0,1] op_sel_hi:[1,0,0]
	v_mov_b32_e32 v143, v137
	v_pk_mul_f32 v[136:137], v[138:139], v[128:129] op_sel:[0,1]
	s_delay_alu instid0(VALU_DEP_1) | instskip(SKIP_1) | instid1(VALU_DEP_1)
	v_pk_fma_f32 v[140:141], v[138:139], v[126:127], v[136:137] op_sel:[0,0,1] op_sel_hi:[1,1,0] neg_lo:[0,0,1] neg_hi:[0,0,1]
	v_pk_fma_f32 v[136:137], v[138:139], v[126:127], v[136:137] op_sel:[0,0,1] op_sel_hi:[1,0,0]
	v_mov_b32_e32 v141, v137
	ds_load_2addr_b64 v[136:139], v130 offset0:34 offset1:35
	v_pk_add_f32 v[72:73], v[72:73], v[142:143] neg_lo:[0,1] neg_hi:[0,1]
	v_pk_add_f32 v[68:69], v[68:69], v[140:141] neg_lo:[0,1] neg_hi:[0,1]
	s_wait_dscnt 0x0
	v_dual_mul_f32 v140, v137, v129 :: v_dual_mul_f32 v142, v137, v126
	s_delay_alu instid0(VALU_DEP_1) | instskip(NEXT) | instid1(VALU_DEP_2)
	v_pk_fma_f32 v[140:141], v[136:137], v[80:81], v[140:141] op_sel_hi:[1,1,0] neg_lo:[0,0,1] neg_hi:[0,0,1]
	v_pk_fma_f32 v[136:137], v[136:137], v[80:81], v[142:143] op_sel:[1,0,0] op_sel_hi:[0,1,0]
	s_delay_alu instid0(VALU_DEP_1) | instskip(SKIP_1) | instid1(VALU_DEP_2)
	v_mov_b32_e32 v141, v137
	v_pk_mul_f32 v[136:137], v[138:139], v[128:129] op_sel:[0,1]
	v_pk_add_f32 v[70:71], v[70:71], v[140:141] neg_lo:[0,1] neg_hi:[0,1]
	s_delay_alu instid0(VALU_DEP_2) | instskip(SKIP_1) | instid1(VALU_DEP_1)
	v_pk_fma_f32 v[140:141], v[138:139], v[126:127], v[136:137] op_sel:[0,0,1] op_sel_hi:[1,1,0] neg_lo:[0,0,1] neg_hi:[0,0,1]
	v_pk_fma_f32 v[136:137], v[138:139], v[126:127], v[136:137] op_sel:[0,0,1] op_sel_hi:[1,0,0]
	v_mov_b32_e32 v141, v137
	ds_load_2addr_b64 v[136:139], v130 offset0:36 offset1:37
	v_pk_add_f32 v[20:21], v[20:21], v[140:141] neg_lo:[0,1] neg_hi:[0,1]
	s_wait_dscnt 0x0
	v_pk_mul_f32 v[140:141], v[136:137], v[128:129] op_sel:[0,1]
	s_delay_alu instid0(VALU_DEP_1) | instskip(SKIP_1) | instid1(VALU_DEP_1)
	v_pk_fma_f32 v[142:143], v[136:137], v[126:127], v[140:141] op_sel:[0,0,1] op_sel_hi:[1,1,0] neg_lo:[0,0,1] neg_hi:[0,0,1]
	v_pk_fma_f32 v[136:137], v[136:137], v[126:127], v[140:141] op_sel:[0,0,1] op_sel_hi:[1,0,0]
	v_mov_b32_e32 v143, v137
	v_pk_mul_f32 v[136:137], v[138:139], v[128:129] op_sel:[0,1]
	s_delay_alu instid0(VALU_DEP_2) | instskip(NEXT) | instid1(VALU_DEP_2)
	v_pk_add_f32 v[66:67], v[66:67], v[142:143] neg_lo:[0,1] neg_hi:[0,1]
	v_pk_fma_f32 v[140:141], v[138:139], v[126:127], v[136:137] op_sel:[0,0,1] op_sel_hi:[1,1,0] neg_lo:[0,0,1] neg_hi:[0,0,1]
	v_pk_fma_f32 v[136:137], v[138:139], v[126:127], v[136:137] op_sel:[0,0,1] op_sel_hi:[1,0,0]
	s_delay_alu instid0(VALU_DEP_1) | instskip(SKIP_4) | instid1(VALU_DEP_1)
	v_mov_b32_e32 v141, v137
	ds_load_2addr_b64 v[136:139], v130 offset0:38 offset1:39
	v_pk_add_f32 v[62:63], v[62:63], v[140:141] neg_lo:[0,1] neg_hi:[0,1]
	s_wait_dscnt 0x0
	v_pk_mul_f32 v[140:141], v[136:137], v[128:129] op_sel:[0,1]
	v_pk_fma_f32 v[142:143], v[136:137], v[126:127], v[140:141] op_sel:[0,0,1] op_sel_hi:[1,1,0] neg_lo:[0,0,1] neg_hi:[0,0,1]
	v_pk_fma_f32 v[136:137], v[136:137], v[126:127], v[140:141] op_sel:[0,0,1] op_sel_hi:[1,0,0]
	v_dual_mul_f32 v140, v139, v129 :: v_dual_mov_b32 v136, v139
	s_delay_alu instid0(VALU_DEP_2) | instskip(NEXT) | instid1(VALU_DEP_2)
	v_dual_mov_b32 v143, v137 :: v_dual_mov_b32 v137, v138
	v_pk_fma_f32 v[140:141], v[138:139], v[80:81], v[140:141] op_sel_hi:[1,1,0] neg_lo:[0,0,1] neg_hi:[0,0,1]
	v_mul_f32_e32 v138, v139, v126
	s_delay_alu instid0(VALU_DEP_3) | instskip(NEXT) | instid1(VALU_DEP_2)
	v_pk_add_f32 v[64:65], v[64:65], v[142:143] neg_lo:[0,1] neg_hi:[0,1]
	v_pk_fma_f32 v[136:137], v[136:137], v[80:81], v[138:139] op_sel_hi:[1,1,0]
	s_delay_alu instid0(VALU_DEP_1) | instskip(SKIP_4) | instid1(VALU_DEP_1)
	v_mov_b32_e32 v141, v137
	ds_load_2addr_b64 v[136:139], v130 offset0:40 offset1:41
	v_pk_add_f32 v[18:19], v[18:19], v[140:141] neg_lo:[0,1] neg_hi:[0,1]
	s_wait_dscnt 0x0
	v_pk_mul_f32 v[140:141], v[136:137], v[128:129] op_sel:[0,1]
	v_pk_fma_f32 v[142:143], v[136:137], v[126:127], v[140:141] op_sel:[0,0,1] op_sel_hi:[1,1,0] neg_lo:[0,0,1] neg_hi:[0,0,1]
	v_pk_fma_f32 v[136:137], v[136:137], v[126:127], v[140:141] op_sel:[0,0,1] op_sel_hi:[1,0,0]
	s_delay_alu instid0(VALU_DEP_1) | instskip(SKIP_1) | instid1(VALU_DEP_1)
	v_mov_b32_e32 v143, v137
	v_pk_mul_f32 v[136:137], v[138:139], v[128:129] op_sel:[0,1]
	v_pk_fma_f32 v[140:141], v[138:139], v[126:127], v[136:137] op_sel:[0,0,1] op_sel_hi:[1,1,0] neg_lo:[0,0,1] neg_hi:[0,0,1]
	v_pk_fma_f32 v[136:137], v[138:139], v[126:127], v[136:137] op_sel:[0,0,1] op_sel_hi:[1,0,0]
	s_delay_alu instid0(VALU_DEP_1)
	v_mov_b32_e32 v141, v137
	ds_load_2addr_b64 v[136:139], v130 offset0:42 offset1:43
	v_pk_add_f32 v[60:61], v[60:61], v[142:143] neg_lo:[0,1] neg_hi:[0,1]
	v_pk_add_f32 v[56:57], v[56:57], v[140:141] neg_lo:[0,1] neg_hi:[0,1]
	s_wait_dscnt 0x0
	v_pk_mul_f32 v[140:141], v[136:137], v[128:129] op_sel:[0,1]
	s_delay_alu instid0(VALU_DEP_1) | instskip(SKIP_1) | instid1(VALU_DEP_1)
	v_pk_fma_f32 v[142:143], v[136:137], v[126:127], v[140:141] op_sel:[0,0,1] op_sel_hi:[1,1,0] neg_lo:[0,0,1] neg_hi:[0,0,1]
	v_pk_fma_f32 v[136:137], v[136:137], v[126:127], v[140:141] op_sel:[0,0,1] op_sel_hi:[1,0,0]
	v_mov_b32_e32 v143, v137
	v_pk_mul_f32 v[136:137], v[138:139], v[128:129] op_sel:[0,1]
	s_delay_alu instid0(VALU_DEP_1) | instskip(SKIP_1) | instid1(VALU_DEP_1)
	v_pk_fma_f32 v[140:141], v[138:139], v[126:127], v[136:137] op_sel:[0,0,1] op_sel_hi:[1,1,0] neg_lo:[0,0,1] neg_hi:[0,0,1]
	v_pk_fma_f32 v[136:137], v[138:139], v[126:127], v[136:137] op_sel:[0,0,1] op_sel_hi:[1,0,0]
	v_mov_b32_e32 v141, v137
	ds_load_2addr_b64 v[136:139], v130 offset0:44 offset1:45
	v_pk_add_f32 v[58:59], v[58:59], v[142:143] neg_lo:[0,1] neg_hi:[0,1]
	v_pk_add_f32 v[12:13], v[12:13], v[140:141] neg_lo:[0,1] neg_hi:[0,1]
	s_wait_dscnt 0x0
	v_dual_mul_f32 v140, v137, v129 :: v_dual_mul_f32 v142, v137, v126
	s_delay_alu instid0(VALU_DEP_1) | instskip(NEXT) | instid1(VALU_DEP_2)
	v_pk_fma_f32 v[140:141], v[136:137], v[80:81], v[140:141] op_sel_hi:[1,1,0] neg_lo:[0,0,1] neg_hi:[0,0,1]
	v_pk_fma_f32 v[136:137], v[136:137], v[80:81], v[142:143] op_sel:[1,0,0] op_sel_hi:[0,1,0]
	s_delay_alu instid0(VALU_DEP_1) | instskip(SKIP_1) | instid1(VALU_DEP_2)
	v_mov_b32_e32 v141, v137
	v_pk_mul_f32 v[136:137], v[138:139], v[128:129] op_sel:[0,1]
	v_pk_add_f32 v[54:55], v[54:55], v[140:141] neg_lo:[0,1] neg_hi:[0,1]
	s_delay_alu instid0(VALU_DEP_2) | instskip(SKIP_1) | instid1(VALU_DEP_1)
	v_pk_fma_f32 v[140:141], v[138:139], v[126:127], v[136:137] op_sel:[0,0,1] op_sel_hi:[1,1,0] neg_lo:[0,0,1] neg_hi:[0,0,1]
	v_pk_fma_f32 v[136:137], v[138:139], v[126:127], v[136:137] op_sel:[0,0,1] op_sel_hi:[1,0,0]
	v_mov_b32_e32 v141, v137
	ds_load_2addr_b64 v[136:139], v130 offset0:46 offset1:47
	v_pk_add_f32 v[50:51], v[50:51], v[140:141] neg_lo:[0,1] neg_hi:[0,1]
	s_wait_dscnt 0x0
	v_pk_mul_f32 v[140:141], v[136:137], v[128:129] op_sel:[0,1]
	s_delay_alu instid0(VALU_DEP_1) | instskip(SKIP_1) | instid1(VALU_DEP_1)
	v_pk_fma_f32 v[142:143], v[136:137], v[126:127], v[140:141] op_sel:[0,0,1] op_sel_hi:[1,1,0] neg_lo:[0,0,1] neg_hi:[0,0,1]
	v_pk_fma_f32 v[136:137], v[136:137], v[126:127], v[140:141] op_sel:[0,0,1] op_sel_hi:[1,0,0]
	v_mov_b32_e32 v143, v137
	v_pk_mul_f32 v[136:137], v[138:139], v[128:129] op_sel:[0,1]
	s_delay_alu instid0(VALU_DEP_2) | instskip(NEXT) | instid1(VALU_DEP_2)
	v_pk_add_f32 v[52:53], v[52:53], v[142:143] neg_lo:[0,1] neg_hi:[0,1]
	v_pk_fma_f32 v[140:141], v[138:139], v[126:127], v[136:137] op_sel:[0,0,1] op_sel_hi:[1,1,0] neg_lo:[0,0,1] neg_hi:[0,0,1]
	v_pk_fma_f32 v[136:137], v[138:139], v[126:127], v[136:137] op_sel:[0,0,1] op_sel_hi:[1,0,0]
	s_delay_alu instid0(VALU_DEP_1) | instskip(SKIP_4) | instid1(VALU_DEP_1)
	v_mov_b32_e32 v141, v137
	ds_load_2addr_b64 v[136:139], v130 offset0:48 offset1:49
	v_pk_add_f32 v[10:11], v[10:11], v[140:141] neg_lo:[0,1] neg_hi:[0,1]
	s_wait_dscnt 0x0
	v_pk_mul_f32 v[140:141], v[136:137], v[128:129] op_sel:[0,1]
	v_pk_fma_f32 v[142:143], v[136:137], v[126:127], v[140:141] op_sel:[0,0,1] op_sel_hi:[1,1,0] neg_lo:[0,0,1] neg_hi:[0,0,1]
	v_pk_fma_f32 v[136:137], v[136:137], v[126:127], v[140:141] op_sel:[0,0,1] op_sel_hi:[1,0,0]
	v_dual_mul_f32 v140, v139, v129 :: v_dual_mov_b32 v136, v139
	s_delay_alu instid0(VALU_DEP_2) | instskip(NEXT) | instid1(VALU_DEP_2)
	v_dual_mov_b32 v143, v137 :: v_dual_mov_b32 v137, v138
	v_pk_fma_f32 v[140:141], v[138:139], v[80:81], v[140:141] op_sel_hi:[1,1,0] neg_lo:[0,0,1] neg_hi:[0,0,1]
	v_mul_f32_e32 v138, v139, v126
	s_delay_alu instid0(VALU_DEP_3) | instskip(NEXT) | instid1(VALU_DEP_2)
	v_pk_add_f32 v[46:47], v[46:47], v[142:143] neg_lo:[0,1] neg_hi:[0,1]
	v_pk_fma_f32 v[136:137], v[136:137], v[80:81], v[138:139] op_sel_hi:[1,1,0]
	s_delay_alu instid0(VALU_DEP_1) | instskip(SKIP_4) | instid1(VALU_DEP_1)
	v_mov_b32_e32 v141, v137
	ds_load_2addr_b64 v[136:139], v130 offset0:50 offset1:51
	v_pk_add_f32 v[44:45], v[44:45], v[140:141] neg_lo:[0,1] neg_hi:[0,1]
	s_wait_dscnt 0x0
	v_pk_mul_f32 v[140:141], v[136:137], v[128:129] op_sel:[0,1]
	v_pk_fma_f32 v[142:143], v[136:137], v[126:127], v[140:141] op_sel:[0,0,1] op_sel_hi:[1,1,0] neg_lo:[0,0,1] neg_hi:[0,0,1]
	v_pk_fma_f32 v[136:137], v[136:137], v[126:127], v[140:141] op_sel:[0,0,1] op_sel_hi:[1,0,0]
	s_delay_alu instid0(VALU_DEP_1) | instskip(SKIP_1) | instid1(VALU_DEP_1)
	v_mov_b32_e32 v143, v137
	v_pk_mul_f32 v[136:137], v[138:139], v[128:129] op_sel:[0,1]
	v_pk_fma_f32 v[140:141], v[138:139], v[126:127], v[136:137] op_sel:[0,0,1] op_sel_hi:[1,1,0] neg_lo:[0,0,1] neg_hi:[0,0,1]
	v_pk_fma_f32 v[136:137], v[138:139], v[126:127], v[136:137] op_sel:[0,0,1] op_sel_hi:[1,0,0]
	s_delay_alu instid0(VALU_DEP_1)
	v_mov_b32_e32 v141, v137
	ds_load_2addr_b64 v[136:139], v130 offset0:52 offset1:53
	v_pk_add_f32 v[48:49], v[48:49], v[142:143] neg_lo:[0,1] neg_hi:[0,1]
	v_pk_add_f32 v[8:9], v[8:9], v[140:141] neg_lo:[0,1] neg_hi:[0,1]
	s_wait_dscnt 0x0
	v_pk_mul_f32 v[140:141], v[136:137], v[128:129] op_sel:[0,1]
	s_delay_alu instid0(VALU_DEP_1) | instskip(SKIP_1) | instid1(VALU_DEP_1)
	v_pk_fma_f32 v[142:143], v[136:137], v[126:127], v[140:141] op_sel:[0,0,1] op_sel_hi:[1,1,0] neg_lo:[0,0,1] neg_hi:[0,0,1]
	v_pk_fma_f32 v[136:137], v[136:137], v[126:127], v[140:141] op_sel:[0,0,1] op_sel_hi:[1,0,0]
	v_mov_b32_e32 v143, v137
	v_pk_mul_f32 v[136:137], v[138:139], v[128:129] op_sel:[0,1]
	s_delay_alu instid0(VALU_DEP_1) | instskip(SKIP_1) | instid1(VALU_DEP_1)
	v_pk_fma_f32 v[140:141], v[138:139], v[126:127], v[136:137] op_sel:[0,0,1] op_sel_hi:[1,1,0] neg_lo:[0,0,1] neg_hi:[0,0,1]
	v_pk_fma_f32 v[136:137], v[138:139], v[126:127], v[136:137] op_sel:[0,0,1] op_sel_hi:[1,0,0]
	v_mov_b32_e32 v141, v137
	ds_load_2addr_b64 v[136:139], v130 offset0:54 offset1:55
	v_pk_add_f32 v[34:35], v[34:35], v[142:143] neg_lo:[0,1] neg_hi:[0,1]
	v_pk_add_f32 v[28:29], v[28:29], v[140:141] neg_lo:[0,1] neg_hi:[0,1]
	s_wait_dscnt 0x0
	v_dual_mul_f32 v140, v137, v129 :: v_dual_mul_f32 v142, v137, v126
	s_delay_alu instid0(VALU_DEP_1) | instskip(NEXT) | instid1(VALU_DEP_2)
	v_pk_fma_f32 v[140:141], v[136:137], v[80:81], v[140:141] op_sel_hi:[1,1,0] neg_lo:[0,0,1] neg_hi:[0,0,1]
	v_pk_fma_f32 v[136:137], v[136:137], v[80:81], v[142:143] op_sel:[1,0,0] op_sel_hi:[0,1,0]
	s_delay_alu instid0(VALU_DEP_1) | instskip(SKIP_1) | instid1(VALU_DEP_2)
	v_mov_b32_e32 v141, v137
	v_pk_mul_f32 v[136:137], v[138:139], v[128:129] op_sel:[0,1]
	v_pk_add_f32 v[32:33], v[32:33], v[140:141] neg_lo:[0,1] neg_hi:[0,1]
	s_delay_alu instid0(VALU_DEP_2) | instskip(SKIP_1) | instid1(VALU_DEP_1)
	v_pk_fma_f32 v[140:141], v[138:139], v[126:127], v[136:137] op_sel:[0,0,1] op_sel_hi:[1,1,0] neg_lo:[0,0,1] neg_hi:[0,0,1]
	v_pk_fma_f32 v[136:137], v[138:139], v[126:127], v[136:137] op_sel:[0,0,1] op_sel_hi:[1,0,0]
	v_mov_b32_e32 v141, v137
	ds_load_2addr_b64 v[136:139], v130 offset0:56 offset1:57
	v_pk_add_f32 v[6:7], v[6:7], v[140:141] neg_lo:[0,1] neg_hi:[0,1]
	s_wait_dscnt 0x0
	v_pk_mul_f32 v[140:141], v[136:137], v[128:129] op_sel:[0,1]
	s_delay_alu instid0(VALU_DEP_1) | instskip(SKIP_1) | instid1(VALU_DEP_1)
	v_pk_fma_f32 v[142:143], v[136:137], v[126:127], v[140:141] op_sel:[0,0,1] op_sel_hi:[1,1,0] neg_lo:[0,0,1] neg_hi:[0,0,1]
	v_pk_fma_f32 v[136:137], v[136:137], v[126:127], v[140:141] op_sel:[0,0,1] op_sel_hi:[1,0,0]
	v_mov_b32_e32 v143, v137
	v_pk_mul_f32 v[136:137], v[138:139], v[128:129] op_sel:[0,1]
	s_delay_alu instid0(VALU_DEP_2) | instskip(NEXT) | instid1(VALU_DEP_2)
	v_pk_add_f32 v[26:27], v[26:27], v[142:143] neg_lo:[0,1] neg_hi:[0,1]
	v_pk_fma_f32 v[140:141], v[138:139], v[126:127], v[136:137] op_sel:[0,0,1] op_sel_hi:[1,1,0] neg_lo:[0,0,1] neg_hi:[0,0,1]
	v_pk_fma_f32 v[136:137], v[138:139], v[126:127], v[136:137] op_sel:[0,0,1] op_sel_hi:[1,0,0]
	s_delay_alu instid0(VALU_DEP_1)
	v_mov_b32_e32 v141, v137
	ds_load_2addr_b64 v[136:139], v130 offset0:58 offset1:59
	v_pk_add_f32 v[16:17], v[16:17], v[140:141] neg_lo:[0,1] neg_hi:[0,1]
	s_wait_dscnt 0x0
	v_pk_mul_f32 v[140:141], v[136:137], v[128:129] op_sel:[0,1]
	v_pk_mul_f32 v[128:129], v[138:139], v[128:129] op_sel:[0,1]
	s_delay_alu instid0(VALU_DEP_2) | instskip(SKIP_1) | instid1(VALU_DEP_1)
	v_pk_fma_f32 v[142:143], v[136:137], v[126:127], v[140:141] op_sel:[0,0,1] op_sel_hi:[1,1,0] neg_lo:[0,0,1] neg_hi:[0,0,1]
	v_pk_fma_f32 v[136:137], v[136:137], v[126:127], v[140:141] op_sel:[0,0,1] op_sel_hi:[1,0,0]
	v_mov_b32_e32 v143, v137
	s_delay_alu instid0(VALU_DEP_4) | instskip(SKIP_1) | instid1(VALU_DEP_3)
	v_pk_fma_f32 v[136:137], v[138:139], v[126:127], v[128:129] op_sel:[0,0,1] op_sel_hi:[1,1,0] neg_lo:[0,0,1] neg_hi:[0,0,1]
	v_pk_fma_f32 v[126:127], v[138:139], v[126:127], v[128:129] op_sel:[0,0,1] op_sel_hi:[1,0,0]
	v_pk_add_f32 v[14:15], v[14:15], v[142:143] neg_lo:[0,1] neg_hi:[0,1]
	s_delay_alu instid0(VALU_DEP_2) | instskip(NEXT) | instid1(VALU_DEP_1)
	v_mov_b32_e32 v137, v127
	v_pk_add_f32 v[124:125], v[124:125], v[136:137] neg_lo:[0,1] neg_hi:[0,1]
.LBB118_545:
	s_or_b32 exec_lo, exec_lo, s0
	v_lshl_add_u32 v126, v134, 3, v130
	s_barrier_signal -1
	s_barrier_wait -1
	ds_store_b64 v126, v[82:83]
	s_wait_dscnt 0x0
	s_barrier_signal -1
	s_barrier_wait -1
	ds_load_b64 v[128:129], v130 offset:208
	v_mov_b32_e32 v126, 26
	s_cmp_lt_i32 s18, 28
	s_cbranch_scc1 .LBB118_548
; %bb.546:
	v_add3_u32 v127, v131, 0, 0xd8
	v_mov_b32_e32 v126, 26
	s_mov_b32 s0, 27
.LBB118_547:                            ; =>This Inner Loop Header: Depth=1
	ds_load_b64 v[136:137], v127
	s_wait_dscnt 0x1
	v_cmp_gt_f32_e32 vcc_lo, 0, v128
	v_cndmask_b32_e64 v138, v128, -v128, vcc_lo
	v_cmp_gt_f32_e32 vcc_lo, 0, v129
	v_cndmask_b32_e64 v140, v129, -v129, vcc_lo
	s_wait_dscnt 0x0
	v_cmp_gt_f32_e32 vcc_lo, 0, v136
	v_cndmask_b32_e64 v139, v136, -v136, vcc_lo
	v_cmp_gt_f32_e32 vcc_lo, 0, v137
	v_cndmask_b32_e64 v141, v137, -v137, vcc_lo
	s_delay_alu instid0(VALU_DEP_1) | instskip(NEXT) | instid1(VALU_DEP_1)
	v_pk_add_f32 v[138:139], v[138:139], v[140:141]
	v_cmp_lt_f32_e32 vcc_lo, v138, v139
	v_dual_add_nc_u32 v127, 8, v127 :: v_dual_cndmask_b32 v129, v129, v137, vcc_lo
	v_cndmask_b32_e32 v128, v128, v136, vcc_lo
	v_cndmask_b32_e64 v126, v126, s0, vcc_lo
	s_add_co_i32 s0, s0, 1
	s_delay_alu instid0(SALU_CYCLE_1)
	s_cmp_lg_u32 s18, s0
	s_cbranch_scc1 .LBB118_547
.LBB118_548:
	s_wait_dscnt 0x0
	v_cmp_eq_f32_e32 vcc_lo, 0, v128
	v_cmp_eq_f32_e64 s0, 0, v129
	s_and_b32 s0, vcc_lo, s0
	s_delay_alu instid0(SALU_CYCLE_1) | instskip(NEXT) | instid1(SALU_CYCLE_1)
	s_and_saveexec_b32 s1, s0
	s_xor_b32 s0, exec_lo, s1
; %bb.549:
	v_cmp_ne_u32_e32 vcc_lo, 0, v132
	v_cndmask_b32_e32 v132, 27, v132, vcc_lo
; %bb.550:
	s_and_not1_saveexec_b32 s0, s0
	s_cbranch_execz .LBB118_556
; %bb.551:
	v_cmp_ngt_f32_e64 s1, |v128|, |v129|
	s_and_saveexec_b32 s12, s1
	s_delay_alu instid0(SALU_CYCLE_1)
	s_xor_b32 s1, exec_lo, s12
	s_cbranch_execz .LBB118_553
; %bb.552:
	v_div_scale_f32 v127, null, v129, v129, v128
	v_div_scale_f32 v137, vcc_lo, v128, v129, v128
	s_delay_alu instid0(VALU_DEP_2) | instskip(SKIP_1) | instid1(TRANS32_DEP_1)
	v_rcp_f32_e32 v135, v127
	v_nop
	v_fma_f32 v136, -v127, v135, 1.0
	s_delay_alu instid0(VALU_DEP_1) | instskip(NEXT) | instid1(VALU_DEP_1)
	v_fmac_f32_e32 v135, v136, v135
	v_mul_f32_e32 v136, v137, v135
	s_delay_alu instid0(VALU_DEP_1) | instskip(NEXT) | instid1(VALU_DEP_1)
	v_fma_f32 v138, -v127, v136, v137
	v_fmac_f32_e32 v136, v138, v135
	s_delay_alu instid0(VALU_DEP_1) | instskip(NEXT) | instid1(VALU_DEP_1)
	v_fma_f32 v127, -v127, v136, v137
	v_div_fmas_f32 v127, v127, v135, v136
	s_delay_alu instid0(VALU_DEP_1) | instskip(NEXT) | instid1(VALU_DEP_1)
	v_div_fixup_f32 v127, v127, v129, v128
	v_fmac_f32_e32 v129, v128, v127
	s_delay_alu instid0(VALU_DEP_1) | instskip(SKIP_1) | instid1(VALU_DEP_2)
	v_div_scale_f32 v128, null, v129, v129, 1.0
	v_div_scale_f32 v137, vcc_lo, 1.0, v129, 1.0
	v_rcp_f32_e32 v135, v128
	v_nop
	s_delay_alu instid0(TRANS32_DEP_1) | instskip(NEXT) | instid1(VALU_DEP_1)
	v_fma_f32 v136, -v128, v135, 1.0
	v_fmac_f32_e32 v135, v136, v135
	s_delay_alu instid0(VALU_DEP_1) | instskip(NEXT) | instid1(VALU_DEP_1)
	v_mul_f32_e32 v136, v137, v135
	v_fma_f32 v138, -v128, v136, v137
	s_delay_alu instid0(VALU_DEP_1) | instskip(NEXT) | instid1(VALU_DEP_1)
	v_fmac_f32_e32 v136, v138, v135
	v_fma_f32 v128, -v128, v136, v137
	s_delay_alu instid0(VALU_DEP_1) | instskip(NEXT) | instid1(VALU_DEP_1)
	v_div_fmas_f32 v128, v128, v135, v136
	v_div_fixup_f32 v129, v128, v129, 1.0
	s_delay_alu instid0(VALU_DEP_1)
	v_mul_f32_e32 v128, v127, v129
	v_xor_b32_e32 v129, 0x80000000, v129
.LBB118_553:
	s_and_not1_saveexec_b32 s1, s1
	s_cbranch_execz .LBB118_555
; %bb.554:
	s_delay_alu instid0(VALU_DEP_1) | instskip(SKIP_1) | instid1(VALU_DEP_2)
	v_div_scale_f32 v127, null, v128, v128, v129
	v_div_scale_f32 v137, vcc_lo, v129, v128, v129
	v_rcp_f32_e32 v135, v127
	v_nop
	s_delay_alu instid0(TRANS32_DEP_1) | instskip(NEXT) | instid1(VALU_DEP_1)
	v_fma_f32 v136, -v127, v135, 1.0
	v_fmac_f32_e32 v135, v136, v135
	s_delay_alu instid0(VALU_DEP_1) | instskip(NEXT) | instid1(VALU_DEP_1)
	v_mul_f32_e32 v136, v137, v135
	v_fma_f32 v138, -v127, v136, v137
	s_delay_alu instid0(VALU_DEP_1) | instskip(NEXT) | instid1(VALU_DEP_1)
	v_fmac_f32_e32 v136, v138, v135
	v_fma_f32 v127, -v127, v136, v137
	s_delay_alu instid0(VALU_DEP_1) | instskip(NEXT) | instid1(VALU_DEP_1)
	v_div_fmas_f32 v127, v127, v135, v136
	v_div_fixup_f32 v127, v127, v128, v129
	s_delay_alu instid0(VALU_DEP_1) | instskip(NEXT) | instid1(VALU_DEP_1)
	v_fmac_f32_e32 v128, v129, v127
	v_div_scale_f32 v129, null, v128, v128, 1.0
	s_delay_alu instid0(VALU_DEP_1) | instskip(SKIP_1) | instid1(TRANS32_DEP_1)
	v_rcp_f32_e32 v135, v129
	v_nop
	v_fma_f32 v136, -v129, v135, 1.0
	s_delay_alu instid0(VALU_DEP_1) | instskip(SKIP_1) | instid1(VALU_DEP_1)
	v_fmac_f32_e32 v135, v136, v135
	v_div_scale_f32 v136, vcc_lo, 1.0, v128, 1.0
	v_mul_f32_e32 v137, v136, v135
	s_delay_alu instid0(VALU_DEP_1) | instskip(NEXT) | instid1(VALU_DEP_1)
	v_fma_f32 v138, -v129, v137, v136
	v_fmac_f32_e32 v137, v138, v135
	s_delay_alu instid0(VALU_DEP_1) | instskip(NEXT) | instid1(VALU_DEP_1)
	v_fma_f32 v129, -v129, v137, v136
	v_div_fmas_f32 v129, v129, v135, v137
	s_delay_alu instid0(VALU_DEP_1) | instskip(NEXT) | instid1(VALU_DEP_1)
	v_div_fixup_f32 v128, v129, v128, 1.0
	v_mul_f32_e64 v129, v127, -v128
.LBB118_555:
	s_or_b32 exec_lo, exec_lo, s1
.LBB118_556:
	s_delay_alu instid0(SALU_CYCLE_1) | instskip(NEXT) | instid1(SALU_CYCLE_1)
	s_or_b32 exec_lo, exec_lo, s0
	s_mov_b32 s0, exec_lo
	v_cmpx_ne_u32_e64 v134, v126
	s_xor_b32 s0, exec_lo, s0
	s_cbranch_execz .LBB118_562
; %bb.557:
	s_mov_b32 s1, exec_lo
	v_cmpx_eq_u32_e32 26, v134
	s_cbranch_execz .LBB118_561
; %bb.558:
	v_cmp_ne_u32_e32 vcc_lo, 26, v126
	s_xor_b32 s12, s16, -1
	s_delay_alu instid0(SALU_CYCLE_1) | instskip(NEXT) | instid1(SALU_CYCLE_1)
	s_and_b32 s13, s12, vcc_lo
	s_and_saveexec_b32 s12, s13
	s_cbranch_execz .LBB118_560
; %bb.559:
	v_ashrrev_i32_e32 v127, 31, v126
	s_delay_alu instid0(VALU_DEP_1)
	v_lshl_add_u64 v[134:135], v[126:127], 2, v[4:5]
	s_clause 0x1
	global_load_b32 v127, v[134:135], off
	global_load_b32 v133, v[4:5], off offset:104
	s_wait_loadcnt 0x1
	global_store_b32 v[4:5], v127, off offset:104
	s_wait_loadcnt 0x0
	global_store_b32 v[134:135], v133, off
.LBB118_560:
	s_wait_xcnt 0x0
	s_or_b32 exec_lo, exec_lo, s12
	v_dual_mov_b32 v134, v126 :: v_dual_mov_b32 v133, v126
.LBB118_561:
	s_or_b32 exec_lo, exec_lo, s1
.LBB118_562:
	s_and_not1_saveexec_b32 s0, s0
	s_cbranch_execz .LBB118_564
; %bb.563:
	v_mov_b32_e32 v134, 26
	ds_store_2addr_b64 v130, v[24:25], v[78:79] offset0:27 offset1:28
	ds_store_2addr_b64 v130, v[74:75], v[76:77] offset0:29 offset1:30
	;; [unrolled: 1-line block ×16, first 2 shown]
	ds_store_b64 v130, v[124:125] offset:472
.LBB118_564:
	s_or_b32 exec_lo, exec_lo, s0
	s_delay_alu instid0(SALU_CYCLE_1)
	s_mov_b32 s0, exec_lo
	s_wait_storecnt_dscnt 0x0
	s_barrier_signal -1
	s_barrier_wait -1
	v_cmpx_lt_i32_e32 26, v134
	s_cbranch_execz .LBB118_566
; %bb.565:
	v_pk_mul_f32 v[136:137], v[128:129], v[82:83] op_sel:[1,1] op_sel_hi:[0,1]
	s_delay_alu instid0(VALU_DEP_1)
	v_pk_fma_f32 v[126:127], v[128:129], v[82:83], v[136:137] op_sel_hi:[1,0,1] neg_lo:[0,0,1] neg_hi:[0,0,1]
	v_pk_fma_f32 v[128:129], v[128:129], v[82:83], v[136:137] op_sel_hi:[1,0,1]
	ds_load_2addr_b64 v[136:139], v130 offset0:27 offset1:28
	v_dual_mov_b32 v82, v126 :: v_dual_mov_b32 v83, v129
	s_wait_dscnt 0x0
	v_pk_mul_f32 v[140:141], v[136:137], v[128:129] op_sel:[0,1]
	s_delay_alu instid0(VALU_DEP_1) | instskip(SKIP_1) | instid1(VALU_DEP_1)
	v_pk_fma_f32 v[142:143], v[136:137], v[126:127], v[140:141] op_sel:[0,0,1] op_sel_hi:[1,1,0] neg_lo:[0,0,1] neg_hi:[0,0,1]
	v_pk_fma_f32 v[136:137], v[136:137], v[126:127], v[140:141] op_sel:[0,0,1] op_sel_hi:[1,0,0]
	v_mov_b32_e32 v143, v137
	v_pk_mul_f32 v[136:137], v[138:139], v[128:129] op_sel:[0,1]
	s_delay_alu instid0(VALU_DEP_1) | instskip(SKIP_1) | instid1(VALU_DEP_1)
	v_pk_fma_f32 v[140:141], v[138:139], v[126:127], v[136:137] op_sel:[0,0,1] op_sel_hi:[1,1,0] neg_lo:[0,0,1] neg_hi:[0,0,1]
	v_pk_fma_f32 v[136:137], v[138:139], v[126:127], v[136:137] op_sel:[0,0,1] op_sel_hi:[1,0,0]
	v_mov_b32_e32 v141, v137
	ds_load_2addr_b64 v[136:139], v130 offset0:29 offset1:30
	v_pk_add_f32 v[24:25], v[24:25], v[142:143] neg_lo:[0,1] neg_hi:[0,1]
	v_pk_add_f32 v[78:79], v[78:79], v[140:141] neg_lo:[0,1] neg_hi:[0,1]
	s_wait_dscnt 0x0
	v_pk_mul_f32 v[140:141], v[136:137], v[128:129] op_sel:[0,1]
	s_delay_alu instid0(VALU_DEP_1) | instskip(SKIP_2) | instid1(VALU_DEP_2)
	v_pk_fma_f32 v[142:143], v[136:137], v[126:127], v[140:141] op_sel:[0,0,1] op_sel_hi:[1,1,0] neg_lo:[0,0,1] neg_hi:[0,0,1]
	v_pk_fma_f32 v[136:137], v[136:137], v[126:127], v[140:141] op_sel:[0,0,1] op_sel_hi:[1,0,0]
	v_dual_mul_f32 v140, v139, v129 :: v_dual_mov_b32 v136, v139
	v_dual_mov_b32 v143, v137 :: v_dual_mov_b32 v137, v138
	s_delay_alu instid0(VALU_DEP_2) | instskip(SKIP_1) | instid1(VALU_DEP_3)
	v_pk_fma_f32 v[140:141], v[138:139], v[82:83], v[140:141] op_sel_hi:[1,1,0] neg_lo:[0,0,1] neg_hi:[0,0,1]
	v_mul_f32_e32 v138, v139, v126
	v_pk_add_f32 v[74:75], v[74:75], v[142:143] neg_lo:[0,1] neg_hi:[0,1]
	s_delay_alu instid0(VALU_DEP_2) | instskip(NEXT) | instid1(VALU_DEP_1)
	v_pk_fma_f32 v[136:137], v[136:137], v[82:83], v[138:139] op_sel_hi:[1,1,0]
	v_mov_b32_e32 v141, v137
	ds_load_2addr_b64 v[136:139], v130 offset0:31 offset1:32
	v_pk_add_f32 v[76:77], v[76:77], v[140:141] neg_lo:[0,1] neg_hi:[0,1]
	s_wait_dscnt 0x0
	v_pk_mul_f32 v[140:141], v[136:137], v[128:129] op_sel:[0,1]
	s_delay_alu instid0(VALU_DEP_1) | instskip(SKIP_1) | instid1(VALU_DEP_1)
	v_pk_fma_f32 v[142:143], v[136:137], v[126:127], v[140:141] op_sel:[0,0,1] op_sel_hi:[1,1,0] neg_lo:[0,0,1] neg_hi:[0,0,1]
	v_pk_fma_f32 v[136:137], v[136:137], v[126:127], v[140:141] op_sel:[0,0,1] op_sel_hi:[1,0,0]
	v_mov_b32_e32 v143, v137
	v_pk_mul_f32 v[136:137], v[138:139], v[128:129] op_sel:[0,1]
	s_delay_alu instid0(VALU_DEP_1) | instskip(SKIP_1) | instid1(VALU_DEP_1)
	v_pk_fma_f32 v[140:141], v[138:139], v[126:127], v[136:137] op_sel:[0,0,1] op_sel_hi:[1,1,0] neg_lo:[0,0,1] neg_hi:[0,0,1]
	v_pk_fma_f32 v[136:137], v[138:139], v[126:127], v[136:137] op_sel:[0,0,1] op_sel_hi:[1,0,0]
	v_mov_b32_e32 v141, v137
	ds_load_2addr_b64 v[136:139], v130 offset0:33 offset1:34
	v_pk_add_f32 v[22:23], v[22:23], v[142:143] neg_lo:[0,1] neg_hi:[0,1]
	v_pk_add_f32 v[72:73], v[72:73], v[140:141] neg_lo:[0,1] neg_hi:[0,1]
	s_wait_dscnt 0x0
	v_pk_mul_f32 v[140:141], v[136:137], v[128:129] op_sel:[0,1]
	s_delay_alu instid0(VALU_DEP_1) | instskip(SKIP_1) | instid1(VALU_DEP_1)
	v_pk_fma_f32 v[142:143], v[136:137], v[126:127], v[140:141] op_sel:[0,0,1] op_sel_hi:[1,1,0] neg_lo:[0,0,1] neg_hi:[0,0,1]
	v_pk_fma_f32 v[136:137], v[136:137], v[126:127], v[140:141] op_sel:[0,0,1] op_sel_hi:[1,0,0]
	v_mov_b32_e32 v143, v137
	v_pk_mul_f32 v[136:137], v[138:139], v[128:129] op_sel:[0,1]
	s_delay_alu instid0(VALU_DEP_1) | instskip(SKIP_1) | instid1(VALU_DEP_1)
	v_pk_fma_f32 v[140:141], v[138:139], v[126:127], v[136:137] op_sel:[0,0,1] op_sel_hi:[1,1,0] neg_lo:[0,0,1] neg_hi:[0,0,1]
	v_pk_fma_f32 v[136:137], v[138:139], v[126:127], v[136:137] op_sel:[0,0,1] op_sel_hi:[1,0,0]
	v_mov_b32_e32 v141, v137
	ds_load_2addr_b64 v[136:139], v130 offset0:35 offset1:36
	v_pk_add_f32 v[68:69], v[68:69], v[142:143] neg_lo:[0,1] neg_hi:[0,1]
	v_pk_add_f32 v[70:71], v[70:71], v[140:141] neg_lo:[0,1] neg_hi:[0,1]
	s_wait_dscnt 0x0
	v_dual_mul_f32 v140, v137, v129 :: v_dual_mul_f32 v142, v137, v126
	s_delay_alu instid0(VALU_DEP_1) | instskip(NEXT) | instid1(VALU_DEP_2)
	v_pk_fma_f32 v[140:141], v[136:137], v[82:83], v[140:141] op_sel_hi:[1,1,0] neg_lo:[0,0,1] neg_hi:[0,0,1]
	v_pk_fma_f32 v[136:137], v[136:137], v[82:83], v[142:143] op_sel:[1,0,0] op_sel_hi:[0,1,0]
	s_delay_alu instid0(VALU_DEP_1) | instskip(SKIP_1) | instid1(VALU_DEP_2)
	v_mov_b32_e32 v141, v137
	v_pk_mul_f32 v[136:137], v[138:139], v[128:129] op_sel:[0,1]
	v_pk_add_f32 v[20:21], v[20:21], v[140:141] neg_lo:[0,1] neg_hi:[0,1]
	s_delay_alu instid0(VALU_DEP_2) | instskip(SKIP_1) | instid1(VALU_DEP_1)
	v_pk_fma_f32 v[140:141], v[138:139], v[126:127], v[136:137] op_sel:[0,0,1] op_sel_hi:[1,1,0] neg_lo:[0,0,1] neg_hi:[0,0,1]
	v_pk_fma_f32 v[136:137], v[138:139], v[126:127], v[136:137] op_sel:[0,0,1] op_sel_hi:[1,0,0]
	v_mov_b32_e32 v141, v137
	ds_load_2addr_b64 v[136:139], v130 offset0:37 offset1:38
	v_pk_add_f32 v[66:67], v[66:67], v[140:141] neg_lo:[0,1] neg_hi:[0,1]
	s_wait_dscnt 0x0
	v_pk_mul_f32 v[140:141], v[136:137], v[128:129] op_sel:[0,1]
	s_delay_alu instid0(VALU_DEP_1) | instskip(SKIP_1) | instid1(VALU_DEP_1)
	v_pk_fma_f32 v[142:143], v[136:137], v[126:127], v[140:141] op_sel:[0,0,1] op_sel_hi:[1,1,0] neg_lo:[0,0,1] neg_hi:[0,0,1]
	v_pk_fma_f32 v[136:137], v[136:137], v[126:127], v[140:141] op_sel:[0,0,1] op_sel_hi:[1,0,0]
	v_mov_b32_e32 v143, v137
	v_pk_mul_f32 v[136:137], v[138:139], v[128:129] op_sel:[0,1]
	s_delay_alu instid0(VALU_DEP_2) | instskip(NEXT) | instid1(VALU_DEP_2)
	v_pk_add_f32 v[62:63], v[62:63], v[142:143] neg_lo:[0,1] neg_hi:[0,1]
	v_pk_fma_f32 v[140:141], v[138:139], v[126:127], v[136:137] op_sel:[0,0,1] op_sel_hi:[1,1,0] neg_lo:[0,0,1] neg_hi:[0,0,1]
	v_pk_fma_f32 v[136:137], v[138:139], v[126:127], v[136:137] op_sel:[0,0,1] op_sel_hi:[1,0,0]
	s_delay_alu instid0(VALU_DEP_1) | instskip(SKIP_4) | instid1(VALU_DEP_1)
	v_mov_b32_e32 v141, v137
	ds_load_2addr_b64 v[136:139], v130 offset0:39 offset1:40
	v_pk_add_f32 v[64:65], v[64:65], v[140:141] neg_lo:[0,1] neg_hi:[0,1]
	s_wait_dscnt 0x0
	v_pk_mul_f32 v[140:141], v[136:137], v[128:129] op_sel:[0,1]
	v_pk_fma_f32 v[142:143], v[136:137], v[126:127], v[140:141] op_sel:[0,0,1] op_sel_hi:[1,1,0] neg_lo:[0,0,1] neg_hi:[0,0,1]
	v_pk_fma_f32 v[136:137], v[136:137], v[126:127], v[140:141] op_sel:[0,0,1] op_sel_hi:[1,0,0]
	v_dual_mul_f32 v140, v139, v129 :: v_dual_mov_b32 v136, v139
	s_delay_alu instid0(VALU_DEP_2) | instskip(NEXT) | instid1(VALU_DEP_2)
	v_dual_mov_b32 v143, v137 :: v_dual_mov_b32 v137, v138
	v_pk_fma_f32 v[140:141], v[138:139], v[82:83], v[140:141] op_sel_hi:[1,1,0] neg_lo:[0,0,1] neg_hi:[0,0,1]
	v_mul_f32_e32 v138, v139, v126
	s_delay_alu instid0(VALU_DEP_3) | instskip(NEXT) | instid1(VALU_DEP_2)
	v_pk_add_f32 v[18:19], v[18:19], v[142:143] neg_lo:[0,1] neg_hi:[0,1]
	v_pk_fma_f32 v[136:137], v[136:137], v[82:83], v[138:139] op_sel_hi:[1,1,0]
	s_delay_alu instid0(VALU_DEP_1) | instskip(SKIP_4) | instid1(VALU_DEP_1)
	v_mov_b32_e32 v141, v137
	ds_load_2addr_b64 v[136:139], v130 offset0:41 offset1:42
	v_pk_add_f32 v[60:61], v[60:61], v[140:141] neg_lo:[0,1] neg_hi:[0,1]
	s_wait_dscnt 0x0
	v_pk_mul_f32 v[140:141], v[136:137], v[128:129] op_sel:[0,1]
	v_pk_fma_f32 v[142:143], v[136:137], v[126:127], v[140:141] op_sel:[0,0,1] op_sel_hi:[1,1,0] neg_lo:[0,0,1] neg_hi:[0,0,1]
	v_pk_fma_f32 v[136:137], v[136:137], v[126:127], v[140:141] op_sel:[0,0,1] op_sel_hi:[1,0,0]
	s_delay_alu instid0(VALU_DEP_1) | instskip(SKIP_1) | instid1(VALU_DEP_1)
	v_mov_b32_e32 v143, v137
	v_pk_mul_f32 v[136:137], v[138:139], v[128:129] op_sel:[0,1]
	v_pk_fma_f32 v[140:141], v[138:139], v[126:127], v[136:137] op_sel:[0,0,1] op_sel_hi:[1,1,0] neg_lo:[0,0,1] neg_hi:[0,0,1]
	v_pk_fma_f32 v[136:137], v[138:139], v[126:127], v[136:137] op_sel:[0,0,1] op_sel_hi:[1,0,0]
	s_delay_alu instid0(VALU_DEP_1)
	v_mov_b32_e32 v141, v137
	ds_load_2addr_b64 v[136:139], v130 offset0:43 offset1:44
	v_pk_add_f32 v[56:57], v[56:57], v[142:143] neg_lo:[0,1] neg_hi:[0,1]
	v_pk_add_f32 v[58:59], v[58:59], v[140:141] neg_lo:[0,1] neg_hi:[0,1]
	s_wait_dscnt 0x0
	v_pk_mul_f32 v[140:141], v[136:137], v[128:129] op_sel:[0,1]
	s_delay_alu instid0(VALU_DEP_1) | instskip(SKIP_1) | instid1(VALU_DEP_1)
	v_pk_fma_f32 v[142:143], v[136:137], v[126:127], v[140:141] op_sel:[0,0,1] op_sel_hi:[1,1,0] neg_lo:[0,0,1] neg_hi:[0,0,1]
	v_pk_fma_f32 v[136:137], v[136:137], v[126:127], v[140:141] op_sel:[0,0,1] op_sel_hi:[1,0,0]
	v_mov_b32_e32 v143, v137
	v_pk_mul_f32 v[136:137], v[138:139], v[128:129] op_sel:[0,1]
	s_delay_alu instid0(VALU_DEP_1) | instskip(SKIP_1) | instid1(VALU_DEP_1)
	v_pk_fma_f32 v[140:141], v[138:139], v[126:127], v[136:137] op_sel:[0,0,1] op_sel_hi:[1,1,0] neg_lo:[0,0,1] neg_hi:[0,0,1]
	v_pk_fma_f32 v[136:137], v[138:139], v[126:127], v[136:137] op_sel:[0,0,1] op_sel_hi:[1,0,0]
	v_mov_b32_e32 v141, v137
	ds_load_2addr_b64 v[136:139], v130 offset0:45 offset1:46
	v_pk_add_f32 v[12:13], v[12:13], v[142:143] neg_lo:[0,1] neg_hi:[0,1]
	v_pk_add_f32 v[54:55], v[54:55], v[140:141] neg_lo:[0,1] neg_hi:[0,1]
	s_wait_dscnt 0x0
	v_dual_mul_f32 v140, v137, v129 :: v_dual_mul_f32 v142, v137, v126
	s_delay_alu instid0(VALU_DEP_1) | instskip(NEXT) | instid1(VALU_DEP_2)
	v_pk_fma_f32 v[140:141], v[136:137], v[82:83], v[140:141] op_sel_hi:[1,1,0] neg_lo:[0,0,1] neg_hi:[0,0,1]
	v_pk_fma_f32 v[136:137], v[136:137], v[82:83], v[142:143] op_sel:[1,0,0] op_sel_hi:[0,1,0]
	s_delay_alu instid0(VALU_DEP_1) | instskip(SKIP_1) | instid1(VALU_DEP_2)
	v_mov_b32_e32 v141, v137
	v_pk_mul_f32 v[136:137], v[138:139], v[128:129] op_sel:[0,1]
	v_pk_add_f32 v[50:51], v[50:51], v[140:141] neg_lo:[0,1] neg_hi:[0,1]
	s_delay_alu instid0(VALU_DEP_2) | instskip(SKIP_1) | instid1(VALU_DEP_1)
	v_pk_fma_f32 v[140:141], v[138:139], v[126:127], v[136:137] op_sel:[0,0,1] op_sel_hi:[1,1,0] neg_lo:[0,0,1] neg_hi:[0,0,1]
	v_pk_fma_f32 v[136:137], v[138:139], v[126:127], v[136:137] op_sel:[0,0,1] op_sel_hi:[1,0,0]
	v_mov_b32_e32 v141, v137
	ds_load_2addr_b64 v[136:139], v130 offset0:47 offset1:48
	v_pk_add_f32 v[52:53], v[52:53], v[140:141] neg_lo:[0,1] neg_hi:[0,1]
	s_wait_dscnt 0x0
	v_pk_mul_f32 v[140:141], v[136:137], v[128:129] op_sel:[0,1]
	s_delay_alu instid0(VALU_DEP_1) | instskip(SKIP_1) | instid1(VALU_DEP_1)
	v_pk_fma_f32 v[142:143], v[136:137], v[126:127], v[140:141] op_sel:[0,0,1] op_sel_hi:[1,1,0] neg_lo:[0,0,1] neg_hi:[0,0,1]
	v_pk_fma_f32 v[136:137], v[136:137], v[126:127], v[140:141] op_sel:[0,0,1] op_sel_hi:[1,0,0]
	v_mov_b32_e32 v143, v137
	v_pk_mul_f32 v[136:137], v[138:139], v[128:129] op_sel:[0,1]
	s_delay_alu instid0(VALU_DEP_2) | instskip(NEXT) | instid1(VALU_DEP_2)
	v_pk_add_f32 v[10:11], v[10:11], v[142:143] neg_lo:[0,1] neg_hi:[0,1]
	v_pk_fma_f32 v[140:141], v[138:139], v[126:127], v[136:137] op_sel:[0,0,1] op_sel_hi:[1,1,0] neg_lo:[0,0,1] neg_hi:[0,0,1]
	v_pk_fma_f32 v[136:137], v[138:139], v[126:127], v[136:137] op_sel:[0,0,1] op_sel_hi:[1,0,0]
	s_delay_alu instid0(VALU_DEP_1) | instskip(SKIP_4) | instid1(VALU_DEP_1)
	v_mov_b32_e32 v141, v137
	ds_load_2addr_b64 v[136:139], v130 offset0:49 offset1:50
	v_pk_add_f32 v[46:47], v[46:47], v[140:141] neg_lo:[0,1] neg_hi:[0,1]
	s_wait_dscnt 0x0
	v_pk_mul_f32 v[140:141], v[136:137], v[128:129] op_sel:[0,1]
	v_pk_fma_f32 v[142:143], v[136:137], v[126:127], v[140:141] op_sel:[0,0,1] op_sel_hi:[1,1,0] neg_lo:[0,0,1] neg_hi:[0,0,1]
	v_pk_fma_f32 v[136:137], v[136:137], v[126:127], v[140:141] op_sel:[0,0,1] op_sel_hi:[1,0,0]
	v_dual_mul_f32 v140, v139, v129 :: v_dual_mov_b32 v136, v139
	s_delay_alu instid0(VALU_DEP_2) | instskip(NEXT) | instid1(VALU_DEP_2)
	v_dual_mov_b32 v143, v137 :: v_dual_mov_b32 v137, v138
	v_pk_fma_f32 v[140:141], v[138:139], v[82:83], v[140:141] op_sel_hi:[1,1,0] neg_lo:[0,0,1] neg_hi:[0,0,1]
	v_mul_f32_e32 v138, v139, v126
	s_delay_alu instid0(VALU_DEP_3) | instskip(NEXT) | instid1(VALU_DEP_2)
	v_pk_add_f32 v[44:45], v[44:45], v[142:143] neg_lo:[0,1] neg_hi:[0,1]
	v_pk_fma_f32 v[136:137], v[136:137], v[82:83], v[138:139] op_sel_hi:[1,1,0]
	s_delay_alu instid0(VALU_DEP_1) | instskip(SKIP_4) | instid1(VALU_DEP_1)
	v_mov_b32_e32 v141, v137
	ds_load_2addr_b64 v[136:139], v130 offset0:51 offset1:52
	v_pk_add_f32 v[48:49], v[48:49], v[140:141] neg_lo:[0,1] neg_hi:[0,1]
	s_wait_dscnt 0x0
	v_pk_mul_f32 v[140:141], v[136:137], v[128:129] op_sel:[0,1]
	v_pk_fma_f32 v[142:143], v[136:137], v[126:127], v[140:141] op_sel:[0,0,1] op_sel_hi:[1,1,0] neg_lo:[0,0,1] neg_hi:[0,0,1]
	v_pk_fma_f32 v[136:137], v[136:137], v[126:127], v[140:141] op_sel:[0,0,1] op_sel_hi:[1,0,0]
	s_delay_alu instid0(VALU_DEP_1) | instskip(SKIP_1) | instid1(VALU_DEP_1)
	v_mov_b32_e32 v143, v137
	v_pk_mul_f32 v[136:137], v[138:139], v[128:129] op_sel:[0,1]
	v_pk_fma_f32 v[140:141], v[138:139], v[126:127], v[136:137] op_sel:[0,0,1] op_sel_hi:[1,1,0] neg_lo:[0,0,1] neg_hi:[0,0,1]
	v_pk_fma_f32 v[136:137], v[138:139], v[126:127], v[136:137] op_sel:[0,0,1] op_sel_hi:[1,0,0]
	s_delay_alu instid0(VALU_DEP_1)
	v_mov_b32_e32 v141, v137
	ds_load_2addr_b64 v[136:139], v130 offset0:53 offset1:54
	v_pk_add_f32 v[8:9], v[8:9], v[142:143] neg_lo:[0,1] neg_hi:[0,1]
	v_pk_add_f32 v[34:35], v[34:35], v[140:141] neg_lo:[0,1] neg_hi:[0,1]
	s_wait_dscnt 0x0
	v_pk_mul_f32 v[140:141], v[136:137], v[128:129] op_sel:[0,1]
	s_delay_alu instid0(VALU_DEP_1) | instskip(SKIP_1) | instid1(VALU_DEP_1)
	v_pk_fma_f32 v[142:143], v[136:137], v[126:127], v[140:141] op_sel:[0,0,1] op_sel_hi:[1,1,0] neg_lo:[0,0,1] neg_hi:[0,0,1]
	v_pk_fma_f32 v[136:137], v[136:137], v[126:127], v[140:141] op_sel:[0,0,1] op_sel_hi:[1,0,0]
	v_mov_b32_e32 v143, v137
	v_pk_mul_f32 v[136:137], v[138:139], v[128:129] op_sel:[0,1]
	s_delay_alu instid0(VALU_DEP_1) | instskip(SKIP_1) | instid1(VALU_DEP_1)
	v_pk_fma_f32 v[140:141], v[138:139], v[126:127], v[136:137] op_sel:[0,0,1] op_sel_hi:[1,1,0] neg_lo:[0,0,1] neg_hi:[0,0,1]
	v_pk_fma_f32 v[136:137], v[138:139], v[126:127], v[136:137] op_sel:[0,0,1] op_sel_hi:[1,0,0]
	v_mov_b32_e32 v141, v137
	ds_load_2addr_b64 v[136:139], v130 offset0:55 offset1:56
	v_pk_add_f32 v[28:29], v[28:29], v[142:143] neg_lo:[0,1] neg_hi:[0,1]
	v_pk_add_f32 v[32:33], v[32:33], v[140:141] neg_lo:[0,1] neg_hi:[0,1]
	s_wait_dscnt 0x0
	v_dual_mul_f32 v140, v137, v129 :: v_dual_mul_f32 v142, v137, v126
	s_delay_alu instid0(VALU_DEP_1) | instskip(NEXT) | instid1(VALU_DEP_2)
	v_pk_fma_f32 v[140:141], v[136:137], v[82:83], v[140:141] op_sel_hi:[1,1,0] neg_lo:[0,0,1] neg_hi:[0,0,1]
	v_pk_fma_f32 v[136:137], v[136:137], v[82:83], v[142:143] op_sel:[1,0,0] op_sel_hi:[0,1,0]
	s_delay_alu instid0(VALU_DEP_1) | instskip(SKIP_1) | instid1(VALU_DEP_2)
	v_mov_b32_e32 v141, v137
	v_pk_mul_f32 v[136:137], v[138:139], v[128:129] op_sel:[0,1]
	v_pk_add_f32 v[6:7], v[6:7], v[140:141] neg_lo:[0,1] neg_hi:[0,1]
	s_delay_alu instid0(VALU_DEP_2) | instskip(SKIP_1) | instid1(VALU_DEP_1)
	v_pk_fma_f32 v[140:141], v[138:139], v[126:127], v[136:137] op_sel:[0,0,1] op_sel_hi:[1,1,0] neg_lo:[0,0,1] neg_hi:[0,0,1]
	v_pk_fma_f32 v[136:137], v[138:139], v[126:127], v[136:137] op_sel:[0,0,1] op_sel_hi:[1,0,0]
	v_mov_b32_e32 v141, v137
	ds_load_2addr_b64 v[136:139], v130 offset0:57 offset1:58
	v_pk_add_f32 v[26:27], v[26:27], v[140:141] neg_lo:[0,1] neg_hi:[0,1]
	s_wait_dscnt 0x0
	v_pk_mul_f32 v[140:141], v[136:137], v[128:129] op_sel:[0,1]
	s_delay_alu instid0(VALU_DEP_1) | instskip(SKIP_1) | instid1(VALU_DEP_1)
	v_pk_fma_f32 v[142:143], v[136:137], v[126:127], v[140:141] op_sel:[0,0,1] op_sel_hi:[1,1,0] neg_lo:[0,0,1] neg_hi:[0,0,1]
	v_pk_fma_f32 v[136:137], v[136:137], v[126:127], v[140:141] op_sel:[0,0,1] op_sel_hi:[1,0,0]
	v_mov_b32_e32 v143, v137
	v_pk_mul_f32 v[136:137], v[138:139], v[128:129] op_sel:[0,1]
	s_delay_alu instid0(VALU_DEP_2) | instskip(NEXT) | instid1(VALU_DEP_2)
	v_pk_add_f32 v[16:17], v[16:17], v[142:143] neg_lo:[0,1] neg_hi:[0,1]
	v_pk_fma_f32 v[140:141], v[138:139], v[126:127], v[136:137] op_sel:[0,0,1] op_sel_hi:[1,1,0] neg_lo:[0,0,1] neg_hi:[0,0,1]
	v_pk_fma_f32 v[136:137], v[138:139], v[126:127], v[136:137] op_sel:[0,0,1] op_sel_hi:[1,0,0]
	s_delay_alu instid0(VALU_DEP_1) | instskip(SKIP_4) | instid1(VALU_DEP_1)
	v_mov_b32_e32 v141, v137
	ds_load_b64 v[136:137], v130 offset:472
	v_pk_add_f32 v[14:15], v[14:15], v[140:141] neg_lo:[0,1] neg_hi:[0,1]
	s_wait_dscnt 0x0
	v_pk_mul_f32 v[128:129], v[136:137], v[128:129] op_sel:[0,1]
	v_pk_fma_f32 v[138:139], v[136:137], v[126:127], v[128:129] op_sel:[0,0,1] op_sel_hi:[1,1,0] neg_lo:[0,0,1] neg_hi:[0,0,1]
	v_pk_fma_f32 v[126:127], v[136:137], v[126:127], v[128:129] op_sel:[0,0,1] op_sel_hi:[1,0,0]
	s_delay_alu instid0(VALU_DEP_1) | instskip(NEXT) | instid1(VALU_DEP_1)
	v_mov_b32_e32 v139, v127
	v_pk_add_f32 v[124:125], v[124:125], v[138:139] neg_lo:[0,1] neg_hi:[0,1]
.LBB118_566:
	s_or_b32 exec_lo, exec_lo, s0
	v_lshl_add_u32 v126, v134, 3, v130
	s_barrier_signal -1
	s_barrier_wait -1
	ds_store_b64 v126, v[24:25]
	s_wait_dscnt 0x0
	s_barrier_signal -1
	s_barrier_wait -1
	ds_load_b64 v[128:129], v130 offset:216
	v_mov_b32_e32 v126, 27
	s_cmp_lt_i32 s18, 29
	s_cbranch_scc1 .LBB118_569
; %bb.567:
	v_add3_u32 v127, v131, 0, 0xe0
	v_mov_b32_e32 v126, 27
	s_mov_b32 s0, 28
.LBB118_568:                            ; =>This Inner Loop Header: Depth=1
	ds_load_b64 v[136:137], v127
	s_wait_dscnt 0x1
	v_cmp_gt_f32_e32 vcc_lo, 0, v128
	v_cndmask_b32_e64 v138, v128, -v128, vcc_lo
	v_cmp_gt_f32_e32 vcc_lo, 0, v129
	v_cndmask_b32_e64 v140, v129, -v129, vcc_lo
	s_wait_dscnt 0x0
	v_cmp_gt_f32_e32 vcc_lo, 0, v136
	v_cndmask_b32_e64 v139, v136, -v136, vcc_lo
	v_cmp_gt_f32_e32 vcc_lo, 0, v137
	v_cndmask_b32_e64 v141, v137, -v137, vcc_lo
	s_delay_alu instid0(VALU_DEP_1) | instskip(NEXT) | instid1(VALU_DEP_1)
	v_pk_add_f32 v[138:139], v[138:139], v[140:141]
	v_cmp_lt_f32_e32 vcc_lo, v138, v139
	v_dual_add_nc_u32 v127, 8, v127 :: v_dual_cndmask_b32 v129, v129, v137, vcc_lo
	v_cndmask_b32_e32 v128, v128, v136, vcc_lo
	v_cndmask_b32_e64 v126, v126, s0, vcc_lo
	s_add_co_i32 s0, s0, 1
	s_delay_alu instid0(SALU_CYCLE_1)
	s_cmp_lg_u32 s18, s0
	s_cbranch_scc1 .LBB118_568
.LBB118_569:
	s_wait_dscnt 0x0
	v_cmp_eq_f32_e32 vcc_lo, 0, v128
	v_cmp_eq_f32_e64 s0, 0, v129
	s_and_b32 s0, vcc_lo, s0
	s_delay_alu instid0(SALU_CYCLE_1) | instskip(NEXT) | instid1(SALU_CYCLE_1)
	s_and_saveexec_b32 s1, s0
	s_xor_b32 s0, exec_lo, s1
; %bb.570:
	v_cmp_ne_u32_e32 vcc_lo, 0, v132
	v_cndmask_b32_e32 v132, 28, v132, vcc_lo
; %bb.571:
	s_and_not1_saveexec_b32 s0, s0
	s_cbranch_execz .LBB118_577
; %bb.572:
	v_cmp_ngt_f32_e64 s1, |v128|, |v129|
	s_and_saveexec_b32 s12, s1
	s_delay_alu instid0(SALU_CYCLE_1)
	s_xor_b32 s1, exec_lo, s12
	s_cbranch_execz .LBB118_574
; %bb.573:
	v_div_scale_f32 v127, null, v129, v129, v128
	v_div_scale_f32 v137, vcc_lo, v128, v129, v128
	s_delay_alu instid0(VALU_DEP_2) | instskip(SKIP_1) | instid1(TRANS32_DEP_1)
	v_rcp_f32_e32 v135, v127
	v_nop
	v_fma_f32 v136, -v127, v135, 1.0
	s_delay_alu instid0(VALU_DEP_1) | instskip(NEXT) | instid1(VALU_DEP_1)
	v_fmac_f32_e32 v135, v136, v135
	v_mul_f32_e32 v136, v137, v135
	s_delay_alu instid0(VALU_DEP_1) | instskip(NEXT) | instid1(VALU_DEP_1)
	v_fma_f32 v138, -v127, v136, v137
	v_fmac_f32_e32 v136, v138, v135
	s_delay_alu instid0(VALU_DEP_1) | instskip(NEXT) | instid1(VALU_DEP_1)
	v_fma_f32 v127, -v127, v136, v137
	v_div_fmas_f32 v127, v127, v135, v136
	s_delay_alu instid0(VALU_DEP_1) | instskip(NEXT) | instid1(VALU_DEP_1)
	v_div_fixup_f32 v127, v127, v129, v128
	v_fmac_f32_e32 v129, v128, v127
	s_delay_alu instid0(VALU_DEP_1) | instskip(SKIP_1) | instid1(VALU_DEP_2)
	v_div_scale_f32 v128, null, v129, v129, 1.0
	v_div_scale_f32 v137, vcc_lo, 1.0, v129, 1.0
	v_rcp_f32_e32 v135, v128
	v_nop
	s_delay_alu instid0(TRANS32_DEP_1) | instskip(NEXT) | instid1(VALU_DEP_1)
	v_fma_f32 v136, -v128, v135, 1.0
	v_fmac_f32_e32 v135, v136, v135
	s_delay_alu instid0(VALU_DEP_1) | instskip(NEXT) | instid1(VALU_DEP_1)
	v_mul_f32_e32 v136, v137, v135
	v_fma_f32 v138, -v128, v136, v137
	s_delay_alu instid0(VALU_DEP_1) | instskip(NEXT) | instid1(VALU_DEP_1)
	v_fmac_f32_e32 v136, v138, v135
	v_fma_f32 v128, -v128, v136, v137
	s_delay_alu instid0(VALU_DEP_1) | instskip(NEXT) | instid1(VALU_DEP_1)
	v_div_fmas_f32 v128, v128, v135, v136
	v_div_fixup_f32 v129, v128, v129, 1.0
	s_delay_alu instid0(VALU_DEP_1)
	v_mul_f32_e32 v128, v127, v129
	v_xor_b32_e32 v129, 0x80000000, v129
.LBB118_574:
	s_and_not1_saveexec_b32 s1, s1
	s_cbranch_execz .LBB118_576
; %bb.575:
	s_delay_alu instid0(VALU_DEP_1) | instskip(SKIP_1) | instid1(VALU_DEP_2)
	v_div_scale_f32 v127, null, v128, v128, v129
	v_div_scale_f32 v137, vcc_lo, v129, v128, v129
	v_rcp_f32_e32 v135, v127
	v_nop
	s_delay_alu instid0(TRANS32_DEP_1) | instskip(NEXT) | instid1(VALU_DEP_1)
	v_fma_f32 v136, -v127, v135, 1.0
	v_fmac_f32_e32 v135, v136, v135
	s_delay_alu instid0(VALU_DEP_1) | instskip(NEXT) | instid1(VALU_DEP_1)
	v_mul_f32_e32 v136, v137, v135
	v_fma_f32 v138, -v127, v136, v137
	s_delay_alu instid0(VALU_DEP_1) | instskip(NEXT) | instid1(VALU_DEP_1)
	v_fmac_f32_e32 v136, v138, v135
	v_fma_f32 v127, -v127, v136, v137
	s_delay_alu instid0(VALU_DEP_1) | instskip(NEXT) | instid1(VALU_DEP_1)
	v_div_fmas_f32 v127, v127, v135, v136
	v_div_fixup_f32 v127, v127, v128, v129
	s_delay_alu instid0(VALU_DEP_1) | instskip(NEXT) | instid1(VALU_DEP_1)
	v_fmac_f32_e32 v128, v129, v127
	v_div_scale_f32 v129, null, v128, v128, 1.0
	s_delay_alu instid0(VALU_DEP_1) | instskip(SKIP_1) | instid1(TRANS32_DEP_1)
	v_rcp_f32_e32 v135, v129
	v_nop
	v_fma_f32 v136, -v129, v135, 1.0
	s_delay_alu instid0(VALU_DEP_1) | instskip(SKIP_1) | instid1(VALU_DEP_1)
	v_fmac_f32_e32 v135, v136, v135
	v_div_scale_f32 v136, vcc_lo, 1.0, v128, 1.0
	v_mul_f32_e32 v137, v136, v135
	s_delay_alu instid0(VALU_DEP_1) | instskip(NEXT) | instid1(VALU_DEP_1)
	v_fma_f32 v138, -v129, v137, v136
	v_fmac_f32_e32 v137, v138, v135
	s_delay_alu instid0(VALU_DEP_1) | instskip(NEXT) | instid1(VALU_DEP_1)
	v_fma_f32 v129, -v129, v137, v136
	v_div_fmas_f32 v129, v129, v135, v137
	s_delay_alu instid0(VALU_DEP_1) | instskip(NEXT) | instid1(VALU_DEP_1)
	v_div_fixup_f32 v128, v129, v128, 1.0
	v_mul_f32_e64 v129, v127, -v128
.LBB118_576:
	s_or_b32 exec_lo, exec_lo, s1
.LBB118_577:
	s_delay_alu instid0(SALU_CYCLE_1) | instskip(NEXT) | instid1(SALU_CYCLE_1)
	s_or_b32 exec_lo, exec_lo, s0
	s_mov_b32 s0, exec_lo
	v_cmpx_ne_u32_e64 v134, v126
	s_xor_b32 s0, exec_lo, s0
	s_cbranch_execz .LBB118_583
; %bb.578:
	s_mov_b32 s1, exec_lo
	v_cmpx_eq_u32_e32 27, v134
	s_cbranch_execz .LBB118_582
; %bb.579:
	v_cmp_ne_u32_e32 vcc_lo, 27, v126
	s_xor_b32 s12, s16, -1
	s_delay_alu instid0(SALU_CYCLE_1) | instskip(NEXT) | instid1(SALU_CYCLE_1)
	s_and_b32 s13, s12, vcc_lo
	s_and_saveexec_b32 s12, s13
	s_cbranch_execz .LBB118_581
; %bb.580:
	v_ashrrev_i32_e32 v127, 31, v126
	s_delay_alu instid0(VALU_DEP_1)
	v_lshl_add_u64 v[134:135], v[126:127], 2, v[4:5]
	s_clause 0x1
	global_load_b32 v127, v[134:135], off
	global_load_b32 v133, v[4:5], off offset:108
	s_wait_loadcnt 0x1
	global_store_b32 v[4:5], v127, off offset:108
	s_wait_loadcnt 0x0
	global_store_b32 v[134:135], v133, off
.LBB118_581:
	s_wait_xcnt 0x0
	s_or_b32 exec_lo, exec_lo, s12
	v_dual_mov_b32 v134, v126 :: v_dual_mov_b32 v133, v126
.LBB118_582:
	s_or_b32 exec_lo, exec_lo, s1
.LBB118_583:
	s_and_not1_saveexec_b32 s0, s0
	s_cbranch_execz .LBB118_585
; %bb.584:
	v_dual_mov_b32 v126, v78 :: v_dual_mov_b32 v127, v79
	v_dual_mov_b32 v134, v74 :: v_dual_mov_b32 v135, v75
	;; [unrolled: 1-line block ×12, first 2 shown]
	ds_store_2addr_b64 v130, v[126:127], v[134:135] offset0:28 offset1:29
	ds_store_2addr_b64 v130, v[136:137], v[138:139] offset0:30 offset1:31
	;; [unrolled: 1-line block ×6, first 2 shown]
	v_dual_mov_b32 v126, v60 :: v_dual_mov_b32 v127, v61
	v_dual_mov_b32 v134, v56 :: v_dual_mov_b32 v135, v57
	;; [unrolled: 1-line block ×12, first 2 shown]
	ds_store_2addr_b64 v130, v[126:127], v[134:135] offset0:40 offset1:41
	ds_store_2addr_b64 v130, v[136:137], v[138:139] offset0:42 offset1:43
	;; [unrolled: 1-line block ×6, first 2 shown]
	v_dual_mov_b32 v126, v34 :: v_dual_mov_b32 v127, v35
	v_dual_mov_b32 v136, v28 :: v_dual_mov_b32 v137, v29
	;; [unrolled: 1-line block ×7, first 2 shown]
	v_mov_b32_e32 v147, v15
	ds_store_2addr_b64 v130, v[126:127], v[136:137] offset0:52 offset1:53
	ds_store_2addr_b64 v130, v[138:139], v[140:141] offset0:54 offset1:55
	;; [unrolled: 1-line block ×4, first 2 shown]
.LBB118_585:
	s_or_b32 exec_lo, exec_lo, s0
	s_delay_alu instid0(SALU_CYCLE_1)
	s_mov_b32 s0, exec_lo
	s_wait_storecnt_dscnt 0x0
	s_barrier_signal -1
	s_barrier_wait -1
	v_cmpx_lt_i32_e32 27, v134
	s_cbranch_execz .LBB118_587
; %bb.586:
	v_pk_mul_f32 v[136:137], v[128:129], v[24:25] op_sel:[1,1] op_sel_hi:[0,1]
	s_delay_alu instid0(VALU_DEP_1)
	v_pk_fma_f32 v[126:127], v[128:129], v[24:25], v[136:137] op_sel_hi:[1,0,1] neg_lo:[0,0,1] neg_hi:[0,0,1]
	v_pk_fma_f32 v[128:129], v[128:129], v[24:25], v[136:137] op_sel_hi:[1,0,1]
	ds_load_2addr_b64 v[136:139], v130 offset0:28 offset1:29
	v_dual_mov_b32 v24, v126 :: v_dual_mov_b32 v25, v129
	s_wait_dscnt 0x0
	v_pk_mul_f32 v[140:141], v[136:137], v[128:129] op_sel:[0,1]
	s_delay_alu instid0(VALU_DEP_1) | instskip(SKIP_1) | instid1(VALU_DEP_1)
	v_pk_fma_f32 v[142:143], v[136:137], v[126:127], v[140:141] op_sel:[0,0,1] op_sel_hi:[1,1,0] neg_lo:[0,0,1] neg_hi:[0,0,1]
	v_pk_fma_f32 v[136:137], v[136:137], v[126:127], v[140:141] op_sel:[0,0,1] op_sel_hi:[1,0,0]
	v_mov_b32_e32 v143, v137
	v_pk_mul_f32 v[136:137], v[138:139], v[128:129] op_sel:[0,1]
	s_delay_alu instid0(VALU_DEP_1) | instskip(SKIP_1) | instid1(VALU_DEP_1)
	v_pk_fma_f32 v[140:141], v[138:139], v[126:127], v[136:137] op_sel:[0,0,1] op_sel_hi:[1,1,0] neg_lo:[0,0,1] neg_hi:[0,0,1]
	v_pk_fma_f32 v[136:137], v[138:139], v[126:127], v[136:137] op_sel:[0,0,1] op_sel_hi:[1,0,0]
	v_mov_b32_e32 v141, v137
	ds_load_2addr_b64 v[136:139], v130 offset0:30 offset1:31
	v_pk_add_f32 v[78:79], v[78:79], v[142:143] neg_lo:[0,1] neg_hi:[0,1]
	v_pk_add_f32 v[74:75], v[74:75], v[140:141] neg_lo:[0,1] neg_hi:[0,1]
	s_wait_dscnt 0x0
	v_pk_mul_f32 v[140:141], v[136:137], v[128:129] op_sel:[0,1]
	s_delay_alu instid0(VALU_DEP_1) | instskip(SKIP_2) | instid1(VALU_DEP_2)
	v_pk_fma_f32 v[142:143], v[136:137], v[126:127], v[140:141] op_sel:[0,0,1] op_sel_hi:[1,1,0] neg_lo:[0,0,1] neg_hi:[0,0,1]
	v_pk_fma_f32 v[136:137], v[136:137], v[126:127], v[140:141] op_sel:[0,0,1] op_sel_hi:[1,0,0]
	v_dual_mul_f32 v140, v139, v129 :: v_dual_mov_b32 v136, v139
	v_dual_mov_b32 v143, v137 :: v_dual_mov_b32 v137, v138
	s_delay_alu instid0(VALU_DEP_2) | instskip(SKIP_1) | instid1(VALU_DEP_3)
	v_pk_fma_f32 v[140:141], v[138:139], v[24:25], v[140:141] op_sel_hi:[1,1,0] neg_lo:[0,0,1] neg_hi:[0,0,1]
	v_mul_f32_e32 v138, v139, v126
	v_pk_add_f32 v[76:77], v[76:77], v[142:143] neg_lo:[0,1] neg_hi:[0,1]
	s_delay_alu instid0(VALU_DEP_2) | instskip(NEXT) | instid1(VALU_DEP_1)
	v_pk_fma_f32 v[136:137], v[136:137], v[24:25], v[138:139] op_sel_hi:[1,1,0]
	v_mov_b32_e32 v141, v137
	ds_load_2addr_b64 v[136:139], v130 offset0:32 offset1:33
	v_pk_add_f32 v[22:23], v[22:23], v[140:141] neg_lo:[0,1] neg_hi:[0,1]
	s_wait_dscnt 0x0
	v_pk_mul_f32 v[140:141], v[136:137], v[128:129] op_sel:[0,1]
	s_delay_alu instid0(VALU_DEP_1) | instskip(SKIP_1) | instid1(VALU_DEP_1)
	v_pk_fma_f32 v[142:143], v[136:137], v[126:127], v[140:141] op_sel:[0,0,1] op_sel_hi:[1,1,0] neg_lo:[0,0,1] neg_hi:[0,0,1]
	v_pk_fma_f32 v[136:137], v[136:137], v[126:127], v[140:141] op_sel:[0,0,1] op_sel_hi:[1,0,0]
	v_mov_b32_e32 v143, v137
	v_pk_mul_f32 v[136:137], v[138:139], v[128:129] op_sel:[0,1]
	s_delay_alu instid0(VALU_DEP_1) | instskip(SKIP_1) | instid1(VALU_DEP_1)
	v_pk_fma_f32 v[140:141], v[138:139], v[126:127], v[136:137] op_sel:[0,0,1] op_sel_hi:[1,1,0] neg_lo:[0,0,1] neg_hi:[0,0,1]
	v_pk_fma_f32 v[136:137], v[138:139], v[126:127], v[136:137] op_sel:[0,0,1] op_sel_hi:[1,0,0]
	v_mov_b32_e32 v141, v137
	ds_load_2addr_b64 v[136:139], v130 offset0:34 offset1:35
	v_pk_add_f32 v[72:73], v[72:73], v[142:143] neg_lo:[0,1] neg_hi:[0,1]
	v_pk_add_f32 v[68:69], v[68:69], v[140:141] neg_lo:[0,1] neg_hi:[0,1]
	s_wait_dscnt 0x0
	v_pk_mul_f32 v[140:141], v[136:137], v[128:129] op_sel:[0,1]
	s_delay_alu instid0(VALU_DEP_1) | instskip(SKIP_1) | instid1(VALU_DEP_1)
	v_pk_fma_f32 v[142:143], v[136:137], v[126:127], v[140:141] op_sel:[0,0,1] op_sel_hi:[1,1,0] neg_lo:[0,0,1] neg_hi:[0,0,1]
	v_pk_fma_f32 v[136:137], v[136:137], v[126:127], v[140:141] op_sel:[0,0,1] op_sel_hi:[1,0,0]
	v_mov_b32_e32 v143, v137
	v_pk_mul_f32 v[136:137], v[138:139], v[128:129] op_sel:[0,1]
	s_delay_alu instid0(VALU_DEP_1) | instskip(SKIP_1) | instid1(VALU_DEP_1)
	v_pk_fma_f32 v[140:141], v[138:139], v[126:127], v[136:137] op_sel:[0,0,1] op_sel_hi:[1,1,0] neg_lo:[0,0,1] neg_hi:[0,0,1]
	v_pk_fma_f32 v[136:137], v[138:139], v[126:127], v[136:137] op_sel:[0,0,1] op_sel_hi:[1,0,0]
	v_mov_b32_e32 v141, v137
	ds_load_2addr_b64 v[136:139], v130 offset0:36 offset1:37
	v_pk_add_f32 v[70:71], v[70:71], v[142:143] neg_lo:[0,1] neg_hi:[0,1]
	v_pk_add_f32 v[20:21], v[20:21], v[140:141] neg_lo:[0,1] neg_hi:[0,1]
	s_wait_dscnt 0x0
	v_dual_mul_f32 v140, v137, v129 :: v_dual_mul_f32 v142, v137, v126
	s_delay_alu instid0(VALU_DEP_1) | instskip(NEXT) | instid1(VALU_DEP_2)
	v_pk_fma_f32 v[140:141], v[136:137], v[24:25], v[140:141] op_sel_hi:[1,1,0] neg_lo:[0,0,1] neg_hi:[0,0,1]
	v_pk_fma_f32 v[136:137], v[136:137], v[24:25], v[142:143] op_sel:[1,0,0] op_sel_hi:[0,1,0]
	s_delay_alu instid0(VALU_DEP_1) | instskip(SKIP_1) | instid1(VALU_DEP_2)
	v_mov_b32_e32 v141, v137
	v_pk_mul_f32 v[136:137], v[138:139], v[128:129] op_sel:[0,1]
	v_pk_add_f32 v[66:67], v[66:67], v[140:141] neg_lo:[0,1] neg_hi:[0,1]
	s_delay_alu instid0(VALU_DEP_2) | instskip(SKIP_1) | instid1(VALU_DEP_1)
	v_pk_fma_f32 v[140:141], v[138:139], v[126:127], v[136:137] op_sel:[0,0,1] op_sel_hi:[1,1,0] neg_lo:[0,0,1] neg_hi:[0,0,1]
	v_pk_fma_f32 v[136:137], v[138:139], v[126:127], v[136:137] op_sel:[0,0,1] op_sel_hi:[1,0,0]
	v_mov_b32_e32 v141, v137
	ds_load_2addr_b64 v[136:139], v130 offset0:38 offset1:39
	v_pk_add_f32 v[62:63], v[62:63], v[140:141] neg_lo:[0,1] neg_hi:[0,1]
	s_wait_dscnt 0x0
	v_pk_mul_f32 v[140:141], v[136:137], v[128:129] op_sel:[0,1]
	s_delay_alu instid0(VALU_DEP_1) | instskip(SKIP_1) | instid1(VALU_DEP_1)
	v_pk_fma_f32 v[142:143], v[136:137], v[126:127], v[140:141] op_sel:[0,0,1] op_sel_hi:[1,1,0] neg_lo:[0,0,1] neg_hi:[0,0,1]
	v_pk_fma_f32 v[136:137], v[136:137], v[126:127], v[140:141] op_sel:[0,0,1] op_sel_hi:[1,0,0]
	v_mov_b32_e32 v143, v137
	v_pk_mul_f32 v[136:137], v[138:139], v[128:129] op_sel:[0,1]
	s_delay_alu instid0(VALU_DEP_2) | instskip(NEXT) | instid1(VALU_DEP_2)
	v_pk_add_f32 v[64:65], v[64:65], v[142:143] neg_lo:[0,1] neg_hi:[0,1]
	v_pk_fma_f32 v[140:141], v[138:139], v[126:127], v[136:137] op_sel:[0,0,1] op_sel_hi:[1,1,0] neg_lo:[0,0,1] neg_hi:[0,0,1]
	v_pk_fma_f32 v[136:137], v[138:139], v[126:127], v[136:137] op_sel:[0,0,1] op_sel_hi:[1,0,0]
	s_delay_alu instid0(VALU_DEP_1) | instskip(SKIP_4) | instid1(VALU_DEP_1)
	v_mov_b32_e32 v141, v137
	ds_load_2addr_b64 v[136:139], v130 offset0:40 offset1:41
	v_pk_add_f32 v[18:19], v[18:19], v[140:141] neg_lo:[0,1] neg_hi:[0,1]
	s_wait_dscnt 0x0
	v_pk_mul_f32 v[140:141], v[136:137], v[128:129] op_sel:[0,1]
	v_pk_fma_f32 v[142:143], v[136:137], v[126:127], v[140:141] op_sel:[0,0,1] op_sel_hi:[1,1,0] neg_lo:[0,0,1] neg_hi:[0,0,1]
	v_pk_fma_f32 v[136:137], v[136:137], v[126:127], v[140:141] op_sel:[0,0,1] op_sel_hi:[1,0,0]
	v_dual_mul_f32 v140, v139, v129 :: v_dual_mov_b32 v136, v139
	s_delay_alu instid0(VALU_DEP_2) | instskip(NEXT) | instid1(VALU_DEP_2)
	v_dual_mov_b32 v143, v137 :: v_dual_mov_b32 v137, v138
	v_pk_fma_f32 v[140:141], v[138:139], v[24:25], v[140:141] op_sel_hi:[1,1,0] neg_lo:[0,0,1] neg_hi:[0,0,1]
	v_mul_f32_e32 v138, v139, v126
	s_delay_alu instid0(VALU_DEP_3) | instskip(NEXT) | instid1(VALU_DEP_2)
	v_pk_add_f32 v[60:61], v[60:61], v[142:143] neg_lo:[0,1] neg_hi:[0,1]
	v_pk_fma_f32 v[136:137], v[136:137], v[24:25], v[138:139] op_sel_hi:[1,1,0]
	s_delay_alu instid0(VALU_DEP_1) | instskip(SKIP_4) | instid1(VALU_DEP_1)
	v_mov_b32_e32 v141, v137
	ds_load_2addr_b64 v[136:139], v130 offset0:42 offset1:43
	v_pk_add_f32 v[56:57], v[56:57], v[140:141] neg_lo:[0,1] neg_hi:[0,1]
	s_wait_dscnt 0x0
	v_pk_mul_f32 v[140:141], v[136:137], v[128:129] op_sel:[0,1]
	v_pk_fma_f32 v[142:143], v[136:137], v[126:127], v[140:141] op_sel:[0,0,1] op_sel_hi:[1,1,0] neg_lo:[0,0,1] neg_hi:[0,0,1]
	v_pk_fma_f32 v[136:137], v[136:137], v[126:127], v[140:141] op_sel:[0,0,1] op_sel_hi:[1,0,0]
	s_delay_alu instid0(VALU_DEP_1) | instskip(SKIP_1) | instid1(VALU_DEP_1)
	v_mov_b32_e32 v143, v137
	v_pk_mul_f32 v[136:137], v[138:139], v[128:129] op_sel:[0,1]
	v_pk_fma_f32 v[140:141], v[138:139], v[126:127], v[136:137] op_sel:[0,0,1] op_sel_hi:[1,1,0] neg_lo:[0,0,1] neg_hi:[0,0,1]
	v_pk_fma_f32 v[136:137], v[138:139], v[126:127], v[136:137] op_sel:[0,0,1] op_sel_hi:[1,0,0]
	s_delay_alu instid0(VALU_DEP_1)
	v_mov_b32_e32 v141, v137
	ds_load_2addr_b64 v[136:139], v130 offset0:44 offset1:45
	v_pk_add_f32 v[58:59], v[58:59], v[142:143] neg_lo:[0,1] neg_hi:[0,1]
	v_pk_add_f32 v[12:13], v[12:13], v[140:141] neg_lo:[0,1] neg_hi:[0,1]
	s_wait_dscnt 0x0
	v_pk_mul_f32 v[140:141], v[136:137], v[128:129] op_sel:[0,1]
	s_delay_alu instid0(VALU_DEP_1) | instskip(SKIP_1) | instid1(VALU_DEP_1)
	v_pk_fma_f32 v[142:143], v[136:137], v[126:127], v[140:141] op_sel:[0,0,1] op_sel_hi:[1,1,0] neg_lo:[0,0,1] neg_hi:[0,0,1]
	v_pk_fma_f32 v[136:137], v[136:137], v[126:127], v[140:141] op_sel:[0,0,1] op_sel_hi:[1,0,0]
	v_mov_b32_e32 v143, v137
	v_pk_mul_f32 v[136:137], v[138:139], v[128:129] op_sel:[0,1]
	s_delay_alu instid0(VALU_DEP_1) | instskip(SKIP_1) | instid1(VALU_DEP_1)
	v_pk_fma_f32 v[140:141], v[138:139], v[126:127], v[136:137] op_sel:[0,0,1] op_sel_hi:[1,1,0] neg_lo:[0,0,1] neg_hi:[0,0,1]
	v_pk_fma_f32 v[136:137], v[138:139], v[126:127], v[136:137] op_sel:[0,0,1] op_sel_hi:[1,0,0]
	v_mov_b32_e32 v141, v137
	ds_load_2addr_b64 v[136:139], v130 offset0:46 offset1:47
	v_pk_add_f32 v[54:55], v[54:55], v[142:143] neg_lo:[0,1] neg_hi:[0,1]
	v_pk_add_f32 v[50:51], v[50:51], v[140:141] neg_lo:[0,1] neg_hi:[0,1]
	s_wait_dscnt 0x0
	v_dual_mul_f32 v140, v137, v129 :: v_dual_mul_f32 v142, v137, v126
	s_delay_alu instid0(VALU_DEP_1) | instskip(NEXT) | instid1(VALU_DEP_2)
	v_pk_fma_f32 v[140:141], v[136:137], v[24:25], v[140:141] op_sel_hi:[1,1,0] neg_lo:[0,0,1] neg_hi:[0,0,1]
	v_pk_fma_f32 v[136:137], v[136:137], v[24:25], v[142:143] op_sel:[1,0,0] op_sel_hi:[0,1,0]
	s_delay_alu instid0(VALU_DEP_1) | instskip(SKIP_1) | instid1(VALU_DEP_2)
	v_mov_b32_e32 v141, v137
	v_pk_mul_f32 v[136:137], v[138:139], v[128:129] op_sel:[0,1]
	v_pk_add_f32 v[52:53], v[52:53], v[140:141] neg_lo:[0,1] neg_hi:[0,1]
	s_delay_alu instid0(VALU_DEP_2) | instskip(SKIP_1) | instid1(VALU_DEP_1)
	v_pk_fma_f32 v[140:141], v[138:139], v[126:127], v[136:137] op_sel:[0,0,1] op_sel_hi:[1,1,0] neg_lo:[0,0,1] neg_hi:[0,0,1]
	v_pk_fma_f32 v[136:137], v[138:139], v[126:127], v[136:137] op_sel:[0,0,1] op_sel_hi:[1,0,0]
	v_mov_b32_e32 v141, v137
	ds_load_2addr_b64 v[136:139], v130 offset0:48 offset1:49
	v_pk_add_f32 v[10:11], v[10:11], v[140:141] neg_lo:[0,1] neg_hi:[0,1]
	s_wait_dscnt 0x0
	v_pk_mul_f32 v[140:141], v[136:137], v[128:129] op_sel:[0,1]
	s_delay_alu instid0(VALU_DEP_1) | instskip(SKIP_1) | instid1(VALU_DEP_1)
	v_pk_fma_f32 v[142:143], v[136:137], v[126:127], v[140:141] op_sel:[0,0,1] op_sel_hi:[1,1,0] neg_lo:[0,0,1] neg_hi:[0,0,1]
	v_pk_fma_f32 v[136:137], v[136:137], v[126:127], v[140:141] op_sel:[0,0,1] op_sel_hi:[1,0,0]
	v_mov_b32_e32 v143, v137
	v_pk_mul_f32 v[136:137], v[138:139], v[128:129] op_sel:[0,1]
	s_delay_alu instid0(VALU_DEP_2) | instskip(NEXT) | instid1(VALU_DEP_2)
	v_pk_add_f32 v[46:47], v[46:47], v[142:143] neg_lo:[0,1] neg_hi:[0,1]
	v_pk_fma_f32 v[140:141], v[138:139], v[126:127], v[136:137] op_sel:[0,0,1] op_sel_hi:[1,1,0] neg_lo:[0,0,1] neg_hi:[0,0,1]
	v_pk_fma_f32 v[136:137], v[138:139], v[126:127], v[136:137] op_sel:[0,0,1] op_sel_hi:[1,0,0]
	s_delay_alu instid0(VALU_DEP_1) | instskip(SKIP_4) | instid1(VALU_DEP_1)
	v_mov_b32_e32 v141, v137
	ds_load_2addr_b64 v[136:139], v130 offset0:50 offset1:51
	v_pk_add_f32 v[44:45], v[44:45], v[140:141] neg_lo:[0,1] neg_hi:[0,1]
	s_wait_dscnt 0x0
	v_pk_mul_f32 v[140:141], v[136:137], v[128:129] op_sel:[0,1]
	v_pk_fma_f32 v[142:143], v[136:137], v[126:127], v[140:141] op_sel:[0,0,1] op_sel_hi:[1,1,0] neg_lo:[0,0,1] neg_hi:[0,0,1]
	v_pk_fma_f32 v[136:137], v[136:137], v[126:127], v[140:141] op_sel:[0,0,1] op_sel_hi:[1,0,0]
	v_dual_mul_f32 v140, v139, v129 :: v_dual_mov_b32 v136, v139
	s_delay_alu instid0(VALU_DEP_2) | instskip(NEXT) | instid1(VALU_DEP_2)
	v_dual_mov_b32 v143, v137 :: v_dual_mov_b32 v137, v138
	v_pk_fma_f32 v[140:141], v[138:139], v[24:25], v[140:141] op_sel_hi:[1,1,0] neg_lo:[0,0,1] neg_hi:[0,0,1]
	v_mul_f32_e32 v138, v139, v126
	s_delay_alu instid0(VALU_DEP_3) | instskip(NEXT) | instid1(VALU_DEP_2)
	v_pk_add_f32 v[48:49], v[48:49], v[142:143] neg_lo:[0,1] neg_hi:[0,1]
	v_pk_fma_f32 v[136:137], v[136:137], v[24:25], v[138:139] op_sel_hi:[1,1,0]
	s_delay_alu instid0(VALU_DEP_1) | instskip(SKIP_4) | instid1(VALU_DEP_1)
	v_mov_b32_e32 v141, v137
	ds_load_2addr_b64 v[136:139], v130 offset0:52 offset1:53
	v_pk_add_f32 v[8:9], v[8:9], v[140:141] neg_lo:[0,1] neg_hi:[0,1]
	s_wait_dscnt 0x0
	v_pk_mul_f32 v[140:141], v[136:137], v[128:129] op_sel:[0,1]
	v_pk_fma_f32 v[142:143], v[136:137], v[126:127], v[140:141] op_sel:[0,0,1] op_sel_hi:[1,1,0] neg_lo:[0,0,1] neg_hi:[0,0,1]
	v_pk_fma_f32 v[136:137], v[136:137], v[126:127], v[140:141] op_sel:[0,0,1] op_sel_hi:[1,0,0]
	s_delay_alu instid0(VALU_DEP_1) | instskip(SKIP_1) | instid1(VALU_DEP_1)
	v_mov_b32_e32 v143, v137
	v_pk_mul_f32 v[136:137], v[138:139], v[128:129] op_sel:[0,1]
	v_pk_fma_f32 v[140:141], v[138:139], v[126:127], v[136:137] op_sel:[0,0,1] op_sel_hi:[1,1,0] neg_lo:[0,0,1] neg_hi:[0,0,1]
	v_pk_fma_f32 v[136:137], v[138:139], v[126:127], v[136:137] op_sel:[0,0,1] op_sel_hi:[1,0,0]
	s_delay_alu instid0(VALU_DEP_1)
	v_mov_b32_e32 v141, v137
	ds_load_2addr_b64 v[136:139], v130 offset0:54 offset1:55
	v_pk_add_f32 v[34:35], v[34:35], v[142:143] neg_lo:[0,1] neg_hi:[0,1]
	v_pk_add_f32 v[28:29], v[28:29], v[140:141] neg_lo:[0,1] neg_hi:[0,1]
	s_wait_dscnt 0x0
	v_pk_mul_f32 v[140:141], v[136:137], v[128:129] op_sel:[0,1]
	s_delay_alu instid0(VALU_DEP_1) | instskip(SKIP_1) | instid1(VALU_DEP_1)
	v_pk_fma_f32 v[142:143], v[136:137], v[126:127], v[140:141] op_sel:[0,0,1] op_sel_hi:[1,1,0] neg_lo:[0,0,1] neg_hi:[0,0,1]
	v_pk_fma_f32 v[136:137], v[136:137], v[126:127], v[140:141] op_sel:[0,0,1] op_sel_hi:[1,0,0]
	v_mov_b32_e32 v143, v137
	v_pk_mul_f32 v[136:137], v[138:139], v[128:129] op_sel:[0,1]
	s_delay_alu instid0(VALU_DEP_1) | instskip(SKIP_1) | instid1(VALU_DEP_1)
	v_pk_fma_f32 v[140:141], v[138:139], v[126:127], v[136:137] op_sel:[0,0,1] op_sel_hi:[1,1,0] neg_lo:[0,0,1] neg_hi:[0,0,1]
	v_pk_fma_f32 v[136:137], v[138:139], v[126:127], v[136:137] op_sel:[0,0,1] op_sel_hi:[1,0,0]
	v_mov_b32_e32 v141, v137
	ds_load_2addr_b64 v[136:139], v130 offset0:56 offset1:57
	v_pk_add_f32 v[32:33], v[32:33], v[142:143] neg_lo:[0,1] neg_hi:[0,1]
	v_pk_add_f32 v[6:7], v[6:7], v[140:141] neg_lo:[0,1] neg_hi:[0,1]
	s_wait_dscnt 0x0
	v_dual_mul_f32 v140, v137, v129 :: v_dual_mul_f32 v142, v137, v126
	s_delay_alu instid0(VALU_DEP_1) | instskip(NEXT) | instid1(VALU_DEP_2)
	v_pk_fma_f32 v[140:141], v[136:137], v[24:25], v[140:141] op_sel_hi:[1,1,0] neg_lo:[0,0,1] neg_hi:[0,0,1]
	v_pk_fma_f32 v[136:137], v[136:137], v[24:25], v[142:143] op_sel:[1,0,0] op_sel_hi:[0,1,0]
	s_delay_alu instid0(VALU_DEP_1) | instskip(SKIP_1) | instid1(VALU_DEP_2)
	v_mov_b32_e32 v141, v137
	v_pk_mul_f32 v[136:137], v[138:139], v[128:129] op_sel:[0,1]
	v_pk_add_f32 v[26:27], v[26:27], v[140:141] neg_lo:[0,1] neg_hi:[0,1]
	s_delay_alu instid0(VALU_DEP_2) | instskip(SKIP_1) | instid1(VALU_DEP_1)
	v_pk_fma_f32 v[140:141], v[138:139], v[126:127], v[136:137] op_sel:[0,0,1] op_sel_hi:[1,1,0] neg_lo:[0,0,1] neg_hi:[0,0,1]
	v_pk_fma_f32 v[136:137], v[138:139], v[126:127], v[136:137] op_sel:[0,0,1] op_sel_hi:[1,0,0]
	v_mov_b32_e32 v141, v137
	ds_load_2addr_b64 v[136:139], v130 offset0:58 offset1:59
	v_pk_add_f32 v[16:17], v[16:17], v[140:141] neg_lo:[0,1] neg_hi:[0,1]
	s_wait_dscnt 0x0
	v_pk_mul_f32 v[140:141], v[136:137], v[128:129] op_sel:[0,1]
	v_pk_mul_f32 v[128:129], v[138:139], v[128:129] op_sel:[0,1]
	s_delay_alu instid0(VALU_DEP_2) | instskip(SKIP_1) | instid1(VALU_DEP_1)
	v_pk_fma_f32 v[142:143], v[136:137], v[126:127], v[140:141] op_sel:[0,0,1] op_sel_hi:[1,1,0] neg_lo:[0,0,1] neg_hi:[0,0,1]
	v_pk_fma_f32 v[136:137], v[136:137], v[126:127], v[140:141] op_sel:[0,0,1] op_sel_hi:[1,0,0]
	v_mov_b32_e32 v143, v137
	s_delay_alu instid0(VALU_DEP_4) | instskip(SKIP_1) | instid1(VALU_DEP_3)
	v_pk_fma_f32 v[136:137], v[138:139], v[126:127], v[128:129] op_sel:[0,0,1] op_sel_hi:[1,1,0] neg_lo:[0,0,1] neg_hi:[0,0,1]
	v_pk_fma_f32 v[126:127], v[138:139], v[126:127], v[128:129] op_sel:[0,0,1] op_sel_hi:[1,0,0]
	v_pk_add_f32 v[14:15], v[14:15], v[142:143] neg_lo:[0,1] neg_hi:[0,1]
	s_delay_alu instid0(VALU_DEP_2) | instskip(NEXT) | instid1(VALU_DEP_1)
	v_mov_b32_e32 v137, v127
	v_pk_add_f32 v[124:125], v[124:125], v[136:137] neg_lo:[0,1] neg_hi:[0,1]
.LBB118_587:
	s_or_b32 exec_lo, exec_lo, s0
	v_lshl_add_u32 v126, v134, 3, v130
	s_barrier_signal -1
	s_barrier_wait -1
	ds_store_b64 v126, v[78:79]
	s_wait_dscnt 0x0
	s_barrier_signal -1
	s_barrier_wait -1
	ds_load_b64 v[128:129], v130 offset:224
	v_mov_b32_e32 v126, 28
	s_cmp_lt_i32 s18, 30
	s_cbranch_scc1 .LBB118_590
; %bb.588:
	v_add3_u32 v127, v131, 0, 0xe8
	v_mov_b32_e32 v126, 28
	s_mov_b32 s0, 29
.LBB118_589:                            ; =>This Inner Loop Header: Depth=1
	ds_load_b64 v[136:137], v127
	s_wait_dscnt 0x1
	v_cmp_gt_f32_e32 vcc_lo, 0, v128
	v_cndmask_b32_e64 v138, v128, -v128, vcc_lo
	v_cmp_gt_f32_e32 vcc_lo, 0, v129
	v_cndmask_b32_e64 v140, v129, -v129, vcc_lo
	s_wait_dscnt 0x0
	v_cmp_gt_f32_e32 vcc_lo, 0, v136
	v_cndmask_b32_e64 v139, v136, -v136, vcc_lo
	v_cmp_gt_f32_e32 vcc_lo, 0, v137
	v_cndmask_b32_e64 v141, v137, -v137, vcc_lo
	s_delay_alu instid0(VALU_DEP_1) | instskip(NEXT) | instid1(VALU_DEP_1)
	v_pk_add_f32 v[138:139], v[138:139], v[140:141]
	v_cmp_lt_f32_e32 vcc_lo, v138, v139
	v_dual_add_nc_u32 v127, 8, v127 :: v_dual_cndmask_b32 v129, v129, v137, vcc_lo
	v_cndmask_b32_e32 v128, v128, v136, vcc_lo
	v_cndmask_b32_e64 v126, v126, s0, vcc_lo
	s_add_co_i32 s0, s0, 1
	s_delay_alu instid0(SALU_CYCLE_1)
	s_cmp_lg_u32 s18, s0
	s_cbranch_scc1 .LBB118_589
.LBB118_590:
	s_wait_dscnt 0x0
	v_cmp_eq_f32_e32 vcc_lo, 0, v128
	v_cmp_eq_f32_e64 s0, 0, v129
	s_and_b32 s0, vcc_lo, s0
	s_delay_alu instid0(SALU_CYCLE_1) | instskip(NEXT) | instid1(SALU_CYCLE_1)
	s_and_saveexec_b32 s1, s0
	s_xor_b32 s0, exec_lo, s1
; %bb.591:
	v_cmp_ne_u32_e32 vcc_lo, 0, v132
	v_cndmask_b32_e32 v132, 29, v132, vcc_lo
; %bb.592:
	s_and_not1_saveexec_b32 s0, s0
	s_cbranch_execz .LBB118_598
; %bb.593:
	v_cmp_ngt_f32_e64 s1, |v128|, |v129|
	s_and_saveexec_b32 s12, s1
	s_delay_alu instid0(SALU_CYCLE_1)
	s_xor_b32 s1, exec_lo, s12
	s_cbranch_execz .LBB118_595
; %bb.594:
	v_div_scale_f32 v127, null, v129, v129, v128
	v_div_scale_f32 v137, vcc_lo, v128, v129, v128
	s_delay_alu instid0(VALU_DEP_2) | instskip(SKIP_1) | instid1(TRANS32_DEP_1)
	v_rcp_f32_e32 v135, v127
	v_nop
	v_fma_f32 v136, -v127, v135, 1.0
	s_delay_alu instid0(VALU_DEP_1) | instskip(NEXT) | instid1(VALU_DEP_1)
	v_fmac_f32_e32 v135, v136, v135
	v_mul_f32_e32 v136, v137, v135
	s_delay_alu instid0(VALU_DEP_1) | instskip(NEXT) | instid1(VALU_DEP_1)
	v_fma_f32 v138, -v127, v136, v137
	v_fmac_f32_e32 v136, v138, v135
	s_delay_alu instid0(VALU_DEP_1) | instskip(NEXT) | instid1(VALU_DEP_1)
	v_fma_f32 v127, -v127, v136, v137
	v_div_fmas_f32 v127, v127, v135, v136
	s_delay_alu instid0(VALU_DEP_1) | instskip(NEXT) | instid1(VALU_DEP_1)
	v_div_fixup_f32 v127, v127, v129, v128
	v_fmac_f32_e32 v129, v128, v127
	s_delay_alu instid0(VALU_DEP_1) | instskip(SKIP_1) | instid1(VALU_DEP_2)
	v_div_scale_f32 v128, null, v129, v129, 1.0
	v_div_scale_f32 v137, vcc_lo, 1.0, v129, 1.0
	v_rcp_f32_e32 v135, v128
	v_nop
	s_delay_alu instid0(TRANS32_DEP_1) | instskip(NEXT) | instid1(VALU_DEP_1)
	v_fma_f32 v136, -v128, v135, 1.0
	v_fmac_f32_e32 v135, v136, v135
	s_delay_alu instid0(VALU_DEP_1) | instskip(NEXT) | instid1(VALU_DEP_1)
	v_mul_f32_e32 v136, v137, v135
	v_fma_f32 v138, -v128, v136, v137
	s_delay_alu instid0(VALU_DEP_1) | instskip(NEXT) | instid1(VALU_DEP_1)
	v_fmac_f32_e32 v136, v138, v135
	v_fma_f32 v128, -v128, v136, v137
	s_delay_alu instid0(VALU_DEP_1) | instskip(NEXT) | instid1(VALU_DEP_1)
	v_div_fmas_f32 v128, v128, v135, v136
	v_div_fixup_f32 v129, v128, v129, 1.0
	s_delay_alu instid0(VALU_DEP_1)
	v_mul_f32_e32 v128, v127, v129
	v_xor_b32_e32 v129, 0x80000000, v129
.LBB118_595:
	s_and_not1_saveexec_b32 s1, s1
	s_cbranch_execz .LBB118_597
; %bb.596:
	s_delay_alu instid0(VALU_DEP_1) | instskip(SKIP_1) | instid1(VALU_DEP_2)
	v_div_scale_f32 v127, null, v128, v128, v129
	v_div_scale_f32 v137, vcc_lo, v129, v128, v129
	v_rcp_f32_e32 v135, v127
	v_nop
	s_delay_alu instid0(TRANS32_DEP_1) | instskip(NEXT) | instid1(VALU_DEP_1)
	v_fma_f32 v136, -v127, v135, 1.0
	v_fmac_f32_e32 v135, v136, v135
	s_delay_alu instid0(VALU_DEP_1) | instskip(NEXT) | instid1(VALU_DEP_1)
	v_mul_f32_e32 v136, v137, v135
	v_fma_f32 v138, -v127, v136, v137
	s_delay_alu instid0(VALU_DEP_1) | instskip(NEXT) | instid1(VALU_DEP_1)
	v_fmac_f32_e32 v136, v138, v135
	v_fma_f32 v127, -v127, v136, v137
	s_delay_alu instid0(VALU_DEP_1) | instskip(NEXT) | instid1(VALU_DEP_1)
	v_div_fmas_f32 v127, v127, v135, v136
	v_div_fixup_f32 v127, v127, v128, v129
	s_delay_alu instid0(VALU_DEP_1) | instskip(NEXT) | instid1(VALU_DEP_1)
	v_fmac_f32_e32 v128, v129, v127
	v_div_scale_f32 v129, null, v128, v128, 1.0
	s_delay_alu instid0(VALU_DEP_1) | instskip(SKIP_1) | instid1(TRANS32_DEP_1)
	v_rcp_f32_e32 v135, v129
	v_nop
	v_fma_f32 v136, -v129, v135, 1.0
	s_delay_alu instid0(VALU_DEP_1) | instskip(SKIP_1) | instid1(VALU_DEP_1)
	v_fmac_f32_e32 v135, v136, v135
	v_div_scale_f32 v136, vcc_lo, 1.0, v128, 1.0
	v_mul_f32_e32 v137, v136, v135
	s_delay_alu instid0(VALU_DEP_1) | instskip(NEXT) | instid1(VALU_DEP_1)
	v_fma_f32 v138, -v129, v137, v136
	v_fmac_f32_e32 v137, v138, v135
	s_delay_alu instid0(VALU_DEP_1) | instskip(NEXT) | instid1(VALU_DEP_1)
	v_fma_f32 v129, -v129, v137, v136
	v_div_fmas_f32 v129, v129, v135, v137
	s_delay_alu instid0(VALU_DEP_1) | instskip(NEXT) | instid1(VALU_DEP_1)
	v_div_fixup_f32 v128, v129, v128, 1.0
	v_mul_f32_e64 v129, v127, -v128
.LBB118_597:
	s_or_b32 exec_lo, exec_lo, s1
.LBB118_598:
	s_delay_alu instid0(SALU_CYCLE_1) | instskip(NEXT) | instid1(SALU_CYCLE_1)
	s_or_b32 exec_lo, exec_lo, s0
	s_mov_b32 s0, exec_lo
	v_cmpx_ne_u32_e64 v134, v126
	s_xor_b32 s0, exec_lo, s0
	s_cbranch_execz .LBB118_604
; %bb.599:
	s_mov_b32 s1, exec_lo
	v_cmpx_eq_u32_e32 28, v134
	s_cbranch_execz .LBB118_603
; %bb.600:
	v_cmp_ne_u32_e32 vcc_lo, 28, v126
	s_xor_b32 s12, s16, -1
	s_delay_alu instid0(SALU_CYCLE_1) | instskip(NEXT) | instid1(SALU_CYCLE_1)
	s_and_b32 s13, s12, vcc_lo
	s_and_saveexec_b32 s12, s13
	s_cbranch_execz .LBB118_602
; %bb.601:
	v_ashrrev_i32_e32 v127, 31, v126
	s_delay_alu instid0(VALU_DEP_1)
	v_lshl_add_u64 v[134:135], v[126:127], 2, v[4:5]
	s_clause 0x1
	global_load_b32 v127, v[134:135], off
	global_load_b32 v133, v[4:5], off offset:112
	s_wait_loadcnt 0x1
	global_store_b32 v[4:5], v127, off offset:112
	s_wait_loadcnt 0x0
	global_store_b32 v[134:135], v133, off
.LBB118_602:
	s_wait_xcnt 0x0
	s_or_b32 exec_lo, exec_lo, s12
	v_dual_mov_b32 v134, v126 :: v_dual_mov_b32 v133, v126
.LBB118_603:
	s_or_b32 exec_lo, exec_lo, s1
.LBB118_604:
	s_and_not1_saveexec_b32 s0, s0
	s_cbranch_execz .LBB118_606
; %bb.605:
	v_mov_b32_e32 v134, 28
	ds_store_2addr_b64 v130, v[74:75], v[76:77] offset0:29 offset1:30
	ds_store_2addr_b64 v130, v[22:23], v[72:73] offset0:31 offset1:32
	ds_store_2addr_b64 v130, v[68:69], v[70:71] offset0:33 offset1:34
	ds_store_2addr_b64 v130, v[20:21], v[66:67] offset0:35 offset1:36
	ds_store_2addr_b64 v130, v[62:63], v[64:65] offset0:37 offset1:38
	ds_store_2addr_b64 v130, v[18:19], v[60:61] offset0:39 offset1:40
	ds_store_2addr_b64 v130, v[56:57], v[58:59] offset0:41 offset1:42
	ds_store_2addr_b64 v130, v[12:13], v[54:55] offset0:43 offset1:44
	ds_store_2addr_b64 v130, v[50:51], v[52:53] offset0:45 offset1:46
	ds_store_2addr_b64 v130, v[10:11], v[46:47] offset0:47 offset1:48
	ds_store_2addr_b64 v130, v[44:45], v[48:49] offset0:49 offset1:50
	ds_store_2addr_b64 v130, v[8:9], v[34:35] offset0:51 offset1:52
	ds_store_2addr_b64 v130, v[28:29], v[32:33] offset0:53 offset1:54
	ds_store_2addr_b64 v130, v[6:7], v[26:27] offset0:55 offset1:56
	ds_store_2addr_b64 v130, v[16:17], v[14:15] offset0:57 offset1:58
	ds_store_b64 v130, v[124:125] offset:472
.LBB118_606:
	s_or_b32 exec_lo, exec_lo, s0
	s_delay_alu instid0(SALU_CYCLE_1)
	s_mov_b32 s0, exec_lo
	s_wait_storecnt_dscnt 0x0
	s_barrier_signal -1
	s_barrier_wait -1
	v_cmpx_lt_i32_e32 28, v134
	s_cbranch_execz .LBB118_608
; %bb.607:
	v_pk_mul_f32 v[136:137], v[128:129], v[78:79] op_sel:[1,1] op_sel_hi:[0,1]
	s_delay_alu instid0(VALU_DEP_1)
	v_pk_fma_f32 v[126:127], v[128:129], v[78:79], v[136:137] op_sel_hi:[1,0,1] neg_lo:[0,0,1] neg_hi:[0,0,1]
	v_pk_fma_f32 v[128:129], v[128:129], v[78:79], v[136:137] op_sel_hi:[1,0,1]
	ds_load_2addr_b64 v[136:139], v130 offset0:29 offset1:30
	v_dual_mov_b32 v78, v126 :: v_dual_mov_b32 v79, v129
	s_wait_dscnt 0x0
	v_pk_mul_f32 v[140:141], v[136:137], v[128:129] op_sel:[0,1]
	s_delay_alu instid0(VALU_DEP_1) | instskip(SKIP_1) | instid1(VALU_DEP_1)
	v_pk_fma_f32 v[142:143], v[136:137], v[126:127], v[140:141] op_sel:[0,0,1] op_sel_hi:[1,1,0] neg_lo:[0,0,1] neg_hi:[0,0,1]
	v_pk_fma_f32 v[136:137], v[136:137], v[126:127], v[140:141] op_sel:[0,0,1] op_sel_hi:[1,0,0]
	v_mov_b32_e32 v143, v137
	v_pk_mul_f32 v[136:137], v[138:139], v[128:129] op_sel:[0,1]
	s_delay_alu instid0(VALU_DEP_1) | instskip(SKIP_1) | instid1(VALU_DEP_1)
	v_pk_fma_f32 v[140:141], v[138:139], v[126:127], v[136:137] op_sel:[0,0,1] op_sel_hi:[1,1,0] neg_lo:[0,0,1] neg_hi:[0,0,1]
	v_pk_fma_f32 v[136:137], v[138:139], v[126:127], v[136:137] op_sel:[0,0,1] op_sel_hi:[1,0,0]
	v_mov_b32_e32 v141, v137
	ds_load_2addr_b64 v[136:139], v130 offset0:31 offset1:32
	v_pk_add_f32 v[74:75], v[74:75], v[142:143] neg_lo:[0,1] neg_hi:[0,1]
	v_pk_add_f32 v[76:77], v[76:77], v[140:141] neg_lo:[0,1] neg_hi:[0,1]
	s_wait_dscnt 0x0
	v_pk_mul_f32 v[140:141], v[136:137], v[128:129] op_sel:[0,1]
	s_delay_alu instid0(VALU_DEP_1) | instskip(SKIP_2) | instid1(VALU_DEP_2)
	v_pk_fma_f32 v[142:143], v[136:137], v[126:127], v[140:141] op_sel:[0,0,1] op_sel_hi:[1,1,0] neg_lo:[0,0,1] neg_hi:[0,0,1]
	v_pk_fma_f32 v[136:137], v[136:137], v[126:127], v[140:141] op_sel:[0,0,1] op_sel_hi:[1,0,0]
	v_dual_mul_f32 v140, v139, v129 :: v_dual_mov_b32 v136, v139
	v_dual_mov_b32 v143, v137 :: v_dual_mov_b32 v137, v138
	s_delay_alu instid0(VALU_DEP_2) | instskip(SKIP_1) | instid1(VALU_DEP_3)
	v_pk_fma_f32 v[140:141], v[138:139], v[78:79], v[140:141] op_sel_hi:[1,1,0] neg_lo:[0,0,1] neg_hi:[0,0,1]
	v_mul_f32_e32 v138, v139, v126
	v_pk_add_f32 v[22:23], v[22:23], v[142:143] neg_lo:[0,1] neg_hi:[0,1]
	s_delay_alu instid0(VALU_DEP_2) | instskip(NEXT) | instid1(VALU_DEP_1)
	v_pk_fma_f32 v[136:137], v[136:137], v[78:79], v[138:139] op_sel_hi:[1,1,0]
	v_mov_b32_e32 v141, v137
	ds_load_2addr_b64 v[136:139], v130 offset0:33 offset1:34
	v_pk_add_f32 v[72:73], v[72:73], v[140:141] neg_lo:[0,1] neg_hi:[0,1]
	s_wait_dscnt 0x0
	v_pk_mul_f32 v[140:141], v[136:137], v[128:129] op_sel:[0,1]
	s_delay_alu instid0(VALU_DEP_1) | instskip(SKIP_1) | instid1(VALU_DEP_1)
	v_pk_fma_f32 v[142:143], v[136:137], v[126:127], v[140:141] op_sel:[0,0,1] op_sel_hi:[1,1,0] neg_lo:[0,0,1] neg_hi:[0,0,1]
	v_pk_fma_f32 v[136:137], v[136:137], v[126:127], v[140:141] op_sel:[0,0,1] op_sel_hi:[1,0,0]
	v_mov_b32_e32 v143, v137
	v_pk_mul_f32 v[136:137], v[138:139], v[128:129] op_sel:[0,1]
	s_delay_alu instid0(VALU_DEP_1) | instskip(SKIP_1) | instid1(VALU_DEP_1)
	v_pk_fma_f32 v[140:141], v[138:139], v[126:127], v[136:137] op_sel:[0,0,1] op_sel_hi:[1,1,0] neg_lo:[0,0,1] neg_hi:[0,0,1]
	v_pk_fma_f32 v[136:137], v[138:139], v[126:127], v[136:137] op_sel:[0,0,1] op_sel_hi:[1,0,0]
	v_mov_b32_e32 v141, v137
	ds_load_2addr_b64 v[136:139], v130 offset0:35 offset1:36
	v_pk_add_f32 v[68:69], v[68:69], v[142:143] neg_lo:[0,1] neg_hi:[0,1]
	v_pk_add_f32 v[70:71], v[70:71], v[140:141] neg_lo:[0,1] neg_hi:[0,1]
	s_wait_dscnt 0x0
	v_pk_mul_f32 v[140:141], v[136:137], v[128:129] op_sel:[0,1]
	s_delay_alu instid0(VALU_DEP_1) | instskip(SKIP_1) | instid1(VALU_DEP_1)
	v_pk_fma_f32 v[142:143], v[136:137], v[126:127], v[140:141] op_sel:[0,0,1] op_sel_hi:[1,1,0] neg_lo:[0,0,1] neg_hi:[0,0,1]
	v_pk_fma_f32 v[136:137], v[136:137], v[126:127], v[140:141] op_sel:[0,0,1] op_sel_hi:[1,0,0]
	v_mov_b32_e32 v143, v137
	v_pk_mul_f32 v[136:137], v[138:139], v[128:129] op_sel:[0,1]
	s_delay_alu instid0(VALU_DEP_1) | instskip(SKIP_1) | instid1(VALU_DEP_1)
	v_pk_fma_f32 v[140:141], v[138:139], v[126:127], v[136:137] op_sel:[0,0,1] op_sel_hi:[1,1,0] neg_lo:[0,0,1] neg_hi:[0,0,1]
	v_pk_fma_f32 v[136:137], v[138:139], v[126:127], v[136:137] op_sel:[0,0,1] op_sel_hi:[1,0,0]
	v_mov_b32_e32 v141, v137
	ds_load_2addr_b64 v[136:139], v130 offset0:37 offset1:38
	v_pk_add_f32 v[20:21], v[20:21], v[142:143] neg_lo:[0,1] neg_hi:[0,1]
	v_pk_add_f32 v[66:67], v[66:67], v[140:141] neg_lo:[0,1] neg_hi:[0,1]
	s_wait_dscnt 0x0
	v_dual_mul_f32 v140, v137, v129 :: v_dual_mul_f32 v142, v137, v126
	s_delay_alu instid0(VALU_DEP_1) | instskip(NEXT) | instid1(VALU_DEP_2)
	v_pk_fma_f32 v[140:141], v[136:137], v[78:79], v[140:141] op_sel_hi:[1,1,0] neg_lo:[0,0,1] neg_hi:[0,0,1]
	v_pk_fma_f32 v[136:137], v[136:137], v[78:79], v[142:143] op_sel:[1,0,0] op_sel_hi:[0,1,0]
	s_delay_alu instid0(VALU_DEP_1) | instskip(SKIP_1) | instid1(VALU_DEP_2)
	v_mov_b32_e32 v141, v137
	v_pk_mul_f32 v[136:137], v[138:139], v[128:129] op_sel:[0,1]
	v_pk_add_f32 v[62:63], v[62:63], v[140:141] neg_lo:[0,1] neg_hi:[0,1]
	s_delay_alu instid0(VALU_DEP_2) | instskip(SKIP_1) | instid1(VALU_DEP_1)
	v_pk_fma_f32 v[140:141], v[138:139], v[126:127], v[136:137] op_sel:[0,0,1] op_sel_hi:[1,1,0] neg_lo:[0,0,1] neg_hi:[0,0,1]
	v_pk_fma_f32 v[136:137], v[138:139], v[126:127], v[136:137] op_sel:[0,0,1] op_sel_hi:[1,0,0]
	v_mov_b32_e32 v141, v137
	ds_load_2addr_b64 v[136:139], v130 offset0:39 offset1:40
	v_pk_add_f32 v[64:65], v[64:65], v[140:141] neg_lo:[0,1] neg_hi:[0,1]
	s_wait_dscnt 0x0
	v_pk_mul_f32 v[140:141], v[136:137], v[128:129] op_sel:[0,1]
	s_delay_alu instid0(VALU_DEP_1) | instskip(SKIP_1) | instid1(VALU_DEP_1)
	v_pk_fma_f32 v[142:143], v[136:137], v[126:127], v[140:141] op_sel:[0,0,1] op_sel_hi:[1,1,0] neg_lo:[0,0,1] neg_hi:[0,0,1]
	v_pk_fma_f32 v[136:137], v[136:137], v[126:127], v[140:141] op_sel:[0,0,1] op_sel_hi:[1,0,0]
	v_mov_b32_e32 v143, v137
	v_pk_mul_f32 v[136:137], v[138:139], v[128:129] op_sel:[0,1]
	s_delay_alu instid0(VALU_DEP_2) | instskip(NEXT) | instid1(VALU_DEP_2)
	v_pk_add_f32 v[18:19], v[18:19], v[142:143] neg_lo:[0,1] neg_hi:[0,1]
	v_pk_fma_f32 v[140:141], v[138:139], v[126:127], v[136:137] op_sel:[0,0,1] op_sel_hi:[1,1,0] neg_lo:[0,0,1] neg_hi:[0,0,1]
	v_pk_fma_f32 v[136:137], v[138:139], v[126:127], v[136:137] op_sel:[0,0,1] op_sel_hi:[1,0,0]
	s_delay_alu instid0(VALU_DEP_1) | instskip(SKIP_4) | instid1(VALU_DEP_1)
	v_mov_b32_e32 v141, v137
	ds_load_2addr_b64 v[136:139], v130 offset0:41 offset1:42
	v_pk_add_f32 v[60:61], v[60:61], v[140:141] neg_lo:[0,1] neg_hi:[0,1]
	s_wait_dscnt 0x0
	v_pk_mul_f32 v[140:141], v[136:137], v[128:129] op_sel:[0,1]
	v_pk_fma_f32 v[142:143], v[136:137], v[126:127], v[140:141] op_sel:[0,0,1] op_sel_hi:[1,1,0] neg_lo:[0,0,1] neg_hi:[0,0,1]
	v_pk_fma_f32 v[136:137], v[136:137], v[126:127], v[140:141] op_sel:[0,0,1] op_sel_hi:[1,0,0]
	v_dual_mul_f32 v140, v139, v129 :: v_dual_mov_b32 v136, v139
	s_delay_alu instid0(VALU_DEP_2) | instskip(NEXT) | instid1(VALU_DEP_2)
	v_dual_mov_b32 v143, v137 :: v_dual_mov_b32 v137, v138
	v_pk_fma_f32 v[140:141], v[138:139], v[78:79], v[140:141] op_sel_hi:[1,1,0] neg_lo:[0,0,1] neg_hi:[0,0,1]
	v_mul_f32_e32 v138, v139, v126
	s_delay_alu instid0(VALU_DEP_3) | instskip(NEXT) | instid1(VALU_DEP_2)
	v_pk_add_f32 v[56:57], v[56:57], v[142:143] neg_lo:[0,1] neg_hi:[0,1]
	v_pk_fma_f32 v[136:137], v[136:137], v[78:79], v[138:139] op_sel_hi:[1,1,0]
	s_delay_alu instid0(VALU_DEP_1) | instskip(SKIP_4) | instid1(VALU_DEP_1)
	v_mov_b32_e32 v141, v137
	ds_load_2addr_b64 v[136:139], v130 offset0:43 offset1:44
	v_pk_add_f32 v[58:59], v[58:59], v[140:141] neg_lo:[0,1] neg_hi:[0,1]
	s_wait_dscnt 0x0
	v_pk_mul_f32 v[140:141], v[136:137], v[128:129] op_sel:[0,1]
	v_pk_fma_f32 v[142:143], v[136:137], v[126:127], v[140:141] op_sel:[0,0,1] op_sel_hi:[1,1,0] neg_lo:[0,0,1] neg_hi:[0,0,1]
	v_pk_fma_f32 v[136:137], v[136:137], v[126:127], v[140:141] op_sel:[0,0,1] op_sel_hi:[1,0,0]
	s_delay_alu instid0(VALU_DEP_1) | instskip(SKIP_1) | instid1(VALU_DEP_1)
	v_mov_b32_e32 v143, v137
	v_pk_mul_f32 v[136:137], v[138:139], v[128:129] op_sel:[0,1]
	v_pk_fma_f32 v[140:141], v[138:139], v[126:127], v[136:137] op_sel:[0,0,1] op_sel_hi:[1,1,0] neg_lo:[0,0,1] neg_hi:[0,0,1]
	v_pk_fma_f32 v[136:137], v[138:139], v[126:127], v[136:137] op_sel:[0,0,1] op_sel_hi:[1,0,0]
	s_delay_alu instid0(VALU_DEP_1)
	v_mov_b32_e32 v141, v137
	ds_load_2addr_b64 v[136:139], v130 offset0:45 offset1:46
	v_pk_add_f32 v[12:13], v[12:13], v[142:143] neg_lo:[0,1] neg_hi:[0,1]
	v_pk_add_f32 v[54:55], v[54:55], v[140:141] neg_lo:[0,1] neg_hi:[0,1]
	s_wait_dscnt 0x0
	v_pk_mul_f32 v[140:141], v[136:137], v[128:129] op_sel:[0,1]
	s_delay_alu instid0(VALU_DEP_1) | instskip(SKIP_1) | instid1(VALU_DEP_1)
	v_pk_fma_f32 v[142:143], v[136:137], v[126:127], v[140:141] op_sel:[0,0,1] op_sel_hi:[1,1,0] neg_lo:[0,0,1] neg_hi:[0,0,1]
	v_pk_fma_f32 v[136:137], v[136:137], v[126:127], v[140:141] op_sel:[0,0,1] op_sel_hi:[1,0,0]
	v_mov_b32_e32 v143, v137
	v_pk_mul_f32 v[136:137], v[138:139], v[128:129] op_sel:[0,1]
	s_delay_alu instid0(VALU_DEP_1) | instskip(SKIP_1) | instid1(VALU_DEP_1)
	v_pk_fma_f32 v[140:141], v[138:139], v[126:127], v[136:137] op_sel:[0,0,1] op_sel_hi:[1,1,0] neg_lo:[0,0,1] neg_hi:[0,0,1]
	v_pk_fma_f32 v[136:137], v[138:139], v[126:127], v[136:137] op_sel:[0,0,1] op_sel_hi:[1,0,0]
	v_mov_b32_e32 v141, v137
	ds_load_2addr_b64 v[136:139], v130 offset0:47 offset1:48
	v_pk_add_f32 v[50:51], v[50:51], v[142:143] neg_lo:[0,1] neg_hi:[0,1]
	v_pk_add_f32 v[52:53], v[52:53], v[140:141] neg_lo:[0,1] neg_hi:[0,1]
	s_wait_dscnt 0x0
	v_dual_mul_f32 v140, v137, v129 :: v_dual_mul_f32 v142, v137, v126
	s_delay_alu instid0(VALU_DEP_1) | instskip(NEXT) | instid1(VALU_DEP_2)
	v_pk_fma_f32 v[140:141], v[136:137], v[78:79], v[140:141] op_sel_hi:[1,1,0] neg_lo:[0,0,1] neg_hi:[0,0,1]
	v_pk_fma_f32 v[136:137], v[136:137], v[78:79], v[142:143] op_sel:[1,0,0] op_sel_hi:[0,1,0]
	s_delay_alu instid0(VALU_DEP_1) | instskip(SKIP_1) | instid1(VALU_DEP_2)
	v_mov_b32_e32 v141, v137
	v_pk_mul_f32 v[136:137], v[138:139], v[128:129] op_sel:[0,1]
	v_pk_add_f32 v[10:11], v[10:11], v[140:141] neg_lo:[0,1] neg_hi:[0,1]
	s_delay_alu instid0(VALU_DEP_2) | instskip(SKIP_1) | instid1(VALU_DEP_1)
	v_pk_fma_f32 v[140:141], v[138:139], v[126:127], v[136:137] op_sel:[0,0,1] op_sel_hi:[1,1,0] neg_lo:[0,0,1] neg_hi:[0,0,1]
	v_pk_fma_f32 v[136:137], v[138:139], v[126:127], v[136:137] op_sel:[0,0,1] op_sel_hi:[1,0,0]
	v_mov_b32_e32 v141, v137
	ds_load_2addr_b64 v[136:139], v130 offset0:49 offset1:50
	v_pk_add_f32 v[46:47], v[46:47], v[140:141] neg_lo:[0,1] neg_hi:[0,1]
	s_wait_dscnt 0x0
	v_pk_mul_f32 v[140:141], v[136:137], v[128:129] op_sel:[0,1]
	s_delay_alu instid0(VALU_DEP_1) | instskip(SKIP_1) | instid1(VALU_DEP_1)
	v_pk_fma_f32 v[142:143], v[136:137], v[126:127], v[140:141] op_sel:[0,0,1] op_sel_hi:[1,1,0] neg_lo:[0,0,1] neg_hi:[0,0,1]
	v_pk_fma_f32 v[136:137], v[136:137], v[126:127], v[140:141] op_sel:[0,0,1] op_sel_hi:[1,0,0]
	v_mov_b32_e32 v143, v137
	v_pk_mul_f32 v[136:137], v[138:139], v[128:129] op_sel:[0,1]
	s_delay_alu instid0(VALU_DEP_2) | instskip(NEXT) | instid1(VALU_DEP_2)
	v_pk_add_f32 v[44:45], v[44:45], v[142:143] neg_lo:[0,1] neg_hi:[0,1]
	v_pk_fma_f32 v[140:141], v[138:139], v[126:127], v[136:137] op_sel:[0,0,1] op_sel_hi:[1,1,0] neg_lo:[0,0,1] neg_hi:[0,0,1]
	v_pk_fma_f32 v[136:137], v[138:139], v[126:127], v[136:137] op_sel:[0,0,1] op_sel_hi:[1,0,0]
	s_delay_alu instid0(VALU_DEP_1) | instskip(SKIP_4) | instid1(VALU_DEP_1)
	v_mov_b32_e32 v141, v137
	ds_load_2addr_b64 v[136:139], v130 offset0:51 offset1:52
	v_pk_add_f32 v[48:49], v[48:49], v[140:141] neg_lo:[0,1] neg_hi:[0,1]
	s_wait_dscnt 0x0
	v_pk_mul_f32 v[140:141], v[136:137], v[128:129] op_sel:[0,1]
	v_pk_fma_f32 v[142:143], v[136:137], v[126:127], v[140:141] op_sel:[0,0,1] op_sel_hi:[1,1,0] neg_lo:[0,0,1] neg_hi:[0,0,1]
	v_pk_fma_f32 v[136:137], v[136:137], v[126:127], v[140:141] op_sel:[0,0,1] op_sel_hi:[1,0,0]
	v_dual_mul_f32 v140, v139, v129 :: v_dual_mov_b32 v136, v139
	s_delay_alu instid0(VALU_DEP_2) | instskip(NEXT) | instid1(VALU_DEP_2)
	v_dual_mov_b32 v143, v137 :: v_dual_mov_b32 v137, v138
	v_pk_fma_f32 v[140:141], v[138:139], v[78:79], v[140:141] op_sel_hi:[1,1,0] neg_lo:[0,0,1] neg_hi:[0,0,1]
	v_mul_f32_e32 v138, v139, v126
	s_delay_alu instid0(VALU_DEP_3) | instskip(NEXT) | instid1(VALU_DEP_2)
	v_pk_add_f32 v[8:9], v[8:9], v[142:143] neg_lo:[0,1] neg_hi:[0,1]
	v_pk_fma_f32 v[136:137], v[136:137], v[78:79], v[138:139] op_sel_hi:[1,1,0]
	s_delay_alu instid0(VALU_DEP_1) | instskip(SKIP_4) | instid1(VALU_DEP_1)
	v_mov_b32_e32 v141, v137
	ds_load_2addr_b64 v[136:139], v130 offset0:53 offset1:54
	v_pk_add_f32 v[34:35], v[34:35], v[140:141] neg_lo:[0,1] neg_hi:[0,1]
	s_wait_dscnt 0x0
	v_pk_mul_f32 v[140:141], v[136:137], v[128:129] op_sel:[0,1]
	v_pk_fma_f32 v[142:143], v[136:137], v[126:127], v[140:141] op_sel:[0,0,1] op_sel_hi:[1,1,0] neg_lo:[0,0,1] neg_hi:[0,0,1]
	v_pk_fma_f32 v[136:137], v[136:137], v[126:127], v[140:141] op_sel:[0,0,1] op_sel_hi:[1,0,0]
	s_delay_alu instid0(VALU_DEP_1) | instskip(SKIP_1) | instid1(VALU_DEP_1)
	v_mov_b32_e32 v143, v137
	v_pk_mul_f32 v[136:137], v[138:139], v[128:129] op_sel:[0,1]
	v_pk_fma_f32 v[140:141], v[138:139], v[126:127], v[136:137] op_sel:[0,0,1] op_sel_hi:[1,1,0] neg_lo:[0,0,1] neg_hi:[0,0,1]
	v_pk_fma_f32 v[136:137], v[138:139], v[126:127], v[136:137] op_sel:[0,0,1] op_sel_hi:[1,0,0]
	s_delay_alu instid0(VALU_DEP_1)
	v_mov_b32_e32 v141, v137
	ds_load_2addr_b64 v[136:139], v130 offset0:55 offset1:56
	v_pk_add_f32 v[28:29], v[28:29], v[142:143] neg_lo:[0,1] neg_hi:[0,1]
	v_pk_add_f32 v[32:33], v[32:33], v[140:141] neg_lo:[0,1] neg_hi:[0,1]
	s_wait_dscnt 0x0
	v_pk_mul_f32 v[140:141], v[136:137], v[128:129] op_sel:[0,1]
	s_delay_alu instid0(VALU_DEP_1) | instskip(SKIP_1) | instid1(VALU_DEP_1)
	v_pk_fma_f32 v[142:143], v[136:137], v[126:127], v[140:141] op_sel:[0,0,1] op_sel_hi:[1,1,0] neg_lo:[0,0,1] neg_hi:[0,0,1]
	v_pk_fma_f32 v[136:137], v[136:137], v[126:127], v[140:141] op_sel:[0,0,1] op_sel_hi:[1,0,0]
	v_mov_b32_e32 v143, v137
	v_pk_mul_f32 v[136:137], v[138:139], v[128:129] op_sel:[0,1]
	s_delay_alu instid0(VALU_DEP_1) | instskip(SKIP_1) | instid1(VALU_DEP_1)
	v_pk_fma_f32 v[140:141], v[138:139], v[126:127], v[136:137] op_sel:[0,0,1] op_sel_hi:[1,1,0] neg_lo:[0,0,1] neg_hi:[0,0,1]
	v_pk_fma_f32 v[136:137], v[138:139], v[126:127], v[136:137] op_sel:[0,0,1] op_sel_hi:[1,0,0]
	v_mov_b32_e32 v141, v137
	ds_load_2addr_b64 v[136:139], v130 offset0:57 offset1:58
	v_pk_add_f32 v[6:7], v[6:7], v[142:143] neg_lo:[0,1] neg_hi:[0,1]
	v_pk_add_f32 v[26:27], v[26:27], v[140:141] neg_lo:[0,1] neg_hi:[0,1]
	s_wait_dscnt 0x0
	v_dual_mul_f32 v140, v137, v129 :: v_dual_mul_f32 v142, v137, v126
	s_delay_alu instid0(VALU_DEP_1) | instskip(NEXT) | instid1(VALU_DEP_2)
	v_pk_fma_f32 v[140:141], v[136:137], v[78:79], v[140:141] op_sel_hi:[1,1,0] neg_lo:[0,0,1] neg_hi:[0,0,1]
	v_pk_fma_f32 v[136:137], v[136:137], v[78:79], v[142:143] op_sel:[1,0,0] op_sel_hi:[0,1,0]
	s_delay_alu instid0(VALU_DEP_1) | instskip(SKIP_1) | instid1(VALU_DEP_2)
	v_mov_b32_e32 v141, v137
	v_pk_mul_f32 v[136:137], v[138:139], v[128:129] op_sel:[0,1]
	v_pk_add_f32 v[16:17], v[16:17], v[140:141] neg_lo:[0,1] neg_hi:[0,1]
	s_delay_alu instid0(VALU_DEP_2) | instskip(SKIP_1) | instid1(VALU_DEP_1)
	v_pk_fma_f32 v[140:141], v[138:139], v[126:127], v[136:137] op_sel:[0,0,1] op_sel_hi:[1,1,0] neg_lo:[0,0,1] neg_hi:[0,0,1]
	v_pk_fma_f32 v[136:137], v[138:139], v[126:127], v[136:137] op_sel:[0,0,1] op_sel_hi:[1,0,0]
	v_mov_b32_e32 v141, v137
	ds_load_b64 v[136:137], v130 offset:472
	v_pk_add_f32 v[14:15], v[14:15], v[140:141] neg_lo:[0,1] neg_hi:[0,1]
	s_wait_dscnt 0x0
	v_pk_mul_f32 v[128:129], v[136:137], v[128:129] op_sel:[0,1]
	s_delay_alu instid0(VALU_DEP_1) | instskip(SKIP_1) | instid1(VALU_DEP_1)
	v_pk_fma_f32 v[138:139], v[136:137], v[126:127], v[128:129] op_sel:[0,0,1] op_sel_hi:[1,1,0] neg_lo:[0,0,1] neg_hi:[0,0,1]
	v_pk_fma_f32 v[126:127], v[136:137], v[126:127], v[128:129] op_sel:[0,0,1] op_sel_hi:[1,0,0]
	v_mov_b32_e32 v139, v127
	s_delay_alu instid0(VALU_DEP_1)
	v_pk_add_f32 v[124:125], v[124:125], v[138:139] neg_lo:[0,1] neg_hi:[0,1]
.LBB118_608:
	s_or_b32 exec_lo, exec_lo, s0
	v_lshl_add_u32 v126, v134, 3, v130
	s_barrier_signal -1
	s_barrier_wait -1
	ds_store_b64 v126, v[74:75]
	s_wait_dscnt 0x0
	s_barrier_signal -1
	s_barrier_wait -1
	ds_load_b64 v[128:129], v130 offset:232
	v_mov_b32_e32 v126, 29
	s_cmp_lt_i32 s18, 31
	s_cbranch_scc1 .LBB118_611
; %bb.609:
	v_add3_u32 v127, v131, 0, 0xf0
	v_mov_b32_e32 v126, 29
	s_mov_b32 s0, 30
.LBB118_610:                            ; =>This Inner Loop Header: Depth=1
	ds_load_b64 v[136:137], v127
	s_wait_dscnt 0x1
	v_cmp_gt_f32_e32 vcc_lo, 0, v128
	v_cndmask_b32_e64 v138, v128, -v128, vcc_lo
	v_cmp_gt_f32_e32 vcc_lo, 0, v129
	v_cndmask_b32_e64 v140, v129, -v129, vcc_lo
	s_wait_dscnt 0x0
	v_cmp_gt_f32_e32 vcc_lo, 0, v136
	v_cndmask_b32_e64 v139, v136, -v136, vcc_lo
	v_cmp_gt_f32_e32 vcc_lo, 0, v137
	v_cndmask_b32_e64 v141, v137, -v137, vcc_lo
	s_delay_alu instid0(VALU_DEP_1) | instskip(NEXT) | instid1(VALU_DEP_1)
	v_pk_add_f32 v[138:139], v[138:139], v[140:141]
	v_cmp_lt_f32_e32 vcc_lo, v138, v139
	v_dual_add_nc_u32 v127, 8, v127 :: v_dual_cndmask_b32 v129, v129, v137, vcc_lo
	v_cndmask_b32_e32 v128, v128, v136, vcc_lo
	v_cndmask_b32_e64 v126, v126, s0, vcc_lo
	s_add_co_i32 s0, s0, 1
	s_delay_alu instid0(SALU_CYCLE_1)
	s_cmp_lg_u32 s18, s0
	s_cbranch_scc1 .LBB118_610
.LBB118_611:
	s_wait_dscnt 0x0
	v_cmp_eq_f32_e32 vcc_lo, 0, v128
	v_cmp_eq_f32_e64 s0, 0, v129
	s_and_b32 s0, vcc_lo, s0
	s_delay_alu instid0(SALU_CYCLE_1) | instskip(NEXT) | instid1(SALU_CYCLE_1)
	s_and_saveexec_b32 s1, s0
	s_xor_b32 s0, exec_lo, s1
; %bb.612:
	v_cmp_ne_u32_e32 vcc_lo, 0, v132
	v_cndmask_b32_e32 v132, 30, v132, vcc_lo
; %bb.613:
	s_and_not1_saveexec_b32 s0, s0
	s_cbranch_execz .LBB118_619
; %bb.614:
	v_cmp_ngt_f32_e64 s1, |v128|, |v129|
	s_and_saveexec_b32 s12, s1
	s_delay_alu instid0(SALU_CYCLE_1)
	s_xor_b32 s1, exec_lo, s12
	s_cbranch_execz .LBB118_616
; %bb.615:
	v_div_scale_f32 v127, null, v129, v129, v128
	v_div_scale_f32 v137, vcc_lo, v128, v129, v128
	s_delay_alu instid0(VALU_DEP_2) | instskip(SKIP_1) | instid1(TRANS32_DEP_1)
	v_rcp_f32_e32 v135, v127
	v_nop
	v_fma_f32 v136, -v127, v135, 1.0
	s_delay_alu instid0(VALU_DEP_1) | instskip(NEXT) | instid1(VALU_DEP_1)
	v_fmac_f32_e32 v135, v136, v135
	v_mul_f32_e32 v136, v137, v135
	s_delay_alu instid0(VALU_DEP_1) | instskip(NEXT) | instid1(VALU_DEP_1)
	v_fma_f32 v138, -v127, v136, v137
	v_fmac_f32_e32 v136, v138, v135
	s_delay_alu instid0(VALU_DEP_1) | instskip(NEXT) | instid1(VALU_DEP_1)
	v_fma_f32 v127, -v127, v136, v137
	v_div_fmas_f32 v127, v127, v135, v136
	s_delay_alu instid0(VALU_DEP_1) | instskip(NEXT) | instid1(VALU_DEP_1)
	v_div_fixup_f32 v127, v127, v129, v128
	v_fmac_f32_e32 v129, v128, v127
	s_delay_alu instid0(VALU_DEP_1) | instskip(SKIP_1) | instid1(VALU_DEP_2)
	v_div_scale_f32 v128, null, v129, v129, 1.0
	v_div_scale_f32 v137, vcc_lo, 1.0, v129, 1.0
	v_rcp_f32_e32 v135, v128
	v_nop
	s_delay_alu instid0(TRANS32_DEP_1) | instskip(NEXT) | instid1(VALU_DEP_1)
	v_fma_f32 v136, -v128, v135, 1.0
	v_fmac_f32_e32 v135, v136, v135
	s_delay_alu instid0(VALU_DEP_1) | instskip(NEXT) | instid1(VALU_DEP_1)
	v_mul_f32_e32 v136, v137, v135
	v_fma_f32 v138, -v128, v136, v137
	s_delay_alu instid0(VALU_DEP_1) | instskip(NEXT) | instid1(VALU_DEP_1)
	v_fmac_f32_e32 v136, v138, v135
	v_fma_f32 v128, -v128, v136, v137
	s_delay_alu instid0(VALU_DEP_1) | instskip(NEXT) | instid1(VALU_DEP_1)
	v_div_fmas_f32 v128, v128, v135, v136
	v_div_fixup_f32 v129, v128, v129, 1.0
	s_delay_alu instid0(VALU_DEP_1)
	v_mul_f32_e32 v128, v127, v129
	v_xor_b32_e32 v129, 0x80000000, v129
.LBB118_616:
	s_and_not1_saveexec_b32 s1, s1
	s_cbranch_execz .LBB118_618
; %bb.617:
	s_delay_alu instid0(VALU_DEP_1) | instskip(SKIP_1) | instid1(VALU_DEP_2)
	v_div_scale_f32 v127, null, v128, v128, v129
	v_div_scale_f32 v137, vcc_lo, v129, v128, v129
	v_rcp_f32_e32 v135, v127
	v_nop
	s_delay_alu instid0(TRANS32_DEP_1) | instskip(NEXT) | instid1(VALU_DEP_1)
	v_fma_f32 v136, -v127, v135, 1.0
	v_fmac_f32_e32 v135, v136, v135
	s_delay_alu instid0(VALU_DEP_1) | instskip(NEXT) | instid1(VALU_DEP_1)
	v_mul_f32_e32 v136, v137, v135
	v_fma_f32 v138, -v127, v136, v137
	s_delay_alu instid0(VALU_DEP_1) | instskip(NEXT) | instid1(VALU_DEP_1)
	v_fmac_f32_e32 v136, v138, v135
	v_fma_f32 v127, -v127, v136, v137
	s_delay_alu instid0(VALU_DEP_1) | instskip(NEXT) | instid1(VALU_DEP_1)
	v_div_fmas_f32 v127, v127, v135, v136
	v_div_fixup_f32 v127, v127, v128, v129
	s_delay_alu instid0(VALU_DEP_1) | instskip(NEXT) | instid1(VALU_DEP_1)
	v_fmac_f32_e32 v128, v129, v127
	v_div_scale_f32 v129, null, v128, v128, 1.0
	s_delay_alu instid0(VALU_DEP_1) | instskip(SKIP_1) | instid1(TRANS32_DEP_1)
	v_rcp_f32_e32 v135, v129
	v_nop
	v_fma_f32 v136, -v129, v135, 1.0
	s_delay_alu instid0(VALU_DEP_1) | instskip(SKIP_1) | instid1(VALU_DEP_1)
	v_fmac_f32_e32 v135, v136, v135
	v_div_scale_f32 v136, vcc_lo, 1.0, v128, 1.0
	v_mul_f32_e32 v137, v136, v135
	s_delay_alu instid0(VALU_DEP_1) | instskip(NEXT) | instid1(VALU_DEP_1)
	v_fma_f32 v138, -v129, v137, v136
	v_fmac_f32_e32 v137, v138, v135
	s_delay_alu instid0(VALU_DEP_1) | instskip(NEXT) | instid1(VALU_DEP_1)
	v_fma_f32 v129, -v129, v137, v136
	v_div_fmas_f32 v129, v129, v135, v137
	s_delay_alu instid0(VALU_DEP_1) | instskip(NEXT) | instid1(VALU_DEP_1)
	v_div_fixup_f32 v128, v129, v128, 1.0
	v_mul_f32_e64 v129, v127, -v128
.LBB118_618:
	s_or_b32 exec_lo, exec_lo, s1
.LBB118_619:
	s_delay_alu instid0(SALU_CYCLE_1) | instskip(NEXT) | instid1(SALU_CYCLE_1)
	s_or_b32 exec_lo, exec_lo, s0
	s_mov_b32 s0, exec_lo
	v_cmpx_ne_u32_e64 v134, v126
	s_xor_b32 s0, exec_lo, s0
	s_cbranch_execz .LBB118_625
; %bb.620:
	s_mov_b32 s1, exec_lo
	v_cmpx_eq_u32_e32 29, v134
	s_cbranch_execz .LBB118_624
; %bb.621:
	v_cmp_ne_u32_e32 vcc_lo, 29, v126
	s_xor_b32 s12, s16, -1
	s_delay_alu instid0(SALU_CYCLE_1) | instskip(NEXT) | instid1(SALU_CYCLE_1)
	s_and_b32 s13, s12, vcc_lo
	s_and_saveexec_b32 s12, s13
	s_cbranch_execz .LBB118_623
; %bb.622:
	v_ashrrev_i32_e32 v127, 31, v126
	s_delay_alu instid0(VALU_DEP_1)
	v_lshl_add_u64 v[134:135], v[126:127], 2, v[4:5]
	s_clause 0x1
	global_load_b32 v127, v[134:135], off
	global_load_b32 v133, v[4:5], off offset:116
	s_wait_loadcnt 0x1
	global_store_b32 v[4:5], v127, off offset:116
	s_wait_loadcnt 0x0
	global_store_b32 v[134:135], v133, off
.LBB118_623:
	s_wait_xcnt 0x0
	s_or_b32 exec_lo, exec_lo, s12
	v_dual_mov_b32 v134, v126 :: v_dual_mov_b32 v133, v126
.LBB118_624:
	s_or_b32 exec_lo, exec_lo, s1
.LBB118_625:
	s_and_not1_saveexec_b32 s0, s0
	s_cbranch_execz .LBB118_627
; %bb.626:
	v_dual_mov_b32 v126, v76 :: v_dual_mov_b32 v127, v77
	v_dual_mov_b32 v134, v22 :: v_dual_mov_b32 v135, v23
	;; [unrolled: 1-line block ×8, first 2 shown]
	ds_store_2addr_b64 v130, v[126:127], v[134:135] offset0:30 offset1:31
	ds_store_2addr_b64 v130, v[136:137], v[138:139] offset0:32 offset1:33
	;; [unrolled: 1-line block ×4, first 2 shown]
	v_dual_mov_b32 v126, v64 :: v_dual_mov_b32 v127, v65
	v_dual_mov_b32 v134, v18 :: v_dual_mov_b32 v135, v19
	;; [unrolled: 1-line block ×12, first 2 shown]
	ds_store_2addr_b64 v130, v[126:127], v[134:135] offset0:38 offset1:39
	ds_store_2addr_b64 v130, v[136:137], v[138:139] offset0:40 offset1:41
	;; [unrolled: 1-line block ×6, first 2 shown]
	v_dual_mov_b32 v126, v48 :: v_dual_mov_b32 v127, v49
	v_dual_mov_b32 v136, v8 :: v_dual_mov_b32 v137, v9
	;; [unrolled: 1-line block ×9, first 2 shown]
	v_mov_b32_e32 v151, v15
	ds_store_2addr_b64 v130, v[126:127], v[136:137] offset0:50 offset1:51
	ds_store_2addr_b64 v130, v[138:139], v[140:141] offset0:52 offset1:53
	ds_store_2addr_b64 v130, v[142:143], v[144:145] offset0:54 offset1:55
	ds_store_2addr_b64 v130, v[146:147], v[148:149] offset0:56 offset1:57
	ds_store_2addr_b64 v130, v[150:151], v[124:125] offset0:58 offset1:59
.LBB118_627:
	s_or_b32 exec_lo, exec_lo, s0
	s_delay_alu instid0(SALU_CYCLE_1)
	s_mov_b32 s0, exec_lo
	s_wait_storecnt_dscnt 0x0
	s_barrier_signal -1
	s_barrier_wait -1
	v_cmpx_lt_i32_e32 29, v134
	s_cbranch_execz .LBB118_629
; %bb.628:
	v_pk_mul_f32 v[136:137], v[128:129], v[74:75] op_sel:[1,1] op_sel_hi:[0,1]
	s_delay_alu instid0(VALU_DEP_1)
	v_pk_fma_f32 v[126:127], v[128:129], v[74:75], v[136:137] op_sel_hi:[1,0,1] neg_lo:[0,0,1] neg_hi:[0,0,1]
	v_pk_fma_f32 v[128:129], v[128:129], v[74:75], v[136:137] op_sel_hi:[1,0,1]
	ds_load_2addr_b64 v[136:139], v130 offset0:30 offset1:31
	v_dual_mov_b32 v74, v126 :: v_dual_mov_b32 v75, v129
	s_wait_dscnt 0x0
	v_pk_mul_f32 v[140:141], v[136:137], v[128:129] op_sel:[0,1]
	s_delay_alu instid0(VALU_DEP_1) | instskip(SKIP_1) | instid1(VALU_DEP_1)
	v_pk_fma_f32 v[142:143], v[136:137], v[126:127], v[140:141] op_sel:[0,0,1] op_sel_hi:[1,1,0] neg_lo:[0,0,1] neg_hi:[0,0,1]
	v_pk_fma_f32 v[136:137], v[136:137], v[126:127], v[140:141] op_sel:[0,0,1] op_sel_hi:[1,0,0]
	v_mov_b32_e32 v143, v137
	v_pk_mul_f32 v[136:137], v[138:139], v[128:129] op_sel:[0,1]
	s_delay_alu instid0(VALU_DEP_1) | instskip(SKIP_1) | instid1(VALU_DEP_1)
	v_pk_fma_f32 v[140:141], v[138:139], v[126:127], v[136:137] op_sel:[0,0,1] op_sel_hi:[1,1,0] neg_lo:[0,0,1] neg_hi:[0,0,1]
	v_pk_fma_f32 v[136:137], v[138:139], v[126:127], v[136:137] op_sel:[0,0,1] op_sel_hi:[1,0,0]
	v_mov_b32_e32 v141, v137
	ds_load_2addr_b64 v[136:139], v130 offset0:32 offset1:33
	v_pk_add_f32 v[76:77], v[76:77], v[142:143] neg_lo:[0,1] neg_hi:[0,1]
	v_pk_add_f32 v[22:23], v[22:23], v[140:141] neg_lo:[0,1] neg_hi:[0,1]
	s_wait_dscnt 0x0
	v_pk_mul_f32 v[140:141], v[136:137], v[128:129] op_sel:[0,1]
	s_delay_alu instid0(VALU_DEP_1) | instskip(SKIP_2) | instid1(VALU_DEP_2)
	v_pk_fma_f32 v[142:143], v[136:137], v[126:127], v[140:141] op_sel:[0,0,1] op_sel_hi:[1,1,0] neg_lo:[0,0,1] neg_hi:[0,0,1]
	v_pk_fma_f32 v[136:137], v[136:137], v[126:127], v[140:141] op_sel:[0,0,1] op_sel_hi:[1,0,0]
	v_dual_mul_f32 v140, v139, v129 :: v_dual_mov_b32 v136, v139
	v_dual_mov_b32 v143, v137 :: v_dual_mov_b32 v137, v138
	s_delay_alu instid0(VALU_DEP_2) | instskip(SKIP_1) | instid1(VALU_DEP_3)
	v_pk_fma_f32 v[140:141], v[138:139], v[74:75], v[140:141] op_sel_hi:[1,1,0] neg_lo:[0,0,1] neg_hi:[0,0,1]
	v_mul_f32_e32 v138, v139, v126
	v_pk_add_f32 v[72:73], v[72:73], v[142:143] neg_lo:[0,1] neg_hi:[0,1]
	s_delay_alu instid0(VALU_DEP_2) | instskip(NEXT) | instid1(VALU_DEP_1)
	v_pk_fma_f32 v[136:137], v[136:137], v[74:75], v[138:139] op_sel_hi:[1,1,0]
	v_mov_b32_e32 v141, v137
	ds_load_2addr_b64 v[136:139], v130 offset0:34 offset1:35
	v_pk_add_f32 v[68:69], v[68:69], v[140:141] neg_lo:[0,1] neg_hi:[0,1]
	s_wait_dscnt 0x0
	v_pk_mul_f32 v[140:141], v[136:137], v[128:129] op_sel:[0,1]
	s_delay_alu instid0(VALU_DEP_1) | instskip(SKIP_1) | instid1(VALU_DEP_1)
	v_pk_fma_f32 v[142:143], v[136:137], v[126:127], v[140:141] op_sel:[0,0,1] op_sel_hi:[1,1,0] neg_lo:[0,0,1] neg_hi:[0,0,1]
	v_pk_fma_f32 v[136:137], v[136:137], v[126:127], v[140:141] op_sel:[0,0,1] op_sel_hi:[1,0,0]
	v_mov_b32_e32 v143, v137
	v_pk_mul_f32 v[136:137], v[138:139], v[128:129] op_sel:[0,1]
	s_delay_alu instid0(VALU_DEP_1) | instskip(SKIP_1) | instid1(VALU_DEP_1)
	v_pk_fma_f32 v[140:141], v[138:139], v[126:127], v[136:137] op_sel:[0,0,1] op_sel_hi:[1,1,0] neg_lo:[0,0,1] neg_hi:[0,0,1]
	v_pk_fma_f32 v[136:137], v[138:139], v[126:127], v[136:137] op_sel:[0,0,1] op_sel_hi:[1,0,0]
	v_mov_b32_e32 v141, v137
	ds_load_2addr_b64 v[136:139], v130 offset0:36 offset1:37
	v_pk_add_f32 v[70:71], v[70:71], v[142:143] neg_lo:[0,1] neg_hi:[0,1]
	v_pk_add_f32 v[20:21], v[20:21], v[140:141] neg_lo:[0,1] neg_hi:[0,1]
	s_wait_dscnt 0x0
	v_pk_mul_f32 v[140:141], v[136:137], v[128:129] op_sel:[0,1]
	s_delay_alu instid0(VALU_DEP_1) | instskip(SKIP_1) | instid1(VALU_DEP_1)
	v_pk_fma_f32 v[142:143], v[136:137], v[126:127], v[140:141] op_sel:[0,0,1] op_sel_hi:[1,1,0] neg_lo:[0,0,1] neg_hi:[0,0,1]
	v_pk_fma_f32 v[136:137], v[136:137], v[126:127], v[140:141] op_sel:[0,0,1] op_sel_hi:[1,0,0]
	v_mov_b32_e32 v143, v137
	v_pk_mul_f32 v[136:137], v[138:139], v[128:129] op_sel:[0,1]
	s_delay_alu instid0(VALU_DEP_1) | instskip(SKIP_1) | instid1(VALU_DEP_1)
	v_pk_fma_f32 v[140:141], v[138:139], v[126:127], v[136:137] op_sel:[0,0,1] op_sel_hi:[1,1,0] neg_lo:[0,0,1] neg_hi:[0,0,1]
	v_pk_fma_f32 v[136:137], v[138:139], v[126:127], v[136:137] op_sel:[0,0,1] op_sel_hi:[1,0,0]
	v_mov_b32_e32 v141, v137
	ds_load_2addr_b64 v[136:139], v130 offset0:38 offset1:39
	v_pk_add_f32 v[66:67], v[66:67], v[142:143] neg_lo:[0,1] neg_hi:[0,1]
	v_pk_add_f32 v[62:63], v[62:63], v[140:141] neg_lo:[0,1] neg_hi:[0,1]
	s_wait_dscnt 0x0
	v_dual_mul_f32 v140, v137, v129 :: v_dual_mul_f32 v142, v137, v126
	s_delay_alu instid0(VALU_DEP_1) | instskip(NEXT) | instid1(VALU_DEP_2)
	v_pk_fma_f32 v[140:141], v[136:137], v[74:75], v[140:141] op_sel_hi:[1,1,0] neg_lo:[0,0,1] neg_hi:[0,0,1]
	v_pk_fma_f32 v[136:137], v[136:137], v[74:75], v[142:143] op_sel:[1,0,0] op_sel_hi:[0,1,0]
	s_delay_alu instid0(VALU_DEP_1) | instskip(SKIP_1) | instid1(VALU_DEP_2)
	v_mov_b32_e32 v141, v137
	v_pk_mul_f32 v[136:137], v[138:139], v[128:129] op_sel:[0,1]
	v_pk_add_f32 v[64:65], v[64:65], v[140:141] neg_lo:[0,1] neg_hi:[0,1]
	s_delay_alu instid0(VALU_DEP_2) | instskip(SKIP_1) | instid1(VALU_DEP_1)
	v_pk_fma_f32 v[140:141], v[138:139], v[126:127], v[136:137] op_sel:[0,0,1] op_sel_hi:[1,1,0] neg_lo:[0,0,1] neg_hi:[0,0,1]
	v_pk_fma_f32 v[136:137], v[138:139], v[126:127], v[136:137] op_sel:[0,0,1] op_sel_hi:[1,0,0]
	v_mov_b32_e32 v141, v137
	ds_load_2addr_b64 v[136:139], v130 offset0:40 offset1:41
	v_pk_add_f32 v[18:19], v[18:19], v[140:141] neg_lo:[0,1] neg_hi:[0,1]
	s_wait_dscnt 0x0
	v_pk_mul_f32 v[140:141], v[136:137], v[128:129] op_sel:[0,1]
	s_delay_alu instid0(VALU_DEP_1) | instskip(SKIP_1) | instid1(VALU_DEP_1)
	v_pk_fma_f32 v[142:143], v[136:137], v[126:127], v[140:141] op_sel:[0,0,1] op_sel_hi:[1,1,0] neg_lo:[0,0,1] neg_hi:[0,0,1]
	v_pk_fma_f32 v[136:137], v[136:137], v[126:127], v[140:141] op_sel:[0,0,1] op_sel_hi:[1,0,0]
	v_mov_b32_e32 v143, v137
	v_pk_mul_f32 v[136:137], v[138:139], v[128:129] op_sel:[0,1]
	s_delay_alu instid0(VALU_DEP_2) | instskip(NEXT) | instid1(VALU_DEP_2)
	v_pk_add_f32 v[60:61], v[60:61], v[142:143] neg_lo:[0,1] neg_hi:[0,1]
	v_pk_fma_f32 v[140:141], v[138:139], v[126:127], v[136:137] op_sel:[0,0,1] op_sel_hi:[1,1,0] neg_lo:[0,0,1] neg_hi:[0,0,1]
	v_pk_fma_f32 v[136:137], v[138:139], v[126:127], v[136:137] op_sel:[0,0,1] op_sel_hi:[1,0,0]
	s_delay_alu instid0(VALU_DEP_1) | instskip(SKIP_4) | instid1(VALU_DEP_1)
	v_mov_b32_e32 v141, v137
	ds_load_2addr_b64 v[136:139], v130 offset0:42 offset1:43
	v_pk_add_f32 v[56:57], v[56:57], v[140:141] neg_lo:[0,1] neg_hi:[0,1]
	s_wait_dscnt 0x0
	v_pk_mul_f32 v[140:141], v[136:137], v[128:129] op_sel:[0,1]
	v_pk_fma_f32 v[142:143], v[136:137], v[126:127], v[140:141] op_sel:[0,0,1] op_sel_hi:[1,1,0] neg_lo:[0,0,1] neg_hi:[0,0,1]
	v_pk_fma_f32 v[136:137], v[136:137], v[126:127], v[140:141] op_sel:[0,0,1] op_sel_hi:[1,0,0]
	v_dual_mul_f32 v140, v139, v129 :: v_dual_mov_b32 v136, v139
	s_delay_alu instid0(VALU_DEP_2) | instskip(NEXT) | instid1(VALU_DEP_2)
	v_dual_mov_b32 v143, v137 :: v_dual_mov_b32 v137, v138
	v_pk_fma_f32 v[140:141], v[138:139], v[74:75], v[140:141] op_sel_hi:[1,1,0] neg_lo:[0,0,1] neg_hi:[0,0,1]
	v_mul_f32_e32 v138, v139, v126
	s_delay_alu instid0(VALU_DEP_3) | instskip(NEXT) | instid1(VALU_DEP_2)
	v_pk_add_f32 v[58:59], v[58:59], v[142:143] neg_lo:[0,1] neg_hi:[0,1]
	v_pk_fma_f32 v[136:137], v[136:137], v[74:75], v[138:139] op_sel_hi:[1,1,0]
	s_delay_alu instid0(VALU_DEP_1) | instskip(SKIP_4) | instid1(VALU_DEP_1)
	v_mov_b32_e32 v141, v137
	ds_load_2addr_b64 v[136:139], v130 offset0:44 offset1:45
	v_pk_add_f32 v[12:13], v[12:13], v[140:141] neg_lo:[0,1] neg_hi:[0,1]
	s_wait_dscnt 0x0
	v_pk_mul_f32 v[140:141], v[136:137], v[128:129] op_sel:[0,1]
	v_pk_fma_f32 v[142:143], v[136:137], v[126:127], v[140:141] op_sel:[0,0,1] op_sel_hi:[1,1,0] neg_lo:[0,0,1] neg_hi:[0,0,1]
	v_pk_fma_f32 v[136:137], v[136:137], v[126:127], v[140:141] op_sel:[0,0,1] op_sel_hi:[1,0,0]
	s_delay_alu instid0(VALU_DEP_1) | instskip(SKIP_1) | instid1(VALU_DEP_1)
	v_mov_b32_e32 v143, v137
	v_pk_mul_f32 v[136:137], v[138:139], v[128:129] op_sel:[0,1]
	v_pk_fma_f32 v[140:141], v[138:139], v[126:127], v[136:137] op_sel:[0,0,1] op_sel_hi:[1,1,0] neg_lo:[0,0,1] neg_hi:[0,0,1]
	v_pk_fma_f32 v[136:137], v[138:139], v[126:127], v[136:137] op_sel:[0,0,1] op_sel_hi:[1,0,0]
	s_delay_alu instid0(VALU_DEP_1)
	v_mov_b32_e32 v141, v137
	ds_load_2addr_b64 v[136:139], v130 offset0:46 offset1:47
	v_pk_add_f32 v[54:55], v[54:55], v[142:143] neg_lo:[0,1] neg_hi:[0,1]
	v_pk_add_f32 v[50:51], v[50:51], v[140:141] neg_lo:[0,1] neg_hi:[0,1]
	s_wait_dscnt 0x0
	v_pk_mul_f32 v[140:141], v[136:137], v[128:129] op_sel:[0,1]
	s_delay_alu instid0(VALU_DEP_1) | instskip(SKIP_1) | instid1(VALU_DEP_1)
	v_pk_fma_f32 v[142:143], v[136:137], v[126:127], v[140:141] op_sel:[0,0,1] op_sel_hi:[1,1,0] neg_lo:[0,0,1] neg_hi:[0,0,1]
	v_pk_fma_f32 v[136:137], v[136:137], v[126:127], v[140:141] op_sel:[0,0,1] op_sel_hi:[1,0,0]
	v_mov_b32_e32 v143, v137
	v_pk_mul_f32 v[136:137], v[138:139], v[128:129] op_sel:[0,1]
	s_delay_alu instid0(VALU_DEP_1) | instskip(SKIP_1) | instid1(VALU_DEP_1)
	v_pk_fma_f32 v[140:141], v[138:139], v[126:127], v[136:137] op_sel:[0,0,1] op_sel_hi:[1,1,0] neg_lo:[0,0,1] neg_hi:[0,0,1]
	v_pk_fma_f32 v[136:137], v[138:139], v[126:127], v[136:137] op_sel:[0,0,1] op_sel_hi:[1,0,0]
	v_mov_b32_e32 v141, v137
	ds_load_2addr_b64 v[136:139], v130 offset0:48 offset1:49
	v_pk_add_f32 v[52:53], v[52:53], v[142:143] neg_lo:[0,1] neg_hi:[0,1]
	v_pk_add_f32 v[10:11], v[10:11], v[140:141] neg_lo:[0,1] neg_hi:[0,1]
	s_wait_dscnt 0x0
	v_dual_mul_f32 v140, v137, v129 :: v_dual_mul_f32 v142, v137, v126
	s_delay_alu instid0(VALU_DEP_1) | instskip(NEXT) | instid1(VALU_DEP_2)
	v_pk_fma_f32 v[140:141], v[136:137], v[74:75], v[140:141] op_sel_hi:[1,1,0] neg_lo:[0,0,1] neg_hi:[0,0,1]
	v_pk_fma_f32 v[136:137], v[136:137], v[74:75], v[142:143] op_sel:[1,0,0] op_sel_hi:[0,1,0]
	s_delay_alu instid0(VALU_DEP_1) | instskip(SKIP_1) | instid1(VALU_DEP_2)
	v_mov_b32_e32 v141, v137
	v_pk_mul_f32 v[136:137], v[138:139], v[128:129] op_sel:[0,1]
	v_pk_add_f32 v[46:47], v[46:47], v[140:141] neg_lo:[0,1] neg_hi:[0,1]
	s_delay_alu instid0(VALU_DEP_2) | instskip(SKIP_1) | instid1(VALU_DEP_1)
	v_pk_fma_f32 v[140:141], v[138:139], v[126:127], v[136:137] op_sel:[0,0,1] op_sel_hi:[1,1,0] neg_lo:[0,0,1] neg_hi:[0,0,1]
	v_pk_fma_f32 v[136:137], v[138:139], v[126:127], v[136:137] op_sel:[0,0,1] op_sel_hi:[1,0,0]
	v_mov_b32_e32 v141, v137
	ds_load_2addr_b64 v[136:139], v130 offset0:50 offset1:51
	v_pk_add_f32 v[44:45], v[44:45], v[140:141] neg_lo:[0,1] neg_hi:[0,1]
	s_wait_dscnt 0x0
	v_pk_mul_f32 v[140:141], v[136:137], v[128:129] op_sel:[0,1]
	s_delay_alu instid0(VALU_DEP_1) | instskip(SKIP_1) | instid1(VALU_DEP_1)
	v_pk_fma_f32 v[142:143], v[136:137], v[126:127], v[140:141] op_sel:[0,0,1] op_sel_hi:[1,1,0] neg_lo:[0,0,1] neg_hi:[0,0,1]
	v_pk_fma_f32 v[136:137], v[136:137], v[126:127], v[140:141] op_sel:[0,0,1] op_sel_hi:[1,0,0]
	v_mov_b32_e32 v143, v137
	v_pk_mul_f32 v[136:137], v[138:139], v[128:129] op_sel:[0,1]
	s_delay_alu instid0(VALU_DEP_2) | instskip(NEXT) | instid1(VALU_DEP_2)
	v_pk_add_f32 v[48:49], v[48:49], v[142:143] neg_lo:[0,1] neg_hi:[0,1]
	v_pk_fma_f32 v[140:141], v[138:139], v[126:127], v[136:137] op_sel:[0,0,1] op_sel_hi:[1,1,0] neg_lo:[0,0,1] neg_hi:[0,0,1]
	v_pk_fma_f32 v[136:137], v[138:139], v[126:127], v[136:137] op_sel:[0,0,1] op_sel_hi:[1,0,0]
	s_delay_alu instid0(VALU_DEP_1) | instskip(SKIP_4) | instid1(VALU_DEP_1)
	v_mov_b32_e32 v141, v137
	ds_load_2addr_b64 v[136:139], v130 offset0:52 offset1:53
	v_pk_add_f32 v[8:9], v[8:9], v[140:141] neg_lo:[0,1] neg_hi:[0,1]
	s_wait_dscnt 0x0
	v_pk_mul_f32 v[140:141], v[136:137], v[128:129] op_sel:[0,1]
	v_pk_fma_f32 v[142:143], v[136:137], v[126:127], v[140:141] op_sel:[0,0,1] op_sel_hi:[1,1,0] neg_lo:[0,0,1] neg_hi:[0,0,1]
	v_pk_fma_f32 v[136:137], v[136:137], v[126:127], v[140:141] op_sel:[0,0,1] op_sel_hi:[1,0,0]
	v_dual_mul_f32 v140, v139, v129 :: v_dual_mov_b32 v136, v139
	s_delay_alu instid0(VALU_DEP_2) | instskip(NEXT) | instid1(VALU_DEP_2)
	v_dual_mov_b32 v143, v137 :: v_dual_mov_b32 v137, v138
	v_pk_fma_f32 v[140:141], v[138:139], v[74:75], v[140:141] op_sel_hi:[1,1,0] neg_lo:[0,0,1] neg_hi:[0,0,1]
	v_mul_f32_e32 v138, v139, v126
	s_delay_alu instid0(VALU_DEP_3) | instskip(NEXT) | instid1(VALU_DEP_2)
	v_pk_add_f32 v[34:35], v[34:35], v[142:143] neg_lo:[0,1] neg_hi:[0,1]
	v_pk_fma_f32 v[136:137], v[136:137], v[74:75], v[138:139] op_sel_hi:[1,1,0]
	s_delay_alu instid0(VALU_DEP_1) | instskip(SKIP_4) | instid1(VALU_DEP_1)
	v_mov_b32_e32 v141, v137
	ds_load_2addr_b64 v[136:139], v130 offset0:54 offset1:55
	v_pk_add_f32 v[28:29], v[28:29], v[140:141] neg_lo:[0,1] neg_hi:[0,1]
	s_wait_dscnt 0x0
	v_pk_mul_f32 v[140:141], v[136:137], v[128:129] op_sel:[0,1]
	v_pk_fma_f32 v[142:143], v[136:137], v[126:127], v[140:141] op_sel:[0,0,1] op_sel_hi:[1,1,0] neg_lo:[0,0,1] neg_hi:[0,0,1]
	v_pk_fma_f32 v[136:137], v[136:137], v[126:127], v[140:141] op_sel:[0,0,1] op_sel_hi:[1,0,0]
	s_delay_alu instid0(VALU_DEP_1) | instskip(SKIP_1) | instid1(VALU_DEP_1)
	v_mov_b32_e32 v143, v137
	v_pk_mul_f32 v[136:137], v[138:139], v[128:129] op_sel:[0,1]
	v_pk_fma_f32 v[140:141], v[138:139], v[126:127], v[136:137] op_sel:[0,0,1] op_sel_hi:[1,1,0] neg_lo:[0,0,1] neg_hi:[0,0,1]
	v_pk_fma_f32 v[136:137], v[138:139], v[126:127], v[136:137] op_sel:[0,0,1] op_sel_hi:[1,0,0]
	s_delay_alu instid0(VALU_DEP_1)
	v_mov_b32_e32 v141, v137
	ds_load_2addr_b64 v[136:139], v130 offset0:56 offset1:57
	v_pk_add_f32 v[32:33], v[32:33], v[142:143] neg_lo:[0,1] neg_hi:[0,1]
	v_pk_add_f32 v[6:7], v[6:7], v[140:141] neg_lo:[0,1] neg_hi:[0,1]
	s_wait_dscnt 0x0
	v_pk_mul_f32 v[140:141], v[136:137], v[128:129] op_sel:[0,1]
	s_delay_alu instid0(VALU_DEP_1) | instskip(SKIP_1) | instid1(VALU_DEP_1)
	v_pk_fma_f32 v[142:143], v[136:137], v[126:127], v[140:141] op_sel:[0,0,1] op_sel_hi:[1,1,0] neg_lo:[0,0,1] neg_hi:[0,0,1]
	v_pk_fma_f32 v[136:137], v[136:137], v[126:127], v[140:141] op_sel:[0,0,1] op_sel_hi:[1,0,0]
	v_mov_b32_e32 v143, v137
	v_pk_mul_f32 v[136:137], v[138:139], v[128:129] op_sel:[0,1]
	s_delay_alu instid0(VALU_DEP_1) | instskip(SKIP_1) | instid1(VALU_DEP_1)
	v_pk_fma_f32 v[140:141], v[138:139], v[126:127], v[136:137] op_sel:[0,0,1] op_sel_hi:[1,1,0] neg_lo:[0,0,1] neg_hi:[0,0,1]
	v_pk_fma_f32 v[136:137], v[138:139], v[126:127], v[136:137] op_sel:[0,0,1] op_sel_hi:[1,0,0]
	v_mov_b32_e32 v141, v137
	ds_load_2addr_b64 v[136:139], v130 offset0:58 offset1:59
	v_pk_add_f32 v[26:27], v[26:27], v[142:143] neg_lo:[0,1] neg_hi:[0,1]
	v_pk_add_f32 v[16:17], v[16:17], v[140:141] neg_lo:[0,1] neg_hi:[0,1]
	s_wait_dscnt 0x0
	v_mul_f32_e32 v128, v137, v129
	s_delay_alu instid0(VALU_DEP_1) | instskip(SKIP_1) | instid1(VALU_DEP_1)
	v_pk_fma_f32 v[140:141], v[136:137], v[74:75], v[128:129] op_sel_hi:[1,1,0] neg_lo:[0,0,1] neg_hi:[0,0,1]
	v_dual_mul_f32 v128, v137, v126 :: v_dual_mul_f32 v126, v139, v126
	v_pk_fma_f32 v[136:137], v[136:137], v[74:75], v[128:129] op_sel:[1,0,0] op_sel_hi:[0,1,0]
	v_dual_mov_b32 v136, v139 :: v_dual_mul_f32 v128, v139, v129
	s_delay_alu instid0(VALU_DEP_2) | instskip(NEXT) | instid1(VALU_DEP_2)
	v_dual_mov_b32 v141, v137 :: v_dual_mov_b32 v137, v138
	v_pk_fma_f32 v[128:129], v[138:139], v[74:75], v[128:129] op_sel_hi:[1,1,0] neg_lo:[0,0,1] neg_hi:[0,0,1]
	s_delay_alu instid0(VALU_DEP_2) | instskip(NEXT) | instid1(VALU_DEP_3)
	v_pk_add_f32 v[14:15], v[14:15], v[140:141] neg_lo:[0,1] neg_hi:[0,1]
	v_pk_fma_f32 v[126:127], v[136:137], v[74:75], v[126:127] op_sel_hi:[1,1,0]
	s_delay_alu instid0(VALU_DEP_1) | instskip(NEXT) | instid1(VALU_DEP_1)
	v_mov_b32_e32 v129, v127
	v_pk_add_f32 v[124:125], v[124:125], v[128:129] neg_lo:[0,1] neg_hi:[0,1]
.LBB118_629:
	s_or_b32 exec_lo, exec_lo, s0
	v_lshl_add_u32 v126, v134, 3, v130
	s_barrier_signal -1
	s_barrier_wait -1
	ds_store_b64 v126, v[76:77]
	s_wait_dscnt 0x0
	s_barrier_signal -1
	s_barrier_wait -1
	ds_load_b64 v[128:129], v130 offset:240
	v_mov_b32_e32 v126, 30
	s_cmp_lt_i32 s18, 32
	s_cbranch_scc1 .LBB118_632
; %bb.630:
	v_add3_u32 v127, v131, 0, 0xf8
	v_mov_b32_e32 v126, 30
	s_mov_b32 s0, 31
.LBB118_631:                            ; =>This Inner Loop Header: Depth=1
	ds_load_b64 v[136:137], v127
	s_wait_dscnt 0x1
	v_cmp_gt_f32_e32 vcc_lo, 0, v128
	v_cndmask_b32_e64 v138, v128, -v128, vcc_lo
	v_cmp_gt_f32_e32 vcc_lo, 0, v129
	v_cndmask_b32_e64 v140, v129, -v129, vcc_lo
	s_wait_dscnt 0x0
	v_cmp_gt_f32_e32 vcc_lo, 0, v136
	v_cndmask_b32_e64 v139, v136, -v136, vcc_lo
	v_cmp_gt_f32_e32 vcc_lo, 0, v137
	v_cndmask_b32_e64 v141, v137, -v137, vcc_lo
	s_delay_alu instid0(VALU_DEP_1) | instskip(NEXT) | instid1(VALU_DEP_1)
	v_pk_add_f32 v[138:139], v[138:139], v[140:141]
	v_cmp_lt_f32_e32 vcc_lo, v138, v139
	v_dual_add_nc_u32 v127, 8, v127 :: v_dual_cndmask_b32 v129, v129, v137, vcc_lo
	v_cndmask_b32_e32 v128, v128, v136, vcc_lo
	v_cndmask_b32_e64 v126, v126, s0, vcc_lo
	s_add_co_i32 s0, s0, 1
	s_delay_alu instid0(SALU_CYCLE_1)
	s_cmp_lg_u32 s18, s0
	s_cbranch_scc1 .LBB118_631
.LBB118_632:
	s_wait_dscnt 0x0
	v_cmp_eq_f32_e32 vcc_lo, 0, v128
	v_cmp_eq_f32_e64 s0, 0, v129
	s_and_b32 s0, vcc_lo, s0
	s_delay_alu instid0(SALU_CYCLE_1) | instskip(NEXT) | instid1(SALU_CYCLE_1)
	s_and_saveexec_b32 s1, s0
	s_xor_b32 s0, exec_lo, s1
; %bb.633:
	v_cmp_ne_u32_e32 vcc_lo, 0, v132
	v_cndmask_b32_e32 v132, 31, v132, vcc_lo
; %bb.634:
	s_and_not1_saveexec_b32 s0, s0
	s_cbranch_execz .LBB118_640
; %bb.635:
	v_cmp_ngt_f32_e64 s1, |v128|, |v129|
	s_and_saveexec_b32 s12, s1
	s_delay_alu instid0(SALU_CYCLE_1)
	s_xor_b32 s1, exec_lo, s12
	s_cbranch_execz .LBB118_637
; %bb.636:
	v_div_scale_f32 v127, null, v129, v129, v128
	v_div_scale_f32 v137, vcc_lo, v128, v129, v128
	s_delay_alu instid0(VALU_DEP_2) | instskip(SKIP_1) | instid1(TRANS32_DEP_1)
	v_rcp_f32_e32 v135, v127
	v_nop
	v_fma_f32 v136, -v127, v135, 1.0
	s_delay_alu instid0(VALU_DEP_1) | instskip(NEXT) | instid1(VALU_DEP_1)
	v_fmac_f32_e32 v135, v136, v135
	v_mul_f32_e32 v136, v137, v135
	s_delay_alu instid0(VALU_DEP_1) | instskip(NEXT) | instid1(VALU_DEP_1)
	v_fma_f32 v138, -v127, v136, v137
	v_fmac_f32_e32 v136, v138, v135
	s_delay_alu instid0(VALU_DEP_1) | instskip(NEXT) | instid1(VALU_DEP_1)
	v_fma_f32 v127, -v127, v136, v137
	v_div_fmas_f32 v127, v127, v135, v136
	s_delay_alu instid0(VALU_DEP_1) | instskip(NEXT) | instid1(VALU_DEP_1)
	v_div_fixup_f32 v127, v127, v129, v128
	v_fmac_f32_e32 v129, v128, v127
	s_delay_alu instid0(VALU_DEP_1) | instskip(SKIP_1) | instid1(VALU_DEP_2)
	v_div_scale_f32 v128, null, v129, v129, 1.0
	v_div_scale_f32 v137, vcc_lo, 1.0, v129, 1.0
	v_rcp_f32_e32 v135, v128
	v_nop
	s_delay_alu instid0(TRANS32_DEP_1) | instskip(NEXT) | instid1(VALU_DEP_1)
	v_fma_f32 v136, -v128, v135, 1.0
	v_fmac_f32_e32 v135, v136, v135
	s_delay_alu instid0(VALU_DEP_1) | instskip(NEXT) | instid1(VALU_DEP_1)
	v_mul_f32_e32 v136, v137, v135
	v_fma_f32 v138, -v128, v136, v137
	s_delay_alu instid0(VALU_DEP_1) | instskip(NEXT) | instid1(VALU_DEP_1)
	v_fmac_f32_e32 v136, v138, v135
	v_fma_f32 v128, -v128, v136, v137
	s_delay_alu instid0(VALU_DEP_1) | instskip(NEXT) | instid1(VALU_DEP_1)
	v_div_fmas_f32 v128, v128, v135, v136
	v_div_fixup_f32 v129, v128, v129, 1.0
	s_delay_alu instid0(VALU_DEP_1)
	v_mul_f32_e32 v128, v127, v129
	v_xor_b32_e32 v129, 0x80000000, v129
.LBB118_637:
	s_and_not1_saveexec_b32 s1, s1
	s_cbranch_execz .LBB118_639
; %bb.638:
	s_delay_alu instid0(VALU_DEP_1) | instskip(SKIP_1) | instid1(VALU_DEP_2)
	v_div_scale_f32 v127, null, v128, v128, v129
	v_div_scale_f32 v137, vcc_lo, v129, v128, v129
	v_rcp_f32_e32 v135, v127
	v_nop
	s_delay_alu instid0(TRANS32_DEP_1) | instskip(NEXT) | instid1(VALU_DEP_1)
	v_fma_f32 v136, -v127, v135, 1.0
	v_fmac_f32_e32 v135, v136, v135
	s_delay_alu instid0(VALU_DEP_1) | instskip(NEXT) | instid1(VALU_DEP_1)
	v_mul_f32_e32 v136, v137, v135
	v_fma_f32 v138, -v127, v136, v137
	s_delay_alu instid0(VALU_DEP_1) | instskip(NEXT) | instid1(VALU_DEP_1)
	v_fmac_f32_e32 v136, v138, v135
	v_fma_f32 v127, -v127, v136, v137
	s_delay_alu instid0(VALU_DEP_1) | instskip(NEXT) | instid1(VALU_DEP_1)
	v_div_fmas_f32 v127, v127, v135, v136
	v_div_fixup_f32 v127, v127, v128, v129
	s_delay_alu instid0(VALU_DEP_1) | instskip(NEXT) | instid1(VALU_DEP_1)
	v_fmac_f32_e32 v128, v129, v127
	v_div_scale_f32 v129, null, v128, v128, 1.0
	s_delay_alu instid0(VALU_DEP_1) | instskip(SKIP_1) | instid1(TRANS32_DEP_1)
	v_rcp_f32_e32 v135, v129
	v_nop
	v_fma_f32 v136, -v129, v135, 1.0
	s_delay_alu instid0(VALU_DEP_1) | instskip(SKIP_1) | instid1(VALU_DEP_1)
	v_fmac_f32_e32 v135, v136, v135
	v_div_scale_f32 v136, vcc_lo, 1.0, v128, 1.0
	v_mul_f32_e32 v137, v136, v135
	s_delay_alu instid0(VALU_DEP_1) | instskip(NEXT) | instid1(VALU_DEP_1)
	v_fma_f32 v138, -v129, v137, v136
	v_fmac_f32_e32 v137, v138, v135
	s_delay_alu instid0(VALU_DEP_1) | instskip(NEXT) | instid1(VALU_DEP_1)
	v_fma_f32 v129, -v129, v137, v136
	v_div_fmas_f32 v129, v129, v135, v137
	s_delay_alu instid0(VALU_DEP_1) | instskip(NEXT) | instid1(VALU_DEP_1)
	v_div_fixup_f32 v128, v129, v128, 1.0
	v_mul_f32_e64 v129, v127, -v128
.LBB118_639:
	s_or_b32 exec_lo, exec_lo, s1
.LBB118_640:
	s_delay_alu instid0(SALU_CYCLE_1) | instskip(NEXT) | instid1(SALU_CYCLE_1)
	s_or_b32 exec_lo, exec_lo, s0
	s_mov_b32 s0, exec_lo
	v_cmpx_ne_u32_e64 v134, v126
	s_xor_b32 s0, exec_lo, s0
	s_cbranch_execz .LBB118_646
; %bb.641:
	s_mov_b32 s1, exec_lo
	v_cmpx_eq_u32_e32 30, v134
	s_cbranch_execz .LBB118_645
; %bb.642:
	v_cmp_ne_u32_e32 vcc_lo, 30, v126
	s_xor_b32 s12, s16, -1
	s_delay_alu instid0(SALU_CYCLE_1) | instskip(NEXT) | instid1(SALU_CYCLE_1)
	s_and_b32 s13, s12, vcc_lo
	s_and_saveexec_b32 s12, s13
	s_cbranch_execz .LBB118_644
; %bb.643:
	v_ashrrev_i32_e32 v127, 31, v126
	s_delay_alu instid0(VALU_DEP_1)
	v_lshl_add_u64 v[134:135], v[126:127], 2, v[4:5]
	s_clause 0x1
	global_load_b32 v127, v[134:135], off
	global_load_b32 v133, v[4:5], off offset:120
	s_wait_loadcnt 0x1
	global_store_b32 v[4:5], v127, off offset:120
	s_wait_loadcnt 0x0
	global_store_b32 v[134:135], v133, off
.LBB118_644:
	s_wait_xcnt 0x0
	s_or_b32 exec_lo, exec_lo, s12
	v_dual_mov_b32 v134, v126 :: v_dual_mov_b32 v133, v126
.LBB118_645:
	s_or_b32 exec_lo, exec_lo, s1
.LBB118_646:
	s_and_not1_saveexec_b32 s0, s0
	s_cbranch_execz .LBB118_648
; %bb.647:
	v_mov_b32_e32 v134, 30
	ds_store_2addr_b64 v130, v[22:23], v[72:73] offset0:31 offset1:32
	ds_store_2addr_b64 v130, v[68:69], v[70:71] offset0:33 offset1:34
	;; [unrolled: 1-line block ×14, first 2 shown]
	ds_store_b64 v130, v[124:125] offset:472
.LBB118_648:
	s_or_b32 exec_lo, exec_lo, s0
	s_delay_alu instid0(SALU_CYCLE_1)
	s_mov_b32 s0, exec_lo
	s_wait_storecnt_dscnt 0x0
	s_barrier_signal -1
	s_barrier_wait -1
	v_cmpx_lt_i32_e32 30, v134
	s_cbranch_execz .LBB118_650
; %bb.649:
	v_pk_mul_f32 v[136:137], v[128:129], v[76:77] op_sel:[1,1] op_sel_hi:[0,1]
	s_delay_alu instid0(VALU_DEP_1)
	v_pk_fma_f32 v[126:127], v[128:129], v[76:77], v[136:137] op_sel_hi:[1,0,1] neg_lo:[0,0,1] neg_hi:[0,0,1]
	v_pk_fma_f32 v[128:129], v[128:129], v[76:77], v[136:137] op_sel_hi:[1,0,1]
	ds_load_2addr_b64 v[136:139], v130 offset0:31 offset1:32
	v_dual_mov_b32 v76, v126 :: v_dual_mov_b32 v77, v129
	s_wait_dscnt 0x0
	v_pk_mul_f32 v[140:141], v[136:137], v[128:129] op_sel:[0,1]
	s_delay_alu instid0(VALU_DEP_1) | instskip(SKIP_1) | instid1(VALU_DEP_1)
	v_pk_fma_f32 v[142:143], v[136:137], v[126:127], v[140:141] op_sel:[0,0,1] op_sel_hi:[1,1,0] neg_lo:[0,0,1] neg_hi:[0,0,1]
	v_pk_fma_f32 v[136:137], v[136:137], v[126:127], v[140:141] op_sel:[0,0,1] op_sel_hi:[1,0,0]
	v_mov_b32_e32 v143, v137
	v_pk_mul_f32 v[136:137], v[138:139], v[128:129] op_sel:[0,1]
	s_delay_alu instid0(VALU_DEP_1) | instskip(SKIP_1) | instid1(VALU_DEP_1)
	v_pk_fma_f32 v[140:141], v[138:139], v[126:127], v[136:137] op_sel:[0,0,1] op_sel_hi:[1,1,0] neg_lo:[0,0,1] neg_hi:[0,0,1]
	v_pk_fma_f32 v[136:137], v[138:139], v[126:127], v[136:137] op_sel:[0,0,1] op_sel_hi:[1,0,0]
	v_mov_b32_e32 v141, v137
	ds_load_2addr_b64 v[136:139], v130 offset0:33 offset1:34
	v_pk_add_f32 v[22:23], v[22:23], v[142:143] neg_lo:[0,1] neg_hi:[0,1]
	v_pk_add_f32 v[72:73], v[72:73], v[140:141] neg_lo:[0,1] neg_hi:[0,1]
	s_wait_dscnt 0x0
	v_pk_mul_f32 v[140:141], v[136:137], v[128:129] op_sel:[0,1]
	s_delay_alu instid0(VALU_DEP_1) | instskip(SKIP_2) | instid1(VALU_DEP_2)
	v_pk_fma_f32 v[142:143], v[136:137], v[126:127], v[140:141] op_sel:[0,0,1] op_sel_hi:[1,1,0] neg_lo:[0,0,1] neg_hi:[0,0,1]
	v_pk_fma_f32 v[136:137], v[136:137], v[126:127], v[140:141] op_sel:[0,0,1] op_sel_hi:[1,0,0]
	v_dual_mul_f32 v140, v139, v129 :: v_dual_mov_b32 v136, v139
	v_dual_mov_b32 v143, v137 :: v_dual_mov_b32 v137, v138
	s_delay_alu instid0(VALU_DEP_2) | instskip(SKIP_1) | instid1(VALU_DEP_3)
	v_pk_fma_f32 v[140:141], v[138:139], v[76:77], v[140:141] op_sel_hi:[1,1,0] neg_lo:[0,0,1] neg_hi:[0,0,1]
	v_mul_f32_e32 v138, v139, v126
	v_pk_add_f32 v[68:69], v[68:69], v[142:143] neg_lo:[0,1] neg_hi:[0,1]
	s_delay_alu instid0(VALU_DEP_2) | instskip(NEXT) | instid1(VALU_DEP_1)
	v_pk_fma_f32 v[136:137], v[136:137], v[76:77], v[138:139] op_sel_hi:[1,1,0]
	v_mov_b32_e32 v141, v137
	ds_load_2addr_b64 v[136:139], v130 offset0:35 offset1:36
	v_pk_add_f32 v[70:71], v[70:71], v[140:141] neg_lo:[0,1] neg_hi:[0,1]
	s_wait_dscnt 0x0
	v_pk_mul_f32 v[140:141], v[136:137], v[128:129] op_sel:[0,1]
	s_delay_alu instid0(VALU_DEP_1) | instskip(SKIP_1) | instid1(VALU_DEP_1)
	v_pk_fma_f32 v[142:143], v[136:137], v[126:127], v[140:141] op_sel:[0,0,1] op_sel_hi:[1,1,0] neg_lo:[0,0,1] neg_hi:[0,0,1]
	v_pk_fma_f32 v[136:137], v[136:137], v[126:127], v[140:141] op_sel:[0,0,1] op_sel_hi:[1,0,0]
	v_mov_b32_e32 v143, v137
	v_pk_mul_f32 v[136:137], v[138:139], v[128:129] op_sel:[0,1]
	s_delay_alu instid0(VALU_DEP_1) | instskip(SKIP_1) | instid1(VALU_DEP_1)
	v_pk_fma_f32 v[140:141], v[138:139], v[126:127], v[136:137] op_sel:[0,0,1] op_sel_hi:[1,1,0] neg_lo:[0,0,1] neg_hi:[0,0,1]
	v_pk_fma_f32 v[136:137], v[138:139], v[126:127], v[136:137] op_sel:[0,0,1] op_sel_hi:[1,0,0]
	v_mov_b32_e32 v141, v137
	ds_load_2addr_b64 v[136:139], v130 offset0:37 offset1:38
	v_pk_add_f32 v[20:21], v[20:21], v[142:143] neg_lo:[0,1] neg_hi:[0,1]
	v_pk_add_f32 v[66:67], v[66:67], v[140:141] neg_lo:[0,1] neg_hi:[0,1]
	s_wait_dscnt 0x0
	v_pk_mul_f32 v[140:141], v[136:137], v[128:129] op_sel:[0,1]
	s_delay_alu instid0(VALU_DEP_1) | instskip(SKIP_1) | instid1(VALU_DEP_1)
	v_pk_fma_f32 v[142:143], v[136:137], v[126:127], v[140:141] op_sel:[0,0,1] op_sel_hi:[1,1,0] neg_lo:[0,0,1] neg_hi:[0,0,1]
	v_pk_fma_f32 v[136:137], v[136:137], v[126:127], v[140:141] op_sel:[0,0,1] op_sel_hi:[1,0,0]
	v_mov_b32_e32 v143, v137
	v_pk_mul_f32 v[136:137], v[138:139], v[128:129] op_sel:[0,1]
	s_delay_alu instid0(VALU_DEP_1) | instskip(SKIP_1) | instid1(VALU_DEP_1)
	v_pk_fma_f32 v[140:141], v[138:139], v[126:127], v[136:137] op_sel:[0,0,1] op_sel_hi:[1,1,0] neg_lo:[0,0,1] neg_hi:[0,0,1]
	v_pk_fma_f32 v[136:137], v[138:139], v[126:127], v[136:137] op_sel:[0,0,1] op_sel_hi:[1,0,0]
	v_mov_b32_e32 v141, v137
	ds_load_2addr_b64 v[136:139], v130 offset0:39 offset1:40
	v_pk_add_f32 v[62:63], v[62:63], v[142:143] neg_lo:[0,1] neg_hi:[0,1]
	v_pk_add_f32 v[64:65], v[64:65], v[140:141] neg_lo:[0,1] neg_hi:[0,1]
	s_wait_dscnt 0x0
	v_dual_mul_f32 v140, v137, v129 :: v_dual_mul_f32 v142, v137, v126
	s_delay_alu instid0(VALU_DEP_1) | instskip(NEXT) | instid1(VALU_DEP_2)
	v_pk_fma_f32 v[140:141], v[136:137], v[76:77], v[140:141] op_sel_hi:[1,1,0] neg_lo:[0,0,1] neg_hi:[0,0,1]
	v_pk_fma_f32 v[136:137], v[136:137], v[76:77], v[142:143] op_sel:[1,0,0] op_sel_hi:[0,1,0]
	s_delay_alu instid0(VALU_DEP_1) | instskip(SKIP_1) | instid1(VALU_DEP_2)
	v_mov_b32_e32 v141, v137
	v_pk_mul_f32 v[136:137], v[138:139], v[128:129] op_sel:[0,1]
	v_pk_add_f32 v[18:19], v[18:19], v[140:141] neg_lo:[0,1] neg_hi:[0,1]
	s_delay_alu instid0(VALU_DEP_2) | instskip(SKIP_1) | instid1(VALU_DEP_1)
	v_pk_fma_f32 v[140:141], v[138:139], v[126:127], v[136:137] op_sel:[0,0,1] op_sel_hi:[1,1,0] neg_lo:[0,0,1] neg_hi:[0,0,1]
	v_pk_fma_f32 v[136:137], v[138:139], v[126:127], v[136:137] op_sel:[0,0,1] op_sel_hi:[1,0,0]
	v_mov_b32_e32 v141, v137
	ds_load_2addr_b64 v[136:139], v130 offset0:41 offset1:42
	v_pk_add_f32 v[60:61], v[60:61], v[140:141] neg_lo:[0,1] neg_hi:[0,1]
	s_wait_dscnt 0x0
	v_pk_mul_f32 v[140:141], v[136:137], v[128:129] op_sel:[0,1]
	s_delay_alu instid0(VALU_DEP_1) | instskip(SKIP_1) | instid1(VALU_DEP_1)
	v_pk_fma_f32 v[142:143], v[136:137], v[126:127], v[140:141] op_sel:[0,0,1] op_sel_hi:[1,1,0] neg_lo:[0,0,1] neg_hi:[0,0,1]
	v_pk_fma_f32 v[136:137], v[136:137], v[126:127], v[140:141] op_sel:[0,0,1] op_sel_hi:[1,0,0]
	v_mov_b32_e32 v143, v137
	v_pk_mul_f32 v[136:137], v[138:139], v[128:129] op_sel:[0,1]
	s_delay_alu instid0(VALU_DEP_2) | instskip(NEXT) | instid1(VALU_DEP_2)
	v_pk_add_f32 v[56:57], v[56:57], v[142:143] neg_lo:[0,1] neg_hi:[0,1]
	v_pk_fma_f32 v[140:141], v[138:139], v[126:127], v[136:137] op_sel:[0,0,1] op_sel_hi:[1,1,0] neg_lo:[0,0,1] neg_hi:[0,0,1]
	v_pk_fma_f32 v[136:137], v[138:139], v[126:127], v[136:137] op_sel:[0,0,1] op_sel_hi:[1,0,0]
	s_delay_alu instid0(VALU_DEP_1) | instskip(SKIP_4) | instid1(VALU_DEP_1)
	v_mov_b32_e32 v141, v137
	ds_load_2addr_b64 v[136:139], v130 offset0:43 offset1:44
	v_pk_add_f32 v[58:59], v[58:59], v[140:141] neg_lo:[0,1] neg_hi:[0,1]
	s_wait_dscnt 0x0
	v_pk_mul_f32 v[140:141], v[136:137], v[128:129] op_sel:[0,1]
	v_pk_fma_f32 v[142:143], v[136:137], v[126:127], v[140:141] op_sel:[0,0,1] op_sel_hi:[1,1,0] neg_lo:[0,0,1] neg_hi:[0,0,1]
	v_pk_fma_f32 v[136:137], v[136:137], v[126:127], v[140:141] op_sel:[0,0,1] op_sel_hi:[1,0,0]
	v_dual_mul_f32 v140, v139, v129 :: v_dual_mov_b32 v136, v139
	s_delay_alu instid0(VALU_DEP_2) | instskip(NEXT) | instid1(VALU_DEP_2)
	v_dual_mov_b32 v143, v137 :: v_dual_mov_b32 v137, v138
	v_pk_fma_f32 v[140:141], v[138:139], v[76:77], v[140:141] op_sel_hi:[1,1,0] neg_lo:[0,0,1] neg_hi:[0,0,1]
	v_mul_f32_e32 v138, v139, v126
	s_delay_alu instid0(VALU_DEP_3) | instskip(NEXT) | instid1(VALU_DEP_2)
	v_pk_add_f32 v[12:13], v[12:13], v[142:143] neg_lo:[0,1] neg_hi:[0,1]
	v_pk_fma_f32 v[136:137], v[136:137], v[76:77], v[138:139] op_sel_hi:[1,1,0]
	s_delay_alu instid0(VALU_DEP_1) | instskip(SKIP_4) | instid1(VALU_DEP_1)
	v_mov_b32_e32 v141, v137
	ds_load_2addr_b64 v[136:139], v130 offset0:45 offset1:46
	v_pk_add_f32 v[54:55], v[54:55], v[140:141] neg_lo:[0,1] neg_hi:[0,1]
	s_wait_dscnt 0x0
	v_pk_mul_f32 v[140:141], v[136:137], v[128:129] op_sel:[0,1]
	v_pk_fma_f32 v[142:143], v[136:137], v[126:127], v[140:141] op_sel:[0,0,1] op_sel_hi:[1,1,0] neg_lo:[0,0,1] neg_hi:[0,0,1]
	v_pk_fma_f32 v[136:137], v[136:137], v[126:127], v[140:141] op_sel:[0,0,1] op_sel_hi:[1,0,0]
	s_delay_alu instid0(VALU_DEP_1) | instskip(SKIP_1) | instid1(VALU_DEP_1)
	v_mov_b32_e32 v143, v137
	v_pk_mul_f32 v[136:137], v[138:139], v[128:129] op_sel:[0,1]
	v_pk_fma_f32 v[140:141], v[138:139], v[126:127], v[136:137] op_sel:[0,0,1] op_sel_hi:[1,1,0] neg_lo:[0,0,1] neg_hi:[0,0,1]
	v_pk_fma_f32 v[136:137], v[138:139], v[126:127], v[136:137] op_sel:[0,0,1] op_sel_hi:[1,0,0]
	s_delay_alu instid0(VALU_DEP_1)
	v_mov_b32_e32 v141, v137
	ds_load_2addr_b64 v[136:139], v130 offset0:47 offset1:48
	v_pk_add_f32 v[50:51], v[50:51], v[142:143] neg_lo:[0,1] neg_hi:[0,1]
	v_pk_add_f32 v[52:53], v[52:53], v[140:141] neg_lo:[0,1] neg_hi:[0,1]
	s_wait_dscnt 0x0
	v_pk_mul_f32 v[140:141], v[136:137], v[128:129] op_sel:[0,1]
	s_delay_alu instid0(VALU_DEP_1) | instskip(SKIP_1) | instid1(VALU_DEP_1)
	v_pk_fma_f32 v[142:143], v[136:137], v[126:127], v[140:141] op_sel:[0,0,1] op_sel_hi:[1,1,0] neg_lo:[0,0,1] neg_hi:[0,0,1]
	v_pk_fma_f32 v[136:137], v[136:137], v[126:127], v[140:141] op_sel:[0,0,1] op_sel_hi:[1,0,0]
	v_mov_b32_e32 v143, v137
	v_pk_mul_f32 v[136:137], v[138:139], v[128:129] op_sel:[0,1]
	s_delay_alu instid0(VALU_DEP_1) | instskip(SKIP_1) | instid1(VALU_DEP_1)
	v_pk_fma_f32 v[140:141], v[138:139], v[126:127], v[136:137] op_sel:[0,0,1] op_sel_hi:[1,1,0] neg_lo:[0,0,1] neg_hi:[0,0,1]
	v_pk_fma_f32 v[136:137], v[138:139], v[126:127], v[136:137] op_sel:[0,0,1] op_sel_hi:[1,0,0]
	v_mov_b32_e32 v141, v137
	ds_load_2addr_b64 v[136:139], v130 offset0:49 offset1:50
	v_pk_add_f32 v[10:11], v[10:11], v[142:143] neg_lo:[0,1] neg_hi:[0,1]
	v_pk_add_f32 v[46:47], v[46:47], v[140:141] neg_lo:[0,1] neg_hi:[0,1]
	s_wait_dscnt 0x0
	v_dual_mul_f32 v140, v137, v129 :: v_dual_mul_f32 v142, v137, v126
	s_delay_alu instid0(VALU_DEP_1) | instskip(NEXT) | instid1(VALU_DEP_2)
	v_pk_fma_f32 v[140:141], v[136:137], v[76:77], v[140:141] op_sel_hi:[1,1,0] neg_lo:[0,0,1] neg_hi:[0,0,1]
	v_pk_fma_f32 v[136:137], v[136:137], v[76:77], v[142:143] op_sel:[1,0,0] op_sel_hi:[0,1,0]
	s_delay_alu instid0(VALU_DEP_1) | instskip(SKIP_1) | instid1(VALU_DEP_2)
	v_mov_b32_e32 v141, v137
	v_pk_mul_f32 v[136:137], v[138:139], v[128:129] op_sel:[0,1]
	v_pk_add_f32 v[44:45], v[44:45], v[140:141] neg_lo:[0,1] neg_hi:[0,1]
	s_delay_alu instid0(VALU_DEP_2) | instskip(SKIP_1) | instid1(VALU_DEP_1)
	v_pk_fma_f32 v[140:141], v[138:139], v[126:127], v[136:137] op_sel:[0,0,1] op_sel_hi:[1,1,0] neg_lo:[0,0,1] neg_hi:[0,0,1]
	v_pk_fma_f32 v[136:137], v[138:139], v[126:127], v[136:137] op_sel:[0,0,1] op_sel_hi:[1,0,0]
	v_mov_b32_e32 v141, v137
	ds_load_2addr_b64 v[136:139], v130 offset0:51 offset1:52
	v_pk_add_f32 v[48:49], v[48:49], v[140:141] neg_lo:[0,1] neg_hi:[0,1]
	s_wait_dscnt 0x0
	v_pk_mul_f32 v[140:141], v[136:137], v[128:129] op_sel:[0,1]
	s_delay_alu instid0(VALU_DEP_1) | instskip(SKIP_1) | instid1(VALU_DEP_1)
	v_pk_fma_f32 v[142:143], v[136:137], v[126:127], v[140:141] op_sel:[0,0,1] op_sel_hi:[1,1,0] neg_lo:[0,0,1] neg_hi:[0,0,1]
	v_pk_fma_f32 v[136:137], v[136:137], v[126:127], v[140:141] op_sel:[0,0,1] op_sel_hi:[1,0,0]
	v_mov_b32_e32 v143, v137
	v_pk_mul_f32 v[136:137], v[138:139], v[128:129] op_sel:[0,1]
	s_delay_alu instid0(VALU_DEP_2) | instskip(NEXT) | instid1(VALU_DEP_2)
	v_pk_add_f32 v[8:9], v[8:9], v[142:143] neg_lo:[0,1] neg_hi:[0,1]
	v_pk_fma_f32 v[140:141], v[138:139], v[126:127], v[136:137] op_sel:[0,0,1] op_sel_hi:[1,1,0] neg_lo:[0,0,1] neg_hi:[0,0,1]
	v_pk_fma_f32 v[136:137], v[138:139], v[126:127], v[136:137] op_sel:[0,0,1] op_sel_hi:[1,0,0]
	s_delay_alu instid0(VALU_DEP_1) | instskip(SKIP_4) | instid1(VALU_DEP_1)
	v_mov_b32_e32 v141, v137
	ds_load_2addr_b64 v[136:139], v130 offset0:53 offset1:54
	v_pk_add_f32 v[34:35], v[34:35], v[140:141] neg_lo:[0,1] neg_hi:[0,1]
	s_wait_dscnt 0x0
	v_pk_mul_f32 v[140:141], v[136:137], v[128:129] op_sel:[0,1]
	v_pk_fma_f32 v[142:143], v[136:137], v[126:127], v[140:141] op_sel:[0,0,1] op_sel_hi:[1,1,0] neg_lo:[0,0,1] neg_hi:[0,0,1]
	v_pk_fma_f32 v[136:137], v[136:137], v[126:127], v[140:141] op_sel:[0,0,1] op_sel_hi:[1,0,0]
	v_dual_mul_f32 v140, v139, v129 :: v_dual_mov_b32 v136, v139
	s_delay_alu instid0(VALU_DEP_2) | instskip(NEXT) | instid1(VALU_DEP_2)
	v_dual_mov_b32 v143, v137 :: v_dual_mov_b32 v137, v138
	v_pk_fma_f32 v[140:141], v[138:139], v[76:77], v[140:141] op_sel_hi:[1,1,0] neg_lo:[0,0,1] neg_hi:[0,0,1]
	v_mul_f32_e32 v138, v139, v126
	s_delay_alu instid0(VALU_DEP_3) | instskip(NEXT) | instid1(VALU_DEP_2)
	v_pk_add_f32 v[28:29], v[28:29], v[142:143] neg_lo:[0,1] neg_hi:[0,1]
	v_pk_fma_f32 v[136:137], v[136:137], v[76:77], v[138:139] op_sel_hi:[1,1,0]
	s_delay_alu instid0(VALU_DEP_1) | instskip(SKIP_4) | instid1(VALU_DEP_1)
	v_mov_b32_e32 v141, v137
	ds_load_2addr_b64 v[136:139], v130 offset0:55 offset1:56
	v_pk_add_f32 v[32:33], v[32:33], v[140:141] neg_lo:[0,1] neg_hi:[0,1]
	s_wait_dscnt 0x0
	v_pk_mul_f32 v[140:141], v[136:137], v[128:129] op_sel:[0,1]
	v_pk_fma_f32 v[142:143], v[136:137], v[126:127], v[140:141] op_sel:[0,0,1] op_sel_hi:[1,1,0] neg_lo:[0,0,1] neg_hi:[0,0,1]
	v_pk_fma_f32 v[136:137], v[136:137], v[126:127], v[140:141] op_sel:[0,0,1] op_sel_hi:[1,0,0]
	s_delay_alu instid0(VALU_DEP_1) | instskip(SKIP_1) | instid1(VALU_DEP_1)
	v_mov_b32_e32 v143, v137
	v_pk_mul_f32 v[136:137], v[138:139], v[128:129] op_sel:[0,1]
	v_pk_fma_f32 v[140:141], v[138:139], v[126:127], v[136:137] op_sel:[0,0,1] op_sel_hi:[1,1,0] neg_lo:[0,0,1] neg_hi:[0,0,1]
	v_pk_fma_f32 v[136:137], v[138:139], v[126:127], v[136:137] op_sel:[0,0,1] op_sel_hi:[1,0,0]
	s_delay_alu instid0(VALU_DEP_1)
	v_mov_b32_e32 v141, v137
	ds_load_2addr_b64 v[136:139], v130 offset0:57 offset1:58
	v_pk_add_f32 v[6:7], v[6:7], v[142:143] neg_lo:[0,1] neg_hi:[0,1]
	v_pk_add_f32 v[26:27], v[26:27], v[140:141] neg_lo:[0,1] neg_hi:[0,1]
	s_wait_dscnt 0x0
	v_pk_mul_f32 v[140:141], v[136:137], v[128:129] op_sel:[0,1]
	s_delay_alu instid0(VALU_DEP_1) | instskip(SKIP_1) | instid1(VALU_DEP_1)
	v_pk_fma_f32 v[142:143], v[136:137], v[126:127], v[140:141] op_sel:[0,0,1] op_sel_hi:[1,1,0] neg_lo:[0,0,1] neg_hi:[0,0,1]
	v_pk_fma_f32 v[136:137], v[136:137], v[126:127], v[140:141] op_sel:[0,0,1] op_sel_hi:[1,0,0]
	v_mov_b32_e32 v143, v137
	v_pk_mul_f32 v[136:137], v[138:139], v[128:129] op_sel:[0,1]
	s_delay_alu instid0(VALU_DEP_1) | instskip(SKIP_1) | instid1(VALU_DEP_1)
	v_pk_fma_f32 v[140:141], v[138:139], v[126:127], v[136:137] op_sel:[0,0,1] op_sel_hi:[1,1,0] neg_lo:[0,0,1] neg_hi:[0,0,1]
	v_pk_fma_f32 v[136:137], v[138:139], v[126:127], v[136:137] op_sel:[0,0,1] op_sel_hi:[1,0,0]
	v_mov_b32_e32 v141, v137
	ds_load_b64 v[136:137], v130 offset:472
	v_pk_add_f32 v[16:17], v[16:17], v[142:143] neg_lo:[0,1] neg_hi:[0,1]
	v_pk_add_f32 v[14:15], v[14:15], v[140:141] neg_lo:[0,1] neg_hi:[0,1]
	s_wait_dscnt 0x0
	v_pk_mul_f32 v[128:129], v[136:137], v[128:129] op_sel:[0,1]
	s_delay_alu instid0(VALU_DEP_1) | instskip(SKIP_1) | instid1(VALU_DEP_1)
	v_pk_fma_f32 v[138:139], v[136:137], v[126:127], v[128:129] op_sel:[0,0,1] op_sel_hi:[1,1,0] neg_lo:[0,0,1] neg_hi:[0,0,1]
	v_pk_fma_f32 v[126:127], v[136:137], v[126:127], v[128:129] op_sel:[0,0,1] op_sel_hi:[1,0,0]
	v_mov_b32_e32 v139, v127
	s_delay_alu instid0(VALU_DEP_1)
	v_pk_add_f32 v[124:125], v[124:125], v[138:139] neg_lo:[0,1] neg_hi:[0,1]
.LBB118_650:
	s_or_b32 exec_lo, exec_lo, s0
	v_lshl_add_u32 v126, v134, 3, v130
	s_barrier_signal -1
	s_barrier_wait -1
	ds_store_b64 v126, v[22:23]
	s_wait_dscnt 0x0
	s_barrier_signal -1
	s_barrier_wait -1
	ds_load_b64 v[128:129], v130 offset:248
	v_mov_b32_e32 v126, 31
	s_cmp_lt_i32 s18, 33
	s_cbranch_scc1 .LBB118_653
; %bb.651:
	v_add3_u32 v127, v131, 0, 0x100
	v_mov_b32_e32 v126, 31
	s_mov_b32 s0, 32
.LBB118_652:                            ; =>This Inner Loop Header: Depth=1
	ds_load_b64 v[136:137], v127
	s_wait_dscnt 0x1
	v_cmp_gt_f32_e32 vcc_lo, 0, v128
	v_cndmask_b32_e64 v138, v128, -v128, vcc_lo
	v_cmp_gt_f32_e32 vcc_lo, 0, v129
	v_cndmask_b32_e64 v140, v129, -v129, vcc_lo
	s_wait_dscnt 0x0
	v_cmp_gt_f32_e32 vcc_lo, 0, v136
	v_cndmask_b32_e64 v139, v136, -v136, vcc_lo
	v_cmp_gt_f32_e32 vcc_lo, 0, v137
	v_cndmask_b32_e64 v141, v137, -v137, vcc_lo
	s_delay_alu instid0(VALU_DEP_1) | instskip(NEXT) | instid1(VALU_DEP_1)
	v_pk_add_f32 v[138:139], v[138:139], v[140:141]
	v_cmp_lt_f32_e32 vcc_lo, v138, v139
	v_dual_add_nc_u32 v127, 8, v127 :: v_dual_cndmask_b32 v129, v129, v137, vcc_lo
	v_cndmask_b32_e32 v128, v128, v136, vcc_lo
	v_cndmask_b32_e64 v126, v126, s0, vcc_lo
	s_add_co_i32 s0, s0, 1
	s_delay_alu instid0(SALU_CYCLE_1)
	s_cmp_lg_u32 s18, s0
	s_cbranch_scc1 .LBB118_652
.LBB118_653:
	s_wait_dscnt 0x0
	v_cmp_eq_f32_e32 vcc_lo, 0, v128
	v_cmp_eq_f32_e64 s0, 0, v129
	s_and_b32 s0, vcc_lo, s0
	s_delay_alu instid0(SALU_CYCLE_1) | instskip(NEXT) | instid1(SALU_CYCLE_1)
	s_and_saveexec_b32 s1, s0
	s_xor_b32 s0, exec_lo, s1
; %bb.654:
	v_cmp_ne_u32_e32 vcc_lo, 0, v132
	v_cndmask_b32_e32 v132, 32, v132, vcc_lo
; %bb.655:
	s_and_not1_saveexec_b32 s0, s0
	s_cbranch_execz .LBB118_661
; %bb.656:
	v_cmp_ngt_f32_e64 s1, |v128|, |v129|
	s_and_saveexec_b32 s12, s1
	s_delay_alu instid0(SALU_CYCLE_1)
	s_xor_b32 s1, exec_lo, s12
	s_cbranch_execz .LBB118_658
; %bb.657:
	v_div_scale_f32 v127, null, v129, v129, v128
	v_div_scale_f32 v137, vcc_lo, v128, v129, v128
	s_delay_alu instid0(VALU_DEP_2) | instskip(SKIP_1) | instid1(TRANS32_DEP_1)
	v_rcp_f32_e32 v135, v127
	v_nop
	v_fma_f32 v136, -v127, v135, 1.0
	s_delay_alu instid0(VALU_DEP_1) | instskip(NEXT) | instid1(VALU_DEP_1)
	v_fmac_f32_e32 v135, v136, v135
	v_mul_f32_e32 v136, v137, v135
	s_delay_alu instid0(VALU_DEP_1) | instskip(NEXT) | instid1(VALU_DEP_1)
	v_fma_f32 v138, -v127, v136, v137
	v_fmac_f32_e32 v136, v138, v135
	s_delay_alu instid0(VALU_DEP_1) | instskip(NEXT) | instid1(VALU_DEP_1)
	v_fma_f32 v127, -v127, v136, v137
	v_div_fmas_f32 v127, v127, v135, v136
	s_delay_alu instid0(VALU_DEP_1) | instskip(NEXT) | instid1(VALU_DEP_1)
	v_div_fixup_f32 v127, v127, v129, v128
	v_fmac_f32_e32 v129, v128, v127
	s_delay_alu instid0(VALU_DEP_1) | instskip(SKIP_1) | instid1(VALU_DEP_2)
	v_div_scale_f32 v128, null, v129, v129, 1.0
	v_div_scale_f32 v137, vcc_lo, 1.0, v129, 1.0
	v_rcp_f32_e32 v135, v128
	v_nop
	s_delay_alu instid0(TRANS32_DEP_1) | instskip(NEXT) | instid1(VALU_DEP_1)
	v_fma_f32 v136, -v128, v135, 1.0
	v_fmac_f32_e32 v135, v136, v135
	s_delay_alu instid0(VALU_DEP_1) | instskip(NEXT) | instid1(VALU_DEP_1)
	v_mul_f32_e32 v136, v137, v135
	v_fma_f32 v138, -v128, v136, v137
	s_delay_alu instid0(VALU_DEP_1) | instskip(NEXT) | instid1(VALU_DEP_1)
	v_fmac_f32_e32 v136, v138, v135
	v_fma_f32 v128, -v128, v136, v137
	s_delay_alu instid0(VALU_DEP_1) | instskip(NEXT) | instid1(VALU_DEP_1)
	v_div_fmas_f32 v128, v128, v135, v136
	v_div_fixup_f32 v129, v128, v129, 1.0
	s_delay_alu instid0(VALU_DEP_1)
	v_mul_f32_e32 v128, v127, v129
	v_xor_b32_e32 v129, 0x80000000, v129
.LBB118_658:
	s_and_not1_saveexec_b32 s1, s1
	s_cbranch_execz .LBB118_660
; %bb.659:
	s_delay_alu instid0(VALU_DEP_1) | instskip(SKIP_1) | instid1(VALU_DEP_2)
	v_div_scale_f32 v127, null, v128, v128, v129
	v_div_scale_f32 v137, vcc_lo, v129, v128, v129
	v_rcp_f32_e32 v135, v127
	v_nop
	s_delay_alu instid0(TRANS32_DEP_1) | instskip(NEXT) | instid1(VALU_DEP_1)
	v_fma_f32 v136, -v127, v135, 1.0
	v_fmac_f32_e32 v135, v136, v135
	s_delay_alu instid0(VALU_DEP_1) | instskip(NEXT) | instid1(VALU_DEP_1)
	v_mul_f32_e32 v136, v137, v135
	v_fma_f32 v138, -v127, v136, v137
	s_delay_alu instid0(VALU_DEP_1) | instskip(NEXT) | instid1(VALU_DEP_1)
	v_fmac_f32_e32 v136, v138, v135
	v_fma_f32 v127, -v127, v136, v137
	s_delay_alu instid0(VALU_DEP_1) | instskip(NEXT) | instid1(VALU_DEP_1)
	v_div_fmas_f32 v127, v127, v135, v136
	v_div_fixup_f32 v127, v127, v128, v129
	s_delay_alu instid0(VALU_DEP_1) | instskip(NEXT) | instid1(VALU_DEP_1)
	v_fmac_f32_e32 v128, v129, v127
	v_div_scale_f32 v129, null, v128, v128, 1.0
	s_delay_alu instid0(VALU_DEP_1) | instskip(SKIP_1) | instid1(TRANS32_DEP_1)
	v_rcp_f32_e32 v135, v129
	v_nop
	v_fma_f32 v136, -v129, v135, 1.0
	s_delay_alu instid0(VALU_DEP_1) | instskip(SKIP_1) | instid1(VALU_DEP_1)
	v_fmac_f32_e32 v135, v136, v135
	v_div_scale_f32 v136, vcc_lo, 1.0, v128, 1.0
	v_mul_f32_e32 v137, v136, v135
	s_delay_alu instid0(VALU_DEP_1) | instskip(NEXT) | instid1(VALU_DEP_1)
	v_fma_f32 v138, -v129, v137, v136
	v_fmac_f32_e32 v137, v138, v135
	s_delay_alu instid0(VALU_DEP_1) | instskip(NEXT) | instid1(VALU_DEP_1)
	v_fma_f32 v129, -v129, v137, v136
	v_div_fmas_f32 v129, v129, v135, v137
	s_delay_alu instid0(VALU_DEP_1) | instskip(NEXT) | instid1(VALU_DEP_1)
	v_div_fixup_f32 v128, v129, v128, 1.0
	v_mul_f32_e64 v129, v127, -v128
.LBB118_660:
	s_or_b32 exec_lo, exec_lo, s1
.LBB118_661:
	s_delay_alu instid0(SALU_CYCLE_1) | instskip(NEXT) | instid1(SALU_CYCLE_1)
	s_or_b32 exec_lo, exec_lo, s0
	s_mov_b32 s0, exec_lo
	v_cmpx_ne_u32_e64 v134, v126
	s_xor_b32 s0, exec_lo, s0
	s_cbranch_execz .LBB118_667
; %bb.662:
	s_mov_b32 s1, exec_lo
	v_cmpx_eq_u32_e32 31, v134
	s_cbranch_execz .LBB118_666
; %bb.663:
	v_cmp_ne_u32_e32 vcc_lo, 31, v126
	s_xor_b32 s12, s16, -1
	s_delay_alu instid0(SALU_CYCLE_1) | instskip(NEXT) | instid1(SALU_CYCLE_1)
	s_and_b32 s13, s12, vcc_lo
	s_and_saveexec_b32 s12, s13
	s_cbranch_execz .LBB118_665
; %bb.664:
	v_ashrrev_i32_e32 v127, 31, v126
	s_delay_alu instid0(VALU_DEP_1)
	v_lshl_add_u64 v[134:135], v[126:127], 2, v[4:5]
	s_clause 0x1
	global_load_b32 v127, v[134:135], off
	global_load_b32 v133, v[4:5], off offset:124
	s_wait_loadcnt 0x1
	global_store_b32 v[4:5], v127, off offset:124
	s_wait_loadcnt 0x0
	global_store_b32 v[134:135], v133, off
.LBB118_665:
	s_wait_xcnt 0x0
	s_or_b32 exec_lo, exec_lo, s12
	v_dual_mov_b32 v134, v126 :: v_dual_mov_b32 v133, v126
.LBB118_666:
	s_or_b32 exec_lo, exec_lo, s1
.LBB118_667:
	s_and_not1_saveexec_b32 s0, s0
	s_cbranch_execz .LBB118_669
; %bb.668:
	v_dual_mov_b32 v126, v72 :: v_dual_mov_b32 v127, v73
	v_dual_mov_b32 v134, v68 :: v_dual_mov_b32 v135, v69
	;; [unrolled: 1-line block ×8, first 2 shown]
	ds_store_2addr_b64 v130, v[126:127], v[134:135] offset0:32 offset1:33
	ds_store_2addr_b64 v130, v[136:137], v[138:139] offset0:34 offset1:35
	;; [unrolled: 1-line block ×4, first 2 shown]
	v_dual_mov_b32 v126, v60 :: v_dual_mov_b32 v127, v61
	v_dual_mov_b32 v134, v56 :: v_dual_mov_b32 v135, v57
	;; [unrolled: 1-line block ×12, first 2 shown]
	ds_store_2addr_b64 v130, v[126:127], v[134:135] offset0:40 offset1:41
	ds_store_2addr_b64 v130, v[136:137], v[138:139] offset0:42 offset1:43
	ds_store_2addr_b64 v130, v[140:141], v[142:143] offset0:44 offset1:45
	ds_store_2addr_b64 v130, v[144:145], v[146:147] offset0:46 offset1:47
	ds_store_2addr_b64 v130, v[148:149], v[150:151] offset0:48 offset1:49
	ds_store_2addr_b64 v130, v[152:153], v[154:155] offset0:50 offset1:51
	v_dual_mov_b32 v126, v34 :: v_dual_mov_b32 v127, v35
	v_dual_mov_b32 v136, v28 :: v_dual_mov_b32 v137, v29
	;; [unrolled: 1-line block ×7, first 2 shown]
	v_mov_b32_e32 v147, v15
	ds_store_2addr_b64 v130, v[126:127], v[136:137] offset0:52 offset1:53
	ds_store_2addr_b64 v130, v[138:139], v[140:141] offset0:54 offset1:55
	;; [unrolled: 1-line block ×4, first 2 shown]
.LBB118_669:
	s_or_b32 exec_lo, exec_lo, s0
	s_delay_alu instid0(SALU_CYCLE_1)
	s_mov_b32 s0, exec_lo
	s_wait_storecnt_dscnt 0x0
	s_barrier_signal -1
	s_barrier_wait -1
	v_cmpx_lt_i32_e32 31, v134
	s_cbranch_execz .LBB118_671
; %bb.670:
	v_pk_mul_f32 v[136:137], v[128:129], v[22:23] op_sel:[1,1] op_sel_hi:[0,1]
	s_delay_alu instid0(VALU_DEP_1)
	v_pk_fma_f32 v[126:127], v[128:129], v[22:23], v[136:137] op_sel_hi:[1,0,1] neg_lo:[0,0,1] neg_hi:[0,0,1]
	v_pk_fma_f32 v[128:129], v[128:129], v[22:23], v[136:137] op_sel_hi:[1,0,1]
	ds_load_2addr_b64 v[136:139], v130 offset0:32 offset1:33
	v_dual_mov_b32 v22, v126 :: v_dual_mov_b32 v23, v129
	s_wait_dscnt 0x0
	v_pk_mul_f32 v[140:141], v[136:137], v[128:129] op_sel:[0,1]
	s_delay_alu instid0(VALU_DEP_1) | instskip(SKIP_1) | instid1(VALU_DEP_1)
	v_pk_fma_f32 v[142:143], v[136:137], v[126:127], v[140:141] op_sel:[0,0,1] op_sel_hi:[1,1,0] neg_lo:[0,0,1] neg_hi:[0,0,1]
	v_pk_fma_f32 v[136:137], v[136:137], v[126:127], v[140:141] op_sel:[0,0,1] op_sel_hi:[1,0,0]
	v_mov_b32_e32 v143, v137
	v_pk_mul_f32 v[136:137], v[138:139], v[128:129] op_sel:[0,1]
	s_delay_alu instid0(VALU_DEP_1) | instskip(SKIP_1) | instid1(VALU_DEP_1)
	v_pk_fma_f32 v[140:141], v[138:139], v[126:127], v[136:137] op_sel:[0,0,1] op_sel_hi:[1,1,0] neg_lo:[0,0,1] neg_hi:[0,0,1]
	v_pk_fma_f32 v[136:137], v[138:139], v[126:127], v[136:137] op_sel:[0,0,1] op_sel_hi:[1,0,0]
	v_mov_b32_e32 v141, v137
	ds_load_2addr_b64 v[136:139], v130 offset0:34 offset1:35
	v_pk_add_f32 v[72:73], v[72:73], v[142:143] neg_lo:[0,1] neg_hi:[0,1]
	v_pk_add_f32 v[68:69], v[68:69], v[140:141] neg_lo:[0,1] neg_hi:[0,1]
	s_wait_dscnt 0x0
	v_pk_mul_f32 v[140:141], v[136:137], v[128:129] op_sel:[0,1]
	s_delay_alu instid0(VALU_DEP_1) | instskip(SKIP_2) | instid1(VALU_DEP_2)
	v_pk_fma_f32 v[142:143], v[136:137], v[126:127], v[140:141] op_sel:[0,0,1] op_sel_hi:[1,1,0] neg_lo:[0,0,1] neg_hi:[0,0,1]
	v_pk_fma_f32 v[136:137], v[136:137], v[126:127], v[140:141] op_sel:[0,0,1] op_sel_hi:[1,0,0]
	v_dual_mul_f32 v140, v139, v129 :: v_dual_mov_b32 v136, v139
	v_dual_mov_b32 v143, v137 :: v_dual_mov_b32 v137, v138
	s_delay_alu instid0(VALU_DEP_2) | instskip(SKIP_1) | instid1(VALU_DEP_3)
	v_pk_fma_f32 v[140:141], v[138:139], v[22:23], v[140:141] op_sel_hi:[1,1,0] neg_lo:[0,0,1] neg_hi:[0,0,1]
	v_mul_f32_e32 v138, v139, v126
	v_pk_add_f32 v[70:71], v[70:71], v[142:143] neg_lo:[0,1] neg_hi:[0,1]
	s_delay_alu instid0(VALU_DEP_2) | instskip(NEXT) | instid1(VALU_DEP_1)
	v_pk_fma_f32 v[136:137], v[136:137], v[22:23], v[138:139] op_sel_hi:[1,1,0]
	v_mov_b32_e32 v141, v137
	ds_load_2addr_b64 v[136:139], v130 offset0:36 offset1:37
	v_pk_add_f32 v[20:21], v[20:21], v[140:141] neg_lo:[0,1] neg_hi:[0,1]
	s_wait_dscnt 0x0
	v_pk_mul_f32 v[140:141], v[136:137], v[128:129] op_sel:[0,1]
	s_delay_alu instid0(VALU_DEP_1) | instskip(SKIP_1) | instid1(VALU_DEP_1)
	v_pk_fma_f32 v[142:143], v[136:137], v[126:127], v[140:141] op_sel:[0,0,1] op_sel_hi:[1,1,0] neg_lo:[0,0,1] neg_hi:[0,0,1]
	v_pk_fma_f32 v[136:137], v[136:137], v[126:127], v[140:141] op_sel:[0,0,1] op_sel_hi:[1,0,0]
	v_mov_b32_e32 v143, v137
	v_pk_mul_f32 v[136:137], v[138:139], v[128:129] op_sel:[0,1]
	s_delay_alu instid0(VALU_DEP_1) | instskip(SKIP_1) | instid1(VALU_DEP_1)
	v_pk_fma_f32 v[140:141], v[138:139], v[126:127], v[136:137] op_sel:[0,0,1] op_sel_hi:[1,1,0] neg_lo:[0,0,1] neg_hi:[0,0,1]
	v_pk_fma_f32 v[136:137], v[138:139], v[126:127], v[136:137] op_sel:[0,0,1] op_sel_hi:[1,0,0]
	v_mov_b32_e32 v141, v137
	ds_load_2addr_b64 v[136:139], v130 offset0:38 offset1:39
	v_pk_add_f32 v[66:67], v[66:67], v[142:143] neg_lo:[0,1] neg_hi:[0,1]
	v_pk_add_f32 v[62:63], v[62:63], v[140:141] neg_lo:[0,1] neg_hi:[0,1]
	s_wait_dscnt 0x0
	v_pk_mul_f32 v[140:141], v[136:137], v[128:129] op_sel:[0,1]
	s_delay_alu instid0(VALU_DEP_1) | instskip(SKIP_1) | instid1(VALU_DEP_1)
	v_pk_fma_f32 v[142:143], v[136:137], v[126:127], v[140:141] op_sel:[0,0,1] op_sel_hi:[1,1,0] neg_lo:[0,0,1] neg_hi:[0,0,1]
	v_pk_fma_f32 v[136:137], v[136:137], v[126:127], v[140:141] op_sel:[0,0,1] op_sel_hi:[1,0,0]
	v_mov_b32_e32 v143, v137
	v_pk_mul_f32 v[136:137], v[138:139], v[128:129] op_sel:[0,1]
	s_delay_alu instid0(VALU_DEP_1) | instskip(SKIP_1) | instid1(VALU_DEP_1)
	v_pk_fma_f32 v[140:141], v[138:139], v[126:127], v[136:137] op_sel:[0,0,1] op_sel_hi:[1,1,0] neg_lo:[0,0,1] neg_hi:[0,0,1]
	v_pk_fma_f32 v[136:137], v[138:139], v[126:127], v[136:137] op_sel:[0,0,1] op_sel_hi:[1,0,0]
	v_mov_b32_e32 v141, v137
	ds_load_2addr_b64 v[136:139], v130 offset0:40 offset1:41
	v_pk_add_f32 v[64:65], v[64:65], v[142:143] neg_lo:[0,1] neg_hi:[0,1]
	v_pk_add_f32 v[18:19], v[18:19], v[140:141] neg_lo:[0,1] neg_hi:[0,1]
	s_wait_dscnt 0x0
	v_dual_mul_f32 v140, v137, v129 :: v_dual_mul_f32 v142, v137, v126
	s_delay_alu instid0(VALU_DEP_1) | instskip(NEXT) | instid1(VALU_DEP_2)
	v_pk_fma_f32 v[140:141], v[136:137], v[22:23], v[140:141] op_sel_hi:[1,1,0] neg_lo:[0,0,1] neg_hi:[0,0,1]
	v_pk_fma_f32 v[136:137], v[136:137], v[22:23], v[142:143] op_sel:[1,0,0] op_sel_hi:[0,1,0]
	s_delay_alu instid0(VALU_DEP_1) | instskip(SKIP_1) | instid1(VALU_DEP_2)
	v_mov_b32_e32 v141, v137
	v_pk_mul_f32 v[136:137], v[138:139], v[128:129] op_sel:[0,1]
	v_pk_add_f32 v[60:61], v[60:61], v[140:141] neg_lo:[0,1] neg_hi:[0,1]
	s_delay_alu instid0(VALU_DEP_2) | instskip(SKIP_1) | instid1(VALU_DEP_1)
	v_pk_fma_f32 v[140:141], v[138:139], v[126:127], v[136:137] op_sel:[0,0,1] op_sel_hi:[1,1,0] neg_lo:[0,0,1] neg_hi:[0,0,1]
	v_pk_fma_f32 v[136:137], v[138:139], v[126:127], v[136:137] op_sel:[0,0,1] op_sel_hi:[1,0,0]
	v_mov_b32_e32 v141, v137
	ds_load_2addr_b64 v[136:139], v130 offset0:42 offset1:43
	v_pk_add_f32 v[56:57], v[56:57], v[140:141] neg_lo:[0,1] neg_hi:[0,1]
	s_wait_dscnt 0x0
	v_pk_mul_f32 v[140:141], v[136:137], v[128:129] op_sel:[0,1]
	s_delay_alu instid0(VALU_DEP_1) | instskip(SKIP_1) | instid1(VALU_DEP_1)
	v_pk_fma_f32 v[142:143], v[136:137], v[126:127], v[140:141] op_sel:[0,0,1] op_sel_hi:[1,1,0] neg_lo:[0,0,1] neg_hi:[0,0,1]
	v_pk_fma_f32 v[136:137], v[136:137], v[126:127], v[140:141] op_sel:[0,0,1] op_sel_hi:[1,0,0]
	v_mov_b32_e32 v143, v137
	v_pk_mul_f32 v[136:137], v[138:139], v[128:129] op_sel:[0,1]
	s_delay_alu instid0(VALU_DEP_2) | instskip(NEXT) | instid1(VALU_DEP_2)
	v_pk_add_f32 v[58:59], v[58:59], v[142:143] neg_lo:[0,1] neg_hi:[0,1]
	v_pk_fma_f32 v[140:141], v[138:139], v[126:127], v[136:137] op_sel:[0,0,1] op_sel_hi:[1,1,0] neg_lo:[0,0,1] neg_hi:[0,0,1]
	v_pk_fma_f32 v[136:137], v[138:139], v[126:127], v[136:137] op_sel:[0,0,1] op_sel_hi:[1,0,0]
	s_delay_alu instid0(VALU_DEP_1) | instskip(SKIP_4) | instid1(VALU_DEP_1)
	v_mov_b32_e32 v141, v137
	ds_load_2addr_b64 v[136:139], v130 offset0:44 offset1:45
	v_pk_add_f32 v[12:13], v[12:13], v[140:141] neg_lo:[0,1] neg_hi:[0,1]
	s_wait_dscnt 0x0
	v_pk_mul_f32 v[140:141], v[136:137], v[128:129] op_sel:[0,1]
	v_pk_fma_f32 v[142:143], v[136:137], v[126:127], v[140:141] op_sel:[0,0,1] op_sel_hi:[1,1,0] neg_lo:[0,0,1] neg_hi:[0,0,1]
	v_pk_fma_f32 v[136:137], v[136:137], v[126:127], v[140:141] op_sel:[0,0,1] op_sel_hi:[1,0,0]
	v_dual_mul_f32 v140, v139, v129 :: v_dual_mov_b32 v136, v139
	s_delay_alu instid0(VALU_DEP_2) | instskip(NEXT) | instid1(VALU_DEP_2)
	v_dual_mov_b32 v143, v137 :: v_dual_mov_b32 v137, v138
	v_pk_fma_f32 v[140:141], v[138:139], v[22:23], v[140:141] op_sel_hi:[1,1,0] neg_lo:[0,0,1] neg_hi:[0,0,1]
	v_mul_f32_e32 v138, v139, v126
	s_delay_alu instid0(VALU_DEP_3) | instskip(NEXT) | instid1(VALU_DEP_2)
	v_pk_add_f32 v[54:55], v[54:55], v[142:143] neg_lo:[0,1] neg_hi:[0,1]
	v_pk_fma_f32 v[136:137], v[136:137], v[22:23], v[138:139] op_sel_hi:[1,1,0]
	s_delay_alu instid0(VALU_DEP_1) | instskip(SKIP_4) | instid1(VALU_DEP_1)
	v_mov_b32_e32 v141, v137
	ds_load_2addr_b64 v[136:139], v130 offset0:46 offset1:47
	v_pk_add_f32 v[50:51], v[50:51], v[140:141] neg_lo:[0,1] neg_hi:[0,1]
	s_wait_dscnt 0x0
	v_pk_mul_f32 v[140:141], v[136:137], v[128:129] op_sel:[0,1]
	v_pk_fma_f32 v[142:143], v[136:137], v[126:127], v[140:141] op_sel:[0,0,1] op_sel_hi:[1,1,0] neg_lo:[0,0,1] neg_hi:[0,0,1]
	v_pk_fma_f32 v[136:137], v[136:137], v[126:127], v[140:141] op_sel:[0,0,1] op_sel_hi:[1,0,0]
	s_delay_alu instid0(VALU_DEP_1) | instskip(SKIP_1) | instid1(VALU_DEP_1)
	v_mov_b32_e32 v143, v137
	v_pk_mul_f32 v[136:137], v[138:139], v[128:129] op_sel:[0,1]
	v_pk_fma_f32 v[140:141], v[138:139], v[126:127], v[136:137] op_sel:[0,0,1] op_sel_hi:[1,1,0] neg_lo:[0,0,1] neg_hi:[0,0,1]
	v_pk_fma_f32 v[136:137], v[138:139], v[126:127], v[136:137] op_sel:[0,0,1] op_sel_hi:[1,0,0]
	s_delay_alu instid0(VALU_DEP_1)
	v_mov_b32_e32 v141, v137
	ds_load_2addr_b64 v[136:139], v130 offset0:48 offset1:49
	v_pk_add_f32 v[52:53], v[52:53], v[142:143] neg_lo:[0,1] neg_hi:[0,1]
	v_pk_add_f32 v[10:11], v[10:11], v[140:141] neg_lo:[0,1] neg_hi:[0,1]
	s_wait_dscnt 0x0
	v_pk_mul_f32 v[140:141], v[136:137], v[128:129] op_sel:[0,1]
	s_delay_alu instid0(VALU_DEP_1) | instskip(SKIP_1) | instid1(VALU_DEP_1)
	v_pk_fma_f32 v[142:143], v[136:137], v[126:127], v[140:141] op_sel:[0,0,1] op_sel_hi:[1,1,0] neg_lo:[0,0,1] neg_hi:[0,0,1]
	v_pk_fma_f32 v[136:137], v[136:137], v[126:127], v[140:141] op_sel:[0,0,1] op_sel_hi:[1,0,0]
	v_mov_b32_e32 v143, v137
	v_pk_mul_f32 v[136:137], v[138:139], v[128:129] op_sel:[0,1]
	s_delay_alu instid0(VALU_DEP_1) | instskip(SKIP_1) | instid1(VALU_DEP_1)
	v_pk_fma_f32 v[140:141], v[138:139], v[126:127], v[136:137] op_sel:[0,0,1] op_sel_hi:[1,1,0] neg_lo:[0,0,1] neg_hi:[0,0,1]
	v_pk_fma_f32 v[136:137], v[138:139], v[126:127], v[136:137] op_sel:[0,0,1] op_sel_hi:[1,0,0]
	v_mov_b32_e32 v141, v137
	ds_load_2addr_b64 v[136:139], v130 offset0:50 offset1:51
	v_pk_add_f32 v[46:47], v[46:47], v[142:143] neg_lo:[0,1] neg_hi:[0,1]
	v_pk_add_f32 v[44:45], v[44:45], v[140:141] neg_lo:[0,1] neg_hi:[0,1]
	s_wait_dscnt 0x0
	v_dual_mul_f32 v140, v137, v129 :: v_dual_mul_f32 v142, v137, v126
	s_delay_alu instid0(VALU_DEP_1) | instskip(NEXT) | instid1(VALU_DEP_2)
	v_pk_fma_f32 v[140:141], v[136:137], v[22:23], v[140:141] op_sel_hi:[1,1,0] neg_lo:[0,0,1] neg_hi:[0,0,1]
	v_pk_fma_f32 v[136:137], v[136:137], v[22:23], v[142:143] op_sel:[1,0,0] op_sel_hi:[0,1,0]
	s_delay_alu instid0(VALU_DEP_1) | instskip(SKIP_1) | instid1(VALU_DEP_2)
	v_mov_b32_e32 v141, v137
	v_pk_mul_f32 v[136:137], v[138:139], v[128:129] op_sel:[0,1]
	v_pk_add_f32 v[48:49], v[48:49], v[140:141] neg_lo:[0,1] neg_hi:[0,1]
	s_delay_alu instid0(VALU_DEP_2) | instskip(SKIP_1) | instid1(VALU_DEP_1)
	v_pk_fma_f32 v[140:141], v[138:139], v[126:127], v[136:137] op_sel:[0,0,1] op_sel_hi:[1,1,0] neg_lo:[0,0,1] neg_hi:[0,0,1]
	v_pk_fma_f32 v[136:137], v[138:139], v[126:127], v[136:137] op_sel:[0,0,1] op_sel_hi:[1,0,0]
	v_mov_b32_e32 v141, v137
	ds_load_2addr_b64 v[136:139], v130 offset0:52 offset1:53
	v_pk_add_f32 v[8:9], v[8:9], v[140:141] neg_lo:[0,1] neg_hi:[0,1]
	s_wait_dscnt 0x0
	v_pk_mul_f32 v[140:141], v[136:137], v[128:129] op_sel:[0,1]
	s_delay_alu instid0(VALU_DEP_1) | instskip(SKIP_1) | instid1(VALU_DEP_1)
	v_pk_fma_f32 v[142:143], v[136:137], v[126:127], v[140:141] op_sel:[0,0,1] op_sel_hi:[1,1,0] neg_lo:[0,0,1] neg_hi:[0,0,1]
	v_pk_fma_f32 v[136:137], v[136:137], v[126:127], v[140:141] op_sel:[0,0,1] op_sel_hi:[1,0,0]
	v_mov_b32_e32 v143, v137
	v_pk_mul_f32 v[136:137], v[138:139], v[128:129] op_sel:[0,1]
	s_delay_alu instid0(VALU_DEP_2) | instskip(NEXT) | instid1(VALU_DEP_2)
	v_pk_add_f32 v[34:35], v[34:35], v[142:143] neg_lo:[0,1] neg_hi:[0,1]
	v_pk_fma_f32 v[140:141], v[138:139], v[126:127], v[136:137] op_sel:[0,0,1] op_sel_hi:[1,1,0] neg_lo:[0,0,1] neg_hi:[0,0,1]
	v_pk_fma_f32 v[136:137], v[138:139], v[126:127], v[136:137] op_sel:[0,0,1] op_sel_hi:[1,0,0]
	s_delay_alu instid0(VALU_DEP_1) | instskip(SKIP_4) | instid1(VALU_DEP_1)
	v_mov_b32_e32 v141, v137
	ds_load_2addr_b64 v[136:139], v130 offset0:54 offset1:55
	v_pk_add_f32 v[28:29], v[28:29], v[140:141] neg_lo:[0,1] neg_hi:[0,1]
	s_wait_dscnt 0x0
	v_pk_mul_f32 v[140:141], v[136:137], v[128:129] op_sel:[0,1]
	v_pk_fma_f32 v[142:143], v[136:137], v[126:127], v[140:141] op_sel:[0,0,1] op_sel_hi:[1,1,0] neg_lo:[0,0,1] neg_hi:[0,0,1]
	v_pk_fma_f32 v[136:137], v[136:137], v[126:127], v[140:141] op_sel:[0,0,1] op_sel_hi:[1,0,0]
	v_dual_mul_f32 v140, v139, v129 :: v_dual_mov_b32 v136, v139
	s_delay_alu instid0(VALU_DEP_2) | instskip(NEXT) | instid1(VALU_DEP_2)
	v_dual_mov_b32 v143, v137 :: v_dual_mov_b32 v137, v138
	v_pk_fma_f32 v[140:141], v[138:139], v[22:23], v[140:141] op_sel_hi:[1,1,0] neg_lo:[0,0,1] neg_hi:[0,0,1]
	v_mul_f32_e32 v138, v139, v126
	s_delay_alu instid0(VALU_DEP_3) | instskip(NEXT) | instid1(VALU_DEP_2)
	v_pk_add_f32 v[32:33], v[32:33], v[142:143] neg_lo:[0,1] neg_hi:[0,1]
	v_pk_fma_f32 v[136:137], v[136:137], v[22:23], v[138:139] op_sel_hi:[1,1,0]
	s_delay_alu instid0(VALU_DEP_1) | instskip(SKIP_4) | instid1(VALU_DEP_1)
	v_mov_b32_e32 v141, v137
	ds_load_2addr_b64 v[136:139], v130 offset0:56 offset1:57
	v_pk_add_f32 v[6:7], v[6:7], v[140:141] neg_lo:[0,1] neg_hi:[0,1]
	s_wait_dscnt 0x0
	v_pk_mul_f32 v[140:141], v[136:137], v[128:129] op_sel:[0,1]
	v_pk_fma_f32 v[142:143], v[136:137], v[126:127], v[140:141] op_sel:[0,0,1] op_sel_hi:[1,1,0] neg_lo:[0,0,1] neg_hi:[0,0,1]
	v_pk_fma_f32 v[136:137], v[136:137], v[126:127], v[140:141] op_sel:[0,0,1] op_sel_hi:[1,0,0]
	s_delay_alu instid0(VALU_DEP_1) | instskip(SKIP_1) | instid1(VALU_DEP_1)
	v_mov_b32_e32 v143, v137
	v_pk_mul_f32 v[136:137], v[138:139], v[128:129] op_sel:[0,1]
	v_pk_fma_f32 v[140:141], v[138:139], v[126:127], v[136:137] op_sel:[0,0,1] op_sel_hi:[1,1,0] neg_lo:[0,0,1] neg_hi:[0,0,1]
	v_pk_fma_f32 v[136:137], v[138:139], v[126:127], v[136:137] op_sel:[0,0,1] op_sel_hi:[1,0,0]
	s_delay_alu instid0(VALU_DEP_1)
	v_mov_b32_e32 v141, v137
	ds_load_2addr_b64 v[136:139], v130 offset0:58 offset1:59
	v_pk_add_f32 v[26:27], v[26:27], v[142:143] neg_lo:[0,1] neg_hi:[0,1]
	v_pk_add_f32 v[16:17], v[16:17], v[140:141] neg_lo:[0,1] neg_hi:[0,1]
	s_wait_dscnt 0x0
	v_pk_mul_f32 v[140:141], v[136:137], v[128:129] op_sel:[0,1]
	v_pk_mul_f32 v[128:129], v[138:139], v[128:129] op_sel:[0,1]
	s_delay_alu instid0(VALU_DEP_2) | instskip(SKIP_1) | instid1(VALU_DEP_1)
	v_pk_fma_f32 v[142:143], v[136:137], v[126:127], v[140:141] op_sel:[0,0,1] op_sel_hi:[1,1,0] neg_lo:[0,0,1] neg_hi:[0,0,1]
	v_pk_fma_f32 v[136:137], v[136:137], v[126:127], v[140:141] op_sel:[0,0,1] op_sel_hi:[1,0,0]
	v_mov_b32_e32 v143, v137
	s_delay_alu instid0(VALU_DEP_4) | instskip(SKIP_1) | instid1(VALU_DEP_1)
	v_pk_fma_f32 v[136:137], v[138:139], v[126:127], v[128:129] op_sel:[0,0,1] op_sel_hi:[1,1,0] neg_lo:[0,0,1] neg_hi:[0,0,1]
	v_pk_fma_f32 v[126:127], v[138:139], v[126:127], v[128:129] op_sel:[0,0,1] op_sel_hi:[1,0,0]
	v_mov_b32_e32 v137, v127
	s_delay_alu instid0(VALU_DEP_4) | instskip(NEXT) | instid1(VALU_DEP_2)
	v_pk_add_f32 v[14:15], v[14:15], v[142:143] neg_lo:[0,1] neg_hi:[0,1]
	v_pk_add_f32 v[124:125], v[124:125], v[136:137] neg_lo:[0,1] neg_hi:[0,1]
.LBB118_671:
	s_or_b32 exec_lo, exec_lo, s0
	v_lshl_add_u32 v126, v134, 3, v130
	s_barrier_signal -1
	s_barrier_wait -1
	ds_store_b64 v126, v[72:73]
	s_wait_dscnt 0x0
	s_barrier_signal -1
	s_barrier_wait -1
	ds_load_b64 v[128:129], v130 offset:256
	v_mov_b32_e32 v126, 32
	s_cmp_lt_i32 s18, 34
	s_cbranch_scc1 .LBB118_674
; %bb.672:
	v_add3_u32 v127, v131, 0, 0x108
	v_mov_b32_e32 v126, 32
	s_mov_b32 s0, 33
.LBB118_673:                            ; =>This Inner Loop Header: Depth=1
	ds_load_b64 v[136:137], v127
	s_wait_dscnt 0x1
	v_cmp_gt_f32_e32 vcc_lo, 0, v128
	v_cndmask_b32_e64 v138, v128, -v128, vcc_lo
	v_cmp_gt_f32_e32 vcc_lo, 0, v129
	v_cndmask_b32_e64 v140, v129, -v129, vcc_lo
	s_wait_dscnt 0x0
	v_cmp_gt_f32_e32 vcc_lo, 0, v136
	v_cndmask_b32_e64 v139, v136, -v136, vcc_lo
	v_cmp_gt_f32_e32 vcc_lo, 0, v137
	v_cndmask_b32_e64 v141, v137, -v137, vcc_lo
	s_delay_alu instid0(VALU_DEP_1) | instskip(NEXT) | instid1(VALU_DEP_1)
	v_pk_add_f32 v[138:139], v[138:139], v[140:141]
	v_cmp_lt_f32_e32 vcc_lo, v138, v139
	v_dual_add_nc_u32 v127, 8, v127 :: v_dual_cndmask_b32 v129, v129, v137, vcc_lo
	v_cndmask_b32_e32 v128, v128, v136, vcc_lo
	v_cndmask_b32_e64 v126, v126, s0, vcc_lo
	s_add_co_i32 s0, s0, 1
	s_delay_alu instid0(SALU_CYCLE_1)
	s_cmp_lg_u32 s18, s0
	s_cbranch_scc1 .LBB118_673
.LBB118_674:
	s_wait_dscnt 0x0
	v_cmp_eq_f32_e32 vcc_lo, 0, v128
	v_cmp_eq_f32_e64 s0, 0, v129
	s_and_b32 s0, vcc_lo, s0
	s_delay_alu instid0(SALU_CYCLE_1) | instskip(NEXT) | instid1(SALU_CYCLE_1)
	s_and_saveexec_b32 s1, s0
	s_xor_b32 s0, exec_lo, s1
; %bb.675:
	v_cmp_ne_u32_e32 vcc_lo, 0, v132
	v_cndmask_b32_e32 v132, 33, v132, vcc_lo
; %bb.676:
	s_and_not1_saveexec_b32 s0, s0
	s_cbranch_execz .LBB118_682
; %bb.677:
	v_cmp_ngt_f32_e64 s1, |v128|, |v129|
	s_and_saveexec_b32 s12, s1
	s_delay_alu instid0(SALU_CYCLE_1)
	s_xor_b32 s1, exec_lo, s12
	s_cbranch_execz .LBB118_679
; %bb.678:
	v_div_scale_f32 v127, null, v129, v129, v128
	v_div_scale_f32 v137, vcc_lo, v128, v129, v128
	s_delay_alu instid0(VALU_DEP_2) | instskip(SKIP_1) | instid1(TRANS32_DEP_1)
	v_rcp_f32_e32 v135, v127
	v_nop
	v_fma_f32 v136, -v127, v135, 1.0
	s_delay_alu instid0(VALU_DEP_1) | instskip(NEXT) | instid1(VALU_DEP_1)
	v_fmac_f32_e32 v135, v136, v135
	v_mul_f32_e32 v136, v137, v135
	s_delay_alu instid0(VALU_DEP_1) | instskip(NEXT) | instid1(VALU_DEP_1)
	v_fma_f32 v138, -v127, v136, v137
	v_fmac_f32_e32 v136, v138, v135
	s_delay_alu instid0(VALU_DEP_1) | instskip(NEXT) | instid1(VALU_DEP_1)
	v_fma_f32 v127, -v127, v136, v137
	v_div_fmas_f32 v127, v127, v135, v136
	s_delay_alu instid0(VALU_DEP_1) | instskip(NEXT) | instid1(VALU_DEP_1)
	v_div_fixup_f32 v127, v127, v129, v128
	v_fmac_f32_e32 v129, v128, v127
	s_delay_alu instid0(VALU_DEP_1) | instskip(SKIP_1) | instid1(VALU_DEP_2)
	v_div_scale_f32 v128, null, v129, v129, 1.0
	v_div_scale_f32 v137, vcc_lo, 1.0, v129, 1.0
	v_rcp_f32_e32 v135, v128
	v_nop
	s_delay_alu instid0(TRANS32_DEP_1) | instskip(NEXT) | instid1(VALU_DEP_1)
	v_fma_f32 v136, -v128, v135, 1.0
	v_fmac_f32_e32 v135, v136, v135
	s_delay_alu instid0(VALU_DEP_1) | instskip(NEXT) | instid1(VALU_DEP_1)
	v_mul_f32_e32 v136, v137, v135
	v_fma_f32 v138, -v128, v136, v137
	s_delay_alu instid0(VALU_DEP_1) | instskip(NEXT) | instid1(VALU_DEP_1)
	v_fmac_f32_e32 v136, v138, v135
	v_fma_f32 v128, -v128, v136, v137
	s_delay_alu instid0(VALU_DEP_1) | instskip(NEXT) | instid1(VALU_DEP_1)
	v_div_fmas_f32 v128, v128, v135, v136
	v_div_fixup_f32 v129, v128, v129, 1.0
	s_delay_alu instid0(VALU_DEP_1)
	v_mul_f32_e32 v128, v127, v129
	v_xor_b32_e32 v129, 0x80000000, v129
.LBB118_679:
	s_and_not1_saveexec_b32 s1, s1
	s_cbranch_execz .LBB118_681
; %bb.680:
	s_delay_alu instid0(VALU_DEP_1) | instskip(SKIP_1) | instid1(VALU_DEP_2)
	v_div_scale_f32 v127, null, v128, v128, v129
	v_div_scale_f32 v137, vcc_lo, v129, v128, v129
	v_rcp_f32_e32 v135, v127
	v_nop
	s_delay_alu instid0(TRANS32_DEP_1) | instskip(NEXT) | instid1(VALU_DEP_1)
	v_fma_f32 v136, -v127, v135, 1.0
	v_fmac_f32_e32 v135, v136, v135
	s_delay_alu instid0(VALU_DEP_1) | instskip(NEXT) | instid1(VALU_DEP_1)
	v_mul_f32_e32 v136, v137, v135
	v_fma_f32 v138, -v127, v136, v137
	s_delay_alu instid0(VALU_DEP_1) | instskip(NEXT) | instid1(VALU_DEP_1)
	v_fmac_f32_e32 v136, v138, v135
	v_fma_f32 v127, -v127, v136, v137
	s_delay_alu instid0(VALU_DEP_1) | instskip(NEXT) | instid1(VALU_DEP_1)
	v_div_fmas_f32 v127, v127, v135, v136
	v_div_fixup_f32 v127, v127, v128, v129
	s_delay_alu instid0(VALU_DEP_1) | instskip(NEXT) | instid1(VALU_DEP_1)
	v_fmac_f32_e32 v128, v129, v127
	v_div_scale_f32 v129, null, v128, v128, 1.0
	s_delay_alu instid0(VALU_DEP_1) | instskip(SKIP_1) | instid1(TRANS32_DEP_1)
	v_rcp_f32_e32 v135, v129
	v_nop
	v_fma_f32 v136, -v129, v135, 1.0
	s_delay_alu instid0(VALU_DEP_1) | instskip(SKIP_1) | instid1(VALU_DEP_1)
	v_fmac_f32_e32 v135, v136, v135
	v_div_scale_f32 v136, vcc_lo, 1.0, v128, 1.0
	v_mul_f32_e32 v137, v136, v135
	s_delay_alu instid0(VALU_DEP_1) | instskip(NEXT) | instid1(VALU_DEP_1)
	v_fma_f32 v138, -v129, v137, v136
	v_fmac_f32_e32 v137, v138, v135
	s_delay_alu instid0(VALU_DEP_1) | instskip(NEXT) | instid1(VALU_DEP_1)
	v_fma_f32 v129, -v129, v137, v136
	v_div_fmas_f32 v129, v129, v135, v137
	s_delay_alu instid0(VALU_DEP_1) | instskip(NEXT) | instid1(VALU_DEP_1)
	v_div_fixup_f32 v128, v129, v128, 1.0
	v_mul_f32_e64 v129, v127, -v128
.LBB118_681:
	s_or_b32 exec_lo, exec_lo, s1
.LBB118_682:
	s_delay_alu instid0(SALU_CYCLE_1) | instskip(NEXT) | instid1(SALU_CYCLE_1)
	s_or_b32 exec_lo, exec_lo, s0
	s_mov_b32 s0, exec_lo
	v_cmpx_ne_u32_e64 v134, v126
	s_xor_b32 s0, exec_lo, s0
	s_cbranch_execz .LBB118_688
; %bb.683:
	s_mov_b32 s1, exec_lo
	v_cmpx_eq_u32_e32 32, v134
	s_cbranch_execz .LBB118_687
; %bb.684:
	v_cmp_ne_u32_e32 vcc_lo, 32, v126
	s_xor_b32 s12, s16, -1
	s_delay_alu instid0(SALU_CYCLE_1) | instskip(NEXT) | instid1(SALU_CYCLE_1)
	s_and_b32 s13, s12, vcc_lo
	s_and_saveexec_b32 s12, s13
	s_cbranch_execz .LBB118_686
; %bb.685:
	v_ashrrev_i32_e32 v127, 31, v126
	s_delay_alu instid0(VALU_DEP_1)
	v_lshl_add_u64 v[134:135], v[126:127], 2, v[4:5]
	s_clause 0x1
	global_load_b32 v127, v[134:135], off
	global_load_b32 v133, v[4:5], off offset:128
	s_wait_loadcnt 0x1
	global_store_b32 v[4:5], v127, off offset:128
	s_wait_loadcnt 0x0
	global_store_b32 v[134:135], v133, off
.LBB118_686:
	s_wait_xcnt 0x0
	s_or_b32 exec_lo, exec_lo, s12
	v_dual_mov_b32 v134, v126 :: v_dual_mov_b32 v133, v126
.LBB118_687:
	s_or_b32 exec_lo, exec_lo, s1
.LBB118_688:
	s_and_not1_saveexec_b32 s0, s0
	s_cbranch_execz .LBB118_690
; %bb.689:
	v_mov_b32_e32 v134, 32
	ds_store_2addr_b64 v130, v[68:69], v[70:71] offset0:33 offset1:34
	ds_store_2addr_b64 v130, v[20:21], v[66:67] offset0:35 offset1:36
	ds_store_2addr_b64 v130, v[62:63], v[64:65] offset0:37 offset1:38
	ds_store_2addr_b64 v130, v[18:19], v[60:61] offset0:39 offset1:40
	ds_store_2addr_b64 v130, v[56:57], v[58:59] offset0:41 offset1:42
	ds_store_2addr_b64 v130, v[12:13], v[54:55] offset0:43 offset1:44
	ds_store_2addr_b64 v130, v[50:51], v[52:53] offset0:45 offset1:46
	ds_store_2addr_b64 v130, v[10:11], v[46:47] offset0:47 offset1:48
	ds_store_2addr_b64 v130, v[44:45], v[48:49] offset0:49 offset1:50
	ds_store_2addr_b64 v130, v[8:9], v[34:35] offset0:51 offset1:52
	ds_store_2addr_b64 v130, v[28:29], v[32:33] offset0:53 offset1:54
	ds_store_2addr_b64 v130, v[6:7], v[26:27] offset0:55 offset1:56
	ds_store_2addr_b64 v130, v[16:17], v[14:15] offset0:57 offset1:58
	ds_store_b64 v130, v[124:125] offset:472
.LBB118_690:
	s_or_b32 exec_lo, exec_lo, s0
	s_delay_alu instid0(SALU_CYCLE_1)
	s_mov_b32 s0, exec_lo
	s_wait_storecnt_dscnt 0x0
	s_barrier_signal -1
	s_barrier_wait -1
	v_cmpx_lt_i32_e32 32, v134
	s_cbranch_execz .LBB118_692
; %bb.691:
	v_pk_mul_f32 v[136:137], v[128:129], v[72:73] op_sel:[1,1] op_sel_hi:[0,1]
	s_delay_alu instid0(VALU_DEP_1)
	v_pk_fma_f32 v[126:127], v[128:129], v[72:73], v[136:137] op_sel_hi:[1,0,1] neg_lo:[0,0,1] neg_hi:[0,0,1]
	v_pk_fma_f32 v[128:129], v[128:129], v[72:73], v[136:137] op_sel_hi:[1,0,1]
	ds_load_2addr_b64 v[136:139], v130 offset0:33 offset1:34
	v_dual_mov_b32 v72, v126 :: v_dual_mov_b32 v73, v129
	s_wait_dscnt 0x0
	v_pk_mul_f32 v[140:141], v[136:137], v[128:129] op_sel:[0,1]
	s_delay_alu instid0(VALU_DEP_1) | instskip(SKIP_1) | instid1(VALU_DEP_1)
	v_pk_fma_f32 v[142:143], v[136:137], v[126:127], v[140:141] op_sel:[0,0,1] op_sel_hi:[1,1,0] neg_lo:[0,0,1] neg_hi:[0,0,1]
	v_pk_fma_f32 v[136:137], v[136:137], v[126:127], v[140:141] op_sel:[0,0,1] op_sel_hi:[1,0,0]
	v_mov_b32_e32 v143, v137
	v_pk_mul_f32 v[136:137], v[138:139], v[128:129] op_sel:[0,1]
	s_delay_alu instid0(VALU_DEP_1) | instskip(SKIP_1) | instid1(VALU_DEP_1)
	v_pk_fma_f32 v[140:141], v[138:139], v[126:127], v[136:137] op_sel:[0,0,1] op_sel_hi:[1,1,0] neg_lo:[0,0,1] neg_hi:[0,0,1]
	v_pk_fma_f32 v[136:137], v[138:139], v[126:127], v[136:137] op_sel:[0,0,1] op_sel_hi:[1,0,0]
	v_mov_b32_e32 v141, v137
	ds_load_2addr_b64 v[136:139], v130 offset0:35 offset1:36
	v_pk_add_f32 v[68:69], v[68:69], v[142:143] neg_lo:[0,1] neg_hi:[0,1]
	v_pk_add_f32 v[70:71], v[70:71], v[140:141] neg_lo:[0,1] neg_hi:[0,1]
	s_wait_dscnt 0x0
	v_pk_mul_f32 v[140:141], v[136:137], v[128:129] op_sel:[0,1]
	s_delay_alu instid0(VALU_DEP_1) | instskip(SKIP_2) | instid1(VALU_DEP_2)
	v_pk_fma_f32 v[142:143], v[136:137], v[126:127], v[140:141] op_sel:[0,0,1] op_sel_hi:[1,1,0] neg_lo:[0,0,1] neg_hi:[0,0,1]
	v_pk_fma_f32 v[136:137], v[136:137], v[126:127], v[140:141] op_sel:[0,0,1] op_sel_hi:[1,0,0]
	v_dual_mul_f32 v140, v139, v129 :: v_dual_mov_b32 v136, v139
	v_dual_mov_b32 v143, v137 :: v_dual_mov_b32 v137, v138
	s_delay_alu instid0(VALU_DEP_2) | instskip(SKIP_1) | instid1(VALU_DEP_3)
	v_pk_fma_f32 v[140:141], v[138:139], v[72:73], v[140:141] op_sel_hi:[1,1,0] neg_lo:[0,0,1] neg_hi:[0,0,1]
	v_mul_f32_e32 v138, v139, v126
	v_pk_add_f32 v[20:21], v[20:21], v[142:143] neg_lo:[0,1] neg_hi:[0,1]
	s_delay_alu instid0(VALU_DEP_2) | instskip(NEXT) | instid1(VALU_DEP_1)
	v_pk_fma_f32 v[136:137], v[136:137], v[72:73], v[138:139] op_sel_hi:[1,1,0]
	v_mov_b32_e32 v141, v137
	ds_load_2addr_b64 v[136:139], v130 offset0:37 offset1:38
	v_pk_add_f32 v[66:67], v[66:67], v[140:141] neg_lo:[0,1] neg_hi:[0,1]
	s_wait_dscnt 0x0
	v_pk_mul_f32 v[140:141], v[136:137], v[128:129] op_sel:[0,1]
	s_delay_alu instid0(VALU_DEP_1) | instskip(SKIP_1) | instid1(VALU_DEP_1)
	v_pk_fma_f32 v[142:143], v[136:137], v[126:127], v[140:141] op_sel:[0,0,1] op_sel_hi:[1,1,0] neg_lo:[0,0,1] neg_hi:[0,0,1]
	v_pk_fma_f32 v[136:137], v[136:137], v[126:127], v[140:141] op_sel:[0,0,1] op_sel_hi:[1,0,0]
	v_mov_b32_e32 v143, v137
	v_pk_mul_f32 v[136:137], v[138:139], v[128:129] op_sel:[0,1]
	s_delay_alu instid0(VALU_DEP_1) | instskip(SKIP_1) | instid1(VALU_DEP_1)
	v_pk_fma_f32 v[140:141], v[138:139], v[126:127], v[136:137] op_sel:[0,0,1] op_sel_hi:[1,1,0] neg_lo:[0,0,1] neg_hi:[0,0,1]
	v_pk_fma_f32 v[136:137], v[138:139], v[126:127], v[136:137] op_sel:[0,0,1] op_sel_hi:[1,0,0]
	v_mov_b32_e32 v141, v137
	ds_load_2addr_b64 v[136:139], v130 offset0:39 offset1:40
	v_pk_add_f32 v[62:63], v[62:63], v[142:143] neg_lo:[0,1] neg_hi:[0,1]
	v_pk_add_f32 v[64:65], v[64:65], v[140:141] neg_lo:[0,1] neg_hi:[0,1]
	s_wait_dscnt 0x0
	v_pk_mul_f32 v[140:141], v[136:137], v[128:129] op_sel:[0,1]
	s_delay_alu instid0(VALU_DEP_1) | instskip(SKIP_1) | instid1(VALU_DEP_1)
	v_pk_fma_f32 v[142:143], v[136:137], v[126:127], v[140:141] op_sel:[0,0,1] op_sel_hi:[1,1,0] neg_lo:[0,0,1] neg_hi:[0,0,1]
	v_pk_fma_f32 v[136:137], v[136:137], v[126:127], v[140:141] op_sel:[0,0,1] op_sel_hi:[1,0,0]
	v_mov_b32_e32 v143, v137
	v_pk_mul_f32 v[136:137], v[138:139], v[128:129] op_sel:[0,1]
	s_delay_alu instid0(VALU_DEP_1) | instskip(SKIP_1) | instid1(VALU_DEP_1)
	v_pk_fma_f32 v[140:141], v[138:139], v[126:127], v[136:137] op_sel:[0,0,1] op_sel_hi:[1,1,0] neg_lo:[0,0,1] neg_hi:[0,0,1]
	v_pk_fma_f32 v[136:137], v[138:139], v[126:127], v[136:137] op_sel:[0,0,1] op_sel_hi:[1,0,0]
	v_mov_b32_e32 v141, v137
	ds_load_2addr_b64 v[136:139], v130 offset0:41 offset1:42
	v_pk_add_f32 v[18:19], v[18:19], v[142:143] neg_lo:[0,1] neg_hi:[0,1]
	v_pk_add_f32 v[60:61], v[60:61], v[140:141] neg_lo:[0,1] neg_hi:[0,1]
	s_wait_dscnt 0x0
	v_dual_mul_f32 v140, v137, v129 :: v_dual_mul_f32 v142, v137, v126
	s_delay_alu instid0(VALU_DEP_1) | instskip(NEXT) | instid1(VALU_DEP_2)
	v_pk_fma_f32 v[140:141], v[136:137], v[72:73], v[140:141] op_sel_hi:[1,1,0] neg_lo:[0,0,1] neg_hi:[0,0,1]
	v_pk_fma_f32 v[136:137], v[136:137], v[72:73], v[142:143] op_sel:[1,0,0] op_sel_hi:[0,1,0]
	s_delay_alu instid0(VALU_DEP_1) | instskip(SKIP_1) | instid1(VALU_DEP_2)
	v_mov_b32_e32 v141, v137
	v_pk_mul_f32 v[136:137], v[138:139], v[128:129] op_sel:[0,1]
	v_pk_add_f32 v[56:57], v[56:57], v[140:141] neg_lo:[0,1] neg_hi:[0,1]
	s_delay_alu instid0(VALU_DEP_2) | instskip(SKIP_1) | instid1(VALU_DEP_1)
	v_pk_fma_f32 v[140:141], v[138:139], v[126:127], v[136:137] op_sel:[0,0,1] op_sel_hi:[1,1,0] neg_lo:[0,0,1] neg_hi:[0,0,1]
	v_pk_fma_f32 v[136:137], v[138:139], v[126:127], v[136:137] op_sel:[0,0,1] op_sel_hi:[1,0,0]
	v_mov_b32_e32 v141, v137
	ds_load_2addr_b64 v[136:139], v130 offset0:43 offset1:44
	v_pk_add_f32 v[58:59], v[58:59], v[140:141] neg_lo:[0,1] neg_hi:[0,1]
	s_wait_dscnt 0x0
	v_pk_mul_f32 v[140:141], v[136:137], v[128:129] op_sel:[0,1]
	s_delay_alu instid0(VALU_DEP_1) | instskip(SKIP_1) | instid1(VALU_DEP_1)
	v_pk_fma_f32 v[142:143], v[136:137], v[126:127], v[140:141] op_sel:[0,0,1] op_sel_hi:[1,1,0] neg_lo:[0,0,1] neg_hi:[0,0,1]
	v_pk_fma_f32 v[136:137], v[136:137], v[126:127], v[140:141] op_sel:[0,0,1] op_sel_hi:[1,0,0]
	v_mov_b32_e32 v143, v137
	v_pk_mul_f32 v[136:137], v[138:139], v[128:129] op_sel:[0,1]
	s_delay_alu instid0(VALU_DEP_2) | instskip(NEXT) | instid1(VALU_DEP_2)
	v_pk_add_f32 v[12:13], v[12:13], v[142:143] neg_lo:[0,1] neg_hi:[0,1]
	v_pk_fma_f32 v[140:141], v[138:139], v[126:127], v[136:137] op_sel:[0,0,1] op_sel_hi:[1,1,0] neg_lo:[0,0,1] neg_hi:[0,0,1]
	v_pk_fma_f32 v[136:137], v[138:139], v[126:127], v[136:137] op_sel:[0,0,1] op_sel_hi:[1,0,0]
	s_delay_alu instid0(VALU_DEP_1) | instskip(SKIP_4) | instid1(VALU_DEP_1)
	v_mov_b32_e32 v141, v137
	ds_load_2addr_b64 v[136:139], v130 offset0:45 offset1:46
	v_pk_add_f32 v[54:55], v[54:55], v[140:141] neg_lo:[0,1] neg_hi:[0,1]
	s_wait_dscnt 0x0
	v_pk_mul_f32 v[140:141], v[136:137], v[128:129] op_sel:[0,1]
	v_pk_fma_f32 v[142:143], v[136:137], v[126:127], v[140:141] op_sel:[0,0,1] op_sel_hi:[1,1,0] neg_lo:[0,0,1] neg_hi:[0,0,1]
	v_pk_fma_f32 v[136:137], v[136:137], v[126:127], v[140:141] op_sel:[0,0,1] op_sel_hi:[1,0,0]
	v_dual_mul_f32 v140, v139, v129 :: v_dual_mov_b32 v136, v139
	s_delay_alu instid0(VALU_DEP_2) | instskip(NEXT) | instid1(VALU_DEP_2)
	v_dual_mov_b32 v143, v137 :: v_dual_mov_b32 v137, v138
	v_pk_fma_f32 v[140:141], v[138:139], v[72:73], v[140:141] op_sel_hi:[1,1,0] neg_lo:[0,0,1] neg_hi:[0,0,1]
	v_mul_f32_e32 v138, v139, v126
	s_delay_alu instid0(VALU_DEP_3) | instskip(NEXT) | instid1(VALU_DEP_2)
	v_pk_add_f32 v[50:51], v[50:51], v[142:143] neg_lo:[0,1] neg_hi:[0,1]
	v_pk_fma_f32 v[136:137], v[136:137], v[72:73], v[138:139] op_sel_hi:[1,1,0]
	s_delay_alu instid0(VALU_DEP_1) | instskip(SKIP_4) | instid1(VALU_DEP_1)
	v_mov_b32_e32 v141, v137
	ds_load_2addr_b64 v[136:139], v130 offset0:47 offset1:48
	v_pk_add_f32 v[52:53], v[52:53], v[140:141] neg_lo:[0,1] neg_hi:[0,1]
	s_wait_dscnt 0x0
	v_pk_mul_f32 v[140:141], v[136:137], v[128:129] op_sel:[0,1]
	v_pk_fma_f32 v[142:143], v[136:137], v[126:127], v[140:141] op_sel:[0,0,1] op_sel_hi:[1,1,0] neg_lo:[0,0,1] neg_hi:[0,0,1]
	v_pk_fma_f32 v[136:137], v[136:137], v[126:127], v[140:141] op_sel:[0,0,1] op_sel_hi:[1,0,0]
	s_delay_alu instid0(VALU_DEP_1) | instskip(SKIP_1) | instid1(VALU_DEP_1)
	v_mov_b32_e32 v143, v137
	v_pk_mul_f32 v[136:137], v[138:139], v[128:129] op_sel:[0,1]
	v_pk_fma_f32 v[140:141], v[138:139], v[126:127], v[136:137] op_sel:[0,0,1] op_sel_hi:[1,1,0] neg_lo:[0,0,1] neg_hi:[0,0,1]
	v_pk_fma_f32 v[136:137], v[138:139], v[126:127], v[136:137] op_sel:[0,0,1] op_sel_hi:[1,0,0]
	s_delay_alu instid0(VALU_DEP_1)
	v_mov_b32_e32 v141, v137
	ds_load_2addr_b64 v[136:139], v130 offset0:49 offset1:50
	v_pk_add_f32 v[10:11], v[10:11], v[142:143] neg_lo:[0,1] neg_hi:[0,1]
	v_pk_add_f32 v[46:47], v[46:47], v[140:141] neg_lo:[0,1] neg_hi:[0,1]
	s_wait_dscnt 0x0
	v_pk_mul_f32 v[140:141], v[136:137], v[128:129] op_sel:[0,1]
	s_delay_alu instid0(VALU_DEP_1) | instskip(SKIP_1) | instid1(VALU_DEP_1)
	v_pk_fma_f32 v[142:143], v[136:137], v[126:127], v[140:141] op_sel:[0,0,1] op_sel_hi:[1,1,0] neg_lo:[0,0,1] neg_hi:[0,0,1]
	v_pk_fma_f32 v[136:137], v[136:137], v[126:127], v[140:141] op_sel:[0,0,1] op_sel_hi:[1,0,0]
	v_mov_b32_e32 v143, v137
	v_pk_mul_f32 v[136:137], v[138:139], v[128:129] op_sel:[0,1]
	s_delay_alu instid0(VALU_DEP_1) | instskip(SKIP_1) | instid1(VALU_DEP_1)
	v_pk_fma_f32 v[140:141], v[138:139], v[126:127], v[136:137] op_sel:[0,0,1] op_sel_hi:[1,1,0] neg_lo:[0,0,1] neg_hi:[0,0,1]
	v_pk_fma_f32 v[136:137], v[138:139], v[126:127], v[136:137] op_sel:[0,0,1] op_sel_hi:[1,0,0]
	v_mov_b32_e32 v141, v137
	ds_load_2addr_b64 v[136:139], v130 offset0:51 offset1:52
	v_pk_add_f32 v[44:45], v[44:45], v[142:143] neg_lo:[0,1] neg_hi:[0,1]
	v_pk_add_f32 v[48:49], v[48:49], v[140:141] neg_lo:[0,1] neg_hi:[0,1]
	s_wait_dscnt 0x0
	v_dual_mul_f32 v140, v137, v129 :: v_dual_mul_f32 v142, v137, v126
	s_delay_alu instid0(VALU_DEP_1) | instskip(NEXT) | instid1(VALU_DEP_2)
	v_pk_fma_f32 v[140:141], v[136:137], v[72:73], v[140:141] op_sel_hi:[1,1,0] neg_lo:[0,0,1] neg_hi:[0,0,1]
	v_pk_fma_f32 v[136:137], v[136:137], v[72:73], v[142:143] op_sel:[1,0,0] op_sel_hi:[0,1,0]
	s_delay_alu instid0(VALU_DEP_1) | instskip(SKIP_1) | instid1(VALU_DEP_2)
	v_mov_b32_e32 v141, v137
	v_pk_mul_f32 v[136:137], v[138:139], v[128:129] op_sel:[0,1]
	v_pk_add_f32 v[8:9], v[8:9], v[140:141] neg_lo:[0,1] neg_hi:[0,1]
	s_delay_alu instid0(VALU_DEP_2) | instskip(SKIP_1) | instid1(VALU_DEP_1)
	v_pk_fma_f32 v[140:141], v[138:139], v[126:127], v[136:137] op_sel:[0,0,1] op_sel_hi:[1,1,0] neg_lo:[0,0,1] neg_hi:[0,0,1]
	v_pk_fma_f32 v[136:137], v[138:139], v[126:127], v[136:137] op_sel:[0,0,1] op_sel_hi:[1,0,0]
	v_mov_b32_e32 v141, v137
	ds_load_2addr_b64 v[136:139], v130 offset0:53 offset1:54
	v_pk_add_f32 v[34:35], v[34:35], v[140:141] neg_lo:[0,1] neg_hi:[0,1]
	s_wait_dscnt 0x0
	v_pk_mul_f32 v[140:141], v[136:137], v[128:129] op_sel:[0,1]
	s_delay_alu instid0(VALU_DEP_1) | instskip(SKIP_1) | instid1(VALU_DEP_1)
	v_pk_fma_f32 v[142:143], v[136:137], v[126:127], v[140:141] op_sel:[0,0,1] op_sel_hi:[1,1,0] neg_lo:[0,0,1] neg_hi:[0,0,1]
	v_pk_fma_f32 v[136:137], v[136:137], v[126:127], v[140:141] op_sel:[0,0,1] op_sel_hi:[1,0,0]
	v_mov_b32_e32 v143, v137
	v_pk_mul_f32 v[136:137], v[138:139], v[128:129] op_sel:[0,1]
	s_delay_alu instid0(VALU_DEP_2) | instskip(NEXT) | instid1(VALU_DEP_2)
	v_pk_add_f32 v[28:29], v[28:29], v[142:143] neg_lo:[0,1] neg_hi:[0,1]
	v_pk_fma_f32 v[140:141], v[138:139], v[126:127], v[136:137] op_sel:[0,0,1] op_sel_hi:[1,1,0] neg_lo:[0,0,1] neg_hi:[0,0,1]
	v_pk_fma_f32 v[136:137], v[138:139], v[126:127], v[136:137] op_sel:[0,0,1] op_sel_hi:[1,0,0]
	s_delay_alu instid0(VALU_DEP_1) | instskip(SKIP_4) | instid1(VALU_DEP_1)
	v_mov_b32_e32 v141, v137
	ds_load_2addr_b64 v[136:139], v130 offset0:55 offset1:56
	v_pk_add_f32 v[32:33], v[32:33], v[140:141] neg_lo:[0,1] neg_hi:[0,1]
	s_wait_dscnt 0x0
	v_pk_mul_f32 v[140:141], v[136:137], v[128:129] op_sel:[0,1]
	v_pk_fma_f32 v[142:143], v[136:137], v[126:127], v[140:141] op_sel:[0,0,1] op_sel_hi:[1,1,0] neg_lo:[0,0,1] neg_hi:[0,0,1]
	v_pk_fma_f32 v[136:137], v[136:137], v[126:127], v[140:141] op_sel:[0,0,1] op_sel_hi:[1,0,0]
	v_dual_mul_f32 v140, v139, v129 :: v_dual_mov_b32 v136, v139
	s_delay_alu instid0(VALU_DEP_2) | instskip(NEXT) | instid1(VALU_DEP_2)
	v_dual_mov_b32 v143, v137 :: v_dual_mov_b32 v137, v138
	v_pk_fma_f32 v[140:141], v[138:139], v[72:73], v[140:141] op_sel_hi:[1,1,0] neg_lo:[0,0,1] neg_hi:[0,0,1]
	v_mul_f32_e32 v138, v139, v126
	s_delay_alu instid0(VALU_DEP_3) | instskip(NEXT) | instid1(VALU_DEP_2)
	v_pk_add_f32 v[6:7], v[6:7], v[142:143] neg_lo:[0,1] neg_hi:[0,1]
	v_pk_fma_f32 v[136:137], v[136:137], v[72:73], v[138:139] op_sel_hi:[1,1,0]
	s_delay_alu instid0(VALU_DEP_1) | instskip(SKIP_4) | instid1(VALU_DEP_1)
	v_mov_b32_e32 v141, v137
	ds_load_2addr_b64 v[136:139], v130 offset0:57 offset1:58
	v_pk_add_f32 v[26:27], v[26:27], v[140:141] neg_lo:[0,1] neg_hi:[0,1]
	s_wait_dscnt 0x0
	v_pk_mul_f32 v[140:141], v[136:137], v[128:129] op_sel:[0,1]
	v_pk_fma_f32 v[142:143], v[136:137], v[126:127], v[140:141] op_sel:[0,0,1] op_sel_hi:[1,1,0] neg_lo:[0,0,1] neg_hi:[0,0,1]
	v_pk_fma_f32 v[136:137], v[136:137], v[126:127], v[140:141] op_sel:[0,0,1] op_sel_hi:[1,0,0]
	s_delay_alu instid0(VALU_DEP_1) | instskip(SKIP_1) | instid1(VALU_DEP_1)
	v_mov_b32_e32 v143, v137
	v_pk_mul_f32 v[136:137], v[138:139], v[128:129] op_sel:[0,1]
	v_pk_fma_f32 v[140:141], v[138:139], v[126:127], v[136:137] op_sel:[0,0,1] op_sel_hi:[1,1,0] neg_lo:[0,0,1] neg_hi:[0,0,1]
	v_pk_fma_f32 v[136:137], v[138:139], v[126:127], v[136:137] op_sel:[0,0,1] op_sel_hi:[1,0,0]
	s_delay_alu instid0(VALU_DEP_1)
	v_mov_b32_e32 v141, v137
	ds_load_b64 v[136:137], v130 offset:472
	v_pk_add_f32 v[16:17], v[16:17], v[142:143] neg_lo:[0,1] neg_hi:[0,1]
	v_pk_add_f32 v[14:15], v[14:15], v[140:141] neg_lo:[0,1] neg_hi:[0,1]
	s_wait_dscnt 0x0
	v_pk_mul_f32 v[128:129], v[136:137], v[128:129] op_sel:[0,1]
	s_delay_alu instid0(VALU_DEP_1) | instskip(SKIP_1) | instid1(VALU_DEP_1)
	v_pk_fma_f32 v[138:139], v[136:137], v[126:127], v[128:129] op_sel:[0,0,1] op_sel_hi:[1,1,0] neg_lo:[0,0,1] neg_hi:[0,0,1]
	v_pk_fma_f32 v[126:127], v[136:137], v[126:127], v[128:129] op_sel:[0,0,1] op_sel_hi:[1,0,0]
	v_mov_b32_e32 v139, v127
	s_delay_alu instid0(VALU_DEP_1)
	v_pk_add_f32 v[124:125], v[124:125], v[138:139] neg_lo:[0,1] neg_hi:[0,1]
.LBB118_692:
	s_or_b32 exec_lo, exec_lo, s0
	v_lshl_add_u32 v126, v134, 3, v130
	s_barrier_signal -1
	s_barrier_wait -1
	ds_store_b64 v126, v[68:69]
	s_wait_dscnt 0x0
	s_barrier_signal -1
	s_barrier_wait -1
	ds_load_b64 v[128:129], v130 offset:264
	v_mov_b32_e32 v126, 33
	s_cmp_lt_i32 s18, 35
	s_cbranch_scc1 .LBB118_695
; %bb.693:
	v_add3_u32 v127, v131, 0, 0x110
	v_mov_b32_e32 v126, 33
	s_mov_b32 s0, 34
.LBB118_694:                            ; =>This Inner Loop Header: Depth=1
	ds_load_b64 v[136:137], v127
	s_wait_dscnt 0x1
	v_cmp_gt_f32_e32 vcc_lo, 0, v128
	v_cndmask_b32_e64 v138, v128, -v128, vcc_lo
	v_cmp_gt_f32_e32 vcc_lo, 0, v129
	v_cndmask_b32_e64 v140, v129, -v129, vcc_lo
	s_wait_dscnt 0x0
	v_cmp_gt_f32_e32 vcc_lo, 0, v136
	v_cndmask_b32_e64 v139, v136, -v136, vcc_lo
	v_cmp_gt_f32_e32 vcc_lo, 0, v137
	v_cndmask_b32_e64 v141, v137, -v137, vcc_lo
	s_delay_alu instid0(VALU_DEP_1) | instskip(NEXT) | instid1(VALU_DEP_1)
	v_pk_add_f32 v[138:139], v[138:139], v[140:141]
	v_cmp_lt_f32_e32 vcc_lo, v138, v139
	v_dual_add_nc_u32 v127, 8, v127 :: v_dual_cndmask_b32 v129, v129, v137, vcc_lo
	v_cndmask_b32_e32 v128, v128, v136, vcc_lo
	v_cndmask_b32_e64 v126, v126, s0, vcc_lo
	s_add_co_i32 s0, s0, 1
	s_delay_alu instid0(SALU_CYCLE_1)
	s_cmp_lg_u32 s18, s0
	s_cbranch_scc1 .LBB118_694
.LBB118_695:
	s_wait_dscnt 0x0
	v_cmp_eq_f32_e32 vcc_lo, 0, v128
	v_cmp_eq_f32_e64 s0, 0, v129
	s_and_b32 s0, vcc_lo, s0
	s_delay_alu instid0(SALU_CYCLE_1) | instskip(NEXT) | instid1(SALU_CYCLE_1)
	s_and_saveexec_b32 s1, s0
	s_xor_b32 s0, exec_lo, s1
; %bb.696:
	v_cmp_ne_u32_e32 vcc_lo, 0, v132
	v_cndmask_b32_e32 v132, 34, v132, vcc_lo
; %bb.697:
	s_and_not1_saveexec_b32 s0, s0
	s_cbranch_execz .LBB118_703
; %bb.698:
	v_cmp_ngt_f32_e64 s1, |v128|, |v129|
	s_and_saveexec_b32 s12, s1
	s_delay_alu instid0(SALU_CYCLE_1)
	s_xor_b32 s1, exec_lo, s12
	s_cbranch_execz .LBB118_700
; %bb.699:
	v_div_scale_f32 v127, null, v129, v129, v128
	v_div_scale_f32 v137, vcc_lo, v128, v129, v128
	s_delay_alu instid0(VALU_DEP_2) | instskip(SKIP_1) | instid1(TRANS32_DEP_1)
	v_rcp_f32_e32 v135, v127
	v_nop
	v_fma_f32 v136, -v127, v135, 1.0
	s_delay_alu instid0(VALU_DEP_1) | instskip(NEXT) | instid1(VALU_DEP_1)
	v_fmac_f32_e32 v135, v136, v135
	v_mul_f32_e32 v136, v137, v135
	s_delay_alu instid0(VALU_DEP_1) | instskip(NEXT) | instid1(VALU_DEP_1)
	v_fma_f32 v138, -v127, v136, v137
	v_fmac_f32_e32 v136, v138, v135
	s_delay_alu instid0(VALU_DEP_1) | instskip(NEXT) | instid1(VALU_DEP_1)
	v_fma_f32 v127, -v127, v136, v137
	v_div_fmas_f32 v127, v127, v135, v136
	s_delay_alu instid0(VALU_DEP_1) | instskip(NEXT) | instid1(VALU_DEP_1)
	v_div_fixup_f32 v127, v127, v129, v128
	v_fmac_f32_e32 v129, v128, v127
	s_delay_alu instid0(VALU_DEP_1) | instskip(SKIP_1) | instid1(VALU_DEP_2)
	v_div_scale_f32 v128, null, v129, v129, 1.0
	v_div_scale_f32 v137, vcc_lo, 1.0, v129, 1.0
	v_rcp_f32_e32 v135, v128
	v_nop
	s_delay_alu instid0(TRANS32_DEP_1) | instskip(NEXT) | instid1(VALU_DEP_1)
	v_fma_f32 v136, -v128, v135, 1.0
	v_fmac_f32_e32 v135, v136, v135
	s_delay_alu instid0(VALU_DEP_1) | instskip(NEXT) | instid1(VALU_DEP_1)
	v_mul_f32_e32 v136, v137, v135
	v_fma_f32 v138, -v128, v136, v137
	s_delay_alu instid0(VALU_DEP_1) | instskip(NEXT) | instid1(VALU_DEP_1)
	v_fmac_f32_e32 v136, v138, v135
	v_fma_f32 v128, -v128, v136, v137
	s_delay_alu instid0(VALU_DEP_1) | instskip(NEXT) | instid1(VALU_DEP_1)
	v_div_fmas_f32 v128, v128, v135, v136
	v_div_fixup_f32 v129, v128, v129, 1.0
	s_delay_alu instid0(VALU_DEP_1)
	v_mul_f32_e32 v128, v127, v129
	v_xor_b32_e32 v129, 0x80000000, v129
.LBB118_700:
	s_and_not1_saveexec_b32 s1, s1
	s_cbranch_execz .LBB118_702
; %bb.701:
	s_delay_alu instid0(VALU_DEP_1) | instskip(SKIP_1) | instid1(VALU_DEP_2)
	v_div_scale_f32 v127, null, v128, v128, v129
	v_div_scale_f32 v137, vcc_lo, v129, v128, v129
	v_rcp_f32_e32 v135, v127
	v_nop
	s_delay_alu instid0(TRANS32_DEP_1) | instskip(NEXT) | instid1(VALU_DEP_1)
	v_fma_f32 v136, -v127, v135, 1.0
	v_fmac_f32_e32 v135, v136, v135
	s_delay_alu instid0(VALU_DEP_1) | instskip(NEXT) | instid1(VALU_DEP_1)
	v_mul_f32_e32 v136, v137, v135
	v_fma_f32 v138, -v127, v136, v137
	s_delay_alu instid0(VALU_DEP_1) | instskip(NEXT) | instid1(VALU_DEP_1)
	v_fmac_f32_e32 v136, v138, v135
	v_fma_f32 v127, -v127, v136, v137
	s_delay_alu instid0(VALU_DEP_1) | instskip(NEXT) | instid1(VALU_DEP_1)
	v_div_fmas_f32 v127, v127, v135, v136
	v_div_fixup_f32 v127, v127, v128, v129
	s_delay_alu instid0(VALU_DEP_1) | instskip(NEXT) | instid1(VALU_DEP_1)
	v_fmac_f32_e32 v128, v129, v127
	v_div_scale_f32 v129, null, v128, v128, 1.0
	s_delay_alu instid0(VALU_DEP_1) | instskip(SKIP_1) | instid1(TRANS32_DEP_1)
	v_rcp_f32_e32 v135, v129
	v_nop
	v_fma_f32 v136, -v129, v135, 1.0
	s_delay_alu instid0(VALU_DEP_1) | instskip(SKIP_1) | instid1(VALU_DEP_1)
	v_fmac_f32_e32 v135, v136, v135
	v_div_scale_f32 v136, vcc_lo, 1.0, v128, 1.0
	v_mul_f32_e32 v137, v136, v135
	s_delay_alu instid0(VALU_DEP_1) | instskip(NEXT) | instid1(VALU_DEP_1)
	v_fma_f32 v138, -v129, v137, v136
	v_fmac_f32_e32 v137, v138, v135
	s_delay_alu instid0(VALU_DEP_1) | instskip(NEXT) | instid1(VALU_DEP_1)
	v_fma_f32 v129, -v129, v137, v136
	v_div_fmas_f32 v129, v129, v135, v137
	s_delay_alu instid0(VALU_DEP_1) | instskip(NEXT) | instid1(VALU_DEP_1)
	v_div_fixup_f32 v128, v129, v128, 1.0
	v_mul_f32_e64 v129, v127, -v128
.LBB118_702:
	s_or_b32 exec_lo, exec_lo, s1
.LBB118_703:
	s_delay_alu instid0(SALU_CYCLE_1) | instskip(NEXT) | instid1(SALU_CYCLE_1)
	s_or_b32 exec_lo, exec_lo, s0
	s_mov_b32 s0, exec_lo
	v_cmpx_ne_u32_e64 v134, v126
	s_xor_b32 s0, exec_lo, s0
	s_cbranch_execz .LBB118_709
; %bb.704:
	s_mov_b32 s1, exec_lo
	v_cmpx_eq_u32_e32 33, v134
	s_cbranch_execz .LBB118_708
; %bb.705:
	v_cmp_ne_u32_e32 vcc_lo, 33, v126
	s_xor_b32 s12, s16, -1
	s_delay_alu instid0(SALU_CYCLE_1) | instskip(NEXT) | instid1(SALU_CYCLE_1)
	s_and_b32 s13, s12, vcc_lo
	s_and_saveexec_b32 s12, s13
	s_cbranch_execz .LBB118_707
; %bb.706:
	v_ashrrev_i32_e32 v127, 31, v126
	s_delay_alu instid0(VALU_DEP_1)
	v_lshl_add_u64 v[134:135], v[126:127], 2, v[4:5]
	s_clause 0x1
	global_load_b32 v127, v[134:135], off
	global_load_b32 v133, v[4:5], off offset:132
	s_wait_loadcnt 0x1
	global_store_b32 v[4:5], v127, off offset:132
	s_wait_loadcnt 0x0
	global_store_b32 v[134:135], v133, off
.LBB118_707:
	s_wait_xcnt 0x0
	s_or_b32 exec_lo, exec_lo, s12
	v_dual_mov_b32 v134, v126 :: v_dual_mov_b32 v133, v126
.LBB118_708:
	s_or_b32 exec_lo, exec_lo, s1
.LBB118_709:
	s_and_not1_saveexec_b32 s0, s0
	s_cbranch_execz .LBB118_711
; %bb.710:
	v_dual_mov_b32 v126, v70 :: v_dual_mov_b32 v127, v71
	v_dual_mov_b32 v134, v20 :: v_dual_mov_b32 v135, v21
	;; [unrolled: 1-line block ×4, first 2 shown]
	ds_store_2addr_b64 v130, v[126:127], v[134:135] offset0:34 offset1:35
	ds_store_2addr_b64 v130, v[136:137], v[138:139] offset0:36 offset1:37
	v_dual_mov_b32 v126, v64 :: v_dual_mov_b32 v127, v65
	v_dual_mov_b32 v134, v18 :: v_dual_mov_b32 v135, v19
	;; [unrolled: 1-line block ×12, first 2 shown]
	ds_store_2addr_b64 v130, v[126:127], v[134:135] offset0:38 offset1:39
	ds_store_2addr_b64 v130, v[136:137], v[138:139] offset0:40 offset1:41
	;; [unrolled: 1-line block ×6, first 2 shown]
	v_dual_mov_b32 v126, v48 :: v_dual_mov_b32 v127, v49
	v_dual_mov_b32 v136, v8 :: v_dual_mov_b32 v137, v9
	;; [unrolled: 1-line block ×9, first 2 shown]
	v_mov_b32_e32 v151, v15
	ds_store_2addr_b64 v130, v[126:127], v[136:137] offset0:50 offset1:51
	ds_store_2addr_b64 v130, v[138:139], v[140:141] offset0:52 offset1:53
	;; [unrolled: 1-line block ×5, first 2 shown]
.LBB118_711:
	s_or_b32 exec_lo, exec_lo, s0
	s_delay_alu instid0(SALU_CYCLE_1)
	s_mov_b32 s0, exec_lo
	s_wait_storecnt_dscnt 0x0
	s_barrier_signal -1
	s_barrier_wait -1
	v_cmpx_lt_i32_e32 33, v134
	s_cbranch_execz .LBB118_713
; %bb.712:
	v_pk_mul_f32 v[136:137], v[128:129], v[68:69] op_sel:[1,1] op_sel_hi:[0,1]
	s_delay_alu instid0(VALU_DEP_1)
	v_pk_fma_f32 v[126:127], v[128:129], v[68:69], v[136:137] op_sel_hi:[1,0,1] neg_lo:[0,0,1] neg_hi:[0,0,1]
	v_pk_fma_f32 v[128:129], v[128:129], v[68:69], v[136:137] op_sel_hi:[1,0,1]
	ds_load_2addr_b64 v[136:139], v130 offset0:34 offset1:35
	v_dual_mov_b32 v68, v126 :: v_dual_mov_b32 v69, v129
	s_wait_dscnt 0x0
	v_pk_mul_f32 v[140:141], v[136:137], v[128:129] op_sel:[0,1]
	s_delay_alu instid0(VALU_DEP_1) | instskip(SKIP_1) | instid1(VALU_DEP_1)
	v_pk_fma_f32 v[142:143], v[136:137], v[126:127], v[140:141] op_sel:[0,0,1] op_sel_hi:[1,1,0] neg_lo:[0,0,1] neg_hi:[0,0,1]
	v_pk_fma_f32 v[136:137], v[136:137], v[126:127], v[140:141] op_sel:[0,0,1] op_sel_hi:[1,0,0]
	v_mov_b32_e32 v143, v137
	v_pk_mul_f32 v[136:137], v[138:139], v[128:129] op_sel:[0,1]
	s_delay_alu instid0(VALU_DEP_1) | instskip(SKIP_1) | instid1(VALU_DEP_1)
	v_pk_fma_f32 v[140:141], v[138:139], v[126:127], v[136:137] op_sel:[0,0,1] op_sel_hi:[1,1,0] neg_lo:[0,0,1] neg_hi:[0,0,1]
	v_pk_fma_f32 v[136:137], v[138:139], v[126:127], v[136:137] op_sel:[0,0,1] op_sel_hi:[1,0,0]
	v_mov_b32_e32 v141, v137
	ds_load_2addr_b64 v[136:139], v130 offset0:36 offset1:37
	v_pk_add_f32 v[70:71], v[70:71], v[142:143] neg_lo:[0,1] neg_hi:[0,1]
	v_pk_add_f32 v[20:21], v[20:21], v[140:141] neg_lo:[0,1] neg_hi:[0,1]
	s_wait_dscnt 0x0
	v_pk_mul_f32 v[140:141], v[136:137], v[128:129] op_sel:[0,1]
	s_delay_alu instid0(VALU_DEP_1) | instskip(SKIP_2) | instid1(VALU_DEP_2)
	v_pk_fma_f32 v[142:143], v[136:137], v[126:127], v[140:141] op_sel:[0,0,1] op_sel_hi:[1,1,0] neg_lo:[0,0,1] neg_hi:[0,0,1]
	v_pk_fma_f32 v[136:137], v[136:137], v[126:127], v[140:141] op_sel:[0,0,1] op_sel_hi:[1,0,0]
	v_dual_mul_f32 v140, v139, v129 :: v_dual_mov_b32 v136, v139
	v_dual_mov_b32 v143, v137 :: v_dual_mov_b32 v137, v138
	s_delay_alu instid0(VALU_DEP_2) | instskip(SKIP_1) | instid1(VALU_DEP_3)
	v_pk_fma_f32 v[140:141], v[138:139], v[68:69], v[140:141] op_sel_hi:[1,1,0] neg_lo:[0,0,1] neg_hi:[0,0,1]
	v_mul_f32_e32 v138, v139, v126
	v_pk_add_f32 v[66:67], v[66:67], v[142:143] neg_lo:[0,1] neg_hi:[0,1]
	s_delay_alu instid0(VALU_DEP_2) | instskip(NEXT) | instid1(VALU_DEP_1)
	v_pk_fma_f32 v[136:137], v[136:137], v[68:69], v[138:139] op_sel_hi:[1,1,0]
	v_mov_b32_e32 v141, v137
	ds_load_2addr_b64 v[136:139], v130 offset0:38 offset1:39
	v_pk_add_f32 v[62:63], v[62:63], v[140:141] neg_lo:[0,1] neg_hi:[0,1]
	s_wait_dscnt 0x0
	v_pk_mul_f32 v[140:141], v[136:137], v[128:129] op_sel:[0,1]
	s_delay_alu instid0(VALU_DEP_1) | instskip(SKIP_1) | instid1(VALU_DEP_1)
	v_pk_fma_f32 v[142:143], v[136:137], v[126:127], v[140:141] op_sel:[0,0,1] op_sel_hi:[1,1,0] neg_lo:[0,0,1] neg_hi:[0,0,1]
	v_pk_fma_f32 v[136:137], v[136:137], v[126:127], v[140:141] op_sel:[0,0,1] op_sel_hi:[1,0,0]
	v_mov_b32_e32 v143, v137
	v_pk_mul_f32 v[136:137], v[138:139], v[128:129] op_sel:[0,1]
	s_delay_alu instid0(VALU_DEP_1) | instskip(SKIP_1) | instid1(VALU_DEP_1)
	v_pk_fma_f32 v[140:141], v[138:139], v[126:127], v[136:137] op_sel:[0,0,1] op_sel_hi:[1,1,0] neg_lo:[0,0,1] neg_hi:[0,0,1]
	v_pk_fma_f32 v[136:137], v[138:139], v[126:127], v[136:137] op_sel:[0,0,1] op_sel_hi:[1,0,0]
	v_mov_b32_e32 v141, v137
	ds_load_2addr_b64 v[136:139], v130 offset0:40 offset1:41
	v_pk_add_f32 v[64:65], v[64:65], v[142:143] neg_lo:[0,1] neg_hi:[0,1]
	v_pk_add_f32 v[18:19], v[18:19], v[140:141] neg_lo:[0,1] neg_hi:[0,1]
	s_wait_dscnt 0x0
	v_pk_mul_f32 v[140:141], v[136:137], v[128:129] op_sel:[0,1]
	s_delay_alu instid0(VALU_DEP_1) | instskip(SKIP_1) | instid1(VALU_DEP_1)
	v_pk_fma_f32 v[142:143], v[136:137], v[126:127], v[140:141] op_sel:[0,0,1] op_sel_hi:[1,1,0] neg_lo:[0,0,1] neg_hi:[0,0,1]
	v_pk_fma_f32 v[136:137], v[136:137], v[126:127], v[140:141] op_sel:[0,0,1] op_sel_hi:[1,0,0]
	v_mov_b32_e32 v143, v137
	v_pk_mul_f32 v[136:137], v[138:139], v[128:129] op_sel:[0,1]
	s_delay_alu instid0(VALU_DEP_1) | instskip(SKIP_1) | instid1(VALU_DEP_1)
	v_pk_fma_f32 v[140:141], v[138:139], v[126:127], v[136:137] op_sel:[0,0,1] op_sel_hi:[1,1,0] neg_lo:[0,0,1] neg_hi:[0,0,1]
	v_pk_fma_f32 v[136:137], v[138:139], v[126:127], v[136:137] op_sel:[0,0,1] op_sel_hi:[1,0,0]
	v_mov_b32_e32 v141, v137
	ds_load_2addr_b64 v[136:139], v130 offset0:42 offset1:43
	v_pk_add_f32 v[60:61], v[60:61], v[142:143] neg_lo:[0,1] neg_hi:[0,1]
	v_pk_add_f32 v[56:57], v[56:57], v[140:141] neg_lo:[0,1] neg_hi:[0,1]
	s_wait_dscnt 0x0
	v_dual_mul_f32 v140, v137, v129 :: v_dual_mul_f32 v142, v137, v126
	s_delay_alu instid0(VALU_DEP_1) | instskip(NEXT) | instid1(VALU_DEP_2)
	v_pk_fma_f32 v[140:141], v[136:137], v[68:69], v[140:141] op_sel_hi:[1,1,0] neg_lo:[0,0,1] neg_hi:[0,0,1]
	v_pk_fma_f32 v[136:137], v[136:137], v[68:69], v[142:143] op_sel:[1,0,0] op_sel_hi:[0,1,0]
	s_delay_alu instid0(VALU_DEP_1) | instskip(SKIP_1) | instid1(VALU_DEP_2)
	v_mov_b32_e32 v141, v137
	v_pk_mul_f32 v[136:137], v[138:139], v[128:129] op_sel:[0,1]
	v_pk_add_f32 v[58:59], v[58:59], v[140:141] neg_lo:[0,1] neg_hi:[0,1]
	s_delay_alu instid0(VALU_DEP_2) | instskip(SKIP_1) | instid1(VALU_DEP_1)
	v_pk_fma_f32 v[140:141], v[138:139], v[126:127], v[136:137] op_sel:[0,0,1] op_sel_hi:[1,1,0] neg_lo:[0,0,1] neg_hi:[0,0,1]
	v_pk_fma_f32 v[136:137], v[138:139], v[126:127], v[136:137] op_sel:[0,0,1] op_sel_hi:[1,0,0]
	v_mov_b32_e32 v141, v137
	ds_load_2addr_b64 v[136:139], v130 offset0:44 offset1:45
	v_pk_add_f32 v[12:13], v[12:13], v[140:141] neg_lo:[0,1] neg_hi:[0,1]
	s_wait_dscnt 0x0
	v_pk_mul_f32 v[140:141], v[136:137], v[128:129] op_sel:[0,1]
	s_delay_alu instid0(VALU_DEP_1) | instskip(SKIP_1) | instid1(VALU_DEP_1)
	v_pk_fma_f32 v[142:143], v[136:137], v[126:127], v[140:141] op_sel:[0,0,1] op_sel_hi:[1,1,0] neg_lo:[0,0,1] neg_hi:[0,0,1]
	v_pk_fma_f32 v[136:137], v[136:137], v[126:127], v[140:141] op_sel:[0,0,1] op_sel_hi:[1,0,0]
	v_mov_b32_e32 v143, v137
	v_pk_mul_f32 v[136:137], v[138:139], v[128:129] op_sel:[0,1]
	s_delay_alu instid0(VALU_DEP_2) | instskip(NEXT) | instid1(VALU_DEP_2)
	v_pk_add_f32 v[54:55], v[54:55], v[142:143] neg_lo:[0,1] neg_hi:[0,1]
	v_pk_fma_f32 v[140:141], v[138:139], v[126:127], v[136:137] op_sel:[0,0,1] op_sel_hi:[1,1,0] neg_lo:[0,0,1] neg_hi:[0,0,1]
	v_pk_fma_f32 v[136:137], v[138:139], v[126:127], v[136:137] op_sel:[0,0,1] op_sel_hi:[1,0,0]
	s_delay_alu instid0(VALU_DEP_1) | instskip(SKIP_4) | instid1(VALU_DEP_1)
	v_mov_b32_e32 v141, v137
	ds_load_2addr_b64 v[136:139], v130 offset0:46 offset1:47
	v_pk_add_f32 v[50:51], v[50:51], v[140:141] neg_lo:[0,1] neg_hi:[0,1]
	s_wait_dscnt 0x0
	v_pk_mul_f32 v[140:141], v[136:137], v[128:129] op_sel:[0,1]
	v_pk_fma_f32 v[142:143], v[136:137], v[126:127], v[140:141] op_sel:[0,0,1] op_sel_hi:[1,1,0] neg_lo:[0,0,1] neg_hi:[0,0,1]
	v_pk_fma_f32 v[136:137], v[136:137], v[126:127], v[140:141] op_sel:[0,0,1] op_sel_hi:[1,0,0]
	v_dual_mul_f32 v140, v139, v129 :: v_dual_mov_b32 v136, v139
	s_delay_alu instid0(VALU_DEP_2) | instskip(NEXT) | instid1(VALU_DEP_2)
	v_dual_mov_b32 v143, v137 :: v_dual_mov_b32 v137, v138
	v_pk_fma_f32 v[140:141], v[138:139], v[68:69], v[140:141] op_sel_hi:[1,1,0] neg_lo:[0,0,1] neg_hi:[0,0,1]
	v_mul_f32_e32 v138, v139, v126
	s_delay_alu instid0(VALU_DEP_3) | instskip(NEXT) | instid1(VALU_DEP_2)
	v_pk_add_f32 v[52:53], v[52:53], v[142:143] neg_lo:[0,1] neg_hi:[0,1]
	v_pk_fma_f32 v[136:137], v[136:137], v[68:69], v[138:139] op_sel_hi:[1,1,0]
	s_delay_alu instid0(VALU_DEP_1) | instskip(SKIP_4) | instid1(VALU_DEP_1)
	v_mov_b32_e32 v141, v137
	ds_load_2addr_b64 v[136:139], v130 offset0:48 offset1:49
	v_pk_add_f32 v[10:11], v[10:11], v[140:141] neg_lo:[0,1] neg_hi:[0,1]
	s_wait_dscnt 0x0
	v_pk_mul_f32 v[140:141], v[136:137], v[128:129] op_sel:[0,1]
	v_pk_fma_f32 v[142:143], v[136:137], v[126:127], v[140:141] op_sel:[0,0,1] op_sel_hi:[1,1,0] neg_lo:[0,0,1] neg_hi:[0,0,1]
	v_pk_fma_f32 v[136:137], v[136:137], v[126:127], v[140:141] op_sel:[0,0,1] op_sel_hi:[1,0,0]
	s_delay_alu instid0(VALU_DEP_1) | instskip(SKIP_1) | instid1(VALU_DEP_1)
	v_mov_b32_e32 v143, v137
	v_pk_mul_f32 v[136:137], v[138:139], v[128:129] op_sel:[0,1]
	v_pk_fma_f32 v[140:141], v[138:139], v[126:127], v[136:137] op_sel:[0,0,1] op_sel_hi:[1,1,0] neg_lo:[0,0,1] neg_hi:[0,0,1]
	v_pk_fma_f32 v[136:137], v[138:139], v[126:127], v[136:137] op_sel:[0,0,1] op_sel_hi:[1,0,0]
	s_delay_alu instid0(VALU_DEP_1)
	v_mov_b32_e32 v141, v137
	ds_load_2addr_b64 v[136:139], v130 offset0:50 offset1:51
	v_pk_add_f32 v[46:47], v[46:47], v[142:143] neg_lo:[0,1] neg_hi:[0,1]
	v_pk_add_f32 v[44:45], v[44:45], v[140:141] neg_lo:[0,1] neg_hi:[0,1]
	s_wait_dscnt 0x0
	v_pk_mul_f32 v[140:141], v[136:137], v[128:129] op_sel:[0,1]
	s_delay_alu instid0(VALU_DEP_1) | instskip(SKIP_1) | instid1(VALU_DEP_1)
	v_pk_fma_f32 v[142:143], v[136:137], v[126:127], v[140:141] op_sel:[0,0,1] op_sel_hi:[1,1,0] neg_lo:[0,0,1] neg_hi:[0,0,1]
	v_pk_fma_f32 v[136:137], v[136:137], v[126:127], v[140:141] op_sel:[0,0,1] op_sel_hi:[1,0,0]
	v_mov_b32_e32 v143, v137
	v_pk_mul_f32 v[136:137], v[138:139], v[128:129] op_sel:[0,1]
	s_delay_alu instid0(VALU_DEP_1) | instskip(SKIP_1) | instid1(VALU_DEP_1)
	v_pk_fma_f32 v[140:141], v[138:139], v[126:127], v[136:137] op_sel:[0,0,1] op_sel_hi:[1,1,0] neg_lo:[0,0,1] neg_hi:[0,0,1]
	v_pk_fma_f32 v[136:137], v[138:139], v[126:127], v[136:137] op_sel:[0,0,1] op_sel_hi:[1,0,0]
	v_mov_b32_e32 v141, v137
	ds_load_2addr_b64 v[136:139], v130 offset0:52 offset1:53
	v_pk_add_f32 v[48:49], v[48:49], v[142:143] neg_lo:[0,1] neg_hi:[0,1]
	v_pk_add_f32 v[8:9], v[8:9], v[140:141] neg_lo:[0,1] neg_hi:[0,1]
	s_wait_dscnt 0x0
	v_dual_mul_f32 v140, v137, v129 :: v_dual_mul_f32 v142, v137, v126
	s_delay_alu instid0(VALU_DEP_1) | instskip(NEXT) | instid1(VALU_DEP_2)
	v_pk_fma_f32 v[140:141], v[136:137], v[68:69], v[140:141] op_sel_hi:[1,1,0] neg_lo:[0,0,1] neg_hi:[0,0,1]
	v_pk_fma_f32 v[136:137], v[136:137], v[68:69], v[142:143] op_sel:[1,0,0] op_sel_hi:[0,1,0]
	s_delay_alu instid0(VALU_DEP_1) | instskip(SKIP_1) | instid1(VALU_DEP_2)
	v_mov_b32_e32 v141, v137
	v_pk_mul_f32 v[136:137], v[138:139], v[128:129] op_sel:[0,1]
	v_pk_add_f32 v[34:35], v[34:35], v[140:141] neg_lo:[0,1] neg_hi:[0,1]
	s_delay_alu instid0(VALU_DEP_2) | instskip(SKIP_1) | instid1(VALU_DEP_1)
	v_pk_fma_f32 v[140:141], v[138:139], v[126:127], v[136:137] op_sel:[0,0,1] op_sel_hi:[1,1,0] neg_lo:[0,0,1] neg_hi:[0,0,1]
	v_pk_fma_f32 v[136:137], v[138:139], v[126:127], v[136:137] op_sel:[0,0,1] op_sel_hi:[1,0,0]
	v_mov_b32_e32 v141, v137
	ds_load_2addr_b64 v[136:139], v130 offset0:54 offset1:55
	v_pk_add_f32 v[28:29], v[28:29], v[140:141] neg_lo:[0,1] neg_hi:[0,1]
	s_wait_dscnt 0x0
	v_pk_mul_f32 v[140:141], v[136:137], v[128:129] op_sel:[0,1]
	s_delay_alu instid0(VALU_DEP_1) | instskip(SKIP_1) | instid1(VALU_DEP_1)
	v_pk_fma_f32 v[142:143], v[136:137], v[126:127], v[140:141] op_sel:[0,0,1] op_sel_hi:[1,1,0] neg_lo:[0,0,1] neg_hi:[0,0,1]
	v_pk_fma_f32 v[136:137], v[136:137], v[126:127], v[140:141] op_sel:[0,0,1] op_sel_hi:[1,0,0]
	v_mov_b32_e32 v143, v137
	v_pk_mul_f32 v[136:137], v[138:139], v[128:129] op_sel:[0,1]
	s_delay_alu instid0(VALU_DEP_2) | instskip(NEXT) | instid1(VALU_DEP_2)
	v_pk_add_f32 v[32:33], v[32:33], v[142:143] neg_lo:[0,1] neg_hi:[0,1]
	v_pk_fma_f32 v[140:141], v[138:139], v[126:127], v[136:137] op_sel:[0,0,1] op_sel_hi:[1,1,0] neg_lo:[0,0,1] neg_hi:[0,0,1]
	v_pk_fma_f32 v[136:137], v[138:139], v[126:127], v[136:137] op_sel:[0,0,1] op_sel_hi:[1,0,0]
	s_delay_alu instid0(VALU_DEP_1) | instskip(SKIP_4) | instid1(VALU_DEP_1)
	v_mov_b32_e32 v141, v137
	ds_load_2addr_b64 v[136:139], v130 offset0:56 offset1:57
	v_pk_add_f32 v[6:7], v[6:7], v[140:141] neg_lo:[0,1] neg_hi:[0,1]
	s_wait_dscnt 0x0
	v_pk_mul_f32 v[140:141], v[136:137], v[128:129] op_sel:[0,1]
	v_pk_fma_f32 v[142:143], v[136:137], v[126:127], v[140:141] op_sel:[0,0,1] op_sel_hi:[1,1,0] neg_lo:[0,0,1] neg_hi:[0,0,1]
	v_pk_fma_f32 v[136:137], v[136:137], v[126:127], v[140:141] op_sel:[0,0,1] op_sel_hi:[1,0,0]
	v_dual_mul_f32 v140, v139, v129 :: v_dual_mov_b32 v136, v139
	s_delay_alu instid0(VALU_DEP_2) | instskip(NEXT) | instid1(VALU_DEP_2)
	v_dual_mov_b32 v143, v137 :: v_dual_mov_b32 v137, v138
	v_pk_fma_f32 v[140:141], v[138:139], v[68:69], v[140:141] op_sel_hi:[1,1,0] neg_lo:[0,0,1] neg_hi:[0,0,1]
	v_mul_f32_e32 v138, v139, v126
	s_delay_alu instid0(VALU_DEP_3) | instskip(NEXT) | instid1(VALU_DEP_2)
	v_pk_add_f32 v[26:27], v[26:27], v[142:143] neg_lo:[0,1] neg_hi:[0,1]
	v_pk_fma_f32 v[136:137], v[136:137], v[68:69], v[138:139] op_sel_hi:[1,1,0]
	s_delay_alu instid0(VALU_DEP_1)
	v_mov_b32_e32 v141, v137
	ds_load_2addr_b64 v[136:139], v130 offset0:58 offset1:59
	v_pk_add_f32 v[16:17], v[16:17], v[140:141] neg_lo:[0,1] neg_hi:[0,1]
	s_wait_dscnt 0x0
	v_pk_mul_f32 v[140:141], v[136:137], v[128:129] op_sel:[0,1]
	v_pk_mul_f32 v[128:129], v[138:139], v[128:129] op_sel:[0,1]
	s_delay_alu instid0(VALU_DEP_2) | instskip(SKIP_1) | instid1(VALU_DEP_1)
	v_pk_fma_f32 v[142:143], v[136:137], v[126:127], v[140:141] op_sel:[0,0,1] op_sel_hi:[1,1,0] neg_lo:[0,0,1] neg_hi:[0,0,1]
	v_pk_fma_f32 v[136:137], v[136:137], v[126:127], v[140:141] op_sel:[0,0,1] op_sel_hi:[1,0,0]
	v_mov_b32_e32 v143, v137
	s_delay_alu instid0(VALU_DEP_4) | instskip(SKIP_1) | instid1(VALU_DEP_1)
	v_pk_fma_f32 v[136:137], v[138:139], v[126:127], v[128:129] op_sel:[0,0,1] op_sel_hi:[1,1,0] neg_lo:[0,0,1] neg_hi:[0,0,1]
	v_pk_fma_f32 v[126:127], v[138:139], v[126:127], v[128:129] op_sel:[0,0,1] op_sel_hi:[1,0,0]
	v_mov_b32_e32 v137, v127
	s_delay_alu instid0(VALU_DEP_4) | instskip(NEXT) | instid1(VALU_DEP_2)
	v_pk_add_f32 v[14:15], v[14:15], v[142:143] neg_lo:[0,1] neg_hi:[0,1]
	v_pk_add_f32 v[124:125], v[124:125], v[136:137] neg_lo:[0,1] neg_hi:[0,1]
.LBB118_713:
	s_or_b32 exec_lo, exec_lo, s0
	v_lshl_add_u32 v126, v134, 3, v130
	s_barrier_signal -1
	s_barrier_wait -1
	ds_store_b64 v126, v[70:71]
	s_wait_dscnt 0x0
	s_barrier_signal -1
	s_barrier_wait -1
	ds_load_b64 v[128:129], v130 offset:272
	v_mov_b32_e32 v126, 34
	s_cmp_lt_i32 s18, 36
	s_cbranch_scc1 .LBB118_716
; %bb.714:
	v_add3_u32 v127, v131, 0, 0x118
	v_mov_b32_e32 v126, 34
	s_mov_b32 s0, 35
.LBB118_715:                            ; =>This Inner Loop Header: Depth=1
	ds_load_b64 v[136:137], v127
	s_wait_dscnt 0x1
	v_cmp_gt_f32_e32 vcc_lo, 0, v128
	v_cndmask_b32_e64 v138, v128, -v128, vcc_lo
	v_cmp_gt_f32_e32 vcc_lo, 0, v129
	v_cndmask_b32_e64 v140, v129, -v129, vcc_lo
	s_wait_dscnt 0x0
	v_cmp_gt_f32_e32 vcc_lo, 0, v136
	v_cndmask_b32_e64 v139, v136, -v136, vcc_lo
	v_cmp_gt_f32_e32 vcc_lo, 0, v137
	v_cndmask_b32_e64 v141, v137, -v137, vcc_lo
	s_delay_alu instid0(VALU_DEP_1) | instskip(NEXT) | instid1(VALU_DEP_1)
	v_pk_add_f32 v[138:139], v[138:139], v[140:141]
	v_cmp_lt_f32_e32 vcc_lo, v138, v139
	v_dual_add_nc_u32 v127, 8, v127 :: v_dual_cndmask_b32 v129, v129, v137, vcc_lo
	v_cndmask_b32_e32 v128, v128, v136, vcc_lo
	v_cndmask_b32_e64 v126, v126, s0, vcc_lo
	s_add_co_i32 s0, s0, 1
	s_delay_alu instid0(SALU_CYCLE_1)
	s_cmp_lg_u32 s18, s0
	s_cbranch_scc1 .LBB118_715
.LBB118_716:
	s_wait_dscnt 0x0
	v_cmp_eq_f32_e32 vcc_lo, 0, v128
	v_cmp_eq_f32_e64 s0, 0, v129
	s_and_b32 s0, vcc_lo, s0
	s_delay_alu instid0(SALU_CYCLE_1) | instskip(NEXT) | instid1(SALU_CYCLE_1)
	s_and_saveexec_b32 s1, s0
	s_xor_b32 s0, exec_lo, s1
; %bb.717:
	v_cmp_ne_u32_e32 vcc_lo, 0, v132
	v_cndmask_b32_e32 v132, 35, v132, vcc_lo
; %bb.718:
	s_and_not1_saveexec_b32 s0, s0
	s_cbranch_execz .LBB118_724
; %bb.719:
	v_cmp_ngt_f32_e64 s1, |v128|, |v129|
	s_and_saveexec_b32 s12, s1
	s_delay_alu instid0(SALU_CYCLE_1)
	s_xor_b32 s1, exec_lo, s12
	s_cbranch_execz .LBB118_721
; %bb.720:
	v_div_scale_f32 v127, null, v129, v129, v128
	v_div_scale_f32 v137, vcc_lo, v128, v129, v128
	s_delay_alu instid0(VALU_DEP_2) | instskip(SKIP_1) | instid1(TRANS32_DEP_1)
	v_rcp_f32_e32 v135, v127
	v_nop
	v_fma_f32 v136, -v127, v135, 1.0
	s_delay_alu instid0(VALU_DEP_1) | instskip(NEXT) | instid1(VALU_DEP_1)
	v_fmac_f32_e32 v135, v136, v135
	v_mul_f32_e32 v136, v137, v135
	s_delay_alu instid0(VALU_DEP_1) | instskip(NEXT) | instid1(VALU_DEP_1)
	v_fma_f32 v138, -v127, v136, v137
	v_fmac_f32_e32 v136, v138, v135
	s_delay_alu instid0(VALU_DEP_1) | instskip(NEXT) | instid1(VALU_DEP_1)
	v_fma_f32 v127, -v127, v136, v137
	v_div_fmas_f32 v127, v127, v135, v136
	s_delay_alu instid0(VALU_DEP_1) | instskip(NEXT) | instid1(VALU_DEP_1)
	v_div_fixup_f32 v127, v127, v129, v128
	v_fmac_f32_e32 v129, v128, v127
	s_delay_alu instid0(VALU_DEP_1) | instskip(SKIP_1) | instid1(VALU_DEP_2)
	v_div_scale_f32 v128, null, v129, v129, 1.0
	v_div_scale_f32 v137, vcc_lo, 1.0, v129, 1.0
	v_rcp_f32_e32 v135, v128
	v_nop
	s_delay_alu instid0(TRANS32_DEP_1) | instskip(NEXT) | instid1(VALU_DEP_1)
	v_fma_f32 v136, -v128, v135, 1.0
	v_fmac_f32_e32 v135, v136, v135
	s_delay_alu instid0(VALU_DEP_1) | instskip(NEXT) | instid1(VALU_DEP_1)
	v_mul_f32_e32 v136, v137, v135
	v_fma_f32 v138, -v128, v136, v137
	s_delay_alu instid0(VALU_DEP_1) | instskip(NEXT) | instid1(VALU_DEP_1)
	v_fmac_f32_e32 v136, v138, v135
	v_fma_f32 v128, -v128, v136, v137
	s_delay_alu instid0(VALU_DEP_1) | instskip(NEXT) | instid1(VALU_DEP_1)
	v_div_fmas_f32 v128, v128, v135, v136
	v_div_fixup_f32 v129, v128, v129, 1.0
	s_delay_alu instid0(VALU_DEP_1)
	v_mul_f32_e32 v128, v127, v129
	v_xor_b32_e32 v129, 0x80000000, v129
.LBB118_721:
	s_and_not1_saveexec_b32 s1, s1
	s_cbranch_execz .LBB118_723
; %bb.722:
	s_delay_alu instid0(VALU_DEP_1) | instskip(SKIP_1) | instid1(VALU_DEP_2)
	v_div_scale_f32 v127, null, v128, v128, v129
	v_div_scale_f32 v137, vcc_lo, v129, v128, v129
	v_rcp_f32_e32 v135, v127
	v_nop
	s_delay_alu instid0(TRANS32_DEP_1) | instskip(NEXT) | instid1(VALU_DEP_1)
	v_fma_f32 v136, -v127, v135, 1.0
	v_fmac_f32_e32 v135, v136, v135
	s_delay_alu instid0(VALU_DEP_1) | instskip(NEXT) | instid1(VALU_DEP_1)
	v_mul_f32_e32 v136, v137, v135
	v_fma_f32 v138, -v127, v136, v137
	s_delay_alu instid0(VALU_DEP_1) | instskip(NEXT) | instid1(VALU_DEP_1)
	v_fmac_f32_e32 v136, v138, v135
	v_fma_f32 v127, -v127, v136, v137
	s_delay_alu instid0(VALU_DEP_1) | instskip(NEXT) | instid1(VALU_DEP_1)
	v_div_fmas_f32 v127, v127, v135, v136
	v_div_fixup_f32 v127, v127, v128, v129
	s_delay_alu instid0(VALU_DEP_1) | instskip(NEXT) | instid1(VALU_DEP_1)
	v_fmac_f32_e32 v128, v129, v127
	v_div_scale_f32 v129, null, v128, v128, 1.0
	s_delay_alu instid0(VALU_DEP_1) | instskip(SKIP_1) | instid1(TRANS32_DEP_1)
	v_rcp_f32_e32 v135, v129
	v_nop
	v_fma_f32 v136, -v129, v135, 1.0
	s_delay_alu instid0(VALU_DEP_1) | instskip(SKIP_1) | instid1(VALU_DEP_1)
	v_fmac_f32_e32 v135, v136, v135
	v_div_scale_f32 v136, vcc_lo, 1.0, v128, 1.0
	v_mul_f32_e32 v137, v136, v135
	s_delay_alu instid0(VALU_DEP_1) | instskip(NEXT) | instid1(VALU_DEP_1)
	v_fma_f32 v138, -v129, v137, v136
	v_fmac_f32_e32 v137, v138, v135
	s_delay_alu instid0(VALU_DEP_1) | instskip(NEXT) | instid1(VALU_DEP_1)
	v_fma_f32 v129, -v129, v137, v136
	v_div_fmas_f32 v129, v129, v135, v137
	s_delay_alu instid0(VALU_DEP_1) | instskip(NEXT) | instid1(VALU_DEP_1)
	v_div_fixup_f32 v128, v129, v128, 1.0
	v_mul_f32_e64 v129, v127, -v128
.LBB118_723:
	s_or_b32 exec_lo, exec_lo, s1
.LBB118_724:
	s_delay_alu instid0(SALU_CYCLE_1) | instskip(NEXT) | instid1(SALU_CYCLE_1)
	s_or_b32 exec_lo, exec_lo, s0
	s_mov_b32 s0, exec_lo
	v_cmpx_ne_u32_e64 v134, v126
	s_xor_b32 s0, exec_lo, s0
	s_cbranch_execz .LBB118_730
; %bb.725:
	s_mov_b32 s1, exec_lo
	v_cmpx_eq_u32_e32 34, v134
	s_cbranch_execz .LBB118_729
; %bb.726:
	v_cmp_ne_u32_e32 vcc_lo, 34, v126
	s_xor_b32 s12, s16, -1
	s_delay_alu instid0(SALU_CYCLE_1) | instskip(NEXT) | instid1(SALU_CYCLE_1)
	s_and_b32 s13, s12, vcc_lo
	s_and_saveexec_b32 s12, s13
	s_cbranch_execz .LBB118_728
; %bb.727:
	v_ashrrev_i32_e32 v127, 31, v126
	s_delay_alu instid0(VALU_DEP_1)
	v_lshl_add_u64 v[134:135], v[126:127], 2, v[4:5]
	s_clause 0x1
	global_load_b32 v127, v[134:135], off
	global_load_b32 v133, v[4:5], off offset:136
	s_wait_loadcnt 0x1
	global_store_b32 v[4:5], v127, off offset:136
	s_wait_loadcnt 0x0
	global_store_b32 v[134:135], v133, off
.LBB118_728:
	s_wait_xcnt 0x0
	s_or_b32 exec_lo, exec_lo, s12
	v_dual_mov_b32 v134, v126 :: v_dual_mov_b32 v133, v126
.LBB118_729:
	s_or_b32 exec_lo, exec_lo, s1
.LBB118_730:
	s_and_not1_saveexec_b32 s0, s0
	s_cbranch_execz .LBB118_732
; %bb.731:
	v_mov_b32_e32 v134, 34
	ds_store_2addr_b64 v130, v[20:21], v[66:67] offset0:35 offset1:36
	ds_store_2addr_b64 v130, v[62:63], v[64:65] offset0:37 offset1:38
	;; [unrolled: 1-line block ×12, first 2 shown]
	ds_store_b64 v130, v[124:125] offset:472
.LBB118_732:
	s_or_b32 exec_lo, exec_lo, s0
	s_delay_alu instid0(SALU_CYCLE_1)
	s_mov_b32 s0, exec_lo
	s_wait_storecnt_dscnt 0x0
	s_barrier_signal -1
	s_barrier_wait -1
	v_cmpx_lt_i32_e32 34, v134
	s_cbranch_execz .LBB118_734
; %bb.733:
	v_pk_mul_f32 v[136:137], v[128:129], v[70:71] op_sel:[1,1] op_sel_hi:[0,1]
	s_delay_alu instid0(VALU_DEP_1)
	v_pk_fma_f32 v[126:127], v[128:129], v[70:71], v[136:137] op_sel_hi:[1,0,1] neg_lo:[0,0,1] neg_hi:[0,0,1]
	v_pk_fma_f32 v[128:129], v[128:129], v[70:71], v[136:137] op_sel_hi:[1,0,1]
	ds_load_2addr_b64 v[136:139], v130 offset0:35 offset1:36
	v_dual_mov_b32 v70, v126 :: v_dual_mov_b32 v71, v129
	s_wait_dscnt 0x0
	v_pk_mul_f32 v[140:141], v[136:137], v[128:129] op_sel:[0,1]
	s_delay_alu instid0(VALU_DEP_1) | instskip(SKIP_1) | instid1(VALU_DEP_1)
	v_pk_fma_f32 v[142:143], v[136:137], v[126:127], v[140:141] op_sel:[0,0,1] op_sel_hi:[1,1,0] neg_lo:[0,0,1] neg_hi:[0,0,1]
	v_pk_fma_f32 v[136:137], v[136:137], v[126:127], v[140:141] op_sel:[0,0,1] op_sel_hi:[1,0,0]
	v_mov_b32_e32 v143, v137
	v_pk_mul_f32 v[136:137], v[138:139], v[128:129] op_sel:[0,1]
	s_delay_alu instid0(VALU_DEP_1) | instskip(SKIP_1) | instid1(VALU_DEP_1)
	v_pk_fma_f32 v[140:141], v[138:139], v[126:127], v[136:137] op_sel:[0,0,1] op_sel_hi:[1,1,0] neg_lo:[0,0,1] neg_hi:[0,0,1]
	v_pk_fma_f32 v[136:137], v[138:139], v[126:127], v[136:137] op_sel:[0,0,1] op_sel_hi:[1,0,0]
	v_mov_b32_e32 v141, v137
	ds_load_2addr_b64 v[136:139], v130 offset0:37 offset1:38
	v_pk_add_f32 v[20:21], v[20:21], v[142:143] neg_lo:[0,1] neg_hi:[0,1]
	v_pk_add_f32 v[66:67], v[66:67], v[140:141] neg_lo:[0,1] neg_hi:[0,1]
	s_wait_dscnt 0x0
	v_pk_mul_f32 v[140:141], v[136:137], v[128:129] op_sel:[0,1]
	s_delay_alu instid0(VALU_DEP_1) | instskip(SKIP_2) | instid1(VALU_DEP_2)
	v_pk_fma_f32 v[142:143], v[136:137], v[126:127], v[140:141] op_sel:[0,0,1] op_sel_hi:[1,1,0] neg_lo:[0,0,1] neg_hi:[0,0,1]
	v_pk_fma_f32 v[136:137], v[136:137], v[126:127], v[140:141] op_sel:[0,0,1] op_sel_hi:[1,0,0]
	v_dual_mul_f32 v140, v139, v129 :: v_dual_mov_b32 v136, v139
	v_dual_mov_b32 v143, v137 :: v_dual_mov_b32 v137, v138
	s_delay_alu instid0(VALU_DEP_2) | instskip(SKIP_1) | instid1(VALU_DEP_3)
	v_pk_fma_f32 v[140:141], v[138:139], v[70:71], v[140:141] op_sel_hi:[1,1,0] neg_lo:[0,0,1] neg_hi:[0,0,1]
	v_mul_f32_e32 v138, v139, v126
	v_pk_add_f32 v[62:63], v[62:63], v[142:143] neg_lo:[0,1] neg_hi:[0,1]
	s_delay_alu instid0(VALU_DEP_2) | instskip(NEXT) | instid1(VALU_DEP_1)
	v_pk_fma_f32 v[136:137], v[136:137], v[70:71], v[138:139] op_sel_hi:[1,1,0]
	v_mov_b32_e32 v141, v137
	ds_load_2addr_b64 v[136:139], v130 offset0:39 offset1:40
	v_pk_add_f32 v[64:65], v[64:65], v[140:141] neg_lo:[0,1] neg_hi:[0,1]
	s_wait_dscnt 0x0
	v_pk_mul_f32 v[140:141], v[136:137], v[128:129] op_sel:[0,1]
	s_delay_alu instid0(VALU_DEP_1) | instskip(SKIP_1) | instid1(VALU_DEP_1)
	v_pk_fma_f32 v[142:143], v[136:137], v[126:127], v[140:141] op_sel:[0,0,1] op_sel_hi:[1,1,0] neg_lo:[0,0,1] neg_hi:[0,0,1]
	v_pk_fma_f32 v[136:137], v[136:137], v[126:127], v[140:141] op_sel:[0,0,1] op_sel_hi:[1,0,0]
	v_mov_b32_e32 v143, v137
	v_pk_mul_f32 v[136:137], v[138:139], v[128:129] op_sel:[0,1]
	s_delay_alu instid0(VALU_DEP_1) | instskip(SKIP_1) | instid1(VALU_DEP_1)
	v_pk_fma_f32 v[140:141], v[138:139], v[126:127], v[136:137] op_sel:[0,0,1] op_sel_hi:[1,1,0] neg_lo:[0,0,1] neg_hi:[0,0,1]
	v_pk_fma_f32 v[136:137], v[138:139], v[126:127], v[136:137] op_sel:[0,0,1] op_sel_hi:[1,0,0]
	v_mov_b32_e32 v141, v137
	ds_load_2addr_b64 v[136:139], v130 offset0:41 offset1:42
	v_pk_add_f32 v[18:19], v[18:19], v[142:143] neg_lo:[0,1] neg_hi:[0,1]
	v_pk_add_f32 v[60:61], v[60:61], v[140:141] neg_lo:[0,1] neg_hi:[0,1]
	s_wait_dscnt 0x0
	v_pk_mul_f32 v[140:141], v[136:137], v[128:129] op_sel:[0,1]
	s_delay_alu instid0(VALU_DEP_1) | instskip(SKIP_1) | instid1(VALU_DEP_1)
	v_pk_fma_f32 v[142:143], v[136:137], v[126:127], v[140:141] op_sel:[0,0,1] op_sel_hi:[1,1,0] neg_lo:[0,0,1] neg_hi:[0,0,1]
	v_pk_fma_f32 v[136:137], v[136:137], v[126:127], v[140:141] op_sel:[0,0,1] op_sel_hi:[1,0,0]
	v_mov_b32_e32 v143, v137
	v_pk_mul_f32 v[136:137], v[138:139], v[128:129] op_sel:[0,1]
	s_delay_alu instid0(VALU_DEP_1) | instskip(SKIP_1) | instid1(VALU_DEP_1)
	v_pk_fma_f32 v[140:141], v[138:139], v[126:127], v[136:137] op_sel:[0,0,1] op_sel_hi:[1,1,0] neg_lo:[0,0,1] neg_hi:[0,0,1]
	v_pk_fma_f32 v[136:137], v[138:139], v[126:127], v[136:137] op_sel:[0,0,1] op_sel_hi:[1,0,0]
	v_mov_b32_e32 v141, v137
	ds_load_2addr_b64 v[136:139], v130 offset0:43 offset1:44
	v_pk_add_f32 v[56:57], v[56:57], v[142:143] neg_lo:[0,1] neg_hi:[0,1]
	v_pk_add_f32 v[58:59], v[58:59], v[140:141] neg_lo:[0,1] neg_hi:[0,1]
	s_wait_dscnt 0x0
	v_dual_mul_f32 v140, v137, v129 :: v_dual_mul_f32 v142, v137, v126
	s_delay_alu instid0(VALU_DEP_1) | instskip(NEXT) | instid1(VALU_DEP_2)
	v_pk_fma_f32 v[140:141], v[136:137], v[70:71], v[140:141] op_sel_hi:[1,1,0] neg_lo:[0,0,1] neg_hi:[0,0,1]
	v_pk_fma_f32 v[136:137], v[136:137], v[70:71], v[142:143] op_sel:[1,0,0] op_sel_hi:[0,1,0]
	s_delay_alu instid0(VALU_DEP_1) | instskip(SKIP_1) | instid1(VALU_DEP_2)
	v_mov_b32_e32 v141, v137
	v_pk_mul_f32 v[136:137], v[138:139], v[128:129] op_sel:[0,1]
	v_pk_add_f32 v[12:13], v[12:13], v[140:141] neg_lo:[0,1] neg_hi:[0,1]
	s_delay_alu instid0(VALU_DEP_2) | instskip(SKIP_1) | instid1(VALU_DEP_1)
	v_pk_fma_f32 v[140:141], v[138:139], v[126:127], v[136:137] op_sel:[0,0,1] op_sel_hi:[1,1,0] neg_lo:[0,0,1] neg_hi:[0,0,1]
	v_pk_fma_f32 v[136:137], v[138:139], v[126:127], v[136:137] op_sel:[0,0,1] op_sel_hi:[1,0,0]
	v_mov_b32_e32 v141, v137
	ds_load_2addr_b64 v[136:139], v130 offset0:45 offset1:46
	v_pk_add_f32 v[54:55], v[54:55], v[140:141] neg_lo:[0,1] neg_hi:[0,1]
	s_wait_dscnt 0x0
	v_pk_mul_f32 v[140:141], v[136:137], v[128:129] op_sel:[0,1]
	s_delay_alu instid0(VALU_DEP_1) | instskip(SKIP_1) | instid1(VALU_DEP_1)
	v_pk_fma_f32 v[142:143], v[136:137], v[126:127], v[140:141] op_sel:[0,0,1] op_sel_hi:[1,1,0] neg_lo:[0,0,1] neg_hi:[0,0,1]
	v_pk_fma_f32 v[136:137], v[136:137], v[126:127], v[140:141] op_sel:[0,0,1] op_sel_hi:[1,0,0]
	v_mov_b32_e32 v143, v137
	v_pk_mul_f32 v[136:137], v[138:139], v[128:129] op_sel:[0,1]
	s_delay_alu instid0(VALU_DEP_2) | instskip(NEXT) | instid1(VALU_DEP_2)
	v_pk_add_f32 v[50:51], v[50:51], v[142:143] neg_lo:[0,1] neg_hi:[0,1]
	v_pk_fma_f32 v[140:141], v[138:139], v[126:127], v[136:137] op_sel:[0,0,1] op_sel_hi:[1,1,0] neg_lo:[0,0,1] neg_hi:[0,0,1]
	v_pk_fma_f32 v[136:137], v[138:139], v[126:127], v[136:137] op_sel:[0,0,1] op_sel_hi:[1,0,0]
	s_delay_alu instid0(VALU_DEP_1) | instskip(SKIP_4) | instid1(VALU_DEP_1)
	v_mov_b32_e32 v141, v137
	ds_load_2addr_b64 v[136:139], v130 offset0:47 offset1:48
	v_pk_add_f32 v[52:53], v[52:53], v[140:141] neg_lo:[0,1] neg_hi:[0,1]
	s_wait_dscnt 0x0
	v_pk_mul_f32 v[140:141], v[136:137], v[128:129] op_sel:[0,1]
	v_pk_fma_f32 v[142:143], v[136:137], v[126:127], v[140:141] op_sel:[0,0,1] op_sel_hi:[1,1,0] neg_lo:[0,0,1] neg_hi:[0,0,1]
	v_pk_fma_f32 v[136:137], v[136:137], v[126:127], v[140:141] op_sel:[0,0,1] op_sel_hi:[1,0,0]
	v_dual_mul_f32 v140, v139, v129 :: v_dual_mov_b32 v136, v139
	s_delay_alu instid0(VALU_DEP_2) | instskip(NEXT) | instid1(VALU_DEP_2)
	v_dual_mov_b32 v143, v137 :: v_dual_mov_b32 v137, v138
	v_pk_fma_f32 v[140:141], v[138:139], v[70:71], v[140:141] op_sel_hi:[1,1,0] neg_lo:[0,0,1] neg_hi:[0,0,1]
	v_mul_f32_e32 v138, v139, v126
	s_delay_alu instid0(VALU_DEP_3) | instskip(NEXT) | instid1(VALU_DEP_2)
	v_pk_add_f32 v[10:11], v[10:11], v[142:143] neg_lo:[0,1] neg_hi:[0,1]
	v_pk_fma_f32 v[136:137], v[136:137], v[70:71], v[138:139] op_sel_hi:[1,1,0]
	s_delay_alu instid0(VALU_DEP_1) | instskip(SKIP_4) | instid1(VALU_DEP_1)
	v_mov_b32_e32 v141, v137
	ds_load_2addr_b64 v[136:139], v130 offset0:49 offset1:50
	v_pk_add_f32 v[46:47], v[46:47], v[140:141] neg_lo:[0,1] neg_hi:[0,1]
	s_wait_dscnt 0x0
	v_pk_mul_f32 v[140:141], v[136:137], v[128:129] op_sel:[0,1]
	v_pk_fma_f32 v[142:143], v[136:137], v[126:127], v[140:141] op_sel:[0,0,1] op_sel_hi:[1,1,0] neg_lo:[0,0,1] neg_hi:[0,0,1]
	v_pk_fma_f32 v[136:137], v[136:137], v[126:127], v[140:141] op_sel:[0,0,1] op_sel_hi:[1,0,0]
	s_delay_alu instid0(VALU_DEP_1) | instskip(SKIP_1) | instid1(VALU_DEP_1)
	v_mov_b32_e32 v143, v137
	v_pk_mul_f32 v[136:137], v[138:139], v[128:129] op_sel:[0,1]
	v_pk_fma_f32 v[140:141], v[138:139], v[126:127], v[136:137] op_sel:[0,0,1] op_sel_hi:[1,1,0] neg_lo:[0,0,1] neg_hi:[0,0,1]
	v_pk_fma_f32 v[136:137], v[138:139], v[126:127], v[136:137] op_sel:[0,0,1] op_sel_hi:[1,0,0]
	s_delay_alu instid0(VALU_DEP_1)
	v_mov_b32_e32 v141, v137
	ds_load_2addr_b64 v[136:139], v130 offset0:51 offset1:52
	v_pk_add_f32 v[44:45], v[44:45], v[142:143] neg_lo:[0,1] neg_hi:[0,1]
	v_pk_add_f32 v[48:49], v[48:49], v[140:141] neg_lo:[0,1] neg_hi:[0,1]
	s_wait_dscnt 0x0
	v_pk_mul_f32 v[140:141], v[136:137], v[128:129] op_sel:[0,1]
	s_delay_alu instid0(VALU_DEP_1) | instskip(SKIP_1) | instid1(VALU_DEP_1)
	v_pk_fma_f32 v[142:143], v[136:137], v[126:127], v[140:141] op_sel:[0,0,1] op_sel_hi:[1,1,0] neg_lo:[0,0,1] neg_hi:[0,0,1]
	v_pk_fma_f32 v[136:137], v[136:137], v[126:127], v[140:141] op_sel:[0,0,1] op_sel_hi:[1,0,0]
	v_mov_b32_e32 v143, v137
	v_pk_mul_f32 v[136:137], v[138:139], v[128:129] op_sel:[0,1]
	s_delay_alu instid0(VALU_DEP_1) | instskip(SKIP_1) | instid1(VALU_DEP_1)
	v_pk_fma_f32 v[140:141], v[138:139], v[126:127], v[136:137] op_sel:[0,0,1] op_sel_hi:[1,1,0] neg_lo:[0,0,1] neg_hi:[0,0,1]
	v_pk_fma_f32 v[136:137], v[138:139], v[126:127], v[136:137] op_sel:[0,0,1] op_sel_hi:[1,0,0]
	v_mov_b32_e32 v141, v137
	ds_load_2addr_b64 v[136:139], v130 offset0:53 offset1:54
	v_pk_add_f32 v[8:9], v[8:9], v[142:143] neg_lo:[0,1] neg_hi:[0,1]
	v_pk_add_f32 v[34:35], v[34:35], v[140:141] neg_lo:[0,1] neg_hi:[0,1]
	s_wait_dscnt 0x0
	v_dual_mul_f32 v140, v137, v129 :: v_dual_mul_f32 v142, v137, v126
	s_delay_alu instid0(VALU_DEP_1) | instskip(NEXT) | instid1(VALU_DEP_2)
	v_pk_fma_f32 v[140:141], v[136:137], v[70:71], v[140:141] op_sel_hi:[1,1,0] neg_lo:[0,0,1] neg_hi:[0,0,1]
	v_pk_fma_f32 v[136:137], v[136:137], v[70:71], v[142:143] op_sel:[1,0,0] op_sel_hi:[0,1,0]
	s_delay_alu instid0(VALU_DEP_1) | instskip(SKIP_1) | instid1(VALU_DEP_2)
	v_mov_b32_e32 v141, v137
	v_pk_mul_f32 v[136:137], v[138:139], v[128:129] op_sel:[0,1]
	v_pk_add_f32 v[28:29], v[28:29], v[140:141] neg_lo:[0,1] neg_hi:[0,1]
	s_delay_alu instid0(VALU_DEP_2) | instskip(SKIP_1) | instid1(VALU_DEP_1)
	v_pk_fma_f32 v[140:141], v[138:139], v[126:127], v[136:137] op_sel:[0,0,1] op_sel_hi:[1,1,0] neg_lo:[0,0,1] neg_hi:[0,0,1]
	v_pk_fma_f32 v[136:137], v[138:139], v[126:127], v[136:137] op_sel:[0,0,1] op_sel_hi:[1,0,0]
	v_mov_b32_e32 v141, v137
	ds_load_2addr_b64 v[136:139], v130 offset0:55 offset1:56
	v_pk_add_f32 v[32:33], v[32:33], v[140:141] neg_lo:[0,1] neg_hi:[0,1]
	s_wait_dscnt 0x0
	v_pk_mul_f32 v[140:141], v[136:137], v[128:129] op_sel:[0,1]
	s_delay_alu instid0(VALU_DEP_1) | instskip(SKIP_1) | instid1(VALU_DEP_1)
	v_pk_fma_f32 v[142:143], v[136:137], v[126:127], v[140:141] op_sel:[0,0,1] op_sel_hi:[1,1,0] neg_lo:[0,0,1] neg_hi:[0,0,1]
	v_pk_fma_f32 v[136:137], v[136:137], v[126:127], v[140:141] op_sel:[0,0,1] op_sel_hi:[1,0,0]
	v_mov_b32_e32 v143, v137
	v_pk_mul_f32 v[136:137], v[138:139], v[128:129] op_sel:[0,1]
	s_delay_alu instid0(VALU_DEP_2) | instskip(NEXT) | instid1(VALU_DEP_2)
	v_pk_add_f32 v[6:7], v[6:7], v[142:143] neg_lo:[0,1] neg_hi:[0,1]
	v_pk_fma_f32 v[140:141], v[138:139], v[126:127], v[136:137] op_sel:[0,0,1] op_sel_hi:[1,1,0] neg_lo:[0,0,1] neg_hi:[0,0,1]
	v_pk_fma_f32 v[136:137], v[138:139], v[126:127], v[136:137] op_sel:[0,0,1] op_sel_hi:[1,0,0]
	s_delay_alu instid0(VALU_DEP_1) | instskip(SKIP_4) | instid1(VALU_DEP_1)
	v_mov_b32_e32 v141, v137
	ds_load_2addr_b64 v[136:139], v130 offset0:57 offset1:58
	v_pk_add_f32 v[26:27], v[26:27], v[140:141] neg_lo:[0,1] neg_hi:[0,1]
	s_wait_dscnt 0x0
	v_pk_mul_f32 v[140:141], v[136:137], v[128:129] op_sel:[0,1]
	v_pk_fma_f32 v[142:143], v[136:137], v[126:127], v[140:141] op_sel:[0,0,1] op_sel_hi:[1,1,0] neg_lo:[0,0,1] neg_hi:[0,0,1]
	v_pk_fma_f32 v[136:137], v[136:137], v[126:127], v[140:141] op_sel:[0,0,1] op_sel_hi:[1,0,0]
	v_dual_mul_f32 v140, v139, v129 :: v_dual_mov_b32 v136, v139
	s_delay_alu instid0(VALU_DEP_2) | instskip(NEXT) | instid1(VALU_DEP_2)
	v_dual_mov_b32 v143, v137 :: v_dual_mov_b32 v137, v138
	v_pk_fma_f32 v[140:141], v[138:139], v[70:71], v[140:141] op_sel_hi:[1,1,0] neg_lo:[0,0,1] neg_hi:[0,0,1]
	v_mul_f32_e32 v138, v139, v126
	s_delay_alu instid0(VALU_DEP_3) | instskip(NEXT) | instid1(VALU_DEP_2)
	v_pk_add_f32 v[16:17], v[16:17], v[142:143] neg_lo:[0,1] neg_hi:[0,1]
	v_pk_fma_f32 v[136:137], v[136:137], v[70:71], v[138:139] op_sel_hi:[1,1,0]
	s_delay_alu instid0(VALU_DEP_1) | instskip(SKIP_4) | instid1(VALU_DEP_1)
	v_mov_b32_e32 v141, v137
	ds_load_b64 v[136:137], v130 offset:472
	v_pk_add_f32 v[14:15], v[14:15], v[140:141] neg_lo:[0,1] neg_hi:[0,1]
	s_wait_dscnt 0x0
	v_pk_mul_f32 v[128:129], v[136:137], v[128:129] op_sel:[0,1]
	v_pk_fma_f32 v[138:139], v[136:137], v[126:127], v[128:129] op_sel:[0,0,1] op_sel_hi:[1,1,0] neg_lo:[0,0,1] neg_hi:[0,0,1]
	v_pk_fma_f32 v[126:127], v[136:137], v[126:127], v[128:129] op_sel:[0,0,1] op_sel_hi:[1,0,0]
	s_delay_alu instid0(VALU_DEP_1) | instskip(NEXT) | instid1(VALU_DEP_1)
	v_mov_b32_e32 v139, v127
	v_pk_add_f32 v[124:125], v[124:125], v[138:139] neg_lo:[0,1] neg_hi:[0,1]
.LBB118_734:
	s_or_b32 exec_lo, exec_lo, s0
	v_lshl_add_u32 v126, v134, 3, v130
	s_barrier_signal -1
	s_barrier_wait -1
	ds_store_b64 v126, v[20:21]
	s_wait_dscnt 0x0
	s_barrier_signal -1
	s_barrier_wait -1
	ds_load_b64 v[128:129], v130 offset:280
	v_mov_b32_e32 v126, 35
	s_cmp_lt_i32 s18, 37
	s_cbranch_scc1 .LBB118_737
; %bb.735:
	v_add3_u32 v127, v131, 0, 0x120
	v_mov_b32_e32 v126, 35
	s_mov_b32 s0, 36
.LBB118_736:                            ; =>This Inner Loop Header: Depth=1
	ds_load_b64 v[136:137], v127
	s_wait_dscnt 0x1
	v_cmp_gt_f32_e32 vcc_lo, 0, v128
	v_cndmask_b32_e64 v138, v128, -v128, vcc_lo
	v_cmp_gt_f32_e32 vcc_lo, 0, v129
	v_cndmask_b32_e64 v140, v129, -v129, vcc_lo
	s_wait_dscnt 0x0
	v_cmp_gt_f32_e32 vcc_lo, 0, v136
	v_cndmask_b32_e64 v139, v136, -v136, vcc_lo
	v_cmp_gt_f32_e32 vcc_lo, 0, v137
	v_cndmask_b32_e64 v141, v137, -v137, vcc_lo
	s_delay_alu instid0(VALU_DEP_1) | instskip(NEXT) | instid1(VALU_DEP_1)
	v_pk_add_f32 v[138:139], v[138:139], v[140:141]
	v_cmp_lt_f32_e32 vcc_lo, v138, v139
	v_dual_add_nc_u32 v127, 8, v127 :: v_dual_cndmask_b32 v129, v129, v137, vcc_lo
	v_cndmask_b32_e32 v128, v128, v136, vcc_lo
	v_cndmask_b32_e64 v126, v126, s0, vcc_lo
	s_add_co_i32 s0, s0, 1
	s_delay_alu instid0(SALU_CYCLE_1)
	s_cmp_lg_u32 s18, s0
	s_cbranch_scc1 .LBB118_736
.LBB118_737:
	s_wait_dscnt 0x0
	v_cmp_eq_f32_e32 vcc_lo, 0, v128
	v_cmp_eq_f32_e64 s0, 0, v129
	s_and_b32 s0, vcc_lo, s0
	s_delay_alu instid0(SALU_CYCLE_1) | instskip(NEXT) | instid1(SALU_CYCLE_1)
	s_and_saveexec_b32 s1, s0
	s_xor_b32 s0, exec_lo, s1
; %bb.738:
	v_cmp_ne_u32_e32 vcc_lo, 0, v132
	v_cndmask_b32_e32 v132, 36, v132, vcc_lo
; %bb.739:
	s_and_not1_saveexec_b32 s0, s0
	s_cbranch_execz .LBB118_745
; %bb.740:
	v_cmp_ngt_f32_e64 s1, |v128|, |v129|
	s_and_saveexec_b32 s12, s1
	s_delay_alu instid0(SALU_CYCLE_1)
	s_xor_b32 s1, exec_lo, s12
	s_cbranch_execz .LBB118_742
; %bb.741:
	v_div_scale_f32 v127, null, v129, v129, v128
	v_div_scale_f32 v137, vcc_lo, v128, v129, v128
	s_delay_alu instid0(VALU_DEP_2) | instskip(SKIP_1) | instid1(TRANS32_DEP_1)
	v_rcp_f32_e32 v135, v127
	v_nop
	v_fma_f32 v136, -v127, v135, 1.0
	s_delay_alu instid0(VALU_DEP_1) | instskip(NEXT) | instid1(VALU_DEP_1)
	v_fmac_f32_e32 v135, v136, v135
	v_mul_f32_e32 v136, v137, v135
	s_delay_alu instid0(VALU_DEP_1) | instskip(NEXT) | instid1(VALU_DEP_1)
	v_fma_f32 v138, -v127, v136, v137
	v_fmac_f32_e32 v136, v138, v135
	s_delay_alu instid0(VALU_DEP_1) | instskip(NEXT) | instid1(VALU_DEP_1)
	v_fma_f32 v127, -v127, v136, v137
	v_div_fmas_f32 v127, v127, v135, v136
	s_delay_alu instid0(VALU_DEP_1) | instskip(NEXT) | instid1(VALU_DEP_1)
	v_div_fixup_f32 v127, v127, v129, v128
	v_fmac_f32_e32 v129, v128, v127
	s_delay_alu instid0(VALU_DEP_1) | instskip(SKIP_1) | instid1(VALU_DEP_2)
	v_div_scale_f32 v128, null, v129, v129, 1.0
	v_div_scale_f32 v137, vcc_lo, 1.0, v129, 1.0
	v_rcp_f32_e32 v135, v128
	v_nop
	s_delay_alu instid0(TRANS32_DEP_1) | instskip(NEXT) | instid1(VALU_DEP_1)
	v_fma_f32 v136, -v128, v135, 1.0
	v_fmac_f32_e32 v135, v136, v135
	s_delay_alu instid0(VALU_DEP_1) | instskip(NEXT) | instid1(VALU_DEP_1)
	v_mul_f32_e32 v136, v137, v135
	v_fma_f32 v138, -v128, v136, v137
	s_delay_alu instid0(VALU_DEP_1) | instskip(NEXT) | instid1(VALU_DEP_1)
	v_fmac_f32_e32 v136, v138, v135
	v_fma_f32 v128, -v128, v136, v137
	s_delay_alu instid0(VALU_DEP_1) | instskip(NEXT) | instid1(VALU_DEP_1)
	v_div_fmas_f32 v128, v128, v135, v136
	v_div_fixup_f32 v129, v128, v129, 1.0
	s_delay_alu instid0(VALU_DEP_1)
	v_mul_f32_e32 v128, v127, v129
	v_xor_b32_e32 v129, 0x80000000, v129
.LBB118_742:
	s_and_not1_saveexec_b32 s1, s1
	s_cbranch_execz .LBB118_744
; %bb.743:
	s_delay_alu instid0(VALU_DEP_1) | instskip(SKIP_1) | instid1(VALU_DEP_2)
	v_div_scale_f32 v127, null, v128, v128, v129
	v_div_scale_f32 v137, vcc_lo, v129, v128, v129
	v_rcp_f32_e32 v135, v127
	v_nop
	s_delay_alu instid0(TRANS32_DEP_1) | instskip(NEXT) | instid1(VALU_DEP_1)
	v_fma_f32 v136, -v127, v135, 1.0
	v_fmac_f32_e32 v135, v136, v135
	s_delay_alu instid0(VALU_DEP_1) | instskip(NEXT) | instid1(VALU_DEP_1)
	v_mul_f32_e32 v136, v137, v135
	v_fma_f32 v138, -v127, v136, v137
	s_delay_alu instid0(VALU_DEP_1) | instskip(NEXT) | instid1(VALU_DEP_1)
	v_fmac_f32_e32 v136, v138, v135
	v_fma_f32 v127, -v127, v136, v137
	s_delay_alu instid0(VALU_DEP_1) | instskip(NEXT) | instid1(VALU_DEP_1)
	v_div_fmas_f32 v127, v127, v135, v136
	v_div_fixup_f32 v127, v127, v128, v129
	s_delay_alu instid0(VALU_DEP_1) | instskip(NEXT) | instid1(VALU_DEP_1)
	v_fmac_f32_e32 v128, v129, v127
	v_div_scale_f32 v129, null, v128, v128, 1.0
	s_delay_alu instid0(VALU_DEP_1) | instskip(SKIP_1) | instid1(TRANS32_DEP_1)
	v_rcp_f32_e32 v135, v129
	v_nop
	v_fma_f32 v136, -v129, v135, 1.0
	s_delay_alu instid0(VALU_DEP_1) | instskip(SKIP_1) | instid1(VALU_DEP_1)
	v_fmac_f32_e32 v135, v136, v135
	v_div_scale_f32 v136, vcc_lo, 1.0, v128, 1.0
	v_mul_f32_e32 v137, v136, v135
	s_delay_alu instid0(VALU_DEP_1) | instskip(NEXT) | instid1(VALU_DEP_1)
	v_fma_f32 v138, -v129, v137, v136
	v_fmac_f32_e32 v137, v138, v135
	s_delay_alu instid0(VALU_DEP_1) | instskip(NEXT) | instid1(VALU_DEP_1)
	v_fma_f32 v129, -v129, v137, v136
	v_div_fmas_f32 v129, v129, v135, v137
	s_delay_alu instid0(VALU_DEP_1) | instskip(NEXT) | instid1(VALU_DEP_1)
	v_div_fixup_f32 v128, v129, v128, 1.0
	v_mul_f32_e64 v129, v127, -v128
.LBB118_744:
	s_or_b32 exec_lo, exec_lo, s1
.LBB118_745:
	s_delay_alu instid0(SALU_CYCLE_1) | instskip(NEXT) | instid1(SALU_CYCLE_1)
	s_or_b32 exec_lo, exec_lo, s0
	s_mov_b32 s0, exec_lo
	v_cmpx_ne_u32_e64 v134, v126
	s_xor_b32 s0, exec_lo, s0
	s_cbranch_execz .LBB118_751
; %bb.746:
	s_mov_b32 s1, exec_lo
	v_cmpx_eq_u32_e32 35, v134
	s_cbranch_execz .LBB118_750
; %bb.747:
	v_cmp_ne_u32_e32 vcc_lo, 35, v126
	s_xor_b32 s12, s16, -1
	s_delay_alu instid0(SALU_CYCLE_1) | instskip(NEXT) | instid1(SALU_CYCLE_1)
	s_and_b32 s13, s12, vcc_lo
	s_and_saveexec_b32 s12, s13
	s_cbranch_execz .LBB118_749
; %bb.748:
	v_ashrrev_i32_e32 v127, 31, v126
	s_delay_alu instid0(VALU_DEP_1)
	v_lshl_add_u64 v[134:135], v[126:127], 2, v[4:5]
	s_clause 0x1
	global_load_b32 v127, v[134:135], off
	global_load_b32 v133, v[4:5], off offset:140
	s_wait_loadcnt 0x1
	global_store_b32 v[4:5], v127, off offset:140
	s_wait_loadcnt 0x0
	global_store_b32 v[134:135], v133, off
.LBB118_749:
	s_wait_xcnt 0x0
	s_or_b32 exec_lo, exec_lo, s12
	v_dual_mov_b32 v134, v126 :: v_dual_mov_b32 v133, v126
.LBB118_750:
	s_or_b32 exec_lo, exec_lo, s1
.LBB118_751:
	s_and_not1_saveexec_b32 s0, s0
	s_cbranch_execz .LBB118_753
; %bb.752:
	v_dual_mov_b32 v126, v66 :: v_dual_mov_b32 v127, v67
	v_dual_mov_b32 v134, v62 :: v_dual_mov_b32 v135, v63
	;; [unrolled: 1-line block ×4, first 2 shown]
	ds_store_2addr_b64 v130, v[126:127], v[134:135] offset0:36 offset1:37
	ds_store_2addr_b64 v130, v[136:137], v[138:139] offset0:38 offset1:39
	v_dual_mov_b32 v126, v60 :: v_dual_mov_b32 v127, v61
	v_dual_mov_b32 v134, v56 :: v_dual_mov_b32 v135, v57
	;; [unrolled: 1-line block ×12, first 2 shown]
	ds_store_2addr_b64 v130, v[126:127], v[134:135] offset0:40 offset1:41
	ds_store_2addr_b64 v130, v[136:137], v[138:139] offset0:42 offset1:43
	;; [unrolled: 1-line block ×6, first 2 shown]
	v_dual_mov_b32 v126, v34 :: v_dual_mov_b32 v127, v35
	v_dual_mov_b32 v136, v28 :: v_dual_mov_b32 v137, v29
	;; [unrolled: 1-line block ×7, first 2 shown]
	v_mov_b32_e32 v147, v15
	ds_store_2addr_b64 v130, v[126:127], v[136:137] offset0:52 offset1:53
	ds_store_2addr_b64 v130, v[138:139], v[140:141] offset0:54 offset1:55
	;; [unrolled: 1-line block ×4, first 2 shown]
.LBB118_753:
	s_or_b32 exec_lo, exec_lo, s0
	s_delay_alu instid0(SALU_CYCLE_1)
	s_mov_b32 s0, exec_lo
	s_wait_storecnt_dscnt 0x0
	s_barrier_signal -1
	s_barrier_wait -1
	v_cmpx_lt_i32_e32 35, v134
	s_cbranch_execz .LBB118_755
; %bb.754:
	v_pk_mul_f32 v[136:137], v[128:129], v[20:21] op_sel:[1,1] op_sel_hi:[0,1]
	s_delay_alu instid0(VALU_DEP_1)
	v_pk_fma_f32 v[126:127], v[128:129], v[20:21], v[136:137] op_sel_hi:[1,0,1] neg_lo:[0,0,1] neg_hi:[0,0,1]
	v_pk_fma_f32 v[128:129], v[128:129], v[20:21], v[136:137] op_sel_hi:[1,0,1]
	ds_load_2addr_b64 v[136:139], v130 offset0:36 offset1:37
	v_dual_mov_b32 v20, v126 :: v_dual_mov_b32 v21, v129
	s_wait_dscnt 0x0
	v_pk_mul_f32 v[140:141], v[136:137], v[128:129] op_sel:[0,1]
	s_delay_alu instid0(VALU_DEP_1) | instskip(SKIP_1) | instid1(VALU_DEP_1)
	v_pk_fma_f32 v[142:143], v[136:137], v[126:127], v[140:141] op_sel:[0,0,1] op_sel_hi:[1,1,0] neg_lo:[0,0,1] neg_hi:[0,0,1]
	v_pk_fma_f32 v[136:137], v[136:137], v[126:127], v[140:141] op_sel:[0,0,1] op_sel_hi:[1,0,0]
	v_mov_b32_e32 v143, v137
	v_pk_mul_f32 v[136:137], v[138:139], v[128:129] op_sel:[0,1]
	s_delay_alu instid0(VALU_DEP_1) | instskip(SKIP_1) | instid1(VALU_DEP_1)
	v_pk_fma_f32 v[140:141], v[138:139], v[126:127], v[136:137] op_sel:[0,0,1] op_sel_hi:[1,1,0] neg_lo:[0,0,1] neg_hi:[0,0,1]
	v_pk_fma_f32 v[136:137], v[138:139], v[126:127], v[136:137] op_sel:[0,0,1] op_sel_hi:[1,0,0]
	v_mov_b32_e32 v141, v137
	ds_load_2addr_b64 v[136:139], v130 offset0:38 offset1:39
	v_pk_add_f32 v[66:67], v[66:67], v[142:143] neg_lo:[0,1] neg_hi:[0,1]
	v_pk_add_f32 v[62:63], v[62:63], v[140:141] neg_lo:[0,1] neg_hi:[0,1]
	s_wait_dscnt 0x0
	v_pk_mul_f32 v[140:141], v[136:137], v[128:129] op_sel:[0,1]
	s_delay_alu instid0(VALU_DEP_1) | instskip(SKIP_2) | instid1(VALU_DEP_2)
	v_pk_fma_f32 v[142:143], v[136:137], v[126:127], v[140:141] op_sel:[0,0,1] op_sel_hi:[1,1,0] neg_lo:[0,0,1] neg_hi:[0,0,1]
	v_pk_fma_f32 v[136:137], v[136:137], v[126:127], v[140:141] op_sel:[0,0,1] op_sel_hi:[1,0,0]
	v_dual_mul_f32 v140, v139, v129 :: v_dual_mov_b32 v136, v139
	v_dual_mov_b32 v143, v137 :: v_dual_mov_b32 v137, v138
	s_delay_alu instid0(VALU_DEP_2) | instskip(SKIP_1) | instid1(VALU_DEP_3)
	v_pk_fma_f32 v[140:141], v[138:139], v[20:21], v[140:141] op_sel_hi:[1,1,0] neg_lo:[0,0,1] neg_hi:[0,0,1]
	v_mul_f32_e32 v138, v139, v126
	v_pk_add_f32 v[64:65], v[64:65], v[142:143] neg_lo:[0,1] neg_hi:[0,1]
	s_delay_alu instid0(VALU_DEP_2) | instskip(NEXT) | instid1(VALU_DEP_1)
	v_pk_fma_f32 v[136:137], v[136:137], v[20:21], v[138:139] op_sel_hi:[1,1,0]
	v_mov_b32_e32 v141, v137
	ds_load_2addr_b64 v[136:139], v130 offset0:40 offset1:41
	v_pk_add_f32 v[18:19], v[18:19], v[140:141] neg_lo:[0,1] neg_hi:[0,1]
	s_wait_dscnt 0x0
	v_pk_mul_f32 v[140:141], v[136:137], v[128:129] op_sel:[0,1]
	s_delay_alu instid0(VALU_DEP_1) | instskip(SKIP_1) | instid1(VALU_DEP_1)
	v_pk_fma_f32 v[142:143], v[136:137], v[126:127], v[140:141] op_sel:[0,0,1] op_sel_hi:[1,1,0] neg_lo:[0,0,1] neg_hi:[0,0,1]
	v_pk_fma_f32 v[136:137], v[136:137], v[126:127], v[140:141] op_sel:[0,0,1] op_sel_hi:[1,0,0]
	v_mov_b32_e32 v143, v137
	v_pk_mul_f32 v[136:137], v[138:139], v[128:129] op_sel:[0,1]
	s_delay_alu instid0(VALU_DEP_1) | instskip(SKIP_1) | instid1(VALU_DEP_1)
	v_pk_fma_f32 v[140:141], v[138:139], v[126:127], v[136:137] op_sel:[0,0,1] op_sel_hi:[1,1,0] neg_lo:[0,0,1] neg_hi:[0,0,1]
	v_pk_fma_f32 v[136:137], v[138:139], v[126:127], v[136:137] op_sel:[0,0,1] op_sel_hi:[1,0,0]
	v_mov_b32_e32 v141, v137
	ds_load_2addr_b64 v[136:139], v130 offset0:42 offset1:43
	v_pk_add_f32 v[60:61], v[60:61], v[142:143] neg_lo:[0,1] neg_hi:[0,1]
	v_pk_add_f32 v[56:57], v[56:57], v[140:141] neg_lo:[0,1] neg_hi:[0,1]
	s_wait_dscnt 0x0
	v_pk_mul_f32 v[140:141], v[136:137], v[128:129] op_sel:[0,1]
	s_delay_alu instid0(VALU_DEP_1) | instskip(SKIP_1) | instid1(VALU_DEP_1)
	v_pk_fma_f32 v[142:143], v[136:137], v[126:127], v[140:141] op_sel:[0,0,1] op_sel_hi:[1,1,0] neg_lo:[0,0,1] neg_hi:[0,0,1]
	v_pk_fma_f32 v[136:137], v[136:137], v[126:127], v[140:141] op_sel:[0,0,1] op_sel_hi:[1,0,0]
	v_mov_b32_e32 v143, v137
	v_pk_mul_f32 v[136:137], v[138:139], v[128:129] op_sel:[0,1]
	s_delay_alu instid0(VALU_DEP_1) | instskip(SKIP_1) | instid1(VALU_DEP_1)
	v_pk_fma_f32 v[140:141], v[138:139], v[126:127], v[136:137] op_sel:[0,0,1] op_sel_hi:[1,1,0] neg_lo:[0,0,1] neg_hi:[0,0,1]
	v_pk_fma_f32 v[136:137], v[138:139], v[126:127], v[136:137] op_sel:[0,0,1] op_sel_hi:[1,0,0]
	v_mov_b32_e32 v141, v137
	ds_load_2addr_b64 v[136:139], v130 offset0:44 offset1:45
	v_pk_add_f32 v[58:59], v[58:59], v[142:143] neg_lo:[0,1] neg_hi:[0,1]
	v_pk_add_f32 v[12:13], v[12:13], v[140:141] neg_lo:[0,1] neg_hi:[0,1]
	s_wait_dscnt 0x0
	v_dual_mul_f32 v140, v137, v129 :: v_dual_mul_f32 v142, v137, v126
	s_delay_alu instid0(VALU_DEP_1) | instskip(NEXT) | instid1(VALU_DEP_2)
	v_pk_fma_f32 v[140:141], v[136:137], v[20:21], v[140:141] op_sel_hi:[1,1,0] neg_lo:[0,0,1] neg_hi:[0,0,1]
	v_pk_fma_f32 v[136:137], v[136:137], v[20:21], v[142:143] op_sel:[1,0,0] op_sel_hi:[0,1,0]
	s_delay_alu instid0(VALU_DEP_1) | instskip(SKIP_1) | instid1(VALU_DEP_2)
	v_mov_b32_e32 v141, v137
	v_pk_mul_f32 v[136:137], v[138:139], v[128:129] op_sel:[0,1]
	v_pk_add_f32 v[54:55], v[54:55], v[140:141] neg_lo:[0,1] neg_hi:[0,1]
	s_delay_alu instid0(VALU_DEP_2) | instskip(SKIP_1) | instid1(VALU_DEP_1)
	v_pk_fma_f32 v[140:141], v[138:139], v[126:127], v[136:137] op_sel:[0,0,1] op_sel_hi:[1,1,0] neg_lo:[0,0,1] neg_hi:[0,0,1]
	v_pk_fma_f32 v[136:137], v[138:139], v[126:127], v[136:137] op_sel:[0,0,1] op_sel_hi:[1,0,0]
	v_mov_b32_e32 v141, v137
	ds_load_2addr_b64 v[136:139], v130 offset0:46 offset1:47
	v_pk_add_f32 v[50:51], v[50:51], v[140:141] neg_lo:[0,1] neg_hi:[0,1]
	s_wait_dscnt 0x0
	v_pk_mul_f32 v[140:141], v[136:137], v[128:129] op_sel:[0,1]
	s_delay_alu instid0(VALU_DEP_1) | instskip(SKIP_1) | instid1(VALU_DEP_1)
	v_pk_fma_f32 v[142:143], v[136:137], v[126:127], v[140:141] op_sel:[0,0,1] op_sel_hi:[1,1,0] neg_lo:[0,0,1] neg_hi:[0,0,1]
	v_pk_fma_f32 v[136:137], v[136:137], v[126:127], v[140:141] op_sel:[0,0,1] op_sel_hi:[1,0,0]
	v_mov_b32_e32 v143, v137
	v_pk_mul_f32 v[136:137], v[138:139], v[128:129] op_sel:[0,1]
	s_delay_alu instid0(VALU_DEP_2) | instskip(NEXT) | instid1(VALU_DEP_2)
	v_pk_add_f32 v[52:53], v[52:53], v[142:143] neg_lo:[0,1] neg_hi:[0,1]
	v_pk_fma_f32 v[140:141], v[138:139], v[126:127], v[136:137] op_sel:[0,0,1] op_sel_hi:[1,1,0] neg_lo:[0,0,1] neg_hi:[0,0,1]
	v_pk_fma_f32 v[136:137], v[138:139], v[126:127], v[136:137] op_sel:[0,0,1] op_sel_hi:[1,0,0]
	s_delay_alu instid0(VALU_DEP_1) | instskip(SKIP_4) | instid1(VALU_DEP_1)
	v_mov_b32_e32 v141, v137
	ds_load_2addr_b64 v[136:139], v130 offset0:48 offset1:49
	v_pk_add_f32 v[10:11], v[10:11], v[140:141] neg_lo:[0,1] neg_hi:[0,1]
	s_wait_dscnt 0x0
	v_pk_mul_f32 v[140:141], v[136:137], v[128:129] op_sel:[0,1]
	v_pk_fma_f32 v[142:143], v[136:137], v[126:127], v[140:141] op_sel:[0,0,1] op_sel_hi:[1,1,0] neg_lo:[0,0,1] neg_hi:[0,0,1]
	v_pk_fma_f32 v[136:137], v[136:137], v[126:127], v[140:141] op_sel:[0,0,1] op_sel_hi:[1,0,0]
	v_dual_mul_f32 v140, v139, v129 :: v_dual_mov_b32 v136, v139
	s_delay_alu instid0(VALU_DEP_2) | instskip(NEXT) | instid1(VALU_DEP_2)
	v_dual_mov_b32 v143, v137 :: v_dual_mov_b32 v137, v138
	v_pk_fma_f32 v[140:141], v[138:139], v[20:21], v[140:141] op_sel_hi:[1,1,0] neg_lo:[0,0,1] neg_hi:[0,0,1]
	v_mul_f32_e32 v138, v139, v126
	s_delay_alu instid0(VALU_DEP_3) | instskip(NEXT) | instid1(VALU_DEP_2)
	v_pk_add_f32 v[46:47], v[46:47], v[142:143] neg_lo:[0,1] neg_hi:[0,1]
	v_pk_fma_f32 v[136:137], v[136:137], v[20:21], v[138:139] op_sel_hi:[1,1,0]
	s_delay_alu instid0(VALU_DEP_1) | instskip(SKIP_4) | instid1(VALU_DEP_1)
	v_mov_b32_e32 v141, v137
	ds_load_2addr_b64 v[136:139], v130 offset0:50 offset1:51
	v_pk_add_f32 v[44:45], v[44:45], v[140:141] neg_lo:[0,1] neg_hi:[0,1]
	s_wait_dscnt 0x0
	v_pk_mul_f32 v[140:141], v[136:137], v[128:129] op_sel:[0,1]
	v_pk_fma_f32 v[142:143], v[136:137], v[126:127], v[140:141] op_sel:[0,0,1] op_sel_hi:[1,1,0] neg_lo:[0,0,1] neg_hi:[0,0,1]
	v_pk_fma_f32 v[136:137], v[136:137], v[126:127], v[140:141] op_sel:[0,0,1] op_sel_hi:[1,0,0]
	s_delay_alu instid0(VALU_DEP_1) | instskip(SKIP_1) | instid1(VALU_DEP_1)
	v_mov_b32_e32 v143, v137
	v_pk_mul_f32 v[136:137], v[138:139], v[128:129] op_sel:[0,1]
	v_pk_fma_f32 v[140:141], v[138:139], v[126:127], v[136:137] op_sel:[0,0,1] op_sel_hi:[1,1,0] neg_lo:[0,0,1] neg_hi:[0,0,1]
	v_pk_fma_f32 v[136:137], v[138:139], v[126:127], v[136:137] op_sel:[0,0,1] op_sel_hi:[1,0,0]
	s_delay_alu instid0(VALU_DEP_1)
	v_mov_b32_e32 v141, v137
	ds_load_2addr_b64 v[136:139], v130 offset0:52 offset1:53
	v_pk_add_f32 v[48:49], v[48:49], v[142:143] neg_lo:[0,1] neg_hi:[0,1]
	v_pk_add_f32 v[8:9], v[8:9], v[140:141] neg_lo:[0,1] neg_hi:[0,1]
	s_wait_dscnt 0x0
	v_pk_mul_f32 v[140:141], v[136:137], v[128:129] op_sel:[0,1]
	s_delay_alu instid0(VALU_DEP_1) | instskip(SKIP_1) | instid1(VALU_DEP_1)
	v_pk_fma_f32 v[142:143], v[136:137], v[126:127], v[140:141] op_sel:[0,0,1] op_sel_hi:[1,1,0] neg_lo:[0,0,1] neg_hi:[0,0,1]
	v_pk_fma_f32 v[136:137], v[136:137], v[126:127], v[140:141] op_sel:[0,0,1] op_sel_hi:[1,0,0]
	v_mov_b32_e32 v143, v137
	v_pk_mul_f32 v[136:137], v[138:139], v[128:129] op_sel:[0,1]
	s_delay_alu instid0(VALU_DEP_1) | instskip(SKIP_1) | instid1(VALU_DEP_1)
	v_pk_fma_f32 v[140:141], v[138:139], v[126:127], v[136:137] op_sel:[0,0,1] op_sel_hi:[1,1,0] neg_lo:[0,0,1] neg_hi:[0,0,1]
	v_pk_fma_f32 v[136:137], v[138:139], v[126:127], v[136:137] op_sel:[0,0,1] op_sel_hi:[1,0,0]
	v_mov_b32_e32 v141, v137
	ds_load_2addr_b64 v[136:139], v130 offset0:54 offset1:55
	v_pk_add_f32 v[34:35], v[34:35], v[142:143] neg_lo:[0,1] neg_hi:[0,1]
	v_pk_add_f32 v[28:29], v[28:29], v[140:141] neg_lo:[0,1] neg_hi:[0,1]
	s_wait_dscnt 0x0
	v_dual_mul_f32 v140, v137, v129 :: v_dual_mul_f32 v142, v137, v126
	s_delay_alu instid0(VALU_DEP_1) | instskip(NEXT) | instid1(VALU_DEP_2)
	v_pk_fma_f32 v[140:141], v[136:137], v[20:21], v[140:141] op_sel_hi:[1,1,0] neg_lo:[0,0,1] neg_hi:[0,0,1]
	v_pk_fma_f32 v[136:137], v[136:137], v[20:21], v[142:143] op_sel:[1,0,0] op_sel_hi:[0,1,0]
	s_delay_alu instid0(VALU_DEP_1) | instskip(SKIP_1) | instid1(VALU_DEP_2)
	v_mov_b32_e32 v141, v137
	v_pk_mul_f32 v[136:137], v[138:139], v[128:129] op_sel:[0,1]
	v_pk_add_f32 v[32:33], v[32:33], v[140:141] neg_lo:[0,1] neg_hi:[0,1]
	s_delay_alu instid0(VALU_DEP_2) | instskip(SKIP_1) | instid1(VALU_DEP_1)
	v_pk_fma_f32 v[140:141], v[138:139], v[126:127], v[136:137] op_sel:[0,0,1] op_sel_hi:[1,1,0] neg_lo:[0,0,1] neg_hi:[0,0,1]
	v_pk_fma_f32 v[136:137], v[138:139], v[126:127], v[136:137] op_sel:[0,0,1] op_sel_hi:[1,0,0]
	v_mov_b32_e32 v141, v137
	ds_load_2addr_b64 v[136:139], v130 offset0:56 offset1:57
	v_pk_add_f32 v[6:7], v[6:7], v[140:141] neg_lo:[0,1] neg_hi:[0,1]
	s_wait_dscnt 0x0
	v_pk_mul_f32 v[140:141], v[136:137], v[128:129] op_sel:[0,1]
	s_delay_alu instid0(VALU_DEP_1) | instskip(SKIP_1) | instid1(VALU_DEP_1)
	v_pk_fma_f32 v[142:143], v[136:137], v[126:127], v[140:141] op_sel:[0,0,1] op_sel_hi:[1,1,0] neg_lo:[0,0,1] neg_hi:[0,0,1]
	v_pk_fma_f32 v[136:137], v[136:137], v[126:127], v[140:141] op_sel:[0,0,1] op_sel_hi:[1,0,0]
	v_mov_b32_e32 v143, v137
	v_pk_mul_f32 v[136:137], v[138:139], v[128:129] op_sel:[0,1]
	s_delay_alu instid0(VALU_DEP_2) | instskip(NEXT) | instid1(VALU_DEP_2)
	v_pk_add_f32 v[26:27], v[26:27], v[142:143] neg_lo:[0,1] neg_hi:[0,1]
	v_pk_fma_f32 v[140:141], v[138:139], v[126:127], v[136:137] op_sel:[0,0,1] op_sel_hi:[1,1,0] neg_lo:[0,0,1] neg_hi:[0,0,1]
	v_pk_fma_f32 v[136:137], v[138:139], v[126:127], v[136:137] op_sel:[0,0,1] op_sel_hi:[1,0,0]
	s_delay_alu instid0(VALU_DEP_1)
	v_mov_b32_e32 v141, v137
	ds_load_2addr_b64 v[136:139], v130 offset0:58 offset1:59
	v_pk_add_f32 v[16:17], v[16:17], v[140:141] neg_lo:[0,1] neg_hi:[0,1]
	s_wait_dscnt 0x0
	v_pk_mul_f32 v[140:141], v[136:137], v[128:129] op_sel:[0,1]
	v_mul_f32_e32 v128, v139, v129
	s_delay_alu instid0(VALU_DEP_2) | instskip(SKIP_2) | instid1(VALU_DEP_4)
	v_pk_fma_f32 v[142:143], v[136:137], v[126:127], v[140:141] op_sel:[0,0,1] op_sel_hi:[1,1,0] neg_lo:[0,0,1] neg_hi:[0,0,1]
	v_pk_fma_f32 v[136:137], v[136:137], v[126:127], v[140:141] op_sel:[0,0,1] op_sel_hi:[1,0,0]
	v_dual_mov_b32 v136, v139 :: v_dual_mul_f32 v126, v139, v126
	v_pk_fma_f32 v[128:129], v[138:139], v[20:21], v[128:129] op_sel_hi:[1,1,0] neg_lo:[0,0,1] neg_hi:[0,0,1]
	s_delay_alu instid0(VALU_DEP_3) | instskip(NEXT) | instid1(VALU_DEP_1)
	v_dual_mov_b32 v143, v137 :: v_dual_mov_b32 v137, v138
	v_pk_add_f32 v[14:15], v[14:15], v[142:143] neg_lo:[0,1] neg_hi:[0,1]
	s_delay_alu instid0(VALU_DEP_2) | instskip(NEXT) | instid1(VALU_DEP_1)
	v_pk_fma_f32 v[126:127], v[136:137], v[20:21], v[126:127] op_sel_hi:[1,1,0]
	v_mov_b32_e32 v129, v127
	s_delay_alu instid0(VALU_DEP_1)
	v_pk_add_f32 v[124:125], v[124:125], v[128:129] neg_lo:[0,1] neg_hi:[0,1]
.LBB118_755:
	s_or_b32 exec_lo, exec_lo, s0
	v_lshl_add_u32 v126, v134, 3, v130
	s_barrier_signal -1
	s_barrier_wait -1
	ds_store_b64 v126, v[66:67]
	s_wait_dscnt 0x0
	s_barrier_signal -1
	s_barrier_wait -1
	ds_load_b64 v[128:129], v130 offset:288
	v_mov_b32_e32 v126, 36
	s_cmp_lt_i32 s18, 38
	s_cbranch_scc1 .LBB118_758
; %bb.756:
	v_add3_u32 v127, v131, 0, 0x128
	v_mov_b32_e32 v126, 36
	s_mov_b32 s0, 37
.LBB118_757:                            ; =>This Inner Loop Header: Depth=1
	ds_load_b64 v[136:137], v127
	s_wait_dscnt 0x1
	v_cmp_gt_f32_e32 vcc_lo, 0, v128
	v_cndmask_b32_e64 v138, v128, -v128, vcc_lo
	v_cmp_gt_f32_e32 vcc_lo, 0, v129
	v_cndmask_b32_e64 v140, v129, -v129, vcc_lo
	s_wait_dscnt 0x0
	v_cmp_gt_f32_e32 vcc_lo, 0, v136
	v_cndmask_b32_e64 v139, v136, -v136, vcc_lo
	v_cmp_gt_f32_e32 vcc_lo, 0, v137
	v_cndmask_b32_e64 v141, v137, -v137, vcc_lo
	s_delay_alu instid0(VALU_DEP_1) | instskip(NEXT) | instid1(VALU_DEP_1)
	v_pk_add_f32 v[138:139], v[138:139], v[140:141]
	v_cmp_lt_f32_e32 vcc_lo, v138, v139
	v_dual_add_nc_u32 v127, 8, v127 :: v_dual_cndmask_b32 v129, v129, v137, vcc_lo
	v_cndmask_b32_e32 v128, v128, v136, vcc_lo
	v_cndmask_b32_e64 v126, v126, s0, vcc_lo
	s_add_co_i32 s0, s0, 1
	s_delay_alu instid0(SALU_CYCLE_1)
	s_cmp_lg_u32 s18, s0
	s_cbranch_scc1 .LBB118_757
.LBB118_758:
	s_wait_dscnt 0x0
	v_cmp_eq_f32_e32 vcc_lo, 0, v128
	v_cmp_eq_f32_e64 s0, 0, v129
	s_and_b32 s0, vcc_lo, s0
	s_delay_alu instid0(SALU_CYCLE_1) | instskip(NEXT) | instid1(SALU_CYCLE_1)
	s_and_saveexec_b32 s1, s0
	s_xor_b32 s0, exec_lo, s1
; %bb.759:
	v_cmp_ne_u32_e32 vcc_lo, 0, v132
	v_cndmask_b32_e32 v132, 37, v132, vcc_lo
; %bb.760:
	s_and_not1_saveexec_b32 s0, s0
	s_cbranch_execz .LBB118_766
; %bb.761:
	v_cmp_ngt_f32_e64 s1, |v128|, |v129|
	s_and_saveexec_b32 s12, s1
	s_delay_alu instid0(SALU_CYCLE_1)
	s_xor_b32 s1, exec_lo, s12
	s_cbranch_execz .LBB118_763
; %bb.762:
	v_div_scale_f32 v127, null, v129, v129, v128
	v_div_scale_f32 v137, vcc_lo, v128, v129, v128
	s_delay_alu instid0(VALU_DEP_2) | instskip(SKIP_1) | instid1(TRANS32_DEP_1)
	v_rcp_f32_e32 v135, v127
	v_nop
	v_fma_f32 v136, -v127, v135, 1.0
	s_delay_alu instid0(VALU_DEP_1) | instskip(NEXT) | instid1(VALU_DEP_1)
	v_fmac_f32_e32 v135, v136, v135
	v_mul_f32_e32 v136, v137, v135
	s_delay_alu instid0(VALU_DEP_1) | instskip(NEXT) | instid1(VALU_DEP_1)
	v_fma_f32 v138, -v127, v136, v137
	v_fmac_f32_e32 v136, v138, v135
	s_delay_alu instid0(VALU_DEP_1) | instskip(NEXT) | instid1(VALU_DEP_1)
	v_fma_f32 v127, -v127, v136, v137
	v_div_fmas_f32 v127, v127, v135, v136
	s_delay_alu instid0(VALU_DEP_1) | instskip(NEXT) | instid1(VALU_DEP_1)
	v_div_fixup_f32 v127, v127, v129, v128
	v_fmac_f32_e32 v129, v128, v127
	s_delay_alu instid0(VALU_DEP_1) | instskip(SKIP_1) | instid1(VALU_DEP_2)
	v_div_scale_f32 v128, null, v129, v129, 1.0
	v_div_scale_f32 v137, vcc_lo, 1.0, v129, 1.0
	v_rcp_f32_e32 v135, v128
	v_nop
	s_delay_alu instid0(TRANS32_DEP_1) | instskip(NEXT) | instid1(VALU_DEP_1)
	v_fma_f32 v136, -v128, v135, 1.0
	v_fmac_f32_e32 v135, v136, v135
	s_delay_alu instid0(VALU_DEP_1) | instskip(NEXT) | instid1(VALU_DEP_1)
	v_mul_f32_e32 v136, v137, v135
	v_fma_f32 v138, -v128, v136, v137
	s_delay_alu instid0(VALU_DEP_1) | instskip(NEXT) | instid1(VALU_DEP_1)
	v_fmac_f32_e32 v136, v138, v135
	v_fma_f32 v128, -v128, v136, v137
	s_delay_alu instid0(VALU_DEP_1) | instskip(NEXT) | instid1(VALU_DEP_1)
	v_div_fmas_f32 v128, v128, v135, v136
	v_div_fixup_f32 v129, v128, v129, 1.0
	s_delay_alu instid0(VALU_DEP_1)
	v_mul_f32_e32 v128, v127, v129
	v_xor_b32_e32 v129, 0x80000000, v129
.LBB118_763:
	s_and_not1_saveexec_b32 s1, s1
	s_cbranch_execz .LBB118_765
; %bb.764:
	s_delay_alu instid0(VALU_DEP_1) | instskip(SKIP_1) | instid1(VALU_DEP_2)
	v_div_scale_f32 v127, null, v128, v128, v129
	v_div_scale_f32 v137, vcc_lo, v129, v128, v129
	v_rcp_f32_e32 v135, v127
	v_nop
	s_delay_alu instid0(TRANS32_DEP_1) | instskip(NEXT) | instid1(VALU_DEP_1)
	v_fma_f32 v136, -v127, v135, 1.0
	v_fmac_f32_e32 v135, v136, v135
	s_delay_alu instid0(VALU_DEP_1) | instskip(NEXT) | instid1(VALU_DEP_1)
	v_mul_f32_e32 v136, v137, v135
	v_fma_f32 v138, -v127, v136, v137
	s_delay_alu instid0(VALU_DEP_1) | instskip(NEXT) | instid1(VALU_DEP_1)
	v_fmac_f32_e32 v136, v138, v135
	v_fma_f32 v127, -v127, v136, v137
	s_delay_alu instid0(VALU_DEP_1) | instskip(NEXT) | instid1(VALU_DEP_1)
	v_div_fmas_f32 v127, v127, v135, v136
	v_div_fixup_f32 v127, v127, v128, v129
	s_delay_alu instid0(VALU_DEP_1) | instskip(NEXT) | instid1(VALU_DEP_1)
	v_fmac_f32_e32 v128, v129, v127
	v_div_scale_f32 v129, null, v128, v128, 1.0
	s_delay_alu instid0(VALU_DEP_1) | instskip(SKIP_1) | instid1(TRANS32_DEP_1)
	v_rcp_f32_e32 v135, v129
	v_nop
	v_fma_f32 v136, -v129, v135, 1.0
	s_delay_alu instid0(VALU_DEP_1) | instskip(SKIP_1) | instid1(VALU_DEP_1)
	v_fmac_f32_e32 v135, v136, v135
	v_div_scale_f32 v136, vcc_lo, 1.0, v128, 1.0
	v_mul_f32_e32 v137, v136, v135
	s_delay_alu instid0(VALU_DEP_1) | instskip(NEXT) | instid1(VALU_DEP_1)
	v_fma_f32 v138, -v129, v137, v136
	v_fmac_f32_e32 v137, v138, v135
	s_delay_alu instid0(VALU_DEP_1) | instskip(NEXT) | instid1(VALU_DEP_1)
	v_fma_f32 v129, -v129, v137, v136
	v_div_fmas_f32 v129, v129, v135, v137
	s_delay_alu instid0(VALU_DEP_1) | instskip(NEXT) | instid1(VALU_DEP_1)
	v_div_fixup_f32 v128, v129, v128, 1.0
	v_mul_f32_e64 v129, v127, -v128
.LBB118_765:
	s_or_b32 exec_lo, exec_lo, s1
.LBB118_766:
	s_delay_alu instid0(SALU_CYCLE_1) | instskip(NEXT) | instid1(SALU_CYCLE_1)
	s_or_b32 exec_lo, exec_lo, s0
	s_mov_b32 s0, exec_lo
	v_cmpx_ne_u32_e64 v134, v126
	s_xor_b32 s0, exec_lo, s0
	s_cbranch_execz .LBB118_772
; %bb.767:
	s_mov_b32 s1, exec_lo
	v_cmpx_eq_u32_e32 36, v134
	s_cbranch_execz .LBB118_771
; %bb.768:
	v_cmp_ne_u32_e32 vcc_lo, 36, v126
	s_xor_b32 s12, s16, -1
	s_delay_alu instid0(SALU_CYCLE_1) | instskip(NEXT) | instid1(SALU_CYCLE_1)
	s_and_b32 s13, s12, vcc_lo
	s_and_saveexec_b32 s12, s13
	s_cbranch_execz .LBB118_770
; %bb.769:
	v_ashrrev_i32_e32 v127, 31, v126
	s_delay_alu instid0(VALU_DEP_1)
	v_lshl_add_u64 v[134:135], v[126:127], 2, v[4:5]
	s_clause 0x1
	global_load_b32 v127, v[134:135], off
	global_load_b32 v133, v[4:5], off offset:144
	s_wait_loadcnt 0x1
	global_store_b32 v[4:5], v127, off offset:144
	s_wait_loadcnt 0x0
	global_store_b32 v[134:135], v133, off
.LBB118_770:
	s_wait_xcnt 0x0
	s_or_b32 exec_lo, exec_lo, s12
	v_dual_mov_b32 v134, v126 :: v_dual_mov_b32 v133, v126
.LBB118_771:
	s_or_b32 exec_lo, exec_lo, s1
.LBB118_772:
	s_and_not1_saveexec_b32 s0, s0
	s_cbranch_execz .LBB118_774
; %bb.773:
	v_mov_b32_e32 v134, 36
	ds_store_2addr_b64 v130, v[62:63], v[64:65] offset0:37 offset1:38
	ds_store_2addr_b64 v130, v[18:19], v[60:61] offset0:39 offset1:40
	ds_store_2addr_b64 v130, v[56:57], v[58:59] offset0:41 offset1:42
	ds_store_2addr_b64 v130, v[12:13], v[54:55] offset0:43 offset1:44
	ds_store_2addr_b64 v130, v[50:51], v[52:53] offset0:45 offset1:46
	ds_store_2addr_b64 v130, v[10:11], v[46:47] offset0:47 offset1:48
	ds_store_2addr_b64 v130, v[44:45], v[48:49] offset0:49 offset1:50
	ds_store_2addr_b64 v130, v[8:9], v[34:35] offset0:51 offset1:52
	ds_store_2addr_b64 v130, v[28:29], v[32:33] offset0:53 offset1:54
	ds_store_2addr_b64 v130, v[6:7], v[26:27] offset0:55 offset1:56
	ds_store_2addr_b64 v130, v[16:17], v[14:15] offset0:57 offset1:58
	ds_store_b64 v130, v[124:125] offset:472
.LBB118_774:
	s_or_b32 exec_lo, exec_lo, s0
	s_delay_alu instid0(SALU_CYCLE_1)
	s_mov_b32 s0, exec_lo
	s_wait_storecnt_dscnt 0x0
	s_barrier_signal -1
	s_barrier_wait -1
	v_cmpx_lt_i32_e32 36, v134
	s_cbranch_execz .LBB118_776
; %bb.775:
	v_pk_mul_f32 v[136:137], v[128:129], v[66:67] op_sel:[1,1] op_sel_hi:[0,1]
	s_delay_alu instid0(VALU_DEP_1)
	v_pk_fma_f32 v[126:127], v[128:129], v[66:67], v[136:137] op_sel_hi:[1,0,1] neg_lo:[0,0,1] neg_hi:[0,0,1]
	v_pk_fma_f32 v[128:129], v[128:129], v[66:67], v[136:137] op_sel_hi:[1,0,1]
	ds_load_2addr_b64 v[136:139], v130 offset0:37 offset1:38
	v_dual_mov_b32 v66, v126 :: v_dual_mov_b32 v67, v129
	s_wait_dscnt 0x0
	v_pk_mul_f32 v[140:141], v[136:137], v[128:129] op_sel:[0,1]
	s_delay_alu instid0(VALU_DEP_1) | instskip(SKIP_1) | instid1(VALU_DEP_1)
	v_pk_fma_f32 v[142:143], v[136:137], v[126:127], v[140:141] op_sel:[0,0,1] op_sel_hi:[1,1,0] neg_lo:[0,0,1] neg_hi:[0,0,1]
	v_pk_fma_f32 v[136:137], v[136:137], v[126:127], v[140:141] op_sel:[0,0,1] op_sel_hi:[1,0,0]
	v_mov_b32_e32 v143, v137
	v_pk_mul_f32 v[136:137], v[138:139], v[128:129] op_sel:[0,1]
	s_delay_alu instid0(VALU_DEP_1) | instskip(SKIP_1) | instid1(VALU_DEP_1)
	v_pk_fma_f32 v[140:141], v[138:139], v[126:127], v[136:137] op_sel:[0,0,1] op_sel_hi:[1,1,0] neg_lo:[0,0,1] neg_hi:[0,0,1]
	v_pk_fma_f32 v[136:137], v[138:139], v[126:127], v[136:137] op_sel:[0,0,1] op_sel_hi:[1,0,0]
	v_mov_b32_e32 v141, v137
	ds_load_2addr_b64 v[136:139], v130 offset0:39 offset1:40
	v_pk_add_f32 v[62:63], v[62:63], v[142:143] neg_lo:[0,1] neg_hi:[0,1]
	v_pk_add_f32 v[64:65], v[64:65], v[140:141] neg_lo:[0,1] neg_hi:[0,1]
	s_wait_dscnt 0x0
	v_pk_mul_f32 v[140:141], v[136:137], v[128:129] op_sel:[0,1]
	s_delay_alu instid0(VALU_DEP_1) | instskip(SKIP_2) | instid1(VALU_DEP_2)
	v_pk_fma_f32 v[142:143], v[136:137], v[126:127], v[140:141] op_sel:[0,0,1] op_sel_hi:[1,1,0] neg_lo:[0,0,1] neg_hi:[0,0,1]
	v_pk_fma_f32 v[136:137], v[136:137], v[126:127], v[140:141] op_sel:[0,0,1] op_sel_hi:[1,0,0]
	v_dual_mul_f32 v140, v139, v129 :: v_dual_mov_b32 v136, v139
	v_dual_mov_b32 v143, v137 :: v_dual_mov_b32 v137, v138
	s_delay_alu instid0(VALU_DEP_2) | instskip(SKIP_1) | instid1(VALU_DEP_3)
	v_pk_fma_f32 v[140:141], v[138:139], v[66:67], v[140:141] op_sel_hi:[1,1,0] neg_lo:[0,0,1] neg_hi:[0,0,1]
	v_mul_f32_e32 v138, v139, v126
	v_pk_add_f32 v[18:19], v[18:19], v[142:143] neg_lo:[0,1] neg_hi:[0,1]
	s_delay_alu instid0(VALU_DEP_2) | instskip(NEXT) | instid1(VALU_DEP_1)
	v_pk_fma_f32 v[136:137], v[136:137], v[66:67], v[138:139] op_sel_hi:[1,1,0]
	v_mov_b32_e32 v141, v137
	ds_load_2addr_b64 v[136:139], v130 offset0:41 offset1:42
	v_pk_add_f32 v[60:61], v[60:61], v[140:141] neg_lo:[0,1] neg_hi:[0,1]
	s_wait_dscnt 0x0
	v_pk_mul_f32 v[140:141], v[136:137], v[128:129] op_sel:[0,1]
	s_delay_alu instid0(VALU_DEP_1) | instskip(SKIP_1) | instid1(VALU_DEP_1)
	v_pk_fma_f32 v[142:143], v[136:137], v[126:127], v[140:141] op_sel:[0,0,1] op_sel_hi:[1,1,0] neg_lo:[0,0,1] neg_hi:[0,0,1]
	v_pk_fma_f32 v[136:137], v[136:137], v[126:127], v[140:141] op_sel:[0,0,1] op_sel_hi:[1,0,0]
	v_mov_b32_e32 v143, v137
	v_pk_mul_f32 v[136:137], v[138:139], v[128:129] op_sel:[0,1]
	s_delay_alu instid0(VALU_DEP_1) | instskip(SKIP_1) | instid1(VALU_DEP_1)
	v_pk_fma_f32 v[140:141], v[138:139], v[126:127], v[136:137] op_sel:[0,0,1] op_sel_hi:[1,1,0] neg_lo:[0,0,1] neg_hi:[0,0,1]
	v_pk_fma_f32 v[136:137], v[138:139], v[126:127], v[136:137] op_sel:[0,0,1] op_sel_hi:[1,0,0]
	v_mov_b32_e32 v141, v137
	ds_load_2addr_b64 v[136:139], v130 offset0:43 offset1:44
	v_pk_add_f32 v[56:57], v[56:57], v[142:143] neg_lo:[0,1] neg_hi:[0,1]
	v_pk_add_f32 v[58:59], v[58:59], v[140:141] neg_lo:[0,1] neg_hi:[0,1]
	s_wait_dscnt 0x0
	v_pk_mul_f32 v[140:141], v[136:137], v[128:129] op_sel:[0,1]
	s_delay_alu instid0(VALU_DEP_1) | instskip(SKIP_1) | instid1(VALU_DEP_1)
	v_pk_fma_f32 v[142:143], v[136:137], v[126:127], v[140:141] op_sel:[0,0,1] op_sel_hi:[1,1,0] neg_lo:[0,0,1] neg_hi:[0,0,1]
	v_pk_fma_f32 v[136:137], v[136:137], v[126:127], v[140:141] op_sel:[0,0,1] op_sel_hi:[1,0,0]
	v_mov_b32_e32 v143, v137
	v_pk_mul_f32 v[136:137], v[138:139], v[128:129] op_sel:[0,1]
	s_delay_alu instid0(VALU_DEP_1) | instskip(SKIP_1) | instid1(VALU_DEP_1)
	v_pk_fma_f32 v[140:141], v[138:139], v[126:127], v[136:137] op_sel:[0,0,1] op_sel_hi:[1,1,0] neg_lo:[0,0,1] neg_hi:[0,0,1]
	v_pk_fma_f32 v[136:137], v[138:139], v[126:127], v[136:137] op_sel:[0,0,1] op_sel_hi:[1,0,0]
	v_mov_b32_e32 v141, v137
	ds_load_2addr_b64 v[136:139], v130 offset0:45 offset1:46
	v_pk_add_f32 v[12:13], v[12:13], v[142:143] neg_lo:[0,1] neg_hi:[0,1]
	v_pk_add_f32 v[54:55], v[54:55], v[140:141] neg_lo:[0,1] neg_hi:[0,1]
	s_wait_dscnt 0x0
	v_dual_mul_f32 v140, v137, v129 :: v_dual_mul_f32 v142, v137, v126
	s_delay_alu instid0(VALU_DEP_1) | instskip(NEXT) | instid1(VALU_DEP_2)
	v_pk_fma_f32 v[140:141], v[136:137], v[66:67], v[140:141] op_sel_hi:[1,1,0] neg_lo:[0,0,1] neg_hi:[0,0,1]
	v_pk_fma_f32 v[136:137], v[136:137], v[66:67], v[142:143] op_sel:[1,0,0] op_sel_hi:[0,1,0]
	s_delay_alu instid0(VALU_DEP_1) | instskip(SKIP_1) | instid1(VALU_DEP_2)
	v_mov_b32_e32 v141, v137
	v_pk_mul_f32 v[136:137], v[138:139], v[128:129] op_sel:[0,1]
	v_pk_add_f32 v[50:51], v[50:51], v[140:141] neg_lo:[0,1] neg_hi:[0,1]
	s_delay_alu instid0(VALU_DEP_2) | instskip(SKIP_1) | instid1(VALU_DEP_1)
	v_pk_fma_f32 v[140:141], v[138:139], v[126:127], v[136:137] op_sel:[0,0,1] op_sel_hi:[1,1,0] neg_lo:[0,0,1] neg_hi:[0,0,1]
	v_pk_fma_f32 v[136:137], v[138:139], v[126:127], v[136:137] op_sel:[0,0,1] op_sel_hi:[1,0,0]
	v_mov_b32_e32 v141, v137
	ds_load_2addr_b64 v[136:139], v130 offset0:47 offset1:48
	v_pk_add_f32 v[52:53], v[52:53], v[140:141] neg_lo:[0,1] neg_hi:[0,1]
	s_wait_dscnt 0x0
	v_pk_mul_f32 v[140:141], v[136:137], v[128:129] op_sel:[0,1]
	s_delay_alu instid0(VALU_DEP_1) | instskip(SKIP_1) | instid1(VALU_DEP_1)
	v_pk_fma_f32 v[142:143], v[136:137], v[126:127], v[140:141] op_sel:[0,0,1] op_sel_hi:[1,1,0] neg_lo:[0,0,1] neg_hi:[0,0,1]
	v_pk_fma_f32 v[136:137], v[136:137], v[126:127], v[140:141] op_sel:[0,0,1] op_sel_hi:[1,0,0]
	v_mov_b32_e32 v143, v137
	v_pk_mul_f32 v[136:137], v[138:139], v[128:129] op_sel:[0,1]
	s_delay_alu instid0(VALU_DEP_2) | instskip(NEXT) | instid1(VALU_DEP_2)
	v_pk_add_f32 v[10:11], v[10:11], v[142:143] neg_lo:[0,1] neg_hi:[0,1]
	v_pk_fma_f32 v[140:141], v[138:139], v[126:127], v[136:137] op_sel:[0,0,1] op_sel_hi:[1,1,0] neg_lo:[0,0,1] neg_hi:[0,0,1]
	v_pk_fma_f32 v[136:137], v[138:139], v[126:127], v[136:137] op_sel:[0,0,1] op_sel_hi:[1,0,0]
	s_delay_alu instid0(VALU_DEP_1) | instskip(SKIP_4) | instid1(VALU_DEP_1)
	v_mov_b32_e32 v141, v137
	ds_load_2addr_b64 v[136:139], v130 offset0:49 offset1:50
	v_pk_add_f32 v[46:47], v[46:47], v[140:141] neg_lo:[0,1] neg_hi:[0,1]
	s_wait_dscnt 0x0
	v_pk_mul_f32 v[140:141], v[136:137], v[128:129] op_sel:[0,1]
	v_pk_fma_f32 v[142:143], v[136:137], v[126:127], v[140:141] op_sel:[0,0,1] op_sel_hi:[1,1,0] neg_lo:[0,0,1] neg_hi:[0,0,1]
	v_pk_fma_f32 v[136:137], v[136:137], v[126:127], v[140:141] op_sel:[0,0,1] op_sel_hi:[1,0,0]
	v_dual_mul_f32 v140, v139, v129 :: v_dual_mov_b32 v136, v139
	s_delay_alu instid0(VALU_DEP_2) | instskip(NEXT) | instid1(VALU_DEP_2)
	v_dual_mov_b32 v143, v137 :: v_dual_mov_b32 v137, v138
	v_pk_fma_f32 v[140:141], v[138:139], v[66:67], v[140:141] op_sel_hi:[1,1,0] neg_lo:[0,0,1] neg_hi:[0,0,1]
	v_mul_f32_e32 v138, v139, v126
	s_delay_alu instid0(VALU_DEP_3) | instskip(NEXT) | instid1(VALU_DEP_2)
	v_pk_add_f32 v[44:45], v[44:45], v[142:143] neg_lo:[0,1] neg_hi:[0,1]
	v_pk_fma_f32 v[136:137], v[136:137], v[66:67], v[138:139] op_sel_hi:[1,1,0]
	s_delay_alu instid0(VALU_DEP_1) | instskip(SKIP_4) | instid1(VALU_DEP_1)
	v_mov_b32_e32 v141, v137
	ds_load_2addr_b64 v[136:139], v130 offset0:51 offset1:52
	v_pk_add_f32 v[48:49], v[48:49], v[140:141] neg_lo:[0,1] neg_hi:[0,1]
	s_wait_dscnt 0x0
	v_pk_mul_f32 v[140:141], v[136:137], v[128:129] op_sel:[0,1]
	v_pk_fma_f32 v[142:143], v[136:137], v[126:127], v[140:141] op_sel:[0,0,1] op_sel_hi:[1,1,0] neg_lo:[0,0,1] neg_hi:[0,0,1]
	v_pk_fma_f32 v[136:137], v[136:137], v[126:127], v[140:141] op_sel:[0,0,1] op_sel_hi:[1,0,0]
	s_delay_alu instid0(VALU_DEP_1) | instskip(SKIP_1) | instid1(VALU_DEP_1)
	v_mov_b32_e32 v143, v137
	v_pk_mul_f32 v[136:137], v[138:139], v[128:129] op_sel:[0,1]
	v_pk_fma_f32 v[140:141], v[138:139], v[126:127], v[136:137] op_sel:[0,0,1] op_sel_hi:[1,1,0] neg_lo:[0,0,1] neg_hi:[0,0,1]
	v_pk_fma_f32 v[136:137], v[138:139], v[126:127], v[136:137] op_sel:[0,0,1] op_sel_hi:[1,0,0]
	s_delay_alu instid0(VALU_DEP_1)
	v_mov_b32_e32 v141, v137
	ds_load_2addr_b64 v[136:139], v130 offset0:53 offset1:54
	v_pk_add_f32 v[8:9], v[8:9], v[142:143] neg_lo:[0,1] neg_hi:[0,1]
	v_pk_add_f32 v[34:35], v[34:35], v[140:141] neg_lo:[0,1] neg_hi:[0,1]
	s_wait_dscnt 0x0
	v_pk_mul_f32 v[140:141], v[136:137], v[128:129] op_sel:[0,1]
	s_delay_alu instid0(VALU_DEP_1) | instskip(SKIP_1) | instid1(VALU_DEP_1)
	v_pk_fma_f32 v[142:143], v[136:137], v[126:127], v[140:141] op_sel:[0,0,1] op_sel_hi:[1,1,0] neg_lo:[0,0,1] neg_hi:[0,0,1]
	v_pk_fma_f32 v[136:137], v[136:137], v[126:127], v[140:141] op_sel:[0,0,1] op_sel_hi:[1,0,0]
	v_mov_b32_e32 v143, v137
	v_pk_mul_f32 v[136:137], v[138:139], v[128:129] op_sel:[0,1]
	s_delay_alu instid0(VALU_DEP_1) | instskip(SKIP_1) | instid1(VALU_DEP_1)
	v_pk_fma_f32 v[140:141], v[138:139], v[126:127], v[136:137] op_sel:[0,0,1] op_sel_hi:[1,1,0] neg_lo:[0,0,1] neg_hi:[0,0,1]
	v_pk_fma_f32 v[136:137], v[138:139], v[126:127], v[136:137] op_sel:[0,0,1] op_sel_hi:[1,0,0]
	v_mov_b32_e32 v141, v137
	ds_load_2addr_b64 v[136:139], v130 offset0:55 offset1:56
	v_pk_add_f32 v[28:29], v[28:29], v[142:143] neg_lo:[0,1] neg_hi:[0,1]
	v_pk_add_f32 v[32:33], v[32:33], v[140:141] neg_lo:[0,1] neg_hi:[0,1]
	s_wait_dscnt 0x0
	v_dual_mul_f32 v140, v137, v129 :: v_dual_mul_f32 v142, v137, v126
	s_delay_alu instid0(VALU_DEP_1) | instskip(NEXT) | instid1(VALU_DEP_2)
	v_pk_fma_f32 v[140:141], v[136:137], v[66:67], v[140:141] op_sel_hi:[1,1,0] neg_lo:[0,0,1] neg_hi:[0,0,1]
	v_pk_fma_f32 v[136:137], v[136:137], v[66:67], v[142:143] op_sel:[1,0,0] op_sel_hi:[0,1,0]
	s_delay_alu instid0(VALU_DEP_1) | instskip(SKIP_1) | instid1(VALU_DEP_2)
	v_mov_b32_e32 v141, v137
	v_pk_mul_f32 v[136:137], v[138:139], v[128:129] op_sel:[0,1]
	v_pk_add_f32 v[6:7], v[6:7], v[140:141] neg_lo:[0,1] neg_hi:[0,1]
	s_delay_alu instid0(VALU_DEP_2) | instskip(SKIP_1) | instid1(VALU_DEP_1)
	v_pk_fma_f32 v[140:141], v[138:139], v[126:127], v[136:137] op_sel:[0,0,1] op_sel_hi:[1,1,0] neg_lo:[0,0,1] neg_hi:[0,0,1]
	v_pk_fma_f32 v[136:137], v[138:139], v[126:127], v[136:137] op_sel:[0,0,1] op_sel_hi:[1,0,0]
	v_mov_b32_e32 v141, v137
	ds_load_2addr_b64 v[136:139], v130 offset0:57 offset1:58
	v_pk_add_f32 v[26:27], v[26:27], v[140:141] neg_lo:[0,1] neg_hi:[0,1]
	s_wait_dscnt 0x0
	v_pk_mul_f32 v[140:141], v[136:137], v[128:129] op_sel:[0,1]
	s_delay_alu instid0(VALU_DEP_1) | instskip(SKIP_1) | instid1(VALU_DEP_1)
	v_pk_fma_f32 v[142:143], v[136:137], v[126:127], v[140:141] op_sel:[0,0,1] op_sel_hi:[1,1,0] neg_lo:[0,0,1] neg_hi:[0,0,1]
	v_pk_fma_f32 v[136:137], v[136:137], v[126:127], v[140:141] op_sel:[0,0,1] op_sel_hi:[1,0,0]
	v_mov_b32_e32 v143, v137
	v_pk_mul_f32 v[136:137], v[138:139], v[128:129] op_sel:[0,1]
	s_delay_alu instid0(VALU_DEP_2) | instskip(NEXT) | instid1(VALU_DEP_2)
	v_pk_add_f32 v[16:17], v[16:17], v[142:143] neg_lo:[0,1] neg_hi:[0,1]
	v_pk_fma_f32 v[140:141], v[138:139], v[126:127], v[136:137] op_sel:[0,0,1] op_sel_hi:[1,1,0] neg_lo:[0,0,1] neg_hi:[0,0,1]
	v_pk_fma_f32 v[136:137], v[138:139], v[126:127], v[136:137] op_sel:[0,0,1] op_sel_hi:[1,0,0]
	s_delay_alu instid0(VALU_DEP_1) | instskip(SKIP_4) | instid1(VALU_DEP_1)
	v_mov_b32_e32 v141, v137
	ds_load_b64 v[136:137], v130 offset:472
	v_pk_add_f32 v[14:15], v[14:15], v[140:141] neg_lo:[0,1] neg_hi:[0,1]
	s_wait_dscnt 0x0
	v_pk_mul_f32 v[128:129], v[136:137], v[128:129] op_sel:[0,1]
	v_pk_fma_f32 v[138:139], v[136:137], v[126:127], v[128:129] op_sel:[0,0,1] op_sel_hi:[1,1,0] neg_lo:[0,0,1] neg_hi:[0,0,1]
	v_pk_fma_f32 v[126:127], v[136:137], v[126:127], v[128:129] op_sel:[0,0,1] op_sel_hi:[1,0,0]
	s_delay_alu instid0(VALU_DEP_1) | instskip(NEXT) | instid1(VALU_DEP_1)
	v_mov_b32_e32 v139, v127
	v_pk_add_f32 v[124:125], v[124:125], v[138:139] neg_lo:[0,1] neg_hi:[0,1]
.LBB118_776:
	s_or_b32 exec_lo, exec_lo, s0
	v_lshl_add_u32 v126, v134, 3, v130
	s_barrier_signal -1
	s_barrier_wait -1
	ds_store_b64 v126, v[62:63]
	s_wait_dscnt 0x0
	s_barrier_signal -1
	s_barrier_wait -1
	ds_load_b64 v[128:129], v130 offset:296
	v_mov_b32_e32 v126, 37
	s_cmp_lt_i32 s18, 39
	s_cbranch_scc1 .LBB118_779
; %bb.777:
	v_add3_u32 v127, v131, 0, 0x130
	v_mov_b32_e32 v126, 37
	s_mov_b32 s0, 38
.LBB118_778:                            ; =>This Inner Loop Header: Depth=1
	ds_load_b64 v[136:137], v127
	s_wait_dscnt 0x1
	v_cmp_gt_f32_e32 vcc_lo, 0, v128
	v_cndmask_b32_e64 v138, v128, -v128, vcc_lo
	v_cmp_gt_f32_e32 vcc_lo, 0, v129
	v_cndmask_b32_e64 v140, v129, -v129, vcc_lo
	s_wait_dscnt 0x0
	v_cmp_gt_f32_e32 vcc_lo, 0, v136
	v_cndmask_b32_e64 v139, v136, -v136, vcc_lo
	v_cmp_gt_f32_e32 vcc_lo, 0, v137
	v_cndmask_b32_e64 v141, v137, -v137, vcc_lo
	s_delay_alu instid0(VALU_DEP_1) | instskip(NEXT) | instid1(VALU_DEP_1)
	v_pk_add_f32 v[138:139], v[138:139], v[140:141]
	v_cmp_lt_f32_e32 vcc_lo, v138, v139
	v_dual_add_nc_u32 v127, 8, v127 :: v_dual_cndmask_b32 v129, v129, v137, vcc_lo
	v_cndmask_b32_e32 v128, v128, v136, vcc_lo
	v_cndmask_b32_e64 v126, v126, s0, vcc_lo
	s_add_co_i32 s0, s0, 1
	s_delay_alu instid0(SALU_CYCLE_1)
	s_cmp_lg_u32 s18, s0
	s_cbranch_scc1 .LBB118_778
.LBB118_779:
	s_wait_dscnt 0x0
	v_cmp_eq_f32_e32 vcc_lo, 0, v128
	v_cmp_eq_f32_e64 s0, 0, v129
	s_and_b32 s0, vcc_lo, s0
	s_delay_alu instid0(SALU_CYCLE_1) | instskip(NEXT) | instid1(SALU_CYCLE_1)
	s_and_saveexec_b32 s1, s0
	s_xor_b32 s0, exec_lo, s1
; %bb.780:
	v_cmp_ne_u32_e32 vcc_lo, 0, v132
	v_cndmask_b32_e32 v132, 38, v132, vcc_lo
; %bb.781:
	s_and_not1_saveexec_b32 s0, s0
	s_cbranch_execz .LBB118_787
; %bb.782:
	v_cmp_ngt_f32_e64 s1, |v128|, |v129|
	s_and_saveexec_b32 s12, s1
	s_delay_alu instid0(SALU_CYCLE_1)
	s_xor_b32 s1, exec_lo, s12
	s_cbranch_execz .LBB118_784
; %bb.783:
	v_div_scale_f32 v127, null, v129, v129, v128
	v_div_scale_f32 v137, vcc_lo, v128, v129, v128
	s_delay_alu instid0(VALU_DEP_2) | instskip(SKIP_1) | instid1(TRANS32_DEP_1)
	v_rcp_f32_e32 v135, v127
	v_nop
	v_fma_f32 v136, -v127, v135, 1.0
	s_delay_alu instid0(VALU_DEP_1) | instskip(NEXT) | instid1(VALU_DEP_1)
	v_fmac_f32_e32 v135, v136, v135
	v_mul_f32_e32 v136, v137, v135
	s_delay_alu instid0(VALU_DEP_1) | instskip(NEXT) | instid1(VALU_DEP_1)
	v_fma_f32 v138, -v127, v136, v137
	v_fmac_f32_e32 v136, v138, v135
	s_delay_alu instid0(VALU_DEP_1) | instskip(NEXT) | instid1(VALU_DEP_1)
	v_fma_f32 v127, -v127, v136, v137
	v_div_fmas_f32 v127, v127, v135, v136
	s_delay_alu instid0(VALU_DEP_1) | instskip(NEXT) | instid1(VALU_DEP_1)
	v_div_fixup_f32 v127, v127, v129, v128
	v_fmac_f32_e32 v129, v128, v127
	s_delay_alu instid0(VALU_DEP_1) | instskip(SKIP_1) | instid1(VALU_DEP_2)
	v_div_scale_f32 v128, null, v129, v129, 1.0
	v_div_scale_f32 v137, vcc_lo, 1.0, v129, 1.0
	v_rcp_f32_e32 v135, v128
	v_nop
	s_delay_alu instid0(TRANS32_DEP_1) | instskip(NEXT) | instid1(VALU_DEP_1)
	v_fma_f32 v136, -v128, v135, 1.0
	v_fmac_f32_e32 v135, v136, v135
	s_delay_alu instid0(VALU_DEP_1) | instskip(NEXT) | instid1(VALU_DEP_1)
	v_mul_f32_e32 v136, v137, v135
	v_fma_f32 v138, -v128, v136, v137
	s_delay_alu instid0(VALU_DEP_1) | instskip(NEXT) | instid1(VALU_DEP_1)
	v_fmac_f32_e32 v136, v138, v135
	v_fma_f32 v128, -v128, v136, v137
	s_delay_alu instid0(VALU_DEP_1) | instskip(NEXT) | instid1(VALU_DEP_1)
	v_div_fmas_f32 v128, v128, v135, v136
	v_div_fixup_f32 v129, v128, v129, 1.0
	s_delay_alu instid0(VALU_DEP_1)
	v_mul_f32_e32 v128, v127, v129
	v_xor_b32_e32 v129, 0x80000000, v129
.LBB118_784:
	s_and_not1_saveexec_b32 s1, s1
	s_cbranch_execz .LBB118_786
; %bb.785:
	s_delay_alu instid0(VALU_DEP_1) | instskip(SKIP_1) | instid1(VALU_DEP_2)
	v_div_scale_f32 v127, null, v128, v128, v129
	v_div_scale_f32 v137, vcc_lo, v129, v128, v129
	v_rcp_f32_e32 v135, v127
	v_nop
	s_delay_alu instid0(TRANS32_DEP_1) | instskip(NEXT) | instid1(VALU_DEP_1)
	v_fma_f32 v136, -v127, v135, 1.0
	v_fmac_f32_e32 v135, v136, v135
	s_delay_alu instid0(VALU_DEP_1) | instskip(NEXT) | instid1(VALU_DEP_1)
	v_mul_f32_e32 v136, v137, v135
	v_fma_f32 v138, -v127, v136, v137
	s_delay_alu instid0(VALU_DEP_1) | instskip(NEXT) | instid1(VALU_DEP_1)
	v_fmac_f32_e32 v136, v138, v135
	v_fma_f32 v127, -v127, v136, v137
	s_delay_alu instid0(VALU_DEP_1) | instskip(NEXT) | instid1(VALU_DEP_1)
	v_div_fmas_f32 v127, v127, v135, v136
	v_div_fixup_f32 v127, v127, v128, v129
	s_delay_alu instid0(VALU_DEP_1) | instskip(NEXT) | instid1(VALU_DEP_1)
	v_fmac_f32_e32 v128, v129, v127
	v_div_scale_f32 v129, null, v128, v128, 1.0
	s_delay_alu instid0(VALU_DEP_1) | instskip(SKIP_1) | instid1(TRANS32_DEP_1)
	v_rcp_f32_e32 v135, v129
	v_nop
	v_fma_f32 v136, -v129, v135, 1.0
	s_delay_alu instid0(VALU_DEP_1) | instskip(SKIP_1) | instid1(VALU_DEP_1)
	v_fmac_f32_e32 v135, v136, v135
	v_div_scale_f32 v136, vcc_lo, 1.0, v128, 1.0
	v_mul_f32_e32 v137, v136, v135
	s_delay_alu instid0(VALU_DEP_1) | instskip(NEXT) | instid1(VALU_DEP_1)
	v_fma_f32 v138, -v129, v137, v136
	v_fmac_f32_e32 v137, v138, v135
	s_delay_alu instid0(VALU_DEP_1) | instskip(NEXT) | instid1(VALU_DEP_1)
	v_fma_f32 v129, -v129, v137, v136
	v_div_fmas_f32 v129, v129, v135, v137
	s_delay_alu instid0(VALU_DEP_1) | instskip(NEXT) | instid1(VALU_DEP_1)
	v_div_fixup_f32 v128, v129, v128, 1.0
	v_mul_f32_e64 v129, v127, -v128
.LBB118_786:
	s_or_b32 exec_lo, exec_lo, s1
.LBB118_787:
	s_delay_alu instid0(SALU_CYCLE_1) | instskip(NEXT) | instid1(SALU_CYCLE_1)
	s_or_b32 exec_lo, exec_lo, s0
	s_mov_b32 s0, exec_lo
	v_cmpx_ne_u32_e64 v134, v126
	s_xor_b32 s0, exec_lo, s0
	s_cbranch_execz .LBB118_793
; %bb.788:
	s_mov_b32 s1, exec_lo
	v_cmpx_eq_u32_e32 37, v134
	s_cbranch_execz .LBB118_792
; %bb.789:
	v_cmp_ne_u32_e32 vcc_lo, 37, v126
	s_xor_b32 s12, s16, -1
	s_delay_alu instid0(SALU_CYCLE_1) | instskip(NEXT) | instid1(SALU_CYCLE_1)
	s_and_b32 s13, s12, vcc_lo
	s_and_saveexec_b32 s12, s13
	s_cbranch_execz .LBB118_791
; %bb.790:
	v_ashrrev_i32_e32 v127, 31, v126
	s_delay_alu instid0(VALU_DEP_1)
	v_lshl_add_u64 v[134:135], v[126:127], 2, v[4:5]
	s_clause 0x1
	global_load_b32 v127, v[134:135], off
	global_load_b32 v133, v[4:5], off offset:148
	s_wait_loadcnt 0x1
	global_store_b32 v[4:5], v127, off offset:148
	s_wait_loadcnt 0x0
	global_store_b32 v[134:135], v133, off
.LBB118_791:
	s_wait_xcnt 0x0
	s_or_b32 exec_lo, exec_lo, s12
	v_dual_mov_b32 v134, v126 :: v_dual_mov_b32 v133, v126
.LBB118_792:
	s_or_b32 exec_lo, exec_lo, s1
.LBB118_793:
	s_and_not1_saveexec_b32 s0, s0
	s_cbranch_execz .LBB118_795
; %bb.794:
	v_dual_mov_b32 v126, v64 :: v_dual_mov_b32 v127, v65
	v_dual_mov_b32 v134, v18 :: v_dual_mov_b32 v135, v19
	;; [unrolled: 1-line block ×12, first 2 shown]
	ds_store_2addr_b64 v130, v[126:127], v[134:135] offset0:38 offset1:39
	ds_store_2addr_b64 v130, v[136:137], v[138:139] offset0:40 offset1:41
	;; [unrolled: 1-line block ×6, first 2 shown]
	v_dual_mov_b32 v126, v48 :: v_dual_mov_b32 v127, v49
	v_dual_mov_b32 v136, v8 :: v_dual_mov_b32 v137, v9
	;; [unrolled: 1-line block ×9, first 2 shown]
	v_mov_b32_e32 v151, v15
	ds_store_2addr_b64 v130, v[126:127], v[136:137] offset0:50 offset1:51
	ds_store_2addr_b64 v130, v[138:139], v[140:141] offset0:52 offset1:53
	;; [unrolled: 1-line block ×5, first 2 shown]
.LBB118_795:
	s_or_b32 exec_lo, exec_lo, s0
	s_delay_alu instid0(SALU_CYCLE_1)
	s_mov_b32 s0, exec_lo
	s_wait_storecnt_dscnt 0x0
	s_barrier_signal -1
	s_barrier_wait -1
	v_cmpx_lt_i32_e32 37, v134
	s_cbranch_execz .LBB118_797
; %bb.796:
	v_pk_mul_f32 v[136:137], v[128:129], v[62:63] op_sel:[1,1] op_sel_hi:[0,1]
	s_delay_alu instid0(VALU_DEP_1)
	v_pk_fma_f32 v[126:127], v[128:129], v[62:63], v[136:137] op_sel_hi:[1,0,1] neg_lo:[0,0,1] neg_hi:[0,0,1]
	v_pk_fma_f32 v[128:129], v[128:129], v[62:63], v[136:137] op_sel_hi:[1,0,1]
	ds_load_2addr_b64 v[136:139], v130 offset0:38 offset1:39
	v_dual_mov_b32 v62, v126 :: v_dual_mov_b32 v63, v129
	s_wait_dscnt 0x0
	v_pk_mul_f32 v[140:141], v[136:137], v[128:129] op_sel:[0,1]
	s_delay_alu instid0(VALU_DEP_1) | instskip(SKIP_1) | instid1(VALU_DEP_1)
	v_pk_fma_f32 v[142:143], v[136:137], v[126:127], v[140:141] op_sel:[0,0,1] op_sel_hi:[1,1,0] neg_lo:[0,0,1] neg_hi:[0,0,1]
	v_pk_fma_f32 v[136:137], v[136:137], v[126:127], v[140:141] op_sel:[0,0,1] op_sel_hi:[1,0,0]
	v_mov_b32_e32 v143, v137
	v_pk_mul_f32 v[136:137], v[138:139], v[128:129] op_sel:[0,1]
	s_delay_alu instid0(VALU_DEP_1) | instskip(SKIP_1) | instid1(VALU_DEP_1)
	v_pk_fma_f32 v[140:141], v[138:139], v[126:127], v[136:137] op_sel:[0,0,1] op_sel_hi:[1,1,0] neg_lo:[0,0,1] neg_hi:[0,0,1]
	v_pk_fma_f32 v[136:137], v[138:139], v[126:127], v[136:137] op_sel:[0,0,1] op_sel_hi:[1,0,0]
	v_mov_b32_e32 v141, v137
	ds_load_2addr_b64 v[136:139], v130 offset0:40 offset1:41
	v_pk_add_f32 v[64:65], v[64:65], v[142:143] neg_lo:[0,1] neg_hi:[0,1]
	v_pk_add_f32 v[18:19], v[18:19], v[140:141] neg_lo:[0,1] neg_hi:[0,1]
	s_wait_dscnt 0x0
	v_pk_mul_f32 v[140:141], v[136:137], v[128:129] op_sel:[0,1]
	s_delay_alu instid0(VALU_DEP_1) | instskip(SKIP_2) | instid1(VALU_DEP_2)
	v_pk_fma_f32 v[142:143], v[136:137], v[126:127], v[140:141] op_sel:[0,0,1] op_sel_hi:[1,1,0] neg_lo:[0,0,1] neg_hi:[0,0,1]
	v_pk_fma_f32 v[136:137], v[136:137], v[126:127], v[140:141] op_sel:[0,0,1] op_sel_hi:[1,0,0]
	v_dual_mul_f32 v140, v139, v129 :: v_dual_mov_b32 v136, v139
	v_dual_mov_b32 v143, v137 :: v_dual_mov_b32 v137, v138
	s_delay_alu instid0(VALU_DEP_2) | instskip(SKIP_1) | instid1(VALU_DEP_3)
	v_pk_fma_f32 v[140:141], v[138:139], v[62:63], v[140:141] op_sel_hi:[1,1,0] neg_lo:[0,0,1] neg_hi:[0,0,1]
	v_mul_f32_e32 v138, v139, v126
	v_pk_add_f32 v[60:61], v[60:61], v[142:143] neg_lo:[0,1] neg_hi:[0,1]
	s_delay_alu instid0(VALU_DEP_2) | instskip(NEXT) | instid1(VALU_DEP_1)
	v_pk_fma_f32 v[136:137], v[136:137], v[62:63], v[138:139] op_sel_hi:[1,1,0]
	v_mov_b32_e32 v141, v137
	ds_load_2addr_b64 v[136:139], v130 offset0:42 offset1:43
	v_pk_add_f32 v[56:57], v[56:57], v[140:141] neg_lo:[0,1] neg_hi:[0,1]
	s_wait_dscnt 0x0
	v_pk_mul_f32 v[140:141], v[136:137], v[128:129] op_sel:[0,1]
	s_delay_alu instid0(VALU_DEP_1) | instskip(SKIP_1) | instid1(VALU_DEP_1)
	v_pk_fma_f32 v[142:143], v[136:137], v[126:127], v[140:141] op_sel:[0,0,1] op_sel_hi:[1,1,0] neg_lo:[0,0,1] neg_hi:[0,0,1]
	v_pk_fma_f32 v[136:137], v[136:137], v[126:127], v[140:141] op_sel:[0,0,1] op_sel_hi:[1,0,0]
	v_mov_b32_e32 v143, v137
	v_pk_mul_f32 v[136:137], v[138:139], v[128:129] op_sel:[0,1]
	s_delay_alu instid0(VALU_DEP_1) | instskip(SKIP_1) | instid1(VALU_DEP_1)
	v_pk_fma_f32 v[140:141], v[138:139], v[126:127], v[136:137] op_sel:[0,0,1] op_sel_hi:[1,1,0] neg_lo:[0,0,1] neg_hi:[0,0,1]
	v_pk_fma_f32 v[136:137], v[138:139], v[126:127], v[136:137] op_sel:[0,0,1] op_sel_hi:[1,0,0]
	v_mov_b32_e32 v141, v137
	ds_load_2addr_b64 v[136:139], v130 offset0:44 offset1:45
	v_pk_add_f32 v[58:59], v[58:59], v[142:143] neg_lo:[0,1] neg_hi:[0,1]
	v_pk_add_f32 v[12:13], v[12:13], v[140:141] neg_lo:[0,1] neg_hi:[0,1]
	s_wait_dscnt 0x0
	v_pk_mul_f32 v[140:141], v[136:137], v[128:129] op_sel:[0,1]
	s_delay_alu instid0(VALU_DEP_1) | instskip(SKIP_1) | instid1(VALU_DEP_1)
	v_pk_fma_f32 v[142:143], v[136:137], v[126:127], v[140:141] op_sel:[0,0,1] op_sel_hi:[1,1,0] neg_lo:[0,0,1] neg_hi:[0,0,1]
	v_pk_fma_f32 v[136:137], v[136:137], v[126:127], v[140:141] op_sel:[0,0,1] op_sel_hi:[1,0,0]
	v_mov_b32_e32 v143, v137
	v_pk_mul_f32 v[136:137], v[138:139], v[128:129] op_sel:[0,1]
	s_delay_alu instid0(VALU_DEP_1) | instskip(SKIP_1) | instid1(VALU_DEP_1)
	v_pk_fma_f32 v[140:141], v[138:139], v[126:127], v[136:137] op_sel:[0,0,1] op_sel_hi:[1,1,0] neg_lo:[0,0,1] neg_hi:[0,0,1]
	v_pk_fma_f32 v[136:137], v[138:139], v[126:127], v[136:137] op_sel:[0,0,1] op_sel_hi:[1,0,0]
	v_mov_b32_e32 v141, v137
	ds_load_2addr_b64 v[136:139], v130 offset0:46 offset1:47
	v_pk_add_f32 v[54:55], v[54:55], v[142:143] neg_lo:[0,1] neg_hi:[0,1]
	v_pk_add_f32 v[50:51], v[50:51], v[140:141] neg_lo:[0,1] neg_hi:[0,1]
	s_wait_dscnt 0x0
	v_dual_mul_f32 v140, v137, v129 :: v_dual_mul_f32 v142, v137, v126
	s_delay_alu instid0(VALU_DEP_1) | instskip(NEXT) | instid1(VALU_DEP_2)
	v_pk_fma_f32 v[140:141], v[136:137], v[62:63], v[140:141] op_sel_hi:[1,1,0] neg_lo:[0,0,1] neg_hi:[0,0,1]
	v_pk_fma_f32 v[136:137], v[136:137], v[62:63], v[142:143] op_sel:[1,0,0] op_sel_hi:[0,1,0]
	s_delay_alu instid0(VALU_DEP_1) | instskip(SKIP_1) | instid1(VALU_DEP_2)
	v_mov_b32_e32 v141, v137
	v_pk_mul_f32 v[136:137], v[138:139], v[128:129] op_sel:[0,1]
	v_pk_add_f32 v[52:53], v[52:53], v[140:141] neg_lo:[0,1] neg_hi:[0,1]
	s_delay_alu instid0(VALU_DEP_2) | instskip(SKIP_1) | instid1(VALU_DEP_1)
	v_pk_fma_f32 v[140:141], v[138:139], v[126:127], v[136:137] op_sel:[0,0,1] op_sel_hi:[1,1,0] neg_lo:[0,0,1] neg_hi:[0,0,1]
	v_pk_fma_f32 v[136:137], v[138:139], v[126:127], v[136:137] op_sel:[0,0,1] op_sel_hi:[1,0,0]
	v_mov_b32_e32 v141, v137
	ds_load_2addr_b64 v[136:139], v130 offset0:48 offset1:49
	v_pk_add_f32 v[10:11], v[10:11], v[140:141] neg_lo:[0,1] neg_hi:[0,1]
	s_wait_dscnt 0x0
	v_pk_mul_f32 v[140:141], v[136:137], v[128:129] op_sel:[0,1]
	s_delay_alu instid0(VALU_DEP_1) | instskip(SKIP_1) | instid1(VALU_DEP_1)
	v_pk_fma_f32 v[142:143], v[136:137], v[126:127], v[140:141] op_sel:[0,0,1] op_sel_hi:[1,1,0] neg_lo:[0,0,1] neg_hi:[0,0,1]
	v_pk_fma_f32 v[136:137], v[136:137], v[126:127], v[140:141] op_sel:[0,0,1] op_sel_hi:[1,0,0]
	v_mov_b32_e32 v143, v137
	v_pk_mul_f32 v[136:137], v[138:139], v[128:129] op_sel:[0,1]
	s_delay_alu instid0(VALU_DEP_2) | instskip(NEXT) | instid1(VALU_DEP_2)
	v_pk_add_f32 v[46:47], v[46:47], v[142:143] neg_lo:[0,1] neg_hi:[0,1]
	v_pk_fma_f32 v[140:141], v[138:139], v[126:127], v[136:137] op_sel:[0,0,1] op_sel_hi:[1,1,0] neg_lo:[0,0,1] neg_hi:[0,0,1]
	v_pk_fma_f32 v[136:137], v[138:139], v[126:127], v[136:137] op_sel:[0,0,1] op_sel_hi:[1,0,0]
	s_delay_alu instid0(VALU_DEP_1) | instskip(SKIP_4) | instid1(VALU_DEP_1)
	v_mov_b32_e32 v141, v137
	ds_load_2addr_b64 v[136:139], v130 offset0:50 offset1:51
	v_pk_add_f32 v[44:45], v[44:45], v[140:141] neg_lo:[0,1] neg_hi:[0,1]
	s_wait_dscnt 0x0
	v_pk_mul_f32 v[140:141], v[136:137], v[128:129] op_sel:[0,1]
	v_pk_fma_f32 v[142:143], v[136:137], v[126:127], v[140:141] op_sel:[0,0,1] op_sel_hi:[1,1,0] neg_lo:[0,0,1] neg_hi:[0,0,1]
	v_pk_fma_f32 v[136:137], v[136:137], v[126:127], v[140:141] op_sel:[0,0,1] op_sel_hi:[1,0,0]
	v_dual_mul_f32 v140, v139, v129 :: v_dual_mov_b32 v136, v139
	s_delay_alu instid0(VALU_DEP_2) | instskip(NEXT) | instid1(VALU_DEP_2)
	v_dual_mov_b32 v143, v137 :: v_dual_mov_b32 v137, v138
	v_pk_fma_f32 v[140:141], v[138:139], v[62:63], v[140:141] op_sel_hi:[1,1,0] neg_lo:[0,0,1] neg_hi:[0,0,1]
	v_mul_f32_e32 v138, v139, v126
	s_delay_alu instid0(VALU_DEP_3) | instskip(NEXT) | instid1(VALU_DEP_2)
	v_pk_add_f32 v[48:49], v[48:49], v[142:143] neg_lo:[0,1] neg_hi:[0,1]
	v_pk_fma_f32 v[136:137], v[136:137], v[62:63], v[138:139] op_sel_hi:[1,1,0]
	s_delay_alu instid0(VALU_DEP_1) | instskip(SKIP_4) | instid1(VALU_DEP_1)
	v_mov_b32_e32 v141, v137
	ds_load_2addr_b64 v[136:139], v130 offset0:52 offset1:53
	v_pk_add_f32 v[8:9], v[8:9], v[140:141] neg_lo:[0,1] neg_hi:[0,1]
	s_wait_dscnt 0x0
	v_pk_mul_f32 v[140:141], v[136:137], v[128:129] op_sel:[0,1]
	v_pk_fma_f32 v[142:143], v[136:137], v[126:127], v[140:141] op_sel:[0,0,1] op_sel_hi:[1,1,0] neg_lo:[0,0,1] neg_hi:[0,0,1]
	v_pk_fma_f32 v[136:137], v[136:137], v[126:127], v[140:141] op_sel:[0,0,1] op_sel_hi:[1,0,0]
	s_delay_alu instid0(VALU_DEP_1) | instskip(SKIP_1) | instid1(VALU_DEP_1)
	v_mov_b32_e32 v143, v137
	v_pk_mul_f32 v[136:137], v[138:139], v[128:129] op_sel:[0,1]
	v_pk_fma_f32 v[140:141], v[138:139], v[126:127], v[136:137] op_sel:[0,0,1] op_sel_hi:[1,1,0] neg_lo:[0,0,1] neg_hi:[0,0,1]
	v_pk_fma_f32 v[136:137], v[138:139], v[126:127], v[136:137] op_sel:[0,0,1] op_sel_hi:[1,0,0]
	s_delay_alu instid0(VALU_DEP_1)
	v_mov_b32_e32 v141, v137
	ds_load_2addr_b64 v[136:139], v130 offset0:54 offset1:55
	v_pk_add_f32 v[34:35], v[34:35], v[142:143] neg_lo:[0,1] neg_hi:[0,1]
	v_pk_add_f32 v[28:29], v[28:29], v[140:141] neg_lo:[0,1] neg_hi:[0,1]
	s_wait_dscnt 0x0
	v_pk_mul_f32 v[140:141], v[136:137], v[128:129] op_sel:[0,1]
	s_delay_alu instid0(VALU_DEP_1) | instskip(SKIP_1) | instid1(VALU_DEP_1)
	v_pk_fma_f32 v[142:143], v[136:137], v[126:127], v[140:141] op_sel:[0,0,1] op_sel_hi:[1,1,0] neg_lo:[0,0,1] neg_hi:[0,0,1]
	v_pk_fma_f32 v[136:137], v[136:137], v[126:127], v[140:141] op_sel:[0,0,1] op_sel_hi:[1,0,0]
	v_mov_b32_e32 v143, v137
	v_pk_mul_f32 v[136:137], v[138:139], v[128:129] op_sel:[0,1]
	s_delay_alu instid0(VALU_DEP_1) | instskip(SKIP_1) | instid1(VALU_DEP_1)
	v_pk_fma_f32 v[140:141], v[138:139], v[126:127], v[136:137] op_sel:[0,0,1] op_sel_hi:[1,1,0] neg_lo:[0,0,1] neg_hi:[0,0,1]
	v_pk_fma_f32 v[136:137], v[138:139], v[126:127], v[136:137] op_sel:[0,0,1] op_sel_hi:[1,0,0]
	v_mov_b32_e32 v141, v137
	ds_load_2addr_b64 v[136:139], v130 offset0:56 offset1:57
	v_pk_add_f32 v[32:33], v[32:33], v[142:143] neg_lo:[0,1] neg_hi:[0,1]
	v_pk_add_f32 v[6:7], v[6:7], v[140:141] neg_lo:[0,1] neg_hi:[0,1]
	s_wait_dscnt 0x0
	v_dual_mul_f32 v140, v137, v129 :: v_dual_mul_f32 v142, v137, v126
	s_delay_alu instid0(VALU_DEP_1) | instskip(NEXT) | instid1(VALU_DEP_2)
	v_pk_fma_f32 v[140:141], v[136:137], v[62:63], v[140:141] op_sel_hi:[1,1,0] neg_lo:[0,0,1] neg_hi:[0,0,1]
	v_pk_fma_f32 v[136:137], v[136:137], v[62:63], v[142:143] op_sel:[1,0,0] op_sel_hi:[0,1,0]
	s_delay_alu instid0(VALU_DEP_1) | instskip(SKIP_1) | instid1(VALU_DEP_2)
	v_mov_b32_e32 v141, v137
	v_pk_mul_f32 v[136:137], v[138:139], v[128:129] op_sel:[0,1]
	v_pk_add_f32 v[26:27], v[26:27], v[140:141] neg_lo:[0,1] neg_hi:[0,1]
	s_delay_alu instid0(VALU_DEP_2) | instskip(SKIP_1) | instid1(VALU_DEP_1)
	v_pk_fma_f32 v[140:141], v[138:139], v[126:127], v[136:137] op_sel:[0,0,1] op_sel_hi:[1,1,0] neg_lo:[0,0,1] neg_hi:[0,0,1]
	v_pk_fma_f32 v[136:137], v[138:139], v[126:127], v[136:137] op_sel:[0,0,1] op_sel_hi:[1,0,0]
	v_mov_b32_e32 v141, v137
	ds_load_2addr_b64 v[136:139], v130 offset0:58 offset1:59
	v_pk_add_f32 v[16:17], v[16:17], v[140:141] neg_lo:[0,1] neg_hi:[0,1]
	s_wait_dscnt 0x0
	v_pk_mul_f32 v[140:141], v[136:137], v[128:129] op_sel:[0,1]
	v_pk_mul_f32 v[128:129], v[138:139], v[128:129] op_sel:[0,1]
	s_delay_alu instid0(VALU_DEP_2) | instskip(SKIP_1) | instid1(VALU_DEP_1)
	v_pk_fma_f32 v[142:143], v[136:137], v[126:127], v[140:141] op_sel:[0,0,1] op_sel_hi:[1,1,0] neg_lo:[0,0,1] neg_hi:[0,0,1]
	v_pk_fma_f32 v[136:137], v[136:137], v[126:127], v[140:141] op_sel:[0,0,1] op_sel_hi:[1,0,0]
	v_mov_b32_e32 v143, v137
	s_delay_alu instid0(VALU_DEP_4) | instskip(SKIP_1) | instid1(VALU_DEP_3)
	v_pk_fma_f32 v[136:137], v[138:139], v[126:127], v[128:129] op_sel:[0,0,1] op_sel_hi:[1,1,0] neg_lo:[0,0,1] neg_hi:[0,0,1]
	v_pk_fma_f32 v[126:127], v[138:139], v[126:127], v[128:129] op_sel:[0,0,1] op_sel_hi:[1,0,0]
	v_pk_add_f32 v[14:15], v[14:15], v[142:143] neg_lo:[0,1] neg_hi:[0,1]
	s_delay_alu instid0(VALU_DEP_2) | instskip(NEXT) | instid1(VALU_DEP_1)
	v_mov_b32_e32 v137, v127
	v_pk_add_f32 v[124:125], v[124:125], v[136:137] neg_lo:[0,1] neg_hi:[0,1]
.LBB118_797:
	s_or_b32 exec_lo, exec_lo, s0
	v_lshl_add_u32 v126, v134, 3, v130
	s_barrier_signal -1
	s_barrier_wait -1
	ds_store_b64 v126, v[64:65]
	s_wait_dscnt 0x0
	s_barrier_signal -1
	s_barrier_wait -1
	ds_load_b64 v[128:129], v130 offset:304
	v_mov_b32_e32 v126, 38
	s_cmp_lt_i32 s18, 40
	s_cbranch_scc1 .LBB118_800
; %bb.798:
	v_add3_u32 v127, v131, 0, 0x138
	v_mov_b32_e32 v126, 38
	s_mov_b32 s0, 39
.LBB118_799:                            ; =>This Inner Loop Header: Depth=1
	ds_load_b64 v[136:137], v127
	s_wait_dscnt 0x1
	v_cmp_gt_f32_e32 vcc_lo, 0, v128
	v_cndmask_b32_e64 v138, v128, -v128, vcc_lo
	v_cmp_gt_f32_e32 vcc_lo, 0, v129
	v_cndmask_b32_e64 v140, v129, -v129, vcc_lo
	s_wait_dscnt 0x0
	v_cmp_gt_f32_e32 vcc_lo, 0, v136
	v_cndmask_b32_e64 v139, v136, -v136, vcc_lo
	v_cmp_gt_f32_e32 vcc_lo, 0, v137
	v_cndmask_b32_e64 v141, v137, -v137, vcc_lo
	s_delay_alu instid0(VALU_DEP_1) | instskip(NEXT) | instid1(VALU_DEP_1)
	v_pk_add_f32 v[138:139], v[138:139], v[140:141]
	v_cmp_lt_f32_e32 vcc_lo, v138, v139
	v_dual_add_nc_u32 v127, 8, v127 :: v_dual_cndmask_b32 v129, v129, v137, vcc_lo
	v_cndmask_b32_e32 v128, v128, v136, vcc_lo
	v_cndmask_b32_e64 v126, v126, s0, vcc_lo
	s_add_co_i32 s0, s0, 1
	s_delay_alu instid0(SALU_CYCLE_1)
	s_cmp_lg_u32 s18, s0
	s_cbranch_scc1 .LBB118_799
.LBB118_800:
	s_wait_dscnt 0x0
	v_cmp_eq_f32_e32 vcc_lo, 0, v128
	v_cmp_eq_f32_e64 s0, 0, v129
	s_and_b32 s0, vcc_lo, s0
	s_delay_alu instid0(SALU_CYCLE_1) | instskip(NEXT) | instid1(SALU_CYCLE_1)
	s_and_saveexec_b32 s1, s0
	s_xor_b32 s0, exec_lo, s1
; %bb.801:
	v_cmp_ne_u32_e32 vcc_lo, 0, v132
	v_cndmask_b32_e32 v132, 39, v132, vcc_lo
; %bb.802:
	s_and_not1_saveexec_b32 s0, s0
	s_cbranch_execz .LBB118_808
; %bb.803:
	v_cmp_ngt_f32_e64 s1, |v128|, |v129|
	s_and_saveexec_b32 s12, s1
	s_delay_alu instid0(SALU_CYCLE_1)
	s_xor_b32 s1, exec_lo, s12
	s_cbranch_execz .LBB118_805
; %bb.804:
	v_div_scale_f32 v127, null, v129, v129, v128
	v_div_scale_f32 v137, vcc_lo, v128, v129, v128
	s_delay_alu instid0(VALU_DEP_2) | instskip(SKIP_1) | instid1(TRANS32_DEP_1)
	v_rcp_f32_e32 v135, v127
	v_nop
	v_fma_f32 v136, -v127, v135, 1.0
	s_delay_alu instid0(VALU_DEP_1) | instskip(NEXT) | instid1(VALU_DEP_1)
	v_fmac_f32_e32 v135, v136, v135
	v_mul_f32_e32 v136, v137, v135
	s_delay_alu instid0(VALU_DEP_1) | instskip(NEXT) | instid1(VALU_DEP_1)
	v_fma_f32 v138, -v127, v136, v137
	v_fmac_f32_e32 v136, v138, v135
	s_delay_alu instid0(VALU_DEP_1) | instskip(NEXT) | instid1(VALU_DEP_1)
	v_fma_f32 v127, -v127, v136, v137
	v_div_fmas_f32 v127, v127, v135, v136
	s_delay_alu instid0(VALU_DEP_1) | instskip(NEXT) | instid1(VALU_DEP_1)
	v_div_fixup_f32 v127, v127, v129, v128
	v_fmac_f32_e32 v129, v128, v127
	s_delay_alu instid0(VALU_DEP_1) | instskip(SKIP_1) | instid1(VALU_DEP_2)
	v_div_scale_f32 v128, null, v129, v129, 1.0
	v_div_scale_f32 v137, vcc_lo, 1.0, v129, 1.0
	v_rcp_f32_e32 v135, v128
	v_nop
	s_delay_alu instid0(TRANS32_DEP_1) | instskip(NEXT) | instid1(VALU_DEP_1)
	v_fma_f32 v136, -v128, v135, 1.0
	v_fmac_f32_e32 v135, v136, v135
	s_delay_alu instid0(VALU_DEP_1) | instskip(NEXT) | instid1(VALU_DEP_1)
	v_mul_f32_e32 v136, v137, v135
	v_fma_f32 v138, -v128, v136, v137
	s_delay_alu instid0(VALU_DEP_1) | instskip(NEXT) | instid1(VALU_DEP_1)
	v_fmac_f32_e32 v136, v138, v135
	v_fma_f32 v128, -v128, v136, v137
	s_delay_alu instid0(VALU_DEP_1) | instskip(NEXT) | instid1(VALU_DEP_1)
	v_div_fmas_f32 v128, v128, v135, v136
	v_div_fixup_f32 v129, v128, v129, 1.0
	s_delay_alu instid0(VALU_DEP_1)
	v_mul_f32_e32 v128, v127, v129
	v_xor_b32_e32 v129, 0x80000000, v129
.LBB118_805:
	s_and_not1_saveexec_b32 s1, s1
	s_cbranch_execz .LBB118_807
; %bb.806:
	s_delay_alu instid0(VALU_DEP_1) | instskip(SKIP_1) | instid1(VALU_DEP_2)
	v_div_scale_f32 v127, null, v128, v128, v129
	v_div_scale_f32 v137, vcc_lo, v129, v128, v129
	v_rcp_f32_e32 v135, v127
	v_nop
	s_delay_alu instid0(TRANS32_DEP_1) | instskip(NEXT) | instid1(VALU_DEP_1)
	v_fma_f32 v136, -v127, v135, 1.0
	v_fmac_f32_e32 v135, v136, v135
	s_delay_alu instid0(VALU_DEP_1) | instskip(NEXT) | instid1(VALU_DEP_1)
	v_mul_f32_e32 v136, v137, v135
	v_fma_f32 v138, -v127, v136, v137
	s_delay_alu instid0(VALU_DEP_1) | instskip(NEXT) | instid1(VALU_DEP_1)
	v_fmac_f32_e32 v136, v138, v135
	v_fma_f32 v127, -v127, v136, v137
	s_delay_alu instid0(VALU_DEP_1) | instskip(NEXT) | instid1(VALU_DEP_1)
	v_div_fmas_f32 v127, v127, v135, v136
	v_div_fixup_f32 v127, v127, v128, v129
	s_delay_alu instid0(VALU_DEP_1) | instskip(NEXT) | instid1(VALU_DEP_1)
	v_fmac_f32_e32 v128, v129, v127
	v_div_scale_f32 v129, null, v128, v128, 1.0
	s_delay_alu instid0(VALU_DEP_1) | instskip(SKIP_1) | instid1(TRANS32_DEP_1)
	v_rcp_f32_e32 v135, v129
	v_nop
	v_fma_f32 v136, -v129, v135, 1.0
	s_delay_alu instid0(VALU_DEP_1) | instskip(SKIP_1) | instid1(VALU_DEP_1)
	v_fmac_f32_e32 v135, v136, v135
	v_div_scale_f32 v136, vcc_lo, 1.0, v128, 1.0
	v_mul_f32_e32 v137, v136, v135
	s_delay_alu instid0(VALU_DEP_1) | instskip(NEXT) | instid1(VALU_DEP_1)
	v_fma_f32 v138, -v129, v137, v136
	v_fmac_f32_e32 v137, v138, v135
	s_delay_alu instid0(VALU_DEP_1) | instskip(NEXT) | instid1(VALU_DEP_1)
	v_fma_f32 v129, -v129, v137, v136
	v_div_fmas_f32 v129, v129, v135, v137
	s_delay_alu instid0(VALU_DEP_1) | instskip(NEXT) | instid1(VALU_DEP_1)
	v_div_fixup_f32 v128, v129, v128, 1.0
	v_mul_f32_e64 v129, v127, -v128
.LBB118_807:
	s_or_b32 exec_lo, exec_lo, s1
.LBB118_808:
	s_delay_alu instid0(SALU_CYCLE_1) | instskip(NEXT) | instid1(SALU_CYCLE_1)
	s_or_b32 exec_lo, exec_lo, s0
	s_mov_b32 s0, exec_lo
	v_cmpx_ne_u32_e64 v134, v126
	s_xor_b32 s0, exec_lo, s0
	s_cbranch_execz .LBB118_814
; %bb.809:
	s_mov_b32 s1, exec_lo
	v_cmpx_eq_u32_e32 38, v134
	s_cbranch_execz .LBB118_813
; %bb.810:
	v_cmp_ne_u32_e32 vcc_lo, 38, v126
	s_xor_b32 s12, s16, -1
	s_delay_alu instid0(SALU_CYCLE_1) | instskip(NEXT) | instid1(SALU_CYCLE_1)
	s_and_b32 s13, s12, vcc_lo
	s_and_saveexec_b32 s12, s13
	s_cbranch_execz .LBB118_812
; %bb.811:
	v_ashrrev_i32_e32 v127, 31, v126
	s_delay_alu instid0(VALU_DEP_1)
	v_lshl_add_u64 v[134:135], v[126:127], 2, v[4:5]
	s_clause 0x1
	global_load_b32 v127, v[134:135], off
	global_load_b32 v133, v[4:5], off offset:152
	s_wait_loadcnt 0x1
	global_store_b32 v[4:5], v127, off offset:152
	s_wait_loadcnt 0x0
	global_store_b32 v[134:135], v133, off
.LBB118_812:
	s_wait_xcnt 0x0
	s_or_b32 exec_lo, exec_lo, s12
	v_dual_mov_b32 v134, v126 :: v_dual_mov_b32 v133, v126
.LBB118_813:
	s_or_b32 exec_lo, exec_lo, s1
.LBB118_814:
	s_and_not1_saveexec_b32 s0, s0
	s_cbranch_execz .LBB118_816
; %bb.815:
	v_mov_b32_e32 v134, 38
	ds_store_2addr_b64 v130, v[18:19], v[60:61] offset0:39 offset1:40
	ds_store_2addr_b64 v130, v[56:57], v[58:59] offset0:41 offset1:42
	;; [unrolled: 1-line block ×10, first 2 shown]
	ds_store_b64 v130, v[124:125] offset:472
.LBB118_816:
	s_or_b32 exec_lo, exec_lo, s0
	s_delay_alu instid0(SALU_CYCLE_1)
	s_mov_b32 s0, exec_lo
	s_wait_storecnt_dscnt 0x0
	s_barrier_signal -1
	s_barrier_wait -1
	v_cmpx_lt_i32_e32 38, v134
	s_cbranch_execz .LBB118_818
; %bb.817:
	v_pk_mul_f32 v[136:137], v[128:129], v[64:65] op_sel:[1,1] op_sel_hi:[0,1]
	s_delay_alu instid0(VALU_DEP_1)
	v_pk_fma_f32 v[126:127], v[128:129], v[64:65], v[136:137] op_sel_hi:[1,0,1] neg_lo:[0,0,1] neg_hi:[0,0,1]
	v_pk_fma_f32 v[128:129], v[128:129], v[64:65], v[136:137] op_sel_hi:[1,0,1]
	ds_load_2addr_b64 v[136:139], v130 offset0:39 offset1:40
	v_dual_mov_b32 v64, v126 :: v_dual_mov_b32 v65, v129
	s_wait_dscnt 0x0
	v_pk_mul_f32 v[140:141], v[136:137], v[128:129] op_sel:[0,1]
	s_delay_alu instid0(VALU_DEP_1) | instskip(SKIP_1) | instid1(VALU_DEP_1)
	v_pk_fma_f32 v[142:143], v[136:137], v[126:127], v[140:141] op_sel:[0,0,1] op_sel_hi:[1,1,0] neg_lo:[0,0,1] neg_hi:[0,0,1]
	v_pk_fma_f32 v[136:137], v[136:137], v[126:127], v[140:141] op_sel:[0,0,1] op_sel_hi:[1,0,0]
	v_mov_b32_e32 v143, v137
	v_pk_mul_f32 v[136:137], v[138:139], v[128:129] op_sel:[0,1]
	s_delay_alu instid0(VALU_DEP_1) | instskip(SKIP_1) | instid1(VALU_DEP_1)
	v_pk_fma_f32 v[140:141], v[138:139], v[126:127], v[136:137] op_sel:[0,0,1] op_sel_hi:[1,1,0] neg_lo:[0,0,1] neg_hi:[0,0,1]
	v_pk_fma_f32 v[136:137], v[138:139], v[126:127], v[136:137] op_sel:[0,0,1] op_sel_hi:[1,0,0]
	v_mov_b32_e32 v141, v137
	ds_load_2addr_b64 v[136:139], v130 offset0:41 offset1:42
	v_pk_add_f32 v[18:19], v[18:19], v[142:143] neg_lo:[0,1] neg_hi:[0,1]
	v_pk_add_f32 v[60:61], v[60:61], v[140:141] neg_lo:[0,1] neg_hi:[0,1]
	s_wait_dscnt 0x0
	v_pk_mul_f32 v[140:141], v[136:137], v[128:129] op_sel:[0,1]
	s_delay_alu instid0(VALU_DEP_1) | instskip(SKIP_2) | instid1(VALU_DEP_2)
	v_pk_fma_f32 v[142:143], v[136:137], v[126:127], v[140:141] op_sel:[0,0,1] op_sel_hi:[1,1,0] neg_lo:[0,0,1] neg_hi:[0,0,1]
	v_pk_fma_f32 v[136:137], v[136:137], v[126:127], v[140:141] op_sel:[0,0,1] op_sel_hi:[1,0,0]
	v_dual_mul_f32 v140, v139, v129 :: v_dual_mov_b32 v136, v139
	v_dual_mov_b32 v143, v137 :: v_dual_mov_b32 v137, v138
	s_delay_alu instid0(VALU_DEP_2) | instskip(SKIP_1) | instid1(VALU_DEP_3)
	v_pk_fma_f32 v[140:141], v[138:139], v[64:65], v[140:141] op_sel_hi:[1,1,0] neg_lo:[0,0,1] neg_hi:[0,0,1]
	v_mul_f32_e32 v138, v139, v126
	v_pk_add_f32 v[56:57], v[56:57], v[142:143] neg_lo:[0,1] neg_hi:[0,1]
	s_delay_alu instid0(VALU_DEP_2) | instskip(NEXT) | instid1(VALU_DEP_1)
	v_pk_fma_f32 v[136:137], v[136:137], v[64:65], v[138:139] op_sel_hi:[1,1,0]
	v_mov_b32_e32 v141, v137
	ds_load_2addr_b64 v[136:139], v130 offset0:43 offset1:44
	v_pk_add_f32 v[58:59], v[58:59], v[140:141] neg_lo:[0,1] neg_hi:[0,1]
	s_wait_dscnt 0x0
	v_pk_mul_f32 v[140:141], v[136:137], v[128:129] op_sel:[0,1]
	s_delay_alu instid0(VALU_DEP_1) | instskip(SKIP_1) | instid1(VALU_DEP_1)
	v_pk_fma_f32 v[142:143], v[136:137], v[126:127], v[140:141] op_sel:[0,0,1] op_sel_hi:[1,1,0] neg_lo:[0,0,1] neg_hi:[0,0,1]
	v_pk_fma_f32 v[136:137], v[136:137], v[126:127], v[140:141] op_sel:[0,0,1] op_sel_hi:[1,0,0]
	v_mov_b32_e32 v143, v137
	v_pk_mul_f32 v[136:137], v[138:139], v[128:129] op_sel:[0,1]
	s_delay_alu instid0(VALU_DEP_1) | instskip(SKIP_1) | instid1(VALU_DEP_1)
	v_pk_fma_f32 v[140:141], v[138:139], v[126:127], v[136:137] op_sel:[0,0,1] op_sel_hi:[1,1,0] neg_lo:[0,0,1] neg_hi:[0,0,1]
	v_pk_fma_f32 v[136:137], v[138:139], v[126:127], v[136:137] op_sel:[0,0,1] op_sel_hi:[1,0,0]
	v_mov_b32_e32 v141, v137
	ds_load_2addr_b64 v[136:139], v130 offset0:45 offset1:46
	v_pk_add_f32 v[12:13], v[12:13], v[142:143] neg_lo:[0,1] neg_hi:[0,1]
	v_pk_add_f32 v[54:55], v[54:55], v[140:141] neg_lo:[0,1] neg_hi:[0,1]
	s_wait_dscnt 0x0
	v_pk_mul_f32 v[140:141], v[136:137], v[128:129] op_sel:[0,1]
	s_delay_alu instid0(VALU_DEP_1) | instskip(SKIP_1) | instid1(VALU_DEP_1)
	v_pk_fma_f32 v[142:143], v[136:137], v[126:127], v[140:141] op_sel:[0,0,1] op_sel_hi:[1,1,0] neg_lo:[0,0,1] neg_hi:[0,0,1]
	v_pk_fma_f32 v[136:137], v[136:137], v[126:127], v[140:141] op_sel:[0,0,1] op_sel_hi:[1,0,0]
	v_mov_b32_e32 v143, v137
	v_pk_mul_f32 v[136:137], v[138:139], v[128:129] op_sel:[0,1]
	s_delay_alu instid0(VALU_DEP_1) | instskip(SKIP_1) | instid1(VALU_DEP_1)
	v_pk_fma_f32 v[140:141], v[138:139], v[126:127], v[136:137] op_sel:[0,0,1] op_sel_hi:[1,1,0] neg_lo:[0,0,1] neg_hi:[0,0,1]
	v_pk_fma_f32 v[136:137], v[138:139], v[126:127], v[136:137] op_sel:[0,0,1] op_sel_hi:[1,0,0]
	v_mov_b32_e32 v141, v137
	ds_load_2addr_b64 v[136:139], v130 offset0:47 offset1:48
	v_pk_add_f32 v[50:51], v[50:51], v[142:143] neg_lo:[0,1] neg_hi:[0,1]
	v_pk_add_f32 v[52:53], v[52:53], v[140:141] neg_lo:[0,1] neg_hi:[0,1]
	s_wait_dscnt 0x0
	v_dual_mul_f32 v140, v137, v129 :: v_dual_mul_f32 v142, v137, v126
	s_delay_alu instid0(VALU_DEP_1) | instskip(NEXT) | instid1(VALU_DEP_2)
	v_pk_fma_f32 v[140:141], v[136:137], v[64:65], v[140:141] op_sel_hi:[1,1,0] neg_lo:[0,0,1] neg_hi:[0,0,1]
	v_pk_fma_f32 v[136:137], v[136:137], v[64:65], v[142:143] op_sel:[1,0,0] op_sel_hi:[0,1,0]
	s_delay_alu instid0(VALU_DEP_1) | instskip(SKIP_1) | instid1(VALU_DEP_2)
	v_mov_b32_e32 v141, v137
	v_pk_mul_f32 v[136:137], v[138:139], v[128:129] op_sel:[0,1]
	v_pk_add_f32 v[10:11], v[10:11], v[140:141] neg_lo:[0,1] neg_hi:[0,1]
	s_delay_alu instid0(VALU_DEP_2) | instskip(SKIP_1) | instid1(VALU_DEP_1)
	v_pk_fma_f32 v[140:141], v[138:139], v[126:127], v[136:137] op_sel:[0,0,1] op_sel_hi:[1,1,0] neg_lo:[0,0,1] neg_hi:[0,0,1]
	v_pk_fma_f32 v[136:137], v[138:139], v[126:127], v[136:137] op_sel:[0,0,1] op_sel_hi:[1,0,0]
	v_mov_b32_e32 v141, v137
	ds_load_2addr_b64 v[136:139], v130 offset0:49 offset1:50
	v_pk_add_f32 v[46:47], v[46:47], v[140:141] neg_lo:[0,1] neg_hi:[0,1]
	s_wait_dscnt 0x0
	v_pk_mul_f32 v[140:141], v[136:137], v[128:129] op_sel:[0,1]
	s_delay_alu instid0(VALU_DEP_1) | instskip(SKIP_1) | instid1(VALU_DEP_1)
	v_pk_fma_f32 v[142:143], v[136:137], v[126:127], v[140:141] op_sel:[0,0,1] op_sel_hi:[1,1,0] neg_lo:[0,0,1] neg_hi:[0,0,1]
	v_pk_fma_f32 v[136:137], v[136:137], v[126:127], v[140:141] op_sel:[0,0,1] op_sel_hi:[1,0,0]
	v_mov_b32_e32 v143, v137
	v_pk_mul_f32 v[136:137], v[138:139], v[128:129] op_sel:[0,1]
	s_delay_alu instid0(VALU_DEP_2) | instskip(NEXT) | instid1(VALU_DEP_2)
	v_pk_add_f32 v[44:45], v[44:45], v[142:143] neg_lo:[0,1] neg_hi:[0,1]
	v_pk_fma_f32 v[140:141], v[138:139], v[126:127], v[136:137] op_sel:[0,0,1] op_sel_hi:[1,1,0] neg_lo:[0,0,1] neg_hi:[0,0,1]
	v_pk_fma_f32 v[136:137], v[138:139], v[126:127], v[136:137] op_sel:[0,0,1] op_sel_hi:[1,0,0]
	s_delay_alu instid0(VALU_DEP_1) | instskip(SKIP_4) | instid1(VALU_DEP_1)
	v_mov_b32_e32 v141, v137
	ds_load_2addr_b64 v[136:139], v130 offset0:51 offset1:52
	v_pk_add_f32 v[48:49], v[48:49], v[140:141] neg_lo:[0,1] neg_hi:[0,1]
	s_wait_dscnt 0x0
	v_pk_mul_f32 v[140:141], v[136:137], v[128:129] op_sel:[0,1]
	v_pk_fma_f32 v[142:143], v[136:137], v[126:127], v[140:141] op_sel:[0,0,1] op_sel_hi:[1,1,0] neg_lo:[0,0,1] neg_hi:[0,0,1]
	v_pk_fma_f32 v[136:137], v[136:137], v[126:127], v[140:141] op_sel:[0,0,1] op_sel_hi:[1,0,0]
	v_dual_mul_f32 v140, v139, v129 :: v_dual_mov_b32 v136, v139
	s_delay_alu instid0(VALU_DEP_2) | instskip(NEXT) | instid1(VALU_DEP_2)
	v_dual_mov_b32 v143, v137 :: v_dual_mov_b32 v137, v138
	v_pk_fma_f32 v[140:141], v[138:139], v[64:65], v[140:141] op_sel_hi:[1,1,0] neg_lo:[0,0,1] neg_hi:[0,0,1]
	v_mul_f32_e32 v138, v139, v126
	s_delay_alu instid0(VALU_DEP_3) | instskip(NEXT) | instid1(VALU_DEP_2)
	v_pk_add_f32 v[8:9], v[8:9], v[142:143] neg_lo:[0,1] neg_hi:[0,1]
	v_pk_fma_f32 v[136:137], v[136:137], v[64:65], v[138:139] op_sel_hi:[1,1,0]
	s_delay_alu instid0(VALU_DEP_1) | instskip(SKIP_4) | instid1(VALU_DEP_1)
	v_mov_b32_e32 v141, v137
	ds_load_2addr_b64 v[136:139], v130 offset0:53 offset1:54
	v_pk_add_f32 v[34:35], v[34:35], v[140:141] neg_lo:[0,1] neg_hi:[0,1]
	s_wait_dscnt 0x0
	v_pk_mul_f32 v[140:141], v[136:137], v[128:129] op_sel:[0,1]
	v_pk_fma_f32 v[142:143], v[136:137], v[126:127], v[140:141] op_sel:[0,0,1] op_sel_hi:[1,1,0] neg_lo:[0,0,1] neg_hi:[0,0,1]
	v_pk_fma_f32 v[136:137], v[136:137], v[126:127], v[140:141] op_sel:[0,0,1] op_sel_hi:[1,0,0]
	s_delay_alu instid0(VALU_DEP_1) | instskip(SKIP_1) | instid1(VALU_DEP_1)
	v_mov_b32_e32 v143, v137
	v_pk_mul_f32 v[136:137], v[138:139], v[128:129] op_sel:[0,1]
	v_pk_fma_f32 v[140:141], v[138:139], v[126:127], v[136:137] op_sel:[0,0,1] op_sel_hi:[1,1,0] neg_lo:[0,0,1] neg_hi:[0,0,1]
	v_pk_fma_f32 v[136:137], v[138:139], v[126:127], v[136:137] op_sel:[0,0,1] op_sel_hi:[1,0,0]
	s_delay_alu instid0(VALU_DEP_1)
	v_mov_b32_e32 v141, v137
	ds_load_2addr_b64 v[136:139], v130 offset0:55 offset1:56
	v_pk_add_f32 v[28:29], v[28:29], v[142:143] neg_lo:[0,1] neg_hi:[0,1]
	v_pk_add_f32 v[32:33], v[32:33], v[140:141] neg_lo:[0,1] neg_hi:[0,1]
	s_wait_dscnt 0x0
	v_pk_mul_f32 v[140:141], v[136:137], v[128:129] op_sel:[0,1]
	s_delay_alu instid0(VALU_DEP_1) | instskip(SKIP_1) | instid1(VALU_DEP_1)
	v_pk_fma_f32 v[142:143], v[136:137], v[126:127], v[140:141] op_sel:[0,0,1] op_sel_hi:[1,1,0] neg_lo:[0,0,1] neg_hi:[0,0,1]
	v_pk_fma_f32 v[136:137], v[136:137], v[126:127], v[140:141] op_sel:[0,0,1] op_sel_hi:[1,0,0]
	v_mov_b32_e32 v143, v137
	v_pk_mul_f32 v[136:137], v[138:139], v[128:129] op_sel:[0,1]
	s_delay_alu instid0(VALU_DEP_1) | instskip(SKIP_1) | instid1(VALU_DEP_1)
	v_pk_fma_f32 v[140:141], v[138:139], v[126:127], v[136:137] op_sel:[0,0,1] op_sel_hi:[1,1,0] neg_lo:[0,0,1] neg_hi:[0,0,1]
	v_pk_fma_f32 v[136:137], v[138:139], v[126:127], v[136:137] op_sel:[0,0,1] op_sel_hi:[1,0,0]
	v_mov_b32_e32 v141, v137
	ds_load_2addr_b64 v[136:139], v130 offset0:57 offset1:58
	v_pk_add_f32 v[6:7], v[6:7], v[142:143] neg_lo:[0,1] neg_hi:[0,1]
	v_pk_add_f32 v[26:27], v[26:27], v[140:141] neg_lo:[0,1] neg_hi:[0,1]
	s_wait_dscnt 0x0
	v_dual_mul_f32 v140, v137, v129 :: v_dual_mul_f32 v142, v137, v126
	s_delay_alu instid0(VALU_DEP_1) | instskip(NEXT) | instid1(VALU_DEP_2)
	v_pk_fma_f32 v[140:141], v[136:137], v[64:65], v[140:141] op_sel_hi:[1,1,0] neg_lo:[0,0,1] neg_hi:[0,0,1]
	v_pk_fma_f32 v[136:137], v[136:137], v[64:65], v[142:143] op_sel:[1,0,0] op_sel_hi:[0,1,0]
	s_delay_alu instid0(VALU_DEP_1) | instskip(SKIP_1) | instid1(VALU_DEP_2)
	v_mov_b32_e32 v141, v137
	v_pk_mul_f32 v[136:137], v[138:139], v[128:129] op_sel:[0,1]
	v_pk_add_f32 v[16:17], v[16:17], v[140:141] neg_lo:[0,1] neg_hi:[0,1]
	s_delay_alu instid0(VALU_DEP_2) | instskip(SKIP_1) | instid1(VALU_DEP_1)
	v_pk_fma_f32 v[140:141], v[138:139], v[126:127], v[136:137] op_sel:[0,0,1] op_sel_hi:[1,1,0] neg_lo:[0,0,1] neg_hi:[0,0,1]
	v_pk_fma_f32 v[136:137], v[138:139], v[126:127], v[136:137] op_sel:[0,0,1] op_sel_hi:[1,0,0]
	v_mov_b32_e32 v141, v137
	ds_load_b64 v[136:137], v130 offset:472
	v_pk_add_f32 v[14:15], v[14:15], v[140:141] neg_lo:[0,1] neg_hi:[0,1]
	s_wait_dscnt 0x0
	v_pk_mul_f32 v[128:129], v[136:137], v[128:129] op_sel:[0,1]
	s_delay_alu instid0(VALU_DEP_1) | instskip(SKIP_1) | instid1(VALU_DEP_1)
	v_pk_fma_f32 v[138:139], v[136:137], v[126:127], v[128:129] op_sel:[0,0,1] op_sel_hi:[1,1,0] neg_lo:[0,0,1] neg_hi:[0,0,1]
	v_pk_fma_f32 v[126:127], v[136:137], v[126:127], v[128:129] op_sel:[0,0,1] op_sel_hi:[1,0,0]
	v_mov_b32_e32 v139, v127
	s_delay_alu instid0(VALU_DEP_1)
	v_pk_add_f32 v[124:125], v[124:125], v[138:139] neg_lo:[0,1] neg_hi:[0,1]
.LBB118_818:
	s_or_b32 exec_lo, exec_lo, s0
	v_lshl_add_u32 v126, v134, 3, v130
	s_barrier_signal -1
	s_barrier_wait -1
	ds_store_b64 v126, v[18:19]
	s_wait_dscnt 0x0
	s_barrier_signal -1
	s_barrier_wait -1
	ds_load_b64 v[128:129], v130 offset:312
	v_mov_b32_e32 v126, 39
	s_cmp_lt_i32 s18, 41
	s_cbranch_scc1 .LBB118_821
; %bb.819:
	v_add3_u32 v127, v131, 0, 0x140
	v_mov_b32_e32 v126, 39
	s_mov_b32 s0, 40
.LBB118_820:                            ; =>This Inner Loop Header: Depth=1
	ds_load_b64 v[136:137], v127
	s_wait_dscnt 0x1
	v_cmp_gt_f32_e32 vcc_lo, 0, v128
	v_cndmask_b32_e64 v138, v128, -v128, vcc_lo
	v_cmp_gt_f32_e32 vcc_lo, 0, v129
	v_cndmask_b32_e64 v140, v129, -v129, vcc_lo
	s_wait_dscnt 0x0
	v_cmp_gt_f32_e32 vcc_lo, 0, v136
	v_cndmask_b32_e64 v139, v136, -v136, vcc_lo
	v_cmp_gt_f32_e32 vcc_lo, 0, v137
	v_cndmask_b32_e64 v141, v137, -v137, vcc_lo
	s_delay_alu instid0(VALU_DEP_1) | instskip(NEXT) | instid1(VALU_DEP_1)
	v_pk_add_f32 v[138:139], v[138:139], v[140:141]
	v_cmp_lt_f32_e32 vcc_lo, v138, v139
	v_dual_add_nc_u32 v127, 8, v127 :: v_dual_cndmask_b32 v129, v129, v137, vcc_lo
	v_cndmask_b32_e32 v128, v128, v136, vcc_lo
	v_cndmask_b32_e64 v126, v126, s0, vcc_lo
	s_add_co_i32 s0, s0, 1
	s_delay_alu instid0(SALU_CYCLE_1)
	s_cmp_lg_u32 s18, s0
	s_cbranch_scc1 .LBB118_820
.LBB118_821:
	s_wait_dscnt 0x0
	v_cmp_eq_f32_e32 vcc_lo, 0, v128
	v_cmp_eq_f32_e64 s0, 0, v129
	s_and_b32 s0, vcc_lo, s0
	s_delay_alu instid0(SALU_CYCLE_1) | instskip(NEXT) | instid1(SALU_CYCLE_1)
	s_and_saveexec_b32 s1, s0
	s_xor_b32 s0, exec_lo, s1
; %bb.822:
	v_cmp_ne_u32_e32 vcc_lo, 0, v132
	v_cndmask_b32_e32 v132, 40, v132, vcc_lo
; %bb.823:
	s_and_not1_saveexec_b32 s0, s0
	s_cbranch_execz .LBB118_829
; %bb.824:
	v_cmp_ngt_f32_e64 s1, |v128|, |v129|
	s_and_saveexec_b32 s12, s1
	s_delay_alu instid0(SALU_CYCLE_1)
	s_xor_b32 s1, exec_lo, s12
	s_cbranch_execz .LBB118_826
; %bb.825:
	v_div_scale_f32 v127, null, v129, v129, v128
	v_div_scale_f32 v137, vcc_lo, v128, v129, v128
	s_delay_alu instid0(VALU_DEP_2) | instskip(SKIP_1) | instid1(TRANS32_DEP_1)
	v_rcp_f32_e32 v135, v127
	v_nop
	v_fma_f32 v136, -v127, v135, 1.0
	s_delay_alu instid0(VALU_DEP_1) | instskip(NEXT) | instid1(VALU_DEP_1)
	v_fmac_f32_e32 v135, v136, v135
	v_mul_f32_e32 v136, v137, v135
	s_delay_alu instid0(VALU_DEP_1) | instskip(NEXT) | instid1(VALU_DEP_1)
	v_fma_f32 v138, -v127, v136, v137
	v_fmac_f32_e32 v136, v138, v135
	s_delay_alu instid0(VALU_DEP_1) | instskip(NEXT) | instid1(VALU_DEP_1)
	v_fma_f32 v127, -v127, v136, v137
	v_div_fmas_f32 v127, v127, v135, v136
	s_delay_alu instid0(VALU_DEP_1) | instskip(NEXT) | instid1(VALU_DEP_1)
	v_div_fixup_f32 v127, v127, v129, v128
	v_fmac_f32_e32 v129, v128, v127
	s_delay_alu instid0(VALU_DEP_1) | instskip(SKIP_1) | instid1(VALU_DEP_2)
	v_div_scale_f32 v128, null, v129, v129, 1.0
	v_div_scale_f32 v137, vcc_lo, 1.0, v129, 1.0
	v_rcp_f32_e32 v135, v128
	v_nop
	s_delay_alu instid0(TRANS32_DEP_1) | instskip(NEXT) | instid1(VALU_DEP_1)
	v_fma_f32 v136, -v128, v135, 1.0
	v_fmac_f32_e32 v135, v136, v135
	s_delay_alu instid0(VALU_DEP_1) | instskip(NEXT) | instid1(VALU_DEP_1)
	v_mul_f32_e32 v136, v137, v135
	v_fma_f32 v138, -v128, v136, v137
	s_delay_alu instid0(VALU_DEP_1) | instskip(NEXT) | instid1(VALU_DEP_1)
	v_fmac_f32_e32 v136, v138, v135
	v_fma_f32 v128, -v128, v136, v137
	s_delay_alu instid0(VALU_DEP_1) | instskip(NEXT) | instid1(VALU_DEP_1)
	v_div_fmas_f32 v128, v128, v135, v136
	v_div_fixup_f32 v129, v128, v129, 1.0
	s_delay_alu instid0(VALU_DEP_1)
	v_mul_f32_e32 v128, v127, v129
	v_xor_b32_e32 v129, 0x80000000, v129
.LBB118_826:
	s_and_not1_saveexec_b32 s1, s1
	s_cbranch_execz .LBB118_828
; %bb.827:
	s_delay_alu instid0(VALU_DEP_1) | instskip(SKIP_1) | instid1(VALU_DEP_2)
	v_div_scale_f32 v127, null, v128, v128, v129
	v_div_scale_f32 v137, vcc_lo, v129, v128, v129
	v_rcp_f32_e32 v135, v127
	v_nop
	s_delay_alu instid0(TRANS32_DEP_1) | instskip(NEXT) | instid1(VALU_DEP_1)
	v_fma_f32 v136, -v127, v135, 1.0
	v_fmac_f32_e32 v135, v136, v135
	s_delay_alu instid0(VALU_DEP_1) | instskip(NEXT) | instid1(VALU_DEP_1)
	v_mul_f32_e32 v136, v137, v135
	v_fma_f32 v138, -v127, v136, v137
	s_delay_alu instid0(VALU_DEP_1) | instskip(NEXT) | instid1(VALU_DEP_1)
	v_fmac_f32_e32 v136, v138, v135
	v_fma_f32 v127, -v127, v136, v137
	s_delay_alu instid0(VALU_DEP_1) | instskip(NEXT) | instid1(VALU_DEP_1)
	v_div_fmas_f32 v127, v127, v135, v136
	v_div_fixup_f32 v127, v127, v128, v129
	s_delay_alu instid0(VALU_DEP_1) | instskip(NEXT) | instid1(VALU_DEP_1)
	v_fmac_f32_e32 v128, v129, v127
	v_div_scale_f32 v129, null, v128, v128, 1.0
	s_delay_alu instid0(VALU_DEP_1) | instskip(SKIP_1) | instid1(TRANS32_DEP_1)
	v_rcp_f32_e32 v135, v129
	v_nop
	v_fma_f32 v136, -v129, v135, 1.0
	s_delay_alu instid0(VALU_DEP_1) | instskip(SKIP_1) | instid1(VALU_DEP_1)
	v_fmac_f32_e32 v135, v136, v135
	v_div_scale_f32 v136, vcc_lo, 1.0, v128, 1.0
	v_mul_f32_e32 v137, v136, v135
	s_delay_alu instid0(VALU_DEP_1) | instskip(NEXT) | instid1(VALU_DEP_1)
	v_fma_f32 v138, -v129, v137, v136
	v_fmac_f32_e32 v137, v138, v135
	s_delay_alu instid0(VALU_DEP_1) | instskip(NEXT) | instid1(VALU_DEP_1)
	v_fma_f32 v129, -v129, v137, v136
	v_div_fmas_f32 v129, v129, v135, v137
	s_delay_alu instid0(VALU_DEP_1) | instskip(NEXT) | instid1(VALU_DEP_1)
	v_div_fixup_f32 v128, v129, v128, 1.0
	v_mul_f32_e64 v129, v127, -v128
.LBB118_828:
	s_or_b32 exec_lo, exec_lo, s1
.LBB118_829:
	s_delay_alu instid0(SALU_CYCLE_1) | instskip(NEXT) | instid1(SALU_CYCLE_1)
	s_or_b32 exec_lo, exec_lo, s0
	s_mov_b32 s0, exec_lo
	v_cmpx_ne_u32_e64 v134, v126
	s_xor_b32 s0, exec_lo, s0
	s_cbranch_execz .LBB118_835
; %bb.830:
	s_mov_b32 s1, exec_lo
	v_cmpx_eq_u32_e32 39, v134
	s_cbranch_execz .LBB118_834
; %bb.831:
	v_cmp_ne_u32_e32 vcc_lo, 39, v126
	s_xor_b32 s12, s16, -1
	s_delay_alu instid0(SALU_CYCLE_1) | instskip(NEXT) | instid1(SALU_CYCLE_1)
	s_and_b32 s13, s12, vcc_lo
	s_and_saveexec_b32 s12, s13
	s_cbranch_execz .LBB118_833
; %bb.832:
	v_ashrrev_i32_e32 v127, 31, v126
	s_delay_alu instid0(VALU_DEP_1)
	v_lshl_add_u64 v[134:135], v[126:127], 2, v[4:5]
	s_clause 0x1
	global_load_b32 v127, v[134:135], off
	global_load_b32 v133, v[4:5], off offset:156
	s_wait_loadcnt 0x1
	global_store_b32 v[4:5], v127, off offset:156
	s_wait_loadcnt 0x0
	global_store_b32 v[134:135], v133, off
.LBB118_833:
	s_wait_xcnt 0x0
	s_or_b32 exec_lo, exec_lo, s12
	v_dual_mov_b32 v134, v126 :: v_dual_mov_b32 v133, v126
.LBB118_834:
	s_or_b32 exec_lo, exec_lo, s1
.LBB118_835:
	s_and_not1_saveexec_b32 s0, s0
	s_cbranch_execz .LBB118_837
; %bb.836:
	v_dual_mov_b32 v126, v60 :: v_dual_mov_b32 v127, v61
	v_dual_mov_b32 v134, v56 :: v_dual_mov_b32 v135, v57
	;; [unrolled: 1-line block ×12, first 2 shown]
	ds_store_2addr_b64 v130, v[126:127], v[134:135] offset0:40 offset1:41
	ds_store_2addr_b64 v130, v[136:137], v[138:139] offset0:42 offset1:43
	;; [unrolled: 1-line block ×6, first 2 shown]
	v_dual_mov_b32 v126, v34 :: v_dual_mov_b32 v127, v35
	v_dual_mov_b32 v136, v28 :: v_dual_mov_b32 v137, v29
	;; [unrolled: 1-line block ×7, first 2 shown]
	v_mov_b32_e32 v147, v15
	ds_store_2addr_b64 v130, v[126:127], v[136:137] offset0:52 offset1:53
	ds_store_2addr_b64 v130, v[138:139], v[140:141] offset0:54 offset1:55
	;; [unrolled: 1-line block ×4, first 2 shown]
.LBB118_837:
	s_or_b32 exec_lo, exec_lo, s0
	s_delay_alu instid0(SALU_CYCLE_1)
	s_mov_b32 s0, exec_lo
	s_wait_storecnt_dscnt 0x0
	s_barrier_signal -1
	s_barrier_wait -1
	v_cmpx_lt_i32_e32 39, v134
	s_cbranch_execz .LBB118_839
; %bb.838:
	v_pk_mul_f32 v[136:137], v[128:129], v[18:19] op_sel:[1,1] op_sel_hi:[0,1]
	s_delay_alu instid0(VALU_DEP_1)
	v_pk_fma_f32 v[126:127], v[128:129], v[18:19], v[136:137] op_sel_hi:[1,0,1] neg_lo:[0,0,1] neg_hi:[0,0,1]
	v_pk_fma_f32 v[128:129], v[128:129], v[18:19], v[136:137] op_sel_hi:[1,0,1]
	ds_load_2addr_b64 v[136:139], v130 offset0:40 offset1:41
	v_dual_mov_b32 v18, v126 :: v_dual_mov_b32 v19, v129
	s_wait_dscnt 0x0
	v_pk_mul_f32 v[140:141], v[136:137], v[128:129] op_sel:[0,1]
	s_delay_alu instid0(VALU_DEP_1) | instskip(SKIP_1) | instid1(VALU_DEP_1)
	v_pk_fma_f32 v[142:143], v[136:137], v[126:127], v[140:141] op_sel:[0,0,1] op_sel_hi:[1,1,0] neg_lo:[0,0,1] neg_hi:[0,0,1]
	v_pk_fma_f32 v[136:137], v[136:137], v[126:127], v[140:141] op_sel:[0,0,1] op_sel_hi:[1,0,0]
	v_mov_b32_e32 v143, v137
	v_pk_mul_f32 v[136:137], v[138:139], v[128:129] op_sel:[0,1]
	s_delay_alu instid0(VALU_DEP_1) | instskip(SKIP_1) | instid1(VALU_DEP_1)
	v_pk_fma_f32 v[140:141], v[138:139], v[126:127], v[136:137] op_sel:[0,0,1] op_sel_hi:[1,1,0] neg_lo:[0,0,1] neg_hi:[0,0,1]
	v_pk_fma_f32 v[136:137], v[138:139], v[126:127], v[136:137] op_sel:[0,0,1] op_sel_hi:[1,0,0]
	v_mov_b32_e32 v141, v137
	ds_load_2addr_b64 v[136:139], v130 offset0:42 offset1:43
	v_pk_add_f32 v[60:61], v[60:61], v[142:143] neg_lo:[0,1] neg_hi:[0,1]
	v_pk_add_f32 v[56:57], v[56:57], v[140:141] neg_lo:[0,1] neg_hi:[0,1]
	s_wait_dscnt 0x0
	v_pk_mul_f32 v[140:141], v[136:137], v[128:129] op_sel:[0,1]
	s_delay_alu instid0(VALU_DEP_1) | instskip(SKIP_2) | instid1(VALU_DEP_2)
	v_pk_fma_f32 v[142:143], v[136:137], v[126:127], v[140:141] op_sel:[0,0,1] op_sel_hi:[1,1,0] neg_lo:[0,0,1] neg_hi:[0,0,1]
	v_pk_fma_f32 v[136:137], v[136:137], v[126:127], v[140:141] op_sel:[0,0,1] op_sel_hi:[1,0,0]
	v_dual_mul_f32 v140, v139, v129 :: v_dual_mov_b32 v136, v139
	v_dual_mov_b32 v143, v137 :: v_dual_mov_b32 v137, v138
	s_delay_alu instid0(VALU_DEP_2) | instskip(SKIP_1) | instid1(VALU_DEP_3)
	v_pk_fma_f32 v[140:141], v[138:139], v[18:19], v[140:141] op_sel_hi:[1,1,0] neg_lo:[0,0,1] neg_hi:[0,0,1]
	v_mul_f32_e32 v138, v139, v126
	v_pk_add_f32 v[58:59], v[58:59], v[142:143] neg_lo:[0,1] neg_hi:[0,1]
	s_delay_alu instid0(VALU_DEP_2) | instskip(NEXT) | instid1(VALU_DEP_1)
	v_pk_fma_f32 v[136:137], v[136:137], v[18:19], v[138:139] op_sel_hi:[1,1,0]
	v_mov_b32_e32 v141, v137
	ds_load_2addr_b64 v[136:139], v130 offset0:44 offset1:45
	v_pk_add_f32 v[12:13], v[12:13], v[140:141] neg_lo:[0,1] neg_hi:[0,1]
	s_wait_dscnt 0x0
	v_pk_mul_f32 v[140:141], v[136:137], v[128:129] op_sel:[0,1]
	s_delay_alu instid0(VALU_DEP_1) | instskip(SKIP_1) | instid1(VALU_DEP_1)
	v_pk_fma_f32 v[142:143], v[136:137], v[126:127], v[140:141] op_sel:[0,0,1] op_sel_hi:[1,1,0] neg_lo:[0,0,1] neg_hi:[0,0,1]
	v_pk_fma_f32 v[136:137], v[136:137], v[126:127], v[140:141] op_sel:[0,0,1] op_sel_hi:[1,0,0]
	v_mov_b32_e32 v143, v137
	v_pk_mul_f32 v[136:137], v[138:139], v[128:129] op_sel:[0,1]
	s_delay_alu instid0(VALU_DEP_1) | instskip(SKIP_1) | instid1(VALU_DEP_1)
	v_pk_fma_f32 v[140:141], v[138:139], v[126:127], v[136:137] op_sel:[0,0,1] op_sel_hi:[1,1,0] neg_lo:[0,0,1] neg_hi:[0,0,1]
	v_pk_fma_f32 v[136:137], v[138:139], v[126:127], v[136:137] op_sel:[0,0,1] op_sel_hi:[1,0,0]
	v_mov_b32_e32 v141, v137
	ds_load_2addr_b64 v[136:139], v130 offset0:46 offset1:47
	v_pk_add_f32 v[54:55], v[54:55], v[142:143] neg_lo:[0,1] neg_hi:[0,1]
	v_pk_add_f32 v[50:51], v[50:51], v[140:141] neg_lo:[0,1] neg_hi:[0,1]
	s_wait_dscnt 0x0
	v_pk_mul_f32 v[140:141], v[136:137], v[128:129] op_sel:[0,1]
	s_delay_alu instid0(VALU_DEP_1) | instskip(SKIP_1) | instid1(VALU_DEP_1)
	v_pk_fma_f32 v[142:143], v[136:137], v[126:127], v[140:141] op_sel:[0,0,1] op_sel_hi:[1,1,0] neg_lo:[0,0,1] neg_hi:[0,0,1]
	v_pk_fma_f32 v[136:137], v[136:137], v[126:127], v[140:141] op_sel:[0,0,1] op_sel_hi:[1,0,0]
	v_mov_b32_e32 v143, v137
	v_pk_mul_f32 v[136:137], v[138:139], v[128:129] op_sel:[0,1]
	s_delay_alu instid0(VALU_DEP_1) | instskip(SKIP_1) | instid1(VALU_DEP_1)
	v_pk_fma_f32 v[140:141], v[138:139], v[126:127], v[136:137] op_sel:[0,0,1] op_sel_hi:[1,1,0] neg_lo:[0,0,1] neg_hi:[0,0,1]
	v_pk_fma_f32 v[136:137], v[138:139], v[126:127], v[136:137] op_sel:[0,0,1] op_sel_hi:[1,0,0]
	v_mov_b32_e32 v141, v137
	ds_load_2addr_b64 v[136:139], v130 offset0:48 offset1:49
	v_pk_add_f32 v[52:53], v[52:53], v[142:143] neg_lo:[0,1] neg_hi:[0,1]
	v_pk_add_f32 v[10:11], v[10:11], v[140:141] neg_lo:[0,1] neg_hi:[0,1]
	s_wait_dscnt 0x0
	v_dual_mul_f32 v140, v137, v129 :: v_dual_mul_f32 v142, v137, v126
	s_delay_alu instid0(VALU_DEP_1) | instskip(NEXT) | instid1(VALU_DEP_2)
	v_pk_fma_f32 v[140:141], v[136:137], v[18:19], v[140:141] op_sel_hi:[1,1,0] neg_lo:[0,0,1] neg_hi:[0,0,1]
	v_pk_fma_f32 v[136:137], v[136:137], v[18:19], v[142:143] op_sel:[1,0,0] op_sel_hi:[0,1,0]
	s_delay_alu instid0(VALU_DEP_1) | instskip(SKIP_1) | instid1(VALU_DEP_2)
	v_mov_b32_e32 v141, v137
	v_pk_mul_f32 v[136:137], v[138:139], v[128:129] op_sel:[0,1]
	v_pk_add_f32 v[46:47], v[46:47], v[140:141] neg_lo:[0,1] neg_hi:[0,1]
	s_delay_alu instid0(VALU_DEP_2) | instskip(SKIP_1) | instid1(VALU_DEP_1)
	v_pk_fma_f32 v[140:141], v[138:139], v[126:127], v[136:137] op_sel:[0,0,1] op_sel_hi:[1,1,0] neg_lo:[0,0,1] neg_hi:[0,0,1]
	v_pk_fma_f32 v[136:137], v[138:139], v[126:127], v[136:137] op_sel:[0,0,1] op_sel_hi:[1,0,0]
	v_mov_b32_e32 v141, v137
	ds_load_2addr_b64 v[136:139], v130 offset0:50 offset1:51
	v_pk_add_f32 v[44:45], v[44:45], v[140:141] neg_lo:[0,1] neg_hi:[0,1]
	s_wait_dscnt 0x0
	v_pk_mul_f32 v[140:141], v[136:137], v[128:129] op_sel:[0,1]
	s_delay_alu instid0(VALU_DEP_1) | instskip(SKIP_1) | instid1(VALU_DEP_1)
	v_pk_fma_f32 v[142:143], v[136:137], v[126:127], v[140:141] op_sel:[0,0,1] op_sel_hi:[1,1,0] neg_lo:[0,0,1] neg_hi:[0,0,1]
	v_pk_fma_f32 v[136:137], v[136:137], v[126:127], v[140:141] op_sel:[0,0,1] op_sel_hi:[1,0,0]
	v_mov_b32_e32 v143, v137
	v_pk_mul_f32 v[136:137], v[138:139], v[128:129] op_sel:[0,1]
	s_delay_alu instid0(VALU_DEP_2) | instskip(NEXT) | instid1(VALU_DEP_2)
	v_pk_add_f32 v[48:49], v[48:49], v[142:143] neg_lo:[0,1] neg_hi:[0,1]
	v_pk_fma_f32 v[140:141], v[138:139], v[126:127], v[136:137] op_sel:[0,0,1] op_sel_hi:[1,1,0] neg_lo:[0,0,1] neg_hi:[0,0,1]
	v_pk_fma_f32 v[136:137], v[138:139], v[126:127], v[136:137] op_sel:[0,0,1] op_sel_hi:[1,0,0]
	s_delay_alu instid0(VALU_DEP_1) | instskip(SKIP_4) | instid1(VALU_DEP_1)
	v_mov_b32_e32 v141, v137
	ds_load_2addr_b64 v[136:139], v130 offset0:52 offset1:53
	v_pk_add_f32 v[8:9], v[8:9], v[140:141] neg_lo:[0,1] neg_hi:[0,1]
	s_wait_dscnt 0x0
	v_pk_mul_f32 v[140:141], v[136:137], v[128:129] op_sel:[0,1]
	v_pk_fma_f32 v[142:143], v[136:137], v[126:127], v[140:141] op_sel:[0,0,1] op_sel_hi:[1,1,0] neg_lo:[0,0,1] neg_hi:[0,0,1]
	v_pk_fma_f32 v[136:137], v[136:137], v[126:127], v[140:141] op_sel:[0,0,1] op_sel_hi:[1,0,0]
	v_dual_mul_f32 v140, v139, v129 :: v_dual_mov_b32 v136, v139
	s_delay_alu instid0(VALU_DEP_2) | instskip(NEXT) | instid1(VALU_DEP_2)
	v_dual_mov_b32 v143, v137 :: v_dual_mov_b32 v137, v138
	v_pk_fma_f32 v[140:141], v[138:139], v[18:19], v[140:141] op_sel_hi:[1,1,0] neg_lo:[0,0,1] neg_hi:[0,0,1]
	v_mul_f32_e32 v138, v139, v126
	s_delay_alu instid0(VALU_DEP_3) | instskip(NEXT) | instid1(VALU_DEP_2)
	v_pk_add_f32 v[34:35], v[34:35], v[142:143] neg_lo:[0,1] neg_hi:[0,1]
	v_pk_fma_f32 v[136:137], v[136:137], v[18:19], v[138:139] op_sel_hi:[1,1,0]
	s_delay_alu instid0(VALU_DEP_1) | instskip(SKIP_4) | instid1(VALU_DEP_1)
	v_mov_b32_e32 v141, v137
	ds_load_2addr_b64 v[136:139], v130 offset0:54 offset1:55
	v_pk_add_f32 v[28:29], v[28:29], v[140:141] neg_lo:[0,1] neg_hi:[0,1]
	s_wait_dscnt 0x0
	v_pk_mul_f32 v[140:141], v[136:137], v[128:129] op_sel:[0,1]
	v_pk_fma_f32 v[142:143], v[136:137], v[126:127], v[140:141] op_sel:[0,0,1] op_sel_hi:[1,1,0] neg_lo:[0,0,1] neg_hi:[0,0,1]
	v_pk_fma_f32 v[136:137], v[136:137], v[126:127], v[140:141] op_sel:[0,0,1] op_sel_hi:[1,0,0]
	s_delay_alu instid0(VALU_DEP_1) | instskip(SKIP_1) | instid1(VALU_DEP_1)
	v_mov_b32_e32 v143, v137
	v_pk_mul_f32 v[136:137], v[138:139], v[128:129] op_sel:[0,1]
	v_pk_fma_f32 v[140:141], v[138:139], v[126:127], v[136:137] op_sel:[0,0,1] op_sel_hi:[1,1,0] neg_lo:[0,0,1] neg_hi:[0,0,1]
	v_pk_fma_f32 v[136:137], v[138:139], v[126:127], v[136:137] op_sel:[0,0,1] op_sel_hi:[1,0,0]
	s_delay_alu instid0(VALU_DEP_1)
	v_mov_b32_e32 v141, v137
	ds_load_2addr_b64 v[136:139], v130 offset0:56 offset1:57
	v_pk_add_f32 v[32:33], v[32:33], v[142:143] neg_lo:[0,1] neg_hi:[0,1]
	v_pk_add_f32 v[6:7], v[6:7], v[140:141] neg_lo:[0,1] neg_hi:[0,1]
	s_wait_dscnt 0x0
	v_pk_mul_f32 v[140:141], v[136:137], v[128:129] op_sel:[0,1]
	s_delay_alu instid0(VALU_DEP_1) | instskip(SKIP_1) | instid1(VALU_DEP_1)
	v_pk_fma_f32 v[142:143], v[136:137], v[126:127], v[140:141] op_sel:[0,0,1] op_sel_hi:[1,1,0] neg_lo:[0,0,1] neg_hi:[0,0,1]
	v_pk_fma_f32 v[136:137], v[136:137], v[126:127], v[140:141] op_sel:[0,0,1] op_sel_hi:[1,0,0]
	v_mov_b32_e32 v143, v137
	v_pk_mul_f32 v[136:137], v[138:139], v[128:129] op_sel:[0,1]
	s_delay_alu instid0(VALU_DEP_1) | instskip(SKIP_1) | instid1(VALU_DEP_1)
	v_pk_fma_f32 v[140:141], v[138:139], v[126:127], v[136:137] op_sel:[0,0,1] op_sel_hi:[1,1,0] neg_lo:[0,0,1] neg_hi:[0,0,1]
	v_pk_fma_f32 v[136:137], v[138:139], v[126:127], v[136:137] op_sel:[0,0,1] op_sel_hi:[1,0,0]
	v_mov_b32_e32 v141, v137
	ds_load_2addr_b64 v[136:139], v130 offset0:58 offset1:59
	v_pk_add_f32 v[26:27], v[26:27], v[142:143] neg_lo:[0,1] neg_hi:[0,1]
	v_pk_add_f32 v[16:17], v[16:17], v[140:141] neg_lo:[0,1] neg_hi:[0,1]
	s_wait_dscnt 0x0
	v_dual_mul_f32 v140, v137, v129 :: v_dual_mul_f32 v142, v137, v126
	v_pk_mul_f32 v[128:129], v[138:139], v[128:129] op_sel:[0,1]
	s_delay_alu instid0(VALU_DEP_2) | instskip(NEXT) | instid1(VALU_DEP_3)
	v_pk_fma_f32 v[140:141], v[136:137], v[18:19], v[140:141] op_sel_hi:[1,1,0] neg_lo:[0,0,1] neg_hi:[0,0,1]
	v_pk_fma_f32 v[136:137], v[136:137], v[18:19], v[142:143] op_sel:[1,0,0] op_sel_hi:[0,1,0]
	s_delay_alu instid0(VALU_DEP_1) | instskip(NEXT) | instid1(VALU_DEP_4)
	v_mov_b32_e32 v141, v137
	v_pk_fma_f32 v[136:137], v[138:139], v[126:127], v[128:129] op_sel:[0,0,1] op_sel_hi:[1,1,0] neg_lo:[0,0,1] neg_hi:[0,0,1]
	v_pk_fma_f32 v[126:127], v[138:139], v[126:127], v[128:129] op_sel:[0,0,1] op_sel_hi:[1,0,0]
	s_delay_alu instid0(VALU_DEP_1) | instskip(NEXT) | instid1(VALU_DEP_4)
	v_mov_b32_e32 v137, v127
	v_pk_add_f32 v[14:15], v[14:15], v[140:141] neg_lo:[0,1] neg_hi:[0,1]
	s_delay_alu instid0(VALU_DEP_2)
	v_pk_add_f32 v[124:125], v[124:125], v[136:137] neg_lo:[0,1] neg_hi:[0,1]
.LBB118_839:
	s_or_b32 exec_lo, exec_lo, s0
	v_lshl_add_u32 v126, v134, 3, v130
	s_barrier_signal -1
	s_barrier_wait -1
	ds_store_b64 v126, v[60:61]
	s_wait_dscnt 0x0
	s_barrier_signal -1
	s_barrier_wait -1
	ds_load_b64 v[128:129], v130 offset:320
	v_mov_b32_e32 v126, 40
	s_cmp_lt_i32 s18, 42
	s_cbranch_scc1 .LBB118_842
; %bb.840:
	v_add3_u32 v127, v131, 0, 0x148
	v_mov_b32_e32 v126, 40
	s_mov_b32 s0, 41
.LBB118_841:                            ; =>This Inner Loop Header: Depth=1
	ds_load_b64 v[136:137], v127
	s_wait_dscnt 0x1
	v_cmp_gt_f32_e32 vcc_lo, 0, v128
	v_cndmask_b32_e64 v138, v128, -v128, vcc_lo
	v_cmp_gt_f32_e32 vcc_lo, 0, v129
	v_cndmask_b32_e64 v140, v129, -v129, vcc_lo
	s_wait_dscnt 0x0
	v_cmp_gt_f32_e32 vcc_lo, 0, v136
	v_cndmask_b32_e64 v139, v136, -v136, vcc_lo
	v_cmp_gt_f32_e32 vcc_lo, 0, v137
	v_cndmask_b32_e64 v141, v137, -v137, vcc_lo
	s_delay_alu instid0(VALU_DEP_1) | instskip(NEXT) | instid1(VALU_DEP_1)
	v_pk_add_f32 v[138:139], v[138:139], v[140:141]
	v_cmp_lt_f32_e32 vcc_lo, v138, v139
	v_dual_add_nc_u32 v127, 8, v127 :: v_dual_cndmask_b32 v129, v129, v137, vcc_lo
	v_cndmask_b32_e32 v128, v128, v136, vcc_lo
	v_cndmask_b32_e64 v126, v126, s0, vcc_lo
	s_add_co_i32 s0, s0, 1
	s_delay_alu instid0(SALU_CYCLE_1)
	s_cmp_lg_u32 s18, s0
	s_cbranch_scc1 .LBB118_841
.LBB118_842:
	s_wait_dscnt 0x0
	v_cmp_eq_f32_e32 vcc_lo, 0, v128
	v_cmp_eq_f32_e64 s0, 0, v129
	s_and_b32 s0, vcc_lo, s0
	s_delay_alu instid0(SALU_CYCLE_1) | instskip(NEXT) | instid1(SALU_CYCLE_1)
	s_and_saveexec_b32 s1, s0
	s_xor_b32 s0, exec_lo, s1
; %bb.843:
	v_cmp_ne_u32_e32 vcc_lo, 0, v132
	v_cndmask_b32_e32 v132, 41, v132, vcc_lo
; %bb.844:
	s_and_not1_saveexec_b32 s0, s0
	s_cbranch_execz .LBB118_850
; %bb.845:
	v_cmp_ngt_f32_e64 s1, |v128|, |v129|
	s_and_saveexec_b32 s12, s1
	s_delay_alu instid0(SALU_CYCLE_1)
	s_xor_b32 s1, exec_lo, s12
	s_cbranch_execz .LBB118_847
; %bb.846:
	v_div_scale_f32 v127, null, v129, v129, v128
	v_div_scale_f32 v137, vcc_lo, v128, v129, v128
	s_delay_alu instid0(VALU_DEP_2) | instskip(SKIP_1) | instid1(TRANS32_DEP_1)
	v_rcp_f32_e32 v135, v127
	v_nop
	v_fma_f32 v136, -v127, v135, 1.0
	s_delay_alu instid0(VALU_DEP_1) | instskip(NEXT) | instid1(VALU_DEP_1)
	v_fmac_f32_e32 v135, v136, v135
	v_mul_f32_e32 v136, v137, v135
	s_delay_alu instid0(VALU_DEP_1) | instskip(NEXT) | instid1(VALU_DEP_1)
	v_fma_f32 v138, -v127, v136, v137
	v_fmac_f32_e32 v136, v138, v135
	s_delay_alu instid0(VALU_DEP_1) | instskip(NEXT) | instid1(VALU_DEP_1)
	v_fma_f32 v127, -v127, v136, v137
	v_div_fmas_f32 v127, v127, v135, v136
	s_delay_alu instid0(VALU_DEP_1) | instskip(NEXT) | instid1(VALU_DEP_1)
	v_div_fixup_f32 v127, v127, v129, v128
	v_fmac_f32_e32 v129, v128, v127
	s_delay_alu instid0(VALU_DEP_1) | instskip(SKIP_1) | instid1(VALU_DEP_2)
	v_div_scale_f32 v128, null, v129, v129, 1.0
	v_div_scale_f32 v137, vcc_lo, 1.0, v129, 1.0
	v_rcp_f32_e32 v135, v128
	v_nop
	s_delay_alu instid0(TRANS32_DEP_1) | instskip(NEXT) | instid1(VALU_DEP_1)
	v_fma_f32 v136, -v128, v135, 1.0
	v_fmac_f32_e32 v135, v136, v135
	s_delay_alu instid0(VALU_DEP_1) | instskip(NEXT) | instid1(VALU_DEP_1)
	v_mul_f32_e32 v136, v137, v135
	v_fma_f32 v138, -v128, v136, v137
	s_delay_alu instid0(VALU_DEP_1) | instskip(NEXT) | instid1(VALU_DEP_1)
	v_fmac_f32_e32 v136, v138, v135
	v_fma_f32 v128, -v128, v136, v137
	s_delay_alu instid0(VALU_DEP_1) | instskip(NEXT) | instid1(VALU_DEP_1)
	v_div_fmas_f32 v128, v128, v135, v136
	v_div_fixup_f32 v129, v128, v129, 1.0
	s_delay_alu instid0(VALU_DEP_1)
	v_mul_f32_e32 v128, v127, v129
	v_xor_b32_e32 v129, 0x80000000, v129
.LBB118_847:
	s_and_not1_saveexec_b32 s1, s1
	s_cbranch_execz .LBB118_849
; %bb.848:
	s_delay_alu instid0(VALU_DEP_1) | instskip(SKIP_1) | instid1(VALU_DEP_2)
	v_div_scale_f32 v127, null, v128, v128, v129
	v_div_scale_f32 v137, vcc_lo, v129, v128, v129
	v_rcp_f32_e32 v135, v127
	v_nop
	s_delay_alu instid0(TRANS32_DEP_1) | instskip(NEXT) | instid1(VALU_DEP_1)
	v_fma_f32 v136, -v127, v135, 1.0
	v_fmac_f32_e32 v135, v136, v135
	s_delay_alu instid0(VALU_DEP_1) | instskip(NEXT) | instid1(VALU_DEP_1)
	v_mul_f32_e32 v136, v137, v135
	v_fma_f32 v138, -v127, v136, v137
	s_delay_alu instid0(VALU_DEP_1) | instskip(NEXT) | instid1(VALU_DEP_1)
	v_fmac_f32_e32 v136, v138, v135
	v_fma_f32 v127, -v127, v136, v137
	s_delay_alu instid0(VALU_DEP_1) | instskip(NEXT) | instid1(VALU_DEP_1)
	v_div_fmas_f32 v127, v127, v135, v136
	v_div_fixup_f32 v127, v127, v128, v129
	s_delay_alu instid0(VALU_DEP_1) | instskip(NEXT) | instid1(VALU_DEP_1)
	v_fmac_f32_e32 v128, v129, v127
	v_div_scale_f32 v129, null, v128, v128, 1.0
	s_delay_alu instid0(VALU_DEP_1) | instskip(SKIP_1) | instid1(TRANS32_DEP_1)
	v_rcp_f32_e32 v135, v129
	v_nop
	v_fma_f32 v136, -v129, v135, 1.0
	s_delay_alu instid0(VALU_DEP_1) | instskip(SKIP_1) | instid1(VALU_DEP_1)
	v_fmac_f32_e32 v135, v136, v135
	v_div_scale_f32 v136, vcc_lo, 1.0, v128, 1.0
	v_mul_f32_e32 v137, v136, v135
	s_delay_alu instid0(VALU_DEP_1) | instskip(NEXT) | instid1(VALU_DEP_1)
	v_fma_f32 v138, -v129, v137, v136
	v_fmac_f32_e32 v137, v138, v135
	s_delay_alu instid0(VALU_DEP_1) | instskip(NEXT) | instid1(VALU_DEP_1)
	v_fma_f32 v129, -v129, v137, v136
	v_div_fmas_f32 v129, v129, v135, v137
	s_delay_alu instid0(VALU_DEP_1) | instskip(NEXT) | instid1(VALU_DEP_1)
	v_div_fixup_f32 v128, v129, v128, 1.0
	v_mul_f32_e64 v129, v127, -v128
.LBB118_849:
	s_or_b32 exec_lo, exec_lo, s1
.LBB118_850:
	s_delay_alu instid0(SALU_CYCLE_1) | instskip(NEXT) | instid1(SALU_CYCLE_1)
	s_or_b32 exec_lo, exec_lo, s0
	s_mov_b32 s0, exec_lo
	v_cmpx_ne_u32_e64 v134, v126
	s_xor_b32 s0, exec_lo, s0
	s_cbranch_execz .LBB118_856
; %bb.851:
	s_mov_b32 s1, exec_lo
	v_cmpx_eq_u32_e32 40, v134
	s_cbranch_execz .LBB118_855
; %bb.852:
	v_cmp_ne_u32_e32 vcc_lo, 40, v126
	s_xor_b32 s12, s16, -1
	s_delay_alu instid0(SALU_CYCLE_1) | instskip(NEXT) | instid1(SALU_CYCLE_1)
	s_and_b32 s13, s12, vcc_lo
	s_and_saveexec_b32 s12, s13
	s_cbranch_execz .LBB118_854
; %bb.853:
	v_ashrrev_i32_e32 v127, 31, v126
	s_delay_alu instid0(VALU_DEP_1)
	v_lshl_add_u64 v[134:135], v[126:127], 2, v[4:5]
	s_clause 0x1
	global_load_b32 v127, v[134:135], off
	global_load_b32 v133, v[4:5], off offset:160
	s_wait_loadcnt 0x1
	global_store_b32 v[4:5], v127, off offset:160
	s_wait_loadcnt 0x0
	global_store_b32 v[134:135], v133, off
.LBB118_854:
	s_wait_xcnt 0x0
	s_or_b32 exec_lo, exec_lo, s12
	v_dual_mov_b32 v134, v126 :: v_dual_mov_b32 v133, v126
.LBB118_855:
	s_or_b32 exec_lo, exec_lo, s1
.LBB118_856:
	s_and_not1_saveexec_b32 s0, s0
	s_cbranch_execz .LBB118_858
; %bb.857:
	v_mov_b32_e32 v134, 40
	ds_store_2addr_b64 v130, v[56:57], v[58:59] offset0:41 offset1:42
	ds_store_2addr_b64 v130, v[12:13], v[54:55] offset0:43 offset1:44
	;; [unrolled: 1-line block ×9, first 2 shown]
	ds_store_b64 v130, v[124:125] offset:472
.LBB118_858:
	s_or_b32 exec_lo, exec_lo, s0
	s_delay_alu instid0(SALU_CYCLE_1)
	s_mov_b32 s0, exec_lo
	s_wait_storecnt_dscnt 0x0
	s_barrier_signal -1
	s_barrier_wait -1
	v_cmpx_lt_i32_e32 40, v134
	s_cbranch_execz .LBB118_860
; %bb.859:
	v_pk_mul_f32 v[136:137], v[128:129], v[60:61] op_sel:[1,1] op_sel_hi:[0,1]
	s_delay_alu instid0(VALU_DEP_1)
	v_pk_fma_f32 v[126:127], v[128:129], v[60:61], v[136:137] op_sel_hi:[1,0,1] neg_lo:[0,0,1] neg_hi:[0,0,1]
	v_pk_fma_f32 v[128:129], v[128:129], v[60:61], v[136:137] op_sel_hi:[1,0,1]
	ds_load_2addr_b64 v[136:139], v130 offset0:41 offset1:42
	v_dual_mov_b32 v60, v126 :: v_dual_mov_b32 v61, v129
	s_wait_dscnt 0x0
	v_pk_mul_f32 v[140:141], v[136:137], v[128:129] op_sel:[0,1]
	s_delay_alu instid0(VALU_DEP_1) | instskip(SKIP_1) | instid1(VALU_DEP_1)
	v_pk_fma_f32 v[142:143], v[136:137], v[126:127], v[140:141] op_sel:[0,0,1] op_sel_hi:[1,1,0] neg_lo:[0,0,1] neg_hi:[0,0,1]
	v_pk_fma_f32 v[136:137], v[136:137], v[126:127], v[140:141] op_sel:[0,0,1] op_sel_hi:[1,0,0]
	v_mov_b32_e32 v143, v137
	v_pk_mul_f32 v[136:137], v[138:139], v[128:129] op_sel:[0,1]
	s_delay_alu instid0(VALU_DEP_1) | instskip(SKIP_1) | instid1(VALU_DEP_1)
	v_pk_fma_f32 v[140:141], v[138:139], v[126:127], v[136:137] op_sel:[0,0,1] op_sel_hi:[1,1,0] neg_lo:[0,0,1] neg_hi:[0,0,1]
	v_pk_fma_f32 v[136:137], v[138:139], v[126:127], v[136:137] op_sel:[0,0,1] op_sel_hi:[1,0,0]
	v_mov_b32_e32 v141, v137
	ds_load_2addr_b64 v[136:139], v130 offset0:43 offset1:44
	v_pk_add_f32 v[56:57], v[56:57], v[142:143] neg_lo:[0,1] neg_hi:[0,1]
	v_pk_add_f32 v[58:59], v[58:59], v[140:141] neg_lo:[0,1] neg_hi:[0,1]
	s_wait_dscnt 0x0
	v_pk_mul_f32 v[140:141], v[136:137], v[128:129] op_sel:[0,1]
	s_delay_alu instid0(VALU_DEP_1) | instskip(SKIP_2) | instid1(VALU_DEP_2)
	v_pk_fma_f32 v[142:143], v[136:137], v[126:127], v[140:141] op_sel:[0,0,1] op_sel_hi:[1,1,0] neg_lo:[0,0,1] neg_hi:[0,0,1]
	v_pk_fma_f32 v[136:137], v[136:137], v[126:127], v[140:141] op_sel:[0,0,1] op_sel_hi:[1,0,0]
	v_dual_mul_f32 v140, v139, v129 :: v_dual_mov_b32 v136, v139
	v_dual_mov_b32 v143, v137 :: v_dual_mov_b32 v137, v138
	s_delay_alu instid0(VALU_DEP_2) | instskip(SKIP_1) | instid1(VALU_DEP_3)
	v_pk_fma_f32 v[140:141], v[138:139], v[60:61], v[140:141] op_sel_hi:[1,1,0] neg_lo:[0,0,1] neg_hi:[0,0,1]
	v_mul_f32_e32 v138, v139, v126
	v_pk_add_f32 v[12:13], v[12:13], v[142:143] neg_lo:[0,1] neg_hi:[0,1]
	s_delay_alu instid0(VALU_DEP_2) | instskip(NEXT) | instid1(VALU_DEP_1)
	v_pk_fma_f32 v[136:137], v[136:137], v[60:61], v[138:139] op_sel_hi:[1,1,0]
	v_mov_b32_e32 v141, v137
	ds_load_2addr_b64 v[136:139], v130 offset0:45 offset1:46
	v_pk_add_f32 v[54:55], v[54:55], v[140:141] neg_lo:[0,1] neg_hi:[0,1]
	s_wait_dscnt 0x0
	v_pk_mul_f32 v[140:141], v[136:137], v[128:129] op_sel:[0,1]
	s_delay_alu instid0(VALU_DEP_1) | instskip(SKIP_1) | instid1(VALU_DEP_1)
	v_pk_fma_f32 v[142:143], v[136:137], v[126:127], v[140:141] op_sel:[0,0,1] op_sel_hi:[1,1,0] neg_lo:[0,0,1] neg_hi:[0,0,1]
	v_pk_fma_f32 v[136:137], v[136:137], v[126:127], v[140:141] op_sel:[0,0,1] op_sel_hi:[1,0,0]
	v_mov_b32_e32 v143, v137
	v_pk_mul_f32 v[136:137], v[138:139], v[128:129] op_sel:[0,1]
	s_delay_alu instid0(VALU_DEP_1) | instskip(SKIP_1) | instid1(VALU_DEP_1)
	v_pk_fma_f32 v[140:141], v[138:139], v[126:127], v[136:137] op_sel:[0,0,1] op_sel_hi:[1,1,0] neg_lo:[0,0,1] neg_hi:[0,0,1]
	v_pk_fma_f32 v[136:137], v[138:139], v[126:127], v[136:137] op_sel:[0,0,1] op_sel_hi:[1,0,0]
	v_mov_b32_e32 v141, v137
	ds_load_2addr_b64 v[136:139], v130 offset0:47 offset1:48
	v_pk_add_f32 v[50:51], v[50:51], v[142:143] neg_lo:[0,1] neg_hi:[0,1]
	v_pk_add_f32 v[52:53], v[52:53], v[140:141] neg_lo:[0,1] neg_hi:[0,1]
	s_wait_dscnt 0x0
	v_pk_mul_f32 v[140:141], v[136:137], v[128:129] op_sel:[0,1]
	s_delay_alu instid0(VALU_DEP_1) | instskip(SKIP_1) | instid1(VALU_DEP_1)
	v_pk_fma_f32 v[142:143], v[136:137], v[126:127], v[140:141] op_sel:[0,0,1] op_sel_hi:[1,1,0] neg_lo:[0,0,1] neg_hi:[0,0,1]
	v_pk_fma_f32 v[136:137], v[136:137], v[126:127], v[140:141] op_sel:[0,0,1] op_sel_hi:[1,0,0]
	v_mov_b32_e32 v143, v137
	v_pk_mul_f32 v[136:137], v[138:139], v[128:129] op_sel:[0,1]
	s_delay_alu instid0(VALU_DEP_1) | instskip(SKIP_1) | instid1(VALU_DEP_1)
	v_pk_fma_f32 v[140:141], v[138:139], v[126:127], v[136:137] op_sel:[0,0,1] op_sel_hi:[1,1,0] neg_lo:[0,0,1] neg_hi:[0,0,1]
	v_pk_fma_f32 v[136:137], v[138:139], v[126:127], v[136:137] op_sel:[0,0,1] op_sel_hi:[1,0,0]
	v_mov_b32_e32 v141, v137
	ds_load_2addr_b64 v[136:139], v130 offset0:49 offset1:50
	v_pk_add_f32 v[10:11], v[10:11], v[142:143] neg_lo:[0,1] neg_hi:[0,1]
	v_pk_add_f32 v[46:47], v[46:47], v[140:141] neg_lo:[0,1] neg_hi:[0,1]
	s_wait_dscnt 0x0
	v_dual_mul_f32 v140, v137, v129 :: v_dual_mul_f32 v142, v137, v126
	s_delay_alu instid0(VALU_DEP_1) | instskip(NEXT) | instid1(VALU_DEP_2)
	v_pk_fma_f32 v[140:141], v[136:137], v[60:61], v[140:141] op_sel_hi:[1,1,0] neg_lo:[0,0,1] neg_hi:[0,0,1]
	v_pk_fma_f32 v[136:137], v[136:137], v[60:61], v[142:143] op_sel:[1,0,0] op_sel_hi:[0,1,0]
	s_delay_alu instid0(VALU_DEP_1) | instskip(SKIP_1) | instid1(VALU_DEP_2)
	v_mov_b32_e32 v141, v137
	v_pk_mul_f32 v[136:137], v[138:139], v[128:129] op_sel:[0,1]
	v_pk_add_f32 v[44:45], v[44:45], v[140:141] neg_lo:[0,1] neg_hi:[0,1]
	s_delay_alu instid0(VALU_DEP_2) | instskip(SKIP_1) | instid1(VALU_DEP_1)
	v_pk_fma_f32 v[140:141], v[138:139], v[126:127], v[136:137] op_sel:[0,0,1] op_sel_hi:[1,1,0] neg_lo:[0,0,1] neg_hi:[0,0,1]
	v_pk_fma_f32 v[136:137], v[138:139], v[126:127], v[136:137] op_sel:[0,0,1] op_sel_hi:[1,0,0]
	v_mov_b32_e32 v141, v137
	ds_load_2addr_b64 v[136:139], v130 offset0:51 offset1:52
	v_pk_add_f32 v[48:49], v[48:49], v[140:141] neg_lo:[0,1] neg_hi:[0,1]
	s_wait_dscnt 0x0
	v_pk_mul_f32 v[140:141], v[136:137], v[128:129] op_sel:[0,1]
	s_delay_alu instid0(VALU_DEP_1) | instskip(SKIP_1) | instid1(VALU_DEP_1)
	v_pk_fma_f32 v[142:143], v[136:137], v[126:127], v[140:141] op_sel:[0,0,1] op_sel_hi:[1,1,0] neg_lo:[0,0,1] neg_hi:[0,0,1]
	v_pk_fma_f32 v[136:137], v[136:137], v[126:127], v[140:141] op_sel:[0,0,1] op_sel_hi:[1,0,0]
	v_mov_b32_e32 v143, v137
	v_pk_mul_f32 v[136:137], v[138:139], v[128:129] op_sel:[0,1]
	s_delay_alu instid0(VALU_DEP_2) | instskip(NEXT) | instid1(VALU_DEP_2)
	v_pk_add_f32 v[8:9], v[8:9], v[142:143] neg_lo:[0,1] neg_hi:[0,1]
	v_pk_fma_f32 v[140:141], v[138:139], v[126:127], v[136:137] op_sel:[0,0,1] op_sel_hi:[1,1,0] neg_lo:[0,0,1] neg_hi:[0,0,1]
	v_pk_fma_f32 v[136:137], v[138:139], v[126:127], v[136:137] op_sel:[0,0,1] op_sel_hi:[1,0,0]
	s_delay_alu instid0(VALU_DEP_1) | instskip(SKIP_4) | instid1(VALU_DEP_1)
	v_mov_b32_e32 v141, v137
	ds_load_2addr_b64 v[136:139], v130 offset0:53 offset1:54
	v_pk_add_f32 v[34:35], v[34:35], v[140:141] neg_lo:[0,1] neg_hi:[0,1]
	s_wait_dscnt 0x0
	v_pk_mul_f32 v[140:141], v[136:137], v[128:129] op_sel:[0,1]
	v_pk_fma_f32 v[142:143], v[136:137], v[126:127], v[140:141] op_sel:[0,0,1] op_sel_hi:[1,1,0] neg_lo:[0,0,1] neg_hi:[0,0,1]
	v_pk_fma_f32 v[136:137], v[136:137], v[126:127], v[140:141] op_sel:[0,0,1] op_sel_hi:[1,0,0]
	v_dual_mul_f32 v140, v139, v129 :: v_dual_mov_b32 v136, v139
	s_delay_alu instid0(VALU_DEP_2) | instskip(NEXT) | instid1(VALU_DEP_2)
	v_dual_mov_b32 v143, v137 :: v_dual_mov_b32 v137, v138
	v_pk_fma_f32 v[140:141], v[138:139], v[60:61], v[140:141] op_sel_hi:[1,1,0] neg_lo:[0,0,1] neg_hi:[0,0,1]
	v_mul_f32_e32 v138, v139, v126
	s_delay_alu instid0(VALU_DEP_3) | instskip(NEXT) | instid1(VALU_DEP_2)
	v_pk_add_f32 v[28:29], v[28:29], v[142:143] neg_lo:[0,1] neg_hi:[0,1]
	v_pk_fma_f32 v[136:137], v[136:137], v[60:61], v[138:139] op_sel_hi:[1,1,0]
	s_delay_alu instid0(VALU_DEP_1) | instskip(SKIP_4) | instid1(VALU_DEP_1)
	v_mov_b32_e32 v141, v137
	ds_load_2addr_b64 v[136:139], v130 offset0:55 offset1:56
	v_pk_add_f32 v[32:33], v[32:33], v[140:141] neg_lo:[0,1] neg_hi:[0,1]
	s_wait_dscnt 0x0
	v_pk_mul_f32 v[140:141], v[136:137], v[128:129] op_sel:[0,1]
	v_pk_fma_f32 v[142:143], v[136:137], v[126:127], v[140:141] op_sel:[0,0,1] op_sel_hi:[1,1,0] neg_lo:[0,0,1] neg_hi:[0,0,1]
	v_pk_fma_f32 v[136:137], v[136:137], v[126:127], v[140:141] op_sel:[0,0,1] op_sel_hi:[1,0,0]
	s_delay_alu instid0(VALU_DEP_1) | instskip(SKIP_1) | instid1(VALU_DEP_1)
	v_mov_b32_e32 v143, v137
	v_pk_mul_f32 v[136:137], v[138:139], v[128:129] op_sel:[0,1]
	v_pk_fma_f32 v[140:141], v[138:139], v[126:127], v[136:137] op_sel:[0,0,1] op_sel_hi:[1,1,0] neg_lo:[0,0,1] neg_hi:[0,0,1]
	v_pk_fma_f32 v[136:137], v[138:139], v[126:127], v[136:137] op_sel:[0,0,1] op_sel_hi:[1,0,0]
	s_delay_alu instid0(VALU_DEP_1)
	v_mov_b32_e32 v141, v137
	ds_load_2addr_b64 v[136:139], v130 offset0:57 offset1:58
	v_pk_add_f32 v[6:7], v[6:7], v[142:143] neg_lo:[0,1] neg_hi:[0,1]
	v_pk_add_f32 v[26:27], v[26:27], v[140:141] neg_lo:[0,1] neg_hi:[0,1]
	s_wait_dscnt 0x0
	v_pk_mul_f32 v[140:141], v[136:137], v[128:129] op_sel:[0,1]
	s_delay_alu instid0(VALU_DEP_1) | instskip(SKIP_1) | instid1(VALU_DEP_1)
	v_pk_fma_f32 v[142:143], v[136:137], v[126:127], v[140:141] op_sel:[0,0,1] op_sel_hi:[1,1,0] neg_lo:[0,0,1] neg_hi:[0,0,1]
	v_pk_fma_f32 v[136:137], v[136:137], v[126:127], v[140:141] op_sel:[0,0,1] op_sel_hi:[1,0,0]
	v_mov_b32_e32 v143, v137
	v_pk_mul_f32 v[136:137], v[138:139], v[128:129] op_sel:[0,1]
	s_delay_alu instid0(VALU_DEP_1) | instskip(SKIP_1) | instid1(VALU_DEP_1)
	v_pk_fma_f32 v[140:141], v[138:139], v[126:127], v[136:137] op_sel:[0,0,1] op_sel_hi:[1,1,0] neg_lo:[0,0,1] neg_hi:[0,0,1]
	v_pk_fma_f32 v[136:137], v[138:139], v[126:127], v[136:137] op_sel:[0,0,1] op_sel_hi:[1,0,0]
	v_mov_b32_e32 v141, v137
	ds_load_b64 v[136:137], v130 offset:472
	v_pk_add_f32 v[16:17], v[16:17], v[142:143] neg_lo:[0,1] neg_hi:[0,1]
	v_pk_add_f32 v[14:15], v[14:15], v[140:141] neg_lo:[0,1] neg_hi:[0,1]
	s_wait_dscnt 0x0
	v_pk_mul_f32 v[128:129], v[136:137], v[128:129] op_sel:[0,1]
	s_delay_alu instid0(VALU_DEP_1) | instskip(SKIP_1) | instid1(VALU_DEP_1)
	v_pk_fma_f32 v[138:139], v[136:137], v[126:127], v[128:129] op_sel:[0,0,1] op_sel_hi:[1,1,0] neg_lo:[0,0,1] neg_hi:[0,0,1]
	v_pk_fma_f32 v[126:127], v[136:137], v[126:127], v[128:129] op_sel:[0,0,1] op_sel_hi:[1,0,0]
	v_mov_b32_e32 v139, v127
	s_delay_alu instid0(VALU_DEP_1)
	v_pk_add_f32 v[124:125], v[124:125], v[138:139] neg_lo:[0,1] neg_hi:[0,1]
.LBB118_860:
	s_or_b32 exec_lo, exec_lo, s0
	v_lshl_add_u32 v126, v134, 3, v130
	s_barrier_signal -1
	s_barrier_wait -1
	ds_store_b64 v126, v[56:57]
	s_wait_dscnt 0x0
	s_barrier_signal -1
	s_barrier_wait -1
	ds_load_b64 v[126:127], v130 offset:328
	v_mov_b32_e32 v128, 41
	s_cmp_lt_i32 s18, 43
	s_cbranch_scc1 .LBB118_863
; %bb.861:
	v_add3_u32 v129, v131, 0, 0x150
	v_mov_b32_e32 v128, 41
	s_mov_b32 s0, 42
.LBB118_862:                            ; =>This Inner Loop Header: Depth=1
	ds_load_b64 v[136:137], v129
	s_wait_dscnt 0x1
	v_cmp_gt_f32_e32 vcc_lo, 0, v126
	v_cndmask_b32_e64 v138, v126, -v126, vcc_lo
	v_cmp_gt_f32_e32 vcc_lo, 0, v127
	v_cndmask_b32_e64 v140, v127, -v127, vcc_lo
	s_wait_dscnt 0x0
	v_cmp_gt_f32_e32 vcc_lo, 0, v136
	v_cndmask_b32_e64 v139, v136, -v136, vcc_lo
	v_cmp_gt_f32_e32 vcc_lo, 0, v137
	v_cndmask_b32_e64 v141, v137, -v137, vcc_lo
	s_delay_alu instid0(VALU_DEP_1) | instskip(NEXT) | instid1(VALU_DEP_1)
	v_pk_add_f32 v[138:139], v[138:139], v[140:141]
	v_cmp_lt_f32_e32 vcc_lo, v138, v139
	v_dual_cndmask_b32 v126, v126, v136 :: v_dual_add_nc_u32 v129, 8, v129
	v_cndmask_b32_e32 v127, v127, v137, vcc_lo
	v_cndmask_b32_e64 v128, v128, s0, vcc_lo
	s_add_co_i32 s0, s0, 1
	s_delay_alu instid0(SALU_CYCLE_1)
	s_cmp_lg_u32 s18, s0
	s_cbranch_scc1 .LBB118_862
.LBB118_863:
	s_wait_dscnt 0x0
	v_cmp_eq_f32_e32 vcc_lo, 0, v126
	v_cmp_eq_f32_e64 s0, 0, v127
	s_and_b32 s0, vcc_lo, s0
	s_delay_alu instid0(SALU_CYCLE_1) | instskip(NEXT) | instid1(SALU_CYCLE_1)
	s_and_saveexec_b32 s1, s0
	s_xor_b32 s0, exec_lo, s1
; %bb.864:
	v_cmp_ne_u32_e32 vcc_lo, 0, v132
	v_cndmask_b32_e32 v132, 42, v132, vcc_lo
; %bb.865:
	s_and_not1_saveexec_b32 s0, s0
	s_cbranch_execz .LBB118_871
; %bb.866:
	v_cmp_ngt_f32_e64 s1, |v126|, |v127|
	s_and_saveexec_b32 s12, s1
	s_delay_alu instid0(SALU_CYCLE_1)
	s_xor_b32 s1, exec_lo, s12
	s_cbranch_execz .LBB118_868
; %bb.867:
	v_div_scale_f32 v129, null, v127, v127, v126
	v_div_scale_f32 v137, vcc_lo, v126, v127, v126
	s_delay_alu instid0(VALU_DEP_2) | instskip(SKIP_1) | instid1(TRANS32_DEP_1)
	v_rcp_f32_e32 v135, v129
	v_nop
	v_fma_f32 v136, -v129, v135, 1.0
	s_delay_alu instid0(VALU_DEP_1) | instskip(NEXT) | instid1(VALU_DEP_1)
	v_fmac_f32_e32 v135, v136, v135
	v_mul_f32_e32 v136, v137, v135
	s_delay_alu instid0(VALU_DEP_1) | instskip(NEXT) | instid1(VALU_DEP_1)
	v_fma_f32 v138, -v129, v136, v137
	v_fmac_f32_e32 v136, v138, v135
	s_delay_alu instid0(VALU_DEP_1) | instskip(NEXT) | instid1(VALU_DEP_1)
	v_fma_f32 v129, -v129, v136, v137
	v_div_fmas_f32 v129, v129, v135, v136
	s_delay_alu instid0(VALU_DEP_1) | instskip(NEXT) | instid1(VALU_DEP_1)
	v_div_fixup_f32 v129, v129, v127, v126
	v_fmac_f32_e32 v127, v126, v129
	s_delay_alu instid0(VALU_DEP_1) | instskip(SKIP_1) | instid1(VALU_DEP_2)
	v_div_scale_f32 v126, null, v127, v127, 1.0
	v_div_scale_f32 v137, vcc_lo, 1.0, v127, 1.0
	v_rcp_f32_e32 v135, v126
	v_nop
	s_delay_alu instid0(TRANS32_DEP_1) | instskip(NEXT) | instid1(VALU_DEP_1)
	v_fma_f32 v136, -v126, v135, 1.0
	v_fmac_f32_e32 v135, v136, v135
	s_delay_alu instid0(VALU_DEP_1) | instskip(NEXT) | instid1(VALU_DEP_1)
	v_mul_f32_e32 v136, v137, v135
	v_fma_f32 v138, -v126, v136, v137
	s_delay_alu instid0(VALU_DEP_1) | instskip(NEXT) | instid1(VALU_DEP_1)
	v_fmac_f32_e32 v136, v138, v135
	v_fma_f32 v126, -v126, v136, v137
	s_delay_alu instid0(VALU_DEP_1) | instskip(NEXT) | instid1(VALU_DEP_1)
	v_div_fmas_f32 v126, v126, v135, v136
	v_div_fixup_f32 v127, v126, v127, 1.0
	s_delay_alu instid0(VALU_DEP_1)
	v_mul_f32_e32 v126, v129, v127
	v_xor_b32_e32 v127, 0x80000000, v127
.LBB118_868:
	s_and_not1_saveexec_b32 s1, s1
	s_cbranch_execz .LBB118_870
; %bb.869:
	s_delay_alu instid0(VALU_DEP_1) | instskip(SKIP_1) | instid1(VALU_DEP_2)
	v_div_scale_f32 v129, null, v126, v126, v127
	v_div_scale_f32 v137, vcc_lo, v127, v126, v127
	v_rcp_f32_e32 v135, v129
	v_nop
	s_delay_alu instid0(TRANS32_DEP_1) | instskip(NEXT) | instid1(VALU_DEP_1)
	v_fma_f32 v136, -v129, v135, 1.0
	v_fmac_f32_e32 v135, v136, v135
	s_delay_alu instid0(VALU_DEP_1) | instskip(NEXT) | instid1(VALU_DEP_1)
	v_mul_f32_e32 v136, v137, v135
	v_fma_f32 v138, -v129, v136, v137
	s_delay_alu instid0(VALU_DEP_1) | instskip(NEXT) | instid1(VALU_DEP_1)
	v_fmac_f32_e32 v136, v138, v135
	v_fma_f32 v129, -v129, v136, v137
	s_delay_alu instid0(VALU_DEP_1) | instskip(NEXT) | instid1(VALU_DEP_1)
	v_div_fmas_f32 v129, v129, v135, v136
	v_div_fixup_f32 v129, v129, v126, v127
	s_delay_alu instid0(VALU_DEP_1) | instskip(NEXT) | instid1(VALU_DEP_1)
	v_fmac_f32_e32 v126, v127, v129
	v_div_scale_f32 v127, null, v126, v126, 1.0
	s_delay_alu instid0(VALU_DEP_1) | instskip(SKIP_1) | instid1(TRANS32_DEP_1)
	v_rcp_f32_e32 v135, v127
	v_nop
	v_fma_f32 v136, -v127, v135, 1.0
	s_delay_alu instid0(VALU_DEP_1) | instskip(SKIP_1) | instid1(VALU_DEP_1)
	v_fmac_f32_e32 v135, v136, v135
	v_div_scale_f32 v136, vcc_lo, 1.0, v126, 1.0
	v_mul_f32_e32 v137, v136, v135
	s_delay_alu instid0(VALU_DEP_1) | instskip(NEXT) | instid1(VALU_DEP_1)
	v_fma_f32 v138, -v127, v137, v136
	v_fmac_f32_e32 v137, v138, v135
	s_delay_alu instid0(VALU_DEP_1) | instskip(NEXT) | instid1(VALU_DEP_1)
	v_fma_f32 v127, -v127, v137, v136
	v_div_fmas_f32 v127, v127, v135, v137
	s_delay_alu instid0(VALU_DEP_1) | instskip(NEXT) | instid1(VALU_DEP_1)
	v_div_fixup_f32 v126, v127, v126, 1.0
	v_mul_f32_e64 v127, v129, -v126
.LBB118_870:
	s_or_b32 exec_lo, exec_lo, s1
.LBB118_871:
	s_delay_alu instid0(SALU_CYCLE_1) | instskip(NEXT) | instid1(SALU_CYCLE_1)
	s_or_b32 exec_lo, exec_lo, s0
	s_mov_b32 s0, exec_lo
	v_cmpx_ne_u32_e64 v134, v128
	s_xor_b32 s0, exec_lo, s0
	s_cbranch_execz .LBB118_877
; %bb.872:
	s_mov_b32 s1, exec_lo
	v_cmpx_eq_u32_e32 41, v134
	s_cbranch_execz .LBB118_876
; %bb.873:
	v_cmp_ne_u32_e32 vcc_lo, 41, v128
	s_xor_b32 s12, s16, -1
	s_delay_alu instid0(SALU_CYCLE_1) | instskip(NEXT) | instid1(SALU_CYCLE_1)
	s_and_b32 s13, s12, vcc_lo
	s_and_saveexec_b32 s12, s13
	s_cbranch_execz .LBB118_875
; %bb.874:
	v_ashrrev_i32_e32 v129, 31, v128
	s_delay_alu instid0(VALU_DEP_1)
	v_lshl_add_u64 v[134:135], v[128:129], 2, v[4:5]
	s_clause 0x1
	global_load_b32 v129, v[134:135], off
	global_load_b32 v133, v[4:5], off offset:164
	s_wait_loadcnt 0x1
	global_store_b32 v[4:5], v129, off offset:164
	s_wait_loadcnt 0x0
	global_store_b32 v[134:135], v133, off
.LBB118_875:
	s_wait_xcnt 0x0
	s_or_b32 exec_lo, exec_lo, s12
	v_dual_mov_b32 v134, v128 :: v_dual_mov_b32 v133, v128
.LBB118_876:
	s_or_b32 exec_lo, exec_lo, s1
.LBB118_877:
	s_and_not1_saveexec_b32 s0, s0
	s_cbranch_execz .LBB118_879
; %bb.878:
	v_dual_mov_b32 v128, v58 :: v_dual_mov_b32 v129, v59
	v_dual_mov_b32 v134, v12 :: v_dual_mov_b32 v135, v13
	v_dual_mov_b32 v136, v54 :: v_dual_mov_b32 v137, v55
	v_dual_mov_b32 v138, v50 :: v_dual_mov_b32 v139, v51
	v_dual_mov_b32 v140, v52 :: v_dual_mov_b32 v141, v53
	v_dual_mov_b32 v142, v10 :: v_dual_mov_b32 v143, v11
	v_dual_mov_b32 v144, v46 :: v_dual_mov_b32 v145, v47
	v_dual_mov_b32 v146, v44 :: v_dual_mov_b32 v147, v45
	ds_store_2addr_b64 v130, v[128:129], v[134:135] offset0:42 offset1:43
	ds_store_2addr_b64 v130, v[136:137], v[138:139] offset0:44 offset1:45
	;; [unrolled: 1-line block ×4, first 2 shown]
	v_dual_mov_b32 v128, v48 :: v_dual_mov_b32 v129, v49
	v_dual_mov_b32 v136, v8 :: v_dual_mov_b32 v137, v9
	;; [unrolled: 1-line block ×9, first 2 shown]
	v_mov_b32_e32 v151, v15
	ds_store_2addr_b64 v130, v[128:129], v[136:137] offset0:50 offset1:51
	ds_store_2addr_b64 v130, v[138:139], v[140:141] offset0:52 offset1:53
	;; [unrolled: 1-line block ×5, first 2 shown]
.LBB118_879:
	s_or_b32 exec_lo, exec_lo, s0
	s_delay_alu instid0(SALU_CYCLE_1)
	s_mov_b32 s0, exec_lo
	s_wait_storecnt_dscnt 0x0
	s_barrier_signal -1
	s_barrier_wait -1
	v_cmpx_lt_i32_e32 41, v134
	s_cbranch_execz .LBB118_881
; %bb.880:
	v_pk_mul_f32 v[136:137], v[126:127], v[56:57] op_sel:[1,1] op_sel_hi:[0,1]
	s_delay_alu instid0(VALU_DEP_1)
	v_pk_fma_f32 v[128:129], v[126:127], v[56:57], v[136:137] op_sel_hi:[1,0,1] neg_lo:[0,0,1] neg_hi:[0,0,1]
	v_pk_fma_f32 v[126:127], v[126:127], v[56:57], v[136:137] op_sel_hi:[1,0,1]
	ds_load_2addr_b64 v[136:139], v130 offset0:42 offset1:43
	v_dual_mov_b32 v56, v128 :: v_dual_mov_b32 v57, v127
	s_wait_dscnt 0x0
	v_pk_mul_f32 v[140:141], v[136:137], v[126:127] op_sel:[0,1]
	s_delay_alu instid0(VALU_DEP_1) | instskip(SKIP_1) | instid1(VALU_DEP_1)
	v_pk_fma_f32 v[142:143], v[136:137], v[128:129], v[140:141] op_sel:[0,0,1] op_sel_hi:[1,1,0] neg_lo:[0,0,1] neg_hi:[0,0,1]
	v_pk_fma_f32 v[136:137], v[136:137], v[128:129], v[140:141] op_sel:[0,0,1] op_sel_hi:[1,0,0]
	v_mov_b32_e32 v143, v137
	v_pk_mul_f32 v[136:137], v[138:139], v[126:127] op_sel:[0,1]
	s_delay_alu instid0(VALU_DEP_1) | instskip(SKIP_1) | instid1(VALU_DEP_1)
	v_pk_fma_f32 v[140:141], v[138:139], v[128:129], v[136:137] op_sel:[0,0,1] op_sel_hi:[1,1,0] neg_lo:[0,0,1] neg_hi:[0,0,1]
	v_pk_fma_f32 v[136:137], v[138:139], v[128:129], v[136:137] op_sel:[0,0,1] op_sel_hi:[1,0,0]
	v_mov_b32_e32 v141, v137
	ds_load_2addr_b64 v[136:139], v130 offset0:44 offset1:45
	v_pk_add_f32 v[58:59], v[58:59], v[142:143] neg_lo:[0,1] neg_hi:[0,1]
	v_pk_add_f32 v[12:13], v[12:13], v[140:141] neg_lo:[0,1] neg_hi:[0,1]
	s_wait_dscnt 0x0
	v_pk_mul_f32 v[140:141], v[136:137], v[126:127] op_sel:[0,1]
	s_delay_alu instid0(VALU_DEP_1) | instskip(SKIP_2) | instid1(VALU_DEP_2)
	v_pk_fma_f32 v[142:143], v[136:137], v[128:129], v[140:141] op_sel:[0,0,1] op_sel_hi:[1,1,0] neg_lo:[0,0,1] neg_hi:[0,0,1]
	v_pk_fma_f32 v[136:137], v[136:137], v[128:129], v[140:141] op_sel:[0,0,1] op_sel_hi:[1,0,0]
	v_dual_mul_f32 v140, v139, v127 :: v_dual_mov_b32 v136, v139
	v_dual_mov_b32 v143, v137 :: v_dual_mov_b32 v137, v138
	s_delay_alu instid0(VALU_DEP_2) | instskip(SKIP_1) | instid1(VALU_DEP_3)
	v_pk_fma_f32 v[140:141], v[138:139], v[56:57], v[140:141] op_sel_hi:[1,1,0] neg_lo:[0,0,1] neg_hi:[0,0,1]
	v_mul_f32_e32 v138, v139, v128
	v_pk_add_f32 v[54:55], v[54:55], v[142:143] neg_lo:[0,1] neg_hi:[0,1]
	s_delay_alu instid0(VALU_DEP_2) | instskip(NEXT) | instid1(VALU_DEP_1)
	v_pk_fma_f32 v[136:137], v[136:137], v[56:57], v[138:139] op_sel_hi:[1,1,0]
	v_mov_b32_e32 v141, v137
	ds_load_2addr_b64 v[136:139], v130 offset0:46 offset1:47
	v_pk_add_f32 v[50:51], v[50:51], v[140:141] neg_lo:[0,1] neg_hi:[0,1]
	s_wait_dscnt 0x0
	v_pk_mul_f32 v[140:141], v[136:137], v[126:127] op_sel:[0,1]
	s_delay_alu instid0(VALU_DEP_1) | instskip(SKIP_1) | instid1(VALU_DEP_1)
	v_pk_fma_f32 v[142:143], v[136:137], v[128:129], v[140:141] op_sel:[0,0,1] op_sel_hi:[1,1,0] neg_lo:[0,0,1] neg_hi:[0,0,1]
	v_pk_fma_f32 v[136:137], v[136:137], v[128:129], v[140:141] op_sel:[0,0,1] op_sel_hi:[1,0,0]
	v_mov_b32_e32 v143, v137
	v_pk_mul_f32 v[136:137], v[138:139], v[126:127] op_sel:[0,1]
	s_delay_alu instid0(VALU_DEP_1) | instskip(SKIP_1) | instid1(VALU_DEP_1)
	v_pk_fma_f32 v[140:141], v[138:139], v[128:129], v[136:137] op_sel:[0,0,1] op_sel_hi:[1,1,0] neg_lo:[0,0,1] neg_hi:[0,0,1]
	v_pk_fma_f32 v[136:137], v[138:139], v[128:129], v[136:137] op_sel:[0,0,1] op_sel_hi:[1,0,0]
	v_mov_b32_e32 v141, v137
	ds_load_2addr_b64 v[136:139], v130 offset0:48 offset1:49
	v_pk_add_f32 v[52:53], v[52:53], v[142:143] neg_lo:[0,1] neg_hi:[0,1]
	v_pk_add_f32 v[10:11], v[10:11], v[140:141] neg_lo:[0,1] neg_hi:[0,1]
	s_wait_dscnt 0x0
	v_pk_mul_f32 v[140:141], v[136:137], v[126:127] op_sel:[0,1]
	s_delay_alu instid0(VALU_DEP_1) | instskip(SKIP_1) | instid1(VALU_DEP_1)
	v_pk_fma_f32 v[142:143], v[136:137], v[128:129], v[140:141] op_sel:[0,0,1] op_sel_hi:[1,1,0] neg_lo:[0,0,1] neg_hi:[0,0,1]
	v_pk_fma_f32 v[136:137], v[136:137], v[128:129], v[140:141] op_sel:[0,0,1] op_sel_hi:[1,0,0]
	v_mov_b32_e32 v143, v137
	v_pk_mul_f32 v[136:137], v[138:139], v[126:127] op_sel:[0,1]
	s_delay_alu instid0(VALU_DEP_1) | instskip(SKIP_1) | instid1(VALU_DEP_1)
	v_pk_fma_f32 v[140:141], v[138:139], v[128:129], v[136:137] op_sel:[0,0,1] op_sel_hi:[1,1,0] neg_lo:[0,0,1] neg_hi:[0,0,1]
	v_pk_fma_f32 v[136:137], v[138:139], v[128:129], v[136:137] op_sel:[0,0,1] op_sel_hi:[1,0,0]
	v_mov_b32_e32 v141, v137
	ds_load_2addr_b64 v[136:139], v130 offset0:50 offset1:51
	v_pk_add_f32 v[46:47], v[46:47], v[142:143] neg_lo:[0,1] neg_hi:[0,1]
	v_pk_add_f32 v[44:45], v[44:45], v[140:141] neg_lo:[0,1] neg_hi:[0,1]
	s_wait_dscnt 0x0
	v_dual_mul_f32 v140, v137, v127 :: v_dual_mul_f32 v142, v137, v128
	s_delay_alu instid0(VALU_DEP_1) | instskip(NEXT) | instid1(VALU_DEP_2)
	v_pk_fma_f32 v[140:141], v[136:137], v[56:57], v[140:141] op_sel_hi:[1,1,0] neg_lo:[0,0,1] neg_hi:[0,0,1]
	v_pk_fma_f32 v[136:137], v[136:137], v[56:57], v[142:143] op_sel:[1,0,0] op_sel_hi:[0,1,0]
	s_delay_alu instid0(VALU_DEP_1) | instskip(SKIP_1) | instid1(VALU_DEP_2)
	v_mov_b32_e32 v141, v137
	v_pk_mul_f32 v[136:137], v[138:139], v[126:127] op_sel:[0,1]
	v_pk_add_f32 v[48:49], v[48:49], v[140:141] neg_lo:[0,1] neg_hi:[0,1]
	s_delay_alu instid0(VALU_DEP_2) | instskip(SKIP_1) | instid1(VALU_DEP_1)
	v_pk_fma_f32 v[140:141], v[138:139], v[128:129], v[136:137] op_sel:[0,0,1] op_sel_hi:[1,1,0] neg_lo:[0,0,1] neg_hi:[0,0,1]
	v_pk_fma_f32 v[136:137], v[138:139], v[128:129], v[136:137] op_sel:[0,0,1] op_sel_hi:[1,0,0]
	v_mov_b32_e32 v141, v137
	ds_load_2addr_b64 v[136:139], v130 offset0:52 offset1:53
	v_pk_add_f32 v[8:9], v[8:9], v[140:141] neg_lo:[0,1] neg_hi:[0,1]
	s_wait_dscnt 0x0
	v_pk_mul_f32 v[140:141], v[136:137], v[126:127] op_sel:[0,1]
	s_delay_alu instid0(VALU_DEP_1) | instskip(SKIP_1) | instid1(VALU_DEP_1)
	v_pk_fma_f32 v[142:143], v[136:137], v[128:129], v[140:141] op_sel:[0,0,1] op_sel_hi:[1,1,0] neg_lo:[0,0,1] neg_hi:[0,0,1]
	v_pk_fma_f32 v[136:137], v[136:137], v[128:129], v[140:141] op_sel:[0,0,1] op_sel_hi:[1,0,0]
	v_mov_b32_e32 v143, v137
	v_pk_mul_f32 v[136:137], v[138:139], v[126:127] op_sel:[0,1]
	s_delay_alu instid0(VALU_DEP_2) | instskip(NEXT) | instid1(VALU_DEP_2)
	v_pk_add_f32 v[34:35], v[34:35], v[142:143] neg_lo:[0,1] neg_hi:[0,1]
	v_pk_fma_f32 v[140:141], v[138:139], v[128:129], v[136:137] op_sel:[0,0,1] op_sel_hi:[1,1,0] neg_lo:[0,0,1] neg_hi:[0,0,1]
	v_pk_fma_f32 v[136:137], v[138:139], v[128:129], v[136:137] op_sel:[0,0,1] op_sel_hi:[1,0,0]
	s_delay_alu instid0(VALU_DEP_1) | instskip(SKIP_4) | instid1(VALU_DEP_1)
	v_mov_b32_e32 v141, v137
	ds_load_2addr_b64 v[136:139], v130 offset0:54 offset1:55
	v_pk_add_f32 v[28:29], v[28:29], v[140:141] neg_lo:[0,1] neg_hi:[0,1]
	s_wait_dscnt 0x0
	v_pk_mul_f32 v[140:141], v[136:137], v[126:127] op_sel:[0,1]
	v_pk_fma_f32 v[142:143], v[136:137], v[128:129], v[140:141] op_sel:[0,0,1] op_sel_hi:[1,1,0] neg_lo:[0,0,1] neg_hi:[0,0,1]
	v_pk_fma_f32 v[136:137], v[136:137], v[128:129], v[140:141] op_sel:[0,0,1] op_sel_hi:[1,0,0]
	v_dual_mul_f32 v140, v139, v127 :: v_dual_mov_b32 v136, v139
	s_delay_alu instid0(VALU_DEP_2) | instskip(NEXT) | instid1(VALU_DEP_2)
	v_dual_mov_b32 v143, v137 :: v_dual_mov_b32 v137, v138
	v_pk_fma_f32 v[140:141], v[138:139], v[56:57], v[140:141] op_sel_hi:[1,1,0] neg_lo:[0,0,1] neg_hi:[0,0,1]
	v_mul_f32_e32 v138, v139, v128
	s_delay_alu instid0(VALU_DEP_3) | instskip(NEXT) | instid1(VALU_DEP_2)
	v_pk_add_f32 v[32:33], v[32:33], v[142:143] neg_lo:[0,1] neg_hi:[0,1]
	v_pk_fma_f32 v[136:137], v[136:137], v[56:57], v[138:139] op_sel_hi:[1,1,0]
	s_delay_alu instid0(VALU_DEP_1) | instskip(SKIP_4) | instid1(VALU_DEP_1)
	v_mov_b32_e32 v141, v137
	ds_load_2addr_b64 v[136:139], v130 offset0:56 offset1:57
	v_pk_add_f32 v[6:7], v[6:7], v[140:141] neg_lo:[0,1] neg_hi:[0,1]
	s_wait_dscnt 0x0
	v_pk_mul_f32 v[140:141], v[136:137], v[126:127] op_sel:[0,1]
	v_pk_fma_f32 v[142:143], v[136:137], v[128:129], v[140:141] op_sel:[0,0,1] op_sel_hi:[1,1,0] neg_lo:[0,0,1] neg_hi:[0,0,1]
	v_pk_fma_f32 v[136:137], v[136:137], v[128:129], v[140:141] op_sel:[0,0,1] op_sel_hi:[1,0,0]
	s_delay_alu instid0(VALU_DEP_1) | instskip(SKIP_1) | instid1(VALU_DEP_1)
	v_mov_b32_e32 v143, v137
	v_pk_mul_f32 v[136:137], v[138:139], v[126:127] op_sel:[0,1]
	v_pk_fma_f32 v[140:141], v[138:139], v[128:129], v[136:137] op_sel:[0,0,1] op_sel_hi:[1,1,0] neg_lo:[0,0,1] neg_hi:[0,0,1]
	v_pk_fma_f32 v[136:137], v[138:139], v[128:129], v[136:137] op_sel:[0,0,1] op_sel_hi:[1,0,0]
	s_delay_alu instid0(VALU_DEP_1)
	v_mov_b32_e32 v141, v137
	ds_load_2addr_b64 v[136:139], v130 offset0:58 offset1:59
	v_pk_add_f32 v[26:27], v[26:27], v[142:143] neg_lo:[0,1] neg_hi:[0,1]
	v_pk_add_f32 v[16:17], v[16:17], v[140:141] neg_lo:[0,1] neg_hi:[0,1]
	s_wait_dscnt 0x0
	v_pk_mul_f32 v[140:141], v[136:137], v[126:127] op_sel:[0,1]
	v_mul_f32_e32 v126, v139, v127
	s_delay_alu instid0(VALU_DEP_2) | instskip(SKIP_2) | instid1(VALU_DEP_4)
	v_pk_fma_f32 v[142:143], v[136:137], v[128:129], v[140:141] op_sel:[0,0,1] op_sel_hi:[1,1,0] neg_lo:[0,0,1] neg_hi:[0,0,1]
	v_pk_fma_f32 v[136:137], v[136:137], v[128:129], v[140:141] op_sel:[0,0,1] op_sel_hi:[1,0,0]
	v_dual_mov_b32 v136, v139 :: v_dual_mul_f32 v128, v139, v128
	v_pk_fma_f32 v[126:127], v[138:139], v[56:57], v[126:127] op_sel_hi:[1,1,0] neg_lo:[0,0,1] neg_hi:[0,0,1]
	s_delay_alu instid0(VALU_DEP_3) | instskip(NEXT) | instid1(VALU_DEP_1)
	v_dual_mov_b32 v143, v137 :: v_dual_mov_b32 v137, v138
	v_pk_add_f32 v[14:15], v[14:15], v[142:143] neg_lo:[0,1] neg_hi:[0,1]
	s_delay_alu instid0(VALU_DEP_2) | instskip(NEXT) | instid1(VALU_DEP_1)
	v_pk_fma_f32 v[128:129], v[136:137], v[56:57], v[128:129] op_sel_hi:[1,1,0]
	v_mov_b32_e32 v127, v129
	s_delay_alu instid0(VALU_DEP_1)
	v_pk_add_f32 v[124:125], v[124:125], v[126:127] neg_lo:[0,1] neg_hi:[0,1]
.LBB118_881:
	s_or_b32 exec_lo, exec_lo, s0
	v_lshl_add_u32 v126, v134, 3, v130
	s_barrier_signal -1
	s_barrier_wait -1
	ds_store_b64 v126, v[58:59]
	s_wait_dscnt 0x0
	s_barrier_signal -1
	s_barrier_wait -1
	ds_load_b64 v[126:127], v130 offset:336
	v_mov_b32_e32 v128, 42
	s_cmp_lt_i32 s18, 44
	s_cbranch_scc1 .LBB118_884
; %bb.882:
	v_add3_u32 v129, v131, 0, 0x158
	v_mov_b32_e32 v128, 42
	s_mov_b32 s0, 43
.LBB118_883:                            ; =>This Inner Loop Header: Depth=1
	ds_load_b64 v[136:137], v129
	s_wait_dscnt 0x1
	v_cmp_gt_f32_e32 vcc_lo, 0, v126
	v_cndmask_b32_e64 v138, v126, -v126, vcc_lo
	v_cmp_gt_f32_e32 vcc_lo, 0, v127
	v_cndmask_b32_e64 v140, v127, -v127, vcc_lo
	s_wait_dscnt 0x0
	v_cmp_gt_f32_e32 vcc_lo, 0, v136
	v_cndmask_b32_e64 v139, v136, -v136, vcc_lo
	v_cmp_gt_f32_e32 vcc_lo, 0, v137
	v_cndmask_b32_e64 v141, v137, -v137, vcc_lo
	s_delay_alu instid0(VALU_DEP_1) | instskip(NEXT) | instid1(VALU_DEP_1)
	v_pk_add_f32 v[138:139], v[138:139], v[140:141]
	v_cmp_lt_f32_e32 vcc_lo, v138, v139
	v_dual_cndmask_b32 v126, v126, v136 :: v_dual_add_nc_u32 v129, 8, v129
	v_cndmask_b32_e32 v127, v127, v137, vcc_lo
	v_cndmask_b32_e64 v128, v128, s0, vcc_lo
	s_add_co_i32 s0, s0, 1
	s_delay_alu instid0(SALU_CYCLE_1)
	s_cmp_lg_u32 s18, s0
	s_cbranch_scc1 .LBB118_883
.LBB118_884:
	s_wait_dscnt 0x0
	v_cmp_eq_f32_e32 vcc_lo, 0, v126
	v_cmp_eq_f32_e64 s0, 0, v127
	s_and_b32 s0, vcc_lo, s0
	s_delay_alu instid0(SALU_CYCLE_1) | instskip(NEXT) | instid1(SALU_CYCLE_1)
	s_and_saveexec_b32 s1, s0
	s_xor_b32 s0, exec_lo, s1
; %bb.885:
	v_cmp_ne_u32_e32 vcc_lo, 0, v132
	v_cndmask_b32_e32 v132, 43, v132, vcc_lo
; %bb.886:
	s_and_not1_saveexec_b32 s0, s0
	s_cbranch_execz .LBB118_892
; %bb.887:
	v_cmp_ngt_f32_e64 s1, |v126|, |v127|
	s_and_saveexec_b32 s12, s1
	s_delay_alu instid0(SALU_CYCLE_1)
	s_xor_b32 s1, exec_lo, s12
	s_cbranch_execz .LBB118_889
; %bb.888:
	v_div_scale_f32 v129, null, v127, v127, v126
	v_div_scale_f32 v137, vcc_lo, v126, v127, v126
	s_delay_alu instid0(VALU_DEP_2) | instskip(SKIP_1) | instid1(TRANS32_DEP_1)
	v_rcp_f32_e32 v135, v129
	v_nop
	v_fma_f32 v136, -v129, v135, 1.0
	s_delay_alu instid0(VALU_DEP_1) | instskip(NEXT) | instid1(VALU_DEP_1)
	v_fmac_f32_e32 v135, v136, v135
	v_mul_f32_e32 v136, v137, v135
	s_delay_alu instid0(VALU_DEP_1) | instskip(NEXT) | instid1(VALU_DEP_1)
	v_fma_f32 v138, -v129, v136, v137
	v_fmac_f32_e32 v136, v138, v135
	s_delay_alu instid0(VALU_DEP_1) | instskip(NEXT) | instid1(VALU_DEP_1)
	v_fma_f32 v129, -v129, v136, v137
	v_div_fmas_f32 v129, v129, v135, v136
	s_delay_alu instid0(VALU_DEP_1) | instskip(NEXT) | instid1(VALU_DEP_1)
	v_div_fixup_f32 v129, v129, v127, v126
	v_fmac_f32_e32 v127, v126, v129
	s_delay_alu instid0(VALU_DEP_1) | instskip(SKIP_1) | instid1(VALU_DEP_2)
	v_div_scale_f32 v126, null, v127, v127, 1.0
	v_div_scale_f32 v137, vcc_lo, 1.0, v127, 1.0
	v_rcp_f32_e32 v135, v126
	v_nop
	s_delay_alu instid0(TRANS32_DEP_1) | instskip(NEXT) | instid1(VALU_DEP_1)
	v_fma_f32 v136, -v126, v135, 1.0
	v_fmac_f32_e32 v135, v136, v135
	s_delay_alu instid0(VALU_DEP_1) | instskip(NEXT) | instid1(VALU_DEP_1)
	v_mul_f32_e32 v136, v137, v135
	v_fma_f32 v138, -v126, v136, v137
	s_delay_alu instid0(VALU_DEP_1) | instskip(NEXT) | instid1(VALU_DEP_1)
	v_fmac_f32_e32 v136, v138, v135
	v_fma_f32 v126, -v126, v136, v137
	s_delay_alu instid0(VALU_DEP_1) | instskip(NEXT) | instid1(VALU_DEP_1)
	v_div_fmas_f32 v126, v126, v135, v136
	v_div_fixup_f32 v127, v126, v127, 1.0
	s_delay_alu instid0(VALU_DEP_1)
	v_mul_f32_e32 v126, v129, v127
	v_xor_b32_e32 v127, 0x80000000, v127
.LBB118_889:
	s_and_not1_saveexec_b32 s1, s1
	s_cbranch_execz .LBB118_891
; %bb.890:
	s_delay_alu instid0(VALU_DEP_1) | instskip(SKIP_1) | instid1(VALU_DEP_2)
	v_div_scale_f32 v129, null, v126, v126, v127
	v_div_scale_f32 v137, vcc_lo, v127, v126, v127
	v_rcp_f32_e32 v135, v129
	v_nop
	s_delay_alu instid0(TRANS32_DEP_1) | instskip(NEXT) | instid1(VALU_DEP_1)
	v_fma_f32 v136, -v129, v135, 1.0
	v_fmac_f32_e32 v135, v136, v135
	s_delay_alu instid0(VALU_DEP_1) | instskip(NEXT) | instid1(VALU_DEP_1)
	v_mul_f32_e32 v136, v137, v135
	v_fma_f32 v138, -v129, v136, v137
	s_delay_alu instid0(VALU_DEP_1) | instskip(NEXT) | instid1(VALU_DEP_1)
	v_fmac_f32_e32 v136, v138, v135
	v_fma_f32 v129, -v129, v136, v137
	s_delay_alu instid0(VALU_DEP_1) | instskip(NEXT) | instid1(VALU_DEP_1)
	v_div_fmas_f32 v129, v129, v135, v136
	v_div_fixup_f32 v129, v129, v126, v127
	s_delay_alu instid0(VALU_DEP_1) | instskip(NEXT) | instid1(VALU_DEP_1)
	v_fmac_f32_e32 v126, v127, v129
	v_div_scale_f32 v127, null, v126, v126, 1.0
	s_delay_alu instid0(VALU_DEP_1) | instskip(SKIP_1) | instid1(TRANS32_DEP_1)
	v_rcp_f32_e32 v135, v127
	v_nop
	v_fma_f32 v136, -v127, v135, 1.0
	s_delay_alu instid0(VALU_DEP_1) | instskip(SKIP_1) | instid1(VALU_DEP_1)
	v_fmac_f32_e32 v135, v136, v135
	v_div_scale_f32 v136, vcc_lo, 1.0, v126, 1.0
	v_mul_f32_e32 v137, v136, v135
	s_delay_alu instid0(VALU_DEP_1) | instskip(NEXT) | instid1(VALU_DEP_1)
	v_fma_f32 v138, -v127, v137, v136
	v_fmac_f32_e32 v137, v138, v135
	s_delay_alu instid0(VALU_DEP_1) | instskip(NEXT) | instid1(VALU_DEP_1)
	v_fma_f32 v127, -v127, v137, v136
	v_div_fmas_f32 v127, v127, v135, v137
	s_delay_alu instid0(VALU_DEP_1) | instskip(NEXT) | instid1(VALU_DEP_1)
	v_div_fixup_f32 v126, v127, v126, 1.0
	v_mul_f32_e64 v127, v129, -v126
.LBB118_891:
	s_or_b32 exec_lo, exec_lo, s1
.LBB118_892:
	s_delay_alu instid0(SALU_CYCLE_1) | instskip(NEXT) | instid1(SALU_CYCLE_1)
	s_or_b32 exec_lo, exec_lo, s0
	s_mov_b32 s0, exec_lo
	v_cmpx_ne_u32_e64 v134, v128
	s_xor_b32 s0, exec_lo, s0
	s_cbranch_execz .LBB118_898
; %bb.893:
	s_mov_b32 s1, exec_lo
	v_cmpx_eq_u32_e32 42, v134
	s_cbranch_execz .LBB118_897
; %bb.894:
	v_cmp_ne_u32_e32 vcc_lo, 42, v128
	s_xor_b32 s12, s16, -1
	s_delay_alu instid0(SALU_CYCLE_1) | instskip(NEXT) | instid1(SALU_CYCLE_1)
	s_and_b32 s13, s12, vcc_lo
	s_and_saveexec_b32 s12, s13
	s_cbranch_execz .LBB118_896
; %bb.895:
	v_ashrrev_i32_e32 v129, 31, v128
	s_delay_alu instid0(VALU_DEP_1)
	v_lshl_add_u64 v[134:135], v[128:129], 2, v[4:5]
	s_clause 0x1
	global_load_b32 v129, v[134:135], off
	global_load_b32 v133, v[4:5], off offset:168
	s_wait_loadcnt 0x1
	global_store_b32 v[4:5], v129, off offset:168
	s_wait_loadcnt 0x0
	global_store_b32 v[134:135], v133, off
.LBB118_896:
	s_wait_xcnt 0x0
	s_or_b32 exec_lo, exec_lo, s12
	v_dual_mov_b32 v134, v128 :: v_dual_mov_b32 v133, v128
.LBB118_897:
	s_or_b32 exec_lo, exec_lo, s1
.LBB118_898:
	s_and_not1_saveexec_b32 s0, s0
	s_cbranch_execz .LBB118_900
; %bb.899:
	v_mov_b32_e32 v134, 42
	ds_store_2addr_b64 v130, v[12:13], v[54:55] offset0:43 offset1:44
	ds_store_2addr_b64 v130, v[50:51], v[52:53] offset0:45 offset1:46
	;; [unrolled: 1-line block ×8, first 2 shown]
	ds_store_b64 v130, v[124:125] offset:472
.LBB118_900:
	s_or_b32 exec_lo, exec_lo, s0
	s_delay_alu instid0(SALU_CYCLE_1)
	s_mov_b32 s0, exec_lo
	s_wait_storecnt_dscnt 0x0
	s_barrier_signal -1
	s_barrier_wait -1
	v_cmpx_lt_i32_e32 42, v134
	s_cbranch_execz .LBB118_902
; %bb.901:
	v_pk_mul_f32 v[136:137], v[126:127], v[58:59] op_sel:[1,1] op_sel_hi:[0,1]
	s_delay_alu instid0(VALU_DEP_1)
	v_pk_fma_f32 v[128:129], v[126:127], v[58:59], v[136:137] op_sel_hi:[1,0,1] neg_lo:[0,0,1] neg_hi:[0,0,1]
	v_pk_fma_f32 v[126:127], v[126:127], v[58:59], v[136:137] op_sel_hi:[1,0,1]
	ds_load_2addr_b64 v[136:139], v130 offset0:43 offset1:44
	v_dual_mov_b32 v58, v128 :: v_dual_mov_b32 v59, v127
	s_wait_dscnt 0x0
	v_pk_mul_f32 v[140:141], v[136:137], v[126:127] op_sel:[0,1]
	s_delay_alu instid0(VALU_DEP_1) | instskip(SKIP_1) | instid1(VALU_DEP_1)
	v_pk_fma_f32 v[142:143], v[136:137], v[128:129], v[140:141] op_sel:[0,0,1] op_sel_hi:[1,1,0] neg_lo:[0,0,1] neg_hi:[0,0,1]
	v_pk_fma_f32 v[136:137], v[136:137], v[128:129], v[140:141] op_sel:[0,0,1] op_sel_hi:[1,0,0]
	v_mov_b32_e32 v143, v137
	v_pk_mul_f32 v[136:137], v[138:139], v[126:127] op_sel:[0,1]
	s_delay_alu instid0(VALU_DEP_1) | instskip(SKIP_1) | instid1(VALU_DEP_1)
	v_pk_fma_f32 v[140:141], v[138:139], v[128:129], v[136:137] op_sel:[0,0,1] op_sel_hi:[1,1,0] neg_lo:[0,0,1] neg_hi:[0,0,1]
	v_pk_fma_f32 v[136:137], v[138:139], v[128:129], v[136:137] op_sel:[0,0,1] op_sel_hi:[1,0,0]
	v_mov_b32_e32 v141, v137
	ds_load_2addr_b64 v[136:139], v130 offset0:45 offset1:46
	v_pk_add_f32 v[12:13], v[12:13], v[142:143] neg_lo:[0,1] neg_hi:[0,1]
	v_pk_add_f32 v[54:55], v[54:55], v[140:141] neg_lo:[0,1] neg_hi:[0,1]
	s_wait_dscnt 0x0
	v_pk_mul_f32 v[140:141], v[136:137], v[126:127] op_sel:[0,1]
	s_delay_alu instid0(VALU_DEP_1) | instskip(SKIP_2) | instid1(VALU_DEP_2)
	v_pk_fma_f32 v[142:143], v[136:137], v[128:129], v[140:141] op_sel:[0,0,1] op_sel_hi:[1,1,0] neg_lo:[0,0,1] neg_hi:[0,0,1]
	v_pk_fma_f32 v[136:137], v[136:137], v[128:129], v[140:141] op_sel:[0,0,1] op_sel_hi:[1,0,0]
	v_dual_mul_f32 v140, v139, v127 :: v_dual_mov_b32 v136, v139
	v_dual_mov_b32 v143, v137 :: v_dual_mov_b32 v137, v138
	s_delay_alu instid0(VALU_DEP_2) | instskip(SKIP_1) | instid1(VALU_DEP_3)
	v_pk_fma_f32 v[140:141], v[138:139], v[58:59], v[140:141] op_sel_hi:[1,1,0] neg_lo:[0,0,1] neg_hi:[0,0,1]
	v_mul_f32_e32 v138, v139, v128
	v_pk_add_f32 v[50:51], v[50:51], v[142:143] neg_lo:[0,1] neg_hi:[0,1]
	s_delay_alu instid0(VALU_DEP_2) | instskip(NEXT) | instid1(VALU_DEP_1)
	v_pk_fma_f32 v[136:137], v[136:137], v[58:59], v[138:139] op_sel_hi:[1,1,0]
	v_mov_b32_e32 v141, v137
	ds_load_2addr_b64 v[136:139], v130 offset0:47 offset1:48
	v_pk_add_f32 v[52:53], v[52:53], v[140:141] neg_lo:[0,1] neg_hi:[0,1]
	s_wait_dscnt 0x0
	v_pk_mul_f32 v[140:141], v[136:137], v[126:127] op_sel:[0,1]
	s_delay_alu instid0(VALU_DEP_1) | instskip(SKIP_1) | instid1(VALU_DEP_1)
	v_pk_fma_f32 v[142:143], v[136:137], v[128:129], v[140:141] op_sel:[0,0,1] op_sel_hi:[1,1,0] neg_lo:[0,0,1] neg_hi:[0,0,1]
	v_pk_fma_f32 v[136:137], v[136:137], v[128:129], v[140:141] op_sel:[0,0,1] op_sel_hi:[1,0,0]
	v_mov_b32_e32 v143, v137
	v_pk_mul_f32 v[136:137], v[138:139], v[126:127] op_sel:[0,1]
	s_delay_alu instid0(VALU_DEP_1) | instskip(SKIP_1) | instid1(VALU_DEP_1)
	v_pk_fma_f32 v[140:141], v[138:139], v[128:129], v[136:137] op_sel:[0,0,1] op_sel_hi:[1,1,0] neg_lo:[0,0,1] neg_hi:[0,0,1]
	v_pk_fma_f32 v[136:137], v[138:139], v[128:129], v[136:137] op_sel:[0,0,1] op_sel_hi:[1,0,0]
	v_mov_b32_e32 v141, v137
	ds_load_2addr_b64 v[136:139], v130 offset0:49 offset1:50
	v_pk_add_f32 v[10:11], v[10:11], v[142:143] neg_lo:[0,1] neg_hi:[0,1]
	v_pk_add_f32 v[46:47], v[46:47], v[140:141] neg_lo:[0,1] neg_hi:[0,1]
	s_wait_dscnt 0x0
	v_pk_mul_f32 v[140:141], v[136:137], v[126:127] op_sel:[0,1]
	s_delay_alu instid0(VALU_DEP_1) | instskip(SKIP_1) | instid1(VALU_DEP_1)
	v_pk_fma_f32 v[142:143], v[136:137], v[128:129], v[140:141] op_sel:[0,0,1] op_sel_hi:[1,1,0] neg_lo:[0,0,1] neg_hi:[0,0,1]
	v_pk_fma_f32 v[136:137], v[136:137], v[128:129], v[140:141] op_sel:[0,0,1] op_sel_hi:[1,0,0]
	v_mov_b32_e32 v143, v137
	v_pk_mul_f32 v[136:137], v[138:139], v[126:127] op_sel:[0,1]
	s_delay_alu instid0(VALU_DEP_1) | instskip(SKIP_1) | instid1(VALU_DEP_1)
	v_pk_fma_f32 v[140:141], v[138:139], v[128:129], v[136:137] op_sel:[0,0,1] op_sel_hi:[1,1,0] neg_lo:[0,0,1] neg_hi:[0,0,1]
	v_pk_fma_f32 v[136:137], v[138:139], v[128:129], v[136:137] op_sel:[0,0,1] op_sel_hi:[1,0,0]
	v_mov_b32_e32 v141, v137
	ds_load_2addr_b64 v[136:139], v130 offset0:51 offset1:52
	v_pk_add_f32 v[44:45], v[44:45], v[142:143] neg_lo:[0,1] neg_hi:[0,1]
	v_pk_add_f32 v[48:49], v[48:49], v[140:141] neg_lo:[0,1] neg_hi:[0,1]
	s_wait_dscnt 0x0
	v_dual_mul_f32 v140, v137, v127 :: v_dual_mul_f32 v142, v137, v128
	s_delay_alu instid0(VALU_DEP_1) | instskip(NEXT) | instid1(VALU_DEP_2)
	v_pk_fma_f32 v[140:141], v[136:137], v[58:59], v[140:141] op_sel_hi:[1,1,0] neg_lo:[0,0,1] neg_hi:[0,0,1]
	v_pk_fma_f32 v[136:137], v[136:137], v[58:59], v[142:143] op_sel:[1,0,0] op_sel_hi:[0,1,0]
	s_delay_alu instid0(VALU_DEP_1) | instskip(SKIP_1) | instid1(VALU_DEP_2)
	v_mov_b32_e32 v141, v137
	v_pk_mul_f32 v[136:137], v[138:139], v[126:127] op_sel:[0,1]
	v_pk_add_f32 v[8:9], v[8:9], v[140:141] neg_lo:[0,1] neg_hi:[0,1]
	s_delay_alu instid0(VALU_DEP_2) | instskip(SKIP_1) | instid1(VALU_DEP_1)
	v_pk_fma_f32 v[140:141], v[138:139], v[128:129], v[136:137] op_sel:[0,0,1] op_sel_hi:[1,1,0] neg_lo:[0,0,1] neg_hi:[0,0,1]
	v_pk_fma_f32 v[136:137], v[138:139], v[128:129], v[136:137] op_sel:[0,0,1] op_sel_hi:[1,0,0]
	v_mov_b32_e32 v141, v137
	ds_load_2addr_b64 v[136:139], v130 offset0:53 offset1:54
	v_pk_add_f32 v[34:35], v[34:35], v[140:141] neg_lo:[0,1] neg_hi:[0,1]
	s_wait_dscnt 0x0
	v_pk_mul_f32 v[140:141], v[136:137], v[126:127] op_sel:[0,1]
	s_delay_alu instid0(VALU_DEP_1) | instskip(SKIP_1) | instid1(VALU_DEP_1)
	v_pk_fma_f32 v[142:143], v[136:137], v[128:129], v[140:141] op_sel:[0,0,1] op_sel_hi:[1,1,0] neg_lo:[0,0,1] neg_hi:[0,0,1]
	v_pk_fma_f32 v[136:137], v[136:137], v[128:129], v[140:141] op_sel:[0,0,1] op_sel_hi:[1,0,0]
	v_mov_b32_e32 v143, v137
	v_pk_mul_f32 v[136:137], v[138:139], v[126:127] op_sel:[0,1]
	s_delay_alu instid0(VALU_DEP_2) | instskip(NEXT) | instid1(VALU_DEP_2)
	v_pk_add_f32 v[28:29], v[28:29], v[142:143] neg_lo:[0,1] neg_hi:[0,1]
	v_pk_fma_f32 v[140:141], v[138:139], v[128:129], v[136:137] op_sel:[0,0,1] op_sel_hi:[1,1,0] neg_lo:[0,0,1] neg_hi:[0,0,1]
	v_pk_fma_f32 v[136:137], v[138:139], v[128:129], v[136:137] op_sel:[0,0,1] op_sel_hi:[1,0,0]
	s_delay_alu instid0(VALU_DEP_1) | instskip(SKIP_4) | instid1(VALU_DEP_1)
	v_mov_b32_e32 v141, v137
	ds_load_2addr_b64 v[136:139], v130 offset0:55 offset1:56
	v_pk_add_f32 v[32:33], v[32:33], v[140:141] neg_lo:[0,1] neg_hi:[0,1]
	s_wait_dscnt 0x0
	v_pk_mul_f32 v[140:141], v[136:137], v[126:127] op_sel:[0,1]
	v_pk_fma_f32 v[142:143], v[136:137], v[128:129], v[140:141] op_sel:[0,0,1] op_sel_hi:[1,1,0] neg_lo:[0,0,1] neg_hi:[0,0,1]
	v_pk_fma_f32 v[136:137], v[136:137], v[128:129], v[140:141] op_sel:[0,0,1] op_sel_hi:[1,0,0]
	v_dual_mul_f32 v140, v139, v127 :: v_dual_mov_b32 v136, v139
	s_delay_alu instid0(VALU_DEP_2) | instskip(NEXT) | instid1(VALU_DEP_2)
	v_dual_mov_b32 v143, v137 :: v_dual_mov_b32 v137, v138
	v_pk_fma_f32 v[140:141], v[138:139], v[58:59], v[140:141] op_sel_hi:[1,1,0] neg_lo:[0,0,1] neg_hi:[0,0,1]
	v_mul_f32_e32 v138, v139, v128
	s_delay_alu instid0(VALU_DEP_3) | instskip(NEXT) | instid1(VALU_DEP_2)
	v_pk_add_f32 v[6:7], v[6:7], v[142:143] neg_lo:[0,1] neg_hi:[0,1]
	v_pk_fma_f32 v[136:137], v[136:137], v[58:59], v[138:139] op_sel_hi:[1,1,0]
	s_delay_alu instid0(VALU_DEP_1) | instskip(SKIP_4) | instid1(VALU_DEP_1)
	v_mov_b32_e32 v141, v137
	ds_load_2addr_b64 v[136:139], v130 offset0:57 offset1:58
	v_pk_add_f32 v[26:27], v[26:27], v[140:141] neg_lo:[0,1] neg_hi:[0,1]
	s_wait_dscnt 0x0
	v_pk_mul_f32 v[140:141], v[136:137], v[126:127] op_sel:[0,1]
	v_pk_fma_f32 v[142:143], v[136:137], v[128:129], v[140:141] op_sel:[0,0,1] op_sel_hi:[1,1,0] neg_lo:[0,0,1] neg_hi:[0,0,1]
	v_pk_fma_f32 v[136:137], v[136:137], v[128:129], v[140:141] op_sel:[0,0,1] op_sel_hi:[1,0,0]
	s_delay_alu instid0(VALU_DEP_1) | instskip(SKIP_1) | instid1(VALU_DEP_1)
	v_mov_b32_e32 v143, v137
	v_pk_mul_f32 v[136:137], v[138:139], v[126:127] op_sel:[0,1]
	v_pk_fma_f32 v[140:141], v[138:139], v[128:129], v[136:137] op_sel:[0,0,1] op_sel_hi:[1,1,0] neg_lo:[0,0,1] neg_hi:[0,0,1]
	v_pk_fma_f32 v[136:137], v[138:139], v[128:129], v[136:137] op_sel:[0,0,1] op_sel_hi:[1,0,0]
	s_delay_alu instid0(VALU_DEP_1)
	v_mov_b32_e32 v141, v137
	ds_load_b64 v[136:137], v130 offset:472
	v_pk_add_f32 v[16:17], v[16:17], v[142:143] neg_lo:[0,1] neg_hi:[0,1]
	v_pk_add_f32 v[14:15], v[14:15], v[140:141] neg_lo:[0,1] neg_hi:[0,1]
	s_wait_dscnt 0x0
	v_pk_mul_f32 v[126:127], v[136:137], v[126:127] op_sel:[0,1]
	s_delay_alu instid0(VALU_DEP_1) | instskip(SKIP_1) | instid1(VALU_DEP_1)
	v_pk_fma_f32 v[138:139], v[136:137], v[128:129], v[126:127] op_sel:[0,0,1] op_sel_hi:[1,1,0] neg_lo:[0,0,1] neg_hi:[0,0,1]
	v_pk_fma_f32 v[126:127], v[136:137], v[128:129], v[126:127] op_sel:[0,0,1] op_sel_hi:[1,0,0]
	v_mov_b32_e32 v139, v127
	s_delay_alu instid0(VALU_DEP_1)
	v_pk_add_f32 v[124:125], v[124:125], v[138:139] neg_lo:[0,1] neg_hi:[0,1]
.LBB118_902:
	s_or_b32 exec_lo, exec_lo, s0
	v_lshl_add_u32 v126, v134, 3, v130
	s_barrier_signal -1
	s_barrier_wait -1
	ds_store_b64 v126, v[12:13]
	s_wait_dscnt 0x0
	s_barrier_signal -1
	s_barrier_wait -1
	ds_load_b64 v[126:127], v130 offset:344
	v_mov_b32_e32 v128, 43
	s_cmp_lt_i32 s18, 45
	s_cbranch_scc1 .LBB118_905
; %bb.903:
	v_add3_u32 v129, v131, 0, 0x160
	v_mov_b32_e32 v128, 43
	s_mov_b32 s0, 44
.LBB118_904:                            ; =>This Inner Loop Header: Depth=1
	ds_load_b64 v[136:137], v129
	s_wait_dscnt 0x1
	v_cmp_gt_f32_e32 vcc_lo, 0, v126
	v_cndmask_b32_e64 v138, v126, -v126, vcc_lo
	v_cmp_gt_f32_e32 vcc_lo, 0, v127
	v_cndmask_b32_e64 v140, v127, -v127, vcc_lo
	s_wait_dscnt 0x0
	v_cmp_gt_f32_e32 vcc_lo, 0, v136
	v_cndmask_b32_e64 v139, v136, -v136, vcc_lo
	v_cmp_gt_f32_e32 vcc_lo, 0, v137
	v_cndmask_b32_e64 v141, v137, -v137, vcc_lo
	s_delay_alu instid0(VALU_DEP_1) | instskip(NEXT) | instid1(VALU_DEP_1)
	v_pk_add_f32 v[138:139], v[138:139], v[140:141]
	v_cmp_lt_f32_e32 vcc_lo, v138, v139
	v_dual_cndmask_b32 v126, v126, v136 :: v_dual_add_nc_u32 v129, 8, v129
	v_cndmask_b32_e32 v127, v127, v137, vcc_lo
	v_cndmask_b32_e64 v128, v128, s0, vcc_lo
	s_add_co_i32 s0, s0, 1
	s_delay_alu instid0(SALU_CYCLE_1)
	s_cmp_lg_u32 s18, s0
	s_cbranch_scc1 .LBB118_904
.LBB118_905:
	s_wait_dscnt 0x0
	v_cmp_eq_f32_e32 vcc_lo, 0, v126
	v_cmp_eq_f32_e64 s0, 0, v127
	s_and_b32 s0, vcc_lo, s0
	s_delay_alu instid0(SALU_CYCLE_1) | instskip(NEXT) | instid1(SALU_CYCLE_1)
	s_and_saveexec_b32 s1, s0
	s_xor_b32 s0, exec_lo, s1
; %bb.906:
	v_cmp_ne_u32_e32 vcc_lo, 0, v132
	v_cndmask_b32_e32 v132, 44, v132, vcc_lo
; %bb.907:
	s_and_not1_saveexec_b32 s0, s0
	s_cbranch_execz .LBB118_913
; %bb.908:
	v_cmp_ngt_f32_e64 s1, |v126|, |v127|
	s_and_saveexec_b32 s12, s1
	s_delay_alu instid0(SALU_CYCLE_1)
	s_xor_b32 s1, exec_lo, s12
	s_cbranch_execz .LBB118_910
; %bb.909:
	v_div_scale_f32 v129, null, v127, v127, v126
	v_div_scale_f32 v137, vcc_lo, v126, v127, v126
	s_delay_alu instid0(VALU_DEP_2) | instskip(SKIP_1) | instid1(TRANS32_DEP_1)
	v_rcp_f32_e32 v135, v129
	v_nop
	v_fma_f32 v136, -v129, v135, 1.0
	s_delay_alu instid0(VALU_DEP_1) | instskip(NEXT) | instid1(VALU_DEP_1)
	v_fmac_f32_e32 v135, v136, v135
	v_mul_f32_e32 v136, v137, v135
	s_delay_alu instid0(VALU_DEP_1) | instskip(NEXT) | instid1(VALU_DEP_1)
	v_fma_f32 v138, -v129, v136, v137
	v_fmac_f32_e32 v136, v138, v135
	s_delay_alu instid0(VALU_DEP_1) | instskip(NEXT) | instid1(VALU_DEP_1)
	v_fma_f32 v129, -v129, v136, v137
	v_div_fmas_f32 v129, v129, v135, v136
	s_delay_alu instid0(VALU_DEP_1) | instskip(NEXT) | instid1(VALU_DEP_1)
	v_div_fixup_f32 v129, v129, v127, v126
	v_fmac_f32_e32 v127, v126, v129
	s_delay_alu instid0(VALU_DEP_1) | instskip(SKIP_1) | instid1(VALU_DEP_2)
	v_div_scale_f32 v126, null, v127, v127, 1.0
	v_div_scale_f32 v137, vcc_lo, 1.0, v127, 1.0
	v_rcp_f32_e32 v135, v126
	v_nop
	s_delay_alu instid0(TRANS32_DEP_1) | instskip(NEXT) | instid1(VALU_DEP_1)
	v_fma_f32 v136, -v126, v135, 1.0
	v_fmac_f32_e32 v135, v136, v135
	s_delay_alu instid0(VALU_DEP_1) | instskip(NEXT) | instid1(VALU_DEP_1)
	v_mul_f32_e32 v136, v137, v135
	v_fma_f32 v138, -v126, v136, v137
	s_delay_alu instid0(VALU_DEP_1) | instskip(NEXT) | instid1(VALU_DEP_1)
	v_fmac_f32_e32 v136, v138, v135
	v_fma_f32 v126, -v126, v136, v137
	s_delay_alu instid0(VALU_DEP_1) | instskip(NEXT) | instid1(VALU_DEP_1)
	v_div_fmas_f32 v126, v126, v135, v136
	v_div_fixup_f32 v127, v126, v127, 1.0
	s_delay_alu instid0(VALU_DEP_1)
	v_mul_f32_e32 v126, v129, v127
	v_xor_b32_e32 v127, 0x80000000, v127
.LBB118_910:
	s_and_not1_saveexec_b32 s1, s1
	s_cbranch_execz .LBB118_912
; %bb.911:
	s_delay_alu instid0(VALU_DEP_1) | instskip(SKIP_1) | instid1(VALU_DEP_2)
	v_div_scale_f32 v129, null, v126, v126, v127
	v_div_scale_f32 v137, vcc_lo, v127, v126, v127
	v_rcp_f32_e32 v135, v129
	v_nop
	s_delay_alu instid0(TRANS32_DEP_1) | instskip(NEXT) | instid1(VALU_DEP_1)
	v_fma_f32 v136, -v129, v135, 1.0
	v_fmac_f32_e32 v135, v136, v135
	s_delay_alu instid0(VALU_DEP_1) | instskip(NEXT) | instid1(VALU_DEP_1)
	v_mul_f32_e32 v136, v137, v135
	v_fma_f32 v138, -v129, v136, v137
	s_delay_alu instid0(VALU_DEP_1) | instskip(NEXT) | instid1(VALU_DEP_1)
	v_fmac_f32_e32 v136, v138, v135
	v_fma_f32 v129, -v129, v136, v137
	s_delay_alu instid0(VALU_DEP_1) | instskip(NEXT) | instid1(VALU_DEP_1)
	v_div_fmas_f32 v129, v129, v135, v136
	v_div_fixup_f32 v129, v129, v126, v127
	s_delay_alu instid0(VALU_DEP_1) | instskip(NEXT) | instid1(VALU_DEP_1)
	v_fmac_f32_e32 v126, v127, v129
	v_div_scale_f32 v127, null, v126, v126, 1.0
	s_delay_alu instid0(VALU_DEP_1) | instskip(SKIP_1) | instid1(TRANS32_DEP_1)
	v_rcp_f32_e32 v135, v127
	v_nop
	v_fma_f32 v136, -v127, v135, 1.0
	s_delay_alu instid0(VALU_DEP_1) | instskip(SKIP_1) | instid1(VALU_DEP_1)
	v_fmac_f32_e32 v135, v136, v135
	v_div_scale_f32 v136, vcc_lo, 1.0, v126, 1.0
	v_mul_f32_e32 v137, v136, v135
	s_delay_alu instid0(VALU_DEP_1) | instskip(NEXT) | instid1(VALU_DEP_1)
	v_fma_f32 v138, -v127, v137, v136
	v_fmac_f32_e32 v137, v138, v135
	s_delay_alu instid0(VALU_DEP_1) | instskip(NEXT) | instid1(VALU_DEP_1)
	v_fma_f32 v127, -v127, v137, v136
	v_div_fmas_f32 v127, v127, v135, v137
	s_delay_alu instid0(VALU_DEP_1) | instskip(NEXT) | instid1(VALU_DEP_1)
	v_div_fixup_f32 v126, v127, v126, 1.0
	v_mul_f32_e64 v127, v129, -v126
.LBB118_912:
	s_or_b32 exec_lo, exec_lo, s1
.LBB118_913:
	s_delay_alu instid0(SALU_CYCLE_1) | instskip(NEXT) | instid1(SALU_CYCLE_1)
	s_or_b32 exec_lo, exec_lo, s0
	s_mov_b32 s0, exec_lo
	v_cmpx_ne_u32_e64 v134, v128
	s_xor_b32 s0, exec_lo, s0
	s_cbranch_execz .LBB118_919
; %bb.914:
	s_mov_b32 s1, exec_lo
	v_cmpx_eq_u32_e32 43, v134
	s_cbranch_execz .LBB118_918
; %bb.915:
	v_cmp_ne_u32_e32 vcc_lo, 43, v128
	s_xor_b32 s12, s16, -1
	s_delay_alu instid0(SALU_CYCLE_1) | instskip(NEXT) | instid1(SALU_CYCLE_1)
	s_and_b32 s13, s12, vcc_lo
	s_and_saveexec_b32 s12, s13
	s_cbranch_execz .LBB118_917
; %bb.916:
	v_ashrrev_i32_e32 v129, 31, v128
	s_delay_alu instid0(VALU_DEP_1)
	v_lshl_add_u64 v[134:135], v[128:129], 2, v[4:5]
	s_clause 0x1
	global_load_b32 v129, v[134:135], off
	global_load_b32 v133, v[4:5], off offset:172
	s_wait_loadcnt 0x1
	global_store_b32 v[4:5], v129, off offset:172
	s_wait_loadcnt 0x0
	global_store_b32 v[134:135], v133, off
.LBB118_917:
	s_wait_xcnt 0x0
	s_or_b32 exec_lo, exec_lo, s12
	v_dual_mov_b32 v134, v128 :: v_dual_mov_b32 v133, v128
.LBB118_918:
	s_or_b32 exec_lo, exec_lo, s1
.LBB118_919:
	s_and_not1_saveexec_b32 s0, s0
	s_cbranch_execz .LBB118_921
; %bb.920:
	v_dual_mov_b32 v128, v54 :: v_dual_mov_b32 v129, v55
	v_dual_mov_b32 v134, v50 :: v_dual_mov_b32 v135, v51
	;; [unrolled: 1-line block ×8, first 2 shown]
	ds_store_2addr_b64 v130, v[128:129], v[134:135] offset0:44 offset1:45
	ds_store_2addr_b64 v130, v[136:137], v[138:139] offset0:46 offset1:47
	;; [unrolled: 1-line block ×4, first 2 shown]
	v_dual_mov_b32 v128, v34 :: v_dual_mov_b32 v129, v35
	v_dual_mov_b32 v136, v28 :: v_dual_mov_b32 v137, v29
	;; [unrolled: 1-line block ×7, first 2 shown]
	v_mov_b32_e32 v147, v15
	ds_store_2addr_b64 v130, v[128:129], v[136:137] offset0:52 offset1:53
	ds_store_2addr_b64 v130, v[138:139], v[140:141] offset0:54 offset1:55
	;; [unrolled: 1-line block ×4, first 2 shown]
.LBB118_921:
	s_or_b32 exec_lo, exec_lo, s0
	s_delay_alu instid0(SALU_CYCLE_1)
	s_mov_b32 s0, exec_lo
	s_wait_storecnt_dscnt 0x0
	s_barrier_signal -1
	s_barrier_wait -1
	v_cmpx_lt_i32_e32 43, v134
	s_cbranch_execz .LBB118_923
; %bb.922:
	v_pk_mul_f32 v[136:137], v[126:127], v[12:13] op_sel:[1,1] op_sel_hi:[0,1]
	s_delay_alu instid0(VALU_DEP_1)
	v_pk_fma_f32 v[128:129], v[126:127], v[12:13], v[136:137] op_sel_hi:[1,0,1] neg_lo:[0,0,1] neg_hi:[0,0,1]
	v_pk_fma_f32 v[126:127], v[126:127], v[12:13], v[136:137] op_sel_hi:[1,0,1]
	ds_load_2addr_b64 v[136:139], v130 offset0:44 offset1:45
	v_dual_mov_b32 v12, v128 :: v_dual_mov_b32 v13, v127
	s_wait_dscnt 0x0
	v_pk_mul_f32 v[140:141], v[136:137], v[126:127] op_sel:[0,1]
	s_delay_alu instid0(VALU_DEP_1) | instskip(SKIP_1) | instid1(VALU_DEP_1)
	v_pk_fma_f32 v[142:143], v[136:137], v[128:129], v[140:141] op_sel:[0,0,1] op_sel_hi:[1,1,0] neg_lo:[0,0,1] neg_hi:[0,0,1]
	v_pk_fma_f32 v[136:137], v[136:137], v[128:129], v[140:141] op_sel:[0,0,1] op_sel_hi:[1,0,0]
	v_mov_b32_e32 v143, v137
	v_pk_mul_f32 v[136:137], v[138:139], v[126:127] op_sel:[0,1]
	s_delay_alu instid0(VALU_DEP_1) | instskip(SKIP_1) | instid1(VALU_DEP_1)
	v_pk_fma_f32 v[140:141], v[138:139], v[128:129], v[136:137] op_sel:[0,0,1] op_sel_hi:[1,1,0] neg_lo:[0,0,1] neg_hi:[0,0,1]
	v_pk_fma_f32 v[136:137], v[138:139], v[128:129], v[136:137] op_sel:[0,0,1] op_sel_hi:[1,0,0]
	v_mov_b32_e32 v141, v137
	ds_load_2addr_b64 v[136:139], v130 offset0:46 offset1:47
	v_pk_add_f32 v[54:55], v[54:55], v[142:143] neg_lo:[0,1] neg_hi:[0,1]
	v_pk_add_f32 v[50:51], v[50:51], v[140:141] neg_lo:[0,1] neg_hi:[0,1]
	s_wait_dscnt 0x0
	v_pk_mul_f32 v[140:141], v[136:137], v[126:127] op_sel:[0,1]
	s_delay_alu instid0(VALU_DEP_1) | instskip(SKIP_2) | instid1(VALU_DEP_2)
	v_pk_fma_f32 v[142:143], v[136:137], v[128:129], v[140:141] op_sel:[0,0,1] op_sel_hi:[1,1,0] neg_lo:[0,0,1] neg_hi:[0,0,1]
	v_pk_fma_f32 v[136:137], v[136:137], v[128:129], v[140:141] op_sel:[0,0,1] op_sel_hi:[1,0,0]
	v_dual_mul_f32 v140, v139, v127 :: v_dual_mov_b32 v136, v139
	v_dual_mov_b32 v143, v137 :: v_dual_mov_b32 v137, v138
	s_delay_alu instid0(VALU_DEP_2) | instskip(SKIP_1) | instid1(VALU_DEP_3)
	v_pk_fma_f32 v[140:141], v[138:139], v[12:13], v[140:141] op_sel_hi:[1,1,0] neg_lo:[0,0,1] neg_hi:[0,0,1]
	v_mul_f32_e32 v138, v139, v128
	v_pk_add_f32 v[52:53], v[52:53], v[142:143] neg_lo:[0,1] neg_hi:[0,1]
	s_delay_alu instid0(VALU_DEP_2) | instskip(NEXT) | instid1(VALU_DEP_1)
	v_pk_fma_f32 v[136:137], v[136:137], v[12:13], v[138:139] op_sel_hi:[1,1,0]
	v_mov_b32_e32 v141, v137
	ds_load_2addr_b64 v[136:139], v130 offset0:48 offset1:49
	v_pk_add_f32 v[10:11], v[10:11], v[140:141] neg_lo:[0,1] neg_hi:[0,1]
	s_wait_dscnt 0x0
	v_pk_mul_f32 v[140:141], v[136:137], v[126:127] op_sel:[0,1]
	s_delay_alu instid0(VALU_DEP_1) | instskip(SKIP_1) | instid1(VALU_DEP_1)
	v_pk_fma_f32 v[142:143], v[136:137], v[128:129], v[140:141] op_sel:[0,0,1] op_sel_hi:[1,1,0] neg_lo:[0,0,1] neg_hi:[0,0,1]
	v_pk_fma_f32 v[136:137], v[136:137], v[128:129], v[140:141] op_sel:[0,0,1] op_sel_hi:[1,0,0]
	v_mov_b32_e32 v143, v137
	v_pk_mul_f32 v[136:137], v[138:139], v[126:127] op_sel:[0,1]
	s_delay_alu instid0(VALU_DEP_1) | instskip(SKIP_1) | instid1(VALU_DEP_1)
	v_pk_fma_f32 v[140:141], v[138:139], v[128:129], v[136:137] op_sel:[0,0,1] op_sel_hi:[1,1,0] neg_lo:[0,0,1] neg_hi:[0,0,1]
	v_pk_fma_f32 v[136:137], v[138:139], v[128:129], v[136:137] op_sel:[0,0,1] op_sel_hi:[1,0,0]
	v_mov_b32_e32 v141, v137
	ds_load_2addr_b64 v[136:139], v130 offset0:50 offset1:51
	v_pk_add_f32 v[46:47], v[46:47], v[142:143] neg_lo:[0,1] neg_hi:[0,1]
	v_pk_add_f32 v[44:45], v[44:45], v[140:141] neg_lo:[0,1] neg_hi:[0,1]
	s_wait_dscnt 0x0
	v_pk_mul_f32 v[140:141], v[136:137], v[126:127] op_sel:[0,1]
	s_delay_alu instid0(VALU_DEP_1) | instskip(SKIP_1) | instid1(VALU_DEP_1)
	v_pk_fma_f32 v[142:143], v[136:137], v[128:129], v[140:141] op_sel:[0,0,1] op_sel_hi:[1,1,0] neg_lo:[0,0,1] neg_hi:[0,0,1]
	v_pk_fma_f32 v[136:137], v[136:137], v[128:129], v[140:141] op_sel:[0,0,1] op_sel_hi:[1,0,0]
	v_mov_b32_e32 v143, v137
	v_pk_mul_f32 v[136:137], v[138:139], v[126:127] op_sel:[0,1]
	s_delay_alu instid0(VALU_DEP_1) | instskip(SKIP_1) | instid1(VALU_DEP_1)
	v_pk_fma_f32 v[140:141], v[138:139], v[128:129], v[136:137] op_sel:[0,0,1] op_sel_hi:[1,1,0] neg_lo:[0,0,1] neg_hi:[0,0,1]
	v_pk_fma_f32 v[136:137], v[138:139], v[128:129], v[136:137] op_sel:[0,0,1] op_sel_hi:[1,0,0]
	v_mov_b32_e32 v141, v137
	ds_load_2addr_b64 v[136:139], v130 offset0:52 offset1:53
	v_pk_add_f32 v[48:49], v[48:49], v[142:143] neg_lo:[0,1] neg_hi:[0,1]
	v_pk_add_f32 v[8:9], v[8:9], v[140:141] neg_lo:[0,1] neg_hi:[0,1]
	s_wait_dscnt 0x0
	v_dual_mul_f32 v140, v137, v127 :: v_dual_mul_f32 v142, v137, v128
	s_delay_alu instid0(VALU_DEP_1) | instskip(NEXT) | instid1(VALU_DEP_2)
	v_pk_fma_f32 v[140:141], v[136:137], v[12:13], v[140:141] op_sel_hi:[1,1,0] neg_lo:[0,0,1] neg_hi:[0,0,1]
	v_pk_fma_f32 v[136:137], v[136:137], v[12:13], v[142:143] op_sel:[1,0,0] op_sel_hi:[0,1,0]
	s_delay_alu instid0(VALU_DEP_1) | instskip(SKIP_1) | instid1(VALU_DEP_2)
	v_mov_b32_e32 v141, v137
	v_pk_mul_f32 v[136:137], v[138:139], v[126:127] op_sel:[0,1]
	v_pk_add_f32 v[34:35], v[34:35], v[140:141] neg_lo:[0,1] neg_hi:[0,1]
	s_delay_alu instid0(VALU_DEP_2) | instskip(SKIP_1) | instid1(VALU_DEP_1)
	v_pk_fma_f32 v[140:141], v[138:139], v[128:129], v[136:137] op_sel:[0,0,1] op_sel_hi:[1,1,0] neg_lo:[0,0,1] neg_hi:[0,0,1]
	v_pk_fma_f32 v[136:137], v[138:139], v[128:129], v[136:137] op_sel:[0,0,1] op_sel_hi:[1,0,0]
	v_mov_b32_e32 v141, v137
	ds_load_2addr_b64 v[136:139], v130 offset0:54 offset1:55
	v_pk_add_f32 v[28:29], v[28:29], v[140:141] neg_lo:[0,1] neg_hi:[0,1]
	s_wait_dscnt 0x0
	v_pk_mul_f32 v[140:141], v[136:137], v[126:127] op_sel:[0,1]
	s_delay_alu instid0(VALU_DEP_1) | instskip(SKIP_1) | instid1(VALU_DEP_1)
	v_pk_fma_f32 v[142:143], v[136:137], v[128:129], v[140:141] op_sel:[0,0,1] op_sel_hi:[1,1,0] neg_lo:[0,0,1] neg_hi:[0,0,1]
	v_pk_fma_f32 v[136:137], v[136:137], v[128:129], v[140:141] op_sel:[0,0,1] op_sel_hi:[1,0,0]
	v_mov_b32_e32 v143, v137
	v_pk_mul_f32 v[136:137], v[138:139], v[126:127] op_sel:[0,1]
	s_delay_alu instid0(VALU_DEP_2) | instskip(NEXT) | instid1(VALU_DEP_2)
	v_pk_add_f32 v[32:33], v[32:33], v[142:143] neg_lo:[0,1] neg_hi:[0,1]
	v_pk_fma_f32 v[140:141], v[138:139], v[128:129], v[136:137] op_sel:[0,0,1] op_sel_hi:[1,1,0] neg_lo:[0,0,1] neg_hi:[0,0,1]
	v_pk_fma_f32 v[136:137], v[138:139], v[128:129], v[136:137] op_sel:[0,0,1] op_sel_hi:[1,0,0]
	s_delay_alu instid0(VALU_DEP_1) | instskip(SKIP_4) | instid1(VALU_DEP_1)
	v_mov_b32_e32 v141, v137
	ds_load_2addr_b64 v[136:139], v130 offset0:56 offset1:57
	v_pk_add_f32 v[6:7], v[6:7], v[140:141] neg_lo:[0,1] neg_hi:[0,1]
	s_wait_dscnt 0x0
	v_pk_mul_f32 v[140:141], v[136:137], v[126:127] op_sel:[0,1]
	v_pk_fma_f32 v[142:143], v[136:137], v[128:129], v[140:141] op_sel:[0,0,1] op_sel_hi:[1,1,0] neg_lo:[0,0,1] neg_hi:[0,0,1]
	v_pk_fma_f32 v[136:137], v[136:137], v[128:129], v[140:141] op_sel:[0,0,1] op_sel_hi:[1,0,0]
	v_dual_mul_f32 v140, v139, v127 :: v_dual_mov_b32 v136, v139
	s_delay_alu instid0(VALU_DEP_2) | instskip(NEXT) | instid1(VALU_DEP_2)
	v_dual_mov_b32 v143, v137 :: v_dual_mov_b32 v137, v138
	v_pk_fma_f32 v[140:141], v[138:139], v[12:13], v[140:141] op_sel_hi:[1,1,0] neg_lo:[0,0,1] neg_hi:[0,0,1]
	v_mul_f32_e32 v138, v139, v128
	s_delay_alu instid0(VALU_DEP_3) | instskip(NEXT) | instid1(VALU_DEP_2)
	v_pk_add_f32 v[26:27], v[26:27], v[142:143] neg_lo:[0,1] neg_hi:[0,1]
	v_pk_fma_f32 v[136:137], v[136:137], v[12:13], v[138:139] op_sel_hi:[1,1,0]
	s_delay_alu instid0(VALU_DEP_1)
	v_mov_b32_e32 v141, v137
	ds_load_2addr_b64 v[136:139], v130 offset0:58 offset1:59
	v_pk_add_f32 v[16:17], v[16:17], v[140:141] neg_lo:[0,1] neg_hi:[0,1]
	s_wait_dscnt 0x0
	v_pk_mul_f32 v[140:141], v[136:137], v[126:127] op_sel:[0,1]
	v_pk_mul_f32 v[126:127], v[138:139], v[126:127] op_sel:[0,1]
	s_delay_alu instid0(VALU_DEP_2) | instskip(SKIP_1) | instid1(VALU_DEP_1)
	v_pk_fma_f32 v[142:143], v[136:137], v[128:129], v[140:141] op_sel:[0,0,1] op_sel_hi:[1,1,0] neg_lo:[0,0,1] neg_hi:[0,0,1]
	v_pk_fma_f32 v[136:137], v[136:137], v[128:129], v[140:141] op_sel:[0,0,1] op_sel_hi:[1,0,0]
	v_mov_b32_e32 v143, v137
	s_delay_alu instid0(VALU_DEP_4) | instskip(SKIP_1) | instid1(VALU_DEP_1)
	v_pk_fma_f32 v[136:137], v[138:139], v[128:129], v[126:127] op_sel:[0,0,1] op_sel_hi:[1,1,0] neg_lo:[0,0,1] neg_hi:[0,0,1]
	v_pk_fma_f32 v[126:127], v[138:139], v[128:129], v[126:127] op_sel:[0,0,1] op_sel_hi:[1,0,0]
	v_mov_b32_e32 v137, v127
	s_delay_alu instid0(VALU_DEP_4) | instskip(NEXT) | instid1(VALU_DEP_2)
	v_pk_add_f32 v[14:15], v[14:15], v[142:143] neg_lo:[0,1] neg_hi:[0,1]
	v_pk_add_f32 v[124:125], v[124:125], v[136:137] neg_lo:[0,1] neg_hi:[0,1]
.LBB118_923:
	s_or_b32 exec_lo, exec_lo, s0
	v_lshl_add_u32 v126, v134, 3, v130
	s_barrier_signal -1
	s_barrier_wait -1
	ds_store_b64 v126, v[54:55]
	s_wait_dscnt 0x0
	s_barrier_signal -1
	s_barrier_wait -1
	ds_load_b64 v[126:127], v130 offset:352
	v_mov_b32_e32 v128, 44
	s_cmp_lt_i32 s18, 46
	s_cbranch_scc1 .LBB118_926
; %bb.924:
	v_add3_u32 v129, v131, 0, 0x168
	v_mov_b32_e32 v128, 44
	s_mov_b32 s0, 45
.LBB118_925:                            ; =>This Inner Loop Header: Depth=1
	ds_load_b64 v[136:137], v129
	s_wait_dscnt 0x1
	v_cmp_gt_f32_e32 vcc_lo, 0, v126
	v_cndmask_b32_e64 v138, v126, -v126, vcc_lo
	v_cmp_gt_f32_e32 vcc_lo, 0, v127
	v_cndmask_b32_e64 v140, v127, -v127, vcc_lo
	s_wait_dscnt 0x0
	v_cmp_gt_f32_e32 vcc_lo, 0, v136
	v_cndmask_b32_e64 v139, v136, -v136, vcc_lo
	v_cmp_gt_f32_e32 vcc_lo, 0, v137
	v_cndmask_b32_e64 v141, v137, -v137, vcc_lo
	s_delay_alu instid0(VALU_DEP_1) | instskip(NEXT) | instid1(VALU_DEP_1)
	v_pk_add_f32 v[138:139], v[138:139], v[140:141]
	v_cmp_lt_f32_e32 vcc_lo, v138, v139
	v_dual_cndmask_b32 v126, v126, v136 :: v_dual_add_nc_u32 v129, 8, v129
	v_cndmask_b32_e32 v127, v127, v137, vcc_lo
	v_cndmask_b32_e64 v128, v128, s0, vcc_lo
	s_add_co_i32 s0, s0, 1
	s_delay_alu instid0(SALU_CYCLE_1)
	s_cmp_lg_u32 s18, s0
	s_cbranch_scc1 .LBB118_925
.LBB118_926:
	s_wait_dscnt 0x0
	v_cmp_eq_f32_e32 vcc_lo, 0, v126
	v_cmp_eq_f32_e64 s0, 0, v127
	s_and_b32 s0, vcc_lo, s0
	s_delay_alu instid0(SALU_CYCLE_1) | instskip(NEXT) | instid1(SALU_CYCLE_1)
	s_and_saveexec_b32 s1, s0
	s_xor_b32 s0, exec_lo, s1
; %bb.927:
	v_cmp_ne_u32_e32 vcc_lo, 0, v132
	v_cndmask_b32_e32 v132, 45, v132, vcc_lo
; %bb.928:
	s_and_not1_saveexec_b32 s0, s0
	s_cbranch_execz .LBB118_934
; %bb.929:
	v_cmp_ngt_f32_e64 s1, |v126|, |v127|
	s_and_saveexec_b32 s12, s1
	s_delay_alu instid0(SALU_CYCLE_1)
	s_xor_b32 s1, exec_lo, s12
	s_cbranch_execz .LBB118_931
; %bb.930:
	v_div_scale_f32 v129, null, v127, v127, v126
	v_div_scale_f32 v137, vcc_lo, v126, v127, v126
	s_delay_alu instid0(VALU_DEP_2) | instskip(SKIP_1) | instid1(TRANS32_DEP_1)
	v_rcp_f32_e32 v135, v129
	v_nop
	v_fma_f32 v136, -v129, v135, 1.0
	s_delay_alu instid0(VALU_DEP_1) | instskip(NEXT) | instid1(VALU_DEP_1)
	v_fmac_f32_e32 v135, v136, v135
	v_mul_f32_e32 v136, v137, v135
	s_delay_alu instid0(VALU_DEP_1) | instskip(NEXT) | instid1(VALU_DEP_1)
	v_fma_f32 v138, -v129, v136, v137
	v_fmac_f32_e32 v136, v138, v135
	s_delay_alu instid0(VALU_DEP_1) | instskip(NEXT) | instid1(VALU_DEP_1)
	v_fma_f32 v129, -v129, v136, v137
	v_div_fmas_f32 v129, v129, v135, v136
	s_delay_alu instid0(VALU_DEP_1) | instskip(NEXT) | instid1(VALU_DEP_1)
	v_div_fixup_f32 v129, v129, v127, v126
	v_fmac_f32_e32 v127, v126, v129
	s_delay_alu instid0(VALU_DEP_1) | instskip(SKIP_1) | instid1(VALU_DEP_2)
	v_div_scale_f32 v126, null, v127, v127, 1.0
	v_div_scale_f32 v137, vcc_lo, 1.0, v127, 1.0
	v_rcp_f32_e32 v135, v126
	v_nop
	s_delay_alu instid0(TRANS32_DEP_1) | instskip(NEXT) | instid1(VALU_DEP_1)
	v_fma_f32 v136, -v126, v135, 1.0
	v_fmac_f32_e32 v135, v136, v135
	s_delay_alu instid0(VALU_DEP_1) | instskip(NEXT) | instid1(VALU_DEP_1)
	v_mul_f32_e32 v136, v137, v135
	v_fma_f32 v138, -v126, v136, v137
	s_delay_alu instid0(VALU_DEP_1) | instskip(NEXT) | instid1(VALU_DEP_1)
	v_fmac_f32_e32 v136, v138, v135
	v_fma_f32 v126, -v126, v136, v137
	s_delay_alu instid0(VALU_DEP_1) | instskip(NEXT) | instid1(VALU_DEP_1)
	v_div_fmas_f32 v126, v126, v135, v136
	v_div_fixup_f32 v127, v126, v127, 1.0
	s_delay_alu instid0(VALU_DEP_1)
	v_mul_f32_e32 v126, v129, v127
	v_xor_b32_e32 v127, 0x80000000, v127
.LBB118_931:
	s_and_not1_saveexec_b32 s1, s1
	s_cbranch_execz .LBB118_933
; %bb.932:
	s_delay_alu instid0(VALU_DEP_1) | instskip(SKIP_1) | instid1(VALU_DEP_2)
	v_div_scale_f32 v129, null, v126, v126, v127
	v_div_scale_f32 v137, vcc_lo, v127, v126, v127
	v_rcp_f32_e32 v135, v129
	v_nop
	s_delay_alu instid0(TRANS32_DEP_1) | instskip(NEXT) | instid1(VALU_DEP_1)
	v_fma_f32 v136, -v129, v135, 1.0
	v_fmac_f32_e32 v135, v136, v135
	s_delay_alu instid0(VALU_DEP_1) | instskip(NEXT) | instid1(VALU_DEP_1)
	v_mul_f32_e32 v136, v137, v135
	v_fma_f32 v138, -v129, v136, v137
	s_delay_alu instid0(VALU_DEP_1) | instskip(NEXT) | instid1(VALU_DEP_1)
	v_fmac_f32_e32 v136, v138, v135
	v_fma_f32 v129, -v129, v136, v137
	s_delay_alu instid0(VALU_DEP_1) | instskip(NEXT) | instid1(VALU_DEP_1)
	v_div_fmas_f32 v129, v129, v135, v136
	v_div_fixup_f32 v129, v129, v126, v127
	s_delay_alu instid0(VALU_DEP_1) | instskip(NEXT) | instid1(VALU_DEP_1)
	v_fmac_f32_e32 v126, v127, v129
	v_div_scale_f32 v127, null, v126, v126, 1.0
	s_delay_alu instid0(VALU_DEP_1) | instskip(SKIP_1) | instid1(TRANS32_DEP_1)
	v_rcp_f32_e32 v135, v127
	v_nop
	v_fma_f32 v136, -v127, v135, 1.0
	s_delay_alu instid0(VALU_DEP_1) | instskip(SKIP_1) | instid1(VALU_DEP_1)
	v_fmac_f32_e32 v135, v136, v135
	v_div_scale_f32 v136, vcc_lo, 1.0, v126, 1.0
	v_mul_f32_e32 v137, v136, v135
	s_delay_alu instid0(VALU_DEP_1) | instskip(NEXT) | instid1(VALU_DEP_1)
	v_fma_f32 v138, -v127, v137, v136
	v_fmac_f32_e32 v137, v138, v135
	s_delay_alu instid0(VALU_DEP_1) | instskip(NEXT) | instid1(VALU_DEP_1)
	v_fma_f32 v127, -v127, v137, v136
	v_div_fmas_f32 v127, v127, v135, v137
	s_delay_alu instid0(VALU_DEP_1) | instskip(NEXT) | instid1(VALU_DEP_1)
	v_div_fixup_f32 v126, v127, v126, 1.0
	v_mul_f32_e64 v127, v129, -v126
.LBB118_933:
	s_or_b32 exec_lo, exec_lo, s1
.LBB118_934:
	s_delay_alu instid0(SALU_CYCLE_1) | instskip(NEXT) | instid1(SALU_CYCLE_1)
	s_or_b32 exec_lo, exec_lo, s0
	s_mov_b32 s0, exec_lo
	v_cmpx_ne_u32_e64 v134, v128
	s_xor_b32 s0, exec_lo, s0
	s_cbranch_execz .LBB118_940
; %bb.935:
	s_mov_b32 s1, exec_lo
	v_cmpx_eq_u32_e32 44, v134
	s_cbranch_execz .LBB118_939
; %bb.936:
	v_cmp_ne_u32_e32 vcc_lo, 44, v128
	s_xor_b32 s12, s16, -1
	s_delay_alu instid0(SALU_CYCLE_1) | instskip(NEXT) | instid1(SALU_CYCLE_1)
	s_and_b32 s13, s12, vcc_lo
	s_and_saveexec_b32 s12, s13
	s_cbranch_execz .LBB118_938
; %bb.937:
	v_ashrrev_i32_e32 v129, 31, v128
	s_delay_alu instid0(VALU_DEP_1)
	v_lshl_add_u64 v[134:135], v[128:129], 2, v[4:5]
	s_clause 0x1
	global_load_b32 v129, v[134:135], off
	global_load_b32 v133, v[4:5], off offset:176
	s_wait_loadcnt 0x1
	global_store_b32 v[4:5], v129, off offset:176
	s_wait_loadcnt 0x0
	global_store_b32 v[134:135], v133, off
.LBB118_938:
	s_wait_xcnt 0x0
	s_or_b32 exec_lo, exec_lo, s12
	v_dual_mov_b32 v134, v128 :: v_dual_mov_b32 v133, v128
.LBB118_939:
	s_or_b32 exec_lo, exec_lo, s1
.LBB118_940:
	s_and_not1_saveexec_b32 s0, s0
	s_cbranch_execz .LBB118_942
; %bb.941:
	v_mov_b32_e32 v134, 44
	ds_store_2addr_b64 v130, v[50:51], v[52:53] offset0:45 offset1:46
	ds_store_2addr_b64 v130, v[10:11], v[46:47] offset0:47 offset1:48
	;; [unrolled: 1-line block ×7, first 2 shown]
	ds_store_b64 v130, v[124:125] offset:472
.LBB118_942:
	s_or_b32 exec_lo, exec_lo, s0
	s_delay_alu instid0(SALU_CYCLE_1)
	s_mov_b32 s0, exec_lo
	s_wait_storecnt_dscnt 0x0
	s_barrier_signal -1
	s_barrier_wait -1
	v_cmpx_lt_i32_e32 44, v134
	s_cbranch_execz .LBB118_944
; %bb.943:
	v_pk_mul_f32 v[136:137], v[126:127], v[54:55] op_sel:[1,1] op_sel_hi:[0,1]
	s_delay_alu instid0(VALU_DEP_1)
	v_pk_fma_f32 v[128:129], v[126:127], v[54:55], v[136:137] op_sel_hi:[1,0,1] neg_lo:[0,0,1] neg_hi:[0,0,1]
	v_pk_fma_f32 v[126:127], v[126:127], v[54:55], v[136:137] op_sel_hi:[1,0,1]
	ds_load_2addr_b64 v[136:139], v130 offset0:45 offset1:46
	v_dual_mov_b32 v54, v128 :: v_dual_mov_b32 v55, v127
	s_wait_dscnt 0x0
	v_pk_mul_f32 v[140:141], v[136:137], v[126:127] op_sel:[0,1]
	s_delay_alu instid0(VALU_DEP_1) | instskip(SKIP_1) | instid1(VALU_DEP_1)
	v_pk_fma_f32 v[142:143], v[136:137], v[128:129], v[140:141] op_sel:[0,0,1] op_sel_hi:[1,1,0] neg_lo:[0,0,1] neg_hi:[0,0,1]
	v_pk_fma_f32 v[136:137], v[136:137], v[128:129], v[140:141] op_sel:[0,0,1] op_sel_hi:[1,0,0]
	v_mov_b32_e32 v143, v137
	v_pk_mul_f32 v[136:137], v[138:139], v[126:127] op_sel:[0,1]
	s_delay_alu instid0(VALU_DEP_1) | instskip(SKIP_1) | instid1(VALU_DEP_1)
	v_pk_fma_f32 v[140:141], v[138:139], v[128:129], v[136:137] op_sel:[0,0,1] op_sel_hi:[1,1,0] neg_lo:[0,0,1] neg_hi:[0,0,1]
	v_pk_fma_f32 v[136:137], v[138:139], v[128:129], v[136:137] op_sel:[0,0,1] op_sel_hi:[1,0,0]
	v_mov_b32_e32 v141, v137
	ds_load_2addr_b64 v[136:139], v130 offset0:47 offset1:48
	v_pk_add_f32 v[50:51], v[50:51], v[142:143] neg_lo:[0,1] neg_hi:[0,1]
	v_pk_add_f32 v[52:53], v[52:53], v[140:141] neg_lo:[0,1] neg_hi:[0,1]
	s_wait_dscnt 0x0
	v_pk_mul_f32 v[140:141], v[136:137], v[126:127] op_sel:[0,1]
	s_delay_alu instid0(VALU_DEP_1) | instskip(SKIP_2) | instid1(VALU_DEP_2)
	v_pk_fma_f32 v[142:143], v[136:137], v[128:129], v[140:141] op_sel:[0,0,1] op_sel_hi:[1,1,0] neg_lo:[0,0,1] neg_hi:[0,0,1]
	v_pk_fma_f32 v[136:137], v[136:137], v[128:129], v[140:141] op_sel:[0,0,1] op_sel_hi:[1,0,0]
	v_dual_mul_f32 v140, v139, v127 :: v_dual_mov_b32 v136, v139
	v_dual_mov_b32 v143, v137 :: v_dual_mov_b32 v137, v138
	s_delay_alu instid0(VALU_DEP_2) | instskip(SKIP_1) | instid1(VALU_DEP_3)
	v_pk_fma_f32 v[140:141], v[138:139], v[54:55], v[140:141] op_sel_hi:[1,1,0] neg_lo:[0,0,1] neg_hi:[0,0,1]
	v_mul_f32_e32 v138, v139, v128
	v_pk_add_f32 v[10:11], v[10:11], v[142:143] neg_lo:[0,1] neg_hi:[0,1]
	s_delay_alu instid0(VALU_DEP_2) | instskip(NEXT) | instid1(VALU_DEP_1)
	v_pk_fma_f32 v[136:137], v[136:137], v[54:55], v[138:139] op_sel_hi:[1,1,0]
	v_mov_b32_e32 v141, v137
	ds_load_2addr_b64 v[136:139], v130 offset0:49 offset1:50
	v_pk_add_f32 v[46:47], v[46:47], v[140:141] neg_lo:[0,1] neg_hi:[0,1]
	s_wait_dscnt 0x0
	v_pk_mul_f32 v[140:141], v[136:137], v[126:127] op_sel:[0,1]
	s_delay_alu instid0(VALU_DEP_1) | instskip(SKIP_1) | instid1(VALU_DEP_1)
	v_pk_fma_f32 v[142:143], v[136:137], v[128:129], v[140:141] op_sel:[0,0,1] op_sel_hi:[1,1,0] neg_lo:[0,0,1] neg_hi:[0,0,1]
	v_pk_fma_f32 v[136:137], v[136:137], v[128:129], v[140:141] op_sel:[0,0,1] op_sel_hi:[1,0,0]
	v_mov_b32_e32 v143, v137
	v_pk_mul_f32 v[136:137], v[138:139], v[126:127] op_sel:[0,1]
	s_delay_alu instid0(VALU_DEP_1) | instskip(SKIP_1) | instid1(VALU_DEP_1)
	v_pk_fma_f32 v[140:141], v[138:139], v[128:129], v[136:137] op_sel:[0,0,1] op_sel_hi:[1,1,0] neg_lo:[0,0,1] neg_hi:[0,0,1]
	v_pk_fma_f32 v[136:137], v[138:139], v[128:129], v[136:137] op_sel:[0,0,1] op_sel_hi:[1,0,0]
	v_mov_b32_e32 v141, v137
	ds_load_2addr_b64 v[136:139], v130 offset0:51 offset1:52
	v_pk_add_f32 v[44:45], v[44:45], v[142:143] neg_lo:[0,1] neg_hi:[0,1]
	v_pk_add_f32 v[48:49], v[48:49], v[140:141] neg_lo:[0,1] neg_hi:[0,1]
	s_wait_dscnt 0x0
	v_pk_mul_f32 v[140:141], v[136:137], v[126:127] op_sel:[0,1]
	s_delay_alu instid0(VALU_DEP_1) | instskip(SKIP_1) | instid1(VALU_DEP_1)
	v_pk_fma_f32 v[142:143], v[136:137], v[128:129], v[140:141] op_sel:[0,0,1] op_sel_hi:[1,1,0] neg_lo:[0,0,1] neg_hi:[0,0,1]
	v_pk_fma_f32 v[136:137], v[136:137], v[128:129], v[140:141] op_sel:[0,0,1] op_sel_hi:[1,0,0]
	v_mov_b32_e32 v143, v137
	v_pk_mul_f32 v[136:137], v[138:139], v[126:127] op_sel:[0,1]
	s_delay_alu instid0(VALU_DEP_1) | instskip(SKIP_1) | instid1(VALU_DEP_1)
	v_pk_fma_f32 v[140:141], v[138:139], v[128:129], v[136:137] op_sel:[0,0,1] op_sel_hi:[1,1,0] neg_lo:[0,0,1] neg_hi:[0,0,1]
	v_pk_fma_f32 v[136:137], v[138:139], v[128:129], v[136:137] op_sel:[0,0,1] op_sel_hi:[1,0,0]
	v_mov_b32_e32 v141, v137
	ds_load_2addr_b64 v[136:139], v130 offset0:53 offset1:54
	v_pk_add_f32 v[8:9], v[8:9], v[142:143] neg_lo:[0,1] neg_hi:[0,1]
	v_pk_add_f32 v[34:35], v[34:35], v[140:141] neg_lo:[0,1] neg_hi:[0,1]
	s_wait_dscnt 0x0
	v_dual_mul_f32 v140, v137, v127 :: v_dual_mul_f32 v142, v137, v128
	s_delay_alu instid0(VALU_DEP_1) | instskip(NEXT) | instid1(VALU_DEP_2)
	v_pk_fma_f32 v[140:141], v[136:137], v[54:55], v[140:141] op_sel_hi:[1,1,0] neg_lo:[0,0,1] neg_hi:[0,0,1]
	v_pk_fma_f32 v[136:137], v[136:137], v[54:55], v[142:143] op_sel:[1,0,0] op_sel_hi:[0,1,0]
	s_delay_alu instid0(VALU_DEP_1) | instskip(SKIP_1) | instid1(VALU_DEP_2)
	v_mov_b32_e32 v141, v137
	v_pk_mul_f32 v[136:137], v[138:139], v[126:127] op_sel:[0,1]
	v_pk_add_f32 v[28:29], v[28:29], v[140:141] neg_lo:[0,1] neg_hi:[0,1]
	s_delay_alu instid0(VALU_DEP_2) | instskip(SKIP_1) | instid1(VALU_DEP_1)
	v_pk_fma_f32 v[140:141], v[138:139], v[128:129], v[136:137] op_sel:[0,0,1] op_sel_hi:[1,1,0] neg_lo:[0,0,1] neg_hi:[0,0,1]
	v_pk_fma_f32 v[136:137], v[138:139], v[128:129], v[136:137] op_sel:[0,0,1] op_sel_hi:[1,0,0]
	v_mov_b32_e32 v141, v137
	ds_load_2addr_b64 v[136:139], v130 offset0:55 offset1:56
	v_pk_add_f32 v[32:33], v[32:33], v[140:141] neg_lo:[0,1] neg_hi:[0,1]
	s_wait_dscnt 0x0
	v_pk_mul_f32 v[140:141], v[136:137], v[126:127] op_sel:[0,1]
	s_delay_alu instid0(VALU_DEP_1) | instskip(SKIP_1) | instid1(VALU_DEP_1)
	v_pk_fma_f32 v[142:143], v[136:137], v[128:129], v[140:141] op_sel:[0,0,1] op_sel_hi:[1,1,0] neg_lo:[0,0,1] neg_hi:[0,0,1]
	v_pk_fma_f32 v[136:137], v[136:137], v[128:129], v[140:141] op_sel:[0,0,1] op_sel_hi:[1,0,0]
	v_mov_b32_e32 v143, v137
	v_pk_mul_f32 v[136:137], v[138:139], v[126:127] op_sel:[0,1]
	s_delay_alu instid0(VALU_DEP_2) | instskip(NEXT) | instid1(VALU_DEP_2)
	v_pk_add_f32 v[6:7], v[6:7], v[142:143] neg_lo:[0,1] neg_hi:[0,1]
	v_pk_fma_f32 v[140:141], v[138:139], v[128:129], v[136:137] op_sel:[0,0,1] op_sel_hi:[1,1,0] neg_lo:[0,0,1] neg_hi:[0,0,1]
	v_pk_fma_f32 v[136:137], v[138:139], v[128:129], v[136:137] op_sel:[0,0,1] op_sel_hi:[1,0,0]
	s_delay_alu instid0(VALU_DEP_1) | instskip(SKIP_4) | instid1(VALU_DEP_1)
	v_mov_b32_e32 v141, v137
	ds_load_2addr_b64 v[136:139], v130 offset0:57 offset1:58
	v_pk_add_f32 v[26:27], v[26:27], v[140:141] neg_lo:[0,1] neg_hi:[0,1]
	s_wait_dscnt 0x0
	v_pk_mul_f32 v[140:141], v[136:137], v[126:127] op_sel:[0,1]
	v_pk_fma_f32 v[142:143], v[136:137], v[128:129], v[140:141] op_sel:[0,0,1] op_sel_hi:[1,1,0] neg_lo:[0,0,1] neg_hi:[0,0,1]
	v_pk_fma_f32 v[136:137], v[136:137], v[128:129], v[140:141] op_sel:[0,0,1] op_sel_hi:[1,0,0]
	v_dual_mul_f32 v140, v139, v127 :: v_dual_mov_b32 v136, v139
	s_delay_alu instid0(VALU_DEP_2) | instskip(NEXT) | instid1(VALU_DEP_2)
	v_dual_mov_b32 v143, v137 :: v_dual_mov_b32 v137, v138
	v_pk_fma_f32 v[140:141], v[138:139], v[54:55], v[140:141] op_sel_hi:[1,1,0] neg_lo:[0,0,1] neg_hi:[0,0,1]
	v_mul_f32_e32 v138, v139, v128
	s_delay_alu instid0(VALU_DEP_3) | instskip(NEXT) | instid1(VALU_DEP_2)
	v_pk_add_f32 v[16:17], v[16:17], v[142:143] neg_lo:[0,1] neg_hi:[0,1]
	v_pk_fma_f32 v[136:137], v[136:137], v[54:55], v[138:139] op_sel_hi:[1,1,0]
	s_delay_alu instid0(VALU_DEP_1) | instskip(SKIP_4) | instid1(VALU_DEP_1)
	v_mov_b32_e32 v141, v137
	ds_load_b64 v[136:137], v130 offset:472
	v_pk_add_f32 v[14:15], v[14:15], v[140:141] neg_lo:[0,1] neg_hi:[0,1]
	s_wait_dscnt 0x0
	v_pk_mul_f32 v[126:127], v[136:137], v[126:127] op_sel:[0,1]
	v_pk_fma_f32 v[138:139], v[136:137], v[128:129], v[126:127] op_sel:[0,0,1] op_sel_hi:[1,1,0] neg_lo:[0,0,1] neg_hi:[0,0,1]
	v_pk_fma_f32 v[126:127], v[136:137], v[128:129], v[126:127] op_sel:[0,0,1] op_sel_hi:[1,0,0]
	s_delay_alu instid0(VALU_DEP_1) | instskip(NEXT) | instid1(VALU_DEP_1)
	v_mov_b32_e32 v139, v127
	v_pk_add_f32 v[124:125], v[124:125], v[138:139] neg_lo:[0,1] neg_hi:[0,1]
.LBB118_944:
	s_or_b32 exec_lo, exec_lo, s0
	v_lshl_add_u32 v126, v134, 3, v130
	s_barrier_signal -1
	s_barrier_wait -1
	ds_store_b64 v126, v[50:51]
	s_wait_dscnt 0x0
	s_barrier_signal -1
	s_barrier_wait -1
	ds_load_b64 v[126:127], v130 offset:360
	v_mov_b32_e32 v128, 45
	s_cmp_lt_i32 s18, 47
	s_cbranch_scc1 .LBB118_947
; %bb.945:
	v_add3_u32 v129, v131, 0, 0x170
	v_mov_b32_e32 v128, 45
	s_mov_b32 s0, 46
.LBB118_946:                            ; =>This Inner Loop Header: Depth=1
	ds_load_b64 v[136:137], v129
	s_wait_dscnt 0x1
	v_cmp_gt_f32_e32 vcc_lo, 0, v126
	v_cndmask_b32_e64 v138, v126, -v126, vcc_lo
	v_cmp_gt_f32_e32 vcc_lo, 0, v127
	v_cndmask_b32_e64 v140, v127, -v127, vcc_lo
	s_wait_dscnt 0x0
	v_cmp_gt_f32_e32 vcc_lo, 0, v136
	v_cndmask_b32_e64 v139, v136, -v136, vcc_lo
	v_cmp_gt_f32_e32 vcc_lo, 0, v137
	v_cndmask_b32_e64 v141, v137, -v137, vcc_lo
	s_delay_alu instid0(VALU_DEP_1) | instskip(NEXT) | instid1(VALU_DEP_1)
	v_pk_add_f32 v[138:139], v[138:139], v[140:141]
	v_cmp_lt_f32_e32 vcc_lo, v138, v139
	v_dual_cndmask_b32 v126, v126, v136 :: v_dual_add_nc_u32 v129, 8, v129
	v_cndmask_b32_e32 v127, v127, v137, vcc_lo
	v_cndmask_b32_e64 v128, v128, s0, vcc_lo
	s_add_co_i32 s0, s0, 1
	s_delay_alu instid0(SALU_CYCLE_1)
	s_cmp_lg_u32 s18, s0
	s_cbranch_scc1 .LBB118_946
.LBB118_947:
	s_wait_dscnt 0x0
	v_cmp_eq_f32_e32 vcc_lo, 0, v126
	v_cmp_eq_f32_e64 s0, 0, v127
	s_and_b32 s0, vcc_lo, s0
	s_delay_alu instid0(SALU_CYCLE_1) | instskip(NEXT) | instid1(SALU_CYCLE_1)
	s_and_saveexec_b32 s1, s0
	s_xor_b32 s0, exec_lo, s1
; %bb.948:
	v_cmp_ne_u32_e32 vcc_lo, 0, v132
	v_cndmask_b32_e32 v132, 46, v132, vcc_lo
; %bb.949:
	s_and_not1_saveexec_b32 s0, s0
	s_cbranch_execz .LBB118_955
; %bb.950:
	v_cmp_ngt_f32_e64 s1, |v126|, |v127|
	s_and_saveexec_b32 s12, s1
	s_delay_alu instid0(SALU_CYCLE_1)
	s_xor_b32 s1, exec_lo, s12
	s_cbranch_execz .LBB118_952
; %bb.951:
	v_div_scale_f32 v129, null, v127, v127, v126
	v_div_scale_f32 v137, vcc_lo, v126, v127, v126
	s_delay_alu instid0(VALU_DEP_2) | instskip(SKIP_1) | instid1(TRANS32_DEP_1)
	v_rcp_f32_e32 v135, v129
	v_nop
	v_fma_f32 v136, -v129, v135, 1.0
	s_delay_alu instid0(VALU_DEP_1) | instskip(NEXT) | instid1(VALU_DEP_1)
	v_fmac_f32_e32 v135, v136, v135
	v_mul_f32_e32 v136, v137, v135
	s_delay_alu instid0(VALU_DEP_1) | instskip(NEXT) | instid1(VALU_DEP_1)
	v_fma_f32 v138, -v129, v136, v137
	v_fmac_f32_e32 v136, v138, v135
	s_delay_alu instid0(VALU_DEP_1) | instskip(NEXT) | instid1(VALU_DEP_1)
	v_fma_f32 v129, -v129, v136, v137
	v_div_fmas_f32 v129, v129, v135, v136
	s_delay_alu instid0(VALU_DEP_1) | instskip(NEXT) | instid1(VALU_DEP_1)
	v_div_fixup_f32 v129, v129, v127, v126
	v_fmac_f32_e32 v127, v126, v129
	s_delay_alu instid0(VALU_DEP_1) | instskip(SKIP_1) | instid1(VALU_DEP_2)
	v_div_scale_f32 v126, null, v127, v127, 1.0
	v_div_scale_f32 v137, vcc_lo, 1.0, v127, 1.0
	v_rcp_f32_e32 v135, v126
	v_nop
	s_delay_alu instid0(TRANS32_DEP_1) | instskip(NEXT) | instid1(VALU_DEP_1)
	v_fma_f32 v136, -v126, v135, 1.0
	v_fmac_f32_e32 v135, v136, v135
	s_delay_alu instid0(VALU_DEP_1) | instskip(NEXT) | instid1(VALU_DEP_1)
	v_mul_f32_e32 v136, v137, v135
	v_fma_f32 v138, -v126, v136, v137
	s_delay_alu instid0(VALU_DEP_1) | instskip(NEXT) | instid1(VALU_DEP_1)
	v_fmac_f32_e32 v136, v138, v135
	v_fma_f32 v126, -v126, v136, v137
	s_delay_alu instid0(VALU_DEP_1) | instskip(NEXT) | instid1(VALU_DEP_1)
	v_div_fmas_f32 v126, v126, v135, v136
	v_div_fixup_f32 v127, v126, v127, 1.0
	s_delay_alu instid0(VALU_DEP_1)
	v_mul_f32_e32 v126, v129, v127
	v_xor_b32_e32 v127, 0x80000000, v127
.LBB118_952:
	s_and_not1_saveexec_b32 s1, s1
	s_cbranch_execz .LBB118_954
; %bb.953:
	s_delay_alu instid0(VALU_DEP_1) | instskip(SKIP_1) | instid1(VALU_DEP_2)
	v_div_scale_f32 v129, null, v126, v126, v127
	v_div_scale_f32 v137, vcc_lo, v127, v126, v127
	v_rcp_f32_e32 v135, v129
	v_nop
	s_delay_alu instid0(TRANS32_DEP_1) | instskip(NEXT) | instid1(VALU_DEP_1)
	v_fma_f32 v136, -v129, v135, 1.0
	v_fmac_f32_e32 v135, v136, v135
	s_delay_alu instid0(VALU_DEP_1) | instskip(NEXT) | instid1(VALU_DEP_1)
	v_mul_f32_e32 v136, v137, v135
	v_fma_f32 v138, -v129, v136, v137
	s_delay_alu instid0(VALU_DEP_1) | instskip(NEXT) | instid1(VALU_DEP_1)
	v_fmac_f32_e32 v136, v138, v135
	v_fma_f32 v129, -v129, v136, v137
	s_delay_alu instid0(VALU_DEP_1) | instskip(NEXT) | instid1(VALU_DEP_1)
	v_div_fmas_f32 v129, v129, v135, v136
	v_div_fixup_f32 v129, v129, v126, v127
	s_delay_alu instid0(VALU_DEP_1) | instskip(NEXT) | instid1(VALU_DEP_1)
	v_fmac_f32_e32 v126, v127, v129
	v_div_scale_f32 v127, null, v126, v126, 1.0
	s_delay_alu instid0(VALU_DEP_1) | instskip(SKIP_1) | instid1(TRANS32_DEP_1)
	v_rcp_f32_e32 v135, v127
	v_nop
	v_fma_f32 v136, -v127, v135, 1.0
	s_delay_alu instid0(VALU_DEP_1) | instskip(SKIP_1) | instid1(VALU_DEP_1)
	v_fmac_f32_e32 v135, v136, v135
	v_div_scale_f32 v136, vcc_lo, 1.0, v126, 1.0
	v_mul_f32_e32 v137, v136, v135
	s_delay_alu instid0(VALU_DEP_1) | instskip(NEXT) | instid1(VALU_DEP_1)
	v_fma_f32 v138, -v127, v137, v136
	v_fmac_f32_e32 v137, v138, v135
	s_delay_alu instid0(VALU_DEP_1) | instskip(NEXT) | instid1(VALU_DEP_1)
	v_fma_f32 v127, -v127, v137, v136
	v_div_fmas_f32 v127, v127, v135, v137
	s_delay_alu instid0(VALU_DEP_1) | instskip(NEXT) | instid1(VALU_DEP_1)
	v_div_fixup_f32 v126, v127, v126, 1.0
	v_mul_f32_e64 v127, v129, -v126
.LBB118_954:
	s_or_b32 exec_lo, exec_lo, s1
.LBB118_955:
	s_delay_alu instid0(SALU_CYCLE_1) | instskip(NEXT) | instid1(SALU_CYCLE_1)
	s_or_b32 exec_lo, exec_lo, s0
	s_mov_b32 s0, exec_lo
	v_cmpx_ne_u32_e64 v134, v128
	s_xor_b32 s0, exec_lo, s0
	s_cbranch_execz .LBB118_961
; %bb.956:
	s_mov_b32 s1, exec_lo
	v_cmpx_eq_u32_e32 45, v134
	s_cbranch_execz .LBB118_960
; %bb.957:
	v_cmp_ne_u32_e32 vcc_lo, 45, v128
	s_xor_b32 s12, s16, -1
	s_delay_alu instid0(SALU_CYCLE_1) | instskip(NEXT) | instid1(SALU_CYCLE_1)
	s_and_b32 s13, s12, vcc_lo
	s_and_saveexec_b32 s12, s13
	s_cbranch_execz .LBB118_959
; %bb.958:
	v_ashrrev_i32_e32 v129, 31, v128
	s_delay_alu instid0(VALU_DEP_1)
	v_lshl_add_u64 v[134:135], v[128:129], 2, v[4:5]
	s_clause 0x1
	global_load_b32 v129, v[134:135], off
	global_load_b32 v133, v[4:5], off offset:180
	s_wait_loadcnt 0x1
	global_store_b32 v[4:5], v129, off offset:180
	s_wait_loadcnt 0x0
	global_store_b32 v[134:135], v133, off
.LBB118_959:
	s_wait_xcnt 0x0
	s_or_b32 exec_lo, exec_lo, s12
	v_dual_mov_b32 v134, v128 :: v_dual_mov_b32 v133, v128
.LBB118_960:
	s_or_b32 exec_lo, exec_lo, s1
.LBB118_961:
	s_and_not1_saveexec_b32 s0, s0
	s_cbranch_execz .LBB118_963
; %bb.962:
	v_dual_mov_b32 v128, v52 :: v_dual_mov_b32 v129, v53
	v_dual_mov_b32 v134, v10 :: v_dual_mov_b32 v135, v11
	;; [unrolled: 1-line block ×4, first 2 shown]
	ds_store_2addr_b64 v130, v[128:129], v[134:135] offset0:46 offset1:47
	ds_store_2addr_b64 v130, v[136:137], v[138:139] offset0:48 offset1:49
	v_dual_mov_b32 v128, v48 :: v_dual_mov_b32 v129, v49
	v_dual_mov_b32 v136, v8 :: v_dual_mov_b32 v137, v9
	;; [unrolled: 1-line block ×9, first 2 shown]
	v_mov_b32_e32 v151, v15
	ds_store_2addr_b64 v130, v[128:129], v[136:137] offset0:50 offset1:51
	ds_store_2addr_b64 v130, v[138:139], v[140:141] offset0:52 offset1:53
	;; [unrolled: 1-line block ×5, first 2 shown]
.LBB118_963:
	s_or_b32 exec_lo, exec_lo, s0
	s_delay_alu instid0(SALU_CYCLE_1)
	s_mov_b32 s0, exec_lo
	s_wait_storecnt_dscnt 0x0
	s_barrier_signal -1
	s_barrier_wait -1
	v_cmpx_lt_i32_e32 45, v134
	s_cbranch_execz .LBB118_965
; %bb.964:
	v_pk_mul_f32 v[128:129], v[126:127], v[50:51] op_sel:[1,1] op_sel_hi:[0,1]
	s_delay_alu instid0(VALU_DEP_1)
	v_pk_fma_f32 v[136:137], v[126:127], v[50:51], v[128:129] op_sel_hi:[1,0,1] neg_lo:[0,0,1] neg_hi:[0,0,1]
	v_pk_fma_f32 v[138:139], v[126:127], v[50:51], v[128:129] op_sel_hi:[1,0,1]
	ds_load_2addr_b64 v[126:129], v130 offset0:46 offset1:47
	v_dual_mov_b32 v50, v136 :: v_dual_mov_b32 v51, v139
	s_wait_dscnt 0x0
	v_pk_mul_f32 v[140:141], v[126:127], v[138:139] op_sel:[0,1]
	s_delay_alu instid0(VALU_DEP_1) | instskip(SKIP_1) | instid1(VALU_DEP_1)
	v_pk_fma_f32 v[142:143], v[126:127], v[136:137], v[140:141] op_sel:[0,0,1] op_sel_hi:[1,1,0] neg_lo:[0,0,1] neg_hi:[0,0,1]
	v_pk_fma_f32 v[126:127], v[126:127], v[136:137], v[140:141] op_sel:[0,0,1] op_sel_hi:[1,0,0]
	v_mov_b32_e32 v143, v127
	v_pk_mul_f32 v[126:127], v[128:129], v[138:139] op_sel:[0,1]
	s_delay_alu instid0(VALU_DEP_1) | instskip(SKIP_1) | instid1(VALU_DEP_1)
	v_pk_fma_f32 v[140:141], v[128:129], v[136:137], v[126:127] op_sel:[0,0,1] op_sel_hi:[1,1,0] neg_lo:[0,0,1] neg_hi:[0,0,1]
	v_pk_fma_f32 v[126:127], v[128:129], v[136:137], v[126:127] op_sel:[0,0,1] op_sel_hi:[1,0,0]
	v_mov_b32_e32 v141, v127
	ds_load_2addr_b64 v[126:129], v130 offset0:48 offset1:49
	v_pk_add_f32 v[52:53], v[52:53], v[142:143] neg_lo:[0,1] neg_hi:[0,1]
	v_pk_add_f32 v[10:11], v[10:11], v[140:141] neg_lo:[0,1] neg_hi:[0,1]
	s_wait_dscnt 0x0
	v_pk_mul_f32 v[140:141], v[126:127], v[138:139] op_sel:[0,1]
	s_delay_alu instid0(VALU_DEP_1) | instskip(SKIP_2) | instid1(VALU_DEP_2)
	v_pk_fma_f32 v[142:143], v[126:127], v[136:137], v[140:141] op_sel:[0,0,1] op_sel_hi:[1,1,0] neg_lo:[0,0,1] neg_hi:[0,0,1]
	v_pk_fma_f32 v[126:127], v[126:127], v[136:137], v[140:141] op_sel:[0,0,1] op_sel_hi:[1,0,0]
	v_dual_mul_f32 v140, v129, v139 :: v_dual_mov_b32 v126, v129
	v_dual_mov_b32 v143, v127 :: v_dual_mov_b32 v127, v128
	s_delay_alu instid0(VALU_DEP_2) | instskip(SKIP_1) | instid1(VALU_DEP_3)
	v_pk_fma_f32 v[140:141], v[128:129], v[50:51], v[140:141] op_sel_hi:[1,1,0] neg_lo:[0,0,1] neg_hi:[0,0,1]
	v_mul_f32_e32 v128, v129, v136
	v_pk_add_f32 v[46:47], v[46:47], v[142:143] neg_lo:[0,1] neg_hi:[0,1]
	s_delay_alu instid0(VALU_DEP_2) | instskip(NEXT) | instid1(VALU_DEP_1)
	v_pk_fma_f32 v[126:127], v[126:127], v[50:51], v[128:129] op_sel_hi:[1,1,0]
	v_mov_b32_e32 v141, v127
	ds_load_2addr_b64 v[126:129], v130 offset0:50 offset1:51
	v_pk_add_f32 v[44:45], v[44:45], v[140:141] neg_lo:[0,1] neg_hi:[0,1]
	s_wait_dscnt 0x0
	v_pk_mul_f32 v[140:141], v[126:127], v[138:139] op_sel:[0,1]
	s_delay_alu instid0(VALU_DEP_1) | instskip(SKIP_1) | instid1(VALU_DEP_1)
	v_pk_fma_f32 v[142:143], v[126:127], v[136:137], v[140:141] op_sel:[0,0,1] op_sel_hi:[1,1,0] neg_lo:[0,0,1] neg_hi:[0,0,1]
	v_pk_fma_f32 v[126:127], v[126:127], v[136:137], v[140:141] op_sel:[0,0,1] op_sel_hi:[1,0,0]
	v_mov_b32_e32 v143, v127
	v_pk_mul_f32 v[126:127], v[128:129], v[138:139] op_sel:[0,1]
	s_delay_alu instid0(VALU_DEP_1) | instskip(SKIP_1) | instid1(VALU_DEP_1)
	v_pk_fma_f32 v[140:141], v[128:129], v[136:137], v[126:127] op_sel:[0,0,1] op_sel_hi:[1,1,0] neg_lo:[0,0,1] neg_hi:[0,0,1]
	v_pk_fma_f32 v[126:127], v[128:129], v[136:137], v[126:127] op_sel:[0,0,1] op_sel_hi:[1,0,0]
	v_mov_b32_e32 v141, v127
	ds_load_2addr_b64 v[126:129], v130 offset0:52 offset1:53
	v_pk_add_f32 v[48:49], v[48:49], v[142:143] neg_lo:[0,1] neg_hi:[0,1]
	v_pk_add_f32 v[8:9], v[8:9], v[140:141] neg_lo:[0,1] neg_hi:[0,1]
	s_wait_dscnt 0x0
	v_pk_mul_f32 v[140:141], v[126:127], v[138:139] op_sel:[0,1]
	s_delay_alu instid0(VALU_DEP_1) | instskip(SKIP_1) | instid1(VALU_DEP_1)
	v_pk_fma_f32 v[142:143], v[126:127], v[136:137], v[140:141] op_sel:[0,0,1] op_sel_hi:[1,1,0] neg_lo:[0,0,1] neg_hi:[0,0,1]
	v_pk_fma_f32 v[126:127], v[126:127], v[136:137], v[140:141] op_sel:[0,0,1] op_sel_hi:[1,0,0]
	v_mov_b32_e32 v143, v127
	v_pk_mul_f32 v[126:127], v[128:129], v[138:139] op_sel:[0,1]
	s_delay_alu instid0(VALU_DEP_1) | instskip(SKIP_1) | instid1(VALU_DEP_1)
	v_pk_fma_f32 v[140:141], v[128:129], v[136:137], v[126:127] op_sel:[0,0,1] op_sel_hi:[1,1,0] neg_lo:[0,0,1] neg_hi:[0,0,1]
	v_pk_fma_f32 v[126:127], v[128:129], v[136:137], v[126:127] op_sel:[0,0,1] op_sel_hi:[1,0,0]
	v_mov_b32_e32 v141, v127
	ds_load_2addr_b64 v[126:129], v130 offset0:54 offset1:55
	v_pk_add_f32 v[34:35], v[34:35], v[142:143] neg_lo:[0,1] neg_hi:[0,1]
	v_pk_add_f32 v[28:29], v[28:29], v[140:141] neg_lo:[0,1] neg_hi:[0,1]
	s_wait_dscnt 0x0
	v_dual_mul_f32 v140, v127, v139 :: v_dual_mul_f32 v142, v127, v136
	s_delay_alu instid0(VALU_DEP_1) | instskip(NEXT) | instid1(VALU_DEP_2)
	v_pk_fma_f32 v[140:141], v[126:127], v[50:51], v[140:141] op_sel_hi:[1,1,0] neg_lo:[0,0,1] neg_hi:[0,0,1]
	v_pk_fma_f32 v[126:127], v[126:127], v[50:51], v[142:143] op_sel:[1,0,0] op_sel_hi:[0,1,0]
	s_delay_alu instid0(VALU_DEP_1) | instskip(SKIP_1) | instid1(VALU_DEP_2)
	v_mov_b32_e32 v141, v127
	v_pk_mul_f32 v[126:127], v[128:129], v[138:139] op_sel:[0,1]
	v_pk_add_f32 v[32:33], v[32:33], v[140:141] neg_lo:[0,1] neg_hi:[0,1]
	s_delay_alu instid0(VALU_DEP_2) | instskip(SKIP_1) | instid1(VALU_DEP_1)
	v_pk_fma_f32 v[140:141], v[128:129], v[136:137], v[126:127] op_sel:[0,0,1] op_sel_hi:[1,1,0] neg_lo:[0,0,1] neg_hi:[0,0,1]
	v_pk_fma_f32 v[126:127], v[128:129], v[136:137], v[126:127] op_sel:[0,0,1] op_sel_hi:[1,0,0]
	v_mov_b32_e32 v141, v127
	ds_load_2addr_b64 v[126:129], v130 offset0:56 offset1:57
	v_pk_add_f32 v[6:7], v[6:7], v[140:141] neg_lo:[0,1] neg_hi:[0,1]
	s_wait_dscnt 0x0
	v_pk_mul_f32 v[140:141], v[126:127], v[138:139] op_sel:[0,1]
	s_delay_alu instid0(VALU_DEP_1) | instskip(SKIP_1) | instid1(VALU_DEP_1)
	v_pk_fma_f32 v[142:143], v[126:127], v[136:137], v[140:141] op_sel:[0,0,1] op_sel_hi:[1,1,0] neg_lo:[0,0,1] neg_hi:[0,0,1]
	v_pk_fma_f32 v[126:127], v[126:127], v[136:137], v[140:141] op_sel:[0,0,1] op_sel_hi:[1,0,0]
	v_mov_b32_e32 v143, v127
	v_pk_mul_f32 v[126:127], v[128:129], v[138:139] op_sel:[0,1]
	s_delay_alu instid0(VALU_DEP_2) | instskip(NEXT) | instid1(VALU_DEP_2)
	v_pk_add_f32 v[26:27], v[26:27], v[142:143] neg_lo:[0,1] neg_hi:[0,1]
	v_pk_fma_f32 v[140:141], v[128:129], v[136:137], v[126:127] op_sel:[0,0,1] op_sel_hi:[1,1,0] neg_lo:[0,0,1] neg_hi:[0,0,1]
	v_pk_fma_f32 v[126:127], v[128:129], v[136:137], v[126:127] op_sel:[0,0,1] op_sel_hi:[1,0,0]
	s_delay_alu instid0(VALU_DEP_1) | instskip(SKIP_4) | instid1(VALU_DEP_1)
	v_mov_b32_e32 v141, v127
	ds_load_2addr_b64 v[126:129], v130 offset0:58 offset1:59
	v_pk_add_f32 v[16:17], v[16:17], v[140:141] neg_lo:[0,1] neg_hi:[0,1]
	s_wait_dscnt 0x0
	v_pk_mul_f32 v[140:141], v[126:127], v[138:139] op_sel:[0,1]
	v_pk_fma_f32 v[142:143], v[126:127], v[136:137], v[140:141] op_sel:[0,0,1] op_sel_hi:[1,1,0] neg_lo:[0,0,1] neg_hi:[0,0,1]
	v_pk_fma_f32 v[126:127], v[126:127], v[136:137], v[140:141] op_sel:[0,0,1] op_sel_hi:[1,0,0]
	s_delay_alu instid0(VALU_DEP_1) | instskip(SKIP_1) | instid1(VALU_DEP_2)
	v_mov_b32_e32 v143, v127
	v_pk_mul_f32 v[126:127], v[128:129], v[138:139] op_sel:[0,1]
	v_pk_add_f32 v[14:15], v[14:15], v[142:143] neg_lo:[0,1] neg_hi:[0,1]
	s_delay_alu instid0(VALU_DEP_2) | instskip(SKIP_1) | instid1(VALU_DEP_1)
	v_pk_fma_f32 v[138:139], v[128:129], v[136:137], v[126:127] op_sel:[0,0,1] op_sel_hi:[1,1,0] neg_lo:[0,0,1] neg_hi:[0,0,1]
	v_pk_fma_f32 v[126:127], v[128:129], v[136:137], v[126:127] op_sel:[0,0,1] op_sel_hi:[1,0,0]
	v_mov_b32_e32 v139, v127
	s_delay_alu instid0(VALU_DEP_1)
	v_pk_add_f32 v[124:125], v[124:125], v[138:139] neg_lo:[0,1] neg_hi:[0,1]
.LBB118_965:
	s_or_b32 exec_lo, exec_lo, s0
	v_lshl_add_u32 v126, v134, 3, v130
	s_barrier_signal -1
	s_barrier_wait -1
	ds_store_b64 v126, v[52:53]
	s_wait_dscnt 0x0
	s_barrier_signal -1
	s_barrier_wait -1
	ds_load_b64 v[126:127], v130 offset:368
	v_mov_b32_e32 v128, 46
	s_cmp_lt_i32 s18, 48
	s_cbranch_scc1 .LBB118_968
; %bb.966:
	v_add3_u32 v129, v131, 0, 0x178
	v_mov_b32_e32 v128, 46
	s_mov_b32 s0, 47
.LBB118_967:                            ; =>This Inner Loop Header: Depth=1
	ds_load_b64 v[136:137], v129
	s_wait_dscnt 0x1
	v_cmp_gt_f32_e32 vcc_lo, 0, v126
	v_cndmask_b32_e64 v138, v126, -v126, vcc_lo
	v_cmp_gt_f32_e32 vcc_lo, 0, v127
	v_cndmask_b32_e64 v140, v127, -v127, vcc_lo
	s_wait_dscnt 0x0
	v_cmp_gt_f32_e32 vcc_lo, 0, v136
	v_cndmask_b32_e64 v139, v136, -v136, vcc_lo
	v_cmp_gt_f32_e32 vcc_lo, 0, v137
	v_cndmask_b32_e64 v141, v137, -v137, vcc_lo
	s_delay_alu instid0(VALU_DEP_1) | instskip(NEXT) | instid1(VALU_DEP_1)
	v_pk_add_f32 v[138:139], v[138:139], v[140:141]
	v_cmp_lt_f32_e32 vcc_lo, v138, v139
	v_dual_cndmask_b32 v126, v126, v136 :: v_dual_add_nc_u32 v129, 8, v129
	v_cndmask_b32_e32 v127, v127, v137, vcc_lo
	v_cndmask_b32_e64 v128, v128, s0, vcc_lo
	s_add_co_i32 s0, s0, 1
	s_delay_alu instid0(SALU_CYCLE_1)
	s_cmp_lg_u32 s18, s0
	s_cbranch_scc1 .LBB118_967
.LBB118_968:
	s_wait_dscnt 0x0
	v_cmp_eq_f32_e32 vcc_lo, 0, v126
	v_cmp_eq_f32_e64 s0, 0, v127
	s_and_b32 s0, vcc_lo, s0
	s_delay_alu instid0(SALU_CYCLE_1) | instskip(NEXT) | instid1(SALU_CYCLE_1)
	s_and_saveexec_b32 s1, s0
	s_xor_b32 s0, exec_lo, s1
; %bb.969:
	v_cmp_ne_u32_e32 vcc_lo, 0, v132
	v_cndmask_b32_e32 v132, 47, v132, vcc_lo
; %bb.970:
	s_and_not1_saveexec_b32 s0, s0
	s_cbranch_execz .LBB118_976
; %bb.971:
	v_cmp_ngt_f32_e64 s1, |v126|, |v127|
	s_and_saveexec_b32 s12, s1
	s_delay_alu instid0(SALU_CYCLE_1)
	s_xor_b32 s1, exec_lo, s12
	s_cbranch_execz .LBB118_973
; %bb.972:
	v_div_scale_f32 v129, null, v127, v127, v126
	v_div_scale_f32 v137, vcc_lo, v126, v127, v126
	s_delay_alu instid0(VALU_DEP_2) | instskip(SKIP_1) | instid1(TRANS32_DEP_1)
	v_rcp_f32_e32 v135, v129
	v_nop
	v_fma_f32 v136, -v129, v135, 1.0
	s_delay_alu instid0(VALU_DEP_1) | instskip(NEXT) | instid1(VALU_DEP_1)
	v_fmac_f32_e32 v135, v136, v135
	v_mul_f32_e32 v136, v137, v135
	s_delay_alu instid0(VALU_DEP_1) | instskip(NEXT) | instid1(VALU_DEP_1)
	v_fma_f32 v138, -v129, v136, v137
	v_fmac_f32_e32 v136, v138, v135
	s_delay_alu instid0(VALU_DEP_1) | instskip(NEXT) | instid1(VALU_DEP_1)
	v_fma_f32 v129, -v129, v136, v137
	v_div_fmas_f32 v129, v129, v135, v136
	s_delay_alu instid0(VALU_DEP_1) | instskip(NEXT) | instid1(VALU_DEP_1)
	v_div_fixup_f32 v129, v129, v127, v126
	v_fmac_f32_e32 v127, v126, v129
	s_delay_alu instid0(VALU_DEP_1) | instskip(SKIP_1) | instid1(VALU_DEP_2)
	v_div_scale_f32 v126, null, v127, v127, 1.0
	v_div_scale_f32 v137, vcc_lo, 1.0, v127, 1.0
	v_rcp_f32_e32 v135, v126
	v_nop
	s_delay_alu instid0(TRANS32_DEP_1) | instskip(NEXT) | instid1(VALU_DEP_1)
	v_fma_f32 v136, -v126, v135, 1.0
	v_fmac_f32_e32 v135, v136, v135
	s_delay_alu instid0(VALU_DEP_1) | instskip(NEXT) | instid1(VALU_DEP_1)
	v_mul_f32_e32 v136, v137, v135
	v_fma_f32 v138, -v126, v136, v137
	s_delay_alu instid0(VALU_DEP_1) | instskip(NEXT) | instid1(VALU_DEP_1)
	v_fmac_f32_e32 v136, v138, v135
	v_fma_f32 v126, -v126, v136, v137
	s_delay_alu instid0(VALU_DEP_1) | instskip(NEXT) | instid1(VALU_DEP_1)
	v_div_fmas_f32 v126, v126, v135, v136
	v_div_fixup_f32 v127, v126, v127, 1.0
	s_delay_alu instid0(VALU_DEP_1)
	v_mul_f32_e32 v126, v129, v127
	v_xor_b32_e32 v127, 0x80000000, v127
.LBB118_973:
	s_and_not1_saveexec_b32 s1, s1
	s_cbranch_execz .LBB118_975
; %bb.974:
	s_delay_alu instid0(VALU_DEP_1) | instskip(SKIP_1) | instid1(VALU_DEP_2)
	v_div_scale_f32 v129, null, v126, v126, v127
	v_div_scale_f32 v137, vcc_lo, v127, v126, v127
	v_rcp_f32_e32 v135, v129
	v_nop
	s_delay_alu instid0(TRANS32_DEP_1) | instskip(NEXT) | instid1(VALU_DEP_1)
	v_fma_f32 v136, -v129, v135, 1.0
	v_fmac_f32_e32 v135, v136, v135
	s_delay_alu instid0(VALU_DEP_1) | instskip(NEXT) | instid1(VALU_DEP_1)
	v_mul_f32_e32 v136, v137, v135
	v_fma_f32 v138, -v129, v136, v137
	s_delay_alu instid0(VALU_DEP_1) | instskip(NEXT) | instid1(VALU_DEP_1)
	v_fmac_f32_e32 v136, v138, v135
	v_fma_f32 v129, -v129, v136, v137
	s_delay_alu instid0(VALU_DEP_1) | instskip(NEXT) | instid1(VALU_DEP_1)
	v_div_fmas_f32 v129, v129, v135, v136
	v_div_fixup_f32 v129, v129, v126, v127
	s_delay_alu instid0(VALU_DEP_1) | instskip(NEXT) | instid1(VALU_DEP_1)
	v_fmac_f32_e32 v126, v127, v129
	v_div_scale_f32 v127, null, v126, v126, 1.0
	s_delay_alu instid0(VALU_DEP_1) | instskip(SKIP_1) | instid1(TRANS32_DEP_1)
	v_rcp_f32_e32 v135, v127
	v_nop
	v_fma_f32 v136, -v127, v135, 1.0
	s_delay_alu instid0(VALU_DEP_1) | instskip(SKIP_1) | instid1(VALU_DEP_1)
	v_fmac_f32_e32 v135, v136, v135
	v_div_scale_f32 v136, vcc_lo, 1.0, v126, 1.0
	v_mul_f32_e32 v137, v136, v135
	s_delay_alu instid0(VALU_DEP_1) | instskip(NEXT) | instid1(VALU_DEP_1)
	v_fma_f32 v138, -v127, v137, v136
	v_fmac_f32_e32 v137, v138, v135
	s_delay_alu instid0(VALU_DEP_1) | instskip(NEXT) | instid1(VALU_DEP_1)
	v_fma_f32 v127, -v127, v137, v136
	v_div_fmas_f32 v127, v127, v135, v137
	s_delay_alu instid0(VALU_DEP_1) | instskip(NEXT) | instid1(VALU_DEP_1)
	v_div_fixup_f32 v126, v127, v126, 1.0
	v_mul_f32_e64 v127, v129, -v126
.LBB118_975:
	s_or_b32 exec_lo, exec_lo, s1
.LBB118_976:
	s_delay_alu instid0(SALU_CYCLE_1) | instskip(NEXT) | instid1(SALU_CYCLE_1)
	s_or_b32 exec_lo, exec_lo, s0
	s_mov_b32 s0, exec_lo
	v_cmpx_ne_u32_e64 v134, v128
	s_xor_b32 s0, exec_lo, s0
	s_cbranch_execz .LBB118_982
; %bb.977:
	s_mov_b32 s1, exec_lo
	v_cmpx_eq_u32_e32 46, v134
	s_cbranch_execz .LBB118_981
; %bb.978:
	v_cmp_ne_u32_e32 vcc_lo, 46, v128
	s_xor_b32 s12, s16, -1
	s_delay_alu instid0(SALU_CYCLE_1) | instskip(NEXT) | instid1(SALU_CYCLE_1)
	s_and_b32 s13, s12, vcc_lo
	s_and_saveexec_b32 s12, s13
	s_cbranch_execz .LBB118_980
; %bb.979:
	v_ashrrev_i32_e32 v129, 31, v128
	s_delay_alu instid0(VALU_DEP_1)
	v_lshl_add_u64 v[134:135], v[128:129], 2, v[4:5]
	s_clause 0x1
	global_load_b32 v129, v[134:135], off
	global_load_b32 v133, v[4:5], off offset:184
	s_wait_loadcnt 0x1
	global_store_b32 v[4:5], v129, off offset:184
	s_wait_loadcnt 0x0
	global_store_b32 v[134:135], v133, off
.LBB118_980:
	s_wait_xcnt 0x0
	s_or_b32 exec_lo, exec_lo, s12
	v_dual_mov_b32 v134, v128 :: v_dual_mov_b32 v133, v128
.LBB118_981:
	s_or_b32 exec_lo, exec_lo, s1
.LBB118_982:
	s_and_not1_saveexec_b32 s0, s0
	s_cbranch_execz .LBB118_984
; %bb.983:
	v_mov_b32_e32 v134, 46
	ds_store_2addr_b64 v130, v[10:11], v[46:47] offset0:47 offset1:48
	ds_store_2addr_b64 v130, v[44:45], v[48:49] offset0:49 offset1:50
	;; [unrolled: 1-line block ×6, first 2 shown]
	ds_store_b64 v130, v[124:125] offset:472
.LBB118_984:
	s_or_b32 exec_lo, exec_lo, s0
	s_delay_alu instid0(SALU_CYCLE_1)
	s_mov_b32 s0, exec_lo
	s_wait_storecnt_dscnt 0x0
	s_barrier_signal -1
	s_barrier_wait -1
	v_cmpx_lt_i32_e32 46, v134
	s_cbranch_execz .LBB118_986
; %bb.985:
	v_pk_mul_f32 v[128:129], v[126:127], v[52:53] op_sel:[1,1] op_sel_hi:[0,1]
	s_delay_alu instid0(VALU_DEP_1)
	v_pk_fma_f32 v[136:137], v[126:127], v[52:53], v[128:129] op_sel_hi:[1,0,1] neg_lo:[0,0,1] neg_hi:[0,0,1]
	v_pk_fma_f32 v[138:139], v[126:127], v[52:53], v[128:129] op_sel_hi:[1,0,1]
	ds_load_2addr_b64 v[126:129], v130 offset0:47 offset1:48
	v_dual_mov_b32 v52, v136 :: v_dual_mov_b32 v53, v139
	s_wait_dscnt 0x0
	v_pk_mul_f32 v[140:141], v[126:127], v[138:139] op_sel:[0,1]
	s_delay_alu instid0(VALU_DEP_1) | instskip(SKIP_1) | instid1(VALU_DEP_1)
	v_pk_fma_f32 v[142:143], v[126:127], v[136:137], v[140:141] op_sel:[0,0,1] op_sel_hi:[1,1,0] neg_lo:[0,0,1] neg_hi:[0,0,1]
	v_pk_fma_f32 v[126:127], v[126:127], v[136:137], v[140:141] op_sel:[0,0,1] op_sel_hi:[1,0,0]
	v_mov_b32_e32 v143, v127
	v_pk_mul_f32 v[126:127], v[128:129], v[138:139] op_sel:[0,1]
	s_delay_alu instid0(VALU_DEP_1) | instskip(SKIP_1) | instid1(VALU_DEP_1)
	v_pk_fma_f32 v[140:141], v[128:129], v[136:137], v[126:127] op_sel:[0,0,1] op_sel_hi:[1,1,0] neg_lo:[0,0,1] neg_hi:[0,0,1]
	v_pk_fma_f32 v[126:127], v[128:129], v[136:137], v[126:127] op_sel:[0,0,1] op_sel_hi:[1,0,0]
	v_mov_b32_e32 v141, v127
	ds_load_2addr_b64 v[126:129], v130 offset0:49 offset1:50
	v_pk_add_f32 v[10:11], v[10:11], v[142:143] neg_lo:[0,1] neg_hi:[0,1]
	v_pk_add_f32 v[46:47], v[46:47], v[140:141] neg_lo:[0,1] neg_hi:[0,1]
	s_wait_dscnt 0x0
	v_pk_mul_f32 v[140:141], v[126:127], v[138:139] op_sel:[0,1]
	s_delay_alu instid0(VALU_DEP_1) | instskip(SKIP_2) | instid1(VALU_DEP_2)
	v_pk_fma_f32 v[142:143], v[126:127], v[136:137], v[140:141] op_sel:[0,0,1] op_sel_hi:[1,1,0] neg_lo:[0,0,1] neg_hi:[0,0,1]
	v_pk_fma_f32 v[126:127], v[126:127], v[136:137], v[140:141] op_sel:[0,0,1] op_sel_hi:[1,0,0]
	v_dual_mul_f32 v140, v129, v139 :: v_dual_mov_b32 v126, v129
	v_dual_mov_b32 v143, v127 :: v_dual_mov_b32 v127, v128
	s_delay_alu instid0(VALU_DEP_2) | instskip(SKIP_1) | instid1(VALU_DEP_3)
	v_pk_fma_f32 v[140:141], v[128:129], v[52:53], v[140:141] op_sel_hi:[1,1,0] neg_lo:[0,0,1] neg_hi:[0,0,1]
	v_mul_f32_e32 v128, v129, v136
	v_pk_add_f32 v[44:45], v[44:45], v[142:143] neg_lo:[0,1] neg_hi:[0,1]
	s_delay_alu instid0(VALU_DEP_2) | instskip(NEXT) | instid1(VALU_DEP_1)
	v_pk_fma_f32 v[126:127], v[126:127], v[52:53], v[128:129] op_sel_hi:[1,1,0]
	v_mov_b32_e32 v141, v127
	ds_load_2addr_b64 v[126:129], v130 offset0:51 offset1:52
	v_pk_add_f32 v[48:49], v[48:49], v[140:141] neg_lo:[0,1] neg_hi:[0,1]
	s_wait_dscnt 0x0
	v_pk_mul_f32 v[140:141], v[126:127], v[138:139] op_sel:[0,1]
	s_delay_alu instid0(VALU_DEP_1) | instskip(SKIP_1) | instid1(VALU_DEP_1)
	v_pk_fma_f32 v[142:143], v[126:127], v[136:137], v[140:141] op_sel:[0,0,1] op_sel_hi:[1,1,0] neg_lo:[0,0,1] neg_hi:[0,0,1]
	v_pk_fma_f32 v[126:127], v[126:127], v[136:137], v[140:141] op_sel:[0,0,1] op_sel_hi:[1,0,0]
	v_mov_b32_e32 v143, v127
	v_pk_mul_f32 v[126:127], v[128:129], v[138:139] op_sel:[0,1]
	s_delay_alu instid0(VALU_DEP_1) | instskip(SKIP_1) | instid1(VALU_DEP_1)
	v_pk_fma_f32 v[140:141], v[128:129], v[136:137], v[126:127] op_sel:[0,0,1] op_sel_hi:[1,1,0] neg_lo:[0,0,1] neg_hi:[0,0,1]
	v_pk_fma_f32 v[126:127], v[128:129], v[136:137], v[126:127] op_sel:[0,0,1] op_sel_hi:[1,0,0]
	v_mov_b32_e32 v141, v127
	ds_load_2addr_b64 v[126:129], v130 offset0:53 offset1:54
	v_pk_add_f32 v[8:9], v[8:9], v[142:143] neg_lo:[0,1] neg_hi:[0,1]
	v_pk_add_f32 v[34:35], v[34:35], v[140:141] neg_lo:[0,1] neg_hi:[0,1]
	s_wait_dscnt 0x0
	v_pk_mul_f32 v[140:141], v[126:127], v[138:139] op_sel:[0,1]
	s_delay_alu instid0(VALU_DEP_1) | instskip(SKIP_1) | instid1(VALU_DEP_1)
	v_pk_fma_f32 v[142:143], v[126:127], v[136:137], v[140:141] op_sel:[0,0,1] op_sel_hi:[1,1,0] neg_lo:[0,0,1] neg_hi:[0,0,1]
	v_pk_fma_f32 v[126:127], v[126:127], v[136:137], v[140:141] op_sel:[0,0,1] op_sel_hi:[1,0,0]
	v_mov_b32_e32 v143, v127
	v_pk_mul_f32 v[126:127], v[128:129], v[138:139] op_sel:[0,1]
	s_delay_alu instid0(VALU_DEP_1) | instskip(SKIP_1) | instid1(VALU_DEP_1)
	v_pk_fma_f32 v[140:141], v[128:129], v[136:137], v[126:127] op_sel:[0,0,1] op_sel_hi:[1,1,0] neg_lo:[0,0,1] neg_hi:[0,0,1]
	v_pk_fma_f32 v[126:127], v[128:129], v[136:137], v[126:127] op_sel:[0,0,1] op_sel_hi:[1,0,0]
	v_mov_b32_e32 v141, v127
	ds_load_2addr_b64 v[126:129], v130 offset0:55 offset1:56
	v_pk_add_f32 v[28:29], v[28:29], v[142:143] neg_lo:[0,1] neg_hi:[0,1]
	v_pk_add_f32 v[32:33], v[32:33], v[140:141] neg_lo:[0,1] neg_hi:[0,1]
	s_wait_dscnt 0x0
	v_dual_mul_f32 v140, v127, v139 :: v_dual_mul_f32 v142, v127, v136
	s_delay_alu instid0(VALU_DEP_1) | instskip(NEXT) | instid1(VALU_DEP_2)
	v_pk_fma_f32 v[140:141], v[126:127], v[52:53], v[140:141] op_sel_hi:[1,1,0] neg_lo:[0,0,1] neg_hi:[0,0,1]
	v_pk_fma_f32 v[126:127], v[126:127], v[52:53], v[142:143] op_sel:[1,0,0] op_sel_hi:[0,1,0]
	s_delay_alu instid0(VALU_DEP_1) | instskip(SKIP_1) | instid1(VALU_DEP_2)
	v_mov_b32_e32 v141, v127
	v_pk_mul_f32 v[126:127], v[128:129], v[138:139] op_sel:[0,1]
	v_pk_add_f32 v[6:7], v[6:7], v[140:141] neg_lo:[0,1] neg_hi:[0,1]
	s_delay_alu instid0(VALU_DEP_2) | instskip(SKIP_1) | instid1(VALU_DEP_1)
	v_pk_fma_f32 v[140:141], v[128:129], v[136:137], v[126:127] op_sel:[0,0,1] op_sel_hi:[1,1,0] neg_lo:[0,0,1] neg_hi:[0,0,1]
	v_pk_fma_f32 v[126:127], v[128:129], v[136:137], v[126:127] op_sel:[0,0,1] op_sel_hi:[1,0,0]
	v_mov_b32_e32 v141, v127
	ds_load_2addr_b64 v[126:129], v130 offset0:57 offset1:58
	v_pk_add_f32 v[26:27], v[26:27], v[140:141] neg_lo:[0,1] neg_hi:[0,1]
	s_wait_dscnt 0x0
	v_pk_mul_f32 v[140:141], v[126:127], v[138:139] op_sel:[0,1]
	s_delay_alu instid0(VALU_DEP_1) | instskip(SKIP_1) | instid1(VALU_DEP_1)
	v_pk_fma_f32 v[142:143], v[126:127], v[136:137], v[140:141] op_sel:[0,0,1] op_sel_hi:[1,1,0] neg_lo:[0,0,1] neg_hi:[0,0,1]
	v_pk_fma_f32 v[126:127], v[126:127], v[136:137], v[140:141] op_sel:[0,0,1] op_sel_hi:[1,0,0]
	v_mov_b32_e32 v143, v127
	v_pk_mul_f32 v[126:127], v[128:129], v[138:139] op_sel:[0,1]
	s_delay_alu instid0(VALU_DEP_2) | instskip(NEXT) | instid1(VALU_DEP_2)
	v_pk_add_f32 v[16:17], v[16:17], v[142:143] neg_lo:[0,1] neg_hi:[0,1]
	v_pk_fma_f32 v[140:141], v[128:129], v[136:137], v[126:127] op_sel:[0,0,1] op_sel_hi:[1,1,0] neg_lo:[0,0,1] neg_hi:[0,0,1]
	v_pk_fma_f32 v[126:127], v[128:129], v[136:137], v[126:127] op_sel:[0,0,1] op_sel_hi:[1,0,0]
	s_delay_alu instid0(VALU_DEP_1) | instskip(SKIP_4) | instid1(VALU_DEP_1)
	v_mov_b32_e32 v141, v127
	ds_load_b64 v[126:127], v130 offset:472
	v_pk_add_f32 v[14:15], v[14:15], v[140:141] neg_lo:[0,1] neg_hi:[0,1]
	s_wait_dscnt 0x0
	v_pk_mul_f32 v[128:129], v[126:127], v[138:139] op_sel:[0,1]
	v_pk_fma_f32 v[138:139], v[126:127], v[136:137], v[128:129] op_sel:[0,0,1] op_sel_hi:[1,1,0] neg_lo:[0,0,1] neg_hi:[0,0,1]
	v_pk_fma_f32 v[126:127], v[126:127], v[136:137], v[128:129] op_sel:[0,0,1] op_sel_hi:[1,0,0]
	s_delay_alu instid0(VALU_DEP_1) | instskip(NEXT) | instid1(VALU_DEP_1)
	v_mov_b32_e32 v139, v127
	v_pk_add_f32 v[124:125], v[124:125], v[138:139] neg_lo:[0,1] neg_hi:[0,1]
.LBB118_986:
	s_or_b32 exec_lo, exec_lo, s0
	v_lshl_add_u32 v126, v134, 3, v130
	s_barrier_signal -1
	s_barrier_wait -1
	ds_store_b64 v126, v[10:11]
	s_wait_dscnt 0x0
	s_barrier_signal -1
	s_barrier_wait -1
	ds_load_b64 v[126:127], v130 offset:376
	v_mov_b32_e32 v128, 47
	s_cmp_lt_i32 s18, 49
	s_cbranch_scc1 .LBB118_989
; %bb.987:
	v_add3_u32 v129, v131, 0, 0x180
	v_mov_b32_e32 v128, 47
	s_mov_b32 s0, 48
.LBB118_988:                            ; =>This Inner Loop Header: Depth=1
	ds_load_b64 v[136:137], v129
	s_wait_dscnt 0x1
	v_cmp_gt_f32_e32 vcc_lo, 0, v126
	v_cndmask_b32_e64 v138, v126, -v126, vcc_lo
	v_cmp_gt_f32_e32 vcc_lo, 0, v127
	v_cndmask_b32_e64 v140, v127, -v127, vcc_lo
	s_wait_dscnt 0x0
	v_cmp_gt_f32_e32 vcc_lo, 0, v136
	v_cndmask_b32_e64 v139, v136, -v136, vcc_lo
	v_cmp_gt_f32_e32 vcc_lo, 0, v137
	v_cndmask_b32_e64 v141, v137, -v137, vcc_lo
	s_delay_alu instid0(VALU_DEP_1) | instskip(NEXT) | instid1(VALU_DEP_1)
	v_pk_add_f32 v[138:139], v[138:139], v[140:141]
	v_cmp_lt_f32_e32 vcc_lo, v138, v139
	v_dual_cndmask_b32 v126, v126, v136 :: v_dual_add_nc_u32 v129, 8, v129
	v_cndmask_b32_e32 v127, v127, v137, vcc_lo
	v_cndmask_b32_e64 v128, v128, s0, vcc_lo
	s_add_co_i32 s0, s0, 1
	s_delay_alu instid0(SALU_CYCLE_1)
	s_cmp_lg_u32 s18, s0
	s_cbranch_scc1 .LBB118_988
.LBB118_989:
	s_wait_dscnt 0x0
	v_cmp_eq_f32_e32 vcc_lo, 0, v126
	v_cmp_eq_f32_e64 s0, 0, v127
	s_and_b32 s0, vcc_lo, s0
	s_delay_alu instid0(SALU_CYCLE_1) | instskip(NEXT) | instid1(SALU_CYCLE_1)
	s_and_saveexec_b32 s1, s0
	s_xor_b32 s0, exec_lo, s1
; %bb.990:
	v_cmp_ne_u32_e32 vcc_lo, 0, v132
	v_cndmask_b32_e32 v132, 48, v132, vcc_lo
; %bb.991:
	s_and_not1_saveexec_b32 s0, s0
	s_cbranch_execz .LBB118_997
; %bb.992:
	v_cmp_ngt_f32_e64 s1, |v126|, |v127|
	s_and_saveexec_b32 s12, s1
	s_delay_alu instid0(SALU_CYCLE_1)
	s_xor_b32 s1, exec_lo, s12
	s_cbranch_execz .LBB118_994
; %bb.993:
	v_div_scale_f32 v129, null, v127, v127, v126
	v_div_scale_f32 v137, vcc_lo, v126, v127, v126
	s_delay_alu instid0(VALU_DEP_2) | instskip(SKIP_1) | instid1(TRANS32_DEP_1)
	v_rcp_f32_e32 v135, v129
	v_nop
	v_fma_f32 v136, -v129, v135, 1.0
	s_delay_alu instid0(VALU_DEP_1) | instskip(NEXT) | instid1(VALU_DEP_1)
	v_fmac_f32_e32 v135, v136, v135
	v_mul_f32_e32 v136, v137, v135
	s_delay_alu instid0(VALU_DEP_1) | instskip(NEXT) | instid1(VALU_DEP_1)
	v_fma_f32 v138, -v129, v136, v137
	v_fmac_f32_e32 v136, v138, v135
	s_delay_alu instid0(VALU_DEP_1) | instskip(NEXT) | instid1(VALU_DEP_1)
	v_fma_f32 v129, -v129, v136, v137
	v_div_fmas_f32 v129, v129, v135, v136
	s_delay_alu instid0(VALU_DEP_1) | instskip(NEXT) | instid1(VALU_DEP_1)
	v_div_fixup_f32 v129, v129, v127, v126
	v_fmac_f32_e32 v127, v126, v129
	s_delay_alu instid0(VALU_DEP_1) | instskip(SKIP_1) | instid1(VALU_DEP_2)
	v_div_scale_f32 v126, null, v127, v127, 1.0
	v_div_scale_f32 v137, vcc_lo, 1.0, v127, 1.0
	v_rcp_f32_e32 v135, v126
	v_nop
	s_delay_alu instid0(TRANS32_DEP_1) | instskip(NEXT) | instid1(VALU_DEP_1)
	v_fma_f32 v136, -v126, v135, 1.0
	v_fmac_f32_e32 v135, v136, v135
	s_delay_alu instid0(VALU_DEP_1) | instskip(NEXT) | instid1(VALU_DEP_1)
	v_mul_f32_e32 v136, v137, v135
	v_fma_f32 v138, -v126, v136, v137
	s_delay_alu instid0(VALU_DEP_1) | instskip(NEXT) | instid1(VALU_DEP_1)
	v_fmac_f32_e32 v136, v138, v135
	v_fma_f32 v126, -v126, v136, v137
	s_delay_alu instid0(VALU_DEP_1) | instskip(NEXT) | instid1(VALU_DEP_1)
	v_div_fmas_f32 v126, v126, v135, v136
	v_div_fixup_f32 v127, v126, v127, 1.0
	s_delay_alu instid0(VALU_DEP_1)
	v_mul_f32_e32 v126, v129, v127
	v_xor_b32_e32 v127, 0x80000000, v127
.LBB118_994:
	s_and_not1_saveexec_b32 s1, s1
	s_cbranch_execz .LBB118_996
; %bb.995:
	s_delay_alu instid0(VALU_DEP_1) | instskip(SKIP_1) | instid1(VALU_DEP_2)
	v_div_scale_f32 v129, null, v126, v126, v127
	v_div_scale_f32 v137, vcc_lo, v127, v126, v127
	v_rcp_f32_e32 v135, v129
	v_nop
	s_delay_alu instid0(TRANS32_DEP_1) | instskip(NEXT) | instid1(VALU_DEP_1)
	v_fma_f32 v136, -v129, v135, 1.0
	v_fmac_f32_e32 v135, v136, v135
	s_delay_alu instid0(VALU_DEP_1) | instskip(NEXT) | instid1(VALU_DEP_1)
	v_mul_f32_e32 v136, v137, v135
	v_fma_f32 v138, -v129, v136, v137
	s_delay_alu instid0(VALU_DEP_1) | instskip(NEXT) | instid1(VALU_DEP_1)
	v_fmac_f32_e32 v136, v138, v135
	v_fma_f32 v129, -v129, v136, v137
	s_delay_alu instid0(VALU_DEP_1) | instskip(NEXT) | instid1(VALU_DEP_1)
	v_div_fmas_f32 v129, v129, v135, v136
	v_div_fixup_f32 v129, v129, v126, v127
	s_delay_alu instid0(VALU_DEP_1) | instskip(NEXT) | instid1(VALU_DEP_1)
	v_fmac_f32_e32 v126, v127, v129
	v_div_scale_f32 v127, null, v126, v126, 1.0
	s_delay_alu instid0(VALU_DEP_1) | instskip(SKIP_1) | instid1(TRANS32_DEP_1)
	v_rcp_f32_e32 v135, v127
	v_nop
	v_fma_f32 v136, -v127, v135, 1.0
	s_delay_alu instid0(VALU_DEP_1) | instskip(SKIP_1) | instid1(VALU_DEP_1)
	v_fmac_f32_e32 v135, v136, v135
	v_div_scale_f32 v136, vcc_lo, 1.0, v126, 1.0
	v_mul_f32_e32 v137, v136, v135
	s_delay_alu instid0(VALU_DEP_1) | instskip(NEXT) | instid1(VALU_DEP_1)
	v_fma_f32 v138, -v127, v137, v136
	v_fmac_f32_e32 v137, v138, v135
	s_delay_alu instid0(VALU_DEP_1) | instskip(NEXT) | instid1(VALU_DEP_1)
	v_fma_f32 v127, -v127, v137, v136
	v_div_fmas_f32 v127, v127, v135, v137
	s_delay_alu instid0(VALU_DEP_1) | instskip(NEXT) | instid1(VALU_DEP_1)
	v_div_fixup_f32 v126, v127, v126, 1.0
	v_mul_f32_e64 v127, v129, -v126
.LBB118_996:
	s_or_b32 exec_lo, exec_lo, s1
.LBB118_997:
	s_delay_alu instid0(SALU_CYCLE_1) | instskip(NEXT) | instid1(SALU_CYCLE_1)
	s_or_b32 exec_lo, exec_lo, s0
	s_mov_b32 s0, exec_lo
	v_cmpx_ne_u32_e64 v134, v128
	s_xor_b32 s0, exec_lo, s0
	s_cbranch_execz .LBB118_1003
; %bb.998:
	s_mov_b32 s1, exec_lo
	v_cmpx_eq_u32_e32 47, v134
	s_cbranch_execz .LBB118_1002
; %bb.999:
	v_cmp_ne_u32_e32 vcc_lo, 47, v128
	s_xor_b32 s12, s16, -1
	s_delay_alu instid0(SALU_CYCLE_1) | instskip(NEXT) | instid1(SALU_CYCLE_1)
	s_and_b32 s13, s12, vcc_lo
	s_and_saveexec_b32 s12, s13
	s_cbranch_execz .LBB118_1001
; %bb.1000:
	v_ashrrev_i32_e32 v129, 31, v128
	s_delay_alu instid0(VALU_DEP_1)
	v_lshl_add_u64 v[134:135], v[128:129], 2, v[4:5]
	s_clause 0x1
	global_load_b32 v129, v[134:135], off
	global_load_b32 v133, v[4:5], off offset:188
	s_wait_loadcnt 0x1
	global_store_b32 v[4:5], v129, off offset:188
	s_wait_loadcnt 0x0
	global_store_b32 v[134:135], v133, off
.LBB118_1001:
	s_wait_xcnt 0x0
	s_or_b32 exec_lo, exec_lo, s12
	v_dual_mov_b32 v134, v128 :: v_dual_mov_b32 v133, v128
.LBB118_1002:
	s_or_b32 exec_lo, exec_lo, s1
.LBB118_1003:
	s_and_not1_saveexec_b32 s0, s0
	s_cbranch_execz .LBB118_1005
; %bb.1004:
	v_dual_mov_b32 v128, v46 :: v_dual_mov_b32 v129, v47
	v_dual_mov_b32 v134, v44 :: v_dual_mov_b32 v135, v45
	;; [unrolled: 1-line block ×4, first 2 shown]
	ds_store_2addr_b64 v130, v[128:129], v[134:135] offset0:48 offset1:49
	ds_store_2addr_b64 v130, v[136:137], v[138:139] offset0:50 offset1:51
	v_dual_mov_b32 v128, v34 :: v_dual_mov_b32 v129, v35
	v_dual_mov_b32 v136, v28 :: v_dual_mov_b32 v137, v29
	;; [unrolled: 1-line block ×7, first 2 shown]
	v_mov_b32_e32 v147, v15
	ds_store_2addr_b64 v130, v[128:129], v[136:137] offset0:52 offset1:53
	ds_store_2addr_b64 v130, v[138:139], v[140:141] offset0:54 offset1:55
	;; [unrolled: 1-line block ×4, first 2 shown]
.LBB118_1005:
	s_or_b32 exec_lo, exec_lo, s0
	s_delay_alu instid0(SALU_CYCLE_1)
	s_mov_b32 s0, exec_lo
	s_wait_storecnt_dscnt 0x0
	s_barrier_signal -1
	s_barrier_wait -1
	v_cmpx_lt_i32_e32 47, v134
	s_cbranch_execz .LBB118_1007
; %bb.1006:
	v_pk_mul_f32 v[128:129], v[126:127], v[10:11] op_sel:[1,1] op_sel_hi:[0,1]
	s_delay_alu instid0(VALU_DEP_1)
	v_pk_fma_f32 v[136:137], v[126:127], v[10:11], v[128:129] op_sel_hi:[1,0,1] neg_lo:[0,0,1] neg_hi:[0,0,1]
	v_pk_fma_f32 v[138:139], v[126:127], v[10:11], v[128:129] op_sel_hi:[1,0,1]
	ds_load_2addr_b64 v[126:129], v130 offset0:48 offset1:49
	v_dual_mov_b32 v10, v136 :: v_dual_mov_b32 v11, v139
	s_wait_dscnt 0x0
	v_pk_mul_f32 v[140:141], v[126:127], v[138:139] op_sel:[0,1]
	s_delay_alu instid0(VALU_DEP_1) | instskip(SKIP_1) | instid1(VALU_DEP_1)
	v_pk_fma_f32 v[142:143], v[126:127], v[136:137], v[140:141] op_sel:[0,0,1] op_sel_hi:[1,1,0] neg_lo:[0,0,1] neg_hi:[0,0,1]
	v_pk_fma_f32 v[126:127], v[126:127], v[136:137], v[140:141] op_sel:[0,0,1] op_sel_hi:[1,0,0]
	v_mov_b32_e32 v143, v127
	v_pk_mul_f32 v[126:127], v[128:129], v[138:139] op_sel:[0,1]
	s_delay_alu instid0(VALU_DEP_1) | instskip(SKIP_1) | instid1(VALU_DEP_1)
	v_pk_fma_f32 v[140:141], v[128:129], v[136:137], v[126:127] op_sel:[0,0,1] op_sel_hi:[1,1,0] neg_lo:[0,0,1] neg_hi:[0,0,1]
	v_pk_fma_f32 v[126:127], v[128:129], v[136:137], v[126:127] op_sel:[0,0,1] op_sel_hi:[1,0,0]
	v_mov_b32_e32 v141, v127
	ds_load_2addr_b64 v[126:129], v130 offset0:50 offset1:51
	v_pk_add_f32 v[46:47], v[46:47], v[142:143] neg_lo:[0,1] neg_hi:[0,1]
	v_pk_add_f32 v[44:45], v[44:45], v[140:141] neg_lo:[0,1] neg_hi:[0,1]
	s_wait_dscnt 0x0
	v_pk_mul_f32 v[140:141], v[126:127], v[138:139] op_sel:[0,1]
	s_delay_alu instid0(VALU_DEP_1) | instskip(SKIP_2) | instid1(VALU_DEP_2)
	v_pk_fma_f32 v[142:143], v[126:127], v[136:137], v[140:141] op_sel:[0,0,1] op_sel_hi:[1,1,0] neg_lo:[0,0,1] neg_hi:[0,0,1]
	v_pk_fma_f32 v[126:127], v[126:127], v[136:137], v[140:141] op_sel:[0,0,1] op_sel_hi:[1,0,0]
	v_dual_mul_f32 v140, v129, v139 :: v_dual_mov_b32 v126, v129
	v_dual_mov_b32 v143, v127 :: v_dual_mov_b32 v127, v128
	s_delay_alu instid0(VALU_DEP_2) | instskip(SKIP_1) | instid1(VALU_DEP_3)
	v_pk_fma_f32 v[140:141], v[128:129], v[10:11], v[140:141] op_sel_hi:[1,1,0] neg_lo:[0,0,1] neg_hi:[0,0,1]
	v_mul_f32_e32 v128, v129, v136
	v_pk_add_f32 v[48:49], v[48:49], v[142:143] neg_lo:[0,1] neg_hi:[0,1]
	s_delay_alu instid0(VALU_DEP_2) | instskip(NEXT) | instid1(VALU_DEP_1)
	v_pk_fma_f32 v[126:127], v[126:127], v[10:11], v[128:129] op_sel_hi:[1,1,0]
	v_mov_b32_e32 v141, v127
	ds_load_2addr_b64 v[126:129], v130 offset0:52 offset1:53
	v_pk_add_f32 v[8:9], v[8:9], v[140:141] neg_lo:[0,1] neg_hi:[0,1]
	s_wait_dscnt 0x0
	v_pk_mul_f32 v[140:141], v[126:127], v[138:139] op_sel:[0,1]
	s_delay_alu instid0(VALU_DEP_1) | instskip(SKIP_1) | instid1(VALU_DEP_1)
	v_pk_fma_f32 v[142:143], v[126:127], v[136:137], v[140:141] op_sel:[0,0,1] op_sel_hi:[1,1,0] neg_lo:[0,0,1] neg_hi:[0,0,1]
	v_pk_fma_f32 v[126:127], v[126:127], v[136:137], v[140:141] op_sel:[0,0,1] op_sel_hi:[1,0,0]
	v_mov_b32_e32 v143, v127
	v_pk_mul_f32 v[126:127], v[128:129], v[138:139] op_sel:[0,1]
	s_delay_alu instid0(VALU_DEP_1) | instskip(SKIP_1) | instid1(VALU_DEP_1)
	v_pk_fma_f32 v[140:141], v[128:129], v[136:137], v[126:127] op_sel:[0,0,1] op_sel_hi:[1,1,0] neg_lo:[0,0,1] neg_hi:[0,0,1]
	v_pk_fma_f32 v[126:127], v[128:129], v[136:137], v[126:127] op_sel:[0,0,1] op_sel_hi:[1,0,0]
	v_mov_b32_e32 v141, v127
	ds_load_2addr_b64 v[126:129], v130 offset0:54 offset1:55
	v_pk_add_f32 v[34:35], v[34:35], v[142:143] neg_lo:[0,1] neg_hi:[0,1]
	v_pk_add_f32 v[28:29], v[28:29], v[140:141] neg_lo:[0,1] neg_hi:[0,1]
	s_wait_dscnt 0x0
	v_pk_mul_f32 v[140:141], v[126:127], v[138:139] op_sel:[0,1]
	s_delay_alu instid0(VALU_DEP_1) | instskip(SKIP_1) | instid1(VALU_DEP_1)
	v_pk_fma_f32 v[142:143], v[126:127], v[136:137], v[140:141] op_sel:[0,0,1] op_sel_hi:[1,1,0] neg_lo:[0,0,1] neg_hi:[0,0,1]
	v_pk_fma_f32 v[126:127], v[126:127], v[136:137], v[140:141] op_sel:[0,0,1] op_sel_hi:[1,0,0]
	v_mov_b32_e32 v143, v127
	v_pk_mul_f32 v[126:127], v[128:129], v[138:139] op_sel:[0,1]
	s_delay_alu instid0(VALU_DEP_1) | instskip(SKIP_1) | instid1(VALU_DEP_1)
	v_pk_fma_f32 v[140:141], v[128:129], v[136:137], v[126:127] op_sel:[0,0,1] op_sel_hi:[1,1,0] neg_lo:[0,0,1] neg_hi:[0,0,1]
	v_pk_fma_f32 v[126:127], v[128:129], v[136:137], v[126:127] op_sel:[0,0,1] op_sel_hi:[1,0,0]
	v_mov_b32_e32 v141, v127
	ds_load_2addr_b64 v[126:129], v130 offset0:56 offset1:57
	v_pk_add_f32 v[32:33], v[32:33], v[142:143] neg_lo:[0,1] neg_hi:[0,1]
	v_pk_add_f32 v[6:7], v[6:7], v[140:141] neg_lo:[0,1] neg_hi:[0,1]
	s_wait_dscnt 0x0
	v_dual_mul_f32 v140, v127, v139 :: v_dual_mul_f32 v142, v127, v136
	s_delay_alu instid0(VALU_DEP_1) | instskip(NEXT) | instid1(VALU_DEP_2)
	v_pk_fma_f32 v[140:141], v[126:127], v[10:11], v[140:141] op_sel_hi:[1,1,0] neg_lo:[0,0,1] neg_hi:[0,0,1]
	v_pk_fma_f32 v[126:127], v[126:127], v[10:11], v[142:143] op_sel:[1,0,0] op_sel_hi:[0,1,0]
	s_delay_alu instid0(VALU_DEP_1) | instskip(SKIP_1) | instid1(VALU_DEP_2)
	v_mov_b32_e32 v141, v127
	v_pk_mul_f32 v[126:127], v[128:129], v[138:139] op_sel:[0,1]
	v_pk_add_f32 v[26:27], v[26:27], v[140:141] neg_lo:[0,1] neg_hi:[0,1]
	s_delay_alu instid0(VALU_DEP_2) | instskip(SKIP_1) | instid1(VALU_DEP_1)
	v_pk_fma_f32 v[140:141], v[128:129], v[136:137], v[126:127] op_sel:[0,0,1] op_sel_hi:[1,1,0] neg_lo:[0,0,1] neg_hi:[0,0,1]
	v_pk_fma_f32 v[126:127], v[128:129], v[136:137], v[126:127] op_sel:[0,0,1] op_sel_hi:[1,0,0]
	v_mov_b32_e32 v141, v127
	ds_load_2addr_b64 v[126:129], v130 offset0:58 offset1:59
	v_pk_add_f32 v[16:17], v[16:17], v[140:141] neg_lo:[0,1] neg_hi:[0,1]
	s_wait_dscnt 0x0
	v_pk_mul_f32 v[140:141], v[126:127], v[138:139] op_sel:[0,1]
	v_mul_f32_e32 v138, v129, v139
	s_delay_alu instid0(VALU_DEP_2) | instskip(SKIP_2) | instid1(VALU_DEP_4)
	v_pk_fma_f32 v[142:143], v[126:127], v[136:137], v[140:141] op_sel:[0,0,1] op_sel_hi:[1,1,0] neg_lo:[0,0,1] neg_hi:[0,0,1]
	v_pk_fma_f32 v[126:127], v[126:127], v[136:137], v[140:141] op_sel:[0,0,1] op_sel_hi:[1,0,0]
	v_mov_b32_e32 v126, v129
	v_pk_fma_f32 v[138:139], v[128:129], v[10:11], v[138:139] op_sel_hi:[1,1,0] neg_lo:[0,0,1] neg_hi:[0,0,1]
	s_delay_alu instid0(VALU_DEP_3) | instskip(SKIP_1) | instid1(VALU_DEP_2)
	v_dual_mov_b32 v143, v127 :: v_dual_mov_b32 v127, v128
	v_mul_f32_e32 v128, v129, v136
	v_pk_add_f32 v[14:15], v[14:15], v[142:143] neg_lo:[0,1] neg_hi:[0,1]
	s_delay_alu instid0(VALU_DEP_2) | instskip(NEXT) | instid1(VALU_DEP_1)
	v_pk_fma_f32 v[126:127], v[126:127], v[10:11], v[128:129] op_sel_hi:[1,1,0]
	v_mov_b32_e32 v139, v127
	s_delay_alu instid0(VALU_DEP_1)
	v_pk_add_f32 v[124:125], v[124:125], v[138:139] neg_lo:[0,1] neg_hi:[0,1]
.LBB118_1007:
	s_or_b32 exec_lo, exec_lo, s0
	v_lshl_add_u32 v126, v134, 3, v130
	s_barrier_signal -1
	s_barrier_wait -1
	ds_store_b64 v126, v[46:47]
	s_wait_dscnt 0x0
	s_barrier_signal -1
	s_barrier_wait -1
	ds_load_b64 v[126:127], v130 offset:384
	v_mov_b32_e32 v128, 48
	s_cmp_lt_i32 s18, 50
	s_cbranch_scc1 .LBB118_1010
; %bb.1008:
	v_add3_u32 v129, v131, 0, 0x188
	v_mov_b32_e32 v128, 48
	s_mov_b32 s0, 49
.LBB118_1009:                           ; =>This Inner Loop Header: Depth=1
	ds_load_b64 v[136:137], v129
	s_wait_dscnt 0x1
	v_cmp_gt_f32_e32 vcc_lo, 0, v126
	v_cndmask_b32_e64 v138, v126, -v126, vcc_lo
	v_cmp_gt_f32_e32 vcc_lo, 0, v127
	v_cndmask_b32_e64 v140, v127, -v127, vcc_lo
	s_wait_dscnt 0x0
	v_cmp_gt_f32_e32 vcc_lo, 0, v136
	v_cndmask_b32_e64 v139, v136, -v136, vcc_lo
	v_cmp_gt_f32_e32 vcc_lo, 0, v137
	v_cndmask_b32_e64 v141, v137, -v137, vcc_lo
	s_delay_alu instid0(VALU_DEP_1) | instskip(NEXT) | instid1(VALU_DEP_1)
	v_pk_add_f32 v[138:139], v[138:139], v[140:141]
	v_cmp_lt_f32_e32 vcc_lo, v138, v139
	v_dual_cndmask_b32 v126, v126, v136 :: v_dual_add_nc_u32 v129, 8, v129
	v_cndmask_b32_e32 v127, v127, v137, vcc_lo
	v_cndmask_b32_e64 v128, v128, s0, vcc_lo
	s_add_co_i32 s0, s0, 1
	s_delay_alu instid0(SALU_CYCLE_1)
	s_cmp_lg_u32 s18, s0
	s_cbranch_scc1 .LBB118_1009
.LBB118_1010:
	s_wait_dscnt 0x0
	v_cmp_eq_f32_e32 vcc_lo, 0, v126
	v_cmp_eq_f32_e64 s0, 0, v127
	s_and_b32 s0, vcc_lo, s0
	s_delay_alu instid0(SALU_CYCLE_1) | instskip(NEXT) | instid1(SALU_CYCLE_1)
	s_and_saveexec_b32 s1, s0
	s_xor_b32 s0, exec_lo, s1
; %bb.1011:
	v_cmp_ne_u32_e32 vcc_lo, 0, v132
	v_cndmask_b32_e32 v132, 49, v132, vcc_lo
; %bb.1012:
	s_and_not1_saveexec_b32 s0, s0
	s_cbranch_execz .LBB118_1018
; %bb.1013:
	v_cmp_ngt_f32_e64 s1, |v126|, |v127|
	s_and_saveexec_b32 s12, s1
	s_delay_alu instid0(SALU_CYCLE_1)
	s_xor_b32 s1, exec_lo, s12
	s_cbranch_execz .LBB118_1015
; %bb.1014:
	v_div_scale_f32 v129, null, v127, v127, v126
	v_div_scale_f32 v137, vcc_lo, v126, v127, v126
	s_delay_alu instid0(VALU_DEP_2) | instskip(SKIP_1) | instid1(TRANS32_DEP_1)
	v_rcp_f32_e32 v135, v129
	v_nop
	v_fma_f32 v136, -v129, v135, 1.0
	s_delay_alu instid0(VALU_DEP_1) | instskip(NEXT) | instid1(VALU_DEP_1)
	v_fmac_f32_e32 v135, v136, v135
	v_mul_f32_e32 v136, v137, v135
	s_delay_alu instid0(VALU_DEP_1) | instskip(NEXT) | instid1(VALU_DEP_1)
	v_fma_f32 v138, -v129, v136, v137
	v_fmac_f32_e32 v136, v138, v135
	s_delay_alu instid0(VALU_DEP_1) | instskip(NEXT) | instid1(VALU_DEP_1)
	v_fma_f32 v129, -v129, v136, v137
	v_div_fmas_f32 v129, v129, v135, v136
	s_delay_alu instid0(VALU_DEP_1) | instskip(NEXT) | instid1(VALU_DEP_1)
	v_div_fixup_f32 v129, v129, v127, v126
	v_fmac_f32_e32 v127, v126, v129
	s_delay_alu instid0(VALU_DEP_1) | instskip(SKIP_1) | instid1(VALU_DEP_2)
	v_div_scale_f32 v126, null, v127, v127, 1.0
	v_div_scale_f32 v137, vcc_lo, 1.0, v127, 1.0
	v_rcp_f32_e32 v135, v126
	v_nop
	s_delay_alu instid0(TRANS32_DEP_1) | instskip(NEXT) | instid1(VALU_DEP_1)
	v_fma_f32 v136, -v126, v135, 1.0
	v_fmac_f32_e32 v135, v136, v135
	s_delay_alu instid0(VALU_DEP_1) | instskip(NEXT) | instid1(VALU_DEP_1)
	v_mul_f32_e32 v136, v137, v135
	v_fma_f32 v138, -v126, v136, v137
	s_delay_alu instid0(VALU_DEP_1) | instskip(NEXT) | instid1(VALU_DEP_1)
	v_fmac_f32_e32 v136, v138, v135
	v_fma_f32 v126, -v126, v136, v137
	s_delay_alu instid0(VALU_DEP_1) | instskip(NEXT) | instid1(VALU_DEP_1)
	v_div_fmas_f32 v126, v126, v135, v136
	v_div_fixup_f32 v127, v126, v127, 1.0
	s_delay_alu instid0(VALU_DEP_1)
	v_mul_f32_e32 v126, v129, v127
	v_xor_b32_e32 v127, 0x80000000, v127
.LBB118_1015:
	s_and_not1_saveexec_b32 s1, s1
	s_cbranch_execz .LBB118_1017
; %bb.1016:
	s_delay_alu instid0(VALU_DEP_1) | instskip(SKIP_1) | instid1(VALU_DEP_2)
	v_div_scale_f32 v129, null, v126, v126, v127
	v_div_scale_f32 v137, vcc_lo, v127, v126, v127
	v_rcp_f32_e32 v135, v129
	v_nop
	s_delay_alu instid0(TRANS32_DEP_1) | instskip(NEXT) | instid1(VALU_DEP_1)
	v_fma_f32 v136, -v129, v135, 1.0
	v_fmac_f32_e32 v135, v136, v135
	s_delay_alu instid0(VALU_DEP_1) | instskip(NEXT) | instid1(VALU_DEP_1)
	v_mul_f32_e32 v136, v137, v135
	v_fma_f32 v138, -v129, v136, v137
	s_delay_alu instid0(VALU_DEP_1) | instskip(NEXT) | instid1(VALU_DEP_1)
	v_fmac_f32_e32 v136, v138, v135
	v_fma_f32 v129, -v129, v136, v137
	s_delay_alu instid0(VALU_DEP_1) | instskip(NEXT) | instid1(VALU_DEP_1)
	v_div_fmas_f32 v129, v129, v135, v136
	v_div_fixup_f32 v129, v129, v126, v127
	s_delay_alu instid0(VALU_DEP_1) | instskip(NEXT) | instid1(VALU_DEP_1)
	v_fmac_f32_e32 v126, v127, v129
	v_div_scale_f32 v127, null, v126, v126, 1.0
	s_delay_alu instid0(VALU_DEP_1) | instskip(SKIP_1) | instid1(TRANS32_DEP_1)
	v_rcp_f32_e32 v135, v127
	v_nop
	v_fma_f32 v136, -v127, v135, 1.0
	s_delay_alu instid0(VALU_DEP_1) | instskip(SKIP_1) | instid1(VALU_DEP_1)
	v_fmac_f32_e32 v135, v136, v135
	v_div_scale_f32 v136, vcc_lo, 1.0, v126, 1.0
	v_mul_f32_e32 v137, v136, v135
	s_delay_alu instid0(VALU_DEP_1) | instskip(NEXT) | instid1(VALU_DEP_1)
	v_fma_f32 v138, -v127, v137, v136
	v_fmac_f32_e32 v137, v138, v135
	s_delay_alu instid0(VALU_DEP_1) | instskip(NEXT) | instid1(VALU_DEP_1)
	v_fma_f32 v127, -v127, v137, v136
	v_div_fmas_f32 v127, v127, v135, v137
	s_delay_alu instid0(VALU_DEP_1) | instskip(NEXT) | instid1(VALU_DEP_1)
	v_div_fixup_f32 v126, v127, v126, 1.0
	v_mul_f32_e64 v127, v129, -v126
.LBB118_1017:
	s_or_b32 exec_lo, exec_lo, s1
.LBB118_1018:
	s_delay_alu instid0(SALU_CYCLE_1) | instskip(NEXT) | instid1(SALU_CYCLE_1)
	s_or_b32 exec_lo, exec_lo, s0
	s_mov_b32 s0, exec_lo
	v_cmpx_ne_u32_e64 v134, v128
	s_xor_b32 s0, exec_lo, s0
	s_cbranch_execz .LBB118_1024
; %bb.1019:
	s_mov_b32 s1, exec_lo
	v_cmpx_eq_u32_e32 48, v134
	s_cbranch_execz .LBB118_1023
; %bb.1020:
	v_cmp_ne_u32_e32 vcc_lo, 48, v128
	s_xor_b32 s12, s16, -1
	s_delay_alu instid0(SALU_CYCLE_1) | instskip(NEXT) | instid1(SALU_CYCLE_1)
	s_and_b32 s13, s12, vcc_lo
	s_and_saveexec_b32 s12, s13
	s_cbranch_execz .LBB118_1022
; %bb.1021:
	v_ashrrev_i32_e32 v129, 31, v128
	s_delay_alu instid0(VALU_DEP_1)
	v_lshl_add_u64 v[134:135], v[128:129], 2, v[4:5]
	s_clause 0x1
	global_load_b32 v129, v[134:135], off
	global_load_b32 v133, v[4:5], off offset:192
	s_wait_loadcnt 0x1
	global_store_b32 v[4:5], v129, off offset:192
	s_wait_loadcnt 0x0
	global_store_b32 v[134:135], v133, off
.LBB118_1022:
	s_wait_xcnt 0x0
	s_or_b32 exec_lo, exec_lo, s12
	v_dual_mov_b32 v134, v128 :: v_dual_mov_b32 v133, v128
.LBB118_1023:
	s_or_b32 exec_lo, exec_lo, s1
.LBB118_1024:
	s_and_not1_saveexec_b32 s0, s0
	s_cbranch_execz .LBB118_1026
; %bb.1025:
	v_mov_b32_e32 v134, 48
	ds_store_2addr_b64 v130, v[44:45], v[48:49] offset0:49 offset1:50
	ds_store_2addr_b64 v130, v[8:9], v[34:35] offset0:51 offset1:52
	;; [unrolled: 1-line block ×5, first 2 shown]
	ds_store_b64 v130, v[124:125] offset:472
.LBB118_1026:
	s_or_b32 exec_lo, exec_lo, s0
	s_delay_alu instid0(SALU_CYCLE_1)
	s_mov_b32 s0, exec_lo
	s_wait_storecnt_dscnt 0x0
	s_barrier_signal -1
	s_barrier_wait -1
	v_cmpx_lt_i32_e32 48, v134
	s_cbranch_execz .LBB118_1028
; %bb.1027:
	v_pk_mul_f32 v[128:129], v[126:127], v[46:47] op_sel:[1,1] op_sel_hi:[0,1]
	s_delay_alu instid0(VALU_DEP_1)
	v_pk_fma_f32 v[136:137], v[126:127], v[46:47], v[128:129] op_sel_hi:[1,0,1] neg_lo:[0,0,1] neg_hi:[0,0,1]
	v_pk_fma_f32 v[138:139], v[126:127], v[46:47], v[128:129] op_sel_hi:[1,0,1]
	ds_load_2addr_b64 v[126:129], v130 offset0:49 offset1:50
	v_dual_mov_b32 v46, v136 :: v_dual_mov_b32 v47, v139
	s_wait_dscnt 0x0
	v_pk_mul_f32 v[140:141], v[126:127], v[138:139] op_sel:[0,1]
	s_delay_alu instid0(VALU_DEP_1) | instskip(SKIP_1) | instid1(VALU_DEP_1)
	v_pk_fma_f32 v[142:143], v[126:127], v[136:137], v[140:141] op_sel:[0,0,1] op_sel_hi:[1,1,0] neg_lo:[0,0,1] neg_hi:[0,0,1]
	v_pk_fma_f32 v[126:127], v[126:127], v[136:137], v[140:141] op_sel:[0,0,1] op_sel_hi:[1,0,0]
	v_mov_b32_e32 v143, v127
	v_pk_mul_f32 v[126:127], v[128:129], v[138:139] op_sel:[0,1]
	s_delay_alu instid0(VALU_DEP_1) | instskip(SKIP_1) | instid1(VALU_DEP_1)
	v_pk_fma_f32 v[140:141], v[128:129], v[136:137], v[126:127] op_sel:[0,0,1] op_sel_hi:[1,1,0] neg_lo:[0,0,1] neg_hi:[0,0,1]
	v_pk_fma_f32 v[126:127], v[128:129], v[136:137], v[126:127] op_sel:[0,0,1] op_sel_hi:[1,0,0]
	v_mov_b32_e32 v141, v127
	ds_load_2addr_b64 v[126:129], v130 offset0:51 offset1:52
	v_pk_add_f32 v[44:45], v[44:45], v[142:143] neg_lo:[0,1] neg_hi:[0,1]
	v_pk_add_f32 v[48:49], v[48:49], v[140:141] neg_lo:[0,1] neg_hi:[0,1]
	s_wait_dscnt 0x0
	v_pk_mul_f32 v[140:141], v[126:127], v[138:139] op_sel:[0,1]
	s_delay_alu instid0(VALU_DEP_1) | instskip(SKIP_2) | instid1(VALU_DEP_2)
	v_pk_fma_f32 v[142:143], v[126:127], v[136:137], v[140:141] op_sel:[0,0,1] op_sel_hi:[1,1,0] neg_lo:[0,0,1] neg_hi:[0,0,1]
	v_pk_fma_f32 v[126:127], v[126:127], v[136:137], v[140:141] op_sel:[0,0,1] op_sel_hi:[1,0,0]
	v_dual_mul_f32 v140, v129, v139 :: v_dual_mov_b32 v126, v129
	v_dual_mov_b32 v143, v127 :: v_dual_mov_b32 v127, v128
	s_delay_alu instid0(VALU_DEP_2) | instskip(SKIP_1) | instid1(VALU_DEP_3)
	v_pk_fma_f32 v[140:141], v[128:129], v[46:47], v[140:141] op_sel_hi:[1,1,0] neg_lo:[0,0,1] neg_hi:[0,0,1]
	v_mul_f32_e32 v128, v129, v136
	v_pk_add_f32 v[8:9], v[8:9], v[142:143] neg_lo:[0,1] neg_hi:[0,1]
	s_delay_alu instid0(VALU_DEP_2) | instskip(NEXT) | instid1(VALU_DEP_1)
	v_pk_fma_f32 v[126:127], v[126:127], v[46:47], v[128:129] op_sel_hi:[1,1,0]
	v_mov_b32_e32 v141, v127
	ds_load_2addr_b64 v[126:129], v130 offset0:53 offset1:54
	v_pk_add_f32 v[34:35], v[34:35], v[140:141] neg_lo:[0,1] neg_hi:[0,1]
	s_wait_dscnt 0x0
	v_pk_mul_f32 v[140:141], v[126:127], v[138:139] op_sel:[0,1]
	s_delay_alu instid0(VALU_DEP_1) | instskip(SKIP_1) | instid1(VALU_DEP_1)
	v_pk_fma_f32 v[142:143], v[126:127], v[136:137], v[140:141] op_sel:[0,0,1] op_sel_hi:[1,1,0] neg_lo:[0,0,1] neg_hi:[0,0,1]
	v_pk_fma_f32 v[126:127], v[126:127], v[136:137], v[140:141] op_sel:[0,0,1] op_sel_hi:[1,0,0]
	v_mov_b32_e32 v143, v127
	v_pk_mul_f32 v[126:127], v[128:129], v[138:139] op_sel:[0,1]
	s_delay_alu instid0(VALU_DEP_1) | instskip(SKIP_1) | instid1(VALU_DEP_1)
	v_pk_fma_f32 v[140:141], v[128:129], v[136:137], v[126:127] op_sel:[0,0,1] op_sel_hi:[1,1,0] neg_lo:[0,0,1] neg_hi:[0,0,1]
	v_pk_fma_f32 v[126:127], v[128:129], v[136:137], v[126:127] op_sel:[0,0,1] op_sel_hi:[1,0,0]
	v_mov_b32_e32 v141, v127
	ds_load_2addr_b64 v[126:129], v130 offset0:55 offset1:56
	v_pk_add_f32 v[28:29], v[28:29], v[142:143] neg_lo:[0,1] neg_hi:[0,1]
	v_pk_add_f32 v[32:33], v[32:33], v[140:141] neg_lo:[0,1] neg_hi:[0,1]
	s_wait_dscnt 0x0
	v_pk_mul_f32 v[140:141], v[126:127], v[138:139] op_sel:[0,1]
	s_delay_alu instid0(VALU_DEP_1) | instskip(SKIP_1) | instid1(VALU_DEP_1)
	v_pk_fma_f32 v[142:143], v[126:127], v[136:137], v[140:141] op_sel:[0,0,1] op_sel_hi:[1,1,0] neg_lo:[0,0,1] neg_hi:[0,0,1]
	v_pk_fma_f32 v[126:127], v[126:127], v[136:137], v[140:141] op_sel:[0,0,1] op_sel_hi:[1,0,0]
	v_mov_b32_e32 v143, v127
	v_pk_mul_f32 v[126:127], v[128:129], v[138:139] op_sel:[0,1]
	s_delay_alu instid0(VALU_DEP_1) | instskip(SKIP_1) | instid1(VALU_DEP_1)
	v_pk_fma_f32 v[140:141], v[128:129], v[136:137], v[126:127] op_sel:[0,0,1] op_sel_hi:[1,1,0] neg_lo:[0,0,1] neg_hi:[0,0,1]
	v_pk_fma_f32 v[126:127], v[128:129], v[136:137], v[126:127] op_sel:[0,0,1] op_sel_hi:[1,0,0]
	v_mov_b32_e32 v141, v127
	ds_load_2addr_b64 v[126:129], v130 offset0:57 offset1:58
	v_pk_add_f32 v[6:7], v[6:7], v[142:143] neg_lo:[0,1] neg_hi:[0,1]
	v_pk_add_f32 v[26:27], v[26:27], v[140:141] neg_lo:[0,1] neg_hi:[0,1]
	s_wait_dscnt 0x0
	v_dual_mul_f32 v140, v127, v139 :: v_dual_mul_f32 v142, v127, v136
	s_delay_alu instid0(VALU_DEP_1) | instskip(NEXT) | instid1(VALU_DEP_2)
	v_pk_fma_f32 v[140:141], v[126:127], v[46:47], v[140:141] op_sel_hi:[1,1,0] neg_lo:[0,0,1] neg_hi:[0,0,1]
	v_pk_fma_f32 v[126:127], v[126:127], v[46:47], v[142:143] op_sel:[1,0,0] op_sel_hi:[0,1,0]
	s_delay_alu instid0(VALU_DEP_1) | instskip(SKIP_1) | instid1(VALU_DEP_2)
	v_mov_b32_e32 v141, v127
	v_pk_mul_f32 v[126:127], v[128:129], v[138:139] op_sel:[0,1]
	v_pk_add_f32 v[16:17], v[16:17], v[140:141] neg_lo:[0,1] neg_hi:[0,1]
	s_delay_alu instid0(VALU_DEP_2) | instskip(SKIP_1) | instid1(VALU_DEP_1)
	v_pk_fma_f32 v[140:141], v[128:129], v[136:137], v[126:127] op_sel:[0,0,1] op_sel_hi:[1,1,0] neg_lo:[0,0,1] neg_hi:[0,0,1]
	v_pk_fma_f32 v[126:127], v[128:129], v[136:137], v[126:127] op_sel:[0,0,1] op_sel_hi:[1,0,0]
	v_mov_b32_e32 v141, v127
	ds_load_b64 v[126:127], v130 offset:472
	v_pk_add_f32 v[14:15], v[14:15], v[140:141] neg_lo:[0,1] neg_hi:[0,1]
	s_wait_dscnt 0x0
	v_pk_mul_f32 v[128:129], v[126:127], v[138:139] op_sel:[0,1]
	s_delay_alu instid0(VALU_DEP_1) | instskip(SKIP_1) | instid1(VALU_DEP_1)
	v_pk_fma_f32 v[138:139], v[126:127], v[136:137], v[128:129] op_sel:[0,0,1] op_sel_hi:[1,1,0] neg_lo:[0,0,1] neg_hi:[0,0,1]
	v_pk_fma_f32 v[126:127], v[126:127], v[136:137], v[128:129] op_sel:[0,0,1] op_sel_hi:[1,0,0]
	v_mov_b32_e32 v139, v127
	s_delay_alu instid0(VALU_DEP_1)
	v_pk_add_f32 v[124:125], v[124:125], v[138:139] neg_lo:[0,1] neg_hi:[0,1]
.LBB118_1028:
	s_or_b32 exec_lo, exec_lo, s0
	v_lshl_add_u32 v126, v134, 3, v130
	s_barrier_signal -1
	s_barrier_wait -1
	ds_store_b64 v126, v[44:45]
	s_wait_dscnt 0x0
	s_barrier_signal -1
	s_barrier_wait -1
	ds_load_b64 v[126:127], v130 offset:392
	v_mov_b32_e32 v128, 49
	s_cmp_lt_i32 s18, 51
	s_cbranch_scc1 .LBB118_1031
; %bb.1029:
	v_add3_u32 v129, v131, 0, 0x190
	v_mov_b32_e32 v128, 49
	s_mov_b32 s0, 50
.LBB118_1030:                           ; =>This Inner Loop Header: Depth=1
	ds_load_b64 v[136:137], v129
	s_wait_dscnt 0x1
	v_cmp_gt_f32_e32 vcc_lo, 0, v126
	v_cndmask_b32_e64 v138, v126, -v126, vcc_lo
	v_cmp_gt_f32_e32 vcc_lo, 0, v127
	v_cndmask_b32_e64 v140, v127, -v127, vcc_lo
	s_wait_dscnt 0x0
	v_cmp_gt_f32_e32 vcc_lo, 0, v136
	v_cndmask_b32_e64 v139, v136, -v136, vcc_lo
	v_cmp_gt_f32_e32 vcc_lo, 0, v137
	v_cndmask_b32_e64 v141, v137, -v137, vcc_lo
	s_delay_alu instid0(VALU_DEP_1) | instskip(NEXT) | instid1(VALU_DEP_1)
	v_pk_add_f32 v[138:139], v[138:139], v[140:141]
	v_cmp_lt_f32_e32 vcc_lo, v138, v139
	v_dual_cndmask_b32 v126, v126, v136 :: v_dual_add_nc_u32 v129, 8, v129
	v_cndmask_b32_e32 v127, v127, v137, vcc_lo
	v_cndmask_b32_e64 v128, v128, s0, vcc_lo
	s_add_co_i32 s0, s0, 1
	s_delay_alu instid0(SALU_CYCLE_1)
	s_cmp_lg_u32 s18, s0
	s_cbranch_scc1 .LBB118_1030
.LBB118_1031:
	s_wait_dscnt 0x0
	v_cmp_eq_f32_e32 vcc_lo, 0, v126
	v_cmp_eq_f32_e64 s0, 0, v127
	s_and_b32 s0, vcc_lo, s0
	s_delay_alu instid0(SALU_CYCLE_1) | instskip(NEXT) | instid1(SALU_CYCLE_1)
	s_and_saveexec_b32 s1, s0
	s_xor_b32 s0, exec_lo, s1
; %bb.1032:
	v_cmp_ne_u32_e32 vcc_lo, 0, v132
	v_cndmask_b32_e32 v132, 50, v132, vcc_lo
; %bb.1033:
	s_and_not1_saveexec_b32 s0, s0
	s_cbranch_execz .LBB118_1039
; %bb.1034:
	v_cmp_ngt_f32_e64 s1, |v126|, |v127|
	s_and_saveexec_b32 s12, s1
	s_delay_alu instid0(SALU_CYCLE_1)
	s_xor_b32 s1, exec_lo, s12
	s_cbranch_execz .LBB118_1036
; %bb.1035:
	v_div_scale_f32 v129, null, v127, v127, v126
	v_div_scale_f32 v137, vcc_lo, v126, v127, v126
	s_delay_alu instid0(VALU_DEP_2) | instskip(SKIP_1) | instid1(TRANS32_DEP_1)
	v_rcp_f32_e32 v135, v129
	v_nop
	v_fma_f32 v136, -v129, v135, 1.0
	s_delay_alu instid0(VALU_DEP_1) | instskip(NEXT) | instid1(VALU_DEP_1)
	v_fmac_f32_e32 v135, v136, v135
	v_mul_f32_e32 v136, v137, v135
	s_delay_alu instid0(VALU_DEP_1) | instskip(NEXT) | instid1(VALU_DEP_1)
	v_fma_f32 v138, -v129, v136, v137
	v_fmac_f32_e32 v136, v138, v135
	s_delay_alu instid0(VALU_DEP_1) | instskip(NEXT) | instid1(VALU_DEP_1)
	v_fma_f32 v129, -v129, v136, v137
	v_div_fmas_f32 v129, v129, v135, v136
	s_delay_alu instid0(VALU_DEP_1) | instskip(NEXT) | instid1(VALU_DEP_1)
	v_div_fixup_f32 v129, v129, v127, v126
	v_fmac_f32_e32 v127, v126, v129
	s_delay_alu instid0(VALU_DEP_1) | instskip(SKIP_1) | instid1(VALU_DEP_2)
	v_div_scale_f32 v126, null, v127, v127, 1.0
	v_div_scale_f32 v137, vcc_lo, 1.0, v127, 1.0
	v_rcp_f32_e32 v135, v126
	v_nop
	s_delay_alu instid0(TRANS32_DEP_1) | instskip(NEXT) | instid1(VALU_DEP_1)
	v_fma_f32 v136, -v126, v135, 1.0
	v_fmac_f32_e32 v135, v136, v135
	s_delay_alu instid0(VALU_DEP_1) | instskip(NEXT) | instid1(VALU_DEP_1)
	v_mul_f32_e32 v136, v137, v135
	v_fma_f32 v138, -v126, v136, v137
	s_delay_alu instid0(VALU_DEP_1) | instskip(NEXT) | instid1(VALU_DEP_1)
	v_fmac_f32_e32 v136, v138, v135
	v_fma_f32 v126, -v126, v136, v137
	s_delay_alu instid0(VALU_DEP_1) | instskip(NEXT) | instid1(VALU_DEP_1)
	v_div_fmas_f32 v126, v126, v135, v136
	v_div_fixup_f32 v127, v126, v127, 1.0
	s_delay_alu instid0(VALU_DEP_1)
	v_mul_f32_e32 v126, v129, v127
	v_xor_b32_e32 v127, 0x80000000, v127
.LBB118_1036:
	s_and_not1_saveexec_b32 s1, s1
	s_cbranch_execz .LBB118_1038
; %bb.1037:
	s_delay_alu instid0(VALU_DEP_1) | instskip(SKIP_1) | instid1(VALU_DEP_2)
	v_div_scale_f32 v129, null, v126, v126, v127
	v_div_scale_f32 v137, vcc_lo, v127, v126, v127
	v_rcp_f32_e32 v135, v129
	v_nop
	s_delay_alu instid0(TRANS32_DEP_1) | instskip(NEXT) | instid1(VALU_DEP_1)
	v_fma_f32 v136, -v129, v135, 1.0
	v_fmac_f32_e32 v135, v136, v135
	s_delay_alu instid0(VALU_DEP_1) | instskip(NEXT) | instid1(VALU_DEP_1)
	v_mul_f32_e32 v136, v137, v135
	v_fma_f32 v138, -v129, v136, v137
	s_delay_alu instid0(VALU_DEP_1) | instskip(NEXT) | instid1(VALU_DEP_1)
	v_fmac_f32_e32 v136, v138, v135
	v_fma_f32 v129, -v129, v136, v137
	s_delay_alu instid0(VALU_DEP_1) | instskip(NEXT) | instid1(VALU_DEP_1)
	v_div_fmas_f32 v129, v129, v135, v136
	v_div_fixup_f32 v129, v129, v126, v127
	s_delay_alu instid0(VALU_DEP_1) | instskip(NEXT) | instid1(VALU_DEP_1)
	v_fmac_f32_e32 v126, v127, v129
	v_div_scale_f32 v127, null, v126, v126, 1.0
	s_delay_alu instid0(VALU_DEP_1) | instskip(SKIP_1) | instid1(TRANS32_DEP_1)
	v_rcp_f32_e32 v135, v127
	v_nop
	v_fma_f32 v136, -v127, v135, 1.0
	s_delay_alu instid0(VALU_DEP_1) | instskip(SKIP_1) | instid1(VALU_DEP_1)
	v_fmac_f32_e32 v135, v136, v135
	v_div_scale_f32 v136, vcc_lo, 1.0, v126, 1.0
	v_mul_f32_e32 v137, v136, v135
	s_delay_alu instid0(VALU_DEP_1) | instskip(NEXT) | instid1(VALU_DEP_1)
	v_fma_f32 v138, -v127, v137, v136
	v_fmac_f32_e32 v137, v138, v135
	s_delay_alu instid0(VALU_DEP_1) | instskip(NEXT) | instid1(VALU_DEP_1)
	v_fma_f32 v127, -v127, v137, v136
	v_div_fmas_f32 v127, v127, v135, v137
	s_delay_alu instid0(VALU_DEP_1) | instskip(NEXT) | instid1(VALU_DEP_1)
	v_div_fixup_f32 v126, v127, v126, 1.0
	v_mul_f32_e64 v127, v129, -v126
.LBB118_1038:
	s_or_b32 exec_lo, exec_lo, s1
.LBB118_1039:
	s_delay_alu instid0(SALU_CYCLE_1) | instskip(NEXT) | instid1(SALU_CYCLE_1)
	s_or_b32 exec_lo, exec_lo, s0
	s_mov_b32 s0, exec_lo
	v_cmpx_ne_u32_e64 v134, v128
	s_xor_b32 s0, exec_lo, s0
	s_cbranch_execz .LBB118_1045
; %bb.1040:
	s_mov_b32 s1, exec_lo
	v_cmpx_eq_u32_e32 49, v134
	s_cbranch_execz .LBB118_1044
; %bb.1041:
	v_cmp_ne_u32_e32 vcc_lo, 49, v128
	s_xor_b32 s12, s16, -1
	s_delay_alu instid0(SALU_CYCLE_1) | instskip(NEXT) | instid1(SALU_CYCLE_1)
	s_and_b32 s13, s12, vcc_lo
	s_and_saveexec_b32 s12, s13
	s_cbranch_execz .LBB118_1043
; %bb.1042:
	v_ashrrev_i32_e32 v129, 31, v128
	s_delay_alu instid0(VALU_DEP_1)
	v_lshl_add_u64 v[134:135], v[128:129], 2, v[4:5]
	s_clause 0x1
	global_load_b32 v129, v[134:135], off
	global_load_b32 v133, v[4:5], off offset:196
	s_wait_loadcnt 0x1
	global_store_b32 v[4:5], v129, off offset:196
	s_wait_loadcnt 0x0
	global_store_b32 v[134:135], v133, off
.LBB118_1043:
	s_wait_xcnt 0x0
	s_or_b32 exec_lo, exec_lo, s12
	v_dual_mov_b32 v134, v128 :: v_dual_mov_b32 v133, v128
.LBB118_1044:
	s_or_b32 exec_lo, exec_lo, s1
.LBB118_1045:
	s_and_not1_saveexec_b32 s0, s0
	s_cbranch_execz .LBB118_1047
; %bb.1046:
	v_dual_mov_b32 v128, v48 :: v_dual_mov_b32 v129, v49
	v_dual_mov_b32 v136, v8 :: v_dual_mov_b32 v137, v9
	;; [unrolled: 1-line block ×9, first 2 shown]
	v_mov_b32_e32 v151, v15
	ds_store_2addr_b64 v130, v[128:129], v[136:137] offset0:50 offset1:51
	ds_store_2addr_b64 v130, v[138:139], v[140:141] offset0:52 offset1:53
	;; [unrolled: 1-line block ×5, first 2 shown]
.LBB118_1047:
	s_or_b32 exec_lo, exec_lo, s0
	s_delay_alu instid0(SALU_CYCLE_1)
	s_mov_b32 s0, exec_lo
	s_wait_storecnt_dscnt 0x0
	s_barrier_signal -1
	s_barrier_wait -1
	v_cmpx_lt_i32_e32 49, v134
	s_cbranch_execz .LBB118_1049
; %bb.1048:
	v_pk_mul_f32 v[128:129], v[126:127], v[44:45] op_sel:[1,1] op_sel_hi:[0,1]
	s_delay_alu instid0(VALU_DEP_1)
	v_pk_fma_f32 v[136:137], v[126:127], v[44:45], v[128:129] op_sel_hi:[1,0,1] neg_lo:[0,0,1] neg_hi:[0,0,1]
	v_pk_fma_f32 v[138:139], v[126:127], v[44:45], v[128:129] op_sel_hi:[1,0,1]
	ds_load_2addr_b64 v[126:129], v130 offset0:50 offset1:51
	v_dual_mov_b32 v44, v136 :: v_dual_mov_b32 v45, v139
	s_wait_dscnt 0x0
	v_pk_mul_f32 v[140:141], v[126:127], v[138:139] op_sel:[0,1]
	s_delay_alu instid0(VALU_DEP_1) | instskip(SKIP_1) | instid1(VALU_DEP_1)
	v_pk_fma_f32 v[142:143], v[126:127], v[136:137], v[140:141] op_sel:[0,0,1] op_sel_hi:[1,1,0] neg_lo:[0,0,1] neg_hi:[0,0,1]
	v_pk_fma_f32 v[126:127], v[126:127], v[136:137], v[140:141] op_sel:[0,0,1] op_sel_hi:[1,0,0]
	v_mov_b32_e32 v143, v127
	v_pk_mul_f32 v[126:127], v[128:129], v[138:139] op_sel:[0,1]
	s_delay_alu instid0(VALU_DEP_1) | instskip(SKIP_1) | instid1(VALU_DEP_1)
	v_pk_fma_f32 v[140:141], v[128:129], v[136:137], v[126:127] op_sel:[0,0,1] op_sel_hi:[1,1,0] neg_lo:[0,0,1] neg_hi:[0,0,1]
	v_pk_fma_f32 v[126:127], v[128:129], v[136:137], v[126:127] op_sel:[0,0,1] op_sel_hi:[1,0,0]
	v_mov_b32_e32 v141, v127
	ds_load_2addr_b64 v[126:129], v130 offset0:52 offset1:53
	v_pk_add_f32 v[48:49], v[48:49], v[142:143] neg_lo:[0,1] neg_hi:[0,1]
	v_pk_add_f32 v[8:9], v[8:9], v[140:141] neg_lo:[0,1] neg_hi:[0,1]
	s_wait_dscnt 0x0
	v_pk_mul_f32 v[140:141], v[126:127], v[138:139] op_sel:[0,1]
	s_delay_alu instid0(VALU_DEP_1) | instskip(SKIP_2) | instid1(VALU_DEP_2)
	v_pk_fma_f32 v[142:143], v[126:127], v[136:137], v[140:141] op_sel:[0,0,1] op_sel_hi:[1,1,0] neg_lo:[0,0,1] neg_hi:[0,0,1]
	v_pk_fma_f32 v[126:127], v[126:127], v[136:137], v[140:141] op_sel:[0,0,1] op_sel_hi:[1,0,0]
	v_dual_mul_f32 v140, v129, v139 :: v_dual_mov_b32 v126, v129
	v_dual_mov_b32 v143, v127 :: v_dual_mov_b32 v127, v128
	s_delay_alu instid0(VALU_DEP_2) | instskip(SKIP_1) | instid1(VALU_DEP_3)
	v_pk_fma_f32 v[140:141], v[128:129], v[44:45], v[140:141] op_sel_hi:[1,1,0] neg_lo:[0,0,1] neg_hi:[0,0,1]
	v_mul_f32_e32 v128, v129, v136
	v_pk_add_f32 v[34:35], v[34:35], v[142:143] neg_lo:[0,1] neg_hi:[0,1]
	s_delay_alu instid0(VALU_DEP_2) | instskip(NEXT) | instid1(VALU_DEP_1)
	v_pk_fma_f32 v[126:127], v[126:127], v[44:45], v[128:129] op_sel_hi:[1,1,0]
	v_mov_b32_e32 v141, v127
	ds_load_2addr_b64 v[126:129], v130 offset0:54 offset1:55
	v_pk_add_f32 v[28:29], v[28:29], v[140:141] neg_lo:[0,1] neg_hi:[0,1]
	s_wait_dscnt 0x0
	v_pk_mul_f32 v[140:141], v[126:127], v[138:139] op_sel:[0,1]
	s_delay_alu instid0(VALU_DEP_1) | instskip(SKIP_1) | instid1(VALU_DEP_1)
	v_pk_fma_f32 v[142:143], v[126:127], v[136:137], v[140:141] op_sel:[0,0,1] op_sel_hi:[1,1,0] neg_lo:[0,0,1] neg_hi:[0,0,1]
	v_pk_fma_f32 v[126:127], v[126:127], v[136:137], v[140:141] op_sel:[0,0,1] op_sel_hi:[1,0,0]
	v_mov_b32_e32 v143, v127
	v_pk_mul_f32 v[126:127], v[128:129], v[138:139] op_sel:[0,1]
	s_delay_alu instid0(VALU_DEP_1) | instskip(SKIP_1) | instid1(VALU_DEP_1)
	v_pk_fma_f32 v[140:141], v[128:129], v[136:137], v[126:127] op_sel:[0,0,1] op_sel_hi:[1,1,0] neg_lo:[0,0,1] neg_hi:[0,0,1]
	v_pk_fma_f32 v[126:127], v[128:129], v[136:137], v[126:127] op_sel:[0,0,1] op_sel_hi:[1,0,0]
	v_mov_b32_e32 v141, v127
	ds_load_2addr_b64 v[126:129], v130 offset0:56 offset1:57
	v_pk_add_f32 v[32:33], v[32:33], v[142:143] neg_lo:[0,1] neg_hi:[0,1]
	v_pk_add_f32 v[6:7], v[6:7], v[140:141] neg_lo:[0,1] neg_hi:[0,1]
	s_wait_dscnt 0x0
	v_pk_mul_f32 v[140:141], v[126:127], v[138:139] op_sel:[0,1]
	s_delay_alu instid0(VALU_DEP_1) | instskip(SKIP_1) | instid1(VALU_DEP_1)
	v_pk_fma_f32 v[142:143], v[126:127], v[136:137], v[140:141] op_sel:[0,0,1] op_sel_hi:[1,1,0] neg_lo:[0,0,1] neg_hi:[0,0,1]
	v_pk_fma_f32 v[126:127], v[126:127], v[136:137], v[140:141] op_sel:[0,0,1] op_sel_hi:[1,0,0]
	v_mov_b32_e32 v143, v127
	v_pk_mul_f32 v[126:127], v[128:129], v[138:139] op_sel:[0,1]
	s_delay_alu instid0(VALU_DEP_1) | instskip(SKIP_1) | instid1(VALU_DEP_1)
	v_pk_fma_f32 v[140:141], v[128:129], v[136:137], v[126:127] op_sel:[0,0,1] op_sel_hi:[1,1,0] neg_lo:[0,0,1] neg_hi:[0,0,1]
	v_pk_fma_f32 v[126:127], v[128:129], v[136:137], v[126:127] op_sel:[0,0,1] op_sel_hi:[1,0,0]
	v_mov_b32_e32 v141, v127
	ds_load_2addr_b64 v[126:129], v130 offset0:58 offset1:59
	v_pk_add_f32 v[26:27], v[26:27], v[142:143] neg_lo:[0,1] neg_hi:[0,1]
	v_pk_add_f32 v[16:17], v[16:17], v[140:141] neg_lo:[0,1] neg_hi:[0,1]
	s_wait_dscnt 0x0
	v_dual_mul_f32 v140, v127, v139 :: v_dual_mul_f32 v142, v127, v136
	s_delay_alu instid0(VALU_DEP_1) | instskip(NEXT) | instid1(VALU_DEP_2)
	v_pk_fma_f32 v[140:141], v[126:127], v[44:45], v[140:141] op_sel_hi:[1,1,0] neg_lo:[0,0,1] neg_hi:[0,0,1]
	v_pk_fma_f32 v[126:127], v[126:127], v[44:45], v[142:143] op_sel:[1,0,0] op_sel_hi:[0,1,0]
	s_delay_alu instid0(VALU_DEP_1) | instskip(SKIP_1) | instid1(VALU_DEP_1)
	v_mov_b32_e32 v141, v127
	v_pk_mul_f32 v[126:127], v[128:129], v[138:139] op_sel:[0,1]
	v_pk_fma_f32 v[138:139], v[128:129], v[136:137], v[126:127] op_sel:[0,0,1] op_sel_hi:[1,1,0] neg_lo:[0,0,1] neg_hi:[0,0,1]
	v_pk_fma_f32 v[126:127], v[128:129], v[136:137], v[126:127] op_sel:[0,0,1] op_sel_hi:[1,0,0]
	s_delay_alu instid0(VALU_DEP_1) | instskip(SKIP_1) | instid1(VALU_DEP_2)
	v_mov_b32_e32 v139, v127
	v_pk_add_f32 v[14:15], v[14:15], v[140:141] neg_lo:[0,1] neg_hi:[0,1]
	v_pk_add_f32 v[124:125], v[124:125], v[138:139] neg_lo:[0,1] neg_hi:[0,1]
.LBB118_1049:
	s_or_b32 exec_lo, exec_lo, s0
	v_lshl_add_u32 v126, v134, 3, v130
	s_barrier_signal -1
	s_barrier_wait -1
	ds_store_b64 v126, v[48:49]
	s_wait_dscnt 0x0
	s_barrier_signal -1
	s_barrier_wait -1
	ds_load_b64 v[126:127], v130 offset:400
	v_mov_b32_e32 v128, 50
	s_cmp_lt_i32 s18, 52
	s_cbranch_scc1 .LBB118_1052
; %bb.1050:
	v_add3_u32 v129, v131, 0, 0x198
	v_mov_b32_e32 v128, 50
	s_mov_b32 s0, 51
.LBB118_1051:                           ; =>This Inner Loop Header: Depth=1
	ds_load_b64 v[136:137], v129
	s_wait_dscnt 0x1
	v_cmp_gt_f32_e32 vcc_lo, 0, v126
	v_cndmask_b32_e64 v138, v126, -v126, vcc_lo
	v_cmp_gt_f32_e32 vcc_lo, 0, v127
	v_cndmask_b32_e64 v140, v127, -v127, vcc_lo
	s_wait_dscnt 0x0
	v_cmp_gt_f32_e32 vcc_lo, 0, v136
	v_cndmask_b32_e64 v139, v136, -v136, vcc_lo
	v_cmp_gt_f32_e32 vcc_lo, 0, v137
	v_cndmask_b32_e64 v141, v137, -v137, vcc_lo
	s_delay_alu instid0(VALU_DEP_1) | instskip(NEXT) | instid1(VALU_DEP_1)
	v_pk_add_f32 v[138:139], v[138:139], v[140:141]
	v_cmp_lt_f32_e32 vcc_lo, v138, v139
	v_dual_cndmask_b32 v126, v126, v136 :: v_dual_add_nc_u32 v129, 8, v129
	v_cndmask_b32_e32 v127, v127, v137, vcc_lo
	v_cndmask_b32_e64 v128, v128, s0, vcc_lo
	s_add_co_i32 s0, s0, 1
	s_delay_alu instid0(SALU_CYCLE_1)
	s_cmp_lg_u32 s18, s0
	s_cbranch_scc1 .LBB118_1051
.LBB118_1052:
	s_wait_dscnt 0x0
	v_cmp_eq_f32_e32 vcc_lo, 0, v126
	v_cmp_eq_f32_e64 s0, 0, v127
	s_and_b32 s0, vcc_lo, s0
	s_delay_alu instid0(SALU_CYCLE_1) | instskip(NEXT) | instid1(SALU_CYCLE_1)
	s_and_saveexec_b32 s1, s0
	s_xor_b32 s0, exec_lo, s1
; %bb.1053:
	v_cmp_ne_u32_e32 vcc_lo, 0, v132
	v_cndmask_b32_e32 v132, 51, v132, vcc_lo
; %bb.1054:
	s_and_not1_saveexec_b32 s0, s0
	s_cbranch_execz .LBB118_1060
; %bb.1055:
	v_cmp_ngt_f32_e64 s1, |v126|, |v127|
	s_and_saveexec_b32 s12, s1
	s_delay_alu instid0(SALU_CYCLE_1)
	s_xor_b32 s1, exec_lo, s12
	s_cbranch_execz .LBB118_1057
; %bb.1056:
	v_div_scale_f32 v129, null, v127, v127, v126
	v_div_scale_f32 v137, vcc_lo, v126, v127, v126
	s_delay_alu instid0(VALU_DEP_2) | instskip(SKIP_1) | instid1(TRANS32_DEP_1)
	v_rcp_f32_e32 v135, v129
	v_nop
	v_fma_f32 v136, -v129, v135, 1.0
	s_delay_alu instid0(VALU_DEP_1) | instskip(NEXT) | instid1(VALU_DEP_1)
	v_fmac_f32_e32 v135, v136, v135
	v_mul_f32_e32 v136, v137, v135
	s_delay_alu instid0(VALU_DEP_1) | instskip(NEXT) | instid1(VALU_DEP_1)
	v_fma_f32 v138, -v129, v136, v137
	v_fmac_f32_e32 v136, v138, v135
	s_delay_alu instid0(VALU_DEP_1) | instskip(NEXT) | instid1(VALU_DEP_1)
	v_fma_f32 v129, -v129, v136, v137
	v_div_fmas_f32 v129, v129, v135, v136
	s_delay_alu instid0(VALU_DEP_1) | instskip(NEXT) | instid1(VALU_DEP_1)
	v_div_fixup_f32 v129, v129, v127, v126
	v_fmac_f32_e32 v127, v126, v129
	s_delay_alu instid0(VALU_DEP_1) | instskip(SKIP_1) | instid1(VALU_DEP_2)
	v_div_scale_f32 v126, null, v127, v127, 1.0
	v_div_scale_f32 v137, vcc_lo, 1.0, v127, 1.0
	v_rcp_f32_e32 v135, v126
	v_nop
	s_delay_alu instid0(TRANS32_DEP_1) | instskip(NEXT) | instid1(VALU_DEP_1)
	v_fma_f32 v136, -v126, v135, 1.0
	v_fmac_f32_e32 v135, v136, v135
	s_delay_alu instid0(VALU_DEP_1) | instskip(NEXT) | instid1(VALU_DEP_1)
	v_mul_f32_e32 v136, v137, v135
	v_fma_f32 v138, -v126, v136, v137
	s_delay_alu instid0(VALU_DEP_1) | instskip(NEXT) | instid1(VALU_DEP_1)
	v_fmac_f32_e32 v136, v138, v135
	v_fma_f32 v126, -v126, v136, v137
	s_delay_alu instid0(VALU_DEP_1) | instskip(NEXT) | instid1(VALU_DEP_1)
	v_div_fmas_f32 v126, v126, v135, v136
	v_div_fixup_f32 v127, v126, v127, 1.0
	s_delay_alu instid0(VALU_DEP_1)
	v_mul_f32_e32 v126, v129, v127
	v_xor_b32_e32 v127, 0x80000000, v127
.LBB118_1057:
	s_and_not1_saveexec_b32 s1, s1
	s_cbranch_execz .LBB118_1059
; %bb.1058:
	s_delay_alu instid0(VALU_DEP_1) | instskip(SKIP_1) | instid1(VALU_DEP_2)
	v_div_scale_f32 v129, null, v126, v126, v127
	v_div_scale_f32 v137, vcc_lo, v127, v126, v127
	v_rcp_f32_e32 v135, v129
	v_nop
	s_delay_alu instid0(TRANS32_DEP_1) | instskip(NEXT) | instid1(VALU_DEP_1)
	v_fma_f32 v136, -v129, v135, 1.0
	v_fmac_f32_e32 v135, v136, v135
	s_delay_alu instid0(VALU_DEP_1) | instskip(NEXT) | instid1(VALU_DEP_1)
	v_mul_f32_e32 v136, v137, v135
	v_fma_f32 v138, -v129, v136, v137
	s_delay_alu instid0(VALU_DEP_1) | instskip(NEXT) | instid1(VALU_DEP_1)
	v_fmac_f32_e32 v136, v138, v135
	v_fma_f32 v129, -v129, v136, v137
	s_delay_alu instid0(VALU_DEP_1) | instskip(NEXT) | instid1(VALU_DEP_1)
	v_div_fmas_f32 v129, v129, v135, v136
	v_div_fixup_f32 v129, v129, v126, v127
	s_delay_alu instid0(VALU_DEP_1) | instskip(NEXT) | instid1(VALU_DEP_1)
	v_fmac_f32_e32 v126, v127, v129
	v_div_scale_f32 v127, null, v126, v126, 1.0
	s_delay_alu instid0(VALU_DEP_1) | instskip(SKIP_1) | instid1(TRANS32_DEP_1)
	v_rcp_f32_e32 v135, v127
	v_nop
	v_fma_f32 v136, -v127, v135, 1.0
	s_delay_alu instid0(VALU_DEP_1) | instskip(SKIP_1) | instid1(VALU_DEP_1)
	v_fmac_f32_e32 v135, v136, v135
	v_div_scale_f32 v136, vcc_lo, 1.0, v126, 1.0
	v_mul_f32_e32 v137, v136, v135
	s_delay_alu instid0(VALU_DEP_1) | instskip(NEXT) | instid1(VALU_DEP_1)
	v_fma_f32 v138, -v127, v137, v136
	v_fmac_f32_e32 v137, v138, v135
	s_delay_alu instid0(VALU_DEP_1) | instskip(NEXT) | instid1(VALU_DEP_1)
	v_fma_f32 v127, -v127, v137, v136
	v_div_fmas_f32 v127, v127, v135, v137
	s_delay_alu instid0(VALU_DEP_1) | instskip(NEXT) | instid1(VALU_DEP_1)
	v_div_fixup_f32 v126, v127, v126, 1.0
	v_mul_f32_e64 v127, v129, -v126
.LBB118_1059:
	s_or_b32 exec_lo, exec_lo, s1
.LBB118_1060:
	s_delay_alu instid0(SALU_CYCLE_1) | instskip(NEXT) | instid1(SALU_CYCLE_1)
	s_or_b32 exec_lo, exec_lo, s0
	s_mov_b32 s0, exec_lo
	v_cmpx_ne_u32_e64 v134, v128
	s_xor_b32 s0, exec_lo, s0
	s_cbranch_execz .LBB118_1066
; %bb.1061:
	s_mov_b32 s1, exec_lo
	v_cmpx_eq_u32_e32 50, v134
	s_cbranch_execz .LBB118_1065
; %bb.1062:
	v_cmp_ne_u32_e32 vcc_lo, 50, v128
	s_xor_b32 s12, s16, -1
	s_delay_alu instid0(SALU_CYCLE_1) | instskip(NEXT) | instid1(SALU_CYCLE_1)
	s_and_b32 s13, s12, vcc_lo
	s_and_saveexec_b32 s12, s13
	s_cbranch_execz .LBB118_1064
; %bb.1063:
	v_ashrrev_i32_e32 v129, 31, v128
	s_delay_alu instid0(VALU_DEP_1)
	v_lshl_add_u64 v[134:135], v[128:129], 2, v[4:5]
	s_clause 0x1
	global_load_b32 v129, v[134:135], off
	global_load_b32 v133, v[4:5], off offset:200
	s_wait_loadcnt 0x1
	global_store_b32 v[4:5], v129, off offset:200
	s_wait_loadcnt 0x0
	global_store_b32 v[134:135], v133, off
.LBB118_1064:
	s_wait_xcnt 0x0
	s_or_b32 exec_lo, exec_lo, s12
	v_dual_mov_b32 v134, v128 :: v_dual_mov_b32 v133, v128
.LBB118_1065:
	s_or_b32 exec_lo, exec_lo, s1
.LBB118_1066:
	s_and_not1_saveexec_b32 s0, s0
	s_cbranch_execz .LBB118_1068
; %bb.1067:
	v_mov_b32_e32 v134, 50
	ds_store_2addr_b64 v130, v[8:9], v[34:35] offset0:51 offset1:52
	ds_store_2addr_b64 v130, v[28:29], v[32:33] offset0:53 offset1:54
	;; [unrolled: 1-line block ×4, first 2 shown]
	ds_store_b64 v130, v[124:125] offset:472
.LBB118_1068:
	s_or_b32 exec_lo, exec_lo, s0
	s_delay_alu instid0(SALU_CYCLE_1)
	s_mov_b32 s0, exec_lo
	s_wait_storecnt_dscnt 0x0
	s_barrier_signal -1
	s_barrier_wait -1
	v_cmpx_lt_i32_e32 50, v134
	s_cbranch_execz .LBB118_1070
; %bb.1069:
	v_pk_mul_f32 v[128:129], v[126:127], v[48:49] op_sel:[1,1] op_sel_hi:[0,1]
	s_delay_alu instid0(VALU_DEP_1)
	v_pk_fma_f32 v[136:137], v[126:127], v[48:49], v[128:129] op_sel_hi:[1,0,1] neg_lo:[0,0,1] neg_hi:[0,0,1]
	v_pk_fma_f32 v[138:139], v[126:127], v[48:49], v[128:129] op_sel_hi:[1,0,1]
	ds_load_2addr_b64 v[126:129], v130 offset0:51 offset1:52
	v_dual_mov_b32 v48, v136 :: v_dual_mov_b32 v49, v139
	s_wait_dscnt 0x0
	v_pk_mul_f32 v[140:141], v[126:127], v[138:139] op_sel:[0,1]
	s_delay_alu instid0(VALU_DEP_1) | instskip(SKIP_1) | instid1(VALU_DEP_1)
	v_pk_fma_f32 v[142:143], v[126:127], v[136:137], v[140:141] op_sel:[0,0,1] op_sel_hi:[1,1,0] neg_lo:[0,0,1] neg_hi:[0,0,1]
	v_pk_fma_f32 v[126:127], v[126:127], v[136:137], v[140:141] op_sel:[0,0,1] op_sel_hi:[1,0,0]
	v_mov_b32_e32 v143, v127
	v_pk_mul_f32 v[126:127], v[128:129], v[138:139] op_sel:[0,1]
	s_delay_alu instid0(VALU_DEP_1) | instskip(SKIP_1) | instid1(VALU_DEP_1)
	v_pk_fma_f32 v[140:141], v[128:129], v[136:137], v[126:127] op_sel:[0,0,1] op_sel_hi:[1,1,0] neg_lo:[0,0,1] neg_hi:[0,0,1]
	v_pk_fma_f32 v[126:127], v[128:129], v[136:137], v[126:127] op_sel:[0,0,1] op_sel_hi:[1,0,0]
	v_mov_b32_e32 v141, v127
	ds_load_2addr_b64 v[126:129], v130 offset0:53 offset1:54
	v_pk_add_f32 v[8:9], v[8:9], v[142:143] neg_lo:[0,1] neg_hi:[0,1]
	v_pk_add_f32 v[34:35], v[34:35], v[140:141] neg_lo:[0,1] neg_hi:[0,1]
	s_wait_dscnt 0x0
	v_pk_mul_f32 v[140:141], v[126:127], v[138:139] op_sel:[0,1]
	s_delay_alu instid0(VALU_DEP_1) | instskip(SKIP_2) | instid1(VALU_DEP_2)
	v_pk_fma_f32 v[142:143], v[126:127], v[136:137], v[140:141] op_sel:[0,0,1] op_sel_hi:[1,1,0] neg_lo:[0,0,1] neg_hi:[0,0,1]
	v_pk_fma_f32 v[126:127], v[126:127], v[136:137], v[140:141] op_sel:[0,0,1] op_sel_hi:[1,0,0]
	v_dual_mul_f32 v140, v129, v139 :: v_dual_mov_b32 v126, v129
	v_dual_mov_b32 v143, v127 :: v_dual_mov_b32 v127, v128
	s_delay_alu instid0(VALU_DEP_2) | instskip(SKIP_1) | instid1(VALU_DEP_3)
	v_pk_fma_f32 v[140:141], v[128:129], v[48:49], v[140:141] op_sel_hi:[1,1,0] neg_lo:[0,0,1] neg_hi:[0,0,1]
	v_mul_f32_e32 v128, v129, v136
	v_pk_add_f32 v[28:29], v[28:29], v[142:143] neg_lo:[0,1] neg_hi:[0,1]
	s_delay_alu instid0(VALU_DEP_2) | instskip(NEXT) | instid1(VALU_DEP_1)
	v_pk_fma_f32 v[126:127], v[126:127], v[48:49], v[128:129] op_sel_hi:[1,1,0]
	v_mov_b32_e32 v141, v127
	ds_load_2addr_b64 v[126:129], v130 offset0:55 offset1:56
	v_pk_add_f32 v[32:33], v[32:33], v[140:141] neg_lo:[0,1] neg_hi:[0,1]
	s_wait_dscnt 0x0
	v_pk_mul_f32 v[140:141], v[126:127], v[138:139] op_sel:[0,1]
	s_delay_alu instid0(VALU_DEP_1) | instskip(SKIP_1) | instid1(VALU_DEP_1)
	v_pk_fma_f32 v[142:143], v[126:127], v[136:137], v[140:141] op_sel:[0,0,1] op_sel_hi:[1,1,0] neg_lo:[0,0,1] neg_hi:[0,0,1]
	v_pk_fma_f32 v[126:127], v[126:127], v[136:137], v[140:141] op_sel:[0,0,1] op_sel_hi:[1,0,0]
	v_mov_b32_e32 v143, v127
	v_pk_mul_f32 v[126:127], v[128:129], v[138:139] op_sel:[0,1]
	s_delay_alu instid0(VALU_DEP_1) | instskip(SKIP_1) | instid1(VALU_DEP_1)
	v_pk_fma_f32 v[140:141], v[128:129], v[136:137], v[126:127] op_sel:[0,0,1] op_sel_hi:[1,1,0] neg_lo:[0,0,1] neg_hi:[0,0,1]
	v_pk_fma_f32 v[126:127], v[128:129], v[136:137], v[126:127] op_sel:[0,0,1] op_sel_hi:[1,0,0]
	v_mov_b32_e32 v141, v127
	ds_load_2addr_b64 v[126:129], v130 offset0:57 offset1:58
	v_pk_add_f32 v[6:7], v[6:7], v[142:143] neg_lo:[0,1] neg_hi:[0,1]
	v_pk_add_f32 v[26:27], v[26:27], v[140:141] neg_lo:[0,1] neg_hi:[0,1]
	s_wait_dscnt 0x0
	v_pk_mul_f32 v[140:141], v[126:127], v[138:139] op_sel:[0,1]
	s_delay_alu instid0(VALU_DEP_1) | instskip(SKIP_1) | instid1(VALU_DEP_1)
	v_pk_fma_f32 v[142:143], v[126:127], v[136:137], v[140:141] op_sel:[0,0,1] op_sel_hi:[1,1,0] neg_lo:[0,0,1] neg_hi:[0,0,1]
	v_pk_fma_f32 v[126:127], v[126:127], v[136:137], v[140:141] op_sel:[0,0,1] op_sel_hi:[1,0,0]
	v_mov_b32_e32 v143, v127
	v_pk_mul_f32 v[126:127], v[128:129], v[138:139] op_sel:[0,1]
	s_delay_alu instid0(VALU_DEP_1) | instskip(SKIP_1) | instid1(VALU_DEP_1)
	v_pk_fma_f32 v[140:141], v[128:129], v[136:137], v[126:127] op_sel:[0,0,1] op_sel_hi:[1,1,0] neg_lo:[0,0,1] neg_hi:[0,0,1]
	v_pk_fma_f32 v[126:127], v[128:129], v[136:137], v[126:127] op_sel:[0,0,1] op_sel_hi:[1,0,0]
	v_mov_b32_e32 v141, v127
	ds_load_b64 v[126:127], v130 offset:472
	v_pk_add_f32 v[16:17], v[16:17], v[142:143] neg_lo:[0,1] neg_hi:[0,1]
	v_pk_add_f32 v[14:15], v[14:15], v[140:141] neg_lo:[0,1] neg_hi:[0,1]
	s_wait_dscnt 0x0
	v_pk_mul_f32 v[128:129], v[126:127], v[138:139] op_sel:[0,1]
	s_delay_alu instid0(VALU_DEP_1) | instskip(SKIP_1) | instid1(VALU_DEP_1)
	v_pk_fma_f32 v[138:139], v[126:127], v[136:137], v[128:129] op_sel:[0,0,1] op_sel_hi:[1,1,0] neg_lo:[0,0,1] neg_hi:[0,0,1]
	v_pk_fma_f32 v[126:127], v[126:127], v[136:137], v[128:129] op_sel:[0,0,1] op_sel_hi:[1,0,0]
	v_mov_b32_e32 v139, v127
	s_delay_alu instid0(VALU_DEP_1)
	v_pk_add_f32 v[124:125], v[124:125], v[138:139] neg_lo:[0,1] neg_hi:[0,1]
.LBB118_1070:
	s_or_b32 exec_lo, exec_lo, s0
	v_lshl_add_u32 v126, v134, 3, v130
	s_barrier_signal -1
	s_barrier_wait -1
	ds_store_b64 v126, v[8:9]
	s_wait_dscnt 0x0
	s_barrier_signal -1
	s_barrier_wait -1
	ds_load_b64 v[126:127], v130 offset:408
	v_mov_b32_e32 v128, 51
	s_cmp_lt_i32 s18, 53
	s_cbranch_scc1 .LBB118_1073
; %bb.1071:
	v_add3_u32 v129, v131, 0, 0x1a0
	v_mov_b32_e32 v128, 51
	s_mov_b32 s0, 52
.LBB118_1072:                           ; =>This Inner Loop Header: Depth=1
	ds_load_b64 v[136:137], v129
	s_wait_dscnt 0x1
	v_cmp_gt_f32_e32 vcc_lo, 0, v126
	v_cndmask_b32_e64 v138, v126, -v126, vcc_lo
	v_cmp_gt_f32_e32 vcc_lo, 0, v127
	v_cndmask_b32_e64 v140, v127, -v127, vcc_lo
	s_wait_dscnt 0x0
	v_cmp_gt_f32_e32 vcc_lo, 0, v136
	v_cndmask_b32_e64 v139, v136, -v136, vcc_lo
	v_cmp_gt_f32_e32 vcc_lo, 0, v137
	v_cndmask_b32_e64 v141, v137, -v137, vcc_lo
	s_delay_alu instid0(VALU_DEP_1) | instskip(NEXT) | instid1(VALU_DEP_1)
	v_pk_add_f32 v[138:139], v[138:139], v[140:141]
	v_cmp_lt_f32_e32 vcc_lo, v138, v139
	v_dual_cndmask_b32 v126, v126, v136 :: v_dual_add_nc_u32 v129, 8, v129
	v_cndmask_b32_e32 v127, v127, v137, vcc_lo
	v_cndmask_b32_e64 v128, v128, s0, vcc_lo
	s_add_co_i32 s0, s0, 1
	s_delay_alu instid0(SALU_CYCLE_1)
	s_cmp_lg_u32 s18, s0
	s_cbranch_scc1 .LBB118_1072
.LBB118_1073:
	s_wait_dscnt 0x0
	v_cmp_eq_f32_e32 vcc_lo, 0, v126
	v_cmp_eq_f32_e64 s0, 0, v127
	s_and_b32 s0, vcc_lo, s0
	s_delay_alu instid0(SALU_CYCLE_1) | instskip(NEXT) | instid1(SALU_CYCLE_1)
	s_and_saveexec_b32 s1, s0
	s_xor_b32 s0, exec_lo, s1
; %bb.1074:
	v_cmp_ne_u32_e32 vcc_lo, 0, v132
	v_cndmask_b32_e32 v132, 52, v132, vcc_lo
; %bb.1075:
	s_and_not1_saveexec_b32 s0, s0
	s_cbranch_execz .LBB118_1081
; %bb.1076:
	v_cmp_ngt_f32_e64 s1, |v126|, |v127|
	s_and_saveexec_b32 s12, s1
	s_delay_alu instid0(SALU_CYCLE_1)
	s_xor_b32 s1, exec_lo, s12
	s_cbranch_execz .LBB118_1078
; %bb.1077:
	v_div_scale_f32 v129, null, v127, v127, v126
	v_div_scale_f32 v137, vcc_lo, v126, v127, v126
	s_delay_alu instid0(VALU_DEP_2) | instskip(SKIP_1) | instid1(TRANS32_DEP_1)
	v_rcp_f32_e32 v135, v129
	v_nop
	v_fma_f32 v136, -v129, v135, 1.0
	s_delay_alu instid0(VALU_DEP_1) | instskip(NEXT) | instid1(VALU_DEP_1)
	v_fmac_f32_e32 v135, v136, v135
	v_mul_f32_e32 v136, v137, v135
	s_delay_alu instid0(VALU_DEP_1) | instskip(NEXT) | instid1(VALU_DEP_1)
	v_fma_f32 v138, -v129, v136, v137
	v_fmac_f32_e32 v136, v138, v135
	s_delay_alu instid0(VALU_DEP_1) | instskip(NEXT) | instid1(VALU_DEP_1)
	v_fma_f32 v129, -v129, v136, v137
	v_div_fmas_f32 v129, v129, v135, v136
	s_delay_alu instid0(VALU_DEP_1) | instskip(NEXT) | instid1(VALU_DEP_1)
	v_div_fixup_f32 v129, v129, v127, v126
	v_fmac_f32_e32 v127, v126, v129
	s_delay_alu instid0(VALU_DEP_1) | instskip(SKIP_1) | instid1(VALU_DEP_2)
	v_div_scale_f32 v126, null, v127, v127, 1.0
	v_div_scale_f32 v137, vcc_lo, 1.0, v127, 1.0
	v_rcp_f32_e32 v135, v126
	v_nop
	s_delay_alu instid0(TRANS32_DEP_1) | instskip(NEXT) | instid1(VALU_DEP_1)
	v_fma_f32 v136, -v126, v135, 1.0
	v_fmac_f32_e32 v135, v136, v135
	s_delay_alu instid0(VALU_DEP_1) | instskip(NEXT) | instid1(VALU_DEP_1)
	v_mul_f32_e32 v136, v137, v135
	v_fma_f32 v138, -v126, v136, v137
	s_delay_alu instid0(VALU_DEP_1) | instskip(NEXT) | instid1(VALU_DEP_1)
	v_fmac_f32_e32 v136, v138, v135
	v_fma_f32 v126, -v126, v136, v137
	s_delay_alu instid0(VALU_DEP_1) | instskip(NEXT) | instid1(VALU_DEP_1)
	v_div_fmas_f32 v126, v126, v135, v136
	v_div_fixup_f32 v127, v126, v127, 1.0
	s_delay_alu instid0(VALU_DEP_1)
	v_mul_f32_e32 v126, v129, v127
	v_xor_b32_e32 v127, 0x80000000, v127
.LBB118_1078:
	s_and_not1_saveexec_b32 s1, s1
	s_cbranch_execz .LBB118_1080
; %bb.1079:
	s_delay_alu instid0(VALU_DEP_1) | instskip(SKIP_1) | instid1(VALU_DEP_2)
	v_div_scale_f32 v129, null, v126, v126, v127
	v_div_scale_f32 v137, vcc_lo, v127, v126, v127
	v_rcp_f32_e32 v135, v129
	v_nop
	s_delay_alu instid0(TRANS32_DEP_1) | instskip(NEXT) | instid1(VALU_DEP_1)
	v_fma_f32 v136, -v129, v135, 1.0
	v_fmac_f32_e32 v135, v136, v135
	s_delay_alu instid0(VALU_DEP_1) | instskip(NEXT) | instid1(VALU_DEP_1)
	v_mul_f32_e32 v136, v137, v135
	v_fma_f32 v138, -v129, v136, v137
	s_delay_alu instid0(VALU_DEP_1) | instskip(NEXT) | instid1(VALU_DEP_1)
	v_fmac_f32_e32 v136, v138, v135
	v_fma_f32 v129, -v129, v136, v137
	s_delay_alu instid0(VALU_DEP_1) | instskip(NEXT) | instid1(VALU_DEP_1)
	v_div_fmas_f32 v129, v129, v135, v136
	v_div_fixup_f32 v129, v129, v126, v127
	s_delay_alu instid0(VALU_DEP_1) | instskip(NEXT) | instid1(VALU_DEP_1)
	v_fmac_f32_e32 v126, v127, v129
	v_div_scale_f32 v127, null, v126, v126, 1.0
	s_delay_alu instid0(VALU_DEP_1) | instskip(SKIP_1) | instid1(TRANS32_DEP_1)
	v_rcp_f32_e32 v135, v127
	v_nop
	v_fma_f32 v136, -v127, v135, 1.0
	s_delay_alu instid0(VALU_DEP_1) | instskip(SKIP_1) | instid1(VALU_DEP_1)
	v_fmac_f32_e32 v135, v136, v135
	v_div_scale_f32 v136, vcc_lo, 1.0, v126, 1.0
	v_mul_f32_e32 v137, v136, v135
	s_delay_alu instid0(VALU_DEP_1) | instskip(NEXT) | instid1(VALU_DEP_1)
	v_fma_f32 v138, -v127, v137, v136
	v_fmac_f32_e32 v137, v138, v135
	s_delay_alu instid0(VALU_DEP_1) | instskip(NEXT) | instid1(VALU_DEP_1)
	v_fma_f32 v127, -v127, v137, v136
	v_div_fmas_f32 v127, v127, v135, v137
	s_delay_alu instid0(VALU_DEP_1) | instskip(NEXT) | instid1(VALU_DEP_1)
	v_div_fixup_f32 v126, v127, v126, 1.0
	v_mul_f32_e64 v127, v129, -v126
.LBB118_1080:
	s_or_b32 exec_lo, exec_lo, s1
.LBB118_1081:
	s_delay_alu instid0(SALU_CYCLE_1) | instskip(NEXT) | instid1(SALU_CYCLE_1)
	s_or_b32 exec_lo, exec_lo, s0
	s_mov_b32 s0, exec_lo
	v_cmpx_ne_u32_e64 v134, v128
	s_xor_b32 s0, exec_lo, s0
	s_cbranch_execz .LBB118_1087
; %bb.1082:
	s_mov_b32 s1, exec_lo
	v_cmpx_eq_u32_e32 51, v134
	s_cbranch_execz .LBB118_1086
; %bb.1083:
	v_cmp_ne_u32_e32 vcc_lo, 51, v128
	s_xor_b32 s12, s16, -1
	s_delay_alu instid0(SALU_CYCLE_1) | instskip(NEXT) | instid1(SALU_CYCLE_1)
	s_and_b32 s13, s12, vcc_lo
	s_and_saveexec_b32 s12, s13
	s_cbranch_execz .LBB118_1085
; %bb.1084:
	v_ashrrev_i32_e32 v129, 31, v128
	s_delay_alu instid0(VALU_DEP_1)
	v_lshl_add_u64 v[134:135], v[128:129], 2, v[4:5]
	s_clause 0x1
	global_load_b32 v129, v[134:135], off
	global_load_b32 v133, v[4:5], off offset:204
	s_wait_loadcnt 0x1
	global_store_b32 v[4:5], v129, off offset:204
	s_wait_loadcnt 0x0
	global_store_b32 v[134:135], v133, off
.LBB118_1085:
	s_wait_xcnt 0x0
	s_or_b32 exec_lo, exec_lo, s12
	v_dual_mov_b32 v134, v128 :: v_dual_mov_b32 v133, v128
.LBB118_1086:
	s_or_b32 exec_lo, exec_lo, s1
.LBB118_1087:
	s_and_not1_saveexec_b32 s0, s0
	s_cbranch_execz .LBB118_1089
; %bb.1088:
	v_dual_mov_b32 v128, v34 :: v_dual_mov_b32 v129, v35
	v_dual_mov_b32 v136, v28 :: v_dual_mov_b32 v137, v29
	;; [unrolled: 1-line block ×7, first 2 shown]
	v_mov_b32_e32 v147, v15
	ds_store_2addr_b64 v130, v[128:129], v[136:137] offset0:52 offset1:53
	ds_store_2addr_b64 v130, v[138:139], v[140:141] offset0:54 offset1:55
	;; [unrolled: 1-line block ×4, first 2 shown]
.LBB118_1089:
	s_or_b32 exec_lo, exec_lo, s0
	s_delay_alu instid0(SALU_CYCLE_1)
	s_mov_b32 s0, exec_lo
	s_wait_storecnt_dscnt 0x0
	s_barrier_signal -1
	s_barrier_wait -1
	v_cmpx_lt_i32_e32 51, v134
	s_cbranch_execz .LBB118_1091
; %bb.1090:
	v_pk_mul_f32 v[128:129], v[126:127], v[8:9] op_sel:[1,1] op_sel_hi:[0,1]
	s_delay_alu instid0(VALU_DEP_1)
	v_pk_fma_f32 v[136:137], v[126:127], v[8:9], v[128:129] op_sel_hi:[1,0,1] neg_lo:[0,0,1] neg_hi:[0,0,1]
	v_pk_fma_f32 v[138:139], v[126:127], v[8:9], v[128:129] op_sel_hi:[1,0,1]
	ds_load_2addr_b64 v[126:129], v130 offset0:52 offset1:53
	v_dual_mov_b32 v8, v136 :: v_dual_mov_b32 v9, v139
	s_wait_dscnt 0x0
	v_pk_mul_f32 v[140:141], v[126:127], v[138:139] op_sel:[0,1]
	s_delay_alu instid0(VALU_DEP_1) | instskip(SKIP_1) | instid1(VALU_DEP_1)
	v_pk_fma_f32 v[142:143], v[126:127], v[136:137], v[140:141] op_sel:[0,0,1] op_sel_hi:[1,1,0] neg_lo:[0,0,1] neg_hi:[0,0,1]
	v_pk_fma_f32 v[126:127], v[126:127], v[136:137], v[140:141] op_sel:[0,0,1] op_sel_hi:[1,0,0]
	v_mov_b32_e32 v143, v127
	v_pk_mul_f32 v[126:127], v[128:129], v[138:139] op_sel:[0,1]
	s_delay_alu instid0(VALU_DEP_1) | instskip(SKIP_1) | instid1(VALU_DEP_1)
	v_pk_fma_f32 v[140:141], v[128:129], v[136:137], v[126:127] op_sel:[0,0,1] op_sel_hi:[1,1,0] neg_lo:[0,0,1] neg_hi:[0,0,1]
	v_pk_fma_f32 v[126:127], v[128:129], v[136:137], v[126:127] op_sel:[0,0,1] op_sel_hi:[1,0,0]
	v_mov_b32_e32 v141, v127
	ds_load_2addr_b64 v[126:129], v130 offset0:54 offset1:55
	v_pk_add_f32 v[34:35], v[34:35], v[142:143] neg_lo:[0,1] neg_hi:[0,1]
	v_pk_add_f32 v[28:29], v[28:29], v[140:141] neg_lo:[0,1] neg_hi:[0,1]
	s_wait_dscnt 0x0
	v_pk_mul_f32 v[140:141], v[126:127], v[138:139] op_sel:[0,1]
	s_delay_alu instid0(VALU_DEP_1) | instskip(SKIP_2) | instid1(VALU_DEP_2)
	v_pk_fma_f32 v[142:143], v[126:127], v[136:137], v[140:141] op_sel:[0,0,1] op_sel_hi:[1,1,0] neg_lo:[0,0,1] neg_hi:[0,0,1]
	v_pk_fma_f32 v[126:127], v[126:127], v[136:137], v[140:141] op_sel:[0,0,1] op_sel_hi:[1,0,0]
	v_dual_mul_f32 v140, v129, v139 :: v_dual_mov_b32 v126, v129
	v_dual_mov_b32 v143, v127 :: v_dual_mov_b32 v127, v128
	s_delay_alu instid0(VALU_DEP_2) | instskip(SKIP_1) | instid1(VALU_DEP_3)
	v_pk_fma_f32 v[140:141], v[128:129], v[8:9], v[140:141] op_sel_hi:[1,1,0] neg_lo:[0,0,1] neg_hi:[0,0,1]
	v_mul_f32_e32 v128, v129, v136
	v_pk_add_f32 v[32:33], v[32:33], v[142:143] neg_lo:[0,1] neg_hi:[0,1]
	s_delay_alu instid0(VALU_DEP_2) | instskip(NEXT) | instid1(VALU_DEP_1)
	v_pk_fma_f32 v[126:127], v[126:127], v[8:9], v[128:129] op_sel_hi:[1,1,0]
	v_mov_b32_e32 v141, v127
	ds_load_2addr_b64 v[126:129], v130 offset0:56 offset1:57
	v_pk_add_f32 v[6:7], v[6:7], v[140:141] neg_lo:[0,1] neg_hi:[0,1]
	s_wait_dscnt 0x0
	v_pk_mul_f32 v[140:141], v[126:127], v[138:139] op_sel:[0,1]
	s_delay_alu instid0(VALU_DEP_1) | instskip(SKIP_1) | instid1(VALU_DEP_1)
	v_pk_fma_f32 v[142:143], v[126:127], v[136:137], v[140:141] op_sel:[0,0,1] op_sel_hi:[1,1,0] neg_lo:[0,0,1] neg_hi:[0,0,1]
	v_pk_fma_f32 v[126:127], v[126:127], v[136:137], v[140:141] op_sel:[0,0,1] op_sel_hi:[1,0,0]
	v_mov_b32_e32 v143, v127
	v_pk_mul_f32 v[126:127], v[128:129], v[138:139] op_sel:[0,1]
	s_delay_alu instid0(VALU_DEP_1) | instskip(SKIP_1) | instid1(VALU_DEP_1)
	v_pk_fma_f32 v[140:141], v[128:129], v[136:137], v[126:127] op_sel:[0,0,1] op_sel_hi:[1,1,0] neg_lo:[0,0,1] neg_hi:[0,0,1]
	v_pk_fma_f32 v[126:127], v[128:129], v[136:137], v[126:127] op_sel:[0,0,1] op_sel_hi:[1,0,0]
	v_mov_b32_e32 v141, v127
	ds_load_2addr_b64 v[126:129], v130 offset0:58 offset1:59
	v_pk_add_f32 v[26:27], v[26:27], v[142:143] neg_lo:[0,1] neg_hi:[0,1]
	v_pk_add_f32 v[16:17], v[16:17], v[140:141] neg_lo:[0,1] neg_hi:[0,1]
	s_wait_dscnt 0x0
	v_pk_mul_f32 v[140:141], v[126:127], v[138:139] op_sel:[0,1]
	s_delay_alu instid0(VALU_DEP_1) | instskip(SKIP_1) | instid1(VALU_DEP_1)
	v_pk_fma_f32 v[142:143], v[126:127], v[136:137], v[140:141] op_sel:[0,0,1] op_sel_hi:[1,1,0] neg_lo:[0,0,1] neg_hi:[0,0,1]
	v_pk_fma_f32 v[126:127], v[126:127], v[136:137], v[140:141] op_sel:[0,0,1] op_sel_hi:[1,0,0]
	v_mov_b32_e32 v143, v127
	v_pk_mul_f32 v[126:127], v[128:129], v[138:139] op_sel:[0,1]
	s_delay_alu instid0(VALU_DEP_1) | instskip(SKIP_1) | instid1(VALU_DEP_1)
	v_pk_fma_f32 v[138:139], v[128:129], v[136:137], v[126:127] op_sel:[0,0,1] op_sel_hi:[1,1,0] neg_lo:[0,0,1] neg_hi:[0,0,1]
	v_pk_fma_f32 v[126:127], v[128:129], v[136:137], v[126:127] op_sel:[0,0,1] op_sel_hi:[1,0,0]
	v_mov_b32_e32 v139, v127
	v_pk_add_f32 v[14:15], v[14:15], v[142:143] neg_lo:[0,1] neg_hi:[0,1]
	s_delay_alu instid0(VALU_DEP_2)
	v_pk_add_f32 v[124:125], v[124:125], v[138:139] neg_lo:[0,1] neg_hi:[0,1]
.LBB118_1091:
	s_or_b32 exec_lo, exec_lo, s0
	v_lshl_add_u32 v126, v134, 3, v130
	s_barrier_signal -1
	s_barrier_wait -1
	ds_store_b64 v126, v[34:35]
	s_wait_dscnt 0x0
	s_barrier_signal -1
	s_barrier_wait -1
	ds_load_b64 v[126:127], v130 offset:416
	v_mov_b32_e32 v128, 52
	s_cmp_lt_i32 s18, 54
	s_cbranch_scc1 .LBB118_1094
; %bb.1092:
	v_add3_u32 v129, v131, 0, 0x1a8
	v_mov_b32_e32 v128, 52
	s_mov_b32 s0, 53
.LBB118_1093:                           ; =>This Inner Loop Header: Depth=1
	ds_load_b64 v[136:137], v129
	s_wait_dscnt 0x1
	v_cmp_gt_f32_e32 vcc_lo, 0, v126
	v_cndmask_b32_e64 v138, v126, -v126, vcc_lo
	v_cmp_gt_f32_e32 vcc_lo, 0, v127
	v_cndmask_b32_e64 v140, v127, -v127, vcc_lo
	s_wait_dscnt 0x0
	v_cmp_gt_f32_e32 vcc_lo, 0, v136
	v_cndmask_b32_e64 v139, v136, -v136, vcc_lo
	v_cmp_gt_f32_e32 vcc_lo, 0, v137
	v_cndmask_b32_e64 v141, v137, -v137, vcc_lo
	s_delay_alu instid0(VALU_DEP_1) | instskip(NEXT) | instid1(VALU_DEP_1)
	v_pk_add_f32 v[138:139], v[138:139], v[140:141]
	v_cmp_lt_f32_e32 vcc_lo, v138, v139
	v_dual_cndmask_b32 v126, v126, v136 :: v_dual_add_nc_u32 v129, 8, v129
	v_cndmask_b32_e32 v127, v127, v137, vcc_lo
	v_cndmask_b32_e64 v128, v128, s0, vcc_lo
	s_add_co_i32 s0, s0, 1
	s_delay_alu instid0(SALU_CYCLE_1)
	s_cmp_lg_u32 s18, s0
	s_cbranch_scc1 .LBB118_1093
.LBB118_1094:
	s_wait_dscnt 0x0
	v_cmp_eq_f32_e32 vcc_lo, 0, v126
	v_cmp_eq_f32_e64 s0, 0, v127
	s_and_b32 s0, vcc_lo, s0
	s_delay_alu instid0(SALU_CYCLE_1) | instskip(NEXT) | instid1(SALU_CYCLE_1)
	s_and_saveexec_b32 s1, s0
	s_xor_b32 s0, exec_lo, s1
; %bb.1095:
	v_cmp_ne_u32_e32 vcc_lo, 0, v132
	v_cndmask_b32_e32 v132, 53, v132, vcc_lo
; %bb.1096:
	s_and_not1_saveexec_b32 s0, s0
	s_cbranch_execz .LBB118_1102
; %bb.1097:
	v_cmp_ngt_f32_e64 s1, |v126|, |v127|
	s_and_saveexec_b32 s12, s1
	s_delay_alu instid0(SALU_CYCLE_1)
	s_xor_b32 s1, exec_lo, s12
	s_cbranch_execz .LBB118_1099
; %bb.1098:
	v_div_scale_f32 v129, null, v127, v127, v126
	v_div_scale_f32 v137, vcc_lo, v126, v127, v126
	s_delay_alu instid0(VALU_DEP_2) | instskip(SKIP_1) | instid1(TRANS32_DEP_1)
	v_rcp_f32_e32 v135, v129
	v_nop
	v_fma_f32 v136, -v129, v135, 1.0
	s_delay_alu instid0(VALU_DEP_1) | instskip(NEXT) | instid1(VALU_DEP_1)
	v_fmac_f32_e32 v135, v136, v135
	v_mul_f32_e32 v136, v137, v135
	s_delay_alu instid0(VALU_DEP_1) | instskip(NEXT) | instid1(VALU_DEP_1)
	v_fma_f32 v138, -v129, v136, v137
	v_fmac_f32_e32 v136, v138, v135
	s_delay_alu instid0(VALU_DEP_1) | instskip(NEXT) | instid1(VALU_DEP_1)
	v_fma_f32 v129, -v129, v136, v137
	v_div_fmas_f32 v129, v129, v135, v136
	s_delay_alu instid0(VALU_DEP_1) | instskip(NEXT) | instid1(VALU_DEP_1)
	v_div_fixup_f32 v129, v129, v127, v126
	v_fmac_f32_e32 v127, v126, v129
	s_delay_alu instid0(VALU_DEP_1) | instskip(SKIP_1) | instid1(VALU_DEP_2)
	v_div_scale_f32 v126, null, v127, v127, 1.0
	v_div_scale_f32 v137, vcc_lo, 1.0, v127, 1.0
	v_rcp_f32_e32 v135, v126
	v_nop
	s_delay_alu instid0(TRANS32_DEP_1) | instskip(NEXT) | instid1(VALU_DEP_1)
	v_fma_f32 v136, -v126, v135, 1.0
	v_fmac_f32_e32 v135, v136, v135
	s_delay_alu instid0(VALU_DEP_1) | instskip(NEXT) | instid1(VALU_DEP_1)
	v_mul_f32_e32 v136, v137, v135
	v_fma_f32 v138, -v126, v136, v137
	s_delay_alu instid0(VALU_DEP_1) | instskip(NEXT) | instid1(VALU_DEP_1)
	v_fmac_f32_e32 v136, v138, v135
	v_fma_f32 v126, -v126, v136, v137
	s_delay_alu instid0(VALU_DEP_1) | instskip(NEXT) | instid1(VALU_DEP_1)
	v_div_fmas_f32 v126, v126, v135, v136
	v_div_fixup_f32 v127, v126, v127, 1.0
	s_delay_alu instid0(VALU_DEP_1)
	v_mul_f32_e32 v126, v129, v127
	v_xor_b32_e32 v127, 0x80000000, v127
.LBB118_1099:
	s_and_not1_saveexec_b32 s1, s1
	s_cbranch_execz .LBB118_1101
; %bb.1100:
	s_delay_alu instid0(VALU_DEP_1) | instskip(SKIP_1) | instid1(VALU_DEP_2)
	v_div_scale_f32 v129, null, v126, v126, v127
	v_div_scale_f32 v137, vcc_lo, v127, v126, v127
	v_rcp_f32_e32 v135, v129
	v_nop
	s_delay_alu instid0(TRANS32_DEP_1) | instskip(NEXT) | instid1(VALU_DEP_1)
	v_fma_f32 v136, -v129, v135, 1.0
	v_fmac_f32_e32 v135, v136, v135
	s_delay_alu instid0(VALU_DEP_1) | instskip(NEXT) | instid1(VALU_DEP_1)
	v_mul_f32_e32 v136, v137, v135
	v_fma_f32 v138, -v129, v136, v137
	s_delay_alu instid0(VALU_DEP_1) | instskip(NEXT) | instid1(VALU_DEP_1)
	v_fmac_f32_e32 v136, v138, v135
	v_fma_f32 v129, -v129, v136, v137
	s_delay_alu instid0(VALU_DEP_1) | instskip(NEXT) | instid1(VALU_DEP_1)
	v_div_fmas_f32 v129, v129, v135, v136
	v_div_fixup_f32 v129, v129, v126, v127
	s_delay_alu instid0(VALU_DEP_1) | instskip(NEXT) | instid1(VALU_DEP_1)
	v_fmac_f32_e32 v126, v127, v129
	v_div_scale_f32 v127, null, v126, v126, 1.0
	s_delay_alu instid0(VALU_DEP_1) | instskip(SKIP_1) | instid1(TRANS32_DEP_1)
	v_rcp_f32_e32 v135, v127
	v_nop
	v_fma_f32 v136, -v127, v135, 1.0
	s_delay_alu instid0(VALU_DEP_1) | instskip(SKIP_1) | instid1(VALU_DEP_1)
	v_fmac_f32_e32 v135, v136, v135
	v_div_scale_f32 v136, vcc_lo, 1.0, v126, 1.0
	v_mul_f32_e32 v137, v136, v135
	s_delay_alu instid0(VALU_DEP_1) | instskip(NEXT) | instid1(VALU_DEP_1)
	v_fma_f32 v138, -v127, v137, v136
	v_fmac_f32_e32 v137, v138, v135
	s_delay_alu instid0(VALU_DEP_1) | instskip(NEXT) | instid1(VALU_DEP_1)
	v_fma_f32 v127, -v127, v137, v136
	v_div_fmas_f32 v127, v127, v135, v137
	s_delay_alu instid0(VALU_DEP_1) | instskip(NEXT) | instid1(VALU_DEP_1)
	v_div_fixup_f32 v126, v127, v126, 1.0
	v_mul_f32_e64 v127, v129, -v126
.LBB118_1101:
	s_or_b32 exec_lo, exec_lo, s1
.LBB118_1102:
	s_delay_alu instid0(SALU_CYCLE_1) | instskip(NEXT) | instid1(SALU_CYCLE_1)
	s_or_b32 exec_lo, exec_lo, s0
	s_mov_b32 s0, exec_lo
	v_cmpx_ne_u32_e64 v134, v128
	s_xor_b32 s0, exec_lo, s0
	s_cbranch_execz .LBB118_1108
; %bb.1103:
	s_mov_b32 s1, exec_lo
	v_cmpx_eq_u32_e32 52, v134
	s_cbranch_execz .LBB118_1107
; %bb.1104:
	v_cmp_ne_u32_e32 vcc_lo, 52, v128
	s_xor_b32 s12, s16, -1
	s_delay_alu instid0(SALU_CYCLE_1) | instskip(NEXT) | instid1(SALU_CYCLE_1)
	s_and_b32 s13, s12, vcc_lo
	s_and_saveexec_b32 s12, s13
	s_cbranch_execz .LBB118_1106
; %bb.1105:
	v_ashrrev_i32_e32 v129, 31, v128
	s_delay_alu instid0(VALU_DEP_1)
	v_lshl_add_u64 v[134:135], v[128:129], 2, v[4:5]
	s_clause 0x1
	global_load_b32 v129, v[134:135], off
	global_load_b32 v133, v[4:5], off offset:208
	s_wait_loadcnt 0x1
	global_store_b32 v[4:5], v129, off offset:208
	s_wait_loadcnt 0x0
	global_store_b32 v[134:135], v133, off
.LBB118_1106:
	s_wait_xcnt 0x0
	s_or_b32 exec_lo, exec_lo, s12
	v_dual_mov_b32 v134, v128 :: v_dual_mov_b32 v133, v128
.LBB118_1107:
	s_or_b32 exec_lo, exec_lo, s1
.LBB118_1108:
	s_and_not1_saveexec_b32 s0, s0
	s_cbranch_execz .LBB118_1110
; %bb.1109:
	v_mov_b32_e32 v134, 52
	ds_store_2addr_b64 v130, v[28:29], v[32:33] offset0:53 offset1:54
	ds_store_2addr_b64 v130, v[6:7], v[26:27] offset0:55 offset1:56
	;; [unrolled: 1-line block ×3, first 2 shown]
	ds_store_b64 v130, v[124:125] offset:472
.LBB118_1110:
	s_or_b32 exec_lo, exec_lo, s0
	s_delay_alu instid0(SALU_CYCLE_1)
	s_mov_b32 s0, exec_lo
	s_wait_storecnt_dscnt 0x0
	s_barrier_signal -1
	s_barrier_wait -1
	v_cmpx_lt_i32_e32 52, v134
	s_cbranch_execz .LBB118_1112
; %bb.1111:
	v_pk_mul_f32 v[128:129], v[126:127], v[34:35] op_sel:[1,1] op_sel_hi:[0,1]
	s_delay_alu instid0(VALU_DEP_1)
	v_pk_fma_f32 v[136:137], v[126:127], v[34:35], v[128:129] op_sel_hi:[1,0,1] neg_lo:[0,0,1] neg_hi:[0,0,1]
	v_pk_fma_f32 v[138:139], v[126:127], v[34:35], v[128:129] op_sel_hi:[1,0,1]
	ds_load_2addr_b64 v[126:129], v130 offset0:53 offset1:54
	v_dual_mov_b32 v34, v136 :: v_dual_mov_b32 v35, v139
	s_wait_dscnt 0x0
	v_pk_mul_f32 v[140:141], v[126:127], v[138:139] op_sel:[0,1]
	s_delay_alu instid0(VALU_DEP_1) | instskip(SKIP_1) | instid1(VALU_DEP_1)
	v_pk_fma_f32 v[142:143], v[126:127], v[136:137], v[140:141] op_sel:[0,0,1] op_sel_hi:[1,1,0] neg_lo:[0,0,1] neg_hi:[0,0,1]
	v_pk_fma_f32 v[126:127], v[126:127], v[136:137], v[140:141] op_sel:[0,0,1] op_sel_hi:[1,0,0]
	v_mov_b32_e32 v143, v127
	v_pk_mul_f32 v[126:127], v[128:129], v[138:139] op_sel:[0,1]
	s_delay_alu instid0(VALU_DEP_1) | instskip(SKIP_1) | instid1(VALU_DEP_1)
	v_pk_fma_f32 v[140:141], v[128:129], v[136:137], v[126:127] op_sel:[0,0,1] op_sel_hi:[1,1,0] neg_lo:[0,0,1] neg_hi:[0,0,1]
	v_pk_fma_f32 v[126:127], v[128:129], v[136:137], v[126:127] op_sel:[0,0,1] op_sel_hi:[1,0,0]
	v_mov_b32_e32 v141, v127
	ds_load_2addr_b64 v[126:129], v130 offset0:55 offset1:56
	v_pk_add_f32 v[28:29], v[28:29], v[142:143] neg_lo:[0,1] neg_hi:[0,1]
	v_pk_add_f32 v[32:33], v[32:33], v[140:141] neg_lo:[0,1] neg_hi:[0,1]
	s_wait_dscnt 0x0
	v_pk_mul_f32 v[140:141], v[126:127], v[138:139] op_sel:[0,1]
	s_delay_alu instid0(VALU_DEP_1) | instskip(SKIP_2) | instid1(VALU_DEP_2)
	v_pk_fma_f32 v[142:143], v[126:127], v[136:137], v[140:141] op_sel:[0,0,1] op_sel_hi:[1,1,0] neg_lo:[0,0,1] neg_hi:[0,0,1]
	v_pk_fma_f32 v[126:127], v[126:127], v[136:137], v[140:141] op_sel:[0,0,1] op_sel_hi:[1,0,0]
	v_dual_mul_f32 v140, v129, v139 :: v_dual_mov_b32 v126, v129
	v_dual_mov_b32 v143, v127 :: v_dual_mov_b32 v127, v128
	s_delay_alu instid0(VALU_DEP_2) | instskip(SKIP_1) | instid1(VALU_DEP_3)
	v_pk_fma_f32 v[140:141], v[128:129], v[34:35], v[140:141] op_sel_hi:[1,1,0] neg_lo:[0,0,1] neg_hi:[0,0,1]
	v_mul_f32_e32 v128, v129, v136
	v_pk_add_f32 v[6:7], v[6:7], v[142:143] neg_lo:[0,1] neg_hi:[0,1]
	s_delay_alu instid0(VALU_DEP_2) | instskip(NEXT) | instid1(VALU_DEP_1)
	v_pk_fma_f32 v[126:127], v[126:127], v[34:35], v[128:129] op_sel_hi:[1,1,0]
	v_mov_b32_e32 v141, v127
	ds_load_2addr_b64 v[126:129], v130 offset0:57 offset1:58
	v_pk_add_f32 v[26:27], v[26:27], v[140:141] neg_lo:[0,1] neg_hi:[0,1]
	s_wait_dscnt 0x0
	v_pk_mul_f32 v[140:141], v[126:127], v[138:139] op_sel:[0,1]
	s_delay_alu instid0(VALU_DEP_1) | instskip(SKIP_1) | instid1(VALU_DEP_1)
	v_pk_fma_f32 v[142:143], v[126:127], v[136:137], v[140:141] op_sel:[0,0,1] op_sel_hi:[1,1,0] neg_lo:[0,0,1] neg_hi:[0,0,1]
	v_pk_fma_f32 v[126:127], v[126:127], v[136:137], v[140:141] op_sel:[0,0,1] op_sel_hi:[1,0,0]
	v_mov_b32_e32 v143, v127
	v_pk_mul_f32 v[126:127], v[128:129], v[138:139] op_sel:[0,1]
	s_delay_alu instid0(VALU_DEP_1) | instskip(SKIP_1) | instid1(VALU_DEP_1)
	v_pk_fma_f32 v[140:141], v[128:129], v[136:137], v[126:127] op_sel:[0,0,1] op_sel_hi:[1,1,0] neg_lo:[0,0,1] neg_hi:[0,0,1]
	v_pk_fma_f32 v[126:127], v[128:129], v[136:137], v[126:127] op_sel:[0,0,1] op_sel_hi:[1,0,0]
	v_mov_b32_e32 v141, v127
	ds_load_b64 v[126:127], v130 offset:472
	v_pk_add_f32 v[16:17], v[16:17], v[142:143] neg_lo:[0,1] neg_hi:[0,1]
	v_pk_add_f32 v[14:15], v[14:15], v[140:141] neg_lo:[0,1] neg_hi:[0,1]
	s_wait_dscnt 0x0
	v_pk_mul_f32 v[128:129], v[126:127], v[138:139] op_sel:[0,1]
	s_delay_alu instid0(VALU_DEP_1) | instskip(SKIP_1) | instid1(VALU_DEP_1)
	v_pk_fma_f32 v[138:139], v[126:127], v[136:137], v[128:129] op_sel:[0,0,1] op_sel_hi:[1,1,0] neg_lo:[0,0,1] neg_hi:[0,0,1]
	v_pk_fma_f32 v[126:127], v[126:127], v[136:137], v[128:129] op_sel:[0,0,1] op_sel_hi:[1,0,0]
	v_mov_b32_e32 v139, v127
	s_delay_alu instid0(VALU_DEP_1)
	v_pk_add_f32 v[124:125], v[124:125], v[138:139] neg_lo:[0,1] neg_hi:[0,1]
.LBB118_1112:
	s_or_b32 exec_lo, exec_lo, s0
	v_lshl_add_u32 v126, v134, 3, v130
	s_barrier_signal -1
	s_barrier_wait -1
	ds_store_b64 v126, v[28:29]
	s_wait_dscnt 0x0
	s_barrier_signal -1
	s_barrier_wait -1
	ds_load_b64 v[126:127], v130 offset:424
	v_mov_b32_e32 v128, 53
	s_cmp_lt_i32 s18, 55
	s_cbranch_scc1 .LBB118_1115
; %bb.1113:
	v_add3_u32 v129, v131, 0, 0x1b0
	v_mov_b32_e32 v128, 53
	s_mov_b32 s0, 54
.LBB118_1114:                           ; =>This Inner Loop Header: Depth=1
	ds_load_b64 v[136:137], v129
	s_wait_dscnt 0x1
	v_cmp_gt_f32_e32 vcc_lo, 0, v126
	v_cndmask_b32_e64 v138, v126, -v126, vcc_lo
	v_cmp_gt_f32_e32 vcc_lo, 0, v127
	v_cndmask_b32_e64 v140, v127, -v127, vcc_lo
	s_wait_dscnt 0x0
	v_cmp_gt_f32_e32 vcc_lo, 0, v136
	v_cndmask_b32_e64 v139, v136, -v136, vcc_lo
	v_cmp_gt_f32_e32 vcc_lo, 0, v137
	v_cndmask_b32_e64 v141, v137, -v137, vcc_lo
	s_delay_alu instid0(VALU_DEP_1) | instskip(NEXT) | instid1(VALU_DEP_1)
	v_pk_add_f32 v[138:139], v[138:139], v[140:141]
	v_cmp_lt_f32_e32 vcc_lo, v138, v139
	v_dual_cndmask_b32 v126, v126, v136 :: v_dual_add_nc_u32 v129, 8, v129
	v_cndmask_b32_e32 v127, v127, v137, vcc_lo
	v_cndmask_b32_e64 v128, v128, s0, vcc_lo
	s_add_co_i32 s0, s0, 1
	s_delay_alu instid0(SALU_CYCLE_1)
	s_cmp_lg_u32 s18, s0
	s_cbranch_scc1 .LBB118_1114
.LBB118_1115:
	s_wait_dscnt 0x0
	v_cmp_eq_f32_e32 vcc_lo, 0, v126
	v_cmp_eq_f32_e64 s0, 0, v127
	s_and_b32 s0, vcc_lo, s0
	s_delay_alu instid0(SALU_CYCLE_1) | instskip(NEXT) | instid1(SALU_CYCLE_1)
	s_and_saveexec_b32 s1, s0
	s_xor_b32 s0, exec_lo, s1
; %bb.1116:
	v_cmp_ne_u32_e32 vcc_lo, 0, v132
	v_cndmask_b32_e32 v132, 54, v132, vcc_lo
; %bb.1117:
	s_and_not1_saveexec_b32 s0, s0
	s_cbranch_execz .LBB118_1123
; %bb.1118:
	v_cmp_ngt_f32_e64 s1, |v126|, |v127|
	s_and_saveexec_b32 s12, s1
	s_delay_alu instid0(SALU_CYCLE_1)
	s_xor_b32 s1, exec_lo, s12
	s_cbranch_execz .LBB118_1120
; %bb.1119:
	v_div_scale_f32 v129, null, v127, v127, v126
	v_div_scale_f32 v137, vcc_lo, v126, v127, v126
	s_delay_alu instid0(VALU_DEP_2) | instskip(SKIP_1) | instid1(TRANS32_DEP_1)
	v_rcp_f32_e32 v135, v129
	v_nop
	v_fma_f32 v136, -v129, v135, 1.0
	s_delay_alu instid0(VALU_DEP_1) | instskip(NEXT) | instid1(VALU_DEP_1)
	v_fmac_f32_e32 v135, v136, v135
	v_mul_f32_e32 v136, v137, v135
	s_delay_alu instid0(VALU_DEP_1) | instskip(NEXT) | instid1(VALU_DEP_1)
	v_fma_f32 v138, -v129, v136, v137
	v_fmac_f32_e32 v136, v138, v135
	s_delay_alu instid0(VALU_DEP_1) | instskip(NEXT) | instid1(VALU_DEP_1)
	v_fma_f32 v129, -v129, v136, v137
	v_div_fmas_f32 v129, v129, v135, v136
	s_delay_alu instid0(VALU_DEP_1) | instskip(NEXT) | instid1(VALU_DEP_1)
	v_div_fixup_f32 v129, v129, v127, v126
	v_fmac_f32_e32 v127, v126, v129
	s_delay_alu instid0(VALU_DEP_1) | instskip(SKIP_1) | instid1(VALU_DEP_2)
	v_div_scale_f32 v126, null, v127, v127, 1.0
	v_div_scale_f32 v137, vcc_lo, 1.0, v127, 1.0
	v_rcp_f32_e32 v135, v126
	v_nop
	s_delay_alu instid0(TRANS32_DEP_1) | instskip(NEXT) | instid1(VALU_DEP_1)
	v_fma_f32 v136, -v126, v135, 1.0
	v_fmac_f32_e32 v135, v136, v135
	s_delay_alu instid0(VALU_DEP_1) | instskip(NEXT) | instid1(VALU_DEP_1)
	v_mul_f32_e32 v136, v137, v135
	v_fma_f32 v138, -v126, v136, v137
	s_delay_alu instid0(VALU_DEP_1) | instskip(NEXT) | instid1(VALU_DEP_1)
	v_fmac_f32_e32 v136, v138, v135
	v_fma_f32 v126, -v126, v136, v137
	s_delay_alu instid0(VALU_DEP_1) | instskip(NEXT) | instid1(VALU_DEP_1)
	v_div_fmas_f32 v126, v126, v135, v136
	v_div_fixup_f32 v127, v126, v127, 1.0
	s_delay_alu instid0(VALU_DEP_1)
	v_mul_f32_e32 v126, v129, v127
	v_xor_b32_e32 v127, 0x80000000, v127
.LBB118_1120:
	s_and_not1_saveexec_b32 s1, s1
	s_cbranch_execz .LBB118_1122
; %bb.1121:
	s_delay_alu instid0(VALU_DEP_1) | instskip(SKIP_1) | instid1(VALU_DEP_2)
	v_div_scale_f32 v129, null, v126, v126, v127
	v_div_scale_f32 v137, vcc_lo, v127, v126, v127
	v_rcp_f32_e32 v135, v129
	v_nop
	s_delay_alu instid0(TRANS32_DEP_1) | instskip(NEXT) | instid1(VALU_DEP_1)
	v_fma_f32 v136, -v129, v135, 1.0
	v_fmac_f32_e32 v135, v136, v135
	s_delay_alu instid0(VALU_DEP_1) | instskip(NEXT) | instid1(VALU_DEP_1)
	v_mul_f32_e32 v136, v137, v135
	v_fma_f32 v138, -v129, v136, v137
	s_delay_alu instid0(VALU_DEP_1) | instskip(NEXT) | instid1(VALU_DEP_1)
	v_fmac_f32_e32 v136, v138, v135
	v_fma_f32 v129, -v129, v136, v137
	s_delay_alu instid0(VALU_DEP_1) | instskip(NEXT) | instid1(VALU_DEP_1)
	v_div_fmas_f32 v129, v129, v135, v136
	v_div_fixup_f32 v129, v129, v126, v127
	s_delay_alu instid0(VALU_DEP_1) | instskip(NEXT) | instid1(VALU_DEP_1)
	v_fmac_f32_e32 v126, v127, v129
	v_div_scale_f32 v127, null, v126, v126, 1.0
	s_delay_alu instid0(VALU_DEP_1) | instskip(SKIP_1) | instid1(TRANS32_DEP_1)
	v_rcp_f32_e32 v135, v127
	v_nop
	v_fma_f32 v136, -v127, v135, 1.0
	s_delay_alu instid0(VALU_DEP_1) | instskip(SKIP_1) | instid1(VALU_DEP_1)
	v_fmac_f32_e32 v135, v136, v135
	v_div_scale_f32 v136, vcc_lo, 1.0, v126, 1.0
	v_mul_f32_e32 v137, v136, v135
	s_delay_alu instid0(VALU_DEP_1) | instskip(NEXT) | instid1(VALU_DEP_1)
	v_fma_f32 v138, -v127, v137, v136
	v_fmac_f32_e32 v137, v138, v135
	s_delay_alu instid0(VALU_DEP_1) | instskip(NEXT) | instid1(VALU_DEP_1)
	v_fma_f32 v127, -v127, v137, v136
	v_div_fmas_f32 v127, v127, v135, v137
	s_delay_alu instid0(VALU_DEP_1) | instskip(NEXT) | instid1(VALU_DEP_1)
	v_div_fixup_f32 v126, v127, v126, 1.0
	v_mul_f32_e64 v127, v129, -v126
.LBB118_1122:
	s_or_b32 exec_lo, exec_lo, s1
.LBB118_1123:
	s_delay_alu instid0(SALU_CYCLE_1) | instskip(NEXT) | instid1(SALU_CYCLE_1)
	s_or_b32 exec_lo, exec_lo, s0
	s_mov_b32 s0, exec_lo
	v_cmpx_ne_u32_e64 v134, v128
	s_xor_b32 s0, exec_lo, s0
	s_cbranch_execz .LBB118_1129
; %bb.1124:
	s_mov_b32 s1, exec_lo
	v_cmpx_eq_u32_e32 53, v134
	s_cbranch_execz .LBB118_1128
; %bb.1125:
	v_cmp_ne_u32_e32 vcc_lo, 53, v128
	s_xor_b32 s12, s16, -1
	s_delay_alu instid0(SALU_CYCLE_1) | instskip(NEXT) | instid1(SALU_CYCLE_1)
	s_and_b32 s13, s12, vcc_lo
	s_and_saveexec_b32 s12, s13
	s_cbranch_execz .LBB118_1127
; %bb.1126:
	v_ashrrev_i32_e32 v129, 31, v128
	s_delay_alu instid0(VALU_DEP_1)
	v_lshl_add_u64 v[134:135], v[128:129], 2, v[4:5]
	s_clause 0x1
	global_load_b32 v129, v[134:135], off
	global_load_b32 v133, v[4:5], off offset:212
	s_wait_loadcnt 0x1
	global_store_b32 v[4:5], v129, off offset:212
	s_wait_loadcnt 0x0
	global_store_b32 v[134:135], v133, off
.LBB118_1127:
	s_wait_xcnt 0x0
	s_or_b32 exec_lo, exec_lo, s12
	v_dual_mov_b32 v134, v128 :: v_dual_mov_b32 v133, v128
.LBB118_1128:
	s_or_b32 exec_lo, exec_lo, s1
.LBB118_1129:
	s_and_not1_saveexec_b32 s0, s0
	s_cbranch_execz .LBB118_1131
; %bb.1130:
	v_dual_mov_b32 v128, v32 :: v_dual_mov_b32 v129, v33
	v_dual_mov_b32 v136, v6 :: v_dual_mov_b32 v137, v7
	v_dual_mov_b32 v134, 53 :: v_dual_mov_b32 v138, v26
	v_dual_mov_b32 v139, v27 :: v_dual_mov_b32 v140, v16
	v_dual_mov_b32 v141, v17 :: v_dual_mov_b32 v142, v14
	v_mov_b32_e32 v143, v15
	ds_store_2addr_b64 v130, v[128:129], v[136:137] offset0:54 offset1:55
	ds_store_2addr_b64 v130, v[138:139], v[140:141] offset0:56 offset1:57
	;; [unrolled: 1-line block ×3, first 2 shown]
.LBB118_1131:
	s_or_b32 exec_lo, exec_lo, s0
	s_delay_alu instid0(SALU_CYCLE_1)
	s_mov_b32 s0, exec_lo
	s_wait_storecnt_dscnt 0x0
	s_barrier_signal -1
	s_barrier_wait -1
	v_cmpx_lt_i32_e32 53, v134
	s_cbranch_execz .LBB118_1133
; %bb.1132:
	v_pk_mul_f32 v[128:129], v[126:127], v[28:29] op_sel:[1,1] op_sel_hi:[0,1]
	s_delay_alu instid0(VALU_DEP_1)
	v_pk_fma_f32 v[136:137], v[126:127], v[28:29], v[128:129] op_sel_hi:[1,0,1] neg_lo:[0,0,1] neg_hi:[0,0,1]
	v_pk_fma_f32 v[138:139], v[126:127], v[28:29], v[128:129] op_sel_hi:[1,0,1]
	ds_load_2addr_b64 v[126:129], v130 offset0:54 offset1:55
	v_dual_mov_b32 v28, v136 :: v_dual_mov_b32 v29, v139
	s_wait_dscnt 0x0
	v_pk_mul_f32 v[140:141], v[126:127], v[138:139] op_sel:[0,1]
	s_delay_alu instid0(VALU_DEP_1) | instskip(SKIP_1) | instid1(VALU_DEP_1)
	v_pk_fma_f32 v[142:143], v[126:127], v[136:137], v[140:141] op_sel:[0,0,1] op_sel_hi:[1,1,0] neg_lo:[0,0,1] neg_hi:[0,0,1]
	v_pk_fma_f32 v[126:127], v[126:127], v[136:137], v[140:141] op_sel:[0,0,1] op_sel_hi:[1,0,0]
	v_mov_b32_e32 v143, v127
	v_pk_mul_f32 v[126:127], v[128:129], v[138:139] op_sel:[0,1]
	s_delay_alu instid0(VALU_DEP_1) | instskip(SKIP_1) | instid1(VALU_DEP_1)
	v_pk_fma_f32 v[140:141], v[128:129], v[136:137], v[126:127] op_sel:[0,0,1] op_sel_hi:[1,1,0] neg_lo:[0,0,1] neg_hi:[0,0,1]
	v_pk_fma_f32 v[126:127], v[128:129], v[136:137], v[126:127] op_sel:[0,0,1] op_sel_hi:[1,0,0]
	v_mov_b32_e32 v141, v127
	ds_load_2addr_b64 v[126:129], v130 offset0:56 offset1:57
	v_pk_add_f32 v[32:33], v[32:33], v[142:143] neg_lo:[0,1] neg_hi:[0,1]
	v_pk_add_f32 v[6:7], v[6:7], v[140:141] neg_lo:[0,1] neg_hi:[0,1]
	s_wait_dscnt 0x0
	v_pk_mul_f32 v[140:141], v[126:127], v[138:139] op_sel:[0,1]
	s_delay_alu instid0(VALU_DEP_1) | instskip(SKIP_2) | instid1(VALU_DEP_2)
	v_pk_fma_f32 v[142:143], v[126:127], v[136:137], v[140:141] op_sel:[0,0,1] op_sel_hi:[1,1,0] neg_lo:[0,0,1] neg_hi:[0,0,1]
	v_pk_fma_f32 v[126:127], v[126:127], v[136:137], v[140:141] op_sel:[0,0,1] op_sel_hi:[1,0,0]
	v_dual_mul_f32 v140, v129, v139 :: v_dual_mov_b32 v126, v129
	v_dual_mov_b32 v143, v127 :: v_dual_mov_b32 v127, v128
	s_delay_alu instid0(VALU_DEP_2) | instskip(SKIP_1) | instid1(VALU_DEP_3)
	v_pk_fma_f32 v[140:141], v[128:129], v[28:29], v[140:141] op_sel_hi:[1,1,0] neg_lo:[0,0,1] neg_hi:[0,0,1]
	v_mul_f32_e32 v128, v129, v136
	v_pk_add_f32 v[26:27], v[26:27], v[142:143] neg_lo:[0,1] neg_hi:[0,1]
	s_delay_alu instid0(VALU_DEP_2) | instskip(NEXT) | instid1(VALU_DEP_1)
	v_pk_fma_f32 v[126:127], v[126:127], v[28:29], v[128:129] op_sel_hi:[1,1,0]
	v_mov_b32_e32 v141, v127
	ds_load_2addr_b64 v[126:129], v130 offset0:58 offset1:59
	v_pk_add_f32 v[16:17], v[16:17], v[140:141] neg_lo:[0,1] neg_hi:[0,1]
	s_wait_dscnt 0x0
	v_pk_mul_f32 v[140:141], v[126:127], v[138:139] op_sel:[0,1]
	v_mul_f32_e32 v138, v129, v139
	s_delay_alu instid0(VALU_DEP_2) | instskip(SKIP_2) | instid1(VALU_DEP_4)
	v_pk_fma_f32 v[142:143], v[126:127], v[136:137], v[140:141] op_sel:[0,0,1] op_sel_hi:[1,1,0] neg_lo:[0,0,1] neg_hi:[0,0,1]
	v_pk_fma_f32 v[126:127], v[126:127], v[136:137], v[140:141] op_sel:[0,0,1] op_sel_hi:[1,0,0]
	v_mov_b32_e32 v126, v129
	v_pk_fma_f32 v[138:139], v[128:129], v[28:29], v[138:139] op_sel_hi:[1,1,0] neg_lo:[0,0,1] neg_hi:[0,0,1]
	s_delay_alu instid0(VALU_DEP_3) | instskip(SKIP_1) | instid1(VALU_DEP_2)
	v_dual_mov_b32 v143, v127 :: v_dual_mov_b32 v127, v128
	v_mul_f32_e32 v128, v129, v136
	v_pk_add_f32 v[14:15], v[14:15], v[142:143] neg_lo:[0,1] neg_hi:[0,1]
	s_delay_alu instid0(VALU_DEP_2) | instskip(NEXT) | instid1(VALU_DEP_1)
	v_pk_fma_f32 v[126:127], v[126:127], v[28:29], v[128:129] op_sel_hi:[1,1,0]
	v_mov_b32_e32 v139, v127
	s_delay_alu instid0(VALU_DEP_1)
	v_pk_add_f32 v[124:125], v[124:125], v[138:139] neg_lo:[0,1] neg_hi:[0,1]
.LBB118_1133:
	s_or_b32 exec_lo, exec_lo, s0
	v_lshl_add_u32 v126, v134, 3, v130
	s_barrier_signal -1
	s_barrier_wait -1
	ds_store_b64 v126, v[32:33]
	s_wait_dscnt 0x0
	s_barrier_signal -1
	s_barrier_wait -1
	ds_load_b64 v[126:127], v130 offset:432
	v_mov_b32_e32 v128, 54
	s_cmp_lt_i32 s18, 56
	s_cbranch_scc1 .LBB118_1136
; %bb.1134:
	v_add3_u32 v129, v131, 0, 0x1b8
	v_mov_b32_e32 v128, 54
	s_mov_b32 s0, 55
.LBB118_1135:                           ; =>This Inner Loop Header: Depth=1
	ds_load_b64 v[136:137], v129
	s_wait_dscnt 0x1
	v_cmp_gt_f32_e32 vcc_lo, 0, v126
	v_cndmask_b32_e64 v138, v126, -v126, vcc_lo
	v_cmp_gt_f32_e32 vcc_lo, 0, v127
	v_cndmask_b32_e64 v140, v127, -v127, vcc_lo
	s_wait_dscnt 0x0
	v_cmp_gt_f32_e32 vcc_lo, 0, v136
	v_cndmask_b32_e64 v139, v136, -v136, vcc_lo
	v_cmp_gt_f32_e32 vcc_lo, 0, v137
	v_cndmask_b32_e64 v141, v137, -v137, vcc_lo
	s_delay_alu instid0(VALU_DEP_1) | instskip(NEXT) | instid1(VALU_DEP_1)
	v_pk_add_f32 v[138:139], v[138:139], v[140:141]
	v_cmp_lt_f32_e32 vcc_lo, v138, v139
	v_dual_cndmask_b32 v126, v126, v136 :: v_dual_add_nc_u32 v129, 8, v129
	v_cndmask_b32_e32 v127, v127, v137, vcc_lo
	v_cndmask_b32_e64 v128, v128, s0, vcc_lo
	s_add_co_i32 s0, s0, 1
	s_delay_alu instid0(SALU_CYCLE_1)
	s_cmp_lg_u32 s18, s0
	s_cbranch_scc1 .LBB118_1135
.LBB118_1136:
	s_wait_dscnt 0x0
	v_cmp_eq_f32_e32 vcc_lo, 0, v126
	v_cmp_eq_f32_e64 s0, 0, v127
	s_and_b32 s0, vcc_lo, s0
	s_delay_alu instid0(SALU_CYCLE_1) | instskip(NEXT) | instid1(SALU_CYCLE_1)
	s_and_saveexec_b32 s1, s0
	s_xor_b32 s0, exec_lo, s1
; %bb.1137:
	v_cmp_ne_u32_e32 vcc_lo, 0, v132
	v_cndmask_b32_e32 v132, 55, v132, vcc_lo
; %bb.1138:
	s_and_not1_saveexec_b32 s0, s0
	s_cbranch_execz .LBB118_1144
; %bb.1139:
	v_cmp_ngt_f32_e64 s1, |v126|, |v127|
	s_and_saveexec_b32 s12, s1
	s_delay_alu instid0(SALU_CYCLE_1)
	s_xor_b32 s1, exec_lo, s12
	s_cbranch_execz .LBB118_1141
; %bb.1140:
	v_div_scale_f32 v129, null, v127, v127, v126
	v_div_scale_f32 v137, vcc_lo, v126, v127, v126
	s_delay_alu instid0(VALU_DEP_2) | instskip(SKIP_1) | instid1(TRANS32_DEP_1)
	v_rcp_f32_e32 v135, v129
	v_nop
	v_fma_f32 v136, -v129, v135, 1.0
	s_delay_alu instid0(VALU_DEP_1) | instskip(NEXT) | instid1(VALU_DEP_1)
	v_fmac_f32_e32 v135, v136, v135
	v_mul_f32_e32 v136, v137, v135
	s_delay_alu instid0(VALU_DEP_1) | instskip(NEXT) | instid1(VALU_DEP_1)
	v_fma_f32 v138, -v129, v136, v137
	v_fmac_f32_e32 v136, v138, v135
	s_delay_alu instid0(VALU_DEP_1) | instskip(NEXT) | instid1(VALU_DEP_1)
	v_fma_f32 v129, -v129, v136, v137
	v_div_fmas_f32 v129, v129, v135, v136
	s_delay_alu instid0(VALU_DEP_1) | instskip(NEXT) | instid1(VALU_DEP_1)
	v_div_fixup_f32 v129, v129, v127, v126
	v_fmac_f32_e32 v127, v126, v129
	s_delay_alu instid0(VALU_DEP_1) | instskip(SKIP_1) | instid1(VALU_DEP_2)
	v_div_scale_f32 v126, null, v127, v127, 1.0
	v_div_scale_f32 v137, vcc_lo, 1.0, v127, 1.0
	v_rcp_f32_e32 v135, v126
	v_nop
	s_delay_alu instid0(TRANS32_DEP_1) | instskip(NEXT) | instid1(VALU_DEP_1)
	v_fma_f32 v136, -v126, v135, 1.0
	v_fmac_f32_e32 v135, v136, v135
	s_delay_alu instid0(VALU_DEP_1) | instskip(NEXT) | instid1(VALU_DEP_1)
	v_mul_f32_e32 v136, v137, v135
	v_fma_f32 v138, -v126, v136, v137
	s_delay_alu instid0(VALU_DEP_1) | instskip(NEXT) | instid1(VALU_DEP_1)
	v_fmac_f32_e32 v136, v138, v135
	v_fma_f32 v126, -v126, v136, v137
	s_delay_alu instid0(VALU_DEP_1) | instskip(NEXT) | instid1(VALU_DEP_1)
	v_div_fmas_f32 v126, v126, v135, v136
	v_div_fixup_f32 v127, v126, v127, 1.0
	s_delay_alu instid0(VALU_DEP_1)
	v_mul_f32_e32 v126, v129, v127
	v_xor_b32_e32 v127, 0x80000000, v127
.LBB118_1141:
	s_and_not1_saveexec_b32 s1, s1
	s_cbranch_execz .LBB118_1143
; %bb.1142:
	s_delay_alu instid0(VALU_DEP_1) | instskip(SKIP_1) | instid1(VALU_DEP_2)
	v_div_scale_f32 v129, null, v126, v126, v127
	v_div_scale_f32 v137, vcc_lo, v127, v126, v127
	v_rcp_f32_e32 v135, v129
	v_nop
	s_delay_alu instid0(TRANS32_DEP_1) | instskip(NEXT) | instid1(VALU_DEP_1)
	v_fma_f32 v136, -v129, v135, 1.0
	v_fmac_f32_e32 v135, v136, v135
	s_delay_alu instid0(VALU_DEP_1) | instskip(NEXT) | instid1(VALU_DEP_1)
	v_mul_f32_e32 v136, v137, v135
	v_fma_f32 v138, -v129, v136, v137
	s_delay_alu instid0(VALU_DEP_1) | instskip(NEXT) | instid1(VALU_DEP_1)
	v_fmac_f32_e32 v136, v138, v135
	v_fma_f32 v129, -v129, v136, v137
	s_delay_alu instid0(VALU_DEP_1) | instskip(NEXT) | instid1(VALU_DEP_1)
	v_div_fmas_f32 v129, v129, v135, v136
	v_div_fixup_f32 v129, v129, v126, v127
	s_delay_alu instid0(VALU_DEP_1) | instskip(NEXT) | instid1(VALU_DEP_1)
	v_fmac_f32_e32 v126, v127, v129
	v_div_scale_f32 v127, null, v126, v126, 1.0
	s_delay_alu instid0(VALU_DEP_1) | instskip(SKIP_1) | instid1(TRANS32_DEP_1)
	v_rcp_f32_e32 v135, v127
	v_nop
	v_fma_f32 v136, -v127, v135, 1.0
	s_delay_alu instid0(VALU_DEP_1) | instskip(SKIP_1) | instid1(VALU_DEP_1)
	v_fmac_f32_e32 v135, v136, v135
	v_div_scale_f32 v136, vcc_lo, 1.0, v126, 1.0
	v_mul_f32_e32 v137, v136, v135
	s_delay_alu instid0(VALU_DEP_1) | instskip(NEXT) | instid1(VALU_DEP_1)
	v_fma_f32 v138, -v127, v137, v136
	v_fmac_f32_e32 v137, v138, v135
	s_delay_alu instid0(VALU_DEP_1) | instskip(NEXT) | instid1(VALU_DEP_1)
	v_fma_f32 v127, -v127, v137, v136
	v_div_fmas_f32 v127, v127, v135, v137
	s_delay_alu instid0(VALU_DEP_1) | instskip(NEXT) | instid1(VALU_DEP_1)
	v_div_fixup_f32 v126, v127, v126, 1.0
	v_mul_f32_e64 v127, v129, -v126
.LBB118_1143:
	s_or_b32 exec_lo, exec_lo, s1
.LBB118_1144:
	s_delay_alu instid0(SALU_CYCLE_1) | instskip(NEXT) | instid1(SALU_CYCLE_1)
	s_or_b32 exec_lo, exec_lo, s0
	s_mov_b32 s0, exec_lo
	v_cmpx_ne_u32_e64 v134, v128
	s_xor_b32 s0, exec_lo, s0
	s_cbranch_execz .LBB118_1150
; %bb.1145:
	s_mov_b32 s1, exec_lo
	v_cmpx_eq_u32_e32 54, v134
	s_cbranch_execz .LBB118_1149
; %bb.1146:
	v_cmp_ne_u32_e32 vcc_lo, 54, v128
	s_xor_b32 s12, s16, -1
	s_delay_alu instid0(SALU_CYCLE_1) | instskip(NEXT) | instid1(SALU_CYCLE_1)
	s_and_b32 s13, s12, vcc_lo
	s_and_saveexec_b32 s12, s13
	s_cbranch_execz .LBB118_1148
; %bb.1147:
	v_ashrrev_i32_e32 v129, 31, v128
	s_delay_alu instid0(VALU_DEP_1)
	v_lshl_add_u64 v[134:135], v[128:129], 2, v[4:5]
	s_clause 0x1
	global_load_b32 v129, v[134:135], off
	global_load_b32 v133, v[4:5], off offset:216
	s_wait_loadcnt 0x1
	global_store_b32 v[4:5], v129, off offset:216
	s_wait_loadcnt 0x0
	global_store_b32 v[134:135], v133, off
.LBB118_1148:
	s_wait_xcnt 0x0
	s_or_b32 exec_lo, exec_lo, s12
	v_dual_mov_b32 v134, v128 :: v_dual_mov_b32 v133, v128
.LBB118_1149:
	s_or_b32 exec_lo, exec_lo, s1
.LBB118_1150:
	s_and_not1_saveexec_b32 s0, s0
	s_cbranch_execz .LBB118_1152
; %bb.1151:
	v_mov_b32_e32 v134, 54
	ds_store_2addr_b64 v130, v[6:7], v[26:27] offset0:55 offset1:56
	ds_store_2addr_b64 v130, v[16:17], v[14:15] offset0:57 offset1:58
	ds_store_b64 v130, v[124:125] offset:472
.LBB118_1152:
	s_or_b32 exec_lo, exec_lo, s0
	s_delay_alu instid0(SALU_CYCLE_1)
	s_mov_b32 s0, exec_lo
	s_wait_storecnt_dscnt 0x0
	s_barrier_signal -1
	s_barrier_wait -1
	v_cmpx_lt_i32_e32 54, v134
	s_cbranch_execz .LBB118_1154
; %bb.1153:
	ds_load_2addr_b64 v[136:139], v130 offset0:55 offset1:56
	ds_load_2addr_b64 v[140:143], v130 offset0:57 offset1:58
	ds_load_b64 v[128:129], v130 offset:472
	v_pk_mul_f32 v[144:145], v[126:127], v[32:33] op_sel:[1,1] op_sel_hi:[0,1]
	s_delay_alu instid0(VALU_DEP_1) | instskip(SKIP_1) | instid1(VALU_DEP_1)
	v_pk_fma_f32 v[146:147], v[126:127], v[32:33], v[144:145] op_sel_hi:[1,0,1] neg_lo:[0,0,1] neg_hi:[0,0,1]
	v_pk_fma_f32 v[126:127], v[126:127], v[32:33], v[144:145] op_sel_hi:[1,0,1]
	v_dual_mov_b32 v32, v146 :: v_dual_mov_b32 v33, v127
	s_wait_dscnt 0x2
	s_delay_alu instid0(VALU_DEP_2)
	v_pk_mul_f32 v[144:145], v[136:137], v[126:127] op_sel:[0,1]
	v_pk_mul_f32 v[148:149], v[138:139], v[126:127] op_sel:[0,1]
	s_wait_dscnt 0x1
	v_pk_mul_f32 v[150:151], v[140:141], v[126:127] op_sel:[0,1]
	v_dual_mov_b32 v152, v143 :: v_dual_mov_b32 v153, v142
	v_dual_mul_f32 v154, v143, v127 :: v_dual_mul_f32 v156, v143, v146
	s_wait_dscnt 0x0
	v_pk_mul_f32 v[126:127], v[128:129], v[126:127] op_sel:[0,1]
	v_pk_fma_f32 v[158:159], v[136:137], v[146:147], v[144:145] op_sel:[0,0,1] op_sel_hi:[1,1,0] neg_lo:[0,0,1] neg_hi:[0,0,1]
	v_pk_fma_f32 v[136:137], v[136:137], v[146:147], v[144:145] op_sel:[0,0,1] op_sel_hi:[1,0,0]
	v_pk_fma_f32 v[144:145], v[138:139], v[146:147], v[148:149] op_sel:[0,0,1] op_sel_hi:[1,1,0] neg_lo:[0,0,1] neg_hi:[0,0,1]
	v_pk_fma_f32 v[138:139], v[138:139], v[146:147], v[148:149] op_sel:[0,0,1] op_sel_hi:[1,0,0]
	;; [unrolled: 2-line block ×3, first 2 shown]
	v_pk_fma_f32 v[150:151], v[152:153], v[32:33], v[156:157] op_sel_hi:[1,1,0]
	v_pk_fma_f32 v[152:153], v[128:129], v[146:147], v[126:127] op_sel:[0,0,1] op_sel_hi:[1,1,0] neg_lo:[0,0,1] neg_hi:[0,0,1]
	v_pk_fma_f32 v[126:127], v[128:129], v[146:147], v[126:127] op_sel:[0,0,1] op_sel_hi:[1,0,0]
	v_pk_fma_f32 v[142:143], v[142:143], v[32:33], v[154:155] op_sel_hi:[1,1,0] neg_lo:[0,0,1] neg_hi:[0,0,1]
	v_dual_mov_b32 v159, v137 :: v_dual_mov_b32 v145, v139
	v_dual_mov_b32 v149, v141 :: v_dual_mov_b32 v143, v151
	s_delay_alu instid0(VALU_DEP_4) | instskip(NEXT) | instid1(VALU_DEP_3)
	v_mov_b32_e32 v153, v127
	v_pk_add_f32 v[6:7], v[6:7], v[158:159] neg_lo:[0,1] neg_hi:[0,1]
	s_delay_alu instid0(VALU_DEP_4) | instskip(NEXT) | instid1(VALU_DEP_4)
	v_pk_add_f32 v[26:27], v[26:27], v[144:145] neg_lo:[0,1] neg_hi:[0,1]
	v_pk_add_f32 v[16:17], v[16:17], v[148:149] neg_lo:[0,1] neg_hi:[0,1]
	;; [unrolled: 1-line block ×4, first 2 shown]
.LBB118_1154:
	s_or_b32 exec_lo, exec_lo, s0
	v_lshl_add_u32 v126, v134, 3, v130
	s_barrier_signal -1
	s_barrier_wait -1
	ds_store_b64 v126, v[6:7]
	s_wait_dscnt 0x0
	s_barrier_signal -1
	s_barrier_wait -1
	ds_load_b64 v[126:127], v130 offset:440
	v_mov_b32_e32 v128, 55
	s_cmp_lt_i32 s18, 57
	s_cbranch_scc1 .LBB118_1157
; %bb.1155:
	v_add3_u32 v129, v131, 0, 0x1c0
	v_mov_b32_e32 v128, 55
	s_mov_b32 s0, 56
.LBB118_1156:                           ; =>This Inner Loop Header: Depth=1
	ds_load_b64 v[136:137], v129
	s_wait_dscnt 0x1
	v_cmp_gt_f32_e32 vcc_lo, 0, v126
	v_cndmask_b32_e64 v138, v126, -v126, vcc_lo
	v_cmp_gt_f32_e32 vcc_lo, 0, v127
	v_cndmask_b32_e64 v140, v127, -v127, vcc_lo
	s_wait_dscnt 0x0
	v_cmp_gt_f32_e32 vcc_lo, 0, v136
	v_cndmask_b32_e64 v139, v136, -v136, vcc_lo
	v_cmp_gt_f32_e32 vcc_lo, 0, v137
	v_cndmask_b32_e64 v141, v137, -v137, vcc_lo
	s_delay_alu instid0(VALU_DEP_1) | instskip(NEXT) | instid1(VALU_DEP_1)
	v_pk_add_f32 v[138:139], v[138:139], v[140:141]
	v_cmp_lt_f32_e32 vcc_lo, v138, v139
	v_dual_cndmask_b32 v126, v126, v136 :: v_dual_add_nc_u32 v129, 8, v129
	v_cndmask_b32_e32 v127, v127, v137, vcc_lo
	v_cndmask_b32_e64 v128, v128, s0, vcc_lo
	s_add_co_i32 s0, s0, 1
	s_delay_alu instid0(SALU_CYCLE_1)
	s_cmp_lg_u32 s18, s0
	s_cbranch_scc1 .LBB118_1156
.LBB118_1157:
	s_wait_dscnt 0x0
	v_cmp_eq_f32_e32 vcc_lo, 0, v126
	v_cmp_eq_f32_e64 s0, 0, v127
	s_and_b32 s0, vcc_lo, s0
	s_delay_alu instid0(SALU_CYCLE_1) | instskip(NEXT) | instid1(SALU_CYCLE_1)
	s_and_saveexec_b32 s1, s0
	s_xor_b32 s0, exec_lo, s1
; %bb.1158:
	v_cmp_ne_u32_e32 vcc_lo, 0, v132
	v_cndmask_b32_e32 v132, 56, v132, vcc_lo
; %bb.1159:
	s_and_not1_saveexec_b32 s0, s0
	s_cbranch_execz .LBB118_1165
; %bb.1160:
	v_cmp_ngt_f32_e64 s1, |v126|, |v127|
	s_and_saveexec_b32 s12, s1
	s_delay_alu instid0(SALU_CYCLE_1)
	s_xor_b32 s1, exec_lo, s12
	s_cbranch_execz .LBB118_1162
; %bb.1161:
	v_div_scale_f32 v129, null, v127, v127, v126
	v_div_scale_f32 v137, vcc_lo, v126, v127, v126
	s_delay_alu instid0(VALU_DEP_2) | instskip(SKIP_1) | instid1(TRANS32_DEP_1)
	v_rcp_f32_e32 v135, v129
	v_nop
	v_fma_f32 v136, -v129, v135, 1.0
	s_delay_alu instid0(VALU_DEP_1) | instskip(NEXT) | instid1(VALU_DEP_1)
	v_fmac_f32_e32 v135, v136, v135
	v_mul_f32_e32 v136, v137, v135
	s_delay_alu instid0(VALU_DEP_1) | instskip(NEXT) | instid1(VALU_DEP_1)
	v_fma_f32 v138, -v129, v136, v137
	v_fmac_f32_e32 v136, v138, v135
	s_delay_alu instid0(VALU_DEP_1) | instskip(NEXT) | instid1(VALU_DEP_1)
	v_fma_f32 v129, -v129, v136, v137
	v_div_fmas_f32 v129, v129, v135, v136
	s_delay_alu instid0(VALU_DEP_1) | instskip(NEXT) | instid1(VALU_DEP_1)
	v_div_fixup_f32 v129, v129, v127, v126
	v_fmac_f32_e32 v127, v126, v129
	s_delay_alu instid0(VALU_DEP_1) | instskip(SKIP_1) | instid1(VALU_DEP_2)
	v_div_scale_f32 v126, null, v127, v127, 1.0
	v_div_scale_f32 v137, vcc_lo, 1.0, v127, 1.0
	v_rcp_f32_e32 v135, v126
	v_nop
	s_delay_alu instid0(TRANS32_DEP_1) | instskip(NEXT) | instid1(VALU_DEP_1)
	v_fma_f32 v136, -v126, v135, 1.0
	v_fmac_f32_e32 v135, v136, v135
	s_delay_alu instid0(VALU_DEP_1) | instskip(NEXT) | instid1(VALU_DEP_1)
	v_mul_f32_e32 v136, v137, v135
	v_fma_f32 v138, -v126, v136, v137
	s_delay_alu instid0(VALU_DEP_1) | instskip(NEXT) | instid1(VALU_DEP_1)
	v_fmac_f32_e32 v136, v138, v135
	v_fma_f32 v126, -v126, v136, v137
	s_delay_alu instid0(VALU_DEP_1) | instskip(NEXT) | instid1(VALU_DEP_1)
	v_div_fmas_f32 v126, v126, v135, v136
	v_div_fixup_f32 v127, v126, v127, 1.0
	s_delay_alu instid0(VALU_DEP_1)
	v_mul_f32_e32 v126, v129, v127
	v_xor_b32_e32 v127, 0x80000000, v127
.LBB118_1162:
	s_and_not1_saveexec_b32 s1, s1
	s_cbranch_execz .LBB118_1164
; %bb.1163:
	s_delay_alu instid0(VALU_DEP_1) | instskip(SKIP_1) | instid1(VALU_DEP_2)
	v_div_scale_f32 v129, null, v126, v126, v127
	v_div_scale_f32 v137, vcc_lo, v127, v126, v127
	v_rcp_f32_e32 v135, v129
	v_nop
	s_delay_alu instid0(TRANS32_DEP_1) | instskip(NEXT) | instid1(VALU_DEP_1)
	v_fma_f32 v136, -v129, v135, 1.0
	v_fmac_f32_e32 v135, v136, v135
	s_delay_alu instid0(VALU_DEP_1) | instskip(NEXT) | instid1(VALU_DEP_1)
	v_mul_f32_e32 v136, v137, v135
	v_fma_f32 v138, -v129, v136, v137
	s_delay_alu instid0(VALU_DEP_1) | instskip(NEXT) | instid1(VALU_DEP_1)
	v_fmac_f32_e32 v136, v138, v135
	v_fma_f32 v129, -v129, v136, v137
	s_delay_alu instid0(VALU_DEP_1) | instskip(NEXT) | instid1(VALU_DEP_1)
	v_div_fmas_f32 v129, v129, v135, v136
	v_div_fixup_f32 v129, v129, v126, v127
	s_delay_alu instid0(VALU_DEP_1) | instskip(NEXT) | instid1(VALU_DEP_1)
	v_fmac_f32_e32 v126, v127, v129
	v_div_scale_f32 v127, null, v126, v126, 1.0
	s_delay_alu instid0(VALU_DEP_1) | instskip(SKIP_1) | instid1(TRANS32_DEP_1)
	v_rcp_f32_e32 v135, v127
	v_nop
	v_fma_f32 v136, -v127, v135, 1.0
	s_delay_alu instid0(VALU_DEP_1) | instskip(SKIP_1) | instid1(VALU_DEP_1)
	v_fmac_f32_e32 v135, v136, v135
	v_div_scale_f32 v136, vcc_lo, 1.0, v126, 1.0
	v_mul_f32_e32 v137, v136, v135
	s_delay_alu instid0(VALU_DEP_1) | instskip(NEXT) | instid1(VALU_DEP_1)
	v_fma_f32 v138, -v127, v137, v136
	v_fmac_f32_e32 v137, v138, v135
	s_delay_alu instid0(VALU_DEP_1) | instskip(NEXT) | instid1(VALU_DEP_1)
	v_fma_f32 v127, -v127, v137, v136
	v_div_fmas_f32 v127, v127, v135, v137
	s_delay_alu instid0(VALU_DEP_1) | instskip(NEXT) | instid1(VALU_DEP_1)
	v_div_fixup_f32 v126, v127, v126, 1.0
	v_mul_f32_e64 v127, v129, -v126
.LBB118_1164:
	s_or_b32 exec_lo, exec_lo, s1
.LBB118_1165:
	s_delay_alu instid0(SALU_CYCLE_1) | instskip(NEXT) | instid1(SALU_CYCLE_1)
	s_or_b32 exec_lo, exec_lo, s0
	s_mov_b32 s0, exec_lo
	v_cmpx_ne_u32_e64 v134, v128
	s_xor_b32 s0, exec_lo, s0
	s_cbranch_execz .LBB118_1171
; %bb.1166:
	s_mov_b32 s1, exec_lo
	v_cmpx_eq_u32_e32 55, v134
	s_cbranch_execz .LBB118_1170
; %bb.1167:
	v_cmp_ne_u32_e32 vcc_lo, 55, v128
	s_xor_b32 s12, s16, -1
	s_delay_alu instid0(SALU_CYCLE_1) | instskip(NEXT) | instid1(SALU_CYCLE_1)
	s_and_b32 s13, s12, vcc_lo
	s_and_saveexec_b32 s12, s13
	s_cbranch_execz .LBB118_1169
; %bb.1168:
	v_ashrrev_i32_e32 v129, 31, v128
	s_delay_alu instid0(VALU_DEP_1)
	v_lshl_add_u64 v[134:135], v[128:129], 2, v[4:5]
	s_clause 0x1
	global_load_b32 v129, v[134:135], off
	global_load_b32 v133, v[4:5], off offset:220
	s_wait_loadcnt 0x1
	global_store_b32 v[4:5], v129, off offset:220
	s_wait_loadcnt 0x0
	global_store_b32 v[134:135], v133, off
.LBB118_1169:
	s_wait_xcnt 0x0
	s_or_b32 exec_lo, exec_lo, s12
	v_dual_mov_b32 v134, v128 :: v_dual_mov_b32 v133, v128
.LBB118_1170:
	s_or_b32 exec_lo, exec_lo, s1
.LBB118_1171:
	s_and_not1_saveexec_b32 s0, s0
	s_cbranch_execz .LBB118_1173
; %bb.1172:
	v_dual_mov_b32 v128, v26 :: v_dual_mov_b32 v129, v27
	v_dual_mov_b32 v136, v16 :: v_dual_mov_b32 v137, v17
	;; [unrolled: 1-line block ×3, first 2 shown]
	v_mov_b32_e32 v139, v15
	ds_store_2addr_b64 v130, v[128:129], v[136:137] offset0:56 offset1:57
	ds_store_2addr_b64 v130, v[138:139], v[124:125] offset0:58 offset1:59
.LBB118_1173:
	s_or_b32 exec_lo, exec_lo, s0
	s_delay_alu instid0(SALU_CYCLE_1)
	s_mov_b32 s0, exec_lo
	s_wait_storecnt_dscnt 0x0
	s_barrier_signal -1
	s_barrier_wait -1
	v_cmpx_lt_i32_e32 55, v134
	s_cbranch_execz .LBB118_1175
; %bb.1174:
	ds_load_2addr_b64 v[136:139], v130 offset0:56 offset1:57
	ds_load_2addr_b64 v[140:143], v130 offset0:58 offset1:59
	v_pk_mul_f32 v[128:129], v[126:127], v[6:7] op_sel:[1,1] op_sel_hi:[0,1]
	s_delay_alu instid0(VALU_DEP_1) | instskip(SKIP_1) | instid1(VALU_DEP_1)
	v_pk_fma_f32 v[144:145], v[126:127], v[6:7], v[128:129] op_sel_hi:[1,0,1] neg_lo:[0,0,1] neg_hi:[0,0,1]
	v_pk_fma_f32 v[126:127], v[126:127], v[6:7], v[128:129] op_sel_hi:[1,0,1]
	v_dual_mov_b32 v6, v144 :: v_dual_mov_b32 v7, v127
	s_wait_dscnt 0x1
	s_delay_alu instid0(VALU_DEP_2)
	v_pk_mul_f32 v[128:129], v[136:137], v[126:127] op_sel:[0,1]
	s_wait_dscnt 0x0
	v_mov_b32_e32 v146, v143
	v_pk_mul_f32 v[148:149], v[138:139], v[126:127] op_sel:[0,1]
	v_pk_mul_f32 v[150:151], v[140:141], v[126:127] op_sel:[0,1]
	v_pk_fma_f32 v[152:153], v[136:137], v[144:145], v[128:129] op_sel:[0,0,1] op_sel_hi:[1,1,0] neg_lo:[0,0,1] neg_hi:[0,0,1]
	v_pk_fma_f32 v[128:129], v[136:137], v[144:145], v[128:129] op_sel:[0,0,1] op_sel_hi:[1,0,0]
	s_delay_alu instid0(VALU_DEP_1) | instskip(NEXT) | instid1(VALU_DEP_1)
	v_dual_mov_b32 v147, v142 :: v_dual_mov_b32 v153, v129
	v_pk_mul_f32 v[136:137], v[146:147], v[126:127] op_sel:[0,1]
	v_pk_fma_f32 v[146:147], v[138:139], v[144:145], v[148:149] op_sel:[0,0,1] op_sel_hi:[1,0,0]
	v_pk_fma_f32 v[138:139], v[138:139], v[144:145], v[148:149] op_sel:[0,0,1] op_sel_hi:[1,1,0] neg_lo:[0,0,1] neg_hi:[0,0,1]
	v_pk_fma_f32 v[148:149], v[140:141], v[144:145], v[150:151] op_sel:[0,0,1] op_sel_hi:[1,0,0]
	v_pk_fma_f32 v[140:141], v[140:141], v[144:145], v[150:151] op_sel:[0,0,1] op_sel_hi:[1,1,0] neg_lo:[0,0,1] neg_hi:[0,0,1]
	v_pk_fma_f32 v[128:129], v[142:143], v[144:145], v[136:137] op_sel_hi:[1,0,1]
	v_pk_fma_f32 v[136:137], v[142:143], v[144:145], v[136:137] neg_lo:[0,0,1] neg_hi:[0,0,1]
	s_delay_alu instid0(VALU_DEP_4) | instskip(SKIP_1) | instid1(VALU_DEP_4)
	v_dual_mov_b32 v139, v147 :: v_dual_mov_b32 v141, v149
	v_pk_add_f32 v[26:27], v[26:27], v[152:153] neg_lo:[0,1] neg_hi:[0,1]
	v_mov_b32_e32 v137, v129
	s_delay_alu instid0(VALU_DEP_3) | instskip(NEXT) | instid1(VALU_DEP_4)
	v_pk_add_f32 v[16:17], v[16:17], v[138:139] neg_lo:[0,1] neg_hi:[0,1]
	v_pk_add_f32 v[14:15], v[14:15], v[140:141] neg_lo:[0,1] neg_hi:[0,1]
	s_delay_alu instid0(VALU_DEP_3)
	v_pk_add_f32 v[124:125], v[124:125], v[136:137] neg_lo:[0,1] neg_hi:[0,1]
.LBB118_1175:
	s_or_b32 exec_lo, exec_lo, s0
	v_lshl_add_u32 v126, v134, 3, v130
	s_barrier_signal -1
	s_barrier_wait -1
	ds_store_b64 v126, v[26:27]
	s_wait_dscnt 0x0
	s_barrier_signal -1
	s_barrier_wait -1
	ds_load_b64 v[126:127], v130 offset:448
	v_mov_b32_e32 v128, 56
	s_cmp_lt_i32 s18, 58
	s_cbranch_scc1 .LBB118_1178
; %bb.1176:
	v_add3_u32 v129, v131, 0, 0x1c8
	v_mov_b32_e32 v128, 56
	s_mov_b32 s0, 57
.LBB118_1177:                           ; =>This Inner Loop Header: Depth=1
	ds_load_b64 v[136:137], v129
	s_wait_dscnt 0x1
	v_cmp_gt_f32_e32 vcc_lo, 0, v126
	v_cndmask_b32_e64 v138, v126, -v126, vcc_lo
	v_cmp_gt_f32_e32 vcc_lo, 0, v127
	v_cndmask_b32_e64 v140, v127, -v127, vcc_lo
	s_wait_dscnt 0x0
	v_cmp_gt_f32_e32 vcc_lo, 0, v136
	v_cndmask_b32_e64 v139, v136, -v136, vcc_lo
	v_cmp_gt_f32_e32 vcc_lo, 0, v137
	v_cndmask_b32_e64 v141, v137, -v137, vcc_lo
	s_delay_alu instid0(VALU_DEP_1) | instskip(NEXT) | instid1(VALU_DEP_1)
	v_pk_add_f32 v[138:139], v[138:139], v[140:141]
	v_cmp_lt_f32_e32 vcc_lo, v138, v139
	v_dual_cndmask_b32 v126, v126, v136 :: v_dual_add_nc_u32 v129, 8, v129
	v_cndmask_b32_e32 v127, v127, v137, vcc_lo
	v_cndmask_b32_e64 v128, v128, s0, vcc_lo
	s_add_co_i32 s0, s0, 1
	s_delay_alu instid0(SALU_CYCLE_1)
	s_cmp_lg_u32 s18, s0
	s_cbranch_scc1 .LBB118_1177
.LBB118_1178:
	s_wait_dscnt 0x0
	v_cmp_eq_f32_e32 vcc_lo, 0, v126
	v_cmp_eq_f32_e64 s0, 0, v127
	s_and_b32 s0, vcc_lo, s0
	s_delay_alu instid0(SALU_CYCLE_1) | instskip(NEXT) | instid1(SALU_CYCLE_1)
	s_and_saveexec_b32 s1, s0
	s_xor_b32 s0, exec_lo, s1
; %bb.1179:
	v_cmp_ne_u32_e32 vcc_lo, 0, v132
	v_cndmask_b32_e32 v132, 57, v132, vcc_lo
; %bb.1180:
	s_and_not1_saveexec_b32 s0, s0
	s_cbranch_execz .LBB118_1186
; %bb.1181:
	v_cmp_ngt_f32_e64 s1, |v126|, |v127|
	s_and_saveexec_b32 s12, s1
	s_delay_alu instid0(SALU_CYCLE_1)
	s_xor_b32 s1, exec_lo, s12
	s_cbranch_execz .LBB118_1183
; %bb.1182:
	v_div_scale_f32 v129, null, v127, v127, v126
	v_div_scale_f32 v137, vcc_lo, v126, v127, v126
	s_delay_alu instid0(VALU_DEP_2) | instskip(SKIP_1) | instid1(TRANS32_DEP_1)
	v_rcp_f32_e32 v135, v129
	v_nop
	v_fma_f32 v136, -v129, v135, 1.0
	s_delay_alu instid0(VALU_DEP_1) | instskip(NEXT) | instid1(VALU_DEP_1)
	v_fmac_f32_e32 v135, v136, v135
	v_mul_f32_e32 v136, v137, v135
	s_delay_alu instid0(VALU_DEP_1) | instskip(NEXT) | instid1(VALU_DEP_1)
	v_fma_f32 v138, -v129, v136, v137
	v_fmac_f32_e32 v136, v138, v135
	s_delay_alu instid0(VALU_DEP_1) | instskip(NEXT) | instid1(VALU_DEP_1)
	v_fma_f32 v129, -v129, v136, v137
	v_div_fmas_f32 v129, v129, v135, v136
	s_delay_alu instid0(VALU_DEP_1) | instskip(NEXT) | instid1(VALU_DEP_1)
	v_div_fixup_f32 v129, v129, v127, v126
	v_fmac_f32_e32 v127, v126, v129
	s_delay_alu instid0(VALU_DEP_1) | instskip(SKIP_1) | instid1(VALU_DEP_2)
	v_div_scale_f32 v126, null, v127, v127, 1.0
	v_div_scale_f32 v137, vcc_lo, 1.0, v127, 1.0
	v_rcp_f32_e32 v135, v126
	v_nop
	s_delay_alu instid0(TRANS32_DEP_1) | instskip(NEXT) | instid1(VALU_DEP_1)
	v_fma_f32 v136, -v126, v135, 1.0
	v_fmac_f32_e32 v135, v136, v135
	s_delay_alu instid0(VALU_DEP_1) | instskip(NEXT) | instid1(VALU_DEP_1)
	v_mul_f32_e32 v136, v137, v135
	v_fma_f32 v138, -v126, v136, v137
	s_delay_alu instid0(VALU_DEP_1) | instskip(NEXT) | instid1(VALU_DEP_1)
	v_fmac_f32_e32 v136, v138, v135
	v_fma_f32 v126, -v126, v136, v137
	s_delay_alu instid0(VALU_DEP_1) | instskip(NEXT) | instid1(VALU_DEP_1)
	v_div_fmas_f32 v126, v126, v135, v136
	v_div_fixup_f32 v127, v126, v127, 1.0
	s_delay_alu instid0(VALU_DEP_1)
	v_mul_f32_e32 v126, v129, v127
	v_xor_b32_e32 v127, 0x80000000, v127
.LBB118_1183:
	s_and_not1_saveexec_b32 s1, s1
	s_cbranch_execz .LBB118_1185
; %bb.1184:
	s_delay_alu instid0(VALU_DEP_1) | instskip(SKIP_1) | instid1(VALU_DEP_2)
	v_div_scale_f32 v129, null, v126, v126, v127
	v_div_scale_f32 v137, vcc_lo, v127, v126, v127
	v_rcp_f32_e32 v135, v129
	v_nop
	s_delay_alu instid0(TRANS32_DEP_1) | instskip(NEXT) | instid1(VALU_DEP_1)
	v_fma_f32 v136, -v129, v135, 1.0
	v_fmac_f32_e32 v135, v136, v135
	s_delay_alu instid0(VALU_DEP_1) | instskip(NEXT) | instid1(VALU_DEP_1)
	v_mul_f32_e32 v136, v137, v135
	v_fma_f32 v138, -v129, v136, v137
	s_delay_alu instid0(VALU_DEP_1) | instskip(NEXT) | instid1(VALU_DEP_1)
	v_fmac_f32_e32 v136, v138, v135
	v_fma_f32 v129, -v129, v136, v137
	s_delay_alu instid0(VALU_DEP_1) | instskip(NEXT) | instid1(VALU_DEP_1)
	v_div_fmas_f32 v129, v129, v135, v136
	v_div_fixup_f32 v129, v129, v126, v127
	s_delay_alu instid0(VALU_DEP_1) | instskip(NEXT) | instid1(VALU_DEP_1)
	v_fmac_f32_e32 v126, v127, v129
	v_div_scale_f32 v127, null, v126, v126, 1.0
	s_delay_alu instid0(VALU_DEP_1) | instskip(SKIP_1) | instid1(TRANS32_DEP_1)
	v_rcp_f32_e32 v135, v127
	v_nop
	v_fma_f32 v136, -v127, v135, 1.0
	s_delay_alu instid0(VALU_DEP_1) | instskip(SKIP_1) | instid1(VALU_DEP_1)
	v_fmac_f32_e32 v135, v136, v135
	v_div_scale_f32 v136, vcc_lo, 1.0, v126, 1.0
	v_mul_f32_e32 v137, v136, v135
	s_delay_alu instid0(VALU_DEP_1) | instskip(NEXT) | instid1(VALU_DEP_1)
	v_fma_f32 v138, -v127, v137, v136
	v_fmac_f32_e32 v137, v138, v135
	s_delay_alu instid0(VALU_DEP_1) | instskip(NEXT) | instid1(VALU_DEP_1)
	v_fma_f32 v127, -v127, v137, v136
	v_div_fmas_f32 v127, v127, v135, v137
	s_delay_alu instid0(VALU_DEP_1) | instskip(NEXT) | instid1(VALU_DEP_1)
	v_div_fixup_f32 v126, v127, v126, 1.0
	v_mul_f32_e64 v127, v129, -v126
.LBB118_1185:
	s_or_b32 exec_lo, exec_lo, s1
.LBB118_1186:
	s_delay_alu instid0(SALU_CYCLE_1) | instskip(NEXT) | instid1(SALU_CYCLE_1)
	s_or_b32 exec_lo, exec_lo, s0
	s_mov_b32 s0, exec_lo
	v_cmpx_ne_u32_e64 v134, v128
	s_xor_b32 s0, exec_lo, s0
	s_cbranch_execz .LBB118_1192
; %bb.1187:
	s_mov_b32 s1, exec_lo
	v_cmpx_eq_u32_e32 56, v134
	s_cbranch_execz .LBB118_1191
; %bb.1188:
	v_cmp_ne_u32_e32 vcc_lo, 56, v128
	s_xor_b32 s12, s16, -1
	s_delay_alu instid0(SALU_CYCLE_1) | instskip(NEXT) | instid1(SALU_CYCLE_1)
	s_and_b32 s13, s12, vcc_lo
	s_and_saveexec_b32 s12, s13
	s_cbranch_execz .LBB118_1190
; %bb.1189:
	v_ashrrev_i32_e32 v129, 31, v128
	s_delay_alu instid0(VALU_DEP_1)
	v_lshl_add_u64 v[134:135], v[128:129], 2, v[4:5]
	s_clause 0x1
	global_load_b32 v129, v[134:135], off
	global_load_b32 v133, v[4:5], off offset:224
	s_wait_loadcnt 0x1
	global_store_b32 v[4:5], v129, off offset:224
	s_wait_loadcnt 0x0
	global_store_b32 v[134:135], v133, off
.LBB118_1190:
	s_wait_xcnt 0x0
	s_or_b32 exec_lo, exec_lo, s12
	v_dual_mov_b32 v134, v128 :: v_dual_mov_b32 v133, v128
.LBB118_1191:
	s_or_b32 exec_lo, exec_lo, s1
.LBB118_1192:
	s_and_not1_saveexec_b32 s0, s0
	s_cbranch_execz .LBB118_1194
; %bb.1193:
	v_mov_b32_e32 v134, 56
	ds_store_2addr_b64 v130, v[16:17], v[14:15] offset0:57 offset1:58
	ds_store_b64 v130, v[124:125] offset:472
.LBB118_1194:
	s_or_b32 exec_lo, exec_lo, s0
	s_delay_alu instid0(SALU_CYCLE_1)
	s_mov_b32 s0, exec_lo
	s_wait_storecnt_dscnt 0x0
	s_barrier_signal -1
	s_barrier_wait -1
	v_cmpx_lt_i32_e32 56, v134
	s_cbranch_execz .LBB118_1196
; %bb.1195:
	ds_load_2addr_b64 v[136:139], v130 offset0:57 offset1:58
	ds_load_b64 v[128:129], v130 offset:472
	v_pk_mul_f32 v[140:141], v[126:127], v[26:27] op_sel:[1,1] op_sel_hi:[0,1]
	s_delay_alu instid0(VALU_DEP_1) | instskip(SKIP_2) | instid1(VALU_DEP_2)
	v_pk_fma_f32 v[142:143], v[126:127], v[26:27], v[140:141] op_sel_hi:[1,0,1]
	v_pk_fma_f32 v[26:27], v[126:127], v[26:27], v[140:141] op_sel_hi:[1,0,1] neg_lo:[0,0,1] neg_hi:[0,0,1]
	s_wait_dscnt 0x1
	v_pk_mul_f32 v[126:127], v[136:137], v[142:143] op_sel:[0,1]
	v_pk_mul_f32 v[140:141], v[138:139], v[142:143] op_sel:[0,1]
	s_wait_dscnt 0x0
	v_pk_mul_f32 v[144:145], v[128:129], v[142:143] op_sel:[1,1] op_sel_hi:[0,1]
	s_delay_alu instid0(VALU_DEP_3) | instskip(SKIP_2) | instid1(VALU_DEP_4)
	v_pk_fma_f32 v[146:147], v[136:137], v[26:27], v[126:127] op_sel:[0,0,1] op_sel_hi:[1,1,0] neg_lo:[0,0,1] neg_hi:[0,0,1]
	v_pk_fma_f32 v[126:127], v[136:137], v[26:27], v[126:127] op_sel:[0,0,1] op_sel_hi:[1,0,0]
	v_pk_fma_f32 v[136:137], v[138:139], v[26:27], v[140:141] op_sel:[0,0,1] op_sel_hi:[1,0,0]
	v_pk_fma_f32 v[148:149], v[128:129], v[26:27], v[144:145] op_sel_hi:[1,0,1]
	v_pk_fma_f32 v[138:139], v[138:139], v[26:27], v[140:141] op_sel:[0,0,1] op_sel_hi:[1,1,0] neg_lo:[0,0,1] neg_hi:[0,0,1]
	v_pk_fma_f32 v[128:129], v[128:129], v[26:27], v[144:145] neg_lo:[0,0,1] neg_hi:[0,0,1]
	s_delay_alu instid0(VALU_DEP_4) | instskip(NEXT) | instid1(VALU_DEP_4)
	v_dual_mov_b32 v147, v127 :: v_dual_mov_b32 v139, v137
	v_dual_mov_b32 v129, v149 :: v_dual_mov_b32 v27, v143
	s_delay_alu instid0(VALU_DEP_2) | instskip(NEXT) | instid1(VALU_DEP_3)
	v_pk_add_f32 v[16:17], v[16:17], v[146:147] neg_lo:[0,1] neg_hi:[0,1]
	v_pk_add_f32 v[14:15], v[14:15], v[138:139] neg_lo:[0,1] neg_hi:[0,1]
	s_delay_alu instid0(VALU_DEP_3)
	v_pk_add_f32 v[124:125], v[124:125], v[128:129] neg_lo:[0,1] neg_hi:[0,1]
.LBB118_1196:
	s_or_b32 exec_lo, exec_lo, s0
	v_lshl_add_u32 v126, v134, 3, v130
	s_barrier_signal -1
	s_barrier_wait -1
	ds_store_b64 v126, v[16:17]
	s_wait_dscnt 0x0
	s_barrier_signal -1
	s_barrier_wait -1
	ds_load_b64 v[126:127], v130 offset:456
	v_mov_b32_e32 v128, 57
	s_cmp_lt_i32 s18, 59
	s_cbranch_scc1 .LBB118_1199
; %bb.1197:
	v_add3_u32 v129, v131, 0, 0x1d0
	v_mov_b32_e32 v128, 57
	s_mov_b32 s0, 58
.LBB118_1198:                           ; =>This Inner Loop Header: Depth=1
	ds_load_b64 v[136:137], v129
	s_wait_dscnt 0x1
	v_cmp_gt_f32_e32 vcc_lo, 0, v126
	v_cndmask_b32_e64 v138, v126, -v126, vcc_lo
	v_cmp_gt_f32_e32 vcc_lo, 0, v127
	v_cndmask_b32_e64 v140, v127, -v127, vcc_lo
	s_wait_dscnt 0x0
	v_cmp_gt_f32_e32 vcc_lo, 0, v136
	v_cndmask_b32_e64 v139, v136, -v136, vcc_lo
	v_cmp_gt_f32_e32 vcc_lo, 0, v137
	v_cndmask_b32_e64 v141, v137, -v137, vcc_lo
	s_delay_alu instid0(VALU_DEP_1) | instskip(NEXT) | instid1(VALU_DEP_1)
	v_pk_add_f32 v[138:139], v[138:139], v[140:141]
	v_cmp_lt_f32_e32 vcc_lo, v138, v139
	v_dual_cndmask_b32 v126, v126, v136 :: v_dual_add_nc_u32 v129, 8, v129
	v_cndmask_b32_e32 v127, v127, v137, vcc_lo
	v_cndmask_b32_e64 v128, v128, s0, vcc_lo
	s_add_co_i32 s0, s0, 1
	s_delay_alu instid0(SALU_CYCLE_1)
	s_cmp_lg_u32 s18, s0
	s_cbranch_scc1 .LBB118_1198
.LBB118_1199:
	s_wait_dscnt 0x0
	v_cmp_eq_f32_e32 vcc_lo, 0, v126
	v_cmp_eq_f32_e64 s0, 0, v127
	s_and_b32 s0, vcc_lo, s0
	s_delay_alu instid0(SALU_CYCLE_1) | instskip(NEXT) | instid1(SALU_CYCLE_1)
	s_and_saveexec_b32 s1, s0
	s_xor_b32 s0, exec_lo, s1
; %bb.1200:
	v_cmp_ne_u32_e32 vcc_lo, 0, v132
	v_cndmask_b32_e32 v132, 58, v132, vcc_lo
; %bb.1201:
	s_and_not1_saveexec_b32 s0, s0
	s_cbranch_execz .LBB118_1207
; %bb.1202:
	v_cmp_ngt_f32_e64 s1, |v126|, |v127|
	s_and_saveexec_b32 s12, s1
	s_delay_alu instid0(SALU_CYCLE_1)
	s_xor_b32 s1, exec_lo, s12
	s_cbranch_execz .LBB118_1204
; %bb.1203:
	v_div_scale_f32 v129, null, v127, v127, v126
	v_div_scale_f32 v137, vcc_lo, v126, v127, v126
	s_delay_alu instid0(VALU_DEP_2) | instskip(SKIP_1) | instid1(TRANS32_DEP_1)
	v_rcp_f32_e32 v135, v129
	v_nop
	v_fma_f32 v136, -v129, v135, 1.0
	s_delay_alu instid0(VALU_DEP_1) | instskip(NEXT) | instid1(VALU_DEP_1)
	v_fmac_f32_e32 v135, v136, v135
	v_mul_f32_e32 v136, v137, v135
	s_delay_alu instid0(VALU_DEP_1) | instskip(NEXT) | instid1(VALU_DEP_1)
	v_fma_f32 v138, -v129, v136, v137
	v_fmac_f32_e32 v136, v138, v135
	s_delay_alu instid0(VALU_DEP_1) | instskip(NEXT) | instid1(VALU_DEP_1)
	v_fma_f32 v129, -v129, v136, v137
	v_div_fmas_f32 v129, v129, v135, v136
	s_delay_alu instid0(VALU_DEP_1) | instskip(NEXT) | instid1(VALU_DEP_1)
	v_div_fixup_f32 v129, v129, v127, v126
	v_fmac_f32_e32 v127, v126, v129
	s_delay_alu instid0(VALU_DEP_1) | instskip(SKIP_1) | instid1(VALU_DEP_2)
	v_div_scale_f32 v126, null, v127, v127, 1.0
	v_div_scale_f32 v137, vcc_lo, 1.0, v127, 1.0
	v_rcp_f32_e32 v135, v126
	v_nop
	s_delay_alu instid0(TRANS32_DEP_1) | instskip(NEXT) | instid1(VALU_DEP_1)
	v_fma_f32 v136, -v126, v135, 1.0
	v_fmac_f32_e32 v135, v136, v135
	s_delay_alu instid0(VALU_DEP_1) | instskip(NEXT) | instid1(VALU_DEP_1)
	v_mul_f32_e32 v136, v137, v135
	v_fma_f32 v138, -v126, v136, v137
	s_delay_alu instid0(VALU_DEP_1) | instskip(NEXT) | instid1(VALU_DEP_1)
	v_fmac_f32_e32 v136, v138, v135
	v_fma_f32 v126, -v126, v136, v137
	s_delay_alu instid0(VALU_DEP_1) | instskip(NEXT) | instid1(VALU_DEP_1)
	v_div_fmas_f32 v126, v126, v135, v136
	v_div_fixup_f32 v127, v126, v127, 1.0
	s_delay_alu instid0(VALU_DEP_1)
	v_mul_f32_e32 v126, v129, v127
	v_xor_b32_e32 v127, 0x80000000, v127
.LBB118_1204:
	s_and_not1_saveexec_b32 s1, s1
	s_cbranch_execz .LBB118_1206
; %bb.1205:
	s_delay_alu instid0(VALU_DEP_1) | instskip(SKIP_1) | instid1(VALU_DEP_2)
	v_div_scale_f32 v129, null, v126, v126, v127
	v_div_scale_f32 v137, vcc_lo, v127, v126, v127
	v_rcp_f32_e32 v135, v129
	v_nop
	s_delay_alu instid0(TRANS32_DEP_1) | instskip(NEXT) | instid1(VALU_DEP_1)
	v_fma_f32 v136, -v129, v135, 1.0
	v_fmac_f32_e32 v135, v136, v135
	s_delay_alu instid0(VALU_DEP_1) | instskip(NEXT) | instid1(VALU_DEP_1)
	v_mul_f32_e32 v136, v137, v135
	v_fma_f32 v138, -v129, v136, v137
	s_delay_alu instid0(VALU_DEP_1) | instskip(NEXT) | instid1(VALU_DEP_1)
	v_fmac_f32_e32 v136, v138, v135
	v_fma_f32 v129, -v129, v136, v137
	s_delay_alu instid0(VALU_DEP_1) | instskip(NEXT) | instid1(VALU_DEP_1)
	v_div_fmas_f32 v129, v129, v135, v136
	v_div_fixup_f32 v129, v129, v126, v127
	s_delay_alu instid0(VALU_DEP_1) | instskip(NEXT) | instid1(VALU_DEP_1)
	v_fmac_f32_e32 v126, v127, v129
	v_div_scale_f32 v127, null, v126, v126, 1.0
	s_delay_alu instid0(VALU_DEP_1) | instskip(SKIP_1) | instid1(TRANS32_DEP_1)
	v_rcp_f32_e32 v135, v127
	v_nop
	v_fma_f32 v136, -v127, v135, 1.0
	s_delay_alu instid0(VALU_DEP_1) | instskip(SKIP_1) | instid1(VALU_DEP_1)
	v_fmac_f32_e32 v135, v136, v135
	v_div_scale_f32 v136, vcc_lo, 1.0, v126, 1.0
	v_mul_f32_e32 v137, v136, v135
	s_delay_alu instid0(VALU_DEP_1) | instskip(NEXT) | instid1(VALU_DEP_1)
	v_fma_f32 v138, -v127, v137, v136
	v_fmac_f32_e32 v137, v138, v135
	s_delay_alu instid0(VALU_DEP_1) | instskip(NEXT) | instid1(VALU_DEP_1)
	v_fma_f32 v127, -v127, v137, v136
	v_div_fmas_f32 v127, v127, v135, v137
	s_delay_alu instid0(VALU_DEP_1) | instskip(NEXT) | instid1(VALU_DEP_1)
	v_div_fixup_f32 v126, v127, v126, 1.0
	v_mul_f32_e64 v127, v129, -v126
.LBB118_1206:
	s_or_b32 exec_lo, exec_lo, s1
.LBB118_1207:
	s_delay_alu instid0(SALU_CYCLE_1) | instskip(NEXT) | instid1(SALU_CYCLE_1)
	s_or_b32 exec_lo, exec_lo, s0
	s_mov_b32 s0, exec_lo
	v_cmpx_ne_u32_e64 v134, v128
	s_xor_b32 s0, exec_lo, s0
	s_cbranch_execz .LBB118_1213
; %bb.1208:
	s_mov_b32 s1, exec_lo
	v_cmpx_eq_u32_e32 57, v134
	s_cbranch_execz .LBB118_1212
; %bb.1209:
	v_cmp_ne_u32_e32 vcc_lo, 57, v128
	s_xor_b32 s12, s16, -1
	s_delay_alu instid0(SALU_CYCLE_1) | instskip(NEXT) | instid1(SALU_CYCLE_1)
	s_and_b32 s13, s12, vcc_lo
	s_and_saveexec_b32 s12, s13
	s_cbranch_execz .LBB118_1211
; %bb.1210:
	v_ashrrev_i32_e32 v129, 31, v128
	s_delay_alu instid0(VALU_DEP_1)
	v_lshl_add_u64 v[134:135], v[128:129], 2, v[4:5]
	s_clause 0x1
	global_load_b32 v129, v[134:135], off
	global_load_b32 v133, v[4:5], off offset:228
	s_wait_loadcnt 0x1
	global_store_b32 v[4:5], v129, off offset:228
	s_wait_loadcnt 0x0
	global_store_b32 v[134:135], v133, off
.LBB118_1211:
	s_wait_xcnt 0x0
	s_or_b32 exec_lo, exec_lo, s12
	v_dual_mov_b32 v134, v128 :: v_dual_mov_b32 v133, v128
.LBB118_1212:
	s_or_b32 exec_lo, exec_lo, s1
.LBB118_1213:
	s_and_not1_saveexec_b32 s0, s0
; %bb.1214:
	v_dual_mov_b32 v128, v14 :: v_dual_mov_b32 v129, v15
	v_mov_b32_e32 v134, 57
	ds_store_2addr_b64 v130, v[128:129], v[124:125] offset0:58 offset1:59
; %bb.1215:
	s_or_b32 exec_lo, exec_lo, s0
	s_delay_alu instid0(SALU_CYCLE_1)
	s_mov_b32 s0, exec_lo
	s_wait_storecnt_dscnt 0x0
	s_barrier_signal -1
	s_barrier_wait -1
	v_cmpx_lt_i32_e32 57, v134
	s_cbranch_execz .LBB118_1217
; %bb.1216:
	ds_load_2addr_b64 v[136:139], v130 offset0:58 offset1:59
	v_pk_mul_f32 v[128:129], v[126:127], v[16:17] op_sel:[1,1] op_sel_hi:[0,1]
	s_delay_alu instid0(VALU_DEP_1) | instskip(SKIP_3) | instid1(VALU_DEP_3)
	v_pk_fma_f32 v[140:141], v[126:127], v[16:17], v[128:129] op_sel_hi:[1,0,1]
	v_pk_fma_f32 v[16:17], v[126:127], v[16:17], v[128:129] op_sel_hi:[1,0,1] neg_lo:[0,0,1] neg_hi:[0,0,1]
	s_wait_dscnt 0x0
	v_dual_mov_b32 v142, v139 :: v_dual_mov_b32 v143, v138
	v_pk_mul_f32 v[126:127], v[136:137], v[140:141] op_sel:[0,1]
	s_delay_alu instid0(VALU_DEP_2) | instskip(NEXT) | instid1(VALU_DEP_2)
	v_pk_mul_f32 v[128:129], v[142:143], v[140:141] op_sel:[0,1]
	v_pk_fma_f32 v[142:143], v[136:137], v[16:17], v[126:127] op_sel:[0,0,1] op_sel_hi:[1,0,0]
	v_pk_fma_f32 v[126:127], v[136:137], v[16:17], v[126:127] op_sel:[0,0,1] op_sel_hi:[1,1,0] neg_lo:[0,0,1] neg_hi:[0,0,1]
	s_delay_alu instid0(VALU_DEP_3) | instskip(SKIP_1) | instid1(VALU_DEP_4)
	v_pk_fma_f32 v[144:145], v[138:139], v[16:17], v[128:129] op_sel_hi:[1,0,1]
	v_pk_fma_f32 v[128:129], v[138:139], v[16:17], v[128:129] neg_lo:[0,0,1] neg_hi:[0,0,1]
	v_dual_mov_b32 v127, v143 :: v_dual_mov_b32 v17, v141
	s_delay_alu instid0(VALU_DEP_3) | instskip(NEXT) | instid1(VALU_DEP_2)
	v_mov_b32_e32 v129, v145
	v_pk_add_f32 v[14:15], v[14:15], v[126:127] neg_lo:[0,1] neg_hi:[0,1]
	s_delay_alu instid0(VALU_DEP_2)
	v_pk_add_f32 v[124:125], v[124:125], v[128:129] neg_lo:[0,1] neg_hi:[0,1]
.LBB118_1217:
	s_or_b32 exec_lo, exec_lo, s0
	v_lshl_add_u32 v126, v134, 3, v130
	s_barrier_signal -1
	s_barrier_wait -1
	ds_store_b64 v126, v[14:15]
	s_wait_dscnt 0x0
	s_barrier_signal -1
	s_barrier_wait -1
	ds_load_b64 v[126:127], v130 offset:464
	v_mov_b32_e32 v128, 58
	s_cmp_lt_i32 s18, 60
	s_cbranch_scc1 .LBB118_1220
; %bb.1218:
	v_add3_u32 v129, v131, 0, 0x1d8
	v_mov_b32_e32 v128, 58
	s_mov_b32 s0, 59
.LBB118_1219:                           ; =>This Inner Loop Header: Depth=1
	ds_load_b64 v[136:137], v129
	s_wait_dscnt 0x1
	v_cmp_gt_f32_e32 vcc_lo, 0, v126
	v_cndmask_b32_e64 v138, v126, -v126, vcc_lo
	v_cmp_gt_f32_e32 vcc_lo, 0, v127
	v_cndmask_b32_e64 v140, v127, -v127, vcc_lo
	s_wait_dscnt 0x0
	v_cmp_gt_f32_e32 vcc_lo, 0, v136
	v_cndmask_b32_e64 v139, v136, -v136, vcc_lo
	v_cmp_gt_f32_e32 vcc_lo, 0, v137
	v_cndmask_b32_e64 v141, v137, -v137, vcc_lo
	s_delay_alu instid0(VALU_DEP_1) | instskip(NEXT) | instid1(VALU_DEP_1)
	v_pk_add_f32 v[138:139], v[138:139], v[140:141]
	v_cmp_lt_f32_e32 vcc_lo, v138, v139
	v_dual_cndmask_b32 v126, v126, v136 :: v_dual_add_nc_u32 v129, 8, v129
	v_cndmask_b32_e32 v127, v127, v137, vcc_lo
	v_cndmask_b32_e64 v128, v128, s0, vcc_lo
	s_add_co_i32 s0, s0, 1
	s_delay_alu instid0(SALU_CYCLE_1)
	s_cmp_lg_u32 s18, s0
	s_cbranch_scc1 .LBB118_1219
.LBB118_1220:
	s_wait_dscnt 0x0
	v_cmp_eq_f32_e32 vcc_lo, 0, v126
	v_cmp_eq_f32_e64 s0, 0, v127
	s_and_b32 s0, vcc_lo, s0
	s_delay_alu instid0(SALU_CYCLE_1) | instskip(NEXT) | instid1(SALU_CYCLE_1)
	s_and_saveexec_b32 s1, s0
	s_xor_b32 s0, exec_lo, s1
; %bb.1221:
	v_cmp_ne_u32_e32 vcc_lo, 0, v132
	v_cndmask_b32_e32 v132, 59, v132, vcc_lo
; %bb.1222:
	s_and_not1_saveexec_b32 s0, s0
	s_cbranch_execz .LBB118_1228
; %bb.1223:
	v_cmp_ngt_f32_e64 s1, |v126|, |v127|
	s_and_saveexec_b32 s12, s1
	s_delay_alu instid0(SALU_CYCLE_1)
	s_xor_b32 s1, exec_lo, s12
	s_cbranch_execz .LBB118_1225
; %bb.1224:
	v_div_scale_f32 v129, null, v127, v127, v126
	v_div_scale_f32 v137, vcc_lo, v126, v127, v126
	s_delay_alu instid0(VALU_DEP_2) | instskip(SKIP_1) | instid1(TRANS32_DEP_1)
	v_rcp_f32_e32 v135, v129
	v_nop
	v_fma_f32 v136, -v129, v135, 1.0
	s_delay_alu instid0(VALU_DEP_1) | instskip(NEXT) | instid1(VALU_DEP_1)
	v_fmac_f32_e32 v135, v136, v135
	v_mul_f32_e32 v136, v137, v135
	s_delay_alu instid0(VALU_DEP_1) | instskip(NEXT) | instid1(VALU_DEP_1)
	v_fma_f32 v138, -v129, v136, v137
	v_fmac_f32_e32 v136, v138, v135
	s_delay_alu instid0(VALU_DEP_1) | instskip(NEXT) | instid1(VALU_DEP_1)
	v_fma_f32 v129, -v129, v136, v137
	v_div_fmas_f32 v129, v129, v135, v136
	s_delay_alu instid0(VALU_DEP_1) | instskip(NEXT) | instid1(VALU_DEP_1)
	v_div_fixup_f32 v129, v129, v127, v126
	v_fmac_f32_e32 v127, v126, v129
	s_delay_alu instid0(VALU_DEP_1) | instskip(SKIP_1) | instid1(VALU_DEP_2)
	v_div_scale_f32 v126, null, v127, v127, 1.0
	v_div_scale_f32 v137, vcc_lo, 1.0, v127, 1.0
	v_rcp_f32_e32 v135, v126
	v_nop
	s_delay_alu instid0(TRANS32_DEP_1) | instskip(NEXT) | instid1(VALU_DEP_1)
	v_fma_f32 v136, -v126, v135, 1.0
	v_fmac_f32_e32 v135, v136, v135
	s_delay_alu instid0(VALU_DEP_1) | instskip(NEXT) | instid1(VALU_DEP_1)
	v_mul_f32_e32 v136, v137, v135
	v_fma_f32 v138, -v126, v136, v137
	s_delay_alu instid0(VALU_DEP_1) | instskip(NEXT) | instid1(VALU_DEP_1)
	v_fmac_f32_e32 v136, v138, v135
	v_fma_f32 v126, -v126, v136, v137
	s_delay_alu instid0(VALU_DEP_1) | instskip(NEXT) | instid1(VALU_DEP_1)
	v_div_fmas_f32 v126, v126, v135, v136
	v_div_fixup_f32 v127, v126, v127, 1.0
	s_delay_alu instid0(VALU_DEP_1)
	v_mul_f32_e32 v126, v129, v127
	v_xor_b32_e32 v127, 0x80000000, v127
.LBB118_1225:
	s_and_not1_saveexec_b32 s1, s1
	s_cbranch_execz .LBB118_1227
; %bb.1226:
	s_delay_alu instid0(VALU_DEP_1) | instskip(SKIP_1) | instid1(VALU_DEP_2)
	v_div_scale_f32 v129, null, v126, v126, v127
	v_div_scale_f32 v137, vcc_lo, v127, v126, v127
	v_rcp_f32_e32 v135, v129
	v_nop
	s_delay_alu instid0(TRANS32_DEP_1) | instskip(NEXT) | instid1(VALU_DEP_1)
	v_fma_f32 v136, -v129, v135, 1.0
	v_fmac_f32_e32 v135, v136, v135
	s_delay_alu instid0(VALU_DEP_1) | instskip(NEXT) | instid1(VALU_DEP_1)
	v_mul_f32_e32 v136, v137, v135
	v_fma_f32 v138, -v129, v136, v137
	s_delay_alu instid0(VALU_DEP_1) | instskip(NEXT) | instid1(VALU_DEP_1)
	v_fmac_f32_e32 v136, v138, v135
	v_fma_f32 v129, -v129, v136, v137
	s_delay_alu instid0(VALU_DEP_1) | instskip(NEXT) | instid1(VALU_DEP_1)
	v_div_fmas_f32 v129, v129, v135, v136
	v_div_fixup_f32 v129, v129, v126, v127
	s_delay_alu instid0(VALU_DEP_1) | instskip(NEXT) | instid1(VALU_DEP_1)
	v_fmac_f32_e32 v126, v127, v129
	v_div_scale_f32 v127, null, v126, v126, 1.0
	s_delay_alu instid0(VALU_DEP_1) | instskip(SKIP_1) | instid1(TRANS32_DEP_1)
	v_rcp_f32_e32 v135, v127
	v_nop
	v_fma_f32 v136, -v127, v135, 1.0
	s_delay_alu instid0(VALU_DEP_1) | instskip(SKIP_1) | instid1(VALU_DEP_1)
	v_fmac_f32_e32 v135, v136, v135
	v_div_scale_f32 v136, vcc_lo, 1.0, v126, 1.0
	v_mul_f32_e32 v137, v136, v135
	s_delay_alu instid0(VALU_DEP_1) | instskip(NEXT) | instid1(VALU_DEP_1)
	v_fma_f32 v138, -v127, v137, v136
	v_fmac_f32_e32 v137, v138, v135
	s_delay_alu instid0(VALU_DEP_1) | instskip(NEXT) | instid1(VALU_DEP_1)
	v_fma_f32 v127, -v127, v137, v136
	v_div_fmas_f32 v127, v127, v135, v137
	s_delay_alu instid0(VALU_DEP_1) | instskip(NEXT) | instid1(VALU_DEP_1)
	v_div_fixup_f32 v126, v127, v126, 1.0
	v_mul_f32_e64 v127, v129, -v126
.LBB118_1227:
	s_or_b32 exec_lo, exec_lo, s1
.LBB118_1228:
	s_delay_alu instid0(SALU_CYCLE_1) | instskip(NEXT) | instid1(SALU_CYCLE_1)
	s_or_b32 exec_lo, exec_lo, s0
	s_mov_b32 s0, exec_lo
	v_cmpx_ne_u32_e64 v134, v128
	s_xor_b32 s0, exec_lo, s0
	s_cbranch_execz .LBB118_1234
; %bb.1229:
	s_mov_b32 s1, exec_lo
	v_cmpx_eq_u32_e32 58, v134
	s_cbranch_execz .LBB118_1233
; %bb.1230:
	v_cmp_ne_u32_e32 vcc_lo, 58, v128
	s_xor_b32 s12, s16, -1
	s_delay_alu instid0(SALU_CYCLE_1) | instskip(NEXT) | instid1(SALU_CYCLE_1)
	s_and_b32 s13, s12, vcc_lo
	s_and_saveexec_b32 s12, s13
	s_cbranch_execz .LBB118_1232
; %bb.1231:
	v_ashrrev_i32_e32 v129, 31, v128
	s_delay_alu instid0(VALU_DEP_1)
	v_lshl_add_u64 v[134:135], v[128:129], 2, v[4:5]
	s_clause 0x1
	global_load_b32 v129, v[134:135], off
	global_load_b32 v133, v[4:5], off offset:232
	s_wait_loadcnt 0x1
	global_store_b32 v[4:5], v129, off offset:232
	s_wait_loadcnt 0x0
	global_store_b32 v[134:135], v133, off
.LBB118_1232:
	s_wait_xcnt 0x0
	s_or_b32 exec_lo, exec_lo, s12
	v_dual_mov_b32 v134, v128 :: v_dual_mov_b32 v133, v128
.LBB118_1233:
	s_or_b32 exec_lo, exec_lo, s1
.LBB118_1234:
	s_and_not1_saveexec_b32 s0, s0
; %bb.1235:
	v_mov_b32_e32 v134, 58
	ds_store_b64 v130, v[124:125] offset:472
; %bb.1236:
	s_or_b32 exec_lo, exec_lo, s0
	s_delay_alu instid0(SALU_CYCLE_1)
	s_mov_b32 s0, exec_lo
	s_wait_storecnt_dscnt 0x0
	s_barrier_signal -1
	s_barrier_wait -1
	v_cmpx_lt_i32_e32 58, v134
	s_cbranch_execz .LBB118_1238
; %bb.1237:
	ds_load_b64 v[128:129], v130 offset:472
	v_pk_mul_f32 v[136:137], v[126:127], v[14:15] op_sel:[1,1] op_sel_hi:[0,1]
	s_delay_alu instid0(VALU_DEP_1) | instskip(SKIP_2) | instid1(VALU_DEP_2)
	v_pk_fma_f32 v[138:139], v[126:127], v[14:15], v[136:137] op_sel_hi:[1,0,1]
	v_pk_fma_f32 v[14:15], v[126:127], v[14:15], v[136:137] op_sel_hi:[1,0,1] neg_lo:[0,0,1] neg_hi:[0,0,1]
	s_wait_dscnt 0x0
	v_pk_mul_f32 v[126:127], v[128:129], v[138:139] op_sel:[1,1] op_sel_hi:[0,1]
	s_delay_alu instid0(VALU_DEP_1) | instskip(SKIP_1) | instid1(VALU_DEP_2)
	v_pk_fma_f32 v[136:137], v[128:129], v[14:15], v[126:127] op_sel_hi:[1,0,1]
	v_pk_fma_f32 v[126:127], v[128:129], v[14:15], v[126:127] neg_lo:[0,0,1] neg_hi:[0,0,1]
	v_dual_mov_b32 v15, v139 :: v_dual_mov_b32 v127, v137
	s_delay_alu instid0(VALU_DEP_1)
	v_pk_add_f32 v[124:125], v[124:125], v[126:127] neg_lo:[0,1] neg_hi:[0,1]
.LBB118_1238:
	s_or_b32 exec_lo, exec_lo, s0
	v_lshl_add_u32 v126, v134, 3, v130
	s_barrier_signal -1
	s_barrier_wait -1
	ds_store_b64 v126, v[124:125]
	s_wait_dscnt 0x0
	s_barrier_signal -1
	s_barrier_wait -1
	ds_load_b64 v[126:127], v130 offset:472
	v_mov_b32_e32 v128, 59
	s_cmp_lt_i32 s18, 61
	s_cbranch_scc1 .LBB118_1241
; %bb.1239:
	v_add3_u32 v129, v131, 0, 0x1e0
	v_mov_b32_e32 v128, 59
	s_mov_b32 s0, 60
.LBB118_1240:                           ; =>This Inner Loop Header: Depth=1
	ds_load_b64 v[130:131], v129
	s_wait_dscnt 0x1
	v_cmp_gt_f32_e32 vcc_lo, 0, v126
	v_cndmask_b32_e64 v136, v126, -v126, vcc_lo
	v_cmp_gt_f32_e32 vcc_lo, 0, v127
	v_cndmask_b32_e64 v138, v127, -v127, vcc_lo
	s_wait_dscnt 0x0
	v_cmp_gt_f32_e32 vcc_lo, 0, v130
	v_cndmask_b32_e64 v137, v130, -v130, vcc_lo
	v_cmp_gt_f32_e32 vcc_lo, 0, v131
	v_cndmask_b32_e64 v139, v131, -v131, vcc_lo
	s_delay_alu instid0(VALU_DEP_1) | instskip(NEXT) | instid1(VALU_DEP_1)
	v_pk_add_f32 v[136:137], v[136:137], v[138:139]
	v_cmp_lt_f32_e32 vcc_lo, v136, v137
	v_dual_add_nc_u32 v129, 8, v129 :: v_dual_cndmask_b32 v127, v127, v131, vcc_lo
	v_cndmask_b32_e32 v126, v126, v130, vcc_lo
	v_cndmask_b32_e64 v128, v128, s0, vcc_lo
	s_add_co_i32 s0, s0, 1
	s_delay_alu instid0(SALU_CYCLE_1)
	s_cmp_lg_u32 s18, s0
	s_cbranch_scc1 .LBB118_1240
.LBB118_1241:
	s_wait_dscnt 0x0
	v_cmp_eq_f32_e32 vcc_lo, 0, v126
	v_cmp_eq_f32_e64 s0, 0, v127
	s_and_b32 s0, vcc_lo, s0
	s_delay_alu instid0(SALU_CYCLE_1) | instskip(NEXT) | instid1(SALU_CYCLE_1)
	s_and_saveexec_b32 s1, s0
	s_xor_b32 s0, exec_lo, s1
; %bb.1242:
	v_cmp_ne_u32_e32 vcc_lo, 0, v132
	v_cndmask_b32_e32 v132, 60, v132, vcc_lo
; %bb.1243:
	s_and_not1_saveexec_b32 s0, s0
	s_cbranch_execz .LBB118_1249
; %bb.1244:
	v_cmp_ngt_f32_e64 s1, |v126|, |v127|
	s_and_saveexec_b32 s12, s1
	s_delay_alu instid0(SALU_CYCLE_1)
	s_xor_b32 s1, exec_lo, s12
	s_cbranch_execz .LBB118_1246
; %bb.1245:
	v_div_scale_f32 v129, null, v127, v127, v126
	v_div_scale_f32 v135, vcc_lo, v126, v127, v126
	s_delay_alu instid0(VALU_DEP_2) | instskip(SKIP_1) | instid1(TRANS32_DEP_1)
	v_rcp_f32_e32 v130, v129
	v_nop
	v_fma_f32 v131, -v129, v130, 1.0
	s_delay_alu instid0(VALU_DEP_1) | instskip(NEXT) | instid1(VALU_DEP_1)
	v_fmac_f32_e32 v130, v131, v130
	v_mul_f32_e32 v131, v135, v130
	s_delay_alu instid0(VALU_DEP_1) | instskip(NEXT) | instid1(VALU_DEP_1)
	v_fma_f32 v136, -v129, v131, v135
	v_fmac_f32_e32 v131, v136, v130
	s_delay_alu instid0(VALU_DEP_1) | instskip(NEXT) | instid1(VALU_DEP_1)
	v_fma_f32 v129, -v129, v131, v135
	v_div_fmas_f32 v129, v129, v130, v131
	s_delay_alu instid0(VALU_DEP_1) | instskip(NEXT) | instid1(VALU_DEP_1)
	v_div_fixup_f32 v129, v129, v127, v126
	v_fmac_f32_e32 v127, v126, v129
	s_delay_alu instid0(VALU_DEP_1) | instskip(SKIP_1) | instid1(VALU_DEP_2)
	v_div_scale_f32 v126, null, v127, v127, 1.0
	v_div_scale_f32 v135, vcc_lo, 1.0, v127, 1.0
	v_rcp_f32_e32 v130, v126
	v_nop
	s_delay_alu instid0(TRANS32_DEP_1) | instskip(NEXT) | instid1(VALU_DEP_1)
	v_fma_f32 v131, -v126, v130, 1.0
	v_fmac_f32_e32 v130, v131, v130
	s_delay_alu instid0(VALU_DEP_1) | instskip(NEXT) | instid1(VALU_DEP_1)
	v_mul_f32_e32 v131, v135, v130
	v_fma_f32 v136, -v126, v131, v135
	s_delay_alu instid0(VALU_DEP_1) | instskip(NEXT) | instid1(VALU_DEP_1)
	v_fmac_f32_e32 v131, v136, v130
	v_fma_f32 v126, -v126, v131, v135
	s_delay_alu instid0(VALU_DEP_1) | instskip(NEXT) | instid1(VALU_DEP_1)
	v_div_fmas_f32 v126, v126, v130, v131
	v_div_fixup_f32 v127, v126, v127, 1.0
	s_delay_alu instid0(VALU_DEP_1)
	v_mul_f32_e32 v126, v129, v127
	v_xor_b32_e32 v127, 0x80000000, v127
.LBB118_1246:
	s_and_not1_saveexec_b32 s1, s1
	s_cbranch_execz .LBB118_1248
; %bb.1247:
	s_delay_alu instid0(VALU_DEP_1) | instskip(SKIP_1) | instid1(VALU_DEP_2)
	v_div_scale_f32 v129, null, v126, v126, v127
	v_div_scale_f32 v135, vcc_lo, v127, v126, v127
	v_rcp_f32_e32 v130, v129
	v_nop
	s_delay_alu instid0(TRANS32_DEP_1) | instskip(NEXT) | instid1(VALU_DEP_1)
	v_fma_f32 v131, -v129, v130, 1.0
	v_fmac_f32_e32 v130, v131, v130
	s_delay_alu instid0(VALU_DEP_1) | instskip(NEXT) | instid1(VALU_DEP_1)
	v_mul_f32_e32 v131, v135, v130
	v_fma_f32 v136, -v129, v131, v135
	s_delay_alu instid0(VALU_DEP_1) | instskip(NEXT) | instid1(VALU_DEP_1)
	v_fmac_f32_e32 v131, v136, v130
	v_fma_f32 v129, -v129, v131, v135
	s_delay_alu instid0(VALU_DEP_1) | instskip(NEXT) | instid1(VALU_DEP_1)
	v_div_fmas_f32 v129, v129, v130, v131
	v_div_fixup_f32 v129, v129, v126, v127
	s_delay_alu instid0(VALU_DEP_1) | instskip(NEXT) | instid1(VALU_DEP_1)
	v_fmac_f32_e32 v126, v127, v129
	v_div_scale_f32 v127, null, v126, v126, 1.0
	s_delay_alu instid0(VALU_DEP_1) | instskip(SKIP_1) | instid1(TRANS32_DEP_1)
	v_rcp_f32_e32 v130, v127
	v_nop
	v_fma_f32 v131, -v127, v130, 1.0
	s_delay_alu instid0(VALU_DEP_1) | instskip(SKIP_1) | instid1(VALU_DEP_1)
	v_fmac_f32_e32 v130, v131, v130
	v_div_scale_f32 v131, vcc_lo, 1.0, v126, 1.0
	v_mul_f32_e32 v135, v131, v130
	s_delay_alu instid0(VALU_DEP_1) | instskip(NEXT) | instid1(VALU_DEP_1)
	v_fma_f32 v136, -v127, v135, v131
	v_fmac_f32_e32 v135, v136, v130
	s_delay_alu instid0(VALU_DEP_1) | instskip(NEXT) | instid1(VALU_DEP_1)
	v_fma_f32 v127, -v127, v135, v131
	v_div_fmas_f32 v127, v127, v130, v135
	s_delay_alu instid0(VALU_DEP_1) | instskip(NEXT) | instid1(VALU_DEP_1)
	v_div_fixup_f32 v126, v127, v126, 1.0
	v_mul_f32_e64 v127, v129, -v126
.LBB118_1248:
	s_or_b32 exec_lo, exec_lo, s1
.LBB118_1249:
	s_delay_alu instid0(SALU_CYCLE_1)
	s_or_b32 exec_lo, exec_lo, s0
	v_mov_b32_e32 v130, 59
	s_mov_b32 s0, exec_lo
	v_cmpx_ne_u32_e64 v134, v128
	s_cbranch_execz .LBB118_1255
; %bb.1250:
	s_mov_b32 s1, exec_lo
	v_cmpx_eq_u32_e32 59, v134
	s_cbranch_execz .LBB118_1254
; %bb.1251:
	v_cmp_ne_u32_e32 vcc_lo, 59, v128
	s_xor_b32 s12, s16, -1
	s_delay_alu instid0(SALU_CYCLE_1) | instskip(NEXT) | instid1(SALU_CYCLE_1)
	s_and_b32 s13, s12, vcc_lo
	s_and_saveexec_b32 s12, s13
	s_cbranch_execz .LBB118_1253
; %bb.1252:
	v_ashrrev_i32_e32 v129, 31, v128
	s_delay_alu instid0(VALU_DEP_1)
	v_lshl_add_u64 v[130:131], v[128:129], 2, v[4:5]
	s_clause 0x1
	global_load_b32 v129, v[130:131], off
	global_load_b32 v133, v[4:5], off offset:236
	s_wait_loadcnt 0x1
	global_store_b32 v[4:5], v129, off offset:236
	s_wait_loadcnt 0x0
	global_store_b32 v[130:131], v133, off
.LBB118_1253:
	s_wait_xcnt 0x0
	s_or_b32 exec_lo, exec_lo, s12
	v_dual_mov_b32 v134, v128 :: v_dual_mov_b32 v133, v128
.LBB118_1254:
	s_or_b32 exec_lo, exec_lo, s1
	s_delay_alu instid0(VALU_DEP_1)
	v_mov_b32_e32 v130, v134
.LBB118_1255:
	s_or_b32 exec_lo, exec_lo, s0
	s_delay_alu instid0(VALU_DEP_1)
	v_ashrrev_i32_e32 v131, 31, v130
	s_mov_b32 s0, exec_lo
	s_wait_storecnt 0x0
	s_barrier_signal -1
	s_barrier_wait -1
	s_barrier_signal -1
	s_barrier_wait -1
	v_cmpx_gt_i32_e32 60, v130
	s_cbranch_execz .LBB118_1257
; %bb.1256:
	v_mul_u64_e32 v[4:5], s[10:11], v[2:3]
	v_add3_u32 v128, v133, s17, 1
	s_delay_alu instid0(VALU_DEP_2) | instskip(NEXT) | instid1(VALU_DEP_1)
	v_lshl_add_u64 v[4:5], v[4:5], 2, s[6:7]
	v_lshl_add_u64 v[4:5], s[8:9], 2, v[4:5]
	s_delay_alu instid0(VALU_DEP_1)
	v_lshl_add_u64 v[4:5], v[130:131], 2, v[4:5]
	global_store_b32 v[4:5], v128, off
.LBB118_1257:
	s_wait_xcnt 0x0
	s_or_b32 exec_lo, exec_lo, s0
	s_delay_alu instid0(SALU_CYCLE_1)
	s_mov_b32 s1, exec_lo
	v_cmpx_eq_u32_e32 0, v130
	s_cbranch_execz .LBB118_1260
; %bb.1258:
	s_wait_kmcnt 0x0
	v_lshl_add_u64 v[2:3], v[2:3], 2, s[4:5]
	v_cmp_ne_u32_e64 s0, 0, v132
	global_load_b32 v4, v[2:3], off
	s_wait_loadcnt 0x0
	v_cmp_eq_u32_e32 vcc_lo, 0, v4
	s_and_b32 s0, vcc_lo, s0
	s_wait_xcnt 0x0
	s_and_b32 exec_lo, exec_lo, s0
	s_cbranch_execz .LBB118_1260
; %bb.1259:
	v_add_nc_u32_e32 v4, s17, v132
	global_store_b32 v[2:3], v4, off
.LBB118_1260:
	s_wait_xcnt 0x0
	s_or_b32 exec_lo, exec_lo, s1
	v_add3_u32 v4, s2, s2, v130
	v_pk_mul_f32 v[2:3], v[126:127], v[124:125] op_sel:[1,1] op_sel_hi:[0,1]
	v_cmp_lt_i32_e32 vcc_lo, 59, v130
	v_lshl_add_u64 v[130:131], v[130:131], 3, v[0:1]
	s_delay_alu instid0(VALU_DEP_4) | instskip(NEXT) | instid1(VALU_DEP_4)
	v_add_nc_u32_e32 v128, s2, v4
	v_pk_fma_f32 v[154:155], v[126:127], v[124:125], v[2:3] op_sel_hi:[1,0,1]
	v_pk_fma_f32 v[2:3], v[126:127], v[124:125], v[2:3] neg_lo:[0,0,1] neg_hi:[0,0,1]
	global_store_b64 v[130:131], v[122:123], off
	s_wait_xcnt 0x0
	v_lshl_add_u64 v[122:123], s[2:3], 3, v[130:131]
	v_dual_cndmask_b32 v3, v125, v155 :: v_dual_add_nc_u32 v132, s2, v128
	v_dual_cndmask_b32 v2, v124, v2 :: v_dual_ashrrev_i32 v5, 31, v4
	global_store_b64 v[122:123], v[120:121], off
	v_add_nc_u32_e32 v134, s2, v132
	v_lshl_add_u64 v[4:5], v[4:5], 3, v[0:1]
	s_delay_alu instid0(VALU_DEP_2) | instskip(SKIP_2) | instid1(VALU_DEP_1)
	v_add_nc_u32_e32 v136, s2, v134
	global_store_b64 v[4:5], v[118:119], off
	v_dual_add_nc_u32 v138, s2, v136 :: v_dual_ashrrev_i32 v137, 31, v136
	v_add_nc_u32_e32 v140, s2, v138
	s_delay_alu instid0(VALU_DEP_1) | instskip(NEXT) | instid1(VALU_DEP_1)
	v_add_nc_u32_e32 v142, s2, v140
	v_add_nc_u32_e32 v144, s2, v142
	s_delay_alu instid0(VALU_DEP_1) | instskip(NEXT) | instid1(VALU_DEP_1)
	v_dual_ashrrev_i32 v135, 31, v134 :: v_dual_add_nc_u32 v146, s2, v144
	v_dual_ashrrev_i32 v145, 31, v144 :: v_dual_ashrrev_i32 v147, 31, v146
	v_dual_add_nc_u32 v148, s2, v146 :: v_dual_ashrrev_i32 v133, 31, v132
	s_delay_alu instid0(VALU_DEP_1) | instskip(NEXT) | instid1(VALU_DEP_1)
	v_dual_ashrrev_i32 v139, 31, v138 :: v_dual_add_nc_u32 v150, s2, v148
	v_add_nc_u32_e32 v152, s2, v150
	v_ashrrev_i32_e32 v143, 31, v142
	s_delay_alu instid0(VALU_DEP_2) | instskip(NEXT) | instid1(VALU_DEP_1)
	v_dual_ashrrev_i32 v151, 31, v150 :: v_dual_add_nc_u32 v126, s2, v152
	v_add_nc_u32_e32 v124, s2, v126
	s_delay_alu instid0(VALU_DEP_1) | instskip(NEXT) | instid1(VALU_DEP_1)
	v_add_nc_u32_e32 v154, s2, v124
	v_dual_add_nc_u32 v130, s2, v154 :: v_dual_ashrrev_i32 v153, 31, v152
	v_dual_ashrrev_i32 v127, 31, v126 :: v_dual_ashrrev_i32 v125, 31, v124
	s_wait_xcnt 0x1
	s_delay_alu instid0(VALU_DEP_2) | instskip(SKIP_1) | instid1(VALU_DEP_1)
	v_dual_ashrrev_i32 v131, 31, v130 :: v_dual_add_nc_u32 v120, s2, v130
	s_wait_xcnt 0x0
	v_dual_ashrrev_i32 v155, 31, v154 :: v_dual_add_nc_u32 v4, s2, v120
	v_ashrrev_i32_e32 v121, 31, v120
	s_delay_alu instid0(VALU_DEP_2) | instskip(SKIP_1) | instid1(VALU_DEP_2)
	v_add_nc_u32_e32 v118, s2, v4
	v_ashrrev_i32_e32 v129, 31, v128
	v_dual_ashrrev_i32 v5, 31, v4 :: v_dual_ashrrev_i32 v119, 31, v118
	s_delay_alu instid0(VALU_DEP_2)
	v_lshl_add_u64 v[122:123], v[128:129], 3, v[0:1]
	v_lshl_add_u64 v[128:129], v[132:133], 3, v[0:1]
	;; [unrolled: 1-line block ×4, first 2 shown]
	v_add_nc_u32_e32 v136, s2, v118
	s_clause 0x3
	global_store_b64 v[122:123], v[116:117], off
	global_store_b64 v[128:129], v[114:115], off
	;; [unrolled: 1-line block ×4, first 2 shown]
	s_wait_xcnt 0x2
	v_lshl_add_u64 v[114:115], v[138:139], 3, v[0:1]
	v_lshl_add_u64 v[122:123], v[142:143], 3, v[0:1]
	;; [unrolled: 1-line block ×3, first 2 shown]
	s_wait_xcnt 0x1
	v_add_nc_u32_e32 v110, s2, v136
	v_ashrrev_i32_e32 v141, 31, v140
	v_lshl_add_u64 v[4:5], v[4:5], 3, v[0:1]
	s_wait_xcnt 0x0
	s_delay_alu instid0(VALU_DEP_3) | instskip(NEXT) | instid1(VALU_DEP_3)
	v_add_nc_u32_e32 v112, s2, v110
	v_lshl_add_u64 v[116:117], v[140:141], 3, v[0:1]
	s_clause 0x3
	global_store_b64 v[114:115], v[42:43], off
	global_store_b64 v[116:117], v[108:109], off
	;; [unrolled: 1-line block ×4, first 2 shown]
	v_add_nc_u32_e32 v132, s2, v112
	s_wait_xcnt 0x0
	v_lshl_add_u64 v[106:107], v[146:147], 3, v[0:1]
	v_lshl_add_u64 v[114:115], v[150:151], 3, v[0:1]
	;; [unrolled: 1-line block ×3, first 2 shown]
	v_dual_ashrrev_i32 v111, 31, v110 :: v_dual_add_nc_u32 v42, s2, v132
	v_ashrrev_i32_e32 v149, 31, v148
	s_delay_alu instid0(VALU_DEP_2) | instskip(NEXT) | instid1(VALU_DEP_2)
	v_dual_ashrrev_i32 v113, 31, v112 :: v_dual_add_nc_u32 v104, s2, v42
	v_lshl_add_u64 v[108:109], v[148:149], 3, v[0:1]
	s_clause 0x3
	global_store_b64 v[106:107], v[40:41], off
	global_store_b64 v[108:109], v[102:103], off
	;; [unrolled: 1-line block ×4, first 2 shown]
	v_add_nc_u32_e32 v122, s2, v104
	s_wait_xcnt 0x0
	v_lshl_add_u64 v[100:101], v[126:127], 3, v[0:1]
	v_lshl_add_u64 v[102:103], v[124:125], 3, v[0:1]
	;; [unrolled: 1-line block ×4, first 2 shown]
	v_add_nc_u32_e32 v40, s2, v122
	s_clause 0x3
	global_store_b64 v[100:101], v[38:39], off
	global_store_b64 v[102:103], v[96:97], off
	;; [unrolled: 1-line block ×4, first 2 shown]
	s_wait_xcnt 0x0
	v_lshl_add_u64 v[94:95], v[120:121], 3, v[0:1]
	v_lshl_add_u64 v[96:97], v[118:119], 3, v[0:1]
	v_dual_ashrrev_i32 v133, 31, v132 :: v_dual_ashrrev_i32 v43, 31, v42
	v_dual_add_nc_u32 v98, s2, v40 :: v_dual_ashrrev_i32 v123, 31, v122
	s_delay_alu instid0(VALU_DEP_2) | instskip(NEXT) | instid1(VALU_DEP_2)
	v_lshl_add_u64 v[42:43], v[42:43], 3, v[0:1]
	v_add_nc_u32_e32 v114, s2, v98
	s_delay_alu instid0(VALU_DEP_1) | instskip(SKIP_1) | instid1(VALU_DEP_2)
	v_dual_add_nc_u32 v38, s2, v114 :: v_dual_ashrrev_i32 v137, 31, v136
	v_dual_ashrrev_i32 v105, 31, v104 :: v_dual_ashrrev_i32 v99, 31, v98
	v_add_nc_u32_e32 v92, s2, v38
	s_delay_alu instid0(VALU_DEP_3)
	v_lshl_add_u64 v[100:101], v[136:137], 3, v[0:1]
	s_clause 0x3
	global_store_b64 v[94:95], v[36:37], off
	global_store_b64 v[4:5], v[90:91], off
	global_store_b64 v[96:97], v[86:87], off
	global_store_b64 v[100:101], v[88:89], off
	s_wait_xcnt 0x1
	v_lshl_add_u64 v[86:87], v[110:111], 3, v[0:1]
	v_add_nc_u32_e32 v102, s2, v92
	s_wait_xcnt 0x0
	v_lshl_add_u64 v[88:89], v[112:113], 3, v[0:1]
	v_lshl_add_u64 v[90:91], v[132:133], 3, v[0:1]
	s_clause 0x3
	global_store_b64 v[86:87], v[30:31], off
	global_store_b64 v[88:89], v[84:85], off
	;; [unrolled: 1-line block ×4, first 2 shown]
	v_add_nc_u32_e32 v4, s2, v102
	s_wait_xcnt 0x1
	v_lshl_add_u64 v[80:81], v[104:105], 3, v[0:1]
	v_lshl_add_u64 v[84:85], v[98:99], 3, v[0:1]
	v_ashrrev_i32_e32 v103, 31, v102
	s_wait_xcnt 0x0
	v_lshl_add_u64 v[82:83], v[122:123], 3, v[0:1]
	v_dual_add_nc_u32 v36, s2, v4 :: v_dual_ashrrev_i32 v5, 31, v4
	v_ashrrev_i32_e32 v93, 31, v92
	s_delay_alu instid0(VALU_DEP_2) | instskip(NEXT) | instid1(VALU_DEP_3)
	v_add_nc_u32_e32 v94, s2, v36
	v_lshl_add_u64 v[4:5], v[4:5], 3, v[0:1]
	s_delay_alu instid0(VALU_DEP_2) | instskip(SKIP_1) | instid1(VALU_DEP_2)
	v_dual_add_nc_u32 v30, s2, v94 :: v_dual_ashrrev_i32 v41, 31, v40
	v_dual_ashrrev_i32 v37, 31, v36 :: v_dual_ashrrev_i32 v95, 31, v94
	v_add_nc_u32_e32 v42, s2, v30
	s_delay_alu instid0(VALU_DEP_3)
	v_lshl_add_u64 v[40:41], v[40:41], 3, v[0:1]
	s_clause 0x3
	global_store_b64 v[80:81], v[24:25], off
	global_store_b64 v[82:83], v[78:79], off
	;; [unrolled: 1-line block ×4, first 2 shown]
	v_add_nc_u32_e32 v86, s2, v42
	s_wait_xcnt 0x0
	v_lshl_add_u64 v[76:77], v[92:93], 3, v[0:1]
	v_lshl_add_u64 v[78:79], v[102:103], 3, v[0:1]
	;; [unrolled: 1-line block ×3, first 2 shown]
	v_ashrrev_i32_e32 v43, 31, v42
	v_add_nc_u32_e32 v24, s2, v86
	s_delay_alu instid0(VALU_DEP_1) | instskip(NEXT) | instid1(VALU_DEP_1)
	v_dual_ashrrev_i32 v115, 31, v114 :: v_dual_add_nc_u32 v40, s2, v24
	v_lshl_add_u64 v[74:75], v[114:115], 3, v[0:1]
	s_delay_alu instid0(VALU_DEP_2) | instskip(SKIP_2) | instid1(VALU_DEP_3)
	v_dual_add_nc_u32 v80, s2, v40 :: v_dual_ashrrev_i32 v39, 31, v38
	v_dual_ashrrev_i32 v31, 31, v30 :: v_dual_ashrrev_i32 v25, 31, v24
	v_dual_ashrrev_i32 v41, 31, v40 :: v_dual_ashrrev_i32 v87, 31, v86
	v_ashrrev_i32_e32 v81, 31, v80
	s_delay_alu instid0(VALU_DEP_4)
	v_lshl_add_u64 v[38:39], v[38:39], 3, v[0:1]
	s_clause 0x3
	global_store_b64 v[74:75], v[22:23], off
	global_store_b64 v[38:39], v[72:73], off
	;; [unrolled: 1-line block ×4, first 2 shown]
	s_wait_xcnt 0x3
	v_add_nc_u32_e32 v22, s2, v80
	s_wait_xcnt 0x1
	v_lshl_add_u64 v[68:69], v[94:95], 3, v[0:1]
	v_lshl_add_u64 v[30:31], v[30:31], 3, v[0:1]
	s_clause 0x3
	global_store_b64 v[4:5], v[20:21], off
	global_store_b64 v[36:37], v[66:67], off
	;; [unrolled: 1-line block ×4, first 2 shown]
	v_add_nc_u32_e32 v38, s2, v22
	s_wait_xcnt 0x0
	v_lshl_add_u64 v[30:31], v[42:43], 3, v[0:1]
	v_lshl_add_u64 v[36:37], v[86:87], 3, v[0:1]
	;; [unrolled: 1-line block ×4, first 2 shown]
	v_add_nc_u32_e32 v70, s2, v38
	s_clause 0x3
	global_store_b64 v[30:31], v[18:19], off
	global_store_b64 v[36:37], v[60:61], off
	;; [unrolled: 1-line block ×4, first 2 shown]
	s_wait_xcnt 0x3
	v_lshl_add_u64 v[30:31], v[80:81], 3, v[0:1]
	v_add_nc_u32_e32 v4, s2, v70
	s_delay_alu instid0(VALU_DEP_1) | instskip(NEXT) | instid1(VALU_DEP_1)
	v_add_nc_u32_e32 v20, s2, v4
	v_dual_add_nc_u32 v42, s2, v20 :: v_dual_ashrrev_i32 v21, 31, v20
	v_dual_ashrrev_i32 v71, 31, v70 :: v_dual_ashrrev_i32 v5, 31, v4
	s_delay_alu instid0(VALU_DEP_2) | instskip(NEXT) | instid1(VALU_DEP_3)
	v_add_nc_u32_e32 v18, s2, v42
	v_lshl_add_u64 v[20:21], v[20:21], 3, v[0:1]
	s_delay_alu instid0(VALU_DEP_3) | instskip(SKIP_1) | instid1(VALU_DEP_3)
	v_lshl_add_u64 v[4:5], v[4:5], 3, v[0:1]
	s_wait_xcnt 0x1
	v_add_nc_u32_e32 v24, s2, v18
	s_wait_xcnt 0x0
	s_delay_alu instid0(VALU_DEP_1) | instskip(SKIP_1) | instid1(VALU_DEP_2)
	v_dual_ashrrev_i32 v23, 31, v22 :: v_dual_add_nc_u32 v40, s2, v24
	v_ashrrev_i32_e32 v39, 31, v38
	v_lshl_add_u64 v[22:23], v[22:23], 3, v[0:1]
	v_ashrrev_i32_e32 v25, 31, v24
	s_delay_alu instid0(VALU_DEP_3)
	v_lshl_add_u64 v[36:37], v[38:39], 3, v[0:1]
	v_lshl_add_u64 v[38:39], v[70:71], 3, v[0:1]
	s_clause 0x3
	global_store_b64 v[30:31], v[12:13], off
	global_store_b64 v[22:23], v[54:55], off
	;; [unrolled: 1-line block ×4, first 2 shown]
	s_wait_xcnt 0x3
	v_dual_add_nc_u32 v12, s2, v40 :: v_dual_ashrrev_i32 v43, 31, v42
	s_wait_xcnt 0x2
	s_delay_alu instid0(VALU_DEP_1) | instskip(NEXT) | instid1(VALU_DEP_2)
	v_add_nc_u32_e32 v22, s2, v12
	v_lshl_add_u64 v[30:31], v[42:43], 3, v[0:1]
	s_delay_alu instid0(VALU_DEP_2) | instskip(SKIP_3) | instid1(VALU_DEP_3)
	v_dual_ashrrev_i32 v41, 31, v40 :: v_dual_ashrrev_i32 v23, 31, v22
	s_wait_xcnt 0x1
	v_add_nc_u32_e32 v36, s2, v22
	v_ashrrev_i32_e32 v19, 31, v18
	v_lshl_add_u64 v[22:23], v[22:23], 3, v[0:1]
	s_delay_alu instid0(VALU_DEP_3) | instskip(NEXT) | instid1(VALU_DEP_3)
	v_ashrrev_i32_e32 v37, 31, v36
	v_lshl_add_u64 v[18:19], v[18:19], 3, v[0:1]
	s_clause 0x3
	global_store_b64 v[4:5], v[10:11], off
	global_store_b64 v[20:21], v[46:47], off
	;; [unrolled: 1-line block ×4, first 2 shown]
	s_wait_xcnt 0x3
	v_add_nc_u32_e32 v4, s2, v36
	s_wait_xcnt 0x0
	v_lshl_add_u64 v[18:19], v[24:25], 3, v[0:1]
	v_lshl_add_u64 v[20:21], v[40:41], 3, v[0:1]
	s_delay_alu instid0(VALU_DEP_3) | instskip(NEXT) | instid1(VALU_DEP_1)
	v_dual_add_nc_u32 v10, s2, v4 :: v_dual_ashrrev_i32 v5, 31, v4
	v_dual_ashrrev_i32 v13, 31, v12 :: v_dual_add_nc_u32 v24, s2, v10
	v_ashrrev_i32_e32 v11, 31, v10
	s_delay_alu instid0(VALU_DEP_2)
	v_lshl_add_u64 v[12:13], v[12:13], 3, v[0:1]
	s_clause 0x3
	global_store_b64 v[18:19], v[8:9], off
	global_store_b64 v[20:21], v[34:35], off
	;; [unrolled: 1-line block ×4, first 2 shown]
	s_wait_xcnt 0x3
	v_dual_add_nc_u32 v8, s2, v24 :: v_dual_ashrrev_i32 v25, 31, v24
	s_wait_xcnt 0x1
	v_lshl_add_u64 v[12:13], v[36:37], 3, v[0:1]
	v_lshl_add_u64 v[4:5], v[4:5], 3, v[0:1]
	;; [unrolled: 1-line block ×3, first 2 shown]
	v_ashrrev_i32_e32 v9, 31, v8
	v_lshl_add_u64 v[18:19], v[24:25], 3, v[0:1]
	s_delay_alu instid0(VALU_DEP_2)
	v_lshl_add_u64 v[0:1], v[8:9], 3, v[0:1]
	s_clause 0x4
	global_store_b64 v[12:13], v[6:7], off
	global_store_b64 v[4:5], v[26:27], off
	;; [unrolled: 1-line block ×5, first 2 shown]
.LBB118_1261:
	s_sendmsg sendmsg(MSG_DEALLOC_VGPRS)
	s_endpgm
	.section	.rodata,"a",@progbits
	.p2align	6, 0x0
	.amdhsa_kernel _ZN9rocsolver6v33100L18getf2_small_kernelILi60E19rocblas_complex_numIfEiiPS3_EEvT1_T3_lS5_lPS5_llPT2_S5_S5_S7_l
		.amdhsa_group_segment_fixed_size 0
		.amdhsa_private_segment_fixed_size 0
		.amdhsa_kernarg_size 352
		.amdhsa_user_sgpr_count 2
		.amdhsa_user_sgpr_dispatch_ptr 0
		.amdhsa_user_sgpr_queue_ptr 0
		.amdhsa_user_sgpr_kernarg_segment_ptr 1
		.amdhsa_user_sgpr_dispatch_id 0
		.amdhsa_user_sgpr_kernarg_preload_length 0
		.amdhsa_user_sgpr_kernarg_preload_offset 0
		.amdhsa_user_sgpr_private_segment_size 0
		.amdhsa_wavefront_size32 1
		.amdhsa_uses_dynamic_stack 0
		.amdhsa_enable_private_segment 0
		.amdhsa_system_sgpr_workgroup_id_x 1
		.amdhsa_system_sgpr_workgroup_id_y 1
		.amdhsa_system_sgpr_workgroup_id_z 0
		.amdhsa_system_sgpr_workgroup_info 0
		.amdhsa_system_vgpr_workitem_id 1
		.amdhsa_next_free_vgpr 160
		.amdhsa_next_free_sgpr 19
		.amdhsa_named_barrier_count 0
		.amdhsa_reserve_vcc 1
		.amdhsa_float_round_mode_32 0
		.amdhsa_float_round_mode_16_64 0
		.amdhsa_float_denorm_mode_32 3
		.amdhsa_float_denorm_mode_16_64 3
		.amdhsa_fp16_overflow 0
		.amdhsa_memory_ordered 1
		.amdhsa_forward_progress 1
		.amdhsa_inst_pref_size 255
		.amdhsa_round_robin_scheduling 0
		.amdhsa_exception_fp_ieee_invalid_op 0
		.amdhsa_exception_fp_denorm_src 0
		.amdhsa_exception_fp_ieee_div_zero 0
		.amdhsa_exception_fp_ieee_overflow 0
		.amdhsa_exception_fp_ieee_underflow 0
		.amdhsa_exception_fp_ieee_inexact 0
		.amdhsa_exception_int_div_zero 0
	.end_amdhsa_kernel
	.section	.text._ZN9rocsolver6v33100L18getf2_small_kernelILi60E19rocblas_complex_numIfEiiPS3_EEvT1_T3_lS5_lPS5_llPT2_S5_S5_S7_l,"axG",@progbits,_ZN9rocsolver6v33100L18getf2_small_kernelILi60E19rocblas_complex_numIfEiiPS3_EEvT1_T3_lS5_lPS5_llPT2_S5_S5_S7_l,comdat
.Lfunc_end118:
	.size	_ZN9rocsolver6v33100L18getf2_small_kernelILi60E19rocblas_complex_numIfEiiPS3_EEvT1_T3_lS5_lPS5_llPT2_S5_S5_S7_l, .Lfunc_end118-_ZN9rocsolver6v33100L18getf2_small_kernelILi60E19rocblas_complex_numIfEiiPS3_EEvT1_T3_lS5_lPS5_llPT2_S5_S5_S7_l
                                        ; -- End function
	.set _ZN9rocsolver6v33100L18getf2_small_kernelILi60E19rocblas_complex_numIfEiiPS3_EEvT1_T3_lS5_lPS5_llPT2_S5_S5_S7_l.num_vgpr, 160
	.set _ZN9rocsolver6v33100L18getf2_small_kernelILi60E19rocblas_complex_numIfEiiPS3_EEvT1_T3_lS5_lPS5_llPT2_S5_S5_S7_l.num_agpr, 0
	.set _ZN9rocsolver6v33100L18getf2_small_kernelILi60E19rocblas_complex_numIfEiiPS3_EEvT1_T3_lS5_lPS5_llPT2_S5_S5_S7_l.numbered_sgpr, 19
	.set _ZN9rocsolver6v33100L18getf2_small_kernelILi60E19rocblas_complex_numIfEiiPS3_EEvT1_T3_lS5_lPS5_llPT2_S5_S5_S7_l.num_named_barrier, 0
	.set _ZN9rocsolver6v33100L18getf2_small_kernelILi60E19rocblas_complex_numIfEiiPS3_EEvT1_T3_lS5_lPS5_llPT2_S5_S5_S7_l.private_seg_size, 0
	.set _ZN9rocsolver6v33100L18getf2_small_kernelILi60E19rocblas_complex_numIfEiiPS3_EEvT1_T3_lS5_lPS5_llPT2_S5_S5_S7_l.uses_vcc, 1
	.set _ZN9rocsolver6v33100L18getf2_small_kernelILi60E19rocblas_complex_numIfEiiPS3_EEvT1_T3_lS5_lPS5_llPT2_S5_S5_S7_l.uses_flat_scratch, 0
	.set _ZN9rocsolver6v33100L18getf2_small_kernelILi60E19rocblas_complex_numIfEiiPS3_EEvT1_T3_lS5_lPS5_llPT2_S5_S5_S7_l.has_dyn_sized_stack, 0
	.set _ZN9rocsolver6v33100L18getf2_small_kernelILi60E19rocblas_complex_numIfEiiPS3_EEvT1_T3_lS5_lPS5_llPT2_S5_S5_S7_l.has_recursion, 0
	.set _ZN9rocsolver6v33100L18getf2_small_kernelILi60E19rocblas_complex_numIfEiiPS3_EEvT1_T3_lS5_lPS5_llPT2_S5_S5_S7_l.has_indirect_call, 0
	.section	.AMDGPU.csdata,"",@progbits
; Kernel info:
; codeLenInByte = 162508
; TotalNumSgprs: 21
; NumVgprs: 160
; ScratchSize: 0
; MemoryBound: 0
; FloatMode: 240
; IeeeMode: 1
; LDSByteSize: 0 bytes/workgroup (compile time only)
; SGPRBlocks: 0
; VGPRBlocks: 9
; NumSGPRsForWavesPerEU: 21
; NumVGPRsForWavesPerEU: 160
; NamedBarCnt: 0
; Occupancy: 6
; WaveLimiterHint : 0
; COMPUTE_PGM_RSRC2:SCRATCH_EN: 0
; COMPUTE_PGM_RSRC2:USER_SGPR: 2
; COMPUTE_PGM_RSRC2:TRAP_HANDLER: 0
; COMPUTE_PGM_RSRC2:TGID_X_EN: 1
; COMPUTE_PGM_RSRC2:TGID_Y_EN: 1
; COMPUTE_PGM_RSRC2:TGID_Z_EN: 0
; COMPUTE_PGM_RSRC2:TIDIG_COMP_CNT: 1
	.section	.text._ZN9rocsolver6v33100L23getf2_npvt_small_kernelILi60E19rocblas_complex_numIfEiiPS3_EEvT1_T3_lS5_lPT2_S5_S5_,"axG",@progbits,_ZN9rocsolver6v33100L23getf2_npvt_small_kernelILi60E19rocblas_complex_numIfEiiPS3_EEvT1_T3_lS5_lPT2_S5_S5_,comdat
	.globl	_ZN9rocsolver6v33100L23getf2_npvt_small_kernelILi60E19rocblas_complex_numIfEiiPS3_EEvT1_T3_lS5_lPT2_S5_S5_ ; -- Begin function _ZN9rocsolver6v33100L23getf2_npvt_small_kernelILi60E19rocblas_complex_numIfEiiPS3_EEvT1_T3_lS5_lPT2_S5_S5_
	.p2align	8
	.type	_ZN9rocsolver6v33100L23getf2_npvt_small_kernelILi60E19rocblas_complex_numIfEiiPS3_EEvT1_T3_lS5_lPT2_S5_S5_,@function
_ZN9rocsolver6v33100L23getf2_npvt_small_kernelILi60E19rocblas_complex_numIfEiiPS3_EEvT1_T3_lS5_lPT2_S5_S5_: ; @_ZN9rocsolver6v33100L23getf2_npvt_small_kernelILi60E19rocblas_complex_numIfEiiPS3_EEvT1_T3_lS5_lPT2_S5_S5_
; %bb.0:
	s_clause 0x1
	s_load_u16 s14, s[0:1], 0x46
	s_load_b64 s[2:3], s[0:1], 0x30
	s_bfe_u32 s4, ttmp6, 0x40010
	s_bfe_u32 s5, ttmp6, 0x40004
	s_add_co_i32 s4, s4, 1
	s_getreg_b32 s6, hwreg(HW_REG_IB_STS2, 6, 4)
	s_mul_i32 s4, ttmp7, s4
	v_bfe_u32 v50, v0, 10, 10
	s_add_co_i32 s5, s5, s4
	s_cmp_eq_u32 s6, 0
	s_cselect_b32 s4, ttmp7, s5
	s_wait_kmcnt 0x0
	v_mad_u32 v52, s4, s14, v50
	s_delay_alu instid0(VALU_DEP_1)
	v_cmp_gt_i32_e32 vcc_lo, s2, v52
	s_and_saveexec_b32 s2, vcc_lo
	s_cbranch_execnz .LBB119_1
; %bb.544:
	s_add_pc_i64 .LBB119_543-.Lpost_addpc11
.Lpost_addpc11:
.LBB119_1:
	s_clause 0x1
	s_load_b32 s12, s[0:1], 0x18
	s_load_b128 s[8:11], s[0:1], 0x8
	v_and_b32_e32 v206, 0x3ff, v0
	s_load_b128 s[4:7], s[0:1], 0x20
	s_mulk_i32 s14, 0x1e0
	v_mad_u32_u24 v216, 0x1e0, v50, 0
	v_mov_b32_e32 v35, 0
	s_wait_xcnt 0x0
	v_cmp_ne_u32_e64 s1, 0, v206
	v_cmp_eq_u32_e64 s0, 0, v206
	s_wait_kmcnt 0x0
	v_add3_u32 v28, s12, s12, v206
	s_ashr_i32 s13, s12, 31
	s_delay_alu instid0(VALU_DEP_1) | instskip(NEXT) | instid1(VALU_DEP_1)
	v_dual_add_nc_u32 v20, s12, v28 :: v_dual_ashrrev_i32 v29, 31, v28
	v_add_nc_u32_e32 v22, s12, v20
	s_delay_alu instid0(VALU_DEP_1) | instskip(NEXT) | instid1(VALU_DEP_1)
	v_add_nc_u32_e32 v24, s12, v22
	v_dual_add_nc_u32 v26, s12, v24 :: v_dual_ashrrev_i32 v25, 31, v24
	s_delay_alu instid0(VALU_DEP_1) | instskip(SKIP_1) | instid1(VALU_DEP_2)
	v_dual_add_nc_u32 v14, s12, v26 :: v_dual_ashrrev_i32 v21, 31, v20
	v_ashrrev_i32_e32 v23, 31, v22
	v_add_nc_u32_e32 v18, s12, v14
	s_delay_alu instid0(VALU_DEP_1) | instskip(NEXT) | instid1(VALU_DEP_1)
	v_add_nc_u32_e32 v12, s12, v18
	v_add_nc_u32_e32 v8, s12, v12
	s_delay_alu instid0(VALU_DEP_1) | instskip(SKIP_1) | instid1(VALU_DEP_2)
	v_dual_add_nc_u32 v0, s12, v8 :: v_dual_ashrrev_i32 v15, 31, v14
	v_ashrrev_i32_e32 v13, 31, v12
	v_dual_add_nc_u32 v4, s12, v0 :: v_dual_ashrrev_i32 v1, 31, v0
	s_delay_alu instid0(VALU_DEP_1) | instskip(NEXT) | instid1(VALU_DEP_1)
	v_add_nc_u32_e32 v2, s12, v4
	v_add_nc_u32_e32 v6, s12, v2
	s_delay_alu instid0(VALU_DEP_1) | instskip(SKIP_1) | instid1(VALU_DEP_2)
	v_dual_add_nc_u32 v10, s12, v6 :: v_dual_ashrrev_i32 v5, 31, v4
	v_ashrrev_i32_e32 v7, 31, v6
	v_dual_add_nc_u32 v30, s12, v10 :: v_dual_ashrrev_i32 v53, 31, v52
	v_ashrrev_i32_e32 v3, 31, v2
	v_ashrrev_i32_e32 v11, 31, v10
	s_delay_alu instid0(VALU_DEP_3) | instskip(NEXT) | instid1(VALU_DEP_4)
	v_add_nc_u32_e32 v32, s12, v30
	v_mul_u64_e32 v[16:17], s[4:5], v[52:53]
	s_delay_alu instid0(VALU_DEP_2) | instskip(NEXT) | instid1(VALU_DEP_1)
	v_dual_add_nc_u32 v42, s12, v32 :: v_dual_ashrrev_i32 v33, 31, v32
	v_add_nc_u32_e32 v48, s12, v42
	v_lshlrev_b32_e32 v34, 3, v206
	s_delay_alu instid0(VALU_DEP_2) | instskip(SKIP_1) | instid1(VALU_DEP_1)
	v_dual_ashrrev_i32 v43, 31, v42 :: v_dual_ashrrev_i32 v49, 31, v48
	v_add_nc_u32_e32 v54, s12, v48
	v_add_nc_u32_e32 v68, s12, v54
	v_ashrrev_i32_e32 v27, 31, v26
	s_delay_alu instid0(VALU_DEP_2) | instskip(SKIP_2) | instid1(VALU_DEP_1)
	v_dual_ashrrev_i32 v55, 31, v54 :: v_dual_ashrrev_i32 v69, 31, v68
	v_dual_add_nc_u32 v72, s12, v68 :: v_dual_ashrrev_i32 v19, 31, v18
	v_lshl_add_u64 v[16:17], v[16:17], 3, s[8:9]
	v_lshl_add_u64 v[70:71], s[10:11], 3, v[16:17]
	s_delay_alu instid0(VALU_DEP_1) | instskip(NEXT) | instid1(VALU_DEP_4)
	v_lshl_add_u64 v[244:245], v[28:29], 3, v[70:71]
	v_add_nc_u32_e32 v28, s12, v72
	v_lshl_add_u64 v[252:253], v[12:13], 3, v[70:71]
	v_add_nc_u64_e32 v[254:255], v[70:71], v[34:35]
	v_lshl_add_u64 v[246:247], v[14:15], 3, v[70:71]
	v_lshl_add_u64 v[250:251], v[22:23], 3, v[70:71]
	v_add_nc_u32_e32 v74, s12, v28
	v_ashrrev_i32_e32 v9, 31, v8
	v_lshl_add_u64 v[224:225], v[24:25], 3, v[70:71]
	v_lshl_add_u64 v[248:249], v[18:19], 3, v[70:71]
	;; [unrolled: 1-line block ×3, first 2 shown]
	v_add_nc_u32_e32 v12, s12, v74
	v_lshl_add_u64 v[18:19], v[8:9], 3, v[70:71]
	v_lshl_add_u64 v[242:243], v[26:27], 3, v[70:71]
	;; [unrolled: 1-line block ×3, first 2 shown]
	s_clause 0x3
	global_load_b64 v[26:27], v[250:251], off
	global_load_b64 v[22:23], v[224:225], off
	;; [unrolled: 1-line block ×4, first 2 shown]
	v_add_nc_u32_e32 v14, s12, v12
	scratch_store_b64 off, v[34:35], off offset:24 ; 8-byte Folded Spill
	s_clause 0x3
	global_load_b64 v[56:57], v[254:255], off
	global_load_b64 v[58:59], v[34:35], off
	;; [unrolled: 1-line block ×4, first 2 shown]
	s_wait_xcnt 0x2
	v_lshl_add_u64 v[34:35], v[0:1], 3, v[70:71]
	v_dual_add_nc_u32 v8, s12, v14 :: v_dual_ashrrev_i32 v13, 31, v12
	v_ashrrev_i32_e32 v15, 31, v14
	v_lshl_add_u64 v[60:61], v[4:5], 3, v[70:71]
	v_lshl_add_u64 v[32:33], v[32:33], 3, v[70:71]
	s_delay_alu instid0(VALU_DEP_4)
	v_add_nc_u32_e32 v0, s12, v8
	s_clause 0x1
	global_load_b64 v[40:41], v[248:249], off
	global_load_b64 v[36:37], v[252:253], off
	v_lshl_add_u64 v[14:15], v[14:15], 3, v[70:71]
	s_clause 0x1
	scratch_store_b64 off, v[18:19], off
	scratch_store_b64 off, v[34:35], off offset:8
	v_dual_add_nc_u32 v4, s12, v0 :: v_dual_ashrrev_i32 v31, 31, v30
	s_clause 0x2
	global_load_b64 v[38:39], v[18:19], off
	global_load_b64 v[78:79], v[32:33], off
	;; [unrolled: 1-line block ×3, first 2 shown]
	s_wait_xcnt 0x2
	v_lshl_add_u64 v[18:19], v[2:3], 3, v[70:71]
	v_add_nc_u32_e32 v2, s12, v4
	v_lshl_add_u64 v[64:65], v[6:7], 3, v[70:71]
	v_lshl_add_u64 v[10:11], v[10:11], 3, v[70:71]
	;; [unrolled: 1-line block ×5, first 2 shown]
	global_load_b64 v[34:35], v[34:35], off
	s_clause 0x3
	scratch_store_b64 off, v[64:65], off offset:40
	scratch_store_b64 off, v[10:11], off offset:48
	;; [unrolled: 1-line block ×4, first 2 shown]
	v_lshl_add_u64 v[54:55], v[54:55], 3, v[70:71]
	global_load_b64 v[82:83], v[76:77], off
	s_clause 0x1
	scratch_store_b64 off, v[42:43], off offset:72
	scratch_store_b64 off, v[48:49], off offset:80
	s_clause 0x2
	global_load_b64 v[80:81], v[42:43], off
	global_load_b64 v[76:77], v[48:49], off
	global_load_b64 v[62:63], v[18:19], off
	v_dual_ashrrev_i32 v73, 31, v72 :: v_dual_ashrrev_i32 v75, 31, v74
	v_ashrrev_i32_e32 v29, 31, v28
	s_wait_xcnt 0x1
	v_lshl_add_u64 v[48:49], v[68:69], 3, v[70:71]
	v_dual_ashrrev_i32 v9, 31, v8 :: v_dual_ashrrev_i32 v3, 31, v2
	v_add_nc_u32_e32 v6, s12, v2
	v_lshl_add_u64 v[68:69], v[72:73], 3, v[70:71]
	v_lshl_add_u64 v[72:73], v[28:29], 3, v[70:71]
	;; [unrolled: 1-line block ×3, first 2 shown]
	s_clause 0x1
	scratch_store_b64 off, v[54:55], off offset:88
	scratch_store_b64 off, v[48:49], off offset:96
	s_clause 0x1
	global_load_b64 v[98:99], v[54:55], off
	global_load_b64 v[94:95], v[48:49], off
	s_wait_xcnt 0x1
	v_lshl_add_u64 v[54:55], v[12:13], 3, v[70:71]
	v_lshl_add_u64 v[8:9], v[8:9], 3, v[70:71]
	s_clause 0x1
	scratch_store_b64 off, v[60:61], off offset:16
	scratch_store_b64 off, v[18:19], off offset:32
	s_clause 0x5
	global_load_b64 v[66:67], v[60:61], off
	global_load_b64 v[92:93], v[72:73], off
	;; [unrolled: 1-line block ×6, first 2 shown]
	s_wait_xcnt 0x1
	v_dual_add_nc_u32 v10, s12, v6 :: v_dual_ashrrev_i32 v1, 31, v0
	s_clause 0x3
	scratch_store_b64 off, v[68:69], off offset:104
	scratch_store_b64 off, v[72:73], off offset:112
	scratch_store_b64 off, v[74:75], off offset:120
	scratch_store_b64 off, v[54:55], off offset:128
	v_dual_add_nc_u32 v18, s12, v10 :: v_dual_ashrrev_i32 v5, 31, v4
	v_ashrrev_i32_e32 v7, 31, v6
	s_wait_xcnt 0x0
	v_lshl_add_u64 v[54:55], v[2:3], 3, v[70:71]
	global_load_b64 v[96:97], v[68:69], off
	v_add_nc_u32_e32 v30, s12, v18
	scratch_store_b64 off, v[14:15], off offset:136 ; 8-byte Folded Spill
	v_lshl_add_u64 v[6:7], v[6:7], 3, v[70:71]
	global_load_b64 v[128:129], v[54:55], off
	s_wait_xcnt 0x2
	v_lshl_add_u64 v[68:69], v[0:1], 3, v[70:71]
	v_add_nc_u32_e32 v32, s12, v30
	scratch_store_b64 off, v[8:9], off offset:144 ; 8-byte Folded Spill
	global_load_b64 v[124:125], v[6:7], off
	scratch_store_b64 off, v[54:55], off offset:168 ; 8-byte Folded Spill
	s_clause 0x1
	global_load_b64 v[64:65], v[64:65], off
	global_load_b64 v[130:131], v[68:69], off
	v_dual_add_nc_u32 v42, s12, v32 :: v_dual_ashrrev_i32 v11, 31, v10
	v_ashrrev_i32_e32 v31, 31, v30
	s_delay_alu instid0(VALU_DEP_2) | instskip(NEXT) | instid1(VALU_DEP_3)
	v_dual_add_nc_u32 v28, s12, v42 :: v_dual_ashrrev_i32 v43, 31, v42
	v_lshl_add_u64 v[72:73], v[10:11], 3, v[70:71]
	scratch_store_b64 off, v[6:7], off offset:176 ; 8-byte Folded Spill
	v_lshl_add_u64 v[30:31], v[30:31], 3, v[70:71]
	v_ashrrev_i32_e32 v29, 31, v28
	v_lshl_add_u64 v[42:43], v[42:43], 3, v[70:71]
	s_clause 0x2
	global_load_b64 v[146:147], v[72:73], off
	global_load_b64 v[144:145], v[30:31], off
	;; [unrolled: 1-line block ×3, first 2 shown]
	v_dual_add_nc_u32 v48, s12, v28 :: v_dual_ashrrev_i32 v19, 31, v18
	s_delay_alu instid0(VALU_DEP_1) | instskip(NEXT) | instid1(VALU_DEP_2)
	v_add_nc_u32_e32 v12, s12, v48
	v_lshl_add_u64 v[18:19], v[18:19], 3, v[70:71]
	scratch_store_b64 off, v[72:73], off offset:184 ; 8-byte Folded Spill
	v_ashrrev_i32_e32 v49, 31, v48
	v_dual_add_nc_u32 v0, s12, v12 :: v_dual_ashrrev_i32 v13, 31, v12
	global_load_b64 v[142:143], v[18:19], off
	scratch_store_b64 off, v[18:19], off offset:192 ; 8-byte Folded Spill
	s_wait_xcnt 0xb
	v_add_nc_u32_e32 v8, s12, v0
	v_lshl_add_u64 v[12:13], v[12:13], 3, v[70:71]
	v_ashrrev_i32_e32 v1, 31, v0
	global_load_b64 v[156:157], v[12:13], off
	v_lshl_add_u64 v[14:15], v[4:5], 3, v[70:71]
	v_add_nc_u32_e32 v4, s12, v8
	s_clause 0x1
	scratch_store_b64 off, v[68:69], off offset:152
	scratch_store_b64 off, v[14:15], off offset:160
	v_dual_ashrrev_i32 v5, 31, v4 :: v_dual_add_nc_u32 v2, s12, v4
	global_load_b64 v[126:127], v[14:15], off
	v_ashrrev_i32_e32 v9, 31, v8
	v_lshl_add_u64 v[4:5], v[4:5], 3, v[70:71]
	v_ashrrev_i32_e32 v3, 31, v2
	global_load_b64 v[176:177], v[4:5], off
	s_wait_xcnt 0xb
	v_dual_add_nc_u32 v6, s12, v2 :: v_dual_ashrrev_i32 v33, 31, v32
	s_delay_alu instid0(VALU_DEP_1) | instskip(NEXT) | instid1(VALU_DEP_2)
	v_add_nc_u32_e32 v10, s12, v6
	v_lshl_add_u64 v[32:33], v[32:33], 3, v[70:71]
	scratch_store_b64 off, v[30:31], off offset:200 ; 8-byte Folded Spill
	v_ashrrev_i32_e32 v7, 31, v6
	v_ashrrev_i32_e32 v11, 31, v10
	global_load_b64 v[140:141], v[32:33], off
	s_wait_xcnt 0x3
	v_add_nc_u32_e32 v14, s12, v10
	s_wait_xcnt 0x1
	v_lshl_add_u64 v[30:31], v[28:29], 3, v[70:71]
	s_clause 0x1
	scratch_store_b64 off, v[32:33], off offset:208
	scratch_store_b64 off, v[42:43], off offset:216
	s_wait_xcnt 0x1
	v_lshl_add_u64 v[32:33], v[48:49], 3, v[70:71]
	v_add_nc_u32_e32 v18, s12, v14
	v_lshl_add_u64 v[48:49], v[0:1], 3, v[70:71]
	s_clause 0x2
	scratch_store_b64 off, v[12:13], off offset:240
	scratch_store_b64 off, v[30:31], off offset:224
	;; [unrolled: 1-line block ×3, first 2 shown]
	v_add_nc_u32_e32 v28, s12, v18
	v_ashrrev_i32_e32 v15, 31, v14
	v_ashrrev_i32_e32 v19, 31, v18
	s_clause 0x1
	global_load_b64 v[160:161], v[32:33], off
	global_load_b64 v[178:179], v[48:49], off
	v_dual_add_nc_u32 v0, s12, v28 :: v_dual_ashrrev_i32 v29, 31, v28
	v_lshl_add_u64 v[14:15], v[14:15], 3, v[70:71]
	v_lshl_add_u64 v[18:19], v[18:19], 3, v[70:71]
	global_load_b64 v[158:159], v[30:31], off
	s_wait_xcnt 0x5
	v_add_nc_u32_e32 v12, s12, v0
	v_lshl_add_u64 v[28:29], v[28:29], 3, v[70:71]
	v_ashrrev_i32_e32 v1, 31, v0
	s_clause 0x1
	scratch_store_b64 off, v[14:15], off offset:296
	scratch_store_b64 off, v[18:19], off offset:304
	s_clause 0x1
	global_load_b64 v[188:189], v[18:19], off
	global_load_b64 v[214:215], v[28:29], off
	v_ashrrev_i32_e32 v13, 31, v12
	s_wait_xcnt 0x1
	v_lshl_add_u64 v[18:19], v[0:1], 3, v[70:71]
	v_lshl_add_u64 v[32:33], v[2:3], 3, v[70:71]
	global_load_b64 v[192:193], v[14:15], off
	s_clause 0x2
	scratch_store_b64 off, v[4:5], off offset:264
	scratch_store_b64 off, v[28:29], off offset:312
	;; [unrolled: 1-line block ×3, first 2 shown]
	global_load_b64 v[210:211], v[18:19], off
	v_lshl_add_u64 v[30:31], v[8:9], 3, v[70:71]
	v_add_nc_u32_e32 v8, s12, v12
	v_lshl_add_u64 v[12:13], v[12:13], 3, v[70:71]
	scratch_store_b64 off, v[48:49], off offset:248 ; 8-byte Folded Spill
	s_clause 0x1
	global_load_b64 v[172:173], v[32:33], off
	global_load_b64 v[174:175], v[30:31], off
	scratch_store_b64 off, v[30:31], off offset:256 ; 8-byte Folded Spill
	global_load_b64 v[212:213], v[12:13], off
	v_add_nc_u32_e32 v2, s12, v8
	s_wait_xcnt 0x1
	v_lshl_add_u64 v[30:31], v[10:11], 3, v[70:71]
	s_delay_alu instid0(VALU_DEP_2)
	v_add_nc_u32_e32 v4, s12, v2
	global_load_b64 v[190:191], v[30:31], off
	v_lshl_add_u64 v[42:43], v[6:7], 3, v[70:71]
	s_clause 0x1
	scratch_store_b64 off, v[32:33], off offset:272
	scratch_store_b64 off, v[30:31], off offset:288
	v_add_nc_u32_e32 v6, s12, v4
	scratch_store_b64 off, v[42:43], off offset:280 ; 8-byte Folded Spill
	global_load_b64 v[194:195], v[42:43], off
	v_dual_add_nc_u32 v10, s12, v6 :: v_dual_ashrrev_i32 v9, 31, v8
	v_ashrrev_i32_e32 v7, 31, v6
	s_delay_alu instid0(VALU_DEP_2) | instskip(SKIP_1) | instid1(VALU_DEP_4)
	v_add_nc_u32_e32 v14, s12, v10
	v_ashrrev_i32_e32 v3, 31, v2
	v_lshl_add_u64 v[8:9], v[8:9], 3, v[70:71]
	s_delay_alu instid0(VALU_DEP_4)
	v_lshl_add_u64 v[6:7], v[6:7], 3, v[70:71]
	v_ashrrev_i32_e32 v11, 31, v10
	v_add_nc_u32_e32 v0, s12, v14
	s_wait_xcnt 0x2
	v_lshl_add_u64 v[30:31], v[2:3], 3, v[70:71]
	s_clause 0x1
	scratch_store_b64 off, v[12:13], off offset:328
	scratch_store_b64 off, v[8:9], off offset:336
	s_clause 0x1
	global_load_b64 v[208:209], v[8:9], off
	global_load_b64 v[234:235], v[6:7], off
	v_add_nc_u32_e32 v2, s12, v0
	v_dual_ashrrev_i32 v5, 31, v4 :: v_dual_ashrrev_i32 v15, 31, v14
	v_ashrrev_i32_e32 v1, 31, v0
	v_lshl_add_u64 v[10:11], v[10:11], 3, v[70:71]
	global_load_b64 v[236:237], v[30:31], off
	s_wait_xcnt 0x2
	v_lshl_add_u64 v[8:9], v[4:5], 3, v[70:71]
	v_dual_add_nc_u32 v4, s12, v2 :: v_dual_ashrrev_i32 v3, 31, v2
	global_load_b64 v[228:229], v[10:11], off
	v_lshl_add_u64 v[12:13], v[14:15], 3, v[70:71]
	v_lshl_add_u64 v[14:15], v[0:1], 3, v[70:71]
	v_ashrrev_i32_e32 v5, 31, v4
	v_lshl_add_u64 v[2:3], v[2:3], 3, v[70:71]
	s_clause 0x2
	global_load_b64 v[230:231], v[8:9], off
	global_load_b64 v[232:233], v[12:13], off
	global_load_b64 v[226:227], v[14:15], off
	v_lshl_add_u64 v[0:1], v[4:5], 3, v[70:71]
	global_load_b64 v[238:239], v[2:3], off
	s_clause 0x3
	scratch_store_b64 off, v[6:7], off offset:360
	scratch_store_b64 off, v[10:11], off offset:376
	;; [unrolled: 1-line block ×4, first 2 shown]
	global_load_b64 v[240:241], v[0:1], off
	s_wait_xcnt 0x0
	v_lshlrev_b32_e32 v0, 3, v50
	s_clause 0x3
	scratch_store_b64 off, v[30:31], off offset:344
	scratch_store_b64 off, v[8:9], off offset:352
	;; [unrolled: 1-line block ×4, first 2 shown]
	v_add3_u32 v207, 0, s14, v0
	s_wait_xcnt 0x0
	s_and_saveexec_b32 s4, s0
	s_cbranch_execz .LBB119_8
; %bb.2:
	s_wait_loadcnt 0x37
	ds_store_b64 v207, v[56:57]
	s_wait_loadcnt 0x35
	ds_store_2addr_b64 v216, v[58:59], v[46:47] offset0:1 offset1:2
	s_wait_loadcnt 0x34
	ds_store_2addr_b64 v216, v[44:45], v[26:27] offset0:3 offset1:4
	ds_store_2addr_b64 v216, v[22:23], v[24:25] offset0:5 offset1:6
	s_wait_loadcnt 0x33
	ds_store_2addr_b64 v216, v[20:21], v[40:41] offset0:7 offset1:8
	s_wait_loadcnt 0x31
	;; [unrolled: 2-line block ×4, first 2 shown]
	ds_store_2addr_b64 v216, v[62:63], v[64:65] offset0:13 offset1:14
	ds_store_2addr_b64 v216, v[60:61], v[82:83] offset0:15 offset1:16
	;; [unrolled: 1-line block ×7, first 2 shown]
	s_wait_loadcnt 0x1d
	ds_store_2addr_b64 v216, v[108:109], v[130:131] offset0:27 offset1:28
	s_wait_loadcnt 0x17
	ds_store_2addr_b64 v216, v[126:127], v[128:129] offset0:29 offset1:30
	ds_store_2addr_b64 v216, v[124:125], v[146:147] offset0:31 offset1:32
	;; [unrolled: 1-line block ×3, first 2 shown]
	s_wait_loadcnt 0x15
	ds_store_2addr_b64 v216, v[140:141], v[162:163] offset0:35 offset1:36
	s_wait_loadcnt 0x12
	ds_store_2addr_b64 v216, v[158:159], v[160:161] offset0:37 offset1:38
	ds_store_2addr_b64 v216, v[156:157], v[178:179] offset0:39 offset1:40
	s_wait_loadcnt 0xc
	ds_store_2addr_b64 v216, v[174:175], v[176:177] offset0:41 offset1:42
	s_wait_loadcnt 0x9
	ds_store_2addr_b64 v216, v[172:173], v[194:195] offset0:43 offset1:44
	ds_store_2addr_b64 v216, v[190:191], v[192:193] offset0:45 offset1:46
	;; [unrolled: 1-line block ×4, first 2 shown]
	s_wait_loadcnt 0x6
	ds_store_2addr_b64 v216, v[208:209], v[236:237] offset0:51 offset1:52
	s_wait_loadcnt 0x4
	ds_store_2addr_b64 v216, v[230:231], v[234:235] offset0:53 offset1:54
	;; [unrolled: 2-line block ×4, first 2 shown]
	s_wait_loadcnt 0x0
	ds_store_b64 v216, v[240:241] offset:472
	ds_load_b64 v[0:1], v207
	s_wait_dscnt 0x0
	v_cmp_neq_f32_e32 vcc_lo, 0, v0
	v_cmp_neq_f32_e64 s2, 0, v1
	s_or_b32 s2, vcc_lo, s2
	s_delay_alu instid0(SALU_CYCLE_1)
	s_and_b32 exec_lo, exec_lo, s2
	s_cbranch_execz .LBB119_8
; %bb.3:
	v_cmp_ngt_f32_e64 s2, |v0|, |v1|
                                        ; implicit-def: $vgpr2_vgpr3
	s_and_saveexec_b32 s5, s2
	s_delay_alu instid0(SALU_CYCLE_1)
	s_xor_b32 s2, exec_lo, s5
	s_cbranch_execz .LBB119_5
; %bb.4:
	v_div_scale_f32 v2, null, v1, v1, v0
	v_div_scale_f32 v5, vcc_lo, v0, v1, v0
	s_delay_alu instid0(VALU_DEP_2) | instskip(SKIP_1) | instid1(TRANS32_DEP_1)
	v_rcp_f32_e32 v3, v2
	v_nop
	v_fma_f32 v4, -v2, v3, 1.0
	s_delay_alu instid0(VALU_DEP_1) | instskip(NEXT) | instid1(VALU_DEP_1)
	v_fmac_f32_e32 v3, v4, v3
	v_mul_f32_e32 v4, v5, v3
	s_delay_alu instid0(VALU_DEP_1) | instskip(NEXT) | instid1(VALU_DEP_1)
	v_fma_f32 v6, -v2, v4, v5
	v_fmac_f32_e32 v4, v6, v3
	s_delay_alu instid0(VALU_DEP_1) | instskip(NEXT) | instid1(VALU_DEP_1)
	v_fma_f32 v2, -v2, v4, v5
	v_div_fmas_f32 v2, v2, v3, v4
	s_delay_alu instid0(VALU_DEP_1) | instskip(NEXT) | instid1(VALU_DEP_1)
	v_div_fixup_f32 v2, v2, v1, v0
	v_fmac_f32_e32 v1, v0, v2
	s_delay_alu instid0(VALU_DEP_1) | instskip(SKIP_1) | instid1(VALU_DEP_2)
	v_div_scale_f32 v0, null, v1, v1, 1.0
	v_div_scale_f32 v5, vcc_lo, 1.0, v1, 1.0
	v_rcp_f32_e32 v3, v0
	v_nop
	s_delay_alu instid0(TRANS32_DEP_1) | instskip(NEXT) | instid1(VALU_DEP_1)
	v_fma_f32 v4, -v0, v3, 1.0
	v_fmac_f32_e32 v3, v4, v3
	s_delay_alu instid0(VALU_DEP_1) | instskip(NEXT) | instid1(VALU_DEP_1)
	v_mul_f32_e32 v4, v5, v3
	v_fma_f32 v6, -v0, v4, v5
	s_delay_alu instid0(VALU_DEP_1) | instskip(NEXT) | instid1(VALU_DEP_1)
	v_fmac_f32_e32 v4, v6, v3
	v_fma_f32 v0, -v0, v4, v5
	s_delay_alu instid0(VALU_DEP_1) | instskip(NEXT) | instid1(VALU_DEP_1)
	v_div_fmas_f32 v0, v0, v3, v4
	v_div_fixup_f32 v0, v0, v1, 1.0
	s_delay_alu instid0(VALU_DEP_1)
	v_mul_f32_e32 v2, v2, v0
	v_xor_b32_e32 v3, 0x80000000, v0
                                        ; implicit-def: $vgpr0_vgpr1
.LBB119_5:
	s_and_not1_saveexec_b32 s2, s2
	s_cbranch_execz .LBB119_7
; %bb.6:
	v_div_scale_f32 v2, null, v0, v0, v1
	v_div_scale_f32 v5, vcc_lo, v1, v0, v1
	s_delay_alu instid0(VALU_DEP_2) | instskip(SKIP_1) | instid1(TRANS32_DEP_1)
	v_rcp_f32_e32 v3, v2
	v_nop
	v_fma_f32 v4, -v2, v3, 1.0
	s_delay_alu instid0(VALU_DEP_1) | instskip(NEXT) | instid1(VALU_DEP_1)
	v_fmac_f32_e32 v3, v4, v3
	v_mul_f32_e32 v4, v5, v3
	s_delay_alu instid0(VALU_DEP_1) | instskip(NEXT) | instid1(VALU_DEP_1)
	v_fma_f32 v6, -v2, v4, v5
	v_fmac_f32_e32 v4, v6, v3
	s_delay_alu instid0(VALU_DEP_1) | instskip(NEXT) | instid1(VALU_DEP_1)
	v_fma_f32 v2, -v2, v4, v5
	v_div_fmas_f32 v2, v2, v3, v4
	s_delay_alu instid0(VALU_DEP_1) | instskip(NEXT) | instid1(VALU_DEP_1)
	v_div_fixup_f32 v3, v2, v0, v1
	v_fmac_f32_e32 v0, v1, v3
	s_delay_alu instid0(VALU_DEP_1) | instskip(NEXT) | instid1(VALU_DEP_1)
	v_div_scale_f32 v1, null, v0, v0, 1.0
	v_rcp_f32_e32 v2, v1
	v_nop
	s_delay_alu instid0(TRANS32_DEP_1) | instskip(NEXT) | instid1(VALU_DEP_1)
	v_fma_f32 v4, -v1, v2, 1.0
	v_fmac_f32_e32 v2, v4, v2
	v_div_scale_f32 v4, vcc_lo, 1.0, v0, 1.0
	s_delay_alu instid0(VALU_DEP_1) | instskip(NEXT) | instid1(VALU_DEP_1)
	v_mul_f32_e32 v5, v4, v2
	v_fma_f32 v6, -v1, v5, v4
	s_delay_alu instid0(VALU_DEP_1) | instskip(NEXT) | instid1(VALU_DEP_1)
	v_fmac_f32_e32 v5, v6, v2
	v_fma_f32 v1, -v1, v5, v4
	s_delay_alu instid0(VALU_DEP_1) | instskip(NEXT) | instid1(VALU_DEP_1)
	v_div_fmas_f32 v1, v1, v2, v5
	v_div_fixup_f32 v2, v1, v0, 1.0
	s_delay_alu instid0(VALU_DEP_1)
	v_mul_f32_e64 v3, v3, -v2
.LBB119_7:
	s_or_b32 exec_lo, exec_lo, s2
	ds_store_b64 v207, v[2:3]
.LBB119_8:
	s_or_b32 exec_lo, exec_lo, s4
	s_wait_storecnt 0x0
	s_wait_loadcnt_dscnt 0x0
	s_barrier_signal -1
	s_barrier_wait -1
	ds_load_b64 v[0:1], v207
	s_wait_dscnt 0x0
	scratch_store_b64 off, v[0:1], off offset:408 ; 8-byte Folded Spill
	s_wait_xcnt 0x0
	s_and_saveexec_b32 s2, s1
	s_cbranch_execz .LBB119_10
; %bb.9:
	scratch_load_b64 v[4:5], off, off offset:408 ; 8-byte Folded Reload
	s_wait_loadcnt 0x0
	v_pk_mul_f32 v[2:3], v[4:5], v[56:57] op_sel:[1,1] op_sel_hi:[0,1]
	s_delay_alu instid0(VALU_DEP_1)
	v_pk_fma_f32 v[0:1], v[4:5], v[56:57], v[2:3] op_sel_hi:[1,0,1] neg_lo:[0,0,1] neg_hi:[0,0,1]
	v_pk_fma_f32 v[2:3], v[4:5], v[56:57], v[2:3] op_sel_hi:[1,0,1]
	ds_load_2addr_b64 v[4:7], v216 offset0:1 offset1:2
	v_dual_mov_b32 v56, v0 :: v_dual_mov_b32 v57, v3
	s_wait_dscnt 0x0
	v_pk_mul_f32 v[8:9], v[4:5], v[2:3] op_sel:[0,1]
	s_delay_alu instid0(VALU_DEP_1) | instskip(SKIP_1) | instid1(VALU_DEP_1)
	v_pk_fma_f32 v[10:11], v[4:5], v[0:1], v[8:9] op_sel:[0,0,1] op_sel_hi:[1,1,0] neg_lo:[0,0,1] neg_hi:[0,0,1]
	v_pk_fma_f32 v[4:5], v[4:5], v[0:1], v[8:9] op_sel:[0,0,1] op_sel_hi:[1,0,0]
	v_mov_b32_e32 v11, v5
	v_pk_mul_f32 v[4:5], v[6:7], v[2:3] op_sel:[0,1]
	s_delay_alu instid0(VALU_DEP_1) | instskip(SKIP_1) | instid1(VALU_DEP_1)
	v_pk_fma_f32 v[8:9], v[6:7], v[0:1], v[4:5] op_sel:[0,0,1] op_sel_hi:[1,1,0] neg_lo:[0,0,1] neg_hi:[0,0,1]
	v_pk_fma_f32 v[4:5], v[6:7], v[0:1], v[4:5] op_sel:[0,0,1] op_sel_hi:[1,0,0]
	v_mov_b32_e32 v9, v5
	ds_load_2addr_b64 v[4:7], v216 offset0:3 offset1:4
	v_pk_add_f32 v[58:59], v[58:59], v[10:11] neg_lo:[0,1] neg_hi:[0,1]
	v_pk_add_f32 v[46:47], v[46:47], v[8:9] neg_lo:[0,1] neg_hi:[0,1]
	s_wait_dscnt 0x0
	v_pk_mul_f32 v[8:9], v[4:5], v[2:3] op_sel:[0,1]
	s_delay_alu instid0(VALU_DEP_1) | instskip(SKIP_2) | instid1(VALU_DEP_2)
	v_pk_fma_f32 v[10:11], v[4:5], v[0:1], v[8:9] op_sel:[0,0,1] op_sel_hi:[1,1,0] neg_lo:[0,0,1] neg_hi:[0,0,1]
	v_pk_fma_f32 v[4:5], v[4:5], v[0:1], v[8:9] op_sel:[0,0,1] op_sel_hi:[1,0,0]
	v_dual_mul_f32 v8, v7, v3 :: v_dual_mov_b32 v4, v7
	v_dual_mov_b32 v11, v5 :: v_dual_mov_b32 v5, v6
	s_delay_alu instid0(VALU_DEP_2) | instskip(SKIP_1) | instid1(VALU_DEP_3)
	v_pk_fma_f32 v[8:9], v[6:7], v[56:57], v[8:9] op_sel_hi:[1,1,0] neg_lo:[0,0,1] neg_hi:[0,0,1]
	v_mul_f32_e32 v6, v7, v0
	v_pk_add_f32 v[44:45], v[44:45], v[10:11] neg_lo:[0,1] neg_hi:[0,1]
	s_delay_alu instid0(VALU_DEP_2) | instskip(NEXT) | instid1(VALU_DEP_1)
	v_pk_fma_f32 v[4:5], v[4:5], v[56:57], v[6:7] op_sel_hi:[1,1,0]
	v_mov_b32_e32 v9, v5
	ds_load_2addr_b64 v[4:7], v216 offset0:5 offset1:6
	v_pk_add_f32 v[26:27], v[26:27], v[8:9] neg_lo:[0,1] neg_hi:[0,1]
	s_wait_dscnt 0x0
	v_pk_mul_f32 v[8:9], v[4:5], v[2:3] op_sel:[0,1]
	s_delay_alu instid0(VALU_DEP_1) | instskip(SKIP_1) | instid1(VALU_DEP_1)
	v_pk_fma_f32 v[10:11], v[4:5], v[0:1], v[8:9] op_sel:[0,0,1] op_sel_hi:[1,1,0] neg_lo:[0,0,1] neg_hi:[0,0,1]
	v_pk_fma_f32 v[4:5], v[4:5], v[0:1], v[8:9] op_sel:[0,0,1] op_sel_hi:[1,0,0]
	v_mov_b32_e32 v11, v5
	v_pk_mul_f32 v[4:5], v[6:7], v[2:3] op_sel:[0,1]
	s_delay_alu instid0(VALU_DEP_1) | instskip(SKIP_1) | instid1(VALU_DEP_1)
	v_pk_fma_f32 v[8:9], v[6:7], v[0:1], v[4:5] op_sel:[0,0,1] op_sel_hi:[1,1,0] neg_lo:[0,0,1] neg_hi:[0,0,1]
	v_pk_fma_f32 v[4:5], v[6:7], v[0:1], v[4:5] op_sel:[0,0,1] op_sel_hi:[1,0,0]
	v_mov_b32_e32 v9, v5
	ds_load_2addr_b64 v[4:7], v216 offset0:7 offset1:8
	v_pk_add_f32 v[22:23], v[22:23], v[10:11] neg_lo:[0,1] neg_hi:[0,1]
	v_pk_add_f32 v[24:25], v[24:25], v[8:9] neg_lo:[0,1] neg_hi:[0,1]
	s_wait_dscnt 0x0
	v_pk_mul_f32 v[8:9], v[4:5], v[2:3] op_sel:[0,1]
	s_delay_alu instid0(VALU_DEP_1) | instskip(SKIP_1) | instid1(VALU_DEP_1)
	v_pk_fma_f32 v[10:11], v[4:5], v[0:1], v[8:9] op_sel:[0,0,1] op_sel_hi:[1,1,0] neg_lo:[0,0,1] neg_hi:[0,0,1]
	v_pk_fma_f32 v[4:5], v[4:5], v[0:1], v[8:9] op_sel:[0,0,1] op_sel_hi:[1,0,0]
	v_mov_b32_e32 v11, v5
	v_pk_mul_f32 v[4:5], v[6:7], v[2:3] op_sel:[0,1]
	s_delay_alu instid0(VALU_DEP_1) | instskip(SKIP_1) | instid1(VALU_DEP_1)
	v_pk_fma_f32 v[8:9], v[6:7], v[0:1], v[4:5] op_sel:[0,0,1] op_sel_hi:[1,1,0] neg_lo:[0,0,1] neg_hi:[0,0,1]
	v_pk_fma_f32 v[4:5], v[6:7], v[0:1], v[4:5] op_sel:[0,0,1] op_sel_hi:[1,0,0]
	v_mov_b32_e32 v9, v5
	ds_load_2addr_b64 v[4:7], v216 offset0:9 offset1:10
	v_pk_add_f32 v[20:21], v[20:21], v[10:11] neg_lo:[0,1] neg_hi:[0,1]
	v_pk_add_f32 v[40:41], v[40:41], v[8:9] neg_lo:[0,1] neg_hi:[0,1]
	s_wait_dscnt 0x0
	v_dual_mul_f32 v8, v5, v3 :: v_dual_mul_f32 v10, v5, v0
	s_delay_alu instid0(VALU_DEP_1) | instskip(NEXT) | instid1(VALU_DEP_2)
	v_pk_fma_f32 v[8:9], v[4:5], v[56:57], v[8:9] op_sel_hi:[1,1,0] neg_lo:[0,0,1] neg_hi:[0,0,1]
	v_pk_fma_f32 v[4:5], v[4:5], v[56:57], v[10:11] op_sel:[1,0,0] op_sel_hi:[0,1,0]
	s_delay_alu instid0(VALU_DEP_1) | instskip(SKIP_1) | instid1(VALU_DEP_2)
	v_mov_b32_e32 v9, v5
	v_pk_mul_f32 v[4:5], v[6:7], v[2:3] op_sel:[0,1]
	v_pk_add_f32 v[36:37], v[36:37], v[8:9] neg_lo:[0,1] neg_hi:[0,1]
	s_delay_alu instid0(VALU_DEP_2) | instskip(SKIP_1) | instid1(VALU_DEP_1)
	v_pk_fma_f32 v[8:9], v[6:7], v[0:1], v[4:5] op_sel:[0,0,1] op_sel_hi:[1,1,0] neg_lo:[0,0,1] neg_hi:[0,0,1]
	v_pk_fma_f32 v[4:5], v[6:7], v[0:1], v[4:5] op_sel:[0,0,1] op_sel_hi:[1,0,0]
	v_mov_b32_e32 v9, v5
	ds_load_2addr_b64 v[4:7], v216 offset0:11 offset1:12
	v_pk_add_f32 v[38:39], v[38:39], v[8:9] neg_lo:[0,1] neg_hi:[0,1]
	s_wait_dscnt 0x0
	v_pk_mul_f32 v[8:9], v[4:5], v[2:3] op_sel:[0,1]
	s_delay_alu instid0(VALU_DEP_1) | instskip(SKIP_1) | instid1(VALU_DEP_1)
	v_pk_fma_f32 v[10:11], v[4:5], v[0:1], v[8:9] op_sel:[0,0,1] op_sel_hi:[1,1,0] neg_lo:[0,0,1] neg_hi:[0,0,1]
	v_pk_fma_f32 v[4:5], v[4:5], v[0:1], v[8:9] op_sel:[0,0,1] op_sel_hi:[1,0,0]
	v_mov_b32_e32 v11, v5
	v_pk_mul_f32 v[4:5], v[6:7], v[2:3] op_sel:[0,1]
	s_delay_alu instid0(VALU_DEP_2) | instskip(NEXT) | instid1(VALU_DEP_2)
	v_pk_add_f32 v[34:35], v[34:35], v[10:11] neg_lo:[0,1] neg_hi:[0,1]
	v_pk_fma_f32 v[8:9], v[6:7], v[0:1], v[4:5] op_sel:[0,0,1] op_sel_hi:[1,1,0] neg_lo:[0,0,1] neg_hi:[0,0,1]
	v_pk_fma_f32 v[4:5], v[6:7], v[0:1], v[4:5] op_sel:[0,0,1] op_sel_hi:[1,0,0]
	s_delay_alu instid0(VALU_DEP_1) | instskip(SKIP_4) | instid1(VALU_DEP_1)
	v_mov_b32_e32 v9, v5
	ds_load_2addr_b64 v[4:7], v216 offset0:13 offset1:14
	v_pk_add_f32 v[66:67], v[66:67], v[8:9] neg_lo:[0,1] neg_hi:[0,1]
	s_wait_dscnt 0x0
	v_pk_mul_f32 v[8:9], v[4:5], v[2:3] op_sel:[0,1]
	v_pk_fma_f32 v[10:11], v[4:5], v[0:1], v[8:9] op_sel:[0,0,1] op_sel_hi:[1,1,0] neg_lo:[0,0,1] neg_hi:[0,0,1]
	v_pk_fma_f32 v[4:5], v[4:5], v[0:1], v[8:9] op_sel:[0,0,1] op_sel_hi:[1,0,0]
	v_dual_mul_f32 v8, v7, v3 :: v_dual_mov_b32 v4, v7
	s_delay_alu instid0(VALU_DEP_2) | instskip(NEXT) | instid1(VALU_DEP_2)
	v_dual_mov_b32 v11, v5 :: v_dual_mov_b32 v5, v6
	v_pk_fma_f32 v[8:9], v[6:7], v[56:57], v[8:9] op_sel_hi:[1,1,0] neg_lo:[0,0,1] neg_hi:[0,0,1]
	v_mul_f32_e32 v6, v7, v0
	s_delay_alu instid0(VALU_DEP_3) | instskip(NEXT) | instid1(VALU_DEP_2)
	v_pk_add_f32 v[62:63], v[62:63], v[10:11] neg_lo:[0,1] neg_hi:[0,1]
	v_pk_fma_f32 v[4:5], v[4:5], v[56:57], v[6:7] op_sel_hi:[1,1,0]
	s_delay_alu instid0(VALU_DEP_1) | instskip(SKIP_4) | instid1(VALU_DEP_1)
	v_mov_b32_e32 v9, v5
	ds_load_2addr_b64 v[4:7], v216 offset0:15 offset1:16
	v_pk_add_f32 v[64:65], v[64:65], v[8:9] neg_lo:[0,1] neg_hi:[0,1]
	s_wait_dscnt 0x0
	v_pk_mul_f32 v[8:9], v[4:5], v[2:3] op_sel:[0,1]
	v_pk_fma_f32 v[10:11], v[4:5], v[0:1], v[8:9] op_sel:[0,0,1] op_sel_hi:[1,1,0] neg_lo:[0,0,1] neg_hi:[0,0,1]
	v_pk_fma_f32 v[4:5], v[4:5], v[0:1], v[8:9] op_sel:[0,0,1] op_sel_hi:[1,0,0]
	s_delay_alu instid0(VALU_DEP_1) | instskip(SKIP_1) | instid1(VALU_DEP_1)
	v_mov_b32_e32 v11, v5
	v_pk_mul_f32 v[4:5], v[6:7], v[2:3] op_sel:[0,1]
	v_pk_fma_f32 v[8:9], v[6:7], v[0:1], v[4:5] op_sel:[0,0,1] op_sel_hi:[1,1,0] neg_lo:[0,0,1] neg_hi:[0,0,1]
	v_pk_fma_f32 v[4:5], v[6:7], v[0:1], v[4:5] op_sel:[0,0,1] op_sel_hi:[1,0,0]
	s_delay_alu instid0(VALU_DEP_1)
	v_mov_b32_e32 v9, v5
	ds_load_2addr_b64 v[4:7], v216 offset0:17 offset1:18
	v_pk_add_f32 v[60:61], v[60:61], v[10:11] neg_lo:[0,1] neg_hi:[0,1]
	v_pk_add_f32 v[82:83], v[82:83], v[8:9] neg_lo:[0,1] neg_hi:[0,1]
	s_wait_dscnt 0x0
	v_pk_mul_f32 v[8:9], v[4:5], v[2:3] op_sel:[0,1]
	s_delay_alu instid0(VALU_DEP_1) | instskip(SKIP_1) | instid1(VALU_DEP_1)
	v_pk_fma_f32 v[10:11], v[4:5], v[0:1], v[8:9] op_sel:[0,0,1] op_sel_hi:[1,1,0] neg_lo:[0,0,1] neg_hi:[0,0,1]
	v_pk_fma_f32 v[4:5], v[4:5], v[0:1], v[8:9] op_sel:[0,0,1] op_sel_hi:[1,0,0]
	v_mov_b32_e32 v11, v5
	v_pk_mul_f32 v[4:5], v[6:7], v[2:3] op_sel:[0,1]
	s_delay_alu instid0(VALU_DEP_1) | instskip(SKIP_1) | instid1(VALU_DEP_1)
	v_pk_fma_f32 v[8:9], v[6:7], v[0:1], v[4:5] op_sel:[0,0,1] op_sel_hi:[1,1,0] neg_lo:[0,0,1] neg_hi:[0,0,1]
	v_pk_fma_f32 v[4:5], v[6:7], v[0:1], v[4:5] op_sel:[0,0,1] op_sel_hi:[1,0,0]
	v_mov_b32_e32 v9, v5
	ds_load_2addr_b64 v[4:7], v216 offset0:19 offset1:20
	v_pk_add_f32 v[78:79], v[78:79], v[10:11] neg_lo:[0,1] neg_hi:[0,1]
	v_pk_add_f32 v[80:81], v[80:81], v[8:9] neg_lo:[0,1] neg_hi:[0,1]
	s_wait_dscnt 0x0
	v_dual_mul_f32 v8, v5, v3 :: v_dual_mul_f32 v10, v5, v0
	s_delay_alu instid0(VALU_DEP_1) | instskip(NEXT) | instid1(VALU_DEP_2)
	v_pk_fma_f32 v[8:9], v[4:5], v[56:57], v[8:9] op_sel_hi:[1,1,0] neg_lo:[0,0,1] neg_hi:[0,0,1]
	v_pk_fma_f32 v[4:5], v[4:5], v[56:57], v[10:11] op_sel:[1,0,0] op_sel_hi:[0,1,0]
	s_delay_alu instid0(VALU_DEP_1) | instskip(SKIP_1) | instid1(VALU_DEP_2)
	v_mov_b32_e32 v9, v5
	v_pk_mul_f32 v[4:5], v[6:7], v[2:3] op_sel:[0,1]
	v_pk_add_f32 v[76:77], v[76:77], v[8:9] neg_lo:[0,1] neg_hi:[0,1]
	s_delay_alu instid0(VALU_DEP_2) | instskip(SKIP_1) | instid1(VALU_DEP_1)
	v_pk_fma_f32 v[8:9], v[6:7], v[0:1], v[4:5] op_sel:[0,0,1] op_sel_hi:[1,1,0] neg_lo:[0,0,1] neg_hi:[0,0,1]
	v_pk_fma_f32 v[4:5], v[6:7], v[0:1], v[4:5] op_sel:[0,0,1] op_sel_hi:[1,0,0]
	v_mov_b32_e32 v9, v5
	ds_load_2addr_b64 v[4:7], v216 offset0:21 offset1:22
	v_pk_add_f32 v[98:99], v[98:99], v[8:9] neg_lo:[0,1] neg_hi:[0,1]
	s_wait_dscnt 0x0
	v_pk_mul_f32 v[8:9], v[4:5], v[2:3] op_sel:[0,1]
	s_delay_alu instid0(VALU_DEP_1) | instskip(SKIP_1) | instid1(VALU_DEP_1)
	v_pk_fma_f32 v[10:11], v[4:5], v[0:1], v[8:9] op_sel:[0,0,1] op_sel_hi:[1,1,0] neg_lo:[0,0,1] neg_hi:[0,0,1]
	v_pk_fma_f32 v[4:5], v[4:5], v[0:1], v[8:9] op_sel:[0,0,1] op_sel_hi:[1,0,0]
	v_mov_b32_e32 v11, v5
	v_pk_mul_f32 v[4:5], v[6:7], v[2:3] op_sel:[0,1]
	s_delay_alu instid0(VALU_DEP_2) | instskip(NEXT) | instid1(VALU_DEP_2)
	v_pk_add_f32 v[94:95], v[94:95], v[10:11] neg_lo:[0,1] neg_hi:[0,1]
	v_pk_fma_f32 v[8:9], v[6:7], v[0:1], v[4:5] op_sel:[0,0,1] op_sel_hi:[1,1,0] neg_lo:[0,0,1] neg_hi:[0,0,1]
	v_pk_fma_f32 v[4:5], v[6:7], v[0:1], v[4:5] op_sel:[0,0,1] op_sel_hi:[1,0,0]
	s_delay_alu instid0(VALU_DEP_1) | instskip(SKIP_4) | instid1(VALU_DEP_1)
	v_mov_b32_e32 v9, v5
	ds_load_2addr_b64 v[4:7], v216 offset0:23 offset1:24
	v_pk_add_f32 v[96:97], v[96:97], v[8:9] neg_lo:[0,1] neg_hi:[0,1]
	s_wait_dscnt 0x0
	v_pk_mul_f32 v[8:9], v[4:5], v[2:3] op_sel:[0,1]
	v_pk_fma_f32 v[10:11], v[4:5], v[0:1], v[8:9] op_sel:[0,0,1] op_sel_hi:[1,1,0] neg_lo:[0,0,1] neg_hi:[0,0,1]
	v_pk_fma_f32 v[4:5], v[4:5], v[0:1], v[8:9] op_sel:[0,0,1] op_sel_hi:[1,0,0]
	v_dual_mul_f32 v8, v7, v3 :: v_dual_mov_b32 v4, v7
	s_delay_alu instid0(VALU_DEP_2) | instskip(NEXT) | instid1(VALU_DEP_2)
	v_dual_mov_b32 v11, v5 :: v_dual_mov_b32 v5, v6
	v_pk_fma_f32 v[8:9], v[6:7], v[56:57], v[8:9] op_sel_hi:[1,1,0] neg_lo:[0,0,1] neg_hi:[0,0,1]
	v_mul_f32_e32 v6, v7, v0
	s_delay_alu instid0(VALU_DEP_3) | instskip(NEXT) | instid1(VALU_DEP_2)
	v_pk_add_f32 v[92:93], v[92:93], v[10:11] neg_lo:[0,1] neg_hi:[0,1]
	v_pk_fma_f32 v[4:5], v[4:5], v[56:57], v[6:7] op_sel_hi:[1,1,0]
	s_delay_alu instid0(VALU_DEP_1) | instskip(SKIP_4) | instid1(VALU_DEP_1)
	v_mov_b32_e32 v9, v5
	ds_load_2addr_b64 v[4:7], v216 offset0:25 offset1:26
	v_pk_add_f32 v[114:115], v[114:115], v[8:9] neg_lo:[0,1] neg_hi:[0,1]
	s_wait_dscnt 0x0
	v_pk_mul_f32 v[8:9], v[4:5], v[2:3] op_sel:[0,1]
	v_pk_fma_f32 v[10:11], v[4:5], v[0:1], v[8:9] op_sel:[0,0,1] op_sel_hi:[1,1,0] neg_lo:[0,0,1] neg_hi:[0,0,1]
	v_pk_fma_f32 v[4:5], v[4:5], v[0:1], v[8:9] op_sel:[0,0,1] op_sel_hi:[1,0,0]
	s_delay_alu instid0(VALU_DEP_1) | instskip(SKIP_1) | instid1(VALU_DEP_1)
	v_mov_b32_e32 v11, v5
	v_pk_mul_f32 v[4:5], v[6:7], v[2:3] op_sel:[0,1]
	v_pk_fma_f32 v[8:9], v[6:7], v[0:1], v[4:5] op_sel:[0,0,1] op_sel_hi:[1,1,0] neg_lo:[0,0,1] neg_hi:[0,0,1]
	v_pk_fma_f32 v[4:5], v[6:7], v[0:1], v[4:5] op_sel:[0,0,1] op_sel_hi:[1,0,0]
	s_delay_alu instid0(VALU_DEP_1)
	v_mov_b32_e32 v9, v5
	ds_load_2addr_b64 v[4:7], v216 offset0:27 offset1:28
	v_pk_add_f32 v[110:111], v[110:111], v[10:11] neg_lo:[0,1] neg_hi:[0,1]
	v_pk_add_f32 v[112:113], v[112:113], v[8:9] neg_lo:[0,1] neg_hi:[0,1]
	s_wait_dscnt 0x0
	v_pk_mul_f32 v[8:9], v[4:5], v[2:3] op_sel:[0,1]
	s_delay_alu instid0(VALU_DEP_1) | instskip(SKIP_1) | instid1(VALU_DEP_1)
	v_pk_fma_f32 v[10:11], v[4:5], v[0:1], v[8:9] op_sel:[0,0,1] op_sel_hi:[1,1,0] neg_lo:[0,0,1] neg_hi:[0,0,1]
	v_pk_fma_f32 v[4:5], v[4:5], v[0:1], v[8:9] op_sel:[0,0,1] op_sel_hi:[1,0,0]
	v_mov_b32_e32 v11, v5
	v_pk_mul_f32 v[4:5], v[6:7], v[2:3] op_sel:[0,1]
	s_delay_alu instid0(VALU_DEP_1) | instskip(SKIP_1) | instid1(VALU_DEP_1)
	v_pk_fma_f32 v[8:9], v[6:7], v[0:1], v[4:5] op_sel:[0,0,1] op_sel_hi:[1,1,0] neg_lo:[0,0,1] neg_hi:[0,0,1]
	v_pk_fma_f32 v[4:5], v[6:7], v[0:1], v[4:5] op_sel:[0,0,1] op_sel_hi:[1,0,0]
	v_mov_b32_e32 v9, v5
	ds_load_2addr_b64 v[4:7], v216 offset0:29 offset1:30
	v_pk_add_f32 v[108:109], v[108:109], v[10:11] neg_lo:[0,1] neg_hi:[0,1]
	v_pk_add_f32 v[130:131], v[130:131], v[8:9] neg_lo:[0,1] neg_hi:[0,1]
	s_wait_dscnt 0x0
	v_dual_mul_f32 v8, v5, v3 :: v_dual_mul_f32 v10, v5, v0
	s_delay_alu instid0(VALU_DEP_1) | instskip(NEXT) | instid1(VALU_DEP_2)
	v_pk_fma_f32 v[8:9], v[4:5], v[56:57], v[8:9] op_sel_hi:[1,1,0] neg_lo:[0,0,1] neg_hi:[0,0,1]
	v_pk_fma_f32 v[4:5], v[4:5], v[56:57], v[10:11] op_sel:[1,0,0] op_sel_hi:[0,1,0]
	s_delay_alu instid0(VALU_DEP_1) | instskip(SKIP_1) | instid1(VALU_DEP_2)
	v_mov_b32_e32 v9, v5
	v_pk_mul_f32 v[4:5], v[6:7], v[2:3] op_sel:[0,1]
	v_pk_add_f32 v[126:127], v[126:127], v[8:9] neg_lo:[0,1] neg_hi:[0,1]
	s_delay_alu instid0(VALU_DEP_2) | instskip(SKIP_1) | instid1(VALU_DEP_1)
	v_pk_fma_f32 v[8:9], v[6:7], v[0:1], v[4:5] op_sel:[0,0,1] op_sel_hi:[1,1,0] neg_lo:[0,0,1] neg_hi:[0,0,1]
	v_pk_fma_f32 v[4:5], v[6:7], v[0:1], v[4:5] op_sel:[0,0,1] op_sel_hi:[1,0,0]
	v_mov_b32_e32 v9, v5
	ds_load_2addr_b64 v[4:7], v216 offset0:31 offset1:32
	v_pk_add_f32 v[128:129], v[128:129], v[8:9] neg_lo:[0,1] neg_hi:[0,1]
	s_wait_dscnt 0x0
	v_pk_mul_f32 v[8:9], v[4:5], v[2:3] op_sel:[0,1]
	s_delay_alu instid0(VALU_DEP_1) | instskip(SKIP_1) | instid1(VALU_DEP_1)
	v_pk_fma_f32 v[10:11], v[4:5], v[0:1], v[8:9] op_sel:[0,0,1] op_sel_hi:[1,1,0] neg_lo:[0,0,1] neg_hi:[0,0,1]
	v_pk_fma_f32 v[4:5], v[4:5], v[0:1], v[8:9] op_sel:[0,0,1] op_sel_hi:[1,0,0]
	v_mov_b32_e32 v11, v5
	v_pk_mul_f32 v[4:5], v[6:7], v[2:3] op_sel:[0,1]
	s_delay_alu instid0(VALU_DEP_2) | instskip(NEXT) | instid1(VALU_DEP_2)
	v_pk_add_f32 v[124:125], v[124:125], v[10:11] neg_lo:[0,1] neg_hi:[0,1]
	v_pk_fma_f32 v[8:9], v[6:7], v[0:1], v[4:5] op_sel:[0,0,1] op_sel_hi:[1,1,0] neg_lo:[0,0,1] neg_hi:[0,0,1]
	v_pk_fma_f32 v[4:5], v[6:7], v[0:1], v[4:5] op_sel:[0,0,1] op_sel_hi:[1,0,0]
	s_delay_alu instid0(VALU_DEP_1) | instskip(SKIP_4) | instid1(VALU_DEP_1)
	v_mov_b32_e32 v9, v5
	ds_load_2addr_b64 v[4:7], v216 offset0:33 offset1:34
	v_pk_add_f32 v[146:147], v[146:147], v[8:9] neg_lo:[0,1] neg_hi:[0,1]
	s_wait_dscnt 0x0
	v_pk_mul_f32 v[8:9], v[4:5], v[2:3] op_sel:[0,1]
	v_pk_fma_f32 v[10:11], v[4:5], v[0:1], v[8:9] op_sel:[0,0,1] op_sel_hi:[1,1,0] neg_lo:[0,0,1] neg_hi:[0,0,1]
	v_pk_fma_f32 v[4:5], v[4:5], v[0:1], v[8:9] op_sel:[0,0,1] op_sel_hi:[1,0,0]
	v_dual_mul_f32 v8, v7, v3 :: v_dual_mov_b32 v4, v7
	s_delay_alu instid0(VALU_DEP_2) | instskip(NEXT) | instid1(VALU_DEP_2)
	v_dual_mov_b32 v11, v5 :: v_dual_mov_b32 v5, v6
	v_pk_fma_f32 v[8:9], v[6:7], v[56:57], v[8:9] op_sel_hi:[1,1,0] neg_lo:[0,0,1] neg_hi:[0,0,1]
	v_mul_f32_e32 v6, v7, v0
	s_delay_alu instid0(VALU_DEP_3) | instskip(NEXT) | instid1(VALU_DEP_2)
	v_pk_add_f32 v[142:143], v[142:143], v[10:11] neg_lo:[0,1] neg_hi:[0,1]
	v_pk_fma_f32 v[4:5], v[4:5], v[56:57], v[6:7] op_sel_hi:[1,1,0]
	s_delay_alu instid0(VALU_DEP_1) | instskip(SKIP_4) | instid1(VALU_DEP_1)
	v_mov_b32_e32 v9, v5
	ds_load_2addr_b64 v[4:7], v216 offset0:35 offset1:36
	v_pk_add_f32 v[144:145], v[144:145], v[8:9] neg_lo:[0,1] neg_hi:[0,1]
	s_wait_dscnt 0x0
	v_pk_mul_f32 v[8:9], v[4:5], v[2:3] op_sel:[0,1]
	v_pk_fma_f32 v[10:11], v[4:5], v[0:1], v[8:9] op_sel:[0,0,1] op_sel_hi:[1,1,0] neg_lo:[0,0,1] neg_hi:[0,0,1]
	v_pk_fma_f32 v[4:5], v[4:5], v[0:1], v[8:9] op_sel:[0,0,1] op_sel_hi:[1,0,0]
	s_delay_alu instid0(VALU_DEP_1) | instskip(SKIP_1) | instid1(VALU_DEP_1)
	v_mov_b32_e32 v11, v5
	v_pk_mul_f32 v[4:5], v[6:7], v[2:3] op_sel:[0,1]
	v_pk_fma_f32 v[8:9], v[6:7], v[0:1], v[4:5] op_sel:[0,0,1] op_sel_hi:[1,1,0] neg_lo:[0,0,1] neg_hi:[0,0,1]
	v_pk_fma_f32 v[4:5], v[6:7], v[0:1], v[4:5] op_sel:[0,0,1] op_sel_hi:[1,0,0]
	s_delay_alu instid0(VALU_DEP_1)
	v_mov_b32_e32 v9, v5
	ds_load_2addr_b64 v[4:7], v216 offset0:37 offset1:38
	v_pk_add_f32 v[140:141], v[140:141], v[10:11] neg_lo:[0,1] neg_hi:[0,1]
	v_pk_add_f32 v[162:163], v[162:163], v[8:9] neg_lo:[0,1] neg_hi:[0,1]
	s_wait_dscnt 0x0
	v_pk_mul_f32 v[8:9], v[4:5], v[2:3] op_sel:[0,1]
	s_delay_alu instid0(VALU_DEP_1) | instskip(SKIP_1) | instid1(VALU_DEP_1)
	v_pk_fma_f32 v[10:11], v[4:5], v[0:1], v[8:9] op_sel:[0,0,1] op_sel_hi:[1,1,0] neg_lo:[0,0,1] neg_hi:[0,0,1]
	v_pk_fma_f32 v[4:5], v[4:5], v[0:1], v[8:9] op_sel:[0,0,1] op_sel_hi:[1,0,0]
	v_mov_b32_e32 v11, v5
	v_pk_mul_f32 v[4:5], v[6:7], v[2:3] op_sel:[0,1]
	s_delay_alu instid0(VALU_DEP_1) | instskip(SKIP_1) | instid1(VALU_DEP_1)
	v_pk_fma_f32 v[8:9], v[6:7], v[0:1], v[4:5] op_sel:[0,0,1] op_sel_hi:[1,1,0] neg_lo:[0,0,1] neg_hi:[0,0,1]
	v_pk_fma_f32 v[4:5], v[6:7], v[0:1], v[4:5] op_sel:[0,0,1] op_sel_hi:[1,0,0]
	v_mov_b32_e32 v9, v5
	ds_load_2addr_b64 v[4:7], v216 offset0:39 offset1:40
	v_pk_add_f32 v[158:159], v[158:159], v[10:11] neg_lo:[0,1] neg_hi:[0,1]
	v_pk_add_f32 v[160:161], v[160:161], v[8:9] neg_lo:[0,1] neg_hi:[0,1]
	s_wait_dscnt 0x0
	v_dual_mul_f32 v8, v5, v3 :: v_dual_mul_f32 v10, v5, v0
	s_delay_alu instid0(VALU_DEP_1) | instskip(NEXT) | instid1(VALU_DEP_2)
	v_pk_fma_f32 v[8:9], v[4:5], v[56:57], v[8:9] op_sel_hi:[1,1,0] neg_lo:[0,0,1] neg_hi:[0,0,1]
	v_pk_fma_f32 v[4:5], v[4:5], v[56:57], v[10:11] op_sel:[1,0,0] op_sel_hi:[0,1,0]
	s_delay_alu instid0(VALU_DEP_1) | instskip(SKIP_1) | instid1(VALU_DEP_2)
	v_mov_b32_e32 v9, v5
	v_pk_mul_f32 v[4:5], v[6:7], v[2:3] op_sel:[0,1]
	v_pk_add_f32 v[156:157], v[156:157], v[8:9] neg_lo:[0,1] neg_hi:[0,1]
	s_delay_alu instid0(VALU_DEP_2) | instskip(SKIP_1) | instid1(VALU_DEP_1)
	v_pk_fma_f32 v[8:9], v[6:7], v[0:1], v[4:5] op_sel:[0,0,1] op_sel_hi:[1,1,0] neg_lo:[0,0,1] neg_hi:[0,0,1]
	v_pk_fma_f32 v[4:5], v[6:7], v[0:1], v[4:5] op_sel:[0,0,1] op_sel_hi:[1,0,0]
	v_mov_b32_e32 v9, v5
	ds_load_2addr_b64 v[4:7], v216 offset0:41 offset1:42
	v_pk_add_f32 v[178:179], v[178:179], v[8:9] neg_lo:[0,1] neg_hi:[0,1]
	s_wait_dscnt 0x0
	v_pk_mul_f32 v[8:9], v[4:5], v[2:3] op_sel:[0,1]
	s_delay_alu instid0(VALU_DEP_1) | instskip(SKIP_1) | instid1(VALU_DEP_1)
	v_pk_fma_f32 v[10:11], v[4:5], v[0:1], v[8:9] op_sel:[0,0,1] op_sel_hi:[1,1,0] neg_lo:[0,0,1] neg_hi:[0,0,1]
	v_pk_fma_f32 v[4:5], v[4:5], v[0:1], v[8:9] op_sel:[0,0,1] op_sel_hi:[1,0,0]
	v_mov_b32_e32 v11, v5
	v_pk_mul_f32 v[4:5], v[6:7], v[2:3] op_sel:[0,1]
	s_delay_alu instid0(VALU_DEP_2) | instskip(NEXT) | instid1(VALU_DEP_2)
	v_pk_add_f32 v[174:175], v[174:175], v[10:11] neg_lo:[0,1] neg_hi:[0,1]
	v_pk_fma_f32 v[8:9], v[6:7], v[0:1], v[4:5] op_sel:[0,0,1] op_sel_hi:[1,1,0] neg_lo:[0,0,1] neg_hi:[0,0,1]
	v_pk_fma_f32 v[4:5], v[6:7], v[0:1], v[4:5] op_sel:[0,0,1] op_sel_hi:[1,0,0]
	s_delay_alu instid0(VALU_DEP_1) | instskip(SKIP_4) | instid1(VALU_DEP_1)
	v_mov_b32_e32 v9, v5
	ds_load_2addr_b64 v[4:7], v216 offset0:43 offset1:44
	v_pk_add_f32 v[176:177], v[176:177], v[8:9] neg_lo:[0,1] neg_hi:[0,1]
	s_wait_dscnt 0x0
	v_pk_mul_f32 v[8:9], v[4:5], v[2:3] op_sel:[0,1]
	v_pk_fma_f32 v[10:11], v[4:5], v[0:1], v[8:9] op_sel:[0,0,1] op_sel_hi:[1,1,0] neg_lo:[0,0,1] neg_hi:[0,0,1]
	v_pk_fma_f32 v[4:5], v[4:5], v[0:1], v[8:9] op_sel:[0,0,1] op_sel_hi:[1,0,0]
	v_dual_mul_f32 v8, v7, v3 :: v_dual_mov_b32 v4, v7
	s_delay_alu instid0(VALU_DEP_2) | instskip(NEXT) | instid1(VALU_DEP_2)
	v_dual_mov_b32 v11, v5 :: v_dual_mov_b32 v5, v6
	v_pk_fma_f32 v[8:9], v[6:7], v[56:57], v[8:9] op_sel_hi:[1,1,0] neg_lo:[0,0,1] neg_hi:[0,0,1]
	v_mul_f32_e32 v6, v7, v0
	s_delay_alu instid0(VALU_DEP_3) | instskip(NEXT) | instid1(VALU_DEP_2)
	v_pk_add_f32 v[172:173], v[172:173], v[10:11] neg_lo:[0,1] neg_hi:[0,1]
	v_pk_fma_f32 v[4:5], v[4:5], v[56:57], v[6:7] op_sel_hi:[1,1,0]
	s_delay_alu instid0(VALU_DEP_1) | instskip(SKIP_4) | instid1(VALU_DEP_1)
	v_mov_b32_e32 v9, v5
	ds_load_2addr_b64 v[4:7], v216 offset0:45 offset1:46
	v_pk_add_f32 v[194:195], v[194:195], v[8:9] neg_lo:[0,1] neg_hi:[0,1]
	s_wait_dscnt 0x0
	v_pk_mul_f32 v[8:9], v[4:5], v[2:3] op_sel:[0,1]
	v_pk_fma_f32 v[10:11], v[4:5], v[0:1], v[8:9] op_sel:[0,0,1] op_sel_hi:[1,1,0] neg_lo:[0,0,1] neg_hi:[0,0,1]
	v_pk_fma_f32 v[4:5], v[4:5], v[0:1], v[8:9] op_sel:[0,0,1] op_sel_hi:[1,0,0]
	s_delay_alu instid0(VALU_DEP_1) | instskip(SKIP_1) | instid1(VALU_DEP_1)
	v_mov_b32_e32 v11, v5
	v_pk_mul_f32 v[4:5], v[6:7], v[2:3] op_sel:[0,1]
	v_pk_fma_f32 v[8:9], v[6:7], v[0:1], v[4:5] op_sel:[0,0,1] op_sel_hi:[1,1,0] neg_lo:[0,0,1] neg_hi:[0,0,1]
	v_pk_fma_f32 v[4:5], v[6:7], v[0:1], v[4:5] op_sel:[0,0,1] op_sel_hi:[1,0,0]
	s_delay_alu instid0(VALU_DEP_1)
	v_mov_b32_e32 v9, v5
	ds_load_2addr_b64 v[4:7], v216 offset0:47 offset1:48
	v_pk_add_f32 v[190:191], v[190:191], v[10:11] neg_lo:[0,1] neg_hi:[0,1]
	v_pk_add_f32 v[192:193], v[192:193], v[8:9] neg_lo:[0,1] neg_hi:[0,1]
	s_wait_dscnt 0x0
	v_pk_mul_f32 v[8:9], v[4:5], v[2:3] op_sel:[0,1]
	s_delay_alu instid0(VALU_DEP_1) | instskip(SKIP_1) | instid1(VALU_DEP_1)
	v_pk_fma_f32 v[10:11], v[4:5], v[0:1], v[8:9] op_sel:[0,0,1] op_sel_hi:[1,1,0] neg_lo:[0,0,1] neg_hi:[0,0,1]
	v_pk_fma_f32 v[4:5], v[4:5], v[0:1], v[8:9] op_sel:[0,0,1] op_sel_hi:[1,0,0]
	v_mov_b32_e32 v11, v5
	v_pk_mul_f32 v[4:5], v[6:7], v[2:3] op_sel:[0,1]
	s_delay_alu instid0(VALU_DEP_1) | instskip(SKIP_1) | instid1(VALU_DEP_1)
	v_pk_fma_f32 v[8:9], v[6:7], v[0:1], v[4:5] op_sel:[0,0,1] op_sel_hi:[1,1,0] neg_lo:[0,0,1] neg_hi:[0,0,1]
	v_pk_fma_f32 v[4:5], v[6:7], v[0:1], v[4:5] op_sel:[0,0,1] op_sel_hi:[1,0,0]
	v_mov_b32_e32 v9, v5
	ds_load_2addr_b64 v[4:7], v216 offset0:49 offset1:50
	v_pk_add_f32 v[188:189], v[188:189], v[10:11] neg_lo:[0,1] neg_hi:[0,1]
	v_pk_add_f32 v[214:215], v[214:215], v[8:9] neg_lo:[0,1] neg_hi:[0,1]
	s_wait_dscnt 0x0
	v_dual_mul_f32 v8, v5, v3 :: v_dual_mul_f32 v10, v5, v0
	s_delay_alu instid0(VALU_DEP_1) | instskip(NEXT) | instid1(VALU_DEP_2)
	v_pk_fma_f32 v[8:9], v[4:5], v[56:57], v[8:9] op_sel_hi:[1,1,0] neg_lo:[0,0,1] neg_hi:[0,0,1]
	v_pk_fma_f32 v[4:5], v[4:5], v[56:57], v[10:11] op_sel:[1,0,0] op_sel_hi:[0,1,0]
	s_delay_alu instid0(VALU_DEP_1) | instskip(SKIP_1) | instid1(VALU_DEP_2)
	v_mov_b32_e32 v9, v5
	v_pk_mul_f32 v[4:5], v[6:7], v[2:3] op_sel:[0,1]
	v_pk_add_f32 v[210:211], v[210:211], v[8:9] neg_lo:[0,1] neg_hi:[0,1]
	s_delay_alu instid0(VALU_DEP_2) | instskip(SKIP_1) | instid1(VALU_DEP_1)
	v_pk_fma_f32 v[8:9], v[6:7], v[0:1], v[4:5] op_sel:[0,0,1] op_sel_hi:[1,1,0] neg_lo:[0,0,1] neg_hi:[0,0,1]
	v_pk_fma_f32 v[4:5], v[6:7], v[0:1], v[4:5] op_sel:[0,0,1] op_sel_hi:[1,0,0]
	v_mov_b32_e32 v9, v5
	ds_load_2addr_b64 v[4:7], v216 offset0:51 offset1:52
	v_pk_add_f32 v[212:213], v[212:213], v[8:9] neg_lo:[0,1] neg_hi:[0,1]
	s_wait_dscnt 0x0
	v_pk_mul_f32 v[8:9], v[4:5], v[2:3] op_sel:[0,1]
	s_delay_alu instid0(VALU_DEP_1) | instskip(SKIP_1) | instid1(VALU_DEP_1)
	v_pk_fma_f32 v[10:11], v[4:5], v[0:1], v[8:9] op_sel:[0,0,1] op_sel_hi:[1,1,0] neg_lo:[0,0,1] neg_hi:[0,0,1]
	v_pk_fma_f32 v[4:5], v[4:5], v[0:1], v[8:9] op_sel:[0,0,1] op_sel_hi:[1,0,0]
	v_mov_b32_e32 v11, v5
	v_pk_mul_f32 v[4:5], v[6:7], v[2:3] op_sel:[0,1]
	s_delay_alu instid0(VALU_DEP_2) | instskip(NEXT) | instid1(VALU_DEP_2)
	v_pk_add_f32 v[208:209], v[208:209], v[10:11] neg_lo:[0,1] neg_hi:[0,1]
	v_pk_fma_f32 v[8:9], v[6:7], v[0:1], v[4:5] op_sel:[0,0,1] op_sel_hi:[1,1,0] neg_lo:[0,0,1] neg_hi:[0,0,1]
	v_pk_fma_f32 v[4:5], v[6:7], v[0:1], v[4:5] op_sel:[0,0,1] op_sel_hi:[1,0,0]
	s_delay_alu instid0(VALU_DEP_1) | instskip(SKIP_4) | instid1(VALU_DEP_1)
	v_mov_b32_e32 v9, v5
	ds_load_2addr_b64 v[4:7], v216 offset0:53 offset1:54
	v_pk_add_f32 v[236:237], v[236:237], v[8:9] neg_lo:[0,1] neg_hi:[0,1]
	s_wait_dscnt 0x0
	v_pk_mul_f32 v[8:9], v[4:5], v[2:3] op_sel:[0,1]
	v_pk_fma_f32 v[10:11], v[4:5], v[0:1], v[8:9] op_sel:[0,0,1] op_sel_hi:[1,1,0] neg_lo:[0,0,1] neg_hi:[0,0,1]
	v_pk_fma_f32 v[4:5], v[4:5], v[0:1], v[8:9] op_sel:[0,0,1] op_sel_hi:[1,0,0]
	v_dual_mul_f32 v8, v7, v3 :: v_dual_mov_b32 v4, v7
	s_delay_alu instid0(VALU_DEP_2) | instskip(NEXT) | instid1(VALU_DEP_2)
	v_dual_mov_b32 v11, v5 :: v_dual_mov_b32 v5, v6
	v_pk_fma_f32 v[8:9], v[6:7], v[56:57], v[8:9] op_sel_hi:[1,1,0] neg_lo:[0,0,1] neg_hi:[0,0,1]
	v_mul_f32_e32 v6, v7, v0
	s_delay_alu instid0(VALU_DEP_3) | instskip(NEXT) | instid1(VALU_DEP_2)
	v_pk_add_f32 v[230:231], v[230:231], v[10:11] neg_lo:[0,1] neg_hi:[0,1]
	v_pk_fma_f32 v[4:5], v[4:5], v[56:57], v[6:7] op_sel_hi:[1,1,0]
	s_delay_alu instid0(VALU_DEP_1) | instskip(SKIP_4) | instid1(VALU_DEP_1)
	v_mov_b32_e32 v9, v5
	ds_load_2addr_b64 v[4:7], v216 offset0:55 offset1:56
	v_pk_add_f32 v[234:235], v[234:235], v[8:9] neg_lo:[0,1] neg_hi:[0,1]
	s_wait_dscnt 0x0
	v_pk_mul_f32 v[8:9], v[4:5], v[2:3] op_sel:[0,1]
	v_pk_fma_f32 v[10:11], v[4:5], v[0:1], v[8:9] op_sel:[0,0,1] op_sel_hi:[1,1,0] neg_lo:[0,0,1] neg_hi:[0,0,1]
	v_pk_fma_f32 v[4:5], v[4:5], v[0:1], v[8:9] op_sel:[0,0,1] op_sel_hi:[1,0,0]
	s_delay_alu instid0(VALU_DEP_1) | instskip(SKIP_1) | instid1(VALU_DEP_1)
	v_mov_b32_e32 v11, v5
	v_pk_mul_f32 v[4:5], v[6:7], v[2:3] op_sel:[0,1]
	v_pk_fma_f32 v[8:9], v[6:7], v[0:1], v[4:5] op_sel:[0,0,1] op_sel_hi:[1,1,0] neg_lo:[0,0,1] neg_hi:[0,0,1]
	v_pk_fma_f32 v[4:5], v[6:7], v[0:1], v[4:5] op_sel:[0,0,1] op_sel_hi:[1,0,0]
	s_delay_alu instid0(VALU_DEP_1)
	v_mov_b32_e32 v9, v5
	ds_load_2addr_b64 v[4:7], v216 offset0:57 offset1:58
	v_pk_add_f32 v[228:229], v[228:229], v[10:11] neg_lo:[0,1] neg_hi:[0,1]
	v_pk_add_f32 v[232:233], v[232:233], v[8:9] neg_lo:[0,1] neg_hi:[0,1]
	s_wait_dscnt 0x0
	v_pk_mul_f32 v[8:9], v[4:5], v[2:3] op_sel:[0,1]
	s_delay_alu instid0(VALU_DEP_1) | instskip(SKIP_1) | instid1(VALU_DEP_1)
	v_pk_fma_f32 v[10:11], v[4:5], v[0:1], v[8:9] op_sel:[0,0,1] op_sel_hi:[1,1,0] neg_lo:[0,0,1] neg_hi:[0,0,1]
	v_pk_fma_f32 v[4:5], v[4:5], v[0:1], v[8:9] op_sel:[0,0,1] op_sel_hi:[1,0,0]
	v_mov_b32_e32 v11, v5
	v_pk_mul_f32 v[4:5], v[6:7], v[2:3] op_sel:[0,1]
	s_delay_alu instid0(VALU_DEP_1) | instskip(SKIP_1) | instid1(VALU_DEP_1)
	v_pk_fma_f32 v[8:9], v[6:7], v[0:1], v[4:5] op_sel:[0,0,1] op_sel_hi:[1,1,0] neg_lo:[0,0,1] neg_hi:[0,0,1]
	v_pk_fma_f32 v[4:5], v[6:7], v[0:1], v[4:5] op_sel:[0,0,1] op_sel_hi:[1,0,0]
	v_mov_b32_e32 v9, v5
	ds_load_b64 v[4:5], v216 offset:472
	v_pk_add_f32 v[226:227], v[226:227], v[10:11] neg_lo:[0,1] neg_hi:[0,1]
	v_pk_add_f32 v[238:239], v[238:239], v[8:9] neg_lo:[0,1] neg_hi:[0,1]
	s_wait_dscnt 0x0
	v_pk_mul_f32 v[2:3], v[4:5], v[2:3] op_sel:[0,1]
	s_delay_alu instid0(VALU_DEP_1) | instskip(SKIP_1) | instid1(VALU_DEP_1)
	v_pk_fma_f32 v[6:7], v[4:5], v[0:1], v[2:3] op_sel:[0,0,1] op_sel_hi:[1,1,0] neg_lo:[0,0,1] neg_hi:[0,0,1]
	v_pk_fma_f32 v[0:1], v[4:5], v[0:1], v[2:3] op_sel:[0,0,1] op_sel_hi:[1,0,0]
	v_mov_b32_e32 v7, v1
	s_delay_alu instid0(VALU_DEP_1)
	v_pk_add_f32 v[240:241], v[240:241], v[6:7] neg_lo:[0,1] neg_hi:[0,1]
.LBB119_10:
	s_wait_xcnt 0x0
	s_or_b32 exec_lo, exec_lo, s2
	s_delay_alu instid0(SALU_CYCLE_1)
	s_mov_b32 s2, exec_lo
	s_wait_storecnt 0x0
	s_barrier_signal -1
	s_barrier_wait -1
	v_cmpx_eq_u32_e32 1, v206
	s_cbranch_execz .LBB119_17
; %bb.11:
	v_dual_mov_b32 v0, v46 :: v_dual_mov_b32 v1, v47
	v_dual_mov_b32 v2, v44 :: v_dual_mov_b32 v3, v45
	ds_store_b64 v207, v[58:59]
	ds_store_2addr_b64 v216, v[0:1], v[2:3] offset0:2 offset1:3
	v_dual_mov_b32 v0, v26 :: v_dual_mov_b32 v1, v27
	v_dual_mov_b32 v2, v22 :: v_dual_mov_b32 v3, v23
	ds_store_2addr_b64 v216, v[0:1], v[2:3] offset0:4 offset1:5
	v_dual_mov_b32 v0, v24 :: v_dual_mov_b32 v1, v25
	v_dual_mov_b32 v2, v20 :: v_dual_mov_b32 v3, v21
	;; [unrolled: 3-line block ×27, first 2 shown]
	ds_store_2addr_b64 v216, v[0:1], v[2:3] offset0:56 offset1:57
	v_dual_mov_b32 v0, v238 :: v_dual_mov_b32 v1, v239
	ds_store_2addr_b64 v216, v[0:1], v[240:241] offset0:58 offset1:59
	ds_load_b64 v[0:1], v207
	s_wait_dscnt 0x0
	v_cmp_neq_f32_e32 vcc_lo, 0, v0
	v_cmp_neq_f32_e64 s1, 0, v1
	s_or_b32 s1, vcc_lo, s1
	s_delay_alu instid0(SALU_CYCLE_1)
	s_and_b32 exec_lo, exec_lo, s1
	s_cbranch_execz .LBB119_17
; %bb.12:
	v_cmp_ngt_f32_e64 s1, |v0|, |v1|
                                        ; implicit-def: $vgpr2_vgpr3
	s_and_saveexec_b32 s4, s1
	s_delay_alu instid0(SALU_CYCLE_1)
	s_xor_b32 s1, exec_lo, s4
	s_cbranch_execz .LBB119_14
; %bb.13:
	v_div_scale_f32 v2, null, v1, v1, v0
	v_div_scale_f32 v5, vcc_lo, v0, v1, v0
	s_delay_alu instid0(VALU_DEP_2) | instskip(SKIP_1) | instid1(TRANS32_DEP_1)
	v_rcp_f32_e32 v3, v2
	v_nop
	v_fma_f32 v4, -v2, v3, 1.0
	s_delay_alu instid0(VALU_DEP_1) | instskip(NEXT) | instid1(VALU_DEP_1)
	v_fmac_f32_e32 v3, v4, v3
	v_mul_f32_e32 v4, v5, v3
	s_delay_alu instid0(VALU_DEP_1) | instskip(NEXT) | instid1(VALU_DEP_1)
	v_fma_f32 v6, -v2, v4, v5
	v_fmac_f32_e32 v4, v6, v3
	s_delay_alu instid0(VALU_DEP_1) | instskip(NEXT) | instid1(VALU_DEP_1)
	v_fma_f32 v2, -v2, v4, v5
	v_div_fmas_f32 v2, v2, v3, v4
	s_delay_alu instid0(VALU_DEP_1) | instskip(NEXT) | instid1(VALU_DEP_1)
	v_div_fixup_f32 v2, v2, v1, v0
	v_fmac_f32_e32 v1, v0, v2
	s_delay_alu instid0(VALU_DEP_1) | instskip(SKIP_1) | instid1(VALU_DEP_2)
	v_div_scale_f32 v0, null, v1, v1, 1.0
	v_div_scale_f32 v5, vcc_lo, 1.0, v1, 1.0
	v_rcp_f32_e32 v3, v0
	v_nop
	s_delay_alu instid0(TRANS32_DEP_1) | instskip(NEXT) | instid1(VALU_DEP_1)
	v_fma_f32 v4, -v0, v3, 1.0
	v_fmac_f32_e32 v3, v4, v3
	s_delay_alu instid0(VALU_DEP_1) | instskip(NEXT) | instid1(VALU_DEP_1)
	v_mul_f32_e32 v4, v5, v3
	v_fma_f32 v6, -v0, v4, v5
	s_delay_alu instid0(VALU_DEP_1) | instskip(NEXT) | instid1(VALU_DEP_1)
	v_fmac_f32_e32 v4, v6, v3
	v_fma_f32 v0, -v0, v4, v5
	s_delay_alu instid0(VALU_DEP_1) | instskip(NEXT) | instid1(VALU_DEP_1)
	v_div_fmas_f32 v0, v0, v3, v4
	v_div_fixup_f32 v0, v0, v1, 1.0
	s_delay_alu instid0(VALU_DEP_1)
	v_mul_f32_e32 v2, v2, v0
	v_xor_b32_e32 v3, 0x80000000, v0
                                        ; implicit-def: $vgpr0_vgpr1
.LBB119_14:
	s_and_not1_saveexec_b32 s1, s1
	s_cbranch_execz .LBB119_16
; %bb.15:
	v_div_scale_f32 v2, null, v0, v0, v1
	v_div_scale_f32 v5, vcc_lo, v1, v0, v1
	s_delay_alu instid0(VALU_DEP_2) | instskip(SKIP_1) | instid1(TRANS32_DEP_1)
	v_rcp_f32_e32 v3, v2
	v_nop
	v_fma_f32 v4, -v2, v3, 1.0
	s_delay_alu instid0(VALU_DEP_1) | instskip(NEXT) | instid1(VALU_DEP_1)
	v_fmac_f32_e32 v3, v4, v3
	v_mul_f32_e32 v4, v5, v3
	s_delay_alu instid0(VALU_DEP_1) | instskip(NEXT) | instid1(VALU_DEP_1)
	v_fma_f32 v6, -v2, v4, v5
	v_fmac_f32_e32 v4, v6, v3
	s_delay_alu instid0(VALU_DEP_1) | instskip(NEXT) | instid1(VALU_DEP_1)
	v_fma_f32 v2, -v2, v4, v5
	v_div_fmas_f32 v2, v2, v3, v4
	s_delay_alu instid0(VALU_DEP_1) | instskip(NEXT) | instid1(VALU_DEP_1)
	v_div_fixup_f32 v3, v2, v0, v1
	v_fmac_f32_e32 v0, v1, v3
	s_delay_alu instid0(VALU_DEP_1) | instskip(NEXT) | instid1(VALU_DEP_1)
	v_div_scale_f32 v1, null, v0, v0, 1.0
	v_rcp_f32_e32 v2, v1
	v_nop
	s_delay_alu instid0(TRANS32_DEP_1) | instskip(NEXT) | instid1(VALU_DEP_1)
	v_fma_f32 v4, -v1, v2, 1.0
	v_fmac_f32_e32 v2, v4, v2
	v_div_scale_f32 v4, vcc_lo, 1.0, v0, 1.0
	s_delay_alu instid0(VALU_DEP_1) | instskip(NEXT) | instid1(VALU_DEP_1)
	v_mul_f32_e32 v5, v4, v2
	v_fma_f32 v6, -v1, v5, v4
	s_delay_alu instid0(VALU_DEP_1) | instskip(NEXT) | instid1(VALU_DEP_1)
	v_fmac_f32_e32 v5, v6, v2
	v_fma_f32 v1, -v1, v5, v4
	s_delay_alu instid0(VALU_DEP_1) | instskip(NEXT) | instid1(VALU_DEP_1)
	v_div_fmas_f32 v1, v1, v2, v5
	v_div_fixup_f32 v2, v1, v0, 1.0
	s_delay_alu instid0(VALU_DEP_1)
	v_mul_f32_e64 v3, v3, -v2
.LBB119_16:
	s_or_b32 exec_lo, exec_lo, s1
	ds_store_b64 v207, v[2:3]
.LBB119_17:
	s_or_b32 exec_lo, exec_lo, s2
	s_wait_dscnt 0x0
	s_barrier_signal -1
	s_barrier_wait -1
	ds_load_b64 v[0:1], v207
	s_mov_b32 s1, exec_lo
	s_wait_dscnt 0x0
	scratch_store_b64 off, v[0:1], off offset:416 ; 8-byte Folded Spill
	s_wait_xcnt 0x0
	v_cmpx_lt_u32_e32 1, v206
	s_cbranch_execz .LBB119_19
; %bb.18:
	scratch_load_b64 v[4:5], off, off offset:416 ; 8-byte Folded Reload
	s_wait_loadcnt 0x0
	v_pk_mul_f32 v[2:3], v[4:5], v[58:59] op_sel:[1,1] op_sel_hi:[0,1]
	s_delay_alu instid0(VALU_DEP_1)
	v_pk_fma_f32 v[0:1], v[4:5], v[58:59], v[2:3] op_sel_hi:[1,0,1] neg_lo:[0,0,1] neg_hi:[0,0,1]
	v_pk_fma_f32 v[2:3], v[4:5], v[58:59], v[2:3] op_sel_hi:[1,0,1]
	ds_load_2addr_b64 v[4:7], v216 offset0:2 offset1:3
	v_dual_mov_b32 v58, v0 :: v_dual_mov_b32 v59, v3
	s_wait_dscnt 0x0
	v_pk_mul_f32 v[8:9], v[4:5], v[2:3] op_sel:[0,1]
	s_delay_alu instid0(VALU_DEP_1) | instskip(SKIP_1) | instid1(VALU_DEP_1)
	v_pk_fma_f32 v[10:11], v[4:5], v[0:1], v[8:9] op_sel:[0,0,1] op_sel_hi:[1,1,0] neg_lo:[0,0,1] neg_hi:[0,0,1]
	v_pk_fma_f32 v[4:5], v[4:5], v[0:1], v[8:9] op_sel:[0,0,1] op_sel_hi:[1,0,0]
	v_mov_b32_e32 v11, v5
	v_pk_mul_f32 v[4:5], v[6:7], v[2:3] op_sel:[0,1]
	s_delay_alu instid0(VALU_DEP_1) | instskip(SKIP_1) | instid1(VALU_DEP_1)
	v_pk_fma_f32 v[8:9], v[6:7], v[0:1], v[4:5] op_sel:[0,0,1] op_sel_hi:[1,1,0] neg_lo:[0,0,1] neg_hi:[0,0,1]
	v_pk_fma_f32 v[4:5], v[6:7], v[0:1], v[4:5] op_sel:[0,0,1] op_sel_hi:[1,0,0]
	v_mov_b32_e32 v9, v5
	ds_load_2addr_b64 v[4:7], v216 offset0:4 offset1:5
	v_pk_add_f32 v[46:47], v[46:47], v[10:11] neg_lo:[0,1] neg_hi:[0,1]
	v_pk_add_f32 v[44:45], v[44:45], v[8:9] neg_lo:[0,1] neg_hi:[0,1]
	s_wait_dscnt 0x0
	v_pk_mul_f32 v[8:9], v[4:5], v[2:3] op_sel:[0,1]
	s_delay_alu instid0(VALU_DEP_1) | instskip(SKIP_2) | instid1(VALU_DEP_2)
	v_pk_fma_f32 v[10:11], v[4:5], v[0:1], v[8:9] op_sel:[0,0,1] op_sel_hi:[1,1,0] neg_lo:[0,0,1] neg_hi:[0,0,1]
	v_pk_fma_f32 v[4:5], v[4:5], v[0:1], v[8:9] op_sel:[0,0,1] op_sel_hi:[1,0,0]
	v_dual_mul_f32 v8, v7, v3 :: v_dual_mov_b32 v4, v7
	v_dual_mov_b32 v11, v5 :: v_dual_mov_b32 v5, v6
	s_delay_alu instid0(VALU_DEP_2) | instskip(SKIP_1) | instid1(VALU_DEP_3)
	v_pk_fma_f32 v[8:9], v[6:7], v[58:59], v[8:9] op_sel_hi:[1,1,0] neg_lo:[0,0,1] neg_hi:[0,0,1]
	v_mul_f32_e32 v6, v7, v0
	v_pk_add_f32 v[26:27], v[26:27], v[10:11] neg_lo:[0,1] neg_hi:[0,1]
	s_delay_alu instid0(VALU_DEP_2) | instskip(NEXT) | instid1(VALU_DEP_1)
	v_pk_fma_f32 v[4:5], v[4:5], v[58:59], v[6:7] op_sel_hi:[1,1,0]
	v_mov_b32_e32 v9, v5
	ds_load_2addr_b64 v[4:7], v216 offset0:6 offset1:7
	v_pk_add_f32 v[22:23], v[22:23], v[8:9] neg_lo:[0,1] neg_hi:[0,1]
	s_wait_dscnt 0x0
	v_pk_mul_f32 v[8:9], v[4:5], v[2:3] op_sel:[0,1]
	s_delay_alu instid0(VALU_DEP_1) | instskip(SKIP_1) | instid1(VALU_DEP_1)
	v_pk_fma_f32 v[10:11], v[4:5], v[0:1], v[8:9] op_sel:[0,0,1] op_sel_hi:[1,1,0] neg_lo:[0,0,1] neg_hi:[0,0,1]
	v_pk_fma_f32 v[4:5], v[4:5], v[0:1], v[8:9] op_sel:[0,0,1] op_sel_hi:[1,0,0]
	v_mov_b32_e32 v11, v5
	v_pk_mul_f32 v[4:5], v[6:7], v[2:3] op_sel:[0,1]
	s_delay_alu instid0(VALU_DEP_1) | instskip(SKIP_1) | instid1(VALU_DEP_1)
	v_pk_fma_f32 v[8:9], v[6:7], v[0:1], v[4:5] op_sel:[0,0,1] op_sel_hi:[1,1,0] neg_lo:[0,0,1] neg_hi:[0,0,1]
	v_pk_fma_f32 v[4:5], v[6:7], v[0:1], v[4:5] op_sel:[0,0,1] op_sel_hi:[1,0,0]
	v_mov_b32_e32 v9, v5
	ds_load_2addr_b64 v[4:7], v216 offset0:8 offset1:9
	v_pk_add_f32 v[24:25], v[24:25], v[10:11] neg_lo:[0,1] neg_hi:[0,1]
	v_pk_add_f32 v[20:21], v[20:21], v[8:9] neg_lo:[0,1] neg_hi:[0,1]
	s_wait_dscnt 0x0
	v_pk_mul_f32 v[8:9], v[4:5], v[2:3] op_sel:[0,1]
	s_delay_alu instid0(VALU_DEP_1) | instskip(SKIP_1) | instid1(VALU_DEP_1)
	v_pk_fma_f32 v[10:11], v[4:5], v[0:1], v[8:9] op_sel:[0,0,1] op_sel_hi:[1,1,0] neg_lo:[0,0,1] neg_hi:[0,0,1]
	v_pk_fma_f32 v[4:5], v[4:5], v[0:1], v[8:9] op_sel:[0,0,1] op_sel_hi:[1,0,0]
	v_mov_b32_e32 v11, v5
	v_pk_mul_f32 v[4:5], v[6:7], v[2:3] op_sel:[0,1]
	s_delay_alu instid0(VALU_DEP_1) | instskip(SKIP_1) | instid1(VALU_DEP_1)
	v_pk_fma_f32 v[8:9], v[6:7], v[0:1], v[4:5] op_sel:[0,0,1] op_sel_hi:[1,1,0] neg_lo:[0,0,1] neg_hi:[0,0,1]
	v_pk_fma_f32 v[4:5], v[6:7], v[0:1], v[4:5] op_sel:[0,0,1] op_sel_hi:[1,0,0]
	v_mov_b32_e32 v9, v5
	ds_load_2addr_b64 v[4:7], v216 offset0:10 offset1:11
	v_pk_add_f32 v[40:41], v[40:41], v[10:11] neg_lo:[0,1] neg_hi:[0,1]
	v_pk_add_f32 v[36:37], v[36:37], v[8:9] neg_lo:[0,1] neg_hi:[0,1]
	s_wait_dscnt 0x0
	v_dual_mul_f32 v8, v5, v3 :: v_dual_mul_f32 v10, v5, v0
	s_delay_alu instid0(VALU_DEP_1) | instskip(NEXT) | instid1(VALU_DEP_2)
	v_pk_fma_f32 v[8:9], v[4:5], v[58:59], v[8:9] op_sel_hi:[1,1,0] neg_lo:[0,0,1] neg_hi:[0,0,1]
	v_pk_fma_f32 v[4:5], v[4:5], v[58:59], v[10:11] op_sel:[1,0,0] op_sel_hi:[0,1,0]
	s_delay_alu instid0(VALU_DEP_1) | instskip(SKIP_1) | instid1(VALU_DEP_2)
	v_mov_b32_e32 v9, v5
	v_pk_mul_f32 v[4:5], v[6:7], v[2:3] op_sel:[0,1]
	v_pk_add_f32 v[38:39], v[38:39], v[8:9] neg_lo:[0,1] neg_hi:[0,1]
	s_delay_alu instid0(VALU_DEP_2) | instskip(SKIP_1) | instid1(VALU_DEP_1)
	v_pk_fma_f32 v[8:9], v[6:7], v[0:1], v[4:5] op_sel:[0,0,1] op_sel_hi:[1,1,0] neg_lo:[0,0,1] neg_hi:[0,0,1]
	v_pk_fma_f32 v[4:5], v[6:7], v[0:1], v[4:5] op_sel:[0,0,1] op_sel_hi:[1,0,0]
	v_mov_b32_e32 v9, v5
	ds_load_2addr_b64 v[4:7], v216 offset0:12 offset1:13
	v_pk_add_f32 v[34:35], v[34:35], v[8:9] neg_lo:[0,1] neg_hi:[0,1]
	s_wait_dscnt 0x0
	v_pk_mul_f32 v[8:9], v[4:5], v[2:3] op_sel:[0,1]
	s_delay_alu instid0(VALU_DEP_1) | instskip(SKIP_1) | instid1(VALU_DEP_1)
	v_pk_fma_f32 v[10:11], v[4:5], v[0:1], v[8:9] op_sel:[0,0,1] op_sel_hi:[1,1,0] neg_lo:[0,0,1] neg_hi:[0,0,1]
	v_pk_fma_f32 v[4:5], v[4:5], v[0:1], v[8:9] op_sel:[0,0,1] op_sel_hi:[1,0,0]
	v_mov_b32_e32 v11, v5
	v_pk_mul_f32 v[4:5], v[6:7], v[2:3] op_sel:[0,1]
	s_delay_alu instid0(VALU_DEP_2) | instskip(NEXT) | instid1(VALU_DEP_2)
	v_pk_add_f32 v[66:67], v[66:67], v[10:11] neg_lo:[0,1] neg_hi:[0,1]
	v_pk_fma_f32 v[8:9], v[6:7], v[0:1], v[4:5] op_sel:[0,0,1] op_sel_hi:[1,1,0] neg_lo:[0,0,1] neg_hi:[0,0,1]
	v_pk_fma_f32 v[4:5], v[6:7], v[0:1], v[4:5] op_sel:[0,0,1] op_sel_hi:[1,0,0]
	s_delay_alu instid0(VALU_DEP_1) | instskip(SKIP_4) | instid1(VALU_DEP_1)
	v_mov_b32_e32 v9, v5
	ds_load_2addr_b64 v[4:7], v216 offset0:14 offset1:15
	v_pk_add_f32 v[62:63], v[62:63], v[8:9] neg_lo:[0,1] neg_hi:[0,1]
	s_wait_dscnt 0x0
	v_pk_mul_f32 v[8:9], v[4:5], v[2:3] op_sel:[0,1]
	v_pk_fma_f32 v[10:11], v[4:5], v[0:1], v[8:9] op_sel:[0,0,1] op_sel_hi:[1,1,0] neg_lo:[0,0,1] neg_hi:[0,0,1]
	v_pk_fma_f32 v[4:5], v[4:5], v[0:1], v[8:9] op_sel:[0,0,1] op_sel_hi:[1,0,0]
	v_dual_mul_f32 v8, v7, v3 :: v_dual_mov_b32 v4, v7
	s_delay_alu instid0(VALU_DEP_2) | instskip(NEXT) | instid1(VALU_DEP_2)
	v_dual_mov_b32 v11, v5 :: v_dual_mov_b32 v5, v6
	v_pk_fma_f32 v[8:9], v[6:7], v[58:59], v[8:9] op_sel_hi:[1,1,0] neg_lo:[0,0,1] neg_hi:[0,0,1]
	v_mul_f32_e32 v6, v7, v0
	s_delay_alu instid0(VALU_DEP_3) | instskip(NEXT) | instid1(VALU_DEP_2)
	v_pk_add_f32 v[64:65], v[64:65], v[10:11] neg_lo:[0,1] neg_hi:[0,1]
	v_pk_fma_f32 v[4:5], v[4:5], v[58:59], v[6:7] op_sel_hi:[1,1,0]
	s_delay_alu instid0(VALU_DEP_1) | instskip(SKIP_4) | instid1(VALU_DEP_1)
	v_mov_b32_e32 v9, v5
	ds_load_2addr_b64 v[4:7], v216 offset0:16 offset1:17
	v_pk_add_f32 v[60:61], v[60:61], v[8:9] neg_lo:[0,1] neg_hi:[0,1]
	s_wait_dscnt 0x0
	v_pk_mul_f32 v[8:9], v[4:5], v[2:3] op_sel:[0,1]
	v_pk_fma_f32 v[10:11], v[4:5], v[0:1], v[8:9] op_sel:[0,0,1] op_sel_hi:[1,1,0] neg_lo:[0,0,1] neg_hi:[0,0,1]
	v_pk_fma_f32 v[4:5], v[4:5], v[0:1], v[8:9] op_sel:[0,0,1] op_sel_hi:[1,0,0]
	s_delay_alu instid0(VALU_DEP_1) | instskip(SKIP_1) | instid1(VALU_DEP_1)
	v_mov_b32_e32 v11, v5
	v_pk_mul_f32 v[4:5], v[6:7], v[2:3] op_sel:[0,1]
	v_pk_fma_f32 v[8:9], v[6:7], v[0:1], v[4:5] op_sel:[0,0,1] op_sel_hi:[1,1,0] neg_lo:[0,0,1] neg_hi:[0,0,1]
	v_pk_fma_f32 v[4:5], v[6:7], v[0:1], v[4:5] op_sel:[0,0,1] op_sel_hi:[1,0,0]
	s_delay_alu instid0(VALU_DEP_1)
	v_mov_b32_e32 v9, v5
	ds_load_2addr_b64 v[4:7], v216 offset0:18 offset1:19
	v_pk_add_f32 v[82:83], v[82:83], v[10:11] neg_lo:[0,1] neg_hi:[0,1]
	v_pk_add_f32 v[78:79], v[78:79], v[8:9] neg_lo:[0,1] neg_hi:[0,1]
	s_wait_dscnt 0x0
	v_pk_mul_f32 v[8:9], v[4:5], v[2:3] op_sel:[0,1]
	s_delay_alu instid0(VALU_DEP_1) | instskip(SKIP_1) | instid1(VALU_DEP_1)
	v_pk_fma_f32 v[10:11], v[4:5], v[0:1], v[8:9] op_sel:[0,0,1] op_sel_hi:[1,1,0] neg_lo:[0,0,1] neg_hi:[0,0,1]
	v_pk_fma_f32 v[4:5], v[4:5], v[0:1], v[8:9] op_sel:[0,0,1] op_sel_hi:[1,0,0]
	v_mov_b32_e32 v11, v5
	v_pk_mul_f32 v[4:5], v[6:7], v[2:3] op_sel:[0,1]
	s_delay_alu instid0(VALU_DEP_1) | instskip(SKIP_1) | instid1(VALU_DEP_1)
	v_pk_fma_f32 v[8:9], v[6:7], v[0:1], v[4:5] op_sel:[0,0,1] op_sel_hi:[1,1,0] neg_lo:[0,0,1] neg_hi:[0,0,1]
	v_pk_fma_f32 v[4:5], v[6:7], v[0:1], v[4:5] op_sel:[0,0,1] op_sel_hi:[1,0,0]
	v_mov_b32_e32 v9, v5
	ds_load_2addr_b64 v[4:7], v216 offset0:20 offset1:21
	v_pk_add_f32 v[80:81], v[80:81], v[10:11] neg_lo:[0,1] neg_hi:[0,1]
	v_pk_add_f32 v[76:77], v[76:77], v[8:9] neg_lo:[0,1] neg_hi:[0,1]
	s_wait_dscnt 0x0
	v_dual_mul_f32 v8, v5, v3 :: v_dual_mul_f32 v10, v5, v0
	s_delay_alu instid0(VALU_DEP_1) | instskip(NEXT) | instid1(VALU_DEP_2)
	v_pk_fma_f32 v[8:9], v[4:5], v[58:59], v[8:9] op_sel_hi:[1,1,0] neg_lo:[0,0,1] neg_hi:[0,0,1]
	v_pk_fma_f32 v[4:5], v[4:5], v[58:59], v[10:11] op_sel:[1,0,0] op_sel_hi:[0,1,0]
	s_delay_alu instid0(VALU_DEP_1) | instskip(SKIP_1) | instid1(VALU_DEP_2)
	v_mov_b32_e32 v9, v5
	v_pk_mul_f32 v[4:5], v[6:7], v[2:3] op_sel:[0,1]
	v_pk_add_f32 v[98:99], v[98:99], v[8:9] neg_lo:[0,1] neg_hi:[0,1]
	s_delay_alu instid0(VALU_DEP_2) | instskip(SKIP_1) | instid1(VALU_DEP_1)
	v_pk_fma_f32 v[8:9], v[6:7], v[0:1], v[4:5] op_sel:[0,0,1] op_sel_hi:[1,1,0] neg_lo:[0,0,1] neg_hi:[0,0,1]
	v_pk_fma_f32 v[4:5], v[6:7], v[0:1], v[4:5] op_sel:[0,0,1] op_sel_hi:[1,0,0]
	v_mov_b32_e32 v9, v5
	ds_load_2addr_b64 v[4:7], v216 offset0:22 offset1:23
	v_pk_add_f32 v[94:95], v[94:95], v[8:9] neg_lo:[0,1] neg_hi:[0,1]
	s_wait_dscnt 0x0
	v_pk_mul_f32 v[8:9], v[4:5], v[2:3] op_sel:[0,1]
	s_delay_alu instid0(VALU_DEP_1) | instskip(SKIP_1) | instid1(VALU_DEP_1)
	v_pk_fma_f32 v[10:11], v[4:5], v[0:1], v[8:9] op_sel:[0,0,1] op_sel_hi:[1,1,0] neg_lo:[0,0,1] neg_hi:[0,0,1]
	v_pk_fma_f32 v[4:5], v[4:5], v[0:1], v[8:9] op_sel:[0,0,1] op_sel_hi:[1,0,0]
	v_mov_b32_e32 v11, v5
	v_pk_mul_f32 v[4:5], v[6:7], v[2:3] op_sel:[0,1]
	s_delay_alu instid0(VALU_DEP_2) | instskip(NEXT) | instid1(VALU_DEP_2)
	v_pk_add_f32 v[96:97], v[96:97], v[10:11] neg_lo:[0,1] neg_hi:[0,1]
	v_pk_fma_f32 v[8:9], v[6:7], v[0:1], v[4:5] op_sel:[0,0,1] op_sel_hi:[1,1,0] neg_lo:[0,0,1] neg_hi:[0,0,1]
	v_pk_fma_f32 v[4:5], v[6:7], v[0:1], v[4:5] op_sel:[0,0,1] op_sel_hi:[1,0,0]
	s_delay_alu instid0(VALU_DEP_1) | instskip(SKIP_4) | instid1(VALU_DEP_1)
	v_mov_b32_e32 v9, v5
	ds_load_2addr_b64 v[4:7], v216 offset0:24 offset1:25
	v_pk_add_f32 v[92:93], v[92:93], v[8:9] neg_lo:[0,1] neg_hi:[0,1]
	s_wait_dscnt 0x0
	v_pk_mul_f32 v[8:9], v[4:5], v[2:3] op_sel:[0,1]
	v_pk_fma_f32 v[10:11], v[4:5], v[0:1], v[8:9] op_sel:[0,0,1] op_sel_hi:[1,1,0] neg_lo:[0,0,1] neg_hi:[0,0,1]
	v_pk_fma_f32 v[4:5], v[4:5], v[0:1], v[8:9] op_sel:[0,0,1] op_sel_hi:[1,0,0]
	v_dual_mul_f32 v8, v7, v3 :: v_dual_mov_b32 v4, v7
	s_delay_alu instid0(VALU_DEP_2) | instskip(NEXT) | instid1(VALU_DEP_2)
	v_dual_mov_b32 v11, v5 :: v_dual_mov_b32 v5, v6
	v_pk_fma_f32 v[8:9], v[6:7], v[58:59], v[8:9] op_sel_hi:[1,1,0] neg_lo:[0,0,1] neg_hi:[0,0,1]
	v_mul_f32_e32 v6, v7, v0
	s_delay_alu instid0(VALU_DEP_3) | instskip(NEXT) | instid1(VALU_DEP_2)
	v_pk_add_f32 v[114:115], v[114:115], v[10:11] neg_lo:[0,1] neg_hi:[0,1]
	v_pk_fma_f32 v[4:5], v[4:5], v[58:59], v[6:7] op_sel_hi:[1,1,0]
	s_delay_alu instid0(VALU_DEP_1) | instskip(SKIP_4) | instid1(VALU_DEP_1)
	v_mov_b32_e32 v9, v5
	ds_load_2addr_b64 v[4:7], v216 offset0:26 offset1:27
	v_pk_add_f32 v[110:111], v[110:111], v[8:9] neg_lo:[0,1] neg_hi:[0,1]
	s_wait_dscnt 0x0
	v_pk_mul_f32 v[8:9], v[4:5], v[2:3] op_sel:[0,1]
	v_pk_fma_f32 v[10:11], v[4:5], v[0:1], v[8:9] op_sel:[0,0,1] op_sel_hi:[1,1,0] neg_lo:[0,0,1] neg_hi:[0,0,1]
	v_pk_fma_f32 v[4:5], v[4:5], v[0:1], v[8:9] op_sel:[0,0,1] op_sel_hi:[1,0,0]
	s_delay_alu instid0(VALU_DEP_1) | instskip(SKIP_1) | instid1(VALU_DEP_1)
	v_mov_b32_e32 v11, v5
	v_pk_mul_f32 v[4:5], v[6:7], v[2:3] op_sel:[0,1]
	v_pk_fma_f32 v[8:9], v[6:7], v[0:1], v[4:5] op_sel:[0,0,1] op_sel_hi:[1,1,0] neg_lo:[0,0,1] neg_hi:[0,0,1]
	v_pk_fma_f32 v[4:5], v[6:7], v[0:1], v[4:5] op_sel:[0,0,1] op_sel_hi:[1,0,0]
	s_delay_alu instid0(VALU_DEP_1)
	v_mov_b32_e32 v9, v5
	ds_load_2addr_b64 v[4:7], v216 offset0:28 offset1:29
	v_pk_add_f32 v[112:113], v[112:113], v[10:11] neg_lo:[0,1] neg_hi:[0,1]
	v_pk_add_f32 v[108:109], v[108:109], v[8:9] neg_lo:[0,1] neg_hi:[0,1]
	s_wait_dscnt 0x0
	v_pk_mul_f32 v[8:9], v[4:5], v[2:3] op_sel:[0,1]
	s_delay_alu instid0(VALU_DEP_1) | instskip(SKIP_1) | instid1(VALU_DEP_1)
	v_pk_fma_f32 v[10:11], v[4:5], v[0:1], v[8:9] op_sel:[0,0,1] op_sel_hi:[1,1,0] neg_lo:[0,0,1] neg_hi:[0,0,1]
	v_pk_fma_f32 v[4:5], v[4:5], v[0:1], v[8:9] op_sel:[0,0,1] op_sel_hi:[1,0,0]
	v_mov_b32_e32 v11, v5
	v_pk_mul_f32 v[4:5], v[6:7], v[2:3] op_sel:[0,1]
	s_delay_alu instid0(VALU_DEP_1) | instskip(SKIP_1) | instid1(VALU_DEP_1)
	v_pk_fma_f32 v[8:9], v[6:7], v[0:1], v[4:5] op_sel:[0,0,1] op_sel_hi:[1,1,0] neg_lo:[0,0,1] neg_hi:[0,0,1]
	v_pk_fma_f32 v[4:5], v[6:7], v[0:1], v[4:5] op_sel:[0,0,1] op_sel_hi:[1,0,0]
	v_mov_b32_e32 v9, v5
	ds_load_2addr_b64 v[4:7], v216 offset0:30 offset1:31
	v_pk_add_f32 v[130:131], v[130:131], v[10:11] neg_lo:[0,1] neg_hi:[0,1]
	v_pk_add_f32 v[126:127], v[126:127], v[8:9] neg_lo:[0,1] neg_hi:[0,1]
	s_wait_dscnt 0x0
	v_dual_mul_f32 v8, v5, v3 :: v_dual_mul_f32 v10, v5, v0
	s_delay_alu instid0(VALU_DEP_1) | instskip(NEXT) | instid1(VALU_DEP_2)
	v_pk_fma_f32 v[8:9], v[4:5], v[58:59], v[8:9] op_sel_hi:[1,1,0] neg_lo:[0,0,1] neg_hi:[0,0,1]
	v_pk_fma_f32 v[4:5], v[4:5], v[58:59], v[10:11] op_sel:[1,0,0] op_sel_hi:[0,1,0]
	s_delay_alu instid0(VALU_DEP_1) | instskip(SKIP_1) | instid1(VALU_DEP_2)
	v_mov_b32_e32 v9, v5
	v_pk_mul_f32 v[4:5], v[6:7], v[2:3] op_sel:[0,1]
	v_pk_add_f32 v[128:129], v[128:129], v[8:9] neg_lo:[0,1] neg_hi:[0,1]
	s_delay_alu instid0(VALU_DEP_2) | instskip(SKIP_1) | instid1(VALU_DEP_1)
	v_pk_fma_f32 v[8:9], v[6:7], v[0:1], v[4:5] op_sel:[0,0,1] op_sel_hi:[1,1,0] neg_lo:[0,0,1] neg_hi:[0,0,1]
	v_pk_fma_f32 v[4:5], v[6:7], v[0:1], v[4:5] op_sel:[0,0,1] op_sel_hi:[1,0,0]
	v_mov_b32_e32 v9, v5
	ds_load_2addr_b64 v[4:7], v216 offset0:32 offset1:33
	v_pk_add_f32 v[124:125], v[124:125], v[8:9] neg_lo:[0,1] neg_hi:[0,1]
	s_wait_dscnt 0x0
	v_pk_mul_f32 v[8:9], v[4:5], v[2:3] op_sel:[0,1]
	s_delay_alu instid0(VALU_DEP_1) | instskip(SKIP_1) | instid1(VALU_DEP_1)
	v_pk_fma_f32 v[10:11], v[4:5], v[0:1], v[8:9] op_sel:[0,0,1] op_sel_hi:[1,1,0] neg_lo:[0,0,1] neg_hi:[0,0,1]
	v_pk_fma_f32 v[4:5], v[4:5], v[0:1], v[8:9] op_sel:[0,0,1] op_sel_hi:[1,0,0]
	v_mov_b32_e32 v11, v5
	v_pk_mul_f32 v[4:5], v[6:7], v[2:3] op_sel:[0,1]
	s_delay_alu instid0(VALU_DEP_2) | instskip(NEXT) | instid1(VALU_DEP_2)
	v_pk_add_f32 v[146:147], v[146:147], v[10:11] neg_lo:[0,1] neg_hi:[0,1]
	v_pk_fma_f32 v[8:9], v[6:7], v[0:1], v[4:5] op_sel:[0,0,1] op_sel_hi:[1,1,0] neg_lo:[0,0,1] neg_hi:[0,0,1]
	v_pk_fma_f32 v[4:5], v[6:7], v[0:1], v[4:5] op_sel:[0,0,1] op_sel_hi:[1,0,0]
	s_delay_alu instid0(VALU_DEP_1) | instskip(SKIP_4) | instid1(VALU_DEP_1)
	v_mov_b32_e32 v9, v5
	ds_load_2addr_b64 v[4:7], v216 offset0:34 offset1:35
	v_pk_add_f32 v[142:143], v[142:143], v[8:9] neg_lo:[0,1] neg_hi:[0,1]
	s_wait_dscnt 0x0
	v_pk_mul_f32 v[8:9], v[4:5], v[2:3] op_sel:[0,1]
	v_pk_fma_f32 v[10:11], v[4:5], v[0:1], v[8:9] op_sel:[0,0,1] op_sel_hi:[1,1,0] neg_lo:[0,0,1] neg_hi:[0,0,1]
	v_pk_fma_f32 v[4:5], v[4:5], v[0:1], v[8:9] op_sel:[0,0,1] op_sel_hi:[1,0,0]
	v_dual_mul_f32 v8, v7, v3 :: v_dual_mov_b32 v4, v7
	s_delay_alu instid0(VALU_DEP_2) | instskip(NEXT) | instid1(VALU_DEP_2)
	v_dual_mov_b32 v11, v5 :: v_dual_mov_b32 v5, v6
	v_pk_fma_f32 v[8:9], v[6:7], v[58:59], v[8:9] op_sel_hi:[1,1,0] neg_lo:[0,0,1] neg_hi:[0,0,1]
	v_mul_f32_e32 v6, v7, v0
	s_delay_alu instid0(VALU_DEP_3) | instskip(NEXT) | instid1(VALU_DEP_2)
	v_pk_add_f32 v[144:145], v[144:145], v[10:11] neg_lo:[0,1] neg_hi:[0,1]
	v_pk_fma_f32 v[4:5], v[4:5], v[58:59], v[6:7] op_sel_hi:[1,1,0]
	s_delay_alu instid0(VALU_DEP_1) | instskip(SKIP_4) | instid1(VALU_DEP_1)
	v_mov_b32_e32 v9, v5
	ds_load_2addr_b64 v[4:7], v216 offset0:36 offset1:37
	v_pk_add_f32 v[140:141], v[140:141], v[8:9] neg_lo:[0,1] neg_hi:[0,1]
	s_wait_dscnt 0x0
	v_pk_mul_f32 v[8:9], v[4:5], v[2:3] op_sel:[0,1]
	v_pk_fma_f32 v[10:11], v[4:5], v[0:1], v[8:9] op_sel:[0,0,1] op_sel_hi:[1,1,0] neg_lo:[0,0,1] neg_hi:[0,0,1]
	v_pk_fma_f32 v[4:5], v[4:5], v[0:1], v[8:9] op_sel:[0,0,1] op_sel_hi:[1,0,0]
	s_delay_alu instid0(VALU_DEP_1) | instskip(SKIP_1) | instid1(VALU_DEP_1)
	v_mov_b32_e32 v11, v5
	v_pk_mul_f32 v[4:5], v[6:7], v[2:3] op_sel:[0,1]
	v_pk_fma_f32 v[8:9], v[6:7], v[0:1], v[4:5] op_sel:[0,0,1] op_sel_hi:[1,1,0] neg_lo:[0,0,1] neg_hi:[0,0,1]
	v_pk_fma_f32 v[4:5], v[6:7], v[0:1], v[4:5] op_sel:[0,0,1] op_sel_hi:[1,0,0]
	s_delay_alu instid0(VALU_DEP_1)
	v_mov_b32_e32 v9, v5
	ds_load_2addr_b64 v[4:7], v216 offset0:38 offset1:39
	v_pk_add_f32 v[162:163], v[162:163], v[10:11] neg_lo:[0,1] neg_hi:[0,1]
	v_pk_add_f32 v[158:159], v[158:159], v[8:9] neg_lo:[0,1] neg_hi:[0,1]
	s_wait_dscnt 0x0
	v_pk_mul_f32 v[8:9], v[4:5], v[2:3] op_sel:[0,1]
	s_delay_alu instid0(VALU_DEP_1) | instskip(SKIP_1) | instid1(VALU_DEP_1)
	v_pk_fma_f32 v[10:11], v[4:5], v[0:1], v[8:9] op_sel:[0,0,1] op_sel_hi:[1,1,0] neg_lo:[0,0,1] neg_hi:[0,0,1]
	v_pk_fma_f32 v[4:5], v[4:5], v[0:1], v[8:9] op_sel:[0,0,1] op_sel_hi:[1,0,0]
	v_mov_b32_e32 v11, v5
	v_pk_mul_f32 v[4:5], v[6:7], v[2:3] op_sel:[0,1]
	s_delay_alu instid0(VALU_DEP_1) | instskip(SKIP_1) | instid1(VALU_DEP_1)
	v_pk_fma_f32 v[8:9], v[6:7], v[0:1], v[4:5] op_sel:[0,0,1] op_sel_hi:[1,1,0] neg_lo:[0,0,1] neg_hi:[0,0,1]
	v_pk_fma_f32 v[4:5], v[6:7], v[0:1], v[4:5] op_sel:[0,0,1] op_sel_hi:[1,0,0]
	v_mov_b32_e32 v9, v5
	ds_load_2addr_b64 v[4:7], v216 offset0:40 offset1:41
	v_pk_add_f32 v[160:161], v[160:161], v[10:11] neg_lo:[0,1] neg_hi:[0,1]
	v_pk_add_f32 v[156:157], v[156:157], v[8:9] neg_lo:[0,1] neg_hi:[0,1]
	s_wait_dscnt 0x0
	v_dual_mul_f32 v8, v5, v3 :: v_dual_mul_f32 v10, v5, v0
	s_delay_alu instid0(VALU_DEP_1) | instskip(NEXT) | instid1(VALU_DEP_2)
	v_pk_fma_f32 v[8:9], v[4:5], v[58:59], v[8:9] op_sel_hi:[1,1,0] neg_lo:[0,0,1] neg_hi:[0,0,1]
	v_pk_fma_f32 v[4:5], v[4:5], v[58:59], v[10:11] op_sel:[1,0,0] op_sel_hi:[0,1,0]
	s_delay_alu instid0(VALU_DEP_1) | instskip(SKIP_1) | instid1(VALU_DEP_2)
	v_mov_b32_e32 v9, v5
	v_pk_mul_f32 v[4:5], v[6:7], v[2:3] op_sel:[0,1]
	v_pk_add_f32 v[178:179], v[178:179], v[8:9] neg_lo:[0,1] neg_hi:[0,1]
	s_delay_alu instid0(VALU_DEP_2) | instskip(SKIP_1) | instid1(VALU_DEP_1)
	v_pk_fma_f32 v[8:9], v[6:7], v[0:1], v[4:5] op_sel:[0,0,1] op_sel_hi:[1,1,0] neg_lo:[0,0,1] neg_hi:[0,0,1]
	v_pk_fma_f32 v[4:5], v[6:7], v[0:1], v[4:5] op_sel:[0,0,1] op_sel_hi:[1,0,0]
	v_mov_b32_e32 v9, v5
	ds_load_2addr_b64 v[4:7], v216 offset0:42 offset1:43
	v_pk_add_f32 v[174:175], v[174:175], v[8:9] neg_lo:[0,1] neg_hi:[0,1]
	s_wait_dscnt 0x0
	v_pk_mul_f32 v[8:9], v[4:5], v[2:3] op_sel:[0,1]
	s_delay_alu instid0(VALU_DEP_1) | instskip(SKIP_1) | instid1(VALU_DEP_1)
	v_pk_fma_f32 v[10:11], v[4:5], v[0:1], v[8:9] op_sel:[0,0,1] op_sel_hi:[1,1,0] neg_lo:[0,0,1] neg_hi:[0,0,1]
	v_pk_fma_f32 v[4:5], v[4:5], v[0:1], v[8:9] op_sel:[0,0,1] op_sel_hi:[1,0,0]
	v_mov_b32_e32 v11, v5
	v_pk_mul_f32 v[4:5], v[6:7], v[2:3] op_sel:[0,1]
	s_delay_alu instid0(VALU_DEP_2) | instskip(NEXT) | instid1(VALU_DEP_2)
	v_pk_add_f32 v[176:177], v[176:177], v[10:11] neg_lo:[0,1] neg_hi:[0,1]
	v_pk_fma_f32 v[8:9], v[6:7], v[0:1], v[4:5] op_sel:[0,0,1] op_sel_hi:[1,1,0] neg_lo:[0,0,1] neg_hi:[0,0,1]
	v_pk_fma_f32 v[4:5], v[6:7], v[0:1], v[4:5] op_sel:[0,0,1] op_sel_hi:[1,0,0]
	s_delay_alu instid0(VALU_DEP_1) | instskip(SKIP_4) | instid1(VALU_DEP_1)
	v_mov_b32_e32 v9, v5
	ds_load_2addr_b64 v[4:7], v216 offset0:44 offset1:45
	v_pk_add_f32 v[172:173], v[172:173], v[8:9] neg_lo:[0,1] neg_hi:[0,1]
	s_wait_dscnt 0x0
	v_pk_mul_f32 v[8:9], v[4:5], v[2:3] op_sel:[0,1]
	v_pk_fma_f32 v[10:11], v[4:5], v[0:1], v[8:9] op_sel:[0,0,1] op_sel_hi:[1,1,0] neg_lo:[0,0,1] neg_hi:[0,0,1]
	v_pk_fma_f32 v[4:5], v[4:5], v[0:1], v[8:9] op_sel:[0,0,1] op_sel_hi:[1,0,0]
	v_dual_mul_f32 v8, v7, v3 :: v_dual_mov_b32 v4, v7
	s_delay_alu instid0(VALU_DEP_2) | instskip(NEXT) | instid1(VALU_DEP_2)
	v_dual_mov_b32 v11, v5 :: v_dual_mov_b32 v5, v6
	v_pk_fma_f32 v[8:9], v[6:7], v[58:59], v[8:9] op_sel_hi:[1,1,0] neg_lo:[0,0,1] neg_hi:[0,0,1]
	v_mul_f32_e32 v6, v7, v0
	s_delay_alu instid0(VALU_DEP_3) | instskip(NEXT) | instid1(VALU_DEP_2)
	v_pk_add_f32 v[194:195], v[194:195], v[10:11] neg_lo:[0,1] neg_hi:[0,1]
	v_pk_fma_f32 v[4:5], v[4:5], v[58:59], v[6:7] op_sel_hi:[1,1,0]
	s_delay_alu instid0(VALU_DEP_1) | instskip(SKIP_4) | instid1(VALU_DEP_1)
	v_mov_b32_e32 v9, v5
	ds_load_2addr_b64 v[4:7], v216 offset0:46 offset1:47
	v_pk_add_f32 v[190:191], v[190:191], v[8:9] neg_lo:[0,1] neg_hi:[0,1]
	s_wait_dscnt 0x0
	v_pk_mul_f32 v[8:9], v[4:5], v[2:3] op_sel:[0,1]
	v_pk_fma_f32 v[10:11], v[4:5], v[0:1], v[8:9] op_sel:[0,0,1] op_sel_hi:[1,1,0] neg_lo:[0,0,1] neg_hi:[0,0,1]
	v_pk_fma_f32 v[4:5], v[4:5], v[0:1], v[8:9] op_sel:[0,0,1] op_sel_hi:[1,0,0]
	s_delay_alu instid0(VALU_DEP_1) | instskip(SKIP_1) | instid1(VALU_DEP_1)
	v_mov_b32_e32 v11, v5
	v_pk_mul_f32 v[4:5], v[6:7], v[2:3] op_sel:[0,1]
	v_pk_fma_f32 v[8:9], v[6:7], v[0:1], v[4:5] op_sel:[0,0,1] op_sel_hi:[1,1,0] neg_lo:[0,0,1] neg_hi:[0,0,1]
	v_pk_fma_f32 v[4:5], v[6:7], v[0:1], v[4:5] op_sel:[0,0,1] op_sel_hi:[1,0,0]
	s_delay_alu instid0(VALU_DEP_1)
	v_mov_b32_e32 v9, v5
	ds_load_2addr_b64 v[4:7], v216 offset0:48 offset1:49
	v_pk_add_f32 v[192:193], v[192:193], v[10:11] neg_lo:[0,1] neg_hi:[0,1]
	v_pk_add_f32 v[188:189], v[188:189], v[8:9] neg_lo:[0,1] neg_hi:[0,1]
	s_wait_dscnt 0x0
	v_pk_mul_f32 v[8:9], v[4:5], v[2:3] op_sel:[0,1]
	s_delay_alu instid0(VALU_DEP_1) | instskip(SKIP_1) | instid1(VALU_DEP_1)
	v_pk_fma_f32 v[10:11], v[4:5], v[0:1], v[8:9] op_sel:[0,0,1] op_sel_hi:[1,1,0] neg_lo:[0,0,1] neg_hi:[0,0,1]
	v_pk_fma_f32 v[4:5], v[4:5], v[0:1], v[8:9] op_sel:[0,0,1] op_sel_hi:[1,0,0]
	v_mov_b32_e32 v11, v5
	v_pk_mul_f32 v[4:5], v[6:7], v[2:3] op_sel:[0,1]
	s_delay_alu instid0(VALU_DEP_1) | instskip(SKIP_1) | instid1(VALU_DEP_1)
	v_pk_fma_f32 v[8:9], v[6:7], v[0:1], v[4:5] op_sel:[0,0,1] op_sel_hi:[1,1,0] neg_lo:[0,0,1] neg_hi:[0,0,1]
	v_pk_fma_f32 v[4:5], v[6:7], v[0:1], v[4:5] op_sel:[0,0,1] op_sel_hi:[1,0,0]
	v_mov_b32_e32 v9, v5
	ds_load_2addr_b64 v[4:7], v216 offset0:50 offset1:51
	v_pk_add_f32 v[214:215], v[214:215], v[10:11] neg_lo:[0,1] neg_hi:[0,1]
	v_pk_add_f32 v[210:211], v[210:211], v[8:9] neg_lo:[0,1] neg_hi:[0,1]
	s_wait_dscnt 0x0
	v_dual_mul_f32 v8, v5, v3 :: v_dual_mul_f32 v10, v5, v0
	s_delay_alu instid0(VALU_DEP_1) | instskip(NEXT) | instid1(VALU_DEP_2)
	v_pk_fma_f32 v[8:9], v[4:5], v[58:59], v[8:9] op_sel_hi:[1,1,0] neg_lo:[0,0,1] neg_hi:[0,0,1]
	v_pk_fma_f32 v[4:5], v[4:5], v[58:59], v[10:11] op_sel:[1,0,0] op_sel_hi:[0,1,0]
	s_delay_alu instid0(VALU_DEP_1) | instskip(SKIP_1) | instid1(VALU_DEP_2)
	v_mov_b32_e32 v9, v5
	v_pk_mul_f32 v[4:5], v[6:7], v[2:3] op_sel:[0,1]
	v_pk_add_f32 v[212:213], v[212:213], v[8:9] neg_lo:[0,1] neg_hi:[0,1]
	s_delay_alu instid0(VALU_DEP_2) | instskip(SKIP_1) | instid1(VALU_DEP_1)
	v_pk_fma_f32 v[8:9], v[6:7], v[0:1], v[4:5] op_sel:[0,0,1] op_sel_hi:[1,1,0] neg_lo:[0,0,1] neg_hi:[0,0,1]
	v_pk_fma_f32 v[4:5], v[6:7], v[0:1], v[4:5] op_sel:[0,0,1] op_sel_hi:[1,0,0]
	v_mov_b32_e32 v9, v5
	ds_load_2addr_b64 v[4:7], v216 offset0:52 offset1:53
	v_pk_add_f32 v[208:209], v[208:209], v[8:9] neg_lo:[0,1] neg_hi:[0,1]
	s_wait_dscnt 0x0
	v_pk_mul_f32 v[8:9], v[4:5], v[2:3] op_sel:[0,1]
	s_delay_alu instid0(VALU_DEP_1) | instskip(SKIP_1) | instid1(VALU_DEP_1)
	v_pk_fma_f32 v[10:11], v[4:5], v[0:1], v[8:9] op_sel:[0,0,1] op_sel_hi:[1,1,0] neg_lo:[0,0,1] neg_hi:[0,0,1]
	v_pk_fma_f32 v[4:5], v[4:5], v[0:1], v[8:9] op_sel:[0,0,1] op_sel_hi:[1,0,0]
	v_mov_b32_e32 v11, v5
	v_pk_mul_f32 v[4:5], v[6:7], v[2:3] op_sel:[0,1]
	s_delay_alu instid0(VALU_DEP_2) | instskip(NEXT) | instid1(VALU_DEP_2)
	v_pk_add_f32 v[236:237], v[236:237], v[10:11] neg_lo:[0,1] neg_hi:[0,1]
	v_pk_fma_f32 v[8:9], v[6:7], v[0:1], v[4:5] op_sel:[0,0,1] op_sel_hi:[1,1,0] neg_lo:[0,0,1] neg_hi:[0,0,1]
	v_pk_fma_f32 v[4:5], v[6:7], v[0:1], v[4:5] op_sel:[0,0,1] op_sel_hi:[1,0,0]
	s_delay_alu instid0(VALU_DEP_1) | instskip(SKIP_4) | instid1(VALU_DEP_1)
	v_mov_b32_e32 v9, v5
	ds_load_2addr_b64 v[4:7], v216 offset0:54 offset1:55
	v_pk_add_f32 v[230:231], v[230:231], v[8:9] neg_lo:[0,1] neg_hi:[0,1]
	s_wait_dscnt 0x0
	v_pk_mul_f32 v[8:9], v[4:5], v[2:3] op_sel:[0,1]
	v_pk_fma_f32 v[10:11], v[4:5], v[0:1], v[8:9] op_sel:[0,0,1] op_sel_hi:[1,1,0] neg_lo:[0,0,1] neg_hi:[0,0,1]
	v_pk_fma_f32 v[4:5], v[4:5], v[0:1], v[8:9] op_sel:[0,0,1] op_sel_hi:[1,0,0]
	v_dual_mul_f32 v8, v7, v3 :: v_dual_mov_b32 v4, v7
	s_delay_alu instid0(VALU_DEP_2) | instskip(NEXT) | instid1(VALU_DEP_2)
	v_dual_mov_b32 v11, v5 :: v_dual_mov_b32 v5, v6
	v_pk_fma_f32 v[8:9], v[6:7], v[58:59], v[8:9] op_sel_hi:[1,1,0] neg_lo:[0,0,1] neg_hi:[0,0,1]
	v_mul_f32_e32 v6, v7, v0
	s_delay_alu instid0(VALU_DEP_3) | instskip(NEXT) | instid1(VALU_DEP_2)
	v_pk_add_f32 v[234:235], v[234:235], v[10:11] neg_lo:[0,1] neg_hi:[0,1]
	v_pk_fma_f32 v[4:5], v[4:5], v[58:59], v[6:7] op_sel_hi:[1,1,0]
	s_delay_alu instid0(VALU_DEP_1) | instskip(SKIP_4) | instid1(VALU_DEP_1)
	v_mov_b32_e32 v9, v5
	ds_load_2addr_b64 v[4:7], v216 offset0:56 offset1:57
	v_pk_add_f32 v[228:229], v[228:229], v[8:9] neg_lo:[0,1] neg_hi:[0,1]
	s_wait_dscnt 0x0
	v_pk_mul_f32 v[8:9], v[4:5], v[2:3] op_sel:[0,1]
	v_pk_fma_f32 v[10:11], v[4:5], v[0:1], v[8:9] op_sel:[0,0,1] op_sel_hi:[1,1,0] neg_lo:[0,0,1] neg_hi:[0,0,1]
	v_pk_fma_f32 v[4:5], v[4:5], v[0:1], v[8:9] op_sel:[0,0,1] op_sel_hi:[1,0,0]
	s_delay_alu instid0(VALU_DEP_1) | instskip(SKIP_1) | instid1(VALU_DEP_1)
	v_mov_b32_e32 v11, v5
	v_pk_mul_f32 v[4:5], v[6:7], v[2:3] op_sel:[0,1]
	v_pk_fma_f32 v[8:9], v[6:7], v[0:1], v[4:5] op_sel:[0,0,1] op_sel_hi:[1,1,0] neg_lo:[0,0,1] neg_hi:[0,0,1]
	v_pk_fma_f32 v[4:5], v[6:7], v[0:1], v[4:5] op_sel:[0,0,1] op_sel_hi:[1,0,0]
	s_delay_alu instid0(VALU_DEP_1)
	v_mov_b32_e32 v9, v5
	ds_load_2addr_b64 v[4:7], v216 offset0:58 offset1:59
	v_pk_add_f32 v[232:233], v[232:233], v[10:11] neg_lo:[0,1] neg_hi:[0,1]
	v_pk_add_f32 v[226:227], v[226:227], v[8:9] neg_lo:[0,1] neg_hi:[0,1]
	s_wait_dscnt 0x0
	v_pk_mul_f32 v[8:9], v[4:5], v[2:3] op_sel:[0,1]
	v_pk_mul_f32 v[2:3], v[6:7], v[2:3] op_sel:[0,1]
	s_delay_alu instid0(VALU_DEP_2) | instskip(SKIP_1) | instid1(VALU_DEP_1)
	v_pk_fma_f32 v[10:11], v[4:5], v[0:1], v[8:9] op_sel:[0,0,1] op_sel_hi:[1,1,0] neg_lo:[0,0,1] neg_hi:[0,0,1]
	v_pk_fma_f32 v[4:5], v[4:5], v[0:1], v[8:9] op_sel:[0,0,1] op_sel_hi:[1,0,0]
	v_mov_b32_e32 v11, v5
	s_delay_alu instid0(VALU_DEP_4) | instskip(SKIP_1) | instid1(VALU_DEP_1)
	v_pk_fma_f32 v[4:5], v[6:7], v[0:1], v[2:3] op_sel:[0,0,1] op_sel_hi:[1,1,0] neg_lo:[0,0,1] neg_hi:[0,0,1]
	v_pk_fma_f32 v[0:1], v[6:7], v[0:1], v[2:3] op_sel:[0,0,1] op_sel_hi:[1,0,0]
	v_mov_b32_e32 v5, v1
	s_delay_alu instid0(VALU_DEP_4) | instskip(NEXT) | instid1(VALU_DEP_2)
	v_pk_add_f32 v[238:239], v[238:239], v[10:11] neg_lo:[0,1] neg_hi:[0,1]
	v_pk_add_f32 v[240:241], v[240:241], v[4:5] neg_lo:[0,1] neg_hi:[0,1]
.LBB119_19:
	s_wait_xcnt 0x0
	s_or_b32 exec_lo, exec_lo, s1
	s_delay_alu instid0(SALU_CYCLE_1)
	s_mov_b32 s2, exec_lo
	s_wait_storecnt 0x0
	s_barrier_signal -1
	s_barrier_wait -1
	v_cmpx_eq_u32_e32 2, v206
	s_cbranch_execz .LBB119_26
; %bb.20:
	ds_store_b64 v207, v[46:47]
	ds_store_2addr_b64 v216, v[44:45], v[26:27] offset0:3 offset1:4
	ds_store_2addr_b64 v216, v[22:23], v[24:25] offset0:5 offset1:6
	;; [unrolled: 1-line block ×28, first 2 shown]
	ds_store_b64 v216, v[240:241] offset:472
	ds_load_b64 v[0:1], v207
	s_wait_dscnt 0x0
	v_cmp_neq_f32_e32 vcc_lo, 0, v0
	v_cmp_neq_f32_e64 s1, 0, v1
	s_or_b32 s1, vcc_lo, s1
	s_delay_alu instid0(SALU_CYCLE_1)
	s_and_b32 exec_lo, exec_lo, s1
	s_cbranch_execz .LBB119_26
; %bb.21:
	v_cmp_ngt_f32_e64 s1, |v0|, |v1|
                                        ; implicit-def: $vgpr2_vgpr3
	s_and_saveexec_b32 s4, s1
	s_delay_alu instid0(SALU_CYCLE_1)
	s_xor_b32 s1, exec_lo, s4
	s_cbranch_execz .LBB119_23
; %bb.22:
	v_div_scale_f32 v2, null, v1, v1, v0
	v_div_scale_f32 v5, vcc_lo, v0, v1, v0
	s_delay_alu instid0(VALU_DEP_2) | instskip(SKIP_1) | instid1(TRANS32_DEP_1)
	v_rcp_f32_e32 v3, v2
	v_nop
	v_fma_f32 v4, -v2, v3, 1.0
	s_delay_alu instid0(VALU_DEP_1) | instskip(NEXT) | instid1(VALU_DEP_1)
	v_fmac_f32_e32 v3, v4, v3
	v_mul_f32_e32 v4, v5, v3
	s_delay_alu instid0(VALU_DEP_1) | instskip(NEXT) | instid1(VALU_DEP_1)
	v_fma_f32 v6, -v2, v4, v5
	v_fmac_f32_e32 v4, v6, v3
	s_delay_alu instid0(VALU_DEP_1) | instskip(NEXT) | instid1(VALU_DEP_1)
	v_fma_f32 v2, -v2, v4, v5
	v_div_fmas_f32 v2, v2, v3, v4
	s_delay_alu instid0(VALU_DEP_1) | instskip(NEXT) | instid1(VALU_DEP_1)
	v_div_fixup_f32 v2, v2, v1, v0
	v_fmac_f32_e32 v1, v0, v2
	s_delay_alu instid0(VALU_DEP_1) | instskip(SKIP_1) | instid1(VALU_DEP_2)
	v_div_scale_f32 v0, null, v1, v1, 1.0
	v_div_scale_f32 v5, vcc_lo, 1.0, v1, 1.0
	v_rcp_f32_e32 v3, v0
	v_nop
	s_delay_alu instid0(TRANS32_DEP_1) | instskip(NEXT) | instid1(VALU_DEP_1)
	v_fma_f32 v4, -v0, v3, 1.0
	v_fmac_f32_e32 v3, v4, v3
	s_delay_alu instid0(VALU_DEP_1) | instskip(NEXT) | instid1(VALU_DEP_1)
	v_mul_f32_e32 v4, v5, v3
	v_fma_f32 v6, -v0, v4, v5
	s_delay_alu instid0(VALU_DEP_1) | instskip(NEXT) | instid1(VALU_DEP_1)
	v_fmac_f32_e32 v4, v6, v3
	v_fma_f32 v0, -v0, v4, v5
	s_delay_alu instid0(VALU_DEP_1) | instskip(NEXT) | instid1(VALU_DEP_1)
	v_div_fmas_f32 v0, v0, v3, v4
	v_div_fixup_f32 v0, v0, v1, 1.0
	s_delay_alu instid0(VALU_DEP_1)
	v_mul_f32_e32 v2, v2, v0
	v_xor_b32_e32 v3, 0x80000000, v0
                                        ; implicit-def: $vgpr0_vgpr1
.LBB119_23:
	s_and_not1_saveexec_b32 s1, s1
	s_cbranch_execz .LBB119_25
; %bb.24:
	v_div_scale_f32 v2, null, v0, v0, v1
	v_div_scale_f32 v5, vcc_lo, v1, v0, v1
	s_delay_alu instid0(VALU_DEP_2) | instskip(SKIP_1) | instid1(TRANS32_DEP_1)
	v_rcp_f32_e32 v3, v2
	v_nop
	v_fma_f32 v4, -v2, v3, 1.0
	s_delay_alu instid0(VALU_DEP_1) | instskip(NEXT) | instid1(VALU_DEP_1)
	v_fmac_f32_e32 v3, v4, v3
	v_mul_f32_e32 v4, v5, v3
	s_delay_alu instid0(VALU_DEP_1) | instskip(NEXT) | instid1(VALU_DEP_1)
	v_fma_f32 v6, -v2, v4, v5
	v_fmac_f32_e32 v4, v6, v3
	s_delay_alu instid0(VALU_DEP_1) | instskip(NEXT) | instid1(VALU_DEP_1)
	v_fma_f32 v2, -v2, v4, v5
	v_div_fmas_f32 v2, v2, v3, v4
	s_delay_alu instid0(VALU_DEP_1) | instskip(NEXT) | instid1(VALU_DEP_1)
	v_div_fixup_f32 v3, v2, v0, v1
	v_fmac_f32_e32 v0, v1, v3
	s_delay_alu instid0(VALU_DEP_1) | instskip(NEXT) | instid1(VALU_DEP_1)
	v_div_scale_f32 v1, null, v0, v0, 1.0
	v_rcp_f32_e32 v2, v1
	v_nop
	s_delay_alu instid0(TRANS32_DEP_1) | instskip(NEXT) | instid1(VALU_DEP_1)
	v_fma_f32 v4, -v1, v2, 1.0
	v_fmac_f32_e32 v2, v4, v2
	v_div_scale_f32 v4, vcc_lo, 1.0, v0, 1.0
	s_delay_alu instid0(VALU_DEP_1) | instskip(NEXT) | instid1(VALU_DEP_1)
	v_mul_f32_e32 v5, v4, v2
	v_fma_f32 v6, -v1, v5, v4
	s_delay_alu instid0(VALU_DEP_1) | instskip(NEXT) | instid1(VALU_DEP_1)
	v_fmac_f32_e32 v5, v6, v2
	v_fma_f32 v1, -v1, v5, v4
	s_delay_alu instid0(VALU_DEP_1) | instskip(NEXT) | instid1(VALU_DEP_1)
	v_div_fmas_f32 v1, v1, v2, v5
	v_div_fixup_f32 v2, v1, v0, 1.0
	s_delay_alu instid0(VALU_DEP_1)
	v_mul_f32_e64 v3, v3, -v2
.LBB119_25:
	s_or_b32 exec_lo, exec_lo, s1
	ds_store_b64 v207, v[2:3]
.LBB119_26:
	s_or_b32 exec_lo, exec_lo, s2
	s_wait_dscnt 0x0
	s_barrier_signal -1
	s_barrier_wait -1
	ds_load_b64 v[0:1], v207
	s_mov_b32 s1, exec_lo
	s_wait_dscnt 0x0
	scratch_store_b64 off, v[0:1], off offset:424 ; 8-byte Folded Spill
	s_wait_xcnt 0x0
	v_cmpx_lt_u32_e32 2, v206
	s_cbranch_execz .LBB119_28
; %bb.27:
	scratch_load_b64 v[4:5], off, off offset:424 ; 8-byte Folded Reload
	s_wait_loadcnt 0x0
	v_pk_mul_f32 v[2:3], v[4:5], v[46:47] op_sel:[1,1] op_sel_hi:[0,1]
	s_delay_alu instid0(VALU_DEP_1)
	v_pk_fma_f32 v[0:1], v[4:5], v[46:47], v[2:3] op_sel_hi:[1,0,1] neg_lo:[0,0,1] neg_hi:[0,0,1]
	v_pk_fma_f32 v[2:3], v[4:5], v[46:47], v[2:3] op_sel_hi:[1,0,1]
	ds_load_2addr_b64 v[4:7], v216 offset0:3 offset1:4
	v_dual_mov_b32 v46, v0 :: v_dual_mov_b32 v47, v3
	s_wait_dscnt 0x0
	v_pk_mul_f32 v[8:9], v[4:5], v[2:3] op_sel:[0,1]
	s_delay_alu instid0(VALU_DEP_1) | instskip(SKIP_1) | instid1(VALU_DEP_1)
	v_pk_fma_f32 v[10:11], v[4:5], v[0:1], v[8:9] op_sel:[0,0,1] op_sel_hi:[1,1,0] neg_lo:[0,0,1] neg_hi:[0,0,1]
	v_pk_fma_f32 v[4:5], v[4:5], v[0:1], v[8:9] op_sel:[0,0,1] op_sel_hi:[1,0,0]
	v_mov_b32_e32 v11, v5
	v_pk_mul_f32 v[4:5], v[6:7], v[2:3] op_sel:[0,1]
	s_delay_alu instid0(VALU_DEP_1) | instskip(SKIP_1) | instid1(VALU_DEP_1)
	v_pk_fma_f32 v[8:9], v[6:7], v[0:1], v[4:5] op_sel:[0,0,1] op_sel_hi:[1,1,0] neg_lo:[0,0,1] neg_hi:[0,0,1]
	v_pk_fma_f32 v[4:5], v[6:7], v[0:1], v[4:5] op_sel:[0,0,1] op_sel_hi:[1,0,0]
	v_mov_b32_e32 v9, v5
	ds_load_2addr_b64 v[4:7], v216 offset0:5 offset1:6
	v_pk_add_f32 v[44:45], v[44:45], v[10:11] neg_lo:[0,1] neg_hi:[0,1]
	v_pk_add_f32 v[26:27], v[26:27], v[8:9] neg_lo:[0,1] neg_hi:[0,1]
	s_wait_dscnt 0x0
	v_pk_mul_f32 v[8:9], v[4:5], v[2:3] op_sel:[0,1]
	s_delay_alu instid0(VALU_DEP_1) | instskip(SKIP_2) | instid1(VALU_DEP_2)
	v_pk_fma_f32 v[10:11], v[4:5], v[0:1], v[8:9] op_sel:[0,0,1] op_sel_hi:[1,1,0] neg_lo:[0,0,1] neg_hi:[0,0,1]
	v_pk_fma_f32 v[4:5], v[4:5], v[0:1], v[8:9] op_sel:[0,0,1] op_sel_hi:[1,0,0]
	v_dual_mul_f32 v8, v7, v3 :: v_dual_mov_b32 v4, v7
	v_dual_mov_b32 v11, v5 :: v_dual_mov_b32 v5, v6
	s_delay_alu instid0(VALU_DEP_2) | instskip(SKIP_1) | instid1(VALU_DEP_3)
	v_pk_fma_f32 v[8:9], v[6:7], v[46:47], v[8:9] op_sel_hi:[1,1,0] neg_lo:[0,0,1] neg_hi:[0,0,1]
	v_mul_f32_e32 v6, v7, v0
	v_pk_add_f32 v[22:23], v[22:23], v[10:11] neg_lo:[0,1] neg_hi:[0,1]
	s_delay_alu instid0(VALU_DEP_2) | instskip(NEXT) | instid1(VALU_DEP_1)
	v_pk_fma_f32 v[4:5], v[4:5], v[46:47], v[6:7] op_sel_hi:[1,1,0]
	v_mov_b32_e32 v9, v5
	ds_load_2addr_b64 v[4:7], v216 offset0:7 offset1:8
	v_pk_add_f32 v[24:25], v[24:25], v[8:9] neg_lo:[0,1] neg_hi:[0,1]
	s_wait_dscnt 0x0
	v_pk_mul_f32 v[8:9], v[4:5], v[2:3] op_sel:[0,1]
	s_delay_alu instid0(VALU_DEP_1) | instskip(SKIP_1) | instid1(VALU_DEP_1)
	v_pk_fma_f32 v[10:11], v[4:5], v[0:1], v[8:9] op_sel:[0,0,1] op_sel_hi:[1,1,0] neg_lo:[0,0,1] neg_hi:[0,0,1]
	v_pk_fma_f32 v[4:5], v[4:5], v[0:1], v[8:9] op_sel:[0,0,1] op_sel_hi:[1,0,0]
	v_mov_b32_e32 v11, v5
	v_pk_mul_f32 v[4:5], v[6:7], v[2:3] op_sel:[0,1]
	s_delay_alu instid0(VALU_DEP_1) | instskip(SKIP_1) | instid1(VALU_DEP_1)
	v_pk_fma_f32 v[8:9], v[6:7], v[0:1], v[4:5] op_sel:[0,0,1] op_sel_hi:[1,1,0] neg_lo:[0,0,1] neg_hi:[0,0,1]
	v_pk_fma_f32 v[4:5], v[6:7], v[0:1], v[4:5] op_sel:[0,0,1] op_sel_hi:[1,0,0]
	v_mov_b32_e32 v9, v5
	ds_load_2addr_b64 v[4:7], v216 offset0:9 offset1:10
	v_pk_add_f32 v[20:21], v[20:21], v[10:11] neg_lo:[0,1] neg_hi:[0,1]
	v_pk_add_f32 v[40:41], v[40:41], v[8:9] neg_lo:[0,1] neg_hi:[0,1]
	s_wait_dscnt 0x0
	v_pk_mul_f32 v[8:9], v[4:5], v[2:3] op_sel:[0,1]
	s_delay_alu instid0(VALU_DEP_1) | instskip(SKIP_1) | instid1(VALU_DEP_1)
	v_pk_fma_f32 v[10:11], v[4:5], v[0:1], v[8:9] op_sel:[0,0,1] op_sel_hi:[1,1,0] neg_lo:[0,0,1] neg_hi:[0,0,1]
	v_pk_fma_f32 v[4:5], v[4:5], v[0:1], v[8:9] op_sel:[0,0,1] op_sel_hi:[1,0,0]
	v_mov_b32_e32 v11, v5
	v_pk_mul_f32 v[4:5], v[6:7], v[2:3] op_sel:[0,1]
	s_delay_alu instid0(VALU_DEP_1) | instskip(SKIP_1) | instid1(VALU_DEP_1)
	v_pk_fma_f32 v[8:9], v[6:7], v[0:1], v[4:5] op_sel:[0,0,1] op_sel_hi:[1,1,0] neg_lo:[0,0,1] neg_hi:[0,0,1]
	v_pk_fma_f32 v[4:5], v[6:7], v[0:1], v[4:5] op_sel:[0,0,1] op_sel_hi:[1,0,0]
	v_mov_b32_e32 v9, v5
	ds_load_2addr_b64 v[4:7], v216 offset0:11 offset1:12
	v_pk_add_f32 v[36:37], v[36:37], v[10:11] neg_lo:[0,1] neg_hi:[0,1]
	v_pk_add_f32 v[38:39], v[38:39], v[8:9] neg_lo:[0,1] neg_hi:[0,1]
	s_wait_dscnt 0x0
	v_dual_mul_f32 v8, v5, v3 :: v_dual_mul_f32 v10, v5, v0
	s_delay_alu instid0(VALU_DEP_1) | instskip(NEXT) | instid1(VALU_DEP_2)
	v_pk_fma_f32 v[8:9], v[4:5], v[46:47], v[8:9] op_sel_hi:[1,1,0] neg_lo:[0,0,1] neg_hi:[0,0,1]
	v_pk_fma_f32 v[4:5], v[4:5], v[46:47], v[10:11] op_sel:[1,0,0] op_sel_hi:[0,1,0]
	s_delay_alu instid0(VALU_DEP_1) | instskip(SKIP_1) | instid1(VALU_DEP_2)
	v_mov_b32_e32 v9, v5
	v_pk_mul_f32 v[4:5], v[6:7], v[2:3] op_sel:[0,1]
	v_pk_add_f32 v[34:35], v[34:35], v[8:9] neg_lo:[0,1] neg_hi:[0,1]
	s_delay_alu instid0(VALU_DEP_2) | instskip(SKIP_1) | instid1(VALU_DEP_1)
	v_pk_fma_f32 v[8:9], v[6:7], v[0:1], v[4:5] op_sel:[0,0,1] op_sel_hi:[1,1,0] neg_lo:[0,0,1] neg_hi:[0,0,1]
	v_pk_fma_f32 v[4:5], v[6:7], v[0:1], v[4:5] op_sel:[0,0,1] op_sel_hi:[1,0,0]
	v_mov_b32_e32 v9, v5
	ds_load_2addr_b64 v[4:7], v216 offset0:13 offset1:14
	v_pk_add_f32 v[66:67], v[66:67], v[8:9] neg_lo:[0,1] neg_hi:[0,1]
	s_wait_dscnt 0x0
	v_pk_mul_f32 v[8:9], v[4:5], v[2:3] op_sel:[0,1]
	s_delay_alu instid0(VALU_DEP_1) | instskip(SKIP_1) | instid1(VALU_DEP_1)
	v_pk_fma_f32 v[10:11], v[4:5], v[0:1], v[8:9] op_sel:[0,0,1] op_sel_hi:[1,1,0] neg_lo:[0,0,1] neg_hi:[0,0,1]
	v_pk_fma_f32 v[4:5], v[4:5], v[0:1], v[8:9] op_sel:[0,0,1] op_sel_hi:[1,0,0]
	v_mov_b32_e32 v11, v5
	v_pk_mul_f32 v[4:5], v[6:7], v[2:3] op_sel:[0,1]
	s_delay_alu instid0(VALU_DEP_2) | instskip(NEXT) | instid1(VALU_DEP_2)
	v_pk_add_f32 v[62:63], v[62:63], v[10:11] neg_lo:[0,1] neg_hi:[0,1]
	v_pk_fma_f32 v[8:9], v[6:7], v[0:1], v[4:5] op_sel:[0,0,1] op_sel_hi:[1,1,0] neg_lo:[0,0,1] neg_hi:[0,0,1]
	v_pk_fma_f32 v[4:5], v[6:7], v[0:1], v[4:5] op_sel:[0,0,1] op_sel_hi:[1,0,0]
	s_delay_alu instid0(VALU_DEP_1) | instskip(SKIP_4) | instid1(VALU_DEP_1)
	v_mov_b32_e32 v9, v5
	ds_load_2addr_b64 v[4:7], v216 offset0:15 offset1:16
	v_pk_add_f32 v[64:65], v[64:65], v[8:9] neg_lo:[0,1] neg_hi:[0,1]
	s_wait_dscnt 0x0
	v_pk_mul_f32 v[8:9], v[4:5], v[2:3] op_sel:[0,1]
	v_pk_fma_f32 v[10:11], v[4:5], v[0:1], v[8:9] op_sel:[0,0,1] op_sel_hi:[1,1,0] neg_lo:[0,0,1] neg_hi:[0,0,1]
	v_pk_fma_f32 v[4:5], v[4:5], v[0:1], v[8:9] op_sel:[0,0,1] op_sel_hi:[1,0,0]
	v_dual_mul_f32 v8, v7, v3 :: v_dual_mov_b32 v4, v7
	s_delay_alu instid0(VALU_DEP_2) | instskip(NEXT) | instid1(VALU_DEP_2)
	v_dual_mov_b32 v11, v5 :: v_dual_mov_b32 v5, v6
	v_pk_fma_f32 v[8:9], v[6:7], v[46:47], v[8:9] op_sel_hi:[1,1,0] neg_lo:[0,0,1] neg_hi:[0,0,1]
	v_mul_f32_e32 v6, v7, v0
	s_delay_alu instid0(VALU_DEP_3) | instskip(NEXT) | instid1(VALU_DEP_2)
	v_pk_add_f32 v[60:61], v[60:61], v[10:11] neg_lo:[0,1] neg_hi:[0,1]
	v_pk_fma_f32 v[4:5], v[4:5], v[46:47], v[6:7] op_sel_hi:[1,1,0]
	s_delay_alu instid0(VALU_DEP_1) | instskip(SKIP_4) | instid1(VALU_DEP_1)
	v_mov_b32_e32 v9, v5
	ds_load_2addr_b64 v[4:7], v216 offset0:17 offset1:18
	v_pk_add_f32 v[82:83], v[82:83], v[8:9] neg_lo:[0,1] neg_hi:[0,1]
	s_wait_dscnt 0x0
	v_pk_mul_f32 v[8:9], v[4:5], v[2:3] op_sel:[0,1]
	v_pk_fma_f32 v[10:11], v[4:5], v[0:1], v[8:9] op_sel:[0,0,1] op_sel_hi:[1,1,0] neg_lo:[0,0,1] neg_hi:[0,0,1]
	v_pk_fma_f32 v[4:5], v[4:5], v[0:1], v[8:9] op_sel:[0,0,1] op_sel_hi:[1,0,0]
	s_delay_alu instid0(VALU_DEP_1) | instskip(SKIP_1) | instid1(VALU_DEP_1)
	v_mov_b32_e32 v11, v5
	v_pk_mul_f32 v[4:5], v[6:7], v[2:3] op_sel:[0,1]
	v_pk_fma_f32 v[8:9], v[6:7], v[0:1], v[4:5] op_sel:[0,0,1] op_sel_hi:[1,1,0] neg_lo:[0,0,1] neg_hi:[0,0,1]
	v_pk_fma_f32 v[4:5], v[6:7], v[0:1], v[4:5] op_sel:[0,0,1] op_sel_hi:[1,0,0]
	s_delay_alu instid0(VALU_DEP_1)
	v_mov_b32_e32 v9, v5
	ds_load_2addr_b64 v[4:7], v216 offset0:19 offset1:20
	v_pk_add_f32 v[78:79], v[78:79], v[10:11] neg_lo:[0,1] neg_hi:[0,1]
	v_pk_add_f32 v[80:81], v[80:81], v[8:9] neg_lo:[0,1] neg_hi:[0,1]
	s_wait_dscnt 0x0
	v_pk_mul_f32 v[8:9], v[4:5], v[2:3] op_sel:[0,1]
	s_delay_alu instid0(VALU_DEP_1) | instskip(SKIP_1) | instid1(VALU_DEP_1)
	v_pk_fma_f32 v[10:11], v[4:5], v[0:1], v[8:9] op_sel:[0,0,1] op_sel_hi:[1,1,0] neg_lo:[0,0,1] neg_hi:[0,0,1]
	v_pk_fma_f32 v[4:5], v[4:5], v[0:1], v[8:9] op_sel:[0,0,1] op_sel_hi:[1,0,0]
	v_mov_b32_e32 v11, v5
	v_pk_mul_f32 v[4:5], v[6:7], v[2:3] op_sel:[0,1]
	s_delay_alu instid0(VALU_DEP_1) | instskip(SKIP_1) | instid1(VALU_DEP_1)
	v_pk_fma_f32 v[8:9], v[6:7], v[0:1], v[4:5] op_sel:[0,0,1] op_sel_hi:[1,1,0] neg_lo:[0,0,1] neg_hi:[0,0,1]
	v_pk_fma_f32 v[4:5], v[6:7], v[0:1], v[4:5] op_sel:[0,0,1] op_sel_hi:[1,0,0]
	v_mov_b32_e32 v9, v5
	ds_load_2addr_b64 v[4:7], v216 offset0:21 offset1:22
	v_pk_add_f32 v[76:77], v[76:77], v[10:11] neg_lo:[0,1] neg_hi:[0,1]
	v_pk_add_f32 v[98:99], v[98:99], v[8:9] neg_lo:[0,1] neg_hi:[0,1]
	s_wait_dscnt 0x0
	v_dual_mul_f32 v8, v5, v3 :: v_dual_mul_f32 v10, v5, v0
	s_delay_alu instid0(VALU_DEP_1) | instskip(NEXT) | instid1(VALU_DEP_2)
	v_pk_fma_f32 v[8:9], v[4:5], v[46:47], v[8:9] op_sel_hi:[1,1,0] neg_lo:[0,0,1] neg_hi:[0,0,1]
	v_pk_fma_f32 v[4:5], v[4:5], v[46:47], v[10:11] op_sel:[1,0,0] op_sel_hi:[0,1,0]
	s_delay_alu instid0(VALU_DEP_1) | instskip(SKIP_1) | instid1(VALU_DEP_2)
	v_mov_b32_e32 v9, v5
	v_pk_mul_f32 v[4:5], v[6:7], v[2:3] op_sel:[0,1]
	v_pk_add_f32 v[94:95], v[94:95], v[8:9] neg_lo:[0,1] neg_hi:[0,1]
	s_delay_alu instid0(VALU_DEP_2) | instskip(SKIP_1) | instid1(VALU_DEP_1)
	v_pk_fma_f32 v[8:9], v[6:7], v[0:1], v[4:5] op_sel:[0,0,1] op_sel_hi:[1,1,0] neg_lo:[0,0,1] neg_hi:[0,0,1]
	v_pk_fma_f32 v[4:5], v[6:7], v[0:1], v[4:5] op_sel:[0,0,1] op_sel_hi:[1,0,0]
	v_mov_b32_e32 v9, v5
	ds_load_2addr_b64 v[4:7], v216 offset0:23 offset1:24
	v_pk_add_f32 v[96:97], v[96:97], v[8:9] neg_lo:[0,1] neg_hi:[0,1]
	s_wait_dscnt 0x0
	v_pk_mul_f32 v[8:9], v[4:5], v[2:3] op_sel:[0,1]
	s_delay_alu instid0(VALU_DEP_1) | instskip(SKIP_1) | instid1(VALU_DEP_1)
	v_pk_fma_f32 v[10:11], v[4:5], v[0:1], v[8:9] op_sel:[0,0,1] op_sel_hi:[1,1,0] neg_lo:[0,0,1] neg_hi:[0,0,1]
	v_pk_fma_f32 v[4:5], v[4:5], v[0:1], v[8:9] op_sel:[0,0,1] op_sel_hi:[1,0,0]
	v_mov_b32_e32 v11, v5
	v_pk_mul_f32 v[4:5], v[6:7], v[2:3] op_sel:[0,1]
	s_delay_alu instid0(VALU_DEP_2) | instskip(NEXT) | instid1(VALU_DEP_2)
	v_pk_add_f32 v[92:93], v[92:93], v[10:11] neg_lo:[0,1] neg_hi:[0,1]
	v_pk_fma_f32 v[8:9], v[6:7], v[0:1], v[4:5] op_sel:[0,0,1] op_sel_hi:[1,1,0] neg_lo:[0,0,1] neg_hi:[0,0,1]
	v_pk_fma_f32 v[4:5], v[6:7], v[0:1], v[4:5] op_sel:[0,0,1] op_sel_hi:[1,0,0]
	s_delay_alu instid0(VALU_DEP_1) | instskip(SKIP_4) | instid1(VALU_DEP_1)
	v_mov_b32_e32 v9, v5
	ds_load_2addr_b64 v[4:7], v216 offset0:25 offset1:26
	v_pk_add_f32 v[114:115], v[114:115], v[8:9] neg_lo:[0,1] neg_hi:[0,1]
	s_wait_dscnt 0x0
	v_pk_mul_f32 v[8:9], v[4:5], v[2:3] op_sel:[0,1]
	v_pk_fma_f32 v[10:11], v[4:5], v[0:1], v[8:9] op_sel:[0,0,1] op_sel_hi:[1,1,0] neg_lo:[0,0,1] neg_hi:[0,0,1]
	v_pk_fma_f32 v[4:5], v[4:5], v[0:1], v[8:9] op_sel:[0,0,1] op_sel_hi:[1,0,0]
	v_dual_mul_f32 v8, v7, v3 :: v_dual_mov_b32 v4, v7
	s_delay_alu instid0(VALU_DEP_2) | instskip(NEXT) | instid1(VALU_DEP_2)
	v_dual_mov_b32 v11, v5 :: v_dual_mov_b32 v5, v6
	v_pk_fma_f32 v[8:9], v[6:7], v[46:47], v[8:9] op_sel_hi:[1,1,0] neg_lo:[0,0,1] neg_hi:[0,0,1]
	v_mul_f32_e32 v6, v7, v0
	s_delay_alu instid0(VALU_DEP_3) | instskip(NEXT) | instid1(VALU_DEP_2)
	v_pk_add_f32 v[110:111], v[110:111], v[10:11] neg_lo:[0,1] neg_hi:[0,1]
	v_pk_fma_f32 v[4:5], v[4:5], v[46:47], v[6:7] op_sel_hi:[1,1,0]
	s_delay_alu instid0(VALU_DEP_1) | instskip(SKIP_4) | instid1(VALU_DEP_1)
	v_mov_b32_e32 v9, v5
	ds_load_2addr_b64 v[4:7], v216 offset0:27 offset1:28
	v_pk_add_f32 v[112:113], v[112:113], v[8:9] neg_lo:[0,1] neg_hi:[0,1]
	s_wait_dscnt 0x0
	v_pk_mul_f32 v[8:9], v[4:5], v[2:3] op_sel:[0,1]
	v_pk_fma_f32 v[10:11], v[4:5], v[0:1], v[8:9] op_sel:[0,0,1] op_sel_hi:[1,1,0] neg_lo:[0,0,1] neg_hi:[0,0,1]
	v_pk_fma_f32 v[4:5], v[4:5], v[0:1], v[8:9] op_sel:[0,0,1] op_sel_hi:[1,0,0]
	s_delay_alu instid0(VALU_DEP_1) | instskip(SKIP_1) | instid1(VALU_DEP_1)
	v_mov_b32_e32 v11, v5
	v_pk_mul_f32 v[4:5], v[6:7], v[2:3] op_sel:[0,1]
	v_pk_fma_f32 v[8:9], v[6:7], v[0:1], v[4:5] op_sel:[0,0,1] op_sel_hi:[1,1,0] neg_lo:[0,0,1] neg_hi:[0,0,1]
	v_pk_fma_f32 v[4:5], v[6:7], v[0:1], v[4:5] op_sel:[0,0,1] op_sel_hi:[1,0,0]
	s_delay_alu instid0(VALU_DEP_1)
	v_mov_b32_e32 v9, v5
	ds_load_2addr_b64 v[4:7], v216 offset0:29 offset1:30
	v_pk_add_f32 v[108:109], v[108:109], v[10:11] neg_lo:[0,1] neg_hi:[0,1]
	v_pk_add_f32 v[130:131], v[130:131], v[8:9] neg_lo:[0,1] neg_hi:[0,1]
	s_wait_dscnt 0x0
	v_pk_mul_f32 v[8:9], v[4:5], v[2:3] op_sel:[0,1]
	s_delay_alu instid0(VALU_DEP_1) | instskip(SKIP_1) | instid1(VALU_DEP_1)
	v_pk_fma_f32 v[10:11], v[4:5], v[0:1], v[8:9] op_sel:[0,0,1] op_sel_hi:[1,1,0] neg_lo:[0,0,1] neg_hi:[0,0,1]
	v_pk_fma_f32 v[4:5], v[4:5], v[0:1], v[8:9] op_sel:[0,0,1] op_sel_hi:[1,0,0]
	v_mov_b32_e32 v11, v5
	v_pk_mul_f32 v[4:5], v[6:7], v[2:3] op_sel:[0,1]
	s_delay_alu instid0(VALU_DEP_1) | instskip(SKIP_1) | instid1(VALU_DEP_1)
	v_pk_fma_f32 v[8:9], v[6:7], v[0:1], v[4:5] op_sel:[0,0,1] op_sel_hi:[1,1,0] neg_lo:[0,0,1] neg_hi:[0,0,1]
	v_pk_fma_f32 v[4:5], v[6:7], v[0:1], v[4:5] op_sel:[0,0,1] op_sel_hi:[1,0,0]
	v_mov_b32_e32 v9, v5
	ds_load_2addr_b64 v[4:7], v216 offset0:31 offset1:32
	v_pk_add_f32 v[126:127], v[126:127], v[10:11] neg_lo:[0,1] neg_hi:[0,1]
	v_pk_add_f32 v[128:129], v[128:129], v[8:9] neg_lo:[0,1] neg_hi:[0,1]
	s_wait_dscnt 0x0
	v_dual_mul_f32 v8, v5, v3 :: v_dual_mul_f32 v10, v5, v0
	s_delay_alu instid0(VALU_DEP_1) | instskip(NEXT) | instid1(VALU_DEP_2)
	v_pk_fma_f32 v[8:9], v[4:5], v[46:47], v[8:9] op_sel_hi:[1,1,0] neg_lo:[0,0,1] neg_hi:[0,0,1]
	v_pk_fma_f32 v[4:5], v[4:5], v[46:47], v[10:11] op_sel:[1,0,0] op_sel_hi:[0,1,0]
	s_delay_alu instid0(VALU_DEP_1) | instskip(SKIP_1) | instid1(VALU_DEP_2)
	v_mov_b32_e32 v9, v5
	v_pk_mul_f32 v[4:5], v[6:7], v[2:3] op_sel:[0,1]
	v_pk_add_f32 v[124:125], v[124:125], v[8:9] neg_lo:[0,1] neg_hi:[0,1]
	s_delay_alu instid0(VALU_DEP_2) | instskip(SKIP_1) | instid1(VALU_DEP_1)
	v_pk_fma_f32 v[8:9], v[6:7], v[0:1], v[4:5] op_sel:[0,0,1] op_sel_hi:[1,1,0] neg_lo:[0,0,1] neg_hi:[0,0,1]
	v_pk_fma_f32 v[4:5], v[6:7], v[0:1], v[4:5] op_sel:[0,0,1] op_sel_hi:[1,0,0]
	v_mov_b32_e32 v9, v5
	ds_load_2addr_b64 v[4:7], v216 offset0:33 offset1:34
	v_pk_add_f32 v[146:147], v[146:147], v[8:9] neg_lo:[0,1] neg_hi:[0,1]
	s_wait_dscnt 0x0
	v_pk_mul_f32 v[8:9], v[4:5], v[2:3] op_sel:[0,1]
	s_delay_alu instid0(VALU_DEP_1) | instskip(SKIP_1) | instid1(VALU_DEP_1)
	v_pk_fma_f32 v[10:11], v[4:5], v[0:1], v[8:9] op_sel:[0,0,1] op_sel_hi:[1,1,0] neg_lo:[0,0,1] neg_hi:[0,0,1]
	v_pk_fma_f32 v[4:5], v[4:5], v[0:1], v[8:9] op_sel:[0,0,1] op_sel_hi:[1,0,0]
	v_mov_b32_e32 v11, v5
	v_pk_mul_f32 v[4:5], v[6:7], v[2:3] op_sel:[0,1]
	s_delay_alu instid0(VALU_DEP_2) | instskip(NEXT) | instid1(VALU_DEP_2)
	v_pk_add_f32 v[142:143], v[142:143], v[10:11] neg_lo:[0,1] neg_hi:[0,1]
	v_pk_fma_f32 v[8:9], v[6:7], v[0:1], v[4:5] op_sel:[0,0,1] op_sel_hi:[1,1,0] neg_lo:[0,0,1] neg_hi:[0,0,1]
	v_pk_fma_f32 v[4:5], v[6:7], v[0:1], v[4:5] op_sel:[0,0,1] op_sel_hi:[1,0,0]
	s_delay_alu instid0(VALU_DEP_1) | instskip(SKIP_4) | instid1(VALU_DEP_1)
	v_mov_b32_e32 v9, v5
	ds_load_2addr_b64 v[4:7], v216 offset0:35 offset1:36
	v_pk_add_f32 v[144:145], v[144:145], v[8:9] neg_lo:[0,1] neg_hi:[0,1]
	s_wait_dscnt 0x0
	v_pk_mul_f32 v[8:9], v[4:5], v[2:3] op_sel:[0,1]
	v_pk_fma_f32 v[10:11], v[4:5], v[0:1], v[8:9] op_sel:[0,0,1] op_sel_hi:[1,1,0] neg_lo:[0,0,1] neg_hi:[0,0,1]
	v_pk_fma_f32 v[4:5], v[4:5], v[0:1], v[8:9] op_sel:[0,0,1] op_sel_hi:[1,0,0]
	v_dual_mul_f32 v8, v7, v3 :: v_dual_mov_b32 v4, v7
	s_delay_alu instid0(VALU_DEP_2) | instskip(NEXT) | instid1(VALU_DEP_2)
	v_dual_mov_b32 v11, v5 :: v_dual_mov_b32 v5, v6
	v_pk_fma_f32 v[8:9], v[6:7], v[46:47], v[8:9] op_sel_hi:[1,1,0] neg_lo:[0,0,1] neg_hi:[0,0,1]
	v_mul_f32_e32 v6, v7, v0
	s_delay_alu instid0(VALU_DEP_3) | instskip(NEXT) | instid1(VALU_DEP_2)
	v_pk_add_f32 v[140:141], v[140:141], v[10:11] neg_lo:[0,1] neg_hi:[0,1]
	v_pk_fma_f32 v[4:5], v[4:5], v[46:47], v[6:7] op_sel_hi:[1,1,0]
	s_delay_alu instid0(VALU_DEP_1) | instskip(SKIP_4) | instid1(VALU_DEP_1)
	v_mov_b32_e32 v9, v5
	ds_load_2addr_b64 v[4:7], v216 offset0:37 offset1:38
	v_pk_add_f32 v[162:163], v[162:163], v[8:9] neg_lo:[0,1] neg_hi:[0,1]
	s_wait_dscnt 0x0
	v_pk_mul_f32 v[8:9], v[4:5], v[2:3] op_sel:[0,1]
	v_pk_fma_f32 v[10:11], v[4:5], v[0:1], v[8:9] op_sel:[0,0,1] op_sel_hi:[1,1,0] neg_lo:[0,0,1] neg_hi:[0,0,1]
	v_pk_fma_f32 v[4:5], v[4:5], v[0:1], v[8:9] op_sel:[0,0,1] op_sel_hi:[1,0,0]
	s_delay_alu instid0(VALU_DEP_1) | instskip(SKIP_1) | instid1(VALU_DEP_1)
	v_mov_b32_e32 v11, v5
	v_pk_mul_f32 v[4:5], v[6:7], v[2:3] op_sel:[0,1]
	v_pk_fma_f32 v[8:9], v[6:7], v[0:1], v[4:5] op_sel:[0,0,1] op_sel_hi:[1,1,0] neg_lo:[0,0,1] neg_hi:[0,0,1]
	v_pk_fma_f32 v[4:5], v[6:7], v[0:1], v[4:5] op_sel:[0,0,1] op_sel_hi:[1,0,0]
	s_delay_alu instid0(VALU_DEP_1)
	v_mov_b32_e32 v9, v5
	ds_load_2addr_b64 v[4:7], v216 offset0:39 offset1:40
	v_pk_add_f32 v[158:159], v[158:159], v[10:11] neg_lo:[0,1] neg_hi:[0,1]
	v_pk_add_f32 v[160:161], v[160:161], v[8:9] neg_lo:[0,1] neg_hi:[0,1]
	s_wait_dscnt 0x0
	v_pk_mul_f32 v[8:9], v[4:5], v[2:3] op_sel:[0,1]
	s_delay_alu instid0(VALU_DEP_1) | instskip(SKIP_1) | instid1(VALU_DEP_1)
	v_pk_fma_f32 v[10:11], v[4:5], v[0:1], v[8:9] op_sel:[0,0,1] op_sel_hi:[1,1,0] neg_lo:[0,0,1] neg_hi:[0,0,1]
	v_pk_fma_f32 v[4:5], v[4:5], v[0:1], v[8:9] op_sel:[0,0,1] op_sel_hi:[1,0,0]
	v_mov_b32_e32 v11, v5
	v_pk_mul_f32 v[4:5], v[6:7], v[2:3] op_sel:[0,1]
	s_delay_alu instid0(VALU_DEP_1) | instskip(SKIP_1) | instid1(VALU_DEP_1)
	v_pk_fma_f32 v[8:9], v[6:7], v[0:1], v[4:5] op_sel:[0,0,1] op_sel_hi:[1,1,0] neg_lo:[0,0,1] neg_hi:[0,0,1]
	v_pk_fma_f32 v[4:5], v[6:7], v[0:1], v[4:5] op_sel:[0,0,1] op_sel_hi:[1,0,0]
	v_mov_b32_e32 v9, v5
	ds_load_2addr_b64 v[4:7], v216 offset0:41 offset1:42
	v_pk_add_f32 v[156:157], v[156:157], v[10:11] neg_lo:[0,1] neg_hi:[0,1]
	v_pk_add_f32 v[178:179], v[178:179], v[8:9] neg_lo:[0,1] neg_hi:[0,1]
	s_wait_dscnt 0x0
	v_dual_mul_f32 v8, v5, v3 :: v_dual_mul_f32 v10, v5, v0
	s_delay_alu instid0(VALU_DEP_1) | instskip(NEXT) | instid1(VALU_DEP_2)
	v_pk_fma_f32 v[8:9], v[4:5], v[46:47], v[8:9] op_sel_hi:[1,1,0] neg_lo:[0,0,1] neg_hi:[0,0,1]
	v_pk_fma_f32 v[4:5], v[4:5], v[46:47], v[10:11] op_sel:[1,0,0] op_sel_hi:[0,1,0]
	s_delay_alu instid0(VALU_DEP_1) | instskip(SKIP_1) | instid1(VALU_DEP_2)
	v_mov_b32_e32 v9, v5
	v_pk_mul_f32 v[4:5], v[6:7], v[2:3] op_sel:[0,1]
	v_pk_add_f32 v[174:175], v[174:175], v[8:9] neg_lo:[0,1] neg_hi:[0,1]
	s_delay_alu instid0(VALU_DEP_2) | instskip(SKIP_1) | instid1(VALU_DEP_1)
	v_pk_fma_f32 v[8:9], v[6:7], v[0:1], v[4:5] op_sel:[0,0,1] op_sel_hi:[1,1,0] neg_lo:[0,0,1] neg_hi:[0,0,1]
	v_pk_fma_f32 v[4:5], v[6:7], v[0:1], v[4:5] op_sel:[0,0,1] op_sel_hi:[1,0,0]
	v_mov_b32_e32 v9, v5
	ds_load_2addr_b64 v[4:7], v216 offset0:43 offset1:44
	v_pk_add_f32 v[176:177], v[176:177], v[8:9] neg_lo:[0,1] neg_hi:[0,1]
	s_wait_dscnt 0x0
	v_pk_mul_f32 v[8:9], v[4:5], v[2:3] op_sel:[0,1]
	s_delay_alu instid0(VALU_DEP_1) | instskip(SKIP_1) | instid1(VALU_DEP_1)
	v_pk_fma_f32 v[10:11], v[4:5], v[0:1], v[8:9] op_sel:[0,0,1] op_sel_hi:[1,1,0] neg_lo:[0,0,1] neg_hi:[0,0,1]
	v_pk_fma_f32 v[4:5], v[4:5], v[0:1], v[8:9] op_sel:[0,0,1] op_sel_hi:[1,0,0]
	v_mov_b32_e32 v11, v5
	v_pk_mul_f32 v[4:5], v[6:7], v[2:3] op_sel:[0,1]
	s_delay_alu instid0(VALU_DEP_2) | instskip(NEXT) | instid1(VALU_DEP_2)
	v_pk_add_f32 v[172:173], v[172:173], v[10:11] neg_lo:[0,1] neg_hi:[0,1]
	v_pk_fma_f32 v[8:9], v[6:7], v[0:1], v[4:5] op_sel:[0,0,1] op_sel_hi:[1,1,0] neg_lo:[0,0,1] neg_hi:[0,0,1]
	v_pk_fma_f32 v[4:5], v[6:7], v[0:1], v[4:5] op_sel:[0,0,1] op_sel_hi:[1,0,0]
	s_delay_alu instid0(VALU_DEP_1) | instskip(SKIP_4) | instid1(VALU_DEP_1)
	v_mov_b32_e32 v9, v5
	ds_load_2addr_b64 v[4:7], v216 offset0:45 offset1:46
	v_pk_add_f32 v[194:195], v[194:195], v[8:9] neg_lo:[0,1] neg_hi:[0,1]
	s_wait_dscnt 0x0
	v_pk_mul_f32 v[8:9], v[4:5], v[2:3] op_sel:[0,1]
	v_pk_fma_f32 v[10:11], v[4:5], v[0:1], v[8:9] op_sel:[0,0,1] op_sel_hi:[1,1,0] neg_lo:[0,0,1] neg_hi:[0,0,1]
	v_pk_fma_f32 v[4:5], v[4:5], v[0:1], v[8:9] op_sel:[0,0,1] op_sel_hi:[1,0,0]
	v_dual_mul_f32 v8, v7, v3 :: v_dual_mov_b32 v4, v7
	s_delay_alu instid0(VALU_DEP_2) | instskip(NEXT) | instid1(VALU_DEP_2)
	v_dual_mov_b32 v11, v5 :: v_dual_mov_b32 v5, v6
	v_pk_fma_f32 v[8:9], v[6:7], v[46:47], v[8:9] op_sel_hi:[1,1,0] neg_lo:[0,0,1] neg_hi:[0,0,1]
	v_mul_f32_e32 v6, v7, v0
	s_delay_alu instid0(VALU_DEP_3) | instskip(NEXT) | instid1(VALU_DEP_2)
	v_pk_add_f32 v[190:191], v[190:191], v[10:11] neg_lo:[0,1] neg_hi:[0,1]
	v_pk_fma_f32 v[4:5], v[4:5], v[46:47], v[6:7] op_sel_hi:[1,1,0]
	s_delay_alu instid0(VALU_DEP_1) | instskip(SKIP_4) | instid1(VALU_DEP_1)
	v_mov_b32_e32 v9, v5
	ds_load_2addr_b64 v[4:7], v216 offset0:47 offset1:48
	v_pk_add_f32 v[192:193], v[192:193], v[8:9] neg_lo:[0,1] neg_hi:[0,1]
	s_wait_dscnt 0x0
	v_pk_mul_f32 v[8:9], v[4:5], v[2:3] op_sel:[0,1]
	v_pk_fma_f32 v[10:11], v[4:5], v[0:1], v[8:9] op_sel:[0,0,1] op_sel_hi:[1,1,0] neg_lo:[0,0,1] neg_hi:[0,0,1]
	v_pk_fma_f32 v[4:5], v[4:5], v[0:1], v[8:9] op_sel:[0,0,1] op_sel_hi:[1,0,0]
	s_delay_alu instid0(VALU_DEP_1) | instskip(SKIP_1) | instid1(VALU_DEP_1)
	v_mov_b32_e32 v11, v5
	v_pk_mul_f32 v[4:5], v[6:7], v[2:3] op_sel:[0,1]
	v_pk_fma_f32 v[8:9], v[6:7], v[0:1], v[4:5] op_sel:[0,0,1] op_sel_hi:[1,1,0] neg_lo:[0,0,1] neg_hi:[0,0,1]
	v_pk_fma_f32 v[4:5], v[6:7], v[0:1], v[4:5] op_sel:[0,0,1] op_sel_hi:[1,0,0]
	s_delay_alu instid0(VALU_DEP_1)
	v_mov_b32_e32 v9, v5
	ds_load_2addr_b64 v[4:7], v216 offset0:49 offset1:50
	v_pk_add_f32 v[188:189], v[188:189], v[10:11] neg_lo:[0,1] neg_hi:[0,1]
	v_pk_add_f32 v[214:215], v[214:215], v[8:9] neg_lo:[0,1] neg_hi:[0,1]
	s_wait_dscnt 0x0
	v_pk_mul_f32 v[8:9], v[4:5], v[2:3] op_sel:[0,1]
	s_delay_alu instid0(VALU_DEP_1) | instskip(SKIP_1) | instid1(VALU_DEP_1)
	v_pk_fma_f32 v[10:11], v[4:5], v[0:1], v[8:9] op_sel:[0,0,1] op_sel_hi:[1,1,0] neg_lo:[0,0,1] neg_hi:[0,0,1]
	v_pk_fma_f32 v[4:5], v[4:5], v[0:1], v[8:9] op_sel:[0,0,1] op_sel_hi:[1,0,0]
	v_mov_b32_e32 v11, v5
	v_pk_mul_f32 v[4:5], v[6:7], v[2:3] op_sel:[0,1]
	s_delay_alu instid0(VALU_DEP_1) | instskip(SKIP_1) | instid1(VALU_DEP_1)
	v_pk_fma_f32 v[8:9], v[6:7], v[0:1], v[4:5] op_sel:[0,0,1] op_sel_hi:[1,1,0] neg_lo:[0,0,1] neg_hi:[0,0,1]
	v_pk_fma_f32 v[4:5], v[6:7], v[0:1], v[4:5] op_sel:[0,0,1] op_sel_hi:[1,0,0]
	v_mov_b32_e32 v9, v5
	ds_load_2addr_b64 v[4:7], v216 offset0:51 offset1:52
	v_pk_add_f32 v[210:211], v[210:211], v[10:11] neg_lo:[0,1] neg_hi:[0,1]
	v_pk_add_f32 v[212:213], v[212:213], v[8:9] neg_lo:[0,1] neg_hi:[0,1]
	s_wait_dscnt 0x0
	v_dual_mul_f32 v8, v5, v3 :: v_dual_mul_f32 v10, v5, v0
	s_delay_alu instid0(VALU_DEP_1) | instskip(NEXT) | instid1(VALU_DEP_2)
	v_pk_fma_f32 v[8:9], v[4:5], v[46:47], v[8:9] op_sel_hi:[1,1,0] neg_lo:[0,0,1] neg_hi:[0,0,1]
	v_pk_fma_f32 v[4:5], v[4:5], v[46:47], v[10:11] op_sel:[1,0,0] op_sel_hi:[0,1,0]
	s_delay_alu instid0(VALU_DEP_1) | instskip(SKIP_1) | instid1(VALU_DEP_2)
	v_mov_b32_e32 v9, v5
	v_pk_mul_f32 v[4:5], v[6:7], v[2:3] op_sel:[0,1]
	v_pk_add_f32 v[208:209], v[208:209], v[8:9] neg_lo:[0,1] neg_hi:[0,1]
	s_delay_alu instid0(VALU_DEP_2) | instskip(SKIP_1) | instid1(VALU_DEP_1)
	v_pk_fma_f32 v[8:9], v[6:7], v[0:1], v[4:5] op_sel:[0,0,1] op_sel_hi:[1,1,0] neg_lo:[0,0,1] neg_hi:[0,0,1]
	v_pk_fma_f32 v[4:5], v[6:7], v[0:1], v[4:5] op_sel:[0,0,1] op_sel_hi:[1,0,0]
	v_mov_b32_e32 v9, v5
	ds_load_2addr_b64 v[4:7], v216 offset0:53 offset1:54
	v_pk_add_f32 v[236:237], v[236:237], v[8:9] neg_lo:[0,1] neg_hi:[0,1]
	s_wait_dscnt 0x0
	v_pk_mul_f32 v[8:9], v[4:5], v[2:3] op_sel:[0,1]
	s_delay_alu instid0(VALU_DEP_1) | instskip(SKIP_1) | instid1(VALU_DEP_1)
	v_pk_fma_f32 v[10:11], v[4:5], v[0:1], v[8:9] op_sel:[0,0,1] op_sel_hi:[1,1,0] neg_lo:[0,0,1] neg_hi:[0,0,1]
	v_pk_fma_f32 v[4:5], v[4:5], v[0:1], v[8:9] op_sel:[0,0,1] op_sel_hi:[1,0,0]
	v_mov_b32_e32 v11, v5
	v_pk_mul_f32 v[4:5], v[6:7], v[2:3] op_sel:[0,1]
	s_delay_alu instid0(VALU_DEP_2) | instskip(NEXT) | instid1(VALU_DEP_2)
	v_pk_add_f32 v[230:231], v[230:231], v[10:11] neg_lo:[0,1] neg_hi:[0,1]
	v_pk_fma_f32 v[8:9], v[6:7], v[0:1], v[4:5] op_sel:[0,0,1] op_sel_hi:[1,1,0] neg_lo:[0,0,1] neg_hi:[0,0,1]
	v_pk_fma_f32 v[4:5], v[6:7], v[0:1], v[4:5] op_sel:[0,0,1] op_sel_hi:[1,0,0]
	s_delay_alu instid0(VALU_DEP_1) | instskip(SKIP_4) | instid1(VALU_DEP_1)
	v_mov_b32_e32 v9, v5
	ds_load_2addr_b64 v[4:7], v216 offset0:55 offset1:56
	v_pk_add_f32 v[234:235], v[234:235], v[8:9] neg_lo:[0,1] neg_hi:[0,1]
	s_wait_dscnt 0x0
	v_pk_mul_f32 v[8:9], v[4:5], v[2:3] op_sel:[0,1]
	v_pk_fma_f32 v[10:11], v[4:5], v[0:1], v[8:9] op_sel:[0,0,1] op_sel_hi:[1,1,0] neg_lo:[0,0,1] neg_hi:[0,0,1]
	v_pk_fma_f32 v[4:5], v[4:5], v[0:1], v[8:9] op_sel:[0,0,1] op_sel_hi:[1,0,0]
	v_dual_mul_f32 v8, v7, v3 :: v_dual_mov_b32 v4, v7
	s_delay_alu instid0(VALU_DEP_2) | instskip(NEXT) | instid1(VALU_DEP_2)
	v_dual_mov_b32 v11, v5 :: v_dual_mov_b32 v5, v6
	v_pk_fma_f32 v[8:9], v[6:7], v[46:47], v[8:9] op_sel_hi:[1,1,0] neg_lo:[0,0,1] neg_hi:[0,0,1]
	v_mul_f32_e32 v6, v7, v0
	s_delay_alu instid0(VALU_DEP_3) | instskip(NEXT) | instid1(VALU_DEP_2)
	v_pk_add_f32 v[228:229], v[228:229], v[10:11] neg_lo:[0,1] neg_hi:[0,1]
	v_pk_fma_f32 v[4:5], v[4:5], v[46:47], v[6:7] op_sel_hi:[1,1,0]
	s_delay_alu instid0(VALU_DEP_1) | instskip(SKIP_4) | instid1(VALU_DEP_1)
	v_mov_b32_e32 v9, v5
	ds_load_2addr_b64 v[4:7], v216 offset0:57 offset1:58
	v_pk_add_f32 v[232:233], v[232:233], v[8:9] neg_lo:[0,1] neg_hi:[0,1]
	s_wait_dscnt 0x0
	v_pk_mul_f32 v[8:9], v[4:5], v[2:3] op_sel:[0,1]
	v_pk_fma_f32 v[10:11], v[4:5], v[0:1], v[8:9] op_sel:[0,0,1] op_sel_hi:[1,1,0] neg_lo:[0,0,1] neg_hi:[0,0,1]
	v_pk_fma_f32 v[4:5], v[4:5], v[0:1], v[8:9] op_sel:[0,0,1] op_sel_hi:[1,0,0]
	s_delay_alu instid0(VALU_DEP_1) | instskip(SKIP_1) | instid1(VALU_DEP_1)
	v_mov_b32_e32 v11, v5
	v_pk_mul_f32 v[4:5], v[6:7], v[2:3] op_sel:[0,1]
	v_pk_fma_f32 v[8:9], v[6:7], v[0:1], v[4:5] op_sel:[0,0,1] op_sel_hi:[1,1,0] neg_lo:[0,0,1] neg_hi:[0,0,1]
	v_pk_fma_f32 v[4:5], v[6:7], v[0:1], v[4:5] op_sel:[0,0,1] op_sel_hi:[1,0,0]
	s_delay_alu instid0(VALU_DEP_1)
	v_mov_b32_e32 v9, v5
	ds_load_b64 v[4:5], v216 offset:472
	v_pk_add_f32 v[226:227], v[226:227], v[10:11] neg_lo:[0,1] neg_hi:[0,1]
	v_pk_add_f32 v[238:239], v[238:239], v[8:9] neg_lo:[0,1] neg_hi:[0,1]
	s_wait_dscnt 0x0
	v_pk_mul_f32 v[2:3], v[4:5], v[2:3] op_sel:[0,1]
	s_delay_alu instid0(VALU_DEP_1) | instskip(SKIP_1) | instid1(VALU_DEP_1)
	v_pk_fma_f32 v[6:7], v[4:5], v[0:1], v[2:3] op_sel:[0,0,1] op_sel_hi:[1,1,0] neg_lo:[0,0,1] neg_hi:[0,0,1]
	v_pk_fma_f32 v[0:1], v[4:5], v[0:1], v[2:3] op_sel:[0,0,1] op_sel_hi:[1,0,0]
	v_mov_b32_e32 v7, v1
	s_delay_alu instid0(VALU_DEP_1)
	v_pk_add_f32 v[240:241], v[240:241], v[6:7] neg_lo:[0,1] neg_hi:[0,1]
.LBB119_28:
	s_wait_xcnt 0x0
	s_or_b32 exec_lo, exec_lo, s1
	s_delay_alu instid0(SALU_CYCLE_1)
	s_mov_b32 s2, exec_lo
	s_wait_storecnt 0x0
	s_barrier_signal -1
	s_barrier_wait -1
	v_cmpx_eq_u32_e32 3, v206
	s_cbranch_execz .LBB119_35
; %bb.29:
	v_dual_mov_b32 v0, v26 :: v_dual_mov_b32 v1, v27
	v_dual_mov_b32 v2, v22 :: v_dual_mov_b32 v3, v23
	ds_store_b64 v207, v[44:45]
	ds_store_2addr_b64 v216, v[0:1], v[2:3] offset0:4 offset1:5
	v_dual_mov_b32 v0, v24 :: v_dual_mov_b32 v1, v25
	v_dual_mov_b32 v2, v20 :: v_dual_mov_b32 v3, v21
	ds_store_2addr_b64 v216, v[0:1], v[2:3] offset0:6 offset1:7
	v_dual_mov_b32 v0, v40 :: v_dual_mov_b32 v1, v41
	v_dual_mov_b32 v2, v36 :: v_dual_mov_b32 v3, v37
	;; [unrolled: 3-line block ×26, first 2 shown]
	ds_store_2addr_b64 v216, v[0:1], v[2:3] offset0:56 offset1:57
	v_dual_mov_b32 v0, v238 :: v_dual_mov_b32 v1, v239
	ds_store_2addr_b64 v216, v[0:1], v[240:241] offset0:58 offset1:59
	ds_load_b64 v[0:1], v207
	s_wait_dscnt 0x0
	v_cmp_neq_f32_e32 vcc_lo, 0, v0
	v_cmp_neq_f32_e64 s1, 0, v1
	s_or_b32 s1, vcc_lo, s1
	s_delay_alu instid0(SALU_CYCLE_1)
	s_and_b32 exec_lo, exec_lo, s1
	s_cbranch_execz .LBB119_35
; %bb.30:
	v_cmp_ngt_f32_e64 s1, |v0|, |v1|
                                        ; implicit-def: $vgpr2_vgpr3
	s_and_saveexec_b32 s4, s1
	s_delay_alu instid0(SALU_CYCLE_1)
	s_xor_b32 s1, exec_lo, s4
	s_cbranch_execz .LBB119_32
; %bb.31:
	v_div_scale_f32 v2, null, v1, v1, v0
	v_div_scale_f32 v5, vcc_lo, v0, v1, v0
	s_delay_alu instid0(VALU_DEP_2) | instskip(SKIP_1) | instid1(TRANS32_DEP_1)
	v_rcp_f32_e32 v3, v2
	v_nop
	v_fma_f32 v4, -v2, v3, 1.0
	s_delay_alu instid0(VALU_DEP_1) | instskip(NEXT) | instid1(VALU_DEP_1)
	v_fmac_f32_e32 v3, v4, v3
	v_mul_f32_e32 v4, v5, v3
	s_delay_alu instid0(VALU_DEP_1) | instskip(NEXT) | instid1(VALU_DEP_1)
	v_fma_f32 v6, -v2, v4, v5
	v_fmac_f32_e32 v4, v6, v3
	s_delay_alu instid0(VALU_DEP_1) | instskip(NEXT) | instid1(VALU_DEP_1)
	v_fma_f32 v2, -v2, v4, v5
	v_div_fmas_f32 v2, v2, v3, v4
	s_delay_alu instid0(VALU_DEP_1) | instskip(NEXT) | instid1(VALU_DEP_1)
	v_div_fixup_f32 v2, v2, v1, v0
	v_fmac_f32_e32 v1, v0, v2
	s_delay_alu instid0(VALU_DEP_1) | instskip(SKIP_1) | instid1(VALU_DEP_2)
	v_div_scale_f32 v0, null, v1, v1, 1.0
	v_div_scale_f32 v5, vcc_lo, 1.0, v1, 1.0
	v_rcp_f32_e32 v3, v0
	v_nop
	s_delay_alu instid0(TRANS32_DEP_1) | instskip(NEXT) | instid1(VALU_DEP_1)
	v_fma_f32 v4, -v0, v3, 1.0
	v_fmac_f32_e32 v3, v4, v3
	s_delay_alu instid0(VALU_DEP_1) | instskip(NEXT) | instid1(VALU_DEP_1)
	v_mul_f32_e32 v4, v5, v3
	v_fma_f32 v6, -v0, v4, v5
	s_delay_alu instid0(VALU_DEP_1) | instskip(NEXT) | instid1(VALU_DEP_1)
	v_fmac_f32_e32 v4, v6, v3
	v_fma_f32 v0, -v0, v4, v5
	s_delay_alu instid0(VALU_DEP_1) | instskip(NEXT) | instid1(VALU_DEP_1)
	v_div_fmas_f32 v0, v0, v3, v4
	v_div_fixup_f32 v0, v0, v1, 1.0
	s_delay_alu instid0(VALU_DEP_1)
	v_mul_f32_e32 v2, v2, v0
	v_xor_b32_e32 v3, 0x80000000, v0
                                        ; implicit-def: $vgpr0_vgpr1
.LBB119_32:
	s_and_not1_saveexec_b32 s1, s1
	s_cbranch_execz .LBB119_34
; %bb.33:
	v_div_scale_f32 v2, null, v0, v0, v1
	v_div_scale_f32 v5, vcc_lo, v1, v0, v1
	s_delay_alu instid0(VALU_DEP_2) | instskip(SKIP_1) | instid1(TRANS32_DEP_1)
	v_rcp_f32_e32 v3, v2
	v_nop
	v_fma_f32 v4, -v2, v3, 1.0
	s_delay_alu instid0(VALU_DEP_1) | instskip(NEXT) | instid1(VALU_DEP_1)
	v_fmac_f32_e32 v3, v4, v3
	v_mul_f32_e32 v4, v5, v3
	s_delay_alu instid0(VALU_DEP_1) | instskip(NEXT) | instid1(VALU_DEP_1)
	v_fma_f32 v6, -v2, v4, v5
	v_fmac_f32_e32 v4, v6, v3
	s_delay_alu instid0(VALU_DEP_1) | instskip(NEXT) | instid1(VALU_DEP_1)
	v_fma_f32 v2, -v2, v4, v5
	v_div_fmas_f32 v2, v2, v3, v4
	s_delay_alu instid0(VALU_DEP_1) | instskip(NEXT) | instid1(VALU_DEP_1)
	v_div_fixup_f32 v3, v2, v0, v1
	v_fmac_f32_e32 v0, v1, v3
	s_delay_alu instid0(VALU_DEP_1) | instskip(NEXT) | instid1(VALU_DEP_1)
	v_div_scale_f32 v1, null, v0, v0, 1.0
	v_rcp_f32_e32 v2, v1
	v_nop
	s_delay_alu instid0(TRANS32_DEP_1) | instskip(NEXT) | instid1(VALU_DEP_1)
	v_fma_f32 v4, -v1, v2, 1.0
	v_fmac_f32_e32 v2, v4, v2
	v_div_scale_f32 v4, vcc_lo, 1.0, v0, 1.0
	s_delay_alu instid0(VALU_DEP_1) | instskip(NEXT) | instid1(VALU_DEP_1)
	v_mul_f32_e32 v5, v4, v2
	v_fma_f32 v6, -v1, v5, v4
	s_delay_alu instid0(VALU_DEP_1) | instskip(NEXT) | instid1(VALU_DEP_1)
	v_fmac_f32_e32 v5, v6, v2
	v_fma_f32 v1, -v1, v5, v4
	s_delay_alu instid0(VALU_DEP_1) | instskip(NEXT) | instid1(VALU_DEP_1)
	v_div_fmas_f32 v1, v1, v2, v5
	v_div_fixup_f32 v2, v1, v0, 1.0
	s_delay_alu instid0(VALU_DEP_1)
	v_mul_f32_e64 v3, v3, -v2
.LBB119_34:
	s_or_b32 exec_lo, exec_lo, s1
	ds_store_b64 v207, v[2:3]
.LBB119_35:
	s_or_b32 exec_lo, exec_lo, s2
	s_wait_dscnt 0x0
	s_barrier_signal -1
	s_barrier_wait -1
	ds_load_b64 v[0:1], v207
	s_mov_b32 s1, exec_lo
	s_wait_dscnt 0x0
	scratch_store_b64 off, v[0:1], off offset:432 ; 8-byte Folded Spill
	s_wait_xcnt 0x0
	v_cmpx_lt_u32_e32 3, v206
	s_cbranch_execz .LBB119_37
; %bb.36:
	scratch_load_b64 v[4:5], off, off offset:432 ; 8-byte Folded Reload
	s_wait_loadcnt 0x0
	v_pk_mul_f32 v[2:3], v[4:5], v[44:45] op_sel:[1,1] op_sel_hi:[0,1]
	s_delay_alu instid0(VALU_DEP_1)
	v_pk_fma_f32 v[0:1], v[4:5], v[44:45], v[2:3] op_sel_hi:[1,0,1] neg_lo:[0,0,1] neg_hi:[0,0,1]
	v_pk_fma_f32 v[2:3], v[4:5], v[44:45], v[2:3] op_sel_hi:[1,0,1]
	ds_load_2addr_b64 v[4:7], v216 offset0:4 offset1:5
	v_dual_mov_b32 v44, v0 :: v_dual_mov_b32 v45, v3
	s_wait_dscnt 0x0
	v_pk_mul_f32 v[8:9], v[4:5], v[2:3] op_sel:[0,1]
	s_delay_alu instid0(VALU_DEP_1) | instskip(SKIP_1) | instid1(VALU_DEP_1)
	v_pk_fma_f32 v[10:11], v[4:5], v[0:1], v[8:9] op_sel:[0,0,1] op_sel_hi:[1,1,0] neg_lo:[0,0,1] neg_hi:[0,0,1]
	v_pk_fma_f32 v[4:5], v[4:5], v[0:1], v[8:9] op_sel:[0,0,1] op_sel_hi:[1,0,0]
	v_mov_b32_e32 v11, v5
	v_pk_mul_f32 v[4:5], v[6:7], v[2:3] op_sel:[0,1]
	s_delay_alu instid0(VALU_DEP_1) | instskip(SKIP_1) | instid1(VALU_DEP_1)
	v_pk_fma_f32 v[8:9], v[6:7], v[0:1], v[4:5] op_sel:[0,0,1] op_sel_hi:[1,1,0] neg_lo:[0,0,1] neg_hi:[0,0,1]
	v_pk_fma_f32 v[4:5], v[6:7], v[0:1], v[4:5] op_sel:[0,0,1] op_sel_hi:[1,0,0]
	v_mov_b32_e32 v9, v5
	ds_load_2addr_b64 v[4:7], v216 offset0:6 offset1:7
	v_pk_add_f32 v[26:27], v[26:27], v[10:11] neg_lo:[0,1] neg_hi:[0,1]
	v_pk_add_f32 v[22:23], v[22:23], v[8:9] neg_lo:[0,1] neg_hi:[0,1]
	s_wait_dscnt 0x0
	v_pk_mul_f32 v[8:9], v[4:5], v[2:3] op_sel:[0,1]
	s_delay_alu instid0(VALU_DEP_1) | instskip(SKIP_2) | instid1(VALU_DEP_2)
	v_pk_fma_f32 v[10:11], v[4:5], v[0:1], v[8:9] op_sel:[0,0,1] op_sel_hi:[1,1,0] neg_lo:[0,0,1] neg_hi:[0,0,1]
	v_pk_fma_f32 v[4:5], v[4:5], v[0:1], v[8:9] op_sel:[0,0,1] op_sel_hi:[1,0,0]
	v_dual_mul_f32 v8, v7, v3 :: v_dual_mov_b32 v4, v7
	v_dual_mov_b32 v11, v5 :: v_dual_mov_b32 v5, v6
	s_delay_alu instid0(VALU_DEP_2) | instskip(SKIP_1) | instid1(VALU_DEP_3)
	v_pk_fma_f32 v[8:9], v[6:7], v[44:45], v[8:9] op_sel_hi:[1,1,0] neg_lo:[0,0,1] neg_hi:[0,0,1]
	v_mul_f32_e32 v6, v7, v0
	v_pk_add_f32 v[24:25], v[24:25], v[10:11] neg_lo:[0,1] neg_hi:[0,1]
	s_delay_alu instid0(VALU_DEP_2) | instskip(NEXT) | instid1(VALU_DEP_1)
	v_pk_fma_f32 v[4:5], v[4:5], v[44:45], v[6:7] op_sel_hi:[1,1,0]
	v_mov_b32_e32 v9, v5
	ds_load_2addr_b64 v[4:7], v216 offset0:8 offset1:9
	v_pk_add_f32 v[20:21], v[20:21], v[8:9] neg_lo:[0,1] neg_hi:[0,1]
	s_wait_dscnt 0x0
	v_pk_mul_f32 v[8:9], v[4:5], v[2:3] op_sel:[0,1]
	s_delay_alu instid0(VALU_DEP_1) | instskip(SKIP_1) | instid1(VALU_DEP_1)
	v_pk_fma_f32 v[10:11], v[4:5], v[0:1], v[8:9] op_sel:[0,0,1] op_sel_hi:[1,1,0] neg_lo:[0,0,1] neg_hi:[0,0,1]
	v_pk_fma_f32 v[4:5], v[4:5], v[0:1], v[8:9] op_sel:[0,0,1] op_sel_hi:[1,0,0]
	v_mov_b32_e32 v11, v5
	v_pk_mul_f32 v[4:5], v[6:7], v[2:3] op_sel:[0,1]
	s_delay_alu instid0(VALU_DEP_1) | instskip(SKIP_1) | instid1(VALU_DEP_1)
	v_pk_fma_f32 v[8:9], v[6:7], v[0:1], v[4:5] op_sel:[0,0,1] op_sel_hi:[1,1,0] neg_lo:[0,0,1] neg_hi:[0,0,1]
	v_pk_fma_f32 v[4:5], v[6:7], v[0:1], v[4:5] op_sel:[0,0,1] op_sel_hi:[1,0,0]
	v_mov_b32_e32 v9, v5
	ds_load_2addr_b64 v[4:7], v216 offset0:10 offset1:11
	v_pk_add_f32 v[40:41], v[40:41], v[10:11] neg_lo:[0,1] neg_hi:[0,1]
	v_pk_add_f32 v[36:37], v[36:37], v[8:9] neg_lo:[0,1] neg_hi:[0,1]
	s_wait_dscnt 0x0
	v_pk_mul_f32 v[8:9], v[4:5], v[2:3] op_sel:[0,1]
	s_delay_alu instid0(VALU_DEP_1) | instskip(SKIP_1) | instid1(VALU_DEP_1)
	v_pk_fma_f32 v[10:11], v[4:5], v[0:1], v[8:9] op_sel:[0,0,1] op_sel_hi:[1,1,0] neg_lo:[0,0,1] neg_hi:[0,0,1]
	v_pk_fma_f32 v[4:5], v[4:5], v[0:1], v[8:9] op_sel:[0,0,1] op_sel_hi:[1,0,0]
	v_mov_b32_e32 v11, v5
	v_pk_mul_f32 v[4:5], v[6:7], v[2:3] op_sel:[0,1]
	s_delay_alu instid0(VALU_DEP_1) | instskip(SKIP_1) | instid1(VALU_DEP_1)
	v_pk_fma_f32 v[8:9], v[6:7], v[0:1], v[4:5] op_sel:[0,0,1] op_sel_hi:[1,1,0] neg_lo:[0,0,1] neg_hi:[0,0,1]
	v_pk_fma_f32 v[4:5], v[6:7], v[0:1], v[4:5] op_sel:[0,0,1] op_sel_hi:[1,0,0]
	v_mov_b32_e32 v9, v5
	ds_load_2addr_b64 v[4:7], v216 offset0:12 offset1:13
	v_pk_add_f32 v[38:39], v[38:39], v[10:11] neg_lo:[0,1] neg_hi:[0,1]
	v_pk_add_f32 v[34:35], v[34:35], v[8:9] neg_lo:[0,1] neg_hi:[0,1]
	s_wait_dscnt 0x0
	v_dual_mul_f32 v8, v5, v3 :: v_dual_mul_f32 v10, v5, v0
	s_delay_alu instid0(VALU_DEP_1) | instskip(NEXT) | instid1(VALU_DEP_2)
	v_pk_fma_f32 v[8:9], v[4:5], v[44:45], v[8:9] op_sel_hi:[1,1,0] neg_lo:[0,0,1] neg_hi:[0,0,1]
	v_pk_fma_f32 v[4:5], v[4:5], v[44:45], v[10:11] op_sel:[1,0,0] op_sel_hi:[0,1,0]
	s_delay_alu instid0(VALU_DEP_1) | instskip(SKIP_1) | instid1(VALU_DEP_2)
	v_mov_b32_e32 v9, v5
	v_pk_mul_f32 v[4:5], v[6:7], v[2:3] op_sel:[0,1]
	v_pk_add_f32 v[66:67], v[66:67], v[8:9] neg_lo:[0,1] neg_hi:[0,1]
	s_delay_alu instid0(VALU_DEP_2) | instskip(SKIP_1) | instid1(VALU_DEP_1)
	v_pk_fma_f32 v[8:9], v[6:7], v[0:1], v[4:5] op_sel:[0,0,1] op_sel_hi:[1,1,0] neg_lo:[0,0,1] neg_hi:[0,0,1]
	v_pk_fma_f32 v[4:5], v[6:7], v[0:1], v[4:5] op_sel:[0,0,1] op_sel_hi:[1,0,0]
	v_mov_b32_e32 v9, v5
	ds_load_2addr_b64 v[4:7], v216 offset0:14 offset1:15
	v_pk_add_f32 v[62:63], v[62:63], v[8:9] neg_lo:[0,1] neg_hi:[0,1]
	s_wait_dscnt 0x0
	v_pk_mul_f32 v[8:9], v[4:5], v[2:3] op_sel:[0,1]
	s_delay_alu instid0(VALU_DEP_1) | instskip(SKIP_1) | instid1(VALU_DEP_1)
	v_pk_fma_f32 v[10:11], v[4:5], v[0:1], v[8:9] op_sel:[0,0,1] op_sel_hi:[1,1,0] neg_lo:[0,0,1] neg_hi:[0,0,1]
	v_pk_fma_f32 v[4:5], v[4:5], v[0:1], v[8:9] op_sel:[0,0,1] op_sel_hi:[1,0,0]
	v_mov_b32_e32 v11, v5
	v_pk_mul_f32 v[4:5], v[6:7], v[2:3] op_sel:[0,1]
	s_delay_alu instid0(VALU_DEP_2) | instskip(NEXT) | instid1(VALU_DEP_2)
	v_pk_add_f32 v[64:65], v[64:65], v[10:11] neg_lo:[0,1] neg_hi:[0,1]
	v_pk_fma_f32 v[8:9], v[6:7], v[0:1], v[4:5] op_sel:[0,0,1] op_sel_hi:[1,1,0] neg_lo:[0,0,1] neg_hi:[0,0,1]
	v_pk_fma_f32 v[4:5], v[6:7], v[0:1], v[4:5] op_sel:[0,0,1] op_sel_hi:[1,0,0]
	s_delay_alu instid0(VALU_DEP_1) | instskip(SKIP_4) | instid1(VALU_DEP_1)
	v_mov_b32_e32 v9, v5
	ds_load_2addr_b64 v[4:7], v216 offset0:16 offset1:17
	v_pk_add_f32 v[60:61], v[60:61], v[8:9] neg_lo:[0,1] neg_hi:[0,1]
	s_wait_dscnt 0x0
	v_pk_mul_f32 v[8:9], v[4:5], v[2:3] op_sel:[0,1]
	v_pk_fma_f32 v[10:11], v[4:5], v[0:1], v[8:9] op_sel:[0,0,1] op_sel_hi:[1,1,0] neg_lo:[0,0,1] neg_hi:[0,0,1]
	v_pk_fma_f32 v[4:5], v[4:5], v[0:1], v[8:9] op_sel:[0,0,1] op_sel_hi:[1,0,0]
	v_dual_mul_f32 v8, v7, v3 :: v_dual_mov_b32 v4, v7
	s_delay_alu instid0(VALU_DEP_2) | instskip(NEXT) | instid1(VALU_DEP_2)
	v_dual_mov_b32 v11, v5 :: v_dual_mov_b32 v5, v6
	v_pk_fma_f32 v[8:9], v[6:7], v[44:45], v[8:9] op_sel_hi:[1,1,0] neg_lo:[0,0,1] neg_hi:[0,0,1]
	v_mul_f32_e32 v6, v7, v0
	s_delay_alu instid0(VALU_DEP_3) | instskip(NEXT) | instid1(VALU_DEP_2)
	v_pk_add_f32 v[82:83], v[82:83], v[10:11] neg_lo:[0,1] neg_hi:[0,1]
	v_pk_fma_f32 v[4:5], v[4:5], v[44:45], v[6:7] op_sel_hi:[1,1,0]
	s_delay_alu instid0(VALU_DEP_1) | instskip(SKIP_4) | instid1(VALU_DEP_1)
	v_mov_b32_e32 v9, v5
	ds_load_2addr_b64 v[4:7], v216 offset0:18 offset1:19
	v_pk_add_f32 v[78:79], v[78:79], v[8:9] neg_lo:[0,1] neg_hi:[0,1]
	s_wait_dscnt 0x0
	v_pk_mul_f32 v[8:9], v[4:5], v[2:3] op_sel:[0,1]
	v_pk_fma_f32 v[10:11], v[4:5], v[0:1], v[8:9] op_sel:[0,0,1] op_sel_hi:[1,1,0] neg_lo:[0,0,1] neg_hi:[0,0,1]
	v_pk_fma_f32 v[4:5], v[4:5], v[0:1], v[8:9] op_sel:[0,0,1] op_sel_hi:[1,0,0]
	s_delay_alu instid0(VALU_DEP_1) | instskip(SKIP_1) | instid1(VALU_DEP_1)
	v_mov_b32_e32 v11, v5
	v_pk_mul_f32 v[4:5], v[6:7], v[2:3] op_sel:[0,1]
	v_pk_fma_f32 v[8:9], v[6:7], v[0:1], v[4:5] op_sel:[0,0,1] op_sel_hi:[1,1,0] neg_lo:[0,0,1] neg_hi:[0,0,1]
	v_pk_fma_f32 v[4:5], v[6:7], v[0:1], v[4:5] op_sel:[0,0,1] op_sel_hi:[1,0,0]
	s_delay_alu instid0(VALU_DEP_1)
	v_mov_b32_e32 v9, v5
	ds_load_2addr_b64 v[4:7], v216 offset0:20 offset1:21
	v_pk_add_f32 v[80:81], v[80:81], v[10:11] neg_lo:[0,1] neg_hi:[0,1]
	v_pk_add_f32 v[76:77], v[76:77], v[8:9] neg_lo:[0,1] neg_hi:[0,1]
	s_wait_dscnt 0x0
	v_pk_mul_f32 v[8:9], v[4:5], v[2:3] op_sel:[0,1]
	s_delay_alu instid0(VALU_DEP_1) | instskip(SKIP_1) | instid1(VALU_DEP_1)
	v_pk_fma_f32 v[10:11], v[4:5], v[0:1], v[8:9] op_sel:[0,0,1] op_sel_hi:[1,1,0] neg_lo:[0,0,1] neg_hi:[0,0,1]
	v_pk_fma_f32 v[4:5], v[4:5], v[0:1], v[8:9] op_sel:[0,0,1] op_sel_hi:[1,0,0]
	v_mov_b32_e32 v11, v5
	v_pk_mul_f32 v[4:5], v[6:7], v[2:3] op_sel:[0,1]
	s_delay_alu instid0(VALU_DEP_1) | instskip(SKIP_1) | instid1(VALU_DEP_1)
	v_pk_fma_f32 v[8:9], v[6:7], v[0:1], v[4:5] op_sel:[0,0,1] op_sel_hi:[1,1,0] neg_lo:[0,0,1] neg_hi:[0,0,1]
	v_pk_fma_f32 v[4:5], v[6:7], v[0:1], v[4:5] op_sel:[0,0,1] op_sel_hi:[1,0,0]
	v_mov_b32_e32 v9, v5
	ds_load_2addr_b64 v[4:7], v216 offset0:22 offset1:23
	v_pk_add_f32 v[98:99], v[98:99], v[10:11] neg_lo:[0,1] neg_hi:[0,1]
	v_pk_add_f32 v[94:95], v[94:95], v[8:9] neg_lo:[0,1] neg_hi:[0,1]
	s_wait_dscnt 0x0
	v_dual_mul_f32 v8, v5, v3 :: v_dual_mul_f32 v10, v5, v0
	s_delay_alu instid0(VALU_DEP_1) | instskip(NEXT) | instid1(VALU_DEP_2)
	v_pk_fma_f32 v[8:9], v[4:5], v[44:45], v[8:9] op_sel_hi:[1,1,0] neg_lo:[0,0,1] neg_hi:[0,0,1]
	v_pk_fma_f32 v[4:5], v[4:5], v[44:45], v[10:11] op_sel:[1,0,0] op_sel_hi:[0,1,0]
	s_delay_alu instid0(VALU_DEP_1) | instskip(SKIP_1) | instid1(VALU_DEP_2)
	v_mov_b32_e32 v9, v5
	v_pk_mul_f32 v[4:5], v[6:7], v[2:3] op_sel:[0,1]
	v_pk_add_f32 v[96:97], v[96:97], v[8:9] neg_lo:[0,1] neg_hi:[0,1]
	s_delay_alu instid0(VALU_DEP_2) | instskip(SKIP_1) | instid1(VALU_DEP_1)
	v_pk_fma_f32 v[8:9], v[6:7], v[0:1], v[4:5] op_sel:[0,0,1] op_sel_hi:[1,1,0] neg_lo:[0,0,1] neg_hi:[0,0,1]
	v_pk_fma_f32 v[4:5], v[6:7], v[0:1], v[4:5] op_sel:[0,0,1] op_sel_hi:[1,0,0]
	v_mov_b32_e32 v9, v5
	ds_load_2addr_b64 v[4:7], v216 offset0:24 offset1:25
	v_pk_add_f32 v[92:93], v[92:93], v[8:9] neg_lo:[0,1] neg_hi:[0,1]
	s_wait_dscnt 0x0
	v_pk_mul_f32 v[8:9], v[4:5], v[2:3] op_sel:[0,1]
	s_delay_alu instid0(VALU_DEP_1) | instskip(SKIP_1) | instid1(VALU_DEP_1)
	v_pk_fma_f32 v[10:11], v[4:5], v[0:1], v[8:9] op_sel:[0,0,1] op_sel_hi:[1,1,0] neg_lo:[0,0,1] neg_hi:[0,0,1]
	v_pk_fma_f32 v[4:5], v[4:5], v[0:1], v[8:9] op_sel:[0,0,1] op_sel_hi:[1,0,0]
	v_mov_b32_e32 v11, v5
	v_pk_mul_f32 v[4:5], v[6:7], v[2:3] op_sel:[0,1]
	s_delay_alu instid0(VALU_DEP_2) | instskip(NEXT) | instid1(VALU_DEP_2)
	v_pk_add_f32 v[114:115], v[114:115], v[10:11] neg_lo:[0,1] neg_hi:[0,1]
	v_pk_fma_f32 v[8:9], v[6:7], v[0:1], v[4:5] op_sel:[0,0,1] op_sel_hi:[1,1,0] neg_lo:[0,0,1] neg_hi:[0,0,1]
	v_pk_fma_f32 v[4:5], v[6:7], v[0:1], v[4:5] op_sel:[0,0,1] op_sel_hi:[1,0,0]
	s_delay_alu instid0(VALU_DEP_1) | instskip(SKIP_4) | instid1(VALU_DEP_1)
	v_mov_b32_e32 v9, v5
	ds_load_2addr_b64 v[4:7], v216 offset0:26 offset1:27
	v_pk_add_f32 v[110:111], v[110:111], v[8:9] neg_lo:[0,1] neg_hi:[0,1]
	s_wait_dscnt 0x0
	v_pk_mul_f32 v[8:9], v[4:5], v[2:3] op_sel:[0,1]
	v_pk_fma_f32 v[10:11], v[4:5], v[0:1], v[8:9] op_sel:[0,0,1] op_sel_hi:[1,1,0] neg_lo:[0,0,1] neg_hi:[0,0,1]
	v_pk_fma_f32 v[4:5], v[4:5], v[0:1], v[8:9] op_sel:[0,0,1] op_sel_hi:[1,0,0]
	v_dual_mul_f32 v8, v7, v3 :: v_dual_mov_b32 v4, v7
	s_delay_alu instid0(VALU_DEP_2) | instskip(NEXT) | instid1(VALU_DEP_2)
	v_dual_mov_b32 v11, v5 :: v_dual_mov_b32 v5, v6
	v_pk_fma_f32 v[8:9], v[6:7], v[44:45], v[8:9] op_sel_hi:[1,1,0] neg_lo:[0,0,1] neg_hi:[0,0,1]
	v_mul_f32_e32 v6, v7, v0
	s_delay_alu instid0(VALU_DEP_3) | instskip(NEXT) | instid1(VALU_DEP_2)
	v_pk_add_f32 v[112:113], v[112:113], v[10:11] neg_lo:[0,1] neg_hi:[0,1]
	v_pk_fma_f32 v[4:5], v[4:5], v[44:45], v[6:7] op_sel_hi:[1,1,0]
	s_delay_alu instid0(VALU_DEP_1) | instskip(SKIP_4) | instid1(VALU_DEP_1)
	v_mov_b32_e32 v9, v5
	ds_load_2addr_b64 v[4:7], v216 offset0:28 offset1:29
	v_pk_add_f32 v[108:109], v[108:109], v[8:9] neg_lo:[0,1] neg_hi:[0,1]
	s_wait_dscnt 0x0
	v_pk_mul_f32 v[8:9], v[4:5], v[2:3] op_sel:[0,1]
	v_pk_fma_f32 v[10:11], v[4:5], v[0:1], v[8:9] op_sel:[0,0,1] op_sel_hi:[1,1,0] neg_lo:[0,0,1] neg_hi:[0,0,1]
	v_pk_fma_f32 v[4:5], v[4:5], v[0:1], v[8:9] op_sel:[0,0,1] op_sel_hi:[1,0,0]
	s_delay_alu instid0(VALU_DEP_1) | instskip(SKIP_1) | instid1(VALU_DEP_1)
	v_mov_b32_e32 v11, v5
	v_pk_mul_f32 v[4:5], v[6:7], v[2:3] op_sel:[0,1]
	v_pk_fma_f32 v[8:9], v[6:7], v[0:1], v[4:5] op_sel:[0,0,1] op_sel_hi:[1,1,0] neg_lo:[0,0,1] neg_hi:[0,0,1]
	v_pk_fma_f32 v[4:5], v[6:7], v[0:1], v[4:5] op_sel:[0,0,1] op_sel_hi:[1,0,0]
	s_delay_alu instid0(VALU_DEP_1)
	v_mov_b32_e32 v9, v5
	ds_load_2addr_b64 v[4:7], v216 offset0:30 offset1:31
	v_pk_add_f32 v[130:131], v[130:131], v[10:11] neg_lo:[0,1] neg_hi:[0,1]
	v_pk_add_f32 v[126:127], v[126:127], v[8:9] neg_lo:[0,1] neg_hi:[0,1]
	s_wait_dscnt 0x0
	v_pk_mul_f32 v[8:9], v[4:5], v[2:3] op_sel:[0,1]
	s_delay_alu instid0(VALU_DEP_1) | instskip(SKIP_1) | instid1(VALU_DEP_1)
	v_pk_fma_f32 v[10:11], v[4:5], v[0:1], v[8:9] op_sel:[0,0,1] op_sel_hi:[1,1,0] neg_lo:[0,0,1] neg_hi:[0,0,1]
	v_pk_fma_f32 v[4:5], v[4:5], v[0:1], v[8:9] op_sel:[0,0,1] op_sel_hi:[1,0,0]
	v_mov_b32_e32 v11, v5
	v_pk_mul_f32 v[4:5], v[6:7], v[2:3] op_sel:[0,1]
	s_delay_alu instid0(VALU_DEP_1) | instskip(SKIP_1) | instid1(VALU_DEP_1)
	v_pk_fma_f32 v[8:9], v[6:7], v[0:1], v[4:5] op_sel:[0,0,1] op_sel_hi:[1,1,0] neg_lo:[0,0,1] neg_hi:[0,0,1]
	v_pk_fma_f32 v[4:5], v[6:7], v[0:1], v[4:5] op_sel:[0,0,1] op_sel_hi:[1,0,0]
	v_mov_b32_e32 v9, v5
	ds_load_2addr_b64 v[4:7], v216 offset0:32 offset1:33
	v_pk_add_f32 v[128:129], v[128:129], v[10:11] neg_lo:[0,1] neg_hi:[0,1]
	v_pk_add_f32 v[124:125], v[124:125], v[8:9] neg_lo:[0,1] neg_hi:[0,1]
	s_wait_dscnt 0x0
	v_dual_mul_f32 v8, v5, v3 :: v_dual_mul_f32 v10, v5, v0
	s_delay_alu instid0(VALU_DEP_1) | instskip(NEXT) | instid1(VALU_DEP_2)
	v_pk_fma_f32 v[8:9], v[4:5], v[44:45], v[8:9] op_sel_hi:[1,1,0] neg_lo:[0,0,1] neg_hi:[0,0,1]
	v_pk_fma_f32 v[4:5], v[4:5], v[44:45], v[10:11] op_sel:[1,0,0] op_sel_hi:[0,1,0]
	s_delay_alu instid0(VALU_DEP_1) | instskip(SKIP_1) | instid1(VALU_DEP_2)
	v_mov_b32_e32 v9, v5
	v_pk_mul_f32 v[4:5], v[6:7], v[2:3] op_sel:[0,1]
	v_pk_add_f32 v[146:147], v[146:147], v[8:9] neg_lo:[0,1] neg_hi:[0,1]
	s_delay_alu instid0(VALU_DEP_2) | instskip(SKIP_1) | instid1(VALU_DEP_1)
	v_pk_fma_f32 v[8:9], v[6:7], v[0:1], v[4:5] op_sel:[0,0,1] op_sel_hi:[1,1,0] neg_lo:[0,0,1] neg_hi:[0,0,1]
	v_pk_fma_f32 v[4:5], v[6:7], v[0:1], v[4:5] op_sel:[0,0,1] op_sel_hi:[1,0,0]
	v_mov_b32_e32 v9, v5
	ds_load_2addr_b64 v[4:7], v216 offset0:34 offset1:35
	v_pk_add_f32 v[142:143], v[142:143], v[8:9] neg_lo:[0,1] neg_hi:[0,1]
	s_wait_dscnt 0x0
	v_pk_mul_f32 v[8:9], v[4:5], v[2:3] op_sel:[0,1]
	s_delay_alu instid0(VALU_DEP_1) | instskip(SKIP_1) | instid1(VALU_DEP_1)
	v_pk_fma_f32 v[10:11], v[4:5], v[0:1], v[8:9] op_sel:[0,0,1] op_sel_hi:[1,1,0] neg_lo:[0,0,1] neg_hi:[0,0,1]
	v_pk_fma_f32 v[4:5], v[4:5], v[0:1], v[8:9] op_sel:[0,0,1] op_sel_hi:[1,0,0]
	v_mov_b32_e32 v11, v5
	v_pk_mul_f32 v[4:5], v[6:7], v[2:3] op_sel:[0,1]
	s_delay_alu instid0(VALU_DEP_2) | instskip(NEXT) | instid1(VALU_DEP_2)
	v_pk_add_f32 v[144:145], v[144:145], v[10:11] neg_lo:[0,1] neg_hi:[0,1]
	v_pk_fma_f32 v[8:9], v[6:7], v[0:1], v[4:5] op_sel:[0,0,1] op_sel_hi:[1,1,0] neg_lo:[0,0,1] neg_hi:[0,0,1]
	v_pk_fma_f32 v[4:5], v[6:7], v[0:1], v[4:5] op_sel:[0,0,1] op_sel_hi:[1,0,0]
	s_delay_alu instid0(VALU_DEP_1) | instskip(SKIP_4) | instid1(VALU_DEP_1)
	v_mov_b32_e32 v9, v5
	ds_load_2addr_b64 v[4:7], v216 offset0:36 offset1:37
	v_pk_add_f32 v[140:141], v[140:141], v[8:9] neg_lo:[0,1] neg_hi:[0,1]
	s_wait_dscnt 0x0
	v_pk_mul_f32 v[8:9], v[4:5], v[2:3] op_sel:[0,1]
	v_pk_fma_f32 v[10:11], v[4:5], v[0:1], v[8:9] op_sel:[0,0,1] op_sel_hi:[1,1,0] neg_lo:[0,0,1] neg_hi:[0,0,1]
	v_pk_fma_f32 v[4:5], v[4:5], v[0:1], v[8:9] op_sel:[0,0,1] op_sel_hi:[1,0,0]
	v_dual_mul_f32 v8, v7, v3 :: v_dual_mov_b32 v4, v7
	s_delay_alu instid0(VALU_DEP_2) | instskip(NEXT) | instid1(VALU_DEP_2)
	v_dual_mov_b32 v11, v5 :: v_dual_mov_b32 v5, v6
	v_pk_fma_f32 v[8:9], v[6:7], v[44:45], v[8:9] op_sel_hi:[1,1,0] neg_lo:[0,0,1] neg_hi:[0,0,1]
	v_mul_f32_e32 v6, v7, v0
	s_delay_alu instid0(VALU_DEP_3) | instskip(NEXT) | instid1(VALU_DEP_2)
	v_pk_add_f32 v[162:163], v[162:163], v[10:11] neg_lo:[0,1] neg_hi:[0,1]
	v_pk_fma_f32 v[4:5], v[4:5], v[44:45], v[6:7] op_sel_hi:[1,1,0]
	s_delay_alu instid0(VALU_DEP_1) | instskip(SKIP_4) | instid1(VALU_DEP_1)
	v_mov_b32_e32 v9, v5
	ds_load_2addr_b64 v[4:7], v216 offset0:38 offset1:39
	v_pk_add_f32 v[158:159], v[158:159], v[8:9] neg_lo:[0,1] neg_hi:[0,1]
	s_wait_dscnt 0x0
	v_pk_mul_f32 v[8:9], v[4:5], v[2:3] op_sel:[0,1]
	v_pk_fma_f32 v[10:11], v[4:5], v[0:1], v[8:9] op_sel:[0,0,1] op_sel_hi:[1,1,0] neg_lo:[0,0,1] neg_hi:[0,0,1]
	v_pk_fma_f32 v[4:5], v[4:5], v[0:1], v[8:9] op_sel:[0,0,1] op_sel_hi:[1,0,0]
	s_delay_alu instid0(VALU_DEP_1) | instskip(SKIP_1) | instid1(VALU_DEP_1)
	v_mov_b32_e32 v11, v5
	v_pk_mul_f32 v[4:5], v[6:7], v[2:3] op_sel:[0,1]
	v_pk_fma_f32 v[8:9], v[6:7], v[0:1], v[4:5] op_sel:[0,0,1] op_sel_hi:[1,1,0] neg_lo:[0,0,1] neg_hi:[0,0,1]
	v_pk_fma_f32 v[4:5], v[6:7], v[0:1], v[4:5] op_sel:[0,0,1] op_sel_hi:[1,0,0]
	s_delay_alu instid0(VALU_DEP_1)
	v_mov_b32_e32 v9, v5
	ds_load_2addr_b64 v[4:7], v216 offset0:40 offset1:41
	v_pk_add_f32 v[160:161], v[160:161], v[10:11] neg_lo:[0,1] neg_hi:[0,1]
	v_pk_add_f32 v[156:157], v[156:157], v[8:9] neg_lo:[0,1] neg_hi:[0,1]
	s_wait_dscnt 0x0
	v_pk_mul_f32 v[8:9], v[4:5], v[2:3] op_sel:[0,1]
	s_delay_alu instid0(VALU_DEP_1) | instskip(SKIP_1) | instid1(VALU_DEP_1)
	v_pk_fma_f32 v[10:11], v[4:5], v[0:1], v[8:9] op_sel:[0,0,1] op_sel_hi:[1,1,0] neg_lo:[0,0,1] neg_hi:[0,0,1]
	v_pk_fma_f32 v[4:5], v[4:5], v[0:1], v[8:9] op_sel:[0,0,1] op_sel_hi:[1,0,0]
	v_mov_b32_e32 v11, v5
	v_pk_mul_f32 v[4:5], v[6:7], v[2:3] op_sel:[0,1]
	s_delay_alu instid0(VALU_DEP_1) | instskip(SKIP_1) | instid1(VALU_DEP_1)
	v_pk_fma_f32 v[8:9], v[6:7], v[0:1], v[4:5] op_sel:[0,0,1] op_sel_hi:[1,1,0] neg_lo:[0,0,1] neg_hi:[0,0,1]
	v_pk_fma_f32 v[4:5], v[6:7], v[0:1], v[4:5] op_sel:[0,0,1] op_sel_hi:[1,0,0]
	v_mov_b32_e32 v9, v5
	ds_load_2addr_b64 v[4:7], v216 offset0:42 offset1:43
	v_pk_add_f32 v[178:179], v[178:179], v[10:11] neg_lo:[0,1] neg_hi:[0,1]
	v_pk_add_f32 v[174:175], v[174:175], v[8:9] neg_lo:[0,1] neg_hi:[0,1]
	s_wait_dscnt 0x0
	v_dual_mul_f32 v8, v5, v3 :: v_dual_mul_f32 v10, v5, v0
	s_delay_alu instid0(VALU_DEP_1) | instskip(NEXT) | instid1(VALU_DEP_2)
	v_pk_fma_f32 v[8:9], v[4:5], v[44:45], v[8:9] op_sel_hi:[1,1,0] neg_lo:[0,0,1] neg_hi:[0,0,1]
	v_pk_fma_f32 v[4:5], v[4:5], v[44:45], v[10:11] op_sel:[1,0,0] op_sel_hi:[0,1,0]
	s_delay_alu instid0(VALU_DEP_1) | instskip(SKIP_1) | instid1(VALU_DEP_2)
	v_mov_b32_e32 v9, v5
	v_pk_mul_f32 v[4:5], v[6:7], v[2:3] op_sel:[0,1]
	v_pk_add_f32 v[176:177], v[176:177], v[8:9] neg_lo:[0,1] neg_hi:[0,1]
	s_delay_alu instid0(VALU_DEP_2) | instskip(SKIP_1) | instid1(VALU_DEP_1)
	v_pk_fma_f32 v[8:9], v[6:7], v[0:1], v[4:5] op_sel:[0,0,1] op_sel_hi:[1,1,0] neg_lo:[0,0,1] neg_hi:[0,0,1]
	v_pk_fma_f32 v[4:5], v[6:7], v[0:1], v[4:5] op_sel:[0,0,1] op_sel_hi:[1,0,0]
	v_mov_b32_e32 v9, v5
	ds_load_2addr_b64 v[4:7], v216 offset0:44 offset1:45
	v_pk_add_f32 v[172:173], v[172:173], v[8:9] neg_lo:[0,1] neg_hi:[0,1]
	s_wait_dscnt 0x0
	v_pk_mul_f32 v[8:9], v[4:5], v[2:3] op_sel:[0,1]
	s_delay_alu instid0(VALU_DEP_1) | instskip(SKIP_1) | instid1(VALU_DEP_1)
	v_pk_fma_f32 v[10:11], v[4:5], v[0:1], v[8:9] op_sel:[0,0,1] op_sel_hi:[1,1,0] neg_lo:[0,0,1] neg_hi:[0,0,1]
	v_pk_fma_f32 v[4:5], v[4:5], v[0:1], v[8:9] op_sel:[0,0,1] op_sel_hi:[1,0,0]
	v_mov_b32_e32 v11, v5
	v_pk_mul_f32 v[4:5], v[6:7], v[2:3] op_sel:[0,1]
	s_delay_alu instid0(VALU_DEP_2) | instskip(NEXT) | instid1(VALU_DEP_2)
	v_pk_add_f32 v[194:195], v[194:195], v[10:11] neg_lo:[0,1] neg_hi:[0,1]
	v_pk_fma_f32 v[8:9], v[6:7], v[0:1], v[4:5] op_sel:[0,0,1] op_sel_hi:[1,1,0] neg_lo:[0,0,1] neg_hi:[0,0,1]
	v_pk_fma_f32 v[4:5], v[6:7], v[0:1], v[4:5] op_sel:[0,0,1] op_sel_hi:[1,0,0]
	s_delay_alu instid0(VALU_DEP_1) | instskip(SKIP_4) | instid1(VALU_DEP_1)
	v_mov_b32_e32 v9, v5
	ds_load_2addr_b64 v[4:7], v216 offset0:46 offset1:47
	v_pk_add_f32 v[190:191], v[190:191], v[8:9] neg_lo:[0,1] neg_hi:[0,1]
	s_wait_dscnt 0x0
	v_pk_mul_f32 v[8:9], v[4:5], v[2:3] op_sel:[0,1]
	v_pk_fma_f32 v[10:11], v[4:5], v[0:1], v[8:9] op_sel:[0,0,1] op_sel_hi:[1,1,0] neg_lo:[0,0,1] neg_hi:[0,0,1]
	v_pk_fma_f32 v[4:5], v[4:5], v[0:1], v[8:9] op_sel:[0,0,1] op_sel_hi:[1,0,0]
	v_dual_mul_f32 v8, v7, v3 :: v_dual_mov_b32 v4, v7
	s_delay_alu instid0(VALU_DEP_2) | instskip(NEXT) | instid1(VALU_DEP_2)
	v_dual_mov_b32 v11, v5 :: v_dual_mov_b32 v5, v6
	v_pk_fma_f32 v[8:9], v[6:7], v[44:45], v[8:9] op_sel_hi:[1,1,0] neg_lo:[0,0,1] neg_hi:[0,0,1]
	v_mul_f32_e32 v6, v7, v0
	s_delay_alu instid0(VALU_DEP_3) | instskip(NEXT) | instid1(VALU_DEP_2)
	v_pk_add_f32 v[192:193], v[192:193], v[10:11] neg_lo:[0,1] neg_hi:[0,1]
	v_pk_fma_f32 v[4:5], v[4:5], v[44:45], v[6:7] op_sel_hi:[1,1,0]
	s_delay_alu instid0(VALU_DEP_1) | instskip(SKIP_4) | instid1(VALU_DEP_1)
	v_mov_b32_e32 v9, v5
	ds_load_2addr_b64 v[4:7], v216 offset0:48 offset1:49
	v_pk_add_f32 v[188:189], v[188:189], v[8:9] neg_lo:[0,1] neg_hi:[0,1]
	s_wait_dscnt 0x0
	v_pk_mul_f32 v[8:9], v[4:5], v[2:3] op_sel:[0,1]
	v_pk_fma_f32 v[10:11], v[4:5], v[0:1], v[8:9] op_sel:[0,0,1] op_sel_hi:[1,1,0] neg_lo:[0,0,1] neg_hi:[0,0,1]
	v_pk_fma_f32 v[4:5], v[4:5], v[0:1], v[8:9] op_sel:[0,0,1] op_sel_hi:[1,0,0]
	s_delay_alu instid0(VALU_DEP_1) | instskip(SKIP_1) | instid1(VALU_DEP_1)
	v_mov_b32_e32 v11, v5
	v_pk_mul_f32 v[4:5], v[6:7], v[2:3] op_sel:[0,1]
	v_pk_fma_f32 v[8:9], v[6:7], v[0:1], v[4:5] op_sel:[0,0,1] op_sel_hi:[1,1,0] neg_lo:[0,0,1] neg_hi:[0,0,1]
	v_pk_fma_f32 v[4:5], v[6:7], v[0:1], v[4:5] op_sel:[0,0,1] op_sel_hi:[1,0,0]
	s_delay_alu instid0(VALU_DEP_1)
	v_mov_b32_e32 v9, v5
	ds_load_2addr_b64 v[4:7], v216 offset0:50 offset1:51
	v_pk_add_f32 v[214:215], v[214:215], v[10:11] neg_lo:[0,1] neg_hi:[0,1]
	v_pk_add_f32 v[210:211], v[210:211], v[8:9] neg_lo:[0,1] neg_hi:[0,1]
	s_wait_dscnt 0x0
	v_pk_mul_f32 v[8:9], v[4:5], v[2:3] op_sel:[0,1]
	s_delay_alu instid0(VALU_DEP_1) | instskip(SKIP_1) | instid1(VALU_DEP_1)
	v_pk_fma_f32 v[10:11], v[4:5], v[0:1], v[8:9] op_sel:[0,0,1] op_sel_hi:[1,1,0] neg_lo:[0,0,1] neg_hi:[0,0,1]
	v_pk_fma_f32 v[4:5], v[4:5], v[0:1], v[8:9] op_sel:[0,0,1] op_sel_hi:[1,0,0]
	v_mov_b32_e32 v11, v5
	v_pk_mul_f32 v[4:5], v[6:7], v[2:3] op_sel:[0,1]
	s_delay_alu instid0(VALU_DEP_1) | instskip(SKIP_1) | instid1(VALU_DEP_1)
	v_pk_fma_f32 v[8:9], v[6:7], v[0:1], v[4:5] op_sel:[0,0,1] op_sel_hi:[1,1,0] neg_lo:[0,0,1] neg_hi:[0,0,1]
	v_pk_fma_f32 v[4:5], v[6:7], v[0:1], v[4:5] op_sel:[0,0,1] op_sel_hi:[1,0,0]
	v_mov_b32_e32 v9, v5
	ds_load_2addr_b64 v[4:7], v216 offset0:52 offset1:53
	v_pk_add_f32 v[212:213], v[212:213], v[10:11] neg_lo:[0,1] neg_hi:[0,1]
	v_pk_add_f32 v[208:209], v[208:209], v[8:9] neg_lo:[0,1] neg_hi:[0,1]
	s_wait_dscnt 0x0
	v_dual_mul_f32 v8, v5, v3 :: v_dual_mul_f32 v10, v5, v0
	s_delay_alu instid0(VALU_DEP_1) | instskip(NEXT) | instid1(VALU_DEP_2)
	v_pk_fma_f32 v[8:9], v[4:5], v[44:45], v[8:9] op_sel_hi:[1,1,0] neg_lo:[0,0,1] neg_hi:[0,0,1]
	v_pk_fma_f32 v[4:5], v[4:5], v[44:45], v[10:11] op_sel:[1,0,0] op_sel_hi:[0,1,0]
	s_delay_alu instid0(VALU_DEP_1) | instskip(SKIP_1) | instid1(VALU_DEP_2)
	v_mov_b32_e32 v9, v5
	v_pk_mul_f32 v[4:5], v[6:7], v[2:3] op_sel:[0,1]
	v_pk_add_f32 v[236:237], v[236:237], v[8:9] neg_lo:[0,1] neg_hi:[0,1]
	s_delay_alu instid0(VALU_DEP_2) | instskip(SKIP_1) | instid1(VALU_DEP_1)
	v_pk_fma_f32 v[8:9], v[6:7], v[0:1], v[4:5] op_sel:[0,0,1] op_sel_hi:[1,1,0] neg_lo:[0,0,1] neg_hi:[0,0,1]
	v_pk_fma_f32 v[4:5], v[6:7], v[0:1], v[4:5] op_sel:[0,0,1] op_sel_hi:[1,0,0]
	v_mov_b32_e32 v9, v5
	ds_load_2addr_b64 v[4:7], v216 offset0:54 offset1:55
	v_pk_add_f32 v[230:231], v[230:231], v[8:9] neg_lo:[0,1] neg_hi:[0,1]
	s_wait_dscnt 0x0
	v_pk_mul_f32 v[8:9], v[4:5], v[2:3] op_sel:[0,1]
	s_delay_alu instid0(VALU_DEP_1) | instskip(SKIP_1) | instid1(VALU_DEP_1)
	v_pk_fma_f32 v[10:11], v[4:5], v[0:1], v[8:9] op_sel:[0,0,1] op_sel_hi:[1,1,0] neg_lo:[0,0,1] neg_hi:[0,0,1]
	v_pk_fma_f32 v[4:5], v[4:5], v[0:1], v[8:9] op_sel:[0,0,1] op_sel_hi:[1,0,0]
	v_mov_b32_e32 v11, v5
	v_pk_mul_f32 v[4:5], v[6:7], v[2:3] op_sel:[0,1]
	s_delay_alu instid0(VALU_DEP_2) | instskip(NEXT) | instid1(VALU_DEP_2)
	v_pk_add_f32 v[234:235], v[234:235], v[10:11] neg_lo:[0,1] neg_hi:[0,1]
	v_pk_fma_f32 v[8:9], v[6:7], v[0:1], v[4:5] op_sel:[0,0,1] op_sel_hi:[1,1,0] neg_lo:[0,0,1] neg_hi:[0,0,1]
	v_pk_fma_f32 v[4:5], v[6:7], v[0:1], v[4:5] op_sel:[0,0,1] op_sel_hi:[1,0,0]
	s_delay_alu instid0(VALU_DEP_1) | instskip(SKIP_4) | instid1(VALU_DEP_1)
	v_mov_b32_e32 v9, v5
	ds_load_2addr_b64 v[4:7], v216 offset0:56 offset1:57
	v_pk_add_f32 v[228:229], v[228:229], v[8:9] neg_lo:[0,1] neg_hi:[0,1]
	s_wait_dscnt 0x0
	v_pk_mul_f32 v[8:9], v[4:5], v[2:3] op_sel:[0,1]
	v_pk_fma_f32 v[10:11], v[4:5], v[0:1], v[8:9] op_sel:[0,0,1] op_sel_hi:[1,1,0] neg_lo:[0,0,1] neg_hi:[0,0,1]
	v_pk_fma_f32 v[4:5], v[4:5], v[0:1], v[8:9] op_sel:[0,0,1] op_sel_hi:[1,0,0]
	v_dual_mul_f32 v8, v7, v3 :: v_dual_mov_b32 v4, v7
	s_delay_alu instid0(VALU_DEP_2) | instskip(NEXT) | instid1(VALU_DEP_2)
	v_dual_mov_b32 v11, v5 :: v_dual_mov_b32 v5, v6
	v_pk_fma_f32 v[8:9], v[6:7], v[44:45], v[8:9] op_sel_hi:[1,1,0] neg_lo:[0,0,1] neg_hi:[0,0,1]
	v_mul_f32_e32 v6, v7, v0
	s_delay_alu instid0(VALU_DEP_3) | instskip(NEXT) | instid1(VALU_DEP_2)
	v_pk_add_f32 v[232:233], v[232:233], v[10:11] neg_lo:[0,1] neg_hi:[0,1]
	v_pk_fma_f32 v[4:5], v[4:5], v[44:45], v[6:7] op_sel_hi:[1,1,0]
	s_delay_alu instid0(VALU_DEP_1)
	v_mov_b32_e32 v9, v5
	ds_load_2addr_b64 v[4:7], v216 offset0:58 offset1:59
	v_pk_add_f32 v[226:227], v[226:227], v[8:9] neg_lo:[0,1] neg_hi:[0,1]
	s_wait_dscnt 0x0
	v_pk_mul_f32 v[8:9], v[4:5], v[2:3] op_sel:[0,1]
	v_pk_mul_f32 v[2:3], v[6:7], v[2:3] op_sel:[0,1]
	s_delay_alu instid0(VALU_DEP_2) | instskip(SKIP_1) | instid1(VALU_DEP_1)
	v_pk_fma_f32 v[10:11], v[4:5], v[0:1], v[8:9] op_sel:[0,0,1] op_sel_hi:[1,1,0] neg_lo:[0,0,1] neg_hi:[0,0,1]
	v_pk_fma_f32 v[4:5], v[4:5], v[0:1], v[8:9] op_sel:[0,0,1] op_sel_hi:[1,0,0]
	v_mov_b32_e32 v11, v5
	s_delay_alu instid0(VALU_DEP_4) | instskip(SKIP_1) | instid1(VALU_DEP_1)
	v_pk_fma_f32 v[4:5], v[6:7], v[0:1], v[2:3] op_sel:[0,0,1] op_sel_hi:[1,1,0] neg_lo:[0,0,1] neg_hi:[0,0,1]
	v_pk_fma_f32 v[0:1], v[6:7], v[0:1], v[2:3] op_sel:[0,0,1] op_sel_hi:[1,0,0]
	v_mov_b32_e32 v5, v1
	s_delay_alu instid0(VALU_DEP_4) | instskip(NEXT) | instid1(VALU_DEP_2)
	v_pk_add_f32 v[238:239], v[238:239], v[10:11] neg_lo:[0,1] neg_hi:[0,1]
	v_pk_add_f32 v[240:241], v[240:241], v[4:5] neg_lo:[0,1] neg_hi:[0,1]
.LBB119_37:
	s_wait_xcnt 0x0
	s_or_b32 exec_lo, exec_lo, s1
	s_delay_alu instid0(SALU_CYCLE_1)
	s_mov_b32 s2, exec_lo
	s_wait_storecnt 0x0
	s_barrier_signal -1
	s_barrier_wait -1
	v_cmpx_eq_u32_e32 4, v206
	s_cbranch_execz .LBB119_44
; %bb.38:
	ds_store_b64 v207, v[26:27]
	ds_store_2addr_b64 v216, v[22:23], v[24:25] offset0:5 offset1:6
	ds_store_2addr_b64 v216, v[20:21], v[40:41] offset0:7 offset1:8
	;; [unrolled: 1-line block ×27, first 2 shown]
	ds_store_b64 v216, v[240:241] offset:472
	ds_load_b64 v[0:1], v207
	s_wait_dscnt 0x0
	v_cmp_neq_f32_e32 vcc_lo, 0, v0
	v_cmp_neq_f32_e64 s1, 0, v1
	s_or_b32 s1, vcc_lo, s1
	s_delay_alu instid0(SALU_CYCLE_1)
	s_and_b32 exec_lo, exec_lo, s1
	s_cbranch_execz .LBB119_44
; %bb.39:
	v_cmp_ngt_f32_e64 s1, |v0|, |v1|
                                        ; implicit-def: $vgpr2_vgpr3
	s_and_saveexec_b32 s4, s1
	s_delay_alu instid0(SALU_CYCLE_1)
	s_xor_b32 s1, exec_lo, s4
	s_cbranch_execz .LBB119_41
; %bb.40:
	v_div_scale_f32 v2, null, v1, v1, v0
	v_div_scale_f32 v5, vcc_lo, v0, v1, v0
	s_delay_alu instid0(VALU_DEP_2) | instskip(SKIP_1) | instid1(TRANS32_DEP_1)
	v_rcp_f32_e32 v3, v2
	v_nop
	v_fma_f32 v4, -v2, v3, 1.0
	s_delay_alu instid0(VALU_DEP_1) | instskip(NEXT) | instid1(VALU_DEP_1)
	v_fmac_f32_e32 v3, v4, v3
	v_mul_f32_e32 v4, v5, v3
	s_delay_alu instid0(VALU_DEP_1) | instskip(NEXT) | instid1(VALU_DEP_1)
	v_fma_f32 v6, -v2, v4, v5
	v_fmac_f32_e32 v4, v6, v3
	s_delay_alu instid0(VALU_DEP_1) | instskip(NEXT) | instid1(VALU_DEP_1)
	v_fma_f32 v2, -v2, v4, v5
	v_div_fmas_f32 v2, v2, v3, v4
	s_delay_alu instid0(VALU_DEP_1) | instskip(NEXT) | instid1(VALU_DEP_1)
	v_div_fixup_f32 v2, v2, v1, v0
	v_fmac_f32_e32 v1, v0, v2
	s_delay_alu instid0(VALU_DEP_1) | instskip(SKIP_1) | instid1(VALU_DEP_2)
	v_div_scale_f32 v0, null, v1, v1, 1.0
	v_div_scale_f32 v5, vcc_lo, 1.0, v1, 1.0
	v_rcp_f32_e32 v3, v0
	v_nop
	s_delay_alu instid0(TRANS32_DEP_1) | instskip(NEXT) | instid1(VALU_DEP_1)
	v_fma_f32 v4, -v0, v3, 1.0
	v_fmac_f32_e32 v3, v4, v3
	s_delay_alu instid0(VALU_DEP_1) | instskip(NEXT) | instid1(VALU_DEP_1)
	v_mul_f32_e32 v4, v5, v3
	v_fma_f32 v6, -v0, v4, v5
	s_delay_alu instid0(VALU_DEP_1) | instskip(NEXT) | instid1(VALU_DEP_1)
	v_fmac_f32_e32 v4, v6, v3
	v_fma_f32 v0, -v0, v4, v5
	s_delay_alu instid0(VALU_DEP_1) | instskip(NEXT) | instid1(VALU_DEP_1)
	v_div_fmas_f32 v0, v0, v3, v4
	v_div_fixup_f32 v0, v0, v1, 1.0
	s_delay_alu instid0(VALU_DEP_1)
	v_mul_f32_e32 v2, v2, v0
	v_xor_b32_e32 v3, 0x80000000, v0
                                        ; implicit-def: $vgpr0_vgpr1
.LBB119_41:
	s_and_not1_saveexec_b32 s1, s1
	s_cbranch_execz .LBB119_43
; %bb.42:
	v_div_scale_f32 v2, null, v0, v0, v1
	v_div_scale_f32 v5, vcc_lo, v1, v0, v1
	s_delay_alu instid0(VALU_DEP_2) | instskip(SKIP_1) | instid1(TRANS32_DEP_1)
	v_rcp_f32_e32 v3, v2
	v_nop
	v_fma_f32 v4, -v2, v3, 1.0
	s_delay_alu instid0(VALU_DEP_1) | instskip(NEXT) | instid1(VALU_DEP_1)
	v_fmac_f32_e32 v3, v4, v3
	v_mul_f32_e32 v4, v5, v3
	s_delay_alu instid0(VALU_DEP_1) | instskip(NEXT) | instid1(VALU_DEP_1)
	v_fma_f32 v6, -v2, v4, v5
	v_fmac_f32_e32 v4, v6, v3
	s_delay_alu instid0(VALU_DEP_1) | instskip(NEXT) | instid1(VALU_DEP_1)
	v_fma_f32 v2, -v2, v4, v5
	v_div_fmas_f32 v2, v2, v3, v4
	s_delay_alu instid0(VALU_DEP_1) | instskip(NEXT) | instid1(VALU_DEP_1)
	v_div_fixup_f32 v3, v2, v0, v1
	v_fmac_f32_e32 v0, v1, v3
	s_delay_alu instid0(VALU_DEP_1) | instskip(NEXT) | instid1(VALU_DEP_1)
	v_div_scale_f32 v1, null, v0, v0, 1.0
	v_rcp_f32_e32 v2, v1
	v_nop
	s_delay_alu instid0(TRANS32_DEP_1) | instskip(NEXT) | instid1(VALU_DEP_1)
	v_fma_f32 v4, -v1, v2, 1.0
	v_fmac_f32_e32 v2, v4, v2
	v_div_scale_f32 v4, vcc_lo, 1.0, v0, 1.0
	s_delay_alu instid0(VALU_DEP_1) | instskip(NEXT) | instid1(VALU_DEP_1)
	v_mul_f32_e32 v5, v4, v2
	v_fma_f32 v6, -v1, v5, v4
	s_delay_alu instid0(VALU_DEP_1) | instskip(NEXT) | instid1(VALU_DEP_1)
	v_fmac_f32_e32 v5, v6, v2
	v_fma_f32 v1, -v1, v5, v4
	s_delay_alu instid0(VALU_DEP_1) | instskip(NEXT) | instid1(VALU_DEP_1)
	v_div_fmas_f32 v1, v1, v2, v5
	v_div_fixup_f32 v2, v1, v0, 1.0
	s_delay_alu instid0(VALU_DEP_1)
	v_mul_f32_e64 v3, v3, -v2
.LBB119_43:
	s_or_b32 exec_lo, exec_lo, s1
	ds_store_b64 v207, v[2:3]
.LBB119_44:
	s_or_b32 exec_lo, exec_lo, s2
	s_wait_dscnt 0x0
	s_barrier_signal -1
	s_barrier_wait -1
	ds_load_b64 v[0:1], v207
	s_mov_b32 s1, exec_lo
	s_wait_dscnt 0x0
	scratch_store_b64 off, v[0:1], off offset:440 ; 8-byte Folded Spill
	s_wait_xcnt 0x0
	v_cmpx_lt_u32_e32 4, v206
	s_cbranch_execz .LBB119_46
; %bb.45:
	scratch_load_b64 v[4:5], off, off offset:440 ; 8-byte Folded Reload
	s_wait_loadcnt 0x0
	v_pk_mul_f32 v[2:3], v[4:5], v[26:27] op_sel:[1,1] op_sel_hi:[0,1]
	s_delay_alu instid0(VALU_DEP_1)
	v_pk_fma_f32 v[0:1], v[4:5], v[26:27], v[2:3] op_sel_hi:[1,0,1] neg_lo:[0,0,1] neg_hi:[0,0,1]
	v_pk_fma_f32 v[2:3], v[4:5], v[26:27], v[2:3] op_sel_hi:[1,0,1]
	ds_load_2addr_b64 v[4:7], v216 offset0:5 offset1:6
	v_dual_mov_b32 v26, v0 :: v_dual_mov_b32 v27, v3
	s_wait_dscnt 0x0
	v_pk_mul_f32 v[8:9], v[4:5], v[2:3] op_sel:[0,1]
	s_delay_alu instid0(VALU_DEP_1) | instskip(SKIP_1) | instid1(VALU_DEP_1)
	v_pk_fma_f32 v[10:11], v[4:5], v[0:1], v[8:9] op_sel:[0,0,1] op_sel_hi:[1,1,0] neg_lo:[0,0,1] neg_hi:[0,0,1]
	v_pk_fma_f32 v[4:5], v[4:5], v[0:1], v[8:9] op_sel:[0,0,1] op_sel_hi:[1,0,0]
	v_mov_b32_e32 v11, v5
	v_pk_mul_f32 v[4:5], v[6:7], v[2:3] op_sel:[0,1]
	s_delay_alu instid0(VALU_DEP_1) | instskip(SKIP_1) | instid1(VALU_DEP_1)
	v_pk_fma_f32 v[8:9], v[6:7], v[0:1], v[4:5] op_sel:[0,0,1] op_sel_hi:[1,1,0] neg_lo:[0,0,1] neg_hi:[0,0,1]
	v_pk_fma_f32 v[4:5], v[6:7], v[0:1], v[4:5] op_sel:[0,0,1] op_sel_hi:[1,0,0]
	v_mov_b32_e32 v9, v5
	ds_load_2addr_b64 v[4:7], v216 offset0:7 offset1:8
	v_pk_add_f32 v[22:23], v[22:23], v[10:11] neg_lo:[0,1] neg_hi:[0,1]
	v_pk_add_f32 v[24:25], v[24:25], v[8:9] neg_lo:[0,1] neg_hi:[0,1]
	s_wait_dscnt 0x0
	v_pk_mul_f32 v[8:9], v[4:5], v[2:3] op_sel:[0,1]
	s_delay_alu instid0(VALU_DEP_1) | instskip(SKIP_2) | instid1(VALU_DEP_2)
	v_pk_fma_f32 v[10:11], v[4:5], v[0:1], v[8:9] op_sel:[0,0,1] op_sel_hi:[1,1,0] neg_lo:[0,0,1] neg_hi:[0,0,1]
	v_pk_fma_f32 v[4:5], v[4:5], v[0:1], v[8:9] op_sel:[0,0,1] op_sel_hi:[1,0,0]
	v_dual_mul_f32 v8, v7, v3 :: v_dual_mov_b32 v4, v7
	v_dual_mov_b32 v11, v5 :: v_dual_mov_b32 v5, v6
	s_delay_alu instid0(VALU_DEP_2) | instskip(SKIP_1) | instid1(VALU_DEP_3)
	v_pk_fma_f32 v[8:9], v[6:7], v[26:27], v[8:9] op_sel_hi:[1,1,0] neg_lo:[0,0,1] neg_hi:[0,0,1]
	v_mul_f32_e32 v6, v7, v0
	v_pk_add_f32 v[20:21], v[20:21], v[10:11] neg_lo:[0,1] neg_hi:[0,1]
	s_delay_alu instid0(VALU_DEP_2) | instskip(NEXT) | instid1(VALU_DEP_1)
	v_pk_fma_f32 v[4:5], v[4:5], v[26:27], v[6:7] op_sel_hi:[1,1,0]
	v_mov_b32_e32 v9, v5
	ds_load_2addr_b64 v[4:7], v216 offset0:9 offset1:10
	v_pk_add_f32 v[40:41], v[40:41], v[8:9] neg_lo:[0,1] neg_hi:[0,1]
	s_wait_dscnt 0x0
	v_pk_mul_f32 v[8:9], v[4:5], v[2:3] op_sel:[0,1]
	s_delay_alu instid0(VALU_DEP_1) | instskip(SKIP_1) | instid1(VALU_DEP_1)
	v_pk_fma_f32 v[10:11], v[4:5], v[0:1], v[8:9] op_sel:[0,0,1] op_sel_hi:[1,1,0] neg_lo:[0,0,1] neg_hi:[0,0,1]
	v_pk_fma_f32 v[4:5], v[4:5], v[0:1], v[8:9] op_sel:[0,0,1] op_sel_hi:[1,0,0]
	v_mov_b32_e32 v11, v5
	v_pk_mul_f32 v[4:5], v[6:7], v[2:3] op_sel:[0,1]
	s_delay_alu instid0(VALU_DEP_1) | instskip(SKIP_1) | instid1(VALU_DEP_1)
	v_pk_fma_f32 v[8:9], v[6:7], v[0:1], v[4:5] op_sel:[0,0,1] op_sel_hi:[1,1,0] neg_lo:[0,0,1] neg_hi:[0,0,1]
	v_pk_fma_f32 v[4:5], v[6:7], v[0:1], v[4:5] op_sel:[0,0,1] op_sel_hi:[1,0,0]
	v_mov_b32_e32 v9, v5
	ds_load_2addr_b64 v[4:7], v216 offset0:11 offset1:12
	v_pk_add_f32 v[36:37], v[36:37], v[10:11] neg_lo:[0,1] neg_hi:[0,1]
	v_pk_add_f32 v[38:39], v[38:39], v[8:9] neg_lo:[0,1] neg_hi:[0,1]
	s_wait_dscnt 0x0
	v_pk_mul_f32 v[8:9], v[4:5], v[2:3] op_sel:[0,1]
	s_delay_alu instid0(VALU_DEP_1) | instskip(SKIP_1) | instid1(VALU_DEP_1)
	v_pk_fma_f32 v[10:11], v[4:5], v[0:1], v[8:9] op_sel:[0,0,1] op_sel_hi:[1,1,0] neg_lo:[0,0,1] neg_hi:[0,0,1]
	v_pk_fma_f32 v[4:5], v[4:5], v[0:1], v[8:9] op_sel:[0,0,1] op_sel_hi:[1,0,0]
	v_mov_b32_e32 v11, v5
	v_pk_mul_f32 v[4:5], v[6:7], v[2:3] op_sel:[0,1]
	s_delay_alu instid0(VALU_DEP_1) | instskip(SKIP_1) | instid1(VALU_DEP_1)
	v_pk_fma_f32 v[8:9], v[6:7], v[0:1], v[4:5] op_sel:[0,0,1] op_sel_hi:[1,1,0] neg_lo:[0,0,1] neg_hi:[0,0,1]
	v_pk_fma_f32 v[4:5], v[6:7], v[0:1], v[4:5] op_sel:[0,0,1] op_sel_hi:[1,0,0]
	v_mov_b32_e32 v9, v5
	ds_load_2addr_b64 v[4:7], v216 offset0:13 offset1:14
	v_pk_add_f32 v[34:35], v[34:35], v[10:11] neg_lo:[0,1] neg_hi:[0,1]
	v_pk_add_f32 v[66:67], v[66:67], v[8:9] neg_lo:[0,1] neg_hi:[0,1]
	s_wait_dscnt 0x0
	v_dual_mul_f32 v8, v5, v3 :: v_dual_mul_f32 v10, v5, v0
	s_delay_alu instid0(VALU_DEP_1) | instskip(NEXT) | instid1(VALU_DEP_2)
	v_pk_fma_f32 v[8:9], v[4:5], v[26:27], v[8:9] op_sel_hi:[1,1,0] neg_lo:[0,0,1] neg_hi:[0,0,1]
	v_pk_fma_f32 v[4:5], v[4:5], v[26:27], v[10:11] op_sel:[1,0,0] op_sel_hi:[0,1,0]
	s_delay_alu instid0(VALU_DEP_1) | instskip(SKIP_1) | instid1(VALU_DEP_2)
	v_mov_b32_e32 v9, v5
	v_pk_mul_f32 v[4:5], v[6:7], v[2:3] op_sel:[0,1]
	v_pk_add_f32 v[62:63], v[62:63], v[8:9] neg_lo:[0,1] neg_hi:[0,1]
	s_delay_alu instid0(VALU_DEP_2) | instskip(SKIP_1) | instid1(VALU_DEP_1)
	v_pk_fma_f32 v[8:9], v[6:7], v[0:1], v[4:5] op_sel:[0,0,1] op_sel_hi:[1,1,0] neg_lo:[0,0,1] neg_hi:[0,0,1]
	v_pk_fma_f32 v[4:5], v[6:7], v[0:1], v[4:5] op_sel:[0,0,1] op_sel_hi:[1,0,0]
	v_mov_b32_e32 v9, v5
	ds_load_2addr_b64 v[4:7], v216 offset0:15 offset1:16
	v_pk_add_f32 v[64:65], v[64:65], v[8:9] neg_lo:[0,1] neg_hi:[0,1]
	s_wait_dscnt 0x0
	v_pk_mul_f32 v[8:9], v[4:5], v[2:3] op_sel:[0,1]
	s_delay_alu instid0(VALU_DEP_1) | instskip(SKIP_1) | instid1(VALU_DEP_1)
	v_pk_fma_f32 v[10:11], v[4:5], v[0:1], v[8:9] op_sel:[0,0,1] op_sel_hi:[1,1,0] neg_lo:[0,0,1] neg_hi:[0,0,1]
	v_pk_fma_f32 v[4:5], v[4:5], v[0:1], v[8:9] op_sel:[0,0,1] op_sel_hi:[1,0,0]
	v_mov_b32_e32 v11, v5
	v_pk_mul_f32 v[4:5], v[6:7], v[2:3] op_sel:[0,1]
	s_delay_alu instid0(VALU_DEP_2) | instskip(NEXT) | instid1(VALU_DEP_2)
	v_pk_add_f32 v[60:61], v[60:61], v[10:11] neg_lo:[0,1] neg_hi:[0,1]
	v_pk_fma_f32 v[8:9], v[6:7], v[0:1], v[4:5] op_sel:[0,0,1] op_sel_hi:[1,1,0] neg_lo:[0,0,1] neg_hi:[0,0,1]
	v_pk_fma_f32 v[4:5], v[6:7], v[0:1], v[4:5] op_sel:[0,0,1] op_sel_hi:[1,0,0]
	s_delay_alu instid0(VALU_DEP_1) | instskip(SKIP_4) | instid1(VALU_DEP_1)
	v_mov_b32_e32 v9, v5
	ds_load_2addr_b64 v[4:7], v216 offset0:17 offset1:18
	v_pk_add_f32 v[82:83], v[82:83], v[8:9] neg_lo:[0,1] neg_hi:[0,1]
	s_wait_dscnt 0x0
	v_pk_mul_f32 v[8:9], v[4:5], v[2:3] op_sel:[0,1]
	v_pk_fma_f32 v[10:11], v[4:5], v[0:1], v[8:9] op_sel:[0,0,1] op_sel_hi:[1,1,0] neg_lo:[0,0,1] neg_hi:[0,0,1]
	v_pk_fma_f32 v[4:5], v[4:5], v[0:1], v[8:9] op_sel:[0,0,1] op_sel_hi:[1,0,0]
	v_dual_mul_f32 v8, v7, v3 :: v_dual_mov_b32 v4, v7
	s_delay_alu instid0(VALU_DEP_2) | instskip(NEXT) | instid1(VALU_DEP_2)
	v_dual_mov_b32 v11, v5 :: v_dual_mov_b32 v5, v6
	v_pk_fma_f32 v[8:9], v[6:7], v[26:27], v[8:9] op_sel_hi:[1,1,0] neg_lo:[0,0,1] neg_hi:[0,0,1]
	v_mul_f32_e32 v6, v7, v0
	s_delay_alu instid0(VALU_DEP_3) | instskip(NEXT) | instid1(VALU_DEP_2)
	v_pk_add_f32 v[78:79], v[78:79], v[10:11] neg_lo:[0,1] neg_hi:[0,1]
	v_pk_fma_f32 v[4:5], v[4:5], v[26:27], v[6:7] op_sel_hi:[1,1,0]
	s_delay_alu instid0(VALU_DEP_1) | instskip(SKIP_4) | instid1(VALU_DEP_1)
	v_mov_b32_e32 v9, v5
	ds_load_2addr_b64 v[4:7], v216 offset0:19 offset1:20
	v_pk_add_f32 v[80:81], v[80:81], v[8:9] neg_lo:[0,1] neg_hi:[0,1]
	s_wait_dscnt 0x0
	v_pk_mul_f32 v[8:9], v[4:5], v[2:3] op_sel:[0,1]
	v_pk_fma_f32 v[10:11], v[4:5], v[0:1], v[8:9] op_sel:[0,0,1] op_sel_hi:[1,1,0] neg_lo:[0,0,1] neg_hi:[0,0,1]
	v_pk_fma_f32 v[4:5], v[4:5], v[0:1], v[8:9] op_sel:[0,0,1] op_sel_hi:[1,0,0]
	s_delay_alu instid0(VALU_DEP_1) | instskip(SKIP_1) | instid1(VALU_DEP_1)
	v_mov_b32_e32 v11, v5
	v_pk_mul_f32 v[4:5], v[6:7], v[2:3] op_sel:[0,1]
	v_pk_fma_f32 v[8:9], v[6:7], v[0:1], v[4:5] op_sel:[0,0,1] op_sel_hi:[1,1,0] neg_lo:[0,0,1] neg_hi:[0,0,1]
	v_pk_fma_f32 v[4:5], v[6:7], v[0:1], v[4:5] op_sel:[0,0,1] op_sel_hi:[1,0,0]
	s_delay_alu instid0(VALU_DEP_1)
	v_mov_b32_e32 v9, v5
	ds_load_2addr_b64 v[4:7], v216 offset0:21 offset1:22
	v_pk_add_f32 v[76:77], v[76:77], v[10:11] neg_lo:[0,1] neg_hi:[0,1]
	v_pk_add_f32 v[98:99], v[98:99], v[8:9] neg_lo:[0,1] neg_hi:[0,1]
	s_wait_dscnt 0x0
	v_pk_mul_f32 v[8:9], v[4:5], v[2:3] op_sel:[0,1]
	s_delay_alu instid0(VALU_DEP_1) | instskip(SKIP_1) | instid1(VALU_DEP_1)
	v_pk_fma_f32 v[10:11], v[4:5], v[0:1], v[8:9] op_sel:[0,0,1] op_sel_hi:[1,1,0] neg_lo:[0,0,1] neg_hi:[0,0,1]
	v_pk_fma_f32 v[4:5], v[4:5], v[0:1], v[8:9] op_sel:[0,0,1] op_sel_hi:[1,0,0]
	v_mov_b32_e32 v11, v5
	v_pk_mul_f32 v[4:5], v[6:7], v[2:3] op_sel:[0,1]
	s_delay_alu instid0(VALU_DEP_1) | instskip(SKIP_1) | instid1(VALU_DEP_1)
	v_pk_fma_f32 v[8:9], v[6:7], v[0:1], v[4:5] op_sel:[0,0,1] op_sel_hi:[1,1,0] neg_lo:[0,0,1] neg_hi:[0,0,1]
	v_pk_fma_f32 v[4:5], v[6:7], v[0:1], v[4:5] op_sel:[0,0,1] op_sel_hi:[1,0,0]
	v_mov_b32_e32 v9, v5
	ds_load_2addr_b64 v[4:7], v216 offset0:23 offset1:24
	v_pk_add_f32 v[94:95], v[94:95], v[10:11] neg_lo:[0,1] neg_hi:[0,1]
	v_pk_add_f32 v[96:97], v[96:97], v[8:9] neg_lo:[0,1] neg_hi:[0,1]
	s_wait_dscnt 0x0
	v_dual_mul_f32 v8, v5, v3 :: v_dual_mul_f32 v10, v5, v0
	s_delay_alu instid0(VALU_DEP_1) | instskip(NEXT) | instid1(VALU_DEP_2)
	v_pk_fma_f32 v[8:9], v[4:5], v[26:27], v[8:9] op_sel_hi:[1,1,0] neg_lo:[0,0,1] neg_hi:[0,0,1]
	v_pk_fma_f32 v[4:5], v[4:5], v[26:27], v[10:11] op_sel:[1,0,0] op_sel_hi:[0,1,0]
	s_delay_alu instid0(VALU_DEP_1) | instskip(SKIP_1) | instid1(VALU_DEP_2)
	v_mov_b32_e32 v9, v5
	v_pk_mul_f32 v[4:5], v[6:7], v[2:3] op_sel:[0,1]
	v_pk_add_f32 v[92:93], v[92:93], v[8:9] neg_lo:[0,1] neg_hi:[0,1]
	s_delay_alu instid0(VALU_DEP_2) | instskip(SKIP_1) | instid1(VALU_DEP_1)
	v_pk_fma_f32 v[8:9], v[6:7], v[0:1], v[4:5] op_sel:[0,0,1] op_sel_hi:[1,1,0] neg_lo:[0,0,1] neg_hi:[0,0,1]
	v_pk_fma_f32 v[4:5], v[6:7], v[0:1], v[4:5] op_sel:[0,0,1] op_sel_hi:[1,0,0]
	v_mov_b32_e32 v9, v5
	ds_load_2addr_b64 v[4:7], v216 offset0:25 offset1:26
	v_pk_add_f32 v[114:115], v[114:115], v[8:9] neg_lo:[0,1] neg_hi:[0,1]
	s_wait_dscnt 0x0
	v_pk_mul_f32 v[8:9], v[4:5], v[2:3] op_sel:[0,1]
	s_delay_alu instid0(VALU_DEP_1) | instskip(SKIP_1) | instid1(VALU_DEP_1)
	v_pk_fma_f32 v[10:11], v[4:5], v[0:1], v[8:9] op_sel:[0,0,1] op_sel_hi:[1,1,0] neg_lo:[0,0,1] neg_hi:[0,0,1]
	v_pk_fma_f32 v[4:5], v[4:5], v[0:1], v[8:9] op_sel:[0,0,1] op_sel_hi:[1,0,0]
	v_mov_b32_e32 v11, v5
	v_pk_mul_f32 v[4:5], v[6:7], v[2:3] op_sel:[0,1]
	s_delay_alu instid0(VALU_DEP_2) | instskip(NEXT) | instid1(VALU_DEP_2)
	v_pk_add_f32 v[110:111], v[110:111], v[10:11] neg_lo:[0,1] neg_hi:[0,1]
	v_pk_fma_f32 v[8:9], v[6:7], v[0:1], v[4:5] op_sel:[0,0,1] op_sel_hi:[1,1,0] neg_lo:[0,0,1] neg_hi:[0,0,1]
	v_pk_fma_f32 v[4:5], v[6:7], v[0:1], v[4:5] op_sel:[0,0,1] op_sel_hi:[1,0,0]
	s_delay_alu instid0(VALU_DEP_1) | instskip(SKIP_4) | instid1(VALU_DEP_1)
	v_mov_b32_e32 v9, v5
	ds_load_2addr_b64 v[4:7], v216 offset0:27 offset1:28
	v_pk_add_f32 v[112:113], v[112:113], v[8:9] neg_lo:[0,1] neg_hi:[0,1]
	s_wait_dscnt 0x0
	v_pk_mul_f32 v[8:9], v[4:5], v[2:3] op_sel:[0,1]
	v_pk_fma_f32 v[10:11], v[4:5], v[0:1], v[8:9] op_sel:[0,0,1] op_sel_hi:[1,1,0] neg_lo:[0,0,1] neg_hi:[0,0,1]
	v_pk_fma_f32 v[4:5], v[4:5], v[0:1], v[8:9] op_sel:[0,0,1] op_sel_hi:[1,0,0]
	v_dual_mul_f32 v8, v7, v3 :: v_dual_mov_b32 v4, v7
	s_delay_alu instid0(VALU_DEP_2) | instskip(NEXT) | instid1(VALU_DEP_2)
	v_dual_mov_b32 v11, v5 :: v_dual_mov_b32 v5, v6
	v_pk_fma_f32 v[8:9], v[6:7], v[26:27], v[8:9] op_sel_hi:[1,1,0] neg_lo:[0,0,1] neg_hi:[0,0,1]
	v_mul_f32_e32 v6, v7, v0
	s_delay_alu instid0(VALU_DEP_3) | instskip(NEXT) | instid1(VALU_DEP_2)
	v_pk_add_f32 v[108:109], v[108:109], v[10:11] neg_lo:[0,1] neg_hi:[0,1]
	v_pk_fma_f32 v[4:5], v[4:5], v[26:27], v[6:7] op_sel_hi:[1,1,0]
	s_delay_alu instid0(VALU_DEP_1) | instskip(SKIP_4) | instid1(VALU_DEP_1)
	v_mov_b32_e32 v9, v5
	ds_load_2addr_b64 v[4:7], v216 offset0:29 offset1:30
	v_pk_add_f32 v[130:131], v[130:131], v[8:9] neg_lo:[0,1] neg_hi:[0,1]
	s_wait_dscnt 0x0
	v_pk_mul_f32 v[8:9], v[4:5], v[2:3] op_sel:[0,1]
	v_pk_fma_f32 v[10:11], v[4:5], v[0:1], v[8:9] op_sel:[0,0,1] op_sel_hi:[1,1,0] neg_lo:[0,0,1] neg_hi:[0,0,1]
	v_pk_fma_f32 v[4:5], v[4:5], v[0:1], v[8:9] op_sel:[0,0,1] op_sel_hi:[1,0,0]
	s_delay_alu instid0(VALU_DEP_1) | instskip(SKIP_1) | instid1(VALU_DEP_1)
	v_mov_b32_e32 v11, v5
	v_pk_mul_f32 v[4:5], v[6:7], v[2:3] op_sel:[0,1]
	v_pk_fma_f32 v[8:9], v[6:7], v[0:1], v[4:5] op_sel:[0,0,1] op_sel_hi:[1,1,0] neg_lo:[0,0,1] neg_hi:[0,0,1]
	v_pk_fma_f32 v[4:5], v[6:7], v[0:1], v[4:5] op_sel:[0,0,1] op_sel_hi:[1,0,0]
	s_delay_alu instid0(VALU_DEP_1)
	v_mov_b32_e32 v9, v5
	ds_load_2addr_b64 v[4:7], v216 offset0:31 offset1:32
	v_pk_add_f32 v[126:127], v[126:127], v[10:11] neg_lo:[0,1] neg_hi:[0,1]
	v_pk_add_f32 v[128:129], v[128:129], v[8:9] neg_lo:[0,1] neg_hi:[0,1]
	s_wait_dscnt 0x0
	v_pk_mul_f32 v[8:9], v[4:5], v[2:3] op_sel:[0,1]
	s_delay_alu instid0(VALU_DEP_1) | instskip(SKIP_1) | instid1(VALU_DEP_1)
	v_pk_fma_f32 v[10:11], v[4:5], v[0:1], v[8:9] op_sel:[0,0,1] op_sel_hi:[1,1,0] neg_lo:[0,0,1] neg_hi:[0,0,1]
	v_pk_fma_f32 v[4:5], v[4:5], v[0:1], v[8:9] op_sel:[0,0,1] op_sel_hi:[1,0,0]
	v_mov_b32_e32 v11, v5
	v_pk_mul_f32 v[4:5], v[6:7], v[2:3] op_sel:[0,1]
	s_delay_alu instid0(VALU_DEP_1) | instskip(SKIP_1) | instid1(VALU_DEP_1)
	v_pk_fma_f32 v[8:9], v[6:7], v[0:1], v[4:5] op_sel:[0,0,1] op_sel_hi:[1,1,0] neg_lo:[0,0,1] neg_hi:[0,0,1]
	v_pk_fma_f32 v[4:5], v[6:7], v[0:1], v[4:5] op_sel:[0,0,1] op_sel_hi:[1,0,0]
	v_mov_b32_e32 v9, v5
	ds_load_2addr_b64 v[4:7], v216 offset0:33 offset1:34
	v_pk_add_f32 v[124:125], v[124:125], v[10:11] neg_lo:[0,1] neg_hi:[0,1]
	v_pk_add_f32 v[146:147], v[146:147], v[8:9] neg_lo:[0,1] neg_hi:[0,1]
	s_wait_dscnt 0x0
	v_dual_mul_f32 v8, v5, v3 :: v_dual_mul_f32 v10, v5, v0
	s_delay_alu instid0(VALU_DEP_1) | instskip(NEXT) | instid1(VALU_DEP_2)
	v_pk_fma_f32 v[8:9], v[4:5], v[26:27], v[8:9] op_sel_hi:[1,1,0] neg_lo:[0,0,1] neg_hi:[0,0,1]
	v_pk_fma_f32 v[4:5], v[4:5], v[26:27], v[10:11] op_sel:[1,0,0] op_sel_hi:[0,1,0]
	s_delay_alu instid0(VALU_DEP_1) | instskip(SKIP_1) | instid1(VALU_DEP_2)
	v_mov_b32_e32 v9, v5
	v_pk_mul_f32 v[4:5], v[6:7], v[2:3] op_sel:[0,1]
	v_pk_add_f32 v[142:143], v[142:143], v[8:9] neg_lo:[0,1] neg_hi:[0,1]
	s_delay_alu instid0(VALU_DEP_2) | instskip(SKIP_1) | instid1(VALU_DEP_1)
	v_pk_fma_f32 v[8:9], v[6:7], v[0:1], v[4:5] op_sel:[0,0,1] op_sel_hi:[1,1,0] neg_lo:[0,0,1] neg_hi:[0,0,1]
	v_pk_fma_f32 v[4:5], v[6:7], v[0:1], v[4:5] op_sel:[0,0,1] op_sel_hi:[1,0,0]
	v_mov_b32_e32 v9, v5
	ds_load_2addr_b64 v[4:7], v216 offset0:35 offset1:36
	v_pk_add_f32 v[144:145], v[144:145], v[8:9] neg_lo:[0,1] neg_hi:[0,1]
	s_wait_dscnt 0x0
	v_pk_mul_f32 v[8:9], v[4:5], v[2:3] op_sel:[0,1]
	s_delay_alu instid0(VALU_DEP_1) | instskip(SKIP_1) | instid1(VALU_DEP_1)
	v_pk_fma_f32 v[10:11], v[4:5], v[0:1], v[8:9] op_sel:[0,0,1] op_sel_hi:[1,1,0] neg_lo:[0,0,1] neg_hi:[0,0,1]
	v_pk_fma_f32 v[4:5], v[4:5], v[0:1], v[8:9] op_sel:[0,0,1] op_sel_hi:[1,0,0]
	v_mov_b32_e32 v11, v5
	v_pk_mul_f32 v[4:5], v[6:7], v[2:3] op_sel:[0,1]
	s_delay_alu instid0(VALU_DEP_2) | instskip(NEXT) | instid1(VALU_DEP_2)
	v_pk_add_f32 v[140:141], v[140:141], v[10:11] neg_lo:[0,1] neg_hi:[0,1]
	v_pk_fma_f32 v[8:9], v[6:7], v[0:1], v[4:5] op_sel:[0,0,1] op_sel_hi:[1,1,0] neg_lo:[0,0,1] neg_hi:[0,0,1]
	v_pk_fma_f32 v[4:5], v[6:7], v[0:1], v[4:5] op_sel:[0,0,1] op_sel_hi:[1,0,0]
	s_delay_alu instid0(VALU_DEP_1) | instskip(SKIP_4) | instid1(VALU_DEP_1)
	v_mov_b32_e32 v9, v5
	ds_load_2addr_b64 v[4:7], v216 offset0:37 offset1:38
	v_pk_add_f32 v[162:163], v[162:163], v[8:9] neg_lo:[0,1] neg_hi:[0,1]
	s_wait_dscnt 0x0
	v_pk_mul_f32 v[8:9], v[4:5], v[2:3] op_sel:[0,1]
	v_pk_fma_f32 v[10:11], v[4:5], v[0:1], v[8:9] op_sel:[0,0,1] op_sel_hi:[1,1,0] neg_lo:[0,0,1] neg_hi:[0,0,1]
	v_pk_fma_f32 v[4:5], v[4:5], v[0:1], v[8:9] op_sel:[0,0,1] op_sel_hi:[1,0,0]
	v_dual_mul_f32 v8, v7, v3 :: v_dual_mov_b32 v4, v7
	s_delay_alu instid0(VALU_DEP_2) | instskip(NEXT) | instid1(VALU_DEP_2)
	v_dual_mov_b32 v11, v5 :: v_dual_mov_b32 v5, v6
	v_pk_fma_f32 v[8:9], v[6:7], v[26:27], v[8:9] op_sel_hi:[1,1,0] neg_lo:[0,0,1] neg_hi:[0,0,1]
	v_mul_f32_e32 v6, v7, v0
	s_delay_alu instid0(VALU_DEP_3) | instskip(NEXT) | instid1(VALU_DEP_2)
	v_pk_add_f32 v[158:159], v[158:159], v[10:11] neg_lo:[0,1] neg_hi:[0,1]
	v_pk_fma_f32 v[4:5], v[4:5], v[26:27], v[6:7] op_sel_hi:[1,1,0]
	s_delay_alu instid0(VALU_DEP_1) | instskip(SKIP_4) | instid1(VALU_DEP_1)
	v_mov_b32_e32 v9, v5
	ds_load_2addr_b64 v[4:7], v216 offset0:39 offset1:40
	v_pk_add_f32 v[160:161], v[160:161], v[8:9] neg_lo:[0,1] neg_hi:[0,1]
	s_wait_dscnt 0x0
	v_pk_mul_f32 v[8:9], v[4:5], v[2:3] op_sel:[0,1]
	v_pk_fma_f32 v[10:11], v[4:5], v[0:1], v[8:9] op_sel:[0,0,1] op_sel_hi:[1,1,0] neg_lo:[0,0,1] neg_hi:[0,0,1]
	v_pk_fma_f32 v[4:5], v[4:5], v[0:1], v[8:9] op_sel:[0,0,1] op_sel_hi:[1,0,0]
	s_delay_alu instid0(VALU_DEP_1) | instskip(SKIP_1) | instid1(VALU_DEP_1)
	v_mov_b32_e32 v11, v5
	v_pk_mul_f32 v[4:5], v[6:7], v[2:3] op_sel:[0,1]
	v_pk_fma_f32 v[8:9], v[6:7], v[0:1], v[4:5] op_sel:[0,0,1] op_sel_hi:[1,1,0] neg_lo:[0,0,1] neg_hi:[0,0,1]
	v_pk_fma_f32 v[4:5], v[6:7], v[0:1], v[4:5] op_sel:[0,0,1] op_sel_hi:[1,0,0]
	s_delay_alu instid0(VALU_DEP_1)
	v_mov_b32_e32 v9, v5
	ds_load_2addr_b64 v[4:7], v216 offset0:41 offset1:42
	v_pk_add_f32 v[156:157], v[156:157], v[10:11] neg_lo:[0,1] neg_hi:[0,1]
	v_pk_add_f32 v[178:179], v[178:179], v[8:9] neg_lo:[0,1] neg_hi:[0,1]
	s_wait_dscnt 0x0
	v_pk_mul_f32 v[8:9], v[4:5], v[2:3] op_sel:[0,1]
	s_delay_alu instid0(VALU_DEP_1) | instskip(SKIP_1) | instid1(VALU_DEP_1)
	v_pk_fma_f32 v[10:11], v[4:5], v[0:1], v[8:9] op_sel:[0,0,1] op_sel_hi:[1,1,0] neg_lo:[0,0,1] neg_hi:[0,0,1]
	v_pk_fma_f32 v[4:5], v[4:5], v[0:1], v[8:9] op_sel:[0,0,1] op_sel_hi:[1,0,0]
	v_mov_b32_e32 v11, v5
	v_pk_mul_f32 v[4:5], v[6:7], v[2:3] op_sel:[0,1]
	s_delay_alu instid0(VALU_DEP_1) | instskip(SKIP_1) | instid1(VALU_DEP_1)
	v_pk_fma_f32 v[8:9], v[6:7], v[0:1], v[4:5] op_sel:[0,0,1] op_sel_hi:[1,1,0] neg_lo:[0,0,1] neg_hi:[0,0,1]
	v_pk_fma_f32 v[4:5], v[6:7], v[0:1], v[4:5] op_sel:[0,0,1] op_sel_hi:[1,0,0]
	v_mov_b32_e32 v9, v5
	ds_load_2addr_b64 v[4:7], v216 offset0:43 offset1:44
	v_pk_add_f32 v[174:175], v[174:175], v[10:11] neg_lo:[0,1] neg_hi:[0,1]
	v_pk_add_f32 v[176:177], v[176:177], v[8:9] neg_lo:[0,1] neg_hi:[0,1]
	s_wait_dscnt 0x0
	v_dual_mul_f32 v8, v5, v3 :: v_dual_mul_f32 v10, v5, v0
	s_delay_alu instid0(VALU_DEP_1) | instskip(NEXT) | instid1(VALU_DEP_2)
	v_pk_fma_f32 v[8:9], v[4:5], v[26:27], v[8:9] op_sel_hi:[1,1,0] neg_lo:[0,0,1] neg_hi:[0,0,1]
	v_pk_fma_f32 v[4:5], v[4:5], v[26:27], v[10:11] op_sel:[1,0,0] op_sel_hi:[0,1,0]
	s_delay_alu instid0(VALU_DEP_1) | instskip(SKIP_1) | instid1(VALU_DEP_2)
	v_mov_b32_e32 v9, v5
	v_pk_mul_f32 v[4:5], v[6:7], v[2:3] op_sel:[0,1]
	v_pk_add_f32 v[172:173], v[172:173], v[8:9] neg_lo:[0,1] neg_hi:[0,1]
	s_delay_alu instid0(VALU_DEP_2) | instskip(SKIP_1) | instid1(VALU_DEP_1)
	v_pk_fma_f32 v[8:9], v[6:7], v[0:1], v[4:5] op_sel:[0,0,1] op_sel_hi:[1,1,0] neg_lo:[0,0,1] neg_hi:[0,0,1]
	v_pk_fma_f32 v[4:5], v[6:7], v[0:1], v[4:5] op_sel:[0,0,1] op_sel_hi:[1,0,0]
	v_mov_b32_e32 v9, v5
	ds_load_2addr_b64 v[4:7], v216 offset0:45 offset1:46
	v_pk_add_f32 v[194:195], v[194:195], v[8:9] neg_lo:[0,1] neg_hi:[0,1]
	s_wait_dscnt 0x0
	v_pk_mul_f32 v[8:9], v[4:5], v[2:3] op_sel:[0,1]
	s_delay_alu instid0(VALU_DEP_1) | instskip(SKIP_1) | instid1(VALU_DEP_1)
	v_pk_fma_f32 v[10:11], v[4:5], v[0:1], v[8:9] op_sel:[0,0,1] op_sel_hi:[1,1,0] neg_lo:[0,0,1] neg_hi:[0,0,1]
	v_pk_fma_f32 v[4:5], v[4:5], v[0:1], v[8:9] op_sel:[0,0,1] op_sel_hi:[1,0,0]
	v_mov_b32_e32 v11, v5
	v_pk_mul_f32 v[4:5], v[6:7], v[2:3] op_sel:[0,1]
	s_delay_alu instid0(VALU_DEP_2) | instskip(NEXT) | instid1(VALU_DEP_2)
	v_pk_add_f32 v[190:191], v[190:191], v[10:11] neg_lo:[0,1] neg_hi:[0,1]
	v_pk_fma_f32 v[8:9], v[6:7], v[0:1], v[4:5] op_sel:[0,0,1] op_sel_hi:[1,1,0] neg_lo:[0,0,1] neg_hi:[0,0,1]
	v_pk_fma_f32 v[4:5], v[6:7], v[0:1], v[4:5] op_sel:[0,0,1] op_sel_hi:[1,0,0]
	s_delay_alu instid0(VALU_DEP_1) | instskip(SKIP_4) | instid1(VALU_DEP_1)
	v_mov_b32_e32 v9, v5
	ds_load_2addr_b64 v[4:7], v216 offset0:47 offset1:48
	v_pk_add_f32 v[192:193], v[192:193], v[8:9] neg_lo:[0,1] neg_hi:[0,1]
	s_wait_dscnt 0x0
	v_pk_mul_f32 v[8:9], v[4:5], v[2:3] op_sel:[0,1]
	v_pk_fma_f32 v[10:11], v[4:5], v[0:1], v[8:9] op_sel:[0,0,1] op_sel_hi:[1,1,0] neg_lo:[0,0,1] neg_hi:[0,0,1]
	v_pk_fma_f32 v[4:5], v[4:5], v[0:1], v[8:9] op_sel:[0,0,1] op_sel_hi:[1,0,0]
	v_dual_mul_f32 v8, v7, v3 :: v_dual_mov_b32 v4, v7
	s_delay_alu instid0(VALU_DEP_2) | instskip(NEXT) | instid1(VALU_DEP_2)
	v_dual_mov_b32 v11, v5 :: v_dual_mov_b32 v5, v6
	v_pk_fma_f32 v[8:9], v[6:7], v[26:27], v[8:9] op_sel_hi:[1,1,0] neg_lo:[0,0,1] neg_hi:[0,0,1]
	v_mul_f32_e32 v6, v7, v0
	s_delay_alu instid0(VALU_DEP_3) | instskip(NEXT) | instid1(VALU_DEP_2)
	v_pk_add_f32 v[188:189], v[188:189], v[10:11] neg_lo:[0,1] neg_hi:[0,1]
	v_pk_fma_f32 v[4:5], v[4:5], v[26:27], v[6:7] op_sel_hi:[1,1,0]
	s_delay_alu instid0(VALU_DEP_1) | instskip(SKIP_4) | instid1(VALU_DEP_1)
	v_mov_b32_e32 v9, v5
	ds_load_2addr_b64 v[4:7], v216 offset0:49 offset1:50
	v_pk_add_f32 v[214:215], v[214:215], v[8:9] neg_lo:[0,1] neg_hi:[0,1]
	s_wait_dscnt 0x0
	v_pk_mul_f32 v[8:9], v[4:5], v[2:3] op_sel:[0,1]
	v_pk_fma_f32 v[10:11], v[4:5], v[0:1], v[8:9] op_sel:[0,0,1] op_sel_hi:[1,1,0] neg_lo:[0,0,1] neg_hi:[0,0,1]
	v_pk_fma_f32 v[4:5], v[4:5], v[0:1], v[8:9] op_sel:[0,0,1] op_sel_hi:[1,0,0]
	s_delay_alu instid0(VALU_DEP_1) | instskip(SKIP_1) | instid1(VALU_DEP_1)
	v_mov_b32_e32 v11, v5
	v_pk_mul_f32 v[4:5], v[6:7], v[2:3] op_sel:[0,1]
	v_pk_fma_f32 v[8:9], v[6:7], v[0:1], v[4:5] op_sel:[0,0,1] op_sel_hi:[1,1,0] neg_lo:[0,0,1] neg_hi:[0,0,1]
	v_pk_fma_f32 v[4:5], v[6:7], v[0:1], v[4:5] op_sel:[0,0,1] op_sel_hi:[1,0,0]
	s_delay_alu instid0(VALU_DEP_1)
	v_mov_b32_e32 v9, v5
	ds_load_2addr_b64 v[4:7], v216 offset0:51 offset1:52
	v_pk_add_f32 v[210:211], v[210:211], v[10:11] neg_lo:[0,1] neg_hi:[0,1]
	v_pk_add_f32 v[212:213], v[212:213], v[8:9] neg_lo:[0,1] neg_hi:[0,1]
	s_wait_dscnt 0x0
	v_pk_mul_f32 v[8:9], v[4:5], v[2:3] op_sel:[0,1]
	s_delay_alu instid0(VALU_DEP_1) | instskip(SKIP_1) | instid1(VALU_DEP_1)
	v_pk_fma_f32 v[10:11], v[4:5], v[0:1], v[8:9] op_sel:[0,0,1] op_sel_hi:[1,1,0] neg_lo:[0,0,1] neg_hi:[0,0,1]
	v_pk_fma_f32 v[4:5], v[4:5], v[0:1], v[8:9] op_sel:[0,0,1] op_sel_hi:[1,0,0]
	v_mov_b32_e32 v11, v5
	v_pk_mul_f32 v[4:5], v[6:7], v[2:3] op_sel:[0,1]
	s_delay_alu instid0(VALU_DEP_1) | instskip(SKIP_1) | instid1(VALU_DEP_1)
	v_pk_fma_f32 v[8:9], v[6:7], v[0:1], v[4:5] op_sel:[0,0,1] op_sel_hi:[1,1,0] neg_lo:[0,0,1] neg_hi:[0,0,1]
	v_pk_fma_f32 v[4:5], v[6:7], v[0:1], v[4:5] op_sel:[0,0,1] op_sel_hi:[1,0,0]
	v_mov_b32_e32 v9, v5
	ds_load_2addr_b64 v[4:7], v216 offset0:53 offset1:54
	v_pk_add_f32 v[208:209], v[208:209], v[10:11] neg_lo:[0,1] neg_hi:[0,1]
	v_pk_add_f32 v[236:237], v[236:237], v[8:9] neg_lo:[0,1] neg_hi:[0,1]
	s_wait_dscnt 0x0
	v_dual_mul_f32 v8, v5, v3 :: v_dual_mul_f32 v10, v5, v0
	s_delay_alu instid0(VALU_DEP_1) | instskip(NEXT) | instid1(VALU_DEP_2)
	v_pk_fma_f32 v[8:9], v[4:5], v[26:27], v[8:9] op_sel_hi:[1,1,0] neg_lo:[0,0,1] neg_hi:[0,0,1]
	v_pk_fma_f32 v[4:5], v[4:5], v[26:27], v[10:11] op_sel:[1,0,0] op_sel_hi:[0,1,0]
	s_delay_alu instid0(VALU_DEP_1) | instskip(SKIP_1) | instid1(VALU_DEP_2)
	v_mov_b32_e32 v9, v5
	v_pk_mul_f32 v[4:5], v[6:7], v[2:3] op_sel:[0,1]
	v_pk_add_f32 v[230:231], v[230:231], v[8:9] neg_lo:[0,1] neg_hi:[0,1]
	s_delay_alu instid0(VALU_DEP_2) | instskip(SKIP_1) | instid1(VALU_DEP_1)
	v_pk_fma_f32 v[8:9], v[6:7], v[0:1], v[4:5] op_sel:[0,0,1] op_sel_hi:[1,1,0] neg_lo:[0,0,1] neg_hi:[0,0,1]
	v_pk_fma_f32 v[4:5], v[6:7], v[0:1], v[4:5] op_sel:[0,0,1] op_sel_hi:[1,0,0]
	v_mov_b32_e32 v9, v5
	ds_load_2addr_b64 v[4:7], v216 offset0:55 offset1:56
	v_pk_add_f32 v[234:235], v[234:235], v[8:9] neg_lo:[0,1] neg_hi:[0,1]
	s_wait_dscnt 0x0
	v_pk_mul_f32 v[8:9], v[4:5], v[2:3] op_sel:[0,1]
	s_delay_alu instid0(VALU_DEP_1) | instskip(SKIP_1) | instid1(VALU_DEP_1)
	v_pk_fma_f32 v[10:11], v[4:5], v[0:1], v[8:9] op_sel:[0,0,1] op_sel_hi:[1,1,0] neg_lo:[0,0,1] neg_hi:[0,0,1]
	v_pk_fma_f32 v[4:5], v[4:5], v[0:1], v[8:9] op_sel:[0,0,1] op_sel_hi:[1,0,0]
	v_mov_b32_e32 v11, v5
	v_pk_mul_f32 v[4:5], v[6:7], v[2:3] op_sel:[0,1]
	s_delay_alu instid0(VALU_DEP_2) | instskip(NEXT) | instid1(VALU_DEP_2)
	v_pk_add_f32 v[228:229], v[228:229], v[10:11] neg_lo:[0,1] neg_hi:[0,1]
	v_pk_fma_f32 v[8:9], v[6:7], v[0:1], v[4:5] op_sel:[0,0,1] op_sel_hi:[1,1,0] neg_lo:[0,0,1] neg_hi:[0,0,1]
	v_pk_fma_f32 v[4:5], v[6:7], v[0:1], v[4:5] op_sel:[0,0,1] op_sel_hi:[1,0,0]
	s_delay_alu instid0(VALU_DEP_1) | instskip(SKIP_4) | instid1(VALU_DEP_1)
	v_mov_b32_e32 v9, v5
	ds_load_2addr_b64 v[4:7], v216 offset0:57 offset1:58
	v_pk_add_f32 v[232:233], v[232:233], v[8:9] neg_lo:[0,1] neg_hi:[0,1]
	s_wait_dscnt 0x0
	v_pk_mul_f32 v[8:9], v[4:5], v[2:3] op_sel:[0,1]
	v_pk_fma_f32 v[10:11], v[4:5], v[0:1], v[8:9] op_sel:[0,0,1] op_sel_hi:[1,1,0] neg_lo:[0,0,1] neg_hi:[0,0,1]
	v_pk_fma_f32 v[4:5], v[4:5], v[0:1], v[8:9] op_sel:[0,0,1] op_sel_hi:[1,0,0]
	v_dual_mul_f32 v8, v7, v3 :: v_dual_mov_b32 v4, v7
	s_delay_alu instid0(VALU_DEP_2) | instskip(NEXT) | instid1(VALU_DEP_2)
	v_dual_mov_b32 v11, v5 :: v_dual_mov_b32 v5, v6
	v_pk_fma_f32 v[8:9], v[6:7], v[26:27], v[8:9] op_sel_hi:[1,1,0] neg_lo:[0,0,1] neg_hi:[0,0,1]
	v_mul_f32_e32 v6, v7, v0
	s_delay_alu instid0(VALU_DEP_3) | instskip(NEXT) | instid1(VALU_DEP_2)
	v_pk_add_f32 v[226:227], v[226:227], v[10:11] neg_lo:[0,1] neg_hi:[0,1]
	v_pk_fma_f32 v[4:5], v[4:5], v[26:27], v[6:7] op_sel_hi:[1,1,0]
	s_delay_alu instid0(VALU_DEP_1) | instskip(SKIP_4) | instid1(VALU_DEP_1)
	v_mov_b32_e32 v9, v5
	ds_load_b64 v[4:5], v216 offset:472
	v_pk_add_f32 v[238:239], v[238:239], v[8:9] neg_lo:[0,1] neg_hi:[0,1]
	s_wait_dscnt 0x0
	v_pk_mul_f32 v[2:3], v[4:5], v[2:3] op_sel:[0,1]
	v_pk_fma_f32 v[6:7], v[4:5], v[0:1], v[2:3] op_sel:[0,0,1] op_sel_hi:[1,1,0] neg_lo:[0,0,1] neg_hi:[0,0,1]
	v_pk_fma_f32 v[0:1], v[4:5], v[0:1], v[2:3] op_sel:[0,0,1] op_sel_hi:[1,0,0]
	s_delay_alu instid0(VALU_DEP_1) | instskip(NEXT) | instid1(VALU_DEP_1)
	v_mov_b32_e32 v7, v1
	v_pk_add_f32 v[240:241], v[240:241], v[6:7] neg_lo:[0,1] neg_hi:[0,1]
.LBB119_46:
	s_wait_xcnt 0x0
	s_or_b32 exec_lo, exec_lo, s1
	s_delay_alu instid0(SALU_CYCLE_1)
	s_mov_b32 s2, exec_lo
	s_wait_storecnt 0x0
	s_barrier_signal -1
	s_barrier_wait -1
	v_cmpx_eq_u32_e32 5, v206
	s_cbranch_execz .LBB119_53
; %bb.47:
	v_dual_mov_b32 v0, v24 :: v_dual_mov_b32 v1, v25
	v_dual_mov_b32 v2, v20 :: v_dual_mov_b32 v3, v21
	ds_store_b64 v207, v[22:23]
	ds_store_2addr_b64 v216, v[0:1], v[2:3] offset0:6 offset1:7
	v_dual_mov_b32 v0, v40 :: v_dual_mov_b32 v1, v41
	v_dual_mov_b32 v2, v36 :: v_dual_mov_b32 v3, v37
	ds_store_2addr_b64 v216, v[0:1], v[2:3] offset0:8 offset1:9
	v_dual_mov_b32 v0, v38 :: v_dual_mov_b32 v1, v39
	v_dual_mov_b32 v2, v34 :: v_dual_mov_b32 v3, v35
	;; [unrolled: 3-line block ×25, first 2 shown]
	ds_store_2addr_b64 v216, v[0:1], v[2:3] offset0:56 offset1:57
	v_dual_mov_b32 v0, v238 :: v_dual_mov_b32 v1, v239
	ds_store_2addr_b64 v216, v[0:1], v[240:241] offset0:58 offset1:59
	ds_load_b64 v[0:1], v207
	s_wait_dscnt 0x0
	v_cmp_neq_f32_e32 vcc_lo, 0, v0
	v_cmp_neq_f32_e64 s1, 0, v1
	s_or_b32 s1, vcc_lo, s1
	s_delay_alu instid0(SALU_CYCLE_1)
	s_and_b32 exec_lo, exec_lo, s1
	s_cbranch_execz .LBB119_53
; %bb.48:
	v_cmp_ngt_f32_e64 s1, |v0|, |v1|
                                        ; implicit-def: $vgpr2_vgpr3
	s_and_saveexec_b32 s4, s1
	s_delay_alu instid0(SALU_CYCLE_1)
	s_xor_b32 s1, exec_lo, s4
	s_cbranch_execz .LBB119_50
; %bb.49:
	v_div_scale_f32 v2, null, v1, v1, v0
	v_div_scale_f32 v5, vcc_lo, v0, v1, v0
	s_delay_alu instid0(VALU_DEP_2) | instskip(SKIP_1) | instid1(TRANS32_DEP_1)
	v_rcp_f32_e32 v3, v2
	v_nop
	v_fma_f32 v4, -v2, v3, 1.0
	s_delay_alu instid0(VALU_DEP_1) | instskip(NEXT) | instid1(VALU_DEP_1)
	v_fmac_f32_e32 v3, v4, v3
	v_mul_f32_e32 v4, v5, v3
	s_delay_alu instid0(VALU_DEP_1) | instskip(NEXT) | instid1(VALU_DEP_1)
	v_fma_f32 v6, -v2, v4, v5
	v_fmac_f32_e32 v4, v6, v3
	s_delay_alu instid0(VALU_DEP_1) | instskip(NEXT) | instid1(VALU_DEP_1)
	v_fma_f32 v2, -v2, v4, v5
	v_div_fmas_f32 v2, v2, v3, v4
	s_delay_alu instid0(VALU_DEP_1) | instskip(NEXT) | instid1(VALU_DEP_1)
	v_div_fixup_f32 v2, v2, v1, v0
	v_fmac_f32_e32 v1, v0, v2
	s_delay_alu instid0(VALU_DEP_1) | instskip(SKIP_1) | instid1(VALU_DEP_2)
	v_div_scale_f32 v0, null, v1, v1, 1.0
	v_div_scale_f32 v5, vcc_lo, 1.0, v1, 1.0
	v_rcp_f32_e32 v3, v0
	v_nop
	s_delay_alu instid0(TRANS32_DEP_1) | instskip(NEXT) | instid1(VALU_DEP_1)
	v_fma_f32 v4, -v0, v3, 1.0
	v_fmac_f32_e32 v3, v4, v3
	s_delay_alu instid0(VALU_DEP_1) | instskip(NEXT) | instid1(VALU_DEP_1)
	v_mul_f32_e32 v4, v5, v3
	v_fma_f32 v6, -v0, v4, v5
	s_delay_alu instid0(VALU_DEP_1) | instskip(NEXT) | instid1(VALU_DEP_1)
	v_fmac_f32_e32 v4, v6, v3
	v_fma_f32 v0, -v0, v4, v5
	s_delay_alu instid0(VALU_DEP_1) | instskip(NEXT) | instid1(VALU_DEP_1)
	v_div_fmas_f32 v0, v0, v3, v4
	v_div_fixup_f32 v0, v0, v1, 1.0
	s_delay_alu instid0(VALU_DEP_1)
	v_mul_f32_e32 v2, v2, v0
	v_xor_b32_e32 v3, 0x80000000, v0
                                        ; implicit-def: $vgpr0_vgpr1
.LBB119_50:
	s_and_not1_saveexec_b32 s1, s1
	s_cbranch_execz .LBB119_52
; %bb.51:
	v_div_scale_f32 v2, null, v0, v0, v1
	v_div_scale_f32 v5, vcc_lo, v1, v0, v1
	s_delay_alu instid0(VALU_DEP_2) | instskip(SKIP_1) | instid1(TRANS32_DEP_1)
	v_rcp_f32_e32 v3, v2
	v_nop
	v_fma_f32 v4, -v2, v3, 1.0
	s_delay_alu instid0(VALU_DEP_1) | instskip(NEXT) | instid1(VALU_DEP_1)
	v_fmac_f32_e32 v3, v4, v3
	v_mul_f32_e32 v4, v5, v3
	s_delay_alu instid0(VALU_DEP_1) | instskip(NEXT) | instid1(VALU_DEP_1)
	v_fma_f32 v6, -v2, v4, v5
	v_fmac_f32_e32 v4, v6, v3
	s_delay_alu instid0(VALU_DEP_1) | instskip(NEXT) | instid1(VALU_DEP_1)
	v_fma_f32 v2, -v2, v4, v5
	v_div_fmas_f32 v2, v2, v3, v4
	s_delay_alu instid0(VALU_DEP_1) | instskip(NEXT) | instid1(VALU_DEP_1)
	v_div_fixup_f32 v3, v2, v0, v1
	v_fmac_f32_e32 v0, v1, v3
	s_delay_alu instid0(VALU_DEP_1) | instskip(NEXT) | instid1(VALU_DEP_1)
	v_div_scale_f32 v1, null, v0, v0, 1.0
	v_rcp_f32_e32 v2, v1
	v_nop
	s_delay_alu instid0(TRANS32_DEP_1) | instskip(NEXT) | instid1(VALU_DEP_1)
	v_fma_f32 v4, -v1, v2, 1.0
	v_fmac_f32_e32 v2, v4, v2
	v_div_scale_f32 v4, vcc_lo, 1.0, v0, 1.0
	s_delay_alu instid0(VALU_DEP_1) | instskip(NEXT) | instid1(VALU_DEP_1)
	v_mul_f32_e32 v5, v4, v2
	v_fma_f32 v6, -v1, v5, v4
	s_delay_alu instid0(VALU_DEP_1) | instskip(NEXT) | instid1(VALU_DEP_1)
	v_fmac_f32_e32 v5, v6, v2
	v_fma_f32 v1, -v1, v5, v4
	s_delay_alu instid0(VALU_DEP_1) | instskip(NEXT) | instid1(VALU_DEP_1)
	v_div_fmas_f32 v1, v1, v2, v5
	v_div_fixup_f32 v2, v1, v0, 1.0
	s_delay_alu instid0(VALU_DEP_1)
	v_mul_f32_e64 v3, v3, -v2
.LBB119_52:
	s_or_b32 exec_lo, exec_lo, s1
	ds_store_b64 v207, v[2:3]
.LBB119_53:
	s_or_b32 exec_lo, exec_lo, s2
	s_wait_dscnt 0x0
	s_barrier_signal -1
	s_barrier_wait -1
	ds_load_b64 v[0:1], v207
	s_mov_b32 s1, exec_lo
	s_wait_dscnt 0x0
	scratch_store_b64 off, v[0:1], off offset:448 ; 8-byte Folded Spill
	s_wait_xcnt 0x0
	v_cmpx_lt_u32_e32 5, v206
	s_cbranch_execz .LBB119_55
; %bb.54:
	scratch_load_b64 v[4:5], off, off offset:448 ; 8-byte Folded Reload
	s_wait_loadcnt 0x0
	v_pk_mul_f32 v[2:3], v[4:5], v[22:23] op_sel:[1,1] op_sel_hi:[0,1]
	s_delay_alu instid0(VALU_DEP_1)
	v_pk_fma_f32 v[0:1], v[4:5], v[22:23], v[2:3] op_sel_hi:[1,0,1] neg_lo:[0,0,1] neg_hi:[0,0,1]
	v_pk_fma_f32 v[2:3], v[4:5], v[22:23], v[2:3] op_sel_hi:[1,0,1]
	ds_load_2addr_b64 v[4:7], v216 offset0:6 offset1:7
	v_dual_mov_b32 v22, v0 :: v_dual_mov_b32 v23, v3
	s_wait_dscnt 0x0
	v_pk_mul_f32 v[8:9], v[4:5], v[2:3] op_sel:[0,1]
	s_delay_alu instid0(VALU_DEP_1) | instskip(SKIP_1) | instid1(VALU_DEP_1)
	v_pk_fma_f32 v[10:11], v[4:5], v[0:1], v[8:9] op_sel:[0,0,1] op_sel_hi:[1,1,0] neg_lo:[0,0,1] neg_hi:[0,0,1]
	v_pk_fma_f32 v[4:5], v[4:5], v[0:1], v[8:9] op_sel:[0,0,1] op_sel_hi:[1,0,0]
	v_mov_b32_e32 v11, v5
	v_pk_mul_f32 v[4:5], v[6:7], v[2:3] op_sel:[0,1]
	s_delay_alu instid0(VALU_DEP_1) | instskip(SKIP_1) | instid1(VALU_DEP_1)
	v_pk_fma_f32 v[8:9], v[6:7], v[0:1], v[4:5] op_sel:[0,0,1] op_sel_hi:[1,1,0] neg_lo:[0,0,1] neg_hi:[0,0,1]
	v_pk_fma_f32 v[4:5], v[6:7], v[0:1], v[4:5] op_sel:[0,0,1] op_sel_hi:[1,0,0]
	v_mov_b32_e32 v9, v5
	ds_load_2addr_b64 v[4:7], v216 offset0:8 offset1:9
	v_pk_add_f32 v[24:25], v[24:25], v[10:11] neg_lo:[0,1] neg_hi:[0,1]
	v_pk_add_f32 v[20:21], v[20:21], v[8:9] neg_lo:[0,1] neg_hi:[0,1]
	s_wait_dscnt 0x0
	v_pk_mul_f32 v[8:9], v[4:5], v[2:3] op_sel:[0,1]
	s_delay_alu instid0(VALU_DEP_1) | instskip(SKIP_2) | instid1(VALU_DEP_2)
	v_pk_fma_f32 v[10:11], v[4:5], v[0:1], v[8:9] op_sel:[0,0,1] op_sel_hi:[1,1,0] neg_lo:[0,0,1] neg_hi:[0,0,1]
	v_pk_fma_f32 v[4:5], v[4:5], v[0:1], v[8:9] op_sel:[0,0,1] op_sel_hi:[1,0,0]
	v_dual_mul_f32 v8, v7, v3 :: v_dual_mov_b32 v4, v7
	v_dual_mov_b32 v11, v5 :: v_dual_mov_b32 v5, v6
	s_delay_alu instid0(VALU_DEP_2) | instskip(SKIP_1) | instid1(VALU_DEP_3)
	v_pk_fma_f32 v[8:9], v[6:7], v[22:23], v[8:9] op_sel_hi:[1,1,0] neg_lo:[0,0,1] neg_hi:[0,0,1]
	v_mul_f32_e32 v6, v7, v0
	v_pk_add_f32 v[40:41], v[40:41], v[10:11] neg_lo:[0,1] neg_hi:[0,1]
	s_delay_alu instid0(VALU_DEP_2) | instskip(NEXT) | instid1(VALU_DEP_1)
	v_pk_fma_f32 v[4:5], v[4:5], v[22:23], v[6:7] op_sel_hi:[1,1,0]
	v_mov_b32_e32 v9, v5
	ds_load_2addr_b64 v[4:7], v216 offset0:10 offset1:11
	v_pk_add_f32 v[36:37], v[36:37], v[8:9] neg_lo:[0,1] neg_hi:[0,1]
	s_wait_dscnt 0x0
	v_pk_mul_f32 v[8:9], v[4:5], v[2:3] op_sel:[0,1]
	s_delay_alu instid0(VALU_DEP_1) | instskip(SKIP_1) | instid1(VALU_DEP_1)
	v_pk_fma_f32 v[10:11], v[4:5], v[0:1], v[8:9] op_sel:[0,0,1] op_sel_hi:[1,1,0] neg_lo:[0,0,1] neg_hi:[0,0,1]
	v_pk_fma_f32 v[4:5], v[4:5], v[0:1], v[8:9] op_sel:[0,0,1] op_sel_hi:[1,0,0]
	v_mov_b32_e32 v11, v5
	v_pk_mul_f32 v[4:5], v[6:7], v[2:3] op_sel:[0,1]
	s_delay_alu instid0(VALU_DEP_1) | instskip(SKIP_1) | instid1(VALU_DEP_1)
	v_pk_fma_f32 v[8:9], v[6:7], v[0:1], v[4:5] op_sel:[0,0,1] op_sel_hi:[1,1,0] neg_lo:[0,0,1] neg_hi:[0,0,1]
	v_pk_fma_f32 v[4:5], v[6:7], v[0:1], v[4:5] op_sel:[0,0,1] op_sel_hi:[1,0,0]
	v_mov_b32_e32 v9, v5
	ds_load_2addr_b64 v[4:7], v216 offset0:12 offset1:13
	v_pk_add_f32 v[38:39], v[38:39], v[10:11] neg_lo:[0,1] neg_hi:[0,1]
	v_pk_add_f32 v[34:35], v[34:35], v[8:9] neg_lo:[0,1] neg_hi:[0,1]
	s_wait_dscnt 0x0
	v_pk_mul_f32 v[8:9], v[4:5], v[2:3] op_sel:[0,1]
	s_delay_alu instid0(VALU_DEP_1) | instskip(SKIP_1) | instid1(VALU_DEP_1)
	v_pk_fma_f32 v[10:11], v[4:5], v[0:1], v[8:9] op_sel:[0,0,1] op_sel_hi:[1,1,0] neg_lo:[0,0,1] neg_hi:[0,0,1]
	v_pk_fma_f32 v[4:5], v[4:5], v[0:1], v[8:9] op_sel:[0,0,1] op_sel_hi:[1,0,0]
	v_mov_b32_e32 v11, v5
	v_pk_mul_f32 v[4:5], v[6:7], v[2:3] op_sel:[0,1]
	s_delay_alu instid0(VALU_DEP_1) | instskip(SKIP_1) | instid1(VALU_DEP_1)
	v_pk_fma_f32 v[8:9], v[6:7], v[0:1], v[4:5] op_sel:[0,0,1] op_sel_hi:[1,1,0] neg_lo:[0,0,1] neg_hi:[0,0,1]
	v_pk_fma_f32 v[4:5], v[6:7], v[0:1], v[4:5] op_sel:[0,0,1] op_sel_hi:[1,0,0]
	v_mov_b32_e32 v9, v5
	ds_load_2addr_b64 v[4:7], v216 offset0:14 offset1:15
	v_pk_add_f32 v[66:67], v[66:67], v[10:11] neg_lo:[0,1] neg_hi:[0,1]
	v_pk_add_f32 v[62:63], v[62:63], v[8:9] neg_lo:[0,1] neg_hi:[0,1]
	s_wait_dscnt 0x0
	v_dual_mul_f32 v8, v5, v3 :: v_dual_mul_f32 v10, v5, v0
	s_delay_alu instid0(VALU_DEP_1) | instskip(NEXT) | instid1(VALU_DEP_2)
	v_pk_fma_f32 v[8:9], v[4:5], v[22:23], v[8:9] op_sel_hi:[1,1,0] neg_lo:[0,0,1] neg_hi:[0,0,1]
	v_pk_fma_f32 v[4:5], v[4:5], v[22:23], v[10:11] op_sel:[1,0,0] op_sel_hi:[0,1,0]
	s_delay_alu instid0(VALU_DEP_1) | instskip(SKIP_1) | instid1(VALU_DEP_2)
	v_mov_b32_e32 v9, v5
	v_pk_mul_f32 v[4:5], v[6:7], v[2:3] op_sel:[0,1]
	v_pk_add_f32 v[64:65], v[64:65], v[8:9] neg_lo:[0,1] neg_hi:[0,1]
	s_delay_alu instid0(VALU_DEP_2) | instskip(SKIP_1) | instid1(VALU_DEP_1)
	v_pk_fma_f32 v[8:9], v[6:7], v[0:1], v[4:5] op_sel:[0,0,1] op_sel_hi:[1,1,0] neg_lo:[0,0,1] neg_hi:[0,0,1]
	v_pk_fma_f32 v[4:5], v[6:7], v[0:1], v[4:5] op_sel:[0,0,1] op_sel_hi:[1,0,0]
	v_mov_b32_e32 v9, v5
	ds_load_2addr_b64 v[4:7], v216 offset0:16 offset1:17
	v_pk_add_f32 v[60:61], v[60:61], v[8:9] neg_lo:[0,1] neg_hi:[0,1]
	s_wait_dscnt 0x0
	v_pk_mul_f32 v[8:9], v[4:5], v[2:3] op_sel:[0,1]
	s_delay_alu instid0(VALU_DEP_1) | instskip(SKIP_1) | instid1(VALU_DEP_1)
	v_pk_fma_f32 v[10:11], v[4:5], v[0:1], v[8:9] op_sel:[0,0,1] op_sel_hi:[1,1,0] neg_lo:[0,0,1] neg_hi:[0,0,1]
	v_pk_fma_f32 v[4:5], v[4:5], v[0:1], v[8:9] op_sel:[0,0,1] op_sel_hi:[1,0,0]
	v_mov_b32_e32 v11, v5
	v_pk_mul_f32 v[4:5], v[6:7], v[2:3] op_sel:[0,1]
	s_delay_alu instid0(VALU_DEP_2) | instskip(NEXT) | instid1(VALU_DEP_2)
	v_pk_add_f32 v[82:83], v[82:83], v[10:11] neg_lo:[0,1] neg_hi:[0,1]
	v_pk_fma_f32 v[8:9], v[6:7], v[0:1], v[4:5] op_sel:[0,0,1] op_sel_hi:[1,1,0] neg_lo:[0,0,1] neg_hi:[0,0,1]
	v_pk_fma_f32 v[4:5], v[6:7], v[0:1], v[4:5] op_sel:[0,0,1] op_sel_hi:[1,0,0]
	s_delay_alu instid0(VALU_DEP_1) | instskip(SKIP_4) | instid1(VALU_DEP_1)
	v_mov_b32_e32 v9, v5
	ds_load_2addr_b64 v[4:7], v216 offset0:18 offset1:19
	v_pk_add_f32 v[78:79], v[78:79], v[8:9] neg_lo:[0,1] neg_hi:[0,1]
	s_wait_dscnt 0x0
	v_pk_mul_f32 v[8:9], v[4:5], v[2:3] op_sel:[0,1]
	v_pk_fma_f32 v[10:11], v[4:5], v[0:1], v[8:9] op_sel:[0,0,1] op_sel_hi:[1,1,0] neg_lo:[0,0,1] neg_hi:[0,0,1]
	v_pk_fma_f32 v[4:5], v[4:5], v[0:1], v[8:9] op_sel:[0,0,1] op_sel_hi:[1,0,0]
	v_dual_mul_f32 v8, v7, v3 :: v_dual_mov_b32 v4, v7
	s_delay_alu instid0(VALU_DEP_2) | instskip(NEXT) | instid1(VALU_DEP_2)
	v_dual_mov_b32 v11, v5 :: v_dual_mov_b32 v5, v6
	v_pk_fma_f32 v[8:9], v[6:7], v[22:23], v[8:9] op_sel_hi:[1,1,0] neg_lo:[0,0,1] neg_hi:[0,0,1]
	v_mul_f32_e32 v6, v7, v0
	s_delay_alu instid0(VALU_DEP_3) | instskip(NEXT) | instid1(VALU_DEP_2)
	v_pk_add_f32 v[80:81], v[80:81], v[10:11] neg_lo:[0,1] neg_hi:[0,1]
	v_pk_fma_f32 v[4:5], v[4:5], v[22:23], v[6:7] op_sel_hi:[1,1,0]
	s_delay_alu instid0(VALU_DEP_1) | instskip(SKIP_4) | instid1(VALU_DEP_1)
	v_mov_b32_e32 v9, v5
	ds_load_2addr_b64 v[4:7], v216 offset0:20 offset1:21
	v_pk_add_f32 v[76:77], v[76:77], v[8:9] neg_lo:[0,1] neg_hi:[0,1]
	s_wait_dscnt 0x0
	v_pk_mul_f32 v[8:9], v[4:5], v[2:3] op_sel:[0,1]
	v_pk_fma_f32 v[10:11], v[4:5], v[0:1], v[8:9] op_sel:[0,0,1] op_sel_hi:[1,1,0] neg_lo:[0,0,1] neg_hi:[0,0,1]
	v_pk_fma_f32 v[4:5], v[4:5], v[0:1], v[8:9] op_sel:[0,0,1] op_sel_hi:[1,0,0]
	s_delay_alu instid0(VALU_DEP_1) | instskip(SKIP_1) | instid1(VALU_DEP_1)
	v_mov_b32_e32 v11, v5
	v_pk_mul_f32 v[4:5], v[6:7], v[2:3] op_sel:[0,1]
	v_pk_fma_f32 v[8:9], v[6:7], v[0:1], v[4:5] op_sel:[0,0,1] op_sel_hi:[1,1,0] neg_lo:[0,0,1] neg_hi:[0,0,1]
	v_pk_fma_f32 v[4:5], v[6:7], v[0:1], v[4:5] op_sel:[0,0,1] op_sel_hi:[1,0,0]
	s_delay_alu instid0(VALU_DEP_1)
	v_mov_b32_e32 v9, v5
	ds_load_2addr_b64 v[4:7], v216 offset0:22 offset1:23
	v_pk_add_f32 v[98:99], v[98:99], v[10:11] neg_lo:[0,1] neg_hi:[0,1]
	v_pk_add_f32 v[94:95], v[94:95], v[8:9] neg_lo:[0,1] neg_hi:[0,1]
	s_wait_dscnt 0x0
	v_pk_mul_f32 v[8:9], v[4:5], v[2:3] op_sel:[0,1]
	s_delay_alu instid0(VALU_DEP_1) | instskip(SKIP_1) | instid1(VALU_DEP_1)
	v_pk_fma_f32 v[10:11], v[4:5], v[0:1], v[8:9] op_sel:[0,0,1] op_sel_hi:[1,1,0] neg_lo:[0,0,1] neg_hi:[0,0,1]
	v_pk_fma_f32 v[4:5], v[4:5], v[0:1], v[8:9] op_sel:[0,0,1] op_sel_hi:[1,0,0]
	v_mov_b32_e32 v11, v5
	v_pk_mul_f32 v[4:5], v[6:7], v[2:3] op_sel:[0,1]
	s_delay_alu instid0(VALU_DEP_1) | instskip(SKIP_1) | instid1(VALU_DEP_1)
	v_pk_fma_f32 v[8:9], v[6:7], v[0:1], v[4:5] op_sel:[0,0,1] op_sel_hi:[1,1,0] neg_lo:[0,0,1] neg_hi:[0,0,1]
	v_pk_fma_f32 v[4:5], v[6:7], v[0:1], v[4:5] op_sel:[0,0,1] op_sel_hi:[1,0,0]
	v_mov_b32_e32 v9, v5
	ds_load_2addr_b64 v[4:7], v216 offset0:24 offset1:25
	v_pk_add_f32 v[96:97], v[96:97], v[10:11] neg_lo:[0,1] neg_hi:[0,1]
	v_pk_add_f32 v[92:93], v[92:93], v[8:9] neg_lo:[0,1] neg_hi:[0,1]
	s_wait_dscnt 0x0
	v_dual_mul_f32 v8, v5, v3 :: v_dual_mul_f32 v10, v5, v0
	s_delay_alu instid0(VALU_DEP_1) | instskip(NEXT) | instid1(VALU_DEP_2)
	v_pk_fma_f32 v[8:9], v[4:5], v[22:23], v[8:9] op_sel_hi:[1,1,0] neg_lo:[0,0,1] neg_hi:[0,0,1]
	v_pk_fma_f32 v[4:5], v[4:5], v[22:23], v[10:11] op_sel:[1,0,0] op_sel_hi:[0,1,0]
	s_delay_alu instid0(VALU_DEP_1) | instskip(SKIP_1) | instid1(VALU_DEP_2)
	v_mov_b32_e32 v9, v5
	v_pk_mul_f32 v[4:5], v[6:7], v[2:3] op_sel:[0,1]
	v_pk_add_f32 v[114:115], v[114:115], v[8:9] neg_lo:[0,1] neg_hi:[0,1]
	s_delay_alu instid0(VALU_DEP_2) | instskip(SKIP_1) | instid1(VALU_DEP_1)
	v_pk_fma_f32 v[8:9], v[6:7], v[0:1], v[4:5] op_sel:[0,0,1] op_sel_hi:[1,1,0] neg_lo:[0,0,1] neg_hi:[0,0,1]
	v_pk_fma_f32 v[4:5], v[6:7], v[0:1], v[4:5] op_sel:[0,0,1] op_sel_hi:[1,0,0]
	v_mov_b32_e32 v9, v5
	ds_load_2addr_b64 v[4:7], v216 offset0:26 offset1:27
	v_pk_add_f32 v[110:111], v[110:111], v[8:9] neg_lo:[0,1] neg_hi:[0,1]
	s_wait_dscnt 0x0
	v_pk_mul_f32 v[8:9], v[4:5], v[2:3] op_sel:[0,1]
	s_delay_alu instid0(VALU_DEP_1) | instskip(SKIP_1) | instid1(VALU_DEP_1)
	v_pk_fma_f32 v[10:11], v[4:5], v[0:1], v[8:9] op_sel:[0,0,1] op_sel_hi:[1,1,0] neg_lo:[0,0,1] neg_hi:[0,0,1]
	v_pk_fma_f32 v[4:5], v[4:5], v[0:1], v[8:9] op_sel:[0,0,1] op_sel_hi:[1,0,0]
	v_mov_b32_e32 v11, v5
	v_pk_mul_f32 v[4:5], v[6:7], v[2:3] op_sel:[0,1]
	s_delay_alu instid0(VALU_DEP_2) | instskip(NEXT) | instid1(VALU_DEP_2)
	v_pk_add_f32 v[112:113], v[112:113], v[10:11] neg_lo:[0,1] neg_hi:[0,1]
	v_pk_fma_f32 v[8:9], v[6:7], v[0:1], v[4:5] op_sel:[0,0,1] op_sel_hi:[1,1,0] neg_lo:[0,0,1] neg_hi:[0,0,1]
	v_pk_fma_f32 v[4:5], v[6:7], v[0:1], v[4:5] op_sel:[0,0,1] op_sel_hi:[1,0,0]
	s_delay_alu instid0(VALU_DEP_1) | instskip(SKIP_4) | instid1(VALU_DEP_1)
	v_mov_b32_e32 v9, v5
	ds_load_2addr_b64 v[4:7], v216 offset0:28 offset1:29
	v_pk_add_f32 v[108:109], v[108:109], v[8:9] neg_lo:[0,1] neg_hi:[0,1]
	s_wait_dscnt 0x0
	v_pk_mul_f32 v[8:9], v[4:5], v[2:3] op_sel:[0,1]
	v_pk_fma_f32 v[10:11], v[4:5], v[0:1], v[8:9] op_sel:[0,0,1] op_sel_hi:[1,1,0] neg_lo:[0,0,1] neg_hi:[0,0,1]
	v_pk_fma_f32 v[4:5], v[4:5], v[0:1], v[8:9] op_sel:[0,0,1] op_sel_hi:[1,0,0]
	v_dual_mul_f32 v8, v7, v3 :: v_dual_mov_b32 v4, v7
	s_delay_alu instid0(VALU_DEP_2) | instskip(NEXT) | instid1(VALU_DEP_2)
	v_dual_mov_b32 v11, v5 :: v_dual_mov_b32 v5, v6
	v_pk_fma_f32 v[8:9], v[6:7], v[22:23], v[8:9] op_sel_hi:[1,1,0] neg_lo:[0,0,1] neg_hi:[0,0,1]
	v_mul_f32_e32 v6, v7, v0
	s_delay_alu instid0(VALU_DEP_3) | instskip(NEXT) | instid1(VALU_DEP_2)
	v_pk_add_f32 v[130:131], v[130:131], v[10:11] neg_lo:[0,1] neg_hi:[0,1]
	v_pk_fma_f32 v[4:5], v[4:5], v[22:23], v[6:7] op_sel_hi:[1,1,0]
	s_delay_alu instid0(VALU_DEP_1) | instskip(SKIP_4) | instid1(VALU_DEP_1)
	v_mov_b32_e32 v9, v5
	ds_load_2addr_b64 v[4:7], v216 offset0:30 offset1:31
	v_pk_add_f32 v[126:127], v[126:127], v[8:9] neg_lo:[0,1] neg_hi:[0,1]
	s_wait_dscnt 0x0
	v_pk_mul_f32 v[8:9], v[4:5], v[2:3] op_sel:[0,1]
	v_pk_fma_f32 v[10:11], v[4:5], v[0:1], v[8:9] op_sel:[0,0,1] op_sel_hi:[1,1,0] neg_lo:[0,0,1] neg_hi:[0,0,1]
	v_pk_fma_f32 v[4:5], v[4:5], v[0:1], v[8:9] op_sel:[0,0,1] op_sel_hi:[1,0,0]
	s_delay_alu instid0(VALU_DEP_1) | instskip(SKIP_1) | instid1(VALU_DEP_1)
	v_mov_b32_e32 v11, v5
	v_pk_mul_f32 v[4:5], v[6:7], v[2:3] op_sel:[0,1]
	v_pk_fma_f32 v[8:9], v[6:7], v[0:1], v[4:5] op_sel:[0,0,1] op_sel_hi:[1,1,0] neg_lo:[0,0,1] neg_hi:[0,0,1]
	v_pk_fma_f32 v[4:5], v[6:7], v[0:1], v[4:5] op_sel:[0,0,1] op_sel_hi:[1,0,0]
	s_delay_alu instid0(VALU_DEP_1)
	v_mov_b32_e32 v9, v5
	ds_load_2addr_b64 v[4:7], v216 offset0:32 offset1:33
	v_pk_add_f32 v[128:129], v[128:129], v[10:11] neg_lo:[0,1] neg_hi:[0,1]
	v_pk_add_f32 v[124:125], v[124:125], v[8:9] neg_lo:[0,1] neg_hi:[0,1]
	s_wait_dscnt 0x0
	v_pk_mul_f32 v[8:9], v[4:5], v[2:3] op_sel:[0,1]
	s_delay_alu instid0(VALU_DEP_1) | instskip(SKIP_1) | instid1(VALU_DEP_1)
	v_pk_fma_f32 v[10:11], v[4:5], v[0:1], v[8:9] op_sel:[0,0,1] op_sel_hi:[1,1,0] neg_lo:[0,0,1] neg_hi:[0,0,1]
	v_pk_fma_f32 v[4:5], v[4:5], v[0:1], v[8:9] op_sel:[0,0,1] op_sel_hi:[1,0,0]
	v_mov_b32_e32 v11, v5
	v_pk_mul_f32 v[4:5], v[6:7], v[2:3] op_sel:[0,1]
	s_delay_alu instid0(VALU_DEP_1) | instskip(SKIP_1) | instid1(VALU_DEP_1)
	v_pk_fma_f32 v[8:9], v[6:7], v[0:1], v[4:5] op_sel:[0,0,1] op_sel_hi:[1,1,0] neg_lo:[0,0,1] neg_hi:[0,0,1]
	v_pk_fma_f32 v[4:5], v[6:7], v[0:1], v[4:5] op_sel:[0,0,1] op_sel_hi:[1,0,0]
	v_mov_b32_e32 v9, v5
	ds_load_2addr_b64 v[4:7], v216 offset0:34 offset1:35
	v_pk_add_f32 v[146:147], v[146:147], v[10:11] neg_lo:[0,1] neg_hi:[0,1]
	v_pk_add_f32 v[142:143], v[142:143], v[8:9] neg_lo:[0,1] neg_hi:[0,1]
	s_wait_dscnt 0x0
	v_dual_mul_f32 v8, v5, v3 :: v_dual_mul_f32 v10, v5, v0
	s_delay_alu instid0(VALU_DEP_1) | instskip(NEXT) | instid1(VALU_DEP_2)
	v_pk_fma_f32 v[8:9], v[4:5], v[22:23], v[8:9] op_sel_hi:[1,1,0] neg_lo:[0,0,1] neg_hi:[0,0,1]
	v_pk_fma_f32 v[4:5], v[4:5], v[22:23], v[10:11] op_sel:[1,0,0] op_sel_hi:[0,1,0]
	s_delay_alu instid0(VALU_DEP_1) | instskip(SKIP_1) | instid1(VALU_DEP_2)
	v_mov_b32_e32 v9, v5
	v_pk_mul_f32 v[4:5], v[6:7], v[2:3] op_sel:[0,1]
	v_pk_add_f32 v[144:145], v[144:145], v[8:9] neg_lo:[0,1] neg_hi:[0,1]
	s_delay_alu instid0(VALU_DEP_2) | instskip(SKIP_1) | instid1(VALU_DEP_1)
	v_pk_fma_f32 v[8:9], v[6:7], v[0:1], v[4:5] op_sel:[0,0,1] op_sel_hi:[1,1,0] neg_lo:[0,0,1] neg_hi:[0,0,1]
	v_pk_fma_f32 v[4:5], v[6:7], v[0:1], v[4:5] op_sel:[0,0,1] op_sel_hi:[1,0,0]
	v_mov_b32_e32 v9, v5
	ds_load_2addr_b64 v[4:7], v216 offset0:36 offset1:37
	v_pk_add_f32 v[140:141], v[140:141], v[8:9] neg_lo:[0,1] neg_hi:[0,1]
	s_wait_dscnt 0x0
	v_pk_mul_f32 v[8:9], v[4:5], v[2:3] op_sel:[0,1]
	s_delay_alu instid0(VALU_DEP_1) | instskip(SKIP_1) | instid1(VALU_DEP_1)
	v_pk_fma_f32 v[10:11], v[4:5], v[0:1], v[8:9] op_sel:[0,0,1] op_sel_hi:[1,1,0] neg_lo:[0,0,1] neg_hi:[0,0,1]
	v_pk_fma_f32 v[4:5], v[4:5], v[0:1], v[8:9] op_sel:[0,0,1] op_sel_hi:[1,0,0]
	v_mov_b32_e32 v11, v5
	v_pk_mul_f32 v[4:5], v[6:7], v[2:3] op_sel:[0,1]
	s_delay_alu instid0(VALU_DEP_2) | instskip(NEXT) | instid1(VALU_DEP_2)
	v_pk_add_f32 v[162:163], v[162:163], v[10:11] neg_lo:[0,1] neg_hi:[0,1]
	v_pk_fma_f32 v[8:9], v[6:7], v[0:1], v[4:5] op_sel:[0,0,1] op_sel_hi:[1,1,0] neg_lo:[0,0,1] neg_hi:[0,0,1]
	v_pk_fma_f32 v[4:5], v[6:7], v[0:1], v[4:5] op_sel:[0,0,1] op_sel_hi:[1,0,0]
	s_delay_alu instid0(VALU_DEP_1) | instskip(SKIP_4) | instid1(VALU_DEP_1)
	v_mov_b32_e32 v9, v5
	ds_load_2addr_b64 v[4:7], v216 offset0:38 offset1:39
	v_pk_add_f32 v[158:159], v[158:159], v[8:9] neg_lo:[0,1] neg_hi:[0,1]
	s_wait_dscnt 0x0
	v_pk_mul_f32 v[8:9], v[4:5], v[2:3] op_sel:[0,1]
	v_pk_fma_f32 v[10:11], v[4:5], v[0:1], v[8:9] op_sel:[0,0,1] op_sel_hi:[1,1,0] neg_lo:[0,0,1] neg_hi:[0,0,1]
	v_pk_fma_f32 v[4:5], v[4:5], v[0:1], v[8:9] op_sel:[0,0,1] op_sel_hi:[1,0,0]
	v_dual_mul_f32 v8, v7, v3 :: v_dual_mov_b32 v4, v7
	s_delay_alu instid0(VALU_DEP_2) | instskip(NEXT) | instid1(VALU_DEP_2)
	v_dual_mov_b32 v11, v5 :: v_dual_mov_b32 v5, v6
	v_pk_fma_f32 v[8:9], v[6:7], v[22:23], v[8:9] op_sel_hi:[1,1,0] neg_lo:[0,0,1] neg_hi:[0,0,1]
	v_mul_f32_e32 v6, v7, v0
	s_delay_alu instid0(VALU_DEP_3) | instskip(NEXT) | instid1(VALU_DEP_2)
	v_pk_add_f32 v[160:161], v[160:161], v[10:11] neg_lo:[0,1] neg_hi:[0,1]
	v_pk_fma_f32 v[4:5], v[4:5], v[22:23], v[6:7] op_sel_hi:[1,1,0]
	s_delay_alu instid0(VALU_DEP_1) | instskip(SKIP_4) | instid1(VALU_DEP_1)
	v_mov_b32_e32 v9, v5
	ds_load_2addr_b64 v[4:7], v216 offset0:40 offset1:41
	v_pk_add_f32 v[156:157], v[156:157], v[8:9] neg_lo:[0,1] neg_hi:[0,1]
	s_wait_dscnt 0x0
	v_pk_mul_f32 v[8:9], v[4:5], v[2:3] op_sel:[0,1]
	v_pk_fma_f32 v[10:11], v[4:5], v[0:1], v[8:9] op_sel:[0,0,1] op_sel_hi:[1,1,0] neg_lo:[0,0,1] neg_hi:[0,0,1]
	v_pk_fma_f32 v[4:5], v[4:5], v[0:1], v[8:9] op_sel:[0,0,1] op_sel_hi:[1,0,0]
	s_delay_alu instid0(VALU_DEP_1) | instskip(SKIP_1) | instid1(VALU_DEP_1)
	v_mov_b32_e32 v11, v5
	v_pk_mul_f32 v[4:5], v[6:7], v[2:3] op_sel:[0,1]
	v_pk_fma_f32 v[8:9], v[6:7], v[0:1], v[4:5] op_sel:[0,0,1] op_sel_hi:[1,1,0] neg_lo:[0,0,1] neg_hi:[0,0,1]
	v_pk_fma_f32 v[4:5], v[6:7], v[0:1], v[4:5] op_sel:[0,0,1] op_sel_hi:[1,0,0]
	s_delay_alu instid0(VALU_DEP_1)
	v_mov_b32_e32 v9, v5
	ds_load_2addr_b64 v[4:7], v216 offset0:42 offset1:43
	v_pk_add_f32 v[178:179], v[178:179], v[10:11] neg_lo:[0,1] neg_hi:[0,1]
	v_pk_add_f32 v[174:175], v[174:175], v[8:9] neg_lo:[0,1] neg_hi:[0,1]
	s_wait_dscnt 0x0
	v_pk_mul_f32 v[8:9], v[4:5], v[2:3] op_sel:[0,1]
	s_delay_alu instid0(VALU_DEP_1) | instskip(SKIP_1) | instid1(VALU_DEP_1)
	v_pk_fma_f32 v[10:11], v[4:5], v[0:1], v[8:9] op_sel:[0,0,1] op_sel_hi:[1,1,0] neg_lo:[0,0,1] neg_hi:[0,0,1]
	v_pk_fma_f32 v[4:5], v[4:5], v[0:1], v[8:9] op_sel:[0,0,1] op_sel_hi:[1,0,0]
	v_mov_b32_e32 v11, v5
	v_pk_mul_f32 v[4:5], v[6:7], v[2:3] op_sel:[0,1]
	s_delay_alu instid0(VALU_DEP_1) | instskip(SKIP_1) | instid1(VALU_DEP_1)
	v_pk_fma_f32 v[8:9], v[6:7], v[0:1], v[4:5] op_sel:[0,0,1] op_sel_hi:[1,1,0] neg_lo:[0,0,1] neg_hi:[0,0,1]
	v_pk_fma_f32 v[4:5], v[6:7], v[0:1], v[4:5] op_sel:[0,0,1] op_sel_hi:[1,0,0]
	v_mov_b32_e32 v9, v5
	ds_load_2addr_b64 v[4:7], v216 offset0:44 offset1:45
	v_pk_add_f32 v[176:177], v[176:177], v[10:11] neg_lo:[0,1] neg_hi:[0,1]
	v_pk_add_f32 v[172:173], v[172:173], v[8:9] neg_lo:[0,1] neg_hi:[0,1]
	s_wait_dscnt 0x0
	v_dual_mul_f32 v8, v5, v3 :: v_dual_mul_f32 v10, v5, v0
	s_delay_alu instid0(VALU_DEP_1) | instskip(NEXT) | instid1(VALU_DEP_2)
	v_pk_fma_f32 v[8:9], v[4:5], v[22:23], v[8:9] op_sel_hi:[1,1,0] neg_lo:[0,0,1] neg_hi:[0,0,1]
	v_pk_fma_f32 v[4:5], v[4:5], v[22:23], v[10:11] op_sel:[1,0,0] op_sel_hi:[0,1,0]
	s_delay_alu instid0(VALU_DEP_1) | instskip(SKIP_1) | instid1(VALU_DEP_2)
	v_mov_b32_e32 v9, v5
	v_pk_mul_f32 v[4:5], v[6:7], v[2:3] op_sel:[0,1]
	v_pk_add_f32 v[194:195], v[194:195], v[8:9] neg_lo:[0,1] neg_hi:[0,1]
	s_delay_alu instid0(VALU_DEP_2) | instskip(SKIP_1) | instid1(VALU_DEP_1)
	v_pk_fma_f32 v[8:9], v[6:7], v[0:1], v[4:5] op_sel:[0,0,1] op_sel_hi:[1,1,0] neg_lo:[0,0,1] neg_hi:[0,0,1]
	v_pk_fma_f32 v[4:5], v[6:7], v[0:1], v[4:5] op_sel:[0,0,1] op_sel_hi:[1,0,0]
	v_mov_b32_e32 v9, v5
	ds_load_2addr_b64 v[4:7], v216 offset0:46 offset1:47
	v_pk_add_f32 v[190:191], v[190:191], v[8:9] neg_lo:[0,1] neg_hi:[0,1]
	s_wait_dscnt 0x0
	v_pk_mul_f32 v[8:9], v[4:5], v[2:3] op_sel:[0,1]
	s_delay_alu instid0(VALU_DEP_1) | instskip(SKIP_1) | instid1(VALU_DEP_1)
	v_pk_fma_f32 v[10:11], v[4:5], v[0:1], v[8:9] op_sel:[0,0,1] op_sel_hi:[1,1,0] neg_lo:[0,0,1] neg_hi:[0,0,1]
	v_pk_fma_f32 v[4:5], v[4:5], v[0:1], v[8:9] op_sel:[0,0,1] op_sel_hi:[1,0,0]
	v_mov_b32_e32 v11, v5
	v_pk_mul_f32 v[4:5], v[6:7], v[2:3] op_sel:[0,1]
	s_delay_alu instid0(VALU_DEP_2) | instskip(NEXT) | instid1(VALU_DEP_2)
	v_pk_add_f32 v[192:193], v[192:193], v[10:11] neg_lo:[0,1] neg_hi:[0,1]
	v_pk_fma_f32 v[8:9], v[6:7], v[0:1], v[4:5] op_sel:[0,0,1] op_sel_hi:[1,1,0] neg_lo:[0,0,1] neg_hi:[0,0,1]
	v_pk_fma_f32 v[4:5], v[6:7], v[0:1], v[4:5] op_sel:[0,0,1] op_sel_hi:[1,0,0]
	s_delay_alu instid0(VALU_DEP_1) | instskip(SKIP_4) | instid1(VALU_DEP_1)
	v_mov_b32_e32 v9, v5
	ds_load_2addr_b64 v[4:7], v216 offset0:48 offset1:49
	v_pk_add_f32 v[188:189], v[188:189], v[8:9] neg_lo:[0,1] neg_hi:[0,1]
	s_wait_dscnt 0x0
	v_pk_mul_f32 v[8:9], v[4:5], v[2:3] op_sel:[0,1]
	v_pk_fma_f32 v[10:11], v[4:5], v[0:1], v[8:9] op_sel:[0,0,1] op_sel_hi:[1,1,0] neg_lo:[0,0,1] neg_hi:[0,0,1]
	v_pk_fma_f32 v[4:5], v[4:5], v[0:1], v[8:9] op_sel:[0,0,1] op_sel_hi:[1,0,0]
	v_dual_mul_f32 v8, v7, v3 :: v_dual_mov_b32 v4, v7
	s_delay_alu instid0(VALU_DEP_2) | instskip(NEXT) | instid1(VALU_DEP_2)
	v_dual_mov_b32 v11, v5 :: v_dual_mov_b32 v5, v6
	v_pk_fma_f32 v[8:9], v[6:7], v[22:23], v[8:9] op_sel_hi:[1,1,0] neg_lo:[0,0,1] neg_hi:[0,0,1]
	v_mul_f32_e32 v6, v7, v0
	s_delay_alu instid0(VALU_DEP_3) | instskip(NEXT) | instid1(VALU_DEP_2)
	v_pk_add_f32 v[214:215], v[214:215], v[10:11] neg_lo:[0,1] neg_hi:[0,1]
	v_pk_fma_f32 v[4:5], v[4:5], v[22:23], v[6:7] op_sel_hi:[1,1,0]
	s_delay_alu instid0(VALU_DEP_1) | instskip(SKIP_4) | instid1(VALU_DEP_1)
	v_mov_b32_e32 v9, v5
	ds_load_2addr_b64 v[4:7], v216 offset0:50 offset1:51
	v_pk_add_f32 v[210:211], v[210:211], v[8:9] neg_lo:[0,1] neg_hi:[0,1]
	s_wait_dscnt 0x0
	v_pk_mul_f32 v[8:9], v[4:5], v[2:3] op_sel:[0,1]
	v_pk_fma_f32 v[10:11], v[4:5], v[0:1], v[8:9] op_sel:[0,0,1] op_sel_hi:[1,1,0] neg_lo:[0,0,1] neg_hi:[0,0,1]
	v_pk_fma_f32 v[4:5], v[4:5], v[0:1], v[8:9] op_sel:[0,0,1] op_sel_hi:[1,0,0]
	s_delay_alu instid0(VALU_DEP_1) | instskip(SKIP_1) | instid1(VALU_DEP_1)
	v_mov_b32_e32 v11, v5
	v_pk_mul_f32 v[4:5], v[6:7], v[2:3] op_sel:[0,1]
	v_pk_fma_f32 v[8:9], v[6:7], v[0:1], v[4:5] op_sel:[0,0,1] op_sel_hi:[1,1,0] neg_lo:[0,0,1] neg_hi:[0,0,1]
	v_pk_fma_f32 v[4:5], v[6:7], v[0:1], v[4:5] op_sel:[0,0,1] op_sel_hi:[1,0,0]
	s_delay_alu instid0(VALU_DEP_1)
	v_mov_b32_e32 v9, v5
	ds_load_2addr_b64 v[4:7], v216 offset0:52 offset1:53
	v_pk_add_f32 v[212:213], v[212:213], v[10:11] neg_lo:[0,1] neg_hi:[0,1]
	v_pk_add_f32 v[208:209], v[208:209], v[8:9] neg_lo:[0,1] neg_hi:[0,1]
	s_wait_dscnt 0x0
	v_pk_mul_f32 v[8:9], v[4:5], v[2:3] op_sel:[0,1]
	s_delay_alu instid0(VALU_DEP_1) | instskip(SKIP_1) | instid1(VALU_DEP_1)
	v_pk_fma_f32 v[10:11], v[4:5], v[0:1], v[8:9] op_sel:[0,0,1] op_sel_hi:[1,1,0] neg_lo:[0,0,1] neg_hi:[0,0,1]
	v_pk_fma_f32 v[4:5], v[4:5], v[0:1], v[8:9] op_sel:[0,0,1] op_sel_hi:[1,0,0]
	v_mov_b32_e32 v11, v5
	v_pk_mul_f32 v[4:5], v[6:7], v[2:3] op_sel:[0,1]
	s_delay_alu instid0(VALU_DEP_1) | instskip(SKIP_1) | instid1(VALU_DEP_1)
	v_pk_fma_f32 v[8:9], v[6:7], v[0:1], v[4:5] op_sel:[0,0,1] op_sel_hi:[1,1,0] neg_lo:[0,0,1] neg_hi:[0,0,1]
	v_pk_fma_f32 v[4:5], v[6:7], v[0:1], v[4:5] op_sel:[0,0,1] op_sel_hi:[1,0,0]
	v_mov_b32_e32 v9, v5
	ds_load_2addr_b64 v[4:7], v216 offset0:54 offset1:55
	v_pk_add_f32 v[236:237], v[236:237], v[10:11] neg_lo:[0,1] neg_hi:[0,1]
	v_pk_add_f32 v[230:231], v[230:231], v[8:9] neg_lo:[0,1] neg_hi:[0,1]
	s_wait_dscnt 0x0
	v_dual_mul_f32 v8, v5, v3 :: v_dual_mul_f32 v10, v5, v0
	s_delay_alu instid0(VALU_DEP_1) | instskip(NEXT) | instid1(VALU_DEP_2)
	v_pk_fma_f32 v[8:9], v[4:5], v[22:23], v[8:9] op_sel_hi:[1,1,0] neg_lo:[0,0,1] neg_hi:[0,0,1]
	v_pk_fma_f32 v[4:5], v[4:5], v[22:23], v[10:11] op_sel:[1,0,0] op_sel_hi:[0,1,0]
	s_delay_alu instid0(VALU_DEP_1) | instskip(SKIP_1) | instid1(VALU_DEP_2)
	v_mov_b32_e32 v9, v5
	v_pk_mul_f32 v[4:5], v[6:7], v[2:3] op_sel:[0,1]
	v_pk_add_f32 v[234:235], v[234:235], v[8:9] neg_lo:[0,1] neg_hi:[0,1]
	s_delay_alu instid0(VALU_DEP_2) | instskip(SKIP_1) | instid1(VALU_DEP_1)
	v_pk_fma_f32 v[8:9], v[6:7], v[0:1], v[4:5] op_sel:[0,0,1] op_sel_hi:[1,1,0] neg_lo:[0,0,1] neg_hi:[0,0,1]
	v_pk_fma_f32 v[4:5], v[6:7], v[0:1], v[4:5] op_sel:[0,0,1] op_sel_hi:[1,0,0]
	v_mov_b32_e32 v9, v5
	ds_load_2addr_b64 v[4:7], v216 offset0:56 offset1:57
	v_pk_add_f32 v[228:229], v[228:229], v[8:9] neg_lo:[0,1] neg_hi:[0,1]
	s_wait_dscnt 0x0
	v_pk_mul_f32 v[8:9], v[4:5], v[2:3] op_sel:[0,1]
	s_delay_alu instid0(VALU_DEP_1) | instskip(SKIP_1) | instid1(VALU_DEP_1)
	v_pk_fma_f32 v[10:11], v[4:5], v[0:1], v[8:9] op_sel:[0,0,1] op_sel_hi:[1,1,0] neg_lo:[0,0,1] neg_hi:[0,0,1]
	v_pk_fma_f32 v[4:5], v[4:5], v[0:1], v[8:9] op_sel:[0,0,1] op_sel_hi:[1,0,0]
	v_mov_b32_e32 v11, v5
	v_pk_mul_f32 v[4:5], v[6:7], v[2:3] op_sel:[0,1]
	s_delay_alu instid0(VALU_DEP_2) | instskip(NEXT) | instid1(VALU_DEP_2)
	v_pk_add_f32 v[232:233], v[232:233], v[10:11] neg_lo:[0,1] neg_hi:[0,1]
	v_pk_fma_f32 v[8:9], v[6:7], v[0:1], v[4:5] op_sel:[0,0,1] op_sel_hi:[1,1,0] neg_lo:[0,0,1] neg_hi:[0,0,1]
	v_pk_fma_f32 v[4:5], v[6:7], v[0:1], v[4:5] op_sel:[0,0,1] op_sel_hi:[1,0,0]
	s_delay_alu instid0(VALU_DEP_1)
	v_mov_b32_e32 v9, v5
	ds_load_2addr_b64 v[4:7], v216 offset0:58 offset1:59
	v_pk_add_f32 v[226:227], v[226:227], v[8:9] neg_lo:[0,1] neg_hi:[0,1]
	s_wait_dscnt 0x0
	v_pk_mul_f32 v[8:9], v[4:5], v[2:3] op_sel:[0,1]
	v_mul_f32_e32 v2, v7, v3
	s_delay_alu instid0(VALU_DEP_2) | instskip(SKIP_2) | instid1(VALU_DEP_4)
	v_pk_fma_f32 v[10:11], v[4:5], v[0:1], v[8:9] op_sel:[0,0,1] op_sel_hi:[1,1,0] neg_lo:[0,0,1] neg_hi:[0,0,1]
	v_pk_fma_f32 v[4:5], v[4:5], v[0:1], v[8:9] op_sel:[0,0,1] op_sel_hi:[1,0,0]
	v_dual_mov_b32 v4, v7 :: v_dual_mul_f32 v0, v7, v0
	v_pk_fma_f32 v[2:3], v[6:7], v[22:23], v[2:3] op_sel_hi:[1,1,0] neg_lo:[0,0,1] neg_hi:[0,0,1]
	s_delay_alu instid0(VALU_DEP_3) | instskip(NEXT) | instid1(VALU_DEP_1)
	v_dual_mov_b32 v11, v5 :: v_dual_mov_b32 v5, v6
	v_pk_add_f32 v[238:239], v[238:239], v[10:11] neg_lo:[0,1] neg_hi:[0,1]
	s_delay_alu instid0(VALU_DEP_2) | instskip(NEXT) | instid1(VALU_DEP_1)
	v_pk_fma_f32 v[0:1], v[4:5], v[22:23], v[0:1] op_sel_hi:[1,1,0]
	v_mov_b32_e32 v3, v1
	s_delay_alu instid0(VALU_DEP_1)
	v_pk_add_f32 v[240:241], v[240:241], v[2:3] neg_lo:[0,1] neg_hi:[0,1]
.LBB119_55:
	s_wait_xcnt 0x0
	s_or_b32 exec_lo, exec_lo, s1
	s_delay_alu instid0(SALU_CYCLE_1)
	s_mov_b32 s2, exec_lo
	s_wait_storecnt 0x0
	s_barrier_signal -1
	s_barrier_wait -1
	v_cmpx_eq_u32_e32 6, v206
	s_cbranch_execz .LBB119_62
; %bb.56:
	ds_store_b64 v207, v[24:25]
	ds_store_2addr_b64 v216, v[20:21], v[40:41] offset0:7 offset1:8
	ds_store_2addr_b64 v216, v[36:37], v[38:39] offset0:9 offset1:10
	;; [unrolled: 1-line block ×26, first 2 shown]
	ds_store_b64 v216, v[240:241] offset:472
	ds_load_b64 v[0:1], v207
	s_wait_dscnt 0x0
	v_cmp_neq_f32_e32 vcc_lo, 0, v0
	v_cmp_neq_f32_e64 s1, 0, v1
	s_or_b32 s1, vcc_lo, s1
	s_delay_alu instid0(SALU_CYCLE_1)
	s_and_b32 exec_lo, exec_lo, s1
	s_cbranch_execz .LBB119_62
; %bb.57:
	v_cmp_ngt_f32_e64 s1, |v0|, |v1|
                                        ; implicit-def: $vgpr2_vgpr3
	s_and_saveexec_b32 s4, s1
	s_delay_alu instid0(SALU_CYCLE_1)
	s_xor_b32 s1, exec_lo, s4
	s_cbranch_execz .LBB119_59
; %bb.58:
	v_div_scale_f32 v2, null, v1, v1, v0
	v_div_scale_f32 v5, vcc_lo, v0, v1, v0
	s_delay_alu instid0(VALU_DEP_2) | instskip(SKIP_1) | instid1(TRANS32_DEP_1)
	v_rcp_f32_e32 v3, v2
	v_nop
	v_fma_f32 v4, -v2, v3, 1.0
	s_delay_alu instid0(VALU_DEP_1) | instskip(NEXT) | instid1(VALU_DEP_1)
	v_fmac_f32_e32 v3, v4, v3
	v_mul_f32_e32 v4, v5, v3
	s_delay_alu instid0(VALU_DEP_1) | instskip(NEXT) | instid1(VALU_DEP_1)
	v_fma_f32 v6, -v2, v4, v5
	v_fmac_f32_e32 v4, v6, v3
	s_delay_alu instid0(VALU_DEP_1) | instskip(NEXT) | instid1(VALU_DEP_1)
	v_fma_f32 v2, -v2, v4, v5
	v_div_fmas_f32 v2, v2, v3, v4
	s_delay_alu instid0(VALU_DEP_1) | instskip(NEXT) | instid1(VALU_DEP_1)
	v_div_fixup_f32 v2, v2, v1, v0
	v_fmac_f32_e32 v1, v0, v2
	s_delay_alu instid0(VALU_DEP_1) | instskip(SKIP_1) | instid1(VALU_DEP_2)
	v_div_scale_f32 v0, null, v1, v1, 1.0
	v_div_scale_f32 v5, vcc_lo, 1.0, v1, 1.0
	v_rcp_f32_e32 v3, v0
	v_nop
	s_delay_alu instid0(TRANS32_DEP_1) | instskip(NEXT) | instid1(VALU_DEP_1)
	v_fma_f32 v4, -v0, v3, 1.0
	v_fmac_f32_e32 v3, v4, v3
	s_delay_alu instid0(VALU_DEP_1) | instskip(NEXT) | instid1(VALU_DEP_1)
	v_mul_f32_e32 v4, v5, v3
	v_fma_f32 v6, -v0, v4, v5
	s_delay_alu instid0(VALU_DEP_1) | instskip(NEXT) | instid1(VALU_DEP_1)
	v_fmac_f32_e32 v4, v6, v3
	v_fma_f32 v0, -v0, v4, v5
	s_delay_alu instid0(VALU_DEP_1) | instskip(NEXT) | instid1(VALU_DEP_1)
	v_div_fmas_f32 v0, v0, v3, v4
	v_div_fixup_f32 v0, v0, v1, 1.0
	s_delay_alu instid0(VALU_DEP_1)
	v_mul_f32_e32 v2, v2, v0
	v_xor_b32_e32 v3, 0x80000000, v0
                                        ; implicit-def: $vgpr0_vgpr1
.LBB119_59:
	s_and_not1_saveexec_b32 s1, s1
	s_cbranch_execz .LBB119_61
; %bb.60:
	v_div_scale_f32 v2, null, v0, v0, v1
	v_div_scale_f32 v5, vcc_lo, v1, v0, v1
	s_delay_alu instid0(VALU_DEP_2) | instskip(SKIP_1) | instid1(TRANS32_DEP_1)
	v_rcp_f32_e32 v3, v2
	v_nop
	v_fma_f32 v4, -v2, v3, 1.0
	s_delay_alu instid0(VALU_DEP_1) | instskip(NEXT) | instid1(VALU_DEP_1)
	v_fmac_f32_e32 v3, v4, v3
	v_mul_f32_e32 v4, v5, v3
	s_delay_alu instid0(VALU_DEP_1) | instskip(NEXT) | instid1(VALU_DEP_1)
	v_fma_f32 v6, -v2, v4, v5
	v_fmac_f32_e32 v4, v6, v3
	s_delay_alu instid0(VALU_DEP_1) | instskip(NEXT) | instid1(VALU_DEP_1)
	v_fma_f32 v2, -v2, v4, v5
	v_div_fmas_f32 v2, v2, v3, v4
	s_delay_alu instid0(VALU_DEP_1) | instskip(NEXT) | instid1(VALU_DEP_1)
	v_div_fixup_f32 v3, v2, v0, v1
	v_fmac_f32_e32 v0, v1, v3
	s_delay_alu instid0(VALU_DEP_1) | instskip(NEXT) | instid1(VALU_DEP_1)
	v_div_scale_f32 v1, null, v0, v0, 1.0
	v_rcp_f32_e32 v2, v1
	v_nop
	s_delay_alu instid0(TRANS32_DEP_1) | instskip(NEXT) | instid1(VALU_DEP_1)
	v_fma_f32 v4, -v1, v2, 1.0
	v_fmac_f32_e32 v2, v4, v2
	v_div_scale_f32 v4, vcc_lo, 1.0, v0, 1.0
	s_delay_alu instid0(VALU_DEP_1) | instskip(NEXT) | instid1(VALU_DEP_1)
	v_mul_f32_e32 v5, v4, v2
	v_fma_f32 v6, -v1, v5, v4
	s_delay_alu instid0(VALU_DEP_1) | instskip(NEXT) | instid1(VALU_DEP_1)
	v_fmac_f32_e32 v5, v6, v2
	v_fma_f32 v1, -v1, v5, v4
	s_delay_alu instid0(VALU_DEP_1) | instskip(NEXT) | instid1(VALU_DEP_1)
	v_div_fmas_f32 v1, v1, v2, v5
	v_div_fixup_f32 v2, v1, v0, 1.0
	s_delay_alu instid0(VALU_DEP_1)
	v_mul_f32_e64 v3, v3, -v2
.LBB119_61:
	s_or_b32 exec_lo, exec_lo, s1
	ds_store_b64 v207, v[2:3]
.LBB119_62:
	s_or_b32 exec_lo, exec_lo, s2
	s_wait_dscnt 0x0
	s_barrier_signal -1
	s_barrier_wait -1
	ds_load_b64 v[0:1], v207
	s_mov_b32 s1, exec_lo
	s_wait_dscnt 0x0
	scratch_store_b64 off, v[0:1], off offset:456 ; 8-byte Folded Spill
	s_wait_xcnt 0x0
	v_cmpx_lt_u32_e32 6, v206
	s_cbranch_execz .LBB119_64
; %bb.63:
	scratch_load_b64 v[4:5], off, off offset:456 ; 8-byte Folded Reload
	s_wait_loadcnt 0x0
	v_pk_mul_f32 v[2:3], v[4:5], v[24:25] op_sel:[1,1] op_sel_hi:[0,1]
	s_delay_alu instid0(VALU_DEP_1)
	v_pk_fma_f32 v[0:1], v[4:5], v[24:25], v[2:3] op_sel_hi:[1,0,1] neg_lo:[0,0,1] neg_hi:[0,0,1]
	v_pk_fma_f32 v[2:3], v[4:5], v[24:25], v[2:3] op_sel_hi:[1,0,1]
	ds_load_2addr_b64 v[4:7], v216 offset0:7 offset1:8
	v_dual_mov_b32 v24, v0 :: v_dual_mov_b32 v25, v3
	s_wait_dscnt 0x0
	v_pk_mul_f32 v[8:9], v[4:5], v[2:3] op_sel:[0,1]
	s_delay_alu instid0(VALU_DEP_1) | instskip(SKIP_1) | instid1(VALU_DEP_1)
	v_pk_fma_f32 v[10:11], v[4:5], v[0:1], v[8:9] op_sel:[0,0,1] op_sel_hi:[1,1,0] neg_lo:[0,0,1] neg_hi:[0,0,1]
	v_pk_fma_f32 v[4:5], v[4:5], v[0:1], v[8:9] op_sel:[0,0,1] op_sel_hi:[1,0,0]
	v_mov_b32_e32 v11, v5
	v_pk_mul_f32 v[4:5], v[6:7], v[2:3] op_sel:[0,1]
	s_delay_alu instid0(VALU_DEP_1) | instskip(SKIP_1) | instid1(VALU_DEP_1)
	v_pk_fma_f32 v[8:9], v[6:7], v[0:1], v[4:5] op_sel:[0,0,1] op_sel_hi:[1,1,0] neg_lo:[0,0,1] neg_hi:[0,0,1]
	v_pk_fma_f32 v[4:5], v[6:7], v[0:1], v[4:5] op_sel:[0,0,1] op_sel_hi:[1,0,0]
	v_mov_b32_e32 v9, v5
	ds_load_2addr_b64 v[4:7], v216 offset0:9 offset1:10
	v_pk_add_f32 v[20:21], v[20:21], v[10:11] neg_lo:[0,1] neg_hi:[0,1]
	v_pk_add_f32 v[40:41], v[40:41], v[8:9] neg_lo:[0,1] neg_hi:[0,1]
	s_wait_dscnt 0x0
	v_pk_mul_f32 v[8:9], v[4:5], v[2:3] op_sel:[0,1]
	s_delay_alu instid0(VALU_DEP_1) | instskip(SKIP_2) | instid1(VALU_DEP_2)
	v_pk_fma_f32 v[10:11], v[4:5], v[0:1], v[8:9] op_sel:[0,0,1] op_sel_hi:[1,1,0] neg_lo:[0,0,1] neg_hi:[0,0,1]
	v_pk_fma_f32 v[4:5], v[4:5], v[0:1], v[8:9] op_sel:[0,0,1] op_sel_hi:[1,0,0]
	v_dual_mul_f32 v8, v7, v3 :: v_dual_mov_b32 v4, v7
	v_dual_mov_b32 v11, v5 :: v_dual_mov_b32 v5, v6
	s_delay_alu instid0(VALU_DEP_2) | instskip(SKIP_1) | instid1(VALU_DEP_3)
	v_pk_fma_f32 v[8:9], v[6:7], v[24:25], v[8:9] op_sel_hi:[1,1,0] neg_lo:[0,0,1] neg_hi:[0,0,1]
	v_mul_f32_e32 v6, v7, v0
	v_pk_add_f32 v[36:37], v[36:37], v[10:11] neg_lo:[0,1] neg_hi:[0,1]
	s_delay_alu instid0(VALU_DEP_2) | instskip(NEXT) | instid1(VALU_DEP_1)
	v_pk_fma_f32 v[4:5], v[4:5], v[24:25], v[6:7] op_sel_hi:[1,1,0]
	v_mov_b32_e32 v9, v5
	ds_load_2addr_b64 v[4:7], v216 offset0:11 offset1:12
	v_pk_add_f32 v[38:39], v[38:39], v[8:9] neg_lo:[0,1] neg_hi:[0,1]
	s_wait_dscnt 0x0
	v_pk_mul_f32 v[8:9], v[4:5], v[2:3] op_sel:[0,1]
	s_delay_alu instid0(VALU_DEP_1) | instskip(SKIP_1) | instid1(VALU_DEP_1)
	v_pk_fma_f32 v[10:11], v[4:5], v[0:1], v[8:9] op_sel:[0,0,1] op_sel_hi:[1,1,0] neg_lo:[0,0,1] neg_hi:[0,0,1]
	v_pk_fma_f32 v[4:5], v[4:5], v[0:1], v[8:9] op_sel:[0,0,1] op_sel_hi:[1,0,0]
	v_mov_b32_e32 v11, v5
	v_pk_mul_f32 v[4:5], v[6:7], v[2:3] op_sel:[0,1]
	s_delay_alu instid0(VALU_DEP_1) | instskip(SKIP_1) | instid1(VALU_DEP_1)
	v_pk_fma_f32 v[8:9], v[6:7], v[0:1], v[4:5] op_sel:[0,0,1] op_sel_hi:[1,1,0] neg_lo:[0,0,1] neg_hi:[0,0,1]
	v_pk_fma_f32 v[4:5], v[6:7], v[0:1], v[4:5] op_sel:[0,0,1] op_sel_hi:[1,0,0]
	v_mov_b32_e32 v9, v5
	ds_load_2addr_b64 v[4:7], v216 offset0:13 offset1:14
	v_pk_add_f32 v[34:35], v[34:35], v[10:11] neg_lo:[0,1] neg_hi:[0,1]
	v_pk_add_f32 v[66:67], v[66:67], v[8:9] neg_lo:[0,1] neg_hi:[0,1]
	s_wait_dscnt 0x0
	v_pk_mul_f32 v[8:9], v[4:5], v[2:3] op_sel:[0,1]
	s_delay_alu instid0(VALU_DEP_1) | instskip(SKIP_1) | instid1(VALU_DEP_1)
	v_pk_fma_f32 v[10:11], v[4:5], v[0:1], v[8:9] op_sel:[0,0,1] op_sel_hi:[1,1,0] neg_lo:[0,0,1] neg_hi:[0,0,1]
	v_pk_fma_f32 v[4:5], v[4:5], v[0:1], v[8:9] op_sel:[0,0,1] op_sel_hi:[1,0,0]
	v_mov_b32_e32 v11, v5
	v_pk_mul_f32 v[4:5], v[6:7], v[2:3] op_sel:[0,1]
	s_delay_alu instid0(VALU_DEP_1) | instskip(SKIP_1) | instid1(VALU_DEP_1)
	v_pk_fma_f32 v[8:9], v[6:7], v[0:1], v[4:5] op_sel:[0,0,1] op_sel_hi:[1,1,0] neg_lo:[0,0,1] neg_hi:[0,0,1]
	v_pk_fma_f32 v[4:5], v[6:7], v[0:1], v[4:5] op_sel:[0,0,1] op_sel_hi:[1,0,0]
	v_mov_b32_e32 v9, v5
	ds_load_2addr_b64 v[4:7], v216 offset0:15 offset1:16
	v_pk_add_f32 v[62:63], v[62:63], v[10:11] neg_lo:[0,1] neg_hi:[0,1]
	v_pk_add_f32 v[64:65], v[64:65], v[8:9] neg_lo:[0,1] neg_hi:[0,1]
	s_wait_dscnt 0x0
	v_dual_mul_f32 v8, v5, v3 :: v_dual_mul_f32 v10, v5, v0
	s_delay_alu instid0(VALU_DEP_1) | instskip(NEXT) | instid1(VALU_DEP_2)
	v_pk_fma_f32 v[8:9], v[4:5], v[24:25], v[8:9] op_sel_hi:[1,1,0] neg_lo:[0,0,1] neg_hi:[0,0,1]
	v_pk_fma_f32 v[4:5], v[4:5], v[24:25], v[10:11] op_sel:[1,0,0] op_sel_hi:[0,1,0]
	s_delay_alu instid0(VALU_DEP_1) | instskip(SKIP_1) | instid1(VALU_DEP_2)
	v_mov_b32_e32 v9, v5
	v_pk_mul_f32 v[4:5], v[6:7], v[2:3] op_sel:[0,1]
	v_pk_add_f32 v[60:61], v[60:61], v[8:9] neg_lo:[0,1] neg_hi:[0,1]
	s_delay_alu instid0(VALU_DEP_2) | instskip(SKIP_1) | instid1(VALU_DEP_1)
	v_pk_fma_f32 v[8:9], v[6:7], v[0:1], v[4:5] op_sel:[0,0,1] op_sel_hi:[1,1,0] neg_lo:[0,0,1] neg_hi:[0,0,1]
	v_pk_fma_f32 v[4:5], v[6:7], v[0:1], v[4:5] op_sel:[0,0,1] op_sel_hi:[1,0,0]
	v_mov_b32_e32 v9, v5
	ds_load_2addr_b64 v[4:7], v216 offset0:17 offset1:18
	v_pk_add_f32 v[82:83], v[82:83], v[8:9] neg_lo:[0,1] neg_hi:[0,1]
	s_wait_dscnt 0x0
	v_pk_mul_f32 v[8:9], v[4:5], v[2:3] op_sel:[0,1]
	s_delay_alu instid0(VALU_DEP_1) | instskip(SKIP_1) | instid1(VALU_DEP_1)
	v_pk_fma_f32 v[10:11], v[4:5], v[0:1], v[8:9] op_sel:[0,0,1] op_sel_hi:[1,1,0] neg_lo:[0,0,1] neg_hi:[0,0,1]
	v_pk_fma_f32 v[4:5], v[4:5], v[0:1], v[8:9] op_sel:[0,0,1] op_sel_hi:[1,0,0]
	v_mov_b32_e32 v11, v5
	v_pk_mul_f32 v[4:5], v[6:7], v[2:3] op_sel:[0,1]
	s_delay_alu instid0(VALU_DEP_2) | instskip(NEXT) | instid1(VALU_DEP_2)
	v_pk_add_f32 v[78:79], v[78:79], v[10:11] neg_lo:[0,1] neg_hi:[0,1]
	v_pk_fma_f32 v[8:9], v[6:7], v[0:1], v[4:5] op_sel:[0,0,1] op_sel_hi:[1,1,0] neg_lo:[0,0,1] neg_hi:[0,0,1]
	v_pk_fma_f32 v[4:5], v[6:7], v[0:1], v[4:5] op_sel:[0,0,1] op_sel_hi:[1,0,0]
	s_delay_alu instid0(VALU_DEP_1) | instskip(SKIP_4) | instid1(VALU_DEP_1)
	v_mov_b32_e32 v9, v5
	ds_load_2addr_b64 v[4:7], v216 offset0:19 offset1:20
	v_pk_add_f32 v[80:81], v[80:81], v[8:9] neg_lo:[0,1] neg_hi:[0,1]
	s_wait_dscnt 0x0
	v_pk_mul_f32 v[8:9], v[4:5], v[2:3] op_sel:[0,1]
	v_pk_fma_f32 v[10:11], v[4:5], v[0:1], v[8:9] op_sel:[0,0,1] op_sel_hi:[1,1,0] neg_lo:[0,0,1] neg_hi:[0,0,1]
	v_pk_fma_f32 v[4:5], v[4:5], v[0:1], v[8:9] op_sel:[0,0,1] op_sel_hi:[1,0,0]
	v_dual_mul_f32 v8, v7, v3 :: v_dual_mov_b32 v4, v7
	s_delay_alu instid0(VALU_DEP_2) | instskip(NEXT) | instid1(VALU_DEP_2)
	v_dual_mov_b32 v11, v5 :: v_dual_mov_b32 v5, v6
	v_pk_fma_f32 v[8:9], v[6:7], v[24:25], v[8:9] op_sel_hi:[1,1,0] neg_lo:[0,0,1] neg_hi:[0,0,1]
	v_mul_f32_e32 v6, v7, v0
	s_delay_alu instid0(VALU_DEP_3) | instskip(NEXT) | instid1(VALU_DEP_2)
	v_pk_add_f32 v[76:77], v[76:77], v[10:11] neg_lo:[0,1] neg_hi:[0,1]
	v_pk_fma_f32 v[4:5], v[4:5], v[24:25], v[6:7] op_sel_hi:[1,1,0]
	s_delay_alu instid0(VALU_DEP_1) | instskip(SKIP_4) | instid1(VALU_DEP_1)
	v_mov_b32_e32 v9, v5
	ds_load_2addr_b64 v[4:7], v216 offset0:21 offset1:22
	v_pk_add_f32 v[98:99], v[98:99], v[8:9] neg_lo:[0,1] neg_hi:[0,1]
	s_wait_dscnt 0x0
	v_pk_mul_f32 v[8:9], v[4:5], v[2:3] op_sel:[0,1]
	v_pk_fma_f32 v[10:11], v[4:5], v[0:1], v[8:9] op_sel:[0,0,1] op_sel_hi:[1,1,0] neg_lo:[0,0,1] neg_hi:[0,0,1]
	v_pk_fma_f32 v[4:5], v[4:5], v[0:1], v[8:9] op_sel:[0,0,1] op_sel_hi:[1,0,0]
	s_delay_alu instid0(VALU_DEP_1) | instskip(SKIP_1) | instid1(VALU_DEP_1)
	v_mov_b32_e32 v11, v5
	v_pk_mul_f32 v[4:5], v[6:7], v[2:3] op_sel:[0,1]
	v_pk_fma_f32 v[8:9], v[6:7], v[0:1], v[4:5] op_sel:[0,0,1] op_sel_hi:[1,1,0] neg_lo:[0,0,1] neg_hi:[0,0,1]
	v_pk_fma_f32 v[4:5], v[6:7], v[0:1], v[4:5] op_sel:[0,0,1] op_sel_hi:[1,0,0]
	s_delay_alu instid0(VALU_DEP_1)
	v_mov_b32_e32 v9, v5
	ds_load_2addr_b64 v[4:7], v216 offset0:23 offset1:24
	v_pk_add_f32 v[94:95], v[94:95], v[10:11] neg_lo:[0,1] neg_hi:[0,1]
	v_pk_add_f32 v[96:97], v[96:97], v[8:9] neg_lo:[0,1] neg_hi:[0,1]
	s_wait_dscnt 0x0
	v_pk_mul_f32 v[8:9], v[4:5], v[2:3] op_sel:[0,1]
	s_delay_alu instid0(VALU_DEP_1) | instskip(SKIP_1) | instid1(VALU_DEP_1)
	v_pk_fma_f32 v[10:11], v[4:5], v[0:1], v[8:9] op_sel:[0,0,1] op_sel_hi:[1,1,0] neg_lo:[0,0,1] neg_hi:[0,0,1]
	v_pk_fma_f32 v[4:5], v[4:5], v[0:1], v[8:9] op_sel:[0,0,1] op_sel_hi:[1,0,0]
	v_mov_b32_e32 v11, v5
	v_pk_mul_f32 v[4:5], v[6:7], v[2:3] op_sel:[0,1]
	s_delay_alu instid0(VALU_DEP_1) | instskip(SKIP_1) | instid1(VALU_DEP_1)
	v_pk_fma_f32 v[8:9], v[6:7], v[0:1], v[4:5] op_sel:[0,0,1] op_sel_hi:[1,1,0] neg_lo:[0,0,1] neg_hi:[0,0,1]
	v_pk_fma_f32 v[4:5], v[6:7], v[0:1], v[4:5] op_sel:[0,0,1] op_sel_hi:[1,0,0]
	v_mov_b32_e32 v9, v5
	ds_load_2addr_b64 v[4:7], v216 offset0:25 offset1:26
	v_pk_add_f32 v[92:93], v[92:93], v[10:11] neg_lo:[0,1] neg_hi:[0,1]
	v_pk_add_f32 v[114:115], v[114:115], v[8:9] neg_lo:[0,1] neg_hi:[0,1]
	s_wait_dscnt 0x0
	v_dual_mul_f32 v8, v5, v3 :: v_dual_mul_f32 v10, v5, v0
	s_delay_alu instid0(VALU_DEP_1) | instskip(NEXT) | instid1(VALU_DEP_2)
	v_pk_fma_f32 v[8:9], v[4:5], v[24:25], v[8:9] op_sel_hi:[1,1,0] neg_lo:[0,0,1] neg_hi:[0,0,1]
	v_pk_fma_f32 v[4:5], v[4:5], v[24:25], v[10:11] op_sel:[1,0,0] op_sel_hi:[0,1,0]
	s_delay_alu instid0(VALU_DEP_1) | instskip(SKIP_1) | instid1(VALU_DEP_2)
	v_mov_b32_e32 v9, v5
	v_pk_mul_f32 v[4:5], v[6:7], v[2:3] op_sel:[0,1]
	v_pk_add_f32 v[110:111], v[110:111], v[8:9] neg_lo:[0,1] neg_hi:[0,1]
	s_delay_alu instid0(VALU_DEP_2) | instskip(SKIP_1) | instid1(VALU_DEP_1)
	v_pk_fma_f32 v[8:9], v[6:7], v[0:1], v[4:5] op_sel:[0,0,1] op_sel_hi:[1,1,0] neg_lo:[0,0,1] neg_hi:[0,0,1]
	v_pk_fma_f32 v[4:5], v[6:7], v[0:1], v[4:5] op_sel:[0,0,1] op_sel_hi:[1,0,0]
	v_mov_b32_e32 v9, v5
	ds_load_2addr_b64 v[4:7], v216 offset0:27 offset1:28
	v_pk_add_f32 v[112:113], v[112:113], v[8:9] neg_lo:[0,1] neg_hi:[0,1]
	s_wait_dscnt 0x0
	v_pk_mul_f32 v[8:9], v[4:5], v[2:3] op_sel:[0,1]
	s_delay_alu instid0(VALU_DEP_1) | instskip(SKIP_1) | instid1(VALU_DEP_1)
	v_pk_fma_f32 v[10:11], v[4:5], v[0:1], v[8:9] op_sel:[0,0,1] op_sel_hi:[1,1,0] neg_lo:[0,0,1] neg_hi:[0,0,1]
	v_pk_fma_f32 v[4:5], v[4:5], v[0:1], v[8:9] op_sel:[0,0,1] op_sel_hi:[1,0,0]
	v_mov_b32_e32 v11, v5
	v_pk_mul_f32 v[4:5], v[6:7], v[2:3] op_sel:[0,1]
	s_delay_alu instid0(VALU_DEP_2) | instskip(NEXT) | instid1(VALU_DEP_2)
	v_pk_add_f32 v[108:109], v[108:109], v[10:11] neg_lo:[0,1] neg_hi:[0,1]
	v_pk_fma_f32 v[8:9], v[6:7], v[0:1], v[4:5] op_sel:[0,0,1] op_sel_hi:[1,1,0] neg_lo:[0,0,1] neg_hi:[0,0,1]
	v_pk_fma_f32 v[4:5], v[6:7], v[0:1], v[4:5] op_sel:[0,0,1] op_sel_hi:[1,0,0]
	s_delay_alu instid0(VALU_DEP_1) | instskip(SKIP_4) | instid1(VALU_DEP_1)
	v_mov_b32_e32 v9, v5
	ds_load_2addr_b64 v[4:7], v216 offset0:29 offset1:30
	v_pk_add_f32 v[130:131], v[130:131], v[8:9] neg_lo:[0,1] neg_hi:[0,1]
	s_wait_dscnt 0x0
	v_pk_mul_f32 v[8:9], v[4:5], v[2:3] op_sel:[0,1]
	v_pk_fma_f32 v[10:11], v[4:5], v[0:1], v[8:9] op_sel:[0,0,1] op_sel_hi:[1,1,0] neg_lo:[0,0,1] neg_hi:[0,0,1]
	v_pk_fma_f32 v[4:5], v[4:5], v[0:1], v[8:9] op_sel:[0,0,1] op_sel_hi:[1,0,0]
	v_dual_mul_f32 v8, v7, v3 :: v_dual_mov_b32 v4, v7
	s_delay_alu instid0(VALU_DEP_2) | instskip(NEXT) | instid1(VALU_DEP_2)
	v_dual_mov_b32 v11, v5 :: v_dual_mov_b32 v5, v6
	v_pk_fma_f32 v[8:9], v[6:7], v[24:25], v[8:9] op_sel_hi:[1,1,0] neg_lo:[0,0,1] neg_hi:[0,0,1]
	v_mul_f32_e32 v6, v7, v0
	s_delay_alu instid0(VALU_DEP_3) | instskip(NEXT) | instid1(VALU_DEP_2)
	v_pk_add_f32 v[126:127], v[126:127], v[10:11] neg_lo:[0,1] neg_hi:[0,1]
	v_pk_fma_f32 v[4:5], v[4:5], v[24:25], v[6:7] op_sel_hi:[1,1,0]
	s_delay_alu instid0(VALU_DEP_1) | instskip(SKIP_4) | instid1(VALU_DEP_1)
	v_mov_b32_e32 v9, v5
	ds_load_2addr_b64 v[4:7], v216 offset0:31 offset1:32
	v_pk_add_f32 v[128:129], v[128:129], v[8:9] neg_lo:[0,1] neg_hi:[0,1]
	s_wait_dscnt 0x0
	v_pk_mul_f32 v[8:9], v[4:5], v[2:3] op_sel:[0,1]
	v_pk_fma_f32 v[10:11], v[4:5], v[0:1], v[8:9] op_sel:[0,0,1] op_sel_hi:[1,1,0] neg_lo:[0,0,1] neg_hi:[0,0,1]
	v_pk_fma_f32 v[4:5], v[4:5], v[0:1], v[8:9] op_sel:[0,0,1] op_sel_hi:[1,0,0]
	s_delay_alu instid0(VALU_DEP_1) | instskip(SKIP_1) | instid1(VALU_DEP_1)
	v_mov_b32_e32 v11, v5
	v_pk_mul_f32 v[4:5], v[6:7], v[2:3] op_sel:[0,1]
	v_pk_fma_f32 v[8:9], v[6:7], v[0:1], v[4:5] op_sel:[0,0,1] op_sel_hi:[1,1,0] neg_lo:[0,0,1] neg_hi:[0,0,1]
	v_pk_fma_f32 v[4:5], v[6:7], v[0:1], v[4:5] op_sel:[0,0,1] op_sel_hi:[1,0,0]
	s_delay_alu instid0(VALU_DEP_1)
	v_mov_b32_e32 v9, v5
	ds_load_2addr_b64 v[4:7], v216 offset0:33 offset1:34
	v_pk_add_f32 v[124:125], v[124:125], v[10:11] neg_lo:[0,1] neg_hi:[0,1]
	v_pk_add_f32 v[146:147], v[146:147], v[8:9] neg_lo:[0,1] neg_hi:[0,1]
	s_wait_dscnt 0x0
	v_pk_mul_f32 v[8:9], v[4:5], v[2:3] op_sel:[0,1]
	s_delay_alu instid0(VALU_DEP_1) | instskip(SKIP_1) | instid1(VALU_DEP_1)
	v_pk_fma_f32 v[10:11], v[4:5], v[0:1], v[8:9] op_sel:[0,0,1] op_sel_hi:[1,1,0] neg_lo:[0,0,1] neg_hi:[0,0,1]
	v_pk_fma_f32 v[4:5], v[4:5], v[0:1], v[8:9] op_sel:[0,0,1] op_sel_hi:[1,0,0]
	v_mov_b32_e32 v11, v5
	v_pk_mul_f32 v[4:5], v[6:7], v[2:3] op_sel:[0,1]
	s_delay_alu instid0(VALU_DEP_1) | instskip(SKIP_1) | instid1(VALU_DEP_1)
	v_pk_fma_f32 v[8:9], v[6:7], v[0:1], v[4:5] op_sel:[0,0,1] op_sel_hi:[1,1,0] neg_lo:[0,0,1] neg_hi:[0,0,1]
	v_pk_fma_f32 v[4:5], v[6:7], v[0:1], v[4:5] op_sel:[0,0,1] op_sel_hi:[1,0,0]
	v_mov_b32_e32 v9, v5
	ds_load_2addr_b64 v[4:7], v216 offset0:35 offset1:36
	v_pk_add_f32 v[142:143], v[142:143], v[10:11] neg_lo:[0,1] neg_hi:[0,1]
	v_pk_add_f32 v[144:145], v[144:145], v[8:9] neg_lo:[0,1] neg_hi:[0,1]
	s_wait_dscnt 0x0
	v_dual_mul_f32 v8, v5, v3 :: v_dual_mul_f32 v10, v5, v0
	s_delay_alu instid0(VALU_DEP_1) | instskip(NEXT) | instid1(VALU_DEP_2)
	v_pk_fma_f32 v[8:9], v[4:5], v[24:25], v[8:9] op_sel_hi:[1,1,0] neg_lo:[0,0,1] neg_hi:[0,0,1]
	v_pk_fma_f32 v[4:5], v[4:5], v[24:25], v[10:11] op_sel:[1,0,0] op_sel_hi:[0,1,0]
	s_delay_alu instid0(VALU_DEP_1) | instskip(SKIP_1) | instid1(VALU_DEP_2)
	v_mov_b32_e32 v9, v5
	v_pk_mul_f32 v[4:5], v[6:7], v[2:3] op_sel:[0,1]
	v_pk_add_f32 v[140:141], v[140:141], v[8:9] neg_lo:[0,1] neg_hi:[0,1]
	s_delay_alu instid0(VALU_DEP_2) | instskip(SKIP_1) | instid1(VALU_DEP_1)
	v_pk_fma_f32 v[8:9], v[6:7], v[0:1], v[4:5] op_sel:[0,0,1] op_sel_hi:[1,1,0] neg_lo:[0,0,1] neg_hi:[0,0,1]
	v_pk_fma_f32 v[4:5], v[6:7], v[0:1], v[4:5] op_sel:[0,0,1] op_sel_hi:[1,0,0]
	v_mov_b32_e32 v9, v5
	ds_load_2addr_b64 v[4:7], v216 offset0:37 offset1:38
	v_pk_add_f32 v[162:163], v[162:163], v[8:9] neg_lo:[0,1] neg_hi:[0,1]
	s_wait_dscnt 0x0
	v_pk_mul_f32 v[8:9], v[4:5], v[2:3] op_sel:[0,1]
	s_delay_alu instid0(VALU_DEP_1) | instskip(SKIP_1) | instid1(VALU_DEP_1)
	v_pk_fma_f32 v[10:11], v[4:5], v[0:1], v[8:9] op_sel:[0,0,1] op_sel_hi:[1,1,0] neg_lo:[0,0,1] neg_hi:[0,0,1]
	v_pk_fma_f32 v[4:5], v[4:5], v[0:1], v[8:9] op_sel:[0,0,1] op_sel_hi:[1,0,0]
	v_mov_b32_e32 v11, v5
	v_pk_mul_f32 v[4:5], v[6:7], v[2:3] op_sel:[0,1]
	s_delay_alu instid0(VALU_DEP_2) | instskip(NEXT) | instid1(VALU_DEP_2)
	v_pk_add_f32 v[158:159], v[158:159], v[10:11] neg_lo:[0,1] neg_hi:[0,1]
	v_pk_fma_f32 v[8:9], v[6:7], v[0:1], v[4:5] op_sel:[0,0,1] op_sel_hi:[1,1,0] neg_lo:[0,0,1] neg_hi:[0,0,1]
	v_pk_fma_f32 v[4:5], v[6:7], v[0:1], v[4:5] op_sel:[0,0,1] op_sel_hi:[1,0,0]
	s_delay_alu instid0(VALU_DEP_1) | instskip(SKIP_4) | instid1(VALU_DEP_1)
	v_mov_b32_e32 v9, v5
	ds_load_2addr_b64 v[4:7], v216 offset0:39 offset1:40
	v_pk_add_f32 v[160:161], v[160:161], v[8:9] neg_lo:[0,1] neg_hi:[0,1]
	s_wait_dscnt 0x0
	v_pk_mul_f32 v[8:9], v[4:5], v[2:3] op_sel:[0,1]
	v_pk_fma_f32 v[10:11], v[4:5], v[0:1], v[8:9] op_sel:[0,0,1] op_sel_hi:[1,1,0] neg_lo:[0,0,1] neg_hi:[0,0,1]
	v_pk_fma_f32 v[4:5], v[4:5], v[0:1], v[8:9] op_sel:[0,0,1] op_sel_hi:[1,0,0]
	v_dual_mul_f32 v8, v7, v3 :: v_dual_mov_b32 v4, v7
	s_delay_alu instid0(VALU_DEP_2) | instskip(NEXT) | instid1(VALU_DEP_2)
	v_dual_mov_b32 v11, v5 :: v_dual_mov_b32 v5, v6
	v_pk_fma_f32 v[8:9], v[6:7], v[24:25], v[8:9] op_sel_hi:[1,1,0] neg_lo:[0,0,1] neg_hi:[0,0,1]
	v_mul_f32_e32 v6, v7, v0
	s_delay_alu instid0(VALU_DEP_3) | instskip(NEXT) | instid1(VALU_DEP_2)
	v_pk_add_f32 v[156:157], v[156:157], v[10:11] neg_lo:[0,1] neg_hi:[0,1]
	v_pk_fma_f32 v[4:5], v[4:5], v[24:25], v[6:7] op_sel_hi:[1,1,0]
	s_delay_alu instid0(VALU_DEP_1) | instskip(SKIP_4) | instid1(VALU_DEP_1)
	v_mov_b32_e32 v9, v5
	ds_load_2addr_b64 v[4:7], v216 offset0:41 offset1:42
	v_pk_add_f32 v[178:179], v[178:179], v[8:9] neg_lo:[0,1] neg_hi:[0,1]
	s_wait_dscnt 0x0
	v_pk_mul_f32 v[8:9], v[4:5], v[2:3] op_sel:[0,1]
	v_pk_fma_f32 v[10:11], v[4:5], v[0:1], v[8:9] op_sel:[0,0,1] op_sel_hi:[1,1,0] neg_lo:[0,0,1] neg_hi:[0,0,1]
	v_pk_fma_f32 v[4:5], v[4:5], v[0:1], v[8:9] op_sel:[0,0,1] op_sel_hi:[1,0,0]
	s_delay_alu instid0(VALU_DEP_1) | instskip(SKIP_1) | instid1(VALU_DEP_1)
	v_mov_b32_e32 v11, v5
	v_pk_mul_f32 v[4:5], v[6:7], v[2:3] op_sel:[0,1]
	v_pk_fma_f32 v[8:9], v[6:7], v[0:1], v[4:5] op_sel:[0,0,1] op_sel_hi:[1,1,0] neg_lo:[0,0,1] neg_hi:[0,0,1]
	v_pk_fma_f32 v[4:5], v[6:7], v[0:1], v[4:5] op_sel:[0,0,1] op_sel_hi:[1,0,0]
	s_delay_alu instid0(VALU_DEP_1)
	v_mov_b32_e32 v9, v5
	ds_load_2addr_b64 v[4:7], v216 offset0:43 offset1:44
	v_pk_add_f32 v[174:175], v[174:175], v[10:11] neg_lo:[0,1] neg_hi:[0,1]
	v_pk_add_f32 v[176:177], v[176:177], v[8:9] neg_lo:[0,1] neg_hi:[0,1]
	s_wait_dscnt 0x0
	v_pk_mul_f32 v[8:9], v[4:5], v[2:3] op_sel:[0,1]
	s_delay_alu instid0(VALU_DEP_1) | instskip(SKIP_1) | instid1(VALU_DEP_1)
	v_pk_fma_f32 v[10:11], v[4:5], v[0:1], v[8:9] op_sel:[0,0,1] op_sel_hi:[1,1,0] neg_lo:[0,0,1] neg_hi:[0,0,1]
	v_pk_fma_f32 v[4:5], v[4:5], v[0:1], v[8:9] op_sel:[0,0,1] op_sel_hi:[1,0,0]
	v_mov_b32_e32 v11, v5
	v_pk_mul_f32 v[4:5], v[6:7], v[2:3] op_sel:[0,1]
	s_delay_alu instid0(VALU_DEP_1) | instskip(SKIP_1) | instid1(VALU_DEP_1)
	v_pk_fma_f32 v[8:9], v[6:7], v[0:1], v[4:5] op_sel:[0,0,1] op_sel_hi:[1,1,0] neg_lo:[0,0,1] neg_hi:[0,0,1]
	v_pk_fma_f32 v[4:5], v[6:7], v[0:1], v[4:5] op_sel:[0,0,1] op_sel_hi:[1,0,0]
	v_mov_b32_e32 v9, v5
	ds_load_2addr_b64 v[4:7], v216 offset0:45 offset1:46
	v_pk_add_f32 v[172:173], v[172:173], v[10:11] neg_lo:[0,1] neg_hi:[0,1]
	v_pk_add_f32 v[194:195], v[194:195], v[8:9] neg_lo:[0,1] neg_hi:[0,1]
	s_wait_dscnt 0x0
	v_dual_mul_f32 v8, v5, v3 :: v_dual_mul_f32 v10, v5, v0
	s_delay_alu instid0(VALU_DEP_1) | instskip(NEXT) | instid1(VALU_DEP_2)
	v_pk_fma_f32 v[8:9], v[4:5], v[24:25], v[8:9] op_sel_hi:[1,1,0] neg_lo:[0,0,1] neg_hi:[0,0,1]
	v_pk_fma_f32 v[4:5], v[4:5], v[24:25], v[10:11] op_sel:[1,0,0] op_sel_hi:[0,1,0]
	s_delay_alu instid0(VALU_DEP_1) | instskip(SKIP_1) | instid1(VALU_DEP_2)
	v_mov_b32_e32 v9, v5
	v_pk_mul_f32 v[4:5], v[6:7], v[2:3] op_sel:[0,1]
	v_pk_add_f32 v[190:191], v[190:191], v[8:9] neg_lo:[0,1] neg_hi:[0,1]
	s_delay_alu instid0(VALU_DEP_2) | instskip(SKIP_1) | instid1(VALU_DEP_1)
	v_pk_fma_f32 v[8:9], v[6:7], v[0:1], v[4:5] op_sel:[0,0,1] op_sel_hi:[1,1,0] neg_lo:[0,0,1] neg_hi:[0,0,1]
	v_pk_fma_f32 v[4:5], v[6:7], v[0:1], v[4:5] op_sel:[0,0,1] op_sel_hi:[1,0,0]
	v_mov_b32_e32 v9, v5
	ds_load_2addr_b64 v[4:7], v216 offset0:47 offset1:48
	v_pk_add_f32 v[192:193], v[192:193], v[8:9] neg_lo:[0,1] neg_hi:[0,1]
	s_wait_dscnt 0x0
	v_pk_mul_f32 v[8:9], v[4:5], v[2:3] op_sel:[0,1]
	s_delay_alu instid0(VALU_DEP_1) | instskip(SKIP_1) | instid1(VALU_DEP_1)
	v_pk_fma_f32 v[10:11], v[4:5], v[0:1], v[8:9] op_sel:[0,0,1] op_sel_hi:[1,1,0] neg_lo:[0,0,1] neg_hi:[0,0,1]
	v_pk_fma_f32 v[4:5], v[4:5], v[0:1], v[8:9] op_sel:[0,0,1] op_sel_hi:[1,0,0]
	v_mov_b32_e32 v11, v5
	v_pk_mul_f32 v[4:5], v[6:7], v[2:3] op_sel:[0,1]
	s_delay_alu instid0(VALU_DEP_2) | instskip(NEXT) | instid1(VALU_DEP_2)
	v_pk_add_f32 v[188:189], v[188:189], v[10:11] neg_lo:[0,1] neg_hi:[0,1]
	v_pk_fma_f32 v[8:9], v[6:7], v[0:1], v[4:5] op_sel:[0,0,1] op_sel_hi:[1,1,0] neg_lo:[0,0,1] neg_hi:[0,0,1]
	v_pk_fma_f32 v[4:5], v[6:7], v[0:1], v[4:5] op_sel:[0,0,1] op_sel_hi:[1,0,0]
	s_delay_alu instid0(VALU_DEP_1) | instskip(SKIP_4) | instid1(VALU_DEP_1)
	v_mov_b32_e32 v9, v5
	ds_load_2addr_b64 v[4:7], v216 offset0:49 offset1:50
	v_pk_add_f32 v[214:215], v[214:215], v[8:9] neg_lo:[0,1] neg_hi:[0,1]
	s_wait_dscnt 0x0
	v_pk_mul_f32 v[8:9], v[4:5], v[2:3] op_sel:[0,1]
	v_pk_fma_f32 v[10:11], v[4:5], v[0:1], v[8:9] op_sel:[0,0,1] op_sel_hi:[1,1,0] neg_lo:[0,0,1] neg_hi:[0,0,1]
	v_pk_fma_f32 v[4:5], v[4:5], v[0:1], v[8:9] op_sel:[0,0,1] op_sel_hi:[1,0,0]
	v_dual_mul_f32 v8, v7, v3 :: v_dual_mov_b32 v4, v7
	s_delay_alu instid0(VALU_DEP_2) | instskip(NEXT) | instid1(VALU_DEP_2)
	v_dual_mov_b32 v11, v5 :: v_dual_mov_b32 v5, v6
	v_pk_fma_f32 v[8:9], v[6:7], v[24:25], v[8:9] op_sel_hi:[1,1,0] neg_lo:[0,0,1] neg_hi:[0,0,1]
	v_mul_f32_e32 v6, v7, v0
	s_delay_alu instid0(VALU_DEP_3) | instskip(NEXT) | instid1(VALU_DEP_2)
	v_pk_add_f32 v[210:211], v[210:211], v[10:11] neg_lo:[0,1] neg_hi:[0,1]
	v_pk_fma_f32 v[4:5], v[4:5], v[24:25], v[6:7] op_sel_hi:[1,1,0]
	s_delay_alu instid0(VALU_DEP_1) | instskip(SKIP_4) | instid1(VALU_DEP_1)
	v_mov_b32_e32 v9, v5
	ds_load_2addr_b64 v[4:7], v216 offset0:51 offset1:52
	v_pk_add_f32 v[212:213], v[212:213], v[8:9] neg_lo:[0,1] neg_hi:[0,1]
	s_wait_dscnt 0x0
	v_pk_mul_f32 v[8:9], v[4:5], v[2:3] op_sel:[0,1]
	v_pk_fma_f32 v[10:11], v[4:5], v[0:1], v[8:9] op_sel:[0,0,1] op_sel_hi:[1,1,0] neg_lo:[0,0,1] neg_hi:[0,0,1]
	v_pk_fma_f32 v[4:5], v[4:5], v[0:1], v[8:9] op_sel:[0,0,1] op_sel_hi:[1,0,0]
	s_delay_alu instid0(VALU_DEP_1) | instskip(SKIP_1) | instid1(VALU_DEP_1)
	v_mov_b32_e32 v11, v5
	v_pk_mul_f32 v[4:5], v[6:7], v[2:3] op_sel:[0,1]
	v_pk_fma_f32 v[8:9], v[6:7], v[0:1], v[4:5] op_sel:[0,0,1] op_sel_hi:[1,1,0] neg_lo:[0,0,1] neg_hi:[0,0,1]
	v_pk_fma_f32 v[4:5], v[6:7], v[0:1], v[4:5] op_sel:[0,0,1] op_sel_hi:[1,0,0]
	s_delay_alu instid0(VALU_DEP_1)
	v_mov_b32_e32 v9, v5
	ds_load_2addr_b64 v[4:7], v216 offset0:53 offset1:54
	v_pk_add_f32 v[208:209], v[208:209], v[10:11] neg_lo:[0,1] neg_hi:[0,1]
	v_pk_add_f32 v[236:237], v[236:237], v[8:9] neg_lo:[0,1] neg_hi:[0,1]
	s_wait_dscnt 0x0
	v_pk_mul_f32 v[8:9], v[4:5], v[2:3] op_sel:[0,1]
	s_delay_alu instid0(VALU_DEP_1) | instskip(SKIP_1) | instid1(VALU_DEP_1)
	v_pk_fma_f32 v[10:11], v[4:5], v[0:1], v[8:9] op_sel:[0,0,1] op_sel_hi:[1,1,0] neg_lo:[0,0,1] neg_hi:[0,0,1]
	v_pk_fma_f32 v[4:5], v[4:5], v[0:1], v[8:9] op_sel:[0,0,1] op_sel_hi:[1,0,0]
	v_mov_b32_e32 v11, v5
	v_pk_mul_f32 v[4:5], v[6:7], v[2:3] op_sel:[0,1]
	s_delay_alu instid0(VALU_DEP_1) | instskip(SKIP_1) | instid1(VALU_DEP_1)
	v_pk_fma_f32 v[8:9], v[6:7], v[0:1], v[4:5] op_sel:[0,0,1] op_sel_hi:[1,1,0] neg_lo:[0,0,1] neg_hi:[0,0,1]
	v_pk_fma_f32 v[4:5], v[6:7], v[0:1], v[4:5] op_sel:[0,0,1] op_sel_hi:[1,0,0]
	v_mov_b32_e32 v9, v5
	ds_load_2addr_b64 v[4:7], v216 offset0:55 offset1:56
	v_pk_add_f32 v[230:231], v[230:231], v[10:11] neg_lo:[0,1] neg_hi:[0,1]
	v_pk_add_f32 v[234:235], v[234:235], v[8:9] neg_lo:[0,1] neg_hi:[0,1]
	s_wait_dscnt 0x0
	v_dual_mul_f32 v8, v5, v3 :: v_dual_mul_f32 v10, v5, v0
	s_delay_alu instid0(VALU_DEP_1) | instskip(NEXT) | instid1(VALU_DEP_2)
	v_pk_fma_f32 v[8:9], v[4:5], v[24:25], v[8:9] op_sel_hi:[1,1,0] neg_lo:[0,0,1] neg_hi:[0,0,1]
	v_pk_fma_f32 v[4:5], v[4:5], v[24:25], v[10:11] op_sel:[1,0,0] op_sel_hi:[0,1,0]
	s_delay_alu instid0(VALU_DEP_1) | instskip(SKIP_1) | instid1(VALU_DEP_2)
	v_mov_b32_e32 v9, v5
	v_pk_mul_f32 v[4:5], v[6:7], v[2:3] op_sel:[0,1]
	v_pk_add_f32 v[228:229], v[228:229], v[8:9] neg_lo:[0,1] neg_hi:[0,1]
	s_delay_alu instid0(VALU_DEP_2) | instskip(SKIP_1) | instid1(VALU_DEP_1)
	v_pk_fma_f32 v[8:9], v[6:7], v[0:1], v[4:5] op_sel:[0,0,1] op_sel_hi:[1,1,0] neg_lo:[0,0,1] neg_hi:[0,0,1]
	v_pk_fma_f32 v[4:5], v[6:7], v[0:1], v[4:5] op_sel:[0,0,1] op_sel_hi:[1,0,0]
	v_mov_b32_e32 v9, v5
	ds_load_2addr_b64 v[4:7], v216 offset0:57 offset1:58
	v_pk_add_f32 v[232:233], v[232:233], v[8:9] neg_lo:[0,1] neg_hi:[0,1]
	s_wait_dscnt 0x0
	v_pk_mul_f32 v[8:9], v[4:5], v[2:3] op_sel:[0,1]
	s_delay_alu instid0(VALU_DEP_1) | instskip(SKIP_1) | instid1(VALU_DEP_1)
	v_pk_fma_f32 v[10:11], v[4:5], v[0:1], v[8:9] op_sel:[0,0,1] op_sel_hi:[1,1,0] neg_lo:[0,0,1] neg_hi:[0,0,1]
	v_pk_fma_f32 v[4:5], v[4:5], v[0:1], v[8:9] op_sel:[0,0,1] op_sel_hi:[1,0,0]
	v_mov_b32_e32 v11, v5
	v_pk_mul_f32 v[4:5], v[6:7], v[2:3] op_sel:[0,1]
	s_delay_alu instid0(VALU_DEP_2) | instskip(NEXT) | instid1(VALU_DEP_2)
	v_pk_add_f32 v[226:227], v[226:227], v[10:11] neg_lo:[0,1] neg_hi:[0,1]
	v_pk_fma_f32 v[8:9], v[6:7], v[0:1], v[4:5] op_sel:[0,0,1] op_sel_hi:[1,1,0] neg_lo:[0,0,1] neg_hi:[0,0,1]
	v_pk_fma_f32 v[4:5], v[6:7], v[0:1], v[4:5] op_sel:[0,0,1] op_sel_hi:[1,0,0]
	s_delay_alu instid0(VALU_DEP_1) | instskip(SKIP_4) | instid1(VALU_DEP_1)
	v_mov_b32_e32 v9, v5
	ds_load_b64 v[4:5], v216 offset:472
	v_pk_add_f32 v[238:239], v[238:239], v[8:9] neg_lo:[0,1] neg_hi:[0,1]
	s_wait_dscnt 0x0
	v_pk_mul_f32 v[2:3], v[4:5], v[2:3] op_sel:[0,1]
	v_pk_fma_f32 v[6:7], v[4:5], v[0:1], v[2:3] op_sel:[0,0,1] op_sel_hi:[1,1,0] neg_lo:[0,0,1] neg_hi:[0,0,1]
	v_pk_fma_f32 v[0:1], v[4:5], v[0:1], v[2:3] op_sel:[0,0,1] op_sel_hi:[1,0,0]
	s_delay_alu instid0(VALU_DEP_1) | instskip(NEXT) | instid1(VALU_DEP_1)
	v_mov_b32_e32 v7, v1
	v_pk_add_f32 v[240:241], v[240:241], v[6:7] neg_lo:[0,1] neg_hi:[0,1]
.LBB119_64:
	s_wait_xcnt 0x0
	s_or_b32 exec_lo, exec_lo, s1
	s_delay_alu instid0(SALU_CYCLE_1)
	s_mov_b32 s2, exec_lo
	s_wait_storecnt 0x0
	s_barrier_signal -1
	s_barrier_wait -1
	v_cmpx_eq_u32_e32 7, v206
	s_cbranch_execz .LBB119_71
; %bb.65:
	v_dual_mov_b32 v0, v40 :: v_dual_mov_b32 v1, v41
	v_dual_mov_b32 v2, v36 :: v_dual_mov_b32 v3, v37
	ds_store_b64 v207, v[20:21]
	ds_store_2addr_b64 v216, v[0:1], v[2:3] offset0:8 offset1:9
	v_dual_mov_b32 v0, v38 :: v_dual_mov_b32 v1, v39
	v_dual_mov_b32 v2, v34 :: v_dual_mov_b32 v3, v35
	ds_store_2addr_b64 v216, v[0:1], v[2:3] offset0:10 offset1:11
	v_dual_mov_b32 v0, v66 :: v_dual_mov_b32 v1, v67
	v_dual_mov_b32 v2, v62 :: v_dual_mov_b32 v3, v63
	;; [unrolled: 3-line block ×24, first 2 shown]
	ds_store_2addr_b64 v216, v[0:1], v[2:3] offset0:56 offset1:57
	v_dual_mov_b32 v0, v238 :: v_dual_mov_b32 v1, v239
	ds_store_2addr_b64 v216, v[0:1], v[240:241] offset0:58 offset1:59
	ds_load_b64 v[0:1], v207
	s_wait_dscnt 0x0
	v_cmp_neq_f32_e32 vcc_lo, 0, v0
	v_cmp_neq_f32_e64 s1, 0, v1
	s_or_b32 s1, vcc_lo, s1
	s_delay_alu instid0(SALU_CYCLE_1)
	s_and_b32 exec_lo, exec_lo, s1
	s_cbranch_execz .LBB119_71
; %bb.66:
	v_cmp_ngt_f32_e64 s1, |v0|, |v1|
                                        ; implicit-def: $vgpr2_vgpr3
	s_and_saveexec_b32 s4, s1
	s_delay_alu instid0(SALU_CYCLE_1)
	s_xor_b32 s1, exec_lo, s4
	s_cbranch_execz .LBB119_68
; %bb.67:
	v_div_scale_f32 v2, null, v1, v1, v0
	v_div_scale_f32 v5, vcc_lo, v0, v1, v0
	s_delay_alu instid0(VALU_DEP_2) | instskip(SKIP_1) | instid1(TRANS32_DEP_1)
	v_rcp_f32_e32 v3, v2
	v_nop
	v_fma_f32 v4, -v2, v3, 1.0
	s_delay_alu instid0(VALU_DEP_1) | instskip(NEXT) | instid1(VALU_DEP_1)
	v_fmac_f32_e32 v3, v4, v3
	v_mul_f32_e32 v4, v5, v3
	s_delay_alu instid0(VALU_DEP_1) | instskip(NEXT) | instid1(VALU_DEP_1)
	v_fma_f32 v6, -v2, v4, v5
	v_fmac_f32_e32 v4, v6, v3
	s_delay_alu instid0(VALU_DEP_1) | instskip(NEXT) | instid1(VALU_DEP_1)
	v_fma_f32 v2, -v2, v4, v5
	v_div_fmas_f32 v2, v2, v3, v4
	s_delay_alu instid0(VALU_DEP_1) | instskip(NEXT) | instid1(VALU_DEP_1)
	v_div_fixup_f32 v2, v2, v1, v0
	v_fmac_f32_e32 v1, v0, v2
	s_delay_alu instid0(VALU_DEP_1) | instskip(SKIP_1) | instid1(VALU_DEP_2)
	v_div_scale_f32 v0, null, v1, v1, 1.0
	v_div_scale_f32 v5, vcc_lo, 1.0, v1, 1.0
	v_rcp_f32_e32 v3, v0
	v_nop
	s_delay_alu instid0(TRANS32_DEP_1) | instskip(NEXT) | instid1(VALU_DEP_1)
	v_fma_f32 v4, -v0, v3, 1.0
	v_fmac_f32_e32 v3, v4, v3
	s_delay_alu instid0(VALU_DEP_1) | instskip(NEXT) | instid1(VALU_DEP_1)
	v_mul_f32_e32 v4, v5, v3
	v_fma_f32 v6, -v0, v4, v5
	s_delay_alu instid0(VALU_DEP_1) | instskip(NEXT) | instid1(VALU_DEP_1)
	v_fmac_f32_e32 v4, v6, v3
	v_fma_f32 v0, -v0, v4, v5
	s_delay_alu instid0(VALU_DEP_1) | instskip(NEXT) | instid1(VALU_DEP_1)
	v_div_fmas_f32 v0, v0, v3, v4
	v_div_fixup_f32 v0, v0, v1, 1.0
	s_delay_alu instid0(VALU_DEP_1)
	v_mul_f32_e32 v2, v2, v0
	v_xor_b32_e32 v3, 0x80000000, v0
                                        ; implicit-def: $vgpr0_vgpr1
.LBB119_68:
	s_and_not1_saveexec_b32 s1, s1
	s_cbranch_execz .LBB119_70
; %bb.69:
	v_div_scale_f32 v2, null, v0, v0, v1
	v_div_scale_f32 v5, vcc_lo, v1, v0, v1
	s_delay_alu instid0(VALU_DEP_2) | instskip(SKIP_1) | instid1(TRANS32_DEP_1)
	v_rcp_f32_e32 v3, v2
	v_nop
	v_fma_f32 v4, -v2, v3, 1.0
	s_delay_alu instid0(VALU_DEP_1) | instskip(NEXT) | instid1(VALU_DEP_1)
	v_fmac_f32_e32 v3, v4, v3
	v_mul_f32_e32 v4, v5, v3
	s_delay_alu instid0(VALU_DEP_1) | instskip(NEXT) | instid1(VALU_DEP_1)
	v_fma_f32 v6, -v2, v4, v5
	v_fmac_f32_e32 v4, v6, v3
	s_delay_alu instid0(VALU_DEP_1) | instskip(NEXT) | instid1(VALU_DEP_1)
	v_fma_f32 v2, -v2, v4, v5
	v_div_fmas_f32 v2, v2, v3, v4
	s_delay_alu instid0(VALU_DEP_1) | instskip(NEXT) | instid1(VALU_DEP_1)
	v_div_fixup_f32 v3, v2, v0, v1
	v_fmac_f32_e32 v0, v1, v3
	s_delay_alu instid0(VALU_DEP_1) | instskip(NEXT) | instid1(VALU_DEP_1)
	v_div_scale_f32 v1, null, v0, v0, 1.0
	v_rcp_f32_e32 v2, v1
	v_nop
	s_delay_alu instid0(TRANS32_DEP_1) | instskip(NEXT) | instid1(VALU_DEP_1)
	v_fma_f32 v4, -v1, v2, 1.0
	v_fmac_f32_e32 v2, v4, v2
	v_div_scale_f32 v4, vcc_lo, 1.0, v0, 1.0
	s_delay_alu instid0(VALU_DEP_1) | instskip(NEXT) | instid1(VALU_DEP_1)
	v_mul_f32_e32 v5, v4, v2
	v_fma_f32 v6, -v1, v5, v4
	s_delay_alu instid0(VALU_DEP_1) | instskip(NEXT) | instid1(VALU_DEP_1)
	v_fmac_f32_e32 v5, v6, v2
	v_fma_f32 v1, -v1, v5, v4
	s_delay_alu instid0(VALU_DEP_1) | instskip(NEXT) | instid1(VALU_DEP_1)
	v_div_fmas_f32 v1, v1, v2, v5
	v_div_fixup_f32 v2, v1, v0, 1.0
	s_delay_alu instid0(VALU_DEP_1)
	v_mul_f32_e64 v3, v3, -v2
.LBB119_70:
	s_or_b32 exec_lo, exec_lo, s1
	ds_store_b64 v207, v[2:3]
.LBB119_71:
	s_or_b32 exec_lo, exec_lo, s2
	s_wait_dscnt 0x0
	s_barrier_signal -1
	s_barrier_wait -1
	ds_load_b64 v[0:1], v207
	s_mov_b32 s1, exec_lo
	s_wait_dscnt 0x0
	scratch_store_b64 off, v[0:1], off offset:464 ; 8-byte Folded Spill
	s_wait_xcnt 0x0
	v_cmpx_lt_u32_e32 7, v206
	s_cbranch_execz .LBB119_73
; %bb.72:
	scratch_load_b64 v[0:1], off, off offset:464 ; 8-byte Folded Reload
	ds_load_2addr_b64 v[6:9], v216 offset0:8 offset1:9
	s_wait_loadcnt 0x0
	v_pk_mul_f32 v[4:5], v[0:1], v[20:21] op_sel:[1,1] op_sel_hi:[0,1]
	s_delay_alu instid0(VALU_DEP_1) | instskip(SKIP_1) | instid1(VALU_DEP_1)
	v_pk_fma_f32 v[2:3], v[0:1], v[20:21], v[4:5] op_sel_hi:[1,0,1] neg_lo:[0,0,1] neg_hi:[0,0,1]
	v_pk_fma_f32 v[4:5], v[0:1], v[20:21], v[4:5] op_sel_hi:[1,0,1]
	v_dual_mov_b32 v20, v2 :: v_dual_mov_b32 v21, v5
	s_wait_dscnt 0x0
	s_delay_alu instid0(VALU_DEP_2) | instskip(NEXT) | instid1(VALU_DEP_1)
	v_pk_mul_f32 v[10:11], v[6:7], v[4:5] op_sel:[0,1]
	v_pk_fma_f32 v[12:13], v[6:7], v[2:3], v[10:11] op_sel:[0,0,1] op_sel_hi:[1,1,0] neg_lo:[0,0,1] neg_hi:[0,0,1]
	v_pk_fma_f32 v[6:7], v[6:7], v[2:3], v[10:11] op_sel:[0,0,1] op_sel_hi:[1,0,0]
	s_delay_alu instid0(VALU_DEP_1) | instskip(SKIP_1) | instid1(VALU_DEP_1)
	v_mov_b32_e32 v13, v7
	v_pk_mul_f32 v[6:7], v[8:9], v[4:5] op_sel:[0,1]
	v_pk_fma_f32 v[10:11], v[8:9], v[2:3], v[6:7] op_sel:[0,0,1] op_sel_hi:[1,1,0] neg_lo:[0,0,1] neg_hi:[0,0,1]
	v_pk_fma_f32 v[6:7], v[8:9], v[2:3], v[6:7] op_sel:[0,0,1] op_sel_hi:[1,0,0]
	s_delay_alu instid0(VALU_DEP_1)
	v_mov_b32_e32 v11, v7
	ds_load_2addr_b64 v[6:9], v216 offset0:10 offset1:11
	v_pk_add_f32 v[40:41], v[40:41], v[12:13] neg_lo:[0,1] neg_hi:[0,1]
	v_pk_add_f32 v[36:37], v[36:37], v[10:11] neg_lo:[0,1] neg_hi:[0,1]
	s_wait_dscnt 0x0
	v_pk_mul_f32 v[10:11], v[6:7], v[4:5] op_sel:[0,1]
	s_delay_alu instid0(VALU_DEP_1) | instskip(SKIP_2) | instid1(VALU_DEP_2)
	v_pk_fma_f32 v[12:13], v[6:7], v[2:3], v[10:11] op_sel:[0,0,1] op_sel_hi:[1,1,0] neg_lo:[0,0,1] neg_hi:[0,0,1]
	v_pk_fma_f32 v[6:7], v[6:7], v[2:3], v[10:11] op_sel:[0,0,1] op_sel_hi:[1,0,0]
	v_dual_mul_f32 v10, v9, v5 :: v_dual_mov_b32 v6, v9
	v_dual_mov_b32 v13, v7 :: v_dual_mov_b32 v7, v8
	s_delay_alu instid0(VALU_DEP_2) | instskip(SKIP_1) | instid1(VALU_DEP_3)
	v_pk_fma_f32 v[10:11], v[8:9], v[20:21], v[10:11] op_sel_hi:[1,1,0] neg_lo:[0,0,1] neg_hi:[0,0,1]
	v_mul_f32_e32 v8, v9, v2
	v_pk_add_f32 v[38:39], v[38:39], v[12:13] neg_lo:[0,1] neg_hi:[0,1]
	s_delay_alu instid0(VALU_DEP_2) | instskip(NEXT) | instid1(VALU_DEP_1)
	v_pk_fma_f32 v[6:7], v[6:7], v[20:21], v[8:9] op_sel_hi:[1,1,0]
	v_mov_b32_e32 v11, v7
	ds_load_2addr_b64 v[6:9], v216 offset0:12 offset1:13
	v_pk_add_f32 v[34:35], v[34:35], v[10:11] neg_lo:[0,1] neg_hi:[0,1]
	s_wait_dscnt 0x0
	v_pk_mul_f32 v[10:11], v[6:7], v[4:5] op_sel:[0,1]
	s_delay_alu instid0(VALU_DEP_1) | instskip(SKIP_1) | instid1(VALU_DEP_1)
	v_pk_fma_f32 v[12:13], v[6:7], v[2:3], v[10:11] op_sel:[0,0,1] op_sel_hi:[1,1,0] neg_lo:[0,0,1] neg_hi:[0,0,1]
	v_pk_fma_f32 v[6:7], v[6:7], v[2:3], v[10:11] op_sel:[0,0,1] op_sel_hi:[1,0,0]
	v_mov_b32_e32 v13, v7
	v_pk_mul_f32 v[6:7], v[8:9], v[4:5] op_sel:[0,1]
	s_delay_alu instid0(VALU_DEP_1) | instskip(SKIP_1) | instid1(VALU_DEP_1)
	v_pk_fma_f32 v[10:11], v[8:9], v[2:3], v[6:7] op_sel:[0,0,1] op_sel_hi:[1,1,0] neg_lo:[0,0,1] neg_hi:[0,0,1]
	v_pk_fma_f32 v[6:7], v[8:9], v[2:3], v[6:7] op_sel:[0,0,1] op_sel_hi:[1,0,0]
	v_mov_b32_e32 v11, v7
	ds_load_2addr_b64 v[6:9], v216 offset0:14 offset1:15
	v_pk_add_f32 v[66:67], v[66:67], v[12:13] neg_lo:[0,1] neg_hi:[0,1]
	v_pk_add_f32 v[62:63], v[62:63], v[10:11] neg_lo:[0,1] neg_hi:[0,1]
	s_wait_dscnt 0x0
	v_pk_mul_f32 v[10:11], v[6:7], v[4:5] op_sel:[0,1]
	s_delay_alu instid0(VALU_DEP_1) | instskip(SKIP_1) | instid1(VALU_DEP_1)
	v_pk_fma_f32 v[12:13], v[6:7], v[2:3], v[10:11] op_sel:[0,0,1] op_sel_hi:[1,1,0] neg_lo:[0,0,1] neg_hi:[0,0,1]
	v_pk_fma_f32 v[6:7], v[6:7], v[2:3], v[10:11] op_sel:[0,0,1] op_sel_hi:[1,0,0]
	v_mov_b32_e32 v13, v7
	v_pk_mul_f32 v[6:7], v[8:9], v[4:5] op_sel:[0,1]
	s_delay_alu instid0(VALU_DEP_1) | instskip(SKIP_1) | instid1(VALU_DEP_1)
	v_pk_fma_f32 v[10:11], v[8:9], v[2:3], v[6:7] op_sel:[0,0,1] op_sel_hi:[1,1,0] neg_lo:[0,0,1] neg_hi:[0,0,1]
	v_pk_fma_f32 v[6:7], v[8:9], v[2:3], v[6:7] op_sel:[0,0,1] op_sel_hi:[1,0,0]
	v_mov_b32_e32 v11, v7
	ds_load_2addr_b64 v[6:9], v216 offset0:16 offset1:17
	v_pk_add_f32 v[64:65], v[64:65], v[12:13] neg_lo:[0,1] neg_hi:[0,1]
	v_pk_add_f32 v[60:61], v[60:61], v[10:11] neg_lo:[0,1] neg_hi:[0,1]
	s_wait_dscnt 0x0
	v_dual_mul_f32 v10, v7, v5 :: v_dual_mul_f32 v12, v7, v2
	s_delay_alu instid0(VALU_DEP_1) | instskip(NEXT) | instid1(VALU_DEP_2)
	v_pk_fma_f32 v[10:11], v[6:7], v[20:21], v[10:11] op_sel_hi:[1,1,0] neg_lo:[0,0,1] neg_hi:[0,0,1]
	v_pk_fma_f32 v[6:7], v[6:7], v[20:21], v[12:13] op_sel:[1,0,0] op_sel_hi:[0,1,0]
	s_delay_alu instid0(VALU_DEP_1) | instskip(SKIP_1) | instid1(VALU_DEP_2)
	v_mov_b32_e32 v11, v7
	v_pk_mul_f32 v[6:7], v[8:9], v[4:5] op_sel:[0,1]
	v_pk_add_f32 v[82:83], v[82:83], v[10:11] neg_lo:[0,1] neg_hi:[0,1]
	s_delay_alu instid0(VALU_DEP_2) | instskip(SKIP_1) | instid1(VALU_DEP_1)
	v_pk_fma_f32 v[10:11], v[8:9], v[2:3], v[6:7] op_sel:[0,0,1] op_sel_hi:[1,1,0] neg_lo:[0,0,1] neg_hi:[0,0,1]
	v_pk_fma_f32 v[6:7], v[8:9], v[2:3], v[6:7] op_sel:[0,0,1] op_sel_hi:[1,0,0]
	v_mov_b32_e32 v11, v7
	ds_load_2addr_b64 v[6:9], v216 offset0:18 offset1:19
	v_pk_add_f32 v[78:79], v[78:79], v[10:11] neg_lo:[0,1] neg_hi:[0,1]
	s_wait_dscnt 0x0
	v_pk_mul_f32 v[10:11], v[6:7], v[4:5] op_sel:[0,1]
	s_delay_alu instid0(VALU_DEP_1) | instskip(SKIP_1) | instid1(VALU_DEP_1)
	v_pk_fma_f32 v[12:13], v[6:7], v[2:3], v[10:11] op_sel:[0,0,1] op_sel_hi:[1,1,0] neg_lo:[0,0,1] neg_hi:[0,0,1]
	v_pk_fma_f32 v[6:7], v[6:7], v[2:3], v[10:11] op_sel:[0,0,1] op_sel_hi:[1,0,0]
	v_mov_b32_e32 v13, v7
	v_pk_mul_f32 v[6:7], v[8:9], v[4:5] op_sel:[0,1]
	s_delay_alu instid0(VALU_DEP_2) | instskip(NEXT) | instid1(VALU_DEP_2)
	v_pk_add_f32 v[80:81], v[80:81], v[12:13] neg_lo:[0,1] neg_hi:[0,1]
	v_pk_fma_f32 v[10:11], v[8:9], v[2:3], v[6:7] op_sel:[0,0,1] op_sel_hi:[1,1,0] neg_lo:[0,0,1] neg_hi:[0,0,1]
	v_pk_fma_f32 v[6:7], v[8:9], v[2:3], v[6:7] op_sel:[0,0,1] op_sel_hi:[1,0,0]
	s_delay_alu instid0(VALU_DEP_1) | instskip(SKIP_4) | instid1(VALU_DEP_1)
	v_mov_b32_e32 v11, v7
	ds_load_2addr_b64 v[6:9], v216 offset0:20 offset1:21
	v_pk_add_f32 v[76:77], v[76:77], v[10:11] neg_lo:[0,1] neg_hi:[0,1]
	s_wait_dscnt 0x0
	v_pk_mul_f32 v[10:11], v[6:7], v[4:5] op_sel:[0,1]
	v_pk_fma_f32 v[12:13], v[6:7], v[2:3], v[10:11] op_sel:[0,0,1] op_sel_hi:[1,1,0] neg_lo:[0,0,1] neg_hi:[0,0,1]
	v_pk_fma_f32 v[6:7], v[6:7], v[2:3], v[10:11] op_sel:[0,0,1] op_sel_hi:[1,0,0]
	v_dual_mul_f32 v10, v9, v5 :: v_dual_mov_b32 v6, v9
	s_delay_alu instid0(VALU_DEP_2) | instskip(NEXT) | instid1(VALU_DEP_2)
	v_dual_mov_b32 v13, v7 :: v_dual_mov_b32 v7, v8
	v_pk_fma_f32 v[10:11], v[8:9], v[20:21], v[10:11] op_sel_hi:[1,1,0] neg_lo:[0,0,1] neg_hi:[0,0,1]
	v_mul_f32_e32 v8, v9, v2
	s_delay_alu instid0(VALU_DEP_3) | instskip(NEXT) | instid1(VALU_DEP_2)
	v_pk_add_f32 v[98:99], v[98:99], v[12:13] neg_lo:[0,1] neg_hi:[0,1]
	v_pk_fma_f32 v[6:7], v[6:7], v[20:21], v[8:9] op_sel_hi:[1,1,0]
	s_delay_alu instid0(VALU_DEP_1) | instskip(SKIP_4) | instid1(VALU_DEP_1)
	v_mov_b32_e32 v11, v7
	ds_load_2addr_b64 v[6:9], v216 offset0:22 offset1:23
	v_pk_add_f32 v[94:95], v[94:95], v[10:11] neg_lo:[0,1] neg_hi:[0,1]
	s_wait_dscnt 0x0
	v_pk_mul_f32 v[10:11], v[6:7], v[4:5] op_sel:[0,1]
	v_pk_fma_f32 v[12:13], v[6:7], v[2:3], v[10:11] op_sel:[0,0,1] op_sel_hi:[1,1,0] neg_lo:[0,0,1] neg_hi:[0,0,1]
	v_pk_fma_f32 v[6:7], v[6:7], v[2:3], v[10:11] op_sel:[0,0,1] op_sel_hi:[1,0,0]
	s_delay_alu instid0(VALU_DEP_1) | instskip(SKIP_1) | instid1(VALU_DEP_1)
	v_mov_b32_e32 v13, v7
	v_pk_mul_f32 v[6:7], v[8:9], v[4:5] op_sel:[0,1]
	v_pk_fma_f32 v[10:11], v[8:9], v[2:3], v[6:7] op_sel:[0,0,1] op_sel_hi:[1,1,0] neg_lo:[0,0,1] neg_hi:[0,0,1]
	v_pk_fma_f32 v[6:7], v[8:9], v[2:3], v[6:7] op_sel:[0,0,1] op_sel_hi:[1,0,0]
	s_delay_alu instid0(VALU_DEP_1)
	v_mov_b32_e32 v11, v7
	ds_load_2addr_b64 v[6:9], v216 offset0:24 offset1:25
	v_pk_add_f32 v[96:97], v[96:97], v[12:13] neg_lo:[0,1] neg_hi:[0,1]
	v_pk_add_f32 v[92:93], v[92:93], v[10:11] neg_lo:[0,1] neg_hi:[0,1]
	s_wait_dscnt 0x0
	v_pk_mul_f32 v[10:11], v[6:7], v[4:5] op_sel:[0,1]
	s_delay_alu instid0(VALU_DEP_1) | instskip(SKIP_1) | instid1(VALU_DEP_1)
	v_pk_fma_f32 v[12:13], v[6:7], v[2:3], v[10:11] op_sel:[0,0,1] op_sel_hi:[1,1,0] neg_lo:[0,0,1] neg_hi:[0,0,1]
	v_pk_fma_f32 v[6:7], v[6:7], v[2:3], v[10:11] op_sel:[0,0,1] op_sel_hi:[1,0,0]
	v_mov_b32_e32 v13, v7
	v_pk_mul_f32 v[6:7], v[8:9], v[4:5] op_sel:[0,1]
	s_delay_alu instid0(VALU_DEP_1) | instskip(SKIP_1) | instid1(VALU_DEP_1)
	v_pk_fma_f32 v[10:11], v[8:9], v[2:3], v[6:7] op_sel:[0,0,1] op_sel_hi:[1,1,0] neg_lo:[0,0,1] neg_hi:[0,0,1]
	v_pk_fma_f32 v[6:7], v[8:9], v[2:3], v[6:7] op_sel:[0,0,1] op_sel_hi:[1,0,0]
	v_mov_b32_e32 v11, v7
	ds_load_2addr_b64 v[6:9], v216 offset0:26 offset1:27
	v_pk_add_f32 v[114:115], v[114:115], v[12:13] neg_lo:[0,1] neg_hi:[0,1]
	v_pk_add_f32 v[110:111], v[110:111], v[10:11] neg_lo:[0,1] neg_hi:[0,1]
	s_wait_dscnt 0x0
	v_dual_mul_f32 v10, v7, v5 :: v_dual_mul_f32 v12, v7, v2
	s_delay_alu instid0(VALU_DEP_1) | instskip(NEXT) | instid1(VALU_DEP_2)
	v_pk_fma_f32 v[10:11], v[6:7], v[20:21], v[10:11] op_sel_hi:[1,1,0] neg_lo:[0,0,1] neg_hi:[0,0,1]
	v_pk_fma_f32 v[6:7], v[6:7], v[20:21], v[12:13] op_sel:[1,0,0] op_sel_hi:[0,1,0]
	s_delay_alu instid0(VALU_DEP_1) | instskip(SKIP_1) | instid1(VALU_DEP_2)
	v_mov_b32_e32 v11, v7
	v_pk_mul_f32 v[6:7], v[8:9], v[4:5] op_sel:[0,1]
	v_pk_add_f32 v[112:113], v[112:113], v[10:11] neg_lo:[0,1] neg_hi:[0,1]
	s_delay_alu instid0(VALU_DEP_2) | instskip(SKIP_1) | instid1(VALU_DEP_1)
	v_pk_fma_f32 v[10:11], v[8:9], v[2:3], v[6:7] op_sel:[0,0,1] op_sel_hi:[1,1,0] neg_lo:[0,0,1] neg_hi:[0,0,1]
	v_pk_fma_f32 v[6:7], v[8:9], v[2:3], v[6:7] op_sel:[0,0,1] op_sel_hi:[1,0,0]
	v_mov_b32_e32 v11, v7
	ds_load_2addr_b64 v[6:9], v216 offset0:28 offset1:29
	v_pk_add_f32 v[108:109], v[108:109], v[10:11] neg_lo:[0,1] neg_hi:[0,1]
	s_wait_dscnt 0x0
	v_pk_mul_f32 v[10:11], v[6:7], v[4:5] op_sel:[0,1]
	s_delay_alu instid0(VALU_DEP_1) | instskip(SKIP_1) | instid1(VALU_DEP_1)
	v_pk_fma_f32 v[12:13], v[6:7], v[2:3], v[10:11] op_sel:[0,0,1] op_sel_hi:[1,1,0] neg_lo:[0,0,1] neg_hi:[0,0,1]
	v_pk_fma_f32 v[6:7], v[6:7], v[2:3], v[10:11] op_sel:[0,0,1] op_sel_hi:[1,0,0]
	v_mov_b32_e32 v13, v7
	v_pk_mul_f32 v[6:7], v[8:9], v[4:5] op_sel:[0,1]
	s_delay_alu instid0(VALU_DEP_2) | instskip(NEXT) | instid1(VALU_DEP_2)
	v_pk_add_f32 v[130:131], v[130:131], v[12:13] neg_lo:[0,1] neg_hi:[0,1]
	v_pk_fma_f32 v[10:11], v[8:9], v[2:3], v[6:7] op_sel:[0,0,1] op_sel_hi:[1,1,0] neg_lo:[0,0,1] neg_hi:[0,0,1]
	v_pk_fma_f32 v[6:7], v[8:9], v[2:3], v[6:7] op_sel:[0,0,1] op_sel_hi:[1,0,0]
	s_delay_alu instid0(VALU_DEP_1) | instskip(SKIP_4) | instid1(VALU_DEP_1)
	v_mov_b32_e32 v11, v7
	ds_load_2addr_b64 v[6:9], v216 offset0:30 offset1:31
	v_pk_add_f32 v[126:127], v[126:127], v[10:11] neg_lo:[0,1] neg_hi:[0,1]
	s_wait_dscnt 0x0
	v_pk_mul_f32 v[10:11], v[6:7], v[4:5] op_sel:[0,1]
	v_pk_fma_f32 v[12:13], v[6:7], v[2:3], v[10:11] op_sel:[0,0,1] op_sel_hi:[1,1,0] neg_lo:[0,0,1] neg_hi:[0,0,1]
	v_pk_fma_f32 v[6:7], v[6:7], v[2:3], v[10:11] op_sel:[0,0,1] op_sel_hi:[1,0,0]
	v_dual_mul_f32 v10, v9, v5 :: v_dual_mov_b32 v6, v9
	s_delay_alu instid0(VALU_DEP_2) | instskip(NEXT) | instid1(VALU_DEP_2)
	v_dual_mov_b32 v13, v7 :: v_dual_mov_b32 v7, v8
	v_pk_fma_f32 v[10:11], v[8:9], v[20:21], v[10:11] op_sel_hi:[1,1,0] neg_lo:[0,0,1] neg_hi:[0,0,1]
	v_mul_f32_e32 v8, v9, v2
	s_delay_alu instid0(VALU_DEP_3) | instskip(NEXT) | instid1(VALU_DEP_2)
	v_pk_add_f32 v[128:129], v[128:129], v[12:13] neg_lo:[0,1] neg_hi:[0,1]
	v_pk_fma_f32 v[6:7], v[6:7], v[20:21], v[8:9] op_sel_hi:[1,1,0]
	s_delay_alu instid0(VALU_DEP_1) | instskip(SKIP_4) | instid1(VALU_DEP_1)
	v_mov_b32_e32 v11, v7
	ds_load_2addr_b64 v[6:9], v216 offset0:32 offset1:33
	v_pk_add_f32 v[124:125], v[124:125], v[10:11] neg_lo:[0,1] neg_hi:[0,1]
	s_wait_dscnt 0x0
	v_pk_mul_f32 v[10:11], v[6:7], v[4:5] op_sel:[0,1]
	v_pk_fma_f32 v[12:13], v[6:7], v[2:3], v[10:11] op_sel:[0,0,1] op_sel_hi:[1,1,0] neg_lo:[0,0,1] neg_hi:[0,0,1]
	v_pk_fma_f32 v[6:7], v[6:7], v[2:3], v[10:11] op_sel:[0,0,1] op_sel_hi:[1,0,0]
	s_delay_alu instid0(VALU_DEP_1) | instskip(SKIP_1) | instid1(VALU_DEP_1)
	v_mov_b32_e32 v13, v7
	v_pk_mul_f32 v[6:7], v[8:9], v[4:5] op_sel:[0,1]
	v_pk_fma_f32 v[10:11], v[8:9], v[2:3], v[6:7] op_sel:[0,0,1] op_sel_hi:[1,1,0] neg_lo:[0,0,1] neg_hi:[0,0,1]
	v_pk_fma_f32 v[6:7], v[8:9], v[2:3], v[6:7] op_sel:[0,0,1] op_sel_hi:[1,0,0]
	s_delay_alu instid0(VALU_DEP_1)
	v_mov_b32_e32 v11, v7
	ds_load_2addr_b64 v[6:9], v216 offset0:34 offset1:35
	v_pk_add_f32 v[146:147], v[146:147], v[12:13] neg_lo:[0,1] neg_hi:[0,1]
	v_pk_add_f32 v[142:143], v[142:143], v[10:11] neg_lo:[0,1] neg_hi:[0,1]
	s_wait_dscnt 0x0
	v_pk_mul_f32 v[10:11], v[6:7], v[4:5] op_sel:[0,1]
	s_delay_alu instid0(VALU_DEP_1) | instskip(SKIP_1) | instid1(VALU_DEP_1)
	v_pk_fma_f32 v[12:13], v[6:7], v[2:3], v[10:11] op_sel:[0,0,1] op_sel_hi:[1,1,0] neg_lo:[0,0,1] neg_hi:[0,0,1]
	v_pk_fma_f32 v[6:7], v[6:7], v[2:3], v[10:11] op_sel:[0,0,1] op_sel_hi:[1,0,0]
	v_mov_b32_e32 v13, v7
	v_pk_mul_f32 v[6:7], v[8:9], v[4:5] op_sel:[0,1]
	s_delay_alu instid0(VALU_DEP_1) | instskip(SKIP_1) | instid1(VALU_DEP_1)
	v_pk_fma_f32 v[10:11], v[8:9], v[2:3], v[6:7] op_sel:[0,0,1] op_sel_hi:[1,1,0] neg_lo:[0,0,1] neg_hi:[0,0,1]
	v_pk_fma_f32 v[6:7], v[8:9], v[2:3], v[6:7] op_sel:[0,0,1] op_sel_hi:[1,0,0]
	v_mov_b32_e32 v11, v7
	ds_load_2addr_b64 v[6:9], v216 offset0:36 offset1:37
	v_pk_add_f32 v[144:145], v[144:145], v[12:13] neg_lo:[0,1] neg_hi:[0,1]
	v_pk_add_f32 v[140:141], v[140:141], v[10:11] neg_lo:[0,1] neg_hi:[0,1]
	s_wait_dscnt 0x0
	v_dual_mul_f32 v10, v7, v5 :: v_dual_mul_f32 v12, v7, v2
	s_delay_alu instid0(VALU_DEP_1) | instskip(NEXT) | instid1(VALU_DEP_2)
	v_pk_fma_f32 v[10:11], v[6:7], v[20:21], v[10:11] op_sel_hi:[1,1,0] neg_lo:[0,0,1] neg_hi:[0,0,1]
	v_pk_fma_f32 v[6:7], v[6:7], v[20:21], v[12:13] op_sel:[1,0,0] op_sel_hi:[0,1,0]
	s_delay_alu instid0(VALU_DEP_1) | instskip(SKIP_1) | instid1(VALU_DEP_2)
	v_mov_b32_e32 v11, v7
	v_pk_mul_f32 v[6:7], v[8:9], v[4:5] op_sel:[0,1]
	v_pk_add_f32 v[162:163], v[162:163], v[10:11] neg_lo:[0,1] neg_hi:[0,1]
	s_delay_alu instid0(VALU_DEP_2) | instskip(SKIP_1) | instid1(VALU_DEP_1)
	v_pk_fma_f32 v[10:11], v[8:9], v[2:3], v[6:7] op_sel:[0,0,1] op_sel_hi:[1,1,0] neg_lo:[0,0,1] neg_hi:[0,0,1]
	v_pk_fma_f32 v[6:7], v[8:9], v[2:3], v[6:7] op_sel:[0,0,1] op_sel_hi:[1,0,0]
	v_mov_b32_e32 v11, v7
	ds_load_2addr_b64 v[6:9], v216 offset0:38 offset1:39
	v_pk_add_f32 v[158:159], v[158:159], v[10:11] neg_lo:[0,1] neg_hi:[0,1]
	s_wait_dscnt 0x0
	v_pk_mul_f32 v[10:11], v[6:7], v[4:5] op_sel:[0,1]
	s_delay_alu instid0(VALU_DEP_1) | instskip(SKIP_1) | instid1(VALU_DEP_1)
	v_pk_fma_f32 v[12:13], v[6:7], v[2:3], v[10:11] op_sel:[0,0,1] op_sel_hi:[1,1,0] neg_lo:[0,0,1] neg_hi:[0,0,1]
	v_pk_fma_f32 v[6:7], v[6:7], v[2:3], v[10:11] op_sel:[0,0,1] op_sel_hi:[1,0,0]
	v_mov_b32_e32 v13, v7
	v_pk_mul_f32 v[6:7], v[8:9], v[4:5] op_sel:[0,1]
	s_delay_alu instid0(VALU_DEP_2) | instskip(NEXT) | instid1(VALU_DEP_2)
	v_pk_add_f32 v[160:161], v[160:161], v[12:13] neg_lo:[0,1] neg_hi:[0,1]
	v_pk_fma_f32 v[10:11], v[8:9], v[2:3], v[6:7] op_sel:[0,0,1] op_sel_hi:[1,1,0] neg_lo:[0,0,1] neg_hi:[0,0,1]
	v_pk_fma_f32 v[6:7], v[8:9], v[2:3], v[6:7] op_sel:[0,0,1] op_sel_hi:[1,0,0]
	s_delay_alu instid0(VALU_DEP_1) | instskip(SKIP_4) | instid1(VALU_DEP_1)
	v_mov_b32_e32 v11, v7
	ds_load_2addr_b64 v[6:9], v216 offset0:40 offset1:41
	v_pk_add_f32 v[156:157], v[156:157], v[10:11] neg_lo:[0,1] neg_hi:[0,1]
	s_wait_dscnt 0x0
	v_pk_mul_f32 v[10:11], v[6:7], v[4:5] op_sel:[0,1]
	v_pk_fma_f32 v[12:13], v[6:7], v[2:3], v[10:11] op_sel:[0,0,1] op_sel_hi:[1,1,0] neg_lo:[0,0,1] neg_hi:[0,0,1]
	v_pk_fma_f32 v[6:7], v[6:7], v[2:3], v[10:11] op_sel:[0,0,1] op_sel_hi:[1,0,0]
	v_dual_mul_f32 v10, v9, v5 :: v_dual_mov_b32 v6, v9
	s_delay_alu instid0(VALU_DEP_2) | instskip(NEXT) | instid1(VALU_DEP_2)
	v_dual_mov_b32 v13, v7 :: v_dual_mov_b32 v7, v8
	v_pk_fma_f32 v[10:11], v[8:9], v[20:21], v[10:11] op_sel_hi:[1,1,0] neg_lo:[0,0,1] neg_hi:[0,0,1]
	v_mul_f32_e32 v8, v9, v2
	s_delay_alu instid0(VALU_DEP_3) | instskip(NEXT) | instid1(VALU_DEP_2)
	v_pk_add_f32 v[178:179], v[178:179], v[12:13] neg_lo:[0,1] neg_hi:[0,1]
	v_pk_fma_f32 v[6:7], v[6:7], v[20:21], v[8:9] op_sel_hi:[1,1,0]
	s_delay_alu instid0(VALU_DEP_1) | instskip(SKIP_4) | instid1(VALU_DEP_1)
	v_mov_b32_e32 v11, v7
	ds_load_2addr_b64 v[6:9], v216 offset0:42 offset1:43
	v_pk_add_f32 v[174:175], v[174:175], v[10:11] neg_lo:[0,1] neg_hi:[0,1]
	s_wait_dscnt 0x0
	v_pk_mul_f32 v[10:11], v[6:7], v[4:5] op_sel:[0,1]
	v_pk_fma_f32 v[12:13], v[6:7], v[2:3], v[10:11] op_sel:[0,0,1] op_sel_hi:[1,1,0] neg_lo:[0,0,1] neg_hi:[0,0,1]
	v_pk_fma_f32 v[6:7], v[6:7], v[2:3], v[10:11] op_sel:[0,0,1] op_sel_hi:[1,0,0]
	s_delay_alu instid0(VALU_DEP_1) | instskip(SKIP_1) | instid1(VALU_DEP_1)
	v_mov_b32_e32 v13, v7
	v_pk_mul_f32 v[6:7], v[8:9], v[4:5] op_sel:[0,1]
	v_pk_fma_f32 v[10:11], v[8:9], v[2:3], v[6:7] op_sel:[0,0,1] op_sel_hi:[1,1,0] neg_lo:[0,0,1] neg_hi:[0,0,1]
	v_pk_fma_f32 v[6:7], v[8:9], v[2:3], v[6:7] op_sel:[0,0,1] op_sel_hi:[1,0,0]
	s_delay_alu instid0(VALU_DEP_1)
	v_mov_b32_e32 v11, v7
	ds_load_2addr_b64 v[6:9], v216 offset0:44 offset1:45
	v_pk_add_f32 v[176:177], v[176:177], v[12:13] neg_lo:[0,1] neg_hi:[0,1]
	v_pk_add_f32 v[172:173], v[172:173], v[10:11] neg_lo:[0,1] neg_hi:[0,1]
	s_wait_dscnt 0x0
	v_pk_mul_f32 v[10:11], v[6:7], v[4:5] op_sel:[0,1]
	s_delay_alu instid0(VALU_DEP_1) | instskip(SKIP_1) | instid1(VALU_DEP_1)
	v_pk_fma_f32 v[12:13], v[6:7], v[2:3], v[10:11] op_sel:[0,0,1] op_sel_hi:[1,1,0] neg_lo:[0,0,1] neg_hi:[0,0,1]
	v_pk_fma_f32 v[6:7], v[6:7], v[2:3], v[10:11] op_sel:[0,0,1] op_sel_hi:[1,0,0]
	v_mov_b32_e32 v13, v7
	v_pk_mul_f32 v[6:7], v[8:9], v[4:5] op_sel:[0,1]
	s_delay_alu instid0(VALU_DEP_1) | instskip(SKIP_1) | instid1(VALU_DEP_1)
	v_pk_fma_f32 v[10:11], v[8:9], v[2:3], v[6:7] op_sel:[0,0,1] op_sel_hi:[1,1,0] neg_lo:[0,0,1] neg_hi:[0,0,1]
	v_pk_fma_f32 v[6:7], v[8:9], v[2:3], v[6:7] op_sel:[0,0,1] op_sel_hi:[1,0,0]
	v_mov_b32_e32 v11, v7
	ds_load_2addr_b64 v[6:9], v216 offset0:46 offset1:47
	v_pk_add_f32 v[194:195], v[194:195], v[12:13] neg_lo:[0,1] neg_hi:[0,1]
	v_pk_add_f32 v[190:191], v[190:191], v[10:11] neg_lo:[0,1] neg_hi:[0,1]
	s_wait_dscnt 0x0
	v_dual_mul_f32 v10, v7, v5 :: v_dual_mul_f32 v12, v7, v2
	s_delay_alu instid0(VALU_DEP_1) | instskip(NEXT) | instid1(VALU_DEP_2)
	v_pk_fma_f32 v[10:11], v[6:7], v[20:21], v[10:11] op_sel_hi:[1,1,0] neg_lo:[0,0,1] neg_hi:[0,0,1]
	v_pk_fma_f32 v[6:7], v[6:7], v[20:21], v[12:13] op_sel:[1,0,0] op_sel_hi:[0,1,0]
	s_delay_alu instid0(VALU_DEP_1) | instskip(SKIP_1) | instid1(VALU_DEP_2)
	v_mov_b32_e32 v11, v7
	v_pk_mul_f32 v[6:7], v[8:9], v[4:5] op_sel:[0,1]
	v_pk_add_f32 v[192:193], v[192:193], v[10:11] neg_lo:[0,1] neg_hi:[0,1]
	s_delay_alu instid0(VALU_DEP_2) | instskip(SKIP_1) | instid1(VALU_DEP_1)
	v_pk_fma_f32 v[10:11], v[8:9], v[2:3], v[6:7] op_sel:[0,0,1] op_sel_hi:[1,1,0] neg_lo:[0,0,1] neg_hi:[0,0,1]
	v_pk_fma_f32 v[6:7], v[8:9], v[2:3], v[6:7] op_sel:[0,0,1] op_sel_hi:[1,0,0]
	v_mov_b32_e32 v11, v7
	ds_load_2addr_b64 v[6:9], v216 offset0:48 offset1:49
	v_pk_add_f32 v[188:189], v[188:189], v[10:11] neg_lo:[0,1] neg_hi:[0,1]
	s_wait_dscnt 0x0
	v_pk_mul_f32 v[10:11], v[6:7], v[4:5] op_sel:[0,1]
	s_delay_alu instid0(VALU_DEP_1) | instskip(SKIP_1) | instid1(VALU_DEP_1)
	v_pk_fma_f32 v[12:13], v[6:7], v[2:3], v[10:11] op_sel:[0,0,1] op_sel_hi:[1,1,0] neg_lo:[0,0,1] neg_hi:[0,0,1]
	v_pk_fma_f32 v[6:7], v[6:7], v[2:3], v[10:11] op_sel:[0,0,1] op_sel_hi:[1,0,0]
	v_mov_b32_e32 v13, v7
	v_pk_mul_f32 v[6:7], v[8:9], v[4:5] op_sel:[0,1]
	s_delay_alu instid0(VALU_DEP_2) | instskip(NEXT) | instid1(VALU_DEP_2)
	v_pk_add_f32 v[214:215], v[214:215], v[12:13] neg_lo:[0,1] neg_hi:[0,1]
	v_pk_fma_f32 v[10:11], v[8:9], v[2:3], v[6:7] op_sel:[0,0,1] op_sel_hi:[1,1,0] neg_lo:[0,0,1] neg_hi:[0,0,1]
	v_pk_fma_f32 v[6:7], v[8:9], v[2:3], v[6:7] op_sel:[0,0,1] op_sel_hi:[1,0,0]
	s_delay_alu instid0(VALU_DEP_1) | instskip(SKIP_4) | instid1(VALU_DEP_1)
	v_mov_b32_e32 v11, v7
	ds_load_2addr_b64 v[6:9], v216 offset0:50 offset1:51
	v_pk_add_f32 v[210:211], v[210:211], v[10:11] neg_lo:[0,1] neg_hi:[0,1]
	s_wait_dscnt 0x0
	v_pk_mul_f32 v[10:11], v[6:7], v[4:5] op_sel:[0,1]
	v_pk_fma_f32 v[12:13], v[6:7], v[2:3], v[10:11] op_sel:[0,0,1] op_sel_hi:[1,1,0] neg_lo:[0,0,1] neg_hi:[0,0,1]
	v_pk_fma_f32 v[6:7], v[6:7], v[2:3], v[10:11] op_sel:[0,0,1] op_sel_hi:[1,0,0]
	v_dual_mul_f32 v10, v9, v5 :: v_dual_mov_b32 v6, v9
	s_delay_alu instid0(VALU_DEP_2) | instskip(NEXT) | instid1(VALU_DEP_2)
	v_dual_mov_b32 v13, v7 :: v_dual_mov_b32 v7, v8
	v_pk_fma_f32 v[10:11], v[8:9], v[20:21], v[10:11] op_sel_hi:[1,1,0] neg_lo:[0,0,1] neg_hi:[0,0,1]
	v_mul_f32_e32 v8, v9, v2
	s_delay_alu instid0(VALU_DEP_3) | instskip(NEXT) | instid1(VALU_DEP_2)
	v_pk_add_f32 v[212:213], v[212:213], v[12:13] neg_lo:[0,1] neg_hi:[0,1]
	v_pk_fma_f32 v[6:7], v[6:7], v[20:21], v[8:9] op_sel_hi:[1,1,0]
	s_delay_alu instid0(VALU_DEP_1) | instskip(SKIP_4) | instid1(VALU_DEP_1)
	v_mov_b32_e32 v11, v7
	ds_load_2addr_b64 v[6:9], v216 offset0:52 offset1:53
	v_pk_add_f32 v[208:209], v[208:209], v[10:11] neg_lo:[0,1] neg_hi:[0,1]
	s_wait_dscnt 0x0
	v_pk_mul_f32 v[10:11], v[6:7], v[4:5] op_sel:[0,1]
	v_pk_fma_f32 v[12:13], v[6:7], v[2:3], v[10:11] op_sel:[0,0,1] op_sel_hi:[1,1,0] neg_lo:[0,0,1] neg_hi:[0,0,1]
	v_pk_fma_f32 v[6:7], v[6:7], v[2:3], v[10:11] op_sel:[0,0,1] op_sel_hi:[1,0,0]
	s_delay_alu instid0(VALU_DEP_1) | instskip(SKIP_1) | instid1(VALU_DEP_1)
	v_mov_b32_e32 v13, v7
	v_pk_mul_f32 v[6:7], v[8:9], v[4:5] op_sel:[0,1]
	v_pk_fma_f32 v[10:11], v[8:9], v[2:3], v[6:7] op_sel:[0,0,1] op_sel_hi:[1,1,0] neg_lo:[0,0,1] neg_hi:[0,0,1]
	v_pk_fma_f32 v[6:7], v[8:9], v[2:3], v[6:7] op_sel:[0,0,1] op_sel_hi:[1,0,0]
	s_delay_alu instid0(VALU_DEP_1)
	v_mov_b32_e32 v11, v7
	ds_load_2addr_b64 v[6:9], v216 offset0:54 offset1:55
	v_pk_add_f32 v[236:237], v[236:237], v[12:13] neg_lo:[0,1] neg_hi:[0,1]
	v_pk_add_f32 v[230:231], v[230:231], v[10:11] neg_lo:[0,1] neg_hi:[0,1]
	s_wait_dscnt 0x0
	v_pk_mul_f32 v[10:11], v[6:7], v[4:5] op_sel:[0,1]
	s_delay_alu instid0(VALU_DEP_1) | instskip(SKIP_1) | instid1(VALU_DEP_1)
	v_pk_fma_f32 v[12:13], v[6:7], v[2:3], v[10:11] op_sel:[0,0,1] op_sel_hi:[1,1,0] neg_lo:[0,0,1] neg_hi:[0,0,1]
	v_pk_fma_f32 v[6:7], v[6:7], v[2:3], v[10:11] op_sel:[0,0,1] op_sel_hi:[1,0,0]
	v_mov_b32_e32 v13, v7
	v_pk_mul_f32 v[6:7], v[8:9], v[4:5] op_sel:[0,1]
	s_delay_alu instid0(VALU_DEP_1) | instskip(SKIP_1) | instid1(VALU_DEP_1)
	v_pk_fma_f32 v[10:11], v[8:9], v[2:3], v[6:7] op_sel:[0,0,1] op_sel_hi:[1,1,0] neg_lo:[0,0,1] neg_hi:[0,0,1]
	v_pk_fma_f32 v[6:7], v[8:9], v[2:3], v[6:7] op_sel:[0,0,1] op_sel_hi:[1,0,0]
	v_mov_b32_e32 v11, v7
	ds_load_2addr_b64 v[6:9], v216 offset0:56 offset1:57
	v_pk_add_f32 v[234:235], v[234:235], v[12:13] neg_lo:[0,1] neg_hi:[0,1]
	v_pk_add_f32 v[228:229], v[228:229], v[10:11] neg_lo:[0,1] neg_hi:[0,1]
	s_wait_dscnt 0x0
	v_dual_mul_f32 v10, v7, v5 :: v_dual_mul_f32 v12, v7, v2
	s_delay_alu instid0(VALU_DEP_1) | instskip(NEXT) | instid1(VALU_DEP_2)
	v_pk_fma_f32 v[10:11], v[6:7], v[20:21], v[10:11] op_sel_hi:[1,1,0] neg_lo:[0,0,1] neg_hi:[0,0,1]
	v_pk_fma_f32 v[6:7], v[6:7], v[20:21], v[12:13] op_sel:[1,0,0] op_sel_hi:[0,1,0]
	s_delay_alu instid0(VALU_DEP_1) | instskip(SKIP_1) | instid1(VALU_DEP_2)
	v_mov_b32_e32 v11, v7
	v_pk_mul_f32 v[6:7], v[8:9], v[4:5] op_sel:[0,1]
	v_pk_add_f32 v[232:233], v[232:233], v[10:11] neg_lo:[0,1] neg_hi:[0,1]
	s_delay_alu instid0(VALU_DEP_2) | instskip(SKIP_1) | instid1(VALU_DEP_1)
	v_pk_fma_f32 v[10:11], v[8:9], v[2:3], v[6:7] op_sel:[0,0,1] op_sel_hi:[1,1,0] neg_lo:[0,0,1] neg_hi:[0,0,1]
	v_pk_fma_f32 v[6:7], v[8:9], v[2:3], v[6:7] op_sel:[0,0,1] op_sel_hi:[1,0,0]
	v_mov_b32_e32 v11, v7
	ds_load_2addr_b64 v[6:9], v216 offset0:58 offset1:59
	v_pk_add_f32 v[226:227], v[226:227], v[10:11] neg_lo:[0,1] neg_hi:[0,1]
	s_wait_dscnt 0x0
	v_pk_mul_f32 v[10:11], v[6:7], v[4:5] op_sel:[0,1]
	v_pk_mul_f32 v[4:5], v[8:9], v[4:5] op_sel:[0,1]
	s_delay_alu instid0(VALU_DEP_2) | instskip(SKIP_1) | instid1(VALU_DEP_1)
	v_pk_fma_f32 v[12:13], v[6:7], v[2:3], v[10:11] op_sel:[0,0,1] op_sel_hi:[1,1,0] neg_lo:[0,0,1] neg_hi:[0,0,1]
	v_pk_fma_f32 v[6:7], v[6:7], v[2:3], v[10:11] op_sel:[0,0,1] op_sel_hi:[1,0,0]
	v_mov_b32_e32 v13, v7
	s_delay_alu instid0(VALU_DEP_4) | instskip(SKIP_1) | instid1(VALU_DEP_3)
	v_pk_fma_f32 v[6:7], v[8:9], v[2:3], v[4:5] op_sel:[0,0,1] op_sel_hi:[1,1,0] neg_lo:[0,0,1] neg_hi:[0,0,1]
	v_pk_fma_f32 v[2:3], v[8:9], v[2:3], v[4:5] op_sel:[0,0,1] op_sel_hi:[1,0,0]
	v_pk_add_f32 v[238:239], v[238:239], v[12:13] neg_lo:[0,1] neg_hi:[0,1]
	s_delay_alu instid0(VALU_DEP_2) | instskip(NEXT) | instid1(VALU_DEP_1)
	v_mov_b32_e32 v7, v3
	v_pk_add_f32 v[240:241], v[240:241], v[6:7] neg_lo:[0,1] neg_hi:[0,1]
.LBB119_73:
	s_wait_xcnt 0x0
	s_or_b32 exec_lo, exec_lo, s1
	s_delay_alu instid0(SALU_CYCLE_1)
	s_mov_b32 s2, exec_lo
	s_wait_storecnt 0x0
	s_barrier_signal -1
	s_barrier_wait -1
	v_cmpx_eq_u32_e32 8, v206
	s_cbranch_execz .LBB119_80
; %bb.74:
	ds_store_b64 v207, v[40:41]
	ds_store_2addr_b64 v216, v[36:37], v[38:39] offset0:9 offset1:10
	ds_store_2addr_b64 v216, v[34:35], v[66:67] offset0:11 offset1:12
	;; [unrolled: 1-line block ×25, first 2 shown]
	ds_store_b64 v216, v[240:241] offset:472
	ds_load_b64 v[2:3], v207
	s_wait_dscnt 0x0
	v_cmp_neq_f32_e32 vcc_lo, 0, v2
	v_cmp_neq_f32_e64 s1, 0, v3
	s_or_b32 s1, vcc_lo, s1
	s_delay_alu instid0(SALU_CYCLE_1)
	s_and_b32 exec_lo, exec_lo, s1
	s_cbranch_execz .LBB119_80
; %bb.75:
	v_cmp_ngt_f32_e64 s1, |v2|, |v3|
                                        ; implicit-def: $vgpr4_vgpr5
	s_and_saveexec_b32 s4, s1
	s_delay_alu instid0(SALU_CYCLE_1)
	s_xor_b32 s1, exec_lo, s4
	s_cbranch_execz .LBB119_77
; %bb.76:
	v_div_scale_f32 v4, null, v3, v3, v2
	v_div_scale_f32 v7, vcc_lo, v2, v3, v2
	s_delay_alu instid0(VALU_DEP_2) | instskip(SKIP_1) | instid1(TRANS32_DEP_1)
	v_rcp_f32_e32 v5, v4
	v_nop
	v_fma_f32 v6, -v4, v5, 1.0
	s_delay_alu instid0(VALU_DEP_1) | instskip(NEXT) | instid1(VALU_DEP_1)
	v_fmac_f32_e32 v5, v6, v5
	v_mul_f32_e32 v6, v7, v5
	s_delay_alu instid0(VALU_DEP_1) | instskip(NEXT) | instid1(VALU_DEP_1)
	v_fma_f32 v8, -v4, v6, v7
	v_fmac_f32_e32 v6, v8, v5
	s_delay_alu instid0(VALU_DEP_1) | instskip(NEXT) | instid1(VALU_DEP_1)
	v_fma_f32 v4, -v4, v6, v7
	v_div_fmas_f32 v4, v4, v5, v6
	s_delay_alu instid0(VALU_DEP_1) | instskip(NEXT) | instid1(VALU_DEP_1)
	v_div_fixup_f32 v4, v4, v3, v2
	v_fmac_f32_e32 v3, v2, v4
	s_delay_alu instid0(VALU_DEP_1) | instskip(SKIP_1) | instid1(VALU_DEP_2)
	v_div_scale_f32 v2, null, v3, v3, 1.0
	v_div_scale_f32 v7, vcc_lo, 1.0, v3, 1.0
	v_rcp_f32_e32 v5, v2
	v_nop
	s_delay_alu instid0(TRANS32_DEP_1) | instskip(NEXT) | instid1(VALU_DEP_1)
	v_fma_f32 v6, -v2, v5, 1.0
	v_fmac_f32_e32 v5, v6, v5
	s_delay_alu instid0(VALU_DEP_1) | instskip(NEXT) | instid1(VALU_DEP_1)
	v_mul_f32_e32 v6, v7, v5
	v_fma_f32 v8, -v2, v6, v7
	s_delay_alu instid0(VALU_DEP_1) | instskip(NEXT) | instid1(VALU_DEP_1)
	v_fmac_f32_e32 v6, v8, v5
	v_fma_f32 v2, -v2, v6, v7
	s_delay_alu instid0(VALU_DEP_1) | instskip(NEXT) | instid1(VALU_DEP_1)
	v_div_fmas_f32 v2, v2, v5, v6
	v_div_fixup_f32 v2, v2, v3, 1.0
	s_delay_alu instid0(VALU_DEP_1)
	v_mul_f32_e32 v4, v4, v2
	v_xor_b32_e32 v5, 0x80000000, v2
                                        ; implicit-def: $vgpr2_vgpr3
.LBB119_77:
	s_and_not1_saveexec_b32 s1, s1
	s_cbranch_execz .LBB119_79
; %bb.78:
	v_div_scale_f32 v4, null, v2, v2, v3
	v_div_scale_f32 v7, vcc_lo, v3, v2, v3
	s_delay_alu instid0(VALU_DEP_2) | instskip(SKIP_1) | instid1(TRANS32_DEP_1)
	v_rcp_f32_e32 v5, v4
	v_nop
	v_fma_f32 v6, -v4, v5, 1.0
	s_delay_alu instid0(VALU_DEP_1) | instskip(NEXT) | instid1(VALU_DEP_1)
	v_fmac_f32_e32 v5, v6, v5
	v_mul_f32_e32 v6, v7, v5
	s_delay_alu instid0(VALU_DEP_1) | instskip(NEXT) | instid1(VALU_DEP_1)
	v_fma_f32 v8, -v4, v6, v7
	v_fmac_f32_e32 v6, v8, v5
	s_delay_alu instid0(VALU_DEP_1) | instskip(NEXT) | instid1(VALU_DEP_1)
	v_fma_f32 v4, -v4, v6, v7
	v_div_fmas_f32 v4, v4, v5, v6
	s_delay_alu instid0(VALU_DEP_1) | instskip(NEXT) | instid1(VALU_DEP_1)
	v_div_fixup_f32 v5, v4, v2, v3
	v_fmac_f32_e32 v2, v3, v5
	s_delay_alu instid0(VALU_DEP_1) | instskip(NEXT) | instid1(VALU_DEP_1)
	v_div_scale_f32 v3, null, v2, v2, 1.0
	v_rcp_f32_e32 v4, v3
	v_nop
	s_delay_alu instid0(TRANS32_DEP_1) | instskip(NEXT) | instid1(VALU_DEP_1)
	v_fma_f32 v6, -v3, v4, 1.0
	v_fmac_f32_e32 v4, v6, v4
	v_div_scale_f32 v6, vcc_lo, 1.0, v2, 1.0
	s_delay_alu instid0(VALU_DEP_1) | instskip(NEXT) | instid1(VALU_DEP_1)
	v_mul_f32_e32 v7, v6, v4
	v_fma_f32 v8, -v3, v7, v6
	s_delay_alu instid0(VALU_DEP_1) | instskip(NEXT) | instid1(VALU_DEP_1)
	v_fmac_f32_e32 v7, v8, v4
	v_fma_f32 v3, -v3, v7, v6
	s_delay_alu instid0(VALU_DEP_1) | instskip(NEXT) | instid1(VALU_DEP_1)
	v_div_fmas_f32 v3, v3, v4, v7
	v_div_fixup_f32 v4, v3, v2, 1.0
	s_delay_alu instid0(VALU_DEP_1)
	v_mul_f32_e64 v5, v5, -v4
.LBB119_79:
	s_or_b32 exec_lo, exec_lo, s1
	ds_store_b64 v207, v[4:5]
.LBB119_80:
	s_or_b32 exec_lo, exec_lo, s2
	s_wait_dscnt 0x0
	s_barrier_signal -1
	s_barrier_wait -1
	ds_load_b64 v[2:3], v207
	s_mov_b32 s1, exec_lo
	v_cmpx_lt_u32_e32 8, v206
	s_cbranch_execz .LBB119_82
; %bb.81:
	ds_load_2addr_b64 v[8:11], v216 offset0:9 offset1:10
	s_wait_dscnt 0x1
	v_pk_mul_f32 v[6:7], v[2:3], v[40:41] op_sel:[1,1] op_sel_hi:[0,1]
	s_delay_alu instid0(VALU_DEP_1) | instskip(SKIP_1) | instid1(VALU_DEP_1)
	v_pk_fma_f32 v[4:5], v[2:3], v[40:41], v[6:7] op_sel_hi:[1,0,1] neg_lo:[0,0,1] neg_hi:[0,0,1]
	v_pk_fma_f32 v[6:7], v[2:3], v[40:41], v[6:7] op_sel_hi:[1,0,1]
	v_dual_mov_b32 v40, v4 :: v_dual_mov_b32 v41, v7
	s_wait_dscnt 0x0
	s_delay_alu instid0(VALU_DEP_2) | instskip(NEXT) | instid1(VALU_DEP_1)
	v_pk_mul_f32 v[12:13], v[8:9], v[6:7] op_sel:[0,1]
	v_pk_fma_f32 v[14:15], v[8:9], v[4:5], v[12:13] op_sel:[0,0,1] op_sel_hi:[1,1,0] neg_lo:[0,0,1] neg_hi:[0,0,1]
	v_pk_fma_f32 v[8:9], v[8:9], v[4:5], v[12:13] op_sel:[0,0,1] op_sel_hi:[1,0,0]
	s_delay_alu instid0(VALU_DEP_1) | instskip(SKIP_1) | instid1(VALU_DEP_1)
	v_mov_b32_e32 v15, v9
	v_pk_mul_f32 v[8:9], v[10:11], v[6:7] op_sel:[0,1]
	v_pk_fma_f32 v[12:13], v[10:11], v[4:5], v[8:9] op_sel:[0,0,1] op_sel_hi:[1,1,0] neg_lo:[0,0,1] neg_hi:[0,0,1]
	v_pk_fma_f32 v[8:9], v[10:11], v[4:5], v[8:9] op_sel:[0,0,1] op_sel_hi:[1,0,0]
	s_delay_alu instid0(VALU_DEP_1)
	v_mov_b32_e32 v13, v9
	ds_load_2addr_b64 v[8:11], v216 offset0:11 offset1:12
	v_pk_add_f32 v[36:37], v[36:37], v[14:15] neg_lo:[0,1] neg_hi:[0,1]
	v_pk_add_f32 v[38:39], v[38:39], v[12:13] neg_lo:[0,1] neg_hi:[0,1]
	s_wait_dscnt 0x0
	v_pk_mul_f32 v[12:13], v[8:9], v[6:7] op_sel:[0,1]
	s_delay_alu instid0(VALU_DEP_1) | instskip(SKIP_2) | instid1(VALU_DEP_2)
	v_pk_fma_f32 v[14:15], v[8:9], v[4:5], v[12:13] op_sel:[0,0,1] op_sel_hi:[1,1,0] neg_lo:[0,0,1] neg_hi:[0,0,1]
	v_pk_fma_f32 v[8:9], v[8:9], v[4:5], v[12:13] op_sel:[0,0,1] op_sel_hi:[1,0,0]
	v_dual_mul_f32 v12, v11, v7 :: v_dual_mov_b32 v8, v11
	v_dual_mov_b32 v15, v9 :: v_dual_mov_b32 v9, v10
	s_delay_alu instid0(VALU_DEP_2) | instskip(SKIP_1) | instid1(VALU_DEP_3)
	v_pk_fma_f32 v[12:13], v[10:11], v[40:41], v[12:13] op_sel_hi:[1,1,0] neg_lo:[0,0,1] neg_hi:[0,0,1]
	v_mul_f32_e32 v10, v11, v4
	v_pk_add_f32 v[34:35], v[34:35], v[14:15] neg_lo:[0,1] neg_hi:[0,1]
	s_delay_alu instid0(VALU_DEP_2) | instskip(NEXT) | instid1(VALU_DEP_1)
	v_pk_fma_f32 v[8:9], v[8:9], v[40:41], v[10:11] op_sel_hi:[1,1,0]
	v_mov_b32_e32 v13, v9
	ds_load_2addr_b64 v[8:11], v216 offset0:13 offset1:14
	v_pk_add_f32 v[66:67], v[66:67], v[12:13] neg_lo:[0,1] neg_hi:[0,1]
	s_wait_dscnt 0x0
	v_pk_mul_f32 v[12:13], v[8:9], v[6:7] op_sel:[0,1]
	s_delay_alu instid0(VALU_DEP_1) | instskip(SKIP_1) | instid1(VALU_DEP_1)
	v_pk_fma_f32 v[14:15], v[8:9], v[4:5], v[12:13] op_sel:[0,0,1] op_sel_hi:[1,1,0] neg_lo:[0,0,1] neg_hi:[0,0,1]
	v_pk_fma_f32 v[8:9], v[8:9], v[4:5], v[12:13] op_sel:[0,0,1] op_sel_hi:[1,0,0]
	v_mov_b32_e32 v15, v9
	v_pk_mul_f32 v[8:9], v[10:11], v[6:7] op_sel:[0,1]
	s_delay_alu instid0(VALU_DEP_1) | instskip(SKIP_1) | instid1(VALU_DEP_1)
	v_pk_fma_f32 v[12:13], v[10:11], v[4:5], v[8:9] op_sel:[0,0,1] op_sel_hi:[1,1,0] neg_lo:[0,0,1] neg_hi:[0,0,1]
	v_pk_fma_f32 v[8:9], v[10:11], v[4:5], v[8:9] op_sel:[0,0,1] op_sel_hi:[1,0,0]
	v_mov_b32_e32 v13, v9
	ds_load_2addr_b64 v[8:11], v216 offset0:15 offset1:16
	v_pk_add_f32 v[62:63], v[62:63], v[14:15] neg_lo:[0,1] neg_hi:[0,1]
	v_pk_add_f32 v[64:65], v[64:65], v[12:13] neg_lo:[0,1] neg_hi:[0,1]
	s_wait_dscnt 0x0
	v_pk_mul_f32 v[12:13], v[8:9], v[6:7] op_sel:[0,1]
	s_delay_alu instid0(VALU_DEP_1) | instskip(SKIP_1) | instid1(VALU_DEP_1)
	v_pk_fma_f32 v[14:15], v[8:9], v[4:5], v[12:13] op_sel:[0,0,1] op_sel_hi:[1,1,0] neg_lo:[0,0,1] neg_hi:[0,0,1]
	v_pk_fma_f32 v[8:9], v[8:9], v[4:5], v[12:13] op_sel:[0,0,1] op_sel_hi:[1,0,0]
	v_mov_b32_e32 v15, v9
	v_pk_mul_f32 v[8:9], v[10:11], v[6:7] op_sel:[0,1]
	s_delay_alu instid0(VALU_DEP_1) | instskip(SKIP_1) | instid1(VALU_DEP_1)
	v_pk_fma_f32 v[12:13], v[10:11], v[4:5], v[8:9] op_sel:[0,0,1] op_sel_hi:[1,1,0] neg_lo:[0,0,1] neg_hi:[0,0,1]
	v_pk_fma_f32 v[8:9], v[10:11], v[4:5], v[8:9] op_sel:[0,0,1] op_sel_hi:[1,0,0]
	v_mov_b32_e32 v13, v9
	ds_load_2addr_b64 v[8:11], v216 offset0:17 offset1:18
	v_pk_add_f32 v[60:61], v[60:61], v[14:15] neg_lo:[0,1] neg_hi:[0,1]
	v_pk_add_f32 v[82:83], v[82:83], v[12:13] neg_lo:[0,1] neg_hi:[0,1]
	s_wait_dscnt 0x0
	v_dual_mul_f32 v12, v9, v7 :: v_dual_mul_f32 v14, v9, v4
	s_delay_alu instid0(VALU_DEP_1) | instskip(NEXT) | instid1(VALU_DEP_2)
	v_pk_fma_f32 v[12:13], v[8:9], v[40:41], v[12:13] op_sel_hi:[1,1,0] neg_lo:[0,0,1] neg_hi:[0,0,1]
	v_pk_fma_f32 v[8:9], v[8:9], v[40:41], v[14:15] op_sel:[1,0,0] op_sel_hi:[0,1,0]
	s_delay_alu instid0(VALU_DEP_1) | instskip(SKIP_1) | instid1(VALU_DEP_2)
	v_mov_b32_e32 v13, v9
	v_pk_mul_f32 v[8:9], v[10:11], v[6:7] op_sel:[0,1]
	v_pk_add_f32 v[78:79], v[78:79], v[12:13] neg_lo:[0,1] neg_hi:[0,1]
	s_delay_alu instid0(VALU_DEP_2) | instskip(SKIP_1) | instid1(VALU_DEP_1)
	v_pk_fma_f32 v[12:13], v[10:11], v[4:5], v[8:9] op_sel:[0,0,1] op_sel_hi:[1,1,0] neg_lo:[0,0,1] neg_hi:[0,0,1]
	v_pk_fma_f32 v[8:9], v[10:11], v[4:5], v[8:9] op_sel:[0,0,1] op_sel_hi:[1,0,0]
	v_mov_b32_e32 v13, v9
	ds_load_2addr_b64 v[8:11], v216 offset0:19 offset1:20
	v_pk_add_f32 v[80:81], v[80:81], v[12:13] neg_lo:[0,1] neg_hi:[0,1]
	s_wait_dscnt 0x0
	v_pk_mul_f32 v[12:13], v[8:9], v[6:7] op_sel:[0,1]
	s_delay_alu instid0(VALU_DEP_1) | instskip(SKIP_1) | instid1(VALU_DEP_1)
	v_pk_fma_f32 v[14:15], v[8:9], v[4:5], v[12:13] op_sel:[0,0,1] op_sel_hi:[1,1,0] neg_lo:[0,0,1] neg_hi:[0,0,1]
	v_pk_fma_f32 v[8:9], v[8:9], v[4:5], v[12:13] op_sel:[0,0,1] op_sel_hi:[1,0,0]
	v_mov_b32_e32 v15, v9
	v_pk_mul_f32 v[8:9], v[10:11], v[6:7] op_sel:[0,1]
	s_delay_alu instid0(VALU_DEP_2) | instskip(NEXT) | instid1(VALU_DEP_2)
	v_pk_add_f32 v[76:77], v[76:77], v[14:15] neg_lo:[0,1] neg_hi:[0,1]
	v_pk_fma_f32 v[12:13], v[10:11], v[4:5], v[8:9] op_sel:[0,0,1] op_sel_hi:[1,1,0] neg_lo:[0,0,1] neg_hi:[0,0,1]
	v_pk_fma_f32 v[8:9], v[10:11], v[4:5], v[8:9] op_sel:[0,0,1] op_sel_hi:[1,0,0]
	s_delay_alu instid0(VALU_DEP_1) | instskip(SKIP_4) | instid1(VALU_DEP_1)
	v_mov_b32_e32 v13, v9
	ds_load_2addr_b64 v[8:11], v216 offset0:21 offset1:22
	v_pk_add_f32 v[98:99], v[98:99], v[12:13] neg_lo:[0,1] neg_hi:[0,1]
	s_wait_dscnt 0x0
	v_pk_mul_f32 v[12:13], v[8:9], v[6:7] op_sel:[0,1]
	v_pk_fma_f32 v[14:15], v[8:9], v[4:5], v[12:13] op_sel:[0,0,1] op_sel_hi:[1,1,0] neg_lo:[0,0,1] neg_hi:[0,0,1]
	v_pk_fma_f32 v[8:9], v[8:9], v[4:5], v[12:13] op_sel:[0,0,1] op_sel_hi:[1,0,0]
	v_dual_mul_f32 v12, v11, v7 :: v_dual_mov_b32 v8, v11
	s_delay_alu instid0(VALU_DEP_2) | instskip(NEXT) | instid1(VALU_DEP_2)
	v_dual_mov_b32 v15, v9 :: v_dual_mov_b32 v9, v10
	v_pk_fma_f32 v[12:13], v[10:11], v[40:41], v[12:13] op_sel_hi:[1,1,0] neg_lo:[0,0,1] neg_hi:[0,0,1]
	v_mul_f32_e32 v10, v11, v4
	s_delay_alu instid0(VALU_DEP_3) | instskip(NEXT) | instid1(VALU_DEP_2)
	v_pk_add_f32 v[94:95], v[94:95], v[14:15] neg_lo:[0,1] neg_hi:[0,1]
	v_pk_fma_f32 v[8:9], v[8:9], v[40:41], v[10:11] op_sel_hi:[1,1,0]
	s_delay_alu instid0(VALU_DEP_1) | instskip(SKIP_4) | instid1(VALU_DEP_1)
	v_mov_b32_e32 v13, v9
	ds_load_2addr_b64 v[8:11], v216 offset0:23 offset1:24
	v_pk_add_f32 v[96:97], v[96:97], v[12:13] neg_lo:[0,1] neg_hi:[0,1]
	s_wait_dscnt 0x0
	v_pk_mul_f32 v[12:13], v[8:9], v[6:7] op_sel:[0,1]
	v_pk_fma_f32 v[14:15], v[8:9], v[4:5], v[12:13] op_sel:[0,0,1] op_sel_hi:[1,1,0] neg_lo:[0,0,1] neg_hi:[0,0,1]
	v_pk_fma_f32 v[8:9], v[8:9], v[4:5], v[12:13] op_sel:[0,0,1] op_sel_hi:[1,0,0]
	s_delay_alu instid0(VALU_DEP_1) | instskip(SKIP_1) | instid1(VALU_DEP_1)
	v_mov_b32_e32 v15, v9
	v_pk_mul_f32 v[8:9], v[10:11], v[6:7] op_sel:[0,1]
	v_pk_fma_f32 v[12:13], v[10:11], v[4:5], v[8:9] op_sel:[0,0,1] op_sel_hi:[1,1,0] neg_lo:[0,0,1] neg_hi:[0,0,1]
	v_pk_fma_f32 v[8:9], v[10:11], v[4:5], v[8:9] op_sel:[0,0,1] op_sel_hi:[1,0,0]
	s_delay_alu instid0(VALU_DEP_1)
	v_mov_b32_e32 v13, v9
	ds_load_2addr_b64 v[8:11], v216 offset0:25 offset1:26
	v_pk_add_f32 v[92:93], v[92:93], v[14:15] neg_lo:[0,1] neg_hi:[0,1]
	v_pk_add_f32 v[114:115], v[114:115], v[12:13] neg_lo:[0,1] neg_hi:[0,1]
	s_wait_dscnt 0x0
	v_pk_mul_f32 v[12:13], v[8:9], v[6:7] op_sel:[0,1]
	s_delay_alu instid0(VALU_DEP_1) | instskip(SKIP_1) | instid1(VALU_DEP_1)
	v_pk_fma_f32 v[14:15], v[8:9], v[4:5], v[12:13] op_sel:[0,0,1] op_sel_hi:[1,1,0] neg_lo:[0,0,1] neg_hi:[0,0,1]
	v_pk_fma_f32 v[8:9], v[8:9], v[4:5], v[12:13] op_sel:[0,0,1] op_sel_hi:[1,0,0]
	v_mov_b32_e32 v15, v9
	v_pk_mul_f32 v[8:9], v[10:11], v[6:7] op_sel:[0,1]
	s_delay_alu instid0(VALU_DEP_1) | instskip(SKIP_1) | instid1(VALU_DEP_1)
	v_pk_fma_f32 v[12:13], v[10:11], v[4:5], v[8:9] op_sel:[0,0,1] op_sel_hi:[1,1,0] neg_lo:[0,0,1] neg_hi:[0,0,1]
	v_pk_fma_f32 v[8:9], v[10:11], v[4:5], v[8:9] op_sel:[0,0,1] op_sel_hi:[1,0,0]
	v_mov_b32_e32 v13, v9
	ds_load_2addr_b64 v[8:11], v216 offset0:27 offset1:28
	v_pk_add_f32 v[110:111], v[110:111], v[14:15] neg_lo:[0,1] neg_hi:[0,1]
	v_pk_add_f32 v[112:113], v[112:113], v[12:13] neg_lo:[0,1] neg_hi:[0,1]
	s_wait_dscnt 0x0
	v_dual_mul_f32 v12, v9, v7 :: v_dual_mul_f32 v14, v9, v4
	s_delay_alu instid0(VALU_DEP_1) | instskip(NEXT) | instid1(VALU_DEP_2)
	v_pk_fma_f32 v[12:13], v[8:9], v[40:41], v[12:13] op_sel_hi:[1,1,0] neg_lo:[0,0,1] neg_hi:[0,0,1]
	v_pk_fma_f32 v[8:9], v[8:9], v[40:41], v[14:15] op_sel:[1,0,0] op_sel_hi:[0,1,0]
	s_delay_alu instid0(VALU_DEP_1) | instskip(SKIP_1) | instid1(VALU_DEP_2)
	v_mov_b32_e32 v13, v9
	v_pk_mul_f32 v[8:9], v[10:11], v[6:7] op_sel:[0,1]
	v_pk_add_f32 v[108:109], v[108:109], v[12:13] neg_lo:[0,1] neg_hi:[0,1]
	s_delay_alu instid0(VALU_DEP_2) | instskip(SKIP_1) | instid1(VALU_DEP_1)
	v_pk_fma_f32 v[12:13], v[10:11], v[4:5], v[8:9] op_sel:[0,0,1] op_sel_hi:[1,1,0] neg_lo:[0,0,1] neg_hi:[0,0,1]
	v_pk_fma_f32 v[8:9], v[10:11], v[4:5], v[8:9] op_sel:[0,0,1] op_sel_hi:[1,0,0]
	v_mov_b32_e32 v13, v9
	ds_load_2addr_b64 v[8:11], v216 offset0:29 offset1:30
	v_pk_add_f32 v[130:131], v[130:131], v[12:13] neg_lo:[0,1] neg_hi:[0,1]
	s_wait_dscnt 0x0
	v_pk_mul_f32 v[12:13], v[8:9], v[6:7] op_sel:[0,1]
	s_delay_alu instid0(VALU_DEP_1) | instskip(SKIP_1) | instid1(VALU_DEP_1)
	v_pk_fma_f32 v[14:15], v[8:9], v[4:5], v[12:13] op_sel:[0,0,1] op_sel_hi:[1,1,0] neg_lo:[0,0,1] neg_hi:[0,0,1]
	v_pk_fma_f32 v[8:9], v[8:9], v[4:5], v[12:13] op_sel:[0,0,1] op_sel_hi:[1,0,0]
	v_mov_b32_e32 v15, v9
	v_pk_mul_f32 v[8:9], v[10:11], v[6:7] op_sel:[0,1]
	s_delay_alu instid0(VALU_DEP_2) | instskip(NEXT) | instid1(VALU_DEP_2)
	v_pk_add_f32 v[126:127], v[126:127], v[14:15] neg_lo:[0,1] neg_hi:[0,1]
	v_pk_fma_f32 v[12:13], v[10:11], v[4:5], v[8:9] op_sel:[0,0,1] op_sel_hi:[1,1,0] neg_lo:[0,0,1] neg_hi:[0,0,1]
	v_pk_fma_f32 v[8:9], v[10:11], v[4:5], v[8:9] op_sel:[0,0,1] op_sel_hi:[1,0,0]
	s_delay_alu instid0(VALU_DEP_1) | instskip(SKIP_4) | instid1(VALU_DEP_1)
	v_mov_b32_e32 v13, v9
	ds_load_2addr_b64 v[8:11], v216 offset0:31 offset1:32
	v_pk_add_f32 v[128:129], v[128:129], v[12:13] neg_lo:[0,1] neg_hi:[0,1]
	s_wait_dscnt 0x0
	v_pk_mul_f32 v[12:13], v[8:9], v[6:7] op_sel:[0,1]
	v_pk_fma_f32 v[14:15], v[8:9], v[4:5], v[12:13] op_sel:[0,0,1] op_sel_hi:[1,1,0] neg_lo:[0,0,1] neg_hi:[0,0,1]
	v_pk_fma_f32 v[8:9], v[8:9], v[4:5], v[12:13] op_sel:[0,0,1] op_sel_hi:[1,0,0]
	v_dual_mul_f32 v12, v11, v7 :: v_dual_mov_b32 v8, v11
	s_delay_alu instid0(VALU_DEP_2) | instskip(NEXT) | instid1(VALU_DEP_2)
	v_dual_mov_b32 v15, v9 :: v_dual_mov_b32 v9, v10
	v_pk_fma_f32 v[12:13], v[10:11], v[40:41], v[12:13] op_sel_hi:[1,1,0] neg_lo:[0,0,1] neg_hi:[0,0,1]
	v_mul_f32_e32 v10, v11, v4
	s_delay_alu instid0(VALU_DEP_3) | instskip(NEXT) | instid1(VALU_DEP_2)
	v_pk_add_f32 v[124:125], v[124:125], v[14:15] neg_lo:[0,1] neg_hi:[0,1]
	v_pk_fma_f32 v[8:9], v[8:9], v[40:41], v[10:11] op_sel_hi:[1,1,0]
	s_delay_alu instid0(VALU_DEP_1) | instskip(SKIP_4) | instid1(VALU_DEP_1)
	v_mov_b32_e32 v13, v9
	ds_load_2addr_b64 v[8:11], v216 offset0:33 offset1:34
	v_pk_add_f32 v[146:147], v[146:147], v[12:13] neg_lo:[0,1] neg_hi:[0,1]
	s_wait_dscnt 0x0
	v_pk_mul_f32 v[12:13], v[8:9], v[6:7] op_sel:[0,1]
	v_pk_fma_f32 v[14:15], v[8:9], v[4:5], v[12:13] op_sel:[0,0,1] op_sel_hi:[1,1,0] neg_lo:[0,0,1] neg_hi:[0,0,1]
	v_pk_fma_f32 v[8:9], v[8:9], v[4:5], v[12:13] op_sel:[0,0,1] op_sel_hi:[1,0,0]
	s_delay_alu instid0(VALU_DEP_1) | instskip(SKIP_1) | instid1(VALU_DEP_1)
	v_mov_b32_e32 v15, v9
	v_pk_mul_f32 v[8:9], v[10:11], v[6:7] op_sel:[0,1]
	v_pk_fma_f32 v[12:13], v[10:11], v[4:5], v[8:9] op_sel:[0,0,1] op_sel_hi:[1,1,0] neg_lo:[0,0,1] neg_hi:[0,0,1]
	v_pk_fma_f32 v[8:9], v[10:11], v[4:5], v[8:9] op_sel:[0,0,1] op_sel_hi:[1,0,0]
	s_delay_alu instid0(VALU_DEP_1)
	v_mov_b32_e32 v13, v9
	ds_load_2addr_b64 v[8:11], v216 offset0:35 offset1:36
	v_pk_add_f32 v[142:143], v[142:143], v[14:15] neg_lo:[0,1] neg_hi:[0,1]
	v_pk_add_f32 v[144:145], v[144:145], v[12:13] neg_lo:[0,1] neg_hi:[0,1]
	s_wait_dscnt 0x0
	v_pk_mul_f32 v[12:13], v[8:9], v[6:7] op_sel:[0,1]
	s_delay_alu instid0(VALU_DEP_1) | instskip(SKIP_1) | instid1(VALU_DEP_1)
	v_pk_fma_f32 v[14:15], v[8:9], v[4:5], v[12:13] op_sel:[0,0,1] op_sel_hi:[1,1,0] neg_lo:[0,0,1] neg_hi:[0,0,1]
	v_pk_fma_f32 v[8:9], v[8:9], v[4:5], v[12:13] op_sel:[0,0,1] op_sel_hi:[1,0,0]
	v_mov_b32_e32 v15, v9
	v_pk_mul_f32 v[8:9], v[10:11], v[6:7] op_sel:[0,1]
	s_delay_alu instid0(VALU_DEP_1) | instskip(SKIP_1) | instid1(VALU_DEP_1)
	v_pk_fma_f32 v[12:13], v[10:11], v[4:5], v[8:9] op_sel:[0,0,1] op_sel_hi:[1,1,0] neg_lo:[0,0,1] neg_hi:[0,0,1]
	v_pk_fma_f32 v[8:9], v[10:11], v[4:5], v[8:9] op_sel:[0,0,1] op_sel_hi:[1,0,0]
	v_mov_b32_e32 v13, v9
	ds_load_2addr_b64 v[8:11], v216 offset0:37 offset1:38
	v_pk_add_f32 v[140:141], v[140:141], v[14:15] neg_lo:[0,1] neg_hi:[0,1]
	v_pk_add_f32 v[162:163], v[162:163], v[12:13] neg_lo:[0,1] neg_hi:[0,1]
	s_wait_dscnt 0x0
	v_dual_mul_f32 v12, v9, v7 :: v_dual_mul_f32 v14, v9, v4
	s_delay_alu instid0(VALU_DEP_1) | instskip(NEXT) | instid1(VALU_DEP_2)
	v_pk_fma_f32 v[12:13], v[8:9], v[40:41], v[12:13] op_sel_hi:[1,1,0] neg_lo:[0,0,1] neg_hi:[0,0,1]
	v_pk_fma_f32 v[8:9], v[8:9], v[40:41], v[14:15] op_sel:[1,0,0] op_sel_hi:[0,1,0]
	s_delay_alu instid0(VALU_DEP_1) | instskip(SKIP_1) | instid1(VALU_DEP_2)
	v_mov_b32_e32 v13, v9
	v_pk_mul_f32 v[8:9], v[10:11], v[6:7] op_sel:[0,1]
	v_pk_add_f32 v[158:159], v[158:159], v[12:13] neg_lo:[0,1] neg_hi:[0,1]
	s_delay_alu instid0(VALU_DEP_2) | instskip(SKIP_1) | instid1(VALU_DEP_1)
	v_pk_fma_f32 v[12:13], v[10:11], v[4:5], v[8:9] op_sel:[0,0,1] op_sel_hi:[1,1,0] neg_lo:[0,0,1] neg_hi:[0,0,1]
	v_pk_fma_f32 v[8:9], v[10:11], v[4:5], v[8:9] op_sel:[0,0,1] op_sel_hi:[1,0,0]
	v_mov_b32_e32 v13, v9
	ds_load_2addr_b64 v[8:11], v216 offset0:39 offset1:40
	v_pk_add_f32 v[160:161], v[160:161], v[12:13] neg_lo:[0,1] neg_hi:[0,1]
	s_wait_dscnt 0x0
	v_pk_mul_f32 v[12:13], v[8:9], v[6:7] op_sel:[0,1]
	s_delay_alu instid0(VALU_DEP_1) | instskip(SKIP_1) | instid1(VALU_DEP_1)
	v_pk_fma_f32 v[14:15], v[8:9], v[4:5], v[12:13] op_sel:[0,0,1] op_sel_hi:[1,1,0] neg_lo:[0,0,1] neg_hi:[0,0,1]
	v_pk_fma_f32 v[8:9], v[8:9], v[4:5], v[12:13] op_sel:[0,0,1] op_sel_hi:[1,0,0]
	v_mov_b32_e32 v15, v9
	v_pk_mul_f32 v[8:9], v[10:11], v[6:7] op_sel:[0,1]
	s_delay_alu instid0(VALU_DEP_2) | instskip(NEXT) | instid1(VALU_DEP_2)
	v_pk_add_f32 v[156:157], v[156:157], v[14:15] neg_lo:[0,1] neg_hi:[0,1]
	v_pk_fma_f32 v[12:13], v[10:11], v[4:5], v[8:9] op_sel:[0,0,1] op_sel_hi:[1,1,0] neg_lo:[0,0,1] neg_hi:[0,0,1]
	v_pk_fma_f32 v[8:9], v[10:11], v[4:5], v[8:9] op_sel:[0,0,1] op_sel_hi:[1,0,0]
	s_delay_alu instid0(VALU_DEP_1) | instskip(SKIP_4) | instid1(VALU_DEP_1)
	v_mov_b32_e32 v13, v9
	ds_load_2addr_b64 v[8:11], v216 offset0:41 offset1:42
	v_pk_add_f32 v[178:179], v[178:179], v[12:13] neg_lo:[0,1] neg_hi:[0,1]
	s_wait_dscnt 0x0
	v_pk_mul_f32 v[12:13], v[8:9], v[6:7] op_sel:[0,1]
	v_pk_fma_f32 v[14:15], v[8:9], v[4:5], v[12:13] op_sel:[0,0,1] op_sel_hi:[1,1,0] neg_lo:[0,0,1] neg_hi:[0,0,1]
	v_pk_fma_f32 v[8:9], v[8:9], v[4:5], v[12:13] op_sel:[0,0,1] op_sel_hi:[1,0,0]
	v_dual_mul_f32 v12, v11, v7 :: v_dual_mov_b32 v8, v11
	s_delay_alu instid0(VALU_DEP_2) | instskip(NEXT) | instid1(VALU_DEP_2)
	v_dual_mov_b32 v15, v9 :: v_dual_mov_b32 v9, v10
	v_pk_fma_f32 v[12:13], v[10:11], v[40:41], v[12:13] op_sel_hi:[1,1,0] neg_lo:[0,0,1] neg_hi:[0,0,1]
	v_mul_f32_e32 v10, v11, v4
	s_delay_alu instid0(VALU_DEP_3) | instskip(NEXT) | instid1(VALU_DEP_2)
	v_pk_add_f32 v[174:175], v[174:175], v[14:15] neg_lo:[0,1] neg_hi:[0,1]
	v_pk_fma_f32 v[8:9], v[8:9], v[40:41], v[10:11] op_sel_hi:[1,1,0]
	s_delay_alu instid0(VALU_DEP_1) | instskip(SKIP_4) | instid1(VALU_DEP_1)
	v_mov_b32_e32 v13, v9
	ds_load_2addr_b64 v[8:11], v216 offset0:43 offset1:44
	v_pk_add_f32 v[176:177], v[176:177], v[12:13] neg_lo:[0,1] neg_hi:[0,1]
	s_wait_dscnt 0x0
	v_pk_mul_f32 v[12:13], v[8:9], v[6:7] op_sel:[0,1]
	v_pk_fma_f32 v[14:15], v[8:9], v[4:5], v[12:13] op_sel:[0,0,1] op_sel_hi:[1,1,0] neg_lo:[0,0,1] neg_hi:[0,0,1]
	v_pk_fma_f32 v[8:9], v[8:9], v[4:5], v[12:13] op_sel:[0,0,1] op_sel_hi:[1,0,0]
	s_delay_alu instid0(VALU_DEP_1) | instskip(SKIP_1) | instid1(VALU_DEP_1)
	v_mov_b32_e32 v15, v9
	v_pk_mul_f32 v[8:9], v[10:11], v[6:7] op_sel:[0,1]
	v_pk_fma_f32 v[12:13], v[10:11], v[4:5], v[8:9] op_sel:[0,0,1] op_sel_hi:[1,1,0] neg_lo:[0,0,1] neg_hi:[0,0,1]
	v_pk_fma_f32 v[8:9], v[10:11], v[4:5], v[8:9] op_sel:[0,0,1] op_sel_hi:[1,0,0]
	s_delay_alu instid0(VALU_DEP_1)
	v_mov_b32_e32 v13, v9
	ds_load_2addr_b64 v[8:11], v216 offset0:45 offset1:46
	v_pk_add_f32 v[172:173], v[172:173], v[14:15] neg_lo:[0,1] neg_hi:[0,1]
	v_pk_add_f32 v[194:195], v[194:195], v[12:13] neg_lo:[0,1] neg_hi:[0,1]
	s_wait_dscnt 0x0
	v_pk_mul_f32 v[12:13], v[8:9], v[6:7] op_sel:[0,1]
	s_delay_alu instid0(VALU_DEP_1) | instskip(SKIP_1) | instid1(VALU_DEP_1)
	v_pk_fma_f32 v[14:15], v[8:9], v[4:5], v[12:13] op_sel:[0,0,1] op_sel_hi:[1,1,0] neg_lo:[0,0,1] neg_hi:[0,0,1]
	v_pk_fma_f32 v[8:9], v[8:9], v[4:5], v[12:13] op_sel:[0,0,1] op_sel_hi:[1,0,0]
	v_mov_b32_e32 v15, v9
	v_pk_mul_f32 v[8:9], v[10:11], v[6:7] op_sel:[0,1]
	s_delay_alu instid0(VALU_DEP_1) | instskip(SKIP_1) | instid1(VALU_DEP_1)
	v_pk_fma_f32 v[12:13], v[10:11], v[4:5], v[8:9] op_sel:[0,0,1] op_sel_hi:[1,1,0] neg_lo:[0,0,1] neg_hi:[0,0,1]
	v_pk_fma_f32 v[8:9], v[10:11], v[4:5], v[8:9] op_sel:[0,0,1] op_sel_hi:[1,0,0]
	v_mov_b32_e32 v13, v9
	ds_load_2addr_b64 v[8:11], v216 offset0:47 offset1:48
	v_pk_add_f32 v[190:191], v[190:191], v[14:15] neg_lo:[0,1] neg_hi:[0,1]
	v_pk_add_f32 v[192:193], v[192:193], v[12:13] neg_lo:[0,1] neg_hi:[0,1]
	s_wait_dscnt 0x0
	v_dual_mul_f32 v12, v9, v7 :: v_dual_mul_f32 v14, v9, v4
	s_delay_alu instid0(VALU_DEP_1) | instskip(NEXT) | instid1(VALU_DEP_2)
	v_pk_fma_f32 v[12:13], v[8:9], v[40:41], v[12:13] op_sel_hi:[1,1,0] neg_lo:[0,0,1] neg_hi:[0,0,1]
	v_pk_fma_f32 v[8:9], v[8:9], v[40:41], v[14:15] op_sel:[1,0,0] op_sel_hi:[0,1,0]
	s_delay_alu instid0(VALU_DEP_1) | instskip(SKIP_1) | instid1(VALU_DEP_2)
	v_mov_b32_e32 v13, v9
	v_pk_mul_f32 v[8:9], v[10:11], v[6:7] op_sel:[0,1]
	v_pk_add_f32 v[188:189], v[188:189], v[12:13] neg_lo:[0,1] neg_hi:[0,1]
	s_delay_alu instid0(VALU_DEP_2) | instskip(SKIP_1) | instid1(VALU_DEP_1)
	v_pk_fma_f32 v[12:13], v[10:11], v[4:5], v[8:9] op_sel:[0,0,1] op_sel_hi:[1,1,0] neg_lo:[0,0,1] neg_hi:[0,0,1]
	v_pk_fma_f32 v[8:9], v[10:11], v[4:5], v[8:9] op_sel:[0,0,1] op_sel_hi:[1,0,0]
	v_mov_b32_e32 v13, v9
	ds_load_2addr_b64 v[8:11], v216 offset0:49 offset1:50
	v_pk_add_f32 v[214:215], v[214:215], v[12:13] neg_lo:[0,1] neg_hi:[0,1]
	s_wait_dscnt 0x0
	v_pk_mul_f32 v[12:13], v[8:9], v[6:7] op_sel:[0,1]
	s_delay_alu instid0(VALU_DEP_1) | instskip(SKIP_1) | instid1(VALU_DEP_1)
	v_pk_fma_f32 v[14:15], v[8:9], v[4:5], v[12:13] op_sel:[0,0,1] op_sel_hi:[1,1,0] neg_lo:[0,0,1] neg_hi:[0,0,1]
	v_pk_fma_f32 v[8:9], v[8:9], v[4:5], v[12:13] op_sel:[0,0,1] op_sel_hi:[1,0,0]
	v_mov_b32_e32 v15, v9
	v_pk_mul_f32 v[8:9], v[10:11], v[6:7] op_sel:[0,1]
	s_delay_alu instid0(VALU_DEP_2) | instskip(NEXT) | instid1(VALU_DEP_2)
	v_pk_add_f32 v[210:211], v[210:211], v[14:15] neg_lo:[0,1] neg_hi:[0,1]
	v_pk_fma_f32 v[12:13], v[10:11], v[4:5], v[8:9] op_sel:[0,0,1] op_sel_hi:[1,1,0] neg_lo:[0,0,1] neg_hi:[0,0,1]
	v_pk_fma_f32 v[8:9], v[10:11], v[4:5], v[8:9] op_sel:[0,0,1] op_sel_hi:[1,0,0]
	s_delay_alu instid0(VALU_DEP_1) | instskip(SKIP_4) | instid1(VALU_DEP_1)
	v_mov_b32_e32 v13, v9
	ds_load_2addr_b64 v[8:11], v216 offset0:51 offset1:52
	v_pk_add_f32 v[212:213], v[212:213], v[12:13] neg_lo:[0,1] neg_hi:[0,1]
	s_wait_dscnt 0x0
	v_pk_mul_f32 v[12:13], v[8:9], v[6:7] op_sel:[0,1]
	v_pk_fma_f32 v[14:15], v[8:9], v[4:5], v[12:13] op_sel:[0,0,1] op_sel_hi:[1,1,0] neg_lo:[0,0,1] neg_hi:[0,0,1]
	v_pk_fma_f32 v[8:9], v[8:9], v[4:5], v[12:13] op_sel:[0,0,1] op_sel_hi:[1,0,0]
	v_dual_mul_f32 v12, v11, v7 :: v_dual_mov_b32 v8, v11
	s_delay_alu instid0(VALU_DEP_2) | instskip(NEXT) | instid1(VALU_DEP_2)
	v_dual_mov_b32 v15, v9 :: v_dual_mov_b32 v9, v10
	v_pk_fma_f32 v[12:13], v[10:11], v[40:41], v[12:13] op_sel_hi:[1,1,0] neg_lo:[0,0,1] neg_hi:[0,0,1]
	v_mul_f32_e32 v10, v11, v4
	s_delay_alu instid0(VALU_DEP_3) | instskip(NEXT) | instid1(VALU_DEP_2)
	v_pk_add_f32 v[208:209], v[208:209], v[14:15] neg_lo:[0,1] neg_hi:[0,1]
	v_pk_fma_f32 v[8:9], v[8:9], v[40:41], v[10:11] op_sel_hi:[1,1,0]
	s_delay_alu instid0(VALU_DEP_1) | instskip(SKIP_4) | instid1(VALU_DEP_1)
	v_mov_b32_e32 v13, v9
	ds_load_2addr_b64 v[8:11], v216 offset0:53 offset1:54
	v_pk_add_f32 v[236:237], v[236:237], v[12:13] neg_lo:[0,1] neg_hi:[0,1]
	s_wait_dscnt 0x0
	v_pk_mul_f32 v[12:13], v[8:9], v[6:7] op_sel:[0,1]
	v_pk_fma_f32 v[14:15], v[8:9], v[4:5], v[12:13] op_sel:[0,0,1] op_sel_hi:[1,1,0] neg_lo:[0,0,1] neg_hi:[0,0,1]
	v_pk_fma_f32 v[8:9], v[8:9], v[4:5], v[12:13] op_sel:[0,0,1] op_sel_hi:[1,0,0]
	s_delay_alu instid0(VALU_DEP_1) | instskip(SKIP_1) | instid1(VALU_DEP_1)
	v_mov_b32_e32 v15, v9
	v_pk_mul_f32 v[8:9], v[10:11], v[6:7] op_sel:[0,1]
	v_pk_fma_f32 v[12:13], v[10:11], v[4:5], v[8:9] op_sel:[0,0,1] op_sel_hi:[1,1,0] neg_lo:[0,0,1] neg_hi:[0,0,1]
	v_pk_fma_f32 v[8:9], v[10:11], v[4:5], v[8:9] op_sel:[0,0,1] op_sel_hi:[1,0,0]
	s_delay_alu instid0(VALU_DEP_1)
	v_mov_b32_e32 v13, v9
	ds_load_2addr_b64 v[8:11], v216 offset0:55 offset1:56
	v_pk_add_f32 v[230:231], v[230:231], v[14:15] neg_lo:[0,1] neg_hi:[0,1]
	v_pk_add_f32 v[234:235], v[234:235], v[12:13] neg_lo:[0,1] neg_hi:[0,1]
	s_wait_dscnt 0x0
	v_pk_mul_f32 v[12:13], v[8:9], v[6:7] op_sel:[0,1]
	s_delay_alu instid0(VALU_DEP_1) | instskip(SKIP_1) | instid1(VALU_DEP_1)
	v_pk_fma_f32 v[14:15], v[8:9], v[4:5], v[12:13] op_sel:[0,0,1] op_sel_hi:[1,1,0] neg_lo:[0,0,1] neg_hi:[0,0,1]
	v_pk_fma_f32 v[8:9], v[8:9], v[4:5], v[12:13] op_sel:[0,0,1] op_sel_hi:[1,0,0]
	v_mov_b32_e32 v15, v9
	v_pk_mul_f32 v[8:9], v[10:11], v[6:7] op_sel:[0,1]
	s_delay_alu instid0(VALU_DEP_1) | instskip(SKIP_1) | instid1(VALU_DEP_1)
	v_pk_fma_f32 v[12:13], v[10:11], v[4:5], v[8:9] op_sel:[0,0,1] op_sel_hi:[1,1,0] neg_lo:[0,0,1] neg_hi:[0,0,1]
	v_pk_fma_f32 v[8:9], v[10:11], v[4:5], v[8:9] op_sel:[0,0,1] op_sel_hi:[1,0,0]
	v_mov_b32_e32 v13, v9
	ds_load_2addr_b64 v[8:11], v216 offset0:57 offset1:58
	v_pk_add_f32 v[228:229], v[228:229], v[14:15] neg_lo:[0,1] neg_hi:[0,1]
	v_pk_add_f32 v[232:233], v[232:233], v[12:13] neg_lo:[0,1] neg_hi:[0,1]
	s_wait_dscnt 0x0
	v_dual_mul_f32 v12, v9, v7 :: v_dual_mul_f32 v14, v9, v4
	s_delay_alu instid0(VALU_DEP_1) | instskip(NEXT) | instid1(VALU_DEP_2)
	v_pk_fma_f32 v[12:13], v[8:9], v[40:41], v[12:13] op_sel_hi:[1,1,0] neg_lo:[0,0,1] neg_hi:[0,0,1]
	v_pk_fma_f32 v[8:9], v[8:9], v[40:41], v[14:15] op_sel:[1,0,0] op_sel_hi:[0,1,0]
	s_delay_alu instid0(VALU_DEP_1) | instskip(SKIP_1) | instid1(VALU_DEP_2)
	v_mov_b32_e32 v13, v9
	v_pk_mul_f32 v[8:9], v[10:11], v[6:7] op_sel:[0,1]
	v_pk_add_f32 v[226:227], v[226:227], v[12:13] neg_lo:[0,1] neg_hi:[0,1]
	s_delay_alu instid0(VALU_DEP_2) | instskip(SKIP_1) | instid1(VALU_DEP_1)
	v_pk_fma_f32 v[12:13], v[10:11], v[4:5], v[8:9] op_sel:[0,0,1] op_sel_hi:[1,1,0] neg_lo:[0,0,1] neg_hi:[0,0,1]
	v_pk_fma_f32 v[8:9], v[10:11], v[4:5], v[8:9] op_sel:[0,0,1] op_sel_hi:[1,0,0]
	v_mov_b32_e32 v13, v9
	ds_load_b64 v[8:9], v216 offset:472
	v_pk_add_f32 v[238:239], v[238:239], v[12:13] neg_lo:[0,1] neg_hi:[0,1]
	s_wait_dscnt 0x0
	v_pk_mul_f32 v[6:7], v[8:9], v[6:7] op_sel:[0,1]
	s_delay_alu instid0(VALU_DEP_1) | instskip(SKIP_1) | instid1(VALU_DEP_1)
	v_pk_fma_f32 v[10:11], v[8:9], v[4:5], v[6:7] op_sel:[0,0,1] op_sel_hi:[1,1,0] neg_lo:[0,0,1] neg_hi:[0,0,1]
	v_pk_fma_f32 v[4:5], v[8:9], v[4:5], v[6:7] op_sel:[0,0,1] op_sel_hi:[1,0,0]
	v_mov_b32_e32 v11, v5
	s_delay_alu instid0(VALU_DEP_1)
	v_pk_add_f32 v[240:241], v[240:241], v[10:11] neg_lo:[0,1] neg_hi:[0,1]
.LBB119_82:
	s_or_b32 exec_lo, exec_lo, s1
	s_delay_alu instid0(SALU_CYCLE_1)
	s_mov_b32 s2, exec_lo
	s_wait_dscnt 0x0
	s_barrier_signal -1
	s_barrier_wait -1
	v_cmpx_eq_u32_e32 9, v206
	s_cbranch_execz .LBB119_89
; %bb.83:
	v_dual_mov_b32 v4, v38 :: v_dual_mov_b32 v5, v39
	v_dual_mov_b32 v6, v34 :: v_dual_mov_b32 v7, v35
	ds_store_b64 v207, v[36:37]
	ds_store_2addr_b64 v216, v[4:5], v[6:7] offset0:10 offset1:11
	v_dual_mov_b32 v4, v66 :: v_dual_mov_b32 v5, v67
	v_dual_mov_b32 v6, v62 :: v_dual_mov_b32 v7, v63
	ds_store_2addr_b64 v216, v[4:5], v[6:7] offset0:12 offset1:13
	v_dual_mov_b32 v4, v64 :: v_dual_mov_b32 v5, v65
	v_dual_mov_b32 v6, v60 :: v_dual_mov_b32 v7, v61
	;; [unrolled: 3-line block ×23, first 2 shown]
	ds_store_2addr_b64 v216, v[4:5], v[6:7] offset0:56 offset1:57
	v_dual_mov_b32 v4, v238 :: v_dual_mov_b32 v5, v239
	ds_store_2addr_b64 v216, v[4:5], v[240:241] offset0:58 offset1:59
	ds_load_b64 v[4:5], v207
	s_wait_dscnt 0x0
	v_cmp_neq_f32_e32 vcc_lo, 0, v4
	v_cmp_neq_f32_e64 s1, 0, v5
	s_or_b32 s1, vcc_lo, s1
	s_delay_alu instid0(SALU_CYCLE_1)
	s_and_b32 exec_lo, exec_lo, s1
	s_cbranch_execz .LBB119_89
; %bb.84:
	v_cmp_ngt_f32_e64 s1, |v4|, |v5|
                                        ; implicit-def: $vgpr6_vgpr7
	s_and_saveexec_b32 s4, s1
	s_delay_alu instid0(SALU_CYCLE_1)
	s_xor_b32 s1, exec_lo, s4
	s_cbranch_execz .LBB119_86
; %bb.85:
	v_div_scale_f32 v6, null, v5, v5, v4
	v_div_scale_f32 v9, vcc_lo, v4, v5, v4
	s_delay_alu instid0(VALU_DEP_2) | instskip(SKIP_1) | instid1(TRANS32_DEP_1)
	v_rcp_f32_e32 v7, v6
	v_nop
	v_fma_f32 v8, -v6, v7, 1.0
	s_delay_alu instid0(VALU_DEP_1) | instskip(NEXT) | instid1(VALU_DEP_1)
	v_fmac_f32_e32 v7, v8, v7
	v_mul_f32_e32 v8, v9, v7
	s_delay_alu instid0(VALU_DEP_1) | instskip(NEXT) | instid1(VALU_DEP_1)
	v_fma_f32 v10, -v6, v8, v9
	v_fmac_f32_e32 v8, v10, v7
	s_delay_alu instid0(VALU_DEP_1) | instskip(NEXT) | instid1(VALU_DEP_1)
	v_fma_f32 v6, -v6, v8, v9
	v_div_fmas_f32 v6, v6, v7, v8
	s_delay_alu instid0(VALU_DEP_1) | instskip(NEXT) | instid1(VALU_DEP_1)
	v_div_fixup_f32 v6, v6, v5, v4
	v_fmac_f32_e32 v5, v4, v6
	s_delay_alu instid0(VALU_DEP_1) | instskip(SKIP_1) | instid1(VALU_DEP_2)
	v_div_scale_f32 v4, null, v5, v5, 1.0
	v_div_scale_f32 v9, vcc_lo, 1.0, v5, 1.0
	v_rcp_f32_e32 v7, v4
	v_nop
	s_delay_alu instid0(TRANS32_DEP_1) | instskip(NEXT) | instid1(VALU_DEP_1)
	v_fma_f32 v8, -v4, v7, 1.0
	v_fmac_f32_e32 v7, v8, v7
	s_delay_alu instid0(VALU_DEP_1) | instskip(NEXT) | instid1(VALU_DEP_1)
	v_mul_f32_e32 v8, v9, v7
	v_fma_f32 v10, -v4, v8, v9
	s_delay_alu instid0(VALU_DEP_1) | instskip(NEXT) | instid1(VALU_DEP_1)
	v_fmac_f32_e32 v8, v10, v7
	v_fma_f32 v4, -v4, v8, v9
	s_delay_alu instid0(VALU_DEP_1) | instskip(NEXT) | instid1(VALU_DEP_1)
	v_div_fmas_f32 v4, v4, v7, v8
	v_div_fixup_f32 v4, v4, v5, 1.0
	s_delay_alu instid0(VALU_DEP_1)
	v_mul_f32_e32 v6, v6, v4
	v_xor_b32_e32 v7, 0x80000000, v4
                                        ; implicit-def: $vgpr4_vgpr5
.LBB119_86:
	s_and_not1_saveexec_b32 s1, s1
	s_cbranch_execz .LBB119_88
; %bb.87:
	v_div_scale_f32 v6, null, v4, v4, v5
	v_div_scale_f32 v9, vcc_lo, v5, v4, v5
	s_delay_alu instid0(VALU_DEP_2) | instskip(SKIP_1) | instid1(TRANS32_DEP_1)
	v_rcp_f32_e32 v7, v6
	v_nop
	v_fma_f32 v8, -v6, v7, 1.0
	s_delay_alu instid0(VALU_DEP_1) | instskip(NEXT) | instid1(VALU_DEP_1)
	v_fmac_f32_e32 v7, v8, v7
	v_mul_f32_e32 v8, v9, v7
	s_delay_alu instid0(VALU_DEP_1) | instskip(NEXT) | instid1(VALU_DEP_1)
	v_fma_f32 v10, -v6, v8, v9
	v_fmac_f32_e32 v8, v10, v7
	s_delay_alu instid0(VALU_DEP_1) | instskip(NEXT) | instid1(VALU_DEP_1)
	v_fma_f32 v6, -v6, v8, v9
	v_div_fmas_f32 v6, v6, v7, v8
	s_delay_alu instid0(VALU_DEP_1) | instskip(NEXT) | instid1(VALU_DEP_1)
	v_div_fixup_f32 v7, v6, v4, v5
	v_fmac_f32_e32 v4, v5, v7
	s_delay_alu instid0(VALU_DEP_1) | instskip(NEXT) | instid1(VALU_DEP_1)
	v_div_scale_f32 v5, null, v4, v4, 1.0
	v_rcp_f32_e32 v6, v5
	v_nop
	s_delay_alu instid0(TRANS32_DEP_1) | instskip(NEXT) | instid1(VALU_DEP_1)
	v_fma_f32 v8, -v5, v6, 1.0
	v_fmac_f32_e32 v6, v8, v6
	v_div_scale_f32 v8, vcc_lo, 1.0, v4, 1.0
	s_delay_alu instid0(VALU_DEP_1) | instskip(NEXT) | instid1(VALU_DEP_1)
	v_mul_f32_e32 v9, v8, v6
	v_fma_f32 v10, -v5, v9, v8
	s_delay_alu instid0(VALU_DEP_1) | instskip(NEXT) | instid1(VALU_DEP_1)
	v_fmac_f32_e32 v9, v10, v6
	v_fma_f32 v5, -v5, v9, v8
	s_delay_alu instid0(VALU_DEP_1) | instskip(NEXT) | instid1(VALU_DEP_1)
	v_div_fmas_f32 v5, v5, v6, v9
	v_div_fixup_f32 v6, v5, v4, 1.0
	s_delay_alu instid0(VALU_DEP_1)
	v_mul_f32_e64 v7, v7, -v6
.LBB119_88:
	s_or_b32 exec_lo, exec_lo, s1
	ds_store_b64 v207, v[6:7]
.LBB119_89:
	s_or_b32 exec_lo, exec_lo, s2
	s_wait_dscnt 0x0
	s_barrier_signal -1
	s_barrier_wait -1
	ds_load_b64 v[4:5], v207
	s_mov_b32 s1, exec_lo
	v_cmpx_lt_u32_e32 9, v206
	s_cbranch_execz .LBB119_91
; %bb.90:
	ds_load_2addr_b64 v[10:13], v216 offset0:10 offset1:11
	s_wait_dscnt 0x1
	v_pk_mul_f32 v[8:9], v[4:5], v[36:37] op_sel:[1,1] op_sel_hi:[0,1]
	s_delay_alu instid0(VALU_DEP_1) | instskip(SKIP_1) | instid1(VALU_DEP_1)
	v_pk_fma_f32 v[6:7], v[4:5], v[36:37], v[8:9] op_sel_hi:[1,0,1] neg_lo:[0,0,1] neg_hi:[0,0,1]
	v_pk_fma_f32 v[8:9], v[4:5], v[36:37], v[8:9] op_sel_hi:[1,0,1]
	v_dual_mov_b32 v36, v6 :: v_dual_mov_b32 v37, v9
	s_wait_dscnt 0x0
	s_delay_alu instid0(VALU_DEP_2) | instskip(NEXT) | instid1(VALU_DEP_1)
	v_pk_mul_f32 v[14:15], v[10:11], v[8:9] op_sel:[0,1]
	v_pk_fma_f32 v[18:19], v[10:11], v[6:7], v[14:15] op_sel:[0,0,1] op_sel_hi:[1,1,0] neg_lo:[0,0,1] neg_hi:[0,0,1]
	v_pk_fma_f32 v[10:11], v[10:11], v[6:7], v[14:15] op_sel:[0,0,1] op_sel_hi:[1,0,0]
	s_delay_alu instid0(VALU_DEP_1) | instskip(SKIP_1) | instid1(VALU_DEP_1)
	v_mov_b32_e32 v19, v11
	v_pk_mul_f32 v[10:11], v[12:13], v[8:9] op_sel:[0,1]
	v_pk_fma_f32 v[14:15], v[12:13], v[6:7], v[10:11] op_sel:[0,0,1] op_sel_hi:[1,1,0] neg_lo:[0,0,1] neg_hi:[0,0,1]
	v_pk_fma_f32 v[10:11], v[12:13], v[6:7], v[10:11] op_sel:[0,0,1] op_sel_hi:[1,0,0]
	s_delay_alu instid0(VALU_DEP_1)
	v_mov_b32_e32 v15, v11
	ds_load_2addr_b64 v[10:13], v216 offset0:12 offset1:13
	v_pk_add_f32 v[38:39], v[38:39], v[18:19] neg_lo:[0,1] neg_hi:[0,1]
	v_pk_add_f32 v[34:35], v[34:35], v[14:15] neg_lo:[0,1] neg_hi:[0,1]
	s_wait_dscnt 0x0
	v_pk_mul_f32 v[14:15], v[10:11], v[8:9] op_sel:[0,1]
	s_delay_alu instid0(VALU_DEP_1) | instskip(SKIP_2) | instid1(VALU_DEP_2)
	v_pk_fma_f32 v[18:19], v[10:11], v[6:7], v[14:15] op_sel:[0,0,1] op_sel_hi:[1,1,0] neg_lo:[0,0,1] neg_hi:[0,0,1]
	v_pk_fma_f32 v[10:11], v[10:11], v[6:7], v[14:15] op_sel:[0,0,1] op_sel_hi:[1,0,0]
	v_dual_mul_f32 v14, v13, v9 :: v_dual_mov_b32 v10, v13
	v_dual_mov_b32 v19, v11 :: v_dual_mov_b32 v11, v12
	s_delay_alu instid0(VALU_DEP_2) | instskip(SKIP_1) | instid1(VALU_DEP_3)
	v_pk_fma_f32 v[14:15], v[12:13], v[36:37], v[14:15] op_sel_hi:[1,1,0] neg_lo:[0,0,1] neg_hi:[0,0,1]
	v_mul_f32_e32 v12, v13, v6
	v_pk_add_f32 v[66:67], v[66:67], v[18:19] neg_lo:[0,1] neg_hi:[0,1]
	s_delay_alu instid0(VALU_DEP_2) | instskip(NEXT) | instid1(VALU_DEP_1)
	v_pk_fma_f32 v[10:11], v[10:11], v[36:37], v[12:13] op_sel_hi:[1,1,0]
	v_mov_b32_e32 v15, v11
	ds_load_2addr_b64 v[10:13], v216 offset0:14 offset1:15
	v_pk_add_f32 v[62:63], v[62:63], v[14:15] neg_lo:[0,1] neg_hi:[0,1]
	s_wait_dscnt 0x0
	v_pk_mul_f32 v[14:15], v[10:11], v[8:9] op_sel:[0,1]
	s_delay_alu instid0(VALU_DEP_1) | instskip(SKIP_1) | instid1(VALU_DEP_1)
	v_pk_fma_f32 v[18:19], v[10:11], v[6:7], v[14:15] op_sel:[0,0,1] op_sel_hi:[1,1,0] neg_lo:[0,0,1] neg_hi:[0,0,1]
	v_pk_fma_f32 v[10:11], v[10:11], v[6:7], v[14:15] op_sel:[0,0,1] op_sel_hi:[1,0,0]
	v_mov_b32_e32 v19, v11
	v_pk_mul_f32 v[10:11], v[12:13], v[8:9] op_sel:[0,1]
	s_delay_alu instid0(VALU_DEP_1) | instskip(SKIP_1) | instid1(VALU_DEP_1)
	v_pk_fma_f32 v[14:15], v[12:13], v[6:7], v[10:11] op_sel:[0,0,1] op_sel_hi:[1,1,0] neg_lo:[0,0,1] neg_hi:[0,0,1]
	v_pk_fma_f32 v[10:11], v[12:13], v[6:7], v[10:11] op_sel:[0,0,1] op_sel_hi:[1,0,0]
	v_mov_b32_e32 v15, v11
	ds_load_2addr_b64 v[10:13], v216 offset0:16 offset1:17
	v_pk_add_f32 v[64:65], v[64:65], v[18:19] neg_lo:[0,1] neg_hi:[0,1]
	v_pk_add_f32 v[60:61], v[60:61], v[14:15] neg_lo:[0,1] neg_hi:[0,1]
	s_wait_dscnt 0x0
	v_pk_mul_f32 v[14:15], v[10:11], v[8:9] op_sel:[0,1]
	s_delay_alu instid0(VALU_DEP_1) | instskip(SKIP_1) | instid1(VALU_DEP_1)
	v_pk_fma_f32 v[18:19], v[10:11], v[6:7], v[14:15] op_sel:[0,0,1] op_sel_hi:[1,1,0] neg_lo:[0,0,1] neg_hi:[0,0,1]
	v_pk_fma_f32 v[10:11], v[10:11], v[6:7], v[14:15] op_sel:[0,0,1] op_sel_hi:[1,0,0]
	v_mov_b32_e32 v19, v11
	v_pk_mul_f32 v[10:11], v[12:13], v[8:9] op_sel:[0,1]
	s_delay_alu instid0(VALU_DEP_1) | instskip(SKIP_1) | instid1(VALU_DEP_1)
	v_pk_fma_f32 v[14:15], v[12:13], v[6:7], v[10:11] op_sel:[0,0,1] op_sel_hi:[1,1,0] neg_lo:[0,0,1] neg_hi:[0,0,1]
	v_pk_fma_f32 v[10:11], v[12:13], v[6:7], v[10:11] op_sel:[0,0,1] op_sel_hi:[1,0,0]
	v_mov_b32_e32 v15, v11
	ds_load_2addr_b64 v[10:13], v216 offset0:18 offset1:19
	v_pk_add_f32 v[82:83], v[82:83], v[18:19] neg_lo:[0,1] neg_hi:[0,1]
	v_pk_add_f32 v[78:79], v[78:79], v[14:15] neg_lo:[0,1] neg_hi:[0,1]
	s_wait_dscnt 0x0
	v_dual_mul_f32 v14, v11, v9 :: v_dual_mul_f32 v18, v11, v6
	s_delay_alu instid0(VALU_DEP_1) | instskip(NEXT) | instid1(VALU_DEP_2)
	v_pk_fma_f32 v[14:15], v[10:11], v[36:37], v[14:15] op_sel_hi:[1,1,0] neg_lo:[0,0,1] neg_hi:[0,0,1]
	v_pk_fma_f32 v[10:11], v[10:11], v[36:37], v[18:19] op_sel:[1,0,0] op_sel_hi:[0,1,0]
	s_delay_alu instid0(VALU_DEP_1) | instskip(SKIP_1) | instid1(VALU_DEP_2)
	v_mov_b32_e32 v15, v11
	v_pk_mul_f32 v[10:11], v[12:13], v[8:9] op_sel:[0,1]
	v_pk_add_f32 v[80:81], v[80:81], v[14:15] neg_lo:[0,1] neg_hi:[0,1]
	s_delay_alu instid0(VALU_DEP_2) | instskip(SKIP_1) | instid1(VALU_DEP_1)
	v_pk_fma_f32 v[14:15], v[12:13], v[6:7], v[10:11] op_sel:[0,0,1] op_sel_hi:[1,1,0] neg_lo:[0,0,1] neg_hi:[0,0,1]
	v_pk_fma_f32 v[10:11], v[12:13], v[6:7], v[10:11] op_sel:[0,0,1] op_sel_hi:[1,0,0]
	v_mov_b32_e32 v15, v11
	ds_load_2addr_b64 v[10:13], v216 offset0:20 offset1:21
	v_pk_add_f32 v[76:77], v[76:77], v[14:15] neg_lo:[0,1] neg_hi:[0,1]
	s_wait_dscnt 0x0
	v_pk_mul_f32 v[14:15], v[10:11], v[8:9] op_sel:[0,1]
	s_delay_alu instid0(VALU_DEP_1) | instskip(SKIP_1) | instid1(VALU_DEP_1)
	v_pk_fma_f32 v[18:19], v[10:11], v[6:7], v[14:15] op_sel:[0,0,1] op_sel_hi:[1,1,0] neg_lo:[0,0,1] neg_hi:[0,0,1]
	v_pk_fma_f32 v[10:11], v[10:11], v[6:7], v[14:15] op_sel:[0,0,1] op_sel_hi:[1,0,0]
	v_mov_b32_e32 v19, v11
	v_pk_mul_f32 v[10:11], v[12:13], v[8:9] op_sel:[0,1]
	s_delay_alu instid0(VALU_DEP_2) | instskip(NEXT) | instid1(VALU_DEP_2)
	v_pk_add_f32 v[98:99], v[98:99], v[18:19] neg_lo:[0,1] neg_hi:[0,1]
	v_pk_fma_f32 v[14:15], v[12:13], v[6:7], v[10:11] op_sel:[0,0,1] op_sel_hi:[1,1,0] neg_lo:[0,0,1] neg_hi:[0,0,1]
	v_pk_fma_f32 v[10:11], v[12:13], v[6:7], v[10:11] op_sel:[0,0,1] op_sel_hi:[1,0,0]
	s_delay_alu instid0(VALU_DEP_1) | instskip(SKIP_4) | instid1(VALU_DEP_1)
	v_mov_b32_e32 v15, v11
	ds_load_2addr_b64 v[10:13], v216 offset0:22 offset1:23
	v_pk_add_f32 v[94:95], v[94:95], v[14:15] neg_lo:[0,1] neg_hi:[0,1]
	s_wait_dscnt 0x0
	v_pk_mul_f32 v[14:15], v[10:11], v[8:9] op_sel:[0,1]
	v_pk_fma_f32 v[18:19], v[10:11], v[6:7], v[14:15] op_sel:[0,0,1] op_sel_hi:[1,1,0] neg_lo:[0,0,1] neg_hi:[0,0,1]
	v_pk_fma_f32 v[10:11], v[10:11], v[6:7], v[14:15] op_sel:[0,0,1] op_sel_hi:[1,0,0]
	v_dual_mul_f32 v14, v13, v9 :: v_dual_mov_b32 v10, v13
	s_delay_alu instid0(VALU_DEP_2) | instskip(NEXT) | instid1(VALU_DEP_2)
	v_dual_mov_b32 v19, v11 :: v_dual_mov_b32 v11, v12
	v_pk_fma_f32 v[14:15], v[12:13], v[36:37], v[14:15] op_sel_hi:[1,1,0] neg_lo:[0,0,1] neg_hi:[0,0,1]
	v_mul_f32_e32 v12, v13, v6
	s_delay_alu instid0(VALU_DEP_3) | instskip(NEXT) | instid1(VALU_DEP_2)
	v_pk_add_f32 v[96:97], v[96:97], v[18:19] neg_lo:[0,1] neg_hi:[0,1]
	v_pk_fma_f32 v[10:11], v[10:11], v[36:37], v[12:13] op_sel_hi:[1,1,0]
	s_delay_alu instid0(VALU_DEP_1) | instskip(SKIP_4) | instid1(VALU_DEP_1)
	v_mov_b32_e32 v15, v11
	ds_load_2addr_b64 v[10:13], v216 offset0:24 offset1:25
	v_pk_add_f32 v[92:93], v[92:93], v[14:15] neg_lo:[0,1] neg_hi:[0,1]
	s_wait_dscnt 0x0
	v_pk_mul_f32 v[14:15], v[10:11], v[8:9] op_sel:[0,1]
	v_pk_fma_f32 v[18:19], v[10:11], v[6:7], v[14:15] op_sel:[0,0,1] op_sel_hi:[1,1,0] neg_lo:[0,0,1] neg_hi:[0,0,1]
	v_pk_fma_f32 v[10:11], v[10:11], v[6:7], v[14:15] op_sel:[0,0,1] op_sel_hi:[1,0,0]
	s_delay_alu instid0(VALU_DEP_1) | instskip(SKIP_1) | instid1(VALU_DEP_1)
	v_mov_b32_e32 v19, v11
	v_pk_mul_f32 v[10:11], v[12:13], v[8:9] op_sel:[0,1]
	v_pk_fma_f32 v[14:15], v[12:13], v[6:7], v[10:11] op_sel:[0,0,1] op_sel_hi:[1,1,0] neg_lo:[0,0,1] neg_hi:[0,0,1]
	v_pk_fma_f32 v[10:11], v[12:13], v[6:7], v[10:11] op_sel:[0,0,1] op_sel_hi:[1,0,0]
	s_delay_alu instid0(VALU_DEP_1)
	v_mov_b32_e32 v15, v11
	ds_load_2addr_b64 v[10:13], v216 offset0:26 offset1:27
	v_pk_add_f32 v[114:115], v[114:115], v[18:19] neg_lo:[0,1] neg_hi:[0,1]
	v_pk_add_f32 v[110:111], v[110:111], v[14:15] neg_lo:[0,1] neg_hi:[0,1]
	s_wait_dscnt 0x0
	v_pk_mul_f32 v[14:15], v[10:11], v[8:9] op_sel:[0,1]
	s_delay_alu instid0(VALU_DEP_1) | instskip(SKIP_1) | instid1(VALU_DEP_1)
	v_pk_fma_f32 v[18:19], v[10:11], v[6:7], v[14:15] op_sel:[0,0,1] op_sel_hi:[1,1,0] neg_lo:[0,0,1] neg_hi:[0,0,1]
	v_pk_fma_f32 v[10:11], v[10:11], v[6:7], v[14:15] op_sel:[0,0,1] op_sel_hi:[1,0,0]
	v_mov_b32_e32 v19, v11
	v_pk_mul_f32 v[10:11], v[12:13], v[8:9] op_sel:[0,1]
	s_delay_alu instid0(VALU_DEP_1) | instskip(SKIP_1) | instid1(VALU_DEP_1)
	v_pk_fma_f32 v[14:15], v[12:13], v[6:7], v[10:11] op_sel:[0,0,1] op_sel_hi:[1,1,0] neg_lo:[0,0,1] neg_hi:[0,0,1]
	v_pk_fma_f32 v[10:11], v[12:13], v[6:7], v[10:11] op_sel:[0,0,1] op_sel_hi:[1,0,0]
	v_mov_b32_e32 v15, v11
	ds_load_2addr_b64 v[10:13], v216 offset0:28 offset1:29
	v_pk_add_f32 v[112:113], v[112:113], v[18:19] neg_lo:[0,1] neg_hi:[0,1]
	v_pk_add_f32 v[108:109], v[108:109], v[14:15] neg_lo:[0,1] neg_hi:[0,1]
	s_wait_dscnt 0x0
	v_dual_mul_f32 v14, v11, v9 :: v_dual_mul_f32 v18, v11, v6
	s_delay_alu instid0(VALU_DEP_1) | instskip(NEXT) | instid1(VALU_DEP_2)
	v_pk_fma_f32 v[14:15], v[10:11], v[36:37], v[14:15] op_sel_hi:[1,1,0] neg_lo:[0,0,1] neg_hi:[0,0,1]
	v_pk_fma_f32 v[10:11], v[10:11], v[36:37], v[18:19] op_sel:[1,0,0] op_sel_hi:[0,1,0]
	s_delay_alu instid0(VALU_DEP_1) | instskip(SKIP_1) | instid1(VALU_DEP_2)
	v_mov_b32_e32 v15, v11
	v_pk_mul_f32 v[10:11], v[12:13], v[8:9] op_sel:[0,1]
	v_pk_add_f32 v[130:131], v[130:131], v[14:15] neg_lo:[0,1] neg_hi:[0,1]
	s_delay_alu instid0(VALU_DEP_2) | instskip(SKIP_1) | instid1(VALU_DEP_1)
	v_pk_fma_f32 v[14:15], v[12:13], v[6:7], v[10:11] op_sel:[0,0,1] op_sel_hi:[1,1,0] neg_lo:[0,0,1] neg_hi:[0,0,1]
	v_pk_fma_f32 v[10:11], v[12:13], v[6:7], v[10:11] op_sel:[0,0,1] op_sel_hi:[1,0,0]
	v_mov_b32_e32 v15, v11
	ds_load_2addr_b64 v[10:13], v216 offset0:30 offset1:31
	v_pk_add_f32 v[126:127], v[126:127], v[14:15] neg_lo:[0,1] neg_hi:[0,1]
	s_wait_dscnt 0x0
	v_pk_mul_f32 v[14:15], v[10:11], v[8:9] op_sel:[0,1]
	s_delay_alu instid0(VALU_DEP_1) | instskip(SKIP_1) | instid1(VALU_DEP_1)
	v_pk_fma_f32 v[18:19], v[10:11], v[6:7], v[14:15] op_sel:[0,0,1] op_sel_hi:[1,1,0] neg_lo:[0,0,1] neg_hi:[0,0,1]
	v_pk_fma_f32 v[10:11], v[10:11], v[6:7], v[14:15] op_sel:[0,0,1] op_sel_hi:[1,0,0]
	v_mov_b32_e32 v19, v11
	v_pk_mul_f32 v[10:11], v[12:13], v[8:9] op_sel:[0,1]
	s_delay_alu instid0(VALU_DEP_2) | instskip(NEXT) | instid1(VALU_DEP_2)
	v_pk_add_f32 v[128:129], v[128:129], v[18:19] neg_lo:[0,1] neg_hi:[0,1]
	v_pk_fma_f32 v[14:15], v[12:13], v[6:7], v[10:11] op_sel:[0,0,1] op_sel_hi:[1,1,0] neg_lo:[0,0,1] neg_hi:[0,0,1]
	v_pk_fma_f32 v[10:11], v[12:13], v[6:7], v[10:11] op_sel:[0,0,1] op_sel_hi:[1,0,0]
	s_delay_alu instid0(VALU_DEP_1) | instskip(SKIP_4) | instid1(VALU_DEP_1)
	v_mov_b32_e32 v15, v11
	ds_load_2addr_b64 v[10:13], v216 offset0:32 offset1:33
	v_pk_add_f32 v[124:125], v[124:125], v[14:15] neg_lo:[0,1] neg_hi:[0,1]
	s_wait_dscnt 0x0
	v_pk_mul_f32 v[14:15], v[10:11], v[8:9] op_sel:[0,1]
	v_pk_fma_f32 v[18:19], v[10:11], v[6:7], v[14:15] op_sel:[0,0,1] op_sel_hi:[1,1,0] neg_lo:[0,0,1] neg_hi:[0,0,1]
	v_pk_fma_f32 v[10:11], v[10:11], v[6:7], v[14:15] op_sel:[0,0,1] op_sel_hi:[1,0,0]
	v_dual_mul_f32 v14, v13, v9 :: v_dual_mov_b32 v10, v13
	s_delay_alu instid0(VALU_DEP_2) | instskip(NEXT) | instid1(VALU_DEP_2)
	v_dual_mov_b32 v19, v11 :: v_dual_mov_b32 v11, v12
	v_pk_fma_f32 v[14:15], v[12:13], v[36:37], v[14:15] op_sel_hi:[1,1,0] neg_lo:[0,0,1] neg_hi:[0,0,1]
	v_mul_f32_e32 v12, v13, v6
	s_delay_alu instid0(VALU_DEP_3) | instskip(NEXT) | instid1(VALU_DEP_2)
	v_pk_add_f32 v[146:147], v[146:147], v[18:19] neg_lo:[0,1] neg_hi:[0,1]
	v_pk_fma_f32 v[10:11], v[10:11], v[36:37], v[12:13] op_sel_hi:[1,1,0]
	s_delay_alu instid0(VALU_DEP_1) | instskip(SKIP_4) | instid1(VALU_DEP_1)
	v_mov_b32_e32 v15, v11
	ds_load_2addr_b64 v[10:13], v216 offset0:34 offset1:35
	v_pk_add_f32 v[142:143], v[142:143], v[14:15] neg_lo:[0,1] neg_hi:[0,1]
	s_wait_dscnt 0x0
	v_pk_mul_f32 v[14:15], v[10:11], v[8:9] op_sel:[0,1]
	v_pk_fma_f32 v[18:19], v[10:11], v[6:7], v[14:15] op_sel:[0,0,1] op_sel_hi:[1,1,0] neg_lo:[0,0,1] neg_hi:[0,0,1]
	v_pk_fma_f32 v[10:11], v[10:11], v[6:7], v[14:15] op_sel:[0,0,1] op_sel_hi:[1,0,0]
	s_delay_alu instid0(VALU_DEP_1) | instskip(SKIP_1) | instid1(VALU_DEP_1)
	v_mov_b32_e32 v19, v11
	v_pk_mul_f32 v[10:11], v[12:13], v[8:9] op_sel:[0,1]
	v_pk_fma_f32 v[14:15], v[12:13], v[6:7], v[10:11] op_sel:[0,0,1] op_sel_hi:[1,1,0] neg_lo:[0,0,1] neg_hi:[0,0,1]
	v_pk_fma_f32 v[10:11], v[12:13], v[6:7], v[10:11] op_sel:[0,0,1] op_sel_hi:[1,0,0]
	s_delay_alu instid0(VALU_DEP_1)
	v_mov_b32_e32 v15, v11
	ds_load_2addr_b64 v[10:13], v216 offset0:36 offset1:37
	v_pk_add_f32 v[144:145], v[144:145], v[18:19] neg_lo:[0,1] neg_hi:[0,1]
	v_pk_add_f32 v[140:141], v[140:141], v[14:15] neg_lo:[0,1] neg_hi:[0,1]
	s_wait_dscnt 0x0
	v_pk_mul_f32 v[14:15], v[10:11], v[8:9] op_sel:[0,1]
	s_delay_alu instid0(VALU_DEP_1) | instskip(SKIP_1) | instid1(VALU_DEP_1)
	v_pk_fma_f32 v[18:19], v[10:11], v[6:7], v[14:15] op_sel:[0,0,1] op_sel_hi:[1,1,0] neg_lo:[0,0,1] neg_hi:[0,0,1]
	v_pk_fma_f32 v[10:11], v[10:11], v[6:7], v[14:15] op_sel:[0,0,1] op_sel_hi:[1,0,0]
	v_mov_b32_e32 v19, v11
	v_pk_mul_f32 v[10:11], v[12:13], v[8:9] op_sel:[0,1]
	s_delay_alu instid0(VALU_DEP_1) | instskip(SKIP_1) | instid1(VALU_DEP_1)
	v_pk_fma_f32 v[14:15], v[12:13], v[6:7], v[10:11] op_sel:[0,0,1] op_sel_hi:[1,1,0] neg_lo:[0,0,1] neg_hi:[0,0,1]
	v_pk_fma_f32 v[10:11], v[12:13], v[6:7], v[10:11] op_sel:[0,0,1] op_sel_hi:[1,0,0]
	v_mov_b32_e32 v15, v11
	ds_load_2addr_b64 v[10:13], v216 offset0:38 offset1:39
	v_pk_add_f32 v[162:163], v[162:163], v[18:19] neg_lo:[0,1] neg_hi:[0,1]
	v_pk_add_f32 v[158:159], v[158:159], v[14:15] neg_lo:[0,1] neg_hi:[0,1]
	s_wait_dscnt 0x0
	v_dual_mul_f32 v14, v11, v9 :: v_dual_mul_f32 v18, v11, v6
	s_delay_alu instid0(VALU_DEP_1) | instskip(NEXT) | instid1(VALU_DEP_2)
	v_pk_fma_f32 v[14:15], v[10:11], v[36:37], v[14:15] op_sel_hi:[1,1,0] neg_lo:[0,0,1] neg_hi:[0,0,1]
	v_pk_fma_f32 v[10:11], v[10:11], v[36:37], v[18:19] op_sel:[1,0,0] op_sel_hi:[0,1,0]
	s_delay_alu instid0(VALU_DEP_1) | instskip(SKIP_1) | instid1(VALU_DEP_2)
	v_mov_b32_e32 v15, v11
	v_pk_mul_f32 v[10:11], v[12:13], v[8:9] op_sel:[0,1]
	v_pk_add_f32 v[160:161], v[160:161], v[14:15] neg_lo:[0,1] neg_hi:[0,1]
	s_delay_alu instid0(VALU_DEP_2) | instskip(SKIP_1) | instid1(VALU_DEP_1)
	v_pk_fma_f32 v[14:15], v[12:13], v[6:7], v[10:11] op_sel:[0,0,1] op_sel_hi:[1,1,0] neg_lo:[0,0,1] neg_hi:[0,0,1]
	v_pk_fma_f32 v[10:11], v[12:13], v[6:7], v[10:11] op_sel:[0,0,1] op_sel_hi:[1,0,0]
	v_mov_b32_e32 v15, v11
	ds_load_2addr_b64 v[10:13], v216 offset0:40 offset1:41
	v_pk_add_f32 v[156:157], v[156:157], v[14:15] neg_lo:[0,1] neg_hi:[0,1]
	s_wait_dscnt 0x0
	v_pk_mul_f32 v[14:15], v[10:11], v[8:9] op_sel:[0,1]
	s_delay_alu instid0(VALU_DEP_1) | instskip(SKIP_1) | instid1(VALU_DEP_1)
	v_pk_fma_f32 v[18:19], v[10:11], v[6:7], v[14:15] op_sel:[0,0,1] op_sel_hi:[1,1,0] neg_lo:[0,0,1] neg_hi:[0,0,1]
	v_pk_fma_f32 v[10:11], v[10:11], v[6:7], v[14:15] op_sel:[0,0,1] op_sel_hi:[1,0,0]
	v_mov_b32_e32 v19, v11
	v_pk_mul_f32 v[10:11], v[12:13], v[8:9] op_sel:[0,1]
	s_delay_alu instid0(VALU_DEP_2) | instskip(NEXT) | instid1(VALU_DEP_2)
	v_pk_add_f32 v[178:179], v[178:179], v[18:19] neg_lo:[0,1] neg_hi:[0,1]
	v_pk_fma_f32 v[14:15], v[12:13], v[6:7], v[10:11] op_sel:[0,0,1] op_sel_hi:[1,1,0] neg_lo:[0,0,1] neg_hi:[0,0,1]
	v_pk_fma_f32 v[10:11], v[12:13], v[6:7], v[10:11] op_sel:[0,0,1] op_sel_hi:[1,0,0]
	s_delay_alu instid0(VALU_DEP_1) | instskip(SKIP_4) | instid1(VALU_DEP_1)
	v_mov_b32_e32 v15, v11
	ds_load_2addr_b64 v[10:13], v216 offset0:42 offset1:43
	v_pk_add_f32 v[174:175], v[174:175], v[14:15] neg_lo:[0,1] neg_hi:[0,1]
	s_wait_dscnt 0x0
	v_pk_mul_f32 v[14:15], v[10:11], v[8:9] op_sel:[0,1]
	v_pk_fma_f32 v[18:19], v[10:11], v[6:7], v[14:15] op_sel:[0,0,1] op_sel_hi:[1,1,0] neg_lo:[0,0,1] neg_hi:[0,0,1]
	v_pk_fma_f32 v[10:11], v[10:11], v[6:7], v[14:15] op_sel:[0,0,1] op_sel_hi:[1,0,0]
	v_dual_mul_f32 v14, v13, v9 :: v_dual_mov_b32 v10, v13
	s_delay_alu instid0(VALU_DEP_2) | instskip(NEXT) | instid1(VALU_DEP_2)
	v_dual_mov_b32 v19, v11 :: v_dual_mov_b32 v11, v12
	v_pk_fma_f32 v[14:15], v[12:13], v[36:37], v[14:15] op_sel_hi:[1,1,0] neg_lo:[0,0,1] neg_hi:[0,0,1]
	v_mul_f32_e32 v12, v13, v6
	s_delay_alu instid0(VALU_DEP_3) | instskip(NEXT) | instid1(VALU_DEP_2)
	v_pk_add_f32 v[176:177], v[176:177], v[18:19] neg_lo:[0,1] neg_hi:[0,1]
	v_pk_fma_f32 v[10:11], v[10:11], v[36:37], v[12:13] op_sel_hi:[1,1,0]
	s_delay_alu instid0(VALU_DEP_1) | instskip(SKIP_4) | instid1(VALU_DEP_1)
	v_mov_b32_e32 v15, v11
	ds_load_2addr_b64 v[10:13], v216 offset0:44 offset1:45
	v_pk_add_f32 v[172:173], v[172:173], v[14:15] neg_lo:[0,1] neg_hi:[0,1]
	s_wait_dscnt 0x0
	v_pk_mul_f32 v[14:15], v[10:11], v[8:9] op_sel:[0,1]
	v_pk_fma_f32 v[18:19], v[10:11], v[6:7], v[14:15] op_sel:[0,0,1] op_sel_hi:[1,1,0] neg_lo:[0,0,1] neg_hi:[0,0,1]
	v_pk_fma_f32 v[10:11], v[10:11], v[6:7], v[14:15] op_sel:[0,0,1] op_sel_hi:[1,0,0]
	s_delay_alu instid0(VALU_DEP_1) | instskip(SKIP_1) | instid1(VALU_DEP_1)
	v_mov_b32_e32 v19, v11
	v_pk_mul_f32 v[10:11], v[12:13], v[8:9] op_sel:[0,1]
	v_pk_fma_f32 v[14:15], v[12:13], v[6:7], v[10:11] op_sel:[0,0,1] op_sel_hi:[1,1,0] neg_lo:[0,0,1] neg_hi:[0,0,1]
	v_pk_fma_f32 v[10:11], v[12:13], v[6:7], v[10:11] op_sel:[0,0,1] op_sel_hi:[1,0,0]
	s_delay_alu instid0(VALU_DEP_1)
	v_mov_b32_e32 v15, v11
	ds_load_2addr_b64 v[10:13], v216 offset0:46 offset1:47
	v_pk_add_f32 v[194:195], v[194:195], v[18:19] neg_lo:[0,1] neg_hi:[0,1]
	v_pk_add_f32 v[190:191], v[190:191], v[14:15] neg_lo:[0,1] neg_hi:[0,1]
	s_wait_dscnt 0x0
	v_pk_mul_f32 v[14:15], v[10:11], v[8:9] op_sel:[0,1]
	s_delay_alu instid0(VALU_DEP_1) | instskip(SKIP_1) | instid1(VALU_DEP_1)
	v_pk_fma_f32 v[18:19], v[10:11], v[6:7], v[14:15] op_sel:[0,0,1] op_sel_hi:[1,1,0] neg_lo:[0,0,1] neg_hi:[0,0,1]
	v_pk_fma_f32 v[10:11], v[10:11], v[6:7], v[14:15] op_sel:[0,0,1] op_sel_hi:[1,0,0]
	v_mov_b32_e32 v19, v11
	v_pk_mul_f32 v[10:11], v[12:13], v[8:9] op_sel:[0,1]
	s_delay_alu instid0(VALU_DEP_1) | instskip(SKIP_1) | instid1(VALU_DEP_1)
	v_pk_fma_f32 v[14:15], v[12:13], v[6:7], v[10:11] op_sel:[0,0,1] op_sel_hi:[1,1,0] neg_lo:[0,0,1] neg_hi:[0,0,1]
	v_pk_fma_f32 v[10:11], v[12:13], v[6:7], v[10:11] op_sel:[0,0,1] op_sel_hi:[1,0,0]
	v_mov_b32_e32 v15, v11
	ds_load_2addr_b64 v[10:13], v216 offset0:48 offset1:49
	v_pk_add_f32 v[192:193], v[192:193], v[18:19] neg_lo:[0,1] neg_hi:[0,1]
	v_pk_add_f32 v[188:189], v[188:189], v[14:15] neg_lo:[0,1] neg_hi:[0,1]
	s_wait_dscnt 0x0
	v_dual_mul_f32 v14, v11, v9 :: v_dual_mul_f32 v18, v11, v6
	s_delay_alu instid0(VALU_DEP_1) | instskip(NEXT) | instid1(VALU_DEP_2)
	v_pk_fma_f32 v[14:15], v[10:11], v[36:37], v[14:15] op_sel_hi:[1,1,0] neg_lo:[0,0,1] neg_hi:[0,0,1]
	v_pk_fma_f32 v[10:11], v[10:11], v[36:37], v[18:19] op_sel:[1,0,0] op_sel_hi:[0,1,0]
	s_delay_alu instid0(VALU_DEP_1) | instskip(SKIP_1) | instid1(VALU_DEP_2)
	v_mov_b32_e32 v15, v11
	v_pk_mul_f32 v[10:11], v[12:13], v[8:9] op_sel:[0,1]
	v_pk_add_f32 v[214:215], v[214:215], v[14:15] neg_lo:[0,1] neg_hi:[0,1]
	s_delay_alu instid0(VALU_DEP_2) | instskip(SKIP_1) | instid1(VALU_DEP_1)
	v_pk_fma_f32 v[14:15], v[12:13], v[6:7], v[10:11] op_sel:[0,0,1] op_sel_hi:[1,1,0] neg_lo:[0,0,1] neg_hi:[0,0,1]
	v_pk_fma_f32 v[10:11], v[12:13], v[6:7], v[10:11] op_sel:[0,0,1] op_sel_hi:[1,0,0]
	v_mov_b32_e32 v15, v11
	ds_load_2addr_b64 v[10:13], v216 offset0:50 offset1:51
	v_pk_add_f32 v[210:211], v[210:211], v[14:15] neg_lo:[0,1] neg_hi:[0,1]
	s_wait_dscnt 0x0
	v_pk_mul_f32 v[14:15], v[10:11], v[8:9] op_sel:[0,1]
	s_delay_alu instid0(VALU_DEP_1) | instskip(SKIP_1) | instid1(VALU_DEP_1)
	v_pk_fma_f32 v[18:19], v[10:11], v[6:7], v[14:15] op_sel:[0,0,1] op_sel_hi:[1,1,0] neg_lo:[0,0,1] neg_hi:[0,0,1]
	v_pk_fma_f32 v[10:11], v[10:11], v[6:7], v[14:15] op_sel:[0,0,1] op_sel_hi:[1,0,0]
	v_mov_b32_e32 v19, v11
	v_pk_mul_f32 v[10:11], v[12:13], v[8:9] op_sel:[0,1]
	s_delay_alu instid0(VALU_DEP_2) | instskip(NEXT) | instid1(VALU_DEP_2)
	v_pk_add_f32 v[212:213], v[212:213], v[18:19] neg_lo:[0,1] neg_hi:[0,1]
	v_pk_fma_f32 v[14:15], v[12:13], v[6:7], v[10:11] op_sel:[0,0,1] op_sel_hi:[1,1,0] neg_lo:[0,0,1] neg_hi:[0,0,1]
	v_pk_fma_f32 v[10:11], v[12:13], v[6:7], v[10:11] op_sel:[0,0,1] op_sel_hi:[1,0,0]
	s_delay_alu instid0(VALU_DEP_1) | instskip(SKIP_4) | instid1(VALU_DEP_1)
	v_mov_b32_e32 v15, v11
	ds_load_2addr_b64 v[10:13], v216 offset0:52 offset1:53
	v_pk_add_f32 v[208:209], v[208:209], v[14:15] neg_lo:[0,1] neg_hi:[0,1]
	s_wait_dscnt 0x0
	v_pk_mul_f32 v[14:15], v[10:11], v[8:9] op_sel:[0,1]
	v_pk_fma_f32 v[18:19], v[10:11], v[6:7], v[14:15] op_sel:[0,0,1] op_sel_hi:[1,1,0] neg_lo:[0,0,1] neg_hi:[0,0,1]
	v_pk_fma_f32 v[10:11], v[10:11], v[6:7], v[14:15] op_sel:[0,0,1] op_sel_hi:[1,0,0]
	v_dual_mul_f32 v14, v13, v9 :: v_dual_mov_b32 v10, v13
	s_delay_alu instid0(VALU_DEP_2) | instskip(NEXT) | instid1(VALU_DEP_2)
	v_dual_mov_b32 v19, v11 :: v_dual_mov_b32 v11, v12
	v_pk_fma_f32 v[14:15], v[12:13], v[36:37], v[14:15] op_sel_hi:[1,1,0] neg_lo:[0,0,1] neg_hi:[0,0,1]
	v_mul_f32_e32 v12, v13, v6
	s_delay_alu instid0(VALU_DEP_3) | instskip(NEXT) | instid1(VALU_DEP_2)
	v_pk_add_f32 v[236:237], v[236:237], v[18:19] neg_lo:[0,1] neg_hi:[0,1]
	v_pk_fma_f32 v[10:11], v[10:11], v[36:37], v[12:13] op_sel_hi:[1,1,0]
	s_delay_alu instid0(VALU_DEP_1) | instskip(SKIP_4) | instid1(VALU_DEP_1)
	v_mov_b32_e32 v15, v11
	ds_load_2addr_b64 v[10:13], v216 offset0:54 offset1:55
	v_pk_add_f32 v[230:231], v[230:231], v[14:15] neg_lo:[0,1] neg_hi:[0,1]
	s_wait_dscnt 0x0
	v_pk_mul_f32 v[14:15], v[10:11], v[8:9] op_sel:[0,1]
	v_pk_fma_f32 v[18:19], v[10:11], v[6:7], v[14:15] op_sel:[0,0,1] op_sel_hi:[1,1,0] neg_lo:[0,0,1] neg_hi:[0,0,1]
	v_pk_fma_f32 v[10:11], v[10:11], v[6:7], v[14:15] op_sel:[0,0,1] op_sel_hi:[1,0,0]
	s_delay_alu instid0(VALU_DEP_1) | instskip(SKIP_1) | instid1(VALU_DEP_1)
	v_mov_b32_e32 v19, v11
	v_pk_mul_f32 v[10:11], v[12:13], v[8:9] op_sel:[0,1]
	v_pk_fma_f32 v[14:15], v[12:13], v[6:7], v[10:11] op_sel:[0,0,1] op_sel_hi:[1,1,0] neg_lo:[0,0,1] neg_hi:[0,0,1]
	v_pk_fma_f32 v[10:11], v[12:13], v[6:7], v[10:11] op_sel:[0,0,1] op_sel_hi:[1,0,0]
	s_delay_alu instid0(VALU_DEP_1)
	v_mov_b32_e32 v15, v11
	ds_load_2addr_b64 v[10:13], v216 offset0:56 offset1:57
	v_pk_add_f32 v[234:235], v[234:235], v[18:19] neg_lo:[0,1] neg_hi:[0,1]
	v_pk_add_f32 v[228:229], v[228:229], v[14:15] neg_lo:[0,1] neg_hi:[0,1]
	s_wait_dscnt 0x0
	v_pk_mul_f32 v[14:15], v[10:11], v[8:9] op_sel:[0,1]
	s_delay_alu instid0(VALU_DEP_1) | instskip(SKIP_1) | instid1(VALU_DEP_1)
	v_pk_fma_f32 v[18:19], v[10:11], v[6:7], v[14:15] op_sel:[0,0,1] op_sel_hi:[1,1,0] neg_lo:[0,0,1] neg_hi:[0,0,1]
	v_pk_fma_f32 v[10:11], v[10:11], v[6:7], v[14:15] op_sel:[0,0,1] op_sel_hi:[1,0,0]
	v_mov_b32_e32 v19, v11
	v_pk_mul_f32 v[10:11], v[12:13], v[8:9] op_sel:[0,1]
	s_delay_alu instid0(VALU_DEP_1) | instskip(SKIP_1) | instid1(VALU_DEP_1)
	v_pk_fma_f32 v[14:15], v[12:13], v[6:7], v[10:11] op_sel:[0,0,1] op_sel_hi:[1,1,0] neg_lo:[0,0,1] neg_hi:[0,0,1]
	v_pk_fma_f32 v[10:11], v[12:13], v[6:7], v[10:11] op_sel:[0,0,1] op_sel_hi:[1,0,0]
	v_mov_b32_e32 v15, v11
	ds_load_2addr_b64 v[10:13], v216 offset0:58 offset1:59
	v_pk_add_f32 v[232:233], v[232:233], v[18:19] neg_lo:[0,1] neg_hi:[0,1]
	v_pk_add_f32 v[226:227], v[226:227], v[14:15] neg_lo:[0,1] neg_hi:[0,1]
	s_wait_dscnt 0x0
	v_dual_mul_f32 v14, v11, v9 :: v_dual_mul_f32 v18, v11, v6
	v_pk_mul_f32 v[8:9], v[12:13], v[8:9] op_sel:[0,1]
	s_delay_alu instid0(VALU_DEP_2) | instskip(NEXT) | instid1(VALU_DEP_3)
	v_pk_fma_f32 v[14:15], v[10:11], v[36:37], v[14:15] op_sel_hi:[1,1,0] neg_lo:[0,0,1] neg_hi:[0,0,1]
	v_pk_fma_f32 v[10:11], v[10:11], v[36:37], v[18:19] op_sel:[1,0,0] op_sel_hi:[0,1,0]
	s_delay_alu instid0(VALU_DEP_1) | instskip(NEXT) | instid1(VALU_DEP_4)
	v_mov_b32_e32 v15, v11
	v_pk_fma_f32 v[10:11], v[12:13], v[6:7], v[8:9] op_sel:[0,0,1] op_sel_hi:[1,1,0] neg_lo:[0,0,1] neg_hi:[0,0,1]
	v_pk_fma_f32 v[6:7], v[12:13], v[6:7], v[8:9] op_sel:[0,0,1] op_sel_hi:[1,0,0]
	s_delay_alu instid0(VALU_DEP_1) | instskip(NEXT) | instid1(VALU_DEP_4)
	v_mov_b32_e32 v11, v7
	v_pk_add_f32 v[238:239], v[238:239], v[14:15] neg_lo:[0,1] neg_hi:[0,1]
	s_delay_alu instid0(VALU_DEP_2)
	v_pk_add_f32 v[240:241], v[240:241], v[10:11] neg_lo:[0,1] neg_hi:[0,1]
.LBB119_91:
	s_or_b32 exec_lo, exec_lo, s1
	s_delay_alu instid0(SALU_CYCLE_1)
	s_mov_b32 s2, exec_lo
	s_wait_dscnt 0x0
	s_barrier_signal -1
	s_barrier_wait -1
	v_cmpx_eq_u32_e32 10, v206
	s_cbranch_execz .LBB119_98
; %bb.92:
	ds_store_b64 v207, v[38:39]
	ds_store_2addr_b64 v216, v[34:35], v[66:67] offset0:11 offset1:12
	ds_store_2addr_b64 v216, v[62:63], v[64:65] offset0:13 offset1:14
	;; [unrolled: 1-line block ×24, first 2 shown]
	ds_store_b64 v216, v[240:241] offset:472
	ds_load_b64 v[6:7], v207
	s_wait_dscnt 0x0
	v_cmp_neq_f32_e32 vcc_lo, 0, v6
	v_cmp_neq_f32_e64 s1, 0, v7
	s_or_b32 s1, vcc_lo, s1
	s_delay_alu instid0(SALU_CYCLE_1)
	s_and_b32 exec_lo, exec_lo, s1
	s_cbranch_execz .LBB119_98
; %bb.93:
	v_cmp_ngt_f32_e64 s1, |v6|, |v7|
                                        ; implicit-def: $vgpr8_vgpr9
	s_and_saveexec_b32 s4, s1
	s_delay_alu instid0(SALU_CYCLE_1)
	s_xor_b32 s1, exec_lo, s4
	s_cbranch_execz .LBB119_95
; %bb.94:
	v_div_scale_f32 v8, null, v7, v7, v6
	v_div_scale_f32 v11, vcc_lo, v6, v7, v6
	s_delay_alu instid0(VALU_DEP_2) | instskip(SKIP_1) | instid1(TRANS32_DEP_1)
	v_rcp_f32_e32 v9, v8
	v_nop
	v_fma_f32 v10, -v8, v9, 1.0
	s_delay_alu instid0(VALU_DEP_1) | instskip(NEXT) | instid1(VALU_DEP_1)
	v_fmac_f32_e32 v9, v10, v9
	v_mul_f32_e32 v10, v11, v9
	s_delay_alu instid0(VALU_DEP_1) | instskip(NEXT) | instid1(VALU_DEP_1)
	v_fma_f32 v12, -v8, v10, v11
	v_fmac_f32_e32 v10, v12, v9
	s_delay_alu instid0(VALU_DEP_1) | instskip(NEXT) | instid1(VALU_DEP_1)
	v_fma_f32 v8, -v8, v10, v11
	v_div_fmas_f32 v8, v8, v9, v10
	s_delay_alu instid0(VALU_DEP_1) | instskip(NEXT) | instid1(VALU_DEP_1)
	v_div_fixup_f32 v8, v8, v7, v6
	v_fmac_f32_e32 v7, v6, v8
	s_delay_alu instid0(VALU_DEP_1) | instskip(SKIP_1) | instid1(VALU_DEP_2)
	v_div_scale_f32 v6, null, v7, v7, 1.0
	v_div_scale_f32 v11, vcc_lo, 1.0, v7, 1.0
	v_rcp_f32_e32 v9, v6
	v_nop
	s_delay_alu instid0(TRANS32_DEP_1) | instskip(NEXT) | instid1(VALU_DEP_1)
	v_fma_f32 v10, -v6, v9, 1.0
	v_fmac_f32_e32 v9, v10, v9
	s_delay_alu instid0(VALU_DEP_1) | instskip(NEXT) | instid1(VALU_DEP_1)
	v_mul_f32_e32 v10, v11, v9
	v_fma_f32 v12, -v6, v10, v11
	s_delay_alu instid0(VALU_DEP_1) | instskip(NEXT) | instid1(VALU_DEP_1)
	v_fmac_f32_e32 v10, v12, v9
	v_fma_f32 v6, -v6, v10, v11
	s_delay_alu instid0(VALU_DEP_1) | instskip(NEXT) | instid1(VALU_DEP_1)
	v_div_fmas_f32 v6, v6, v9, v10
	v_div_fixup_f32 v6, v6, v7, 1.0
	s_delay_alu instid0(VALU_DEP_1)
	v_mul_f32_e32 v8, v8, v6
	v_xor_b32_e32 v9, 0x80000000, v6
                                        ; implicit-def: $vgpr6_vgpr7
.LBB119_95:
	s_and_not1_saveexec_b32 s1, s1
	s_cbranch_execz .LBB119_97
; %bb.96:
	v_div_scale_f32 v8, null, v6, v6, v7
	v_div_scale_f32 v11, vcc_lo, v7, v6, v7
	s_delay_alu instid0(VALU_DEP_2) | instskip(SKIP_1) | instid1(TRANS32_DEP_1)
	v_rcp_f32_e32 v9, v8
	v_nop
	v_fma_f32 v10, -v8, v9, 1.0
	s_delay_alu instid0(VALU_DEP_1) | instskip(NEXT) | instid1(VALU_DEP_1)
	v_fmac_f32_e32 v9, v10, v9
	v_mul_f32_e32 v10, v11, v9
	s_delay_alu instid0(VALU_DEP_1) | instskip(NEXT) | instid1(VALU_DEP_1)
	v_fma_f32 v12, -v8, v10, v11
	v_fmac_f32_e32 v10, v12, v9
	s_delay_alu instid0(VALU_DEP_1) | instskip(NEXT) | instid1(VALU_DEP_1)
	v_fma_f32 v8, -v8, v10, v11
	v_div_fmas_f32 v8, v8, v9, v10
	s_delay_alu instid0(VALU_DEP_1) | instskip(NEXT) | instid1(VALU_DEP_1)
	v_div_fixup_f32 v9, v8, v6, v7
	v_fmac_f32_e32 v6, v7, v9
	s_delay_alu instid0(VALU_DEP_1) | instskip(NEXT) | instid1(VALU_DEP_1)
	v_div_scale_f32 v7, null, v6, v6, 1.0
	v_rcp_f32_e32 v8, v7
	v_nop
	s_delay_alu instid0(TRANS32_DEP_1) | instskip(NEXT) | instid1(VALU_DEP_1)
	v_fma_f32 v10, -v7, v8, 1.0
	v_fmac_f32_e32 v8, v10, v8
	v_div_scale_f32 v10, vcc_lo, 1.0, v6, 1.0
	s_delay_alu instid0(VALU_DEP_1) | instskip(NEXT) | instid1(VALU_DEP_1)
	v_mul_f32_e32 v11, v10, v8
	v_fma_f32 v12, -v7, v11, v10
	s_delay_alu instid0(VALU_DEP_1) | instskip(NEXT) | instid1(VALU_DEP_1)
	v_fmac_f32_e32 v11, v12, v8
	v_fma_f32 v7, -v7, v11, v10
	s_delay_alu instid0(VALU_DEP_1) | instskip(NEXT) | instid1(VALU_DEP_1)
	v_div_fmas_f32 v7, v7, v8, v11
	v_div_fixup_f32 v8, v7, v6, 1.0
	s_delay_alu instid0(VALU_DEP_1)
	v_mul_f32_e64 v9, v9, -v8
.LBB119_97:
	s_or_b32 exec_lo, exec_lo, s1
	ds_store_b64 v207, v[8:9]
.LBB119_98:
	s_or_b32 exec_lo, exec_lo, s2
	s_wait_dscnt 0x0
	s_barrier_signal -1
	s_barrier_wait -1
	ds_load_b64 v[6:7], v207
	s_mov_b32 s1, exec_lo
	v_cmpx_lt_u32_e32 10, v206
	s_cbranch_execz .LBB119_100
; %bb.99:
	ds_load_2addr_b64 v[12:15], v216 offset0:11 offset1:12
	s_wait_dscnt 0x1
	v_pk_mul_f32 v[10:11], v[6:7], v[38:39] op_sel:[1,1] op_sel_hi:[0,1]
	s_delay_alu instid0(VALU_DEP_1) | instskip(SKIP_1) | instid1(VALU_DEP_1)
	v_pk_fma_f32 v[8:9], v[6:7], v[38:39], v[10:11] op_sel_hi:[1,0,1] neg_lo:[0,0,1] neg_hi:[0,0,1]
	v_pk_fma_f32 v[10:11], v[6:7], v[38:39], v[10:11] op_sel_hi:[1,0,1]
	v_dual_mov_b32 v38, v8 :: v_dual_mov_b32 v39, v11
	s_wait_dscnt 0x0
	s_delay_alu instid0(VALU_DEP_2) | instskip(NEXT) | instid1(VALU_DEP_1)
	v_pk_mul_f32 v[18:19], v[12:13], v[10:11] op_sel:[0,1]
	v_pk_fma_f32 v[28:29], v[12:13], v[8:9], v[18:19] op_sel:[0,0,1] op_sel_hi:[1,1,0] neg_lo:[0,0,1] neg_hi:[0,0,1]
	v_pk_fma_f32 v[12:13], v[12:13], v[8:9], v[18:19] op_sel:[0,0,1] op_sel_hi:[1,0,0]
	s_delay_alu instid0(VALU_DEP_1) | instskip(SKIP_1) | instid1(VALU_DEP_1)
	v_mov_b32_e32 v29, v13
	v_pk_mul_f32 v[12:13], v[14:15], v[10:11] op_sel:[0,1]
	v_pk_fma_f32 v[18:19], v[14:15], v[8:9], v[12:13] op_sel:[0,0,1] op_sel_hi:[1,1,0] neg_lo:[0,0,1] neg_hi:[0,0,1]
	v_pk_fma_f32 v[12:13], v[14:15], v[8:9], v[12:13] op_sel:[0,0,1] op_sel_hi:[1,0,0]
	s_delay_alu instid0(VALU_DEP_1)
	v_mov_b32_e32 v19, v13
	ds_load_2addr_b64 v[12:15], v216 offset0:13 offset1:14
	v_pk_add_f32 v[34:35], v[34:35], v[28:29] neg_lo:[0,1] neg_hi:[0,1]
	v_pk_add_f32 v[66:67], v[66:67], v[18:19] neg_lo:[0,1] neg_hi:[0,1]
	s_wait_dscnt 0x0
	v_pk_mul_f32 v[18:19], v[12:13], v[10:11] op_sel:[0,1]
	s_delay_alu instid0(VALU_DEP_1) | instskip(SKIP_2) | instid1(VALU_DEP_2)
	v_pk_fma_f32 v[28:29], v[12:13], v[8:9], v[18:19] op_sel:[0,0,1] op_sel_hi:[1,1,0] neg_lo:[0,0,1] neg_hi:[0,0,1]
	v_pk_fma_f32 v[12:13], v[12:13], v[8:9], v[18:19] op_sel:[0,0,1] op_sel_hi:[1,0,0]
	v_dual_mul_f32 v18, v15, v11 :: v_dual_mov_b32 v12, v15
	v_dual_mov_b32 v29, v13 :: v_dual_mov_b32 v13, v14
	s_delay_alu instid0(VALU_DEP_2) | instskip(SKIP_1) | instid1(VALU_DEP_3)
	v_pk_fma_f32 v[18:19], v[14:15], v[38:39], v[18:19] op_sel_hi:[1,1,0] neg_lo:[0,0,1] neg_hi:[0,0,1]
	v_mul_f32_e32 v14, v15, v8
	v_pk_add_f32 v[62:63], v[62:63], v[28:29] neg_lo:[0,1] neg_hi:[0,1]
	s_delay_alu instid0(VALU_DEP_2) | instskip(NEXT) | instid1(VALU_DEP_1)
	v_pk_fma_f32 v[12:13], v[12:13], v[38:39], v[14:15] op_sel_hi:[1,1,0]
	v_mov_b32_e32 v19, v13
	ds_load_2addr_b64 v[12:15], v216 offset0:15 offset1:16
	v_pk_add_f32 v[64:65], v[64:65], v[18:19] neg_lo:[0,1] neg_hi:[0,1]
	s_wait_dscnt 0x0
	v_pk_mul_f32 v[18:19], v[12:13], v[10:11] op_sel:[0,1]
	s_delay_alu instid0(VALU_DEP_1) | instskip(SKIP_1) | instid1(VALU_DEP_1)
	v_pk_fma_f32 v[28:29], v[12:13], v[8:9], v[18:19] op_sel:[0,0,1] op_sel_hi:[1,1,0] neg_lo:[0,0,1] neg_hi:[0,0,1]
	v_pk_fma_f32 v[12:13], v[12:13], v[8:9], v[18:19] op_sel:[0,0,1] op_sel_hi:[1,0,0]
	v_mov_b32_e32 v29, v13
	v_pk_mul_f32 v[12:13], v[14:15], v[10:11] op_sel:[0,1]
	s_delay_alu instid0(VALU_DEP_1) | instskip(SKIP_1) | instid1(VALU_DEP_1)
	v_pk_fma_f32 v[18:19], v[14:15], v[8:9], v[12:13] op_sel:[0,0,1] op_sel_hi:[1,1,0] neg_lo:[0,0,1] neg_hi:[0,0,1]
	v_pk_fma_f32 v[12:13], v[14:15], v[8:9], v[12:13] op_sel:[0,0,1] op_sel_hi:[1,0,0]
	v_mov_b32_e32 v19, v13
	ds_load_2addr_b64 v[12:15], v216 offset0:17 offset1:18
	v_pk_add_f32 v[60:61], v[60:61], v[28:29] neg_lo:[0,1] neg_hi:[0,1]
	v_pk_add_f32 v[82:83], v[82:83], v[18:19] neg_lo:[0,1] neg_hi:[0,1]
	s_wait_dscnt 0x0
	v_pk_mul_f32 v[18:19], v[12:13], v[10:11] op_sel:[0,1]
	s_delay_alu instid0(VALU_DEP_1) | instskip(SKIP_1) | instid1(VALU_DEP_1)
	v_pk_fma_f32 v[28:29], v[12:13], v[8:9], v[18:19] op_sel:[0,0,1] op_sel_hi:[1,1,0] neg_lo:[0,0,1] neg_hi:[0,0,1]
	v_pk_fma_f32 v[12:13], v[12:13], v[8:9], v[18:19] op_sel:[0,0,1] op_sel_hi:[1,0,0]
	v_mov_b32_e32 v29, v13
	v_pk_mul_f32 v[12:13], v[14:15], v[10:11] op_sel:[0,1]
	s_delay_alu instid0(VALU_DEP_1) | instskip(SKIP_1) | instid1(VALU_DEP_1)
	v_pk_fma_f32 v[18:19], v[14:15], v[8:9], v[12:13] op_sel:[0,0,1] op_sel_hi:[1,1,0] neg_lo:[0,0,1] neg_hi:[0,0,1]
	v_pk_fma_f32 v[12:13], v[14:15], v[8:9], v[12:13] op_sel:[0,0,1] op_sel_hi:[1,0,0]
	v_mov_b32_e32 v19, v13
	ds_load_2addr_b64 v[12:15], v216 offset0:19 offset1:20
	v_pk_add_f32 v[78:79], v[78:79], v[28:29] neg_lo:[0,1] neg_hi:[0,1]
	v_pk_add_f32 v[80:81], v[80:81], v[18:19] neg_lo:[0,1] neg_hi:[0,1]
	s_wait_dscnt 0x0
	v_dual_mul_f32 v18, v13, v11 :: v_dual_mul_f32 v28, v13, v8
	s_delay_alu instid0(VALU_DEP_1) | instskip(NEXT) | instid1(VALU_DEP_2)
	v_pk_fma_f32 v[18:19], v[12:13], v[38:39], v[18:19] op_sel_hi:[1,1,0] neg_lo:[0,0,1] neg_hi:[0,0,1]
	v_pk_fma_f32 v[12:13], v[12:13], v[38:39], v[28:29] op_sel:[1,0,0] op_sel_hi:[0,1,0]
	s_delay_alu instid0(VALU_DEP_1) | instskip(SKIP_1) | instid1(VALU_DEP_2)
	v_mov_b32_e32 v19, v13
	v_pk_mul_f32 v[12:13], v[14:15], v[10:11] op_sel:[0,1]
	v_pk_add_f32 v[76:77], v[76:77], v[18:19] neg_lo:[0,1] neg_hi:[0,1]
	s_delay_alu instid0(VALU_DEP_2) | instskip(SKIP_1) | instid1(VALU_DEP_1)
	v_pk_fma_f32 v[18:19], v[14:15], v[8:9], v[12:13] op_sel:[0,0,1] op_sel_hi:[1,1,0] neg_lo:[0,0,1] neg_hi:[0,0,1]
	v_pk_fma_f32 v[12:13], v[14:15], v[8:9], v[12:13] op_sel:[0,0,1] op_sel_hi:[1,0,0]
	v_mov_b32_e32 v19, v13
	ds_load_2addr_b64 v[12:15], v216 offset0:21 offset1:22
	v_pk_add_f32 v[98:99], v[98:99], v[18:19] neg_lo:[0,1] neg_hi:[0,1]
	s_wait_dscnt 0x0
	v_pk_mul_f32 v[18:19], v[12:13], v[10:11] op_sel:[0,1]
	s_delay_alu instid0(VALU_DEP_1) | instskip(SKIP_1) | instid1(VALU_DEP_1)
	v_pk_fma_f32 v[28:29], v[12:13], v[8:9], v[18:19] op_sel:[0,0,1] op_sel_hi:[1,1,0] neg_lo:[0,0,1] neg_hi:[0,0,1]
	v_pk_fma_f32 v[12:13], v[12:13], v[8:9], v[18:19] op_sel:[0,0,1] op_sel_hi:[1,0,0]
	v_mov_b32_e32 v29, v13
	v_pk_mul_f32 v[12:13], v[14:15], v[10:11] op_sel:[0,1]
	s_delay_alu instid0(VALU_DEP_2) | instskip(NEXT) | instid1(VALU_DEP_2)
	v_pk_add_f32 v[94:95], v[94:95], v[28:29] neg_lo:[0,1] neg_hi:[0,1]
	v_pk_fma_f32 v[18:19], v[14:15], v[8:9], v[12:13] op_sel:[0,0,1] op_sel_hi:[1,1,0] neg_lo:[0,0,1] neg_hi:[0,0,1]
	v_pk_fma_f32 v[12:13], v[14:15], v[8:9], v[12:13] op_sel:[0,0,1] op_sel_hi:[1,0,0]
	s_delay_alu instid0(VALU_DEP_1) | instskip(SKIP_4) | instid1(VALU_DEP_1)
	v_mov_b32_e32 v19, v13
	ds_load_2addr_b64 v[12:15], v216 offset0:23 offset1:24
	v_pk_add_f32 v[96:97], v[96:97], v[18:19] neg_lo:[0,1] neg_hi:[0,1]
	s_wait_dscnt 0x0
	v_pk_mul_f32 v[18:19], v[12:13], v[10:11] op_sel:[0,1]
	v_pk_fma_f32 v[28:29], v[12:13], v[8:9], v[18:19] op_sel:[0,0,1] op_sel_hi:[1,1,0] neg_lo:[0,0,1] neg_hi:[0,0,1]
	v_pk_fma_f32 v[12:13], v[12:13], v[8:9], v[18:19] op_sel:[0,0,1] op_sel_hi:[1,0,0]
	v_dual_mul_f32 v18, v15, v11 :: v_dual_mov_b32 v12, v15
	s_delay_alu instid0(VALU_DEP_2) | instskip(NEXT) | instid1(VALU_DEP_2)
	v_dual_mov_b32 v29, v13 :: v_dual_mov_b32 v13, v14
	v_pk_fma_f32 v[18:19], v[14:15], v[38:39], v[18:19] op_sel_hi:[1,1,0] neg_lo:[0,0,1] neg_hi:[0,0,1]
	v_mul_f32_e32 v14, v15, v8
	s_delay_alu instid0(VALU_DEP_3) | instskip(NEXT) | instid1(VALU_DEP_2)
	v_pk_add_f32 v[92:93], v[92:93], v[28:29] neg_lo:[0,1] neg_hi:[0,1]
	v_pk_fma_f32 v[12:13], v[12:13], v[38:39], v[14:15] op_sel_hi:[1,1,0]
	s_delay_alu instid0(VALU_DEP_1) | instskip(SKIP_4) | instid1(VALU_DEP_1)
	v_mov_b32_e32 v19, v13
	ds_load_2addr_b64 v[12:15], v216 offset0:25 offset1:26
	v_pk_add_f32 v[114:115], v[114:115], v[18:19] neg_lo:[0,1] neg_hi:[0,1]
	s_wait_dscnt 0x0
	v_pk_mul_f32 v[18:19], v[12:13], v[10:11] op_sel:[0,1]
	v_pk_fma_f32 v[28:29], v[12:13], v[8:9], v[18:19] op_sel:[0,0,1] op_sel_hi:[1,1,0] neg_lo:[0,0,1] neg_hi:[0,0,1]
	v_pk_fma_f32 v[12:13], v[12:13], v[8:9], v[18:19] op_sel:[0,0,1] op_sel_hi:[1,0,0]
	s_delay_alu instid0(VALU_DEP_1) | instskip(SKIP_1) | instid1(VALU_DEP_1)
	v_mov_b32_e32 v29, v13
	v_pk_mul_f32 v[12:13], v[14:15], v[10:11] op_sel:[0,1]
	v_pk_fma_f32 v[18:19], v[14:15], v[8:9], v[12:13] op_sel:[0,0,1] op_sel_hi:[1,1,0] neg_lo:[0,0,1] neg_hi:[0,0,1]
	v_pk_fma_f32 v[12:13], v[14:15], v[8:9], v[12:13] op_sel:[0,0,1] op_sel_hi:[1,0,0]
	s_delay_alu instid0(VALU_DEP_1)
	v_mov_b32_e32 v19, v13
	ds_load_2addr_b64 v[12:15], v216 offset0:27 offset1:28
	v_pk_add_f32 v[110:111], v[110:111], v[28:29] neg_lo:[0,1] neg_hi:[0,1]
	v_pk_add_f32 v[112:113], v[112:113], v[18:19] neg_lo:[0,1] neg_hi:[0,1]
	s_wait_dscnt 0x0
	v_pk_mul_f32 v[18:19], v[12:13], v[10:11] op_sel:[0,1]
	s_delay_alu instid0(VALU_DEP_1) | instskip(SKIP_1) | instid1(VALU_DEP_1)
	v_pk_fma_f32 v[28:29], v[12:13], v[8:9], v[18:19] op_sel:[0,0,1] op_sel_hi:[1,1,0] neg_lo:[0,0,1] neg_hi:[0,0,1]
	v_pk_fma_f32 v[12:13], v[12:13], v[8:9], v[18:19] op_sel:[0,0,1] op_sel_hi:[1,0,0]
	v_mov_b32_e32 v29, v13
	v_pk_mul_f32 v[12:13], v[14:15], v[10:11] op_sel:[0,1]
	s_delay_alu instid0(VALU_DEP_1) | instskip(SKIP_1) | instid1(VALU_DEP_1)
	v_pk_fma_f32 v[18:19], v[14:15], v[8:9], v[12:13] op_sel:[0,0,1] op_sel_hi:[1,1,0] neg_lo:[0,0,1] neg_hi:[0,0,1]
	v_pk_fma_f32 v[12:13], v[14:15], v[8:9], v[12:13] op_sel:[0,0,1] op_sel_hi:[1,0,0]
	v_mov_b32_e32 v19, v13
	ds_load_2addr_b64 v[12:15], v216 offset0:29 offset1:30
	v_pk_add_f32 v[108:109], v[108:109], v[28:29] neg_lo:[0,1] neg_hi:[0,1]
	v_pk_add_f32 v[130:131], v[130:131], v[18:19] neg_lo:[0,1] neg_hi:[0,1]
	s_wait_dscnt 0x0
	v_dual_mul_f32 v18, v13, v11 :: v_dual_mul_f32 v28, v13, v8
	s_delay_alu instid0(VALU_DEP_1) | instskip(NEXT) | instid1(VALU_DEP_2)
	v_pk_fma_f32 v[18:19], v[12:13], v[38:39], v[18:19] op_sel_hi:[1,1,0] neg_lo:[0,0,1] neg_hi:[0,0,1]
	v_pk_fma_f32 v[12:13], v[12:13], v[38:39], v[28:29] op_sel:[1,0,0] op_sel_hi:[0,1,0]
	s_delay_alu instid0(VALU_DEP_1) | instskip(SKIP_1) | instid1(VALU_DEP_2)
	v_mov_b32_e32 v19, v13
	v_pk_mul_f32 v[12:13], v[14:15], v[10:11] op_sel:[0,1]
	v_pk_add_f32 v[126:127], v[126:127], v[18:19] neg_lo:[0,1] neg_hi:[0,1]
	s_delay_alu instid0(VALU_DEP_2) | instskip(SKIP_1) | instid1(VALU_DEP_1)
	v_pk_fma_f32 v[18:19], v[14:15], v[8:9], v[12:13] op_sel:[0,0,1] op_sel_hi:[1,1,0] neg_lo:[0,0,1] neg_hi:[0,0,1]
	v_pk_fma_f32 v[12:13], v[14:15], v[8:9], v[12:13] op_sel:[0,0,1] op_sel_hi:[1,0,0]
	v_mov_b32_e32 v19, v13
	ds_load_2addr_b64 v[12:15], v216 offset0:31 offset1:32
	v_pk_add_f32 v[128:129], v[128:129], v[18:19] neg_lo:[0,1] neg_hi:[0,1]
	s_wait_dscnt 0x0
	v_pk_mul_f32 v[18:19], v[12:13], v[10:11] op_sel:[0,1]
	s_delay_alu instid0(VALU_DEP_1) | instskip(SKIP_1) | instid1(VALU_DEP_1)
	v_pk_fma_f32 v[28:29], v[12:13], v[8:9], v[18:19] op_sel:[0,0,1] op_sel_hi:[1,1,0] neg_lo:[0,0,1] neg_hi:[0,0,1]
	v_pk_fma_f32 v[12:13], v[12:13], v[8:9], v[18:19] op_sel:[0,0,1] op_sel_hi:[1,0,0]
	v_mov_b32_e32 v29, v13
	v_pk_mul_f32 v[12:13], v[14:15], v[10:11] op_sel:[0,1]
	s_delay_alu instid0(VALU_DEP_2) | instskip(NEXT) | instid1(VALU_DEP_2)
	v_pk_add_f32 v[124:125], v[124:125], v[28:29] neg_lo:[0,1] neg_hi:[0,1]
	v_pk_fma_f32 v[18:19], v[14:15], v[8:9], v[12:13] op_sel:[0,0,1] op_sel_hi:[1,1,0] neg_lo:[0,0,1] neg_hi:[0,0,1]
	v_pk_fma_f32 v[12:13], v[14:15], v[8:9], v[12:13] op_sel:[0,0,1] op_sel_hi:[1,0,0]
	s_delay_alu instid0(VALU_DEP_1) | instskip(SKIP_4) | instid1(VALU_DEP_1)
	v_mov_b32_e32 v19, v13
	ds_load_2addr_b64 v[12:15], v216 offset0:33 offset1:34
	v_pk_add_f32 v[146:147], v[146:147], v[18:19] neg_lo:[0,1] neg_hi:[0,1]
	s_wait_dscnt 0x0
	v_pk_mul_f32 v[18:19], v[12:13], v[10:11] op_sel:[0,1]
	v_pk_fma_f32 v[28:29], v[12:13], v[8:9], v[18:19] op_sel:[0,0,1] op_sel_hi:[1,1,0] neg_lo:[0,0,1] neg_hi:[0,0,1]
	v_pk_fma_f32 v[12:13], v[12:13], v[8:9], v[18:19] op_sel:[0,0,1] op_sel_hi:[1,0,0]
	v_dual_mul_f32 v18, v15, v11 :: v_dual_mov_b32 v12, v15
	s_delay_alu instid0(VALU_DEP_2) | instskip(NEXT) | instid1(VALU_DEP_2)
	v_dual_mov_b32 v29, v13 :: v_dual_mov_b32 v13, v14
	v_pk_fma_f32 v[18:19], v[14:15], v[38:39], v[18:19] op_sel_hi:[1,1,0] neg_lo:[0,0,1] neg_hi:[0,0,1]
	v_mul_f32_e32 v14, v15, v8
	s_delay_alu instid0(VALU_DEP_3) | instskip(NEXT) | instid1(VALU_DEP_2)
	v_pk_add_f32 v[142:143], v[142:143], v[28:29] neg_lo:[0,1] neg_hi:[0,1]
	v_pk_fma_f32 v[12:13], v[12:13], v[38:39], v[14:15] op_sel_hi:[1,1,0]
	s_delay_alu instid0(VALU_DEP_1) | instskip(SKIP_4) | instid1(VALU_DEP_1)
	v_mov_b32_e32 v19, v13
	ds_load_2addr_b64 v[12:15], v216 offset0:35 offset1:36
	v_pk_add_f32 v[144:145], v[144:145], v[18:19] neg_lo:[0,1] neg_hi:[0,1]
	s_wait_dscnt 0x0
	v_pk_mul_f32 v[18:19], v[12:13], v[10:11] op_sel:[0,1]
	v_pk_fma_f32 v[28:29], v[12:13], v[8:9], v[18:19] op_sel:[0,0,1] op_sel_hi:[1,1,0] neg_lo:[0,0,1] neg_hi:[0,0,1]
	v_pk_fma_f32 v[12:13], v[12:13], v[8:9], v[18:19] op_sel:[0,0,1] op_sel_hi:[1,0,0]
	s_delay_alu instid0(VALU_DEP_1) | instskip(SKIP_1) | instid1(VALU_DEP_1)
	v_mov_b32_e32 v29, v13
	v_pk_mul_f32 v[12:13], v[14:15], v[10:11] op_sel:[0,1]
	v_pk_fma_f32 v[18:19], v[14:15], v[8:9], v[12:13] op_sel:[0,0,1] op_sel_hi:[1,1,0] neg_lo:[0,0,1] neg_hi:[0,0,1]
	v_pk_fma_f32 v[12:13], v[14:15], v[8:9], v[12:13] op_sel:[0,0,1] op_sel_hi:[1,0,0]
	s_delay_alu instid0(VALU_DEP_1)
	v_mov_b32_e32 v19, v13
	ds_load_2addr_b64 v[12:15], v216 offset0:37 offset1:38
	v_pk_add_f32 v[140:141], v[140:141], v[28:29] neg_lo:[0,1] neg_hi:[0,1]
	v_pk_add_f32 v[162:163], v[162:163], v[18:19] neg_lo:[0,1] neg_hi:[0,1]
	s_wait_dscnt 0x0
	v_pk_mul_f32 v[18:19], v[12:13], v[10:11] op_sel:[0,1]
	s_delay_alu instid0(VALU_DEP_1) | instskip(SKIP_1) | instid1(VALU_DEP_1)
	v_pk_fma_f32 v[28:29], v[12:13], v[8:9], v[18:19] op_sel:[0,0,1] op_sel_hi:[1,1,0] neg_lo:[0,0,1] neg_hi:[0,0,1]
	v_pk_fma_f32 v[12:13], v[12:13], v[8:9], v[18:19] op_sel:[0,0,1] op_sel_hi:[1,0,0]
	v_mov_b32_e32 v29, v13
	v_pk_mul_f32 v[12:13], v[14:15], v[10:11] op_sel:[0,1]
	s_delay_alu instid0(VALU_DEP_1) | instskip(SKIP_1) | instid1(VALU_DEP_1)
	v_pk_fma_f32 v[18:19], v[14:15], v[8:9], v[12:13] op_sel:[0,0,1] op_sel_hi:[1,1,0] neg_lo:[0,0,1] neg_hi:[0,0,1]
	v_pk_fma_f32 v[12:13], v[14:15], v[8:9], v[12:13] op_sel:[0,0,1] op_sel_hi:[1,0,0]
	v_mov_b32_e32 v19, v13
	ds_load_2addr_b64 v[12:15], v216 offset0:39 offset1:40
	v_pk_add_f32 v[158:159], v[158:159], v[28:29] neg_lo:[0,1] neg_hi:[0,1]
	v_pk_add_f32 v[160:161], v[160:161], v[18:19] neg_lo:[0,1] neg_hi:[0,1]
	s_wait_dscnt 0x0
	v_dual_mul_f32 v18, v13, v11 :: v_dual_mul_f32 v28, v13, v8
	s_delay_alu instid0(VALU_DEP_1) | instskip(NEXT) | instid1(VALU_DEP_2)
	v_pk_fma_f32 v[18:19], v[12:13], v[38:39], v[18:19] op_sel_hi:[1,1,0] neg_lo:[0,0,1] neg_hi:[0,0,1]
	v_pk_fma_f32 v[12:13], v[12:13], v[38:39], v[28:29] op_sel:[1,0,0] op_sel_hi:[0,1,0]
	s_delay_alu instid0(VALU_DEP_1) | instskip(SKIP_1) | instid1(VALU_DEP_2)
	v_mov_b32_e32 v19, v13
	v_pk_mul_f32 v[12:13], v[14:15], v[10:11] op_sel:[0,1]
	v_pk_add_f32 v[156:157], v[156:157], v[18:19] neg_lo:[0,1] neg_hi:[0,1]
	s_delay_alu instid0(VALU_DEP_2) | instskip(SKIP_1) | instid1(VALU_DEP_1)
	v_pk_fma_f32 v[18:19], v[14:15], v[8:9], v[12:13] op_sel:[0,0,1] op_sel_hi:[1,1,0] neg_lo:[0,0,1] neg_hi:[0,0,1]
	v_pk_fma_f32 v[12:13], v[14:15], v[8:9], v[12:13] op_sel:[0,0,1] op_sel_hi:[1,0,0]
	v_mov_b32_e32 v19, v13
	ds_load_2addr_b64 v[12:15], v216 offset0:41 offset1:42
	v_pk_add_f32 v[178:179], v[178:179], v[18:19] neg_lo:[0,1] neg_hi:[0,1]
	s_wait_dscnt 0x0
	v_pk_mul_f32 v[18:19], v[12:13], v[10:11] op_sel:[0,1]
	s_delay_alu instid0(VALU_DEP_1) | instskip(SKIP_1) | instid1(VALU_DEP_1)
	v_pk_fma_f32 v[28:29], v[12:13], v[8:9], v[18:19] op_sel:[0,0,1] op_sel_hi:[1,1,0] neg_lo:[0,0,1] neg_hi:[0,0,1]
	v_pk_fma_f32 v[12:13], v[12:13], v[8:9], v[18:19] op_sel:[0,0,1] op_sel_hi:[1,0,0]
	v_mov_b32_e32 v29, v13
	v_pk_mul_f32 v[12:13], v[14:15], v[10:11] op_sel:[0,1]
	s_delay_alu instid0(VALU_DEP_2) | instskip(NEXT) | instid1(VALU_DEP_2)
	v_pk_add_f32 v[174:175], v[174:175], v[28:29] neg_lo:[0,1] neg_hi:[0,1]
	v_pk_fma_f32 v[18:19], v[14:15], v[8:9], v[12:13] op_sel:[0,0,1] op_sel_hi:[1,1,0] neg_lo:[0,0,1] neg_hi:[0,0,1]
	v_pk_fma_f32 v[12:13], v[14:15], v[8:9], v[12:13] op_sel:[0,0,1] op_sel_hi:[1,0,0]
	s_delay_alu instid0(VALU_DEP_1) | instskip(SKIP_4) | instid1(VALU_DEP_1)
	v_mov_b32_e32 v19, v13
	ds_load_2addr_b64 v[12:15], v216 offset0:43 offset1:44
	v_pk_add_f32 v[176:177], v[176:177], v[18:19] neg_lo:[0,1] neg_hi:[0,1]
	s_wait_dscnt 0x0
	v_pk_mul_f32 v[18:19], v[12:13], v[10:11] op_sel:[0,1]
	v_pk_fma_f32 v[28:29], v[12:13], v[8:9], v[18:19] op_sel:[0,0,1] op_sel_hi:[1,1,0] neg_lo:[0,0,1] neg_hi:[0,0,1]
	v_pk_fma_f32 v[12:13], v[12:13], v[8:9], v[18:19] op_sel:[0,0,1] op_sel_hi:[1,0,0]
	v_dual_mul_f32 v18, v15, v11 :: v_dual_mov_b32 v12, v15
	s_delay_alu instid0(VALU_DEP_2) | instskip(NEXT) | instid1(VALU_DEP_2)
	v_dual_mov_b32 v29, v13 :: v_dual_mov_b32 v13, v14
	v_pk_fma_f32 v[18:19], v[14:15], v[38:39], v[18:19] op_sel_hi:[1,1,0] neg_lo:[0,0,1] neg_hi:[0,0,1]
	v_mul_f32_e32 v14, v15, v8
	s_delay_alu instid0(VALU_DEP_3) | instskip(NEXT) | instid1(VALU_DEP_2)
	v_pk_add_f32 v[172:173], v[172:173], v[28:29] neg_lo:[0,1] neg_hi:[0,1]
	v_pk_fma_f32 v[12:13], v[12:13], v[38:39], v[14:15] op_sel_hi:[1,1,0]
	s_delay_alu instid0(VALU_DEP_1) | instskip(SKIP_4) | instid1(VALU_DEP_1)
	v_mov_b32_e32 v19, v13
	ds_load_2addr_b64 v[12:15], v216 offset0:45 offset1:46
	v_pk_add_f32 v[194:195], v[194:195], v[18:19] neg_lo:[0,1] neg_hi:[0,1]
	s_wait_dscnt 0x0
	v_pk_mul_f32 v[18:19], v[12:13], v[10:11] op_sel:[0,1]
	v_pk_fma_f32 v[28:29], v[12:13], v[8:9], v[18:19] op_sel:[0,0,1] op_sel_hi:[1,1,0] neg_lo:[0,0,1] neg_hi:[0,0,1]
	v_pk_fma_f32 v[12:13], v[12:13], v[8:9], v[18:19] op_sel:[0,0,1] op_sel_hi:[1,0,0]
	s_delay_alu instid0(VALU_DEP_1) | instskip(SKIP_1) | instid1(VALU_DEP_1)
	v_mov_b32_e32 v29, v13
	v_pk_mul_f32 v[12:13], v[14:15], v[10:11] op_sel:[0,1]
	v_pk_fma_f32 v[18:19], v[14:15], v[8:9], v[12:13] op_sel:[0,0,1] op_sel_hi:[1,1,0] neg_lo:[0,0,1] neg_hi:[0,0,1]
	v_pk_fma_f32 v[12:13], v[14:15], v[8:9], v[12:13] op_sel:[0,0,1] op_sel_hi:[1,0,0]
	s_delay_alu instid0(VALU_DEP_1)
	v_mov_b32_e32 v19, v13
	ds_load_2addr_b64 v[12:15], v216 offset0:47 offset1:48
	v_pk_add_f32 v[190:191], v[190:191], v[28:29] neg_lo:[0,1] neg_hi:[0,1]
	v_pk_add_f32 v[192:193], v[192:193], v[18:19] neg_lo:[0,1] neg_hi:[0,1]
	s_wait_dscnt 0x0
	v_pk_mul_f32 v[18:19], v[12:13], v[10:11] op_sel:[0,1]
	s_delay_alu instid0(VALU_DEP_1) | instskip(SKIP_1) | instid1(VALU_DEP_1)
	v_pk_fma_f32 v[28:29], v[12:13], v[8:9], v[18:19] op_sel:[0,0,1] op_sel_hi:[1,1,0] neg_lo:[0,0,1] neg_hi:[0,0,1]
	v_pk_fma_f32 v[12:13], v[12:13], v[8:9], v[18:19] op_sel:[0,0,1] op_sel_hi:[1,0,0]
	v_mov_b32_e32 v29, v13
	v_pk_mul_f32 v[12:13], v[14:15], v[10:11] op_sel:[0,1]
	s_delay_alu instid0(VALU_DEP_1) | instskip(SKIP_1) | instid1(VALU_DEP_1)
	v_pk_fma_f32 v[18:19], v[14:15], v[8:9], v[12:13] op_sel:[0,0,1] op_sel_hi:[1,1,0] neg_lo:[0,0,1] neg_hi:[0,0,1]
	v_pk_fma_f32 v[12:13], v[14:15], v[8:9], v[12:13] op_sel:[0,0,1] op_sel_hi:[1,0,0]
	v_mov_b32_e32 v19, v13
	ds_load_2addr_b64 v[12:15], v216 offset0:49 offset1:50
	v_pk_add_f32 v[188:189], v[188:189], v[28:29] neg_lo:[0,1] neg_hi:[0,1]
	v_pk_add_f32 v[214:215], v[214:215], v[18:19] neg_lo:[0,1] neg_hi:[0,1]
	s_wait_dscnt 0x0
	v_dual_mul_f32 v18, v13, v11 :: v_dual_mul_f32 v28, v13, v8
	s_delay_alu instid0(VALU_DEP_1) | instskip(NEXT) | instid1(VALU_DEP_2)
	v_pk_fma_f32 v[18:19], v[12:13], v[38:39], v[18:19] op_sel_hi:[1,1,0] neg_lo:[0,0,1] neg_hi:[0,0,1]
	v_pk_fma_f32 v[12:13], v[12:13], v[38:39], v[28:29] op_sel:[1,0,0] op_sel_hi:[0,1,0]
	s_delay_alu instid0(VALU_DEP_1) | instskip(SKIP_1) | instid1(VALU_DEP_2)
	v_mov_b32_e32 v19, v13
	v_pk_mul_f32 v[12:13], v[14:15], v[10:11] op_sel:[0,1]
	v_pk_add_f32 v[210:211], v[210:211], v[18:19] neg_lo:[0,1] neg_hi:[0,1]
	s_delay_alu instid0(VALU_DEP_2) | instskip(SKIP_1) | instid1(VALU_DEP_1)
	v_pk_fma_f32 v[18:19], v[14:15], v[8:9], v[12:13] op_sel:[0,0,1] op_sel_hi:[1,1,0] neg_lo:[0,0,1] neg_hi:[0,0,1]
	v_pk_fma_f32 v[12:13], v[14:15], v[8:9], v[12:13] op_sel:[0,0,1] op_sel_hi:[1,0,0]
	v_mov_b32_e32 v19, v13
	ds_load_2addr_b64 v[12:15], v216 offset0:51 offset1:52
	v_pk_add_f32 v[212:213], v[212:213], v[18:19] neg_lo:[0,1] neg_hi:[0,1]
	s_wait_dscnt 0x0
	v_pk_mul_f32 v[18:19], v[12:13], v[10:11] op_sel:[0,1]
	s_delay_alu instid0(VALU_DEP_1) | instskip(SKIP_1) | instid1(VALU_DEP_1)
	v_pk_fma_f32 v[28:29], v[12:13], v[8:9], v[18:19] op_sel:[0,0,1] op_sel_hi:[1,1,0] neg_lo:[0,0,1] neg_hi:[0,0,1]
	v_pk_fma_f32 v[12:13], v[12:13], v[8:9], v[18:19] op_sel:[0,0,1] op_sel_hi:[1,0,0]
	v_mov_b32_e32 v29, v13
	v_pk_mul_f32 v[12:13], v[14:15], v[10:11] op_sel:[0,1]
	s_delay_alu instid0(VALU_DEP_2) | instskip(NEXT) | instid1(VALU_DEP_2)
	v_pk_add_f32 v[208:209], v[208:209], v[28:29] neg_lo:[0,1] neg_hi:[0,1]
	v_pk_fma_f32 v[18:19], v[14:15], v[8:9], v[12:13] op_sel:[0,0,1] op_sel_hi:[1,1,0] neg_lo:[0,0,1] neg_hi:[0,0,1]
	v_pk_fma_f32 v[12:13], v[14:15], v[8:9], v[12:13] op_sel:[0,0,1] op_sel_hi:[1,0,0]
	s_delay_alu instid0(VALU_DEP_1) | instskip(SKIP_4) | instid1(VALU_DEP_1)
	v_mov_b32_e32 v19, v13
	ds_load_2addr_b64 v[12:15], v216 offset0:53 offset1:54
	v_pk_add_f32 v[236:237], v[236:237], v[18:19] neg_lo:[0,1] neg_hi:[0,1]
	s_wait_dscnt 0x0
	v_pk_mul_f32 v[18:19], v[12:13], v[10:11] op_sel:[0,1]
	v_pk_fma_f32 v[28:29], v[12:13], v[8:9], v[18:19] op_sel:[0,0,1] op_sel_hi:[1,1,0] neg_lo:[0,0,1] neg_hi:[0,0,1]
	v_pk_fma_f32 v[12:13], v[12:13], v[8:9], v[18:19] op_sel:[0,0,1] op_sel_hi:[1,0,0]
	v_dual_mul_f32 v18, v15, v11 :: v_dual_mov_b32 v12, v15
	s_delay_alu instid0(VALU_DEP_2) | instskip(NEXT) | instid1(VALU_DEP_2)
	v_dual_mov_b32 v29, v13 :: v_dual_mov_b32 v13, v14
	v_pk_fma_f32 v[18:19], v[14:15], v[38:39], v[18:19] op_sel_hi:[1,1,0] neg_lo:[0,0,1] neg_hi:[0,0,1]
	v_mul_f32_e32 v14, v15, v8
	s_delay_alu instid0(VALU_DEP_3) | instskip(NEXT) | instid1(VALU_DEP_2)
	v_pk_add_f32 v[230:231], v[230:231], v[28:29] neg_lo:[0,1] neg_hi:[0,1]
	v_pk_fma_f32 v[12:13], v[12:13], v[38:39], v[14:15] op_sel_hi:[1,1,0]
	s_delay_alu instid0(VALU_DEP_1) | instskip(SKIP_4) | instid1(VALU_DEP_1)
	v_mov_b32_e32 v19, v13
	ds_load_2addr_b64 v[12:15], v216 offset0:55 offset1:56
	v_pk_add_f32 v[234:235], v[234:235], v[18:19] neg_lo:[0,1] neg_hi:[0,1]
	s_wait_dscnt 0x0
	v_pk_mul_f32 v[18:19], v[12:13], v[10:11] op_sel:[0,1]
	v_pk_fma_f32 v[28:29], v[12:13], v[8:9], v[18:19] op_sel:[0,0,1] op_sel_hi:[1,1,0] neg_lo:[0,0,1] neg_hi:[0,0,1]
	v_pk_fma_f32 v[12:13], v[12:13], v[8:9], v[18:19] op_sel:[0,0,1] op_sel_hi:[1,0,0]
	s_delay_alu instid0(VALU_DEP_1) | instskip(SKIP_1) | instid1(VALU_DEP_1)
	v_mov_b32_e32 v29, v13
	v_pk_mul_f32 v[12:13], v[14:15], v[10:11] op_sel:[0,1]
	v_pk_fma_f32 v[18:19], v[14:15], v[8:9], v[12:13] op_sel:[0,0,1] op_sel_hi:[1,1,0] neg_lo:[0,0,1] neg_hi:[0,0,1]
	v_pk_fma_f32 v[12:13], v[14:15], v[8:9], v[12:13] op_sel:[0,0,1] op_sel_hi:[1,0,0]
	s_delay_alu instid0(VALU_DEP_1)
	v_mov_b32_e32 v19, v13
	ds_load_2addr_b64 v[12:15], v216 offset0:57 offset1:58
	v_pk_add_f32 v[228:229], v[228:229], v[28:29] neg_lo:[0,1] neg_hi:[0,1]
	v_pk_add_f32 v[232:233], v[232:233], v[18:19] neg_lo:[0,1] neg_hi:[0,1]
	s_wait_dscnt 0x0
	v_pk_mul_f32 v[18:19], v[12:13], v[10:11] op_sel:[0,1]
	s_delay_alu instid0(VALU_DEP_1) | instskip(SKIP_1) | instid1(VALU_DEP_1)
	v_pk_fma_f32 v[28:29], v[12:13], v[8:9], v[18:19] op_sel:[0,0,1] op_sel_hi:[1,1,0] neg_lo:[0,0,1] neg_hi:[0,0,1]
	v_pk_fma_f32 v[12:13], v[12:13], v[8:9], v[18:19] op_sel:[0,0,1] op_sel_hi:[1,0,0]
	v_mov_b32_e32 v29, v13
	v_pk_mul_f32 v[12:13], v[14:15], v[10:11] op_sel:[0,1]
	s_delay_alu instid0(VALU_DEP_1) | instskip(SKIP_1) | instid1(VALU_DEP_1)
	v_pk_fma_f32 v[18:19], v[14:15], v[8:9], v[12:13] op_sel:[0,0,1] op_sel_hi:[1,1,0] neg_lo:[0,0,1] neg_hi:[0,0,1]
	v_pk_fma_f32 v[12:13], v[14:15], v[8:9], v[12:13] op_sel:[0,0,1] op_sel_hi:[1,0,0]
	v_mov_b32_e32 v19, v13
	ds_load_b64 v[12:13], v216 offset:472
	v_pk_add_f32 v[226:227], v[226:227], v[28:29] neg_lo:[0,1] neg_hi:[0,1]
	v_pk_add_f32 v[238:239], v[238:239], v[18:19] neg_lo:[0,1] neg_hi:[0,1]
	s_wait_dscnt 0x0
	v_pk_mul_f32 v[10:11], v[12:13], v[10:11] op_sel:[0,1]
	s_delay_alu instid0(VALU_DEP_1) | instskip(SKIP_1) | instid1(VALU_DEP_1)
	v_pk_fma_f32 v[14:15], v[12:13], v[8:9], v[10:11] op_sel:[0,0,1] op_sel_hi:[1,1,0] neg_lo:[0,0,1] neg_hi:[0,0,1]
	v_pk_fma_f32 v[8:9], v[12:13], v[8:9], v[10:11] op_sel:[0,0,1] op_sel_hi:[1,0,0]
	v_mov_b32_e32 v15, v9
	s_delay_alu instid0(VALU_DEP_1)
	v_pk_add_f32 v[240:241], v[240:241], v[14:15] neg_lo:[0,1] neg_hi:[0,1]
.LBB119_100:
	s_or_b32 exec_lo, exec_lo, s1
	s_delay_alu instid0(SALU_CYCLE_1)
	s_mov_b32 s2, exec_lo
	s_wait_dscnt 0x0
	s_barrier_signal -1
	s_barrier_wait -1
	v_cmpx_eq_u32_e32 11, v206
	s_cbranch_execz .LBB119_107
; %bb.101:
	v_dual_mov_b32 v8, v66 :: v_dual_mov_b32 v9, v67
	v_dual_mov_b32 v10, v62 :: v_dual_mov_b32 v11, v63
	ds_store_b64 v207, v[34:35]
	ds_store_2addr_b64 v216, v[8:9], v[10:11] offset0:12 offset1:13
	v_dual_mov_b32 v8, v64 :: v_dual_mov_b32 v9, v65
	v_dual_mov_b32 v10, v60 :: v_dual_mov_b32 v11, v61
	ds_store_2addr_b64 v216, v[8:9], v[10:11] offset0:14 offset1:15
	v_dual_mov_b32 v8, v82 :: v_dual_mov_b32 v9, v83
	v_dual_mov_b32 v10, v78 :: v_dual_mov_b32 v11, v79
	;; [unrolled: 3-line block ×22, first 2 shown]
	ds_store_2addr_b64 v216, v[8:9], v[10:11] offset0:56 offset1:57
	v_dual_mov_b32 v8, v238 :: v_dual_mov_b32 v9, v239
	ds_store_2addr_b64 v216, v[8:9], v[240:241] offset0:58 offset1:59
	ds_load_b64 v[8:9], v207
	s_wait_dscnt 0x0
	v_cmp_neq_f32_e32 vcc_lo, 0, v8
	v_cmp_neq_f32_e64 s1, 0, v9
	s_or_b32 s1, vcc_lo, s1
	s_delay_alu instid0(SALU_CYCLE_1)
	s_and_b32 exec_lo, exec_lo, s1
	s_cbranch_execz .LBB119_107
; %bb.102:
	v_cmp_ngt_f32_e64 s1, |v8|, |v9|
                                        ; implicit-def: $vgpr10_vgpr11
	s_and_saveexec_b32 s4, s1
	s_delay_alu instid0(SALU_CYCLE_1)
	s_xor_b32 s1, exec_lo, s4
	s_cbranch_execz .LBB119_104
; %bb.103:
	v_div_scale_f32 v10, null, v9, v9, v8
	v_div_scale_f32 v13, vcc_lo, v8, v9, v8
	s_delay_alu instid0(VALU_DEP_2) | instskip(SKIP_1) | instid1(TRANS32_DEP_1)
	v_rcp_f32_e32 v11, v10
	v_nop
	v_fma_f32 v12, -v10, v11, 1.0
	s_delay_alu instid0(VALU_DEP_1) | instskip(NEXT) | instid1(VALU_DEP_1)
	v_fmac_f32_e32 v11, v12, v11
	v_mul_f32_e32 v12, v13, v11
	s_delay_alu instid0(VALU_DEP_1) | instskip(NEXT) | instid1(VALU_DEP_1)
	v_fma_f32 v14, -v10, v12, v13
	v_fmac_f32_e32 v12, v14, v11
	s_delay_alu instid0(VALU_DEP_1) | instskip(NEXT) | instid1(VALU_DEP_1)
	v_fma_f32 v10, -v10, v12, v13
	v_div_fmas_f32 v10, v10, v11, v12
	s_delay_alu instid0(VALU_DEP_1) | instskip(NEXT) | instid1(VALU_DEP_1)
	v_div_fixup_f32 v10, v10, v9, v8
	v_fmac_f32_e32 v9, v8, v10
	s_delay_alu instid0(VALU_DEP_1) | instskip(SKIP_1) | instid1(VALU_DEP_2)
	v_div_scale_f32 v8, null, v9, v9, 1.0
	v_div_scale_f32 v13, vcc_lo, 1.0, v9, 1.0
	v_rcp_f32_e32 v11, v8
	v_nop
	s_delay_alu instid0(TRANS32_DEP_1) | instskip(NEXT) | instid1(VALU_DEP_1)
	v_fma_f32 v12, -v8, v11, 1.0
	v_fmac_f32_e32 v11, v12, v11
	s_delay_alu instid0(VALU_DEP_1) | instskip(NEXT) | instid1(VALU_DEP_1)
	v_mul_f32_e32 v12, v13, v11
	v_fma_f32 v14, -v8, v12, v13
	s_delay_alu instid0(VALU_DEP_1) | instskip(NEXT) | instid1(VALU_DEP_1)
	v_fmac_f32_e32 v12, v14, v11
	v_fma_f32 v8, -v8, v12, v13
	s_delay_alu instid0(VALU_DEP_1) | instskip(NEXT) | instid1(VALU_DEP_1)
	v_div_fmas_f32 v8, v8, v11, v12
	v_div_fixup_f32 v8, v8, v9, 1.0
	s_delay_alu instid0(VALU_DEP_1)
	v_mul_f32_e32 v10, v10, v8
	v_xor_b32_e32 v11, 0x80000000, v8
                                        ; implicit-def: $vgpr8_vgpr9
.LBB119_104:
	s_and_not1_saveexec_b32 s1, s1
	s_cbranch_execz .LBB119_106
; %bb.105:
	v_div_scale_f32 v10, null, v8, v8, v9
	v_div_scale_f32 v13, vcc_lo, v9, v8, v9
	s_delay_alu instid0(VALU_DEP_2) | instskip(SKIP_1) | instid1(TRANS32_DEP_1)
	v_rcp_f32_e32 v11, v10
	v_nop
	v_fma_f32 v12, -v10, v11, 1.0
	s_delay_alu instid0(VALU_DEP_1) | instskip(NEXT) | instid1(VALU_DEP_1)
	v_fmac_f32_e32 v11, v12, v11
	v_mul_f32_e32 v12, v13, v11
	s_delay_alu instid0(VALU_DEP_1) | instskip(NEXT) | instid1(VALU_DEP_1)
	v_fma_f32 v14, -v10, v12, v13
	v_fmac_f32_e32 v12, v14, v11
	s_delay_alu instid0(VALU_DEP_1) | instskip(NEXT) | instid1(VALU_DEP_1)
	v_fma_f32 v10, -v10, v12, v13
	v_div_fmas_f32 v10, v10, v11, v12
	s_delay_alu instid0(VALU_DEP_1) | instskip(NEXT) | instid1(VALU_DEP_1)
	v_div_fixup_f32 v11, v10, v8, v9
	v_fmac_f32_e32 v8, v9, v11
	s_delay_alu instid0(VALU_DEP_1) | instskip(NEXT) | instid1(VALU_DEP_1)
	v_div_scale_f32 v9, null, v8, v8, 1.0
	v_rcp_f32_e32 v10, v9
	v_nop
	s_delay_alu instid0(TRANS32_DEP_1) | instskip(NEXT) | instid1(VALU_DEP_1)
	v_fma_f32 v12, -v9, v10, 1.0
	v_fmac_f32_e32 v10, v12, v10
	v_div_scale_f32 v12, vcc_lo, 1.0, v8, 1.0
	s_delay_alu instid0(VALU_DEP_1) | instskip(NEXT) | instid1(VALU_DEP_1)
	v_mul_f32_e32 v13, v12, v10
	v_fma_f32 v14, -v9, v13, v12
	s_delay_alu instid0(VALU_DEP_1) | instskip(NEXT) | instid1(VALU_DEP_1)
	v_fmac_f32_e32 v13, v14, v10
	v_fma_f32 v9, -v9, v13, v12
	s_delay_alu instid0(VALU_DEP_1) | instskip(NEXT) | instid1(VALU_DEP_1)
	v_div_fmas_f32 v9, v9, v10, v13
	v_div_fixup_f32 v10, v9, v8, 1.0
	s_delay_alu instid0(VALU_DEP_1)
	v_mul_f32_e64 v11, v11, -v10
.LBB119_106:
	s_or_b32 exec_lo, exec_lo, s1
	ds_store_b64 v207, v[10:11]
.LBB119_107:
	s_or_b32 exec_lo, exec_lo, s2
	s_wait_dscnt 0x0
	s_barrier_signal -1
	s_barrier_wait -1
	ds_load_b64 v[8:9], v207
	s_mov_b32 s1, exec_lo
	v_cmpx_lt_u32_e32 11, v206
	s_cbranch_execz .LBB119_109
; %bb.108:
	ds_load_2addr_b64 v[28:31], v216 offset0:12 offset1:13
	s_wait_dscnt 0x1
	v_pk_mul_f32 v[12:13], v[8:9], v[34:35] op_sel:[1,1] op_sel_hi:[0,1]
	s_delay_alu instid0(VALU_DEP_1) | instskip(SKIP_1) | instid1(VALU_DEP_1)
	v_pk_fma_f32 v[10:11], v[8:9], v[34:35], v[12:13] op_sel_hi:[1,0,1] neg_lo:[0,0,1] neg_hi:[0,0,1]
	v_pk_fma_f32 v[12:13], v[8:9], v[34:35], v[12:13] op_sel_hi:[1,0,1]
	v_dual_mov_b32 v34, v10 :: v_dual_mov_b32 v35, v13
	s_wait_dscnt 0x0
	s_delay_alu instid0(VALU_DEP_2) | instskip(NEXT) | instid1(VALU_DEP_1)
	v_pk_mul_f32 v[14:15], v[28:29], v[12:13] op_sel:[0,1]
	v_pk_fma_f32 v[18:19], v[28:29], v[10:11], v[14:15] op_sel:[0,0,1] op_sel_hi:[1,1,0] neg_lo:[0,0,1] neg_hi:[0,0,1]
	v_pk_fma_f32 v[14:15], v[28:29], v[10:11], v[14:15] op_sel:[0,0,1] op_sel_hi:[1,0,0]
	s_delay_alu instid0(VALU_DEP_1) | instskip(SKIP_1) | instid1(VALU_DEP_2)
	v_mov_b32_e32 v19, v15
	v_pk_mul_f32 v[14:15], v[30:31], v[12:13] op_sel:[0,1]
	v_pk_add_f32 v[66:67], v[66:67], v[18:19] neg_lo:[0,1] neg_hi:[0,1]
	s_delay_alu instid0(VALU_DEP_2) | instskip(SKIP_3) | instid1(VALU_DEP_1)
	v_pk_fma_f32 v[18:19], v[30:31], v[10:11], v[14:15] op_sel:[0,0,1] op_sel_hi:[1,1,0] neg_lo:[0,0,1] neg_hi:[0,0,1]
	v_pk_fma_f32 v[14:15], v[30:31], v[10:11], v[14:15] op_sel:[0,0,1] op_sel_hi:[1,0,0]
	ds_load_2addr_b64 v[28:31], v216 offset0:14 offset1:15
	v_mov_b32_e32 v19, v15
	v_pk_add_f32 v[62:63], v[62:63], v[18:19] neg_lo:[0,1] neg_hi:[0,1]
	s_wait_dscnt 0x0
	v_pk_mul_f32 v[14:15], v[28:29], v[12:13] op_sel:[0,1]
	s_delay_alu instid0(VALU_DEP_1) | instskip(SKIP_2) | instid1(VALU_DEP_2)
	v_pk_fma_f32 v[18:19], v[28:29], v[10:11], v[14:15] op_sel:[0,0,1] op_sel_hi:[1,1,0] neg_lo:[0,0,1] neg_hi:[0,0,1]
	v_pk_fma_f32 v[14:15], v[28:29], v[10:11], v[14:15] op_sel:[0,0,1] op_sel_hi:[1,0,0]
	v_dual_mov_b32 v14, v31 :: v_dual_mul_f32 v28, v31, v10
	v_dual_mov_b32 v19, v15 :: v_dual_mov_b32 v15, v30
	s_delay_alu instid0(VALU_DEP_1) | instskip(SKIP_1) | instid1(VALU_DEP_3)
	v_pk_add_f32 v[64:65], v[64:65], v[18:19] neg_lo:[0,1] neg_hi:[0,1]
	v_mul_f32_e32 v18, v31, v13
	v_pk_fma_f32 v[14:15], v[14:15], v[34:35], v[28:29] op_sel_hi:[1,1,0]
	s_delay_alu instid0(VALU_DEP_2) | instskip(SKIP_2) | instid1(VALU_DEP_1)
	v_pk_fma_f32 v[18:19], v[30:31], v[34:35], v[18:19] op_sel_hi:[1,1,0] neg_lo:[0,0,1] neg_hi:[0,0,1]
	ds_load_2addr_b64 v[28:31], v216 offset0:16 offset1:17
	v_mov_b32_e32 v19, v15
	v_pk_add_f32 v[60:61], v[60:61], v[18:19] neg_lo:[0,1] neg_hi:[0,1]
	s_wait_dscnt 0x0
	v_pk_mul_f32 v[14:15], v[28:29], v[12:13] op_sel:[0,1]
	s_delay_alu instid0(VALU_DEP_1) | instskip(SKIP_1) | instid1(VALU_DEP_1)
	v_pk_fma_f32 v[18:19], v[28:29], v[10:11], v[14:15] op_sel:[0,0,1] op_sel_hi:[1,1,0] neg_lo:[0,0,1] neg_hi:[0,0,1]
	v_pk_fma_f32 v[14:15], v[28:29], v[10:11], v[14:15] op_sel:[0,0,1] op_sel_hi:[1,0,0]
	v_mov_b32_e32 v19, v15
	v_pk_mul_f32 v[14:15], v[30:31], v[12:13] op_sel:[0,1]
	s_delay_alu instid0(VALU_DEP_2) | instskip(NEXT) | instid1(VALU_DEP_2)
	v_pk_add_f32 v[82:83], v[82:83], v[18:19] neg_lo:[0,1] neg_hi:[0,1]
	v_pk_fma_f32 v[18:19], v[30:31], v[10:11], v[14:15] op_sel:[0,0,1] op_sel_hi:[1,1,0] neg_lo:[0,0,1] neg_hi:[0,0,1]
	v_pk_fma_f32 v[14:15], v[30:31], v[10:11], v[14:15] op_sel:[0,0,1] op_sel_hi:[1,0,0]
	ds_load_2addr_b64 v[28:31], v216 offset0:18 offset1:19
	v_mov_b32_e32 v19, v15
	s_delay_alu instid0(VALU_DEP_1) | instskip(SKIP_2) | instid1(VALU_DEP_1)
	v_pk_add_f32 v[78:79], v[78:79], v[18:19] neg_lo:[0,1] neg_hi:[0,1]
	s_wait_dscnt 0x0
	v_pk_mul_f32 v[14:15], v[28:29], v[12:13] op_sel:[0,1]
	v_pk_fma_f32 v[18:19], v[28:29], v[10:11], v[14:15] op_sel:[0,0,1] op_sel_hi:[1,1,0] neg_lo:[0,0,1] neg_hi:[0,0,1]
	v_pk_fma_f32 v[14:15], v[28:29], v[10:11], v[14:15] op_sel:[0,0,1] op_sel_hi:[1,0,0]
	s_delay_alu instid0(VALU_DEP_1) | instskip(SKIP_1) | instid1(VALU_DEP_2)
	v_mov_b32_e32 v19, v15
	v_pk_mul_f32 v[14:15], v[30:31], v[12:13] op_sel:[0,1]
	v_pk_add_f32 v[80:81], v[80:81], v[18:19] neg_lo:[0,1] neg_hi:[0,1]
	s_delay_alu instid0(VALU_DEP_2) | instskip(SKIP_3) | instid1(VALU_DEP_1)
	v_pk_fma_f32 v[18:19], v[30:31], v[10:11], v[14:15] op_sel:[0,0,1] op_sel_hi:[1,1,0] neg_lo:[0,0,1] neg_hi:[0,0,1]
	v_pk_fma_f32 v[14:15], v[30:31], v[10:11], v[14:15] op_sel:[0,0,1] op_sel_hi:[1,0,0]
	ds_load_2addr_b64 v[28:31], v216 offset0:20 offset1:21
	v_mov_b32_e32 v19, v15
	v_pk_add_f32 v[76:77], v[76:77], v[18:19] neg_lo:[0,1] neg_hi:[0,1]
	s_wait_dscnt 0x0
	v_dual_mul_f32 v18, v29, v10 :: v_dual_mul_f32 v14, v29, v13
	s_delay_alu instid0(VALU_DEP_1) | instskip(NEXT) | instid1(VALU_DEP_2)
	v_pk_fma_f32 v[18:19], v[28:29], v[34:35], v[18:19] op_sel:[1,0,0] op_sel_hi:[0,1,0]
	v_pk_fma_f32 v[14:15], v[28:29], v[34:35], v[14:15] op_sel_hi:[1,1,0] neg_lo:[0,0,1] neg_hi:[0,0,1]
	s_delay_alu instid0(VALU_DEP_2) | instskip(NEXT) | instid1(VALU_DEP_1)
	v_mov_b32_e32 v15, v19
	v_pk_add_f32 v[98:99], v[98:99], v[14:15] neg_lo:[0,1] neg_hi:[0,1]
	v_pk_mul_f32 v[14:15], v[30:31], v[12:13] op_sel:[0,1]
	s_delay_alu instid0(VALU_DEP_1) | instskip(SKIP_3) | instid1(VALU_DEP_1)
	v_pk_fma_f32 v[18:19], v[30:31], v[10:11], v[14:15] op_sel:[0,0,1] op_sel_hi:[1,1,0] neg_lo:[0,0,1] neg_hi:[0,0,1]
	v_pk_fma_f32 v[14:15], v[30:31], v[10:11], v[14:15] op_sel:[0,0,1] op_sel_hi:[1,0,0]
	ds_load_2addr_b64 v[28:31], v216 offset0:22 offset1:23
	v_mov_b32_e32 v19, v15
	v_pk_add_f32 v[94:95], v[94:95], v[18:19] neg_lo:[0,1] neg_hi:[0,1]
	s_wait_dscnt 0x0
	v_pk_mul_f32 v[14:15], v[28:29], v[12:13] op_sel:[0,1]
	s_delay_alu instid0(VALU_DEP_1) | instskip(SKIP_1) | instid1(VALU_DEP_1)
	v_pk_fma_f32 v[18:19], v[28:29], v[10:11], v[14:15] op_sel:[0,0,1] op_sel_hi:[1,1,0] neg_lo:[0,0,1] neg_hi:[0,0,1]
	v_pk_fma_f32 v[14:15], v[28:29], v[10:11], v[14:15] op_sel:[0,0,1] op_sel_hi:[1,0,0]
	v_mov_b32_e32 v19, v15
	v_pk_mul_f32 v[14:15], v[30:31], v[12:13] op_sel:[0,1]
	s_delay_alu instid0(VALU_DEP_2) | instskip(NEXT) | instid1(VALU_DEP_2)
	v_pk_add_f32 v[96:97], v[96:97], v[18:19] neg_lo:[0,1] neg_hi:[0,1]
	v_pk_fma_f32 v[18:19], v[30:31], v[10:11], v[14:15] op_sel:[0,0,1] op_sel_hi:[1,1,0] neg_lo:[0,0,1] neg_hi:[0,0,1]
	v_pk_fma_f32 v[14:15], v[30:31], v[10:11], v[14:15] op_sel:[0,0,1] op_sel_hi:[1,0,0]
	ds_load_2addr_b64 v[28:31], v216 offset0:24 offset1:25
	v_mov_b32_e32 v19, v15
	s_delay_alu instid0(VALU_DEP_1) | instskip(SKIP_2) | instid1(VALU_DEP_1)
	v_pk_add_f32 v[92:93], v[92:93], v[18:19] neg_lo:[0,1] neg_hi:[0,1]
	s_wait_dscnt 0x0
	v_pk_mul_f32 v[14:15], v[28:29], v[12:13] op_sel:[0,1]
	v_pk_fma_f32 v[18:19], v[28:29], v[10:11], v[14:15] op_sel:[0,0,1] op_sel_hi:[1,1,0] neg_lo:[0,0,1] neg_hi:[0,0,1]
	v_pk_fma_f32 v[14:15], v[28:29], v[10:11], v[14:15] op_sel:[0,0,1] op_sel_hi:[1,0,0]
	v_dual_mov_b32 v14, v31 :: v_dual_mul_f32 v28, v31, v10
	s_delay_alu instid0(VALU_DEP_2) | instskip(NEXT) | instid1(VALU_DEP_1)
	v_dual_mov_b32 v19, v15 :: v_dual_mov_b32 v15, v30
	v_pk_add_f32 v[114:115], v[114:115], v[18:19] neg_lo:[0,1] neg_hi:[0,1]
	v_mul_f32_e32 v18, v31, v13
	s_delay_alu instid0(VALU_DEP_3) | instskip(NEXT) | instid1(VALU_DEP_2)
	v_pk_fma_f32 v[14:15], v[14:15], v[34:35], v[28:29] op_sel_hi:[1,1,0]
	v_pk_fma_f32 v[18:19], v[30:31], v[34:35], v[18:19] op_sel_hi:[1,1,0] neg_lo:[0,0,1] neg_hi:[0,0,1]
	ds_load_2addr_b64 v[28:31], v216 offset0:26 offset1:27
	v_mov_b32_e32 v19, v15
	s_delay_alu instid0(VALU_DEP_1) | instskip(SKIP_2) | instid1(VALU_DEP_1)
	v_pk_add_f32 v[110:111], v[110:111], v[18:19] neg_lo:[0,1] neg_hi:[0,1]
	s_wait_dscnt 0x0
	v_pk_mul_f32 v[14:15], v[28:29], v[12:13] op_sel:[0,1]
	v_pk_fma_f32 v[18:19], v[28:29], v[10:11], v[14:15] op_sel:[0,0,1] op_sel_hi:[1,1,0] neg_lo:[0,0,1] neg_hi:[0,0,1]
	v_pk_fma_f32 v[14:15], v[28:29], v[10:11], v[14:15] op_sel:[0,0,1] op_sel_hi:[1,0,0]
	s_delay_alu instid0(VALU_DEP_1) | instskip(SKIP_1) | instid1(VALU_DEP_2)
	v_mov_b32_e32 v19, v15
	v_pk_mul_f32 v[14:15], v[30:31], v[12:13] op_sel:[0,1]
	v_pk_add_f32 v[112:113], v[112:113], v[18:19] neg_lo:[0,1] neg_hi:[0,1]
	s_delay_alu instid0(VALU_DEP_2) | instskip(SKIP_3) | instid1(VALU_DEP_1)
	v_pk_fma_f32 v[18:19], v[30:31], v[10:11], v[14:15] op_sel:[0,0,1] op_sel_hi:[1,1,0] neg_lo:[0,0,1] neg_hi:[0,0,1]
	v_pk_fma_f32 v[14:15], v[30:31], v[10:11], v[14:15] op_sel:[0,0,1] op_sel_hi:[1,0,0]
	ds_load_2addr_b64 v[28:31], v216 offset0:28 offset1:29
	v_mov_b32_e32 v19, v15
	v_pk_add_f32 v[108:109], v[108:109], v[18:19] neg_lo:[0,1] neg_hi:[0,1]
	s_wait_dscnt 0x0
	v_pk_mul_f32 v[14:15], v[28:29], v[12:13] op_sel:[0,1]
	s_delay_alu instid0(VALU_DEP_1) | instskip(SKIP_1) | instid1(VALU_DEP_1)
	v_pk_fma_f32 v[18:19], v[28:29], v[10:11], v[14:15] op_sel:[0,0,1] op_sel_hi:[1,1,0] neg_lo:[0,0,1] neg_hi:[0,0,1]
	v_pk_fma_f32 v[14:15], v[28:29], v[10:11], v[14:15] op_sel:[0,0,1] op_sel_hi:[1,0,0]
	v_mov_b32_e32 v19, v15
	v_pk_mul_f32 v[14:15], v[30:31], v[12:13] op_sel:[0,1]
	s_delay_alu instid0(VALU_DEP_2) | instskip(NEXT) | instid1(VALU_DEP_2)
	v_pk_add_f32 v[130:131], v[130:131], v[18:19] neg_lo:[0,1] neg_hi:[0,1]
	v_pk_fma_f32 v[18:19], v[30:31], v[10:11], v[14:15] op_sel:[0,0,1] op_sel_hi:[1,1,0] neg_lo:[0,0,1] neg_hi:[0,0,1]
	v_pk_fma_f32 v[14:15], v[30:31], v[10:11], v[14:15] op_sel:[0,0,1] op_sel_hi:[1,0,0]
	ds_load_2addr_b64 v[28:31], v216 offset0:30 offset1:31
	v_mov_b32_e32 v19, v15
	s_delay_alu instid0(VALU_DEP_1) | instskip(SKIP_2) | instid1(VALU_DEP_1)
	v_pk_add_f32 v[126:127], v[126:127], v[18:19] neg_lo:[0,1] neg_hi:[0,1]
	s_wait_dscnt 0x0
	v_dual_mul_f32 v18, v29, v10 :: v_dual_mul_f32 v14, v29, v13
	v_pk_fma_f32 v[18:19], v[28:29], v[34:35], v[18:19] op_sel:[1,0,0] op_sel_hi:[0,1,0]
	s_delay_alu instid0(VALU_DEP_2) | instskip(NEXT) | instid1(VALU_DEP_2)
	v_pk_fma_f32 v[14:15], v[28:29], v[34:35], v[14:15] op_sel_hi:[1,1,0] neg_lo:[0,0,1] neg_hi:[0,0,1]
	v_mov_b32_e32 v15, v19
	s_delay_alu instid0(VALU_DEP_1) | instskip(SKIP_1) | instid1(VALU_DEP_1)
	v_pk_add_f32 v[128:129], v[128:129], v[14:15] neg_lo:[0,1] neg_hi:[0,1]
	v_pk_mul_f32 v[14:15], v[30:31], v[12:13] op_sel:[0,1]
	v_pk_fma_f32 v[18:19], v[30:31], v[10:11], v[14:15] op_sel:[0,0,1] op_sel_hi:[1,1,0] neg_lo:[0,0,1] neg_hi:[0,0,1]
	v_pk_fma_f32 v[14:15], v[30:31], v[10:11], v[14:15] op_sel:[0,0,1] op_sel_hi:[1,0,0]
	ds_load_2addr_b64 v[28:31], v216 offset0:32 offset1:33
	v_mov_b32_e32 v19, v15
	s_delay_alu instid0(VALU_DEP_1) | instskip(SKIP_2) | instid1(VALU_DEP_1)
	v_pk_add_f32 v[124:125], v[124:125], v[18:19] neg_lo:[0,1] neg_hi:[0,1]
	s_wait_dscnt 0x0
	v_pk_mul_f32 v[14:15], v[28:29], v[12:13] op_sel:[0,1]
	v_pk_fma_f32 v[18:19], v[28:29], v[10:11], v[14:15] op_sel:[0,0,1] op_sel_hi:[1,1,0] neg_lo:[0,0,1] neg_hi:[0,0,1]
	v_pk_fma_f32 v[14:15], v[28:29], v[10:11], v[14:15] op_sel:[0,0,1] op_sel_hi:[1,0,0]
	s_delay_alu instid0(VALU_DEP_1) | instskip(SKIP_1) | instid1(VALU_DEP_2)
	v_mov_b32_e32 v19, v15
	v_pk_mul_f32 v[14:15], v[30:31], v[12:13] op_sel:[0,1]
	v_pk_add_f32 v[146:147], v[146:147], v[18:19] neg_lo:[0,1] neg_hi:[0,1]
	s_delay_alu instid0(VALU_DEP_2) | instskip(SKIP_3) | instid1(VALU_DEP_1)
	v_pk_fma_f32 v[18:19], v[30:31], v[10:11], v[14:15] op_sel:[0,0,1] op_sel_hi:[1,1,0] neg_lo:[0,0,1] neg_hi:[0,0,1]
	v_pk_fma_f32 v[14:15], v[30:31], v[10:11], v[14:15] op_sel:[0,0,1] op_sel_hi:[1,0,0]
	ds_load_2addr_b64 v[28:31], v216 offset0:34 offset1:35
	v_mov_b32_e32 v19, v15
	v_pk_add_f32 v[142:143], v[142:143], v[18:19] neg_lo:[0,1] neg_hi:[0,1]
	s_wait_dscnt 0x0
	v_pk_mul_f32 v[14:15], v[28:29], v[12:13] op_sel:[0,1]
	s_delay_alu instid0(VALU_DEP_1) | instskip(SKIP_2) | instid1(VALU_DEP_2)
	v_pk_fma_f32 v[18:19], v[28:29], v[10:11], v[14:15] op_sel:[0,0,1] op_sel_hi:[1,1,0] neg_lo:[0,0,1] neg_hi:[0,0,1]
	v_pk_fma_f32 v[14:15], v[28:29], v[10:11], v[14:15] op_sel:[0,0,1] op_sel_hi:[1,0,0]
	v_dual_mov_b32 v14, v31 :: v_dual_mul_f32 v28, v31, v10
	v_dual_mov_b32 v19, v15 :: v_dual_mov_b32 v15, v30
	s_delay_alu instid0(VALU_DEP_1) | instskip(SKIP_1) | instid1(VALU_DEP_3)
	v_pk_add_f32 v[144:145], v[144:145], v[18:19] neg_lo:[0,1] neg_hi:[0,1]
	v_mul_f32_e32 v18, v31, v13
	v_pk_fma_f32 v[14:15], v[14:15], v[34:35], v[28:29] op_sel_hi:[1,1,0]
	s_delay_alu instid0(VALU_DEP_2) | instskip(SKIP_2) | instid1(VALU_DEP_1)
	v_pk_fma_f32 v[18:19], v[30:31], v[34:35], v[18:19] op_sel_hi:[1,1,0] neg_lo:[0,0,1] neg_hi:[0,0,1]
	ds_load_2addr_b64 v[28:31], v216 offset0:36 offset1:37
	v_mov_b32_e32 v19, v15
	v_pk_add_f32 v[140:141], v[140:141], v[18:19] neg_lo:[0,1] neg_hi:[0,1]
	s_wait_dscnt 0x0
	v_pk_mul_f32 v[14:15], v[28:29], v[12:13] op_sel:[0,1]
	s_delay_alu instid0(VALU_DEP_1) | instskip(SKIP_1) | instid1(VALU_DEP_1)
	v_pk_fma_f32 v[18:19], v[28:29], v[10:11], v[14:15] op_sel:[0,0,1] op_sel_hi:[1,1,0] neg_lo:[0,0,1] neg_hi:[0,0,1]
	v_pk_fma_f32 v[14:15], v[28:29], v[10:11], v[14:15] op_sel:[0,0,1] op_sel_hi:[1,0,0]
	v_mov_b32_e32 v19, v15
	v_pk_mul_f32 v[14:15], v[30:31], v[12:13] op_sel:[0,1]
	s_delay_alu instid0(VALU_DEP_2) | instskip(NEXT) | instid1(VALU_DEP_2)
	v_pk_add_f32 v[162:163], v[162:163], v[18:19] neg_lo:[0,1] neg_hi:[0,1]
	v_pk_fma_f32 v[18:19], v[30:31], v[10:11], v[14:15] op_sel:[0,0,1] op_sel_hi:[1,1,0] neg_lo:[0,0,1] neg_hi:[0,0,1]
	v_pk_fma_f32 v[14:15], v[30:31], v[10:11], v[14:15] op_sel:[0,0,1] op_sel_hi:[1,0,0]
	ds_load_2addr_b64 v[28:31], v216 offset0:38 offset1:39
	v_mov_b32_e32 v19, v15
	s_delay_alu instid0(VALU_DEP_1) | instskip(SKIP_2) | instid1(VALU_DEP_1)
	v_pk_add_f32 v[158:159], v[158:159], v[18:19] neg_lo:[0,1] neg_hi:[0,1]
	s_wait_dscnt 0x0
	v_pk_mul_f32 v[14:15], v[28:29], v[12:13] op_sel:[0,1]
	v_pk_fma_f32 v[18:19], v[28:29], v[10:11], v[14:15] op_sel:[0,0,1] op_sel_hi:[1,1,0] neg_lo:[0,0,1] neg_hi:[0,0,1]
	v_pk_fma_f32 v[14:15], v[28:29], v[10:11], v[14:15] op_sel:[0,0,1] op_sel_hi:[1,0,0]
	s_delay_alu instid0(VALU_DEP_1) | instskip(SKIP_1) | instid1(VALU_DEP_2)
	v_mov_b32_e32 v19, v15
	v_pk_mul_f32 v[14:15], v[30:31], v[12:13] op_sel:[0,1]
	v_pk_add_f32 v[160:161], v[160:161], v[18:19] neg_lo:[0,1] neg_hi:[0,1]
	s_delay_alu instid0(VALU_DEP_2) | instskip(SKIP_3) | instid1(VALU_DEP_1)
	v_pk_fma_f32 v[18:19], v[30:31], v[10:11], v[14:15] op_sel:[0,0,1] op_sel_hi:[1,1,0] neg_lo:[0,0,1] neg_hi:[0,0,1]
	v_pk_fma_f32 v[14:15], v[30:31], v[10:11], v[14:15] op_sel:[0,0,1] op_sel_hi:[1,0,0]
	ds_load_2addr_b64 v[28:31], v216 offset0:40 offset1:41
	v_mov_b32_e32 v19, v15
	v_pk_add_f32 v[156:157], v[156:157], v[18:19] neg_lo:[0,1] neg_hi:[0,1]
	s_wait_dscnt 0x0
	v_dual_mul_f32 v18, v29, v10 :: v_dual_mul_f32 v14, v29, v13
	s_delay_alu instid0(VALU_DEP_1) | instskip(NEXT) | instid1(VALU_DEP_2)
	v_pk_fma_f32 v[18:19], v[28:29], v[34:35], v[18:19] op_sel:[1,0,0] op_sel_hi:[0,1,0]
	v_pk_fma_f32 v[14:15], v[28:29], v[34:35], v[14:15] op_sel_hi:[1,1,0] neg_lo:[0,0,1] neg_hi:[0,0,1]
	s_delay_alu instid0(VALU_DEP_2) | instskip(NEXT) | instid1(VALU_DEP_1)
	v_mov_b32_e32 v15, v19
	v_pk_add_f32 v[178:179], v[178:179], v[14:15] neg_lo:[0,1] neg_hi:[0,1]
	v_pk_mul_f32 v[14:15], v[30:31], v[12:13] op_sel:[0,1]
	s_delay_alu instid0(VALU_DEP_1) | instskip(SKIP_3) | instid1(VALU_DEP_1)
	v_pk_fma_f32 v[18:19], v[30:31], v[10:11], v[14:15] op_sel:[0,0,1] op_sel_hi:[1,1,0] neg_lo:[0,0,1] neg_hi:[0,0,1]
	v_pk_fma_f32 v[14:15], v[30:31], v[10:11], v[14:15] op_sel:[0,0,1] op_sel_hi:[1,0,0]
	ds_load_2addr_b64 v[28:31], v216 offset0:42 offset1:43
	v_mov_b32_e32 v19, v15
	v_pk_add_f32 v[174:175], v[174:175], v[18:19] neg_lo:[0,1] neg_hi:[0,1]
	s_wait_dscnt 0x0
	v_pk_mul_f32 v[14:15], v[28:29], v[12:13] op_sel:[0,1]
	s_delay_alu instid0(VALU_DEP_1) | instskip(SKIP_1) | instid1(VALU_DEP_1)
	v_pk_fma_f32 v[18:19], v[28:29], v[10:11], v[14:15] op_sel:[0,0,1] op_sel_hi:[1,1,0] neg_lo:[0,0,1] neg_hi:[0,0,1]
	v_pk_fma_f32 v[14:15], v[28:29], v[10:11], v[14:15] op_sel:[0,0,1] op_sel_hi:[1,0,0]
	v_mov_b32_e32 v19, v15
	v_pk_mul_f32 v[14:15], v[30:31], v[12:13] op_sel:[0,1]
	s_delay_alu instid0(VALU_DEP_2) | instskip(NEXT) | instid1(VALU_DEP_2)
	v_pk_add_f32 v[176:177], v[176:177], v[18:19] neg_lo:[0,1] neg_hi:[0,1]
	v_pk_fma_f32 v[18:19], v[30:31], v[10:11], v[14:15] op_sel:[0,0,1] op_sel_hi:[1,1,0] neg_lo:[0,0,1] neg_hi:[0,0,1]
	v_pk_fma_f32 v[14:15], v[30:31], v[10:11], v[14:15] op_sel:[0,0,1] op_sel_hi:[1,0,0]
	ds_load_2addr_b64 v[28:31], v216 offset0:44 offset1:45
	v_mov_b32_e32 v19, v15
	s_delay_alu instid0(VALU_DEP_1) | instskip(SKIP_2) | instid1(VALU_DEP_1)
	v_pk_add_f32 v[172:173], v[172:173], v[18:19] neg_lo:[0,1] neg_hi:[0,1]
	s_wait_dscnt 0x0
	v_pk_mul_f32 v[14:15], v[28:29], v[12:13] op_sel:[0,1]
	v_pk_fma_f32 v[18:19], v[28:29], v[10:11], v[14:15] op_sel:[0,0,1] op_sel_hi:[1,1,0] neg_lo:[0,0,1] neg_hi:[0,0,1]
	v_pk_fma_f32 v[14:15], v[28:29], v[10:11], v[14:15] op_sel:[0,0,1] op_sel_hi:[1,0,0]
	v_dual_mov_b32 v14, v31 :: v_dual_mul_f32 v28, v31, v10
	s_delay_alu instid0(VALU_DEP_2) | instskip(NEXT) | instid1(VALU_DEP_1)
	v_dual_mov_b32 v19, v15 :: v_dual_mov_b32 v15, v30
	v_pk_add_f32 v[194:195], v[194:195], v[18:19] neg_lo:[0,1] neg_hi:[0,1]
	v_mul_f32_e32 v18, v31, v13
	s_delay_alu instid0(VALU_DEP_3) | instskip(NEXT) | instid1(VALU_DEP_2)
	v_pk_fma_f32 v[14:15], v[14:15], v[34:35], v[28:29] op_sel_hi:[1,1,0]
	v_pk_fma_f32 v[18:19], v[30:31], v[34:35], v[18:19] op_sel_hi:[1,1,0] neg_lo:[0,0,1] neg_hi:[0,0,1]
	ds_load_2addr_b64 v[28:31], v216 offset0:46 offset1:47
	v_mov_b32_e32 v19, v15
	s_delay_alu instid0(VALU_DEP_1) | instskip(SKIP_2) | instid1(VALU_DEP_1)
	v_pk_add_f32 v[190:191], v[190:191], v[18:19] neg_lo:[0,1] neg_hi:[0,1]
	s_wait_dscnt 0x0
	v_pk_mul_f32 v[14:15], v[28:29], v[12:13] op_sel:[0,1]
	v_pk_fma_f32 v[18:19], v[28:29], v[10:11], v[14:15] op_sel:[0,0,1] op_sel_hi:[1,1,0] neg_lo:[0,0,1] neg_hi:[0,0,1]
	v_pk_fma_f32 v[14:15], v[28:29], v[10:11], v[14:15] op_sel:[0,0,1] op_sel_hi:[1,0,0]
	s_delay_alu instid0(VALU_DEP_1) | instskip(SKIP_1) | instid1(VALU_DEP_2)
	v_mov_b32_e32 v19, v15
	v_pk_mul_f32 v[14:15], v[30:31], v[12:13] op_sel:[0,1]
	v_pk_add_f32 v[192:193], v[192:193], v[18:19] neg_lo:[0,1] neg_hi:[0,1]
	s_delay_alu instid0(VALU_DEP_2) | instskip(SKIP_3) | instid1(VALU_DEP_1)
	v_pk_fma_f32 v[18:19], v[30:31], v[10:11], v[14:15] op_sel:[0,0,1] op_sel_hi:[1,1,0] neg_lo:[0,0,1] neg_hi:[0,0,1]
	v_pk_fma_f32 v[14:15], v[30:31], v[10:11], v[14:15] op_sel:[0,0,1] op_sel_hi:[1,0,0]
	ds_load_2addr_b64 v[28:31], v216 offset0:48 offset1:49
	v_mov_b32_e32 v19, v15
	v_pk_add_f32 v[188:189], v[188:189], v[18:19] neg_lo:[0,1] neg_hi:[0,1]
	s_wait_dscnt 0x0
	v_pk_mul_f32 v[14:15], v[28:29], v[12:13] op_sel:[0,1]
	s_delay_alu instid0(VALU_DEP_1) | instskip(SKIP_1) | instid1(VALU_DEP_1)
	v_pk_fma_f32 v[18:19], v[28:29], v[10:11], v[14:15] op_sel:[0,0,1] op_sel_hi:[1,1,0] neg_lo:[0,0,1] neg_hi:[0,0,1]
	v_pk_fma_f32 v[14:15], v[28:29], v[10:11], v[14:15] op_sel:[0,0,1] op_sel_hi:[1,0,0]
	v_mov_b32_e32 v19, v15
	v_pk_mul_f32 v[14:15], v[30:31], v[12:13] op_sel:[0,1]
	s_delay_alu instid0(VALU_DEP_2) | instskip(NEXT) | instid1(VALU_DEP_2)
	v_pk_add_f32 v[214:215], v[214:215], v[18:19] neg_lo:[0,1] neg_hi:[0,1]
	v_pk_fma_f32 v[18:19], v[30:31], v[10:11], v[14:15] op_sel:[0,0,1] op_sel_hi:[1,1,0] neg_lo:[0,0,1] neg_hi:[0,0,1]
	v_pk_fma_f32 v[14:15], v[30:31], v[10:11], v[14:15] op_sel:[0,0,1] op_sel_hi:[1,0,0]
	ds_load_2addr_b64 v[28:31], v216 offset0:50 offset1:51
	v_mov_b32_e32 v19, v15
	s_delay_alu instid0(VALU_DEP_1) | instskip(SKIP_2) | instid1(VALU_DEP_1)
	v_pk_add_f32 v[210:211], v[210:211], v[18:19] neg_lo:[0,1] neg_hi:[0,1]
	s_wait_dscnt 0x0
	v_dual_mul_f32 v18, v29, v10 :: v_dual_mul_f32 v14, v29, v13
	v_pk_fma_f32 v[18:19], v[28:29], v[34:35], v[18:19] op_sel:[1,0,0] op_sel_hi:[0,1,0]
	s_delay_alu instid0(VALU_DEP_2) | instskip(NEXT) | instid1(VALU_DEP_2)
	v_pk_fma_f32 v[14:15], v[28:29], v[34:35], v[14:15] op_sel_hi:[1,1,0] neg_lo:[0,0,1] neg_hi:[0,0,1]
	v_mov_b32_e32 v15, v19
	s_delay_alu instid0(VALU_DEP_1) | instskip(SKIP_1) | instid1(VALU_DEP_1)
	v_pk_add_f32 v[212:213], v[212:213], v[14:15] neg_lo:[0,1] neg_hi:[0,1]
	v_pk_mul_f32 v[14:15], v[30:31], v[12:13] op_sel:[0,1]
	v_pk_fma_f32 v[18:19], v[30:31], v[10:11], v[14:15] op_sel:[0,0,1] op_sel_hi:[1,1,0] neg_lo:[0,0,1] neg_hi:[0,0,1]
	v_pk_fma_f32 v[14:15], v[30:31], v[10:11], v[14:15] op_sel:[0,0,1] op_sel_hi:[1,0,0]
	ds_load_2addr_b64 v[28:31], v216 offset0:52 offset1:53
	v_mov_b32_e32 v19, v15
	s_delay_alu instid0(VALU_DEP_1) | instskip(SKIP_2) | instid1(VALU_DEP_1)
	v_pk_add_f32 v[208:209], v[208:209], v[18:19] neg_lo:[0,1] neg_hi:[0,1]
	s_wait_dscnt 0x0
	v_pk_mul_f32 v[14:15], v[28:29], v[12:13] op_sel:[0,1]
	v_pk_fma_f32 v[18:19], v[28:29], v[10:11], v[14:15] op_sel:[0,0,1] op_sel_hi:[1,1,0] neg_lo:[0,0,1] neg_hi:[0,0,1]
	v_pk_fma_f32 v[14:15], v[28:29], v[10:11], v[14:15] op_sel:[0,0,1] op_sel_hi:[1,0,0]
	s_delay_alu instid0(VALU_DEP_1) | instskip(SKIP_1) | instid1(VALU_DEP_2)
	v_mov_b32_e32 v19, v15
	v_pk_mul_f32 v[14:15], v[30:31], v[12:13] op_sel:[0,1]
	v_pk_add_f32 v[236:237], v[236:237], v[18:19] neg_lo:[0,1] neg_hi:[0,1]
	s_delay_alu instid0(VALU_DEP_2) | instskip(SKIP_3) | instid1(VALU_DEP_1)
	v_pk_fma_f32 v[18:19], v[30:31], v[10:11], v[14:15] op_sel:[0,0,1] op_sel_hi:[1,1,0] neg_lo:[0,0,1] neg_hi:[0,0,1]
	v_pk_fma_f32 v[14:15], v[30:31], v[10:11], v[14:15] op_sel:[0,0,1] op_sel_hi:[1,0,0]
	ds_load_2addr_b64 v[28:31], v216 offset0:54 offset1:55
	v_mov_b32_e32 v19, v15
	v_pk_add_f32 v[230:231], v[230:231], v[18:19] neg_lo:[0,1] neg_hi:[0,1]
	s_wait_dscnt 0x0
	v_pk_mul_f32 v[14:15], v[28:29], v[12:13] op_sel:[0,1]
	s_delay_alu instid0(VALU_DEP_1) | instskip(SKIP_2) | instid1(VALU_DEP_2)
	v_pk_fma_f32 v[18:19], v[28:29], v[10:11], v[14:15] op_sel:[0,0,1] op_sel_hi:[1,1,0] neg_lo:[0,0,1] neg_hi:[0,0,1]
	v_pk_fma_f32 v[14:15], v[28:29], v[10:11], v[14:15] op_sel:[0,0,1] op_sel_hi:[1,0,0]
	v_dual_mov_b32 v14, v31 :: v_dual_mul_f32 v28, v31, v10
	v_dual_mov_b32 v19, v15 :: v_dual_mov_b32 v15, v30
	s_delay_alu instid0(VALU_DEP_1) | instskip(SKIP_1) | instid1(VALU_DEP_3)
	v_pk_add_f32 v[234:235], v[234:235], v[18:19] neg_lo:[0,1] neg_hi:[0,1]
	v_mul_f32_e32 v18, v31, v13
	v_pk_fma_f32 v[14:15], v[14:15], v[34:35], v[28:29] op_sel_hi:[1,1,0]
	s_delay_alu instid0(VALU_DEP_2) | instskip(SKIP_2) | instid1(VALU_DEP_1)
	v_pk_fma_f32 v[18:19], v[30:31], v[34:35], v[18:19] op_sel_hi:[1,1,0] neg_lo:[0,0,1] neg_hi:[0,0,1]
	ds_load_2addr_b64 v[28:31], v216 offset0:56 offset1:57
	v_mov_b32_e32 v19, v15
	v_pk_add_f32 v[228:229], v[228:229], v[18:19] neg_lo:[0,1] neg_hi:[0,1]
	s_wait_dscnt 0x0
	v_pk_mul_f32 v[14:15], v[28:29], v[12:13] op_sel:[0,1]
	s_delay_alu instid0(VALU_DEP_1) | instskip(SKIP_1) | instid1(VALU_DEP_1)
	v_pk_fma_f32 v[18:19], v[28:29], v[10:11], v[14:15] op_sel:[0,0,1] op_sel_hi:[1,1,0] neg_lo:[0,0,1] neg_hi:[0,0,1]
	v_pk_fma_f32 v[14:15], v[28:29], v[10:11], v[14:15] op_sel:[0,0,1] op_sel_hi:[1,0,0]
	v_mov_b32_e32 v19, v15
	v_pk_mul_f32 v[14:15], v[30:31], v[12:13] op_sel:[0,1]
	s_delay_alu instid0(VALU_DEP_2) | instskip(NEXT) | instid1(VALU_DEP_2)
	v_pk_add_f32 v[232:233], v[232:233], v[18:19] neg_lo:[0,1] neg_hi:[0,1]
	v_pk_fma_f32 v[18:19], v[30:31], v[10:11], v[14:15] op_sel:[0,0,1] op_sel_hi:[1,1,0] neg_lo:[0,0,1] neg_hi:[0,0,1]
	v_pk_fma_f32 v[14:15], v[30:31], v[10:11], v[14:15] op_sel:[0,0,1] op_sel_hi:[1,0,0]
	ds_load_2addr_b64 v[28:31], v216 offset0:58 offset1:59
	v_mov_b32_e32 v19, v15
	s_delay_alu instid0(VALU_DEP_1) | instskip(SKIP_3) | instid1(VALU_DEP_2)
	v_pk_add_f32 v[226:227], v[226:227], v[18:19] neg_lo:[0,1] neg_hi:[0,1]
	s_wait_dscnt 0x0
	v_pk_mul_f32 v[14:15], v[28:29], v[12:13] op_sel:[0,1]
	v_mul_f32_e32 v12, v31, v13
	v_pk_fma_f32 v[18:19], v[28:29], v[10:11], v[14:15] op_sel:[0,0,1] op_sel_hi:[1,1,0] neg_lo:[0,0,1] neg_hi:[0,0,1]
	v_pk_fma_f32 v[14:15], v[28:29], v[10:11], v[14:15] op_sel:[0,0,1] op_sel_hi:[1,0,0]
	v_dual_mov_b32 v14, v31 :: v_dual_mul_f32 v10, v31, v10
	s_delay_alu instid0(VALU_DEP_4) | instskip(NEXT) | instid1(VALU_DEP_3)
	v_pk_fma_f32 v[12:13], v[30:31], v[34:35], v[12:13] op_sel_hi:[1,1,0] neg_lo:[0,0,1] neg_hi:[0,0,1]
	v_dual_mov_b32 v19, v15 :: v_dual_mov_b32 v15, v30
	s_delay_alu instid0(VALU_DEP_1) | instskip(NEXT) | instid1(VALU_DEP_2)
	v_pk_add_f32 v[238:239], v[238:239], v[18:19] neg_lo:[0,1] neg_hi:[0,1]
	v_pk_fma_f32 v[10:11], v[14:15], v[34:35], v[10:11] op_sel_hi:[1,1,0]
	s_delay_alu instid0(VALU_DEP_1) | instskip(NEXT) | instid1(VALU_DEP_1)
	v_mov_b32_e32 v13, v11
	v_pk_add_f32 v[240:241], v[240:241], v[12:13] neg_lo:[0,1] neg_hi:[0,1]
.LBB119_109:
	s_or_b32 exec_lo, exec_lo, s1
	s_delay_alu instid0(SALU_CYCLE_1)
	s_mov_b32 s2, exec_lo
	s_wait_dscnt 0x0
	s_barrier_signal -1
	s_barrier_wait -1
	v_cmpx_eq_u32_e32 12, v206
	s_cbranch_execz .LBB119_116
; %bb.110:
	ds_store_b64 v207, v[66:67]
	ds_store_2addr_b64 v216, v[62:63], v[64:65] offset0:13 offset1:14
	ds_store_2addr_b64 v216, v[60:61], v[82:83] offset0:15 offset1:16
	ds_store_2addr_b64 v216, v[78:79], v[80:81] offset0:17 offset1:18
	ds_store_2addr_b64 v216, v[76:77], v[98:99] offset0:19 offset1:20
	ds_store_2addr_b64 v216, v[94:95], v[96:97] offset0:21 offset1:22
	ds_store_2addr_b64 v216, v[92:93], v[114:115] offset0:23 offset1:24
	ds_store_2addr_b64 v216, v[110:111], v[112:113] offset0:25 offset1:26
	ds_store_2addr_b64 v216, v[108:109], v[130:131] offset0:27 offset1:28
	ds_store_2addr_b64 v216, v[126:127], v[128:129] offset0:29 offset1:30
	ds_store_2addr_b64 v216, v[124:125], v[146:147] offset0:31 offset1:32
	ds_store_2addr_b64 v216, v[142:143], v[144:145] offset0:33 offset1:34
	ds_store_2addr_b64 v216, v[140:141], v[162:163] offset0:35 offset1:36
	ds_store_2addr_b64 v216, v[158:159], v[160:161] offset0:37 offset1:38
	ds_store_2addr_b64 v216, v[156:157], v[178:179] offset0:39 offset1:40
	ds_store_2addr_b64 v216, v[174:175], v[176:177] offset0:41 offset1:42
	ds_store_2addr_b64 v216, v[172:173], v[194:195] offset0:43 offset1:44
	ds_store_2addr_b64 v216, v[190:191], v[192:193] offset0:45 offset1:46
	ds_store_2addr_b64 v216, v[188:189], v[214:215] offset0:47 offset1:48
	ds_store_2addr_b64 v216, v[210:211], v[212:213] offset0:49 offset1:50
	ds_store_2addr_b64 v216, v[208:209], v[236:237] offset0:51 offset1:52
	ds_store_2addr_b64 v216, v[230:231], v[234:235] offset0:53 offset1:54
	ds_store_2addr_b64 v216, v[228:229], v[232:233] offset0:55 offset1:56
	ds_store_2addr_b64 v216, v[226:227], v[238:239] offset0:57 offset1:58
	ds_store_b64 v216, v[240:241] offset:472
	ds_load_b64 v[10:11], v207
	s_wait_dscnt 0x0
	v_cmp_neq_f32_e32 vcc_lo, 0, v10
	v_cmp_neq_f32_e64 s1, 0, v11
	s_or_b32 s1, vcc_lo, s1
	s_delay_alu instid0(SALU_CYCLE_1)
	s_and_b32 exec_lo, exec_lo, s1
	s_cbranch_execz .LBB119_116
; %bb.111:
	v_cmp_ngt_f32_e64 s1, |v10|, |v11|
                                        ; implicit-def: $vgpr12_vgpr13
	s_and_saveexec_b32 s4, s1
	s_delay_alu instid0(SALU_CYCLE_1)
	s_xor_b32 s1, exec_lo, s4
	s_cbranch_execz .LBB119_113
; %bb.112:
	v_div_scale_f32 v12, null, v11, v11, v10
	v_div_scale_f32 v15, vcc_lo, v10, v11, v10
	s_delay_alu instid0(VALU_DEP_2) | instskip(SKIP_1) | instid1(TRANS32_DEP_1)
	v_rcp_f32_e32 v13, v12
	v_nop
	v_fma_f32 v14, -v12, v13, 1.0
	s_delay_alu instid0(VALU_DEP_1) | instskip(NEXT) | instid1(VALU_DEP_1)
	v_fmac_f32_e32 v13, v14, v13
	v_mul_f32_e32 v14, v15, v13
	s_delay_alu instid0(VALU_DEP_1) | instskip(NEXT) | instid1(VALU_DEP_1)
	v_fma_f32 v18, -v12, v14, v15
	v_fmac_f32_e32 v14, v18, v13
	s_delay_alu instid0(VALU_DEP_1) | instskip(NEXT) | instid1(VALU_DEP_1)
	v_fma_f32 v12, -v12, v14, v15
	v_div_fmas_f32 v12, v12, v13, v14
	s_delay_alu instid0(VALU_DEP_1) | instskip(NEXT) | instid1(VALU_DEP_1)
	v_div_fixup_f32 v12, v12, v11, v10
	v_fmac_f32_e32 v11, v10, v12
	s_delay_alu instid0(VALU_DEP_1) | instskip(SKIP_1) | instid1(VALU_DEP_2)
	v_div_scale_f32 v10, null, v11, v11, 1.0
	v_div_scale_f32 v15, vcc_lo, 1.0, v11, 1.0
	v_rcp_f32_e32 v13, v10
	v_nop
	s_delay_alu instid0(TRANS32_DEP_1) | instskip(NEXT) | instid1(VALU_DEP_1)
	v_fma_f32 v14, -v10, v13, 1.0
	v_fmac_f32_e32 v13, v14, v13
	s_delay_alu instid0(VALU_DEP_1) | instskip(NEXT) | instid1(VALU_DEP_1)
	v_mul_f32_e32 v14, v15, v13
	v_fma_f32 v18, -v10, v14, v15
	s_delay_alu instid0(VALU_DEP_1) | instskip(NEXT) | instid1(VALU_DEP_1)
	v_fmac_f32_e32 v14, v18, v13
	v_fma_f32 v10, -v10, v14, v15
	s_delay_alu instid0(VALU_DEP_1) | instskip(NEXT) | instid1(VALU_DEP_1)
	v_div_fmas_f32 v10, v10, v13, v14
	v_div_fixup_f32 v10, v10, v11, 1.0
	s_delay_alu instid0(VALU_DEP_1)
	v_mul_f32_e32 v12, v12, v10
	v_xor_b32_e32 v13, 0x80000000, v10
                                        ; implicit-def: $vgpr10_vgpr11
.LBB119_113:
	s_and_not1_saveexec_b32 s1, s1
	s_cbranch_execz .LBB119_115
; %bb.114:
	v_div_scale_f32 v12, null, v10, v10, v11
	v_div_scale_f32 v15, vcc_lo, v11, v10, v11
	s_delay_alu instid0(VALU_DEP_2) | instskip(SKIP_1) | instid1(TRANS32_DEP_1)
	v_rcp_f32_e32 v13, v12
	v_nop
	v_fma_f32 v14, -v12, v13, 1.0
	s_delay_alu instid0(VALU_DEP_1) | instskip(NEXT) | instid1(VALU_DEP_1)
	v_fmac_f32_e32 v13, v14, v13
	v_mul_f32_e32 v14, v15, v13
	s_delay_alu instid0(VALU_DEP_1) | instskip(NEXT) | instid1(VALU_DEP_1)
	v_fma_f32 v18, -v12, v14, v15
	v_fmac_f32_e32 v14, v18, v13
	s_delay_alu instid0(VALU_DEP_1) | instskip(NEXT) | instid1(VALU_DEP_1)
	v_fma_f32 v12, -v12, v14, v15
	v_div_fmas_f32 v12, v12, v13, v14
	s_delay_alu instid0(VALU_DEP_1) | instskip(NEXT) | instid1(VALU_DEP_1)
	v_div_fixup_f32 v13, v12, v10, v11
	v_fmac_f32_e32 v10, v11, v13
	s_delay_alu instid0(VALU_DEP_1) | instskip(NEXT) | instid1(VALU_DEP_1)
	v_div_scale_f32 v11, null, v10, v10, 1.0
	v_rcp_f32_e32 v12, v11
	v_nop
	s_delay_alu instid0(TRANS32_DEP_1) | instskip(NEXT) | instid1(VALU_DEP_1)
	v_fma_f32 v14, -v11, v12, 1.0
	v_fmac_f32_e32 v12, v14, v12
	v_div_scale_f32 v14, vcc_lo, 1.0, v10, 1.0
	s_delay_alu instid0(VALU_DEP_1) | instskip(NEXT) | instid1(VALU_DEP_1)
	v_mul_f32_e32 v15, v14, v12
	v_fma_f32 v18, -v11, v15, v14
	s_delay_alu instid0(VALU_DEP_1) | instskip(NEXT) | instid1(VALU_DEP_1)
	v_fmac_f32_e32 v15, v18, v12
	v_fma_f32 v11, -v11, v15, v14
	s_delay_alu instid0(VALU_DEP_1) | instskip(NEXT) | instid1(VALU_DEP_1)
	v_div_fmas_f32 v11, v11, v12, v15
	v_div_fixup_f32 v12, v11, v10, 1.0
	s_delay_alu instid0(VALU_DEP_1)
	v_mul_f32_e64 v13, v13, -v12
.LBB119_115:
	s_or_b32 exec_lo, exec_lo, s1
	ds_store_b64 v207, v[12:13]
.LBB119_116:
	s_or_b32 exec_lo, exec_lo, s2
	s_wait_dscnt 0x0
	s_barrier_signal -1
	s_barrier_wait -1
	ds_load_b64 v[10:11], v207
	s_mov_b32 s1, exec_lo
	v_cmpx_lt_u32_e32 12, v206
	s_cbranch_execz .LBB119_118
; %bb.117:
	ds_load_2addr_b64 v[28:31], v216 offset0:13 offset1:14
	s_wait_dscnt 0x1
	v_pk_mul_f32 v[14:15], v[10:11], v[66:67] op_sel:[1,1] op_sel_hi:[0,1]
	s_delay_alu instid0(VALU_DEP_1) | instskip(SKIP_1) | instid1(VALU_DEP_1)
	v_pk_fma_f32 v[12:13], v[10:11], v[66:67], v[14:15] op_sel_hi:[1,0,1] neg_lo:[0,0,1] neg_hi:[0,0,1]
	v_pk_fma_f32 v[14:15], v[10:11], v[66:67], v[14:15] op_sel_hi:[1,0,1]
	v_dual_mov_b32 v66, v12 :: v_dual_mov_b32 v67, v15
	s_wait_dscnt 0x0
	s_delay_alu instid0(VALU_DEP_2) | instskip(NEXT) | instid1(VALU_DEP_1)
	v_pk_mul_f32 v[18:19], v[28:29], v[14:15] op_sel:[0,1]
	v_pk_fma_f32 v[32:33], v[28:29], v[12:13], v[18:19] op_sel:[0,0,1] op_sel_hi:[1,1,0] neg_lo:[0,0,1] neg_hi:[0,0,1]
	v_pk_fma_f32 v[18:19], v[28:29], v[12:13], v[18:19] op_sel:[0,0,1] op_sel_hi:[1,0,0]
	s_delay_alu instid0(VALU_DEP_1) | instskip(SKIP_1) | instid1(VALU_DEP_1)
	v_mov_b32_e32 v33, v19
	v_pk_mul_f32 v[18:19], v[30:31], v[14:15] op_sel:[0,1]
	v_pk_fma_f32 v[28:29], v[30:31], v[12:13], v[18:19] op_sel:[0,0,1] op_sel_hi:[1,1,0] neg_lo:[0,0,1] neg_hi:[0,0,1]
	v_pk_fma_f32 v[18:19], v[30:31], v[12:13], v[18:19] op_sel:[0,0,1] op_sel_hi:[1,0,0]
	s_delay_alu instid0(VALU_DEP_1) | instskip(SKIP_1) | instid1(VALU_DEP_2)
	v_mov_b32_e32 v29, v19
	v_pk_add_f32 v[62:63], v[62:63], v[32:33] neg_lo:[0,1] neg_hi:[0,1]
	v_pk_add_f32 v[64:65], v[64:65], v[28:29] neg_lo:[0,1] neg_hi:[0,1]
	ds_load_2addr_b64 v[28:31], v216 offset0:15 offset1:16
	s_wait_dscnt 0x0
	v_pk_mul_f32 v[18:19], v[28:29], v[14:15] op_sel:[0,1]
	s_delay_alu instid0(VALU_DEP_1) | instskip(SKIP_2) | instid1(VALU_DEP_2)
	v_pk_fma_f32 v[32:33], v[28:29], v[12:13], v[18:19] op_sel:[0,0,1] op_sel_hi:[1,1,0] neg_lo:[0,0,1] neg_hi:[0,0,1]
	v_pk_fma_f32 v[18:19], v[28:29], v[12:13], v[18:19] op_sel:[0,0,1] op_sel_hi:[1,0,0]
	v_dual_mul_f32 v28, v31, v15 :: v_dual_mov_b32 v18, v31
	v_dual_mov_b32 v33, v19 :: v_dual_mov_b32 v19, v30
	s_delay_alu instid0(VALU_DEP_2) | instskip(SKIP_1) | instid1(VALU_DEP_3)
	v_pk_fma_f32 v[28:29], v[30:31], v[66:67], v[28:29] op_sel_hi:[1,1,0] neg_lo:[0,0,1] neg_hi:[0,0,1]
	v_mul_f32_e32 v30, v31, v12
	v_pk_add_f32 v[60:61], v[60:61], v[32:33] neg_lo:[0,1] neg_hi:[0,1]
	s_delay_alu instid0(VALU_DEP_2) | instskip(NEXT) | instid1(VALU_DEP_1)
	v_pk_fma_f32 v[18:19], v[18:19], v[66:67], v[30:31] op_sel_hi:[1,1,0]
	v_mov_b32_e32 v29, v19
	s_delay_alu instid0(VALU_DEP_1) | instskip(SKIP_3) | instid1(VALU_DEP_1)
	v_pk_add_f32 v[82:83], v[82:83], v[28:29] neg_lo:[0,1] neg_hi:[0,1]
	ds_load_2addr_b64 v[28:31], v216 offset0:17 offset1:18
	s_wait_dscnt 0x0
	v_pk_mul_f32 v[18:19], v[28:29], v[14:15] op_sel:[0,1]
	v_pk_fma_f32 v[32:33], v[28:29], v[12:13], v[18:19] op_sel:[0,0,1] op_sel_hi:[1,1,0] neg_lo:[0,0,1] neg_hi:[0,0,1]
	v_pk_fma_f32 v[18:19], v[28:29], v[12:13], v[18:19] op_sel:[0,0,1] op_sel_hi:[1,0,0]
	s_delay_alu instid0(VALU_DEP_1) | instskip(SKIP_1) | instid1(VALU_DEP_2)
	v_mov_b32_e32 v33, v19
	v_pk_mul_f32 v[18:19], v[30:31], v[14:15] op_sel:[0,1]
	v_pk_add_f32 v[78:79], v[78:79], v[32:33] neg_lo:[0,1] neg_hi:[0,1]
	s_delay_alu instid0(VALU_DEP_2) | instskip(SKIP_1) | instid1(VALU_DEP_1)
	v_pk_fma_f32 v[28:29], v[30:31], v[12:13], v[18:19] op_sel:[0,0,1] op_sel_hi:[1,1,0] neg_lo:[0,0,1] neg_hi:[0,0,1]
	v_pk_fma_f32 v[18:19], v[30:31], v[12:13], v[18:19] op_sel:[0,0,1] op_sel_hi:[1,0,0]
	v_mov_b32_e32 v29, v19
	s_delay_alu instid0(VALU_DEP_1) | instskip(SKIP_3) | instid1(VALU_DEP_1)
	v_pk_add_f32 v[80:81], v[80:81], v[28:29] neg_lo:[0,1] neg_hi:[0,1]
	ds_load_2addr_b64 v[28:31], v216 offset0:19 offset1:20
	s_wait_dscnt 0x0
	v_pk_mul_f32 v[18:19], v[28:29], v[14:15] op_sel:[0,1]
	v_pk_fma_f32 v[32:33], v[28:29], v[12:13], v[18:19] op_sel:[0,0,1] op_sel_hi:[1,1,0] neg_lo:[0,0,1] neg_hi:[0,0,1]
	v_pk_fma_f32 v[18:19], v[28:29], v[12:13], v[18:19] op_sel:[0,0,1] op_sel_hi:[1,0,0]
	s_delay_alu instid0(VALU_DEP_1) | instskip(SKIP_1) | instid1(VALU_DEP_2)
	v_mov_b32_e32 v33, v19
	v_pk_mul_f32 v[18:19], v[30:31], v[14:15] op_sel:[0,1]
	v_pk_add_f32 v[76:77], v[76:77], v[32:33] neg_lo:[0,1] neg_hi:[0,1]
	s_delay_alu instid0(VALU_DEP_2) | instskip(SKIP_1) | instid1(VALU_DEP_1)
	v_pk_fma_f32 v[28:29], v[30:31], v[12:13], v[18:19] op_sel:[0,0,1] op_sel_hi:[1,1,0] neg_lo:[0,0,1] neg_hi:[0,0,1]
	v_pk_fma_f32 v[18:19], v[30:31], v[12:13], v[18:19] op_sel:[0,0,1] op_sel_hi:[1,0,0]
	v_mov_b32_e32 v29, v19
	s_delay_alu instid0(VALU_DEP_1) | instskip(SKIP_3) | instid1(VALU_DEP_1)
	v_pk_add_f32 v[98:99], v[98:99], v[28:29] neg_lo:[0,1] neg_hi:[0,1]
	ds_load_2addr_b64 v[28:31], v216 offset0:21 offset1:22
	s_wait_dscnt 0x0
	v_dual_mul_f32 v18, v29, v15 :: v_dual_mul_f32 v32, v29, v12
	v_pk_fma_f32 v[18:19], v[28:29], v[66:67], v[18:19] op_sel_hi:[1,1,0] neg_lo:[0,0,1] neg_hi:[0,0,1]
	s_delay_alu instid0(VALU_DEP_2) | instskip(NEXT) | instid1(VALU_DEP_1)
	v_pk_fma_f32 v[28:29], v[28:29], v[66:67], v[32:33] op_sel:[1,0,0] op_sel_hi:[0,1,0]
	v_mov_b32_e32 v19, v29
	s_delay_alu instid0(VALU_DEP_1) | instskip(SKIP_1) | instid1(VALU_DEP_1)
	v_pk_add_f32 v[94:95], v[94:95], v[18:19] neg_lo:[0,1] neg_hi:[0,1]
	v_pk_mul_f32 v[18:19], v[30:31], v[14:15] op_sel:[0,1]
	v_pk_fma_f32 v[28:29], v[30:31], v[12:13], v[18:19] op_sel:[0,0,1] op_sel_hi:[1,1,0] neg_lo:[0,0,1] neg_hi:[0,0,1]
	v_pk_fma_f32 v[18:19], v[30:31], v[12:13], v[18:19] op_sel:[0,0,1] op_sel_hi:[1,0,0]
	s_delay_alu instid0(VALU_DEP_1) | instskip(NEXT) | instid1(VALU_DEP_1)
	v_mov_b32_e32 v29, v19
	v_pk_add_f32 v[96:97], v[96:97], v[28:29] neg_lo:[0,1] neg_hi:[0,1]
	ds_load_2addr_b64 v[28:31], v216 offset0:23 offset1:24
	s_wait_dscnt 0x0
	v_pk_mul_f32 v[18:19], v[28:29], v[14:15] op_sel:[0,1]
	s_delay_alu instid0(VALU_DEP_1) | instskip(SKIP_1) | instid1(VALU_DEP_1)
	v_pk_fma_f32 v[32:33], v[28:29], v[12:13], v[18:19] op_sel:[0,0,1] op_sel_hi:[1,1,0] neg_lo:[0,0,1] neg_hi:[0,0,1]
	v_pk_fma_f32 v[18:19], v[28:29], v[12:13], v[18:19] op_sel:[0,0,1] op_sel_hi:[1,0,0]
	v_mov_b32_e32 v33, v19
	v_pk_mul_f32 v[18:19], v[30:31], v[14:15] op_sel:[0,1]
	s_delay_alu instid0(VALU_DEP_2) | instskip(NEXT) | instid1(VALU_DEP_2)
	v_pk_add_f32 v[92:93], v[92:93], v[32:33] neg_lo:[0,1] neg_hi:[0,1]
	v_pk_fma_f32 v[28:29], v[30:31], v[12:13], v[18:19] op_sel:[0,0,1] op_sel_hi:[1,1,0] neg_lo:[0,0,1] neg_hi:[0,0,1]
	v_pk_fma_f32 v[18:19], v[30:31], v[12:13], v[18:19] op_sel:[0,0,1] op_sel_hi:[1,0,0]
	s_delay_alu instid0(VALU_DEP_1) | instskip(NEXT) | instid1(VALU_DEP_1)
	v_mov_b32_e32 v29, v19
	v_pk_add_f32 v[114:115], v[114:115], v[28:29] neg_lo:[0,1] neg_hi:[0,1]
	ds_load_2addr_b64 v[28:31], v216 offset0:25 offset1:26
	s_wait_dscnt 0x0
	v_pk_mul_f32 v[18:19], v[28:29], v[14:15] op_sel:[0,1]
	s_delay_alu instid0(VALU_DEP_1) | instskip(SKIP_2) | instid1(VALU_DEP_2)
	v_pk_fma_f32 v[32:33], v[28:29], v[12:13], v[18:19] op_sel:[0,0,1] op_sel_hi:[1,1,0] neg_lo:[0,0,1] neg_hi:[0,0,1]
	v_pk_fma_f32 v[18:19], v[28:29], v[12:13], v[18:19] op_sel:[0,0,1] op_sel_hi:[1,0,0]
	v_dual_mul_f32 v28, v31, v15 :: v_dual_mov_b32 v18, v31
	v_dual_mov_b32 v33, v19 :: v_dual_mov_b32 v19, v30
	s_delay_alu instid0(VALU_DEP_2) | instskip(SKIP_1) | instid1(VALU_DEP_3)
	v_pk_fma_f32 v[28:29], v[30:31], v[66:67], v[28:29] op_sel_hi:[1,1,0] neg_lo:[0,0,1] neg_hi:[0,0,1]
	v_mul_f32_e32 v30, v31, v12
	v_pk_add_f32 v[110:111], v[110:111], v[32:33] neg_lo:[0,1] neg_hi:[0,1]
	s_delay_alu instid0(VALU_DEP_2) | instskip(NEXT) | instid1(VALU_DEP_1)
	v_pk_fma_f32 v[18:19], v[18:19], v[66:67], v[30:31] op_sel_hi:[1,1,0]
	v_mov_b32_e32 v29, v19
	s_delay_alu instid0(VALU_DEP_1) | instskip(SKIP_3) | instid1(VALU_DEP_1)
	v_pk_add_f32 v[112:113], v[112:113], v[28:29] neg_lo:[0,1] neg_hi:[0,1]
	ds_load_2addr_b64 v[28:31], v216 offset0:27 offset1:28
	s_wait_dscnt 0x0
	v_pk_mul_f32 v[18:19], v[28:29], v[14:15] op_sel:[0,1]
	v_pk_fma_f32 v[32:33], v[28:29], v[12:13], v[18:19] op_sel:[0,0,1] op_sel_hi:[1,1,0] neg_lo:[0,0,1] neg_hi:[0,0,1]
	v_pk_fma_f32 v[18:19], v[28:29], v[12:13], v[18:19] op_sel:[0,0,1] op_sel_hi:[1,0,0]
	s_delay_alu instid0(VALU_DEP_1) | instskip(SKIP_1) | instid1(VALU_DEP_2)
	v_mov_b32_e32 v33, v19
	v_pk_mul_f32 v[18:19], v[30:31], v[14:15] op_sel:[0,1]
	v_pk_add_f32 v[108:109], v[108:109], v[32:33] neg_lo:[0,1] neg_hi:[0,1]
	s_delay_alu instid0(VALU_DEP_2) | instskip(SKIP_1) | instid1(VALU_DEP_1)
	v_pk_fma_f32 v[28:29], v[30:31], v[12:13], v[18:19] op_sel:[0,0,1] op_sel_hi:[1,1,0] neg_lo:[0,0,1] neg_hi:[0,0,1]
	v_pk_fma_f32 v[18:19], v[30:31], v[12:13], v[18:19] op_sel:[0,0,1] op_sel_hi:[1,0,0]
	v_mov_b32_e32 v29, v19
	s_delay_alu instid0(VALU_DEP_1) | instskip(SKIP_3) | instid1(VALU_DEP_1)
	v_pk_add_f32 v[130:131], v[130:131], v[28:29] neg_lo:[0,1] neg_hi:[0,1]
	ds_load_2addr_b64 v[28:31], v216 offset0:29 offset1:30
	s_wait_dscnt 0x0
	v_pk_mul_f32 v[18:19], v[28:29], v[14:15] op_sel:[0,1]
	v_pk_fma_f32 v[32:33], v[28:29], v[12:13], v[18:19] op_sel:[0,0,1] op_sel_hi:[1,1,0] neg_lo:[0,0,1] neg_hi:[0,0,1]
	v_pk_fma_f32 v[18:19], v[28:29], v[12:13], v[18:19] op_sel:[0,0,1] op_sel_hi:[1,0,0]
	s_delay_alu instid0(VALU_DEP_1) | instskip(SKIP_1) | instid1(VALU_DEP_2)
	v_mov_b32_e32 v33, v19
	v_pk_mul_f32 v[18:19], v[30:31], v[14:15] op_sel:[0,1]
	v_pk_add_f32 v[126:127], v[126:127], v[32:33] neg_lo:[0,1] neg_hi:[0,1]
	s_delay_alu instid0(VALU_DEP_2) | instskip(SKIP_1) | instid1(VALU_DEP_1)
	v_pk_fma_f32 v[28:29], v[30:31], v[12:13], v[18:19] op_sel:[0,0,1] op_sel_hi:[1,1,0] neg_lo:[0,0,1] neg_hi:[0,0,1]
	v_pk_fma_f32 v[18:19], v[30:31], v[12:13], v[18:19] op_sel:[0,0,1] op_sel_hi:[1,0,0]
	v_mov_b32_e32 v29, v19
	s_delay_alu instid0(VALU_DEP_1) | instskip(SKIP_3) | instid1(VALU_DEP_1)
	v_pk_add_f32 v[128:129], v[128:129], v[28:29] neg_lo:[0,1] neg_hi:[0,1]
	ds_load_2addr_b64 v[28:31], v216 offset0:31 offset1:32
	s_wait_dscnt 0x0
	v_dual_mul_f32 v18, v29, v15 :: v_dual_mul_f32 v32, v29, v12
	v_pk_fma_f32 v[18:19], v[28:29], v[66:67], v[18:19] op_sel_hi:[1,1,0] neg_lo:[0,0,1] neg_hi:[0,0,1]
	s_delay_alu instid0(VALU_DEP_2) | instskip(NEXT) | instid1(VALU_DEP_1)
	v_pk_fma_f32 v[28:29], v[28:29], v[66:67], v[32:33] op_sel:[1,0,0] op_sel_hi:[0,1,0]
	v_mov_b32_e32 v19, v29
	s_delay_alu instid0(VALU_DEP_1) | instskip(SKIP_1) | instid1(VALU_DEP_1)
	v_pk_add_f32 v[124:125], v[124:125], v[18:19] neg_lo:[0,1] neg_hi:[0,1]
	v_pk_mul_f32 v[18:19], v[30:31], v[14:15] op_sel:[0,1]
	v_pk_fma_f32 v[28:29], v[30:31], v[12:13], v[18:19] op_sel:[0,0,1] op_sel_hi:[1,1,0] neg_lo:[0,0,1] neg_hi:[0,0,1]
	v_pk_fma_f32 v[18:19], v[30:31], v[12:13], v[18:19] op_sel:[0,0,1] op_sel_hi:[1,0,0]
	s_delay_alu instid0(VALU_DEP_1) | instskip(NEXT) | instid1(VALU_DEP_1)
	v_mov_b32_e32 v29, v19
	v_pk_add_f32 v[146:147], v[146:147], v[28:29] neg_lo:[0,1] neg_hi:[0,1]
	ds_load_2addr_b64 v[28:31], v216 offset0:33 offset1:34
	s_wait_dscnt 0x0
	v_pk_mul_f32 v[18:19], v[28:29], v[14:15] op_sel:[0,1]
	s_delay_alu instid0(VALU_DEP_1) | instskip(SKIP_1) | instid1(VALU_DEP_1)
	v_pk_fma_f32 v[32:33], v[28:29], v[12:13], v[18:19] op_sel:[0,0,1] op_sel_hi:[1,1,0] neg_lo:[0,0,1] neg_hi:[0,0,1]
	v_pk_fma_f32 v[18:19], v[28:29], v[12:13], v[18:19] op_sel:[0,0,1] op_sel_hi:[1,0,0]
	v_mov_b32_e32 v33, v19
	v_pk_mul_f32 v[18:19], v[30:31], v[14:15] op_sel:[0,1]
	s_delay_alu instid0(VALU_DEP_2) | instskip(NEXT) | instid1(VALU_DEP_2)
	v_pk_add_f32 v[142:143], v[142:143], v[32:33] neg_lo:[0,1] neg_hi:[0,1]
	v_pk_fma_f32 v[28:29], v[30:31], v[12:13], v[18:19] op_sel:[0,0,1] op_sel_hi:[1,1,0] neg_lo:[0,0,1] neg_hi:[0,0,1]
	v_pk_fma_f32 v[18:19], v[30:31], v[12:13], v[18:19] op_sel:[0,0,1] op_sel_hi:[1,0,0]
	s_delay_alu instid0(VALU_DEP_1) | instskip(NEXT) | instid1(VALU_DEP_1)
	v_mov_b32_e32 v29, v19
	v_pk_add_f32 v[144:145], v[144:145], v[28:29] neg_lo:[0,1] neg_hi:[0,1]
	ds_load_2addr_b64 v[28:31], v216 offset0:35 offset1:36
	s_wait_dscnt 0x0
	v_pk_mul_f32 v[18:19], v[28:29], v[14:15] op_sel:[0,1]
	s_delay_alu instid0(VALU_DEP_1) | instskip(SKIP_2) | instid1(VALU_DEP_2)
	v_pk_fma_f32 v[32:33], v[28:29], v[12:13], v[18:19] op_sel:[0,0,1] op_sel_hi:[1,1,0] neg_lo:[0,0,1] neg_hi:[0,0,1]
	v_pk_fma_f32 v[18:19], v[28:29], v[12:13], v[18:19] op_sel:[0,0,1] op_sel_hi:[1,0,0]
	v_dual_mul_f32 v28, v31, v15 :: v_dual_mov_b32 v18, v31
	v_dual_mov_b32 v33, v19 :: v_dual_mov_b32 v19, v30
	s_delay_alu instid0(VALU_DEP_2) | instskip(SKIP_1) | instid1(VALU_DEP_3)
	v_pk_fma_f32 v[28:29], v[30:31], v[66:67], v[28:29] op_sel_hi:[1,1,0] neg_lo:[0,0,1] neg_hi:[0,0,1]
	v_mul_f32_e32 v30, v31, v12
	v_pk_add_f32 v[140:141], v[140:141], v[32:33] neg_lo:[0,1] neg_hi:[0,1]
	s_delay_alu instid0(VALU_DEP_2) | instskip(NEXT) | instid1(VALU_DEP_1)
	v_pk_fma_f32 v[18:19], v[18:19], v[66:67], v[30:31] op_sel_hi:[1,1,0]
	v_mov_b32_e32 v29, v19
	s_delay_alu instid0(VALU_DEP_1) | instskip(SKIP_3) | instid1(VALU_DEP_1)
	v_pk_add_f32 v[162:163], v[162:163], v[28:29] neg_lo:[0,1] neg_hi:[0,1]
	ds_load_2addr_b64 v[28:31], v216 offset0:37 offset1:38
	s_wait_dscnt 0x0
	v_pk_mul_f32 v[18:19], v[28:29], v[14:15] op_sel:[0,1]
	v_pk_fma_f32 v[32:33], v[28:29], v[12:13], v[18:19] op_sel:[0,0,1] op_sel_hi:[1,1,0] neg_lo:[0,0,1] neg_hi:[0,0,1]
	v_pk_fma_f32 v[18:19], v[28:29], v[12:13], v[18:19] op_sel:[0,0,1] op_sel_hi:[1,0,0]
	s_delay_alu instid0(VALU_DEP_1) | instskip(SKIP_1) | instid1(VALU_DEP_2)
	v_mov_b32_e32 v33, v19
	v_pk_mul_f32 v[18:19], v[30:31], v[14:15] op_sel:[0,1]
	v_pk_add_f32 v[158:159], v[158:159], v[32:33] neg_lo:[0,1] neg_hi:[0,1]
	s_delay_alu instid0(VALU_DEP_2) | instskip(SKIP_1) | instid1(VALU_DEP_1)
	v_pk_fma_f32 v[28:29], v[30:31], v[12:13], v[18:19] op_sel:[0,0,1] op_sel_hi:[1,1,0] neg_lo:[0,0,1] neg_hi:[0,0,1]
	v_pk_fma_f32 v[18:19], v[30:31], v[12:13], v[18:19] op_sel:[0,0,1] op_sel_hi:[1,0,0]
	v_mov_b32_e32 v29, v19
	s_delay_alu instid0(VALU_DEP_1) | instskip(SKIP_3) | instid1(VALU_DEP_1)
	v_pk_add_f32 v[160:161], v[160:161], v[28:29] neg_lo:[0,1] neg_hi:[0,1]
	ds_load_2addr_b64 v[28:31], v216 offset0:39 offset1:40
	s_wait_dscnt 0x0
	v_pk_mul_f32 v[18:19], v[28:29], v[14:15] op_sel:[0,1]
	v_pk_fma_f32 v[32:33], v[28:29], v[12:13], v[18:19] op_sel:[0,0,1] op_sel_hi:[1,1,0] neg_lo:[0,0,1] neg_hi:[0,0,1]
	v_pk_fma_f32 v[18:19], v[28:29], v[12:13], v[18:19] op_sel:[0,0,1] op_sel_hi:[1,0,0]
	s_delay_alu instid0(VALU_DEP_1) | instskip(SKIP_1) | instid1(VALU_DEP_2)
	v_mov_b32_e32 v33, v19
	v_pk_mul_f32 v[18:19], v[30:31], v[14:15] op_sel:[0,1]
	v_pk_add_f32 v[156:157], v[156:157], v[32:33] neg_lo:[0,1] neg_hi:[0,1]
	s_delay_alu instid0(VALU_DEP_2) | instskip(SKIP_1) | instid1(VALU_DEP_1)
	v_pk_fma_f32 v[28:29], v[30:31], v[12:13], v[18:19] op_sel:[0,0,1] op_sel_hi:[1,1,0] neg_lo:[0,0,1] neg_hi:[0,0,1]
	v_pk_fma_f32 v[18:19], v[30:31], v[12:13], v[18:19] op_sel:[0,0,1] op_sel_hi:[1,0,0]
	v_mov_b32_e32 v29, v19
	s_delay_alu instid0(VALU_DEP_1) | instskip(SKIP_3) | instid1(VALU_DEP_1)
	v_pk_add_f32 v[178:179], v[178:179], v[28:29] neg_lo:[0,1] neg_hi:[0,1]
	ds_load_2addr_b64 v[28:31], v216 offset0:41 offset1:42
	s_wait_dscnt 0x0
	v_dual_mul_f32 v18, v29, v15 :: v_dual_mul_f32 v32, v29, v12
	v_pk_fma_f32 v[18:19], v[28:29], v[66:67], v[18:19] op_sel_hi:[1,1,0] neg_lo:[0,0,1] neg_hi:[0,0,1]
	s_delay_alu instid0(VALU_DEP_2) | instskip(NEXT) | instid1(VALU_DEP_1)
	v_pk_fma_f32 v[28:29], v[28:29], v[66:67], v[32:33] op_sel:[1,0,0] op_sel_hi:[0,1,0]
	v_mov_b32_e32 v19, v29
	s_delay_alu instid0(VALU_DEP_1) | instskip(SKIP_1) | instid1(VALU_DEP_1)
	v_pk_add_f32 v[174:175], v[174:175], v[18:19] neg_lo:[0,1] neg_hi:[0,1]
	v_pk_mul_f32 v[18:19], v[30:31], v[14:15] op_sel:[0,1]
	v_pk_fma_f32 v[28:29], v[30:31], v[12:13], v[18:19] op_sel:[0,0,1] op_sel_hi:[1,1,0] neg_lo:[0,0,1] neg_hi:[0,0,1]
	v_pk_fma_f32 v[18:19], v[30:31], v[12:13], v[18:19] op_sel:[0,0,1] op_sel_hi:[1,0,0]
	s_delay_alu instid0(VALU_DEP_1) | instskip(NEXT) | instid1(VALU_DEP_1)
	v_mov_b32_e32 v29, v19
	v_pk_add_f32 v[176:177], v[176:177], v[28:29] neg_lo:[0,1] neg_hi:[0,1]
	ds_load_2addr_b64 v[28:31], v216 offset0:43 offset1:44
	s_wait_dscnt 0x0
	v_pk_mul_f32 v[18:19], v[28:29], v[14:15] op_sel:[0,1]
	s_delay_alu instid0(VALU_DEP_1) | instskip(SKIP_1) | instid1(VALU_DEP_1)
	v_pk_fma_f32 v[32:33], v[28:29], v[12:13], v[18:19] op_sel:[0,0,1] op_sel_hi:[1,1,0] neg_lo:[0,0,1] neg_hi:[0,0,1]
	v_pk_fma_f32 v[18:19], v[28:29], v[12:13], v[18:19] op_sel:[0,0,1] op_sel_hi:[1,0,0]
	v_mov_b32_e32 v33, v19
	v_pk_mul_f32 v[18:19], v[30:31], v[14:15] op_sel:[0,1]
	s_delay_alu instid0(VALU_DEP_2) | instskip(NEXT) | instid1(VALU_DEP_2)
	v_pk_add_f32 v[172:173], v[172:173], v[32:33] neg_lo:[0,1] neg_hi:[0,1]
	v_pk_fma_f32 v[28:29], v[30:31], v[12:13], v[18:19] op_sel:[0,0,1] op_sel_hi:[1,1,0] neg_lo:[0,0,1] neg_hi:[0,0,1]
	v_pk_fma_f32 v[18:19], v[30:31], v[12:13], v[18:19] op_sel:[0,0,1] op_sel_hi:[1,0,0]
	s_delay_alu instid0(VALU_DEP_1) | instskip(NEXT) | instid1(VALU_DEP_1)
	v_mov_b32_e32 v29, v19
	v_pk_add_f32 v[194:195], v[194:195], v[28:29] neg_lo:[0,1] neg_hi:[0,1]
	ds_load_2addr_b64 v[28:31], v216 offset0:45 offset1:46
	s_wait_dscnt 0x0
	v_pk_mul_f32 v[18:19], v[28:29], v[14:15] op_sel:[0,1]
	s_delay_alu instid0(VALU_DEP_1) | instskip(SKIP_2) | instid1(VALU_DEP_2)
	v_pk_fma_f32 v[32:33], v[28:29], v[12:13], v[18:19] op_sel:[0,0,1] op_sel_hi:[1,1,0] neg_lo:[0,0,1] neg_hi:[0,0,1]
	v_pk_fma_f32 v[18:19], v[28:29], v[12:13], v[18:19] op_sel:[0,0,1] op_sel_hi:[1,0,0]
	v_dual_mul_f32 v28, v31, v15 :: v_dual_mov_b32 v18, v31
	v_dual_mov_b32 v33, v19 :: v_dual_mov_b32 v19, v30
	s_delay_alu instid0(VALU_DEP_2) | instskip(SKIP_1) | instid1(VALU_DEP_3)
	v_pk_fma_f32 v[28:29], v[30:31], v[66:67], v[28:29] op_sel_hi:[1,1,0] neg_lo:[0,0,1] neg_hi:[0,0,1]
	v_mul_f32_e32 v30, v31, v12
	v_pk_add_f32 v[190:191], v[190:191], v[32:33] neg_lo:[0,1] neg_hi:[0,1]
	s_delay_alu instid0(VALU_DEP_2) | instskip(NEXT) | instid1(VALU_DEP_1)
	v_pk_fma_f32 v[18:19], v[18:19], v[66:67], v[30:31] op_sel_hi:[1,1,0]
	v_mov_b32_e32 v29, v19
	s_delay_alu instid0(VALU_DEP_1) | instskip(SKIP_3) | instid1(VALU_DEP_1)
	v_pk_add_f32 v[192:193], v[192:193], v[28:29] neg_lo:[0,1] neg_hi:[0,1]
	ds_load_2addr_b64 v[28:31], v216 offset0:47 offset1:48
	s_wait_dscnt 0x0
	v_pk_mul_f32 v[18:19], v[28:29], v[14:15] op_sel:[0,1]
	v_pk_fma_f32 v[32:33], v[28:29], v[12:13], v[18:19] op_sel:[0,0,1] op_sel_hi:[1,1,0] neg_lo:[0,0,1] neg_hi:[0,0,1]
	v_pk_fma_f32 v[18:19], v[28:29], v[12:13], v[18:19] op_sel:[0,0,1] op_sel_hi:[1,0,0]
	s_delay_alu instid0(VALU_DEP_1) | instskip(SKIP_1) | instid1(VALU_DEP_2)
	v_mov_b32_e32 v33, v19
	v_pk_mul_f32 v[18:19], v[30:31], v[14:15] op_sel:[0,1]
	v_pk_add_f32 v[188:189], v[188:189], v[32:33] neg_lo:[0,1] neg_hi:[0,1]
	s_delay_alu instid0(VALU_DEP_2) | instskip(SKIP_1) | instid1(VALU_DEP_1)
	v_pk_fma_f32 v[28:29], v[30:31], v[12:13], v[18:19] op_sel:[0,0,1] op_sel_hi:[1,1,0] neg_lo:[0,0,1] neg_hi:[0,0,1]
	v_pk_fma_f32 v[18:19], v[30:31], v[12:13], v[18:19] op_sel:[0,0,1] op_sel_hi:[1,0,0]
	v_mov_b32_e32 v29, v19
	s_delay_alu instid0(VALU_DEP_1) | instskip(SKIP_3) | instid1(VALU_DEP_1)
	v_pk_add_f32 v[214:215], v[214:215], v[28:29] neg_lo:[0,1] neg_hi:[0,1]
	ds_load_2addr_b64 v[28:31], v216 offset0:49 offset1:50
	s_wait_dscnt 0x0
	v_pk_mul_f32 v[18:19], v[28:29], v[14:15] op_sel:[0,1]
	v_pk_fma_f32 v[32:33], v[28:29], v[12:13], v[18:19] op_sel:[0,0,1] op_sel_hi:[1,1,0] neg_lo:[0,0,1] neg_hi:[0,0,1]
	v_pk_fma_f32 v[18:19], v[28:29], v[12:13], v[18:19] op_sel:[0,0,1] op_sel_hi:[1,0,0]
	s_delay_alu instid0(VALU_DEP_1) | instskip(SKIP_1) | instid1(VALU_DEP_2)
	v_mov_b32_e32 v33, v19
	v_pk_mul_f32 v[18:19], v[30:31], v[14:15] op_sel:[0,1]
	v_pk_add_f32 v[210:211], v[210:211], v[32:33] neg_lo:[0,1] neg_hi:[0,1]
	s_delay_alu instid0(VALU_DEP_2) | instskip(SKIP_1) | instid1(VALU_DEP_1)
	v_pk_fma_f32 v[28:29], v[30:31], v[12:13], v[18:19] op_sel:[0,0,1] op_sel_hi:[1,1,0] neg_lo:[0,0,1] neg_hi:[0,0,1]
	v_pk_fma_f32 v[18:19], v[30:31], v[12:13], v[18:19] op_sel:[0,0,1] op_sel_hi:[1,0,0]
	v_mov_b32_e32 v29, v19
	s_delay_alu instid0(VALU_DEP_1) | instskip(SKIP_3) | instid1(VALU_DEP_1)
	v_pk_add_f32 v[212:213], v[212:213], v[28:29] neg_lo:[0,1] neg_hi:[0,1]
	ds_load_2addr_b64 v[28:31], v216 offset0:51 offset1:52
	s_wait_dscnt 0x0
	v_dual_mul_f32 v18, v29, v15 :: v_dual_mul_f32 v32, v29, v12
	v_pk_fma_f32 v[18:19], v[28:29], v[66:67], v[18:19] op_sel_hi:[1,1,0] neg_lo:[0,0,1] neg_hi:[0,0,1]
	s_delay_alu instid0(VALU_DEP_2) | instskip(NEXT) | instid1(VALU_DEP_1)
	v_pk_fma_f32 v[28:29], v[28:29], v[66:67], v[32:33] op_sel:[1,0,0] op_sel_hi:[0,1,0]
	v_mov_b32_e32 v19, v29
	s_delay_alu instid0(VALU_DEP_1) | instskip(SKIP_1) | instid1(VALU_DEP_1)
	v_pk_add_f32 v[208:209], v[208:209], v[18:19] neg_lo:[0,1] neg_hi:[0,1]
	v_pk_mul_f32 v[18:19], v[30:31], v[14:15] op_sel:[0,1]
	v_pk_fma_f32 v[28:29], v[30:31], v[12:13], v[18:19] op_sel:[0,0,1] op_sel_hi:[1,1,0] neg_lo:[0,0,1] neg_hi:[0,0,1]
	v_pk_fma_f32 v[18:19], v[30:31], v[12:13], v[18:19] op_sel:[0,0,1] op_sel_hi:[1,0,0]
	s_delay_alu instid0(VALU_DEP_1) | instskip(NEXT) | instid1(VALU_DEP_1)
	v_mov_b32_e32 v29, v19
	v_pk_add_f32 v[236:237], v[236:237], v[28:29] neg_lo:[0,1] neg_hi:[0,1]
	ds_load_2addr_b64 v[28:31], v216 offset0:53 offset1:54
	s_wait_dscnt 0x0
	v_pk_mul_f32 v[18:19], v[28:29], v[14:15] op_sel:[0,1]
	s_delay_alu instid0(VALU_DEP_1) | instskip(SKIP_1) | instid1(VALU_DEP_1)
	v_pk_fma_f32 v[32:33], v[28:29], v[12:13], v[18:19] op_sel:[0,0,1] op_sel_hi:[1,1,0] neg_lo:[0,0,1] neg_hi:[0,0,1]
	v_pk_fma_f32 v[18:19], v[28:29], v[12:13], v[18:19] op_sel:[0,0,1] op_sel_hi:[1,0,0]
	v_mov_b32_e32 v33, v19
	v_pk_mul_f32 v[18:19], v[30:31], v[14:15] op_sel:[0,1]
	s_delay_alu instid0(VALU_DEP_2) | instskip(NEXT) | instid1(VALU_DEP_2)
	v_pk_add_f32 v[230:231], v[230:231], v[32:33] neg_lo:[0,1] neg_hi:[0,1]
	v_pk_fma_f32 v[28:29], v[30:31], v[12:13], v[18:19] op_sel:[0,0,1] op_sel_hi:[1,1,0] neg_lo:[0,0,1] neg_hi:[0,0,1]
	v_pk_fma_f32 v[18:19], v[30:31], v[12:13], v[18:19] op_sel:[0,0,1] op_sel_hi:[1,0,0]
	s_delay_alu instid0(VALU_DEP_1) | instskip(NEXT) | instid1(VALU_DEP_1)
	v_mov_b32_e32 v29, v19
	v_pk_add_f32 v[234:235], v[234:235], v[28:29] neg_lo:[0,1] neg_hi:[0,1]
	ds_load_2addr_b64 v[28:31], v216 offset0:55 offset1:56
	s_wait_dscnt 0x0
	v_pk_mul_f32 v[18:19], v[28:29], v[14:15] op_sel:[0,1]
	s_delay_alu instid0(VALU_DEP_1) | instskip(SKIP_2) | instid1(VALU_DEP_2)
	v_pk_fma_f32 v[32:33], v[28:29], v[12:13], v[18:19] op_sel:[0,0,1] op_sel_hi:[1,1,0] neg_lo:[0,0,1] neg_hi:[0,0,1]
	v_pk_fma_f32 v[18:19], v[28:29], v[12:13], v[18:19] op_sel:[0,0,1] op_sel_hi:[1,0,0]
	v_dual_mul_f32 v28, v31, v15 :: v_dual_mov_b32 v18, v31
	v_dual_mov_b32 v33, v19 :: v_dual_mov_b32 v19, v30
	s_delay_alu instid0(VALU_DEP_2) | instskip(SKIP_1) | instid1(VALU_DEP_3)
	v_pk_fma_f32 v[28:29], v[30:31], v[66:67], v[28:29] op_sel_hi:[1,1,0] neg_lo:[0,0,1] neg_hi:[0,0,1]
	v_mul_f32_e32 v30, v31, v12
	v_pk_add_f32 v[228:229], v[228:229], v[32:33] neg_lo:[0,1] neg_hi:[0,1]
	s_delay_alu instid0(VALU_DEP_2) | instskip(NEXT) | instid1(VALU_DEP_1)
	v_pk_fma_f32 v[18:19], v[18:19], v[66:67], v[30:31] op_sel_hi:[1,1,0]
	v_mov_b32_e32 v29, v19
	s_delay_alu instid0(VALU_DEP_1) | instskip(SKIP_3) | instid1(VALU_DEP_1)
	v_pk_add_f32 v[232:233], v[232:233], v[28:29] neg_lo:[0,1] neg_hi:[0,1]
	ds_load_2addr_b64 v[28:31], v216 offset0:57 offset1:58
	s_wait_dscnt 0x0
	v_pk_mul_f32 v[18:19], v[28:29], v[14:15] op_sel:[0,1]
	v_pk_fma_f32 v[32:33], v[28:29], v[12:13], v[18:19] op_sel:[0,0,1] op_sel_hi:[1,1,0] neg_lo:[0,0,1] neg_hi:[0,0,1]
	v_pk_fma_f32 v[18:19], v[28:29], v[12:13], v[18:19] op_sel:[0,0,1] op_sel_hi:[1,0,0]
	s_delay_alu instid0(VALU_DEP_1) | instskip(SKIP_1) | instid1(VALU_DEP_2)
	v_mov_b32_e32 v33, v19
	v_pk_mul_f32 v[18:19], v[30:31], v[14:15] op_sel:[0,1]
	v_pk_add_f32 v[226:227], v[226:227], v[32:33] neg_lo:[0,1] neg_hi:[0,1]
	s_delay_alu instid0(VALU_DEP_2) | instskip(SKIP_1) | instid1(VALU_DEP_1)
	v_pk_fma_f32 v[28:29], v[30:31], v[12:13], v[18:19] op_sel:[0,0,1] op_sel_hi:[1,1,0] neg_lo:[0,0,1] neg_hi:[0,0,1]
	v_pk_fma_f32 v[18:19], v[30:31], v[12:13], v[18:19] op_sel:[0,0,1] op_sel_hi:[1,0,0]
	v_mov_b32_e32 v29, v19
	ds_load_b64 v[18:19], v216 offset:472
	v_pk_add_f32 v[238:239], v[238:239], v[28:29] neg_lo:[0,1] neg_hi:[0,1]
	s_wait_dscnt 0x0
	v_pk_mul_f32 v[14:15], v[18:19], v[14:15] op_sel:[0,1]
	s_delay_alu instid0(VALU_DEP_1) | instskip(SKIP_1) | instid1(VALU_DEP_1)
	v_pk_fma_f32 v[28:29], v[18:19], v[12:13], v[14:15] op_sel:[0,0,1] op_sel_hi:[1,1,0] neg_lo:[0,0,1] neg_hi:[0,0,1]
	v_pk_fma_f32 v[12:13], v[18:19], v[12:13], v[14:15] op_sel:[0,0,1] op_sel_hi:[1,0,0]
	v_mov_b32_e32 v29, v13
	s_delay_alu instid0(VALU_DEP_1)
	v_pk_add_f32 v[240:241], v[240:241], v[28:29] neg_lo:[0,1] neg_hi:[0,1]
.LBB119_118:
	s_or_b32 exec_lo, exec_lo, s1
	s_delay_alu instid0(SALU_CYCLE_1)
	s_mov_b32 s2, exec_lo
	s_wait_dscnt 0x0
	s_barrier_signal -1
	s_barrier_wait -1
	v_cmpx_eq_u32_e32 13, v206
	s_cbranch_execz .LBB119_125
; %bb.119:
	v_dual_mov_b32 v12, v64 :: v_dual_mov_b32 v13, v65
	v_dual_mov_b32 v14, v60 :: v_dual_mov_b32 v15, v61
	ds_store_b64 v207, v[62:63]
	ds_store_2addr_b64 v216, v[12:13], v[14:15] offset0:14 offset1:15
	v_dual_mov_b32 v12, v82 :: v_dual_mov_b32 v13, v83
	v_dual_mov_b32 v14, v78 :: v_dual_mov_b32 v15, v79
	ds_store_2addr_b64 v216, v[12:13], v[14:15] offset0:16 offset1:17
	v_dual_mov_b32 v12, v80 :: v_dual_mov_b32 v13, v81
	v_dual_mov_b32 v14, v76 :: v_dual_mov_b32 v15, v77
	;; [unrolled: 3-line block ×21, first 2 shown]
	ds_store_2addr_b64 v216, v[12:13], v[14:15] offset0:56 offset1:57
	v_dual_mov_b32 v12, v238 :: v_dual_mov_b32 v13, v239
	ds_store_2addr_b64 v216, v[12:13], v[240:241] offset0:58 offset1:59
	ds_load_b64 v[12:13], v207
	s_wait_dscnt 0x0
	v_cmp_neq_f32_e32 vcc_lo, 0, v12
	v_cmp_neq_f32_e64 s1, 0, v13
	s_or_b32 s1, vcc_lo, s1
	s_delay_alu instid0(SALU_CYCLE_1)
	s_and_b32 exec_lo, exec_lo, s1
	s_cbranch_execz .LBB119_125
; %bb.120:
	v_cmp_ngt_f32_e64 s1, |v12|, |v13|
                                        ; implicit-def: $vgpr14_vgpr15
	s_and_saveexec_b32 s4, s1
	s_delay_alu instid0(SALU_CYCLE_1)
	s_xor_b32 s1, exec_lo, s4
	s_cbranch_execz .LBB119_122
; %bb.121:
	v_div_scale_f32 v14, null, v13, v13, v12
	v_div_scale_f32 v19, vcc_lo, v12, v13, v12
	s_delay_alu instid0(VALU_DEP_2) | instskip(SKIP_1) | instid1(TRANS32_DEP_1)
	v_rcp_f32_e32 v15, v14
	v_nop
	v_fma_f32 v18, -v14, v15, 1.0
	s_delay_alu instid0(VALU_DEP_1) | instskip(NEXT) | instid1(VALU_DEP_1)
	v_fmac_f32_e32 v15, v18, v15
	v_mul_f32_e32 v18, v19, v15
	s_delay_alu instid0(VALU_DEP_1) | instskip(NEXT) | instid1(VALU_DEP_1)
	v_fma_f32 v28, -v14, v18, v19
	v_fmac_f32_e32 v18, v28, v15
	s_delay_alu instid0(VALU_DEP_1) | instskip(NEXT) | instid1(VALU_DEP_1)
	v_fma_f32 v14, -v14, v18, v19
	v_div_fmas_f32 v14, v14, v15, v18
	s_delay_alu instid0(VALU_DEP_1) | instskip(NEXT) | instid1(VALU_DEP_1)
	v_div_fixup_f32 v14, v14, v13, v12
	v_fmac_f32_e32 v13, v12, v14
	s_delay_alu instid0(VALU_DEP_1) | instskip(SKIP_1) | instid1(VALU_DEP_2)
	v_div_scale_f32 v12, null, v13, v13, 1.0
	v_div_scale_f32 v19, vcc_lo, 1.0, v13, 1.0
	v_rcp_f32_e32 v15, v12
	v_nop
	s_delay_alu instid0(TRANS32_DEP_1) | instskip(NEXT) | instid1(VALU_DEP_1)
	v_fma_f32 v18, -v12, v15, 1.0
	v_fmac_f32_e32 v15, v18, v15
	s_delay_alu instid0(VALU_DEP_1) | instskip(NEXT) | instid1(VALU_DEP_1)
	v_mul_f32_e32 v18, v19, v15
	v_fma_f32 v28, -v12, v18, v19
	s_delay_alu instid0(VALU_DEP_1) | instskip(NEXT) | instid1(VALU_DEP_1)
	v_fmac_f32_e32 v18, v28, v15
	v_fma_f32 v12, -v12, v18, v19
	s_delay_alu instid0(VALU_DEP_1) | instskip(NEXT) | instid1(VALU_DEP_1)
	v_div_fmas_f32 v12, v12, v15, v18
	v_div_fixup_f32 v12, v12, v13, 1.0
	s_delay_alu instid0(VALU_DEP_1)
	v_mul_f32_e32 v14, v14, v12
	v_xor_b32_e32 v15, 0x80000000, v12
                                        ; implicit-def: $vgpr12_vgpr13
.LBB119_122:
	s_and_not1_saveexec_b32 s1, s1
	s_cbranch_execz .LBB119_124
; %bb.123:
	v_div_scale_f32 v14, null, v12, v12, v13
	v_div_scale_f32 v19, vcc_lo, v13, v12, v13
	s_delay_alu instid0(VALU_DEP_2) | instskip(SKIP_1) | instid1(TRANS32_DEP_1)
	v_rcp_f32_e32 v15, v14
	v_nop
	v_fma_f32 v18, -v14, v15, 1.0
	s_delay_alu instid0(VALU_DEP_1) | instskip(NEXT) | instid1(VALU_DEP_1)
	v_fmac_f32_e32 v15, v18, v15
	v_mul_f32_e32 v18, v19, v15
	s_delay_alu instid0(VALU_DEP_1) | instskip(NEXT) | instid1(VALU_DEP_1)
	v_fma_f32 v28, -v14, v18, v19
	v_fmac_f32_e32 v18, v28, v15
	s_delay_alu instid0(VALU_DEP_1) | instskip(NEXT) | instid1(VALU_DEP_1)
	v_fma_f32 v14, -v14, v18, v19
	v_div_fmas_f32 v14, v14, v15, v18
	s_delay_alu instid0(VALU_DEP_1) | instskip(NEXT) | instid1(VALU_DEP_1)
	v_div_fixup_f32 v15, v14, v12, v13
	v_fmac_f32_e32 v12, v13, v15
	s_delay_alu instid0(VALU_DEP_1) | instskip(NEXT) | instid1(VALU_DEP_1)
	v_div_scale_f32 v13, null, v12, v12, 1.0
	v_rcp_f32_e32 v14, v13
	v_nop
	s_delay_alu instid0(TRANS32_DEP_1) | instskip(NEXT) | instid1(VALU_DEP_1)
	v_fma_f32 v18, -v13, v14, 1.0
	v_fmac_f32_e32 v14, v18, v14
	v_div_scale_f32 v18, vcc_lo, 1.0, v12, 1.0
	s_delay_alu instid0(VALU_DEP_1) | instskip(NEXT) | instid1(VALU_DEP_1)
	v_mul_f32_e32 v19, v18, v14
	v_fma_f32 v28, -v13, v19, v18
	s_delay_alu instid0(VALU_DEP_1) | instskip(NEXT) | instid1(VALU_DEP_1)
	v_fmac_f32_e32 v19, v28, v14
	v_fma_f32 v13, -v13, v19, v18
	s_delay_alu instid0(VALU_DEP_1) | instskip(NEXT) | instid1(VALU_DEP_1)
	v_div_fmas_f32 v13, v13, v14, v19
	v_div_fixup_f32 v14, v13, v12, 1.0
	s_delay_alu instid0(VALU_DEP_1)
	v_mul_f32_e64 v15, v15, -v14
.LBB119_124:
	s_or_b32 exec_lo, exec_lo, s1
	ds_store_b64 v207, v[14:15]
.LBB119_125:
	s_or_b32 exec_lo, exec_lo, s2
	s_wait_dscnt 0x0
	s_barrier_signal -1
	s_barrier_wait -1
	ds_load_b64 v[12:13], v207
	s_mov_b32 s1, exec_lo
	v_cmpx_lt_u32_e32 13, v206
	s_cbranch_execz .LBB119_127
; %bb.126:
	ds_load_2addr_b64 v[28:31], v216 offset0:14 offset1:15
	s_wait_dscnt 0x1
	v_pk_mul_f32 v[18:19], v[12:13], v[62:63] op_sel:[1,1] op_sel_hi:[0,1]
	s_delay_alu instid0(VALU_DEP_1) | instskip(SKIP_1) | instid1(VALU_DEP_1)
	v_pk_fma_f32 v[14:15], v[12:13], v[62:63], v[18:19] op_sel_hi:[1,0,1] neg_lo:[0,0,1] neg_hi:[0,0,1]
	v_pk_fma_f32 v[18:19], v[12:13], v[62:63], v[18:19] op_sel_hi:[1,0,1]
	v_dual_mov_b32 v62, v14 :: v_dual_mov_b32 v63, v19
	s_wait_dscnt 0x0
	s_delay_alu instid0(VALU_DEP_2) | instskip(NEXT) | instid1(VALU_DEP_1)
	v_pk_mul_f32 v[32:33], v[28:29], v[18:19] op_sel:[0,1]
	v_pk_fma_f32 v[42:43], v[28:29], v[14:15], v[32:33] op_sel:[0,0,1] op_sel_hi:[1,1,0] neg_lo:[0,0,1] neg_hi:[0,0,1]
	v_pk_fma_f32 v[28:29], v[28:29], v[14:15], v[32:33] op_sel:[0,0,1] op_sel_hi:[1,0,0]
	s_delay_alu instid0(VALU_DEP_1) | instskip(SKIP_1) | instid1(VALU_DEP_1)
	v_mov_b32_e32 v43, v29
	v_pk_mul_f32 v[28:29], v[30:31], v[18:19] op_sel:[0,1]
	v_pk_fma_f32 v[32:33], v[30:31], v[14:15], v[28:29] op_sel:[0,0,1] op_sel_hi:[1,1,0] neg_lo:[0,0,1] neg_hi:[0,0,1]
	v_pk_fma_f32 v[28:29], v[30:31], v[14:15], v[28:29] op_sel:[0,0,1] op_sel_hi:[1,0,0]
	s_delay_alu instid0(VALU_DEP_1)
	v_mov_b32_e32 v33, v29
	ds_load_2addr_b64 v[28:31], v216 offset0:16 offset1:17
	v_pk_add_f32 v[64:65], v[64:65], v[42:43] neg_lo:[0,1] neg_hi:[0,1]
	v_pk_add_f32 v[60:61], v[60:61], v[32:33] neg_lo:[0,1] neg_hi:[0,1]
	s_wait_dscnt 0x0
	v_pk_mul_f32 v[32:33], v[28:29], v[18:19] op_sel:[0,1]
	s_delay_alu instid0(VALU_DEP_1) | instskip(SKIP_2) | instid1(VALU_DEP_2)
	v_pk_fma_f32 v[42:43], v[28:29], v[14:15], v[32:33] op_sel:[0,0,1] op_sel_hi:[1,1,0] neg_lo:[0,0,1] neg_hi:[0,0,1]
	v_pk_fma_f32 v[28:29], v[28:29], v[14:15], v[32:33] op_sel:[0,0,1] op_sel_hi:[1,0,0]
	v_dual_mul_f32 v32, v31, v19 :: v_dual_mov_b32 v28, v31
	v_dual_mov_b32 v43, v29 :: v_dual_mov_b32 v29, v30
	s_delay_alu instid0(VALU_DEP_2) | instskip(SKIP_1) | instid1(VALU_DEP_3)
	v_pk_fma_f32 v[32:33], v[30:31], v[62:63], v[32:33] op_sel_hi:[1,1,0] neg_lo:[0,0,1] neg_hi:[0,0,1]
	v_mul_f32_e32 v30, v31, v14
	v_pk_add_f32 v[82:83], v[82:83], v[42:43] neg_lo:[0,1] neg_hi:[0,1]
	s_delay_alu instid0(VALU_DEP_2) | instskip(NEXT) | instid1(VALU_DEP_1)
	v_pk_fma_f32 v[28:29], v[28:29], v[62:63], v[30:31] op_sel_hi:[1,1,0]
	v_mov_b32_e32 v33, v29
	ds_load_2addr_b64 v[28:31], v216 offset0:18 offset1:19
	v_pk_add_f32 v[78:79], v[78:79], v[32:33] neg_lo:[0,1] neg_hi:[0,1]
	s_wait_dscnt 0x0
	v_pk_mul_f32 v[32:33], v[28:29], v[18:19] op_sel:[0,1]
	s_delay_alu instid0(VALU_DEP_1) | instskip(SKIP_1) | instid1(VALU_DEP_1)
	v_pk_fma_f32 v[42:43], v[28:29], v[14:15], v[32:33] op_sel:[0,0,1] op_sel_hi:[1,1,0] neg_lo:[0,0,1] neg_hi:[0,0,1]
	v_pk_fma_f32 v[28:29], v[28:29], v[14:15], v[32:33] op_sel:[0,0,1] op_sel_hi:[1,0,0]
	v_mov_b32_e32 v43, v29
	v_pk_mul_f32 v[28:29], v[30:31], v[18:19] op_sel:[0,1]
	s_delay_alu instid0(VALU_DEP_1) | instskip(SKIP_1) | instid1(VALU_DEP_1)
	v_pk_fma_f32 v[32:33], v[30:31], v[14:15], v[28:29] op_sel:[0,0,1] op_sel_hi:[1,1,0] neg_lo:[0,0,1] neg_hi:[0,0,1]
	v_pk_fma_f32 v[28:29], v[30:31], v[14:15], v[28:29] op_sel:[0,0,1] op_sel_hi:[1,0,0]
	v_mov_b32_e32 v33, v29
	ds_load_2addr_b64 v[28:31], v216 offset0:20 offset1:21
	v_pk_add_f32 v[80:81], v[80:81], v[42:43] neg_lo:[0,1] neg_hi:[0,1]
	v_pk_add_f32 v[76:77], v[76:77], v[32:33] neg_lo:[0,1] neg_hi:[0,1]
	s_wait_dscnt 0x0
	v_pk_mul_f32 v[32:33], v[28:29], v[18:19] op_sel:[0,1]
	s_delay_alu instid0(VALU_DEP_1) | instskip(SKIP_1) | instid1(VALU_DEP_1)
	v_pk_fma_f32 v[42:43], v[28:29], v[14:15], v[32:33] op_sel:[0,0,1] op_sel_hi:[1,1,0] neg_lo:[0,0,1] neg_hi:[0,0,1]
	v_pk_fma_f32 v[28:29], v[28:29], v[14:15], v[32:33] op_sel:[0,0,1] op_sel_hi:[1,0,0]
	v_mov_b32_e32 v43, v29
	v_pk_mul_f32 v[28:29], v[30:31], v[18:19] op_sel:[0,1]
	s_delay_alu instid0(VALU_DEP_1) | instskip(SKIP_1) | instid1(VALU_DEP_1)
	v_pk_fma_f32 v[32:33], v[30:31], v[14:15], v[28:29] op_sel:[0,0,1] op_sel_hi:[1,1,0] neg_lo:[0,0,1] neg_hi:[0,0,1]
	v_pk_fma_f32 v[28:29], v[30:31], v[14:15], v[28:29] op_sel:[0,0,1] op_sel_hi:[1,0,0]
	v_mov_b32_e32 v33, v29
	ds_load_2addr_b64 v[28:31], v216 offset0:22 offset1:23
	v_pk_add_f32 v[98:99], v[98:99], v[42:43] neg_lo:[0,1] neg_hi:[0,1]
	v_pk_add_f32 v[94:95], v[94:95], v[32:33] neg_lo:[0,1] neg_hi:[0,1]
	s_wait_dscnt 0x0
	v_dual_mul_f32 v32, v29, v19 :: v_dual_mul_f32 v42, v29, v14
	s_delay_alu instid0(VALU_DEP_1) | instskip(NEXT) | instid1(VALU_DEP_2)
	v_pk_fma_f32 v[32:33], v[28:29], v[62:63], v[32:33] op_sel_hi:[1,1,0] neg_lo:[0,0,1] neg_hi:[0,0,1]
	v_pk_fma_f32 v[28:29], v[28:29], v[62:63], v[42:43] op_sel:[1,0,0] op_sel_hi:[0,1,0]
	s_delay_alu instid0(VALU_DEP_1) | instskip(SKIP_1) | instid1(VALU_DEP_2)
	v_mov_b32_e32 v33, v29
	v_pk_mul_f32 v[28:29], v[30:31], v[18:19] op_sel:[0,1]
	v_pk_add_f32 v[96:97], v[96:97], v[32:33] neg_lo:[0,1] neg_hi:[0,1]
	s_delay_alu instid0(VALU_DEP_2) | instskip(SKIP_1) | instid1(VALU_DEP_1)
	v_pk_fma_f32 v[32:33], v[30:31], v[14:15], v[28:29] op_sel:[0,0,1] op_sel_hi:[1,1,0] neg_lo:[0,0,1] neg_hi:[0,0,1]
	v_pk_fma_f32 v[28:29], v[30:31], v[14:15], v[28:29] op_sel:[0,0,1] op_sel_hi:[1,0,0]
	v_mov_b32_e32 v33, v29
	ds_load_2addr_b64 v[28:31], v216 offset0:24 offset1:25
	v_pk_add_f32 v[92:93], v[92:93], v[32:33] neg_lo:[0,1] neg_hi:[0,1]
	s_wait_dscnt 0x0
	v_pk_mul_f32 v[32:33], v[28:29], v[18:19] op_sel:[0,1]
	s_delay_alu instid0(VALU_DEP_1) | instskip(SKIP_1) | instid1(VALU_DEP_1)
	v_pk_fma_f32 v[42:43], v[28:29], v[14:15], v[32:33] op_sel:[0,0,1] op_sel_hi:[1,1,0] neg_lo:[0,0,1] neg_hi:[0,0,1]
	v_pk_fma_f32 v[28:29], v[28:29], v[14:15], v[32:33] op_sel:[0,0,1] op_sel_hi:[1,0,0]
	v_mov_b32_e32 v43, v29
	v_pk_mul_f32 v[28:29], v[30:31], v[18:19] op_sel:[0,1]
	s_delay_alu instid0(VALU_DEP_2) | instskip(NEXT) | instid1(VALU_DEP_2)
	v_pk_add_f32 v[114:115], v[114:115], v[42:43] neg_lo:[0,1] neg_hi:[0,1]
	v_pk_fma_f32 v[32:33], v[30:31], v[14:15], v[28:29] op_sel:[0,0,1] op_sel_hi:[1,1,0] neg_lo:[0,0,1] neg_hi:[0,0,1]
	v_pk_fma_f32 v[28:29], v[30:31], v[14:15], v[28:29] op_sel:[0,0,1] op_sel_hi:[1,0,0]
	s_delay_alu instid0(VALU_DEP_1) | instskip(SKIP_4) | instid1(VALU_DEP_1)
	v_mov_b32_e32 v33, v29
	ds_load_2addr_b64 v[28:31], v216 offset0:26 offset1:27
	v_pk_add_f32 v[110:111], v[110:111], v[32:33] neg_lo:[0,1] neg_hi:[0,1]
	s_wait_dscnt 0x0
	v_pk_mul_f32 v[32:33], v[28:29], v[18:19] op_sel:[0,1]
	v_pk_fma_f32 v[42:43], v[28:29], v[14:15], v[32:33] op_sel:[0,0,1] op_sel_hi:[1,1,0] neg_lo:[0,0,1] neg_hi:[0,0,1]
	v_pk_fma_f32 v[28:29], v[28:29], v[14:15], v[32:33] op_sel:[0,0,1] op_sel_hi:[1,0,0]
	v_dual_mul_f32 v32, v31, v19 :: v_dual_mov_b32 v28, v31
	s_delay_alu instid0(VALU_DEP_2) | instskip(NEXT) | instid1(VALU_DEP_2)
	v_dual_mov_b32 v43, v29 :: v_dual_mov_b32 v29, v30
	v_pk_fma_f32 v[32:33], v[30:31], v[62:63], v[32:33] op_sel_hi:[1,1,0] neg_lo:[0,0,1] neg_hi:[0,0,1]
	v_mul_f32_e32 v30, v31, v14
	s_delay_alu instid0(VALU_DEP_3) | instskip(NEXT) | instid1(VALU_DEP_2)
	v_pk_add_f32 v[112:113], v[112:113], v[42:43] neg_lo:[0,1] neg_hi:[0,1]
	v_pk_fma_f32 v[28:29], v[28:29], v[62:63], v[30:31] op_sel_hi:[1,1,0]
	s_delay_alu instid0(VALU_DEP_1) | instskip(SKIP_4) | instid1(VALU_DEP_1)
	v_mov_b32_e32 v33, v29
	ds_load_2addr_b64 v[28:31], v216 offset0:28 offset1:29
	v_pk_add_f32 v[108:109], v[108:109], v[32:33] neg_lo:[0,1] neg_hi:[0,1]
	s_wait_dscnt 0x0
	v_pk_mul_f32 v[32:33], v[28:29], v[18:19] op_sel:[0,1]
	v_pk_fma_f32 v[42:43], v[28:29], v[14:15], v[32:33] op_sel:[0,0,1] op_sel_hi:[1,1,0] neg_lo:[0,0,1] neg_hi:[0,0,1]
	v_pk_fma_f32 v[28:29], v[28:29], v[14:15], v[32:33] op_sel:[0,0,1] op_sel_hi:[1,0,0]
	s_delay_alu instid0(VALU_DEP_1) | instskip(SKIP_1) | instid1(VALU_DEP_1)
	v_mov_b32_e32 v43, v29
	v_pk_mul_f32 v[28:29], v[30:31], v[18:19] op_sel:[0,1]
	v_pk_fma_f32 v[32:33], v[30:31], v[14:15], v[28:29] op_sel:[0,0,1] op_sel_hi:[1,1,0] neg_lo:[0,0,1] neg_hi:[0,0,1]
	v_pk_fma_f32 v[28:29], v[30:31], v[14:15], v[28:29] op_sel:[0,0,1] op_sel_hi:[1,0,0]
	s_delay_alu instid0(VALU_DEP_1)
	v_mov_b32_e32 v33, v29
	ds_load_2addr_b64 v[28:31], v216 offset0:30 offset1:31
	v_pk_add_f32 v[130:131], v[130:131], v[42:43] neg_lo:[0,1] neg_hi:[0,1]
	v_pk_add_f32 v[126:127], v[126:127], v[32:33] neg_lo:[0,1] neg_hi:[0,1]
	s_wait_dscnt 0x0
	v_pk_mul_f32 v[32:33], v[28:29], v[18:19] op_sel:[0,1]
	s_delay_alu instid0(VALU_DEP_1) | instskip(SKIP_1) | instid1(VALU_DEP_1)
	v_pk_fma_f32 v[42:43], v[28:29], v[14:15], v[32:33] op_sel:[0,0,1] op_sel_hi:[1,1,0] neg_lo:[0,0,1] neg_hi:[0,0,1]
	v_pk_fma_f32 v[28:29], v[28:29], v[14:15], v[32:33] op_sel:[0,0,1] op_sel_hi:[1,0,0]
	v_mov_b32_e32 v43, v29
	v_pk_mul_f32 v[28:29], v[30:31], v[18:19] op_sel:[0,1]
	s_delay_alu instid0(VALU_DEP_1) | instskip(SKIP_1) | instid1(VALU_DEP_1)
	v_pk_fma_f32 v[32:33], v[30:31], v[14:15], v[28:29] op_sel:[0,0,1] op_sel_hi:[1,1,0] neg_lo:[0,0,1] neg_hi:[0,0,1]
	v_pk_fma_f32 v[28:29], v[30:31], v[14:15], v[28:29] op_sel:[0,0,1] op_sel_hi:[1,0,0]
	v_mov_b32_e32 v33, v29
	ds_load_2addr_b64 v[28:31], v216 offset0:32 offset1:33
	v_pk_add_f32 v[128:129], v[128:129], v[42:43] neg_lo:[0,1] neg_hi:[0,1]
	v_pk_add_f32 v[124:125], v[124:125], v[32:33] neg_lo:[0,1] neg_hi:[0,1]
	s_wait_dscnt 0x0
	v_dual_mul_f32 v32, v29, v19 :: v_dual_mul_f32 v42, v29, v14
	s_delay_alu instid0(VALU_DEP_1) | instskip(NEXT) | instid1(VALU_DEP_2)
	v_pk_fma_f32 v[32:33], v[28:29], v[62:63], v[32:33] op_sel_hi:[1,1,0] neg_lo:[0,0,1] neg_hi:[0,0,1]
	v_pk_fma_f32 v[28:29], v[28:29], v[62:63], v[42:43] op_sel:[1,0,0] op_sel_hi:[0,1,0]
	s_delay_alu instid0(VALU_DEP_1) | instskip(SKIP_1) | instid1(VALU_DEP_2)
	v_mov_b32_e32 v33, v29
	v_pk_mul_f32 v[28:29], v[30:31], v[18:19] op_sel:[0,1]
	v_pk_add_f32 v[146:147], v[146:147], v[32:33] neg_lo:[0,1] neg_hi:[0,1]
	s_delay_alu instid0(VALU_DEP_2) | instskip(SKIP_1) | instid1(VALU_DEP_1)
	v_pk_fma_f32 v[32:33], v[30:31], v[14:15], v[28:29] op_sel:[0,0,1] op_sel_hi:[1,1,0] neg_lo:[0,0,1] neg_hi:[0,0,1]
	v_pk_fma_f32 v[28:29], v[30:31], v[14:15], v[28:29] op_sel:[0,0,1] op_sel_hi:[1,0,0]
	v_mov_b32_e32 v33, v29
	ds_load_2addr_b64 v[28:31], v216 offset0:34 offset1:35
	v_pk_add_f32 v[142:143], v[142:143], v[32:33] neg_lo:[0,1] neg_hi:[0,1]
	s_wait_dscnt 0x0
	v_pk_mul_f32 v[32:33], v[28:29], v[18:19] op_sel:[0,1]
	s_delay_alu instid0(VALU_DEP_1) | instskip(SKIP_1) | instid1(VALU_DEP_1)
	v_pk_fma_f32 v[42:43], v[28:29], v[14:15], v[32:33] op_sel:[0,0,1] op_sel_hi:[1,1,0] neg_lo:[0,0,1] neg_hi:[0,0,1]
	v_pk_fma_f32 v[28:29], v[28:29], v[14:15], v[32:33] op_sel:[0,0,1] op_sel_hi:[1,0,0]
	v_mov_b32_e32 v43, v29
	v_pk_mul_f32 v[28:29], v[30:31], v[18:19] op_sel:[0,1]
	s_delay_alu instid0(VALU_DEP_2) | instskip(NEXT) | instid1(VALU_DEP_2)
	v_pk_add_f32 v[144:145], v[144:145], v[42:43] neg_lo:[0,1] neg_hi:[0,1]
	v_pk_fma_f32 v[32:33], v[30:31], v[14:15], v[28:29] op_sel:[0,0,1] op_sel_hi:[1,1,0] neg_lo:[0,0,1] neg_hi:[0,0,1]
	v_pk_fma_f32 v[28:29], v[30:31], v[14:15], v[28:29] op_sel:[0,0,1] op_sel_hi:[1,0,0]
	s_delay_alu instid0(VALU_DEP_1) | instskip(SKIP_4) | instid1(VALU_DEP_1)
	v_mov_b32_e32 v33, v29
	ds_load_2addr_b64 v[28:31], v216 offset0:36 offset1:37
	v_pk_add_f32 v[140:141], v[140:141], v[32:33] neg_lo:[0,1] neg_hi:[0,1]
	s_wait_dscnt 0x0
	v_pk_mul_f32 v[32:33], v[28:29], v[18:19] op_sel:[0,1]
	v_pk_fma_f32 v[42:43], v[28:29], v[14:15], v[32:33] op_sel:[0,0,1] op_sel_hi:[1,1,0] neg_lo:[0,0,1] neg_hi:[0,0,1]
	v_pk_fma_f32 v[28:29], v[28:29], v[14:15], v[32:33] op_sel:[0,0,1] op_sel_hi:[1,0,0]
	v_dual_mul_f32 v32, v31, v19 :: v_dual_mov_b32 v28, v31
	s_delay_alu instid0(VALU_DEP_2) | instskip(NEXT) | instid1(VALU_DEP_2)
	v_dual_mov_b32 v43, v29 :: v_dual_mov_b32 v29, v30
	v_pk_fma_f32 v[32:33], v[30:31], v[62:63], v[32:33] op_sel_hi:[1,1,0] neg_lo:[0,0,1] neg_hi:[0,0,1]
	v_mul_f32_e32 v30, v31, v14
	s_delay_alu instid0(VALU_DEP_3) | instskip(NEXT) | instid1(VALU_DEP_2)
	v_pk_add_f32 v[162:163], v[162:163], v[42:43] neg_lo:[0,1] neg_hi:[0,1]
	v_pk_fma_f32 v[28:29], v[28:29], v[62:63], v[30:31] op_sel_hi:[1,1,0]
	s_delay_alu instid0(VALU_DEP_1) | instskip(SKIP_4) | instid1(VALU_DEP_1)
	v_mov_b32_e32 v33, v29
	ds_load_2addr_b64 v[28:31], v216 offset0:38 offset1:39
	v_pk_add_f32 v[158:159], v[158:159], v[32:33] neg_lo:[0,1] neg_hi:[0,1]
	s_wait_dscnt 0x0
	v_pk_mul_f32 v[32:33], v[28:29], v[18:19] op_sel:[0,1]
	v_pk_fma_f32 v[42:43], v[28:29], v[14:15], v[32:33] op_sel:[0,0,1] op_sel_hi:[1,1,0] neg_lo:[0,0,1] neg_hi:[0,0,1]
	v_pk_fma_f32 v[28:29], v[28:29], v[14:15], v[32:33] op_sel:[0,0,1] op_sel_hi:[1,0,0]
	s_delay_alu instid0(VALU_DEP_1) | instskip(SKIP_1) | instid1(VALU_DEP_1)
	v_mov_b32_e32 v43, v29
	v_pk_mul_f32 v[28:29], v[30:31], v[18:19] op_sel:[0,1]
	v_pk_fma_f32 v[32:33], v[30:31], v[14:15], v[28:29] op_sel:[0,0,1] op_sel_hi:[1,1,0] neg_lo:[0,0,1] neg_hi:[0,0,1]
	v_pk_fma_f32 v[28:29], v[30:31], v[14:15], v[28:29] op_sel:[0,0,1] op_sel_hi:[1,0,0]
	s_delay_alu instid0(VALU_DEP_1)
	v_mov_b32_e32 v33, v29
	ds_load_2addr_b64 v[28:31], v216 offset0:40 offset1:41
	v_pk_add_f32 v[160:161], v[160:161], v[42:43] neg_lo:[0,1] neg_hi:[0,1]
	v_pk_add_f32 v[156:157], v[156:157], v[32:33] neg_lo:[0,1] neg_hi:[0,1]
	s_wait_dscnt 0x0
	v_pk_mul_f32 v[32:33], v[28:29], v[18:19] op_sel:[0,1]
	s_delay_alu instid0(VALU_DEP_1) | instskip(SKIP_1) | instid1(VALU_DEP_1)
	v_pk_fma_f32 v[42:43], v[28:29], v[14:15], v[32:33] op_sel:[0,0,1] op_sel_hi:[1,1,0] neg_lo:[0,0,1] neg_hi:[0,0,1]
	v_pk_fma_f32 v[28:29], v[28:29], v[14:15], v[32:33] op_sel:[0,0,1] op_sel_hi:[1,0,0]
	v_mov_b32_e32 v43, v29
	v_pk_mul_f32 v[28:29], v[30:31], v[18:19] op_sel:[0,1]
	s_delay_alu instid0(VALU_DEP_1) | instskip(SKIP_1) | instid1(VALU_DEP_1)
	v_pk_fma_f32 v[32:33], v[30:31], v[14:15], v[28:29] op_sel:[0,0,1] op_sel_hi:[1,1,0] neg_lo:[0,0,1] neg_hi:[0,0,1]
	v_pk_fma_f32 v[28:29], v[30:31], v[14:15], v[28:29] op_sel:[0,0,1] op_sel_hi:[1,0,0]
	v_mov_b32_e32 v33, v29
	ds_load_2addr_b64 v[28:31], v216 offset0:42 offset1:43
	v_pk_add_f32 v[178:179], v[178:179], v[42:43] neg_lo:[0,1] neg_hi:[0,1]
	v_pk_add_f32 v[174:175], v[174:175], v[32:33] neg_lo:[0,1] neg_hi:[0,1]
	s_wait_dscnt 0x0
	v_dual_mul_f32 v32, v29, v19 :: v_dual_mul_f32 v42, v29, v14
	s_delay_alu instid0(VALU_DEP_1) | instskip(NEXT) | instid1(VALU_DEP_2)
	v_pk_fma_f32 v[32:33], v[28:29], v[62:63], v[32:33] op_sel_hi:[1,1,0] neg_lo:[0,0,1] neg_hi:[0,0,1]
	v_pk_fma_f32 v[28:29], v[28:29], v[62:63], v[42:43] op_sel:[1,0,0] op_sel_hi:[0,1,0]
	s_delay_alu instid0(VALU_DEP_1) | instskip(SKIP_1) | instid1(VALU_DEP_2)
	v_mov_b32_e32 v33, v29
	v_pk_mul_f32 v[28:29], v[30:31], v[18:19] op_sel:[0,1]
	v_pk_add_f32 v[176:177], v[176:177], v[32:33] neg_lo:[0,1] neg_hi:[0,1]
	s_delay_alu instid0(VALU_DEP_2) | instskip(SKIP_1) | instid1(VALU_DEP_1)
	v_pk_fma_f32 v[32:33], v[30:31], v[14:15], v[28:29] op_sel:[0,0,1] op_sel_hi:[1,1,0] neg_lo:[0,0,1] neg_hi:[0,0,1]
	v_pk_fma_f32 v[28:29], v[30:31], v[14:15], v[28:29] op_sel:[0,0,1] op_sel_hi:[1,0,0]
	v_mov_b32_e32 v33, v29
	ds_load_2addr_b64 v[28:31], v216 offset0:44 offset1:45
	v_pk_add_f32 v[172:173], v[172:173], v[32:33] neg_lo:[0,1] neg_hi:[0,1]
	s_wait_dscnt 0x0
	v_pk_mul_f32 v[32:33], v[28:29], v[18:19] op_sel:[0,1]
	s_delay_alu instid0(VALU_DEP_1) | instskip(SKIP_1) | instid1(VALU_DEP_1)
	v_pk_fma_f32 v[42:43], v[28:29], v[14:15], v[32:33] op_sel:[0,0,1] op_sel_hi:[1,1,0] neg_lo:[0,0,1] neg_hi:[0,0,1]
	v_pk_fma_f32 v[28:29], v[28:29], v[14:15], v[32:33] op_sel:[0,0,1] op_sel_hi:[1,0,0]
	v_mov_b32_e32 v43, v29
	v_pk_mul_f32 v[28:29], v[30:31], v[18:19] op_sel:[0,1]
	s_delay_alu instid0(VALU_DEP_2) | instskip(NEXT) | instid1(VALU_DEP_2)
	v_pk_add_f32 v[194:195], v[194:195], v[42:43] neg_lo:[0,1] neg_hi:[0,1]
	v_pk_fma_f32 v[32:33], v[30:31], v[14:15], v[28:29] op_sel:[0,0,1] op_sel_hi:[1,1,0] neg_lo:[0,0,1] neg_hi:[0,0,1]
	v_pk_fma_f32 v[28:29], v[30:31], v[14:15], v[28:29] op_sel:[0,0,1] op_sel_hi:[1,0,0]
	s_delay_alu instid0(VALU_DEP_1) | instskip(SKIP_4) | instid1(VALU_DEP_1)
	v_mov_b32_e32 v33, v29
	ds_load_2addr_b64 v[28:31], v216 offset0:46 offset1:47
	v_pk_add_f32 v[190:191], v[190:191], v[32:33] neg_lo:[0,1] neg_hi:[0,1]
	s_wait_dscnt 0x0
	v_pk_mul_f32 v[32:33], v[28:29], v[18:19] op_sel:[0,1]
	v_pk_fma_f32 v[42:43], v[28:29], v[14:15], v[32:33] op_sel:[0,0,1] op_sel_hi:[1,1,0] neg_lo:[0,0,1] neg_hi:[0,0,1]
	v_pk_fma_f32 v[28:29], v[28:29], v[14:15], v[32:33] op_sel:[0,0,1] op_sel_hi:[1,0,0]
	v_dual_mul_f32 v32, v31, v19 :: v_dual_mov_b32 v28, v31
	s_delay_alu instid0(VALU_DEP_2) | instskip(NEXT) | instid1(VALU_DEP_2)
	v_dual_mov_b32 v43, v29 :: v_dual_mov_b32 v29, v30
	v_pk_fma_f32 v[32:33], v[30:31], v[62:63], v[32:33] op_sel_hi:[1,1,0] neg_lo:[0,0,1] neg_hi:[0,0,1]
	v_mul_f32_e32 v30, v31, v14
	s_delay_alu instid0(VALU_DEP_3) | instskip(NEXT) | instid1(VALU_DEP_2)
	v_pk_add_f32 v[192:193], v[192:193], v[42:43] neg_lo:[0,1] neg_hi:[0,1]
	v_pk_fma_f32 v[28:29], v[28:29], v[62:63], v[30:31] op_sel_hi:[1,1,0]
	s_delay_alu instid0(VALU_DEP_1) | instskip(SKIP_4) | instid1(VALU_DEP_1)
	v_mov_b32_e32 v33, v29
	ds_load_2addr_b64 v[28:31], v216 offset0:48 offset1:49
	v_pk_add_f32 v[188:189], v[188:189], v[32:33] neg_lo:[0,1] neg_hi:[0,1]
	s_wait_dscnt 0x0
	v_pk_mul_f32 v[32:33], v[28:29], v[18:19] op_sel:[0,1]
	v_pk_fma_f32 v[42:43], v[28:29], v[14:15], v[32:33] op_sel:[0,0,1] op_sel_hi:[1,1,0] neg_lo:[0,0,1] neg_hi:[0,0,1]
	v_pk_fma_f32 v[28:29], v[28:29], v[14:15], v[32:33] op_sel:[0,0,1] op_sel_hi:[1,0,0]
	s_delay_alu instid0(VALU_DEP_1) | instskip(SKIP_1) | instid1(VALU_DEP_1)
	v_mov_b32_e32 v43, v29
	v_pk_mul_f32 v[28:29], v[30:31], v[18:19] op_sel:[0,1]
	v_pk_fma_f32 v[32:33], v[30:31], v[14:15], v[28:29] op_sel:[0,0,1] op_sel_hi:[1,1,0] neg_lo:[0,0,1] neg_hi:[0,0,1]
	v_pk_fma_f32 v[28:29], v[30:31], v[14:15], v[28:29] op_sel:[0,0,1] op_sel_hi:[1,0,0]
	s_delay_alu instid0(VALU_DEP_1)
	v_mov_b32_e32 v33, v29
	ds_load_2addr_b64 v[28:31], v216 offset0:50 offset1:51
	v_pk_add_f32 v[214:215], v[214:215], v[42:43] neg_lo:[0,1] neg_hi:[0,1]
	v_pk_add_f32 v[210:211], v[210:211], v[32:33] neg_lo:[0,1] neg_hi:[0,1]
	s_wait_dscnt 0x0
	v_pk_mul_f32 v[32:33], v[28:29], v[18:19] op_sel:[0,1]
	s_delay_alu instid0(VALU_DEP_1) | instskip(SKIP_1) | instid1(VALU_DEP_1)
	v_pk_fma_f32 v[42:43], v[28:29], v[14:15], v[32:33] op_sel:[0,0,1] op_sel_hi:[1,1,0] neg_lo:[0,0,1] neg_hi:[0,0,1]
	v_pk_fma_f32 v[28:29], v[28:29], v[14:15], v[32:33] op_sel:[0,0,1] op_sel_hi:[1,0,0]
	v_mov_b32_e32 v43, v29
	v_pk_mul_f32 v[28:29], v[30:31], v[18:19] op_sel:[0,1]
	s_delay_alu instid0(VALU_DEP_1) | instskip(SKIP_1) | instid1(VALU_DEP_1)
	v_pk_fma_f32 v[32:33], v[30:31], v[14:15], v[28:29] op_sel:[0,0,1] op_sel_hi:[1,1,0] neg_lo:[0,0,1] neg_hi:[0,0,1]
	v_pk_fma_f32 v[28:29], v[30:31], v[14:15], v[28:29] op_sel:[0,0,1] op_sel_hi:[1,0,0]
	v_mov_b32_e32 v33, v29
	ds_load_2addr_b64 v[28:31], v216 offset0:52 offset1:53
	v_pk_add_f32 v[212:213], v[212:213], v[42:43] neg_lo:[0,1] neg_hi:[0,1]
	v_pk_add_f32 v[208:209], v[208:209], v[32:33] neg_lo:[0,1] neg_hi:[0,1]
	s_wait_dscnt 0x0
	v_dual_mul_f32 v32, v29, v19 :: v_dual_mul_f32 v42, v29, v14
	s_delay_alu instid0(VALU_DEP_1) | instskip(NEXT) | instid1(VALU_DEP_2)
	v_pk_fma_f32 v[32:33], v[28:29], v[62:63], v[32:33] op_sel_hi:[1,1,0] neg_lo:[0,0,1] neg_hi:[0,0,1]
	v_pk_fma_f32 v[28:29], v[28:29], v[62:63], v[42:43] op_sel:[1,0,0] op_sel_hi:[0,1,0]
	s_delay_alu instid0(VALU_DEP_1) | instskip(SKIP_1) | instid1(VALU_DEP_2)
	v_mov_b32_e32 v33, v29
	v_pk_mul_f32 v[28:29], v[30:31], v[18:19] op_sel:[0,1]
	v_pk_add_f32 v[236:237], v[236:237], v[32:33] neg_lo:[0,1] neg_hi:[0,1]
	s_delay_alu instid0(VALU_DEP_2) | instskip(SKIP_1) | instid1(VALU_DEP_1)
	v_pk_fma_f32 v[32:33], v[30:31], v[14:15], v[28:29] op_sel:[0,0,1] op_sel_hi:[1,1,0] neg_lo:[0,0,1] neg_hi:[0,0,1]
	v_pk_fma_f32 v[28:29], v[30:31], v[14:15], v[28:29] op_sel:[0,0,1] op_sel_hi:[1,0,0]
	v_mov_b32_e32 v33, v29
	ds_load_2addr_b64 v[28:31], v216 offset0:54 offset1:55
	v_pk_add_f32 v[230:231], v[230:231], v[32:33] neg_lo:[0,1] neg_hi:[0,1]
	s_wait_dscnt 0x0
	v_pk_mul_f32 v[32:33], v[28:29], v[18:19] op_sel:[0,1]
	s_delay_alu instid0(VALU_DEP_1) | instskip(SKIP_1) | instid1(VALU_DEP_1)
	v_pk_fma_f32 v[42:43], v[28:29], v[14:15], v[32:33] op_sel:[0,0,1] op_sel_hi:[1,1,0] neg_lo:[0,0,1] neg_hi:[0,0,1]
	v_pk_fma_f32 v[28:29], v[28:29], v[14:15], v[32:33] op_sel:[0,0,1] op_sel_hi:[1,0,0]
	v_mov_b32_e32 v43, v29
	v_pk_mul_f32 v[28:29], v[30:31], v[18:19] op_sel:[0,1]
	s_delay_alu instid0(VALU_DEP_2) | instskip(NEXT) | instid1(VALU_DEP_2)
	v_pk_add_f32 v[234:235], v[234:235], v[42:43] neg_lo:[0,1] neg_hi:[0,1]
	v_pk_fma_f32 v[32:33], v[30:31], v[14:15], v[28:29] op_sel:[0,0,1] op_sel_hi:[1,1,0] neg_lo:[0,0,1] neg_hi:[0,0,1]
	v_pk_fma_f32 v[28:29], v[30:31], v[14:15], v[28:29] op_sel:[0,0,1] op_sel_hi:[1,0,0]
	s_delay_alu instid0(VALU_DEP_1) | instskip(SKIP_4) | instid1(VALU_DEP_1)
	v_mov_b32_e32 v33, v29
	ds_load_2addr_b64 v[28:31], v216 offset0:56 offset1:57
	v_pk_add_f32 v[228:229], v[228:229], v[32:33] neg_lo:[0,1] neg_hi:[0,1]
	s_wait_dscnt 0x0
	v_pk_mul_f32 v[32:33], v[28:29], v[18:19] op_sel:[0,1]
	v_pk_fma_f32 v[42:43], v[28:29], v[14:15], v[32:33] op_sel:[0,0,1] op_sel_hi:[1,1,0] neg_lo:[0,0,1] neg_hi:[0,0,1]
	v_pk_fma_f32 v[28:29], v[28:29], v[14:15], v[32:33] op_sel:[0,0,1] op_sel_hi:[1,0,0]
	v_dual_mul_f32 v32, v31, v19 :: v_dual_mov_b32 v28, v31
	s_delay_alu instid0(VALU_DEP_2) | instskip(NEXT) | instid1(VALU_DEP_2)
	v_dual_mov_b32 v43, v29 :: v_dual_mov_b32 v29, v30
	v_pk_fma_f32 v[32:33], v[30:31], v[62:63], v[32:33] op_sel_hi:[1,1,0] neg_lo:[0,0,1] neg_hi:[0,0,1]
	v_mul_f32_e32 v30, v31, v14
	s_delay_alu instid0(VALU_DEP_3) | instskip(NEXT) | instid1(VALU_DEP_2)
	v_pk_add_f32 v[232:233], v[232:233], v[42:43] neg_lo:[0,1] neg_hi:[0,1]
	v_pk_fma_f32 v[28:29], v[28:29], v[62:63], v[30:31] op_sel_hi:[1,1,0]
	s_delay_alu instid0(VALU_DEP_1)
	v_mov_b32_e32 v33, v29
	ds_load_2addr_b64 v[28:31], v216 offset0:58 offset1:59
	v_pk_add_f32 v[226:227], v[226:227], v[32:33] neg_lo:[0,1] neg_hi:[0,1]
	s_wait_dscnt 0x0
	v_pk_mul_f32 v[32:33], v[28:29], v[18:19] op_sel:[0,1]
	v_pk_mul_f32 v[18:19], v[30:31], v[18:19] op_sel:[0,1]
	s_delay_alu instid0(VALU_DEP_2) | instskip(SKIP_1) | instid1(VALU_DEP_1)
	v_pk_fma_f32 v[42:43], v[28:29], v[14:15], v[32:33] op_sel:[0,0,1] op_sel_hi:[1,1,0] neg_lo:[0,0,1] neg_hi:[0,0,1]
	v_pk_fma_f32 v[28:29], v[28:29], v[14:15], v[32:33] op_sel:[0,0,1] op_sel_hi:[1,0,0]
	v_mov_b32_e32 v43, v29
	s_delay_alu instid0(VALU_DEP_4) | instskip(SKIP_1) | instid1(VALU_DEP_1)
	v_pk_fma_f32 v[28:29], v[30:31], v[14:15], v[18:19] op_sel:[0,0,1] op_sel_hi:[1,1,0] neg_lo:[0,0,1] neg_hi:[0,0,1]
	v_pk_fma_f32 v[14:15], v[30:31], v[14:15], v[18:19] op_sel:[0,0,1] op_sel_hi:[1,0,0]
	v_mov_b32_e32 v29, v15
	s_delay_alu instid0(VALU_DEP_4) | instskip(NEXT) | instid1(VALU_DEP_2)
	v_pk_add_f32 v[238:239], v[238:239], v[42:43] neg_lo:[0,1] neg_hi:[0,1]
	v_pk_add_f32 v[240:241], v[240:241], v[28:29] neg_lo:[0,1] neg_hi:[0,1]
.LBB119_127:
	s_or_b32 exec_lo, exec_lo, s1
	s_delay_alu instid0(SALU_CYCLE_1)
	s_mov_b32 s2, exec_lo
	s_wait_dscnt 0x0
	s_barrier_signal -1
	s_barrier_wait -1
	v_cmpx_eq_u32_e32 14, v206
	s_cbranch_execz .LBB119_134
; %bb.128:
	ds_store_b64 v207, v[64:65]
	ds_store_2addr_b64 v216, v[60:61], v[82:83] offset0:15 offset1:16
	ds_store_2addr_b64 v216, v[78:79], v[80:81] offset0:17 offset1:18
	;; [unrolled: 1-line block ×22, first 2 shown]
	ds_store_b64 v216, v[240:241] offset:472
	ds_load_b64 v[14:15], v207
	s_wait_dscnt 0x0
	v_cmp_neq_f32_e32 vcc_lo, 0, v14
	v_cmp_neq_f32_e64 s1, 0, v15
	s_or_b32 s1, vcc_lo, s1
	s_delay_alu instid0(SALU_CYCLE_1)
	s_and_b32 exec_lo, exec_lo, s1
	s_cbranch_execz .LBB119_134
; %bb.129:
	v_cmp_ngt_f32_e64 s1, |v14|, |v15|
                                        ; implicit-def: $vgpr18_vgpr19
	s_and_saveexec_b32 s4, s1
	s_delay_alu instid0(SALU_CYCLE_1)
	s_xor_b32 s1, exec_lo, s4
	s_cbranch_execz .LBB119_131
; %bb.130:
	v_div_scale_f32 v18, null, v15, v15, v14
	v_div_scale_f32 v29, vcc_lo, v14, v15, v14
	s_delay_alu instid0(VALU_DEP_2) | instskip(SKIP_1) | instid1(TRANS32_DEP_1)
	v_rcp_f32_e32 v19, v18
	v_nop
	v_fma_f32 v28, -v18, v19, 1.0
	s_delay_alu instid0(VALU_DEP_1) | instskip(NEXT) | instid1(VALU_DEP_1)
	v_fmac_f32_e32 v19, v28, v19
	v_mul_f32_e32 v28, v29, v19
	s_delay_alu instid0(VALU_DEP_1) | instskip(NEXT) | instid1(VALU_DEP_1)
	v_fma_f32 v30, -v18, v28, v29
	v_fmac_f32_e32 v28, v30, v19
	s_delay_alu instid0(VALU_DEP_1) | instskip(NEXT) | instid1(VALU_DEP_1)
	v_fma_f32 v18, -v18, v28, v29
	v_div_fmas_f32 v18, v18, v19, v28
	s_delay_alu instid0(VALU_DEP_1) | instskip(NEXT) | instid1(VALU_DEP_1)
	v_div_fixup_f32 v18, v18, v15, v14
	v_fmac_f32_e32 v15, v14, v18
	s_delay_alu instid0(VALU_DEP_1) | instskip(SKIP_1) | instid1(VALU_DEP_2)
	v_div_scale_f32 v14, null, v15, v15, 1.0
	v_div_scale_f32 v29, vcc_lo, 1.0, v15, 1.0
	v_rcp_f32_e32 v19, v14
	v_nop
	s_delay_alu instid0(TRANS32_DEP_1) | instskip(NEXT) | instid1(VALU_DEP_1)
	v_fma_f32 v28, -v14, v19, 1.0
	v_fmac_f32_e32 v19, v28, v19
	s_delay_alu instid0(VALU_DEP_1) | instskip(NEXT) | instid1(VALU_DEP_1)
	v_mul_f32_e32 v28, v29, v19
	v_fma_f32 v30, -v14, v28, v29
	s_delay_alu instid0(VALU_DEP_1) | instskip(NEXT) | instid1(VALU_DEP_1)
	v_fmac_f32_e32 v28, v30, v19
	v_fma_f32 v14, -v14, v28, v29
	s_delay_alu instid0(VALU_DEP_1) | instskip(NEXT) | instid1(VALU_DEP_1)
	v_div_fmas_f32 v14, v14, v19, v28
	v_div_fixup_f32 v14, v14, v15, 1.0
	s_delay_alu instid0(VALU_DEP_1)
	v_mul_f32_e32 v18, v18, v14
	v_xor_b32_e32 v19, 0x80000000, v14
                                        ; implicit-def: $vgpr14_vgpr15
.LBB119_131:
	s_and_not1_saveexec_b32 s1, s1
	s_cbranch_execz .LBB119_133
; %bb.132:
	v_div_scale_f32 v18, null, v14, v14, v15
	v_div_scale_f32 v29, vcc_lo, v15, v14, v15
	s_delay_alu instid0(VALU_DEP_2) | instskip(SKIP_1) | instid1(TRANS32_DEP_1)
	v_rcp_f32_e32 v19, v18
	v_nop
	v_fma_f32 v28, -v18, v19, 1.0
	s_delay_alu instid0(VALU_DEP_1) | instskip(NEXT) | instid1(VALU_DEP_1)
	v_fmac_f32_e32 v19, v28, v19
	v_mul_f32_e32 v28, v29, v19
	s_delay_alu instid0(VALU_DEP_1) | instskip(NEXT) | instid1(VALU_DEP_1)
	v_fma_f32 v30, -v18, v28, v29
	v_fmac_f32_e32 v28, v30, v19
	s_delay_alu instid0(VALU_DEP_1) | instskip(NEXT) | instid1(VALU_DEP_1)
	v_fma_f32 v18, -v18, v28, v29
	v_div_fmas_f32 v18, v18, v19, v28
	s_delay_alu instid0(VALU_DEP_1) | instskip(NEXT) | instid1(VALU_DEP_1)
	v_div_fixup_f32 v19, v18, v14, v15
	v_fmac_f32_e32 v14, v15, v19
	s_delay_alu instid0(VALU_DEP_1) | instskip(NEXT) | instid1(VALU_DEP_1)
	v_div_scale_f32 v15, null, v14, v14, 1.0
	v_rcp_f32_e32 v18, v15
	v_nop
	s_delay_alu instid0(TRANS32_DEP_1) | instskip(NEXT) | instid1(VALU_DEP_1)
	v_fma_f32 v28, -v15, v18, 1.0
	v_fmac_f32_e32 v18, v28, v18
	v_div_scale_f32 v28, vcc_lo, 1.0, v14, 1.0
	s_delay_alu instid0(VALU_DEP_1) | instskip(NEXT) | instid1(VALU_DEP_1)
	v_mul_f32_e32 v29, v28, v18
	v_fma_f32 v30, -v15, v29, v28
	s_delay_alu instid0(VALU_DEP_1) | instskip(NEXT) | instid1(VALU_DEP_1)
	v_fmac_f32_e32 v29, v30, v18
	v_fma_f32 v15, -v15, v29, v28
	s_delay_alu instid0(VALU_DEP_1) | instskip(NEXT) | instid1(VALU_DEP_1)
	v_div_fmas_f32 v15, v15, v18, v29
	v_div_fixup_f32 v18, v15, v14, 1.0
	s_delay_alu instid0(VALU_DEP_1)
	v_mul_f32_e64 v19, v19, -v18
.LBB119_133:
	s_or_b32 exec_lo, exec_lo, s1
	ds_store_b64 v207, v[18:19]
.LBB119_134:
	s_or_b32 exec_lo, exec_lo, s2
	s_wait_dscnt 0x0
	s_barrier_signal -1
	s_barrier_wait -1
	ds_load_b64 v[14:15], v207
	s_mov_b32 s1, exec_lo
	v_cmpx_lt_u32_e32 14, v206
	s_cbranch_execz .LBB119_136
; %bb.135:
	ds_load_2addr_b64 v[30:33], v216 offset0:15 offset1:16
	s_wait_dscnt 0x1
	v_pk_mul_f32 v[28:29], v[14:15], v[64:65] op_sel:[1,1] op_sel_hi:[0,1]
	s_delay_alu instid0(VALU_DEP_1) | instskip(SKIP_1) | instid1(VALU_DEP_1)
	v_pk_fma_f32 v[18:19], v[14:15], v[64:65], v[28:29] op_sel_hi:[1,0,1] neg_lo:[0,0,1] neg_hi:[0,0,1]
	v_pk_fma_f32 v[28:29], v[14:15], v[64:65], v[28:29] op_sel_hi:[1,0,1]
	v_dual_mov_b32 v64, v18 :: v_dual_mov_b32 v65, v29
	s_wait_dscnt 0x0
	s_delay_alu instid0(VALU_DEP_2) | instskip(NEXT) | instid1(VALU_DEP_1)
	v_pk_mul_f32 v[42:43], v[30:31], v[28:29] op_sel:[0,1]
	v_pk_fma_f32 v[48:49], v[30:31], v[18:19], v[42:43] op_sel:[0,0,1] op_sel_hi:[1,1,0] neg_lo:[0,0,1] neg_hi:[0,0,1]
	v_pk_fma_f32 v[30:31], v[30:31], v[18:19], v[42:43] op_sel:[0,0,1] op_sel_hi:[1,0,0]
	s_delay_alu instid0(VALU_DEP_1) | instskip(SKIP_1) | instid1(VALU_DEP_1)
	v_mov_b32_e32 v49, v31
	v_pk_mul_f32 v[30:31], v[32:33], v[28:29] op_sel:[0,1]
	v_pk_fma_f32 v[42:43], v[32:33], v[18:19], v[30:31] op_sel:[0,0,1] op_sel_hi:[1,1,0] neg_lo:[0,0,1] neg_hi:[0,0,1]
	v_pk_fma_f32 v[30:31], v[32:33], v[18:19], v[30:31] op_sel:[0,0,1] op_sel_hi:[1,0,0]
	s_delay_alu instid0(VALU_DEP_1)
	v_mov_b32_e32 v43, v31
	ds_load_2addr_b64 v[30:33], v216 offset0:17 offset1:18
	v_pk_add_f32 v[60:61], v[60:61], v[48:49] neg_lo:[0,1] neg_hi:[0,1]
	v_pk_add_f32 v[82:83], v[82:83], v[42:43] neg_lo:[0,1] neg_hi:[0,1]
	s_wait_dscnt 0x0
	v_pk_mul_f32 v[42:43], v[30:31], v[28:29] op_sel:[0,1]
	s_delay_alu instid0(VALU_DEP_1) | instskip(SKIP_2) | instid1(VALU_DEP_2)
	v_pk_fma_f32 v[48:49], v[30:31], v[18:19], v[42:43] op_sel:[0,0,1] op_sel_hi:[1,1,0] neg_lo:[0,0,1] neg_hi:[0,0,1]
	v_pk_fma_f32 v[30:31], v[30:31], v[18:19], v[42:43] op_sel:[0,0,1] op_sel_hi:[1,0,0]
	v_dual_mul_f32 v42, v33, v29 :: v_dual_mov_b32 v30, v33
	v_dual_mov_b32 v49, v31 :: v_dual_mov_b32 v31, v32
	s_delay_alu instid0(VALU_DEP_2) | instskip(SKIP_1) | instid1(VALU_DEP_3)
	v_pk_fma_f32 v[42:43], v[32:33], v[64:65], v[42:43] op_sel_hi:[1,1,0] neg_lo:[0,0,1] neg_hi:[0,0,1]
	v_mul_f32_e32 v32, v33, v18
	v_pk_add_f32 v[78:79], v[78:79], v[48:49] neg_lo:[0,1] neg_hi:[0,1]
	s_delay_alu instid0(VALU_DEP_2) | instskip(NEXT) | instid1(VALU_DEP_1)
	v_pk_fma_f32 v[30:31], v[30:31], v[64:65], v[32:33] op_sel_hi:[1,1,0]
	v_mov_b32_e32 v43, v31
	ds_load_2addr_b64 v[30:33], v216 offset0:19 offset1:20
	v_pk_add_f32 v[80:81], v[80:81], v[42:43] neg_lo:[0,1] neg_hi:[0,1]
	s_wait_dscnt 0x0
	v_pk_mul_f32 v[42:43], v[30:31], v[28:29] op_sel:[0,1]
	s_delay_alu instid0(VALU_DEP_1) | instskip(SKIP_1) | instid1(VALU_DEP_1)
	v_pk_fma_f32 v[48:49], v[30:31], v[18:19], v[42:43] op_sel:[0,0,1] op_sel_hi:[1,1,0] neg_lo:[0,0,1] neg_hi:[0,0,1]
	v_pk_fma_f32 v[30:31], v[30:31], v[18:19], v[42:43] op_sel:[0,0,1] op_sel_hi:[1,0,0]
	v_mov_b32_e32 v49, v31
	v_pk_mul_f32 v[30:31], v[32:33], v[28:29] op_sel:[0,1]
	s_delay_alu instid0(VALU_DEP_1) | instskip(SKIP_1) | instid1(VALU_DEP_1)
	v_pk_fma_f32 v[42:43], v[32:33], v[18:19], v[30:31] op_sel:[0,0,1] op_sel_hi:[1,1,0] neg_lo:[0,0,1] neg_hi:[0,0,1]
	v_pk_fma_f32 v[30:31], v[32:33], v[18:19], v[30:31] op_sel:[0,0,1] op_sel_hi:[1,0,0]
	v_mov_b32_e32 v43, v31
	ds_load_2addr_b64 v[30:33], v216 offset0:21 offset1:22
	v_pk_add_f32 v[76:77], v[76:77], v[48:49] neg_lo:[0,1] neg_hi:[0,1]
	v_pk_add_f32 v[98:99], v[98:99], v[42:43] neg_lo:[0,1] neg_hi:[0,1]
	s_wait_dscnt 0x0
	v_pk_mul_f32 v[42:43], v[30:31], v[28:29] op_sel:[0,1]
	s_delay_alu instid0(VALU_DEP_1) | instskip(SKIP_1) | instid1(VALU_DEP_1)
	v_pk_fma_f32 v[48:49], v[30:31], v[18:19], v[42:43] op_sel:[0,0,1] op_sel_hi:[1,1,0] neg_lo:[0,0,1] neg_hi:[0,0,1]
	v_pk_fma_f32 v[30:31], v[30:31], v[18:19], v[42:43] op_sel:[0,0,1] op_sel_hi:[1,0,0]
	v_mov_b32_e32 v49, v31
	v_pk_mul_f32 v[30:31], v[32:33], v[28:29] op_sel:[0,1]
	s_delay_alu instid0(VALU_DEP_1) | instskip(SKIP_1) | instid1(VALU_DEP_1)
	v_pk_fma_f32 v[42:43], v[32:33], v[18:19], v[30:31] op_sel:[0,0,1] op_sel_hi:[1,1,0] neg_lo:[0,0,1] neg_hi:[0,0,1]
	v_pk_fma_f32 v[30:31], v[32:33], v[18:19], v[30:31] op_sel:[0,0,1] op_sel_hi:[1,0,0]
	v_mov_b32_e32 v43, v31
	ds_load_2addr_b64 v[30:33], v216 offset0:23 offset1:24
	v_pk_add_f32 v[94:95], v[94:95], v[48:49] neg_lo:[0,1] neg_hi:[0,1]
	v_pk_add_f32 v[96:97], v[96:97], v[42:43] neg_lo:[0,1] neg_hi:[0,1]
	s_wait_dscnt 0x0
	v_dual_mul_f32 v42, v31, v29 :: v_dual_mul_f32 v48, v31, v18
	s_delay_alu instid0(VALU_DEP_1) | instskip(NEXT) | instid1(VALU_DEP_2)
	v_pk_fma_f32 v[42:43], v[30:31], v[64:65], v[42:43] op_sel_hi:[1,1,0] neg_lo:[0,0,1] neg_hi:[0,0,1]
	v_pk_fma_f32 v[30:31], v[30:31], v[64:65], v[48:49] op_sel:[1,0,0] op_sel_hi:[0,1,0]
	s_delay_alu instid0(VALU_DEP_1) | instskip(SKIP_1) | instid1(VALU_DEP_2)
	v_mov_b32_e32 v43, v31
	v_pk_mul_f32 v[30:31], v[32:33], v[28:29] op_sel:[0,1]
	v_pk_add_f32 v[92:93], v[92:93], v[42:43] neg_lo:[0,1] neg_hi:[0,1]
	s_delay_alu instid0(VALU_DEP_2) | instskip(SKIP_1) | instid1(VALU_DEP_1)
	v_pk_fma_f32 v[42:43], v[32:33], v[18:19], v[30:31] op_sel:[0,0,1] op_sel_hi:[1,1,0] neg_lo:[0,0,1] neg_hi:[0,0,1]
	v_pk_fma_f32 v[30:31], v[32:33], v[18:19], v[30:31] op_sel:[0,0,1] op_sel_hi:[1,0,0]
	v_mov_b32_e32 v43, v31
	ds_load_2addr_b64 v[30:33], v216 offset0:25 offset1:26
	v_pk_add_f32 v[114:115], v[114:115], v[42:43] neg_lo:[0,1] neg_hi:[0,1]
	s_wait_dscnt 0x0
	v_pk_mul_f32 v[42:43], v[30:31], v[28:29] op_sel:[0,1]
	s_delay_alu instid0(VALU_DEP_1) | instskip(SKIP_1) | instid1(VALU_DEP_1)
	v_pk_fma_f32 v[48:49], v[30:31], v[18:19], v[42:43] op_sel:[0,0,1] op_sel_hi:[1,1,0] neg_lo:[0,0,1] neg_hi:[0,0,1]
	v_pk_fma_f32 v[30:31], v[30:31], v[18:19], v[42:43] op_sel:[0,0,1] op_sel_hi:[1,0,0]
	v_mov_b32_e32 v49, v31
	v_pk_mul_f32 v[30:31], v[32:33], v[28:29] op_sel:[0,1]
	s_delay_alu instid0(VALU_DEP_2) | instskip(NEXT) | instid1(VALU_DEP_2)
	v_pk_add_f32 v[110:111], v[110:111], v[48:49] neg_lo:[0,1] neg_hi:[0,1]
	v_pk_fma_f32 v[42:43], v[32:33], v[18:19], v[30:31] op_sel:[0,0,1] op_sel_hi:[1,1,0] neg_lo:[0,0,1] neg_hi:[0,0,1]
	v_pk_fma_f32 v[30:31], v[32:33], v[18:19], v[30:31] op_sel:[0,0,1] op_sel_hi:[1,0,0]
	s_delay_alu instid0(VALU_DEP_1) | instskip(SKIP_4) | instid1(VALU_DEP_1)
	v_mov_b32_e32 v43, v31
	ds_load_2addr_b64 v[30:33], v216 offset0:27 offset1:28
	v_pk_add_f32 v[112:113], v[112:113], v[42:43] neg_lo:[0,1] neg_hi:[0,1]
	s_wait_dscnt 0x0
	v_pk_mul_f32 v[42:43], v[30:31], v[28:29] op_sel:[0,1]
	v_pk_fma_f32 v[48:49], v[30:31], v[18:19], v[42:43] op_sel:[0,0,1] op_sel_hi:[1,1,0] neg_lo:[0,0,1] neg_hi:[0,0,1]
	v_pk_fma_f32 v[30:31], v[30:31], v[18:19], v[42:43] op_sel:[0,0,1] op_sel_hi:[1,0,0]
	v_dual_mul_f32 v42, v33, v29 :: v_dual_mov_b32 v30, v33
	s_delay_alu instid0(VALU_DEP_2) | instskip(NEXT) | instid1(VALU_DEP_2)
	v_dual_mov_b32 v49, v31 :: v_dual_mov_b32 v31, v32
	v_pk_fma_f32 v[42:43], v[32:33], v[64:65], v[42:43] op_sel_hi:[1,1,0] neg_lo:[0,0,1] neg_hi:[0,0,1]
	v_mul_f32_e32 v32, v33, v18
	s_delay_alu instid0(VALU_DEP_3) | instskip(NEXT) | instid1(VALU_DEP_2)
	v_pk_add_f32 v[108:109], v[108:109], v[48:49] neg_lo:[0,1] neg_hi:[0,1]
	v_pk_fma_f32 v[30:31], v[30:31], v[64:65], v[32:33] op_sel_hi:[1,1,0]
	s_delay_alu instid0(VALU_DEP_1) | instskip(SKIP_4) | instid1(VALU_DEP_1)
	v_mov_b32_e32 v43, v31
	ds_load_2addr_b64 v[30:33], v216 offset0:29 offset1:30
	v_pk_add_f32 v[130:131], v[130:131], v[42:43] neg_lo:[0,1] neg_hi:[0,1]
	s_wait_dscnt 0x0
	v_pk_mul_f32 v[42:43], v[30:31], v[28:29] op_sel:[0,1]
	v_pk_fma_f32 v[48:49], v[30:31], v[18:19], v[42:43] op_sel:[0,0,1] op_sel_hi:[1,1,0] neg_lo:[0,0,1] neg_hi:[0,0,1]
	v_pk_fma_f32 v[30:31], v[30:31], v[18:19], v[42:43] op_sel:[0,0,1] op_sel_hi:[1,0,0]
	s_delay_alu instid0(VALU_DEP_1) | instskip(SKIP_1) | instid1(VALU_DEP_1)
	v_mov_b32_e32 v49, v31
	v_pk_mul_f32 v[30:31], v[32:33], v[28:29] op_sel:[0,1]
	v_pk_fma_f32 v[42:43], v[32:33], v[18:19], v[30:31] op_sel:[0,0,1] op_sel_hi:[1,1,0] neg_lo:[0,0,1] neg_hi:[0,0,1]
	v_pk_fma_f32 v[30:31], v[32:33], v[18:19], v[30:31] op_sel:[0,0,1] op_sel_hi:[1,0,0]
	s_delay_alu instid0(VALU_DEP_1)
	v_mov_b32_e32 v43, v31
	ds_load_2addr_b64 v[30:33], v216 offset0:31 offset1:32
	v_pk_add_f32 v[126:127], v[126:127], v[48:49] neg_lo:[0,1] neg_hi:[0,1]
	v_pk_add_f32 v[128:129], v[128:129], v[42:43] neg_lo:[0,1] neg_hi:[0,1]
	s_wait_dscnt 0x0
	v_pk_mul_f32 v[42:43], v[30:31], v[28:29] op_sel:[0,1]
	s_delay_alu instid0(VALU_DEP_1) | instskip(SKIP_1) | instid1(VALU_DEP_1)
	v_pk_fma_f32 v[48:49], v[30:31], v[18:19], v[42:43] op_sel:[0,0,1] op_sel_hi:[1,1,0] neg_lo:[0,0,1] neg_hi:[0,0,1]
	v_pk_fma_f32 v[30:31], v[30:31], v[18:19], v[42:43] op_sel:[0,0,1] op_sel_hi:[1,0,0]
	v_mov_b32_e32 v49, v31
	v_pk_mul_f32 v[30:31], v[32:33], v[28:29] op_sel:[0,1]
	s_delay_alu instid0(VALU_DEP_1) | instskip(SKIP_1) | instid1(VALU_DEP_1)
	v_pk_fma_f32 v[42:43], v[32:33], v[18:19], v[30:31] op_sel:[0,0,1] op_sel_hi:[1,1,0] neg_lo:[0,0,1] neg_hi:[0,0,1]
	v_pk_fma_f32 v[30:31], v[32:33], v[18:19], v[30:31] op_sel:[0,0,1] op_sel_hi:[1,0,0]
	v_mov_b32_e32 v43, v31
	ds_load_2addr_b64 v[30:33], v216 offset0:33 offset1:34
	v_pk_add_f32 v[124:125], v[124:125], v[48:49] neg_lo:[0,1] neg_hi:[0,1]
	v_pk_add_f32 v[146:147], v[146:147], v[42:43] neg_lo:[0,1] neg_hi:[0,1]
	s_wait_dscnt 0x0
	v_dual_mul_f32 v42, v31, v29 :: v_dual_mul_f32 v48, v31, v18
	s_delay_alu instid0(VALU_DEP_1) | instskip(NEXT) | instid1(VALU_DEP_2)
	v_pk_fma_f32 v[42:43], v[30:31], v[64:65], v[42:43] op_sel_hi:[1,1,0] neg_lo:[0,0,1] neg_hi:[0,0,1]
	v_pk_fma_f32 v[30:31], v[30:31], v[64:65], v[48:49] op_sel:[1,0,0] op_sel_hi:[0,1,0]
	s_delay_alu instid0(VALU_DEP_1) | instskip(SKIP_1) | instid1(VALU_DEP_2)
	v_mov_b32_e32 v43, v31
	v_pk_mul_f32 v[30:31], v[32:33], v[28:29] op_sel:[0,1]
	v_pk_add_f32 v[142:143], v[142:143], v[42:43] neg_lo:[0,1] neg_hi:[0,1]
	s_delay_alu instid0(VALU_DEP_2) | instskip(SKIP_1) | instid1(VALU_DEP_1)
	v_pk_fma_f32 v[42:43], v[32:33], v[18:19], v[30:31] op_sel:[0,0,1] op_sel_hi:[1,1,0] neg_lo:[0,0,1] neg_hi:[0,0,1]
	v_pk_fma_f32 v[30:31], v[32:33], v[18:19], v[30:31] op_sel:[0,0,1] op_sel_hi:[1,0,0]
	v_mov_b32_e32 v43, v31
	ds_load_2addr_b64 v[30:33], v216 offset0:35 offset1:36
	v_pk_add_f32 v[144:145], v[144:145], v[42:43] neg_lo:[0,1] neg_hi:[0,1]
	s_wait_dscnt 0x0
	v_pk_mul_f32 v[42:43], v[30:31], v[28:29] op_sel:[0,1]
	s_delay_alu instid0(VALU_DEP_1) | instskip(SKIP_1) | instid1(VALU_DEP_1)
	v_pk_fma_f32 v[48:49], v[30:31], v[18:19], v[42:43] op_sel:[0,0,1] op_sel_hi:[1,1,0] neg_lo:[0,0,1] neg_hi:[0,0,1]
	v_pk_fma_f32 v[30:31], v[30:31], v[18:19], v[42:43] op_sel:[0,0,1] op_sel_hi:[1,0,0]
	v_mov_b32_e32 v49, v31
	v_pk_mul_f32 v[30:31], v[32:33], v[28:29] op_sel:[0,1]
	s_delay_alu instid0(VALU_DEP_2) | instskip(NEXT) | instid1(VALU_DEP_2)
	v_pk_add_f32 v[140:141], v[140:141], v[48:49] neg_lo:[0,1] neg_hi:[0,1]
	v_pk_fma_f32 v[42:43], v[32:33], v[18:19], v[30:31] op_sel:[0,0,1] op_sel_hi:[1,1,0] neg_lo:[0,0,1] neg_hi:[0,0,1]
	v_pk_fma_f32 v[30:31], v[32:33], v[18:19], v[30:31] op_sel:[0,0,1] op_sel_hi:[1,0,0]
	s_delay_alu instid0(VALU_DEP_1) | instskip(SKIP_4) | instid1(VALU_DEP_1)
	v_mov_b32_e32 v43, v31
	ds_load_2addr_b64 v[30:33], v216 offset0:37 offset1:38
	v_pk_add_f32 v[162:163], v[162:163], v[42:43] neg_lo:[0,1] neg_hi:[0,1]
	s_wait_dscnt 0x0
	v_pk_mul_f32 v[42:43], v[30:31], v[28:29] op_sel:[0,1]
	v_pk_fma_f32 v[48:49], v[30:31], v[18:19], v[42:43] op_sel:[0,0,1] op_sel_hi:[1,1,0] neg_lo:[0,0,1] neg_hi:[0,0,1]
	v_pk_fma_f32 v[30:31], v[30:31], v[18:19], v[42:43] op_sel:[0,0,1] op_sel_hi:[1,0,0]
	v_dual_mul_f32 v42, v33, v29 :: v_dual_mov_b32 v30, v33
	s_delay_alu instid0(VALU_DEP_2) | instskip(NEXT) | instid1(VALU_DEP_2)
	v_dual_mov_b32 v49, v31 :: v_dual_mov_b32 v31, v32
	v_pk_fma_f32 v[42:43], v[32:33], v[64:65], v[42:43] op_sel_hi:[1,1,0] neg_lo:[0,0,1] neg_hi:[0,0,1]
	v_mul_f32_e32 v32, v33, v18
	s_delay_alu instid0(VALU_DEP_3) | instskip(NEXT) | instid1(VALU_DEP_2)
	v_pk_add_f32 v[158:159], v[158:159], v[48:49] neg_lo:[0,1] neg_hi:[0,1]
	v_pk_fma_f32 v[30:31], v[30:31], v[64:65], v[32:33] op_sel_hi:[1,1,0]
	s_delay_alu instid0(VALU_DEP_1) | instskip(SKIP_4) | instid1(VALU_DEP_1)
	v_mov_b32_e32 v43, v31
	ds_load_2addr_b64 v[30:33], v216 offset0:39 offset1:40
	v_pk_add_f32 v[160:161], v[160:161], v[42:43] neg_lo:[0,1] neg_hi:[0,1]
	s_wait_dscnt 0x0
	v_pk_mul_f32 v[42:43], v[30:31], v[28:29] op_sel:[0,1]
	v_pk_fma_f32 v[48:49], v[30:31], v[18:19], v[42:43] op_sel:[0,0,1] op_sel_hi:[1,1,0] neg_lo:[0,0,1] neg_hi:[0,0,1]
	v_pk_fma_f32 v[30:31], v[30:31], v[18:19], v[42:43] op_sel:[0,0,1] op_sel_hi:[1,0,0]
	s_delay_alu instid0(VALU_DEP_1) | instskip(SKIP_1) | instid1(VALU_DEP_1)
	v_mov_b32_e32 v49, v31
	v_pk_mul_f32 v[30:31], v[32:33], v[28:29] op_sel:[0,1]
	v_pk_fma_f32 v[42:43], v[32:33], v[18:19], v[30:31] op_sel:[0,0,1] op_sel_hi:[1,1,0] neg_lo:[0,0,1] neg_hi:[0,0,1]
	v_pk_fma_f32 v[30:31], v[32:33], v[18:19], v[30:31] op_sel:[0,0,1] op_sel_hi:[1,0,0]
	s_delay_alu instid0(VALU_DEP_1)
	v_mov_b32_e32 v43, v31
	ds_load_2addr_b64 v[30:33], v216 offset0:41 offset1:42
	v_pk_add_f32 v[156:157], v[156:157], v[48:49] neg_lo:[0,1] neg_hi:[0,1]
	v_pk_add_f32 v[178:179], v[178:179], v[42:43] neg_lo:[0,1] neg_hi:[0,1]
	s_wait_dscnt 0x0
	v_pk_mul_f32 v[42:43], v[30:31], v[28:29] op_sel:[0,1]
	s_delay_alu instid0(VALU_DEP_1) | instskip(SKIP_1) | instid1(VALU_DEP_1)
	v_pk_fma_f32 v[48:49], v[30:31], v[18:19], v[42:43] op_sel:[0,0,1] op_sel_hi:[1,1,0] neg_lo:[0,0,1] neg_hi:[0,0,1]
	v_pk_fma_f32 v[30:31], v[30:31], v[18:19], v[42:43] op_sel:[0,0,1] op_sel_hi:[1,0,0]
	v_mov_b32_e32 v49, v31
	v_pk_mul_f32 v[30:31], v[32:33], v[28:29] op_sel:[0,1]
	s_delay_alu instid0(VALU_DEP_1) | instskip(SKIP_1) | instid1(VALU_DEP_1)
	v_pk_fma_f32 v[42:43], v[32:33], v[18:19], v[30:31] op_sel:[0,0,1] op_sel_hi:[1,1,0] neg_lo:[0,0,1] neg_hi:[0,0,1]
	v_pk_fma_f32 v[30:31], v[32:33], v[18:19], v[30:31] op_sel:[0,0,1] op_sel_hi:[1,0,0]
	v_mov_b32_e32 v43, v31
	ds_load_2addr_b64 v[30:33], v216 offset0:43 offset1:44
	v_pk_add_f32 v[174:175], v[174:175], v[48:49] neg_lo:[0,1] neg_hi:[0,1]
	v_pk_add_f32 v[176:177], v[176:177], v[42:43] neg_lo:[0,1] neg_hi:[0,1]
	s_wait_dscnt 0x0
	v_dual_mul_f32 v42, v31, v29 :: v_dual_mul_f32 v48, v31, v18
	s_delay_alu instid0(VALU_DEP_1) | instskip(NEXT) | instid1(VALU_DEP_2)
	v_pk_fma_f32 v[42:43], v[30:31], v[64:65], v[42:43] op_sel_hi:[1,1,0] neg_lo:[0,0,1] neg_hi:[0,0,1]
	v_pk_fma_f32 v[30:31], v[30:31], v[64:65], v[48:49] op_sel:[1,0,0] op_sel_hi:[0,1,0]
	s_delay_alu instid0(VALU_DEP_1) | instskip(SKIP_1) | instid1(VALU_DEP_2)
	v_mov_b32_e32 v43, v31
	v_pk_mul_f32 v[30:31], v[32:33], v[28:29] op_sel:[0,1]
	v_pk_add_f32 v[172:173], v[172:173], v[42:43] neg_lo:[0,1] neg_hi:[0,1]
	s_delay_alu instid0(VALU_DEP_2) | instskip(SKIP_1) | instid1(VALU_DEP_1)
	v_pk_fma_f32 v[42:43], v[32:33], v[18:19], v[30:31] op_sel:[0,0,1] op_sel_hi:[1,1,0] neg_lo:[0,0,1] neg_hi:[0,0,1]
	v_pk_fma_f32 v[30:31], v[32:33], v[18:19], v[30:31] op_sel:[0,0,1] op_sel_hi:[1,0,0]
	v_mov_b32_e32 v43, v31
	ds_load_2addr_b64 v[30:33], v216 offset0:45 offset1:46
	v_pk_add_f32 v[194:195], v[194:195], v[42:43] neg_lo:[0,1] neg_hi:[0,1]
	s_wait_dscnt 0x0
	v_pk_mul_f32 v[42:43], v[30:31], v[28:29] op_sel:[0,1]
	s_delay_alu instid0(VALU_DEP_1) | instskip(SKIP_1) | instid1(VALU_DEP_1)
	v_pk_fma_f32 v[48:49], v[30:31], v[18:19], v[42:43] op_sel:[0,0,1] op_sel_hi:[1,1,0] neg_lo:[0,0,1] neg_hi:[0,0,1]
	v_pk_fma_f32 v[30:31], v[30:31], v[18:19], v[42:43] op_sel:[0,0,1] op_sel_hi:[1,0,0]
	v_mov_b32_e32 v49, v31
	v_pk_mul_f32 v[30:31], v[32:33], v[28:29] op_sel:[0,1]
	s_delay_alu instid0(VALU_DEP_2) | instskip(NEXT) | instid1(VALU_DEP_2)
	v_pk_add_f32 v[190:191], v[190:191], v[48:49] neg_lo:[0,1] neg_hi:[0,1]
	v_pk_fma_f32 v[42:43], v[32:33], v[18:19], v[30:31] op_sel:[0,0,1] op_sel_hi:[1,1,0] neg_lo:[0,0,1] neg_hi:[0,0,1]
	v_pk_fma_f32 v[30:31], v[32:33], v[18:19], v[30:31] op_sel:[0,0,1] op_sel_hi:[1,0,0]
	s_delay_alu instid0(VALU_DEP_1) | instskip(SKIP_4) | instid1(VALU_DEP_1)
	v_mov_b32_e32 v43, v31
	ds_load_2addr_b64 v[30:33], v216 offset0:47 offset1:48
	v_pk_add_f32 v[192:193], v[192:193], v[42:43] neg_lo:[0,1] neg_hi:[0,1]
	s_wait_dscnt 0x0
	v_pk_mul_f32 v[42:43], v[30:31], v[28:29] op_sel:[0,1]
	v_pk_fma_f32 v[48:49], v[30:31], v[18:19], v[42:43] op_sel:[0,0,1] op_sel_hi:[1,1,0] neg_lo:[0,0,1] neg_hi:[0,0,1]
	v_pk_fma_f32 v[30:31], v[30:31], v[18:19], v[42:43] op_sel:[0,0,1] op_sel_hi:[1,0,0]
	v_dual_mul_f32 v42, v33, v29 :: v_dual_mov_b32 v30, v33
	s_delay_alu instid0(VALU_DEP_2) | instskip(NEXT) | instid1(VALU_DEP_2)
	v_dual_mov_b32 v49, v31 :: v_dual_mov_b32 v31, v32
	v_pk_fma_f32 v[42:43], v[32:33], v[64:65], v[42:43] op_sel_hi:[1,1,0] neg_lo:[0,0,1] neg_hi:[0,0,1]
	v_mul_f32_e32 v32, v33, v18
	s_delay_alu instid0(VALU_DEP_3) | instskip(NEXT) | instid1(VALU_DEP_2)
	v_pk_add_f32 v[188:189], v[188:189], v[48:49] neg_lo:[0,1] neg_hi:[0,1]
	v_pk_fma_f32 v[30:31], v[30:31], v[64:65], v[32:33] op_sel_hi:[1,1,0]
	s_delay_alu instid0(VALU_DEP_1) | instskip(SKIP_4) | instid1(VALU_DEP_1)
	v_mov_b32_e32 v43, v31
	ds_load_2addr_b64 v[30:33], v216 offset0:49 offset1:50
	v_pk_add_f32 v[214:215], v[214:215], v[42:43] neg_lo:[0,1] neg_hi:[0,1]
	s_wait_dscnt 0x0
	v_pk_mul_f32 v[42:43], v[30:31], v[28:29] op_sel:[0,1]
	v_pk_fma_f32 v[48:49], v[30:31], v[18:19], v[42:43] op_sel:[0,0,1] op_sel_hi:[1,1,0] neg_lo:[0,0,1] neg_hi:[0,0,1]
	v_pk_fma_f32 v[30:31], v[30:31], v[18:19], v[42:43] op_sel:[0,0,1] op_sel_hi:[1,0,0]
	s_delay_alu instid0(VALU_DEP_1) | instskip(SKIP_1) | instid1(VALU_DEP_1)
	v_mov_b32_e32 v49, v31
	v_pk_mul_f32 v[30:31], v[32:33], v[28:29] op_sel:[0,1]
	v_pk_fma_f32 v[42:43], v[32:33], v[18:19], v[30:31] op_sel:[0,0,1] op_sel_hi:[1,1,0] neg_lo:[0,0,1] neg_hi:[0,0,1]
	v_pk_fma_f32 v[30:31], v[32:33], v[18:19], v[30:31] op_sel:[0,0,1] op_sel_hi:[1,0,0]
	s_delay_alu instid0(VALU_DEP_1)
	v_mov_b32_e32 v43, v31
	ds_load_2addr_b64 v[30:33], v216 offset0:51 offset1:52
	v_pk_add_f32 v[210:211], v[210:211], v[48:49] neg_lo:[0,1] neg_hi:[0,1]
	v_pk_add_f32 v[212:213], v[212:213], v[42:43] neg_lo:[0,1] neg_hi:[0,1]
	s_wait_dscnt 0x0
	v_pk_mul_f32 v[42:43], v[30:31], v[28:29] op_sel:[0,1]
	s_delay_alu instid0(VALU_DEP_1) | instskip(SKIP_1) | instid1(VALU_DEP_1)
	v_pk_fma_f32 v[48:49], v[30:31], v[18:19], v[42:43] op_sel:[0,0,1] op_sel_hi:[1,1,0] neg_lo:[0,0,1] neg_hi:[0,0,1]
	v_pk_fma_f32 v[30:31], v[30:31], v[18:19], v[42:43] op_sel:[0,0,1] op_sel_hi:[1,0,0]
	v_mov_b32_e32 v49, v31
	v_pk_mul_f32 v[30:31], v[32:33], v[28:29] op_sel:[0,1]
	s_delay_alu instid0(VALU_DEP_1) | instskip(SKIP_1) | instid1(VALU_DEP_1)
	v_pk_fma_f32 v[42:43], v[32:33], v[18:19], v[30:31] op_sel:[0,0,1] op_sel_hi:[1,1,0] neg_lo:[0,0,1] neg_hi:[0,0,1]
	v_pk_fma_f32 v[30:31], v[32:33], v[18:19], v[30:31] op_sel:[0,0,1] op_sel_hi:[1,0,0]
	v_mov_b32_e32 v43, v31
	ds_load_2addr_b64 v[30:33], v216 offset0:53 offset1:54
	v_pk_add_f32 v[208:209], v[208:209], v[48:49] neg_lo:[0,1] neg_hi:[0,1]
	v_pk_add_f32 v[236:237], v[236:237], v[42:43] neg_lo:[0,1] neg_hi:[0,1]
	s_wait_dscnt 0x0
	v_dual_mul_f32 v42, v31, v29 :: v_dual_mul_f32 v48, v31, v18
	s_delay_alu instid0(VALU_DEP_1) | instskip(NEXT) | instid1(VALU_DEP_2)
	v_pk_fma_f32 v[42:43], v[30:31], v[64:65], v[42:43] op_sel_hi:[1,1,0] neg_lo:[0,0,1] neg_hi:[0,0,1]
	v_pk_fma_f32 v[30:31], v[30:31], v[64:65], v[48:49] op_sel:[1,0,0] op_sel_hi:[0,1,0]
	s_delay_alu instid0(VALU_DEP_1) | instskip(SKIP_1) | instid1(VALU_DEP_2)
	v_mov_b32_e32 v43, v31
	v_pk_mul_f32 v[30:31], v[32:33], v[28:29] op_sel:[0,1]
	v_pk_add_f32 v[230:231], v[230:231], v[42:43] neg_lo:[0,1] neg_hi:[0,1]
	s_delay_alu instid0(VALU_DEP_2) | instskip(SKIP_1) | instid1(VALU_DEP_1)
	v_pk_fma_f32 v[42:43], v[32:33], v[18:19], v[30:31] op_sel:[0,0,1] op_sel_hi:[1,1,0] neg_lo:[0,0,1] neg_hi:[0,0,1]
	v_pk_fma_f32 v[30:31], v[32:33], v[18:19], v[30:31] op_sel:[0,0,1] op_sel_hi:[1,0,0]
	v_mov_b32_e32 v43, v31
	ds_load_2addr_b64 v[30:33], v216 offset0:55 offset1:56
	v_pk_add_f32 v[234:235], v[234:235], v[42:43] neg_lo:[0,1] neg_hi:[0,1]
	s_wait_dscnt 0x0
	v_pk_mul_f32 v[42:43], v[30:31], v[28:29] op_sel:[0,1]
	s_delay_alu instid0(VALU_DEP_1) | instskip(SKIP_1) | instid1(VALU_DEP_1)
	v_pk_fma_f32 v[48:49], v[30:31], v[18:19], v[42:43] op_sel:[0,0,1] op_sel_hi:[1,1,0] neg_lo:[0,0,1] neg_hi:[0,0,1]
	v_pk_fma_f32 v[30:31], v[30:31], v[18:19], v[42:43] op_sel:[0,0,1] op_sel_hi:[1,0,0]
	v_mov_b32_e32 v49, v31
	v_pk_mul_f32 v[30:31], v[32:33], v[28:29] op_sel:[0,1]
	s_delay_alu instid0(VALU_DEP_2) | instskip(NEXT) | instid1(VALU_DEP_2)
	v_pk_add_f32 v[228:229], v[228:229], v[48:49] neg_lo:[0,1] neg_hi:[0,1]
	v_pk_fma_f32 v[42:43], v[32:33], v[18:19], v[30:31] op_sel:[0,0,1] op_sel_hi:[1,1,0] neg_lo:[0,0,1] neg_hi:[0,0,1]
	v_pk_fma_f32 v[30:31], v[32:33], v[18:19], v[30:31] op_sel:[0,0,1] op_sel_hi:[1,0,0]
	s_delay_alu instid0(VALU_DEP_1) | instskip(SKIP_4) | instid1(VALU_DEP_1)
	v_mov_b32_e32 v43, v31
	ds_load_2addr_b64 v[30:33], v216 offset0:57 offset1:58
	v_pk_add_f32 v[232:233], v[232:233], v[42:43] neg_lo:[0,1] neg_hi:[0,1]
	s_wait_dscnt 0x0
	v_pk_mul_f32 v[42:43], v[30:31], v[28:29] op_sel:[0,1]
	v_pk_fma_f32 v[48:49], v[30:31], v[18:19], v[42:43] op_sel:[0,0,1] op_sel_hi:[1,1,0] neg_lo:[0,0,1] neg_hi:[0,0,1]
	v_pk_fma_f32 v[30:31], v[30:31], v[18:19], v[42:43] op_sel:[0,0,1] op_sel_hi:[1,0,0]
	v_dual_mul_f32 v42, v33, v29 :: v_dual_mov_b32 v30, v33
	s_delay_alu instid0(VALU_DEP_2) | instskip(NEXT) | instid1(VALU_DEP_2)
	v_dual_mov_b32 v49, v31 :: v_dual_mov_b32 v31, v32
	v_pk_fma_f32 v[42:43], v[32:33], v[64:65], v[42:43] op_sel_hi:[1,1,0] neg_lo:[0,0,1] neg_hi:[0,0,1]
	v_mul_f32_e32 v32, v33, v18
	s_delay_alu instid0(VALU_DEP_3) | instskip(NEXT) | instid1(VALU_DEP_2)
	v_pk_add_f32 v[226:227], v[226:227], v[48:49] neg_lo:[0,1] neg_hi:[0,1]
	v_pk_fma_f32 v[30:31], v[30:31], v[64:65], v[32:33] op_sel_hi:[1,1,0]
	s_delay_alu instid0(VALU_DEP_1) | instskip(SKIP_4) | instid1(VALU_DEP_1)
	v_mov_b32_e32 v43, v31
	ds_load_b64 v[30:31], v216 offset:472
	v_pk_add_f32 v[238:239], v[238:239], v[42:43] neg_lo:[0,1] neg_hi:[0,1]
	s_wait_dscnt 0x0
	v_pk_mul_f32 v[28:29], v[30:31], v[28:29] op_sel:[0,1]
	v_pk_fma_f32 v[32:33], v[30:31], v[18:19], v[28:29] op_sel:[0,0,1] op_sel_hi:[1,1,0] neg_lo:[0,0,1] neg_hi:[0,0,1]
	v_pk_fma_f32 v[18:19], v[30:31], v[18:19], v[28:29] op_sel:[0,0,1] op_sel_hi:[1,0,0]
	s_delay_alu instid0(VALU_DEP_1) | instskip(NEXT) | instid1(VALU_DEP_1)
	v_mov_b32_e32 v33, v19
	v_pk_add_f32 v[240:241], v[240:241], v[32:33] neg_lo:[0,1] neg_hi:[0,1]
.LBB119_136:
	s_or_b32 exec_lo, exec_lo, s1
	s_delay_alu instid0(SALU_CYCLE_1)
	s_mov_b32 s2, exec_lo
	s_wait_dscnt 0x0
	s_barrier_signal -1
	s_barrier_wait -1
	v_cmpx_eq_u32_e32 15, v206
	s_cbranch_execz .LBB119_143
; %bb.137:
	v_dual_mov_b32 v18, v82 :: v_dual_mov_b32 v19, v83
	v_dual_mov_b32 v28, v78 :: v_dual_mov_b32 v29, v79
	ds_store_b64 v207, v[60:61]
	ds_store_2addr_b64 v216, v[18:19], v[28:29] offset0:16 offset1:17
	v_dual_mov_b32 v18, v80 :: v_dual_mov_b32 v19, v81
	v_dual_mov_b32 v28, v76 :: v_dual_mov_b32 v29, v77
	ds_store_2addr_b64 v216, v[18:19], v[28:29] offset0:18 offset1:19
	v_dual_mov_b32 v18, v98 :: v_dual_mov_b32 v19, v99
	v_dual_mov_b32 v28, v94 :: v_dual_mov_b32 v29, v95
	;; [unrolled: 3-line block ×20, first 2 shown]
	ds_store_2addr_b64 v216, v[18:19], v[28:29] offset0:56 offset1:57
	v_dual_mov_b32 v18, v238 :: v_dual_mov_b32 v19, v239
	ds_store_2addr_b64 v216, v[18:19], v[240:241] offset0:58 offset1:59
	ds_load_b64 v[18:19], v207
	s_wait_dscnt 0x0
	v_cmp_neq_f32_e32 vcc_lo, 0, v18
	v_cmp_neq_f32_e64 s1, 0, v19
	s_or_b32 s1, vcc_lo, s1
	s_delay_alu instid0(SALU_CYCLE_1)
	s_and_b32 exec_lo, exec_lo, s1
	s_cbranch_execz .LBB119_143
; %bb.138:
	v_cmp_ngt_f32_e64 s1, |v18|, |v19|
                                        ; implicit-def: $vgpr28_vgpr29
	s_and_saveexec_b32 s4, s1
	s_delay_alu instid0(SALU_CYCLE_1)
	s_xor_b32 s1, exec_lo, s4
	s_cbranch_execz .LBB119_140
; %bb.139:
	v_div_scale_f32 v28, null, v19, v19, v18
	v_div_scale_f32 v31, vcc_lo, v18, v19, v18
	s_delay_alu instid0(VALU_DEP_2) | instskip(SKIP_1) | instid1(TRANS32_DEP_1)
	v_rcp_f32_e32 v29, v28
	v_nop
	v_fma_f32 v30, -v28, v29, 1.0
	s_delay_alu instid0(VALU_DEP_1) | instskip(NEXT) | instid1(VALU_DEP_1)
	v_fmac_f32_e32 v29, v30, v29
	v_mul_f32_e32 v30, v31, v29
	s_delay_alu instid0(VALU_DEP_1) | instskip(NEXT) | instid1(VALU_DEP_1)
	v_fma_f32 v32, -v28, v30, v31
	v_fmac_f32_e32 v30, v32, v29
	s_delay_alu instid0(VALU_DEP_1) | instskip(NEXT) | instid1(VALU_DEP_1)
	v_fma_f32 v28, -v28, v30, v31
	v_div_fmas_f32 v28, v28, v29, v30
	s_delay_alu instid0(VALU_DEP_1) | instskip(NEXT) | instid1(VALU_DEP_1)
	v_div_fixup_f32 v28, v28, v19, v18
	v_fmac_f32_e32 v19, v18, v28
	s_delay_alu instid0(VALU_DEP_1) | instskip(SKIP_1) | instid1(VALU_DEP_2)
	v_div_scale_f32 v18, null, v19, v19, 1.0
	v_div_scale_f32 v31, vcc_lo, 1.0, v19, 1.0
	v_rcp_f32_e32 v29, v18
	v_nop
	s_delay_alu instid0(TRANS32_DEP_1) | instskip(NEXT) | instid1(VALU_DEP_1)
	v_fma_f32 v30, -v18, v29, 1.0
	v_fmac_f32_e32 v29, v30, v29
	s_delay_alu instid0(VALU_DEP_1) | instskip(NEXT) | instid1(VALU_DEP_1)
	v_mul_f32_e32 v30, v31, v29
	v_fma_f32 v32, -v18, v30, v31
	s_delay_alu instid0(VALU_DEP_1) | instskip(NEXT) | instid1(VALU_DEP_1)
	v_fmac_f32_e32 v30, v32, v29
	v_fma_f32 v18, -v18, v30, v31
	s_delay_alu instid0(VALU_DEP_1) | instskip(NEXT) | instid1(VALU_DEP_1)
	v_div_fmas_f32 v18, v18, v29, v30
	v_div_fixup_f32 v18, v18, v19, 1.0
	s_delay_alu instid0(VALU_DEP_1)
	v_mul_f32_e32 v28, v28, v18
	v_xor_b32_e32 v29, 0x80000000, v18
                                        ; implicit-def: $vgpr18_vgpr19
.LBB119_140:
	s_and_not1_saveexec_b32 s1, s1
	s_cbranch_execz .LBB119_142
; %bb.141:
	v_div_scale_f32 v28, null, v18, v18, v19
	v_div_scale_f32 v31, vcc_lo, v19, v18, v19
	s_delay_alu instid0(VALU_DEP_2) | instskip(SKIP_1) | instid1(TRANS32_DEP_1)
	v_rcp_f32_e32 v29, v28
	v_nop
	v_fma_f32 v30, -v28, v29, 1.0
	s_delay_alu instid0(VALU_DEP_1) | instskip(NEXT) | instid1(VALU_DEP_1)
	v_fmac_f32_e32 v29, v30, v29
	v_mul_f32_e32 v30, v31, v29
	s_delay_alu instid0(VALU_DEP_1) | instskip(NEXT) | instid1(VALU_DEP_1)
	v_fma_f32 v32, -v28, v30, v31
	v_fmac_f32_e32 v30, v32, v29
	s_delay_alu instid0(VALU_DEP_1) | instskip(NEXT) | instid1(VALU_DEP_1)
	v_fma_f32 v28, -v28, v30, v31
	v_div_fmas_f32 v28, v28, v29, v30
	s_delay_alu instid0(VALU_DEP_1) | instskip(NEXT) | instid1(VALU_DEP_1)
	v_div_fixup_f32 v29, v28, v18, v19
	v_fmac_f32_e32 v18, v19, v29
	s_delay_alu instid0(VALU_DEP_1) | instskip(NEXT) | instid1(VALU_DEP_1)
	v_div_scale_f32 v19, null, v18, v18, 1.0
	v_rcp_f32_e32 v28, v19
	v_nop
	s_delay_alu instid0(TRANS32_DEP_1) | instskip(NEXT) | instid1(VALU_DEP_1)
	v_fma_f32 v30, -v19, v28, 1.0
	v_fmac_f32_e32 v28, v30, v28
	v_div_scale_f32 v30, vcc_lo, 1.0, v18, 1.0
	s_delay_alu instid0(VALU_DEP_1) | instskip(NEXT) | instid1(VALU_DEP_1)
	v_mul_f32_e32 v31, v30, v28
	v_fma_f32 v32, -v19, v31, v30
	s_delay_alu instid0(VALU_DEP_1) | instskip(NEXT) | instid1(VALU_DEP_1)
	v_fmac_f32_e32 v31, v32, v28
	v_fma_f32 v19, -v19, v31, v30
	s_delay_alu instid0(VALU_DEP_1) | instskip(NEXT) | instid1(VALU_DEP_1)
	v_div_fmas_f32 v19, v19, v28, v31
	v_div_fixup_f32 v28, v19, v18, 1.0
	s_delay_alu instid0(VALU_DEP_1)
	v_mul_f32_e64 v29, v29, -v28
.LBB119_142:
	s_or_b32 exec_lo, exec_lo, s1
	ds_store_b64 v207, v[28:29]
.LBB119_143:
	s_or_b32 exec_lo, exec_lo, s2
	s_wait_dscnt 0x0
	s_barrier_signal -1
	s_barrier_wait -1
	ds_load_b64 v[18:19], v207
	s_mov_b32 s1, exec_lo
	v_cmpx_lt_u32_e32 15, v206
	s_cbranch_execz .LBB119_145
; %bb.144:
	ds_load_2addr_b64 v[48:51], v216 offset0:16 offset1:17
	s_wait_dscnt 0x1
	v_pk_mul_f32 v[30:31], v[18:19], v[60:61] op_sel:[1,1] op_sel_hi:[0,1]
	s_delay_alu instid0(VALU_DEP_1) | instskip(SKIP_1) | instid1(VALU_DEP_1)
	v_pk_fma_f32 v[28:29], v[18:19], v[60:61], v[30:31] op_sel_hi:[1,0,1] neg_lo:[0,0,1] neg_hi:[0,0,1]
	v_pk_fma_f32 v[30:31], v[18:19], v[60:61], v[30:31] op_sel_hi:[1,0,1]
	v_dual_mov_b32 v60, v28 :: v_dual_mov_b32 v61, v31
	s_wait_dscnt 0x0
	s_delay_alu instid0(VALU_DEP_2) | instskip(NEXT) | instid1(VALU_DEP_1)
	v_pk_mul_f32 v[32:33], v[48:49], v[30:31] op_sel:[0,1]
	v_pk_fma_f32 v[42:43], v[48:49], v[28:29], v[32:33] op_sel:[0,0,1] op_sel_hi:[1,1,0] neg_lo:[0,0,1] neg_hi:[0,0,1]
	v_pk_fma_f32 v[32:33], v[48:49], v[28:29], v[32:33] op_sel:[0,0,1] op_sel_hi:[1,0,0]
	s_delay_alu instid0(VALU_DEP_1) | instskip(SKIP_1) | instid1(VALU_DEP_2)
	v_mov_b32_e32 v43, v33
	v_pk_mul_f32 v[32:33], v[50:51], v[30:31] op_sel:[0,1]
	v_pk_add_f32 v[82:83], v[82:83], v[42:43] neg_lo:[0,1] neg_hi:[0,1]
	s_delay_alu instid0(VALU_DEP_2) | instskip(SKIP_3) | instid1(VALU_DEP_1)
	v_pk_fma_f32 v[42:43], v[50:51], v[28:29], v[32:33] op_sel:[0,0,1] op_sel_hi:[1,1,0] neg_lo:[0,0,1] neg_hi:[0,0,1]
	v_pk_fma_f32 v[32:33], v[50:51], v[28:29], v[32:33] op_sel:[0,0,1] op_sel_hi:[1,0,0]
	ds_load_2addr_b64 v[48:51], v216 offset0:18 offset1:19
	v_mov_b32_e32 v43, v33
	v_pk_add_f32 v[78:79], v[78:79], v[42:43] neg_lo:[0,1] neg_hi:[0,1]
	s_wait_dscnt 0x0
	v_pk_mul_f32 v[32:33], v[48:49], v[30:31] op_sel:[0,1]
	s_delay_alu instid0(VALU_DEP_1) | instskip(SKIP_2) | instid1(VALU_DEP_2)
	v_pk_fma_f32 v[42:43], v[48:49], v[28:29], v[32:33] op_sel:[0,0,1] op_sel_hi:[1,1,0] neg_lo:[0,0,1] neg_hi:[0,0,1]
	v_pk_fma_f32 v[32:33], v[48:49], v[28:29], v[32:33] op_sel:[0,0,1] op_sel_hi:[1,0,0]
	v_dual_mov_b32 v32, v51 :: v_dual_mul_f32 v48, v51, v28
	v_dual_mov_b32 v43, v33 :: v_dual_mov_b32 v33, v50
	s_delay_alu instid0(VALU_DEP_1) | instskip(SKIP_1) | instid1(VALU_DEP_3)
	v_pk_add_f32 v[80:81], v[80:81], v[42:43] neg_lo:[0,1] neg_hi:[0,1]
	v_mul_f32_e32 v42, v51, v31
	v_pk_fma_f32 v[32:33], v[32:33], v[60:61], v[48:49] op_sel_hi:[1,1,0]
	s_delay_alu instid0(VALU_DEP_2) | instskip(SKIP_2) | instid1(VALU_DEP_1)
	v_pk_fma_f32 v[42:43], v[50:51], v[60:61], v[42:43] op_sel_hi:[1,1,0] neg_lo:[0,0,1] neg_hi:[0,0,1]
	ds_load_2addr_b64 v[48:51], v216 offset0:20 offset1:21
	v_mov_b32_e32 v43, v33
	v_pk_add_f32 v[76:77], v[76:77], v[42:43] neg_lo:[0,1] neg_hi:[0,1]
	s_wait_dscnt 0x0
	v_pk_mul_f32 v[32:33], v[48:49], v[30:31] op_sel:[0,1]
	s_delay_alu instid0(VALU_DEP_1) | instskip(SKIP_1) | instid1(VALU_DEP_1)
	v_pk_fma_f32 v[42:43], v[48:49], v[28:29], v[32:33] op_sel:[0,0,1] op_sel_hi:[1,1,0] neg_lo:[0,0,1] neg_hi:[0,0,1]
	v_pk_fma_f32 v[32:33], v[48:49], v[28:29], v[32:33] op_sel:[0,0,1] op_sel_hi:[1,0,0]
	v_mov_b32_e32 v43, v33
	v_pk_mul_f32 v[32:33], v[50:51], v[30:31] op_sel:[0,1]
	s_delay_alu instid0(VALU_DEP_2) | instskip(NEXT) | instid1(VALU_DEP_2)
	v_pk_add_f32 v[98:99], v[98:99], v[42:43] neg_lo:[0,1] neg_hi:[0,1]
	v_pk_fma_f32 v[42:43], v[50:51], v[28:29], v[32:33] op_sel:[0,0,1] op_sel_hi:[1,1,0] neg_lo:[0,0,1] neg_hi:[0,0,1]
	v_pk_fma_f32 v[32:33], v[50:51], v[28:29], v[32:33] op_sel:[0,0,1] op_sel_hi:[1,0,0]
	ds_load_2addr_b64 v[48:51], v216 offset0:22 offset1:23
	v_mov_b32_e32 v43, v33
	s_delay_alu instid0(VALU_DEP_1) | instskip(SKIP_2) | instid1(VALU_DEP_1)
	v_pk_add_f32 v[94:95], v[94:95], v[42:43] neg_lo:[0,1] neg_hi:[0,1]
	s_wait_dscnt 0x0
	v_pk_mul_f32 v[32:33], v[48:49], v[30:31] op_sel:[0,1]
	v_pk_fma_f32 v[42:43], v[48:49], v[28:29], v[32:33] op_sel:[0,0,1] op_sel_hi:[1,1,0] neg_lo:[0,0,1] neg_hi:[0,0,1]
	v_pk_fma_f32 v[32:33], v[48:49], v[28:29], v[32:33] op_sel:[0,0,1] op_sel_hi:[1,0,0]
	s_delay_alu instid0(VALU_DEP_1) | instskip(SKIP_1) | instid1(VALU_DEP_2)
	v_mov_b32_e32 v43, v33
	v_pk_mul_f32 v[32:33], v[50:51], v[30:31] op_sel:[0,1]
	v_pk_add_f32 v[96:97], v[96:97], v[42:43] neg_lo:[0,1] neg_hi:[0,1]
	s_delay_alu instid0(VALU_DEP_2) | instskip(SKIP_3) | instid1(VALU_DEP_1)
	v_pk_fma_f32 v[42:43], v[50:51], v[28:29], v[32:33] op_sel:[0,0,1] op_sel_hi:[1,1,0] neg_lo:[0,0,1] neg_hi:[0,0,1]
	v_pk_fma_f32 v[32:33], v[50:51], v[28:29], v[32:33] op_sel:[0,0,1] op_sel_hi:[1,0,0]
	ds_load_2addr_b64 v[48:51], v216 offset0:24 offset1:25
	v_mov_b32_e32 v43, v33
	v_pk_add_f32 v[92:93], v[92:93], v[42:43] neg_lo:[0,1] neg_hi:[0,1]
	s_wait_dscnt 0x0
	v_dual_mul_f32 v32, v49, v31 :: v_dual_mul_f32 v42, v49, v28
	s_delay_alu instid0(VALU_DEP_1) | instskip(NEXT) | instid1(VALU_DEP_2)
	v_pk_fma_f32 v[32:33], v[48:49], v[60:61], v[32:33] op_sel_hi:[1,1,0] neg_lo:[0,0,1] neg_hi:[0,0,1]
	v_pk_fma_f32 v[42:43], v[48:49], v[60:61], v[42:43] op_sel:[1,0,0] op_sel_hi:[0,1,0]
	s_delay_alu instid0(VALU_DEP_1) | instskip(NEXT) | instid1(VALU_DEP_1)
	v_mov_b32_e32 v33, v43
	v_pk_add_f32 v[114:115], v[114:115], v[32:33] neg_lo:[0,1] neg_hi:[0,1]
	v_pk_mul_f32 v[32:33], v[50:51], v[30:31] op_sel:[0,1]
	s_delay_alu instid0(VALU_DEP_1) | instskip(SKIP_3) | instid1(VALU_DEP_1)
	v_pk_fma_f32 v[42:43], v[50:51], v[28:29], v[32:33] op_sel:[0,0,1] op_sel_hi:[1,1,0] neg_lo:[0,0,1] neg_hi:[0,0,1]
	v_pk_fma_f32 v[32:33], v[50:51], v[28:29], v[32:33] op_sel:[0,0,1] op_sel_hi:[1,0,0]
	ds_load_2addr_b64 v[48:51], v216 offset0:26 offset1:27
	v_mov_b32_e32 v43, v33
	v_pk_add_f32 v[110:111], v[110:111], v[42:43] neg_lo:[0,1] neg_hi:[0,1]
	s_wait_dscnt 0x0
	v_pk_mul_f32 v[32:33], v[48:49], v[30:31] op_sel:[0,1]
	s_delay_alu instid0(VALU_DEP_1) | instskip(SKIP_1) | instid1(VALU_DEP_1)
	v_pk_fma_f32 v[42:43], v[48:49], v[28:29], v[32:33] op_sel:[0,0,1] op_sel_hi:[1,1,0] neg_lo:[0,0,1] neg_hi:[0,0,1]
	v_pk_fma_f32 v[32:33], v[48:49], v[28:29], v[32:33] op_sel:[0,0,1] op_sel_hi:[1,0,0]
	v_mov_b32_e32 v43, v33
	v_pk_mul_f32 v[32:33], v[50:51], v[30:31] op_sel:[0,1]
	s_delay_alu instid0(VALU_DEP_2) | instskip(NEXT) | instid1(VALU_DEP_2)
	v_pk_add_f32 v[112:113], v[112:113], v[42:43] neg_lo:[0,1] neg_hi:[0,1]
	v_pk_fma_f32 v[42:43], v[50:51], v[28:29], v[32:33] op_sel:[0,0,1] op_sel_hi:[1,1,0] neg_lo:[0,0,1] neg_hi:[0,0,1]
	v_pk_fma_f32 v[32:33], v[50:51], v[28:29], v[32:33] op_sel:[0,0,1] op_sel_hi:[1,0,0]
	ds_load_2addr_b64 v[48:51], v216 offset0:28 offset1:29
	v_mov_b32_e32 v43, v33
	s_delay_alu instid0(VALU_DEP_1) | instskip(SKIP_2) | instid1(VALU_DEP_1)
	v_pk_add_f32 v[108:109], v[108:109], v[42:43] neg_lo:[0,1] neg_hi:[0,1]
	s_wait_dscnt 0x0
	v_pk_mul_f32 v[32:33], v[48:49], v[30:31] op_sel:[0,1]
	v_pk_fma_f32 v[42:43], v[48:49], v[28:29], v[32:33] op_sel:[0,0,1] op_sel_hi:[1,1,0] neg_lo:[0,0,1] neg_hi:[0,0,1]
	v_pk_fma_f32 v[32:33], v[48:49], v[28:29], v[32:33] op_sel:[0,0,1] op_sel_hi:[1,0,0]
	v_dual_mov_b32 v32, v51 :: v_dual_mul_f32 v48, v51, v28
	s_delay_alu instid0(VALU_DEP_2) | instskip(NEXT) | instid1(VALU_DEP_1)
	v_dual_mov_b32 v43, v33 :: v_dual_mov_b32 v33, v50
	v_pk_add_f32 v[130:131], v[130:131], v[42:43] neg_lo:[0,1] neg_hi:[0,1]
	v_mul_f32_e32 v42, v51, v31
	s_delay_alu instid0(VALU_DEP_3) | instskip(NEXT) | instid1(VALU_DEP_2)
	v_pk_fma_f32 v[32:33], v[32:33], v[60:61], v[48:49] op_sel_hi:[1,1,0]
	v_pk_fma_f32 v[42:43], v[50:51], v[60:61], v[42:43] op_sel_hi:[1,1,0] neg_lo:[0,0,1] neg_hi:[0,0,1]
	ds_load_2addr_b64 v[48:51], v216 offset0:30 offset1:31
	v_mov_b32_e32 v43, v33
	s_delay_alu instid0(VALU_DEP_1) | instskip(SKIP_2) | instid1(VALU_DEP_1)
	v_pk_add_f32 v[126:127], v[126:127], v[42:43] neg_lo:[0,1] neg_hi:[0,1]
	s_wait_dscnt 0x0
	v_pk_mul_f32 v[32:33], v[48:49], v[30:31] op_sel:[0,1]
	v_pk_fma_f32 v[42:43], v[48:49], v[28:29], v[32:33] op_sel:[0,0,1] op_sel_hi:[1,1,0] neg_lo:[0,0,1] neg_hi:[0,0,1]
	v_pk_fma_f32 v[32:33], v[48:49], v[28:29], v[32:33] op_sel:[0,0,1] op_sel_hi:[1,0,0]
	s_delay_alu instid0(VALU_DEP_1) | instskip(SKIP_1) | instid1(VALU_DEP_2)
	v_mov_b32_e32 v43, v33
	v_pk_mul_f32 v[32:33], v[50:51], v[30:31] op_sel:[0,1]
	v_pk_add_f32 v[128:129], v[128:129], v[42:43] neg_lo:[0,1] neg_hi:[0,1]
	s_delay_alu instid0(VALU_DEP_2) | instskip(SKIP_3) | instid1(VALU_DEP_1)
	v_pk_fma_f32 v[42:43], v[50:51], v[28:29], v[32:33] op_sel:[0,0,1] op_sel_hi:[1,1,0] neg_lo:[0,0,1] neg_hi:[0,0,1]
	v_pk_fma_f32 v[32:33], v[50:51], v[28:29], v[32:33] op_sel:[0,0,1] op_sel_hi:[1,0,0]
	ds_load_2addr_b64 v[48:51], v216 offset0:32 offset1:33
	v_mov_b32_e32 v43, v33
	v_pk_add_f32 v[124:125], v[124:125], v[42:43] neg_lo:[0,1] neg_hi:[0,1]
	s_wait_dscnt 0x0
	v_pk_mul_f32 v[32:33], v[48:49], v[30:31] op_sel:[0,1]
	s_delay_alu instid0(VALU_DEP_1) | instskip(SKIP_1) | instid1(VALU_DEP_1)
	v_pk_fma_f32 v[42:43], v[48:49], v[28:29], v[32:33] op_sel:[0,0,1] op_sel_hi:[1,1,0] neg_lo:[0,0,1] neg_hi:[0,0,1]
	v_pk_fma_f32 v[32:33], v[48:49], v[28:29], v[32:33] op_sel:[0,0,1] op_sel_hi:[1,0,0]
	v_mov_b32_e32 v43, v33
	v_pk_mul_f32 v[32:33], v[50:51], v[30:31] op_sel:[0,1]
	s_delay_alu instid0(VALU_DEP_2) | instskip(NEXT) | instid1(VALU_DEP_2)
	v_pk_add_f32 v[146:147], v[146:147], v[42:43] neg_lo:[0,1] neg_hi:[0,1]
	v_pk_fma_f32 v[42:43], v[50:51], v[28:29], v[32:33] op_sel:[0,0,1] op_sel_hi:[1,1,0] neg_lo:[0,0,1] neg_hi:[0,0,1]
	v_pk_fma_f32 v[32:33], v[50:51], v[28:29], v[32:33] op_sel:[0,0,1] op_sel_hi:[1,0,0]
	ds_load_2addr_b64 v[48:51], v216 offset0:34 offset1:35
	v_mov_b32_e32 v43, v33
	s_delay_alu instid0(VALU_DEP_1) | instskip(SKIP_2) | instid1(VALU_DEP_1)
	v_pk_add_f32 v[142:143], v[142:143], v[42:43] neg_lo:[0,1] neg_hi:[0,1]
	s_wait_dscnt 0x0
	v_dual_mul_f32 v42, v49, v28 :: v_dual_mul_f32 v32, v49, v31
	v_pk_fma_f32 v[42:43], v[48:49], v[60:61], v[42:43] op_sel:[1,0,0] op_sel_hi:[0,1,0]
	s_delay_alu instid0(VALU_DEP_2) | instskip(NEXT) | instid1(VALU_DEP_2)
	v_pk_fma_f32 v[32:33], v[48:49], v[60:61], v[32:33] op_sel_hi:[1,1,0] neg_lo:[0,0,1] neg_hi:[0,0,1]
	v_mov_b32_e32 v33, v43
	s_delay_alu instid0(VALU_DEP_1) | instskip(SKIP_1) | instid1(VALU_DEP_1)
	v_pk_add_f32 v[144:145], v[144:145], v[32:33] neg_lo:[0,1] neg_hi:[0,1]
	v_pk_mul_f32 v[32:33], v[50:51], v[30:31] op_sel:[0,1]
	v_pk_fma_f32 v[42:43], v[50:51], v[28:29], v[32:33] op_sel:[0,0,1] op_sel_hi:[1,1,0] neg_lo:[0,0,1] neg_hi:[0,0,1]
	v_pk_fma_f32 v[32:33], v[50:51], v[28:29], v[32:33] op_sel:[0,0,1] op_sel_hi:[1,0,0]
	ds_load_2addr_b64 v[48:51], v216 offset0:36 offset1:37
	v_mov_b32_e32 v43, v33
	s_delay_alu instid0(VALU_DEP_1) | instskip(SKIP_2) | instid1(VALU_DEP_1)
	v_pk_add_f32 v[140:141], v[140:141], v[42:43] neg_lo:[0,1] neg_hi:[0,1]
	s_wait_dscnt 0x0
	v_pk_mul_f32 v[32:33], v[48:49], v[30:31] op_sel:[0,1]
	v_pk_fma_f32 v[42:43], v[48:49], v[28:29], v[32:33] op_sel:[0,0,1] op_sel_hi:[1,1,0] neg_lo:[0,0,1] neg_hi:[0,0,1]
	v_pk_fma_f32 v[32:33], v[48:49], v[28:29], v[32:33] op_sel:[0,0,1] op_sel_hi:[1,0,0]
	s_delay_alu instid0(VALU_DEP_1) | instskip(SKIP_1) | instid1(VALU_DEP_2)
	v_mov_b32_e32 v43, v33
	v_pk_mul_f32 v[32:33], v[50:51], v[30:31] op_sel:[0,1]
	v_pk_add_f32 v[162:163], v[162:163], v[42:43] neg_lo:[0,1] neg_hi:[0,1]
	s_delay_alu instid0(VALU_DEP_2) | instskip(SKIP_3) | instid1(VALU_DEP_1)
	v_pk_fma_f32 v[42:43], v[50:51], v[28:29], v[32:33] op_sel:[0,0,1] op_sel_hi:[1,1,0] neg_lo:[0,0,1] neg_hi:[0,0,1]
	v_pk_fma_f32 v[32:33], v[50:51], v[28:29], v[32:33] op_sel:[0,0,1] op_sel_hi:[1,0,0]
	ds_load_2addr_b64 v[48:51], v216 offset0:38 offset1:39
	v_mov_b32_e32 v43, v33
	v_pk_add_f32 v[158:159], v[158:159], v[42:43] neg_lo:[0,1] neg_hi:[0,1]
	s_wait_dscnt 0x0
	v_pk_mul_f32 v[32:33], v[48:49], v[30:31] op_sel:[0,1]
	s_delay_alu instid0(VALU_DEP_1) | instskip(SKIP_2) | instid1(VALU_DEP_2)
	v_pk_fma_f32 v[42:43], v[48:49], v[28:29], v[32:33] op_sel:[0,0,1] op_sel_hi:[1,1,0] neg_lo:[0,0,1] neg_hi:[0,0,1]
	v_pk_fma_f32 v[32:33], v[48:49], v[28:29], v[32:33] op_sel:[0,0,1] op_sel_hi:[1,0,0]
	v_dual_mov_b32 v32, v51 :: v_dual_mul_f32 v48, v51, v28
	v_dual_mov_b32 v43, v33 :: v_dual_mov_b32 v33, v50
	s_delay_alu instid0(VALU_DEP_1) | instskip(SKIP_1) | instid1(VALU_DEP_3)
	v_pk_add_f32 v[160:161], v[160:161], v[42:43] neg_lo:[0,1] neg_hi:[0,1]
	v_mul_f32_e32 v42, v51, v31
	v_pk_fma_f32 v[32:33], v[32:33], v[60:61], v[48:49] op_sel_hi:[1,1,0]
	s_delay_alu instid0(VALU_DEP_2) | instskip(SKIP_2) | instid1(VALU_DEP_1)
	v_pk_fma_f32 v[42:43], v[50:51], v[60:61], v[42:43] op_sel_hi:[1,1,0] neg_lo:[0,0,1] neg_hi:[0,0,1]
	ds_load_2addr_b64 v[48:51], v216 offset0:40 offset1:41
	v_mov_b32_e32 v43, v33
	v_pk_add_f32 v[156:157], v[156:157], v[42:43] neg_lo:[0,1] neg_hi:[0,1]
	s_wait_dscnt 0x0
	v_pk_mul_f32 v[32:33], v[48:49], v[30:31] op_sel:[0,1]
	s_delay_alu instid0(VALU_DEP_1) | instskip(SKIP_1) | instid1(VALU_DEP_1)
	v_pk_fma_f32 v[42:43], v[48:49], v[28:29], v[32:33] op_sel:[0,0,1] op_sel_hi:[1,1,0] neg_lo:[0,0,1] neg_hi:[0,0,1]
	v_pk_fma_f32 v[32:33], v[48:49], v[28:29], v[32:33] op_sel:[0,0,1] op_sel_hi:[1,0,0]
	v_mov_b32_e32 v43, v33
	v_pk_mul_f32 v[32:33], v[50:51], v[30:31] op_sel:[0,1]
	s_delay_alu instid0(VALU_DEP_2) | instskip(NEXT) | instid1(VALU_DEP_2)
	v_pk_add_f32 v[178:179], v[178:179], v[42:43] neg_lo:[0,1] neg_hi:[0,1]
	v_pk_fma_f32 v[42:43], v[50:51], v[28:29], v[32:33] op_sel:[0,0,1] op_sel_hi:[1,1,0] neg_lo:[0,0,1] neg_hi:[0,0,1]
	v_pk_fma_f32 v[32:33], v[50:51], v[28:29], v[32:33] op_sel:[0,0,1] op_sel_hi:[1,0,0]
	ds_load_2addr_b64 v[48:51], v216 offset0:42 offset1:43
	v_mov_b32_e32 v43, v33
	s_delay_alu instid0(VALU_DEP_1) | instskip(SKIP_2) | instid1(VALU_DEP_1)
	v_pk_add_f32 v[174:175], v[174:175], v[42:43] neg_lo:[0,1] neg_hi:[0,1]
	s_wait_dscnt 0x0
	v_pk_mul_f32 v[32:33], v[48:49], v[30:31] op_sel:[0,1]
	v_pk_fma_f32 v[42:43], v[48:49], v[28:29], v[32:33] op_sel:[0,0,1] op_sel_hi:[1,1,0] neg_lo:[0,0,1] neg_hi:[0,0,1]
	v_pk_fma_f32 v[32:33], v[48:49], v[28:29], v[32:33] op_sel:[0,0,1] op_sel_hi:[1,0,0]
	s_delay_alu instid0(VALU_DEP_1) | instskip(SKIP_1) | instid1(VALU_DEP_2)
	v_mov_b32_e32 v43, v33
	v_pk_mul_f32 v[32:33], v[50:51], v[30:31] op_sel:[0,1]
	v_pk_add_f32 v[176:177], v[176:177], v[42:43] neg_lo:[0,1] neg_hi:[0,1]
	s_delay_alu instid0(VALU_DEP_2) | instskip(SKIP_3) | instid1(VALU_DEP_1)
	v_pk_fma_f32 v[42:43], v[50:51], v[28:29], v[32:33] op_sel:[0,0,1] op_sel_hi:[1,1,0] neg_lo:[0,0,1] neg_hi:[0,0,1]
	v_pk_fma_f32 v[32:33], v[50:51], v[28:29], v[32:33] op_sel:[0,0,1] op_sel_hi:[1,0,0]
	ds_load_2addr_b64 v[48:51], v216 offset0:44 offset1:45
	v_mov_b32_e32 v43, v33
	v_pk_add_f32 v[172:173], v[172:173], v[42:43] neg_lo:[0,1] neg_hi:[0,1]
	s_wait_dscnt 0x0
	v_dual_mul_f32 v32, v49, v31 :: v_dual_mul_f32 v42, v49, v28
	s_delay_alu instid0(VALU_DEP_1) | instskip(NEXT) | instid1(VALU_DEP_2)
	v_pk_fma_f32 v[32:33], v[48:49], v[60:61], v[32:33] op_sel_hi:[1,1,0] neg_lo:[0,0,1] neg_hi:[0,0,1]
	v_pk_fma_f32 v[42:43], v[48:49], v[60:61], v[42:43] op_sel:[1,0,0] op_sel_hi:[0,1,0]
	s_delay_alu instid0(VALU_DEP_1) | instskip(NEXT) | instid1(VALU_DEP_1)
	v_mov_b32_e32 v33, v43
	v_pk_add_f32 v[194:195], v[194:195], v[32:33] neg_lo:[0,1] neg_hi:[0,1]
	v_pk_mul_f32 v[32:33], v[50:51], v[30:31] op_sel:[0,1]
	s_delay_alu instid0(VALU_DEP_1) | instskip(SKIP_3) | instid1(VALU_DEP_1)
	v_pk_fma_f32 v[42:43], v[50:51], v[28:29], v[32:33] op_sel:[0,0,1] op_sel_hi:[1,1,0] neg_lo:[0,0,1] neg_hi:[0,0,1]
	v_pk_fma_f32 v[32:33], v[50:51], v[28:29], v[32:33] op_sel:[0,0,1] op_sel_hi:[1,0,0]
	ds_load_2addr_b64 v[48:51], v216 offset0:46 offset1:47
	v_mov_b32_e32 v43, v33
	v_pk_add_f32 v[190:191], v[190:191], v[42:43] neg_lo:[0,1] neg_hi:[0,1]
	s_wait_dscnt 0x0
	v_pk_mul_f32 v[32:33], v[48:49], v[30:31] op_sel:[0,1]
	s_delay_alu instid0(VALU_DEP_1) | instskip(SKIP_1) | instid1(VALU_DEP_1)
	v_pk_fma_f32 v[42:43], v[48:49], v[28:29], v[32:33] op_sel:[0,0,1] op_sel_hi:[1,1,0] neg_lo:[0,0,1] neg_hi:[0,0,1]
	v_pk_fma_f32 v[32:33], v[48:49], v[28:29], v[32:33] op_sel:[0,0,1] op_sel_hi:[1,0,0]
	v_mov_b32_e32 v43, v33
	v_pk_mul_f32 v[32:33], v[50:51], v[30:31] op_sel:[0,1]
	s_delay_alu instid0(VALU_DEP_2) | instskip(NEXT) | instid1(VALU_DEP_2)
	v_pk_add_f32 v[192:193], v[192:193], v[42:43] neg_lo:[0,1] neg_hi:[0,1]
	v_pk_fma_f32 v[42:43], v[50:51], v[28:29], v[32:33] op_sel:[0,0,1] op_sel_hi:[1,1,0] neg_lo:[0,0,1] neg_hi:[0,0,1]
	v_pk_fma_f32 v[32:33], v[50:51], v[28:29], v[32:33] op_sel:[0,0,1] op_sel_hi:[1,0,0]
	ds_load_2addr_b64 v[48:51], v216 offset0:48 offset1:49
	v_mov_b32_e32 v43, v33
	s_delay_alu instid0(VALU_DEP_1) | instskip(SKIP_2) | instid1(VALU_DEP_1)
	v_pk_add_f32 v[188:189], v[188:189], v[42:43] neg_lo:[0,1] neg_hi:[0,1]
	s_wait_dscnt 0x0
	v_pk_mul_f32 v[32:33], v[48:49], v[30:31] op_sel:[0,1]
	v_pk_fma_f32 v[42:43], v[48:49], v[28:29], v[32:33] op_sel:[0,0,1] op_sel_hi:[1,1,0] neg_lo:[0,0,1] neg_hi:[0,0,1]
	v_pk_fma_f32 v[32:33], v[48:49], v[28:29], v[32:33] op_sel:[0,0,1] op_sel_hi:[1,0,0]
	v_dual_mov_b32 v32, v51 :: v_dual_mul_f32 v48, v51, v28
	s_delay_alu instid0(VALU_DEP_2) | instskip(NEXT) | instid1(VALU_DEP_1)
	v_dual_mov_b32 v43, v33 :: v_dual_mov_b32 v33, v50
	v_pk_add_f32 v[214:215], v[214:215], v[42:43] neg_lo:[0,1] neg_hi:[0,1]
	v_mul_f32_e32 v42, v51, v31
	s_delay_alu instid0(VALU_DEP_3) | instskip(NEXT) | instid1(VALU_DEP_2)
	v_pk_fma_f32 v[32:33], v[32:33], v[60:61], v[48:49] op_sel_hi:[1,1,0]
	v_pk_fma_f32 v[42:43], v[50:51], v[60:61], v[42:43] op_sel_hi:[1,1,0] neg_lo:[0,0,1] neg_hi:[0,0,1]
	ds_load_2addr_b64 v[48:51], v216 offset0:50 offset1:51
	v_mov_b32_e32 v43, v33
	s_delay_alu instid0(VALU_DEP_1) | instskip(SKIP_2) | instid1(VALU_DEP_1)
	v_pk_add_f32 v[210:211], v[210:211], v[42:43] neg_lo:[0,1] neg_hi:[0,1]
	s_wait_dscnt 0x0
	v_pk_mul_f32 v[32:33], v[48:49], v[30:31] op_sel:[0,1]
	v_pk_fma_f32 v[42:43], v[48:49], v[28:29], v[32:33] op_sel:[0,0,1] op_sel_hi:[1,1,0] neg_lo:[0,0,1] neg_hi:[0,0,1]
	v_pk_fma_f32 v[32:33], v[48:49], v[28:29], v[32:33] op_sel:[0,0,1] op_sel_hi:[1,0,0]
	s_delay_alu instid0(VALU_DEP_1) | instskip(SKIP_1) | instid1(VALU_DEP_2)
	v_mov_b32_e32 v43, v33
	v_pk_mul_f32 v[32:33], v[50:51], v[30:31] op_sel:[0,1]
	v_pk_add_f32 v[212:213], v[212:213], v[42:43] neg_lo:[0,1] neg_hi:[0,1]
	s_delay_alu instid0(VALU_DEP_2) | instskip(SKIP_3) | instid1(VALU_DEP_1)
	v_pk_fma_f32 v[42:43], v[50:51], v[28:29], v[32:33] op_sel:[0,0,1] op_sel_hi:[1,1,0] neg_lo:[0,0,1] neg_hi:[0,0,1]
	v_pk_fma_f32 v[32:33], v[50:51], v[28:29], v[32:33] op_sel:[0,0,1] op_sel_hi:[1,0,0]
	ds_load_2addr_b64 v[48:51], v216 offset0:52 offset1:53
	v_mov_b32_e32 v43, v33
	v_pk_add_f32 v[208:209], v[208:209], v[42:43] neg_lo:[0,1] neg_hi:[0,1]
	s_wait_dscnt 0x0
	v_pk_mul_f32 v[32:33], v[48:49], v[30:31] op_sel:[0,1]
	s_delay_alu instid0(VALU_DEP_1) | instskip(SKIP_1) | instid1(VALU_DEP_1)
	v_pk_fma_f32 v[42:43], v[48:49], v[28:29], v[32:33] op_sel:[0,0,1] op_sel_hi:[1,1,0] neg_lo:[0,0,1] neg_hi:[0,0,1]
	v_pk_fma_f32 v[32:33], v[48:49], v[28:29], v[32:33] op_sel:[0,0,1] op_sel_hi:[1,0,0]
	v_mov_b32_e32 v43, v33
	v_pk_mul_f32 v[32:33], v[50:51], v[30:31] op_sel:[0,1]
	s_delay_alu instid0(VALU_DEP_2) | instskip(NEXT) | instid1(VALU_DEP_2)
	v_pk_add_f32 v[236:237], v[236:237], v[42:43] neg_lo:[0,1] neg_hi:[0,1]
	v_pk_fma_f32 v[42:43], v[50:51], v[28:29], v[32:33] op_sel:[0,0,1] op_sel_hi:[1,1,0] neg_lo:[0,0,1] neg_hi:[0,0,1]
	v_pk_fma_f32 v[32:33], v[50:51], v[28:29], v[32:33] op_sel:[0,0,1] op_sel_hi:[1,0,0]
	ds_load_2addr_b64 v[48:51], v216 offset0:54 offset1:55
	v_mov_b32_e32 v43, v33
	s_delay_alu instid0(VALU_DEP_1) | instskip(SKIP_2) | instid1(VALU_DEP_1)
	v_pk_add_f32 v[230:231], v[230:231], v[42:43] neg_lo:[0,1] neg_hi:[0,1]
	s_wait_dscnt 0x0
	v_dual_mul_f32 v42, v49, v28 :: v_dual_mul_f32 v32, v49, v31
	v_pk_fma_f32 v[42:43], v[48:49], v[60:61], v[42:43] op_sel:[1,0,0] op_sel_hi:[0,1,0]
	s_delay_alu instid0(VALU_DEP_2) | instskip(NEXT) | instid1(VALU_DEP_2)
	v_pk_fma_f32 v[32:33], v[48:49], v[60:61], v[32:33] op_sel_hi:[1,1,0] neg_lo:[0,0,1] neg_hi:[0,0,1]
	v_mov_b32_e32 v33, v43
	s_delay_alu instid0(VALU_DEP_1) | instskip(SKIP_1) | instid1(VALU_DEP_1)
	v_pk_add_f32 v[234:235], v[234:235], v[32:33] neg_lo:[0,1] neg_hi:[0,1]
	v_pk_mul_f32 v[32:33], v[50:51], v[30:31] op_sel:[0,1]
	v_pk_fma_f32 v[42:43], v[50:51], v[28:29], v[32:33] op_sel:[0,0,1] op_sel_hi:[1,1,0] neg_lo:[0,0,1] neg_hi:[0,0,1]
	v_pk_fma_f32 v[32:33], v[50:51], v[28:29], v[32:33] op_sel:[0,0,1] op_sel_hi:[1,0,0]
	ds_load_2addr_b64 v[48:51], v216 offset0:56 offset1:57
	v_mov_b32_e32 v43, v33
	s_delay_alu instid0(VALU_DEP_1) | instskip(SKIP_2) | instid1(VALU_DEP_1)
	v_pk_add_f32 v[228:229], v[228:229], v[42:43] neg_lo:[0,1] neg_hi:[0,1]
	s_wait_dscnt 0x0
	v_pk_mul_f32 v[32:33], v[48:49], v[30:31] op_sel:[0,1]
	v_pk_fma_f32 v[42:43], v[48:49], v[28:29], v[32:33] op_sel:[0,0,1] op_sel_hi:[1,1,0] neg_lo:[0,0,1] neg_hi:[0,0,1]
	v_pk_fma_f32 v[32:33], v[48:49], v[28:29], v[32:33] op_sel:[0,0,1] op_sel_hi:[1,0,0]
	s_delay_alu instid0(VALU_DEP_1) | instskip(SKIP_1) | instid1(VALU_DEP_2)
	v_mov_b32_e32 v43, v33
	v_pk_mul_f32 v[32:33], v[50:51], v[30:31] op_sel:[0,1]
	v_pk_add_f32 v[232:233], v[232:233], v[42:43] neg_lo:[0,1] neg_hi:[0,1]
	s_delay_alu instid0(VALU_DEP_2) | instskip(SKIP_3) | instid1(VALU_DEP_1)
	v_pk_fma_f32 v[42:43], v[50:51], v[28:29], v[32:33] op_sel:[0,0,1] op_sel_hi:[1,1,0] neg_lo:[0,0,1] neg_hi:[0,0,1]
	v_pk_fma_f32 v[32:33], v[50:51], v[28:29], v[32:33] op_sel:[0,0,1] op_sel_hi:[1,0,0]
	ds_load_2addr_b64 v[48:51], v216 offset0:58 offset1:59
	v_mov_b32_e32 v43, v33
	v_pk_add_f32 v[226:227], v[226:227], v[42:43] neg_lo:[0,1] neg_hi:[0,1]
	s_wait_dscnt 0x0
	v_pk_mul_f32 v[32:33], v[48:49], v[30:31] op_sel:[0,1]
	v_pk_mul_f32 v[30:31], v[50:51], v[30:31] op_sel:[0,1]
	s_delay_alu instid0(VALU_DEP_2) | instskip(SKIP_1) | instid1(VALU_DEP_1)
	v_pk_fma_f32 v[42:43], v[48:49], v[28:29], v[32:33] op_sel:[0,0,1] op_sel_hi:[1,1,0] neg_lo:[0,0,1] neg_hi:[0,0,1]
	v_pk_fma_f32 v[32:33], v[48:49], v[28:29], v[32:33] op_sel:[0,0,1] op_sel_hi:[1,0,0]
	v_mov_b32_e32 v43, v33
	s_delay_alu instid0(VALU_DEP_4) | instskip(SKIP_1) | instid1(VALU_DEP_3)
	v_pk_fma_f32 v[32:33], v[50:51], v[28:29], v[30:31] op_sel:[0,0,1] op_sel_hi:[1,1,0] neg_lo:[0,0,1] neg_hi:[0,0,1]
	v_pk_fma_f32 v[28:29], v[50:51], v[28:29], v[30:31] op_sel:[0,0,1] op_sel_hi:[1,0,0]
	v_pk_add_f32 v[238:239], v[238:239], v[42:43] neg_lo:[0,1] neg_hi:[0,1]
	s_delay_alu instid0(VALU_DEP_2) | instskip(NEXT) | instid1(VALU_DEP_1)
	v_mov_b32_e32 v33, v29
	v_pk_add_f32 v[240:241], v[240:241], v[32:33] neg_lo:[0,1] neg_hi:[0,1]
.LBB119_145:
	s_or_b32 exec_lo, exec_lo, s1
	s_delay_alu instid0(SALU_CYCLE_1)
	s_mov_b32 s2, exec_lo
	s_wait_dscnt 0x0
	s_barrier_signal -1
	s_barrier_wait -1
	v_cmpx_eq_u32_e32 16, v206
	s_cbranch_execz .LBB119_152
; %bb.146:
	ds_store_b64 v207, v[82:83]
	ds_store_2addr_b64 v216, v[78:79], v[80:81] offset0:17 offset1:18
	ds_store_2addr_b64 v216, v[76:77], v[98:99] offset0:19 offset1:20
	;; [unrolled: 1-line block ×21, first 2 shown]
	ds_store_b64 v216, v[240:241] offset:472
	ds_load_b64 v[28:29], v207
	s_wait_dscnt 0x0
	v_cmp_neq_f32_e32 vcc_lo, 0, v28
	v_cmp_neq_f32_e64 s1, 0, v29
	s_or_b32 s1, vcc_lo, s1
	s_delay_alu instid0(SALU_CYCLE_1)
	s_and_b32 exec_lo, exec_lo, s1
	s_cbranch_execz .LBB119_152
; %bb.147:
	v_cmp_ngt_f32_e64 s1, |v28|, |v29|
                                        ; implicit-def: $vgpr30_vgpr31
	s_and_saveexec_b32 s4, s1
	s_delay_alu instid0(SALU_CYCLE_1)
	s_xor_b32 s1, exec_lo, s4
	s_cbranch_execz .LBB119_149
; %bb.148:
	v_div_scale_f32 v30, null, v29, v29, v28
	v_div_scale_f32 v33, vcc_lo, v28, v29, v28
	s_delay_alu instid0(VALU_DEP_2) | instskip(SKIP_1) | instid1(TRANS32_DEP_1)
	v_rcp_f32_e32 v31, v30
	v_nop
	v_fma_f32 v32, -v30, v31, 1.0
	s_delay_alu instid0(VALU_DEP_1) | instskip(NEXT) | instid1(VALU_DEP_1)
	v_fmac_f32_e32 v31, v32, v31
	v_mul_f32_e32 v32, v33, v31
	s_delay_alu instid0(VALU_DEP_1) | instskip(NEXT) | instid1(VALU_DEP_1)
	v_fma_f32 v42, -v30, v32, v33
	v_fmac_f32_e32 v32, v42, v31
	s_delay_alu instid0(VALU_DEP_1) | instskip(NEXT) | instid1(VALU_DEP_1)
	v_fma_f32 v30, -v30, v32, v33
	v_div_fmas_f32 v30, v30, v31, v32
	s_delay_alu instid0(VALU_DEP_1) | instskip(NEXT) | instid1(VALU_DEP_1)
	v_div_fixup_f32 v30, v30, v29, v28
	v_fmac_f32_e32 v29, v28, v30
	s_delay_alu instid0(VALU_DEP_1) | instskip(SKIP_1) | instid1(VALU_DEP_2)
	v_div_scale_f32 v28, null, v29, v29, 1.0
	v_div_scale_f32 v33, vcc_lo, 1.0, v29, 1.0
	v_rcp_f32_e32 v31, v28
	v_nop
	s_delay_alu instid0(TRANS32_DEP_1) | instskip(NEXT) | instid1(VALU_DEP_1)
	v_fma_f32 v32, -v28, v31, 1.0
	v_fmac_f32_e32 v31, v32, v31
	s_delay_alu instid0(VALU_DEP_1) | instskip(NEXT) | instid1(VALU_DEP_1)
	v_mul_f32_e32 v32, v33, v31
	v_fma_f32 v42, -v28, v32, v33
	s_delay_alu instid0(VALU_DEP_1) | instskip(NEXT) | instid1(VALU_DEP_1)
	v_fmac_f32_e32 v32, v42, v31
	v_fma_f32 v28, -v28, v32, v33
	s_delay_alu instid0(VALU_DEP_1) | instskip(NEXT) | instid1(VALU_DEP_1)
	v_div_fmas_f32 v28, v28, v31, v32
	v_div_fixup_f32 v28, v28, v29, 1.0
	s_delay_alu instid0(VALU_DEP_1)
	v_mul_f32_e32 v30, v30, v28
	v_xor_b32_e32 v31, 0x80000000, v28
                                        ; implicit-def: $vgpr28_vgpr29
.LBB119_149:
	s_and_not1_saveexec_b32 s1, s1
	s_cbranch_execz .LBB119_151
; %bb.150:
	v_div_scale_f32 v30, null, v28, v28, v29
	v_div_scale_f32 v33, vcc_lo, v29, v28, v29
	s_delay_alu instid0(VALU_DEP_2) | instskip(SKIP_1) | instid1(TRANS32_DEP_1)
	v_rcp_f32_e32 v31, v30
	v_nop
	v_fma_f32 v32, -v30, v31, 1.0
	s_delay_alu instid0(VALU_DEP_1) | instskip(NEXT) | instid1(VALU_DEP_1)
	v_fmac_f32_e32 v31, v32, v31
	v_mul_f32_e32 v32, v33, v31
	s_delay_alu instid0(VALU_DEP_1) | instskip(NEXT) | instid1(VALU_DEP_1)
	v_fma_f32 v42, -v30, v32, v33
	v_fmac_f32_e32 v32, v42, v31
	s_delay_alu instid0(VALU_DEP_1) | instskip(NEXT) | instid1(VALU_DEP_1)
	v_fma_f32 v30, -v30, v32, v33
	v_div_fmas_f32 v30, v30, v31, v32
	s_delay_alu instid0(VALU_DEP_1) | instskip(NEXT) | instid1(VALU_DEP_1)
	v_div_fixup_f32 v31, v30, v28, v29
	v_fmac_f32_e32 v28, v29, v31
	s_delay_alu instid0(VALU_DEP_1) | instskip(NEXT) | instid1(VALU_DEP_1)
	v_div_scale_f32 v29, null, v28, v28, 1.0
	v_rcp_f32_e32 v30, v29
	v_nop
	s_delay_alu instid0(TRANS32_DEP_1) | instskip(NEXT) | instid1(VALU_DEP_1)
	v_fma_f32 v32, -v29, v30, 1.0
	v_fmac_f32_e32 v30, v32, v30
	v_div_scale_f32 v32, vcc_lo, 1.0, v28, 1.0
	s_delay_alu instid0(VALU_DEP_1) | instskip(NEXT) | instid1(VALU_DEP_1)
	v_mul_f32_e32 v33, v32, v30
	v_fma_f32 v42, -v29, v33, v32
	s_delay_alu instid0(VALU_DEP_1) | instskip(NEXT) | instid1(VALU_DEP_1)
	v_fmac_f32_e32 v33, v42, v30
	v_fma_f32 v29, -v29, v33, v32
	s_delay_alu instid0(VALU_DEP_1) | instskip(NEXT) | instid1(VALU_DEP_1)
	v_div_fmas_f32 v29, v29, v30, v33
	v_div_fixup_f32 v30, v29, v28, 1.0
	s_delay_alu instid0(VALU_DEP_1)
	v_mul_f32_e64 v31, v31, -v30
.LBB119_151:
	s_or_b32 exec_lo, exec_lo, s1
	ds_store_b64 v207, v[30:31]
.LBB119_152:
	s_or_b32 exec_lo, exec_lo, s2
	s_wait_dscnt 0x0
	s_barrier_signal -1
	s_barrier_wait -1
	ds_load_b64 v[28:29], v207
	s_mov_b32 s1, exec_lo
	v_cmpx_lt_u32_e32 16, v206
	s_cbranch_execz .LBB119_154
; %bb.153:
	ds_load_2addr_b64 v[48:51], v216 offset0:17 offset1:18
	s_wait_dscnt 0x1
	v_pk_mul_f32 v[32:33], v[28:29], v[82:83] op_sel:[1,1] op_sel_hi:[0,1]
	s_delay_alu instid0(VALU_DEP_1) | instskip(SKIP_1) | instid1(VALU_DEP_1)
	v_pk_fma_f32 v[30:31], v[28:29], v[82:83], v[32:33] op_sel_hi:[1,0,1] neg_lo:[0,0,1] neg_hi:[0,0,1]
	v_pk_fma_f32 v[32:33], v[28:29], v[82:83], v[32:33] op_sel_hi:[1,0,1]
	v_dual_mov_b32 v82, v30 :: v_dual_mov_b32 v83, v33
	s_wait_dscnt 0x0
	s_delay_alu instid0(VALU_DEP_2) | instskip(NEXT) | instid1(VALU_DEP_1)
	v_pk_mul_f32 v[42:43], v[48:49], v[32:33] op_sel:[0,1]
	v_pk_fma_f32 v[54:55], v[48:49], v[30:31], v[42:43] op_sel:[0,0,1] op_sel_hi:[1,1,0] neg_lo:[0,0,1] neg_hi:[0,0,1]
	v_pk_fma_f32 v[42:43], v[48:49], v[30:31], v[42:43] op_sel:[0,0,1] op_sel_hi:[1,0,0]
	s_delay_alu instid0(VALU_DEP_1) | instskip(SKIP_1) | instid1(VALU_DEP_1)
	v_mov_b32_e32 v55, v43
	v_pk_mul_f32 v[42:43], v[50:51], v[32:33] op_sel:[0,1]
	v_pk_fma_f32 v[48:49], v[50:51], v[30:31], v[42:43] op_sel:[0,0,1] op_sel_hi:[1,1,0] neg_lo:[0,0,1] neg_hi:[0,0,1]
	v_pk_fma_f32 v[42:43], v[50:51], v[30:31], v[42:43] op_sel:[0,0,1] op_sel_hi:[1,0,0]
	s_delay_alu instid0(VALU_DEP_1) | instskip(SKIP_1) | instid1(VALU_DEP_2)
	v_mov_b32_e32 v49, v43
	v_pk_add_f32 v[78:79], v[78:79], v[54:55] neg_lo:[0,1] neg_hi:[0,1]
	v_pk_add_f32 v[80:81], v[80:81], v[48:49] neg_lo:[0,1] neg_hi:[0,1]
	ds_load_2addr_b64 v[48:51], v216 offset0:19 offset1:20
	s_wait_dscnt 0x0
	v_pk_mul_f32 v[42:43], v[48:49], v[32:33] op_sel:[0,1]
	s_delay_alu instid0(VALU_DEP_1) | instskip(SKIP_2) | instid1(VALU_DEP_2)
	v_pk_fma_f32 v[54:55], v[48:49], v[30:31], v[42:43] op_sel:[0,0,1] op_sel_hi:[1,1,0] neg_lo:[0,0,1] neg_hi:[0,0,1]
	v_pk_fma_f32 v[42:43], v[48:49], v[30:31], v[42:43] op_sel:[0,0,1] op_sel_hi:[1,0,0]
	v_dual_mul_f32 v48, v51, v33 :: v_dual_mov_b32 v42, v51
	v_dual_mov_b32 v55, v43 :: v_dual_mov_b32 v43, v50
	s_delay_alu instid0(VALU_DEP_2) | instskip(SKIP_1) | instid1(VALU_DEP_3)
	v_pk_fma_f32 v[48:49], v[50:51], v[82:83], v[48:49] op_sel_hi:[1,1,0] neg_lo:[0,0,1] neg_hi:[0,0,1]
	v_mul_f32_e32 v50, v51, v30
	v_pk_add_f32 v[76:77], v[76:77], v[54:55] neg_lo:[0,1] neg_hi:[0,1]
	s_delay_alu instid0(VALU_DEP_2) | instskip(NEXT) | instid1(VALU_DEP_1)
	v_pk_fma_f32 v[42:43], v[42:43], v[82:83], v[50:51] op_sel_hi:[1,1,0]
	v_mov_b32_e32 v49, v43
	s_delay_alu instid0(VALU_DEP_1) | instskip(SKIP_3) | instid1(VALU_DEP_1)
	v_pk_add_f32 v[98:99], v[98:99], v[48:49] neg_lo:[0,1] neg_hi:[0,1]
	ds_load_2addr_b64 v[48:51], v216 offset0:21 offset1:22
	s_wait_dscnt 0x0
	v_pk_mul_f32 v[42:43], v[48:49], v[32:33] op_sel:[0,1]
	v_pk_fma_f32 v[54:55], v[48:49], v[30:31], v[42:43] op_sel:[0,0,1] op_sel_hi:[1,1,0] neg_lo:[0,0,1] neg_hi:[0,0,1]
	v_pk_fma_f32 v[42:43], v[48:49], v[30:31], v[42:43] op_sel:[0,0,1] op_sel_hi:[1,0,0]
	s_delay_alu instid0(VALU_DEP_1) | instskip(SKIP_1) | instid1(VALU_DEP_2)
	v_mov_b32_e32 v55, v43
	v_pk_mul_f32 v[42:43], v[50:51], v[32:33] op_sel:[0,1]
	v_pk_add_f32 v[94:95], v[94:95], v[54:55] neg_lo:[0,1] neg_hi:[0,1]
	s_delay_alu instid0(VALU_DEP_2) | instskip(SKIP_1) | instid1(VALU_DEP_1)
	v_pk_fma_f32 v[48:49], v[50:51], v[30:31], v[42:43] op_sel:[0,0,1] op_sel_hi:[1,1,0] neg_lo:[0,0,1] neg_hi:[0,0,1]
	v_pk_fma_f32 v[42:43], v[50:51], v[30:31], v[42:43] op_sel:[0,0,1] op_sel_hi:[1,0,0]
	v_mov_b32_e32 v49, v43
	s_delay_alu instid0(VALU_DEP_1) | instskip(SKIP_3) | instid1(VALU_DEP_1)
	v_pk_add_f32 v[96:97], v[96:97], v[48:49] neg_lo:[0,1] neg_hi:[0,1]
	ds_load_2addr_b64 v[48:51], v216 offset0:23 offset1:24
	s_wait_dscnt 0x0
	v_pk_mul_f32 v[42:43], v[48:49], v[32:33] op_sel:[0,1]
	v_pk_fma_f32 v[54:55], v[48:49], v[30:31], v[42:43] op_sel:[0,0,1] op_sel_hi:[1,1,0] neg_lo:[0,0,1] neg_hi:[0,0,1]
	v_pk_fma_f32 v[42:43], v[48:49], v[30:31], v[42:43] op_sel:[0,0,1] op_sel_hi:[1,0,0]
	s_delay_alu instid0(VALU_DEP_1) | instskip(SKIP_1) | instid1(VALU_DEP_2)
	v_mov_b32_e32 v55, v43
	v_pk_mul_f32 v[42:43], v[50:51], v[32:33] op_sel:[0,1]
	v_pk_add_f32 v[92:93], v[92:93], v[54:55] neg_lo:[0,1] neg_hi:[0,1]
	s_delay_alu instid0(VALU_DEP_2) | instskip(SKIP_1) | instid1(VALU_DEP_1)
	v_pk_fma_f32 v[48:49], v[50:51], v[30:31], v[42:43] op_sel:[0,0,1] op_sel_hi:[1,1,0] neg_lo:[0,0,1] neg_hi:[0,0,1]
	v_pk_fma_f32 v[42:43], v[50:51], v[30:31], v[42:43] op_sel:[0,0,1] op_sel_hi:[1,0,0]
	v_mov_b32_e32 v49, v43
	s_delay_alu instid0(VALU_DEP_1) | instskip(SKIP_3) | instid1(VALU_DEP_1)
	v_pk_add_f32 v[114:115], v[114:115], v[48:49] neg_lo:[0,1] neg_hi:[0,1]
	ds_load_2addr_b64 v[48:51], v216 offset0:25 offset1:26
	s_wait_dscnt 0x0
	v_dual_mul_f32 v42, v49, v33 :: v_dual_mul_f32 v54, v49, v30
	v_pk_fma_f32 v[42:43], v[48:49], v[82:83], v[42:43] op_sel_hi:[1,1,0] neg_lo:[0,0,1] neg_hi:[0,0,1]
	s_delay_alu instid0(VALU_DEP_2) | instskip(NEXT) | instid1(VALU_DEP_1)
	v_pk_fma_f32 v[48:49], v[48:49], v[82:83], v[54:55] op_sel:[1,0,0] op_sel_hi:[0,1,0]
	v_mov_b32_e32 v43, v49
	s_delay_alu instid0(VALU_DEP_1) | instskip(SKIP_1) | instid1(VALU_DEP_1)
	v_pk_add_f32 v[110:111], v[110:111], v[42:43] neg_lo:[0,1] neg_hi:[0,1]
	v_pk_mul_f32 v[42:43], v[50:51], v[32:33] op_sel:[0,1]
	v_pk_fma_f32 v[48:49], v[50:51], v[30:31], v[42:43] op_sel:[0,0,1] op_sel_hi:[1,1,0] neg_lo:[0,0,1] neg_hi:[0,0,1]
	v_pk_fma_f32 v[42:43], v[50:51], v[30:31], v[42:43] op_sel:[0,0,1] op_sel_hi:[1,0,0]
	s_delay_alu instid0(VALU_DEP_1) | instskip(NEXT) | instid1(VALU_DEP_1)
	v_mov_b32_e32 v49, v43
	v_pk_add_f32 v[112:113], v[112:113], v[48:49] neg_lo:[0,1] neg_hi:[0,1]
	ds_load_2addr_b64 v[48:51], v216 offset0:27 offset1:28
	s_wait_dscnt 0x0
	v_pk_mul_f32 v[42:43], v[48:49], v[32:33] op_sel:[0,1]
	s_delay_alu instid0(VALU_DEP_1) | instskip(SKIP_1) | instid1(VALU_DEP_1)
	v_pk_fma_f32 v[54:55], v[48:49], v[30:31], v[42:43] op_sel:[0,0,1] op_sel_hi:[1,1,0] neg_lo:[0,0,1] neg_hi:[0,0,1]
	v_pk_fma_f32 v[42:43], v[48:49], v[30:31], v[42:43] op_sel:[0,0,1] op_sel_hi:[1,0,0]
	v_mov_b32_e32 v55, v43
	v_pk_mul_f32 v[42:43], v[50:51], v[32:33] op_sel:[0,1]
	s_delay_alu instid0(VALU_DEP_2) | instskip(NEXT) | instid1(VALU_DEP_2)
	v_pk_add_f32 v[108:109], v[108:109], v[54:55] neg_lo:[0,1] neg_hi:[0,1]
	v_pk_fma_f32 v[48:49], v[50:51], v[30:31], v[42:43] op_sel:[0,0,1] op_sel_hi:[1,1,0] neg_lo:[0,0,1] neg_hi:[0,0,1]
	v_pk_fma_f32 v[42:43], v[50:51], v[30:31], v[42:43] op_sel:[0,0,1] op_sel_hi:[1,0,0]
	s_delay_alu instid0(VALU_DEP_1) | instskip(NEXT) | instid1(VALU_DEP_1)
	v_mov_b32_e32 v49, v43
	v_pk_add_f32 v[130:131], v[130:131], v[48:49] neg_lo:[0,1] neg_hi:[0,1]
	ds_load_2addr_b64 v[48:51], v216 offset0:29 offset1:30
	s_wait_dscnt 0x0
	v_pk_mul_f32 v[42:43], v[48:49], v[32:33] op_sel:[0,1]
	s_delay_alu instid0(VALU_DEP_1) | instskip(SKIP_2) | instid1(VALU_DEP_2)
	v_pk_fma_f32 v[54:55], v[48:49], v[30:31], v[42:43] op_sel:[0,0,1] op_sel_hi:[1,1,0] neg_lo:[0,0,1] neg_hi:[0,0,1]
	v_pk_fma_f32 v[42:43], v[48:49], v[30:31], v[42:43] op_sel:[0,0,1] op_sel_hi:[1,0,0]
	v_dual_mul_f32 v48, v51, v33 :: v_dual_mov_b32 v42, v51
	v_dual_mov_b32 v55, v43 :: v_dual_mov_b32 v43, v50
	s_delay_alu instid0(VALU_DEP_2) | instskip(SKIP_1) | instid1(VALU_DEP_3)
	v_pk_fma_f32 v[48:49], v[50:51], v[82:83], v[48:49] op_sel_hi:[1,1,0] neg_lo:[0,0,1] neg_hi:[0,0,1]
	v_mul_f32_e32 v50, v51, v30
	v_pk_add_f32 v[126:127], v[126:127], v[54:55] neg_lo:[0,1] neg_hi:[0,1]
	s_delay_alu instid0(VALU_DEP_2) | instskip(NEXT) | instid1(VALU_DEP_1)
	v_pk_fma_f32 v[42:43], v[42:43], v[82:83], v[50:51] op_sel_hi:[1,1,0]
	v_mov_b32_e32 v49, v43
	s_delay_alu instid0(VALU_DEP_1) | instskip(SKIP_3) | instid1(VALU_DEP_1)
	v_pk_add_f32 v[128:129], v[128:129], v[48:49] neg_lo:[0,1] neg_hi:[0,1]
	ds_load_2addr_b64 v[48:51], v216 offset0:31 offset1:32
	s_wait_dscnt 0x0
	v_pk_mul_f32 v[42:43], v[48:49], v[32:33] op_sel:[0,1]
	v_pk_fma_f32 v[54:55], v[48:49], v[30:31], v[42:43] op_sel:[0,0,1] op_sel_hi:[1,1,0] neg_lo:[0,0,1] neg_hi:[0,0,1]
	v_pk_fma_f32 v[42:43], v[48:49], v[30:31], v[42:43] op_sel:[0,0,1] op_sel_hi:[1,0,0]
	s_delay_alu instid0(VALU_DEP_1) | instskip(SKIP_1) | instid1(VALU_DEP_2)
	v_mov_b32_e32 v55, v43
	v_pk_mul_f32 v[42:43], v[50:51], v[32:33] op_sel:[0,1]
	v_pk_add_f32 v[124:125], v[124:125], v[54:55] neg_lo:[0,1] neg_hi:[0,1]
	s_delay_alu instid0(VALU_DEP_2) | instskip(SKIP_1) | instid1(VALU_DEP_1)
	v_pk_fma_f32 v[48:49], v[50:51], v[30:31], v[42:43] op_sel:[0,0,1] op_sel_hi:[1,1,0] neg_lo:[0,0,1] neg_hi:[0,0,1]
	v_pk_fma_f32 v[42:43], v[50:51], v[30:31], v[42:43] op_sel:[0,0,1] op_sel_hi:[1,0,0]
	v_mov_b32_e32 v49, v43
	s_delay_alu instid0(VALU_DEP_1) | instskip(SKIP_3) | instid1(VALU_DEP_1)
	v_pk_add_f32 v[146:147], v[146:147], v[48:49] neg_lo:[0,1] neg_hi:[0,1]
	ds_load_2addr_b64 v[48:51], v216 offset0:33 offset1:34
	s_wait_dscnt 0x0
	v_pk_mul_f32 v[42:43], v[48:49], v[32:33] op_sel:[0,1]
	v_pk_fma_f32 v[54:55], v[48:49], v[30:31], v[42:43] op_sel:[0,0,1] op_sel_hi:[1,1,0] neg_lo:[0,0,1] neg_hi:[0,0,1]
	v_pk_fma_f32 v[42:43], v[48:49], v[30:31], v[42:43] op_sel:[0,0,1] op_sel_hi:[1,0,0]
	s_delay_alu instid0(VALU_DEP_1) | instskip(SKIP_1) | instid1(VALU_DEP_2)
	v_mov_b32_e32 v55, v43
	v_pk_mul_f32 v[42:43], v[50:51], v[32:33] op_sel:[0,1]
	v_pk_add_f32 v[142:143], v[142:143], v[54:55] neg_lo:[0,1] neg_hi:[0,1]
	s_delay_alu instid0(VALU_DEP_2) | instskip(SKIP_1) | instid1(VALU_DEP_1)
	v_pk_fma_f32 v[48:49], v[50:51], v[30:31], v[42:43] op_sel:[0,0,1] op_sel_hi:[1,1,0] neg_lo:[0,0,1] neg_hi:[0,0,1]
	v_pk_fma_f32 v[42:43], v[50:51], v[30:31], v[42:43] op_sel:[0,0,1] op_sel_hi:[1,0,0]
	v_mov_b32_e32 v49, v43
	s_delay_alu instid0(VALU_DEP_1) | instskip(SKIP_3) | instid1(VALU_DEP_1)
	v_pk_add_f32 v[144:145], v[144:145], v[48:49] neg_lo:[0,1] neg_hi:[0,1]
	ds_load_2addr_b64 v[48:51], v216 offset0:35 offset1:36
	s_wait_dscnt 0x0
	v_dual_mul_f32 v42, v49, v33 :: v_dual_mul_f32 v54, v49, v30
	v_pk_fma_f32 v[42:43], v[48:49], v[82:83], v[42:43] op_sel_hi:[1,1,0] neg_lo:[0,0,1] neg_hi:[0,0,1]
	s_delay_alu instid0(VALU_DEP_2) | instskip(NEXT) | instid1(VALU_DEP_1)
	v_pk_fma_f32 v[48:49], v[48:49], v[82:83], v[54:55] op_sel:[1,0,0] op_sel_hi:[0,1,0]
	v_mov_b32_e32 v43, v49
	s_delay_alu instid0(VALU_DEP_1) | instskip(SKIP_1) | instid1(VALU_DEP_1)
	v_pk_add_f32 v[140:141], v[140:141], v[42:43] neg_lo:[0,1] neg_hi:[0,1]
	v_pk_mul_f32 v[42:43], v[50:51], v[32:33] op_sel:[0,1]
	v_pk_fma_f32 v[48:49], v[50:51], v[30:31], v[42:43] op_sel:[0,0,1] op_sel_hi:[1,1,0] neg_lo:[0,0,1] neg_hi:[0,0,1]
	v_pk_fma_f32 v[42:43], v[50:51], v[30:31], v[42:43] op_sel:[0,0,1] op_sel_hi:[1,0,0]
	s_delay_alu instid0(VALU_DEP_1) | instskip(NEXT) | instid1(VALU_DEP_1)
	v_mov_b32_e32 v49, v43
	v_pk_add_f32 v[162:163], v[162:163], v[48:49] neg_lo:[0,1] neg_hi:[0,1]
	ds_load_2addr_b64 v[48:51], v216 offset0:37 offset1:38
	s_wait_dscnt 0x0
	v_pk_mul_f32 v[42:43], v[48:49], v[32:33] op_sel:[0,1]
	s_delay_alu instid0(VALU_DEP_1) | instskip(SKIP_1) | instid1(VALU_DEP_1)
	v_pk_fma_f32 v[54:55], v[48:49], v[30:31], v[42:43] op_sel:[0,0,1] op_sel_hi:[1,1,0] neg_lo:[0,0,1] neg_hi:[0,0,1]
	v_pk_fma_f32 v[42:43], v[48:49], v[30:31], v[42:43] op_sel:[0,0,1] op_sel_hi:[1,0,0]
	v_mov_b32_e32 v55, v43
	v_pk_mul_f32 v[42:43], v[50:51], v[32:33] op_sel:[0,1]
	s_delay_alu instid0(VALU_DEP_2) | instskip(NEXT) | instid1(VALU_DEP_2)
	v_pk_add_f32 v[158:159], v[158:159], v[54:55] neg_lo:[0,1] neg_hi:[0,1]
	v_pk_fma_f32 v[48:49], v[50:51], v[30:31], v[42:43] op_sel:[0,0,1] op_sel_hi:[1,1,0] neg_lo:[0,0,1] neg_hi:[0,0,1]
	v_pk_fma_f32 v[42:43], v[50:51], v[30:31], v[42:43] op_sel:[0,0,1] op_sel_hi:[1,0,0]
	s_delay_alu instid0(VALU_DEP_1) | instskip(NEXT) | instid1(VALU_DEP_1)
	v_mov_b32_e32 v49, v43
	v_pk_add_f32 v[160:161], v[160:161], v[48:49] neg_lo:[0,1] neg_hi:[0,1]
	ds_load_2addr_b64 v[48:51], v216 offset0:39 offset1:40
	s_wait_dscnt 0x0
	v_pk_mul_f32 v[42:43], v[48:49], v[32:33] op_sel:[0,1]
	s_delay_alu instid0(VALU_DEP_1) | instskip(SKIP_2) | instid1(VALU_DEP_2)
	v_pk_fma_f32 v[54:55], v[48:49], v[30:31], v[42:43] op_sel:[0,0,1] op_sel_hi:[1,1,0] neg_lo:[0,0,1] neg_hi:[0,0,1]
	v_pk_fma_f32 v[42:43], v[48:49], v[30:31], v[42:43] op_sel:[0,0,1] op_sel_hi:[1,0,0]
	v_dual_mul_f32 v48, v51, v33 :: v_dual_mov_b32 v42, v51
	v_dual_mov_b32 v55, v43 :: v_dual_mov_b32 v43, v50
	s_delay_alu instid0(VALU_DEP_2) | instskip(SKIP_1) | instid1(VALU_DEP_3)
	v_pk_fma_f32 v[48:49], v[50:51], v[82:83], v[48:49] op_sel_hi:[1,1,0] neg_lo:[0,0,1] neg_hi:[0,0,1]
	v_mul_f32_e32 v50, v51, v30
	v_pk_add_f32 v[156:157], v[156:157], v[54:55] neg_lo:[0,1] neg_hi:[0,1]
	s_delay_alu instid0(VALU_DEP_2) | instskip(NEXT) | instid1(VALU_DEP_1)
	v_pk_fma_f32 v[42:43], v[42:43], v[82:83], v[50:51] op_sel_hi:[1,1,0]
	v_mov_b32_e32 v49, v43
	s_delay_alu instid0(VALU_DEP_1) | instskip(SKIP_3) | instid1(VALU_DEP_1)
	v_pk_add_f32 v[178:179], v[178:179], v[48:49] neg_lo:[0,1] neg_hi:[0,1]
	ds_load_2addr_b64 v[48:51], v216 offset0:41 offset1:42
	s_wait_dscnt 0x0
	v_pk_mul_f32 v[42:43], v[48:49], v[32:33] op_sel:[0,1]
	v_pk_fma_f32 v[54:55], v[48:49], v[30:31], v[42:43] op_sel:[0,0,1] op_sel_hi:[1,1,0] neg_lo:[0,0,1] neg_hi:[0,0,1]
	v_pk_fma_f32 v[42:43], v[48:49], v[30:31], v[42:43] op_sel:[0,0,1] op_sel_hi:[1,0,0]
	s_delay_alu instid0(VALU_DEP_1) | instskip(SKIP_1) | instid1(VALU_DEP_2)
	v_mov_b32_e32 v55, v43
	v_pk_mul_f32 v[42:43], v[50:51], v[32:33] op_sel:[0,1]
	v_pk_add_f32 v[174:175], v[174:175], v[54:55] neg_lo:[0,1] neg_hi:[0,1]
	s_delay_alu instid0(VALU_DEP_2) | instskip(SKIP_1) | instid1(VALU_DEP_1)
	v_pk_fma_f32 v[48:49], v[50:51], v[30:31], v[42:43] op_sel:[0,0,1] op_sel_hi:[1,1,0] neg_lo:[0,0,1] neg_hi:[0,0,1]
	v_pk_fma_f32 v[42:43], v[50:51], v[30:31], v[42:43] op_sel:[0,0,1] op_sel_hi:[1,0,0]
	v_mov_b32_e32 v49, v43
	s_delay_alu instid0(VALU_DEP_1) | instskip(SKIP_3) | instid1(VALU_DEP_1)
	v_pk_add_f32 v[176:177], v[176:177], v[48:49] neg_lo:[0,1] neg_hi:[0,1]
	ds_load_2addr_b64 v[48:51], v216 offset0:43 offset1:44
	s_wait_dscnt 0x0
	v_pk_mul_f32 v[42:43], v[48:49], v[32:33] op_sel:[0,1]
	v_pk_fma_f32 v[54:55], v[48:49], v[30:31], v[42:43] op_sel:[0,0,1] op_sel_hi:[1,1,0] neg_lo:[0,0,1] neg_hi:[0,0,1]
	v_pk_fma_f32 v[42:43], v[48:49], v[30:31], v[42:43] op_sel:[0,0,1] op_sel_hi:[1,0,0]
	s_delay_alu instid0(VALU_DEP_1) | instskip(SKIP_1) | instid1(VALU_DEP_2)
	v_mov_b32_e32 v55, v43
	v_pk_mul_f32 v[42:43], v[50:51], v[32:33] op_sel:[0,1]
	v_pk_add_f32 v[172:173], v[172:173], v[54:55] neg_lo:[0,1] neg_hi:[0,1]
	s_delay_alu instid0(VALU_DEP_2) | instskip(SKIP_1) | instid1(VALU_DEP_1)
	v_pk_fma_f32 v[48:49], v[50:51], v[30:31], v[42:43] op_sel:[0,0,1] op_sel_hi:[1,1,0] neg_lo:[0,0,1] neg_hi:[0,0,1]
	v_pk_fma_f32 v[42:43], v[50:51], v[30:31], v[42:43] op_sel:[0,0,1] op_sel_hi:[1,0,0]
	v_mov_b32_e32 v49, v43
	s_delay_alu instid0(VALU_DEP_1) | instskip(SKIP_3) | instid1(VALU_DEP_1)
	v_pk_add_f32 v[194:195], v[194:195], v[48:49] neg_lo:[0,1] neg_hi:[0,1]
	ds_load_2addr_b64 v[48:51], v216 offset0:45 offset1:46
	s_wait_dscnt 0x0
	v_dual_mul_f32 v42, v49, v33 :: v_dual_mul_f32 v54, v49, v30
	v_pk_fma_f32 v[42:43], v[48:49], v[82:83], v[42:43] op_sel_hi:[1,1,0] neg_lo:[0,0,1] neg_hi:[0,0,1]
	s_delay_alu instid0(VALU_DEP_2) | instskip(NEXT) | instid1(VALU_DEP_1)
	v_pk_fma_f32 v[48:49], v[48:49], v[82:83], v[54:55] op_sel:[1,0,0] op_sel_hi:[0,1,0]
	v_mov_b32_e32 v43, v49
	s_delay_alu instid0(VALU_DEP_1) | instskip(SKIP_1) | instid1(VALU_DEP_1)
	v_pk_add_f32 v[190:191], v[190:191], v[42:43] neg_lo:[0,1] neg_hi:[0,1]
	v_pk_mul_f32 v[42:43], v[50:51], v[32:33] op_sel:[0,1]
	v_pk_fma_f32 v[48:49], v[50:51], v[30:31], v[42:43] op_sel:[0,0,1] op_sel_hi:[1,1,0] neg_lo:[0,0,1] neg_hi:[0,0,1]
	v_pk_fma_f32 v[42:43], v[50:51], v[30:31], v[42:43] op_sel:[0,0,1] op_sel_hi:[1,0,0]
	s_delay_alu instid0(VALU_DEP_1) | instskip(NEXT) | instid1(VALU_DEP_1)
	v_mov_b32_e32 v49, v43
	v_pk_add_f32 v[192:193], v[192:193], v[48:49] neg_lo:[0,1] neg_hi:[0,1]
	ds_load_2addr_b64 v[48:51], v216 offset0:47 offset1:48
	s_wait_dscnt 0x0
	v_pk_mul_f32 v[42:43], v[48:49], v[32:33] op_sel:[0,1]
	s_delay_alu instid0(VALU_DEP_1) | instskip(SKIP_1) | instid1(VALU_DEP_1)
	v_pk_fma_f32 v[54:55], v[48:49], v[30:31], v[42:43] op_sel:[0,0,1] op_sel_hi:[1,1,0] neg_lo:[0,0,1] neg_hi:[0,0,1]
	v_pk_fma_f32 v[42:43], v[48:49], v[30:31], v[42:43] op_sel:[0,0,1] op_sel_hi:[1,0,0]
	v_mov_b32_e32 v55, v43
	v_pk_mul_f32 v[42:43], v[50:51], v[32:33] op_sel:[0,1]
	s_delay_alu instid0(VALU_DEP_2) | instskip(NEXT) | instid1(VALU_DEP_2)
	v_pk_add_f32 v[188:189], v[188:189], v[54:55] neg_lo:[0,1] neg_hi:[0,1]
	v_pk_fma_f32 v[48:49], v[50:51], v[30:31], v[42:43] op_sel:[0,0,1] op_sel_hi:[1,1,0] neg_lo:[0,0,1] neg_hi:[0,0,1]
	v_pk_fma_f32 v[42:43], v[50:51], v[30:31], v[42:43] op_sel:[0,0,1] op_sel_hi:[1,0,0]
	s_delay_alu instid0(VALU_DEP_1) | instskip(NEXT) | instid1(VALU_DEP_1)
	v_mov_b32_e32 v49, v43
	v_pk_add_f32 v[214:215], v[214:215], v[48:49] neg_lo:[0,1] neg_hi:[0,1]
	ds_load_2addr_b64 v[48:51], v216 offset0:49 offset1:50
	s_wait_dscnt 0x0
	v_pk_mul_f32 v[42:43], v[48:49], v[32:33] op_sel:[0,1]
	s_delay_alu instid0(VALU_DEP_1) | instskip(SKIP_2) | instid1(VALU_DEP_2)
	v_pk_fma_f32 v[54:55], v[48:49], v[30:31], v[42:43] op_sel:[0,0,1] op_sel_hi:[1,1,0] neg_lo:[0,0,1] neg_hi:[0,0,1]
	v_pk_fma_f32 v[42:43], v[48:49], v[30:31], v[42:43] op_sel:[0,0,1] op_sel_hi:[1,0,0]
	v_dual_mul_f32 v48, v51, v33 :: v_dual_mov_b32 v42, v51
	v_dual_mov_b32 v55, v43 :: v_dual_mov_b32 v43, v50
	s_delay_alu instid0(VALU_DEP_2) | instskip(SKIP_1) | instid1(VALU_DEP_3)
	v_pk_fma_f32 v[48:49], v[50:51], v[82:83], v[48:49] op_sel_hi:[1,1,0] neg_lo:[0,0,1] neg_hi:[0,0,1]
	v_mul_f32_e32 v50, v51, v30
	v_pk_add_f32 v[210:211], v[210:211], v[54:55] neg_lo:[0,1] neg_hi:[0,1]
	s_delay_alu instid0(VALU_DEP_2) | instskip(NEXT) | instid1(VALU_DEP_1)
	v_pk_fma_f32 v[42:43], v[42:43], v[82:83], v[50:51] op_sel_hi:[1,1,0]
	v_mov_b32_e32 v49, v43
	s_delay_alu instid0(VALU_DEP_1) | instskip(SKIP_3) | instid1(VALU_DEP_1)
	v_pk_add_f32 v[212:213], v[212:213], v[48:49] neg_lo:[0,1] neg_hi:[0,1]
	ds_load_2addr_b64 v[48:51], v216 offset0:51 offset1:52
	s_wait_dscnt 0x0
	v_pk_mul_f32 v[42:43], v[48:49], v[32:33] op_sel:[0,1]
	v_pk_fma_f32 v[54:55], v[48:49], v[30:31], v[42:43] op_sel:[0,0,1] op_sel_hi:[1,1,0] neg_lo:[0,0,1] neg_hi:[0,0,1]
	v_pk_fma_f32 v[42:43], v[48:49], v[30:31], v[42:43] op_sel:[0,0,1] op_sel_hi:[1,0,0]
	s_delay_alu instid0(VALU_DEP_1) | instskip(SKIP_1) | instid1(VALU_DEP_2)
	v_mov_b32_e32 v55, v43
	v_pk_mul_f32 v[42:43], v[50:51], v[32:33] op_sel:[0,1]
	v_pk_add_f32 v[208:209], v[208:209], v[54:55] neg_lo:[0,1] neg_hi:[0,1]
	s_delay_alu instid0(VALU_DEP_2) | instskip(SKIP_1) | instid1(VALU_DEP_1)
	v_pk_fma_f32 v[48:49], v[50:51], v[30:31], v[42:43] op_sel:[0,0,1] op_sel_hi:[1,1,0] neg_lo:[0,0,1] neg_hi:[0,0,1]
	v_pk_fma_f32 v[42:43], v[50:51], v[30:31], v[42:43] op_sel:[0,0,1] op_sel_hi:[1,0,0]
	v_mov_b32_e32 v49, v43
	s_delay_alu instid0(VALU_DEP_1) | instskip(SKIP_3) | instid1(VALU_DEP_1)
	v_pk_add_f32 v[236:237], v[236:237], v[48:49] neg_lo:[0,1] neg_hi:[0,1]
	ds_load_2addr_b64 v[48:51], v216 offset0:53 offset1:54
	s_wait_dscnt 0x0
	v_pk_mul_f32 v[42:43], v[48:49], v[32:33] op_sel:[0,1]
	v_pk_fma_f32 v[54:55], v[48:49], v[30:31], v[42:43] op_sel:[0,0,1] op_sel_hi:[1,1,0] neg_lo:[0,0,1] neg_hi:[0,0,1]
	v_pk_fma_f32 v[42:43], v[48:49], v[30:31], v[42:43] op_sel:[0,0,1] op_sel_hi:[1,0,0]
	s_delay_alu instid0(VALU_DEP_1) | instskip(SKIP_1) | instid1(VALU_DEP_2)
	v_mov_b32_e32 v55, v43
	v_pk_mul_f32 v[42:43], v[50:51], v[32:33] op_sel:[0,1]
	v_pk_add_f32 v[230:231], v[230:231], v[54:55] neg_lo:[0,1] neg_hi:[0,1]
	s_delay_alu instid0(VALU_DEP_2) | instskip(SKIP_1) | instid1(VALU_DEP_1)
	v_pk_fma_f32 v[48:49], v[50:51], v[30:31], v[42:43] op_sel:[0,0,1] op_sel_hi:[1,1,0] neg_lo:[0,0,1] neg_hi:[0,0,1]
	v_pk_fma_f32 v[42:43], v[50:51], v[30:31], v[42:43] op_sel:[0,0,1] op_sel_hi:[1,0,0]
	v_mov_b32_e32 v49, v43
	s_delay_alu instid0(VALU_DEP_1) | instskip(SKIP_3) | instid1(VALU_DEP_1)
	v_pk_add_f32 v[234:235], v[234:235], v[48:49] neg_lo:[0,1] neg_hi:[0,1]
	ds_load_2addr_b64 v[48:51], v216 offset0:55 offset1:56
	s_wait_dscnt 0x0
	v_dual_mul_f32 v42, v49, v33 :: v_dual_mul_f32 v54, v49, v30
	v_pk_fma_f32 v[42:43], v[48:49], v[82:83], v[42:43] op_sel_hi:[1,1,0] neg_lo:[0,0,1] neg_hi:[0,0,1]
	s_delay_alu instid0(VALU_DEP_2) | instskip(NEXT) | instid1(VALU_DEP_1)
	v_pk_fma_f32 v[48:49], v[48:49], v[82:83], v[54:55] op_sel:[1,0,0] op_sel_hi:[0,1,0]
	v_mov_b32_e32 v43, v49
	s_delay_alu instid0(VALU_DEP_1) | instskip(SKIP_1) | instid1(VALU_DEP_1)
	v_pk_add_f32 v[228:229], v[228:229], v[42:43] neg_lo:[0,1] neg_hi:[0,1]
	v_pk_mul_f32 v[42:43], v[50:51], v[32:33] op_sel:[0,1]
	v_pk_fma_f32 v[48:49], v[50:51], v[30:31], v[42:43] op_sel:[0,0,1] op_sel_hi:[1,1,0] neg_lo:[0,0,1] neg_hi:[0,0,1]
	v_pk_fma_f32 v[42:43], v[50:51], v[30:31], v[42:43] op_sel:[0,0,1] op_sel_hi:[1,0,0]
	s_delay_alu instid0(VALU_DEP_1) | instskip(NEXT) | instid1(VALU_DEP_1)
	v_mov_b32_e32 v49, v43
	v_pk_add_f32 v[232:233], v[232:233], v[48:49] neg_lo:[0,1] neg_hi:[0,1]
	ds_load_2addr_b64 v[48:51], v216 offset0:57 offset1:58
	s_wait_dscnt 0x0
	v_pk_mul_f32 v[42:43], v[48:49], v[32:33] op_sel:[0,1]
	s_delay_alu instid0(VALU_DEP_1) | instskip(SKIP_1) | instid1(VALU_DEP_1)
	v_pk_fma_f32 v[54:55], v[48:49], v[30:31], v[42:43] op_sel:[0,0,1] op_sel_hi:[1,1,0] neg_lo:[0,0,1] neg_hi:[0,0,1]
	v_pk_fma_f32 v[42:43], v[48:49], v[30:31], v[42:43] op_sel:[0,0,1] op_sel_hi:[1,0,0]
	v_mov_b32_e32 v55, v43
	v_pk_mul_f32 v[42:43], v[50:51], v[32:33] op_sel:[0,1]
	s_delay_alu instid0(VALU_DEP_2) | instskip(NEXT) | instid1(VALU_DEP_2)
	v_pk_add_f32 v[226:227], v[226:227], v[54:55] neg_lo:[0,1] neg_hi:[0,1]
	v_pk_fma_f32 v[48:49], v[50:51], v[30:31], v[42:43] op_sel:[0,0,1] op_sel_hi:[1,1,0] neg_lo:[0,0,1] neg_hi:[0,0,1]
	v_pk_fma_f32 v[42:43], v[50:51], v[30:31], v[42:43] op_sel:[0,0,1] op_sel_hi:[1,0,0]
	s_delay_alu instid0(VALU_DEP_1) | instskip(SKIP_4) | instid1(VALU_DEP_1)
	v_mov_b32_e32 v49, v43
	ds_load_b64 v[42:43], v216 offset:472
	v_pk_add_f32 v[238:239], v[238:239], v[48:49] neg_lo:[0,1] neg_hi:[0,1]
	s_wait_dscnt 0x0
	v_pk_mul_f32 v[32:33], v[42:43], v[32:33] op_sel:[0,1]
	v_pk_fma_f32 v[48:49], v[42:43], v[30:31], v[32:33] op_sel:[0,0,1] op_sel_hi:[1,1,0] neg_lo:[0,0,1] neg_hi:[0,0,1]
	v_pk_fma_f32 v[30:31], v[42:43], v[30:31], v[32:33] op_sel:[0,0,1] op_sel_hi:[1,0,0]
	s_delay_alu instid0(VALU_DEP_1) | instskip(NEXT) | instid1(VALU_DEP_1)
	v_mov_b32_e32 v49, v31
	v_pk_add_f32 v[240:241], v[240:241], v[48:49] neg_lo:[0,1] neg_hi:[0,1]
.LBB119_154:
	s_or_b32 exec_lo, exec_lo, s1
	s_delay_alu instid0(SALU_CYCLE_1)
	s_mov_b32 s2, exec_lo
	s_wait_dscnt 0x0
	s_barrier_signal -1
	s_barrier_wait -1
	v_cmpx_eq_u32_e32 17, v206
	s_cbranch_execz .LBB119_161
; %bb.155:
	v_dual_mov_b32 v30, v80 :: v_dual_mov_b32 v31, v81
	v_dual_mov_b32 v32, v76 :: v_dual_mov_b32 v33, v77
	ds_store_b64 v207, v[78:79]
	ds_store_2addr_b64 v216, v[30:31], v[32:33] offset0:18 offset1:19
	v_dual_mov_b32 v30, v98 :: v_dual_mov_b32 v31, v99
	v_dual_mov_b32 v32, v94 :: v_dual_mov_b32 v33, v95
	ds_store_2addr_b64 v216, v[30:31], v[32:33] offset0:20 offset1:21
	v_dual_mov_b32 v30, v96 :: v_dual_mov_b32 v31, v97
	v_dual_mov_b32 v32, v92 :: v_dual_mov_b32 v33, v93
	ds_store_2addr_b64 v216, v[30:31], v[32:33] offset0:22 offset1:23
	v_dual_mov_b32 v30, v114 :: v_dual_mov_b32 v31, v115
	v_dual_mov_b32 v32, v110 :: v_dual_mov_b32 v33, v111
	ds_store_2addr_b64 v216, v[30:31], v[32:33] offset0:24 offset1:25
	v_dual_mov_b32 v30, v112 :: v_dual_mov_b32 v31, v113
	v_dual_mov_b32 v32, v108 :: v_dual_mov_b32 v33, v109
	ds_store_2addr_b64 v216, v[30:31], v[32:33] offset0:26 offset1:27
	v_dual_mov_b32 v30, v130 :: v_dual_mov_b32 v31, v131
	v_dual_mov_b32 v32, v126 :: v_dual_mov_b32 v33, v127
	ds_store_2addr_b64 v216, v[30:31], v[32:33] offset0:28 offset1:29
	v_dual_mov_b32 v30, v128 :: v_dual_mov_b32 v31, v129
	v_dual_mov_b32 v32, v124 :: v_dual_mov_b32 v33, v125
	ds_store_2addr_b64 v216, v[30:31], v[32:33] offset0:30 offset1:31
	v_dual_mov_b32 v30, v146 :: v_dual_mov_b32 v31, v147
	v_dual_mov_b32 v32, v142 :: v_dual_mov_b32 v33, v143
	ds_store_2addr_b64 v216, v[30:31], v[32:33] offset0:32 offset1:33
	v_dual_mov_b32 v30, v144 :: v_dual_mov_b32 v31, v145
	v_dual_mov_b32 v32, v140 :: v_dual_mov_b32 v33, v141
	ds_store_2addr_b64 v216, v[30:31], v[32:33] offset0:34 offset1:35
	v_dual_mov_b32 v30, v162 :: v_dual_mov_b32 v31, v163
	v_dual_mov_b32 v32, v158 :: v_dual_mov_b32 v33, v159
	ds_store_2addr_b64 v216, v[30:31], v[32:33] offset0:36 offset1:37
	v_dual_mov_b32 v30, v160 :: v_dual_mov_b32 v31, v161
	v_dual_mov_b32 v32, v156 :: v_dual_mov_b32 v33, v157
	ds_store_2addr_b64 v216, v[30:31], v[32:33] offset0:38 offset1:39
	v_dual_mov_b32 v30, v178 :: v_dual_mov_b32 v31, v179
	v_dual_mov_b32 v32, v174 :: v_dual_mov_b32 v33, v175
	ds_store_2addr_b64 v216, v[30:31], v[32:33] offset0:40 offset1:41
	v_dual_mov_b32 v30, v176 :: v_dual_mov_b32 v31, v177
	v_dual_mov_b32 v32, v172 :: v_dual_mov_b32 v33, v173
	ds_store_2addr_b64 v216, v[30:31], v[32:33] offset0:42 offset1:43
	v_dual_mov_b32 v30, v194 :: v_dual_mov_b32 v31, v195
	v_dual_mov_b32 v32, v190 :: v_dual_mov_b32 v33, v191
	ds_store_2addr_b64 v216, v[30:31], v[32:33] offset0:44 offset1:45
	v_dual_mov_b32 v30, v192 :: v_dual_mov_b32 v31, v193
	v_dual_mov_b32 v32, v188 :: v_dual_mov_b32 v33, v189
	ds_store_2addr_b64 v216, v[30:31], v[32:33] offset0:46 offset1:47
	v_dual_mov_b32 v30, v214 :: v_dual_mov_b32 v31, v215
	v_dual_mov_b32 v32, v210 :: v_dual_mov_b32 v33, v211
	ds_store_2addr_b64 v216, v[30:31], v[32:33] offset0:48 offset1:49
	v_dual_mov_b32 v30, v212 :: v_dual_mov_b32 v31, v213
	v_dual_mov_b32 v32, v208 :: v_dual_mov_b32 v33, v209
	ds_store_2addr_b64 v216, v[30:31], v[32:33] offset0:50 offset1:51
	v_dual_mov_b32 v30, v236 :: v_dual_mov_b32 v31, v237
	v_dual_mov_b32 v32, v230 :: v_dual_mov_b32 v33, v231
	ds_store_2addr_b64 v216, v[30:31], v[32:33] offset0:52 offset1:53
	v_dual_mov_b32 v30, v234 :: v_dual_mov_b32 v31, v235
	v_dual_mov_b32 v32, v228 :: v_dual_mov_b32 v33, v229
	ds_store_2addr_b64 v216, v[30:31], v[32:33] offset0:54 offset1:55
	v_dual_mov_b32 v30, v232 :: v_dual_mov_b32 v31, v233
	v_dual_mov_b32 v32, v226 :: v_dual_mov_b32 v33, v227
	ds_store_2addr_b64 v216, v[30:31], v[32:33] offset0:56 offset1:57
	v_dual_mov_b32 v30, v238 :: v_dual_mov_b32 v31, v239
	ds_store_2addr_b64 v216, v[30:31], v[240:241] offset0:58 offset1:59
	ds_load_b64 v[30:31], v207
	s_wait_dscnt 0x0
	v_cmp_neq_f32_e32 vcc_lo, 0, v30
	v_cmp_neq_f32_e64 s1, 0, v31
	s_or_b32 s1, vcc_lo, s1
	s_delay_alu instid0(SALU_CYCLE_1)
	s_and_b32 exec_lo, exec_lo, s1
	s_cbranch_execz .LBB119_161
; %bb.156:
	v_cmp_ngt_f32_e64 s1, |v30|, |v31|
                                        ; implicit-def: $vgpr32_vgpr33
	s_and_saveexec_b32 s4, s1
	s_delay_alu instid0(SALU_CYCLE_1)
	s_xor_b32 s1, exec_lo, s4
	s_cbranch_execz .LBB119_158
; %bb.157:
	v_div_scale_f32 v32, null, v31, v31, v30
	v_div_scale_f32 v43, vcc_lo, v30, v31, v30
	s_delay_alu instid0(VALU_DEP_2) | instskip(SKIP_1) | instid1(TRANS32_DEP_1)
	v_rcp_f32_e32 v33, v32
	v_nop
	v_fma_f32 v42, -v32, v33, 1.0
	s_delay_alu instid0(VALU_DEP_1) | instskip(NEXT) | instid1(VALU_DEP_1)
	v_fmac_f32_e32 v33, v42, v33
	v_mul_f32_e32 v42, v43, v33
	s_delay_alu instid0(VALU_DEP_1) | instskip(NEXT) | instid1(VALU_DEP_1)
	v_fma_f32 v48, -v32, v42, v43
	v_fmac_f32_e32 v42, v48, v33
	s_delay_alu instid0(VALU_DEP_1) | instskip(NEXT) | instid1(VALU_DEP_1)
	v_fma_f32 v32, -v32, v42, v43
	v_div_fmas_f32 v32, v32, v33, v42
	s_delay_alu instid0(VALU_DEP_1) | instskip(NEXT) | instid1(VALU_DEP_1)
	v_div_fixup_f32 v32, v32, v31, v30
	v_fmac_f32_e32 v31, v30, v32
	s_delay_alu instid0(VALU_DEP_1) | instskip(SKIP_1) | instid1(VALU_DEP_2)
	v_div_scale_f32 v30, null, v31, v31, 1.0
	v_div_scale_f32 v43, vcc_lo, 1.0, v31, 1.0
	v_rcp_f32_e32 v33, v30
	v_nop
	s_delay_alu instid0(TRANS32_DEP_1) | instskip(NEXT) | instid1(VALU_DEP_1)
	v_fma_f32 v42, -v30, v33, 1.0
	v_fmac_f32_e32 v33, v42, v33
	s_delay_alu instid0(VALU_DEP_1) | instskip(NEXT) | instid1(VALU_DEP_1)
	v_mul_f32_e32 v42, v43, v33
	v_fma_f32 v48, -v30, v42, v43
	s_delay_alu instid0(VALU_DEP_1) | instskip(NEXT) | instid1(VALU_DEP_1)
	v_fmac_f32_e32 v42, v48, v33
	v_fma_f32 v30, -v30, v42, v43
	s_delay_alu instid0(VALU_DEP_1) | instskip(NEXT) | instid1(VALU_DEP_1)
	v_div_fmas_f32 v30, v30, v33, v42
	v_div_fixup_f32 v30, v30, v31, 1.0
	s_delay_alu instid0(VALU_DEP_1)
	v_mul_f32_e32 v32, v32, v30
	v_xor_b32_e32 v33, 0x80000000, v30
                                        ; implicit-def: $vgpr30_vgpr31
.LBB119_158:
	s_and_not1_saveexec_b32 s1, s1
	s_cbranch_execz .LBB119_160
; %bb.159:
	v_div_scale_f32 v32, null, v30, v30, v31
	v_div_scale_f32 v43, vcc_lo, v31, v30, v31
	s_delay_alu instid0(VALU_DEP_2) | instskip(SKIP_1) | instid1(TRANS32_DEP_1)
	v_rcp_f32_e32 v33, v32
	v_nop
	v_fma_f32 v42, -v32, v33, 1.0
	s_delay_alu instid0(VALU_DEP_1) | instskip(NEXT) | instid1(VALU_DEP_1)
	v_fmac_f32_e32 v33, v42, v33
	v_mul_f32_e32 v42, v43, v33
	s_delay_alu instid0(VALU_DEP_1) | instskip(NEXT) | instid1(VALU_DEP_1)
	v_fma_f32 v48, -v32, v42, v43
	v_fmac_f32_e32 v42, v48, v33
	s_delay_alu instid0(VALU_DEP_1) | instskip(NEXT) | instid1(VALU_DEP_1)
	v_fma_f32 v32, -v32, v42, v43
	v_div_fmas_f32 v32, v32, v33, v42
	s_delay_alu instid0(VALU_DEP_1) | instskip(NEXT) | instid1(VALU_DEP_1)
	v_div_fixup_f32 v33, v32, v30, v31
	v_fmac_f32_e32 v30, v31, v33
	s_delay_alu instid0(VALU_DEP_1) | instskip(NEXT) | instid1(VALU_DEP_1)
	v_div_scale_f32 v31, null, v30, v30, 1.0
	v_rcp_f32_e32 v32, v31
	v_nop
	s_delay_alu instid0(TRANS32_DEP_1) | instskip(NEXT) | instid1(VALU_DEP_1)
	v_fma_f32 v42, -v31, v32, 1.0
	v_fmac_f32_e32 v32, v42, v32
	v_div_scale_f32 v42, vcc_lo, 1.0, v30, 1.0
	s_delay_alu instid0(VALU_DEP_1) | instskip(NEXT) | instid1(VALU_DEP_1)
	v_mul_f32_e32 v43, v42, v32
	v_fma_f32 v48, -v31, v43, v42
	s_delay_alu instid0(VALU_DEP_1) | instskip(NEXT) | instid1(VALU_DEP_1)
	v_fmac_f32_e32 v43, v48, v32
	v_fma_f32 v31, -v31, v43, v42
	s_delay_alu instid0(VALU_DEP_1) | instskip(NEXT) | instid1(VALU_DEP_1)
	v_div_fmas_f32 v31, v31, v32, v43
	v_div_fixup_f32 v32, v31, v30, 1.0
	s_delay_alu instid0(VALU_DEP_1)
	v_mul_f32_e64 v33, v33, -v32
.LBB119_160:
	s_or_b32 exec_lo, exec_lo, s1
	ds_store_b64 v207, v[32:33]
.LBB119_161:
	s_or_b32 exec_lo, exec_lo, s2
	s_wait_dscnt 0x0
	s_barrier_signal -1
	s_barrier_wait -1
	ds_load_b64 v[30:31], v207
	s_mov_b32 s1, exec_lo
	v_cmpx_lt_u32_e32 17, v206
	s_cbranch_execz .LBB119_163
; %bb.162:
	ds_load_2addr_b64 v[48:51], v216 offset0:18 offset1:19
	s_wait_dscnt 0x1
	v_pk_mul_f32 v[42:43], v[30:31], v[78:79] op_sel:[1,1] op_sel_hi:[0,1]
	s_delay_alu instid0(VALU_DEP_1) | instskip(SKIP_1) | instid1(VALU_DEP_1)
	v_pk_fma_f32 v[32:33], v[30:31], v[78:79], v[42:43] op_sel_hi:[1,0,1] neg_lo:[0,0,1] neg_hi:[0,0,1]
	v_pk_fma_f32 v[42:43], v[30:31], v[78:79], v[42:43] op_sel_hi:[1,0,1]
	v_dual_mov_b32 v78, v32 :: v_dual_mov_b32 v79, v43
	s_wait_dscnt 0x0
	s_delay_alu instid0(VALU_DEP_2) | instskip(NEXT) | instid1(VALU_DEP_1)
	v_pk_mul_f32 v[54:55], v[48:49], v[42:43] op_sel:[0,1]
	v_pk_fma_f32 v[68:69], v[48:49], v[32:33], v[54:55] op_sel:[0,0,1] op_sel_hi:[1,1,0] neg_lo:[0,0,1] neg_hi:[0,0,1]
	v_pk_fma_f32 v[48:49], v[48:49], v[32:33], v[54:55] op_sel:[0,0,1] op_sel_hi:[1,0,0]
	s_delay_alu instid0(VALU_DEP_1) | instskip(SKIP_1) | instid1(VALU_DEP_1)
	v_mov_b32_e32 v69, v49
	v_pk_mul_f32 v[48:49], v[50:51], v[42:43] op_sel:[0,1]
	v_pk_fma_f32 v[54:55], v[50:51], v[32:33], v[48:49] op_sel:[0,0,1] op_sel_hi:[1,1,0] neg_lo:[0,0,1] neg_hi:[0,0,1]
	v_pk_fma_f32 v[48:49], v[50:51], v[32:33], v[48:49] op_sel:[0,0,1] op_sel_hi:[1,0,0]
	s_delay_alu instid0(VALU_DEP_1)
	v_mov_b32_e32 v55, v49
	ds_load_2addr_b64 v[48:51], v216 offset0:20 offset1:21
	v_pk_add_f32 v[80:81], v[80:81], v[68:69] neg_lo:[0,1] neg_hi:[0,1]
	v_pk_add_f32 v[76:77], v[76:77], v[54:55] neg_lo:[0,1] neg_hi:[0,1]
	s_wait_dscnt 0x0
	v_pk_mul_f32 v[54:55], v[48:49], v[42:43] op_sel:[0,1]
	s_delay_alu instid0(VALU_DEP_1) | instskip(SKIP_2) | instid1(VALU_DEP_2)
	v_pk_fma_f32 v[68:69], v[48:49], v[32:33], v[54:55] op_sel:[0,0,1] op_sel_hi:[1,1,0] neg_lo:[0,0,1] neg_hi:[0,0,1]
	v_pk_fma_f32 v[48:49], v[48:49], v[32:33], v[54:55] op_sel:[0,0,1] op_sel_hi:[1,0,0]
	v_dual_mul_f32 v54, v51, v43 :: v_dual_mov_b32 v48, v51
	v_dual_mov_b32 v69, v49 :: v_dual_mov_b32 v49, v50
	s_delay_alu instid0(VALU_DEP_2) | instskip(SKIP_1) | instid1(VALU_DEP_3)
	v_pk_fma_f32 v[54:55], v[50:51], v[78:79], v[54:55] op_sel_hi:[1,1,0] neg_lo:[0,0,1] neg_hi:[0,0,1]
	v_mul_f32_e32 v50, v51, v32
	v_pk_add_f32 v[98:99], v[98:99], v[68:69] neg_lo:[0,1] neg_hi:[0,1]
	s_delay_alu instid0(VALU_DEP_2) | instskip(NEXT) | instid1(VALU_DEP_1)
	v_pk_fma_f32 v[48:49], v[48:49], v[78:79], v[50:51] op_sel_hi:[1,1,0]
	v_mov_b32_e32 v55, v49
	ds_load_2addr_b64 v[48:51], v216 offset0:22 offset1:23
	v_pk_add_f32 v[94:95], v[94:95], v[54:55] neg_lo:[0,1] neg_hi:[0,1]
	s_wait_dscnt 0x0
	v_pk_mul_f32 v[54:55], v[48:49], v[42:43] op_sel:[0,1]
	s_delay_alu instid0(VALU_DEP_1) | instskip(SKIP_1) | instid1(VALU_DEP_1)
	v_pk_fma_f32 v[68:69], v[48:49], v[32:33], v[54:55] op_sel:[0,0,1] op_sel_hi:[1,1,0] neg_lo:[0,0,1] neg_hi:[0,0,1]
	v_pk_fma_f32 v[48:49], v[48:49], v[32:33], v[54:55] op_sel:[0,0,1] op_sel_hi:[1,0,0]
	v_mov_b32_e32 v69, v49
	v_pk_mul_f32 v[48:49], v[50:51], v[42:43] op_sel:[0,1]
	s_delay_alu instid0(VALU_DEP_1) | instskip(SKIP_1) | instid1(VALU_DEP_1)
	v_pk_fma_f32 v[54:55], v[50:51], v[32:33], v[48:49] op_sel:[0,0,1] op_sel_hi:[1,1,0] neg_lo:[0,0,1] neg_hi:[0,0,1]
	v_pk_fma_f32 v[48:49], v[50:51], v[32:33], v[48:49] op_sel:[0,0,1] op_sel_hi:[1,0,0]
	v_mov_b32_e32 v55, v49
	ds_load_2addr_b64 v[48:51], v216 offset0:24 offset1:25
	v_pk_add_f32 v[96:97], v[96:97], v[68:69] neg_lo:[0,1] neg_hi:[0,1]
	v_pk_add_f32 v[92:93], v[92:93], v[54:55] neg_lo:[0,1] neg_hi:[0,1]
	s_wait_dscnt 0x0
	v_pk_mul_f32 v[54:55], v[48:49], v[42:43] op_sel:[0,1]
	s_delay_alu instid0(VALU_DEP_1) | instskip(SKIP_1) | instid1(VALU_DEP_1)
	v_pk_fma_f32 v[68:69], v[48:49], v[32:33], v[54:55] op_sel:[0,0,1] op_sel_hi:[1,1,0] neg_lo:[0,0,1] neg_hi:[0,0,1]
	v_pk_fma_f32 v[48:49], v[48:49], v[32:33], v[54:55] op_sel:[0,0,1] op_sel_hi:[1,0,0]
	v_mov_b32_e32 v69, v49
	v_pk_mul_f32 v[48:49], v[50:51], v[42:43] op_sel:[0,1]
	s_delay_alu instid0(VALU_DEP_1) | instskip(SKIP_1) | instid1(VALU_DEP_1)
	v_pk_fma_f32 v[54:55], v[50:51], v[32:33], v[48:49] op_sel:[0,0,1] op_sel_hi:[1,1,0] neg_lo:[0,0,1] neg_hi:[0,0,1]
	v_pk_fma_f32 v[48:49], v[50:51], v[32:33], v[48:49] op_sel:[0,0,1] op_sel_hi:[1,0,0]
	v_mov_b32_e32 v55, v49
	ds_load_2addr_b64 v[48:51], v216 offset0:26 offset1:27
	v_pk_add_f32 v[114:115], v[114:115], v[68:69] neg_lo:[0,1] neg_hi:[0,1]
	v_pk_add_f32 v[110:111], v[110:111], v[54:55] neg_lo:[0,1] neg_hi:[0,1]
	s_wait_dscnt 0x0
	v_dual_mul_f32 v54, v49, v43 :: v_dual_mul_f32 v68, v49, v32
	s_delay_alu instid0(VALU_DEP_1) | instskip(NEXT) | instid1(VALU_DEP_2)
	v_pk_fma_f32 v[54:55], v[48:49], v[78:79], v[54:55] op_sel_hi:[1,1,0] neg_lo:[0,0,1] neg_hi:[0,0,1]
	v_pk_fma_f32 v[48:49], v[48:49], v[78:79], v[68:69] op_sel:[1,0,0] op_sel_hi:[0,1,0]
	s_delay_alu instid0(VALU_DEP_1) | instskip(SKIP_1) | instid1(VALU_DEP_2)
	v_mov_b32_e32 v55, v49
	v_pk_mul_f32 v[48:49], v[50:51], v[42:43] op_sel:[0,1]
	v_pk_add_f32 v[112:113], v[112:113], v[54:55] neg_lo:[0,1] neg_hi:[0,1]
	s_delay_alu instid0(VALU_DEP_2) | instskip(SKIP_1) | instid1(VALU_DEP_1)
	v_pk_fma_f32 v[54:55], v[50:51], v[32:33], v[48:49] op_sel:[0,0,1] op_sel_hi:[1,1,0] neg_lo:[0,0,1] neg_hi:[0,0,1]
	v_pk_fma_f32 v[48:49], v[50:51], v[32:33], v[48:49] op_sel:[0,0,1] op_sel_hi:[1,0,0]
	v_mov_b32_e32 v55, v49
	ds_load_2addr_b64 v[48:51], v216 offset0:28 offset1:29
	v_pk_add_f32 v[108:109], v[108:109], v[54:55] neg_lo:[0,1] neg_hi:[0,1]
	s_wait_dscnt 0x0
	v_pk_mul_f32 v[54:55], v[48:49], v[42:43] op_sel:[0,1]
	s_delay_alu instid0(VALU_DEP_1) | instskip(SKIP_1) | instid1(VALU_DEP_1)
	v_pk_fma_f32 v[68:69], v[48:49], v[32:33], v[54:55] op_sel:[0,0,1] op_sel_hi:[1,1,0] neg_lo:[0,0,1] neg_hi:[0,0,1]
	v_pk_fma_f32 v[48:49], v[48:49], v[32:33], v[54:55] op_sel:[0,0,1] op_sel_hi:[1,0,0]
	v_mov_b32_e32 v69, v49
	v_pk_mul_f32 v[48:49], v[50:51], v[42:43] op_sel:[0,1]
	s_delay_alu instid0(VALU_DEP_2) | instskip(NEXT) | instid1(VALU_DEP_2)
	v_pk_add_f32 v[130:131], v[130:131], v[68:69] neg_lo:[0,1] neg_hi:[0,1]
	v_pk_fma_f32 v[54:55], v[50:51], v[32:33], v[48:49] op_sel:[0,0,1] op_sel_hi:[1,1,0] neg_lo:[0,0,1] neg_hi:[0,0,1]
	v_pk_fma_f32 v[48:49], v[50:51], v[32:33], v[48:49] op_sel:[0,0,1] op_sel_hi:[1,0,0]
	s_delay_alu instid0(VALU_DEP_1) | instskip(SKIP_4) | instid1(VALU_DEP_1)
	v_mov_b32_e32 v55, v49
	ds_load_2addr_b64 v[48:51], v216 offset0:30 offset1:31
	v_pk_add_f32 v[126:127], v[126:127], v[54:55] neg_lo:[0,1] neg_hi:[0,1]
	s_wait_dscnt 0x0
	v_pk_mul_f32 v[54:55], v[48:49], v[42:43] op_sel:[0,1]
	v_pk_fma_f32 v[68:69], v[48:49], v[32:33], v[54:55] op_sel:[0,0,1] op_sel_hi:[1,1,0] neg_lo:[0,0,1] neg_hi:[0,0,1]
	v_pk_fma_f32 v[48:49], v[48:49], v[32:33], v[54:55] op_sel:[0,0,1] op_sel_hi:[1,0,0]
	v_dual_mul_f32 v54, v51, v43 :: v_dual_mov_b32 v48, v51
	s_delay_alu instid0(VALU_DEP_2) | instskip(NEXT) | instid1(VALU_DEP_2)
	v_dual_mov_b32 v69, v49 :: v_dual_mov_b32 v49, v50
	v_pk_fma_f32 v[54:55], v[50:51], v[78:79], v[54:55] op_sel_hi:[1,1,0] neg_lo:[0,0,1] neg_hi:[0,0,1]
	v_mul_f32_e32 v50, v51, v32
	s_delay_alu instid0(VALU_DEP_3) | instskip(NEXT) | instid1(VALU_DEP_2)
	v_pk_add_f32 v[128:129], v[128:129], v[68:69] neg_lo:[0,1] neg_hi:[0,1]
	v_pk_fma_f32 v[48:49], v[48:49], v[78:79], v[50:51] op_sel_hi:[1,1,0]
	s_delay_alu instid0(VALU_DEP_1) | instskip(SKIP_4) | instid1(VALU_DEP_1)
	v_mov_b32_e32 v55, v49
	ds_load_2addr_b64 v[48:51], v216 offset0:32 offset1:33
	v_pk_add_f32 v[124:125], v[124:125], v[54:55] neg_lo:[0,1] neg_hi:[0,1]
	s_wait_dscnt 0x0
	v_pk_mul_f32 v[54:55], v[48:49], v[42:43] op_sel:[0,1]
	v_pk_fma_f32 v[68:69], v[48:49], v[32:33], v[54:55] op_sel:[0,0,1] op_sel_hi:[1,1,0] neg_lo:[0,0,1] neg_hi:[0,0,1]
	v_pk_fma_f32 v[48:49], v[48:49], v[32:33], v[54:55] op_sel:[0,0,1] op_sel_hi:[1,0,0]
	s_delay_alu instid0(VALU_DEP_1) | instskip(SKIP_1) | instid1(VALU_DEP_1)
	v_mov_b32_e32 v69, v49
	v_pk_mul_f32 v[48:49], v[50:51], v[42:43] op_sel:[0,1]
	v_pk_fma_f32 v[54:55], v[50:51], v[32:33], v[48:49] op_sel:[0,0,1] op_sel_hi:[1,1,0] neg_lo:[0,0,1] neg_hi:[0,0,1]
	v_pk_fma_f32 v[48:49], v[50:51], v[32:33], v[48:49] op_sel:[0,0,1] op_sel_hi:[1,0,0]
	s_delay_alu instid0(VALU_DEP_1)
	v_mov_b32_e32 v55, v49
	ds_load_2addr_b64 v[48:51], v216 offset0:34 offset1:35
	v_pk_add_f32 v[146:147], v[146:147], v[68:69] neg_lo:[0,1] neg_hi:[0,1]
	v_pk_add_f32 v[142:143], v[142:143], v[54:55] neg_lo:[0,1] neg_hi:[0,1]
	s_wait_dscnt 0x0
	v_pk_mul_f32 v[54:55], v[48:49], v[42:43] op_sel:[0,1]
	s_delay_alu instid0(VALU_DEP_1) | instskip(SKIP_1) | instid1(VALU_DEP_1)
	v_pk_fma_f32 v[68:69], v[48:49], v[32:33], v[54:55] op_sel:[0,0,1] op_sel_hi:[1,1,0] neg_lo:[0,0,1] neg_hi:[0,0,1]
	v_pk_fma_f32 v[48:49], v[48:49], v[32:33], v[54:55] op_sel:[0,0,1] op_sel_hi:[1,0,0]
	v_mov_b32_e32 v69, v49
	v_pk_mul_f32 v[48:49], v[50:51], v[42:43] op_sel:[0,1]
	s_delay_alu instid0(VALU_DEP_1) | instskip(SKIP_1) | instid1(VALU_DEP_1)
	v_pk_fma_f32 v[54:55], v[50:51], v[32:33], v[48:49] op_sel:[0,0,1] op_sel_hi:[1,1,0] neg_lo:[0,0,1] neg_hi:[0,0,1]
	v_pk_fma_f32 v[48:49], v[50:51], v[32:33], v[48:49] op_sel:[0,0,1] op_sel_hi:[1,0,0]
	v_mov_b32_e32 v55, v49
	ds_load_2addr_b64 v[48:51], v216 offset0:36 offset1:37
	v_pk_add_f32 v[144:145], v[144:145], v[68:69] neg_lo:[0,1] neg_hi:[0,1]
	v_pk_add_f32 v[140:141], v[140:141], v[54:55] neg_lo:[0,1] neg_hi:[0,1]
	s_wait_dscnt 0x0
	v_dual_mul_f32 v54, v49, v43 :: v_dual_mul_f32 v68, v49, v32
	s_delay_alu instid0(VALU_DEP_1) | instskip(NEXT) | instid1(VALU_DEP_2)
	v_pk_fma_f32 v[54:55], v[48:49], v[78:79], v[54:55] op_sel_hi:[1,1,0] neg_lo:[0,0,1] neg_hi:[0,0,1]
	v_pk_fma_f32 v[48:49], v[48:49], v[78:79], v[68:69] op_sel:[1,0,0] op_sel_hi:[0,1,0]
	s_delay_alu instid0(VALU_DEP_1) | instskip(SKIP_1) | instid1(VALU_DEP_2)
	v_mov_b32_e32 v55, v49
	v_pk_mul_f32 v[48:49], v[50:51], v[42:43] op_sel:[0,1]
	v_pk_add_f32 v[162:163], v[162:163], v[54:55] neg_lo:[0,1] neg_hi:[0,1]
	s_delay_alu instid0(VALU_DEP_2) | instskip(SKIP_1) | instid1(VALU_DEP_1)
	v_pk_fma_f32 v[54:55], v[50:51], v[32:33], v[48:49] op_sel:[0,0,1] op_sel_hi:[1,1,0] neg_lo:[0,0,1] neg_hi:[0,0,1]
	v_pk_fma_f32 v[48:49], v[50:51], v[32:33], v[48:49] op_sel:[0,0,1] op_sel_hi:[1,0,0]
	v_mov_b32_e32 v55, v49
	ds_load_2addr_b64 v[48:51], v216 offset0:38 offset1:39
	v_pk_add_f32 v[158:159], v[158:159], v[54:55] neg_lo:[0,1] neg_hi:[0,1]
	s_wait_dscnt 0x0
	v_pk_mul_f32 v[54:55], v[48:49], v[42:43] op_sel:[0,1]
	s_delay_alu instid0(VALU_DEP_1) | instskip(SKIP_1) | instid1(VALU_DEP_1)
	v_pk_fma_f32 v[68:69], v[48:49], v[32:33], v[54:55] op_sel:[0,0,1] op_sel_hi:[1,1,0] neg_lo:[0,0,1] neg_hi:[0,0,1]
	v_pk_fma_f32 v[48:49], v[48:49], v[32:33], v[54:55] op_sel:[0,0,1] op_sel_hi:[1,0,0]
	v_mov_b32_e32 v69, v49
	v_pk_mul_f32 v[48:49], v[50:51], v[42:43] op_sel:[0,1]
	s_delay_alu instid0(VALU_DEP_2) | instskip(NEXT) | instid1(VALU_DEP_2)
	v_pk_add_f32 v[160:161], v[160:161], v[68:69] neg_lo:[0,1] neg_hi:[0,1]
	v_pk_fma_f32 v[54:55], v[50:51], v[32:33], v[48:49] op_sel:[0,0,1] op_sel_hi:[1,1,0] neg_lo:[0,0,1] neg_hi:[0,0,1]
	v_pk_fma_f32 v[48:49], v[50:51], v[32:33], v[48:49] op_sel:[0,0,1] op_sel_hi:[1,0,0]
	s_delay_alu instid0(VALU_DEP_1) | instskip(SKIP_4) | instid1(VALU_DEP_1)
	v_mov_b32_e32 v55, v49
	ds_load_2addr_b64 v[48:51], v216 offset0:40 offset1:41
	v_pk_add_f32 v[156:157], v[156:157], v[54:55] neg_lo:[0,1] neg_hi:[0,1]
	s_wait_dscnt 0x0
	v_pk_mul_f32 v[54:55], v[48:49], v[42:43] op_sel:[0,1]
	v_pk_fma_f32 v[68:69], v[48:49], v[32:33], v[54:55] op_sel:[0,0,1] op_sel_hi:[1,1,0] neg_lo:[0,0,1] neg_hi:[0,0,1]
	v_pk_fma_f32 v[48:49], v[48:49], v[32:33], v[54:55] op_sel:[0,0,1] op_sel_hi:[1,0,0]
	v_dual_mul_f32 v54, v51, v43 :: v_dual_mov_b32 v48, v51
	s_delay_alu instid0(VALU_DEP_2) | instskip(NEXT) | instid1(VALU_DEP_2)
	v_dual_mov_b32 v69, v49 :: v_dual_mov_b32 v49, v50
	v_pk_fma_f32 v[54:55], v[50:51], v[78:79], v[54:55] op_sel_hi:[1,1,0] neg_lo:[0,0,1] neg_hi:[0,0,1]
	v_mul_f32_e32 v50, v51, v32
	s_delay_alu instid0(VALU_DEP_3) | instskip(NEXT) | instid1(VALU_DEP_2)
	v_pk_add_f32 v[178:179], v[178:179], v[68:69] neg_lo:[0,1] neg_hi:[0,1]
	v_pk_fma_f32 v[48:49], v[48:49], v[78:79], v[50:51] op_sel_hi:[1,1,0]
	s_delay_alu instid0(VALU_DEP_1) | instskip(SKIP_4) | instid1(VALU_DEP_1)
	v_mov_b32_e32 v55, v49
	ds_load_2addr_b64 v[48:51], v216 offset0:42 offset1:43
	v_pk_add_f32 v[174:175], v[174:175], v[54:55] neg_lo:[0,1] neg_hi:[0,1]
	s_wait_dscnt 0x0
	v_pk_mul_f32 v[54:55], v[48:49], v[42:43] op_sel:[0,1]
	v_pk_fma_f32 v[68:69], v[48:49], v[32:33], v[54:55] op_sel:[0,0,1] op_sel_hi:[1,1,0] neg_lo:[0,0,1] neg_hi:[0,0,1]
	v_pk_fma_f32 v[48:49], v[48:49], v[32:33], v[54:55] op_sel:[0,0,1] op_sel_hi:[1,0,0]
	s_delay_alu instid0(VALU_DEP_1) | instskip(SKIP_1) | instid1(VALU_DEP_1)
	v_mov_b32_e32 v69, v49
	v_pk_mul_f32 v[48:49], v[50:51], v[42:43] op_sel:[0,1]
	v_pk_fma_f32 v[54:55], v[50:51], v[32:33], v[48:49] op_sel:[0,0,1] op_sel_hi:[1,1,0] neg_lo:[0,0,1] neg_hi:[0,0,1]
	v_pk_fma_f32 v[48:49], v[50:51], v[32:33], v[48:49] op_sel:[0,0,1] op_sel_hi:[1,0,0]
	s_delay_alu instid0(VALU_DEP_1)
	v_mov_b32_e32 v55, v49
	ds_load_2addr_b64 v[48:51], v216 offset0:44 offset1:45
	v_pk_add_f32 v[176:177], v[176:177], v[68:69] neg_lo:[0,1] neg_hi:[0,1]
	v_pk_add_f32 v[172:173], v[172:173], v[54:55] neg_lo:[0,1] neg_hi:[0,1]
	s_wait_dscnt 0x0
	v_pk_mul_f32 v[54:55], v[48:49], v[42:43] op_sel:[0,1]
	s_delay_alu instid0(VALU_DEP_1) | instskip(SKIP_1) | instid1(VALU_DEP_1)
	v_pk_fma_f32 v[68:69], v[48:49], v[32:33], v[54:55] op_sel:[0,0,1] op_sel_hi:[1,1,0] neg_lo:[0,0,1] neg_hi:[0,0,1]
	v_pk_fma_f32 v[48:49], v[48:49], v[32:33], v[54:55] op_sel:[0,0,1] op_sel_hi:[1,0,0]
	v_mov_b32_e32 v69, v49
	v_pk_mul_f32 v[48:49], v[50:51], v[42:43] op_sel:[0,1]
	s_delay_alu instid0(VALU_DEP_1) | instskip(SKIP_1) | instid1(VALU_DEP_1)
	v_pk_fma_f32 v[54:55], v[50:51], v[32:33], v[48:49] op_sel:[0,0,1] op_sel_hi:[1,1,0] neg_lo:[0,0,1] neg_hi:[0,0,1]
	v_pk_fma_f32 v[48:49], v[50:51], v[32:33], v[48:49] op_sel:[0,0,1] op_sel_hi:[1,0,0]
	v_mov_b32_e32 v55, v49
	ds_load_2addr_b64 v[48:51], v216 offset0:46 offset1:47
	v_pk_add_f32 v[194:195], v[194:195], v[68:69] neg_lo:[0,1] neg_hi:[0,1]
	v_pk_add_f32 v[190:191], v[190:191], v[54:55] neg_lo:[0,1] neg_hi:[0,1]
	s_wait_dscnt 0x0
	v_dual_mul_f32 v54, v49, v43 :: v_dual_mul_f32 v68, v49, v32
	s_delay_alu instid0(VALU_DEP_1) | instskip(NEXT) | instid1(VALU_DEP_2)
	v_pk_fma_f32 v[54:55], v[48:49], v[78:79], v[54:55] op_sel_hi:[1,1,0] neg_lo:[0,0,1] neg_hi:[0,0,1]
	v_pk_fma_f32 v[48:49], v[48:49], v[78:79], v[68:69] op_sel:[1,0,0] op_sel_hi:[0,1,0]
	s_delay_alu instid0(VALU_DEP_1) | instskip(SKIP_1) | instid1(VALU_DEP_2)
	v_mov_b32_e32 v55, v49
	v_pk_mul_f32 v[48:49], v[50:51], v[42:43] op_sel:[0,1]
	v_pk_add_f32 v[192:193], v[192:193], v[54:55] neg_lo:[0,1] neg_hi:[0,1]
	s_delay_alu instid0(VALU_DEP_2) | instskip(SKIP_1) | instid1(VALU_DEP_1)
	v_pk_fma_f32 v[54:55], v[50:51], v[32:33], v[48:49] op_sel:[0,0,1] op_sel_hi:[1,1,0] neg_lo:[0,0,1] neg_hi:[0,0,1]
	v_pk_fma_f32 v[48:49], v[50:51], v[32:33], v[48:49] op_sel:[0,0,1] op_sel_hi:[1,0,0]
	v_mov_b32_e32 v55, v49
	ds_load_2addr_b64 v[48:51], v216 offset0:48 offset1:49
	v_pk_add_f32 v[188:189], v[188:189], v[54:55] neg_lo:[0,1] neg_hi:[0,1]
	s_wait_dscnt 0x0
	v_pk_mul_f32 v[54:55], v[48:49], v[42:43] op_sel:[0,1]
	s_delay_alu instid0(VALU_DEP_1) | instskip(SKIP_1) | instid1(VALU_DEP_1)
	v_pk_fma_f32 v[68:69], v[48:49], v[32:33], v[54:55] op_sel:[0,0,1] op_sel_hi:[1,1,0] neg_lo:[0,0,1] neg_hi:[0,0,1]
	v_pk_fma_f32 v[48:49], v[48:49], v[32:33], v[54:55] op_sel:[0,0,1] op_sel_hi:[1,0,0]
	v_mov_b32_e32 v69, v49
	v_pk_mul_f32 v[48:49], v[50:51], v[42:43] op_sel:[0,1]
	s_delay_alu instid0(VALU_DEP_2) | instskip(NEXT) | instid1(VALU_DEP_2)
	v_pk_add_f32 v[214:215], v[214:215], v[68:69] neg_lo:[0,1] neg_hi:[0,1]
	v_pk_fma_f32 v[54:55], v[50:51], v[32:33], v[48:49] op_sel:[0,0,1] op_sel_hi:[1,1,0] neg_lo:[0,0,1] neg_hi:[0,0,1]
	v_pk_fma_f32 v[48:49], v[50:51], v[32:33], v[48:49] op_sel:[0,0,1] op_sel_hi:[1,0,0]
	s_delay_alu instid0(VALU_DEP_1) | instskip(SKIP_4) | instid1(VALU_DEP_1)
	v_mov_b32_e32 v55, v49
	ds_load_2addr_b64 v[48:51], v216 offset0:50 offset1:51
	v_pk_add_f32 v[210:211], v[210:211], v[54:55] neg_lo:[0,1] neg_hi:[0,1]
	s_wait_dscnt 0x0
	v_pk_mul_f32 v[54:55], v[48:49], v[42:43] op_sel:[0,1]
	v_pk_fma_f32 v[68:69], v[48:49], v[32:33], v[54:55] op_sel:[0,0,1] op_sel_hi:[1,1,0] neg_lo:[0,0,1] neg_hi:[0,0,1]
	v_pk_fma_f32 v[48:49], v[48:49], v[32:33], v[54:55] op_sel:[0,0,1] op_sel_hi:[1,0,0]
	v_dual_mul_f32 v54, v51, v43 :: v_dual_mov_b32 v48, v51
	s_delay_alu instid0(VALU_DEP_2) | instskip(NEXT) | instid1(VALU_DEP_2)
	v_dual_mov_b32 v69, v49 :: v_dual_mov_b32 v49, v50
	v_pk_fma_f32 v[54:55], v[50:51], v[78:79], v[54:55] op_sel_hi:[1,1,0] neg_lo:[0,0,1] neg_hi:[0,0,1]
	v_mul_f32_e32 v50, v51, v32
	s_delay_alu instid0(VALU_DEP_3) | instskip(NEXT) | instid1(VALU_DEP_2)
	v_pk_add_f32 v[212:213], v[212:213], v[68:69] neg_lo:[0,1] neg_hi:[0,1]
	v_pk_fma_f32 v[48:49], v[48:49], v[78:79], v[50:51] op_sel_hi:[1,1,0]
	s_delay_alu instid0(VALU_DEP_1) | instskip(SKIP_4) | instid1(VALU_DEP_1)
	v_mov_b32_e32 v55, v49
	ds_load_2addr_b64 v[48:51], v216 offset0:52 offset1:53
	v_pk_add_f32 v[208:209], v[208:209], v[54:55] neg_lo:[0,1] neg_hi:[0,1]
	s_wait_dscnt 0x0
	v_pk_mul_f32 v[54:55], v[48:49], v[42:43] op_sel:[0,1]
	v_pk_fma_f32 v[68:69], v[48:49], v[32:33], v[54:55] op_sel:[0,0,1] op_sel_hi:[1,1,0] neg_lo:[0,0,1] neg_hi:[0,0,1]
	v_pk_fma_f32 v[48:49], v[48:49], v[32:33], v[54:55] op_sel:[0,0,1] op_sel_hi:[1,0,0]
	s_delay_alu instid0(VALU_DEP_1) | instskip(SKIP_1) | instid1(VALU_DEP_1)
	v_mov_b32_e32 v69, v49
	v_pk_mul_f32 v[48:49], v[50:51], v[42:43] op_sel:[0,1]
	v_pk_fma_f32 v[54:55], v[50:51], v[32:33], v[48:49] op_sel:[0,0,1] op_sel_hi:[1,1,0] neg_lo:[0,0,1] neg_hi:[0,0,1]
	v_pk_fma_f32 v[48:49], v[50:51], v[32:33], v[48:49] op_sel:[0,0,1] op_sel_hi:[1,0,0]
	s_delay_alu instid0(VALU_DEP_1)
	v_mov_b32_e32 v55, v49
	ds_load_2addr_b64 v[48:51], v216 offset0:54 offset1:55
	v_pk_add_f32 v[236:237], v[236:237], v[68:69] neg_lo:[0,1] neg_hi:[0,1]
	v_pk_add_f32 v[230:231], v[230:231], v[54:55] neg_lo:[0,1] neg_hi:[0,1]
	s_wait_dscnt 0x0
	v_pk_mul_f32 v[54:55], v[48:49], v[42:43] op_sel:[0,1]
	s_delay_alu instid0(VALU_DEP_1) | instskip(SKIP_1) | instid1(VALU_DEP_1)
	v_pk_fma_f32 v[68:69], v[48:49], v[32:33], v[54:55] op_sel:[0,0,1] op_sel_hi:[1,1,0] neg_lo:[0,0,1] neg_hi:[0,0,1]
	v_pk_fma_f32 v[48:49], v[48:49], v[32:33], v[54:55] op_sel:[0,0,1] op_sel_hi:[1,0,0]
	v_mov_b32_e32 v69, v49
	v_pk_mul_f32 v[48:49], v[50:51], v[42:43] op_sel:[0,1]
	s_delay_alu instid0(VALU_DEP_1) | instskip(SKIP_1) | instid1(VALU_DEP_1)
	v_pk_fma_f32 v[54:55], v[50:51], v[32:33], v[48:49] op_sel:[0,0,1] op_sel_hi:[1,1,0] neg_lo:[0,0,1] neg_hi:[0,0,1]
	v_pk_fma_f32 v[48:49], v[50:51], v[32:33], v[48:49] op_sel:[0,0,1] op_sel_hi:[1,0,0]
	v_mov_b32_e32 v55, v49
	ds_load_2addr_b64 v[48:51], v216 offset0:56 offset1:57
	v_pk_add_f32 v[234:235], v[234:235], v[68:69] neg_lo:[0,1] neg_hi:[0,1]
	v_pk_add_f32 v[228:229], v[228:229], v[54:55] neg_lo:[0,1] neg_hi:[0,1]
	s_wait_dscnt 0x0
	v_dual_mul_f32 v54, v49, v43 :: v_dual_mul_f32 v68, v49, v32
	s_delay_alu instid0(VALU_DEP_1) | instskip(NEXT) | instid1(VALU_DEP_2)
	v_pk_fma_f32 v[54:55], v[48:49], v[78:79], v[54:55] op_sel_hi:[1,1,0] neg_lo:[0,0,1] neg_hi:[0,0,1]
	v_pk_fma_f32 v[48:49], v[48:49], v[78:79], v[68:69] op_sel:[1,0,0] op_sel_hi:[0,1,0]
	s_delay_alu instid0(VALU_DEP_1) | instskip(SKIP_1) | instid1(VALU_DEP_2)
	v_mov_b32_e32 v55, v49
	v_pk_mul_f32 v[48:49], v[50:51], v[42:43] op_sel:[0,1]
	v_pk_add_f32 v[232:233], v[232:233], v[54:55] neg_lo:[0,1] neg_hi:[0,1]
	s_delay_alu instid0(VALU_DEP_2) | instskip(SKIP_1) | instid1(VALU_DEP_1)
	v_pk_fma_f32 v[54:55], v[50:51], v[32:33], v[48:49] op_sel:[0,0,1] op_sel_hi:[1,1,0] neg_lo:[0,0,1] neg_hi:[0,0,1]
	v_pk_fma_f32 v[48:49], v[50:51], v[32:33], v[48:49] op_sel:[0,0,1] op_sel_hi:[1,0,0]
	v_mov_b32_e32 v55, v49
	ds_load_2addr_b64 v[48:51], v216 offset0:58 offset1:59
	v_pk_add_f32 v[226:227], v[226:227], v[54:55] neg_lo:[0,1] neg_hi:[0,1]
	s_wait_dscnt 0x0
	v_pk_mul_f32 v[54:55], v[48:49], v[42:43] op_sel:[0,1]
	v_mul_f32_e32 v42, v51, v43
	s_delay_alu instid0(VALU_DEP_2) | instskip(SKIP_2) | instid1(VALU_DEP_4)
	v_pk_fma_f32 v[68:69], v[48:49], v[32:33], v[54:55] op_sel:[0,0,1] op_sel_hi:[1,1,0] neg_lo:[0,0,1] neg_hi:[0,0,1]
	v_pk_fma_f32 v[48:49], v[48:49], v[32:33], v[54:55] op_sel:[0,0,1] op_sel_hi:[1,0,0]
	v_dual_mov_b32 v48, v51 :: v_dual_mul_f32 v32, v51, v32
	v_pk_fma_f32 v[42:43], v[50:51], v[78:79], v[42:43] op_sel_hi:[1,1,0] neg_lo:[0,0,1] neg_hi:[0,0,1]
	s_delay_alu instid0(VALU_DEP_3) | instskip(NEXT) | instid1(VALU_DEP_1)
	v_dual_mov_b32 v69, v49 :: v_dual_mov_b32 v49, v50
	v_pk_add_f32 v[238:239], v[238:239], v[68:69] neg_lo:[0,1] neg_hi:[0,1]
	s_delay_alu instid0(VALU_DEP_2) | instskip(NEXT) | instid1(VALU_DEP_1)
	v_pk_fma_f32 v[32:33], v[48:49], v[78:79], v[32:33] op_sel_hi:[1,1,0]
	v_mov_b32_e32 v43, v33
	s_delay_alu instid0(VALU_DEP_1)
	v_pk_add_f32 v[240:241], v[240:241], v[42:43] neg_lo:[0,1] neg_hi:[0,1]
.LBB119_163:
	s_or_b32 exec_lo, exec_lo, s1
	s_delay_alu instid0(SALU_CYCLE_1)
	s_mov_b32 s2, exec_lo
	s_wait_dscnt 0x0
	s_barrier_signal -1
	s_barrier_wait -1
	v_cmpx_eq_u32_e32 18, v206
	s_cbranch_execz .LBB119_170
; %bb.164:
	ds_store_b64 v207, v[80:81]
	ds_store_2addr_b64 v216, v[76:77], v[98:99] offset0:19 offset1:20
	ds_store_2addr_b64 v216, v[94:95], v[96:97] offset0:21 offset1:22
	;; [unrolled: 1-line block ×20, first 2 shown]
	ds_store_b64 v216, v[240:241] offset:472
	ds_load_b64 v[32:33], v207
	s_wait_dscnt 0x0
	v_cmp_neq_f32_e32 vcc_lo, 0, v32
	v_cmp_neq_f32_e64 s1, 0, v33
	s_or_b32 s1, vcc_lo, s1
	s_delay_alu instid0(SALU_CYCLE_1)
	s_and_b32 exec_lo, exec_lo, s1
	s_cbranch_execz .LBB119_170
; %bb.165:
	v_cmp_ngt_f32_e64 s1, |v32|, |v33|
                                        ; implicit-def: $vgpr42_vgpr43
	s_and_saveexec_b32 s4, s1
	s_delay_alu instid0(SALU_CYCLE_1)
	s_xor_b32 s1, exec_lo, s4
	s_cbranch_execz .LBB119_167
; %bb.166:
	v_div_scale_f32 v42, null, v33, v33, v32
	v_div_scale_f32 v49, vcc_lo, v32, v33, v32
	s_delay_alu instid0(VALU_DEP_2) | instskip(SKIP_1) | instid1(TRANS32_DEP_1)
	v_rcp_f32_e32 v43, v42
	v_nop
	v_fma_f32 v48, -v42, v43, 1.0
	s_delay_alu instid0(VALU_DEP_1) | instskip(NEXT) | instid1(VALU_DEP_1)
	v_fmac_f32_e32 v43, v48, v43
	v_mul_f32_e32 v48, v49, v43
	s_delay_alu instid0(VALU_DEP_1) | instskip(NEXT) | instid1(VALU_DEP_1)
	v_fma_f32 v50, -v42, v48, v49
	v_fmac_f32_e32 v48, v50, v43
	s_delay_alu instid0(VALU_DEP_1) | instskip(NEXT) | instid1(VALU_DEP_1)
	v_fma_f32 v42, -v42, v48, v49
	v_div_fmas_f32 v42, v42, v43, v48
	s_delay_alu instid0(VALU_DEP_1) | instskip(NEXT) | instid1(VALU_DEP_1)
	v_div_fixup_f32 v42, v42, v33, v32
	v_fmac_f32_e32 v33, v32, v42
	s_delay_alu instid0(VALU_DEP_1) | instskip(SKIP_1) | instid1(VALU_DEP_2)
	v_div_scale_f32 v32, null, v33, v33, 1.0
	v_div_scale_f32 v49, vcc_lo, 1.0, v33, 1.0
	v_rcp_f32_e32 v43, v32
	v_nop
	s_delay_alu instid0(TRANS32_DEP_1) | instskip(NEXT) | instid1(VALU_DEP_1)
	v_fma_f32 v48, -v32, v43, 1.0
	v_fmac_f32_e32 v43, v48, v43
	s_delay_alu instid0(VALU_DEP_1) | instskip(NEXT) | instid1(VALU_DEP_1)
	v_mul_f32_e32 v48, v49, v43
	v_fma_f32 v50, -v32, v48, v49
	s_delay_alu instid0(VALU_DEP_1) | instskip(NEXT) | instid1(VALU_DEP_1)
	v_fmac_f32_e32 v48, v50, v43
	v_fma_f32 v32, -v32, v48, v49
	s_delay_alu instid0(VALU_DEP_1) | instskip(NEXT) | instid1(VALU_DEP_1)
	v_div_fmas_f32 v32, v32, v43, v48
	v_div_fixup_f32 v32, v32, v33, 1.0
	s_delay_alu instid0(VALU_DEP_1)
	v_mul_f32_e32 v42, v42, v32
	v_xor_b32_e32 v43, 0x80000000, v32
                                        ; implicit-def: $vgpr32_vgpr33
.LBB119_167:
	s_and_not1_saveexec_b32 s1, s1
	s_cbranch_execz .LBB119_169
; %bb.168:
	v_div_scale_f32 v42, null, v32, v32, v33
	v_div_scale_f32 v49, vcc_lo, v33, v32, v33
	s_delay_alu instid0(VALU_DEP_2) | instskip(SKIP_1) | instid1(TRANS32_DEP_1)
	v_rcp_f32_e32 v43, v42
	v_nop
	v_fma_f32 v48, -v42, v43, 1.0
	s_delay_alu instid0(VALU_DEP_1) | instskip(NEXT) | instid1(VALU_DEP_1)
	v_fmac_f32_e32 v43, v48, v43
	v_mul_f32_e32 v48, v49, v43
	s_delay_alu instid0(VALU_DEP_1) | instskip(NEXT) | instid1(VALU_DEP_1)
	v_fma_f32 v50, -v42, v48, v49
	v_fmac_f32_e32 v48, v50, v43
	s_delay_alu instid0(VALU_DEP_1) | instskip(NEXT) | instid1(VALU_DEP_1)
	v_fma_f32 v42, -v42, v48, v49
	v_div_fmas_f32 v42, v42, v43, v48
	s_delay_alu instid0(VALU_DEP_1) | instskip(NEXT) | instid1(VALU_DEP_1)
	v_div_fixup_f32 v43, v42, v32, v33
	v_fmac_f32_e32 v32, v33, v43
	s_delay_alu instid0(VALU_DEP_1) | instskip(NEXT) | instid1(VALU_DEP_1)
	v_div_scale_f32 v33, null, v32, v32, 1.0
	v_rcp_f32_e32 v42, v33
	v_nop
	s_delay_alu instid0(TRANS32_DEP_1) | instskip(NEXT) | instid1(VALU_DEP_1)
	v_fma_f32 v48, -v33, v42, 1.0
	v_fmac_f32_e32 v42, v48, v42
	v_div_scale_f32 v48, vcc_lo, 1.0, v32, 1.0
	s_delay_alu instid0(VALU_DEP_1) | instskip(NEXT) | instid1(VALU_DEP_1)
	v_mul_f32_e32 v49, v48, v42
	v_fma_f32 v50, -v33, v49, v48
	s_delay_alu instid0(VALU_DEP_1) | instskip(NEXT) | instid1(VALU_DEP_1)
	v_fmac_f32_e32 v49, v50, v42
	v_fma_f32 v33, -v33, v49, v48
	s_delay_alu instid0(VALU_DEP_1) | instskip(NEXT) | instid1(VALU_DEP_1)
	v_div_fmas_f32 v33, v33, v42, v49
	v_div_fixup_f32 v42, v33, v32, 1.0
	s_delay_alu instid0(VALU_DEP_1)
	v_mul_f32_e64 v43, v43, -v42
.LBB119_169:
	s_or_b32 exec_lo, exec_lo, s1
	ds_store_b64 v207, v[42:43]
.LBB119_170:
	s_or_b32 exec_lo, exec_lo, s2
	s_wait_dscnt 0x0
	s_barrier_signal -1
	s_barrier_wait -1
	ds_load_b64 v[32:33], v207
	s_mov_b32 s1, exec_lo
	v_cmpx_lt_u32_e32 18, v206
	s_cbranch_execz .LBB119_172
; %bb.171:
	ds_load_2addr_b64 v[68:71], v216 offset0:19 offset1:20
	s_wait_dscnt 0x1
	v_pk_mul_f32 v[48:49], v[32:33], v[80:81] op_sel:[1,1] op_sel_hi:[0,1]
	s_delay_alu instid0(VALU_DEP_1) | instskip(SKIP_1) | instid1(VALU_DEP_1)
	v_pk_fma_f32 v[42:43], v[32:33], v[80:81], v[48:49] op_sel_hi:[1,0,1] neg_lo:[0,0,1] neg_hi:[0,0,1]
	v_pk_fma_f32 v[48:49], v[32:33], v[80:81], v[48:49] op_sel_hi:[1,0,1]
	v_dual_mov_b32 v80, v42 :: v_dual_mov_b32 v81, v49
	s_wait_dscnt 0x0
	s_delay_alu instid0(VALU_DEP_2) | instskip(NEXT) | instid1(VALU_DEP_1)
	v_pk_mul_f32 v[50:51], v[68:69], v[48:49] op_sel:[0,1]
	v_pk_fma_f32 v[54:55], v[68:69], v[42:43], v[50:51] op_sel:[0,0,1] op_sel_hi:[1,1,0] neg_lo:[0,0,1] neg_hi:[0,0,1]
	v_pk_fma_f32 v[50:51], v[68:69], v[42:43], v[50:51] op_sel:[0,0,1] op_sel_hi:[1,0,0]
	s_delay_alu instid0(VALU_DEP_1) | instskip(SKIP_1) | instid1(VALU_DEP_2)
	v_mov_b32_e32 v55, v51
	v_pk_mul_f32 v[50:51], v[70:71], v[48:49] op_sel:[0,1]
	v_pk_add_f32 v[76:77], v[76:77], v[54:55] neg_lo:[0,1] neg_hi:[0,1]
	s_delay_alu instid0(VALU_DEP_2) | instskip(SKIP_3) | instid1(VALU_DEP_1)
	v_pk_fma_f32 v[54:55], v[70:71], v[42:43], v[50:51] op_sel:[0,0,1] op_sel_hi:[1,1,0] neg_lo:[0,0,1] neg_hi:[0,0,1]
	v_pk_fma_f32 v[50:51], v[70:71], v[42:43], v[50:51] op_sel:[0,0,1] op_sel_hi:[1,0,0]
	ds_load_2addr_b64 v[68:71], v216 offset0:21 offset1:22
	v_mov_b32_e32 v55, v51
	v_pk_add_f32 v[98:99], v[98:99], v[54:55] neg_lo:[0,1] neg_hi:[0,1]
	s_wait_dscnt 0x0
	v_pk_mul_f32 v[50:51], v[68:69], v[48:49] op_sel:[0,1]
	s_delay_alu instid0(VALU_DEP_1) | instskip(SKIP_2) | instid1(VALU_DEP_2)
	v_pk_fma_f32 v[54:55], v[68:69], v[42:43], v[50:51] op_sel:[0,0,1] op_sel_hi:[1,1,0] neg_lo:[0,0,1] neg_hi:[0,0,1]
	v_pk_fma_f32 v[50:51], v[68:69], v[42:43], v[50:51] op_sel:[0,0,1] op_sel_hi:[1,0,0]
	v_dual_mov_b32 v50, v71 :: v_dual_mul_f32 v68, v71, v42
	v_dual_mov_b32 v55, v51 :: v_dual_mov_b32 v51, v70
	s_delay_alu instid0(VALU_DEP_1) | instskip(SKIP_1) | instid1(VALU_DEP_3)
	v_pk_add_f32 v[94:95], v[94:95], v[54:55] neg_lo:[0,1] neg_hi:[0,1]
	v_mul_f32_e32 v54, v71, v49
	v_pk_fma_f32 v[50:51], v[50:51], v[80:81], v[68:69] op_sel_hi:[1,1,0]
	s_delay_alu instid0(VALU_DEP_2) | instskip(SKIP_2) | instid1(VALU_DEP_1)
	v_pk_fma_f32 v[54:55], v[70:71], v[80:81], v[54:55] op_sel_hi:[1,1,0] neg_lo:[0,0,1] neg_hi:[0,0,1]
	ds_load_2addr_b64 v[68:71], v216 offset0:23 offset1:24
	v_mov_b32_e32 v55, v51
	v_pk_add_f32 v[96:97], v[96:97], v[54:55] neg_lo:[0,1] neg_hi:[0,1]
	s_wait_dscnt 0x0
	v_pk_mul_f32 v[50:51], v[68:69], v[48:49] op_sel:[0,1]
	s_delay_alu instid0(VALU_DEP_1) | instskip(SKIP_1) | instid1(VALU_DEP_1)
	v_pk_fma_f32 v[54:55], v[68:69], v[42:43], v[50:51] op_sel:[0,0,1] op_sel_hi:[1,1,0] neg_lo:[0,0,1] neg_hi:[0,0,1]
	v_pk_fma_f32 v[50:51], v[68:69], v[42:43], v[50:51] op_sel:[0,0,1] op_sel_hi:[1,0,0]
	v_mov_b32_e32 v55, v51
	v_pk_mul_f32 v[50:51], v[70:71], v[48:49] op_sel:[0,1]
	s_delay_alu instid0(VALU_DEP_2) | instskip(NEXT) | instid1(VALU_DEP_2)
	v_pk_add_f32 v[92:93], v[92:93], v[54:55] neg_lo:[0,1] neg_hi:[0,1]
	v_pk_fma_f32 v[54:55], v[70:71], v[42:43], v[50:51] op_sel:[0,0,1] op_sel_hi:[1,1,0] neg_lo:[0,0,1] neg_hi:[0,0,1]
	v_pk_fma_f32 v[50:51], v[70:71], v[42:43], v[50:51] op_sel:[0,0,1] op_sel_hi:[1,0,0]
	ds_load_2addr_b64 v[68:71], v216 offset0:25 offset1:26
	v_mov_b32_e32 v55, v51
	s_delay_alu instid0(VALU_DEP_1) | instskip(SKIP_2) | instid1(VALU_DEP_1)
	v_pk_add_f32 v[114:115], v[114:115], v[54:55] neg_lo:[0,1] neg_hi:[0,1]
	s_wait_dscnt 0x0
	v_pk_mul_f32 v[50:51], v[68:69], v[48:49] op_sel:[0,1]
	v_pk_fma_f32 v[54:55], v[68:69], v[42:43], v[50:51] op_sel:[0,0,1] op_sel_hi:[1,1,0] neg_lo:[0,0,1] neg_hi:[0,0,1]
	v_pk_fma_f32 v[50:51], v[68:69], v[42:43], v[50:51] op_sel:[0,0,1] op_sel_hi:[1,0,0]
	s_delay_alu instid0(VALU_DEP_1) | instskip(SKIP_1) | instid1(VALU_DEP_2)
	v_mov_b32_e32 v55, v51
	v_pk_mul_f32 v[50:51], v[70:71], v[48:49] op_sel:[0,1]
	v_pk_add_f32 v[110:111], v[110:111], v[54:55] neg_lo:[0,1] neg_hi:[0,1]
	s_delay_alu instid0(VALU_DEP_2) | instskip(SKIP_3) | instid1(VALU_DEP_1)
	v_pk_fma_f32 v[54:55], v[70:71], v[42:43], v[50:51] op_sel:[0,0,1] op_sel_hi:[1,1,0] neg_lo:[0,0,1] neg_hi:[0,0,1]
	v_pk_fma_f32 v[50:51], v[70:71], v[42:43], v[50:51] op_sel:[0,0,1] op_sel_hi:[1,0,0]
	ds_load_2addr_b64 v[68:71], v216 offset0:27 offset1:28
	v_mov_b32_e32 v55, v51
	v_pk_add_f32 v[112:113], v[112:113], v[54:55] neg_lo:[0,1] neg_hi:[0,1]
	s_wait_dscnt 0x0
	v_dual_mul_f32 v54, v69, v42 :: v_dual_mul_f32 v50, v69, v49
	s_delay_alu instid0(VALU_DEP_1) | instskip(NEXT) | instid1(VALU_DEP_2)
	v_pk_fma_f32 v[54:55], v[68:69], v[80:81], v[54:55] op_sel:[1,0,0] op_sel_hi:[0,1,0]
	v_pk_fma_f32 v[50:51], v[68:69], v[80:81], v[50:51] op_sel_hi:[1,1,0] neg_lo:[0,0,1] neg_hi:[0,0,1]
	s_delay_alu instid0(VALU_DEP_2) | instskip(NEXT) | instid1(VALU_DEP_1)
	v_mov_b32_e32 v51, v55
	v_pk_add_f32 v[108:109], v[108:109], v[50:51] neg_lo:[0,1] neg_hi:[0,1]
	v_pk_mul_f32 v[50:51], v[70:71], v[48:49] op_sel:[0,1]
	s_delay_alu instid0(VALU_DEP_1) | instskip(SKIP_3) | instid1(VALU_DEP_1)
	v_pk_fma_f32 v[54:55], v[70:71], v[42:43], v[50:51] op_sel:[0,0,1] op_sel_hi:[1,1,0] neg_lo:[0,0,1] neg_hi:[0,0,1]
	v_pk_fma_f32 v[50:51], v[70:71], v[42:43], v[50:51] op_sel:[0,0,1] op_sel_hi:[1,0,0]
	ds_load_2addr_b64 v[68:71], v216 offset0:29 offset1:30
	v_mov_b32_e32 v55, v51
	v_pk_add_f32 v[130:131], v[130:131], v[54:55] neg_lo:[0,1] neg_hi:[0,1]
	s_wait_dscnt 0x0
	v_pk_mul_f32 v[50:51], v[68:69], v[48:49] op_sel:[0,1]
	s_delay_alu instid0(VALU_DEP_1) | instskip(SKIP_1) | instid1(VALU_DEP_1)
	v_pk_fma_f32 v[54:55], v[68:69], v[42:43], v[50:51] op_sel:[0,0,1] op_sel_hi:[1,1,0] neg_lo:[0,0,1] neg_hi:[0,0,1]
	v_pk_fma_f32 v[50:51], v[68:69], v[42:43], v[50:51] op_sel:[0,0,1] op_sel_hi:[1,0,0]
	v_mov_b32_e32 v55, v51
	v_pk_mul_f32 v[50:51], v[70:71], v[48:49] op_sel:[0,1]
	s_delay_alu instid0(VALU_DEP_2) | instskip(NEXT) | instid1(VALU_DEP_2)
	v_pk_add_f32 v[126:127], v[126:127], v[54:55] neg_lo:[0,1] neg_hi:[0,1]
	v_pk_fma_f32 v[54:55], v[70:71], v[42:43], v[50:51] op_sel:[0,0,1] op_sel_hi:[1,1,0] neg_lo:[0,0,1] neg_hi:[0,0,1]
	v_pk_fma_f32 v[50:51], v[70:71], v[42:43], v[50:51] op_sel:[0,0,1] op_sel_hi:[1,0,0]
	ds_load_2addr_b64 v[68:71], v216 offset0:31 offset1:32
	v_mov_b32_e32 v55, v51
	s_delay_alu instid0(VALU_DEP_1) | instskip(SKIP_2) | instid1(VALU_DEP_1)
	v_pk_add_f32 v[128:129], v[128:129], v[54:55] neg_lo:[0,1] neg_hi:[0,1]
	s_wait_dscnt 0x0
	v_pk_mul_f32 v[50:51], v[68:69], v[48:49] op_sel:[0,1]
	v_pk_fma_f32 v[54:55], v[68:69], v[42:43], v[50:51] op_sel:[0,0,1] op_sel_hi:[1,1,0] neg_lo:[0,0,1] neg_hi:[0,0,1]
	v_pk_fma_f32 v[50:51], v[68:69], v[42:43], v[50:51] op_sel:[0,0,1] op_sel_hi:[1,0,0]
	v_dual_mov_b32 v50, v71 :: v_dual_mul_f32 v68, v71, v42
	s_delay_alu instid0(VALU_DEP_2) | instskip(NEXT) | instid1(VALU_DEP_1)
	v_dual_mov_b32 v55, v51 :: v_dual_mov_b32 v51, v70
	v_pk_add_f32 v[124:125], v[124:125], v[54:55] neg_lo:[0,1] neg_hi:[0,1]
	v_mul_f32_e32 v54, v71, v49
	s_delay_alu instid0(VALU_DEP_3) | instskip(NEXT) | instid1(VALU_DEP_2)
	v_pk_fma_f32 v[50:51], v[50:51], v[80:81], v[68:69] op_sel_hi:[1,1,0]
	v_pk_fma_f32 v[54:55], v[70:71], v[80:81], v[54:55] op_sel_hi:[1,1,0] neg_lo:[0,0,1] neg_hi:[0,0,1]
	ds_load_2addr_b64 v[68:71], v216 offset0:33 offset1:34
	v_mov_b32_e32 v55, v51
	s_delay_alu instid0(VALU_DEP_1) | instskip(SKIP_2) | instid1(VALU_DEP_1)
	v_pk_add_f32 v[146:147], v[146:147], v[54:55] neg_lo:[0,1] neg_hi:[0,1]
	s_wait_dscnt 0x0
	v_pk_mul_f32 v[50:51], v[68:69], v[48:49] op_sel:[0,1]
	v_pk_fma_f32 v[54:55], v[68:69], v[42:43], v[50:51] op_sel:[0,0,1] op_sel_hi:[1,1,0] neg_lo:[0,0,1] neg_hi:[0,0,1]
	v_pk_fma_f32 v[50:51], v[68:69], v[42:43], v[50:51] op_sel:[0,0,1] op_sel_hi:[1,0,0]
	s_delay_alu instid0(VALU_DEP_1) | instskip(SKIP_1) | instid1(VALU_DEP_2)
	v_mov_b32_e32 v55, v51
	v_pk_mul_f32 v[50:51], v[70:71], v[48:49] op_sel:[0,1]
	v_pk_add_f32 v[142:143], v[142:143], v[54:55] neg_lo:[0,1] neg_hi:[0,1]
	s_delay_alu instid0(VALU_DEP_2) | instskip(SKIP_3) | instid1(VALU_DEP_1)
	v_pk_fma_f32 v[54:55], v[70:71], v[42:43], v[50:51] op_sel:[0,0,1] op_sel_hi:[1,1,0] neg_lo:[0,0,1] neg_hi:[0,0,1]
	v_pk_fma_f32 v[50:51], v[70:71], v[42:43], v[50:51] op_sel:[0,0,1] op_sel_hi:[1,0,0]
	ds_load_2addr_b64 v[68:71], v216 offset0:35 offset1:36
	v_mov_b32_e32 v55, v51
	v_pk_add_f32 v[144:145], v[144:145], v[54:55] neg_lo:[0,1] neg_hi:[0,1]
	s_wait_dscnt 0x0
	v_pk_mul_f32 v[50:51], v[68:69], v[48:49] op_sel:[0,1]
	s_delay_alu instid0(VALU_DEP_1) | instskip(SKIP_1) | instid1(VALU_DEP_1)
	v_pk_fma_f32 v[54:55], v[68:69], v[42:43], v[50:51] op_sel:[0,0,1] op_sel_hi:[1,1,0] neg_lo:[0,0,1] neg_hi:[0,0,1]
	v_pk_fma_f32 v[50:51], v[68:69], v[42:43], v[50:51] op_sel:[0,0,1] op_sel_hi:[1,0,0]
	v_mov_b32_e32 v55, v51
	v_pk_mul_f32 v[50:51], v[70:71], v[48:49] op_sel:[0,1]
	s_delay_alu instid0(VALU_DEP_2) | instskip(NEXT) | instid1(VALU_DEP_2)
	v_pk_add_f32 v[140:141], v[140:141], v[54:55] neg_lo:[0,1] neg_hi:[0,1]
	v_pk_fma_f32 v[54:55], v[70:71], v[42:43], v[50:51] op_sel:[0,0,1] op_sel_hi:[1,1,0] neg_lo:[0,0,1] neg_hi:[0,0,1]
	v_pk_fma_f32 v[50:51], v[70:71], v[42:43], v[50:51] op_sel:[0,0,1] op_sel_hi:[1,0,0]
	ds_load_2addr_b64 v[68:71], v216 offset0:37 offset1:38
	v_mov_b32_e32 v55, v51
	s_delay_alu instid0(VALU_DEP_1) | instskip(SKIP_2) | instid1(VALU_DEP_1)
	v_pk_add_f32 v[162:163], v[162:163], v[54:55] neg_lo:[0,1] neg_hi:[0,1]
	s_wait_dscnt 0x0
	v_dual_mul_f32 v54, v69, v42 :: v_dual_mul_f32 v50, v69, v49
	v_pk_fma_f32 v[54:55], v[68:69], v[80:81], v[54:55] op_sel:[1,0,0] op_sel_hi:[0,1,0]
	s_delay_alu instid0(VALU_DEP_2) | instskip(NEXT) | instid1(VALU_DEP_2)
	v_pk_fma_f32 v[50:51], v[68:69], v[80:81], v[50:51] op_sel_hi:[1,1,0] neg_lo:[0,0,1] neg_hi:[0,0,1]
	v_mov_b32_e32 v51, v55
	s_delay_alu instid0(VALU_DEP_1) | instskip(SKIP_1) | instid1(VALU_DEP_1)
	v_pk_add_f32 v[158:159], v[158:159], v[50:51] neg_lo:[0,1] neg_hi:[0,1]
	v_pk_mul_f32 v[50:51], v[70:71], v[48:49] op_sel:[0,1]
	v_pk_fma_f32 v[54:55], v[70:71], v[42:43], v[50:51] op_sel:[0,0,1] op_sel_hi:[1,1,0] neg_lo:[0,0,1] neg_hi:[0,0,1]
	v_pk_fma_f32 v[50:51], v[70:71], v[42:43], v[50:51] op_sel:[0,0,1] op_sel_hi:[1,0,0]
	ds_load_2addr_b64 v[68:71], v216 offset0:39 offset1:40
	v_mov_b32_e32 v55, v51
	s_delay_alu instid0(VALU_DEP_1) | instskip(SKIP_2) | instid1(VALU_DEP_1)
	v_pk_add_f32 v[160:161], v[160:161], v[54:55] neg_lo:[0,1] neg_hi:[0,1]
	s_wait_dscnt 0x0
	v_pk_mul_f32 v[50:51], v[68:69], v[48:49] op_sel:[0,1]
	v_pk_fma_f32 v[54:55], v[68:69], v[42:43], v[50:51] op_sel:[0,0,1] op_sel_hi:[1,1,0] neg_lo:[0,0,1] neg_hi:[0,0,1]
	v_pk_fma_f32 v[50:51], v[68:69], v[42:43], v[50:51] op_sel:[0,0,1] op_sel_hi:[1,0,0]
	s_delay_alu instid0(VALU_DEP_1) | instskip(SKIP_1) | instid1(VALU_DEP_2)
	v_mov_b32_e32 v55, v51
	v_pk_mul_f32 v[50:51], v[70:71], v[48:49] op_sel:[0,1]
	v_pk_add_f32 v[156:157], v[156:157], v[54:55] neg_lo:[0,1] neg_hi:[0,1]
	s_delay_alu instid0(VALU_DEP_2) | instskip(SKIP_3) | instid1(VALU_DEP_1)
	v_pk_fma_f32 v[54:55], v[70:71], v[42:43], v[50:51] op_sel:[0,0,1] op_sel_hi:[1,1,0] neg_lo:[0,0,1] neg_hi:[0,0,1]
	v_pk_fma_f32 v[50:51], v[70:71], v[42:43], v[50:51] op_sel:[0,0,1] op_sel_hi:[1,0,0]
	ds_load_2addr_b64 v[68:71], v216 offset0:41 offset1:42
	v_mov_b32_e32 v55, v51
	v_pk_add_f32 v[178:179], v[178:179], v[54:55] neg_lo:[0,1] neg_hi:[0,1]
	s_wait_dscnt 0x0
	v_pk_mul_f32 v[50:51], v[68:69], v[48:49] op_sel:[0,1]
	s_delay_alu instid0(VALU_DEP_1) | instskip(SKIP_2) | instid1(VALU_DEP_2)
	v_pk_fma_f32 v[54:55], v[68:69], v[42:43], v[50:51] op_sel:[0,0,1] op_sel_hi:[1,1,0] neg_lo:[0,0,1] neg_hi:[0,0,1]
	v_pk_fma_f32 v[50:51], v[68:69], v[42:43], v[50:51] op_sel:[0,0,1] op_sel_hi:[1,0,0]
	v_dual_mov_b32 v50, v71 :: v_dual_mul_f32 v68, v71, v42
	v_dual_mov_b32 v55, v51 :: v_dual_mov_b32 v51, v70
	s_delay_alu instid0(VALU_DEP_1) | instskip(SKIP_1) | instid1(VALU_DEP_3)
	v_pk_add_f32 v[174:175], v[174:175], v[54:55] neg_lo:[0,1] neg_hi:[0,1]
	v_mul_f32_e32 v54, v71, v49
	v_pk_fma_f32 v[50:51], v[50:51], v[80:81], v[68:69] op_sel_hi:[1,1,0]
	s_delay_alu instid0(VALU_DEP_2) | instskip(SKIP_2) | instid1(VALU_DEP_1)
	v_pk_fma_f32 v[54:55], v[70:71], v[80:81], v[54:55] op_sel_hi:[1,1,0] neg_lo:[0,0,1] neg_hi:[0,0,1]
	ds_load_2addr_b64 v[68:71], v216 offset0:43 offset1:44
	v_mov_b32_e32 v55, v51
	v_pk_add_f32 v[176:177], v[176:177], v[54:55] neg_lo:[0,1] neg_hi:[0,1]
	s_wait_dscnt 0x0
	v_pk_mul_f32 v[50:51], v[68:69], v[48:49] op_sel:[0,1]
	s_delay_alu instid0(VALU_DEP_1) | instskip(SKIP_1) | instid1(VALU_DEP_1)
	v_pk_fma_f32 v[54:55], v[68:69], v[42:43], v[50:51] op_sel:[0,0,1] op_sel_hi:[1,1,0] neg_lo:[0,0,1] neg_hi:[0,0,1]
	v_pk_fma_f32 v[50:51], v[68:69], v[42:43], v[50:51] op_sel:[0,0,1] op_sel_hi:[1,0,0]
	v_mov_b32_e32 v55, v51
	v_pk_mul_f32 v[50:51], v[70:71], v[48:49] op_sel:[0,1]
	s_delay_alu instid0(VALU_DEP_2) | instskip(NEXT) | instid1(VALU_DEP_2)
	v_pk_add_f32 v[172:173], v[172:173], v[54:55] neg_lo:[0,1] neg_hi:[0,1]
	v_pk_fma_f32 v[54:55], v[70:71], v[42:43], v[50:51] op_sel:[0,0,1] op_sel_hi:[1,1,0] neg_lo:[0,0,1] neg_hi:[0,0,1]
	v_pk_fma_f32 v[50:51], v[70:71], v[42:43], v[50:51] op_sel:[0,0,1] op_sel_hi:[1,0,0]
	ds_load_2addr_b64 v[68:71], v216 offset0:45 offset1:46
	v_mov_b32_e32 v55, v51
	s_delay_alu instid0(VALU_DEP_1) | instskip(SKIP_2) | instid1(VALU_DEP_1)
	v_pk_add_f32 v[194:195], v[194:195], v[54:55] neg_lo:[0,1] neg_hi:[0,1]
	s_wait_dscnt 0x0
	v_pk_mul_f32 v[50:51], v[68:69], v[48:49] op_sel:[0,1]
	v_pk_fma_f32 v[54:55], v[68:69], v[42:43], v[50:51] op_sel:[0,0,1] op_sel_hi:[1,1,0] neg_lo:[0,0,1] neg_hi:[0,0,1]
	v_pk_fma_f32 v[50:51], v[68:69], v[42:43], v[50:51] op_sel:[0,0,1] op_sel_hi:[1,0,0]
	s_delay_alu instid0(VALU_DEP_1) | instskip(SKIP_1) | instid1(VALU_DEP_2)
	v_mov_b32_e32 v55, v51
	v_pk_mul_f32 v[50:51], v[70:71], v[48:49] op_sel:[0,1]
	v_pk_add_f32 v[190:191], v[190:191], v[54:55] neg_lo:[0,1] neg_hi:[0,1]
	s_delay_alu instid0(VALU_DEP_2) | instskip(SKIP_3) | instid1(VALU_DEP_1)
	v_pk_fma_f32 v[54:55], v[70:71], v[42:43], v[50:51] op_sel:[0,0,1] op_sel_hi:[1,1,0] neg_lo:[0,0,1] neg_hi:[0,0,1]
	v_pk_fma_f32 v[50:51], v[70:71], v[42:43], v[50:51] op_sel:[0,0,1] op_sel_hi:[1,0,0]
	ds_load_2addr_b64 v[68:71], v216 offset0:47 offset1:48
	v_mov_b32_e32 v55, v51
	v_pk_add_f32 v[192:193], v[192:193], v[54:55] neg_lo:[0,1] neg_hi:[0,1]
	s_wait_dscnt 0x0
	v_dual_mul_f32 v54, v69, v42 :: v_dual_mul_f32 v50, v69, v49
	s_delay_alu instid0(VALU_DEP_1) | instskip(NEXT) | instid1(VALU_DEP_2)
	v_pk_fma_f32 v[54:55], v[68:69], v[80:81], v[54:55] op_sel:[1,0,0] op_sel_hi:[0,1,0]
	v_pk_fma_f32 v[50:51], v[68:69], v[80:81], v[50:51] op_sel_hi:[1,1,0] neg_lo:[0,0,1] neg_hi:[0,0,1]
	s_delay_alu instid0(VALU_DEP_2) | instskip(NEXT) | instid1(VALU_DEP_1)
	v_mov_b32_e32 v51, v55
	v_pk_add_f32 v[188:189], v[188:189], v[50:51] neg_lo:[0,1] neg_hi:[0,1]
	v_pk_mul_f32 v[50:51], v[70:71], v[48:49] op_sel:[0,1]
	s_delay_alu instid0(VALU_DEP_1) | instskip(SKIP_3) | instid1(VALU_DEP_1)
	v_pk_fma_f32 v[54:55], v[70:71], v[42:43], v[50:51] op_sel:[0,0,1] op_sel_hi:[1,1,0] neg_lo:[0,0,1] neg_hi:[0,0,1]
	v_pk_fma_f32 v[50:51], v[70:71], v[42:43], v[50:51] op_sel:[0,0,1] op_sel_hi:[1,0,0]
	ds_load_2addr_b64 v[68:71], v216 offset0:49 offset1:50
	v_mov_b32_e32 v55, v51
	v_pk_add_f32 v[214:215], v[214:215], v[54:55] neg_lo:[0,1] neg_hi:[0,1]
	s_wait_dscnt 0x0
	v_pk_mul_f32 v[50:51], v[68:69], v[48:49] op_sel:[0,1]
	s_delay_alu instid0(VALU_DEP_1) | instskip(SKIP_1) | instid1(VALU_DEP_1)
	v_pk_fma_f32 v[54:55], v[68:69], v[42:43], v[50:51] op_sel:[0,0,1] op_sel_hi:[1,1,0] neg_lo:[0,0,1] neg_hi:[0,0,1]
	v_pk_fma_f32 v[50:51], v[68:69], v[42:43], v[50:51] op_sel:[0,0,1] op_sel_hi:[1,0,0]
	v_mov_b32_e32 v55, v51
	v_pk_mul_f32 v[50:51], v[70:71], v[48:49] op_sel:[0,1]
	s_delay_alu instid0(VALU_DEP_2) | instskip(NEXT) | instid1(VALU_DEP_2)
	v_pk_add_f32 v[210:211], v[210:211], v[54:55] neg_lo:[0,1] neg_hi:[0,1]
	v_pk_fma_f32 v[54:55], v[70:71], v[42:43], v[50:51] op_sel:[0,0,1] op_sel_hi:[1,1,0] neg_lo:[0,0,1] neg_hi:[0,0,1]
	v_pk_fma_f32 v[50:51], v[70:71], v[42:43], v[50:51] op_sel:[0,0,1] op_sel_hi:[1,0,0]
	ds_load_2addr_b64 v[68:71], v216 offset0:51 offset1:52
	v_mov_b32_e32 v55, v51
	s_delay_alu instid0(VALU_DEP_1) | instskip(SKIP_2) | instid1(VALU_DEP_1)
	v_pk_add_f32 v[212:213], v[212:213], v[54:55] neg_lo:[0,1] neg_hi:[0,1]
	s_wait_dscnt 0x0
	v_pk_mul_f32 v[50:51], v[68:69], v[48:49] op_sel:[0,1]
	v_pk_fma_f32 v[54:55], v[68:69], v[42:43], v[50:51] op_sel:[0,0,1] op_sel_hi:[1,1,0] neg_lo:[0,0,1] neg_hi:[0,0,1]
	v_pk_fma_f32 v[50:51], v[68:69], v[42:43], v[50:51] op_sel:[0,0,1] op_sel_hi:[1,0,0]
	v_dual_mov_b32 v50, v71 :: v_dual_mul_f32 v68, v71, v42
	s_delay_alu instid0(VALU_DEP_2) | instskip(NEXT) | instid1(VALU_DEP_1)
	v_dual_mov_b32 v55, v51 :: v_dual_mov_b32 v51, v70
	v_pk_add_f32 v[208:209], v[208:209], v[54:55] neg_lo:[0,1] neg_hi:[0,1]
	v_mul_f32_e32 v54, v71, v49
	s_delay_alu instid0(VALU_DEP_3) | instskip(NEXT) | instid1(VALU_DEP_2)
	v_pk_fma_f32 v[50:51], v[50:51], v[80:81], v[68:69] op_sel_hi:[1,1,0]
	v_pk_fma_f32 v[54:55], v[70:71], v[80:81], v[54:55] op_sel_hi:[1,1,0] neg_lo:[0,0,1] neg_hi:[0,0,1]
	ds_load_2addr_b64 v[68:71], v216 offset0:53 offset1:54
	v_mov_b32_e32 v55, v51
	s_delay_alu instid0(VALU_DEP_1) | instskip(SKIP_2) | instid1(VALU_DEP_1)
	v_pk_add_f32 v[236:237], v[236:237], v[54:55] neg_lo:[0,1] neg_hi:[0,1]
	s_wait_dscnt 0x0
	v_pk_mul_f32 v[50:51], v[68:69], v[48:49] op_sel:[0,1]
	v_pk_fma_f32 v[54:55], v[68:69], v[42:43], v[50:51] op_sel:[0,0,1] op_sel_hi:[1,1,0] neg_lo:[0,0,1] neg_hi:[0,0,1]
	v_pk_fma_f32 v[50:51], v[68:69], v[42:43], v[50:51] op_sel:[0,0,1] op_sel_hi:[1,0,0]
	s_delay_alu instid0(VALU_DEP_1) | instskip(SKIP_1) | instid1(VALU_DEP_2)
	v_mov_b32_e32 v55, v51
	v_pk_mul_f32 v[50:51], v[70:71], v[48:49] op_sel:[0,1]
	v_pk_add_f32 v[230:231], v[230:231], v[54:55] neg_lo:[0,1] neg_hi:[0,1]
	s_delay_alu instid0(VALU_DEP_2) | instskip(SKIP_3) | instid1(VALU_DEP_1)
	v_pk_fma_f32 v[54:55], v[70:71], v[42:43], v[50:51] op_sel:[0,0,1] op_sel_hi:[1,1,0] neg_lo:[0,0,1] neg_hi:[0,0,1]
	v_pk_fma_f32 v[50:51], v[70:71], v[42:43], v[50:51] op_sel:[0,0,1] op_sel_hi:[1,0,0]
	ds_load_2addr_b64 v[68:71], v216 offset0:55 offset1:56
	v_mov_b32_e32 v55, v51
	v_pk_add_f32 v[234:235], v[234:235], v[54:55] neg_lo:[0,1] neg_hi:[0,1]
	s_wait_dscnt 0x0
	v_pk_mul_f32 v[50:51], v[68:69], v[48:49] op_sel:[0,1]
	s_delay_alu instid0(VALU_DEP_1) | instskip(SKIP_1) | instid1(VALU_DEP_1)
	v_pk_fma_f32 v[54:55], v[68:69], v[42:43], v[50:51] op_sel:[0,0,1] op_sel_hi:[1,1,0] neg_lo:[0,0,1] neg_hi:[0,0,1]
	v_pk_fma_f32 v[50:51], v[68:69], v[42:43], v[50:51] op_sel:[0,0,1] op_sel_hi:[1,0,0]
	v_mov_b32_e32 v55, v51
	v_pk_mul_f32 v[50:51], v[70:71], v[48:49] op_sel:[0,1]
	s_delay_alu instid0(VALU_DEP_2) | instskip(NEXT) | instid1(VALU_DEP_2)
	v_pk_add_f32 v[228:229], v[228:229], v[54:55] neg_lo:[0,1] neg_hi:[0,1]
	v_pk_fma_f32 v[54:55], v[70:71], v[42:43], v[50:51] op_sel:[0,0,1] op_sel_hi:[1,1,0] neg_lo:[0,0,1] neg_hi:[0,0,1]
	v_pk_fma_f32 v[50:51], v[70:71], v[42:43], v[50:51] op_sel:[0,0,1] op_sel_hi:[1,0,0]
	ds_load_2addr_b64 v[68:71], v216 offset0:57 offset1:58
	v_mov_b32_e32 v55, v51
	s_delay_alu instid0(VALU_DEP_1) | instskip(SKIP_2) | instid1(VALU_DEP_1)
	v_pk_add_f32 v[232:233], v[232:233], v[54:55] neg_lo:[0,1] neg_hi:[0,1]
	s_wait_dscnt 0x0
	v_dual_mul_f32 v54, v69, v42 :: v_dual_mul_f32 v50, v69, v49
	v_pk_fma_f32 v[54:55], v[68:69], v[80:81], v[54:55] op_sel:[1,0,0] op_sel_hi:[0,1,0]
	s_delay_alu instid0(VALU_DEP_2) | instskip(NEXT) | instid1(VALU_DEP_2)
	v_pk_fma_f32 v[50:51], v[68:69], v[80:81], v[50:51] op_sel_hi:[1,1,0] neg_lo:[0,0,1] neg_hi:[0,0,1]
	v_mov_b32_e32 v51, v55
	s_delay_alu instid0(VALU_DEP_1) | instskip(SKIP_1) | instid1(VALU_DEP_1)
	v_pk_add_f32 v[226:227], v[226:227], v[50:51] neg_lo:[0,1] neg_hi:[0,1]
	v_pk_mul_f32 v[50:51], v[70:71], v[48:49] op_sel:[0,1]
	v_pk_fma_f32 v[54:55], v[70:71], v[42:43], v[50:51] op_sel:[0,0,1] op_sel_hi:[1,1,0] neg_lo:[0,0,1] neg_hi:[0,0,1]
	v_pk_fma_f32 v[50:51], v[70:71], v[42:43], v[50:51] op_sel:[0,0,1] op_sel_hi:[1,0,0]
	s_delay_alu instid0(VALU_DEP_1) | instskip(SKIP_4) | instid1(VALU_DEP_1)
	v_mov_b32_e32 v55, v51
	ds_load_b64 v[50:51], v216 offset:472
	v_pk_add_f32 v[238:239], v[238:239], v[54:55] neg_lo:[0,1] neg_hi:[0,1]
	s_wait_dscnt 0x0
	v_pk_mul_f32 v[48:49], v[50:51], v[48:49] op_sel:[0,1]
	v_pk_fma_f32 v[54:55], v[50:51], v[42:43], v[48:49] op_sel:[0,0,1] op_sel_hi:[1,1,0] neg_lo:[0,0,1] neg_hi:[0,0,1]
	v_pk_fma_f32 v[42:43], v[50:51], v[42:43], v[48:49] op_sel:[0,0,1] op_sel_hi:[1,0,0]
	s_delay_alu instid0(VALU_DEP_1) | instskip(NEXT) | instid1(VALU_DEP_1)
	v_mov_b32_e32 v55, v43
	v_pk_add_f32 v[240:241], v[240:241], v[54:55] neg_lo:[0,1] neg_hi:[0,1]
.LBB119_172:
	s_or_b32 exec_lo, exec_lo, s1
	s_delay_alu instid0(SALU_CYCLE_1)
	s_mov_b32 s2, exec_lo
	s_wait_dscnt 0x0
	s_barrier_signal -1
	s_barrier_wait -1
	v_cmpx_eq_u32_e32 19, v206
	s_cbranch_execz .LBB119_179
; %bb.173:
	v_dual_mov_b32 v42, v98 :: v_dual_mov_b32 v43, v99
	v_dual_mov_b32 v48, v94 :: v_dual_mov_b32 v49, v95
	ds_store_b64 v207, v[76:77]
	ds_store_2addr_b64 v216, v[42:43], v[48:49] offset0:20 offset1:21
	v_dual_mov_b32 v42, v96 :: v_dual_mov_b32 v43, v97
	v_dual_mov_b32 v48, v92 :: v_dual_mov_b32 v49, v93
	ds_store_2addr_b64 v216, v[42:43], v[48:49] offset0:22 offset1:23
	v_dual_mov_b32 v42, v114 :: v_dual_mov_b32 v43, v115
	v_dual_mov_b32 v48, v110 :: v_dual_mov_b32 v49, v111
	;; [unrolled: 3-line block ×18, first 2 shown]
	ds_store_2addr_b64 v216, v[42:43], v[48:49] offset0:56 offset1:57
	v_dual_mov_b32 v42, v238 :: v_dual_mov_b32 v43, v239
	ds_store_2addr_b64 v216, v[42:43], v[240:241] offset0:58 offset1:59
	ds_load_b64 v[42:43], v207
	s_wait_dscnt 0x0
	v_cmp_neq_f32_e32 vcc_lo, 0, v42
	v_cmp_neq_f32_e64 s1, 0, v43
	s_or_b32 s1, vcc_lo, s1
	s_delay_alu instid0(SALU_CYCLE_1)
	s_and_b32 exec_lo, exec_lo, s1
	s_cbranch_execz .LBB119_179
; %bb.174:
	v_cmp_ngt_f32_e64 s1, |v42|, |v43|
                                        ; implicit-def: $vgpr48_vgpr49
	s_and_saveexec_b32 s4, s1
	s_delay_alu instid0(SALU_CYCLE_1)
	s_xor_b32 s1, exec_lo, s4
	s_cbranch_execz .LBB119_176
; %bb.175:
	v_div_scale_f32 v48, null, v43, v43, v42
	v_div_scale_f32 v51, vcc_lo, v42, v43, v42
	s_delay_alu instid0(VALU_DEP_2) | instskip(SKIP_1) | instid1(TRANS32_DEP_1)
	v_rcp_f32_e32 v49, v48
	v_nop
	v_fma_f32 v50, -v48, v49, 1.0
	s_delay_alu instid0(VALU_DEP_1) | instskip(NEXT) | instid1(VALU_DEP_1)
	v_fmac_f32_e32 v49, v50, v49
	v_mul_f32_e32 v50, v51, v49
	s_delay_alu instid0(VALU_DEP_1) | instskip(NEXT) | instid1(VALU_DEP_1)
	v_fma_f32 v54, -v48, v50, v51
	v_fmac_f32_e32 v50, v54, v49
	s_delay_alu instid0(VALU_DEP_1) | instskip(NEXT) | instid1(VALU_DEP_1)
	v_fma_f32 v48, -v48, v50, v51
	v_div_fmas_f32 v48, v48, v49, v50
	s_delay_alu instid0(VALU_DEP_1) | instskip(NEXT) | instid1(VALU_DEP_1)
	v_div_fixup_f32 v48, v48, v43, v42
	v_fmac_f32_e32 v43, v42, v48
	s_delay_alu instid0(VALU_DEP_1) | instskip(SKIP_1) | instid1(VALU_DEP_2)
	v_div_scale_f32 v42, null, v43, v43, 1.0
	v_div_scale_f32 v51, vcc_lo, 1.0, v43, 1.0
	v_rcp_f32_e32 v49, v42
	v_nop
	s_delay_alu instid0(TRANS32_DEP_1) | instskip(NEXT) | instid1(VALU_DEP_1)
	v_fma_f32 v50, -v42, v49, 1.0
	v_fmac_f32_e32 v49, v50, v49
	s_delay_alu instid0(VALU_DEP_1) | instskip(NEXT) | instid1(VALU_DEP_1)
	v_mul_f32_e32 v50, v51, v49
	v_fma_f32 v54, -v42, v50, v51
	s_delay_alu instid0(VALU_DEP_1) | instskip(NEXT) | instid1(VALU_DEP_1)
	v_fmac_f32_e32 v50, v54, v49
	v_fma_f32 v42, -v42, v50, v51
	s_delay_alu instid0(VALU_DEP_1) | instskip(NEXT) | instid1(VALU_DEP_1)
	v_div_fmas_f32 v42, v42, v49, v50
	v_div_fixup_f32 v42, v42, v43, 1.0
	s_delay_alu instid0(VALU_DEP_1)
	v_mul_f32_e32 v48, v48, v42
	v_xor_b32_e32 v49, 0x80000000, v42
                                        ; implicit-def: $vgpr42_vgpr43
.LBB119_176:
	s_and_not1_saveexec_b32 s1, s1
	s_cbranch_execz .LBB119_178
; %bb.177:
	v_div_scale_f32 v48, null, v42, v42, v43
	v_div_scale_f32 v51, vcc_lo, v43, v42, v43
	s_delay_alu instid0(VALU_DEP_2) | instskip(SKIP_1) | instid1(TRANS32_DEP_1)
	v_rcp_f32_e32 v49, v48
	v_nop
	v_fma_f32 v50, -v48, v49, 1.0
	s_delay_alu instid0(VALU_DEP_1) | instskip(NEXT) | instid1(VALU_DEP_1)
	v_fmac_f32_e32 v49, v50, v49
	v_mul_f32_e32 v50, v51, v49
	s_delay_alu instid0(VALU_DEP_1) | instskip(NEXT) | instid1(VALU_DEP_1)
	v_fma_f32 v54, -v48, v50, v51
	v_fmac_f32_e32 v50, v54, v49
	s_delay_alu instid0(VALU_DEP_1) | instskip(NEXT) | instid1(VALU_DEP_1)
	v_fma_f32 v48, -v48, v50, v51
	v_div_fmas_f32 v48, v48, v49, v50
	s_delay_alu instid0(VALU_DEP_1) | instskip(NEXT) | instid1(VALU_DEP_1)
	v_div_fixup_f32 v49, v48, v42, v43
	v_fmac_f32_e32 v42, v43, v49
	s_delay_alu instid0(VALU_DEP_1) | instskip(NEXT) | instid1(VALU_DEP_1)
	v_div_scale_f32 v43, null, v42, v42, 1.0
	v_rcp_f32_e32 v48, v43
	v_nop
	s_delay_alu instid0(TRANS32_DEP_1) | instskip(NEXT) | instid1(VALU_DEP_1)
	v_fma_f32 v50, -v43, v48, 1.0
	v_fmac_f32_e32 v48, v50, v48
	v_div_scale_f32 v50, vcc_lo, 1.0, v42, 1.0
	s_delay_alu instid0(VALU_DEP_1) | instskip(NEXT) | instid1(VALU_DEP_1)
	v_mul_f32_e32 v51, v50, v48
	v_fma_f32 v54, -v43, v51, v50
	s_delay_alu instid0(VALU_DEP_1) | instskip(NEXT) | instid1(VALU_DEP_1)
	v_fmac_f32_e32 v51, v54, v48
	v_fma_f32 v43, -v43, v51, v50
	s_delay_alu instid0(VALU_DEP_1) | instskip(NEXT) | instid1(VALU_DEP_1)
	v_div_fmas_f32 v43, v43, v48, v51
	v_div_fixup_f32 v48, v43, v42, 1.0
	s_delay_alu instid0(VALU_DEP_1)
	v_mul_f32_e64 v49, v49, -v48
.LBB119_178:
	s_or_b32 exec_lo, exec_lo, s1
	ds_store_b64 v207, v[48:49]
.LBB119_179:
	s_or_b32 exec_lo, exec_lo, s2
	s_wait_dscnt 0x0
	s_barrier_signal -1
	s_barrier_wait -1
	ds_load_b64 v[42:43], v207
	s_mov_b32 s1, exec_lo
	v_cmpx_lt_u32_e32 19, v206
	s_cbranch_execz .LBB119_181
; %bb.180:
	ds_load_2addr_b64 v[68:71], v216 offset0:20 offset1:21
	s_wait_dscnt 0x1
	v_pk_mul_f32 v[50:51], v[42:43], v[76:77] op_sel:[1,1] op_sel_hi:[0,1]
	s_delay_alu instid0(VALU_DEP_1) | instskip(SKIP_1) | instid1(VALU_DEP_1)
	v_pk_fma_f32 v[48:49], v[42:43], v[76:77], v[50:51] op_sel_hi:[1,0,1] neg_lo:[0,0,1] neg_hi:[0,0,1]
	v_pk_fma_f32 v[50:51], v[42:43], v[76:77], v[50:51] op_sel_hi:[1,0,1]
	v_dual_mov_b32 v76, v48 :: v_dual_mov_b32 v77, v51
	s_wait_dscnt 0x0
	s_delay_alu instid0(VALU_DEP_2) | instskip(NEXT) | instid1(VALU_DEP_1)
	v_pk_mul_f32 v[54:55], v[68:69], v[50:51] op_sel:[0,1]
	v_pk_fma_f32 v[72:73], v[68:69], v[48:49], v[54:55] op_sel:[0,0,1] op_sel_hi:[1,1,0] neg_lo:[0,0,1] neg_hi:[0,0,1]
	v_pk_fma_f32 v[54:55], v[68:69], v[48:49], v[54:55] op_sel:[0,0,1] op_sel_hi:[1,0,0]
	s_delay_alu instid0(VALU_DEP_1) | instskip(SKIP_1) | instid1(VALU_DEP_1)
	v_mov_b32_e32 v73, v55
	v_pk_mul_f32 v[54:55], v[70:71], v[50:51] op_sel:[0,1]
	v_pk_fma_f32 v[68:69], v[70:71], v[48:49], v[54:55] op_sel:[0,0,1] op_sel_hi:[1,1,0] neg_lo:[0,0,1] neg_hi:[0,0,1]
	v_pk_fma_f32 v[54:55], v[70:71], v[48:49], v[54:55] op_sel:[0,0,1] op_sel_hi:[1,0,0]
	s_delay_alu instid0(VALU_DEP_1) | instskip(SKIP_1) | instid1(VALU_DEP_2)
	v_mov_b32_e32 v69, v55
	v_pk_add_f32 v[98:99], v[98:99], v[72:73] neg_lo:[0,1] neg_hi:[0,1]
	v_pk_add_f32 v[94:95], v[94:95], v[68:69] neg_lo:[0,1] neg_hi:[0,1]
	ds_load_2addr_b64 v[68:71], v216 offset0:22 offset1:23
	s_wait_dscnt 0x0
	v_pk_mul_f32 v[54:55], v[68:69], v[50:51] op_sel:[0,1]
	s_delay_alu instid0(VALU_DEP_1) | instskip(SKIP_2) | instid1(VALU_DEP_2)
	v_pk_fma_f32 v[72:73], v[68:69], v[48:49], v[54:55] op_sel:[0,0,1] op_sel_hi:[1,1,0] neg_lo:[0,0,1] neg_hi:[0,0,1]
	v_pk_fma_f32 v[54:55], v[68:69], v[48:49], v[54:55] op_sel:[0,0,1] op_sel_hi:[1,0,0]
	v_dual_mul_f32 v68, v71, v51 :: v_dual_mov_b32 v54, v71
	v_dual_mov_b32 v73, v55 :: v_dual_mov_b32 v55, v70
	s_delay_alu instid0(VALU_DEP_2) | instskip(SKIP_1) | instid1(VALU_DEP_3)
	v_pk_fma_f32 v[68:69], v[70:71], v[76:77], v[68:69] op_sel_hi:[1,1,0] neg_lo:[0,0,1] neg_hi:[0,0,1]
	v_mul_f32_e32 v70, v71, v48
	v_pk_add_f32 v[96:97], v[96:97], v[72:73] neg_lo:[0,1] neg_hi:[0,1]
	s_delay_alu instid0(VALU_DEP_2) | instskip(NEXT) | instid1(VALU_DEP_1)
	v_pk_fma_f32 v[54:55], v[54:55], v[76:77], v[70:71] op_sel_hi:[1,1,0]
	v_mov_b32_e32 v69, v55
	s_delay_alu instid0(VALU_DEP_1) | instskip(SKIP_3) | instid1(VALU_DEP_1)
	v_pk_add_f32 v[92:93], v[92:93], v[68:69] neg_lo:[0,1] neg_hi:[0,1]
	ds_load_2addr_b64 v[68:71], v216 offset0:24 offset1:25
	s_wait_dscnt 0x0
	v_pk_mul_f32 v[54:55], v[68:69], v[50:51] op_sel:[0,1]
	v_pk_fma_f32 v[72:73], v[68:69], v[48:49], v[54:55] op_sel:[0,0,1] op_sel_hi:[1,1,0] neg_lo:[0,0,1] neg_hi:[0,0,1]
	v_pk_fma_f32 v[54:55], v[68:69], v[48:49], v[54:55] op_sel:[0,0,1] op_sel_hi:[1,0,0]
	s_delay_alu instid0(VALU_DEP_1) | instskip(SKIP_1) | instid1(VALU_DEP_2)
	v_mov_b32_e32 v73, v55
	v_pk_mul_f32 v[54:55], v[70:71], v[50:51] op_sel:[0,1]
	v_pk_add_f32 v[114:115], v[114:115], v[72:73] neg_lo:[0,1] neg_hi:[0,1]
	s_delay_alu instid0(VALU_DEP_2) | instskip(SKIP_1) | instid1(VALU_DEP_1)
	v_pk_fma_f32 v[68:69], v[70:71], v[48:49], v[54:55] op_sel:[0,0,1] op_sel_hi:[1,1,0] neg_lo:[0,0,1] neg_hi:[0,0,1]
	v_pk_fma_f32 v[54:55], v[70:71], v[48:49], v[54:55] op_sel:[0,0,1] op_sel_hi:[1,0,0]
	v_mov_b32_e32 v69, v55
	s_delay_alu instid0(VALU_DEP_1) | instskip(SKIP_3) | instid1(VALU_DEP_1)
	v_pk_add_f32 v[110:111], v[110:111], v[68:69] neg_lo:[0,1] neg_hi:[0,1]
	ds_load_2addr_b64 v[68:71], v216 offset0:26 offset1:27
	s_wait_dscnt 0x0
	v_pk_mul_f32 v[54:55], v[68:69], v[50:51] op_sel:[0,1]
	v_pk_fma_f32 v[72:73], v[68:69], v[48:49], v[54:55] op_sel:[0,0,1] op_sel_hi:[1,1,0] neg_lo:[0,0,1] neg_hi:[0,0,1]
	v_pk_fma_f32 v[54:55], v[68:69], v[48:49], v[54:55] op_sel:[0,0,1] op_sel_hi:[1,0,0]
	s_delay_alu instid0(VALU_DEP_1) | instskip(SKIP_1) | instid1(VALU_DEP_2)
	v_mov_b32_e32 v73, v55
	v_pk_mul_f32 v[54:55], v[70:71], v[50:51] op_sel:[0,1]
	v_pk_add_f32 v[112:113], v[112:113], v[72:73] neg_lo:[0,1] neg_hi:[0,1]
	s_delay_alu instid0(VALU_DEP_2) | instskip(SKIP_1) | instid1(VALU_DEP_1)
	v_pk_fma_f32 v[68:69], v[70:71], v[48:49], v[54:55] op_sel:[0,0,1] op_sel_hi:[1,1,0] neg_lo:[0,0,1] neg_hi:[0,0,1]
	v_pk_fma_f32 v[54:55], v[70:71], v[48:49], v[54:55] op_sel:[0,0,1] op_sel_hi:[1,0,0]
	v_mov_b32_e32 v69, v55
	s_delay_alu instid0(VALU_DEP_1) | instskip(SKIP_3) | instid1(VALU_DEP_1)
	v_pk_add_f32 v[108:109], v[108:109], v[68:69] neg_lo:[0,1] neg_hi:[0,1]
	ds_load_2addr_b64 v[68:71], v216 offset0:28 offset1:29
	s_wait_dscnt 0x0
	v_dual_mul_f32 v54, v69, v51 :: v_dual_mul_f32 v72, v69, v48
	v_pk_fma_f32 v[54:55], v[68:69], v[76:77], v[54:55] op_sel_hi:[1,1,0] neg_lo:[0,0,1] neg_hi:[0,0,1]
	s_delay_alu instid0(VALU_DEP_2) | instskip(NEXT) | instid1(VALU_DEP_1)
	v_pk_fma_f32 v[68:69], v[68:69], v[76:77], v[72:73] op_sel:[1,0,0] op_sel_hi:[0,1,0]
	v_mov_b32_e32 v55, v69
	s_delay_alu instid0(VALU_DEP_1) | instskip(SKIP_1) | instid1(VALU_DEP_1)
	v_pk_add_f32 v[130:131], v[130:131], v[54:55] neg_lo:[0,1] neg_hi:[0,1]
	v_pk_mul_f32 v[54:55], v[70:71], v[50:51] op_sel:[0,1]
	v_pk_fma_f32 v[68:69], v[70:71], v[48:49], v[54:55] op_sel:[0,0,1] op_sel_hi:[1,1,0] neg_lo:[0,0,1] neg_hi:[0,0,1]
	v_pk_fma_f32 v[54:55], v[70:71], v[48:49], v[54:55] op_sel:[0,0,1] op_sel_hi:[1,0,0]
	s_delay_alu instid0(VALU_DEP_1) | instskip(NEXT) | instid1(VALU_DEP_1)
	v_mov_b32_e32 v69, v55
	v_pk_add_f32 v[126:127], v[126:127], v[68:69] neg_lo:[0,1] neg_hi:[0,1]
	ds_load_2addr_b64 v[68:71], v216 offset0:30 offset1:31
	s_wait_dscnt 0x0
	v_pk_mul_f32 v[54:55], v[68:69], v[50:51] op_sel:[0,1]
	s_delay_alu instid0(VALU_DEP_1) | instskip(SKIP_1) | instid1(VALU_DEP_1)
	v_pk_fma_f32 v[72:73], v[68:69], v[48:49], v[54:55] op_sel:[0,0,1] op_sel_hi:[1,1,0] neg_lo:[0,0,1] neg_hi:[0,0,1]
	v_pk_fma_f32 v[54:55], v[68:69], v[48:49], v[54:55] op_sel:[0,0,1] op_sel_hi:[1,0,0]
	v_mov_b32_e32 v73, v55
	v_pk_mul_f32 v[54:55], v[70:71], v[50:51] op_sel:[0,1]
	s_delay_alu instid0(VALU_DEP_2) | instskip(NEXT) | instid1(VALU_DEP_2)
	v_pk_add_f32 v[128:129], v[128:129], v[72:73] neg_lo:[0,1] neg_hi:[0,1]
	v_pk_fma_f32 v[68:69], v[70:71], v[48:49], v[54:55] op_sel:[0,0,1] op_sel_hi:[1,1,0] neg_lo:[0,0,1] neg_hi:[0,0,1]
	v_pk_fma_f32 v[54:55], v[70:71], v[48:49], v[54:55] op_sel:[0,0,1] op_sel_hi:[1,0,0]
	s_delay_alu instid0(VALU_DEP_1) | instskip(NEXT) | instid1(VALU_DEP_1)
	v_mov_b32_e32 v69, v55
	v_pk_add_f32 v[124:125], v[124:125], v[68:69] neg_lo:[0,1] neg_hi:[0,1]
	ds_load_2addr_b64 v[68:71], v216 offset0:32 offset1:33
	s_wait_dscnt 0x0
	v_pk_mul_f32 v[54:55], v[68:69], v[50:51] op_sel:[0,1]
	s_delay_alu instid0(VALU_DEP_1) | instskip(SKIP_2) | instid1(VALU_DEP_2)
	v_pk_fma_f32 v[72:73], v[68:69], v[48:49], v[54:55] op_sel:[0,0,1] op_sel_hi:[1,1,0] neg_lo:[0,0,1] neg_hi:[0,0,1]
	v_pk_fma_f32 v[54:55], v[68:69], v[48:49], v[54:55] op_sel:[0,0,1] op_sel_hi:[1,0,0]
	v_dual_mul_f32 v68, v71, v51 :: v_dual_mov_b32 v54, v71
	v_dual_mov_b32 v73, v55 :: v_dual_mov_b32 v55, v70
	s_delay_alu instid0(VALU_DEP_2) | instskip(SKIP_1) | instid1(VALU_DEP_3)
	v_pk_fma_f32 v[68:69], v[70:71], v[76:77], v[68:69] op_sel_hi:[1,1,0] neg_lo:[0,0,1] neg_hi:[0,0,1]
	v_mul_f32_e32 v70, v71, v48
	v_pk_add_f32 v[146:147], v[146:147], v[72:73] neg_lo:[0,1] neg_hi:[0,1]
	s_delay_alu instid0(VALU_DEP_2) | instskip(NEXT) | instid1(VALU_DEP_1)
	v_pk_fma_f32 v[54:55], v[54:55], v[76:77], v[70:71] op_sel_hi:[1,1,0]
	v_mov_b32_e32 v69, v55
	s_delay_alu instid0(VALU_DEP_1) | instskip(SKIP_3) | instid1(VALU_DEP_1)
	v_pk_add_f32 v[142:143], v[142:143], v[68:69] neg_lo:[0,1] neg_hi:[0,1]
	ds_load_2addr_b64 v[68:71], v216 offset0:34 offset1:35
	s_wait_dscnt 0x0
	v_pk_mul_f32 v[54:55], v[68:69], v[50:51] op_sel:[0,1]
	v_pk_fma_f32 v[72:73], v[68:69], v[48:49], v[54:55] op_sel:[0,0,1] op_sel_hi:[1,1,0] neg_lo:[0,0,1] neg_hi:[0,0,1]
	v_pk_fma_f32 v[54:55], v[68:69], v[48:49], v[54:55] op_sel:[0,0,1] op_sel_hi:[1,0,0]
	s_delay_alu instid0(VALU_DEP_1) | instskip(SKIP_1) | instid1(VALU_DEP_2)
	v_mov_b32_e32 v73, v55
	v_pk_mul_f32 v[54:55], v[70:71], v[50:51] op_sel:[0,1]
	v_pk_add_f32 v[144:145], v[144:145], v[72:73] neg_lo:[0,1] neg_hi:[0,1]
	s_delay_alu instid0(VALU_DEP_2) | instskip(SKIP_1) | instid1(VALU_DEP_1)
	v_pk_fma_f32 v[68:69], v[70:71], v[48:49], v[54:55] op_sel:[0,0,1] op_sel_hi:[1,1,0] neg_lo:[0,0,1] neg_hi:[0,0,1]
	v_pk_fma_f32 v[54:55], v[70:71], v[48:49], v[54:55] op_sel:[0,0,1] op_sel_hi:[1,0,0]
	v_mov_b32_e32 v69, v55
	s_delay_alu instid0(VALU_DEP_1) | instskip(SKIP_3) | instid1(VALU_DEP_1)
	v_pk_add_f32 v[140:141], v[140:141], v[68:69] neg_lo:[0,1] neg_hi:[0,1]
	ds_load_2addr_b64 v[68:71], v216 offset0:36 offset1:37
	s_wait_dscnt 0x0
	v_pk_mul_f32 v[54:55], v[68:69], v[50:51] op_sel:[0,1]
	v_pk_fma_f32 v[72:73], v[68:69], v[48:49], v[54:55] op_sel:[0,0,1] op_sel_hi:[1,1,0] neg_lo:[0,0,1] neg_hi:[0,0,1]
	v_pk_fma_f32 v[54:55], v[68:69], v[48:49], v[54:55] op_sel:[0,0,1] op_sel_hi:[1,0,0]
	s_delay_alu instid0(VALU_DEP_1) | instskip(SKIP_1) | instid1(VALU_DEP_2)
	v_mov_b32_e32 v73, v55
	v_pk_mul_f32 v[54:55], v[70:71], v[50:51] op_sel:[0,1]
	v_pk_add_f32 v[162:163], v[162:163], v[72:73] neg_lo:[0,1] neg_hi:[0,1]
	s_delay_alu instid0(VALU_DEP_2) | instskip(SKIP_1) | instid1(VALU_DEP_1)
	v_pk_fma_f32 v[68:69], v[70:71], v[48:49], v[54:55] op_sel:[0,0,1] op_sel_hi:[1,1,0] neg_lo:[0,0,1] neg_hi:[0,0,1]
	v_pk_fma_f32 v[54:55], v[70:71], v[48:49], v[54:55] op_sel:[0,0,1] op_sel_hi:[1,0,0]
	v_mov_b32_e32 v69, v55
	s_delay_alu instid0(VALU_DEP_1) | instskip(SKIP_3) | instid1(VALU_DEP_1)
	v_pk_add_f32 v[158:159], v[158:159], v[68:69] neg_lo:[0,1] neg_hi:[0,1]
	ds_load_2addr_b64 v[68:71], v216 offset0:38 offset1:39
	s_wait_dscnt 0x0
	v_dual_mul_f32 v54, v69, v51 :: v_dual_mul_f32 v72, v69, v48
	v_pk_fma_f32 v[54:55], v[68:69], v[76:77], v[54:55] op_sel_hi:[1,1,0] neg_lo:[0,0,1] neg_hi:[0,0,1]
	s_delay_alu instid0(VALU_DEP_2) | instskip(NEXT) | instid1(VALU_DEP_1)
	v_pk_fma_f32 v[68:69], v[68:69], v[76:77], v[72:73] op_sel:[1,0,0] op_sel_hi:[0,1,0]
	v_mov_b32_e32 v55, v69
	s_delay_alu instid0(VALU_DEP_1) | instskip(SKIP_1) | instid1(VALU_DEP_1)
	v_pk_add_f32 v[160:161], v[160:161], v[54:55] neg_lo:[0,1] neg_hi:[0,1]
	v_pk_mul_f32 v[54:55], v[70:71], v[50:51] op_sel:[0,1]
	v_pk_fma_f32 v[68:69], v[70:71], v[48:49], v[54:55] op_sel:[0,0,1] op_sel_hi:[1,1,0] neg_lo:[0,0,1] neg_hi:[0,0,1]
	v_pk_fma_f32 v[54:55], v[70:71], v[48:49], v[54:55] op_sel:[0,0,1] op_sel_hi:[1,0,0]
	s_delay_alu instid0(VALU_DEP_1) | instskip(NEXT) | instid1(VALU_DEP_1)
	v_mov_b32_e32 v69, v55
	v_pk_add_f32 v[156:157], v[156:157], v[68:69] neg_lo:[0,1] neg_hi:[0,1]
	ds_load_2addr_b64 v[68:71], v216 offset0:40 offset1:41
	s_wait_dscnt 0x0
	v_pk_mul_f32 v[54:55], v[68:69], v[50:51] op_sel:[0,1]
	s_delay_alu instid0(VALU_DEP_1) | instskip(SKIP_1) | instid1(VALU_DEP_1)
	v_pk_fma_f32 v[72:73], v[68:69], v[48:49], v[54:55] op_sel:[0,0,1] op_sel_hi:[1,1,0] neg_lo:[0,0,1] neg_hi:[0,0,1]
	v_pk_fma_f32 v[54:55], v[68:69], v[48:49], v[54:55] op_sel:[0,0,1] op_sel_hi:[1,0,0]
	v_mov_b32_e32 v73, v55
	v_pk_mul_f32 v[54:55], v[70:71], v[50:51] op_sel:[0,1]
	s_delay_alu instid0(VALU_DEP_2) | instskip(NEXT) | instid1(VALU_DEP_2)
	v_pk_add_f32 v[178:179], v[178:179], v[72:73] neg_lo:[0,1] neg_hi:[0,1]
	v_pk_fma_f32 v[68:69], v[70:71], v[48:49], v[54:55] op_sel:[0,0,1] op_sel_hi:[1,1,0] neg_lo:[0,0,1] neg_hi:[0,0,1]
	v_pk_fma_f32 v[54:55], v[70:71], v[48:49], v[54:55] op_sel:[0,0,1] op_sel_hi:[1,0,0]
	s_delay_alu instid0(VALU_DEP_1) | instskip(NEXT) | instid1(VALU_DEP_1)
	v_mov_b32_e32 v69, v55
	v_pk_add_f32 v[174:175], v[174:175], v[68:69] neg_lo:[0,1] neg_hi:[0,1]
	ds_load_2addr_b64 v[68:71], v216 offset0:42 offset1:43
	s_wait_dscnt 0x0
	v_pk_mul_f32 v[54:55], v[68:69], v[50:51] op_sel:[0,1]
	s_delay_alu instid0(VALU_DEP_1) | instskip(SKIP_2) | instid1(VALU_DEP_2)
	v_pk_fma_f32 v[72:73], v[68:69], v[48:49], v[54:55] op_sel:[0,0,1] op_sel_hi:[1,1,0] neg_lo:[0,0,1] neg_hi:[0,0,1]
	v_pk_fma_f32 v[54:55], v[68:69], v[48:49], v[54:55] op_sel:[0,0,1] op_sel_hi:[1,0,0]
	v_dual_mul_f32 v68, v71, v51 :: v_dual_mov_b32 v54, v71
	v_dual_mov_b32 v73, v55 :: v_dual_mov_b32 v55, v70
	s_delay_alu instid0(VALU_DEP_2) | instskip(SKIP_1) | instid1(VALU_DEP_3)
	v_pk_fma_f32 v[68:69], v[70:71], v[76:77], v[68:69] op_sel_hi:[1,1,0] neg_lo:[0,0,1] neg_hi:[0,0,1]
	v_mul_f32_e32 v70, v71, v48
	v_pk_add_f32 v[176:177], v[176:177], v[72:73] neg_lo:[0,1] neg_hi:[0,1]
	s_delay_alu instid0(VALU_DEP_2) | instskip(NEXT) | instid1(VALU_DEP_1)
	v_pk_fma_f32 v[54:55], v[54:55], v[76:77], v[70:71] op_sel_hi:[1,1,0]
	v_mov_b32_e32 v69, v55
	s_delay_alu instid0(VALU_DEP_1) | instskip(SKIP_3) | instid1(VALU_DEP_1)
	v_pk_add_f32 v[172:173], v[172:173], v[68:69] neg_lo:[0,1] neg_hi:[0,1]
	ds_load_2addr_b64 v[68:71], v216 offset0:44 offset1:45
	s_wait_dscnt 0x0
	v_pk_mul_f32 v[54:55], v[68:69], v[50:51] op_sel:[0,1]
	v_pk_fma_f32 v[72:73], v[68:69], v[48:49], v[54:55] op_sel:[0,0,1] op_sel_hi:[1,1,0] neg_lo:[0,0,1] neg_hi:[0,0,1]
	v_pk_fma_f32 v[54:55], v[68:69], v[48:49], v[54:55] op_sel:[0,0,1] op_sel_hi:[1,0,0]
	s_delay_alu instid0(VALU_DEP_1) | instskip(SKIP_1) | instid1(VALU_DEP_2)
	v_mov_b32_e32 v73, v55
	v_pk_mul_f32 v[54:55], v[70:71], v[50:51] op_sel:[0,1]
	v_pk_add_f32 v[194:195], v[194:195], v[72:73] neg_lo:[0,1] neg_hi:[0,1]
	s_delay_alu instid0(VALU_DEP_2) | instskip(SKIP_1) | instid1(VALU_DEP_1)
	v_pk_fma_f32 v[68:69], v[70:71], v[48:49], v[54:55] op_sel:[0,0,1] op_sel_hi:[1,1,0] neg_lo:[0,0,1] neg_hi:[0,0,1]
	v_pk_fma_f32 v[54:55], v[70:71], v[48:49], v[54:55] op_sel:[0,0,1] op_sel_hi:[1,0,0]
	v_mov_b32_e32 v69, v55
	s_delay_alu instid0(VALU_DEP_1) | instskip(SKIP_3) | instid1(VALU_DEP_1)
	v_pk_add_f32 v[190:191], v[190:191], v[68:69] neg_lo:[0,1] neg_hi:[0,1]
	ds_load_2addr_b64 v[68:71], v216 offset0:46 offset1:47
	s_wait_dscnt 0x0
	v_pk_mul_f32 v[54:55], v[68:69], v[50:51] op_sel:[0,1]
	v_pk_fma_f32 v[72:73], v[68:69], v[48:49], v[54:55] op_sel:[0,0,1] op_sel_hi:[1,1,0] neg_lo:[0,0,1] neg_hi:[0,0,1]
	v_pk_fma_f32 v[54:55], v[68:69], v[48:49], v[54:55] op_sel:[0,0,1] op_sel_hi:[1,0,0]
	s_delay_alu instid0(VALU_DEP_1) | instskip(SKIP_1) | instid1(VALU_DEP_2)
	v_mov_b32_e32 v73, v55
	v_pk_mul_f32 v[54:55], v[70:71], v[50:51] op_sel:[0,1]
	v_pk_add_f32 v[192:193], v[192:193], v[72:73] neg_lo:[0,1] neg_hi:[0,1]
	s_delay_alu instid0(VALU_DEP_2) | instskip(SKIP_1) | instid1(VALU_DEP_1)
	v_pk_fma_f32 v[68:69], v[70:71], v[48:49], v[54:55] op_sel:[0,0,1] op_sel_hi:[1,1,0] neg_lo:[0,0,1] neg_hi:[0,0,1]
	v_pk_fma_f32 v[54:55], v[70:71], v[48:49], v[54:55] op_sel:[0,0,1] op_sel_hi:[1,0,0]
	v_mov_b32_e32 v69, v55
	s_delay_alu instid0(VALU_DEP_1) | instskip(SKIP_3) | instid1(VALU_DEP_1)
	v_pk_add_f32 v[188:189], v[188:189], v[68:69] neg_lo:[0,1] neg_hi:[0,1]
	ds_load_2addr_b64 v[68:71], v216 offset0:48 offset1:49
	s_wait_dscnt 0x0
	v_dual_mul_f32 v54, v69, v51 :: v_dual_mul_f32 v72, v69, v48
	v_pk_fma_f32 v[54:55], v[68:69], v[76:77], v[54:55] op_sel_hi:[1,1,0] neg_lo:[0,0,1] neg_hi:[0,0,1]
	s_delay_alu instid0(VALU_DEP_2) | instskip(NEXT) | instid1(VALU_DEP_1)
	v_pk_fma_f32 v[68:69], v[68:69], v[76:77], v[72:73] op_sel:[1,0,0] op_sel_hi:[0,1,0]
	v_mov_b32_e32 v55, v69
	s_delay_alu instid0(VALU_DEP_1) | instskip(SKIP_1) | instid1(VALU_DEP_1)
	v_pk_add_f32 v[214:215], v[214:215], v[54:55] neg_lo:[0,1] neg_hi:[0,1]
	v_pk_mul_f32 v[54:55], v[70:71], v[50:51] op_sel:[0,1]
	v_pk_fma_f32 v[68:69], v[70:71], v[48:49], v[54:55] op_sel:[0,0,1] op_sel_hi:[1,1,0] neg_lo:[0,0,1] neg_hi:[0,0,1]
	v_pk_fma_f32 v[54:55], v[70:71], v[48:49], v[54:55] op_sel:[0,0,1] op_sel_hi:[1,0,0]
	s_delay_alu instid0(VALU_DEP_1) | instskip(NEXT) | instid1(VALU_DEP_1)
	v_mov_b32_e32 v69, v55
	v_pk_add_f32 v[210:211], v[210:211], v[68:69] neg_lo:[0,1] neg_hi:[0,1]
	ds_load_2addr_b64 v[68:71], v216 offset0:50 offset1:51
	s_wait_dscnt 0x0
	v_pk_mul_f32 v[54:55], v[68:69], v[50:51] op_sel:[0,1]
	s_delay_alu instid0(VALU_DEP_1) | instskip(SKIP_1) | instid1(VALU_DEP_1)
	v_pk_fma_f32 v[72:73], v[68:69], v[48:49], v[54:55] op_sel:[0,0,1] op_sel_hi:[1,1,0] neg_lo:[0,0,1] neg_hi:[0,0,1]
	v_pk_fma_f32 v[54:55], v[68:69], v[48:49], v[54:55] op_sel:[0,0,1] op_sel_hi:[1,0,0]
	v_mov_b32_e32 v73, v55
	v_pk_mul_f32 v[54:55], v[70:71], v[50:51] op_sel:[0,1]
	s_delay_alu instid0(VALU_DEP_2) | instskip(NEXT) | instid1(VALU_DEP_2)
	v_pk_add_f32 v[212:213], v[212:213], v[72:73] neg_lo:[0,1] neg_hi:[0,1]
	v_pk_fma_f32 v[68:69], v[70:71], v[48:49], v[54:55] op_sel:[0,0,1] op_sel_hi:[1,1,0] neg_lo:[0,0,1] neg_hi:[0,0,1]
	v_pk_fma_f32 v[54:55], v[70:71], v[48:49], v[54:55] op_sel:[0,0,1] op_sel_hi:[1,0,0]
	s_delay_alu instid0(VALU_DEP_1) | instskip(NEXT) | instid1(VALU_DEP_1)
	v_mov_b32_e32 v69, v55
	v_pk_add_f32 v[208:209], v[208:209], v[68:69] neg_lo:[0,1] neg_hi:[0,1]
	ds_load_2addr_b64 v[68:71], v216 offset0:52 offset1:53
	s_wait_dscnt 0x0
	v_pk_mul_f32 v[54:55], v[68:69], v[50:51] op_sel:[0,1]
	s_delay_alu instid0(VALU_DEP_1) | instskip(SKIP_2) | instid1(VALU_DEP_2)
	v_pk_fma_f32 v[72:73], v[68:69], v[48:49], v[54:55] op_sel:[0,0,1] op_sel_hi:[1,1,0] neg_lo:[0,0,1] neg_hi:[0,0,1]
	v_pk_fma_f32 v[54:55], v[68:69], v[48:49], v[54:55] op_sel:[0,0,1] op_sel_hi:[1,0,0]
	v_dual_mul_f32 v68, v71, v51 :: v_dual_mov_b32 v54, v71
	v_dual_mov_b32 v73, v55 :: v_dual_mov_b32 v55, v70
	s_delay_alu instid0(VALU_DEP_2) | instskip(SKIP_1) | instid1(VALU_DEP_3)
	v_pk_fma_f32 v[68:69], v[70:71], v[76:77], v[68:69] op_sel_hi:[1,1,0] neg_lo:[0,0,1] neg_hi:[0,0,1]
	v_mul_f32_e32 v70, v71, v48
	v_pk_add_f32 v[236:237], v[236:237], v[72:73] neg_lo:[0,1] neg_hi:[0,1]
	s_delay_alu instid0(VALU_DEP_2) | instskip(NEXT) | instid1(VALU_DEP_1)
	v_pk_fma_f32 v[54:55], v[54:55], v[76:77], v[70:71] op_sel_hi:[1,1,0]
	v_mov_b32_e32 v69, v55
	s_delay_alu instid0(VALU_DEP_1) | instskip(SKIP_3) | instid1(VALU_DEP_1)
	v_pk_add_f32 v[230:231], v[230:231], v[68:69] neg_lo:[0,1] neg_hi:[0,1]
	ds_load_2addr_b64 v[68:71], v216 offset0:54 offset1:55
	s_wait_dscnt 0x0
	v_pk_mul_f32 v[54:55], v[68:69], v[50:51] op_sel:[0,1]
	v_pk_fma_f32 v[72:73], v[68:69], v[48:49], v[54:55] op_sel:[0,0,1] op_sel_hi:[1,1,0] neg_lo:[0,0,1] neg_hi:[0,0,1]
	v_pk_fma_f32 v[54:55], v[68:69], v[48:49], v[54:55] op_sel:[0,0,1] op_sel_hi:[1,0,0]
	s_delay_alu instid0(VALU_DEP_1) | instskip(SKIP_1) | instid1(VALU_DEP_2)
	v_mov_b32_e32 v73, v55
	v_pk_mul_f32 v[54:55], v[70:71], v[50:51] op_sel:[0,1]
	v_pk_add_f32 v[234:235], v[234:235], v[72:73] neg_lo:[0,1] neg_hi:[0,1]
	s_delay_alu instid0(VALU_DEP_2) | instskip(SKIP_1) | instid1(VALU_DEP_1)
	v_pk_fma_f32 v[68:69], v[70:71], v[48:49], v[54:55] op_sel:[0,0,1] op_sel_hi:[1,1,0] neg_lo:[0,0,1] neg_hi:[0,0,1]
	v_pk_fma_f32 v[54:55], v[70:71], v[48:49], v[54:55] op_sel:[0,0,1] op_sel_hi:[1,0,0]
	v_mov_b32_e32 v69, v55
	s_delay_alu instid0(VALU_DEP_1) | instskip(SKIP_3) | instid1(VALU_DEP_1)
	v_pk_add_f32 v[228:229], v[228:229], v[68:69] neg_lo:[0,1] neg_hi:[0,1]
	ds_load_2addr_b64 v[68:71], v216 offset0:56 offset1:57
	s_wait_dscnt 0x0
	v_pk_mul_f32 v[54:55], v[68:69], v[50:51] op_sel:[0,1]
	v_pk_fma_f32 v[72:73], v[68:69], v[48:49], v[54:55] op_sel:[0,0,1] op_sel_hi:[1,1,0] neg_lo:[0,0,1] neg_hi:[0,0,1]
	v_pk_fma_f32 v[54:55], v[68:69], v[48:49], v[54:55] op_sel:[0,0,1] op_sel_hi:[1,0,0]
	s_delay_alu instid0(VALU_DEP_1) | instskip(SKIP_1) | instid1(VALU_DEP_2)
	v_mov_b32_e32 v73, v55
	v_pk_mul_f32 v[54:55], v[70:71], v[50:51] op_sel:[0,1]
	v_pk_add_f32 v[232:233], v[232:233], v[72:73] neg_lo:[0,1] neg_hi:[0,1]
	s_delay_alu instid0(VALU_DEP_2) | instskip(SKIP_1) | instid1(VALU_DEP_1)
	v_pk_fma_f32 v[68:69], v[70:71], v[48:49], v[54:55] op_sel:[0,0,1] op_sel_hi:[1,1,0] neg_lo:[0,0,1] neg_hi:[0,0,1]
	v_pk_fma_f32 v[54:55], v[70:71], v[48:49], v[54:55] op_sel:[0,0,1] op_sel_hi:[1,0,0]
	v_mov_b32_e32 v69, v55
	s_delay_alu instid0(VALU_DEP_1) | instskip(SKIP_4) | instid1(VALU_DEP_2)
	v_pk_add_f32 v[226:227], v[226:227], v[68:69] neg_lo:[0,1] neg_hi:[0,1]
	ds_load_2addr_b64 v[68:71], v216 offset0:58 offset1:59
	s_wait_dscnt 0x0
	v_dual_mul_f32 v54, v69, v51 :: v_dual_mul_f32 v72, v69, v48
	v_pk_mul_f32 v[50:51], v[70:71], v[50:51] op_sel:[0,1]
	v_pk_fma_f32 v[54:55], v[68:69], v[76:77], v[54:55] op_sel_hi:[1,1,0] neg_lo:[0,0,1] neg_hi:[0,0,1]
	s_delay_alu instid0(VALU_DEP_3) | instskip(NEXT) | instid1(VALU_DEP_1)
	v_pk_fma_f32 v[68:69], v[68:69], v[76:77], v[72:73] op_sel:[1,0,0] op_sel_hi:[0,1,0]
	v_mov_b32_e32 v55, v69
	s_delay_alu instid0(VALU_DEP_1) | instskip(SKIP_2) | instid1(VALU_DEP_1)
	v_pk_add_f32 v[238:239], v[238:239], v[54:55] neg_lo:[0,1] neg_hi:[0,1]
	v_pk_fma_f32 v[54:55], v[70:71], v[48:49], v[50:51] op_sel:[0,0,1] op_sel_hi:[1,1,0] neg_lo:[0,0,1] neg_hi:[0,0,1]
	v_pk_fma_f32 v[48:49], v[70:71], v[48:49], v[50:51] op_sel:[0,0,1] op_sel_hi:[1,0,0]
	v_mov_b32_e32 v55, v49
	s_delay_alu instid0(VALU_DEP_1)
	v_pk_add_f32 v[240:241], v[240:241], v[54:55] neg_lo:[0,1] neg_hi:[0,1]
.LBB119_181:
	s_or_b32 exec_lo, exec_lo, s1
	s_delay_alu instid0(SALU_CYCLE_1)
	s_mov_b32 s2, exec_lo
	s_wait_dscnt 0x0
	s_barrier_signal -1
	s_barrier_wait -1
	v_cmpx_eq_u32_e32 20, v206
	s_cbranch_execz .LBB119_188
; %bb.182:
	ds_store_b64 v207, v[98:99]
	ds_store_2addr_b64 v216, v[94:95], v[96:97] offset0:21 offset1:22
	ds_store_2addr_b64 v216, v[92:93], v[114:115] offset0:23 offset1:24
	;; [unrolled: 1-line block ×19, first 2 shown]
	ds_store_b64 v216, v[240:241] offset:472
	ds_load_b64 v[48:49], v207
	s_wait_dscnt 0x0
	v_cmp_neq_f32_e32 vcc_lo, 0, v48
	v_cmp_neq_f32_e64 s1, 0, v49
	s_or_b32 s1, vcc_lo, s1
	s_delay_alu instid0(SALU_CYCLE_1)
	s_and_b32 exec_lo, exec_lo, s1
	s_cbranch_execz .LBB119_188
; %bb.183:
	v_cmp_ngt_f32_e64 s1, |v48|, |v49|
                                        ; implicit-def: $vgpr50_vgpr51
	s_and_saveexec_b32 s4, s1
	s_delay_alu instid0(SALU_CYCLE_1)
	s_xor_b32 s1, exec_lo, s4
	s_cbranch_execz .LBB119_185
; %bb.184:
	v_div_scale_f32 v50, null, v49, v49, v48
	v_div_scale_f32 v55, vcc_lo, v48, v49, v48
	s_delay_alu instid0(VALU_DEP_2) | instskip(SKIP_1) | instid1(TRANS32_DEP_1)
	v_rcp_f32_e32 v51, v50
	v_nop
	v_fma_f32 v54, -v50, v51, 1.0
	s_delay_alu instid0(VALU_DEP_1) | instskip(NEXT) | instid1(VALU_DEP_1)
	v_fmac_f32_e32 v51, v54, v51
	v_mul_f32_e32 v54, v55, v51
	s_delay_alu instid0(VALU_DEP_1) | instskip(NEXT) | instid1(VALU_DEP_1)
	v_fma_f32 v68, -v50, v54, v55
	v_fmac_f32_e32 v54, v68, v51
	s_delay_alu instid0(VALU_DEP_1) | instskip(NEXT) | instid1(VALU_DEP_1)
	v_fma_f32 v50, -v50, v54, v55
	v_div_fmas_f32 v50, v50, v51, v54
	s_delay_alu instid0(VALU_DEP_1) | instskip(NEXT) | instid1(VALU_DEP_1)
	v_div_fixup_f32 v50, v50, v49, v48
	v_fmac_f32_e32 v49, v48, v50
	s_delay_alu instid0(VALU_DEP_1) | instskip(SKIP_1) | instid1(VALU_DEP_2)
	v_div_scale_f32 v48, null, v49, v49, 1.0
	v_div_scale_f32 v55, vcc_lo, 1.0, v49, 1.0
	v_rcp_f32_e32 v51, v48
	v_nop
	s_delay_alu instid0(TRANS32_DEP_1) | instskip(NEXT) | instid1(VALU_DEP_1)
	v_fma_f32 v54, -v48, v51, 1.0
	v_fmac_f32_e32 v51, v54, v51
	s_delay_alu instid0(VALU_DEP_1) | instskip(NEXT) | instid1(VALU_DEP_1)
	v_mul_f32_e32 v54, v55, v51
	v_fma_f32 v68, -v48, v54, v55
	s_delay_alu instid0(VALU_DEP_1) | instskip(NEXT) | instid1(VALU_DEP_1)
	v_fmac_f32_e32 v54, v68, v51
	v_fma_f32 v48, -v48, v54, v55
	s_delay_alu instid0(VALU_DEP_1) | instskip(NEXT) | instid1(VALU_DEP_1)
	v_div_fmas_f32 v48, v48, v51, v54
	v_div_fixup_f32 v48, v48, v49, 1.0
	s_delay_alu instid0(VALU_DEP_1)
	v_mul_f32_e32 v50, v50, v48
	v_xor_b32_e32 v51, 0x80000000, v48
                                        ; implicit-def: $vgpr48_vgpr49
.LBB119_185:
	s_and_not1_saveexec_b32 s1, s1
	s_cbranch_execz .LBB119_187
; %bb.186:
	v_div_scale_f32 v50, null, v48, v48, v49
	v_div_scale_f32 v55, vcc_lo, v49, v48, v49
	s_delay_alu instid0(VALU_DEP_2) | instskip(SKIP_1) | instid1(TRANS32_DEP_1)
	v_rcp_f32_e32 v51, v50
	v_nop
	v_fma_f32 v54, -v50, v51, 1.0
	s_delay_alu instid0(VALU_DEP_1) | instskip(NEXT) | instid1(VALU_DEP_1)
	v_fmac_f32_e32 v51, v54, v51
	v_mul_f32_e32 v54, v55, v51
	s_delay_alu instid0(VALU_DEP_1) | instskip(NEXT) | instid1(VALU_DEP_1)
	v_fma_f32 v68, -v50, v54, v55
	v_fmac_f32_e32 v54, v68, v51
	s_delay_alu instid0(VALU_DEP_1) | instskip(NEXT) | instid1(VALU_DEP_1)
	v_fma_f32 v50, -v50, v54, v55
	v_div_fmas_f32 v50, v50, v51, v54
	s_delay_alu instid0(VALU_DEP_1) | instskip(NEXT) | instid1(VALU_DEP_1)
	v_div_fixup_f32 v51, v50, v48, v49
	v_fmac_f32_e32 v48, v49, v51
	s_delay_alu instid0(VALU_DEP_1) | instskip(NEXT) | instid1(VALU_DEP_1)
	v_div_scale_f32 v49, null, v48, v48, 1.0
	v_rcp_f32_e32 v50, v49
	v_nop
	s_delay_alu instid0(TRANS32_DEP_1) | instskip(NEXT) | instid1(VALU_DEP_1)
	v_fma_f32 v54, -v49, v50, 1.0
	v_fmac_f32_e32 v50, v54, v50
	v_div_scale_f32 v54, vcc_lo, 1.0, v48, 1.0
	s_delay_alu instid0(VALU_DEP_1) | instskip(NEXT) | instid1(VALU_DEP_1)
	v_mul_f32_e32 v55, v54, v50
	v_fma_f32 v68, -v49, v55, v54
	s_delay_alu instid0(VALU_DEP_1) | instskip(NEXT) | instid1(VALU_DEP_1)
	v_fmac_f32_e32 v55, v68, v50
	v_fma_f32 v49, -v49, v55, v54
	s_delay_alu instid0(VALU_DEP_1) | instskip(NEXT) | instid1(VALU_DEP_1)
	v_div_fmas_f32 v49, v49, v50, v55
	v_div_fixup_f32 v50, v49, v48, 1.0
	s_delay_alu instid0(VALU_DEP_1)
	v_mul_f32_e64 v51, v51, -v50
.LBB119_187:
	s_or_b32 exec_lo, exec_lo, s1
	ds_store_b64 v207, v[50:51]
.LBB119_188:
	s_or_b32 exec_lo, exec_lo, s2
	s_wait_dscnt 0x0
	s_barrier_signal -1
	s_barrier_wait -1
	ds_load_b64 v[48:49], v207
	s_mov_b32 s1, exec_lo
	v_cmpx_lt_u32_e32 20, v206
	s_cbranch_execz .LBB119_190
; %bb.189:
	ds_load_2addr_b64 v[68:71], v216 offset0:21 offset1:22
	s_wait_dscnt 0x1
	v_pk_mul_f32 v[54:55], v[48:49], v[98:99] op_sel:[1,1] op_sel_hi:[0,1]
	s_delay_alu instid0(VALU_DEP_1) | instskip(SKIP_1) | instid1(VALU_DEP_1)
	v_pk_fma_f32 v[50:51], v[48:49], v[98:99], v[54:55] op_sel_hi:[1,0,1] neg_lo:[0,0,1] neg_hi:[0,0,1]
	v_pk_fma_f32 v[54:55], v[48:49], v[98:99], v[54:55] op_sel_hi:[1,0,1]
	v_dual_mov_b32 v98, v50 :: v_dual_mov_b32 v99, v55
	s_wait_dscnt 0x0
	s_delay_alu instid0(VALU_DEP_2) | instskip(NEXT) | instid1(VALU_DEP_1)
	v_pk_mul_f32 v[72:73], v[68:69], v[54:55] op_sel:[0,1]
	v_pk_fma_f32 v[74:75], v[68:69], v[50:51], v[72:73] op_sel:[0,0,1] op_sel_hi:[1,1,0] neg_lo:[0,0,1] neg_hi:[0,0,1]
	v_pk_fma_f32 v[68:69], v[68:69], v[50:51], v[72:73] op_sel:[0,0,1] op_sel_hi:[1,0,0]
	s_delay_alu instid0(VALU_DEP_1) | instskip(SKIP_1) | instid1(VALU_DEP_1)
	v_mov_b32_e32 v75, v69
	v_pk_mul_f32 v[68:69], v[70:71], v[54:55] op_sel:[0,1]
	v_pk_fma_f32 v[72:73], v[70:71], v[50:51], v[68:69] op_sel:[0,0,1] op_sel_hi:[1,1,0] neg_lo:[0,0,1] neg_hi:[0,0,1]
	v_pk_fma_f32 v[68:69], v[70:71], v[50:51], v[68:69] op_sel:[0,0,1] op_sel_hi:[1,0,0]
	s_delay_alu instid0(VALU_DEP_1)
	v_mov_b32_e32 v73, v69
	ds_load_2addr_b64 v[68:71], v216 offset0:23 offset1:24
	v_pk_add_f32 v[94:95], v[94:95], v[74:75] neg_lo:[0,1] neg_hi:[0,1]
	v_pk_add_f32 v[96:97], v[96:97], v[72:73] neg_lo:[0,1] neg_hi:[0,1]
	s_wait_dscnt 0x0
	v_pk_mul_f32 v[72:73], v[68:69], v[54:55] op_sel:[0,1]
	s_delay_alu instid0(VALU_DEP_1) | instskip(SKIP_2) | instid1(VALU_DEP_2)
	v_pk_fma_f32 v[74:75], v[68:69], v[50:51], v[72:73] op_sel:[0,0,1] op_sel_hi:[1,1,0] neg_lo:[0,0,1] neg_hi:[0,0,1]
	v_pk_fma_f32 v[68:69], v[68:69], v[50:51], v[72:73] op_sel:[0,0,1] op_sel_hi:[1,0,0]
	v_dual_mul_f32 v72, v71, v55 :: v_dual_mov_b32 v68, v71
	v_dual_mov_b32 v75, v69 :: v_dual_mov_b32 v69, v70
	s_delay_alu instid0(VALU_DEP_2) | instskip(SKIP_1) | instid1(VALU_DEP_3)
	v_pk_fma_f32 v[72:73], v[70:71], v[98:99], v[72:73] op_sel_hi:[1,1,0] neg_lo:[0,0,1] neg_hi:[0,0,1]
	v_mul_f32_e32 v70, v71, v50
	v_pk_add_f32 v[92:93], v[92:93], v[74:75] neg_lo:[0,1] neg_hi:[0,1]
	s_delay_alu instid0(VALU_DEP_2) | instskip(NEXT) | instid1(VALU_DEP_1)
	v_pk_fma_f32 v[68:69], v[68:69], v[98:99], v[70:71] op_sel_hi:[1,1,0]
	v_mov_b32_e32 v73, v69
	ds_load_2addr_b64 v[68:71], v216 offset0:25 offset1:26
	v_pk_add_f32 v[114:115], v[114:115], v[72:73] neg_lo:[0,1] neg_hi:[0,1]
	s_wait_dscnt 0x0
	v_pk_mul_f32 v[72:73], v[68:69], v[54:55] op_sel:[0,1]
	s_delay_alu instid0(VALU_DEP_1) | instskip(SKIP_1) | instid1(VALU_DEP_1)
	v_pk_fma_f32 v[74:75], v[68:69], v[50:51], v[72:73] op_sel:[0,0,1] op_sel_hi:[1,1,0] neg_lo:[0,0,1] neg_hi:[0,0,1]
	v_pk_fma_f32 v[68:69], v[68:69], v[50:51], v[72:73] op_sel:[0,0,1] op_sel_hi:[1,0,0]
	v_mov_b32_e32 v75, v69
	v_pk_mul_f32 v[68:69], v[70:71], v[54:55] op_sel:[0,1]
	s_delay_alu instid0(VALU_DEP_1) | instskip(SKIP_1) | instid1(VALU_DEP_1)
	v_pk_fma_f32 v[72:73], v[70:71], v[50:51], v[68:69] op_sel:[0,0,1] op_sel_hi:[1,1,0] neg_lo:[0,0,1] neg_hi:[0,0,1]
	v_pk_fma_f32 v[68:69], v[70:71], v[50:51], v[68:69] op_sel:[0,0,1] op_sel_hi:[1,0,0]
	v_mov_b32_e32 v73, v69
	ds_load_2addr_b64 v[68:71], v216 offset0:27 offset1:28
	v_pk_add_f32 v[110:111], v[110:111], v[74:75] neg_lo:[0,1] neg_hi:[0,1]
	v_pk_add_f32 v[112:113], v[112:113], v[72:73] neg_lo:[0,1] neg_hi:[0,1]
	s_wait_dscnt 0x0
	v_pk_mul_f32 v[72:73], v[68:69], v[54:55] op_sel:[0,1]
	s_delay_alu instid0(VALU_DEP_1) | instskip(SKIP_1) | instid1(VALU_DEP_1)
	v_pk_fma_f32 v[74:75], v[68:69], v[50:51], v[72:73] op_sel:[0,0,1] op_sel_hi:[1,1,0] neg_lo:[0,0,1] neg_hi:[0,0,1]
	v_pk_fma_f32 v[68:69], v[68:69], v[50:51], v[72:73] op_sel:[0,0,1] op_sel_hi:[1,0,0]
	v_mov_b32_e32 v75, v69
	v_pk_mul_f32 v[68:69], v[70:71], v[54:55] op_sel:[0,1]
	s_delay_alu instid0(VALU_DEP_1) | instskip(SKIP_1) | instid1(VALU_DEP_1)
	v_pk_fma_f32 v[72:73], v[70:71], v[50:51], v[68:69] op_sel:[0,0,1] op_sel_hi:[1,1,0] neg_lo:[0,0,1] neg_hi:[0,0,1]
	v_pk_fma_f32 v[68:69], v[70:71], v[50:51], v[68:69] op_sel:[0,0,1] op_sel_hi:[1,0,0]
	v_mov_b32_e32 v73, v69
	ds_load_2addr_b64 v[68:71], v216 offset0:29 offset1:30
	v_pk_add_f32 v[108:109], v[108:109], v[74:75] neg_lo:[0,1] neg_hi:[0,1]
	v_pk_add_f32 v[130:131], v[130:131], v[72:73] neg_lo:[0,1] neg_hi:[0,1]
	s_wait_dscnt 0x0
	v_dual_mul_f32 v72, v69, v55 :: v_dual_mul_f32 v74, v69, v50
	s_delay_alu instid0(VALU_DEP_1) | instskip(NEXT) | instid1(VALU_DEP_2)
	v_pk_fma_f32 v[72:73], v[68:69], v[98:99], v[72:73] op_sel_hi:[1,1,0] neg_lo:[0,0,1] neg_hi:[0,0,1]
	v_pk_fma_f32 v[68:69], v[68:69], v[98:99], v[74:75] op_sel:[1,0,0] op_sel_hi:[0,1,0]
	s_delay_alu instid0(VALU_DEP_1) | instskip(SKIP_1) | instid1(VALU_DEP_2)
	v_mov_b32_e32 v73, v69
	v_pk_mul_f32 v[68:69], v[70:71], v[54:55] op_sel:[0,1]
	v_pk_add_f32 v[126:127], v[126:127], v[72:73] neg_lo:[0,1] neg_hi:[0,1]
	s_delay_alu instid0(VALU_DEP_2) | instskip(SKIP_1) | instid1(VALU_DEP_1)
	v_pk_fma_f32 v[72:73], v[70:71], v[50:51], v[68:69] op_sel:[0,0,1] op_sel_hi:[1,1,0] neg_lo:[0,0,1] neg_hi:[0,0,1]
	v_pk_fma_f32 v[68:69], v[70:71], v[50:51], v[68:69] op_sel:[0,0,1] op_sel_hi:[1,0,0]
	v_mov_b32_e32 v73, v69
	ds_load_2addr_b64 v[68:71], v216 offset0:31 offset1:32
	v_pk_add_f32 v[128:129], v[128:129], v[72:73] neg_lo:[0,1] neg_hi:[0,1]
	s_wait_dscnt 0x0
	v_pk_mul_f32 v[72:73], v[68:69], v[54:55] op_sel:[0,1]
	s_delay_alu instid0(VALU_DEP_1) | instskip(SKIP_1) | instid1(VALU_DEP_1)
	v_pk_fma_f32 v[74:75], v[68:69], v[50:51], v[72:73] op_sel:[0,0,1] op_sel_hi:[1,1,0] neg_lo:[0,0,1] neg_hi:[0,0,1]
	v_pk_fma_f32 v[68:69], v[68:69], v[50:51], v[72:73] op_sel:[0,0,1] op_sel_hi:[1,0,0]
	v_mov_b32_e32 v75, v69
	v_pk_mul_f32 v[68:69], v[70:71], v[54:55] op_sel:[0,1]
	s_delay_alu instid0(VALU_DEP_2) | instskip(NEXT) | instid1(VALU_DEP_2)
	v_pk_add_f32 v[124:125], v[124:125], v[74:75] neg_lo:[0,1] neg_hi:[0,1]
	v_pk_fma_f32 v[72:73], v[70:71], v[50:51], v[68:69] op_sel:[0,0,1] op_sel_hi:[1,1,0] neg_lo:[0,0,1] neg_hi:[0,0,1]
	v_pk_fma_f32 v[68:69], v[70:71], v[50:51], v[68:69] op_sel:[0,0,1] op_sel_hi:[1,0,0]
	s_delay_alu instid0(VALU_DEP_1) | instskip(SKIP_4) | instid1(VALU_DEP_1)
	v_mov_b32_e32 v73, v69
	ds_load_2addr_b64 v[68:71], v216 offset0:33 offset1:34
	v_pk_add_f32 v[146:147], v[146:147], v[72:73] neg_lo:[0,1] neg_hi:[0,1]
	s_wait_dscnt 0x0
	v_pk_mul_f32 v[72:73], v[68:69], v[54:55] op_sel:[0,1]
	v_pk_fma_f32 v[74:75], v[68:69], v[50:51], v[72:73] op_sel:[0,0,1] op_sel_hi:[1,1,0] neg_lo:[0,0,1] neg_hi:[0,0,1]
	v_pk_fma_f32 v[68:69], v[68:69], v[50:51], v[72:73] op_sel:[0,0,1] op_sel_hi:[1,0,0]
	v_dual_mul_f32 v72, v71, v55 :: v_dual_mov_b32 v68, v71
	s_delay_alu instid0(VALU_DEP_2) | instskip(NEXT) | instid1(VALU_DEP_2)
	v_dual_mov_b32 v75, v69 :: v_dual_mov_b32 v69, v70
	v_pk_fma_f32 v[72:73], v[70:71], v[98:99], v[72:73] op_sel_hi:[1,1,0] neg_lo:[0,0,1] neg_hi:[0,0,1]
	v_mul_f32_e32 v70, v71, v50
	s_delay_alu instid0(VALU_DEP_3) | instskip(NEXT) | instid1(VALU_DEP_2)
	v_pk_add_f32 v[142:143], v[142:143], v[74:75] neg_lo:[0,1] neg_hi:[0,1]
	v_pk_fma_f32 v[68:69], v[68:69], v[98:99], v[70:71] op_sel_hi:[1,1,0]
	s_delay_alu instid0(VALU_DEP_1) | instskip(SKIP_4) | instid1(VALU_DEP_1)
	v_mov_b32_e32 v73, v69
	ds_load_2addr_b64 v[68:71], v216 offset0:35 offset1:36
	v_pk_add_f32 v[144:145], v[144:145], v[72:73] neg_lo:[0,1] neg_hi:[0,1]
	s_wait_dscnt 0x0
	v_pk_mul_f32 v[72:73], v[68:69], v[54:55] op_sel:[0,1]
	v_pk_fma_f32 v[74:75], v[68:69], v[50:51], v[72:73] op_sel:[0,0,1] op_sel_hi:[1,1,0] neg_lo:[0,0,1] neg_hi:[0,0,1]
	v_pk_fma_f32 v[68:69], v[68:69], v[50:51], v[72:73] op_sel:[0,0,1] op_sel_hi:[1,0,0]
	s_delay_alu instid0(VALU_DEP_1) | instskip(SKIP_1) | instid1(VALU_DEP_1)
	v_mov_b32_e32 v75, v69
	v_pk_mul_f32 v[68:69], v[70:71], v[54:55] op_sel:[0,1]
	v_pk_fma_f32 v[72:73], v[70:71], v[50:51], v[68:69] op_sel:[0,0,1] op_sel_hi:[1,1,0] neg_lo:[0,0,1] neg_hi:[0,0,1]
	v_pk_fma_f32 v[68:69], v[70:71], v[50:51], v[68:69] op_sel:[0,0,1] op_sel_hi:[1,0,0]
	s_delay_alu instid0(VALU_DEP_1)
	v_mov_b32_e32 v73, v69
	ds_load_2addr_b64 v[68:71], v216 offset0:37 offset1:38
	v_pk_add_f32 v[140:141], v[140:141], v[74:75] neg_lo:[0,1] neg_hi:[0,1]
	v_pk_add_f32 v[162:163], v[162:163], v[72:73] neg_lo:[0,1] neg_hi:[0,1]
	s_wait_dscnt 0x0
	v_pk_mul_f32 v[72:73], v[68:69], v[54:55] op_sel:[0,1]
	s_delay_alu instid0(VALU_DEP_1) | instskip(SKIP_1) | instid1(VALU_DEP_1)
	v_pk_fma_f32 v[74:75], v[68:69], v[50:51], v[72:73] op_sel:[0,0,1] op_sel_hi:[1,1,0] neg_lo:[0,0,1] neg_hi:[0,0,1]
	v_pk_fma_f32 v[68:69], v[68:69], v[50:51], v[72:73] op_sel:[0,0,1] op_sel_hi:[1,0,0]
	v_mov_b32_e32 v75, v69
	v_pk_mul_f32 v[68:69], v[70:71], v[54:55] op_sel:[0,1]
	s_delay_alu instid0(VALU_DEP_1) | instskip(SKIP_1) | instid1(VALU_DEP_1)
	v_pk_fma_f32 v[72:73], v[70:71], v[50:51], v[68:69] op_sel:[0,0,1] op_sel_hi:[1,1,0] neg_lo:[0,0,1] neg_hi:[0,0,1]
	v_pk_fma_f32 v[68:69], v[70:71], v[50:51], v[68:69] op_sel:[0,0,1] op_sel_hi:[1,0,0]
	v_mov_b32_e32 v73, v69
	ds_load_2addr_b64 v[68:71], v216 offset0:39 offset1:40
	v_pk_add_f32 v[158:159], v[158:159], v[74:75] neg_lo:[0,1] neg_hi:[0,1]
	v_pk_add_f32 v[160:161], v[160:161], v[72:73] neg_lo:[0,1] neg_hi:[0,1]
	s_wait_dscnt 0x0
	v_dual_mul_f32 v72, v69, v55 :: v_dual_mul_f32 v74, v69, v50
	s_delay_alu instid0(VALU_DEP_1) | instskip(NEXT) | instid1(VALU_DEP_2)
	v_pk_fma_f32 v[72:73], v[68:69], v[98:99], v[72:73] op_sel_hi:[1,1,0] neg_lo:[0,0,1] neg_hi:[0,0,1]
	v_pk_fma_f32 v[68:69], v[68:69], v[98:99], v[74:75] op_sel:[1,0,0] op_sel_hi:[0,1,0]
	s_delay_alu instid0(VALU_DEP_1) | instskip(SKIP_1) | instid1(VALU_DEP_2)
	v_mov_b32_e32 v73, v69
	v_pk_mul_f32 v[68:69], v[70:71], v[54:55] op_sel:[0,1]
	v_pk_add_f32 v[156:157], v[156:157], v[72:73] neg_lo:[0,1] neg_hi:[0,1]
	s_delay_alu instid0(VALU_DEP_2) | instskip(SKIP_1) | instid1(VALU_DEP_1)
	v_pk_fma_f32 v[72:73], v[70:71], v[50:51], v[68:69] op_sel:[0,0,1] op_sel_hi:[1,1,0] neg_lo:[0,0,1] neg_hi:[0,0,1]
	v_pk_fma_f32 v[68:69], v[70:71], v[50:51], v[68:69] op_sel:[0,0,1] op_sel_hi:[1,0,0]
	v_mov_b32_e32 v73, v69
	ds_load_2addr_b64 v[68:71], v216 offset0:41 offset1:42
	v_pk_add_f32 v[178:179], v[178:179], v[72:73] neg_lo:[0,1] neg_hi:[0,1]
	s_wait_dscnt 0x0
	v_pk_mul_f32 v[72:73], v[68:69], v[54:55] op_sel:[0,1]
	s_delay_alu instid0(VALU_DEP_1) | instskip(SKIP_1) | instid1(VALU_DEP_1)
	v_pk_fma_f32 v[74:75], v[68:69], v[50:51], v[72:73] op_sel:[0,0,1] op_sel_hi:[1,1,0] neg_lo:[0,0,1] neg_hi:[0,0,1]
	v_pk_fma_f32 v[68:69], v[68:69], v[50:51], v[72:73] op_sel:[0,0,1] op_sel_hi:[1,0,0]
	v_mov_b32_e32 v75, v69
	v_pk_mul_f32 v[68:69], v[70:71], v[54:55] op_sel:[0,1]
	s_delay_alu instid0(VALU_DEP_2) | instskip(NEXT) | instid1(VALU_DEP_2)
	v_pk_add_f32 v[174:175], v[174:175], v[74:75] neg_lo:[0,1] neg_hi:[0,1]
	v_pk_fma_f32 v[72:73], v[70:71], v[50:51], v[68:69] op_sel:[0,0,1] op_sel_hi:[1,1,0] neg_lo:[0,0,1] neg_hi:[0,0,1]
	v_pk_fma_f32 v[68:69], v[70:71], v[50:51], v[68:69] op_sel:[0,0,1] op_sel_hi:[1,0,0]
	s_delay_alu instid0(VALU_DEP_1) | instskip(SKIP_4) | instid1(VALU_DEP_1)
	v_mov_b32_e32 v73, v69
	ds_load_2addr_b64 v[68:71], v216 offset0:43 offset1:44
	v_pk_add_f32 v[176:177], v[176:177], v[72:73] neg_lo:[0,1] neg_hi:[0,1]
	s_wait_dscnt 0x0
	v_pk_mul_f32 v[72:73], v[68:69], v[54:55] op_sel:[0,1]
	v_pk_fma_f32 v[74:75], v[68:69], v[50:51], v[72:73] op_sel:[0,0,1] op_sel_hi:[1,1,0] neg_lo:[0,0,1] neg_hi:[0,0,1]
	v_pk_fma_f32 v[68:69], v[68:69], v[50:51], v[72:73] op_sel:[0,0,1] op_sel_hi:[1,0,0]
	v_dual_mul_f32 v72, v71, v55 :: v_dual_mov_b32 v68, v71
	s_delay_alu instid0(VALU_DEP_2) | instskip(NEXT) | instid1(VALU_DEP_2)
	v_dual_mov_b32 v75, v69 :: v_dual_mov_b32 v69, v70
	v_pk_fma_f32 v[72:73], v[70:71], v[98:99], v[72:73] op_sel_hi:[1,1,0] neg_lo:[0,0,1] neg_hi:[0,0,1]
	v_mul_f32_e32 v70, v71, v50
	s_delay_alu instid0(VALU_DEP_3) | instskip(NEXT) | instid1(VALU_DEP_2)
	v_pk_add_f32 v[172:173], v[172:173], v[74:75] neg_lo:[0,1] neg_hi:[0,1]
	v_pk_fma_f32 v[68:69], v[68:69], v[98:99], v[70:71] op_sel_hi:[1,1,0]
	s_delay_alu instid0(VALU_DEP_1) | instskip(SKIP_4) | instid1(VALU_DEP_1)
	v_mov_b32_e32 v73, v69
	ds_load_2addr_b64 v[68:71], v216 offset0:45 offset1:46
	v_pk_add_f32 v[194:195], v[194:195], v[72:73] neg_lo:[0,1] neg_hi:[0,1]
	s_wait_dscnt 0x0
	v_pk_mul_f32 v[72:73], v[68:69], v[54:55] op_sel:[0,1]
	v_pk_fma_f32 v[74:75], v[68:69], v[50:51], v[72:73] op_sel:[0,0,1] op_sel_hi:[1,1,0] neg_lo:[0,0,1] neg_hi:[0,0,1]
	v_pk_fma_f32 v[68:69], v[68:69], v[50:51], v[72:73] op_sel:[0,0,1] op_sel_hi:[1,0,0]
	s_delay_alu instid0(VALU_DEP_1) | instskip(SKIP_1) | instid1(VALU_DEP_1)
	v_mov_b32_e32 v75, v69
	v_pk_mul_f32 v[68:69], v[70:71], v[54:55] op_sel:[0,1]
	v_pk_fma_f32 v[72:73], v[70:71], v[50:51], v[68:69] op_sel:[0,0,1] op_sel_hi:[1,1,0] neg_lo:[0,0,1] neg_hi:[0,0,1]
	v_pk_fma_f32 v[68:69], v[70:71], v[50:51], v[68:69] op_sel:[0,0,1] op_sel_hi:[1,0,0]
	s_delay_alu instid0(VALU_DEP_1)
	v_mov_b32_e32 v73, v69
	ds_load_2addr_b64 v[68:71], v216 offset0:47 offset1:48
	v_pk_add_f32 v[190:191], v[190:191], v[74:75] neg_lo:[0,1] neg_hi:[0,1]
	v_pk_add_f32 v[192:193], v[192:193], v[72:73] neg_lo:[0,1] neg_hi:[0,1]
	s_wait_dscnt 0x0
	v_pk_mul_f32 v[72:73], v[68:69], v[54:55] op_sel:[0,1]
	s_delay_alu instid0(VALU_DEP_1) | instskip(SKIP_1) | instid1(VALU_DEP_1)
	v_pk_fma_f32 v[74:75], v[68:69], v[50:51], v[72:73] op_sel:[0,0,1] op_sel_hi:[1,1,0] neg_lo:[0,0,1] neg_hi:[0,0,1]
	v_pk_fma_f32 v[68:69], v[68:69], v[50:51], v[72:73] op_sel:[0,0,1] op_sel_hi:[1,0,0]
	v_mov_b32_e32 v75, v69
	v_pk_mul_f32 v[68:69], v[70:71], v[54:55] op_sel:[0,1]
	s_delay_alu instid0(VALU_DEP_1) | instskip(SKIP_1) | instid1(VALU_DEP_1)
	v_pk_fma_f32 v[72:73], v[70:71], v[50:51], v[68:69] op_sel:[0,0,1] op_sel_hi:[1,1,0] neg_lo:[0,0,1] neg_hi:[0,0,1]
	v_pk_fma_f32 v[68:69], v[70:71], v[50:51], v[68:69] op_sel:[0,0,1] op_sel_hi:[1,0,0]
	v_mov_b32_e32 v73, v69
	ds_load_2addr_b64 v[68:71], v216 offset0:49 offset1:50
	v_pk_add_f32 v[188:189], v[188:189], v[74:75] neg_lo:[0,1] neg_hi:[0,1]
	v_pk_add_f32 v[214:215], v[214:215], v[72:73] neg_lo:[0,1] neg_hi:[0,1]
	s_wait_dscnt 0x0
	v_dual_mul_f32 v72, v69, v55 :: v_dual_mul_f32 v74, v69, v50
	s_delay_alu instid0(VALU_DEP_1) | instskip(NEXT) | instid1(VALU_DEP_2)
	v_pk_fma_f32 v[72:73], v[68:69], v[98:99], v[72:73] op_sel_hi:[1,1,0] neg_lo:[0,0,1] neg_hi:[0,0,1]
	v_pk_fma_f32 v[68:69], v[68:69], v[98:99], v[74:75] op_sel:[1,0,0] op_sel_hi:[0,1,0]
	s_delay_alu instid0(VALU_DEP_1) | instskip(SKIP_1) | instid1(VALU_DEP_2)
	v_mov_b32_e32 v73, v69
	v_pk_mul_f32 v[68:69], v[70:71], v[54:55] op_sel:[0,1]
	v_pk_add_f32 v[210:211], v[210:211], v[72:73] neg_lo:[0,1] neg_hi:[0,1]
	s_delay_alu instid0(VALU_DEP_2) | instskip(SKIP_1) | instid1(VALU_DEP_1)
	v_pk_fma_f32 v[72:73], v[70:71], v[50:51], v[68:69] op_sel:[0,0,1] op_sel_hi:[1,1,0] neg_lo:[0,0,1] neg_hi:[0,0,1]
	v_pk_fma_f32 v[68:69], v[70:71], v[50:51], v[68:69] op_sel:[0,0,1] op_sel_hi:[1,0,0]
	v_mov_b32_e32 v73, v69
	ds_load_2addr_b64 v[68:71], v216 offset0:51 offset1:52
	v_pk_add_f32 v[212:213], v[212:213], v[72:73] neg_lo:[0,1] neg_hi:[0,1]
	s_wait_dscnt 0x0
	v_pk_mul_f32 v[72:73], v[68:69], v[54:55] op_sel:[0,1]
	s_delay_alu instid0(VALU_DEP_1) | instskip(SKIP_1) | instid1(VALU_DEP_1)
	v_pk_fma_f32 v[74:75], v[68:69], v[50:51], v[72:73] op_sel:[0,0,1] op_sel_hi:[1,1,0] neg_lo:[0,0,1] neg_hi:[0,0,1]
	v_pk_fma_f32 v[68:69], v[68:69], v[50:51], v[72:73] op_sel:[0,0,1] op_sel_hi:[1,0,0]
	v_mov_b32_e32 v75, v69
	v_pk_mul_f32 v[68:69], v[70:71], v[54:55] op_sel:[0,1]
	s_delay_alu instid0(VALU_DEP_2) | instskip(NEXT) | instid1(VALU_DEP_2)
	v_pk_add_f32 v[208:209], v[208:209], v[74:75] neg_lo:[0,1] neg_hi:[0,1]
	v_pk_fma_f32 v[72:73], v[70:71], v[50:51], v[68:69] op_sel:[0,0,1] op_sel_hi:[1,1,0] neg_lo:[0,0,1] neg_hi:[0,0,1]
	v_pk_fma_f32 v[68:69], v[70:71], v[50:51], v[68:69] op_sel:[0,0,1] op_sel_hi:[1,0,0]
	s_delay_alu instid0(VALU_DEP_1) | instskip(SKIP_4) | instid1(VALU_DEP_1)
	v_mov_b32_e32 v73, v69
	ds_load_2addr_b64 v[68:71], v216 offset0:53 offset1:54
	v_pk_add_f32 v[236:237], v[236:237], v[72:73] neg_lo:[0,1] neg_hi:[0,1]
	s_wait_dscnt 0x0
	v_pk_mul_f32 v[72:73], v[68:69], v[54:55] op_sel:[0,1]
	v_pk_fma_f32 v[74:75], v[68:69], v[50:51], v[72:73] op_sel:[0,0,1] op_sel_hi:[1,1,0] neg_lo:[0,0,1] neg_hi:[0,0,1]
	v_pk_fma_f32 v[68:69], v[68:69], v[50:51], v[72:73] op_sel:[0,0,1] op_sel_hi:[1,0,0]
	v_dual_mul_f32 v72, v71, v55 :: v_dual_mov_b32 v68, v71
	s_delay_alu instid0(VALU_DEP_2) | instskip(NEXT) | instid1(VALU_DEP_2)
	v_dual_mov_b32 v75, v69 :: v_dual_mov_b32 v69, v70
	v_pk_fma_f32 v[72:73], v[70:71], v[98:99], v[72:73] op_sel_hi:[1,1,0] neg_lo:[0,0,1] neg_hi:[0,0,1]
	v_mul_f32_e32 v70, v71, v50
	s_delay_alu instid0(VALU_DEP_3) | instskip(NEXT) | instid1(VALU_DEP_2)
	v_pk_add_f32 v[230:231], v[230:231], v[74:75] neg_lo:[0,1] neg_hi:[0,1]
	v_pk_fma_f32 v[68:69], v[68:69], v[98:99], v[70:71] op_sel_hi:[1,1,0]
	s_delay_alu instid0(VALU_DEP_1) | instskip(SKIP_4) | instid1(VALU_DEP_1)
	v_mov_b32_e32 v73, v69
	ds_load_2addr_b64 v[68:71], v216 offset0:55 offset1:56
	v_pk_add_f32 v[234:235], v[234:235], v[72:73] neg_lo:[0,1] neg_hi:[0,1]
	s_wait_dscnt 0x0
	v_pk_mul_f32 v[72:73], v[68:69], v[54:55] op_sel:[0,1]
	v_pk_fma_f32 v[74:75], v[68:69], v[50:51], v[72:73] op_sel:[0,0,1] op_sel_hi:[1,1,0] neg_lo:[0,0,1] neg_hi:[0,0,1]
	v_pk_fma_f32 v[68:69], v[68:69], v[50:51], v[72:73] op_sel:[0,0,1] op_sel_hi:[1,0,0]
	s_delay_alu instid0(VALU_DEP_1) | instskip(SKIP_1) | instid1(VALU_DEP_1)
	v_mov_b32_e32 v75, v69
	v_pk_mul_f32 v[68:69], v[70:71], v[54:55] op_sel:[0,1]
	v_pk_fma_f32 v[72:73], v[70:71], v[50:51], v[68:69] op_sel:[0,0,1] op_sel_hi:[1,1,0] neg_lo:[0,0,1] neg_hi:[0,0,1]
	v_pk_fma_f32 v[68:69], v[70:71], v[50:51], v[68:69] op_sel:[0,0,1] op_sel_hi:[1,0,0]
	s_delay_alu instid0(VALU_DEP_1)
	v_mov_b32_e32 v73, v69
	ds_load_2addr_b64 v[68:71], v216 offset0:57 offset1:58
	v_pk_add_f32 v[228:229], v[228:229], v[74:75] neg_lo:[0,1] neg_hi:[0,1]
	v_pk_add_f32 v[232:233], v[232:233], v[72:73] neg_lo:[0,1] neg_hi:[0,1]
	s_wait_dscnt 0x0
	v_pk_mul_f32 v[72:73], v[68:69], v[54:55] op_sel:[0,1]
	s_delay_alu instid0(VALU_DEP_1) | instskip(SKIP_1) | instid1(VALU_DEP_1)
	v_pk_fma_f32 v[74:75], v[68:69], v[50:51], v[72:73] op_sel:[0,0,1] op_sel_hi:[1,1,0] neg_lo:[0,0,1] neg_hi:[0,0,1]
	v_pk_fma_f32 v[68:69], v[68:69], v[50:51], v[72:73] op_sel:[0,0,1] op_sel_hi:[1,0,0]
	v_mov_b32_e32 v75, v69
	v_pk_mul_f32 v[68:69], v[70:71], v[54:55] op_sel:[0,1]
	s_delay_alu instid0(VALU_DEP_1) | instskip(SKIP_1) | instid1(VALU_DEP_1)
	v_pk_fma_f32 v[72:73], v[70:71], v[50:51], v[68:69] op_sel:[0,0,1] op_sel_hi:[1,1,0] neg_lo:[0,0,1] neg_hi:[0,0,1]
	v_pk_fma_f32 v[68:69], v[70:71], v[50:51], v[68:69] op_sel:[0,0,1] op_sel_hi:[1,0,0]
	v_mov_b32_e32 v73, v69
	ds_load_b64 v[68:69], v216 offset:472
	v_pk_add_f32 v[226:227], v[226:227], v[74:75] neg_lo:[0,1] neg_hi:[0,1]
	v_pk_add_f32 v[238:239], v[238:239], v[72:73] neg_lo:[0,1] neg_hi:[0,1]
	s_wait_dscnt 0x0
	v_pk_mul_f32 v[54:55], v[68:69], v[54:55] op_sel:[0,1]
	s_delay_alu instid0(VALU_DEP_1) | instskip(SKIP_1) | instid1(VALU_DEP_1)
	v_pk_fma_f32 v[70:71], v[68:69], v[50:51], v[54:55] op_sel:[0,0,1] op_sel_hi:[1,1,0] neg_lo:[0,0,1] neg_hi:[0,0,1]
	v_pk_fma_f32 v[50:51], v[68:69], v[50:51], v[54:55] op_sel:[0,0,1] op_sel_hi:[1,0,0]
	v_mov_b32_e32 v71, v51
	s_delay_alu instid0(VALU_DEP_1)
	v_pk_add_f32 v[240:241], v[240:241], v[70:71] neg_lo:[0,1] neg_hi:[0,1]
.LBB119_190:
	s_or_b32 exec_lo, exec_lo, s1
	s_delay_alu instid0(SALU_CYCLE_1)
	s_mov_b32 s2, exec_lo
	s_wait_dscnt 0x0
	s_barrier_signal -1
	s_barrier_wait -1
	v_cmpx_eq_u32_e32 21, v206
	s_cbranch_execz .LBB119_197
; %bb.191:
	v_dual_mov_b32 v50, v96 :: v_dual_mov_b32 v51, v97
	v_dual_mov_b32 v54, v92 :: v_dual_mov_b32 v55, v93
	ds_store_b64 v207, v[94:95]
	ds_store_2addr_b64 v216, v[50:51], v[54:55] offset0:22 offset1:23
	v_dual_mov_b32 v50, v114 :: v_dual_mov_b32 v51, v115
	v_dual_mov_b32 v54, v110 :: v_dual_mov_b32 v55, v111
	ds_store_2addr_b64 v216, v[50:51], v[54:55] offset0:24 offset1:25
	v_dual_mov_b32 v50, v112 :: v_dual_mov_b32 v51, v113
	v_dual_mov_b32 v54, v108 :: v_dual_mov_b32 v55, v109
	ds_store_2addr_b64 v216, v[50:51], v[54:55] offset0:26 offset1:27
	v_dual_mov_b32 v50, v130 :: v_dual_mov_b32 v51, v131
	v_dual_mov_b32 v54, v126 :: v_dual_mov_b32 v55, v127
	ds_store_2addr_b64 v216, v[50:51], v[54:55] offset0:28 offset1:29
	v_dual_mov_b32 v50, v128 :: v_dual_mov_b32 v51, v129
	v_dual_mov_b32 v54, v124 :: v_dual_mov_b32 v55, v125
	ds_store_2addr_b64 v216, v[50:51], v[54:55] offset0:30 offset1:31
	v_dual_mov_b32 v50, v146 :: v_dual_mov_b32 v51, v147
	v_dual_mov_b32 v54, v142 :: v_dual_mov_b32 v55, v143
	ds_store_2addr_b64 v216, v[50:51], v[54:55] offset0:32 offset1:33
	v_dual_mov_b32 v50, v144 :: v_dual_mov_b32 v51, v145
	v_dual_mov_b32 v54, v140 :: v_dual_mov_b32 v55, v141
	ds_store_2addr_b64 v216, v[50:51], v[54:55] offset0:34 offset1:35
	v_dual_mov_b32 v50, v162 :: v_dual_mov_b32 v51, v163
	v_dual_mov_b32 v54, v158 :: v_dual_mov_b32 v55, v159
	ds_store_2addr_b64 v216, v[50:51], v[54:55] offset0:36 offset1:37
	v_dual_mov_b32 v50, v160 :: v_dual_mov_b32 v51, v161
	v_dual_mov_b32 v54, v156 :: v_dual_mov_b32 v55, v157
	ds_store_2addr_b64 v216, v[50:51], v[54:55] offset0:38 offset1:39
	v_dual_mov_b32 v50, v178 :: v_dual_mov_b32 v51, v179
	v_dual_mov_b32 v54, v174 :: v_dual_mov_b32 v55, v175
	ds_store_2addr_b64 v216, v[50:51], v[54:55] offset0:40 offset1:41
	v_dual_mov_b32 v50, v176 :: v_dual_mov_b32 v51, v177
	v_dual_mov_b32 v54, v172 :: v_dual_mov_b32 v55, v173
	ds_store_2addr_b64 v216, v[50:51], v[54:55] offset0:42 offset1:43
	v_dual_mov_b32 v50, v194 :: v_dual_mov_b32 v51, v195
	v_dual_mov_b32 v54, v190 :: v_dual_mov_b32 v55, v191
	ds_store_2addr_b64 v216, v[50:51], v[54:55] offset0:44 offset1:45
	v_dual_mov_b32 v50, v192 :: v_dual_mov_b32 v51, v193
	v_dual_mov_b32 v54, v188 :: v_dual_mov_b32 v55, v189
	ds_store_2addr_b64 v216, v[50:51], v[54:55] offset0:46 offset1:47
	v_dual_mov_b32 v50, v214 :: v_dual_mov_b32 v51, v215
	v_dual_mov_b32 v54, v210 :: v_dual_mov_b32 v55, v211
	ds_store_2addr_b64 v216, v[50:51], v[54:55] offset0:48 offset1:49
	v_dual_mov_b32 v50, v212 :: v_dual_mov_b32 v51, v213
	v_dual_mov_b32 v54, v208 :: v_dual_mov_b32 v55, v209
	ds_store_2addr_b64 v216, v[50:51], v[54:55] offset0:50 offset1:51
	v_dual_mov_b32 v50, v236 :: v_dual_mov_b32 v51, v237
	v_dual_mov_b32 v54, v230 :: v_dual_mov_b32 v55, v231
	ds_store_2addr_b64 v216, v[50:51], v[54:55] offset0:52 offset1:53
	v_dual_mov_b32 v50, v234 :: v_dual_mov_b32 v51, v235
	v_dual_mov_b32 v54, v228 :: v_dual_mov_b32 v55, v229
	ds_store_2addr_b64 v216, v[50:51], v[54:55] offset0:54 offset1:55
	v_dual_mov_b32 v50, v232 :: v_dual_mov_b32 v51, v233
	v_dual_mov_b32 v54, v226 :: v_dual_mov_b32 v55, v227
	ds_store_2addr_b64 v216, v[50:51], v[54:55] offset0:56 offset1:57
	v_dual_mov_b32 v50, v238 :: v_dual_mov_b32 v51, v239
	ds_store_2addr_b64 v216, v[50:51], v[240:241] offset0:58 offset1:59
	ds_load_b64 v[50:51], v207
	s_wait_dscnt 0x0
	v_cmp_neq_f32_e32 vcc_lo, 0, v50
	v_cmp_neq_f32_e64 s1, 0, v51
	s_or_b32 s1, vcc_lo, s1
	s_delay_alu instid0(SALU_CYCLE_1)
	s_and_b32 exec_lo, exec_lo, s1
	s_cbranch_execz .LBB119_197
; %bb.192:
	v_cmp_ngt_f32_e64 s1, |v50|, |v51|
                                        ; implicit-def: $vgpr54_vgpr55
	s_and_saveexec_b32 s4, s1
	s_delay_alu instid0(SALU_CYCLE_1)
	s_xor_b32 s1, exec_lo, s4
	s_cbranch_execz .LBB119_194
; %bb.193:
	v_div_scale_f32 v54, null, v51, v51, v50
	v_div_scale_f32 v69, vcc_lo, v50, v51, v50
	s_delay_alu instid0(VALU_DEP_2) | instskip(SKIP_1) | instid1(TRANS32_DEP_1)
	v_rcp_f32_e32 v55, v54
	v_nop
	v_fma_f32 v68, -v54, v55, 1.0
	s_delay_alu instid0(VALU_DEP_1) | instskip(NEXT) | instid1(VALU_DEP_1)
	v_fmac_f32_e32 v55, v68, v55
	v_mul_f32_e32 v68, v69, v55
	s_delay_alu instid0(VALU_DEP_1) | instskip(NEXT) | instid1(VALU_DEP_1)
	v_fma_f32 v70, -v54, v68, v69
	v_fmac_f32_e32 v68, v70, v55
	s_delay_alu instid0(VALU_DEP_1) | instskip(NEXT) | instid1(VALU_DEP_1)
	v_fma_f32 v54, -v54, v68, v69
	v_div_fmas_f32 v54, v54, v55, v68
	s_delay_alu instid0(VALU_DEP_1) | instskip(NEXT) | instid1(VALU_DEP_1)
	v_div_fixup_f32 v54, v54, v51, v50
	v_fmac_f32_e32 v51, v50, v54
	s_delay_alu instid0(VALU_DEP_1) | instskip(SKIP_1) | instid1(VALU_DEP_2)
	v_div_scale_f32 v50, null, v51, v51, 1.0
	v_div_scale_f32 v69, vcc_lo, 1.0, v51, 1.0
	v_rcp_f32_e32 v55, v50
	v_nop
	s_delay_alu instid0(TRANS32_DEP_1) | instskip(NEXT) | instid1(VALU_DEP_1)
	v_fma_f32 v68, -v50, v55, 1.0
	v_fmac_f32_e32 v55, v68, v55
	s_delay_alu instid0(VALU_DEP_1) | instskip(NEXT) | instid1(VALU_DEP_1)
	v_mul_f32_e32 v68, v69, v55
	v_fma_f32 v70, -v50, v68, v69
	s_delay_alu instid0(VALU_DEP_1) | instskip(NEXT) | instid1(VALU_DEP_1)
	v_fmac_f32_e32 v68, v70, v55
	v_fma_f32 v50, -v50, v68, v69
	s_delay_alu instid0(VALU_DEP_1) | instskip(NEXT) | instid1(VALU_DEP_1)
	v_div_fmas_f32 v50, v50, v55, v68
	v_div_fixup_f32 v50, v50, v51, 1.0
	s_delay_alu instid0(VALU_DEP_1)
	v_mul_f32_e32 v54, v54, v50
	v_xor_b32_e32 v55, 0x80000000, v50
                                        ; implicit-def: $vgpr50_vgpr51
.LBB119_194:
	s_and_not1_saveexec_b32 s1, s1
	s_cbranch_execz .LBB119_196
; %bb.195:
	v_div_scale_f32 v54, null, v50, v50, v51
	v_div_scale_f32 v69, vcc_lo, v51, v50, v51
	s_delay_alu instid0(VALU_DEP_2) | instskip(SKIP_1) | instid1(TRANS32_DEP_1)
	v_rcp_f32_e32 v55, v54
	v_nop
	v_fma_f32 v68, -v54, v55, 1.0
	s_delay_alu instid0(VALU_DEP_1) | instskip(NEXT) | instid1(VALU_DEP_1)
	v_fmac_f32_e32 v55, v68, v55
	v_mul_f32_e32 v68, v69, v55
	s_delay_alu instid0(VALU_DEP_1) | instskip(NEXT) | instid1(VALU_DEP_1)
	v_fma_f32 v70, -v54, v68, v69
	v_fmac_f32_e32 v68, v70, v55
	s_delay_alu instid0(VALU_DEP_1) | instskip(NEXT) | instid1(VALU_DEP_1)
	v_fma_f32 v54, -v54, v68, v69
	v_div_fmas_f32 v54, v54, v55, v68
	s_delay_alu instid0(VALU_DEP_1) | instskip(NEXT) | instid1(VALU_DEP_1)
	v_div_fixup_f32 v55, v54, v50, v51
	v_fmac_f32_e32 v50, v51, v55
	s_delay_alu instid0(VALU_DEP_1) | instskip(NEXT) | instid1(VALU_DEP_1)
	v_div_scale_f32 v51, null, v50, v50, 1.0
	v_rcp_f32_e32 v54, v51
	v_nop
	s_delay_alu instid0(TRANS32_DEP_1) | instskip(NEXT) | instid1(VALU_DEP_1)
	v_fma_f32 v68, -v51, v54, 1.0
	v_fmac_f32_e32 v54, v68, v54
	v_div_scale_f32 v68, vcc_lo, 1.0, v50, 1.0
	s_delay_alu instid0(VALU_DEP_1) | instskip(NEXT) | instid1(VALU_DEP_1)
	v_mul_f32_e32 v69, v68, v54
	v_fma_f32 v70, -v51, v69, v68
	s_delay_alu instid0(VALU_DEP_1) | instskip(NEXT) | instid1(VALU_DEP_1)
	v_fmac_f32_e32 v69, v70, v54
	v_fma_f32 v51, -v51, v69, v68
	s_delay_alu instid0(VALU_DEP_1) | instskip(NEXT) | instid1(VALU_DEP_1)
	v_div_fmas_f32 v51, v51, v54, v69
	v_div_fixup_f32 v54, v51, v50, 1.0
	s_delay_alu instid0(VALU_DEP_1)
	v_mul_f32_e64 v55, v55, -v54
.LBB119_196:
	s_or_b32 exec_lo, exec_lo, s1
	ds_store_b64 v207, v[54:55]
.LBB119_197:
	s_or_b32 exec_lo, exec_lo, s2
	s_wait_dscnt 0x0
	s_barrier_signal -1
	s_barrier_wait -1
	ds_load_b64 v[50:51], v207
	s_mov_b32 s1, exec_lo
	v_cmpx_lt_u32_e32 21, v206
	s_cbranch_execz .LBB119_199
; %bb.198:
	ds_load_2addr_b64 v[70:73], v216 offset0:22 offset1:23
	s_wait_dscnt 0x1
	v_pk_mul_f32 v[68:69], v[50:51], v[94:95] op_sel:[1,1] op_sel_hi:[0,1]
	s_delay_alu instid0(VALU_DEP_1) | instskip(SKIP_1) | instid1(VALU_DEP_1)
	v_pk_fma_f32 v[54:55], v[50:51], v[94:95], v[68:69] op_sel_hi:[1,0,1] neg_lo:[0,0,1] neg_hi:[0,0,1]
	v_pk_fma_f32 v[68:69], v[50:51], v[94:95], v[68:69] op_sel_hi:[1,0,1]
	v_dual_mov_b32 v94, v54 :: v_dual_mov_b32 v95, v69
	s_wait_dscnt 0x0
	s_delay_alu instid0(VALU_DEP_2) | instskip(NEXT) | instid1(VALU_DEP_1)
	v_pk_mul_f32 v[74:75], v[70:71], v[68:69] op_sel:[0,1]
	v_pk_fma_f32 v[84:85], v[70:71], v[54:55], v[74:75] op_sel:[0,0,1] op_sel_hi:[1,1,0] neg_lo:[0,0,1] neg_hi:[0,0,1]
	v_pk_fma_f32 v[70:71], v[70:71], v[54:55], v[74:75] op_sel:[0,0,1] op_sel_hi:[1,0,0]
	s_delay_alu instid0(VALU_DEP_1) | instskip(SKIP_1) | instid1(VALU_DEP_1)
	v_mov_b32_e32 v85, v71
	v_pk_mul_f32 v[70:71], v[72:73], v[68:69] op_sel:[0,1]
	v_pk_fma_f32 v[74:75], v[72:73], v[54:55], v[70:71] op_sel:[0,0,1] op_sel_hi:[1,1,0] neg_lo:[0,0,1] neg_hi:[0,0,1]
	v_pk_fma_f32 v[70:71], v[72:73], v[54:55], v[70:71] op_sel:[0,0,1] op_sel_hi:[1,0,0]
	s_delay_alu instid0(VALU_DEP_1)
	v_mov_b32_e32 v75, v71
	ds_load_2addr_b64 v[70:73], v216 offset0:24 offset1:25
	v_pk_add_f32 v[96:97], v[96:97], v[84:85] neg_lo:[0,1] neg_hi:[0,1]
	v_pk_add_f32 v[92:93], v[92:93], v[74:75] neg_lo:[0,1] neg_hi:[0,1]
	s_wait_dscnt 0x0
	v_pk_mul_f32 v[74:75], v[70:71], v[68:69] op_sel:[0,1]
	s_delay_alu instid0(VALU_DEP_1) | instskip(SKIP_2) | instid1(VALU_DEP_2)
	v_pk_fma_f32 v[84:85], v[70:71], v[54:55], v[74:75] op_sel:[0,0,1] op_sel_hi:[1,1,0] neg_lo:[0,0,1] neg_hi:[0,0,1]
	v_pk_fma_f32 v[70:71], v[70:71], v[54:55], v[74:75] op_sel:[0,0,1] op_sel_hi:[1,0,0]
	v_dual_mul_f32 v74, v73, v69 :: v_dual_mov_b32 v70, v73
	v_dual_mov_b32 v85, v71 :: v_dual_mov_b32 v71, v72
	s_delay_alu instid0(VALU_DEP_2) | instskip(SKIP_1) | instid1(VALU_DEP_3)
	v_pk_fma_f32 v[74:75], v[72:73], v[94:95], v[74:75] op_sel_hi:[1,1,0] neg_lo:[0,0,1] neg_hi:[0,0,1]
	v_mul_f32_e32 v72, v73, v54
	v_pk_add_f32 v[114:115], v[114:115], v[84:85] neg_lo:[0,1] neg_hi:[0,1]
	s_delay_alu instid0(VALU_DEP_2) | instskip(NEXT) | instid1(VALU_DEP_1)
	v_pk_fma_f32 v[70:71], v[70:71], v[94:95], v[72:73] op_sel_hi:[1,1,0]
	v_mov_b32_e32 v75, v71
	ds_load_2addr_b64 v[70:73], v216 offset0:26 offset1:27
	v_pk_add_f32 v[110:111], v[110:111], v[74:75] neg_lo:[0,1] neg_hi:[0,1]
	s_wait_dscnt 0x0
	v_pk_mul_f32 v[74:75], v[70:71], v[68:69] op_sel:[0,1]
	s_delay_alu instid0(VALU_DEP_1) | instskip(SKIP_1) | instid1(VALU_DEP_1)
	v_pk_fma_f32 v[84:85], v[70:71], v[54:55], v[74:75] op_sel:[0,0,1] op_sel_hi:[1,1,0] neg_lo:[0,0,1] neg_hi:[0,0,1]
	v_pk_fma_f32 v[70:71], v[70:71], v[54:55], v[74:75] op_sel:[0,0,1] op_sel_hi:[1,0,0]
	v_mov_b32_e32 v85, v71
	v_pk_mul_f32 v[70:71], v[72:73], v[68:69] op_sel:[0,1]
	s_delay_alu instid0(VALU_DEP_1) | instskip(SKIP_1) | instid1(VALU_DEP_1)
	v_pk_fma_f32 v[74:75], v[72:73], v[54:55], v[70:71] op_sel:[0,0,1] op_sel_hi:[1,1,0] neg_lo:[0,0,1] neg_hi:[0,0,1]
	v_pk_fma_f32 v[70:71], v[72:73], v[54:55], v[70:71] op_sel:[0,0,1] op_sel_hi:[1,0,0]
	v_mov_b32_e32 v75, v71
	ds_load_2addr_b64 v[70:73], v216 offset0:28 offset1:29
	v_pk_add_f32 v[112:113], v[112:113], v[84:85] neg_lo:[0,1] neg_hi:[0,1]
	v_pk_add_f32 v[108:109], v[108:109], v[74:75] neg_lo:[0,1] neg_hi:[0,1]
	s_wait_dscnt 0x0
	v_pk_mul_f32 v[74:75], v[70:71], v[68:69] op_sel:[0,1]
	s_delay_alu instid0(VALU_DEP_1) | instskip(SKIP_1) | instid1(VALU_DEP_1)
	v_pk_fma_f32 v[84:85], v[70:71], v[54:55], v[74:75] op_sel:[0,0,1] op_sel_hi:[1,1,0] neg_lo:[0,0,1] neg_hi:[0,0,1]
	v_pk_fma_f32 v[70:71], v[70:71], v[54:55], v[74:75] op_sel:[0,0,1] op_sel_hi:[1,0,0]
	v_mov_b32_e32 v85, v71
	v_pk_mul_f32 v[70:71], v[72:73], v[68:69] op_sel:[0,1]
	s_delay_alu instid0(VALU_DEP_1) | instskip(SKIP_1) | instid1(VALU_DEP_1)
	v_pk_fma_f32 v[74:75], v[72:73], v[54:55], v[70:71] op_sel:[0,0,1] op_sel_hi:[1,1,0] neg_lo:[0,0,1] neg_hi:[0,0,1]
	v_pk_fma_f32 v[70:71], v[72:73], v[54:55], v[70:71] op_sel:[0,0,1] op_sel_hi:[1,0,0]
	v_mov_b32_e32 v75, v71
	ds_load_2addr_b64 v[70:73], v216 offset0:30 offset1:31
	v_pk_add_f32 v[130:131], v[130:131], v[84:85] neg_lo:[0,1] neg_hi:[0,1]
	v_pk_add_f32 v[126:127], v[126:127], v[74:75] neg_lo:[0,1] neg_hi:[0,1]
	s_wait_dscnt 0x0
	v_dual_mul_f32 v74, v71, v69 :: v_dual_mul_f32 v84, v71, v54
	s_delay_alu instid0(VALU_DEP_1) | instskip(NEXT) | instid1(VALU_DEP_2)
	v_pk_fma_f32 v[74:75], v[70:71], v[94:95], v[74:75] op_sel_hi:[1,1,0] neg_lo:[0,0,1] neg_hi:[0,0,1]
	v_pk_fma_f32 v[70:71], v[70:71], v[94:95], v[84:85] op_sel:[1,0,0] op_sel_hi:[0,1,0]
	s_delay_alu instid0(VALU_DEP_1) | instskip(SKIP_1) | instid1(VALU_DEP_2)
	v_mov_b32_e32 v75, v71
	v_pk_mul_f32 v[70:71], v[72:73], v[68:69] op_sel:[0,1]
	v_pk_add_f32 v[128:129], v[128:129], v[74:75] neg_lo:[0,1] neg_hi:[0,1]
	s_delay_alu instid0(VALU_DEP_2) | instskip(SKIP_1) | instid1(VALU_DEP_1)
	v_pk_fma_f32 v[74:75], v[72:73], v[54:55], v[70:71] op_sel:[0,0,1] op_sel_hi:[1,1,0] neg_lo:[0,0,1] neg_hi:[0,0,1]
	v_pk_fma_f32 v[70:71], v[72:73], v[54:55], v[70:71] op_sel:[0,0,1] op_sel_hi:[1,0,0]
	v_mov_b32_e32 v75, v71
	ds_load_2addr_b64 v[70:73], v216 offset0:32 offset1:33
	v_pk_add_f32 v[124:125], v[124:125], v[74:75] neg_lo:[0,1] neg_hi:[0,1]
	s_wait_dscnt 0x0
	v_pk_mul_f32 v[74:75], v[70:71], v[68:69] op_sel:[0,1]
	s_delay_alu instid0(VALU_DEP_1) | instskip(SKIP_1) | instid1(VALU_DEP_1)
	v_pk_fma_f32 v[84:85], v[70:71], v[54:55], v[74:75] op_sel:[0,0,1] op_sel_hi:[1,1,0] neg_lo:[0,0,1] neg_hi:[0,0,1]
	v_pk_fma_f32 v[70:71], v[70:71], v[54:55], v[74:75] op_sel:[0,0,1] op_sel_hi:[1,0,0]
	v_mov_b32_e32 v85, v71
	v_pk_mul_f32 v[70:71], v[72:73], v[68:69] op_sel:[0,1]
	s_delay_alu instid0(VALU_DEP_2) | instskip(NEXT) | instid1(VALU_DEP_2)
	v_pk_add_f32 v[146:147], v[146:147], v[84:85] neg_lo:[0,1] neg_hi:[0,1]
	v_pk_fma_f32 v[74:75], v[72:73], v[54:55], v[70:71] op_sel:[0,0,1] op_sel_hi:[1,1,0] neg_lo:[0,0,1] neg_hi:[0,0,1]
	v_pk_fma_f32 v[70:71], v[72:73], v[54:55], v[70:71] op_sel:[0,0,1] op_sel_hi:[1,0,0]
	s_delay_alu instid0(VALU_DEP_1) | instskip(SKIP_4) | instid1(VALU_DEP_1)
	v_mov_b32_e32 v75, v71
	ds_load_2addr_b64 v[70:73], v216 offset0:34 offset1:35
	v_pk_add_f32 v[142:143], v[142:143], v[74:75] neg_lo:[0,1] neg_hi:[0,1]
	s_wait_dscnt 0x0
	v_pk_mul_f32 v[74:75], v[70:71], v[68:69] op_sel:[0,1]
	v_pk_fma_f32 v[84:85], v[70:71], v[54:55], v[74:75] op_sel:[0,0,1] op_sel_hi:[1,1,0] neg_lo:[0,0,1] neg_hi:[0,0,1]
	v_pk_fma_f32 v[70:71], v[70:71], v[54:55], v[74:75] op_sel:[0,0,1] op_sel_hi:[1,0,0]
	v_dual_mul_f32 v74, v73, v69 :: v_dual_mov_b32 v70, v73
	s_delay_alu instid0(VALU_DEP_2) | instskip(NEXT) | instid1(VALU_DEP_2)
	v_dual_mov_b32 v85, v71 :: v_dual_mov_b32 v71, v72
	v_pk_fma_f32 v[74:75], v[72:73], v[94:95], v[74:75] op_sel_hi:[1,1,0] neg_lo:[0,0,1] neg_hi:[0,0,1]
	v_mul_f32_e32 v72, v73, v54
	s_delay_alu instid0(VALU_DEP_3) | instskip(NEXT) | instid1(VALU_DEP_2)
	v_pk_add_f32 v[144:145], v[144:145], v[84:85] neg_lo:[0,1] neg_hi:[0,1]
	v_pk_fma_f32 v[70:71], v[70:71], v[94:95], v[72:73] op_sel_hi:[1,1,0]
	s_delay_alu instid0(VALU_DEP_1) | instskip(SKIP_4) | instid1(VALU_DEP_1)
	v_mov_b32_e32 v75, v71
	ds_load_2addr_b64 v[70:73], v216 offset0:36 offset1:37
	v_pk_add_f32 v[140:141], v[140:141], v[74:75] neg_lo:[0,1] neg_hi:[0,1]
	s_wait_dscnt 0x0
	v_pk_mul_f32 v[74:75], v[70:71], v[68:69] op_sel:[0,1]
	v_pk_fma_f32 v[84:85], v[70:71], v[54:55], v[74:75] op_sel:[0,0,1] op_sel_hi:[1,1,0] neg_lo:[0,0,1] neg_hi:[0,0,1]
	v_pk_fma_f32 v[70:71], v[70:71], v[54:55], v[74:75] op_sel:[0,0,1] op_sel_hi:[1,0,0]
	s_delay_alu instid0(VALU_DEP_1) | instskip(SKIP_1) | instid1(VALU_DEP_1)
	v_mov_b32_e32 v85, v71
	v_pk_mul_f32 v[70:71], v[72:73], v[68:69] op_sel:[0,1]
	v_pk_fma_f32 v[74:75], v[72:73], v[54:55], v[70:71] op_sel:[0,0,1] op_sel_hi:[1,1,0] neg_lo:[0,0,1] neg_hi:[0,0,1]
	v_pk_fma_f32 v[70:71], v[72:73], v[54:55], v[70:71] op_sel:[0,0,1] op_sel_hi:[1,0,0]
	s_delay_alu instid0(VALU_DEP_1)
	v_mov_b32_e32 v75, v71
	ds_load_2addr_b64 v[70:73], v216 offset0:38 offset1:39
	v_pk_add_f32 v[162:163], v[162:163], v[84:85] neg_lo:[0,1] neg_hi:[0,1]
	v_pk_add_f32 v[158:159], v[158:159], v[74:75] neg_lo:[0,1] neg_hi:[0,1]
	s_wait_dscnt 0x0
	v_pk_mul_f32 v[74:75], v[70:71], v[68:69] op_sel:[0,1]
	s_delay_alu instid0(VALU_DEP_1) | instskip(SKIP_1) | instid1(VALU_DEP_1)
	v_pk_fma_f32 v[84:85], v[70:71], v[54:55], v[74:75] op_sel:[0,0,1] op_sel_hi:[1,1,0] neg_lo:[0,0,1] neg_hi:[0,0,1]
	v_pk_fma_f32 v[70:71], v[70:71], v[54:55], v[74:75] op_sel:[0,0,1] op_sel_hi:[1,0,0]
	v_mov_b32_e32 v85, v71
	v_pk_mul_f32 v[70:71], v[72:73], v[68:69] op_sel:[0,1]
	s_delay_alu instid0(VALU_DEP_1) | instskip(SKIP_1) | instid1(VALU_DEP_1)
	v_pk_fma_f32 v[74:75], v[72:73], v[54:55], v[70:71] op_sel:[0,0,1] op_sel_hi:[1,1,0] neg_lo:[0,0,1] neg_hi:[0,0,1]
	v_pk_fma_f32 v[70:71], v[72:73], v[54:55], v[70:71] op_sel:[0,0,1] op_sel_hi:[1,0,0]
	v_mov_b32_e32 v75, v71
	ds_load_2addr_b64 v[70:73], v216 offset0:40 offset1:41
	v_pk_add_f32 v[160:161], v[160:161], v[84:85] neg_lo:[0,1] neg_hi:[0,1]
	v_pk_add_f32 v[156:157], v[156:157], v[74:75] neg_lo:[0,1] neg_hi:[0,1]
	s_wait_dscnt 0x0
	v_dual_mul_f32 v74, v71, v69 :: v_dual_mul_f32 v84, v71, v54
	s_delay_alu instid0(VALU_DEP_1) | instskip(NEXT) | instid1(VALU_DEP_2)
	v_pk_fma_f32 v[74:75], v[70:71], v[94:95], v[74:75] op_sel_hi:[1,1,0] neg_lo:[0,0,1] neg_hi:[0,0,1]
	v_pk_fma_f32 v[70:71], v[70:71], v[94:95], v[84:85] op_sel:[1,0,0] op_sel_hi:[0,1,0]
	s_delay_alu instid0(VALU_DEP_1) | instskip(SKIP_1) | instid1(VALU_DEP_2)
	v_mov_b32_e32 v75, v71
	v_pk_mul_f32 v[70:71], v[72:73], v[68:69] op_sel:[0,1]
	v_pk_add_f32 v[178:179], v[178:179], v[74:75] neg_lo:[0,1] neg_hi:[0,1]
	s_delay_alu instid0(VALU_DEP_2) | instskip(SKIP_1) | instid1(VALU_DEP_1)
	v_pk_fma_f32 v[74:75], v[72:73], v[54:55], v[70:71] op_sel:[0,0,1] op_sel_hi:[1,1,0] neg_lo:[0,0,1] neg_hi:[0,0,1]
	v_pk_fma_f32 v[70:71], v[72:73], v[54:55], v[70:71] op_sel:[0,0,1] op_sel_hi:[1,0,0]
	v_mov_b32_e32 v75, v71
	ds_load_2addr_b64 v[70:73], v216 offset0:42 offset1:43
	v_pk_add_f32 v[174:175], v[174:175], v[74:75] neg_lo:[0,1] neg_hi:[0,1]
	s_wait_dscnt 0x0
	v_pk_mul_f32 v[74:75], v[70:71], v[68:69] op_sel:[0,1]
	s_delay_alu instid0(VALU_DEP_1) | instskip(SKIP_1) | instid1(VALU_DEP_1)
	v_pk_fma_f32 v[84:85], v[70:71], v[54:55], v[74:75] op_sel:[0,0,1] op_sel_hi:[1,1,0] neg_lo:[0,0,1] neg_hi:[0,0,1]
	v_pk_fma_f32 v[70:71], v[70:71], v[54:55], v[74:75] op_sel:[0,0,1] op_sel_hi:[1,0,0]
	v_mov_b32_e32 v85, v71
	v_pk_mul_f32 v[70:71], v[72:73], v[68:69] op_sel:[0,1]
	s_delay_alu instid0(VALU_DEP_2) | instskip(NEXT) | instid1(VALU_DEP_2)
	v_pk_add_f32 v[176:177], v[176:177], v[84:85] neg_lo:[0,1] neg_hi:[0,1]
	v_pk_fma_f32 v[74:75], v[72:73], v[54:55], v[70:71] op_sel:[0,0,1] op_sel_hi:[1,1,0] neg_lo:[0,0,1] neg_hi:[0,0,1]
	v_pk_fma_f32 v[70:71], v[72:73], v[54:55], v[70:71] op_sel:[0,0,1] op_sel_hi:[1,0,0]
	s_delay_alu instid0(VALU_DEP_1) | instskip(SKIP_4) | instid1(VALU_DEP_1)
	v_mov_b32_e32 v75, v71
	ds_load_2addr_b64 v[70:73], v216 offset0:44 offset1:45
	v_pk_add_f32 v[172:173], v[172:173], v[74:75] neg_lo:[0,1] neg_hi:[0,1]
	s_wait_dscnt 0x0
	v_pk_mul_f32 v[74:75], v[70:71], v[68:69] op_sel:[0,1]
	v_pk_fma_f32 v[84:85], v[70:71], v[54:55], v[74:75] op_sel:[0,0,1] op_sel_hi:[1,1,0] neg_lo:[0,0,1] neg_hi:[0,0,1]
	v_pk_fma_f32 v[70:71], v[70:71], v[54:55], v[74:75] op_sel:[0,0,1] op_sel_hi:[1,0,0]
	v_dual_mul_f32 v74, v73, v69 :: v_dual_mov_b32 v70, v73
	s_delay_alu instid0(VALU_DEP_2) | instskip(NEXT) | instid1(VALU_DEP_2)
	v_dual_mov_b32 v85, v71 :: v_dual_mov_b32 v71, v72
	v_pk_fma_f32 v[74:75], v[72:73], v[94:95], v[74:75] op_sel_hi:[1,1,0] neg_lo:[0,0,1] neg_hi:[0,0,1]
	v_mul_f32_e32 v72, v73, v54
	s_delay_alu instid0(VALU_DEP_3) | instskip(NEXT) | instid1(VALU_DEP_2)
	v_pk_add_f32 v[194:195], v[194:195], v[84:85] neg_lo:[0,1] neg_hi:[0,1]
	v_pk_fma_f32 v[70:71], v[70:71], v[94:95], v[72:73] op_sel_hi:[1,1,0]
	s_delay_alu instid0(VALU_DEP_1) | instskip(SKIP_4) | instid1(VALU_DEP_1)
	v_mov_b32_e32 v75, v71
	ds_load_2addr_b64 v[70:73], v216 offset0:46 offset1:47
	v_pk_add_f32 v[190:191], v[190:191], v[74:75] neg_lo:[0,1] neg_hi:[0,1]
	s_wait_dscnt 0x0
	v_pk_mul_f32 v[74:75], v[70:71], v[68:69] op_sel:[0,1]
	v_pk_fma_f32 v[84:85], v[70:71], v[54:55], v[74:75] op_sel:[0,0,1] op_sel_hi:[1,1,0] neg_lo:[0,0,1] neg_hi:[0,0,1]
	v_pk_fma_f32 v[70:71], v[70:71], v[54:55], v[74:75] op_sel:[0,0,1] op_sel_hi:[1,0,0]
	s_delay_alu instid0(VALU_DEP_1) | instskip(SKIP_1) | instid1(VALU_DEP_1)
	v_mov_b32_e32 v85, v71
	v_pk_mul_f32 v[70:71], v[72:73], v[68:69] op_sel:[0,1]
	v_pk_fma_f32 v[74:75], v[72:73], v[54:55], v[70:71] op_sel:[0,0,1] op_sel_hi:[1,1,0] neg_lo:[0,0,1] neg_hi:[0,0,1]
	v_pk_fma_f32 v[70:71], v[72:73], v[54:55], v[70:71] op_sel:[0,0,1] op_sel_hi:[1,0,0]
	s_delay_alu instid0(VALU_DEP_1)
	v_mov_b32_e32 v75, v71
	ds_load_2addr_b64 v[70:73], v216 offset0:48 offset1:49
	v_pk_add_f32 v[192:193], v[192:193], v[84:85] neg_lo:[0,1] neg_hi:[0,1]
	v_pk_add_f32 v[188:189], v[188:189], v[74:75] neg_lo:[0,1] neg_hi:[0,1]
	s_wait_dscnt 0x0
	v_pk_mul_f32 v[74:75], v[70:71], v[68:69] op_sel:[0,1]
	s_delay_alu instid0(VALU_DEP_1) | instskip(SKIP_1) | instid1(VALU_DEP_1)
	v_pk_fma_f32 v[84:85], v[70:71], v[54:55], v[74:75] op_sel:[0,0,1] op_sel_hi:[1,1,0] neg_lo:[0,0,1] neg_hi:[0,0,1]
	v_pk_fma_f32 v[70:71], v[70:71], v[54:55], v[74:75] op_sel:[0,0,1] op_sel_hi:[1,0,0]
	v_mov_b32_e32 v85, v71
	v_pk_mul_f32 v[70:71], v[72:73], v[68:69] op_sel:[0,1]
	s_delay_alu instid0(VALU_DEP_1) | instskip(SKIP_1) | instid1(VALU_DEP_1)
	v_pk_fma_f32 v[74:75], v[72:73], v[54:55], v[70:71] op_sel:[0,0,1] op_sel_hi:[1,1,0] neg_lo:[0,0,1] neg_hi:[0,0,1]
	v_pk_fma_f32 v[70:71], v[72:73], v[54:55], v[70:71] op_sel:[0,0,1] op_sel_hi:[1,0,0]
	v_mov_b32_e32 v75, v71
	ds_load_2addr_b64 v[70:73], v216 offset0:50 offset1:51
	v_pk_add_f32 v[214:215], v[214:215], v[84:85] neg_lo:[0,1] neg_hi:[0,1]
	v_pk_add_f32 v[210:211], v[210:211], v[74:75] neg_lo:[0,1] neg_hi:[0,1]
	s_wait_dscnt 0x0
	v_dual_mul_f32 v74, v71, v69 :: v_dual_mul_f32 v84, v71, v54
	s_delay_alu instid0(VALU_DEP_1) | instskip(NEXT) | instid1(VALU_DEP_2)
	v_pk_fma_f32 v[74:75], v[70:71], v[94:95], v[74:75] op_sel_hi:[1,1,0] neg_lo:[0,0,1] neg_hi:[0,0,1]
	v_pk_fma_f32 v[70:71], v[70:71], v[94:95], v[84:85] op_sel:[1,0,0] op_sel_hi:[0,1,0]
	s_delay_alu instid0(VALU_DEP_1) | instskip(SKIP_1) | instid1(VALU_DEP_2)
	v_mov_b32_e32 v75, v71
	v_pk_mul_f32 v[70:71], v[72:73], v[68:69] op_sel:[0,1]
	v_pk_add_f32 v[212:213], v[212:213], v[74:75] neg_lo:[0,1] neg_hi:[0,1]
	s_delay_alu instid0(VALU_DEP_2) | instskip(SKIP_1) | instid1(VALU_DEP_1)
	v_pk_fma_f32 v[74:75], v[72:73], v[54:55], v[70:71] op_sel:[0,0,1] op_sel_hi:[1,1,0] neg_lo:[0,0,1] neg_hi:[0,0,1]
	v_pk_fma_f32 v[70:71], v[72:73], v[54:55], v[70:71] op_sel:[0,0,1] op_sel_hi:[1,0,0]
	v_mov_b32_e32 v75, v71
	ds_load_2addr_b64 v[70:73], v216 offset0:52 offset1:53
	v_pk_add_f32 v[208:209], v[208:209], v[74:75] neg_lo:[0,1] neg_hi:[0,1]
	s_wait_dscnt 0x0
	v_pk_mul_f32 v[74:75], v[70:71], v[68:69] op_sel:[0,1]
	s_delay_alu instid0(VALU_DEP_1) | instskip(SKIP_1) | instid1(VALU_DEP_1)
	v_pk_fma_f32 v[84:85], v[70:71], v[54:55], v[74:75] op_sel:[0,0,1] op_sel_hi:[1,1,0] neg_lo:[0,0,1] neg_hi:[0,0,1]
	v_pk_fma_f32 v[70:71], v[70:71], v[54:55], v[74:75] op_sel:[0,0,1] op_sel_hi:[1,0,0]
	v_mov_b32_e32 v85, v71
	v_pk_mul_f32 v[70:71], v[72:73], v[68:69] op_sel:[0,1]
	s_delay_alu instid0(VALU_DEP_2) | instskip(NEXT) | instid1(VALU_DEP_2)
	v_pk_add_f32 v[236:237], v[236:237], v[84:85] neg_lo:[0,1] neg_hi:[0,1]
	v_pk_fma_f32 v[74:75], v[72:73], v[54:55], v[70:71] op_sel:[0,0,1] op_sel_hi:[1,1,0] neg_lo:[0,0,1] neg_hi:[0,0,1]
	v_pk_fma_f32 v[70:71], v[72:73], v[54:55], v[70:71] op_sel:[0,0,1] op_sel_hi:[1,0,0]
	s_delay_alu instid0(VALU_DEP_1) | instskip(SKIP_4) | instid1(VALU_DEP_1)
	v_mov_b32_e32 v75, v71
	ds_load_2addr_b64 v[70:73], v216 offset0:54 offset1:55
	v_pk_add_f32 v[230:231], v[230:231], v[74:75] neg_lo:[0,1] neg_hi:[0,1]
	s_wait_dscnt 0x0
	v_pk_mul_f32 v[74:75], v[70:71], v[68:69] op_sel:[0,1]
	v_pk_fma_f32 v[84:85], v[70:71], v[54:55], v[74:75] op_sel:[0,0,1] op_sel_hi:[1,1,0] neg_lo:[0,0,1] neg_hi:[0,0,1]
	v_pk_fma_f32 v[70:71], v[70:71], v[54:55], v[74:75] op_sel:[0,0,1] op_sel_hi:[1,0,0]
	v_dual_mul_f32 v74, v73, v69 :: v_dual_mov_b32 v70, v73
	s_delay_alu instid0(VALU_DEP_2) | instskip(NEXT) | instid1(VALU_DEP_2)
	v_dual_mov_b32 v85, v71 :: v_dual_mov_b32 v71, v72
	v_pk_fma_f32 v[74:75], v[72:73], v[94:95], v[74:75] op_sel_hi:[1,1,0] neg_lo:[0,0,1] neg_hi:[0,0,1]
	v_mul_f32_e32 v72, v73, v54
	s_delay_alu instid0(VALU_DEP_3) | instskip(NEXT) | instid1(VALU_DEP_2)
	v_pk_add_f32 v[234:235], v[234:235], v[84:85] neg_lo:[0,1] neg_hi:[0,1]
	v_pk_fma_f32 v[70:71], v[70:71], v[94:95], v[72:73] op_sel_hi:[1,1,0]
	s_delay_alu instid0(VALU_DEP_1) | instskip(SKIP_4) | instid1(VALU_DEP_1)
	v_mov_b32_e32 v75, v71
	ds_load_2addr_b64 v[70:73], v216 offset0:56 offset1:57
	v_pk_add_f32 v[228:229], v[228:229], v[74:75] neg_lo:[0,1] neg_hi:[0,1]
	s_wait_dscnt 0x0
	v_pk_mul_f32 v[74:75], v[70:71], v[68:69] op_sel:[0,1]
	v_pk_fma_f32 v[84:85], v[70:71], v[54:55], v[74:75] op_sel:[0,0,1] op_sel_hi:[1,1,0] neg_lo:[0,0,1] neg_hi:[0,0,1]
	v_pk_fma_f32 v[70:71], v[70:71], v[54:55], v[74:75] op_sel:[0,0,1] op_sel_hi:[1,0,0]
	s_delay_alu instid0(VALU_DEP_1) | instskip(SKIP_1) | instid1(VALU_DEP_1)
	v_mov_b32_e32 v85, v71
	v_pk_mul_f32 v[70:71], v[72:73], v[68:69] op_sel:[0,1]
	v_pk_fma_f32 v[74:75], v[72:73], v[54:55], v[70:71] op_sel:[0,0,1] op_sel_hi:[1,1,0] neg_lo:[0,0,1] neg_hi:[0,0,1]
	v_pk_fma_f32 v[70:71], v[72:73], v[54:55], v[70:71] op_sel:[0,0,1] op_sel_hi:[1,0,0]
	s_delay_alu instid0(VALU_DEP_1)
	v_mov_b32_e32 v75, v71
	ds_load_2addr_b64 v[70:73], v216 offset0:58 offset1:59
	v_pk_add_f32 v[232:233], v[232:233], v[84:85] neg_lo:[0,1] neg_hi:[0,1]
	v_pk_add_f32 v[226:227], v[226:227], v[74:75] neg_lo:[0,1] neg_hi:[0,1]
	s_wait_dscnt 0x0
	v_pk_mul_f32 v[74:75], v[70:71], v[68:69] op_sel:[0,1]
	v_pk_mul_f32 v[68:69], v[72:73], v[68:69] op_sel:[0,1]
	s_delay_alu instid0(VALU_DEP_2) | instskip(SKIP_1) | instid1(VALU_DEP_1)
	v_pk_fma_f32 v[84:85], v[70:71], v[54:55], v[74:75] op_sel:[0,0,1] op_sel_hi:[1,1,0] neg_lo:[0,0,1] neg_hi:[0,0,1]
	v_pk_fma_f32 v[70:71], v[70:71], v[54:55], v[74:75] op_sel:[0,0,1] op_sel_hi:[1,0,0]
	v_mov_b32_e32 v85, v71
	s_delay_alu instid0(VALU_DEP_4) | instskip(SKIP_1) | instid1(VALU_DEP_1)
	v_pk_fma_f32 v[70:71], v[72:73], v[54:55], v[68:69] op_sel:[0,0,1] op_sel_hi:[1,1,0] neg_lo:[0,0,1] neg_hi:[0,0,1]
	v_pk_fma_f32 v[54:55], v[72:73], v[54:55], v[68:69] op_sel:[0,0,1] op_sel_hi:[1,0,0]
	v_mov_b32_e32 v71, v55
	s_delay_alu instid0(VALU_DEP_4) | instskip(NEXT) | instid1(VALU_DEP_2)
	v_pk_add_f32 v[238:239], v[238:239], v[84:85] neg_lo:[0,1] neg_hi:[0,1]
	v_pk_add_f32 v[240:241], v[240:241], v[70:71] neg_lo:[0,1] neg_hi:[0,1]
.LBB119_199:
	s_or_b32 exec_lo, exec_lo, s1
	s_delay_alu instid0(SALU_CYCLE_1)
	s_mov_b32 s2, exec_lo
	s_wait_dscnt 0x0
	s_barrier_signal -1
	s_barrier_wait -1
	v_cmpx_eq_u32_e32 22, v206
	s_cbranch_execz .LBB119_206
; %bb.200:
	ds_store_b64 v207, v[96:97]
	ds_store_2addr_b64 v216, v[92:93], v[114:115] offset0:23 offset1:24
	ds_store_2addr_b64 v216, v[110:111], v[112:113] offset0:25 offset1:26
	;; [unrolled: 1-line block ×18, first 2 shown]
	ds_store_b64 v216, v[240:241] offset:472
	ds_load_b64 v[54:55], v207
	s_wait_dscnt 0x0
	v_cmp_neq_f32_e32 vcc_lo, 0, v54
	v_cmp_neq_f32_e64 s1, 0, v55
	s_or_b32 s1, vcc_lo, s1
	s_delay_alu instid0(SALU_CYCLE_1)
	s_and_b32 exec_lo, exec_lo, s1
	s_cbranch_execz .LBB119_206
; %bb.201:
	v_cmp_ngt_f32_e64 s1, |v54|, |v55|
                                        ; implicit-def: $vgpr68_vgpr69
	s_and_saveexec_b32 s4, s1
	s_delay_alu instid0(SALU_CYCLE_1)
	s_xor_b32 s1, exec_lo, s4
	s_cbranch_execz .LBB119_203
; %bb.202:
	v_div_scale_f32 v68, null, v55, v55, v54
	v_div_scale_f32 v71, vcc_lo, v54, v55, v54
	s_delay_alu instid0(VALU_DEP_2) | instskip(SKIP_1) | instid1(TRANS32_DEP_1)
	v_rcp_f32_e32 v69, v68
	v_nop
	v_fma_f32 v70, -v68, v69, 1.0
	s_delay_alu instid0(VALU_DEP_1) | instskip(NEXT) | instid1(VALU_DEP_1)
	v_fmac_f32_e32 v69, v70, v69
	v_mul_f32_e32 v70, v71, v69
	s_delay_alu instid0(VALU_DEP_1) | instskip(NEXT) | instid1(VALU_DEP_1)
	v_fma_f32 v72, -v68, v70, v71
	v_fmac_f32_e32 v70, v72, v69
	s_delay_alu instid0(VALU_DEP_1) | instskip(NEXT) | instid1(VALU_DEP_1)
	v_fma_f32 v68, -v68, v70, v71
	v_div_fmas_f32 v68, v68, v69, v70
	s_delay_alu instid0(VALU_DEP_1) | instskip(NEXT) | instid1(VALU_DEP_1)
	v_div_fixup_f32 v68, v68, v55, v54
	v_fmac_f32_e32 v55, v54, v68
	s_delay_alu instid0(VALU_DEP_1) | instskip(SKIP_1) | instid1(VALU_DEP_2)
	v_div_scale_f32 v54, null, v55, v55, 1.0
	v_div_scale_f32 v71, vcc_lo, 1.0, v55, 1.0
	v_rcp_f32_e32 v69, v54
	v_nop
	s_delay_alu instid0(TRANS32_DEP_1) | instskip(NEXT) | instid1(VALU_DEP_1)
	v_fma_f32 v70, -v54, v69, 1.0
	v_fmac_f32_e32 v69, v70, v69
	s_delay_alu instid0(VALU_DEP_1) | instskip(NEXT) | instid1(VALU_DEP_1)
	v_mul_f32_e32 v70, v71, v69
	v_fma_f32 v72, -v54, v70, v71
	s_delay_alu instid0(VALU_DEP_1) | instskip(NEXT) | instid1(VALU_DEP_1)
	v_fmac_f32_e32 v70, v72, v69
	v_fma_f32 v54, -v54, v70, v71
	s_delay_alu instid0(VALU_DEP_1) | instskip(NEXT) | instid1(VALU_DEP_1)
	v_div_fmas_f32 v54, v54, v69, v70
	v_div_fixup_f32 v54, v54, v55, 1.0
	s_delay_alu instid0(VALU_DEP_1)
	v_mul_f32_e32 v68, v68, v54
	v_xor_b32_e32 v69, 0x80000000, v54
                                        ; implicit-def: $vgpr54_vgpr55
.LBB119_203:
	s_and_not1_saveexec_b32 s1, s1
	s_cbranch_execz .LBB119_205
; %bb.204:
	v_div_scale_f32 v68, null, v54, v54, v55
	v_div_scale_f32 v71, vcc_lo, v55, v54, v55
	s_delay_alu instid0(VALU_DEP_2) | instskip(SKIP_1) | instid1(TRANS32_DEP_1)
	v_rcp_f32_e32 v69, v68
	v_nop
	v_fma_f32 v70, -v68, v69, 1.0
	s_delay_alu instid0(VALU_DEP_1) | instskip(NEXT) | instid1(VALU_DEP_1)
	v_fmac_f32_e32 v69, v70, v69
	v_mul_f32_e32 v70, v71, v69
	s_delay_alu instid0(VALU_DEP_1) | instskip(NEXT) | instid1(VALU_DEP_1)
	v_fma_f32 v72, -v68, v70, v71
	v_fmac_f32_e32 v70, v72, v69
	s_delay_alu instid0(VALU_DEP_1) | instskip(NEXT) | instid1(VALU_DEP_1)
	v_fma_f32 v68, -v68, v70, v71
	v_div_fmas_f32 v68, v68, v69, v70
	s_delay_alu instid0(VALU_DEP_1) | instskip(NEXT) | instid1(VALU_DEP_1)
	v_div_fixup_f32 v69, v68, v54, v55
	v_fmac_f32_e32 v54, v55, v69
	s_delay_alu instid0(VALU_DEP_1) | instskip(NEXT) | instid1(VALU_DEP_1)
	v_div_scale_f32 v55, null, v54, v54, 1.0
	v_rcp_f32_e32 v68, v55
	v_nop
	s_delay_alu instid0(TRANS32_DEP_1) | instskip(NEXT) | instid1(VALU_DEP_1)
	v_fma_f32 v70, -v55, v68, 1.0
	v_fmac_f32_e32 v68, v70, v68
	v_div_scale_f32 v70, vcc_lo, 1.0, v54, 1.0
	s_delay_alu instid0(VALU_DEP_1) | instskip(NEXT) | instid1(VALU_DEP_1)
	v_mul_f32_e32 v71, v70, v68
	v_fma_f32 v72, -v55, v71, v70
	s_delay_alu instid0(VALU_DEP_1) | instskip(NEXT) | instid1(VALU_DEP_1)
	v_fmac_f32_e32 v71, v72, v68
	v_fma_f32 v55, -v55, v71, v70
	s_delay_alu instid0(VALU_DEP_1) | instskip(NEXT) | instid1(VALU_DEP_1)
	v_div_fmas_f32 v55, v55, v68, v71
	v_div_fixup_f32 v68, v55, v54, 1.0
	s_delay_alu instid0(VALU_DEP_1)
	v_mul_f32_e64 v69, v69, -v68
.LBB119_205:
	s_or_b32 exec_lo, exec_lo, s1
	ds_store_b64 v207, v[68:69]
.LBB119_206:
	s_or_b32 exec_lo, exec_lo, s2
	s_wait_dscnt 0x0
	s_barrier_signal -1
	s_barrier_wait -1
	ds_load_b64 v[54:55], v207
	s_mov_b32 s1, exec_lo
	v_cmpx_lt_u32_e32 22, v206
	s_cbranch_execz .LBB119_208
; %bb.207:
	ds_load_2addr_b64 v[72:75], v216 offset0:23 offset1:24
	s_wait_dscnt 0x1
	v_pk_mul_f32 v[70:71], v[54:55], v[96:97] op_sel:[1,1] op_sel_hi:[0,1]
	s_delay_alu instid0(VALU_DEP_1) | instskip(SKIP_1) | instid1(VALU_DEP_1)
	v_pk_fma_f32 v[68:69], v[54:55], v[96:97], v[70:71] op_sel_hi:[1,0,1] neg_lo:[0,0,1] neg_hi:[0,0,1]
	v_pk_fma_f32 v[70:71], v[54:55], v[96:97], v[70:71] op_sel_hi:[1,0,1]
	v_dual_mov_b32 v96, v68 :: v_dual_mov_b32 v97, v71
	s_wait_dscnt 0x0
	s_delay_alu instid0(VALU_DEP_2) | instskip(NEXT) | instid1(VALU_DEP_1)
	v_pk_mul_f32 v[84:85], v[72:73], v[70:71] op_sel:[0,1]
	v_pk_fma_f32 v[86:87], v[72:73], v[68:69], v[84:85] op_sel:[0,0,1] op_sel_hi:[1,1,0] neg_lo:[0,0,1] neg_hi:[0,0,1]
	v_pk_fma_f32 v[72:73], v[72:73], v[68:69], v[84:85] op_sel:[0,0,1] op_sel_hi:[1,0,0]
	s_delay_alu instid0(VALU_DEP_1) | instskip(SKIP_1) | instid1(VALU_DEP_1)
	v_mov_b32_e32 v87, v73
	v_pk_mul_f32 v[72:73], v[74:75], v[70:71] op_sel:[0,1]
	v_pk_fma_f32 v[84:85], v[74:75], v[68:69], v[72:73] op_sel:[0,0,1] op_sel_hi:[1,1,0] neg_lo:[0,0,1] neg_hi:[0,0,1]
	v_pk_fma_f32 v[72:73], v[74:75], v[68:69], v[72:73] op_sel:[0,0,1] op_sel_hi:[1,0,0]
	s_delay_alu instid0(VALU_DEP_1)
	v_mov_b32_e32 v85, v73
	ds_load_2addr_b64 v[72:75], v216 offset0:25 offset1:26
	v_pk_add_f32 v[92:93], v[92:93], v[86:87] neg_lo:[0,1] neg_hi:[0,1]
	v_pk_add_f32 v[114:115], v[114:115], v[84:85] neg_lo:[0,1] neg_hi:[0,1]
	s_wait_dscnt 0x0
	v_pk_mul_f32 v[84:85], v[72:73], v[70:71] op_sel:[0,1]
	s_delay_alu instid0(VALU_DEP_1) | instskip(SKIP_2) | instid1(VALU_DEP_2)
	v_pk_fma_f32 v[86:87], v[72:73], v[68:69], v[84:85] op_sel:[0,0,1] op_sel_hi:[1,1,0] neg_lo:[0,0,1] neg_hi:[0,0,1]
	v_pk_fma_f32 v[72:73], v[72:73], v[68:69], v[84:85] op_sel:[0,0,1] op_sel_hi:[1,0,0]
	v_dual_mul_f32 v84, v75, v71 :: v_dual_mov_b32 v72, v75
	v_dual_mov_b32 v87, v73 :: v_dual_mov_b32 v73, v74
	s_delay_alu instid0(VALU_DEP_2) | instskip(SKIP_1) | instid1(VALU_DEP_3)
	v_pk_fma_f32 v[84:85], v[74:75], v[96:97], v[84:85] op_sel_hi:[1,1,0] neg_lo:[0,0,1] neg_hi:[0,0,1]
	v_mul_f32_e32 v74, v75, v68
	v_pk_add_f32 v[110:111], v[110:111], v[86:87] neg_lo:[0,1] neg_hi:[0,1]
	s_delay_alu instid0(VALU_DEP_2) | instskip(NEXT) | instid1(VALU_DEP_1)
	v_pk_fma_f32 v[72:73], v[72:73], v[96:97], v[74:75] op_sel_hi:[1,1,0]
	v_mov_b32_e32 v85, v73
	ds_load_2addr_b64 v[72:75], v216 offset0:27 offset1:28
	v_pk_add_f32 v[112:113], v[112:113], v[84:85] neg_lo:[0,1] neg_hi:[0,1]
	s_wait_dscnt 0x0
	v_pk_mul_f32 v[84:85], v[72:73], v[70:71] op_sel:[0,1]
	s_delay_alu instid0(VALU_DEP_1) | instskip(SKIP_1) | instid1(VALU_DEP_1)
	v_pk_fma_f32 v[86:87], v[72:73], v[68:69], v[84:85] op_sel:[0,0,1] op_sel_hi:[1,1,0] neg_lo:[0,0,1] neg_hi:[0,0,1]
	v_pk_fma_f32 v[72:73], v[72:73], v[68:69], v[84:85] op_sel:[0,0,1] op_sel_hi:[1,0,0]
	v_mov_b32_e32 v87, v73
	v_pk_mul_f32 v[72:73], v[74:75], v[70:71] op_sel:[0,1]
	s_delay_alu instid0(VALU_DEP_1) | instskip(SKIP_1) | instid1(VALU_DEP_1)
	v_pk_fma_f32 v[84:85], v[74:75], v[68:69], v[72:73] op_sel:[0,0,1] op_sel_hi:[1,1,0] neg_lo:[0,0,1] neg_hi:[0,0,1]
	v_pk_fma_f32 v[72:73], v[74:75], v[68:69], v[72:73] op_sel:[0,0,1] op_sel_hi:[1,0,0]
	v_mov_b32_e32 v85, v73
	ds_load_2addr_b64 v[72:75], v216 offset0:29 offset1:30
	v_pk_add_f32 v[108:109], v[108:109], v[86:87] neg_lo:[0,1] neg_hi:[0,1]
	v_pk_add_f32 v[130:131], v[130:131], v[84:85] neg_lo:[0,1] neg_hi:[0,1]
	s_wait_dscnt 0x0
	v_pk_mul_f32 v[84:85], v[72:73], v[70:71] op_sel:[0,1]
	s_delay_alu instid0(VALU_DEP_1) | instskip(SKIP_1) | instid1(VALU_DEP_1)
	v_pk_fma_f32 v[86:87], v[72:73], v[68:69], v[84:85] op_sel:[0,0,1] op_sel_hi:[1,1,0] neg_lo:[0,0,1] neg_hi:[0,0,1]
	v_pk_fma_f32 v[72:73], v[72:73], v[68:69], v[84:85] op_sel:[0,0,1] op_sel_hi:[1,0,0]
	v_mov_b32_e32 v87, v73
	v_pk_mul_f32 v[72:73], v[74:75], v[70:71] op_sel:[0,1]
	s_delay_alu instid0(VALU_DEP_1) | instskip(SKIP_1) | instid1(VALU_DEP_1)
	v_pk_fma_f32 v[84:85], v[74:75], v[68:69], v[72:73] op_sel:[0,0,1] op_sel_hi:[1,1,0] neg_lo:[0,0,1] neg_hi:[0,0,1]
	v_pk_fma_f32 v[72:73], v[74:75], v[68:69], v[72:73] op_sel:[0,0,1] op_sel_hi:[1,0,0]
	v_mov_b32_e32 v85, v73
	ds_load_2addr_b64 v[72:75], v216 offset0:31 offset1:32
	v_pk_add_f32 v[126:127], v[126:127], v[86:87] neg_lo:[0,1] neg_hi:[0,1]
	v_pk_add_f32 v[128:129], v[128:129], v[84:85] neg_lo:[0,1] neg_hi:[0,1]
	s_wait_dscnt 0x0
	v_dual_mul_f32 v84, v73, v71 :: v_dual_mul_f32 v86, v73, v68
	s_delay_alu instid0(VALU_DEP_1) | instskip(NEXT) | instid1(VALU_DEP_2)
	v_pk_fma_f32 v[84:85], v[72:73], v[96:97], v[84:85] op_sel_hi:[1,1,0] neg_lo:[0,0,1] neg_hi:[0,0,1]
	v_pk_fma_f32 v[72:73], v[72:73], v[96:97], v[86:87] op_sel:[1,0,0] op_sel_hi:[0,1,0]
	s_delay_alu instid0(VALU_DEP_1) | instskip(SKIP_1) | instid1(VALU_DEP_2)
	v_mov_b32_e32 v85, v73
	v_pk_mul_f32 v[72:73], v[74:75], v[70:71] op_sel:[0,1]
	v_pk_add_f32 v[124:125], v[124:125], v[84:85] neg_lo:[0,1] neg_hi:[0,1]
	s_delay_alu instid0(VALU_DEP_2) | instskip(SKIP_1) | instid1(VALU_DEP_1)
	v_pk_fma_f32 v[84:85], v[74:75], v[68:69], v[72:73] op_sel:[0,0,1] op_sel_hi:[1,1,0] neg_lo:[0,0,1] neg_hi:[0,0,1]
	v_pk_fma_f32 v[72:73], v[74:75], v[68:69], v[72:73] op_sel:[0,0,1] op_sel_hi:[1,0,0]
	v_mov_b32_e32 v85, v73
	ds_load_2addr_b64 v[72:75], v216 offset0:33 offset1:34
	v_pk_add_f32 v[146:147], v[146:147], v[84:85] neg_lo:[0,1] neg_hi:[0,1]
	s_wait_dscnt 0x0
	v_pk_mul_f32 v[84:85], v[72:73], v[70:71] op_sel:[0,1]
	s_delay_alu instid0(VALU_DEP_1) | instskip(SKIP_1) | instid1(VALU_DEP_1)
	v_pk_fma_f32 v[86:87], v[72:73], v[68:69], v[84:85] op_sel:[0,0,1] op_sel_hi:[1,1,0] neg_lo:[0,0,1] neg_hi:[0,0,1]
	v_pk_fma_f32 v[72:73], v[72:73], v[68:69], v[84:85] op_sel:[0,0,1] op_sel_hi:[1,0,0]
	v_mov_b32_e32 v87, v73
	v_pk_mul_f32 v[72:73], v[74:75], v[70:71] op_sel:[0,1]
	s_delay_alu instid0(VALU_DEP_2) | instskip(NEXT) | instid1(VALU_DEP_2)
	v_pk_add_f32 v[142:143], v[142:143], v[86:87] neg_lo:[0,1] neg_hi:[0,1]
	v_pk_fma_f32 v[84:85], v[74:75], v[68:69], v[72:73] op_sel:[0,0,1] op_sel_hi:[1,1,0] neg_lo:[0,0,1] neg_hi:[0,0,1]
	v_pk_fma_f32 v[72:73], v[74:75], v[68:69], v[72:73] op_sel:[0,0,1] op_sel_hi:[1,0,0]
	s_delay_alu instid0(VALU_DEP_1) | instskip(SKIP_4) | instid1(VALU_DEP_1)
	v_mov_b32_e32 v85, v73
	ds_load_2addr_b64 v[72:75], v216 offset0:35 offset1:36
	v_pk_add_f32 v[144:145], v[144:145], v[84:85] neg_lo:[0,1] neg_hi:[0,1]
	s_wait_dscnt 0x0
	v_pk_mul_f32 v[84:85], v[72:73], v[70:71] op_sel:[0,1]
	v_pk_fma_f32 v[86:87], v[72:73], v[68:69], v[84:85] op_sel:[0,0,1] op_sel_hi:[1,1,0] neg_lo:[0,0,1] neg_hi:[0,0,1]
	v_pk_fma_f32 v[72:73], v[72:73], v[68:69], v[84:85] op_sel:[0,0,1] op_sel_hi:[1,0,0]
	v_dual_mul_f32 v84, v75, v71 :: v_dual_mov_b32 v72, v75
	s_delay_alu instid0(VALU_DEP_2) | instskip(NEXT) | instid1(VALU_DEP_2)
	v_dual_mov_b32 v87, v73 :: v_dual_mov_b32 v73, v74
	v_pk_fma_f32 v[84:85], v[74:75], v[96:97], v[84:85] op_sel_hi:[1,1,0] neg_lo:[0,0,1] neg_hi:[0,0,1]
	v_mul_f32_e32 v74, v75, v68
	s_delay_alu instid0(VALU_DEP_3) | instskip(NEXT) | instid1(VALU_DEP_2)
	v_pk_add_f32 v[140:141], v[140:141], v[86:87] neg_lo:[0,1] neg_hi:[0,1]
	v_pk_fma_f32 v[72:73], v[72:73], v[96:97], v[74:75] op_sel_hi:[1,1,0]
	s_delay_alu instid0(VALU_DEP_1) | instskip(SKIP_4) | instid1(VALU_DEP_1)
	v_mov_b32_e32 v85, v73
	ds_load_2addr_b64 v[72:75], v216 offset0:37 offset1:38
	v_pk_add_f32 v[162:163], v[162:163], v[84:85] neg_lo:[0,1] neg_hi:[0,1]
	s_wait_dscnt 0x0
	v_pk_mul_f32 v[84:85], v[72:73], v[70:71] op_sel:[0,1]
	v_pk_fma_f32 v[86:87], v[72:73], v[68:69], v[84:85] op_sel:[0,0,1] op_sel_hi:[1,1,0] neg_lo:[0,0,1] neg_hi:[0,0,1]
	v_pk_fma_f32 v[72:73], v[72:73], v[68:69], v[84:85] op_sel:[0,0,1] op_sel_hi:[1,0,0]
	s_delay_alu instid0(VALU_DEP_1) | instskip(SKIP_1) | instid1(VALU_DEP_1)
	v_mov_b32_e32 v87, v73
	v_pk_mul_f32 v[72:73], v[74:75], v[70:71] op_sel:[0,1]
	v_pk_fma_f32 v[84:85], v[74:75], v[68:69], v[72:73] op_sel:[0,0,1] op_sel_hi:[1,1,0] neg_lo:[0,0,1] neg_hi:[0,0,1]
	v_pk_fma_f32 v[72:73], v[74:75], v[68:69], v[72:73] op_sel:[0,0,1] op_sel_hi:[1,0,0]
	s_delay_alu instid0(VALU_DEP_1)
	v_mov_b32_e32 v85, v73
	ds_load_2addr_b64 v[72:75], v216 offset0:39 offset1:40
	v_pk_add_f32 v[158:159], v[158:159], v[86:87] neg_lo:[0,1] neg_hi:[0,1]
	v_pk_add_f32 v[160:161], v[160:161], v[84:85] neg_lo:[0,1] neg_hi:[0,1]
	s_wait_dscnt 0x0
	v_pk_mul_f32 v[84:85], v[72:73], v[70:71] op_sel:[0,1]
	s_delay_alu instid0(VALU_DEP_1) | instskip(SKIP_1) | instid1(VALU_DEP_1)
	v_pk_fma_f32 v[86:87], v[72:73], v[68:69], v[84:85] op_sel:[0,0,1] op_sel_hi:[1,1,0] neg_lo:[0,0,1] neg_hi:[0,0,1]
	v_pk_fma_f32 v[72:73], v[72:73], v[68:69], v[84:85] op_sel:[0,0,1] op_sel_hi:[1,0,0]
	v_mov_b32_e32 v87, v73
	v_pk_mul_f32 v[72:73], v[74:75], v[70:71] op_sel:[0,1]
	s_delay_alu instid0(VALU_DEP_1) | instskip(SKIP_1) | instid1(VALU_DEP_1)
	v_pk_fma_f32 v[84:85], v[74:75], v[68:69], v[72:73] op_sel:[0,0,1] op_sel_hi:[1,1,0] neg_lo:[0,0,1] neg_hi:[0,0,1]
	v_pk_fma_f32 v[72:73], v[74:75], v[68:69], v[72:73] op_sel:[0,0,1] op_sel_hi:[1,0,0]
	v_mov_b32_e32 v85, v73
	ds_load_2addr_b64 v[72:75], v216 offset0:41 offset1:42
	v_pk_add_f32 v[156:157], v[156:157], v[86:87] neg_lo:[0,1] neg_hi:[0,1]
	v_pk_add_f32 v[178:179], v[178:179], v[84:85] neg_lo:[0,1] neg_hi:[0,1]
	s_wait_dscnt 0x0
	v_dual_mul_f32 v84, v73, v71 :: v_dual_mul_f32 v86, v73, v68
	s_delay_alu instid0(VALU_DEP_1) | instskip(NEXT) | instid1(VALU_DEP_2)
	v_pk_fma_f32 v[84:85], v[72:73], v[96:97], v[84:85] op_sel_hi:[1,1,0] neg_lo:[0,0,1] neg_hi:[0,0,1]
	v_pk_fma_f32 v[72:73], v[72:73], v[96:97], v[86:87] op_sel:[1,0,0] op_sel_hi:[0,1,0]
	s_delay_alu instid0(VALU_DEP_1) | instskip(SKIP_1) | instid1(VALU_DEP_2)
	v_mov_b32_e32 v85, v73
	v_pk_mul_f32 v[72:73], v[74:75], v[70:71] op_sel:[0,1]
	v_pk_add_f32 v[174:175], v[174:175], v[84:85] neg_lo:[0,1] neg_hi:[0,1]
	s_delay_alu instid0(VALU_DEP_2) | instskip(SKIP_1) | instid1(VALU_DEP_1)
	v_pk_fma_f32 v[84:85], v[74:75], v[68:69], v[72:73] op_sel:[0,0,1] op_sel_hi:[1,1,0] neg_lo:[0,0,1] neg_hi:[0,0,1]
	v_pk_fma_f32 v[72:73], v[74:75], v[68:69], v[72:73] op_sel:[0,0,1] op_sel_hi:[1,0,0]
	v_mov_b32_e32 v85, v73
	ds_load_2addr_b64 v[72:75], v216 offset0:43 offset1:44
	v_pk_add_f32 v[176:177], v[176:177], v[84:85] neg_lo:[0,1] neg_hi:[0,1]
	s_wait_dscnt 0x0
	v_pk_mul_f32 v[84:85], v[72:73], v[70:71] op_sel:[0,1]
	s_delay_alu instid0(VALU_DEP_1) | instskip(SKIP_1) | instid1(VALU_DEP_1)
	v_pk_fma_f32 v[86:87], v[72:73], v[68:69], v[84:85] op_sel:[0,0,1] op_sel_hi:[1,1,0] neg_lo:[0,0,1] neg_hi:[0,0,1]
	v_pk_fma_f32 v[72:73], v[72:73], v[68:69], v[84:85] op_sel:[0,0,1] op_sel_hi:[1,0,0]
	v_mov_b32_e32 v87, v73
	v_pk_mul_f32 v[72:73], v[74:75], v[70:71] op_sel:[0,1]
	s_delay_alu instid0(VALU_DEP_2) | instskip(NEXT) | instid1(VALU_DEP_2)
	v_pk_add_f32 v[172:173], v[172:173], v[86:87] neg_lo:[0,1] neg_hi:[0,1]
	v_pk_fma_f32 v[84:85], v[74:75], v[68:69], v[72:73] op_sel:[0,0,1] op_sel_hi:[1,1,0] neg_lo:[0,0,1] neg_hi:[0,0,1]
	v_pk_fma_f32 v[72:73], v[74:75], v[68:69], v[72:73] op_sel:[0,0,1] op_sel_hi:[1,0,0]
	s_delay_alu instid0(VALU_DEP_1) | instskip(SKIP_4) | instid1(VALU_DEP_1)
	v_mov_b32_e32 v85, v73
	ds_load_2addr_b64 v[72:75], v216 offset0:45 offset1:46
	v_pk_add_f32 v[194:195], v[194:195], v[84:85] neg_lo:[0,1] neg_hi:[0,1]
	s_wait_dscnt 0x0
	v_pk_mul_f32 v[84:85], v[72:73], v[70:71] op_sel:[0,1]
	v_pk_fma_f32 v[86:87], v[72:73], v[68:69], v[84:85] op_sel:[0,0,1] op_sel_hi:[1,1,0] neg_lo:[0,0,1] neg_hi:[0,0,1]
	v_pk_fma_f32 v[72:73], v[72:73], v[68:69], v[84:85] op_sel:[0,0,1] op_sel_hi:[1,0,0]
	v_dual_mul_f32 v84, v75, v71 :: v_dual_mov_b32 v72, v75
	s_delay_alu instid0(VALU_DEP_2) | instskip(NEXT) | instid1(VALU_DEP_2)
	v_dual_mov_b32 v87, v73 :: v_dual_mov_b32 v73, v74
	v_pk_fma_f32 v[84:85], v[74:75], v[96:97], v[84:85] op_sel_hi:[1,1,0] neg_lo:[0,0,1] neg_hi:[0,0,1]
	v_mul_f32_e32 v74, v75, v68
	s_delay_alu instid0(VALU_DEP_3) | instskip(NEXT) | instid1(VALU_DEP_2)
	v_pk_add_f32 v[190:191], v[190:191], v[86:87] neg_lo:[0,1] neg_hi:[0,1]
	v_pk_fma_f32 v[72:73], v[72:73], v[96:97], v[74:75] op_sel_hi:[1,1,0]
	s_delay_alu instid0(VALU_DEP_1) | instskip(SKIP_4) | instid1(VALU_DEP_1)
	v_mov_b32_e32 v85, v73
	ds_load_2addr_b64 v[72:75], v216 offset0:47 offset1:48
	v_pk_add_f32 v[192:193], v[192:193], v[84:85] neg_lo:[0,1] neg_hi:[0,1]
	s_wait_dscnt 0x0
	v_pk_mul_f32 v[84:85], v[72:73], v[70:71] op_sel:[0,1]
	v_pk_fma_f32 v[86:87], v[72:73], v[68:69], v[84:85] op_sel:[0,0,1] op_sel_hi:[1,1,0] neg_lo:[0,0,1] neg_hi:[0,0,1]
	v_pk_fma_f32 v[72:73], v[72:73], v[68:69], v[84:85] op_sel:[0,0,1] op_sel_hi:[1,0,0]
	s_delay_alu instid0(VALU_DEP_1) | instskip(SKIP_1) | instid1(VALU_DEP_1)
	v_mov_b32_e32 v87, v73
	v_pk_mul_f32 v[72:73], v[74:75], v[70:71] op_sel:[0,1]
	v_pk_fma_f32 v[84:85], v[74:75], v[68:69], v[72:73] op_sel:[0,0,1] op_sel_hi:[1,1,0] neg_lo:[0,0,1] neg_hi:[0,0,1]
	v_pk_fma_f32 v[72:73], v[74:75], v[68:69], v[72:73] op_sel:[0,0,1] op_sel_hi:[1,0,0]
	s_delay_alu instid0(VALU_DEP_1)
	v_mov_b32_e32 v85, v73
	ds_load_2addr_b64 v[72:75], v216 offset0:49 offset1:50
	v_pk_add_f32 v[188:189], v[188:189], v[86:87] neg_lo:[0,1] neg_hi:[0,1]
	v_pk_add_f32 v[214:215], v[214:215], v[84:85] neg_lo:[0,1] neg_hi:[0,1]
	s_wait_dscnt 0x0
	v_pk_mul_f32 v[84:85], v[72:73], v[70:71] op_sel:[0,1]
	s_delay_alu instid0(VALU_DEP_1) | instskip(SKIP_1) | instid1(VALU_DEP_1)
	v_pk_fma_f32 v[86:87], v[72:73], v[68:69], v[84:85] op_sel:[0,0,1] op_sel_hi:[1,1,0] neg_lo:[0,0,1] neg_hi:[0,0,1]
	v_pk_fma_f32 v[72:73], v[72:73], v[68:69], v[84:85] op_sel:[0,0,1] op_sel_hi:[1,0,0]
	v_mov_b32_e32 v87, v73
	v_pk_mul_f32 v[72:73], v[74:75], v[70:71] op_sel:[0,1]
	s_delay_alu instid0(VALU_DEP_1) | instskip(SKIP_1) | instid1(VALU_DEP_1)
	v_pk_fma_f32 v[84:85], v[74:75], v[68:69], v[72:73] op_sel:[0,0,1] op_sel_hi:[1,1,0] neg_lo:[0,0,1] neg_hi:[0,0,1]
	v_pk_fma_f32 v[72:73], v[74:75], v[68:69], v[72:73] op_sel:[0,0,1] op_sel_hi:[1,0,0]
	v_mov_b32_e32 v85, v73
	ds_load_2addr_b64 v[72:75], v216 offset0:51 offset1:52
	v_pk_add_f32 v[210:211], v[210:211], v[86:87] neg_lo:[0,1] neg_hi:[0,1]
	v_pk_add_f32 v[212:213], v[212:213], v[84:85] neg_lo:[0,1] neg_hi:[0,1]
	s_wait_dscnt 0x0
	v_dual_mul_f32 v84, v73, v71 :: v_dual_mul_f32 v86, v73, v68
	s_delay_alu instid0(VALU_DEP_1) | instskip(NEXT) | instid1(VALU_DEP_2)
	v_pk_fma_f32 v[84:85], v[72:73], v[96:97], v[84:85] op_sel_hi:[1,1,0] neg_lo:[0,0,1] neg_hi:[0,0,1]
	v_pk_fma_f32 v[72:73], v[72:73], v[96:97], v[86:87] op_sel:[1,0,0] op_sel_hi:[0,1,0]
	s_delay_alu instid0(VALU_DEP_1) | instskip(SKIP_1) | instid1(VALU_DEP_2)
	v_mov_b32_e32 v85, v73
	v_pk_mul_f32 v[72:73], v[74:75], v[70:71] op_sel:[0,1]
	v_pk_add_f32 v[208:209], v[208:209], v[84:85] neg_lo:[0,1] neg_hi:[0,1]
	s_delay_alu instid0(VALU_DEP_2) | instskip(SKIP_1) | instid1(VALU_DEP_1)
	v_pk_fma_f32 v[84:85], v[74:75], v[68:69], v[72:73] op_sel:[0,0,1] op_sel_hi:[1,1,0] neg_lo:[0,0,1] neg_hi:[0,0,1]
	v_pk_fma_f32 v[72:73], v[74:75], v[68:69], v[72:73] op_sel:[0,0,1] op_sel_hi:[1,0,0]
	v_mov_b32_e32 v85, v73
	ds_load_2addr_b64 v[72:75], v216 offset0:53 offset1:54
	v_pk_add_f32 v[236:237], v[236:237], v[84:85] neg_lo:[0,1] neg_hi:[0,1]
	s_wait_dscnt 0x0
	v_pk_mul_f32 v[84:85], v[72:73], v[70:71] op_sel:[0,1]
	s_delay_alu instid0(VALU_DEP_1) | instskip(SKIP_1) | instid1(VALU_DEP_1)
	v_pk_fma_f32 v[86:87], v[72:73], v[68:69], v[84:85] op_sel:[0,0,1] op_sel_hi:[1,1,0] neg_lo:[0,0,1] neg_hi:[0,0,1]
	v_pk_fma_f32 v[72:73], v[72:73], v[68:69], v[84:85] op_sel:[0,0,1] op_sel_hi:[1,0,0]
	v_mov_b32_e32 v87, v73
	v_pk_mul_f32 v[72:73], v[74:75], v[70:71] op_sel:[0,1]
	s_delay_alu instid0(VALU_DEP_2) | instskip(NEXT) | instid1(VALU_DEP_2)
	v_pk_add_f32 v[230:231], v[230:231], v[86:87] neg_lo:[0,1] neg_hi:[0,1]
	v_pk_fma_f32 v[84:85], v[74:75], v[68:69], v[72:73] op_sel:[0,0,1] op_sel_hi:[1,1,0] neg_lo:[0,0,1] neg_hi:[0,0,1]
	v_pk_fma_f32 v[72:73], v[74:75], v[68:69], v[72:73] op_sel:[0,0,1] op_sel_hi:[1,0,0]
	s_delay_alu instid0(VALU_DEP_1) | instskip(SKIP_4) | instid1(VALU_DEP_1)
	v_mov_b32_e32 v85, v73
	ds_load_2addr_b64 v[72:75], v216 offset0:55 offset1:56
	v_pk_add_f32 v[234:235], v[234:235], v[84:85] neg_lo:[0,1] neg_hi:[0,1]
	s_wait_dscnt 0x0
	v_pk_mul_f32 v[84:85], v[72:73], v[70:71] op_sel:[0,1]
	v_pk_fma_f32 v[86:87], v[72:73], v[68:69], v[84:85] op_sel:[0,0,1] op_sel_hi:[1,1,0] neg_lo:[0,0,1] neg_hi:[0,0,1]
	v_pk_fma_f32 v[72:73], v[72:73], v[68:69], v[84:85] op_sel:[0,0,1] op_sel_hi:[1,0,0]
	v_dual_mul_f32 v84, v75, v71 :: v_dual_mov_b32 v72, v75
	s_delay_alu instid0(VALU_DEP_2) | instskip(NEXT) | instid1(VALU_DEP_2)
	v_dual_mov_b32 v87, v73 :: v_dual_mov_b32 v73, v74
	v_pk_fma_f32 v[84:85], v[74:75], v[96:97], v[84:85] op_sel_hi:[1,1,0] neg_lo:[0,0,1] neg_hi:[0,0,1]
	v_mul_f32_e32 v74, v75, v68
	s_delay_alu instid0(VALU_DEP_3) | instskip(NEXT) | instid1(VALU_DEP_2)
	v_pk_add_f32 v[228:229], v[228:229], v[86:87] neg_lo:[0,1] neg_hi:[0,1]
	v_pk_fma_f32 v[72:73], v[72:73], v[96:97], v[74:75] op_sel_hi:[1,1,0]
	s_delay_alu instid0(VALU_DEP_1) | instskip(SKIP_4) | instid1(VALU_DEP_1)
	v_mov_b32_e32 v85, v73
	ds_load_2addr_b64 v[72:75], v216 offset0:57 offset1:58
	v_pk_add_f32 v[232:233], v[232:233], v[84:85] neg_lo:[0,1] neg_hi:[0,1]
	s_wait_dscnt 0x0
	v_pk_mul_f32 v[84:85], v[72:73], v[70:71] op_sel:[0,1]
	v_pk_fma_f32 v[86:87], v[72:73], v[68:69], v[84:85] op_sel:[0,0,1] op_sel_hi:[1,1,0] neg_lo:[0,0,1] neg_hi:[0,0,1]
	v_pk_fma_f32 v[72:73], v[72:73], v[68:69], v[84:85] op_sel:[0,0,1] op_sel_hi:[1,0,0]
	s_delay_alu instid0(VALU_DEP_1) | instskip(SKIP_1) | instid1(VALU_DEP_1)
	v_mov_b32_e32 v87, v73
	v_pk_mul_f32 v[72:73], v[74:75], v[70:71] op_sel:[0,1]
	v_pk_fma_f32 v[84:85], v[74:75], v[68:69], v[72:73] op_sel:[0,0,1] op_sel_hi:[1,1,0] neg_lo:[0,0,1] neg_hi:[0,0,1]
	v_pk_fma_f32 v[72:73], v[74:75], v[68:69], v[72:73] op_sel:[0,0,1] op_sel_hi:[1,0,0]
	s_delay_alu instid0(VALU_DEP_1)
	v_mov_b32_e32 v85, v73
	ds_load_b64 v[72:73], v216 offset:472
	v_pk_add_f32 v[226:227], v[226:227], v[86:87] neg_lo:[0,1] neg_hi:[0,1]
	v_pk_add_f32 v[238:239], v[238:239], v[84:85] neg_lo:[0,1] neg_hi:[0,1]
	s_wait_dscnt 0x0
	v_pk_mul_f32 v[70:71], v[72:73], v[70:71] op_sel:[0,1]
	s_delay_alu instid0(VALU_DEP_1) | instskip(SKIP_1) | instid1(VALU_DEP_1)
	v_pk_fma_f32 v[74:75], v[72:73], v[68:69], v[70:71] op_sel:[0,0,1] op_sel_hi:[1,1,0] neg_lo:[0,0,1] neg_hi:[0,0,1]
	v_pk_fma_f32 v[68:69], v[72:73], v[68:69], v[70:71] op_sel:[0,0,1] op_sel_hi:[1,0,0]
	v_mov_b32_e32 v75, v69
	s_delay_alu instid0(VALU_DEP_1)
	v_pk_add_f32 v[240:241], v[240:241], v[74:75] neg_lo:[0,1] neg_hi:[0,1]
.LBB119_208:
	s_or_b32 exec_lo, exec_lo, s1
	s_delay_alu instid0(SALU_CYCLE_1)
	s_mov_b32 s2, exec_lo
	s_wait_dscnt 0x0
	s_barrier_signal -1
	s_barrier_wait -1
	v_cmpx_eq_u32_e32 23, v206
	s_cbranch_execz .LBB119_215
; %bb.209:
	v_dual_mov_b32 v68, v114 :: v_dual_mov_b32 v69, v115
	v_dual_mov_b32 v70, v110 :: v_dual_mov_b32 v71, v111
	ds_store_b64 v207, v[92:93]
	ds_store_2addr_b64 v216, v[68:69], v[70:71] offset0:24 offset1:25
	v_dual_mov_b32 v68, v112 :: v_dual_mov_b32 v69, v113
	v_dual_mov_b32 v70, v108 :: v_dual_mov_b32 v71, v109
	ds_store_2addr_b64 v216, v[68:69], v[70:71] offset0:26 offset1:27
	v_dual_mov_b32 v68, v130 :: v_dual_mov_b32 v69, v131
	v_dual_mov_b32 v70, v126 :: v_dual_mov_b32 v71, v127
	;; [unrolled: 3-line block ×16, first 2 shown]
	ds_store_2addr_b64 v216, v[68:69], v[70:71] offset0:56 offset1:57
	v_dual_mov_b32 v68, v238 :: v_dual_mov_b32 v69, v239
	ds_store_2addr_b64 v216, v[68:69], v[240:241] offset0:58 offset1:59
	ds_load_b64 v[68:69], v207
	s_wait_dscnt 0x0
	v_cmp_neq_f32_e32 vcc_lo, 0, v68
	v_cmp_neq_f32_e64 s1, 0, v69
	s_or_b32 s1, vcc_lo, s1
	s_delay_alu instid0(SALU_CYCLE_1)
	s_and_b32 exec_lo, exec_lo, s1
	s_cbranch_execz .LBB119_215
; %bb.210:
	v_cmp_ngt_f32_e64 s1, |v68|, |v69|
                                        ; implicit-def: $vgpr70_vgpr71
	s_and_saveexec_b32 s4, s1
	s_delay_alu instid0(SALU_CYCLE_1)
	s_xor_b32 s1, exec_lo, s4
	s_cbranch_execz .LBB119_212
; %bb.211:
	v_div_scale_f32 v70, null, v69, v69, v68
	v_div_scale_f32 v73, vcc_lo, v68, v69, v68
	s_delay_alu instid0(VALU_DEP_2) | instskip(SKIP_1) | instid1(TRANS32_DEP_1)
	v_rcp_f32_e32 v71, v70
	v_nop
	v_fma_f32 v72, -v70, v71, 1.0
	s_delay_alu instid0(VALU_DEP_1) | instskip(NEXT) | instid1(VALU_DEP_1)
	v_fmac_f32_e32 v71, v72, v71
	v_mul_f32_e32 v72, v73, v71
	s_delay_alu instid0(VALU_DEP_1) | instskip(NEXT) | instid1(VALU_DEP_1)
	v_fma_f32 v74, -v70, v72, v73
	v_fmac_f32_e32 v72, v74, v71
	s_delay_alu instid0(VALU_DEP_1) | instskip(NEXT) | instid1(VALU_DEP_1)
	v_fma_f32 v70, -v70, v72, v73
	v_div_fmas_f32 v70, v70, v71, v72
	s_delay_alu instid0(VALU_DEP_1) | instskip(NEXT) | instid1(VALU_DEP_1)
	v_div_fixup_f32 v70, v70, v69, v68
	v_fmac_f32_e32 v69, v68, v70
	s_delay_alu instid0(VALU_DEP_1) | instskip(SKIP_1) | instid1(VALU_DEP_2)
	v_div_scale_f32 v68, null, v69, v69, 1.0
	v_div_scale_f32 v73, vcc_lo, 1.0, v69, 1.0
	v_rcp_f32_e32 v71, v68
	v_nop
	s_delay_alu instid0(TRANS32_DEP_1) | instskip(NEXT) | instid1(VALU_DEP_1)
	v_fma_f32 v72, -v68, v71, 1.0
	v_fmac_f32_e32 v71, v72, v71
	s_delay_alu instid0(VALU_DEP_1) | instskip(NEXT) | instid1(VALU_DEP_1)
	v_mul_f32_e32 v72, v73, v71
	v_fma_f32 v74, -v68, v72, v73
	s_delay_alu instid0(VALU_DEP_1) | instskip(NEXT) | instid1(VALU_DEP_1)
	v_fmac_f32_e32 v72, v74, v71
	v_fma_f32 v68, -v68, v72, v73
	s_delay_alu instid0(VALU_DEP_1) | instskip(NEXT) | instid1(VALU_DEP_1)
	v_div_fmas_f32 v68, v68, v71, v72
	v_div_fixup_f32 v68, v68, v69, 1.0
	s_delay_alu instid0(VALU_DEP_1)
	v_mul_f32_e32 v70, v70, v68
	v_xor_b32_e32 v71, 0x80000000, v68
                                        ; implicit-def: $vgpr68_vgpr69
.LBB119_212:
	s_and_not1_saveexec_b32 s1, s1
	s_cbranch_execz .LBB119_214
; %bb.213:
	v_div_scale_f32 v70, null, v68, v68, v69
	v_div_scale_f32 v73, vcc_lo, v69, v68, v69
	s_delay_alu instid0(VALU_DEP_2) | instskip(SKIP_1) | instid1(TRANS32_DEP_1)
	v_rcp_f32_e32 v71, v70
	v_nop
	v_fma_f32 v72, -v70, v71, 1.0
	s_delay_alu instid0(VALU_DEP_1) | instskip(NEXT) | instid1(VALU_DEP_1)
	v_fmac_f32_e32 v71, v72, v71
	v_mul_f32_e32 v72, v73, v71
	s_delay_alu instid0(VALU_DEP_1) | instskip(NEXT) | instid1(VALU_DEP_1)
	v_fma_f32 v74, -v70, v72, v73
	v_fmac_f32_e32 v72, v74, v71
	s_delay_alu instid0(VALU_DEP_1) | instskip(NEXT) | instid1(VALU_DEP_1)
	v_fma_f32 v70, -v70, v72, v73
	v_div_fmas_f32 v70, v70, v71, v72
	s_delay_alu instid0(VALU_DEP_1) | instskip(NEXT) | instid1(VALU_DEP_1)
	v_div_fixup_f32 v71, v70, v68, v69
	v_fmac_f32_e32 v68, v69, v71
	s_delay_alu instid0(VALU_DEP_1) | instskip(NEXT) | instid1(VALU_DEP_1)
	v_div_scale_f32 v69, null, v68, v68, 1.0
	v_rcp_f32_e32 v70, v69
	v_nop
	s_delay_alu instid0(TRANS32_DEP_1) | instskip(NEXT) | instid1(VALU_DEP_1)
	v_fma_f32 v72, -v69, v70, 1.0
	v_fmac_f32_e32 v70, v72, v70
	v_div_scale_f32 v72, vcc_lo, 1.0, v68, 1.0
	s_delay_alu instid0(VALU_DEP_1) | instskip(NEXT) | instid1(VALU_DEP_1)
	v_mul_f32_e32 v73, v72, v70
	v_fma_f32 v74, -v69, v73, v72
	s_delay_alu instid0(VALU_DEP_1) | instskip(NEXT) | instid1(VALU_DEP_1)
	v_fmac_f32_e32 v73, v74, v70
	v_fma_f32 v69, -v69, v73, v72
	s_delay_alu instid0(VALU_DEP_1) | instskip(NEXT) | instid1(VALU_DEP_1)
	v_div_fmas_f32 v69, v69, v70, v73
	v_div_fixup_f32 v70, v69, v68, 1.0
	s_delay_alu instid0(VALU_DEP_1)
	v_mul_f32_e64 v71, v71, -v70
.LBB119_214:
	s_or_b32 exec_lo, exec_lo, s1
	ds_store_b64 v207, v[70:71]
.LBB119_215:
	s_or_b32 exec_lo, exec_lo, s2
	s_wait_dscnt 0x0
	s_barrier_signal -1
	s_barrier_wait -1
	ds_load_b64 v[68:69], v207
	s_mov_b32 s1, exec_lo
	v_cmpx_lt_u32_e32 23, v206
	s_cbranch_execz .LBB119_217
; %bb.216:
	ds_load_2addr_b64 v[84:87], v216 offset0:24 offset1:25
	s_wait_dscnt 0x1
	v_pk_mul_f32 v[72:73], v[68:69], v[92:93] op_sel:[1,1] op_sel_hi:[0,1]
	s_delay_alu instid0(VALU_DEP_1) | instskip(SKIP_1) | instid1(VALU_DEP_1)
	v_pk_fma_f32 v[70:71], v[68:69], v[92:93], v[72:73] op_sel_hi:[1,0,1] neg_lo:[0,0,1] neg_hi:[0,0,1]
	v_pk_fma_f32 v[72:73], v[68:69], v[92:93], v[72:73] op_sel_hi:[1,0,1]
	v_dual_mov_b32 v92, v70 :: v_dual_mov_b32 v93, v73
	s_wait_dscnt 0x0
	s_delay_alu instid0(VALU_DEP_2) | instskip(NEXT) | instid1(VALU_DEP_1)
	v_pk_mul_f32 v[74:75], v[84:85], v[72:73] op_sel:[0,1]
	v_pk_fma_f32 v[88:89], v[84:85], v[70:71], v[74:75] op_sel:[0,0,1] op_sel_hi:[1,1,0] neg_lo:[0,0,1] neg_hi:[0,0,1]
	v_pk_fma_f32 v[74:75], v[84:85], v[70:71], v[74:75] op_sel:[0,0,1] op_sel_hi:[1,0,0]
	s_delay_alu instid0(VALU_DEP_1) | instskip(SKIP_1) | instid1(VALU_DEP_1)
	v_mov_b32_e32 v89, v75
	v_pk_mul_f32 v[74:75], v[86:87], v[72:73] op_sel:[0,1]
	v_pk_fma_f32 v[84:85], v[86:87], v[70:71], v[74:75] op_sel:[0,0,1] op_sel_hi:[1,1,0] neg_lo:[0,0,1] neg_hi:[0,0,1]
	v_pk_fma_f32 v[74:75], v[86:87], v[70:71], v[74:75] op_sel:[0,0,1] op_sel_hi:[1,0,0]
	s_delay_alu instid0(VALU_DEP_1) | instskip(SKIP_1) | instid1(VALU_DEP_2)
	v_mov_b32_e32 v85, v75
	v_pk_add_f32 v[114:115], v[114:115], v[88:89] neg_lo:[0,1] neg_hi:[0,1]
	v_pk_add_f32 v[110:111], v[110:111], v[84:85] neg_lo:[0,1] neg_hi:[0,1]
	ds_load_2addr_b64 v[84:87], v216 offset0:26 offset1:27
	s_wait_dscnt 0x0
	v_pk_mul_f32 v[74:75], v[84:85], v[72:73] op_sel:[0,1]
	s_delay_alu instid0(VALU_DEP_1) | instskip(SKIP_2) | instid1(VALU_DEP_2)
	v_pk_fma_f32 v[88:89], v[84:85], v[70:71], v[74:75] op_sel:[0,0,1] op_sel_hi:[1,1,0] neg_lo:[0,0,1] neg_hi:[0,0,1]
	v_pk_fma_f32 v[74:75], v[84:85], v[70:71], v[74:75] op_sel:[0,0,1] op_sel_hi:[1,0,0]
	v_dual_mul_f32 v84, v87, v73 :: v_dual_mov_b32 v74, v87
	v_dual_mov_b32 v89, v75 :: v_dual_mov_b32 v75, v86
	s_delay_alu instid0(VALU_DEP_2) | instskip(SKIP_1) | instid1(VALU_DEP_3)
	v_pk_fma_f32 v[84:85], v[86:87], v[92:93], v[84:85] op_sel_hi:[1,1,0] neg_lo:[0,0,1] neg_hi:[0,0,1]
	v_mul_f32_e32 v86, v87, v70
	v_pk_add_f32 v[112:113], v[112:113], v[88:89] neg_lo:[0,1] neg_hi:[0,1]
	s_delay_alu instid0(VALU_DEP_2) | instskip(NEXT) | instid1(VALU_DEP_1)
	v_pk_fma_f32 v[74:75], v[74:75], v[92:93], v[86:87] op_sel_hi:[1,1,0]
	v_mov_b32_e32 v85, v75
	s_delay_alu instid0(VALU_DEP_1) | instskip(SKIP_3) | instid1(VALU_DEP_1)
	v_pk_add_f32 v[108:109], v[108:109], v[84:85] neg_lo:[0,1] neg_hi:[0,1]
	ds_load_2addr_b64 v[84:87], v216 offset0:28 offset1:29
	s_wait_dscnt 0x0
	v_pk_mul_f32 v[74:75], v[84:85], v[72:73] op_sel:[0,1]
	v_pk_fma_f32 v[88:89], v[84:85], v[70:71], v[74:75] op_sel:[0,0,1] op_sel_hi:[1,1,0] neg_lo:[0,0,1] neg_hi:[0,0,1]
	v_pk_fma_f32 v[74:75], v[84:85], v[70:71], v[74:75] op_sel:[0,0,1] op_sel_hi:[1,0,0]
	s_delay_alu instid0(VALU_DEP_1) | instskip(SKIP_1) | instid1(VALU_DEP_2)
	v_mov_b32_e32 v89, v75
	v_pk_mul_f32 v[74:75], v[86:87], v[72:73] op_sel:[0,1]
	v_pk_add_f32 v[130:131], v[130:131], v[88:89] neg_lo:[0,1] neg_hi:[0,1]
	s_delay_alu instid0(VALU_DEP_2) | instskip(SKIP_1) | instid1(VALU_DEP_1)
	v_pk_fma_f32 v[84:85], v[86:87], v[70:71], v[74:75] op_sel:[0,0,1] op_sel_hi:[1,1,0] neg_lo:[0,0,1] neg_hi:[0,0,1]
	v_pk_fma_f32 v[74:75], v[86:87], v[70:71], v[74:75] op_sel:[0,0,1] op_sel_hi:[1,0,0]
	v_mov_b32_e32 v85, v75
	s_delay_alu instid0(VALU_DEP_1) | instskip(SKIP_3) | instid1(VALU_DEP_1)
	v_pk_add_f32 v[126:127], v[126:127], v[84:85] neg_lo:[0,1] neg_hi:[0,1]
	ds_load_2addr_b64 v[84:87], v216 offset0:30 offset1:31
	s_wait_dscnt 0x0
	v_pk_mul_f32 v[74:75], v[84:85], v[72:73] op_sel:[0,1]
	v_pk_fma_f32 v[88:89], v[84:85], v[70:71], v[74:75] op_sel:[0,0,1] op_sel_hi:[1,1,0] neg_lo:[0,0,1] neg_hi:[0,0,1]
	v_pk_fma_f32 v[74:75], v[84:85], v[70:71], v[74:75] op_sel:[0,0,1] op_sel_hi:[1,0,0]
	s_delay_alu instid0(VALU_DEP_1) | instskip(SKIP_1) | instid1(VALU_DEP_2)
	v_mov_b32_e32 v89, v75
	v_pk_mul_f32 v[74:75], v[86:87], v[72:73] op_sel:[0,1]
	v_pk_add_f32 v[128:129], v[128:129], v[88:89] neg_lo:[0,1] neg_hi:[0,1]
	s_delay_alu instid0(VALU_DEP_2) | instskip(SKIP_1) | instid1(VALU_DEP_1)
	v_pk_fma_f32 v[84:85], v[86:87], v[70:71], v[74:75] op_sel:[0,0,1] op_sel_hi:[1,1,0] neg_lo:[0,0,1] neg_hi:[0,0,1]
	v_pk_fma_f32 v[74:75], v[86:87], v[70:71], v[74:75] op_sel:[0,0,1] op_sel_hi:[1,0,0]
	v_mov_b32_e32 v85, v75
	s_delay_alu instid0(VALU_DEP_1) | instskip(SKIP_3) | instid1(VALU_DEP_1)
	v_pk_add_f32 v[124:125], v[124:125], v[84:85] neg_lo:[0,1] neg_hi:[0,1]
	ds_load_2addr_b64 v[84:87], v216 offset0:32 offset1:33
	s_wait_dscnt 0x0
	v_dual_mul_f32 v74, v85, v73 :: v_dual_mul_f32 v88, v85, v70
	v_pk_fma_f32 v[74:75], v[84:85], v[92:93], v[74:75] op_sel_hi:[1,1,0] neg_lo:[0,0,1] neg_hi:[0,0,1]
	s_delay_alu instid0(VALU_DEP_2) | instskip(NEXT) | instid1(VALU_DEP_1)
	v_pk_fma_f32 v[84:85], v[84:85], v[92:93], v[88:89] op_sel:[1,0,0] op_sel_hi:[0,1,0]
	v_mov_b32_e32 v75, v85
	s_delay_alu instid0(VALU_DEP_1) | instskip(SKIP_1) | instid1(VALU_DEP_1)
	v_pk_add_f32 v[146:147], v[146:147], v[74:75] neg_lo:[0,1] neg_hi:[0,1]
	v_pk_mul_f32 v[74:75], v[86:87], v[72:73] op_sel:[0,1]
	v_pk_fma_f32 v[84:85], v[86:87], v[70:71], v[74:75] op_sel:[0,0,1] op_sel_hi:[1,1,0] neg_lo:[0,0,1] neg_hi:[0,0,1]
	v_pk_fma_f32 v[74:75], v[86:87], v[70:71], v[74:75] op_sel:[0,0,1] op_sel_hi:[1,0,0]
	s_delay_alu instid0(VALU_DEP_1) | instskip(NEXT) | instid1(VALU_DEP_1)
	v_mov_b32_e32 v85, v75
	v_pk_add_f32 v[142:143], v[142:143], v[84:85] neg_lo:[0,1] neg_hi:[0,1]
	ds_load_2addr_b64 v[84:87], v216 offset0:34 offset1:35
	s_wait_dscnt 0x0
	v_pk_mul_f32 v[74:75], v[84:85], v[72:73] op_sel:[0,1]
	s_delay_alu instid0(VALU_DEP_1) | instskip(SKIP_1) | instid1(VALU_DEP_1)
	v_pk_fma_f32 v[88:89], v[84:85], v[70:71], v[74:75] op_sel:[0,0,1] op_sel_hi:[1,1,0] neg_lo:[0,0,1] neg_hi:[0,0,1]
	v_pk_fma_f32 v[74:75], v[84:85], v[70:71], v[74:75] op_sel:[0,0,1] op_sel_hi:[1,0,0]
	v_mov_b32_e32 v89, v75
	v_pk_mul_f32 v[74:75], v[86:87], v[72:73] op_sel:[0,1]
	s_delay_alu instid0(VALU_DEP_2) | instskip(NEXT) | instid1(VALU_DEP_2)
	v_pk_add_f32 v[144:145], v[144:145], v[88:89] neg_lo:[0,1] neg_hi:[0,1]
	v_pk_fma_f32 v[84:85], v[86:87], v[70:71], v[74:75] op_sel:[0,0,1] op_sel_hi:[1,1,0] neg_lo:[0,0,1] neg_hi:[0,0,1]
	v_pk_fma_f32 v[74:75], v[86:87], v[70:71], v[74:75] op_sel:[0,0,1] op_sel_hi:[1,0,0]
	s_delay_alu instid0(VALU_DEP_1) | instskip(NEXT) | instid1(VALU_DEP_1)
	v_mov_b32_e32 v85, v75
	v_pk_add_f32 v[140:141], v[140:141], v[84:85] neg_lo:[0,1] neg_hi:[0,1]
	ds_load_2addr_b64 v[84:87], v216 offset0:36 offset1:37
	s_wait_dscnt 0x0
	v_pk_mul_f32 v[74:75], v[84:85], v[72:73] op_sel:[0,1]
	s_delay_alu instid0(VALU_DEP_1) | instskip(SKIP_2) | instid1(VALU_DEP_2)
	v_pk_fma_f32 v[88:89], v[84:85], v[70:71], v[74:75] op_sel:[0,0,1] op_sel_hi:[1,1,0] neg_lo:[0,0,1] neg_hi:[0,0,1]
	v_pk_fma_f32 v[74:75], v[84:85], v[70:71], v[74:75] op_sel:[0,0,1] op_sel_hi:[1,0,0]
	v_dual_mul_f32 v84, v87, v73 :: v_dual_mov_b32 v74, v87
	v_dual_mov_b32 v89, v75 :: v_dual_mov_b32 v75, v86
	s_delay_alu instid0(VALU_DEP_2) | instskip(SKIP_1) | instid1(VALU_DEP_3)
	v_pk_fma_f32 v[84:85], v[86:87], v[92:93], v[84:85] op_sel_hi:[1,1,0] neg_lo:[0,0,1] neg_hi:[0,0,1]
	v_mul_f32_e32 v86, v87, v70
	v_pk_add_f32 v[162:163], v[162:163], v[88:89] neg_lo:[0,1] neg_hi:[0,1]
	s_delay_alu instid0(VALU_DEP_2) | instskip(NEXT) | instid1(VALU_DEP_1)
	v_pk_fma_f32 v[74:75], v[74:75], v[92:93], v[86:87] op_sel_hi:[1,1,0]
	v_mov_b32_e32 v85, v75
	s_delay_alu instid0(VALU_DEP_1) | instskip(SKIP_3) | instid1(VALU_DEP_1)
	v_pk_add_f32 v[158:159], v[158:159], v[84:85] neg_lo:[0,1] neg_hi:[0,1]
	ds_load_2addr_b64 v[84:87], v216 offset0:38 offset1:39
	s_wait_dscnt 0x0
	v_pk_mul_f32 v[74:75], v[84:85], v[72:73] op_sel:[0,1]
	v_pk_fma_f32 v[88:89], v[84:85], v[70:71], v[74:75] op_sel:[0,0,1] op_sel_hi:[1,1,0] neg_lo:[0,0,1] neg_hi:[0,0,1]
	v_pk_fma_f32 v[74:75], v[84:85], v[70:71], v[74:75] op_sel:[0,0,1] op_sel_hi:[1,0,0]
	s_delay_alu instid0(VALU_DEP_1) | instskip(SKIP_1) | instid1(VALU_DEP_2)
	v_mov_b32_e32 v89, v75
	v_pk_mul_f32 v[74:75], v[86:87], v[72:73] op_sel:[0,1]
	v_pk_add_f32 v[160:161], v[160:161], v[88:89] neg_lo:[0,1] neg_hi:[0,1]
	s_delay_alu instid0(VALU_DEP_2) | instskip(SKIP_1) | instid1(VALU_DEP_1)
	v_pk_fma_f32 v[84:85], v[86:87], v[70:71], v[74:75] op_sel:[0,0,1] op_sel_hi:[1,1,0] neg_lo:[0,0,1] neg_hi:[0,0,1]
	v_pk_fma_f32 v[74:75], v[86:87], v[70:71], v[74:75] op_sel:[0,0,1] op_sel_hi:[1,0,0]
	v_mov_b32_e32 v85, v75
	s_delay_alu instid0(VALU_DEP_1) | instskip(SKIP_3) | instid1(VALU_DEP_1)
	v_pk_add_f32 v[156:157], v[156:157], v[84:85] neg_lo:[0,1] neg_hi:[0,1]
	ds_load_2addr_b64 v[84:87], v216 offset0:40 offset1:41
	s_wait_dscnt 0x0
	v_pk_mul_f32 v[74:75], v[84:85], v[72:73] op_sel:[0,1]
	v_pk_fma_f32 v[88:89], v[84:85], v[70:71], v[74:75] op_sel:[0,0,1] op_sel_hi:[1,1,0] neg_lo:[0,0,1] neg_hi:[0,0,1]
	v_pk_fma_f32 v[74:75], v[84:85], v[70:71], v[74:75] op_sel:[0,0,1] op_sel_hi:[1,0,0]
	s_delay_alu instid0(VALU_DEP_1) | instskip(SKIP_1) | instid1(VALU_DEP_2)
	v_mov_b32_e32 v89, v75
	v_pk_mul_f32 v[74:75], v[86:87], v[72:73] op_sel:[0,1]
	v_pk_add_f32 v[178:179], v[178:179], v[88:89] neg_lo:[0,1] neg_hi:[0,1]
	s_delay_alu instid0(VALU_DEP_2) | instskip(SKIP_1) | instid1(VALU_DEP_1)
	v_pk_fma_f32 v[84:85], v[86:87], v[70:71], v[74:75] op_sel:[0,0,1] op_sel_hi:[1,1,0] neg_lo:[0,0,1] neg_hi:[0,0,1]
	v_pk_fma_f32 v[74:75], v[86:87], v[70:71], v[74:75] op_sel:[0,0,1] op_sel_hi:[1,0,0]
	v_mov_b32_e32 v85, v75
	s_delay_alu instid0(VALU_DEP_1) | instskip(SKIP_3) | instid1(VALU_DEP_1)
	v_pk_add_f32 v[174:175], v[174:175], v[84:85] neg_lo:[0,1] neg_hi:[0,1]
	ds_load_2addr_b64 v[84:87], v216 offset0:42 offset1:43
	s_wait_dscnt 0x0
	v_dual_mul_f32 v74, v85, v73 :: v_dual_mul_f32 v88, v85, v70
	v_pk_fma_f32 v[74:75], v[84:85], v[92:93], v[74:75] op_sel_hi:[1,1,0] neg_lo:[0,0,1] neg_hi:[0,0,1]
	s_delay_alu instid0(VALU_DEP_2) | instskip(NEXT) | instid1(VALU_DEP_1)
	v_pk_fma_f32 v[84:85], v[84:85], v[92:93], v[88:89] op_sel:[1,0,0] op_sel_hi:[0,1,0]
	v_mov_b32_e32 v75, v85
	s_delay_alu instid0(VALU_DEP_1) | instskip(SKIP_1) | instid1(VALU_DEP_1)
	v_pk_add_f32 v[176:177], v[176:177], v[74:75] neg_lo:[0,1] neg_hi:[0,1]
	v_pk_mul_f32 v[74:75], v[86:87], v[72:73] op_sel:[0,1]
	v_pk_fma_f32 v[84:85], v[86:87], v[70:71], v[74:75] op_sel:[0,0,1] op_sel_hi:[1,1,0] neg_lo:[0,0,1] neg_hi:[0,0,1]
	v_pk_fma_f32 v[74:75], v[86:87], v[70:71], v[74:75] op_sel:[0,0,1] op_sel_hi:[1,0,0]
	s_delay_alu instid0(VALU_DEP_1) | instskip(NEXT) | instid1(VALU_DEP_1)
	v_mov_b32_e32 v85, v75
	v_pk_add_f32 v[172:173], v[172:173], v[84:85] neg_lo:[0,1] neg_hi:[0,1]
	ds_load_2addr_b64 v[84:87], v216 offset0:44 offset1:45
	s_wait_dscnt 0x0
	v_pk_mul_f32 v[74:75], v[84:85], v[72:73] op_sel:[0,1]
	s_delay_alu instid0(VALU_DEP_1) | instskip(SKIP_1) | instid1(VALU_DEP_1)
	v_pk_fma_f32 v[88:89], v[84:85], v[70:71], v[74:75] op_sel:[0,0,1] op_sel_hi:[1,1,0] neg_lo:[0,0,1] neg_hi:[0,0,1]
	v_pk_fma_f32 v[74:75], v[84:85], v[70:71], v[74:75] op_sel:[0,0,1] op_sel_hi:[1,0,0]
	v_mov_b32_e32 v89, v75
	v_pk_mul_f32 v[74:75], v[86:87], v[72:73] op_sel:[0,1]
	s_delay_alu instid0(VALU_DEP_2) | instskip(NEXT) | instid1(VALU_DEP_2)
	v_pk_add_f32 v[194:195], v[194:195], v[88:89] neg_lo:[0,1] neg_hi:[0,1]
	v_pk_fma_f32 v[84:85], v[86:87], v[70:71], v[74:75] op_sel:[0,0,1] op_sel_hi:[1,1,0] neg_lo:[0,0,1] neg_hi:[0,0,1]
	v_pk_fma_f32 v[74:75], v[86:87], v[70:71], v[74:75] op_sel:[0,0,1] op_sel_hi:[1,0,0]
	s_delay_alu instid0(VALU_DEP_1) | instskip(NEXT) | instid1(VALU_DEP_1)
	v_mov_b32_e32 v85, v75
	v_pk_add_f32 v[190:191], v[190:191], v[84:85] neg_lo:[0,1] neg_hi:[0,1]
	ds_load_2addr_b64 v[84:87], v216 offset0:46 offset1:47
	s_wait_dscnt 0x0
	v_pk_mul_f32 v[74:75], v[84:85], v[72:73] op_sel:[0,1]
	s_delay_alu instid0(VALU_DEP_1) | instskip(SKIP_2) | instid1(VALU_DEP_2)
	v_pk_fma_f32 v[88:89], v[84:85], v[70:71], v[74:75] op_sel:[0,0,1] op_sel_hi:[1,1,0] neg_lo:[0,0,1] neg_hi:[0,0,1]
	v_pk_fma_f32 v[74:75], v[84:85], v[70:71], v[74:75] op_sel:[0,0,1] op_sel_hi:[1,0,0]
	v_dual_mul_f32 v84, v87, v73 :: v_dual_mov_b32 v74, v87
	v_dual_mov_b32 v89, v75 :: v_dual_mov_b32 v75, v86
	s_delay_alu instid0(VALU_DEP_2) | instskip(SKIP_1) | instid1(VALU_DEP_3)
	v_pk_fma_f32 v[84:85], v[86:87], v[92:93], v[84:85] op_sel_hi:[1,1,0] neg_lo:[0,0,1] neg_hi:[0,0,1]
	v_mul_f32_e32 v86, v87, v70
	v_pk_add_f32 v[192:193], v[192:193], v[88:89] neg_lo:[0,1] neg_hi:[0,1]
	s_delay_alu instid0(VALU_DEP_2) | instskip(NEXT) | instid1(VALU_DEP_1)
	v_pk_fma_f32 v[74:75], v[74:75], v[92:93], v[86:87] op_sel_hi:[1,1,0]
	v_mov_b32_e32 v85, v75
	s_delay_alu instid0(VALU_DEP_1) | instskip(SKIP_3) | instid1(VALU_DEP_1)
	v_pk_add_f32 v[188:189], v[188:189], v[84:85] neg_lo:[0,1] neg_hi:[0,1]
	ds_load_2addr_b64 v[84:87], v216 offset0:48 offset1:49
	s_wait_dscnt 0x0
	v_pk_mul_f32 v[74:75], v[84:85], v[72:73] op_sel:[0,1]
	v_pk_fma_f32 v[88:89], v[84:85], v[70:71], v[74:75] op_sel:[0,0,1] op_sel_hi:[1,1,0] neg_lo:[0,0,1] neg_hi:[0,0,1]
	v_pk_fma_f32 v[74:75], v[84:85], v[70:71], v[74:75] op_sel:[0,0,1] op_sel_hi:[1,0,0]
	s_delay_alu instid0(VALU_DEP_1) | instskip(SKIP_1) | instid1(VALU_DEP_2)
	v_mov_b32_e32 v89, v75
	v_pk_mul_f32 v[74:75], v[86:87], v[72:73] op_sel:[0,1]
	v_pk_add_f32 v[214:215], v[214:215], v[88:89] neg_lo:[0,1] neg_hi:[0,1]
	s_delay_alu instid0(VALU_DEP_2) | instskip(SKIP_1) | instid1(VALU_DEP_1)
	v_pk_fma_f32 v[84:85], v[86:87], v[70:71], v[74:75] op_sel:[0,0,1] op_sel_hi:[1,1,0] neg_lo:[0,0,1] neg_hi:[0,0,1]
	v_pk_fma_f32 v[74:75], v[86:87], v[70:71], v[74:75] op_sel:[0,0,1] op_sel_hi:[1,0,0]
	v_mov_b32_e32 v85, v75
	s_delay_alu instid0(VALU_DEP_1) | instskip(SKIP_3) | instid1(VALU_DEP_1)
	v_pk_add_f32 v[210:211], v[210:211], v[84:85] neg_lo:[0,1] neg_hi:[0,1]
	ds_load_2addr_b64 v[84:87], v216 offset0:50 offset1:51
	s_wait_dscnt 0x0
	v_pk_mul_f32 v[74:75], v[84:85], v[72:73] op_sel:[0,1]
	v_pk_fma_f32 v[88:89], v[84:85], v[70:71], v[74:75] op_sel:[0,0,1] op_sel_hi:[1,1,0] neg_lo:[0,0,1] neg_hi:[0,0,1]
	v_pk_fma_f32 v[74:75], v[84:85], v[70:71], v[74:75] op_sel:[0,0,1] op_sel_hi:[1,0,0]
	s_delay_alu instid0(VALU_DEP_1) | instskip(SKIP_1) | instid1(VALU_DEP_2)
	v_mov_b32_e32 v89, v75
	v_pk_mul_f32 v[74:75], v[86:87], v[72:73] op_sel:[0,1]
	v_pk_add_f32 v[212:213], v[212:213], v[88:89] neg_lo:[0,1] neg_hi:[0,1]
	s_delay_alu instid0(VALU_DEP_2) | instskip(SKIP_1) | instid1(VALU_DEP_1)
	v_pk_fma_f32 v[84:85], v[86:87], v[70:71], v[74:75] op_sel:[0,0,1] op_sel_hi:[1,1,0] neg_lo:[0,0,1] neg_hi:[0,0,1]
	v_pk_fma_f32 v[74:75], v[86:87], v[70:71], v[74:75] op_sel:[0,0,1] op_sel_hi:[1,0,0]
	v_mov_b32_e32 v85, v75
	s_delay_alu instid0(VALU_DEP_1) | instskip(SKIP_3) | instid1(VALU_DEP_1)
	v_pk_add_f32 v[208:209], v[208:209], v[84:85] neg_lo:[0,1] neg_hi:[0,1]
	ds_load_2addr_b64 v[84:87], v216 offset0:52 offset1:53
	s_wait_dscnt 0x0
	v_dual_mul_f32 v74, v85, v73 :: v_dual_mul_f32 v88, v85, v70
	v_pk_fma_f32 v[74:75], v[84:85], v[92:93], v[74:75] op_sel_hi:[1,1,0] neg_lo:[0,0,1] neg_hi:[0,0,1]
	s_delay_alu instid0(VALU_DEP_2) | instskip(NEXT) | instid1(VALU_DEP_1)
	v_pk_fma_f32 v[84:85], v[84:85], v[92:93], v[88:89] op_sel:[1,0,0] op_sel_hi:[0,1,0]
	v_mov_b32_e32 v75, v85
	s_delay_alu instid0(VALU_DEP_1) | instskip(SKIP_1) | instid1(VALU_DEP_1)
	v_pk_add_f32 v[236:237], v[236:237], v[74:75] neg_lo:[0,1] neg_hi:[0,1]
	v_pk_mul_f32 v[74:75], v[86:87], v[72:73] op_sel:[0,1]
	v_pk_fma_f32 v[84:85], v[86:87], v[70:71], v[74:75] op_sel:[0,0,1] op_sel_hi:[1,1,0] neg_lo:[0,0,1] neg_hi:[0,0,1]
	v_pk_fma_f32 v[74:75], v[86:87], v[70:71], v[74:75] op_sel:[0,0,1] op_sel_hi:[1,0,0]
	s_delay_alu instid0(VALU_DEP_1) | instskip(NEXT) | instid1(VALU_DEP_1)
	v_mov_b32_e32 v85, v75
	v_pk_add_f32 v[230:231], v[230:231], v[84:85] neg_lo:[0,1] neg_hi:[0,1]
	ds_load_2addr_b64 v[84:87], v216 offset0:54 offset1:55
	s_wait_dscnt 0x0
	v_pk_mul_f32 v[74:75], v[84:85], v[72:73] op_sel:[0,1]
	s_delay_alu instid0(VALU_DEP_1) | instskip(SKIP_1) | instid1(VALU_DEP_1)
	v_pk_fma_f32 v[88:89], v[84:85], v[70:71], v[74:75] op_sel:[0,0,1] op_sel_hi:[1,1,0] neg_lo:[0,0,1] neg_hi:[0,0,1]
	v_pk_fma_f32 v[74:75], v[84:85], v[70:71], v[74:75] op_sel:[0,0,1] op_sel_hi:[1,0,0]
	v_mov_b32_e32 v89, v75
	v_pk_mul_f32 v[74:75], v[86:87], v[72:73] op_sel:[0,1]
	s_delay_alu instid0(VALU_DEP_2) | instskip(NEXT) | instid1(VALU_DEP_2)
	v_pk_add_f32 v[234:235], v[234:235], v[88:89] neg_lo:[0,1] neg_hi:[0,1]
	v_pk_fma_f32 v[84:85], v[86:87], v[70:71], v[74:75] op_sel:[0,0,1] op_sel_hi:[1,1,0] neg_lo:[0,0,1] neg_hi:[0,0,1]
	v_pk_fma_f32 v[74:75], v[86:87], v[70:71], v[74:75] op_sel:[0,0,1] op_sel_hi:[1,0,0]
	s_delay_alu instid0(VALU_DEP_1) | instskip(NEXT) | instid1(VALU_DEP_1)
	v_mov_b32_e32 v85, v75
	v_pk_add_f32 v[228:229], v[228:229], v[84:85] neg_lo:[0,1] neg_hi:[0,1]
	ds_load_2addr_b64 v[84:87], v216 offset0:56 offset1:57
	s_wait_dscnt 0x0
	v_pk_mul_f32 v[74:75], v[84:85], v[72:73] op_sel:[0,1]
	s_delay_alu instid0(VALU_DEP_1) | instskip(SKIP_2) | instid1(VALU_DEP_2)
	v_pk_fma_f32 v[88:89], v[84:85], v[70:71], v[74:75] op_sel:[0,0,1] op_sel_hi:[1,1,0] neg_lo:[0,0,1] neg_hi:[0,0,1]
	v_pk_fma_f32 v[74:75], v[84:85], v[70:71], v[74:75] op_sel:[0,0,1] op_sel_hi:[1,0,0]
	v_dual_mul_f32 v84, v87, v73 :: v_dual_mov_b32 v74, v87
	v_dual_mov_b32 v89, v75 :: v_dual_mov_b32 v75, v86
	s_delay_alu instid0(VALU_DEP_2) | instskip(SKIP_1) | instid1(VALU_DEP_3)
	v_pk_fma_f32 v[84:85], v[86:87], v[92:93], v[84:85] op_sel_hi:[1,1,0] neg_lo:[0,0,1] neg_hi:[0,0,1]
	v_mul_f32_e32 v86, v87, v70
	v_pk_add_f32 v[232:233], v[232:233], v[88:89] neg_lo:[0,1] neg_hi:[0,1]
	s_delay_alu instid0(VALU_DEP_2) | instskip(NEXT) | instid1(VALU_DEP_1)
	v_pk_fma_f32 v[74:75], v[74:75], v[92:93], v[86:87] op_sel_hi:[1,1,0]
	v_mov_b32_e32 v85, v75
	s_delay_alu instid0(VALU_DEP_1) | instskip(SKIP_4) | instid1(VALU_DEP_2)
	v_pk_add_f32 v[226:227], v[226:227], v[84:85] neg_lo:[0,1] neg_hi:[0,1]
	ds_load_2addr_b64 v[84:87], v216 offset0:58 offset1:59
	s_wait_dscnt 0x0
	v_pk_mul_f32 v[74:75], v[84:85], v[72:73] op_sel:[0,1]
	v_mul_f32_e32 v72, v87, v73
	v_pk_fma_f32 v[88:89], v[84:85], v[70:71], v[74:75] op_sel:[0,0,1] op_sel_hi:[1,1,0] neg_lo:[0,0,1] neg_hi:[0,0,1]
	v_pk_fma_f32 v[74:75], v[84:85], v[70:71], v[74:75] op_sel:[0,0,1] op_sel_hi:[1,0,0]
	v_dual_mov_b32 v74, v87 :: v_dual_mul_f32 v70, v87, v70
	s_delay_alu instid0(VALU_DEP_4) | instskip(NEXT) | instid1(VALU_DEP_3)
	v_pk_fma_f32 v[72:73], v[86:87], v[92:93], v[72:73] op_sel_hi:[1,1,0] neg_lo:[0,0,1] neg_hi:[0,0,1]
	v_dual_mov_b32 v89, v75 :: v_dual_mov_b32 v75, v86
	s_delay_alu instid0(VALU_DEP_1) | instskip(NEXT) | instid1(VALU_DEP_2)
	v_pk_add_f32 v[238:239], v[238:239], v[88:89] neg_lo:[0,1] neg_hi:[0,1]
	v_pk_fma_f32 v[70:71], v[74:75], v[92:93], v[70:71] op_sel_hi:[1,1,0]
	s_delay_alu instid0(VALU_DEP_1) | instskip(NEXT) | instid1(VALU_DEP_1)
	v_mov_b32_e32 v73, v71
	v_pk_add_f32 v[240:241], v[240:241], v[72:73] neg_lo:[0,1] neg_hi:[0,1]
.LBB119_217:
	s_or_b32 exec_lo, exec_lo, s1
	s_delay_alu instid0(SALU_CYCLE_1)
	s_mov_b32 s2, exec_lo
	s_wait_dscnt 0x0
	s_barrier_signal -1
	s_barrier_wait -1
	v_cmpx_eq_u32_e32 24, v206
	s_cbranch_execz .LBB119_224
; %bb.218:
	ds_store_b64 v207, v[114:115]
	ds_store_2addr_b64 v216, v[110:111], v[112:113] offset0:25 offset1:26
	ds_store_2addr_b64 v216, v[108:109], v[130:131] offset0:27 offset1:28
	;; [unrolled: 1-line block ×17, first 2 shown]
	ds_store_b64 v216, v[240:241] offset:472
	ds_load_b64 v[70:71], v207
	s_wait_dscnt 0x0
	v_cmp_neq_f32_e32 vcc_lo, 0, v70
	v_cmp_neq_f32_e64 s1, 0, v71
	s_or_b32 s1, vcc_lo, s1
	s_delay_alu instid0(SALU_CYCLE_1)
	s_and_b32 exec_lo, exec_lo, s1
	s_cbranch_execz .LBB119_224
; %bb.219:
	v_cmp_ngt_f32_e64 s1, |v70|, |v71|
                                        ; implicit-def: $vgpr72_vgpr73
	s_and_saveexec_b32 s4, s1
	s_delay_alu instid0(SALU_CYCLE_1)
	s_xor_b32 s1, exec_lo, s4
	s_cbranch_execz .LBB119_221
; %bb.220:
	v_div_scale_f32 v72, null, v71, v71, v70
	v_div_scale_f32 v75, vcc_lo, v70, v71, v70
	s_delay_alu instid0(VALU_DEP_2) | instskip(SKIP_1) | instid1(TRANS32_DEP_1)
	v_rcp_f32_e32 v73, v72
	v_nop
	v_fma_f32 v74, -v72, v73, 1.0
	s_delay_alu instid0(VALU_DEP_1) | instskip(NEXT) | instid1(VALU_DEP_1)
	v_fmac_f32_e32 v73, v74, v73
	v_mul_f32_e32 v74, v75, v73
	s_delay_alu instid0(VALU_DEP_1) | instskip(NEXT) | instid1(VALU_DEP_1)
	v_fma_f32 v84, -v72, v74, v75
	v_fmac_f32_e32 v74, v84, v73
	s_delay_alu instid0(VALU_DEP_1) | instskip(NEXT) | instid1(VALU_DEP_1)
	v_fma_f32 v72, -v72, v74, v75
	v_div_fmas_f32 v72, v72, v73, v74
	s_delay_alu instid0(VALU_DEP_1) | instskip(NEXT) | instid1(VALU_DEP_1)
	v_div_fixup_f32 v72, v72, v71, v70
	v_fmac_f32_e32 v71, v70, v72
	s_delay_alu instid0(VALU_DEP_1) | instskip(SKIP_1) | instid1(VALU_DEP_2)
	v_div_scale_f32 v70, null, v71, v71, 1.0
	v_div_scale_f32 v75, vcc_lo, 1.0, v71, 1.0
	v_rcp_f32_e32 v73, v70
	v_nop
	s_delay_alu instid0(TRANS32_DEP_1) | instskip(NEXT) | instid1(VALU_DEP_1)
	v_fma_f32 v74, -v70, v73, 1.0
	v_fmac_f32_e32 v73, v74, v73
	s_delay_alu instid0(VALU_DEP_1) | instskip(NEXT) | instid1(VALU_DEP_1)
	v_mul_f32_e32 v74, v75, v73
	v_fma_f32 v84, -v70, v74, v75
	s_delay_alu instid0(VALU_DEP_1) | instskip(NEXT) | instid1(VALU_DEP_1)
	v_fmac_f32_e32 v74, v84, v73
	v_fma_f32 v70, -v70, v74, v75
	s_delay_alu instid0(VALU_DEP_1) | instskip(NEXT) | instid1(VALU_DEP_1)
	v_div_fmas_f32 v70, v70, v73, v74
	v_div_fixup_f32 v70, v70, v71, 1.0
	s_delay_alu instid0(VALU_DEP_1)
	v_mul_f32_e32 v72, v72, v70
	v_xor_b32_e32 v73, 0x80000000, v70
                                        ; implicit-def: $vgpr70_vgpr71
.LBB119_221:
	s_and_not1_saveexec_b32 s1, s1
	s_cbranch_execz .LBB119_223
; %bb.222:
	v_div_scale_f32 v72, null, v70, v70, v71
	v_div_scale_f32 v75, vcc_lo, v71, v70, v71
	s_delay_alu instid0(VALU_DEP_2) | instskip(SKIP_1) | instid1(TRANS32_DEP_1)
	v_rcp_f32_e32 v73, v72
	v_nop
	v_fma_f32 v74, -v72, v73, 1.0
	s_delay_alu instid0(VALU_DEP_1) | instskip(NEXT) | instid1(VALU_DEP_1)
	v_fmac_f32_e32 v73, v74, v73
	v_mul_f32_e32 v74, v75, v73
	s_delay_alu instid0(VALU_DEP_1) | instskip(NEXT) | instid1(VALU_DEP_1)
	v_fma_f32 v84, -v72, v74, v75
	v_fmac_f32_e32 v74, v84, v73
	s_delay_alu instid0(VALU_DEP_1) | instskip(NEXT) | instid1(VALU_DEP_1)
	v_fma_f32 v72, -v72, v74, v75
	v_div_fmas_f32 v72, v72, v73, v74
	s_delay_alu instid0(VALU_DEP_1) | instskip(NEXT) | instid1(VALU_DEP_1)
	v_div_fixup_f32 v73, v72, v70, v71
	v_fmac_f32_e32 v70, v71, v73
	s_delay_alu instid0(VALU_DEP_1) | instskip(NEXT) | instid1(VALU_DEP_1)
	v_div_scale_f32 v71, null, v70, v70, 1.0
	v_rcp_f32_e32 v72, v71
	v_nop
	s_delay_alu instid0(TRANS32_DEP_1) | instskip(NEXT) | instid1(VALU_DEP_1)
	v_fma_f32 v74, -v71, v72, 1.0
	v_fmac_f32_e32 v72, v74, v72
	v_div_scale_f32 v74, vcc_lo, 1.0, v70, 1.0
	s_delay_alu instid0(VALU_DEP_1) | instskip(NEXT) | instid1(VALU_DEP_1)
	v_mul_f32_e32 v75, v74, v72
	v_fma_f32 v84, -v71, v75, v74
	s_delay_alu instid0(VALU_DEP_1) | instskip(NEXT) | instid1(VALU_DEP_1)
	v_fmac_f32_e32 v75, v84, v72
	v_fma_f32 v71, -v71, v75, v74
	s_delay_alu instid0(VALU_DEP_1) | instskip(NEXT) | instid1(VALU_DEP_1)
	v_div_fmas_f32 v71, v71, v72, v75
	v_div_fixup_f32 v72, v71, v70, 1.0
	s_delay_alu instid0(VALU_DEP_1)
	v_mul_f32_e64 v73, v73, -v72
.LBB119_223:
	s_or_b32 exec_lo, exec_lo, s1
	ds_store_b64 v207, v[72:73]
.LBB119_224:
	s_or_b32 exec_lo, exec_lo, s2
	s_wait_dscnt 0x0
	s_barrier_signal -1
	s_barrier_wait -1
	ds_load_b64 v[70:71], v207
	s_mov_b32 s1, exec_lo
	v_cmpx_lt_u32_e32 24, v206
	s_cbranch_execz .LBB119_226
; %bb.225:
	ds_load_2addr_b64 v[84:87], v216 offset0:25 offset1:26
	s_wait_dscnt 0x1
	v_pk_mul_f32 v[74:75], v[70:71], v[114:115] op_sel:[1,1] op_sel_hi:[0,1]
	s_delay_alu instid0(VALU_DEP_1) | instskip(SKIP_1) | instid1(VALU_DEP_1)
	v_pk_fma_f32 v[72:73], v[70:71], v[114:115], v[74:75] op_sel_hi:[1,0,1] neg_lo:[0,0,1] neg_hi:[0,0,1]
	v_pk_fma_f32 v[74:75], v[70:71], v[114:115], v[74:75] op_sel_hi:[1,0,1]
	v_dual_mov_b32 v114, v72 :: v_dual_mov_b32 v115, v75
	s_wait_dscnt 0x0
	s_delay_alu instid0(VALU_DEP_2) | instskip(NEXT) | instid1(VALU_DEP_1)
	v_pk_mul_f32 v[88:89], v[84:85], v[74:75] op_sel:[0,1]
	v_pk_fma_f32 v[90:91], v[84:85], v[72:73], v[88:89] op_sel:[0,0,1] op_sel_hi:[1,1,0] neg_lo:[0,0,1] neg_hi:[0,0,1]
	v_pk_fma_f32 v[84:85], v[84:85], v[72:73], v[88:89] op_sel:[0,0,1] op_sel_hi:[1,0,0]
	s_delay_alu instid0(VALU_DEP_1) | instskip(SKIP_1) | instid1(VALU_DEP_1)
	v_mov_b32_e32 v91, v85
	v_pk_mul_f32 v[84:85], v[86:87], v[74:75] op_sel:[0,1]
	v_pk_fma_f32 v[88:89], v[86:87], v[72:73], v[84:85] op_sel:[0,0,1] op_sel_hi:[1,1,0] neg_lo:[0,0,1] neg_hi:[0,0,1]
	v_pk_fma_f32 v[84:85], v[86:87], v[72:73], v[84:85] op_sel:[0,0,1] op_sel_hi:[1,0,0]
	s_delay_alu instid0(VALU_DEP_1)
	v_mov_b32_e32 v89, v85
	ds_load_2addr_b64 v[84:87], v216 offset0:27 offset1:28
	v_pk_add_f32 v[110:111], v[110:111], v[90:91] neg_lo:[0,1] neg_hi:[0,1]
	v_pk_add_f32 v[112:113], v[112:113], v[88:89] neg_lo:[0,1] neg_hi:[0,1]
	s_wait_dscnt 0x0
	v_pk_mul_f32 v[88:89], v[84:85], v[74:75] op_sel:[0,1]
	s_delay_alu instid0(VALU_DEP_1) | instskip(SKIP_2) | instid1(VALU_DEP_2)
	v_pk_fma_f32 v[90:91], v[84:85], v[72:73], v[88:89] op_sel:[0,0,1] op_sel_hi:[1,1,0] neg_lo:[0,0,1] neg_hi:[0,0,1]
	v_pk_fma_f32 v[84:85], v[84:85], v[72:73], v[88:89] op_sel:[0,0,1] op_sel_hi:[1,0,0]
	v_dual_mul_f32 v88, v87, v75 :: v_dual_mov_b32 v84, v87
	v_dual_mov_b32 v91, v85 :: v_dual_mov_b32 v85, v86
	s_delay_alu instid0(VALU_DEP_2) | instskip(SKIP_1) | instid1(VALU_DEP_3)
	v_pk_fma_f32 v[88:89], v[86:87], v[114:115], v[88:89] op_sel_hi:[1,1,0] neg_lo:[0,0,1] neg_hi:[0,0,1]
	v_mul_f32_e32 v86, v87, v72
	v_pk_add_f32 v[108:109], v[108:109], v[90:91] neg_lo:[0,1] neg_hi:[0,1]
	s_delay_alu instid0(VALU_DEP_2) | instskip(NEXT) | instid1(VALU_DEP_1)
	v_pk_fma_f32 v[84:85], v[84:85], v[114:115], v[86:87] op_sel_hi:[1,1,0]
	v_mov_b32_e32 v89, v85
	ds_load_2addr_b64 v[84:87], v216 offset0:29 offset1:30
	v_pk_add_f32 v[130:131], v[130:131], v[88:89] neg_lo:[0,1] neg_hi:[0,1]
	s_wait_dscnt 0x0
	v_pk_mul_f32 v[88:89], v[84:85], v[74:75] op_sel:[0,1]
	s_delay_alu instid0(VALU_DEP_1) | instskip(SKIP_1) | instid1(VALU_DEP_1)
	v_pk_fma_f32 v[90:91], v[84:85], v[72:73], v[88:89] op_sel:[0,0,1] op_sel_hi:[1,1,0] neg_lo:[0,0,1] neg_hi:[0,0,1]
	v_pk_fma_f32 v[84:85], v[84:85], v[72:73], v[88:89] op_sel:[0,0,1] op_sel_hi:[1,0,0]
	v_mov_b32_e32 v91, v85
	v_pk_mul_f32 v[84:85], v[86:87], v[74:75] op_sel:[0,1]
	s_delay_alu instid0(VALU_DEP_1) | instskip(SKIP_1) | instid1(VALU_DEP_1)
	v_pk_fma_f32 v[88:89], v[86:87], v[72:73], v[84:85] op_sel:[0,0,1] op_sel_hi:[1,1,0] neg_lo:[0,0,1] neg_hi:[0,0,1]
	v_pk_fma_f32 v[84:85], v[86:87], v[72:73], v[84:85] op_sel:[0,0,1] op_sel_hi:[1,0,0]
	v_mov_b32_e32 v89, v85
	ds_load_2addr_b64 v[84:87], v216 offset0:31 offset1:32
	v_pk_add_f32 v[126:127], v[126:127], v[90:91] neg_lo:[0,1] neg_hi:[0,1]
	v_pk_add_f32 v[128:129], v[128:129], v[88:89] neg_lo:[0,1] neg_hi:[0,1]
	s_wait_dscnt 0x0
	v_pk_mul_f32 v[88:89], v[84:85], v[74:75] op_sel:[0,1]
	s_delay_alu instid0(VALU_DEP_1) | instskip(SKIP_1) | instid1(VALU_DEP_1)
	v_pk_fma_f32 v[90:91], v[84:85], v[72:73], v[88:89] op_sel:[0,0,1] op_sel_hi:[1,1,0] neg_lo:[0,0,1] neg_hi:[0,0,1]
	v_pk_fma_f32 v[84:85], v[84:85], v[72:73], v[88:89] op_sel:[0,0,1] op_sel_hi:[1,0,0]
	v_mov_b32_e32 v91, v85
	v_pk_mul_f32 v[84:85], v[86:87], v[74:75] op_sel:[0,1]
	s_delay_alu instid0(VALU_DEP_1) | instskip(SKIP_1) | instid1(VALU_DEP_1)
	v_pk_fma_f32 v[88:89], v[86:87], v[72:73], v[84:85] op_sel:[0,0,1] op_sel_hi:[1,1,0] neg_lo:[0,0,1] neg_hi:[0,0,1]
	v_pk_fma_f32 v[84:85], v[86:87], v[72:73], v[84:85] op_sel:[0,0,1] op_sel_hi:[1,0,0]
	v_mov_b32_e32 v89, v85
	ds_load_2addr_b64 v[84:87], v216 offset0:33 offset1:34
	v_pk_add_f32 v[124:125], v[124:125], v[90:91] neg_lo:[0,1] neg_hi:[0,1]
	v_pk_add_f32 v[146:147], v[146:147], v[88:89] neg_lo:[0,1] neg_hi:[0,1]
	s_wait_dscnt 0x0
	v_dual_mul_f32 v88, v85, v75 :: v_dual_mul_f32 v90, v85, v72
	s_delay_alu instid0(VALU_DEP_1) | instskip(NEXT) | instid1(VALU_DEP_2)
	v_pk_fma_f32 v[88:89], v[84:85], v[114:115], v[88:89] op_sel_hi:[1,1,0] neg_lo:[0,0,1] neg_hi:[0,0,1]
	v_pk_fma_f32 v[84:85], v[84:85], v[114:115], v[90:91] op_sel:[1,0,0] op_sel_hi:[0,1,0]
	s_delay_alu instid0(VALU_DEP_1) | instskip(SKIP_1) | instid1(VALU_DEP_2)
	v_mov_b32_e32 v89, v85
	v_pk_mul_f32 v[84:85], v[86:87], v[74:75] op_sel:[0,1]
	v_pk_add_f32 v[142:143], v[142:143], v[88:89] neg_lo:[0,1] neg_hi:[0,1]
	s_delay_alu instid0(VALU_DEP_2) | instskip(SKIP_1) | instid1(VALU_DEP_1)
	v_pk_fma_f32 v[88:89], v[86:87], v[72:73], v[84:85] op_sel:[0,0,1] op_sel_hi:[1,1,0] neg_lo:[0,0,1] neg_hi:[0,0,1]
	v_pk_fma_f32 v[84:85], v[86:87], v[72:73], v[84:85] op_sel:[0,0,1] op_sel_hi:[1,0,0]
	v_mov_b32_e32 v89, v85
	ds_load_2addr_b64 v[84:87], v216 offset0:35 offset1:36
	v_pk_add_f32 v[144:145], v[144:145], v[88:89] neg_lo:[0,1] neg_hi:[0,1]
	s_wait_dscnt 0x0
	v_pk_mul_f32 v[88:89], v[84:85], v[74:75] op_sel:[0,1]
	s_delay_alu instid0(VALU_DEP_1) | instskip(SKIP_1) | instid1(VALU_DEP_1)
	v_pk_fma_f32 v[90:91], v[84:85], v[72:73], v[88:89] op_sel:[0,0,1] op_sel_hi:[1,1,0] neg_lo:[0,0,1] neg_hi:[0,0,1]
	v_pk_fma_f32 v[84:85], v[84:85], v[72:73], v[88:89] op_sel:[0,0,1] op_sel_hi:[1,0,0]
	v_mov_b32_e32 v91, v85
	v_pk_mul_f32 v[84:85], v[86:87], v[74:75] op_sel:[0,1]
	s_delay_alu instid0(VALU_DEP_2) | instskip(NEXT) | instid1(VALU_DEP_2)
	v_pk_add_f32 v[140:141], v[140:141], v[90:91] neg_lo:[0,1] neg_hi:[0,1]
	v_pk_fma_f32 v[88:89], v[86:87], v[72:73], v[84:85] op_sel:[0,0,1] op_sel_hi:[1,1,0] neg_lo:[0,0,1] neg_hi:[0,0,1]
	v_pk_fma_f32 v[84:85], v[86:87], v[72:73], v[84:85] op_sel:[0,0,1] op_sel_hi:[1,0,0]
	s_delay_alu instid0(VALU_DEP_1) | instskip(SKIP_4) | instid1(VALU_DEP_1)
	v_mov_b32_e32 v89, v85
	ds_load_2addr_b64 v[84:87], v216 offset0:37 offset1:38
	v_pk_add_f32 v[162:163], v[162:163], v[88:89] neg_lo:[0,1] neg_hi:[0,1]
	s_wait_dscnt 0x0
	v_pk_mul_f32 v[88:89], v[84:85], v[74:75] op_sel:[0,1]
	v_pk_fma_f32 v[90:91], v[84:85], v[72:73], v[88:89] op_sel:[0,0,1] op_sel_hi:[1,1,0] neg_lo:[0,0,1] neg_hi:[0,0,1]
	v_pk_fma_f32 v[84:85], v[84:85], v[72:73], v[88:89] op_sel:[0,0,1] op_sel_hi:[1,0,0]
	v_dual_mul_f32 v88, v87, v75 :: v_dual_mov_b32 v84, v87
	s_delay_alu instid0(VALU_DEP_2) | instskip(NEXT) | instid1(VALU_DEP_2)
	v_dual_mov_b32 v91, v85 :: v_dual_mov_b32 v85, v86
	v_pk_fma_f32 v[88:89], v[86:87], v[114:115], v[88:89] op_sel_hi:[1,1,0] neg_lo:[0,0,1] neg_hi:[0,0,1]
	v_mul_f32_e32 v86, v87, v72
	s_delay_alu instid0(VALU_DEP_3) | instskip(NEXT) | instid1(VALU_DEP_2)
	v_pk_add_f32 v[158:159], v[158:159], v[90:91] neg_lo:[0,1] neg_hi:[0,1]
	v_pk_fma_f32 v[84:85], v[84:85], v[114:115], v[86:87] op_sel_hi:[1,1,0]
	s_delay_alu instid0(VALU_DEP_1) | instskip(SKIP_4) | instid1(VALU_DEP_1)
	v_mov_b32_e32 v89, v85
	ds_load_2addr_b64 v[84:87], v216 offset0:39 offset1:40
	v_pk_add_f32 v[160:161], v[160:161], v[88:89] neg_lo:[0,1] neg_hi:[0,1]
	s_wait_dscnt 0x0
	v_pk_mul_f32 v[88:89], v[84:85], v[74:75] op_sel:[0,1]
	v_pk_fma_f32 v[90:91], v[84:85], v[72:73], v[88:89] op_sel:[0,0,1] op_sel_hi:[1,1,0] neg_lo:[0,0,1] neg_hi:[0,0,1]
	v_pk_fma_f32 v[84:85], v[84:85], v[72:73], v[88:89] op_sel:[0,0,1] op_sel_hi:[1,0,0]
	s_delay_alu instid0(VALU_DEP_1) | instskip(SKIP_1) | instid1(VALU_DEP_1)
	v_mov_b32_e32 v91, v85
	v_pk_mul_f32 v[84:85], v[86:87], v[74:75] op_sel:[0,1]
	v_pk_fma_f32 v[88:89], v[86:87], v[72:73], v[84:85] op_sel:[0,0,1] op_sel_hi:[1,1,0] neg_lo:[0,0,1] neg_hi:[0,0,1]
	v_pk_fma_f32 v[84:85], v[86:87], v[72:73], v[84:85] op_sel:[0,0,1] op_sel_hi:[1,0,0]
	s_delay_alu instid0(VALU_DEP_1)
	v_mov_b32_e32 v89, v85
	ds_load_2addr_b64 v[84:87], v216 offset0:41 offset1:42
	v_pk_add_f32 v[156:157], v[156:157], v[90:91] neg_lo:[0,1] neg_hi:[0,1]
	v_pk_add_f32 v[178:179], v[178:179], v[88:89] neg_lo:[0,1] neg_hi:[0,1]
	s_wait_dscnt 0x0
	v_pk_mul_f32 v[88:89], v[84:85], v[74:75] op_sel:[0,1]
	s_delay_alu instid0(VALU_DEP_1) | instskip(SKIP_1) | instid1(VALU_DEP_1)
	v_pk_fma_f32 v[90:91], v[84:85], v[72:73], v[88:89] op_sel:[0,0,1] op_sel_hi:[1,1,0] neg_lo:[0,0,1] neg_hi:[0,0,1]
	v_pk_fma_f32 v[84:85], v[84:85], v[72:73], v[88:89] op_sel:[0,0,1] op_sel_hi:[1,0,0]
	v_mov_b32_e32 v91, v85
	v_pk_mul_f32 v[84:85], v[86:87], v[74:75] op_sel:[0,1]
	s_delay_alu instid0(VALU_DEP_1) | instskip(SKIP_1) | instid1(VALU_DEP_1)
	v_pk_fma_f32 v[88:89], v[86:87], v[72:73], v[84:85] op_sel:[0,0,1] op_sel_hi:[1,1,0] neg_lo:[0,0,1] neg_hi:[0,0,1]
	v_pk_fma_f32 v[84:85], v[86:87], v[72:73], v[84:85] op_sel:[0,0,1] op_sel_hi:[1,0,0]
	v_mov_b32_e32 v89, v85
	ds_load_2addr_b64 v[84:87], v216 offset0:43 offset1:44
	v_pk_add_f32 v[174:175], v[174:175], v[90:91] neg_lo:[0,1] neg_hi:[0,1]
	v_pk_add_f32 v[176:177], v[176:177], v[88:89] neg_lo:[0,1] neg_hi:[0,1]
	s_wait_dscnt 0x0
	v_dual_mul_f32 v88, v85, v75 :: v_dual_mul_f32 v90, v85, v72
	s_delay_alu instid0(VALU_DEP_1) | instskip(NEXT) | instid1(VALU_DEP_2)
	v_pk_fma_f32 v[88:89], v[84:85], v[114:115], v[88:89] op_sel_hi:[1,1,0] neg_lo:[0,0,1] neg_hi:[0,0,1]
	v_pk_fma_f32 v[84:85], v[84:85], v[114:115], v[90:91] op_sel:[1,0,0] op_sel_hi:[0,1,0]
	s_delay_alu instid0(VALU_DEP_1) | instskip(SKIP_1) | instid1(VALU_DEP_2)
	v_mov_b32_e32 v89, v85
	v_pk_mul_f32 v[84:85], v[86:87], v[74:75] op_sel:[0,1]
	v_pk_add_f32 v[172:173], v[172:173], v[88:89] neg_lo:[0,1] neg_hi:[0,1]
	s_delay_alu instid0(VALU_DEP_2) | instskip(SKIP_1) | instid1(VALU_DEP_1)
	v_pk_fma_f32 v[88:89], v[86:87], v[72:73], v[84:85] op_sel:[0,0,1] op_sel_hi:[1,1,0] neg_lo:[0,0,1] neg_hi:[0,0,1]
	v_pk_fma_f32 v[84:85], v[86:87], v[72:73], v[84:85] op_sel:[0,0,1] op_sel_hi:[1,0,0]
	v_mov_b32_e32 v89, v85
	ds_load_2addr_b64 v[84:87], v216 offset0:45 offset1:46
	v_pk_add_f32 v[194:195], v[194:195], v[88:89] neg_lo:[0,1] neg_hi:[0,1]
	s_wait_dscnt 0x0
	v_pk_mul_f32 v[88:89], v[84:85], v[74:75] op_sel:[0,1]
	s_delay_alu instid0(VALU_DEP_1) | instskip(SKIP_1) | instid1(VALU_DEP_1)
	v_pk_fma_f32 v[90:91], v[84:85], v[72:73], v[88:89] op_sel:[0,0,1] op_sel_hi:[1,1,0] neg_lo:[0,0,1] neg_hi:[0,0,1]
	v_pk_fma_f32 v[84:85], v[84:85], v[72:73], v[88:89] op_sel:[0,0,1] op_sel_hi:[1,0,0]
	v_mov_b32_e32 v91, v85
	v_pk_mul_f32 v[84:85], v[86:87], v[74:75] op_sel:[0,1]
	s_delay_alu instid0(VALU_DEP_2) | instskip(NEXT) | instid1(VALU_DEP_2)
	v_pk_add_f32 v[190:191], v[190:191], v[90:91] neg_lo:[0,1] neg_hi:[0,1]
	v_pk_fma_f32 v[88:89], v[86:87], v[72:73], v[84:85] op_sel:[0,0,1] op_sel_hi:[1,1,0] neg_lo:[0,0,1] neg_hi:[0,0,1]
	v_pk_fma_f32 v[84:85], v[86:87], v[72:73], v[84:85] op_sel:[0,0,1] op_sel_hi:[1,0,0]
	s_delay_alu instid0(VALU_DEP_1) | instskip(SKIP_4) | instid1(VALU_DEP_1)
	v_mov_b32_e32 v89, v85
	ds_load_2addr_b64 v[84:87], v216 offset0:47 offset1:48
	v_pk_add_f32 v[192:193], v[192:193], v[88:89] neg_lo:[0,1] neg_hi:[0,1]
	s_wait_dscnt 0x0
	v_pk_mul_f32 v[88:89], v[84:85], v[74:75] op_sel:[0,1]
	v_pk_fma_f32 v[90:91], v[84:85], v[72:73], v[88:89] op_sel:[0,0,1] op_sel_hi:[1,1,0] neg_lo:[0,0,1] neg_hi:[0,0,1]
	v_pk_fma_f32 v[84:85], v[84:85], v[72:73], v[88:89] op_sel:[0,0,1] op_sel_hi:[1,0,0]
	v_dual_mul_f32 v88, v87, v75 :: v_dual_mov_b32 v84, v87
	s_delay_alu instid0(VALU_DEP_2) | instskip(NEXT) | instid1(VALU_DEP_2)
	v_dual_mov_b32 v91, v85 :: v_dual_mov_b32 v85, v86
	v_pk_fma_f32 v[88:89], v[86:87], v[114:115], v[88:89] op_sel_hi:[1,1,0] neg_lo:[0,0,1] neg_hi:[0,0,1]
	v_mul_f32_e32 v86, v87, v72
	s_delay_alu instid0(VALU_DEP_3) | instskip(NEXT) | instid1(VALU_DEP_2)
	v_pk_add_f32 v[188:189], v[188:189], v[90:91] neg_lo:[0,1] neg_hi:[0,1]
	v_pk_fma_f32 v[84:85], v[84:85], v[114:115], v[86:87] op_sel_hi:[1,1,0]
	s_delay_alu instid0(VALU_DEP_1) | instskip(SKIP_4) | instid1(VALU_DEP_1)
	v_mov_b32_e32 v89, v85
	ds_load_2addr_b64 v[84:87], v216 offset0:49 offset1:50
	v_pk_add_f32 v[214:215], v[214:215], v[88:89] neg_lo:[0,1] neg_hi:[0,1]
	s_wait_dscnt 0x0
	v_pk_mul_f32 v[88:89], v[84:85], v[74:75] op_sel:[0,1]
	v_pk_fma_f32 v[90:91], v[84:85], v[72:73], v[88:89] op_sel:[0,0,1] op_sel_hi:[1,1,0] neg_lo:[0,0,1] neg_hi:[0,0,1]
	v_pk_fma_f32 v[84:85], v[84:85], v[72:73], v[88:89] op_sel:[0,0,1] op_sel_hi:[1,0,0]
	s_delay_alu instid0(VALU_DEP_1) | instskip(SKIP_1) | instid1(VALU_DEP_1)
	v_mov_b32_e32 v91, v85
	v_pk_mul_f32 v[84:85], v[86:87], v[74:75] op_sel:[0,1]
	v_pk_fma_f32 v[88:89], v[86:87], v[72:73], v[84:85] op_sel:[0,0,1] op_sel_hi:[1,1,0] neg_lo:[0,0,1] neg_hi:[0,0,1]
	v_pk_fma_f32 v[84:85], v[86:87], v[72:73], v[84:85] op_sel:[0,0,1] op_sel_hi:[1,0,0]
	s_delay_alu instid0(VALU_DEP_1)
	v_mov_b32_e32 v89, v85
	ds_load_2addr_b64 v[84:87], v216 offset0:51 offset1:52
	v_pk_add_f32 v[210:211], v[210:211], v[90:91] neg_lo:[0,1] neg_hi:[0,1]
	v_pk_add_f32 v[212:213], v[212:213], v[88:89] neg_lo:[0,1] neg_hi:[0,1]
	s_wait_dscnt 0x0
	v_pk_mul_f32 v[88:89], v[84:85], v[74:75] op_sel:[0,1]
	s_delay_alu instid0(VALU_DEP_1) | instskip(SKIP_1) | instid1(VALU_DEP_1)
	v_pk_fma_f32 v[90:91], v[84:85], v[72:73], v[88:89] op_sel:[0,0,1] op_sel_hi:[1,1,0] neg_lo:[0,0,1] neg_hi:[0,0,1]
	v_pk_fma_f32 v[84:85], v[84:85], v[72:73], v[88:89] op_sel:[0,0,1] op_sel_hi:[1,0,0]
	v_mov_b32_e32 v91, v85
	v_pk_mul_f32 v[84:85], v[86:87], v[74:75] op_sel:[0,1]
	s_delay_alu instid0(VALU_DEP_1) | instskip(SKIP_1) | instid1(VALU_DEP_1)
	v_pk_fma_f32 v[88:89], v[86:87], v[72:73], v[84:85] op_sel:[0,0,1] op_sel_hi:[1,1,0] neg_lo:[0,0,1] neg_hi:[0,0,1]
	v_pk_fma_f32 v[84:85], v[86:87], v[72:73], v[84:85] op_sel:[0,0,1] op_sel_hi:[1,0,0]
	v_mov_b32_e32 v89, v85
	ds_load_2addr_b64 v[84:87], v216 offset0:53 offset1:54
	v_pk_add_f32 v[208:209], v[208:209], v[90:91] neg_lo:[0,1] neg_hi:[0,1]
	v_pk_add_f32 v[236:237], v[236:237], v[88:89] neg_lo:[0,1] neg_hi:[0,1]
	s_wait_dscnt 0x0
	v_dual_mul_f32 v88, v85, v75 :: v_dual_mul_f32 v90, v85, v72
	s_delay_alu instid0(VALU_DEP_1) | instskip(NEXT) | instid1(VALU_DEP_2)
	v_pk_fma_f32 v[88:89], v[84:85], v[114:115], v[88:89] op_sel_hi:[1,1,0] neg_lo:[0,0,1] neg_hi:[0,0,1]
	v_pk_fma_f32 v[84:85], v[84:85], v[114:115], v[90:91] op_sel:[1,0,0] op_sel_hi:[0,1,0]
	s_delay_alu instid0(VALU_DEP_1) | instskip(SKIP_1) | instid1(VALU_DEP_2)
	v_mov_b32_e32 v89, v85
	v_pk_mul_f32 v[84:85], v[86:87], v[74:75] op_sel:[0,1]
	v_pk_add_f32 v[230:231], v[230:231], v[88:89] neg_lo:[0,1] neg_hi:[0,1]
	s_delay_alu instid0(VALU_DEP_2) | instskip(SKIP_1) | instid1(VALU_DEP_1)
	v_pk_fma_f32 v[88:89], v[86:87], v[72:73], v[84:85] op_sel:[0,0,1] op_sel_hi:[1,1,0] neg_lo:[0,0,1] neg_hi:[0,0,1]
	v_pk_fma_f32 v[84:85], v[86:87], v[72:73], v[84:85] op_sel:[0,0,1] op_sel_hi:[1,0,0]
	v_mov_b32_e32 v89, v85
	ds_load_2addr_b64 v[84:87], v216 offset0:55 offset1:56
	v_pk_add_f32 v[234:235], v[234:235], v[88:89] neg_lo:[0,1] neg_hi:[0,1]
	s_wait_dscnt 0x0
	v_pk_mul_f32 v[88:89], v[84:85], v[74:75] op_sel:[0,1]
	s_delay_alu instid0(VALU_DEP_1) | instskip(SKIP_1) | instid1(VALU_DEP_1)
	v_pk_fma_f32 v[90:91], v[84:85], v[72:73], v[88:89] op_sel:[0,0,1] op_sel_hi:[1,1,0] neg_lo:[0,0,1] neg_hi:[0,0,1]
	v_pk_fma_f32 v[84:85], v[84:85], v[72:73], v[88:89] op_sel:[0,0,1] op_sel_hi:[1,0,0]
	v_mov_b32_e32 v91, v85
	v_pk_mul_f32 v[84:85], v[86:87], v[74:75] op_sel:[0,1]
	s_delay_alu instid0(VALU_DEP_2) | instskip(NEXT) | instid1(VALU_DEP_2)
	v_pk_add_f32 v[228:229], v[228:229], v[90:91] neg_lo:[0,1] neg_hi:[0,1]
	v_pk_fma_f32 v[88:89], v[86:87], v[72:73], v[84:85] op_sel:[0,0,1] op_sel_hi:[1,1,0] neg_lo:[0,0,1] neg_hi:[0,0,1]
	v_pk_fma_f32 v[84:85], v[86:87], v[72:73], v[84:85] op_sel:[0,0,1] op_sel_hi:[1,0,0]
	s_delay_alu instid0(VALU_DEP_1) | instskip(SKIP_4) | instid1(VALU_DEP_1)
	v_mov_b32_e32 v89, v85
	ds_load_2addr_b64 v[84:87], v216 offset0:57 offset1:58
	v_pk_add_f32 v[232:233], v[232:233], v[88:89] neg_lo:[0,1] neg_hi:[0,1]
	s_wait_dscnt 0x0
	v_pk_mul_f32 v[88:89], v[84:85], v[74:75] op_sel:[0,1]
	v_pk_fma_f32 v[90:91], v[84:85], v[72:73], v[88:89] op_sel:[0,0,1] op_sel_hi:[1,1,0] neg_lo:[0,0,1] neg_hi:[0,0,1]
	v_pk_fma_f32 v[84:85], v[84:85], v[72:73], v[88:89] op_sel:[0,0,1] op_sel_hi:[1,0,0]
	v_dual_mul_f32 v88, v87, v75 :: v_dual_mov_b32 v84, v87
	s_delay_alu instid0(VALU_DEP_2) | instskip(NEXT) | instid1(VALU_DEP_2)
	v_dual_mov_b32 v91, v85 :: v_dual_mov_b32 v85, v86
	v_pk_fma_f32 v[88:89], v[86:87], v[114:115], v[88:89] op_sel_hi:[1,1,0] neg_lo:[0,0,1] neg_hi:[0,0,1]
	v_mul_f32_e32 v86, v87, v72
	s_delay_alu instid0(VALU_DEP_3) | instskip(NEXT) | instid1(VALU_DEP_2)
	v_pk_add_f32 v[226:227], v[226:227], v[90:91] neg_lo:[0,1] neg_hi:[0,1]
	v_pk_fma_f32 v[84:85], v[84:85], v[114:115], v[86:87] op_sel_hi:[1,1,0]
	s_delay_alu instid0(VALU_DEP_1) | instskip(SKIP_4) | instid1(VALU_DEP_1)
	v_mov_b32_e32 v89, v85
	ds_load_b64 v[84:85], v216 offset:472
	v_pk_add_f32 v[238:239], v[238:239], v[88:89] neg_lo:[0,1] neg_hi:[0,1]
	s_wait_dscnt 0x0
	v_pk_mul_f32 v[74:75], v[84:85], v[74:75] op_sel:[0,1]
	v_pk_fma_f32 v[86:87], v[84:85], v[72:73], v[74:75] op_sel:[0,0,1] op_sel_hi:[1,1,0] neg_lo:[0,0,1] neg_hi:[0,0,1]
	v_pk_fma_f32 v[72:73], v[84:85], v[72:73], v[74:75] op_sel:[0,0,1] op_sel_hi:[1,0,0]
	s_delay_alu instid0(VALU_DEP_1) | instskip(NEXT) | instid1(VALU_DEP_1)
	v_mov_b32_e32 v87, v73
	v_pk_add_f32 v[240:241], v[240:241], v[86:87] neg_lo:[0,1] neg_hi:[0,1]
.LBB119_226:
	s_or_b32 exec_lo, exec_lo, s1
	s_delay_alu instid0(SALU_CYCLE_1)
	s_mov_b32 s2, exec_lo
	s_wait_dscnt 0x0
	s_barrier_signal -1
	s_barrier_wait -1
	v_cmpx_eq_u32_e32 25, v206
	s_cbranch_execz .LBB119_233
; %bb.227:
	v_dual_mov_b32 v72, v112 :: v_dual_mov_b32 v73, v113
	v_dual_mov_b32 v74, v108 :: v_dual_mov_b32 v75, v109
	ds_store_b64 v207, v[110:111]
	ds_store_2addr_b64 v216, v[72:73], v[74:75] offset0:26 offset1:27
	v_dual_mov_b32 v72, v130 :: v_dual_mov_b32 v73, v131
	v_dual_mov_b32 v74, v126 :: v_dual_mov_b32 v75, v127
	ds_store_2addr_b64 v216, v[72:73], v[74:75] offset0:28 offset1:29
	v_dual_mov_b32 v72, v128 :: v_dual_mov_b32 v73, v129
	v_dual_mov_b32 v74, v124 :: v_dual_mov_b32 v75, v125
	;; [unrolled: 3-line block ×15, first 2 shown]
	ds_store_2addr_b64 v216, v[72:73], v[74:75] offset0:56 offset1:57
	v_dual_mov_b32 v72, v238 :: v_dual_mov_b32 v73, v239
	ds_store_2addr_b64 v216, v[72:73], v[240:241] offset0:58 offset1:59
	ds_load_b64 v[72:73], v207
	s_wait_dscnt 0x0
	v_cmp_neq_f32_e32 vcc_lo, 0, v72
	v_cmp_neq_f32_e64 s1, 0, v73
	s_or_b32 s1, vcc_lo, s1
	s_delay_alu instid0(SALU_CYCLE_1)
	s_and_b32 exec_lo, exec_lo, s1
	s_cbranch_execz .LBB119_233
; %bb.228:
	v_cmp_ngt_f32_e64 s1, |v72|, |v73|
                                        ; implicit-def: $vgpr74_vgpr75
	s_and_saveexec_b32 s4, s1
	s_delay_alu instid0(SALU_CYCLE_1)
	s_xor_b32 s1, exec_lo, s4
	s_cbranch_execz .LBB119_230
; %bb.229:
	v_div_scale_f32 v74, null, v73, v73, v72
	v_div_scale_f32 v85, vcc_lo, v72, v73, v72
	s_delay_alu instid0(VALU_DEP_2) | instskip(SKIP_1) | instid1(TRANS32_DEP_1)
	v_rcp_f32_e32 v75, v74
	v_nop
	v_fma_f32 v84, -v74, v75, 1.0
	s_delay_alu instid0(VALU_DEP_1) | instskip(NEXT) | instid1(VALU_DEP_1)
	v_fmac_f32_e32 v75, v84, v75
	v_mul_f32_e32 v84, v85, v75
	s_delay_alu instid0(VALU_DEP_1) | instskip(NEXT) | instid1(VALU_DEP_1)
	v_fma_f32 v86, -v74, v84, v85
	v_fmac_f32_e32 v84, v86, v75
	s_delay_alu instid0(VALU_DEP_1) | instskip(NEXT) | instid1(VALU_DEP_1)
	v_fma_f32 v74, -v74, v84, v85
	v_div_fmas_f32 v74, v74, v75, v84
	s_delay_alu instid0(VALU_DEP_1) | instskip(NEXT) | instid1(VALU_DEP_1)
	v_div_fixup_f32 v74, v74, v73, v72
	v_fmac_f32_e32 v73, v72, v74
	s_delay_alu instid0(VALU_DEP_1) | instskip(SKIP_1) | instid1(VALU_DEP_2)
	v_div_scale_f32 v72, null, v73, v73, 1.0
	v_div_scale_f32 v85, vcc_lo, 1.0, v73, 1.0
	v_rcp_f32_e32 v75, v72
	v_nop
	s_delay_alu instid0(TRANS32_DEP_1) | instskip(NEXT) | instid1(VALU_DEP_1)
	v_fma_f32 v84, -v72, v75, 1.0
	v_fmac_f32_e32 v75, v84, v75
	s_delay_alu instid0(VALU_DEP_1) | instskip(NEXT) | instid1(VALU_DEP_1)
	v_mul_f32_e32 v84, v85, v75
	v_fma_f32 v86, -v72, v84, v85
	s_delay_alu instid0(VALU_DEP_1) | instskip(NEXT) | instid1(VALU_DEP_1)
	v_fmac_f32_e32 v84, v86, v75
	v_fma_f32 v72, -v72, v84, v85
	s_delay_alu instid0(VALU_DEP_1) | instskip(NEXT) | instid1(VALU_DEP_1)
	v_div_fmas_f32 v72, v72, v75, v84
	v_div_fixup_f32 v72, v72, v73, 1.0
	s_delay_alu instid0(VALU_DEP_1)
	v_mul_f32_e32 v74, v74, v72
	v_xor_b32_e32 v75, 0x80000000, v72
                                        ; implicit-def: $vgpr72_vgpr73
.LBB119_230:
	s_and_not1_saveexec_b32 s1, s1
	s_cbranch_execz .LBB119_232
; %bb.231:
	v_div_scale_f32 v74, null, v72, v72, v73
	v_div_scale_f32 v85, vcc_lo, v73, v72, v73
	s_delay_alu instid0(VALU_DEP_2) | instskip(SKIP_1) | instid1(TRANS32_DEP_1)
	v_rcp_f32_e32 v75, v74
	v_nop
	v_fma_f32 v84, -v74, v75, 1.0
	s_delay_alu instid0(VALU_DEP_1) | instskip(NEXT) | instid1(VALU_DEP_1)
	v_fmac_f32_e32 v75, v84, v75
	v_mul_f32_e32 v84, v85, v75
	s_delay_alu instid0(VALU_DEP_1) | instskip(NEXT) | instid1(VALU_DEP_1)
	v_fma_f32 v86, -v74, v84, v85
	v_fmac_f32_e32 v84, v86, v75
	s_delay_alu instid0(VALU_DEP_1) | instskip(NEXT) | instid1(VALU_DEP_1)
	v_fma_f32 v74, -v74, v84, v85
	v_div_fmas_f32 v74, v74, v75, v84
	s_delay_alu instid0(VALU_DEP_1) | instskip(NEXT) | instid1(VALU_DEP_1)
	v_div_fixup_f32 v75, v74, v72, v73
	v_fmac_f32_e32 v72, v73, v75
	s_delay_alu instid0(VALU_DEP_1) | instskip(NEXT) | instid1(VALU_DEP_1)
	v_div_scale_f32 v73, null, v72, v72, 1.0
	v_rcp_f32_e32 v74, v73
	v_nop
	s_delay_alu instid0(TRANS32_DEP_1) | instskip(NEXT) | instid1(VALU_DEP_1)
	v_fma_f32 v84, -v73, v74, 1.0
	v_fmac_f32_e32 v74, v84, v74
	v_div_scale_f32 v84, vcc_lo, 1.0, v72, 1.0
	s_delay_alu instid0(VALU_DEP_1) | instskip(NEXT) | instid1(VALU_DEP_1)
	v_mul_f32_e32 v85, v84, v74
	v_fma_f32 v86, -v73, v85, v84
	s_delay_alu instid0(VALU_DEP_1) | instskip(NEXT) | instid1(VALU_DEP_1)
	v_fmac_f32_e32 v85, v86, v74
	v_fma_f32 v73, -v73, v85, v84
	s_delay_alu instid0(VALU_DEP_1) | instskip(NEXT) | instid1(VALU_DEP_1)
	v_div_fmas_f32 v73, v73, v74, v85
	v_div_fixup_f32 v74, v73, v72, 1.0
	s_delay_alu instid0(VALU_DEP_1)
	v_mul_f32_e64 v75, v75, -v74
.LBB119_232:
	s_or_b32 exec_lo, exec_lo, s1
	ds_store_b64 v207, v[74:75]
.LBB119_233:
	s_or_b32 exec_lo, exec_lo, s2
	s_wait_dscnt 0x0
	s_barrier_signal -1
	s_barrier_wait -1
	ds_load_b64 v[72:73], v207
	s_mov_b32 s1, exec_lo
	v_cmpx_lt_u32_e32 25, v206
	s_cbranch_execz .LBB119_235
; %bb.234:
	ds_load_2addr_b64 v[86:89], v216 offset0:26 offset1:27
	s_wait_dscnt 0x1
	v_pk_mul_f32 v[84:85], v[72:73], v[110:111] op_sel:[1,1] op_sel_hi:[0,1]
	s_delay_alu instid0(VALU_DEP_1) | instskip(SKIP_1) | instid1(VALU_DEP_1)
	v_pk_fma_f32 v[74:75], v[72:73], v[110:111], v[84:85] op_sel_hi:[1,0,1] neg_lo:[0,0,1] neg_hi:[0,0,1]
	v_pk_fma_f32 v[84:85], v[72:73], v[110:111], v[84:85] op_sel_hi:[1,0,1]
	v_dual_mov_b32 v110, v74 :: v_dual_mov_b32 v111, v85
	s_wait_dscnt 0x0
	s_delay_alu instid0(VALU_DEP_2) | instskip(NEXT) | instid1(VALU_DEP_1)
	v_pk_mul_f32 v[90:91], v[86:87], v[84:85] op_sel:[0,1]
	v_pk_fma_f32 v[100:101], v[86:87], v[74:75], v[90:91] op_sel:[0,0,1] op_sel_hi:[1,1,0] neg_lo:[0,0,1] neg_hi:[0,0,1]
	v_pk_fma_f32 v[86:87], v[86:87], v[74:75], v[90:91] op_sel:[0,0,1] op_sel_hi:[1,0,0]
	s_delay_alu instid0(VALU_DEP_1) | instskip(SKIP_1) | instid1(VALU_DEP_1)
	v_mov_b32_e32 v101, v87
	v_pk_mul_f32 v[86:87], v[88:89], v[84:85] op_sel:[0,1]
	v_pk_fma_f32 v[90:91], v[88:89], v[74:75], v[86:87] op_sel:[0,0,1] op_sel_hi:[1,1,0] neg_lo:[0,0,1] neg_hi:[0,0,1]
	v_pk_fma_f32 v[86:87], v[88:89], v[74:75], v[86:87] op_sel:[0,0,1] op_sel_hi:[1,0,0]
	s_delay_alu instid0(VALU_DEP_1)
	v_mov_b32_e32 v91, v87
	ds_load_2addr_b64 v[86:89], v216 offset0:28 offset1:29
	v_pk_add_f32 v[112:113], v[112:113], v[100:101] neg_lo:[0,1] neg_hi:[0,1]
	v_pk_add_f32 v[108:109], v[108:109], v[90:91] neg_lo:[0,1] neg_hi:[0,1]
	s_wait_dscnt 0x0
	v_pk_mul_f32 v[90:91], v[86:87], v[84:85] op_sel:[0,1]
	s_delay_alu instid0(VALU_DEP_1) | instskip(SKIP_2) | instid1(VALU_DEP_2)
	v_pk_fma_f32 v[100:101], v[86:87], v[74:75], v[90:91] op_sel:[0,0,1] op_sel_hi:[1,1,0] neg_lo:[0,0,1] neg_hi:[0,0,1]
	v_pk_fma_f32 v[86:87], v[86:87], v[74:75], v[90:91] op_sel:[0,0,1] op_sel_hi:[1,0,0]
	v_dual_mul_f32 v90, v89, v85 :: v_dual_mov_b32 v86, v89
	v_dual_mov_b32 v101, v87 :: v_dual_mov_b32 v87, v88
	s_delay_alu instid0(VALU_DEP_2) | instskip(SKIP_1) | instid1(VALU_DEP_3)
	v_pk_fma_f32 v[90:91], v[88:89], v[110:111], v[90:91] op_sel_hi:[1,1,0] neg_lo:[0,0,1] neg_hi:[0,0,1]
	v_mul_f32_e32 v88, v89, v74
	v_pk_add_f32 v[130:131], v[130:131], v[100:101] neg_lo:[0,1] neg_hi:[0,1]
	s_delay_alu instid0(VALU_DEP_2) | instskip(NEXT) | instid1(VALU_DEP_1)
	v_pk_fma_f32 v[86:87], v[86:87], v[110:111], v[88:89] op_sel_hi:[1,1,0]
	v_mov_b32_e32 v91, v87
	ds_load_2addr_b64 v[86:89], v216 offset0:30 offset1:31
	v_pk_add_f32 v[126:127], v[126:127], v[90:91] neg_lo:[0,1] neg_hi:[0,1]
	s_wait_dscnt 0x0
	v_pk_mul_f32 v[90:91], v[86:87], v[84:85] op_sel:[0,1]
	s_delay_alu instid0(VALU_DEP_1) | instskip(SKIP_1) | instid1(VALU_DEP_1)
	v_pk_fma_f32 v[100:101], v[86:87], v[74:75], v[90:91] op_sel:[0,0,1] op_sel_hi:[1,1,0] neg_lo:[0,0,1] neg_hi:[0,0,1]
	v_pk_fma_f32 v[86:87], v[86:87], v[74:75], v[90:91] op_sel:[0,0,1] op_sel_hi:[1,0,0]
	v_mov_b32_e32 v101, v87
	v_pk_mul_f32 v[86:87], v[88:89], v[84:85] op_sel:[0,1]
	s_delay_alu instid0(VALU_DEP_1) | instskip(SKIP_1) | instid1(VALU_DEP_1)
	v_pk_fma_f32 v[90:91], v[88:89], v[74:75], v[86:87] op_sel:[0,0,1] op_sel_hi:[1,1,0] neg_lo:[0,0,1] neg_hi:[0,0,1]
	v_pk_fma_f32 v[86:87], v[88:89], v[74:75], v[86:87] op_sel:[0,0,1] op_sel_hi:[1,0,0]
	v_mov_b32_e32 v91, v87
	ds_load_2addr_b64 v[86:89], v216 offset0:32 offset1:33
	v_pk_add_f32 v[128:129], v[128:129], v[100:101] neg_lo:[0,1] neg_hi:[0,1]
	v_pk_add_f32 v[124:125], v[124:125], v[90:91] neg_lo:[0,1] neg_hi:[0,1]
	s_wait_dscnt 0x0
	v_pk_mul_f32 v[90:91], v[86:87], v[84:85] op_sel:[0,1]
	s_delay_alu instid0(VALU_DEP_1) | instskip(SKIP_1) | instid1(VALU_DEP_1)
	v_pk_fma_f32 v[100:101], v[86:87], v[74:75], v[90:91] op_sel:[0,0,1] op_sel_hi:[1,1,0] neg_lo:[0,0,1] neg_hi:[0,0,1]
	v_pk_fma_f32 v[86:87], v[86:87], v[74:75], v[90:91] op_sel:[0,0,1] op_sel_hi:[1,0,0]
	v_mov_b32_e32 v101, v87
	v_pk_mul_f32 v[86:87], v[88:89], v[84:85] op_sel:[0,1]
	s_delay_alu instid0(VALU_DEP_1) | instskip(SKIP_1) | instid1(VALU_DEP_1)
	v_pk_fma_f32 v[90:91], v[88:89], v[74:75], v[86:87] op_sel:[0,0,1] op_sel_hi:[1,1,0] neg_lo:[0,0,1] neg_hi:[0,0,1]
	v_pk_fma_f32 v[86:87], v[88:89], v[74:75], v[86:87] op_sel:[0,0,1] op_sel_hi:[1,0,0]
	v_mov_b32_e32 v91, v87
	ds_load_2addr_b64 v[86:89], v216 offset0:34 offset1:35
	v_pk_add_f32 v[146:147], v[146:147], v[100:101] neg_lo:[0,1] neg_hi:[0,1]
	v_pk_add_f32 v[142:143], v[142:143], v[90:91] neg_lo:[0,1] neg_hi:[0,1]
	s_wait_dscnt 0x0
	v_dual_mul_f32 v90, v87, v85 :: v_dual_mul_f32 v100, v87, v74
	s_delay_alu instid0(VALU_DEP_1) | instskip(NEXT) | instid1(VALU_DEP_2)
	v_pk_fma_f32 v[90:91], v[86:87], v[110:111], v[90:91] op_sel_hi:[1,1,0] neg_lo:[0,0,1] neg_hi:[0,0,1]
	v_pk_fma_f32 v[86:87], v[86:87], v[110:111], v[100:101] op_sel:[1,0,0] op_sel_hi:[0,1,0]
	s_delay_alu instid0(VALU_DEP_1) | instskip(SKIP_1) | instid1(VALU_DEP_2)
	v_mov_b32_e32 v91, v87
	v_pk_mul_f32 v[86:87], v[88:89], v[84:85] op_sel:[0,1]
	v_pk_add_f32 v[144:145], v[144:145], v[90:91] neg_lo:[0,1] neg_hi:[0,1]
	s_delay_alu instid0(VALU_DEP_2) | instskip(SKIP_1) | instid1(VALU_DEP_1)
	v_pk_fma_f32 v[90:91], v[88:89], v[74:75], v[86:87] op_sel:[0,0,1] op_sel_hi:[1,1,0] neg_lo:[0,0,1] neg_hi:[0,0,1]
	v_pk_fma_f32 v[86:87], v[88:89], v[74:75], v[86:87] op_sel:[0,0,1] op_sel_hi:[1,0,0]
	v_mov_b32_e32 v91, v87
	ds_load_2addr_b64 v[86:89], v216 offset0:36 offset1:37
	v_pk_add_f32 v[140:141], v[140:141], v[90:91] neg_lo:[0,1] neg_hi:[0,1]
	s_wait_dscnt 0x0
	v_pk_mul_f32 v[90:91], v[86:87], v[84:85] op_sel:[0,1]
	s_delay_alu instid0(VALU_DEP_1) | instskip(SKIP_1) | instid1(VALU_DEP_1)
	v_pk_fma_f32 v[100:101], v[86:87], v[74:75], v[90:91] op_sel:[0,0,1] op_sel_hi:[1,1,0] neg_lo:[0,0,1] neg_hi:[0,0,1]
	v_pk_fma_f32 v[86:87], v[86:87], v[74:75], v[90:91] op_sel:[0,0,1] op_sel_hi:[1,0,0]
	v_mov_b32_e32 v101, v87
	v_pk_mul_f32 v[86:87], v[88:89], v[84:85] op_sel:[0,1]
	s_delay_alu instid0(VALU_DEP_2) | instskip(NEXT) | instid1(VALU_DEP_2)
	v_pk_add_f32 v[162:163], v[162:163], v[100:101] neg_lo:[0,1] neg_hi:[0,1]
	v_pk_fma_f32 v[90:91], v[88:89], v[74:75], v[86:87] op_sel:[0,0,1] op_sel_hi:[1,1,0] neg_lo:[0,0,1] neg_hi:[0,0,1]
	v_pk_fma_f32 v[86:87], v[88:89], v[74:75], v[86:87] op_sel:[0,0,1] op_sel_hi:[1,0,0]
	s_delay_alu instid0(VALU_DEP_1) | instskip(SKIP_4) | instid1(VALU_DEP_1)
	v_mov_b32_e32 v91, v87
	ds_load_2addr_b64 v[86:89], v216 offset0:38 offset1:39
	v_pk_add_f32 v[158:159], v[158:159], v[90:91] neg_lo:[0,1] neg_hi:[0,1]
	s_wait_dscnt 0x0
	v_pk_mul_f32 v[90:91], v[86:87], v[84:85] op_sel:[0,1]
	v_pk_fma_f32 v[100:101], v[86:87], v[74:75], v[90:91] op_sel:[0,0,1] op_sel_hi:[1,1,0] neg_lo:[0,0,1] neg_hi:[0,0,1]
	v_pk_fma_f32 v[86:87], v[86:87], v[74:75], v[90:91] op_sel:[0,0,1] op_sel_hi:[1,0,0]
	v_dual_mul_f32 v90, v89, v85 :: v_dual_mov_b32 v86, v89
	s_delay_alu instid0(VALU_DEP_2) | instskip(NEXT) | instid1(VALU_DEP_2)
	v_dual_mov_b32 v101, v87 :: v_dual_mov_b32 v87, v88
	v_pk_fma_f32 v[90:91], v[88:89], v[110:111], v[90:91] op_sel_hi:[1,1,0] neg_lo:[0,0,1] neg_hi:[0,0,1]
	v_mul_f32_e32 v88, v89, v74
	s_delay_alu instid0(VALU_DEP_3) | instskip(NEXT) | instid1(VALU_DEP_2)
	v_pk_add_f32 v[160:161], v[160:161], v[100:101] neg_lo:[0,1] neg_hi:[0,1]
	v_pk_fma_f32 v[86:87], v[86:87], v[110:111], v[88:89] op_sel_hi:[1,1,0]
	s_delay_alu instid0(VALU_DEP_1) | instskip(SKIP_4) | instid1(VALU_DEP_1)
	v_mov_b32_e32 v91, v87
	ds_load_2addr_b64 v[86:89], v216 offset0:40 offset1:41
	v_pk_add_f32 v[156:157], v[156:157], v[90:91] neg_lo:[0,1] neg_hi:[0,1]
	s_wait_dscnt 0x0
	v_pk_mul_f32 v[90:91], v[86:87], v[84:85] op_sel:[0,1]
	v_pk_fma_f32 v[100:101], v[86:87], v[74:75], v[90:91] op_sel:[0,0,1] op_sel_hi:[1,1,0] neg_lo:[0,0,1] neg_hi:[0,0,1]
	v_pk_fma_f32 v[86:87], v[86:87], v[74:75], v[90:91] op_sel:[0,0,1] op_sel_hi:[1,0,0]
	s_delay_alu instid0(VALU_DEP_1) | instskip(SKIP_1) | instid1(VALU_DEP_1)
	v_mov_b32_e32 v101, v87
	v_pk_mul_f32 v[86:87], v[88:89], v[84:85] op_sel:[0,1]
	v_pk_fma_f32 v[90:91], v[88:89], v[74:75], v[86:87] op_sel:[0,0,1] op_sel_hi:[1,1,0] neg_lo:[0,0,1] neg_hi:[0,0,1]
	v_pk_fma_f32 v[86:87], v[88:89], v[74:75], v[86:87] op_sel:[0,0,1] op_sel_hi:[1,0,0]
	s_delay_alu instid0(VALU_DEP_1)
	v_mov_b32_e32 v91, v87
	ds_load_2addr_b64 v[86:89], v216 offset0:42 offset1:43
	v_pk_add_f32 v[178:179], v[178:179], v[100:101] neg_lo:[0,1] neg_hi:[0,1]
	v_pk_add_f32 v[174:175], v[174:175], v[90:91] neg_lo:[0,1] neg_hi:[0,1]
	s_wait_dscnt 0x0
	v_pk_mul_f32 v[90:91], v[86:87], v[84:85] op_sel:[0,1]
	s_delay_alu instid0(VALU_DEP_1) | instskip(SKIP_1) | instid1(VALU_DEP_1)
	v_pk_fma_f32 v[100:101], v[86:87], v[74:75], v[90:91] op_sel:[0,0,1] op_sel_hi:[1,1,0] neg_lo:[0,0,1] neg_hi:[0,0,1]
	v_pk_fma_f32 v[86:87], v[86:87], v[74:75], v[90:91] op_sel:[0,0,1] op_sel_hi:[1,0,0]
	v_mov_b32_e32 v101, v87
	v_pk_mul_f32 v[86:87], v[88:89], v[84:85] op_sel:[0,1]
	s_delay_alu instid0(VALU_DEP_1) | instskip(SKIP_1) | instid1(VALU_DEP_1)
	v_pk_fma_f32 v[90:91], v[88:89], v[74:75], v[86:87] op_sel:[0,0,1] op_sel_hi:[1,1,0] neg_lo:[0,0,1] neg_hi:[0,0,1]
	v_pk_fma_f32 v[86:87], v[88:89], v[74:75], v[86:87] op_sel:[0,0,1] op_sel_hi:[1,0,0]
	v_mov_b32_e32 v91, v87
	ds_load_2addr_b64 v[86:89], v216 offset0:44 offset1:45
	v_pk_add_f32 v[176:177], v[176:177], v[100:101] neg_lo:[0,1] neg_hi:[0,1]
	v_pk_add_f32 v[172:173], v[172:173], v[90:91] neg_lo:[0,1] neg_hi:[0,1]
	s_wait_dscnt 0x0
	v_dual_mul_f32 v90, v87, v85 :: v_dual_mul_f32 v100, v87, v74
	s_delay_alu instid0(VALU_DEP_1) | instskip(NEXT) | instid1(VALU_DEP_2)
	v_pk_fma_f32 v[90:91], v[86:87], v[110:111], v[90:91] op_sel_hi:[1,1,0] neg_lo:[0,0,1] neg_hi:[0,0,1]
	v_pk_fma_f32 v[86:87], v[86:87], v[110:111], v[100:101] op_sel:[1,0,0] op_sel_hi:[0,1,0]
	s_delay_alu instid0(VALU_DEP_1) | instskip(SKIP_1) | instid1(VALU_DEP_2)
	v_mov_b32_e32 v91, v87
	v_pk_mul_f32 v[86:87], v[88:89], v[84:85] op_sel:[0,1]
	v_pk_add_f32 v[194:195], v[194:195], v[90:91] neg_lo:[0,1] neg_hi:[0,1]
	s_delay_alu instid0(VALU_DEP_2) | instskip(SKIP_1) | instid1(VALU_DEP_1)
	v_pk_fma_f32 v[90:91], v[88:89], v[74:75], v[86:87] op_sel:[0,0,1] op_sel_hi:[1,1,0] neg_lo:[0,0,1] neg_hi:[0,0,1]
	v_pk_fma_f32 v[86:87], v[88:89], v[74:75], v[86:87] op_sel:[0,0,1] op_sel_hi:[1,0,0]
	v_mov_b32_e32 v91, v87
	ds_load_2addr_b64 v[86:89], v216 offset0:46 offset1:47
	v_pk_add_f32 v[190:191], v[190:191], v[90:91] neg_lo:[0,1] neg_hi:[0,1]
	s_wait_dscnt 0x0
	v_pk_mul_f32 v[90:91], v[86:87], v[84:85] op_sel:[0,1]
	s_delay_alu instid0(VALU_DEP_1) | instskip(SKIP_1) | instid1(VALU_DEP_1)
	v_pk_fma_f32 v[100:101], v[86:87], v[74:75], v[90:91] op_sel:[0,0,1] op_sel_hi:[1,1,0] neg_lo:[0,0,1] neg_hi:[0,0,1]
	v_pk_fma_f32 v[86:87], v[86:87], v[74:75], v[90:91] op_sel:[0,0,1] op_sel_hi:[1,0,0]
	v_mov_b32_e32 v101, v87
	v_pk_mul_f32 v[86:87], v[88:89], v[84:85] op_sel:[0,1]
	s_delay_alu instid0(VALU_DEP_2) | instskip(NEXT) | instid1(VALU_DEP_2)
	v_pk_add_f32 v[192:193], v[192:193], v[100:101] neg_lo:[0,1] neg_hi:[0,1]
	v_pk_fma_f32 v[90:91], v[88:89], v[74:75], v[86:87] op_sel:[0,0,1] op_sel_hi:[1,1,0] neg_lo:[0,0,1] neg_hi:[0,0,1]
	v_pk_fma_f32 v[86:87], v[88:89], v[74:75], v[86:87] op_sel:[0,0,1] op_sel_hi:[1,0,0]
	s_delay_alu instid0(VALU_DEP_1) | instskip(SKIP_4) | instid1(VALU_DEP_1)
	v_mov_b32_e32 v91, v87
	ds_load_2addr_b64 v[86:89], v216 offset0:48 offset1:49
	v_pk_add_f32 v[188:189], v[188:189], v[90:91] neg_lo:[0,1] neg_hi:[0,1]
	s_wait_dscnt 0x0
	v_pk_mul_f32 v[90:91], v[86:87], v[84:85] op_sel:[0,1]
	v_pk_fma_f32 v[100:101], v[86:87], v[74:75], v[90:91] op_sel:[0,0,1] op_sel_hi:[1,1,0] neg_lo:[0,0,1] neg_hi:[0,0,1]
	v_pk_fma_f32 v[86:87], v[86:87], v[74:75], v[90:91] op_sel:[0,0,1] op_sel_hi:[1,0,0]
	v_dual_mul_f32 v90, v89, v85 :: v_dual_mov_b32 v86, v89
	s_delay_alu instid0(VALU_DEP_2) | instskip(NEXT) | instid1(VALU_DEP_2)
	v_dual_mov_b32 v101, v87 :: v_dual_mov_b32 v87, v88
	v_pk_fma_f32 v[90:91], v[88:89], v[110:111], v[90:91] op_sel_hi:[1,1,0] neg_lo:[0,0,1] neg_hi:[0,0,1]
	v_mul_f32_e32 v88, v89, v74
	s_delay_alu instid0(VALU_DEP_3) | instskip(NEXT) | instid1(VALU_DEP_2)
	v_pk_add_f32 v[214:215], v[214:215], v[100:101] neg_lo:[0,1] neg_hi:[0,1]
	v_pk_fma_f32 v[86:87], v[86:87], v[110:111], v[88:89] op_sel_hi:[1,1,0]
	s_delay_alu instid0(VALU_DEP_1) | instskip(SKIP_4) | instid1(VALU_DEP_1)
	v_mov_b32_e32 v91, v87
	ds_load_2addr_b64 v[86:89], v216 offset0:50 offset1:51
	v_pk_add_f32 v[210:211], v[210:211], v[90:91] neg_lo:[0,1] neg_hi:[0,1]
	s_wait_dscnt 0x0
	v_pk_mul_f32 v[90:91], v[86:87], v[84:85] op_sel:[0,1]
	v_pk_fma_f32 v[100:101], v[86:87], v[74:75], v[90:91] op_sel:[0,0,1] op_sel_hi:[1,1,0] neg_lo:[0,0,1] neg_hi:[0,0,1]
	v_pk_fma_f32 v[86:87], v[86:87], v[74:75], v[90:91] op_sel:[0,0,1] op_sel_hi:[1,0,0]
	s_delay_alu instid0(VALU_DEP_1) | instskip(SKIP_1) | instid1(VALU_DEP_1)
	v_mov_b32_e32 v101, v87
	v_pk_mul_f32 v[86:87], v[88:89], v[84:85] op_sel:[0,1]
	v_pk_fma_f32 v[90:91], v[88:89], v[74:75], v[86:87] op_sel:[0,0,1] op_sel_hi:[1,1,0] neg_lo:[0,0,1] neg_hi:[0,0,1]
	v_pk_fma_f32 v[86:87], v[88:89], v[74:75], v[86:87] op_sel:[0,0,1] op_sel_hi:[1,0,0]
	s_delay_alu instid0(VALU_DEP_1)
	v_mov_b32_e32 v91, v87
	ds_load_2addr_b64 v[86:89], v216 offset0:52 offset1:53
	v_pk_add_f32 v[212:213], v[212:213], v[100:101] neg_lo:[0,1] neg_hi:[0,1]
	v_pk_add_f32 v[208:209], v[208:209], v[90:91] neg_lo:[0,1] neg_hi:[0,1]
	s_wait_dscnt 0x0
	v_pk_mul_f32 v[90:91], v[86:87], v[84:85] op_sel:[0,1]
	s_delay_alu instid0(VALU_DEP_1) | instskip(SKIP_1) | instid1(VALU_DEP_1)
	v_pk_fma_f32 v[100:101], v[86:87], v[74:75], v[90:91] op_sel:[0,0,1] op_sel_hi:[1,1,0] neg_lo:[0,0,1] neg_hi:[0,0,1]
	v_pk_fma_f32 v[86:87], v[86:87], v[74:75], v[90:91] op_sel:[0,0,1] op_sel_hi:[1,0,0]
	v_mov_b32_e32 v101, v87
	v_pk_mul_f32 v[86:87], v[88:89], v[84:85] op_sel:[0,1]
	s_delay_alu instid0(VALU_DEP_1) | instskip(SKIP_1) | instid1(VALU_DEP_1)
	v_pk_fma_f32 v[90:91], v[88:89], v[74:75], v[86:87] op_sel:[0,0,1] op_sel_hi:[1,1,0] neg_lo:[0,0,1] neg_hi:[0,0,1]
	v_pk_fma_f32 v[86:87], v[88:89], v[74:75], v[86:87] op_sel:[0,0,1] op_sel_hi:[1,0,0]
	v_mov_b32_e32 v91, v87
	ds_load_2addr_b64 v[86:89], v216 offset0:54 offset1:55
	v_pk_add_f32 v[236:237], v[236:237], v[100:101] neg_lo:[0,1] neg_hi:[0,1]
	v_pk_add_f32 v[230:231], v[230:231], v[90:91] neg_lo:[0,1] neg_hi:[0,1]
	s_wait_dscnt 0x0
	v_dual_mul_f32 v90, v87, v85 :: v_dual_mul_f32 v100, v87, v74
	s_delay_alu instid0(VALU_DEP_1) | instskip(NEXT) | instid1(VALU_DEP_2)
	v_pk_fma_f32 v[90:91], v[86:87], v[110:111], v[90:91] op_sel_hi:[1,1,0] neg_lo:[0,0,1] neg_hi:[0,0,1]
	v_pk_fma_f32 v[86:87], v[86:87], v[110:111], v[100:101] op_sel:[1,0,0] op_sel_hi:[0,1,0]
	s_delay_alu instid0(VALU_DEP_1) | instskip(SKIP_1) | instid1(VALU_DEP_2)
	v_mov_b32_e32 v91, v87
	v_pk_mul_f32 v[86:87], v[88:89], v[84:85] op_sel:[0,1]
	v_pk_add_f32 v[234:235], v[234:235], v[90:91] neg_lo:[0,1] neg_hi:[0,1]
	s_delay_alu instid0(VALU_DEP_2) | instskip(SKIP_1) | instid1(VALU_DEP_1)
	v_pk_fma_f32 v[90:91], v[88:89], v[74:75], v[86:87] op_sel:[0,0,1] op_sel_hi:[1,1,0] neg_lo:[0,0,1] neg_hi:[0,0,1]
	v_pk_fma_f32 v[86:87], v[88:89], v[74:75], v[86:87] op_sel:[0,0,1] op_sel_hi:[1,0,0]
	v_mov_b32_e32 v91, v87
	ds_load_2addr_b64 v[86:89], v216 offset0:56 offset1:57
	v_pk_add_f32 v[228:229], v[228:229], v[90:91] neg_lo:[0,1] neg_hi:[0,1]
	s_wait_dscnt 0x0
	v_pk_mul_f32 v[90:91], v[86:87], v[84:85] op_sel:[0,1]
	s_delay_alu instid0(VALU_DEP_1) | instskip(SKIP_1) | instid1(VALU_DEP_1)
	v_pk_fma_f32 v[100:101], v[86:87], v[74:75], v[90:91] op_sel:[0,0,1] op_sel_hi:[1,1,0] neg_lo:[0,0,1] neg_hi:[0,0,1]
	v_pk_fma_f32 v[86:87], v[86:87], v[74:75], v[90:91] op_sel:[0,0,1] op_sel_hi:[1,0,0]
	v_mov_b32_e32 v101, v87
	v_pk_mul_f32 v[86:87], v[88:89], v[84:85] op_sel:[0,1]
	s_delay_alu instid0(VALU_DEP_2) | instskip(NEXT) | instid1(VALU_DEP_2)
	v_pk_add_f32 v[232:233], v[232:233], v[100:101] neg_lo:[0,1] neg_hi:[0,1]
	v_pk_fma_f32 v[90:91], v[88:89], v[74:75], v[86:87] op_sel:[0,0,1] op_sel_hi:[1,1,0] neg_lo:[0,0,1] neg_hi:[0,0,1]
	v_pk_fma_f32 v[86:87], v[88:89], v[74:75], v[86:87] op_sel:[0,0,1] op_sel_hi:[1,0,0]
	s_delay_alu instid0(VALU_DEP_1)
	v_mov_b32_e32 v91, v87
	ds_load_2addr_b64 v[86:89], v216 offset0:58 offset1:59
	v_pk_add_f32 v[226:227], v[226:227], v[90:91] neg_lo:[0,1] neg_hi:[0,1]
	s_wait_dscnt 0x0
	v_pk_mul_f32 v[90:91], v[86:87], v[84:85] op_sel:[0,1]
	v_pk_mul_f32 v[84:85], v[88:89], v[84:85] op_sel:[0,1]
	s_delay_alu instid0(VALU_DEP_2) | instskip(SKIP_1) | instid1(VALU_DEP_1)
	v_pk_fma_f32 v[100:101], v[86:87], v[74:75], v[90:91] op_sel:[0,0,1] op_sel_hi:[1,1,0] neg_lo:[0,0,1] neg_hi:[0,0,1]
	v_pk_fma_f32 v[86:87], v[86:87], v[74:75], v[90:91] op_sel:[0,0,1] op_sel_hi:[1,0,0]
	v_mov_b32_e32 v101, v87
	s_delay_alu instid0(VALU_DEP_4) | instskip(SKIP_1) | instid1(VALU_DEP_3)
	v_pk_fma_f32 v[86:87], v[88:89], v[74:75], v[84:85] op_sel:[0,0,1] op_sel_hi:[1,1,0] neg_lo:[0,0,1] neg_hi:[0,0,1]
	v_pk_fma_f32 v[74:75], v[88:89], v[74:75], v[84:85] op_sel:[0,0,1] op_sel_hi:[1,0,0]
	v_pk_add_f32 v[238:239], v[238:239], v[100:101] neg_lo:[0,1] neg_hi:[0,1]
	s_delay_alu instid0(VALU_DEP_2) | instskip(NEXT) | instid1(VALU_DEP_1)
	v_mov_b32_e32 v87, v75
	v_pk_add_f32 v[240:241], v[240:241], v[86:87] neg_lo:[0,1] neg_hi:[0,1]
.LBB119_235:
	s_or_b32 exec_lo, exec_lo, s1
	s_delay_alu instid0(SALU_CYCLE_1)
	s_mov_b32 s2, exec_lo
	s_wait_dscnt 0x0
	s_barrier_signal -1
	s_barrier_wait -1
	v_cmpx_eq_u32_e32 26, v206
	s_cbranch_execz .LBB119_242
; %bb.236:
	ds_store_b64 v207, v[112:113]
	ds_store_2addr_b64 v216, v[108:109], v[130:131] offset0:27 offset1:28
	ds_store_2addr_b64 v216, v[126:127], v[128:129] offset0:29 offset1:30
	;; [unrolled: 1-line block ×16, first 2 shown]
	ds_store_b64 v216, v[240:241] offset:472
	ds_load_b64 v[74:75], v207
	s_wait_dscnt 0x0
	v_cmp_neq_f32_e32 vcc_lo, 0, v74
	v_cmp_neq_f32_e64 s1, 0, v75
	s_or_b32 s1, vcc_lo, s1
	s_delay_alu instid0(SALU_CYCLE_1)
	s_and_b32 exec_lo, exec_lo, s1
	s_cbranch_execz .LBB119_242
; %bb.237:
	v_cmp_ngt_f32_e64 s1, |v74|, |v75|
                                        ; implicit-def: $vgpr84_vgpr85
	s_and_saveexec_b32 s4, s1
	s_delay_alu instid0(SALU_CYCLE_1)
	s_xor_b32 s1, exec_lo, s4
	s_cbranch_execz .LBB119_239
; %bb.238:
	v_div_scale_f32 v84, null, v75, v75, v74
	v_div_scale_f32 v87, vcc_lo, v74, v75, v74
	s_delay_alu instid0(VALU_DEP_2) | instskip(SKIP_1) | instid1(TRANS32_DEP_1)
	v_rcp_f32_e32 v85, v84
	v_nop
	v_fma_f32 v86, -v84, v85, 1.0
	s_delay_alu instid0(VALU_DEP_1) | instskip(NEXT) | instid1(VALU_DEP_1)
	v_fmac_f32_e32 v85, v86, v85
	v_mul_f32_e32 v86, v87, v85
	s_delay_alu instid0(VALU_DEP_1) | instskip(NEXT) | instid1(VALU_DEP_1)
	v_fma_f32 v88, -v84, v86, v87
	v_fmac_f32_e32 v86, v88, v85
	s_delay_alu instid0(VALU_DEP_1) | instskip(NEXT) | instid1(VALU_DEP_1)
	v_fma_f32 v84, -v84, v86, v87
	v_div_fmas_f32 v84, v84, v85, v86
	s_delay_alu instid0(VALU_DEP_1) | instskip(NEXT) | instid1(VALU_DEP_1)
	v_div_fixup_f32 v84, v84, v75, v74
	v_fmac_f32_e32 v75, v74, v84
	s_delay_alu instid0(VALU_DEP_1) | instskip(SKIP_1) | instid1(VALU_DEP_2)
	v_div_scale_f32 v74, null, v75, v75, 1.0
	v_div_scale_f32 v87, vcc_lo, 1.0, v75, 1.0
	v_rcp_f32_e32 v85, v74
	v_nop
	s_delay_alu instid0(TRANS32_DEP_1) | instskip(NEXT) | instid1(VALU_DEP_1)
	v_fma_f32 v86, -v74, v85, 1.0
	v_fmac_f32_e32 v85, v86, v85
	s_delay_alu instid0(VALU_DEP_1) | instskip(NEXT) | instid1(VALU_DEP_1)
	v_mul_f32_e32 v86, v87, v85
	v_fma_f32 v88, -v74, v86, v87
	s_delay_alu instid0(VALU_DEP_1) | instskip(NEXT) | instid1(VALU_DEP_1)
	v_fmac_f32_e32 v86, v88, v85
	v_fma_f32 v74, -v74, v86, v87
	s_delay_alu instid0(VALU_DEP_1) | instskip(NEXT) | instid1(VALU_DEP_1)
	v_div_fmas_f32 v74, v74, v85, v86
	v_div_fixup_f32 v74, v74, v75, 1.0
	s_delay_alu instid0(VALU_DEP_1)
	v_mul_f32_e32 v84, v84, v74
	v_xor_b32_e32 v85, 0x80000000, v74
                                        ; implicit-def: $vgpr74_vgpr75
.LBB119_239:
	s_and_not1_saveexec_b32 s1, s1
	s_cbranch_execz .LBB119_241
; %bb.240:
	v_div_scale_f32 v84, null, v74, v74, v75
	v_div_scale_f32 v87, vcc_lo, v75, v74, v75
	s_delay_alu instid0(VALU_DEP_2) | instskip(SKIP_1) | instid1(TRANS32_DEP_1)
	v_rcp_f32_e32 v85, v84
	v_nop
	v_fma_f32 v86, -v84, v85, 1.0
	s_delay_alu instid0(VALU_DEP_1) | instskip(NEXT) | instid1(VALU_DEP_1)
	v_fmac_f32_e32 v85, v86, v85
	v_mul_f32_e32 v86, v87, v85
	s_delay_alu instid0(VALU_DEP_1) | instskip(NEXT) | instid1(VALU_DEP_1)
	v_fma_f32 v88, -v84, v86, v87
	v_fmac_f32_e32 v86, v88, v85
	s_delay_alu instid0(VALU_DEP_1) | instskip(NEXT) | instid1(VALU_DEP_1)
	v_fma_f32 v84, -v84, v86, v87
	v_div_fmas_f32 v84, v84, v85, v86
	s_delay_alu instid0(VALU_DEP_1) | instskip(NEXT) | instid1(VALU_DEP_1)
	v_div_fixup_f32 v85, v84, v74, v75
	v_fmac_f32_e32 v74, v75, v85
	s_delay_alu instid0(VALU_DEP_1) | instskip(NEXT) | instid1(VALU_DEP_1)
	v_div_scale_f32 v75, null, v74, v74, 1.0
	v_rcp_f32_e32 v84, v75
	v_nop
	s_delay_alu instid0(TRANS32_DEP_1) | instskip(NEXT) | instid1(VALU_DEP_1)
	v_fma_f32 v86, -v75, v84, 1.0
	v_fmac_f32_e32 v84, v86, v84
	v_div_scale_f32 v86, vcc_lo, 1.0, v74, 1.0
	s_delay_alu instid0(VALU_DEP_1) | instskip(NEXT) | instid1(VALU_DEP_1)
	v_mul_f32_e32 v87, v86, v84
	v_fma_f32 v88, -v75, v87, v86
	s_delay_alu instid0(VALU_DEP_1) | instskip(NEXT) | instid1(VALU_DEP_1)
	v_fmac_f32_e32 v87, v88, v84
	v_fma_f32 v75, -v75, v87, v86
	s_delay_alu instid0(VALU_DEP_1) | instskip(NEXT) | instid1(VALU_DEP_1)
	v_div_fmas_f32 v75, v75, v84, v87
	v_div_fixup_f32 v84, v75, v74, 1.0
	s_delay_alu instid0(VALU_DEP_1)
	v_mul_f32_e64 v85, v85, -v84
.LBB119_241:
	s_or_b32 exec_lo, exec_lo, s1
	ds_store_b64 v207, v[84:85]
.LBB119_242:
	s_or_b32 exec_lo, exec_lo, s2
	s_wait_dscnt 0x0
	s_barrier_signal -1
	s_barrier_wait -1
	ds_load_b64 v[74:75], v207
	s_mov_b32 s1, exec_lo
	v_cmpx_lt_u32_e32 26, v206
	s_cbranch_execz .LBB119_244
; %bb.243:
	ds_load_2addr_b64 v[88:91], v216 offset0:27 offset1:28
	s_wait_dscnt 0x1
	v_pk_mul_f32 v[86:87], v[74:75], v[112:113] op_sel:[1,1] op_sel_hi:[0,1]
	s_delay_alu instid0(VALU_DEP_1) | instskip(SKIP_1) | instid1(VALU_DEP_1)
	v_pk_fma_f32 v[84:85], v[74:75], v[112:113], v[86:87] op_sel_hi:[1,0,1] neg_lo:[0,0,1] neg_hi:[0,0,1]
	v_pk_fma_f32 v[86:87], v[74:75], v[112:113], v[86:87] op_sel_hi:[1,0,1]
	v_dual_mov_b32 v112, v84 :: v_dual_mov_b32 v113, v87
	s_wait_dscnt 0x0
	s_delay_alu instid0(VALU_DEP_2) | instskip(NEXT) | instid1(VALU_DEP_1)
	v_pk_mul_f32 v[100:101], v[88:89], v[86:87] op_sel:[0,1]
	v_pk_fma_f32 v[102:103], v[88:89], v[84:85], v[100:101] op_sel:[0,0,1] op_sel_hi:[1,1,0] neg_lo:[0,0,1] neg_hi:[0,0,1]
	v_pk_fma_f32 v[88:89], v[88:89], v[84:85], v[100:101] op_sel:[0,0,1] op_sel_hi:[1,0,0]
	s_delay_alu instid0(VALU_DEP_1) | instskip(SKIP_1) | instid1(VALU_DEP_1)
	v_mov_b32_e32 v103, v89
	v_pk_mul_f32 v[88:89], v[90:91], v[86:87] op_sel:[0,1]
	v_pk_fma_f32 v[100:101], v[90:91], v[84:85], v[88:89] op_sel:[0,0,1] op_sel_hi:[1,1,0] neg_lo:[0,0,1] neg_hi:[0,0,1]
	v_pk_fma_f32 v[88:89], v[90:91], v[84:85], v[88:89] op_sel:[0,0,1] op_sel_hi:[1,0,0]
	s_delay_alu instid0(VALU_DEP_1)
	v_mov_b32_e32 v101, v89
	ds_load_2addr_b64 v[88:91], v216 offset0:29 offset1:30
	v_pk_add_f32 v[108:109], v[108:109], v[102:103] neg_lo:[0,1] neg_hi:[0,1]
	v_pk_add_f32 v[130:131], v[130:131], v[100:101] neg_lo:[0,1] neg_hi:[0,1]
	s_wait_dscnt 0x0
	v_pk_mul_f32 v[100:101], v[88:89], v[86:87] op_sel:[0,1]
	s_delay_alu instid0(VALU_DEP_1) | instskip(SKIP_2) | instid1(VALU_DEP_2)
	v_pk_fma_f32 v[102:103], v[88:89], v[84:85], v[100:101] op_sel:[0,0,1] op_sel_hi:[1,1,0] neg_lo:[0,0,1] neg_hi:[0,0,1]
	v_pk_fma_f32 v[88:89], v[88:89], v[84:85], v[100:101] op_sel:[0,0,1] op_sel_hi:[1,0,0]
	v_dual_mul_f32 v100, v91, v87 :: v_dual_mov_b32 v88, v91
	v_dual_mov_b32 v103, v89 :: v_dual_mov_b32 v89, v90
	s_delay_alu instid0(VALU_DEP_2) | instskip(SKIP_1) | instid1(VALU_DEP_3)
	v_pk_fma_f32 v[100:101], v[90:91], v[112:113], v[100:101] op_sel_hi:[1,1,0] neg_lo:[0,0,1] neg_hi:[0,0,1]
	v_mul_f32_e32 v90, v91, v84
	v_pk_add_f32 v[126:127], v[126:127], v[102:103] neg_lo:[0,1] neg_hi:[0,1]
	s_delay_alu instid0(VALU_DEP_2) | instskip(NEXT) | instid1(VALU_DEP_1)
	v_pk_fma_f32 v[88:89], v[88:89], v[112:113], v[90:91] op_sel_hi:[1,1,0]
	v_mov_b32_e32 v101, v89
	ds_load_2addr_b64 v[88:91], v216 offset0:31 offset1:32
	v_pk_add_f32 v[128:129], v[128:129], v[100:101] neg_lo:[0,1] neg_hi:[0,1]
	s_wait_dscnt 0x0
	v_pk_mul_f32 v[100:101], v[88:89], v[86:87] op_sel:[0,1]
	s_delay_alu instid0(VALU_DEP_1) | instskip(SKIP_1) | instid1(VALU_DEP_1)
	v_pk_fma_f32 v[102:103], v[88:89], v[84:85], v[100:101] op_sel:[0,0,1] op_sel_hi:[1,1,0] neg_lo:[0,0,1] neg_hi:[0,0,1]
	v_pk_fma_f32 v[88:89], v[88:89], v[84:85], v[100:101] op_sel:[0,0,1] op_sel_hi:[1,0,0]
	v_mov_b32_e32 v103, v89
	v_pk_mul_f32 v[88:89], v[90:91], v[86:87] op_sel:[0,1]
	s_delay_alu instid0(VALU_DEP_1) | instskip(SKIP_1) | instid1(VALU_DEP_1)
	v_pk_fma_f32 v[100:101], v[90:91], v[84:85], v[88:89] op_sel:[0,0,1] op_sel_hi:[1,1,0] neg_lo:[0,0,1] neg_hi:[0,0,1]
	v_pk_fma_f32 v[88:89], v[90:91], v[84:85], v[88:89] op_sel:[0,0,1] op_sel_hi:[1,0,0]
	v_mov_b32_e32 v101, v89
	ds_load_2addr_b64 v[88:91], v216 offset0:33 offset1:34
	v_pk_add_f32 v[124:125], v[124:125], v[102:103] neg_lo:[0,1] neg_hi:[0,1]
	v_pk_add_f32 v[146:147], v[146:147], v[100:101] neg_lo:[0,1] neg_hi:[0,1]
	s_wait_dscnt 0x0
	v_pk_mul_f32 v[100:101], v[88:89], v[86:87] op_sel:[0,1]
	s_delay_alu instid0(VALU_DEP_1) | instskip(SKIP_1) | instid1(VALU_DEP_1)
	v_pk_fma_f32 v[102:103], v[88:89], v[84:85], v[100:101] op_sel:[0,0,1] op_sel_hi:[1,1,0] neg_lo:[0,0,1] neg_hi:[0,0,1]
	v_pk_fma_f32 v[88:89], v[88:89], v[84:85], v[100:101] op_sel:[0,0,1] op_sel_hi:[1,0,0]
	v_mov_b32_e32 v103, v89
	v_pk_mul_f32 v[88:89], v[90:91], v[86:87] op_sel:[0,1]
	s_delay_alu instid0(VALU_DEP_1) | instskip(SKIP_1) | instid1(VALU_DEP_1)
	v_pk_fma_f32 v[100:101], v[90:91], v[84:85], v[88:89] op_sel:[0,0,1] op_sel_hi:[1,1,0] neg_lo:[0,0,1] neg_hi:[0,0,1]
	v_pk_fma_f32 v[88:89], v[90:91], v[84:85], v[88:89] op_sel:[0,0,1] op_sel_hi:[1,0,0]
	v_mov_b32_e32 v101, v89
	ds_load_2addr_b64 v[88:91], v216 offset0:35 offset1:36
	v_pk_add_f32 v[142:143], v[142:143], v[102:103] neg_lo:[0,1] neg_hi:[0,1]
	v_pk_add_f32 v[144:145], v[144:145], v[100:101] neg_lo:[0,1] neg_hi:[0,1]
	s_wait_dscnt 0x0
	v_dual_mul_f32 v100, v89, v87 :: v_dual_mul_f32 v102, v89, v84
	s_delay_alu instid0(VALU_DEP_1) | instskip(NEXT) | instid1(VALU_DEP_2)
	v_pk_fma_f32 v[100:101], v[88:89], v[112:113], v[100:101] op_sel_hi:[1,1,0] neg_lo:[0,0,1] neg_hi:[0,0,1]
	v_pk_fma_f32 v[88:89], v[88:89], v[112:113], v[102:103] op_sel:[1,0,0] op_sel_hi:[0,1,0]
	s_delay_alu instid0(VALU_DEP_1) | instskip(SKIP_1) | instid1(VALU_DEP_2)
	v_mov_b32_e32 v101, v89
	v_pk_mul_f32 v[88:89], v[90:91], v[86:87] op_sel:[0,1]
	v_pk_add_f32 v[140:141], v[140:141], v[100:101] neg_lo:[0,1] neg_hi:[0,1]
	s_delay_alu instid0(VALU_DEP_2) | instskip(SKIP_1) | instid1(VALU_DEP_1)
	v_pk_fma_f32 v[100:101], v[90:91], v[84:85], v[88:89] op_sel:[0,0,1] op_sel_hi:[1,1,0] neg_lo:[0,0,1] neg_hi:[0,0,1]
	v_pk_fma_f32 v[88:89], v[90:91], v[84:85], v[88:89] op_sel:[0,0,1] op_sel_hi:[1,0,0]
	v_mov_b32_e32 v101, v89
	ds_load_2addr_b64 v[88:91], v216 offset0:37 offset1:38
	v_pk_add_f32 v[162:163], v[162:163], v[100:101] neg_lo:[0,1] neg_hi:[0,1]
	s_wait_dscnt 0x0
	v_pk_mul_f32 v[100:101], v[88:89], v[86:87] op_sel:[0,1]
	s_delay_alu instid0(VALU_DEP_1) | instskip(SKIP_1) | instid1(VALU_DEP_1)
	v_pk_fma_f32 v[102:103], v[88:89], v[84:85], v[100:101] op_sel:[0,0,1] op_sel_hi:[1,1,0] neg_lo:[0,0,1] neg_hi:[0,0,1]
	v_pk_fma_f32 v[88:89], v[88:89], v[84:85], v[100:101] op_sel:[0,0,1] op_sel_hi:[1,0,0]
	v_mov_b32_e32 v103, v89
	v_pk_mul_f32 v[88:89], v[90:91], v[86:87] op_sel:[0,1]
	s_delay_alu instid0(VALU_DEP_2) | instskip(NEXT) | instid1(VALU_DEP_2)
	v_pk_add_f32 v[158:159], v[158:159], v[102:103] neg_lo:[0,1] neg_hi:[0,1]
	v_pk_fma_f32 v[100:101], v[90:91], v[84:85], v[88:89] op_sel:[0,0,1] op_sel_hi:[1,1,0] neg_lo:[0,0,1] neg_hi:[0,0,1]
	v_pk_fma_f32 v[88:89], v[90:91], v[84:85], v[88:89] op_sel:[0,0,1] op_sel_hi:[1,0,0]
	s_delay_alu instid0(VALU_DEP_1) | instskip(SKIP_4) | instid1(VALU_DEP_1)
	v_mov_b32_e32 v101, v89
	ds_load_2addr_b64 v[88:91], v216 offset0:39 offset1:40
	v_pk_add_f32 v[160:161], v[160:161], v[100:101] neg_lo:[0,1] neg_hi:[0,1]
	s_wait_dscnt 0x0
	v_pk_mul_f32 v[100:101], v[88:89], v[86:87] op_sel:[0,1]
	v_pk_fma_f32 v[102:103], v[88:89], v[84:85], v[100:101] op_sel:[0,0,1] op_sel_hi:[1,1,0] neg_lo:[0,0,1] neg_hi:[0,0,1]
	v_pk_fma_f32 v[88:89], v[88:89], v[84:85], v[100:101] op_sel:[0,0,1] op_sel_hi:[1,0,0]
	v_dual_mul_f32 v100, v91, v87 :: v_dual_mov_b32 v88, v91
	s_delay_alu instid0(VALU_DEP_2) | instskip(NEXT) | instid1(VALU_DEP_2)
	v_dual_mov_b32 v103, v89 :: v_dual_mov_b32 v89, v90
	v_pk_fma_f32 v[100:101], v[90:91], v[112:113], v[100:101] op_sel_hi:[1,1,0] neg_lo:[0,0,1] neg_hi:[0,0,1]
	v_mul_f32_e32 v90, v91, v84
	s_delay_alu instid0(VALU_DEP_3) | instskip(NEXT) | instid1(VALU_DEP_2)
	v_pk_add_f32 v[156:157], v[156:157], v[102:103] neg_lo:[0,1] neg_hi:[0,1]
	v_pk_fma_f32 v[88:89], v[88:89], v[112:113], v[90:91] op_sel_hi:[1,1,0]
	s_delay_alu instid0(VALU_DEP_1) | instskip(SKIP_4) | instid1(VALU_DEP_1)
	v_mov_b32_e32 v101, v89
	ds_load_2addr_b64 v[88:91], v216 offset0:41 offset1:42
	v_pk_add_f32 v[178:179], v[178:179], v[100:101] neg_lo:[0,1] neg_hi:[0,1]
	s_wait_dscnt 0x0
	v_pk_mul_f32 v[100:101], v[88:89], v[86:87] op_sel:[0,1]
	v_pk_fma_f32 v[102:103], v[88:89], v[84:85], v[100:101] op_sel:[0,0,1] op_sel_hi:[1,1,0] neg_lo:[0,0,1] neg_hi:[0,0,1]
	v_pk_fma_f32 v[88:89], v[88:89], v[84:85], v[100:101] op_sel:[0,0,1] op_sel_hi:[1,0,0]
	s_delay_alu instid0(VALU_DEP_1) | instskip(SKIP_1) | instid1(VALU_DEP_1)
	v_mov_b32_e32 v103, v89
	v_pk_mul_f32 v[88:89], v[90:91], v[86:87] op_sel:[0,1]
	v_pk_fma_f32 v[100:101], v[90:91], v[84:85], v[88:89] op_sel:[0,0,1] op_sel_hi:[1,1,0] neg_lo:[0,0,1] neg_hi:[0,0,1]
	v_pk_fma_f32 v[88:89], v[90:91], v[84:85], v[88:89] op_sel:[0,0,1] op_sel_hi:[1,0,0]
	s_delay_alu instid0(VALU_DEP_1)
	v_mov_b32_e32 v101, v89
	ds_load_2addr_b64 v[88:91], v216 offset0:43 offset1:44
	v_pk_add_f32 v[174:175], v[174:175], v[102:103] neg_lo:[0,1] neg_hi:[0,1]
	v_pk_add_f32 v[176:177], v[176:177], v[100:101] neg_lo:[0,1] neg_hi:[0,1]
	s_wait_dscnt 0x0
	v_pk_mul_f32 v[100:101], v[88:89], v[86:87] op_sel:[0,1]
	s_delay_alu instid0(VALU_DEP_1) | instskip(SKIP_1) | instid1(VALU_DEP_1)
	v_pk_fma_f32 v[102:103], v[88:89], v[84:85], v[100:101] op_sel:[0,0,1] op_sel_hi:[1,1,0] neg_lo:[0,0,1] neg_hi:[0,0,1]
	v_pk_fma_f32 v[88:89], v[88:89], v[84:85], v[100:101] op_sel:[0,0,1] op_sel_hi:[1,0,0]
	v_mov_b32_e32 v103, v89
	v_pk_mul_f32 v[88:89], v[90:91], v[86:87] op_sel:[0,1]
	s_delay_alu instid0(VALU_DEP_1) | instskip(SKIP_1) | instid1(VALU_DEP_1)
	v_pk_fma_f32 v[100:101], v[90:91], v[84:85], v[88:89] op_sel:[0,0,1] op_sel_hi:[1,1,0] neg_lo:[0,0,1] neg_hi:[0,0,1]
	v_pk_fma_f32 v[88:89], v[90:91], v[84:85], v[88:89] op_sel:[0,0,1] op_sel_hi:[1,0,0]
	v_mov_b32_e32 v101, v89
	ds_load_2addr_b64 v[88:91], v216 offset0:45 offset1:46
	v_pk_add_f32 v[172:173], v[172:173], v[102:103] neg_lo:[0,1] neg_hi:[0,1]
	v_pk_add_f32 v[194:195], v[194:195], v[100:101] neg_lo:[0,1] neg_hi:[0,1]
	s_wait_dscnt 0x0
	v_dual_mul_f32 v100, v89, v87 :: v_dual_mul_f32 v102, v89, v84
	s_delay_alu instid0(VALU_DEP_1) | instskip(NEXT) | instid1(VALU_DEP_2)
	v_pk_fma_f32 v[100:101], v[88:89], v[112:113], v[100:101] op_sel_hi:[1,1,0] neg_lo:[0,0,1] neg_hi:[0,0,1]
	v_pk_fma_f32 v[88:89], v[88:89], v[112:113], v[102:103] op_sel:[1,0,0] op_sel_hi:[0,1,0]
	s_delay_alu instid0(VALU_DEP_1) | instskip(SKIP_1) | instid1(VALU_DEP_2)
	v_mov_b32_e32 v101, v89
	v_pk_mul_f32 v[88:89], v[90:91], v[86:87] op_sel:[0,1]
	v_pk_add_f32 v[190:191], v[190:191], v[100:101] neg_lo:[0,1] neg_hi:[0,1]
	s_delay_alu instid0(VALU_DEP_2) | instskip(SKIP_1) | instid1(VALU_DEP_1)
	v_pk_fma_f32 v[100:101], v[90:91], v[84:85], v[88:89] op_sel:[0,0,1] op_sel_hi:[1,1,0] neg_lo:[0,0,1] neg_hi:[0,0,1]
	v_pk_fma_f32 v[88:89], v[90:91], v[84:85], v[88:89] op_sel:[0,0,1] op_sel_hi:[1,0,0]
	v_mov_b32_e32 v101, v89
	ds_load_2addr_b64 v[88:91], v216 offset0:47 offset1:48
	v_pk_add_f32 v[192:193], v[192:193], v[100:101] neg_lo:[0,1] neg_hi:[0,1]
	s_wait_dscnt 0x0
	v_pk_mul_f32 v[100:101], v[88:89], v[86:87] op_sel:[0,1]
	s_delay_alu instid0(VALU_DEP_1) | instskip(SKIP_1) | instid1(VALU_DEP_1)
	v_pk_fma_f32 v[102:103], v[88:89], v[84:85], v[100:101] op_sel:[0,0,1] op_sel_hi:[1,1,0] neg_lo:[0,0,1] neg_hi:[0,0,1]
	v_pk_fma_f32 v[88:89], v[88:89], v[84:85], v[100:101] op_sel:[0,0,1] op_sel_hi:[1,0,0]
	v_mov_b32_e32 v103, v89
	v_pk_mul_f32 v[88:89], v[90:91], v[86:87] op_sel:[0,1]
	s_delay_alu instid0(VALU_DEP_2) | instskip(NEXT) | instid1(VALU_DEP_2)
	v_pk_add_f32 v[188:189], v[188:189], v[102:103] neg_lo:[0,1] neg_hi:[0,1]
	v_pk_fma_f32 v[100:101], v[90:91], v[84:85], v[88:89] op_sel:[0,0,1] op_sel_hi:[1,1,0] neg_lo:[0,0,1] neg_hi:[0,0,1]
	v_pk_fma_f32 v[88:89], v[90:91], v[84:85], v[88:89] op_sel:[0,0,1] op_sel_hi:[1,0,0]
	s_delay_alu instid0(VALU_DEP_1) | instskip(SKIP_4) | instid1(VALU_DEP_1)
	v_mov_b32_e32 v101, v89
	ds_load_2addr_b64 v[88:91], v216 offset0:49 offset1:50
	v_pk_add_f32 v[214:215], v[214:215], v[100:101] neg_lo:[0,1] neg_hi:[0,1]
	s_wait_dscnt 0x0
	v_pk_mul_f32 v[100:101], v[88:89], v[86:87] op_sel:[0,1]
	v_pk_fma_f32 v[102:103], v[88:89], v[84:85], v[100:101] op_sel:[0,0,1] op_sel_hi:[1,1,0] neg_lo:[0,0,1] neg_hi:[0,0,1]
	v_pk_fma_f32 v[88:89], v[88:89], v[84:85], v[100:101] op_sel:[0,0,1] op_sel_hi:[1,0,0]
	v_dual_mul_f32 v100, v91, v87 :: v_dual_mov_b32 v88, v91
	s_delay_alu instid0(VALU_DEP_2) | instskip(NEXT) | instid1(VALU_DEP_2)
	v_dual_mov_b32 v103, v89 :: v_dual_mov_b32 v89, v90
	v_pk_fma_f32 v[100:101], v[90:91], v[112:113], v[100:101] op_sel_hi:[1,1,0] neg_lo:[0,0,1] neg_hi:[0,0,1]
	v_mul_f32_e32 v90, v91, v84
	s_delay_alu instid0(VALU_DEP_3) | instskip(NEXT) | instid1(VALU_DEP_2)
	v_pk_add_f32 v[210:211], v[210:211], v[102:103] neg_lo:[0,1] neg_hi:[0,1]
	v_pk_fma_f32 v[88:89], v[88:89], v[112:113], v[90:91] op_sel_hi:[1,1,0]
	s_delay_alu instid0(VALU_DEP_1) | instskip(SKIP_4) | instid1(VALU_DEP_1)
	v_mov_b32_e32 v101, v89
	ds_load_2addr_b64 v[88:91], v216 offset0:51 offset1:52
	v_pk_add_f32 v[212:213], v[212:213], v[100:101] neg_lo:[0,1] neg_hi:[0,1]
	s_wait_dscnt 0x0
	v_pk_mul_f32 v[100:101], v[88:89], v[86:87] op_sel:[0,1]
	v_pk_fma_f32 v[102:103], v[88:89], v[84:85], v[100:101] op_sel:[0,0,1] op_sel_hi:[1,1,0] neg_lo:[0,0,1] neg_hi:[0,0,1]
	v_pk_fma_f32 v[88:89], v[88:89], v[84:85], v[100:101] op_sel:[0,0,1] op_sel_hi:[1,0,0]
	s_delay_alu instid0(VALU_DEP_1) | instskip(SKIP_1) | instid1(VALU_DEP_1)
	v_mov_b32_e32 v103, v89
	v_pk_mul_f32 v[88:89], v[90:91], v[86:87] op_sel:[0,1]
	v_pk_fma_f32 v[100:101], v[90:91], v[84:85], v[88:89] op_sel:[0,0,1] op_sel_hi:[1,1,0] neg_lo:[0,0,1] neg_hi:[0,0,1]
	v_pk_fma_f32 v[88:89], v[90:91], v[84:85], v[88:89] op_sel:[0,0,1] op_sel_hi:[1,0,0]
	s_delay_alu instid0(VALU_DEP_1)
	v_mov_b32_e32 v101, v89
	ds_load_2addr_b64 v[88:91], v216 offset0:53 offset1:54
	v_pk_add_f32 v[208:209], v[208:209], v[102:103] neg_lo:[0,1] neg_hi:[0,1]
	v_pk_add_f32 v[236:237], v[236:237], v[100:101] neg_lo:[0,1] neg_hi:[0,1]
	s_wait_dscnt 0x0
	v_pk_mul_f32 v[100:101], v[88:89], v[86:87] op_sel:[0,1]
	s_delay_alu instid0(VALU_DEP_1) | instskip(SKIP_1) | instid1(VALU_DEP_1)
	v_pk_fma_f32 v[102:103], v[88:89], v[84:85], v[100:101] op_sel:[0,0,1] op_sel_hi:[1,1,0] neg_lo:[0,0,1] neg_hi:[0,0,1]
	v_pk_fma_f32 v[88:89], v[88:89], v[84:85], v[100:101] op_sel:[0,0,1] op_sel_hi:[1,0,0]
	v_mov_b32_e32 v103, v89
	v_pk_mul_f32 v[88:89], v[90:91], v[86:87] op_sel:[0,1]
	s_delay_alu instid0(VALU_DEP_1) | instskip(SKIP_1) | instid1(VALU_DEP_1)
	v_pk_fma_f32 v[100:101], v[90:91], v[84:85], v[88:89] op_sel:[0,0,1] op_sel_hi:[1,1,0] neg_lo:[0,0,1] neg_hi:[0,0,1]
	v_pk_fma_f32 v[88:89], v[90:91], v[84:85], v[88:89] op_sel:[0,0,1] op_sel_hi:[1,0,0]
	v_mov_b32_e32 v101, v89
	ds_load_2addr_b64 v[88:91], v216 offset0:55 offset1:56
	v_pk_add_f32 v[230:231], v[230:231], v[102:103] neg_lo:[0,1] neg_hi:[0,1]
	v_pk_add_f32 v[234:235], v[234:235], v[100:101] neg_lo:[0,1] neg_hi:[0,1]
	s_wait_dscnt 0x0
	v_dual_mul_f32 v100, v89, v87 :: v_dual_mul_f32 v102, v89, v84
	s_delay_alu instid0(VALU_DEP_1) | instskip(NEXT) | instid1(VALU_DEP_2)
	v_pk_fma_f32 v[100:101], v[88:89], v[112:113], v[100:101] op_sel_hi:[1,1,0] neg_lo:[0,0,1] neg_hi:[0,0,1]
	v_pk_fma_f32 v[88:89], v[88:89], v[112:113], v[102:103] op_sel:[1,0,0] op_sel_hi:[0,1,0]
	s_delay_alu instid0(VALU_DEP_1) | instskip(SKIP_1) | instid1(VALU_DEP_2)
	v_mov_b32_e32 v101, v89
	v_pk_mul_f32 v[88:89], v[90:91], v[86:87] op_sel:[0,1]
	v_pk_add_f32 v[228:229], v[228:229], v[100:101] neg_lo:[0,1] neg_hi:[0,1]
	s_delay_alu instid0(VALU_DEP_2) | instskip(SKIP_1) | instid1(VALU_DEP_1)
	v_pk_fma_f32 v[100:101], v[90:91], v[84:85], v[88:89] op_sel:[0,0,1] op_sel_hi:[1,1,0] neg_lo:[0,0,1] neg_hi:[0,0,1]
	v_pk_fma_f32 v[88:89], v[90:91], v[84:85], v[88:89] op_sel:[0,0,1] op_sel_hi:[1,0,0]
	v_mov_b32_e32 v101, v89
	ds_load_2addr_b64 v[88:91], v216 offset0:57 offset1:58
	v_pk_add_f32 v[232:233], v[232:233], v[100:101] neg_lo:[0,1] neg_hi:[0,1]
	s_wait_dscnt 0x0
	v_pk_mul_f32 v[100:101], v[88:89], v[86:87] op_sel:[0,1]
	s_delay_alu instid0(VALU_DEP_1) | instskip(SKIP_1) | instid1(VALU_DEP_1)
	v_pk_fma_f32 v[102:103], v[88:89], v[84:85], v[100:101] op_sel:[0,0,1] op_sel_hi:[1,1,0] neg_lo:[0,0,1] neg_hi:[0,0,1]
	v_pk_fma_f32 v[88:89], v[88:89], v[84:85], v[100:101] op_sel:[0,0,1] op_sel_hi:[1,0,0]
	v_mov_b32_e32 v103, v89
	v_pk_mul_f32 v[88:89], v[90:91], v[86:87] op_sel:[0,1]
	s_delay_alu instid0(VALU_DEP_2) | instskip(NEXT) | instid1(VALU_DEP_2)
	v_pk_add_f32 v[226:227], v[226:227], v[102:103] neg_lo:[0,1] neg_hi:[0,1]
	v_pk_fma_f32 v[100:101], v[90:91], v[84:85], v[88:89] op_sel:[0,0,1] op_sel_hi:[1,1,0] neg_lo:[0,0,1] neg_hi:[0,0,1]
	v_pk_fma_f32 v[88:89], v[90:91], v[84:85], v[88:89] op_sel:[0,0,1] op_sel_hi:[1,0,0]
	s_delay_alu instid0(VALU_DEP_1) | instskip(SKIP_4) | instid1(VALU_DEP_1)
	v_mov_b32_e32 v101, v89
	ds_load_b64 v[88:89], v216 offset:472
	v_pk_add_f32 v[238:239], v[238:239], v[100:101] neg_lo:[0,1] neg_hi:[0,1]
	s_wait_dscnt 0x0
	v_pk_mul_f32 v[86:87], v[88:89], v[86:87] op_sel:[0,1]
	v_pk_fma_f32 v[90:91], v[88:89], v[84:85], v[86:87] op_sel:[0,0,1] op_sel_hi:[1,1,0] neg_lo:[0,0,1] neg_hi:[0,0,1]
	v_pk_fma_f32 v[84:85], v[88:89], v[84:85], v[86:87] op_sel:[0,0,1] op_sel_hi:[1,0,0]
	s_delay_alu instid0(VALU_DEP_1) | instskip(NEXT) | instid1(VALU_DEP_1)
	v_mov_b32_e32 v91, v85
	v_pk_add_f32 v[240:241], v[240:241], v[90:91] neg_lo:[0,1] neg_hi:[0,1]
.LBB119_244:
	s_or_b32 exec_lo, exec_lo, s1
	s_delay_alu instid0(SALU_CYCLE_1)
	s_mov_b32 s2, exec_lo
	s_wait_dscnt 0x0
	s_barrier_signal -1
	s_barrier_wait -1
	v_cmpx_eq_u32_e32 27, v206
	s_cbranch_execz .LBB119_251
; %bb.245:
	v_dual_mov_b32 v84, v130 :: v_dual_mov_b32 v85, v131
	v_dual_mov_b32 v86, v126 :: v_dual_mov_b32 v87, v127
	ds_store_b64 v207, v[108:109]
	ds_store_2addr_b64 v216, v[84:85], v[86:87] offset0:28 offset1:29
	v_dual_mov_b32 v84, v128 :: v_dual_mov_b32 v85, v129
	v_dual_mov_b32 v86, v124 :: v_dual_mov_b32 v87, v125
	ds_store_2addr_b64 v216, v[84:85], v[86:87] offset0:30 offset1:31
	v_dual_mov_b32 v84, v146 :: v_dual_mov_b32 v85, v147
	v_dual_mov_b32 v86, v142 :: v_dual_mov_b32 v87, v143
	;; [unrolled: 3-line block ×14, first 2 shown]
	ds_store_2addr_b64 v216, v[84:85], v[86:87] offset0:56 offset1:57
	v_dual_mov_b32 v84, v238 :: v_dual_mov_b32 v85, v239
	ds_store_2addr_b64 v216, v[84:85], v[240:241] offset0:58 offset1:59
	ds_load_b64 v[84:85], v207
	s_wait_dscnt 0x0
	v_cmp_neq_f32_e32 vcc_lo, 0, v84
	v_cmp_neq_f32_e64 s1, 0, v85
	s_or_b32 s1, vcc_lo, s1
	s_delay_alu instid0(SALU_CYCLE_1)
	s_and_b32 exec_lo, exec_lo, s1
	s_cbranch_execz .LBB119_251
; %bb.246:
	v_cmp_ngt_f32_e64 s1, |v84|, |v85|
                                        ; implicit-def: $vgpr86_vgpr87
	s_and_saveexec_b32 s4, s1
	s_delay_alu instid0(SALU_CYCLE_1)
	s_xor_b32 s1, exec_lo, s4
	s_cbranch_execz .LBB119_248
; %bb.247:
	v_div_scale_f32 v86, null, v85, v85, v84
	v_div_scale_f32 v89, vcc_lo, v84, v85, v84
	s_delay_alu instid0(VALU_DEP_2) | instskip(SKIP_1) | instid1(TRANS32_DEP_1)
	v_rcp_f32_e32 v87, v86
	v_nop
	v_fma_f32 v88, -v86, v87, 1.0
	s_delay_alu instid0(VALU_DEP_1) | instskip(NEXT) | instid1(VALU_DEP_1)
	v_fmac_f32_e32 v87, v88, v87
	v_mul_f32_e32 v88, v89, v87
	s_delay_alu instid0(VALU_DEP_1) | instskip(NEXT) | instid1(VALU_DEP_1)
	v_fma_f32 v90, -v86, v88, v89
	v_fmac_f32_e32 v88, v90, v87
	s_delay_alu instid0(VALU_DEP_1) | instskip(NEXT) | instid1(VALU_DEP_1)
	v_fma_f32 v86, -v86, v88, v89
	v_div_fmas_f32 v86, v86, v87, v88
	s_delay_alu instid0(VALU_DEP_1) | instskip(NEXT) | instid1(VALU_DEP_1)
	v_div_fixup_f32 v86, v86, v85, v84
	v_fmac_f32_e32 v85, v84, v86
	s_delay_alu instid0(VALU_DEP_1) | instskip(SKIP_1) | instid1(VALU_DEP_2)
	v_div_scale_f32 v84, null, v85, v85, 1.0
	v_div_scale_f32 v89, vcc_lo, 1.0, v85, 1.0
	v_rcp_f32_e32 v87, v84
	v_nop
	s_delay_alu instid0(TRANS32_DEP_1) | instskip(NEXT) | instid1(VALU_DEP_1)
	v_fma_f32 v88, -v84, v87, 1.0
	v_fmac_f32_e32 v87, v88, v87
	s_delay_alu instid0(VALU_DEP_1) | instskip(NEXT) | instid1(VALU_DEP_1)
	v_mul_f32_e32 v88, v89, v87
	v_fma_f32 v90, -v84, v88, v89
	s_delay_alu instid0(VALU_DEP_1) | instskip(NEXT) | instid1(VALU_DEP_1)
	v_fmac_f32_e32 v88, v90, v87
	v_fma_f32 v84, -v84, v88, v89
	s_delay_alu instid0(VALU_DEP_1) | instskip(NEXT) | instid1(VALU_DEP_1)
	v_div_fmas_f32 v84, v84, v87, v88
	v_div_fixup_f32 v84, v84, v85, 1.0
	s_delay_alu instid0(VALU_DEP_1)
	v_mul_f32_e32 v86, v86, v84
	v_xor_b32_e32 v87, 0x80000000, v84
                                        ; implicit-def: $vgpr84_vgpr85
.LBB119_248:
	s_and_not1_saveexec_b32 s1, s1
	s_cbranch_execz .LBB119_250
; %bb.249:
	v_div_scale_f32 v86, null, v84, v84, v85
	v_div_scale_f32 v89, vcc_lo, v85, v84, v85
	s_delay_alu instid0(VALU_DEP_2) | instskip(SKIP_1) | instid1(TRANS32_DEP_1)
	v_rcp_f32_e32 v87, v86
	v_nop
	v_fma_f32 v88, -v86, v87, 1.0
	s_delay_alu instid0(VALU_DEP_1) | instskip(NEXT) | instid1(VALU_DEP_1)
	v_fmac_f32_e32 v87, v88, v87
	v_mul_f32_e32 v88, v89, v87
	s_delay_alu instid0(VALU_DEP_1) | instskip(NEXT) | instid1(VALU_DEP_1)
	v_fma_f32 v90, -v86, v88, v89
	v_fmac_f32_e32 v88, v90, v87
	s_delay_alu instid0(VALU_DEP_1) | instskip(NEXT) | instid1(VALU_DEP_1)
	v_fma_f32 v86, -v86, v88, v89
	v_div_fmas_f32 v86, v86, v87, v88
	s_delay_alu instid0(VALU_DEP_1) | instskip(NEXT) | instid1(VALU_DEP_1)
	v_div_fixup_f32 v87, v86, v84, v85
	v_fmac_f32_e32 v84, v85, v87
	s_delay_alu instid0(VALU_DEP_1) | instskip(NEXT) | instid1(VALU_DEP_1)
	v_div_scale_f32 v85, null, v84, v84, 1.0
	v_rcp_f32_e32 v86, v85
	v_nop
	s_delay_alu instid0(TRANS32_DEP_1) | instskip(NEXT) | instid1(VALU_DEP_1)
	v_fma_f32 v88, -v85, v86, 1.0
	v_fmac_f32_e32 v86, v88, v86
	v_div_scale_f32 v88, vcc_lo, 1.0, v84, 1.0
	s_delay_alu instid0(VALU_DEP_1) | instskip(NEXT) | instid1(VALU_DEP_1)
	v_mul_f32_e32 v89, v88, v86
	v_fma_f32 v90, -v85, v89, v88
	s_delay_alu instid0(VALU_DEP_1) | instskip(NEXT) | instid1(VALU_DEP_1)
	v_fmac_f32_e32 v89, v90, v86
	v_fma_f32 v85, -v85, v89, v88
	s_delay_alu instid0(VALU_DEP_1) | instskip(NEXT) | instid1(VALU_DEP_1)
	v_div_fmas_f32 v85, v85, v86, v89
	v_div_fixup_f32 v86, v85, v84, 1.0
	s_delay_alu instid0(VALU_DEP_1)
	v_mul_f32_e64 v87, v87, -v86
.LBB119_250:
	s_or_b32 exec_lo, exec_lo, s1
	ds_store_b64 v207, v[86:87]
.LBB119_251:
	s_or_b32 exec_lo, exec_lo, s2
	s_wait_dscnt 0x0
	s_barrier_signal -1
	s_barrier_wait -1
	ds_load_b64 v[84:85], v207
	s_mov_b32 s1, exec_lo
	v_cmpx_lt_u32_e32 27, v206
	s_cbranch_execz .LBB119_253
; %bb.252:
	ds_load_2addr_b64 v[100:103], v216 offset0:28 offset1:29
	s_wait_dscnt 0x1
	v_pk_mul_f32 v[88:89], v[84:85], v[108:109] op_sel:[1,1] op_sel_hi:[0,1]
	s_delay_alu instid0(VALU_DEP_1) | instskip(SKIP_1) | instid1(VALU_DEP_1)
	v_pk_fma_f32 v[86:87], v[84:85], v[108:109], v[88:89] op_sel_hi:[1,0,1] neg_lo:[0,0,1] neg_hi:[0,0,1]
	v_pk_fma_f32 v[88:89], v[84:85], v[108:109], v[88:89] op_sel_hi:[1,0,1]
	v_dual_mov_b32 v108, v86 :: v_dual_mov_b32 v109, v89
	s_wait_dscnt 0x0
	s_delay_alu instid0(VALU_DEP_2) | instskip(NEXT) | instid1(VALU_DEP_1)
	v_pk_mul_f32 v[90:91], v[100:101], v[88:89] op_sel:[0,1]
	v_pk_fma_f32 v[104:105], v[100:101], v[86:87], v[90:91] op_sel:[0,0,1] op_sel_hi:[1,1,0] neg_lo:[0,0,1] neg_hi:[0,0,1]
	v_pk_fma_f32 v[90:91], v[100:101], v[86:87], v[90:91] op_sel:[0,0,1] op_sel_hi:[1,0,0]
	s_delay_alu instid0(VALU_DEP_1) | instskip(SKIP_1) | instid1(VALU_DEP_1)
	v_mov_b32_e32 v105, v91
	v_pk_mul_f32 v[90:91], v[102:103], v[88:89] op_sel:[0,1]
	v_pk_fma_f32 v[100:101], v[102:103], v[86:87], v[90:91] op_sel:[0,0,1] op_sel_hi:[1,1,0] neg_lo:[0,0,1] neg_hi:[0,0,1]
	v_pk_fma_f32 v[90:91], v[102:103], v[86:87], v[90:91] op_sel:[0,0,1] op_sel_hi:[1,0,0]
	s_delay_alu instid0(VALU_DEP_1) | instskip(SKIP_1) | instid1(VALU_DEP_2)
	v_mov_b32_e32 v101, v91
	v_pk_add_f32 v[130:131], v[130:131], v[104:105] neg_lo:[0,1] neg_hi:[0,1]
	v_pk_add_f32 v[126:127], v[126:127], v[100:101] neg_lo:[0,1] neg_hi:[0,1]
	ds_load_2addr_b64 v[100:103], v216 offset0:30 offset1:31
	s_wait_dscnt 0x0
	v_pk_mul_f32 v[90:91], v[100:101], v[88:89] op_sel:[0,1]
	s_delay_alu instid0(VALU_DEP_1) | instskip(SKIP_2) | instid1(VALU_DEP_2)
	v_pk_fma_f32 v[104:105], v[100:101], v[86:87], v[90:91] op_sel:[0,0,1] op_sel_hi:[1,1,0] neg_lo:[0,0,1] neg_hi:[0,0,1]
	v_pk_fma_f32 v[90:91], v[100:101], v[86:87], v[90:91] op_sel:[0,0,1] op_sel_hi:[1,0,0]
	v_dual_mul_f32 v100, v103, v89 :: v_dual_mov_b32 v90, v103
	v_dual_mov_b32 v105, v91 :: v_dual_mov_b32 v91, v102
	s_delay_alu instid0(VALU_DEP_2) | instskip(SKIP_1) | instid1(VALU_DEP_3)
	v_pk_fma_f32 v[100:101], v[102:103], v[108:109], v[100:101] op_sel_hi:[1,1,0] neg_lo:[0,0,1] neg_hi:[0,0,1]
	v_mul_f32_e32 v102, v103, v86
	v_pk_add_f32 v[128:129], v[128:129], v[104:105] neg_lo:[0,1] neg_hi:[0,1]
	s_delay_alu instid0(VALU_DEP_2) | instskip(NEXT) | instid1(VALU_DEP_1)
	v_pk_fma_f32 v[90:91], v[90:91], v[108:109], v[102:103] op_sel_hi:[1,1,0]
	v_mov_b32_e32 v101, v91
	s_delay_alu instid0(VALU_DEP_1) | instskip(SKIP_3) | instid1(VALU_DEP_1)
	v_pk_add_f32 v[124:125], v[124:125], v[100:101] neg_lo:[0,1] neg_hi:[0,1]
	ds_load_2addr_b64 v[100:103], v216 offset0:32 offset1:33
	s_wait_dscnt 0x0
	v_pk_mul_f32 v[90:91], v[100:101], v[88:89] op_sel:[0,1]
	v_pk_fma_f32 v[104:105], v[100:101], v[86:87], v[90:91] op_sel:[0,0,1] op_sel_hi:[1,1,0] neg_lo:[0,0,1] neg_hi:[0,0,1]
	v_pk_fma_f32 v[90:91], v[100:101], v[86:87], v[90:91] op_sel:[0,0,1] op_sel_hi:[1,0,0]
	s_delay_alu instid0(VALU_DEP_1) | instskip(SKIP_1) | instid1(VALU_DEP_2)
	v_mov_b32_e32 v105, v91
	v_pk_mul_f32 v[90:91], v[102:103], v[88:89] op_sel:[0,1]
	v_pk_add_f32 v[146:147], v[146:147], v[104:105] neg_lo:[0,1] neg_hi:[0,1]
	s_delay_alu instid0(VALU_DEP_2) | instskip(SKIP_1) | instid1(VALU_DEP_1)
	v_pk_fma_f32 v[100:101], v[102:103], v[86:87], v[90:91] op_sel:[0,0,1] op_sel_hi:[1,1,0] neg_lo:[0,0,1] neg_hi:[0,0,1]
	v_pk_fma_f32 v[90:91], v[102:103], v[86:87], v[90:91] op_sel:[0,0,1] op_sel_hi:[1,0,0]
	v_mov_b32_e32 v101, v91
	s_delay_alu instid0(VALU_DEP_1) | instskip(SKIP_3) | instid1(VALU_DEP_1)
	v_pk_add_f32 v[142:143], v[142:143], v[100:101] neg_lo:[0,1] neg_hi:[0,1]
	ds_load_2addr_b64 v[100:103], v216 offset0:34 offset1:35
	s_wait_dscnt 0x0
	v_pk_mul_f32 v[90:91], v[100:101], v[88:89] op_sel:[0,1]
	v_pk_fma_f32 v[104:105], v[100:101], v[86:87], v[90:91] op_sel:[0,0,1] op_sel_hi:[1,1,0] neg_lo:[0,0,1] neg_hi:[0,0,1]
	v_pk_fma_f32 v[90:91], v[100:101], v[86:87], v[90:91] op_sel:[0,0,1] op_sel_hi:[1,0,0]
	s_delay_alu instid0(VALU_DEP_1) | instskip(SKIP_1) | instid1(VALU_DEP_2)
	v_mov_b32_e32 v105, v91
	v_pk_mul_f32 v[90:91], v[102:103], v[88:89] op_sel:[0,1]
	v_pk_add_f32 v[144:145], v[144:145], v[104:105] neg_lo:[0,1] neg_hi:[0,1]
	s_delay_alu instid0(VALU_DEP_2) | instskip(SKIP_1) | instid1(VALU_DEP_1)
	v_pk_fma_f32 v[100:101], v[102:103], v[86:87], v[90:91] op_sel:[0,0,1] op_sel_hi:[1,1,0] neg_lo:[0,0,1] neg_hi:[0,0,1]
	v_pk_fma_f32 v[90:91], v[102:103], v[86:87], v[90:91] op_sel:[0,0,1] op_sel_hi:[1,0,0]
	v_mov_b32_e32 v101, v91
	s_delay_alu instid0(VALU_DEP_1) | instskip(SKIP_3) | instid1(VALU_DEP_1)
	v_pk_add_f32 v[140:141], v[140:141], v[100:101] neg_lo:[0,1] neg_hi:[0,1]
	ds_load_2addr_b64 v[100:103], v216 offset0:36 offset1:37
	s_wait_dscnt 0x0
	v_dual_mul_f32 v90, v101, v89 :: v_dual_mul_f32 v104, v101, v86
	v_pk_fma_f32 v[90:91], v[100:101], v[108:109], v[90:91] op_sel_hi:[1,1,0] neg_lo:[0,0,1] neg_hi:[0,0,1]
	s_delay_alu instid0(VALU_DEP_2) | instskip(NEXT) | instid1(VALU_DEP_1)
	v_pk_fma_f32 v[100:101], v[100:101], v[108:109], v[104:105] op_sel:[1,0,0] op_sel_hi:[0,1,0]
	v_mov_b32_e32 v91, v101
	s_delay_alu instid0(VALU_DEP_1) | instskip(SKIP_1) | instid1(VALU_DEP_1)
	v_pk_add_f32 v[162:163], v[162:163], v[90:91] neg_lo:[0,1] neg_hi:[0,1]
	v_pk_mul_f32 v[90:91], v[102:103], v[88:89] op_sel:[0,1]
	v_pk_fma_f32 v[100:101], v[102:103], v[86:87], v[90:91] op_sel:[0,0,1] op_sel_hi:[1,1,0] neg_lo:[0,0,1] neg_hi:[0,0,1]
	v_pk_fma_f32 v[90:91], v[102:103], v[86:87], v[90:91] op_sel:[0,0,1] op_sel_hi:[1,0,0]
	s_delay_alu instid0(VALU_DEP_1) | instskip(NEXT) | instid1(VALU_DEP_1)
	v_mov_b32_e32 v101, v91
	v_pk_add_f32 v[158:159], v[158:159], v[100:101] neg_lo:[0,1] neg_hi:[0,1]
	ds_load_2addr_b64 v[100:103], v216 offset0:38 offset1:39
	s_wait_dscnt 0x0
	v_pk_mul_f32 v[90:91], v[100:101], v[88:89] op_sel:[0,1]
	s_delay_alu instid0(VALU_DEP_1) | instskip(SKIP_1) | instid1(VALU_DEP_1)
	v_pk_fma_f32 v[104:105], v[100:101], v[86:87], v[90:91] op_sel:[0,0,1] op_sel_hi:[1,1,0] neg_lo:[0,0,1] neg_hi:[0,0,1]
	v_pk_fma_f32 v[90:91], v[100:101], v[86:87], v[90:91] op_sel:[0,0,1] op_sel_hi:[1,0,0]
	v_mov_b32_e32 v105, v91
	v_pk_mul_f32 v[90:91], v[102:103], v[88:89] op_sel:[0,1]
	s_delay_alu instid0(VALU_DEP_2) | instskip(NEXT) | instid1(VALU_DEP_2)
	v_pk_add_f32 v[160:161], v[160:161], v[104:105] neg_lo:[0,1] neg_hi:[0,1]
	v_pk_fma_f32 v[100:101], v[102:103], v[86:87], v[90:91] op_sel:[0,0,1] op_sel_hi:[1,1,0] neg_lo:[0,0,1] neg_hi:[0,0,1]
	v_pk_fma_f32 v[90:91], v[102:103], v[86:87], v[90:91] op_sel:[0,0,1] op_sel_hi:[1,0,0]
	s_delay_alu instid0(VALU_DEP_1) | instskip(NEXT) | instid1(VALU_DEP_1)
	v_mov_b32_e32 v101, v91
	v_pk_add_f32 v[156:157], v[156:157], v[100:101] neg_lo:[0,1] neg_hi:[0,1]
	ds_load_2addr_b64 v[100:103], v216 offset0:40 offset1:41
	s_wait_dscnt 0x0
	v_pk_mul_f32 v[90:91], v[100:101], v[88:89] op_sel:[0,1]
	s_delay_alu instid0(VALU_DEP_1) | instskip(SKIP_2) | instid1(VALU_DEP_2)
	v_pk_fma_f32 v[104:105], v[100:101], v[86:87], v[90:91] op_sel:[0,0,1] op_sel_hi:[1,1,0] neg_lo:[0,0,1] neg_hi:[0,0,1]
	v_pk_fma_f32 v[90:91], v[100:101], v[86:87], v[90:91] op_sel:[0,0,1] op_sel_hi:[1,0,0]
	v_dual_mul_f32 v100, v103, v89 :: v_dual_mov_b32 v90, v103
	v_dual_mov_b32 v105, v91 :: v_dual_mov_b32 v91, v102
	s_delay_alu instid0(VALU_DEP_2) | instskip(SKIP_1) | instid1(VALU_DEP_3)
	v_pk_fma_f32 v[100:101], v[102:103], v[108:109], v[100:101] op_sel_hi:[1,1,0] neg_lo:[0,0,1] neg_hi:[0,0,1]
	v_mul_f32_e32 v102, v103, v86
	v_pk_add_f32 v[178:179], v[178:179], v[104:105] neg_lo:[0,1] neg_hi:[0,1]
	s_delay_alu instid0(VALU_DEP_2) | instskip(NEXT) | instid1(VALU_DEP_1)
	v_pk_fma_f32 v[90:91], v[90:91], v[108:109], v[102:103] op_sel_hi:[1,1,0]
	v_mov_b32_e32 v101, v91
	s_delay_alu instid0(VALU_DEP_1) | instskip(SKIP_3) | instid1(VALU_DEP_1)
	v_pk_add_f32 v[174:175], v[174:175], v[100:101] neg_lo:[0,1] neg_hi:[0,1]
	ds_load_2addr_b64 v[100:103], v216 offset0:42 offset1:43
	s_wait_dscnt 0x0
	v_pk_mul_f32 v[90:91], v[100:101], v[88:89] op_sel:[0,1]
	v_pk_fma_f32 v[104:105], v[100:101], v[86:87], v[90:91] op_sel:[0,0,1] op_sel_hi:[1,1,0] neg_lo:[0,0,1] neg_hi:[0,0,1]
	v_pk_fma_f32 v[90:91], v[100:101], v[86:87], v[90:91] op_sel:[0,0,1] op_sel_hi:[1,0,0]
	s_delay_alu instid0(VALU_DEP_1) | instskip(SKIP_1) | instid1(VALU_DEP_2)
	v_mov_b32_e32 v105, v91
	v_pk_mul_f32 v[90:91], v[102:103], v[88:89] op_sel:[0,1]
	v_pk_add_f32 v[176:177], v[176:177], v[104:105] neg_lo:[0,1] neg_hi:[0,1]
	s_delay_alu instid0(VALU_DEP_2) | instskip(SKIP_1) | instid1(VALU_DEP_1)
	v_pk_fma_f32 v[100:101], v[102:103], v[86:87], v[90:91] op_sel:[0,0,1] op_sel_hi:[1,1,0] neg_lo:[0,0,1] neg_hi:[0,0,1]
	v_pk_fma_f32 v[90:91], v[102:103], v[86:87], v[90:91] op_sel:[0,0,1] op_sel_hi:[1,0,0]
	v_mov_b32_e32 v101, v91
	s_delay_alu instid0(VALU_DEP_1) | instskip(SKIP_3) | instid1(VALU_DEP_1)
	v_pk_add_f32 v[172:173], v[172:173], v[100:101] neg_lo:[0,1] neg_hi:[0,1]
	ds_load_2addr_b64 v[100:103], v216 offset0:44 offset1:45
	s_wait_dscnt 0x0
	v_pk_mul_f32 v[90:91], v[100:101], v[88:89] op_sel:[0,1]
	v_pk_fma_f32 v[104:105], v[100:101], v[86:87], v[90:91] op_sel:[0,0,1] op_sel_hi:[1,1,0] neg_lo:[0,0,1] neg_hi:[0,0,1]
	v_pk_fma_f32 v[90:91], v[100:101], v[86:87], v[90:91] op_sel:[0,0,1] op_sel_hi:[1,0,0]
	s_delay_alu instid0(VALU_DEP_1) | instskip(SKIP_1) | instid1(VALU_DEP_2)
	v_mov_b32_e32 v105, v91
	v_pk_mul_f32 v[90:91], v[102:103], v[88:89] op_sel:[0,1]
	v_pk_add_f32 v[194:195], v[194:195], v[104:105] neg_lo:[0,1] neg_hi:[0,1]
	s_delay_alu instid0(VALU_DEP_2) | instskip(SKIP_1) | instid1(VALU_DEP_1)
	v_pk_fma_f32 v[100:101], v[102:103], v[86:87], v[90:91] op_sel:[0,0,1] op_sel_hi:[1,1,0] neg_lo:[0,0,1] neg_hi:[0,0,1]
	v_pk_fma_f32 v[90:91], v[102:103], v[86:87], v[90:91] op_sel:[0,0,1] op_sel_hi:[1,0,0]
	v_mov_b32_e32 v101, v91
	s_delay_alu instid0(VALU_DEP_1) | instskip(SKIP_3) | instid1(VALU_DEP_1)
	v_pk_add_f32 v[190:191], v[190:191], v[100:101] neg_lo:[0,1] neg_hi:[0,1]
	ds_load_2addr_b64 v[100:103], v216 offset0:46 offset1:47
	s_wait_dscnt 0x0
	v_dual_mul_f32 v90, v101, v89 :: v_dual_mul_f32 v104, v101, v86
	v_pk_fma_f32 v[90:91], v[100:101], v[108:109], v[90:91] op_sel_hi:[1,1,0] neg_lo:[0,0,1] neg_hi:[0,0,1]
	s_delay_alu instid0(VALU_DEP_2) | instskip(NEXT) | instid1(VALU_DEP_1)
	v_pk_fma_f32 v[100:101], v[100:101], v[108:109], v[104:105] op_sel:[1,0,0] op_sel_hi:[0,1,0]
	v_mov_b32_e32 v91, v101
	s_delay_alu instid0(VALU_DEP_1) | instskip(SKIP_1) | instid1(VALU_DEP_1)
	v_pk_add_f32 v[192:193], v[192:193], v[90:91] neg_lo:[0,1] neg_hi:[0,1]
	v_pk_mul_f32 v[90:91], v[102:103], v[88:89] op_sel:[0,1]
	v_pk_fma_f32 v[100:101], v[102:103], v[86:87], v[90:91] op_sel:[0,0,1] op_sel_hi:[1,1,0] neg_lo:[0,0,1] neg_hi:[0,0,1]
	v_pk_fma_f32 v[90:91], v[102:103], v[86:87], v[90:91] op_sel:[0,0,1] op_sel_hi:[1,0,0]
	s_delay_alu instid0(VALU_DEP_1) | instskip(NEXT) | instid1(VALU_DEP_1)
	v_mov_b32_e32 v101, v91
	v_pk_add_f32 v[188:189], v[188:189], v[100:101] neg_lo:[0,1] neg_hi:[0,1]
	ds_load_2addr_b64 v[100:103], v216 offset0:48 offset1:49
	s_wait_dscnt 0x0
	v_pk_mul_f32 v[90:91], v[100:101], v[88:89] op_sel:[0,1]
	s_delay_alu instid0(VALU_DEP_1) | instskip(SKIP_1) | instid1(VALU_DEP_1)
	v_pk_fma_f32 v[104:105], v[100:101], v[86:87], v[90:91] op_sel:[0,0,1] op_sel_hi:[1,1,0] neg_lo:[0,0,1] neg_hi:[0,0,1]
	v_pk_fma_f32 v[90:91], v[100:101], v[86:87], v[90:91] op_sel:[0,0,1] op_sel_hi:[1,0,0]
	v_mov_b32_e32 v105, v91
	v_pk_mul_f32 v[90:91], v[102:103], v[88:89] op_sel:[0,1]
	s_delay_alu instid0(VALU_DEP_2) | instskip(NEXT) | instid1(VALU_DEP_2)
	v_pk_add_f32 v[214:215], v[214:215], v[104:105] neg_lo:[0,1] neg_hi:[0,1]
	v_pk_fma_f32 v[100:101], v[102:103], v[86:87], v[90:91] op_sel:[0,0,1] op_sel_hi:[1,1,0] neg_lo:[0,0,1] neg_hi:[0,0,1]
	v_pk_fma_f32 v[90:91], v[102:103], v[86:87], v[90:91] op_sel:[0,0,1] op_sel_hi:[1,0,0]
	s_delay_alu instid0(VALU_DEP_1) | instskip(NEXT) | instid1(VALU_DEP_1)
	v_mov_b32_e32 v101, v91
	v_pk_add_f32 v[210:211], v[210:211], v[100:101] neg_lo:[0,1] neg_hi:[0,1]
	ds_load_2addr_b64 v[100:103], v216 offset0:50 offset1:51
	s_wait_dscnt 0x0
	v_pk_mul_f32 v[90:91], v[100:101], v[88:89] op_sel:[0,1]
	s_delay_alu instid0(VALU_DEP_1) | instskip(SKIP_2) | instid1(VALU_DEP_2)
	v_pk_fma_f32 v[104:105], v[100:101], v[86:87], v[90:91] op_sel:[0,0,1] op_sel_hi:[1,1,0] neg_lo:[0,0,1] neg_hi:[0,0,1]
	v_pk_fma_f32 v[90:91], v[100:101], v[86:87], v[90:91] op_sel:[0,0,1] op_sel_hi:[1,0,0]
	v_dual_mul_f32 v100, v103, v89 :: v_dual_mov_b32 v90, v103
	v_dual_mov_b32 v105, v91 :: v_dual_mov_b32 v91, v102
	s_delay_alu instid0(VALU_DEP_2) | instskip(SKIP_1) | instid1(VALU_DEP_3)
	v_pk_fma_f32 v[100:101], v[102:103], v[108:109], v[100:101] op_sel_hi:[1,1,0] neg_lo:[0,0,1] neg_hi:[0,0,1]
	v_mul_f32_e32 v102, v103, v86
	v_pk_add_f32 v[212:213], v[212:213], v[104:105] neg_lo:[0,1] neg_hi:[0,1]
	s_delay_alu instid0(VALU_DEP_2) | instskip(NEXT) | instid1(VALU_DEP_1)
	v_pk_fma_f32 v[90:91], v[90:91], v[108:109], v[102:103] op_sel_hi:[1,1,0]
	v_mov_b32_e32 v101, v91
	s_delay_alu instid0(VALU_DEP_1) | instskip(SKIP_3) | instid1(VALU_DEP_1)
	v_pk_add_f32 v[208:209], v[208:209], v[100:101] neg_lo:[0,1] neg_hi:[0,1]
	ds_load_2addr_b64 v[100:103], v216 offset0:52 offset1:53
	s_wait_dscnt 0x0
	v_pk_mul_f32 v[90:91], v[100:101], v[88:89] op_sel:[0,1]
	v_pk_fma_f32 v[104:105], v[100:101], v[86:87], v[90:91] op_sel:[0,0,1] op_sel_hi:[1,1,0] neg_lo:[0,0,1] neg_hi:[0,0,1]
	v_pk_fma_f32 v[90:91], v[100:101], v[86:87], v[90:91] op_sel:[0,0,1] op_sel_hi:[1,0,0]
	s_delay_alu instid0(VALU_DEP_1) | instskip(SKIP_1) | instid1(VALU_DEP_2)
	v_mov_b32_e32 v105, v91
	v_pk_mul_f32 v[90:91], v[102:103], v[88:89] op_sel:[0,1]
	v_pk_add_f32 v[236:237], v[236:237], v[104:105] neg_lo:[0,1] neg_hi:[0,1]
	s_delay_alu instid0(VALU_DEP_2) | instskip(SKIP_1) | instid1(VALU_DEP_1)
	v_pk_fma_f32 v[100:101], v[102:103], v[86:87], v[90:91] op_sel:[0,0,1] op_sel_hi:[1,1,0] neg_lo:[0,0,1] neg_hi:[0,0,1]
	v_pk_fma_f32 v[90:91], v[102:103], v[86:87], v[90:91] op_sel:[0,0,1] op_sel_hi:[1,0,0]
	v_mov_b32_e32 v101, v91
	s_delay_alu instid0(VALU_DEP_1) | instskip(SKIP_3) | instid1(VALU_DEP_1)
	v_pk_add_f32 v[230:231], v[230:231], v[100:101] neg_lo:[0,1] neg_hi:[0,1]
	ds_load_2addr_b64 v[100:103], v216 offset0:54 offset1:55
	s_wait_dscnt 0x0
	v_pk_mul_f32 v[90:91], v[100:101], v[88:89] op_sel:[0,1]
	v_pk_fma_f32 v[104:105], v[100:101], v[86:87], v[90:91] op_sel:[0,0,1] op_sel_hi:[1,1,0] neg_lo:[0,0,1] neg_hi:[0,0,1]
	v_pk_fma_f32 v[90:91], v[100:101], v[86:87], v[90:91] op_sel:[0,0,1] op_sel_hi:[1,0,0]
	s_delay_alu instid0(VALU_DEP_1) | instskip(SKIP_1) | instid1(VALU_DEP_2)
	v_mov_b32_e32 v105, v91
	v_pk_mul_f32 v[90:91], v[102:103], v[88:89] op_sel:[0,1]
	v_pk_add_f32 v[234:235], v[234:235], v[104:105] neg_lo:[0,1] neg_hi:[0,1]
	s_delay_alu instid0(VALU_DEP_2) | instskip(SKIP_1) | instid1(VALU_DEP_1)
	v_pk_fma_f32 v[100:101], v[102:103], v[86:87], v[90:91] op_sel:[0,0,1] op_sel_hi:[1,1,0] neg_lo:[0,0,1] neg_hi:[0,0,1]
	v_pk_fma_f32 v[90:91], v[102:103], v[86:87], v[90:91] op_sel:[0,0,1] op_sel_hi:[1,0,0]
	v_mov_b32_e32 v101, v91
	s_delay_alu instid0(VALU_DEP_1) | instskip(SKIP_3) | instid1(VALU_DEP_1)
	v_pk_add_f32 v[228:229], v[228:229], v[100:101] neg_lo:[0,1] neg_hi:[0,1]
	ds_load_2addr_b64 v[100:103], v216 offset0:56 offset1:57
	s_wait_dscnt 0x0
	v_dual_mul_f32 v90, v101, v89 :: v_dual_mul_f32 v104, v101, v86
	v_pk_fma_f32 v[90:91], v[100:101], v[108:109], v[90:91] op_sel_hi:[1,1,0] neg_lo:[0,0,1] neg_hi:[0,0,1]
	s_delay_alu instid0(VALU_DEP_2) | instskip(NEXT) | instid1(VALU_DEP_1)
	v_pk_fma_f32 v[100:101], v[100:101], v[108:109], v[104:105] op_sel:[1,0,0] op_sel_hi:[0,1,0]
	v_mov_b32_e32 v91, v101
	s_delay_alu instid0(VALU_DEP_1) | instskip(SKIP_1) | instid1(VALU_DEP_1)
	v_pk_add_f32 v[232:233], v[232:233], v[90:91] neg_lo:[0,1] neg_hi:[0,1]
	v_pk_mul_f32 v[90:91], v[102:103], v[88:89] op_sel:[0,1]
	v_pk_fma_f32 v[100:101], v[102:103], v[86:87], v[90:91] op_sel:[0,0,1] op_sel_hi:[1,1,0] neg_lo:[0,0,1] neg_hi:[0,0,1]
	v_pk_fma_f32 v[90:91], v[102:103], v[86:87], v[90:91] op_sel:[0,0,1] op_sel_hi:[1,0,0]
	s_delay_alu instid0(VALU_DEP_1) | instskip(NEXT) | instid1(VALU_DEP_1)
	v_mov_b32_e32 v101, v91
	v_pk_add_f32 v[226:227], v[226:227], v[100:101] neg_lo:[0,1] neg_hi:[0,1]
	ds_load_2addr_b64 v[100:103], v216 offset0:58 offset1:59
	s_wait_dscnt 0x0
	v_pk_mul_f32 v[90:91], v[100:101], v[88:89] op_sel:[0,1]
	v_pk_mul_f32 v[88:89], v[102:103], v[88:89] op_sel:[0,1]
	s_delay_alu instid0(VALU_DEP_2) | instskip(SKIP_1) | instid1(VALU_DEP_1)
	v_pk_fma_f32 v[104:105], v[100:101], v[86:87], v[90:91] op_sel:[0,0,1] op_sel_hi:[1,1,0] neg_lo:[0,0,1] neg_hi:[0,0,1]
	v_pk_fma_f32 v[90:91], v[100:101], v[86:87], v[90:91] op_sel:[0,0,1] op_sel_hi:[1,0,0]
	v_mov_b32_e32 v105, v91
	s_delay_alu instid0(VALU_DEP_4) | instskip(SKIP_1) | instid1(VALU_DEP_3)
	v_pk_fma_f32 v[90:91], v[102:103], v[86:87], v[88:89] op_sel:[0,0,1] op_sel_hi:[1,1,0] neg_lo:[0,0,1] neg_hi:[0,0,1]
	v_pk_fma_f32 v[86:87], v[102:103], v[86:87], v[88:89] op_sel:[0,0,1] op_sel_hi:[1,0,0]
	v_pk_add_f32 v[238:239], v[238:239], v[104:105] neg_lo:[0,1] neg_hi:[0,1]
	s_delay_alu instid0(VALU_DEP_2) | instskip(NEXT) | instid1(VALU_DEP_1)
	v_mov_b32_e32 v91, v87
	v_pk_add_f32 v[240:241], v[240:241], v[90:91] neg_lo:[0,1] neg_hi:[0,1]
.LBB119_253:
	s_or_b32 exec_lo, exec_lo, s1
	s_delay_alu instid0(SALU_CYCLE_1)
	s_mov_b32 s2, exec_lo
	s_wait_dscnt 0x0
	s_barrier_signal -1
	s_barrier_wait -1
	v_cmpx_eq_u32_e32 28, v206
	s_cbranch_execz .LBB119_260
; %bb.254:
	ds_store_b64 v207, v[130:131]
	ds_store_2addr_b64 v216, v[126:127], v[128:129] offset0:29 offset1:30
	ds_store_2addr_b64 v216, v[124:125], v[146:147] offset0:31 offset1:32
	;; [unrolled: 1-line block ×15, first 2 shown]
	ds_store_b64 v216, v[240:241] offset:472
	ds_load_b64 v[86:87], v207
	s_wait_dscnt 0x0
	v_cmp_neq_f32_e32 vcc_lo, 0, v86
	v_cmp_neq_f32_e64 s1, 0, v87
	s_or_b32 s1, vcc_lo, s1
	s_delay_alu instid0(SALU_CYCLE_1)
	s_and_b32 exec_lo, exec_lo, s1
	s_cbranch_execz .LBB119_260
; %bb.255:
	v_cmp_ngt_f32_e64 s1, |v86|, |v87|
                                        ; implicit-def: $vgpr88_vgpr89
	s_and_saveexec_b32 s4, s1
	s_delay_alu instid0(SALU_CYCLE_1)
	s_xor_b32 s1, exec_lo, s4
	s_cbranch_execz .LBB119_257
; %bb.256:
	v_div_scale_f32 v88, null, v87, v87, v86
	v_div_scale_f32 v91, vcc_lo, v86, v87, v86
	s_delay_alu instid0(VALU_DEP_2) | instskip(SKIP_1) | instid1(TRANS32_DEP_1)
	v_rcp_f32_e32 v89, v88
	v_nop
	v_fma_f32 v90, -v88, v89, 1.0
	s_delay_alu instid0(VALU_DEP_1) | instskip(NEXT) | instid1(VALU_DEP_1)
	v_fmac_f32_e32 v89, v90, v89
	v_mul_f32_e32 v90, v91, v89
	s_delay_alu instid0(VALU_DEP_1) | instskip(NEXT) | instid1(VALU_DEP_1)
	v_fma_f32 v100, -v88, v90, v91
	v_fmac_f32_e32 v90, v100, v89
	s_delay_alu instid0(VALU_DEP_1) | instskip(NEXT) | instid1(VALU_DEP_1)
	v_fma_f32 v88, -v88, v90, v91
	v_div_fmas_f32 v88, v88, v89, v90
	s_delay_alu instid0(VALU_DEP_1) | instskip(NEXT) | instid1(VALU_DEP_1)
	v_div_fixup_f32 v88, v88, v87, v86
	v_fmac_f32_e32 v87, v86, v88
	s_delay_alu instid0(VALU_DEP_1) | instskip(SKIP_1) | instid1(VALU_DEP_2)
	v_div_scale_f32 v86, null, v87, v87, 1.0
	v_div_scale_f32 v91, vcc_lo, 1.0, v87, 1.0
	v_rcp_f32_e32 v89, v86
	v_nop
	s_delay_alu instid0(TRANS32_DEP_1) | instskip(NEXT) | instid1(VALU_DEP_1)
	v_fma_f32 v90, -v86, v89, 1.0
	v_fmac_f32_e32 v89, v90, v89
	s_delay_alu instid0(VALU_DEP_1) | instskip(NEXT) | instid1(VALU_DEP_1)
	v_mul_f32_e32 v90, v91, v89
	v_fma_f32 v100, -v86, v90, v91
	s_delay_alu instid0(VALU_DEP_1) | instskip(NEXT) | instid1(VALU_DEP_1)
	v_fmac_f32_e32 v90, v100, v89
	v_fma_f32 v86, -v86, v90, v91
	s_delay_alu instid0(VALU_DEP_1) | instskip(NEXT) | instid1(VALU_DEP_1)
	v_div_fmas_f32 v86, v86, v89, v90
	v_div_fixup_f32 v86, v86, v87, 1.0
	s_delay_alu instid0(VALU_DEP_1)
	v_mul_f32_e32 v88, v88, v86
	v_xor_b32_e32 v89, 0x80000000, v86
                                        ; implicit-def: $vgpr86_vgpr87
.LBB119_257:
	s_and_not1_saveexec_b32 s1, s1
	s_cbranch_execz .LBB119_259
; %bb.258:
	v_div_scale_f32 v88, null, v86, v86, v87
	v_div_scale_f32 v91, vcc_lo, v87, v86, v87
	s_delay_alu instid0(VALU_DEP_2) | instskip(SKIP_1) | instid1(TRANS32_DEP_1)
	v_rcp_f32_e32 v89, v88
	v_nop
	v_fma_f32 v90, -v88, v89, 1.0
	s_delay_alu instid0(VALU_DEP_1) | instskip(NEXT) | instid1(VALU_DEP_1)
	v_fmac_f32_e32 v89, v90, v89
	v_mul_f32_e32 v90, v91, v89
	s_delay_alu instid0(VALU_DEP_1) | instskip(NEXT) | instid1(VALU_DEP_1)
	v_fma_f32 v100, -v88, v90, v91
	v_fmac_f32_e32 v90, v100, v89
	s_delay_alu instid0(VALU_DEP_1) | instskip(NEXT) | instid1(VALU_DEP_1)
	v_fma_f32 v88, -v88, v90, v91
	v_div_fmas_f32 v88, v88, v89, v90
	s_delay_alu instid0(VALU_DEP_1) | instskip(NEXT) | instid1(VALU_DEP_1)
	v_div_fixup_f32 v89, v88, v86, v87
	v_fmac_f32_e32 v86, v87, v89
	s_delay_alu instid0(VALU_DEP_1) | instskip(NEXT) | instid1(VALU_DEP_1)
	v_div_scale_f32 v87, null, v86, v86, 1.0
	v_rcp_f32_e32 v88, v87
	v_nop
	s_delay_alu instid0(TRANS32_DEP_1) | instskip(NEXT) | instid1(VALU_DEP_1)
	v_fma_f32 v90, -v87, v88, 1.0
	v_fmac_f32_e32 v88, v90, v88
	v_div_scale_f32 v90, vcc_lo, 1.0, v86, 1.0
	s_delay_alu instid0(VALU_DEP_1) | instskip(NEXT) | instid1(VALU_DEP_1)
	v_mul_f32_e32 v91, v90, v88
	v_fma_f32 v100, -v87, v91, v90
	s_delay_alu instid0(VALU_DEP_1) | instskip(NEXT) | instid1(VALU_DEP_1)
	v_fmac_f32_e32 v91, v100, v88
	v_fma_f32 v87, -v87, v91, v90
	s_delay_alu instid0(VALU_DEP_1) | instskip(NEXT) | instid1(VALU_DEP_1)
	v_div_fmas_f32 v87, v87, v88, v91
	v_div_fixup_f32 v88, v87, v86, 1.0
	s_delay_alu instid0(VALU_DEP_1)
	v_mul_f32_e64 v89, v89, -v88
.LBB119_259:
	s_or_b32 exec_lo, exec_lo, s1
	ds_store_b64 v207, v[88:89]
.LBB119_260:
	s_or_b32 exec_lo, exec_lo, s2
	s_wait_dscnt 0x0
	s_barrier_signal -1
	s_barrier_wait -1
	ds_load_b64 v[86:87], v207
	s_mov_b32 s1, exec_lo
	v_cmpx_lt_u32_e32 28, v206
	s_cbranch_execz .LBB119_262
; %bb.261:
	ds_load_2addr_b64 v[100:103], v216 offset0:29 offset1:30
	s_wait_dscnt 0x1
	v_pk_mul_f32 v[90:91], v[86:87], v[130:131] op_sel:[1,1] op_sel_hi:[0,1]
	s_delay_alu instid0(VALU_DEP_1) | instskip(SKIP_1) | instid1(VALU_DEP_1)
	v_pk_fma_f32 v[88:89], v[86:87], v[130:131], v[90:91] op_sel_hi:[1,0,1] neg_lo:[0,0,1] neg_hi:[0,0,1]
	v_pk_fma_f32 v[90:91], v[86:87], v[130:131], v[90:91] op_sel_hi:[1,0,1]
	v_dual_mov_b32 v130, v88 :: v_dual_mov_b32 v131, v91
	s_wait_dscnt 0x0
	s_delay_alu instid0(VALU_DEP_2) | instskip(NEXT) | instid1(VALU_DEP_1)
	v_pk_mul_f32 v[104:105], v[100:101], v[90:91] op_sel:[0,1]
	v_pk_fma_f32 v[106:107], v[100:101], v[88:89], v[104:105] op_sel:[0,0,1] op_sel_hi:[1,1,0] neg_lo:[0,0,1] neg_hi:[0,0,1]
	v_pk_fma_f32 v[100:101], v[100:101], v[88:89], v[104:105] op_sel:[0,0,1] op_sel_hi:[1,0,0]
	s_delay_alu instid0(VALU_DEP_1) | instskip(SKIP_1) | instid1(VALU_DEP_1)
	v_mov_b32_e32 v107, v101
	v_pk_mul_f32 v[100:101], v[102:103], v[90:91] op_sel:[0,1]
	v_pk_fma_f32 v[104:105], v[102:103], v[88:89], v[100:101] op_sel:[0,0,1] op_sel_hi:[1,1,0] neg_lo:[0,0,1] neg_hi:[0,0,1]
	v_pk_fma_f32 v[100:101], v[102:103], v[88:89], v[100:101] op_sel:[0,0,1] op_sel_hi:[1,0,0]
	s_delay_alu instid0(VALU_DEP_1)
	v_mov_b32_e32 v105, v101
	ds_load_2addr_b64 v[100:103], v216 offset0:31 offset1:32
	v_pk_add_f32 v[126:127], v[126:127], v[106:107] neg_lo:[0,1] neg_hi:[0,1]
	v_pk_add_f32 v[128:129], v[128:129], v[104:105] neg_lo:[0,1] neg_hi:[0,1]
	s_wait_dscnt 0x0
	v_pk_mul_f32 v[104:105], v[100:101], v[90:91] op_sel:[0,1]
	s_delay_alu instid0(VALU_DEP_1) | instskip(SKIP_2) | instid1(VALU_DEP_2)
	v_pk_fma_f32 v[106:107], v[100:101], v[88:89], v[104:105] op_sel:[0,0,1] op_sel_hi:[1,1,0] neg_lo:[0,0,1] neg_hi:[0,0,1]
	v_pk_fma_f32 v[100:101], v[100:101], v[88:89], v[104:105] op_sel:[0,0,1] op_sel_hi:[1,0,0]
	v_dual_mul_f32 v104, v103, v91 :: v_dual_mov_b32 v100, v103
	v_dual_mov_b32 v107, v101 :: v_dual_mov_b32 v101, v102
	s_delay_alu instid0(VALU_DEP_2) | instskip(SKIP_1) | instid1(VALU_DEP_3)
	v_pk_fma_f32 v[104:105], v[102:103], v[130:131], v[104:105] op_sel_hi:[1,1,0] neg_lo:[0,0,1] neg_hi:[0,0,1]
	v_mul_f32_e32 v102, v103, v88
	v_pk_add_f32 v[124:125], v[124:125], v[106:107] neg_lo:[0,1] neg_hi:[0,1]
	s_delay_alu instid0(VALU_DEP_2) | instskip(NEXT) | instid1(VALU_DEP_1)
	v_pk_fma_f32 v[100:101], v[100:101], v[130:131], v[102:103] op_sel_hi:[1,1,0]
	v_mov_b32_e32 v105, v101
	ds_load_2addr_b64 v[100:103], v216 offset0:33 offset1:34
	v_pk_add_f32 v[146:147], v[146:147], v[104:105] neg_lo:[0,1] neg_hi:[0,1]
	s_wait_dscnt 0x0
	v_pk_mul_f32 v[104:105], v[100:101], v[90:91] op_sel:[0,1]
	s_delay_alu instid0(VALU_DEP_1) | instskip(SKIP_1) | instid1(VALU_DEP_1)
	v_pk_fma_f32 v[106:107], v[100:101], v[88:89], v[104:105] op_sel:[0,0,1] op_sel_hi:[1,1,0] neg_lo:[0,0,1] neg_hi:[0,0,1]
	v_pk_fma_f32 v[100:101], v[100:101], v[88:89], v[104:105] op_sel:[0,0,1] op_sel_hi:[1,0,0]
	v_mov_b32_e32 v107, v101
	v_pk_mul_f32 v[100:101], v[102:103], v[90:91] op_sel:[0,1]
	s_delay_alu instid0(VALU_DEP_1) | instskip(SKIP_1) | instid1(VALU_DEP_1)
	v_pk_fma_f32 v[104:105], v[102:103], v[88:89], v[100:101] op_sel:[0,0,1] op_sel_hi:[1,1,0] neg_lo:[0,0,1] neg_hi:[0,0,1]
	v_pk_fma_f32 v[100:101], v[102:103], v[88:89], v[100:101] op_sel:[0,0,1] op_sel_hi:[1,0,0]
	v_mov_b32_e32 v105, v101
	ds_load_2addr_b64 v[100:103], v216 offset0:35 offset1:36
	v_pk_add_f32 v[142:143], v[142:143], v[106:107] neg_lo:[0,1] neg_hi:[0,1]
	v_pk_add_f32 v[144:145], v[144:145], v[104:105] neg_lo:[0,1] neg_hi:[0,1]
	s_wait_dscnt 0x0
	v_pk_mul_f32 v[104:105], v[100:101], v[90:91] op_sel:[0,1]
	s_delay_alu instid0(VALU_DEP_1) | instskip(SKIP_1) | instid1(VALU_DEP_1)
	v_pk_fma_f32 v[106:107], v[100:101], v[88:89], v[104:105] op_sel:[0,0,1] op_sel_hi:[1,1,0] neg_lo:[0,0,1] neg_hi:[0,0,1]
	v_pk_fma_f32 v[100:101], v[100:101], v[88:89], v[104:105] op_sel:[0,0,1] op_sel_hi:[1,0,0]
	v_mov_b32_e32 v107, v101
	v_pk_mul_f32 v[100:101], v[102:103], v[90:91] op_sel:[0,1]
	s_delay_alu instid0(VALU_DEP_1) | instskip(SKIP_1) | instid1(VALU_DEP_1)
	v_pk_fma_f32 v[104:105], v[102:103], v[88:89], v[100:101] op_sel:[0,0,1] op_sel_hi:[1,1,0] neg_lo:[0,0,1] neg_hi:[0,0,1]
	v_pk_fma_f32 v[100:101], v[102:103], v[88:89], v[100:101] op_sel:[0,0,1] op_sel_hi:[1,0,0]
	v_mov_b32_e32 v105, v101
	ds_load_2addr_b64 v[100:103], v216 offset0:37 offset1:38
	v_pk_add_f32 v[140:141], v[140:141], v[106:107] neg_lo:[0,1] neg_hi:[0,1]
	v_pk_add_f32 v[162:163], v[162:163], v[104:105] neg_lo:[0,1] neg_hi:[0,1]
	s_wait_dscnt 0x0
	v_dual_mul_f32 v104, v101, v91 :: v_dual_mul_f32 v106, v101, v88
	s_delay_alu instid0(VALU_DEP_1) | instskip(NEXT) | instid1(VALU_DEP_2)
	v_pk_fma_f32 v[104:105], v[100:101], v[130:131], v[104:105] op_sel_hi:[1,1,0] neg_lo:[0,0,1] neg_hi:[0,0,1]
	v_pk_fma_f32 v[100:101], v[100:101], v[130:131], v[106:107] op_sel:[1,0,0] op_sel_hi:[0,1,0]
	s_delay_alu instid0(VALU_DEP_1) | instskip(SKIP_1) | instid1(VALU_DEP_2)
	v_mov_b32_e32 v105, v101
	v_pk_mul_f32 v[100:101], v[102:103], v[90:91] op_sel:[0,1]
	v_pk_add_f32 v[158:159], v[158:159], v[104:105] neg_lo:[0,1] neg_hi:[0,1]
	s_delay_alu instid0(VALU_DEP_2) | instskip(SKIP_1) | instid1(VALU_DEP_1)
	v_pk_fma_f32 v[104:105], v[102:103], v[88:89], v[100:101] op_sel:[0,0,1] op_sel_hi:[1,1,0] neg_lo:[0,0,1] neg_hi:[0,0,1]
	v_pk_fma_f32 v[100:101], v[102:103], v[88:89], v[100:101] op_sel:[0,0,1] op_sel_hi:[1,0,0]
	v_mov_b32_e32 v105, v101
	ds_load_2addr_b64 v[100:103], v216 offset0:39 offset1:40
	v_pk_add_f32 v[160:161], v[160:161], v[104:105] neg_lo:[0,1] neg_hi:[0,1]
	s_wait_dscnt 0x0
	v_pk_mul_f32 v[104:105], v[100:101], v[90:91] op_sel:[0,1]
	s_delay_alu instid0(VALU_DEP_1) | instskip(SKIP_1) | instid1(VALU_DEP_1)
	v_pk_fma_f32 v[106:107], v[100:101], v[88:89], v[104:105] op_sel:[0,0,1] op_sel_hi:[1,1,0] neg_lo:[0,0,1] neg_hi:[0,0,1]
	v_pk_fma_f32 v[100:101], v[100:101], v[88:89], v[104:105] op_sel:[0,0,1] op_sel_hi:[1,0,0]
	v_mov_b32_e32 v107, v101
	v_pk_mul_f32 v[100:101], v[102:103], v[90:91] op_sel:[0,1]
	s_delay_alu instid0(VALU_DEP_2) | instskip(NEXT) | instid1(VALU_DEP_2)
	v_pk_add_f32 v[156:157], v[156:157], v[106:107] neg_lo:[0,1] neg_hi:[0,1]
	v_pk_fma_f32 v[104:105], v[102:103], v[88:89], v[100:101] op_sel:[0,0,1] op_sel_hi:[1,1,0] neg_lo:[0,0,1] neg_hi:[0,0,1]
	v_pk_fma_f32 v[100:101], v[102:103], v[88:89], v[100:101] op_sel:[0,0,1] op_sel_hi:[1,0,0]
	s_delay_alu instid0(VALU_DEP_1) | instskip(SKIP_4) | instid1(VALU_DEP_1)
	v_mov_b32_e32 v105, v101
	ds_load_2addr_b64 v[100:103], v216 offset0:41 offset1:42
	v_pk_add_f32 v[178:179], v[178:179], v[104:105] neg_lo:[0,1] neg_hi:[0,1]
	s_wait_dscnt 0x0
	v_pk_mul_f32 v[104:105], v[100:101], v[90:91] op_sel:[0,1]
	v_pk_fma_f32 v[106:107], v[100:101], v[88:89], v[104:105] op_sel:[0,0,1] op_sel_hi:[1,1,0] neg_lo:[0,0,1] neg_hi:[0,0,1]
	v_pk_fma_f32 v[100:101], v[100:101], v[88:89], v[104:105] op_sel:[0,0,1] op_sel_hi:[1,0,0]
	v_dual_mul_f32 v104, v103, v91 :: v_dual_mov_b32 v100, v103
	s_delay_alu instid0(VALU_DEP_2) | instskip(NEXT) | instid1(VALU_DEP_2)
	v_dual_mov_b32 v107, v101 :: v_dual_mov_b32 v101, v102
	v_pk_fma_f32 v[104:105], v[102:103], v[130:131], v[104:105] op_sel_hi:[1,1,0] neg_lo:[0,0,1] neg_hi:[0,0,1]
	v_mul_f32_e32 v102, v103, v88
	s_delay_alu instid0(VALU_DEP_3) | instskip(NEXT) | instid1(VALU_DEP_2)
	v_pk_add_f32 v[174:175], v[174:175], v[106:107] neg_lo:[0,1] neg_hi:[0,1]
	v_pk_fma_f32 v[100:101], v[100:101], v[130:131], v[102:103] op_sel_hi:[1,1,0]
	s_delay_alu instid0(VALU_DEP_1) | instskip(SKIP_4) | instid1(VALU_DEP_1)
	v_mov_b32_e32 v105, v101
	ds_load_2addr_b64 v[100:103], v216 offset0:43 offset1:44
	v_pk_add_f32 v[176:177], v[176:177], v[104:105] neg_lo:[0,1] neg_hi:[0,1]
	s_wait_dscnt 0x0
	v_pk_mul_f32 v[104:105], v[100:101], v[90:91] op_sel:[0,1]
	v_pk_fma_f32 v[106:107], v[100:101], v[88:89], v[104:105] op_sel:[0,0,1] op_sel_hi:[1,1,0] neg_lo:[0,0,1] neg_hi:[0,0,1]
	v_pk_fma_f32 v[100:101], v[100:101], v[88:89], v[104:105] op_sel:[0,0,1] op_sel_hi:[1,0,0]
	s_delay_alu instid0(VALU_DEP_1) | instskip(SKIP_1) | instid1(VALU_DEP_1)
	v_mov_b32_e32 v107, v101
	v_pk_mul_f32 v[100:101], v[102:103], v[90:91] op_sel:[0,1]
	v_pk_fma_f32 v[104:105], v[102:103], v[88:89], v[100:101] op_sel:[0,0,1] op_sel_hi:[1,1,0] neg_lo:[0,0,1] neg_hi:[0,0,1]
	v_pk_fma_f32 v[100:101], v[102:103], v[88:89], v[100:101] op_sel:[0,0,1] op_sel_hi:[1,0,0]
	s_delay_alu instid0(VALU_DEP_1)
	v_mov_b32_e32 v105, v101
	ds_load_2addr_b64 v[100:103], v216 offset0:45 offset1:46
	v_pk_add_f32 v[172:173], v[172:173], v[106:107] neg_lo:[0,1] neg_hi:[0,1]
	v_pk_add_f32 v[194:195], v[194:195], v[104:105] neg_lo:[0,1] neg_hi:[0,1]
	s_wait_dscnt 0x0
	v_pk_mul_f32 v[104:105], v[100:101], v[90:91] op_sel:[0,1]
	s_delay_alu instid0(VALU_DEP_1) | instskip(SKIP_1) | instid1(VALU_DEP_1)
	v_pk_fma_f32 v[106:107], v[100:101], v[88:89], v[104:105] op_sel:[0,0,1] op_sel_hi:[1,1,0] neg_lo:[0,0,1] neg_hi:[0,0,1]
	v_pk_fma_f32 v[100:101], v[100:101], v[88:89], v[104:105] op_sel:[0,0,1] op_sel_hi:[1,0,0]
	v_mov_b32_e32 v107, v101
	v_pk_mul_f32 v[100:101], v[102:103], v[90:91] op_sel:[0,1]
	s_delay_alu instid0(VALU_DEP_1) | instskip(SKIP_1) | instid1(VALU_DEP_1)
	v_pk_fma_f32 v[104:105], v[102:103], v[88:89], v[100:101] op_sel:[0,0,1] op_sel_hi:[1,1,0] neg_lo:[0,0,1] neg_hi:[0,0,1]
	v_pk_fma_f32 v[100:101], v[102:103], v[88:89], v[100:101] op_sel:[0,0,1] op_sel_hi:[1,0,0]
	v_mov_b32_e32 v105, v101
	ds_load_2addr_b64 v[100:103], v216 offset0:47 offset1:48
	v_pk_add_f32 v[190:191], v[190:191], v[106:107] neg_lo:[0,1] neg_hi:[0,1]
	v_pk_add_f32 v[192:193], v[192:193], v[104:105] neg_lo:[0,1] neg_hi:[0,1]
	s_wait_dscnt 0x0
	v_dual_mul_f32 v104, v101, v91 :: v_dual_mul_f32 v106, v101, v88
	s_delay_alu instid0(VALU_DEP_1) | instskip(NEXT) | instid1(VALU_DEP_2)
	v_pk_fma_f32 v[104:105], v[100:101], v[130:131], v[104:105] op_sel_hi:[1,1,0] neg_lo:[0,0,1] neg_hi:[0,0,1]
	v_pk_fma_f32 v[100:101], v[100:101], v[130:131], v[106:107] op_sel:[1,0,0] op_sel_hi:[0,1,0]
	s_delay_alu instid0(VALU_DEP_1) | instskip(SKIP_1) | instid1(VALU_DEP_2)
	v_mov_b32_e32 v105, v101
	v_pk_mul_f32 v[100:101], v[102:103], v[90:91] op_sel:[0,1]
	v_pk_add_f32 v[188:189], v[188:189], v[104:105] neg_lo:[0,1] neg_hi:[0,1]
	s_delay_alu instid0(VALU_DEP_2) | instskip(SKIP_1) | instid1(VALU_DEP_1)
	v_pk_fma_f32 v[104:105], v[102:103], v[88:89], v[100:101] op_sel:[0,0,1] op_sel_hi:[1,1,0] neg_lo:[0,0,1] neg_hi:[0,0,1]
	v_pk_fma_f32 v[100:101], v[102:103], v[88:89], v[100:101] op_sel:[0,0,1] op_sel_hi:[1,0,0]
	v_mov_b32_e32 v105, v101
	ds_load_2addr_b64 v[100:103], v216 offset0:49 offset1:50
	v_pk_add_f32 v[214:215], v[214:215], v[104:105] neg_lo:[0,1] neg_hi:[0,1]
	s_wait_dscnt 0x0
	v_pk_mul_f32 v[104:105], v[100:101], v[90:91] op_sel:[0,1]
	s_delay_alu instid0(VALU_DEP_1) | instskip(SKIP_1) | instid1(VALU_DEP_1)
	v_pk_fma_f32 v[106:107], v[100:101], v[88:89], v[104:105] op_sel:[0,0,1] op_sel_hi:[1,1,0] neg_lo:[0,0,1] neg_hi:[0,0,1]
	v_pk_fma_f32 v[100:101], v[100:101], v[88:89], v[104:105] op_sel:[0,0,1] op_sel_hi:[1,0,0]
	v_mov_b32_e32 v107, v101
	v_pk_mul_f32 v[100:101], v[102:103], v[90:91] op_sel:[0,1]
	s_delay_alu instid0(VALU_DEP_2) | instskip(NEXT) | instid1(VALU_DEP_2)
	v_pk_add_f32 v[210:211], v[210:211], v[106:107] neg_lo:[0,1] neg_hi:[0,1]
	v_pk_fma_f32 v[104:105], v[102:103], v[88:89], v[100:101] op_sel:[0,0,1] op_sel_hi:[1,1,0] neg_lo:[0,0,1] neg_hi:[0,0,1]
	v_pk_fma_f32 v[100:101], v[102:103], v[88:89], v[100:101] op_sel:[0,0,1] op_sel_hi:[1,0,0]
	s_delay_alu instid0(VALU_DEP_1) | instskip(SKIP_4) | instid1(VALU_DEP_1)
	v_mov_b32_e32 v105, v101
	ds_load_2addr_b64 v[100:103], v216 offset0:51 offset1:52
	v_pk_add_f32 v[212:213], v[212:213], v[104:105] neg_lo:[0,1] neg_hi:[0,1]
	s_wait_dscnt 0x0
	v_pk_mul_f32 v[104:105], v[100:101], v[90:91] op_sel:[0,1]
	v_pk_fma_f32 v[106:107], v[100:101], v[88:89], v[104:105] op_sel:[0,0,1] op_sel_hi:[1,1,0] neg_lo:[0,0,1] neg_hi:[0,0,1]
	v_pk_fma_f32 v[100:101], v[100:101], v[88:89], v[104:105] op_sel:[0,0,1] op_sel_hi:[1,0,0]
	v_dual_mul_f32 v104, v103, v91 :: v_dual_mov_b32 v100, v103
	s_delay_alu instid0(VALU_DEP_2) | instskip(NEXT) | instid1(VALU_DEP_2)
	v_dual_mov_b32 v107, v101 :: v_dual_mov_b32 v101, v102
	v_pk_fma_f32 v[104:105], v[102:103], v[130:131], v[104:105] op_sel_hi:[1,1,0] neg_lo:[0,0,1] neg_hi:[0,0,1]
	v_mul_f32_e32 v102, v103, v88
	s_delay_alu instid0(VALU_DEP_3) | instskip(NEXT) | instid1(VALU_DEP_2)
	v_pk_add_f32 v[208:209], v[208:209], v[106:107] neg_lo:[0,1] neg_hi:[0,1]
	v_pk_fma_f32 v[100:101], v[100:101], v[130:131], v[102:103] op_sel_hi:[1,1,0]
	s_delay_alu instid0(VALU_DEP_1) | instskip(SKIP_4) | instid1(VALU_DEP_1)
	v_mov_b32_e32 v105, v101
	ds_load_2addr_b64 v[100:103], v216 offset0:53 offset1:54
	v_pk_add_f32 v[236:237], v[236:237], v[104:105] neg_lo:[0,1] neg_hi:[0,1]
	s_wait_dscnt 0x0
	v_pk_mul_f32 v[104:105], v[100:101], v[90:91] op_sel:[0,1]
	v_pk_fma_f32 v[106:107], v[100:101], v[88:89], v[104:105] op_sel:[0,0,1] op_sel_hi:[1,1,0] neg_lo:[0,0,1] neg_hi:[0,0,1]
	v_pk_fma_f32 v[100:101], v[100:101], v[88:89], v[104:105] op_sel:[0,0,1] op_sel_hi:[1,0,0]
	s_delay_alu instid0(VALU_DEP_1) | instskip(SKIP_1) | instid1(VALU_DEP_1)
	v_mov_b32_e32 v107, v101
	v_pk_mul_f32 v[100:101], v[102:103], v[90:91] op_sel:[0,1]
	v_pk_fma_f32 v[104:105], v[102:103], v[88:89], v[100:101] op_sel:[0,0,1] op_sel_hi:[1,1,0] neg_lo:[0,0,1] neg_hi:[0,0,1]
	v_pk_fma_f32 v[100:101], v[102:103], v[88:89], v[100:101] op_sel:[0,0,1] op_sel_hi:[1,0,0]
	s_delay_alu instid0(VALU_DEP_1)
	v_mov_b32_e32 v105, v101
	ds_load_2addr_b64 v[100:103], v216 offset0:55 offset1:56
	v_pk_add_f32 v[230:231], v[230:231], v[106:107] neg_lo:[0,1] neg_hi:[0,1]
	v_pk_add_f32 v[234:235], v[234:235], v[104:105] neg_lo:[0,1] neg_hi:[0,1]
	s_wait_dscnt 0x0
	v_pk_mul_f32 v[104:105], v[100:101], v[90:91] op_sel:[0,1]
	s_delay_alu instid0(VALU_DEP_1) | instskip(SKIP_1) | instid1(VALU_DEP_1)
	v_pk_fma_f32 v[106:107], v[100:101], v[88:89], v[104:105] op_sel:[0,0,1] op_sel_hi:[1,1,0] neg_lo:[0,0,1] neg_hi:[0,0,1]
	v_pk_fma_f32 v[100:101], v[100:101], v[88:89], v[104:105] op_sel:[0,0,1] op_sel_hi:[1,0,0]
	v_mov_b32_e32 v107, v101
	v_pk_mul_f32 v[100:101], v[102:103], v[90:91] op_sel:[0,1]
	s_delay_alu instid0(VALU_DEP_1) | instskip(SKIP_1) | instid1(VALU_DEP_1)
	v_pk_fma_f32 v[104:105], v[102:103], v[88:89], v[100:101] op_sel:[0,0,1] op_sel_hi:[1,1,0] neg_lo:[0,0,1] neg_hi:[0,0,1]
	v_pk_fma_f32 v[100:101], v[102:103], v[88:89], v[100:101] op_sel:[0,0,1] op_sel_hi:[1,0,0]
	v_mov_b32_e32 v105, v101
	ds_load_2addr_b64 v[100:103], v216 offset0:57 offset1:58
	v_pk_add_f32 v[228:229], v[228:229], v[106:107] neg_lo:[0,1] neg_hi:[0,1]
	v_pk_add_f32 v[232:233], v[232:233], v[104:105] neg_lo:[0,1] neg_hi:[0,1]
	s_wait_dscnt 0x0
	v_dual_mul_f32 v104, v101, v91 :: v_dual_mul_f32 v106, v101, v88
	s_delay_alu instid0(VALU_DEP_1) | instskip(NEXT) | instid1(VALU_DEP_2)
	v_pk_fma_f32 v[104:105], v[100:101], v[130:131], v[104:105] op_sel_hi:[1,1,0] neg_lo:[0,0,1] neg_hi:[0,0,1]
	v_pk_fma_f32 v[100:101], v[100:101], v[130:131], v[106:107] op_sel:[1,0,0] op_sel_hi:[0,1,0]
	s_delay_alu instid0(VALU_DEP_1) | instskip(SKIP_1) | instid1(VALU_DEP_2)
	v_mov_b32_e32 v105, v101
	v_pk_mul_f32 v[100:101], v[102:103], v[90:91] op_sel:[0,1]
	v_pk_add_f32 v[226:227], v[226:227], v[104:105] neg_lo:[0,1] neg_hi:[0,1]
	s_delay_alu instid0(VALU_DEP_2) | instskip(SKIP_1) | instid1(VALU_DEP_1)
	v_pk_fma_f32 v[104:105], v[102:103], v[88:89], v[100:101] op_sel:[0,0,1] op_sel_hi:[1,1,0] neg_lo:[0,0,1] neg_hi:[0,0,1]
	v_pk_fma_f32 v[100:101], v[102:103], v[88:89], v[100:101] op_sel:[0,0,1] op_sel_hi:[1,0,0]
	v_mov_b32_e32 v105, v101
	ds_load_b64 v[100:101], v216 offset:472
	v_pk_add_f32 v[238:239], v[238:239], v[104:105] neg_lo:[0,1] neg_hi:[0,1]
	s_wait_dscnt 0x0
	v_pk_mul_f32 v[90:91], v[100:101], v[90:91] op_sel:[0,1]
	s_delay_alu instid0(VALU_DEP_1) | instskip(SKIP_1) | instid1(VALU_DEP_1)
	v_pk_fma_f32 v[102:103], v[100:101], v[88:89], v[90:91] op_sel:[0,0,1] op_sel_hi:[1,1,0] neg_lo:[0,0,1] neg_hi:[0,0,1]
	v_pk_fma_f32 v[88:89], v[100:101], v[88:89], v[90:91] op_sel:[0,0,1] op_sel_hi:[1,0,0]
	v_mov_b32_e32 v103, v89
	s_delay_alu instid0(VALU_DEP_1)
	v_pk_add_f32 v[240:241], v[240:241], v[102:103] neg_lo:[0,1] neg_hi:[0,1]
.LBB119_262:
	s_or_b32 exec_lo, exec_lo, s1
	s_delay_alu instid0(SALU_CYCLE_1)
	s_mov_b32 s2, exec_lo
	s_wait_dscnt 0x0
	s_barrier_signal -1
	s_barrier_wait -1
	v_cmpx_eq_u32_e32 29, v206
	s_cbranch_execz .LBB119_269
; %bb.263:
	v_dual_mov_b32 v88, v128 :: v_dual_mov_b32 v89, v129
	v_dual_mov_b32 v90, v124 :: v_dual_mov_b32 v91, v125
	ds_store_b64 v207, v[126:127]
	ds_store_2addr_b64 v216, v[88:89], v[90:91] offset0:30 offset1:31
	v_dual_mov_b32 v88, v146 :: v_dual_mov_b32 v89, v147
	v_dual_mov_b32 v90, v142 :: v_dual_mov_b32 v91, v143
	ds_store_2addr_b64 v216, v[88:89], v[90:91] offset0:32 offset1:33
	v_dual_mov_b32 v88, v144 :: v_dual_mov_b32 v89, v145
	v_dual_mov_b32 v90, v140 :: v_dual_mov_b32 v91, v141
	;; [unrolled: 3-line block ×13, first 2 shown]
	ds_store_2addr_b64 v216, v[88:89], v[90:91] offset0:56 offset1:57
	v_dual_mov_b32 v88, v238 :: v_dual_mov_b32 v89, v239
	ds_store_2addr_b64 v216, v[88:89], v[240:241] offset0:58 offset1:59
	ds_load_b64 v[88:89], v207
	s_wait_dscnt 0x0
	v_cmp_neq_f32_e32 vcc_lo, 0, v88
	v_cmp_neq_f32_e64 s1, 0, v89
	s_or_b32 s1, vcc_lo, s1
	s_delay_alu instid0(SALU_CYCLE_1)
	s_and_b32 exec_lo, exec_lo, s1
	s_cbranch_execz .LBB119_269
; %bb.264:
	v_cmp_ngt_f32_e64 s1, |v88|, |v89|
                                        ; implicit-def: $vgpr90_vgpr91
	s_and_saveexec_b32 s4, s1
	s_delay_alu instid0(SALU_CYCLE_1)
	s_xor_b32 s1, exec_lo, s4
	s_cbranch_execz .LBB119_266
; %bb.265:
	v_div_scale_f32 v90, null, v89, v89, v88
	v_div_scale_f32 v101, vcc_lo, v88, v89, v88
	s_delay_alu instid0(VALU_DEP_2) | instskip(SKIP_1) | instid1(TRANS32_DEP_1)
	v_rcp_f32_e32 v91, v90
	v_nop
	v_fma_f32 v100, -v90, v91, 1.0
	s_delay_alu instid0(VALU_DEP_1) | instskip(NEXT) | instid1(VALU_DEP_1)
	v_fmac_f32_e32 v91, v100, v91
	v_mul_f32_e32 v100, v101, v91
	s_delay_alu instid0(VALU_DEP_1) | instskip(NEXT) | instid1(VALU_DEP_1)
	v_fma_f32 v102, -v90, v100, v101
	v_fmac_f32_e32 v100, v102, v91
	s_delay_alu instid0(VALU_DEP_1) | instskip(NEXT) | instid1(VALU_DEP_1)
	v_fma_f32 v90, -v90, v100, v101
	v_div_fmas_f32 v90, v90, v91, v100
	s_delay_alu instid0(VALU_DEP_1) | instskip(NEXT) | instid1(VALU_DEP_1)
	v_div_fixup_f32 v90, v90, v89, v88
	v_fmac_f32_e32 v89, v88, v90
	s_delay_alu instid0(VALU_DEP_1) | instskip(SKIP_1) | instid1(VALU_DEP_2)
	v_div_scale_f32 v88, null, v89, v89, 1.0
	v_div_scale_f32 v101, vcc_lo, 1.0, v89, 1.0
	v_rcp_f32_e32 v91, v88
	v_nop
	s_delay_alu instid0(TRANS32_DEP_1) | instskip(NEXT) | instid1(VALU_DEP_1)
	v_fma_f32 v100, -v88, v91, 1.0
	v_fmac_f32_e32 v91, v100, v91
	s_delay_alu instid0(VALU_DEP_1) | instskip(NEXT) | instid1(VALU_DEP_1)
	v_mul_f32_e32 v100, v101, v91
	v_fma_f32 v102, -v88, v100, v101
	s_delay_alu instid0(VALU_DEP_1) | instskip(NEXT) | instid1(VALU_DEP_1)
	v_fmac_f32_e32 v100, v102, v91
	v_fma_f32 v88, -v88, v100, v101
	s_delay_alu instid0(VALU_DEP_1) | instskip(NEXT) | instid1(VALU_DEP_1)
	v_div_fmas_f32 v88, v88, v91, v100
	v_div_fixup_f32 v88, v88, v89, 1.0
	s_delay_alu instid0(VALU_DEP_1)
	v_mul_f32_e32 v90, v90, v88
	v_xor_b32_e32 v91, 0x80000000, v88
                                        ; implicit-def: $vgpr88_vgpr89
.LBB119_266:
	s_and_not1_saveexec_b32 s1, s1
	s_cbranch_execz .LBB119_268
; %bb.267:
	v_div_scale_f32 v90, null, v88, v88, v89
	v_div_scale_f32 v101, vcc_lo, v89, v88, v89
	s_delay_alu instid0(VALU_DEP_2) | instskip(SKIP_1) | instid1(TRANS32_DEP_1)
	v_rcp_f32_e32 v91, v90
	v_nop
	v_fma_f32 v100, -v90, v91, 1.0
	s_delay_alu instid0(VALU_DEP_1) | instskip(NEXT) | instid1(VALU_DEP_1)
	v_fmac_f32_e32 v91, v100, v91
	v_mul_f32_e32 v100, v101, v91
	s_delay_alu instid0(VALU_DEP_1) | instskip(NEXT) | instid1(VALU_DEP_1)
	v_fma_f32 v102, -v90, v100, v101
	v_fmac_f32_e32 v100, v102, v91
	s_delay_alu instid0(VALU_DEP_1) | instskip(NEXT) | instid1(VALU_DEP_1)
	v_fma_f32 v90, -v90, v100, v101
	v_div_fmas_f32 v90, v90, v91, v100
	s_delay_alu instid0(VALU_DEP_1) | instskip(NEXT) | instid1(VALU_DEP_1)
	v_div_fixup_f32 v91, v90, v88, v89
	v_fmac_f32_e32 v88, v89, v91
	s_delay_alu instid0(VALU_DEP_1) | instskip(NEXT) | instid1(VALU_DEP_1)
	v_div_scale_f32 v89, null, v88, v88, 1.0
	v_rcp_f32_e32 v90, v89
	v_nop
	s_delay_alu instid0(TRANS32_DEP_1) | instskip(NEXT) | instid1(VALU_DEP_1)
	v_fma_f32 v100, -v89, v90, 1.0
	v_fmac_f32_e32 v90, v100, v90
	v_div_scale_f32 v100, vcc_lo, 1.0, v88, 1.0
	s_delay_alu instid0(VALU_DEP_1) | instskip(NEXT) | instid1(VALU_DEP_1)
	v_mul_f32_e32 v101, v100, v90
	v_fma_f32 v102, -v89, v101, v100
	s_delay_alu instid0(VALU_DEP_1) | instskip(NEXT) | instid1(VALU_DEP_1)
	v_fmac_f32_e32 v101, v102, v90
	v_fma_f32 v89, -v89, v101, v100
	s_delay_alu instid0(VALU_DEP_1) | instskip(NEXT) | instid1(VALU_DEP_1)
	v_div_fmas_f32 v89, v89, v90, v101
	v_div_fixup_f32 v90, v89, v88, 1.0
	s_delay_alu instid0(VALU_DEP_1)
	v_mul_f32_e64 v91, v91, -v90
.LBB119_268:
	s_or_b32 exec_lo, exec_lo, s1
	ds_store_b64 v207, v[90:91]
.LBB119_269:
	s_or_b32 exec_lo, exec_lo, s2
	s_wait_dscnt 0x0
	s_barrier_signal -1
	s_barrier_wait -1
	ds_load_b64 v[88:89], v207
	s_mov_b32 s1, exec_lo
	v_cmpx_lt_u32_e32 29, v206
	s_cbranch_execz .LBB119_271
; %bb.270:
	ds_load_2addr_b64 v[102:105], v216 offset0:30 offset1:31
	s_wait_dscnt 0x1
	v_pk_mul_f32 v[100:101], v[88:89], v[126:127] op_sel:[1,1] op_sel_hi:[0,1]
	s_delay_alu instid0(VALU_DEP_1) | instskip(SKIP_1) | instid1(VALU_DEP_1)
	v_pk_fma_f32 v[90:91], v[88:89], v[126:127], v[100:101] op_sel_hi:[1,0,1] neg_lo:[0,0,1] neg_hi:[0,0,1]
	v_pk_fma_f32 v[100:101], v[88:89], v[126:127], v[100:101] op_sel_hi:[1,0,1]
	v_dual_mov_b32 v126, v90 :: v_dual_mov_b32 v127, v101
	s_wait_dscnt 0x0
	s_delay_alu instid0(VALU_DEP_2) | instskip(NEXT) | instid1(VALU_DEP_1)
	v_pk_mul_f32 v[106:107], v[102:103], v[100:101] op_sel:[0,1]
	v_pk_fma_f32 v[116:117], v[102:103], v[90:91], v[106:107] op_sel:[0,0,1] op_sel_hi:[1,1,0] neg_lo:[0,0,1] neg_hi:[0,0,1]
	v_pk_fma_f32 v[102:103], v[102:103], v[90:91], v[106:107] op_sel:[0,0,1] op_sel_hi:[1,0,0]
	s_delay_alu instid0(VALU_DEP_1) | instskip(SKIP_1) | instid1(VALU_DEP_1)
	v_mov_b32_e32 v117, v103
	v_pk_mul_f32 v[102:103], v[104:105], v[100:101] op_sel:[0,1]
	v_pk_fma_f32 v[106:107], v[104:105], v[90:91], v[102:103] op_sel:[0,0,1] op_sel_hi:[1,1,0] neg_lo:[0,0,1] neg_hi:[0,0,1]
	v_pk_fma_f32 v[102:103], v[104:105], v[90:91], v[102:103] op_sel:[0,0,1] op_sel_hi:[1,0,0]
	s_delay_alu instid0(VALU_DEP_1)
	v_mov_b32_e32 v107, v103
	ds_load_2addr_b64 v[102:105], v216 offset0:32 offset1:33
	v_pk_add_f32 v[128:129], v[128:129], v[116:117] neg_lo:[0,1] neg_hi:[0,1]
	v_pk_add_f32 v[124:125], v[124:125], v[106:107] neg_lo:[0,1] neg_hi:[0,1]
	s_wait_dscnt 0x0
	v_pk_mul_f32 v[106:107], v[102:103], v[100:101] op_sel:[0,1]
	s_delay_alu instid0(VALU_DEP_1) | instskip(SKIP_2) | instid1(VALU_DEP_2)
	v_pk_fma_f32 v[116:117], v[102:103], v[90:91], v[106:107] op_sel:[0,0,1] op_sel_hi:[1,1,0] neg_lo:[0,0,1] neg_hi:[0,0,1]
	v_pk_fma_f32 v[102:103], v[102:103], v[90:91], v[106:107] op_sel:[0,0,1] op_sel_hi:[1,0,0]
	v_dual_mul_f32 v106, v105, v101 :: v_dual_mov_b32 v102, v105
	v_dual_mov_b32 v117, v103 :: v_dual_mov_b32 v103, v104
	s_delay_alu instid0(VALU_DEP_2) | instskip(SKIP_1) | instid1(VALU_DEP_3)
	v_pk_fma_f32 v[106:107], v[104:105], v[126:127], v[106:107] op_sel_hi:[1,1,0] neg_lo:[0,0,1] neg_hi:[0,0,1]
	v_mul_f32_e32 v104, v105, v90
	v_pk_add_f32 v[146:147], v[146:147], v[116:117] neg_lo:[0,1] neg_hi:[0,1]
	s_delay_alu instid0(VALU_DEP_2) | instskip(NEXT) | instid1(VALU_DEP_1)
	v_pk_fma_f32 v[102:103], v[102:103], v[126:127], v[104:105] op_sel_hi:[1,1,0]
	v_mov_b32_e32 v107, v103
	ds_load_2addr_b64 v[102:105], v216 offset0:34 offset1:35
	v_pk_add_f32 v[142:143], v[142:143], v[106:107] neg_lo:[0,1] neg_hi:[0,1]
	s_wait_dscnt 0x0
	v_pk_mul_f32 v[106:107], v[102:103], v[100:101] op_sel:[0,1]
	s_delay_alu instid0(VALU_DEP_1) | instskip(SKIP_1) | instid1(VALU_DEP_1)
	v_pk_fma_f32 v[116:117], v[102:103], v[90:91], v[106:107] op_sel:[0,0,1] op_sel_hi:[1,1,0] neg_lo:[0,0,1] neg_hi:[0,0,1]
	v_pk_fma_f32 v[102:103], v[102:103], v[90:91], v[106:107] op_sel:[0,0,1] op_sel_hi:[1,0,0]
	v_mov_b32_e32 v117, v103
	v_pk_mul_f32 v[102:103], v[104:105], v[100:101] op_sel:[0,1]
	s_delay_alu instid0(VALU_DEP_1) | instskip(SKIP_1) | instid1(VALU_DEP_1)
	v_pk_fma_f32 v[106:107], v[104:105], v[90:91], v[102:103] op_sel:[0,0,1] op_sel_hi:[1,1,0] neg_lo:[0,0,1] neg_hi:[0,0,1]
	v_pk_fma_f32 v[102:103], v[104:105], v[90:91], v[102:103] op_sel:[0,0,1] op_sel_hi:[1,0,0]
	v_mov_b32_e32 v107, v103
	ds_load_2addr_b64 v[102:105], v216 offset0:36 offset1:37
	v_pk_add_f32 v[144:145], v[144:145], v[116:117] neg_lo:[0,1] neg_hi:[0,1]
	v_pk_add_f32 v[140:141], v[140:141], v[106:107] neg_lo:[0,1] neg_hi:[0,1]
	s_wait_dscnt 0x0
	v_pk_mul_f32 v[106:107], v[102:103], v[100:101] op_sel:[0,1]
	s_delay_alu instid0(VALU_DEP_1) | instskip(SKIP_1) | instid1(VALU_DEP_1)
	v_pk_fma_f32 v[116:117], v[102:103], v[90:91], v[106:107] op_sel:[0,0,1] op_sel_hi:[1,1,0] neg_lo:[0,0,1] neg_hi:[0,0,1]
	v_pk_fma_f32 v[102:103], v[102:103], v[90:91], v[106:107] op_sel:[0,0,1] op_sel_hi:[1,0,0]
	v_mov_b32_e32 v117, v103
	v_pk_mul_f32 v[102:103], v[104:105], v[100:101] op_sel:[0,1]
	s_delay_alu instid0(VALU_DEP_1) | instskip(SKIP_1) | instid1(VALU_DEP_1)
	v_pk_fma_f32 v[106:107], v[104:105], v[90:91], v[102:103] op_sel:[0,0,1] op_sel_hi:[1,1,0] neg_lo:[0,0,1] neg_hi:[0,0,1]
	v_pk_fma_f32 v[102:103], v[104:105], v[90:91], v[102:103] op_sel:[0,0,1] op_sel_hi:[1,0,0]
	v_mov_b32_e32 v107, v103
	ds_load_2addr_b64 v[102:105], v216 offset0:38 offset1:39
	v_pk_add_f32 v[162:163], v[162:163], v[116:117] neg_lo:[0,1] neg_hi:[0,1]
	v_pk_add_f32 v[158:159], v[158:159], v[106:107] neg_lo:[0,1] neg_hi:[0,1]
	s_wait_dscnt 0x0
	v_dual_mul_f32 v106, v103, v101 :: v_dual_mul_f32 v116, v103, v90
	s_delay_alu instid0(VALU_DEP_1) | instskip(NEXT) | instid1(VALU_DEP_2)
	v_pk_fma_f32 v[106:107], v[102:103], v[126:127], v[106:107] op_sel_hi:[1,1,0] neg_lo:[0,0,1] neg_hi:[0,0,1]
	v_pk_fma_f32 v[102:103], v[102:103], v[126:127], v[116:117] op_sel:[1,0,0] op_sel_hi:[0,1,0]
	s_delay_alu instid0(VALU_DEP_1) | instskip(SKIP_1) | instid1(VALU_DEP_2)
	v_mov_b32_e32 v107, v103
	v_pk_mul_f32 v[102:103], v[104:105], v[100:101] op_sel:[0,1]
	v_pk_add_f32 v[160:161], v[160:161], v[106:107] neg_lo:[0,1] neg_hi:[0,1]
	s_delay_alu instid0(VALU_DEP_2) | instskip(SKIP_1) | instid1(VALU_DEP_1)
	v_pk_fma_f32 v[106:107], v[104:105], v[90:91], v[102:103] op_sel:[0,0,1] op_sel_hi:[1,1,0] neg_lo:[0,0,1] neg_hi:[0,0,1]
	v_pk_fma_f32 v[102:103], v[104:105], v[90:91], v[102:103] op_sel:[0,0,1] op_sel_hi:[1,0,0]
	v_mov_b32_e32 v107, v103
	ds_load_2addr_b64 v[102:105], v216 offset0:40 offset1:41
	v_pk_add_f32 v[156:157], v[156:157], v[106:107] neg_lo:[0,1] neg_hi:[0,1]
	s_wait_dscnt 0x0
	v_pk_mul_f32 v[106:107], v[102:103], v[100:101] op_sel:[0,1]
	s_delay_alu instid0(VALU_DEP_1) | instskip(SKIP_1) | instid1(VALU_DEP_1)
	v_pk_fma_f32 v[116:117], v[102:103], v[90:91], v[106:107] op_sel:[0,0,1] op_sel_hi:[1,1,0] neg_lo:[0,0,1] neg_hi:[0,0,1]
	v_pk_fma_f32 v[102:103], v[102:103], v[90:91], v[106:107] op_sel:[0,0,1] op_sel_hi:[1,0,0]
	v_mov_b32_e32 v117, v103
	v_pk_mul_f32 v[102:103], v[104:105], v[100:101] op_sel:[0,1]
	s_delay_alu instid0(VALU_DEP_2) | instskip(NEXT) | instid1(VALU_DEP_2)
	v_pk_add_f32 v[178:179], v[178:179], v[116:117] neg_lo:[0,1] neg_hi:[0,1]
	v_pk_fma_f32 v[106:107], v[104:105], v[90:91], v[102:103] op_sel:[0,0,1] op_sel_hi:[1,1,0] neg_lo:[0,0,1] neg_hi:[0,0,1]
	v_pk_fma_f32 v[102:103], v[104:105], v[90:91], v[102:103] op_sel:[0,0,1] op_sel_hi:[1,0,0]
	s_delay_alu instid0(VALU_DEP_1) | instskip(SKIP_4) | instid1(VALU_DEP_1)
	v_mov_b32_e32 v107, v103
	ds_load_2addr_b64 v[102:105], v216 offset0:42 offset1:43
	v_pk_add_f32 v[174:175], v[174:175], v[106:107] neg_lo:[0,1] neg_hi:[0,1]
	s_wait_dscnt 0x0
	v_pk_mul_f32 v[106:107], v[102:103], v[100:101] op_sel:[0,1]
	v_pk_fma_f32 v[116:117], v[102:103], v[90:91], v[106:107] op_sel:[0,0,1] op_sel_hi:[1,1,0] neg_lo:[0,0,1] neg_hi:[0,0,1]
	v_pk_fma_f32 v[102:103], v[102:103], v[90:91], v[106:107] op_sel:[0,0,1] op_sel_hi:[1,0,0]
	v_dual_mul_f32 v106, v105, v101 :: v_dual_mov_b32 v102, v105
	s_delay_alu instid0(VALU_DEP_2) | instskip(NEXT) | instid1(VALU_DEP_2)
	v_dual_mov_b32 v117, v103 :: v_dual_mov_b32 v103, v104
	v_pk_fma_f32 v[106:107], v[104:105], v[126:127], v[106:107] op_sel_hi:[1,1,0] neg_lo:[0,0,1] neg_hi:[0,0,1]
	v_mul_f32_e32 v104, v105, v90
	s_delay_alu instid0(VALU_DEP_3) | instskip(NEXT) | instid1(VALU_DEP_2)
	v_pk_add_f32 v[176:177], v[176:177], v[116:117] neg_lo:[0,1] neg_hi:[0,1]
	v_pk_fma_f32 v[102:103], v[102:103], v[126:127], v[104:105] op_sel_hi:[1,1,0]
	s_delay_alu instid0(VALU_DEP_1) | instskip(SKIP_4) | instid1(VALU_DEP_1)
	v_mov_b32_e32 v107, v103
	ds_load_2addr_b64 v[102:105], v216 offset0:44 offset1:45
	v_pk_add_f32 v[172:173], v[172:173], v[106:107] neg_lo:[0,1] neg_hi:[0,1]
	s_wait_dscnt 0x0
	v_pk_mul_f32 v[106:107], v[102:103], v[100:101] op_sel:[0,1]
	v_pk_fma_f32 v[116:117], v[102:103], v[90:91], v[106:107] op_sel:[0,0,1] op_sel_hi:[1,1,0] neg_lo:[0,0,1] neg_hi:[0,0,1]
	v_pk_fma_f32 v[102:103], v[102:103], v[90:91], v[106:107] op_sel:[0,0,1] op_sel_hi:[1,0,0]
	s_delay_alu instid0(VALU_DEP_1) | instskip(SKIP_1) | instid1(VALU_DEP_1)
	v_mov_b32_e32 v117, v103
	v_pk_mul_f32 v[102:103], v[104:105], v[100:101] op_sel:[0,1]
	v_pk_fma_f32 v[106:107], v[104:105], v[90:91], v[102:103] op_sel:[0,0,1] op_sel_hi:[1,1,0] neg_lo:[0,0,1] neg_hi:[0,0,1]
	v_pk_fma_f32 v[102:103], v[104:105], v[90:91], v[102:103] op_sel:[0,0,1] op_sel_hi:[1,0,0]
	s_delay_alu instid0(VALU_DEP_1)
	v_mov_b32_e32 v107, v103
	ds_load_2addr_b64 v[102:105], v216 offset0:46 offset1:47
	v_pk_add_f32 v[194:195], v[194:195], v[116:117] neg_lo:[0,1] neg_hi:[0,1]
	v_pk_add_f32 v[190:191], v[190:191], v[106:107] neg_lo:[0,1] neg_hi:[0,1]
	s_wait_dscnt 0x0
	v_pk_mul_f32 v[106:107], v[102:103], v[100:101] op_sel:[0,1]
	s_delay_alu instid0(VALU_DEP_1) | instskip(SKIP_1) | instid1(VALU_DEP_1)
	v_pk_fma_f32 v[116:117], v[102:103], v[90:91], v[106:107] op_sel:[0,0,1] op_sel_hi:[1,1,0] neg_lo:[0,0,1] neg_hi:[0,0,1]
	v_pk_fma_f32 v[102:103], v[102:103], v[90:91], v[106:107] op_sel:[0,0,1] op_sel_hi:[1,0,0]
	v_mov_b32_e32 v117, v103
	v_pk_mul_f32 v[102:103], v[104:105], v[100:101] op_sel:[0,1]
	s_delay_alu instid0(VALU_DEP_1) | instskip(SKIP_1) | instid1(VALU_DEP_1)
	v_pk_fma_f32 v[106:107], v[104:105], v[90:91], v[102:103] op_sel:[0,0,1] op_sel_hi:[1,1,0] neg_lo:[0,0,1] neg_hi:[0,0,1]
	v_pk_fma_f32 v[102:103], v[104:105], v[90:91], v[102:103] op_sel:[0,0,1] op_sel_hi:[1,0,0]
	v_mov_b32_e32 v107, v103
	ds_load_2addr_b64 v[102:105], v216 offset0:48 offset1:49
	v_pk_add_f32 v[192:193], v[192:193], v[116:117] neg_lo:[0,1] neg_hi:[0,1]
	v_pk_add_f32 v[188:189], v[188:189], v[106:107] neg_lo:[0,1] neg_hi:[0,1]
	s_wait_dscnt 0x0
	v_dual_mul_f32 v106, v103, v101 :: v_dual_mul_f32 v116, v103, v90
	s_delay_alu instid0(VALU_DEP_1) | instskip(NEXT) | instid1(VALU_DEP_2)
	v_pk_fma_f32 v[106:107], v[102:103], v[126:127], v[106:107] op_sel_hi:[1,1,0] neg_lo:[0,0,1] neg_hi:[0,0,1]
	v_pk_fma_f32 v[102:103], v[102:103], v[126:127], v[116:117] op_sel:[1,0,0] op_sel_hi:[0,1,0]
	s_delay_alu instid0(VALU_DEP_1) | instskip(SKIP_1) | instid1(VALU_DEP_2)
	v_mov_b32_e32 v107, v103
	v_pk_mul_f32 v[102:103], v[104:105], v[100:101] op_sel:[0,1]
	v_pk_add_f32 v[214:215], v[214:215], v[106:107] neg_lo:[0,1] neg_hi:[0,1]
	s_delay_alu instid0(VALU_DEP_2) | instskip(SKIP_1) | instid1(VALU_DEP_1)
	v_pk_fma_f32 v[106:107], v[104:105], v[90:91], v[102:103] op_sel:[0,0,1] op_sel_hi:[1,1,0] neg_lo:[0,0,1] neg_hi:[0,0,1]
	v_pk_fma_f32 v[102:103], v[104:105], v[90:91], v[102:103] op_sel:[0,0,1] op_sel_hi:[1,0,0]
	v_mov_b32_e32 v107, v103
	ds_load_2addr_b64 v[102:105], v216 offset0:50 offset1:51
	v_pk_add_f32 v[210:211], v[210:211], v[106:107] neg_lo:[0,1] neg_hi:[0,1]
	s_wait_dscnt 0x0
	v_pk_mul_f32 v[106:107], v[102:103], v[100:101] op_sel:[0,1]
	s_delay_alu instid0(VALU_DEP_1) | instskip(SKIP_1) | instid1(VALU_DEP_1)
	v_pk_fma_f32 v[116:117], v[102:103], v[90:91], v[106:107] op_sel:[0,0,1] op_sel_hi:[1,1,0] neg_lo:[0,0,1] neg_hi:[0,0,1]
	v_pk_fma_f32 v[102:103], v[102:103], v[90:91], v[106:107] op_sel:[0,0,1] op_sel_hi:[1,0,0]
	v_mov_b32_e32 v117, v103
	v_pk_mul_f32 v[102:103], v[104:105], v[100:101] op_sel:[0,1]
	s_delay_alu instid0(VALU_DEP_2) | instskip(NEXT) | instid1(VALU_DEP_2)
	v_pk_add_f32 v[212:213], v[212:213], v[116:117] neg_lo:[0,1] neg_hi:[0,1]
	v_pk_fma_f32 v[106:107], v[104:105], v[90:91], v[102:103] op_sel:[0,0,1] op_sel_hi:[1,1,0] neg_lo:[0,0,1] neg_hi:[0,0,1]
	v_pk_fma_f32 v[102:103], v[104:105], v[90:91], v[102:103] op_sel:[0,0,1] op_sel_hi:[1,0,0]
	s_delay_alu instid0(VALU_DEP_1) | instskip(SKIP_4) | instid1(VALU_DEP_1)
	v_mov_b32_e32 v107, v103
	ds_load_2addr_b64 v[102:105], v216 offset0:52 offset1:53
	v_pk_add_f32 v[208:209], v[208:209], v[106:107] neg_lo:[0,1] neg_hi:[0,1]
	s_wait_dscnt 0x0
	v_pk_mul_f32 v[106:107], v[102:103], v[100:101] op_sel:[0,1]
	v_pk_fma_f32 v[116:117], v[102:103], v[90:91], v[106:107] op_sel:[0,0,1] op_sel_hi:[1,1,0] neg_lo:[0,0,1] neg_hi:[0,0,1]
	v_pk_fma_f32 v[102:103], v[102:103], v[90:91], v[106:107] op_sel:[0,0,1] op_sel_hi:[1,0,0]
	v_dual_mul_f32 v106, v105, v101 :: v_dual_mov_b32 v102, v105
	s_delay_alu instid0(VALU_DEP_2) | instskip(NEXT) | instid1(VALU_DEP_2)
	v_dual_mov_b32 v117, v103 :: v_dual_mov_b32 v103, v104
	v_pk_fma_f32 v[106:107], v[104:105], v[126:127], v[106:107] op_sel_hi:[1,1,0] neg_lo:[0,0,1] neg_hi:[0,0,1]
	v_mul_f32_e32 v104, v105, v90
	s_delay_alu instid0(VALU_DEP_3) | instskip(NEXT) | instid1(VALU_DEP_2)
	v_pk_add_f32 v[236:237], v[236:237], v[116:117] neg_lo:[0,1] neg_hi:[0,1]
	v_pk_fma_f32 v[102:103], v[102:103], v[126:127], v[104:105] op_sel_hi:[1,1,0]
	s_delay_alu instid0(VALU_DEP_1) | instskip(SKIP_4) | instid1(VALU_DEP_1)
	v_mov_b32_e32 v107, v103
	ds_load_2addr_b64 v[102:105], v216 offset0:54 offset1:55
	v_pk_add_f32 v[230:231], v[230:231], v[106:107] neg_lo:[0,1] neg_hi:[0,1]
	s_wait_dscnt 0x0
	v_pk_mul_f32 v[106:107], v[102:103], v[100:101] op_sel:[0,1]
	v_pk_fma_f32 v[116:117], v[102:103], v[90:91], v[106:107] op_sel:[0,0,1] op_sel_hi:[1,1,0] neg_lo:[0,0,1] neg_hi:[0,0,1]
	v_pk_fma_f32 v[102:103], v[102:103], v[90:91], v[106:107] op_sel:[0,0,1] op_sel_hi:[1,0,0]
	s_delay_alu instid0(VALU_DEP_1) | instskip(SKIP_1) | instid1(VALU_DEP_1)
	v_mov_b32_e32 v117, v103
	v_pk_mul_f32 v[102:103], v[104:105], v[100:101] op_sel:[0,1]
	v_pk_fma_f32 v[106:107], v[104:105], v[90:91], v[102:103] op_sel:[0,0,1] op_sel_hi:[1,1,0] neg_lo:[0,0,1] neg_hi:[0,0,1]
	v_pk_fma_f32 v[102:103], v[104:105], v[90:91], v[102:103] op_sel:[0,0,1] op_sel_hi:[1,0,0]
	s_delay_alu instid0(VALU_DEP_1)
	v_mov_b32_e32 v107, v103
	ds_load_2addr_b64 v[102:105], v216 offset0:56 offset1:57
	v_pk_add_f32 v[234:235], v[234:235], v[116:117] neg_lo:[0,1] neg_hi:[0,1]
	v_pk_add_f32 v[228:229], v[228:229], v[106:107] neg_lo:[0,1] neg_hi:[0,1]
	s_wait_dscnt 0x0
	v_pk_mul_f32 v[106:107], v[102:103], v[100:101] op_sel:[0,1]
	s_delay_alu instid0(VALU_DEP_1) | instskip(SKIP_1) | instid1(VALU_DEP_1)
	v_pk_fma_f32 v[116:117], v[102:103], v[90:91], v[106:107] op_sel:[0,0,1] op_sel_hi:[1,1,0] neg_lo:[0,0,1] neg_hi:[0,0,1]
	v_pk_fma_f32 v[102:103], v[102:103], v[90:91], v[106:107] op_sel:[0,0,1] op_sel_hi:[1,0,0]
	v_mov_b32_e32 v117, v103
	v_pk_mul_f32 v[102:103], v[104:105], v[100:101] op_sel:[0,1]
	s_delay_alu instid0(VALU_DEP_1) | instskip(SKIP_1) | instid1(VALU_DEP_1)
	v_pk_fma_f32 v[106:107], v[104:105], v[90:91], v[102:103] op_sel:[0,0,1] op_sel_hi:[1,1,0] neg_lo:[0,0,1] neg_hi:[0,0,1]
	v_pk_fma_f32 v[102:103], v[104:105], v[90:91], v[102:103] op_sel:[0,0,1] op_sel_hi:[1,0,0]
	v_mov_b32_e32 v107, v103
	ds_load_2addr_b64 v[102:105], v216 offset0:58 offset1:59
	v_pk_add_f32 v[232:233], v[232:233], v[116:117] neg_lo:[0,1] neg_hi:[0,1]
	v_pk_add_f32 v[226:227], v[226:227], v[106:107] neg_lo:[0,1] neg_hi:[0,1]
	s_wait_dscnt 0x0
	v_mul_f32_e32 v100, v103, v101
	s_delay_alu instid0(VALU_DEP_1) | instskip(SKIP_1) | instid1(VALU_DEP_1)
	v_pk_fma_f32 v[106:107], v[102:103], v[126:127], v[100:101] op_sel_hi:[1,1,0] neg_lo:[0,0,1] neg_hi:[0,0,1]
	v_dual_mul_f32 v100, v103, v90 :: v_dual_mul_f32 v90, v105, v90
	v_pk_fma_f32 v[102:103], v[102:103], v[126:127], v[100:101] op_sel:[1,0,0] op_sel_hi:[0,1,0]
	v_dual_mov_b32 v102, v105 :: v_dual_mul_f32 v100, v105, v101
	s_delay_alu instid0(VALU_DEP_2) | instskip(NEXT) | instid1(VALU_DEP_2)
	v_dual_mov_b32 v107, v103 :: v_dual_mov_b32 v103, v104
	v_pk_fma_f32 v[100:101], v[104:105], v[126:127], v[100:101] op_sel_hi:[1,1,0] neg_lo:[0,0,1] neg_hi:[0,0,1]
	s_delay_alu instid0(VALU_DEP_2) | instskip(NEXT) | instid1(VALU_DEP_3)
	v_pk_add_f32 v[238:239], v[238:239], v[106:107] neg_lo:[0,1] neg_hi:[0,1]
	v_pk_fma_f32 v[90:91], v[102:103], v[126:127], v[90:91] op_sel_hi:[1,1,0]
	s_delay_alu instid0(VALU_DEP_1) | instskip(NEXT) | instid1(VALU_DEP_1)
	v_mov_b32_e32 v101, v91
	v_pk_add_f32 v[240:241], v[240:241], v[100:101] neg_lo:[0,1] neg_hi:[0,1]
.LBB119_271:
	s_or_b32 exec_lo, exec_lo, s1
	s_delay_alu instid0(SALU_CYCLE_1)
	s_mov_b32 s2, exec_lo
	s_wait_dscnt 0x0
	s_barrier_signal -1
	s_barrier_wait -1
	v_cmpx_eq_u32_e32 30, v206
	s_cbranch_execz .LBB119_278
; %bb.272:
	ds_store_b64 v207, v[128:129]
	ds_store_2addr_b64 v216, v[124:125], v[146:147] offset0:31 offset1:32
	ds_store_2addr_b64 v216, v[142:143], v[144:145] offset0:33 offset1:34
	;; [unrolled: 1-line block ×14, first 2 shown]
	ds_store_b64 v216, v[240:241] offset:472
	ds_load_b64 v[90:91], v207
	s_wait_dscnt 0x0
	v_cmp_neq_f32_e32 vcc_lo, 0, v90
	v_cmp_neq_f32_e64 s1, 0, v91
	s_or_b32 s1, vcc_lo, s1
	s_delay_alu instid0(SALU_CYCLE_1)
	s_and_b32 exec_lo, exec_lo, s1
	s_cbranch_execz .LBB119_278
; %bb.273:
	v_cmp_ngt_f32_e64 s1, |v90|, |v91|
                                        ; implicit-def: $vgpr100_vgpr101
	s_and_saveexec_b32 s4, s1
	s_delay_alu instid0(SALU_CYCLE_1)
	s_xor_b32 s1, exec_lo, s4
	s_cbranch_execz .LBB119_275
; %bb.274:
	v_div_scale_f32 v100, null, v91, v91, v90
	v_div_scale_f32 v103, vcc_lo, v90, v91, v90
	s_delay_alu instid0(VALU_DEP_2) | instskip(SKIP_1) | instid1(TRANS32_DEP_1)
	v_rcp_f32_e32 v101, v100
	v_nop
	v_fma_f32 v102, -v100, v101, 1.0
	s_delay_alu instid0(VALU_DEP_1) | instskip(NEXT) | instid1(VALU_DEP_1)
	v_fmac_f32_e32 v101, v102, v101
	v_mul_f32_e32 v102, v103, v101
	s_delay_alu instid0(VALU_DEP_1) | instskip(NEXT) | instid1(VALU_DEP_1)
	v_fma_f32 v104, -v100, v102, v103
	v_fmac_f32_e32 v102, v104, v101
	s_delay_alu instid0(VALU_DEP_1) | instskip(NEXT) | instid1(VALU_DEP_1)
	v_fma_f32 v100, -v100, v102, v103
	v_div_fmas_f32 v100, v100, v101, v102
	s_delay_alu instid0(VALU_DEP_1) | instskip(NEXT) | instid1(VALU_DEP_1)
	v_div_fixup_f32 v100, v100, v91, v90
	v_fmac_f32_e32 v91, v90, v100
	s_delay_alu instid0(VALU_DEP_1) | instskip(SKIP_1) | instid1(VALU_DEP_2)
	v_div_scale_f32 v90, null, v91, v91, 1.0
	v_div_scale_f32 v103, vcc_lo, 1.0, v91, 1.0
	v_rcp_f32_e32 v101, v90
	v_nop
	s_delay_alu instid0(TRANS32_DEP_1) | instskip(NEXT) | instid1(VALU_DEP_1)
	v_fma_f32 v102, -v90, v101, 1.0
	v_fmac_f32_e32 v101, v102, v101
	s_delay_alu instid0(VALU_DEP_1) | instskip(NEXT) | instid1(VALU_DEP_1)
	v_mul_f32_e32 v102, v103, v101
	v_fma_f32 v104, -v90, v102, v103
	s_delay_alu instid0(VALU_DEP_1) | instskip(NEXT) | instid1(VALU_DEP_1)
	v_fmac_f32_e32 v102, v104, v101
	v_fma_f32 v90, -v90, v102, v103
	s_delay_alu instid0(VALU_DEP_1) | instskip(NEXT) | instid1(VALU_DEP_1)
	v_div_fmas_f32 v90, v90, v101, v102
	v_div_fixup_f32 v90, v90, v91, 1.0
	s_delay_alu instid0(VALU_DEP_1)
	v_mul_f32_e32 v100, v100, v90
	v_xor_b32_e32 v101, 0x80000000, v90
                                        ; implicit-def: $vgpr90_vgpr91
.LBB119_275:
	s_and_not1_saveexec_b32 s1, s1
	s_cbranch_execz .LBB119_277
; %bb.276:
	v_div_scale_f32 v100, null, v90, v90, v91
	v_div_scale_f32 v103, vcc_lo, v91, v90, v91
	s_delay_alu instid0(VALU_DEP_2) | instskip(SKIP_1) | instid1(TRANS32_DEP_1)
	v_rcp_f32_e32 v101, v100
	v_nop
	v_fma_f32 v102, -v100, v101, 1.0
	s_delay_alu instid0(VALU_DEP_1) | instskip(NEXT) | instid1(VALU_DEP_1)
	v_fmac_f32_e32 v101, v102, v101
	v_mul_f32_e32 v102, v103, v101
	s_delay_alu instid0(VALU_DEP_1) | instskip(NEXT) | instid1(VALU_DEP_1)
	v_fma_f32 v104, -v100, v102, v103
	v_fmac_f32_e32 v102, v104, v101
	s_delay_alu instid0(VALU_DEP_1) | instskip(NEXT) | instid1(VALU_DEP_1)
	v_fma_f32 v100, -v100, v102, v103
	v_div_fmas_f32 v100, v100, v101, v102
	s_delay_alu instid0(VALU_DEP_1) | instskip(NEXT) | instid1(VALU_DEP_1)
	v_div_fixup_f32 v101, v100, v90, v91
	v_fmac_f32_e32 v90, v91, v101
	s_delay_alu instid0(VALU_DEP_1) | instskip(NEXT) | instid1(VALU_DEP_1)
	v_div_scale_f32 v91, null, v90, v90, 1.0
	v_rcp_f32_e32 v100, v91
	v_nop
	s_delay_alu instid0(TRANS32_DEP_1) | instskip(NEXT) | instid1(VALU_DEP_1)
	v_fma_f32 v102, -v91, v100, 1.0
	v_fmac_f32_e32 v100, v102, v100
	v_div_scale_f32 v102, vcc_lo, 1.0, v90, 1.0
	s_delay_alu instid0(VALU_DEP_1) | instskip(NEXT) | instid1(VALU_DEP_1)
	v_mul_f32_e32 v103, v102, v100
	v_fma_f32 v104, -v91, v103, v102
	s_delay_alu instid0(VALU_DEP_1) | instskip(NEXT) | instid1(VALU_DEP_1)
	v_fmac_f32_e32 v103, v104, v100
	v_fma_f32 v91, -v91, v103, v102
	s_delay_alu instid0(VALU_DEP_1) | instskip(NEXT) | instid1(VALU_DEP_1)
	v_div_fmas_f32 v91, v91, v100, v103
	v_div_fixup_f32 v100, v91, v90, 1.0
	s_delay_alu instid0(VALU_DEP_1)
	v_mul_f32_e64 v101, v101, -v100
.LBB119_277:
	s_or_b32 exec_lo, exec_lo, s1
	ds_store_b64 v207, v[100:101]
.LBB119_278:
	s_or_b32 exec_lo, exec_lo, s2
	s_wait_dscnt 0x0
	s_barrier_signal -1
	s_barrier_wait -1
	ds_load_b64 v[90:91], v207
	s_mov_b32 s1, exec_lo
	v_cmpx_lt_u32_e32 30, v206
	s_cbranch_execz .LBB119_280
; %bb.279:
	ds_load_2addr_b64 v[104:107], v216 offset0:31 offset1:32
	s_wait_dscnt 0x1
	v_pk_mul_f32 v[102:103], v[90:91], v[128:129] op_sel:[1,1] op_sel_hi:[0,1]
	s_delay_alu instid0(VALU_DEP_1) | instskip(SKIP_1) | instid1(VALU_DEP_1)
	v_pk_fma_f32 v[100:101], v[90:91], v[128:129], v[102:103] op_sel_hi:[1,0,1] neg_lo:[0,0,1] neg_hi:[0,0,1]
	v_pk_fma_f32 v[102:103], v[90:91], v[128:129], v[102:103] op_sel_hi:[1,0,1]
	v_dual_mov_b32 v128, v100 :: v_dual_mov_b32 v129, v103
	s_wait_dscnt 0x0
	s_delay_alu instid0(VALU_DEP_2) | instskip(NEXT) | instid1(VALU_DEP_1)
	v_pk_mul_f32 v[116:117], v[104:105], v[102:103] op_sel:[0,1]
	v_pk_fma_f32 v[118:119], v[104:105], v[100:101], v[116:117] op_sel:[0,0,1] op_sel_hi:[1,1,0] neg_lo:[0,0,1] neg_hi:[0,0,1]
	v_pk_fma_f32 v[104:105], v[104:105], v[100:101], v[116:117] op_sel:[0,0,1] op_sel_hi:[1,0,0]
	s_delay_alu instid0(VALU_DEP_1) | instskip(SKIP_1) | instid1(VALU_DEP_1)
	v_mov_b32_e32 v119, v105
	v_pk_mul_f32 v[104:105], v[106:107], v[102:103] op_sel:[0,1]
	v_pk_fma_f32 v[116:117], v[106:107], v[100:101], v[104:105] op_sel:[0,0,1] op_sel_hi:[1,1,0] neg_lo:[0,0,1] neg_hi:[0,0,1]
	v_pk_fma_f32 v[104:105], v[106:107], v[100:101], v[104:105] op_sel:[0,0,1] op_sel_hi:[1,0,0]
	s_delay_alu instid0(VALU_DEP_1)
	v_mov_b32_e32 v117, v105
	ds_load_2addr_b64 v[104:107], v216 offset0:33 offset1:34
	v_pk_add_f32 v[124:125], v[124:125], v[118:119] neg_lo:[0,1] neg_hi:[0,1]
	v_pk_add_f32 v[146:147], v[146:147], v[116:117] neg_lo:[0,1] neg_hi:[0,1]
	s_wait_dscnt 0x0
	v_pk_mul_f32 v[116:117], v[104:105], v[102:103] op_sel:[0,1]
	s_delay_alu instid0(VALU_DEP_1) | instskip(SKIP_2) | instid1(VALU_DEP_2)
	v_pk_fma_f32 v[118:119], v[104:105], v[100:101], v[116:117] op_sel:[0,0,1] op_sel_hi:[1,1,0] neg_lo:[0,0,1] neg_hi:[0,0,1]
	v_pk_fma_f32 v[104:105], v[104:105], v[100:101], v[116:117] op_sel:[0,0,1] op_sel_hi:[1,0,0]
	v_dual_mul_f32 v116, v107, v103 :: v_dual_mov_b32 v104, v107
	v_dual_mov_b32 v119, v105 :: v_dual_mov_b32 v105, v106
	s_delay_alu instid0(VALU_DEP_2) | instskip(SKIP_1) | instid1(VALU_DEP_3)
	v_pk_fma_f32 v[116:117], v[106:107], v[128:129], v[116:117] op_sel_hi:[1,1,0] neg_lo:[0,0,1] neg_hi:[0,0,1]
	v_mul_f32_e32 v106, v107, v100
	v_pk_add_f32 v[142:143], v[142:143], v[118:119] neg_lo:[0,1] neg_hi:[0,1]
	s_delay_alu instid0(VALU_DEP_2) | instskip(NEXT) | instid1(VALU_DEP_1)
	v_pk_fma_f32 v[104:105], v[104:105], v[128:129], v[106:107] op_sel_hi:[1,1,0]
	v_mov_b32_e32 v117, v105
	ds_load_2addr_b64 v[104:107], v216 offset0:35 offset1:36
	v_pk_add_f32 v[144:145], v[144:145], v[116:117] neg_lo:[0,1] neg_hi:[0,1]
	s_wait_dscnt 0x0
	v_pk_mul_f32 v[116:117], v[104:105], v[102:103] op_sel:[0,1]
	s_delay_alu instid0(VALU_DEP_1) | instskip(SKIP_1) | instid1(VALU_DEP_1)
	v_pk_fma_f32 v[118:119], v[104:105], v[100:101], v[116:117] op_sel:[0,0,1] op_sel_hi:[1,1,0] neg_lo:[0,0,1] neg_hi:[0,0,1]
	v_pk_fma_f32 v[104:105], v[104:105], v[100:101], v[116:117] op_sel:[0,0,1] op_sel_hi:[1,0,0]
	v_mov_b32_e32 v119, v105
	v_pk_mul_f32 v[104:105], v[106:107], v[102:103] op_sel:[0,1]
	s_delay_alu instid0(VALU_DEP_1) | instskip(SKIP_1) | instid1(VALU_DEP_1)
	v_pk_fma_f32 v[116:117], v[106:107], v[100:101], v[104:105] op_sel:[0,0,1] op_sel_hi:[1,1,0] neg_lo:[0,0,1] neg_hi:[0,0,1]
	v_pk_fma_f32 v[104:105], v[106:107], v[100:101], v[104:105] op_sel:[0,0,1] op_sel_hi:[1,0,0]
	v_mov_b32_e32 v117, v105
	ds_load_2addr_b64 v[104:107], v216 offset0:37 offset1:38
	v_pk_add_f32 v[140:141], v[140:141], v[118:119] neg_lo:[0,1] neg_hi:[0,1]
	v_pk_add_f32 v[162:163], v[162:163], v[116:117] neg_lo:[0,1] neg_hi:[0,1]
	s_wait_dscnt 0x0
	v_pk_mul_f32 v[116:117], v[104:105], v[102:103] op_sel:[0,1]
	s_delay_alu instid0(VALU_DEP_1) | instskip(SKIP_1) | instid1(VALU_DEP_1)
	v_pk_fma_f32 v[118:119], v[104:105], v[100:101], v[116:117] op_sel:[0,0,1] op_sel_hi:[1,1,0] neg_lo:[0,0,1] neg_hi:[0,0,1]
	v_pk_fma_f32 v[104:105], v[104:105], v[100:101], v[116:117] op_sel:[0,0,1] op_sel_hi:[1,0,0]
	v_mov_b32_e32 v119, v105
	v_pk_mul_f32 v[104:105], v[106:107], v[102:103] op_sel:[0,1]
	s_delay_alu instid0(VALU_DEP_1) | instskip(SKIP_1) | instid1(VALU_DEP_1)
	v_pk_fma_f32 v[116:117], v[106:107], v[100:101], v[104:105] op_sel:[0,0,1] op_sel_hi:[1,1,0] neg_lo:[0,0,1] neg_hi:[0,0,1]
	v_pk_fma_f32 v[104:105], v[106:107], v[100:101], v[104:105] op_sel:[0,0,1] op_sel_hi:[1,0,0]
	v_mov_b32_e32 v117, v105
	ds_load_2addr_b64 v[104:107], v216 offset0:39 offset1:40
	v_pk_add_f32 v[158:159], v[158:159], v[118:119] neg_lo:[0,1] neg_hi:[0,1]
	v_pk_add_f32 v[160:161], v[160:161], v[116:117] neg_lo:[0,1] neg_hi:[0,1]
	s_wait_dscnt 0x0
	v_dual_mul_f32 v116, v105, v103 :: v_dual_mul_f32 v118, v105, v100
	s_delay_alu instid0(VALU_DEP_1) | instskip(NEXT) | instid1(VALU_DEP_2)
	v_pk_fma_f32 v[116:117], v[104:105], v[128:129], v[116:117] op_sel_hi:[1,1,0] neg_lo:[0,0,1] neg_hi:[0,0,1]
	v_pk_fma_f32 v[104:105], v[104:105], v[128:129], v[118:119] op_sel:[1,0,0] op_sel_hi:[0,1,0]
	s_delay_alu instid0(VALU_DEP_1) | instskip(SKIP_1) | instid1(VALU_DEP_2)
	v_mov_b32_e32 v117, v105
	v_pk_mul_f32 v[104:105], v[106:107], v[102:103] op_sel:[0,1]
	v_pk_add_f32 v[156:157], v[156:157], v[116:117] neg_lo:[0,1] neg_hi:[0,1]
	s_delay_alu instid0(VALU_DEP_2) | instskip(SKIP_1) | instid1(VALU_DEP_1)
	v_pk_fma_f32 v[116:117], v[106:107], v[100:101], v[104:105] op_sel:[0,0,1] op_sel_hi:[1,1,0] neg_lo:[0,0,1] neg_hi:[0,0,1]
	v_pk_fma_f32 v[104:105], v[106:107], v[100:101], v[104:105] op_sel:[0,0,1] op_sel_hi:[1,0,0]
	v_mov_b32_e32 v117, v105
	ds_load_2addr_b64 v[104:107], v216 offset0:41 offset1:42
	v_pk_add_f32 v[178:179], v[178:179], v[116:117] neg_lo:[0,1] neg_hi:[0,1]
	s_wait_dscnt 0x0
	v_pk_mul_f32 v[116:117], v[104:105], v[102:103] op_sel:[0,1]
	s_delay_alu instid0(VALU_DEP_1) | instskip(SKIP_1) | instid1(VALU_DEP_1)
	v_pk_fma_f32 v[118:119], v[104:105], v[100:101], v[116:117] op_sel:[0,0,1] op_sel_hi:[1,1,0] neg_lo:[0,0,1] neg_hi:[0,0,1]
	v_pk_fma_f32 v[104:105], v[104:105], v[100:101], v[116:117] op_sel:[0,0,1] op_sel_hi:[1,0,0]
	v_mov_b32_e32 v119, v105
	v_pk_mul_f32 v[104:105], v[106:107], v[102:103] op_sel:[0,1]
	s_delay_alu instid0(VALU_DEP_2) | instskip(NEXT) | instid1(VALU_DEP_2)
	v_pk_add_f32 v[174:175], v[174:175], v[118:119] neg_lo:[0,1] neg_hi:[0,1]
	v_pk_fma_f32 v[116:117], v[106:107], v[100:101], v[104:105] op_sel:[0,0,1] op_sel_hi:[1,1,0] neg_lo:[0,0,1] neg_hi:[0,0,1]
	v_pk_fma_f32 v[104:105], v[106:107], v[100:101], v[104:105] op_sel:[0,0,1] op_sel_hi:[1,0,0]
	s_delay_alu instid0(VALU_DEP_1) | instskip(SKIP_4) | instid1(VALU_DEP_1)
	v_mov_b32_e32 v117, v105
	ds_load_2addr_b64 v[104:107], v216 offset0:43 offset1:44
	v_pk_add_f32 v[176:177], v[176:177], v[116:117] neg_lo:[0,1] neg_hi:[0,1]
	s_wait_dscnt 0x0
	v_pk_mul_f32 v[116:117], v[104:105], v[102:103] op_sel:[0,1]
	v_pk_fma_f32 v[118:119], v[104:105], v[100:101], v[116:117] op_sel:[0,0,1] op_sel_hi:[1,1,0] neg_lo:[0,0,1] neg_hi:[0,0,1]
	v_pk_fma_f32 v[104:105], v[104:105], v[100:101], v[116:117] op_sel:[0,0,1] op_sel_hi:[1,0,0]
	v_dual_mul_f32 v116, v107, v103 :: v_dual_mov_b32 v104, v107
	s_delay_alu instid0(VALU_DEP_2) | instskip(NEXT) | instid1(VALU_DEP_2)
	v_dual_mov_b32 v119, v105 :: v_dual_mov_b32 v105, v106
	v_pk_fma_f32 v[116:117], v[106:107], v[128:129], v[116:117] op_sel_hi:[1,1,0] neg_lo:[0,0,1] neg_hi:[0,0,1]
	v_mul_f32_e32 v106, v107, v100
	s_delay_alu instid0(VALU_DEP_3) | instskip(NEXT) | instid1(VALU_DEP_2)
	v_pk_add_f32 v[172:173], v[172:173], v[118:119] neg_lo:[0,1] neg_hi:[0,1]
	v_pk_fma_f32 v[104:105], v[104:105], v[128:129], v[106:107] op_sel_hi:[1,1,0]
	s_delay_alu instid0(VALU_DEP_1) | instskip(SKIP_4) | instid1(VALU_DEP_1)
	v_mov_b32_e32 v117, v105
	ds_load_2addr_b64 v[104:107], v216 offset0:45 offset1:46
	v_pk_add_f32 v[194:195], v[194:195], v[116:117] neg_lo:[0,1] neg_hi:[0,1]
	s_wait_dscnt 0x0
	v_pk_mul_f32 v[116:117], v[104:105], v[102:103] op_sel:[0,1]
	v_pk_fma_f32 v[118:119], v[104:105], v[100:101], v[116:117] op_sel:[0,0,1] op_sel_hi:[1,1,0] neg_lo:[0,0,1] neg_hi:[0,0,1]
	v_pk_fma_f32 v[104:105], v[104:105], v[100:101], v[116:117] op_sel:[0,0,1] op_sel_hi:[1,0,0]
	s_delay_alu instid0(VALU_DEP_1) | instskip(SKIP_1) | instid1(VALU_DEP_1)
	v_mov_b32_e32 v119, v105
	v_pk_mul_f32 v[104:105], v[106:107], v[102:103] op_sel:[0,1]
	v_pk_fma_f32 v[116:117], v[106:107], v[100:101], v[104:105] op_sel:[0,0,1] op_sel_hi:[1,1,0] neg_lo:[0,0,1] neg_hi:[0,0,1]
	v_pk_fma_f32 v[104:105], v[106:107], v[100:101], v[104:105] op_sel:[0,0,1] op_sel_hi:[1,0,0]
	s_delay_alu instid0(VALU_DEP_1)
	v_mov_b32_e32 v117, v105
	ds_load_2addr_b64 v[104:107], v216 offset0:47 offset1:48
	v_pk_add_f32 v[190:191], v[190:191], v[118:119] neg_lo:[0,1] neg_hi:[0,1]
	v_pk_add_f32 v[192:193], v[192:193], v[116:117] neg_lo:[0,1] neg_hi:[0,1]
	s_wait_dscnt 0x0
	v_pk_mul_f32 v[116:117], v[104:105], v[102:103] op_sel:[0,1]
	s_delay_alu instid0(VALU_DEP_1) | instskip(SKIP_1) | instid1(VALU_DEP_1)
	v_pk_fma_f32 v[118:119], v[104:105], v[100:101], v[116:117] op_sel:[0,0,1] op_sel_hi:[1,1,0] neg_lo:[0,0,1] neg_hi:[0,0,1]
	v_pk_fma_f32 v[104:105], v[104:105], v[100:101], v[116:117] op_sel:[0,0,1] op_sel_hi:[1,0,0]
	v_mov_b32_e32 v119, v105
	v_pk_mul_f32 v[104:105], v[106:107], v[102:103] op_sel:[0,1]
	s_delay_alu instid0(VALU_DEP_1) | instskip(SKIP_1) | instid1(VALU_DEP_1)
	v_pk_fma_f32 v[116:117], v[106:107], v[100:101], v[104:105] op_sel:[0,0,1] op_sel_hi:[1,1,0] neg_lo:[0,0,1] neg_hi:[0,0,1]
	v_pk_fma_f32 v[104:105], v[106:107], v[100:101], v[104:105] op_sel:[0,0,1] op_sel_hi:[1,0,0]
	v_mov_b32_e32 v117, v105
	ds_load_2addr_b64 v[104:107], v216 offset0:49 offset1:50
	v_pk_add_f32 v[188:189], v[188:189], v[118:119] neg_lo:[0,1] neg_hi:[0,1]
	v_pk_add_f32 v[214:215], v[214:215], v[116:117] neg_lo:[0,1] neg_hi:[0,1]
	s_wait_dscnt 0x0
	v_dual_mul_f32 v116, v105, v103 :: v_dual_mul_f32 v118, v105, v100
	s_delay_alu instid0(VALU_DEP_1) | instskip(NEXT) | instid1(VALU_DEP_2)
	v_pk_fma_f32 v[116:117], v[104:105], v[128:129], v[116:117] op_sel_hi:[1,1,0] neg_lo:[0,0,1] neg_hi:[0,0,1]
	v_pk_fma_f32 v[104:105], v[104:105], v[128:129], v[118:119] op_sel:[1,0,0] op_sel_hi:[0,1,0]
	s_delay_alu instid0(VALU_DEP_1) | instskip(SKIP_1) | instid1(VALU_DEP_2)
	v_mov_b32_e32 v117, v105
	v_pk_mul_f32 v[104:105], v[106:107], v[102:103] op_sel:[0,1]
	v_pk_add_f32 v[210:211], v[210:211], v[116:117] neg_lo:[0,1] neg_hi:[0,1]
	s_delay_alu instid0(VALU_DEP_2) | instskip(SKIP_1) | instid1(VALU_DEP_1)
	v_pk_fma_f32 v[116:117], v[106:107], v[100:101], v[104:105] op_sel:[0,0,1] op_sel_hi:[1,1,0] neg_lo:[0,0,1] neg_hi:[0,0,1]
	v_pk_fma_f32 v[104:105], v[106:107], v[100:101], v[104:105] op_sel:[0,0,1] op_sel_hi:[1,0,0]
	v_mov_b32_e32 v117, v105
	ds_load_2addr_b64 v[104:107], v216 offset0:51 offset1:52
	v_pk_add_f32 v[212:213], v[212:213], v[116:117] neg_lo:[0,1] neg_hi:[0,1]
	s_wait_dscnt 0x0
	v_pk_mul_f32 v[116:117], v[104:105], v[102:103] op_sel:[0,1]
	s_delay_alu instid0(VALU_DEP_1) | instskip(SKIP_1) | instid1(VALU_DEP_1)
	v_pk_fma_f32 v[118:119], v[104:105], v[100:101], v[116:117] op_sel:[0,0,1] op_sel_hi:[1,1,0] neg_lo:[0,0,1] neg_hi:[0,0,1]
	v_pk_fma_f32 v[104:105], v[104:105], v[100:101], v[116:117] op_sel:[0,0,1] op_sel_hi:[1,0,0]
	v_mov_b32_e32 v119, v105
	v_pk_mul_f32 v[104:105], v[106:107], v[102:103] op_sel:[0,1]
	s_delay_alu instid0(VALU_DEP_2) | instskip(NEXT) | instid1(VALU_DEP_2)
	v_pk_add_f32 v[208:209], v[208:209], v[118:119] neg_lo:[0,1] neg_hi:[0,1]
	v_pk_fma_f32 v[116:117], v[106:107], v[100:101], v[104:105] op_sel:[0,0,1] op_sel_hi:[1,1,0] neg_lo:[0,0,1] neg_hi:[0,0,1]
	v_pk_fma_f32 v[104:105], v[106:107], v[100:101], v[104:105] op_sel:[0,0,1] op_sel_hi:[1,0,0]
	s_delay_alu instid0(VALU_DEP_1) | instskip(SKIP_4) | instid1(VALU_DEP_1)
	v_mov_b32_e32 v117, v105
	ds_load_2addr_b64 v[104:107], v216 offset0:53 offset1:54
	v_pk_add_f32 v[236:237], v[236:237], v[116:117] neg_lo:[0,1] neg_hi:[0,1]
	s_wait_dscnt 0x0
	v_pk_mul_f32 v[116:117], v[104:105], v[102:103] op_sel:[0,1]
	v_pk_fma_f32 v[118:119], v[104:105], v[100:101], v[116:117] op_sel:[0,0,1] op_sel_hi:[1,1,0] neg_lo:[0,0,1] neg_hi:[0,0,1]
	v_pk_fma_f32 v[104:105], v[104:105], v[100:101], v[116:117] op_sel:[0,0,1] op_sel_hi:[1,0,0]
	v_dual_mul_f32 v116, v107, v103 :: v_dual_mov_b32 v104, v107
	s_delay_alu instid0(VALU_DEP_2) | instskip(NEXT) | instid1(VALU_DEP_2)
	v_dual_mov_b32 v119, v105 :: v_dual_mov_b32 v105, v106
	v_pk_fma_f32 v[116:117], v[106:107], v[128:129], v[116:117] op_sel_hi:[1,1,0] neg_lo:[0,0,1] neg_hi:[0,0,1]
	v_mul_f32_e32 v106, v107, v100
	s_delay_alu instid0(VALU_DEP_3) | instskip(NEXT) | instid1(VALU_DEP_2)
	v_pk_add_f32 v[230:231], v[230:231], v[118:119] neg_lo:[0,1] neg_hi:[0,1]
	v_pk_fma_f32 v[104:105], v[104:105], v[128:129], v[106:107] op_sel_hi:[1,1,0]
	s_delay_alu instid0(VALU_DEP_1) | instskip(SKIP_4) | instid1(VALU_DEP_1)
	v_mov_b32_e32 v117, v105
	ds_load_2addr_b64 v[104:107], v216 offset0:55 offset1:56
	v_pk_add_f32 v[234:235], v[234:235], v[116:117] neg_lo:[0,1] neg_hi:[0,1]
	s_wait_dscnt 0x0
	v_pk_mul_f32 v[116:117], v[104:105], v[102:103] op_sel:[0,1]
	v_pk_fma_f32 v[118:119], v[104:105], v[100:101], v[116:117] op_sel:[0,0,1] op_sel_hi:[1,1,0] neg_lo:[0,0,1] neg_hi:[0,0,1]
	v_pk_fma_f32 v[104:105], v[104:105], v[100:101], v[116:117] op_sel:[0,0,1] op_sel_hi:[1,0,0]
	s_delay_alu instid0(VALU_DEP_1) | instskip(SKIP_1) | instid1(VALU_DEP_1)
	v_mov_b32_e32 v119, v105
	v_pk_mul_f32 v[104:105], v[106:107], v[102:103] op_sel:[0,1]
	v_pk_fma_f32 v[116:117], v[106:107], v[100:101], v[104:105] op_sel:[0,0,1] op_sel_hi:[1,1,0] neg_lo:[0,0,1] neg_hi:[0,0,1]
	v_pk_fma_f32 v[104:105], v[106:107], v[100:101], v[104:105] op_sel:[0,0,1] op_sel_hi:[1,0,0]
	s_delay_alu instid0(VALU_DEP_1)
	v_mov_b32_e32 v117, v105
	ds_load_2addr_b64 v[104:107], v216 offset0:57 offset1:58
	v_pk_add_f32 v[228:229], v[228:229], v[118:119] neg_lo:[0,1] neg_hi:[0,1]
	v_pk_add_f32 v[232:233], v[232:233], v[116:117] neg_lo:[0,1] neg_hi:[0,1]
	s_wait_dscnt 0x0
	v_pk_mul_f32 v[116:117], v[104:105], v[102:103] op_sel:[0,1]
	s_delay_alu instid0(VALU_DEP_1) | instskip(SKIP_1) | instid1(VALU_DEP_1)
	v_pk_fma_f32 v[118:119], v[104:105], v[100:101], v[116:117] op_sel:[0,0,1] op_sel_hi:[1,1,0] neg_lo:[0,0,1] neg_hi:[0,0,1]
	v_pk_fma_f32 v[104:105], v[104:105], v[100:101], v[116:117] op_sel:[0,0,1] op_sel_hi:[1,0,0]
	v_mov_b32_e32 v119, v105
	v_pk_mul_f32 v[104:105], v[106:107], v[102:103] op_sel:[0,1]
	s_delay_alu instid0(VALU_DEP_1) | instskip(SKIP_1) | instid1(VALU_DEP_1)
	v_pk_fma_f32 v[116:117], v[106:107], v[100:101], v[104:105] op_sel:[0,0,1] op_sel_hi:[1,1,0] neg_lo:[0,0,1] neg_hi:[0,0,1]
	v_pk_fma_f32 v[104:105], v[106:107], v[100:101], v[104:105] op_sel:[0,0,1] op_sel_hi:[1,0,0]
	v_mov_b32_e32 v117, v105
	ds_load_b64 v[104:105], v216 offset:472
	v_pk_add_f32 v[226:227], v[226:227], v[118:119] neg_lo:[0,1] neg_hi:[0,1]
	v_pk_add_f32 v[238:239], v[238:239], v[116:117] neg_lo:[0,1] neg_hi:[0,1]
	s_wait_dscnt 0x0
	v_pk_mul_f32 v[102:103], v[104:105], v[102:103] op_sel:[0,1]
	s_delay_alu instid0(VALU_DEP_1) | instskip(SKIP_1) | instid1(VALU_DEP_1)
	v_pk_fma_f32 v[106:107], v[104:105], v[100:101], v[102:103] op_sel:[0,0,1] op_sel_hi:[1,1,0] neg_lo:[0,0,1] neg_hi:[0,0,1]
	v_pk_fma_f32 v[100:101], v[104:105], v[100:101], v[102:103] op_sel:[0,0,1] op_sel_hi:[1,0,0]
	v_mov_b32_e32 v107, v101
	s_delay_alu instid0(VALU_DEP_1)
	v_pk_add_f32 v[240:241], v[240:241], v[106:107] neg_lo:[0,1] neg_hi:[0,1]
.LBB119_280:
	s_or_b32 exec_lo, exec_lo, s1
	s_delay_alu instid0(SALU_CYCLE_1)
	s_mov_b32 s2, exec_lo
	s_wait_dscnt 0x0
	s_barrier_signal -1
	s_barrier_wait -1
	v_cmpx_eq_u32_e32 31, v206
	s_cbranch_execz .LBB119_287
; %bb.281:
	v_dual_mov_b32 v100, v146 :: v_dual_mov_b32 v101, v147
	v_dual_mov_b32 v102, v142 :: v_dual_mov_b32 v103, v143
	ds_store_b64 v207, v[124:125]
	ds_store_2addr_b64 v216, v[100:101], v[102:103] offset0:32 offset1:33
	v_dual_mov_b32 v100, v144 :: v_dual_mov_b32 v101, v145
	v_dual_mov_b32 v102, v140 :: v_dual_mov_b32 v103, v141
	ds_store_2addr_b64 v216, v[100:101], v[102:103] offset0:34 offset1:35
	v_dual_mov_b32 v100, v162 :: v_dual_mov_b32 v101, v163
	v_dual_mov_b32 v102, v158 :: v_dual_mov_b32 v103, v159
	;; [unrolled: 3-line block ×12, first 2 shown]
	ds_store_2addr_b64 v216, v[100:101], v[102:103] offset0:56 offset1:57
	v_dual_mov_b32 v100, v238 :: v_dual_mov_b32 v101, v239
	ds_store_2addr_b64 v216, v[100:101], v[240:241] offset0:58 offset1:59
	ds_load_b64 v[100:101], v207
	s_wait_dscnt 0x0
	v_cmp_neq_f32_e32 vcc_lo, 0, v100
	v_cmp_neq_f32_e64 s1, 0, v101
	s_or_b32 s1, vcc_lo, s1
	s_delay_alu instid0(SALU_CYCLE_1)
	s_and_b32 exec_lo, exec_lo, s1
	s_cbranch_execz .LBB119_287
; %bb.282:
	v_cmp_ngt_f32_e64 s1, |v100|, |v101|
                                        ; implicit-def: $vgpr102_vgpr103
	s_and_saveexec_b32 s4, s1
	s_delay_alu instid0(SALU_CYCLE_1)
	s_xor_b32 s1, exec_lo, s4
	s_cbranch_execz .LBB119_284
; %bb.283:
	v_div_scale_f32 v102, null, v101, v101, v100
	v_div_scale_f32 v105, vcc_lo, v100, v101, v100
	s_delay_alu instid0(VALU_DEP_2) | instskip(SKIP_1) | instid1(TRANS32_DEP_1)
	v_rcp_f32_e32 v103, v102
	v_nop
	v_fma_f32 v104, -v102, v103, 1.0
	s_delay_alu instid0(VALU_DEP_1) | instskip(NEXT) | instid1(VALU_DEP_1)
	v_fmac_f32_e32 v103, v104, v103
	v_mul_f32_e32 v104, v105, v103
	s_delay_alu instid0(VALU_DEP_1) | instskip(NEXT) | instid1(VALU_DEP_1)
	v_fma_f32 v106, -v102, v104, v105
	v_fmac_f32_e32 v104, v106, v103
	s_delay_alu instid0(VALU_DEP_1) | instskip(NEXT) | instid1(VALU_DEP_1)
	v_fma_f32 v102, -v102, v104, v105
	v_div_fmas_f32 v102, v102, v103, v104
	s_delay_alu instid0(VALU_DEP_1) | instskip(NEXT) | instid1(VALU_DEP_1)
	v_div_fixup_f32 v102, v102, v101, v100
	v_fmac_f32_e32 v101, v100, v102
	s_delay_alu instid0(VALU_DEP_1) | instskip(SKIP_1) | instid1(VALU_DEP_2)
	v_div_scale_f32 v100, null, v101, v101, 1.0
	v_div_scale_f32 v105, vcc_lo, 1.0, v101, 1.0
	v_rcp_f32_e32 v103, v100
	v_nop
	s_delay_alu instid0(TRANS32_DEP_1) | instskip(NEXT) | instid1(VALU_DEP_1)
	v_fma_f32 v104, -v100, v103, 1.0
	v_fmac_f32_e32 v103, v104, v103
	s_delay_alu instid0(VALU_DEP_1) | instskip(NEXT) | instid1(VALU_DEP_1)
	v_mul_f32_e32 v104, v105, v103
	v_fma_f32 v106, -v100, v104, v105
	s_delay_alu instid0(VALU_DEP_1) | instskip(NEXT) | instid1(VALU_DEP_1)
	v_fmac_f32_e32 v104, v106, v103
	v_fma_f32 v100, -v100, v104, v105
	s_delay_alu instid0(VALU_DEP_1) | instskip(NEXT) | instid1(VALU_DEP_1)
	v_div_fmas_f32 v100, v100, v103, v104
	v_div_fixup_f32 v100, v100, v101, 1.0
	s_delay_alu instid0(VALU_DEP_1)
	v_mul_f32_e32 v102, v102, v100
	v_xor_b32_e32 v103, 0x80000000, v100
                                        ; implicit-def: $vgpr100_vgpr101
.LBB119_284:
	s_and_not1_saveexec_b32 s1, s1
	s_cbranch_execz .LBB119_286
; %bb.285:
	v_div_scale_f32 v102, null, v100, v100, v101
	v_div_scale_f32 v105, vcc_lo, v101, v100, v101
	s_delay_alu instid0(VALU_DEP_2) | instskip(SKIP_1) | instid1(TRANS32_DEP_1)
	v_rcp_f32_e32 v103, v102
	v_nop
	v_fma_f32 v104, -v102, v103, 1.0
	s_delay_alu instid0(VALU_DEP_1) | instskip(NEXT) | instid1(VALU_DEP_1)
	v_fmac_f32_e32 v103, v104, v103
	v_mul_f32_e32 v104, v105, v103
	s_delay_alu instid0(VALU_DEP_1) | instskip(NEXT) | instid1(VALU_DEP_1)
	v_fma_f32 v106, -v102, v104, v105
	v_fmac_f32_e32 v104, v106, v103
	s_delay_alu instid0(VALU_DEP_1) | instskip(NEXT) | instid1(VALU_DEP_1)
	v_fma_f32 v102, -v102, v104, v105
	v_div_fmas_f32 v102, v102, v103, v104
	s_delay_alu instid0(VALU_DEP_1) | instskip(NEXT) | instid1(VALU_DEP_1)
	v_div_fixup_f32 v103, v102, v100, v101
	v_fmac_f32_e32 v100, v101, v103
	s_delay_alu instid0(VALU_DEP_1) | instskip(NEXT) | instid1(VALU_DEP_1)
	v_div_scale_f32 v101, null, v100, v100, 1.0
	v_rcp_f32_e32 v102, v101
	v_nop
	s_delay_alu instid0(TRANS32_DEP_1) | instskip(NEXT) | instid1(VALU_DEP_1)
	v_fma_f32 v104, -v101, v102, 1.0
	v_fmac_f32_e32 v102, v104, v102
	v_div_scale_f32 v104, vcc_lo, 1.0, v100, 1.0
	s_delay_alu instid0(VALU_DEP_1) | instskip(NEXT) | instid1(VALU_DEP_1)
	v_mul_f32_e32 v105, v104, v102
	v_fma_f32 v106, -v101, v105, v104
	s_delay_alu instid0(VALU_DEP_1) | instskip(NEXT) | instid1(VALU_DEP_1)
	v_fmac_f32_e32 v105, v106, v102
	v_fma_f32 v101, -v101, v105, v104
	s_delay_alu instid0(VALU_DEP_1) | instskip(NEXT) | instid1(VALU_DEP_1)
	v_div_fmas_f32 v101, v101, v102, v105
	v_div_fixup_f32 v102, v101, v100, 1.0
	s_delay_alu instid0(VALU_DEP_1)
	v_mul_f32_e64 v103, v103, -v102
.LBB119_286:
	s_or_b32 exec_lo, exec_lo, s1
	ds_store_b64 v207, v[102:103]
.LBB119_287:
	s_or_b32 exec_lo, exec_lo, s2
	s_wait_dscnt 0x0
	s_barrier_signal -1
	s_barrier_wait -1
	ds_load_b64 v[100:101], v207
	s_mov_b32 s1, exec_lo
	v_cmpx_lt_u32_e32 31, v206
	s_cbranch_execz .LBB119_289
; %bb.288:
	ds_load_2addr_b64 v[116:119], v216 offset0:32 offset1:33
	s_wait_dscnt 0x1
	v_pk_mul_f32 v[104:105], v[100:101], v[124:125] op_sel:[1,1] op_sel_hi:[0,1]
	s_delay_alu instid0(VALU_DEP_1) | instskip(SKIP_1) | instid1(VALU_DEP_1)
	v_pk_fma_f32 v[102:103], v[100:101], v[124:125], v[104:105] op_sel_hi:[1,0,1] neg_lo:[0,0,1] neg_hi:[0,0,1]
	v_pk_fma_f32 v[104:105], v[100:101], v[124:125], v[104:105] op_sel_hi:[1,0,1]
	v_dual_mov_b32 v124, v102 :: v_dual_mov_b32 v125, v105
	s_wait_dscnt 0x0
	s_delay_alu instid0(VALU_DEP_2) | instskip(NEXT) | instid1(VALU_DEP_1)
	v_pk_mul_f32 v[106:107], v[116:117], v[104:105] op_sel:[0,1]
	v_pk_fma_f32 v[120:121], v[116:117], v[102:103], v[106:107] op_sel:[0,0,1] op_sel_hi:[1,1,0] neg_lo:[0,0,1] neg_hi:[0,0,1]
	v_pk_fma_f32 v[106:107], v[116:117], v[102:103], v[106:107] op_sel:[0,0,1] op_sel_hi:[1,0,0]
	s_delay_alu instid0(VALU_DEP_1) | instskip(SKIP_1) | instid1(VALU_DEP_1)
	v_mov_b32_e32 v121, v107
	v_pk_mul_f32 v[106:107], v[118:119], v[104:105] op_sel:[0,1]
	v_pk_fma_f32 v[116:117], v[118:119], v[102:103], v[106:107] op_sel:[0,0,1] op_sel_hi:[1,1,0] neg_lo:[0,0,1] neg_hi:[0,0,1]
	v_pk_fma_f32 v[106:107], v[118:119], v[102:103], v[106:107] op_sel:[0,0,1] op_sel_hi:[1,0,0]
	s_delay_alu instid0(VALU_DEP_1) | instskip(SKIP_1) | instid1(VALU_DEP_2)
	v_mov_b32_e32 v117, v107
	v_pk_add_f32 v[146:147], v[146:147], v[120:121] neg_lo:[0,1] neg_hi:[0,1]
	v_pk_add_f32 v[142:143], v[142:143], v[116:117] neg_lo:[0,1] neg_hi:[0,1]
	ds_load_2addr_b64 v[116:119], v216 offset0:34 offset1:35
	s_wait_dscnt 0x0
	v_pk_mul_f32 v[106:107], v[116:117], v[104:105] op_sel:[0,1]
	s_delay_alu instid0(VALU_DEP_1) | instskip(SKIP_2) | instid1(VALU_DEP_2)
	v_pk_fma_f32 v[120:121], v[116:117], v[102:103], v[106:107] op_sel:[0,0,1] op_sel_hi:[1,1,0] neg_lo:[0,0,1] neg_hi:[0,0,1]
	v_pk_fma_f32 v[106:107], v[116:117], v[102:103], v[106:107] op_sel:[0,0,1] op_sel_hi:[1,0,0]
	v_dual_mul_f32 v116, v119, v105 :: v_dual_mov_b32 v106, v119
	v_dual_mov_b32 v121, v107 :: v_dual_mov_b32 v107, v118
	s_delay_alu instid0(VALU_DEP_2) | instskip(SKIP_1) | instid1(VALU_DEP_3)
	v_pk_fma_f32 v[116:117], v[118:119], v[124:125], v[116:117] op_sel_hi:[1,1,0] neg_lo:[0,0,1] neg_hi:[0,0,1]
	v_mul_f32_e32 v118, v119, v102
	v_pk_add_f32 v[144:145], v[144:145], v[120:121] neg_lo:[0,1] neg_hi:[0,1]
	s_delay_alu instid0(VALU_DEP_2) | instskip(NEXT) | instid1(VALU_DEP_1)
	v_pk_fma_f32 v[106:107], v[106:107], v[124:125], v[118:119] op_sel_hi:[1,1,0]
	v_mov_b32_e32 v117, v107
	s_delay_alu instid0(VALU_DEP_1) | instskip(SKIP_3) | instid1(VALU_DEP_1)
	v_pk_add_f32 v[140:141], v[140:141], v[116:117] neg_lo:[0,1] neg_hi:[0,1]
	ds_load_2addr_b64 v[116:119], v216 offset0:36 offset1:37
	s_wait_dscnt 0x0
	v_pk_mul_f32 v[106:107], v[116:117], v[104:105] op_sel:[0,1]
	v_pk_fma_f32 v[120:121], v[116:117], v[102:103], v[106:107] op_sel:[0,0,1] op_sel_hi:[1,1,0] neg_lo:[0,0,1] neg_hi:[0,0,1]
	v_pk_fma_f32 v[106:107], v[116:117], v[102:103], v[106:107] op_sel:[0,0,1] op_sel_hi:[1,0,0]
	s_delay_alu instid0(VALU_DEP_1) | instskip(SKIP_1) | instid1(VALU_DEP_2)
	v_mov_b32_e32 v121, v107
	v_pk_mul_f32 v[106:107], v[118:119], v[104:105] op_sel:[0,1]
	v_pk_add_f32 v[162:163], v[162:163], v[120:121] neg_lo:[0,1] neg_hi:[0,1]
	s_delay_alu instid0(VALU_DEP_2) | instskip(SKIP_1) | instid1(VALU_DEP_1)
	v_pk_fma_f32 v[116:117], v[118:119], v[102:103], v[106:107] op_sel:[0,0,1] op_sel_hi:[1,1,0] neg_lo:[0,0,1] neg_hi:[0,0,1]
	v_pk_fma_f32 v[106:107], v[118:119], v[102:103], v[106:107] op_sel:[0,0,1] op_sel_hi:[1,0,0]
	v_mov_b32_e32 v117, v107
	s_delay_alu instid0(VALU_DEP_1) | instskip(SKIP_3) | instid1(VALU_DEP_1)
	v_pk_add_f32 v[158:159], v[158:159], v[116:117] neg_lo:[0,1] neg_hi:[0,1]
	ds_load_2addr_b64 v[116:119], v216 offset0:38 offset1:39
	s_wait_dscnt 0x0
	v_pk_mul_f32 v[106:107], v[116:117], v[104:105] op_sel:[0,1]
	v_pk_fma_f32 v[120:121], v[116:117], v[102:103], v[106:107] op_sel:[0,0,1] op_sel_hi:[1,1,0] neg_lo:[0,0,1] neg_hi:[0,0,1]
	v_pk_fma_f32 v[106:107], v[116:117], v[102:103], v[106:107] op_sel:[0,0,1] op_sel_hi:[1,0,0]
	s_delay_alu instid0(VALU_DEP_1) | instskip(SKIP_1) | instid1(VALU_DEP_2)
	v_mov_b32_e32 v121, v107
	v_pk_mul_f32 v[106:107], v[118:119], v[104:105] op_sel:[0,1]
	v_pk_add_f32 v[160:161], v[160:161], v[120:121] neg_lo:[0,1] neg_hi:[0,1]
	s_delay_alu instid0(VALU_DEP_2) | instskip(SKIP_1) | instid1(VALU_DEP_1)
	v_pk_fma_f32 v[116:117], v[118:119], v[102:103], v[106:107] op_sel:[0,0,1] op_sel_hi:[1,1,0] neg_lo:[0,0,1] neg_hi:[0,0,1]
	v_pk_fma_f32 v[106:107], v[118:119], v[102:103], v[106:107] op_sel:[0,0,1] op_sel_hi:[1,0,0]
	v_mov_b32_e32 v117, v107
	s_delay_alu instid0(VALU_DEP_1) | instskip(SKIP_3) | instid1(VALU_DEP_1)
	v_pk_add_f32 v[156:157], v[156:157], v[116:117] neg_lo:[0,1] neg_hi:[0,1]
	ds_load_2addr_b64 v[116:119], v216 offset0:40 offset1:41
	s_wait_dscnt 0x0
	v_dual_mul_f32 v106, v117, v105 :: v_dual_mul_f32 v120, v117, v102
	v_pk_fma_f32 v[106:107], v[116:117], v[124:125], v[106:107] op_sel_hi:[1,1,0] neg_lo:[0,0,1] neg_hi:[0,0,1]
	s_delay_alu instid0(VALU_DEP_2) | instskip(NEXT) | instid1(VALU_DEP_1)
	v_pk_fma_f32 v[116:117], v[116:117], v[124:125], v[120:121] op_sel:[1,0,0] op_sel_hi:[0,1,0]
	v_mov_b32_e32 v107, v117
	s_delay_alu instid0(VALU_DEP_1) | instskip(SKIP_1) | instid1(VALU_DEP_1)
	v_pk_add_f32 v[178:179], v[178:179], v[106:107] neg_lo:[0,1] neg_hi:[0,1]
	v_pk_mul_f32 v[106:107], v[118:119], v[104:105] op_sel:[0,1]
	v_pk_fma_f32 v[116:117], v[118:119], v[102:103], v[106:107] op_sel:[0,0,1] op_sel_hi:[1,1,0] neg_lo:[0,0,1] neg_hi:[0,0,1]
	v_pk_fma_f32 v[106:107], v[118:119], v[102:103], v[106:107] op_sel:[0,0,1] op_sel_hi:[1,0,0]
	s_delay_alu instid0(VALU_DEP_1) | instskip(NEXT) | instid1(VALU_DEP_1)
	v_mov_b32_e32 v117, v107
	v_pk_add_f32 v[174:175], v[174:175], v[116:117] neg_lo:[0,1] neg_hi:[0,1]
	ds_load_2addr_b64 v[116:119], v216 offset0:42 offset1:43
	s_wait_dscnt 0x0
	v_pk_mul_f32 v[106:107], v[116:117], v[104:105] op_sel:[0,1]
	s_delay_alu instid0(VALU_DEP_1) | instskip(SKIP_1) | instid1(VALU_DEP_1)
	v_pk_fma_f32 v[120:121], v[116:117], v[102:103], v[106:107] op_sel:[0,0,1] op_sel_hi:[1,1,0] neg_lo:[0,0,1] neg_hi:[0,0,1]
	v_pk_fma_f32 v[106:107], v[116:117], v[102:103], v[106:107] op_sel:[0,0,1] op_sel_hi:[1,0,0]
	v_mov_b32_e32 v121, v107
	v_pk_mul_f32 v[106:107], v[118:119], v[104:105] op_sel:[0,1]
	s_delay_alu instid0(VALU_DEP_2) | instskip(NEXT) | instid1(VALU_DEP_2)
	v_pk_add_f32 v[176:177], v[176:177], v[120:121] neg_lo:[0,1] neg_hi:[0,1]
	v_pk_fma_f32 v[116:117], v[118:119], v[102:103], v[106:107] op_sel:[0,0,1] op_sel_hi:[1,1,0] neg_lo:[0,0,1] neg_hi:[0,0,1]
	v_pk_fma_f32 v[106:107], v[118:119], v[102:103], v[106:107] op_sel:[0,0,1] op_sel_hi:[1,0,0]
	s_delay_alu instid0(VALU_DEP_1) | instskip(NEXT) | instid1(VALU_DEP_1)
	v_mov_b32_e32 v117, v107
	v_pk_add_f32 v[172:173], v[172:173], v[116:117] neg_lo:[0,1] neg_hi:[0,1]
	ds_load_2addr_b64 v[116:119], v216 offset0:44 offset1:45
	s_wait_dscnt 0x0
	v_pk_mul_f32 v[106:107], v[116:117], v[104:105] op_sel:[0,1]
	s_delay_alu instid0(VALU_DEP_1) | instskip(SKIP_2) | instid1(VALU_DEP_2)
	v_pk_fma_f32 v[120:121], v[116:117], v[102:103], v[106:107] op_sel:[0,0,1] op_sel_hi:[1,1,0] neg_lo:[0,0,1] neg_hi:[0,0,1]
	v_pk_fma_f32 v[106:107], v[116:117], v[102:103], v[106:107] op_sel:[0,0,1] op_sel_hi:[1,0,0]
	v_dual_mul_f32 v116, v119, v105 :: v_dual_mov_b32 v106, v119
	v_dual_mov_b32 v121, v107 :: v_dual_mov_b32 v107, v118
	s_delay_alu instid0(VALU_DEP_2) | instskip(SKIP_1) | instid1(VALU_DEP_3)
	v_pk_fma_f32 v[116:117], v[118:119], v[124:125], v[116:117] op_sel_hi:[1,1,0] neg_lo:[0,0,1] neg_hi:[0,0,1]
	v_mul_f32_e32 v118, v119, v102
	v_pk_add_f32 v[194:195], v[194:195], v[120:121] neg_lo:[0,1] neg_hi:[0,1]
	s_delay_alu instid0(VALU_DEP_2) | instskip(NEXT) | instid1(VALU_DEP_1)
	v_pk_fma_f32 v[106:107], v[106:107], v[124:125], v[118:119] op_sel_hi:[1,1,0]
	v_mov_b32_e32 v117, v107
	s_delay_alu instid0(VALU_DEP_1) | instskip(SKIP_3) | instid1(VALU_DEP_1)
	v_pk_add_f32 v[190:191], v[190:191], v[116:117] neg_lo:[0,1] neg_hi:[0,1]
	ds_load_2addr_b64 v[116:119], v216 offset0:46 offset1:47
	s_wait_dscnt 0x0
	v_pk_mul_f32 v[106:107], v[116:117], v[104:105] op_sel:[0,1]
	v_pk_fma_f32 v[120:121], v[116:117], v[102:103], v[106:107] op_sel:[0,0,1] op_sel_hi:[1,1,0] neg_lo:[0,0,1] neg_hi:[0,0,1]
	v_pk_fma_f32 v[106:107], v[116:117], v[102:103], v[106:107] op_sel:[0,0,1] op_sel_hi:[1,0,0]
	s_delay_alu instid0(VALU_DEP_1) | instskip(SKIP_1) | instid1(VALU_DEP_2)
	v_mov_b32_e32 v121, v107
	v_pk_mul_f32 v[106:107], v[118:119], v[104:105] op_sel:[0,1]
	v_pk_add_f32 v[192:193], v[192:193], v[120:121] neg_lo:[0,1] neg_hi:[0,1]
	s_delay_alu instid0(VALU_DEP_2) | instskip(SKIP_1) | instid1(VALU_DEP_1)
	v_pk_fma_f32 v[116:117], v[118:119], v[102:103], v[106:107] op_sel:[0,0,1] op_sel_hi:[1,1,0] neg_lo:[0,0,1] neg_hi:[0,0,1]
	v_pk_fma_f32 v[106:107], v[118:119], v[102:103], v[106:107] op_sel:[0,0,1] op_sel_hi:[1,0,0]
	v_mov_b32_e32 v117, v107
	s_delay_alu instid0(VALU_DEP_1) | instskip(SKIP_3) | instid1(VALU_DEP_1)
	v_pk_add_f32 v[188:189], v[188:189], v[116:117] neg_lo:[0,1] neg_hi:[0,1]
	ds_load_2addr_b64 v[116:119], v216 offset0:48 offset1:49
	s_wait_dscnt 0x0
	v_pk_mul_f32 v[106:107], v[116:117], v[104:105] op_sel:[0,1]
	v_pk_fma_f32 v[120:121], v[116:117], v[102:103], v[106:107] op_sel:[0,0,1] op_sel_hi:[1,1,0] neg_lo:[0,0,1] neg_hi:[0,0,1]
	v_pk_fma_f32 v[106:107], v[116:117], v[102:103], v[106:107] op_sel:[0,0,1] op_sel_hi:[1,0,0]
	s_delay_alu instid0(VALU_DEP_1) | instskip(SKIP_1) | instid1(VALU_DEP_2)
	v_mov_b32_e32 v121, v107
	v_pk_mul_f32 v[106:107], v[118:119], v[104:105] op_sel:[0,1]
	v_pk_add_f32 v[214:215], v[214:215], v[120:121] neg_lo:[0,1] neg_hi:[0,1]
	s_delay_alu instid0(VALU_DEP_2) | instskip(SKIP_1) | instid1(VALU_DEP_1)
	v_pk_fma_f32 v[116:117], v[118:119], v[102:103], v[106:107] op_sel:[0,0,1] op_sel_hi:[1,1,0] neg_lo:[0,0,1] neg_hi:[0,0,1]
	v_pk_fma_f32 v[106:107], v[118:119], v[102:103], v[106:107] op_sel:[0,0,1] op_sel_hi:[1,0,0]
	v_mov_b32_e32 v117, v107
	s_delay_alu instid0(VALU_DEP_1) | instskip(SKIP_3) | instid1(VALU_DEP_1)
	v_pk_add_f32 v[210:211], v[210:211], v[116:117] neg_lo:[0,1] neg_hi:[0,1]
	ds_load_2addr_b64 v[116:119], v216 offset0:50 offset1:51
	s_wait_dscnt 0x0
	v_dual_mul_f32 v106, v117, v105 :: v_dual_mul_f32 v120, v117, v102
	v_pk_fma_f32 v[106:107], v[116:117], v[124:125], v[106:107] op_sel_hi:[1,1,0] neg_lo:[0,0,1] neg_hi:[0,0,1]
	s_delay_alu instid0(VALU_DEP_2) | instskip(NEXT) | instid1(VALU_DEP_1)
	v_pk_fma_f32 v[116:117], v[116:117], v[124:125], v[120:121] op_sel:[1,0,0] op_sel_hi:[0,1,0]
	v_mov_b32_e32 v107, v117
	s_delay_alu instid0(VALU_DEP_1) | instskip(SKIP_1) | instid1(VALU_DEP_1)
	v_pk_add_f32 v[212:213], v[212:213], v[106:107] neg_lo:[0,1] neg_hi:[0,1]
	v_pk_mul_f32 v[106:107], v[118:119], v[104:105] op_sel:[0,1]
	v_pk_fma_f32 v[116:117], v[118:119], v[102:103], v[106:107] op_sel:[0,0,1] op_sel_hi:[1,1,0] neg_lo:[0,0,1] neg_hi:[0,0,1]
	v_pk_fma_f32 v[106:107], v[118:119], v[102:103], v[106:107] op_sel:[0,0,1] op_sel_hi:[1,0,0]
	s_delay_alu instid0(VALU_DEP_1) | instskip(NEXT) | instid1(VALU_DEP_1)
	v_mov_b32_e32 v117, v107
	v_pk_add_f32 v[208:209], v[208:209], v[116:117] neg_lo:[0,1] neg_hi:[0,1]
	ds_load_2addr_b64 v[116:119], v216 offset0:52 offset1:53
	s_wait_dscnt 0x0
	v_pk_mul_f32 v[106:107], v[116:117], v[104:105] op_sel:[0,1]
	s_delay_alu instid0(VALU_DEP_1) | instskip(SKIP_1) | instid1(VALU_DEP_1)
	v_pk_fma_f32 v[120:121], v[116:117], v[102:103], v[106:107] op_sel:[0,0,1] op_sel_hi:[1,1,0] neg_lo:[0,0,1] neg_hi:[0,0,1]
	v_pk_fma_f32 v[106:107], v[116:117], v[102:103], v[106:107] op_sel:[0,0,1] op_sel_hi:[1,0,0]
	v_mov_b32_e32 v121, v107
	v_pk_mul_f32 v[106:107], v[118:119], v[104:105] op_sel:[0,1]
	s_delay_alu instid0(VALU_DEP_2) | instskip(NEXT) | instid1(VALU_DEP_2)
	v_pk_add_f32 v[236:237], v[236:237], v[120:121] neg_lo:[0,1] neg_hi:[0,1]
	v_pk_fma_f32 v[116:117], v[118:119], v[102:103], v[106:107] op_sel:[0,0,1] op_sel_hi:[1,1,0] neg_lo:[0,0,1] neg_hi:[0,0,1]
	v_pk_fma_f32 v[106:107], v[118:119], v[102:103], v[106:107] op_sel:[0,0,1] op_sel_hi:[1,0,0]
	s_delay_alu instid0(VALU_DEP_1) | instskip(NEXT) | instid1(VALU_DEP_1)
	v_mov_b32_e32 v117, v107
	v_pk_add_f32 v[230:231], v[230:231], v[116:117] neg_lo:[0,1] neg_hi:[0,1]
	ds_load_2addr_b64 v[116:119], v216 offset0:54 offset1:55
	s_wait_dscnt 0x0
	v_pk_mul_f32 v[106:107], v[116:117], v[104:105] op_sel:[0,1]
	s_delay_alu instid0(VALU_DEP_1) | instskip(SKIP_2) | instid1(VALU_DEP_2)
	v_pk_fma_f32 v[120:121], v[116:117], v[102:103], v[106:107] op_sel:[0,0,1] op_sel_hi:[1,1,0] neg_lo:[0,0,1] neg_hi:[0,0,1]
	v_pk_fma_f32 v[106:107], v[116:117], v[102:103], v[106:107] op_sel:[0,0,1] op_sel_hi:[1,0,0]
	v_dual_mul_f32 v116, v119, v105 :: v_dual_mov_b32 v106, v119
	v_dual_mov_b32 v121, v107 :: v_dual_mov_b32 v107, v118
	s_delay_alu instid0(VALU_DEP_2) | instskip(SKIP_1) | instid1(VALU_DEP_3)
	v_pk_fma_f32 v[116:117], v[118:119], v[124:125], v[116:117] op_sel_hi:[1,1,0] neg_lo:[0,0,1] neg_hi:[0,0,1]
	v_mul_f32_e32 v118, v119, v102
	v_pk_add_f32 v[234:235], v[234:235], v[120:121] neg_lo:[0,1] neg_hi:[0,1]
	s_delay_alu instid0(VALU_DEP_2) | instskip(NEXT) | instid1(VALU_DEP_1)
	v_pk_fma_f32 v[106:107], v[106:107], v[124:125], v[118:119] op_sel_hi:[1,1,0]
	v_mov_b32_e32 v117, v107
	s_delay_alu instid0(VALU_DEP_1) | instskip(SKIP_3) | instid1(VALU_DEP_1)
	v_pk_add_f32 v[228:229], v[228:229], v[116:117] neg_lo:[0,1] neg_hi:[0,1]
	ds_load_2addr_b64 v[116:119], v216 offset0:56 offset1:57
	s_wait_dscnt 0x0
	v_pk_mul_f32 v[106:107], v[116:117], v[104:105] op_sel:[0,1]
	v_pk_fma_f32 v[120:121], v[116:117], v[102:103], v[106:107] op_sel:[0,0,1] op_sel_hi:[1,1,0] neg_lo:[0,0,1] neg_hi:[0,0,1]
	v_pk_fma_f32 v[106:107], v[116:117], v[102:103], v[106:107] op_sel:[0,0,1] op_sel_hi:[1,0,0]
	s_delay_alu instid0(VALU_DEP_1) | instskip(SKIP_1) | instid1(VALU_DEP_2)
	v_mov_b32_e32 v121, v107
	v_pk_mul_f32 v[106:107], v[118:119], v[104:105] op_sel:[0,1]
	v_pk_add_f32 v[232:233], v[232:233], v[120:121] neg_lo:[0,1] neg_hi:[0,1]
	s_delay_alu instid0(VALU_DEP_2) | instskip(SKIP_1) | instid1(VALU_DEP_1)
	v_pk_fma_f32 v[116:117], v[118:119], v[102:103], v[106:107] op_sel:[0,0,1] op_sel_hi:[1,1,0] neg_lo:[0,0,1] neg_hi:[0,0,1]
	v_pk_fma_f32 v[106:107], v[118:119], v[102:103], v[106:107] op_sel:[0,0,1] op_sel_hi:[1,0,0]
	v_mov_b32_e32 v117, v107
	s_delay_alu instid0(VALU_DEP_1) | instskip(SKIP_4) | instid1(VALU_DEP_2)
	v_pk_add_f32 v[226:227], v[226:227], v[116:117] neg_lo:[0,1] neg_hi:[0,1]
	ds_load_2addr_b64 v[116:119], v216 offset0:58 offset1:59
	s_wait_dscnt 0x0
	v_pk_mul_f32 v[106:107], v[116:117], v[104:105] op_sel:[0,1]
	v_pk_mul_f32 v[104:105], v[118:119], v[104:105] op_sel:[0,1]
	v_pk_fma_f32 v[120:121], v[116:117], v[102:103], v[106:107] op_sel:[0,0,1] op_sel_hi:[1,1,0] neg_lo:[0,0,1] neg_hi:[0,0,1]
	v_pk_fma_f32 v[106:107], v[116:117], v[102:103], v[106:107] op_sel:[0,0,1] op_sel_hi:[1,0,0]
	s_delay_alu instid0(VALU_DEP_1) | instskip(NEXT) | instid1(VALU_DEP_4)
	v_mov_b32_e32 v121, v107
	v_pk_fma_f32 v[106:107], v[118:119], v[102:103], v[104:105] op_sel:[0,0,1] op_sel_hi:[1,1,0] neg_lo:[0,0,1] neg_hi:[0,0,1]
	v_pk_fma_f32 v[102:103], v[118:119], v[102:103], v[104:105] op_sel:[0,0,1] op_sel_hi:[1,0,0]
	s_delay_alu instid0(VALU_DEP_3) | instskip(NEXT) | instid1(VALU_DEP_2)
	v_pk_add_f32 v[238:239], v[238:239], v[120:121] neg_lo:[0,1] neg_hi:[0,1]
	v_mov_b32_e32 v107, v103
	s_delay_alu instid0(VALU_DEP_1)
	v_pk_add_f32 v[240:241], v[240:241], v[106:107] neg_lo:[0,1] neg_hi:[0,1]
.LBB119_289:
	s_or_b32 exec_lo, exec_lo, s1
	s_delay_alu instid0(SALU_CYCLE_1)
	s_mov_b32 s2, exec_lo
	s_wait_dscnt 0x0
	s_barrier_signal -1
	s_barrier_wait -1
	v_cmpx_eq_u32_e32 32, v206
	s_cbranch_execz .LBB119_296
; %bb.290:
	ds_store_b64 v207, v[146:147]
	ds_store_2addr_b64 v216, v[142:143], v[144:145] offset0:33 offset1:34
	ds_store_2addr_b64 v216, v[140:141], v[162:163] offset0:35 offset1:36
	ds_store_2addr_b64 v216, v[158:159], v[160:161] offset0:37 offset1:38
	ds_store_2addr_b64 v216, v[156:157], v[178:179] offset0:39 offset1:40
	ds_store_2addr_b64 v216, v[174:175], v[176:177] offset0:41 offset1:42
	ds_store_2addr_b64 v216, v[172:173], v[194:195] offset0:43 offset1:44
	ds_store_2addr_b64 v216, v[190:191], v[192:193] offset0:45 offset1:46
	ds_store_2addr_b64 v216, v[188:189], v[214:215] offset0:47 offset1:48
	ds_store_2addr_b64 v216, v[210:211], v[212:213] offset0:49 offset1:50
	ds_store_2addr_b64 v216, v[208:209], v[236:237] offset0:51 offset1:52
	ds_store_2addr_b64 v216, v[230:231], v[234:235] offset0:53 offset1:54
	ds_store_2addr_b64 v216, v[228:229], v[232:233] offset0:55 offset1:56
	ds_store_2addr_b64 v216, v[226:227], v[238:239] offset0:57 offset1:58
	ds_store_b64 v216, v[240:241] offset:472
	ds_load_b64 v[102:103], v207
	s_wait_dscnt 0x0
	v_cmp_neq_f32_e32 vcc_lo, 0, v102
	v_cmp_neq_f32_e64 s1, 0, v103
	s_or_b32 s1, vcc_lo, s1
	s_delay_alu instid0(SALU_CYCLE_1)
	s_and_b32 exec_lo, exec_lo, s1
	s_cbranch_execz .LBB119_296
; %bb.291:
	v_cmp_ngt_f32_e64 s1, |v102|, |v103|
                                        ; implicit-def: $vgpr104_vgpr105
	s_and_saveexec_b32 s4, s1
	s_delay_alu instid0(SALU_CYCLE_1)
	s_xor_b32 s1, exec_lo, s4
	s_cbranch_execz .LBB119_293
; %bb.292:
	v_div_scale_f32 v104, null, v103, v103, v102
	v_div_scale_f32 v107, vcc_lo, v102, v103, v102
	s_delay_alu instid0(VALU_DEP_2) | instskip(SKIP_1) | instid1(TRANS32_DEP_1)
	v_rcp_f32_e32 v105, v104
	v_nop
	v_fma_f32 v106, -v104, v105, 1.0
	s_delay_alu instid0(VALU_DEP_1) | instskip(NEXT) | instid1(VALU_DEP_1)
	v_fmac_f32_e32 v105, v106, v105
	v_mul_f32_e32 v106, v107, v105
	s_delay_alu instid0(VALU_DEP_1) | instskip(NEXT) | instid1(VALU_DEP_1)
	v_fma_f32 v116, -v104, v106, v107
	v_fmac_f32_e32 v106, v116, v105
	s_delay_alu instid0(VALU_DEP_1) | instskip(NEXT) | instid1(VALU_DEP_1)
	v_fma_f32 v104, -v104, v106, v107
	v_div_fmas_f32 v104, v104, v105, v106
	s_delay_alu instid0(VALU_DEP_1) | instskip(NEXT) | instid1(VALU_DEP_1)
	v_div_fixup_f32 v104, v104, v103, v102
	v_fmac_f32_e32 v103, v102, v104
	s_delay_alu instid0(VALU_DEP_1) | instskip(SKIP_1) | instid1(VALU_DEP_2)
	v_div_scale_f32 v102, null, v103, v103, 1.0
	v_div_scale_f32 v107, vcc_lo, 1.0, v103, 1.0
	v_rcp_f32_e32 v105, v102
	v_nop
	s_delay_alu instid0(TRANS32_DEP_1) | instskip(NEXT) | instid1(VALU_DEP_1)
	v_fma_f32 v106, -v102, v105, 1.0
	v_fmac_f32_e32 v105, v106, v105
	s_delay_alu instid0(VALU_DEP_1) | instskip(NEXT) | instid1(VALU_DEP_1)
	v_mul_f32_e32 v106, v107, v105
	v_fma_f32 v116, -v102, v106, v107
	s_delay_alu instid0(VALU_DEP_1) | instskip(NEXT) | instid1(VALU_DEP_1)
	v_fmac_f32_e32 v106, v116, v105
	v_fma_f32 v102, -v102, v106, v107
	s_delay_alu instid0(VALU_DEP_1) | instskip(NEXT) | instid1(VALU_DEP_1)
	v_div_fmas_f32 v102, v102, v105, v106
	v_div_fixup_f32 v102, v102, v103, 1.0
	s_delay_alu instid0(VALU_DEP_1)
	v_mul_f32_e32 v104, v104, v102
	v_xor_b32_e32 v105, 0x80000000, v102
                                        ; implicit-def: $vgpr102_vgpr103
.LBB119_293:
	s_and_not1_saveexec_b32 s1, s1
	s_cbranch_execz .LBB119_295
; %bb.294:
	v_div_scale_f32 v104, null, v102, v102, v103
	v_div_scale_f32 v107, vcc_lo, v103, v102, v103
	s_delay_alu instid0(VALU_DEP_2) | instskip(SKIP_1) | instid1(TRANS32_DEP_1)
	v_rcp_f32_e32 v105, v104
	v_nop
	v_fma_f32 v106, -v104, v105, 1.0
	s_delay_alu instid0(VALU_DEP_1) | instskip(NEXT) | instid1(VALU_DEP_1)
	v_fmac_f32_e32 v105, v106, v105
	v_mul_f32_e32 v106, v107, v105
	s_delay_alu instid0(VALU_DEP_1) | instskip(NEXT) | instid1(VALU_DEP_1)
	v_fma_f32 v116, -v104, v106, v107
	v_fmac_f32_e32 v106, v116, v105
	s_delay_alu instid0(VALU_DEP_1) | instskip(NEXT) | instid1(VALU_DEP_1)
	v_fma_f32 v104, -v104, v106, v107
	v_div_fmas_f32 v104, v104, v105, v106
	s_delay_alu instid0(VALU_DEP_1) | instskip(NEXT) | instid1(VALU_DEP_1)
	v_div_fixup_f32 v105, v104, v102, v103
	v_fmac_f32_e32 v102, v103, v105
	s_delay_alu instid0(VALU_DEP_1) | instskip(NEXT) | instid1(VALU_DEP_1)
	v_div_scale_f32 v103, null, v102, v102, 1.0
	v_rcp_f32_e32 v104, v103
	v_nop
	s_delay_alu instid0(TRANS32_DEP_1) | instskip(NEXT) | instid1(VALU_DEP_1)
	v_fma_f32 v106, -v103, v104, 1.0
	v_fmac_f32_e32 v104, v106, v104
	v_div_scale_f32 v106, vcc_lo, 1.0, v102, 1.0
	s_delay_alu instid0(VALU_DEP_1) | instskip(NEXT) | instid1(VALU_DEP_1)
	v_mul_f32_e32 v107, v106, v104
	v_fma_f32 v116, -v103, v107, v106
	s_delay_alu instid0(VALU_DEP_1) | instskip(NEXT) | instid1(VALU_DEP_1)
	v_fmac_f32_e32 v107, v116, v104
	v_fma_f32 v103, -v103, v107, v106
	s_delay_alu instid0(VALU_DEP_1) | instskip(NEXT) | instid1(VALU_DEP_1)
	v_div_fmas_f32 v103, v103, v104, v107
	v_div_fixup_f32 v104, v103, v102, 1.0
	s_delay_alu instid0(VALU_DEP_1)
	v_mul_f32_e64 v105, v105, -v104
.LBB119_295:
	s_or_b32 exec_lo, exec_lo, s1
	ds_store_b64 v207, v[104:105]
.LBB119_296:
	s_or_b32 exec_lo, exec_lo, s2
	s_wait_dscnt 0x0
	s_barrier_signal -1
	s_barrier_wait -1
	ds_load_b64 v[102:103], v207
	s_mov_b32 s1, exec_lo
	v_cmpx_lt_u32_e32 32, v206
	s_cbranch_execz .LBB119_298
; %bb.297:
	ds_load_2addr_b64 v[116:119], v216 offset0:33 offset1:34
	s_wait_dscnt 0x1
	v_pk_mul_f32 v[106:107], v[102:103], v[146:147] op_sel:[1,1] op_sel_hi:[0,1]
	s_delay_alu instid0(VALU_DEP_1) | instskip(SKIP_1) | instid1(VALU_DEP_1)
	v_pk_fma_f32 v[104:105], v[102:103], v[146:147], v[106:107] op_sel_hi:[1,0,1] neg_lo:[0,0,1] neg_hi:[0,0,1]
	v_pk_fma_f32 v[106:107], v[102:103], v[146:147], v[106:107] op_sel_hi:[1,0,1]
	v_dual_mov_b32 v146, v104 :: v_dual_mov_b32 v147, v107
	s_wait_dscnt 0x0
	s_delay_alu instid0(VALU_DEP_2) | instskip(NEXT) | instid1(VALU_DEP_1)
	v_pk_mul_f32 v[120:121], v[116:117], v[106:107] op_sel:[0,1]
	v_pk_fma_f32 v[122:123], v[116:117], v[104:105], v[120:121] op_sel:[0,0,1] op_sel_hi:[1,1,0] neg_lo:[0,0,1] neg_hi:[0,0,1]
	v_pk_fma_f32 v[116:117], v[116:117], v[104:105], v[120:121] op_sel:[0,0,1] op_sel_hi:[1,0,0]
	s_delay_alu instid0(VALU_DEP_1) | instskip(SKIP_1) | instid1(VALU_DEP_1)
	v_mov_b32_e32 v123, v117
	v_pk_mul_f32 v[116:117], v[118:119], v[106:107] op_sel:[0,1]
	v_pk_fma_f32 v[120:121], v[118:119], v[104:105], v[116:117] op_sel:[0,0,1] op_sel_hi:[1,1,0] neg_lo:[0,0,1] neg_hi:[0,0,1]
	v_pk_fma_f32 v[116:117], v[118:119], v[104:105], v[116:117] op_sel:[0,0,1] op_sel_hi:[1,0,0]
	s_delay_alu instid0(VALU_DEP_1)
	v_mov_b32_e32 v121, v117
	ds_load_2addr_b64 v[116:119], v216 offset0:35 offset1:36
	v_pk_add_f32 v[142:143], v[142:143], v[122:123] neg_lo:[0,1] neg_hi:[0,1]
	v_pk_add_f32 v[144:145], v[144:145], v[120:121] neg_lo:[0,1] neg_hi:[0,1]
	s_wait_dscnt 0x0
	v_pk_mul_f32 v[120:121], v[116:117], v[106:107] op_sel:[0,1]
	s_delay_alu instid0(VALU_DEP_1) | instskip(SKIP_2) | instid1(VALU_DEP_2)
	v_pk_fma_f32 v[122:123], v[116:117], v[104:105], v[120:121] op_sel:[0,0,1] op_sel_hi:[1,1,0] neg_lo:[0,0,1] neg_hi:[0,0,1]
	v_pk_fma_f32 v[116:117], v[116:117], v[104:105], v[120:121] op_sel:[0,0,1] op_sel_hi:[1,0,0]
	v_dual_mul_f32 v120, v119, v107 :: v_dual_mov_b32 v116, v119
	v_dual_mov_b32 v123, v117 :: v_dual_mov_b32 v117, v118
	s_delay_alu instid0(VALU_DEP_2) | instskip(SKIP_1) | instid1(VALU_DEP_3)
	v_pk_fma_f32 v[120:121], v[118:119], v[146:147], v[120:121] op_sel_hi:[1,1,0] neg_lo:[0,0,1] neg_hi:[0,0,1]
	v_mul_f32_e32 v118, v119, v104
	v_pk_add_f32 v[140:141], v[140:141], v[122:123] neg_lo:[0,1] neg_hi:[0,1]
	s_delay_alu instid0(VALU_DEP_2) | instskip(NEXT) | instid1(VALU_DEP_1)
	v_pk_fma_f32 v[116:117], v[116:117], v[146:147], v[118:119] op_sel_hi:[1,1,0]
	v_mov_b32_e32 v121, v117
	ds_load_2addr_b64 v[116:119], v216 offset0:37 offset1:38
	v_pk_add_f32 v[162:163], v[162:163], v[120:121] neg_lo:[0,1] neg_hi:[0,1]
	s_wait_dscnt 0x0
	v_pk_mul_f32 v[120:121], v[116:117], v[106:107] op_sel:[0,1]
	s_delay_alu instid0(VALU_DEP_1) | instskip(SKIP_1) | instid1(VALU_DEP_1)
	v_pk_fma_f32 v[122:123], v[116:117], v[104:105], v[120:121] op_sel:[0,0,1] op_sel_hi:[1,1,0] neg_lo:[0,0,1] neg_hi:[0,0,1]
	v_pk_fma_f32 v[116:117], v[116:117], v[104:105], v[120:121] op_sel:[0,0,1] op_sel_hi:[1,0,0]
	v_mov_b32_e32 v123, v117
	v_pk_mul_f32 v[116:117], v[118:119], v[106:107] op_sel:[0,1]
	s_delay_alu instid0(VALU_DEP_1) | instskip(SKIP_1) | instid1(VALU_DEP_1)
	v_pk_fma_f32 v[120:121], v[118:119], v[104:105], v[116:117] op_sel:[0,0,1] op_sel_hi:[1,1,0] neg_lo:[0,0,1] neg_hi:[0,0,1]
	v_pk_fma_f32 v[116:117], v[118:119], v[104:105], v[116:117] op_sel:[0,0,1] op_sel_hi:[1,0,0]
	v_mov_b32_e32 v121, v117
	ds_load_2addr_b64 v[116:119], v216 offset0:39 offset1:40
	v_pk_add_f32 v[158:159], v[158:159], v[122:123] neg_lo:[0,1] neg_hi:[0,1]
	v_pk_add_f32 v[160:161], v[160:161], v[120:121] neg_lo:[0,1] neg_hi:[0,1]
	s_wait_dscnt 0x0
	v_pk_mul_f32 v[120:121], v[116:117], v[106:107] op_sel:[0,1]
	s_delay_alu instid0(VALU_DEP_1) | instskip(SKIP_1) | instid1(VALU_DEP_1)
	v_pk_fma_f32 v[122:123], v[116:117], v[104:105], v[120:121] op_sel:[0,0,1] op_sel_hi:[1,1,0] neg_lo:[0,0,1] neg_hi:[0,0,1]
	v_pk_fma_f32 v[116:117], v[116:117], v[104:105], v[120:121] op_sel:[0,0,1] op_sel_hi:[1,0,0]
	v_mov_b32_e32 v123, v117
	v_pk_mul_f32 v[116:117], v[118:119], v[106:107] op_sel:[0,1]
	s_delay_alu instid0(VALU_DEP_1) | instskip(SKIP_1) | instid1(VALU_DEP_1)
	v_pk_fma_f32 v[120:121], v[118:119], v[104:105], v[116:117] op_sel:[0,0,1] op_sel_hi:[1,1,0] neg_lo:[0,0,1] neg_hi:[0,0,1]
	v_pk_fma_f32 v[116:117], v[118:119], v[104:105], v[116:117] op_sel:[0,0,1] op_sel_hi:[1,0,0]
	v_mov_b32_e32 v121, v117
	ds_load_2addr_b64 v[116:119], v216 offset0:41 offset1:42
	v_pk_add_f32 v[156:157], v[156:157], v[122:123] neg_lo:[0,1] neg_hi:[0,1]
	v_pk_add_f32 v[178:179], v[178:179], v[120:121] neg_lo:[0,1] neg_hi:[0,1]
	s_wait_dscnt 0x0
	v_dual_mul_f32 v120, v117, v107 :: v_dual_mul_f32 v122, v117, v104
	s_delay_alu instid0(VALU_DEP_1) | instskip(NEXT) | instid1(VALU_DEP_2)
	v_pk_fma_f32 v[120:121], v[116:117], v[146:147], v[120:121] op_sel_hi:[1,1,0] neg_lo:[0,0,1] neg_hi:[0,0,1]
	v_pk_fma_f32 v[116:117], v[116:117], v[146:147], v[122:123] op_sel:[1,0,0] op_sel_hi:[0,1,0]
	s_delay_alu instid0(VALU_DEP_1) | instskip(SKIP_1) | instid1(VALU_DEP_2)
	v_mov_b32_e32 v121, v117
	v_pk_mul_f32 v[116:117], v[118:119], v[106:107] op_sel:[0,1]
	v_pk_add_f32 v[174:175], v[174:175], v[120:121] neg_lo:[0,1] neg_hi:[0,1]
	s_delay_alu instid0(VALU_DEP_2) | instskip(SKIP_1) | instid1(VALU_DEP_1)
	v_pk_fma_f32 v[120:121], v[118:119], v[104:105], v[116:117] op_sel:[0,0,1] op_sel_hi:[1,1,0] neg_lo:[0,0,1] neg_hi:[0,0,1]
	v_pk_fma_f32 v[116:117], v[118:119], v[104:105], v[116:117] op_sel:[0,0,1] op_sel_hi:[1,0,0]
	v_mov_b32_e32 v121, v117
	ds_load_2addr_b64 v[116:119], v216 offset0:43 offset1:44
	v_pk_add_f32 v[176:177], v[176:177], v[120:121] neg_lo:[0,1] neg_hi:[0,1]
	s_wait_dscnt 0x0
	v_pk_mul_f32 v[120:121], v[116:117], v[106:107] op_sel:[0,1]
	s_delay_alu instid0(VALU_DEP_1) | instskip(SKIP_1) | instid1(VALU_DEP_1)
	v_pk_fma_f32 v[122:123], v[116:117], v[104:105], v[120:121] op_sel:[0,0,1] op_sel_hi:[1,1,0] neg_lo:[0,0,1] neg_hi:[0,0,1]
	v_pk_fma_f32 v[116:117], v[116:117], v[104:105], v[120:121] op_sel:[0,0,1] op_sel_hi:[1,0,0]
	v_mov_b32_e32 v123, v117
	v_pk_mul_f32 v[116:117], v[118:119], v[106:107] op_sel:[0,1]
	s_delay_alu instid0(VALU_DEP_2) | instskip(NEXT) | instid1(VALU_DEP_2)
	v_pk_add_f32 v[172:173], v[172:173], v[122:123] neg_lo:[0,1] neg_hi:[0,1]
	v_pk_fma_f32 v[120:121], v[118:119], v[104:105], v[116:117] op_sel:[0,0,1] op_sel_hi:[1,1,0] neg_lo:[0,0,1] neg_hi:[0,0,1]
	v_pk_fma_f32 v[116:117], v[118:119], v[104:105], v[116:117] op_sel:[0,0,1] op_sel_hi:[1,0,0]
	s_delay_alu instid0(VALU_DEP_1) | instskip(SKIP_4) | instid1(VALU_DEP_1)
	v_mov_b32_e32 v121, v117
	ds_load_2addr_b64 v[116:119], v216 offset0:45 offset1:46
	v_pk_add_f32 v[194:195], v[194:195], v[120:121] neg_lo:[0,1] neg_hi:[0,1]
	s_wait_dscnt 0x0
	v_pk_mul_f32 v[120:121], v[116:117], v[106:107] op_sel:[0,1]
	v_pk_fma_f32 v[122:123], v[116:117], v[104:105], v[120:121] op_sel:[0,0,1] op_sel_hi:[1,1,0] neg_lo:[0,0,1] neg_hi:[0,0,1]
	v_pk_fma_f32 v[116:117], v[116:117], v[104:105], v[120:121] op_sel:[0,0,1] op_sel_hi:[1,0,0]
	v_dual_mul_f32 v120, v119, v107 :: v_dual_mov_b32 v116, v119
	s_delay_alu instid0(VALU_DEP_2) | instskip(NEXT) | instid1(VALU_DEP_2)
	v_dual_mov_b32 v123, v117 :: v_dual_mov_b32 v117, v118
	v_pk_fma_f32 v[120:121], v[118:119], v[146:147], v[120:121] op_sel_hi:[1,1,0] neg_lo:[0,0,1] neg_hi:[0,0,1]
	v_mul_f32_e32 v118, v119, v104
	s_delay_alu instid0(VALU_DEP_3) | instskip(NEXT) | instid1(VALU_DEP_2)
	v_pk_add_f32 v[190:191], v[190:191], v[122:123] neg_lo:[0,1] neg_hi:[0,1]
	v_pk_fma_f32 v[116:117], v[116:117], v[146:147], v[118:119] op_sel_hi:[1,1,0]
	s_delay_alu instid0(VALU_DEP_1) | instskip(SKIP_4) | instid1(VALU_DEP_1)
	v_mov_b32_e32 v121, v117
	ds_load_2addr_b64 v[116:119], v216 offset0:47 offset1:48
	v_pk_add_f32 v[192:193], v[192:193], v[120:121] neg_lo:[0,1] neg_hi:[0,1]
	s_wait_dscnt 0x0
	v_pk_mul_f32 v[120:121], v[116:117], v[106:107] op_sel:[0,1]
	v_pk_fma_f32 v[122:123], v[116:117], v[104:105], v[120:121] op_sel:[0,0,1] op_sel_hi:[1,1,0] neg_lo:[0,0,1] neg_hi:[0,0,1]
	v_pk_fma_f32 v[116:117], v[116:117], v[104:105], v[120:121] op_sel:[0,0,1] op_sel_hi:[1,0,0]
	s_delay_alu instid0(VALU_DEP_1) | instskip(SKIP_1) | instid1(VALU_DEP_1)
	v_mov_b32_e32 v123, v117
	v_pk_mul_f32 v[116:117], v[118:119], v[106:107] op_sel:[0,1]
	v_pk_fma_f32 v[120:121], v[118:119], v[104:105], v[116:117] op_sel:[0,0,1] op_sel_hi:[1,1,0] neg_lo:[0,0,1] neg_hi:[0,0,1]
	v_pk_fma_f32 v[116:117], v[118:119], v[104:105], v[116:117] op_sel:[0,0,1] op_sel_hi:[1,0,0]
	s_delay_alu instid0(VALU_DEP_1)
	v_mov_b32_e32 v121, v117
	ds_load_2addr_b64 v[116:119], v216 offset0:49 offset1:50
	v_pk_add_f32 v[188:189], v[188:189], v[122:123] neg_lo:[0,1] neg_hi:[0,1]
	v_pk_add_f32 v[214:215], v[214:215], v[120:121] neg_lo:[0,1] neg_hi:[0,1]
	s_wait_dscnt 0x0
	v_pk_mul_f32 v[120:121], v[116:117], v[106:107] op_sel:[0,1]
	s_delay_alu instid0(VALU_DEP_1) | instskip(SKIP_1) | instid1(VALU_DEP_1)
	v_pk_fma_f32 v[122:123], v[116:117], v[104:105], v[120:121] op_sel:[0,0,1] op_sel_hi:[1,1,0] neg_lo:[0,0,1] neg_hi:[0,0,1]
	v_pk_fma_f32 v[116:117], v[116:117], v[104:105], v[120:121] op_sel:[0,0,1] op_sel_hi:[1,0,0]
	v_mov_b32_e32 v123, v117
	v_pk_mul_f32 v[116:117], v[118:119], v[106:107] op_sel:[0,1]
	s_delay_alu instid0(VALU_DEP_1) | instskip(SKIP_1) | instid1(VALU_DEP_1)
	v_pk_fma_f32 v[120:121], v[118:119], v[104:105], v[116:117] op_sel:[0,0,1] op_sel_hi:[1,1,0] neg_lo:[0,0,1] neg_hi:[0,0,1]
	v_pk_fma_f32 v[116:117], v[118:119], v[104:105], v[116:117] op_sel:[0,0,1] op_sel_hi:[1,0,0]
	v_mov_b32_e32 v121, v117
	ds_load_2addr_b64 v[116:119], v216 offset0:51 offset1:52
	v_pk_add_f32 v[210:211], v[210:211], v[122:123] neg_lo:[0,1] neg_hi:[0,1]
	v_pk_add_f32 v[212:213], v[212:213], v[120:121] neg_lo:[0,1] neg_hi:[0,1]
	s_wait_dscnt 0x0
	v_dual_mul_f32 v120, v117, v107 :: v_dual_mul_f32 v122, v117, v104
	s_delay_alu instid0(VALU_DEP_1) | instskip(NEXT) | instid1(VALU_DEP_2)
	v_pk_fma_f32 v[120:121], v[116:117], v[146:147], v[120:121] op_sel_hi:[1,1,0] neg_lo:[0,0,1] neg_hi:[0,0,1]
	v_pk_fma_f32 v[116:117], v[116:117], v[146:147], v[122:123] op_sel:[1,0,0] op_sel_hi:[0,1,0]
	s_delay_alu instid0(VALU_DEP_1) | instskip(SKIP_1) | instid1(VALU_DEP_2)
	v_mov_b32_e32 v121, v117
	v_pk_mul_f32 v[116:117], v[118:119], v[106:107] op_sel:[0,1]
	v_pk_add_f32 v[208:209], v[208:209], v[120:121] neg_lo:[0,1] neg_hi:[0,1]
	s_delay_alu instid0(VALU_DEP_2) | instskip(SKIP_1) | instid1(VALU_DEP_1)
	v_pk_fma_f32 v[120:121], v[118:119], v[104:105], v[116:117] op_sel:[0,0,1] op_sel_hi:[1,1,0] neg_lo:[0,0,1] neg_hi:[0,0,1]
	v_pk_fma_f32 v[116:117], v[118:119], v[104:105], v[116:117] op_sel:[0,0,1] op_sel_hi:[1,0,0]
	v_mov_b32_e32 v121, v117
	ds_load_2addr_b64 v[116:119], v216 offset0:53 offset1:54
	v_pk_add_f32 v[236:237], v[236:237], v[120:121] neg_lo:[0,1] neg_hi:[0,1]
	s_wait_dscnt 0x0
	v_pk_mul_f32 v[120:121], v[116:117], v[106:107] op_sel:[0,1]
	s_delay_alu instid0(VALU_DEP_1) | instskip(SKIP_1) | instid1(VALU_DEP_1)
	v_pk_fma_f32 v[122:123], v[116:117], v[104:105], v[120:121] op_sel:[0,0,1] op_sel_hi:[1,1,0] neg_lo:[0,0,1] neg_hi:[0,0,1]
	v_pk_fma_f32 v[116:117], v[116:117], v[104:105], v[120:121] op_sel:[0,0,1] op_sel_hi:[1,0,0]
	v_mov_b32_e32 v123, v117
	v_pk_mul_f32 v[116:117], v[118:119], v[106:107] op_sel:[0,1]
	s_delay_alu instid0(VALU_DEP_2) | instskip(NEXT) | instid1(VALU_DEP_2)
	v_pk_add_f32 v[230:231], v[230:231], v[122:123] neg_lo:[0,1] neg_hi:[0,1]
	v_pk_fma_f32 v[120:121], v[118:119], v[104:105], v[116:117] op_sel:[0,0,1] op_sel_hi:[1,1,0] neg_lo:[0,0,1] neg_hi:[0,0,1]
	v_pk_fma_f32 v[116:117], v[118:119], v[104:105], v[116:117] op_sel:[0,0,1] op_sel_hi:[1,0,0]
	s_delay_alu instid0(VALU_DEP_1) | instskip(SKIP_4) | instid1(VALU_DEP_1)
	v_mov_b32_e32 v121, v117
	ds_load_2addr_b64 v[116:119], v216 offset0:55 offset1:56
	v_pk_add_f32 v[234:235], v[234:235], v[120:121] neg_lo:[0,1] neg_hi:[0,1]
	s_wait_dscnt 0x0
	v_pk_mul_f32 v[120:121], v[116:117], v[106:107] op_sel:[0,1]
	v_pk_fma_f32 v[122:123], v[116:117], v[104:105], v[120:121] op_sel:[0,0,1] op_sel_hi:[1,1,0] neg_lo:[0,0,1] neg_hi:[0,0,1]
	v_pk_fma_f32 v[116:117], v[116:117], v[104:105], v[120:121] op_sel:[0,0,1] op_sel_hi:[1,0,0]
	v_dual_mul_f32 v120, v119, v107 :: v_dual_mov_b32 v116, v119
	s_delay_alu instid0(VALU_DEP_2) | instskip(NEXT) | instid1(VALU_DEP_2)
	v_dual_mov_b32 v123, v117 :: v_dual_mov_b32 v117, v118
	v_pk_fma_f32 v[120:121], v[118:119], v[146:147], v[120:121] op_sel_hi:[1,1,0] neg_lo:[0,0,1] neg_hi:[0,0,1]
	v_mul_f32_e32 v118, v119, v104
	s_delay_alu instid0(VALU_DEP_3) | instskip(NEXT) | instid1(VALU_DEP_2)
	v_pk_add_f32 v[228:229], v[228:229], v[122:123] neg_lo:[0,1] neg_hi:[0,1]
	v_pk_fma_f32 v[116:117], v[116:117], v[146:147], v[118:119] op_sel_hi:[1,1,0]
	s_delay_alu instid0(VALU_DEP_1) | instskip(SKIP_4) | instid1(VALU_DEP_1)
	v_mov_b32_e32 v121, v117
	ds_load_2addr_b64 v[116:119], v216 offset0:57 offset1:58
	v_pk_add_f32 v[232:233], v[232:233], v[120:121] neg_lo:[0,1] neg_hi:[0,1]
	s_wait_dscnt 0x0
	v_pk_mul_f32 v[120:121], v[116:117], v[106:107] op_sel:[0,1]
	v_pk_fma_f32 v[122:123], v[116:117], v[104:105], v[120:121] op_sel:[0,0,1] op_sel_hi:[1,1,0] neg_lo:[0,0,1] neg_hi:[0,0,1]
	v_pk_fma_f32 v[116:117], v[116:117], v[104:105], v[120:121] op_sel:[0,0,1] op_sel_hi:[1,0,0]
	s_delay_alu instid0(VALU_DEP_1) | instskip(SKIP_1) | instid1(VALU_DEP_1)
	v_mov_b32_e32 v123, v117
	v_pk_mul_f32 v[116:117], v[118:119], v[106:107] op_sel:[0,1]
	v_pk_fma_f32 v[120:121], v[118:119], v[104:105], v[116:117] op_sel:[0,0,1] op_sel_hi:[1,1,0] neg_lo:[0,0,1] neg_hi:[0,0,1]
	v_pk_fma_f32 v[116:117], v[118:119], v[104:105], v[116:117] op_sel:[0,0,1] op_sel_hi:[1,0,0]
	s_delay_alu instid0(VALU_DEP_1)
	v_mov_b32_e32 v121, v117
	ds_load_b64 v[116:117], v216 offset:472
	v_pk_add_f32 v[226:227], v[226:227], v[122:123] neg_lo:[0,1] neg_hi:[0,1]
	v_pk_add_f32 v[238:239], v[238:239], v[120:121] neg_lo:[0,1] neg_hi:[0,1]
	s_wait_dscnt 0x0
	v_pk_mul_f32 v[106:107], v[116:117], v[106:107] op_sel:[0,1]
	s_delay_alu instid0(VALU_DEP_1) | instskip(SKIP_1) | instid1(VALU_DEP_1)
	v_pk_fma_f32 v[118:119], v[116:117], v[104:105], v[106:107] op_sel:[0,0,1] op_sel_hi:[1,1,0] neg_lo:[0,0,1] neg_hi:[0,0,1]
	v_pk_fma_f32 v[104:105], v[116:117], v[104:105], v[106:107] op_sel:[0,0,1] op_sel_hi:[1,0,0]
	v_mov_b32_e32 v119, v105
	s_delay_alu instid0(VALU_DEP_1)
	v_pk_add_f32 v[240:241], v[240:241], v[118:119] neg_lo:[0,1] neg_hi:[0,1]
.LBB119_298:
	s_or_b32 exec_lo, exec_lo, s1
	s_delay_alu instid0(SALU_CYCLE_1)
	s_mov_b32 s2, exec_lo
	s_wait_dscnt 0x0
	s_barrier_signal -1
	s_barrier_wait -1
	v_cmpx_eq_u32_e32 33, v206
	s_cbranch_execz .LBB119_305
; %bb.299:
	v_dual_mov_b32 v104, v144 :: v_dual_mov_b32 v105, v145
	v_dual_mov_b32 v106, v140 :: v_dual_mov_b32 v107, v141
	ds_store_b64 v207, v[142:143]
	ds_store_2addr_b64 v216, v[104:105], v[106:107] offset0:34 offset1:35
	v_dual_mov_b32 v104, v162 :: v_dual_mov_b32 v105, v163
	v_dual_mov_b32 v106, v158 :: v_dual_mov_b32 v107, v159
	ds_store_2addr_b64 v216, v[104:105], v[106:107] offset0:36 offset1:37
	v_dual_mov_b32 v104, v160 :: v_dual_mov_b32 v105, v161
	v_dual_mov_b32 v106, v156 :: v_dual_mov_b32 v107, v157
	;; [unrolled: 3-line block ×11, first 2 shown]
	ds_store_2addr_b64 v216, v[104:105], v[106:107] offset0:56 offset1:57
	v_dual_mov_b32 v104, v238 :: v_dual_mov_b32 v105, v239
	ds_store_2addr_b64 v216, v[104:105], v[240:241] offset0:58 offset1:59
	ds_load_b64 v[104:105], v207
	s_wait_dscnt 0x0
	v_cmp_neq_f32_e32 vcc_lo, 0, v104
	v_cmp_neq_f32_e64 s1, 0, v105
	s_or_b32 s1, vcc_lo, s1
	s_delay_alu instid0(SALU_CYCLE_1)
	s_and_b32 exec_lo, exec_lo, s1
	s_cbranch_execz .LBB119_305
; %bb.300:
	v_cmp_ngt_f32_e64 s1, |v104|, |v105|
                                        ; implicit-def: $vgpr106_vgpr107
	s_and_saveexec_b32 s4, s1
	s_delay_alu instid0(SALU_CYCLE_1)
	s_xor_b32 s1, exec_lo, s4
	s_cbranch_execz .LBB119_302
; %bb.301:
	v_div_scale_f32 v106, null, v105, v105, v104
	v_div_scale_f32 v117, vcc_lo, v104, v105, v104
	s_delay_alu instid0(VALU_DEP_2) | instskip(SKIP_1) | instid1(TRANS32_DEP_1)
	v_rcp_f32_e32 v107, v106
	v_nop
	v_fma_f32 v116, -v106, v107, 1.0
	s_delay_alu instid0(VALU_DEP_1) | instskip(NEXT) | instid1(VALU_DEP_1)
	v_fmac_f32_e32 v107, v116, v107
	v_mul_f32_e32 v116, v117, v107
	s_delay_alu instid0(VALU_DEP_1) | instskip(NEXT) | instid1(VALU_DEP_1)
	v_fma_f32 v118, -v106, v116, v117
	v_fmac_f32_e32 v116, v118, v107
	s_delay_alu instid0(VALU_DEP_1) | instskip(NEXT) | instid1(VALU_DEP_1)
	v_fma_f32 v106, -v106, v116, v117
	v_div_fmas_f32 v106, v106, v107, v116
	s_delay_alu instid0(VALU_DEP_1) | instskip(NEXT) | instid1(VALU_DEP_1)
	v_div_fixup_f32 v106, v106, v105, v104
	v_fmac_f32_e32 v105, v104, v106
	s_delay_alu instid0(VALU_DEP_1) | instskip(SKIP_1) | instid1(VALU_DEP_2)
	v_div_scale_f32 v104, null, v105, v105, 1.0
	v_div_scale_f32 v117, vcc_lo, 1.0, v105, 1.0
	v_rcp_f32_e32 v107, v104
	v_nop
	s_delay_alu instid0(TRANS32_DEP_1) | instskip(NEXT) | instid1(VALU_DEP_1)
	v_fma_f32 v116, -v104, v107, 1.0
	v_fmac_f32_e32 v107, v116, v107
	s_delay_alu instid0(VALU_DEP_1) | instskip(NEXT) | instid1(VALU_DEP_1)
	v_mul_f32_e32 v116, v117, v107
	v_fma_f32 v118, -v104, v116, v117
	s_delay_alu instid0(VALU_DEP_1) | instskip(NEXT) | instid1(VALU_DEP_1)
	v_fmac_f32_e32 v116, v118, v107
	v_fma_f32 v104, -v104, v116, v117
	s_delay_alu instid0(VALU_DEP_1) | instskip(NEXT) | instid1(VALU_DEP_1)
	v_div_fmas_f32 v104, v104, v107, v116
	v_div_fixup_f32 v104, v104, v105, 1.0
	s_delay_alu instid0(VALU_DEP_1)
	v_mul_f32_e32 v106, v106, v104
	v_xor_b32_e32 v107, 0x80000000, v104
                                        ; implicit-def: $vgpr104_vgpr105
.LBB119_302:
	s_and_not1_saveexec_b32 s1, s1
	s_cbranch_execz .LBB119_304
; %bb.303:
	v_div_scale_f32 v106, null, v104, v104, v105
	v_div_scale_f32 v117, vcc_lo, v105, v104, v105
	s_delay_alu instid0(VALU_DEP_2) | instskip(SKIP_1) | instid1(TRANS32_DEP_1)
	v_rcp_f32_e32 v107, v106
	v_nop
	v_fma_f32 v116, -v106, v107, 1.0
	s_delay_alu instid0(VALU_DEP_1) | instskip(NEXT) | instid1(VALU_DEP_1)
	v_fmac_f32_e32 v107, v116, v107
	v_mul_f32_e32 v116, v117, v107
	s_delay_alu instid0(VALU_DEP_1) | instskip(NEXT) | instid1(VALU_DEP_1)
	v_fma_f32 v118, -v106, v116, v117
	v_fmac_f32_e32 v116, v118, v107
	s_delay_alu instid0(VALU_DEP_1) | instskip(NEXT) | instid1(VALU_DEP_1)
	v_fma_f32 v106, -v106, v116, v117
	v_div_fmas_f32 v106, v106, v107, v116
	s_delay_alu instid0(VALU_DEP_1) | instskip(NEXT) | instid1(VALU_DEP_1)
	v_div_fixup_f32 v107, v106, v104, v105
	v_fmac_f32_e32 v104, v105, v107
	s_delay_alu instid0(VALU_DEP_1) | instskip(NEXT) | instid1(VALU_DEP_1)
	v_div_scale_f32 v105, null, v104, v104, 1.0
	v_rcp_f32_e32 v106, v105
	v_nop
	s_delay_alu instid0(TRANS32_DEP_1) | instskip(NEXT) | instid1(VALU_DEP_1)
	v_fma_f32 v116, -v105, v106, 1.0
	v_fmac_f32_e32 v106, v116, v106
	v_div_scale_f32 v116, vcc_lo, 1.0, v104, 1.0
	s_delay_alu instid0(VALU_DEP_1) | instskip(NEXT) | instid1(VALU_DEP_1)
	v_mul_f32_e32 v117, v116, v106
	v_fma_f32 v118, -v105, v117, v116
	s_delay_alu instid0(VALU_DEP_1) | instskip(NEXT) | instid1(VALU_DEP_1)
	v_fmac_f32_e32 v117, v118, v106
	v_fma_f32 v105, -v105, v117, v116
	s_delay_alu instid0(VALU_DEP_1) | instskip(NEXT) | instid1(VALU_DEP_1)
	v_div_fmas_f32 v105, v105, v106, v117
	v_div_fixup_f32 v106, v105, v104, 1.0
	s_delay_alu instid0(VALU_DEP_1)
	v_mul_f32_e64 v107, v107, -v106
.LBB119_304:
	s_or_b32 exec_lo, exec_lo, s1
	ds_store_b64 v207, v[106:107]
.LBB119_305:
	s_or_b32 exec_lo, exec_lo, s2
	s_wait_dscnt 0x0
	s_barrier_signal -1
	s_barrier_wait -1
	ds_load_b64 v[104:105], v207
	s_mov_b32 s1, exec_lo
	v_cmpx_lt_u32_e32 33, v206
	s_cbranch_execz .LBB119_307
; %bb.306:
	ds_load_2addr_b64 v[118:121], v216 offset0:34 offset1:35
	s_wait_dscnt 0x1
	v_pk_mul_f32 v[116:117], v[104:105], v[142:143] op_sel:[1,1] op_sel_hi:[0,1]
	s_delay_alu instid0(VALU_DEP_1) | instskip(SKIP_1) | instid1(VALU_DEP_1)
	v_pk_fma_f32 v[106:107], v[104:105], v[142:143], v[116:117] op_sel_hi:[1,0,1] neg_lo:[0,0,1] neg_hi:[0,0,1]
	v_pk_fma_f32 v[116:117], v[104:105], v[142:143], v[116:117] op_sel_hi:[1,0,1]
	v_dual_mov_b32 v142, v106 :: v_dual_mov_b32 v143, v117
	s_wait_dscnt 0x0
	s_delay_alu instid0(VALU_DEP_2) | instskip(NEXT) | instid1(VALU_DEP_1)
	v_pk_mul_f32 v[122:123], v[118:119], v[116:117] op_sel:[0,1]
	v_pk_fma_f32 v[132:133], v[118:119], v[106:107], v[122:123] op_sel:[0,0,1] op_sel_hi:[1,1,0] neg_lo:[0,0,1] neg_hi:[0,0,1]
	v_pk_fma_f32 v[118:119], v[118:119], v[106:107], v[122:123] op_sel:[0,0,1] op_sel_hi:[1,0,0]
	s_delay_alu instid0(VALU_DEP_1) | instskip(SKIP_1) | instid1(VALU_DEP_1)
	v_mov_b32_e32 v133, v119
	v_pk_mul_f32 v[118:119], v[120:121], v[116:117] op_sel:[0,1]
	v_pk_fma_f32 v[122:123], v[120:121], v[106:107], v[118:119] op_sel:[0,0,1] op_sel_hi:[1,1,0] neg_lo:[0,0,1] neg_hi:[0,0,1]
	v_pk_fma_f32 v[118:119], v[120:121], v[106:107], v[118:119] op_sel:[0,0,1] op_sel_hi:[1,0,0]
	s_delay_alu instid0(VALU_DEP_1)
	v_mov_b32_e32 v123, v119
	ds_load_2addr_b64 v[118:121], v216 offset0:36 offset1:37
	v_pk_add_f32 v[144:145], v[144:145], v[132:133] neg_lo:[0,1] neg_hi:[0,1]
	v_pk_add_f32 v[140:141], v[140:141], v[122:123] neg_lo:[0,1] neg_hi:[0,1]
	s_wait_dscnt 0x0
	v_pk_mul_f32 v[122:123], v[118:119], v[116:117] op_sel:[0,1]
	s_delay_alu instid0(VALU_DEP_1) | instskip(SKIP_2) | instid1(VALU_DEP_2)
	v_pk_fma_f32 v[132:133], v[118:119], v[106:107], v[122:123] op_sel:[0,0,1] op_sel_hi:[1,1,0] neg_lo:[0,0,1] neg_hi:[0,0,1]
	v_pk_fma_f32 v[118:119], v[118:119], v[106:107], v[122:123] op_sel:[0,0,1] op_sel_hi:[1,0,0]
	v_dual_mul_f32 v122, v121, v117 :: v_dual_mov_b32 v118, v121
	v_dual_mov_b32 v133, v119 :: v_dual_mov_b32 v119, v120
	s_delay_alu instid0(VALU_DEP_2) | instskip(SKIP_1) | instid1(VALU_DEP_3)
	v_pk_fma_f32 v[122:123], v[120:121], v[142:143], v[122:123] op_sel_hi:[1,1,0] neg_lo:[0,0,1] neg_hi:[0,0,1]
	v_mul_f32_e32 v120, v121, v106
	v_pk_add_f32 v[162:163], v[162:163], v[132:133] neg_lo:[0,1] neg_hi:[0,1]
	s_delay_alu instid0(VALU_DEP_2) | instskip(NEXT) | instid1(VALU_DEP_1)
	v_pk_fma_f32 v[118:119], v[118:119], v[142:143], v[120:121] op_sel_hi:[1,1,0]
	v_mov_b32_e32 v123, v119
	ds_load_2addr_b64 v[118:121], v216 offset0:38 offset1:39
	v_pk_add_f32 v[158:159], v[158:159], v[122:123] neg_lo:[0,1] neg_hi:[0,1]
	s_wait_dscnt 0x0
	v_pk_mul_f32 v[122:123], v[118:119], v[116:117] op_sel:[0,1]
	s_delay_alu instid0(VALU_DEP_1) | instskip(SKIP_1) | instid1(VALU_DEP_1)
	v_pk_fma_f32 v[132:133], v[118:119], v[106:107], v[122:123] op_sel:[0,0,1] op_sel_hi:[1,1,0] neg_lo:[0,0,1] neg_hi:[0,0,1]
	v_pk_fma_f32 v[118:119], v[118:119], v[106:107], v[122:123] op_sel:[0,0,1] op_sel_hi:[1,0,0]
	v_mov_b32_e32 v133, v119
	v_pk_mul_f32 v[118:119], v[120:121], v[116:117] op_sel:[0,1]
	s_delay_alu instid0(VALU_DEP_1) | instskip(SKIP_1) | instid1(VALU_DEP_1)
	v_pk_fma_f32 v[122:123], v[120:121], v[106:107], v[118:119] op_sel:[0,0,1] op_sel_hi:[1,1,0] neg_lo:[0,0,1] neg_hi:[0,0,1]
	v_pk_fma_f32 v[118:119], v[120:121], v[106:107], v[118:119] op_sel:[0,0,1] op_sel_hi:[1,0,0]
	v_mov_b32_e32 v123, v119
	ds_load_2addr_b64 v[118:121], v216 offset0:40 offset1:41
	v_pk_add_f32 v[160:161], v[160:161], v[132:133] neg_lo:[0,1] neg_hi:[0,1]
	v_pk_add_f32 v[156:157], v[156:157], v[122:123] neg_lo:[0,1] neg_hi:[0,1]
	s_wait_dscnt 0x0
	v_pk_mul_f32 v[122:123], v[118:119], v[116:117] op_sel:[0,1]
	s_delay_alu instid0(VALU_DEP_1) | instskip(SKIP_1) | instid1(VALU_DEP_1)
	v_pk_fma_f32 v[132:133], v[118:119], v[106:107], v[122:123] op_sel:[0,0,1] op_sel_hi:[1,1,0] neg_lo:[0,0,1] neg_hi:[0,0,1]
	v_pk_fma_f32 v[118:119], v[118:119], v[106:107], v[122:123] op_sel:[0,0,1] op_sel_hi:[1,0,0]
	v_mov_b32_e32 v133, v119
	v_pk_mul_f32 v[118:119], v[120:121], v[116:117] op_sel:[0,1]
	s_delay_alu instid0(VALU_DEP_1) | instskip(SKIP_1) | instid1(VALU_DEP_1)
	v_pk_fma_f32 v[122:123], v[120:121], v[106:107], v[118:119] op_sel:[0,0,1] op_sel_hi:[1,1,0] neg_lo:[0,0,1] neg_hi:[0,0,1]
	v_pk_fma_f32 v[118:119], v[120:121], v[106:107], v[118:119] op_sel:[0,0,1] op_sel_hi:[1,0,0]
	v_mov_b32_e32 v123, v119
	ds_load_2addr_b64 v[118:121], v216 offset0:42 offset1:43
	v_pk_add_f32 v[178:179], v[178:179], v[132:133] neg_lo:[0,1] neg_hi:[0,1]
	v_pk_add_f32 v[174:175], v[174:175], v[122:123] neg_lo:[0,1] neg_hi:[0,1]
	s_wait_dscnt 0x0
	v_dual_mul_f32 v122, v119, v117 :: v_dual_mul_f32 v132, v119, v106
	s_delay_alu instid0(VALU_DEP_1) | instskip(NEXT) | instid1(VALU_DEP_2)
	v_pk_fma_f32 v[122:123], v[118:119], v[142:143], v[122:123] op_sel_hi:[1,1,0] neg_lo:[0,0,1] neg_hi:[0,0,1]
	v_pk_fma_f32 v[118:119], v[118:119], v[142:143], v[132:133] op_sel:[1,0,0] op_sel_hi:[0,1,0]
	s_delay_alu instid0(VALU_DEP_1) | instskip(SKIP_1) | instid1(VALU_DEP_2)
	v_mov_b32_e32 v123, v119
	v_pk_mul_f32 v[118:119], v[120:121], v[116:117] op_sel:[0,1]
	v_pk_add_f32 v[176:177], v[176:177], v[122:123] neg_lo:[0,1] neg_hi:[0,1]
	s_delay_alu instid0(VALU_DEP_2) | instskip(SKIP_1) | instid1(VALU_DEP_1)
	v_pk_fma_f32 v[122:123], v[120:121], v[106:107], v[118:119] op_sel:[0,0,1] op_sel_hi:[1,1,0] neg_lo:[0,0,1] neg_hi:[0,0,1]
	v_pk_fma_f32 v[118:119], v[120:121], v[106:107], v[118:119] op_sel:[0,0,1] op_sel_hi:[1,0,0]
	v_mov_b32_e32 v123, v119
	ds_load_2addr_b64 v[118:121], v216 offset0:44 offset1:45
	v_pk_add_f32 v[172:173], v[172:173], v[122:123] neg_lo:[0,1] neg_hi:[0,1]
	s_wait_dscnt 0x0
	v_pk_mul_f32 v[122:123], v[118:119], v[116:117] op_sel:[0,1]
	s_delay_alu instid0(VALU_DEP_1) | instskip(SKIP_1) | instid1(VALU_DEP_1)
	v_pk_fma_f32 v[132:133], v[118:119], v[106:107], v[122:123] op_sel:[0,0,1] op_sel_hi:[1,1,0] neg_lo:[0,0,1] neg_hi:[0,0,1]
	v_pk_fma_f32 v[118:119], v[118:119], v[106:107], v[122:123] op_sel:[0,0,1] op_sel_hi:[1,0,0]
	v_mov_b32_e32 v133, v119
	v_pk_mul_f32 v[118:119], v[120:121], v[116:117] op_sel:[0,1]
	s_delay_alu instid0(VALU_DEP_2) | instskip(NEXT) | instid1(VALU_DEP_2)
	v_pk_add_f32 v[194:195], v[194:195], v[132:133] neg_lo:[0,1] neg_hi:[0,1]
	v_pk_fma_f32 v[122:123], v[120:121], v[106:107], v[118:119] op_sel:[0,0,1] op_sel_hi:[1,1,0] neg_lo:[0,0,1] neg_hi:[0,0,1]
	v_pk_fma_f32 v[118:119], v[120:121], v[106:107], v[118:119] op_sel:[0,0,1] op_sel_hi:[1,0,0]
	s_delay_alu instid0(VALU_DEP_1) | instskip(SKIP_4) | instid1(VALU_DEP_1)
	v_mov_b32_e32 v123, v119
	ds_load_2addr_b64 v[118:121], v216 offset0:46 offset1:47
	v_pk_add_f32 v[190:191], v[190:191], v[122:123] neg_lo:[0,1] neg_hi:[0,1]
	s_wait_dscnt 0x0
	v_pk_mul_f32 v[122:123], v[118:119], v[116:117] op_sel:[0,1]
	v_pk_fma_f32 v[132:133], v[118:119], v[106:107], v[122:123] op_sel:[0,0,1] op_sel_hi:[1,1,0] neg_lo:[0,0,1] neg_hi:[0,0,1]
	v_pk_fma_f32 v[118:119], v[118:119], v[106:107], v[122:123] op_sel:[0,0,1] op_sel_hi:[1,0,0]
	v_dual_mul_f32 v122, v121, v117 :: v_dual_mov_b32 v118, v121
	s_delay_alu instid0(VALU_DEP_2) | instskip(NEXT) | instid1(VALU_DEP_2)
	v_dual_mov_b32 v133, v119 :: v_dual_mov_b32 v119, v120
	v_pk_fma_f32 v[122:123], v[120:121], v[142:143], v[122:123] op_sel_hi:[1,1,0] neg_lo:[0,0,1] neg_hi:[0,0,1]
	v_mul_f32_e32 v120, v121, v106
	s_delay_alu instid0(VALU_DEP_3) | instskip(NEXT) | instid1(VALU_DEP_2)
	v_pk_add_f32 v[192:193], v[192:193], v[132:133] neg_lo:[0,1] neg_hi:[0,1]
	v_pk_fma_f32 v[118:119], v[118:119], v[142:143], v[120:121] op_sel_hi:[1,1,0]
	s_delay_alu instid0(VALU_DEP_1) | instskip(SKIP_4) | instid1(VALU_DEP_1)
	v_mov_b32_e32 v123, v119
	ds_load_2addr_b64 v[118:121], v216 offset0:48 offset1:49
	v_pk_add_f32 v[188:189], v[188:189], v[122:123] neg_lo:[0,1] neg_hi:[0,1]
	s_wait_dscnt 0x0
	v_pk_mul_f32 v[122:123], v[118:119], v[116:117] op_sel:[0,1]
	v_pk_fma_f32 v[132:133], v[118:119], v[106:107], v[122:123] op_sel:[0,0,1] op_sel_hi:[1,1,0] neg_lo:[0,0,1] neg_hi:[0,0,1]
	v_pk_fma_f32 v[118:119], v[118:119], v[106:107], v[122:123] op_sel:[0,0,1] op_sel_hi:[1,0,0]
	s_delay_alu instid0(VALU_DEP_1) | instskip(SKIP_1) | instid1(VALU_DEP_1)
	v_mov_b32_e32 v133, v119
	v_pk_mul_f32 v[118:119], v[120:121], v[116:117] op_sel:[0,1]
	v_pk_fma_f32 v[122:123], v[120:121], v[106:107], v[118:119] op_sel:[0,0,1] op_sel_hi:[1,1,0] neg_lo:[0,0,1] neg_hi:[0,0,1]
	v_pk_fma_f32 v[118:119], v[120:121], v[106:107], v[118:119] op_sel:[0,0,1] op_sel_hi:[1,0,0]
	s_delay_alu instid0(VALU_DEP_1)
	v_mov_b32_e32 v123, v119
	ds_load_2addr_b64 v[118:121], v216 offset0:50 offset1:51
	v_pk_add_f32 v[214:215], v[214:215], v[132:133] neg_lo:[0,1] neg_hi:[0,1]
	v_pk_add_f32 v[210:211], v[210:211], v[122:123] neg_lo:[0,1] neg_hi:[0,1]
	s_wait_dscnt 0x0
	v_pk_mul_f32 v[122:123], v[118:119], v[116:117] op_sel:[0,1]
	s_delay_alu instid0(VALU_DEP_1) | instskip(SKIP_1) | instid1(VALU_DEP_1)
	v_pk_fma_f32 v[132:133], v[118:119], v[106:107], v[122:123] op_sel:[0,0,1] op_sel_hi:[1,1,0] neg_lo:[0,0,1] neg_hi:[0,0,1]
	v_pk_fma_f32 v[118:119], v[118:119], v[106:107], v[122:123] op_sel:[0,0,1] op_sel_hi:[1,0,0]
	v_mov_b32_e32 v133, v119
	v_pk_mul_f32 v[118:119], v[120:121], v[116:117] op_sel:[0,1]
	s_delay_alu instid0(VALU_DEP_1) | instskip(SKIP_1) | instid1(VALU_DEP_1)
	v_pk_fma_f32 v[122:123], v[120:121], v[106:107], v[118:119] op_sel:[0,0,1] op_sel_hi:[1,1,0] neg_lo:[0,0,1] neg_hi:[0,0,1]
	v_pk_fma_f32 v[118:119], v[120:121], v[106:107], v[118:119] op_sel:[0,0,1] op_sel_hi:[1,0,0]
	v_mov_b32_e32 v123, v119
	ds_load_2addr_b64 v[118:121], v216 offset0:52 offset1:53
	v_pk_add_f32 v[212:213], v[212:213], v[132:133] neg_lo:[0,1] neg_hi:[0,1]
	v_pk_add_f32 v[208:209], v[208:209], v[122:123] neg_lo:[0,1] neg_hi:[0,1]
	s_wait_dscnt 0x0
	v_dual_mul_f32 v122, v119, v117 :: v_dual_mul_f32 v132, v119, v106
	s_delay_alu instid0(VALU_DEP_1) | instskip(NEXT) | instid1(VALU_DEP_2)
	v_pk_fma_f32 v[122:123], v[118:119], v[142:143], v[122:123] op_sel_hi:[1,1,0] neg_lo:[0,0,1] neg_hi:[0,0,1]
	v_pk_fma_f32 v[118:119], v[118:119], v[142:143], v[132:133] op_sel:[1,0,0] op_sel_hi:[0,1,0]
	s_delay_alu instid0(VALU_DEP_1) | instskip(SKIP_1) | instid1(VALU_DEP_2)
	v_mov_b32_e32 v123, v119
	v_pk_mul_f32 v[118:119], v[120:121], v[116:117] op_sel:[0,1]
	v_pk_add_f32 v[236:237], v[236:237], v[122:123] neg_lo:[0,1] neg_hi:[0,1]
	s_delay_alu instid0(VALU_DEP_2) | instskip(SKIP_1) | instid1(VALU_DEP_1)
	v_pk_fma_f32 v[122:123], v[120:121], v[106:107], v[118:119] op_sel:[0,0,1] op_sel_hi:[1,1,0] neg_lo:[0,0,1] neg_hi:[0,0,1]
	v_pk_fma_f32 v[118:119], v[120:121], v[106:107], v[118:119] op_sel:[0,0,1] op_sel_hi:[1,0,0]
	v_mov_b32_e32 v123, v119
	ds_load_2addr_b64 v[118:121], v216 offset0:54 offset1:55
	v_pk_add_f32 v[230:231], v[230:231], v[122:123] neg_lo:[0,1] neg_hi:[0,1]
	s_wait_dscnt 0x0
	v_pk_mul_f32 v[122:123], v[118:119], v[116:117] op_sel:[0,1]
	s_delay_alu instid0(VALU_DEP_1) | instskip(SKIP_1) | instid1(VALU_DEP_1)
	v_pk_fma_f32 v[132:133], v[118:119], v[106:107], v[122:123] op_sel:[0,0,1] op_sel_hi:[1,1,0] neg_lo:[0,0,1] neg_hi:[0,0,1]
	v_pk_fma_f32 v[118:119], v[118:119], v[106:107], v[122:123] op_sel:[0,0,1] op_sel_hi:[1,0,0]
	v_mov_b32_e32 v133, v119
	v_pk_mul_f32 v[118:119], v[120:121], v[116:117] op_sel:[0,1]
	s_delay_alu instid0(VALU_DEP_2) | instskip(NEXT) | instid1(VALU_DEP_2)
	v_pk_add_f32 v[234:235], v[234:235], v[132:133] neg_lo:[0,1] neg_hi:[0,1]
	v_pk_fma_f32 v[122:123], v[120:121], v[106:107], v[118:119] op_sel:[0,0,1] op_sel_hi:[1,1,0] neg_lo:[0,0,1] neg_hi:[0,0,1]
	v_pk_fma_f32 v[118:119], v[120:121], v[106:107], v[118:119] op_sel:[0,0,1] op_sel_hi:[1,0,0]
	s_delay_alu instid0(VALU_DEP_1) | instskip(SKIP_4) | instid1(VALU_DEP_1)
	v_mov_b32_e32 v123, v119
	ds_load_2addr_b64 v[118:121], v216 offset0:56 offset1:57
	v_pk_add_f32 v[228:229], v[228:229], v[122:123] neg_lo:[0,1] neg_hi:[0,1]
	s_wait_dscnt 0x0
	v_pk_mul_f32 v[122:123], v[118:119], v[116:117] op_sel:[0,1]
	v_pk_fma_f32 v[132:133], v[118:119], v[106:107], v[122:123] op_sel:[0,0,1] op_sel_hi:[1,1,0] neg_lo:[0,0,1] neg_hi:[0,0,1]
	v_pk_fma_f32 v[118:119], v[118:119], v[106:107], v[122:123] op_sel:[0,0,1] op_sel_hi:[1,0,0]
	v_dual_mul_f32 v122, v121, v117 :: v_dual_mov_b32 v118, v121
	s_delay_alu instid0(VALU_DEP_2) | instskip(NEXT) | instid1(VALU_DEP_2)
	v_dual_mov_b32 v133, v119 :: v_dual_mov_b32 v119, v120
	v_pk_fma_f32 v[122:123], v[120:121], v[142:143], v[122:123] op_sel_hi:[1,1,0] neg_lo:[0,0,1] neg_hi:[0,0,1]
	v_mul_f32_e32 v120, v121, v106
	s_delay_alu instid0(VALU_DEP_3) | instskip(NEXT) | instid1(VALU_DEP_2)
	v_pk_add_f32 v[232:233], v[232:233], v[132:133] neg_lo:[0,1] neg_hi:[0,1]
	v_pk_fma_f32 v[118:119], v[118:119], v[142:143], v[120:121] op_sel_hi:[1,1,0]
	s_delay_alu instid0(VALU_DEP_1)
	v_mov_b32_e32 v123, v119
	ds_load_2addr_b64 v[118:121], v216 offset0:58 offset1:59
	v_pk_add_f32 v[226:227], v[226:227], v[122:123] neg_lo:[0,1] neg_hi:[0,1]
	s_wait_dscnt 0x0
	v_pk_mul_f32 v[122:123], v[118:119], v[116:117] op_sel:[0,1]
	v_pk_mul_f32 v[116:117], v[120:121], v[116:117] op_sel:[0,1]
	s_delay_alu instid0(VALU_DEP_2) | instskip(SKIP_1) | instid1(VALU_DEP_1)
	v_pk_fma_f32 v[132:133], v[118:119], v[106:107], v[122:123] op_sel:[0,0,1] op_sel_hi:[1,1,0] neg_lo:[0,0,1] neg_hi:[0,0,1]
	v_pk_fma_f32 v[118:119], v[118:119], v[106:107], v[122:123] op_sel:[0,0,1] op_sel_hi:[1,0,0]
	v_mov_b32_e32 v133, v119
	s_delay_alu instid0(VALU_DEP_4) | instskip(SKIP_1) | instid1(VALU_DEP_1)
	v_pk_fma_f32 v[118:119], v[120:121], v[106:107], v[116:117] op_sel:[0,0,1] op_sel_hi:[1,1,0] neg_lo:[0,0,1] neg_hi:[0,0,1]
	v_pk_fma_f32 v[106:107], v[120:121], v[106:107], v[116:117] op_sel:[0,0,1] op_sel_hi:[1,0,0]
	v_mov_b32_e32 v119, v107
	s_delay_alu instid0(VALU_DEP_4) | instskip(NEXT) | instid1(VALU_DEP_2)
	v_pk_add_f32 v[238:239], v[238:239], v[132:133] neg_lo:[0,1] neg_hi:[0,1]
	v_pk_add_f32 v[240:241], v[240:241], v[118:119] neg_lo:[0,1] neg_hi:[0,1]
.LBB119_307:
	s_or_b32 exec_lo, exec_lo, s1
	s_delay_alu instid0(SALU_CYCLE_1)
	s_mov_b32 s2, exec_lo
	s_wait_dscnt 0x0
	s_barrier_signal -1
	s_barrier_wait -1
	v_cmpx_eq_u32_e32 34, v206
	s_cbranch_execz .LBB119_314
; %bb.308:
	ds_store_b64 v207, v[144:145]
	ds_store_2addr_b64 v216, v[140:141], v[162:163] offset0:35 offset1:36
	ds_store_2addr_b64 v216, v[158:159], v[160:161] offset0:37 offset1:38
	;; [unrolled: 1-line block ×12, first 2 shown]
	ds_store_b64 v216, v[240:241] offset:472
	ds_load_b64 v[106:107], v207
	s_wait_dscnt 0x0
	v_cmp_neq_f32_e32 vcc_lo, 0, v106
	v_cmp_neq_f32_e64 s1, 0, v107
	s_or_b32 s1, vcc_lo, s1
	s_delay_alu instid0(SALU_CYCLE_1)
	s_and_b32 exec_lo, exec_lo, s1
	s_cbranch_execz .LBB119_314
; %bb.309:
	v_cmp_ngt_f32_e64 s1, |v106|, |v107|
                                        ; implicit-def: $vgpr116_vgpr117
	s_and_saveexec_b32 s4, s1
	s_delay_alu instid0(SALU_CYCLE_1)
	s_xor_b32 s1, exec_lo, s4
	s_cbranch_execz .LBB119_311
; %bb.310:
	v_div_scale_f32 v116, null, v107, v107, v106
	v_div_scale_f32 v119, vcc_lo, v106, v107, v106
	s_delay_alu instid0(VALU_DEP_2) | instskip(SKIP_1) | instid1(TRANS32_DEP_1)
	v_rcp_f32_e32 v117, v116
	v_nop
	v_fma_f32 v118, -v116, v117, 1.0
	s_delay_alu instid0(VALU_DEP_1) | instskip(NEXT) | instid1(VALU_DEP_1)
	v_fmac_f32_e32 v117, v118, v117
	v_mul_f32_e32 v118, v119, v117
	s_delay_alu instid0(VALU_DEP_1) | instskip(NEXT) | instid1(VALU_DEP_1)
	v_fma_f32 v120, -v116, v118, v119
	v_fmac_f32_e32 v118, v120, v117
	s_delay_alu instid0(VALU_DEP_1) | instskip(NEXT) | instid1(VALU_DEP_1)
	v_fma_f32 v116, -v116, v118, v119
	v_div_fmas_f32 v116, v116, v117, v118
	s_delay_alu instid0(VALU_DEP_1) | instskip(NEXT) | instid1(VALU_DEP_1)
	v_div_fixup_f32 v116, v116, v107, v106
	v_fmac_f32_e32 v107, v106, v116
	s_delay_alu instid0(VALU_DEP_1) | instskip(SKIP_1) | instid1(VALU_DEP_2)
	v_div_scale_f32 v106, null, v107, v107, 1.0
	v_div_scale_f32 v119, vcc_lo, 1.0, v107, 1.0
	v_rcp_f32_e32 v117, v106
	v_nop
	s_delay_alu instid0(TRANS32_DEP_1) | instskip(NEXT) | instid1(VALU_DEP_1)
	v_fma_f32 v118, -v106, v117, 1.0
	v_fmac_f32_e32 v117, v118, v117
	s_delay_alu instid0(VALU_DEP_1) | instskip(NEXT) | instid1(VALU_DEP_1)
	v_mul_f32_e32 v118, v119, v117
	v_fma_f32 v120, -v106, v118, v119
	s_delay_alu instid0(VALU_DEP_1) | instskip(NEXT) | instid1(VALU_DEP_1)
	v_fmac_f32_e32 v118, v120, v117
	v_fma_f32 v106, -v106, v118, v119
	s_delay_alu instid0(VALU_DEP_1) | instskip(NEXT) | instid1(VALU_DEP_1)
	v_div_fmas_f32 v106, v106, v117, v118
	v_div_fixup_f32 v106, v106, v107, 1.0
	s_delay_alu instid0(VALU_DEP_1)
	v_mul_f32_e32 v116, v116, v106
	v_xor_b32_e32 v117, 0x80000000, v106
                                        ; implicit-def: $vgpr106_vgpr107
.LBB119_311:
	s_and_not1_saveexec_b32 s1, s1
	s_cbranch_execz .LBB119_313
; %bb.312:
	v_div_scale_f32 v116, null, v106, v106, v107
	v_div_scale_f32 v119, vcc_lo, v107, v106, v107
	s_delay_alu instid0(VALU_DEP_2) | instskip(SKIP_1) | instid1(TRANS32_DEP_1)
	v_rcp_f32_e32 v117, v116
	v_nop
	v_fma_f32 v118, -v116, v117, 1.0
	s_delay_alu instid0(VALU_DEP_1) | instskip(NEXT) | instid1(VALU_DEP_1)
	v_fmac_f32_e32 v117, v118, v117
	v_mul_f32_e32 v118, v119, v117
	s_delay_alu instid0(VALU_DEP_1) | instskip(NEXT) | instid1(VALU_DEP_1)
	v_fma_f32 v120, -v116, v118, v119
	v_fmac_f32_e32 v118, v120, v117
	s_delay_alu instid0(VALU_DEP_1) | instskip(NEXT) | instid1(VALU_DEP_1)
	v_fma_f32 v116, -v116, v118, v119
	v_div_fmas_f32 v116, v116, v117, v118
	s_delay_alu instid0(VALU_DEP_1) | instskip(NEXT) | instid1(VALU_DEP_1)
	v_div_fixup_f32 v117, v116, v106, v107
	v_fmac_f32_e32 v106, v107, v117
	s_delay_alu instid0(VALU_DEP_1) | instskip(NEXT) | instid1(VALU_DEP_1)
	v_div_scale_f32 v107, null, v106, v106, 1.0
	v_rcp_f32_e32 v116, v107
	v_nop
	s_delay_alu instid0(TRANS32_DEP_1) | instskip(NEXT) | instid1(VALU_DEP_1)
	v_fma_f32 v118, -v107, v116, 1.0
	v_fmac_f32_e32 v116, v118, v116
	v_div_scale_f32 v118, vcc_lo, 1.0, v106, 1.0
	s_delay_alu instid0(VALU_DEP_1) | instskip(NEXT) | instid1(VALU_DEP_1)
	v_mul_f32_e32 v119, v118, v116
	v_fma_f32 v120, -v107, v119, v118
	s_delay_alu instid0(VALU_DEP_1) | instskip(NEXT) | instid1(VALU_DEP_1)
	v_fmac_f32_e32 v119, v120, v116
	v_fma_f32 v107, -v107, v119, v118
	s_delay_alu instid0(VALU_DEP_1) | instskip(NEXT) | instid1(VALU_DEP_1)
	v_div_fmas_f32 v107, v107, v116, v119
	v_div_fixup_f32 v116, v107, v106, 1.0
	s_delay_alu instid0(VALU_DEP_1)
	v_mul_f32_e64 v117, v117, -v116
.LBB119_313:
	s_or_b32 exec_lo, exec_lo, s1
	ds_store_b64 v207, v[116:117]
.LBB119_314:
	s_or_b32 exec_lo, exec_lo, s2
	s_wait_dscnt 0x0
	s_barrier_signal -1
	s_barrier_wait -1
	ds_load_b64 v[106:107], v207
	s_mov_b32 s1, exec_lo
	v_cmpx_lt_u32_e32 34, v206
	s_cbranch_execz .LBB119_316
; %bb.315:
	ds_load_2addr_b64 v[120:123], v216 offset0:35 offset1:36
	s_wait_dscnt 0x1
	v_pk_mul_f32 v[118:119], v[106:107], v[144:145] op_sel:[1,1] op_sel_hi:[0,1]
	s_delay_alu instid0(VALU_DEP_1) | instskip(SKIP_1) | instid1(VALU_DEP_1)
	v_pk_fma_f32 v[116:117], v[106:107], v[144:145], v[118:119] op_sel_hi:[1,0,1] neg_lo:[0,0,1] neg_hi:[0,0,1]
	v_pk_fma_f32 v[118:119], v[106:107], v[144:145], v[118:119] op_sel_hi:[1,0,1]
	v_dual_mov_b32 v144, v116 :: v_dual_mov_b32 v145, v119
	s_wait_dscnt 0x0
	s_delay_alu instid0(VALU_DEP_2) | instskip(NEXT) | instid1(VALU_DEP_1)
	v_pk_mul_f32 v[132:133], v[120:121], v[118:119] op_sel:[0,1]
	v_pk_fma_f32 v[134:135], v[120:121], v[116:117], v[132:133] op_sel:[0,0,1] op_sel_hi:[1,1,0] neg_lo:[0,0,1] neg_hi:[0,0,1]
	v_pk_fma_f32 v[120:121], v[120:121], v[116:117], v[132:133] op_sel:[0,0,1] op_sel_hi:[1,0,0]
	s_delay_alu instid0(VALU_DEP_1) | instskip(SKIP_1) | instid1(VALU_DEP_1)
	v_mov_b32_e32 v135, v121
	v_pk_mul_f32 v[120:121], v[122:123], v[118:119] op_sel:[0,1]
	v_pk_fma_f32 v[132:133], v[122:123], v[116:117], v[120:121] op_sel:[0,0,1] op_sel_hi:[1,1,0] neg_lo:[0,0,1] neg_hi:[0,0,1]
	v_pk_fma_f32 v[120:121], v[122:123], v[116:117], v[120:121] op_sel:[0,0,1] op_sel_hi:[1,0,0]
	s_delay_alu instid0(VALU_DEP_1)
	v_mov_b32_e32 v133, v121
	ds_load_2addr_b64 v[120:123], v216 offset0:37 offset1:38
	v_pk_add_f32 v[140:141], v[140:141], v[134:135] neg_lo:[0,1] neg_hi:[0,1]
	v_pk_add_f32 v[162:163], v[162:163], v[132:133] neg_lo:[0,1] neg_hi:[0,1]
	s_wait_dscnt 0x0
	v_pk_mul_f32 v[132:133], v[120:121], v[118:119] op_sel:[0,1]
	s_delay_alu instid0(VALU_DEP_1) | instskip(SKIP_2) | instid1(VALU_DEP_2)
	v_pk_fma_f32 v[134:135], v[120:121], v[116:117], v[132:133] op_sel:[0,0,1] op_sel_hi:[1,1,0] neg_lo:[0,0,1] neg_hi:[0,0,1]
	v_pk_fma_f32 v[120:121], v[120:121], v[116:117], v[132:133] op_sel:[0,0,1] op_sel_hi:[1,0,0]
	v_dual_mul_f32 v132, v123, v119 :: v_dual_mov_b32 v120, v123
	v_dual_mov_b32 v135, v121 :: v_dual_mov_b32 v121, v122
	s_delay_alu instid0(VALU_DEP_2) | instskip(SKIP_1) | instid1(VALU_DEP_3)
	v_pk_fma_f32 v[132:133], v[122:123], v[144:145], v[132:133] op_sel_hi:[1,1,0] neg_lo:[0,0,1] neg_hi:[0,0,1]
	v_mul_f32_e32 v122, v123, v116
	v_pk_add_f32 v[158:159], v[158:159], v[134:135] neg_lo:[0,1] neg_hi:[0,1]
	s_delay_alu instid0(VALU_DEP_2) | instskip(NEXT) | instid1(VALU_DEP_1)
	v_pk_fma_f32 v[120:121], v[120:121], v[144:145], v[122:123] op_sel_hi:[1,1,0]
	v_mov_b32_e32 v133, v121
	ds_load_2addr_b64 v[120:123], v216 offset0:39 offset1:40
	v_pk_add_f32 v[160:161], v[160:161], v[132:133] neg_lo:[0,1] neg_hi:[0,1]
	s_wait_dscnt 0x0
	v_pk_mul_f32 v[132:133], v[120:121], v[118:119] op_sel:[0,1]
	s_delay_alu instid0(VALU_DEP_1) | instskip(SKIP_1) | instid1(VALU_DEP_1)
	v_pk_fma_f32 v[134:135], v[120:121], v[116:117], v[132:133] op_sel:[0,0,1] op_sel_hi:[1,1,0] neg_lo:[0,0,1] neg_hi:[0,0,1]
	v_pk_fma_f32 v[120:121], v[120:121], v[116:117], v[132:133] op_sel:[0,0,1] op_sel_hi:[1,0,0]
	v_mov_b32_e32 v135, v121
	v_pk_mul_f32 v[120:121], v[122:123], v[118:119] op_sel:[0,1]
	s_delay_alu instid0(VALU_DEP_1) | instskip(SKIP_1) | instid1(VALU_DEP_1)
	v_pk_fma_f32 v[132:133], v[122:123], v[116:117], v[120:121] op_sel:[0,0,1] op_sel_hi:[1,1,0] neg_lo:[0,0,1] neg_hi:[0,0,1]
	v_pk_fma_f32 v[120:121], v[122:123], v[116:117], v[120:121] op_sel:[0,0,1] op_sel_hi:[1,0,0]
	v_mov_b32_e32 v133, v121
	ds_load_2addr_b64 v[120:123], v216 offset0:41 offset1:42
	v_pk_add_f32 v[156:157], v[156:157], v[134:135] neg_lo:[0,1] neg_hi:[0,1]
	v_pk_add_f32 v[178:179], v[178:179], v[132:133] neg_lo:[0,1] neg_hi:[0,1]
	s_wait_dscnt 0x0
	v_pk_mul_f32 v[132:133], v[120:121], v[118:119] op_sel:[0,1]
	s_delay_alu instid0(VALU_DEP_1) | instskip(SKIP_1) | instid1(VALU_DEP_1)
	v_pk_fma_f32 v[134:135], v[120:121], v[116:117], v[132:133] op_sel:[0,0,1] op_sel_hi:[1,1,0] neg_lo:[0,0,1] neg_hi:[0,0,1]
	v_pk_fma_f32 v[120:121], v[120:121], v[116:117], v[132:133] op_sel:[0,0,1] op_sel_hi:[1,0,0]
	v_mov_b32_e32 v135, v121
	v_pk_mul_f32 v[120:121], v[122:123], v[118:119] op_sel:[0,1]
	s_delay_alu instid0(VALU_DEP_1) | instskip(SKIP_1) | instid1(VALU_DEP_1)
	v_pk_fma_f32 v[132:133], v[122:123], v[116:117], v[120:121] op_sel:[0,0,1] op_sel_hi:[1,1,0] neg_lo:[0,0,1] neg_hi:[0,0,1]
	v_pk_fma_f32 v[120:121], v[122:123], v[116:117], v[120:121] op_sel:[0,0,1] op_sel_hi:[1,0,0]
	v_mov_b32_e32 v133, v121
	ds_load_2addr_b64 v[120:123], v216 offset0:43 offset1:44
	v_pk_add_f32 v[174:175], v[174:175], v[134:135] neg_lo:[0,1] neg_hi:[0,1]
	v_pk_add_f32 v[176:177], v[176:177], v[132:133] neg_lo:[0,1] neg_hi:[0,1]
	s_wait_dscnt 0x0
	v_dual_mul_f32 v132, v121, v119 :: v_dual_mul_f32 v134, v121, v116
	s_delay_alu instid0(VALU_DEP_1) | instskip(NEXT) | instid1(VALU_DEP_2)
	v_pk_fma_f32 v[132:133], v[120:121], v[144:145], v[132:133] op_sel_hi:[1,1,0] neg_lo:[0,0,1] neg_hi:[0,0,1]
	v_pk_fma_f32 v[120:121], v[120:121], v[144:145], v[134:135] op_sel:[1,0,0] op_sel_hi:[0,1,0]
	s_delay_alu instid0(VALU_DEP_1) | instskip(SKIP_1) | instid1(VALU_DEP_2)
	v_mov_b32_e32 v133, v121
	v_pk_mul_f32 v[120:121], v[122:123], v[118:119] op_sel:[0,1]
	v_pk_add_f32 v[172:173], v[172:173], v[132:133] neg_lo:[0,1] neg_hi:[0,1]
	s_delay_alu instid0(VALU_DEP_2) | instskip(SKIP_1) | instid1(VALU_DEP_1)
	v_pk_fma_f32 v[132:133], v[122:123], v[116:117], v[120:121] op_sel:[0,0,1] op_sel_hi:[1,1,0] neg_lo:[0,0,1] neg_hi:[0,0,1]
	v_pk_fma_f32 v[120:121], v[122:123], v[116:117], v[120:121] op_sel:[0,0,1] op_sel_hi:[1,0,0]
	v_mov_b32_e32 v133, v121
	ds_load_2addr_b64 v[120:123], v216 offset0:45 offset1:46
	v_pk_add_f32 v[194:195], v[194:195], v[132:133] neg_lo:[0,1] neg_hi:[0,1]
	s_wait_dscnt 0x0
	v_pk_mul_f32 v[132:133], v[120:121], v[118:119] op_sel:[0,1]
	s_delay_alu instid0(VALU_DEP_1) | instskip(SKIP_1) | instid1(VALU_DEP_1)
	v_pk_fma_f32 v[134:135], v[120:121], v[116:117], v[132:133] op_sel:[0,0,1] op_sel_hi:[1,1,0] neg_lo:[0,0,1] neg_hi:[0,0,1]
	v_pk_fma_f32 v[120:121], v[120:121], v[116:117], v[132:133] op_sel:[0,0,1] op_sel_hi:[1,0,0]
	v_mov_b32_e32 v135, v121
	v_pk_mul_f32 v[120:121], v[122:123], v[118:119] op_sel:[0,1]
	s_delay_alu instid0(VALU_DEP_2) | instskip(NEXT) | instid1(VALU_DEP_2)
	v_pk_add_f32 v[190:191], v[190:191], v[134:135] neg_lo:[0,1] neg_hi:[0,1]
	v_pk_fma_f32 v[132:133], v[122:123], v[116:117], v[120:121] op_sel:[0,0,1] op_sel_hi:[1,1,0] neg_lo:[0,0,1] neg_hi:[0,0,1]
	v_pk_fma_f32 v[120:121], v[122:123], v[116:117], v[120:121] op_sel:[0,0,1] op_sel_hi:[1,0,0]
	s_delay_alu instid0(VALU_DEP_1) | instskip(SKIP_4) | instid1(VALU_DEP_1)
	v_mov_b32_e32 v133, v121
	ds_load_2addr_b64 v[120:123], v216 offset0:47 offset1:48
	v_pk_add_f32 v[192:193], v[192:193], v[132:133] neg_lo:[0,1] neg_hi:[0,1]
	s_wait_dscnt 0x0
	v_pk_mul_f32 v[132:133], v[120:121], v[118:119] op_sel:[0,1]
	v_pk_fma_f32 v[134:135], v[120:121], v[116:117], v[132:133] op_sel:[0,0,1] op_sel_hi:[1,1,0] neg_lo:[0,0,1] neg_hi:[0,0,1]
	v_pk_fma_f32 v[120:121], v[120:121], v[116:117], v[132:133] op_sel:[0,0,1] op_sel_hi:[1,0,0]
	v_dual_mul_f32 v132, v123, v119 :: v_dual_mov_b32 v120, v123
	s_delay_alu instid0(VALU_DEP_2) | instskip(NEXT) | instid1(VALU_DEP_2)
	v_dual_mov_b32 v135, v121 :: v_dual_mov_b32 v121, v122
	v_pk_fma_f32 v[132:133], v[122:123], v[144:145], v[132:133] op_sel_hi:[1,1,0] neg_lo:[0,0,1] neg_hi:[0,0,1]
	v_mul_f32_e32 v122, v123, v116
	s_delay_alu instid0(VALU_DEP_3) | instskip(NEXT) | instid1(VALU_DEP_2)
	v_pk_add_f32 v[188:189], v[188:189], v[134:135] neg_lo:[0,1] neg_hi:[0,1]
	v_pk_fma_f32 v[120:121], v[120:121], v[144:145], v[122:123] op_sel_hi:[1,1,0]
	s_delay_alu instid0(VALU_DEP_1) | instskip(SKIP_4) | instid1(VALU_DEP_1)
	v_mov_b32_e32 v133, v121
	ds_load_2addr_b64 v[120:123], v216 offset0:49 offset1:50
	v_pk_add_f32 v[214:215], v[214:215], v[132:133] neg_lo:[0,1] neg_hi:[0,1]
	s_wait_dscnt 0x0
	v_pk_mul_f32 v[132:133], v[120:121], v[118:119] op_sel:[0,1]
	v_pk_fma_f32 v[134:135], v[120:121], v[116:117], v[132:133] op_sel:[0,0,1] op_sel_hi:[1,1,0] neg_lo:[0,0,1] neg_hi:[0,0,1]
	v_pk_fma_f32 v[120:121], v[120:121], v[116:117], v[132:133] op_sel:[0,0,1] op_sel_hi:[1,0,0]
	s_delay_alu instid0(VALU_DEP_1) | instskip(SKIP_1) | instid1(VALU_DEP_1)
	v_mov_b32_e32 v135, v121
	v_pk_mul_f32 v[120:121], v[122:123], v[118:119] op_sel:[0,1]
	v_pk_fma_f32 v[132:133], v[122:123], v[116:117], v[120:121] op_sel:[0,0,1] op_sel_hi:[1,1,0] neg_lo:[0,0,1] neg_hi:[0,0,1]
	v_pk_fma_f32 v[120:121], v[122:123], v[116:117], v[120:121] op_sel:[0,0,1] op_sel_hi:[1,0,0]
	s_delay_alu instid0(VALU_DEP_1)
	v_mov_b32_e32 v133, v121
	ds_load_2addr_b64 v[120:123], v216 offset0:51 offset1:52
	v_pk_add_f32 v[210:211], v[210:211], v[134:135] neg_lo:[0,1] neg_hi:[0,1]
	v_pk_add_f32 v[212:213], v[212:213], v[132:133] neg_lo:[0,1] neg_hi:[0,1]
	s_wait_dscnt 0x0
	v_pk_mul_f32 v[132:133], v[120:121], v[118:119] op_sel:[0,1]
	s_delay_alu instid0(VALU_DEP_1) | instskip(SKIP_1) | instid1(VALU_DEP_1)
	v_pk_fma_f32 v[134:135], v[120:121], v[116:117], v[132:133] op_sel:[0,0,1] op_sel_hi:[1,1,0] neg_lo:[0,0,1] neg_hi:[0,0,1]
	v_pk_fma_f32 v[120:121], v[120:121], v[116:117], v[132:133] op_sel:[0,0,1] op_sel_hi:[1,0,0]
	v_mov_b32_e32 v135, v121
	v_pk_mul_f32 v[120:121], v[122:123], v[118:119] op_sel:[0,1]
	s_delay_alu instid0(VALU_DEP_1) | instskip(SKIP_1) | instid1(VALU_DEP_1)
	v_pk_fma_f32 v[132:133], v[122:123], v[116:117], v[120:121] op_sel:[0,0,1] op_sel_hi:[1,1,0] neg_lo:[0,0,1] neg_hi:[0,0,1]
	v_pk_fma_f32 v[120:121], v[122:123], v[116:117], v[120:121] op_sel:[0,0,1] op_sel_hi:[1,0,0]
	v_mov_b32_e32 v133, v121
	ds_load_2addr_b64 v[120:123], v216 offset0:53 offset1:54
	v_pk_add_f32 v[208:209], v[208:209], v[134:135] neg_lo:[0,1] neg_hi:[0,1]
	v_pk_add_f32 v[236:237], v[236:237], v[132:133] neg_lo:[0,1] neg_hi:[0,1]
	s_wait_dscnt 0x0
	v_dual_mul_f32 v132, v121, v119 :: v_dual_mul_f32 v134, v121, v116
	s_delay_alu instid0(VALU_DEP_1) | instskip(NEXT) | instid1(VALU_DEP_2)
	v_pk_fma_f32 v[132:133], v[120:121], v[144:145], v[132:133] op_sel_hi:[1,1,0] neg_lo:[0,0,1] neg_hi:[0,0,1]
	v_pk_fma_f32 v[120:121], v[120:121], v[144:145], v[134:135] op_sel:[1,0,0] op_sel_hi:[0,1,0]
	s_delay_alu instid0(VALU_DEP_1) | instskip(SKIP_1) | instid1(VALU_DEP_2)
	v_mov_b32_e32 v133, v121
	v_pk_mul_f32 v[120:121], v[122:123], v[118:119] op_sel:[0,1]
	v_pk_add_f32 v[230:231], v[230:231], v[132:133] neg_lo:[0,1] neg_hi:[0,1]
	s_delay_alu instid0(VALU_DEP_2) | instskip(SKIP_1) | instid1(VALU_DEP_1)
	v_pk_fma_f32 v[132:133], v[122:123], v[116:117], v[120:121] op_sel:[0,0,1] op_sel_hi:[1,1,0] neg_lo:[0,0,1] neg_hi:[0,0,1]
	v_pk_fma_f32 v[120:121], v[122:123], v[116:117], v[120:121] op_sel:[0,0,1] op_sel_hi:[1,0,0]
	v_mov_b32_e32 v133, v121
	ds_load_2addr_b64 v[120:123], v216 offset0:55 offset1:56
	v_pk_add_f32 v[234:235], v[234:235], v[132:133] neg_lo:[0,1] neg_hi:[0,1]
	s_wait_dscnt 0x0
	v_pk_mul_f32 v[132:133], v[120:121], v[118:119] op_sel:[0,1]
	s_delay_alu instid0(VALU_DEP_1) | instskip(SKIP_1) | instid1(VALU_DEP_1)
	v_pk_fma_f32 v[134:135], v[120:121], v[116:117], v[132:133] op_sel:[0,0,1] op_sel_hi:[1,1,0] neg_lo:[0,0,1] neg_hi:[0,0,1]
	v_pk_fma_f32 v[120:121], v[120:121], v[116:117], v[132:133] op_sel:[0,0,1] op_sel_hi:[1,0,0]
	v_mov_b32_e32 v135, v121
	v_pk_mul_f32 v[120:121], v[122:123], v[118:119] op_sel:[0,1]
	s_delay_alu instid0(VALU_DEP_2) | instskip(NEXT) | instid1(VALU_DEP_2)
	v_pk_add_f32 v[228:229], v[228:229], v[134:135] neg_lo:[0,1] neg_hi:[0,1]
	v_pk_fma_f32 v[132:133], v[122:123], v[116:117], v[120:121] op_sel:[0,0,1] op_sel_hi:[1,1,0] neg_lo:[0,0,1] neg_hi:[0,0,1]
	v_pk_fma_f32 v[120:121], v[122:123], v[116:117], v[120:121] op_sel:[0,0,1] op_sel_hi:[1,0,0]
	s_delay_alu instid0(VALU_DEP_1) | instskip(SKIP_4) | instid1(VALU_DEP_1)
	v_mov_b32_e32 v133, v121
	ds_load_2addr_b64 v[120:123], v216 offset0:57 offset1:58
	v_pk_add_f32 v[232:233], v[232:233], v[132:133] neg_lo:[0,1] neg_hi:[0,1]
	s_wait_dscnt 0x0
	v_pk_mul_f32 v[132:133], v[120:121], v[118:119] op_sel:[0,1]
	v_pk_fma_f32 v[134:135], v[120:121], v[116:117], v[132:133] op_sel:[0,0,1] op_sel_hi:[1,1,0] neg_lo:[0,0,1] neg_hi:[0,0,1]
	v_pk_fma_f32 v[120:121], v[120:121], v[116:117], v[132:133] op_sel:[0,0,1] op_sel_hi:[1,0,0]
	v_dual_mul_f32 v132, v123, v119 :: v_dual_mov_b32 v120, v123
	s_delay_alu instid0(VALU_DEP_2) | instskip(NEXT) | instid1(VALU_DEP_2)
	v_dual_mov_b32 v135, v121 :: v_dual_mov_b32 v121, v122
	v_pk_fma_f32 v[132:133], v[122:123], v[144:145], v[132:133] op_sel_hi:[1,1,0] neg_lo:[0,0,1] neg_hi:[0,0,1]
	v_mul_f32_e32 v122, v123, v116
	s_delay_alu instid0(VALU_DEP_3) | instskip(NEXT) | instid1(VALU_DEP_2)
	v_pk_add_f32 v[226:227], v[226:227], v[134:135] neg_lo:[0,1] neg_hi:[0,1]
	v_pk_fma_f32 v[120:121], v[120:121], v[144:145], v[122:123] op_sel_hi:[1,1,0]
	s_delay_alu instid0(VALU_DEP_1) | instskip(SKIP_4) | instid1(VALU_DEP_1)
	v_mov_b32_e32 v133, v121
	ds_load_b64 v[120:121], v216 offset:472
	v_pk_add_f32 v[238:239], v[238:239], v[132:133] neg_lo:[0,1] neg_hi:[0,1]
	s_wait_dscnt 0x0
	v_pk_mul_f32 v[118:119], v[120:121], v[118:119] op_sel:[0,1]
	v_pk_fma_f32 v[122:123], v[120:121], v[116:117], v[118:119] op_sel:[0,0,1] op_sel_hi:[1,1,0] neg_lo:[0,0,1] neg_hi:[0,0,1]
	v_pk_fma_f32 v[116:117], v[120:121], v[116:117], v[118:119] op_sel:[0,0,1] op_sel_hi:[1,0,0]
	s_delay_alu instid0(VALU_DEP_1) | instskip(NEXT) | instid1(VALU_DEP_1)
	v_mov_b32_e32 v123, v117
	v_pk_add_f32 v[240:241], v[240:241], v[122:123] neg_lo:[0,1] neg_hi:[0,1]
.LBB119_316:
	s_or_b32 exec_lo, exec_lo, s1
	s_delay_alu instid0(SALU_CYCLE_1)
	s_mov_b32 s2, exec_lo
	s_wait_dscnt 0x0
	s_barrier_signal -1
	s_barrier_wait -1
	v_cmpx_eq_u32_e32 35, v206
	s_cbranch_execz .LBB119_323
; %bb.317:
	v_dual_mov_b32 v116, v162 :: v_dual_mov_b32 v117, v163
	v_dual_mov_b32 v118, v158 :: v_dual_mov_b32 v119, v159
	ds_store_b64 v207, v[140:141]
	ds_store_2addr_b64 v216, v[116:117], v[118:119] offset0:36 offset1:37
	v_dual_mov_b32 v116, v160 :: v_dual_mov_b32 v117, v161
	v_dual_mov_b32 v118, v156 :: v_dual_mov_b32 v119, v157
	ds_store_2addr_b64 v216, v[116:117], v[118:119] offset0:38 offset1:39
	v_dual_mov_b32 v116, v178 :: v_dual_mov_b32 v117, v179
	v_dual_mov_b32 v118, v174 :: v_dual_mov_b32 v119, v175
	;; [unrolled: 3-line block ×10, first 2 shown]
	ds_store_2addr_b64 v216, v[116:117], v[118:119] offset0:56 offset1:57
	v_dual_mov_b32 v116, v238 :: v_dual_mov_b32 v117, v239
	ds_store_2addr_b64 v216, v[116:117], v[240:241] offset0:58 offset1:59
	ds_load_b64 v[116:117], v207
	s_wait_dscnt 0x0
	v_cmp_neq_f32_e32 vcc_lo, 0, v116
	v_cmp_neq_f32_e64 s1, 0, v117
	s_or_b32 s1, vcc_lo, s1
	s_delay_alu instid0(SALU_CYCLE_1)
	s_and_b32 exec_lo, exec_lo, s1
	s_cbranch_execz .LBB119_323
; %bb.318:
	v_cmp_ngt_f32_e64 s1, |v116|, |v117|
                                        ; implicit-def: $vgpr118_vgpr119
	s_and_saveexec_b32 s4, s1
	s_delay_alu instid0(SALU_CYCLE_1)
	s_xor_b32 s1, exec_lo, s4
	s_cbranch_execz .LBB119_320
; %bb.319:
	v_div_scale_f32 v118, null, v117, v117, v116
	v_div_scale_f32 v121, vcc_lo, v116, v117, v116
	s_delay_alu instid0(VALU_DEP_2) | instskip(SKIP_1) | instid1(TRANS32_DEP_1)
	v_rcp_f32_e32 v119, v118
	v_nop
	v_fma_f32 v120, -v118, v119, 1.0
	s_delay_alu instid0(VALU_DEP_1) | instskip(NEXT) | instid1(VALU_DEP_1)
	v_fmac_f32_e32 v119, v120, v119
	v_mul_f32_e32 v120, v121, v119
	s_delay_alu instid0(VALU_DEP_1) | instskip(NEXT) | instid1(VALU_DEP_1)
	v_fma_f32 v122, -v118, v120, v121
	v_fmac_f32_e32 v120, v122, v119
	s_delay_alu instid0(VALU_DEP_1) | instskip(NEXT) | instid1(VALU_DEP_1)
	v_fma_f32 v118, -v118, v120, v121
	v_div_fmas_f32 v118, v118, v119, v120
	s_delay_alu instid0(VALU_DEP_1) | instskip(NEXT) | instid1(VALU_DEP_1)
	v_div_fixup_f32 v118, v118, v117, v116
	v_fmac_f32_e32 v117, v116, v118
	s_delay_alu instid0(VALU_DEP_1) | instskip(SKIP_1) | instid1(VALU_DEP_2)
	v_div_scale_f32 v116, null, v117, v117, 1.0
	v_div_scale_f32 v121, vcc_lo, 1.0, v117, 1.0
	v_rcp_f32_e32 v119, v116
	v_nop
	s_delay_alu instid0(TRANS32_DEP_1) | instskip(NEXT) | instid1(VALU_DEP_1)
	v_fma_f32 v120, -v116, v119, 1.0
	v_fmac_f32_e32 v119, v120, v119
	s_delay_alu instid0(VALU_DEP_1) | instskip(NEXT) | instid1(VALU_DEP_1)
	v_mul_f32_e32 v120, v121, v119
	v_fma_f32 v122, -v116, v120, v121
	s_delay_alu instid0(VALU_DEP_1) | instskip(NEXT) | instid1(VALU_DEP_1)
	v_fmac_f32_e32 v120, v122, v119
	v_fma_f32 v116, -v116, v120, v121
	s_delay_alu instid0(VALU_DEP_1) | instskip(NEXT) | instid1(VALU_DEP_1)
	v_div_fmas_f32 v116, v116, v119, v120
	v_div_fixup_f32 v116, v116, v117, 1.0
	s_delay_alu instid0(VALU_DEP_1)
	v_mul_f32_e32 v118, v118, v116
	v_xor_b32_e32 v119, 0x80000000, v116
                                        ; implicit-def: $vgpr116_vgpr117
.LBB119_320:
	s_and_not1_saveexec_b32 s1, s1
	s_cbranch_execz .LBB119_322
; %bb.321:
	v_div_scale_f32 v118, null, v116, v116, v117
	v_div_scale_f32 v121, vcc_lo, v117, v116, v117
	s_delay_alu instid0(VALU_DEP_2) | instskip(SKIP_1) | instid1(TRANS32_DEP_1)
	v_rcp_f32_e32 v119, v118
	v_nop
	v_fma_f32 v120, -v118, v119, 1.0
	s_delay_alu instid0(VALU_DEP_1) | instskip(NEXT) | instid1(VALU_DEP_1)
	v_fmac_f32_e32 v119, v120, v119
	v_mul_f32_e32 v120, v121, v119
	s_delay_alu instid0(VALU_DEP_1) | instskip(NEXT) | instid1(VALU_DEP_1)
	v_fma_f32 v122, -v118, v120, v121
	v_fmac_f32_e32 v120, v122, v119
	s_delay_alu instid0(VALU_DEP_1) | instskip(NEXT) | instid1(VALU_DEP_1)
	v_fma_f32 v118, -v118, v120, v121
	v_div_fmas_f32 v118, v118, v119, v120
	s_delay_alu instid0(VALU_DEP_1) | instskip(NEXT) | instid1(VALU_DEP_1)
	v_div_fixup_f32 v119, v118, v116, v117
	v_fmac_f32_e32 v116, v117, v119
	s_delay_alu instid0(VALU_DEP_1) | instskip(NEXT) | instid1(VALU_DEP_1)
	v_div_scale_f32 v117, null, v116, v116, 1.0
	v_rcp_f32_e32 v118, v117
	v_nop
	s_delay_alu instid0(TRANS32_DEP_1) | instskip(NEXT) | instid1(VALU_DEP_1)
	v_fma_f32 v120, -v117, v118, 1.0
	v_fmac_f32_e32 v118, v120, v118
	v_div_scale_f32 v120, vcc_lo, 1.0, v116, 1.0
	s_delay_alu instid0(VALU_DEP_1) | instskip(NEXT) | instid1(VALU_DEP_1)
	v_mul_f32_e32 v121, v120, v118
	v_fma_f32 v122, -v117, v121, v120
	s_delay_alu instid0(VALU_DEP_1) | instskip(NEXT) | instid1(VALU_DEP_1)
	v_fmac_f32_e32 v121, v122, v118
	v_fma_f32 v117, -v117, v121, v120
	s_delay_alu instid0(VALU_DEP_1) | instskip(NEXT) | instid1(VALU_DEP_1)
	v_div_fmas_f32 v117, v117, v118, v121
	v_div_fixup_f32 v118, v117, v116, 1.0
	s_delay_alu instid0(VALU_DEP_1)
	v_mul_f32_e64 v119, v119, -v118
.LBB119_322:
	s_or_b32 exec_lo, exec_lo, s1
	ds_store_b64 v207, v[118:119]
.LBB119_323:
	s_or_b32 exec_lo, exec_lo, s2
	s_wait_dscnt 0x0
	s_barrier_signal -1
	s_barrier_wait -1
	ds_load_b64 v[116:117], v207
	s_mov_b32 s1, exec_lo
	v_cmpx_lt_u32_e32 35, v206
	s_cbranch_execz .LBB119_325
; %bb.324:
	ds_load_2addr_b64 v[132:135], v216 offset0:36 offset1:37
	s_wait_dscnt 0x1
	v_pk_mul_f32 v[120:121], v[116:117], v[140:141] op_sel:[1,1] op_sel_hi:[0,1]
	s_delay_alu instid0(VALU_DEP_1) | instskip(SKIP_1) | instid1(VALU_DEP_1)
	v_pk_fma_f32 v[118:119], v[116:117], v[140:141], v[120:121] op_sel_hi:[1,0,1] neg_lo:[0,0,1] neg_hi:[0,0,1]
	v_pk_fma_f32 v[120:121], v[116:117], v[140:141], v[120:121] op_sel_hi:[1,0,1]
	v_dual_mov_b32 v140, v118 :: v_dual_mov_b32 v141, v121
	s_wait_dscnt 0x0
	s_delay_alu instid0(VALU_DEP_2) | instskip(NEXT) | instid1(VALU_DEP_1)
	v_pk_mul_f32 v[122:123], v[132:133], v[120:121] op_sel:[0,1]
	v_pk_fma_f32 v[136:137], v[132:133], v[118:119], v[122:123] op_sel:[0,0,1] op_sel_hi:[1,1,0] neg_lo:[0,0,1] neg_hi:[0,0,1]
	v_pk_fma_f32 v[122:123], v[132:133], v[118:119], v[122:123] op_sel:[0,0,1] op_sel_hi:[1,0,0]
	s_delay_alu instid0(VALU_DEP_1) | instskip(SKIP_1) | instid1(VALU_DEP_1)
	v_mov_b32_e32 v137, v123
	v_pk_mul_f32 v[122:123], v[134:135], v[120:121] op_sel:[0,1]
	v_pk_fma_f32 v[132:133], v[134:135], v[118:119], v[122:123] op_sel:[0,0,1] op_sel_hi:[1,1,0] neg_lo:[0,0,1] neg_hi:[0,0,1]
	v_pk_fma_f32 v[122:123], v[134:135], v[118:119], v[122:123] op_sel:[0,0,1] op_sel_hi:[1,0,0]
	s_delay_alu instid0(VALU_DEP_1) | instskip(SKIP_1) | instid1(VALU_DEP_2)
	v_mov_b32_e32 v133, v123
	v_pk_add_f32 v[162:163], v[162:163], v[136:137] neg_lo:[0,1] neg_hi:[0,1]
	v_pk_add_f32 v[158:159], v[158:159], v[132:133] neg_lo:[0,1] neg_hi:[0,1]
	ds_load_2addr_b64 v[132:135], v216 offset0:38 offset1:39
	s_wait_dscnt 0x0
	v_pk_mul_f32 v[122:123], v[132:133], v[120:121] op_sel:[0,1]
	s_delay_alu instid0(VALU_DEP_1) | instskip(SKIP_2) | instid1(VALU_DEP_2)
	v_pk_fma_f32 v[136:137], v[132:133], v[118:119], v[122:123] op_sel:[0,0,1] op_sel_hi:[1,1,0] neg_lo:[0,0,1] neg_hi:[0,0,1]
	v_pk_fma_f32 v[122:123], v[132:133], v[118:119], v[122:123] op_sel:[0,0,1] op_sel_hi:[1,0,0]
	v_dual_mul_f32 v132, v135, v121 :: v_dual_mov_b32 v122, v135
	v_dual_mov_b32 v137, v123 :: v_dual_mov_b32 v123, v134
	s_delay_alu instid0(VALU_DEP_2) | instskip(SKIP_1) | instid1(VALU_DEP_3)
	v_pk_fma_f32 v[132:133], v[134:135], v[140:141], v[132:133] op_sel_hi:[1,1,0] neg_lo:[0,0,1] neg_hi:[0,0,1]
	v_mul_f32_e32 v134, v135, v118
	v_pk_add_f32 v[160:161], v[160:161], v[136:137] neg_lo:[0,1] neg_hi:[0,1]
	s_delay_alu instid0(VALU_DEP_2) | instskip(NEXT) | instid1(VALU_DEP_1)
	v_pk_fma_f32 v[122:123], v[122:123], v[140:141], v[134:135] op_sel_hi:[1,1,0]
	v_mov_b32_e32 v133, v123
	s_delay_alu instid0(VALU_DEP_1) | instskip(SKIP_3) | instid1(VALU_DEP_1)
	v_pk_add_f32 v[156:157], v[156:157], v[132:133] neg_lo:[0,1] neg_hi:[0,1]
	ds_load_2addr_b64 v[132:135], v216 offset0:40 offset1:41
	s_wait_dscnt 0x0
	v_pk_mul_f32 v[122:123], v[132:133], v[120:121] op_sel:[0,1]
	v_pk_fma_f32 v[136:137], v[132:133], v[118:119], v[122:123] op_sel:[0,0,1] op_sel_hi:[1,1,0] neg_lo:[0,0,1] neg_hi:[0,0,1]
	v_pk_fma_f32 v[122:123], v[132:133], v[118:119], v[122:123] op_sel:[0,0,1] op_sel_hi:[1,0,0]
	s_delay_alu instid0(VALU_DEP_1) | instskip(SKIP_1) | instid1(VALU_DEP_2)
	v_mov_b32_e32 v137, v123
	v_pk_mul_f32 v[122:123], v[134:135], v[120:121] op_sel:[0,1]
	v_pk_add_f32 v[178:179], v[178:179], v[136:137] neg_lo:[0,1] neg_hi:[0,1]
	s_delay_alu instid0(VALU_DEP_2) | instskip(SKIP_1) | instid1(VALU_DEP_1)
	v_pk_fma_f32 v[132:133], v[134:135], v[118:119], v[122:123] op_sel:[0,0,1] op_sel_hi:[1,1,0] neg_lo:[0,0,1] neg_hi:[0,0,1]
	v_pk_fma_f32 v[122:123], v[134:135], v[118:119], v[122:123] op_sel:[0,0,1] op_sel_hi:[1,0,0]
	v_mov_b32_e32 v133, v123
	s_delay_alu instid0(VALU_DEP_1) | instskip(SKIP_3) | instid1(VALU_DEP_1)
	v_pk_add_f32 v[174:175], v[174:175], v[132:133] neg_lo:[0,1] neg_hi:[0,1]
	ds_load_2addr_b64 v[132:135], v216 offset0:42 offset1:43
	s_wait_dscnt 0x0
	v_pk_mul_f32 v[122:123], v[132:133], v[120:121] op_sel:[0,1]
	v_pk_fma_f32 v[136:137], v[132:133], v[118:119], v[122:123] op_sel:[0,0,1] op_sel_hi:[1,1,0] neg_lo:[0,0,1] neg_hi:[0,0,1]
	v_pk_fma_f32 v[122:123], v[132:133], v[118:119], v[122:123] op_sel:[0,0,1] op_sel_hi:[1,0,0]
	s_delay_alu instid0(VALU_DEP_1) | instskip(SKIP_1) | instid1(VALU_DEP_2)
	v_mov_b32_e32 v137, v123
	v_pk_mul_f32 v[122:123], v[134:135], v[120:121] op_sel:[0,1]
	v_pk_add_f32 v[176:177], v[176:177], v[136:137] neg_lo:[0,1] neg_hi:[0,1]
	s_delay_alu instid0(VALU_DEP_2) | instskip(SKIP_1) | instid1(VALU_DEP_1)
	v_pk_fma_f32 v[132:133], v[134:135], v[118:119], v[122:123] op_sel:[0,0,1] op_sel_hi:[1,1,0] neg_lo:[0,0,1] neg_hi:[0,0,1]
	v_pk_fma_f32 v[122:123], v[134:135], v[118:119], v[122:123] op_sel:[0,0,1] op_sel_hi:[1,0,0]
	v_mov_b32_e32 v133, v123
	s_delay_alu instid0(VALU_DEP_1) | instskip(SKIP_3) | instid1(VALU_DEP_1)
	v_pk_add_f32 v[172:173], v[172:173], v[132:133] neg_lo:[0,1] neg_hi:[0,1]
	ds_load_2addr_b64 v[132:135], v216 offset0:44 offset1:45
	s_wait_dscnt 0x0
	v_dual_mul_f32 v122, v133, v121 :: v_dual_mul_f32 v136, v133, v118
	v_pk_fma_f32 v[122:123], v[132:133], v[140:141], v[122:123] op_sel_hi:[1,1,0] neg_lo:[0,0,1] neg_hi:[0,0,1]
	s_delay_alu instid0(VALU_DEP_2) | instskip(NEXT) | instid1(VALU_DEP_1)
	v_pk_fma_f32 v[132:133], v[132:133], v[140:141], v[136:137] op_sel:[1,0,0] op_sel_hi:[0,1,0]
	v_mov_b32_e32 v123, v133
	s_delay_alu instid0(VALU_DEP_1) | instskip(SKIP_1) | instid1(VALU_DEP_1)
	v_pk_add_f32 v[194:195], v[194:195], v[122:123] neg_lo:[0,1] neg_hi:[0,1]
	v_pk_mul_f32 v[122:123], v[134:135], v[120:121] op_sel:[0,1]
	v_pk_fma_f32 v[132:133], v[134:135], v[118:119], v[122:123] op_sel:[0,0,1] op_sel_hi:[1,1,0] neg_lo:[0,0,1] neg_hi:[0,0,1]
	v_pk_fma_f32 v[122:123], v[134:135], v[118:119], v[122:123] op_sel:[0,0,1] op_sel_hi:[1,0,0]
	s_delay_alu instid0(VALU_DEP_1) | instskip(NEXT) | instid1(VALU_DEP_1)
	v_mov_b32_e32 v133, v123
	v_pk_add_f32 v[190:191], v[190:191], v[132:133] neg_lo:[0,1] neg_hi:[0,1]
	ds_load_2addr_b64 v[132:135], v216 offset0:46 offset1:47
	s_wait_dscnt 0x0
	v_pk_mul_f32 v[122:123], v[132:133], v[120:121] op_sel:[0,1]
	s_delay_alu instid0(VALU_DEP_1) | instskip(SKIP_1) | instid1(VALU_DEP_1)
	v_pk_fma_f32 v[136:137], v[132:133], v[118:119], v[122:123] op_sel:[0,0,1] op_sel_hi:[1,1,0] neg_lo:[0,0,1] neg_hi:[0,0,1]
	v_pk_fma_f32 v[122:123], v[132:133], v[118:119], v[122:123] op_sel:[0,0,1] op_sel_hi:[1,0,0]
	v_mov_b32_e32 v137, v123
	v_pk_mul_f32 v[122:123], v[134:135], v[120:121] op_sel:[0,1]
	s_delay_alu instid0(VALU_DEP_2) | instskip(NEXT) | instid1(VALU_DEP_2)
	v_pk_add_f32 v[192:193], v[192:193], v[136:137] neg_lo:[0,1] neg_hi:[0,1]
	v_pk_fma_f32 v[132:133], v[134:135], v[118:119], v[122:123] op_sel:[0,0,1] op_sel_hi:[1,1,0] neg_lo:[0,0,1] neg_hi:[0,0,1]
	v_pk_fma_f32 v[122:123], v[134:135], v[118:119], v[122:123] op_sel:[0,0,1] op_sel_hi:[1,0,0]
	s_delay_alu instid0(VALU_DEP_1) | instskip(NEXT) | instid1(VALU_DEP_1)
	v_mov_b32_e32 v133, v123
	v_pk_add_f32 v[188:189], v[188:189], v[132:133] neg_lo:[0,1] neg_hi:[0,1]
	ds_load_2addr_b64 v[132:135], v216 offset0:48 offset1:49
	s_wait_dscnt 0x0
	v_pk_mul_f32 v[122:123], v[132:133], v[120:121] op_sel:[0,1]
	s_delay_alu instid0(VALU_DEP_1) | instskip(SKIP_2) | instid1(VALU_DEP_2)
	v_pk_fma_f32 v[136:137], v[132:133], v[118:119], v[122:123] op_sel:[0,0,1] op_sel_hi:[1,1,0] neg_lo:[0,0,1] neg_hi:[0,0,1]
	v_pk_fma_f32 v[122:123], v[132:133], v[118:119], v[122:123] op_sel:[0,0,1] op_sel_hi:[1,0,0]
	v_dual_mul_f32 v132, v135, v121 :: v_dual_mov_b32 v122, v135
	v_dual_mov_b32 v137, v123 :: v_dual_mov_b32 v123, v134
	s_delay_alu instid0(VALU_DEP_2) | instskip(SKIP_1) | instid1(VALU_DEP_3)
	v_pk_fma_f32 v[132:133], v[134:135], v[140:141], v[132:133] op_sel_hi:[1,1,0] neg_lo:[0,0,1] neg_hi:[0,0,1]
	v_mul_f32_e32 v134, v135, v118
	v_pk_add_f32 v[214:215], v[214:215], v[136:137] neg_lo:[0,1] neg_hi:[0,1]
	s_delay_alu instid0(VALU_DEP_2) | instskip(NEXT) | instid1(VALU_DEP_1)
	v_pk_fma_f32 v[122:123], v[122:123], v[140:141], v[134:135] op_sel_hi:[1,1,0]
	v_mov_b32_e32 v133, v123
	s_delay_alu instid0(VALU_DEP_1) | instskip(SKIP_3) | instid1(VALU_DEP_1)
	v_pk_add_f32 v[210:211], v[210:211], v[132:133] neg_lo:[0,1] neg_hi:[0,1]
	ds_load_2addr_b64 v[132:135], v216 offset0:50 offset1:51
	s_wait_dscnt 0x0
	v_pk_mul_f32 v[122:123], v[132:133], v[120:121] op_sel:[0,1]
	v_pk_fma_f32 v[136:137], v[132:133], v[118:119], v[122:123] op_sel:[0,0,1] op_sel_hi:[1,1,0] neg_lo:[0,0,1] neg_hi:[0,0,1]
	v_pk_fma_f32 v[122:123], v[132:133], v[118:119], v[122:123] op_sel:[0,0,1] op_sel_hi:[1,0,0]
	s_delay_alu instid0(VALU_DEP_1) | instskip(SKIP_1) | instid1(VALU_DEP_2)
	v_mov_b32_e32 v137, v123
	v_pk_mul_f32 v[122:123], v[134:135], v[120:121] op_sel:[0,1]
	v_pk_add_f32 v[212:213], v[212:213], v[136:137] neg_lo:[0,1] neg_hi:[0,1]
	s_delay_alu instid0(VALU_DEP_2) | instskip(SKIP_1) | instid1(VALU_DEP_1)
	v_pk_fma_f32 v[132:133], v[134:135], v[118:119], v[122:123] op_sel:[0,0,1] op_sel_hi:[1,1,0] neg_lo:[0,0,1] neg_hi:[0,0,1]
	v_pk_fma_f32 v[122:123], v[134:135], v[118:119], v[122:123] op_sel:[0,0,1] op_sel_hi:[1,0,0]
	v_mov_b32_e32 v133, v123
	s_delay_alu instid0(VALU_DEP_1) | instskip(SKIP_3) | instid1(VALU_DEP_1)
	v_pk_add_f32 v[208:209], v[208:209], v[132:133] neg_lo:[0,1] neg_hi:[0,1]
	ds_load_2addr_b64 v[132:135], v216 offset0:52 offset1:53
	s_wait_dscnt 0x0
	v_pk_mul_f32 v[122:123], v[132:133], v[120:121] op_sel:[0,1]
	v_pk_fma_f32 v[136:137], v[132:133], v[118:119], v[122:123] op_sel:[0,0,1] op_sel_hi:[1,1,0] neg_lo:[0,0,1] neg_hi:[0,0,1]
	v_pk_fma_f32 v[122:123], v[132:133], v[118:119], v[122:123] op_sel:[0,0,1] op_sel_hi:[1,0,0]
	s_delay_alu instid0(VALU_DEP_1) | instskip(SKIP_1) | instid1(VALU_DEP_2)
	v_mov_b32_e32 v137, v123
	v_pk_mul_f32 v[122:123], v[134:135], v[120:121] op_sel:[0,1]
	v_pk_add_f32 v[236:237], v[236:237], v[136:137] neg_lo:[0,1] neg_hi:[0,1]
	s_delay_alu instid0(VALU_DEP_2) | instskip(SKIP_1) | instid1(VALU_DEP_1)
	v_pk_fma_f32 v[132:133], v[134:135], v[118:119], v[122:123] op_sel:[0,0,1] op_sel_hi:[1,1,0] neg_lo:[0,0,1] neg_hi:[0,0,1]
	v_pk_fma_f32 v[122:123], v[134:135], v[118:119], v[122:123] op_sel:[0,0,1] op_sel_hi:[1,0,0]
	v_mov_b32_e32 v133, v123
	s_delay_alu instid0(VALU_DEP_1) | instskip(SKIP_3) | instid1(VALU_DEP_1)
	v_pk_add_f32 v[230:231], v[230:231], v[132:133] neg_lo:[0,1] neg_hi:[0,1]
	ds_load_2addr_b64 v[132:135], v216 offset0:54 offset1:55
	s_wait_dscnt 0x0
	v_dual_mul_f32 v122, v133, v121 :: v_dual_mul_f32 v136, v133, v118
	v_pk_fma_f32 v[122:123], v[132:133], v[140:141], v[122:123] op_sel_hi:[1,1,0] neg_lo:[0,0,1] neg_hi:[0,0,1]
	s_delay_alu instid0(VALU_DEP_2) | instskip(NEXT) | instid1(VALU_DEP_1)
	v_pk_fma_f32 v[132:133], v[132:133], v[140:141], v[136:137] op_sel:[1,0,0] op_sel_hi:[0,1,0]
	v_mov_b32_e32 v123, v133
	s_delay_alu instid0(VALU_DEP_1) | instskip(SKIP_1) | instid1(VALU_DEP_1)
	v_pk_add_f32 v[234:235], v[234:235], v[122:123] neg_lo:[0,1] neg_hi:[0,1]
	v_pk_mul_f32 v[122:123], v[134:135], v[120:121] op_sel:[0,1]
	v_pk_fma_f32 v[132:133], v[134:135], v[118:119], v[122:123] op_sel:[0,0,1] op_sel_hi:[1,1,0] neg_lo:[0,0,1] neg_hi:[0,0,1]
	v_pk_fma_f32 v[122:123], v[134:135], v[118:119], v[122:123] op_sel:[0,0,1] op_sel_hi:[1,0,0]
	s_delay_alu instid0(VALU_DEP_1) | instskip(NEXT) | instid1(VALU_DEP_1)
	v_mov_b32_e32 v133, v123
	v_pk_add_f32 v[228:229], v[228:229], v[132:133] neg_lo:[0,1] neg_hi:[0,1]
	ds_load_2addr_b64 v[132:135], v216 offset0:56 offset1:57
	s_wait_dscnt 0x0
	v_pk_mul_f32 v[122:123], v[132:133], v[120:121] op_sel:[0,1]
	s_delay_alu instid0(VALU_DEP_1) | instskip(SKIP_1) | instid1(VALU_DEP_1)
	v_pk_fma_f32 v[136:137], v[132:133], v[118:119], v[122:123] op_sel:[0,0,1] op_sel_hi:[1,1,0] neg_lo:[0,0,1] neg_hi:[0,0,1]
	v_pk_fma_f32 v[122:123], v[132:133], v[118:119], v[122:123] op_sel:[0,0,1] op_sel_hi:[1,0,0]
	v_mov_b32_e32 v137, v123
	v_pk_mul_f32 v[122:123], v[134:135], v[120:121] op_sel:[0,1]
	s_delay_alu instid0(VALU_DEP_2) | instskip(NEXT) | instid1(VALU_DEP_2)
	v_pk_add_f32 v[232:233], v[232:233], v[136:137] neg_lo:[0,1] neg_hi:[0,1]
	v_pk_fma_f32 v[132:133], v[134:135], v[118:119], v[122:123] op_sel:[0,0,1] op_sel_hi:[1,1,0] neg_lo:[0,0,1] neg_hi:[0,0,1]
	v_pk_fma_f32 v[122:123], v[134:135], v[118:119], v[122:123] op_sel:[0,0,1] op_sel_hi:[1,0,0]
	s_delay_alu instid0(VALU_DEP_1) | instskip(NEXT) | instid1(VALU_DEP_1)
	v_mov_b32_e32 v133, v123
	v_pk_add_f32 v[226:227], v[226:227], v[132:133] neg_lo:[0,1] neg_hi:[0,1]
	ds_load_2addr_b64 v[132:135], v216 offset0:58 offset1:59
	s_wait_dscnt 0x0
	v_pk_mul_f32 v[122:123], v[132:133], v[120:121] op_sel:[0,1]
	v_mul_f32_e32 v120, v135, v121
	s_delay_alu instid0(VALU_DEP_2) | instskip(SKIP_2) | instid1(VALU_DEP_4)
	v_pk_fma_f32 v[136:137], v[132:133], v[118:119], v[122:123] op_sel:[0,0,1] op_sel_hi:[1,1,0] neg_lo:[0,0,1] neg_hi:[0,0,1]
	v_pk_fma_f32 v[122:123], v[132:133], v[118:119], v[122:123] op_sel:[0,0,1] op_sel_hi:[1,0,0]
	v_dual_mov_b32 v122, v135 :: v_dual_mul_f32 v118, v135, v118
	v_pk_fma_f32 v[120:121], v[134:135], v[140:141], v[120:121] op_sel_hi:[1,1,0] neg_lo:[0,0,1] neg_hi:[0,0,1]
	s_delay_alu instid0(VALU_DEP_3) | instskip(NEXT) | instid1(VALU_DEP_1)
	v_dual_mov_b32 v137, v123 :: v_dual_mov_b32 v123, v134
	v_pk_add_f32 v[238:239], v[238:239], v[136:137] neg_lo:[0,1] neg_hi:[0,1]
	s_delay_alu instid0(VALU_DEP_2) | instskip(NEXT) | instid1(VALU_DEP_1)
	v_pk_fma_f32 v[118:119], v[122:123], v[140:141], v[118:119] op_sel_hi:[1,1,0]
	v_mov_b32_e32 v121, v119
	s_delay_alu instid0(VALU_DEP_1)
	v_pk_add_f32 v[240:241], v[240:241], v[120:121] neg_lo:[0,1] neg_hi:[0,1]
.LBB119_325:
	s_or_b32 exec_lo, exec_lo, s1
	s_delay_alu instid0(SALU_CYCLE_1)
	s_mov_b32 s2, exec_lo
	s_wait_dscnt 0x0
	s_barrier_signal -1
	s_barrier_wait -1
	v_cmpx_eq_u32_e32 36, v206
	s_cbranch_execz .LBB119_332
; %bb.326:
	ds_store_b64 v207, v[162:163]
	ds_store_2addr_b64 v216, v[158:159], v[160:161] offset0:37 offset1:38
	ds_store_2addr_b64 v216, v[156:157], v[178:179] offset0:39 offset1:40
	ds_store_2addr_b64 v216, v[174:175], v[176:177] offset0:41 offset1:42
	ds_store_2addr_b64 v216, v[172:173], v[194:195] offset0:43 offset1:44
	ds_store_2addr_b64 v216, v[190:191], v[192:193] offset0:45 offset1:46
	ds_store_2addr_b64 v216, v[188:189], v[214:215] offset0:47 offset1:48
	ds_store_2addr_b64 v216, v[210:211], v[212:213] offset0:49 offset1:50
	ds_store_2addr_b64 v216, v[208:209], v[236:237] offset0:51 offset1:52
	ds_store_2addr_b64 v216, v[230:231], v[234:235] offset0:53 offset1:54
	ds_store_2addr_b64 v216, v[228:229], v[232:233] offset0:55 offset1:56
	ds_store_2addr_b64 v216, v[226:227], v[238:239] offset0:57 offset1:58
	ds_store_b64 v216, v[240:241] offset:472
	ds_load_b64 v[118:119], v207
	s_wait_dscnt 0x0
	v_cmp_neq_f32_e32 vcc_lo, 0, v118
	v_cmp_neq_f32_e64 s1, 0, v119
	s_or_b32 s1, vcc_lo, s1
	s_delay_alu instid0(SALU_CYCLE_1)
	s_and_b32 exec_lo, exec_lo, s1
	s_cbranch_execz .LBB119_332
; %bb.327:
	v_cmp_ngt_f32_e64 s1, |v118|, |v119|
                                        ; implicit-def: $vgpr120_vgpr121
	s_and_saveexec_b32 s4, s1
	s_delay_alu instid0(SALU_CYCLE_1)
	s_xor_b32 s1, exec_lo, s4
	s_cbranch_execz .LBB119_329
; %bb.328:
	v_div_scale_f32 v120, null, v119, v119, v118
	v_div_scale_f32 v123, vcc_lo, v118, v119, v118
	s_delay_alu instid0(VALU_DEP_2) | instskip(SKIP_1) | instid1(TRANS32_DEP_1)
	v_rcp_f32_e32 v121, v120
	v_nop
	v_fma_f32 v122, -v120, v121, 1.0
	s_delay_alu instid0(VALU_DEP_1) | instskip(NEXT) | instid1(VALU_DEP_1)
	v_fmac_f32_e32 v121, v122, v121
	v_mul_f32_e32 v122, v123, v121
	s_delay_alu instid0(VALU_DEP_1) | instskip(NEXT) | instid1(VALU_DEP_1)
	v_fma_f32 v132, -v120, v122, v123
	v_fmac_f32_e32 v122, v132, v121
	s_delay_alu instid0(VALU_DEP_1) | instskip(NEXT) | instid1(VALU_DEP_1)
	v_fma_f32 v120, -v120, v122, v123
	v_div_fmas_f32 v120, v120, v121, v122
	s_delay_alu instid0(VALU_DEP_1) | instskip(NEXT) | instid1(VALU_DEP_1)
	v_div_fixup_f32 v120, v120, v119, v118
	v_fmac_f32_e32 v119, v118, v120
	s_delay_alu instid0(VALU_DEP_1) | instskip(SKIP_1) | instid1(VALU_DEP_2)
	v_div_scale_f32 v118, null, v119, v119, 1.0
	v_div_scale_f32 v123, vcc_lo, 1.0, v119, 1.0
	v_rcp_f32_e32 v121, v118
	v_nop
	s_delay_alu instid0(TRANS32_DEP_1) | instskip(NEXT) | instid1(VALU_DEP_1)
	v_fma_f32 v122, -v118, v121, 1.0
	v_fmac_f32_e32 v121, v122, v121
	s_delay_alu instid0(VALU_DEP_1) | instskip(NEXT) | instid1(VALU_DEP_1)
	v_mul_f32_e32 v122, v123, v121
	v_fma_f32 v132, -v118, v122, v123
	s_delay_alu instid0(VALU_DEP_1) | instskip(NEXT) | instid1(VALU_DEP_1)
	v_fmac_f32_e32 v122, v132, v121
	v_fma_f32 v118, -v118, v122, v123
	s_delay_alu instid0(VALU_DEP_1) | instskip(NEXT) | instid1(VALU_DEP_1)
	v_div_fmas_f32 v118, v118, v121, v122
	v_div_fixup_f32 v118, v118, v119, 1.0
	s_delay_alu instid0(VALU_DEP_1)
	v_mul_f32_e32 v120, v120, v118
	v_xor_b32_e32 v121, 0x80000000, v118
                                        ; implicit-def: $vgpr118_vgpr119
.LBB119_329:
	s_and_not1_saveexec_b32 s1, s1
	s_cbranch_execz .LBB119_331
; %bb.330:
	v_div_scale_f32 v120, null, v118, v118, v119
	v_div_scale_f32 v123, vcc_lo, v119, v118, v119
	s_delay_alu instid0(VALU_DEP_2) | instskip(SKIP_1) | instid1(TRANS32_DEP_1)
	v_rcp_f32_e32 v121, v120
	v_nop
	v_fma_f32 v122, -v120, v121, 1.0
	s_delay_alu instid0(VALU_DEP_1) | instskip(NEXT) | instid1(VALU_DEP_1)
	v_fmac_f32_e32 v121, v122, v121
	v_mul_f32_e32 v122, v123, v121
	s_delay_alu instid0(VALU_DEP_1) | instskip(NEXT) | instid1(VALU_DEP_1)
	v_fma_f32 v132, -v120, v122, v123
	v_fmac_f32_e32 v122, v132, v121
	s_delay_alu instid0(VALU_DEP_1) | instskip(NEXT) | instid1(VALU_DEP_1)
	v_fma_f32 v120, -v120, v122, v123
	v_div_fmas_f32 v120, v120, v121, v122
	s_delay_alu instid0(VALU_DEP_1) | instskip(NEXT) | instid1(VALU_DEP_1)
	v_div_fixup_f32 v121, v120, v118, v119
	v_fmac_f32_e32 v118, v119, v121
	s_delay_alu instid0(VALU_DEP_1) | instskip(NEXT) | instid1(VALU_DEP_1)
	v_div_scale_f32 v119, null, v118, v118, 1.0
	v_rcp_f32_e32 v120, v119
	v_nop
	s_delay_alu instid0(TRANS32_DEP_1) | instskip(NEXT) | instid1(VALU_DEP_1)
	v_fma_f32 v122, -v119, v120, 1.0
	v_fmac_f32_e32 v120, v122, v120
	v_div_scale_f32 v122, vcc_lo, 1.0, v118, 1.0
	s_delay_alu instid0(VALU_DEP_1) | instskip(NEXT) | instid1(VALU_DEP_1)
	v_mul_f32_e32 v123, v122, v120
	v_fma_f32 v132, -v119, v123, v122
	s_delay_alu instid0(VALU_DEP_1) | instskip(NEXT) | instid1(VALU_DEP_1)
	v_fmac_f32_e32 v123, v132, v120
	v_fma_f32 v119, -v119, v123, v122
	s_delay_alu instid0(VALU_DEP_1) | instskip(NEXT) | instid1(VALU_DEP_1)
	v_div_fmas_f32 v119, v119, v120, v123
	v_div_fixup_f32 v120, v119, v118, 1.0
	s_delay_alu instid0(VALU_DEP_1)
	v_mul_f32_e64 v121, v121, -v120
.LBB119_331:
	s_or_b32 exec_lo, exec_lo, s1
	ds_store_b64 v207, v[120:121]
.LBB119_332:
	s_or_b32 exec_lo, exec_lo, s2
	s_wait_dscnt 0x0
	s_barrier_signal -1
	s_barrier_wait -1
	ds_load_b64 v[118:119], v207
	s_mov_b32 s1, exec_lo
	v_cmpx_lt_u32_e32 36, v206
	s_cbranch_execz .LBB119_334
; %bb.333:
	ds_load_2addr_b64 v[132:135], v216 offset0:37 offset1:38
	s_wait_dscnt 0x1
	v_pk_mul_f32 v[122:123], v[118:119], v[162:163] op_sel:[1,1] op_sel_hi:[0,1]
	s_delay_alu instid0(VALU_DEP_1) | instskip(SKIP_1) | instid1(VALU_DEP_1)
	v_pk_fma_f32 v[120:121], v[118:119], v[162:163], v[122:123] op_sel_hi:[1,0,1] neg_lo:[0,0,1] neg_hi:[0,0,1]
	v_pk_fma_f32 v[122:123], v[118:119], v[162:163], v[122:123] op_sel_hi:[1,0,1]
	v_dual_mov_b32 v162, v120 :: v_dual_mov_b32 v163, v123
	s_wait_dscnt 0x0
	s_delay_alu instid0(VALU_DEP_2) | instskip(NEXT) | instid1(VALU_DEP_1)
	v_pk_mul_f32 v[136:137], v[132:133], v[122:123] op_sel:[0,1]
	v_pk_fma_f32 v[138:139], v[132:133], v[120:121], v[136:137] op_sel:[0,0,1] op_sel_hi:[1,1,0] neg_lo:[0,0,1] neg_hi:[0,0,1]
	v_pk_fma_f32 v[132:133], v[132:133], v[120:121], v[136:137] op_sel:[0,0,1] op_sel_hi:[1,0,0]
	s_delay_alu instid0(VALU_DEP_1) | instskip(SKIP_1) | instid1(VALU_DEP_1)
	v_mov_b32_e32 v139, v133
	v_pk_mul_f32 v[132:133], v[134:135], v[122:123] op_sel:[0,1]
	v_pk_fma_f32 v[136:137], v[134:135], v[120:121], v[132:133] op_sel:[0,0,1] op_sel_hi:[1,1,0] neg_lo:[0,0,1] neg_hi:[0,0,1]
	v_pk_fma_f32 v[132:133], v[134:135], v[120:121], v[132:133] op_sel:[0,0,1] op_sel_hi:[1,0,0]
	s_delay_alu instid0(VALU_DEP_1)
	v_mov_b32_e32 v137, v133
	ds_load_2addr_b64 v[132:135], v216 offset0:39 offset1:40
	v_pk_add_f32 v[158:159], v[158:159], v[138:139] neg_lo:[0,1] neg_hi:[0,1]
	v_pk_add_f32 v[160:161], v[160:161], v[136:137] neg_lo:[0,1] neg_hi:[0,1]
	s_wait_dscnt 0x0
	v_pk_mul_f32 v[136:137], v[132:133], v[122:123] op_sel:[0,1]
	s_delay_alu instid0(VALU_DEP_1) | instskip(SKIP_2) | instid1(VALU_DEP_2)
	v_pk_fma_f32 v[138:139], v[132:133], v[120:121], v[136:137] op_sel:[0,0,1] op_sel_hi:[1,1,0] neg_lo:[0,0,1] neg_hi:[0,0,1]
	v_pk_fma_f32 v[132:133], v[132:133], v[120:121], v[136:137] op_sel:[0,0,1] op_sel_hi:[1,0,0]
	v_dual_mul_f32 v136, v135, v123 :: v_dual_mov_b32 v132, v135
	v_dual_mov_b32 v139, v133 :: v_dual_mov_b32 v133, v134
	s_delay_alu instid0(VALU_DEP_2) | instskip(SKIP_1) | instid1(VALU_DEP_3)
	v_pk_fma_f32 v[136:137], v[134:135], v[162:163], v[136:137] op_sel_hi:[1,1,0] neg_lo:[0,0,1] neg_hi:[0,0,1]
	v_mul_f32_e32 v134, v135, v120
	v_pk_add_f32 v[156:157], v[156:157], v[138:139] neg_lo:[0,1] neg_hi:[0,1]
	s_delay_alu instid0(VALU_DEP_2) | instskip(NEXT) | instid1(VALU_DEP_1)
	v_pk_fma_f32 v[132:133], v[132:133], v[162:163], v[134:135] op_sel_hi:[1,1,0]
	v_mov_b32_e32 v137, v133
	ds_load_2addr_b64 v[132:135], v216 offset0:41 offset1:42
	v_pk_add_f32 v[178:179], v[178:179], v[136:137] neg_lo:[0,1] neg_hi:[0,1]
	s_wait_dscnt 0x0
	v_pk_mul_f32 v[136:137], v[132:133], v[122:123] op_sel:[0,1]
	s_delay_alu instid0(VALU_DEP_1) | instskip(SKIP_1) | instid1(VALU_DEP_1)
	v_pk_fma_f32 v[138:139], v[132:133], v[120:121], v[136:137] op_sel:[0,0,1] op_sel_hi:[1,1,0] neg_lo:[0,0,1] neg_hi:[0,0,1]
	v_pk_fma_f32 v[132:133], v[132:133], v[120:121], v[136:137] op_sel:[0,0,1] op_sel_hi:[1,0,0]
	v_mov_b32_e32 v139, v133
	v_pk_mul_f32 v[132:133], v[134:135], v[122:123] op_sel:[0,1]
	s_delay_alu instid0(VALU_DEP_1) | instskip(SKIP_1) | instid1(VALU_DEP_1)
	v_pk_fma_f32 v[136:137], v[134:135], v[120:121], v[132:133] op_sel:[0,0,1] op_sel_hi:[1,1,0] neg_lo:[0,0,1] neg_hi:[0,0,1]
	v_pk_fma_f32 v[132:133], v[134:135], v[120:121], v[132:133] op_sel:[0,0,1] op_sel_hi:[1,0,0]
	v_mov_b32_e32 v137, v133
	ds_load_2addr_b64 v[132:135], v216 offset0:43 offset1:44
	v_pk_add_f32 v[174:175], v[174:175], v[138:139] neg_lo:[0,1] neg_hi:[0,1]
	v_pk_add_f32 v[176:177], v[176:177], v[136:137] neg_lo:[0,1] neg_hi:[0,1]
	s_wait_dscnt 0x0
	v_pk_mul_f32 v[136:137], v[132:133], v[122:123] op_sel:[0,1]
	s_delay_alu instid0(VALU_DEP_1) | instskip(SKIP_1) | instid1(VALU_DEP_1)
	v_pk_fma_f32 v[138:139], v[132:133], v[120:121], v[136:137] op_sel:[0,0,1] op_sel_hi:[1,1,0] neg_lo:[0,0,1] neg_hi:[0,0,1]
	v_pk_fma_f32 v[132:133], v[132:133], v[120:121], v[136:137] op_sel:[0,0,1] op_sel_hi:[1,0,0]
	v_mov_b32_e32 v139, v133
	v_pk_mul_f32 v[132:133], v[134:135], v[122:123] op_sel:[0,1]
	s_delay_alu instid0(VALU_DEP_1) | instskip(SKIP_1) | instid1(VALU_DEP_1)
	v_pk_fma_f32 v[136:137], v[134:135], v[120:121], v[132:133] op_sel:[0,0,1] op_sel_hi:[1,1,0] neg_lo:[0,0,1] neg_hi:[0,0,1]
	v_pk_fma_f32 v[132:133], v[134:135], v[120:121], v[132:133] op_sel:[0,0,1] op_sel_hi:[1,0,0]
	v_mov_b32_e32 v137, v133
	ds_load_2addr_b64 v[132:135], v216 offset0:45 offset1:46
	v_pk_add_f32 v[172:173], v[172:173], v[138:139] neg_lo:[0,1] neg_hi:[0,1]
	v_pk_add_f32 v[194:195], v[194:195], v[136:137] neg_lo:[0,1] neg_hi:[0,1]
	s_wait_dscnt 0x0
	v_dual_mul_f32 v136, v133, v123 :: v_dual_mul_f32 v138, v133, v120
	s_delay_alu instid0(VALU_DEP_1) | instskip(NEXT) | instid1(VALU_DEP_2)
	v_pk_fma_f32 v[136:137], v[132:133], v[162:163], v[136:137] op_sel_hi:[1,1,0] neg_lo:[0,0,1] neg_hi:[0,0,1]
	v_pk_fma_f32 v[132:133], v[132:133], v[162:163], v[138:139] op_sel:[1,0,0] op_sel_hi:[0,1,0]
	s_delay_alu instid0(VALU_DEP_1) | instskip(SKIP_1) | instid1(VALU_DEP_2)
	v_mov_b32_e32 v137, v133
	v_pk_mul_f32 v[132:133], v[134:135], v[122:123] op_sel:[0,1]
	v_pk_add_f32 v[190:191], v[190:191], v[136:137] neg_lo:[0,1] neg_hi:[0,1]
	s_delay_alu instid0(VALU_DEP_2) | instskip(SKIP_1) | instid1(VALU_DEP_1)
	v_pk_fma_f32 v[136:137], v[134:135], v[120:121], v[132:133] op_sel:[0,0,1] op_sel_hi:[1,1,0] neg_lo:[0,0,1] neg_hi:[0,0,1]
	v_pk_fma_f32 v[132:133], v[134:135], v[120:121], v[132:133] op_sel:[0,0,1] op_sel_hi:[1,0,0]
	v_mov_b32_e32 v137, v133
	ds_load_2addr_b64 v[132:135], v216 offset0:47 offset1:48
	v_pk_add_f32 v[192:193], v[192:193], v[136:137] neg_lo:[0,1] neg_hi:[0,1]
	s_wait_dscnt 0x0
	v_pk_mul_f32 v[136:137], v[132:133], v[122:123] op_sel:[0,1]
	s_delay_alu instid0(VALU_DEP_1) | instskip(SKIP_1) | instid1(VALU_DEP_1)
	v_pk_fma_f32 v[138:139], v[132:133], v[120:121], v[136:137] op_sel:[0,0,1] op_sel_hi:[1,1,0] neg_lo:[0,0,1] neg_hi:[0,0,1]
	v_pk_fma_f32 v[132:133], v[132:133], v[120:121], v[136:137] op_sel:[0,0,1] op_sel_hi:[1,0,0]
	v_mov_b32_e32 v139, v133
	v_pk_mul_f32 v[132:133], v[134:135], v[122:123] op_sel:[0,1]
	s_delay_alu instid0(VALU_DEP_2) | instskip(NEXT) | instid1(VALU_DEP_2)
	v_pk_add_f32 v[188:189], v[188:189], v[138:139] neg_lo:[0,1] neg_hi:[0,1]
	v_pk_fma_f32 v[136:137], v[134:135], v[120:121], v[132:133] op_sel:[0,0,1] op_sel_hi:[1,1,0] neg_lo:[0,0,1] neg_hi:[0,0,1]
	v_pk_fma_f32 v[132:133], v[134:135], v[120:121], v[132:133] op_sel:[0,0,1] op_sel_hi:[1,0,0]
	s_delay_alu instid0(VALU_DEP_1) | instskip(SKIP_4) | instid1(VALU_DEP_1)
	v_mov_b32_e32 v137, v133
	ds_load_2addr_b64 v[132:135], v216 offset0:49 offset1:50
	v_pk_add_f32 v[214:215], v[214:215], v[136:137] neg_lo:[0,1] neg_hi:[0,1]
	s_wait_dscnt 0x0
	v_pk_mul_f32 v[136:137], v[132:133], v[122:123] op_sel:[0,1]
	v_pk_fma_f32 v[138:139], v[132:133], v[120:121], v[136:137] op_sel:[0,0,1] op_sel_hi:[1,1,0] neg_lo:[0,0,1] neg_hi:[0,0,1]
	v_pk_fma_f32 v[132:133], v[132:133], v[120:121], v[136:137] op_sel:[0,0,1] op_sel_hi:[1,0,0]
	v_dual_mul_f32 v136, v135, v123 :: v_dual_mov_b32 v132, v135
	s_delay_alu instid0(VALU_DEP_2) | instskip(NEXT) | instid1(VALU_DEP_2)
	v_dual_mov_b32 v139, v133 :: v_dual_mov_b32 v133, v134
	v_pk_fma_f32 v[136:137], v[134:135], v[162:163], v[136:137] op_sel_hi:[1,1,0] neg_lo:[0,0,1] neg_hi:[0,0,1]
	v_mul_f32_e32 v134, v135, v120
	s_delay_alu instid0(VALU_DEP_3) | instskip(NEXT) | instid1(VALU_DEP_2)
	v_pk_add_f32 v[210:211], v[210:211], v[138:139] neg_lo:[0,1] neg_hi:[0,1]
	v_pk_fma_f32 v[132:133], v[132:133], v[162:163], v[134:135] op_sel_hi:[1,1,0]
	s_delay_alu instid0(VALU_DEP_1) | instskip(SKIP_4) | instid1(VALU_DEP_1)
	v_mov_b32_e32 v137, v133
	ds_load_2addr_b64 v[132:135], v216 offset0:51 offset1:52
	v_pk_add_f32 v[212:213], v[212:213], v[136:137] neg_lo:[0,1] neg_hi:[0,1]
	s_wait_dscnt 0x0
	v_pk_mul_f32 v[136:137], v[132:133], v[122:123] op_sel:[0,1]
	v_pk_fma_f32 v[138:139], v[132:133], v[120:121], v[136:137] op_sel:[0,0,1] op_sel_hi:[1,1,0] neg_lo:[0,0,1] neg_hi:[0,0,1]
	v_pk_fma_f32 v[132:133], v[132:133], v[120:121], v[136:137] op_sel:[0,0,1] op_sel_hi:[1,0,0]
	s_delay_alu instid0(VALU_DEP_1) | instskip(SKIP_1) | instid1(VALU_DEP_1)
	v_mov_b32_e32 v139, v133
	v_pk_mul_f32 v[132:133], v[134:135], v[122:123] op_sel:[0,1]
	v_pk_fma_f32 v[136:137], v[134:135], v[120:121], v[132:133] op_sel:[0,0,1] op_sel_hi:[1,1,0] neg_lo:[0,0,1] neg_hi:[0,0,1]
	v_pk_fma_f32 v[132:133], v[134:135], v[120:121], v[132:133] op_sel:[0,0,1] op_sel_hi:[1,0,0]
	s_delay_alu instid0(VALU_DEP_1)
	v_mov_b32_e32 v137, v133
	ds_load_2addr_b64 v[132:135], v216 offset0:53 offset1:54
	v_pk_add_f32 v[208:209], v[208:209], v[138:139] neg_lo:[0,1] neg_hi:[0,1]
	v_pk_add_f32 v[236:237], v[236:237], v[136:137] neg_lo:[0,1] neg_hi:[0,1]
	s_wait_dscnt 0x0
	v_pk_mul_f32 v[136:137], v[132:133], v[122:123] op_sel:[0,1]
	s_delay_alu instid0(VALU_DEP_1) | instskip(SKIP_1) | instid1(VALU_DEP_1)
	v_pk_fma_f32 v[138:139], v[132:133], v[120:121], v[136:137] op_sel:[0,0,1] op_sel_hi:[1,1,0] neg_lo:[0,0,1] neg_hi:[0,0,1]
	v_pk_fma_f32 v[132:133], v[132:133], v[120:121], v[136:137] op_sel:[0,0,1] op_sel_hi:[1,0,0]
	v_mov_b32_e32 v139, v133
	v_pk_mul_f32 v[132:133], v[134:135], v[122:123] op_sel:[0,1]
	s_delay_alu instid0(VALU_DEP_1) | instskip(SKIP_1) | instid1(VALU_DEP_1)
	v_pk_fma_f32 v[136:137], v[134:135], v[120:121], v[132:133] op_sel:[0,0,1] op_sel_hi:[1,1,0] neg_lo:[0,0,1] neg_hi:[0,0,1]
	v_pk_fma_f32 v[132:133], v[134:135], v[120:121], v[132:133] op_sel:[0,0,1] op_sel_hi:[1,0,0]
	v_mov_b32_e32 v137, v133
	ds_load_2addr_b64 v[132:135], v216 offset0:55 offset1:56
	v_pk_add_f32 v[230:231], v[230:231], v[138:139] neg_lo:[0,1] neg_hi:[0,1]
	v_pk_add_f32 v[234:235], v[234:235], v[136:137] neg_lo:[0,1] neg_hi:[0,1]
	s_wait_dscnt 0x0
	v_dual_mul_f32 v136, v133, v123 :: v_dual_mul_f32 v138, v133, v120
	s_delay_alu instid0(VALU_DEP_1) | instskip(NEXT) | instid1(VALU_DEP_2)
	v_pk_fma_f32 v[136:137], v[132:133], v[162:163], v[136:137] op_sel_hi:[1,1,0] neg_lo:[0,0,1] neg_hi:[0,0,1]
	v_pk_fma_f32 v[132:133], v[132:133], v[162:163], v[138:139] op_sel:[1,0,0] op_sel_hi:[0,1,0]
	s_delay_alu instid0(VALU_DEP_1) | instskip(SKIP_1) | instid1(VALU_DEP_2)
	v_mov_b32_e32 v137, v133
	v_pk_mul_f32 v[132:133], v[134:135], v[122:123] op_sel:[0,1]
	v_pk_add_f32 v[228:229], v[228:229], v[136:137] neg_lo:[0,1] neg_hi:[0,1]
	s_delay_alu instid0(VALU_DEP_2) | instskip(SKIP_1) | instid1(VALU_DEP_1)
	v_pk_fma_f32 v[136:137], v[134:135], v[120:121], v[132:133] op_sel:[0,0,1] op_sel_hi:[1,1,0] neg_lo:[0,0,1] neg_hi:[0,0,1]
	v_pk_fma_f32 v[132:133], v[134:135], v[120:121], v[132:133] op_sel:[0,0,1] op_sel_hi:[1,0,0]
	v_mov_b32_e32 v137, v133
	ds_load_2addr_b64 v[132:135], v216 offset0:57 offset1:58
	v_pk_add_f32 v[232:233], v[232:233], v[136:137] neg_lo:[0,1] neg_hi:[0,1]
	s_wait_dscnt 0x0
	v_pk_mul_f32 v[136:137], v[132:133], v[122:123] op_sel:[0,1]
	s_delay_alu instid0(VALU_DEP_1) | instskip(SKIP_1) | instid1(VALU_DEP_1)
	v_pk_fma_f32 v[138:139], v[132:133], v[120:121], v[136:137] op_sel:[0,0,1] op_sel_hi:[1,1,0] neg_lo:[0,0,1] neg_hi:[0,0,1]
	v_pk_fma_f32 v[132:133], v[132:133], v[120:121], v[136:137] op_sel:[0,0,1] op_sel_hi:[1,0,0]
	v_mov_b32_e32 v139, v133
	v_pk_mul_f32 v[132:133], v[134:135], v[122:123] op_sel:[0,1]
	s_delay_alu instid0(VALU_DEP_2) | instskip(NEXT) | instid1(VALU_DEP_2)
	v_pk_add_f32 v[226:227], v[226:227], v[138:139] neg_lo:[0,1] neg_hi:[0,1]
	v_pk_fma_f32 v[136:137], v[134:135], v[120:121], v[132:133] op_sel:[0,0,1] op_sel_hi:[1,1,0] neg_lo:[0,0,1] neg_hi:[0,0,1]
	v_pk_fma_f32 v[132:133], v[134:135], v[120:121], v[132:133] op_sel:[0,0,1] op_sel_hi:[1,0,0]
	s_delay_alu instid0(VALU_DEP_1) | instskip(SKIP_4) | instid1(VALU_DEP_1)
	v_mov_b32_e32 v137, v133
	ds_load_b64 v[132:133], v216 offset:472
	v_pk_add_f32 v[238:239], v[238:239], v[136:137] neg_lo:[0,1] neg_hi:[0,1]
	s_wait_dscnt 0x0
	v_pk_mul_f32 v[122:123], v[132:133], v[122:123] op_sel:[0,1]
	v_pk_fma_f32 v[134:135], v[132:133], v[120:121], v[122:123] op_sel:[0,0,1] op_sel_hi:[1,1,0] neg_lo:[0,0,1] neg_hi:[0,0,1]
	v_pk_fma_f32 v[120:121], v[132:133], v[120:121], v[122:123] op_sel:[0,0,1] op_sel_hi:[1,0,0]
	s_delay_alu instid0(VALU_DEP_1) | instskip(NEXT) | instid1(VALU_DEP_1)
	v_mov_b32_e32 v135, v121
	v_pk_add_f32 v[240:241], v[240:241], v[134:135] neg_lo:[0,1] neg_hi:[0,1]
.LBB119_334:
	s_or_b32 exec_lo, exec_lo, s1
	s_delay_alu instid0(SALU_CYCLE_1)
	s_mov_b32 s2, exec_lo
	s_wait_dscnt 0x0
	s_barrier_signal -1
	s_barrier_wait -1
	v_cmpx_eq_u32_e32 37, v206
	s_cbranch_execz .LBB119_341
; %bb.335:
	v_dual_mov_b32 v120, v160 :: v_dual_mov_b32 v121, v161
	v_dual_mov_b32 v122, v156 :: v_dual_mov_b32 v123, v157
	ds_store_b64 v207, v[158:159]
	ds_store_2addr_b64 v216, v[120:121], v[122:123] offset0:38 offset1:39
	v_dual_mov_b32 v120, v178 :: v_dual_mov_b32 v121, v179
	v_dual_mov_b32 v122, v174 :: v_dual_mov_b32 v123, v175
	ds_store_2addr_b64 v216, v[120:121], v[122:123] offset0:40 offset1:41
	v_dual_mov_b32 v120, v176 :: v_dual_mov_b32 v121, v177
	v_dual_mov_b32 v122, v172 :: v_dual_mov_b32 v123, v173
	;; [unrolled: 3-line block ×9, first 2 shown]
	ds_store_2addr_b64 v216, v[120:121], v[122:123] offset0:56 offset1:57
	v_dual_mov_b32 v120, v238 :: v_dual_mov_b32 v121, v239
	ds_store_2addr_b64 v216, v[120:121], v[240:241] offset0:58 offset1:59
	ds_load_b64 v[120:121], v207
	s_wait_dscnt 0x0
	v_cmp_neq_f32_e32 vcc_lo, 0, v120
	v_cmp_neq_f32_e64 s1, 0, v121
	s_or_b32 s1, vcc_lo, s1
	s_delay_alu instid0(SALU_CYCLE_1)
	s_and_b32 exec_lo, exec_lo, s1
	s_cbranch_execz .LBB119_341
; %bb.336:
	v_cmp_ngt_f32_e64 s1, |v120|, |v121|
                                        ; implicit-def: $vgpr122_vgpr123
	s_and_saveexec_b32 s4, s1
	s_delay_alu instid0(SALU_CYCLE_1)
	s_xor_b32 s1, exec_lo, s4
	s_cbranch_execz .LBB119_338
; %bb.337:
	v_div_scale_f32 v122, null, v121, v121, v120
	v_div_scale_f32 v133, vcc_lo, v120, v121, v120
	s_delay_alu instid0(VALU_DEP_2) | instskip(SKIP_1) | instid1(TRANS32_DEP_1)
	v_rcp_f32_e32 v123, v122
	v_nop
	v_fma_f32 v132, -v122, v123, 1.0
	s_delay_alu instid0(VALU_DEP_1) | instskip(NEXT) | instid1(VALU_DEP_1)
	v_fmac_f32_e32 v123, v132, v123
	v_mul_f32_e32 v132, v133, v123
	s_delay_alu instid0(VALU_DEP_1) | instskip(NEXT) | instid1(VALU_DEP_1)
	v_fma_f32 v134, -v122, v132, v133
	v_fmac_f32_e32 v132, v134, v123
	s_delay_alu instid0(VALU_DEP_1) | instskip(NEXT) | instid1(VALU_DEP_1)
	v_fma_f32 v122, -v122, v132, v133
	v_div_fmas_f32 v122, v122, v123, v132
	s_delay_alu instid0(VALU_DEP_1) | instskip(NEXT) | instid1(VALU_DEP_1)
	v_div_fixup_f32 v122, v122, v121, v120
	v_fmac_f32_e32 v121, v120, v122
	s_delay_alu instid0(VALU_DEP_1) | instskip(SKIP_1) | instid1(VALU_DEP_2)
	v_div_scale_f32 v120, null, v121, v121, 1.0
	v_div_scale_f32 v133, vcc_lo, 1.0, v121, 1.0
	v_rcp_f32_e32 v123, v120
	v_nop
	s_delay_alu instid0(TRANS32_DEP_1) | instskip(NEXT) | instid1(VALU_DEP_1)
	v_fma_f32 v132, -v120, v123, 1.0
	v_fmac_f32_e32 v123, v132, v123
	s_delay_alu instid0(VALU_DEP_1) | instskip(NEXT) | instid1(VALU_DEP_1)
	v_mul_f32_e32 v132, v133, v123
	v_fma_f32 v134, -v120, v132, v133
	s_delay_alu instid0(VALU_DEP_1) | instskip(NEXT) | instid1(VALU_DEP_1)
	v_fmac_f32_e32 v132, v134, v123
	v_fma_f32 v120, -v120, v132, v133
	s_delay_alu instid0(VALU_DEP_1) | instskip(NEXT) | instid1(VALU_DEP_1)
	v_div_fmas_f32 v120, v120, v123, v132
	v_div_fixup_f32 v120, v120, v121, 1.0
	s_delay_alu instid0(VALU_DEP_1)
	v_mul_f32_e32 v122, v122, v120
	v_xor_b32_e32 v123, 0x80000000, v120
                                        ; implicit-def: $vgpr120_vgpr121
.LBB119_338:
	s_and_not1_saveexec_b32 s1, s1
	s_cbranch_execz .LBB119_340
; %bb.339:
	v_div_scale_f32 v122, null, v120, v120, v121
	v_div_scale_f32 v133, vcc_lo, v121, v120, v121
	s_delay_alu instid0(VALU_DEP_2) | instskip(SKIP_1) | instid1(TRANS32_DEP_1)
	v_rcp_f32_e32 v123, v122
	v_nop
	v_fma_f32 v132, -v122, v123, 1.0
	s_delay_alu instid0(VALU_DEP_1) | instskip(NEXT) | instid1(VALU_DEP_1)
	v_fmac_f32_e32 v123, v132, v123
	v_mul_f32_e32 v132, v133, v123
	s_delay_alu instid0(VALU_DEP_1) | instskip(NEXT) | instid1(VALU_DEP_1)
	v_fma_f32 v134, -v122, v132, v133
	v_fmac_f32_e32 v132, v134, v123
	s_delay_alu instid0(VALU_DEP_1) | instskip(NEXT) | instid1(VALU_DEP_1)
	v_fma_f32 v122, -v122, v132, v133
	v_div_fmas_f32 v122, v122, v123, v132
	s_delay_alu instid0(VALU_DEP_1) | instskip(NEXT) | instid1(VALU_DEP_1)
	v_div_fixup_f32 v123, v122, v120, v121
	v_fmac_f32_e32 v120, v121, v123
	s_delay_alu instid0(VALU_DEP_1) | instskip(NEXT) | instid1(VALU_DEP_1)
	v_div_scale_f32 v121, null, v120, v120, 1.0
	v_rcp_f32_e32 v122, v121
	v_nop
	s_delay_alu instid0(TRANS32_DEP_1) | instskip(NEXT) | instid1(VALU_DEP_1)
	v_fma_f32 v132, -v121, v122, 1.0
	v_fmac_f32_e32 v122, v132, v122
	v_div_scale_f32 v132, vcc_lo, 1.0, v120, 1.0
	s_delay_alu instid0(VALU_DEP_1) | instskip(NEXT) | instid1(VALU_DEP_1)
	v_mul_f32_e32 v133, v132, v122
	v_fma_f32 v134, -v121, v133, v132
	s_delay_alu instid0(VALU_DEP_1) | instskip(NEXT) | instid1(VALU_DEP_1)
	v_fmac_f32_e32 v133, v134, v122
	v_fma_f32 v121, -v121, v133, v132
	s_delay_alu instid0(VALU_DEP_1) | instskip(NEXT) | instid1(VALU_DEP_1)
	v_div_fmas_f32 v121, v121, v122, v133
	v_div_fixup_f32 v122, v121, v120, 1.0
	s_delay_alu instid0(VALU_DEP_1)
	v_mul_f32_e64 v123, v123, -v122
.LBB119_340:
	s_or_b32 exec_lo, exec_lo, s1
	ds_store_b64 v207, v[122:123]
.LBB119_341:
	s_or_b32 exec_lo, exec_lo, s2
	s_wait_dscnt 0x0
	s_barrier_signal -1
	s_barrier_wait -1
	ds_load_b64 v[120:121], v207
	s_mov_b32 s1, exec_lo
	v_cmpx_lt_u32_e32 37, v206
	s_cbranch_execz .LBB119_343
; %bb.342:
	ds_load_2addr_b64 v[134:137], v216 offset0:38 offset1:39
	s_wait_dscnt 0x1
	v_pk_mul_f32 v[132:133], v[120:121], v[158:159] op_sel:[1,1] op_sel_hi:[0,1]
	s_delay_alu instid0(VALU_DEP_1) | instskip(SKIP_1) | instid1(VALU_DEP_1)
	v_pk_fma_f32 v[122:123], v[120:121], v[158:159], v[132:133] op_sel_hi:[1,0,1] neg_lo:[0,0,1] neg_hi:[0,0,1]
	v_pk_fma_f32 v[132:133], v[120:121], v[158:159], v[132:133] op_sel_hi:[1,0,1]
	v_dual_mov_b32 v158, v122 :: v_dual_mov_b32 v159, v133
	s_wait_dscnt 0x0
	s_delay_alu instid0(VALU_DEP_2) | instskip(NEXT) | instid1(VALU_DEP_1)
	v_pk_mul_f32 v[138:139], v[134:135], v[132:133] op_sel:[0,1]
	v_pk_fma_f32 v[148:149], v[134:135], v[122:123], v[138:139] op_sel:[0,0,1] op_sel_hi:[1,1,0] neg_lo:[0,0,1] neg_hi:[0,0,1]
	v_pk_fma_f32 v[134:135], v[134:135], v[122:123], v[138:139] op_sel:[0,0,1] op_sel_hi:[1,0,0]
	s_delay_alu instid0(VALU_DEP_1) | instskip(SKIP_1) | instid1(VALU_DEP_1)
	v_mov_b32_e32 v149, v135
	v_pk_mul_f32 v[134:135], v[136:137], v[132:133] op_sel:[0,1]
	v_pk_fma_f32 v[138:139], v[136:137], v[122:123], v[134:135] op_sel:[0,0,1] op_sel_hi:[1,1,0] neg_lo:[0,0,1] neg_hi:[0,0,1]
	v_pk_fma_f32 v[134:135], v[136:137], v[122:123], v[134:135] op_sel:[0,0,1] op_sel_hi:[1,0,0]
	s_delay_alu instid0(VALU_DEP_1)
	v_mov_b32_e32 v139, v135
	ds_load_2addr_b64 v[134:137], v216 offset0:40 offset1:41
	v_pk_add_f32 v[160:161], v[160:161], v[148:149] neg_lo:[0,1] neg_hi:[0,1]
	v_pk_add_f32 v[156:157], v[156:157], v[138:139] neg_lo:[0,1] neg_hi:[0,1]
	s_wait_dscnt 0x0
	v_pk_mul_f32 v[138:139], v[134:135], v[132:133] op_sel:[0,1]
	s_delay_alu instid0(VALU_DEP_1) | instskip(SKIP_2) | instid1(VALU_DEP_2)
	v_pk_fma_f32 v[148:149], v[134:135], v[122:123], v[138:139] op_sel:[0,0,1] op_sel_hi:[1,1,0] neg_lo:[0,0,1] neg_hi:[0,0,1]
	v_pk_fma_f32 v[134:135], v[134:135], v[122:123], v[138:139] op_sel:[0,0,1] op_sel_hi:[1,0,0]
	v_dual_mul_f32 v138, v137, v133 :: v_dual_mov_b32 v134, v137
	v_dual_mov_b32 v149, v135 :: v_dual_mov_b32 v135, v136
	s_delay_alu instid0(VALU_DEP_2) | instskip(SKIP_1) | instid1(VALU_DEP_3)
	v_pk_fma_f32 v[138:139], v[136:137], v[158:159], v[138:139] op_sel_hi:[1,1,0] neg_lo:[0,0,1] neg_hi:[0,0,1]
	v_mul_f32_e32 v136, v137, v122
	v_pk_add_f32 v[178:179], v[178:179], v[148:149] neg_lo:[0,1] neg_hi:[0,1]
	s_delay_alu instid0(VALU_DEP_2) | instskip(NEXT) | instid1(VALU_DEP_1)
	v_pk_fma_f32 v[134:135], v[134:135], v[158:159], v[136:137] op_sel_hi:[1,1,0]
	v_mov_b32_e32 v139, v135
	ds_load_2addr_b64 v[134:137], v216 offset0:42 offset1:43
	v_pk_add_f32 v[174:175], v[174:175], v[138:139] neg_lo:[0,1] neg_hi:[0,1]
	s_wait_dscnt 0x0
	v_pk_mul_f32 v[138:139], v[134:135], v[132:133] op_sel:[0,1]
	s_delay_alu instid0(VALU_DEP_1) | instskip(SKIP_1) | instid1(VALU_DEP_1)
	v_pk_fma_f32 v[148:149], v[134:135], v[122:123], v[138:139] op_sel:[0,0,1] op_sel_hi:[1,1,0] neg_lo:[0,0,1] neg_hi:[0,0,1]
	v_pk_fma_f32 v[134:135], v[134:135], v[122:123], v[138:139] op_sel:[0,0,1] op_sel_hi:[1,0,0]
	v_mov_b32_e32 v149, v135
	v_pk_mul_f32 v[134:135], v[136:137], v[132:133] op_sel:[0,1]
	s_delay_alu instid0(VALU_DEP_1) | instskip(SKIP_1) | instid1(VALU_DEP_1)
	v_pk_fma_f32 v[138:139], v[136:137], v[122:123], v[134:135] op_sel:[0,0,1] op_sel_hi:[1,1,0] neg_lo:[0,0,1] neg_hi:[0,0,1]
	v_pk_fma_f32 v[134:135], v[136:137], v[122:123], v[134:135] op_sel:[0,0,1] op_sel_hi:[1,0,0]
	v_mov_b32_e32 v139, v135
	ds_load_2addr_b64 v[134:137], v216 offset0:44 offset1:45
	v_pk_add_f32 v[176:177], v[176:177], v[148:149] neg_lo:[0,1] neg_hi:[0,1]
	v_pk_add_f32 v[172:173], v[172:173], v[138:139] neg_lo:[0,1] neg_hi:[0,1]
	s_wait_dscnt 0x0
	v_pk_mul_f32 v[138:139], v[134:135], v[132:133] op_sel:[0,1]
	s_delay_alu instid0(VALU_DEP_1) | instskip(SKIP_1) | instid1(VALU_DEP_1)
	v_pk_fma_f32 v[148:149], v[134:135], v[122:123], v[138:139] op_sel:[0,0,1] op_sel_hi:[1,1,0] neg_lo:[0,0,1] neg_hi:[0,0,1]
	v_pk_fma_f32 v[134:135], v[134:135], v[122:123], v[138:139] op_sel:[0,0,1] op_sel_hi:[1,0,0]
	v_mov_b32_e32 v149, v135
	v_pk_mul_f32 v[134:135], v[136:137], v[132:133] op_sel:[0,1]
	s_delay_alu instid0(VALU_DEP_1) | instskip(SKIP_1) | instid1(VALU_DEP_1)
	v_pk_fma_f32 v[138:139], v[136:137], v[122:123], v[134:135] op_sel:[0,0,1] op_sel_hi:[1,1,0] neg_lo:[0,0,1] neg_hi:[0,0,1]
	v_pk_fma_f32 v[134:135], v[136:137], v[122:123], v[134:135] op_sel:[0,0,1] op_sel_hi:[1,0,0]
	v_mov_b32_e32 v139, v135
	ds_load_2addr_b64 v[134:137], v216 offset0:46 offset1:47
	v_pk_add_f32 v[194:195], v[194:195], v[148:149] neg_lo:[0,1] neg_hi:[0,1]
	v_pk_add_f32 v[190:191], v[190:191], v[138:139] neg_lo:[0,1] neg_hi:[0,1]
	s_wait_dscnt 0x0
	v_dual_mul_f32 v138, v135, v133 :: v_dual_mul_f32 v148, v135, v122
	s_delay_alu instid0(VALU_DEP_1) | instskip(NEXT) | instid1(VALU_DEP_2)
	v_pk_fma_f32 v[138:139], v[134:135], v[158:159], v[138:139] op_sel_hi:[1,1,0] neg_lo:[0,0,1] neg_hi:[0,0,1]
	v_pk_fma_f32 v[134:135], v[134:135], v[158:159], v[148:149] op_sel:[1,0,0] op_sel_hi:[0,1,0]
	s_delay_alu instid0(VALU_DEP_1) | instskip(SKIP_1) | instid1(VALU_DEP_2)
	v_mov_b32_e32 v139, v135
	v_pk_mul_f32 v[134:135], v[136:137], v[132:133] op_sel:[0,1]
	v_pk_add_f32 v[192:193], v[192:193], v[138:139] neg_lo:[0,1] neg_hi:[0,1]
	s_delay_alu instid0(VALU_DEP_2) | instskip(SKIP_1) | instid1(VALU_DEP_1)
	v_pk_fma_f32 v[138:139], v[136:137], v[122:123], v[134:135] op_sel:[0,0,1] op_sel_hi:[1,1,0] neg_lo:[0,0,1] neg_hi:[0,0,1]
	v_pk_fma_f32 v[134:135], v[136:137], v[122:123], v[134:135] op_sel:[0,0,1] op_sel_hi:[1,0,0]
	v_mov_b32_e32 v139, v135
	ds_load_2addr_b64 v[134:137], v216 offset0:48 offset1:49
	v_pk_add_f32 v[188:189], v[188:189], v[138:139] neg_lo:[0,1] neg_hi:[0,1]
	s_wait_dscnt 0x0
	v_pk_mul_f32 v[138:139], v[134:135], v[132:133] op_sel:[0,1]
	s_delay_alu instid0(VALU_DEP_1) | instskip(SKIP_1) | instid1(VALU_DEP_1)
	v_pk_fma_f32 v[148:149], v[134:135], v[122:123], v[138:139] op_sel:[0,0,1] op_sel_hi:[1,1,0] neg_lo:[0,0,1] neg_hi:[0,0,1]
	v_pk_fma_f32 v[134:135], v[134:135], v[122:123], v[138:139] op_sel:[0,0,1] op_sel_hi:[1,0,0]
	v_mov_b32_e32 v149, v135
	v_pk_mul_f32 v[134:135], v[136:137], v[132:133] op_sel:[0,1]
	s_delay_alu instid0(VALU_DEP_2) | instskip(NEXT) | instid1(VALU_DEP_2)
	v_pk_add_f32 v[214:215], v[214:215], v[148:149] neg_lo:[0,1] neg_hi:[0,1]
	v_pk_fma_f32 v[138:139], v[136:137], v[122:123], v[134:135] op_sel:[0,0,1] op_sel_hi:[1,1,0] neg_lo:[0,0,1] neg_hi:[0,0,1]
	v_pk_fma_f32 v[134:135], v[136:137], v[122:123], v[134:135] op_sel:[0,0,1] op_sel_hi:[1,0,0]
	s_delay_alu instid0(VALU_DEP_1) | instskip(SKIP_4) | instid1(VALU_DEP_1)
	v_mov_b32_e32 v139, v135
	ds_load_2addr_b64 v[134:137], v216 offset0:50 offset1:51
	v_pk_add_f32 v[210:211], v[210:211], v[138:139] neg_lo:[0,1] neg_hi:[0,1]
	s_wait_dscnt 0x0
	v_pk_mul_f32 v[138:139], v[134:135], v[132:133] op_sel:[0,1]
	v_pk_fma_f32 v[148:149], v[134:135], v[122:123], v[138:139] op_sel:[0,0,1] op_sel_hi:[1,1,0] neg_lo:[0,0,1] neg_hi:[0,0,1]
	v_pk_fma_f32 v[134:135], v[134:135], v[122:123], v[138:139] op_sel:[0,0,1] op_sel_hi:[1,0,0]
	v_dual_mul_f32 v138, v137, v133 :: v_dual_mov_b32 v134, v137
	s_delay_alu instid0(VALU_DEP_2) | instskip(NEXT) | instid1(VALU_DEP_2)
	v_dual_mov_b32 v149, v135 :: v_dual_mov_b32 v135, v136
	v_pk_fma_f32 v[138:139], v[136:137], v[158:159], v[138:139] op_sel_hi:[1,1,0] neg_lo:[0,0,1] neg_hi:[0,0,1]
	v_mul_f32_e32 v136, v137, v122
	s_delay_alu instid0(VALU_DEP_3) | instskip(NEXT) | instid1(VALU_DEP_2)
	v_pk_add_f32 v[212:213], v[212:213], v[148:149] neg_lo:[0,1] neg_hi:[0,1]
	v_pk_fma_f32 v[134:135], v[134:135], v[158:159], v[136:137] op_sel_hi:[1,1,0]
	s_delay_alu instid0(VALU_DEP_1) | instskip(SKIP_4) | instid1(VALU_DEP_1)
	v_mov_b32_e32 v139, v135
	ds_load_2addr_b64 v[134:137], v216 offset0:52 offset1:53
	v_pk_add_f32 v[208:209], v[208:209], v[138:139] neg_lo:[0,1] neg_hi:[0,1]
	s_wait_dscnt 0x0
	v_pk_mul_f32 v[138:139], v[134:135], v[132:133] op_sel:[0,1]
	v_pk_fma_f32 v[148:149], v[134:135], v[122:123], v[138:139] op_sel:[0,0,1] op_sel_hi:[1,1,0] neg_lo:[0,0,1] neg_hi:[0,0,1]
	v_pk_fma_f32 v[134:135], v[134:135], v[122:123], v[138:139] op_sel:[0,0,1] op_sel_hi:[1,0,0]
	s_delay_alu instid0(VALU_DEP_1) | instskip(SKIP_1) | instid1(VALU_DEP_1)
	v_mov_b32_e32 v149, v135
	v_pk_mul_f32 v[134:135], v[136:137], v[132:133] op_sel:[0,1]
	v_pk_fma_f32 v[138:139], v[136:137], v[122:123], v[134:135] op_sel:[0,0,1] op_sel_hi:[1,1,0] neg_lo:[0,0,1] neg_hi:[0,0,1]
	v_pk_fma_f32 v[134:135], v[136:137], v[122:123], v[134:135] op_sel:[0,0,1] op_sel_hi:[1,0,0]
	s_delay_alu instid0(VALU_DEP_1)
	v_mov_b32_e32 v139, v135
	ds_load_2addr_b64 v[134:137], v216 offset0:54 offset1:55
	v_pk_add_f32 v[236:237], v[236:237], v[148:149] neg_lo:[0,1] neg_hi:[0,1]
	v_pk_add_f32 v[230:231], v[230:231], v[138:139] neg_lo:[0,1] neg_hi:[0,1]
	s_wait_dscnt 0x0
	v_pk_mul_f32 v[138:139], v[134:135], v[132:133] op_sel:[0,1]
	s_delay_alu instid0(VALU_DEP_1) | instskip(SKIP_1) | instid1(VALU_DEP_1)
	v_pk_fma_f32 v[148:149], v[134:135], v[122:123], v[138:139] op_sel:[0,0,1] op_sel_hi:[1,1,0] neg_lo:[0,0,1] neg_hi:[0,0,1]
	v_pk_fma_f32 v[134:135], v[134:135], v[122:123], v[138:139] op_sel:[0,0,1] op_sel_hi:[1,0,0]
	v_mov_b32_e32 v149, v135
	v_pk_mul_f32 v[134:135], v[136:137], v[132:133] op_sel:[0,1]
	s_delay_alu instid0(VALU_DEP_1) | instskip(SKIP_1) | instid1(VALU_DEP_1)
	v_pk_fma_f32 v[138:139], v[136:137], v[122:123], v[134:135] op_sel:[0,0,1] op_sel_hi:[1,1,0] neg_lo:[0,0,1] neg_hi:[0,0,1]
	v_pk_fma_f32 v[134:135], v[136:137], v[122:123], v[134:135] op_sel:[0,0,1] op_sel_hi:[1,0,0]
	v_mov_b32_e32 v139, v135
	ds_load_2addr_b64 v[134:137], v216 offset0:56 offset1:57
	v_pk_add_f32 v[234:235], v[234:235], v[148:149] neg_lo:[0,1] neg_hi:[0,1]
	v_pk_add_f32 v[228:229], v[228:229], v[138:139] neg_lo:[0,1] neg_hi:[0,1]
	s_wait_dscnt 0x0
	v_dual_mul_f32 v138, v135, v133 :: v_dual_mul_f32 v148, v135, v122
	s_delay_alu instid0(VALU_DEP_1) | instskip(NEXT) | instid1(VALU_DEP_2)
	v_pk_fma_f32 v[138:139], v[134:135], v[158:159], v[138:139] op_sel_hi:[1,1,0] neg_lo:[0,0,1] neg_hi:[0,0,1]
	v_pk_fma_f32 v[134:135], v[134:135], v[158:159], v[148:149] op_sel:[1,0,0] op_sel_hi:[0,1,0]
	s_delay_alu instid0(VALU_DEP_1) | instskip(SKIP_1) | instid1(VALU_DEP_2)
	v_mov_b32_e32 v139, v135
	v_pk_mul_f32 v[134:135], v[136:137], v[132:133] op_sel:[0,1]
	v_pk_add_f32 v[232:233], v[232:233], v[138:139] neg_lo:[0,1] neg_hi:[0,1]
	s_delay_alu instid0(VALU_DEP_2) | instskip(SKIP_1) | instid1(VALU_DEP_1)
	v_pk_fma_f32 v[138:139], v[136:137], v[122:123], v[134:135] op_sel:[0,0,1] op_sel_hi:[1,1,0] neg_lo:[0,0,1] neg_hi:[0,0,1]
	v_pk_fma_f32 v[134:135], v[136:137], v[122:123], v[134:135] op_sel:[0,0,1] op_sel_hi:[1,0,0]
	v_mov_b32_e32 v139, v135
	ds_load_2addr_b64 v[134:137], v216 offset0:58 offset1:59
	v_pk_add_f32 v[226:227], v[226:227], v[138:139] neg_lo:[0,1] neg_hi:[0,1]
	s_wait_dscnt 0x0
	v_pk_mul_f32 v[138:139], v[134:135], v[132:133] op_sel:[0,1]
	v_pk_mul_f32 v[132:133], v[136:137], v[132:133] op_sel:[0,1]
	s_delay_alu instid0(VALU_DEP_2) | instskip(SKIP_1) | instid1(VALU_DEP_1)
	v_pk_fma_f32 v[148:149], v[134:135], v[122:123], v[138:139] op_sel:[0,0,1] op_sel_hi:[1,1,0] neg_lo:[0,0,1] neg_hi:[0,0,1]
	v_pk_fma_f32 v[134:135], v[134:135], v[122:123], v[138:139] op_sel:[0,0,1] op_sel_hi:[1,0,0]
	v_mov_b32_e32 v149, v135
	s_delay_alu instid0(VALU_DEP_4) | instskip(SKIP_1) | instid1(VALU_DEP_3)
	v_pk_fma_f32 v[134:135], v[136:137], v[122:123], v[132:133] op_sel:[0,0,1] op_sel_hi:[1,1,0] neg_lo:[0,0,1] neg_hi:[0,0,1]
	v_pk_fma_f32 v[122:123], v[136:137], v[122:123], v[132:133] op_sel:[0,0,1] op_sel_hi:[1,0,0]
	v_pk_add_f32 v[238:239], v[238:239], v[148:149] neg_lo:[0,1] neg_hi:[0,1]
	s_delay_alu instid0(VALU_DEP_2) | instskip(NEXT) | instid1(VALU_DEP_1)
	v_mov_b32_e32 v135, v123
	v_pk_add_f32 v[240:241], v[240:241], v[134:135] neg_lo:[0,1] neg_hi:[0,1]
.LBB119_343:
	s_or_b32 exec_lo, exec_lo, s1
	s_delay_alu instid0(SALU_CYCLE_1)
	s_mov_b32 s2, exec_lo
	s_wait_dscnt 0x0
	s_barrier_signal -1
	s_barrier_wait -1
	v_cmpx_eq_u32_e32 38, v206
	s_cbranch_execz .LBB119_350
; %bb.344:
	ds_store_b64 v207, v[160:161]
	ds_store_2addr_b64 v216, v[156:157], v[178:179] offset0:39 offset1:40
	ds_store_2addr_b64 v216, v[174:175], v[176:177] offset0:41 offset1:42
	;; [unrolled: 1-line block ×10, first 2 shown]
	ds_store_b64 v216, v[240:241] offset:472
	ds_load_b64 v[122:123], v207
	s_wait_dscnt 0x0
	v_cmp_neq_f32_e32 vcc_lo, 0, v122
	v_cmp_neq_f32_e64 s1, 0, v123
	s_or_b32 s1, vcc_lo, s1
	s_delay_alu instid0(SALU_CYCLE_1)
	s_and_b32 exec_lo, exec_lo, s1
	s_cbranch_execz .LBB119_350
; %bb.345:
	v_cmp_ngt_f32_e64 s1, |v122|, |v123|
                                        ; implicit-def: $vgpr132_vgpr133
	s_and_saveexec_b32 s4, s1
	s_delay_alu instid0(SALU_CYCLE_1)
	s_xor_b32 s1, exec_lo, s4
	s_cbranch_execz .LBB119_347
; %bb.346:
	v_div_scale_f32 v132, null, v123, v123, v122
	v_div_scale_f32 v135, vcc_lo, v122, v123, v122
	s_delay_alu instid0(VALU_DEP_2) | instskip(SKIP_1) | instid1(TRANS32_DEP_1)
	v_rcp_f32_e32 v133, v132
	v_nop
	v_fma_f32 v134, -v132, v133, 1.0
	s_delay_alu instid0(VALU_DEP_1) | instskip(NEXT) | instid1(VALU_DEP_1)
	v_fmac_f32_e32 v133, v134, v133
	v_mul_f32_e32 v134, v135, v133
	s_delay_alu instid0(VALU_DEP_1) | instskip(NEXT) | instid1(VALU_DEP_1)
	v_fma_f32 v136, -v132, v134, v135
	v_fmac_f32_e32 v134, v136, v133
	s_delay_alu instid0(VALU_DEP_1) | instskip(NEXT) | instid1(VALU_DEP_1)
	v_fma_f32 v132, -v132, v134, v135
	v_div_fmas_f32 v132, v132, v133, v134
	s_delay_alu instid0(VALU_DEP_1) | instskip(NEXT) | instid1(VALU_DEP_1)
	v_div_fixup_f32 v132, v132, v123, v122
	v_fmac_f32_e32 v123, v122, v132
	s_delay_alu instid0(VALU_DEP_1) | instskip(SKIP_1) | instid1(VALU_DEP_2)
	v_div_scale_f32 v122, null, v123, v123, 1.0
	v_div_scale_f32 v135, vcc_lo, 1.0, v123, 1.0
	v_rcp_f32_e32 v133, v122
	v_nop
	s_delay_alu instid0(TRANS32_DEP_1) | instskip(NEXT) | instid1(VALU_DEP_1)
	v_fma_f32 v134, -v122, v133, 1.0
	v_fmac_f32_e32 v133, v134, v133
	s_delay_alu instid0(VALU_DEP_1) | instskip(NEXT) | instid1(VALU_DEP_1)
	v_mul_f32_e32 v134, v135, v133
	v_fma_f32 v136, -v122, v134, v135
	s_delay_alu instid0(VALU_DEP_1) | instskip(NEXT) | instid1(VALU_DEP_1)
	v_fmac_f32_e32 v134, v136, v133
	v_fma_f32 v122, -v122, v134, v135
	s_delay_alu instid0(VALU_DEP_1) | instskip(NEXT) | instid1(VALU_DEP_1)
	v_div_fmas_f32 v122, v122, v133, v134
	v_div_fixup_f32 v122, v122, v123, 1.0
	s_delay_alu instid0(VALU_DEP_1)
	v_mul_f32_e32 v132, v132, v122
	v_xor_b32_e32 v133, 0x80000000, v122
                                        ; implicit-def: $vgpr122_vgpr123
.LBB119_347:
	s_and_not1_saveexec_b32 s1, s1
	s_cbranch_execz .LBB119_349
; %bb.348:
	v_div_scale_f32 v132, null, v122, v122, v123
	v_div_scale_f32 v135, vcc_lo, v123, v122, v123
	s_delay_alu instid0(VALU_DEP_2) | instskip(SKIP_1) | instid1(TRANS32_DEP_1)
	v_rcp_f32_e32 v133, v132
	v_nop
	v_fma_f32 v134, -v132, v133, 1.0
	s_delay_alu instid0(VALU_DEP_1) | instskip(NEXT) | instid1(VALU_DEP_1)
	v_fmac_f32_e32 v133, v134, v133
	v_mul_f32_e32 v134, v135, v133
	s_delay_alu instid0(VALU_DEP_1) | instskip(NEXT) | instid1(VALU_DEP_1)
	v_fma_f32 v136, -v132, v134, v135
	v_fmac_f32_e32 v134, v136, v133
	s_delay_alu instid0(VALU_DEP_1) | instskip(NEXT) | instid1(VALU_DEP_1)
	v_fma_f32 v132, -v132, v134, v135
	v_div_fmas_f32 v132, v132, v133, v134
	s_delay_alu instid0(VALU_DEP_1) | instskip(NEXT) | instid1(VALU_DEP_1)
	v_div_fixup_f32 v133, v132, v122, v123
	v_fmac_f32_e32 v122, v123, v133
	s_delay_alu instid0(VALU_DEP_1) | instskip(NEXT) | instid1(VALU_DEP_1)
	v_div_scale_f32 v123, null, v122, v122, 1.0
	v_rcp_f32_e32 v132, v123
	v_nop
	s_delay_alu instid0(TRANS32_DEP_1) | instskip(NEXT) | instid1(VALU_DEP_1)
	v_fma_f32 v134, -v123, v132, 1.0
	v_fmac_f32_e32 v132, v134, v132
	v_div_scale_f32 v134, vcc_lo, 1.0, v122, 1.0
	s_delay_alu instid0(VALU_DEP_1) | instskip(NEXT) | instid1(VALU_DEP_1)
	v_mul_f32_e32 v135, v134, v132
	v_fma_f32 v136, -v123, v135, v134
	s_delay_alu instid0(VALU_DEP_1) | instskip(NEXT) | instid1(VALU_DEP_1)
	v_fmac_f32_e32 v135, v136, v132
	v_fma_f32 v123, -v123, v135, v134
	s_delay_alu instid0(VALU_DEP_1) | instskip(NEXT) | instid1(VALU_DEP_1)
	v_div_fmas_f32 v123, v123, v132, v135
	v_div_fixup_f32 v132, v123, v122, 1.0
	s_delay_alu instid0(VALU_DEP_1)
	v_mul_f32_e64 v133, v133, -v132
.LBB119_349:
	s_or_b32 exec_lo, exec_lo, s1
	ds_store_b64 v207, v[132:133]
.LBB119_350:
	s_or_b32 exec_lo, exec_lo, s2
	s_wait_dscnt 0x0
	s_barrier_signal -1
	s_barrier_wait -1
	ds_load_b64 v[122:123], v207
	s_mov_b32 s1, exec_lo
	v_cmpx_lt_u32_e32 38, v206
	s_cbranch_execz .LBB119_352
; %bb.351:
	ds_load_2addr_b64 v[136:139], v216 offset0:39 offset1:40
	s_wait_dscnt 0x1
	v_pk_mul_f32 v[134:135], v[122:123], v[160:161] op_sel:[1,1] op_sel_hi:[0,1]
	s_delay_alu instid0(VALU_DEP_1) | instskip(SKIP_1) | instid1(VALU_DEP_1)
	v_pk_fma_f32 v[132:133], v[122:123], v[160:161], v[134:135] op_sel_hi:[1,0,1] neg_lo:[0,0,1] neg_hi:[0,0,1]
	v_pk_fma_f32 v[134:135], v[122:123], v[160:161], v[134:135] op_sel_hi:[1,0,1]
	v_dual_mov_b32 v160, v132 :: v_dual_mov_b32 v161, v135
	s_wait_dscnt 0x0
	s_delay_alu instid0(VALU_DEP_2) | instskip(NEXT) | instid1(VALU_DEP_1)
	v_pk_mul_f32 v[148:149], v[136:137], v[134:135] op_sel:[0,1]
	v_pk_fma_f32 v[150:151], v[136:137], v[132:133], v[148:149] op_sel:[0,0,1] op_sel_hi:[1,1,0] neg_lo:[0,0,1] neg_hi:[0,0,1]
	v_pk_fma_f32 v[136:137], v[136:137], v[132:133], v[148:149] op_sel:[0,0,1] op_sel_hi:[1,0,0]
	s_delay_alu instid0(VALU_DEP_1) | instskip(SKIP_1) | instid1(VALU_DEP_1)
	v_mov_b32_e32 v151, v137
	v_pk_mul_f32 v[136:137], v[138:139], v[134:135] op_sel:[0,1]
	v_pk_fma_f32 v[148:149], v[138:139], v[132:133], v[136:137] op_sel:[0,0,1] op_sel_hi:[1,1,0] neg_lo:[0,0,1] neg_hi:[0,0,1]
	v_pk_fma_f32 v[136:137], v[138:139], v[132:133], v[136:137] op_sel:[0,0,1] op_sel_hi:[1,0,0]
	s_delay_alu instid0(VALU_DEP_1)
	v_mov_b32_e32 v149, v137
	ds_load_2addr_b64 v[136:139], v216 offset0:41 offset1:42
	v_pk_add_f32 v[156:157], v[156:157], v[150:151] neg_lo:[0,1] neg_hi:[0,1]
	v_pk_add_f32 v[178:179], v[178:179], v[148:149] neg_lo:[0,1] neg_hi:[0,1]
	s_wait_dscnt 0x0
	v_pk_mul_f32 v[148:149], v[136:137], v[134:135] op_sel:[0,1]
	s_delay_alu instid0(VALU_DEP_1) | instskip(SKIP_2) | instid1(VALU_DEP_2)
	v_pk_fma_f32 v[150:151], v[136:137], v[132:133], v[148:149] op_sel:[0,0,1] op_sel_hi:[1,1,0] neg_lo:[0,0,1] neg_hi:[0,0,1]
	v_pk_fma_f32 v[136:137], v[136:137], v[132:133], v[148:149] op_sel:[0,0,1] op_sel_hi:[1,0,0]
	v_dual_mul_f32 v148, v139, v135 :: v_dual_mov_b32 v136, v139
	v_dual_mov_b32 v151, v137 :: v_dual_mov_b32 v137, v138
	s_delay_alu instid0(VALU_DEP_2) | instskip(SKIP_1) | instid1(VALU_DEP_3)
	v_pk_fma_f32 v[148:149], v[138:139], v[160:161], v[148:149] op_sel_hi:[1,1,0] neg_lo:[0,0,1] neg_hi:[0,0,1]
	v_mul_f32_e32 v138, v139, v132
	v_pk_add_f32 v[174:175], v[174:175], v[150:151] neg_lo:[0,1] neg_hi:[0,1]
	s_delay_alu instid0(VALU_DEP_2) | instskip(NEXT) | instid1(VALU_DEP_1)
	v_pk_fma_f32 v[136:137], v[136:137], v[160:161], v[138:139] op_sel_hi:[1,1,0]
	v_mov_b32_e32 v149, v137
	ds_load_2addr_b64 v[136:139], v216 offset0:43 offset1:44
	v_pk_add_f32 v[176:177], v[176:177], v[148:149] neg_lo:[0,1] neg_hi:[0,1]
	s_wait_dscnt 0x0
	v_pk_mul_f32 v[148:149], v[136:137], v[134:135] op_sel:[0,1]
	s_delay_alu instid0(VALU_DEP_1) | instskip(SKIP_1) | instid1(VALU_DEP_1)
	v_pk_fma_f32 v[150:151], v[136:137], v[132:133], v[148:149] op_sel:[0,0,1] op_sel_hi:[1,1,0] neg_lo:[0,0,1] neg_hi:[0,0,1]
	v_pk_fma_f32 v[136:137], v[136:137], v[132:133], v[148:149] op_sel:[0,0,1] op_sel_hi:[1,0,0]
	v_mov_b32_e32 v151, v137
	v_pk_mul_f32 v[136:137], v[138:139], v[134:135] op_sel:[0,1]
	s_delay_alu instid0(VALU_DEP_1) | instskip(SKIP_1) | instid1(VALU_DEP_1)
	v_pk_fma_f32 v[148:149], v[138:139], v[132:133], v[136:137] op_sel:[0,0,1] op_sel_hi:[1,1,0] neg_lo:[0,0,1] neg_hi:[0,0,1]
	v_pk_fma_f32 v[136:137], v[138:139], v[132:133], v[136:137] op_sel:[0,0,1] op_sel_hi:[1,0,0]
	v_mov_b32_e32 v149, v137
	ds_load_2addr_b64 v[136:139], v216 offset0:45 offset1:46
	v_pk_add_f32 v[172:173], v[172:173], v[150:151] neg_lo:[0,1] neg_hi:[0,1]
	v_pk_add_f32 v[194:195], v[194:195], v[148:149] neg_lo:[0,1] neg_hi:[0,1]
	s_wait_dscnt 0x0
	v_pk_mul_f32 v[148:149], v[136:137], v[134:135] op_sel:[0,1]
	s_delay_alu instid0(VALU_DEP_1) | instskip(SKIP_1) | instid1(VALU_DEP_1)
	v_pk_fma_f32 v[150:151], v[136:137], v[132:133], v[148:149] op_sel:[0,0,1] op_sel_hi:[1,1,0] neg_lo:[0,0,1] neg_hi:[0,0,1]
	v_pk_fma_f32 v[136:137], v[136:137], v[132:133], v[148:149] op_sel:[0,0,1] op_sel_hi:[1,0,0]
	v_mov_b32_e32 v151, v137
	v_pk_mul_f32 v[136:137], v[138:139], v[134:135] op_sel:[0,1]
	s_delay_alu instid0(VALU_DEP_1) | instskip(SKIP_1) | instid1(VALU_DEP_1)
	v_pk_fma_f32 v[148:149], v[138:139], v[132:133], v[136:137] op_sel:[0,0,1] op_sel_hi:[1,1,0] neg_lo:[0,0,1] neg_hi:[0,0,1]
	v_pk_fma_f32 v[136:137], v[138:139], v[132:133], v[136:137] op_sel:[0,0,1] op_sel_hi:[1,0,0]
	v_mov_b32_e32 v149, v137
	ds_load_2addr_b64 v[136:139], v216 offset0:47 offset1:48
	v_pk_add_f32 v[190:191], v[190:191], v[150:151] neg_lo:[0,1] neg_hi:[0,1]
	v_pk_add_f32 v[192:193], v[192:193], v[148:149] neg_lo:[0,1] neg_hi:[0,1]
	s_wait_dscnt 0x0
	v_dual_mul_f32 v148, v137, v135 :: v_dual_mul_f32 v150, v137, v132
	s_delay_alu instid0(VALU_DEP_1) | instskip(NEXT) | instid1(VALU_DEP_2)
	v_pk_fma_f32 v[148:149], v[136:137], v[160:161], v[148:149] op_sel_hi:[1,1,0] neg_lo:[0,0,1] neg_hi:[0,0,1]
	v_pk_fma_f32 v[136:137], v[136:137], v[160:161], v[150:151] op_sel:[1,0,0] op_sel_hi:[0,1,0]
	s_delay_alu instid0(VALU_DEP_1) | instskip(SKIP_1) | instid1(VALU_DEP_2)
	v_mov_b32_e32 v149, v137
	v_pk_mul_f32 v[136:137], v[138:139], v[134:135] op_sel:[0,1]
	v_pk_add_f32 v[188:189], v[188:189], v[148:149] neg_lo:[0,1] neg_hi:[0,1]
	s_delay_alu instid0(VALU_DEP_2) | instskip(SKIP_1) | instid1(VALU_DEP_1)
	v_pk_fma_f32 v[148:149], v[138:139], v[132:133], v[136:137] op_sel:[0,0,1] op_sel_hi:[1,1,0] neg_lo:[0,0,1] neg_hi:[0,0,1]
	v_pk_fma_f32 v[136:137], v[138:139], v[132:133], v[136:137] op_sel:[0,0,1] op_sel_hi:[1,0,0]
	v_mov_b32_e32 v149, v137
	ds_load_2addr_b64 v[136:139], v216 offset0:49 offset1:50
	v_pk_add_f32 v[214:215], v[214:215], v[148:149] neg_lo:[0,1] neg_hi:[0,1]
	s_wait_dscnt 0x0
	v_pk_mul_f32 v[148:149], v[136:137], v[134:135] op_sel:[0,1]
	s_delay_alu instid0(VALU_DEP_1) | instskip(SKIP_1) | instid1(VALU_DEP_1)
	v_pk_fma_f32 v[150:151], v[136:137], v[132:133], v[148:149] op_sel:[0,0,1] op_sel_hi:[1,1,0] neg_lo:[0,0,1] neg_hi:[0,0,1]
	v_pk_fma_f32 v[136:137], v[136:137], v[132:133], v[148:149] op_sel:[0,0,1] op_sel_hi:[1,0,0]
	v_mov_b32_e32 v151, v137
	v_pk_mul_f32 v[136:137], v[138:139], v[134:135] op_sel:[0,1]
	s_delay_alu instid0(VALU_DEP_2) | instskip(NEXT) | instid1(VALU_DEP_2)
	v_pk_add_f32 v[210:211], v[210:211], v[150:151] neg_lo:[0,1] neg_hi:[0,1]
	v_pk_fma_f32 v[148:149], v[138:139], v[132:133], v[136:137] op_sel:[0,0,1] op_sel_hi:[1,1,0] neg_lo:[0,0,1] neg_hi:[0,0,1]
	v_pk_fma_f32 v[136:137], v[138:139], v[132:133], v[136:137] op_sel:[0,0,1] op_sel_hi:[1,0,0]
	s_delay_alu instid0(VALU_DEP_1) | instskip(SKIP_4) | instid1(VALU_DEP_1)
	v_mov_b32_e32 v149, v137
	ds_load_2addr_b64 v[136:139], v216 offset0:51 offset1:52
	v_pk_add_f32 v[212:213], v[212:213], v[148:149] neg_lo:[0,1] neg_hi:[0,1]
	s_wait_dscnt 0x0
	v_pk_mul_f32 v[148:149], v[136:137], v[134:135] op_sel:[0,1]
	v_pk_fma_f32 v[150:151], v[136:137], v[132:133], v[148:149] op_sel:[0,0,1] op_sel_hi:[1,1,0] neg_lo:[0,0,1] neg_hi:[0,0,1]
	v_pk_fma_f32 v[136:137], v[136:137], v[132:133], v[148:149] op_sel:[0,0,1] op_sel_hi:[1,0,0]
	v_dual_mul_f32 v148, v139, v135 :: v_dual_mov_b32 v136, v139
	s_delay_alu instid0(VALU_DEP_2) | instskip(NEXT) | instid1(VALU_DEP_2)
	v_dual_mov_b32 v151, v137 :: v_dual_mov_b32 v137, v138
	v_pk_fma_f32 v[148:149], v[138:139], v[160:161], v[148:149] op_sel_hi:[1,1,0] neg_lo:[0,0,1] neg_hi:[0,0,1]
	v_mul_f32_e32 v138, v139, v132
	s_delay_alu instid0(VALU_DEP_3) | instskip(NEXT) | instid1(VALU_DEP_2)
	v_pk_add_f32 v[208:209], v[208:209], v[150:151] neg_lo:[0,1] neg_hi:[0,1]
	v_pk_fma_f32 v[136:137], v[136:137], v[160:161], v[138:139] op_sel_hi:[1,1,0]
	s_delay_alu instid0(VALU_DEP_1) | instskip(SKIP_4) | instid1(VALU_DEP_1)
	v_mov_b32_e32 v149, v137
	ds_load_2addr_b64 v[136:139], v216 offset0:53 offset1:54
	v_pk_add_f32 v[236:237], v[236:237], v[148:149] neg_lo:[0,1] neg_hi:[0,1]
	s_wait_dscnt 0x0
	v_pk_mul_f32 v[148:149], v[136:137], v[134:135] op_sel:[0,1]
	v_pk_fma_f32 v[150:151], v[136:137], v[132:133], v[148:149] op_sel:[0,0,1] op_sel_hi:[1,1,0] neg_lo:[0,0,1] neg_hi:[0,0,1]
	v_pk_fma_f32 v[136:137], v[136:137], v[132:133], v[148:149] op_sel:[0,0,1] op_sel_hi:[1,0,0]
	s_delay_alu instid0(VALU_DEP_1) | instskip(SKIP_1) | instid1(VALU_DEP_1)
	v_mov_b32_e32 v151, v137
	v_pk_mul_f32 v[136:137], v[138:139], v[134:135] op_sel:[0,1]
	v_pk_fma_f32 v[148:149], v[138:139], v[132:133], v[136:137] op_sel:[0,0,1] op_sel_hi:[1,1,0] neg_lo:[0,0,1] neg_hi:[0,0,1]
	v_pk_fma_f32 v[136:137], v[138:139], v[132:133], v[136:137] op_sel:[0,0,1] op_sel_hi:[1,0,0]
	s_delay_alu instid0(VALU_DEP_1)
	v_mov_b32_e32 v149, v137
	ds_load_2addr_b64 v[136:139], v216 offset0:55 offset1:56
	v_pk_add_f32 v[230:231], v[230:231], v[150:151] neg_lo:[0,1] neg_hi:[0,1]
	v_pk_add_f32 v[234:235], v[234:235], v[148:149] neg_lo:[0,1] neg_hi:[0,1]
	s_wait_dscnt 0x0
	v_pk_mul_f32 v[148:149], v[136:137], v[134:135] op_sel:[0,1]
	s_delay_alu instid0(VALU_DEP_1) | instskip(SKIP_1) | instid1(VALU_DEP_1)
	v_pk_fma_f32 v[150:151], v[136:137], v[132:133], v[148:149] op_sel:[0,0,1] op_sel_hi:[1,1,0] neg_lo:[0,0,1] neg_hi:[0,0,1]
	v_pk_fma_f32 v[136:137], v[136:137], v[132:133], v[148:149] op_sel:[0,0,1] op_sel_hi:[1,0,0]
	v_mov_b32_e32 v151, v137
	v_pk_mul_f32 v[136:137], v[138:139], v[134:135] op_sel:[0,1]
	s_delay_alu instid0(VALU_DEP_1) | instskip(SKIP_1) | instid1(VALU_DEP_1)
	v_pk_fma_f32 v[148:149], v[138:139], v[132:133], v[136:137] op_sel:[0,0,1] op_sel_hi:[1,1,0] neg_lo:[0,0,1] neg_hi:[0,0,1]
	v_pk_fma_f32 v[136:137], v[138:139], v[132:133], v[136:137] op_sel:[0,0,1] op_sel_hi:[1,0,0]
	v_mov_b32_e32 v149, v137
	ds_load_2addr_b64 v[136:139], v216 offset0:57 offset1:58
	v_pk_add_f32 v[228:229], v[228:229], v[150:151] neg_lo:[0,1] neg_hi:[0,1]
	v_pk_add_f32 v[232:233], v[232:233], v[148:149] neg_lo:[0,1] neg_hi:[0,1]
	s_wait_dscnt 0x0
	v_dual_mul_f32 v148, v137, v135 :: v_dual_mul_f32 v150, v137, v132
	s_delay_alu instid0(VALU_DEP_1) | instskip(NEXT) | instid1(VALU_DEP_2)
	v_pk_fma_f32 v[148:149], v[136:137], v[160:161], v[148:149] op_sel_hi:[1,1,0] neg_lo:[0,0,1] neg_hi:[0,0,1]
	v_pk_fma_f32 v[136:137], v[136:137], v[160:161], v[150:151] op_sel:[1,0,0] op_sel_hi:[0,1,0]
	s_delay_alu instid0(VALU_DEP_1) | instskip(SKIP_1) | instid1(VALU_DEP_2)
	v_mov_b32_e32 v149, v137
	v_pk_mul_f32 v[136:137], v[138:139], v[134:135] op_sel:[0,1]
	v_pk_add_f32 v[226:227], v[226:227], v[148:149] neg_lo:[0,1] neg_hi:[0,1]
	s_delay_alu instid0(VALU_DEP_2) | instskip(SKIP_1) | instid1(VALU_DEP_1)
	v_pk_fma_f32 v[148:149], v[138:139], v[132:133], v[136:137] op_sel:[0,0,1] op_sel_hi:[1,1,0] neg_lo:[0,0,1] neg_hi:[0,0,1]
	v_pk_fma_f32 v[136:137], v[138:139], v[132:133], v[136:137] op_sel:[0,0,1] op_sel_hi:[1,0,0]
	v_mov_b32_e32 v149, v137
	ds_load_b64 v[136:137], v216 offset:472
	v_pk_add_f32 v[238:239], v[238:239], v[148:149] neg_lo:[0,1] neg_hi:[0,1]
	s_wait_dscnt 0x0
	v_pk_mul_f32 v[134:135], v[136:137], v[134:135] op_sel:[0,1]
	s_delay_alu instid0(VALU_DEP_1) | instskip(SKIP_1) | instid1(VALU_DEP_1)
	v_pk_fma_f32 v[138:139], v[136:137], v[132:133], v[134:135] op_sel:[0,0,1] op_sel_hi:[1,1,0] neg_lo:[0,0,1] neg_hi:[0,0,1]
	v_pk_fma_f32 v[132:133], v[136:137], v[132:133], v[134:135] op_sel:[0,0,1] op_sel_hi:[1,0,0]
	v_mov_b32_e32 v139, v133
	s_delay_alu instid0(VALU_DEP_1)
	v_pk_add_f32 v[240:241], v[240:241], v[138:139] neg_lo:[0,1] neg_hi:[0,1]
.LBB119_352:
	s_or_b32 exec_lo, exec_lo, s1
	s_delay_alu instid0(SALU_CYCLE_1)
	s_mov_b32 s2, exec_lo
	s_wait_dscnt 0x0
	s_barrier_signal -1
	s_barrier_wait -1
	v_cmpx_eq_u32_e32 39, v206
	s_cbranch_execz .LBB119_359
; %bb.353:
	v_dual_mov_b32 v132, v178 :: v_dual_mov_b32 v133, v179
	v_dual_mov_b32 v134, v174 :: v_dual_mov_b32 v135, v175
	ds_store_b64 v207, v[156:157]
	ds_store_2addr_b64 v216, v[132:133], v[134:135] offset0:40 offset1:41
	v_dual_mov_b32 v132, v176 :: v_dual_mov_b32 v133, v177
	v_dual_mov_b32 v134, v172 :: v_dual_mov_b32 v135, v173
	ds_store_2addr_b64 v216, v[132:133], v[134:135] offset0:42 offset1:43
	v_dual_mov_b32 v132, v194 :: v_dual_mov_b32 v133, v195
	v_dual_mov_b32 v134, v190 :: v_dual_mov_b32 v135, v191
	;; [unrolled: 3-line block ×8, first 2 shown]
	ds_store_2addr_b64 v216, v[132:133], v[134:135] offset0:56 offset1:57
	v_dual_mov_b32 v132, v238 :: v_dual_mov_b32 v133, v239
	ds_store_2addr_b64 v216, v[132:133], v[240:241] offset0:58 offset1:59
	ds_load_b64 v[132:133], v207
	s_wait_dscnt 0x0
	v_cmp_neq_f32_e32 vcc_lo, 0, v132
	v_cmp_neq_f32_e64 s1, 0, v133
	s_or_b32 s1, vcc_lo, s1
	s_delay_alu instid0(SALU_CYCLE_1)
	s_and_b32 exec_lo, exec_lo, s1
	s_cbranch_execz .LBB119_359
; %bb.354:
	v_cmp_ngt_f32_e64 s1, |v132|, |v133|
                                        ; implicit-def: $vgpr134_vgpr135
	s_and_saveexec_b32 s4, s1
	s_delay_alu instid0(SALU_CYCLE_1)
	s_xor_b32 s1, exec_lo, s4
	s_cbranch_execz .LBB119_356
; %bb.355:
	v_div_scale_f32 v134, null, v133, v133, v132
	v_div_scale_f32 v137, vcc_lo, v132, v133, v132
	s_delay_alu instid0(VALU_DEP_2) | instskip(SKIP_1) | instid1(TRANS32_DEP_1)
	v_rcp_f32_e32 v135, v134
	v_nop
	v_fma_f32 v136, -v134, v135, 1.0
	s_delay_alu instid0(VALU_DEP_1) | instskip(NEXT) | instid1(VALU_DEP_1)
	v_fmac_f32_e32 v135, v136, v135
	v_mul_f32_e32 v136, v137, v135
	s_delay_alu instid0(VALU_DEP_1) | instskip(NEXT) | instid1(VALU_DEP_1)
	v_fma_f32 v138, -v134, v136, v137
	v_fmac_f32_e32 v136, v138, v135
	s_delay_alu instid0(VALU_DEP_1) | instskip(NEXT) | instid1(VALU_DEP_1)
	v_fma_f32 v134, -v134, v136, v137
	v_div_fmas_f32 v134, v134, v135, v136
	s_delay_alu instid0(VALU_DEP_1) | instskip(NEXT) | instid1(VALU_DEP_1)
	v_div_fixup_f32 v134, v134, v133, v132
	v_fmac_f32_e32 v133, v132, v134
	s_delay_alu instid0(VALU_DEP_1) | instskip(SKIP_1) | instid1(VALU_DEP_2)
	v_div_scale_f32 v132, null, v133, v133, 1.0
	v_div_scale_f32 v137, vcc_lo, 1.0, v133, 1.0
	v_rcp_f32_e32 v135, v132
	v_nop
	s_delay_alu instid0(TRANS32_DEP_1) | instskip(NEXT) | instid1(VALU_DEP_1)
	v_fma_f32 v136, -v132, v135, 1.0
	v_fmac_f32_e32 v135, v136, v135
	s_delay_alu instid0(VALU_DEP_1) | instskip(NEXT) | instid1(VALU_DEP_1)
	v_mul_f32_e32 v136, v137, v135
	v_fma_f32 v138, -v132, v136, v137
	s_delay_alu instid0(VALU_DEP_1) | instskip(NEXT) | instid1(VALU_DEP_1)
	v_fmac_f32_e32 v136, v138, v135
	v_fma_f32 v132, -v132, v136, v137
	s_delay_alu instid0(VALU_DEP_1) | instskip(NEXT) | instid1(VALU_DEP_1)
	v_div_fmas_f32 v132, v132, v135, v136
	v_div_fixup_f32 v132, v132, v133, 1.0
	s_delay_alu instid0(VALU_DEP_1)
	v_mul_f32_e32 v134, v134, v132
	v_xor_b32_e32 v135, 0x80000000, v132
                                        ; implicit-def: $vgpr132_vgpr133
.LBB119_356:
	s_and_not1_saveexec_b32 s1, s1
	s_cbranch_execz .LBB119_358
; %bb.357:
	v_div_scale_f32 v134, null, v132, v132, v133
	v_div_scale_f32 v137, vcc_lo, v133, v132, v133
	s_delay_alu instid0(VALU_DEP_2) | instskip(SKIP_1) | instid1(TRANS32_DEP_1)
	v_rcp_f32_e32 v135, v134
	v_nop
	v_fma_f32 v136, -v134, v135, 1.0
	s_delay_alu instid0(VALU_DEP_1) | instskip(NEXT) | instid1(VALU_DEP_1)
	v_fmac_f32_e32 v135, v136, v135
	v_mul_f32_e32 v136, v137, v135
	s_delay_alu instid0(VALU_DEP_1) | instskip(NEXT) | instid1(VALU_DEP_1)
	v_fma_f32 v138, -v134, v136, v137
	v_fmac_f32_e32 v136, v138, v135
	s_delay_alu instid0(VALU_DEP_1) | instskip(NEXT) | instid1(VALU_DEP_1)
	v_fma_f32 v134, -v134, v136, v137
	v_div_fmas_f32 v134, v134, v135, v136
	s_delay_alu instid0(VALU_DEP_1) | instskip(NEXT) | instid1(VALU_DEP_1)
	v_div_fixup_f32 v135, v134, v132, v133
	v_fmac_f32_e32 v132, v133, v135
	s_delay_alu instid0(VALU_DEP_1) | instskip(NEXT) | instid1(VALU_DEP_1)
	v_div_scale_f32 v133, null, v132, v132, 1.0
	v_rcp_f32_e32 v134, v133
	v_nop
	s_delay_alu instid0(TRANS32_DEP_1) | instskip(NEXT) | instid1(VALU_DEP_1)
	v_fma_f32 v136, -v133, v134, 1.0
	v_fmac_f32_e32 v134, v136, v134
	v_div_scale_f32 v136, vcc_lo, 1.0, v132, 1.0
	s_delay_alu instid0(VALU_DEP_1) | instskip(NEXT) | instid1(VALU_DEP_1)
	v_mul_f32_e32 v137, v136, v134
	v_fma_f32 v138, -v133, v137, v136
	s_delay_alu instid0(VALU_DEP_1) | instskip(NEXT) | instid1(VALU_DEP_1)
	v_fmac_f32_e32 v137, v138, v134
	v_fma_f32 v133, -v133, v137, v136
	s_delay_alu instid0(VALU_DEP_1) | instskip(NEXT) | instid1(VALU_DEP_1)
	v_div_fmas_f32 v133, v133, v134, v137
	v_div_fixup_f32 v134, v133, v132, 1.0
	s_delay_alu instid0(VALU_DEP_1)
	v_mul_f32_e64 v135, v135, -v134
.LBB119_358:
	s_or_b32 exec_lo, exec_lo, s1
	ds_store_b64 v207, v[134:135]
.LBB119_359:
	s_or_b32 exec_lo, exec_lo, s2
	s_wait_dscnt 0x0
	s_barrier_signal -1
	s_barrier_wait -1
	ds_load_b64 v[132:133], v207
	s_mov_b32 s1, exec_lo
	v_cmpx_lt_u32_e32 39, v206
	s_cbranch_execz .LBB119_361
; %bb.360:
	ds_load_2addr_b64 v[148:151], v216 offset0:40 offset1:41
	s_wait_dscnt 0x1
	v_pk_mul_f32 v[136:137], v[132:133], v[156:157] op_sel:[1,1] op_sel_hi:[0,1]
	s_delay_alu instid0(VALU_DEP_1) | instskip(SKIP_1) | instid1(VALU_DEP_1)
	v_pk_fma_f32 v[134:135], v[132:133], v[156:157], v[136:137] op_sel_hi:[1,0,1] neg_lo:[0,0,1] neg_hi:[0,0,1]
	v_pk_fma_f32 v[136:137], v[132:133], v[156:157], v[136:137] op_sel_hi:[1,0,1]
	v_dual_mov_b32 v156, v134 :: v_dual_mov_b32 v157, v137
	s_wait_dscnt 0x0
	s_delay_alu instid0(VALU_DEP_2) | instskip(NEXT) | instid1(VALU_DEP_1)
	v_pk_mul_f32 v[138:139], v[148:149], v[136:137] op_sel:[0,1]
	v_pk_fma_f32 v[152:153], v[148:149], v[134:135], v[138:139] op_sel:[0,0,1] op_sel_hi:[1,1,0] neg_lo:[0,0,1] neg_hi:[0,0,1]
	v_pk_fma_f32 v[138:139], v[148:149], v[134:135], v[138:139] op_sel:[0,0,1] op_sel_hi:[1,0,0]
	s_delay_alu instid0(VALU_DEP_1) | instskip(SKIP_1) | instid1(VALU_DEP_1)
	v_mov_b32_e32 v153, v139
	v_pk_mul_f32 v[138:139], v[150:151], v[136:137] op_sel:[0,1]
	v_pk_fma_f32 v[148:149], v[150:151], v[134:135], v[138:139] op_sel:[0,0,1] op_sel_hi:[1,1,0] neg_lo:[0,0,1] neg_hi:[0,0,1]
	v_pk_fma_f32 v[138:139], v[150:151], v[134:135], v[138:139] op_sel:[0,0,1] op_sel_hi:[1,0,0]
	s_delay_alu instid0(VALU_DEP_1) | instskip(SKIP_1) | instid1(VALU_DEP_2)
	v_mov_b32_e32 v149, v139
	v_pk_add_f32 v[178:179], v[178:179], v[152:153] neg_lo:[0,1] neg_hi:[0,1]
	v_pk_add_f32 v[174:175], v[174:175], v[148:149] neg_lo:[0,1] neg_hi:[0,1]
	ds_load_2addr_b64 v[148:151], v216 offset0:42 offset1:43
	s_wait_dscnt 0x0
	v_pk_mul_f32 v[138:139], v[148:149], v[136:137] op_sel:[0,1]
	s_delay_alu instid0(VALU_DEP_1) | instskip(SKIP_2) | instid1(VALU_DEP_2)
	v_pk_fma_f32 v[152:153], v[148:149], v[134:135], v[138:139] op_sel:[0,0,1] op_sel_hi:[1,1,0] neg_lo:[0,0,1] neg_hi:[0,0,1]
	v_pk_fma_f32 v[138:139], v[148:149], v[134:135], v[138:139] op_sel:[0,0,1] op_sel_hi:[1,0,0]
	v_dual_mul_f32 v148, v151, v137 :: v_dual_mov_b32 v138, v151
	v_dual_mov_b32 v153, v139 :: v_dual_mov_b32 v139, v150
	s_delay_alu instid0(VALU_DEP_2) | instskip(SKIP_1) | instid1(VALU_DEP_3)
	v_pk_fma_f32 v[148:149], v[150:151], v[156:157], v[148:149] op_sel_hi:[1,1,0] neg_lo:[0,0,1] neg_hi:[0,0,1]
	v_mul_f32_e32 v150, v151, v134
	v_pk_add_f32 v[176:177], v[176:177], v[152:153] neg_lo:[0,1] neg_hi:[0,1]
	s_delay_alu instid0(VALU_DEP_2) | instskip(NEXT) | instid1(VALU_DEP_1)
	v_pk_fma_f32 v[138:139], v[138:139], v[156:157], v[150:151] op_sel_hi:[1,1,0]
	v_mov_b32_e32 v149, v139
	s_delay_alu instid0(VALU_DEP_1) | instskip(SKIP_3) | instid1(VALU_DEP_1)
	v_pk_add_f32 v[172:173], v[172:173], v[148:149] neg_lo:[0,1] neg_hi:[0,1]
	ds_load_2addr_b64 v[148:151], v216 offset0:44 offset1:45
	s_wait_dscnt 0x0
	v_pk_mul_f32 v[138:139], v[148:149], v[136:137] op_sel:[0,1]
	v_pk_fma_f32 v[152:153], v[148:149], v[134:135], v[138:139] op_sel:[0,0,1] op_sel_hi:[1,1,0] neg_lo:[0,0,1] neg_hi:[0,0,1]
	v_pk_fma_f32 v[138:139], v[148:149], v[134:135], v[138:139] op_sel:[0,0,1] op_sel_hi:[1,0,0]
	s_delay_alu instid0(VALU_DEP_1) | instskip(SKIP_1) | instid1(VALU_DEP_2)
	v_mov_b32_e32 v153, v139
	v_pk_mul_f32 v[138:139], v[150:151], v[136:137] op_sel:[0,1]
	v_pk_add_f32 v[194:195], v[194:195], v[152:153] neg_lo:[0,1] neg_hi:[0,1]
	s_delay_alu instid0(VALU_DEP_2) | instskip(SKIP_1) | instid1(VALU_DEP_1)
	v_pk_fma_f32 v[148:149], v[150:151], v[134:135], v[138:139] op_sel:[0,0,1] op_sel_hi:[1,1,0] neg_lo:[0,0,1] neg_hi:[0,0,1]
	v_pk_fma_f32 v[138:139], v[150:151], v[134:135], v[138:139] op_sel:[0,0,1] op_sel_hi:[1,0,0]
	v_mov_b32_e32 v149, v139
	s_delay_alu instid0(VALU_DEP_1) | instskip(SKIP_3) | instid1(VALU_DEP_1)
	v_pk_add_f32 v[190:191], v[190:191], v[148:149] neg_lo:[0,1] neg_hi:[0,1]
	ds_load_2addr_b64 v[148:151], v216 offset0:46 offset1:47
	s_wait_dscnt 0x0
	v_pk_mul_f32 v[138:139], v[148:149], v[136:137] op_sel:[0,1]
	v_pk_fma_f32 v[152:153], v[148:149], v[134:135], v[138:139] op_sel:[0,0,1] op_sel_hi:[1,1,0] neg_lo:[0,0,1] neg_hi:[0,0,1]
	v_pk_fma_f32 v[138:139], v[148:149], v[134:135], v[138:139] op_sel:[0,0,1] op_sel_hi:[1,0,0]
	s_delay_alu instid0(VALU_DEP_1) | instskip(SKIP_1) | instid1(VALU_DEP_2)
	v_mov_b32_e32 v153, v139
	v_pk_mul_f32 v[138:139], v[150:151], v[136:137] op_sel:[0,1]
	v_pk_add_f32 v[192:193], v[192:193], v[152:153] neg_lo:[0,1] neg_hi:[0,1]
	s_delay_alu instid0(VALU_DEP_2) | instskip(SKIP_1) | instid1(VALU_DEP_1)
	v_pk_fma_f32 v[148:149], v[150:151], v[134:135], v[138:139] op_sel:[0,0,1] op_sel_hi:[1,1,0] neg_lo:[0,0,1] neg_hi:[0,0,1]
	v_pk_fma_f32 v[138:139], v[150:151], v[134:135], v[138:139] op_sel:[0,0,1] op_sel_hi:[1,0,0]
	v_mov_b32_e32 v149, v139
	s_delay_alu instid0(VALU_DEP_1) | instskip(SKIP_3) | instid1(VALU_DEP_1)
	v_pk_add_f32 v[188:189], v[188:189], v[148:149] neg_lo:[0,1] neg_hi:[0,1]
	ds_load_2addr_b64 v[148:151], v216 offset0:48 offset1:49
	s_wait_dscnt 0x0
	v_dual_mul_f32 v138, v149, v137 :: v_dual_mul_f32 v152, v149, v134
	v_pk_fma_f32 v[138:139], v[148:149], v[156:157], v[138:139] op_sel_hi:[1,1,0] neg_lo:[0,0,1] neg_hi:[0,0,1]
	s_delay_alu instid0(VALU_DEP_2) | instskip(NEXT) | instid1(VALU_DEP_1)
	v_pk_fma_f32 v[148:149], v[148:149], v[156:157], v[152:153] op_sel:[1,0,0] op_sel_hi:[0,1,0]
	v_mov_b32_e32 v139, v149
	s_delay_alu instid0(VALU_DEP_1) | instskip(SKIP_1) | instid1(VALU_DEP_1)
	v_pk_add_f32 v[214:215], v[214:215], v[138:139] neg_lo:[0,1] neg_hi:[0,1]
	v_pk_mul_f32 v[138:139], v[150:151], v[136:137] op_sel:[0,1]
	v_pk_fma_f32 v[148:149], v[150:151], v[134:135], v[138:139] op_sel:[0,0,1] op_sel_hi:[1,1,0] neg_lo:[0,0,1] neg_hi:[0,0,1]
	v_pk_fma_f32 v[138:139], v[150:151], v[134:135], v[138:139] op_sel:[0,0,1] op_sel_hi:[1,0,0]
	s_delay_alu instid0(VALU_DEP_1) | instskip(NEXT) | instid1(VALU_DEP_1)
	v_mov_b32_e32 v149, v139
	v_pk_add_f32 v[210:211], v[210:211], v[148:149] neg_lo:[0,1] neg_hi:[0,1]
	ds_load_2addr_b64 v[148:151], v216 offset0:50 offset1:51
	s_wait_dscnt 0x0
	v_pk_mul_f32 v[138:139], v[148:149], v[136:137] op_sel:[0,1]
	s_delay_alu instid0(VALU_DEP_1) | instskip(SKIP_1) | instid1(VALU_DEP_1)
	v_pk_fma_f32 v[152:153], v[148:149], v[134:135], v[138:139] op_sel:[0,0,1] op_sel_hi:[1,1,0] neg_lo:[0,0,1] neg_hi:[0,0,1]
	v_pk_fma_f32 v[138:139], v[148:149], v[134:135], v[138:139] op_sel:[0,0,1] op_sel_hi:[1,0,0]
	v_mov_b32_e32 v153, v139
	v_pk_mul_f32 v[138:139], v[150:151], v[136:137] op_sel:[0,1]
	s_delay_alu instid0(VALU_DEP_2) | instskip(NEXT) | instid1(VALU_DEP_2)
	v_pk_add_f32 v[212:213], v[212:213], v[152:153] neg_lo:[0,1] neg_hi:[0,1]
	v_pk_fma_f32 v[148:149], v[150:151], v[134:135], v[138:139] op_sel:[0,0,1] op_sel_hi:[1,1,0] neg_lo:[0,0,1] neg_hi:[0,0,1]
	v_pk_fma_f32 v[138:139], v[150:151], v[134:135], v[138:139] op_sel:[0,0,1] op_sel_hi:[1,0,0]
	s_delay_alu instid0(VALU_DEP_1) | instskip(NEXT) | instid1(VALU_DEP_1)
	v_mov_b32_e32 v149, v139
	v_pk_add_f32 v[208:209], v[208:209], v[148:149] neg_lo:[0,1] neg_hi:[0,1]
	ds_load_2addr_b64 v[148:151], v216 offset0:52 offset1:53
	s_wait_dscnt 0x0
	v_pk_mul_f32 v[138:139], v[148:149], v[136:137] op_sel:[0,1]
	s_delay_alu instid0(VALU_DEP_1) | instskip(SKIP_2) | instid1(VALU_DEP_2)
	v_pk_fma_f32 v[152:153], v[148:149], v[134:135], v[138:139] op_sel:[0,0,1] op_sel_hi:[1,1,0] neg_lo:[0,0,1] neg_hi:[0,0,1]
	v_pk_fma_f32 v[138:139], v[148:149], v[134:135], v[138:139] op_sel:[0,0,1] op_sel_hi:[1,0,0]
	v_dual_mul_f32 v148, v151, v137 :: v_dual_mov_b32 v138, v151
	v_dual_mov_b32 v153, v139 :: v_dual_mov_b32 v139, v150
	s_delay_alu instid0(VALU_DEP_2) | instskip(SKIP_1) | instid1(VALU_DEP_3)
	v_pk_fma_f32 v[148:149], v[150:151], v[156:157], v[148:149] op_sel_hi:[1,1,0] neg_lo:[0,0,1] neg_hi:[0,0,1]
	v_mul_f32_e32 v150, v151, v134
	v_pk_add_f32 v[236:237], v[236:237], v[152:153] neg_lo:[0,1] neg_hi:[0,1]
	s_delay_alu instid0(VALU_DEP_2) | instskip(NEXT) | instid1(VALU_DEP_1)
	v_pk_fma_f32 v[138:139], v[138:139], v[156:157], v[150:151] op_sel_hi:[1,1,0]
	v_mov_b32_e32 v149, v139
	s_delay_alu instid0(VALU_DEP_1) | instskip(SKIP_3) | instid1(VALU_DEP_1)
	v_pk_add_f32 v[230:231], v[230:231], v[148:149] neg_lo:[0,1] neg_hi:[0,1]
	ds_load_2addr_b64 v[148:151], v216 offset0:54 offset1:55
	s_wait_dscnt 0x0
	v_pk_mul_f32 v[138:139], v[148:149], v[136:137] op_sel:[0,1]
	v_pk_fma_f32 v[152:153], v[148:149], v[134:135], v[138:139] op_sel:[0,0,1] op_sel_hi:[1,1,0] neg_lo:[0,0,1] neg_hi:[0,0,1]
	v_pk_fma_f32 v[138:139], v[148:149], v[134:135], v[138:139] op_sel:[0,0,1] op_sel_hi:[1,0,0]
	s_delay_alu instid0(VALU_DEP_1) | instskip(SKIP_1) | instid1(VALU_DEP_2)
	v_mov_b32_e32 v153, v139
	v_pk_mul_f32 v[138:139], v[150:151], v[136:137] op_sel:[0,1]
	v_pk_add_f32 v[234:235], v[234:235], v[152:153] neg_lo:[0,1] neg_hi:[0,1]
	s_delay_alu instid0(VALU_DEP_2) | instskip(SKIP_1) | instid1(VALU_DEP_1)
	v_pk_fma_f32 v[148:149], v[150:151], v[134:135], v[138:139] op_sel:[0,0,1] op_sel_hi:[1,1,0] neg_lo:[0,0,1] neg_hi:[0,0,1]
	v_pk_fma_f32 v[138:139], v[150:151], v[134:135], v[138:139] op_sel:[0,0,1] op_sel_hi:[1,0,0]
	v_mov_b32_e32 v149, v139
	s_delay_alu instid0(VALU_DEP_1) | instskip(SKIP_3) | instid1(VALU_DEP_1)
	v_pk_add_f32 v[228:229], v[228:229], v[148:149] neg_lo:[0,1] neg_hi:[0,1]
	ds_load_2addr_b64 v[148:151], v216 offset0:56 offset1:57
	s_wait_dscnt 0x0
	v_pk_mul_f32 v[138:139], v[148:149], v[136:137] op_sel:[0,1]
	v_pk_fma_f32 v[152:153], v[148:149], v[134:135], v[138:139] op_sel:[0,0,1] op_sel_hi:[1,1,0] neg_lo:[0,0,1] neg_hi:[0,0,1]
	v_pk_fma_f32 v[138:139], v[148:149], v[134:135], v[138:139] op_sel:[0,0,1] op_sel_hi:[1,0,0]
	s_delay_alu instid0(VALU_DEP_1) | instskip(SKIP_1) | instid1(VALU_DEP_2)
	v_mov_b32_e32 v153, v139
	v_pk_mul_f32 v[138:139], v[150:151], v[136:137] op_sel:[0,1]
	v_pk_add_f32 v[232:233], v[232:233], v[152:153] neg_lo:[0,1] neg_hi:[0,1]
	s_delay_alu instid0(VALU_DEP_2) | instskip(SKIP_1) | instid1(VALU_DEP_1)
	v_pk_fma_f32 v[148:149], v[150:151], v[134:135], v[138:139] op_sel:[0,0,1] op_sel_hi:[1,1,0] neg_lo:[0,0,1] neg_hi:[0,0,1]
	v_pk_fma_f32 v[138:139], v[150:151], v[134:135], v[138:139] op_sel:[0,0,1] op_sel_hi:[1,0,0]
	v_mov_b32_e32 v149, v139
	s_delay_alu instid0(VALU_DEP_1) | instskip(SKIP_4) | instid1(VALU_DEP_2)
	v_pk_add_f32 v[226:227], v[226:227], v[148:149] neg_lo:[0,1] neg_hi:[0,1]
	ds_load_2addr_b64 v[148:151], v216 offset0:58 offset1:59
	s_wait_dscnt 0x0
	v_dual_mul_f32 v138, v149, v137 :: v_dual_mul_f32 v152, v149, v134
	v_pk_mul_f32 v[136:137], v[150:151], v[136:137] op_sel:[0,1]
	v_pk_fma_f32 v[138:139], v[148:149], v[156:157], v[138:139] op_sel_hi:[1,1,0] neg_lo:[0,0,1] neg_hi:[0,0,1]
	s_delay_alu instid0(VALU_DEP_3) | instskip(NEXT) | instid1(VALU_DEP_1)
	v_pk_fma_f32 v[148:149], v[148:149], v[156:157], v[152:153] op_sel:[1,0,0] op_sel_hi:[0,1,0]
	v_mov_b32_e32 v139, v149
	s_delay_alu instid0(VALU_DEP_1) | instskip(SKIP_2) | instid1(VALU_DEP_1)
	v_pk_add_f32 v[238:239], v[238:239], v[138:139] neg_lo:[0,1] neg_hi:[0,1]
	v_pk_fma_f32 v[138:139], v[150:151], v[134:135], v[136:137] op_sel:[0,0,1] op_sel_hi:[1,1,0] neg_lo:[0,0,1] neg_hi:[0,0,1]
	v_pk_fma_f32 v[134:135], v[150:151], v[134:135], v[136:137] op_sel:[0,0,1] op_sel_hi:[1,0,0]
	v_mov_b32_e32 v139, v135
	s_delay_alu instid0(VALU_DEP_1)
	v_pk_add_f32 v[240:241], v[240:241], v[138:139] neg_lo:[0,1] neg_hi:[0,1]
.LBB119_361:
	s_or_b32 exec_lo, exec_lo, s1
	s_delay_alu instid0(SALU_CYCLE_1)
	s_mov_b32 s2, exec_lo
	s_wait_dscnt 0x0
	s_barrier_signal -1
	s_barrier_wait -1
	v_cmpx_eq_u32_e32 40, v206
	s_cbranch_execz .LBB119_368
; %bb.362:
	ds_store_b64 v207, v[178:179]
	ds_store_2addr_b64 v216, v[174:175], v[176:177] offset0:41 offset1:42
	ds_store_2addr_b64 v216, v[172:173], v[194:195] offset0:43 offset1:44
	;; [unrolled: 1-line block ×9, first 2 shown]
	ds_store_b64 v216, v[240:241] offset:472
	ds_load_b64 v[134:135], v207
	s_wait_dscnt 0x0
	v_cmp_neq_f32_e32 vcc_lo, 0, v134
	v_cmp_neq_f32_e64 s1, 0, v135
	s_or_b32 s1, vcc_lo, s1
	s_delay_alu instid0(SALU_CYCLE_1)
	s_and_b32 exec_lo, exec_lo, s1
	s_cbranch_execz .LBB119_368
; %bb.363:
	v_cmp_ngt_f32_e64 s1, |v134|, |v135|
                                        ; implicit-def: $vgpr136_vgpr137
	s_and_saveexec_b32 s4, s1
	s_delay_alu instid0(SALU_CYCLE_1)
	s_xor_b32 s1, exec_lo, s4
	s_cbranch_execz .LBB119_365
; %bb.364:
	v_div_scale_f32 v136, null, v135, v135, v134
	v_div_scale_f32 v139, vcc_lo, v134, v135, v134
	s_delay_alu instid0(VALU_DEP_2) | instskip(SKIP_1) | instid1(TRANS32_DEP_1)
	v_rcp_f32_e32 v137, v136
	v_nop
	v_fma_f32 v138, -v136, v137, 1.0
	s_delay_alu instid0(VALU_DEP_1) | instskip(NEXT) | instid1(VALU_DEP_1)
	v_fmac_f32_e32 v137, v138, v137
	v_mul_f32_e32 v138, v139, v137
	s_delay_alu instid0(VALU_DEP_1) | instskip(NEXT) | instid1(VALU_DEP_1)
	v_fma_f32 v148, -v136, v138, v139
	v_fmac_f32_e32 v138, v148, v137
	s_delay_alu instid0(VALU_DEP_1) | instskip(NEXT) | instid1(VALU_DEP_1)
	v_fma_f32 v136, -v136, v138, v139
	v_div_fmas_f32 v136, v136, v137, v138
	s_delay_alu instid0(VALU_DEP_1) | instskip(NEXT) | instid1(VALU_DEP_1)
	v_div_fixup_f32 v136, v136, v135, v134
	v_fmac_f32_e32 v135, v134, v136
	s_delay_alu instid0(VALU_DEP_1) | instskip(SKIP_1) | instid1(VALU_DEP_2)
	v_div_scale_f32 v134, null, v135, v135, 1.0
	v_div_scale_f32 v139, vcc_lo, 1.0, v135, 1.0
	v_rcp_f32_e32 v137, v134
	v_nop
	s_delay_alu instid0(TRANS32_DEP_1) | instskip(NEXT) | instid1(VALU_DEP_1)
	v_fma_f32 v138, -v134, v137, 1.0
	v_fmac_f32_e32 v137, v138, v137
	s_delay_alu instid0(VALU_DEP_1) | instskip(NEXT) | instid1(VALU_DEP_1)
	v_mul_f32_e32 v138, v139, v137
	v_fma_f32 v148, -v134, v138, v139
	s_delay_alu instid0(VALU_DEP_1) | instskip(NEXT) | instid1(VALU_DEP_1)
	v_fmac_f32_e32 v138, v148, v137
	v_fma_f32 v134, -v134, v138, v139
	s_delay_alu instid0(VALU_DEP_1) | instskip(NEXT) | instid1(VALU_DEP_1)
	v_div_fmas_f32 v134, v134, v137, v138
	v_div_fixup_f32 v134, v134, v135, 1.0
	s_delay_alu instid0(VALU_DEP_1)
	v_mul_f32_e32 v136, v136, v134
	v_xor_b32_e32 v137, 0x80000000, v134
                                        ; implicit-def: $vgpr134_vgpr135
.LBB119_365:
	s_and_not1_saveexec_b32 s1, s1
	s_cbranch_execz .LBB119_367
; %bb.366:
	v_div_scale_f32 v136, null, v134, v134, v135
	v_div_scale_f32 v139, vcc_lo, v135, v134, v135
	s_delay_alu instid0(VALU_DEP_2) | instskip(SKIP_1) | instid1(TRANS32_DEP_1)
	v_rcp_f32_e32 v137, v136
	v_nop
	v_fma_f32 v138, -v136, v137, 1.0
	s_delay_alu instid0(VALU_DEP_1) | instskip(NEXT) | instid1(VALU_DEP_1)
	v_fmac_f32_e32 v137, v138, v137
	v_mul_f32_e32 v138, v139, v137
	s_delay_alu instid0(VALU_DEP_1) | instskip(NEXT) | instid1(VALU_DEP_1)
	v_fma_f32 v148, -v136, v138, v139
	v_fmac_f32_e32 v138, v148, v137
	s_delay_alu instid0(VALU_DEP_1) | instskip(NEXT) | instid1(VALU_DEP_1)
	v_fma_f32 v136, -v136, v138, v139
	v_div_fmas_f32 v136, v136, v137, v138
	s_delay_alu instid0(VALU_DEP_1) | instskip(NEXT) | instid1(VALU_DEP_1)
	v_div_fixup_f32 v137, v136, v134, v135
	v_fmac_f32_e32 v134, v135, v137
	s_delay_alu instid0(VALU_DEP_1) | instskip(NEXT) | instid1(VALU_DEP_1)
	v_div_scale_f32 v135, null, v134, v134, 1.0
	v_rcp_f32_e32 v136, v135
	v_nop
	s_delay_alu instid0(TRANS32_DEP_1) | instskip(NEXT) | instid1(VALU_DEP_1)
	v_fma_f32 v138, -v135, v136, 1.0
	v_fmac_f32_e32 v136, v138, v136
	v_div_scale_f32 v138, vcc_lo, 1.0, v134, 1.0
	s_delay_alu instid0(VALU_DEP_1) | instskip(NEXT) | instid1(VALU_DEP_1)
	v_mul_f32_e32 v139, v138, v136
	v_fma_f32 v148, -v135, v139, v138
	s_delay_alu instid0(VALU_DEP_1) | instskip(NEXT) | instid1(VALU_DEP_1)
	v_fmac_f32_e32 v139, v148, v136
	v_fma_f32 v135, -v135, v139, v138
	s_delay_alu instid0(VALU_DEP_1) | instskip(NEXT) | instid1(VALU_DEP_1)
	v_div_fmas_f32 v135, v135, v136, v139
	v_div_fixup_f32 v136, v135, v134, 1.0
	s_delay_alu instid0(VALU_DEP_1)
	v_mul_f32_e64 v137, v137, -v136
.LBB119_367:
	s_or_b32 exec_lo, exec_lo, s1
	ds_store_b64 v207, v[136:137]
.LBB119_368:
	s_or_b32 exec_lo, exec_lo, s2
	s_wait_dscnt 0x0
	s_barrier_signal -1
	s_barrier_wait -1
	ds_load_b64 v[134:135], v207
	s_mov_b32 s1, exec_lo
	v_cmpx_lt_u32_e32 40, v206
	s_cbranch_execz .LBB119_370
; %bb.369:
	ds_load_2addr_b64 v[148:151], v216 offset0:41 offset1:42
	s_wait_dscnt 0x1
	v_pk_mul_f32 v[138:139], v[134:135], v[178:179] op_sel:[1,1] op_sel_hi:[0,1]
	s_delay_alu instid0(VALU_DEP_1) | instskip(SKIP_1) | instid1(VALU_DEP_1)
	v_pk_fma_f32 v[136:137], v[134:135], v[178:179], v[138:139] op_sel_hi:[1,0,1] neg_lo:[0,0,1] neg_hi:[0,0,1]
	v_pk_fma_f32 v[138:139], v[134:135], v[178:179], v[138:139] op_sel_hi:[1,0,1]
	v_dual_mov_b32 v178, v136 :: v_dual_mov_b32 v179, v139
	s_wait_dscnt 0x0
	s_delay_alu instid0(VALU_DEP_2) | instskip(NEXT) | instid1(VALU_DEP_1)
	v_pk_mul_f32 v[152:153], v[148:149], v[138:139] op_sel:[0,1]
	v_pk_fma_f32 v[154:155], v[148:149], v[136:137], v[152:153] op_sel:[0,0,1] op_sel_hi:[1,1,0] neg_lo:[0,0,1] neg_hi:[0,0,1]
	v_pk_fma_f32 v[148:149], v[148:149], v[136:137], v[152:153] op_sel:[0,0,1] op_sel_hi:[1,0,0]
	s_delay_alu instid0(VALU_DEP_1) | instskip(SKIP_1) | instid1(VALU_DEP_1)
	v_mov_b32_e32 v155, v149
	v_pk_mul_f32 v[148:149], v[150:151], v[138:139] op_sel:[0,1]
	v_pk_fma_f32 v[152:153], v[150:151], v[136:137], v[148:149] op_sel:[0,0,1] op_sel_hi:[1,1,0] neg_lo:[0,0,1] neg_hi:[0,0,1]
	v_pk_fma_f32 v[148:149], v[150:151], v[136:137], v[148:149] op_sel:[0,0,1] op_sel_hi:[1,0,0]
	s_delay_alu instid0(VALU_DEP_1)
	v_mov_b32_e32 v153, v149
	ds_load_2addr_b64 v[148:151], v216 offset0:43 offset1:44
	v_pk_add_f32 v[174:175], v[174:175], v[154:155] neg_lo:[0,1] neg_hi:[0,1]
	v_pk_add_f32 v[176:177], v[176:177], v[152:153] neg_lo:[0,1] neg_hi:[0,1]
	s_wait_dscnt 0x0
	v_pk_mul_f32 v[152:153], v[148:149], v[138:139] op_sel:[0,1]
	s_delay_alu instid0(VALU_DEP_1) | instskip(SKIP_2) | instid1(VALU_DEP_2)
	v_pk_fma_f32 v[154:155], v[148:149], v[136:137], v[152:153] op_sel:[0,0,1] op_sel_hi:[1,1,0] neg_lo:[0,0,1] neg_hi:[0,0,1]
	v_pk_fma_f32 v[148:149], v[148:149], v[136:137], v[152:153] op_sel:[0,0,1] op_sel_hi:[1,0,0]
	v_dual_mul_f32 v152, v151, v139 :: v_dual_mov_b32 v148, v151
	v_dual_mov_b32 v155, v149 :: v_dual_mov_b32 v149, v150
	s_delay_alu instid0(VALU_DEP_2) | instskip(SKIP_1) | instid1(VALU_DEP_3)
	v_pk_fma_f32 v[152:153], v[150:151], v[178:179], v[152:153] op_sel_hi:[1,1,0] neg_lo:[0,0,1] neg_hi:[0,0,1]
	v_mul_f32_e32 v150, v151, v136
	v_pk_add_f32 v[172:173], v[172:173], v[154:155] neg_lo:[0,1] neg_hi:[0,1]
	s_delay_alu instid0(VALU_DEP_2) | instskip(NEXT) | instid1(VALU_DEP_1)
	v_pk_fma_f32 v[148:149], v[148:149], v[178:179], v[150:151] op_sel_hi:[1,1,0]
	v_mov_b32_e32 v153, v149
	ds_load_2addr_b64 v[148:151], v216 offset0:45 offset1:46
	v_pk_add_f32 v[194:195], v[194:195], v[152:153] neg_lo:[0,1] neg_hi:[0,1]
	s_wait_dscnt 0x0
	v_pk_mul_f32 v[152:153], v[148:149], v[138:139] op_sel:[0,1]
	s_delay_alu instid0(VALU_DEP_1) | instskip(SKIP_1) | instid1(VALU_DEP_1)
	v_pk_fma_f32 v[154:155], v[148:149], v[136:137], v[152:153] op_sel:[0,0,1] op_sel_hi:[1,1,0] neg_lo:[0,0,1] neg_hi:[0,0,1]
	v_pk_fma_f32 v[148:149], v[148:149], v[136:137], v[152:153] op_sel:[0,0,1] op_sel_hi:[1,0,0]
	v_mov_b32_e32 v155, v149
	v_pk_mul_f32 v[148:149], v[150:151], v[138:139] op_sel:[0,1]
	s_delay_alu instid0(VALU_DEP_1) | instskip(SKIP_1) | instid1(VALU_DEP_1)
	v_pk_fma_f32 v[152:153], v[150:151], v[136:137], v[148:149] op_sel:[0,0,1] op_sel_hi:[1,1,0] neg_lo:[0,0,1] neg_hi:[0,0,1]
	v_pk_fma_f32 v[148:149], v[150:151], v[136:137], v[148:149] op_sel:[0,0,1] op_sel_hi:[1,0,0]
	v_mov_b32_e32 v153, v149
	ds_load_2addr_b64 v[148:151], v216 offset0:47 offset1:48
	v_pk_add_f32 v[190:191], v[190:191], v[154:155] neg_lo:[0,1] neg_hi:[0,1]
	v_pk_add_f32 v[192:193], v[192:193], v[152:153] neg_lo:[0,1] neg_hi:[0,1]
	s_wait_dscnt 0x0
	v_pk_mul_f32 v[152:153], v[148:149], v[138:139] op_sel:[0,1]
	s_delay_alu instid0(VALU_DEP_1) | instskip(SKIP_1) | instid1(VALU_DEP_1)
	v_pk_fma_f32 v[154:155], v[148:149], v[136:137], v[152:153] op_sel:[0,0,1] op_sel_hi:[1,1,0] neg_lo:[0,0,1] neg_hi:[0,0,1]
	v_pk_fma_f32 v[148:149], v[148:149], v[136:137], v[152:153] op_sel:[0,0,1] op_sel_hi:[1,0,0]
	v_mov_b32_e32 v155, v149
	v_pk_mul_f32 v[148:149], v[150:151], v[138:139] op_sel:[0,1]
	s_delay_alu instid0(VALU_DEP_1) | instskip(SKIP_1) | instid1(VALU_DEP_1)
	v_pk_fma_f32 v[152:153], v[150:151], v[136:137], v[148:149] op_sel:[0,0,1] op_sel_hi:[1,1,0] neg_lo:[0,0,1] neg_hi:[0,0,1]
	v_pk_fma_f32 v[148:149], v[150:151], v[136:137], v[148:149] op_sel:[0,0,1] op_sel_hi:[1,0,0]
	v_mov_b32_e32 v153, v149
	ds_load_2addr_b64 v[148:151], v216 offset0:49 offset1:50
	v_pk_add_f32 v[188:189], v[188:189], v[154:155] neg_lo:[0,1] neg_hi:[0,1]
	v_pk_add_f32 v[214:215], v[214:215], v[152:153] neg_lo:[0,1] neg_hi:[0,1]
	s_wait_dscnt 0x0
	v_dual_mul_f32 v152, v149, v139 :: v_dual_mul_f32 v154, v149, v136
	s_delay_alu instid0(VALU_DEP_1) | instskip(NEXT) | instid1(VALU_DEP_2)
	v_pk_fma_f32 v[152:153], v[148:149], v[178:179], v[152:153] op_sel_hi:[1,1,0] neg_lo:[0,0,1] neg_hi:[0,0,1]
	v_pk_fma_f32 v[148:149], v[148:149], v[178:179], v[154:155] op_sel:[1,0,0] op_sel_hi:[0,1,0]
	s_delay_alu instid0(VALU_DEP_1) | instskip(SKIP_1) | instid1(VALU_DEP_2)
	v_mov_b32_e32 v153, v149
	v_pk_mul_f32 v[148:149], v[150:151], v[138:139] op_sel:[0,1]
	v_pk_add_f32 v[210:211], v[210:211], v[152:153] neg_lo:[0,1] neg_hi:[0,1]
	s_delay_alu instid0(VALU_DEP_2) | instskip(SKIP_1) | instid1(VALU_DEP_1)
	v_pk_fma_f32 v[152:153], v[150:151], v[136:137], v[148:149] op_sel:[0,0,1] op_sel_hi:[1,1,0] neg_lo:[0,0,1] neg_hi:[0,0,1]
	v_pk_fma_f32 v[148:149], v[150:151], v[136:137], v[148:149] op_sel:[0,0,1] op_sel_hi:[1,0,0]
	v_mov_b32_e32 v153, v149
	ds_load_2addr_b64 v[148:151], v216 offset0:51 offset1:52
	v_pk_add_f32 v[212:213], v[212:213], v[152:153] neg_lo:[0,1] neg_hi:[0,1]
	s_wait_dscnt 0x0
	v_pk_mul_f32 v[152:153], v[148:149], v[138:139] op_sel:[0,1]
	s_delay_alu instid0(VALU_DEP_1) | instskip(SKIP_1) | instid1(VALU_DEP_1)
	v_pk_fma_f32 v[154:155], v[148:149], v[136:137], v[152:153] op_sel:[0,0,1] op_sel_hi:[1,1,0] neg_lo:[0,0,1] neg_hi:[0,0,1]
	v_pk_fma_f32 v[148:149], v[148:149], v[136:137], v[152:153] op_sel:[0,0,1] op_sel_hi:[1,0,0]
	v_mov_b32_e32 v155, v149
	v_pk_mul_f32 v[148:149], v[150:151], v[138:139] op_sel:[0,1]
	s_delay_alu instid0(VALU_DEP_2) | instskip(NEXT) | instid1(VALU_DEP_2)
	v_pk_add_f32 v[208:209], v[208:209], v[154:155] neg_lo:[0,1] neg_hi:[0,1]
	v_pk_fma_f32 v[152:153], v[150:151], v[136:137], v[148:149] op_sel:[0,0,1] op_sel_hi:[1,1,0] neg_lo:[0,0,1] neg_hi:[0,0,1]
	v_pk_fma_f32 v[148:149], v[150:151], v[136:137], v[148:149] op_sel:[0,0,1] op_sel_hi:[1,0,0]
	s_delay_alu instid0(VALU_DEP_1) | instskip(SKIP_4) | instid1(VALU_DEP_1)
	v_mov_b32_e32 v153, v149
	ds_load_2addr_b64 v[148:151], v216 offset0:53 offset1:54
	v_pk_add_f32 v[236:237], v[236:237], v[152:153] neg_lo:[0,1] neg_hi:[0,1]
	s_wait_dscnt 0x0
	v_pk_mul_f32 v[152:153], v[148:149], v[138:139] op_sel:[0,1]
	v_pk_fma_f32 v[154:155], v[148:149], v[136:137], v[152:153] op_sel:[0,0,1] op_sel_hi:[1,1,0] neg_lo:[0,0,1] neg_hi:[0,0,1]
	v_pk_fma_f32 v[148:149], v[148:149], v[136:137], v[152:153] op_sel:[0,0,1] op_sel_hi:[1,0,0]
	v_dual_mul_f32 v152, v151, v139 :: v_dual_mov_b32 v148, v151
	s_delay_alu instid0(VALU_DEP_2) | instskip(NEXT) | instid1(VALU_DEP_2)
	v_dual_mov_b32 v155, v149 :: v_dual_mov_b32 v149, v150
	v_pk_fma_f32 v[152:153], v[150:151], v[178:179], v[152:153] op_sel_hi:[1,1,0] neg_lo:[0,0,1] neg_hi:[0,0,1]
	v_mul_f32_e32 v150, v151, v136
	s_delay_alu instid0(VALU_DEP_3) | instskip(NEXT) | instid1(VALU_DEP_2)
	v_pk_add_f32 v[230:231], v[230:231], v[154:155] neg_lo:[0,1] neg_hi:[0,1]
	v_pk_fma_f32 v[148:149], v[148:149], v[178:179], v[150:151] op_sel_hi:[1,1,0]
	s_delay_alu instid0(VALU_DEP_1) | instskip(SKIP_4) | instid1(VALU_DEP_1)
	v_mov_b32_e32 v153, v149
	ds_load_2addr_b64 v[148:151], v216 offset0:55 offset1:56
	v_pk_add_f32 v[234:235], v[234:235], v[152:153] neg_lo:[0,1] neg_hi:[0,1]
	s_wait_dscnt 0x0
	v_pk_mul_f32 v[152:153], v[148:149], v[138:139] op_sel:[0,1]
	v_pk_fma_f32 v[154:155], v[148:149], v[136:137], v[152:153] op_sel:[0,0,1] op_sel_hi:[1,1,0] neg_lo:[0,0,1] neg_hi:[0,0,1]
	v_pk_fma_f32 v[148:149], v[148:149], v[136:137], v[152:153] op_sel:[0,0,1] op_sel_hi:[1,0,0]
	s_delay_alu instid0(VALU_DEP_1) | instskip(SKIP_1) | instid1(VALU_DEP_1)
	v_mov_b32_e32 v155, v149
	v_pk_mul_f32 v[148:149], v[150:151], v[138:139] op_sel:[0,1]
	v_pk_fma_f32 v[152:153], v[150:151], v[136:137], v[148:149] op_sel:[0,0,1] op_sel_hi:[1,1,0] neg_lo:[0,0,1] neg_hi:[0,0,1]
	v_pk_fma_f32 v[148:149], v[150:151], v[136:137], v[148:149] op_sel:[0,0,1] op_sel_hi:[1,0,0]
	s_delay_alu instid0(VALU_DEP_1)
	v_mov_b32_e32 v153, v149
	ds_load_2addr_b64 v[148:151], v216 offset0:57 offset1:58
	v_pk_add_f32 v[228:229], v[228:229], v[154:155] neg_lo:[0,1] neg_hi:[0,1]
	v_pk_add_f32 v[232:233], v[232:233], v[152:153] neg_lo:[0,1] neg_hi:[0,1]
	s_wait_dscnt 0x0
	v_pk_mul_f32 v[152:153], v[148:149], v[138:139] op_sel:[0,1]
	s_delay_alu instid0(VALU_DEP_1) | instskip(SKIP_1) | instid1(VALU_DEP_1)
	v_pk_fma_f32 v[154:155], v[148:149], v[136:137], v[152:153] op_sel:[0,0,1] op_sel_hi:[1,1,0] neg_lo:[0,0,1] neg_hi:[0,0,1]
	v_pk_fma_f32 v[148:149], v[148:149], v[136:137], v[152:153] op_sel:[0,0,1] op_sel_hi:[1,0,0]
	v_mov_b32_e32 v155, v149
	v_pk_mul_f32 v[148:149], v[150:151], v[138:139] op_sel:[0,1]
	s_delay_alu instid0(VALU_DEP_1) | instskip(SKIP_1) | instid1(VALU_DEP_1)
	v_pk_fma_f32 v[152:153], v[150:151], v[136:137], v[148:149] op_sel:[0,0,1] op_sel_hi:[1,1,0] neg_lo:[0,0,1] neg_hi:[0,0,1]
	v_pk_fma_f32 v[148:149], v[150:151], v[136:137], v[148:149] op_sel:[0,0,1] op_sel_hi:[1,0,0]
	v_mov_b32_e32 v153, v149
	ds_load_b64 v[148:149], v216 offset:472
	v_pk_add_f32 v[226:227], v[226:227], v[154:155] neg_lo:[0,1] neg_hi:[0,1]
	v_pk_add_f32 v[238:239], v[238:239], v[152:153] neg_lo:[0,1] neg_hi:[0,1]
	s_wait_dscnt 0x0
	v_pk_mul_f32 v[138:139], v[148:149], v[138:139] op_sel:[0,1]
	s_delay_alu instid0(VALU_DEP_1) | instskip(SKIP_1) | instid1(VALU_DEP_1)
	v_pk_fma_f32 v[150:151], v[148:149], v[136:137], v[138:139] op_sel:[0,0,1] op_sel_hi:[1,1,0] neg_lo:[0,0,1] neg_hi:[0,0,1]
	v_pk_fma_f32 v[136:137], v[148:149], v[136:137], v[138:139] op_sel:[0,0,1] op_sel_hi:[1,0,0]
	v_mov_b32_e32 v151, v137
	s_delay_alu instid0(VALU_DEP_1)
	v_pk_add_f32 v[240:241], v[240:241], v[150:151] neg_lo:[0,1] neg_hi:[0,1]
.LBB119_370:
	s_or_b32 exec_lo, exec_lo, s1
	s_delay_alu instid0(SALU_CYCLE_1)
	s_mov_b32 s2, exec_lo
	s_wait_dscnt 0x0
	s_barrier_signal -1
	s_barrier_wait -1
	v_cmpx_eq_u32_e32 41, v206
	s_cbranch_execz .LBB119_377
; %bb.371:
	v_dual_mov_b32 v136, v176 :: v_dual_mov_b32 v137, v177
	v_dual_mov_b32 v138, v172 :: v_dual_mov_b32 v139, v173
	ds_store_b64 v207, v[174:175]
	ds_store_2addr_b64 v216, v[136:137], v[138:139] offset0:42 offset1:43
	v_dual_mov_b32 v136, v194 :: v_dual_mov_b32 v137, v195
	v_dual_mov_b32 v138, v190 :: v_dual_mov_b32 v139, v191
	ds_store_2addr_b64 v216, v[136:137], v[138:139] offset0:44 offset1:45
	v_dual_mov_b32 v136, v192 :: v_dual_mov_b32 v137, v193
	v_dual_mov_b32 v138, v188 :: v_dual_mov_b32 v139, v189
	;; [unrolled: 3-line block ×7, first 2 shown]
	ds_store_2addr_b64 v216, v[136:137], v[138:139] offset0:56 offset1:57
	v_dual_mov_b32 v136, v238 :: v_dual_mov_b32 v137, v239
	ds_store_2addr_b64 v216, v[136:137], v[240:241] offset0:58 offset1:59
	ds_load_b64 v[136:137], v207
	s_wait_dscnt 0x0
	v_cmp_neq_f32_e32 vcc_lo, 0, v136
	v_cmp_neq_f32_e64 s1, 0, v137
	s_or_b32 s1, vcc_lo, s1
	s_delay_alu instid0(SALU_CYCLE_1)
	s_and_b32 exec_lo, exec_lo, s1
	s_cbranch_execz .LBB119_377
; %bb.372:
	v_cmp_ngt_f32_e64 s1, |v136|, |v137|
                                        ; implicit-def: $vgpr138_vgpr139
	s_and_saveexec_b32 s4, s1
	s_delay_alu instid0(SALU_CYCLE_1)
	s_xor_b32 s1, exec_lo, s4
	s_cbranch_execz .LBB119_374
; %bb.373:
	v_div_scale_f32 v138, null, v137, v137, v136
	v_div_scale_f32 v149, vcc_lo, v136, v137, v136
	s_delay_alu instid0(VALU_DEP_2) | instskip(SKIP_1) | instid1(TRANS32_DEP_1)
	v_rcp_f32_e32 v139, v138
	v_nop
	v_fma_f32 v148, -v138, v139, 1.0
	s_delay_alu instid0(VALU_DEP_1) | instskip(NEXT) | instid1(VALU_DEP_1)
	v_fmac_f32_e32 v139, v148, v139
	v_mul_f32_e32 v148, v149, v139
	s_delay_alu instid0(VALU_DEP_1) | instskip(NEXT) | instid1(VALU_DEP_1)
	v_fma_f32 v150, -v138, v148, v149
	v_fmac_f32_e32 v148, v150, v139
	s_delay_alu instid0(VALU_DEP_1) | instskip(NEXT) | instid1(VALU_DEP_1)
	v_fma_f32 v138, -v138, v148, v149
	v_div_fmas_f32 v138, v138, v139, v148
	s_delay_alu instid0(VALU_DEP_1) | instskip(NEXT) | instid1(VALU_DEP_1)
	v_div_fixup_f32 v138, v138, v137, v136
	v_fmac_f32_e32 v137, v136, v138
	s_delay_alu instid0(VALU_DEP_1) | instskip(SKIP_1) | instid1(VALU_DEP_2)
	v_div_scale_f32 v136, null, v137, v137, 1.0
	v_div_scale_f32 v149, vcc_lo, 1.0, v137, 1.0
	v_rcp_f32_e32 v139, v136
	v_nop
	s_delay_alu instid0(TRANS32_DEP_1) | instskip(NEXT) | instid1(VALU_DEP_1)
	v_fma_f32 v148, -v136, v139, 1.0
	v_fmac_f32_e32 v139, v148, v139
	s_delay_alu instid0(VALU_DEP_1) | instskip(NEXT) | instid1(VALU_DEP_1)
	v_mul_f32_e32 v148, v149, v139
	v_fma_f32 v150, -v136, v148, v149
	s_delay_alu instid0(VALU_DEP_1) | instskip(NEXT) | instid1(VALU_DEP_1)
	v_fmac_f32_e32 v148, v150, v139
	v_fma_f32 v136, -v136, v148, v149
	s_delay_alu instid0(VALU_DEP_1) | instskip(NEXT) | instid1(VALU_DEP_1)
	v_div_fmas_f32 v136, v136, v139, v148
	v_div_fixup_f32 v136, v136, v137, 1.0
	s_delay_alu instid0(VALU_DEP_1)
	v_mul_f32_e32 v138, v138, v136
	v_xor_b32_e32 v139, 0x80000000, v136
                                        ; implicit-def: $vgpr136_vgpr137
.LBB119_374:
	s_and_not1_saveexec_b32 s1, s1
	s_cbranch_execz .LBB119_376
; %bb.375:
	v_div_scale_f32 v138, null, v136, v136, v137
	v_div_scale_f32 v149, vcc_lo, v137, v136, v137
	s_delay_alu instid0(VALU_DEP_2) | instskip(SKIP_1) | instid1(TRANS32_DEP_1)
	v_rcp_f32_e32 v139, v138
	v_nop
	v_fma_f32 v148, -v138, v139, 1.0
	s_delay_alu instid0(VALU_DEP_1) | instskip(NEXT) | instid1(VALU_DEP_1)
	v_fmac_f32_e32 v139, v148, v139
	v_mul_f32_e32 v148, v149, v139
	s_delay_alu instid0(VALU_DEP_1) | instskip(NEXT) | instid1(VALU_DEP_1)
	v_fma_f32 v150, -v138, v148, v149
	v_fmac_f32_e32 v148, v150, v139
	s_delay_alu instid0(VALU_DEP_1) | instskip(NEXT) | instid1(VALU_DEP_1)
	v_fma_f32 v138, -v138, v148, v149
	v_div_fmas_f32 v138, v138, v139, v148
	s_delay_alu instid0(VALU_DEP_1) | instskip(NEXT) | instid1(VALU_DEP_1)
	v_div_fixup_f32 v139, v138, v136, v137
	v_fmac_f32_e32 v136, v137, v139
	s_delay_alu instid0(VALU_DEP_1) | instskip(NEXT) | instid1(VALU_DEP_1)
	v_div_scale_f32 v137, null, v136, v136, 1.0
	v_rcp_f32_e32 v138, v137
	v_nop
	s_delay_alu instid0(TRANS32_DEP_1) | instskip(NEXT) | instid1(VALU_DEP_1)
	v_fma_f32 v148, -v137, v138, 1.0
	v_fmac_f32_e32 v138, v148, v138
	v_div_scale_f32 v148, vcc_lo, 1.0, v136, 1.0
	s_delay_alu instid0(VALU_DEP_1) | instskip(NEXT) | instid1(VALU_DEP_1)
	v_mul_f32_e32 v149, v148, v138
	v_fma_f32 v150, -v137, v149, v148
	s_delay_alu instid0(VALU_DEP_1) | instskip(NEXT) | instid1(VALU_DEP_1)
	v_fmac_f32_e32 v149, v150, v138
	v_fma_f32 v137, -v137, v149, v148
	s_delay_alu instid0(VALU_DEP_1) | instskip(NEXT) | instid1(VALU_DEP_1)
	v_div_fmas_f32 v137, v137, v138, v149
	v_div_fixup_f32 v138, v137, v136, 1.0
	s_delay_alu instid0(VALU_DEP_1)
	v_mul_f32_e64 v139, v139, -v138
.LBB119_376:
	s_or_b32 exec_lo, exec_lo, s1
	ds_store_b64 v207, v[138:139]
.LBB119_377:
	s_or_b32 exec_lo, exec_lo, s2
	s_wait_dscnt 0x0
	s_barrier_signal -1
	s_barrier_wait -1
	ds_load_b64 v[136:137], v207
	s_mov_b32 s1, exec_lo
	v_cmpx_lt_u32_e32 41, v206
	s_cbranch_execz .LBB119_379
; %bb.378:
	ds_load_2addr_b64 v[150:153], v216 offset0:42 offset1:43
	s_wait_dscnt 0x1
	v_pk_mul_f32 v[148:149], v[136:137], v[174:175] op_sel:[1,1] op_sel_hi:[0,1]
	s_delay_alu instid0(VALU_DEP_1) | instskip(SKIP_1) | instid1(VALU_DEP_1)
	v_pk_fma_f32 v[138:139], v[136:137], v[174:175], v[148:149] op_sel_hi:[1,0,1] neg_lo:[0,0,1] neg_hi:[0,0,1]
	v_pk_fma_f32 v[148:149], v[136:137], v[174:175], v[148:149] op_sel_hi:[1,0,1]
	v_dual_mov_b32 v174, v138 :: v_dual_mov_b32 v175, v149
	s_wait_dscnt 0x0
	s_delay_alu instid0(VALU_DEP_2) | instskip(NEXT) | instid1(VALU_DEP_1)
	v_pk_mul_f32 v[154:155], v[150:151], v[148:149] op_sel:[0,1]
	v_pk_fma_f32 v[164:165], v[150:151], v[138:139], v[154:155] op_sel:[0,0,1] op_sel_hi:[1,1,0] neg_lo:[0,0,1] neg_hi:[0,0,1]
	v_pk_fma_f32 v[150:151], v[150:151], v[138:139], v[154:155] op_sel:[0,0,1] op_sel_hi:[1,0,0]
	s_delay_alu instid0(VALU_DEP_1) | instskip(SKIP_1) | instid1(VALU_DEP_1)
	v_mov_b32_e32 v165, v151
	v_pk_mul_f32 v[150:151], v[152:153], v[148:149] op_sel:[0,1]
	v_pk_fma_f32 v[154:155], v[152:153], v[138:139], v[150:151] op_sel:[0,0,1] op_sel_hi:[1,1,0] neg_lo:[0,0,1] neg_hi:[0,0,1]
	v_pk_fma_f32 v[150:151], v[152:153], v[138:139], v[150:151] op_sel:[0,0,1] op_sel_hi:[1,0,0]
	s_delay_alu instid0(VALU_DEP_1)
	v_mov_b32_e32 v155, v151
	ds_load_2addr_b64 v[150:153], v216 offset0:44 offset1:45
	v_pk_add_f32 v[176:177], v[176:177], v[164:165] neg_lo:[0,1] neg_hi:[0,1]
	v_pk_add_f32 v[172:173], v[172:173], v[154:155] neg_lo:[0,1] neg_hi:[0,1]
	s_wait_dscnt 0x0
	v_pk_mul_f32 v[154:155], v[150:151], v[148:149] op_sel:[0,1]
	s_delay_alu instid0(VALU_DEP_1) | instskip(SKIP_2) | instid1(VALU_DEP_2)
	v_pk_fma_f32 v[164:165], v[150:151], v[138:139], v[154:155] op_sel:[0,0,1] op_sel_hi:[1,1,0] neg_lo:[0,0,1] neg_hi:[0,0,1]
	v_pk_fma_f32 v[150:151], v[150:151], v[138:139], v[154:155] op_sel:[0,0,1] op_sel_hi:[1,0,0]
	v_dual_mul_f32 v154, v153, v149 :: v_dual_mov_b32 v150, v153
	v_dual_mov_b32 v165, v151 :: v_dual_mov_b32 v151, v152
	s_delay_alu instid0(VALU_DEP_2) | instskip(SKIP_1) | instid1(VALU_DEP_3)
	v_pk_fma_f32 v[154:155], v[152:153], v[174:175], v[154:155] op_sel_hi:[1,1,0] neg_lo:[0,0,1] neg_hi:[0,0,1]
	v_mul_f32_e32 v152, v153, v138
	v_pk_add_f32 v[194:195], v[194:195], v[164:165] neg_lo:[0,1] neg_hi:[0,1]
	s_delay_alu instid0(VALU_DEP_2) | instskip(NEXT) | instid1(VALU_DEP_1)
	v_pk_fma_f32 v[150:151], v[150:151], v[174:175], v[152:153] op_sel_hi:[1,1,0]
	v_mov_b32_e32 v155, v151
	ds_load_2addr_b64 v[150:153], v216 offset0:46 offset1:47
	v_pk_add_f32 v[190:191], v[190:191], v[154:155] neg_lo:[0,1] neg_hi:[0,1]
	s_wait_dscnt 0x0
	v_pk_mul_f32 v[154:155], v[150:151], v[148:149] op_sel:[0,1]
	s_delay_alu instid0(VALU_DEP_1) | instskip(SKIP_1) | instid1(VALU_DEP_1)
	v_pk_fma_f32 v[164:165], v[150:151], v[138:139], v[154:155] op_sel:[0,0,1] op_sel_hi:[1,1,0] neg_lo:[0,0,1] neg_hi:[0,0,1]
	v_pk_fma_f32 v[150:151], v[150:151], v[138:139], v[154:155] op_sel:[0,0,1] op_sel_hi:[1,0,0]
	v_mov_b32_e32 v165, v151
	v_pk_mul_f32 v[150:151], v[152:153], v[148:149] op_sel:[0,1]
	s_delay_alu instid0(VALU_DEP_1) | instskip(SKIP_1) | instid1(VALU_DEP_1)
	v_pk_fma_f32 v[154:155], v[152:153], v[138:139], v[150:151] op_sel:[0,0,1] op_sel_hi:[1,1,0] neg_lo:[0,0,1] neg_hi:[0,0,1]
	v_pk_fma_f32 v[150:151], v[152:153], v[138:139], v[150:151] op_sel:[0,0,1] op_sel_hi:[1,0,0]
	v_mov_b32_e32 v155, v151
	ds_load_2addr_b64 v[150:153], v216 offset0:48 offset1:49
	v_pk_add_f32 v[192:193], v[192:193], v[164:165] neg_lo:[0,1] neg_hi:[0,1]
	v_pk_add_f32 v[188:189], v[188:189], v[154:155] neg_lo:[0,1] neg_hi:[0,1]
	s_wait_dscnt 0x0
	v_pk_mul_f32 v[154:155], v[150:151], v[148:149] op_sel:[0,1]
	s_delay_alu instid0(VALU_DEP_1) | instskip(SKIP_1) | instid1(VALU_DEP_1)
	v_pk_fma_f32 v[164:165], v[150:151], v[138:139], v[154:155] op_sel:[0,0,1] op_sel_hi:[1,1,0] neg_lo:[0,0,1] neg_hi:[0,0,1]
	v_pk_fma_f32 v[150:151], v[150:151], v[138:139], v[154:155] op_sel:[0,0,1] op_sel_hi:[1,0,0]
	v_mov_b32_e32 v165, v151
	v_pk_mul_f32 v[150:151], v[152:153], v[148:149] op_sel:[0,1]
	s_delay_alu instid0(VALU_DEP_1) | instskip(SKIP_1) | instid1(VALU_DEP_1)
	v_pk_fma_f32 v[154:155], v[152:153], v[138:139], v[150:151] op_sel:[0,0,1] op_sel_hi:[1,1,0] neg_lo:[0,0,1] neg_hi:[0,0,1]
	v_pk_fma_f32 v[150:151], v[152:153], v[138:139], v[150:151] op_sel:[0,0,1] op_sel_hi:[1,0,0]
	v_mov_b32_e32 v155, v151
	ds_load_2addr_b64 v[150:153], v216 offset0:50 offset1:51
	v_pk_add_f32 v[214:215], v[214:215], v[164:165] neg_lo:[0,1] neg_hi:[0,1]
	v_pk_add_f32 v[210:211], v[210:211], v[154:155] neg_lo:[0,1] neg_hi:[0,1]
	s_wait_dscnt 0x0
	v_dual_mul_f32 v154, v151, v149 :: v_dual_mul_f32 v164, v151, v138
	s_delay_alu instid0(VALU_DEP_1) | instskip(NEXT) | instid1(VALU_DEP_2)
	v_pk_fma_f32 v[154:155], v[150:151], v[174:175], v[154:155] op_sel_hi:[1,1,0] neg_lo:[0,0,1] neg_hi:[0,0,1]
	v_pk_fma_f32 v[150:151], v[150:151], v[174:175], v[164:165] op_sel:[1,0,0] op_sel_hi:[0,1,0]
	s_delay_alu instid0(VALU_DEP_1) | instskip(SKIP_1) | instid1(VALU_DEP_2)
	v_mov_b32_e32 v155, v151
	v_pk_mul_f32 v[150:151], v[152:153], v[148:149] op_sel:[0,1]
	v_pk_add_f32 v[212:213], v[212:213], v[154:155] neg_lo:[0,1] neg_hi:[0,1]
	s_delay_alu instid0(VALU_DEP_2) | instskip(SKIP_1) | instid1(VALU_DEP_1)
	v_pk_fma_f32 v[154:155], v[152:153], v[138:139], v[150:151] op_sel:[0,0,1] op_sel_hi:[1,1,0] neg_lo:[0,0,1] neg_hi:[0,0,1]
	v_pk_fma_f32 v[150:151], v[152:153], v[138:139], v[150:151] op_sel:[0,0,1] op_sel_hi:[1,0,0]
	v_mov_b32_e32 v155, v151
	ds_load_2addr_b64 v[150:153], v216 offset0:52 offset1:53
	v_pk_add_f32 v[208:209], v[208:209], v[154:155] neg_lo:[0,1] neg_hi:[0,1]
	s_wait_dscnt 0x0
	v_pk_mul_f32 v[154:155], v[150:151], v[148:149] op_sel:[0,1]
	s_delay_alu instid0(VALU_DEP_1) | instskip(SKIP_1) | instid1(VALU_DEP_1)
	v_pk_fma_f32 v[164:165], v[150:151], v[138:139], v[154:155] op_sel:[0,0,1] op_sel_hi:[1,1,0] neg_lo:[0,0,1] neg_hi:[0,0,1]
	v_pk_fma_f32 v[150:151], v[150:151], v[138:139], v[154:155] op_sel:[0,0,1] op_sel_hi:[1,0,0]
	v_mov_b32_e32 v165, v151
	v_pk_mul_f32 v[150:151], v[152:153], v[148:149] op_sel:[0,1]
	s_delay_alu instid0(VALU_DEP_2) | instskip(NEXT) | instid1(VALU_DEP_2)
	v_pk_add_f32 v[236:237], v[236:237], v[164:165] neg_lo:[0,1] neg_hi:[0,1]
	v_pk_fma_f32 v[154:155], v[152:153], v[138:139], v[150:151] op_sel:[0,0,1] op_sel_hi:[1,1,0] neg_lo:[0,0,1] neg_hi:[0,0,1]
	v_pk_fma_f32 v[150:151], v[152:153], v[138:139], v[150:151] op_sel:[0,0,1] op_sel_hi:[1,0,0]
	s_delay_alu instid0(VALU_DEP_1) | instskip(SKIP_4) | instid1(VALU_DEP_1)
	v_mov_b32_e32 v155, v151
	ds_load_2addr_b64 v[150:153], v216 offset0:54 offset1:55
	v_pk_add_f32 v[230:231], v[230:231], v[154:155] neg_lo:[0,1] neg_hi:[0,1]
	s_wait_dscnt 0x0
	v_pk_mul_f32 v[154:155], v[150:151], v[148:149] op_sel:[0,1]
	v_pk_fma_f32 v[164:165], v[150:151], v[138:139], v[154:155] op_sel:[0,0,1] op_sel_hi:[1,1,0] neg_lo:[0,0,1] neg_hi:[0,0,1]
	v_pk_fma_f32 v[150:151], v[150:151], v[138:139], v[154:155] op_sel:[0,0,1] op_sel_hi:[1,0,0]
	v_dual_mul_f32 v154, v153, v149 :: v_dual_mov_b32 v150, v153
	s_delay_alu instid0(VALU_DEP_2) | instskip(NEXT) | instid1(VALU_DEP_2)
	v_dual_mov_b32 v165, v151 :: v_dual_mov_b32 v151, v152
	v_pk_fma_f32 v[154:155], v[152:153], v[174:175], v[154:155] op_sel_hi:[1,1,0] neg_lo:[0,0,1] neg_hi:[0,0,1]
	v_mul_f32_e32 v152, v153, v138
	s_delay_alu instid0(VALU_DEP_3) | instskip(NEXT) | instid1(VALU_DEP_2)
	v_pk_add_f32 v[234:235], v[234:235], v[164:165] neg_lo:[0,1] neg_hi:[0,1]
	v_pk_fma_f32 v[150:151], v[150:151], v[174:175], v[152:153] op_sel_hi:[1,1,0]
	s_delay_alu instid0(VALU_DEP_1) | instskip(SKIP_4) | instid1(VALU_DEP_1)
	v_mov_b32_e32 v155, v151
	ds_load_2addr_b64 v[150:153], v216 offset0:56 offset1:57
	v_pk_add_f32 v[228:229], v[228:229], v[154:155] neg_lo:[0,1] neg_hi:[0,1]
	s_wait_dscnt 0x0
	v_pk_mul_f32 v[154:155], v[150:151], v[148:149] op_sel:[0,1]
	v_pk_fma_f32 v[164:165], v[150:151], v[138:139], v[154:155] op_sel:[0,0,1] op_sel_hi:[1,1,0] neg_lo:[0,0,1] neg_hi:[0,0,1]
	v_pk_fma_f32 v[150:151], v[150:151], v[138:139], v[154:155] op_sel:[0,0,1] op_sel_hi:[1,0,0]
	s_delay_alu instid0(VALU_DEP_1) | instskip(SKIP_1) | instid1(VALU_DEP_1)
	v_mov_b32_e32 v165, v151
	v_pk_mul_f32 v[150:151], v[152:153], v[148:149] op_sel:[0,1]
	v_pk_fma_f32 v[154:155], v[152:153], v[138:139], v[150:151] op_sel:[0,0,1] op_sel_hi:[1,1,0] neg_lo:[0,0,1] neg_hi:[0,0,1]
	v_pk_fma_f32 v[150:151], v[152:153], v[138:139], v[150:151] op_sel:[0,0,1] op_sel_hi:[1,0,0]
	s_delay_alu instid0(VALU_DEP_1)
	v_mov_b32_e32 v155, v151
	ds_load_2addr_b64 v[150:153], v216 offset0:58 offset1:59
	v_pk_add_f32 v[232:233], v[232:233], v[164:165] neg_lo:[0,1] neg_hi:[0,1]
	v_pk_add_f32 v[226:227], v[226:227], v[154:155] neg_lo:[0,1] neg_hi:[0,1]
	s_wait_dscnt 0x0
	v_pk_mul_f32 v[154:155], v[150:151], v[148:149] op_sel:[0,1]
	v_mul_f32_e32 v148, v153, v149
	s_delay_alu instid0(VALU_DEP_2) | instskip(SKIP_2) | instid1(VALU_DEP_4)
	v_pk_fma_f32 v[164:165], v[150:151], v[138:139], v[154:155] op_sel:[0,0,1] op_sel_hi:[1,1,0] neg_lo:[0,0,1] neg_hi:[0,0,1]
	v_pk_fma_f32 v[150:151], v[150:151], v[138:139], v[154:155] op_sel:[0,0,1] op_sel_hi:[1,0,0]
	v_dual_mov_b32 v150, v153 :: v_dual_mul_f32 v138, v153, v138
	v_pk_fma_f32 v[148:149], v[152:153], v[174:175], v[148:149] op_sel_hi:[1,1,0] neg_lo:[0,0,1] neg_hi:[0,0,1]
	s_delay_alu instid0(VALU_DEP_3) | instskip(NEXT) | instid1(VALU_DEP_1)
	v_dual_mov_b32 v165, v151 :: v_dual_mov_b32 v151, v152
	v_pk_add_f32 v[238:239], v[238:239], v[164:165] neg_lo:[0,1] neg_hi:[0,1]
	s_delay_alu instid0(VALU_DEP_2) | instskip(NEXT) | instid1(VALU_DEP_1)
	v_pk_fma_f32 v[138:139], v[150:151], v[174:175], v[138:139] op_sel_hi:[1,1,0]
	v_mov_b32_e32 v149, v139
	s_delay_alu instid0(VALU_DEP_1)
	v_pk_add_f32 v[240:241], v[240:241], v[148:149] neg_lo:[0,1] neg_hi:[0,1]
.LBB119_379:
	s_or_b32 exec_lo, exec_lo, s1
	s_delay_alu instid0(SALU_CYCLE_1)
	s_mov_b32 s2, exec_lo
	s_wait_dscnt 0x0
	s_barrier_signal -1
	s_barrier_wait -1
	v_cmpx_eq_u32_e32 42, v206
	s_cbranch_execz .LBB119_386
; %bb.380:
	ds_store_b64 v207, v[176:177]
	ds_store_2addr_b64 v216, v[172:173], v[194:195] offset0:43 offset1:44
	ds_store_2addr_b64 v216, v[190:191], v[192:193] offset0:45 offset1:46
	;; [unrolled: 1-line block ×8, first 2 shown]
	ds_store_b64 v216, v[240:241] offset:472
	ds_load_b64 v[138:139], v207
	s_wait_dscnt 0x0
	v_cmp_neq_f32_e32 vcc_lo, 0, v138
	v_cmp_neq_f32_e64 s1, 0, v139
	s_or_b32 s1, vcc_lo, s1
	s_delay_alu instid0(SALU_CYCLE_1)
	s_and_b32 exec_lo, exec_lo, s1
	s_cbranch_execz .LBB119_386
; %bb.381:
	v_cmp_ngt_f32_e64 s1, |v138|, |v139|
                                        ; implicit-def: $vgpr148_vgpr149
	s_and_saveexec_b32 s4, s1
	s_delay_alu instid0(SALU_CYCLE_1)
	s_xor_b32 s1, exec_lo, s4
	s_cbranch_execz .LBB119_383
; %bb.382:
	v_div_scale_f32 v148, null, v139, v139, v138
	v_div_scale_f32 v151, vcc_lo, v138, v139, v138
	s_delay_alu instid0(VALU_DEP_2) | instskip(SKIP_1) | instid1(TRANS32_DEP_1)
	v_rcp_f32_e32 v149, v148
	v_nop
	v_fma_f32 v150, -v148, v149, 1.0
	s_delay_alu instid0(VALU_DEP_1) | instskip(NEXT) | instid1(VALU_DEP_1)
	v_fmac_f32_e32 v149, v150, v149
	v_mul_f32_e32 v150, v151, v149
	s_delay_alu instid0(VALU_DEP_1) | instskip(NEXT) | instid1(VALU_DEP_1)
	v_fma_f32 v152, -v148, v150, v151
	v_fmac_f32_e32 v150, v152, v149
	s_delay_alu instid0(VALU_DEP_1) | instskip(NEXT) | instid1(VALU_DEP_1)
	v_fma_f32 v148, -v148, v150, v151
	v_div_fmas_f32 v148, v148, v149, v150
	s_delay_alu instid0(VALU_DEP_1) | instskip(NEXT) | instid1(VALU_DEP_1)
	v_div_fixup_f32 v148, v148, v139, v138
	v_fmac_f32_e32 v139, v138, v148
	s_delay_alu instid0(VALU_DEP_1) | instskip(SKIP_1) | instid1(VALU_DEP_2)
	v_div_scale_f32 v138, null, v139, v139, 1.0
	v_div_scale_f32 v151, vcc_lo, 1.0, v139, 1.0
	v_rcp_f32_e32 v149, v138
	v_nop
	s_delay_alu instid0(TRANS32_DEP_1) | instskip(NEXT) | instid1(VALU_DEP_1)
	v_fma_f32 v150, -v138, v149, 1.0
	v_fmac_f32_e32 v149, v150, v149
	s_delay_alu instid0(VALU_DEP_1) | instskip(NEXT) | instid1(VALU_DEP_1)
	v_mul_f32_e32 v150, v151, v149
	v_fma_f32 v152, -v138, v150, v151
	s_delay_alu instid0(VALU_DEP_1) | instskip(NEXT) | instid1(VALU_DEP_1)
	v_fmac_f32_e32 v150, v152, v149
	v_fma_f32 v138, -v138, v150, v151
	s_delay_alu instid0(VALU_DEP_1) | instskip(NEXT) | instid1(VALU_DEP_1)
	v_div_fmas_f32 v138, v138, v149, v150
	v_div_fixup_f32 v138, v138, v139, 1.0
	s_delay_alu instid0(VALU_DEP_1)
	v_mul_f32_e32 v148, v148, v138
	v_xor_b32_e32 v149, 0x80000000, v138
                                        ; implicit-def: $vgpr138_vgpr139
.LBB119_383:
	s_and_not1_saveexec_b32 s1, s1
	s_cbranch_execz .LBB119_385
; %bb.384:
	v_div_scale_f32 v148, null, v138, v138, v139
	v_div_scale_f32 v151, vcc_lo, v139, v138, v139
	s_delay_alu instid0(VALU_DEP_2) | instskip(SKIP_1) | instid1(TRANS32_DEP_1)
	v_rcp_f32_e32 v149, v148
	v_nop
	v_fma_f32 v150, -v148, v149, 1.0
	s_delay_alu instid0(VALU_DEP_1) | instskip(NEXT) | instid1(VALU_DEP_1)
	v_fmac_f32_e32 v149, v150, v149
	v_mul_f32_e32 v150, v151, v149
	s_delay_alu instid0(VALU_DEP_1) | instskip(NEXT) | instid1(VALU_DEP_1)
	v_fma_f32 v152, -v148, v150, v151
	v_fmac_f32_e32 v150, v152, v149
	s_delay_alu instid0(VALU_DEP_1) | instskip(NEXT) | instid1(VALU_DEP_1)
	v_fma_f32 v148, -v148, v150, v151
	v_div_fmas_f32 v148, v148, v149, v150
	s_delay_alu instid0(VALU_DEP_1) | instskip(NEXT) | instid1(VALU_DEP_1)
	v_div_fixup_f32 v149, v148, v138, v139
	v_fmac_f32_e32 v138, v139, v149
	s_delay_alu instid0(VALU_DEP_1) | instskip(NEXT) | instid1(VALU_DEP_1)
	v_div_scale_f32 v139, null, v138, v138, 1.0
	v_rcp_f32_e32 v148, v139
	v_nop
	s_delay_alu instid0(TRANS32_DEP_1) | instskip(NEXT) | instid1(VALU_DEP_1)
	v_fma_f32 v150, -v139, v148, 1.0
	v_fmac_f32_e32 v148, v150, v148
	v_div_scale_f32 v150, vcc_lo, 1.0, v138, 1.0
	s_delay_alu instid0(VALU_DEP_1) | instskip(NEXT) | instid1(VALU_DEP_1)
	v_mul_f32_e32 v151, v150, v148
	v_fma_f32 v152, -v139, v151, v150
	s_delay_alu instid0(VALU_DEP_1) | instskip(NEXT) | instid1(VALU_DEP_1)
	v_fmac_f32_e32 v151, v152, v148
	v_fma_f32 v139, -v139, v151, v150
	s_delay_alu instid0(VALU_DEP_1) | instskip(NEXT) | instid1(VALU_DEP_1)
	v_div_fmas_f32 v139, v139, v148, v151
	v_div_fixup_f32 v148, v139, v138, 1.0
	s_delay_alu instid0(VALU_DEP_1)
	v_mul_f32_e64 v149, v149, -v148
.LBB119_385:
	s_or_b32 exec_lo, exec_lo, s1
	ds_store_b64 v207, v[148:149]
.LBB119_386:
	s_or_b32 exec_lo, exec_lo, s2
	s_wait_dscnt 0x0
	s_barrier_signal -1
	s_barrier_wait -1
	ds_load_b64 v[138:139], v207
	s_mov_b32 s1, exec_lo
	v_cmpx_lt_u32_e32 42, v206
	s_cbranch_execz .LBB119_388
; %bb.387:
	ds_load_2addr_b64 v[152:155], v216 offset0:43 offset1:44
	s_wait_dscnt 0x1
	v_pk_mul_f32 v[150:151], v[138:139], v[176:177] op_sel:[1,1] op_sel_hi:[0,1]
	s_delay_alu instid0(VALU_DEP_1) | instskip(SKIP_1) | instid1(VALU_DEP_1)
	v_pk_fma_f32 v[148:149], v[138:139], v[176:177], v[150:151] op_sel_hi:[1,0,1] neg_lo:[0,0,1] neg_hi:[0,0,1]
	v_pk_fma_f32 v[150:151], v[138:139], v[176:177], v[150:151] op_sel_hi:[1,0,1]
	v_dual_mov_b32 v176, v148 :: v_dual_mov_b32 v177, v151
	s_wait_dscnt 0x0
	s_delay_alu instid0(VALU_DEP_2) | instskip(NEXT) | instid1(VALU_DEP_1)
	v_pk_mul_f32 v[164:165], v[152:153], v[150:151] op_sel:[0,1]
	v_pk_fma_f32 v[166:167], v[152:153], v[148:149], v[164:165] op_sel:[0,0,1] op_sel_hi:[1,1,0] neg_lo:[0,0,1] neg_hi:[0,0,1]
	v_pk_fma_f32 v[152:153], v[152:153], v[148:149], v[164:165] op_sel:[0,0,1] op_sel_hi:[1,0,0]
	s_delay_alu instid0(VALU_DEP_1) | instskip(SKIP_1) | instid1(VALU_DEP_1)
	v_mov_b32_e32 v167, v153
	v_pk_mul_f32 v[152:153], v[154:155], v[150:151] op_sel:[0,1]
	v_pk_fma_f32 v[164:165], v[154:155], v[148:149], v[152:153] op_sel:[0,0,1] op_sel_hi:[1,1,0] neg_lo:[0,0,1] neg_hi:[0,0,1]
	v_pk_fma_f32 v[152:153], v[154:155], v[148:149], v[152:153] op_sel:[0,0,1] op_sel_hi:[1,0,0]
	s_delay_alu instid0(VALU_DEP_1)
	v_mov_b32_e32 v165, v153
	ds_load_2addr_b64 v[152:155], v216 offset0:45 offset1:46
	v_pk_add_f32 v[172:173], v[172:173], v[166:167] neg_lo:[0,1] neg_hi:[0,1]
	v_pk_add_f32 v[194:195], v[194:195], v[164:165] neg_lo:[0,1] neg_hi:[0,1]
	s_wait_dscnt 0x0
	v_pk_mul_f32 v[164:165], v[152:153], v[150:151] op_sel:[0,1]
	s_delay_alu instid0(VALU_DEP_1) | instskip(SKIP_2) | instid1(VALU_DEP_2)
	v_pk_fma_f32 v[166:167], v[152:153], v[148:149], v[164:165] op_sel:[0,0,1] op_sel_hi:[1,1,0] neg_lo:[0,0,1] neg_hi:[0,0,1]
	v_pk_fma_f32 v[152:153], v[152:153], v[148:149], v[164:165] op_sel:[0,0,1] op_sel_hi:[1,0,0]
	v_dual_mul_f32 v164, v155, v151 :: v_dual_mov_b32 v152, v155
	v_dual_mov_b32 v167, v153 :: v_dual_mov_b32 v153, v154
	s_delay_alu instid0(VALU_DEP_2) | instskip(SKIP_1) | instid1(VALU_DEP_3)
	v_pk_fma_f32 v[164:165], v[154:155], v[176:177], v[164:165] op_sel_hi:[1,1,0] neg_lo:[0,0,1] neg_hi:[0,0,1]
	v_mul_f32_e32 v154, v155, v148
	v_pk_add_f32 v[190:191], v[190:191], v[166:167] neg_lo:[0,1] neg_hi:[0,1]
	s_delay_alu instid0(VALU_DEP_2) | instskip(NEXT) | instid1(VALU_DEP_1)
	v_pk_fma_f32 v[152:153], v[152:153], v[176:177], v[154:155] op_sel_hi:[1,1,0]
	v_mov_b32_e32 v165, v153
	ds_load_2addr_b64 v[152:155], v216 offset0:47 offset1:48
	v_pk_add_f32 v[192:193], v[192:193], v[164:165] neg_lo:[0,1] neg_hi:[0,1]
	s_wait_dscnt 0x0
	v_pk_mul_f32 v[164:165], v[152:153], v[150:151] op_sel:[0,1]
	s_delay_alu instid0(VALU_DEP_1) | instskip(SKIP_1) | instid1(VALU_DEP_1)
	v_pk_fma_f32 v[166:167], v[152:153], v[148:149], v[164:165] op_sel:[0,0,1] op_sel_hi:[1,1,0] neg_lo:[0,0,1] neg_hi:[0,0,1]
	v_pk_fma_f32 v[152:153], v[152:153], v[148:149], v[164:165] op_sel:[0,0,1] op_sel_hi:[1,0,0]
	v_mov_b32_e32 v167, v153
	v_pk_mul_f32 v[152:153], v[154:155], v[150:151] op_sel:[0,1]
	s_delay_alu instid0(VALU_DEP_1) | instskip(SKIP_1) | instid1(VALU_DEP_1)
	v_pk_fma_f32 v[164:165], v[154:155], v[148:149], v[152:153] op_sel:[0,0,1] op_sel_hi:[1,1,0] neg_lo:[0,0,1] neg_hi:[0,0,1]
	v_pk_fma_f32 v[152:153], v[154:155], v[148:149], v[152:153] op_sel:[0,0,1] op_sel_hi:[1,0,0]
	v_mov_b32_e32 v165, v153
	ds_load_2addr_b64 v[152:155], v216 offset0:49 offset1:50
	v_pk_add_f32 v[188:189], v[188:189], v[166:167] neg_lo:[0,1] neg_hi:[0,1]
	v_pk_add_f32 v[214:215], v[214:215], v[164:165] neg_lo:[0,1] neg_hi:[0,1]
	s_wait_dscnt 0x0
	v_pk_mul_f32 v[164:165], v[152:153], v[150:151] op_sel:[0,1]
	s_delay_alu instid0(VALU_DEP_1) | instskip(SKIP_1) | instid1(VALU_DEP_1)
	v_pk_fma_f32 v[166:167], v[152:153], v[148:149], v[164:165] op_sel:[0,0,1] op_sel_hi:[1,1,0] neg_lo:[0,0,1] neg_hi:[0,0,1]
	v_pk_fma_f32 v[152:153], v[152:153], v[148:149], v[164:165] op_sel:[0,0,1] op_sel_hi:[1,0,0]
	v_mov_b32_e32 v167, v153
	v_pk_mul_f32 v[152:153], v[154:155], v[150:151] op_sel:[0,1]
	s_delay_alu instid0(VALU_DEP_1) | instskip(SKIP_1) | instid1(VALU_DEP_1)
	v_pk_fma_f32 v[164:165], v[154:155], v[148:149], v[152:153] op_sel:[0,0,1] op_sel_hi:[1,1,0] neg_lo:[0,0,1] neg_hi:[0,0,1]
	v_pk_fma_f32 v[152:153], v[154:155], v[148:149], v[152:153] op_sel:[0,0,1] op_sel_hi:[1,0,0]
	v_mov_b32_e32 v165, v153
	ds_load_2addr_b64 v[152:155], v216 offset0:51 offset1:52
	v_pk_add_f32 v[210:211], v[210:211], v[166:167] neg_lo:[0,1] neg_hi:[0,1]
	v_pk_add_f32 v[212:213], v[212:213], v[164:165] neg_lo:[0,1] neg_hi:[0,1]
	s_wait_dscnt 0x0
	v_dual_mul_f32 v164, v153, v151 :: v_dual_mul_f32 v166, v153, v148
	s_delay_alu instid0(VALU_DEP_1) | instskip(NEXT) | instid1(VALU_DEP_2)
	v_pk_fma_f32 v[164:165], v[152:153], v[176:177], v[164:165] op_sel_hi:[1,1,0] neg_lo:[0,0,1] neg_hi:[0,0,1]
	v_pk_fma_f32 v[152:153], v[152:153], v[176:177], v[166:167] op_sel:[1,0,0] op_sel_hi:[0,1,0]
	s_delay_alu instid0(VALU_DEP_1) | instskip(SKIP_1) | instid1(VALU_DEP_2)
	v_mov_b32_e32 v165, v153
	v_pk_mul_f32 v[152:153], v[154:155], v[150:151] op_sel:[0,1]
	v_pk_add_f32 v[208:209], v[208:209], v[164:165] neg_lo:[0,1] neg_hi:[0,1]
	s_delay_alu instid0(VALU_DEP_2) | instskip(SKIP_1) | instid1(VALU_DEP_1)
	v_pk_fma_f32 v[164:165], v[154:155], v[148:149], v[152:153] op_sel:[0,0,1] op_sel_hi:[1,1,0] neg_lo:[0,0,1] neg_hi:[0,0,1]
	v_pk_fma_f32 v[152:153], v[154:155], v[148:149], v[152:153] op_sel:[0,0,1] op_sel_hi:[1,0,0]
	v_mov_b32_e32 v165, v153
	ds_load_2addr_b64 v[152:155], v216 offset0:53 offset1:54
	v_pk_add_f32 v[236:237], v[236:237], v[164:165] neg_lo:[0,1] neg_hi:[0,1]
	s_wait_dscnt 0x0
	v_pk_mul_f32 v[164:165], v[152:153], v[150:151] op_sel:[0,1]
	s_delay_alu instid0(VALU_DEP_1) | instskip(SKIP_1) | instid1(VALU_DEP_1)
	v_pk_fma_f32 v[166:167], v[152:153], v[148:149], v[164:165] op_sel:[0,0,1] op_sel_hi:[1,1,0] neg_lo:[0,0,1] neg_hi:[0,0,1]
	v_pk_fma_f32 v[152:153], v[152:153], v[148:149], v[164:165] op_sel:[0,0,1] op_sel_hi:[1,0,0]
	v_mov_b32_e32 v167, v153
	v_pk_mul_f32 v[152:153], v[154:155], v[150:151] op_sel:[0,1]
	s_delay_alu instid0(VALU_DEP_2) | instskip(NEXT) | instid1(VALU_DEP_2)
	v_pk_add_f32 v[230:231], v[230:231], v[166:167] neg_lo:[0,1] neg_hi:[0,1]
	v_pk_fma_f32 v[164:165], v[154:155], v[148:149], v[152:153] op_sel:[0,0,1] op_sel_hi:[1,1,0] neg_lo:[0,0,1] neg_hi:[0,0,1]
	v_pk_fma_f32 v[152:153], v[154:155], v[148:149], v[152:153] op_sel:[0,0,1] op_sel_hi:[1,0,0]
	s_delay_alu instid0(VALU_DEP_1) | instskip(SKIP_4) | instid1(VALU_DEP_1)
	v_mov_b32_e32 v165, v153
	ds_load_2addr_b64 v[152:155], v216 offset0:55 offset1:56
	v_pk_add_f32 v[234:235], v[234:235], v[164:165] neg_lo:[0,1] neg_hi:[0,1]
	s_wait_dscnt 0x0
	v_pk_mul_f32 v[164:165], v[152:153], v[150:151] op_sel:[0,1]
	v_pk_fma_f32 v[166:167], v[152:153], v[148:149], v[164:165] op_sel:[0,0,1] op_sel_hi:[1,1,0] neg_lo:[0,0,1] neg_hi:[0,0,1]
	v_pk_fma_f32 v[152:153], v[152:153], v[148:149], v[164:165] op_sel:[0,0,1] op_sel_hi:[1,0,0]
	v_dual_mul_f32 v164, v155, v151 :: v_dual_mov_b32 v152, v155
	s_delay_alu instid0(VALU_DEP_2) | instskip(NEXT) | instid1(VALU_DEP_2)
	v_dual_mov_b32 v167, v153 :: v_dual_mov_b32 v153, v154
	v_pk_fma_f32 v[164:165], v[154:155], v[176:177], v[164:165] op_sel_hi:[1,1,0] neg_lo:[0,0,1] neg_hi:[0,0,1]
	v_mul_f32_e32 v154, v155, v148
	s_delay_alu instid0(VALU_DEP_3) | instskip(NEXT) | instid1(VALU_DEP_2)
	v_pk_add_f32 v[228:229], v[228:229], v[166:167] neg_lo:[0,1] neg_hi:[0,1]
	v_pk_fma_f32 v[152:153], v[152:153], v[176:177], v[154:155] op_sel_hi:[1,1,0]
	s_delay_alu instid0(VALU_DEP_1) | instskip(SKIP_4) | instid1(VALU_DEP_1)
	v_mov_b32_e32 v165, v153
	ds_load_2addr_b64 v[152:155], v216 offset0:57 offset1:58
	v_pk_add_f32 v[232:233], v[232:233], v[164:165] neg_lo:[0,1] neg_hi:[0,1]
	s_wait_dscnt 0x0
	v_pk_mul_f32 v[164:165], v[152:153], v[150:151] op_sel:[0,1]
	v_pk_fma_f32 v[166:167], v[152:153], v[148:149], v[164:165] op_sel:[0,0,1] op_sel_hi:[1,1,0] neg_lo:[0,0,1] neg_hi:[0,0,1]
	v_pk_fma_f32 v[152:153], v[152:153], v[148:149], v[164:165] op_sel:[0,0,1] op_sel_hi:[1,0,0]
	s_delay_alu instid0(VALU_DEP_1) | instskip(SKIP_1) | instid1(VALU_DEP_1)
	v_mov_b32_e32 v167, v153
	v_pk_mul_f32 v[152:153], v[154:155], v[150:151] op_sel:[0,1]
	v_pk_fma_f32 v[164:165], v[154:155], v[148:149], v[152:153] op_sel:[0,0,1] op_sel_hi:[1,1,0] neg_lo:[0,0,1] neg_hi:[0,0,1]
	v_pk_fma_f32 v[152:153], v[154:155], v[148:149], v[152:153] op_sel:[0,0,1] op_sel_hi:[1,0,0]
	s_delay_alu instid0(VALU_DEP_1)
	v_mov_b32_e32 v165, v153
	ds_load_b64 v[152:153], v216 offset:472
	v_pk_add_f32 v[226:227], v[226:227], v[166:167] neg_lo:[0,1] neg_hi:[0,1]
	v_pk_add_f32 v[238:239], v[238:239], v[164:165] neg_lo:[0,1] neg_hi:[0,1]
	s_wait_dscnt 0x0
	v_pk_mul_f32 v[150:151], v[152:153], v[150:151] op_sel:[0,1]
	s_delay_alu instid0(VALU_DEP_1) | instskip(SKIP_1) | instid1(VALU_DEP_1)
	v_pk_fma_f32 v[154:155], v[152:153], v[148:149], v[150:151] op_sel:[0,0,1] op_sel_hi:[1,1,0] neg_lo:[0,0,1] neg_hi:[0,0,1]
	v_pk_fma_f32 v[148:149], v[152:153], v[148:149], v[150:151] op_sel:[0,0,1] op_sel_hi:[1,0,0]
	v_mov_b32_e32 v155, v149
	s_delay_alu instid0(VALU_DEP_1)
	v_pk_add_f32 v[240:241], v[240:241], v[154:155] neg_lo:[0,1] neg_hi:[0,1]
.LBB119_388:
	s_or_b32 exec_lo, exec_lo, s1
	s_delay_alu instid0(SALU_CYCLE_1)
	s_mov_b32 s2, exec_lo
	s_wait_dscnt 0x0
	s_barrier_signal -1
	s_barrier_wait -1
	v_cmpx_eq_u32_e32 43, v206
	s_cbranch_execz .LBB119_395
; %bb.389:
	v_dual_mov_b32 v148, v194 :: v_dual_mov_b32 v149, v195
	v_dual_mov_b32 v150, v190 :: v_dual_mov_b32 v151, v191
	ds_store_b64 v207, v[172:173]
	ds_store_2addr_b64 v216, v[148:149], v[150:151] offset0:44 offset1:45
	v_dual_mov_b32 v148, v192 :: v_dual_mov_b32 v149, v193
	v_dual_mov_b32 v150, v188 :: v_dual_mov_b32 v151, v189
	ds_store_2addr_b64 v216, v[148:149], v[150:151] offset0:46 offset1:47
	v_dual_mov_b32 v148, v214 :: v_dual_mov_b32 v149, v215
	v_dual_mov_b32 v150, v210 :: v_dual_mov_b32 v151, v211
	;; [unrolled: 3-line block ×6, first 2 shown]
	ds_store_2addr_b64 v216, v[148:149], v[150:151] offset0:56 offset1:57
	v_dual_mov_b32 v148, v238 :: v_dual_mov_b32 v149, v239
	ds_store_2addr_b64 v216, v[148:149], v[240:241] offset0:58 offset1:59
	ds_load_b64 v[148:149], v207
	s_wait_dscnt 0x0
	v_cmp_neq_f32_e32 vcc_lo, 0, v148
	v_cmp_neq_f32_e64 s1, 0, v149
	s_or_b32 s1, vcc_lo, s1
	s_delay_alu instid0(SALU_CYCLE_1)
	s_and_b32 exec_lo, exec_lo, s1
	s_cbranch_execz .LBB119_395
; %bb.390:
	v_cmp_ngt_f32_e64 s1, |v148|, |v149|
                                        ; implicit-def: $vgpr150_vgpr151
	s_and_saveexec_b32 s4, s1
	s_delay_alu instid0(SALU_CYCLE_1)
	s_xor_b32 s1, exec_lo, s4
	s_cbranch_execz .LBB119_392
; %bb.391:
	v_div_scale_f32 v150, null, v149, v149, v148
	v_div_scale_f32 v153, vcc_lo, v148, v149, v148
	s_delay_alu instid0(VALU_DEP_2) | instskip(SKIP_1) | instid1(TRANS32_DEP_1)
	v_rcp_f32_e32 v151, v150
	v_nop
	v_fma_f32 v152, -v150, v151, 1.0
	s_delay_alu instid0(VALU_DEP_1) | instskip(NEXT) | instid1(VALU_DEP_1)
	v_fmac_f32_e32 v151, v152, v151
	v_mul_f32_e32 v152, v153, v151
	s_delay_alu instid0(VALU_DEP_1) | instskip(NEXT) | instid1(VALU_DEP_1)
	v_fma_f32 v154, -v150, v152, v153
	v_fmac_f32_e32 v152, v154, v151
	s_delay_alu instid0(VALU_DEP_1) | instskip(NEXT) | instid1(VALU_DEP_1)
	v_fma_f32 v150, -v150, v152, v153
	v_div_fmas_f32 v150, v150, v151, v152
	s_delay_alu instid0(VALU_DEP_1) | instskip(NEXT) | instid1(VALU_DEP_1)
	v_div_fixup_f32 v150, v150, v149, v148
	v_fmac_f32_e32 v149, v148, v150
	s_delay_alu instid0(VALU_DEP_1) | instskip(SKIP_1) | instid1(VALU_DEP_2)
	v_div_scale_f32 v148, null, v149, v149, 1.0
	v_div_scale_f32 v153, vcc_lo, 1.0, v149, 1.0
	v_rcp_f32_e32 v151, v148
	v_nop
	s_delay_alu instid0(TRANS32_DEP_1) | instskip(NEXT) | instid1(VALU_DEP_1)
	v_fma_f32 v152, -v148, v151, 1.0
	v_fmac_f32_e32 v151, v152, v151
	s_delay_alu instid0(VALU_DEP_1) | instskip(NEXT) | instid1(VALU_DEP_1)
	v_mul_f32_e32 v152, v153, v151
	v_fma_f32 v154, -v148, v152, v153
	s_delay_alu instid0(VALU_DEP_1) | instskip(NEXT) | instid1(VALU_DEP_1)
	v_fmac_f32_e32 v152, v154, v151
	v_fma_f32 v148, -v148, v152, v153
	s_delay_alu instid0(VALU_DEP_1) | instskip(NEXT) | instid1(VALU_DEP_1)
	v_div_fmas_f32 v148, v148, v151, v152
	v_div_fixup_f32 v148, v148, v149, 1.0
	s_delay_alu instid0(VALU_DEP_1)
	v_mul_f32_e32 v150, v150, v148
	v_xor_b32_e32 v151, 0x80000000, v148
                                        ; implicit-def: $vgpr148_vgpr149
.LBB119_392:
	s_and_not1_saveexec_b32 s1, s1
	s_cbranch_execz .LBB119_394
; %bb.393:
	v_div_scale_f32 v150, null, v148, v148, v149
	v_div_scale_f32 v153, vcc_lo, v149, v148, v149
	s_delay_alu instid0(VALU_DEP_2) | instskip(SKIP_1) | instid1(TRANS32_DEP_1)
	v_rcp_f32_e32 v151, v150
	v_nop
	v_fma_f32 v152, -v150, v151, 1.0
	s_delay_alu instid0(VALU_DEP_1) | instskip(NEXT) | instid1(VALU_DEP_1)
	v_fmac_f32_e32 v151, v152, v151
	v_mul_f32_e32 v152, v153, v151
	s_delay_alu instid0(VALU_DEP_1) | instskip(NEXT) | instid1(VALU_DEP_1)
	v_fma_f32 v154, -v150, v152, v153
	v_fmac_f32_e32 v152, v154, v151
	s_delay_alu instid0(VALU_DEP_1) | instskip(NEXT) | instid1(VALU_DEP_1)
	v_fma_f32 v150, -v150, v152, v153
	v_div_fmas_f32 v150, v150, v151, v152
	s_delay_alu instid0(VALU_DEP_1) | instskip(NEXT) | instid1(VALU_DEP_1)
	v_div_fixup_f32 v151, v150, v148, v149
	v_fmac_f32_e32 v148, v149, v151
	s_delay_alu instid0(VALU_DEP_1) | instskip(NEXT) | instid1(VALU_DEP_1)
	v_div_scale_f32 v149, null, v148, v148, 1.0
	v_rcp_f32_e32 v150, v149
	v_nop
	s_delay_alu instid0(TRANS32_DEP_1) | instskip(NEXT) | instid1(VALU_DEP_1)
	v_fma_f32 v152, -v149, v150, 1.0
	v_fmac_f32_e32 v150, v152, v150
	v_div_scale_f32 v152, vcc_lo, 1.0, v148, 1.0
	s_delay_alu instid0(VALU_DEP_1) | instskip(NEXT) | instid1(VALU_DEP_1)
	v_mul_f32_e32 v153, v152, v150
	v_fma_f32 v154, -v149, v153, v152
	s_delay_alu instid0(VALU_DEP_1) | instskip(NEXT) | instid1(VALU_DEP_1)
	v_fmac_f32_e32 v153, v154, v150
	v_fma_f32 v149, -v149, v153, v152
	s_delay_alu instid0(VALU_DEP_1) | instskip(NEXT) | instid1(VALU_DEP_1)
	v_div_fmas_f32 v149, v149, v150, v153
	v_div_fixup_f32 v150, v149, v148, 1.0
	s_delay_alu instid0(VALU_DEP_1)
	v_mul_f32_e64 v151, v151, -v150
.LBB119_394:
	s_or_b32 exec_lo, exec_lo, s1
	ds_store_b64 v207, v[150:151]
.LBB119_395:
	s_or_b32 exec_lo, exec_lo, s2
	s_wait_dscnt 0x0
	s_barrier_signal -1
	s_barrier_wait -1
	ds_load_b64 v[148:149], v207
	s_mov_b32 s1, exec_lo
	v_cmpx_lt_u32_e32 43, v206
	s_cbranch_execz .LBB119_397
; %bb.396:
	ds_load_2addr_b64 v[164:167], v216 offset0:44 offset1:45
	s_wait_dscnt 0x1
	v_pk_mul_f32 v[152:153], v[148:149], v[172:173] op_sel:[1,1] op_sel_hi:[0,1]
	s_delay_alu instid0(VALU_DEP_1) | instskip(SKIP_1) | instid1(VALU_DEP_1)
	v_pk_fma_f32 v[150:151], v[148:149], v[172:173], v[152:153] op_sel_hi:[1,0,1] neg_lo:[0,0,1] neg_hi:[0,0,1]
	v_pk_fma_f32 v[152:153], v[148:149], v[172:173], v[152:153] op_sel_hi:[1,0,1]
	v_dual_mov_b32 v172, v150 :: v_dual_mov_b32 v173, v153
	s_wait_dscnt 0x0
	s_delay_alu instid0(VALU_DEP_2) | instskip(NEXT) | instid1(VALU_DEP_1)
	v_pk_mul_f32 v[154:155], v[164:165], v[152:153] op_sel:[0,1]
	v_pk_fma_f32 v[168:169], v[164:165], v[150:151], v[154:155] op_sel:[0,0,1] op_sel_hi:[1,1,0] neg_lo:[0,0,1] neg_hi:[0,0,1]
	v_pk_fma_f32 v[154:155], v[164:165], v[150:151], v[154:155] op_sel:[0,0,1] op_sel_hi:[1,0,0]
	s_delay_alu instid0(VALU_DEP_1) | instskip(SKIP_1) | instid1(VALU_DEP_1)
	v_mov_b32_e32 v169, v155
	v_pk_mul_f32 v[154:155], v[166:167], v[152:153] op_sel:[0,1]
	v_pk_fma_f32 v[164:165], v[166:167], v[150:151], v[154:155] op_sel:[0,0,1] op_sel_hi:[1,1,0] neg_lo:[0,0,1] neg_hi:[0,0,1]
	v_pk_fma_f32 v[154:155], v[166:167], v[150:151], v[154:155] op_sel:[0,0,1] op_sel_hi:[1,0,0]
	s_delay_alu instid0(VALU_DEP_1) | instskip(SKIP_1) | instid1(VALU_DEP_2)
	v_mov_b32_e32 v165, v155
	v_pk_add_f32 v[194:195], v[194:195], v[168:169] neg_lo:[0,1] neg_hi:[0,1]
	v_pk_add_f32 v[190:191], v[190:191], v[164:165] neg_lo:[0,1] neg_hi:[0,1]
	ds_load_2addr_b64 v[164:167], v216 offset0:46 offset1:47
	s_wait_dscnt 0x0
	v_pk_mul_f32 v[154:155], v[164:165], v[152:153] op_sel:[0,1]
	s_delay_alu instid0(VALU_DEP_1) | instskip(SKIP_2) | instid1(VALU_DEP_2)
	v_pk_fma_f32 v[168:169], v[164:165], v[150:151], v[154:155] op_sel:[0,0,1] op_sel_hi:[1,1,0] neg_lo:[0,0,1] neg_hi:[0,0,1]
	v_pk_fma_f32 v[154:155], v[164:165], v[150:151], v[154:155] op_sel:[0,0,1] op_sel_hi:[1,0,0]
	v_dual_mul_f32 v164, v167, v153 :: v_dual_mov_b32 v154, v167
	v_dual_mov_b32 v169, v155 :: v_dual_mov_b32 v155, v166
	s_delay_alu instid0(VALU_DEP_2) | instskip(SKIP_1) | instid1(VALU_DEP_3)
	v_pk_fma_f32 v[164:165], v[166:167], v[172:173], v[164:165] op_sel_hi:[1,1,0] neg_lo:[0,0,1] neg_hi:[0,0,1]
	v_mul_f32_e32 v166, v167, v150
	v_pk_add_f32 v[192:193], v[192:193], v[168:169] neg_lo:[0,1] neg_hi:[0,1]
	s_delay_alu instid0(VALU_DEP_2) | instskip(NEXT) | instid1(VALU_DEP_1)
	v_pk_fma_f32 v[154:155], v[154:155], v[172:173], v[166:167] op_sel_hi:[1,1,0]
	v_mov_b32_e32 v165, v155
	s_delay_alu instid0(VALU_DEP_1) | instskip(SKIP_3) | instid1(VALU_DEP_1)
	v_pk_add_f32 v[188:189], v[188:189], v[164:165] neg_lo:[0,1] neg_hi:[0,1]
	ds_load_2addr_b64 v[164:167], v216 offset0:48 offset1:49
	s_wait_dscnt 0x0
	v_pk_mul_f32 v[154:155], v[164:165], v[152:153] op_sel:[0,1]
	v_pk_fma_f32 v[168:169], v[164:165], v[150:151], v[154:155] op_sel:[0,0,1] op_sel_hi:[1,1,0] neg_lo:[0,0,1] neg_hi:[0,0,1]
	v_pk_fma_f32 v[154:155], v[164:165], v[150:151], v[154:155] op_sel:[0,0,1] op_sel_hi:[1,0,0]
	s_delay_alu instid0(VALU_DEP_1) | instskip(SKIP_1) | instid1(VALU_DEP_2)
	v_mov_b32_e32 v169, v155
	v_pk_mul_f32 v[154:155], v[166:167], v[152:153] op_sel:[0,1]
	v_pk_add_f32 v[214:215], v[214:215], v[168:169] neg_lo:[0,1] neg_hi:[0,1]
	s_delay_alu instid0(VALU_DEP_2) | instskip(SKIP_1) | instid1(VALU_DEP_1)
	v_pk_fma_f32 v[164:165], v[166:167], v[150:151], v[154:155] op_sel:[0,0,1] op_sel_hi:[1,1,0] neg_lo:[0,0,1] neg_hi:[0,0,1]
	v_pk_fma_f32 v[154:155], v[166:167], v[150:151], v[154:155] op_sel:[0,0,1] op_sel_hi:[1,0,0]
	v_mov_b32_e32 v165, v155
	s_delay_alu instid0(VALU_DEP_1) | instskip(SKIP_3) | instid1(VALU_DEP_1)
	v_pk_add_f32 v[210:211], v[210:211], v[164:165] neg_lo:[0,1] neg_hi:[0,1]
	ds_load_2addr_b64 v[164:167], v216 offset0:50 offset1:51
	s_wait_dscnt 0x0
	v_pk_mul_f32 v[154:155], v[164:165], v[152:153] op_sel:[0,1]
	v_pk_fma_f32 v[168:169], v[164:165], v[150:151], v[154:155] op_sel:[0,0,1] op_sel_hi:[1,1,0] neg_lo:[0,0,1] neg_hi:[0,0,1]
	v_pk_fma_f32 v[154:155], v[164:165], v[150:151], v[154:155] op_sel:[0,0,1] op_sel_hi:[1,0,0]
	s_delay_alu instid0(VALU_DEP_1) | instskip(SKIP_1) | instid1(VALU_DEP_2)
	v_mov_b32_e32 v169, v155
	v_pk_mul_f32 v[154:155], v[166:167], v[152:153] op_sel:[0,1]
	v_pk_add_f32 v[212:213], v[212:213], v[168:169] neg_lo:[0,1] neg_hi:[0,1]
	s_delay_alu instid0(VALU_DEP_2) | instskip(SKIP_1) | instid1(VALU_DEP_1)
	v_pk_fma_f32 v[164:165], v[166:167], v[150:151], v[154:155] op_sel:[0,0,1] op_sel_hi:[1,1,0] neg_lo:[0,0,1] neg_hi:[0,0,1]
	v_pk_fma_f32 v[154:155], v[166:167], v[150:151], v[154:155] op_sel:[0,0,1] op_sel_hi:[1,0,0]
	v_mov_b32_e32 v165, v155
	s_delay_alu instid0(VALU_DEP_1) | instskip(SKIP_3) | instid1(VALU_DEP_1)
	v_pk_add_f32 v[208:209], v[208:209], v[164:165] neg_lo:[0,1] neg_hi:[0,1]
	ds_load_2addr_b64 v[164:167], v216 offset0:52 offset1:53
	s_wait_dscnt 0x0
	v_dual_mul_f32 v154, v165, v153 :: v_dual_mul_f32 v168, v165, v150
	v_pk_fma_f32 v[154:155], v[164:165], v[172:173], v[154:155] op_sel_hi:[1,1,0] neg_lo:[0,0,1] neg_hi:[0,0,1]
	s_delay_alu instid0(VALU_DEP_2) | instskip(NEXT) | instid1(VALU_DEP_1)
	v_pk_fma_f32 v[164:165], v[164:165], v[172:173], v[168:169] op_sel:[1,0,0] op_sel_hi:[0,1,0]
	v_mov_b32_e32 v155, v165
	s_delay_alu instid0(VALU_DEP_1) | instskip(SKIP_1) | instid1(VALU_DEP_1)
	v_pk_add_f32 v[236:237], v[236:237], v[154:155] neg_lo:[0,1] neg_hi:[0,1]
	v_pk_mul_f32 v[154:155], v[166:167], v[152:153] op_sel:[0,1]
	v_pk_fma_f32 v[164:165], v[166:167], v[150:151], v[154:155] op_sel:[0,0,1] op_sel_hi:[1,1,0] neg_lo:[0,0,1] neg_hi:[0,0,1]
	v_pk_fma_f32 v[154:155], v[166:167], v[150:151], v[154:155] op_sel:[0,0,1] op_sel_hi:[1,0,0]
	s_delay_alu instid0(VALU_DEP_1) | instskip(NEXT) | instid1(VALU_DEP_1)
	v_mov_b32_e32 v165, v155
	v_pk_add_f32 v[230:231], v[230:231], v[164:165] neg_lo:[0,1] neg_hi:[0,1]
	ds_load_2addr_b64 v[164:167], v216 offset0:54 offset1:55
	s_wait_dscnt 0x0
	v_pk_mul_f32 v[154:155], v[164:165], v[152:153] op_sel:[0,1]
	s_delay_alu instid0(VALU_DEP_1) | instskip(SKIP_1) | instid1(VALU_DEP_1)
	v_pk_fma_f32 v[168:169], v[164:165], v[150:151], v[154:155] op_sel:[0,0,1] op_sel_hi:[1,1,0] neg_lo:[0,0,1] neg_hi:[0,0,1]
	v_pk_fma_f32 v[154:155], v[164:165], v[150:151], v[154:155] op_sel:[0,0,1] op_sel_hi:[1,0,0]
	v_mov_b32_e32 v169, v155
	v_pk_mul_f32 v[154:155], v[166:167], v[152:153] op_sel:[0,1]
	s_delay_alu instid0(VALU_DEP_2) | instskip(NEXT) | instid1(VALU_DEP_2)
	v_pk_add_f32 v[234:235], v[234:235], v[168:169] neg_lo:[0,1] neg_hi:[0,1]
	v_pk_fma_f32 v[164:165], v[166:167], v[150:151], v[154:155] op_sel:[0,0,1] op_sel_hi:[1,1,0] neg_lo:[0,0,1] neg_hi:[0,0,1]
	v_pk_fma_f32 v[154:155], v[166:167], v[150:151], v[154:155] op_sel:[0,0,1] op_sel_hi:[1,0,0]
	s_delay_alu instid0(VALU_DEP_1) | instskip(NEXT) | instid1(VALU_DEP_1)
	v_mov_b32_e32 v165, v155
	v_pk_add_f32 v[228:229], v[228:229], v[164:165] neg_lo:[0,1] neg_hi:[0,1]
	ds_load_2addr_b64 v[164:167], v216 offset0:56 offset1:57
	s_wait_dscnt 0x0
	v_pk_mul_f32 v[154:155], v[164:165], v[152:153] op_sel:[0,1]
	s_delay_alu instid0(VALU_DEP_1) | instskip(SKIP_2) | instid1(VALU_DEP_2)
	v_pk_fma_f32 v[168:169], v[164:165], v[150:151], v[154:155] op_sel:[0,0,1] op_sel_hi:[1,1,0] neg_lo:[0,0,1] neg_hi:[0,0,1]
	v_pk_fma_f32 v[154:155], v[164:165], v[150:151], v[154:155] op_sel:[0,0,1] op_sel_hi:[1,0,0]
	v_dual_mul_f32 v164, v167, v153 :: v_dual_mov_b32 v154, v167
	v_dual_mov_b32 v169, v155 :: v_dual_mov_b32 v155, v166
	s_delay_alu instid0(VALU_DEP_2) | instskip(SKIP_1) | instid1(VALU_DEP_3)
	v_pk_fma_f32 v[164:165], v[166:167], v[172:173], v[164:165] op_sel_hi:[1,1,0] neg_lo:[0,0,1] neg_hi:[0,0,1]
	v_mul_f32_e32 v166, v167, v150
	v_pk_add_f32 v[232:233], v[232:233], v[168:169] neg_lo:[0,1] neg_hi:[0,1]
	s_delay_alu instid0(VALU_DEP_2) | instskip(NEXT) | instid1(VALU_DEP_1)
	v_pk_fma_f32 v[154:155], v[154:155], v[172:173], v[166:167] op_sel_hi:[1,1,0]
	v_mov_b32_e32 v165, v155
	s_delay_alu instid0(VALU_DEP_1) | instskip(SKIP_4) | instid1(VALU_DEP_2)
	v_pk_add_f32 v[226:227], v[226:227], v[164:165] neg_lo:[0,1] neg_hi:[0,1]
	ds_load_2addr_b64 v[164:167], v216 offset0:58 offset1:59
	s_wait_dscnt 0x0
	v_pk_mul_f32 v[154:155], v[164:165], v[152:153] op_sel:[0,1]
	v_pk_mul_f32 v[152:153], v[166:167], v[152:153] op_sel:[0,1]
	v_pk_fma_f32 v[168:169], v[164:165], v[150:151], v[154:155] op_sel:[0,0,1] op_sel_hi:[1,1,0] neg_lo:[0,0,1] neg_hi:[0,0,1]
	v_pk_fma_f32 v[154:155], v[164:165], v[150:151], v[154:155] op_sel:[0,0,1] op_sel_hi:[1,0,0]
	s_delay_alu instid0(VALU_DEP_1) | instskip(NEXT) | instid1(VALU_DEP_4)
	v_mov_b32_e32 v169, v155
	v_pk_fma_f32 v[154:155], v[166:167], v[150:151], v[152:153] op_sel:[0,0,1] op_sel_hi:[1,1,0] neg_lo:[0,0,1] neg_hi:[0,0,1]
	v_pk_fma_f32 v[150:151], v[166:167], v[150:151], v[152:153] op_sel:[0,0,1] op_sel_hi:[1,0,0]
	s_delay_alu instid0(VALU_DEP_3) | instskip(NEXT) | instid1(VALU_DEP_2)
	v_pk_add_f32 v[238:239], v[238:239], v[168:169] neg_lo:[0,1] neg_hi:[0,1]
	v_mov_b32_e32 v155, v151
	s_delay_alu instid0(VALU_DEP_1)
	v_pk_add_f32 v[240:241], v[240:241], v[154:155] neg_lo:[0,1] neg_hi:[0,1]
.LBB119_397:
	s_or_b32 exec_lo, exec_lo, s1
	s_delay_alu instid0(SALU_CYCLE_1)
	s_mov_b32 s2, exec_lo
	s_wait_dscnt 0x0
	s_barrier_signal -1
	s_barrier_wait -1
	v_cmpx_eq_u32_e32 44, v206
	s_cbranch_execz .LBB119_404
; %bb.398:
	ds_store_b64 v207, v[194:195]
	ds_store_2addr_b64 v216, v[190:191], v[192:193] offset0:45 offset1:46
	ds_store_2addr_b64 v216, v[188:189], v[214:215] offset0:47 offset1:48
	;; [unrolled: 1-line block ×7, first 2 shown]
	ds_store_b64 v216, v[240:241] offset:472
	ds_load_b64 v[150:151], v207
	s_wait_dscnt 0x0
	v_cmp_neq_f32_e32 vcc_lo, 0, v150
	v_cmp_neq_f32_e64 s1, 0, v151
	s_or_b32 s1, vcc_lo, s1
	s_delay_alu instid0(SALU_CYCLE_1)
	s_and_b32 exec_lo, exec_lo, s1
	s_cbranch_execz .LBB119_404
; %bb.399:
	v_cmp_ngt_f32_e64 s1, |v150|, |v151|
                                        ; implicit-def: $vgpr152_vgpr153
	s_and_saveexec_b32 s4, s1
	s_delay_alu instid0(SALU_CYCLE_1)
	s_xor_b32 s1, exec_lo, s4
	s_cbranch_execz .LBB119_401
; %bb.400:
	v_div_scale_f32 v152, null, v151, v151, v150
	v_div_scale_f32 v155, vcc_lo, v150, v151, v150
	s_delay_alu instid0(VALU_DEP_2) | instskip(SKIP_1) | instid1(TRANS32_DEP_1)
	v_rcp_f32_e32 v153, v152
	v_nop
	v_fma_f32 v154, -v152, v153, 1.0
	s_delay_alu instid0(VALU_DEP_1) | instskip(NEXT) | instid1(VALU_DEP_1)
	v_fmac_f32_e32 v153, v154, v153
	v_mul_f32_e32 v154, v155, v153
	s_delay_alu instid0(VALU_DEP_1) | instskip(NEXT) | instid1(VALU_DEP_1)
	v_fma_f32 v164, -v152, v154, v155
	v_fmac_f32_e32 v154, v164, v153
	s_delay_alu instid0(VALU_DEP_1) | instskip(NEXT) | instid1(VALU_DEP_1)
	v_fma_f32 v152, -v152, v154, v155
	v_div_fmas_f32 v152, v152, v153, v154
	s_delay_alu instid0(VALU_DEP_1) | instskip(NEXT) | instid1(VALU_DEP_1)
	v_div_fixup_f32 v152, v152, v151, v150
	v_fmac_f32_e32 v151, v150, v152
	s_delay_alu instid0(VALU_DEP_1) | instskip(SKIP_1) | instid1(VALU_DEP_2)
	v_div_scale_f32 v150, null, v151, v151, 1.0
	v_div_scale_f32 v155, vcc_lo, 1.0, v151, 1.0
	v_rcp_f32_e32 v153, v150
	v_nop
	s_delay_alu instid0(TRANS32_DEP_1) | instskip(NEXT) | instid1(VALU_DEP_1)
	v_fma_f32 v154, -v150, v153, 1.0
	v_fmac_f32_e32 v153, v154, v153
	s_delay_alu instid0(VALU_DEP_1) | instskip(NEXT) | instid1(VALU_DEP_1)
	v_mul_f32_e32 v154, v155, v153
	v_fma_f32 v164, -v150, v154, v155
	s_delay_alu instid0(VALU_DEP_1) | instskip(NEXT) | instid1(VALU_DEP_1)
	v_fmac_f32_e32 v154, v164, v153
	v_fma_f32 v150, -v150, v154, v155
	s_delay_alu instid0(VALU_DEP_1) | instskip(NEXT) | instid1(VALU_DEP_1)
	v_div_fmas_f32 v150, v150, v153, v154
	v_div_fixup_f32 v150, v150, v151, 1.0
	s_delay_alu instid0(VALU_DEP_1)
	v_mul_f32_e32 v152, v152, v150
	v_xor_b32_e32 v153, 0x80000000, v150
                                        ; implicit-def: $vgpr150_vgpr151
.LBB119_401:
	s_and_not1_saveexec_b32 s1, s1
	s_cbranch_execz .LBB119_403
; %bb.402:
	v_div_scale_f32 v152, null, v150, v150, v151
	v_div_scale_f32 v155, vcc_lo, v151, v150, v151
	s_delay_alu instid0(VALU_DEP_2) | instskip(SKIP_1) | instid1(TRANS32_DEP_1)
	v_rcp_f32_e32 v153, v152
	v_nop
	v_fma_f32 v154, -v152, v153, 1.0
	s_delay_alu instid0(VALU_DEP_1) | instskip(NEXT) | instid1(VALU_DEP_1)
	v_fmac_f32_e32 v153, v154, v153
	v_mul_f32_e32 v154, v155, v153
	s_delay_alu instid0(VALU_DEP_1) | instskip(NEXT) | instid1(VALU_DEP_1)
	v_fma_f32 v164, -v152, v154, v155
	v_fmac_f32_e32 v154, v164, v153
	s_delay_alu instid0(VALU_DEP_1) | instskip(NEXT) | instid1(VALU_DEP_1)
	v_fma_f32 v152, -v152, v154, v155
	v_div_fmas_f32 v152, v152, v153, v154
	s_delay_alu instid0(VALU_DEP_1) | instskip(NEXT) | instid1(VALU_DEP_1)
	v_div_fixup_f32 v153, v152, v150, v151
	v_fmac_f32_e32 v150, v151, v153
	s_delay_alu instid0(VALU_DEP_1) | instskip(NEXT) | instid1(VALU_DEP_1)
	v_div_scale_f32 v151, null, v150, v150, 1.0
	v_rcp_f32_e32 v152, v151
	v_nop
	s_delay_alu instid0(TRANS32_DEP_1) | instskip(NEXT) | instid1(VALU_DEP_1)
	v_fma_f32 v154, -v151, v152, 1.0
	v_fmac_f32_e32 v152, v154, v152
	v_div_scale_f32 v154, vcc_lo, 1.0, v150, 1.0
	s_delay_alu instid0(VALU_DEP_1) | instskip(NEXT) | instid1(VALU_DEP_1)
	v_mul_f32_e32 v155, v154, v152
	v_fma_f32 v164, -v151, v155, v154
	s_delay_alu instid0(VALU_DEP_1) | instskip(NEXT) | instid1(VALU_DEP_1)
	v_fmac_f32_e32 v155, v164, v152
	v_fma_f32 v151, -v151, v155, v154
	s_delay_alu instid0(VALU_DEP_1) | instskip(NEXT) | instid1(VALU_DEP_1)
	v_div_fmas_f32 v151, v151, v152, v155
	v_div_fixup_f32 v152, v151, v150, 1.0
	s_delay_alu instid0(VALU_DEP_1)
	v_mul_f32_e64 v153, v153, -v152
.LBB119_403:
	s_or_b32 exec_lo, exec_lo, s1
	ds_store_b64 v207, v[152:153]
.LBB119_404:
	s_or_b32 exec_lo, exec_lo, s2
	s_wait_dscnt 0x0
	s_barrier_signal -1
	s_barrier_wait -1
	ds_load_b64 v[150:151], v207
	s_mov_b32 s1, exec_lo
	v_cmpx_lt_u32_e32 44, v206
	s_cbranch_execz .LBB119_406
; %bb.405:
	ds_load_2addr_b64 v[164:167], v216 offset0:45 offset1:46
	s_wait_dscnt 0x1
	v_pk_mul_f32 v[154:155], v[150:151], v[194:195] op_sel:[1,1] op_sel_hi:[0,1]
	s_delay_alu instid0(VALU_DEP_1) | instskip(SKIP_1) | instid1(VALU_DEP_1)
	v_pk_fma_f32 v[152:153], v[150:151], v[194:195], v[154:155] op_sel_hi:[1,0,1] neg_lo:[0,0,1] neg_hi:[0,0,1]
	v_pk_fma_f32 v[154:155], v[150:151], v[194:195], v[154:155] op_sel_hi:[1,0,1]
	v_dual_mov_b32 v194, v152 :: v_dual_mov_b32 v195, v155
	s_wait_dscnt 0x0
	s_delay_alu instid0(VALU_DEP_2) | instskip(NEXT) | instid1(VALU_DEP_1)
	v_pk_mul_f32 v[168:169], v[164:165], v[154:155] op_sel:[0,1]
	v_pk_fma_f32 v[170:171], v[164:165], v[152:153], v[168:169] op_sel:[0,0,1] op_sel_hi:[1,1,0] neg_lo:[0,0,1] neg_hi:[0,0,1]
	v_pk_fma_f32 v[164:165], v[164:165], v[152:153], v[168:169] op_sel:[0,0,1] op_sel_hi:[1,0,0]
	s_delay_alu instid0(VALU_DEP_1) | instskip(SKIP_1) | instid1(VALU_DEP_1)
	v_mov_b32_e32 v171, v165
	v_pk_mul_f32 v[164:165], v[166:167], v[154:155] op_sel:[0,1]
	v_pk_fma_f32 v[168:169], v[166:167], v[152:153], v[164:165] op_sel:[0,0,1] op_sel_hi:[1,1,0] neg_lo:[0,0,1] neg_hi:[0,0,1]
	v_pk_fma_f32 v[164:165], v[166:167], v[152:153], v[164:165] op_sel:[0,0,1] op_sel_hi:[1,0,0]
	s_delay_alu instid0(VALU_DEP_1)
	v_mov_b32_e32 v169, v165
	ds_load_2addr_b64 v[164:167], v216 offset0:47 offset1:48
	v_pk_add_f32 v[190:191], v[190:191], v[170:171] neg_lo:[0,1] neg_hi:[0,1]
	v_pk_add_f32 v[192:193], v[192:193], v[168:169] neg_lo:[0,1] neg_hi:[0,1]
	s_wait_dscnt 0x0
	v_pk_mul_f32 v[168:169], v[164:165], v[154:155] op_sel:[0,1]
	s_delay_alu instid0(VALU_DEP_1) | instskip(SKIP_2) | instid1(VALU_DEP_2)
	v_pk_fma_f32 v[170:171], v[164:165], v[152:153], v[168:169] op_sel:[0,0,1] op_sel_hi:[1,1,0] neg_lo:[0,0,1] neg_hi:[0,0,1]
	v_pk_fma_f32 v[164:165], v[164:165], v[152:153], v[168:169] op_sel:[0,0,1] op_sel_hi:[1,0,0]
	v_dual_mul_f32 v168, v167, v155 :: v_dual_mov_b32 v164, v167
	v_dual_mov_b32 v171, v165 :: v_dual_mov_b32 v165, v166
	s_delay_alu instid0(VALU_DEP_2) | instskip(SKIP_1) | instid1(VALU_DEP_3)
	v_pk_fma_f32 v[168:169], v[166:167], v[194:195], v[168:169] op_sel_hi:[1,1,0] neg_lo:[0,0,1] neg_hi:[0,0,1]
	v_mul_f32_e32 v166, v167, v152
	v_pk_add_f32 v[188:189], v[188:189], v[170:171] neg_lo:[0,1] neg_hi:[0,1]
	s_delay_alu instid0(VALU_DEP_2) | instskip(NEXT) | instid1(VALU_DEP_1)
	v_pk_fma_f32 v[164:165], v[164:165], v[194:195], v[166:167] op_sel_hi:[1,1,0]
	v_mov_b32_e32 v169, v165
	ds_load_2addr_b64 v[164:167], v216 offset0:49 offset1:50
	v_pk_add_f32 v[214:215], v[214:215], v[168:169] neg_lo:[0,1] neg_hi:[0,1]
	s_wait_dscnt 0x0
	v_pk_mul_f32 v[168:169], v[164:165], v[154:155] op_sel:[0,1]
	s_delay_alu instid0(VALU_DEP_1) | instskip(SKIP_1) | instid1(VALU_DEP_1)
	v_pk_fma_f32 v[170:171], v[164:165], v[152:153], v[168:169] op_sel:[0,0,1] op_sel_hi:[1,1,0] neg_lo:[0,0,1] neg_hi:[0,0,1]
	v_pk_fma_f32 v[164:165], v[164:165], v[152:153], v[168:169] op_sel:[0,0,1] op_sel_hi:[1,0,0]
	v_mov_b32_e32 v171, v165
	v_pk_mul_f32 v[164:165], v[166:167], v[154:155] op_sel:[0,1]
	s_delay_alu instid0(VALU_DEP_1) | instskip(SKIP_1) | instid1(VALU_DEP_1)
	v_pk_fma_f32 v[168:169], v[166:167], v[152:153], v[164:165] op_sel:[0,0,1] op_sel_hi:[1,1,0] neg_lo:[0,0,1] neg_hi:[0,0,1]
	v_pk_fma_f32 v[164:165], v[166:167], v[152:153], v[164:165] op_sel:[0,0,1] op_sel_hi:[1,0,0]
	v_mov_b32_e32 v169, v165
	ds_load_2addr_b64 v[164:167], v216 offset0:51 offset1:52
	v_pk_add_f32 v[210:211], v[210:211], v[170:171] neg_lo:[0,1] neg_hi:[0,1]
	v_pk_add_f32 v[212:213], v[212:213], v[168:169] neg_lo:[0,1] neg_hi:[0,1]
	s_wait_dscnt 0x0
	v_pk_mul_f32 v[168:169], v[164:165], v[154:155] op_sel:[0,1]
	s_delay_alu instid0(VALU_DEP_1) | instskip(SKIP_1) | instid1(VALU_DEP_1)
	v_pk_fma_f32 v[170:171], v[164:165], v[152:153], v[168:169] op_sel:[0,0,1] op_sel_hi:[1,1,0] neg_lo:[0,0,1] neg_hi:[0,0,1]
	v_pk_fma_f32 v[164:165], v[164:165], v[152:153], v[168:169] op_sel:[0,0,1] op_sel_hi:[1,0,0]
	v_mov_b32_e32 v171, v165
	v_pk_mul_f32 v[164:165], v[166:167], v[154:155] op_sel:[0,1]
	s_delay_alu instid0(VALU_DEP_1) | instskip(SKIP_1) | instid1(VALU_DEP_1)
	v_pk_fma_f32 v[168:169], v[166:167], v[152:153], v[164:165] op_sel:[0,0,1] op_sel_hi:[1,1,0] neg_lo:[0,0,1] neg_hi:[0,0,1]
	v_pk_fma_f32 v[164:165], v[166:167], v[152:153], v[164:165] op_sel:[0,0,1] op_sel_hi:[1,0,0]
	v_mov_b32_e32 v169, v165
	ds_load_2addr_b64 v[164:167], v216 offset0:53 offset1:54
	v_pk_add_f32 v[208:209], v[208:209], v[170:171] neg_lo:[0,1] neg_hi:[0,1]
	v_pk_add_f32 v[236:237], v[236:237], v[168:169] neg_lo:[0,1] neg_hi:[0,1]
	s_wait_dscnt 0x0
	v_dual_mul_f32 v168, v165, v155 :: v_dual_mul_f32 v170, v165, v152
	s_delay_alu instid0(VALU_DEP_1) | instskip(NEXT) | instid1(VALU_DEP_2)
	v_pk_fma_f32 v[168:169], v[164:165], v[194:195], v[168:169] op_sel_hi:[1,1,0] neg_lo:[0,0,1] neg_hi:[0,0,1]
	v_pk_fma_f32 v[164:165], v[164:165], v[194:195], v[170:171] op_sel:[1,0,0] op_sel_hi:[0,1,0]
	s_delay_alu instid0(VALU_DEP_1) | instskip(SKIP_1) | instid1(VALU_DEP_2)
	v_mov_b32_e32 v169, v165
	v_pk_mul_f32 v[164:165], v[166:167], v[154:155] op_sel:[0,1]
	v_pk_add_f32 v[230:231], v[230:231], v[168:169] neg_lo:[0,1] neg_hi:[0,1]
	s_delay_alu instid0(VALU_DEP_2) | instskip(SKIP_1) | instid1(VALU_DEP_1)
	v_pk_fma_f32 v[168:169], v[166:167], v[152:153], v[164:165] op_sel:[0,0,1] op_sel_hi:[1,1,0] neg_lo:[0,0,1] neg_hi:[0,0,1]
	v_pk_fma_f32 v[164:165], v[166:167], v[152:153], v[164:165] op_sel:[0,0,1] op_sel_hi:[1,0,0]
	v_mov_b32_e32 v169, v165
	ds_load_2addr_b64 v[164:167], v216 offset0:55 offset1:56
	v_pk_add_f32 v[234:235], v[234:235], v[168:169] neg_lo:[0,1] neg_hi:[0,1]
	s_wait_dscnt 0x0
	v_pk_mul_f32 v[168:169], v[164:165], v[154:155] op_sel:[0,1]
	s_delay_alu instid0(VALU_DEP_1) | instskip(SKIP_1) | instid1(VALU_DEP_1)
	v_pk_fma_f32 v[170:171], v[164:165], v[152:153], v[168:169] op_sel:[0,0,1] op_sel_hi:[1,1,0] neg_lo:[0,0,1] neg_hi:[0,0,1]
	v_pk_fma_f32 v[164:165], v[164:165], v[152:153], v[168:169] op_sel:[0,0,1] op_sel_hi:[1,0,0]
	v_mov_b32_e32 v171, v165
	v_pk_mul_f32 v[164:165], v[166:167], v[154:155] op_sel:[0,1]
	s_delay_alu instid0(VALU_DEP_2) | instskip(NEXT) | instid1(VALU_DEP_2)
	v_pk_add_f32 v[228:229], v[228:229], v[170:171] neg_lo:[0,1] neg_hi:[0,1]
	v_pk_fma_f32 v[168:169], v[166:167], v[152:153], v[164:165] op_sel:[0,0,1] op_sel_hi:[1,1,0] neg_lo:[0,0,1] neg_hi:[0,0,1]
	v_pk_fma_f32 v[164:165], v[166:167], v[152:153], v[164:165] op_sel:[0,0,1] op_sel_hi:[1,0,0]
	s_delay_alu instid0(VALU_DEP_1) | instskip(SKIP_4) | instid1(VALU_DEP_1)
	v_mov_b32_e32 v169, v165
	ds_load_2addr_b64 v[164:167], v216 offset0:57 offset1:58
	v_pk_add_f32 v[232:233], v[232:233], v[168:169] neg_lo:[0,1] neg_hi:[0,1]
	s_wait_dscnt 0x0
	v_pk_mul_f32 v[168:169], v[164:165], v[154:155] op_sel:[0,1]
	v_pk_fma_f32 v[170:171], v[164:165], v[152:153], v[168:169] op_sel:[0,0,1] op_sel_hi:[1,1,0] neg_lo:[0,0,1] neg_hi:[0,0,1]
	v_pk_fma_f32 v[164:165], v[164:165], v[152:153], v[168:169] op_sel:[0,0,1] op_sel_hi:[1,0,0]
	v_dual_mul_f32 v168, v167, v155 :: v_dual_mov_b32 v164, v167
	s_delay_alu instid0(VALU_DEP_2) | instskip(NEXT) | instid1(VALU_DEP_2)
	v_dual_mov_b32 v171, v165 :: v_dual_mov_b32 v165, v166
	v_pk_fma_f32 v[168:169], v[166:167], v[194:195], v[168:169] op_sel_hi:[1,1,0] neg_lo:[0,0,1] neg_hi:[0,0,1]
	v_mul_f32_e32 v166, v167, v152
	s_delay_alu instid0(VALU_DEP_3) | instskip(NEXT) | instid1(VALU_DEP_2)
	v_pk_add_f32 v[226:227], v[226:227], v[170:171] neg_lo:[0,1] neg_hi:[0,1]
	v_pk_fma_f32 v[164:165], v[164:165], v[194:195], v[166:167] op_sel_hi:[1,1,0]
	s_delay_alu instid0(VALU_DEP_1) | instskip(SKIP_4) | instid1(VALU_DEP_1)
	v_mov_b32_e32 v169, v165
	ds_load_b64 v[164:165], v216 offset:472
	v_pk_add_f32 v[238:239], v[238:239], v[168:169] neg_lo:[0,1] neg_hi:[0,1]
	s_wait_dscnt 0x0
	v_pk_mul_f32 v[154:155], v[164:165], v[154:155] op_sel:[0,1]
	v_pk_fma_f32 v[166:167], v[164:165], v[152:153], v[154:155] op_sel:[0,0,1] op_sel_hi:[1,1,0] neg_lo:[0,0,1] neg_hi:[0,0,1]
	v_pk_fma_f32 v[152:153], v[164:165], v[152:153], v[154:155] op_sel:[0,0,1] op_sel_hi:[1,0,0]
	s_delay_alu instid0(VALU_DEP_1) | instskip(NEXT) | instid1(VALU_DEP_1)
	v_mov_b32_e32 v167, v153
	v_pk_add_f32 v[240:241], v[240:241], v[166:167] neg_lo:[0,1] neg_hi:[0,1]
.LBB119_406:
	s_or_b32 exec_lo, exec_lo, s1
	s_delay_alu instid0(SALU_CYCLE_1)
	s_mov_b32 s2, exec_lo
	s_wait_dscnt 0x0
	s_barrier_signal -1
	s_barrier_wait -1
	v_cmpx_eq_u32_e32 45, v206
	s_cbranch_execz .LBB119_413
; %bb.407:
	v_dual_mov_b32 v152, v192 :: v_dual_mov_b32 v153, v193
	v_dual_mov_b32 v154, v188 :: v_dual_mov_b32 v155, v189
	ds_store_b64 v207, v[190:191]
	ds_store_2addr_b64 v216, v[152:153], v[154:155] offset0:46 offset1:47
	v_dual_mov_b32 v152, v214 :: v_dual_mov_b32 v153, v215
	v_dual_mov_b32 v154, v210 :: v_dual_mov_b32 v155, v211
	ds_store_2addr_b64 v216, v[152:153], v[154:155] offset0:48 offset1:49
	v_dual_mov_b32 v152, v212 :: v_dual_mov_b32 v153, v213
	v_dual_mov_b32 v154, v208 :: v_dual_mov_b32 v155, v209
	ds_store_2addr_b64 v216, v[152:153], v[154:155] offset0:50 offset1:51
	v_dual_mov_b32 v152, v236 :: v_dual_mov_b32 v153, v237
	v_dual_mov_b32 v154, v230 :: v_dual_mov_b32 v155, v231
	ds_store_2addr_b64 v216, v[152:153], v[154:155] offset0:52 offset1:53
	v_dual_mov_b32 v152, v234 :: v_dual_mov_b32 v153, v235
	v_dual_mov_b32 v154, v228 :: v_dual_mov_b32 v155, v229
	ds_store_2addr_b64 v216, v[152:153], v[154:155] offset0:54 offset1:55
	v_dual_mov_b32 v152, v232 :: v_dual_mov_b32 v153, v233
	v_dual_mov_b32 v154, v226 :: v_dual_mov_b32 v155, v227
	ds_store_2addr_b64 v216, v[152:153], v[154:155] offset0:56 offset1:57
	v_dual_mov_b32 v152, v238 :: v_dual_mov_b32 v153, v239
	ds_store_2addr_b64 v216, v[152:153], v[240:241] offset0:58 offset1:59
	ds_load_b64 v[152:153], v207
	s_wait_dscnt 0x0
	v_cmp_neq_f32_e32 vcc_lo, 0, v152
	v_cmp_neq_f32_e64 s1, 0, v153
	s_or_b32 s1, vcc_lo, s1
	s_delay_alu instid0(SALU_CYCLE_1)
	s_and_b32 exec_lo, exec_lo, s1
	s_cbranch_execz .LBB119_413
; %bb.408:
	v_cmp_ngt_f32_e64 s1, |v152|, |v153|
                                        ; implicit-def: $vgpr154_vgpr155
	s_and_saveexec_b32 s4, s1
	s_delay_alu instid0(SALU_CYCLE_1)
	s_xor_b32 s1, exec_lo, s4
	s_cbranch_execz .LBB119_410
; %bb.409:
	v_div_scale_f32 v154, null, v153, v153, v152
	v_div_scale_f32 v165, vcc_lo, v152, v153, v152
	s_delay_alu instid0(VALU_DEP_2) | instskip(SKIP_1) | instid1(TRANS32_DEP_1)
	v_rcp_f32_e32 v155, v154
	v_nop
	v_fma_f32 v164, -v154, v155, 1.0
	s_delay_alu instid0(VALU_DEP_1) | instskip(NEXT) | instid1(VALU_DEP_1)
	v_fmac_f32_e32 v155, v164, v155
	v_mul_f32_e32 v164, v165, v155
	s_delay_alu instid0(VALU_DEP_1) | instskip(NEXT) | instid1(VALU_DEP_1)
	v_fma_f32 v166, -v154, v164, v165
	v_fmac_f32_e32 v164, v166, v155
	s_delay_alu instid0(VALU_DEP_1) | instskip(NEXT) | instid1(VALU_DEP_1)
	v_fma_f32 v154, -v154, v164, v165
	v_div_fmas_f32 v154, v154, v155, v164
	s_delay_alu instid0(VALU_DEP_1) | instskip(NEXT) | instid1(VALU_DEP_1)
	v_div_fixup_f32 v154, v154, v153, v152
	v_fmac_f32_e32 v153, v152, v154
	s_delay_alu instid0(VALU_DEP_1) | instskip(SKIP_1) | instid1(VALU_DEP_2)
	v_div_scale_f32 v152, null, v153, v153, 1.0
	v_div_scale_f32 v165, vcc_lo, 1.0, v153, 1.0
	v_rcp_f32_e32 v155, v152
	v_nop
	s_delay_alu instid0(TRANS32_DEP_1) | instskip(NEXT) | instid1(VALU_DEP_1)
	v_fma_f32 v164, -v152, v155, 1.0
	v_fmac_f32_e32 v155, v164, v155
	s_delay_alu instid0(VALU_DEP_1) | instskip(NEXT) | instid1(VALU_DEP_1)
	v_mul_f32_e32 v164, v165, v155
	v_fma_f32 v166, -v152, v164, v165
	s_delay_alu instid0(VALU_DEP_1) | instskip(NEXT) | instid1(VALU_DEP_1)
	v_fmac_f32_e32 v164, v166, v155
	v_fma_f32 v152, -v152, v164, v165
	s_delay_alu instid0(VALU_DEP_1) | instskip(NEXT) | instid1(VALU_DEP_1)
	v_div_fmas_f32 v152, v152, v155, v164
	v_div_fixup_f32 v152, v152, v153, 1.0
	s_delay_alu instid0(VALU_DEP_1)
	v_mul_f32_e32 v154, v154, v152
	v_xor_b32_e32 v155, 0x80000000, v152
                                        ; implicit-def: $vgpr152_vgpr153
.LBB119_410:
	s_and_not1_saveexec_b32 s1, s1
	s_cbranch_execz .LBB119_412
; %bb.411:
	v_div_scale_f32 v154, null, v152, v152, v153
	v_div_scale_f32 v165, vcc_lo, v153, v152, v153
	s_delay_alu instid0(VALU_DEP_2) | instskip(SKIP_1) | instid1(TRANS32_DEP_1)
	v_rcp_f32_e32 v155, v154
	v_nop
	v_fma_f32 v164, -v154, v155, 1.0
	s_delay_alu instid0(VALU_DEP_1) | instskip(NEXT) | instid1(VALU_DEP_1)
	v_fmac_f32_e32 v155, v164, v155
	v_mul_f32_e32 v164, v165, v155
	s_delay_alu instid0(VALU_DEP_1) | instskip(NEXT) | instid1(VALU_DEP_1)
	v_fma_f32 v166, -v154, v164, v165
	v_fmac_f32_e32 v164, v166, v155
	s_delay_alu instid0(VALU_DEP_1) | instskip(NEXT) | instid1(VALU_DEP_1)
	v_fma_f32 v154, -v154, v164, v165
	v_div_fmas_f32 v154, v154, v155, v164
	s_delay_alu instid0(VALU_DEP_1) | instskip(NEXT) | instid1(VALU_DEP_1)
	v_div_fixup_f32 v155, v154, v152, v153
	v_fmac_f32_e32 v152, v153, v155
	s_delay_alu instid0(VALU_DEP_1) | instskip(NEXT) | instid1(VALU_DEP_1)
	v_div_scale_f32 v153, null, v152, v152, 1.0
	v_rcp_f32_e32 v154, v153
	v_nop
	s_delay_alu instid0(TRANS32_DEP_1) | instskip(NEXT) | instid1(VALU_DEP_1)
	v_fma_f32 v164, -v153, v154, 1.0
	v_fmac_f32_e32 v154, v164, v154
	v_div_scale_f32 v164, vcc_lo, 1.0, v152, 1.0
	s_delay_alu instid0(VALU_DEP_1) | instskip(NEXT) | instid1(VALU_DEP_1)
	v_mul_f32_e32 v165, v164, v154
	v_fma_f32 v166, -v153, v165, v164
	s_delay_alu instid0(VALU_DEP_1) | instskip(NEXT) | instid1(VALU_DEP_1)
	v_fmac_f32_e32 v165, v166, v154
	v_fma_f32 v153, -v153, v165, v164
	s_delay_alu instid0(VALU_DEP_1) | instskip(NEXT) | instid1(VALU_DEP_1)
	v_div_fmas_f32 v153, v153, v154, v165
	v_div_fixup_f32 v154, v153, v152, 1.0
	s_delay_alu instid0(VALU_DEP_1)
	v_mul_f32_e64 v155, v155, -v154
.LBB119_412:
	s_or_b32 exec_lo, exec_lo, s1
	ds_store_b64 v207, v[154:155]
.LBB119_413:
	s_or_b32 exec_lo, exec_lo, s2
	s_wait_dscnt 0x0
	s_barrier_signal -1
	s_barrier_wait -1
	ds_load_b64 v[152:153], v207
	s_mov_b32 s1, exec_lo
	v_cmpx_lt_u32_e32 45, v206
	s_cbranch_execz .LBB119_415
; %bb.414:
	ds_load_2addr_b64 v[166:169], v216 offset0:46 offset1:47
	s_wait_dscnt 0x1
	v_pk_mul_f32 v[164:165], v[152:153], v[190:191] op_sel:[1,1] op_sel_hi:[0,1]
	s_delay_alu instid0(VALU_DEP_1) | instskip(SKIP_1) | instid1(VALU_DEP_1)
	v_pk_fma_f32 v[154:155], v[152:153], v[190:191], v[164:165] op_sel_hi:[1,0,1] neg_lo:[0,0,1] neg_hi:[0,0,1]
	v_pk_fma_f32 v[164:165], v[152:153], v[190:191], v[164:165] op_sel_hi:[1,0,1]
	v_dual_mov_b32 v190, v154 :: v_dual_mov_b32 v191, v165
	s_wait_dscnt 0x0
	s_delay_alu instid0(VALU_DEP_2) | instskip(NEXT) | instid1(VALU_DEP_1)
	v_pk_mul_f32 v[170:171], v[166:167], v[164:165] op_sel:[0,1]
	v_pk_fma_f32 v[180:181], v[166:167], v[154:155], v[170:171] op_sel:[0,0,1] op_sel_hi:[1,1,0] neg_lo:[0,0,1] neg_hi:[0,0,1]
	v_pk_fma_f32 v[166:167], v[166:167], v[154:155], v[170:171] op_sel:[0,0,1] op_sel_hi:[1,0,0]
	s_delay_alu instid0(VALU_DEP_1) | instskip(SKIP_1) | instid1(VALU_DEP_1)
	v_mov_b32_e32 v181, v167
	v_pk_mul_f32 v[166:167], v[168:169], v[164:165] op_sel:[0,1]
	v_pk_fma_f32 v[170:171], v[168:169], v[154:155], v[166:167] op_sel:[0,0,1] op_sel_hi:[1,1,0] neg_lo:[0,0,1] neg_hi:[0,0,1]
	v_pk_fma_f32 v[166:167], v[168:169], v[154:155], v[166:167] op_sel:[0,0,1] op_sel_hi:[1,0,0]
	s_delay_alu instid0(VALU_DEP_1)
	v_mov_b32_e32 v171, v167
	ds_load_2addr_b64 v[166:169], v216 offset0:48 offset1:49
	v_pk_add_f32 v[192:193], v[192:193], v[180:181] neg_lo:[0,1] neg_hi:[0,1]
	v_pk_add_f32 v[188:189], v[188:189], v[170:171] neg_lo:[0,1] neg_hi:[0,1]
	s_wait_dscnt 0x0
	v_pk_mul_f32 v[170:171], v[166:167], v[164:165] op_sel:[0,1]
	s_delay_alu instid0(VALU_DEP_1) | instskip(SKIP_2) | instid1(VALU_DEP_2)
	v_pk_fma_f32 v[180:181], v[166:167], v[154:155], v[170:171] op_sel:[0,0,1] op_sel_hi:[1,1,0] neg_lo:[0,0,1] neg_hi:[0,0,1]
	v_pk_fma_f32 v[166:167], v[166:167], v[154:155], v[170:171] op_sel:[0,0,1] op_sel_hi:[1,0,0]
	v_dual_mul_f32 v170, v169, v165 :: v_dual_mov_b32 v166, v169
	v_dual_mov_b32 v181, v167 :: v_dual_mov_b32 v167, v168
	s_delay_alu instid0(VALU_DEP_2) | instskip(SKIP_1) | instid1(VALU_DEP_3)
	v_pk_fma_f32 v[170:171], v[168:169], v[190:191], v[170:171] op_sel_hi:[1,1,0] neg_lo:[0,0,1] neg_hi:[0,0,1]
	v_mul_f32_e32 v168, v169, v154
	v_pk_add_f32 v[214:215], v[214:215], v[180:181] neg_lo:[0,1] neg_hi:[0,1]
	s_delay_alu instid0(VALU_DEP_2) | instskip(NEXT) | instid1(VALU_DEP_1)
	v_pk_fma_f32 v[166:167], v[166:167], v[190:191], v[168:169] op_sel_hi:[1,1,0]
	v_mov_b32_e32 v171, v167
	ds_load_2addr_b64 v[166:169], v216 offset0:50 offset1:51
	v_pk_add_f32 v[210:211], v[210:211], v[170:171] neg_lo:[0,1] neg_hi:[0,1]
	s_wait_dscnt 0x0
	v_pk_mul_f32 v[170:171], v[166:167], v[164:165] op_sel:[0,1]
	s_delay_alu instid0(VALU_DEP_1) | instskip(SKIP_1) | instid1(VALU_DEP_1)
	v_pk_fma_f32 v[180:181], v[166:167], v[154:155], v[170:171] op_sel:[0,0,1] op_sel_hi:[1,1,0] neg_lo:[0,0,1] neg_hi:[0,0,1]
	v_pk_fma_f32 v[166:167], v[166:167], v[154:155], v[170:171] op_sel:[0,0,1] op_sel_hi:[1,0,0]
	v_mov_b32_e32 v181, v167
	v_pk_mul_f32 v[166:167], v[168:169], v[164:165] op_sel:[0,1]
	s_delay_alu instid0(VALU_DEP_1) | instskip(SKIP_1) | instid1(VALU_DEP_1)
	v_pk_fma_f32 v[170:171], v[168:169], v[154:155], v[166:167] op_sel:[0,0,1] op_sel_hi:[1,1,0] neg_lo:[0,0,1] neg_hi:[0,0,1]
	v_pk_fma_f32 v[166:167], v[168:169], v[154:155], v[166:167] op_sel:[0,0,1] op_sel_hi:[1,0,0]
	v_mov_b32_e32 v171, v167
	ds_load_2addr_b64 v[166:169], v216 offset0:52 offset1:53
	v_pk_add_f32 v[212:213], v[212:213], v[180:181] neg_lo:[0,1] neg_hi:[0,1]
	v_pk_add_f32 v[208:209], v[208:209], v[170:171] neg_lo:[0,1] neg_hi:[0,1]
	s_wait_dscnt 0x0
	v_pk_mul_f32 v[170:171], v[166:167], v[164:165] op_sel:[0,1]
	s_delay_alu instid0(VALU_DEP_1) | instskip(SKIP_1) | instid1(VALU_DEP_1)
	v_pk_fma_f32 v[180:181], v[166:167], v[154:155], v[170:171] op_sel:[0,0,1] op_sel_hi:[1,1,0] neg_lo:[0,0,1] neg_hi:[0,0,1]
	v_pk_fma_f32 v[166:167], v[166:167], v[154:155], v[170:171] op_sel:[0,0,1] op_sel_hi:[1,0,0]
	v_mov_b32_e32 v181, v167
	v_pk_mul_f32 v[166:167], v[168:169], v[164:165] op_sel:[0,1]
	s_delay_alu instid0(VALU_DEP_1) | instskip(SKIP_1) | instid1(VALU_DEP_1)
	v_pk_fma_f32 v[170:171], v[168:169], v[154:155], v[166:167] op_sel:[0,0,1] op_sel_hi:[1,1,0] neg_lo:[0,0,1] neg_hi:[0,0,1]
	v_pk_fma_f32 v[166:167], v[168:169], v[154:155], v[166:167] op_sel:[0,0,1] op_sel_hi:[1,0,0]
	v_mov_b32_e32 v171, v167
	ds_load_2addr_b64 v[166:169], v216 offset0:54 offset1:55
	v_pk_add_f32 v[236:237], v[236:237], v[180:181] neg_lo:[0,1] neg_hi:[0,1]
	v_pk_add_f32 v[230:231], v[230:231], v[170:171] neg_lo:[0,1] neg_hi:[0,1]
	s_wait_dscnt 0x0
	v_dual_mul_f32 v170, v167, v165 :: v_dual_mul_f32 v180, v167, v154
	s_delay_alu instid0(VALU_DEP_1) | instskip(NEXT) | instid1(VALU_DEP_2)
	v_pk_fma_f32 v[170:171], v[166:167], v[190:191], v[170:171] op_sel_hi:[1,1,0] neg_lo:[0,0,1] neg_hi:[0,0,1]
	v_pk_fma_f32 v[166:167], v[166:167], v[190:191], v[180:181] op_sel:[1,0,0] op_sel_hi:[0,1,0]
	s_delay_alu instid0(VALU_DEP_1) | instskip(SKIP_1) | instid1(VALU_DEP_2)
	v_mov_b32_e32 v171, v167
	v_pk_mul_f32 v[166:167], v[168:169], v[164:165] op_sel:[0,1]
	v_pk_add_f32 v[234:235], v[234:235], v[170:171] neg_lo:[0,1] neg_hi:[0,1]
	s_delay_alu instid0(VALU_DEP_2) | instskip(SKIP_1) | instid1(VALU_DEP_1)
	v_pk_fma_f32 v[170:171], v[168:169], v[154:155], v[166:167] op_sel:[0,0,1] op_sel_hi:[1,1,0] neg_lo:[0,0,1] neg_hi:[0,0,1]
	v_pk_fma_f32 v[166:167], v[168:169], v[154:155], v[166:167] op_sel:[0,0,1] op_sel_hi:[1,0,0]
	v_mov_b32_e32 v171, v167
	ds_load_2addr_b64 v[166:169], v216 offset0:56 offset1:57
	v_pk_add_f32 v[228:229], v[228:229], v[170:171] neg_lo:[0,1] neg_hi:[0,1]
	s_wait_dscnt 0x0
	v_pk_mul_f32 v[170:171], v[166:167], v[164:165] op_sel:[0,1]
	s_delay_alu instid0(VALU_DEP_1) | instskip(SKIP_1) | instid1(VALU_DEP_1)
	v_pk_fma_f32 v[180:181], v[166:167], v[154:155], v[170:171] op_sel:[0,0,1] op_sel_hi:[1,1,0] neg_lo:[0,0,1] neg_hi:[0,0,1]
	v_pk_fma_f32 v[166:167], v[166:167], v[154:155], v[170:171] op_sel:[0,0,1] op_sel_hi:[1,0,0]
	v_mov_b32_e32 v181, v167
	v_pk_mul_f32 v[166:167], v[168:169], v[164:165] op_sel:[0,1]
	s_delay_alu instid0(VALU_DEP_2) | instskip(NEXT) | instid1(VALU_DEP_2)
	v_pk_add_f32 v[232:233], v[232:233], v[180:181] neg_lo:[0,1] neg_hi:[0,1]
	v_pk_fma_f32 v[170:171], v[168:169], v[154:155], v[166:167] op_sel:[0,0,1] op_sel_hi:[1,1,0] neg_lo:[0,0,1] neg_hi:[0,0,1]
	v_pk_fma_f32 v[166:167], v[168:169], v[154:155], v[166:167] op_sel:[0,0,1] op_sel_hi:[1,0,0]
	s_delay_alu instid0(VALU_DEP_1)
	v_mov_b32_e32 v171, v167
	ds_load_2addr_b64 v[166:169], v216 offset0:58 offset1:59
	v_pk_add_f32 v[226:227], v[226:227], v[170:171] neg_lo:[0,1] neg_hi:[0,1]
	s_wait_dscnt 0x0
	v_pk_mul_f32 v[170:171], v[166:167], v[164:165] op_sel:[0,1]
	v_pk_mul_f32 v[164:165], v[168:169], v[164:165] op_sel:[0,1]
	s_delay_alu instid0(VALU_DEP_2) | instskip(SKIP_1) | instid1(VALU_DEP_1)
	v_pk_fma_f32 v[180:181], v[166:167], v[154:155], v[170:171] op_sel:[0,0,1] op_sel_hi:[1,1,0] neg_lo:[0,0,1] neg_hi:[0,0,1]
	v_pk_fma_f32 v[166:167], v[166:167], v[154:155], v[170:171] op_sel:[0,0,1] op_sel_hi:[1,0,0]
	v_mov_b32_e32 v181, v167
	s_delay_alu instid0(VALU_DEP_4) | instskip(SKIP_1) | instid1(VALU_DEP_3)
	v_pk_fma_f32 v[166:167], v[168:169], v[154:155], v[164:165] op_sel:[0,0,1] op_sel_hi:[1,1,0] neg_lo:[0,0,1] neg_hi:[0,0,1]
	v_pk_fma_f32 v[154:155], v[168:169], v[154:155], v[164:165] op_sel:[0,0,1] op_sel_hi:[1,0,0]
	v_pk_add_f32 v[238:239], v[238:239], v[180:181] neg_lo:[0,1] neg_hi:[0,1]
	s_delay_alu instid0(VALU_DEP_2) | instskip(NEXT) | instid1(VALU_DEP_1)
	v_mov_b32_e32 v167, v155
	v_pk_add_f32 v[240:241], v[240:241], v[166:167] neg_lo:[0,1] neg_hi:[0,1]
.LBB119_415:
	s_or_b32 exec_lo, exec_lo, s1
	s_delay_alu instid0(SALU_CYCLE_1)
	s_mov_b32 s2, exec_lo
	s_wait_dscnt 0x0
	s_barrier_signal -1
	s_barrier_wait -1
	v_cmpx_eq_u32_e32 46, v206
	s_cbranch_execz .LBB119_422
; %bb.416:
	ds_store_b64 v207, v[192:193]
	ds_store_2addr_b64 v216, v[188:189], v[214:215] offset0:47 offset1:48
	ds_store_2addr_b64 v216, v[210:211], v[212:213] offset0:49 offset1:50
	;; [unrolled: 1-line block ×6, first 2 shown]
	ds_store_b64 v216, v[240:241] offset:472
	ds_load_b64 v[154:155], v207
	s_wait_dscnt 0x0
	v_cmp_neq_f32_e32 vcc_lo, 0, v154
	v_cmp_neq_f32_e64 s1, 0, v155
	s_or_b32 s1, vcc_lo, s1
	s_delay_alu instid0(SALU_CYCLE_1)
	s_and_b32 exec_lo, exec_lo, s1
	s_cbranch_execz .LBB119_422
; %bb.417:
	v_cmp_ngt_f32_e64 s1, |v154|, |v155|
                                        ; implicit-def: $vgpr164_vgpr165
	s_and_saveexec_b32 s4, s1
	s_delay_alu instid0(SALU_CYCLE_1)
	s_xor_b32 s1, exec_lo, s4
	s_cbranch_execz .LBB119_419
; %bb.418:
	v_div_scale_f32 v164, null, v155, v155, v154
	v_div_scale_f32 v167, vcc_lo, v154, v155, v154
	s_delay_alu instid0(VALU_DEP_2) | instskip(SKIP_1) | instid1(TRANS32_DEP_1)
	v_rcp_f32_e32 v165, v164
	v_nop
	v_fma_f32 v166, -v164, v165, 1.0
	s_delay_alu instid0(VALU_DEP_1) | instskip(NEXT) | instid1(VALU_DEP_1)
	v_fmac_f32_e32 v165, v166, v165
	v_mul_f32_e32 v166, v167, v165
	s_delay_alu instid0(VALU_DEP_1) | instskip(NEXT) | instid1(VALU_DEP_1)
	v_fma_f32 v168, -v164, v166, v167
	v_fmac_f32_e32 v166, v168, v165
	s_delay_alu instid0(VALU_DEP_1) | instskip(NEXT) | instid1(VALU_DEP_1)
	v_fma_f32 v164, -v164, v166, v167
	v_div_fmas_f32 v164, v164, v165, v166
	s_delay_alu instid0(VALU_DEP_1) | instskip(NEXT) | instid1(VALU_DEP_1)
	v_div_fixup_f32 v164, v164, v155, v154
	v_fmac_f32_e32 v155, v154, v164
	s_delay_alu instid0(VALU_DEP_1) | instskip(SKIP_1) | instid1(VALU_DEP_2)
	v_div_scale_f32 v154, null, v155, v155, 1.0
	v_div_scale_f32 v167, vcc_lo, 1.0, v155, 1.0
	v_rcp_f32_e32 v165, v154
	v_nop
	s_delay_alu instid0(TRANS32_DEP_1) | instskip(NEXT) | instid1(VALU_DEP_1)
	v_fma_f32 v166, -v154, v165, 1.0
	v_fmac_f32_e32 v165, v166, v165
	s_delay_alu instid0(VALU_DEP_1) | instskip(NEXT) | instid1(VALU_DEP_1)
	v_mul_f32_e32 v166, v167, v165
	v_fma_f32 v168, -v154, v166, v167
	s_delay_alu instid0(VALU_DEP_1) | instskip(NEXT) | instid1(VALU_DEP_1)
	v_fmac_f32_e32 v166, v168, v165
	v_fma_f32 v154, -v154, v166, v167
	s_delay_alu instid0(VALU_DEP_1) | instskip(NEXT) | instid1(VALU_DEP_1)
	v_div_fmas_f32 v154, v154, v165, v166
	v_div_fixup_f32 v154, v154, v155, 1.0
	s_delay_alu instid0(VALU_DEP_1)
	v_mul_f32_e32 v164, v164, v154
	v_xor_b32_e32 v165, 0x80000000, v154
                                        ; implicit-def: $vgpr154_vgpr155
.LBB119_419:
	s_and_not1_saveexec_b32 s1, s1
	s_cbranch_execz .LBB119_421
; %bb.420:
	v_div_scale_f32 v164, null, v154, v154, v155
	v_div_scale_f32 v167, vcc_lo, v155, v154, v155
	s_delay_alu instid0(VALU_DEP_2) | instskip(SKIP_1) | instid1(TRANS32_DEP_1)
	v_rcp_f32_e32 v165, v164
	v_nop
	v_fma_f32 v166, -v164, v165, 1.0
	s_delay_alu instid0(VALU_DEP_1) | instskip(NEXT) | instid1(VALU_DEP_1)
	v_fmac_f32_e32 v165, v166, v165
	v_mul_f32_e32 v166, v167, v165
	s_delay_alu instid0(VALU_DEP_1) | instskip(NEXT) | instid1(VALU_DEP_1)
	v_fma_f32 v168, -v164, v166, v167
	v_fmac_f32_e32 v166, v168, v165
	s_delay_alu instid0(VALU_DEP_1) | instskip(NEXT) | instid1(VALU_DEP_1)
	v_fma_f32 v164, -v164, v166, v167
	v_div_fmas_f32 v164, v164, v165, v166
	s_delay_alu instid0(VALU_DEP_1) | instskip(NEXT) | instid1(VALU_DEP_1)
	v_div_fixup_f32 v165, v164, v154, v155
	v_fmac_f32_e32 v154, v155, v165
	s_delay_alu instid0(VALU_DEP_1) | instskip(NEXT) | instid1(VALU_DEP_1)
	v_div_scale_f32 v155, null, v154, v154, 1.0
	v_rcp_f32_e32 v164, v155
	v_nop
	s_delay_alu instid0(TRANS32_DEP_1) | instskip(NEXT) | instid1(VALU_DEP_1)
	v_fma_f32 v166, -v155, v164, 1.0
	v_fmac_f32_e32 v164, v166, v164
	v_div_scale_f32 v166, vcc_lo, 1.0, v154, 1.0
	s_delay_alu instid0(VALU_DEP_1) | instskip(NEXT) | instid1(VALU_DEP_1)
	v_mul_f32_e32 v167, v166, v164
	v_fma_f32 v168, -v155, v167, v166
	s_delay_alu instid0(VALU_DEP_1) | instskip(NEXT) | instid1(VALU_DEP_1)
	v_fmac_f32_e32 v167, v168, v164
	v_fma_f32 v155, -v155, v167, v166
	s_delay_alu instid0(VALU_DEP_1) | instskip(NEXT) | instid1(VALU_DEP_1)
	v_div_fmas_f32 v155, v155, v164, v167
	v_div_fixup_f32 v164, v155, v154, 1.0
	s_delay_alu instid0(VALU_DEP_1)
	v_mul_f32_e64 v165, v165, -v164
.LBB119_421:
	s_or_b32 exec_lo, exec_lo, s1
	ds_store_b64 v207, v[164:165]
.LBB119_422:
	s_or_b32 exec_lo, exec_lo, s2
	s_wait_dscnt 0x0
	s_barrier_signal -1
	s_barrier_wait -1
	ds_load_b64 v[154:155], v207
	s_mov_b32 s1, exec_lo
	v_cmpx_lt_u32_e32 46, v206
	s_cbranch_execz .LBB119_424
; %bb.423:
	ds_load_2addr_b64 v[168:171], v216 offset0:47 offset1:48
	s_wait_dscnt 0x1
	v_pk_mul_f32 v[166:167], v[154:155], v[192:193] op_sel:[1,1] op_sel_hi:[0,1]
	s_delay_alu instid0(VALU_DEP_1) | instskip(SKIP_1) | instid1(VALU_DEP_1)
	v_pk_fma_f32 v[164:165], v[154:155], v[192:193], v[166:167] op_sel_hi:[1,0,1] neg_lo:[0,0,1] neg_hi:[0,0,1]
	v_pk_fma_f32 v[166:167], v[154:155], v[192:193], v[166:167] op_sel_hi:[1,0,1]
	v_dual_mov_b32 v192, v164 :: v_dual_mov_b32 v193, v167
	s_wait_dscnt 0x0
	s_delay_alu instid0(VALU_DEP_2) | instskip(NEXT) | instid1(VALU_DEP_1)
	v_pk_mul_f32 v[180:181], v[168:169], v[166:167] op_sel:[0,1]
	v_pk_fma_f32 v[182:183], v[168:169], v[164:165], v[180:181] op_sel:[0,0,1] op_sel_hi:[1,1,0] neg_lo:[0,0,1] neg_hi:[0,0,1]
	v_pk_fma_f32 v[168:169], v[168:169], v[164:165], v[180:181] op_sel:[0,0,1] op_sel_hi:[1,0,0]
	s_delay_alu instid0(VALU_DEP_1) | instskip(SKIP_1) | instid1(VALU_DEP_1)
	v_mov_b32_e32 v183, v169
	v_pk_mul_f32 v[168:169], v[170:171], v[166:167] op_sel:[0,1]
	v_pk_fma_f32 v[180:181], v[170:171], v[164:165], v[168:169] op_sel:[0,0,1] op_sel_hi:[1,1,0] neg_lo:[0,0,1] neg_hi:[0,0,1]
	v_pk_fma_f32 v[168:169], v[170:171], v[164:165], v[168:169] op_sel:[0,0,1] op_sel_hi:[1,0,0]
	s_delay_alu instid0(VALU_DEP_1)
	v_mov_b32_e32 v181, v169
	ds_load_2addr_b64 v[168:171], v216 offset0:49 offset1:50
	v_pk_add_f32 v[188:189], v[188:189], v[182:183] neg_lo:[0,1] neg_hi:[0,1]
	v_pk_add_f32 v[214:215], v[214:215], v[180:181] neg_lo:[0,1] neg_hi:[0,1]
	s_wait_dscnt 0x0
	v_pk_mul_f32 v[180:181], v[168:169], v[166:167] op_sel:[0,1]
	s_delay_alu instid0(VALU_DEP_1) | instskip(SKIP_2) | instid1(VALU_DEP_2)
	v_pk_fma_f32 v[182:183], v[168:169], v[164:165], v[180:181] op_sel:[0,0,1] op_sel_hi:[1,1,0] neg_lo:[0,0,1] neg_hi:[0,0,1]
	v_pk_fma_f32 v[168:169], v[168:169], v[164:165], v[180:181] op_sel:[0,0,1] op_sel_hi:[1,0,0]
	v_dual_mul_f32 v180, v171, v167 :: v_dual_mov_b32 v168, v171
	v_dual_mov_b32 v183, v169 :: v_dual_mov_b32 v169, v170
	s_delay_alu instid0(VALU_DEP_2) | instskip(SKIP_1) | instid1(VALU_DEP_3)
	v_pk_fma_f32 v[180:181], v[170:171], v[192:193], v[180:181] op_sel_hi:[1,1,0] neg_lo:[0,0,1] neg_hi:[0,0,1]
	v_mul_f32_e32 v170, v171, v164
	v_pk_add_f32 v[210:211], v[210:211], v[182:183] neg_lo:[0,1] neg_hi:[0,1]
	s_delay_alu instid0(VALU_DEP_2) | instskip(NEXT) | instid1(VALU_DEP_1)
	v_pk_fma_f32 v[168:169], v[168:169], v[192:193], v[170:171] op_sel_hi:[1,1,0]
	v_mov_b32_e32 v181, v169
	ds_load_2addr_b64 v[168:171], v216 offset0:51 offset1:52
	v_pk_add_f32 v[212:213], v[212:213], v[180:181] neg_lo:[0,1] neg_hi:[0,1]
	s_wait_dscnt 0x0
	v_pk_mul_f32 v[180:181], v[168:169], v[166:167] op_sel:[0,1]
	s_delay_alu instid0(VALU_DEP_1) | instskip(SKIP_1) | instid1(VALU_DEP_1)
	v_pk_fma_f32 v[182:183], v[168:169], v[164:165], v[180:181] op_sel:[0,0,1] op_sel_hi:[1,1,0] neg_lo:[0,0,1] neg_hi:[0,0,1]
	v_pk_fma_f32 v[168:169], v[168:169], v[164:165], v[180:181] op_sel:[0,0,1] op_sel_hi:[1,0,0]
	v_mov_b32_e32 v183, v169
	v_pk_mul_f32 v[168:169], v[170:171], v[166:167] op_sel:[0,1]
	s_delay_alu instid0(VALU_DEP_1) | instskip(SKIP_1) | instid1(VALU_DEP_1)
	v_pk_fma_f32 v[180:181], v[170:171], v[164:165], v[168:169] op_sel:[0,0,1] op_sel_hi:[1,1,0] neg_lo:[0,0,1] neg_hi:[0,0,1]
	v_pk_fma_f32 v[168:169], v[170:171], v[164:165], v[168:169] op_sel:[0,0,1] op_sel_hi:[1,0,0]
	v_mov_b32_e32 v181, v169
	ds_load_2addr_b64 v[168:171], v216 offset0:53 offset1:54
	v_pk_add_f32 v[208:209], v[208:209], v[182:183] neg_lo:[0,1] neg_hi:[0,1]
	v_pk_add_f32 v[236:237], v[236:237], v[180:181] neg_lo:[0,1] neg_hi:[0,1]
	s_wait_dscnt 0x0
	v_pk_mul_f32 v[180:181], v[168:169], v[166:167] op_sel:[0,1]
	s_delay_alu instid0(VALU_DEP_1) | instskip(SKIP_1) | instid1(VALU_DEP_1)
	v_pk_fma_f32 v[182:183], v[168:169], v[164:165], v[180:181] op_sel:[0,0,1] op_sel_hi:[1,1,0] neg_lo:[0,0,1] neg_hi:[0,0,1]
	v_pk_fma_f32 v[168:169], v[168:169], v[164:165], v[180:181] op_sel:[0,0,1] op_sel_hi:[1,0,0]
	v_mov_b32_e32 v183, v169
	v_pk_mul_f32 v[168:169], v[170:171], v[166:167] op_sel:[0,1]
	s_delay_alu instid0(VALU_DEP_1) | instskip(SKIP_1) | instid1(VALU_DEP_1)
	v_pk_fma_f32 v[180:181], v[170:171], v[164:165], v[168:169] op_sel:[0,0,1] op_sel_hi:[1,1,0] neg_lo:[0,0,1] neg_hi:[0,0,1]
	v_pk_fma_f32 v[168:169], v[170:171], v[164:165], v[168:169] op_sel:[0,0,1] op_sel_hi:[1,0,0]
	v_mov_b32_e32 v181, v169
	ds_load_2addr_b64 v[168:171], v216 offset0:55 offset1:56
	v_pk_add_f32 v[230:231], v[230:231], v[182:183] neg_lo:[0,1] neg_hi:[0,1]
	v_pk_add_f32 v[234:235], v[234:235], v[180:181] neg_lo:[0,1] neg_hi:[0,1]
	s_wait_dscnt 0x0
	v_dual_mul_f32 v180, v169, v167 :: v_dual_mul_f32 v182, v169, v164
	s_delay_alu instid0(VALU_DEP_1) | instskip(NEXT) | instid1(VALU_DEP_2)
	v_pk_fma_f32 v[180:181], v[168:169], v[192:193], v[180:181] op_sel_hi:[1,1,0] neg_lo:[0,0,1] neg_hi:[0,0,1]
	v_pk_fma_f32 v[168:169], v[168:169], v[192:193], v[182:183] op_sel:[1,0,0] op_sel_hi:[0,1,0]
	s_delay_alu instid0(VALU_DEP_1) | instskip(SKIP_1) | instid1(VALU_DEP_2)
	v_mov_b32_e32 v181, v169
	v_pk_mul_f32 v[168:169], v[170:171], v[166:167] op_sel:[0,1]
	v_pk_add_f32 v[228:229], v[228:229], v[180:181] neg_lo:[0,1] neg_hi:[0,1]
	s_delay_alu instid0(VALU_DEP_2) | instskip(SKIP_1) | instid1(VALU_DEP_1)
	v_pk_fma_f32 v[180:181], v[170:171], v[164:165], v[168:169] op_sel:[0,0,1] op_sel_hi:[1,1,0] neg_lo:[0,0,1] neg_hi:[0,0,1]
	v_pk_fma_f32 v[168:169], v[170:171], v[164:165], v[168:169] op_sel:[0,0,1] op_sel_hi:[1,0,0]
	v_mov_b32_e32 v181, v169
	ds_load_2addr_b64 v[168:171], v216 offset0:57 offset1:58
	v_pk_add_f32 v[232:233], v[232:233], v[180:181] neg_lo:[0,1] neg_hi:[0,1]
	s_wait_dscnt 0x0
	v_pk_mul_f32 v[180:181], v[168:169], v[166:167] op_sel:[0,1]
	s_delay_alu instid0(VALU_DEP_1) | instskip(SKIP_1) | instid1(VALU_DEP_1)
	v_pk_fma_f32 v[182:183], v[168:169], v[164:165], v[180:181] op_sel:[0,0,1] op_sel_hi:[1,1,0] neg_lo:[0,0,1] neg_hi:[0,0,1]
	v_pk_fma_f32 v[168:169], v[168:169], v[164:165], v[180:181] op_sel:[0,0,1] op_sel_hi:[1,0,0]
	v_mov_b32_e32 v183, v169
	v_pk_mul_f32 v[168:169], v[170:171], v[166:167] op_sel:[0,1]
	s_delay_alu instid0(VALU_DEP_2) | instskip(NEXT) | instid1(VALU_DEP_2)
	v_pk_add_f32 v[226:227], v[226:227], v[182:183] neg_lo:[0,1] neg_hi:[0,1]
	v_pk_fma_f32 v[180:181], v[170:171], v[164:165], v[168:169] op_sel:[0,0,1] op_sel_hi:[1,1,0] neg_lo:[0,0,1] neg_hi:[0,0,1]
	v_pk_fma_f32 v[168:169], v[170:171], v[164:165], v[168:169] op_sel:[0,0,1] op_sel_hi:[1,0,0]
	s_delay_alu instid0(VALU_DEP_1) | instskip(SKIP_4) | instid1(VALU_DEP_1)
	v_mov_b32_e32 v181, v169
	ds_load_b64 v[168:169], v216 offset:472
	v_pk_add_f32 v[238:239], v[238:239], v[180:181] neg_lo:[0,1] neg_hi:[0,1]
	s_wait_dscnt 0x0
	v_pk_mul_f32 v[166:167], v[168:169], v[166:167] op_sel:[0,1]
	v_pk_fma_f32 v[170:171], v[168:169], v[164:165], v[166:167] op_sel:[0,0,1] op_sel_hi:[1,1,0] neg_lo:[0,0,1] neg_hi:[0,0,1]
	v_pk_fma_f32 v[164:165], v[168:169], v[164:165], v[166:167] op_sel:[0,0,1] op_sel_hi:[1,0,0]
	s_delay_alu instid0(VALU_DEP_1) | instskip(NEXT) | instid1(VALU_DEP_1)
	v_mov_b32_e32 v171, v165
	v_pk_add_f32 v[240:241], v[240:241], v[170:171] neg_lo:[0,1] neg_hi:[0,1]
.LBB119_424:
	s_or_b32 exec_lo, exec_lo, s1
	s_delay_alu instid0(SALU_CYCLE_1)
	s_mov_b32 s2, exec_lo
	s_wait_dscnt 0x0
	s_barrier_signal -1
	s_barrier_wait -1
	v_cmpx_eq_u32_e32 47, v206
	s_cbranch_execz .LBB119_431
; %bb.425:
	v_dual_mov_b32 v164, v214 :: v_dual_mov_b32 v165, v215
	v_dual_mov_b32 v166, v210 :: v_dual_mov_b32 v167, v211
	ds_store_b64 v207, v[188:189]
	ds_store_2addr_b64 v216, v[164:165], v[166:167] offset0:48 offset1:49
	v_dual_mov_b32 v164, v212 :: v_dual_mov_b32 v165, v213
	v_dual_mov_b32 v166, v208 :: v_dual_mov_b32 v167, v209
	ds_store_2addr_b64 v216, v[164:165], v[166:167] offset0:50 offset1:51
	v_dual_mov_b32 v164, v236 :: v_dual_mov_b32 v165, v237
	v_dual_mov_b32 v166, v230 :: v_dual_mov_b32 v167, v231
	;; [unrolled: 3-line block ×4, first 2 shown]
	ds_store_2addr_b64 v216, v[164:165], v[166:167] offset0:56 offset1:57
	v_dual_mov_b32 v164, v238 :: v_dual_mov_b32 v165, v239
	ds_store_2addr_b64 v216, v[164:165], v[240:241] offset0:58 offset1:59
	ds_load_b64 v[164:165], v207
	s_wait_dscnt 0x0
	v_cmp_neq_f32_e32 vcc_lo, 0, v164
	v_cmp_neq_f32_e64 s1, 0, v165
	s_or_b32 s1, vcc_lo, s1
	s_delay_alu instid0(SALU_CYCLE_1)
	s_and_b32 exec_lo, exec_lo, s1
	s_cbranch_execz .LBB119_431
; %bb.426:
	v_cmp_ngt_f32_e64 s1, |v164|, |v165|
                                        ; implicit-def: $vgpr166_vgpr167
	s_and_saveexec_b32 s4, s1
	s_delay_alu instid0(SALU_CYCLE_1)
	s_xor_b32 s1, exec_lo, s4
	s_cbranch_execz .LBB119_428
; %bb.427:
	v_div_scale_f32 v166, null, v165, v165, v164
	v_div_scale_f32 v169, vcc_lo, v164, v165, v164
	s_delay_alu instid0(VALU_DEP_2) | instskip(SKIP_1) | instid1(TRANS32_DEP_1)
	v_rcp_f32_e32 v167, v166
	v_nop
	v_fma_f32 v168, -v166, v167, 1.0
	s_delay_alu instid0(VALU_DEP_1) | instskip(NEXT) | instid1(VALU_DEP_1)
	v_fmac_f32_e32 v167, v168, v167
	v_mul_f32_e32 v168, v169, v167
	s_delay_alu instid0(VALU_DEP_1) | instskip(NEXT) | instid1(VALU_DEP_1)
	v_fma_f32 v170, -v166, v168, v169
	v_fmac_f32_e32 v168, v170, v167
	s_delay_alu instid0(VALU_DEP_1) | instskip(NEXT) | instid1(VALU_DEP_1)
	v_fma_f32 v166, -v166, v168, v169
	v_div_fmas_f32 v166, v166, v167, v168
	s_delay_alu instid0(VALU_DEP_1) | instskip(NEXT) | instid1(VALU_DEP_1)
	v_div_fixup_f32 v166, v166, v165, v164
	v_fmac_f32_e32 v165, v164, v166
	s_delay_alu instid0(VALU_DEP_1) | instskip(SKIP_1) | instid1(VALU_DEP_2)
	v_div_scale_f32 v164, null, v165, v165, 1.0
	v_div_scale_f32 v169, vcc_lo, 1.0, v165, 1.0
	v_rcp_f32_e32 v167, v164
	v_nop
	s_delay_alu instid0(TRANS32_DEP_1) | instskip(NEXT) | instid1(VALU_DEP_1)
	v_fma_f32 v168, -v164, v167, 1.0
	v_fmac_f32_e32 v167, v168, v167
	s_delay_alu instid0(VALU_DEP_1) | instskip(NEXT) | instid1(VALU_DEP_1)
	v_mul_f32_e32 v168, v169, v167
	v_fma_f32 v170, -v164, v168, v169
	s_delay_alu instid0(VALU_DEP_1) | instskip(NEXT) | instid1(VALU_DEP_1)
	v_fmac_f32_e32 v168, v170, v167
	v_fma_f32 v164, -v164, v168, v169
	s_delay_alu instid0(VALU_DEP_1) | instskip(NEXT) | instid1(VALU_DEP_1)
	v_div_fmas_f32 v164, v164, v167, v168
	v_div_fixup_f32 v164, v164, v165, 1.0
	s_delay_alu instid0(VALU_DEP_1)
	v_mul_f32_e32 v166, v166, v164
	v_xor_b32_e32 v167, 0x80000000, v164
                                        ; implicit-def: $vgpr164_vgpr165
.LBB119_428:
	s_and_not1_saveexec_b32 s1, s1
	s_cbranch_execz .LBB119_430
; %bb.429:
	v_div_scale_f32 v166, null, v164, v164, v165
	v_div_scale_f32 v169, vcc_lo, v165, v164, v165
	s_delay_alu instid0(VALU_DEP_2) | instskip(SKIP_1) | instid1(TRANS32_DEP_1)
	v_rcp_f32_e32 v167, v166
	v_nop
	v_fma_f32 v168, -v166, v167, 1.0
	s_delay_alu instid0(VALU_DEP_1) | instskip(NEXT) | instid1(VALU_DEP_1)
	v_fmac_f32_e32 v167, v168, v167
	v_mul_f32_e32 v168, v169, v167
	s_delay_alu instid0(VALU_DEP_1) | instskip(NEXT) | instid1(VALU_DEP_1)
	v_fma_f32 v170, -v166, v168, v169
	v_fmac_f32_e32 v168, v170, v167
	s_delay_alu instid0(VALU_DEP_1) | instskip(NEXT) | instid1(VALU_DEP_1)
	v_fma_f32 v166, -v166, v168, v169
	v_div_fmas_f32 v166, v166, v167, v168
	s_delay_alu instid0(VALU_DEP_1) | instskip(NEXT) | instid1(VALU_DEP_1)
	v_div_fixup_f32 v167, v166, v164, v165
	v_fmac_f32_e32 v164, v165, v167
	s_delay_alu instid0(VALU_DEP_1) | instskip(NEXT) | instid1(VALU_DEP_1)
	v_div_scale_f32 v165, null, v164, v164, 1.0
	v_rcp_f32_e32 v166, v165
	v_nop
	s_delay_alu instid0(TRANS32_DEP_1) | instskip(NEXT) | instid1(VALU_DEP_1)
	v_fma_f32 v168, -v165, v166, 1.0
	v_fmac_f32_e32 v166, v168, v166
	v_div_scale_f32 v168, vcc_lo, 1.0, v164, 1.0
	s_delay_alu instid0(VALU_DEP_1) | instskip(NEXT) | instid1(VALU_DEP_1)
	v_mul_f32_e32 v169, v168, v166
	v_fma_f32 v170, -v165, v169, v168
	s_delay_alu instid0(VALU_DEP_1) | instskip(NEXT) | instid1(VALU_DEP_1)
	v_fmac_f32_e32 v169, v170, v166
	v_fma_f32 v165, -v165, v169, v168
	s_delay_alu instid0(VALU_DEP_1) | instskip(NEXT) | instid1(VALU_DEP_1)
	v_div_fmas_f32 v165, v165, v166, v169
	v_div_fixup_f32 v166, v165, v164, 1.0
	s_delay_alu instid0(VALU_DEP_1)
	v_mul_f32_e64 v167, v167, -v166
.LBB119_430:
	s_or_b32 exec_lo, exec_lo, s1
	ds_store_b64 v207, v[166:167]
.LBB119_431:
	s_or_b32 exec_lo, exec_lo, s2
	s_wait_dscnt 0x0
	s_barrier_signal -1
	s_barrier_wait -1
	ds_load_b64 v[164:165], v207
	s_mov_b32 s1, exec_lo
	v_cmpx_lt_u32_e32 47, v206
	s_cbranch_execz .LBB119_433
; %bb.432:
	ds_load_2addr_b64 v[180:183], v216 offset0:48 offset1:49
	s_wait_dscnt 0x1
	v_pk_mul_f32 v[168:169], v[164:165], v[188:189] op_sel:[1,1] op_sel_hi:[0,1]
	s_delay_alu instid0(VALU_DEP_1) | instskip(SKIP_1) | instid1(VALU_DEP_1)
	v_pk_fma_f32 v[166:167], v[164:165], v[188:189], v[168:169] op_sel_hi:[1,0,1] neg_lo:[0,0,1] neg_hi:[0,0,1]
	v_pk_fma_f32 v[168:169], v[164:165], v[188:189], v[168:169] op_sel_hi:[1,0,1]
	v_dual_mov_b32 v188, v166 :: v_dual_mov_b32 v189, v169
	s_wait_dscnt 0x0
	s_delay_alu instid0(VALU_DEP_2) | instskip(NEXT) | instid1(VALU_DEP_1)
	v_pk_mul_f32 v[170:171], v[180:181], v[168:169] op_sel:[0,1]
	v_pk_fma_f32 v[184:185], v[180:181], v[166:167], v[170:171] op_sel:[0,0,1] op_sel_hi:[1,1,0] neg_lo:[0,0,1] neg_hi:[0,0,1]
	v_pk_fma_f32 v[170:171], v[180:181], v[166:167], v[170:171] op_sel:[0,0,1] op_sel_hi:[1,0,0]
	s_delay_alu instid0(VALU_DEP_1) | instskip(SKIP_1) | instid1(VALU_DEP_1)
	v_mov_b32_e32 v185, v171
	v_pk_mul_f32 v[170:171], v[182:183], v[168:169] op_sel:[0,1]
	v_pk_fma_f32 v[180:181], v[182:183], v[166:167], v[170:171] op_sel:[0,0,1] op_sel_hi:[1,1,0] neg_lo:[0,0,1] neg_hi:[0,0,1]
	v_pk_fma_f32 v[170:171], v[182:183], v[166:167], v[170:171] op_sel:[0,0,1] op_sel_hi:[1,0,0]
	s_delay_alu instid0(VALU_DEP_1) | instskip(SKIP_1) | instid1(VALU_DEP_2)
	v_mov_b32_e32 v181, v171
	v_pk_add_f32 v[214:215], v[214:215], v[184:185] neg_lo:[0,1] neg_hi:[0,1]
	v_pk_add_f32 v[210:211], v[210:211], v[180:181] neg_lo:[0,1] neg_hi:[0,1]
	ds_load_2addr_b64 v[180:183], v216 offset0:50 offset1:51
	s_wait_dscnt 0x0
	v_pk_mul_f32 v[170:171], v[180:181], v[168:169] op_sel:[0,1]
	s_delay_alu instid0(VALU_DEP_1) | instskip(SKIP_2) | instid1(VALU_DEP_2)
	v_pk_fma_f32 v[184:185], v[180:181], v[166:167], v[170:171] op_sel:[0,0,1] op_sel_hi:[1,1,0] neg_lo:[0,0,1] neg_hi:[0,0,1]
	v_pk_fma_f32 v[170:171], v[180:181], v[166:167], v[170:171] op_sel:[0,0,1] op_sel_hi:[1,0,0]
	v_dual_mul_f32 v180, v183, v169 :: v_dual_mov_b32 v170, v183
	v_dual_mov_b32 v185, v171 :: v_dual_mov_b32 v171, v182
	s_delay_alu instid0(VALU_DEP_2) | instskip(SKIP_1) | instid1(VALU_DEP_3)
	v_pk_fma_f32 v[180:181], v[182:183], v[188:189], v[180:181] op_sel_hi:[1,1,0] neg_lo:[0,0,1] neg_hi:[0,0,1]
	v_mul_f32_e32 v182, v183, v166
	v_pk_add_f32 v[212:213], v[212:213], v[184:185] neg_lo:[0,1] neg_hi:[0,1]
	s_delay_alu instid0(VALU_DEP_2) | instskip(NEXT) | instid1(VALU_DEP_1)
	v_pk_fma_f32 v[170:171], v[170:171], v[188:189], v[182:183] op_sel_hi:[1,1,0]
	v_mov_b32_e32 v181, v171
	s_delay_alu instid0(VALU_DEP_1) | instskip(SKIP_3) | instid1(VALU_DEP_1)
	v_pk_add_f32 v[208:209], v[208:209], v[180:181] neg_lo:[0,1] neg_hi:[0,1]
	ds_load_2addr_b64 v[180:183], v216 offset0:52 offset1:53
	s_wait_dscnt 0x0
	v_pk_mul_f32 v[170:171], v[180:181], v[168:169] op_sel:[0,1]
	v_pk_fma_f32 v[184:185], v[180:181], v[166:167], v[170:171] op_sel:[0,0,1] op_sel_hi:[1,1,0] neg_lo:[0,0,1] neg_hi:[0,0,1]
	v_pk_fma_f32 v[170:171], v[180:181], v[166:167], v[170:171] op_sel:[0,0,1] op_sel_hi:[1,0,0]
	s_delay_alu instid0(VALU_DEP_1) | instskip(SKIP_1) | instid1(VALU_DEP_2)
	v_mov_b32_e32 v185, v171
	v_pk_mul_f32 v[170:171], v[182:183], v[168:169] op_sel:[0,1]
	v_pk_add_f32 v[236:237], v[236:237], v[184:185] neg_lo:[0,1] neg_hi:[0,1]
	s_delay_alu instid0(VALU_DEP_2) | instskip(SKIP_1) | instid1(VALU_DEP_1)
	v_pk_fma_f32 v[180:181], v[182:183], v[166:167], v[170:171] op_sel:[0,0,1] op_sel_hi:[1,1,0] neg_lo:[0,0,1] neg_hi:[0,0,1]
	v_pk_fma_f32 v[170:171], v[182:183], v[166:167], v[170:171] op_sel:[0,0,1] op_sel_hi:[1,0,0]
	v_mov_b32_e32 v181, v171
	s_delay_alu instid0(VALU_DEP_1) | instskip(SKIP_3) | instid1(VALU_DEP_1)
	v_pk_add_f32 v[230:231], v[230:231], v[180:181] neg_lo:[0,1] neg_hi:[0,1]
	ds_load_2addr_b64 v[180:183], v216 offset0:54 offset1:55
	s_wait_dscnt 0x0
	v_pk_mul_f32 v[170:171], v[180:181], v[168:169] op_sel:[0,1]
	v_pk_fma_f32 v[184:185], v[180:181], v[166:167], v[170:171] op_sel:[0,0,1] op_sel_hi:[1,1,0] neg_lo:[0,0,1] neg_hi:[0,0,1]
	v_pk_fma_f32 v[170:171], v[180:181], v[166:167], v[170:171] op_sel:[0,0,1] op_sel_hi:[1,0,0]
	s_delay_alu instid0(VALU_DEP_1) | instskip(SKIP_1) | instid1(VALU_DEP_2)
	v_mov_b32_e32 v185, v171
	v_pk_mul_f32 v[170:171], v[182:183], v[168:169] op_sel:[0,1]
	v_pk_add_f32 v[234:235], v[234:235], v[184:185] neg_lo:[0,1] neg_hi:[0,1]
	s_delay_alu instid0(VALU_DEP_2) | instskip(SKIP_1) | instid1(VALU_DEP_1)
	v_pk_fma_f32 v[180:181], v[182:183], v[166:167], v[170:171] op_sel:[0,0,1] op_sel_hi:[1,1,0] neg_lo:[0,0,1] neg_hi:[0,0,1]
	v_pk_fma_f32 v[170:171], v[182:183], v[166:167], v[170:171] op_sel:[0,0,1] op_sel_hi:[1,0,0]
	v_mov_b32_e32 v181, v171
	s_delay_alu instid0(VALU_DEP_1) | instskip(SKIP_3) | instid1(VALU_DEP_1)
	v_pk_add_f32 v[228:229], v[228:229], v[180:181] neg_lo:[0,1] neg_hi:[0,1]
	ds_load_2addr_b64 v[180:183], v216 offset0:56 offset1:57
	s_wait_dscnt 0x0
	v_dual_mul_f32 v170, v181, v169 :: v_dual_mul_f32 v184, v181, v166
	v_pk_fma_f32 v[170:171], v[180:181], v[188:189], v[170:171] op_sel_hi:[1,1,0] neg_lo:[0,0,1] neg_hi:[0,0,1]
	s_delay_alu instid0(VALU_DEP_2) | instskip(NEXT) | instid1(VALU_DEP_1)
	v_pk_fma_f32 v[180:181], v[180:181], v[188:189], v[184:185] op_sel:[1,0,0] op_sel_hi:[0,1,0]
	v_mov_b32_e32 v171, v181
	s_delay_alu instid0(VALU_DEP_1) | instskip(SKIP_1) | instid1(VALU_DEP_1)
	v_pk_add_f32 v[232:233], v[232:233], v[170:171] neg_lo:[0,1] neg_hi:[0,1]
	v_pk_mul_f32 v[170:171], v[182:183], v[168:169] op_sel:[0,1]
	v_pk_fma_f32 v[180:181], v[182:183], v[166:167], v[170:171] op_sel:[0,0,1] op_sel_hi:[1,1,0] neg_lo:[0,0,1] neg_hi:[0,0,1]
	v_pk_fma_f32 v[170:171], v[182:183], v[166:167], v[170:171] op_sel:[0,0,1] op_sel_hi:[1,0,0]
	s_delay_alu instid0(VALU_DEP_1) | instskip(NEXT) | instid1(VALU_DEP_1)
	v_mov_b32_e32 v181, v171
	v_pk_add_f32 v[226:227], v[226:227], v[180:181] neg_lo:[0,1] neg_hi:[0,1]
	ds_load_2addr_b64 v[180:183], v216 offset0:58 offset1:59
	s_wait_dscnt 0x0
	v_pk_mul_f32 v[170:171], v[180:181], v[168:169] op_sel:[0,1]
	v_mul_f32_e32 v168, v183, v169
	s_delay_alu instid0(VALU_DEP_2) | instskip(SKIP_2) | instid1(VALU_DEP_4)
	v_pk_fma_f32 v[184:185], v[180:181], v[166:167], v[170:171] op_sel:[0,0,1] op_sel_hi:[1,1,0] neg_lo:[0,0,1] neg_hi:[0,0,1]
	v_pk_fma_f32 v[170:171], v[180:181], v[166:167], v[170:171] op_sel:[0,0,1] op_sel_hi:[1,0,0]
	v_dual_mov_b32 v170, v183 :: v_dual_mul_f32 v166, v183, v166
	v_pk_fma_f32 v[168:169], v[182:183], v[188:189], v[168:169] op_sel_hi:[1,1,0] neg_lo:[0,0,1] neg_hi:[0,0,1]
	s_delay_alu instid0(VALU_DEP_3) | instskip(NEXT) | instid1(VALU_DEP_1)
	v_dual_mov_b32 v185, v171 :: v_dual_mov_b32 v171, v182
	v_pk_add_f32 v[238:239], v[238:239], v[184:185] neg_lo:[0,1] neg_hi:[0,1]
	s_delay_alu instid0(VALU_DEP_2) | instskip(NEXT) | instid1(VALU_DEP_1)
	v_pk_fma_f32 v[166:167], v[170:171], v[188:189], v[166:167] op_sel_hi:[1,1,0]
	v_mov_b32_e32 v169, v167
	s_delay_alu instid0(VALU_DEP_1)
	v_pk_add_f32 v[240:241], v[240:241], v[168:169] neg_lo:[0,1] neg_hi:[0,1]
.LBB119_433:
	s_or_b32 exec_lo, exec_lo, s1
	s_delay_alu instid0(SALU_CYCLE_1)
	s_mov_b32 s2, exec_lo
	s_wait_dscnt 0x0
	s_barrier_signal -1
	s_barrier_wait -1
	v_cmpx_eq_u32_e32 48, v206
	s_cbranch_execz .LBB119_440
; %bb.434:
	ds_store_b64 v207, v[214:215]
	ds_store_2addr_b64 v216, v[210:211], v[212:213] offset0:49 offset1:50
	ds_store_2addr_b64 v216, v[208:209], v[236:237] offset0:51 offset1:52
	;; [unrolled: 1-line block ×5, first 2 shown]
	ds_store_b64 v216, v[240:241] offset:472
	ds_load_b64 v[166:167], v207
	s_wait_dscnt 0x0
	v_cmp_neq_f32_e32 vcc_lo, 0, v166
	v_cmp_neq_f32_e64 s1, 0, v167
	s_or_b32 s1, vcc_lo, s1
	s_delay_alu instid0(SALU_CYCLE_1)
	s_and_b32 exec_lo, exec_lo, s1
	s_cbranch_execz .LBB119_440
; %bb.435:
	v_cmp_ngt_f32_e64 s1, |v166|, |v167|
                                        ; implicit-def: $vgpr168_vgpr169
	s_and_saveexec_b32 s4, s1
	s_delay_alu instid0(SALU_CYCLE_1)
	s_xor_b32 s1, exec_lo, s4
	s_cbranch_execz .LBB119_437
; %bb.436:
	v_div_scale_f32 v168, null, v167, v167, v166
	v_div_scale_f32 v171, vcc_lo, v166, v167, v166
	s_delay_alu instid0(VALU_DEP_2) | instskip(SKIP_1) | instid1(TRANS32_DEP_1)
	v_rcp_f32_e32 v169, v168
	v_nop
	v_fma_f32 v170, -v168, v169, 1.0
	s_delay_alu instid0(VALU_DEP_1) | instskip(NEXT) | instid1(VALU_DEP_1)
	v_fmac_f32_e32 v169, v170, v169
	v_mul_f32_e32 v170, v171, v169
	s_delay_alu instid0(VALU_DEP_1) | instskip(NEXT) | instid1(VALU_DEP_1)
	v_fma_f32 v180, -v168, v170, v171
	v_fmac_f32_e32 v170, v180, v169
	s_delay_alu instid0(VALU_DEP_1) | instskip(NEXT) | instid1(VALU_DEP_1)
	v_fma_f32 v168, -v168, v170, v171
	v_div_fmas_f32 v168, v168, v169, v170
	s_delay_alu instid0(VALU_DEP_1) | instskip(NEXT) | instid1(VALU_DEP_1)
	v_div_fixup_f32 v168, v168, v167, v166
	v_fmac_f32_e32 v167, v166, v168
	s_delay_alu instid0(VALU_DEP_1) | instskip(SKIP_1) | instid1(VALU_DEP_2)
	v_div_scale_f32 v166, null, v167, v167, 1.0
	v_div_scale_f32 v171, vcc_lo, 1.0, v167, 1.0
	v_rcp_f32_e32 v169, v166
	v_nop
	s_delay_alu instid0(TRANS32_DEP_1) | instskip(NEXT) | instid1(VALU_DEP_1)
	v_fma_f32 v170, -v166, v169, 1.0
	v_fmac_f32_e32 v169, v170, v169
	s_delay_alu instid0(VALU_DEP_1) | instskip(NEXT) | instid1(VALU_DEP_1)
	v_mul_f32_e32 v170, v171, v169
	v_fma_f32 v180, -v166, v170, v171
	s_delay_alu instid0(VALU_DEP_1) | instskip(NEXT) | instid1(VALU_DEP_1)
	v_fmac_f32_e32 v170, v180, v169
	v_fma_f32 v166, -v166, v170, v171
	s_delay_alu instid0(VALU_DEP_1) | instskip(NEXT) | instid1(VALU_DEP_1)
	v_div_fmas_f32 v166, v166, v169, v170
	v_div_fixup_f32 v166, v166, v167, 1.0
	s_delay_alu instid0(VALU_DEP_1)
	v_mul_f32_e32 v168, v168, v166
	v_xor_b32_e32 v169, 0x80000000, v166
                                        ; implicit-def: $vgpr166_vgpr167
.LBB119_437:
	s_and_not1_saveexec_b32 s1, s1
	s_cbranch_execz .LBB119_439
; %bb.438:
	v_div_scale_f32 v168, null, v166, v166, v167
	v_div_scale_f32 v171, vcc_lo, v167, v166, v167
	s_delay_alu instid0(VALU_DEP_2) | instskip(SKIP_1) | instid1(TRANS32_DEP_1)
	v_rcp_f32_e32 v169, v168
	v_nop
	v_fma_f32 v170, -v168, v169, 1.0
	s_delay_alu instid0(VALU_DEP_1) | instskip(NEXT) | instid1(VALU_DEP_1)
	v_fmac_f32_e32 v169, v170, v169
	v_mul_f32_e32 v170, v171, v169
	s_delay_alu instid0(VALU_DEP_1) | instskip(NEXT) | instid1(VALU_DEP_1)
	v_fma_f32 v180, -v168, v170, v171
	v_fmac_f32_e32 v170, v180, v169
	s_delay_alu instid0(VALU_DEP_1) | instskip(NEXT) | instid1(VALU_DEP_1)
	v_fma_f32 v168, -v168, v170, v171
	v_div_fmas_f32 v168, v168, v169, v170
	s_delay_alu instid0(VALU_DEP_1) | instskip(NEXT) | instid1(VALU_DEP_1)
	v_div_fixup_f32 v169, v168, v166, v167
	v_fmac_f32_e32 v166, v167, v169
	s_delay_alu instid0(VALU_DEP_1) | instskip(NEXT) | instid1(VALU_DEP_1)
	v_div_scale_f32 v167, null, v166, v166, 1.0
	v_rcp_f32_e32 v168, v167
	v_nop
	s_delay_alu instid0(TRANS32_DEP_1) | instskip(NEXT) | instid1(VALU_DEP_1)
	v_fma_f32 v170, -v167, v168, 1.0
	v_fmac_f32_e32 v168, v170, v168
	v_div_scale_f32 v170, vcc_lo, 1.0, v166, 1.0
	s_delay_alu instid0(VALU_DEP_1) | instskip(NEXT) | instid1(VALU_DEP_1)
	v_mul_f32_e32 v171, v170, v168
	v_fma_f32 v180, -v167, v171, v170
	s_delay_alu instid0(VALU_DEP_1) | instskip(NEXT) | instid1(VALU_DEP_1)
	v_fmac_f32_e32 v171, v180, v168
	v_fma_f32 v167, -v167, v171, v170
	s_delay_alu instid0(VALU_DEP_1) | instskip(NEXT) | instid1(VALU_DEP_1)
	v_div_fmas_f32 v167, v167, v168, v171
	v_div_fixup_f32 v168, v167, v166, 1.0
	s_delay_alu instid0(VALU_DEP_1)
	v_mul_f32_e64 v169, v169, -v168
.LBB119_439:
	s_or_b32 exec_lo, exec_lo, s1
	ds_store_b64 v207, v[168:169]
.LBB119_440:
	s_or_b32 exec_lo, exec_lo, s2
	s_wait_dscnt 0x0
	s_barrier_signal -1
	s_barrier_wait -1
	ds_load_b64 v[166:167], v207
	s_mov_b32 s1, exec_lo
	v_cmpx_lt_u32_e32 48, v206
	s_cbranch_execz .LBB119_442
; %bb.441:
	ds_load_2addr_b64 v[180:183], v216 offset0:49 offset1:50
	s_wait_dscnt 0x1
	v_pk_mul_f32 v[170:171], v[166:167], v[214:215] op_sel:[1,1] op_sel_hi:[0,1]
	s_delay_alu instid0(VALU_DEP_1) | instskip(SKIP_1) | instid1(VALU_DEP_1)
	v_pk_fma_f32 v[168:169], v[166:167], v[214:215], v[170:171] op_sel_hi:[1,0,1] neg_lo:[0,0,1] neg_hi:[0,0,1]
	v_pk_fma_f32 v[170:171], v[166:167], v[214:215], v[170:171] op_sel_hi:[1,0,1]
	v_dual_mov_b32 v214, v168 :: v_dual_mov_b32 v215, v171
	s_wait_dscnt 0x0
	s_delay_alu instid0(VALU_DEP_2) | instskip(NEXT) | instid1(VALU_DEP_1)
	v_pk_mul_f32 v[184:185], v[180:181], v[170:171] op_sel:[0,1]
	v_pk_fma_f32 v[186:187], v[180:181], v[168:169], v[184:185] op_sel:[0,0,1] op_sel_hi:[1,1,0] neg_lo:[0,0,1] neg_hi:[0,0,1]
	v_pk_fma_f32 v[180:181], v[180:181], v[168:169], v[184:185] op_sel:[0,0,1] op_sel_hi:[1,0,0]
	s_delay_alu instid0(VALU_DEP_1) | instskip(SKIP_1) | instid1(VALU_DEP_1)
	v_mov_b32_e32 v187, v181
	v_pk_mul_f32 v[180:181], v[182:183], v[170:171] op_sel:[0,1]
	v_pk_fma_f32 v[184:185], v[182:183], v[168:169], v[180:181] op_sel:[0,0,1] op_sel_hi:[1,1,0] neg_lo:[0,0,1] neg_hi:[0,0,1]
	v_pk_fma_f32 v[180:181], v[182:183], v[168:169], v[180:181] op_sel:[0,0,1] op_sel_hi:[1,0,0]
	s_delay_alu instid0(VALU_DEP_1)
	v_mov_b32_e32 v185, v181
	ds_load_2addr_b64 v[180:183], v216 offset0:51 offset1:52
	v_pk_add_f32 v[210:211], v[210:211], v[186:187] neg_lo:[0,1] neg_hi:[0,1]
	v_pk_add_f32 v[212:213], v[212:213], v[184:185] neg_lo:[0,1] neg_hi:[0,1]
	s_wait_dscnt 0x0
	v_pk_mul_f32 v[184:185], v[180:181], v[170:171] op_sel:[0,1]
	s_delay_alu instid0(VALU_DEP_1) | instskip(SKIP_2) | instid1(VALU_DEP_2)
	v_pk_fma_f32 v[186:187], v[180:181], v[168:169], v[184:185] op_sel:[0,0,1] op_sel_hi:[1,1,0] neg_lo:[0,0,1] neg_hi:[0,0,1]
	v_pk_fma_f32 v[180:181], v[180:181], v[168:169], v[184:185] op_sel:[0,0,1] op_sel_hi:[1,0,0]
	v_dual_mul_f32 v184, v183, v171 :: v_dual_mov_b32 v180, v183
	v_dual_mov_b32 v187, v181 :: v_dual_mov_b32 v181, v182
	s_delay_alu instid0(VALU_DEP_2) | instskip(SKIP_1) | instid1(VALU_DEP_3)
	v_pk_fma_f32 v[184:185], v[182:183], v[214:215], v[184:185] op_sel_hi:[1,1,0] neg_lo:[0,0,1] neg_hi:[0,0,1]
	v_mul_f32_e32 v182, v183, v168
	v_pk_add_f32 v[208:209], v[208:209], v[186:187] neg_lo:[0,1] neg_hi:[0,1]
	s_delay_alu instid0(VALU_DEP_2) | instskip(NEXT) | instid1(VALU_DEP_1)
	v_pk_fma_f32 v[180:181], v[180:181], v[214:215], v[182:183] op_sel_hi:[1,1,0]
	v_mov_b32_e32 v185, v181
	ds_load_2addr_b64 v[180:183], v216 offset0:53 offset1:54
	v_pk_add_f32 v[236:237], v[236:237], v[184:185] neg_lo:[0,1] neg_hi:[0,1]
	s_wait_dscnt 0x0
	v_pk_mul_f32 v[184:185], v[180:181], v[170:171] op_sel:[0,1]
	s_delay_alu instid0(VALU_DEP_1) | instskip(SKIP_1) | instid1(VALU_DEP_1)
	v_pk_fma_f32 v[186:187], v[180:181], v[168:169], v[184:185] op_sel:[0,0,1] op_sel_hi:[1,1,0] neg_lo:[0,0,1] neg_hi:[0,0,1]
	v_pk_fma_f32 v[180:181], v[180:181], v[168:169], v[184:185] op_sel:[0,0,1] op_sel_hi:[1,0,0]
	v_mov_b32_e32 v187, v181
	v_pk_mul_f32 v[180:181], v[182:183], v[170:171] op_sel:[0,1]
	s_delay_alu instid0(VALU_DEP_1) | instskip(SKIP_1) | instid1(VALU_DEP_1)
	v_pk_fma_f32 v[184:185], v[182:183], v[168:169], v[180:181] op_sel:[0,0,1] op_sel_hi:[1,1,0] neg_lo:[0,0,1] neg_hi:[0,0,1]
	v_pk_fma_f32 v[180:181], v[182:183], v[168:169], v[180:181] op_sel:[0,0,1] op_sel_hi:[1,0,0]
	v_mov_b32_e32 v185, v181
	ds_load_2addr_b64 v[180:183], v216 offset0:55 offset1:56
	v_pk_add_f32 v[230:231], v[230:231], v[186:187] neg_lo:[0,1] neg_hi:[0,1]
	v_pk_add_f32 v[234:235], v[234:235], v[184:185] neg_lo:[0,1] neg_hi:[0,1]
	s_wait_dscnt 0x0
	v_pk_mul_f32 v[184:185], v[180:181], v[170:171] op_sel:[0,1]
	s_delay_alu instid0(VALU_DEP_1) | instskip(SKIP_1) | instid1(VALU_DEP_1)
	v_pk_fma_f32 v[186:187], v[180:181], v[168:169], v[184:185] op_sel:[0,0,1] op_sel_hi:[1,1,0] neg_lo:[0,0,1] neg_hi:[0,0,1]
	v_pk_fma_f32 v[180:181], v[180:181], v[168:169], v[184:185] op_sel:[0,0,1] op_sel_hi:[1,0,0]
	v_mov_b32_e32 v187, v181
	v_pk_mul_f32 v[180:181], v[182:183], v[170:171] op_sel:[0,1]
	s_delay_alu instid0(VALU_DEP_1) | instskip(SKIP_1) | instid1(VALU_DEP_1)
	v_pk_fma_f32 v[184:185], v[182:183], v[168:169], v[180:181] op_sel:[0,0,1] op_sel_hi:[1,1,0] neg_lo:[0,0,1] neg_hi:[0,0,1]
	v_pk_fma_f32 v[180:181], v[182:183], v[168:169], v[180:181] op_sel:[0,0,1] op_sel_hi:[1,0,0]
	v_mov_b32_e32 v185, v181
	ds_load_2addr_b64 v[180:183], v216 offset0:57 offset1:58
	v_pk_add_f32 v[228:229], v[228:229], v[186:187] neg_lo:[0,1] neg_hi:[0,1]
	v_pk_add_f32 v[232:233], v[232:233], v[184:185] neg_lo:[0,1] neg_hi:[0,1]
	s_wait_dscnt 0x0
	v_dual_mul_f32 v184, v181, v171 :: v_dual_mul_f32 v186, v181, v168
	s_delay_alu instid0(VALU_DEP_1) | instskip(NEXT) | instid1(VALU_DEP_2)
	v_pk_fma_f32 v[184:185], v[180:181], v[214:215], v[184:185] op_sel_hi:[1,1,0] neg_lo:[0,0,1] neg_hi:[0,0,1]
	v_pk_fma_f32 v[180:181], v[180:181], v[214:215], v[186:187] op_sel:[1,0,0] op_sel_hi:[0,1,0]
	s_delay_alu instid0(VALU_DEP_1) | instskip(SKIP_1) | instid1(VALU_DEP_2)
	v_mov_b32_e32 v185, v181
	v_pk_mul_f32 v[180:181], v[182:183], v[170:171] op_sel:[0,1]
	v_pk_add_f32 v[226:227], v[226:227], v[184:185] neg_lo:[0,1] neg_hi:[0,1]
	s_delay_alu instid0(VALU_DEP_2) | instskip(SKIP_1) | instid1(VALU_DEP_1)
	v_pk_fma_f32 v[184:185], v[182:183], v[168:169], v[180:181] op_sel:[0,0,1] op_sel_hi:[1,1,0] neg_lo:[0,0,1] neg_hi:[0,0,1]
	v_pk_fma_f32 v[180:181], v[182:183], v[168:169], v[180:181] op_sel:[0,0,1] op_sel_hi:[1,0,0]
	v_mov_b32_e32 v185, v181
	ds_load_b64 v[180:181], v216 offset:472
	v_pk_add_f32 v[238:239], v[238:239], v[184:185] neg_lo:[0,1] neg_hi:[0,1]
	s_wait_dscnt 0x0
	v_pk_mul_f32 v[170:171], v[180:181], v[170:171] op_sel:[0,1]
	s_delay_alu instid0(VALU_DEP_1) | instskip(SKIP_1) | instid1(VALU_DEP_1)
	v_pk_fma_f32 v[182:183], v[180:181], v[168:169], v[170:171] op_sel:[0,0,1] op_sel_hi:[1,1,0] neg_lo:[0,0,1] neg_hi:[0,0,1]
	v_pk_fma_f32 v[168:169], v[180:181], v[168:169], v[170:171] op_sel:[0,0,1] op_sel_hi:[1,0,0]
	v_mov_b32_e32 v183, v169
	s_delay_alu instid0(VALU_DEP_1)
	v_pk_add_f32 v[240:241], v[240:241], v[182:183] neg_lo:[0,1] neg_hi:[0,1]
.LBB119_442:
	s_or_b32 exec_lo, exec_lo, s1
	s_delay_alu instid0(SALU_CYCLE_1)
	s_mov_b32 s2, exec_lo
	s_wait_dscnt 0x0
	s_barrier_signal -1
	s_barrier_wait -1
	v_cmpx_eq_u32_e32 49, v206
	s_cbranch_execz .LBB119_449
; %bb.443:
	v_dual_mov_b32 v168, v212 :: v_dual_mov_b32 v169, v213
	v_dual_mov_b32 v170, v208 :: v_dual_mov_b32 v171, v209
	ds_store_b64 v207, v[210:211]
	ds_store_2addr_b64 v216, v[168:169], v[170:171] offset0:50 offset1:51
	v_dual_mov_b32 v168, v236 :: v_dual_mov_b32 v169, v237
	v_dual_mov_b32 v170, v230 :: v_dual_mov_b32 v171, v231
	ds_store_2addr_b64 v216, v[168:169], v[170:171] offset0:52 offset1:53
	v_dual_mov_b32 v168, v234 :: v_dual_mov_b32 v169, v235
	v_dual_mov_b32 v170, v228 :: v_dual_mov_b32 v171, v229
	;; [unrolled: 3-line block ×3, first 2 shown]
	ds_store_2addr_b64 v216, v[168:169], v[170:171] offset0:56 offset1:57
	v_dual_mov_b32 v168, v238 :: v_dual_mov_b32 v169, v239
	ds_store_2addr_b64 v216, v[168:169], v[240:241] offset0:58 offset1:59
	ds_load_b64 v[168:169], v207
	s_wait_dscnt 0x0
	v_cmp_neq_f32_e32 vcc_lo, 0, v168
	v_cmp_neq_f32_e64 s1, 0, v169
	s_or_b32 s1, vcc_lo, s1
	s_delay_alu instid0(SALU_CYCLE_1)
	s_and_b32 exec_lo, exec_lo, s1
	s_cbranch_execz .LBB119_449
; %bb.444:
	v_cmp_ngt_f32_e64 s1, |v168|, |v169|
                                        ; implicit-def: $vgpr170_vgpr171
	s_and_saveexec_b32 s4, s1
	s_delay_alu instid0(SALU_CYCLE_1)
	s_xor_b32 s1, exec_lo, s4
	s_cbranch_execz .LBB119_446
; %bb.445:
	v_div_scale_f32 v170, null, v169, v169, v168
	v_div_scale_f32 v181, vcc_lo, v168, v169, v168
	s_delay_alu instid0(VALU_DEP_2) | instskip(SKIP_1) | instid1(TRANS32_DEP_1)
	v_rcp_f32_e32 v171, v170
	v_nop
	v_fma_f32 v180, -v170, v171, 1.0
	s_delay_alu instid0(VALU_DEP_1) | instskip(NEXT) | instid1(VALU_DEP_1)
	v_fmac_f32_e32 v171, v180, v171
	v_mul_f32_e32 v180, v181, v171
	s_delay_alu instid0(VALU_DEP_1) | instskip(NEXT) | instid1(VALU_DEP_1)
	v_fma_f32 v182, -v170, v180, v181
	v_fmac_f32_e32 v180, v182, v171
	s_delay_alu instid0(VALU_DEP_1) | instskip(NEXT) | instid1(VALU_DEP_1)
	v_fma_f32 v170, -v170, v180, v181
	v_div_fmas_f32 v170, v170, v171, v180
	s_delay_alu instid0(VALU_DEP_1) | instskip(NEXT) | instid1(VALU_DEP_1)
	v_div_fixup_f32 v170, v170, v169, v168
	v_fmac_f32_e32 v169, v168, v170
	s_delay_alu instid0(VALU_DEP_1) | instskip(SKIP_1) | instid1(VALU_DEP_2)
	v_div_scale_f32 v168, null, v169, v169, 1.0
	v_div_scale_f32 v181, vcc_lo, 1.0, v169, 1.0
	v_rcp_f32_e32 v171, v168
	v_nop
	s_delay_alu instid0(TRANS32_DEP_1) | instskip(NEXT) | instid1(VALU_DEP_1)
	v_fma_f32 v180, -v168, v171, 1.0
	v_fmac_f32_e32 v171, v180, v171
	s_delay_alu instid0(VALU_DEP_1) | instskip(NEXT) | instid1(VALU_DEP_1)
	v_mul_f32_e32 v180, v181, v171
	v_fma_f32 v182, -v168, v180, v181
	s_delay_alu instid0(VALU_DEP_1) | instskip(NEXT) | instid1(VALU_DEP_1)
	v_fmac_f32_e32 v180, v182, v171
	v_fma_f32 v168, -v168, v180, v181
	s_delay_alu instid0(VALU_DEP_1) | instskip(NEXT) | instid1(VALU_DEP_1)
	v_div_fmas_f32 v168, v168, v171, v180
	v_div_fixup_f32 v168, v168, v169, 1.0
	s_delay_alu instid0(VALU_DEP_1)
	v_mul_f32_e32 v170, v170, v168
	v_xor_b32_e32 v171, 0x80000000, v168
                                        ; implicit-def: $vgpr168_vgpr169
.LBB119_446:
	s_and_not1_saveexec_b32 s1, s1
	s_cbranch_execz .LBB119_448
; %bb.447:
	v_div_scale_f32 v170, null, v168, v168, v169
	v_div_scale_f32 v181, vcc_lo, v169, v168, v169
	s_delay_alu instid0(VALU_DEP_2) | instskip(SKIP_1) | instid1(TRANS32_DEP_1)
	v_rcp_f32_e32 v171, v170
	v_nop
	v_fma_f32 v180, -v170, v171, 1.0
	s_delay_alu instid0(VALU_DEP_1) | instskip(NEXT) | instid1(VALU_DEP_1)
	v_fmac_f32_e32 v171, v180, v171
	v_mul_f32_e32 v180, v181, v171
	s_delay_alu instid0(VALU_DEP_1) | instskip(NEXT) | instid1(VALU_DEP_1)
	v_fma_f32 v182, -v170, v180, v181
	v_fmac_f32_e32 v180, v182, v171
	s_delay_alu instid0(VALU_DEP_1) | instskip(NEXT) | instid1(VALU_DEP_1)
	v_fma_f32 v170, -v170, v180, v181
	v_div_fmas_f32 v170, v170, v171, v180
	s_delay_alu instid0(VALU_DEP_1) | instskip(NEXT) | instid1(VALU_DEP_1)
	v_div_fixup_f32 v171, v170, v168, v169
	v_fmac_f32_e32 v168, v169, v171
	s_delay_alu instid0(VALU_DEP_1) | instskip(NEXT) | instid1(VALU_DEP_1)
	v_div_scale_f32 v169, null, v168, v168, 1.0
	v_rcp_f32_e32 v170, v169
	v_nop
	s_delay_alu instid0(TRANS32_DEP_1) | instskip(NEXT) | instid1(VALU_DEP_1)
	v_fma_f32 v180, -v169, v170, 1.0
	v_fmac_f32_e32 v170, v180, v170
	v_div_scale_f32 v180, vcc_lo, 1.0, v168, 1.0
	s_delay_alu instid0(VALU_DEP_1) | instskip(NEXT) | instid1(VALU_DEP_1)
	v_mul_f32_e32 v181, v180, v170
	v_fma_f32 v182, -v169, v181, v180
	s_delay_alu instid0(VALU_DEP_1) | instskip(NEXT) | instid1(VALU_DEP_1)
	v_fmac_f32_e32 v181, v182, v170
	v_fma_f32 v169, -v169, v181, v180
	s_delay_alu instid0(VALU_DEP_1) | instskip(NEXT) | instid1(VALU_DEP_1)
	v_div_fmas_f32 v169, v169, v170, v181
	v_div_fixup_f32 v170, v169, v168, 1.0
	s_delay_alu instid0(VALU_DEP_1)
	v_mul_f32_e64 v171, v171, -v170
.LBB119_448:
	s_or_b32 exec_lo, exec_lo, s1
	ds_store_b64 v207, v[170:171]
.LBB119_449:
	s_or_b32 exec_lo, exec_lo, s2
	s_wait_dscnt 0x0
	s_barrier_signal -1
	s_barrier_wait -1
	ds_load_b64 v[168:169], v207
	s_mov_b32 s1, exec_lo
	v_cmpx_lt_u32_e32 49, v206
	s_cbranch_execz .LBB119_451
; %bb.450:
	ds_load_2addr_b64 v[182:185], v216 offset0:50 offset1:51
	s_wait_dscnt 0x1
	v_pk_mul_f32 v[180:181], v[168:169], v[210:211] op_sel:[1,1] op_sel_hi:[0,1]
	s_delay_alu instid0(VALU_DEP_1) | instskip(SKIP_1) | instid1(VALU_DEP_1)
	v_pk_fma_f32 v[170:171], v[168:169], v[210:211], v[180:181] op_sel_hi:[1,0,1] neg_lo:[0,0,1] neg_hi:[0,0,1]
	v_pk_fma_f32 v[180:181], v[168:169], v[210:211], v[180:181] op_sel_hi:[1,0,1]
	v_dual_mov_b32 v210, v170 :: v_dual_mov_b32 v211, v181
	s_wait_dscnt 0x0
	s_delay_alu instid0(VALU_DEP_2) | instskip(NEXT) | instid1(VALU_DEP_1)
	v_pk_mul_f32 v[186:187], v[182:183], v[180:181] op_sel:[0,1]
	v_pk_fma_f32 v[196:197], v[182:183], v[170:171], v[186:187] op_sel:[0,0,1] op_sel_hi:[1,1,0] neg_lo:[0,0,1] neg_hi:[0,0,1]
	v_pk_fma_f32 v[182:183], v[182:183], v[170:171], v[186:187] op_sel:[0,0,1] op_sel_hi:[1,0,0]
	s_delay_alu instid0(VALU_DEP_1) | instskip(SKIP_1) | instid1(VALU_DEP_1)
	v_mov_b32_e32 v197, v183
	v_pk_mul_f32 v[182:183], v[184:185], v[180:181] op_sel:[0,1]
	v_pk_fma_f32 v[186:187], v[184:185], v[170:171], v[182:183] op_sel:[0,0,1] op_sel_hi:[1,1,0] neg_lo:[0,0,1] neg_hi:[0,0,1]
	v_pk_fma_f32 v[182:183], v[184:185], v[170:171], v[182:183] op_sel:[0,0,1] op_sel_hi:[1,0,0]
	s_delay_alu instid0(VALU_DEP_1)
	v_mov_b32_e32 v187, v183
	ds_load_2addr_b64 v[182:185], v216 offset0:52 offset1:53
	v_pk_add_f32 v[212:213], v[212:213], v[196:197] neg_lo:[0,1] neg_hi:[0,1]
	v_pk_add_f32 v[208:209], v[208:209], v[186:187] neg_lo:[0,1] neg_hi:[0,1]
	s_wait_dscnt 0x0
	v_pk_mul_f32 v[186:187], v[182:183], v[180:181] op_sel:[0,1]
	s_delay_alu instid0(VALU_DEP_1) | instskip(SKIP_2) | instid1(VALU_DEP_2)
	v_pk_fma_f32 v[196:197], v[182:183], v[170:171], v[186:187] op_sel:[0,0,1] op_sel_hi:[1,1,0] neg_lo:[0,0,1] neg_hi:[0,0,1]
	v_pk_fma_f32 v[182:183], v[182:183], v[170:171], v[186:187] op_sel:[0,0,1] op_sel_hi:[1,0,0]
	v_dual_mul_f32 v186, v185, v181 :: v_dual_mov_b32 v182, v185
	v_dual_mov_b32 v197, v183 :: v_dual_mov_b32 v183, v184
	s_delay_alu instid0(VALU_DEP_2) | instskip(SKIP_1) | instid1(VALU_DEP_3)
	v_pk_fma_f32 v[186:187], v[184:185], v[210:211], v[186:187] op_sel_hi:[1,1,0] neg_lo:[0,0,1] neg_hi:[0,0,1]
	v_mul_f32_e32 v184, v185, v170
	v_pk_add_f32 v[236:237], v[236:237], v[196:197] neg_lo:[0,1] neg_hi:[0,1]
	s_delay_alu instid0(VALU_DEP_2) | instskip(NEXT) | instid1(VALU_DEP_1)
	v_pk_fma_f32 v[182:183], v[182:183], v[210:211], v[184:185] op_sel_hi:[1,1,0]
	v_mov_b32_e32 v187, v183
	ds_load_2addr_b64 v[182:185], v216 offset0:54 offset1:55
	v_pk_add_f32 v[230:231], v[230:231], v[186:187] neg_lo:[0,1] neg_hi:[0,1]
	s_wait_dscnt 0x0
	v_pk_mul_f32 v[186:187], v[182:183], v[180:181] op_sel:[0,1]
	s_delay_alu instid0(VALU_DEP_1) | instskip(SKIP_1) | instid1(VALU_DEP_1)
	v_pk_fma_f32 v[196:197], v[182:183], v[170:171], v[186:187] op_sel:[0,0,1] op_sel_hi:[1,1,0] neg_lo:[0,0,1] neg_hi:[0,0,1]
	v_pk_fma_f32 v[182:183], v[182:183], v[170:171], v[186:187] op_sel:[0,0,1] op_sel_hi:[1,0,0]
	v_mov_b32_e32 v197, v183
	v_pk_mul_f32 v[182:183], v[184:185], v[180:181] op_sel:[0,1]
	s_delay_alu instid0(VALU_DEP_1) | instskip(SKIP_1) | instid1(VALU_DEP_1)
	v_pk_fma_f32 v[186:187], v[184:185], v[170:171], v[182:183] op_sel:[0,0,1] op_sel_hi:[1,1,0] neg_lo:[0,0,1] neg_hi:[0,0,1]
	v_pk_fma_f32 v[182:183], v[184:185], v[170:171], v[182:183] op_sel:[0,0,1] op_sel_hi:[1,0,0]
	v_mov_b32_e32 v187, v183
	ds_load_2addr_b64 v[182:185], v216 offset0:56 offset1:57
	v_pk_add_f32 v[234:235], v[234:235], v[196:197] neg_lo:[0,1] neg_hi:[0,1]
	v_pk_add_f32 v[228:229], v[228:229], v[186:187] neg_lo:[0,1] neg_hi:[0,1]
	s_wait_dscnt 0x0
	v_pk_mul_f32 v[186:187], v[182:183], v[180:181] op_sel:[0,1]
	s_delay_alu instid0(VALU_DEP_1) | instskip(SKIP_1) | instid1(VALU_DEP_1)
	v_pk_fma_f32 v[196:197], v[182:183], v[170:171], v[186:187] op_sel:[0,0,1] op_sel_hi:[1,1,0] neg_lo:[0,0,1] neg_hi:[0,0,1]
	v_pk_fma_f32 v[182:183], v[182:183], v[170:171], v[186:187] op_sel:[0,0,1] op_sel_hi:[1,0,0]
	v_mov_b32_e32 v197, v183
	v_pk_mul_f32 v[182:183], v[184:185], v[180:181] op_sel:[0,1]
	s_delay_alu instid0(VALU_DEP_1) | instskip(SKIP_1) | instid1(VALU_DEP_1)
	v_pk_fma_f32 v[186:187], v[184:185], v[170:171], v[182:183] op_sel:[0,0,1] op_sel_hi:[1,1,0] neg_lo:[0,0,1] neg_hi:[0,0,1]
	v_pk_fma_f32 v[182:183], v[184:185], v[170:171], v[182:183] op_sel:[0,0,1] op_sel_hi:[1,0,0]
	v_mov_b32_e32 v187, v183
	ds_load_2addr_b64 v[182:185], v216 offset0:58 offset1:59
	v_pk_add_f32 v[232:233], v[232:233], v[196:197] neg_lo:[0,1] neg_hi:[0,1]
	v_pk_add_f32 v[226:227], v[226:227], v[186:187] neg_lo:[0,1] neg_hi:[0,1]
	s_wait_dscnt 0x0
	v_dual_mul_f32 v186, v183, v181 :: v_dual_mul_f32 v196, v183, v170
	v_pk_mul_f32 v[180:181], v[184:185], v[180:181] op_sel:[0,1]
	s_delay_alu instid0(VALU_DEP_2) | instskip(NEXT) | instid1(VALU_DEP_3)
	v_pk_fma_f32 v[186:187], v[182:183], v[210:211], v[186:187] op_sel_hi:[1,1,0] neg_lo:[0,0,1] neg_hi:[0,0,1]
	v_pk_fma_f32 v[182:183], v[182:183], v[210:211], v[196:197] op_sel:[1,0,0] op_sel_hi:[0,1,0]
	s_delay_alu instid0(VALU_DEP_1) | instskip(NEXT) | instid1(VALU_DEP_4)
	v_mov_b32_e32 v187, v183
	v_pk_fma_f32 v[182:183], v[184:185], v[170:171], v[180:181] op_sel:[0,0,1] op_sel_hi:[1,1,0] neg_lo:[0,0,1] neg_hi:[0,0,1]
	v_pk_fma_f32 v[170:171], v[184:185], v[170:171], v[180:181] op_sel:[0,0,1] op_sel_hi:[1,0,0]
	s_delay_alu instid0(VALU_DEP_1) | instskip(NEXT) | instid1(VALU_DEP_4)
	v_mov_b32_e32 v183, v171
	v_pk_add_f32 v[238:239], v[238:239], v[186:187] neg_lo:[0,1] neg_hi:[0,1]
	s_delay_alu instid0(VALU_DEP_2)
	v_pk_add_f32 v[240:241], v[240:241], v[182:183] neg_lo:[0,1] neg_hi:[0,1]
.LBB119_451:
	s_or_b32 exec_lo, exec_lo, s1
	s_delay_alu instid0(SALU_CYCLE_1)
	s_mov_b32 s2, exec_lo
	s_wait_dscnt 0x0
	s_barrier_signal -1
	s_barrier_wait -1
	v_cmpx_eq_u32_e32 50, v206
	s_cbranch_execz .LBB119_458
; %bb.452:
	ds_store_b64 v207, v[212:213]
	ds_store_2addr_b64 v216, v[208:209], v[236:237] offset0:51 offset1:52
	ds_store_2addr_b64 v216, v[230:231], v[234:235] offset0:53 offset1:54
	;; [unrolled: 1-line block ×4, first 2 shown]
	ds_store_b64 v216, v[240:241] offset:472
	ds_load_b64 v[170:171], v207
	s_wait_dscnt 0x0
	v_cmp_neq_f32_e32 vcc_lo, 0, v170
	v_cmp_neq_f32_e64 s1, 0, v171
	s_or_b32 s1, vcc_lo, s1
	s_delay_alu instid0(SALU_CYCLE_1)
	s_and_b32 exec_lo, exec_lo, s1
	s_cbranch_execz .LBB119_458
; %bb.453:
	v_cmp_ngt_f32_e64 s1, |v170|, |v171|
                                        ; implicit-def: $vgpr180_vgpr181
	s_and_saveexec_b32 s4, s1
	s_delay_alu instid0(SALU_CYCLE_1)
	s_xor_b32 s1, exec_lo, s4
	s_cbranch_execz .LBB119_455
; %bb.454:
	v_div_scale_f32 v180, null, v171, v171, v170
	v_div_scale_f32 v183, vcc_lo, v170, v171, v170
	s_delay_alu instid0(VALU_DEP_2) | instskip(SKIP_1) | instid1(TRANS32_DEP_1)
	v_rcp_f32_e32 v181, v180
	v_nop
	v_fma_f32 v182, -v180, v181, 1.0
	s_delay_alu instid0(VALU_DEP_1) | instskip(NEXT) | instid1(VALU_DEP_1)
	v_fmac_f32_e32 v181, v182, v181
	v_mul_f32_e32 v182, v183, v181
	s_delay_alu instid0(VALU_DEP_1) | instskip(NEXT) | instid1(VALU_DEP_1)
	v_fma_f32 v184, -v180, v182, v183
	v_fmac_f32_e32 v182, v184, v181
	s_delay_alu instid0(VALU_DEP_1) | instskip(NEXT) | instid1(VALU_DEP_1)
	v_fma_f32 v180, -v180, v182, v183
	v_div_fmas_f32 v180, v180, v181, v182
	s_delay_alu instid0(VALU_DEP_1) | instskip(NEXT) | instid1(VALU_DEP_1)
	v_div_fixup_f32 v180, v180, v171, v170
	v_fmac_f32_e32 v171, v170, v180
	s_delay_alu instid0(VALU_DEP_1) | instskip(SKIP_1) | instid1(VALU_DEP_2)
	v_div_scale_f32 v170, null, v171, v171, 1.0
	v_div_scale_f32 v183, vcc_lo, 1.0, v171, 1.0
	v_rcp_f32_e32 v181, v170
	v_nop
	s_delay_alu instid0(TRANS32_DEP_1) | instskip(NEXT) | instid1(VALU_DEP_1)
	v_fma_f32 v182, -v170, v181, 1.0
	v_fmac_f32_e32 v181, v182, v181
	s_delay_alu instid0(VALU_DEP_1) | instskip(NEXT) | instid1(VALU_DEP_1)
	v_mul_f32_e32 v182, v183, v181
	v_fma_f32 v184, -v170, v182, v183
	s_delay_alu instid0(VALU_DEP_1) | instskip(NEXT) | instid1(VALU_DEP_1)
	v_fmac_f32_e32 v182, v184, v181
	v_fma_f32 v170, -v170, v182, v183
	s_delay_alu instid0(VALU_DEP_1) | instskip(NEXT) | instid1(VALU_DEP_1)
	v_div_fmas_f32 v170, v170, v181, v182
	v_div_fixup_f32 v170, v170, v171, 1.0
	s_delay_alu instid0(VALU_DEP_1)
	v_mul_f32_e32 v180, v180, v170
	v_xor_b32_e32 v181, 0x80000000, v170
                                        ; implicit-def: $vgpr170_vgpr171
.LBB119_455:
	s_and_not1_saveexec_b32 s1, s1
	s_cbranch_execz .LBB119_457
; %bb.456:
	v_div_scale_f32 v180, null, v170, v170, v171
	v_div_scale_f32 v183, vcc_lo, v171, v170, v171
	s_delay_alu instid0(VALU_DEP_2) | instskip(SKIP_1) | instid1(TRANS32_DEP_1)
	v_rcp_f32_e32 v181, v180
	v_nop
	v_fma_f32 v182, -v180, v181, 1.0
	s_delay_alu instid0(VALU_DEP_1) | instskip(NEXT) | instid1(VALU_DEP_1)
	v_fmac_f32_e32 v181, v182, v181
	v_mul_f32_e32 v182, v183, v181
	s_delay_alu instid0(VALU_DEP_1) | instskip(NEXT) | instid1(VALU_DEP_1)
	v_fma_f32 v184, -v180, v182, v183
	v_fmac_f32_e32 v182, v184, v181
	s_delay_alu instid0(VALU_DEP_1) | instskip(NEXT) | instid1(VALU_DEP_1)
	v_fma_f32 v180, -v180, v182, v183
	v_div_fmas_f32 v180, v180, v181, v182
	s_delay_alu instid0(VALU_DEP_1) | instskip(NEXT) | instid1(VALU_DEP_1)
	v_div_fixup_f32 v181, v180, v170, v171
	v_fmac_f32_e32 v170, v171, v181
	s_delay_alu instid0(VALU_DEP_1) | instskip(NEXT) | instid1(VALU_DEP_1)
	v_div_scale_f32 v171, null, v170, v170, 1.0
	v_rcp_f32_e32 v180, v171
	v_nop
	s_delay_alu instid0(TRANS32_DEP_1) | instskip(NEXT) | instid1(VALU_DEP_1)
	v_fma_f32 v182, -v171, v180, 1.0
	v_fmac_f32_e32 v180, v182, v180
	v_div_scale_f32 v182, vcc_lo, 1.0, v170, 1.0
	s_delay_alu instid0(VALU_DEP_1) | instskip(NEXT) | instid1(VALU_DEP_1)
	v_mul_f32_e32 v183, v182, v180
	v_fma_f32 v184, -v171, v183, v182
	s_delay_alu instid0(VALU_DEP_1) | instskip(NEXT) | instid1(VALU_DEP_1)
	v_fmac_f32_e32 v183, v184, v180
	v_fma_f32 v171, -v171, v183, v182
	s_delay_alu instid0(VALU_DEP_1) | instskip(NEXT) | instid1(VALU_DEP_1)
	v_div_fmas_f32 v171, v171, v180, v183
	v_div_fixup_f32 v180, v171, v170, 1.0
	s_delay_alu instid0(VALU_DEP_1)
	v_mul_f32_e64 v181, v181, -v180
.LBB119_457:
	s_or_b32 exec_lo, exec_lo, s1
	ds_store_b64 v207, v[180:181]
.LBB119_458:
	s_or_b32 exec_lo, exec_lo, s2
	s_wait_dscnt 0x0
	s_barrier_signal -1
	s_barrier_wait -1
	ds_load_b64 v[170:171], v207
	s_mov_b32 s1, exec_lo
	v_cmpx_lt_u32_e32 50, v206
	s_cbranch_execz .LBB119_460
; %bb.459:
	ds_load_2addr_b64 v[184:187], v216 offset0:51 offset1:52
	s_wait_dscnt 0x1
	v_pk_mul_f32 v[182:183], v[170:171], v[212:213] op_sel:[1,1] op_sel_hi:[0,1]
	s_delay_alu instid0(VALU_DEP_1) | instskip(SKIP_1) | instid1(VALU_DEP_1)
	v_pk_fma_f32 v[180:181], v[170:171], v[212:213], v[182:183] op_sel_hi:[1,0,1] neg_lo:[0,0,1] neg_hi:[0,0,1]
	v_pk_fma_f32 v[182:183], v[170:171], v[212:213], v[182:183] op_sel_hi:[1,0,1]
	v_dual_mov_b32 v212, v180 :: v_dual_mov_b32 v213, v183
	s_wait_dscnt 0x0
	s_delay_alu instid0(VALU_DEP_2) | instskip(NEXT) | instid1(VALU_DEP_1)
	v_pk_mul_f32 v[196:197], v[184:185], v[182:183] op_sel:[0,1]
	v_pk_fma_f32 v[198:199], v[184:185], v[180:181], v[196:197] op_sel:[0,0,1] op_sel_hi:[1,1,0] neg_lo:[0,0,1] neg_hi:[0,0,1]
	v_pk_fma_f32 v[184:185], v[184:185], v[180:181], v[196:197] op_sel:[0,0,1] op_sel_hi:[1,0,0]
	s_delay_alu instid0(VALU_DEP_1) | instskip(SKIP_1) | instid1(VALU_DEP_1)
	v_mov_b32_e32 v199, v185
	v_pk_mul_f32 v[184:185], v[186:187], v[182:183] op_sel:[0,1]
	v_pk_fma_f32 v[196:197], v[186:187], v[180:181], v[184:185] op_sel:[0,0,1] op_sel_hi:[1,1,0] neg_lo:[0,0,1] neg_hi:[0,0,1]
	v_pk_fma_f32 v[184:185], v[186:187], v[180:181], v[184:185] op_sel:[0,0,1] op_sel_hi:[1,0,0]
	s_delay_alu instid0(VALU_DEP_1)
	v_mov_b32_e32 v197, v185
	ds_load_2addr_b64 v[184:187], v216 offset0:53 offset1:54
	v_pk_add_f32 v[208:209], v[208:209], v[198:199] neg_lo:[0,1] neg_hi:[0,1]
	v_pk_add_f32 v[236:237], v[236:237], v[196:197] neg_lo:[0,1] neg_hi:[0,1]
	s_wait_dscnt 0x0
	v_pk_mul_f32 v[196:197], v[184:185], v[182:183] op_sel:[0,1]
	s_delay_alu instid0(VALU_DEP_1) | instskip(SKIP_2) | instid1(VALU_DEP_2)
	v_pk_fma_f32 v[198:199], v[184:185], v[180:181], v[196:197] op_sel:[0,0,1] op_sel_hi:[1,1,0] neg_lo:[0,0,1] neg_hi:[0,0,1]
	v_pk_fma_f32 v[184:185], v[184:185], v[180:181], v[196:197] op_sel:[0,0,1] op_sel_hi:[1,0,0]
	v_dual_mul_f32 v196, v187, v183 :: v_dual_mov_b32 v184, v187
	v_dual_mov_b32 v199, v185 :: v_dual_mov_b32 v185, v186
	s_delay_alu instid0(VALU_DEP_2) | instskip(SKIP_1) | instid1(VALU_DEP_3)
	v_pk_fma_f32 v[196:197], v[186:187], v[212:213], v[196:197] op_sel_hi:[1,1,0] neg_lo:[0,0,1] neg_hi:[0,0,1]
	v_mul_f32_e32 v186, v187, v180
	v_pk_add_f32 v[230:231], v[230:231], v[198:199] neg_lo:[0,1] neg_hi:[0,1]
	s_delay_alu instid0(VALU_DEP_2) | instskip(NEXT) | instid1(VALU_DEP_1)
	v_pk_fma_f32 v[184:185], v[184:185], v[212:213], v[186:187] op_sel_hi:[1,1,0]
	v_mov_b32_e32 v197, v185
	ds_load_2addr_b64 v[184:187], v216 offset0:55 offset1:56
	v_pk_add_f32 v[234:235], v[234:235], v[196:197] neg_lo:[0,1] neg_hi:[0,1]
	s_wait_dscnt 0x0
	v_pk_mul_f32 v[196:197], v[184:185], v[182:183] op_sel:[0,1]
	s_delay_alu instid0(VALU_DEP_1) | instskip(SKIP_1) | instid1(VALU_DEP_1)
	v_pk_fma_f32 v[198:199], v[184:185], v[180:181], v[196:197] op_sel:[0,0,1] op_sel_hi:[1,1,0] neg_lo:[0,0,1] neg_hi:[0,0,1]
	v_pk_fma_f32 v[184:185], v[184:185], v[180:181], v[196:197] op_sel:[0,0,1] op_sel_hi:[1,0,0]
	v_mov_b32_e32 v199, v185
	v_pk_mul_f32 v[184:185], v[186:187], v[182:183] op_sel:[0,1]
	s_delay_alu instid0(VALU_DEP_1) | instskip(SKIP_1) | instid1(VALU_DEP_1)
	v_pk_fma_f32 v[196:197], v[186:187], v[180:181], v[184:185] op_sel:[0,0,1] op_sel_hi:[1,1,0] neg_lo:[0,0,1] neg_hi:[0,0,1]
	v_pk_fma_f32 v[184:185], v[186:187], v[180:181], v[184:185] op_sel:[0,0,1] op_sel_hi:[1,0,0]
	v_mov_b32_e32 v197, v185
	ds_load_2addr_b64 v[184:187], v216 offset0:57 offset1:58
	v_pk_add_f32 v[228:229], v[228:229], v[198:199] neg_lo:[0,1] neg_hi:[0,1]
	v_pk_add_f32 v[232:233], v[232:233], v[196:197] neg_lo:[0,1] neg_hi:[0,1]
	s_wait_dscnt 0x0
	v_pk_mul_f32 v[196:197], v[184:185], v[182:183] op_sel:[0,1]
	s_delay_alu instid0(VALU_DEP_1) | instskip(SKIP_1) | instid1(VALU_DEP_1)
	v_pk_fma_f32 v[198:199], v[184:185], v[180:181], v[196:197] op_sel:[0,0,1] op_sel_hi:[1,1,0] neg_lo:[0,0,1] neg_hi:[0,0,1]
	v_pk_fma_f32 v[184:185], v[184:185], v[180:181], v[196:197] op_sel:[0,0,1] op_sel_hi:[1,0,0]
	v_mov_b32_e32 v199, v185
	v_pk_mul_f32 v[184:185], v[186:187], v[182:183] op_sel:[0,1]
	s_delay_alu instid0(VALU_DEP_1) | instskip(SKIP_1) | instid1(VALU_DEP_1)
	v_pk_fma_f32 v[196:197], v[186:187], v[180:181], v[184:185] op_sel:[0,0,1] op_sel_hi:[1,1,0] neg_lo:[0,0,1] neg_hi:[0,0,1]
	v_pk_fma_f32 v[184:185], v[186:187], v[180:181], v[184:185] op_sel:[0,0,1] op_sel_hi:[1,0,0]
	v_mov_b32_e32 v197, v185
	ds_load_b64 v[184:185], v216 offset:472
	v_pk_add_f32 v[226:227], v[226:227], v[198:199] neg_lo:[0,1] neg_hi:[0,1]
	v_pk_add_f32 v[238:239], v[238:239], v[196:197] neg_lo:[0,1] neg_hi:[0,1]
	s_wait_dscnt 0x0
	v_pk_mul_f32 v[182:183], v[184:185], v[182:183] op_sel:[0,1]
	s_delay_alu instid0(VALU_DEP_1) | instskip(SKIP_1) | instid1(VALU_DEP_1)
	v_pk_fma_f32 v[186:187], v[184:185], v[180:181], v[182:183] op_sel:[0,0,1] op_sel_hi:[1,1,0] neg_lo:[0,0,1] neg_hi:[0,0,1]
	v_pk_fma_f32 v[180:181], v[184:185], v[180:181], v[182:183] op_sel:[0,0,1] op_sel_hi:[1,0,0]
	v_mov_b32_e32 v187, v181
	s_delay_alu instid0(VALU_DEP_1)
	v_pk_add_f32 v[240:241], v[240:241], v[186:187] neg_lo:[0,1] neg_hi:[0,1]
.LBB119_460:
	s_or_b32 exec_lo, exec_lo, s1
	s_delay_alu instid0(SALU_CYCLE_1)
	s_mov_b32 s2, exec_lo
	s_wait_dscnt 0x0
	s_barrier_signal -1
	s_barrier_wait -1
	v_cmpx_eq_u32_e32 51, v206
	s_cbranch_execz .LBB119_467
; %bb.461:
	v_dual_mov_b32 v180, v236 :: v_dual_mov_b32 v181, v237
	v_dual_mov_b32 v182, v230 :: v_dual_mov_b32 v183, v231
	ds_store_b64 v207, v[208:209]
	ds_store_2addr_b64 v216, v[180:181], v[182:183] offset0:52 offset1:53
	v_dual_mov_b32 v180, v234 :: v_dual_mov_b32 v181, v235
	v_dual_mov_b32 v182, v228 :: v_dual_mov_b32 v183, v229
	ds_store_2addr_b64 v216, v[180:181], v[182:183] offset0:54 offset1:55
	v_dual_mov_b32 v180, v232 :: v_dual_mov_b32 v181, v233
	v_dual_mov_b32 v182, v226 :: v_dual_mov_b32 v183, v227
	ds_store_2addr_b64 v216, v[180:181], v[182:183] offset0:56 offset1:57
	v_dual_mov_b32 v180, v238 :: v_dual_mov_b32 v181, v239
	ds_store_2addr_b64 v216, v[180:181], v[240:241] offset0:58 offset1:59
	ds_load_b64 v[180:181], v207
	s_wait_dscnt 0x0
	v_cmp_neq_f32_e32 vcc_lo, 0, v180
	v_cmp_neq_f32_e64 s1, 0, v181
	s_or_b32 s1, vcc_lo, s1
	s_delay_alu instid0(SALU_CYCLE_1)
	s_and_b32 exec_lo, exec_lo, s1
	s_cbranch_execz .LBB119_467
; %bb.462:
	v_cmp_ngt_f32_e64 s1, |v180|, |v181|
                                        ; implicit-def: $vgpr182_vgpr183
	s_and_saveexec_b32 s4, s1
	s_delay_alu instid0(SALU_CYCLE_1)
	s_xor_b32 s1, exec_lo, s4
	s_cbranch_execz .LBB119_464
; %bb.463:
	v_div_scale_f32 v182, null, v181, v181, v180
	v_div_scale_f32 v185, vcc_lo, v180, v181, v180
	s_delay_alu instid0(VALU_DEP_2) | instskip(SKIP_1) | instid1(TRANS32_DEP_1)
	v_rcp_f32_e32 v183, v182
	v_nop
	v_fma_f32 v184, -v182, v183, 1.0
	s_delay_alu instid0(VALU_DEP_1) | instskip(NEXT) | instid1(VALU_DEP_1)
	v_fmac_f32_e32 v183, v184, v183
	v_mul_f32_e32 v184, v185, v183
	s_delay_alu instid0(VALU_DEP_1) | instskip(NEXT) | instid1(VALU_DEP_1)
	v_fma_f32 v186, -v182, v184, v185
	v_fmac_f32_e32 v184, v186, v183
	s_delay_alu instid0(VALU_DEP_1) | instskip(NEXT) | instid1(VALU_DEP_1)
	v_fma_f32 v182, -v182, v184, v185
	v_div_fmas_f32 v182, v182, v183, v184
	s_delay_alu instid0(VALU_DEP_1) | instskip(NEXT) | instid1(VALU_DEP_1)
	v_div_fixup_f32 v182, v182, v181, v180
	v_fmac_f32_e32 v181, v180, v182
	s_delay_alu instid0(VALU_DEP_1) | instskip(SKIP_1) | instid1(VALU_DEP_2)
	v_div_scale_f32 v180, null, v181, v181, 1.0
	v_div_scale_f32 v185, vcc_lo, 1.0, v181, 1.0
	v_rcp_f32_e32 v183, v180
	v_nop
	s_delay_alu instid0(TRANS32_DEP_1) | instskip(NEXT) | instid1(VALU_DEP_1)
	v_fma_f32 v184, -v180, v183, 1.0
	v_fmac_f32_e32 v183, v184, v183
	s_delay_alu instid0(VALU_DEP_1) | instskip(NEXT) | instid1(VALU_DEP_1)
	v_mul_f32_e32 v184, v185, v183
	v_fma_f32 v186, -v180, v184, v185
	s_delay_alu instid0(VALU_DEP_1) | instskip(NEXT) | instid1(VALU_DEP_1)
	v_fmac_f32_e32 v184, v186, v183
	v_fma_f32 v180, -v180, v184, v185
	s_delay_alu instid0(VALU_DEP_1) | instskip(NEXT) | instid1(VALU_DEP_1)
	v_div_fmas_f32 v180, v180, v183, v184
	v_div_fixup_f32 v180, v180, v181, 1.0
	s_delay_alu instid0(VALU_DEP_1)
	v_mul_f32_e32 v182, v182, v180
	v_xor_b32_e32 v183, 0x80000000, v180
                                        ; implicit-def: $vgpr180_vgpr181
.LBB119_464:
	s_and_not1_saveexec_b32 s1, s1
	s_cbranch_execz .LBB119_466
; %bb.465:
	v_div_scale_f32 v182, null, v180, v180, v181
	v_div_scale_f32 v185, vcc_lo, v181, v180, v181
	s_delay_alu instid0(VALU_DEP_2) | instskip(SKIP_1) | instid1(TRANS32_DEP_1)
	v_rcp_f32_e32 v183, v182
	v_nop
	v_fma_f32 v184, -v182, v183, 1.0
	s_delay_alu instid0(VALU_DEP_1) | instskip(NEXT) | instid1(VALU_DEP_1)
	v_fmac_f32_e32 v183, v184, v183
	v_mul_f32_e32 v184, v185, v183
	s_delay_alu instid0(VALU_DEP_1) | instskip(NEXT) | instid1(VALU_DEP_1)
	v_fma_f32 v186, -v182, v184, v185
	v_fmac_f32_e32 v184, v186, v183
	s_delay_alu instid0(VALU_DEP_1) | instskip(NEXT) | instid1(VALU_DEP_1)
	v_fma_f32 v182, -v182, v184, v185
	v_div_fmas_f32 v182, v182, v183, v184
	s_delay_alu instid0(VALU_DEP_1) | instskip(NEXT) | instid1(VALU_DEP_1)
	v_div_fixup_f32 v183, v182, v180, v181
	v_fmac_f32_e32 v180, v181, v183
	s_delay_alu instid0(VALU_DEP_1) | instskip(NEXT) | instid1(VALU_DEP_1)
	v_div_scale_f32 v181, null, v180, v180, 1.0
	v_rcp_f32_e32 v182, v181
	v_nop
	s_delay_alu instid0(TRANS32_DEP_1) | instskip(NEXT) | instid1(VALU_DEP_1)
	v_fma_f32 v184, -v181, v182, 1.0
	v_fmac_f32_e32 v182, v184, v182
	v_div_scale_f32 v184, vcc_lo, 1.0, v180, 1.0
	s_delay_alu instid0(VALU_DEP_1) | instskip(NEXT) | instid1(VALU_DEP_1)
	v_mul_f32_e32 v185, v184, v182
	v_fma_f32 v186, -v181, v185, v184
	s_delay_alu instid0(VALU_DEP_1) | instskip(NEXT) | instid1(VALU_DEP_1)
	v_fmac_f32_e32 v185, v186, v182
	v_fma_f32 v181, -v181, v185, v184
	s_delay_alu instid0(VALU_DEP_1) | instskip(NEXT) | instid1(VALU_DEP_1)
	v_div_fmas_f32 v181, v181, v182, v185
	v_div_fixup_f32 v182, v181, v180, 1.0
	s_delay_alu instid0(VALU_DEP_1)
	v_mul_f32_e64 v183, v183, -v182
.LBB119_466:
	s_or_b32 exec_lo, exec_lo, s1
	ds_store_b64 v207, v[182:183]
.LBB119_467:
	s_or_b32 exec_lo, exec_lo, s2
	s_wait_dscnt 0x0
	s_barrier_signal -1
	s_barrier_wait -1
	ds_load_b64 v[180:181], v207
	s_mov_b32 s1, exec_lo
	v_cmpx_lt_u32_e32 51, v206
	s_cbranch_execz .LBB119_469
; %bb.468:
	ds_load_2addr_b64 v[196:199], v216 offset0:52 offset1:53
	s_wait_dscnt 0x1
	v_pk_mul_f32 v[184:185], v[180:181], v[208:209] op_sel:[1,1] op_sel_hi:[0,1]
	s_delay_alu instid0(VALU_DEP_1) | instskip(SKIP_1) | instid1(VALU_DEP_1)
	v_pk_fma_f32 v[182:183], v[180:181], v[208:209], v[184:185] op_sel_hi:[1,0,1] neg_lo:[0,0,1] neg_hi:[0,0,1]
	v_pk_fma_f32 v[184:185], v[180:181], v[208:209], v[184:185] op_sel_hi:[1,0,1]
	v_dual_mov_b32 v208, v182 :: v_dual_mov_b32 v209, v185
	s_wait_dscnt 0x0
	s_delay_alu instid0(VALU_DEP_2) | instskip(NEXT) | instid1(VALU_DEP_1)
	v_pk_mul_f32 v[186:187], v[196:197], v[184:185] op_sel:[0,1]
	v_pk_fma_f32 v[200:201], v[196:197], v[182:183], v[186:187] op_sel:[0,0,1] op_sel_hi:[1,1,0] neg_lo:[0,0,1] neg_hi:[0,0,1]
	v_pk_fma_f32 v[186:187], v[196:197], v[182:183], v[186:187] op_sel:[0,0,1] op_sel_hi:[1,0,0]
	s_delay_alu instid0(VALU_DEP_1) | instskip(SKIP_1) | instid1(VALU_DEP_1)
	v_mov_b32_e32 v201, v187
	v_pk_mul_f32 v[186:187], v[198:199], v[184:185] op_sel:[0,1]
	v_pk_fma_f32 v[196:197], v[198:199], v[182:183], v[186:187] op_sel:[0,0,1] op_sel_hi:[1,1,0] neg_lo:[0,0,1] neg_hi:[0,0,1]
	v_pk_fma_f32 v[186:187], v[198:199], v[182:183], v[186:187] op_sel:[0,0,1] op_sel_hi:[1,0,0]
	s_delay_alu instid0(VALU_DEP_1) | instskip(SKIP_1) | instid1(VALU_DEP_2)
	v_mov_b32_e32 v197, v187
	v_pk_add_f32 v[236:237], v[236:237], v[200:201] neg_lo:[0,1] neg_hi:[0,1]
	v_pk_add_f32 v[230:231], v[230:231], v[196:197] neg_lo:[0,1] neg_hi:[0,1]
	ds_load_2addr_b64 v[196:199], v216 offset0:54 offset1:55
	s_wait_dscnt 0x0
	v_pk_mul_f32 v[186:187], v[196:197], v[184:185] op_sel:[0,1]
	s_delay_alu instid0(VALU_DEP_1) | instskip(SKIP_2) | instid1(VALU_DEP_2)
	v_pk_fma_f32 v[200:201], v[196:197], v[182:183], v[186:187] op_sel:[0,0,1] op_sel_hi:[1,1,0] neg_lo:[0,0,1] neg_hi:[0,0,1]
	v_pk_fma_f32 v[186:187], v[196:197], v[182:183], v[186:187] op_sel:[0,0,1] op_sel_hi:[1,0,0]
	v_dual_mul_f32 v196, v199, v185 :: v_dual_mov_b32 v186, v199
	v_dual_mov_b32 v201, v187 :: v_dual_mov_b32 v187, v198
	s_delay_alu instid0(VALU_DEP_2) | instskip(SKIP_1) | instid1(VALU_DEP_3)
	v_pk_fma_f32 v[196:197], v[198:199], v[208:209], v[196:197] op_sel_hi:[1,1,0] neg_lo:[0,0,1] neg_hi:[0,0,1]
	v_mul_f32_e32 v198, v199, v182
	v_pk_add_f32 v[234:235], v[234:235], v[200:201] neg_lo:[0,1] neg_hi:[0,1]
	s_delay_alu instid0(VALU_DEP_2) | instskip(NEXT) | instid1(VALU_DEP_1)
	v_pk_fma_f32 v[186:187], v[186:187], v[208:209], v[198:199] op_sel_hi:[1,1,0]
	v_mov_b32_e32 v197, v187
	s_delay_alu instid0(VALU_DEP_1) | instskip(SKIP_3) | instid1(VALU_DEP_1)
	v_pk_add_f32 v[228:229], v[228:229], v[196:197] neg_lo:[0,1] neg_hi:[0,1]
	ds_load_2addr_b64 v[196:199], v216 offset0:56 offset1:57
	s_wait_dscnt 0x0
	v_pk_mul_f32 v[186:187], v[196:197], v[184:185] op_sel:[0,1]
	v_pk_fma_f32 v[200:201], v[196:197], v[182:183], v[186:187] op_sel:[0,0,1] op_sel_hi:[1,1,0] neg_lo:[0,0,1] neg_hi:[0,0,1]
	v_pk_fma_f32 v[186:187], v[196:197], v[182:183], v[186:187] op_sel:[0,0,1] op_sel_hi:[1,0,0]
	s_delay_alu instid0(VALU_DEP_1) | instskip(SKIP_1) | instid1(VALU_DEP_2)
	v_mov_b32_e32 v201, v187
	v_pk_mul_f32 v[186:187], v[198:199], v[184:185] op_sel:[0,1]
	v_pk_add_f32 v[232:233], v[232:233], v[200:201] neg_lo:[0,1] neg_hi:[0,1]
	s_delay_alu instid0(VALU_DEP_2) | instskip(SKIP_1) | instid1(VALU_DEP_1)
	v_pk_fma_f32 v[196:197], v[198:199], v[182:183], v[186:187] op_sel:[0,0,1] op_sel_hi:[1,1,0] neg_lo:[0,0,1] neg_hi:[0,0,1]
	v_pk_fma_f32 v[186:187], v[198:199], v[182:183], v[186:187] op_sel:[0,0,1] op_sel_hi:[1,0,0]
	v_mov_b32_e32 v197, v187
	s_delay_alu instid0(VALU_DEP_1) | instskip(SKIP_4) | instid1(VALU_DEP_2)
	v_pk_add_f32 v[226:227], v[226:227], v[196:197] neg_lo:[0,1] neg_hi:[0,1]
	ds_load_2addr_b64 v[196:199], v216 offset0:58 offset1:59
	s_wait_dscnt 0x0
	v_pk_mul_f32 v[186:187], v[196:197], v[184:185] op_sel:[0,1]
	v_pk_mul_f32 v[184:185], v[198:199], v[184:185] op_sel:[0,1]
	v_pk_fma_f32 v[200:201], v[196:197], v[182:183], v[186:187] op_sel:[0,0,1] op_sel_hi:[1,1,0] neg_lo:[0,0,1] neg_hi:[0,0,1]
	v_pk_fma_f32 v[186:187], v[196:197], v[182:183], v[186:187] op_sel:[0,0,1] op_sel_hi:[1,0,0]
	s_delay_alu instid0(VALU_DEP_1) | instskip(NEXT) | instid1(VALU_DEP_4)
	v_mov_b32_e32 v201, v187
	v_pk_fma_f32 v[186:187], v[198:199], v[182:183], v[184:185] op_sel:[0,0,1] op_sel_hi:[1,1,0] neg_lo:[0,0,1] neg_hi:[0,0,1]
	v_pk_fma_f32 v[182:183], v[198:199], v[182:183], v[184:185] op_sel:[0,0,1] op_sel_hi:[1,0,0]
	s_delay_alu instid0(VALU_DEP_3) | instskip(NEXT) | instid1(VALU_DEP_2)
	v_pk_add_f32 v[238:239], v[238:239], v[200:201] neg_lo:[0,1] neg_hi:[0,1]
	v_mov_b32_e32 v187, v183
	s_delay_alu instid0(VALU_DEP_1)
	v_pk_add_f32 v[240:241], v[240:241], v[186:187] neg_lo:[0,1] neg_hi:[0,1]
.LBB119_469:
	s_or_b32 exec_lo, exec_lo, s1
	s_delay_alu instid0(SALU_CYCLE_1)
	s_mov_b32 s2, exec_lo
	s_wait_dscnt 0x0
	s_barrier_signal -1
	s_barrier_wait -1
	v_cmpx_eq_u32_e32 52, v206
	s_cbranch_execz .LBB119_476
; %bb.470:
	ds_store_b64 v207, v[236:237]
	ds_store_2addr_b64 v216, v[230:231], v[234:235] offset0:53 offset1:54
	ds_store_2addr_b64 v216, v[228:229], v[232:233] offset0:55 offset1:56
	;; [unrolled: 1-line block ×3, first 2 shown]
	ds_store_b64 v216, v[240:241] offset:472
	ds_load_b64 v[182:183], v207
	s_wait_dscnt 0x0
	v_cmp_neq_f32_e32 vcc_lo, 0, v182
	v_cmp_neq_f32_e64 s1, 0, v183
	s_or_b32 s1, vcc_lo, s1
	s_delay_alu instid0(SALU_CYCLE_1)
	s_and_b32 exec_lo, exec_lo, s1
	s_cbranch_execz .LBB119_476
; %bb.471:
	v_cmp_ngt_f32_e64 s1, |v182|, |v183|
                                        ; implicit-def: $vgpr184_vgpr185
	s_and_saveexec_b32 s4, s1
	s_delay_alu instid0(SALU_CYCLE_1)
	s_xor_b32 s1, exec_lo, s4
	s_cbranch_execz .LBB119_473
; %bb.472:
	v_div_scale_f32 v184, null, v183, v183, v182
	v_div_scale_f32 v187, vcc_lo, v182, v183, v182
	s_delay_alu instid0(VALU_DEP_2) | instskip(SKIP_1) | instid1(TRANS32_DEP_1)
	v_rcp_f32_e32 v185, v184
	v_nop
	v_fma_f32 v186, -v184, v185, 1.0
	s_delay_alu instid0(VALU_DEP_1) | instskip(NEXT) | instid1(VALU_DEP_1)
	v_fmac_f32_e32 v185, v186, v185
	v_mul_f32_e32 v186, v187, v185
	s_delay_alu instid0(VALU_DEP_1) | instskip(NEXT) | instid1(VALU_DEP_1)
	v_fma_f32 v196, -v184, v186, v187
	v_fmac_f32_e32 v186, v196, v185
	s_delay_alu instid0(VALU_DEP_1) | instskip(NEXT) | instid1(VALU_DEP_1)
	v_fma_f32 v184, -v184, v186, v187
	v_div_fmas_f32 v184, v184, v185, v186
	s_delay_alu instid0(VALU_DEP_1) | instskip(NEXT) | instid1(VALU_DEP_1)
	v_div_fixup_f32 v184, v184, v183, v182
	v_fmac_f32_e32 v183, v182, v184
	s_delay_alu instid0(VALU_DEP_1) | instskip(SKIP_1) | instid1(VALU_DEP_2)
	v_div_scale_f32 v182, null, v183, v183, 1.0
	v_div_scale_f32 v187, vcc_lo, 1.0, v183, 1.0
	v_rcp_f32_e32 v185, v182
	v_nop
	s_delay_alu instid0(TRANS32_DEP_1) | instskip(NEXT) | instid1(VALU_DEP_1)
	v_fma_f32 v186, -v182, v185, 1.0
	v_fmac_f32_e32 v185, v186, v185
	s_delay_alu instid0(VALU_DEP_1) | instskip(NEXT) | instid1(VALU_DEP_1)
	v_mul_f32_e32 v186, v187, v185
	v_fma_f32 v196, -v182, v186, v187
	s_delay_alu instid0(VALU_DEP_1) | instskip(NEXT) | instid1(VALU_DEP_1)
	v_fmac_f32_e32 v186, v196, v185
	v_fma_f32 v182, -v182, v186, v187
	s_delay_alu instid0(VALU_DEP_1) | instskip(NEXT) | instid1(VALU_DEP_1)
	v_div_fmas_f32 v182, v182, v185, v186
	v_div_fixup_f32 v182, v182, v183, 1.0
	s_delay_alu instid0(VALU_DEP_1)
	v_mul_f32_e32 v184, v184, v182
	v_xor_b32_e32 v185, 0x80000000, v182
                                        ; implicit-def: $vgpr182_vgpr183
.LBB119_473:
	s_and_not1_saveexec_b32 s1, s1
	s_cbranch_execz .LBB119_475
; %bb.474:
	v_div_scale_f32 v184, null, v182, v182, v183
	v_div_scale_f32 v187, vcc_lo, v183, v182, v183
	s_delay_alu instid0(VALU_DEP_2) | instskip(SKIP_1) | instid1(TRANS32_DEP_1)
	v_rcp_f32_e32 v185, v184
	v_nop
	v_fma_f32 v186, -v184, v185, 1.0
	s_delay_alu instid0(VALU_DEP_1) | instskip(NEXT) | instid1(VALU_DEP_1)
	v_fmac_f32_e32 v185, v186, v185
	v_mul_f32_e32 v186, v187, v185
	s_delay_alu instid0(VALU_DEP_1) | instskip(NEXT) | instid1(VALU_DEP_1)
	v_fma_f32 v196, -v184, v186, v187
	v_fmac_f32_e32 v186, v196, v185
	s_delay_alu instid0(VALU_DEP_1) | instskip(NEXT) | instid1(VALU_DEP_1)
	v_fma_f32 v184, -v184, v186, v187
	v_div_fmas_f32 v184, v184, v185, v186
	s_delay_alu instid0(VALU_DEP_1) | instskip(NEXT) | instid1(VALU_DEP_1)
	v_div_fixup_f32 v185, v184, v182, v183
	v_fmac_f32_e32 v182, v183, v185
	s_delay_alu instid0(VALU_DEP_1) | instskip(NEXT) | instid1(VALU_DEP_1)
	v_div_scale_f32 v183, null, v182, v182, 1.0
	v_rcp_f32_e32 v184, v183
	v_nop
	s_delay_alu instid0(TRANS32_DEP_1) | instskip(NEXT) | instid1(VALU_DEP_1)
	v_fma_f32 v186, -v183, v184, 1.0
	v_fmac_f32_e32 v184, v186, v184
	v_div_scale_f32 v186, vcc_lo, 1.0, v182, 1.0
	s_delay_alu instid0(VALU_DEP_1) | instskip(NEXT) | instid1(VALU_DEP_1)
	v_mul_f32_e32 v187, v186, v184
	v_fma_f32 v196, -v183, v187, v186
	s_delay_alu instid0(VALU_DEP_1) | instskip(NEXT) | instid1(VALU_DEP_1)
	v_fmac_f32_e32 v187, v196, v184
	v_fma_f32 v183, -v183, v187, v186
	s_delay_alu instid0(VALU_DEP_1) | instskip(NEXT) | instid1(VALU_DEP_1)
	v_div_fmas_f32 v183, v183, v184, v187
	v_div_fixup_f32 v184, v183, v182, 1.0
	s_delay_alu instid0(VALU_DEP_1)
	v_mul_f32_e64 v185, v185, -v184
.LBB119_475:
	s_or_b32 exec_lo, exec_lo, s1
	ds_store_b64 v207, v[184:185]
.LBB119_476:
	s_or_b32 exec_lo, exec_lo, s2
	s_wait_dscnt 0x0
	s_barrier_signal -1
	s_barrier_wait -1
	ds_load_b64 v[182:183], v207
	s_mov_b32 s1, exec_lo
	v_cmpx_lt_u32_e32 52, v206
	s_cbranch_execz .LBB119_478
; %bb.477:
	ds_load_2addr_b64 v[196:199], v216 offset0:53 offset1:54
	s_wait_dscnt 0x1
	v_pk_mul_f32 v[186:187], v[182:183], v[236:237] op_sel:[1,1] op_sel_hi:[0,1]
	s_delay_alu instid0(VALU_DEP_1) | instskip(SKIP_1) | instid1(VALU_DEP_1)
	v_pk_fma_f32 v[184:185], v[182:183], v[236:237], v[186:187] op_sel_hi:[1,0,1] neg_lo:[0,0,1] neg_hi:[0,0,1]
	v_pk_fma_f32 v[186:187], v[182:183], v[236:237], v[186:187] op_sel_hi:[1,0,1]
	v_dual_mov_b32 v236, v184 :: v_dual_mov_b32 v237, v187
	s_wait_dscnt 0x0
	s_delay_alu instid0(VALU_DEP_2) | instskip(NEXT) | instid1(VALU_DEP_1)
	v_pk_mul_f32 v[200:201], v[196:197], v[186:187] op_sel:[0,1]
	v_pk_fma_f32 v[202:203], v[196:197], v[184:185], v[200:201] op_sel:[0,0,1] op_sel_hi:[1,1,0] neg_lo:[0,0,1] neg_hi:[0,0,1]
	v_pk_fma_f32 v[196:197], v[196:197], v[184:185], v[200:201] op_sel:[0,0,1] op_sel_hi:[1,0,0]
	s_delay_alu instid0(VALU_DEP_1) | instskip(SKIP_1) | instid1(VALU_DEP_1)
	v_mov_b32_e32 v203, v197
	v_pk_mul_f32 v[196:197], v[198:199], v[186:187] op_sel:[0,1]
	v_pk_fma_f32 v[200:201], v[198:199], v[184:185], v[196:197] op_sel:[0,0,1] op_sel_hi:[1,1,0] neg_lo:[0,0,1] neg_hi:[0,0,1]
	v_pk_fma_f32 v[196:197], v[198:199], v[184:185], v[196:197] op_sel:[0,0,1] op_sel_hi:[1,0,0]
	s_delay_alu instid0(VALU_DEP_1)
	v_mov_b32_e32 v201, v197
	ds_load_2addr_b64 v[196:199], v216 offset0:55 offset1:56
	v_pk_add_f32 v[230:231], v[230:231], v[202:203] neg_lo:[0,1] neg_hi:[0,1]
	v_pk_add_f32 v[234:235], v[234:235], v[200:201] neg_lo:[0,1] neg_hi:[0,1]
	s_wait_dscnt 0x0
	v_pk_mul_f32 v[200:201], v[196:197], v[186:187] op_sel:[0,1]
	s_delay_alu instid0(VALU_DEP_1) | instskip(SKIP_2) | instid1(VALU_DEP_2)
	v_pk_fma_f32 v[202:203], v[196:197], v[184:185], v[200:201] op_sel:[0,0,1] op_sel_hi:[1,1,0] neg_lo:[0,0,1] neg_hi:[0,0,1]
	v_pk_fma_f32 v[196:197], v[196:197], v[184:185], v[200:201] op_sel:[0,0,1] op_sel_hi:[1,0,0]
	v_dual_mul_f32 v200, v199, v187 :: v_dual_mov_b32 v196, v199
	v_dual_mov_b32 v203, v197 :: v_dual_mov_b32 v197, v198
	s_delay_alu instid0(VALU_DEP_2) | instskip(SKIP_1) | instid1(VALU_DEP_3)
	v_pk_fma_f32 v[200:201], v[198:199], v[236:237], v[200:201] op_sel_hi:[1,1,0] neg_lo:[0,0,1] neg_hi:[0,0,1]
	v_mul_f32_e32 v198, v199, v184
	v_pk_add_f32 v[228:229], v[228:229], v[202:203] neg_lo:[0,1] neg_hi:[0,1]
	s_delay_alu instid0(VALU_DEP_2) | instskip(NEXT) | instid1(VALU_DEP_1)
	v_pk_fma_f32 v[196:197], v[196:197], v[236:237], v[198:199] op_sel_hi:[1,1,0]
	v_mov_b32_e32 v201, v197
	ds_load_2addr_b64 v[196:199], v216 offset0:57 offset1:58
	v_pk_add_f32 v[232:233], v[232:233], v[200:201] neg_lo:[0,1] neg_hi:[0,1]
	s_wait_dscnt 0x0
	v_pk_mul_f32 v[200:201], v[196:197], v[186:187] op_sel:[0,1]
	s_delay_alu instid0(VALU_DEP_1) | instskip(SKIP_1) | instid1(VALU_DEP_1)
	v_pk_fma_f32 v[202:203], v[196:197], v[184:185], v[200:201] op_sel:[0,0,1] op_sel_hi:[1,1,0] neg_lo:[0,0,1] neg_hi:[0,0,1]
	v_pk_fma_f32 v[196:197], v[196:197], v[184:185], v[200:201] op_sel:[0,0,1] op_sel_hi:[1,0,0]
	v_mov_b32_e32 v203, v197
	v_pk_mul_f32 v[196:197], v[198:199], v[186:187] op_sel:[0,1]
	s_delay_alu instid0(VALU_DEP_1) | instskip(SKIP_1) | instid1(VALU_DEP_1)
	v_pk_fma_f32 v[200:201], v[198:199], v[184:185], v[196:197] op_sel:[0,0,1] op_sel_hi:[1,1,0] neg_lo:[0,0,1] neg_hi:[0,0,1]
	v_pk_fma_f32 v[196:197], v[198:199], v[184:185], v[196:197] op_sel:[0,0,1] op_sel_hi:[1,0,0]
	v_mov_b32_e32 v201, v197
	ds_load_b64 v[196:197], v216 offset:472
	v_pk_add_f32 v[226:227], v[226:227], v[202:203] neg_lo:[0,1] neg_hi:[0,1]
	v_pk_add_f32 v[238:239], v[238:239], v[200:201] neg_lo:[0,1] neg_hi:[0,1]
	s_wait_dscnt 0x0
	v_pk_mul_f32 v[186:187], v[196:197], v[186:187] op_sel:[0,1]
	s_delay_alu instid0(VALU_DEP_1) | instskip(SKIP_1) | instid1(VALU_DEP_1)
	v_pk_fma_f32 v[198:199], v[196:197], v[184:185], v[186:187] op_sel:[0,0,1] op_sel_hi:[1,1,0] neg_lo:[0,0,1] neg_hi:[0,0,1]
	v_pk_fma_f32 v[184:185], v[196:197], v[184:185], v[186:187] op_sel:[0,0,1] op_sel_hi:[1,0,0]
	v_mov_b32_e32 v199, v185
	s_delay_alu instid0(VALU_DEP_1)
	v_pk_add_f32 v[240:241], v[240:241], v[198:199] neg_lo:[0,1] neg_hi:[0,1]
.LBB119_478:
	s_or_b32 exec_lo, exec_lo, s1
	s_delay_alu instid0(SALU_CYCLE_1)
	s_mov_b32 s2, exec_lo
	s_wait_dscnt 0x0
	s_barrier_signal -1
	s_barrier_wait -1
	v_cmpx_eq_u32_e32 53, v206
	s_cbranch_execz .LBB119_485
; %bb.479:
	v_dual_mov_b32 v184, v234 :: v_dual_mov_b32 v185, v235
	v_dual_mov_b32 v186, v228 :: v_dual_mov_b32 v187, v229
	ds_store_b64 v207, v[230:231]
	ds_store_2addr_b64 v216, v[184:185], v[186:187] offset0:54 offset1:55
	v_dual_mov_b32 v184, v232 :: v_dual_mov_b32 v185, v233
	v_dual_mov_b32 v186, v226 :: v_dual_mov_b32 v187, v227
	ds_store_2addr_b64 v216, v[184:185], v[186:187] offset0:56 offset1:57
	v_dual_mov_b32 v184, v238 :: v_dual_mov_b32 v185, v239
	ds_store_2addr_b64 v216, v[184:185], v[240:241] offset0:58 offset1:59
	ds_load_b64 v[184:185], v207
	s_wait_dscnt 0x0
	v_cmp_neq_f32_e32 vcc_lo, 0, v184
	v_cmp_neq_f32_e64 s1, 0, v185
	s_or_b32 s1, vcc_lo, s1
	s_delay_alu instid0(SALU_CYCLE_1)
	s_and_b32 exec_lo, exec_lo, s1
	s_cbranch_execz .LBB119_485
; %bb.480:
	v_cmp_ngt_f32_e64 s1, |v184|, |v185|
                                        ; implicit-def: $vgpr186_vgpr187
	s_and_saveexec_b32 s4, s1
	s_delay_alu instid0(SALU_CYCLE_1)
	s_xor_b32 s1, exec_lo, s4
	s_cbranch_execz .LBB119_482
; %bb.481:
	v_div_scale_f32 v186, null, v185, v185, v184
	v_div_scale_f32 v197, vcc_lo, v184, v185, v184
	s_delay_alu instid0(VALU_DEP_2) | instskip(SKIP_1) | instid1(TRANS32_DEP_1)
	v_rcp_f32_e32 v187, v186
	v_nop
	v_fma_f32 v196, -v186, v187, 1.0
	s_delay_alu instid0(VALU_DEP_1) | instskip(NEXT) | instid1(VALU_DEP_1)
	v_fmac_f32_e32 v187, v196, v187
	v_mul_f32_e32 v196, v197, v187
	s_delay_alu instid0(VALU_DEP_1) | instskip(NEXT) | instid1(VALU_DEP_1)
	v_fma_f32 v198, -v186, v196, v197
	v_fmac_f32_e32 v196, v198, v187
	s_delay_alu instid0(VALU_DEP_1) | instskip(NEXT) | instid1(VALU_DEP_1)
	v_fma_f32 v186, -v186, v196, v197
	v_div_fmas_f32 v186, v186, v187, v196
	s_delay_alu instid0(VALU_DEP_1) | instskip(NEXT) | instid1(VALU_DEP_1)
	v_div_fixup_f32 v186, v186, v185, v184
	v_fmac_f32_e32 v185, v184, v186
	s_delay_alu instid0(VALU_DEP_1) | instskip(SKIP_1) | instid1(VALU_DEP_2)
	v_div_scale_f32 v184, null, v185, v185, 1.0
	v_div_scale_f32 v197, vcc_lo, 1.0, v185, 1.0
	v_rcp_f32_e32 v187, v184
	v_nop
	s_delay_alu instid0(TRANS32_DEP_1) | instskip(NEXT) | instid1(VALU_DEP_1)
	v_fma_f32 v196, -v184, v187, 1.0
	v_fmac_f32_e32 v187, v196, v187
	s_delay_alu instid0(VALU_DEP_1) | instskip(NEXT) | instid1(VALU_DEP_1)
	v_mul_f32_e32 v196, v197, v187
	v_fma_f32 v198, -v184, v196, v197
	s_delay_alu instid0(VALU_DEP_1) | instskip(NEXT) | instid1(VALU_DEP_1)
	v_fmac_f32_e32 v196, v198, v187
	v_fma_f32 v184, -v184, v196, v197
	s_delay_alu instid0(VALU_DEP_1) | instskip(NEXT) | instid1(VALU_DEP_1)
	v_div_fmas_f32 v184, v184, v187, v196
	v_div_fixup_f32 v184, v184, v185, 1.0
	s_delay_alu instid0(VALU_DEP_1)
	v_mul_f32_e32 v186, v186, v184
	v_xor_b32_e32 v187, 0x80000000, v184
                                        ; implicit-def: $vgpr184_vgpr185
.LBB119_482:
	s_and_not1_saveexec_b32 s1, s1
	s_cbranch_execz .LBB119_484
; %bb.483:
	v_div_scale_f32 v186, null, v184, v184, v185
	v_div_scale_f32 v197, vcc_lo, v185, v184, v185
	s_delay_alu instid0(VALU_DEP_2) | instskip(SKIP_1) | instid1(TRANS32_DEP_1)
	v_rcp_f32_e32 v187, v186
	v_nop
	v_fma_f32 v196, -v186, v187, 1.0
	s_delay_alu instid0(VALU_DEP_1) | instskip(NEXT) | instid1(VALU_DEP_1)
	v_fmac_f32_e32 v187, v196, v187
	v_mul_f32_e32 v196, v197, v187
	s_delay_alu instid0(VALU_DEP_1) | instskip(NEXT) | instid1(VALU_DEP_1)
	v_fma_f32 v198, -v186, v196, v197
	v_fmac_f32_e32 v196, v198, v187
	s_delay_alu instid0(VALU_DEP_1) | instskip(NEXT) | instid1(VALU_DEP_1)
	v_fma_f32 v186, -v186, v196, v197
	v_div_fmas_f32 v186, v186, v187, v196
	s_delay_alu instid0(VALU_DEP_1) | instskip(NEXT) | instid1(VALU_DEP_1)
	v_div_fixup_f32 v187, v186, v184, v185
	v_fmac_f32_e32 v184, v185, v187
	s_delay_alu instid0(VALU_DEP_1) | instskip(NEXT) | instid1(VALU_DEP_1)
	v_div_scale_f32 v185, null, v184, v184, 1.0
	v_rcp_f32_e32 v186, v185
	v_nop
	s_delay_alu instid0(TRANS32_DEP_1) | instskip(NEXT) | instid1(VALU_DEP_1)
	v_fma_f32 v196, -v185, v186, 1.0
	v_fmac_f32_e32 v186, v196, v186
	v_div_scale_f32 v196, vcc_lo, 1.0, v184, 1.0
	s_delay_alu instid0(VALU_DEP_1) | instskip(NEXT) | instid1(VALU_DEP_1)
	v_mul_f32_e32 v197, v196, v186
	v_fma_f32 v198, -v185, v197, v196
	s_delay_alu instid0(VALU_DEP_1) | instskip(NEXT) | instid1(VALU_DEP_1)
	v_fmac_f32_e32 v197, v198, v186
	v_fma_f32 v185, -v185, v197, v196
	s_delay_alu instid0(VALU_DEP_1) | instskip(NEXT) | instid1(VALU_DEP_1)
	v_div_fmas_f32 v185, v185, v186, v197
	v_div_fixup_f32 v186, v185, v184, 1.0
	s_delay_alu instid0(VALU_DEP_1)
	v_mul_f32_e64 v187, v187, -v186
.LBB119_484:
	s_or_b32 exec_lo, exec_lo, s1
	ds_store_b64 v207, v[186:187]
.LBB119_485:
	s_or_b32 exec_lo, exec_lo, s2
	s_wait_dscnt 0x0
	s_barrier_signal -1
	s_barrier_wait -1
	ds_load_b64 v[184:185], v207
	s_mov_b32 s1, exec_lo
	v_cmpx_lt_u32_e32 53, v206
	s_cbranch_execz .LBB119_487
; %bb.486:
	ds_load_2addr_b64 v[196:199], v216 offset0:54 offset1:55
	s_wait_dscnt 0x1
	v_pk_mul_f32 v[186:187], v[184:185], v[230:231] op_sel:[1,1] op_sel_hi:[0,1]
	s_delay_alu instid0(VALU_DEP_1) | instskip(SKIP_1) | instid1(VALU_DEP_1)
	v_pk_fma_f32 v[200:201], v[184:185], v[230:231], v[186:187] op_sel_hi:[1,0,1] neg_lo:[0,0,1] neg_hi:[0,0,1]
	v_pk_fma_f32 v[186:187], v[184:185], v[230:231], v[186:187] op_sel_hi:[1,0,1]
	v_dual_mov_b32 v230, v200 :: v_dual_mov_b32 v231, v187
	s_wait_dscnt 0x0
	s_delay_alu instid0(VALU_DEP_2) | instskip(NEXT) | instid1(VALU_DEP_1)
	v_pk_mul_f32 v[202:203], v[196:197], v[186:187] op_sel:[0,1]
	v_pk_fma_f32 v[204:205], v[196:197], v[200:201], v[202:203] op_sel:[0,0,1] op_sel_hi:[1,1,0] neg_lo:[0,0,1] neg_hi:[0,0,1]
	v_pk_fma_f32 v[196:197], v[196:197], v[200:201], v[202:203] op_sel:[0,0,1] op_sel_hi:[1,0,0]
	s_delay_alu instid0(VALU_DEP_1) | instskip(SKIP_1) | instid1(VALU_DEP_1)
	v_mov_b32_e32 v205, v197
	v_pk_mul_f32 v[196:197], v[198:199], v[186:187] op_sel:[0,1]
	v_pk_fma_f32 v[202:203], v[198:199], v[200:201], v[196:197] op_sel:[0,0,1] op_sel_hi:[1,1,0] neg_lo:[0,0,1] neg_hi:[0,0,1]
	v_pk_fma_f32 v[196:197], v[198:199], v[200:201], v[196:197] op_sel:[0,0,1] op_sel_hi:[1,0,0]
	s_delay_alu instid0(VALU_DEP_1)
	v_mov_b32_e32 v203, v197
	ds_load_2addr_b64 v[196:199], v216 offset0:56 offset1:57
	v_pk_add_f32 v[234:235], v[234:235], v[204:205] neg_lo:[0,1] neg_hi:[0,1]
	v_pk_add_f32 v[228:229], v[228:229], v[202:203] neg_lo:[0,1] neg_hi:[0,1]
	s_wait_dscnt 0x0
	v_pk_mul_f32 v[202:203], v[196:197], v[186:187] op_sel:[0,1]
	s_delay_alu instid0(VALU_DEP_1) | instskip(SKIP_2) | instid1(VALU_DEP_2)
	v_pk_fma_f32 v[204:205], v[196:197], v[200:201], v[202:203] op_sel:[0,0,1] op_sel_hi:[1,1,0] neg_lo:[0,0,1] neg_hi:[0,0,1]
	v_pk_fma_f32 v[196:197], v[196:197], v[200:201], v[202:203] op_sel:[0,0,1] op_sel_hi:[1,0,0]
	v_dual_mul_f32 v202, v199, v187 :: v_dual_mov_b32 v196, v199
	v_dual_mov_b32 v205, v197 :: v_dual_mov_b32 v197, v198
	s_delay_alu instid0(VALU_DEP_2) | instskip(SKIP_1) | instid1(VALU_DEP_3)
	v_pk_fma_f32 v[202:203], v[198:199], v[230:231], v[202:203] op_sel_hi:[1,1,0] neg_lo:[0,0,1] neg_hi:[0,0,1]
	v_mul_f32_e32 v198, v199, v200
	v_pk_add_f32 v[232:233], v[232:233], v[204:205] neg_lo:[0,1] neg_hi:[0,1]
	s_delay_alu instid0(VALU_DEP_2) | instskip(NEXT) | instid1(VALU_DEP_1)
	v_pk_fma_f32 v[196:197], v[196:197], v[230:231], v[198:199] op_sel_hi:[1,1,0]
	v_mov_b32_e32 v203, v197
	ds_load_2addr_b64 v[196:199], v216 offset0:58 offset1:59
	v_pk_add_f32 v[226:227], v[226:227], v[202:203] neg_lo:[0,1] neg_hi:[0,1]
	s_wait_dscnt 0x0
	v_pk_mul_f32 v[202:203], v[196:197], v[186:187] op_sel:[0,1]
	v_mul_f32_e32 v186, v199, v187
	s_delay_alu instid0(VALU_DEP_2) | instskip(SKIP_2) | instid1(VALU_DEP_4)
	v_pk_fma_f32 v[204:205], v[196:197], v[200:201], v[202:203] op_sel:[0,0,1] op_sel_hi:[1,1,0] neg_lo:[0,0,1] neg_hi:[0,0,1]
	v_pk_fma_f32 v[196:197], v[196:197], v[200:201], v[202:203] op_sel:[0,0,1] op_sel_hi:[1,0,0]
	v_mov_b32_e32 v196, v199
	v_pk_fma_f32 v[186:187], v[198:199], v[230:231], v[186:187] op_sel_hi:[1,1,0] neg_lo:[0,0,1] neg_hi:[0,0,1]
	s_delay_alu instid0(VALU_DEP_3) | instskip(SKIP_1) | instid1(VALU_DEP_2)
	v_dual_mov_b32 v205, v197 :: v_dual_mov_b32 v197, v198
	v_mul_f32_e32 v198, v199, v200
	v_pk_add_f32 v[238:239], v[238:239], v[204:205] neg_lo:[0,1] neg_hi:[0,1]
	s_delay_alu instid0(VALU_DEP_2) | instskip(NEXT) | instid1(VALU_DEP_1)
	v_pk_fma_f32 v[196:197], v[196:197], v[230:231], v[198:199] op_sel_hi:[1,1,0]
	v_mov_b32_e32 v187, v197
	s_delay_alu instid0(VALU_DEP_1)
	v_pk_add_f32 v[240:241], v[240:241], v[186:187] neg_lo:[0,1] neg_hi:[0,1]
.LBB119_487:
	s_or_b32 exec_lo, exec_lo, s1
	s_delay_alu instid0(SALU_CYCLE_1)
	s_mov_b32 s2, exec_lo
	s_wait_dscnt 0x0
	s_barrier_signal -1
	s_barrier_wait -1
	v_cmpx_eq_u32_e32 54, v206
	s_cbranch_execz .LBB119_494
; %bb.488:
	ds_store_b64 v207, v[234:235]
	ds_store_2addr_b64 v216, v[228:229], v[232:233] offset0:55 offset1:56
	ds_store_2addr_b64 v216, v[226:227], v[238:239] offset0:57 offset1:58
	ds_store_b64 v216, v[240:241] offset:472
	ds_load_b64 v[186:187], v207
	s_wait_dscnt 0x0
	v_cmp_neq_f32_e32 vcc_lo, 0, v186
	v_cmp_neq_f32_e64 s1, 0, v187
	s_or_b32 s1, vcc_lo, s1
	s_delay_alu instid0(SALU_CYCLE_1)
	s_and_b32 exec_lo, exec_lo, s1
	s_cbranch_execz .LBB119_494
; %bb.489:
	v_cmp_ngt_f32_e64 s1, |v186|, |v187|
                                        ; implicit-def: $vgpr196_vgpr197
	s_and_saveexec_b32 s4, s1
	s_delay_alu instid0(SALU_CYCLE_1)
	s_xor_b32 s1, exec_lo, s4
	s_cbranch_execz .LBB119_491
; %bb.490:
	v_div_scale_f32 v196, null, v187, v187, v186
	v_div_scale_f32 v199, vcc_lo, v186, v187, v186
	s_delay_alu instid0(VALU_DEP_2) | instskip(SKIP_1) | instid1(TRANS32_DEP_1)
	v_rcp_f32_e32 v197, v196
	v_nop
	v_fma_f32 v198, -v196, v197, 1.0
	s_delay_alu instid0(VALU_DEP_1) | instskip(NEXT) | instid1(VALU_DEP_1)
	v_fmac_f32_e32 v197, v198, v197
	v_mul_f32_e32 v198, v199, v197
	s_delay_alu instid0(VALU_DEP_1) | instskip(NEXT) | instid1(VALU_DEP_1)
	v_fma_f32 v200, -v196, v198, v199
	v_fmac_f32_e32 v198, v200, v197
	s_delay_alu instid0(VALU_DEP_1) | instskip(NEXT) | instid1(VALU_DEP_1)
	v_fma_f32 v196, -v196, v198, v199
	v_div_fmas_f32 v196, v196, v197, v198
	s_delay_alu instid0(VALU_DEP_1) | instskip(NEXT) | instid1(VALU_DEP_1)
	v_div_fixup_f32 v196, v196, v187, v186
	v_fmac_f32_e32 v187, v186, v196
	s_delay_alu instid0(VALU_DEP_1) | instskip(SKIP_1) | instid1(VALU_DEP_2)
	v_div_scale_f32 v186, null, v187, v187, 1.0
	v_div_scale_f32 v199, vcc_lo, 1.0, v187, 1.0
	v_rcp_f32_e32 v197, v186
	v_nop
	s_delay_alu instid0(TRANS32_DEP_1) | instskip(NEXT) | instid1(VALU_DEP_1)
	v_fma_f32 v198, -v186, v197, 1.0
	v_fmac_f32_e32 v197, v198, v197
	s_delay_alu instid0(VALU_DEP_1) | instskip(NEXT) | instid1(VALU_DEP_1)
	v_mul_f32_e32 v198, v199, v197
	v_fma_f32 v200, -v186, v198, v199
	s_delay_alu instid0(VALU_DEP_1) | instskip(NEXT) | instid1(VALU_DEP_1)
	v_fmac_f32_e32 v198, v200, v197
	v_fma_f32 v186, -v186, v198, v199
	s_delay_alu instid0(VALU_DEP_1) | instskip(NEXT) | instid1(VALU_DEP_1)
	v_div_fmas_f32 v186, v186, v197, v198
	v_div_fixup_f32 v186, v186, v187, 1.0
	s_delay_alu instid0(VALU_DEP_1)
	v_mul_f32_e32 v196, v196, v186
	v_xor_b32_e32 v197, 0x80000000, v186
                                        ; implicit-def: $vgpr186_vgpr187
.LBB119_491:
	s_and_not1_saveexec_b32 s1, s1
	s_cbranch_execz .LBB119_493
; %bb.492:
	v_div_scale_f32 v196, null, v186, v186, v187
	v_div_scale_f32 v199, vcc_lo, v187, v186, v187
	s_delay_alu instid0(VALU_DEP_2) | instskip(SKIP_1) | instid1(TRANS32_DEP_1)
	v_rcp_f32_e32 v197, v196
	v_nop
	v_fma_f32 v198, -v196, v197, 1.0
	s_delay_alu instid0(VALU_DEP_1) | instskip(NEXT) | instid1(VALU_DEP_1)
	v_fmac_f32_e32 v197, v198, v197
	v_mul_f32_e32 v198, v199, v197
	s_delay_alu instid0(VALU_DEP_1) | instskip(NEXT) | instid1(VALU_DEP_1)
	v_fma_f32 v200, -v196, v198, v199
	v_fmac_f32_e32 v198, v200, v197
	s_delay_alu instid0(VALU_DEP_1) | instskip(NEXT) | instid1(VALU_DEP_1)
	v_fma_f32 v196, -v196, v198, v199
	v_div_fmas_f32 v196, v196, v197, v198
	s_delay_alu instid0(VALU_DEP_1) | instskip(NEXT) | instid1(VALU_DEP_1)
	v_div_fixup_f32 v197, v196, v186, v187
	v_fmac_f32_e32 v186, v187, v197
	s_delay_alu instid0(VALU_DEP_1) | instskip(NEXT) | instid1(VALU_DEP_1)
	v_div_scale_f32 v187, null, v186, v186, 1.0
	v_rcp_f32_e32 v196, v187
	v_nop
	s_delay_alu instid0(TRANS32_DEP_1) | instskip(NEXT) | instid1(VALU_DEP_1)
	v_fma_f32 v198, -v187, v196, 1.0
	v_fmac_f32_e32 v196, v198, v196
	v_div_scale_f32 v198, vcc_lo, 1.0, v186, 1.0
	s_delay_alu instid0(VALU_DEP_1) | instskip(NEXT) | instid1(VALU_DEP_1)
	v_mul_f32_e32 v199, v198, v196
	v_fma_f32 v200, -v187, v199, v198
	s_delay_alu instid0(VALU_DEP_1) | instskip(NEXT) | instid1(VALU_DEP_1)
	v_fmac_f32_e32 v199, v200, v196
	v_fma_f32 v187, -v187, v199, v198
	s_delay_alu instid0(VALU_DEP_1) | instskip(NEXT) | instid1(VALU_DEP_1)
	v_div_fmas_f32 v187, v187, v196, v199
	v_div_fixup_f32 v196, v187, v186, 1.0
	s_delay_alu instid0(VALU_DEP_1)
	v_mul_f32_e64 v197, v197, -v196
.LBB119_493:
	s_or_b32 exec_lo, exec_lo, s1
	ds_store_b64 v207, v[196:197]
.LBB119_494:
	s_or_b32 exec_lo, exec_lo, s2
	s_wait_dscnt 0x0
	s_barrier_signal -1
	s_barrier_wait -1
	ds_load_b64 v[186:187], v207
	s_mov_b32 s1, exec_lo
	v_cmpx_lt_u32_e32 54, v206
	s_cbranch_execz .LBB119_496
; %bb.495:
	s_wait_dscnt 0x0
	v_pk_mul_f32 v[196:197], v[186:187], v[234:235] op_sel:[1,1] op_sel_hi:[0,1]
	s_delay_alu instid0(VALU_DEP_1)
	v_pk_fma_f32 v[200:201], v[186:187], v[234:235], v[196:197] op_sel_hi:[1,0,1] neg_lo:[0,0,1] neg_hi:[0,0,1]
	v_pk_fma_f32 v[202:203], v[186:187], v[234:235], v[196:197] op_sel_hi:[1,0,1]
	ds_load_2addr_b64 v[196:199], v216 offset0:55 offset1:56
	v_dual_mov_b32 v234, v200 :: v_dual_mov_b32 v235, v203
	s_wait_dscnt 0x0
	v_pk_mul_f32 v[204:205], v[196:197], v[202:203] op_sel:[0,1]
	s_delay_alu instid0(VALU_DEP_1) | instskip(SKIP_1) | instid1(VALU_DEP_1)
	v_pk_fma_f32 v[218:219], v[196:197], v[200:201], v[204:205] op_sel:[0,0,1] op_sel_hi:[1,1,0] neg_lo:[0,0,1] neg_hi:[0,0,1]
	v_pk_fma_f32 v[196:197], v[196:197], v[200:201], v[204:205] op_sel:[0,0,1] op_sel_hi:[1,0,0]
	v_mov_b32_e32 v219, v197
	v_pk_mul_f32 v[196:197], v[198:199], v[202:203] op_sel:[0,1]
	s_delay_alu instid0(VALU_DEP_1) | instskip(SKIP_1) | instid1(VALU_DEP_1)
	v_pk_fma_f32 v[204:205], v[198:199], v[200:201], v[196:197] op_sel:[0,0,1] op_sel_hi:[1,1,0] neg_lo:[0,0,1] neg_hi:[0,0,1]
	v_pk_fma_f32 v[196:197], v[198:199], v[200:201], v[196:197] op_sel:[0,0,1] op_sel_hi:[1,0,0]
	v_mov_b32_e32 v205, v197
	ds_load_2addr_b64 v[196:199], v216 offset0:57 offset1:58
	v_pk_add_f32 v[228:229], v[228:229], v[218:219] neg_lo:[0,1] neg_hi:[0,1]
	v_pk_add_f32 v[232:233], v[232:233], v[204:205] neg_lo:[0,1] neg_hi:[0,1]
	s_wait_dscnt 0x0
	v_pk_mul_f32 v[204:205], v[196:197], v[202:203] op_sel:[0,1]
	s_delay_alu instid0(VALU_DEP_1) | instskip(SKIP_2) | instid1(VALU_DEP_2)
	v_pk_fma_f32 v[218:219], v[196:197], v[200:201], v[204:205] op_sel:[0,0,1] op_sel_hi:[1,1,0] neg_lo:[0,0,1] neg_hi:[0,0,1]
	v_pk_fma_f32 v[196:197], v[196:197], v[200:201], v[204:205] op_sel:[0,0,1] op_sel_hi:[1,0,0]
	v_dual_mul_f32 v204, v199, v203 :: v_dual_mov_b32 v196, v199
	v_dual_mov_b32 v219, v197 :: v_dual_mov_b32 v197, v198
	s_delay_alu instid0(VALU_DEP_2) | instskip(SKIP_1) | instid1(VALU_DEP_3)
	v_pk_fma_f32 v[204:205], v[198:199], v[234:235], v[204:205] op_sel_hi:[1,1,0] neg_lo:[0,0,1] neg_hi:[0,0,1]
	v_mul_f32_e32 v198, v199, v200
	v_pk_add_f32 v[226:227], v[226:227], v[218:219] neg_lo:[0,1] neg_hi:[0,1]
	s_delay_alu instid0(VALU_DEP_2) | instskip(NEXT) | instid1(VALU_DEP_1)
	v_pk_fma_f32 v[196:197], v[196:197], v[234:235], v[198:199] op_sel_hi:[1,1,0]
	v_mov_b32_e32 v205, v197
	ds_load_b64 v[196:197], v216 offset:472
	v_pk_add_f32 v[238:239], v[238:239], v[204:205] neg_lo:[0,1] neg_hi:[0,1]
	s_wait_dscnt 0x0
	v_pk_mul_f32 v[198:199], v[196:197], v[202:203] op_sel:[0,1]
	s_delay_alu instid0(VALU_DEP_1) | instskip(SKIP_1) | instid1(VALU_DEP_1)
	v_pk_fma_f32 v[202:203], v[196:197], v[200:201], v[198:199] op_sel:[0,0,1] op_sel_hi:[1,1,0] neg_lo:[0,0,1] neg_hi:[0,0,1]
	v_pk_fma_f32 v[196:197], v[196:197], v[200:201], v[198:199] op_sel:[0,0,1] op_sel_hi:[1,0,0]
	v_mov_b32_e32 v203, v197
	s_delay_alu instid0(VALU_DEP_1)
	v_pk_add_f32 v[240:241], v[240:241], v[202:203] neg_lo:[0,1] neg_hi:[0,1]
.LBB119_496:
	s_or_b32 exec_lo, exec_lo, s1
	s_delay_alu instid0(SALU_CYCLE_1)
	s_mov_b32 s2, exec_lo
	s_wait_dscnt 0x0
	s_barrier_signal -1
	s_barrier_wait -1
	v_cmpx_eq_u32_e32 55, v206
	s_cbranch_execz .LBB119_503
; %bb.497:
	v_dual_mov_b32 v196, v232 :: v_dual_mov_b32 v197, v233
	v_dual_mov_b32 v198, v226 :: v_dual_mov_b32 v199, v227
	ds_store_b64 v207, v[228:229]
	ds_store_2addr_b64 v216, v[196:197], v[198:199] offset0:56 offset1:57
	v_dual_mov_b32 v196, v238 :: v_dual_mov_b32 v197, v239
	ds_store_2addr_b64 v216, v[196:197], v[240:241] offset0:58 offset1:59
	ds_load_b64 v[196:197], v207
	s_wait_dscnt 0x0
	v_cmp_neq_f32_e32 vcc_lo, 0, v196
	v_cmp_neq_f32_e64 s1, 0, v197
	s_or_b32 s1, vcc_lo, s1
	s_delay_alu instid0(SALU_CYCLE_1)
	s_and_b32 exec_lo, exec_lo, s1
	s_cbranch_execz .LBB119_503
; %bb.498:
	v_cmp_ngt_f32_e64 s1, |v196|, |v197|
                                        ; implicit-def: $vgpr198_vgpr199
	s_and_saveexec_b32 s4, s1
	s_delay_alu instid0(SALU_CYCLE_1)
	s_xor_b32 s1, exec_lo, s4
	s_cbranch_execz .LBB119_500
; %bb.499:
	v_div_scale_f32 v198, null, v197, v197, v196
	v_div_scale_f32 v201, vcc_lo, v196, v197, v196
	s_delay_alu instid0(VALU_DEP_2) | instskip(SKIP_1) | instid1(TRANS32_DEP_1)
	v_rcp_f32_e32 v199, v198
	v_nop
	v_fma_f32 v200, -v198, v199, 1.0
	s_delay_alu instid0(VALU_DEP_1) | instskip(NEXT) | instid1(VALU_DEP_1)
	v_fmac_f32_e32 v199, v200, v199
	v_mul_f32_e32 v200, v201, v199
	s_delay_alu instid0(VALU_DEP_1) | instskip(NEXT) | instid1(VALU_DEP_1)
	v_fma_f32 v202, -v198, v200, v201
	v_fmac_f32_e32 v200, v202, v199
	s_delay_alu instid0(VALU_DEP_1) | instskip(NEXT) | instid1(VALU_DEP_1)
	v_fma_f32 v198, -v198, v200, v201
	v_div_fmas_f32 v198, v198, v199, v200
	s_delay_alu instid0(VALU_DEP_1) | instskip(NEXT) | instid1(VALU_DEP_1)
	v_div_fixup_f32 v198, v198, v197, v196
	v_fmac_f32_e32 v197, v196, v198
	s_delay_alu instid0(VALU_DEP_1) | instskip(SKIP_1) | instid1(VALU_DEP_2)
	v_div_scale_f32 v196, null, v197, v197, 1.0
	v_div_scale_f32 v201, vcc_lo, 1.0, v197, 1.0
	v_rcp_f32_e32 v199, v196
	v_nop
	s_delay_alu instid0(TRANS32_DEP_1) | instskip(NEXT) | instid1(VALU_DEP_1)
	v_fma_f32 v200, -v196, v199, 1.0
	v_fmac_f32_e32 v199, v200, v199
	s_delay_alu instid0(VALU_DEP_1) | instskip(NEXT) | instid1(VALU_DEP_1)
	v_mul_f32_e32 v200, v201, v199
	v_fma_f32 v202, -v196, v200, v201
	s_delay_alu instid0(VALU_DEP_1) | instskip(NEXT) | instid1(VALU_DEP_1)
	v_fmac_f32_e32 v200, v202, v199
	v_fma_f32 v196, -v196, v200, v201
	s_delay_alu instid0(VALU_DEP_1) | instskip(NEXT) | instid1(VALU_DEP_1)
	v_div_fmas_f32 v196, v196, v199, v200
	v_div_fixup_f32 v196, v196, v197, 1.0
	s_delay_alu instid0(VALU_DEP_1)
	v_mul_f32_e32 v198, v198, v196
	v_xor_b32_e32 v199, 0x80000000, v196
                                        ; implicit-def: $vgpr196_vgpr197
.LBB119_500:
	s_and_not1_saveexec_b32 s1, s1
	s_cbranch_execz .LBB119_502
; %bb.501:
	v_div_scale_f32 v198, null, v196, v196, v197
	v_div_scale_f32 v201, vcc_lo, v197, v196, v197
	s_delay_alu instid0(VALU_DEP_2) | instskip(SKIP_1) | instid1(TRANS32_DEP_1)
	v_rcp_f32_e32 v199, v198
	v_nop
	v_fma_f32 v200, -v198, v199, 1.0
	s_delay_alu instid0(VALU_DEP_1) | instskip(NEXT) | instid1(VALU_DEP_1)
	v_fmac_f32_e32 v199, v200, v199
	v_mul_f32_e32 v200, v201, v199
	s_delay_alu instid0(VALU_DEP_1) | instskip(NEXT) | instid1(VALU_DEP_1)
	v_fma_f32 v202, -v198, v200, v201
	v_fmac_f32_e32 v200, v202, v199
	s_delay_alu instid0(VALU_DEP_1) | instskip(NEXT) | instid1(VALU_DEP_1)
	v_fma_f32 v198, -v198, v200, v201
	v_div_fmas_f32 v198, v198, v199, v200
	s_delay_alu instid0(VALU_DEP_1) | instskip(NEXT) | instid1(VALU_DEP_1)
	v_div_fixup_f32 v199, v198, v196, v197
	v_fmac_f32_e32 v196, v197, v199
	s_delay_alu instid0(VALU_DEP_1) | instskip(NEXT) | instid1(VALU_DEP_1)
	v_div_scale_f32 v197, null, v196, v196, 1.0
	v_rcp_f32_e32 v198, v197
	v_nop
	s_delay_alu instid0(TRANS32_DEP_1) | instskip(NEXT) | instid1(VALU_DEP_1)
	v_fma_f32 v200, -v197, v198, 1.0
	v_fmac_f32_e32 v198, v200, v198
	v_div_scale_f32 v200, vcc_lo, 1.0, v196, 1.0
	s_delay_alu instid0(VALU_DEP_1) | instskip(NEXT) | instid1(VALU_DEP_1)
	v_mul_f32_e32 v201, v200, v198
	v_fma_f32 v202, -v197, v201, v200
	s_delay_alu instid0(VALU_DEP_1) | instskip(NEXT) | instid1(VALU_DEP_1)
	v_fmac_f32_e32 v201, v202, v198
	v_fma_f32 v197, -v197, v201, v200
	s_delay_alu instid0(VALU_DEP_1) | instskip(NEXT) | instid1(VALU_DEP_1)
	v_div_fmas_f32 v197, v197, v198, v201
	v_div_fixup_f32 v198, v197, v196, 1.0
	s_delay_alu instid0(VALU_DEP_1)
	v_mul_f32_e64 v199, v199, -v198
.LBB119_502:
	s_or_b32 exec_lo, exec_lo, s1
	ds_store_b64 v207, v[198:199]
.LBB119_503:
	s_or_b32 exec_lo, exec_lo, s2
	s_wait_dscnt 0x0
	s_barrier_signal -1
	s_barrier_wait -1
	ds_load_b64 v[198:199], v207
	s_mov_b32 s1, exec_lo
	v_cmpx_lt_u32_e32 55, v206
	s_cbranch_execz .LBB119_505
; %bb.504:
	ds_load_2addr_b64 v[200:203], v216 offset0:56 offset1:57
	s_wait_dscnt 0x1
	v_pk_mul_f32 v[196:197], v[198:199], v[228:229] op_sel:[1,1] op_sel_hi:[0,1]
	s_delay_alu instid0(VALU_DEP_1) | instskip(SKIP_1) | instid1(VALU_DEP_1)
	v_pk_fma_f32 v[204:205], v[198:199], v[228:229], v[196:197] op_sel_hi:[1,0,1] neg_lo:[0,0,1] neg_hi:[0,0,1]
	v_pk_fma_f32 v[196:197], v[198:199], v[228:229], v[196:197] op_sel_hi:[1,0,1]
	v_dual_mov_b32 v228, v204 :: v_dual_mov_b32 v229, v197
	s_wait_dscnt 0x0
	s_delay_alu instid0(VALU_DEP_2) | instskip(NEXT) | instid1(VALU_DEP_1)
	v_pk_mul_f32 v[218:219], v[200:201], v[196:197] op_sel:[0,1]
	v_pk_fma_f32 v[220:221], v[200:201], v[204:205], v[218:219] op_sel:[0,0,1] op_sel_hi:[1,1,0] neg_lo:[0,0,1] neg_hi:[0,0,1]
	v_pk_fma_f32 v[200:201], v[200:201], v[204:205], v[218:219] op_sel:[0,0,1] op_sel_hi:[1,0,0]
	s_delay_alu instid0(VALU_DEP_1) | instskip(SKIP_1) | instid1(VALU_DEP_1)
	v_mov_b32_e32 v221, v201
	v_pk_mul_f32 v[200:201], v[202:203], v[196:197] op_sel:[0,1]
	v_pk_fma_f32 v[218:219], v[202:203], v[204:205], v[200:201] op_sel:[0,0,1] op_sel_hi:[1,1,0] neg_lo:[0,0,1] neg_hi:[0,0,1]
	v_pk_fma_f32 v[200:201], v[202:203], v[204:205], v[200:201] op_sel:[0,0,1] op_sel_hi:[1,0,0]
	s_delay_alu instid0(VALU_DEP_1)
	v_mov_b32_e32 v219, v201
	ds_load_2addr_b64 v[200:203], v216 offset0:58 offset1:59
	v_pk_add_f32 v[232:233], v[232:233], v[220:221] neg_lo:[0,1] neg_hi:[0,1]
	v_pk_add_f32 v[226:227], v[226:227], v[218:219] neg_lo:[0,1] neg_hi:[0,1]
	s_wait_dscnt 0x0
	v_pk_mul_f32 v[218:219], v[200:201], v[196:197] op_sel:[0,1]
	s_delay_alu instid0(VALU_DEP_1) | instskip(SKIP_1) | instid1(VALU_DEP_1)
	v_pk_fma_f32 v[220:221], v[200:201], v[204:205], v[218:219] op_sel:[0,0,1] op_sel_hi:[1,1,0] neg_lo:[0,0,1] neg_hi:[0,0,1]
	v_pk_fma_f32 v[200:201], v[200:201], v[204:205], v[218:219] op_sel:[0,0,1] op_sel_hi:[1,0,0]
	v_dual_mov_b32 v200, v203 :: v_dual_mov_b32 v221, v201
	v_mov_b32_e32 v201, v202
	s_delay_alu instid0(VALU_DEP_2) | instskip(NEXT) | instid1(VALU_DEP_2)
	v_pk_add_f32 v[238:239], v[238:239], v[220:221] neg_lo:[0,1] neg_hi:[0,1]
	v_pk_mul_f32 v[196:197], v[200:201], v[196:197] op_sel:[0,1]
	s_delay_alu instid0(VALU_DEP_1) | instskip(SKIP_1) | instid1(VALU_DEP_1)
	v_pk_fma_f32 v[200:201], v[202:203], v[204:205], v[196:197] neg_lo:[0,0,1] neg_hi:[0,0,1]
	v_pk_fma_f32 v[196:197], v[202:203], v[204:205], v[196:197] op_sel_hi:[1,0,1]
	v_mov_b32_e32 v201, v197
	s_delay_alu instid0(VALU_DEP_1)
	v_pk_add_f32 v[240:241], v[240:241], v[200:201] neg_lo:[0,1] neg_hi:[0,1]
.LBB119_505:
	s_or_b32 exec_lo, exec_lo, s1
	s_delay_alu instid0(SALU_CYCLE_1)
	s_mov_b32 s2, exec_lo
	s_wait_dscnt 0x0
	s_barrier_signal -1
	s_barrier_wait -1
	v_cmpx_eq_u32_e32 56, v206
	s_cbranch_execz .LBB119_512
; %bb.506:
	ds_store_b64 v207, v[232:233]
	ds_store_2addr_b64 v216, v[226:227], v[238:239] offset0:57 offset1:58
	ds_store_b64 v216, v[240:241] offset:472
	ds_load_b64 v[196:197], v207
	s_wait_dscnt 0x0
	v_cmp_neq_f32_e32 vcc_lo, 0, v196
	v_cmp_neq_f32_e64 s1, 0, v197
	s_or_b32 s1, vcc_lo, s1
	s_delay_alu instid0(SALU_CYCLE_1)
	s_and_b32 exec_lo, exec_lo, s1
	s_cbranch_execz .LBB119_512
; %bb.507:
	v_cmp_ngt_f32_e64 s1, |v196|, |v197|
                                        ; implicit-def: $vgpr200_vgpr201
	s_and_saveexec_b32 s4, s1
	s_delay_alu instid0(SALU_CYCLE_1)
	s_xor_b32 s1, exec_lo, s4
	s_cbranch_execz .LBB119_509
; %bb.508:
	v_div_scale_f32 v200, null, v197, v197, v196
	v_div_scale_f32 v203, vcc_lo, v196, v197, v196
	s_delay_alu instid0(VALU_DEP_2) | instskip(SKIP_1) | instid1(TRANS32_DEP_1)
	v_rcp_f32_e32 v201, v200
	v_nop
	v_fma_f32 v202, -v200, v201, 1.0
	s_delay_alu instid0(VALU_DEP_1) | instskip(NEXT) | instid1(VALU_DEP_1)
	v_fmac_f32_e32 v201, v202, v201
	v_mul_f32_e32 v202, v203, v201
	s_delay_alu instid0(VALU_DEP_1) | instskip(NEXT) | instid1(VALU_DEP_1)
	v_fma_f32 v204, -v200, v202, v203
	v_fmac_f32_e32 v202, v204, v201
	s_delay_alu instid0(VALU_DEP_1) | instskip(NEXT) | instid1(VALU_DEP_1)
	v_fma_f32 v200, -v200, v202, v203
	v_div_fmas_f32 v200, v200, v201, v202
	s_delay_alu instid0(VALU_DEP_1) | instskip(NEXT) | instid1(VALU_DEP_1)
	v_div_fixup_f32 v200, v200, v197, v196
	v_fmac_f32_e32 v197, v196, v200
	s_delay_alu instid0(VALU_DEP_1) | instskip(SKIP_1) | instid1(VALU_DEP_2)
	v_div_scale_f32 v196, null, v197, v197, 1.0
	v_div_scale_f32 v203, vcc_lo, 1.0, v197, 1.0
	v_rcp_f32_e32 v201, v196
	v_nop
	s_delay_alu instid0(TRANS32_DEP_1) | instskip(NEXT) | instid1(VALU_DEP_1)
	v_fma_f32 v202, -v196, v201, 1.0
	v_fmac_f32_e32 v201, v202, v201
	s_delay_alu instid0(VALU_DEP_1) | instskip(NEXT) | instid1(VALU_DEP_1)
	v_mul_f32_e32 v202, v203, v201
	v_fma_f32 v204, -v196, v202, v203
	s_delay_alu instid0(VALU_DEP_1) | instskip(NEXT) | instid1(VALU_DEP_1)
	v_fmac_f32_e32 v202, v204, v201
	v_fma_f32 v196, -v196, v202, v203
	s_delay_alu instid0(VALU_DEP_1) | instskip(NEXT) | instid1(VALU_DEP_1)
	v_div_fmas_f32 v196, v196, v201, v202
	v_div_fixup_f32 v196, v196, v197, 1.0
	s_delay_alu instid0(VALU_DEP_1)
	v_mul_f32_e32 v200, v200, v196
	v_xor_b32_e32 v201, 0x80000000, v196
                                        ; implicit-def: $vgpr196_vgpr197
.LBB119_509:
	s_and_not1_saveexec_b32 s1, s1
	s_cbranch_execz .LBB119_511
; %bb.510:
	v_div_scale_f32 v200, null, v196, v196, v197
	v_div_scale_f32 v203, vcc_lo, v197, v196, v197
	s_delay_alu instid0(VALU_DEP_2) | instskip(SKIP_1) | instid1(TRANS32_DEP_1)
	v_rcp_f32_e32 v201, v200
	v_nop
	v_fma_f32 v202, -v200, v201, 1.0
	s_delay_alu instid0(VALU_DEP_1) | instskip(NEXT) | instid1(VALU_DEP_1)
	v_fmac_f32_e32 v201, v202, v201
	v_mul_f32_e32 v202, v203, v201
	s_delay_alu instid0(VALU_DEP_1) | instskip(NEXT) | instid1(VALU_DEP_1)
	v_fma_f32 v204, -v200, v202, v203
	v_fmac_f32_e32 v202, v204, v201
	s_delay_alu instid0(VALU_DEP_1) | instskip(NEXT) | instid1(VALU_DEP_1)
	v_fma_f32 v200, -v200, v202, v203
	v_div_fmas_f32 v200, v200, v201, v202
	s_delay_alu instid0(VALU_DEP_1) | instskip(NEXT) | instid1(VALU_DEP_1)
	v_div_fixup_f32 v201, v200, v196, v197
	v_fmac_f32_e32 v196, v197, v201
	s_delay_alu instid0(VALU_DEP_1) | instskip(NEXT) | instid1(VALU_DEP_1)
	v_div_scale_f32 v197, null, v196, v196, 1.0
	v_rcp_f32_e32 v200, v197
	v_nop
	s_delay_alu instid0(TRANS32_DEP_1) | instskip(NEXT) | instid1(VALU_DEP_1)
	v_fma_f32 v202, -v197, v200, 1.0
	v_fmac_f32_e32 v200, v202, v200
	v_div_scale_f32 v202, vcc_lo, 1.0, v196, 1.0
	s_delay_alu instid0(VALU_DEP_1) | instskip(NEXT) | instid1(VALU_DEP_1)
	v_mul_f32_e32 v203, v202, v200
	v_fma_f32 v204, -v197, v203, v202
	s_delay_alu instid0(VALU_DEP_1) | instskip(NEXT) | instid1(VALU_DEP_1)
	v_fmac_f32_e32 v203, v204, v200
	v_fma_f32 v197, -v197, v203, v202
	s_delay_alu instid0(VALU_DEP_1) | instskip(NEXT) | instid1(VALU_DEP_1)
	v_div_fmas_f32 v197, v197, v200, v203
	v_div_fixup_f32 v200, v197, v196, 1.0
	s_delay_alu instid0(VALU_DEP_1)
	v_mul_f32_e64 v201, v201, -v200
.LBB119_511:
	s_or_b32 exec_lo, exec_lo, s1
	ds_store_b64 v207, v[200:201]
.LBB119_512:
	s_or_b32 exec_lo, exec_lo, s2
	s_wait_dscnt 0x0
	s_barrier_signal -1
	s_barrier_wait -1
	ds_load_b64 v[200:201], v207
	s_mov_b32 s1, exec_lo
	v_cmpx_lt_u32_e32 56, v206
	s_cbranch_execz .LBB119_514
; %bb.513:
	ds_load_2addr_b64 v[202:205], v216 offset0:57 offset1:58
	s_wait_dscnt 0x1
	v_pk_mul_f32 v[196:197], v[200:201], v[232:233] op_sel:[1,1] op_sel_hi:[0,1]
	s_delay_alu instid0(VALU_DEP_1) | instskip(SKIP_1) | instid1(VALU_DEP_1)
	v_pk_fma_f32 v[218:219], v[200:201], v[232:233], v[196:197] op_sel_hi:[1,0,1] neg_lo:[0,0,1] neg_hi:[0,0,1]
	v_pk_fma_f32 v[196:197], v[200:201], v[232:233], v[196:197] op_sel_hi:[1,0,1]
	v_dual_mov_b32 v232, v218 :: v_dual_mov_b32 v233, v197
	s_wait_dscnt 0x0
	s_delay_alu instid0(VALU_DEP_2) | instskip(NEXT) | instid1(VALU_DEP_1)
	v_pk_mul_f32 v[220:221], v[202:203], v[196:197] op_sel:[0,1]
	v_pk_fma_f32 v[222:223], v[202:203], v[218:219], v[220:221] op_sel:[0,0,1] op_sel_hi:[1,1,0] neg_lo:[0,0,1] neg_hi:[0,0,1]
	v_pk_fma_f32 v[202:203], v[202:203], v[218:219], v[220:221] op_sel:[0,0,1] op_sel_hi:[1,0,0]
	s_delay_alu instid0(VALU_DEP_1) | instskip(SKIP_1) | instid1(VALU_DEP_1)
	v_mov_b32_e32 v223, v203
	v_pk_mul_f32 v[202:203], v[204:205], v[196:197] op_sel:[0,1]
	v_pk_fma_f32 v[220:221], v[204:205], v[218:219], v[202:203] op_sel:[0,0,1] op_sel_hi:[1,1,0] neg_lo:[0,0,1] neg_hi:[0,0,1]
	v_pk_fma_f32 v[202:203], v[204:205], v[218:219], v[202:203] op_sel:[0,0,1] op_sel_hi:[1,0,0]
	s_delay_alu instid0(VALU_DEP_1)
	v_mov_b32_e32 v221, v203
	ds_load_b64 v[202:203], v216 offset:472
	v_pk_add_f32 v[226:227], v[226:227], v[222:223] neg_lo:[0,1] neg_hi:[0,1]
	v_pk_add_f32 v[238:239], v[238:239], v[220:221] neg_lo:[0,1] neg_hi:[0,1]
	s_wait_dscnt 0x0
	v_pk_mul_f32 v[196:197], v[202:203], v[196:197] op_sel:[1,1] op_sel_hi:[0,1]
	s_delay_alu instid0(VALU_DEP_1) | instskip(SKIP_1) | instid1(VALU_DEP_1)
	v_pk_fma_f32 v[204:205], v[202:203], v[218:219], v[196:197] neg_lo:[0,0,1] neg_hi:[0,0,1]
	v_pk_fma_f32 v[196:197], v[202:203], v[218:219], v[196:197] op_sel_hi:[1,0,1]
	v_mov_b32_e32 v205, v197
	s_delay_alu instid0(VALU_DEP_1)
	v_pk_add_f32 v[240:241], v[240:241], v[204:205] neg_lo:[0,1] neg_hi:[0,1]
.LBB119_514:
	s_or_b32 exec_lo, exec_lo, s1
	s_delay_alu instid0(SALU_CYCLE_1)
	s_mov_b32 s2, exec_lo
	s_wait_dscnt 0x0
	s_barrier_signal -1
	s_barrier_wait -1
	v_cmpx_eq_u32_e32 57, v206
	s_cbranch_execz .LBB119_521
; %bb.515:
	v_dual_mov_b32 v196, v238 :: v_dual_mov_b32 v197, v239
	ds_store_b64 v207, v[226:227]
	ds_store_2addr_b64 v216, v[196:197], v[240:241] offset0:58 offset1:59
	ds_load_b64 v[196:197], v207
	s_wait_dscnt 0x0
	v_cmp_neq_f32_e32 vcc_lo, 0, v196
	v_cmp_neq_f32_e64 s1, 0, v197
	s_or_b32 s1, vcc_lo, s1
	s_delay_alu instid0(SALU_CYCLE_1)
	s_and_b32 exec_lo, exec_lo, s1
	s_cbranch_execz .LBB119_521
; %bb.516:
	v_cmp_ngt_f32_e64 s1, |v196|, |v197|
                                        ; implicit-def: $vgpr202_vgpr203
	s_and_saveexec_b32 s4, s1
	s_delay_alu instid0(SALU_CYCLE_1)
	s_xor_b32 s1, exec_lo, s4
	s_cbranch_execz .LBB119_518
; %bb.517:
	v_div_scale_f32 v202, null, v197, v197, v196
	v_div_scale_f32 v205, vcc_lo, v196, v197, v196
	s_delay_alu instid0(VALU_DEP_2) | instskip(SKIP_1) | instid1(TRANS32_DEP_1)
	v_rcp_f32_e32 v203, v202
	v_nop
	v_fma_f32 v204, -v202, v203, 1.0
	s_delay_alu instid0(VALU_DEP_1) | instskip(NEXT) | instid1(VALU_DEP_1)
	v_fmac_f32_e32 v203, v204, v203
	v_mul_f32_e32 v204, v205, v203
	s_delay_alu instid0(VALU_DEP_1) | instskip(NEXT) | instid1(VALU_DEP_1)
	v_fma_f32 v217, -v202, v204, v205
	v_fmac_f32_e32 v204, v217, v203
	s_delay_alu instid0(VALU_DEP_1) | instskip(NEXT) | instid1(VALU_DEP_1)
	v_fma_f32 v202, -v202, v204, v205
	v_div_fmas_f32 v202, v202, v203, v204
	s_delay_alu instid0(VALU_DEP_1) | instskip(NEXT) | instid1(VALU_DEP_1)
	v_div_fixup_f32 v202, v202, v197, v196
	v_fmac_f32_e32 v197, v196, v202
	s_delay_alu instid0(VALU_DEP_1) | instskip(SKIP_1) | instid1(VALU_DEP_2)
	v_div_scale_f32 v196, null, v197, v197, 1.0
	v_div_scale_f32 v205, vcc_lo, 1.0, v197, 1.0
	v_rcp_f32_e32 v203, v196
	v_nop
	s_delay_alu instid0(TRANS32_DEP_1) | instskip(NEXT) | instid1(VALU_DEP_1)
	v_fma_f32 v204, -v196, v203, 1.0
	v_fmac_f32_e32 v203, v204, v203
	s_delay_alu instid0(VALU_DEP_1) | instskip(NEXT) | instid1(VALU_DEP_1)
	v_mul_f32_e32 v204, v205, v203
	v_fma_f32 v217, -v196, v204, v205
	s_delay_alu instid0(VALU_DEP_1) | instskip(NEXT) | instid1(VALU_DEP_1)
	v_fmac_f32_e32 v204, v217, v203
	v_fma_f32 v196, -v196, v204, v205
	s_delay_alu instid0(VALU_DEP_1) | instskip(NEXT) | instid1(VALU_DEP_1)
	v_div_fmas_f32 v196, v196, v203, v204
	v_div_fixup_f32 v196, v196, v197, 1.0
	s_delay_alu instid0(VALU_DEP_1)
	v_mul_f32_e32 v202, v202, v196
	v_xor_b32_e32 v203, 0x80000000, v196
                                        ; implicit-def: $vgpr196_vgpr197
.LBB119_518:
	s_and_not1_saveexec_b32 s1, s1
	s_cbranch_execz .LBB119_520
; %bb.519:
	v_div_scale_f32 v202, null, v196, v196, v197
	v_div_scale_f32 v205, vcc_lo, v197, v196, v197
	s_delay_alu instid0(VALU_DEP_2) | instskip(SKIP_1) | instid1(TRANS32_DEP_1)
	v_rcp_f32_e32 v203, v202
	v_nop
	v_fma_f32 v204, -v202, v203, 1.0
	s_delay_alu instid0(VALU_DEP_1) | instskip(NEXT) | instid1(VALU_DEP_1)
	v_fmac_f32_e32 v203, v204, v203
	v_mul_f32_e32 v204, v205, v203
	s_delay_alu instid0(VALU_DEP_1) | instskip(NEXT) | instid1(VALU_DEP_1)
	v_fma_f32 v217, -v202, v204, v205
	v_fmac_f32_e32 v204, v217, v203
	s_delay_alu instid0(VALU_DEP_1) | instskip(NEXT) | instid1(VALU_DEP_1)
	v_fma_f32 v202, -v202, v204, v205
	v_div_fmas_f32 v202, v202, v203, v204
	s_delay_alu instid0(VALU_DEP_1) | instskip(NEXT) | instid1(VALU_DEP_1)
	v_div_fixup_f32 v203, v202, v196, v197
	v_fmac_f32_e32 v196, v197, v203
	s_delay_alu instid0(VALU_DEP_1) | instskip(NEXT) | instid1(VALU_DEP_1)
	v_div_scale_f32 v197, null, v196, v196, 1.0
	v_rcp_f32_e32 v202, v197
	v_nop
	s_delay_alu instid0(TRANS32_DEP_1) | instskip(NEXT) | instid1(VALU_DEP_1)
	v_fma_f32 v204, -v197, v202, 1.0
	v_fmac_f32_e32 v202, v204, v202
	v_div_scale_f32 v204, vcc_lo, 1.0, v196, 1.0
	s_delay_alu instid0(VALU_DEP_1) | instskip(NEXT) | instid1(VALU_DEP_1)
	v_mul_f32_e32 v205, v204, v202
	v_fma_f32 v217, -v197, v205, v204
	s_delay_alu instid0(VALU_DEP_1) | instskip(NEXT) | instid1(VALU_DEP_1)
	v_fmac_f32_e32 v205, v217, v202
	v_fma_f32 v197, -v197, v205, v204
	s_delay_alu instid0(VALU_DEP_1) | instskip(NEXT) | instid1(VALU_DEP_1)
	v_div_fmas_f32 v197, v197, v202, v205
	v_div_fixup_f32 v202, v197, v196, 1.0
	s_delay_alu instid0(VALU_DEP_1)
	v_mul_f32_e64 v203, v203, -v202
.LBB119_520:
	s_or_b32 exec_lo, exec_lo, s1
	ds_store_b64 v207, v[202:203]
.LBB119_521:
	s_or_b32 exec_lo, exec_lo, s2
	s_wait_dscnt 0x0
	s_barrier_signal -1
	s_barrier_wait -1
	ds_load_b64 v[202:203], v207
	s_mov_b32 s1, exec_lo
	v_cmpx_lt_u32_e32 57, v206
	s_cbranch_execz .LBB119_523
; %bb.522:
	ds_load_2addr_b64 v[218:221], v216 offset0:58 offset1:59
	s_wait_dscnt 0x1
	v_pk_mul_f32 v[196:197], v[202:203], v[226:227] op_sel:[1,1] op_sel_hi:[0,1]
	v_mov_b64_e32 v[0:1], v[254:255]
	v_mov_b64_e32 v[254:255], v[252:253]
	;; [unrolled: 1-line block ×4, first 2 shown]
	v_pk_fma_f32 v[204:205], v[202:203], v[226:227], v[196:197] op_sel_hi:[1,0,1] neg_lo:[0,0,1] neg_hi:[0,0,1]
	v_pk_fma_f32 v[196:197], v[202:203], v[226:227], v[196:197] op_sel_hi:[1,0,1]
	v_mov_b64_e32 v[16:17], v[248:249]
	v_mov_b64_e32 v[248:249], v[246:247]
	;; [unrolled: 1-line block ×5, first 2 shown]
	v_dual_mov_b32 v226, v204 :: v_dual_mov_b32 v227, v197
	s_wait_dscnt 0x0
	v_pk_mul_f32 v[222:223], v[218:219], v[196:197] op_sel:[0,1]
	s_delay_alu instid0(VALU_DEP_1) | instskip(SKIP_1) | instid1(VALU_DEP_1)
	v_pk_fma_f32 v[224:225], v[218:219], v[204:205], v[222:223] op_sel:[0,0,1] op_sel_hi:[1,1,0] neg_lo:[0,0,1] neg_hi:[0,0,1]
	v_pk_fma_f32 v[218:219], v[218:219], v[204:205], v[222:223] op_sel:[0,0,1] op_sel_hi:[1,0,0]
	v_dual_mov_b32 v218, v221 :: v_dual_mov_b32 v225, v219
	v_mov_b32_e32 v219, v220
	s_delay_alu instid0(VALU_DEP_2) | instskip(NEXT) | instid1(VALU_DEP_2)
	v_pk_add_f32 v[238:239], v[238:239], v[224:225] neg_lo:[0,1] neg_hi:[0,1]
	v_pk_mul_f32 v[196:197], v[218:219], v[196:197] op_sel:[0,1]
	v_mov_b64_e32 v[224:225], v[242:243]
	v_mov_b64_e32 v[242:243], v[244:245]
	;; [unrolled: 1-line block ×4, first 2 shown]
	v_pk_fma_f32 v[218:219], v[220:221], v[204:205], v[196:197] neg_lo:[0,0,1] neg_hi:[0,0,1]
	v_pk_fma_f32 v[196:197], v[220:221], v[204:205], v[196:197] op_sel_hi:[1,0,1]
	v_mov_b64_e32 v[248:249], v[16:17]
	v_mov_b64_e32 v[16:17], v[250:251]
	;; [unrolled: 1-line block ×4, first 2 shown]
	v_mov_b32_e32 v219, v197
	v_mov_b64_e32 v[254:255], v[0:1]
	s_delay_alu instid0(VALU_DEP_2)
	v_pk_add_f32 v[240:241], v[240:241], v[218:219] neg_lo:[0,1] neg_hi:[0,1]
.LBB119_523:
	s_or_b32 exec_lo, exec_lo, s1
	s_delay_alu instid0(SALU_CYCLE_1)
	s_mov_b32 s2, exec_lo
	s_wait_dscnt 0x0
	s_barrier_signal -1
	s_barrier_wait -1
	v_cmpx_eq_u32_e32 58, v206
	s_cbranch_execz .LBB119_530
; %bb.524:
	ds_store_b64 v207, v[238:239]
	ds_store_b64 v216, v[240:241] offset:472
	ds_load_b64 v[196:197], v207
	s_wait_dscnt 0x0
	v_cmp_neq_f32_e32 vcc_lo, 0, v196
	v_cmp_neq_f32_e64 s1, 0, v197
	s_or_b32 s1, vcc_lo, s1
	s_delay_alu instid0(SALU_CYCLE_1)
	s_and_b32 exec_lo, exec_lo, s1
	s_cbranch_execz .LBB119_530
; %bb.525:
	v_cmp_ngt_f32_e64 s1, |v196|, |v197|
                                        ; implicit-def: $vgpr204_vgpr205
	s_and_saveexec_b32 s4, s1
	s_delay_alu instid0(SALU_CYCLE_1)
	s_xor_b32 s1, exec_lo, s4
	s_cbranch_execz .LBB119_527
; %bb.526:
	v_div_scale_f32 v204, null, v197, v197, v196
	v_div_scale_f32 v218, vcc_lo, v196, v197, v196
	s_delay_alu instid0(VALU_DEP_2) | instskip(SKIP_1) | instid1(TRANS32_DEP_1)
	v_rcp_f32_e32 v205, v204
	v_nop
	v_fma_f32 v217, -v204, v205, 1.0
	s_delay_alu instid0(VALU_DEP_1) | instskip(NEXT) | instid1(VALU_DEP_1)
	v_fmac_f32_e32 v205, v217, v205
	v_mul_f32_e32 v217, v218, v205
	s_delay_alu instid0(VALU_DEP_1) | instskip(NEXT) | instid1(VALU_DEP_1)
	v_fma_f32 v219, -v204, v217, v218
	v_fmac_f32_e32 v217, v219, v205
	s_delay_alu instid0(VALU_DEP_1) | instskip(NEXT) | instid1(VALU_DEP_1)
	v_fma_f32 v204, -v204, v217, v218
	v_div_fmas_f32 v204, v204, v205, v217
	s_delay_alu instid0(VALU_DEP_1) | instskip(NEXT) | instid1(VALU_DEP_1)
	v_div_fixup_f32 v204, v204, v197, v196
	v_fmac_f32_e32 v197, v196, v204
	s_delay_alu instid0(VALU_DEP_1) | instskip(SKIP_1) | instid1(VALU_DEP_2)
	v_div_scale_f32 v196, null, v197, v197, 1.0
	v_div_scale_f32 v218, vcc_lo, 1.0, v197, 1.0
	v_rcp_f32_e32 v205, v196
	v_nop
	s_delay_alu instid0(TRANS32_DEP_1) | instskip(NEXT) | instid1(VALU_DEP_1)
	v_fma_f32 v217, -v196, v205, 1.0
	v_fmac_f32_e32 v205, v217, v205
	s_delay_alu instid0(VALU_DEP_1) | instskip(NEXT) | instid1(VALU_DEP_1)
	v_mul_f32_e32 v217, v218, v205
	v_fma_f32 v219, -v196, v217, v218
	s_delay_alu instid0(VALU_DEP_1) | instskip(NEXT) | instid1(VALU_DEP_1)
	v_fmac_f32_e32 v217, v219, v205
	v_fma_f32 v196, -v196, v217, v218
	s_delay_alu instid0(VALU_DEP_1) | instskip(NEXT) | instid1(VALU_DEP_1)
	v_div_fmas_f32 v196, v196, v205, v217
	v_div_fixup_f32 v196, v196, v197, 1.0
	s_delay_alu instid0(VALU_DEP_1)
	v_mul_f32_e32 v204, v204, v196
	v_xor_b32_e32 v205, 0x80000000, v196
                                        ; implicit-def: $vgpr196_vgpr197
.LBB119_527:
	s_and_not1_saveexec_b32 s1, s1
	s_cbranch_execz .LBB119_529
; %bb.528:
	v_div_scale_f32 v204, null, v196, v196, v197
	v_div_scale_f32 v218, vcc_lo, v197, v196, v197
	s_delay_alu instid0(VALU_DEP_2) | instskip(SKIP_1) | instid1(TRANS32_DEP_1)
	v_rcp_f32_e32 v205, v204
	v_nop
	v_fma_f32 v217, -v204, v205, 1.0
	s_delay_alu instid0(VALU_DEP_1) | instskip(NEXT) | instid1(VALU_DEP_1)
	v_fmac_f32_e32 v205, v217, v205
	v_mul_f32_e32 v217, v218, v205
	s_delay_alu instid0(VALU_DEP_1) | instskip(NEXT) | instid1(VALU_DEP_1)
	v_fma_f32 v219, -v204, v217, v218
	v_fmac_f32_e32 v217, v219, v205
	s_delay_alu instid0(VALU_DEP_1) | instskip(NEXT) | instid1(VALU_DEP_1)
	v_fma_f32 v204, -v204, v217, v218
	v_div_fmas_f32 v204, v204, v205, v217
	s_delay_alu instid0(VALU_DEP_1) | instskip(NEXT) | instid1(VALU_DEP_1)
	v_div_fixup_f32 v205, v204, v196, v197
	v_fmac_f32_e32 v196, v197, v205
	s_delay_alu instid0(VALU_DEP_1) | instskip(NEXT) | instid1(VALU_DEP_1)
	v_div_scale_f32 v197, null, v196, v196, 1.0
	v_rcp_f32_e32 v204, v197
	v_nop
	s_delay_alu instid0(TRANS32_DEP_1) | instskip(NEXT) | instid1(VALU_DEP_1)
	v_fma_f32 v217, -v197, v204, 1.0
	v_fmac_f32_e32 v204, v217, v204
	v_div_scale_f32 v217, vcc_lo, 1.0, v196, 1.0
	s_delay_alu instid0(VALU_DEP_1) | instskip(NEXT) | instid1(VALU_DEP_1)
	v_mul_f32_e32 v218, v217, v204
	v_fma_f32 v219, -v197, v218, v217
	s_delay_alu instid0(VALU_DEP_1) | instskip(NEXT) | instid1(VALU_DEP_1)
	v_fmac_f32_e32 v218, v219, v204
	v_fma_f32 v197, -v197, v218, v217
	s_delay_alu instid0(VALU_DEP_1) | instskip(NEXT) | instid1(VALU_DEP_1)
	v_div_fmas_f32 v197, v197, v204, v218
	v_div_fixup_f32 v204, v197, v196, 1.0
	s_delay_alu instid0(VALU_DEP_1)
	v_mul_f32_e64 v205, v205, -v204
.LBB119_529:
	s_or_b32 exec_lo, exec_lo, s1
	ds_store_b64 v207, v[204:205]
.LBB119_530:
	s_or_b32 exec_lo, exec_lo, s2
	s_wait_dscnt 0x0
	s_barrier_signal -1
	s_barrier_wait -1
	ds_load_b64 v[204:205], v207
	s_mov_b32 s1, exec_lo
	v_cmpx_lt_u32_e32 58, v206
	s_cbranch_execz .LBB119_532
; %bb.531:
	ds_load_b64 v[196:197], v216 offset:472
	s_wait_dscnt 0x1
	v_pk_mul_f32 v[216:217], v[204:205], v[238:239] op_sel:[1,1] op_sel_hi:[0,1]
	s_delay_alu instid0(VALU_DEP_1) | instskip(SKIP_2) | instid1(VALU_DEP_2)
	v_pk_fma_f32 v[218:219], v[204:205], v[238:239], v[216:217] op_sel_hi:[1,0,1]
	v_pk_fma_f32 v[238:239], v[204:205], v[238:239], v[216:217] op_sel_hi:[1,0,1] neg_lo:[0,0,1] neg_hi:[0,0,1]
	s_wait_dscnt 0x0
	v_pk_mul_f32 v[216:217], v[196:197], v[218:219] op_sel:[1,1] op_sel_hi:[0,1]
	s_delay_alu instid0(VALU_DEP_1) | instskip(SKIP_1) | instid1(VALU_DEP_2)
	v_pk_fma_f32 v[220:221], v[196:197], v[238:239], v[216:217] op_sel_hi:[1,0,1]
	v_pk_fma_f32 v[196:197], v[196:197], v[238:239], v[216:217] neg_lo:[0,0,1] neg_hi:[0,0,1]
	v_dual_mov_b32 v239, v219 :: v_dual_mov_b32 v197, v221
	s_delay_alu instid0(VALU_DEP_1)
	v_pk_add_f32 v[240:241], v[240:241], v[196:197] neg_lo:[0,1] neg_hi:[0,1]
.LBB119_532:
	s_or_b32 exec_lo, exec_lo, s1
	s_delay_alu instid0(SALU_CYCLE_1)
	s_mov_b32 s2, exec_lo
	s_wait_dscnt 0x0
	s_barrier_signal -1
	s_barrier_wait -1
	v_cmpx_eq_u32_e32 59, v206
	s_cbranch_execz .LBB119_539
; %bb.533:
	v_cmp_neq_f32_e32 vcc_lo, 0, v240
	v_cmp_neq_f32_e64 s1, 0, v241
	ds_store_b64 v207, v[240:241]
	s_or_b32 s1, vcc_lo, s1
	s_delay_alu instid0(SALU_CYCLE_1)
	s_and_b32 exec_lo, exec_lo, s1
	s_cbranch_execz .LBB119_539
; %bb.534:
	v_cmp_ngt_f32_e64 s1, |v240|, |v241|
                                        ; implicit-def: $vgpr196_vgpr197
	s_and_saveexec_b32 s4, s1
	s_delay_alu instid0(SALU_CYCLE_1)
	s_xor_b32 s1, exec_lo, s4
	s_cbranch_execz .LBB119_536
; %bb.535:
	v_div_scale_f32 v196, null, v241, v241, v240
	v_div_scale_f32 v217, vcc_lo, v240, v241, v240
	s_delay_alu instid0(VALU_DEP_2) | instskip(SKIP_1) | instid1(TRANS32_DEP_1)
	v_rcp_f32_e32 v197, v196
	v_nop
	v_fma_f32 v216, -v196, v197, 1.0
	s_delay_alu instid0(VALU_DEP_1) | instskip(NEXT) | instid1(VALU_DEP_1)
	v_fmac_f32_e32 v197, v216, v197
	v_mul_f32_e32 v216, v217, v197
	s_delay_alu instid0(VALU_DEP_1) | instskip(NEXT) | instid1(VALU_DEP_1)
	v_fma_f32 v218, -v196, v216, v217
	v_fmac_f32_e32 v216, v218, v197
	s_delay_alu instid0(VALU_DEP_1) | instskip(NEXT) | instid1(VALU_DEP_1)
	v_fma_f32 v196, -v196, v216, v217
	v_div_fmas_f32 v196, v196, v197, v216
	s_delay_alu instid0(VALU_DEP_1) | instskip(NEXT) | instid1(VALU_DEP_1)
	v_div_fixup_f32 v196, v196, v241, v240
	v_fma_f32 v197, v240, v196, v241
	s_delay_alu instid0(VALU_DEP_1) | instskip(SKIP_1) | instid1(VALU_DEP_2)
	v_div_scale_f32 v216, null, v197, v197, 1.0
	v_div_scale_f32 v219, vcc_lo, 1.0, v197, 1.0
	v_rcp_f32_e32 v217, v216
	v_nop
	s_delay_alu instid0(TRANS32_DEP_1) | instskip(NEXT) | instid1(VALU_DEP_1)
	v_fma_f32 v218, -v216, v217, 1.0
	v_fmac_f32_e32 v217, v218, v217
	s_delay_alu instid0(VALU_DEP_1) | instskip(NEXT) | instid1(VALU_DEP_1)
	v_mul_f32_e32 v218, v219, v217
	v_fma_f32 v220, -v216, v218, v219
	s_delay_alu instid0(VALU_DEP_1) | instskip(NEXT) | instid1(VALU_DEP_1)
	v_fmac_f32_e32 v218, v220, v217
	v_fma_f32 v216, -v216, v218, v219
	s_delay_alu instid0(VALU_DEP_1) | instskip(NEXT) | instid1(VALU_DEP_1)
	v_div_fmas_f32 v216, v216, v217, v218
	v_div_fixup_f32 v197, v216, v197, 1.0
	s_delay_alu instid0(VALU_DEP_1)
	v_mul_f32_e32 v196, v196, v197
	v_xor_b32_e32 v197, 0x80000000, v197
.LBB119_536:
	s_and_not1_saveexec_b32 s1, s1
	s_cbranch_execz .LBB119_538
; %bb.537:
	v_div_scale_f32 v196, null, v240, v240, v241
	v_div_scale_f32 v217, vcc_lo, v241, v240, v241
	s_delay_alu instid0(VALU_DEP_2) | instskip(SKIP_1) | instid1(TRANS32_DEP_1)
	v_rcp_f32_e32 v197, v196
	v_nop
	v_fma_f32 v216, -v196, v197, 1.0
	s_delay_alu instid0(VALU_DEP_1) | instskip(NEXT) | instid1(VALU_DEP_1)
	v_fmac_f32_e32 v197, v216, v197
	v_mul_f32_e32 v216, v217, v197
	s_delay_alu instid0(VALU_DEP_1) | instskip(NEXT) | instid1(VALU_DEP_1)
	v_fma_f32 v218, -v196, v216, v217
	v_fmac_f32_e32 v216, v218, v197
	s_delay_alu instid0(VALU_DEP_1) | instskip(NEXT) | instid1(VALU_DEP_1)
	v_fma_f32 v196, -v196, v216, v217
	v_div_fmas_f32 v196, v196, v197, v216
	s_delay_alu instid0(VALU_DEP_1) | instskip(NEXT) | instid1(VALU_DEP_1)
	v_div_fixup_f32 v197, v196, v240, v241
	v_fma_f32 v196, v241, v197, v240
	s_delay_alu instid0(VALU_DEP_1) | instskip(NEXT) | instid1(VALU_DEP_1)
	v_div_scale_f32 v216, null, v196, v196, 1.0
	v_rcp_f32_e32 v217, v216
	v_nop
	s_delay_alu instid0(TRANS32_DEP_1) | instskip(NEXT) | instid1(VALU_DEP_1)
	v_fma_f32 v218, -v216, v217, 1.0
	v_fmac_f32_e32 v217, v218, v217
	v_div_scale_f32 v218, vcc_lo, 1.0, v196, 1.0
	s_delay_alu instid0(VALU_DEP_1) | instskip(NEXT) | instid1(VALU_DEP_1)
	v_mul_f32_e32 v219, v218, v217
	v_fma_f32 v220, -v216, v219, v218
	s_delay_alu instid0(VALU_DEP_1) | instskip(NEXT) | instid1(VALU_DEP_1)
	v_fmac_f32_e32 v219, v220, v217
	v_fma_f32 v216, -v216, v219, v218
	s_delay_alu instid0(VALU_DEP_1) | instskip(NEXT) | instid1(VALU_DEP_1)
	v_div_fmas_f32 v216, v216, v217, v219
	v_div_fixup_f32 v196, v216, v196, 1.0
	s_delay_alu instid0(VALU_DEP_1)
	v_mul_f32_e64 v197, v197, -v196
.LBB119_538:
	s_or_b32 exec_lo, exec_lo, s1
	ds_store_b64 v207, v[196:197]
.LBB119_539:
	s_or_b32 exec_lo, exec_lo, s2
	s_wait_dscnt 0x0
	s_barrier_signal -1
	s_barrier_wait -1
	ds_load_b64 v[196:197], v207
	s_wait_dscnt 0x0
	s_barrier_signal -1
	s_barrier_wait -1
	s_and_saveexec_b32 s2, s0
	s_cbranch_execz .LBB119_542
; %bb.540:
	scratch_load_b64 v[0:1], off, off offset:408 th:TH_LOAD_LU ; 8-byte Folded Reload
	s_wait_loadcnt 0x0
	v_cmp_eq_f32_e32 vcc_lo, 0, v0
	v_cmp_eq_f32_e64 s0, 0, v1
	scratch_load_b64 v[0:1], off, off offset:416 th:TH_LOAD_LU ; 8-byte Folded Reload
	s_and_b32 s1, vcc_lo, s0
	s_delay_alu instid0(SALU_CYCLE_1)
	v_cndmask_b32_e64 v207, 0, 1, s1
	s_wait_loadcnt 0x0
	v_cmp_neq_f32_e32 vcc_lo, 0, v0
	v_cmp_neq_f32_e64 s0, 0, v1
	scratch_load_b64 v[0:1], off, off offset:424 th:TH_LOAD_LU ; 8-byte Folded Reload
	s_or_b32 s0, vcc_lo, s0
	s_delay_alu instid0(SALU_CYCLE_1)
	s_or_b32 vcc_lo, s0, s1
	v_cmp_eq_f32_e64 s1, 0, v197
	v_cndmask_b32_e32 v207, 2, v207, vcc_lo
	s_wait_loadcnt 0x0
	v_cmp_eq_f32_e32 vcc_lo, 0, v0
	v_cmp_eq_f32_e64 s0, 0, v1
	scratch_load_b64 v[0:1], off, off offset:432 th:TH_LOAD_LU ; 8-byte Folded Reload
	s_and_b32 s0, vcc_lo, s0
	v_cmp_eq_u32_e32 vcc_lo, 0, v207
	s_and_b32 s0, s0, vcc_lo
	s_delay_alu instid0(SALU_CYCLE_1)
	v_cndmask_b32_e64 v207, v207, 3, s0
	s_wait_loadcnt 0x0
	v_cmp_eq_f32_e32 vcc_lo, 0, v0
	v_cmp_eq_f32_e64 s0, 0, v1
	scratch_load_b64 v[0:1], off, off offset:440 th:TH_LOAD_LU ; 8-byte Folded Reload
	s_and_b32 s0, vcc_lo, s0
	v_cmp_eq_u32_e32 vcc_lo, 0, v207
	s_and_b32 s0, s0, vcc_lo
	s_delay_alu instid0(SALU_CYCLE_1)
	v_cndmask_b32_e64 v207, v207, 4, s0
	s_wait_loadcnt 0x0
	v_cmp_eq_f32_e32 vcc_lo, 0, v0
	v_cmp_eq_f32_e64 s0, 0, v1
	scratch_load_b64 v[0:1], off, off offset:448 th:TH_LOAD_LU ; 8-byte Folded Reload
	s_and_b32 s0, vcc_lo, s0
	v_cmp_eq_u32_e32 vcc_lo, 0, v207
	s_and_b32 s0, s0, vcc_lo
	s_delay_alu instid0(SALU_CYCLE_1)
	v_cndmask_b32_e64 v207, v207, 5, s0
	s_wait_loadcnt 0x0
	v_cmp_eq_f32_e32 vcc_lo, 0, v0
	v_cmp_eq_f32_e64 s0, 0, v1
	scratch_load_b64 v[0:1], off, off offset:456 th:TH_LOAD_LU ; 8-byte Folded Reload
	s_and_b32 s0, vcc_lo, s0
	v_cmp_eq_u32_e32 vcc_lo, 0, v207
	s_and_b32 s0, s0, vcc_lo
	s_delay_alu instid0(SALU_CYCLE_1)
	v_cndmask_b32_e64 v207, v207, 6, s0
	s_wait_loadcnt 0x0
	v_cmp_eq_f32_e32 vcc_lo, 0, v0
	v_cmp_eq_f32_e64 s0, 0, v1
	scratch_load_b64 v[0:1], off, off offset:464 th:TH_LOAD_LU ; 8-byte Folded Reload
	s_and_b32 s0, vcc_lo, s0
	v_cmp_eq_u32_e32 vcc_lo, 0, v207
	s_and_b32 s0, s0, vcc_lo
	s_delay_alu instid0(SALU_CYCLE_1)
	v_cndmask_b32_e64 v207, v207, 7, s0
	s_wait_loadcnt 0x0
	v_cmp_eq_f32_e32 vcc_lo, 0, v0
	v_cmp_eq_f32_e64 s0, 0, v1
	s_and_b32 s0, vcc_lo, s0
	v_cmp_eq_u32_e32 vcc_lo, 0, v207
	s_and_b32 s0, s0, vcc_lo
	v_cmp_eq_f32_e32 vcc_lo, 0, v2
	v_cndmask_b32_e64 v0, v207, 8, s0
	v_cmp_eq_f32_e64 s0, 0, v3
	s_and_b32 s0, vcc_lo, s0
	v_cmp_eq_u32_e32 vcc_lo, 0, v0
	s_and_b32 s0, s0, vcc_lo
	v_cmp_eq_f32_e32 vcc_lo, 0, v4
	v_cndmask_b32_e64 v0, v0, 9, s0
	v_cmp_eq_f32_e64 s0, 0, v5
	s_and_b32 s0, vcc_lo, s0
	v_cmp_eq_u32_e32 vcc_lo, 0, v0
	s_and_b32 s0, s0, vcc_lo
	v_cmp_eq_f32_e32 vcc_lo, 0, v6
	v_cndmask_b32_e64 v0, v0, 10, s0
	v_cmp_eq_f32_e64 s0, 0, v7
	s_and_b32 s0, vcc_lo, s0
	v_cmp_eq_u32_e32 vcc_lo, 0, v0
	s_and_b32 s0, s0, vcc_lo
	v_cmp_eq_f32_e32 vcc_lo, 0, v8
	v_cndmask_b32_e64 v0, v0, 11, s0
	v_cmp_eq_f32_e64 s0, 0, v9
	s_and_b32 s0, vcc_lo, s0
	v_cmp_eq_u32_e32 vcc_lo, 0, v0
	s_and_b32 s0, s0, vcc_lo
	v_cmp_eq_f32_e32 vcc_lo, 0, v10
	v_cndmask_b32_e64 v0, v0, 12, s0
	v_cmp_eq_f32_e64 s0, 0, v11
	s_and_b32 s0, vcc_lo, s0
	v_cmp_eq_u32_e32 vcc_lo, 0, v0
	s_and_b32 s0, s0, vcc_lo
	v_cmp_eq_f32_e32 vcc_lo, 0, v12
	v_cndmask_b32_e64 v0, v0, 13, s0
	v_cmp_eq_f32_e64 s0, 0, v13
	s_and_b32 s0, vcc_lo, s0
	v_cmp_eq_u32_e32 vcc_lo, 0, v0
	s_and_b32 s0, s0, vcc_lo
	v_cmp_eq_f32_e32 vcc_lo, 0, v14
	v_cndmask_b32_e64 v0, v0, 14, s0
	v_cmp_eq_f32_e64 s0, 0, v15
	s_and_b32 s0, vcc_lo, s0
	v_cmp_eq_u32_e32 vcc_lo, 0, v0
	s_and_b32 s0, s0, vcc_lo
	v_cmp_eq_f32_e32 vcc_lo, 0, v18
	v_cndmask_b32_e64 v0, v0, 15, s0
	v_cmp_eq_f32_e64 s0, 0, v19
	s_and_b32 s0, vcc_lo, s0
	v_cmp_eq_u32_e32 vcc_lo, 0, v0
	s_and_b32 s0, s0, vcc_lo
	v_cmp_eq_f32_e32 vcc_lo, 0, v28
	v_cndmask_b32_e64 v0, v0, 16, s0
	v_cmp_eq_f32_e64 s0, 0, v29
	s_and_b32 s0, vcc_lo, s0
	v_cmp_eq_u32_e32 vcc_lo, 0, v0
	s_and_b32 s0, s0, vcc_lo
	v_cmp_eq_f32_e32 vcc_lo, 0, v30
	v_cndmask_b32_e64 v0, v0, 17, s0
	v_cmp_eq_f32_e64 s0, 0, v31
	s_and_b32 s0, vcc_lo, s0
	v_cmp_eq_u32_e32 vcc_lo, 0, v0
	s_and_b32 s0, s0, vcc_lo
	v_cmp_eq_f32_e32 vcc_lo, 0, v32
	v_cndmask_b32_e64 v0, v0, 18, s0
	v_cmp_eq_f32_e64 s0, 0, v33
	s_and_b32 s0, vcc_lo, s0
	v_cmp_eq_u32_e32 vcc_lo, 0, v0
	s_and_b32 s0, s0, vcc_lo
	v_cmp_eq_f32_e32 vcc_lo, 0, v42
	v_cndmask_b32_e64 v0, v0, 19, s0
	v_cmp_eq_f32_e64 s0, 0, v43
	s_and_b32 s0, vcc_lo, s0
	v_cmp_eq_u32_e32 vcc_lo, 0, v0
	s_and_b32 s0, s0, vcc_lo
	v_cmp_eq_f32_e32 vcc_lo, 0, v48
	v_cndmask_b32_e64 v0, v0, 20, s0
	v_cmp_eq_f32_e64 s0, 0, v49
	s_and_b32 s0, vcc_lo, s0
	v_cmp_eq_u32_e32 vcc_lo, 0, v0
	s_and_b32 s0, s0, vcc_lo
	v_cmp_eq_f32_e32 vcc_lo, 0, v50
	v_cndmask_b32_e64 v0, v0, 21, s0
	v_cmp_eq_f32_e64 s0, 0, v51
	s_and_b32 s0, vcc_lo, s0
	v_cmp_eq_u32_e32 vcc_lo, 0, v0
	s_and_b32 s0, s0, vcc_lo
	v_cmp_eq_f32_e32 vcc_lo, 0, v54
	v_cndmask_b32_e64 v0, v0, 22, s0
	v_cmp_eq_f32_e64 s0, 0, v55
	s_and_b32 s0, vcc_lo, s0
	v_cmp_eq_u32_e32 vcc_lo, 0, v0
	s_and_b32 s0, s0, vcc_lo
	v_cmp_eq_f32_e32 vcc_lo, 0, v68
	v_cndmask_b32_e64 v0, v0, 23, s0
	v_cmp_eq_f32_e64 s0, 0, v69
	s_and_b32 s0, vcc_lo, s0
	v_cmp_eq_u32_e32 vcc_lo, 0, v0
	s_and_b32 s0, s0, vcc_lo
	v_cmp_eq_f32_e32 vcc_lo, 0, v70
	v_cndmask_b32_e64 v0, v0, 24, s0
	v_cmp_eq_f32_e64 s0, 0, v71
	s_and_b32 s0, vcc_lo, s0
	v_cmp_eq_u32_e32 vcc_lo, 0, v0
	s_and_b32 s0, s0, vcc_lo
	v_cmp_eq_f32_e32 vcc_lo, 0, v72
	v_cndmask_b32_e64 v0, v0, 25, s0
	v_cmp_eq_f32_e64 s0, 0, v73
	s_and_b32 s0, vcc_lo, s0
	v_cmp_eq_u32_e32 vcc_lo, 0, v0
	s_and_b32 s0, s0, vcc_lo
	v_cmp_eq_f32_e32 vcc_lo, 0, v74
	v_cndmask_b32_e64 v0, v0, 26, s0
	v_cmp_eq_f32_e64 s0, 0, v75
	s_and_b32 s0, vcc_lo, s0
	v_cmp_eq_u32_e32 vcc_lo, 0, v0
	s_and_b32 s0, s0, vcc_lo
	v_cmp_eq_f32_e32 vcc_lo, 0, v84
	v_cndmask_b32_e64 v0, v0, 27, s0
	v_cmp_eq_f32_e64 s0, 0, v85
	s_and_b32 s0, vcc_lo, s0
	v_cmp_eq_u32_e32 vcc_lo, 0, v0
	s_and_b32 s0, s0, vcc_lo
	v_cmp_eq_f32_e32 vcc_lo, 0, v86
	v_cndmask_b32_e64 v0, v0, 28, s0
	v_cmp_eq_f32_e64 s0, 0, v87
	s_and_b32 s0, vcc_lo, s0
	v_cmp_eq_u32_e32 vcc_lo, 0, v0
	s_and_b32 s0, s0, vcc_lo
	v_cmp_eq_f32_e32 vcc_lo, 0, v88
	v_cndmask_b32_e64 v0, v0, 29, s0
	v_cmp_eq_f32_e64 s0, 0, v89
	s_and_b32 s0, vcc_lo, s0
	v_cmp_eq_u32_e32 vcc_lo, 0, v0
	s_and_b32 s0, s0, vcc_lo
	v_cmp_eq_f32_e32 vcc_lo, 0, v90
	v_cndmask_b32_e64 v0, v0, 30, s0
	v_cmp_eq_f32_e64 s0, 0, v91
	s_and_b32 s0, vcc_lo, s0
	v_cmp_eq_u32_e32 vcc_lo, 0, v0
	s_and_b32 s0, s0, vcc_lo
	v_cmp_eq_f32_e32 vcc_lo, 0, v100
	v_cndmask_b32_e64 v0, v0, 31, s0
	v_cmp_eq_f32_e64 s0, 0, v101
	s_and_b32 s0, vcc_lo, s0
	v_cmp_eq_u32_e32 vcc_lo, 0, v0
	s_and_b32 s0, s0, vcc_lo
	v_cmp_eq_f32_e32 vcc_lo, 0, v102
	v_cndmask_b32_e64 v0, v0, 32, s0
	v_cmp_eq_f32_e64 s0, 0, v103
	s_and_b32 s0, vcc_lo, s0
	v_cmp_eq_u32_e32 vcc_lo, 0, v0
	s_and_b32 s0, s0, vcc_lo
	v_cmp_eq_f32_e32 vcc_lo, 0, v104
	v_cndmask_b32_e64 v0, v0, 33, s0
	v_cmp_eq_f32_e64 s0, 0, v105
	s_and_b32 s0, vcc_lo, s0
	v_cmp_eq_u32_e32 vcc_lo, 0, v0
	s_and_b32 s0, s0, vcc_lo
	v_cmp_eq_f32_e32 vcc_lo, 0, v106
	v_cndmask_b32_e64 v0, v0, 34, s0
	v_cmp_eq_f32_e64 s0, 0, v107
	s_and_b32 s0, vcc_lo, s0
	v_cmp_eq_u32_e32 vcc_lo, 0, v0
	s_and_b32 s0, s0, vcc_lo
	v_cmp_eq_f32_e32 vcc_lo, 0, v116
	v_cndmask_b32_e64 v0, v0, 35, s0
	v_cmp_eq_f32_e64 s0, 0, v117
	s_and_b32 s0, vcc_lo, s0
	v_cmp_eq_u32_e32 vcc_lo, 0, v0
	s_and_b32 s0, s0, vcc_lo
	v_cmp_eq_f32_e32 vcc_lo, 0, v118
	v_cndmask_b32_e64 v0, v0, 36, s0
	v_cmp_eq_f32_e64 s0, 0, v119
	s_and_b32 s0, vcc_lo, s0
	v_cmp_eq_u32_e32 vcc_lo, 0, v0
	s_and_b32 s0, s0, vcc_lo
	v_cmp_eq_f32_e32 vcc_lo, 0, v120
	v_cndmask_b32_e64 v0, v0, 37, s0
	v_cmp_eq_f32_e64 s0, 0, v121
	s_and_b32 s0, vcc_lo, s0
	v_cmp_eq_u32_e32 vcc_lo, 0, v0
	s_and_b32 s0, s0, vcc_lo
	v_cmp_eq_f32_e32 vcc_lo, 0, v122
	v_cndmask_b32_e64 v0, v0, 38, s0
	v_cmp_eq_f32_e64 s0, 0, v123
	s_and_b32 s0, vcc_lo, s0
	v_cmp_eq_u32_e32 vcc_lo, 0, v0
	s_and_b32 s0, s0, vcc_lo
	v_cmp_eq_f32_e32 vcc_lo, 0, v132
	v_cndmask_b32_e64 v0, v0, 39, s0
	v_cmp_eq_f32_e64 s0, 0, v133
	s_and_b32 s0, vcc_lo, s0
	v_cmp_eq_u32_e32 vcc_lo, 0, v0
	s_and_b32 s0, s0, vcc_lo
	v_cmp_eq_f32_e32 vcc_lo, 0, v134
	v_cndmask_b32_e64 v0, v0, 40, s0
	v_cmp_eq_f32_e64 s0, 0, v135
	s_and_b32 s0, vcc_lo, s0
	v_cmp_eq_u32_e32 vcc_lo, 0, v0
	s_and_b32 s0, s0, vcc_lo
	v_cmp_eq_f32_e32 vcc_lo, 0, v136
	v_cndmask_b32_e64 v0, v0, 41, s0
	v_cmp_eq_f32_e64 s0, 0, v137
	s_and_b32 s0, vcc_lo, s0
	v_cmp_eq_u32_e32 vcc_lo, 0, v0
	s_and_b32 s0, s0, vcc_lo
	v_cmp_eq_f32_e32 vcc_lo, 0, v138
	v_cndmask_b32_e64 v0, v0, 42, s0
	v_cmp_eq_f32_e64 s0, 0, v139
	s_and_b32 s0, vcc_lo, s0
	v_cmp_eq_u32_e32 vcc_lo, 0, v0
	s_and_b32 s0, s0, vcc_lo
	v_cmp_eq_f32_e32 vcc_lo, 0, v148
	v_cndmask_b32_e64 v0, v0, 43, s0
	v_cmp_eq_f32_e64 s0, 0, v149
	s_and_b32 s0, vcc_lo, s0
	v_cmp_eq_u32_e32 vcc_lo, 0, v0
	s_and_b32 s0, s0, vcc_lo
	v_cmp_eq_f32_e32 vcc_lo, 0, v150
	v_cndmask_b32_e64 v0, v0, 44, s0
	v_cmp_eq_f32_e64 s0, 0, v151
	s_and_b32 s0, vcc_lo, s0
	v_cmp_eq_u32_e32 vcc_lo, 0, v0
	s_and_b32 s0, s0, vcc_lo
	v_cmp_eq_f32_e32 vcc_lo, 0, v152
	v_cndmask_b32_e64 v0, v0, 45, s0
	v_cmp_eq_f32_e64 s0, 0, v153
	s_and_b32 s0, vcc_lo, s0
	v_cmp_eq_u32_e32 vcc_lo, 0, v0
	s_and_b32 s0, s0, vcc_lo
	v_cmp_eq_f32_e32 vcc_lo, 0, v154
	v_cndmask_b32_e64 v0, v0, 46, s0
	v_cmp_eq_f32_e64 s0, 0, v155
	s_and_b32 s0, vcc_lo, s0
	v_cmp_eq_u32_e32 vcc_lo, 0, v0
	s_and_b32 s0, s0, vcc_lo
	v_cmp_eq_f32_e32 vcc_lo, 0, v164
	v_cndmask_b32_e64 v0, v0, 47, s0
	v_cmp_eq_f32_e64 s0, 0, v165
	s_and_b32 s0, vcc_lo, s0
	v_cmp_eq_u32_e32 vcc_lo, 0, v0
	s_and_b32 s0, s0, vcc_lo
	v_cmp_eq_f32_e32 vcc_lo, 0, v166
	v_cndmask_b32_e64 v0, v0, 48, s0
	v_cmp_eq_f32_e64 s0, 0, v167
	s_and_b32 s0, vcc_lo, s0
	v_cmp_eq_u32_e32 vcc_lo, 0, v0
	s_and_b32 s0, s0, vcc_lo
	v_cmp_eq_f32_e32 vcc_lo, 0, v168
	v_cndmask_b32_e64 v0, v0, 49, s0
	v_cmp_eq_f32_e64 s0, 0, v169
	s_and_b32 s0, vcc_lo, s0
	v_cmp_eq_u32_e32 vcc_lo, 0, v0
	s_and_b32 s0, s0, vcc_lo
	v_cmp_eq_f32_e32 vcc_lo, 0, v170
	v_cndmask_b32_e64 v0, v0, 50, s0
	v_cmp_eq_f32_e64 s0, 0, v171
	s_and_b32 s0, vcc_lo, s0
	v_cmp_eq_u32_e32 vcc_lo, 0, v0
	s_and_b32 s0, s0, vcc_lo
	v_cmp_eq_f32_e32 vcc_lo, 0, v180
	v_cndmask_b32_e64 v0, v0, 51, s0
	v_cmp_eq_f32_e64 s0, 0, v181
	s_and_b32 s0, vcc_lo, s0
	v_cmp_eq_u32_e32 vcc_lo, 0, v0
	s_and_b32 s0, s0, vcc_lo
	v_cmp_eq_f32_e32 vcc_lo, 0, v182
	v_cndmask_b32_e64 v0, v0, 52, s0
	v_cmp_eq_f32_e64 s0, 0, v183
	s_and_b32 s0, vcc_lo, s0
	v_cmp_eq_u32_e32 vcc_lo, 0, v0
	s_and_b32 s0, s0, vcc_lo
	v_cmp_eq_f32_e32 vcc_lo, 0, v184
	v_cndmask_b32_e64 v0, v0, 53, s0
	v_cmp_eq_f32_e64 s0, 0, v185
	s_and_b32 s0, vcc_lo, s0
	v_cmp_eq_u32_e32 vcc_lo, 0, v0
	s_and_b32 s0, s0, vcc_lo
	v_cmp_eq_f32_e32 vcc_lo, 0, v186
	v_cndmask_b32_e64 v0, v0, 54, s0
	v_cmp_eq_f32_e64 s0, 0, v187
	s_and_b32 s0, vcc_lo, s0
	v_cmp_eq_u32_e32 vcc_lo, 0, v0
	s_and_b32 s0, s0, vcc_lo
	v_cmp_eq_f32_e32 vcc_lo, 0, v198
	v_cndmask_b32_e64 v0, v0, 55, s0
	v_cmp_eq_f32_e64 s0, 0, v199
	s_and_b32 s0, vcc_lo, s0
	v_cmp_eq_u32_e32 vcc_lo, 0, v0
	s_and_b32 s0, s0, vcc_lo
	v_cmp_eq_f32_e32 vcc_lo, 0, v200
	v_cndmask_b32_e64 v0, v0, 56, s0
	v_cmp_eq_f32_e64 s0, 0, v201
	s_and_b32 s0, vcc_lo, s0
	v_cmp_eq_u32_e32 vcc_lo, 0, v0
	s_and_b32 s0, s0, vcc_lo
	v_cmp_eq_f32_e32 vcc_lo, 0, v202
	v_cndmask_b32_e64 v0, v0, 57, s0
	v_cmp_eq_f32_e64 s0, 0, v203
	s_and_b32 s0, vcc_lo, s0
	v_cmp_eq_u32_e32 vcc_lo, 0, v0
	s_and_b32 s0, s0, vcc_lo
	v_cmp_eq_f32_e32 vcc_lo, 0, v204
	v_cndmask_b32_e64 v0, v0, 58, s0
	v_cmp_eq_f32_e64 s0, 0, v205
	s_and_b32 s0, vcc_lo, s0
	v_cmp_eq_u32_e32 vcc_lo, 0, v0
	s_and_b32 s0, s0, vcc_lo
	s_delay_alu instid0(SALU_CYCLE_1) | instskip(SKIP_1) | instid1(VALU_DEP_2)
	v_cndmask_b32_e64 v0, v0, 59, s0
	v_cmp_eq_f32_e64 s0, 0, v196
	v_cmp_eq_u32_e32 vcc_lo, 0, v0
	s_and_b32 s0, s0, s1
	s_delay_alu instid0(SALU_CYCLE_1) | instskip(NEXT) | instid1(SALU_CYCLE_1)
	s_and_b32 s0, s0, vcc_lo
	v_cndmask_b32_e64 v2, v0, 60, s0
	v_lshl_add_u64 v[0:1], v[52:53], 2, s[6:7]
	s_delay_alu instid0(VALU_DEP_2) | instskip(SKIP_4) | instid1(SALU_CYCLE_1)
	v_cmp_ne_u32_e64 s0, 0, v2
	global_load_b32 v3, v[0:1], off
	s_wait_loadcnt 0x0
	v_cmp_eq_u32_e32 vcc_lo, 0, v3
	s_and_b32 s0, vcc_lo, s0
	s_and_b32 exec_lo, exec_lo, s0
	s_cbranch_execz .LBB119_542
; %bb.541:
	v_add_nc_u32_e32 v2, s3, v2
	global_store_b32 v[0:1], v2, off
.LBB119_542:
	s_wait_xcnt 0x0
	s_or_b32 exec_lo, exec_lo, s2
	scratch_load_b64 v[2:3], off, off offset:24 th:TH_LOAD_LU ; 8-byte Folded Reload
	v_pk_mul_f32 v[0:1], v[196:197], v[240:241] op_sel:[1,1] op_sel_hi:[0,1]
	global_store_b64 v[254:255], v[56:57], off
	v_cmp_lt_u32_e32 vcc_lo, 59, v206
	s_wait_loadcnt 0x0
	global_store_b64 v[2:3], v[58:59], off
	s_wait_xcnt 0x0
	v_pk_fma_f32 v[2:3], v[196:197], v[240:241], v[0:1] op_sel_hi:[1,0,1]
	v_pk_fma_f32 v[0:1], v[196:197], v[240:241], v[0:1] neg_lo:[0,0,1] neg_hi:[0,0,1]
	s_clause 0x7
	global_store_b64 v[244:245], v[46:47], off
	global_store_b64 v[16:17], v[44:45], off
	;; [unrolled: 1-line block ×8, first 2 shown]
	v_dual_cndmask_b32 v1, v241, v3 :: v_dual_cndmask_b32 v0, v240, v0
	scratch_load_b64 v[2:3], off, off th:TH_LOAD_LU ; 8-byte Folded Reload
	s_wait_loadcnt 0x0
	global_store_b64 v[2:3], v[38:39], off
	scratch_load_b64 v[2:3], off, off offset:8 th:TH_LOAD_LU ; 8-byte Folded Reload
	s_wait_loadcnt 0x0
	global_store_b64 v[2:3], v[34:35], off
	scratch_load_b64 v[2:3], off, off offset:16 th:TH_LOAD_LU ; 8-byte Folded Reload
	;; [unrolled: 3-line block ×49, first 2 shown]
	s_wait_loadcnt 0x0
	global_store_b64 v[2:3], v[0:1], off
.LBB119_543:
	s_sendmsg sendmsg(MSG_DEALLOC_VGPRS)
	s_endpgm
	.section	.rodata,"a",@progbits
	.p2align	6, 0x0
	.amdhsa_kernel _ZN9rocsolver6v33100L23getf2_npvt_small_kernelILi60E19rocblas_complex_numIfEiiPS3_EEvT1_T3_lS5_lPT2_S5_S5_
		.amdhsa_group_segment_fixed_size 0
		.amdhsa_private_segment_fixed_size 476
		.amdhsa_kernarg_size 312
		.amdhsa_user_sgpr_count 2
		.amdhsa_user_sgpr_dispatch_ptr 0
		.amdhsa_user_sgpr_queue_ptr 0
		.amdhsa_user_sgpr_kernarg_segment_ptr 1
		.amdhsa_user_sgpr_dispatch_id 0
		.amdhsa_user_sgpr_kernarg_preload_length 0
		.amdhsa_user_sgpr_kernarg_preload_offset 0
		.amdhsa_user_sgpr_private_segment_size 0
		.amdhsa_wavefront_size32 1
		.amdhsa_uses_dynamic_stack 0
		.amdhsa_enable_private_segment 1
		.amdhsa_system_sgpr_workgroup_id_x 1
		.amdhsa_system_sgpr_workgroup_id_y 1
		.amdhsa_system_sgpr_workgroup_id_z 0
		.amdhsa_system_sgpr_workgroup_info 0
		.amdhsa_system_vgpr_workitem_id 1
		.amdhsa_next_free_vgpr 256
		.amdhsa_next_free_sgpr 15
		.amdhsa_named_barrier_count 0
		.amdhsa_reserve_vcc 1
		.amdhsa_float_round_mode_32 0
		.amdhsa_float_round_mode_16_64 0
		.amdhsa_float_denorm_mode_32 3
		.amdhsa_float_denorm_mode_16_64 3
		.amdhsa_fp16_overflow 0
		.amdhsa_memory_ordered 1
		.amdhsa_forward_progress 1
		.amdhsa_inst_pref_size 255
		.amdhsa_round_robin_scheduling 0
		.amdhsa_exception_fp_ieee_invalid_op 0
		.amdhsa_exception_fp_denorm_src 0
		.amdhsa_exception_fp_ieee_div_zero 0
		.amdhsa_exception_fp_ieee_overflow 0
		.amdhsa_exception_fp_ieee_underflow 0
		.amdhsa_exception_fp_ieee_inexact 0
		.amdhsa_exception_int_div_zero 0
	.end_amdhsa_kernel
	.section	.text._ZN9rocsolver6v33100L23getf2_npvt_small_kernelILi60E19rocblas_complex_numIfEiiPS3_EEvT1_T3_lS5_lPT2_S5_S5_,"axG",@progbits,_ZN9rocsolver6v33100L23getf2_npvt_small_kernelILi60E19rocblas_complex_numIfEiiPS3_EEvT1_T3_lS5_lPT2_S5_S5_,comdat
.Lfunc_end119:
	.size	_ZN9rocsolver6v33100L23getf2_npvt_small_kernelILi60E19rocblas_complex_numIfEiiPS3_EEvT1_T3_lS5_lPT2_S5_S5_, .Lfunc_end119-_ZN9rocsolver6v33100L23getf2_npvt_small_kernelILi60E19rocblas_complex_numIfEiiPS3_EEvT1_T3_lS5_lPT2_S5_S5_
                                        ; -- End function
	.set _ZN9rocsolver6v33100L23getf2_npvt_small_kernelILi60E19rocblas_complex_numIfEiiPS3_EEvT1_T3_lS5_lPT2_S5_S5_.num_vgpr, 256
	.set _ZN9rocsolver6v33100L23getf2_npvt_small_kernelILi60E19rocblas_complex_numIfEiiPS3_EEvT1_T3_lS5_lPT2_S5_S5_.num_agpr, 0
	.set _ZN9rocsolver6v33100L23getf2_npvt_small_kernelILi60E19rocblas_complex_numIfEiiPS3_EEvT1_T3_lS5_lPT2_S5_S5_.numbered_sgpr, 15
	.set _ZN9rocsolver6v33100L23getf2_npvt_small_kernelILi60E19rocblas_complex_numIfEiiPS3_EEvT1_T3_lS5_lPT2_S5_S5_.num_named_barrier, 0
	.set _ZN9rocsolver6v33100L23getf2_npvt_small_kernelILi60E19rocblas_complex_numIfEiiPS3_EEvT1_T3_lS5_lPT2_S5_S5_.private_seg_size, 476
	.set _ZN9rocsolver6v33100L23getf2_npvt_small_kernelILi60E19rocblas_complex_numIfEiiPS3_EEvT1_T3_lS5_lPT2_S5_S5_.uses_vcc, 1
	.set _ZN9rocsolver6v33100L23getf2_npvt_small_kernelILi60E19rocblas_complex_numIfEiiPS3_EEvT1_T3_lS5_lPT2_S5_S5_.uses_flat_scratch, 1
	.set _ZN9rocsolver6v33100L23getf2_npvt_small_kernelILi60E19rocblas_complex_numIfEiiPS3_EEvT1_T3_lS5_lPT2_S5_S5_.has_dyn_sized_stack, 0
	.set _ZN9rocsolver6v33100L23getf2_npvt_small_kernelILi60E19rocblas_complex_numIfEiiPS3_EEvT1_T3_lS5_lPT2_S5_S5_.has_recursion, 0
	.set _ZN9rocsolver6v33100L23getf2_npvt_small_kernelILi60E19rocblas_complex_numIfEiiPS3_EEvT1_T3_lS5_lPT2_S5_S5_.has_indirect_call, 0
	.section	.AMDGPU.csdata,"",@progbits
; Kernel info:
; codeLenInByte = 145992
; TotalNumSgprs: 17
; NumVgprs: 256
; ScratchSize: 476
; MemoryBound: 0
; FloatMode: 240
; IeeeMode: 1
; LDSByteSize: 0 bytes/workgroup (compile time only)
; SGPRBlocks: 0
; VGPRBlocks: 15
; NumSGPRsForWavesPerEU: 17
; NumVGPRsForWavesPerEU: 256
; NamedBarCnt: 0
; Occupancy: 4
; WaveLimiterHint : 0
; COMPUTE_PGM_RSRC2:SCRATCH_EN: 1
; COMPUTE_PGM_RSRC2:USER_SGPR: 2
; COMPUTE_PGM_RSRC2:TRAP_HANDLER: 0
; COMPUTE_PGM_RSRC2:TGID_X_EN: 1
; COMPUTE_PGM_RSRC2:TGID_Y_EN: 1
; COMPUTE_PGM_RSRC2:TGID_Z_EN: 0
; COMPUTE_PGM_RSRC2:TIDIG_COMP_CNT: 1
	.section	.text._ZN9rocsolver6v33100L18getf2_small_kernelILi61E19rocblas_complex_numIfEiiPS3_EEvT1_T3_lS5_lPS5_llPT2_S5_S5_S7_l,"axG",@progbits,_ZN9rocsolver6v33100L18getf2_small_kernelILi61E19rocblas_complex_numIfEiiPS3_EEvT1_T3_lS5_lPS5_llPT2_S5_S5_S7_l,comdat
	.globl	_ZN9rocsolver6v33100L18getf2_small_kernelILi61E19rocblas_complex_numIfEiiPS3_EEvT1_T3_lS5_lPS5_llPT2_S5_S5_S7_l ; -- Begin function _ZN9rocsolver6v33100L18getf2_small_kernelILi61E19rocblas_complex_numIfEiiPS3_EEvT1_T3_lS5_lPS5_llPT2_S5_S5_S7_l
	.p2align	8
	.type	_ZN9rocsolver6v33100L18getf2_small_kernelILi61E19rocblas_complex_numIfEiiPS3_EEvT1_T3_lS5_lPS5_llPT2_S5_S5_S7_l,@function
_ZN9rocsolver6v33100L18getf2_small_kernelILi61E19rocblas_complex_numIfEiiPS3_EEvT1_T3_lS5_lPS5_llPT2_S5_S5_S7_l: ; @_ZN9rocsolver6v33100L18getf2_small_kernelILi61E19rocblas_complex_numIfEiiPS3_EEvT1_T3_lS5_lPS5_llPT2_S5_S5_S7_l
; %bb.0:
	s_clause 0x1
	s_load_u16 s2, s[0:1], 0x6e
	s_load_b64 s[16:17], s[0:1], 0x48
	s_bfe_u32 s3, ttmp6, 0x40010
	s_bfe_u32 s4, ttmp6, 0x40004
	s_add_co_i32 s3, s3, 1
	s_getreg_b32 s5, hwreg(HW_REG_IB_STS2, 6, 4)
	s_mul_i32 s3, ttmp7, s3
	v_bfe_u32 v130, v0, 10, 10
	s_add_co_i32 s4, s4, s3
	s_cmp_eq_u32 s5, 0
	s_cselect_b32 s3, ttmp7, s4
	s_wait_kmcnt 0x0
	v_mad_u32 v2, s3, s2, v130
	s_mov_b32 s2, exec_lo
	s_delay_alu instid0(VALU_DEP_1)
	v_cmpx_gt_i32_e64 s16, v2
	s_cbranch_execnz .LBB120_1
; %bb.1283:
	s_add_pc_i64 .LBB120_1282-.Lpost_addpc12
.Lpost_addpc12:
.LBB120_1:
	s_load_b128 s[4:7], s[0:1], 0x50
	v_mov_b64_e32 v[4:5], 0
	v_ashrrev_i32_e32 v3, 31, v2
	s_wait_kmcnt 0x0
	s_cmp_eq_u64 s[4:5], 0
	s_cselect_b32 s16, -1, 0
	s_delay_alu instid0(SALU_CYCLE_1)
	s_and_b32 vcc_lo, exec_lo, s16
	s_cbranch_vccnz .LBB120_3
; %bb.2:
	v_mul_u64_e32 v[4:5], s[6:7], v[2:3]
	s_delay_alu instid0(VALU_DEP_1)
	v_lshl_add_u64 v[4:5], v[4:5], 2, s[4:5]
.LBB120_3:
	s_clause 0x2
	s_load_b32 s2, s[0:1], 0x18
	s_load_b128 s[12:15], s[0:1], 0x8
	s_load_b32 s18, s[0:1], 0x0
	v_and_b32_e32 v137, 0x3ff, v0
	s_load_b256 s[4:11], s[0:1], 0x20
	v_mov_b32_e32 v129, 0
	s_wait_kmcnt 0x0
	s_delay_alu instid0(VALU_DEP_2) | instskip(SKIP_2) | instid1(VALU_DEP_2)
	v_add3_u32 v6, s2, s2, v137
	s_ashr_i32 s3, s2, 31
	v_mul_u64_e32 v[0:1], s[4:5], v[2:3]
	v_add_nc_u32_e32 v8, s2, v6
	s_max_i32 s4, s18, 61
	s_cmp_lt_i32 s18, 2
	s_delay_alu instid0(VALU_DEP_1) | instskip(NEXT) | instid1(VALU_DEP_1)
	v_add_nc_u32_e32 v10, s2, v8
	v_add_nc_u32_e32 v12, s2, v10
	s_delay_alu instid0(VALU_DEP_1) | instskip(NEXT) | instid1(VALU_DEP_1)
	v_dual_add_nc_u32 v14, s2, v12 :: v_dual_ashrrev_i32 v7, 31, v6
	v_dual_ashrrev_i32 v9, 31, v8 :: v_dual_add_nc_u32 v16, s2, v14
	s_delay_alu instid0(VALU_DEP_1) | instskip(SKIP_1) | instid1(VALU_DEP_2)
	v_dual_add_nc_u32 v18, s2, v16 :: v_dual_ashrrev_i32 v11, 31, v10
	v_ashrrev_i32_e32 v13, 31, v12
	v_dual_ashrrev_i32 v17, 31, v16 :: v_dual_add_nc_u32 v20, s2, v18
	v_lshl_add_u64 v[0:1], v[0:1], 3, s[12:13]
	s_delay_alu instid0(VALU_DEP_2) | instskip(NEXT) | instid1(VALU_DEP_2)
	v_add_nc_u32_e32 v22, s2, v20
	v_lshl_add_u64 v[0:1], s[14:15], 3, v[0:1]
	s_delay_alu instid0(VALU_DEP_2) | instskip(NEXT) | instid1(VALU_DEP_2)
	v_add_nc_u32_e32 v24, s2, v22
	v_lshl_add_u64 v[10:11], v[10:11], 3, v[0:1]
	v_lshl_add_u64 v[12:13], v[12:13], 3, v[0:1]
	;; [unrolled: 1-line block ×4, first 2 shown]
	v_dual_add_nc_u32 v26, s2, v24 :: v_dual_ashrrev_i32 v19, 31, v18
	v_ashrrev_i32_e32 v21, 31, v20
	v_lshl_add_u64 v[16:17], v[16:17], 3, v[0:1]
	s_delay_alu instid0(VALU_DEP_3) | instskip(NEXT) | instid1(VALU_DEP_4)
	v_add_nc_u32_e32 v28, s2, v26
	v_lshl_add_u64 v[18:19], v[18:19], 3, v[0:1]
	s_delay_alu instid0(VALU_DEP_4) | instskip(NEXT) | instid1(VALU_DEP_3)
	v_lshl_add_u64 v[20:21], v[20:21], 3, v[0:1]
	v_add_nc_u32_e32 v30, s2, v28
	v_ashrrev_i32_e32 v25, 31, v24
	s_delay_alu instid0(VALU_DEP_2) | instskip(NEXT) | instid1(VALU_DEP_1)
	v_dual_ashrrev_i32 v29, 31, v28 :: v_dual_add_nc_u32 v32, s2, v30
	v_add_nc_u32_e32 v34, s2, v32
	s_delay_alu instid0(VALU_DEP_1) | instskip(NEXT) | instid1(VALU_DEP_1)
	v_add_nc_u32_e32 v36, s2, v34
	v_dual_ashrrev_i32 v31, 31, v30 :: v_dual_ashrrev_i32 v37, 31, v36
	v_dual_add_nc_u32 v38, s2, v36 :: v_dual_ashrrev_i32 v27, 31, v26
	s_delay_alu instid0(VALU_DEP_1) | instskip(SKIP_1) | instid1(VALU_DEP_2)
	v_dual_ashrrev_i32 v33, 31, v32 :: v_dual_add_nc_u32 v40, s2, v38
	v_dual_lshlrev_b32 v128, 3, v137 :: v_dual_ashrrev_i32 v39, 31, v38
	v_add_nc_u32_e32 v42, s2, v40
	s_delay_alu instid0(VALU_DEP_2) | instskip(NEXT) | instid1(VALU_DEP_2)
	v_add_nc_u64_e32 v[48:49], v[0:1], v[128:129]
	v_dual_ashrrev_i32 v41, 31, v40 :: v_dual_add_nc_u32 v44, s2, v42
	s_delay_alu instid0(VALU_DEP_1) | instskip(NEXT) | instid1(VALU_DEP_1)
	v_dual_ashrrev_i32 v15, 31, v14 :: v_dual_add_nc_u32 v46, s2, v44
	v_lshl_add_u64 v[14:15], v[14:15], 3, v[0:1]
	s_clause 0x3
	global_load_b64 v[116:117], v[10:11], off
	global_load_b64 v[112:113], v[12:13], off
	;; [unrolled: 1-line block ×4, first 2 shown]
	v_add_nc_u32_e32 v50, s2, v46
	s_wait_xcnt 0x3
	v_lshl_add_u64 v[10:11], s[2:3], 3, v[48:49]
	s_clause 0x3
	global_load_b64 v[120:121], v[6:7], off
	global_load_b64 v[118:119], v[8:9], off
	;; [unrolled: 1-line block ×4, first 2 shown]
	s_wait_xcnt 0x3
	v_lshl_add_u64 v[6:7], v[24:25], 3, v[0:1]
	v_add_nc_u32_e32 v52, s2, v50
	s_wait_xcnt 0x0
	v_lshl_add_u64 v[10:11], v[26:27], 3, v[0:1]
	v_lshl_add_u64 v[16:17], v[28:29], 3, v[0:1]
	;; [unrolled: 1-line block ×3, first 2 shown]
	v_dual_ashrrev_i32 v47, 31, v46 :: v_dual_add_nc_u32 v54, s2, v52
	v_ashrrev_i32_e32 v51, 31, v50
	v_lshl_add_u64 v[26:27], v[40:41], 3, v[0:1]
	v_ashrrev_i32_e32 v45, 31, v44
	s_delay_alu instid0(VALU_DEP_4) | instskip(SKIP_1) | instid1(VALU_DEP_2)
	v_dual_ashrrev_i32 v53, 31, v52 :: v_dual_add_nc_u32 v14, s2, v54
	v_ashrrev_i32_e32 v55, 31, v54
	v_add_nc_u32_e32 v8, s2, v14
	v_ashrrev_i32_e32 v23, 31, v22
	v_ashrrev_i32_e32 v15, 31, v14
	s_delay_alu instid0(VALU_DEP_2)
	v_lshl_add_u64 v[12:13], v[22:23], 3, v[0:1]
	s_clause 0x3
	global_load_b64 v[108:109], v[18:19], off
	global_load_b64 v[104:105], v[20:21], off
	;; [unrolled: 1-line block ×4, first 2 shown]
	s_wait_xcnt 0x0
	v_add_nc_u32_e32 v6, s2, v8
	v_lshl_add_u64 v[18:19], v[30:31], 3, v[0:1]
	v_lshl_add_u64 v[20:21], v[32:33], 3, v[0:1]
	s_clause 0x3
	global_load_b64 v[100:101], v[10:11], off
	global_load_b64 v[96:97], v[16:17], off
	;; [unrolled: 1-line block ×4, first 2 shown]
	v_add_nc_u32_e32 v12, s2, v6
	s_wait_xcnt 0x0
	v_lshl_add_u64 v[20:21], v[36:37], 3, v[0:1]
	v_lshl_add_u64 v[30:31], v[46:47], 3, v[0:1]
	;; [unrolled: 1-line block ×4, first 2 shown]
	v_add_nc_u32_e32 v22, s2, v12
	v_ashrrev_i32_e32 v9, 31, v8
	s_delay_alu instid0(VALU_DEP_2) | instskip(NEXT) | instid1(VALU_DEP_2)
	v_dual_ashrrev_i32 v13, 31, v12 :: v_dual_add_nc_u32 v10, s2, v22
	v_lshl_add_u64 v[8:9], v[8:9], 3, v[0:1]
	s_delay_alu instid0(VALU_DEP_2) | instskip(NEXT) | instid1(VALU_DEP_3)
	v_lshl_add_u64 v[12:13], v[12:13], 3, v[0:1]
	v_dual_add_nc_u32 v18, s2, v10 :: v_dual_ashrrev_i32 v11, 31, v10
	s_delay_alu instid0(VALU_DEP_1) | instskip(SKIP_2) | instid1(VALU_DEP_4)
	v_add_nc_u32_e32 v28, s2, v18
	v_ashrrev_i32_e32 v35, 31, v34
	v_ashrrev_i32_e32 v7, 31, v6
	v_lshl_add_u64 v[10:11], v[10:11], 3, v[0:1]
	s_delay_alu instid0(VALU_DEP_4) | instskip(NEXT) | instid1(VALU_DEP_4)
	v_ashrrev_i32_e32 v29, 31, v28
	v_lshl_add_u64 v[16:17], v[34:35], 3, v[0:1]
	s_clause 0x3
	global_load_b64 v[92:93], v[16:17], off
	global_load_b64 v[88:89], v[20:21], off
	;; [unrolled: 1-line block ×4, first 2 shown]
	s_wait_xcnt 0x3
	v_add_nc_u32_e32 v16, s2, v28
	s_wait_xcnt 0x0
	v_lshl_add_u64 v[26:27], v[44:45], 3, v[0:1]
	v_lshl_add_u64 v[6:7], v[6:7], 3, v[0:1]
	s_delay_alu instid0(VALU_DEP_3) | instskip(SKIP_1) | instid1(VALU_DEP_2)
	v_dual_add_nc_u32 v24, s2, v16 :: v_dual_ashrrev_i32 v43, 31, v42
	v_dual_ashrrev_i32 v23, 31, v22 :: v_dual_ashrrev_i32 v17, 31, v16
	v_add_nc_u32_e32 v34, s2, v24
	s_delay_alu instid0(VALU_DEP_3)
	v_lshl_add_u64 v[20:21], v[42:43], 3, v[0:1]
	s_clause 0x3
	global_load_b64 v[84:85], v[20:21], off
	global_load_b64 v[80:81], v[26:27], off
	;; [unrolled: 1-line block ×4, first 2 shown]
	s_wait_xcnt 0x3
	v_add_nc_u32_e32 v20, s2, v34
	s_wait_xcnt 0x2
	v_lshl_add_u64 v[26:27], v[52:53], 3, v[0:1]
	s_wait_xcnt 0x0
	v_lshl_add_u64 v[32:33], v[54:55], 3, v[0:1]
	s_clause 0x3
	global_load_b64 v[76:77], v[26:27], off
	global_load_b64 v[72:73], v[32:33], off
	;; [unrolled: 1-line block ×4, first 2 shown]
	v_add_nc_u32_e32 v30, s2, v20
	v_ashrrev_i32_e32 v25, 31, v24
	v_lshl_add_u64 v[22:23], v[22:23], 3, v[0:1]
	s_clause 0x3
	global_load_b64 v[68:69], v[6:7], off
	global_load_b64 v[64:65], v[12:13], off
	global_load_b64 v[66:67], v[22:23], off
	global_load_b64 v[62:63], v[10:11], off
	v_add_nc_u32_e32 v36, s2, v30
	s_wait_xcnt 0x1
	v_lshl_add_u64 v[22:23], v[24:25], 3, v[0:1]
	v_lshl_add_u64 v[16:17], v[16:17], 3, v[0:1]
	v_ashrrev_i32_e32 v21, 31, v20
	v_dual_add_nc_u32 v8, s2, v36 :: v_dual_ashrrev_i32 v35, 31, v34
	v_ashrrev_i32_e32 v37, 31, v36
	s_delay_alu instid0(VALU_DEP_3) | instskip(NEXT) | instid1(VALU_DEP_3)
	v_lshl_add_u64 v[20:21], v[20:21], 3, v[0:1]
	v_dual_add_nc_u32 v14, s2, v8 :: v_dual_ashrrev_i32 v9, 31, v8
	s_delay_alu instid0(VALU_DEP_1) | instskip(NEXT) | instid1(VALU_DEP_2)
	v_add_nc_u32_e32 v26, s2, v14
	v_lshl_add_u64 v[8:9], v[8:9], 3, v[0:1]
	s_delay_alu instid0(VALU_DEP_2) | instskip(NEXT) | instid1(VALU_DEP_1)
	v_dual_add_nc_u32 v6, s2, v26 :: v_dual_ashrrev_i32 v27, 31, v26
	v_add_nc_u32_e32 v12, s2, v6
	s_delay_alu instid0(VALU_DEP_1) | instskip(SKIP_1) | instid1(VALU_DEP_2)
	v_dual_add_nc_u32 v24, s2, v12 :: v_dual_ashrrev_i32 v19, 31, v18
	v_dual_ashrrev_i32 v7, 31, v6 :: v_dual_ashrrev_i32 v13, 31, v12
	v_ashrrev_i32_e32 v25, 31, v24
	s_wait_xcnt 0x0
	s_delay_alu instid0(VALU_DEP_3)
	v_lshl_add_u64 v[10:11], v[18:19], 3, v[0:1]
	v_lshl_add_u64 v[18:19], v[28:29], 3, v[0:1]
	s_clause 0x3
	global_load_b64 v[60:61], v[10:11], off
	global_load_b64 v[56:57], v[18:19], off
	;; [unrolled: 1-line block ×4, first 2 shown]
	s_wait_xcnt 0x3
	v_add_nc_u32_e32 v10, s2, v24
	s_wait_xcnt 0x1
	v_lshl_add_u64 v[16:17], v[34:35], 3, v[0:1]
	v_lshl_add_u64 v[28:29], v[36:37], 3, v[0:1]
	;; [unrolled: 1-line block ×3, first 2 shown]
	v_add_nc_u32_e32 v18, s2, v10
	s_delay_alu instid0(VALU_DEP_1) | instskip(SKIP_1) | instid1(VALU_DEP_2)
	v_add_nc_u32_e32 v44, s2, v18
	v_ashrrev_i32_e32 v31, 31, v30
	v_dual_ashrrev_i32 v11, 31, v10 :: v_dual_ashrrev_i32 v45, 31, v44
	s_wait_xcnt 0x0
	s_delay_alu instid0(VALU_DEP_2)
	v_lshl_add_u64 v[22:23], v[30:31], 3, v[0:1]
	s_clause 0x3
	global_load_b64 v[52:53], v[16:17], off
	global_load_b64 v[48:49], v[20:21], off
	;; [unrolled: 1-line block ×4, first 2 shown]
	s_wait_xcnt 0x3
	v_add_nc_u32_e32 v16, s2, v44
	s_wait_xcnt 0x1
	v_lshl_add_u64 v[22:23], v[26:27], 3, v[0:1]
	v_lshl_add_u64 v[10:11], v[10:11], 3, v[0:1]
	s_delay_alu instid0(VALU_DEP_3) | instskip(SKIP_1) | instid1(VALU_DEP_2)
	v_dual_add_nc_u32 v20, s2, v16 :: v_dual_ashrrev_i32 v15, 31, v14
	v_ashrrev_i32_e32 v17, 31, v16
	v_add_nc_u32_e32 v26, s2, v20
	s_delay_alu instid0(VALU_DEP_3)
	v_lshl_add_u64 v[14:15], v[14:15], 3, v[0:1]
	s_clause 0x3
	global_load_b64 v[42:43], v[8:9], off
	global_load_b64 v[38:39], v[14:15], off
	;; [unrolled: 1-line block ×4, first 2 shown]
	s_wait_xcnt 0x0
	v_add_nc_u32_e32 v6, s2, v26
	v_lshl_add_u64 v[8:9], v[12:13], 3, v[0:1]
	v_lshl_add_u64 v[14:15], v[24:25], 3, v[0:1]
	s_delay_alu instid0(VALU_DEP_3) | instskip(NEXT) | instid1(VALU_DEP_1)
	v_dual_ashrrev_i32 v21, 31, v20 :: v_dual_add_nc_u32 v12, s2, v6
	v_dual_ashrrev_i32 v19, 31, v18 :: v_dual_add_nc_u32 v126, s2, v12
	s_delay_alu instid0(VALU_DEP_1)
	v_lshl_add_u64 v[18:19], v[18:19], 3, v[0:1]
	s_clause 0x3
	global_load_b64 v[34:35], v[8:9], off
	global_load_b64 v[30:31], v[14:15], off
	global_load_b64 v[32:33], v[10:11], off
	global_load_b64 v[28:29], v[18:19], off
	s_wait_xcnt 0x1
	v_lshl_add_u64 v[10:11], v[44:45], 3, v[0:1]
	v_add_nc_u32_e32 v8, s2, v126
	v_ashrrev_i32_e32 v27, 31, v26
	v_lshl_add_u64 v[14:15], v[16:17], 3, v[0:1]
	v_lshl_add_u64 v[16:17], v[20:21], 3, v[0:1]
	v_ashrrev_i32_e32 v13, 31, v12
	s_wait_xcnt 0x0
	v_add_nc_u32_e32 v18, s2, v8
	v_lshl_add_u64 v[20:21], v[26:27], 3, v[0:1]
	s_clause 0x3
	global_load_b64 v[26:27], v[10:11], off
	global_load_b64 v[22:23], v[14:15], off
	;; [unrolled: 1-line block ×3, first 2 shown]
	; meta instruction
	; meta instruction
	;; [unrolled: 1-line block ×3, first 2 shown]
	global_load_b64 v[44:45], v[20:21], off
	v_dual_ashrrev_i32 v127, 31, v126 :: v_dual_ashrrev_i32 v9, 31, v8
	v_add_nc_u32_e32 v132, s2, v18
	v_ashrrev_i32_e32 v7, 31, v6
	v_ashrrev_i32_e32 v19, 31, v18
	s_wait_xcnt 0x2
	v_lshl_add_u64 v[14:15], v[126:127], 3, v[0:1]
	v_lshl_add_u64 v[10:11], v[12:13], 3, v[0:1]
	s_wait_xcnt 0x0
	v_add_nc_u32_e32 v20, s2, v132
	v_lshl_add_u64 v[6:7], v[6:7], 3, v[0:1]
	v_ashrrev_i32_e32 v133, 31, v132
	v_lshl_add_u64 v[8:9], v[8:9], 3, v[0:1]
	s_clause 0x3
	global_load_b64 v[16:17], v[6:7], off
	global_load_b64 v[12:13], v[10:11], off
	;; [unrolled: 1-line block ×4, first 2 shown]
	v_dual_add_nc_u32 v134, s2, v20 :: v_dual_ashrrev_i32 v21, 31, v20
	v_lshl_add_u64 v[6:7], v[18:19], 3, v[0:1]
	s_wait_xcnt 0x0
	v_lshl_add_u64 v[8:9], v[132:133], 3, v[0:1]
	s_delay_alu instid0(VALU_DEP_3) | instskip(SKIP_1) | instid1(VALU_DEP_2)
	v_dual_add_nc_u32 v126, s2, v134 :: v_dual_ashrrev_i32 v135, 31, v134
	v_lshl_add_u64 v[18:19], v[20:21], 3, v[0:1]
	v_ashrrev_i32_e32 v127, 31, v126
	s_delay_alu instid0(VALU_DEP_3) | instskip(NEXT) | instid1(VALU_DEP_2)
	v_lshl_add_u64 v[132:133], v[134:135], 3, v[0:1]
	v_lshl_add_u64 v[126:127], v[126:127], 3, v[0:1]
	s_clause 0x4
	global_load_b64 v[6:7], v[6:7], off
	global_load_b64 v[20:21], v[8:9], off
	;; [unrolled: 1-line block ×5, first 2 shown]
	s_wait_xcnt 0x1
	v_mul_lo_u32 v132, s4, v130
	s_load_b64 s[4:5], s[0:1], 0x40
	s_delay_alu instid0(VALU_DEP_1) | instskip(SKIP_1) | instid1(VALU_DEP_2)
	v_lshl_add_u32 v135, v132, 3, 0
	v_lshlrev_b32_e32 v136, 3, v132
	v_add_nc_u32_e32 v128, v135, v128
	s_wait_loadcnt 0x36
	ds_store_b64 v128, v[124:125]
	s_wait_loadcnt_dscnt 0x0
	s_barrier_signal -1
	s_barrier_wait -1
	ds_load_b64 v[130:131], v135
	s_cbranch_scc1 .LBB120_6
; %bb.4:
	v_add3_u32 v128, v136, 0, 8
	v_mov_b32_e32 v129, 0
	s_wait_xcnt 0x0
	s_mov_b32 s0, 1
.LBB120_5:                              ; =>This Inner Loop Header: Depth=1
	ds_load_b64 v[132:133], v128
	s_wait_dscnt 0x1
	v_cmp_gt_f32_e32 vcc_lo, 0, v130
	v_cndmask_b32_e64 v138, v130, -v130, vcc_lo
	v_cmp_gt_f32_e32 vcc_lo, 0, v131
	v_cndmask_b32_e64 v140, v131, -v131, vcc_lo
	s_wait_dscnt 0x0
	v_cmp_gt_f32_e32 vcc_lo, 0, v132
	v_cndmask_b32_e64 v139, v132, -v132, vcc_lo
	v_cmp_gt_f32_e32 vcc_lo, 0, v133
	v_cndmask_b32_e64 v141, v133, -v133, vcc_lo
	s_delay_alu instid0(VALU_DEP_1) | instskip(NEXT) | instid1(VALU_DEP_1)
	v_pk_add_f32 v[138:139], v[138:139], v[140:141]
	v_cmp_lt_f32_e32 vcc_lo, v138, v139
	v_dual_cndmask_b32 v131, v131, v133 :: v_dual_add_nc_u32 v128, 8, v128
	v_cndmask_b32_e32 v130, v130, v132, vcc_lo
	v_cndmask_b32_e64 v129, v129, s0, vcc_lo
	s_add_co_i32 s0, s0, 1
	s_delay_alu instid0(SALU_CYCLE_1)
	s_cmp_eq_u32 s18, s0
	s_cbranch_scc0 .LBB120_5
.LBB120_6:
	s_wait_dscnt 0x0
	v_cmp_neq_f32_e32 vcc_lo, 0, v130
	s_wait_xcnt 0x0
	v_cmp_neq_f32_e64 s0, 0, v131
	v_dual_mov_b32 v134, 1 :: v_dual_mov_b32 v139, 1
	s_or_b32 s1, vcc_lo, s0
	s_delay_alu instid0(SALU_CYCLE_1)
	s_and_saveexec_b32 s0, s1
	s_cbranch_execz .LBB120_12
; %bb.7:
	v_cmp_ngt_f32_e64 s1, |v130|, |v131|
	s_and_saveexec_b32 s12, s1
	s_delay_alu instid0(SALU_CYCLE_1)
	s_xor_b32 s1, exec_lo, s12
	s_cbranch_execz .LBB120_9
; %bb.8:
	v_div_scale_f32 v128, null, v131, v131, v130
	v_div_scale_f32 v134, vcc_lo, v130, v131, v130
	s_delay_alu instid0(VALU_DEP_2) | instskip(SKIP_1) | instid1(TRANS32_DEP_1)
	v_rcp_f32_e32 v132, v128
	v_nop
	v_fma_f32 v133, -v128, v132, 1.0
	s_delay_alu instid0(VALU_DEP_1) | instskip(NEXT) | instid1(VALU_DEP_1)
	v_fmac_f32_e32 v132, v133, v132
	v_mul_f32_e32 v133, v134, v132
	s_delay_alu instid0(VALU_DEP_1) | instskip(NEXT) | instid1(VALU_DEP_1)
	v_fma_f32 v138, -v128, v133, v134
	v_fmac_f32_e32 v133, v138, v132
	s_delay_alu instid0(VALU_DEP_1) | instskip(NEXT) | instid1(VALU_DEP_1)
	v_fma_f32 v128, -v128, v133, v134
	v_div_fmas_f32 v128, v128, v132, v133
	s_delay_alu instid0(VALU_DEP_1) | instskip(NEXT) | instid1(VALU_DEP_1)
	v_div_fixup_f32 v128, v128, v131, v130
	v_fmac_f32_e32 v131, v130, v128
	s_delay_alu instid0(VALU_DEP_1) | instskip(SKIP_1) | instid1(VALU_DEP_2)
	v_div_scale_f32 v130, null, v131, v131, 1.0
	v_div_scale_f32 v134, vcc_lo, 1.0, v131, 1.0
	v_rcp_f32_e32 v132, v130
	v_nop
	s_delay_alu instid0(TRANS32_DEP_1) | instskip(NEXT) | instid1(VALU_DEP_1)
	v_fma_f32 v133, -v130, v132, 1.0
	v_fmac_f32_e32 v132, v133, v132
	s_delay_alu instid0(VALU_DEP_1) | instskip(NEXT) | instid1(VALU_DEP_1)
	v_mul_f32_e32 v133, v134, v132
	v_fma_f32 v138, -v130, v133, v134
	s_delay_alu instid0(VALU_DEP_1) | instskip(NEXT) | instid1(VALU_DEP_1)
	v_fmac_f32_e32 v133, v138, v132
	v_fma_f32 v130, -v130, v133, v134
	s_delay_alu instid0(VALU_DEP_1) | instskip(NEXT) | instid1(VALU_DEP_1)
	v_div_fmas_f32 v130, v130, v132, v133
	v_div_fixup_f32 v131, v130, v131, 1.0
	s_delay_alu instid0(VALU_DEP_1)
	v_mul_f32_e32 v130, v128, v131
	v_xor_b32_e32 v131, 0x80000000, v131
.LBB120_9:
	s_and_not1_saveexec_b32 s1, s1
	s_cbranch_execz .LBB120_11
; %bb.10:
	s_delay_alu instid0(VALU_DEP_1) | instskip(SKIP_1) | instid1(VALU_DEP_2)
	v_div_scale_f32 v128, null, v130, v130, v131
	v_div_scale_f32 v134, vcc_lo, v131, v130, v131
	v_rcp_f32_e32 v132, v128
	v_nop
	s_delay_alu instid0(TRANS32_DEP_1) | instskip(NEXT) | instid1(VALU_DEP_1)
	v_fma_f32 v133, -v128, v132, 1.0
	v_fmac_f32_e32 v132, v133, v132
	s_delay_alu instid0(VALU_DEP_1) | instskip(NEXT) | instid1(VALU_DEP_1)
	v_mul_f32_e32 v133, v134, v132
	v_fma_f32 v138, -v128, v133, v134
	s_delay_alu instid0(VALU_DEP_1) | instskip(NEXT) | instid1(VALU_DEP_1)
	v_fmac_f32_e32 v133, v138, v132
	v_fma_f32 v128, -v128, v133, v134
	s_delay_alu instid0(VALU_DEP_1) | instskip(NEXT) | instid1(VALU_DEP_1)
	v_div_fmas_f32 v128, v128, v132, v133
	v_div_fixup_f32 v128, v128, v130, v131
	s_delay_alu instid0(VALU_DEP_1) | instskip(NEXT) | instid1(VALU_DEP_1)
	v_fmac_f32_e32 v130, v131, v128
	v_div_scale_f32 v131, null, v130, v130, 1.0
	s_delay_alu instid0(VALU_DEP_1) | instskip(SKIP_1) | instid1(TRANS32_DEP_1)
	v_rcp_f32_e32 v132, v131
	v_nop
	v_fma_f32 v133, -v131, v132, 1.0
	s_delay_alu instid0(VALU_DEP_1) | instskip(SKIP_1) | instid1(VALU_DEP_1)
	v_fmac_f32_e32 v132, v133, v132
	v_div_scale_f32 v133, vcc_lo, 1.0, v130, 1.0
	v_mul_f32_e32 v134, v133, v132
	s_delay_alu instid0(VALU_DEP_1) | instskip(NEXT) | instid1(VALU_DEP_1)
	v_fma_f32 v138, -v131, v134, v133
	v_fmac_f32_e32 v134, v138, v132
	s_delay_alu instid0(VALU_DEP_1) | instskip(NEXT) | instid1(VALU_DEP_1)
	v_fma_f32 v131, -v131, v134, v133
	v_div_fmas_f32 v131, v131, v132, v134
	s_delay_alu instid0(VALU_DEP_1) | instskip(NEXT) | instid1(VALU_DEP_1)
	v_div_fixup_f32 v130, v131, v130, 1.0
	v_mul_f32_e64 v131, v128, -v130
.LBB120_11:
	s_or_b32 exec_lo, exec_lo, s1
	v_dual_mov_b32 v139, 0 :: v_dual_mov_b32 v134, 2
.LBB120_12:
	s_or_b32 exec_lo, exec_lo, s0
	s_delay_alu instid0(SALU_CYCLE_1)
	s_mov_b32 s0, exec_lo
	v_cmpx_ne_u32_e64 v137, v129
	s_xor_b32 s0, exec_lo, s0
	s_cbranch_execz .LBB120_18
; %bb.13:
	s_mov_b32 s1, exec_lo
	v_cmpx_eq_u32_e32 0, v137
	s_cbranch_execz .LBB120_17
; %bb.14:
	v_cmp_ne_u32_e32 vcc_lo, 0, v129
	s_xor_b32 s12, s16, -1
	s_delay_alu instid0(SALU_CYCLE_1) | instskip(NEXT) | instid1(SALU_CYCLE_1)
	s_and_b32 s13, s12, vcc_lo
	s_and_saveexec_b32 s12, s13
	s_cbranch_execz .LBB120_16
; %bb.15:
	v_dual_mov_b32 v132, v129 :: v_dual_ashrrev_i32 v133, 31, v129
	s_delay_alu instid0(VALU_DEP_1)
	v_lshl_add_u64 v[132:133], v[132:133], 2, v[4:5]
	s_clause 0x1
	global_load_b32 v128, v[132:133], off
	global_load_b32 v137, v[4:5], off
	s_wait_loadcnt 0x1
	global_store_b32 v[4:5], v128, off
	s_wait_loadcnt 0x0
	global_store_b32 v[132:133], v137, off
.LBB120_16:
	s_wait_xcnt 0x0
	s_or_b32 exec_lo, exec_lo, s12
	v_mov_b32_e32 v137, v129
.LBB120_17:
	s_or_b32 exec_lo, exec_lo, s1
.LBB120_18:
	s_or_saveexec_b32 s0, s0
	s_delay_alu instid0(VALU_DEP_1)
	v_mov_b32_e32 v138, v137
	s_xor_b32 exec_lo, exec_lo, s0
	s_cbranch_execz .LBB120_20
; %bb.19:
	v_mov_b32_e32 v138, 0
	ds_store_2addr_b64 v135, v[122:123], v[120:121] offset0:1 offset1:2
	ds_store_2addr_b64 v135, v[118:119], v[116:117] offset0:3 offset1:4
	;; [unrolled: 1-line block ×30, first 2 shown]
.LBB120_20:
	s_or_b32 exec_lo, exec_lo, s0
	s_delay_alu instid0(SALU_CYCLE_1)
	s_mov_b32 s0, exec_lo
	s_wait_storecnt_dscnt 0x0
	s_barrier_signal -1
	s_barrier_wait -1
	v_cmpx_lt_i32_e32 0, v138
	s_cbranch_execz .LBB120_22
; %bb.21:
	ds_load_2addr_b64 v[140:143], v135 offset0:1 offset1:2
	v_pk_mul_f32 v[132:133], v[130:131], v[124:125] op_sel:[1,1] op_sel_hi:[0,1]
	s_delay_alu instid0(VALU_DEP_1) | instskip(SKIP_1) | instid1(VALU_DEP_1)
	v_pk_fma_f32 v[128:129], v[130:131], v[124:125], v[132:133] op_sel_hi:[1,0,1] neg_lo:[0,0,1] neg_hi:[0,0,1]
	v_pk_fma_f32 v[130:131], v[130:131], v[124:125], v[132:133] op_sel_hi:[1,0,1]
	v_dual_mov_b32 v124, v128 :: v_dual_mov_b32 v125, v131
	s_wait_dscnt 0x0
	s_delay_alu instid0(VALU_DEP_2) | instskip(NEXT) | instid1(VALU_DEP_1)
	v_pk_mul_f32 v[132:133], v[140:141], v[130:131] op_sel:[0,1]
	v_pk_fma_f32 v[144:145], v[140:141], v[128:129], v[132:133] op_sel:[0,0,1] op_sel_hi:[1,1,0] neg_lo:[0,0,1] neg_hi:[0,0,1]
	v_pk_fma_f32 v[132:133], v[140:141], v[128:129], v[132:133] op_sel:[0,0,1] op_sel_hi:[1,0,0]
	s_delay_alu instid0(VALU_DEP_1) | instskip(SKIP_1) | instid1(VALU_DEP_1)
	v_mov_b32_e32 v145, v133
	v_pk_mul_f32 v[132:133], v[142:143], v[130:131] op_sel:[0,1]
	v_pk_fma_f32 v[140:141], v[142:143], v[128:129], v[132:133] op_sel:[0,0,1] op_sel_hi:[1,1,0] neg_lo:[0,0,1] neg_hi:[0,0,1]
	v_pk_fma_f32 v[132:133], v[142:143], v[128:129], v[132:133] op_sel:[0,0,1] op_sel_hi:[1,0,0]
	s_delay_alu instid0(VALU_DEP_1) | instskip(SKIP_1) | instid1(VALU_DEP_2)
	v_mov_b32_e32 v141, v133
	v_pk_add_f32 v[122:123], v[122:123], v[144:145] neg_lo:[0,1] neg_hi:[0,1]
	v_pk_add_f32 v[120:121], v[120:121], v[140:141] neg_lo:[0,1] neg_hi:[0,1]
	ds_load_2addr_b64 v[140:143], v135 offset0:3 offset1:4
	s_wait_dscnt 0x0
	v_pk_mul_f32 v[132:133], v[140:141], v[130:131] op_sel:[0,1]
	s_delay_alu instid0(VALU_DEP_1) | instskip(SKIP_2) | instid1(VALU_DEP_2)
	v_pk_fma_f32 v[144:145], v[140:141], v[128:129], v[132:133] op_sel:[0,0,1] op_sel_hi:[1,1,0] neg_lo:[0,0,1] neg_hi:[0,0,1]
	v_pk_fma_f32 v[132:133], v[140:141], v[128:129], v[132:133] op_sel:[0,0,1] op_sel_hi:[1,0,0]
	v_dual_mul_f32 v140, v143, v131 :: v_dual_mov_b32 v132, v143
	v_dual_mov_b32 v145, v133 :: v_dual_mov_b32 v133, v142
	s_delay_alu instid0(VALU_DEP_2) | instskip(SKIP_1) | instid1(VALU_DEP_3)
	v_pk_fma_f32 v[140:141], v[142:143], v[124:125], v[140:141] op_sel_hi:[1,1,0] neg_lo:[0,0,1] neg_hi:[0,0,1]
	v_mul_f32_e32 v142, v143, v128
	v_pk_add_f32 v[118:119], v[118:119], v[144:145] neg_lo:[0,1] neg_hi:[0,1]
	s_delay_alu instid0(VALU_DEP_2) | instskip(NEXT) | instid1(VALU_DEP_1)
	v_pk_fma_f32 v[132:133], v[132:133], v[124:125], v[142:143] op_sel_hi:[1,1,0]
	v_mov_b32_e32 v141, v133
	s_delay_alu instid0(VALU_DEP_1) | instskip(SKIP_3) | instid1(VALU_DEP_1)
	v_pk_add_f32 v[116:117], v[116:117], v[140:141] neg_lo:[0,1] neg_hi:[0,1]
	ds_load_2addr_b64 v[140:143], v135 offset0:5 offset1:6
	s_wait_dscnt 0x0
	v_pk_mul_f32 v[132:133], v[140:141], v[130:131] op_sel:[0,1]
	v_pk_fma_f32 v[144:145], v[140:141], v[128:129], v[132:133] op_sel:[0,0,1] op_sel_hi:[1,1,0] neg_lo:[0,0,1] neg_hi:[0,0,1]
	v_pk_fma_f32 v[132:133], v[140:141], v[128:129], v[132:133] op_sel:[0,0,1] op_sel_hi:[1,0,0]
	s_delay_alu instid0(VALU_DEP_1) | instskip(SKIP_1) | instid1(VALU_DEP_1)
	v_mov_b32_e32 v145, v133
	v_pk_mul_f32 v[132:133], v[142:143], v[130:131] op_sel:[0,1]
	v_pk_fma_f32 v[140:141], v[142:143], v[128:129], v[132:133] op_sel:[0,0,1] op_sel_hi:[1,1,0] neg_lo:[0,0,1] neg_hi:[0,0,1]
	v_pk_fma_f32 v[132:133], v[142:143], v[128:129], v[132:133] op_sel:[0,0,1] op_sel_hi:[1,0,0]
	s_delay_alu instid0(VALU_DEP_1) | instskip(SKIP_1) | instid1(VALU_DEP_2)
	v_mov_b32_e32 v141, v133
	v_pk_add_f32 v[112:113], v[112:113], v[144:145] neg_lo:[0,1] neg_hi:[0,1]
	v_pk_add_f32 v[114:115], v[114:115], v[140:141] neg_lo:[0,1] neg_hi:[0,1]
	ds_load_2addr_b64 v[140:143], v135 offset0:7 offset1:8
	s_wait_dscnt 0x0
	v_pk_mul_f32 v[132:133], v[140:141], v[130:131] op_sel:[0,1]
	s_delay_alu instid0(VALU_DEP_1) | instskip(SKIP_1) | instid1(VALU_DEP_1)
	v_pk_fma_f32 v[144:145], v[140:141], v[128:129], v[132:133] op_sel:[0,0,1] op_sel_hi:[1,1,0] neg_lo:[0,0,1] neg_hi:[0,0,1]
	v_pk_fma_f32 v[132:133], v[140:141], v[128:129], v[132:133] op_sel:[0,0,1] op_sel_hi:[1,0,0]
	v_mov_b32_e32 v145, v133
	v_pk_mul_f32 v[132:133], v[142:143], v[130:131] op_sel:[0,1]
	s_delay_alu instid0(VALU_DEP_1) | instskip(SKIP_1) | instid1(VALU_DEP_1)
	v_pk_fma_f32 v[140:141], v[142:143], v[128:129], v[132:133] op_sel:[0,0,1] op_sel_hi:[1,1,0] neg_lo:[0,0,1] neg_hi:[0,0,1]
	v_pk_fma_f32 v[132:133], v[142:143], v[128:129], v[132:133] op_sel:[0,0,1] op_sel_hi:[1,0,0]
	v_mov_b32_e32 v141, v133
	v_pk_add_f32 v[110:111], v[110:111], v[144:145] neg_lo:[0,1] neg_hi:[0,1]
	s_delay_alu instid0(VALU_DEP_2) | instskip(SKIP_3) | instid1(VALU_DEP_1)
	v_pk_add_f32 v[108:109], v[108:109], v[140:141] neg_lo:[0,1] neg_hi:[0,1]
	ds_load_2addr_b64 v[140:143], v135 offset0:9 offset1:10
	s_wait_dscnt 0x0
	v_dual_mul_f32 v132, v141, v131 :: v_dual_mul_f32 v144, v141, v128
	v_pk_fma_f32 v[132:133], v[140:141], v[124:125], v[132:133] op_sel_hi:[1,1,0] neg_lo:[0,0,1] neg_hi:[0,0,1]
	s_delay_alu instid0(VALU_DEP_2) | instskip(NEXT) | instid1(VALU_DEP_1)
	v_pk_fma_f32 v[140:141], v[140:141], v[124:125], v[144:145] op_sel:[1,0,0] op_sel_hi:[0,1,0]
	v_mov_b32_e32 v133, v141
	s_delay_alu instid0(VALU_DEP_1) | instskip(SKIP_1) | instid1(VALU_DEP_1)
	v_pk_add_f32 v[104:105], v[104:105], v[132:133] neg_lo:[0,1] neg_hi:[0,1]
	v_pk_mul_f32 v[132:133], v[142:143], v[130:131] op_sel:[0,1]
	v_pk_fma_f32 v[140:141], v[142:143], v[128:129], v[132:133] op_sel:[0,0,1] op_sel_hi:[1,1,0] neg_lo:[0,0,1] neg_hi:[0,0,1]
	v_pk_fma_f32 v[132:133], v[142:143], v[128:129], v[132:133] op_sel:[0,0,1] op_sel_hi:[1,0,0]
	s_delay_alu instid0(VALU_DEP_1) | instskip(NEXT) | instid1(VALU_DEP_1)
	v_mov_b32_e32 v141, v133
	v_pk_add_f32 v[106:107], v[106:107], v[140:141] neg_lo:[0,1] neg_hi:[0,1]
	ds_load_2addr_b64 v[140:143], v135 offset0:11 offset1:12
	s_wait_dscnt 0x0
	v_pk_mul_f32 v[132:133], v[140:141], v[130:131] op_sel:[0,1]
	s_delay_alu instid0(VALU_DEP_1) | instskip(SKIP_1) | instid1(VALU_DEP_1)
	v_pk_fma_f32 v[144:145], v[140:141], v[128:129], v[132:133] op_sel:[0,0,1] op_sel_hi:[1,1,0] neg_lo:[0,0,1] neg_hi:[0,0,1]
	v_pk_fma_f32 v[132:133], v[140:141], v[128:129], v[132:133] op_sel:[0,0,1] op_sel_hi:[1,0,0]
	v_mov_b32_e32 v145, v133
	v_pk_mul_f32 v[132:133], v[142:143], v[130:131] op_sel:[0,1]
	s_delay_alu instid0(VALU_DEP_2) | instskip(NEXT) | instid1(VALU_DEP_2)
	v_pk_add_f32 v[102:103], v[102:103], v[144:145] neg_lo:[0,1] neg_hi:[0,1]
	v_pk_fma_f32 v[140:141], v[142:143], v[128:129], v[132:133] op_sel:[0,0,1] op_sel_hi:[1,1,0] neg_lo:[0,0,1] neg_hi:[0,0,1]
	v_pk_fma_f32 v[132:133], v[142:143], v[128:129], v[132:133] op_sel:[0,0,1] op_sel_hi:[1,0,0]
	s_delay_alu instid0(VALU_DEP_1) | instskip(NEXT) | instid1(VALU_DEP_1)
	v_mov_b32_e32 v141, v133
	v_pk_add_f32 v[100:101], v[100:101], v[140:141] neg_lo:[0,1] neg_hi:[0,1]
	ds_load_2addr_b64 v[140:143], v135 offset0:13 offset1:14
	s_wait_dscnt 0x0
	v_pk_mul_f32 v[132:133], v[140:141], v[130:131] op_sel:[0,1]
	s_delay_alu instid0(VALU_DEP_1) | instskip(SKIP_2) | instid1(VALU_DEP_2)
	v_pk_fma_f32 v[144:145], v[140:141], v[128:129], v[132:133] op_sel:[0,0,1] op_sel_hi:[1,1,0] neg_lo:[0,0,1] neg_hi:[0,0,1]
	v_pk_fma_f32 v[132:133], v[140:141], v[128:129], v[132:133] op_sel:[0,0,1] op_sel_hi:[1,0,0]
	v_dual_mul_f32 v140, v143, v131 :: v_dual_mov_b32 v132, v143
	v_dual_mov_b32 v145, v133 :: v_dual_mov_b32 v133, v142
	s_delay_alu instid0(VALU_DEP_2) | instskip(SKIP_1) | instid1(VALU_DEP_3)
	v_pk_fma_f32 v[140:141], v[142:143], v[124:125], v[140:141] op_sel_hi:[1,1,0] neg_lo:[0,0,1] neg_hi:[0,0,1]
	v_mul_f32_e32 v142, v143, v128
	v_pk_add_f32 v[96:97], v[96:97], v[144:145] neg_lo:[0,1] neg_hi:[0,1]
	s_delay_alu instid0(VALU_DEP_2) | instskip(NEXT) | instid1(VALU_DEP_1)
	v_pk_fma_f32 v[132:133], v[132:133], v[124:125], v[142:143] op_sel_hi:[1,1,0]
	v_mov_b32_e32 v141, v133
	s_delay_alu instid0(VALU_DEP_1) | instskip(SKIP_3) | instid1(VALU_DEP_1)
	v_pk_add_f32 v[98:99], v[98:99], v[140:141] neg_lo:[0,1] neg_hi:[0,1]
	ds_load_2addr_b64 v[140:143], v135 offset0:15 offset1:16
	s_wait_dscnt 0x0
	v_pk_mul_f32 v[132:133], v[140:141], v[130:131] op_sel:[0,1]
	v_pk_fma_f32 v[144:145], v[140:141], v[128:129], v[132:133] op_sel:[0,0,1] op_sel_hi:[1,1,0] neg_lo:[0,0,1] neg_hi:[0,0,1]
	v_pk_fma_f32 v[132:133], v[140:141], v[128:129], v[132:133] op_sel:[0,0,1] op_sel_hi:[1,0,0]
	s_delay_alu instid0(VALU_DEP_1) | instskip(SKIP_1) | instid1(VALU_DEP_1)
	v_mov_b32_e32 v145, v133
	v_pk_mul_f32 v[132:133], v[142:143], v[130:131] op_sel:[0,1]
	v_pk_fma_f32 v[140:141], v[142:143], v[128:129], v[132:133] op_sel:[0,0,1] op_sel_hi:[1,1,0] neg_lo:[0,0,1] neg_hi:[0,0,1]
	v_pk_fma_f32 v[132:133], v[142:143], v[128:129], v[132:133] op_sel:[0,0,1] op_sel_hi:[1,0,0]
	s_delay_alu instid0(VALU_DEP_1) | instskip(SKIP_1) | instid1(VALU_DEP_2)
	v_mov_b32_e32 v141, v133
	v_pk_add_f32 v[94:95], v[94:95], v[144:145] neg_lo:[0,1] neg_hi:[0,1]
	v_pk_add_f32 v[92:93], v[92:93], v[140:141] neg_lo:[0,1] neg_hi:[0,1]
	ds_load_2addr_b64 v[140:143], v135 offset0:17 offset1:18
	s_wait_dscnt 0x0
	v_pk_mul_f32 v[132:133], v[140:141], v[130:131] op_sel:[0,1]
	s_delay_alu instid0(VALU_DEP_1) | instskip(SKIP_1) | instid1(VALU_DEP_1)
	v_pk_fma_f32 v[144:145], v[140:141], v[128:129], v[132:133] op_sel:[0,0,1] op_sel_hi:[1,1,0] neg_lo:[0,0,1] neg_hi:[0,0,1]
	v_pk_fma_f32 v[132:133], v[140:141], v[128:129], v[132:133] op_sel:[0,0,1] op_sel_hi:[1,0,0]
	v_mov_b32_e32 v145, v133
	v_pk_mul_f32 v[132:133], v[142:143], v[130:131] op_sel:[0,1]
	s_delay_alu instid0(VALU_DEP_1) | instskip(SKIP_1) | instid1(VALU_DEP_1)
	v_pk_fma_f32 v[140:141], v[142:143], v[128:129], v[132:133] op_sel:[0,0,1] op_sel_hi:[1,1,0] neg_lo:[0,0,1] neg_hi:[0,0,1]
	v_pk_fma_f32 v[132:133], v[142:143], v[128:129], v[132:133] op_sel:[0,0,1] op_sel_hi:[1,0,0]
	v_mov_b32_e32 v141, v133
	v_pk_add_f32 v[88:89], v[88:89], v[144:145] neg_lo:[0,1] neg_hi:[0,1]
	s_delay_alu instid0(VALU_DEP_2) | instskip(SKIP_3) | instid1(VALU_DEP_1)
	v_pk_add_f32 v[90:91], v[90:91], v[140:141] neg_lo:[0,1] neg_hi:[0,1]
	ds_load_2addr_b64 v[140:143], v135 offset0:19 offset1:20
	s_wait_dscnt 0x0
	v_dual_mul_f32 v132, v141, v131 :: v_dual_mul_f32 v144, v141, v128
	v_pk_fma_f32 v[132:133], v[140:141], v[124:125], v[132:133] op_sel_hi:[1,1,0] neg_lo:[0,0,1] neg_hi:[0,0,1]
	s_delay_alu instid0(VALU_DEP_2) | instskip(NEXT) | instid1(VALU_DEP_1)
	v_pk_fma_f32 v[140:141], v[140:141], v[124:125], v[144:145] op_sel:[1,0,0] op_sel_hi:[0,1,0]
	v_mov_b32_e32 v133, v141
	s_delay_alu instid0(VALU_DEP_1) | instskip(SKIP_1) | instid1(VALU_DEP_1)
	v_pk_add_f32 v[86:87], v[86:87], v[132:133] neg_lo:[0,1] neg_hi:[0,1]
	v_pk_mul_f32 v[132:133], v[142:143], v[130:131] op_sel:[0,1]
	v_pk_fma_f32 v[140:141], v[142:143], v[128:129], v[132:133] op_sel:[0,0,1] op_sel_hi:[1,1,0] neg_lo:[0,0,1] neg_hi:[0,0,1]
	v_pk_fma_f32 v[132:133], v[142:143], v[128:129], v[132:133] op_sel:[0,0,1] op_sel_hi:[1,0,0]
	s_delay_alu instid0(VALU_DEP_1) | instskip(NEXT) | instid1(VALU_DEP_1)
	v_mov_b32_e32 v141, v133
	v_pk_add_f32 v[84:85], v[84:85], v[140:141] neg_lo:[0,1] neg_hi:[0,1]
	ds_load_2addr_b64 v[140:143], v135 offset0:21 offset1:22
	s_wait_dscnt 0x0
	v_pk_mul_f32 v[132:133], v[140:141], v[130:131] op_sel:[0,1]
	s_delay_alu instid0(VALU_DEP_1) | instskip(SKIP_1) | instid1(VALU_DEP_1)
	v_pk_fma_f32 v[144:145], v[140:141], v[128:129], v[132:133] op_sel:[0,0,1] op_sel_hi:[1,1,0] neg_lo:[0,0,1] neg_hi:[0,0,1]
	v_pk_fma_f32 v[132:133], v[140:141], v[128:129], v[132:133] op_sel:[0,0,1] op_sel_hi:[1,0,0]
	v_mov_b32_e32 v145, v133
	v_pk_mul_f32 v[132:133], v[142:143], v[130:131] op_sel:[0,1]
	s_delay_alu instid0(VALU_DEP_2) | instskip(NEXT) | instid1(VALU_DEP_2)
	v_pk_add_f32 v[80:81], v[80:81], v[144:145] neg_lo:[0,1] neg_hi:[0,1]
	v_pk_fma_f32 v[140:141], v[142:143], v[128:129], v[132:133] op_sel:[0,0,1] op_sel_hi:[1,1,0] neg_lo:[0,0,1] neg_hi:[0,0,1]
	v_pk_fma_f32 v[132:133], v[142:143], v[128:129], v[132:133] op_sel:[0,0,1] op_sel_hi:[1,0,0]
	s_delay_alu instid0(VALU_DEP_1) | instskip(NEXT) | instid1(VALU_DEP_1)
	v_mov_b32_e32 v141, v133
	v_pk_add_f32 v[82:83], v[82:83], v[140:141] neg_lo:[0,1] neg_hi:[0,1]
	ds_load_2addr_b64 v[140:143], v135 offset0:23 offset1:24
	s_wait_dscnt 0x0
	v_pk_mul_f32 v[132:133], v[140:141], v[130:131] op_sel:[0,1]
	s_delay_alu instid0(VALU_DEP_1) | instskip(SKIP_2) | instid1(VALU_DEP_2)
	v_pk_fma_f32 v[144:145], v[140:141], v[128:129], v[132:133] op_sel:[0,0,1] op_sel_hi:[1,1,0] neg_lo:[0,0,1] neg_hi:[0,0,1]
	v_pk_fma_f32 v[132:133], v[140:141], v[128:129], v[132:133] op_sel:[0,0,1] op_sel_hi:[1,0,0]
	v_dual_mul_f32 v140, v143, v131 :: v_dual_mov_b32 v132, v143
	v_dual_mov_b32 v145, v133 :: v_dual_mov_b32 v133, v142
	s_delay_alu instid0(VALU_DEP_2) | instskip(SKIP_1) | instid1(VALU_DEP_3)
	v_pk_fma_f32 v[140:141], v[142:143], v[124:125], v[140:141] op_sel_hi:[1,1,0] neg_lo:[0,0,1] neg_hi:[0,0,1]
	v_mul_f32_e32 v142, v143, v128
	v_pk_add_f32 v[78:79], v[78:79], v[144:145] neg_lo:[0,1] neg_hi:[0,1]
	s_delay_alu instid0(VALU_DEP_2) | instskip(NEXT) | instid1(VALU_DEP_1)
	v_pk_fma_f32 v[132:133], v[132:133], v[124:125], v[142:143] op_sel_hi:[1,1,0]
	v_mov_b32_e32 v141, v133
	s_delay_alu instid0(VALU_DEP_1) | instskip(SKIP_3) | instid1(VALU_DEP_1)
	v_pk_add_f32 v[76:77], v[76:77], v[140:141] neg_lo:[0,1] neg_hi:[0,1]
	ds_load_2addr_b64 v[140:143], v135 offset0:25 offset1:26
	s_wait_dscnt 0x0
	v_pk_mul_f32 v[132:133], v[140:141], v[130:131] op_sel:[0,1]
	v_pk_fma_f32 v[144:145], v[140:141], v[128:129], v[132:133] op_sel:[0,0,1] op_sel_hi:[1,1,0] neg_lo:[0,0,1] neg_hi:[0,0,1]
	v_pk_fma_f32 v[132:133], v[140:141], v[128:129], v[132:133] op_sel:[0,0,1] op_sel_hi:[1,0,0]
	s_delay_alu instid0(VALU_DEP_1) | instskip(SKIP_1) | instid1(VALU_DEP_1)
	v_mov_b32_e32 v145, v133
	v_pk_mul_f32 v[132:133], v[142:143], v[130:131] op_sel:[0,1]
	v_pk_fma_f32 v[140:141], v[142:143], v[128:129], v[132:133] op_sel:[0,0,1] op_sel_hi:[1,1,0] neg_lo:[0,0,1] neg_hi:[0,0,1]
	v_pk_fma_f32 v[132:133], v[142:143], v[128:129], v[132:133] op_sel:[0,0,1] op_sel_hi:[1,0,0]
	s_delay_alu instid0(VALU_DEP_1) | instskip(SKIP_1) | instid1(VALU_DEP_2)
	v_mov_b32_e32 v141, v133
	v_pk_add_f32 v[72:73], v[72:73], v[144:145] neg_lo:[0,1] neg_hi:[0,1]
	v_pk_add_f32 v[74:75], v[74:75], v[140:141] neg_lo:[0,1] neg_hi:[0,1]
	ds_load_2addr_b64 v[140:143], v135 offset0:27 offset1:28
	s_wait_dscnt 0x0
	v_pk_mul_f32 v[132:133], v[140:141], v[130:131] op_sel:[0,1]
	s_delay_alu instid0(VALU_DEP_1) | instskip(SKIP_1) | instid1(VALU_DEP_1)
	v_pk_fma_f32 v[144:145], v[140:141], v[128:129], v[132:133] op_sel:[0,0,1] op_sel_hi:[1,1,0] neg_lo:[0,0,1] neg_hi:[0,0,1]
	v_pk_fma_f32 v[132:133], v[140:141], v[128:129], v[132:133] op_sel:[0,0,1] op_sel_hi:[1,0,0]
	v_mov_b32_e32 v145, v133
	v_pk_mul_f32 v[132:133], v[142:143], v[130:131] op_sel:[0,1]
	s_delay_alu instid0(VALU_DEP_1) | instskip(SKIP_1) | instid1(VALU_DEP_1)
	v_pk_fma_f32 v[140:141], v[142:143], v[128:129], v[132:133] op_sel:[0,0,1] op_sel_hi:[1,1,0] neg_lo:[0,0,1] neg_hi:[0,0,1]
	v_pk_fma_f32 v[132:133], v[142:143], v[128:129], v[132:133] op_sel:[0,0,1] op_sel_hi:[1,0,0]
	v_mov_b32_e32 v141, v133
	v_pk_add_f32 v[70:71], v[70:71], v[144:145] neg_lo:[0,1] neg_hi:[0,1]
	s_delay_alu instid0(VALU_DEP_2) | instskip(SKIP_3) | instid1(VALU_DEP_1)
	v_pk_add_f32 v[68:69], v[68:69], v[140:141] neg_lo:[0,1] neg_hi:[0,1]
	ds_load_2addr_b64 v[140:143], v135 offset0:29 offset1:30
	s_wait_dscnt 0x0
	v_dual_mul_f32 v132, v141, v131 :: v_dual_mul_f32 v144, v141, v128
	v_pk_fma_f32 v[132:133], v[140:141], v[124:125], v[132:133] op_sel_hi:[1,1,0] neg_lo:[0,0,1] neg_hi:[0,0,1]
	s_delay_alu instid0(VALU_DEP_2) | instskip(NEXT) | instid1(VALU_DEP_1)
	v_pk_fma_f32 v[140:141], v[140:141], v[124:125], v[144:145] op_sel:[1,0,0] op_sel_hi:[0,1,0]
	v_mov_b32_e32 v133, v141
	s_delay_alu instid0(VALU_DEP_1) | instskip(SKIP_1) | instid1(VALU_DEP_1)
	v_pk_add_f32 v[64:65], v[64:65], v[132:133] neg_lo:[0,1] neg_hi:[0,1]
	v_pk_mul_f32 v[132:133], v[142:143], v[130:131] op_sel:[0,1]
	v_pk_fma_f32 v[140:141], v[142:143], v[128:129], v[132:133] op_sel:[0,0,1] op_sel_hi:[1,1,0] neg_lo:[0,0,1] neg_hi:[0,0,1]
	v_pk_fma_f32 v[132:133], v[142:143], v[128:129], v[132:133] op_sel:[0,0,1] op_sel_hi:[1,0,0]
	s_delay_alu instid0(VALU_DEP_1) | instskip(NEXT) | instid1(VALU_DEP_1)
	v_mov_b32_e32 v141, v133
	v_pk_add_f32 v[66:67], v[66:67], v[140:141] neg_lo:[0,1] neg_hi:[0,1]
	ds_load_2addr_b64 v[140:143], v135 offset0:31 offset1:32
	s_wait_dscnt 0x0
	v_pk_mul_f32 v[132:133], v[140:141], v[130:131] op_sel:[0,1]
	s_delay_alu instid0(VALU_DEP_1) | instskip(SKIP_1) | instid1(VALU_DEP_1)
	v_pk_fma_f32 v[144:145], v[140:141], v[128:129], v[132:133] op_sel:[0,0,1] op_sel_hi:[1,1,0] neg_lo:[0,0,1] neg_hi:[0,0,1]
	v_pk_fma_f32 v[132:133], v[140:141], v[128:129], v[132:133] op_sel:[0,0,1] op_sel_hi:[1,0,0]
	v_mov_b32_e32 v145, v133
	v_pk_mul_f32 v[132:133], v[142:143], v[130:131] op_sel:[0,1]
	s_delay_alu instid0(VALU_DEP_2) | instskip(NEXT) | instid1(VALU_DEP_2)
	v_pk_add_f32 v[62:63], v[62:63], v[144:145] neg_lo:[0,1] neg_hi:[0,1]
	v_pk_fma_f32 v[140:141], v[142:143], v[128:129], v[132:133] op_sel:[0,0,1] op_sel_hi:[1,1,0] neg_lo:[0,0,1] neg_hi:[0,0,1]
	v_pk_fma_f32 v[132:133], v[142:143], v[128:129], v[132:133] op_sel:[0,0,1] op_sel_hi:[1,0,0]
	s_delay_alu instid0(VALU_DEP_1) | instskip(NEXT) | instid1(VALU_DEP_1)
	v_mov_b32_e32 v141, v133
	v_pk_add_f32 v[60:61], v[60:61], v[140:141] neg_lo:[0,1] neg_hi:[0,1]
	ds_load_2addr_b64 v[140:143], v135 offset0:33 offset1:34
	s_wait_dscnt 0x0
	v_pk_mul_f32 v[132:133], v[140:141], v[130:131] op_sel:[0,1]
	s_delay_alu instid0(VALU_DEP_1) | instskip(SKIP_2) | instid1(VALU_DEP_2)
	v_pk_fma_f32 v[144:145], v[140:141], v[128:129], v[132:133] op_sel:[0,0,1] op_sel_hi:[1,1,0] neg_lo:[0,0,1] neg_hi:[0,0,1]
	v_pk_fma_f32 v[132:133], v[140:141], v[128:129], v[132:133] op_sel:[0,0,1] op_sel_hi:[1,0,0]
	v_dual_mul_f32 v140, v143, v131 :: v_dual_mov_b32 v132, v143
	v_dual_mov_b32 v145, v133 :: v_dual_mov_b32 v133, v142
	s_delay_alu instid0(VALU_DEP_2) | instskip(SKIP_1) | instid1(VALU_DEP_3)
	v_pk_fma_f32 v[140:141], v[142:143], v[124:125], v[140:141] op_sel_hi:[1,1,0] neg_lo:[0,0,1] neg_hi:[0,0,1]
	v_mul_f32_e32 v142, v143, v128
	v_pk_add_f32 v[56:57], v[56:57], v[144:145] neg_lo:[0,1] neg_hi:[0,1]
	s_delay_alu instid0(VALU_DEP_2) | instskip(NEXT) | instid1(VALU_DEP_1)
	v_pk_fma_f32 v[132:133], v[132:133], v[124:125], v[142:143] op_sel_hi:[1,1,0]
	v_mov_b32_e32 v141, v133
	s_delay_alu instid0(VALU_DEP_1) | instskip(SKIP_3) | instid1(VALU_DEP_1)
	v_pk_add_f32 v[58:59], v[58:59], v[140:141] neg_lo:[0,1] neg_hi:[0,1]
	ds_load_2addr_b64 v[140:143], v135 offset0:35 offset1:36
	s_wait_dscnt 0x0
	v_pk_mul_f32 v[132:133], v[140:141], v[130:131] op_sel:[0,1]
	v_pk_fma_f32 v[144:145], v[140:141], v[128:129], v[132:133] op_sel:[0,0,1] op_sel_hi:[1,1,0] neg_lo:[0,0,1] neg_hi:[0,0,1]
	v_pk_fma_f32 v[132:133], v[140:141], v[128:129], v[132:133] op_sel:[0,0,1] op_sel_hi:[1,0,0]
	s_delay_alu instid0(VALU_DEP_1) | instskip(SKIP_1) | instid1(VALU_DEP_1)
	v_mov_b32_e32 v145, v133
	v_pk_mul_f32 v[132:133], v[142:143], v[130:131] op_sel:[0,1]
	v_pk_fma_f32 v[140:141], v[142:143], v[128:129], v[132:133] op_sel:[0,0,1] op_sel_hi:[1,1,0] neg_lo:[0,0,1] neg_hi:[0,0,1]
	v_pk_fma_f32 v[132:133], v[142:143], v[128:129], v[132:133] op_sel:[0,0,1] op_sel_hi:[1,0,0]
	s_delay_alu instid0(VALU_DEP_1) | instskip(SKIP_1) | instid1(VALU_DEP_2)
	v_mov_b32_e32 v141, v133
	v_pk_add_f32 v[54:55], v[54:55], v[144:145] neg_lo:[0,1] neg_hi:[0,1]
	v_pk_add_f32 v[52:53], v[52:53], v[140:141] neg_lo:[0,1] neg_hi:[0,1]
	ds_load_2addr_b64 v[140:143], v135 offset0:37 offset1:38
	s_wait_dscnt 0x0
	v_pk_mul_f32 v[132:133], v[140:141], v[130:131] op_sel:[0,1]
	s_delay_alu instid0(VALU_DEP_1) | instskip(SKIP_1) | instid1(VALU_DEP_1)
	v_pk_fma_f32 v[144:145], v[140:141], v[128:129], v[132:133] op_sel:[0,0,1] op_sel_hi:[1,1,0] neg_lo:[0,0,1] neg_hi:[0,0,1]
	v_pk_fma_f32 v[132:133], v[140:141], v[128:129], v[132:133] op_sel:[0,0,1] op_sel_hi:[1,0,0]
	v_mov_b32_e32 v145, v133
	v_pk_mul_f32 v[132:133], v[142:143], v[130:131] op_sel:[0,1]
	s_delay_alu instid0(VALU_DEP_1) | instskip(SKIP_1) | instid1(VALU_DEP_1)
	v_pk_fma_f32 v[140:141], v[142:143], v[128:129], v[132:133] op_sel:[0,0,1] op_sel_hi:[1,1,0] neg_lo:[0,0,1] neg_hi:[0,0,1]
	v_pk_fma_f32 v[132:133], v[142:143], v[128:129], v[132:133] op_sel:[0,0,1] op_sel_hi:[1,0,0]
	v_mov_b32_e32 v141, v133
	v_pk_add_f32 v[48:49], v[48:49], v[144:145] neg_lo:[0,1] neg_hi:[0,1]
	s_delay_alu instid0(VALU_DEP_2) | instskip(SKIP_3) | instid1(VALU_DEP_1)
	v_pk_add_f32 v[50:51], v[50:51], v[140:141] neg_lo:[0,1] neg_hi:[0,1]
	ds_load_2addr_b64 v[140:143], v135 offset0:39 offset1:40
	s_wait_dscnt 0x0
	v_dual_mul_f32 v132, v141, v131 :: v_dual_mul_f32 v144, v141, v128
	v_pk_fma_f32 v[132:133], v[140:141], v[124:125], v[132:133] op_sel_hi:[1,1,0] neg_lo:[0,0,1] neg_hi:[0,0,1]
	s_delay_alu instid0(VALU_DEP_2) | instskip(NEXT) | instid1(VALU_DEP_1)
	v_pk_fma_f32 v[140:141], v[140:141], v[124:125], v[144:145] op_sel:[1,0,0] op_sel_hi:[0,1,0]
	v_mov_b32_e32 v133, v141
	s_delay_alu instid0(VALU_DEP_1) | instskip(SKIP_1) | instid1(VALU_DEP_1)
	v_pk_add_f32 v[46:47], v[46:47], v[132:133] neg_lo:[0,1] neg_hi:[0,1]
	v_pk_mul_f32 v[132:133], v[142:143], v[130:131] op_sel:[0,1]
	v_pk_fma_f32 v[140:141], v[142:143], v[128:129], v[132:133] op_sel:[0,0,1] op_sel_hi:[1,1,0] neg_lo:[0,0,1] neg_hi:[0,0,1]
	v_pk_fma_f32 v[132:133], v[142:143], v[128:129], v[132:133] op_sel:[0,0,1] op_sel_hi:[1,0,0]
	s_delay_alu instid0(VALU_DEP_1) | instskip(NEXT) | instid1(VALU_DEP_1)
	v_mov_b32_e32 v141, v133
	v_pk_add_f32 v[42:43], v[42:43], v[140:141] neg_lo:[0,1] neg_hi:[0,1]
	ds_load_2addr_b64 v[140:143], v135 offset0:41 offset1:42
	s_wait_dscnt 0x0
	v_pk_mul_f32 v[132:133], v[140:141], v[130:131] op_sel:[0,1]
	s_delay_alu instid0(VALU_DEP_1) | instskip(SKIP_1) | instid1(VALU_DEP_1)
	v_pk_fma_f32 v[144:145], v[140:141], v[128:129], v[132:133] op_sel:[0,0,1] op_sel_hi:[1,1,0] neg_lo:[0,0,1] neg_hi:[0,0,1]
	v_pk_fma_f32 v[132:133], v[140:141], v[128:129], v[132:133] op_sel:[0,0,1] op_sel_hi:[1,0,0]
	v_mov_b32_e32 v145, v133
	v_pk_mul_f32 v[132:133], v[142:143], v[130:131] op_sel:[0,1]
	s_delay_alu instid0(VALU_DEP_2) | instskip(NEXT) | instid1(VALU_DEP_2)
	v_pk_add_f32 v[38:39], v[38:39], v[144:145] neg_lo:[0,1] neg_hi:[0,1]
	v_pk_fma_f32 v[140:141], v[142:143], v[128:129], v[132:133] op_sel:[0,0,1] op_sel_hi:[1,1,0] neg_lo:[0,0,1] neg_hi:[0,0,1]
	v_pk_fma_f32 v[132:133], v[142:143], v[128:129], v[132:133] op_sel:[0,0,1] op_sel_hi:[1,0,0]
	s_delay_alu instid0(VALU_DEP_1) | instskip(NEXT) | instid1(VALU_DEP_1)
	v_mov_b32_e32 v141, v133
	v_pk_add_f32 v[40:41], v[40:41], v[140:141] neg_lo:[0,1] neg_hi:[0,1]
	ds_load_2addr_b64 v[140:143], v135 offset0:43 offset1:44
	s_wait_dscnt 0x0
	v_pk_mul_f32 v[132:133], v[140:141], v[130:131] op_sel:[0,1]
	s_delay_alu instid0(VALU_DEP_1) | instskip(SKIP_2) | instid1(VALU_DEP_2)
	v_pk_fma_f32 v[144:145], v[140:141], v[128:129], v[132:133] op_sel:[0,0,1] op_sel_hi:[1,1,0] neg_lo:[0,0,1] neg_hi:[0,0,1]
	v_pk_fma_f32 v[132:133], v[140:141], v[128:129], v[132:133] op_sel:[0,0,1] op_sel_hi:[1,0,0]
	v_dual_mul_f32 v140, v143, v131 :: v_dual_mov_b32 v132, v143
	v_dual_mov_b32 v145, v133 :: v_dual_mov_b32 v133, v142
	s_delay_alu instid0(VALU_DEP_2) | instskip(SKIP_1) | instid1(VALU_DEP_3)
	v_pk_fma_f32 v[140:141], v[142:143], v[124:125], v[140:141] op_sel_hi:[1,1,0] neg_lo:[0,0,1] neg_hi:[0,0,1]
	v_mul_f32_e32 v142, v143, v128
	v_pk_add_f32 v[36:37], v[36:37], v[144:145] neg_lo:[0,1] neg_hi:[0,1]
	s_delay_alu instid0(VALU_DEP_2) | instskip(NEXT) | instid1(VALU_DEP_1)
	v_pk_fma_f32 v[132:133], v[132:133], v[124:125], v[142:143] op_sel_hi:[1,1,0]
	v_mov_b32_e32 v141, v133
	s_delay_alu instid0(VALU_DEP_1) | instskip(SKIP_3) | instid1(VALU_DEP_1)
	v_pk_add_f32 v[34:35], v[34:35], v[140:141] neg_lo:[0,1] neg_hi:[0,1]
	ds_load_2addr_b64 v[140:143], v135 offset0:45 offset1:46
	s_wait_dscnt 0x0
	v_pk_mul_f32 v[132:133], v[140:141], v[130:131] op_sel:[0,1]
	v_pk_fma_f32 v[144:145], v[140:141], v[128:129], v[132:133] op_sel:[0,0,1] op_sel_hi:[1,1,0] neg_lo:[0,0,1] neg_hi:[0,0,1]
	v_pk_fma_f32 v[132:133], v[140:141], v[128:129], v[132:133] op_sel:[0,0,1] op_sel_hi:[1,0,0]
	s_delay_alu instid0(VALU_DEP_1) | instskip(SKIP_1) | instid1(VALU_DEP_1)
	v_mov_b32_e32 v145, v133
	v_pk_mul_f32 v[132:133], v[142:143], v[130:131] op_sel:[0,1]
	v_pk_fma_f32 v[140:141], v[142:143], v[128:129], v[132:133] op_sel:[0,0,1] op_sel_hi:[1,1,0] neg_lo:[0,0,1] neg_hi:[0,0,1]
	v_pk_fma_f32 v[132:133], v[142:143], v[128:129], v[132:133] op_sel:[0,0,1] op_sel_hi:[1,0,0]
	s_delay_alu instid0(VALU_DEP_1) | instskip(SKIP_1) | instid1(VALU_DEP_2)
	v_mov_b32_e32 v141, v133
	v_pk_add_f32 v[30:31], v[30:31], v[144:145] neg_lo:[0,1] neg_hi:[0,1]
	v_pk_add_f32 v[32:33], v[32:33], v[140:141] neg_lo:[0,1] neg_hi:[0,1]
	ds_load_2addr_b64 v[140:143], v135 offset0:47 offset1:48
	s_wait_dscnt 0x0
	v_pk_mul_f32 v[132:133], v[140:141], v[130:131] op_sel:[0,1]
	s_delay_alu instid0(VALU_DEP_1) | instskip(SKIP_1) | instid1(VALU_DEP_1)
	v_pk_fma_f32 v[144:145], v[140:141], v[128:129], v[132:133] op_sel:[0,0,1] op_sel_hi:[1,1,0] neg_lo:[0,0,1] neg_hi:[0,0,1]
	v_pk_fma_f32 v[132:133], v[140:141], v[128:129], v[132:133] op_sel:[0,0,1] op_sel_hi:[1,0,0]
	v_mov_b32_e32 v145, v133
	v_pk_mul_f32 v[132:133], v[142:143], v[130:131] op_sel:[0,1]
	s_delay_alu instid0(VALU_DEP_1) | instskip(SKIP_1) | instid1(VALU_DEP_1)
	v_pk_fma_f32 v[140:141], v[142:143], v[128:129], v[132:133] op_sel:[0,0,1] op_sel_hi:[1,1,0] neg_lo:[0,0,1] neg_hi:[0,0,1]
	v_pk_fma_f32 v[132:133], v[142:143], v[128:129], v[132:133] op_sel:[0,0,1] op_sel_hi:[1,0,0]
	v_mov_b32_e32 v141, v133
	v_pk_add_f32 v[28:29], v[28:29], v[144:145] neg_lo:[0,1] neg_hi:[0,1]
	s_delay_alu instid0(VALU_DEP_2) | instskip(SKIP_3) | instid1(VALU_DEP_1)
	v_pk_add_f32 v[26:27], v[26:27], v[140:141] neg_lo:[0,1] neg_hi:[0,1]
	ds_load_2addr_b64 v[140:143], v135 offset0:49 offset1:50
	s_wait_dscnt 0x0
	v_dual_mul_f32 v132, v141, v131 :: v_dual_mul_f32 v144, v141, v128
	v_pk_fma_f32 v[132:133], v[140:141], v[124:125], v[132:133] op_sel_hi:[1,1,0] neg_lo:[0,0,1] neg_hi:[0,0,1]
	s_delay_alu instid0(VALU_DEP_2) | instskip(NEXT) | instid1(VALU_DEP_1)
	v_pk_fma_f32 v[140:141], v[140:141], v[124:125], v[144:145] op_sel:[1,0,0] op_sel_hi:[0,1,0]
	v_mov_b32_e32 v133, v141
	s_delay_alu instid0(VALU_DEP_1) | instskip(SKIP_1) | instid1(VALU_DEP_1)
	v_pk_add_f32 v[22:23], v[22:23], v[132:133] neg_lo:[0,1] neg_hi:[0,1]
	v_pk_mul_f32 v[132:133], v[142:143], v[130:131] op_sel:[0,1]
	v_pk_fma_f32 v[140:141], v[142:143], v[128:129], v[132:133] op_sel:[0,0,1] op_sel_hi:[1,1,0] neg_lo:[0,0,1] neg_hi:[0,0,1]
	v_pk_fma_f32 v[132:133], v[142:143], v[128:129], v[132:133] op_sel:[0,0,1] op_sel_hi:[1,0,0]
	s_delay_alu instid0(VALU_DEP_1) | instskip(NEXT) | instid1(VALU_DEP_1)
	v_mov_b32_e32 v141, v133
	v_pk_add_f32 v[24:25], v[24:25], v[140:141] neg_lo:[0,1] neg_hi:[0,1]
	ds_load_2addr_b64 v[140:143], v135 offset0:51 offset1:52
	s_wait_dscnt 0x0
	v_pk_mul_f32 v[132:133], v[140:141], v[130:131] op_sel:[0,1]
	s_delay_alu instid0(VALU_DEP_1) | instskip(SKIP_1) | instid1(VALU_DEP_1)
	v_pk_fma_f32 v[144:145], v[140:141], v[128:129], v[132:133] op_sel:[0,0,1] op_sel_hi:[1,1,0] neg_lo:[0,0,1] neg_hi:[0,0,1]
	v_pk_fma_f32 v[132:133], v[140:141], v[128:129], v[132:133] op_sel:[0,0,1] op_sel_hi:[1,0,0]
	v_mov_b32_e32 v145, v133
	v_pk_mul_f32 v[132:133], v[142:143], v[130:131] op_sel:[0,1]
	s_delay_alu instid0(VALU_DEP_2) | instskip(NEXT) | instid1(VALU_DEP_2)
	v_pk_add_f32 v[44:45], v[44:45], v[144:145] neg_lo:[0,1] neg_hi:[0,1]
	v_pk_fma_f32 v[140:141], v[142:143], v[128:129], v[132:133] op_sel:[0,0,1] op_sel_hi:[1,1,0] neg_lo:[0,0,1] neg_hi:[0,0,1]
	v_pk_fma_f32 v[132:133], v[142:143], v[128:129], v[132:133] op_sel:[0,0,1] op_sel_hi:[1,0,0]
	s_delay_alu instid0(VALU_DEP_1) | instskip(NEXT) | instid1(VALU_DEP_1)
	v_mov_b32_e32 v141, v133
	v_pk_add_f32 v[16:17], v[16:17], v[140:141] neg_lo:[0,1] neg_hi:[0,1]
	ds_load_2addr_b64 v[140:143], v135 offset0:53 offset1:54
	s_wait_dscnt 0x0
	v_pk_mul_f32 v[132:133], v[140:141], v[130:131] op_sel:[0,1]
	s_delay_alu instid0(VALU_DEP_1) | instskip(SKIP_2) | instid1(VALU_DEP_2)
	v_pk_fma_f32 v[144:145], v[140:141], v[128:129], v[132:133] op_sel:[0,0,1] op_sel_hi:[1,1,0] neg_lo:[0,0,1] neg_hi:[0,0,1]
	v_pk_fma_f32 v[132:133], v[140:141], v[128:129], v[132:133] op_sel:[0,0,1] op_sel_hi:[1,0,0]
	v_dual_mul_f32 v140, v143, v131 :: v_dual_mov_b32 v132, v143
	v_dual_mov_b32 v145, v133 :: v_dual_mov_b32 v133, v142
	s_delay_alu instid0(VALU_DEP_2) | instskip(SKIP_1) | instid1(VALU_DEP_3)
	v_pk_fma_f32 v[140:141], v[142:143], v[124:125], v[140:141] op_sel_hi:[1,1,0] neg_lo:[0,0,1] neg_hi:[0,0,1]
	v_mul_f32_e32 v142, v143, v128
	v_pk_add_f32 v[12:13], v[12:13], v[144:145] neg_lo:[0,1] neg_hi:[0,1]
	s_delay_alu instid0(VALU_DEP_2) | instskip(NEXT) | instid1(VALU_DEP_1)
	v_pk_fma_f32 v[132:133], v[132:133], v[124:125], v[142:143] op_sel_hi:[1,1,0]
	v_mov_b32_e32 v141, v133
	s_delay_alu instid0(VALU_DEP_1) | instskip(SKIP_3) | instid1(VALU_DEP_1)
	v_pk_add_f32 v[14:15], v[14:15], v[140:141] neg_lo:[0,1] neg_hi:[0,1]
	ds_load_2addr_b64 v[140:143], v135 offset0:55 offset1:56
	s_wait_dscnt 0x0
	v_pk_mul_f32 v[132:133], v[140:141], v[130:131] op_sel:[0,1]
	v_pk_fma_f32 v[144:145], v[140:141], v[128:129], v[132:133] op_sel:[0,0,1] op_sel_hi:[1,1,0] neg_lo:[0,0,1] neg_hi:[0,0,1]
	v_pk_fma_f32 v[132:133], v[140:141], v[128:129], v[132:133] op_sel:[0,0,1] op_sel_hi:[1,0,0]
	s_delay_alu instid0(VALU_DEP_1) | instskip(SKIP_1) | instid1(VALU_DEP_1)
	v_mov_b32_e32 v145, v133
	v_pk_mul_f32 v[132:133], v[142:143], v[130:131] op_sel:[0,1]
	v_pk_fma_f32 v[140:141], v[142:143], v[128:129], v[132:133] op_sel:[0,0,1] op_sel_hi:[1,1,0] neg_lo:[0,0,1] neg_hi:[0,0,1]
	v_pk_fma_f32 v[132:133], v[142:143], v[128:129], v[132:133] op_sel:[0,0,1] op_sel_hi:[1,0,0]
	s_delay_alu instid0(VALU_DEP_1) | instskip(SKIP_1) | instid1(VALU_DEP_2)
	v_mov_b32_e32 v141, v133
	v_pk_add_f32 v[10:11], v[10:11], v[144:145] neg_lo:[0,1] neg_hi:[0,1]
	v_pk_add_f32 v[6:7], v[6:7], v[140:141] neg_lo:[0,1] neg_hi:[0,1]
	ds_load_2addr_b64 v[140:143], v135 offset0:57 offset1:58
	s_wait_dscnt 0x0
	v_pk_mul_f32 v[132:133], v[140:141], v[130:131] op_sel:[0,1]
	s_delay_alu instid0(VALU_DEP_1) | instskip(SKIP_1) | instid1(VALU_DEP_1)
	v_pk_fma_f32 v[144:145], v[140:141], v[128:129], v[132:133] op_sel:[0,0,1] op_sel_hi:[1,1,0] neg_lo:[0,0,1] neg_hi:[0,0,1]
	v_pk_fma_f32 v[132:133], v[140:141], v[128:129], v[132:133] op_sel:[0,0,1] op_sel_hi:[1,0,0]
	v_mov_b32_e32 v145, v133
	v_pk_mul_f32 v[132:133], v[142:143], v[130:131] op_sel:[0,1]
	s_delay_alu instid0(VALU_DEP_1) | instskip(SKIP_1) | instid1(VALU_DEP_1)
	v_pk_fma_f32 v[140:141], v[142:143], v[128:129], v[132:133] op_sel:[0,0,1] op_sel_hi:[1,1,0] neg_lo:[0,0,1] neg_hi:[0,0,1]
	v_pk_fma_f32 v[132:133], v[142:143], v[128:129], v[132:133] op_sel:[0,0,1] op_sel_hi:[1,0,0]
	v_mov_b32_e32 v141, v133
	v_pk_add_f32 v[20:21], v[20:21], v[144:145] neg_lo:[0,1] neg_hi:[0,1]
	s_delay_alu instid0(VALU_DEP_2) | instskip(SKIP_3) | instid1(VALU_DEP_1)
	v_pk_add_f32 v[18:19], v[18:19], v[140:141] neg_lo:[0,1] neg_hi:[0,1]
	ds_load_2addr_b64 v[140:143], v135 offset0:59 offset1:60
	s_wait_dscnt 0x0
	v_mul_f32_e32 v130, v141, v131
	v_pk_fma_f32 v[132:133], v[140:141], v[124:125], v[130:131] op_sel_hi:[1,1,0] neg_lo:[0,0,1] neg_hi:[0,0,1]
	v_dual_mul_f32 v130, v141, v128 :: v_dual_mul_f32 v128, v143, v128
	s_delay_alu instid0(VALU_DEP_1) | instskip(NEXT) | instid1(VALU_DEP_1)
	v_pk_fma_f32 v[140:141], v[140:141], v[124:125], v[130:131] op_sel:[1,0,0] op_sel_hi:[0,1,0]
	v_dual_mul_f32 v130, v143, v131 :: v_dual_mov_b32 v133, v141
	s_delay_alu instid0(VALU_DEP_1) | instskip(NEXT) | instid1(VALU_DEP_2)
	v_pk_fma_f32 v[130:131], v[142:143], v[124:125], v[130:131] op_sel_hi:[1,1,0] neg_lo:[0,0,1] neg_hi:[0,0,1]
	v_pk_add_f32 v[8:9], v[8:9], v[132:133] neg_lo:[0,1] neg_hi:[0,1]
	v_dual_mov_b32 v132, v143 :: v_dual_mov_b32 v133, v142
	s_delay_alu instid0(VALU_DEP_1) | instskip(NEXT) | instid1(VALU_DEP_1)
	v_pk_fma_f32 v[128:129], v[132:133], v[124:125], v[128:129] op_sel_hi:[1,1,0]
	v_mov_b32_e32 v131, v129
	s_delay_alu instid0(VALU_DEP_1)
	v_pk_add_f32 v[126:127], v[126:127], v[130:131] neg_lo:[0,1] neg_hi:[0,1]
.LBB120_22:
	s_or_b32 exec_lo, exec_lo, s0
	v_lshl_add_u32 v128, v138, 3, v135
	s_barrier_signal -1
	s_barrier_wait -1
	ds_store_b64 v128, v[122:123]
	s_wait_dscnt 0x0
	s_barrier_signal -1
	s_barrier_wait -1
	ds_load_b64 v[130:131], v135 offset:8
	v_mov_b32_e32 v128, 1
	s_cmp_lt_i32 s18, 3
	s_cbranch_scc1 .LBB120_25
; %bb.23:
	v_add3_u32 v129, v136, 0, 16
	v_mov_b32_e32 v128, 1
	s_mov_b32 s0, 2
.LBB120_24:                             ; =>This Inner Loop Header: Depth=1
	ds_load_b64 v[132:133], v129
	s_wait_dscnt 0x1
	v_cmp_gt_f32_e32 vcc_lo, 0, v130
	v_cndmask_b32_e64 v140, v130, -v130, vcc_lo
	v_cmp_gt_f32_e32 vcc_lo, 0, v131
	v_cndmask_b32_e64 v142, v131, -v131, vcc_lo
	s_wait_dscnt 0x0
	v_cmp_gt_f32_e32 vcc_lo, 0, v132
	v_cndmask_b32_e64 v141, v132, -v132, vcc_lo
	v_cmp_gt_f32_e32 vcc_lo, 0, v133
	v_cndmask_b32_e64 v143, v133, -v133, vcc_lo
	s_delay_alu instid0(VALU_DEP_1) | instskip(NEXT) | instid1(VALU_DEP_1)
	v_pk_add_f32 v[140:141], v[140:141], v[142:143]
	v_cmp_lt_f32_e32 vcc_lo, v140, v141
	v_dual_cndmask_b32 v130, v130, v132 :: v_dual_add_nc_u32 v129, 8, v129
	v_cndmask_b32_e32 v131, v131, v133, vcc_lo
	v_cndmask_b32_e64 v128, v128, s0, vcc_lo
	s_add_co_i32 s0, s0, 1
	s_delay_alu instid0(SALU_CYCLE_1)
	s_cmp_lg_u32 s18, s0
	s_cbranch_scc1 .LBB120_24
.LBB120_25:
	s_wait_dscnt 0x0
	v_cmp_neq_f32_e32 vcc_lo, 0, v130
	v_cmp_neq_f32_e64 s0, 0, v131
	s_or_b32 s1, vcc_lo, s0
	s_delay_alu instid0(SALU_CYCLE_1)
	s_and_saveexec_b32 s0, s1
	s_cbranch_execz .LBB120_31
; %bb.26:
	v_cmp_ngt_f32_e64 s1, |v130|, |v131|
	s_and_saveexec_b32 s12, s1
	s_delay_alu instid0(SALU_CYCLE_1)
	s_xor_b32 s1, exec_lo, s12
	s_cbranch_execz .LBB120_28
; %bb.27:
	v_div_scale_f32 v129, null, v131, v131, v130
	v_div_scale_f32 v134, vcc_lo, v130, v131, v130
	s_delay_alu instid0(VALU_DEP_2) | instskip(SKIP_1) | instid1(TRANS32_DEP_1)
	v_rcp_f32_e32 v132, v129
	v_nop
	v_fma_f32 v133, -v129, v132, 1.0
	s_delay_alu instid0(VALU_DEP_1) | instskip(NEXT) | instid1(VALU_DEP_1)
	v_fmac_f32_e32 v132, v133, v132
	v_mul_f32_e32 v133, v134, v132
	s_delay_alu instid0(VALU_DEP_1) | instskip(NEXT) | instid1(VALU_DEP_1)
	v_fma_f32 v140, -v129, v133, v134
	v_fmac_f32_e32 v133, v140, v132
	s_delay_alu instid0(VALU_DEP_1) | instskip(NEXT) | instid1(VALU_DEP_1)
	v_fma_f32 v129, -v129, v133, v134
	v_div_fmas_f32 v129, v129, v132, v133
	s_delay_alu instid0(VALU_DEP_1) | instskip(NEXT) | instid1(VALU_DEP_1)
	v_div_fixup_f32 v129, v129, v131, v130
	v_fmac_f32_e32 v131, v130, v129
	s_delay_alu instid0(VALU_DEP_1) | instskip(SKIP_1) | instid1(VALU_DEP_2)
	v_div_scale_f32 v130, null, v131, v131, 1.0
	v_div_scale_f32 v134, vcc_lo, 1.0, v131, 1.0
	v_rcp_f32_e32 v132, v130
	v_nop
	s_delay_alu instid0(TRANS32_DEP_1) | instskip(NEXT) | instid1(VALU_DEP_1)
	v_fma_f32 v133, -v130, v132, 1.0
	v_fmac_f32_e32 v132, v133, v132
	s_delay_alu instid0(VALU_DEP_1) | instskip(NEXT) | instid1(VALU_DEP_1)
	v_mul_f32_e32 v133, v134, v132
	v_fma_f32 v140, -v130, v133, v134
	s_delay_alu instid0(VALU_DEP_1) | instskip(NEXT) | instid1(VALU_DEP_1)
	v_fmac_f32_e32 v133, v140, v132
	v_fma_f32 v130, -v130, v133, v134
	s_delay_alu instid0(VALU_DEP_1) | instskip(NEXT) | instid1(VALU_DEP_1)
	v_div_fmas_f32 v130, v130, v132, v133
	v_div_fixup_f32 v131, v130, v131, 1.0
	s_delay_alu instid0(VALU_DEP_1)
	v_mul_f32_e32 v130, v129, v131
	v_xor_b32_e32 v131, 0x80000000, v131
.LBB120_28:
	s_and_not1_saveexec_b32 s1, s1
	s_cbranch_execz .LBB120_30
; %bb.29:
	s_delay_alu instid0(VALU_DEP_1) | instskip(SKIP_1) | instid1(VALU_DEP_2)
	v_div_scale_f32 v129, null, v130, v130, v131
	v_div_scale_f32 v134, vcc_lo, v131, v130, v131
	v_rcp_f32_e32 v132, v129
	v_nop
	s_delay_alu instid0(TRANS32_DEP_1) | instskip(NEXT) | instid1(VALU_DEP_1)
	v_fma_f32 v133, -v129, v132, 1.0
	v_fmac_f32_e32 v132, v133, v132
	s_delay_alu instid0(VALU_DEP_1) | instskip(NEXT) | instid1(VALU_DEP_1)
	v_mul_f32_e32 v133, v134, v132
	v_fma_f32 v140, -v129, v133, v134
	s_delay_alu instid0(VALU_DEP_1) | instskip(NEXT) | instid1(VALU_DEP_1)
	v_fmac_f32_e32 v133, v140, v132
	v_fma_f32 v129, -v129, v133, v134
	s_delay_alu instid0(VALU_DEP_1) | instskip(NEXT) | instid1(VALU_DEP_1)
	v_div_fmas_f32 v129, v129, v132, v133
	v_div_fixup_f32 v129, v129, v130, v131
	s_delay_alu instid0(VALU_DEP_1) | instskip(NEXT) | instid1(VALU_DEP_1)
	v_fmac_f32_e32 v130, v131, v129
	v_div_scale_f32 v131, null, v130, v130, 1.0
	s_delay_alu instid0(VALU_DEP_1) | instskip(SKIP_1) | instid1(TRANS32_DEP_1)
	v_rcp_f32_e32 v132, v131
	v_nop
	v_fma_f32 v133, -v131, v132, 1.0
	s_delay_alu instid0(VALU_DEP_1) | instskip(SKIP_1) | instid1(VALU_DEP_1)
	v_fmac_f32_e32 v132, v133, v132
	v_div_scale_f32 v133, vcc_lo, 1.0, v130, 1.0
	v_mul_f32_e32 v134, v133, v132
	s_delay_alu instid0(VALU_DEP_1) | instskip(NEXT) | instid1(VALU_DEP_1)
	v_fma_f32 v140, -v131, v134, v133
	v_fmac_f32_e32 v134, v140, v132
	s_delay_alu instid0(VALU_DEP_1) | instskip(NEXT) | instid1(VALU_DEP_1)
	v_fma_f32 v131, -v131, v134, v133
	v_div_fmas_f32 v131, v131, v132, v134
	s_delay_alu instid0(VALU_DEP_1) | instskip(NEXT) | instid1(VALU_DEP_1)
	v_div_fixup_f32 v130, v131, v130, 1.0
	v_mul_f32_e64 v131, v129, -v130
.LBB120_30:
	s_or_b32 exec_lo, exec_lo, s1
	v_mov_b32_e32 v134, v139
.LBB120_31:
	s_or_b32 exec_lo, exec_lo, s0
	s_delay_alu instid0(SALU_CYCLE_1)
	s_mov_b32 s0, exec_lo
	v_cmpx_ne_u32_e64 v138, v128
	s_xor_b32 s0, exec_lo, s0
	s_cbranch_execz .LBB120_37
; %bb.32:
	s_mov_b32 s1, exec_lo
	v_cmpx_eq_u32_e32 1, v138
	s_cbranch_execz .LBB120_36
; %bb.33:
	v_cmp_ne_u32_e32 vcc_lo, 1, v128
	s_xor_b32 s12, s16, -1
	s_delay_alu instid0(SALU_CYCLE_1) | instskip(NEXT) | instid1(SALU_CYCLE_1)
	s_and_b32 s13, s12, vcc_lo
	s_and_saveexec_b32 s12, s13
	s_cbranch_execz .LBB120_35
; %bb.34:
	v_ashrrev_i32_e32 v129, 31, v128
	s_delay_alu instid0(VALU_DEP_1)
	v_lshl_add_u64 v[132:133], v[128:129], 2, v[4:5]
	s_clause 0x1
	global_load_b32 v129, v[132:133], off
	global_load_b32 v137, v[4:5], off offset:4
	s_wait_loadcnt 0x1
	global_store_b32 v[4:5], v129, off offset:4
	s_wait_loadcnt 0x0
	global_store_b32 v[132:133], v137, off
.LBB120_35:
	s_wait_xcnt 0x0
	s_or_b32 exec_lo, exec_lo, s12
	v_dual_mov_b32 v138, v128 :: v_dual_mov_b32 v137, v128
.LBB120_36:
	s_or_b32 exec_lo, exec_lo, s1
.LBB120_37:
	s_and_not1_saveexec_b32 s0, s0
	s_cbranch_execz .LBB120_39
; %bb.38:
	v_dual_mov_b32 v128, v120 :: v_dual_mov_b32 v129, v121
	v_dual_mov_b32 v132, v118 :: v_dual_mov_b32 v133, v119
	v_dual_mov_b32 v138, v116 :: v_dual_mov_b32 v139, v117
	v_dual_mov_b32 v140, v112 :: v_dual_mov_b32 v141, v113
	v_dual_mov_b32 v142, v114 :: v_dual_mov_b32 v143, v115
	v_dual_mov_b32 v144, v110 :: v_dual_mov_b32 v145, v111
	v_dual_mov_b32 v146, v108 :: v_dual_mov_b32 v147, v109
	v_dual_mov_b32 v148, v104 :: v_dual_mov_b32 v149, v105
	v_dual_mov_b32 v150, v106 :: v_dual_mov_b32 v151, v107
	v_dual_mov_b32 v152, v102 :: v_dual_mov_b32 v153, v103
	v_dual_mov_b32 v154, v100 :: v_dual_mov_b32 v155, v101
	v_dual_mov_b32 v156, v96 :: v_dual_mov_b32 v157, v97
	ds_store_2addr_b64 v135, v[128:129], v[132:133] offset0:2 offset1:3
	ds_store_2addr_b64 v135, v[138:139], v[140:141] offset0:4 offset1:5
	ds_store_2addr_b64 v135, v[142:143], v[144:145] offset0:6 offset1:7
	ds_store_2addr_b64 v135, v[146:147], v[148:149] offset0:8 offset1:9
	ds_store_2addr_b64 v135, v[150:151], v[152:153] offset0:10 offset1:11
	ds_store_2addr_b64 v135, v[154:155], v[156:157] offset0:12 offset1:13
	v_dual_mov_b32 v128, v98 :: v_dual_mov_b32 v129, v99
	v_dual_mov_b32 v132, v94 :: v_dual_mov_b32 v133, v95
	v_dual_mov_b32 v138, v92 :: v_dual_mov_b32 v139, v93
	v_dual_mov_b32 v140, v88 :: v_dual_mov_b32 v141, v89
	v_dual_mov_b32 v142, v90 :: v_dual_mov_b32 v143, v91
	v_dual_mov_b32 v144, v86 :: v_dual_mov_b32 v145, v87
	v_dual_mov_b32 v146, v84 :: v_dual_mov_b32 v147, v85
	v_dual_mov_b32 v148, v80 :: v_dual_mov_b32 v149, v81
	v_dual_mov_b32 v150, v82 :: v_dual_mov_b32 v151, v83
	v_dual_mov_b32 v152, v78 :: v_dual_mov_b32 v153, v79
	v_dual_mov_b32 v154, v76 :: v_dual_mov_b32 v155, v77
	v_dual_mov_b32 v156, v72 :: v_dual_mov_b32 v157, v73
	ds_store_2addr_b64 v135, v[128:129], v[132:133] offset0:14 offset1:15
	ds_store_2addr_b64 v135, v[138:139], v[140:141] offset0:16 offset1:17
	ds_store_2addr_b64 v135, v[142:143], v[144:145] offset0:18 offset1:19
	ds_store_2addr_b64 v135, v[146:147], v[148:149] offset0:20 offset1:21
	ds_store_2addr_b64 v135, v[150:151], v[152:153] offset0:22 offset1:23
	ds_store_2addr_b64 v135, v[154:155], v[156:157] offset0:24 offset1:25
	v_dual_mov_b32 v128, v74 :: v_dual_mov_b32 v129, v75
	v_dual_mov_b32 v132, v70 :: v_dual_mov_b32 v133, v71
	v_dual_mov_b32 v138, v68 :: v_dual_mov_b32 v139, v69
	v_dual_mov_b32 v140, v64 :: v_dual_mov_b32 v141, v65
	v_dual_mov_b32 v142, v66 :: v_dual_mov_b32 v143, v67
	v_dual_mov_b32 v144, v62 :: v_dual_mov_b32 v145, v63
	v_dual_mov_b32 v146, v60 :: v_dual_mov_b32 v147, v61
	v_dual_mov_b32 v148, v56 :: v_dual_mov_b32 v149, v57
	v_dual_mov_b32 v150, v58 :: v_dual_mov_b32 v151, v59
	v_dual_mov_b32 v152, v54 :: v_dual_mov_b32 v153, v55
	v_dual_mov_b32 v154, v52 :: v_dual_mov_b32 v155, v53
	v_dual_mov_b32 v156, v48 :: v_dual_mov_b32 v157, v49
	ds_store_2addr_b64 v135, v[128:129], v[132:133] offset0:26 offset1:27
	ds_store_2addr_b64 v135, v[138:139], v[140:141] offset0:28 offset1:29
	ds_store_2addr_b64 v135, v[142:143], v[144:145] offset0:30 offset1:31
	ds_store_2addr_b64 v135, v[146:147], v[148:149] offset0:32 offset1:33
	ds_store_2addr_b64 v135, v[150:151], v[152:153] offset0:34 offset1:35
	ds_store_2addr_b64 v135, v[154:155], v[156:157] offset0:36 offset1:37
	v_dual_mov_b32 v128, v50 :: v_dual_mov_b32 v129, v51
	v_dual_mov_b32 v132, v46 :: v_dual_mov_b32 v133, v47
	v_dual_mov_b32 v138, v42 :: v_dual_mov_b32 v139, v43
	v_dual_mov_b32 v140, v38 :: v_dual_mov_b32 v141, v39
	v_dual_mov_b32 v142, v40 :: v_dual_mov_b32 v143, v41
	v_dual_mov_b32 v144, v36 :: v_dual_mov_b32 v145, v37
	v_dual_mov_b32 v146, v34 :: v_dual_mov_b32 v147, v35
	v_dual_mov_b32 v148, v30 :: v_dual_mov_b32 v149, v31
	v_dual_mov_b32 v150, v32 :: v_dual_mov_b32 v151, v33
	v_dual_mov_b32 v152, v28 :: v_dual_mov_b32 v153, v29
	v_dual_mov_b32 v154, v26 :: v_dual_mov_b32 v155, v27
	v_dual_mov_b32 v156, v22 :: v_dual_mov_b32 v157, v23
	ds_store_2addr_b64 v135, v[128:129], v[132:133] offset0:38 offset1:39
	ds_store_2addr_b64 v135, v[138:139], v[140:141] offset0:40 offset1:41
	ds_store_2addr_b64 v135, v[142:143], v[144:145] offset0:42 offset1:43
	ds_store_2addr_b64 v135, v[146:147], v[148:149] offset0:44 offset1:45
	ds_store_2addr_b64 v135, v[150:151], v[152:153] offset0:46 offset1:47
	ds_store_2addr_b64 v135, v[154:155], v[156:157] offset0:48 offset1:49
	v_dual_mov_b32 v128, v24 :: v_dual_mov_b32 v129, v25
	v_dual_mov_b32 v132, v44 :: v_dual_mov_b32 v133, v45
	;; [unrolled: 1-line block ×6, first 2 shown]
	ds_store_2addr_b64 v135, v[128:129], v[132:133] offset0:50 offset1:51
	ds_store_2addr_b64 v135, v[138:139], v[140:141] offset0:52 offset1:53
	v_dual_mov_b32 v138, 1 :: v_dual_mov_b32 v146, v6
	v_dual_mov_b32 v147, v7 :: v_dual_mov_b32 v148, v20
	v_dual_mov_b32 v149, v21 :: v_dual_mov_b32 v150, v18
	v_dual_mov_b32 v151, v19 :: v_dual_mov_b32 v152, v8
	v_mov_b32_e32 v153, v9
	ds_store_2addr_b64 v135, v[142:143], v[144:145] offset0:54 offset1:55
	ds_store_2addr_b64 v135, v[146:147], v[148:149] offset0:56 offset1:57
	;; [unrolled: 1-line block ×3, first 2 shown]
	ds_store_b64 v135, v[126:127] offset:480
.LBB120_39:
	s_or_b32 exec_lo, exec_lo, s0
	s_delay_alu instid0(SALU_CYCLE_1)
	s_mov_b32 s0, exec_lo
	s_wait_storecnt_dscnt 0x0
	s_barrier_signal -1
	s_barrier_wait -1
	v_cmpx_lt_i32_e32 1, v138
	s_cbranch_execz .LBB120_41
; %bb.40:
	ds_load_2addr_b64 v[140:143], v135 offset0:2 offset1:3
	v_pk_mul_f32 v[132:133], v[130:131], v[122:123] op_sel:[1,1] op_sel_hi:[0,1]
	s_delay_alu instid0(VALU_DEP_1) | instskip(SKIP_1) | instid1(VALU_DEP_1)
	v_pk_fma_f32 v[128:129], v[130:131], v[122:123], v[132:133] op_sel_hi:[1,0,1] neg_lo:[0,0,1] neg_hi:[0,0,1]
	v_pk_fma_f32 v[130:131], v[130:131], v[122:123], v[132:133] op_sel_hi:[1,0,1]
	v_dual_mov_b32 v122, v128 :: v_dual_mov_b32 v123, v131
	s_wait_dscnt 0x0
	s_delay_alu instid0(VALU_DEP_2) | instskip(NEXT) | instid1(VALU_DEP_1)
	v_pk_mul_f32 v[132:133], v[140:141], v[130:131] op_sel:[0,1]
	v_pk_fma_f32 v[144:145], v[140:141], v[128:129], v[132:133] op_sel:[0,0,1] op_sel_hi:[1,1,0] neg_lo:[0,0,1] neg_hi:[0,0,1]
	v_pk_fma_f32 v[132:133], v[140:141], v[128:129], v[132:133] op_sel:[0,0,1] op_sel_hi:[1,0,0]
	s_delay_alu instid0(VALU_DEP_1) | instskip(SKIP_1) | instid1(VALU_DEP_1)
	v_mov_b32_e32 v145, v133
	v_pk_mul_f32 v[132:133], v[142:143], v[130:131] op_sel:[0,1]
	v_pk_fma_f32 v[140:141], v[142:143], v[128:129], v[132:133] op_sel:[0,0,1] op_sel_hi:[1,1,0] neg_lo:[0,0,1] neg_hi:[0,0,1]
	v_pk_fma_f32 v[132:133], v[142:143], v[128:129], v[132:133] op_sel:[0,0,1] op_sel_hi:[1,0,0]
	s_delay_alu instid0(VALU_DEP_1) | instskip(SKIP_1) | instid1(VALU_DEP_2)
	v_mov_b32_e32 v141, v133
	v_pk_add_f32 v[120:121], v[120:121], v[144:145] neg_lo:[0,1] neg_hi:[0,1]
	v_pk_add_f32 v[118:119], v[118:119], v[140:141] neg_lo:[0,1] neg_hi:[0,1]
	ds_load_2addr_b64 v[140:143], v135 offset0:4 offset1:5
	s_wait_dscnt 0x0
	v_pk_mul_f32 v[132:133], v[140:141], v[130:131] op_sel:[0,1]
	s_delay_alu instid0(VALU_DEP_1) | instskip(SKIP_2) | instid1(VALU_DEP_2)
	v_pk_fma_f32 v[144:145], v[140:141], v[128:129], v[132:133] op_sel:[0,0,1] op_sel_hi:[1,1,0] neg_lo:[0,0,1] neg_hi:[0,0,1]
	v_pk_fma_f32 v[132:133], v[140:141], v[128:129], v[132:133] op_sel:[0,0,1] op_sel_hi:[1,0,0]
	v_dual_mul_f32 v140, v143, v131 :: v_dual_mov_b32 v132, v143
	v_dual_mov_b32 v145, v133 :: v_dual_mov_b32 v133, v142
	s_delay_alu instid0(VALU_DEP_2) | instskip(SKIP_1) | instid1(VALU_DEP_3)
	v_pk_fma_f32 v[140:141], v[142:143], v[122:123], v[140:141] op_sel_hi:[1,1,0] neg_lo:[0,0,1] neg_hi:[0,0,1]
	v_mul_f32_e32 v142, v143, v128
	v_pk_add_f32 v[116:117], v[116:117], v[144:145] neg_lo:[0,1] neg_hi:[0,1]
	s_delay_alu instid0(VALU_DEP_2) | instskip(NEXT) | instid1(VALU_DEP_1)
	v_pk_fma_f32 v[132:133], v[132:133], v[122:123], v[142:143] op_sel_hi:[1,1,0]
	v_mov_b32_e32 v141, v133
	s_delay_alu instid0(VALU_DEP_1) | instskip(SKIP_3) | instid1(VALU_DEP_1)
	v_pk_add_f32 v[112:113], v[112:113], v[140:141] neg_lo:[0,1] neg_hi:[0,1]
	ds_load_2addr_b64 v[140:143], v135 offset0:6 offset1:7
	s_wait_dscnt 0x0
	v_pk_mul_f32 v[132:133], v[140:141], v[130:131] op_sel:[0,1]
	v_pk_fma_f32 v[144:145], v[140:141], v[128:129], v[132:133] op_sel:[0,0,1] op_sel_hi:[1,1,0] neg_lo:[0,0,1] neg_hi:[0,0,1]
	v_pk_fma_f32 v[132:133], v[140:141], v[128:129], v[132:133] op_sel:[0,0,1] op_sel_hi:[1,0,0]
	s_delay_alu instid0(VALU_DEP_1) | instskip(SKIP_1) | instid1(VALU_DEP_1)
	v_mov_b32_e32 v145, v133
	v_pk_mul_f32 v[132:133], v[142:143], v[130:131] op_sel:[0,1]
	v_pk_fma_f32 v[140:141], v[142:143], v[128:129], v[132:133] op_sel:[0,0,1] op_sel_hi:[1,1,0] neg_lo:[0,0,1] neg_hi:[0,0,1]
	v_pk_fma_f32 v[132:133], v[142:143], v[128:129], v[132:133] op_sel:[0,0,1] op_sel_hi:[1,0,0]
	s_delay_alu instid0(VALU_DEP_1) | instskip(SKIP_1) | instid1(VALU_DEP_2)
	v_mov_b32_e32 v141, v133
	v_pk_add_f32 v[114:115], v[114:115], v[144:145] neg_lo:[0,1] neg_hi:[0,1]
	v_pk_add_f32 v[110:111], v[110:111], v[140:141] neg_lo:[0,1] neg_hi:[0,1]
	ds_load_2addr_b64 v[140:143], v135 offset0:8 offset1:9
	s_wait_dscnt 0x0
	v_pk_mul_f32 v[132:133], v[140:141], v[130:131] op_sel:[0,1]
	s_delay_alu instid0(VALU_DEP_1) | instskip(SKIP_1) | instid1(VALU_DEP_1)
	v_pk_fma_f32 v[144:145], v[140:141], v[128:129], v[132:133] op_sel:[0,0,1] op_sel_hi:[1,1,0] neg_lo:[0,0,1] neg_hi:[0,0,1]
	v_pk_fma_f32 v[132:133], v[140:141], v[128:129], v[132:133] op_sel:[0,0,1] op_sel_hi:[1,0,0]
	v_mov_b32_e32 v145, v133
	v_pk_mul_f32 v[132:133], v[142:143], v[130:131] op_sel:[0,1]
	s_delay_alu instid0(VALU_DEP_1) | instskip(SKIP_1) | instid1(VALU_DEP_1)
	v_pk_fma_f32 v[140:141], v[142:143], v[128:129], v[132:133] op_sel:[0,0,1] op_sel_hi:[1,1,0] neg_lo:[0,0,1] neg_hi:[0,0,1]
	v_pk_fma_f32 v[132:133], v[142:143], v[128:129], v[132:133] op_sel:[0,0,1] op_sel_hi:[1,0,0]
	v_mov_b32_e32 v141, v133
	v_pk_add_f32 v[108:109], v[108:109], v[144:145] neg_lo:[0,1] neg_hi:[0,1]
	s_delay_alu instid0(VALU_DEP_2) | instskip(SKIP_3) | instid1(VALU_DEP_1)
	v_pk_add_f32 v[104:105], v[104:105], v[140:141] neg_lo:[0,1] neg_hi:[0,1]
	ds_load_2addr_b64 v[140:143], v135 offset0:10 offset1:11
	s_wait_dscnt 0x0
	v_dual_mul_f32 v132, v141, v131 :: v_dual_mul_f32 v144, v141, v128
	v_pk_fma_f32 v[132:133], v[140:141], v[122:123], v[132:133] op_sel_hi:[1,1,0] neg_lo:[0,0,1] neg_hi:[0,0,1]
	s_delay_alu instid0(VALU_DEP_2) | instskip(NEXT) | instid1(VALU_DEP_1)
	v_pk_fma_f32 v[140:141], v[140:141], v[122:123], v[144:145] op_sel:[1,0,0] op_sel_hi:[0,1,0]
	v_mov_b32_e32 v133, v141
	s_delay_alu instid0(VALU_DEP_1) | instskip(SKIP_1) | instid1(VALU_DEP_1)
	v_pk_add_f32 v[106:107], v[106:107], v[132:133] neg_lo:[0,1] neg_hi:[0,1]
	v_pk_mul_f32 v[132:133], v[142:143], v[130:131] op_sel:[0,1]
	v_pk_fma_f32 v[140:141], v[142:143], v[128:129], v[132:133] op_sel:[0,0,1] op_sel_hi:[1,1,0] neg_lo:[0,0,1] neg_hi:[0,0,1]
	v_pk_fma_f32 v[132:133], v[142:143], v[128:129], v[132:133] op_sel:[0,0,1] op_sel_hi:[1,0,0]
	s_delay_alu instid0(VALU_DEP_1) | instskip(NEXT) | instid1(VALU_DEP_1)
	v_mov_b32_e32 v141, v133
	v_pk_add_f32 v[102:103], v[102:103], v[140:141] neg_lo:[0,1] neg_hi:[0,1]
	ds_load_2addr_b64 v[140:143], v135 offset0:12 offset1:13
	s_wait_dscnt 0x0
	v_pk_mul_f32 v[132:133], v[140:141], v[130:131] op_sel:[0,1]
	s_delay_alu instid0(VALU_DEP_1) | instskip(SKIP_1) | instid1(VALU_DEP_1)
	v_pk_fma_f32 v[144:145], v[140:141], v[128:129], v[132:133] op_sel:[0,0,1] op_sel_hi:[1,1,0] neg_lo:[0,0,1] neg_hi:[0,0,1]
	v_pk_fma_f32 v[132:133], v[140:141], v[128:129], v[132:133] op_sel:[0,0,1] op_sel_hi:[1,0,0]
	v_mov_b32_e32 v145, v133
	v_pk_mul_f32 v[132:133], v[142:143], v[130:131] op_sel:[0,1]
	s_delay_alu instid0(VALU_DEP_2) | instskip(NEXT) | instid1(VALU_DEP_2)
	v_pk_add_f32 v[100:101], v[100:101], v[144:145] neg_lo:[0,1] neg_hi:[0,1]
	v_pk_fma_f32 v[140:141], v[142:143], v[128:129], v[132:133] op_sel:[0,0,1] op_sel_hi:[1,1,0] neg_lo:[0,0,1] neg_hi:[0,0,1]
	v_pk_fma_f32 v[132:133], v[142:143], v[128:129], v[132:133] op_sel:[0,0,1] op_sel_hi:[1,0,0]
	s_delay_alu instid0(VALU_DEP_1) | instskip(NEXT) | instid1(VALU_DEP_1)
	v_mov_b32_e32 v141, v133
	v_pk_add_f32 v[96:97], v[96:97], v[140:141] neg_lo:[0,1] neg_hi:[0,1]
	ds_load_2addr_b64 v[140:143], v135 offset0:14 offset1:15
	s_wait_dscnt 0x0
	v_pk_mul_f32 v[132:133], v[140:141], v[130:131] op_sel:[0,1]
	s_delay_alu instid0(VALU_DEP_1) | instskip(SKIP_2) | instid1(VALU_DEP_2)
	v_pk_fma_f32 v[144:145], v[140:141], v[128:129], v[132:133] op_sel:[0,0,1] op_sel_hi:[1,1,0] neg_lo:[0,0,1] neg_hi:[0,0,1]
	v_pk_fma_f32 v[132:133], v[140:141], v[128:129], v[132:133] op_sel:[0,0,1] op_sel_hi:[1,0,0]
	v_dual_mul_f32 v140, v143, v131 :: v_dual_mov_b32 v132, v143
	v_dual_mov_b32 v145, v133 :: v_dual_mov_b32 v133, v142
	s_delay_alu instid0(VALU_DEP_2) | instskip(SKIP_1) | instid1(VALU_DEP_3)
	v_pk_fma_f32 v[140:141], v[142:143], v[122:123], v[140:141] op_sel_hi:[1,1,0] neg_lo:[0,0,1] neg_hi:[0,0,1]
	v_mul_f32_e32 v142, v143, v128
	v_pk_add_f32 v[98:99], v[98:99], v[144:145] neg_lo:[0,1] neg_hi:[0,1]
	s_delay_alu instid0(VALU_DEP_2) | instskip(NEXT) | instid1(VALU_DEP_1)
	v_pk_fma_f32 v[132:133], v[132:133], v[122:123], v[142:143] op_sel_hi:[1,1,0]
	v_mov_b32_e32 v141, v133
	s_delay_alu instid0(VALU_DEP_1) | instskip(SKIP_3) | instid1(VALU_DEP_1)
	v_pk_add_f32 v[94:95], v[94:95], v[140:141] neg_lo:[0,1] neg_hi:[0,1]
	ds_load_2addr_b64 v[140:143], v135 offset0:16 offset1:17
	s_wait_dscnt 0x0
	v_pk_mul_f32 v[132:133], v[140:141], v[130:131] op_sel:[0,1]
	v_pk_fma_f32 v[144:145], v[140:141], v[128:129], v[132:133] op_sel:[0,0,1] op_sel_hi:[1,1,0] neg_lo:[0,0,1] neg_hi:[0,0,1]
	v_pk_fma_f32 v[132:133], v[140:141], v[128:129], v[132:133] op_sel:[0,0,1] op_sel_hi:[1,0,0]
	s_delay_alu instid0(VALU_DEP_1) | instskip(SKIP_1) | instid1(VALU_DEP_1)
	v_mov_b32_e32 v145, v133
	v_pk_mul_f32 v[132:133], v[142:143], v[130:131] op_sel:[0,1]
	v_pk_fma_f32 v[140:141], v[142:143], v[128:129], v[132:133] op_sel:[0,0,1] op_sel_hi:[1,1,0] neg_lo:[0,0,1] neg_hi:[0,0,1]
	v_pk_fma_f32 v[132:133], v[142:143], v[128:129], v[132:133] op_sel:[0,0,1] op_sel_hi:[1,0,0]
	s_delay_alu instid0(VALU_DEP_1) | instskip(SKIP_1) | instid1(VALU_DEP_2)
	v_mov_b32_e32 v141, v133
	v_pk_add_f32 v[92:93], v[92:93], v[144:145] neg_lo:[0,1] neg_hi:[0,1]
	v_pk_add_f32 v[88:89], v[88:89], v[140:141] neg_lo:[0,1] neg_hi:[0,1]
	ds_load_2addr_b64 v[140:143], v135 offset0:18 offset1:19
	s_wait_dscnt 0x0
	v_pk_mul_f32 v[132:133], v[140:141], v[130:131] op_sel:[0,1]
	s_delay_alu instid0(VALU_DEP_1) | instskip(SKIP_1) | instid1(VALU_DEP_1)
	v_pk_fma_f32 v[144:145], v[140:141], v[128:129], v[132:133] op_sel:[0,0,1] op_sel_hi:[1,1,0] neg_lo:[0,0,1] neg_hi:[0,0,1]
	v_pk_fma_f32 v[132:133], v[140:141], v[128:129], v[132:133] op_sel:[0,0,1] op_sel_hi:[1,0,0]
	v_mov_b32_e32 v145, v133
	v_pk_mul_f32 v[132:133], v[142:143], v[130:131] op_sel:[0,1]
	s_delay_alu instid0(VALU_DEP_1) | instskip(SKIP_1) | instid1(VALU_DEP_1)
	v_pk_fma_f32 v[140:141], v[142:143], v[128:129], v[132:133] op_sel:[0,0,1] op_sel_hi:[1,1,0] neg_lo:[0,0,1] neg_hi:[0,0,1]
	v_pk_fma_f32 v[132:133], v[142:143], v[128:129], v[132:133] op_sel:[0,0,1] op_sel_hi:[1,0,0]
	v_mov_b32_e32 v141, v133
	v_pk_add_f32 v[90:91], v[90:91], v[144:145] neg_lo:[0,1] neg_hi:[0,1]
	s_delay_alu instid0(VALU_DEP_2) | instskip(SKIP_3) | instid1(VALU_DEP_1)
	v_pk_add_f32 v[86:87], v[86:87], v[140:141] neg_lo:[0,1] neg_hi:[0,1]
	ds_load_2addr_b64 v[140:143], v135 offset0:20 offset1:21
	s_wait_dscnt 0x0
	v_dual_mul_f32 v132, v141, v131 :: v_dual_mul_f32 v144, v141, v128
	v_pk_fma_f32 v[132:133], v[140:141], v[122:123], v[132:133] op_sel_hi:[1,1,0] neg_lo:[0,0,1] neg_hi:[0,0,1]
	s_delay_alu instid0(VALU_DEP_2) | instskip(NEXT) | instid1(VALU_DEP_1)
	v_pk_fma_f32 v[140:141], v[140:141], v[122:123], v[144:145] op_sel:[1,0,0] op_sel_hi:[0,1,0]
	v_mov_b32_e32 v133, v141
	s_delay_alu instid0(VALU_DEP_1) | instskip(SKIP_1) | instid1(VALU_DEP_1)
	v_pk_add_f32 v[84:85], v[84:85], v[132:133] neg_lo:[0,1] neg_hi:[0,1]
	v_pk_mul_f32 v[132:133], v[142:143], v[130:131] op_sel:[0,1]
	v_pk_fma_f32 v[140:141], v[142:143], v[128:129], v[132:133] op_sel:[0,0,1] op_sel_hi:[1,1,0] neg_lo:[0,0,1] neg_hi:[0,0,1]
	v_pk_fma_f32 v[132:133], v[142:143], v[128:129], v[132:133] op_sel:[0,0,1] op_sel_hi:[1,0,0]
	s_delay_alu instid0(VALU_DEP_1) | instskip(NEXT) | instid1(VALU_DEP_1)
	v_mov_b32_e32 v141, v133
	v_pk_add_f32 v[80:81], v[80:81], v[140:141] neg_lo:[0,1] neg_hi:[0,1]
	ds_load_2addr_b64 v[140:143], v135 offset0:22 offset1:23
	s_wait_dscnt 0x0
	v_pk_mul_f32 v[132:133], v[140:141], v[130:131] op_sel:[0,1]
	s_delay_alu instid0(VALU_DEP_1) | instskip(SKIP_1) | instid1(VALU_DEP_1)
	v_pk_fma_f32 v[144:145], v[140:141], v[128:129], v[132:133] op_sel:[0,0,1] op_sel_hi:[1,1,0] neg_lo:[0,0,1] neg_hi:[0,0,1]
	v_pk_fma_f32 v[132:133], v[140:141], v[128:129], v[132:133] op_sel:[0,0,1] op_sel_hi:[1,0,0]
	v_mov_b32_e32 v145, v133
	v_pk_mul_f32 v[132:133], v[142:143], v[130:131] op_sel:[0,1]
	s_delay_alu instid0(VALU_DEP_2) | instskip(NEXT) | instid1(VALU_DEP_2)
	v_pk_add_f32 v[82:83], v[82:83], v[144:145] neg_lo:[0,1] neg_hi:[0,1]
	v_pk_fma_f32 v[140:141], v[142:143], v[128:129], v[132:133] op_sel:[0,0,1] op_sel_hi:[1,1,0] neg_lo:[0,0,1] neg_hi:[0,0,1]
	v_pk_fma_f32 v[132:133], v[142:143], v[128:129], v[132:133] op_sel:[0,0,1] op_sel_hi:[1,0,0]
	s_delay_alu instid0(VALU_DEP_1) | instskip(NEXT) | instid1(VALU_DEP_1)
	v_mov_b32_e32 v141, v133
	v_pk_add_f32 v[78:79], v[78:79], v[140:141] neg_lo:[0,1] neg_hi:[0,1]
	ds_load_2addr_b64 v[140:143], v135 offset0:24 offset1:25
	s_wait_dscnt 0x0
	v_pk_mul_f32 v[132:133], v[140:141], v[130:131] op_sel:[0,1]
	s_delay_alu instid0(VALU_DEP_1) | instskip(SKIP_2) | instid1(VALU_DEP_2)
	v_pk_fma_f32 v[144:145], v[140:141], v[128:129], v[132:133] op_sel:[0,0,1] op_sel_hi:[1,1,0] neg_lo:[0,0,1] neg_hi:[0,0,1]
	v_pk_fma_f32 v[132:133], v[140:141], v[128:129], v[132:133] op_sel:[0,0,1] op_sel_hi:[1,0,0]
	v_dual_mul_f32 v140, v143, v131 :: v_dual_mov_b32 v132, v143
	v_dual_mov_b32 v145, v133 :: v_dual_mov_b32 v133, v142
	s_delay_alu instid0(VALU_DEP_2) | instskip(SKIP_1) | instid1(VALU_DEP_3)
	v_pk_fma_f32 v[140:141], v[142:143], v[122:123], v[140:141] op_sel_hi:[1,1,0] neg_lo:[0,0,1] neg_hi:[0,0,1]
	v_mul_f32_e32 v142, v143, v128
	v_pk_add_f32 v[76:77], v[76:77], v[144:145] neg_lo:[0,1] neg_hi:[0,1]
	s_delay_alu instid0(VALU_DEP_2) | instskip(NEXT) | instid1(VALU_DEP_1)
	v_pk_fma_f32 v[132:133], v[132:133], v[122:123], v[142:143] op_sel_hi:[1,1,0]
	v_mov_b32_e32 v141, v133
	s_delay_alu instid0(VALU_DEP_1) | instskip(SKIP_3) | instid1(VALU_DEP_1)
	v_pk_add_f32 v[72:73], v[72:73], v[140:141] neg_lo:[0,1] neg_hi:[0,1]
	ds_load_2addr_b64 v[140:143], v135 offset0:26 offset1:27
	s_wait_dscnt 0x0
	v_pk_mul_f32 v[132:133], v[140:141], v[130:131] op_sel:[0,1]
	v_pk_fma_f32 v[144:145], v[140:141], v[128:129], v[132:133] op_sel:[0,0,1] op_sel_hi:[1,1,0] neg_lo:[0,0,1] neg_hi:[0,0,1]
	v_pk_fma_f32 v[132:133], v[140:141], v[128:129], v[132:133] op_sel:[0,0,1] op_sel_hi:[1,0,0]
	s_delay_alu instid0(VALU_DEP_1) | instskip(SKIP_1) | instid1(VALU_DEP_1)
	v_mov_b32_e32 v145, v133
	v_pk_mul_f32 v[132:133], v[142:143], v[130:131] op_sel:[0,1]
	v_pk_fma_f32 v[140:141], v[142:143], v[128:129], v[132:133] op_sel:[0,0,1] op_sel_hi:[1,1,0] neg_lo:[0,0,1] neg_hi:[0,0,1]
	v_pk_fma_f32 v[132:133], v[142:143], v[128:129], v[132:133] op_sel:[0,0,1] op_sel_hi:[1,0,0]
	s_delay_alu instid0(VALU_DEP_1) | instskip(SKIP_1) | instid1(VALU_DEP_2)
	v_mov_b32_e32 v141, v133
	v_pk_add_f32 v[74:75], v[74:75], v[144:145] neg_lo:[0,1] neg_hi:[0,1]
	v_pk_add_f32 v[70:71], v[70:71], v[140:141] neg_lo:[0,1] neg_hi:[0,1]
	ds_load_2addr_b64 v[140:143], v135 offset0:28 offset1:29
	s_wait_dscnt 0x0
	v_pk_mul_f32 v[132:133], v[140:141], v[130:131] op_sel:[0,1]
	s_delay_alu instid0(VALU_DEP_1) | instskip(SKIP_1) | instid1(VALU_DEP_1)
	v_pk_fma_f32 v[144:145], v[140:141], v[128:129], v[132:133] op_sel:[0,0,1] op_sel_hi:[1,1,0] neg_lo:[0,0,1] neg_hi:[0,0,1]
	v_pk_fma_f32 v[132:133], v[140:141], v[128:129], v[132:133] op_sel:[0,0,1] op_sel_hi:[1,0,0]
	v_mov_b32_e32 v145, v133
	v_pk_mul_f32 v[132:133], v[142:143], v[130:131] op_sel:[0,1]
	s_delay_alu instid0(VALU_DEP_1) | instskip(SKIP_1) | instid1(VALU_DEP_1)
	v_pk_fma_f32 v[140:141], v[142:143], v[128:129], v[132:133] op_sel:[0,0,1] op_sel_hi:[1,1,0] neg_lo:[0,0,1] neg_hi:[0,0,1]
	v_pk_fma_f32 v[132:133], v[142:143], v[128:129], v[132:133] op_sel:[0,0,1] op_sel_hi:[1,0,0]
	v_mov_b32_e32 v141, v133
	v_pk_add_f32 v[68:69], v[68:69], v[144:145] neg_lo:[0,1] neg_hi:[0,1]
	s_delay_alu instid0(VALU_DEP_2) | instskip(SKIP_3) | instid1(VALU_DEP_1)
	v_pk_add_f32 v[64:65], v[64:65], v[140:141] neg_lo:[0,1] neg_hi:[0,1]
	ds_load_2addr_b64 v[140:143], v135 offset0:30 offset1:31
	s_wait_dscnt 0x0
	v_dual_mul_f32 v132, v141, v131 :: v_dual_mul_f32 v144, v141, v128
	v_pk_fma_f32 v[132:133], v[140:141], v[122:123], v[132:133] op_sel_hi:[1,1,0] neg_lo:[0,0,1] neg_hi:[0,0,1]
	s_delay_alu instid0(VALU_DEP_2) | instskip(NEXT) | instid1(VALU_DEP_1)
	v_pk_fma_f32 v[140:141], v[140:141], v[122:123], v[144:145] op_sel:[1,0,0] op_sel_hi:[0,1,0]
	v_mov_b32_e32 v133, v141
	s_delay_alu instid0(VALU_DEP_1) | instskip(SKIP_1) | instid1(VALU_DEP_1)
	v_pk_add_f32 v[66:67], v[66:67], v[132:133] neg_lo:[0,1] neg_hi:[0,1]
	v_pk_mul_f32 v[132:133], v[142:143], v[130:131] op_sel:[0,1]
	v_pk_fma_f32 v[140:141], v[142:143], v[128:129], v[132:133] op_sel:[0,0,1] op_sel_hi:[1,1,0] neg_lo:[0,0,1] neg_hi:[0,0,1]
	v_pk_fma_f32 v[132:133], v[142:143], v[128:129], v[132:133] op_sel:[0,0,1] op_sel_hi:[1,0,0]
	s_delay_alu instid0(VALU_DEP_1) | instskip(NEXT) | instid1(VALU_DEP_1)
	v_mov_b32_e32 v141, v133
	v_pk_add_f32 v[62:63], v[62:63], v[140:141] neg_lo:[0,1] neg_hi:[0,1]
	ds_load_2addr_b64 v[140:143], v135 offset0:32 offset1:33
	s_wait_dscnt 0x0
	v_pk_mul_f32 v[132:133], v[140:141], v[130:131] op_sel:[0,1]
	s_delay_alu instid0(VALU_DEP_1) | instskip(SKIP_1) | instid1(VALU_DEP_1)
	v_pk_fma_f32 v[144:145], v[140:141], v[128:129], v[132:133] op_sel:[0,0,1] op_sel_hi:[1,1,0] neg_lo:[0,0,1] neg_hi:[0,0,1]
	v_pk_fma_f32 v[132:133], v[140:141], v[128:129], v[132:133] op_sel:[0,0,1] op_sel_hi:[1,0,0]
	v_mov_b32_e32 v145, v133
	v_pk_mul_f32 v[132:133], v[142:143], v[130:131] op_sel:[0,1]
	s_delay_alu instid0(VALU_DEP_2) | instskip(NEXT) | instid1(VALU_DEP_2)
	v_pk_add_f32 v[60:61], v[60:61], v[144:145] neg_lo:[0,1] neg_hi:[0,1]
	v_pk_fma_f32 v[140:141], v[142:143], v[128:129], v[132:133] op_sel:[0,0,1] op_sel_hi:[1,1,0] neg_lo:[0,0,1] neg_hi:[0,0,1]
	v_pk_fma_f32 v[132:133], v[142:143], v[128:129], v[132:133] op_sel:[0,0,1] op_sel_hi:[1,0,0]
	s_delay_alu instid0(VALU_DEP_1) | instskip(NEXT) | instid1(VALU_DEP_1)
	v_mov_b32_e32 v141, v133
	v_pk_add_f32 v[56:57], v[56:57], v[140:141] neg_lo:[0,1] neg_hi:[0,1]
	ds_load_2addr_b64 v[140:143], v135 offset0:34 offset1:35
	s_wait_dscnt 0x0
	v_pk_mul_f32 v[132:133], v[140:141], v[130:131] op_sel:[0,1]
	s_delay_alu instid0(VALU_DEP_1) | instskip(SKIP_2) | instid1(VALU_DEP_2)
	v_pk_fma_f32 v[144:145], v[140:141], v[128:129], v[132:133] op_sel:[0,0,1] op_sel_hi:[1,1,0] neg_lo:[0,0,1] neg_hi:[0,0,1]
	v_pk_fma_f32 v[132:133], v[140:141], v[128:129], v[132:133] op_sel:[0,0,1] op_sel_hi:[1,0,0]
	v_dual_mul_f32 v140, v143, v131 :: v_dual_mov_b32 v132, v143
	v_dual_mov_b32 v145, v133 :: v_dual_mov_b32 v133, v142
	s_delay_alu instid0(VALU_DEP_2) | instskip(SKIP_1) | instid1(VALU_DEP_3)
	v_pk_fma_f32 v[140:141], v[142:143], v[122:123], v[140:141] op_sel_hi:[1,1,0] neg_lo:[0,0,1] neg_hi:[0,0,1]
	v_mul_f32_e32 v142, v143, v128
	v_pk_add_f32 v[58:59], v[58:59], v[144:145] neg_lo:[0,1] neg_hi:[0,1]
	s_delay_alu instid0(VALU_DEP_2) | instskip(NEXT) | instid1(VALU_DEP_1)
	v_pk_fma_f32 v[132:133], v[132:133], v[122:123], v[142:143] op_sel_hi:[1,1,0]
	v_mov_b32_e32 v141, v133
	s_delay_alu instid0(VALU_DEP_1) | instskip(SKIP_3) | instid1(VALU_DEP_1)
	v_pk_add_f32 v[54:55], v[54:55], v[140:141] neg_lo:[0,1] neg_hi:[0,1]
	ds_load_2addr_b64 v[140:143], v135 offset0:36 offset1:37
	s_wait_dscnt 0x0
	v_pk_mul_f32 v[132:133], v[140:141], v[130:131] op_sel:[0,1]
	v_pk_fma_f32 v[144:145], v[140:141], v[128:129], v[132:133] op_sel:[0,0,1] op_sel_hi:[1,1,0] neg_lo:[0,0,1] neg_hi:[0,0,1]
	v_pk_fma_f32 v[132:133], v[140:141], v[128:129], v[132:133] op_sel:[0,0,1] op_sel_hi:[1,0,0]
	s_delay_alu instid0(VALU_DEP_1) | instskip(SKIP_1) | instid1(VALU_DEP_1)
	v_mov_b32_e32 v145, v133
	v_pk_mul_f32 v[132:133], v[142:143], v[130:131] op_sel:[0,1]
	v_pk_fma_f32 v[140:141], v[142:143], v[128:129], v[132:133] op_sel:[0,0,1] op_sel_hi:[1,1,0] neg_lo:[0,0,1] neg_hi:[0,0,1]
	v_pk_fma_f32 v[132:133], v[142:143], v[128:129], v[132:133] op_sel:[0,0,1] op_sel_hi:[1,0,0]
	s_delay_alu instid0(VALU_DEP_1) | instskip(SKIP_1) | instid1(VALU_DEP_2)
	v_mov_b32_e32 v141, v133
	v_pk_add_f32 v[52:53], v[52:53], v[144:145] neg_lo:[0,1] neg_hi:[0,1]
	v_pk_add_f32 v[48:49], v[48:49], v[140:141] neg_lo:[0,1] neg_hi:[0,1]
	ds_load_2addr_b64 v[140:143], v135 offset0:38 offset1:39
	s_wait_dscnt 0x0
	v_pk_mul_f32 v[132:133], v[140:141], v[130:131] op_sel:[0,1]
	s_delay_alu instid0(VALU_DEP_1) | instskip(SKIP_1) | instid1(VALU_DEP_1)
	v_pk_fma_f32 v[144:145], v[140:141], v[128:129], v[132:133] op_sel:[0,0,1] op_sel_hi:[1,1,0] neg_lo:[0,0,1] neg_hi:[0,0,1]
	v_pk_fma_f32 v[132:133], v[140:141], v[128:129], v[132:133] op_sel:[0,0,1] op_sel_hi:[1,0,0]
	v_mov_b32_e32 v145, v133
	v_pk_mul_f32 v[132:133], v[142:143], v[130:131] op_sel:[0,1]
	s_delay_alu instid0(VALU_DEP_1) | instskip(SKIP_1) | instid1(VALU_DEP_1)
	v_pk_fma_f32 v[140:141], v[142:143], v[128:129], v[132:133] op_sel:[0,0,1] op_sel_hi:[1,1,0] neg_lo:[0,0,1] neg_hi:[0,0,1]
	v_pk_fma_f32 v[132:133], v[142:143], v[128:129], v[132:133] op_sel:[0,0,1] op_sel_hi:[1,0,0]
	v_mov_b32_e32 v141, v133
	v_pk_add_f32 v[50:51], v[50:51], v[144:145] neg_lo:[0,1] neg_hi:[0,1]
	s_delay_alu instid0(VALU_DEP_2) | instskip(SKIP_3) | instid1(VALU_DEP_1)
	v_pk_add_f32 v[46:47], v[46:47], v[140:141] neg_lo:[0,1] neg_hi:[0,1]
	ds_load_2addr_b64 v[140:143], v135 offset0:40 offset1:41
	s_wait_dscnt 0x0
	v_dual_mul_f32 v132, v141, v131 :: v_dual_mul_f32 v144, v141, v128
	v_pk_fma_f32 v[132:133], v[140:141], v[122:123], v[132:133] op_sel_hi:[1,1,0] neg_lo:[0,0,1] neg_hi:[0,0,1]
	s_delay_alu instid0(VALU_DEP_2) | instskip(NEXT) | instid1(VALU_DEP_1)
	v_pk_fma_f32 v[140:141], v[140:141], v[122:123], v[144:145] op_sel:[1,0,0] op_sel_hi:[0,1,0]
	v_mov_b32_e32 v133, v141
	s_delay_alu instid0(VALU_DEP_1) | instskip(SKIP_1) | instid1(VALU_DEP_1)
	v_pk_add_f32 v[42:43], v[42:43], v[132:133] neg_lo:[0,1] neg_hi:[0,1]
	v_pk_mul_f32 v[132:133], v[142:143], v[130:131] op_sel:[0,1]
	v_pk_fma_f32 v[140:141], v[142:143], v[128:129], v[132:133] op_sel:[0,0,1] op_sel_hi:[1,1,0] neg_lo:[0,0,1] neg_hi:[0,0,1]
	v_pk_fma_f32 v[132:133], v[142:143], v[128:129], v[132:133] op_sel:[0,0,1] op_sel_hi:[1,0,0]
	s_delay_alu instid0(VALU_DEP_1) | instskip(NEXT) | instid1(VALU_DEP_1)
	v_mov_b32_e32 v141, v133
	v_pk_add_f32 v[38:39], v[38:39], v[140:141] neg_lo:[0,1] neg_hi:[0,1]
	ds_load_2addr_b64 v[140:143], v135 offset0:42 offset1:43
	s_wait_dscnt 0x0
	v_pk_mul_f32 v[132:133], v[140:141], v[130:131] op_sel:[0,1]
	s_delay_alu instid0(VALU_DEP_1) | instskip(SKIP_1) | instid1(VALU_DEP_1)
	v_pk_fma_f32 v[144:145], v[140:141], v[128:129], v[132:133] op_sel:[0,0,1] op_sel_hi:[1,1,0] neg_lo:[0,0,1] neg_hi:[0,0,1]
	v_pk_fma_f32 v[132:133], v[140:141], v[128:129], v[132:133] op_sel:[0,0,1] op_sel_hi:[1,0,0]
	v_mov_b32_e32 v145, v133
	v_pk_mul_f32 v[132:133], v[142:143], v[130:131] op_sel:[0,1]
	s_delay_alu instid0(VALU_DEP_2) | instskip(NEXT) | instid1(VALU_DEP_2)
	v_pk_add_f32 v[40:41], v[40:41], v[144:145] neg_lo:[0,1] neg_hi:[0,1]
	v_pk_fma_f32 v[140:141], v[142:143], v[128:129], v[132:133] op_sel:[0,0,1] op_sel_hi:[1,1,0] neg_lo:[0,0,1] neg_hi:[0,0,1]
	v_pk_fma_f32 v[132:133], v[142:143], v[128:129], v[132:133] op_sel:[0,0,1] op_sel_hi:[1,0,0]
	s_delay_alu instid0(VALU_DEP_1) | instskip(NEXT) | instid1(VALU_DEP_1)
	v_mov_b32_e32 v141, v133
	v_pk_add_f32 v[36:37], v[36:37], v[140:141] neg_lo:[0,1] neg_hi:[0,1]
	ds_load_2addr_b64 v[140:143], v135 offset0:44 offset1:45
	s_wait_dscnt 0x0
	v_pk_mul_f32 v[132:133], v[140:141], v[130:131] op_sel:[0,1]
	s_delay_alu instid0(VALU_DEP_1) | instskip(SKIP_2) | instid1(VALU_DEP_2)
	v_pk_fma_f32 v[144:145], v[140:141], v[128:129], v[132:133] op_sel:[0,0,1] op_sel_hi:[1,1,0] neg_lo:[0,0,1] neg_hi:[0,0,1]
	v_pk_fma_f32 v[132:133], v[140:141], v[128:129], v[132:133] op_sel:[0,0,1] op_sel_hi:[1,0,0]
	v_dual_mul_f32 v140, v143, v131 :: v_dual_mov_b32 v132, v143
	v_dual_mov_b32 v145, v133 :: v_dual_mov_b32 v133, v142
	s_delay_alu instid0(VALU_DEP_2) | instskip(SKIP_1) | instid1(VALU_DEP_3)
	v_pk_fma_f32 v[140:141], v[142:143], v[122:123], v[140:141] op_sel_hi:[1,1,0] neg_lo:[0,0,1] neg_hi:[0,0,1]
	v_mul_f32_e32 v142, v143, v128
	v_pk_add_f32 v[34:35], v[34:35], v[144:145] neg_lo:[0,1] neg_hi:[0,1]
	s_delay_alu instid0(VALU_DEP_2) | instskip(NEXT) | instid1(VALU_DEP_1)
	v_pk_fma_f32 v[132:133], v[132:133], v[122:123], v[142:143] op_sel_hi:[1,1,0]
	v_mov_b32_e32 v141, v133
	s_delay_alu instid0(VALU_DEP_1) | instskip(SKIP_3) | instid1(VALU_DEP_1)
	v_pk_add_f32 v[30:31], v[30:31], v[140:141] neg_lo:[0,1] neg_hi:[0,1]
	ds_load_2addr_b64 v[140:143], v135 offset0:46 offset1:47
	s_wait_dscnt 0x0
	v_pk_mul_f32 v[132:133], v[140:141], v[130:131] op_sel:[0,1]
	v_pk_fma_f32 v[144:145], v[140:141], v[128:129], v[132:133] op_sel:[0,0,1] op_sel_hi:[1,1,0] neg_lo:[0,0,1] neg_hi:[0,0,1]
	v_pk_fma_f32 v[132:133], v[140:141], v[128:129], v[132:133] op_sel:[0,0,1] op_sel_hi:[1,0,0]
	s_delay_alu instid0(VALU_DEP_1) | instskip(SKIP_1) | instid1(VALU_DEP_1)
	v_mov_b32_e32 v145, v133
	v_pk_mul_f32 v[132:133], v[142:143], v[130:131] op_sel:[0,1]
	v_pk_fma_f32 v[140:141], v[142:143], v[128:129], v[132:133] op_sel:[0,0,1] op_sel_hi:[1,1,0] neg_lo:[0,0,1] neg_hi:[0,0,1]
	v_pk_fma_f32 v[132:133], v[142:143], v[128:129], v[132:133] op_sel:[0,0,1] op_sel_hi:[1,0,0]
	s_delay_alu instid0(VALU_DEP_1) | instskip(SKIP_1) | instid1(VALU_DEP_2)
	v_mov_b32_e32 v141, v133
	v_pk_add_f32 v[32:33], v[32:33], v[144:145] neg_lo:[0,1] neg_hi:[0,1]
	v_pk_add_f32 v[28:29], v[28:29], v[140:141] neg_lo:[0,1] neg_hi:[0,1]
	ds_load_2addr_b64 v[140:143], v135 offset0:48 offset1:49
	s_wait_dscnt 0x0
	v_pk_mul_f32 v[132:133], v[140:141], v[130:131] op_sel:[0,1]
	s_delay_alu instid0(VALU_DEP_1) | instskip(SKIP_1) | instid1(VALU_DEP_1)
	v_pk_fma_f32 v[144:145], v[140:141], v[128:129], v[132:133] op_sel:[0,0,1] op_sel_hi:[1,1,0] neg_lo:[0,0,1] neg_hi:[0,0,1]
	v_pk_fma_f32 v[132:133], v[140:141], v[128:129], v[132:133] op_sel:[0,0,1] op_sel_hi:[1,0,0]
	v_mov_b32_e32 v145, v133
	v_pk_mul_f32 v[132:133], v[142:143], v[130:131] op_sel:[0,1]
	s_delay_alu instid0(VALU_DEP_1) | instskip(SKIP_1) | instid1(VALU_DEP_1)
	v_pk_fma_f32 v[140:141], v[142:143], v[128:129], v[132:133] op_sel:[0,0,1] op_sel_hi:[1,1,0] neg_lo:[0,0,1] neg_hi:[0,0,1]
	v_pk_fma_f32 v[132:133], v[142:143], v[128:129], v[132:133] op_sel:[0,0,1] op_sel_hi:[1,0,0]
	v_mov_b32_e32 v141, v133
	v_pk_add_f32 v[26:27], v[26:27], v[144:145] neg_lo:[0,1] neg_hi:[0,1]
	s_delay_alu instid0(VALU_DEP_2) | instskip(SKIP_3) | instid1(VALU_DEP_1)
	v_pk_add_f32 v[22:23], v[22:23], v[140:141] neg_lo:[0,1] neg_hi:[0,1]
	ds_load_2addr_b64 v[140:143], v135 offset0:50 offset1:51
	s_wait_dscnt 0x0
	v_dual_mul_f32 v132, v141, v131 :: v_dual_mul_f32 v144, v141, v128
	v_pk_fma_f32 v[132:133], v[140:141], v[122:123], v[132:133] op_sel_hi:[1,1,0] neg_lo:[0,0,1] neg_hi:[0,0,1]
	s_delay_alu instid0(VALU_DEP_2) | instskip(NEXT) | instid1(VALU_DEP_1)
	v_pk_fma_f32 v[140:141], v[140:141], v[122:123], v[144:145] op_sel:[1,0,0] op_sel_hi:[0,1,0]
	v_mov_b32_e32 v133, v141
	s_delay_alu instid0(VALU_DEP_1) | instskip(SKIP_1) | instid1(VALU_DEP_1)
	v_pk_add_f32 v[24:25], v[24:25], v[132:133] neg_lo:[0,1] neg_hi:[0,1]
	v_pk_mul_f32 v[132:133], v[142:143], v[130:131] op_sel:[0,1]
	v_pk_fma_f32 v[140:141], v[142:143], v[128:129], v[132:133] op_sel:[0,0,1] op_sel_hi:[1,1,0] neg_lo:[0,0,1] neg_hi:[0,0,1]
	v_pk_fma_f32 v[132:133], v[142:143], v[128:129], v[132:133] op_sel:[0,0,1] op_sel_hi:[1,0,0]
	s_delay_alu instid0(VALU_DEP_1) | instskip(NEXT) | instid1(VALU_DEP_1)
	v_mov_b32_e32 v141, v133
	v_pk_add_f32 v[44:45], v[44:45], v[140:141] neg_lo:[0,1] neg_hi:[0,1]
	ds_load_2addr_b64 v[140:143], v135 offset0:52 offset1:53
	s_wait_dscnt 0x0
	v_pk_mul_f32 v[132:133], v[140:141], v[130:131] op_sel:[0,1]
	s_delay_alu instid0(VALU_DEP_1) | instskip(SKIP_1) | instid1(VALU_DEP_1)
	v_pk_fma_f32 v[144:145], v[140:141], v[128:129], v[132:133] op_sel:[0,0,1] op_sel_hi:[1,1,0] neg_lo:[0,0,1] neg_hi:[0,0,1]
	v_pk_fma_f32 v[132:133], v[140:141], v[128:129], v[132:133] op_sel:[0,0,1] op_sel_hi:[1,0,0]
	v_mov_b32_e32 v145, v133
	v_pk_mul_f32 v[132:133], v[142:143], v[130:131] op_sel:[0,1]
	s_delay_alu instid0(VALU_DEP_2) | instskip(NEXT) | instid1(VALU_DEP_2)
	v_pk_add_f32 v[16:17], v[16:17], v[144:145] neg_lo:[0,1] neg_hi:[0,1]
	v_pk_fma_f32 v[140:141], v[142:143], v[128:129], v[132:133] op_sel:[0,0,1] op_sel_hi:[1,1,0] neg_lo:[0,0,1] neg_hi:[0,0,1]
	v_pk_fma_f32 v[132:133], v[142:143], v[128:129], v[132:133] op_sel:[0,0,1] op_sel_hi:[1,0,0]
	s_delay_alu instid0(VALU_DEP_1) | instskip(NEXT) | instid1(VALU_DEP_1)
	v_mov_b32_e32 v141, v133
	v_pk_add_f32 v[12:13], v[12:13], v[140:141] neg_lo:[0,1] neg_hi:[0,1]
	ds_load_2addr_b64 v[140:143], v135 offset0:54 offset1:55
	s_wait_dscnt 0x0
	v_pk_mul_f32 v[132:133], v[140:141], v[130:131] op_sel:[0,1]
	s_delay_alu instid0(VALU_DEP_1) | instskip(SKIP_2) | instid1(VALU_DEP_2)
	v_pk_fma_f32 v[144:145], v[140:141], v[128:129], v[132:133] op_sel:[0,0,1] op_sel_hi:[1,1,0] neg_lo:[0,0,1] neg_hi:[0,0,1]
	v_pk_fma_f32 v[132:133], v[140:141], v[128:129], v[132:133] op_sel:[0,0,1] op_sel_hi:[1,0,0]
	v_dual_mul_f32 v140, v143, v131 :: v_dual_mov_b32 v132, v143
	v_dual_mov_b32 v145, v133 :: v_dual_mov_b32 v133, v142
	s_delay_alu instid0(VALU_DEP_2) | instskip(SKIP_1) | instid1(VALU_DEP_3)
	v_pk_fma_f32 v[140:141], v[142:143], v[122:123], v[140:141] op_sel_hi:[1,1,0] neg_lo:[0,0,1] neg_hi:[0,0,1]
	v_mul_f32_e32 v142, v143, v128
	v_pk_add_f32 v[14:15], v[14:15], v[144:145] neg_lo:[0,1] neg_hi:[0,1]
	s_delay_alu instid0(VALU_DEP_2) | instskip(NEXT) | instid1(VALU_DEP_1)
	v_pk_fma_f32 v[132:133], v[132:133], v[122:123], v[142:143] op_sel_hi:[1,1,0]
	v_mov_b32_e32 v141, v133
	s_delay_alu instid0(VALU_DEP_1) | instskip(SKIP_3) | instid1(VALU_DEP_1)
	v_pk_add_f32 v[10:11], v[10:11], v[140:141] neg_lo:[0,1] neg_hi:[0,1]
	ds_load_2addr_b64 v[140:143], v135 offset0:56 offset1:57
	s_wait_dscnt 0x0
	v_pk_mul_f32 v[132:133], v[140:141], v[130:131] op_sel:[0,1]
	v_pk_fma_f32 v[144:145], v[140:141], v[128:129], v[132:133] op_sel:[0,0,1] op_sel_hi:[1,1,0] neg_lo:[0,0,1] neg_hi:[0,0,1]
	v_pk_fma_f32 v[132:133], v[140:141], v[128:129], v[132:133] op_sel:[0,0,1] op_sel_hi:[1,0,0]
	s_delay_alu instid0(VALU_DEP_1) | instskip(SKIP_1) | instid1(VALU_DEP_1)
	v_mov_b32_e32 v145, v133
	v_pk_mul_f32 v[132:133], v[142:143], v[130:131] op_sel:[0,1]
	v_pk_fma_f32 v[140:141], v[142:143], v[128:129], v[132:133] op_sel:[0,0,1] op_sel_hi:[1,1,0] neg_lo:[0,0,1] neg_hi:[0,0,1]
	v_pk_fma_f32 v[132:133], v[142:143], v[128:129], v[132:133] op_sel:[0,0,1] op_sel_hi:[1,0,0]
	s_delay_alu instid0(VALU_DEP_1) | instskip(SKIP_1) | instid1(VALU_DEP_2)
	v_mov_b32_e32 v141, v133
	v_pk_add_f32 v[6:7], v[6:7], v[144:145] neg_lo:[0,1] neg_hi:[0,1]
	v_pk_add_f32 v[20:21], v[20:21], v[140:141] neg_lo:[0,1] neg_hi:[0,1]
	ds_load_2addr_b64 v[140:143], v135 offset0:58 offset1:59
	s_wait_dscnt 0x0
	v_pk_mul_f32 v[132:133], v[140:141], v[130:131] op_sel:[0,1]
	s_delay_alu instid0(VALU_DEP_1) | instskip(SKIP_1) | instid1(VALU_DEP_1)
	v_pk_fma_f32 v[144:145], v[140:141], v[128:129], v[132:133] op_sel:[0,0,1] op_sel_hi:[1,1,0] neg_lo:[0,0,1] neg_hi:[0,0,1]
	v_pk_fma_f32 v[132:133], v[140:141], v[128:129], v[132:133] op_sel:[0,0,1] op_sel_hi:[1,0,0]
	v_mov_b32_e32 v145, v133
	v_pk_mul_f32 v[132:133], v[142:143], v[130:131] op_sel:[0,1]
	s_delay_alu instid0(VALU_DEP_1) | instskip(SKIP_1) | instid1(VALU_DEP_1)
	v_pk_fma_f32 v[140:141], v[142:143], v[128:129], v[132:133] op_sel:[0,0,1] op_sel_hi:[1,1,0] neg_lo:[0,0,1] neg_hi:[0,0,1]
	v_pk_fma_f32 v[132:133], v[142:143], v[128:129], v[132:133] op_sel:[0,0,1] op_sel_hi:[1,0,0]
	v_mov_b32_e32 v141, v133
	ds_load_b64 v[132:133], v135 offset:480
	v_pk_add_f32 v[18:19], v[18:19], v[144:145] neg_lo:[0,1] neg_hi:[0,1]
	v_pk_add_f32 v[8:9], v[8:9], v[140:141] neg_lo:[0,1] neg_hi:[0,1]
	s_wait_dscnt 0x0
	v_pk_mul_f32 v[130:131], v[132:133], v[130:131] op_sel:[0,1]
	s_delay_alu instid0(VALU_DEP_1) | instskip(SKIP_1) | instid1(VALU_DEP_1)
	v_pk_fma_f32 v[140:141], v[132:133], v[128:129], v[130:131] op_sel:[0,0,1] op_sel_hi:[1,1,0] neg_lo:[0,0,1] neg_hi:[0,0,1]
	v_pk_fma_f32 v[128:129], v[132:133], v[128:129], v[130:131] op_sel:[0,0,1] op_sel_hi:[1,0,0]
	v_mov_b32_e32 v141, v129
	s_delay_alu instid0(VALU_DEP_1)
	v_pk_add_f32 v[126:127], v[126:127], v[140:141] neg_lo:[0,1] neg_hi:[0,1]
.LBB120_41:
	s_or_b32 exec_lo, exec_lo, s0
	v_lshl_add_u32 v128, v138, 3, v135
	s_barrier_signal -1
	s_barrier_wait -1
	ds_store_b64 v128, v[120:121]
	s_wait_dscnt 0x0
	s_barrier_signal -1
	s_barrier_wait -1
	ds_load_b64 v[130:131], v135 offset:16
	v_mov_b32_e32 v128, 2
	s_cmp_lt_i32 s18, 4
	s_mov_b32 s0, 3
	s_cbranch_scc1 .LBB120_44
; %bb.42:
	v_add3_u32 v129, v136, 0, 24
	v_mov_b32_e32 v128, 2
.LBB120_43:                             ; =>This Inner Loop Header: Depth=1
	ds_load_b64 v[132:133], v129
	s_wait_dscnt 0x1
	v_cmp_gt_f32_e32 vcc_lo, 0, v130
	v_cndmask_b32_e64 v140, v130, -v130, vcc_lo
	v_cmp_gt_f32_e32 vcc_lo, 0, v131
	v_cndmask_b32_e64 v142, v131, -v131, vcc_lo
	s_wait_dscnt 0x0
	v_cmp_gt_f32_e32 vcc_lo, 0, v132
	v_cndmask_b32_e64 v141, v132, -v132, vcc_lo
	v_cmp_gt_f32_e32 vcc_lo, 0, v133
	v_cndmask_b32_e64 v143, v133, -v133, vcc_lo
	s_delay_alu instid0(VALU_DEP_1) | instskip(NEXT) | instid1(VALU_DEP_1)
	v_pk_add_f32 v[140:141], v[140:141], v[142:143]
	v_cmp_lt_f32_e32 vcc_lo, v140, v141
	v_dual_cndmask_b32 v130, v130, v132 :: v_dual_add_nc_u32 v129, 8, v129
	v_cndmask_b32_e32 v131, v131, v133, vcc_lo
	v_cndmask_b32_e64 v128, v128, s0, vcc_lo
	s_add_co_i32 s0, s0, 1
	s_delay_alu instid0(SALU_CYCLE_1)
	s_cmp_lg_u32 s18, s0
	s_cbranch_scc1 .LBB120_43
.LBB120_44:
	s_wait_dscnt 0x0
	v_cmp_eq_f32_e32 vcc_lo, 0, v130
	v_cmp_eq_f32_e64 s0, 0, v131
	s_and_b32 s0, vcc_lo, s0
	s_delay_alu instid0(SALU_CYCLE_1) | instskip(NEXT) | instid1(SALU_CYCLE_1)
	s_and_saveexec_b32 s1, s0
	s_xor_b32 s0, exec_lo, s1
; %bb.45:
	v_cmp_ne_u32_e32 vcc_lo, 0, v134
	v_cndmask_b32_e32 v134, 3, v134, vcc_lo
; %bb.46:
	s_and_not1_saveexec_b32 s0, s0
	s_cbranch_execz .LBB120_52
; %bb.47:
	v_cmp_ngt_f32_e64 s1, |v130|, |v131|
	s_and_saveexec_b32 s12, s1
	s_delay_alu instid0(SALU_CYCLE_1)
	s_xor_b32 s1, exec_lo, s12
	s_cbranch_execz .LBB120_49
; %bb.48:
	v_div_scale_f32 v129, null, v131, v131, v130
	v_div_scale_f32 v139, vcc_lo, v130, v131, v130
	s_delay_alu instid0(VALU_DEP_2) | instskip(SKIP_1) | instid1(TRANS32_DEP_1)
	v_rcp_f32_e32 v132, v129
	v_nop
	v_fma_f32 v133, -v129, v132, 1.0
	s_delay_alu instid0(VALU_DEP_1) | instskip(NEXT) | instid1(VALU_DEP_1)
	v_fmac_f32_e32 v132, v133, v132
	v_mul_f32_e32 v133, v139, v132
	s_delay_alu instid0(VALU_DEP_1) | instskip(NEXT) | instid1(VALU_DEP_1)
	v_fma_f32 v140, -v129, v133, v139
	v_fmac_f32_e32 v133, v140, v132
	s_delay_alu instid0(VALU_DEP_1) | instskip(NEXT) | instid1(VALU_DEP_1)
	v_fma_f32 v129, -v129, v133, v139
	v_div_fmas_f32 v129, v129, v132, v133
	s_delay_alu instid0(VALU_DEP_1) | instskip(NEXT) | instid1(VALU_DEP_1)
	v_div_fixup_f32 v129, v129, v131, v130
	v_fmac_f32_e32 v131, v130, v129
	s_delay_alu instid0(VALU_DEP_1) | instskip(SKIP_1) | instid1(VALU_DEP_2)
	v_div_scale_f32 v130, null, v131, v131, 1.0
	v_div_scale_f32 v139, vcc_lo, 1.0, v131, 1.0
	v_rcp_f32_e32 v132, v130
	v_nop
	s_delay_alu instid0(TRANS32_DEP_1) | instskip(NEXT) | instid1(VALU_DEP_1)
	v_fma_f32 v133, -v130, v132, 1.0
	v_fmac_f32_e32 v132, v133, v132
	s_delay_alu instid0(VALU_DEP_1) | instskip(NEXT) | instid1(VALU_DEP_1)
	v_mul_f32_e32 v133, v139, v132
	v_fma_f32 v140, -v130, v133, v139
	s_delay_alu instid0(VALU_DEP_1) | instskip(NEXT) | instid1(VALU_DEP_1)
	v_fmac_f32_e32 v133, v140, v132
	v_fma_f32 v130, -v130, v133, v139
	s_delay_alu instid0(VALU_DEP_1) | instskip(NEXT) | instid1(VALU_DEP_1)
	v_div_fmas_f32 v130, v130, v132, v133
	v_div_fixup_f32 v131, v130, v131, 1.0
	s_delay_alu instid0(VALU_DEP_1)
	v_mul_f32_e32 v130, v129, v131
	v_xor_b32_e32 v131, 0x80000000, v131
.LBB120_49:
	s_and_not1_saveexec_b32 s1, s1
	s_cbranch_execz .LBB120_51
; %bb.50:
	s_delay_alu instid0(VALU_DEP_1) | instskip(SKIP_1) | instid1(VALU_DEP_2)
	v_div_scale_f32 v129, null, v130, v130, v131
	v_div_scale_f32 v139, vcc_lo, v131, v130, v131
	v_rcp_f32_e32 v132, v129
	v_nop
	s_delay_alu instid0(TRANS32_DEP_1) | instskip(NEXT) | instid1(VALU_DEP_1)
	v_fma_f32 v133, -v129, v132, 1.0
	v_fmac_f32_e32 v132, v133, v132
	s_delay_alu instid0(VALU_DEP_1) | instskip(NEXT) | instid1(VALU_DEP_1)
	v_mul_f32_e32 v133, v139, v132
	v_fma_f32 v140, -v129, v133, v139
	s_delay_alu instid0(VALU_DEP_1) | instskip(NEXT) | instid1(VALU_DEP_1)
	v_fmac_f32_e32 v133, v140, v132
	v_fma_f32 v129, -v129, v133, v139
	s_delay_alu instid0(VALU_DEP_1) | instskip(NEXT) | instid1(VALU_DEP_1)
	v_div_fmas_f32 v129, v129, v132, v133
	v_div_fixup_f32 v129, v129, v130, v131
	s_delay_alu instid0(VALU_DEP_1) | instskip(NEXT) | instid1(VALU_DEP_1)
	v_fmac_f32_e32 v130, v131, v129
	v_div_scale_f32 v131, null, v130, v130, 1.0
	s_delay_alu instid0(VALU_DEP_1) | instskip(SKIP_1) | instid1(TRANS32_DEP_1)
	v_rcp_f32_e32 v132, v131
	v_nop
	v_fma_f32 v133, -v131, v132, 1.0
	s_delay_alu instid0(VALU_DEP_1) | instskip(SKIP_1) | instid1(VALU_DEP_1)
	v_fmac_f32_e32 v132, v133, v132
	v_div_scale_f32 v133, vcc_lo, 1.0, v130, 1.0
	v_mul_f32_e32 v139, v133, v132
	s_delay_alu instid0(VALU_DEP_1) | instskip(NEXT) | instid1(VALU_DEP_1)
	v_fma_f32 v140, -v131, v139, v133
	v_fmac_f32_e32 v139, v140, v132
	s_delay_alu instid0(VALU_DEP_1) | instskip(NEXT) | instid1(VALU_DEP_1)
	v_fma_f32 v131, -v131, v139, v133
	v_div_fmas_f32 v131, v131, v132, v139
	s_delay_alu instid0(VALU_DEP_1) | instskip(NEXT) | instid1(VALU_DEP_1)
	v_div_fixup_f32 v130, v131, v130, 1.0
	v_mul_f32_e64 v131, v129, -v130
.LBB120_51:
	s_or_b32 exec_lo, exec_lo, s1
.LBB120_52:
	s_delay_alu instid0(SALU_CYCLE_1) | instskip(NEXT) | instid1(SALU_CYCLE_1)
	s_or_b32 exec_lo, exec_lo, s0
	s_mov_b32 s0, exec_lo
	v_cmpx_ne_u32_e64 v138, v128
	s_xor_b32 s0, exec_lo, s0
	s_cbranch_execz .LBB120_58
; %bb.53:
	s_mov_b32 s1, exec_lo
	v_cmpx_eq_u32_e32 2, v138
	s_cbranch_execz .LBB120_57
; %bb.54:
	v_cmp_ne_u32_e32 vcc_lo, 2, v128
	s_xor_b32 s12, s16, -1
	s_delay_alu instid0(SALU_CYCLE_1) | instskip(NEXT) | instid1(SALU_CYCLE_1)
	s_and_b32 s13, s12, vcc_lo
	s_and_saveexec_b32 s12, s13
	s_cbranch_execz .LBB120_56
; %bb.55:
	v_ashrrev_i32_e32 v129, 31, v128
	s_delay_alu instid0(VALU_DEP_1)
	v_lshl_add_u64 v[132:133], v[128:129], 2, v[4:5]
	s_clause 0x1
	global_load_b32 v129, v[132:133], off
	global_load_b32 v137, v[4:5], off offset:8
	s_wait_loadcnt 0x1
	global_store_b32 v[4:5], v129, off offset:8
	s_wait_loadcnt 0x0
	global_store_b32 v[132:133], v137, off
.LBB120_56:
	s_wait_xcnt 0x0
	s_or_b32 exec_lo, exec_lo, s12
	v_dual_mov_b32 v138, v128 :: v_dual_mov_b32 v137, v128
.LBB120_57:
	s_or_b32 exec_lo, exec_lo, s1
.LBB120_58:
	s_and_not1_saveexec_b32 s0, s0
	s_cbranch_execz .LBB120_60
; %bb.59:
	v_mov_b32_e32 v138, 2
	ds_store_2addr_b64 v135, v[118:119], v[116:117] offset0:3 offset1:4
	ds_store_2addr_b64 v135, v[112:113], v[114:115] offset0:5 offset1:6
	;; [unrolled: 1-line block ×29, first 2 shown]
.LBB120_60:
	s_or_b32 exec_lo, exec_lo, s0
	s_delay_alu instid0(SALU_CYCLE_1)
	s_mov_b32 s0, exec_lo
	s_wait_storecnt_dscnt 0x0
	s_barrier_signal -1
	s_barrier_wait -1
	v_cmpx_lt_i32_e32 2, v138
	s_cbranch_execz .LBB120_62
; %bb.61:
	ds_load_2addr_b64 v[140:143], v135 offset0:3 offset1:4
	v_pk_mul_f32 v[132:133], v[130:131], v[120:121] op_sel:[1,1] op_sel_hi:[0,1]
	s_delay_alu instid0(VALU_DEP_1) | instskip(SKIP_1) | instid1(VALU_DEP_1)
	v_pk_fma_f32 v[128:129], v[130:131], v[120:121], v[132:133] op_sel_hi:[1,0,1] neg_lo:[0,0,1] neg_hi:[0,0,1]
	v_pk_fma_f32 v[130:131], v[130:131], v[120:121], v[132:133] op_sel_hi:[1,0,1]
	v_dual_mov_b32 v120, v128 :: v_dual_mov_b32 v121, v131
	s_wait_dscnt 0x0
	s_delay_alu instid0(VALU_DEP_2) | instskip(NEXT) | instid1(VALU_DEP_1)
	v_pk_mul_f32 v[132:133], v[140:141], v[130:131] op_sel:[0,1]
	v_pk_fma_f32 v[144:145], v[140:141], v[128:129], v[132:133] op_sel:[0,0,1] op_sel_hi:[1,1,0] neg_lo:[0,0,1] neg_hi:[0,0,1]
	v_pk_fma_f32 v[132:133], v[140:141], v[128:129], v[132:133] op_sel:[0,0,1] op_sel_hi:[1,0,0]
	s_delay_alu instid0(VALU_DEP_1) | instskip(SKIP_1) | instid1(VALU_DEP_1)
	v_mov_b32_e32 v145, v133
	v_pk_mul_f32 v[132:133], v[142:143], v[130:131] op_sel:[0,1]
	v_pk_fma_f32 v[140:141], v[142:143], v[128:129], v[132:133] op_sel:[0,0,1] op_sel_hi:[1,1,0] neg_lo:[0,0,1] neg_hi:[0,0,1]
	v_pk_fma_f32 v[132:133], v[142:143], v[128:129], v[132:133] op_sel:[0,0,1] op_sel_hi:[1,0,0]
	s_delay_alu instid0(VALU_DEP_1) | instskip(SKIP_1) | instid1(VALU_DEP_2)
	v_mov_b32_e32 v141, v133
	v_pk_add_f32 v[118:119], v[118:119], v[144:145] neg_lo:[0,1] neg_hi:[0,1]
	v_pk_add_f32 v[116:117], v[116:117], v[140:141] neg_lo:[0,1] neg_hi:[0,1]
	ds_load_2addr_b64 v[140:143], v135 offset0:5 offset1:6
	s_wait_dscnt 0x0
	v_pk_mul_f32 v[132:133], v[140:141], v[130:131] op_sel:[0,1]
	s_delay_alu instid0(VALU_DEP_1) | instskip(SKIP_2) | instid1(VALU_DEP_2)
	v_pk_fma_f32 v[144:145], v[140:141], v[128:129], v[132:133] op_sel:[0,0,1] op_sel_hi:[1,1,0] neg_lo:[0,0,1] neg_hi:[0,0,1]
	v_pk_fma_f32 v[132:133], v[140:141], v[128:129], v[132:133] op_sel:[0,0,1] op_sel_hi:[1,0,0]
	v_dual_mul_f32 v140, v143, v131 :: v_dual_mov_b32 v132, v143
	v_dual_mov_b32 v145, v133 :: v_dual_mov_b32 v133, v142
	s_delay_alu instid0(VALU_DEP_2) | instskip(SKIP_1) | instid1(VALU_DEP_3)
	v_pk_fma_f32 v[140:141], v[142:143], v[120:121], v[140:141] op_sel_hi:[1,1,0] neg_lo:[0,0,1] neg_hi:[0,0,1]
	v_mul_f32_e32 v142, v143, v128
	v_pk_add_f32 v[112:113], v[112:113], v[144:145] neg_lo:[0,1] neg_hi:[0,1]
	s_delay_alu instid0(VALU_DEP_2) | instskip(NEXT) | instid1(VALU_DEP_1)
	v_pk_fma_f32 v[132:133], v[132:133], v[120:121], v[142:143] op_sel_hi:[1,1,0]
	v_mov_b32_e32 v141, v133
	s_delay_alu instid0(VALU_DEP_1) | instskip(SKIP_3) | instid1(VALU_DEP_1)
	v_pk_add_f32 v[114:115], v[114:115], v[140:141] neg_lo:[0,1] neg_hi:[0,1]
	ds_load_2addr_b64 v[140:143], v135 offset0:7 offset1:8
	s_wait_dscnt 0x0
	v_pk_mul_f32 v[132:133], v[140:141], v[130:131] op_sel:[0,1]
	v_pk_fma_f32 v[144:145], v[140:141], v[128:129], v[132:133] op_sel:[0,0,1] op_sel_hi:[1,1,0] neg_lo:[0,0,1] neg_hi:[0,0,1]
	v_pk_fma_f32 v[132:133], v[140:141], v[128:129], v[132:133] op_sel:[0,0,1] op_sel_hi:[1,0,0]
	s_delay_alu instid0(VALU_DEP_1) | instskip(SKIP_1) | instid1(VALU_DEP_1)
	v_mov_b32_e32 v145, v133
	v_pk_mul_f32 v[132:133], v[142:143], v[130:131] op_sel:[0,1]
	v_pk_fma_f32 v[140:141], v[142:143], v[128:129], v[132:133] op_sel:[0,0,1] op_sel_hi:[1,1,0] neg_lo:[0,0,1] neg_hi:[0,0,1]
	v_pk_fma_f32 v[132:133], v[142:143], v[128:129], v[132:133] op_sel:[0,0,1] op_sel_hi:[1,0,0]
	s_delay_alu instid0(VALU_DEP_1) | instskip(SKIP_1) | instid1(VALU_DEP_2)
	v_mov_b32_e32 v141, v133
	v_pk_add_f32 v[110:111], v[110:111], v[144:145] neg_lo:[0,1] neg_hi:[0,1]
	v_pk_add_f32 v[108:109], v[108:109], v[140:141] neg_lo:[0,1] neg_hi:[0,1]
	ds_load_2addr_b64 v[140:143], v135 offset0:9 offset1:10
	s_wait_dscnt 0x0
	v_pk_mul_f32 v[132:133], v[140:141], v[130:131] op_sel:[0,1]
	s_delay_alu instid0(VALU_DEP_1) | instskip(SKIP_1) | instid1(VALU_DEP_1)
	v_pk_fma_f32 v[144:145], v[140:141], v[128:129], v[132:133] op_sel:[0,0,1] op_sel_hi:[1,1,0] neg_lo:[0,0,1] neg_hi:[0,0,1]
	v_pk_fma_f32 v[132:133], v[140:141], v[128:129], v[132:133] op_sel:[0,0,1] op_sel_hi:[1,0,0]
	v_mov_b32_e32 v145, v133
	v_pk_mul_f32 v[132:133], v[142:143], v[130:131] op_sel:[0,1]
	s_delay_alu instid0(VALU_DEP_1) | instskip(SKIP_1) | instid1(VALU_DEP_1)
	v_pk_fma_f32 v[140:141], v[142:143], v[128:129], v[132:133] op_sel:[0,0,1] op_sel_hi:[1,1,0] neg_lo:[0,0,1] neg_hi:[0,0,1]
	v_pk_fma_f32 v[132:133], v[142:143], v[128:129], v[132:133] op_sel:[0,0,1] op_sel_hi:[1,0,0]
	v_mov_b32_e32 v141, v133
	v_pk_add_f32 v[104:105], v[104:105], v[144:145] neg_lo:[0,1] neg_hi:[0,1]
	s_delay_alu instid0(VALU_DEP_2) | instskip(SKIP_3) | instid1(VALU_DEP_1)
	v_pk_add_f32 v[106:107], v[106:107], v[140:141] neg_lo:[0,1] neg_hi:[0,1]
	ds_load_2addr_b64 v[140:143], v135 offset0:11 offset1:12
	s_wait_dscnt 0x0
	v_dual_mul_f32 v132, v141, v131 :: v_dual_mul_f32 v144, v141, v128
	v_pk_fma_f32 v[132:133], v[140:141], v[120:121], v[132:133] op_sel_hi:[1,1,0] neg_lo:[0,0,1] neg_hi:[0,0,1]
	s_delay_alu instid0(VALU_DEP_2) | instskip(NEXT) | instid1(VALU_DEP_1)
	v_pk_fma_f32 v[140:141], v[140:141], v[120:121], v[144:145] op_sel:[1,0,0] op_sel_hi:[0,1,0]
	v_mov_b32_e32 v133, v141
	s_delay_alu instid0(VALU_DEP_1) | instskip(SKIP_1) | instid1(VALU_DEP_1)
	v_pk_add_f32 v[102:103], v[102:103], v[132:133] neg_lo:[0,1] neg_hi:[0,1]
	v_pk_mul_f32 v[132:133], v[142:143], v[130:131] op_sel:[0,1]
	v_pk_fma_f32 v[140:141], v[142:143], v[128:129], v[132:133] op_sel:[0,0,1] op_sel_hi:[1,1,0] neg_lo:[0,0,1] neg_hi:[0,0,1]
	v_pk_fma_f32 v[132:133], v[142:143], v[128:129], v[132:133] op_sel:[0,0,1] op_sel_hi:[1,0,0]
	s_delay_alu instid0(VALU_DEP_1) | instskip(NEXT) | instid1(VALU_DEP_1)
	v_mov_b32_e32 v141, v133
	v_pk_add_f32 v[100:101], v[100:101], v[140:141] neg_lo:[0,1] neg_hi:[0,1]
	ds_load_2addr_b64 v[140:143], v135 offset0:13 offset1:14
	s_wait_dscnt 0x0
	v_pk_mul_f32 v[132:133], v[140:141], v[130:131] op_sel:[0,1]
	s_delay_alu instid0(VALU_DEP_1) | instskip(SKIP_1) | instid1(VALU_DEP_1)
	v_pk_fma_f32 v[144:145], v[140:141], v[128:129], v[132:133] op_sel:[0,0,1] op_sel_hi:[1,1,0] neg_lo:[0,0,1] neg_hi:[0,0,1]
	v_pk_fma_f32 v[132:133], v[140:141], v[128:129], v[132:133] op_sel:[0,0,1] op_sel_hi:[1,0,0]
	v_mov_b32_e32 v145, v133
	v_pk_mul_f32 v[132:133], v[142:143], v[130:131] op_sel:[0,1]
	s_delay_alu instid0(VALU_DEP_2) | instskip(NEXT) | instid1(VALU_DEP_2)
	v_pk_add_f32 v[96:97], v[96:97], v[144:145] neg_lo:[0,1] neg_hi:[0,1]
	v_pk_fma_f32 v[140:141], v[142:143], v[128:129], v[132:133] op_sel:[0,0,1] op_sel_hi:[1,1,0] neg_lo:[0,0,1] neg_hi:[0,0,1]
	v_pk_fma_f32 v[132:133], v[142:143], v[128:129], v[132:133] op_sel:[0,0,1] op_sel_hi:[1,0,0]
	s_delay_alu instid0(VALU_DEP_1) | instskip(NEXT) | instid1(VALU_DEP_1)
	v_mov_b32_e32 v141, v133
	v_pk_add_f32 v[98:99], v[98:99], v[140:141] neg_lo:[0,1] neg_hi:[0,1]
	ds_load_2addr_b64 v[140:143], v135 offset0:15 offset1:16
	s_wait_dscnt 0x0
	v_pk_mul_f32 v[132:133], v[140:141], v[130:131] op_sel:[0,1]
	s_delay_alu instid0(VALU_DEP_1) | instskip(SKIP_2) | instid1(VALU_DEP_2)
	v_pk_fma_f32 v[144:145], v[140:141], v[128:129], v[132:133] op_sel:[0,0,1] op_sel_hi:[1,1,0] neg_lo:[0,0,1] neg_hi:[0,0,1]
	v_pk_fma_f32 v[132:133], v[140:141], v[128:129], v[132:133] op_sel:[0,0,1] op_sel_hi:[1,0,0]
	v_dual_mul_f32 v140, v143, v131 :: v_dual_mov_b32 v132, v143
	v_dual_mov_b32 v145, v133 :: v_dual_mov_b32 v133, v142
	s_delay_alu instid0(VALU_DEP_2) | instskip(SKIP_1) | instid1(VALU_DEP_3)
	v_pk_fma_f32 v[140:141], v[142:143], v[120:121], v[140:141] op_sel_hi:[1,1,0] neg_lo:[0,0,1] neg_hi:[0,0,1]
	v_mul_f32_e32 v142, v143, v128
	v_pk_add_f32 v[94:95], v[94:95], v[144:145] neg_lo:[0,1] neg_hi:[0,1]
	s_delay_alu instid0(VALU_DEP_2) | instskip(NEXT) | instid1(VALU_DEP_1)
	v_pk_fma_f32 v[132:133], v[132:133], v[120:121], v[142:143] op_sel_hi:[1,1,0]
	v_mov_b32_e32 v141, v133
	s_delay_alu instid0(VALU_DEP_1) | instskip(SKIP_3) | instid1(VALU_DEP_1)
	v_pk_add_f32 v[92:93], v[92:93], v[140:141] neg_lo:[0,1] neg_hi:[0,1]
	ds_load_2addr_b64 v[140:143], v135 offset0:17 offset1:18
	s_wait_dscnt 0x0
	v_pk_mul_f32 v[132:133], v[140:141], v[130:131] op_sel:[0,1]
	v_pk_fma_f32 v[144:145], v[140:141], v[128:129], v[132:133] op_sel:[0,0,1] op_sel_hi:[1,1,0] neg_lo:[0,0,1] neg_hi:[0,0,1]
	v_pk_fma_f32 v[132:133], v[140:141], v[128:129], v[132:133] op_sel:[0,0,1] op_sel_hi:[1,0,0]
	s_delay_alu instid0(VALU_DEP_1) | instskip(SKIP_1) | instid1(VALU_DEP_1)
	v_mov_b32_e32 v145, v133
	v_pk_mul_f32 v[132:133], v[142:143], v[130:131] op_sel:[0,1]
	v_pk_fma_f32 v[140:141], v[142:143], v[128:129], v[132:133] op_sel:[0,0,1] op_sel_hi:[1,1,0] neg_lo:[0,0,1] neg_hi:[0,0,1]
	v_pk_fma_f32 v[132:133], v[142:143], v[128:129], v[132:133] op_sel:[0,0,1] op_sel_hi:[1,0,0]
	s_delay_alu instid0(VALU_DEP_1) | instskip(SKIP_1) | instid1(VALU_DEP_2)
	v_mov_b32_e32 v141, v133
	v_pk_add_f32 v[88:89], v[88:89], v[144:145] neg_lo:[0,1] neg_hi:[0,1]
	v_pk_add_f32 v[90:91], v[90:91], v[140:141] neg_lo:[0,1] neg_hi:[0,1]
	ds_load_2addr_b64 v[140:143], v135 offset0:19 offset1:20
	s_wait_dscnt 0x0
	v_pk_mul_f32 v[132:133], v[140:141], v[130:131] op_sel:[0,1]
	s_delay_alu instid0(VALU_DEP_1) | instskip(SKIP_1) | instid1(VALU_DEP_1)
	v_pk_fma_f32 v[144:145], v[140:141], v[128:129], v[132:133] op_sel:[0,0,1] op_sel_hi:[1,1,0] neg_lo:[0,0,1] neg_hi:[0,0,1]
	v_pk_fma_f32 v[132:133], v[140:141], v[128:129], v[132:133] op_sel:[0,0,1] op_sel_hi:[1,0,0]
	v_mov_b32_e32 v145, v133
	v_pk_mul_f32 v[132:133], v[142:143], v[130:131] op_sel:[0,1]
	s_delay_alu instid0(VALU_DEP_1) | instskip(SKIP_1) | instid1(VALU_DEP_1)
	v_pk_fma_f32 v[140:141], v[142:143], v[128:129], v[132:133] op_sel:[0,0,1] op_sel_hi:[1,1,0] neg_lo:[0,0,1] neg_hi:[0,0,1]
	v_pk_fma_f32 v[132:133], v[142:143], v[128:129], v[132:133] op_sel:[0,0,1] op_sel_hi:[1,0,0]
	v_mov_b32_e32 v141, v133
	v_pk_add_f32 v[86:87], v[86:87], v[144:145] neg_lo:[0,1] neg_hi:[0,1]
	s_delay_alu instid0(VALU_DEP_2) | instskip(SKIP_3) | instid1(VALU_DEP_1)
	v_pk_add_f32 v[84:85], v[84:85], v[140:141] neg_lo:[0,1] neg_hi:[0,1]
	ds_load_2addr_b64 v[140:143], v135 offset0:21 offset1:22
	s_wait_dscnt 0x0
	v_dual_mul_f32 v132, v141, v131 :: v_dual_mul_f32 v144, v141, v128
	v_pk_fma_f32 v[132:133], v[140:141], v[120:121], v[132:133] op_sel_hi:[1,1,0] neg_lo:[0,0,1] neg_hi:[0,0,1]
	s_delay_alu instid0(VALU_DEP_2) | instskip(NEXT) | instid1(VALU_DEP_1)
	v_pk_fma_f32 v[140:141], v[140:141], v[120:121], v[144:145] op_sel:[1,0,0] op_sel_hi:[0,1,0]
	v_mov_b32_e32 v133, v141
	s_delay_alu instid0(VALU_DEP_1) | instskip(SKIP_1) | instid1(VALU_DEP_1)
	v_pk_add_f32 v[80:81], v[80:81], v[132:133] neg_lo:[0,1] neg_hi:[0,1]
	v_pk_mul_f32 v[132:133], v[142:143], v[130:131] op_sel:[0,1]
	v_pk_fma_f32 v[140:141], v[142:143], v[128:129], v[132:133] op_sel:[0,0,1] op_sel_hi:[1,1,0] neg_lo:[0,0,1] neg_hi:[0,0,1]
	v_pk_fma_f32 v[132:133], v[142:143], v[128:129], v[132:133] op_sel:[0,0,1] op_sel_hi:[1,0,0]
	s_delay_alu instid0(VALU_DEP_1) | instskip(NEXT) | instid1(VALU_DEP_1)
	v_mov_b32_e32 v141, v133
	v_pk_add_f32 v[82:83], v[82:83], v[140:141] neg_lo:[0,1] neg_hi:[0,1]
	ds_load_2addr_b64 v[140:143], v135 offset0:23 offset1:24
	s_wait_dscnt 0x0
	v_pk_mul_f32 v[132:133], v[140:141], v[130:131] op_sel:[0,1]
	s_delay_alu instid0(VALU_DEP_1) | instskip(SKIP_1) | instid1(VALU_DEP_1)
	v_pk_fma_f32 v[144:145], v[140:141], v[128:129], v[132:133] op_sel:[0,0,1] op_sel_hi:[1,1,0] neg_lo:[0,0,1] neg_hi:[0,0,1]
	v_pk_fma_f32 v[132:133], v[140:141], v[128:129], v[132:133] op_sel:[0,0,1] op_sel_hi:[1,0,0]
	v_mov_b32_e32 v145, v133
	v_pk_mul_f32 v[132:133], v[142:143], v[130:131] op_sel:[0,1]
	s_delay_alu instid0(VALU_DEP_2) | instskip(NEXT) | instid1(VALU_DEP_2)
	v_pk_add_f32 v[78:79], v[78:79], v[144:145] neg_lo:[0,1] neg_hi:[0,1]
	v_pk_fma_f32 v[140:141], v[142:143], v[128:129], v[132:133] op_sel:[0,0,1] op_sel_hi:[1,1,0] neg_lo:[0,0,1] neg_hi:[0,0,1]
	v_pk_fma_f32 v[132:133], v[142:143], v[128:129], v[132:133] op_sel:[0,0,1] op_sel_hi:[1,0,0]
	s_delay_alu instid0(VALU_DEP_1) | instskip(NEXT) | instid1(VALU_DEP_1)
	v_mov_b32_e32 v141, v133
	v_pk_add_f32 v[76:77], v[76:77], v[140:141] neg_lo:[0,1] neg_hi:[0,1]
	ds_load_2addr_b64 v[140:143], v135 offset0:25 offset1:26
	s_wait_dscnt 0x0
	v_pk_mul_f32 v[132:133], v[140:141], v[130:131] op_sel:[0,1]
	s_delay_alu instid0(VALU_DEP_1) | instskip(SKIP_2) | instid1(VALU_DEP_2)
	v_pk_fma_f32 v[144:145], v[140:141], v[128:129], v[132:133] op_sel:[0,0,1] op_sel_hi:[1,1,0] neg_lo:[0,0,1] neg_hi:[0,0,1]
	v_pk_fma_f32 v[132:133], v[140:141], v[128:129], v[132:133] op_sel:[0,0,1] op_sel_hi:[1,0,0]
	v_dual_mul_f32 v140, v143, v131 :: v_dual_mov_b32 v132, v143
	v_dual_mov_b32 v145, v133 :: v_dual_mov_b32 v133, v142
	s_delay_alu instid0(VALU_DEP_2) | instskip(SKIP_1) | instid1(VALU_DEP_3)
	v_pk_fma_f32 v[140:141], v[142:143], v[120:121], v[140:141] op_sel_hi:[1,1,0] neg_lo:[0,0,1] neg_hi:[0,0,1]
	v_mul_f32_e32 v142, v143, v128
	v_pk_add_f32 v[72:73], v[72:73], v[144:145] neg_lo:[0,1] neg_hi:[0,1]
	s_delay_alu instid0(VALU_DEP_2) | instskip(NEXT) | instid1(VALU_DEP_1)
	v_pk_fma_f32 v[132:133], v[132:133], v[120:121], v[142:143] op_sel_hi:[1,1,0]
	v_mov_b32_e32 v141, v133
	s_delay_alu instid0(VALU_DEP_1) | instskip(SKIP_3) | instid1(VALU_DEP_1)
	v_pk_add_f32 v[74:75], v[74:75], v[140:141] neg_lo:[0,1] neg_hi:[0,1]
	ds_load_2addr_b64 v[140:143], v135 offset0:27 offset1:28
	s_wait_dscnt 0x0
	v_pk_mul_f32 v[132:133], v[140:141], v[130:131] op_sel:[0,1]
	v_pk_fma_f32 v[144:145], v[140:141], v[128:129], v[132:133] op_sel:[0,0,1] op_sel_hi:[1,1,0] neg_lo:[0,0,1] neg_hi:[0,0,1]
	v_pk_fma_f32 v[132:133], v[140:141], v[128:129], v[132:133] op_sel:[0,0,1] op_sel_hi:[1,0,0]
	s_delay_alu instid0(VALU_DEP_1) | instskip(SKIP_1) | instid1(VALU_DEP_1)
	v_mov_b32_e32 v145, v133
	v_pk_mul_f32 v[132:133], v[142:143], v[130:131] op_sel:[0,1]
	v_pk_fma_f32 v[140:141], v[142:143], v[128:129], v[132:133] op_sel:[0,0,1] op_sel_hi:[1,1,0] neg_lo:[0,0,1] neg_hi:[0,0,1]
	v_pk_fma_f32 v[132:133], v[142:143], v[128:129], v[132:133] op_sel:[0,0,1] op_sel_hi:[1,0,0]
	s_delay_alu instid0(VALU_DEP_1) | instskip(SKIP_1) | instid1(VALU_DEP_2)
	v_mov_b32_e32 v141, v133
	v_pk_add_f32 v[70:71], v[70:71], v[144:145] neg_lo:[0,1] neg_hi:[0,1]
	v_pk_add_f32 v[68:69], v[68:69], v[140:141] neg_lo:[0,1] neg_hi:[0,1]
	ds_load_2addr_b64 v[140:143], v135 offset0:29 offset1:30
	s_wait_dscnt 0x0
	v_pk_mul_f32 v[132:133], v[140:141], v[130:131] op_sel:[0,1]
	s_delay_alu instid0(VALU_DEP_1) | instskip(SKIP_1) | instid1(VALU_DEP_1)
	v_pk_fma_f32 v[144:145], v[140:141], v[128:129], v[132:133] op_sel:[0,0,1] op_sel_hi:[1,1,0] neg_lo:[0,0,1] neg_hi:[0,0,1]
	v_pk_fma_f32 v[132:133], v[140:141], v[128:129], v[132:133] op_sel:[0,0,1] op_sel_hi:[1,0,0]
	v_mov_b32_e32 v145, v133
	v_pk_mul_f32 v[132:133], v[142:143], v[130:131] op_sel:[0,1]
	s_delay_alu instid0(VALU_DEP_1) | instskip(SKIP_1) | instid1(VALU_DEP_1)
	v_pk_fma_f32 v[140:141], v[142:143], v[128:129], v[132:133] op_sel:[0,0,1] op_sel_hi:[1,1,0] neg_lo:[0,0,1] neg_hi:[0,0,1]
	v_pk_fma_f32 v[132:133], v[142:143], v[128:129], v[132:133] op_sel:[0,0,1] op_sel_hi:[1,0,0]
	v_mov_b32_e32 v141, v133
	v_pk_add_f32 v[64:65], v[64:65], v[144:145] neg_lo:[0,1] neg_hi:[0,1]
	s_delay_alu instid0(VALU_DEP_2) | instskip(SKIP_3) | instid1(VALU_DEP_1)
	v_pk_add_f32 v[66:67], v[66:67], v[140:141] neg_lo:[0,1] neg_hi:[0,1]
	ds_load_2addr_b64 v[140:143], v135 offset0:31 offset1:32
	s_wait_dscnt 0x0
	v_dual_mul_f32 v132, v141, v131 :: v_dual_mul_f32 v144, v141, v128
	v_pk_fma_f32 v[132:133], v[140:141], v[120:121], v[132:133] op_sel_hi:[1,1,0] neg_lo:[0,0,1] neg_hi:[0,0,1]
	s_delay_alu instid0(VALU_DEP_2) | instskip(NEXT) | instid1(VALU_DEP_1)
	v_pk_fma_f32 v[140:141], v[140:141], v[120:121], v[144:145] op_sel:[1,0,0] op_sel_hi:[0,1,0]
	v_mov_b32_e32 v133, v141
	s_delay_alu instid0(VALU_DEP_1) | instskip(SKIP_1) | instid1(VALU_DEP_1)
	v_pk_add_f32 v[62:63], v[62:63], v[132:133] neg_lo:[0,1] neg_hi:[0,1]
	v_pk_mul_f32 v[132:133], v[142:143], v[130:131] op_sel:[0,1]
	v_pk_fma_f32 v[140:141], v[142:143], v[128:129], v[132:133] op_sel:[0,0,1] op_sel_hi:[1,1,0] neg_lo:[0,0,1] neg_hi:[0,0,1]
	v_pk_fma_f32 v[132:133], v[142:143], v[128:129], v[132:133] op_sel:[0,0,1] op_sel_hi:[1,0,0]
	s_delay_alu instid0(VALU_DEP_1) | instskip(NEXT) | instid1(VALU_DEP_1)
	v_mov_b32_e32 v141, v133
	v_pk_add_f32 v[60:61], v[60:61], v[140:141] neg_lo:[0,1] neg_hi:[0,1]
	ds_load_2addr_b64 v[140:143], v135 offset0:33 offset1:34
	s_wait_dscnt 0x0
	v_pk_mul_f32 v[132:133], v[140:141], v[130:131] op_sel:[0,1]
	s_delay_alu instid0(VALU_DEP_1) | instskip(SKIP_1) | instid1(VALU_DEP_1)
	v_pk_fma_f32 v[144:145], v[140:141], v[128:129], v[132:133] op_sel:[0,0,1] op_sel_hi:[1,1,0] neg_lo:[0,0,1] neg_hi:[0,0,1]
	v_pk_fma_f32 v[132:133], v[140:141], v[128:129], v[132:133] op_sel:[0,0,1] op_sel_hi:[1,0,0]
	v_mov_b32_e32 v145, v133
	v_pk_mul_f32 v[132:133], v[142:143], v[130:131] op_sel:[0,1]
	s_delay_alu instid0(VALU_DEP_2) | instskip(NEXT) | instid1(VALU_DEP_2)
	v_pk_add_f32 v[56:57], v[56:57], v[144:145] neg_lo:[0,1] neg_hi:[0,1]
	v_pk_fma_f32 v[140:141], v[142:143], v[128:129], v[132:133] op_sel:[0,0,1] op_sel_hi:[1,1,0] neg_lo:[0,0,1] neg_hi:[0,0,1]
	v_pk_fma_f32 v[132:133], v[142:143], v[128:129], v[132:133] op_sel:[0,0,1] op_sel_hi:[1,0,0]
	s_delay_alu instid0(VALU_DEP_1) | instskip(NEXT) | instid1(VALU_DEP_1)
	v_mov_b32_e32 v141, v133
	v_pk_add_f32 v[58:59], v[58:59], v[140:141] neg_lo:[0,1] neg_hi:[0,1]
	ds_load_2addr_b64 v[140:143], v135 offset0:35 offset1:36
	s_wait_dscnt 0x0
	v_pk_mul_f32 v[132:133], v[140:141], v[130:131] op_sel:[0,1]
	s_delay_alu instid0(VALU_DEP_1) | instskip(SKIP_2) | instid1(VALU_DEP_2)
	v_pk_fma_f32 v[144:145], v[140:141], v[128:129], v[132:133] op_sel:[0,0,1] op_sel_hi:[1,1,0] neg_lo:[0,0,1] neg_hi:[0,0,1]
	v_pk_fma_f32 v[132:133], v[140:141], v[128:129], v[132:133] op_sel:[0,0,1] op_sel_hi:[1,0,0]
	v_dual_mul_f32 v140, v143, v131 :: v_dual_mov_b32 v132, v143
	v_dual_mov_b32 v145, v133 :: v_dual_mov_b32 v133, v142
	s_delay_alu instid0(VALU_DEP_2) | instskip(SKIP_1) | instid1(VALU_DEP_3)
	v_pk_fma_f32 v[140:141], v[142:143], v[120:121], v[140:141] op_sel_hi:[1,1,0] neg_lo:[0,0,1] neg_hi:[0,0,1]
	v_mul_f32_e32 v142, v143, v128
	v_pk_add_f32 v[54:55], v[54:55], v[144:145] neg_lo:[0,1] neg_hi:[0,1]
	s_delay_alu instid0(VALU_DEP_2) | instskip(NEXT) | instid1(VALU_DEP_1)
	v_pk_fma_f32 v[132:133], v[132:133], v[120:121], v[142:143] op_sel_hi:[1,1,0]
	v_mov_b32_e32 v141, v133
	s_delay_alu instid0(VALU_DEP_1) | instskip(SKIP_3) | instid1(VALU_DEP_1)
	v_pk_add_f32 v[52:53], v[52:53], v[140:141] neg_lo:[0,1] neg_hi:[0,1]
	ds_load_2addr_b64 v[140:143], v135 offset0:37 offset1:38
	s_wait_dscnt 0x0
	v_pk_mul_f32 v[132:133], v[140:141], v[130:131] op_sel:[0,1]
	v_pk_fma_f32 v[144:145], v[140:141], v[128:129], v[132:133] op_sel:[0,0,1] op_sel_hi:[1,1,0] neg_lo:[0,0,1] neg_hi:[0,0,1]
	v_pk_fma_f32 v[132:133], v[140:141], v[128:129], v[132:133] op_sel:[0,0,1] op_sel_hi:[1,0,0]
	s_delay_alu instid0(VALU_DEP_1) | instskip(SKIP_1) | instid1(VALU_DEP_1)
	v_mov_b32_e32 v145, v133
	v_pk_mul_f32 v[132:133], v[142:143], v[130:131] op_sel:[0,1]
	v_pk_fma_f32 v[140:141], v[142:143], v[128:129], v[132:133] op_sel:[0,0,1] op_sel_hi:[1,1,0] neg_lo:[0,0,1] neg_hi:[0,0,1]
	v_pk_fma_f32 v[132:133], v[142:143], v[128:129], v[132:133] op_sel:[0,0,1] op_sel_hi:[1,0,0]
	s_delay_alu instid0(VALU_DEP_1) | instskip(SKIP_1) | instid1(VALU_DEP_2)
	v_mov_b32_e32 v141, v133
	v_pk_add_f32 v[48:49], v[48:49], v[144:145] neg_lo:[0,1] neg_hi:[0,1]
	v_pk_add_f32 v[50:51], v[50:51], v[140:141] neg_lo:[0,1] neg_hi:[0,1]
	ds_load_2addr_b64 v[140:143], v135 offset0:39 offset1:40
	s_wait_dscnt 0x0
	v_pk_mul_f32 v[132:133], v[140:141], v[130:131] op_sel:[0,1]
	s_delay_alu instid0(VALU_DEP_1) | instskip(SKIP_1) | instid1(VALU_DEP_1)
	v_pk_fma_f32 v[144:145], v[140:141], v[128:129], v[132:133] op_sel:[0,0,1] op_sel_hi:[1,1,0] neg_lo:[0,0,1] neg_hi:[0,0,1]
	v_pk_fma_f32 v[132:133], v[140:141], v[128:129], v[132:133] op_sel:[0,0,1] op_sel_hi:[1,0,0]
	v_mov_b32_e32 v145, v133
	v_pk_mul_f32 v[132:133], v[142:143], v[130:131] op_sel:[0,1]
	s_delay_alu instid0(VALU_DEP_1) | instskip(SKIP_1) | instid1(VALU_DEP_1)
	v_pk_fma_f32 v[140:141], v[142:143], v[128:129], v[132:133] op_sel:[0,0,1] op_sel_hi:[1,1,0] neg_lo:[0,0,1] neg_hi:[0,0,1]
	v_pk_fma_f32 v[132:133], v[142:143], v[128:129], v[132:133] op_sel:[0,0,1] op_sel_hi:[1,0,0]
	v_mov_b32_e32 v141, v133
	v_pk_add_f32 v[46:47], v[46:47], v[144:145] neg_lo:[0,1] neg_hi:[0,1]
	s_delay_alu instid0(VALU_DEP_2) | instskip(SKIP_3) | instid1(VALU_DEP_1)
	v_pk_add_f32 v[42:43], v[42:43], v[140:141] neg_lo:[0,1] neg_hi:[0,1]
	ds_load_2addr_b64 v[140:143], v135 offset0:41 offset1:42
	s_wait_dscnt 0x0
	v_dual_mul_f32 v132, v141, v131 :: v_dual_mul_f32 v144, v141, v128
	v_pk_fma_f32 v[132:133], v[140:141], v[120:121], v[132:133] op_sel_hi:[1,1,0] neg_lo:[0,0,1] neg_hi:[0,0,1]
	s_delay_alu instid0(VALU_DEP_2) | instskip(NEXT) | instid1(VALU_DEP_1)
	v_pk_fma_f32 v[140:141], v[140:141], v[120:121], v[144:145] op_sel:[1,0,0] op_sel_hi:[0,1,0]
	v_mov_b32_e32 v133, v141
	s_delay_alu instid0(VALU_DEP_1) | instskip(SKIP_1) | instid1(VALU_DEP_1)
	v_pk_add_f32 v[38:39], v[38:39], v[132:133] neg_lo:[0,1] neg_hi:[0,1]
	v_pk_mul_f32 v[132:133], v[142:143], v[130:131] op_sel:[0,1]
	v_pk_fma_f32 v[140:141], v[142:143], v[128:129], v[132:133] op_sel:[0,0,1] op_sel_hi:[1,1,0] neg_lo:[0,0,1] neg_hi:[0,0,1]
	v_pk_fma_f32 v[132:133], v[142:143], v[128:129], v[132:133] op_sel:[0,0,1] op_sel_hi:[1,0,0]
	s_delay_alu instid0(VALU_DEP_1) | instskip(NEXT) | instid1(VALU_DEP_1)
	v_mov_b32_e32 v141, v133
	v_pk_add_f32 v[40:41], v[40:41], v[140:141] neg_lo:[0,1] neg_hi:[0,1]
	ds_load_2addr_b64 v[140:143], v135 offset0:43 offset1:44
	s_wait_dscnt 0x0
	v_pk_mul_f32 v[132:133], v[140:141], v[130:131] op_sel:[0,1]
	s_delay_alu instid0(VALU_DEP_1) | instskip(SKIP_1) | instid1(VALU_DEP_1)
	v_pk_fma_f32 v[144:145], v[140:141], v[128:129], v[132:133] op_sel:[0,0,1] op_sel_hi:[1,1,0] neg_lo:[0,0,1] neg_hi:[0,0,1]
	v_pk_fma_f32 v[132:133], v[140:141], v[128:129], v[132:133] op_sel:[0,0,1] op_sel_hi:[1,0,0]
	v_mov_b32_e32 v145, v133
	v_pk_mul_f32 v[132:133], v[142:143], v[130:131] op_sel:[0,1]
	s_delay_alu instid0(VALU_DEP_2) | instskip(NEXT) | instid1(VALU_DEP_2)
	v_pk_add_f32 v[36:37], v[36:37], v[144:145] neg_lo:[0,1] neg_hi:[0,1]
	v_pk_fma_f32 v[140:141], v[142:143], v[128:129], v[132:133] op_sel:[0,0,1] op_sel_hi:[1,1,0] neg_lo:[0,0,1] neg_hi:[0,0,1]
	v_pk_fma_f32 v[132:133], v[142:143], v[128:129], v[132:133] op_sel:[0,0,1] op_sel_hi:[1,0,0]
	s_delay_alu instid0(VALU_DEP_1) | instskip(NEXT) | instid1(VALU_DEP_1)
	v_mov_b32_e32 v141, v133
	v_pk_add_f32 v[34:35], v[34:35], v[140:141] neg_lo:[0,1] neg_hi:[0,1]
	ds_load_2addr_b64 v[140:143], v135 offset0:45 offset1:46
	s_wait_dscnt 0x0
	v_pk_mul_f32 v[132:133], v[140:141], v[130:131] op_sel:[0,1]
	s_delay_alu instid0(VALU_DEP_1) | instskip(SKIP_2) | instid1(VALU_DEP_2)
	v_pk_fma_f32 v[144:145], v[140:141], v[128:129], v[132:133] op_sel:[0,0,1] op_sel_hi:[1,1,0] neg_lo:[0,0,1] neg_hi:[0,0,1]
	v_pk_fma_f32 v[132:133], v[140:141], v[128:129], v[132:133] op_sel:[0,0,1] op_sel_hi:[1,0,0]
	v_dual_mul_f32 v140, v143, v131 :: v_dual_mov_b32 v132, v143
	v_dual_mov_b32 v145, v133 :: v_dual_mov_b32 v133, v142
	s_delay_alu instid0(VALU_DEP_2) | instskip(SKIP_1) | instid1(VALU_DEP_3)
	v_pk_fma_f32 v[140:141], v[142:143], v[120:121], v[140:141] op_sel_hi:[1,1,0] neg_lo:[0,0,1] neg_hi:[0,0,1]
	v_mul_f32_e32 v142, v143, v128
	v_pk_add_f32 v[30:31], v[30:31], v[144:145] neg_lo:[0,1] neg_hi:[0,1]
	s_delay_alu instid0(VALU_DEP_2) | instskip(NEXT) | instid1(VALU_DEP_1)
	v_pk_fma_f32 v[132:133], v[132:133], v[120:121], v[142:143] op_sel_hi:[1,1,0]
	v_mov_b32_e32 v141, v133
	s_delay_alu instid0(VALU_DEP_1) | instskip(SKIP_3) | instid1(VALU_DEP_1)
	v_pk_add_f32 v[32:33], v[32:33], v[140:141] neg_lo:[0,1] neg_hi:[0,1]
	ds_load_2addr_b64 v[140:143], v135 offset0:47 offset1:48
	s_wait_dscnt 0x0
	v_pk_mul_f32 v[132:133], v[140:141], v[130:131] op_sel:[0,1]
	v_pk_fma_f32 v[144:145], v[140:141], v[128:129], v[132:133] op_sel:[0,0,1] op_sel_hi:[1,1,0] neg_lo:[0,0,1] neg_hi:[0,0,1]
	v_pk_fma_f32 v[132:133], v[140:141], v[128:129], v[132:133] op_sel:[0,0,1] op_sel_hi:[1,0,0]
	s_delay_alu instid0(VALU_DEP_1) | instskip(SKIP_1) | instid1(VALU_DEP_1)
	v_mov_b32_e32 v145, v133
	v_pk_mul_f32 v[132:133], v[142:143], v[130:131] op_sel:[0,1]
	v_pk_fma_f32 v[140:141], v[142:143], v[128:129], v[132:133] op_sel:[0,0,1] op_sel_hi:[1,1,0] neg_lo:[0,0,1] neg_hi:[0,0,1]
	v_pk_fma_f32 v[132:133], v[142:143], v[128:129], v[132:133] op_sel:[0,0,1] op_sel_hi:[1,0,0]
	s_delay_alu instid0(VALU_DEP_1) | instskip(SKIP_1) | instid1(VALU_DEP_2)
	v_mov_b32_e32 v141, v133
	v_pk_add_f32 v[28:29], v[28:29], v[144:145] neg_lo:[0,1] neg_hi:[0,1]
	v_pk_add_f32 v[26:27], v[26:27], v[140:141] neg_lo:[0,1] neg_hi:[0,1]
	ds_load_2addr_b64 v[140:143], v135 offset0:49 offset1:50
	s_wait_dscnt 0x0
	v_pk_mul_f32 v[132:133], v[140:141], v[130:131] op_sel:[0,1]
	s_delay_alu instid0(VALU_DEP_1) | instskip(SKIP_1) | instid1(VALU_DEP_1)
	v_pk_fma_f32 v[144:145], v[140:141], v[128:129], v[132:133] op_sel:[0,0,1] op_sel_hi:[1,1,0] neg_lo:[0,0,1] neg_hi:[0,0,1]
	v_pk_fma_f32 v[132:133], v[140:141], v[128:129], v[132:133] op_sel:[0,0,1] op_sel_hi:[1,0,0]
	v_mov_b32_e32 v145, v133
	v_pk_mul_f32 v[132:133], v[142:143], v[130:131] op_sel:[0,1]
	s_delay_alu instid0(VALU_DEP_1) | instskip(SKIP_1) | instid1(VALU_DEP_1)
	v_pk_fma_f32 v[140:141], v[142:143], v[128:129], v[132:133] op_sel:[0,0,1] op_sel_hi:[1,1,0] neg_lo:[0,0,1] neg_hi:[0,0,1]
	v_pk_fma_f32 v[132:133], v[142:143], v[128:129], v[132:133] op_sel:[0,0,1] op_sel_hi:[1,0,0]
	v_mov_b32_e32 v141, v133
	v_pk_add_f32 v[22:23], v[22:23], v[144:145] neg_lo:[0,1] neg_hi:[0,1]
	s_delay_alu instid0(VALU_DEP_2) | instskip(SKIP_3) | instid1(VALU_DEP_1)
	v_pk_add_f32 v[24:25], v[24:25], v[140:141] neg_lo:[0,1] neg_hi:[0,1]
	ds_load_2addr_b64 v[140:143], v135 offset0:51 offset1:52
	s_wait_dscnt 0x0
	v_dual_mul_f32 v132, v141, v131 :: v_dual_mul_f32 v144, v141, v128
	v_pk_fma_f32 v[132:133], v[140:141], v[120:121], v[132:133] op_sel_hi:[1,1,0] neg_lo:[0,0,1] neg_hi:[0,0,1]
	s_delay_alu instid0(VALU_DEP_2) | instskip(NEXT) | instid1(VALU_DEP_1)
	v_pk_fma_f32 v[140:141], v[140:141], v[120:121], v[144:145] op_sel:[1,0,0] op_sel_hi:[0,1,0]
	v_mov_b32_e32 v133, v141
	s_delay_alu instid0(VALU_DEP_1) | instskip(SKIP_1) | instid1(VALU_DEP_1)
	v_pk_add_f32 v[44:45], v[44:45], v[132:133] neg_lo:[0,1] neg_hi:[0,1]
	v_pk_mul_f32 v[132:133], v[142:143], v[130:131] op_sel:[0,1]
	v_pk_fma_f32 v[140:141], v[142:143], v[128:129], v[132:133] op_sel:[0,0,1] op_sel_hi:[1,1,0] neg_lo:[0,0,1] neg_hi:[0,0,1]
	v_pk_fma_f32 v[132:133], v[142:143], v[128:129], v[132:133] op_sel:[0,0,1] op_sel_hi:[1,0,0]
	s_delay_alu instid0(VALU_DEP_1) | instskip(NEXT) | instid1(VALU_DEP_1)
	v_mov_b32_e32 v141, v133
	v_pk_add_f32 v[16:17], v[16:17], v[140:141] neg_lo:[0,1] neg_hi:[0,1]
	ds_load_2addr_b64 v[140:143], v135 offset0:53 offset1:54
	s_wait_dscnt 0x0
	v_pk_mul_f32 v[132:133], v[140:141], v[130:131] op_sel:[0,1]
	s_delay_alu instid0(VALU_DEP_1) | instskip(SKIP_1) | instid1(VALU_DEP_1)
	v_pk_fma_f32 v[144:145], v[140:141], v[128:129], v[132:133] op_sel:[0,0,1] op_sel_hi:[1,1,0] neg_lo:[0,0,1] neg_hi:[0,0,1]
	v_pk_fma_f32 v[132:133], v[140:141], v[128:129], v[132:133] op_sel:[0,0,1] op_sel_hi:[1,0,0]
	v_mov_b32_e32 v145, v133
	v_pk_mul_f32 v[132:133], v[142:143], v[130:131] op_sel:[0,1]
	s_delay_alu instid0(VALU_DEP_2) | instskip(NEXT) | instid1(VALU_DEP_2)
	v_pk_add_f32 v[12:13], v[12:13], v[144:145] neg_lo:[0,1] neg_hi:[0,1]
	v_pk_fma_f32 v[140:141], v[142:143], v[128:129], v[132:133] op_sel:[0,0,1] op_sel_hi:[1,1,0] neg_lo:[0,0,1] neg_hi:[0,0,1]
	v_pk_fma_f32 v[132:133], v[142:143], v[128:129], v[132:133] op_sel:[0,0,1] op_sel_hi:[1,0,0]
	s_delay_alu instid0(VALU_DEP_1) | instskip(NEXT) | instid1(VALU_DEP_1)
	v_mov_b32_e32 v141, v133
	v_pk_add_f32 v[14:15], v[14:15], v[140:141] neg_lo:[0,1] neg_hi:[0,1]
	ds_load_2addr_b64 v[140:143], v135 offset0:55 offset1:56
	s_wait_dscnt 0x0
	v_pk_mul_f32 v[132:133], v[140:141], v[130:131] op_sel:[0,1]
	s_delay_alu instid0(VALU_DEP_1) | instskip(SKIP_2) | instid1(VALU_DEP_2)
	v_pk_fma_f32 v[144:145], v[140:141], v[128:129], v[132:133] op_sel:[0,0,1] op_sel_hi:[1,1,0] neg_lo:[0,0,1] neg_hi:[0,0,1]
	v_pk_fma_f32 v[132:133], v[140:141], v[128:129], v[132:133] op_sel:[0,0,1] op_sel_hi:[1,0,0]
	v_dual_mul_f32 v140, v143, v131 :: v_dual_mov_b32 v132, v143
	v_dual_mov_b32 v145, v133 :: v_dual_mov_b32 v133, v142
	s_delay_alu instid0(VALU_DEP_2) | instskip(SKIP_1) | instid1(VALU_DEP_3)
	v_pk_fma_f32 v[140:141], v[142:143], v[120:121], v[140:141] op_sel_hi:[1,1,0] neg_lo:[0,0,1] neg_hi:[0,0,1]
	v_mul_f32_e32 v142, v143, v128
	v_pk_add_f32 v[10:11], v[10:11], v[144:145] neg_lo:[0,1] neg_hi:[0,1]
	s_delay_alu instid0(VALU_DEP_2) | instskip(NEXT) | instid1(VALU_DEP_1)
	v_pk_fma_f32 v[132:133], v[132:133], v[120:121], v[142:143] op_sel_hi:[1,1,0]
	v_mov_b32_e32 v141, v133
	s_delay_alu instid0(VALU_DEP_1) | instskip(SKIP_3) | instid1(VALU_DEP_1)
	v_pk_add_f32 v[6:7], v[6:7], v[140:141] neg_lo:[0,1] neg_hi:[0,1]
	ds_load_2addr_b64 v[140:143], v135 offset0:57 offset1:58
	s_wait_dscnt 0x0
	v_pk_mul_f32 v[132:133], v[140:141], v[130:131] op_sel:[0,1]
	v_pk_fma_f32 v[144:145], v[140:141], v[128:129], v[132:133] op_sel:[0,0,1] op_sel_hi:[1,1,0] neg_lo:[0,0,1] neg_hi:[0,0,1]
	v_pk_fma_f32 v[132:133], v[140:141], v[128:129], v[132:133] op_sel:[0,0,1] op_sel_hi:[1,0,0]
	s_delay_alu instid0(VALU_DEP_1) | instskip(SKIP_1) | instid1(VALU_DEP_1)
	v_mov_b32_e32 v145, v133
	v_pk_mul_f32 v[132:133], v[142:143], v[130:131] op_sel:[0,1]
	v_pk_fma_f32 v[140:141], v[142:143], v[128:129], v[132:133] op_sel:[0,0,1] op_sel_hi:[1,1,0] neg_lo:[0,0,1] neg_hi:[0,0,1]
	v_pk_fma_f32 v[132:133], v[142:143], v[128:129], v[132:133] op_sel:[0,0,1] op_sel_hi:[1,0,0]
	s_delay_alu instid0(VALU_DEP_1) | instskip(SKIP_1) | instid1(VALU_DEP_2)
	v_mov_b32_e32 v141, v133
	v_pk_add_f32 v[20:21], v[20:21], v[144:145] neg_lo:[0,1] neg_hi:[0,1]
	v_pk_add_f32 v[18:19], v[18:19], v[140:141] neg_lo:[0,1] neg_hi:[0,1]
	ds_load_2addr_b64 v[140:143], v135 offset0:59 offset1:60
	s_wait_dscnt 0x0
	v_pk_mul_f32 v[132:133], v[140:141], v[130:131] op_sel:[0,1]
	v_pk_mul_f32 v[130:131], v[142:143], v[130:131] op_sel:[0,1]
	s_delay_alu instid0(VALU_DEP_2) | instskip(SKIP_1) | instid1(VALU_DEP_1)
	v_pk_fma_f32 v[144:145], v[140:141], v[128:129], v[132:133] op_sel:[0,0,1] op_sel_hi:[1,1,0] neg_lo:[0,0,1] neg_hi:[0,0,1]
	v_pk_fma_f32 v[132:133], v[140:141], v[128:129], v[132:133] op_sel:[0,0,1] op_sel_hi:[1,0,0]
	v_mov_b32_e32 v145, v133
	s_delay_alu instid0(VALU_DEP_4) | instskip(SKIP_1) | instid1(VALU_DEP_1)
	v_pk_fma_f32 v[132:133], v[142:143], v[128:129], v[130:131] op_sel:[0,0,1] op_sel_hi:[1,1,0] neg_lo:[0,0,1] neg_hi:[0,0,1]
	v_pk_fma_f32 v[128:129], v[142:143], v[128:129], v[130:131] op_sel:[0,0,1] op_sel_hi:[1,0,0]
	v_mov_b32_e32 v133, v129
	s_delay_alu instid0(VALU_DEP_4) | instskip(NEXT) | instid1(VALU_DEP_2)
	v_pk_add_f32 v[8:9], v[8:9], v[144:145] neg_lo:[0,1] neg_hi:[0,1]
	v_pk_add_f32 v[126:127], v[126:127], v[132:133] neg_lo:[0,1] neg_hi:[0,1]
.LBB120_62:
	s_or_b32 exec_lo, exec_lo, s0
	v_lshl_add_u32 v128, v138, 3, v135
	s_barrier_signal -1
	s_barrier_wait -1
	ds_store_b64 v128, v[118:119]
	s_wait_dscnt 0x0
	s_barrier_signal -1
	s_barrier_wait -1
	ds_load_b64 v[130:131], v135 offset:24
	v_mov_b32_e32 v128, 3
	s_cmp_lt_i32 s18, 5
	s_cbranch_scc1 .LBB120_65
; %bb.63:
	v_mov_b32_e32 v128, 3
	v_add3_u32 v129, v136, 0, 32
	s_mov_b32 s0, 4
.LBB120_64:                             ; =>This Inner Loop Header: Depth=1
	ds_load_b64 v[132:133], v129
	s_wait_dscnt 0x1
	v_cmp_gt_f32_e32 vcc_lo, 0, v130
	v_cndmask_b32_e64 v140, v130, -v130, vcc_lo
	v_cmp_gt_f32_e32 vcc_lo, 0, v131
	v_cndmask_b32_e64 v142, v131, -v131, vcc_lo
	s_wait_dscnt 0x0
	v_cmp_gt_f32_e32 vcc_lo, 0, v132
	v_cndmask_b32_e64 v141, v132, -v132, vcc_lo
	v_cmp_gt_f32_e32 vcc_lo, 0, v133
	v_cndmask_b32_e64 v143, v133, -v133, vcc_lo
	s_delay_alu instid0(VALU_DEP_1) | instskip(NEXT) | instid1(VALU_DEP_1)
	v_pk_add_f32 v[140:141], v[140:141], v[142:143]
	v_cmp_lt_f32_e32 vcc_lo, v140, v141
	v_dual_cndmask_b32 v130, v130, v132 :: v_dual_add_nc_u32 v129, 8, v129
	v_cndmask_b32_e32 v131, v131, v133, vcc_lo
	v_cndmask_b32_e64 v128, v128, s0, vcc_lo
	s_add_co_i32 s0, s0, 1
	s_delay_alu instid0(SALU_CYCLE_1)
	s_cmp_lg_u32 s18, s0
	s_cbranch_scc1 .LBB120_64
.LBB120_65:
	s_wait_dscnt 0x0
	v_cmp_eq_f32_e32 vcc_lo, 0, v130
	v_cmp_eq_f32_e64 s0, 0, v131
	s_and_b32 s0, vcc_lo, s0
	s_delay_alu instid0(SALU_CYCLE_1) | instskip(NEXT) | instid1(SALU_CYCLE_1)
	s_and_saveexec_b32 s1, s0
	s_xor_b32 s0, exec_lo, s1
; %bb.66:
	v_cmp_ne_u32_e32 vcc_lo, 0, v134
	v_cndmask_b32_e32 v134, 4, v134, vcc_lo
; %bb.67:
	s_and_not1_saveexec_b32 s0, s0
	s_cbranch_execz .LBB120_73
; %bb.68:
	v_cmp_ngt_f32_e64 s1, |v130|, |v131|
	s_and_saveexec_b32 s12, s1
	s_delay_alu instid0(SALU_CYCLE_1)
	s_xor_b32 s1, exec_lo, s12
	s_cbranch_execz .LBB120_70
; %bb.69:
	v_div_scale_f32 v129, null, v131, v131, v130
	v_div_scale_f32 v139, vcc_lo, v130, v131, v130
	s_delay_alu instid0(VALU_DEP_2) | instskip(SKIP_1) | instid1(TRANS32_DEP_1)
	v_rcp_f32_e32 v132, v129
	v_nop
	v_fma_f32 v133, -v129, v132, 1.0
	s_delay_alu instid0(VALU_DEP_1) | instskip(NEXT) | instid1(VALU_DEP_1)
	v_fmac_f32_e32 v132, v133, v132
	v_mul_f32_e32 v133, v139, v132
	s_delay_alu instid0(VALU_DEP_1) | instskip(NEXT) | instid1(VALU_DEP_1)
	v_fma_f32 v140, -v129, v133, v139
	v_fmac_f32_e32 v133, v140, v132
	s_delay_alu instid0(VALU_DEP_1) | instskip(NEXT) | instid1(VALU_DEP_1)
	v_fma_f32 v129, -v129, v133, v139
	v_div_fmas_f32 v129, v129, v132, v133
	s_delay_alu instid0(VALU_DEP_1) | instskip(NEXT) | instid1(VALU_DEP_1)
	v_div_fixup_f32 v129, v129, v131, v130
	v_fmac_f32_e32 v131, v130, v129
	s_delay_alu instid0(VALU_DEP_1) | instskip(SKIP_1) | instid1(VALU_DEP_2)
	v_div_scale_f32 v130, null, v131, v131, 1.0
	v_div_scale_f32 v139, vcc_lo, 1.0, v131, 1.0
	v_rcp_f32_e32 v132, v130
	v_nop
	s_delay_alu instid0(TRANS32_DEP_1) | instskip(NEXT) | instid1(VALU_DEP_1)
	v_fma_f32 v133, -v130, v132, 1.0
	v_fmac_f32_e32 v132, v133, v132
	s_delay_alu instid0(VALU_DEP_1) | instskip(NEXT) | instid1(VALU_DEP_1)
	v_mul_f32_e32 v133, v139, v132
	v_fma_f32 v140, -v130, v133, v139
	s_delay_alu instid0(VALU_DEP_1) | instskip(NEXT) | instid1(VALU_DEP_1)
	v_fmac_f32_e32 v133, v140, v132
	v_fma_f32 v130, -v130, v133, v139
	s_delay_alu instid0(VALU_DEP_1) | instskip(NEXT) | instid1(VALU_DEP_1)
	v_div_fmas_f32 v130, v130, v132, v133
	v_div_fixup_f32 v131, v130, v131, 1.0
	s_delay_alu instid0(VALU_DEP_1)
	v_mul_f32_e32 v130, v129, v131
	v_xor_b32_e32 v131, 0x80000000, v131
.LBB120_70:
	s_and_not1_saveexec_b32 s1, s1
	s_cbranch_execz .LBB120_72
; %bb.71:
	s_delay_alu instid0(VALU_DEP_1) | instskip(SKIP_1) | instid1(VALU_DEP_2)
	v_div_scale_f32 v129, null, v130, v130, v131
	v_div_scale_f32 v139, vcc_lo, v131, v130, v131
	v_rcp_f32_e32 v132, v129
	v_nop
	s_delay_alu instid0(TRANS32_DEP_1) | instskip(NEXT) | instid1(VALU_DEP_1)
	v_fma_f32 v133, -v129, v132, 1.0
	v_fmac_f32_e32 v132, v133, v132
	s_delay_alu instid0(VALU_DEP_1) | instskip(NEXT) | instid1(VALU_DEP_1)
	v_mul_f32_e32 v133, v139, v132
	v_fma_f32 v140, -v129, v133, v139
	s_delay_alu instid0(VALU_DEP_1) | instskip(NEXT) | instid1(VALU_DEP_1)
	v_fmac_f32_e32 v133, v140, v132
	v_fma_f32 v129, -v129, v133, v139
	s_delay_alu instid0(VALU_DEP_1) | instskip(NEXT) | instid1(VALU_DEP_1)
	v_div_fmas_f32 v129, v129, v132, v133
	v_div_fixup_f32 v129, v129, v130, v131
	s_delay_alu instid0(VALU_DEP_1) | instskip(NEXT) | instid1(VALU_DEP_1)
	v_fmac_f32_e32 v130, v131, v129
	v_div_scale_f32 v131, null, v130, v130, 1.0
	s_delay_alu instid0(VALU_DEP_1) | instskip(SKIP_1) | instid1(TRANS32_DEP_1)
	v_rcp_f32_e32 v132, v131
	v_nop
	v_fma_f32 v133, -v131, v132, 1.0
	s_delay_alu instid0(VALU_DEP_1) | instskip(SKIP_1) | instid1(VALU_DEP_1)
	v_fmac_f32_e32 v132, v133, v132
	v_div_scale_f32 v133, vcc_lo, 1.0, v130, 1.0
	v_mul_f32_e32 v139, v133, v132
	s_delay_alu instid0(VALU_DEP_1) | instskip(NEXT) | instid1(VALU_DEP_1)
	v_fma_f32 v140, -v131, v139, v133
	v_fmac_f32_e32 v139, v140, v132
	s_delay_alu instid0(VALU_DEP_1) | instskip(NEXT) | instid1(VALU_DEP_1)
	v_fma_f32 v131, -v131, v139, v133
	v_div_fmas_f32 v131, v131, v132, v139
	s_delay_alu instid0(VALU_DEP_1) | instskip(NEXT) | instid1(VALU_DEP_1)
	v_div_fixup_f32 v130, v131, v130, 1.0
	v_mul_f32_e64 v131, v129, -v130
.LBB120_72:
	s_or_b32 exec_lo, exec_lo, s1
.LBB120_73:
	s_delay_alu instid0(SALU_CYCLE_1) | instskip(NEXT) | instid1(SALU_CYCLE_1)
	s_or_b32 exec_lo, exec_lo, s0
	s_mov_b32 s0, exec_lo
	v_cmpx_ne_u32_e64 v138, v128
	s_xor_b32 s0, exec_lo, s0
	s_cbranch_execz .LBB120_79
; %bb.74:
	s_mov_b32 s1, exec_lo
	v_cmpx_eq_u32_e32 3, v138
	s_cbranch_execz .LBB120_78
; %bb.75:
	v_cmp_ne_u32_e32 vcc_lo, 3, v128
	s_xor_b32 s12, s16, -1
	s_delay_alu instid0(SALU_CYCLE_1) | instskip(NEXT) | instid1(SALU_CYCLE_1)
	s_and_b32 s13, s12, vcc_lo
	s_and_saveexec_b32 s12, s13
	s_cbranch_execz .LBB120_77
; %bb.76:
	v_ashrrev_i32_e32 v129, 31, v128
	s_delay_alu instid0(VALU_DEP_1)
	v_lshl_add_u64 v[132:133], v[128:129], 2, v[4:5]
	s_clause 0x1
	global_load_b32 v129, v[132:133], off
	global_load_b32 v137, v[4:5], off offset:12
	s_wait_loadcnt 0x1
	global_store_b32 v[4:5], v129, off offset:12
	s_wait_loadcnt 0x0
	global_store_b32 v[132:133], v137, off
.LBB120_77:
	s_wait_xcnt 0x0
	s_or_b32 exec_lo, exec_lo, s12
	v_dual_mov_b32 v138, v128 :: v_dual_mov_b32 v137, v128
.LBB120_78:
	s_or_b32 exec_lo, exec_lo, s1
.LBB120_79:
	s_and_not1_saveexec_b32 s0, s0
	s_cbranch_execz .LBB120_81
; %bb.80:
	v_dual_mov_b32 v128, v116 :: v_dual_mov_b32 v129, v117
	v_dual_mov_b32 v132, v112 :: v_dual_mov_b32 v133, v113
	v_dual_mov_b32 v138, v114 :: v_dual_mov_b32 v139, v115
	v_dual_mov_b32 v140, v110 :: v_dual_mov_b32 v141, v111
	v_dual_mov_b32 v142, v108 :: v_dual_mov_b32 v143, v109
	v_dual_mov_b32 v144, v104 :: v_dual_mov_b32 v145, v105
	v_dual_mov_b32 v146, v106 :: v_dual_mov_b32 v147, v107
	v_dual_mov_b32 v148, v102 :: v_dual_mov_b32 v149, v103
	v_dual_mov_b32 v150, v100 :: v_dual_mov_b32 v151, v101
	v_dual_mov_b32 v152, v96 :: v_dual_mov_b32 v153, v97
	v_dual_mov_b32 v154, v98 :: v_dual_mov_b32 v155, v99
	v_dual_mov_b32 v156, v94 :: v_dual_mov_b32 v157, v95
	ds_store_2addr_b64 v135, v[128:129], v[132:133] offset0:4 offset1:5
	ds_store_2addr_b64 v135, v[138:139], v[140:141] offset0:6 offset1:7
	ds_store_2addr_b64 v135, v[142:143], v[144:145] offset0:8 offset1:9
	ds_store_2addr_b64 v135, v[146:147], v[148:149] offset0:10 offset1:11
	ds_store_2addr_b64 v135, v[150:151], v[152:153] offset0:12 offset1:13
	ds_store_2addr_b64 v135, v[154:155], v[156:157] offset0:14 offset1:15
	v_dual_mov_b32 v128, v92 :: v_dual_mov_b32 v129, v93
	v_dual_mov_b32 v132, v88 :: v_dual_mov_b32 v133, v89
	v_dual_mov_b32 v138, v90 :: v_dual_mov_b32 v139, v91
	v_dual_mov_b32 v140, v86 :: v_dual_mov_b32 v141, v87
	v_dual_mov_b32 v142, v84 :: v_dual_mov_b32 v143, v85
	v_dual_mov_b32 v144, v80 :: v_dual_mov_b32 v145, v81
	v_dual_mov_b32 v146, v82 :: v_dual_mov_b32 v147, v83
	v_dual_mov_b32 v148, v78 :: v_dual_mov_b32 v149, v79
	v_dual_mov_b32 v150, v76 :: v_dual_mov_b32 v151, v77
	v_dual_mov_b32 v152, v72 :: v_dual_mov_b32 v153, v73
	v_dual_mov_b32 v154, v74 :: v_dual_mov_b32 v155, v75
	v_dual_mov_b32 v156, v70 :: v_dual_mov_b32 v157, v71
	ds_store_2addr_b64 v135, v[128:129], v[132:133] offset0:16 offset1:17
	ds_store_2addr_b64 v135, v[138:139], v[140:141] offset0:18 offset1:19
	ds_store_2addr_b64 v135, v[142:143], v[144:145] offset0:20 offset1:21
	ds_store_2addr_b64 v135, v[146:147], v[148:149] offset0:22 offset1:23
	ds_store_2addr_b64 v135, v[150:151], v[152:153] offset0:24 offset1:25
	ds_store_2addr_b64 v135, v[154:155], v[156:157] offset0:26 offset1:27
	;; [unrolled: 18-line block ×4, first 2 shown]
	v_dual_mov_b32 v128, v16 :: v_dual_mov_b32 v129, v17
	v_dual_mov_b32 v132, v12 :: v_dual_mov_b32 v133, v13
	;; [unrolled: 1-line block ×8, first 2 shown]
	v_mov_b32_e32 v151, v9
	ds_store_2addr_b64 v135, v[128:129], v[132:133] offset0:52 offset1:53
	ds_store_2addr_b64 v135, v[140:141], v[142:143] offset0:54 offset1:55
	ds_store_2addr_b64 v135, v[144:145], v[146:147] offset0:56 offset1:57
	ds_store_2addr_b64 v135, v[148:149], v[150:151] offset0:58 offset1:59
	ds_store_b64 v135, v[126:127] offset:480
.LBB120_81:
	s_or_b32 exec_lo, exec_lo, s0
	s_delay_alu instid0(SALU_CYCLE_1)
	s_mov_b32 s0, exec_lo
	s_wait_storecnt_dscnt 0x0
	s_barrier_signal -1
	s_barrier_wait -1
	v_cmpx_lt_i32_e32 3, v138
	s_cbranch_execz .LBB120_83
; %bb.82:
	ds_load_2addr_b64 v[140:143], v135 offset0:4 offset1:5
	v_pk_mul_f32 v[132:133], v[130:131], v[118:119] op_sel:[1,1] op_sel_hi:[0,1]
	s_delay_alu instid0(VALU_DEP_1) | instskip(SKIP_1) | instid1(VALU_DEP_1)
	v_pk_fma_f32 v[128:129], v[130:131], v[118:119], v[132:133] op_sel_hi:[1,0,1] neg_lo:[0,0,1] neg_hi:[0,0,1]
	v_pk_fma_f32 v[130:131], v[130:131], v[118:119], v[132:133] op_sel_hi:[1,0,1]
	v_dual_mov_b32 v118, v128 :: v_dual_mov_b32 v119, v131
	s_wait_dscnt 0x0
	s_delay_alu instid0(VALU_DEP_2) | instskip(NEXT) | instid1(VALU_DEP_1)
	v_pk_mul_f32 v[132:133], v[140:141], v[130:131] op_sel:[0,1]
	v_pk_fma_f32 v[144:145], v[140:141], v[128:129], v[132:133] op_sel:[0,0,1] op_sel_hi:[1,1,0] neg_lo:[0,0,1] neg_hi:[0,0,1]
	v_pk_fma_f32 v[132:133], v[140:141], v[128:129], v[132:133] op_sel:[0,0,1] op_sel_hi:[1,0,0]
	s_delay_alu instid0(VALU_DEP_1) | instskip(SKIP_1) | instid1(VALU_DEP_1)
	v_mov_b32_e32 v145, v133
	v_pk_mul_f32 v[132:133], v[142:143], v[130:131] op_sel:[0,1]
	v_pk_fma_f32 v[140:141], v[142:143], v[128:129], v[132:133] op_sel:[0,0,1] op_sel_hi:[1,1,0] neg_lo:[0,0,1] neg_hi:[0,0,1]
	v_pk_fma_f32 v[132:133], v[142:143], v[128:129], v[132:133] op_sel:[0,0,1] op_sel_hi:[1,0,0]
	s_delay_alu instid0(VALU_DEP_1) | instskip(SKIP_1) | instid1(VALU_DEP_2)
	v_mov_b32_e32 v141, v133
	v_pk_add_f32 v[116:117], v[116:117], v[144:145] neg_lo:[0,1] neg_hi:[0,1]
	v_pk_add_f32 v[112:113], v[112:113], v[140:141] neg_lo:[0,1] neg_hi:[0,1]
	ds_load_2addr_b64 v[140:143], v135 offset0:6 offset1:7
	s_wait_dscnt 0x0
	v_pk_mul_f32 v[132:133], v[140:141], v[130:131] op_sel:[0,1]
	s_delay_alu instid0(VALU_DEP_1) | instskip(SKIP_2) | instid1(VALU_DEP_2)
	v_pk_fma_f32 v[144:145], v[140:141], v[128:129], v[132:133] op_sel:[0,0,1] op_sel_hi:[1,1,0] neg_lo:[0,0,1] neg_hi:[0,0,1]
	v_pk_fma_f32 v[132:133], v[140:141], v[128:129], v[132:133] op_sel:[0,0,1] op_sel_hi:[1,0,0]
	v_dual_mul_f32 v140, v143, v131 :: v_dual_mov_b32 v132, v143
	v_dual_mov_b32 v145, v133 :: v_dual_mov_b32 v133, v142
	s_delay_alu instid0(VALU_DEP_2) | instskip(SKIP_1) | instid1(VALU_DEP_3)
	v_pk_fma_f32 v[140:141], v[142:143], v[118:119], v[140:141] op_sel_hi:[1,1,0] neg_lo:[0,0,1] neg_hi:[0,0,1]
	v_mul_f32_e32 v142, v143, v128
	v_pk_add_f32 v[114:115], v[114:115], v[144:145] neg_lo:[0,1] neg_hi:[0,1]
	s_delay_alu instid0(VALU_DEP_2) | instskip(NEXT) | instid1(VALU_DEP_1)
	v_pk_fma_f32 v[132:133], v[132:133], v[118:119], v[142:143] op_sel_hi:[1,1,0]
	v_mov_b32_e32 v141, v133
	s_delay_alu instid0(VALU_DEP_1) | instskip(SKIP_3) | instid1(VALU_DEP_1)
	v_pk_add_f32 v[110:111], v[110:111], v[140:141] neg_lo:[0,1] neg_hi:[0,1]
	ds_load_2addr_b64 v[140:143], v135 offset0:8 offset1:9
	s_wait_dscnt 0x0
	v_pk_mul_f32 v[132:133], v[140:141], v[130:131] op_sel:[0,1]
	v_pk_fma_f32 v[144:145], v[140:141], v[128:129], v[132:133] op_sel:[0,0,1] op_sel_hi:[1,1,0] neg_lo:[0,0,1] neg_hi:[0,0,1]
	v_pk_fma_f32 v[132:133], v[140:141], v[128:129], v[132:133] op_sel:[0,0,1] op_sel_hi:[1,0,0]
	s_delay_alu instid0(VALU_DEP_1) | instskip(SKIP_1) | instid1(VALU_DEP_1)
	v_mov_b32_e32 v145, v133
	v_pk_mul_f32 v[132:133], v[142:143], v[130:131] op_sel:[0,1]
	v_pk_fma_f32 v[140:141], v[142:143], v[128:129], v[132:133] op_sel:[0,0,1] op_sel_hi:[1,1,0] neg_lo:[0,0,1] neg_hi:[0,0,1]
	v_pk_fma_f32 v[132:133], v[142:143], v[128:129], v[132:133] op_sel:[0,0,1] op_sel_hi:[1,0,0]
	s_delay_alu instid0(VALU_DEP_1) | instskip(SKIP_1) | instid1(VALU_DEP_2)
	v_mov_b32_e32 v141, v133
	v_pk_add_f32 v[108:109], v[108:109], v[144:145] neg_lo:[0,1] neg_hi:[0,1]
	v_pk_add_f32 v[104:105], v[104:105], v[140:141] neg_lo:[0,1] neg_hi:[0,1]
	ds_load_2addr_b64 v[140:143], v135 offset0:10 offset1:11
	s_wait_dscnt 0x0
	v_pk_mul_f32 v[132:133], v[140:141], v[130:131] op_sel:[0,1]
	s_delay_alu instid0(VALU_DEP_1) | instskip(SKIP_1) | instid1(VALU_DEP_1)
	v_pk_fma_f32 v[144:145], v[140:141], v[128:129], v[132:133] op_sel:[0,0,1] op_sel_hi:[1,1,0] neg_lo:[0,0,1] neg_hi:[0,0,1]
	v_pk_fma_f32 v[132:133], v[140:141], v[128:129], v[132:133] op_sel:[0,0,1] op_sel_hi:[1,0,0]
	v_mov_b32_e32 v145, v133
	v_pk_mul_f32 v[132:133], v[142:143], v[130:131] op_sel:[0,1]
	s_delay_alu instid0(VALU_DEP_1) | instskip(SKIP_1) | instid1(VALU_DEP_1)
	v_pk_fma_f32 v[140:141], v[142:143], v[128:129], v[132:133] op_sel:[0,0,1] op_sel_hi:[1,1,0] neg_lo:[0,0,1] neg_hi:[0,0,1]
	v_pk_fma_f32 v[132:133], v[142:143], v[128:129], v[132:133] op_sel:[0,0,1] op_sel_hi:[1,0,0]
	v_mov_b32_e32 v141, v133
	v_pk_add_f32 v[106:107], v[106:107], v[144:145] neg_lo:[0,1] neg_hi:[0,1]
	s_delay_alu instid0(VALU_DEP_2) | instskip(SKIP_3) | instid1(VALU_DEP_1)
	v_pk_add_f32 v[102:103], v[102:103], v[140:141] neg_lo:[0,1] neg_hi:[0,1]
	ds_load_2addr_b64 v[140:143], v135 offset0:12 offset1:13
	s_wait_dscnt 0x0
	v_dual_mul_f32 v132, v141, v131 :: v_dual_mul_f32 v144, v141, v128
	v_pk_fma_f32 v[132:133], v[140:141], v[118:119], v[132:133] op_sel_hi:[1,1,0] neg_lo:[0,0,1] neg_hi:[0,0,1]
	s_delay_alu instid0(VALU_DEP_2) | instskip(NEXT) | instid1(VALU_DEP_1)
	v_pk_fma_f32 v[140:141], v[140:141], v[118:119], v[144:145] op_sel:[1,0,0] op_sel_hi:[0,1,0]
	v_mov_b32_e32 v133, v141
	s_delay_alu instid0(VALU_DEP_1) | instskip(SKIP_1) | instid1(VALU_DEP_1)
	v_pk_add_f32 v[100:101], v[100:101], v[132:133] neg_lo:[0,1] neg_hi:[0,1]
	v_pk_mul_f32 v[132:133], v[142:143], v[130:131] op_sel:[0,1]
	v_pk_fma_f32 v[140:141], v[142:143], v[128:129], v[132:133] op_sel:[0,0,1] op_sel_hi:[1,1,0] neg_lo:[0,0,1] neg_hi:[0,0,1]
	v_pk_fma_f32 v[132:133], v[142:143], v[128:129], v[132:133] op_sel:[0,0,1] op_sel_hi:[1,0,0]
	s_delay_alu instid0(VALU_DEP_1) | instskip(NEXT) | instid1(VALU_DEP_1)
	v_mov_b32_e32 v141, v133
	v_pk_add_f32 v[96:97], v[96:97], v[140:141] neg_lo:[0,1] neg_hi:[0,1]
	ds_load_2addr_b64 v[140:143], v135 offset0:14 offset1:15
	s_wait_dscnt 0x0
	v_pk_mul_f32 v[132:133], v[140:141], v[130:131] op_sel:[0,1]
	s_delay_alu instid0(VALU_DEP_1) | instskip(SKIP_1) | instid1(VALU_DEP_1)
	v_pk_fma_f32 v[144:145], v[140:141], v[128:129], v[132:133] op_sel:[0,0,1] op_sel_hi:[1,1,0] neg_lo:[0,0,1] neg_hi:[0,0,1]
	v_pk_fma_f32 v[132:133], v[140:141], v[128:129], v[132:133] op_sel:[0,0,1] op_sel_hi:[1,0,0]
	v_mov_b32_e32 v145, v133
	v_pk_mul_f32 v[132:133], v[142:143], v[130:131] op_sel:[0,1]
	s_delay_alu instid0(VALU_DEP_2) | instskip(NEXT) | instid1(VALU_DEP_2)
	v_pk_add_f32 v[98:99], v[98:99], v[144:145] neg_lo:[0,1] neg_hi:[0,1]
	v_pk_fma_f32 v[140:141], v[142:143], v[128:129], v[132:133] op_sel:[0,0,1] op_sel_hi:[1,1,0] neg_lo:[0,0,1] neg_hi:[0,0,1]
	v_pk_fma_f32 v[132:133], v[142:143], v[128:129], v[132:133] op_sel:[0,0,1] op_sel_hi:[1,0,0]
	s_delay_alu instid0(VALU_DEP_1) | instskip(NEXT) | instid1(VALU_DEP_1)
	v_mov_b32_e32 v141, v133
	v_pk_add_f32 v[94:95], v[94:95], v[140:141] neg_lo:[0,1] neg_hi:[0,1]
	ds_load_2addr_b64 v[140:143], v135 offset0:16 offset1:17
	s_wait_dscnt 0x0
	v_pk_mul_f32 v[132:133], v[140:141], v[130:131] op_sel:[0,1]
	s_delay_alu instid0(VALU_DEP_1) | instskip(SKIP_2) | instid1(VALU_DEP_2)
	v_pk_fma_f32 v[144:145], v[140:141], v[128:129], v[132:133] op_sel:[0,0,1] op_sel_hi:[1,1,0] neg_lo:[0,0,1] neg_hi:[0,0,1]
	v_pk_fma_f32 v[132:133], v[140:141], v[128:129], v[132:133] op_sel:[0,0,1] op_sel_hi:[1,0,0]
	v_dual_mul_f32 v140, v143, v131 :: v_dual_mov_b32 v132, v143
	v_dual_mov_b32 v145, v133 :: v_dual_mov_b32 v133, v142
	s_delay_alu instid0(VALU_DEP_2) | instskip(SKIP_1) | instid1(VALU_DEP_3)
	v_pk_fma_f32 v[140:141], v[142:143], v[118:119], v[140:141] op_sel_hi:[1,1,0] neg_lo:[0,0,1] neg_hi:[0,0,1]
	v_mul_f32_e32 v142, v143, v128
	v_pk_add_f32 v[92:93], v[92:93], v[144:145] neg_lo:[0,1] neg_hi:[0,1]
	s_delay_alu instid0(VALU_DEP_2) | instskip(NEXT) | instid1(VALU_DEP_1)
	v_pk_fma_f32 v[132:133], v[132:133], v[118:119], v[142:143] op_sel_hi:[1,1,0]
	v_mov_b32_e32 v141, v133
	s_delay_alu instid0(VALU_DEP_1) | instskip(SKIP_3) | instid1(VALU_DEP_1)
	v_pk_add_f32 v[88:89], v[88:89], v[140:141] neg_lo:[0,1] neg_hi:[0,1]
	ds_load_2addr_b64 v[140:143], v135 offset0:18 offset1:19
	s_wait_dscnt 0x0
	v_pk_mul_f32 v[132:133], v[140:141], v[130:131] op_sel:[0,1]
	v_pk_fma_f32 v[144:145], v[140:141], v[128:129], v[132:133] op_sel:[0,0,1] op_sel_hi:[1,1,0] neg_lo:[0,0,1] neg_hi:[0,0,1]
	v_pk_fma_f32 v[132:133], v[140:141], v[128:129], v[132:133] op_sel:[0,0,1] op_sel_hi:[1,0,0]
	s_delay_alu instid0(VALU_DEP_1) | instskip(SKIP_1) | instid1(VALU_DEP_1)
	v_mov_b32_e32 v145, v133
	v_pk_mul_f32 v[132:133], v[142:143], v[130:131] op_sel:[0,1]
	v_pk_fma_f32 v[140:141], v[142:143], v[128:129], v[132:133] op_sel:[0,0,1] op_sel_hi:[1,1,0] neg_lo:[0,0,1] neg_hi:[0,0,1]
	v_pk_fma_f32 v[132:133], v[142:143], v[128:129], v[132:133] op_sel:[0,0,1] op_sel_hi:[1,0,0]
	s_delay_alu instid0(VALU_DEP_1) | instskip(SKIP_1) | instid1(VALU_DEP_2)
	v_mov_b32_e32 v141, v133
	v_pk_add_f32 v[90:91], v[90:91], v[144:145] neg_lo:[0,1] neg_hi:[0,1]
	v_pk_add_f32 v[86:87], v[86:87], v[140:141] neg_lo:[0,1] neg_hi:[0,1]
	ds_load_2addr_b64 v[140:143], v135 offset0:20 offset1:21
	s_wait_dscnt 0x0
	v_pk_mul_f32 v[132:133], v[140:141], v[130:131] op_sel:[0,1]
	s_delay_alu instid0(VALU_DEP_1) | instskip(SKIP_1) | instid1(VALU_DEP_1)
	v_pk_fma_f32 v[144:145], v[140:141], v[128:129], v[132:133] op_sel:[0,0,1] op_sel_hi:[1,1,0] neg_lo:[0,0,1] neg_hi:[0,0,1]
	v_pk_fma_f32 v[132:133], v[140:141], v[128:129], v[132:133] op_sel:[0,0,1] op_sel_hi:[1,0,0]
	v_mov_b32_e32 v145, v133
	v_pk_mul_f32 v[132:133], v[142:143], v[130:131] op_sel:[0,1]
	s_delay_alu instid0(VALU_DEP_1) | instskip(SKIP_1) | instid1(VALU_DEP_1)
	v_pk_fma_f32 v[140:141], v[142:143], v[128:129], v[132:133] op_sel:[0,0,1] op_sel_hi:[1,1,0] neg_lo:[0,0,1] neg_hi:[0,0,1]
	v_pk_fma_f32 v[132:133], v[142:143], v[128:129], v[132:133] op_sel:[0,0,1] op_sel_hi:[1,0,0]
	v_mov_b32_e32 v141, v133
	v_pk_add_f32 v[84:85], v[84:85], v[144:145] neg_lo:[0,1] neg_hi:[0,1]
	s_delay_alu instid0(VALU_DEP_2) | instskip(SKIP_3) | instid1(VALU_DEP_1)
	v_pk_add_f32 v[80:81], v[80:81], v[140:141] neg_lo:[0,1] neg_hi:[0,1]
	ds_load_2addr_b64 v[140:143], v135 offset0:22 offset1:23
	s_wait_dscnt 0x0
	v_dual_mul_f32 v132, v141, v131 :: v_dual_mul_f32 v144, v141, v128
	v_pk_fma_f32 v[132:133], v[140:141], v[118:119], v[132:133] op_sel_hi:[1,1,0] neg_lo:[0,0,1] neg_hi:[0,0,1]
	s_delay_alu instid0(VALU_DEP_2) | instskip(NEXT) | instid1(VALU_DEP_1)
	v_pk_fma_f32 v[140:141], v[140:141], v[118:119], v[144:145] op_sel:[1,0,0] op_sel_hi:[0,1,0]
	v_mov_b32_e32 v133, v141
	s_delay_alu instid0(VALU_DEP_1) | instskip(SKIP_1) | instid1(VALU_DEP_1)
	v_pk_add_f32 v[82:83], v[82:83], v[132:133] neg_lo:[0,1] neg_hi:[0,1]
	v_pk_mul_f32 v[132:133], v[142:143], v[130:131] op_sel:[0,1]
	v_pk_fma_f32 v[140:141], v[142:143], v[128:129], v[132:133] op_sel:[0,0,1] op_sel_hi:[1,1,0] neg_lo:[0,0,1] neg_hi:[0,0,1]
	v_pk_fma_f32 v[132:133], v[142:143], v[128:129], v[132:133] op_sel:[0,0,1] op_sel_hi:[1,0,0]
	s_delay_alu instid0(VALU_DEP_1) | instskip(NEXT) | instid1(VALU_DEP_1)
	v_mov_b32_e32 v141, v133
	v_pk_add_f32 v[78:79], v[78:79], v[140:141] neg_lo:[0,1] neg_hi:[0,1]
	ds_load_2addr_b64 v[140:143], v135 offset0:24 offset1:25
	s_wait_dscnt 0x0
	v_pk_mul_f32 v[132:133], v[140:141], v[130:131] op_sel:[0,1]
	s_delay_alu instid0(VALU_DEP_1) | instskip(SKIP_1) | instid1(VALU_DEP_1)
	v_pk_fma_f32 v[144:145], v[140:141], v[128:129], v[132:133] op_sel:[0,0,1] op_sel_hi:[1,1,0] neg_lo:[0,0,1] neg_hi:[0,0,1]
	v_pk_fma_f32 v[132:133], v[140:141], v[128:129], v[132:133] op_sel:[0,0,1] op_sel_hi:[1,0,0]
	v_mov_b32_e32 v145, v133
	v_pk_mul_f32 v[132:133], v[142:143], v[130:131] op_sel:[0,1]
	s_delay_alu instid0(VALU_DEP_2) | instskip(NEXT) | instid1(VALU_DEP_2)
	v_pk_add_f32 v[76:77], v[76:77], v[144:145] neg_lo:[0,1] neg_hi:[0,1]
	v_pk_fma_f32 v[140:141], v[142:143], v[128:129], v[132:133] op_sel:[0,0,1] op_sel_hi:[1,1,0] neg_lo:[0,0,1] neg_hi:[0,0,1]
	v_pk_fma_f32 v[132:133], v[142:143], v[128:129], v[132:133] op_sel:[0,0,1] op_sel_hi:[1,0,0]
	s_delay_alu instid0(VALU_DEP_1) | instskip(NEXT) | instid1(VALU_DEP_1)
	v_mov_b32_e32 v141, v133
	v_pk_add_f32 v[72:73], v[72:73], v[140:141] neg_lo:[0,1] neg_hi:[0,1]
	ds_load_2addr_b64 v[140:143], v135 offset0:26 offset1:27
	s_wait_dscnt 0x0
	v_pk_mul_f32 v[132:133], v[140:141], v[130:131] op_sel:[0,1]
	s_delay_alu instid0(VALU_DEP_1) | instskip(SKIP_2) | instid1(VALU_DEP_2)
	v_pk_fma_f32 v[144:145], v[140:141], v[128:129], v[132:133] op_sel:[0,0,1] op_sel_hi:[1,1,0] neg_lo:[0,0,1] neg_hi:[0,0,1]
	v_pk_fma_f32 v[132:133], v[140:141], v[128:129], v[132:133] op_sel:[0,0,1] op_sel_hi:[1,0,0]
	v_dual_mul_f32 v140, v143, v131 :: v_dual_mov_b32 v132, v143
	v_dual_mov_b32 v145, v133 :: v_dual_mov_b32 v133, v142
	s_delay_alu instid0(VALU_DEP_2) | instskip(SKIP_1) | instid1(VALU_DEP_3)
	v_pk_fma_f32 v[140:141], v[142:143], v[118:119], v[140:141] op_sel_hi:[1,1,0] neg_lo:[0,0,1] neg_hi:[0,0,1]
	v_mul_f32_e32 v142, v143, v128
	v_pk_add_f32 v[74:75], v[74:75], v[144:145] neg_lo:[0,1] neg_hi:[0,1]
	s_delay_alu instid0(VALU_DEP_2) | instskip(NEXT) | instid1(VALU_DEP_1)
	v_pk_fma_f32 v[132:133], v[132:133], v[118:119], v[142:143] op_sel_hi:[1,1,0]
	v_mov_b32_e32 v141, v133
	s_delay_alu instid0(VALU_DEP_1) | instskip(SKIP_3) | instid1(VALU_DEP_1)
	v_pk_add_f32 v[70:71], v[70:71], v[140:141] neg_lo:[0,1] neg_hi:[0,1]
	ds_load_2addr_b64 v[140:143], v135 offset0:28 offset1:29
	s_wait_dscnt 0x0
	v_pk_mul_f32 v[132:133], v[140:141], v[130:131] op_sel:[0,1]
	v_pk_fma_f32 v[144:145], v[140:141], v[128:129], v[132:133] op_sel:[0,0,1] op_sel_hi:[1,1,0] neg_lo:[0,0,1] neg_hi:[0,0,1]
	v_pk_fma_f32 v[132:133], v[140:141], v[128:129], v[132:133] op_sel:[0,0,1] op_sel_hi:[1,0,0]
	s_delay_alu instid0(VALU_DEP_1) | instskip(SKIP_1) | instid1(VALU_DEP_1)
	v_mov_b32_e32 v145, v133
	v_pk_mul_f32 v[132:133], v[142:143], v[130:131] op_sel:[0,1]
	v_pk_fma_f32 v[140:141], v[142:143], v[128:129], v[132:133] op_sel:[0,0,1] op_sel_hi:[1,1,0] neg_lo:[0,0,1] neg_hi:[0,0,1]
	v_pk_fma_f32 v[132:133], v[142:143], v[128:129], v[132:133] op_sel:[0,0,1] op_sel_hi:[1,0,0]
	s_delay_alu instid0(VALU_DEP_1) | instskip(SKIP_1) | instid1(VALU_DEP_2)
	v_mov_b32_e32 v141, v133
	v_pk_add_f32 v[68:69], v[68:69], v[144:145] neg_lo:[0,1] neg_hi:[0,1]
	v_pk_add_f32 v[64:65], v[64:65], v[140:141] neg_lo:[0,1] neg_hi:[0,1]
	ds_load_2addr_b64 v[140:143], v135 offset0:30 offset1:31
	s_wait_dscnt 0x0
	v_pk_mul_f32 v[132:133], v[140:141], v[130:131] op_sel:[0,1]
	s_delay_alu instid0(VALU_DEP_1) | instskip(SKIP_1) | instid1(VALU_DEP_1)
	v_pk_fma_f32 v[144:145], v[140:141], v[128:129], v[132:133] op_sel:[0,0,1] op_sel_hi:[1,1,0] neg_lo:[0,0,1] neg_hi:[0,0,1]
	v_pk_fma_f32 v[132:133], v[140:141], v[128:129], v[132:133] op_sel:[0,0,1] op_sel_hi:[1,0,0]
	v_mov_b32_e32 v145, v133
	v_pk_mul_f32 v[132:133], v[142:143], v[130:131] op_sel:[0,1]
	s_delay_alu instid0(VALU_DEP_1) | instskip(SKIP_1) | instid1(VALU_DEP_1)
	v_pk_fma_f32 v[140:141], v[142:143], v[128:129], v[132:133] op_sel:[0,0,1] op_sel_hi:[1,1,0] neg_lo:[0,0,1] neg_hi:[0,0,1]
	v_pk_fma_f32 v[132:133], v[142:143], v[128:129], v[132:133] op_sel:[0,0,1] op_sel_hi:[1,0,0]
	v_mov_b32_e32 v141, v133
	v_pk_add_f32 v[66:67], v[66:67], v[144:145] neg_lo:[0,1] neg_hi:[0,1]
	s_delay_alu instid0(VALU_DEP_2) | instskip(SKIP_3) | instid1(VALU_DEP_1)
	v_pk_add_f32 v[62:63], v[62:63], v[140:141] neg_lo:[0,1] neg_hi:[0,1]
	ds_load_2addr_b64 v[140:143], v135 offset0:32 offset1:33
	s_wait_dscnt 0x0
	v_dual_mul_f32 v132, v141, v131 :: v_dual_mul_f32 v144, v141, v128
	v_pk_fma_f32 v[132:133], v[140:141], v[118:119], v[132:133] op_sel_hi:[1,1,0] neg_lo:[0,0,1] neg_hi:[0,0,1]
	s_delay_alu instid0(VALU_DEP_2) | instskip(NEXT) | instid1(VALU_DEP_1)
	v_pk_fma_f32 v[140:141], v[140:141], v[118:119], v[144:145] op_sel:[1,0,0] op_sel_hi:[0,1,0]
	v_mov_b32_e32 v133, v141
	s_delay_alu instid0(VALU_DEP_1) | instskip(SKIP_1) | instid1(VALU_DEP_1)
	v_pk_add_f32 v[60:61], v[60:61], v[132:133] neg_lo:[0,1] neg_hi:[0,1]
	v_pk_mul_f32 v[132:133], v[142:143], v[130:131] op_sel:[0,1]
	v_pk_fma_f32 v[140:141], v[142:143], v[128:129], v[132:133] op_sel:[0,0,1] op_sel_hi:[1,1,0] neg_lo:[0,0,1] neg_hi:[0,0,1]
	v_pk_fma_f32 v[132:133], v[142:143], v[128:129], v[132:133] op_sel:[0,0,1] op_sel_hi:[1,0,0]
	s_delay_alu instid0(VALU_DEP_1) | instskip(NEXT) | instid1(VALU_DEP_1)
	v_mov_b32_e32 v141, v133
	v_pk_add_f32 v[56:57], v[56:57], v[140:141] neg_lo:[0,1] neg_hi:[0,1]
	ds_load_2addr_b64 v[140:143], v135 offset0:34 offset1:35
	s_wait_dscnt 0x0
	v_pk_mul_f32 v[132:133], v[140:141], v[130:131] op_sel:[0,1]
	s_delay_alu instid0(VALU_DEP_1) | instskip(SKIP_1) | instid1(VALU_DEP_1)
	v_pk_fma_f32 v[144:145], v[140:141], v[128:129], v[132:133] op_sel:[0,0,1] op_sel_hi:[1,1,0] neg_lo:[0,0,1] neg_hi:[0,0,1]
	v_pk_fma_f32 v[132:133], v[140:141], v[128:129], v[132:133] op_sel:[0,0,1] op_sel_hi:[1,0,0]
	v_mov_b32_e32 v145, v133
	v_pk_mul_f32 v[132:133], v[142:143], v[130:131] op_sel:[0,1]
	s_delay_alu instid0(VALU_DEP_2) | instskip(NEXT) | instid1(VALU_DEP_2)
	v_pk_add_f32 v[58:59], v[58:59], v[144:145] neg_lo:[0,1] neg_hi:[0,1]
	v_pk_fma_f32 v[140:141], v[142:143], v[128:129], v[132:133] op_sel:[0,0,1] op_sel_hi:[1,1,0] neg_lo:[0,0,1] neg_hi:[0,0,1]
	v_pk_fma_f32 v[132:133], v[142:143], v[128:129], v[132:133] op_sel:[0,0,1] op_sel_hi:[1,0,0]
	s_delay_alu instid0(VALU_DEP_1) | instskip(NEXT) | instid1(VALU_DEP_1)
	v_mov_b32_e32 v141, v133
	v_pk_add_f32 v[54:55], v[54:55], v[140:141] neg_lo:[0,1] neg_hi:[0,1]
	ds_load_2addr_b64 v[140:143], v135 offset0:36 offset1:37
	s_wait_dscnt 0x0
	v_pk_mul_f32 v[132:133], v[140:141], v[130:131] op_sel:[0,1]
	s_delay_alu instid0(VALU_DEP_1) | instskip(SKIP_2) | instid1(VALU_DEP_2)
	v_pk_fma_f32 v[144:145], v[140:141], v[128:129], v[132:133] op_sel:[0,0,1] op_sel_hi:[1,1,0] neg_lo:[0,0,1] neg_hi:[0,0,1]
	v_pk_fma_f32 v[132:133], v[140:141], v[128:129], v[132:133] op_sel:[0,0,1] op_sel_hi:[1,0,0]
	v_dual_mul_f32 v140, v143, v131 :: v_dual_mov_b32 v132, v143
	v_dual_mov_b32 v145, v133 :: v_dual_mov_b32 v133, v142
	s_delay_alu instid0(VALU_DEP_2) | instskip(SKIP_1) | instid1(VALU_DEP_3)
	v_pk_fma_f32 v[140:141], v[142:143], v[118:119], v[140:141] op_sel_hi:[1,1,0] neg_lo:[0,0,1] neg_hi:[0,0,1]
	v_mul_f32_e32 v142, v143, v128
	v_pk_add_f32 v[52:53], v[52:53], v[144:145] neg_lo:[0,1] neg_hi:[0,1]
	s_delay_alu instid0(VALU_DEP_2) | instskip(NEXT) | instid1(VALU_DEP_1)
	v_pk_fma_f32 v[132:133], v[132:133], v[118:119], v[142:143] op_sel_hi:[1,1,0]
	v_mov_b32_e32 v141, v133
	s_delay_alu instid0(VALU_DEP_1) | instskip(SKIP_3) | instid1(VALU_DEP_1)
	v_pk_add_f32 v[48:49], v[48:49], v[140:141] neg_lo:[0,1] neg_hi:[0,1]
	ds_load_2addr_b64 v[140:143], v135 offset0:38 offset1:39
	s_wait_dscnt 0x0
	v_pk_mul_f32 v[132:133], v[140:141], v[130:131] op_sel:[0,1]
	v_pk_fma_f32 v[144:145], v[140:141], v[128:129], v[132:133] op_sel:[0,0,1] op_sel_hi:[1,1,0] neg_lo:[0,0,1] neg_hi:[0,0,1]
	v_pk_fma_f32 v[132:133], v[140:141], v[128:129], v[132:133] op_sel:[0,0,1] op_sel_hi:[1,0,0]
	s_delay_alu instid0(VALU_DEP_1) | instskip(SKIP_1) | instid1(VALU_DEP_1)
	v_mov_b32_e32 v145, v133
	v_pk_mul_f32 v[132:133], v[142:143], v[130:131] op_sel:[0,1]
	v_pk_fma_f32 v[140:141], v[142:143], v[128:129], v[132:133] op_sel:[0,0,1] op_sel_hi:[1,1,0] neg_lo:[0,0,1] neg_hi:[0,0,1]
	v_pk_fma_f32 v[132:133], v[142:143], v[128:129], v[132:133] op_sel:[0,0,1] op_sel_hi:[1,0,0]
	s_delay_alu instid0(VALU_DEP_1) | instskip(SKIP_1) | instid1(VALU_DEP_2)
	v_mov_b32_e32 v141, v133
	v_pk_add_f32 v[50:51], v[50:51], v[144:145] neg_lo:[0,1] neg_hi:[0,1]
	v_pk_add_f32 v[46:47], v[46:47], v[140:141] neg_lo:[0,1] neg_hi:[0,1]
	ds_load_2addr_b64 v[140:143], v135 offset0:40 offset1:41
	s_wait_dscnt 0x0
	v_pk_mul_f32 v[132:133], v[140:141], v[130:131] op_sel:[0,1]
	s_delay_alu instid0(VALU_DEP_1) | instskip(SKIP_1) | instid1(VALU_DEP_1)
	v_pk_fma_f32 v[144:145], v[140:141], v[128:129], v[132:133] op_sel:[0,0,1] op_sel_hi:[1,1,0] neg_lo:[0,0,1] neg_hi:[0,0,1]
	v_pk_fma_f32 v[132:133], v[140:141], v[128:129], v[132:133] op_sel:[0,0,1] op_sel_hi:[1,0,0]
	v_mov_b32_e32 v145, v133
	v_pk_mul_f32 v[132:133], v[142:143], v[130:131] op_sel:[0,1]
	s_delay_alu instid0(VALU_DEP_1) | instskip(SKIP_1) | instid1(VALU_DEP_1)
	v_pk_fma_f32 v[140:141], v[142:143], v[128:129], v[132:133] op_sel:[0,0,1] op_sel_hi:[1,1,0] neg_lo:[0,0,1] neg_hi:[0,0,1]
	v_pk_fma_f32 v[132:133], v[142:143], v[128:129], v[132:133] op_sel:[0,0,1] op_sel_hi:[1,0,0]
	v_mov_b32_e32 v141, v133
	v_pk_add_f32 v[42:43], v[42:43], v[144:145] neg_lo:[0,1] neg_hi:[0,1]
	s_delay_alu instid0(VALU_DEP_2) | instskip(SKIP_3) | instid1(VALU_DEP_1)
	v_pk_add_f32 v[38:39], v[38:39], v[140:141] neg_lo:[0,1] neg_hi:[0,1]
	ds_load_2addr_b64 v[140:143], v135 offset0:42 offset1:43
	s_wait_dscnt 0x0
	v_dual_mul_f32 v132, v141, v131 :: v_dual_mul_f32 v144, v141, v128
	v_pk_fma_f32 v[132:133], v[140:141], v[118:119], v[132:133] op_sel_hi:[1,1,0] neg_lo:[0,0,1] neg_hi:[0,0,1]
	s_delay_alu instid0(VALU_DEP_2) | instskip(NEXT) | instid1(VALU_DEP_1)
	v_pk_fma_f32 v[140:141], v[140:141], v[118:119], v[144:145] op_sel:[1,0,0] op_sel_hi:[0,1,0]
	v_mov_b32_e32 v133, v141
	s_delay_alu instid0(VALU_DEP_1) | instskip(SKIP_1) | instid1(VALU_DEP_1)
	v_pk_add_f32 v[40:41], v[40:41], v[132:133] neg_lo:[0,1] neg_hi:[0,1]
	v_pk_mul_f32 v[132:133], v[142:143], v[130:131] op_sel:[0,1]
	v_pk_fma_f32 v[140:141], v[142:143], v[128:129], v[132:133] op_sel:[0,0,1] op_sel_hi:[1,1,0] neg_lo:[0,0,1] neg_hi:[0,0,1]
	v_pk_fma_f32 v[132:133], v[142:143], v[128:129], v[132:133] op_sel:[0,0,1] op_sel_hi:[1,0,0]
	s_delay_alu instid0(VALU_DEP_1) | instskip(NEXT) | instid1(VALU_DEP_1)
	v_mov_b32_e32 v141, v133
	v_pk_add_f32 v[36:37], v[36:37], v[140:141] neg_lo:[0,1] neg_hi:[0,1]
	ds_load_2addr_b64 v[140:143], v135 offset0:44 offset1:45
	s_wait_dscnt 0x0
	v_pk_mul_f32 v[132:133], v[140:141], v[130:131] op_sel:[0,1]
	s_delay_alu instid0(VALU_DEP_1) | instskip(SKIP_1) | instid1(VALU_DEP_1)
	v_pk_fma_f32 v[144:145], v[140:141], v[128:129], v[132:133] op_sel:[0,0,1] op_sel_hi:[1,1,0] neg_lo:[0,0,1] neg_hi:[0,0,1]
	v_pk_fma_f32 v[132:133], v[140:141], v[128:129], v[132:133] op_sel:[0,0,1] op_sel_hi:[1,0,0]
	v_mov_b32_e32 v145, v133
	v_pk_mul_f32 v[132:133], v[142:143], v[130:131] op_sel:[0,1]
	s_delay_alu instid0(VALU_DEP_2) | instskip(NEXT) | instid1(VALU_DEP_2)
	v_pk_add_f32 v[34:35], v[34:35], v[144:145] neg_lo:[0,1] neg_hi:[0,1]
	v_pk_fma_f32 v[140:141], v[142:143], v[128:129], v[132:133] op_sel:[0,0,1] op_sel_hi:[1,1,0] neg_lo:[0,0,1] neg_hi:[0,0,1]
	v_pk_fma_f32 v[132:133], v[142:143], v[128:129], v[132:133] op_sel:[0,0,1] op_sel_hi:[1,0,0]
	s_delay_alu instid0(VALU_DEP_1) | instskip(NEXT) | instid1(VALU_DEP_1)
	v_mov_b32_e32 v141, v133
	v_pk_add_f32 v[30:31], v[30:31], v[140:141] neg_lo:[0,1] neg_hi:[0,1]
	ds_load_2addr_b64 v[140:143], v135 offset0:46 offset1:47
	s_wait_dscnt 0x0
	v_pk_mul_f32 v[132:133], v[140:141], v[130:131] op_sel:[0,1]
	s_delay_alu instid0(VALU_DEP_1) | instskip(SKIP_2) | instid1(VALU_DEP_2)
	v_pk_fma_f32 v[144:145], v[140:141], v[128:129], v[132:133] op_sel:[0,0,1] op_sel_hi:[1,1,0] neg_lo:[0,0,1] neg_hi:[0,0,1]
	v_pk_fma_f32 v[132:133], v[140:141], v[128:129], v[132:133] op_sel:[0,0,1] op_sel_hi:[1,0,0]
	v_dual_mul_f32 v140, v143, v131 :: v_dual_mov_b32 v132, v143
	v_dual_mov_b32 v145, v133 :: v_dual_mov_b32 v133, v142
	s_delay_alu instid0(VALU_DEP_2) | instskip(SKIP_1) | instid1(VALU_DEP_3)
	v_pk_fma_f32 v[140:141], v[142:143], v[118:119], v[140:141] op_sel_hi:[1,1,0] neg_lo:[0,0,1] neg_hi:[0,0,1]
	v_mul_f32_e32 v142, v143, v128
	v_pk_add_f32 v[32:33], v[32:33], v[144:145] neg_lo:[0,1] neg_hi:[0,1]
	s_delay_alu instid0(VALU_DEP_2) | instskip(NEXT) | instid1(VALU_DEP_1)
	v_pk_fma_f32 v[132:133], v[132:133], v[118:119], v[142:143] op_sel_hi:[1,1,0]
	v_mov_b32_e32 v141, v133
	s_delay_alu instid0(VALU_DEP_1) | instskip(SKIP_3) | instid1(VALU_DEP_1)
	v_pk_add_f32 v[28:29], v[28:29], v[140:141] neg_lo:[0,1] neg_hi:[0,1]
	ds_load_2addr_b64 v[140:143], v135 offset0:48 offset1:49
	s_wait_dscnt 0x0
	v_pk_mul_f32 v[132:133], v[140:141], v[130:131] op_sel:[0,1]
	v_pk_fma_f32 v[144:145], v[140:141], v[128:129], v[132:133] op_sel:[0,0,1] op_sel_hi:[1,1,0] neg_lo:[0,0,1] neg_hi:[0,0,1]
	v_pk_fma_f32 v[132:133], v[140:141], v[128:129], v[132:133] op_sel:[0,0,1] op_sel_hi:[1,0,0]
	s_delay_alu instid0(VALU_DEP_1) | instskip(SKIP_1) | instid1(VALU_DEP_1)
	v_mov_b32_e32 v145, v133
	v_pk_mul_f32 v[132:133], v[142:143], v[130:131] op_sel:[0,1]
	v_pk_fma_f32 v[140:141], v[142:143], v[128:129], v[132:133] op_sel:[0,0,1] op_sel_hi:[1,1,0] neg_lo:[0,0,1] neg_hi:[0,0,1]
	v_pk_fma_f32 v[132:133], v[142:143], v[128:129], v[132:133] op_sel:[0,0,1] op_sel_hi:[1,0,0]
	s_delay_alu instid0(VALU_DEP_1) | instskip(SKIP_1) | instid1(VALU_DEP_2)
	v_mov_b32_e32 v141, v133
	v_pk_add_f32 v[26:27], v[26:27], v[144:145] neg_lo:[0,1] neg_hi:[0,1]
	v_pk_add_f32 v[22:23], v[22:23], v[140:141] neg_lo:[0,1] neg_hi:[0,1]
	ds_load_2addr_b64 v[140:143], v135 offset0:50 offset1:51
	s_wait_dscnt 0x0
	v_pk_mul_f32 v[132:133], v[140:141], v[130:131] op_sel:[0,1]
	s_delay_alu instid0(VALU_DEP_1) | instskip(SKIP_1) | instid1(VALU_DEP_1)
	v_pk_fma_f32 v[144:145], v[140:141], v[128:129], v[132:133] op_sel:[0,0,1] op_sel_hi:[1,1,0] neg_lo:[0,0,1] neg_hi:[0,0,1]
	v_pk_fma_f32 v[132:133], v[140:141], v[128:129], v[132:133] op_sel:[0,0,1] op_sel_hi:[1,0,0]
	v_mov_b32_e32 v145, v133
	v_pk_mul_f32 v[132:133], v[142:143], v[130:131] op_sel:[0,1]
	s_delay_alu instid0(VALU_DEP_1) | instskip(SKIP_1) | instid1(VALU_DEP_1)
	v_pk_fma_f32 v[140:141], v[142:143], v[128:129], v[132:133] op_sel:[0,0,1] op_sel_hi:[1,1,0] neg_lo:[0,0,1] neg_hi:[0,0,1]
	v_pk_fma_f32 v[132:133], v[142:143], v[128:129], v[132:133] op_sel:[0,0,1] op_sel_hi:[1,0,0]
	v_mov_b32_e32 v141, v133
	v_pk_add_f32 v[24:25], v[24:25], v[144:145] neg_lo:[0,1] neg_hi:[0,1]
	s_delay_alu instid0(VALU_DEP_2) | instskip(SKIP_3) | instid1(VALU_DEP_1)
	v_pk_add_f32 v[44:45], v[44:45], v[140:141] neg_lo:[0,1] neg_hi:[0,1]
	ds_load_2addr_b64 v[140:143], v135 offset0:52 offset1:53
	s_wait_dscnt 0x0
	v_dual_mul_f32 v132, v141, v131 :: v_dual_mul_f32 v144, v141, v128
	v_pk_fma_f32 v[132:133], v[140:141], v[118:119], v[132:133] op_sel_hi:[1,1,0] neg_lo:[0,0,1] neg_hi:[0,0,1]
	s_delay_alu instid0(VALU_DEP_2) | instskip(NEXT) | instid1(VALU_DEP_1)
	v_pk_fma_f32 v[140:141], v[140:141], v[118:119], v[144:145] op_sel:[1,0,0] op_sel_hi:[0,1,0]
	v_mov_b32_e32 v133, v141
	s_delay_alu instid0(VALU_DEP_1) | instskip(SKIP_1) | instid1(VALU_DEP_1)
	v_pk_add_f32 v[16:17], v[16:17], v[132:133] neg_lo:[0,1] neg_hi:[0,1]
	v_pk_mul_f32 v[132:133], v[142:143], v[130:131] op_sel:[0,1]
	v_pk_fma_f32 v[140:141], v[142:143], v[128:129], v[132:133] op_sel:[0,0,1] op_sel_hi:[1,1,0] neg_lo:[0,0,1] neg_hi:[0,0,1]
	v_pk_fma_f32 v[132:133], v[142:143], v[128:129], v[132:133] op_sel:[0,0,1] op_sel_hi:[1,0,0]
	s_delay_alu instid0(VALU_DEP_1) | instskip(NEXT) | instid1(VALU_DEP_1)
	v_mov_b32_e32 v141, v133
	v_pk_add_f32 v[12:13], v[12:13], v[140:141] neg_lo:[0,1] neg_hi:[0,1]
	ds_load_2addr_b64 v[140:143], v135 offset0:54 offset1:55
	s_wait_dscnt 0x0
	v_pk_mul_f32 v[132:133], v[140:141], v[130:131] op_sel:[0,1]
	s_delay_alu instid0(VALU_DEP_1) | instskip(SKIP_1) | instid1(VALU_DEP_1)
	v_pk_fma_f32 v[144:145], v[140:141], v[128:129], v[132:133] op_sel:[0,0,1] op_sel_hi:[1,1,0] neg_lo:[0,0,1] neg_hi:[0,0,1]
	v_pk_fma_f32 v[132:133], v[140:141], v[128:129], v[132:133] op_sel:[0,0,1] op_sel_hi:[1,0,0]
	v_mov_b32_e32 v145, v133
	v_pk_mul_f32 v[132:133], v[142:143], v[130:131] op_sel:[0,1]
	s_delay_alu instid0(VALU_DEP_2) | instskip(NEXT) | instid1(VALU_DEP_2)
	v_pk_add_f32 v[14:15], v[14:15], v[144:145] neg_lo:[0,1] neg_hi:[0,1]
	v_pk_fma_f32 v[140:141], v[142:143], v[128:129], v[132:133] op_sel:[0,0,1] op_sel_hi:[1,1,0] neg_lo:[0,0,1] neg_hi:[0,0,1]
	v_pk_fma_f32 v[132:133], v[142:143], v[128:129], v[132:133] op_sel:[0,0,1] op_sel_hi:[1,0,0]
	s_delay_alu instid0(VALU_DEP_1) | instskip(NEXT) | instid1(VALU_DEP_1)
	v_mov_b32_e32 v141, v133
	v_pk_add_f32 v[10:11], v[10:11], v[140:141] neg_lo:[0,1] neg_hi:[0,1]
	ds_load_2addr_b64 v[140:143], v135 offset0:56 offset1:57
	s_wait_dscnt 0x0
	v_pk_mul_f32 v[132:133], v[140:141], v[130:131] op_sel:[0,1]
	s_delay_alu instid0(VALU_DEP_1) | instskip(SKIP_2) | instid1(VALU_DEP_2)
	v_pk_fma_f32 v[144:145], v[140:141], v[128:129], v[132:133] op_sel:[0,0,1] op_sel_hi:[1,1,0] neg_lo:[0,0,1] neg_hi:[0,0,1]
	v_pk_fma_f32 v[132:133], v[140:141], v[128:129], v[132:133] op_sel:[0,0,1] op_sel_hi:[1,0,0]
	v_dual_mul_f32 v140, v143, v131 :: v_dual_mov_b32 v132, v143
	v_dual_mov_b32 v145, v133 :: v_dual_mov_b32 v133, v142
	s_delay_alu instid0(VALU_DEP_2) | instskip(SKIP_1) | instid1(VALU_DEP_3)
	v_pk_fma_f32 v[140:141], v[142:143], v[118:119], v[140:141] op_sel_hi:[1,1,0] neg_lo:[0,0,1] neg_hi:[0,0,1]
	v_mul_f32_e32 v142, v143, v128
	v_pk_add_f32 v[6:7], v[6:7], v[144:145] neg_lo:[0,1] neg_hi:[0,1]
	s_delay_alu instid0(VALU_DEP_2) | instskip(NEXT) | instid1(VALU_DEP_1)
	v_pk_fma_f32 v[132:133], v[132:133], v[118:119], v[142:143] op_sel_hi:[1,1,0]
	v_mov_b32_e32 v141, v133
	s_delay_alu instid0(VALU_DEP_1) | instskip(SKIP_3) | instid1(VALU_DEP_1)
	v_pk_add_f32 v[20:21], v[20:21], v[140:141] neg_lo:[0,1] neg_hi:[0,1]
	ds_load_2addr_b64 v[140:143], v135 offset0:58 offset1:59
	s_wait_dscnt 0x0
	v_pk_mul_f32 v[132:133], v[140:141], v[130:131] op_sel:[0,1]
	v_pk_fma_f32 v[144:145], v[140:141], v[128:129], v[132:133] op_sel:[0,0,1] op_sel_hi:[1,1,0] neg_lo:[0,0,1] neg_hi:[0,0,1]
	v_pk_fma_f32 v[132:133], v[140:141], v[128:129], v[132:133] op_sel:[0,0,1] op_sel_hi:[1,0,0]
	s_delay_alu instid0(VALU_DEP_1) | instskip(SKIP_1) | instid1(VALU_DEP_1)
	v_mov_b32_e32 v145, v133
	v_pk_mul_f32 v[132:133], v[142:143], v[130:131] op_sel:[0,1]
	v_pk_fma_f32 v[140:141], v[142:143], v[128:129], v[132:133] op_sel:[0,0,1] op_sel_hi:[1,1,0] neg_lo:[0,0,1] neg_hi:[0,0,1]
	v_pk_fma_f32 v[132:133], v[142:143], v[128:129], v[132:133] op_sel:[0,0,1] op_sel_hi:[1,0,0]
	s_delay_alu instid0(VALU_DEP_1)
	v_mov_b32_e32 v141, v133
	ds_load_b64 v[132:133], v135 offset:480
	v_pk_add_f32 v[18:19], v[18:19], v[144:145] neg_lo:[0,1] neg_hi:[0,1]
	v_pk_add_f32 v[8:9], v[8:9], v[140:141] neg_lo:[0,1] neg_hi:[0,1]
	s_wait_dscnt 0x0
	v_pk_mul_f32 v[130:131], v[132:133], v[130:131] op_sel:[0,1]
	s_delay_alu instid0(VALU_DEP_1) | instskip(SKIP_1) | instid1(VALU_DEP_1)
	v_pk_fma_f32 v[140:141], v[132:133], v[128:129], v[130:131] op_sel:[0,0,1] op_sel_hi:[1,1,0] neg_lo:[0,0,1] neg_hi:[0,0,1]
	v_pk_fma_f32 v[128:129], v[132:133], v[128:129], v[130:131] op_sel:[0,0,1] op_sel_hi:[1,0,0]
	v_mov_b32_e32 v141, v129
	s_delay_alu instid0(VALU_DEP_1)
	v_pk_add_f32 v[126:127], v[126:127], v[140:141] neg_lo:[0,1] neg_hi:[0,1]
.LBB120_83:
	s_or_b32 exec_lo, exec_lo, s0
	v_lshl_add_u32 v128, v138, 3, v135
	s_barrier_signal -1
	s_barrier_wait -1
	ds_store_b64 v128, v[116:117]
	s_wait_dscnt 0x0
	s_barrier_signal -1
	s_barrier_wait -1
	ds_load_b64 v[130:131], v135 offset:32
	v_mov_b32_e32 v128, 4
	s_cmp_lt_i32 s18, 6
	s_cbranch_scc1 .LBB120_86
; %bb.84:
	v_add3_u32 v129, v136, 0, 40
	v_mov_b32_e32 v128, 4
	s_mov_b32 s0, 5
.LBB120_85:                             ; =>This Inner Loop Header: Depth=1
	ds_load_b64 v[132:133], v129
	s_wait_dscnt 0x1
	v_cmp_gt_f32_e32 vcc_lo, 0, v130
	v_cndmask_b32_e64 v140, v130, -v130, vcc_lo
	v_cmp_gt_f32_e32 vcc_lo, 0, v131
	v_cndmask_b32_e64 v142, v131, -v131, vcc_lo
	s_wait_dscnt 0x0
	v_cmp_gt_f32_e32 vcc_lo, 0, v132
	v_cndmask_b32_e64 v141, v132, -v132, vcc_lo
	v_cmp_gt_f32_e32 vcc_lo, 0, v133
	v_cndmask_b32_e64 v143, v133, -v133, vcc_lo
	s_delay_alu instid0(VALU_DEP_1) | instskip(NEXT) | instid1(VALU_DEP_1)
	v_pk_add_f32 v[140:141], v[140:141], v[142:143]
	v_cmp_lt_f32_e32 vcc_lo, v140, v141
	v_dual_cndmask_b32 v130, v130, v132 :: v_dual_add_nc_u32 v129, 8, v129
	v_cndmask_b32_e32 v131, v131, v133, vcc_lo
	v_cndmask_b32_e64 v128, v128, s0, vcc_lo
	s_add_co_i32 s0, s0, 1
	s_delay_alu instid0(SALU_CYCLE_1)
	s_cmp_lg_u32 s18, s0
	s_cbranch_scc1 .LBB120_85
.LBB120_86:
	s_wait_dscnt 0x0
	v_cmp_eq_f32_e32 vcc_lo, 0, v130
	v_cmp_eq_f32_e64 s0, 0, v131
	s_and_b32 s0, vcc_lo, s0
	s_delay_alu instid0(SALU_CYCLE_1) | instskip(NEXT) | instid1(SALU_CYCLE_1)
	s_and_saveexec_b32 s1, s0
	s_xor_b32 s0, exec_lo, s1
; %bb.87:
	v_cmp_ne_u32_e32 vcc_lo, 0, v134
	v_cndmask_b32_e32 v134, 5, v134, vcc_lo
; %bb.88:
	s_and_not1_saveexec_b32 s0, s0
	s_cbranch_execz .LBB120_94
; %bb.89:
	v_cmp_ngt_f32_e64 s1, |v130|, |v131|
	s_and_saveexec_b32 s12, s1
	s_delay_alu instid0(SALU_CYCLE_1)
	s_xor_b32 s1, exec_lo, s12
	s_cbranch_execz .LBB120_91
; %bb.90:
	v_div_scale_f32 v129, null, v131, v131, v130
	v_div_scale_f32 v139, vcc_lo, v130, v131, v130
	s_delay_alu instid0(VALU_DEP_2) | instskip(SKIP_1) | instid1(TRANS32_DEP_1)
	v_rcp_f32_e32 v132, v129
	v_nop
	v_fma_f32 v133, -v129, v132, 1.0
	s_delay_alu instid0(VALU_DEP_1) | instskip(NEXT) | instid1(VALU_DEP_1)
	v_fmac_f32_e32 v132, v133, v132
	v_mul_f32_e32 v133, v139, v132
	s_delay_alu instid0(VALU_DEP_1) | instskip(NEXT) | instid1(VALU_DEP_1)
	v_fma_f32 v140, -v129, v133, v139
	v_fmac_f32_e32 v133, v140, v132
	s_delay_alu instid0(VALU_DEP_1) | instskip(NEXT) | instid1(VALU_DEP_1)
	v_fma_f32 v129, -v129, v133, v139
	v_div_fmas_f32 v129, v129, v132, v133
	s_delay_alu instid0(VALU_DEP_1) | instskip(NEXT) | instid1(VALU_DEP_1)
	v_div_fixup_f32 v129, v129, v131, v130
	v_fmac_f32_e32 v131, v130, v129
	s_delay_alu instid0(VALU_DEP_1) | instskip(SKIP_1) | instid1(VALU_DEP_2)
	v_div_scale_f32 v130, null, v131, v131, 1.0
	v_div_scale_f32 v139, vcc_lo, 1.0, v131, 1.0
	v_rcp_f32_e32 v132, v130
	v_nop
	s_delay_alu instid0(TRANS32_DEP_1) | instskip(NEXT) | instid1(VALU_DEP_1)
	v_fma_f32 v133, -v130, v132, 1.0
	v_fmac_f32_e32 v132, v133, v132
	s_delay_alu instid0(VALU_DEP_1) | instskip(NEXT) | instid1(VALU_DEP_1)
	v_mul_f32_e32 v133, v139, v132
	v_fma_f32 v140, -v130, v133, v139
	s_delay_alu instid0(VALU_DEP_1) | instskip(NEXT) | instid1(VALU_DEP_1)
	v_fmac_f32_e32 v133, v140, v132
	v_fma_f32 v130, -v130, v133, v139
	s_delay_alu instid0(VALU_DEP_1) | instskip(NEXT) | instid1(VALU_DEP_1)
	v_div_fmas_f32 v130, v130, v132, v133
	v_div_fixup_f32 v131, v130, v131, 1.0
	s_delay_alu instid0(VALU_DEP_1)
	v_mul_f32_e32 v130, v129, v131
	v_xor_b32_e32 v131, 0x80000000, v131
.LBB120_91:
	s_and_not1_saveexec_b32 s1, s1
	s_cbranch_execz .LBB120_93
; %bb.92:
	s_delay_alu instid0(VALU_DEP_1) | instskip(SKIP_1) | instid1(VALU_DEP_2)
	v_div_scale_f32 v129, null, v130, v130, v131
	v_div_scale_f32 v139, vcc_lo, v131, v130, v131
	v_rcp_f32_e32 v132, v129
	v_nop
	s_delay_alu instid0(TRANS32_DEP_1) | instskip(NEXT) | instid1(VALU_DEP_1)
	v_fma_f32 v133, -v129, v132, 1.0
	v_fmac_f32_e32 v132, v133, v132
	s_delay_alu instid0(VALU_DEP_1) | instskip(NEXT) | instid1(VALU_DEP_1)
	v_mul_f32_e32 v133, v139, v132
	v_fma_f32 v140, -v129, v133, v139
	s_delay_alu instid0(VALU_DEP_1) | instskip(NEXT) | instid1(VALU_DEP_1)
	v_fmac_f32_e32 v133, v140, v132
	v_fma_f32 v129, -v129, v133, v139
	s_delay_alu instid0(VALU_DEP_1) | instskip(NEXT) | instid1(VALU_DEP_1)
	v_div_fmas_f32 v129, v129, v132, v133
	v_div_fixup_f32 v129, v129, v130, v131
	s_delay_alu instid0(VALU_DEP_1) | instskip(NEXT) | instid1(VALU_DEP_1)
	v_fmac_f32_e32 v130, v131, v129
	v_div_scale_f32 v131, null, v130, v130, 1.0
	s_delay_alu instid0(VALU_DEP_1) | instskip(SKIP_1) | instid1(TRANS32_DEP_1)
	v_rcp_f32_e32 v132, v131
	v_nop
	v_fma_f32 v133, -v131, v132, 1.0
	s_delay_alu instid0(VALU_DEP_1) | instskip(SKIP_1) | instid1(VALU_DEP_1)
	v_fmac_f32_e32 v132, v133, v132
	v_div_scale_f32 v133, vcc_lo, 1.0, v130, 1.0
	v_mul_f32_e32 v139, v133, v132
	s_delay_alu instid0(VALU_DEP_1) | instskip(NEXT) | instid1(VALU_DEP_1)
	v_fma_f32 v140, -v131, v139, v133
	v_fmac_f32_e32 v139, v140, v132
	s_delay_alu instid0(VALU_DEP_1) | instskip(NEXT) | instid1(VALU_DEP_1)
	v_fma_f32 v131, -v131, v139, v133
	v_div_fmas_f32 v131, v131, v132, v139
	s_delay_alu instid0(VALU_DEP_1) | instskip(NEXT) | instid1(VALU_DEP_1)
	v_div_fixup_f32 v130, v131, v130, 1.0
	v_mul_f32_e64 v131, v129, -v130
.LBB120_93:
	s_or_b32 exec_lo, exec_lo, s1
.LBB120_94:
	s_delay_alu instid0(SALU_CYCLE_1) | instskip(NEXT) | instid1(SALU_CYCLE_1)
	s_or_b32 exec_lo, exec_lo, s0
	s_mov_b32 s0, exec_lo
	v_cmpx_ne_u32_e64 v138, v128
	s_xor_b32 s0, exec_lo, s0
	s_cbranch_execz .LBB120_100
; %bb.95:
	s_mov_b32 s1, exec_lo
	v_cmpx_eq_u32_e32 4, v138
	s_cbranch_execz .LBB120_99
; %bb.96:
	v_cmp_ne_u32_e32 vcc_lo, 4, v128
	s_xor_b32 s12, s16, -1
	s_delay_alu instid0(SALU_CYCLE_1) | instskip(NEXT) | instid1(SALU_CYCLE_1)
	s_and_b32 s13, s12, vcc_lo
	s_and_saveexec_b32 s12, s13
	s_cbranch_execz .LBB120_98
; %bb.97:
	v_ashrrev_i32_e32 v129, 31, v128
	s_delay_alu instid0(VALU_DEP_1)
	v_lshl_add_u64 v[132:133], v[128:129], 2, v[4:5]
	s_clause 0x1
	global_load_b32 v129, v[132:133], off
	global_load_b32 v137, v[4:5], off offset:16
	s_wait_loadcnt 0x1
	global_store_b32 v[4:5], v129, off offset:16
	s_wait_loadcnt 0x0
	global_store_b32 v[132:133], v137, off
.LBB120_98:
	s_wait_xcnt 0x0
	s_or_b32 exec_lo, exec_lo, s12
	v_dual_mov_b32 v138, v128 :: v_dual_mov_b32 v137, v128
.LBB120_99:
	s_or_b32 exec_lo, exec_lo, s1
.LBB120_100:
	s_and_not1_saveexec_b32 s0, s0
	s_cbranch_execz .LBB120_102
; %bb.101:
	v_mov_b32_e32 v138, 4
	ds_store_2addr_b64 v135, v[112:113], v[114:115] offset0:5 offset1:6
	ds_store_2addr_b64 v135, v[110:111], v[108:109] offset0:7 offset1:8
	ds_store_2addr_b64 v135, v[104:105], v[106:107] offset0:9 offset1:10
	ds_store_2addr_b64 v135, v[102:103], v[100:101] offset0:11 offset1:12
	ds_store_2addr_b64 v135, v[96:97], v[98:99] offset0:13 offset1:14
	ds_store_2addr_b64 v135, v[94:95], v[92:93] offset0:15 offset1:16
	ds_store_2addr_b64 v135, v[88:89], v[90:91] offset0:17 offset1:18
	ds_store_2addr_b64 v135, v[86:87], v[84:85] offset0:19 offset1:20
	ds_store_2addr_b64 v135, v[80:81], v[82:83] offset0:21 offset1:22
	ds_store_2addr_b64 v135, v[78:79], v[76:77] offset0:23 offset1:24
	ds_store_2addr_b64 v135, v[72:73], v[74:75] offset0:25 offset1:26
	ds_store_2addr_b64 v135, v[70:71], v[68:69] offset0:27 offset1:28
	ds_store_2addr_b64 v135, v[64:65], v[66:67] offset0:29 offset1:30
	ds_store_2addr_b64 v135, v[62:63], v[60:61] offset0:31 offset1:32
	ds_store_2addr_b64 v135, v[56:57], v[58:59] offset0:33 offset1:34
	ds_store_2addr_b64 v135, v[54:55], v[52:53] offset0:35 offset1:36
	ds_store_2addr_b64 v135, v[48:49], v[50:51] offset0:37 offset1:38
	ds_store_2addr_b64 v135, v[46:47], v[42:43] offset0:39 offset1:40
	ds_store_2addr_b64 v135, v[38:39], v[40:41] offset0:41 offset1:42
	ds_store_2addr_b64 v135, v[36:37], v[34:35] offset0:43 offset1:44
	ds_store_2addr_b64 v135, v[30:31], v[32:33] offset0:45 offset1:46
	ds_store_2addr_b64 v135, v[28:29], v[26:27] offset0:47 offset1:48
	ds_store_2addr_b64 v135, v[22:23], v[24:25] offset0:49 offset1:50
	ds_store_2addr_b64 v135, v[44:45], v[16:17] offset0:51 offset1:52
	ds_store_2addr_b64 v135, v[12:13], v[14:15] offset0:53 offset1:54
	ds_store_2addr_b64 v135, v[10:11], v[6:7] offset0:55 offset1:56
	ds_store_2addr_b64 v135, v[20:21], v[18:19] offset0:57 offset1:58
	ds_store_2addr_b64 v135, v[8:9], v[126:127] offset0:59 offset1:60
.LBB120_102:
	s_or_b32 exec_lo, exec_lo, s0
	s_delay_alu instid0(SALU_CYCLE_1)
	s_mov_b32 s0, exec_lo
	s_wait_storecnt_dscnt 0x0
	s_barrier_signal -1
	s_barrier_wait -1
	v_cmpx_lt_i32_e32 4, v138
	s_cbranch_execz .LBB120_104
; %bb.103:
	ds_load_2addr_b64 v[140:143], v135 offset0:5 offset1:6
	v_pk_mul_f32 v[132:133], v[130:131], v[116:117] op_sel:[1,1] op_sel_hi:[0,1]
	s_delay_alu instid0(VALU_DEP_1) | instskip(SKIP_1) | instid1(VALU_DEP_1)
	v_pk_fma_f32 v[128:129], v[130:131], v[116:117], v[132:133] op_sel_hi:[1,0,1] neg_lo:[0,0,1] neg_hi:[0,0,1]
	v_pk_fma_f32 v[130:131], v[130:131], v[116:117], v[132:133] op_sel_hi:[1,0,1]
	v_dual_mov_b32 v116, v128 :: v_dual_mov_b32 v117, v131
	s_wait_dscnt 0x0
	s_delay_alu instid0(VALU_DEP_2) | instskip(NEXT) | instid1(VALU_DEP_1)
	v_pk_mul_f32 v[132:133], v[140:141], v[130:131] op_sel:[0,1]
	v_pk_fma_f32 v[144:145], v[140:141], v[128:129], v[132:133] op_sel:[0,0,1] op_sel_hi:[1,1,0] neg_lo:[0,0,1] neg_hi:[0,0,1]
	v_pk_fma_f32 v[132:133], v[140:141], v[128:129], v[132:133] op_sel:[0,0,1] op_sel_hi:[1,0,0]
	s_delay_alu instid0(VALU_DEP_1) | instskip(SKIP_1) | instid1(VALU_DEP_1)
	v_mov_b32_e32 v145, v133
	v_pk_mul_f32 v[132:133], v[142:143], v[130:131] op_sel:[0,1]
	v_pk_fma_f32 v[140:141], v[142:143], v[128:129], v[132:133] op_sel:[0,0,1] op_sel_hi:[1,1,0] neg_lo:[0,0,1] neg_hi:[0,0,1]
	v_pk_fma_f32 v[132:133], v[142:143], v[128:129], v[132:133] op_sel:[0,0,1] op_sel_hi:[1,0,0]
	s_delay_alu instid0(VALU_DEP_1) | instskip(SKIP_1) | instid1(VALU_DEP_2)
	v_mov_b32_e32 v141, v133
	v_pk_add_f32 v[112:113], v[112:113], v[144:145] neg_lo:[0,1] neg_hi:[0,1]
	v_pk_add_f32 v[114:115], v[114:115], v[140:141] neg_lo:[0,1] neg_hi:[0,1]
	ds_load_2addr_b64 v[140:143], v135 offset0:7 offset1:8
	s_wait_dscnt 0x0
	v_pk_mul_f32 v[132:133], v[140:141], v[130:131] op_sel:[0,1]
	s_delay_alu instid0(VALU_DEP_1) | instskip(SKIP_2) | instid1(VALU_DEP_2)
	v_pk_fma_f32 v[144:145], v[140:141], v[128:129], v[132:133] op_sel:[0,0,1] op_sel_hi:[1,1,0] neg_lo:[0,0,1] neg_hi:[0,0,1]
	v_pk_fma_f32 v[132:133], v[140:141], v[128:129], v[132:133] op_sel:[0,0,1] op_sel_hi:[1,0,0]
	v_dual_mul_f32 v140, v143, v131 :: v_dual_mov_b32 v132, v143
	v_dual_mov_b32 v145, v133 :: v_dual_mov_b32 v133, v142
	s_delay_alu instid0(VALU_DEP_2) | instskip(SKIP_1) | instid1(VALU_DEP_3)
	v_pk_fma_f32 v[140:141], v[142:143], v[116:117], v[140:141] op_sel_hi:[1,1,0] neg_lo:[0,0,1] neg_hi:[0,0,1]
	v_mul_f32_e32 v142, v143, v128
	v_pk_add_f32 v[110:111], v[110:111], v[144:145] neg_lo:[0,1] neg_hi:[0,1]
	s_delay_alu instid0(VALU_DEP_2) | instskip(NEXT) | instid1(VALU_DEP_1)
	v_pk_fma_f32 v[132:133], v[132:133], v[116:117], v[142:143] op_sel_hi:[1,1,0]
	v_mov_b32_e32 v141, v133
	s_delay_alu instid0(VALU_DEP_1) | instskip(SKIP_3) | instid1(VALU_DEP_1)
	v_pk_add_f32 v[108:109], v[108:109], v[140:141] neg_lo:[0,1] neg_hi:[0,1]
	ds_load_2addr_b64 v[140:143], v135 offset0:9 offset1:10
	s_wait_dscnt 0x0
	v_pk_mul_f32 v[132:133], v[140:141], v[130:131] op_sel:[0,1]
	v_pk_fma_f32 v[144:145], v[140:141], v[128:129], v[132:133] op_sel:[0,0,1] op_sel_hi:[1,1,0] neg_lo:[0,0,1] neg_hi:[0,0,1]
	v_pk_fma_f32 v[132:133], v[140:141], v[128:129], v[132:133] op_sel:[0,0,1] op_sel_hi:[1,0,0]
	s_delay_alu instid0(VALU_DEP_1) | instskip(SKIP_1) | instid1(VALU_DEP_1)
	v_mov_b32_e32 v145, v133
	v_pk_mul_f32 v[132:133], v[142:143], v[130:131] op_sel:[0,1]
	v_pk_fma_f32 v[140:141], v[142:143], v[128:129], v[132:133] op_sel:[0,0,1] op_sel_hi:[1,1,0] neg_lo:[0,0,1] neg_hi:[0,0,1]
	v_pk_fma_f32 v[132:133], v[142:143], v[128:129], v[132:133] op_sel:[0,0,1] op_sel_hi:[1,0,0]
	s_delay_alu instid0(VALU_DEP_1) | instskip(SKIP_1) | instid1(VALU_DEP_2)
	v_mov_b32_e32 v141, v133
	v_pk_add_f32 v[104:105], v[104:105], v[144:145] neg_lo:[0,1] neg_hi:[0,1]
	v_pk_add_f32 v[106:107], v[106:107], v[140:141] neg_lo:[0,1] neg_hi:[0,1]
	ds_load_2addr_b64 v[140:143], v135 offset0:11 offset1:12
	s_wait_dscnt 0x0
	v_pk_mul_f32 v[132:133], v[140:141], v[130:131] op_sel:[0,1]
	s_delay_alu instid0(VALU_DEP_1) | instskip(SKIP_1) | instid1(VALU_DEP_1)
	v_pk_fma_f32 v[144:145], v[140:141], v[128:129], v[132:133] op_sel:[0,0,1] op_sel_hi:[1,1,0] neg_lo:[0,0,1] neg_hi:[0,0,1]
	v_pk_fma_f32 v[132:133], v[140:141], v[128:129], v[132:133] op_sel:[0,0,1] op_sel_hi:[1,0,0]
	v_mov_b32_e32 v145, v133
	v_pk_mul_f32 v[132:133], v[142:143], v[130:131] op_sel:[0,1]
	s_delay_alu instid0(VALU_DEP_1) | instskip(SKIP_1) | instid1(VALU_DEP_1)
	v_pk_fma_f32 v[140:141], v[142:143], v[128:129], v[132:133] op_sel:[0,0,1] op_sel_hi:[1,1,0] neg_lo:[0,0,1] neg_hi:[0,0,1]
	v_pk_fma_f32 v[132:133], v[142:143], v[128:129], v[132:133] op_sel:[0,0,1] op_sel_hi:[1,0,0]
	v_mov_b32_e32 v141, v133
	v_pk_add_f32 v[102:103], v[102:103], v[144:145] neg_lo:[0,1] neg_hi:[0,1]
	s_delay_alu instid0(VALU_DEP_2) | instskip(SKIP_3) | instid1(VALU_DEP_1)
	v_pk_add_f32 v[100:101], v[100:101], v[140:141] neg_lo:[0,1] neg_hi:[0,1]
	ds_load_2addr_b64 v[140:143], v135 offset0:13 offset1:14
	s_wait_dscnt 0x0
	v_dual_mul_f32 v132, v141, v131 :: v_dual_mul_f32 v144, v141, v128
	v_pk_fma_f32 v[132:133], v[140:141], v[116:117], v[132:133] op_sel_hi:[1,1,0] neg_lo:[0,0,1] neg_hi:[0,0,1]
	s_delay_alu instid0(VALU_DEP_2) | instskip(NEXT) | instid1(VALU_DEP_1)
	v_pk_fma_f32 v[140:141], v[140:141], v[116:117], v[144:145] op_sel:[1,0,0] op_sel_hi:[0,1,0]
	v_mov_b32_e32 v133, v141
	s_delay_alu instid0(VALU_DEP_1) | instskip(SKIP_1) | instid1(VALU_DEP_1)
	v_pk_add_f32 v[96:97], v[96:97], v[132:133] neg_lo:[0,1] neg_hi:[0,1]
	v_pk_mul_f32 v[132:133], v[142:143], v[130:131] op_sel:[0,1]
	v_pk_fma_f32 v[140:141], v[142:143], v[128:129], v[132:133] op_sel:[0,0,1] op_sel_hi:[1,1,0] neg_lo:[0,0,1] neg_hi:[0,0,1]
	v_pk_fma_f32 v[132:133], v[142:143], v[128:129], v[132:133] op_sel:[0,0,1] op_sel_hi:[1,0,0]
	s_delay_alu instid0(VALU_DEP_1) | instskip(NEXT) | instid1(VALU_DEP_1)
	v_mov_b32_e32 v141, v133
	v_pk_add_f32 v[98:99], v[98:99], v[140:141] neg_lo:[0,1] neg_hi:[0,1]
	ds_load_2addr_b64 v[140:143], v135 offset0:15 offset1:16
	s_wait_dscnt 0x0
	v_pk_mul_f32 v[132:133], v[140:141], v[130:131] op_sel:[0,1]
	s_delay_alu instid0(VALU_DEP_1) | instskip(SKIP_1) | instid1(VALU_DEP_1)
	v_pk_fma_f32 v[144:145], v[140:141], v[128:129], v[132:133] op_sel:[0,0,1] op_sel_hi:[1,1,0] neg_lo:[0,0,1] neg_hi:[0,0,1]
	v_pk_fma_f32 v[132:133], v[140:141], v[128:129], v[132:133] op_sel:[0,0,1] op_sel_hi:[1,0,0]
	v_mov_b32_e32 v145, v133
	v_pk_mul_f32 v[132:133], v[142:143], v[130:131] op_sel:[0,1]
	s_delay_alu instid0(VALU_DEP_2) | instskip(NEXT) | instid1(VALU_DEP_2)
	v_pk_add_f32 v[94:95], v[94:95], v[144:145] neg_lo:[0,1] neg_hi:[0,1]
	v_pk_fma_f32 v[140:141], v[142:143], v[128:129], v[132:133] op_sel:[0,0,1] op_sel_hi:[1,1,0] neg_lo:[0,0,1] neg_hi:[0,0,1]
	v_pk_fma_f32 v[132:133], v[142:143], v[128:129], v[132:133] op_sel:[0,0,1] op_sel_hi:[1,0,0]
	s_delay_alu instid0(VALU_DEP_1) | instskip(NEXT) | instid1(VALU_DEP_1)
	v_mov_b32_e32 v141, v133
	v_pk_add_f32 v[92:93], v[92:93], v[140:141] neg_lo:[0,1] neg_hi:[0,1]
	ds_load_2addr_b64 v[140:143], v135 offset0:17 offset1:18
	s_wait_dscnt 0x0
	v_pk_mul_f32 v[132:133], v[140:141], v[130:131] op_sel:[0,1]
	s_delay_alu instid0(VALU_DEP_1) | instskip(SKIP_2) | instid1(VALU_DEP_2)
	v_pk_fma_f32 v[144:145], v[140:141], v[128:129], v[132:133] op_sel:[0,0,1] op_sel_hi:[1,1,0] neg_lo:[0,0,1] neg_hi:[0,0,1]
	v_pk_fma_f32 v[132:133], v[140:141], v[128:129], v[132:133] op_sel:[0,0,1] op_sel_hi:[1,0,0]
	v_dual_mul_f32 v140, v143, v131 :: v_dual_mov_b32 v132, v143
	v_dual_mov_b32 v145, v133 :: v_dual_mov_b32 v133, v142
	s_delay_alu instid0(VALU_DEP_2) | instskip(SKIP_1) | instid1(VALU_DEP_3)
	v_pk_fma_f32 v[140:141], v[142:143], v[116:117], v[140:141] op_sel_hi:[1,1,0] neg_lo:[0,0,1] neg_hi:[0,0,1]
	v_mul_f32_e32 v142, v143, v128
	v_pk_add_f32 v[88:89], v[88:89], v[144:145] neg_lo:[0,1] neg_hi:[0,1]
	s_delay_alu instid0(VALU_DEP_2) | instskip(NEXT) | instid1(VALU_DEP_1)
	v_pk_fma_f32 v[132:133], v[132:133], v[116:117], v[142:143] op_sel_hi:[1,1,0]
	v_mov_b32_e32 v141, v133
	s_delay_alu instid0(VALU_DEP_1) | instskip(SKIP_3) | instid1(VALU_DEP_1)
	v_pk_add_f32 v[90:91], v[90:91], v[140:141] neg_lo:[0,1] neg_hi:[0,1]
	ds_load_2addr_b64 v[140:143], v135 offset0:19 offset1:20
	s_wait_dscnt 0x0
	v_pk_mul_f32 v[132:133], v[140:141], v[130:131] op_sel:[0,1]
	v_pk_fma_f32 v[144:145], v[140:141], v[128:129], v[132:133] op_sel:[0,0,1] op_sel_hi:[1,1,0] neg_lo:[0,0,1] neg_hi:[0,0,1]
	v_pk_fma_f32 v[132:133], v[140:141], v[128:129], v[132:133] op_sel:[0,0,1] op_sel_hi:[1,0,0]
	s_delay_alu instid0(VALU_DEP_1) | instskip(SKIP_1) | instid1(VALU_DEP_1)
	v_mov_b32_e32 v145, v133
	v_pk_mul_f32 v[132:133], v[142:143], v[130:131] op_sel:[0,1]
	v_pk_fma_f32 v[140:141], v[142:143], v[128:129], v[132:133] op_sel:[0,0,1] op_sel_hi:[1,1,0] neg_lo:[0,0,1] neg_hi:[0,0,1]
	v_pk_fma_f32 v[132:133], v[142:143], v[128:129], v[132:133] op_sel:[0,0,1] op_sel_hi:[1,0,0]
	s_delay_alu instid0(VALU_DEP_1) | instskip(SKIP_1) | instid1(VALU_DEP_2)
	v_mov_b32_e32 v141, v133
	v_pk_add_f32 v[86:87], v[86:87], v[144:145] neg_lo:[0,1] neg_hi:[0,1]
	v_pk_add_f32 v[84:85], v[84:85], v[140:141] neg_lo:[0,1] neg_hi:[0,1]
	ds_load_2addr_b64 v[140:143], v135 offset0:21 offset1:22
	s_wait_dscnt 0x0
	v_pk_mul_f32 v[132:133], v[140:141], v[130:131] op_sel:[0,1]
	s_delay_alu instid0(VALU_DEP_1) | instskip(SKIP_1) | instid1(VALU_DEP_1)
	v_pk_fma_f32 v[144:145], v[140:141], v[128:129], v[132:133] op_sel:[0,0,1] op_sel_hi:[1,1,0] neg_lo:[0,0,1] neg_hi:[0,0,1]
	v_pk_fma_f32 v[132:133], v[140:141], v[128:129], v[132:133] op_sel:[0,0,1] op_sel_hi:[1,0,0]
	v_mov_b32_e32 v145, v133
	v_pk_mul_f32 v[132:133], v[142:143], v[130:131] op_sel:[0,1]
	s_delay_alu instid0(VALU_DEP_1) | instskip(SKIP_1) | instid1(VALU_DEP_1)
	v_pk_fma_f32 v[140:141], v[142:143], v[128:129], v[132:133] op_sel:[0,0,1] op_sel_hi:[1,1,0] neg_lo:[0,0,1] neg_hi:[0,0,1]
	v_pk_fma_f32 v[132:133], v[142:143], v[128:129], v[132:133] op_sel:[0,0,1] op_sel_hi:[1,0,0]
	v_mov_b32_e32 v141, v133
	v_pk_add_f32 v[80:81], v[80:81], v[144:145] neg_lo:[0,1] neg_hi:[0,1]
	s_delay_alu instid0(VALU_DEP_2) | instskip(SKIP_3) | instid1(VALU_DEP_1)
	v_pk_add_f32 v[82:83], v[82:83], v[140:141] neg_lo:[0,1] neg_hi:[0,1]
	ds_load_2addr_b64 v[140:143], v135 offset0:23 offset1:24
	s_wait_dscnt 0x0
	v_dual_mul_f32 v132, v141, v131 :: v_dual_mul_f32 v144, v141, v128
	v_pk_fma_f32 v[132:133], v[140:141], v[116:117], v[132:133] op_sel_hi:[1,1,0] neg_lo:[0,0,1] neg_hi:[0,0,1]
	s_delay_alu instid0(VALU_DEP_2) | instskip(NEXT) | instid1(VALU_DEP_1)
	v_pk_fma_f32 v[140:141], v[140:141], v[116:117], v[144:145] op_sel:[1,0,0] op_sel_hi:[0,1,0]
	v_mov_b32_e32 v133, v141
	s_delay_alu instid0(VALU_DEP_1) | instskip(SKIP_1) | instid1(VALU_DEP_1)
	v_pk_add_f32 v[78:79], v[78:79], v[132:133] neg_lo:[0,1] neg_hi:[0,1]
	v_pk_mul_f32 v[132:133], v[142:143], v[130:131] op_sel:[0,1]
	v_pk_fma_f32 v[140:141], v[142:143], v[128:129], v[132:133] op_sel:[0,0,1] op_sel_hi:[1,1,0] neg_lo:[0,0,1] neg_hi:[0,0,1]
	v_pk_fma_f32 v[132:133], v[142:143], v[128:129], v[132:133] op_sel:[0,0,1] op_sel_hi:[1,0,0]
	s_delay_alu instid0(VALU_DEP_1) | instskip(NEXT) | instid1(VALU_DEP_1)
	v_mov_b32_e32 v141, v133
	v_pk_add_f32 v[76:77], v[76:77], v[140:141] neg_lo:[0,1] neg_hi:[0,1]
	ds_load_2addr_b64 v[140:143], v135 offset0:25 offset1:26
	s_wait_dscnt 0x0
	v_pk_mul_f32 v[132:133], v[140:141], v[130:131] op_sel:[0,1]
	s_delay_alu instid0(VALU_DEP_1) | instskip(SKIP_1) | instid1(VALU_DEP_1)
	v_pk_fma_f32 v[144:145], v[140:141], v[128:129], v[132:133] op_sel:[0,0,1] op_sel_hi:[1,1,0] neg_lo:[0,0,1] neg_hi:[0,0,1]
	v_pk_fma_f32 v[132:133], v[140:141], v[128:129], v[132:133] op_sel:[0,0,1] op_sel_hi:[1,0,0]
	v_mov_b32_e32 v145, v133
	v_pk_mul_f32 v[132:133], v[142:143], v[130:131] op_sel:[0,1]
	s_delay_alu instid0(VALU_DEP_2) | instskip(NEXT) | instid1(VALU_DEP_2)
	v_pk_add_f32 v[72:73], v[72:73], v[144:145] neg_lo:[0,1] neg_hi:[0,1]
	v_pk_fma_f32 v[140:141], v[142:143], v[128:129], v[132:133] op_sel:[0,0,1] op_sel_hi:[1,1,0] neg_lo:[0,0,1] neg_hi:[0,0,1]
	v_pk_fma_f32 v[132:133], v[142:143], v[128:129], v[132:133] op_sel:[0,0,1] op_sel_hi:[1,0,0]
	s_delay_alu instid0(VALU_DEP_1) | instskip(NEXT) | instid1(VALU_DEP_1)
	v_mov_b32_e32 v141, v133
	v_pk_add_f32 v[74:75], v[74:75], v[140:141] neg_lo:[0,1] neg_hi:[0,1]
	ds_load_2addr_b64 v[140:143], v135 offset0:27 offset1:28
	s_wait_dscnt 0x0
	v_pk_mul_f32 v[132:133], v[140:141], v[130:131] op_sel:[0,1]
	s_delay_alu instid0(VALU_DEP_1) | instskip(SKIP_2) | instid1(VALU_DEP_2)
	v_pk_fma_f32 v[144:145], v[140:141], v[128:129], v[132:133] op_sel:[0,0,1] op_sel_hi:[1,1,0] neg_lo:[0,0,1] neg_hi:[0,0,1]
	v_pk_fma_f32 v[132:133], v[140:141], v[128:129], v[132:133] op_sel:[0,0,1] op_sel_hi:[1,0,0]
	v_dual_mul_f32 v140, v143, v131 :: v_dual_mov_b32 v132, v143
	v_dual_mov_b32 v145, v133 :: v_dual_mov_b32 v133, v142
	s_delay_alu instid0(VALU_DEP_2) | instskip(SKIP_1) | instid1(VALU_DEP_3)
	v_pk_fma_f32 v[140:141], v[142:143], v[116:117], v[140:141] op_sel_hi:[1,1,0] neg_lo:[0,0,1] neg_hi:[0,0,1]
	v_mul_f32_e32 v142, v143, v128
	v_pk_add_f32 v[70:71], v[70:71], v[144:145] neg_lo:[0,1] neg_hi:[0,1]
	s_delay_alu instid0(VALU_DEP_2) | instskip(NEXT) | instid1(VALU_DEP_1)
	v_pk_fma_f32 v[132:133], v[132:133], v[116:117], v[142:143] op_sel_hi:[1,1,0]
	v_mov_b32_e32 v141, v133
	s_delay_alu instid0(VALU_DEP_1) | instskip(SKIP_3) | instid1(VALU_DEP_1)
	v_pk_add_f32 v[68:69], v[68:69], v[140:141] neg_lo:[0,1] neg_hi:[0,1]
	ds_load_2addr_b64 v[140:143], v135 offset0:29 offset1:30
	s_wait_dscnt 0x0
	v_pk_mul_f32 v[132:133], v[140:141], v[130:131] op_sel:[0,1]
	v_pk_fma_f32 v[144:145], v[140:141], v[128:129], v[132:133] op_sel:[0,0,1] op_sel_hi:[1,1,0] neg_lo:[0,0,1] neg_hi:[0,0,1]
	v_pk_fma_f32 v[132:133], v[140:141], v[128:129], v[132:133] op_sel:[0,0,1] op_sel_hi:[1,0,0]
	s_delay_alu instid0(VALU_DEP_1) | instskip(SKIP_1) | instid1(VALU_DEP_1)
	v_mov_b32_e32 v145, v133
	v_pk_mul_f32 v[132:133], v[142:143], v[130:131] op_sel:[0,1]
	v_pk_fma_f32 v[140:141], v[142:143], v[128:129], v[132:133] op_sel:[0,0,1] op_sel_hi:[1,1,0] neg_lo:[0,0,1] neg_hi:[0,0,1]
	v_pk_fma_f32 v[132:133], v[142:143], v[128:129], v[132:133] op_sel:[0,0,1] op_sel_hi:[1,0,0]
	s_delay_alu instid0(VALU_DEP_1) | instskip(SKIP_1) | instid1(VALU_DEP_2)
	v_mov_b32_e32 v141, v133
	v_pk_add_f32 v[64:65], v[64:65], v[144:145] neg_lo:[0,1] neg_hi:[0,1]
	v_pk_add_f32 v[66:67], v[66:67], v[140:141] neg_lo:[0,1] neg_hi:[0,1]
	ds_load_2addr_b64 v[140:143], v135 offset0:31 offset1:32
	s_wait_dscnt 0x0
	v_pk_mul_f32 v[132:133], v[140:141], v[130:131] op_sel:[0,1]
	s_delay_alu instid0(VALU_DEP_1) | instskip(SKIP_1) | instid1(VALU_DEP_1)
	v_pk_fma_f32 v[144:145], v[140:141], v[128:129], v[132:133] op_sel:[0,0,1] op_sel_hi:[1,1,0] neg_lo:[0,0,1] neg_hi:[0,0,1]
	v_pk_fma_f32 v[132:133], v[140:141], v[128:129], v[132:133] op_sel:[0,0,1] op_sel_hi:[1,0,0]
	v_mov_b32_e32 v145, v133
	v_pk_mul_f32 v[132:133], v[142:143], v[130:131] op_sel:[0,1]
	s_delay_alu instid0(VALU_DEP_1) | instskip(SKIP_1) | instid1(VALU_DEP_1)
	v_pk_fma_f32 v[140:141], v[142:143], v[128:129], v[132:133] op_sel:[0,0,1] op_sel_hi:[1,1,0] neg_lo:[0,0,1] neg_hi:[0,0,1]
	v_pk_fma_f32 v[132:133], v[142:143], v[128:129], v[132:133] op_sel:[0,0,1] op_sel_hi:[1,0,0]
	v_mov_b32_e32 v141, v133
	v_pk_add_f32 v[62:63], v[62:63], v[144:145] neg_lo:[0,1] neg_hi:[0,1]
	s_delay_alu instid0(VALU_DEP_2) | instskip(SKIP_3) | instid1(VALU_DEP_1)
	v_pk_add_f32 v[60:61], v[60:61], v[140:141] neg_lo:[0,1] neg_hi:[0,1]
	ds_load_2addr_b64 v[140:143], v135 offset0:33 offset1:34
	s_wait_dscnt 0x0
	v_dual_mul_f32 v132, v141, v131 :: v_dual_mul_f32 v144, v141, v128
	v_pk_fma_f32 v[132:133], v[140:141], v[116:117], v[132:133] op_sel_hi:[1,1,0] neg_lo:[0,0,1] neg_hi:[0,0,1]
	s_delay_alu instid0(VALU_DEP_2) | instskip(NEXT) | instid1(VALU_DEP_1)
	v_pk_fma_f32 v[140:141], v[140:141], v[116:117], v[144:145] op_sel:[1,0,0] op_sel_hi:[0,1,0]
	v_mov_b32_e32 v133, v141
	s_delay_alu instid0(VALU_DEP_1) | instskip(SKIP_1) | instid1(VALU_DEP_1)
	v_pk_add_f32 v[56:57], v[56:57], v[132:133] neg_lo:[0,1] neg_hi:[0,1]
	v_pk_mul_f32 v[132:133], v[142:143], v[130:131] op_sel:[0,1]
	v_pk_fma_f32 v[140:141], v[142:143], v[128:129], v[132:133] op_sel:[0,0,1] op_sel_hi:[1,1,0] neg_lo:[0,0,1] neg_hi:[0,0,1]
	v_pk_fma_f32 v[132:133], v[142:143], v[128:129], v[132:133] op_sel:[0,0,1] op_sel_hi:[1,0,0]
	s_delay_alu instid0(VALU_DEP_1) | instskip(NEXT) | instid1(VALU_DEP_1)
	v_mov_b32_e32 v141, v133
	v_pk_add_f32 v[58:59], v[58:59], v[140:141] neg_lo:[0,1] neg_hi:[0,1]
	ds_load_2addr_b64 v[140:143], v135 offset0:35 offset1:36
	s_wait_dscnt 0x0
	v_pk_mul_f32 v[132:133], v[140:141], v[130:131] op_sel:[0,1]
	s_delay_alu instid0(VALU_DEP_1) | instskip(SKIP_1) | instid1(VALU_DEP_1)
	v_pk_fma_f32 v[144:145], v[140:141], v[128:129], v[132:133] op_sel:[0,0,1] op_sel_hi:[1,1,0] neg_lo:[0,0,1] neg_hi:[0,0,1]
	v_pk_fma_f32 v[132:133], v[140:141], v[128:129], v[132:133] op_sel:[0,0,1] op_sel_hi:[1,0,0]
	v_mov_b32_e32 v145, v133
	v_pk_mul_f32 v[132:133], v[142:143], v[130:131] op_sel:[0,1]
	s_delay_alu instid0(VALU_DEP_2) | instskip(NEXT) | instid1(VALU_DEP_2)
	v_pk_add_f32 v[54:55], v[54:55], v[144:145] neg_lo:[0,1] neg_hi:[0,1]
	v_pk_fma_f32 v[140:141], v[142:143], v[128:129], v[132:133] op_sel:[0,0,1] op_sel_hi:[1,1,0] neg_lo:[0,0,1] neg_hi:[0,0,1]
	v_pk_fma_f32 v[132:133], v[142:143], v[128:129], v[132:133] op_sel:[0,0,1] op_sel_hi:[1,0,0]
	s_delay_alu instid0(VALU_DEP_1) | instskip(NEXT) | instid1(VALU_DEP_1)
	v_mov_b32_e32 v141, v133
	v_pk_add_f32 v[52:53], v[52:53], v[140:141] neg_lo:[0,1] neg_hi:[0,1]
	ds_load_2addr_b64 v[140:143], v135 offset0:37 offset1:38
	s_wait_dscnt 0x0
	v_pk_mul_f32 v[132:133], v[140:141], v[130:131] op_sel:[0,1]
	s_delay_alu instid0(VALU_DEP_1) | instskip(SKIP_2) | instid1(VALU_DEP_2)
	v_pk_fma_f32 v[144:145], v[140:141], v[128:129], v[132:133] op_sel:[0,0,1] op_sel_hi:[1,1,0] neg_lo:[0,0,1] neg_hi:[0,0,1]
	v_pk_fma_f32 v[132:133], v[140:141], v[128:129], v[132:133] op_sel:[0,0,1] op_sel_hi:[1,0,0]
	v_dual_mul_f32 v140, v143, v131 :: v_dual_mov_b32 v132, v143
	v_dual_mov_b32 v145, v133 :: v_dual_mov_b32 v133, v142
	s_delay_alu instid0(VALU_DEP_2) | instskip(SKIP_1) | instid1(VALU_DEP_3)
	v_pk_fma_f32 v[140:141], v[142:143], v[116:117], v[140:141] op_sel_hi:[1,1,0] neg_lo:[0,0,1] neg_hi:[0,0,1]
	v_mul_f32_e32 v142, v143, v128
	v_pk_add_f32 v[48:49], v[48:49], v[144:145] neg_lo:[0,1] neg_hi:[0,1]
	s_delay_alu instid0(VALU_DEP_2) | instskip(NEXT) | instid1(VALU_DEP_1)
	v_pk_fma_f32 v[132:133], v[132:133], v[116:117], v[142:143] op_sel_hi:[1,1,0]
	v_mov_b32_e32 v141, v133
	s_delay_alu instid0(VALU_DEP_1) | instskip(SKIP_3) | instid1(VALU_DEP_1)
	v_pk_add_f32 v[50:51], v[50:51], v[140:141] neg_lo:[0,1] neg_hi:[0,1]
	ds_load_2addr_b64 v[140:143], v135 offset0:39 offset1:40
	s_wait_dscnt 0x0
	v_pk_mul_f32 v[132:133], v[140:141], v[130:131] op_sel:[0,1]
	v_pk_fma_f32 v[144:145], v[140:141], v[128:129], v[132:133] op_sel:[0,0,1] op_sel_hi:[1,1,0] neg_lo:[0,0,1] neg_hi:[0,0,1]
	v_pk_fma_f32 v[132:133], v[140:141], v[128:129], v[132:133] op_sel:[0,0,1] op_sel_hi:[1,0,0]
	s_delay_alu instid0(VALU_DEP_1) | instskip(SKIP_1) | instid1(VALU_DEP_1)
	v_mov_b32_e32 v145, v133
	v_pk_mul_f32 v[132:133], v[142:143], v[130:131] op_sel:[0,1]
	v_pk_fma_f32 v[140:141], v[142:143], v[128:129], v[132:133] op_sel:[0,0,1] op_sel_hi:[1,1,0] neg_lo:[0,0,1] neg_hi:[0,0,1]
	v_pk_fma_f32 v[132:133], v[142:143], v[128:129], v[132:133] op_sel:[0,0,1] op_sel_hi:[1,0,0]
	s_delay_alu instid0(VALU_DEP_1) | instskip(SKIP_1) | instid1(VALU_DEP_2)
	v_mov_b32_e32 v141, v133
	v_pk_add_f32 v[46:47], v[46:47], v[144:145] neg_lo:[0,1] neg_hi:[0,1]
	v_pk_add_f32 v[42:43], v[42:43], v[140:141] neg_lo:[0,1] neg_hi:[0,1]
	ds_load_2addr_b64 v[140:143], v135 offset0:41 offset1:42
	s_wait_dscnt 0x0
	v_pk_mul_f32 v[132:133], v[140:141], v[130:131] op_sel:[0,1]
	s_delay_alu instid0(VALU_DEP_1) | instskip(SKIP_1) | instid1(VALU_DEP_1)
	v_pk_fma_f32 v[144:145], v[140:141], v[128:129], v[132:133] op_sel:[0,0,1] op_sel_hi:[1,1,0] neg_lo:[0,0,1] neg_hi:[0,0,1]
	v_pk_fma_f32 v[132:133], v[140:141], v[128:129], v[132:133] op_sel:[0,0,1] op_sel_hi:[1,0,0]
	v_mov_b32_e32 v145, v133
	v_pk_mul_f32 v[132:133], v[142:143], v[130:131] op_sel:[0,1]
	s_delay_alu instid0(VALU_DEP_1) | instskip(SKIP_1) | instid1(VALU_DEP_1)
	v_pk_fma_f32 v[140:141], v[142:143], v[128:129], v[132:133] op_sel:[0,0,1] op_sel_hi:[1,1,0] neg_lo:[0,0,1] neg_hi:[0,0,1]
	v_pk_fma_f32 v[132:133], v[142:143], v[128:129], v[132:133] op_sel:[0,0,1] op_sel_hi:[1,0,0]
	v_mov_b32_e32 v141, v133
	v_pk_add_f32 v[38:39], v[38:39], v[144:145] neg_lo:[0,1] neg_hi:[0,1]
	s_delay_alu instid0(VALU_DEP_2) | instskip(SKIP_3) | instid1(VALU_DEP_1)
	v_pk_add_f32 v[40:41], v[40:41], v[140:141] neg_lo:[0,1] neg_hi:[0,1]
	ds_load_2addr_b64 v[140:143], v135 offset0:43 offset1:44
	s_wait_dscnt 0x0
	v_dual_mul_f32 v132, v141, v131 :: v_dual_mul_f32 v144, v141, v128
	v_pk_fma_f32 v[132:133], v[140:141], v[116:117], v[132:133] op_sel_hi:[1,1,0] neg_lo:[0,0,1] neg_hi:[0,0,1]
	s_delay_alu instid0(VALU_DEP_2) | instskip(NEXT) | instid1(VALU_DEP_1)
	v_pk_fma_f32 v[140:141], v[140:141], v[116:117], v[144:145] op_sel:[1,0,0] op_sel_hi:[0,1,0]
	v_mov_b32_e32 v133, v141
	s_delay_alu instid0(VALU_DEP_1) | instskip(SKIP_1) | instid1(VALU_DEP_1)
	v_pk_add_f32 v[36:37], v[36:37], v[132:133] neg_lo:[0,1] neg_hi:[0,1]
	v_pk_mul_f32 v[132:133], v[142:143], v[130:131] op_sel:[0,1]
	v_pk_fma_f32 v[140:141], v[142:143], v[128:129], v[132:133] op_sel:[0,0,1] op_sel_hi:[1,1,0] neg_lo:[0,0,1] neg_hi:[0,0,1]
	v_pk_fma_f32 v[132:133], v[142:143], v[128:129], v[132:133] op_sel:[0,0,1] op_sel_hi:[1,0,0]
	s_delay_alu instid0(VALU_DEP_1) | instskip(NEXT) | instid1(VALU_DEP_1)
	v_mov_b32_e32 v141, v133
	v_pk_add_f32 v[34:35], v[34:35], v[140:141] neg_lo:[0,1] neg_hi:[0,1]
	ds_load_2addr_b64 v[140:143], v135 offset0:45 offset1:46
	s_wait_dscnt 0x0
	v_pk_mul_f32 v[132:133], v[140:141], v[130:131] op_sel:[0,1]
	s_delay_alu instid0(VALU_DEP_1) | instskip(SKIP_1) | instid1(VALU_DEP_1)
	v_pk_fma_f32 v[144:145], v[140:141], v[128:129], v[132:133] op_sel:[0,0,1] op_sel_hi:[1,1,0] neg_lo:[0,0,1] neg_hi:[0,0,1]
	v_pk_fma_f32 v[132:133], v[140:141], v[128:129], v[132:133] op_sel:[0,0,1] op_sel_hi:[1,0,0]
	v_mov_b32_e32 v145, v133
	v_pk_mul_f32 v[132:133], v[142:143], v[130:131] op_sel:[0,1]
	s_delay_alu instid0(VALU_DEP_2) | instskip(NEXT) | instid1(VALU_DEP_2)
	v_pk_add_f32 v[30:31], v[30:31], v[144:145] neg_lo:[0,1] neg_hi:[0,1]
	v_pk_fma_f32 v[140:141], v[142:143], v[128:129], v[132:133] op_sel:[0,0,1] op_sel_hi:[1,1,0] neg_lo:[0,0,1] neg_hi:[0,0,1]
	v_pk_fma_f32 v[132:133], v[142:143], v[128:129], v[132:133] op_sel:[0,0,1] op_sel_hi:[1,0,0]
	s_delay_alu instid0(VALU_DEP_1) | instskip(NEXT) | instid1(VALU_DEP_1)
	v_mov_b32_e32 v141, v133
	v_pk_add_f32 v[32:33], v[32:33], v[140:141] neg_lo:[0,1] neg_hi:[0,1]
	ds_load_2addr_b64 v[140:143], v135 offset0:47 offset1:48
	s_wait_dscnt 0x0
	v_pk_mul_f32 v[132:133], v[140:141], v[130:131] op_sel:[0,1]
	s_delay_alu instid0(VALU_DEP_1) | instskip(SKIP_2) | instid1(VALU_DEP_2)
	v_pk_fma_f32 v[144:145], v[140:141], v[128:129], v[132:133] op_sel:[0,0,1] op_sel_hi:[1,1,0] neg_lo:[0,0,1] neg_hi:[0,0,1]
	v_pk_fma_f32 v[132:133], v[140:141], v[128:129], v[132:133] op_sel:[0,0,1] op_sel_hi:[1,0,0]
	v_dual_mul_f32 v140, v143, v131 :: v_dual_mov_b32 v132, v143
	v_dual_mov_b32 v145, v133 :: v_dual_mov_b32 v133, v142
	s_delay_alu instid0(VALU_DEP_2) | instskip(SKIP_1) | instid1(VALU_DEP_3)
	v_pk_fma_f32 v[140:141], v[142:143], v[116:117], v[140:141] op_sel_hi:[1,1,0] neg_lo:[0,0,1] neg_hi:[0,0,1]
	v_mul_f32_e32 v142, v143, v128
	v_pk_add_f32 v[28:29], v[28:29], v[144:145] neg_lo:[0,1] neg_hi:[0,1]
	s_delay_alu instid0(VALU_DEP_2) | instskip(NEXT) | instid1(VALU_DEP_1)
	v_pk_fma_f32 v[132:133], v[132:133], v[116:117], v[142:143] op_sel_hi:[1,1,0]
	v_mov_b32_e32 v141, v133
	s_delay_alu instid0(VALU_DEP_1) | instskip(SKIP_3) | instid1(VALU_DEP_1)
	v_pk_add_f32 v[26:27], v[26:27], v[140:141] neg_lo:[0,1] neg_hi:[0,1]
	ds_load_2addr_b64 v[140:143], v135 offset0:49 offset1:50
	s_wait_dscnt 0x0
	v_pk_mul_f32 v[132:133], v[140:141], v[130:131] op_sel:[0,1]
	v_pk_fma_f32 v[144:145], v[140:141], v[128:129], v[132:133] op_sel:[0,0,1] op_sel_hi:[1,1,0] neg_lo:[0,0,1] neg_hi:[0,0,1]
	v_pk_fma_f32 v[132:133], v[140:141], v[128:129], v[132:133] op_sel:[0,0,1] op_sel_hi:[1,0,0]
	s_delay_alu instid0(VALU_DEP_1) | instskip(SKIP_1) | instid1(VALU_DEP_1)
	v_mov_b32_e32 v145, v133
	v_pk_mul_f32 v[132:133], v[142:143], v[130:131] op_sel:[0,1]
	v_pk_fma_f32 v[140:141], v[142:143], v[128:129], v[132:133] op_sel:[0,0,1] op_sel_hi:[1,1,0] neg_lo:[0,0,1] neg_hi:[0,0,1]
	v_pk_fma_f32 v[132:133], v[142:143], v[128:129], v[132:133] op_sel:[0,0,1] op_sel_hi:[1,0,0]
	s_delay_alu instid0(VALU_DEP_1) | instskip(SKIP_1) | instid1(VALU_DEP_2)
	v_mov_b32_e32 v141, v133
	v_pk_add_f32 v[22:23], v[22:23], v[144:145] neg_lo:[0,1] neg_hi:[0,1]
	v_pk_add_f32 v[24:25], v[24:25], v[140:141] neg_lo:[0,1] neg_hi:[0,1]
	ds_load_2addr_b64 v[140:143], v135 offset0:51 offset1:52
	s_wait_dscnt 0x0
	v_pk_mul_f32 v[132:133], v[140:141], v[130:131] op_sel:[0,1]
	s_delay_alu instid0(VALU_DEP_1) | instskip(SKIP_1) | instid1(VALU_DEP_1)
	v_pk_fma_f32 v[144:145], v[140:141], v[128:129], v[132:133] op_sel:[0,0,1] op_sel_hi:[1,1,0] neg_lo:[0,0,1] neg_hi:[0,0,1]
	v_pk_fma_f32 v[132:133], v[140:141], v[128:129], v[132:133] op_sel:[0,0,1] op_sel_hi:[1,0,0]
	v_mov_b32_e32 v145, v133
	v_pk_mul_f32 v[132:133], v[142:143], v[130:131] op_sel:[0,1]
	s_delay_alu instid0(VALU_DEP_1) | instskip(SKIP_1) | instid1(VALU_DEP_1)
	v_pk_fma_f32 v[140:141], v[142:143], v[128:129], v[132:133] op_sel:[0,0,1] op_sel_hi:[1,1,0] neg_lo:[0,0,1] neg_hi:[0,0,1]
	v_pk_fma_f32 v[132:133], v[142:143], v[128:129], v[132:133] op_sel:[0,0,1] op_sel_hi:[1,0,0]
	v_mov_b32_e32 v141, v133
	v_pk_add_f32 v[44:45], v[44:45], v[144:145] neg_lo:[0,1] neg_hi:[0,1]
	s_delay_alu instid0(VALU_DEP_2) | instskip(SKIP_3) | instid1(VALU_DEP_1)
	v_pk_add_f32 v[16:17], v[16:17], v[140:141] neg_lo:[0,1] neg_hi:[0,1]
	ds_load_2addr_b64 v[140:143], v135 offset0:53 offset1:54
	s_wait_dscnt 0x0
	v_dual_mul_f32 v132, v141, v131 :: v_dual_mul_f32 v144, v141, v128
	v_pk_fma_f32 v[132:133], v[140:141], v[116:117], v[132:133] op_sel_hi:[1,1,0] neg_lo:[0,0,1] neg_hi:[0,0,1]
	s_delay_alu instid0(VALU_DEP_2) | instskip(NEXT) | instid1(VALU_DEP_1)
	v_pk_fma_f32 v[140:141], v[140:141], v[116:117], v[144:145] op_sel:[1,0,0] op_sel_hi:[0,1,0]
	v_mov_b32_e32 v133, v141
	s_delay_alu instid0(VALU_DEP_1) | instskip(SKIP_1) | instid1(VALU_DEP_1)
	v_pk_add_f32 v[12:13], v[12:13], v[132:133] neg_lo:[0,1] neg_hi:[0,1]
	v_pk_mul_f32 v[132:133], v[142:143], v[130:131] op_sel:[0,1]
	v_pk_fma_f32 v[140:141], v[142:143], v[128:129], v[132:133] op_sel:[0,0,1] op_sel_hi:[1,1,0] neg_lo:[0,0,1] neg_hi:[0,0,1]
	v_pk_fma_f32 v[132:133], v[142:143], v[128:129], v[132:133] op_sel:[0,0,1] op_sel_hi:[1,0,0]
	s_delay_alu instid0(VALU_DEP_1) | instskip(NEXT) | instid1(VALU_DEP_1)
	v_mov_b32_e32 v141, v133
	v_pk_add_f32 v[14:15], v[14:15], v[140:141] neg_lo:[0,1] neg_hi:[0,1]
	ds_load_2addr_b64 v[140:143], v135 offset0:55 offset1:56
	s_wait_dscnt 0x0
	v_pk_mul_f32 v[132:133], v[140:141], v[130:131] op_sel:[0,1]
	s_delay_alu instid0(VALU_DEP_1) | instskip(SKIP_1) | instid1(VALU_DEP_1)
	v_pk_fma_f32 v[144:145], v[140:141], v[128:129], v[132:133] op_sel:[0,0,1] op_sel_hi:[1,1,0] neg_lo:[0,0,1] neg_hi:[0,0,1]
	v_pk_fma_f32 v[132:133], v[140:141], v[128:129], v[132:133] op_sel:[0,0,1] op_sel_hi:[1,0,0]
	v_mov_b32_e32 v145, v133
	v_pk_mul_f32 v[132:133], v[142:143], v[130:131] op_sel:[0,1]
	s_delay_alu instid0(VALU_DEP_2) | instskip(NEXT) | instid1(VALU_DEP_2)
	v_pk_add_f32 v[10:11], v[10:11], v[144:145] neg_lo:[0,1] neg_hi:[0,1]
	v_pk_fma_f32 v[140:141], v[142:143], v[128:129], v[132:133] op_sel:[0,0,1] op_sel_hi:[1,1,0] neg_lo:[0,0,1] neg_hi:[0,0,1]
	v_pk_fma_f32 v[132:133], v[142:143], v[128:129], v[132:133] op_sel:[0,0,1] op_sel_hi:[1,0,0]
	s_delay_alu instid0(VALU_DEP_1) | instskip(NEXT) | instid1(VALU_DEP_1)
	v_mov_b32_e32 v141, v133
	v_pk_add_f32 v[6:7], v[6:7], v[140:141] neg_lo:[0,1] neg_hi:[0,1]
	ds_load_2addr_b64 v[140:143], v135 offset0:57 offset1:58
	s_wait_dscnt 0x0
	v_pk_mul_f32 v[132:133], v[140:141], v[130:131] op_sel:[0,1]
	s_delay_alu instid0(VALU_DEP_1) | instskip(SKIP_2) | instid1(VALU_DEP_2)
	v_pk_fma_f32 v[144:145], v[140:141], v[128:129], v[132:133] op_sel:[0,0,1] op_sel_hi:[1,1,0] neg_lo:[0,0,1] neg_hi:[0,0,1]
	v_pk_fma_f32 v[132:133], v[140:141], v[128:129], v[132:133] op_sel:[0,0,1] op_sel_hi:[1,0,0]
	v_dual_mul_f32 v140, v143, v131 :: v_dual_mov_b32 v132, v143
	v_dual_mov_b32 v145, v133 :: v_dual_mov_b32 v133, v142
	s_delay_alu instid0(VALU_DEP_2) | instskip(SKIP_1) | instid1(VALU_DEP_3)
	v_pk_fma_f32 v[140:141], v[142:143], v[116:117], v[140:141] op_sel_hi:[1,1,0] neg_lo:[0,0,1] neg_hi:[0,0,1]
	v_mul_f32_e32 v142, v143, v128
	v_pk_add_f32 v[20:21], v[20:21], v[144:145] neg_lo:[0,1] neg_hi:[0,1]
	s_delay_alu instid0(VALU_DEP_2) | instskip(NEXT) | instid1(VALU_DEP_1)
	v_pk_fma_f32 v[132:133], v[132:133], v[116:117], v[142:143] op_sel_hi:[1,1,0]
	v_mov_b32_e32 v141, v133
	s_delay_alu instid0(VALU_DEP_1) | instskip(SKIP_4) | instid1(VALU_DEP_2)
	v_pk_add_f32 v[18:19], v[18:19], v[140:141] neg_lo:[0,1] neg_hi:[0,1]
	ds_load_2addr_b64 v[140:143], v135 offset0:59 offset1:60
	s_wait_dscnt 0x0
	v_pk_mul_f32 v[132:133], v[140:141], v[130:131] op_sel:[0,1]
	v_pk_mul_f32 v[130:131], v[142:143], v[130:131] op_sel:[0,1]
	v_pk_fma_f32 v[144:145], v[140:141], v[128:129], v[132:133] op_sel:[0,0,1] op_sel_hi:[1,1,0] neg_lo:[0,0,1] neg_hi:[0,0,1]
	v_pk_fma_f32 v[132:133], v[140:141], v[128:129], v[132:133] op_sel:[0,0,1] op_sel_hi:[1,0,0]
	s_delay_alu instid0(VALU_DEP_1) | instskip(NEXT) | instid1(VALU_DEP_4)
	v_mov_b32_e32 v145, v133
	v_pk_fma_f32 v[132:133], v[142:143], v[128:129], v[130:131] op_sel:[0,0,1] op_sel_hi:[1,1,0] neg_lo:[0,0,1] neg_hi:[0,0,1]
	v_pk_fma_f32 v[128:129], v[142:143], v[128:129], v[130:131] op_sel:[0,0,1] op_sel_hi:[1,0,0]
	s_delay_alu instid0(VALU_DEP_1) | instskip(NEXT) | instid1(VALU_DEP_4)
	v_mov_b32_e32 v133, v129
	v_pk_add_f32 v[8:9], v[8:9], v[144:145] neg_lo:[0,1] neg_hi:[0,1]
	s_delay_alu instid0(VALU_DEP_2)
	v_pk_add_f32 v[126:127], v[126:127], v[132:133] neg_lo:[0,1] neg_hi:[0,1]
.LBB120_104:
	s_or_b32 exec_lo, exec_lo, s0
	v_lshl_add_u32 v128, v138, 3, v135
	s_barrier_signal -1
	s_barrier_wait -1
	ds_store_b64 v128, v[112:113]
	s_wait_dscnt 0x0
	s_barrier_signal -1
	s_barrier_wait -1
	ds_load_b64 v[130:131], v135 offset:40
	v_mov_b32_e32 v128, 5
	s_cmp_lt_i32 s18, 7
	s_cbranch_scc1 .LBB120_107
; %bb.105:
	v_add3_u32 v129, v136, 0, 48
	v_mov_b32_e32 v128, 5
	s_mov_b32 s0, 6
.LBB120_106:                            ; =>This Inner Loop Header: Depth=1
	ds_load_b64 v[132:133], v129
	s_wait_dscnt 0x1
	v_cmp_gt_f32_e32 vcc_lo, 0, v130
	v_cndmask_b32_e64 v140, v130, -v130, vcc_lo
	v_cmp_gt_f32_e32 vcc_lo, 0, v131
	v_cndmask_b32_e64 v142, v131, -v131, vcc_lo
	s_wait_dscnt 0x0
	v_cmp_gt_f32_e32 vcc_lo, 0, v132
	v_cndmask_b32_e64 v141, v132, -v132, vcc_lo
	v_cmp_gt_f32_e32 vcc_lo, 0, v133
	v_cndmask_b32_e64 v143, v133, -v133, vcc_lo
	s_delay_alu instid0(VALU_DEP_1) | instskip(NEXT) | instid1(VALU_DEP_1)
	v_pk_add_f32 v[140:141], v[140:141], v[142:143]
	v_cmp_lt_f32_e32 vcc_lo, v140, v141
	v_dual_cndmask_b32 v130, v130, v132 :: v_dual_add_nc_u32 v129, 8, v129
	v_cndmask_b32_e32 v131, v131, v133, vcc_lo
	v_cndmask_b32_e64 v128, v128, s0, vcc_lo
	s_add_co_i32 s0, s0, 1
	s_delay_alu instid0(SALU_CYCLE_1)
	s_cmp_lg_u32 s18, s0
	s_cbranch_scc1 .LBB120_106
.LBB120_107:
	s_wait_dscnt 0x0
	v_cmp_eq_f32_e32 vcc_lo, 0, v130
	v_cmp_eq_f32_e64 s0, 0, v131
	s_and_b32 s0, vcc_lo, s0
	s_delay_alu instid0(SALU_CYCLE_1) | instskip(NEXT) | instid1(SALU_CYCLE_1)
	s_and_saveexec_b32 s1, s0
	s_xor_b32 s0, exec_lo, s1
; %bb.108:
	v_cmp_ne_u32_e32 vcc_lo, 0, v134
	v_cndmask_b32_e32 v134, 6, v134, vcc_lo
; %bb.109:
	s_and_not1_saveexec_b32 s0, s0
	s_cbranch_execz .LBB120_115
; %bb.110:
	v_cmp_ngt_f32_e64 s1, |v130|, |v131|
	s_and_saveexec_b32 s12, s1
	s_delay_alu instid0(SALU_CYCLE_1)
	s_xor_b32 s1, exec_lo, s12
	s_cbranch_execz .LBB120_112
; %bb.111:
	v_div_scale_f32 v129, null, v131, v131, v130
	v_div_scale_f32 v139, vcc_lo, v130, v131, v130
	s_delay_alu instid0(VALU_DEP_2) | instskip(SKIP_1) | instid1(TRANS32_DEP_1)
	v_rcp_f32_e32 v132, v129
	v_nop
	v_fma_f32 v133, -v129, v132, 1.0
	s_delay_alu instid0(VALU_DEP_1) | instskip(NEXT) | instid1(VALU_DEP_1)
	v_fmac_f32_e32 v132, v133, v132
	v_mul_f32_e32 v133, v139, v132
	s_delay_alu instid0(VALU_DEP_1) | instskip(NEXT) | instid1(VALU_DEP_1)
	v_fma_f32 v140, -v129, v133, v139
	v_fmac_f32_e32 v133, v140, v132
	s_delay_alu instid0(VALU_DEP_1) | instskip(NEXT) | instid1(VALU_DEP_1)
	v_fma_f32 v129, -v129, v133, v139
	v_div_fmas_f32 v129, v129, v132, v133
	s_delay_alu instid0(VALU_DEP_1) | instskip(NEXT) | instid1(VALU_DEP_1)
	v_div_fixup_f32 v129, v129, v131, v130
	v_fmac_f32_e32 v131, v130, v129
	s_delay_alu instid0(VALU_DEP_1) | instskip(SKIP_1) | instid1(VALU_DEP_2)
	v_div_scale_f32 v130, null, v131, v131, 1.0
	v_div_scale_f32 v139, vcc_lo, 1.0, v131, 1.0
	v_rcp_f32_e32 v132, v130
	v_nop
	s_delay_alu instid0(TRANS32_DEP_1) | instskip(NEXT) | instid1(VALU_DEP_1)
	v_fma_f32 v133, -v130, v132, 1.0
	v_fmac_f32_e32 v132, v133, v132
	s_delay_alu instid0(VALU_DEP_1) | instskip(NEXT) | instid1(VALU_DEP_1)
	v_mul_f32_e32 v133, v139, v132
	v_fma_f32 v140, -v130, v133, v139
	s_delay_alu instid0(VALU_DEP_1) | instskip(NEXT) | instid1(VALU_DEP_1)
	v_fmac_f32_e32 v133, v140, v132
	v_fma_f32 v130, -v130, v133, v139
	s_delay_alu instid0(VALU_DEP_1) | instskip(NEXT) | instid1(VALU_DEP_1)
	v_div_fmas_f32 v130, v130, v132, v133
	v_div_fixup_f32 v131, v130, v131, 1.0
	s_delay_alu instid0(VALU_DEP_1)
	v_mul_f32_e32 v130, v129, v131
	v_xor_b32_e32 v131, 0x80000000, v131
.LBB120_112:
	s_and_not1_saveexec_b32 s1, s1
	s_cbranch_execz .LBB120_114
; %bb.113:
	s_delay_alu instid0(VALU_DEP_1) | instskip(SKIP_1) | instid1(VALU_DEP_2)
	v_div_scale_f32 v129, null, v130, v130, v131
	v_div_scale_f32 v139, vcc_lo, v131, v130, v131
	v_rcp_f32_e32 v132, v129
	v_nop
	s_delay_alu instid0(TRANS32_DEP_1) | instskip(NEXT) | instid1(VALU_DEP_1)
	v_fma_f32 v133, -v129, v132, 1.0
	v_fmac_f32_e32 v132, v133, v132
	s_delay_alu instid0(VALU_DEP_1) | instskip(NEXT) | instid1(VALU_DEP_1)
	v_mul_f32_e32 v133, v139, v132
	v_fma_f32 v140, -v129, v133, v139
	s_delay_alu instid0(VALU_DEP_1) | instskip(NEXT) | instid1(VALU_DEP_1)
	v_fmac_f32_e32 v133, v140, v132
	v_fma_f32 v129, -v129, v133, v139
	s_delay_alu instid0(VALU_DEP_1) | instskip(NEXT) | instid1(VALU_DEP_1)
	v_div_fmas_f32 v129, v129, v132, v133
	v_div_fixup_f32 v129, v129, v130, v131
	s_delay_alu instid0(VALU_DEP_1) | instskip(NEXT) | instid1(VALU_DEP_1)
	v_fmac_f32_e32 v130, v131, v129
	v_div_scale_f32 v131, null, v130, v130, 1.0
	s_delay_alu instid0(VALU_DEP_1) | instskip(SKIP_1) | instid1(TRANS32_DEP_1)
	v_rcp_f32_e32 v132, v131
	v_nop
	v_fma_f32 v133, -v131, v132, 1.0
	s_delay_alu instid0(VALU_DEP_1) | instskip(SKIP_1) | instid1(VALU_DEP_1)
	v_fmac_f32_e32 v132, v133, v132
	v_div_scale_f32 v133, vcc_lo, 1.0, v130, 1.0
	v_mul_f32_e32 v139, v133, v132
	s_delay_alu instid0(VALU_DEP_1) | instskip(NEXT) | instid1(VALU_DEP_1)
	v_fma_f32 v140, -v131, v139, v133
	v_fmac_f32_e32 v139, v140, v132
	s_delay_alu instid0(VALU_DEP_1) | instskip(NEXT) | instid1(VALU_DEP_1)
	v_fma_f32 v131, -v131, v139, v133
	v_div_fmas_f32 v131, v131, v132, v139
	s_delay_alu instid0(VALU_DEP_1) | instskip(NEXT) | instid1(VALU_DEP_1)
	v_div_fixup_f32 v130, v131, v130, 1.0
	v_mul_f32_e64 v131, v129, -v130
.LBB120_114:
	s_or_b32 exec_lo, exec_lo, s1
.LBB120_115:
	s_delay_alu instid0(SALU_CYCLE_1) | instskip(NEXT) | instid1(SALU_CYCLE_1)
	s_or_b32 exec_lo, exec_lo, s0
	s_mov_b32 s0, exec_lo
	v_cmpx_ne_u32_e64 v138, v128
	s_xor_b32 s0, exec_lo, s0
	s_cbranch_execz .LBB120_121
; %bb.116:
	s_mov_b32 s1, exec_lo
	v_cmpx_eq_u32_e32 5, v138
	s_cbranch_execz .LBB120_120
; %bb.117:
	v_cmp_ne_u32_e32 vcc_lo, 5, v128
	s_xor_b32 s12, s16, -1
	s_delay_alu instid0(SALU_CYCLE_1) | instskip(NEXT) | instid1(SALU_CYCLE_1)
	s_and_b32 s13, s12, vcc_lo
	s_and_saveexec_b32 s12, s13
	s_cbranch_execz .LBB120_119
; %bb.118:
	v_ashrrev_i32_e32 v129, 31, v128
	s_delay_alu instid0(VALU_DEP_1)
	v_lshl_add_u64 v[132:133], v[128:129], 2, v[4:5]
	s_clause 0x1
	global_load_b32 v129, v[132:133], off
	global_load_b32 v137, v[4:5], off offset:20
	s_wait_loadcnt 0x1
	global_store_b32 v[4:5], v129, off offset:20
	s_wait_loadcnt 0x0
	global_store_b32 v[132:133], v137, off
.LBB120_119:
	s_wait_xcnt 0x0
	s_or_b32 exec_lo, exec_lo, s12
	v_dual_mov_b32 v138, v128 :: v_dual_mov_b32 v137, v128
.LBB120_120:
	s_or_b32 exec_lo, exec_lo, s1
.LBB120_121:
	s_and_not1_saveexec_b32 s0, s0
	s_cbranch_execz .LBB120_123
; %bb.122:
	v_dual_mov_b32 v128, v114 :: v_dual_mov_b32 v129, v115
	v_dual_mov_b32 v132, v110 :: v_dual_mov_b32 v133, v111
	;; [unrolled: 1-line block ×8, first 2 shown]
	ds_store_2addr_b64 v135, v[128:129], v[132:133] offset0:6 offset1:7
	ds_store_2addr_b64 v135, v[138:139], v[140:141] offset0:8 offset1:9
	ds_store_2addr_b64 v135, v[142:143], v[144:145] offset0:10 offset1:11
	ds_store_2addr_b64 v135, v[146:147], v[148:149] offset0:12 offset1:13
	v_dual_mov_b32 v128, v98 :: v_dual_mov_b32 v129, v99
	v_dual_mov_b32 v132, v94 :: v_dual_mov_b32 v133, v95
	v_dual_mov_b32 v138, v92 :: v_dual_mov_b32 v139, v93
	v_dual_mov_b32 v140, v88 :: v_dual_mov_b32 v141, v89
	v_dual_mov_b32 v142, v90 :: v_dual_mov_b32 v143, v91
	v_dual_mov_b32 v144, v86 :: v_dual_mov_b32 v145, v87
	v_dual_mov_b32 v146, v84 :: v_dual_mov_b32 v147, v85
	v_dual_mov_b32 v148, v80 :: v_dual_mov_b32 v149, v81
	v_dual_mov_b32 v150, v82 :: v_dual_mov_b32 v151, v83
	v_dual_mov_b32 v152, v78 :: v_dual_mov_b32 v153, v79
	v_dual_mov_b32 v154, v76 :: v_dual_mov_b32 v155, v77
	v_dual_mov_b32 v156, v72 :: v_dual_mov_b32 v157, v73
	ds_store_2addr_b64 v135, v[128:129], v[132:133] offset0:14 offset1:15
	ds_store_2addr_b64 v135, v[138:139], v[140:141] offset0:16 offset1:17
	ds_store_2addr_b64 v135, v[142:143], v[144:145] offset0:18 offset1:19
	ds_store_2addr_b64 v135, v[146:147], v[148:149] offset0:20 offset1:21
	ds_store_2addr_b64 v135, v[150:151], v[152:153] offset0:22 offset1:23
	ds_store_2addr_b64 v135, v[154:155], v[156:157] offset0:24 offset1:25
	v_dual_mov_b32 v128, v74 :: v_dual_mov_b32 v129, v75
	v_dual_mov_b32 v132, v70 :: v_dual_mov_b32 v133, v71
	v_dual_mov_b32 v138, v68 :: v_dual_mov_b32 v139, v69
	v_dual_mov_b32 v140, v64 :: v_dual_mov_b32 v141, v65
	v_dual_mov_b32 v142, v66 :: v_dual_mov_b32 v143, v67
	v_dual_mov_b32 v144, v62 :: v_dual_mov_b32 v145, v63
	v_dual_mov_b32 v146, v60 :: v_dual_mov_b32 v147, v61
	v_dual_mov_b32 v148, v56 :: v_dual_mov_b32 v149, v57
	v_dual_mov_b32 v150, v58 :: v_dual_mov_b32 v151, v59
	v_dual_mov_b32 v152, v54 :: v_dual_mov_b32 v153, v55
	v_dual_mov_b32 v154, v52 :: v_dual_mov_b32 v155, v53
	v_dual_mov_b32 v156, v48 :: v_dual_mov_b32 v157, v49
	ds_store_2addr_b64 v135, v[128:129], v[132:133] offset0:26 offset1:27
	ds_store_2addr_b64 v135, v[138:139], v[140:141] offset0:28 offset1:29
	;; [unrolled: 18-line block ×3, first 2 shown]
	ds_store_2addr_b64 v135, v[142:143], v[144:145] offset0:42 offset1:43
	ds_store_2addr_b64 v135, v[146:147], v[148:149] offset0:44 offset1:45
	;; [unrolled: 1-line block ×4, first 2 shown]
	v_dual_mov_b32 v128, v24 :: v_dual_mov_b32 v129, v25
	v_dual_mov_b32 v132, v44 :: v_dual_mov_b32 v133, v45
	;; [unrolled: 1-line block ×6, first 2 shown]
	ds_store_2addr_b64 v135, v[128:129], v[132:133] offset0:50 offset1:51
	ds_store_2addr_b64 v135, v[138:139], v[140:141] offset0:52 offset1:53
	v_dual_mov_b32 v138, 5 :: v_dual_mov_b32 v146, v6
	v_dual_mov_b32 v147, v7 :: v_dual_mov_b32 v148, v20
	;; [unrolled: 1-line block ×4, first 2 shown]
	v_mov_b32_e32 v153, v9
	ds_store_2addr_b64 v135, v[142:143], v[144:145] offset0:54 offset1:55
	ds_store_2addr_b64 v135, v[146:147], v[148:149] offset0:56 offset1:57
	;; [unrolled: 1-line block ×3, first 2 shown]
	ds_store_b64 v135, v[126:127] offset:480
.LBB120_123:
	s_or_b32 exec_lo, exec_lo, s0
	s_delay_alu instid0(SALU_CYCLE_1)
	s_mov_b32 s0, exec_lo
	s_wait_storecnt_dscnt 0x0
	s_barrier_signal -1
	s_barrier_wait -1
	v_cmpx_lt_i32_e32 5, v138
	s_cbranch_execz .LBB120_125
; %bb.124:
	ds_load_2addr_b64 v[140:143], v135 offset0:6 offset1:7
	v_pk_mul_f32 v[132:133], v[130:131], v[112:113] op_sel:[1,1] op_sel_hi:[0,1]
	s_delay_alu instid0(VALU_DEP_1) | instskip(SKIP_1) | instid1(VALU_DEP_1)
	v_pk_fma_f32 v[128:129], v[130:131], v[112:113], v[132:133] op_sel_hi:[1,0,1] neg_lo:[0,0,1] neg_hi:[0,0,1]
	v_pk_fma_f32 v[130:131], v[130:131], v[112:113], v[132:133] op_sel_hi:[1,0,1]
	v_dual_mov_b32 v112, v128 :: v_dual_mov_b32 v113, v131
	s_wait_dscnt 0x0
	s_delay_alu instid0(VALU_DEP_2) | instskip(NEXT) | instid1(VALU_DEP_1)
	v_pk_mul_f32 v[132:133], v[140:141], v[130:131] op_sel:[0,1]
	v_pk_fma_f32 v[144:145], v[140:141], v[128:129], v[132:133] op_sel:[0,0,1] op_sel_hi:[1,1,0] neg_lo:[0,0,1] neg_hi:[0,0,1]
	v_pk_fma_f32 v[132:133], v[140:141], v[128:129], v[132:133] op_sel:[0,0,1] op_sel_hi:[1,0,0]
	s_delay_alu instid0(VALU_DEP_1) | instskip(SKIP_1) | instid1(VALU_DEP_1)
	v_mov_b32_e32 v145, v133
	v_pk_mul_f32 v[132:133], v[142:143], v[130:131] op_sel:[0,1]
	v_pk_fma_f32 v[140:141], v[142:143], v[128:129], v[132:133] op_sel:[0,0,1] op_sel_hi:[1,1,0] neg_lo:[0,0,1] neg_hi:[0,0,1]
	v_pk_fma_f32 v[132:133], v[142:143], v[128:129], v[132:133] op_sel:[0,0,1] op_sel_hi:[1,0,0]
	s_delay_alu instid0(VALU_DEP_1) | instskip(SKIP_1) | instid1(VALU_DEP_2)
	v_mov_b32_e32 v141, v133
	v_pk_add_f32 v[114:115], v[114:115], v[144:145] neg_lo:[0,1] neg_hi:[0,1]
	v_pk_add_f32 v[110:111], v[110:111], v[140:141] neg_lo:[0,1] neg_hi:[0,1]
	ds_load_2addr_b64 v[140:143], v135 offset0:8 offset1:9
	s_wait_dscnt 0x0
	v_pk_mul_f32 v[132:133], v[140:141], v[130:131] op_sel:[0,1]
	s_delay_alu instid0(VALU_DEP_1) | instskip(SKIP_2) | instid1(VALU_DEP_2)
	v_pk_fma_f32 v[144:145], v[140:141], v[128:129], v[132:133] op_sel:[0,0,1] op_sel_hi:[1,1,0] neg_lo:[0,0,1] neg_hi:[0,0,1]
	v_pk_fma_f32 v[132:133], v[140:141], v[128:129], v[132:133] op_sel:[0,0,1] op_sel_hi:[1,0,0]
	v_dual_mul_f32 v140, v143, v131 :: v_dual_mov_b32 v132, v143
	v_dual_mov_b32 v145, v133 :: v_dual_mov_b32 v133, v142
	s_delay_alu instid0(VALU_DEP_2) | instskip(SKIP_1) | instid1(VALU_DEP_3)
	v_pk_fma_f32 v[140:141], v[142:143], v[112:113], v[140:141] op_sel_hi:[1,1,0] neg_lo:[0,0,1] neg_hi:[0,0,1]
	v_mul_f32_e32 v142, v143, v128
	v_pk_add_f32 v[108:109], v[108:109], v[144:145] neg_lo:[0,1] neg_hi:[0,1]
	s_delay_alu instid0(VALU_DEP_2) | instskip(NEXT) | instid1(VALU_DEP_1)
	v_pk_fma_f32 v[132:133], v[132:133], v[112:113], v[142:143] op_sel_hi:[1,1,0]
	v_mov_b32_e32 v141, v133
	s_delay_alu instid0(VALU_DEP_1) | instskip(SKIP_3) | instid1(VALU_DEP_1)
	v_pk_add_f32 v[104:105], v[104:105], v[140:141] neg_lo:[0,1] neg_hi:[0,1]
	ds_load_2addr_b64 v[140:143], v135 offset0:10 offset1:11
	s_wait_dscnt 0x0
	v_pk_mul_f32 v[132:133], v[140:141], v[130:131] op_sel:[0,1]
	v_pk_fma_f32 v[144:145], v[140:141], v[128:129], v[132:133] op_sel:[0,0,1] op_sel_hi:[1,1,0] neg_lo:[0,0,1] neg_hi:[0,0,1]
	v_pk_fma_f32 v[132:133], v[140:141], v[128:129], v[132:133] op_sel:[0,0,1] op_sel_hi:[1,0,0]
	s_delay_alu instid0(VALU_DEP_1) | instskip(SKIP_1) | instid1(VALU_DEP_1)
	v_mov_b32_e32 v145, v133
	v_pk_mul_f32 v[132:133], v[142:143], v[130:131] op_sel:[0,1]
	v_pk_fma_f32 v[140:141], v[142:143], v[128:129], v[132:133] op_sel:[0,0,1] op_sel_hi:[1,1,0] neg_lo:[0,0,1] neg_hi:[0,0,1]
	v_pk_fma_f32 v[132:133], v[142:143], v[128:129], v[132:133] op_sel:[0,0,1] op_sel_hi:[1,0,0]
	s_delay_alu instid0(VALU_DEP_1) | instskip(SKIP_1) | instid1(VALU_DEP_2)
	v_mov_b32_e32 v141, v133
	v_pk_add_f32 v[106:107], v[106:107], v[144:145] neg_lo:[0,1] neg_hi:[0,1]
	v_pk_add_f32 v[102:103], v[102:103], v[140:141] neg_lo:[0,1] neg_hi:[0,1]
	ds_load_2addr_b64 v[140:143], v135 offset0:12 offset1:13
	s_wait_dscnt 0x0
	v_pk_mul_f32 v[132:133], v[140:141], v[130:131] op_sel:[0,1]
	s_delay_alu instid0(VALU_DEP_1) | instskip(SKIP_1) | instid1(VALU_DEP_1)
	v_pk_fma_f32 v[144:145], v[140:141], v[128:129], v[132:133] op_sel:[0,0,1] op_sel_hi:[1,1,0] neg_lo:[0,0,1] neg_hi:[0,0,1]
	v_pk_fma_f32 v[132:133], v[140:141], v[128:129], v[132:133] op_sel:[0,0,1] op_sel_hi:[1,0,0]
	v_mov_b32_e32 v145, v133
	v_pk_mul_f32 v[132:133], v[142:143], v[130:131] op_sel:[0,1]
	s_delay_alu instid0(VALU_DEP_1) | instskip(SKIP_1) | instid1(VALU_DEP_1)
	v_pk_fma_f32 v[140:141], v[142:143], v[128:129], v[132:133] op_sel:[0,0,1] op_sel_hi:[1,1,0] neg_lo:[0,0,1] neg_hi:[0,0,1]
	v_pk_fma_f32 v[132:133], v[142:143], v[128:129], v[132:133] op_sel:[0,0,1] op_sel_hi:[1,0,0]
	v_mov_b32_e32 v141, v133
	v_pk_add_f32 v[100:101], v[100:101], v[144:145] neg_lo:[0,1] neg_hi:[0,1]
	s_delay_alu instid0(VALU_DEP_2) | instskip(SKIP_3) | instid1(VALU_DEP_1)
	v_pk_add_f32 v[96:97], v[96:97], v[140:141] neg_lo:[0,1] neg_hi:[0,1]
	ds_load_2addr_b64 v[140:143], v135 offset0:14 offset1:15
	s_wait_dscnt 0x0
	v_dual_mul_f32 v132, v141, v131 :: v_dual_mul_f32 v144, v141, v128
	v_pk_fma_f32 v[132:133], v[140:141], v[112:113], v[132:133] op_sel_hi:[1,1,0] neg_lo:[0,0,1] neg_hi:[0,0,1]
	s_delay_alu instid0(VALU_DEP_2) | instskip(NEXT) | instid1(VALU_DEP_1)
	v_pk_fma_f32 v[140:141], v[140:141], v[112:113], v[144:145] op_sel:[1,0,0] op_sel_hi:[0,1,0]
	v_mov_b32_e32 v133, v141
	s_delay_alu instid0(VALU_DEP_1) | instskip(SKIP_1) | instid1(VALU_DEP_1)
	v_pk_add_f32 v[98:99], v[98:99], v[132:133] neg_lo:[0,1] neg_hi:[0,1]
	v_pk_mul_f32 v[132:133], v[142:143], v[130:131] op_sel:[0,1]
	v_pk_fma_f32 v[140:141], v[142:143], v[128:129], v[132:133] op_sel:[0,0,1] op_sel_hi:[1,1,0] neg_lo:[0,0,1] neg_hi:[0,0,1]
	v_pk_fma_f32 v[132:133], v[142:143], v[128:129], v[132:133] op_sel:[0,0,1] op_sel_hi:[1,0,0]
	s_delay_alu instid0(VALU_DEP_1) | instskip(NEXT) | instid1(VALU_DEP_1)
	v_mov_b32_e32 v141, v133
	v_pk_add_f32 v[94:95], v[94:95], v[140:141] neg_lo:[0,1] neg_hi:[0,1]
	ds_load_2addr_b64 v[140:143], v135 offset0:16 offset1:17
	s_wait_dscnt 0x0
	v_pk_mul_f32 v[132:133], v[140:141], v[130:131] op_sel:[0,1]
	s_delay_alu instid0(VALU_DEP_1) | instskip(SKIP_1) | instid1(VALU_DEP_1)
	v_pk_fma_f32 v[144:145], v[140:141], v[128:129], v[132:133] op_sel:[0,0,1] op_sel_hi:[1,1,0] neg_lo:[0,0,1] neg_hi:[0,0,1]
	v_pk_fma_f32 v[132:133], v[140:141], v[128:129], v[132:133] op_sel:[0,0,1] op_sel_hi:[1,0,0]
	v_mov_b32_e32 v145, v133
	v_pk_mul_f32 v[132:133], v[142:143], v[130:131] op_sel:[0,1]
	s_delay_alu instid0(VALU_DEP_2) | instskip(NEXT) | instid1(VALU_DEP_2)
	v_pk_add_f32 v[92:93], v[92:93], v[144:145] neg_lo:[0,1] neg_hi:[0,1]
	v_pk_fma_f32 v[140:141], v[142:143], v[128:129], v[132:133] op_sel:[0,0,1] op_sel_hi:[1,1,0] neg_lo:[0,0,1] neg_hi:[0,0,1]
	v_pk_fma_f32 v[132:133], v[142:143], v[128:129], v[132:133] op_sel:[0,0,1] op_sel_hi:[1,0,0]
	s_delay_alu instid0(VALU_DEP_1) | instskip(NEXT) | instid1(VALU_DEP_1)
	v_mov_b32_e32 v141, v133
	v_pk_add_f32 v[88:89], v[88:89], v[140:141] neg_lo:[0,1] neg_hi:[0,1]
	ds_load_2addr_b64 v[140:143], v135 offset0:18 offset1:19
	s_wait_dscnt 0x0
	v_pk_mul_f32 v[132:133], v[140:141], v[130:131] op_sel:[0,1]
	s_delay_alu instid0(VALU_DEP_1) | instskip(SKIP_2) | instid1(VALU_DEP_2)
	v_pk_fma_f32 v[144:145], v[140:141], v[128:129], v[132:133] op_sel:[0,0,1] op_sel_hi:[1,1,0] neg_lo:[0,0,1] neg_hi:[0,0,1]
	v_pk_fma_f32 v[132:133], v[140:141], v[128:129], v[132:133] op_sel:[0,0,1] op_sel_hi:[1,0,0]
	v_dual_mul_f32 v140, v143, v131 :: v_dual_mov_b32 v132, v143
	v_dual_mov_b32 v145, v133 :: v_dual_mov_b32 v133, v142
	s_delay_alu instid0(VALU_DEP_2) | instskip(SKIP_1) | instid1(VALU_DEP_3)
	v_pk_fma_f32 v[140:141], v[142:143], v[112:113], v[140:141] op_sel_hi:[1,1,0] neg_lo:[0,0,1] neg_hi:[0,0,1]
	v_mul_f32_e32 v142, v143, v128
	v_pk_add_f32 v[90:91], v[90:91], v[144:145] neg_lo:[0,1] neg_hi:[0,1]
	s_delay_alu instid0(VALU_DEP_2) | instskip(NEXT) | instid1(VALU_DEP_1)
	v_pk_fma_f32 v[132:133], v[132:133], v[112:113], v[142:143] op_sel_hi:[1,1,0]
	v_mov_b32_e32 v141, v133
	s_delay_alu instid0(VALU_DEP_1) | instskip(SKIP_3) | instid1(VALU_DEP_1)
	v_pk_add_f32 v[86:87], v[86:87], v[140:141] neg_lo:[0,1] neg_hi:[0,1]
	ds_load_2addr_b64 v[140:143], v135 offset0:20 offset1:21
	s_wait_dscnt 0x0
	v_pk_mul_f32 v[132:133], v[140:141], v[130:131] op_sel:[0,1]
	v_pk_fma_f32 v[144:145], v[140:141], v[128:129], v[132:133] op_sel:[0,0,1] op_sel_hi:[1,1,0] neg_lo:[0,0,1] neg_hi:[0,0,1]
	v_pk_fma_f32 v[132:133], v[140:141], v[128:129], v[132:133] op_sel:[0,0,1] op_sel_hi:[1,0,0]
	s_delay_alu instid0(VALU_DEP_1) | instskip(SKIP_1) | instid1(VALU_DEP_1)
	v_mov_b32_e32 v145, v133
	v_pk_mul_f32 v[132:133], v[142:143], v[130:131] op_sel:[0,1]
	v_pk_fma_f32 v[140:141], v[142:143], v[128:129], v[132:133] op_sel:[0,0,1] op_sel_hi:[1,1,0] neg_lo:[0,0,1] neg_hi:[0,0,1]
	v_pk_fma_f32 v[132:133], v[142:143], v[128:129], v[132:133] op_sel:[0,0,1] op_sel_hi:[1,0,0]
	s_delay_alu instid0(VALU_DEP_1) | instskip(SKIP_1) | instid1(VALU_DEP_2)
	v_mov_b32_e32 v141, v133
	v_pk_add_f32 v[84:85], v[84:85], v[144:145] neg_lo:[0,1] neg_hi:[0,1]
	v_pk_add_f32 v[80:81], v[80:81], v[140:141] neg_lo:[0,1] neg_hi:[0,1]
	ds_load_2addr_b64 v[140:143], v135 offset0:22 offset1:23
	s_wait_dscnt 0x0
	v_pk_mul_f32 v[132:133], v[140:141], v[130:131] op_sel:[0,1]
	s_delay_alu instid0(VALU_DEP_1) | instskip(SKIP_1) | instid1(VALU_DEP_1)
	v_pk_fma_f32 v[144:145], v[140:141], v[128:129], v[132:133] op_sel:[0,0,1] op_sel_hi:[1,1,0] neg_lo:[0,0,1] neg_hi:[0,0,1]
	v_pk_fma_f32 v[132:133], v[140:141], v[128:129], v[132:133] op_sel:[0,0,1] op_sel_hi:[1,0,0]
	v_mov_b32_e32 v145, v133
	v_pk_mul_f32 v[132:133], v[142:143], v[130:131] op_sel:[0,1]
	s_delay_alu instid0(VALU_DEP_1) | instskip(SKIP_1) | instid1(VALU_DEP_1)
	v_pk_fma_f32 v[140:141], v[142:143], v[128:129], v[132:133] op_sel:[0,0,1] op_sel_hi:[1,1,0] neg_lo:[0,0,1] neg_hi:[0,0,1]
	v_pk_fma_f32 v[132:133], v[142:143], v[128:129], v[132:133] op_sel:[0,0,1] op_sel_hi:[1,0,0]
	v_mov_b32_e32 v141, v133
	v_pk_add_f32 v[82:83], v[82:83], v[144:145] neg_lo:[0,1] neg_hi:[0,1]
	s_delay_alu instid0(VALU_DEP_2) | instskip(SKIP_3) | instid1(VALU_DEP_1)
	v_pk_add_f32 v[78:79], v[78:79], v[140:141] neg_lo:[0,1] neg_hi:[0,1]
	ds_load_2addr_b64 v[140:143], v135 offset0:24 offset1:25
	s_wait_dscnt 0x0
	v_dual_mul_f32 v132, v141, v131 :: v_dual_mul_f32 v144, v141, v128
	v_pk_fma_f32 v[132:133], v[140:141], v[112:113], v[132:133] op_sel_hi:[1,1,0] neg_lo:[0,0,1] neg_hi:[0,0,1]
	s_delay_alu instid0(VALU_DEP_2) | instskip(NEXT) | instid1(VALU_DEP_1)
	v_pk_fma_f32 v[140:141], v[140:141], v[112:113], v[144:145] op_sel:[1,0,0] op_sel_hi:[0,1,0]
	v_mov_b32_e32 v133, v141
	s_delay_alu instid0(VALU_DEP_1) | instskip(SKIP_1) | instid1(VALU_DEP_1)
	v_pk_add_f32 v[76:77], v[76:77], v[132:133] neg_lo:[0,1] neg_hi:[0,1]
	v_pk_mul_f32 v[132:133], v[142:143], v[130:131] op_sel:[0,1]
	v_pk_fma_f32 v[140:141], v[142:143], v[128:129], v[132:133] op_sel:[0,0,1] op_sel_hi:[1,1,0] neg_lo:[0,0,1] neg_hi:[0,0,1]
	v_pk_fma_f32 v[132:133], v[142:143], v[128:129], v[132:133] op_sel:[0,0,1] op_sel_hi:[1,0,0]
	s_delay_alu instid0(VALU_DEP_1) | instskip(NEXT) | instid1(VALU_DEP_1)
	v_mov_b32_e32 v141, v133
	v_pk_add_f32 v[72:73], v[72:73], v[140:141] neg_lo:[0,1] neg_hi:[0,1]
	ds_load_2addr_b64 v[140:143], v135 offset0:26 offset1:27
	s_wait_dscnt 0x0
	v_pk_mul_f32 v[132:133], v[140:141], v[130:131] op_sel:[0,1]
	s_delay_alu instid0(VALU_DEP_1) | instskip(SKIP_1) | instid1(VALU_DEP_1)
	v_pk_fma_f32 v[144:145], v[140:141], v[128:129], v[132:133] op_sel:[0,0,1] op_sel_hi:[1,1,0] neg_lo:[0,0,1] neg_hi:[0,0,1]
	v_pk_fma_f32 v[132:133], v[140:141], v[128:129], v[132:133] op_sel:[0,0,1] op_sel_hi:[1,0,0]
	v_mov_b32_e32 v145, v133
	v_pk_mul_f32 v[132:133], v[142:143], v[130:131] op_sel:[0,1]
	s_delay_alu instid0(VALU_DEP_2) | instskip(NEXT) | instid1(VALU_DEP_2)
	v_pk_add_f32 v[74:75], v[74:75], v[144:145] neg_lo:[0,1] neg_hi:[0,1]
	v_pk_fma_f32 v[140:141], v[142:143], v[128:129], v[132:133] op_sel:[0,0,1] op_sel_hi:[1,1,0] neg_lo:[0,0,1] neg_hi:[0,0,1]
	v_pk_fma_f32 v[132:133], v[142:143], v[128:129], v[132:133] op_sel:[0,0,1] op_sel_hi:[1,0,0]
	s_delay_alu instid0(VALU_DEP_1) | instskip(NEXT) | instid1(VALU_DEP_1)
	v_mov_b32_e32 v141, v133
	v_pk_add_f32 v[70:71], v[70:71], v[140:141] neg_lo:[0,1] neg_hi:[0,1]
	ds_load_2addr_b64 v[140:143], v135 offset0:28 offset1:29
	s_wait_dscnt 0x0
	v_pk_mul_f32 v[132:133], v[140:141], v[130:131] op_sel:[0,1]
	s_delay_alu instid0(VALU_DEP_1) | instskip(SKIP_2) | instid1(VALU_DEP_2)
	v_pk_fma_f32 v[144:145], v[140:141], v[128:129], v[132:133] op_sel:[0,0,1] op_sel_hi:[1,1,0] neg_lo:[0,0,1] neg_hi:[0,0,1]
	v_pk_fma_f32 v[132:133], v[140:141], v[128:129], v[132:133] op_sel:[0,0,1] op_sel_hi:[1,0,0]
	v_dual_mul_f32 v140, v143, v131 :: v_dual_mov_b32 v132, v143
	v_dual_mov_b32 v145, v133 :: v_dual_mov_b32 v133, v142
	s_delay_alu instid0(VALU_DEP_2) | instskip(SKIP_1) | instid1(VALU_DEP_3)
	v_pk_fma_f32 v[140:141], v[142:143], v[112:113], v[140:141] op_sel_hi:[1,1,0] neg_lo:[0,0,1] neg_hi:[0,0,1]
	v_mul_f32_e32 v142, v143, v128
	v_pk_add_f32 v[68:69], v[68:69], v[144:145] neg_lo:[0,1] neg_hi:[0,1]
	s_delay_alu instid0(VALU_DEP_2) | instskip(NEXT) | instid1(VALU_DEP_1)
	v_pk_fma_f32 v[132:133], v[132:133], v[112:113], v[142:143] op_sel_hi:[1,1,0]
	v_mov_b32_e32 v141, v133
	s_delay_alu instid0(VALU_DEP_1) | instskip(SKIP_3) | instid1(VALU_DEP_1)
	v_pk_add_f32 v[64:65], v[64:65], v[140:141] neg_lo:[0,1] neg_hi:[0,1]
	ds_load_2addr_b64 v[140:143], v135 offset0:30 offset1:31
	s_wait_dscnt 0x0
	v_pk_mul_f32 v[132:133], v[140:141], v[130:131] op_sel:[0,1]
	v_pk_fma_f32 v[144:145], v[140:141], v[128:129], v[132:133] op_sel:[0,0,1] op_sel_hi:[1,1,0] neg_lo:[0,0,1] neg_hi:[0,0,1]
	v_pk_fma_f32 v[132:133], v[140:141], v[128:129], v[132:133] op_sel:[0,0,1] op_sel_hi:[1,0,0]
	s_delay_alu instid0(VALU_DEP_1) | instskip(SKIP_1) | instid1(VALU_DEP_1)
	v_mov_b32_e32 v145, v133
	v_pk_mul_f32 v[132:133], v[142:143], v[130:131] op_sel:[0,1]
	v_pk_fma_f32 v[140:141], v[142:143], v[128:129], v[132:133] op_sel:[0,0,1] op_sel_hi:[1,1,0] neg_lo:[0,0,1] neg_hi:[0,0,1]
	v_pk_fma_f32 v[132:133], v[142:143], v[128:129], v[132:133] op_sel:[0,0,1] op_sel_hi:[1,0,0]
	s_delay_alu instid0(VALU_DEP_1) | instskip(SKIP_1) | instid1(VALU_DEP_2)
	v_mov_b32_e32 v141, v133
	v_pk_add_f32 v[66:67], v[66:67], v[144:145] neg_lo:[0,1] neg_hi:[0,1]
	v_pk_add_f32 v[62:63], v[62:63], v[140:141] neg_lo:[0,1] neg_hi:[0,1]
	ds_load_2addr_b64 v[140:143], v135 offset0:32 offset1:33
	s_wait_dscnt 0x0
	v_pk_mul_f32 v[132:133], v[140:141], v[130:131] op_sel:[0,1]
	s_delay_alu instid0(VALU_DEP_1) | instskip(SKIP_1) | instid1(VALU_DEP_1)
	v_pk_fma_f32 v[144:145], v[140:141], v[128:129], v[132:133] op_sel:[0,0,1] op_sel_hi:[1,1,0] neg_lo:[0,0,1] neg_hi:[0,0,1]
	v_pk_fma_f32 v[132:133], v[140:141], v[128:129], v[132:133] op_sel:[0,0,1] op_sel_hi:[1,0,0]
	v_mov_b32_e32 v145, v133
	v_pk_mul_f32 v[132:133], v[142:143], v[130:131] op_sel:[0,1]
	s_delay_alu instid0(VALU_DEP_1) | instskip(SKIP_1) | instid1(VALU_DEP_1)
	v_pk_fma_f32 v[140:141], v[142:143], v[128:129], v[132:133] op_sel:[0,0,1] op_sel_hi:[1,1,0] neg_lo:[0,0,1] neg_hi:[0,0,1]
	v_pk_fma_f32 v[132:133], v[142:143], v[128:129], v[132:133] op_sel:[0,0,1] op_sel_hi:[1,0,0]
	v_mov_b32_e32 v141, v133
	v_pk_add_f32 v[60:61], v[60:61], v[144:145] neg_lo:[0,1] neg_hi:[0,1]
	s_delay_alu instid0(VALU_DEP_2) | instskip(SKIP_3) | instid1(VALU_DEP_1)
	v_pk_add_f32 v[56:57], v[56:57], v[140:141] neg_lo:[0,1] neg_hi:[0,1]
	ds_load_2addr_b64 v[140:143], v135 offset0:34 offset1:35
	s_wait_dscnt 0x0
	v_dual_mul_f32 v132, v141, v131 :: v_dual_mul_f32 v144, v141, v128
	v_pk_fma_f32 v[132:133], v[140:141], v[112:113], v[132:133] op_sel_hi:[1,1,0] neg_lo:[0,0,1] neg_hi:[0,0,1]
	s_delay_alu instid0(VALU_DEP_2) | instskip(NEXT) | instid1(VALU_DEP_1)
	v_pk_fma_f32 v[140:141], v[140:141], v[112:113], v[144:145] op_sel:[1,0,0] op_sel_hi:[0,1,0]
	v_mov_b32_e32 v133, v141
	s_delay_alu instid0(VALU_DEP_1) | instskip(SKIP_1) | instid1(VALU_DEP_1)
	v_pk_add_f32 v[58:59], v[58:59], v[132:133] neg_lo:[0,1] neg_hi:[0,1]
	v_pk_mul_f32 v[132:133], v[142:143], v[130:131] op_sel:[0,1]
	v_pk_fma_f32 v[140:141], v[142:143], v[128:129], v[132:133] op_sel:[0,0,1] op_sel_hi:[1,1,0] neg_lo:[0,0,1] neg_hi:[0,0,1]
	v_pk_fma_f32 v[132:133], v[142:143], v[128:129], v[132:133] op_sel:[0,0,1] op_sel_hi:[1,0,0]
	s_delay_alu instid0(VALU_DEP_1) | instskip(NEXT) | instid1(VALU_DEP_1)
	v_mov_b32_e32 v141, v133
	v_pk_add_f32 v[54:55], v[54:55], v[140:141] neg_lo:[0,1] neg_hi:[0,1]
	ds_load_2addr_b64 v[140:143], v135 offset0:36 offset1:37
	s_wait_dscnt 0x0
	v_pk_mul_f32 v[132:133], v[140:141], v[130:131] op_sel:[0,1]
	s_delay_alu instid0(VALU_DEP_1) | instskip(SKIP_1) | instid1(VALU_DEP_1)
	v_pk_fma_f32 v[144:145], v[140:141], v[128:129], v[132:133] op_sel:[0,0,1] op_sel_hi:[1,1,0] neg_lo:[0,0,1] neg_hi:[0,0,1]
	v_pk_fma_f32 v[132:133], v[140:141], v[128:129], v[132:133] op_sel:[0,0,1] op_sel_hi:[1,0,0]
	v_mov_b32_e32 v145, v133
	v_pk_mul_f32 v[132:133], v[142:143], v[130:131] op_sel:[0,1]
	s_delay_alu instid0(VALU_DEP_2) | instskip(NEXT) | instid1(VALU_DEP_2)
	v_pk_add_f32 v[52:53], v[52:53], v[144:145] neg_lo:[0,1] neg_hi:[0,1]
	v_pk_fma_f32 v[140:141], v[142:143], v[128:129], v[132:133] op_sel:[0,0,1] op_sel_hi:[1,1,0] neg_lo:[0,0,1] neg_hi:[0,0,1]
	v_pk_fma_f32 v[132:133], v[142:143], v[128:129], v[132:133] op_sel:[0,0,1] op_sel_hi:[1,0,0]
	s_delay_alu instid0(VALU_DEP_1) | instskip(NEXT) | instid1(VALU_DEP_1)
	v_mov_b32_e32 v141, v133
	v_pk_add_f32 v[48:49], v[48:49], v[140:141] neg_lo:[0,1] neg_hi:[0,1]
	ds_load_2addr_b64 v[140:143], v135 offset0:38 offset1:39
	s_wait_dscnt 0x0
	v_pk_mul_f32 v[132:133], v[140:141], v[130:131] op_sel:[0,1]
	s_delay_alu instid0(VALU_DEP_1) | instskip(SKIP_2) | instid1(VALU_DEP_2)
	v_pk_fma_f32 v[144:145], v[140:141], v[128:129], v[132:133] op_sel:[0,0,1] op_sel_hi:[1,1,0] neg_lo:[0,0,1] neg_hi:[0,0,1]
	v_pk_fma_f32 v[132:133], v[140:141], v[128:129], v[132:133] op_sel:[0,0,1] op_sel_hi:[1,0,0]
	v_dual_mul_f32 v140, v143, v131 :: v_dual_mov_b32 v132, v143
	v_dual_mov_b32 v145, v133 :: v_dual_mov_b32 v133, v142
	s_delay_alu instid0(VALU_DEP_2) | instskip(SKIP_1) | instid1(VALU_DEP_3)
	v_pk_fma_f32 v[140:141], v[142:143], v[112:113], v[140:141] op_sel_hi:[1,1,0] neg_lo:[0,0,1] neg_hi:[0,0,1]
	v_mul_f32_e32 v142, v143, v128
	v_pk_add_f32 v[50:51], v[50:51], v[144:145] neg_lo:[0,1] neg_hi:[0,1]
	s_delay_alu instid0(VALU_DEP_2) | instskip(NEXT) | instid1(VALU_DEP_1)
	v_pk_fma_f32 v[132:133], v[132:133], v[112:113], v[142:143] op_sel_hi:[1,1,0]
	v_mov_b32_e32 v141, v133
	s_delay_alu instid0(VALU_DEP_1) | instskip(SKIP_3) | instid1(VALU_DEP_1)
	v_pk_add_f32 v[46:47], v[46:47], v[140:141] neg_lo:[0,1] neg_hi:[0,1]
	ds_load_2addr_b64 v[140:143], v135 offset0:40 offset1:41
	s_wait_dscnt 0x0
	v_pk_mul_f32 v[132:133], v[140:141], v[130:131] op_sel:[0,1]
	v_pk_fma_f32 v[144:145], v[140:141], v[128:129], v[132:133] op_sel:[0,0,1] op_sel_hi:[1,1,0] neg_lo:[0,0,1] neg_hi:[0,0,1]
	v_pk_fma_f32 v[132:133], v[140:141], v[128:129], v[132:133] op_sel:[0,0,1] op_sel_hi:[1,0,0]
	s_delay_alu instid0(VALU_DEP_1) | instskip(SKIP_1) | instid1(VALU_DEP_1)
	v_mov_b32_e32 v145, v133
	v_pk_mul_f32 v[132:133], v[142:143], v[130:131] op_sel:[0,1]
	v_pk_fma_f32 v[140:141], v[142:143], v[128:129], v[132:133] op_sel:[0,0,1] op_sel_hi:[1,1,0] neg_lo:[0,0,1] neg_hi:[0,0,1]
	v_pk_fma_f32 v[132:133], v[142:143], v[128:129], v[132:133] op_sel:[0,0,1] op_sel_hi:[1,0,0]
	s_delay_alu instid0(VALU_DEP_1) | instskip(SKIP_1) | instid1(VALU_DEP_2)
	v_mov_b32_e32 v141, v133
	v_pk_add_f32 v[42:43], v[42:43], v[144:145] neg_lo:[0,1] neg_hi:[0,1]
	v_pk_add_f32 v[38:39], v[38:39], v[140:141] neg_lo:[0,1] neg_hi:[0,1]
	ds_load_2addr_b64 v[140:143], v135 offset0:42 offset1:43
	s_wait_dscnt 0x0
	v_pk_mul_f32 v[132:133], v[140:141], v[130:131] op_sel:[0,1]
	s_delay_alu instid0(VALU_DEP_1) | instskip(SKIP_1) | instid1(VALU_DEP_1)
	v_pk_fma_f32 v[144:145], v[140:141], v[128:129], v[132:133] op_sel:[0,0,1] op_sel_hi:[1,1,0] neg_lo:[0,0,1] neg_hi:[0,0,1]
	v_pk_fma_f32 v[132:133], v[140:141], v[128:129], v[132:133] op_sel:[0,0,1] op_sel_hi:[1,0,0]
	v_mov_b32_e32 v145, v133
	v_pk_mul_f32 v[132:133], v[142:143], v[130:131] op_sel:[0,1]
	s_delay_alu instid0(VALU_DEP_1) | instskip(SKIP_1) | instid1(VALU_DEP_1)
	v_pk_fma_f32 v[140:141], v[142:143], v[128:129], v[132:133] op_sel:[0,0,1] op_sel_hi:[1,1,0] neg_lo:[0,0,1] neg_hi:[0,0,1]
	v_pk_fma_f32 v[132:133], v[142:143], v[128:129], v[132:133] op_sel:[0,0,1] op_sel_hi:[1,0,0]
	v_mov_b32_e32 v141, v133
	v_pk_add_f32 v[40:41], v[40:41], v[144:145] neg_lo:[0,1] neg_hi:[0,1]
	s_delay_alu instid0(VALU_DEP_2) | instskip(SKIP_3) | instid1(VALU_DEP_1)
	v_pk_add_f32 v[36:37], v[36:37], v[140:141] neg_lo:[0,1] neg_hi:[0,1]
	ds_load_2addr_b64 v[140:143], v135 offset0:44 offset1:45
	s_wait_dscnt 0x0
	v_dual_mul_f32 v132, v141, v131 :: v_dual_mul_f32 v144, v141, v128
	v_pk_fma_f32 v[132:133], v[140:141], v[112:113], v[132:133] op_sel_hi:[1,1,0] neg_lo:[0,0,1] neg_hi:[0,0,1]
	s_delay_alu instid0(VALU_DEP_2) | instskip(NEXT) | instid1(VALU_DEP_1)
	v_pk_fma_f32 v[140:141], v[140:141], v[112:113], v[144:145] op_sel:[1,0,0] op_sel_hi:[0,1,0]
	v_mov_b32_e32 v133, v141
	s_delay_alu instid0(VALU_DEP_1) | instskip(SKIP_1) | instid1(VALU_DEP_1)
	v_pk_add_f32 v[34:35], v[34:35], v[132:133] neg_lo:[0,1] neg_hi:[0,1]
	v_pk_mul_f32 v[132:133], v[142:143], v[130:131] op_sel:[0,1]
	v_pk_fma_f32 v[140:141], v[142:143], v[128:129], v[132:133] op_sel:[0,0,1] op_sel_hi:[1,1,0] neg_lo:[0,0,1] neg_hi:[0,0,1]
	v_pk_fma_f32 v[132:133], v[142:143], v[128:129], v[132:133] op_sel:[0,0,1] op_sel_hi:[1,0,0]
	s_delay_alu instid0(VALU_DEP_1) | instskip(NEXT) | instid1(VALU_DEP_1)
	v_mov_b32_e32 v141, v133
	v_pk_add_f32 v[30:31], v[30:31], v[140:141] neg_lo:[0,1] neg_hi:[0,1]
	ds_load_2addr_b64 v[140:143], v135 offset0:46 offset1:47
	s_wait_dscnt 0x0
	v_pk_mul_f32 v[132:133], v[140:141], v[130:131] op_sel:[0,1]
	s_delay_alu instid0(VALU_DEP_1) | instskip(SKIP_1) | instid1(VALU_DEP_1)
	v_pk_fma_f32 v[144:145], v[140:141], v[128:129], v[132:133] op_sel:[0,0,1] op_sel_hi:[1,1,0] neg_lo:[0,0,1] neg_hi:[0,0,1]
	v_pk_fma_f32 v[132:133], v[140:141], v[128:129], v[132:133] op_sel:[0,0,1] op_sel_hi:[1,0,0]
	v_mov_b32_e32 v145, v133
	v_pk_mul_f32 v[132:133], v[142:143], v[130:131] op_sel:[0,1]
	s_delay_alu instid0(VALU_DEP_2) | instskip(NEXT) | instid1(VALU_DEP_2)
	v_pk_add_f32 v[32:33], v[32:33], v[144:145] neg_lo:[0,1] neg_hi:[0,1]
	v_pk_fma_f32 v[140:141], v[142:143], v[128:129], v[132:133] op_sel:[0,0,1] op_sel_hi:[1,1,0] neg_lo:[0,0,1] neg_hi:[0,0,1]
	v_pk_fma_f32 v[132:133], v[142:143], v[128:129], v[132:133] op_sel:[0,0,1] op_sel_hi:[1,0,0]
	s_delay_alu instid0(VALU_DEP_1) | instskip(NEXT) | instid1(VALU_DEP_1)
	v_mov_b32_e32 v141, v133
	v_pk_add_f32 v[28:29], v[28:29], v[140:141] neg_lo:[0,1] neg_hi:[0,1]
	ds_load_2addr_b64 v[140:143], v135 offset0:48 offset1:49
	s_wait_dscnt 0x0
	v_pk_mul_f32 v[132:133], v[140:141], v[130:131] op_sel:[0,1]
	s_delay_alu instid0(VALU_DEP_1) | instskip(SKIP_2) | instid1(VALU_DEP_2)
	v_pk_fma_f32 v[144:145], v[140:141], v[128:129], v[132:133] op_sel:[0,0,1] op_sel_hi:[1,1,0] neg_lo:[0,0,1] neg_hi:[0,0,1]
	v_pk_fma_f32 v[132:133], v[140:141], v[128:129], v[132:133] op_sel:[0,0,1] op_sel_hi:[1,0,0]
	v_dual_mul_f32 v140, v143, v131 :: v_dual_mov_b32 v132, v143
	v_dual_mov_b32 v145, v133 :: v_dual_mov_b32 v133, v142
	s_delay_alu instid0(VALU_DEP_2) | instskip(SKIP_1) | instid1(VALU_DEP_3)
	v_pk_fma_f32 v[140:141], v[142:143], v[112:113], v[140:141] op_sel_hi:[1,1,0] neg_lo:[0,0,1] neg_hi:[0,0,1]
	v_mul_f32_e32 v142, v143, v128
	v_pk_add_f32 v[26:27], v[26:27], v[144:145] neg_lo:[0,1] neg_hi:[0,1]
	s_delay_alu instid0(VALU_DEP_2) | instskip(NEXT) | instid1(VALU_DEP_1)
	v_pk_fma_f32 v[132:133], v[132:133], v[112:113], v[142:143] op_sel_hi:[1,1,0]
	v_mov_b32_e32 v141, v133
	s_delay_alu instid0(VALU_DEP_1) | instskip(SKIP_3) | instid1(VALU_DEP_1)
	v_pk_add_f32 v[22:23], v[22:23], v[140:141] neg_lo:[0,1] neg_hi:[0,1]
	ds_load_2addr_b64 v[140:143], v135 offset0:50 offset1:51
	s_wait_dscnt 0x0
	v_pk_mul_f32 v[132:133], v[140:141], v[130:131] op_sel:[0,1]
	v_pk_fma_f32 v[144:145], v[140:141], v[128:129], v[132:133] op_sel:[0,0,1] op_sel_hi:[1,1,0] neg_lo:[0,0,1] neg_hi:[0,0,1]
	v_pk_fma_f32 v[132:133], v[140:141], v[128:129], v[132:133] op_sel:[0,0,1] op_sel_hi:[1,0,0]
	s_delay_alu instid0(VALU_DEP_1) | instskip(SKIP_1) | instid1(VALU_DEP_1)
	v_mov_b32_e32 v145, v133
	v_pk_mul_f32 v[132:133], v[142:143], v[130:131] op_sel:[0,1]
	v_pk_fma_f32 v[140:141], v[142:143], v[128:129], v[132:133] op_sel:[0,0,1] op_sel_hi:[1,1,0] neg_lo:[0,0,1] neg_hi:[0,0,1]
	v_pk_fma_f32 v[132:133], v[142:143], v[128:129], v[132:133] op_sel:[0,0,1] op_sel_hi:[1,0,0]
	s_delay_alu instid0(VALU_DEP_1) | instskip(SKIP_1) | instid1(VALU_DEP_2)
	v_mov_b32_e32 v141, v133
	v_pk_add_f32 v[24:25], v[24:25], v[144:145] neg_lo:[0,1] neg_hi:[0,1]
	v_pk_add_f32 v[44:45], v[44:45], v[140:141] neg_lo:[0,1] neg_hi:[0,1]
	ds_load_2addr_b64 v[140:143], v135 offset0:52 offset1:53
	s_wait_dscnt 0x0
	v_pk_mul_f32 v[132:133], v[140:141], v[130:131] op_sel:[0,1]
	s_delay_alu instid0(VALU_DEP_1) | instskip(SKIP_1) | instid1(VALU_DEP_1)
	v_pk_fma_f32 v[144:145], v[140:141], v[128:129], v[132:133] op_sel:[0,0,1] op_sel_hi:[1,1,0] neg_lo:[0,0,1] neg_hi:[0,0,1]
	v_pk_fma_f32 v[132:133], v[140:141], v[128:129], v[132:133] op_sel:[0,0,1] op_sel_hi:[1,0,0]
	v_mov_b32_e32 v145, v133
	v_pk_mul_f32 v[132:133], v[142:143], v[130:131] op_sel:[0,1]
	s_delay_alu instid0(VALU_DEP_1) | instskip(SKIP_1) | instid1(VALU_DEP_1)
	v_pk_fma_f32 v[140:141], v[142:143], v[128:129], v[132:133] op_sel:[0,0,1] op_sel_hi:[1,1,0] neg_lo:[0,0,1] neg_hi:[0,0,1]
	v_pk_fma_f32 v[132:133], v[142:143], v[128:129], v[132:133] op_sel:[0,0,1] op_sel_hi:[1,0,0]
	v_mov_b32_e32 v141, v133
	v_pk_add_f32 v[16:17], v[16:17], v[144:145] neg_lo:[0,1] neg_hi:[0,1]
	s_delay_alu instid0(VALU_DEP_2) | instskip(SKIP_3) | instid1(VALU_DEP_1)
	v_pk_add_f32 v[12:13], v[12:13], v[140:141] neg_lo:[0,1] neg_hi:[0,1]
	ds_load_2addr_b64 v[140:143], v135 offset0:54 offset1:55
	s_wait_dscnt 0x0
	v_dual_mul_f32 v132, v141, v131 :: v_dual_mul_f32 v144, v141, v128
	v_pk_fma_f32 v[132:133], v[140:141], v[112:113], v[132:133] op_sel_hi:[1,1,0] neg_lo:[0,0,1] neg_hi:[0,0,1]
	s_delay_alu instid0(VALU_DEP_2) | instskip(NEXT) | instid1(VALU_DEP_1)
	v_pk_fma_f32 v[140:141], v[140:141], v[112:113], v[144:145] op_sel:[1,0,0] op_sel_hi:[0,1,0]
	v_mov_b32_e32 v133, v141
	s_delay_alu instid0(VALU_DEP_1) | instskip(SKIP_1) | instid1(VALU_DEP_1)
	v_pk_add_f32 v[14:15], v[14:15], v[132:133] neg_lo:[0,1] neg_hi:[0,1]
	v_pk_mul_f32 v[132:133], v[142:143], v[130:131] op_sel:[0,1]
	v_pk_fma_f32 v[140:141], v[142:143], v[128:129], v[132:133] op_sel:[0,0,1] op_sel_hi:[1,1,0] neg_lo:[0,0,1] neg_hi:[0,0,1]
	v_pk_fma_f32 v[132:133], v[142:143], v[128:129], v[132:133] op_sel:[0,0,1] op_sel_hi:[1,0,0]
	s_delay_alu instid0(VALU_DEP_1) | instskip(NEXT) | instid1(VALU_DEP_1)
	v_mov_b32_e32 v141, v133
	v_pk_add_f32 v[10:11], v[10:11], v[140:141] neg_lo:[0,1] neg_hi:[0,1]
	ds_load_2addr_b64 v[140:143], v135 offset0:56 offset1:57
	s_wait_dscnt 0x0
	v_pk_mul_f32 v[132:133], v[140:141], v[130:131] op_sel:[0,1]
	s_delay_alu instid0(VALU_DEP_1) | instskip(SKIP_1) | instid1(VALU_DEP_1)
	v_pk_fma_f32 v[144:145], v[140:141], v[128:129], v[132:133] op_sel:[0,0,1] op_sel_hi:[1,1,0] neg_lo:[0,0,1] neg_hi:[0,0,1]
	v_pk_fma_f32 v[132:133], v[140:141], v[128:129], v[132:133] op_sel:[0,0,1] op_sel_hi:[1,0,0]
	v_mov_b32_e32 v145, v133
	v_pk_mul_f32 v[132:133], v[142:143], v[130:131] op_sel:[0,1]
	s_delay_alu instid0(VALU_DEP_2) | instskip(NEXT) | instid1(VALU_DEP_2)
	v_pk_add_f32 v[6:7], v[6:7], v[144:145] neg_lo:[0,1] neg_hi:[0,1]
	v_pk_fma_f32 v[140:141], v[142:143], v[128:129], v[132:133] op_sel:[0,0,1] op_sel_hi:[1,1,0] neg_lo:[0,0,1] neg_hi:[0,0,1]
	v_pk_fma_f32 v[132:133], v[142:143], v[128:129], v[132:133] op_sel:[0,0,1] op_sel_hi:[1,0,0]
	s_delay_alu instid0(VALU_DEP_1) | instskip(NEXT) | instid1(VALU_DEP_1)
	v_mov_b32_e32 v141, v133
	v_pk_add_f32 v[20:21], v[20:21], v[140:141] neg_lo:[0,1] neg_hi:[0,1]
	ds_load_2addr_b64 v[140:143], v135 offset0:58 offset1:59
	s_wait_dscnt 0x0
	v_pk_mul_f32 v[132:133], v[140:141], v[130:131] op_sel:[0,1]
	s_delay_alu instid0(VALU_DEP_1) | instskip(SKIP_2) | instid1(VALU_DEP_2)
	v_pk_fma_f32 v[144:145], v[140:141], v[128:129], v[132:133] op_sel:[0,0,1] op_sel_hi:[1,1,0] neg_lo:[0,0,1] neg_hi:[0,0,1]
	v_pk_fma_f32 v[132:133], v[140:141], v[128:129], v[132:133] op_sel:[0,0,1] op_sel_hi:[1,0,0]
	v_dual_mul_f32 v140, v143, v131 :: v_dual_mov_b32 v132, v143
	v_dual_mov_b32 v145, v133 :: v_dual_mov_b32 v133, v142
	s_delay_alu instid0(VALU_DEP_2) | instskip(SKIP_1) | instid1(VALU_DEP_3)
	v_pk_fma_f32 v[140:141], v[142:143], v[112:113], v[140:141] op_sel_hi:[1,1,0] neg_lo:[0,0,1] neg_hi:[0,0,1]
	v_mul_f32_e32 v142, v143, v128
	v_pk_add_f32 v[18:19], v[18:19], v[144:145] neg_lo:[0,1] neg_hi:[0,1]
	s_delay_alu instid0(VALU_DEP_2) | instskip(NEXT) | instid1(VALU_DEP_1)
	v_pk_fma_f32 v[132:133], v[132:133], v[112:113], v[142:143] op_sel_hi:[1,1,0]
	v_mov_b32_e32 v141, v133
	ds_load_b64 v[132:133], v135 offset:480
	v_pk_add_f32 v[8:9], v[8:9], v[140:141] neg_lo:[0,1] neg_hi:[0,1]
	s_wait_dscnt 0x0
	v_pk_mul_f32 v[130:131], v[132:133], v[130:131] op_sel:[0,1]
	s_delay_alu instid0(VALU_DEP_1) | instskip(SKIP_1) | instid1(VALU_DEP_1)
	v_pk_fma_f32 v[140:141], v[132:133], v[128:129], v[130:131] op_sel:[0,0,1] op_sel_hi:[1,1,0] neg_lo:[0,0,1] neg_hi:[0,0,1]
	v_pk_fma_f32 v[128:129], v[132:133], v[128:129], v[130:131] op_sel:[0,0,1] op_sel_hi:[1,0,0]
	v_mov_b32_e32 v141, v129
	s_delay_alu instid0(VALU_DEP_1)
	v_pk_add_f32 v[126:127], v[126:127], v[140:141] neg_lo:[0,1] neg_hi:[0,1]
.LBB120_125:
	s_or_b32 exec_lo, exec_lo, s0
	v_lshl_add_u32 v128, v138, 3, v135
	s_barrier_signal -1
	s_barrier_wait -1
	ds_store_b64 v128, v[114:115]
	s_wait_dscnt 0x0
	s_barrier_signal -1
	s_barrier_wait -1
	ds_load_b64 v[130:131], v135 offset:48
	v_mov_b32_e32 v128, 6
	s_cmp_lt_i32 s18, 8
	s_cbranch_scc1 .LBB120_128
; %bb.126:
	v_add3_u32 v129, v136, 0, 56
	v_mov_b32_e32 v128, 6
	s_mov_b32 s0, 7
.LBB120_127:                            ; =>This Inner Loop Header: Depth=1
	ds_load_b64 v[132:133], v129
	s_wait_dscnt 0x1
	v_cmp_gt_f32_e32 vcc_lo, 0, v130
	v_cndmask_b32_e64 v140, v130, -v130, vcc_lo
	v_cmp_gt_f32_e32 vcc_lo, 0, v131
	v_cndmask_b32_e64 v142, v131, -v131, vcc_lo
	s_wait_dscnt 0x0
	v_cmp_gt_f32_e32 vcc_lo, 0, v132
	v_cndmask_b32_e64 v141, v132, -v132, vcc_lo
	v_cmp_gt_f32_e32 vcc_lo, 0, v133
	v_cndmask_b32_e64 v143, v133, -v133, vcc_lo
	s_delay_alu instid0(VALU_DEP_1) | instskip(NEXT) | instid1(VALU_DEP_1)
	v_pk_add_f32 v[140:141], v[140:141], v[142:143]
	v_cmp_lt_f32_e32 vcc_lo, v140, v141
	v_dual_cndmask_b32 v130, v130, v132 :: v_dual_add_nc_u32 v129, 8, v129
	v_cndmask_b32_e32 v131, v131, v133, vcc_lo
	v_cndmask_b32_e64 v128, v128, s0, vcc_lo
	s_add_co_i32 s0, s0, 1
	s_delay_alu instid0(SALU_CYCLE_1)
	s_cmp_lg_u32 s18, s0
	s_cbranch_scc1 .LBB120_127
.LBB120_128:
	s_wait_dscnt 0x0
	v_cmp_eq_f32_e32 vcc_lo, 0, v130
	v_cmp_eq_f32_e64 s0, 0, v131
	s_and_b32 s0, vcc_lo, s0
	s_delay_alu instid0(SALU_CYCLE_1) | instskip(NEXT) | instid1(SALU_CYCLE_1)
	s_and_saveexec_b32 s1, s0
	s_xor_b32 s0, exec_lo, s1
; %bb.129:
	v_cmp_ne_u32_e32 vcc_lo, 0, v134
	v_cndmask_b32_e32 v134, 7, v134, vcc_lo
; %bb.130:
	s_and_not1_saveexec_b32 s0, s0
	s_cbranch_execz .LBB120_136
; %bb.131:
	v_cmp_ngt_f32_e64 s1, |v130|, |v131|
	s_and_saveexec_b32 s12, s1
	s_delay_alu instid0(SALU_CYCLE_1)
	s_xor_b32 s1, exec_lo, s12
	s_cbranch_execz .LBB120_133
; %bb.132:
	v_div_scale_f32 v129, null, v131, v131, v130
	v_div_scale_f32 v139, vcc_lo, v130, v131, v130
	s_delay_alu instid0(VALU_DEP_2) | instskip(SKIP_1) | instid1(TRANS32_DEP_1)
	v_rcp_f32_e32 v132, v129
	v_nop
	v_fma_f32 v133, -v129, v132, 1.0
	s_delay_alu instid0(VALU_DEP_1) | instskip(NEXT) | instid1(VALU_DEP_1)
	v_fmac_f32_e32 v132, v133, v132
	v_mul_f32_e32 v133, v139, v132
	s_delay_alu instid0(VALU_DEP_1) | instskip(NEXT) | instid1(VALU_DEP_1)
	v_fma_f32 v140, -v129, v133, v139
	v_fmac_f32_e32 v133, v140, v132
	s_delay_alu instid0(VALU_DEP_1) | instskip(NEXT) | instid1(VALU_DEP_1)
	v_fma_f32 v129, -v129, v133, v139
	v_div_fmas_f32 v129, v129, v132, v133
	s_delay_alu instid0(VALU_DEP_1) | instskip(NEXT) | instid1(VALU_DEP_1)
	v_div_fixup_f32 v129, v129, v131, v130
	v_fmac_f32_e32 v131, v130, v129
	s_delay_alu instid0(VALU_DEP_1) | instskip(SKIP_1) | instid1(VALU_DEP_2)
	v_div_scale_f32 v130, null, v131, v131, 1.0
	v_div_scale_f32 v139, vcc_lo, 1.0, v131, 1.0
	v_rcp_f32_e32 v132, v130
	v_nop
	s_delay_alu instid0(TRANS32_DEP_1) | instskip(NEXT) | instid1(VALU_DEP_1)
	v_fma_f32 v133, -v130, v132, 1.0
	v_fmac_f32_e32 v132, v133, v132
	s_delay_alu instid0(VALU_DEP_1) | instskip(NEXT) | instid1(VALU_DEP_1)
	v_mul_f32_e32 v133, v139, v132
	v_fma_f32 v140, -v130, v133, v139
	s_delay_alu instid0(VALU_DEP_1) | instskip(NEXT) | instid1(VALU_DEP_1)
	v_fmac_f32_e32 v133, v140, v132
	v_fma_f32 v130, -v130, v133, v139
	s_delay_alu instid0(VALU_DEP_1) | instskip(NEXT) | instid1(VALU_DEP_1)
	v_div_fmas_f32 v130, v130, v132, v133
	v_div_fixup_f32 v131, v130, v131, 1.0
	s_delay_alu instid0(VALU_DEP_1)
	v_mul_f32_e32 v130, v129, v131
	v_xor_b32_e32 v131, 0x80000000, v131
.LBB120_133:
	s_and_not1_saveexec_b32 s1, s1
	s_cbranch_execz .LBB120_135
; %bb.134:
	s_delay_alu instid0(VALU_DEP_1) | instskip(SKIP_1) | instid1(VALU_DEP_2)
	v_div_scale_f32 v129, null, v130, v130, v131
	v_div_scale_f32 v139, vcc_lo, v131, v130, v131
	v_rcp_f32_e32 v132, v129
	v_nop
	s_delay_alu instid0(TRANS32_DEP_1) | instskip(NEXT) | instid1(VALU_DEP_1)
	v_fma_f32 v133, -v129, v132, 1.0
	v_fmac_f32_e32 v132, v133, v132
	s_delay_alu instid0(VALU_DEP_1) | instskip(NEXT) | instid1(VALU_DEP_1)
	v_mul_f32_e32 v133, v139, v132
	v_fma_f32 v140, -v129, v133, v139
	s_delay_alu instid0(VALU_DEP_1) | instskip(NEXT) | instid1(VALU_DEP_1)
	v_fmac_f32_e32 v133, v140, v132
	v_fma_f32 v129, -v129, v133, v139
	s_delay_alu instid0(VALU_DEP_1) | instskip(NEXT) | instid1(VALU_DEP_1)
	v_div_fmas_f32 v129, v129, v132, v133
	v_div_fixup_f32 v129, v129, v130, v131
	s_delay_alu instid0(VALU_DEP_1) | instskip(NEXT) | instid1(VALU_DEP_1)
	v_fmac_f32_e32 v130, v131, v129
	v_div_scale_f32 v131, null, v130, v130, 1.0
	s_delay_alu instid0(VALU_DEP_1) | instskip(SKIP_1) | instid1(TRANS32_DEP_1)
	v_rcp_f32_e32 v132, v131
	v_nop
	v_fma_f32 v133, -v131, v132, 1.0
	s_delay_alu instid0(VALU_DEP_1) | instskip(SKIP_1) | instid1(VALU_DEP_1)
	v_fmac_f32_e32 v132, v133, v132
	v_div_scale_f32 v133, vcc_lo, 1.0, v130, 1.0
	v_mul_f32_e32 v139, v133, v132
	s_delay_alu instid0(VALU_DEP_1) | instskip(NEXT) | instid1(VALU_DEP_1)
	v_fma_f32 v140, -v131, v139, v133
	v_fmac_f32_e32 v139, v140, v132
	s_delay_alu instid0(VALU_DEP_1) | instskip(NEXT) | instid1(VALU_DEP_1)
	v_fma_f32 v131, -v131, v139, v133
	v_div_fmas_f32 v131, v131, v132, v139
	s_delay_alu instid0(VALU_DEP_1) | instskip(NEXT) | instid1(VALU_DEP_1)
	v_div_fixup_f32 v130, v131, v130, 1.0
	v_mul_f32_e64 v131, v129, -v130
.LBB120_135:
	s_or_b32 exec_lo, exec_lo, s1
.LBB120_136:
	s_delay_alu instid0(SALU_CYCLE_1) | instskip(NEXT) | instid1(SALU_CYCLE_1)
	s_or_b32 exec_lo, exec_lo, s0
	s_mov_b32 s0, exec_lo
	v_cmpx_ne_u32_e64 v138, v128
	s_xor_b32 s0, exec_lo, s0
	s_cbranch_execz .LBB120_142
; %bb.137:
	s_mov_b32 s1, exec_lo
	v_cmpx_eq_u32_e32 6, v138
	s_cbranch_execz .LBB120_141
; %bb.138:
	v_cmp_ne_u32_e32 vcc_lo, 6, v128
	s_xor_b32 s12, s16, -1
	s_delay_alu instid0(SALU_CYCLE_1) | instskip(NEXT) | instid1(SALU_CYCLE_1)
	s_and_b32 s13, s12, vcc_lo
	s_and_saveexec_b32 s12, s13
	s_cbranch_execz .LBB120_140
; %bb.139:
	v_ashrrev_i32_e32 v129, 31, v128
	s_delay_alu instid0(VALU_DEP_1)
	v_lshl_add_u64 v[132:133], v[128:129], 2, v[4:5]
	s_clause 0x1
	global_load_b32 v129, v[132:133], off
	global_load_b32 v137, v[4:5], off offset:24
	s_wait_loadcnt 0x1
	global_store_b32 v[4:5], v129, off offset:24
	s_wait_loadcnt 0x0
	global_store_b32 v[132:133], v137, off
.LBB120_140:
	s_wait_xcnt 0x0
	s_or_b32 exec_lo, exec_lo, s12
	v_dual_mov_b32 v138, v128 :: v_dual_mov_b32 v137, v128
.LBB120_141:
	s_or_b32 exec_lo, exec_lo, s1
.LBB120_142:
	s_and_not1_saveexec_b32 s0, s0
	s_cbranch_execz .LBB120_144
; %bb.143:
	v_mov_b32_e32 v138, 6
	ds_store_2addr_b64 v135, v[110:111], v[108:109] offset0:7 offset1:8
	ds_store_2addr_b64 v135, v[104:105], v[106:107] offset0:9 offset1:10
	;; [unrolled: 1-line block ×27, first 2 shown]
.LBB120_144:
	s_or_b32 exec_lo, exec_lo, s0
	s_delay_alu instid0(SALU_CYCLE_1)
	s_mov_b32 s0, exec_lo
	s_wait_storecnt_dscnt 0x0
	s_barrier_signal -1
	s_barrier_wait -1
	v_cmpx_lt_i32_e32 6, v138
	s_cbranch_execz .LBB120_146
; %bb.145:
	ds_load_2addr_b64 v[140:143], v135 offset0:7 offset1:8
	v_pk_mul_f32 v[132:133], v[130:131], v[114:115] op_sel:[1,1] op_sel_hi:[0,1]
	s_delay_alu instid0(VALU_DEP_1) | instskip(SKIP_1) | instid1(VALU_DEP_1)
	v_pk_fma_f32 v[128:129], v[130:131], v[114:115], v[132:133] op_sel_hi:[1,0,1] neg_lo:[0,0,1] neg_hi:[0,0,1]
	v_pk_fma_f32 v[130:131], v[130:131], v[114:115], v[132:133] op_sel_hi:[1,0,1]
	v_dual_mov_b32 v114, v128 :: v_dual_mov_b32 v115, v131
	s_wait_dscnt 0x0
	s_delay_alu instid0(VALU_DEP_2) | instskip(NEXT) | instid1(VALU_DEP_1)
	v_pk_mul_f32 v[132:133], v[140:141], v[130:131] op_sel:[0,1]
	v_pk_fma_f32 v[144:145], v[140:141], v[128:129], v[132:133] op_sel:[0,0,1] op_sel_hi:[1,1,0] neg_lo:[0,0,1] neg_hi:[0,0,1]
	v_pk_fma_f32 v[132:133], v[140:141], v[128:129], v[132:133] op_sel:[0,0,1] op_sel_hi:[1,0,0]
	s_delay_alu instid0(VALU_DEP_1) | instskip(SKIP_1) | instid1(VALU_DEP_1)
	v_mov_b32_e32 v145, v133
	v_pk_mul_f32 v[132:133], v[142:143], v[130:131] op_sel:[0,1]
	v_pk_fma_f32 v[140:141], v[142:143], v[128:129], v[132:133] op_sel:[0,0,1] op_sel_hi:[1,1,0] neg_lo:[0,0,1] neg_hi:[0,0,1]
	v_pk_fma_f32 v[132:133], v[142:143], v[128:129], v[132:133] op_sel:[0,0,1] op_sel_hi:[1,0,0]
	s_delay_alu instid0(VALU_DEP_1) | instskip(SKIP_1) | instid1(VALU_DEP_2)
	v_mov_b32_e32 v141, v133
	v_pk_add_f32 v[110:111], v[110:111], v[144:145] neg_lo:[0,1] neg_hi:[0,1]
	v_pk_add_f32 v[108:109], v[108:109], v[140:141] neg_lo:[0,1] neg_hi:[0,1]
	ds_load_2addr_b64 v[140:143], v135 offset0:9 offset1:10
	s_wait_dscnt 0x0
	v_pk_mul_f32 v[132:133], v[140:141], v[130:131] op_sel:[0,1]
	s_delay_alu instid0(VALU_DEP_1) | instskip(SKIP_2) | instid1(VALU_DEP_2)
	v_pk_fma_f32 v[144:145], v[140:141], v[128:129], v[132:133] op_sel:[0,0,1] op_sel_hi:[1,1,0] neg_lo:[0,0,1] neg_hi:[0,0,1]
	v_pk_fma_f32 v[132:133], v[140:141], v[128:129], v[132:133] op_sel:[0,0,1] op_sel_hi:[1,0,0]
	v_dual_mul_f32 v140, v143, v131 :: v_dual_mov_b32 v132, v143
	v_dual_mov_b32 v145, v133 :: v_dual_mov_b32 v133, v142
	s_delay_alu instid0(VALU_DEP_2) | instskip(SKIP_1) | instid1(VALU_DEP_3)
	v_pk_fma_f32 v[140:141], v[142:143], v[114:115], v[140:141] op_sel_hi:[1,1,0] neg_lo:[0,0,1] neg_hi:[0,0,1]
	v_mul_f32_e32 v142, v143, v128
	v_pk_add_f32 v[104:105], v[104:105], v[144:145] neg_lo:[0,1] neg_hi:[0,1]
	s_delay_alu instid0(VALU_DEP_2) | instskip(NEXT) | instid1(VALU_DEP_1)
	v_pk_fma_f32 v[132:133], v[132:133], v[114:115], v[142:143] op_sel_hi:[1,1,0]
	v_mov_b32_e32 v141, v133
	s_delay_alu instid0(VALU_DEP_1) | instskip(SKIP_3) | instid1(VALU_DEP_1)
	v_pk_add_f32 v[106:107], v[106:107], v[140:141] neg_lo:[0,1] neg_hi:[0,1]
	ds_load_2addr_b64 v[140:143], v135 offset0:11 offset1:12
	s_wait_dscnt 0x0
	v_pk_mul_f32 v[132:133], v[140:141], v[130:131] op_sel:[0,1]
	v_pk_fma_f32 v[144:145], v[140:141], v[128:129], v[132:133] op_sel:[0,0,1] op_sel_hi:[1,1,0] neg_lo:[0,0,1] neg_hi:[0,0,1]
	v_pk_fma_f32 v[132:133], v[140:141], v[128:129], v[132:133] op_sel:[0,0,1] op_sel_hi:[1,0,0]
	s_delay_alu instid0(VALU_DEP_1) | instskip(SKIP_1) | instid1(VALU_DEP_1)
	v_mov_b32_e32 v145, v133
	v_pk_mul_f32 v[132:133], v[142:143], v[130:131] op_sel:[0,1]
	v_pk_fma_f32 v[140:141], v[142:143], v[128:129], v[132:133] op_sel:[0,0,1] op_sel_hi:[1,1,0] neg_lo:[0,0,1] neg_hi:[0,0,1]
	v_pk_fma_f32 v[132:133], v[142:143], v[128:129], v[132:133] op_sel:[0,0,1] op_sel_hi:[1,0,0]
	s_delay_alu instid0(VALU_DEP_1) | instskip(SKIP_1) | instid1(VALU_DEP_2)
	v_mov_b32_e32 v141, v133
	v_pk_add_f32 v[102:103], v[102:103], v[144:145] neg_lo:[0,1] neg_hi:[0,1]
	v_pk_add_f32 v[100:101], v[100:101], v[140:141] neg_lo:[0,1] neg_hi:[0,1]
	ds_load_2addr_b64 v[140:143], v135 offset0:13 offset1:14
	s_wait_dscnt 0x0
	v_pk_mul_f32 v[132:133], v[140:141], v[130:131] op_sel:[0,1]
	s_delay_alu instid0(VALU_DEP_1) | instskip(SKIP_1) | instid1(VALU_DEP_1)
	v_pk_fma_f32 v[144:145], v[140:141], v[128:129], v[132:133] op_sel:[0,0,1] op_sel_hi:[1,1,0] neg_lo:[0,0,1] neg_hi:[0,0,1]
	v_pk_fma_f32 v[132:133], v[140:141], v[128:129], v[132:133] op_sel:[0,0,1] op_sel_hi:[1,0,0]
	v_mov_b32_e32 v145, v133
	v_pk_mul_f32 v[132:133], v[142:143], v[130:131] op_sel:[0,1]
	s_delay_alu instid0(VALU_DEP_1) | instskip(SKIP_1) | instid1(VALU_DEP_1)
	v_pk_fma_f32 v[140:141], v[142:143], v[128:129], v[132:133] op_sel:[0,0,1] op_sel_hi:[1,1,0] neg_lo:[0,0,1] neg_hi:[0,0,1]
	v_pk_fma_f32 v[132:133], v[142:143], v[128:129], v[132:133] op_sel:[0,0,1] op_sel_hi:[1,0,0]
	v_mov_b32_e32 v141, v133
	v_pk_add_f32 v[96:97], v[96:97], v[144:145] neg_lo:[0,1] neg_hi:[0,1]
	s_delay_alu instid0(VALU_DEP_2) | instskip(SKIP_3) | instid1(VALU_DEP_1)
	v_pk_add_f32 v[98:99], v[98:99], v[140:141] neg_lo:[0,1] neg_hi:[0,1]
	ds_load_2addr_b64 v[140:143], v135 offset0:15 offset1:16
	s_wait_dscnt 0x0
	v_dual_mul_f32 v132, v141, v131 :: v_dual_mul_f32 v144, v141, v128
	v_pk_fma_f32 v[132:133], v[140:141], v[114:115], v[132:133] op_sel_hi:[1,1,0] neg_lo:[0,0,1] neg_hi:[0,0,1]
	s_delay_alu instid0(VALU_DEP_2) | instskip(NEXT) | instid1(VALU_DEP_1)
	v_pk_fma_f32 v[140:141], v[140:141], v[114:115], v[144:145] op_sel:[1,0,0] op_sel_hi:[0,1,0]
	v_mov_b32_e32 v133, v141
	s_delay_alu instid0(VALU_DEP_1) | instskip(SKIP_1) | instid1(VALU_DEP_1)
	v_pk_add_f32 v[94:95], v[94:95], v[132:133] neg_lo:[0,1] neg_hi:[0,1]
	v_pk_mul_f32 v[132:133], v[142:143], v[130:131] op_sel:[0,1]
	v_pk_fma_f32 v[140:141], v[142:143], v[128:129], v[132:133] op_sel:[0,0,1] op_sel_hi:[1,1,0] neg_lo:[0,0,1] neg_hi:[0,0,1]
	v_pk_fma_f32 v[132:133], v[142:143], v[128:129], v[132:133] op_sel:[0,0,1] op_sel_hi:[1,0,0]
	s_delay_alu instid0(VALU_DEP_1) | instskip(NEXT) | instid1(VALU_DEP_1)
	v_mov_b32_e32 v141, v133
	v_pk_add_f32 v[92:93], v[92:93], v[140:141] neg_lo:[0,1] neg_hi:[0,1]
	ds_load_2addr_b64 v[140:143], v135 offset0:17 offset1:18
	s_wait_dscnt 0x0
	v_pk_mul_f32 v[132:133], v[140:141], v[130:131] op_sel:[0,1]
	s_delay_alu instid0(VALU_DEP_1) | instskip(SKIP_1) | instid1(VALU_DEP_1)
	v_pk_fma_f32 v[144:145], v[140:141], v[128:129], v[132:133] op_sel:[0,0,1] op_sel_hi:[1,1,0] neg_lo:[0,0,1] neg_hi:[0,0,1]
	v_pk_fma_f32 v[132:133], v[140:141], v[128:129], v[132:133] op_sel:[0,0,1] op_sel_hi:[1,0,0]
	v_mov_b32_e32 v145, v133
	v_pk_mul_f32 v[132:133], v[142:143], v[130:131] op_sel:[0,1]
	s_delay_alu instid0(VALU_DEP_2) | instskip(NEXT) | instid1(VALU_DEP_2)
	v_pk_add_f32 v[88:89], v[88:89], v[144:145] neg_lo:[0,1] neg_hi:[0,1]
	v_pk_fma_f32 v[140:141], v[142:143], v[128:129], v[132:133] op_sel:[0,0,1] op_sel_hi:[1,1,0] neg_lo:[0,0,1] neg_hi:[0,0,1]
	v_pk_fma_f32 v[132:133], v[142:143], v[128:129], v[132:133] op_sel:[0,0,1] op_sel_hi:[1,0,0]
	s_delay_alu instid0(VALU_DEP_1) | instskip(NEXT) | instid1(VALU_DEP_1)
	v_mov_b32_e32 v141, v133
	v_pk_add_f32 v[90:91], v[90:91], v[140:141] neg_lo:[0,1] neg_hi:[0,1]
	ds_load_2addr_b64 v[140:143], v135 offset0:19 offset1:20
	s_wait_dscnt 0x0
	v_pk_mul_f32 v[132:133], v[140:141], v[130:131] op_sel:[0,1]
	s_delay_alu instid0(VALU_DEP_1) | instskip(SKIP_2) | instid1(VALU_DEP_2)
	v_pk_fma_f32 v[144:145], v[140:141], v[128:129], v[132:133] op_sel:[0,0,1] op_sel_hi:[1,1,0] neg_lo:[0,0,1] neg_hi:[0,0,1]
	v_pk_fma_f32 v[132:133], v[140:141], v[128:129], v[132:133] op_sel:[0,0,1] op_sel_hi:[1,0,0]
	v_dual_mul_f32 v140, v143, v131 :: v_dual_mov_b32 v132, v143
	v_dual_mov_b32 v145, v133 :: v_dual_mov_b32 v133, v142
	s_delay_alu instid0(VALU_DEP_2) | instskip(SKIP_1) | instid1(VALU_DEP_3)
	v_pk_fma_f32 v[140:141], v[142:143], v[114:115], v[140:141] op_sel_hi:[1,1,0] neg_lo:[0,0,1] neg_hi:[0,0,1]
	v_mul_f32_e32 v142, v143, v128
	v_pk_add_f32 v[86:87], v[86:87], v[144:145] neg_lo:[0,1] neg_hi:[0,1]
	s_delay_alu instid0(VALU_DEP_2) | instskip(NEXT) | instid1(VALU_DEP_1)
	v_pk_fma_f32 v[132:133], v[132:133], v[114:115], v[142:143] op_sel_hi:[1,1,0]
	v_mov_b32_e32 v141, v133
	s_delay_alu instid0(VALU_DEP_1) | instskip(SKIP_3) | instid1(VALU_DEP_1)
	v_pk_add_f32 v[84:85], v[84:85], v[140:141] neg_lo:[0,1] neg_hi:[0,1]
	ds_load_2addr_b64 v[140:143], v135 offset0:21 offset1:22
	s_wait_dscnt 0x0
	v_pk_mul_f32 v[132:133], v[140:141], v[130:131] op_sel:[0,1]
	v_pk_fma_f32 v[144:145], v[140:141], v[128:129], v[132:133] op_sel:[0,0,1] op_sel_hi:[1,1,0] neg_lo:[0,0,1] neg_hi:[0,0,1]
	v_pk_fma_f32 v[132:133], v[140:141], v[128:129], v[132:133] op_sel:[0,0,1] op_sel_hi:[1,0,0]
	s_delay_alu instid0(VALU_DEP_1) | instskip(SKIP_1) | instid1(VALU_DEP_1)
	v_mov_b32_e32 v145, v133
	v_pk_mul_f32 v[132:133], v[142:143], v[130:131] op_sel:[0,1]
	v_pk_fma_f32 v[140:141], v[142:143], v[128:129], v[132:133] op_sel:[0,0,1] op_sel_hi:[1,1,0] neg_lo:[0,0,1] neg_hi:[0,0,1]
	v_pk_fma_f32 v[132:133], v[142:143], v[128:129], v[132:133] op_sel:[0,0,1] op_sel_hi:[1,0,0]
	s_delay_alu instid0(VALU_DEP_1) | instskip(SKIP_1) | instid1(VALU_DEP_2)
	v_mov_b32_e32 v141, v133
	v_pk_add_f32 v[80:81], v[80:81], v[144:145] neg_lo:[0,1] neg_hi:[0,1]
	v_pk_add_f32 v[82:83], v[82:83], v[140:141] neg_lo:[0,1] neg_hi:[0,1]
	ds_load_2addr_b64 v[140:143], v135 offset0:23 offset1:24
	s_wait_dscnt 0x0
	v_pk_mul_f32 v[132:133], v[140:141], v[130:131] op_sel:[0,1]
	s_delay_alu instid0(VALU_DEP_1) | instskip(SKIP_1) | instid1(VALU_DEP_1)
	v_pk_fma_f32 v[144:145], v[140:141], v[128:129], v[132:133] op_sel:[0,0,1] op_sel_hi:[1,1,0] neg_lo:[0,0,1] neg_hi:[0,0,1]
	v_pk_fma_f32 v[132:133], v[140:141], v[128:129], v[132:133] op_sel:[0,0,1] op_sel_hi:[1,0,0]
	v_mov_b32_e32 v145, v133
	v_pk_mul_f32 v[132:133], v[142:143], v[130:131] op_sel:[0,1]
	s_delay_alu instid0(VALU_DEP_1) | instskip(SKIP_1) | instid1(VALU_DEP_1)
	v_pk_fma_f32 v[140:141], v[142:143], v[128:129], v[132:133] op_sel:[0,0,1] op_sel_hi:[1,1,0] neg_lo:[0,0,1] neg_hi:[0,0,1]
	v_pk_fma_f32 v[132:133], v[142:143], v[128:129], v[132:133] op_sel:[0,0,1] op_sel_hi:[1,0,0]
	v_mov_b32_e32 v141, v133
	v_pk_add_f32 v[78:79], v[78:79], v[144:145] neg_lo:[0,1] neg_hi:[0,1]
	s_delay_alu instid0(VALU_DEP_2) | instskip(SKIP_3) | instid1(VALU_DEP_1)
	v_pk_add_f32 v[76:77], v[76:77], v[140:141] neg_lo:[0,1] neg_hi:[0,1]
	ds_load_2addr_b64 v[140:143], v135 offset0:25 offset1:26
	s_wait_dscnt 0x0
	v_dual_mul_f32 v132, v141, v131 :: v_dual_mul_f32 v144, v141, v128
	v_pk_fma_f32 v[132:133], v[140:141], v[114:115], v[132:133] op_sel_hi:[1,1,0] neg_lo:[0,0,1] neg_hi:[0,0,1]
	s_delay_alu instid0(VALU_DEP_2) | instskip(NEXT) | instid1(VALU_DEP_1)
	v_pk_fma_f32 v[140:141], v[140:141], v[114:115], v[144:145] op_sel:[1,0,0] op_sel_hi:[0,1,0]
	v_mov_b32_e32 v133, v141
	s_delay_alu instid0(VALU_DEP_1) | instskip(SKIP_1) | instid1(VALU_DEP_1)
	v_pk_add_f32 v[72:73], v[72:73], v[132:133] neg_lo:[0,1] neg_hi:[0,1]
	v_pk_mul_f32 v[132:133], v[142:143], v[130:131] op_sel:[0,1]
	v_pk_fma_f32 v[140:141], v[142:143], v[128:129], v[132:133] op_sel:[0,0,1] op_sel_hi:[1,1,0] neg_lo:[0,0,1] neg_hi:[0,0,1]
	v_pk_fma_f32 v[132:133], v[142:143], v[128:129], v[132:133] op_sel:[0,0,1] op_sel_hi:[1,0,0]
	s_delay_alu instid0(VALU_DEP_1) | instskip(NEXT) | instid1(VALU_DEP_1)
	v_mov_b32_e32 v141, v133
	v_pk_add_f32 v[74:75], v[74:75], v[140:141] neg_lo:[0,1] neg_hi:[0,1]
	ds_load_2addr_b64 v[140:143], v135 offset0:27 offset1:28
	s_wait_dscnt 0x0
	v_pk_mul_f32 v[132:133], v[140:141], v[130:131] op_sel:[0,1]
	s_delay_alu instid0(VALU_DEP_1) | instskip(SKIP_1) | instid1(VALU_DEP_1)
	v_pk_fma_f32 v[144:145], v[140:141], v[128:129], v[132:133] op_sel:[0,0,1] op_sel_hi:[1,1,0] neg_lo:[0,0,1] neg_hi:[0,0,1]
	v_pk_fma_f32 v[132:133], v[140:141], v[128:129], v[132:133] op_sel:[0,0,1] op_sel_hi:[1,0,0]
	v_mov_b32_e32 v145, v133
	v_pk_mul_f32 v[132:133], v[142:143], v[130:131] op_sel:[0,1]
	s_delay_alu instid0(VALU_DEP_2) | instskip(NEXT) | instid1(VALU_DEP_2)
	v_pk_add_f32 v[70:71], v[70:71], v[144:145] neg_lo:[0,1] neg_hi:[0,1]
	v_pk_fma_f32 v[140:141], v[142:143], v[128:129], v[132:133] op_sel:[0,0,1] op_sel_hi:[1,1,0] neg_lo:[0,0,1] neg_hi:[0,0,1]
	v_pk_fma_f32 v[132:133], v[142:143], v[128:129], v[132:133] op_sel:[0,0,1] op_sel_hi:[1,0,0]
	s_delay_alu instid0(VALU_DEP_1) | instskip(NEXT) | instid1(VALU_DEP_1)
	v_mov_b32_e32 v141, v133
	v_pk_add_f32 v[68:69], v[68:69], v[140:141] neg_lo:[0,1] neg_hi:[0,1]
	ds_load_2addr_b64 v[140:143], v135 offset0:29 offset1:30
	s_wait_dscnt 0x0
	v_pk_mul_f32 v[132:133], v[140:141], v[130:131] op_sel:[0,1]
	s_delay_alu instid0(VALU_DEP_1) | instskip(SKIP_2) | instid1(VALU_DEP_2)
	v_pk_fma_f32 v[144:145], v[140:141], v[128:129], v[132:133] op_sel:[0,0,1] op_sel_hi:[1,1,0] neg_lo:[0,0,1] neg_hi:[0,0,1]
	v_pk_fma_f32 v[132:133], v[140:141], v[128:129], v[132:133] op_sel:[0,0,1] op_sel_hi:[1,0,0]
	v_dual_mul_f32 v140, v143, v131 :: v_dual_mov_b32 v132, v143
	v_dual_mov_b32 v145, v133 :: v_dual_mov_b32 v133, v142
	s_delay_alu instid0(VALU_DEP_2) | instskip(SKIP_1) | instid1(VALU_DEP_3)
	v_pk_fma_f32 v[140:141], v[142:143], v[114:115], v[140:141] op_sel_hi:[1,1,0] neg_lo:[0,0,1] neg_hi:[0,0,1]
	v_mul_f32_e32 v142, v143, v128
	v_pk_add_f32 v[64:65], v[64:65], v[144:145] neg_lo:[0,1] neg_hi:[0,1]
	s_delay_alu instid0(VALU_DEP_2) | instskip(NEXT) | instid1(VALU_DEP_1)
	v_pk_fma_f32 v[132:133], v[132:133], v[114:115], v[142:143] op_sel_hi:[1,1,0]
	v_mov_b32_e32 v141, v133
	s_delay_alu instid0(VALU_DEP_1) | instskip(SKIP_3) | instid1(VALU_DEP_1)
	v_pk_add_f32 v[66:67], v[66:67], v[140:141] neg_lo:[0,1] neg_hi:[0,1]
	ds_load_2addr_b64 v[140:143], v135 offset0:31 offset1:32
	s_wait_dscnt 0x0
	v_pk_mul_f32 v[132:133], v[140:141], v[130:131] op_sel:[0,1]
	v_pk_fma_f32 v[144:145], v[140:141], v[128:129], v[132:133] op_sel:[0,0,1] op_sel_hi:[1,1,0] neg_lo:[0,0,1] neg_hi:[0,0,1]
	v_pk_fma_f32 v[132:133], v[140:141], v[128:129], v[132:133] op_sel:[0,0,1] op_sel_hi:[1,0,0]
	s_delay_alu instid0(VALU_DEP_1) | instskip(SKIP_1) | instid1(VALU_DEP_1)
	v_mov_b32_e32 v145, v133
	v_pk_mul_f32 v[132:133], v[142:143], v[130:131] op_sel:[0,1]
	v_pk_fma_f32 v[140:141], v[142:143], v[128:129], v[132:133] op_sel:[0,0,1] op_sel_hi:[1,1,0] neg_lo:[0,0,1] neg_hi:[0,0,1]
	v_pk_fma_f32 v[132:133], v[142:143], v[128:129], v[132:133] op_sel:[0,0,1] op_sel_hi:[1,0,0]
	s_delay_alu instid0(VALU_DEP_1) | instskip(SKIP_1) | instid1(VALU_DEP_2)
	v_mov_b32_e32 v141, v133
	v_pk_add_f32 v[62:63], v[62:63], v[144:145] neg_lo:[0,1] neg_hi:[0,1]
	v_pk_add_f32 v[60:61], v[60:61], v[140:141] neg_lo:[0,1] neg_hi:[0,1]
	ds_load_2addr_b64 v[140:143], v135 offset0:33 offset1:34
	s_wait_dscnt 0x0
	v_pk_mul_f32 v[132:133], v[140:141], v[130:131] op_sel:[0,1]
	s_delay_alu instid0(VALU_DEP_1) | instskip(SKIP_1) | instid1(VALU_DEP_1)
	v_pk_fma_f32 v[144:145], v[140:141], v[128:129], v[132:133] op_sel:[0,0,1] op_sel_hi:[1,1,0] neg_lo:[0,0,1] neg_hi:[0,0,1]
	v_pk_fma_f32 v[132:133], v[140:141], v[128:129], v[132:133] op_sel:[0,0,1] op_sel_hi:[1,0,0]
	v_mov_b32_e32 v145, v133
	v_pk_mul_f32 v[132:133], v[142:143], v[130:131] op_sel:[0,1]
	s_delay_alu instid0(VALU_DEP_1) | instskip(SKIP_1) | instid1(VALU_DEP_1)
	v_pk_fma_f32 v[140:141], v[142:143], v[128:129], v[132:133] op_sel:[0,0,1] op_sel_hi:[1,1,0] neg_lo:[0,0,1] neg_hi:[0,0,1]
	v_pk_fma_f32 v[132:133], v[142:143], v[128:129], v[132:133] op_sel:[0,0,1] op_sel_hi:[1,0,0]
	v_mov_b32_e32 v141, v133
	v_pk_add_f32 v[56:57], v[56:57], v[144:145] neg_lo:[0,1] neg_hi:[0,1]
	s_delay_alu instid0(VALU_DEP_2) | instskip(SKIP_3) | instid1(VALU_DEP_1)
	v_pk_add_f32 v[58:59], v[58:59], v[140:141] neg_lo:[0,1] neg_hi:[0,1]
	ds_load_2addr_b64 v[140:143], v135 offset0:35 offset1:36
	s_wait_dscnt 0x0
	v_dual_mul_f32 v132, v141, v131 :: v_dual_mul_f32 v144, v141, v128
	v_pk_fma_f32 v[132:133], v[140:141], v[114:115], v[132:133] op_sel_hi:[1,1,0] neg_lo:[0,0,1] neg_hi:[0,0,1]
	s_delay_alu instid0(VALU_DEP_2) | instskip(NEXT) | instid1(VALU_DEP_1)
	v_pk_fma_f32 v[140:141], v[140:141], v[114:115], v[144:145] op_sel:[1,0,0] op_sel_hi:[0,1,0]
	v_mov_b32_e32 v133, v141
	s_delay_alu instid0(VALU_DEP_1) | instskip(SKIP_1) | instid1(VALU_DEP_1)
	v_pk_add_f32 v[54:55], v[54:55], v[132:133] neg_lo:[0,1] neg_hi:[0,1]
	v_pk_mul_f32 v[132:133], v[142:143], v[130:131] op_sel:[0,1]
	v_pk_fma_f32 v[140:141], v[142:143], v[128:129], v[132:133] op_sel:[0,0,1] op_sel_hi:[1,1,0] neg_lo:[0,0,1] neg_hi:[0,0,1]
	v_pk_fma_f32 v[132:133], v[142:143], v[128:129], v[132:133] op_sel:[0,0,1] op_sel_hi:[1,0,0]
	s_delay_alu instid0(VALU_DEP_1) | instskip(NEXT) | instid1(VALU_DEP_1)
	v_mov_b32_e32 v141, v133
	v_pk_add_f32 v[52:53], v[52:53], v[140:141] neg_lo:[0,1] neg_hi:[0,1]
	ds_load_2addr_b64 v[140:143], v135 offset0:37 offset1:38
	s_wait_dscnt 0x0
	v_pk_mul_f32 v[132:133], v[140:141], v[130:131] op_sel:[0,1]
	s_delay_alu instid0(VALU_DEP_1) | instskip(SKIP_1) | instid1(VALU_DEP_1)
	v_pk_fma_f32 v[144:145], v[140:141], v[128:129], v[132:133] op_sel:[0,0,1] op_sel_hi:[1,1,0] neg_lo:[0,0,1] neg_hi:[0,0,1]
	v_pk_fma_f32 v[132:133], v[140:141], v[128:129], v[132:133] op_sel:[0,0,1] op_sel_hi:[1,0,0]
	v_mov_b32_e32 v145, v133
	v_pk_mul_f32 v[132:133], v[142:143], v[130:131] op_sel:[0,1]
	s_delay_alu instid0(VALU_DEP_2) | instskip(NEXT) | instid1(VALU_DEP_2)
	v_pk_add_f32 v[48:49], v[48:49], v[144:145] neg_lo:[0,1] neg_hi:[0,1]
	v_pk_fma_f32 v[140:141], v[142:143], v[128:129], v[132:133] op_sel:[0,0,1] op_sel_hi:[1,1,0] neg_lo:[0,0,1] neg_hi:[0,0,1]
	v_pk_fma_f32 v[132:133], v[142:143], v[128:129], v[132:133] op_sel:[0,0,1] op_sel_hi:[1,0,0]
	s_delay_alu instid0(VALU_DEP_1) | instskip(NEXT) | instid1(VALU_DEP_1)
	v_mov_b32_e32 v141, v133
	v_pk_add_f32 v[50:51], v[50:51], v[140:141] neg_lo:[0,1] neg_hi:[0,1]
	ds_load_2addr_b64 v[140:143], v135 offset0:39 offset1:40
	s_wait_dscnt 0x0
	v_pk_mul_f32 v[132:133], v[140:141], v[130:131] op_sel:[0,1]
	s_delay_alu instid0(VALU_DEP_1) | instskip(SKIP_2) | instid1(VALU_DEP_2)
	v_pk_fma_f32 v[144:145], v[140:141], v[128:129], v[132:133] op_sel:[0,0,1] op_sel_hi:[1,1,0] neg_lo:[0,0,1] neg_hi:[0,0,1]
	v_pk_fma_f32 v[132:133], v[140:141], v[128:129], v[132:133] op_sel:[0,0,1] op_sel_hi:[1,0,0]
	v_dual_mul_f32 v140, v143, v131 :: v_dual_mov_b32 v132, v143
	v_dual_mov_b32 v145, v133 :: v_dual_mov_b32 v133, v142
	s_delay_alu instid0(VALU_DEP_2) | instskip(SKIP_1) | instid1(VALU_DEP_3)
	v_pk_fma_f32 v[140:141], v[142:143], v[114:115], v[140:141] op_sel_hi:[1,1,0] neg_lo:[0,0,1] neg_hi:[0,0,1]
	v_mul_f32_e32 v142, v143, v128
	v_pk_add_f32 v[46:47], v[46:47], v[144:145] neg_lo:[0,1] neg_hi:[0,1]
	s_delay_alu instid0(VALU_DEP_2) | instskip(NEXT) | instid1(VALU_DEP_1)
	v_pk_fma_f32 v[132:133], v[132:133], v[114:115], v[142:143] op_sel_hi:[1,1,0]
	v_mov_b32_e32 v141, v133
	s_delay_alu instid0(VALU_DEP_1) | instskip(SKIP_3) | instid1(VALU_DEP_1)
	v_pk_add_f32 v[42:43], v[42:43], v[140:141] neg_lo:[0,1] neg_hi:[0,1]
	ds_load_2addr_b64 v[140:143], v135 offset0:41 offset1:42
	s_wait_dscnt 0x0
	v_pk_mul_f32 v[132:133], v[140:141], v[130:131] op_sel:[0,1]
	v_pk_fma_f32 v[144:145], v[140:141], v[128:129], v[132:133] op_sel:[0,0,1] op_sel_hi:[1,1,0] neg_lo:[0,0,1] neg_hi:[0,0,1]
	v_pk_fma_f32 v[132:133], v[140:141], v[128:129], v[132:133] op_sel:[0,0,1] op_sel_hi:[1,0,0]
	s_delay_alu instid0(VALU_DEP_1) | instskip(SKIP_1) | instid1(VALU_DEP_1)
	v_mov_b32_e32 v145, v133
	v_pk_mul_f32 v[132:133], v[142:143], v[130:131] op_sel:[0,1]
	v_pk_fma_f32 v[140:141], v[142:143], v[128:129], v[132:133] op_sel:[0,0,1] op_sel_hi:[1,1,0] neg_lo:[0,0,1] neg_hi:[0,0,1]
	v_pk_fma_f32 v[132:133], v[142:143], v[128:129], v[132:133] op_sel:[0,0,1] op_sel_hi:[1,0,0]
	s_delay_alu instid0(VALU_DEP_1) | instskip(SKIP_1) | instid1(VALU_DEP_2)
	v_mov_b32_e32 v141, v133
	v_pk_add_f32 v[38:39], v[38:39], v[144:145] neg_lo:[0,1] neg_hi:[0,1]
	v_pk_add_f32 v[40:41], v[40:41], v[140:141] neg_lo:[0,1] neg_hi:[0,1]
	ds_load_2addr_b64 v[140:143], v135 offset0:43 offset1:44
	s_wait_dscnt 0x0
	v_pk_mul_f32 v[132:133], v[140:141], v[130:131] op_sel:[0,1]
	s_delay_alu instid0(VALU_DEP_1) | instskip(SKIP_1) | instid1(VALU_DEP_1)
	v_pk_fma_f32 v[144:145], v[140:141], v[128:129], v[132:133] op_sel:[0,0,1] op_sel_hi:[1,1,0] neg_lo:[0,0,1] neg_hi:[0,0,1]
	v_pk_fma_f32 v[132:133], v[140:141], v[128:129], v[132:133] op_sel:[0,0,1] op_sel_hi:[1,0,0]
	v_mov_b32_e32 v145, v133
	v_pk_mul_f32 v[132:133], v[142:143], v[130:131] op_sel:[0,1]
	s_delay_alu instid0(VALU_DEP_1) | instskip(SKIP_1) | instid1(VALU_DEP_1)
	v_pk_fma_f32 v[140:141], v[142:143], v[128:129], v[132:133] op_sel:[0,0,1] op_sel_hi:[1,1,0] neg_lo:[0,0,1] neg_hi:[0,0,1]
	v_pk_fma_f32 v[132:133], v[142:143], v[128:129], v[132:133] op_sel:[0,0,1] op_sel_hi:[1,0,0]
	v_mov_b32_e32 v141, v133
	v_pk_add_f32 v[36:37], v[36:37], v[144:145] neg_lo:[0,1] neg_hi:[0,1]
	s_delay_alu instid0(VALU_DEP_2) | instskip(SKIP_3) | instid1(VALU_DEP_1)
	v_pk_add_f32 v[34:35], v[34:35], v[140:141] neg_lo:[0,1] neg_hi:[0,1]
	ds_load_2addr_b64 v[140:143], v135 offset0:45 offset1:46
	s_wait_dscnt 0x0
	v_dual_mul_f32 v132, v141, v131 :: v_dual_mul_f32 v144, v141, v128
	v_pk_fma_f32 v[132:133], v[140:141], v[114:115], v[132:133] op_sel_hi:[1,1,0] neg_lo:[0,0,1] neg_hi:[0,0,1]
	s_delay_alu instid0(VALU_DEP_2) | instskip(NEXT) | instid1(VALU_DEP_1)
	v_pk_fma_f32 v[140:141], v[140:141], v[114:115], v[144:145] op_sel:[1,0,0] op_sel_hi:[0,1,0]
	v_mov_b32_e32 v133, v141
	s_delay_alu instid0(VALU_DEP_1) | instskip(SKIP_1) | instid1(VALU_DEP_1)
	v_pk_add_f32 v[30:31], v[30:31], v[132:133] neg_lo:[0,1] neg_hi:[0,1]
	v_pk_mul_f32 v[132:133], v[142:143], v[130:131] op_sel:[0,1]
	v_pk_fma_f32 v[140:141], v[142:143], v[128:129], v[132:133] op_sel:[0,0,1] op_sel_hi:[1,1,0] neg_lo:[0,0,1] neg_hi:[0,0,1]
	v_pk_fma_f32 v[132:133], v[142:143], v[128:129], v[132:133] op_sel:[0,0,1] op_sel_hi:[1,0,0]
	s_delay_alu instid0(VALU_DEP_1) | instskip(NEXT) | instid1(VALU_DEP_1)
	v_mov_b32_e32 v141, v133
	v_pk_add_f32 v[32:33], v[32:33], v[140:141] neg_lo:[0,1] neg_hi:[0,1]
	ds_load_2addr_b64 v[140:143], v135 offset0:47 offset1:48
	s_wait_dscnt 0x0
	v_pk_mul_f32 v[132:133], v[140:141], v[130:131] op_sel:[0,1]
	s_delay_alu instid0(VALU_DEP_1) | instskip(SKIP_1) | instid1(VALU_DEP_1)
	v_pk_fma_f32 v[144:145], v[140:141], v[128:129], v[132:133] op_sel:[0,0,1] op_sel_hi:[1,1,0] neg_lo:[0,0,1] neg_hi:[0,0,1]
	v_pk_fma_f32 v[132:133], v[140:141], v[128:129], v[132:133] op_sel:[0,0,1] op_sel_hi:[1,0,0]
	v_mov_b32_e32 v145, v133
	v_pk_mul_f32 v[132:133], v[142:143], v[130:131] op_sel:[0,1]
	s_delay_alu instid0(VALU_DEP_2) | instskip(NEXT) | instid1(VALU_DEP_2)
	v_pk_add_f32 v[28:29], v[28:29], v[144:145] neg_lo:[0,1] neg_hi:[0,1]
	v_pk_fma_f32 v[140:141], v[142:143], v[128:129], v[132:133] op_sel:[0,0,1] op_sel_hi:[1,1,0] neg_lo:[0,0,1] neg_hi:[0,0,1]
	v_pk_fma_f32 v[132:133], v[142:143], v[128:129], v[132:133] op_sel:[0,0,1] op_sel_hi:[1,0,0]
	s_delay_alu instid0(VALU_DEP_1) | instskip(NEXT) | instid1(VALU_DEP_1)
	v_mov_b32_e32 v141, v133
	v_pk_add_f32 v[26:27], v[26:27], v[140:141] neg_lo:[0,1] neg_hi:[0,1]
	ds_load_2addr_b64 v[140:143], v135 offset0:49 offset1:50
	s_wait_dscnt 0x0
	v_pk_mul_f32 v[132:133], v[140:141], v[130:131] op_sel:[0,1]
	s_delay_alu instid0(VALU_DEP_1) | instskip(SKIP_2) | instid1(VALU_DEP_2)
	v_pk_fma_f32 v[144:145], v[140:141], v[128:129], v[132:133] op_sel:[0,0,1] op_sel_hi:[1,1,0] neg_lo:[0,0,1] neg_hi:[0,0,1]
	v_pk_fma_f32 v[132:133], v[140:141], v[128:129], v[132:133] op_sel:[0,0,1] op_sel_hi:[1,0,0]
	v_dual_mul_f32 v140, v143, v131 :: v_dual_mov_b32 v132, v143
	v_dual_mov_b32 v145, v133 :: v_dual_mov_b32 v133, v142
	s_delay_alu instid0(VALU_DEP_2) | instskip(SKIP_1) | instid1(VALU_DEP_3)
	v_pk_fma_f32 v[140:141], v[142:143], v[114:115], v[140:141] op_sel_hi:[1,1,0] neg_lo:[0,0,1] neg_hi:[0,0,1]
	v_mul_f32_e32 v142, v143, v128
	v_pk_add_f32 v[22:23], v[22:23], v[144:145] neg_lo:[0,1] neg_hi:[0,1]
	s_delay_alu instid0(VALU_DEP_2) | instskip(NEXT) | instid1(VALU_DEP_1)
	v_pk_fma_f32 v[132:133], v[132:133], v[114:115], v[142:143] op_sel_hi:[1,1,0]
	v_mov_b32_e32 v141, v133
	s_delay_alu instid0(VALU_DEP_1) | instskip(SKIP_3) | instid1(VALU_DEP_1)
	v_pk_add_f32 v[24:25], v[24:25], v[140:141] neg_lo:[0,1] neg_hi:[0,1]
	ds_load_2addr_b64 v[140:143], v135 offset0:51 offset1:52
	s_wait_dscnt 0x0
	v_pk_mul_f32 v[132:133], v[140:141], v[130:131] op_sel:[0,1]
	v_pk_fma_f32 v[144:145], v[140:141], v[128:129], v[132:133] op_sel:[0,0,1] op_sel_hi:[1,1,0] neg_lo:[0,0,1] neg_hi:[0,0,1]
	v_pk_fma_f32 v[132:133], v[140:141], v[128:129], v[132:133] op_sel:[0,0,1] op_sel_hi:[1,0,0]
	s_delay_alu instid0(VALU_DEP_1) | instskip(SKIP_1) | instid1(VALU_DEP_1)
	v_mov_b32_e32 v145, v133
	v_pk_mul_f32 v[132:133], v[142:143], v[130:131] op_sel:[0,1]
	v_pk_fma_f32 v[140:141], v[142:143], v[128:129], v[132:133] op_sel:[0,0,1] op_sel_hi:[1,1,0] neg_lo:[0,0,1] neg_hi:[0,0,1]
	v_pk_fma_f32 v[132:133], v[142:143], v[128:129], v[132:133] op_sel:[0,0,1] op_sel_hi:[1,0,0]
	s_delay_alu instid0(VALU_DEP_1) | instskip(SKIP_1) | instid1(VALU_DEP_2)
	v_mov_b32_e32 v141, v133
	v_pk_add_f32 v[44:45], v[44:45], v[144:145] neg_lo:[0,1] neg_hi:[0,1]
	v_pk_add_f32 v[16:17], v[16:17], v[140:141] neg_lo:[0,1] neg_hi:[0,1]
	ds_load_2addr_b64 v[140:143], v135 offset0:53 offset1:54
	s_wait_dscnt 0x0
	v_pk_mul_f32 v[132:133], v[140:141], v[130:131] op_sel:[0,1]
	s_delay_alu instid0(VALU_DEP_1) | instskip(SKIP_1) | instid1(VALU_DEP_1)
	v_pk_fma_f32 v[144:145], v[140:141], v[128:129], v[132:133] op_sel:[0,0,1] op_sel_hi:[1,1,0] neg_lo:[0,0,1] neg_hi:[0,0,1]
	v_pk_fma_f32 v[132:133], v[140:141], v[128:129], v[132:133] op_sel:[0,0,1] op_sel_hi:[1,0,0]
	v_mov_b32_e32 v145, v133
	v_pk_mul_f32 v[132:133], v[142:143], v[130:131] op_sel:[0,1]
	s_delay_alu instid0(VALU_DEP_1) | instskip(SKIP_1) | instid1(VALU_DEP_1)
	v_pk_fma_f32 v[140:141], v[142:143], v[128:129], v[132:133] op_sel:[0,0,1] op_sel_hi:[1,1,0] neg_lo:[0,0,1] neg_hi:[0,0,1]
	v_pk_fma_f32 v[132:133], v[142:143], v[128:129], v[132:133] op_sel:[0,0,1] op_sel_hi:[1,0,0]
	v_mov_b32_e32 v141, v133
	v_pk_add_f32 v[12:13], v[12:13], v[144:145] neg_lo:[0,1] neg_hi:[0,1]
	s_delay_alu instid0(VALU_DEP_2) | instskip(SKIP_3) | instid1(VALU_DEP_1)
	v_pk_add_f32 v[14:15], v[14:15], v[140:141] neg_lo:[0,1] neg_hi:[0,1]
	ds_load_2addr_b64 v[140:143], v135 offset0:55 offset1:56
	s_wait_dscnt 0x0
	v_dual_mul_f32 v132, v141, v131 :: v_dual_mul_f32 v144, v141, v128
	v_pk_fma_f32 v[132:133], v[140:141], v[114:115], v[132:133] op_sel_hi:[1,1,0] neg_lo:[0,0,1] neg_hi:[0,0,1]
	s_delay_alu instid0(VALU_DEP_2) | instskip(NEXT) | instid1(VALU_DEP_1)
	v_pk_fma_f32 v[140:141], v[140:141], v[114:115], v[144:145] op_sel:[1,0,0] op_sel_hi:[0,1,0]
	v_mov_b32_e32 v133, v141
	s_delay_alu instid0(VALU_DEP_1) | instskip(SKIP_1) | instid1(VALU_DEP_1)
	v_pk_add_f32 v[10:11], v[10:11], v[132:133] neg_lo:[0,1] neg_hi:[0,1]
	v_pk_mul_f32 v[132:133], v[142:143], v[130:131] op_sel:[0,1]
	v_pk_fma_f32 v[140:141], v[142:143], v[128:129], v[132:133] op_sel:[0,0,1] op_sel_hi:[1,1,0] neg_lo:[0,0,1] neg_hi:[0,0,1]
	v_pk_fma_f32 v[132:133], v[142:143], v[128:129], v[132:133] op_sel:[0,0,1] op_sel_hi:[1,0,0]
	s_delay_alu instid0(VALU_DEP_1) | instskip(NEXT) | instid1(VALU_DEP_1)
	v_mov_b32_e32 v141, v133
	v_pk_add_f32 v[6:7], v[6:7], v[140:141] neg_lo:[0,1] neg_hi:[0,1]
	ds_load_2addr_b64 v[140:143], v135 offset0:57 offset1:58
	s_wait_dscnt 0x0
	v_pk_mul_f32 v[132:133], v[140:141], v[130:131] op_sel:[0,1]
	s_delay_alu instid0(VALU_DEP_1) | instskip(SKIP_1) | instid1(VALU_DEP_1)
	v_pk_fma_f32 v[144:145], v[140:141], v[128:129], v[132:133] op_sel:[0,0,1] op_sel_hi:[1,1,0] neg_lo:[0,0,1] neg_hi:[0,0,1]
	v_pk_fma_f32 v[132:133], v[140:141], v[128:129], v[132:133] op_sel:[0,0,1] op_sel_hi:[1,0,0]
	v_mov_b32_e32 v145, v133
	v_pk_mul_f32 v[132:133], v[142:143], v[130:131] op_sel:[0,1]
	s_delay_alu instid0(VALU_DEP_2) | instskip(NEXT) | instid1(VALU_DEP_2)
	v_pk_add_f32 v[20:21], v[20:21], v[144:145] neg_lo:[0,1] neg_hi:[0,1]
	v_pk_fma_f32 v[140:141], v[142:143], v[128:129], v[132:133] op_sel:[0,0,1] op_sel_hi:[1,1,0] neg_lo:[0,0,1] neg_hi:[0,0,1]
	v_pk_fma_f32 v[132:133], v[142:143], v[128:129], v[132:133] op_sel:[0,0,1] op_sel_hi:[1,0,0]
	s_delay_alu instid0(VALU_DEP_1) | instskip(NEXT) | instid1(VALU_DEP_1)
	v_mov_b32_e32 v141, v133
	v_pk_add_f32 v[18:19], v[18:19], v[140:141] neg_lo:[0,1] neg_hi:[0,1]
	ds_load_2addr_b64 v[140:143], v135 offset0:59 offset1:60
	s_wait_dscnt 0x0
	v_pk_mul_f32 v[132:133], v[140:141], v[130:131] op_sel:[0,1]
	v_mul_f32_e32 v130, v143, v131
	s_delay_alu instid0(VALU_DEP_2) | instskip(SKIP_2) | instid1(VALU_DEP_4)
	v_pk_fma_f32 v[144:145], v[140:141], v[128:129], v[132:133] op_sel:[0,0,1] op_sel_hi:[1,1,0] neg_lo:[0,0,1] neg_hi:[0,0,1]
	v_pk_fma_f32 v[132:133], v[140:141], v[128:129], v[132:133] op_sel:[0,0,1] op_sel_hi:[1,0,0]
	v_dual_mov_b32 v132, v143 :: v_dual_mul_f32 v128, v143, v128
	v_pk_fma_f32 v[130:131], v[142:143], v[114:115], v[130:131] op_sel_hi:[1,1,0] neg_lo:[0,0,1] neg_hi:[0,0,1]
	s_delay_alu instid0(VALU_DEP_3) | instskip(NEXT) | instid1(VALU_DEP_1)
	v_dual_mov_b32 v145, v133 :: v_dual_mov_b32 v133, v142
	v_pk_add_f32 v[8:9], v[8:9], v[144:145] neg_lo:[0,1] neg_hi:[0,1]
	s_delay_alu instid0(VALU_DEP_2) | instskip(NEXT) | instid1(VALU_DEP_1)
	v_pk_fma_f32 v[128:129], v[132:133], v[114:115], v[128:129] op_sel_hi:[1,1,0]
	v_mov_b32_e32 v131, v129
	s_delay_alu instid0(VALU_DEP_1)
	v_pk_add_f32 v[126:127], v[126:127], v[130:131] neg_lo:[0,1] neg_hi:[0,1]
.LBB120_146:
	s_or_b32 exec_lo, exec_lo, s0
	v_lshl_add_u32 v128, v138, 3, v135
	s_barrier_signal -1
	s_barrier_wait -1
	ds_store_b64 v128, v[110:111]
	s_wait_dscnt 0x0
	s_barrier_signal -1
	s_barrier_wait -1
	ds_load_b64 v[130:131], v135 offset:56
	v_mov_b32_e32 v128, 7
	s_cmp_lt_i32 s18, 9
	s_cbranch_scc1 .LBB120_149
; %bb.147:
	v_add3_u32 v129, v136, 0, 64
	v_mov_b32_e32 v128, 7
	s_mov_b32 s0, 8
.LBB120_148:                            ; =>This Inner Loop Header: Depth=1
	ds_load_b64 v[132:133], v129
	s_wait_dscnt 0x1
	v_cmp_gt_f32_e32 vcc_lo, 0, v130
	v_cndmask_b32_e64 v140, v130, -v130, vcc_lo
	v_cmp_gt_f32_e32 vcc_lo, 0, v131
	v_cndmask_b32_e64 v142, v131, -v131, vcc_lo
	s_wait_dscnt 0x0
	v_cmp_gt_f32_e32 vcc_lo, 0, v132
	v_cndmask_b32_e64 v141, v132, -v132, vcc_lo
	v_cmp_gt_f32_e32 vcc_lo, 0, v133
	v_cndmask_b32_e64 v143, v133, -v133, vcc_lo
	s_delay_alu instid0(VALU_DEP_1) | instskip(NEXT) | instid1(VALU_DEP_1)
	v_pk_add_f32 v[140:141], v[140:141], v[142:143]
	v_cmp_lt_f32_e32 vcc_lo, v140, v141
	v_dual_cndmask_b32 v130, v130, v132 :: v_dual_add_nc_u32 v129, 8, v129
	v_cndmask_b32_e32 v131, v131, v133, vcc_lo
	v_cndmask_b32_e64 v128, v128, s0, vcc_lo
	s_add_co_i32 s0, s0, 1
	s_delay_alu instid0(SALU_CYCLE_1)
	s_cmp_lg_u32 s18, s0
	s_cbranch_scc1 .LBB120_148
.LBB120_149:
	s_wait_dscnt 0x0
	v_cmp_eq_f32_e32 vcc_lo, 0, v130
	v_cmp_eq_f32_e64 s0, 0, v131
	s_and_b32 s0, vcc_lo, s0
	s_delay_alu instid0(SALU_CYCLE_1) | instskip(NEXT) | instid1(SALU_CYCLE_1)
	s_and_saveexec_b32 s1, s0
	s_xor_b32 s0, exec_lo, s1
; %bb.150:
	v_cmp_ne_u32_e32 vcc_lo, 0, v134
	v_cndmask_b32_e32 v134, 8, v134, vcc_lo
; %bb.151:
	s_and_not1_saveexec_b32 s0, s0
	s_cbranch_execz .LBB120_157
; %bb.152:
	v_cmp_ngt_f32_e64 s1, |v130|, |v131|
	s_and_saveexec_b32 s12, s1
	s_delay_alu instid0(SALU_CYCLE_1)
	s_xor_b32 s1, exec_lo, s12
	s_cbranch_execz .LBB120_154
; %bb.153:
	v_div_scale_f32 v129, null, v131, v131, v130
	v_div_scale_f32 v139, vcc_lo, v130, v131, v130
	s_delay_alu instid0(VALU_DEP_2) | instskip(SKIP_1) | instid1(TRANS32_DEP_1)
	v_rcp_f32_e32 v132, v129
	v_nop
	v_fma_f32 v133, -v129, v132, 1.0
	s_delay_alu instid0(VALU_DEP_1) | instskip(NEXT) | instid1(VALU_DEP_1)
	v_fmac_f32_e32 v132, v133, v132
	v_mul_f32_e32 v133, v139, v132
	s_delay_alu instid0(VALU_DEP_1) | instskip(NEXT) | instid1(VALU_DEP_1)
	v_fma_f32 v140, -v129, v133, v139
	v_fmac_f32_e32 v133, v140, v132
	s_delay_alu instid0(VALU_DEP_1) | instskip(NEXT) | instid1(VALU_DEP_1)
	v_fma_f32 v129, -v129, v133, v139
	v_div_fmas_f32 v129, v129, v132, v133
	s_delay_alu instid0(VALU_DEP_1) | instskip(NEXT) | instid1(VALU_DEP_1)
	v_div_fixup_f32 v129, v129, v131, v130
	v_fmac_f32_e32 v131, v130, v129
	s_delay_alu instid0(VALU_DEP_1) | instskip(SKIP_1) | instid1(VALU_DEP_2)
	v_div_scale_f32 v130, null, v131, v131, 1.0
	v_div_scale_f32 v139, vcc_lo, 1.0, v131, 1.0
	v_rcp_f32_e32 v132, v130
	v_nop
	s_delay_alu instid0(TRANS32_DEP_1) | instskip(NEXT) | instid1(VALU_DEP_1)
	v_fma_f32 v133, -v130, v132, 1.0
	v_fmac_f32_e32 v132, v133, v132
	s_delay_alu instid0(VALU_DEP_1) | instskip(NEXT) | instid1(VALU_DEP_1)
	v_mul_f32_e32 v133, v139, v132
	v_fma_f32 v140, -v130, v133, v139
	s_delay_alu instid0(VALU_DEP_1) | instskip(NEXT) | instid1(VALU_DEP_1)
	v_fmac_f32_e32 v133, v140, v132
	v_fma_f32 v130, -v130, v133, v139
	s_delay_alu instid0(VALU_DEP_1) | instskip(NEXT) | instid1(VALU_DEP_1)
	v_div_fmas_f32 v130, v130, v132, v133
	v_div_fixup_f32 v131, v130, v131, 1.0
	s_delay_alu instid0(VALU_DEP_1)
	v_mul_f32_e32 v130, v129, v131
	v_xor_b32_e32 v131, 0x80000000, v131
.LBB120_154:
	s_and_not1_saveexec_b32 s1, s1
	s_cbranch_execz .LBB120_156
; %bb.155:
	s_delay_alu instid0(VALU_DEP_1) | instskip(SKIP_1) | instid1(VALU_DEP_2)
	v_div_scale_f32 v129, null, v130, v130, v131
	v_div_scale_f32 v139, vcc_lo, v131, v130, v131
	v_rcp_f32_e32 v132, v129
	v_nop
	s_delay_alu instid0(TRANS32_DEP_1) | instskip(NEXT) | instid1(VALU_DEP_1)
	v_fma_f32 v133, -v129, v132, 1.0
	v_fmac_f32_e32 v132, v133, v132
	s_delay_alu instid0(VALU_DEP_1) | instskip(NEXT) | instid1(VALU_DEP_1)
	v_mul_f32_e32 v133, v139, v132
	v_fma_f32 v140, -v129, v133, v139
	s_delay_alu instid0(VALU_DEP_1) | instskip(NEXT) | instid1(VALU_DEP_1)
	v_fmac_f32_e32 v133, v140, v132
	v_fma_f32 v129, -v129, v133, v139
	s_delay_alu instid0(VALU_DEP_1) | instskip(NEXT) | instid1(VALU_DEP_1)
	v_div_fmas_f32 v129, v129, v132, v133
	v_div_fixup_f32 v129, v129, v130, v131
	s_delay_alu instid0(VALU_DEP_1) | instskip(NEXT) | instid1(VALU_DEP_1)
	v_fmac_f32_e32 v130, v131, v129
	v_div_scale_f32 v131, null, v130, v130, 1.0
	s_delay_alu instid0(VALU_DEP_1) | instskip(SKIP_1) | instid1(TRANS32_DEP_1)
	v_rcp_f32_e32 v132, v131
	v_nop
	v_fma_f32 v133, -v131, v132, 1.0
	s_delay_alu instid0(VALU_DEP_1) | instskip(SKIP_1) | instid1(VALU_DEP_1)
	v_fmac_f32_e32 v132, v133, v132
	v_div_scale_f32 v133, vcc_lo, 1.0, v130, 1.0
	v_mul_f32_e32 v139, v133, v132
	s_delay_alu instid0(VALU_DEP_1) | instskip(NEXT) | instid1(VALU_DEP_1)
	v_fma_f32 v140, -v131, v139, v133
	v_fmac_f32_e32 v139, v140, v132
	s_delay_alu instid0(VALU_DEP_1) | instskip(NEXT) | instid1(VALU_DEP_1)
	v_fma_f32 v131, -v131, v139, v133
	v_div_fmas_f32 v131, v131, v132, v139
	s_delay_alu instid0(VALU_DEP_1) | instskip(NEXT) | instid1(VALU_DEP_1)
	v_div_fixup_f32 v130, v131, v130, 1.0
	v_mul_f32_e64 v131, v129, -v130
.LBB120_156:
	s_or_b32 exec_lo, exec_lo, s1
.LBB120_157:
	s_delay_alu instid0(SALU_CYCLE_1) | instskip(NEXT) | instid1(SALU_CYCLE_1)
	s_or_b32 exec_lo, exec_lo, s0
	s_mov_b32 s0, exec_lo
	v_cmpx_ne_u32_e64 v138, v128
	s_xor_b32 s0, exec_lo, s0
	s_cbranch_execz .LBB120_163
; %bb.158:
	s_mov_b32 s1, exec_lo
	v_cmpx_eq_u32_e32 7, v138
	s_cbranch_execz .LBB120_162
; %bb.159:
	v_cmp_ne_u32_e32 vcc_lo, 7, v128
	s_xor_b32 s12, s16, -1
	s_delay_alu instid0(SALU_CYCLE_1) | instskip(NEXT) | instid1(SALU_CYCLE_1)
	s_and_b32 s13, s12, vcc_lo
	s_and_saveexec_b32 s12, s13
	s_cbranch_execz .LBB120_161
; %bb.160:
	v_ashrrev_i32_e32 v129, 31, v128
	s_delay_alu instid0(VALU_DEP_1)
	v_lshl_add_u64 v[132:133], v[128:129], 2, v[4:5]
	s_clause 0x1
	global_load_b32 v129, v[132:133], off
	global_load_b32 v137, v[4:5], off offset:28
	s_wait_loadcnt 0x1
	global_store_b32 v[4:5], v129, off offset:28
	s_wait_loadcnt 0x0
	global_store_b32 v[132:133], v137, off
.LBB120_161:
	s_wait_xcnt 0x0
	s_or_b32 exec_lo, exec_lo, s12
	v_dual_mov_b32 v138, v128 :: v_dual_mov_b32 v137, v128
.LBB120_162:
	s_or_b32 exec_lo, exec_lo, s1
.LBB120_163:
	s_and_not1_saveexec_b32 s0, s0
	s_cbranch_execz .LBB120_165
; %bb.164:
	v_dual_mov_b32 v128, v108 :: v_dual_mov_b32 v129, v109
	v_dual_mov_b32 v132, v104 :: v_dual_mov_b32 v133, v105
	;; [unrolled: 1-line block ×8, first 2 shown]
	ds_store_2addr_b64 v135, v[128:129], v[132:133] offset0:8 offset1:9
	ds_store_2addr_b64 v135, v[138:139], v[140:141] offset0:10 offset1:11
	ds_store_2addr_b64 v135, v[142:143], v[144:145] offset0:12 offset1:13
	ds_store_2addr_b64 v135, v[146:147], v[148:149] offset0:14 offset1:15
	v_dual_mov_b32 v128, v92 :: v_dual_mov_b32 v129, v93
	v_dual_mov_b32 v132, v88 :: v_dual_mov_b32 v133, v89
	v_dual_mov_b32 v138, v90 :: v_dual_mov_b32 v139, v91
	v_dual_mov_b32 v140, v86 :: v_dual_mov_b32 v141, v87
	v_dual_mov_b32 v142, v84 :: v_dual_mov_b32 v143, v85
	v_dual_mov_b32 v144, v80 :: v_dual_mov_b32 v145, v81
	v_dual_mov_b32 v146, v82 :: v_dual_mov_b32 v147, v83
	v_dual_mov_b32 v148, v78 :: v_dual_mov_b32 v149, v79
	v_dual_mov_b32 v150, v76 :: v_dual_mov_b32 v151, v77
	v_dual_mov_b32 v152, v72 :: v_dual_mov_b32 v153, v73
	v_dual_mov_b32 v154, v74 :: v_dual_mov_b32 v155, v75
	v_dual_mov_b32 v156, v70 :: v_dual_mov_b32 v157, v71
	ds_store_2addr_b64 v135, v[128:129], v[132:133] offset0:16 offset1:17
	ds_store_2addr_b64 v135, v[138:139], v[140:141] offset0:18 offset1:19
	ds_store_2addr_b64 v135, v[142:143], v[144:145] offset0:20 offset1:21
	ds_store_2addr_b64 v135, v[146:147], v[148:149] offset0:22 offset1:23
	ds_store_2addr_b64 v135, v[150:151], v[152:153] offset0:24 offset1:25
	ds_store_2addr_b64 v135, v[154:155], v[156:157] offset0:26 offset1:27
	v_dual_mov_b32 v128, v68 :: v_dual_mov_b32 v129, v69
	v_dual_mov_b32 v132, v64 :: v_dual_mov_b32 v133, v65
	v_dual_mov_b32 v138, v66 :: v_dual_mov_b32 v139, v67
	v_dual_mov_b32 v140, v62 :: v_dual_mov_b32 v141, v63
	v_dual_mov_b32 v142, v60 :: v_dual_mov_b32 v143, v61
	v_dual_mov_b32 v144, v56 :: v_dual_mov_b32 v145, v57
	v_dual_mov_b32 v146, v58 :: v_dual_mov_b32 v147, v59
	v_dual_mov_b32 v148, v54 :: v_dual_mov_b32 v149, v55
	v_dual_mov_b32 v150, v52 :: v_dual_mov_b32 v151, v53
	v_dual_mov_b32 v152, v48 :: v_dual_mov_b32 v153, v49
	v_dual_mov_b32 v154, v50 :: v_dual_mov_b32 v155, v51
	v_dual_mov_b32 v156, v46 :: v_dual_mov_b32 v157, v47
	ds_store_2addr_b64 v135, v[128:129], v[132:133] offset0:28 offset1:29
	ds_store_2addr_b64 v135, v[138:139], v[140:141] offset0:30 offset1:31
	;; [unrolled: 18-line block ×3, first 2 shown]
	ds_store_2addr_b64 v135, v[142:143], v[144:145] offset0:44 offset1:45
	ds_store_2addr_b64 v135, v[146:147], v[148:149] offset0:46 offset1:47
	;; [unrolled: 1-line block ×4, first 2 shown]
	v_dual_mov_b32 v128, v16 :: v_dual_mov_b32 v129, v17
	v_dual_mov_b32 v132, v12 :: v_dual_mov_b32 v133, v13
	;; [unrolled: 1-line block ×8, first 2 shown]
	v_mov_b32_e32 v151, v9
	ds_store_2addr_b64 v135, v[128:129], v[132:133] offset0:52 offset1:53
	ds_store_2addr_b64 v135, v[140:141], v[142:143] offset0:54 offset1:55
	;; [unrolled: 1-line block ×4, first 2 shown]
	ds_store_b64 v135, v[126:127] offset:480
.LBB120_165:
	s_or_b32 exec_lo, exec_lo, s0
	s_delay_alu instid0(SALU_CYCLE_1)
	s_mov_b32 s0, exec_lo
	s_wait_storecnt_dscnt 0x0
	s_barrier_signal -1
	s_barrier_wait -1
	v_cmpx_lt_i32_e32 7, v138
	s_cbranch_execz .LBB120_167
; %bb.166:
	ds_load_2addr_b64 v[140:143], v135 offset0:8 offset1:9
	v_pk_mul_f32 v[132:133], v[130:131], v[110:111] op_sel:[1,1] op_sel_hi:[0,1]
	s_delay_alu instid0(VALU_DEP_1) | instskip(SKIP_1) | instid1(VALU_DEP_1)
	v_pk_fma_f32 v[128:129], v[130:131], v[110:111], v[132:133] op_sel_hi:[1,0,1] neg_lo:[0,0,1] neg_hi:[0,0,1]
	v_pk_fma_f32 v[130:131], v[130:131], v[110:111], v[132:133] op_sel_hi:[1,0,1]
	v_dual_mov_b32 v110, v128 :: v_dual_mov_b32 v111, v131
	s_wait_dscnt 0x0
	s_delay_alu instid0(VALU_DEP_2) | instskip(NEXT) | instid1(VALU_DEP_1)
	v_pk_mul_f32 v[132:133], v[140:141], v[130:131] op_sel:[0,1]
	v_pk_fma_f32 v[144:145], v[140:141], v[128:129], v[132:133] op_sel:[0,0,1] op_sel_hi:[1,1,0] neg_lo:[0,0,1] neg_hi:[0,0,1]
	v_pk_fma_f32 v[132:133], v[140:141], v[128:129], v[132:133] op_sel:[0,0,1] op_sel_hi:[1,0,0]
	s_delay_alu instid0(VALU_DEP_1) | instskip(SKIP_1) | instid1(VALU_DEP_1)
	v_mov_b32_e32 v145, v133
	v_pk_mul_f32 v[132:133], v[142:143], v[130:131] op_sel:[0,1]
	v_pk_fma_f32 v[140:141], v[142:143], v[128:129], v[132:133] op_sel:[0,0,1] op_sel_hi:[1,1,0] neg_lo:[0,0,1] neg_hi:[0,0,1]
	v_pk_fma_f32 v[132:133], v[142:143], v[128:129], v[132:133] op_sel:[0,0,1] op_sel_hi:[1,0,0]
	s_delay_alu instid0(VALU_DEP_1) | instskip(SKIP_1) | instid1(VALU_DEP_2)
	v_mov_b32_e32 v141, v133
	v_pk_add_f32 v[108:109], v[108:109], v[144:145] neg_lo:[0,1] neg_hi:[0,1]
	v_pk_add_f32 v[104:105], v[104:105], v[140:141] neg_lo:[0,1] neg_hi:[0,1]
	ds_load_2addr_b64 v[140:143], v135 offset0:10 offset1:11
	s_wait_dscnt 0x0
	v_pk_mul_f32 v[132:133], v[140:141], v[130:131] op_sel:[0,1]
	s_delay_alu instid0(VALU_DEP_1) | instskip(SKIP_2) | instid1(VALU_DEP_2)
	v_pk_fma_f32 v[144:145], v[140:141], v[128:129], v[132:133] op_sel:[0,0,1] op_sel_hi:[1,1,0] neg_lo:[0,0,1] neg_hi:[0,0,1]
	v_pk_fma_f32 v[132:133], v[140:141], v[128:129], v[132:133] op_sel:[0,0,1] op_sel_hi:[1,0,0]
	v_dual_mul_f32 v140, v143, v131 :: v_dual_mov_b32 v132, v143
	v_dual_mov_b32 v145, v133 :: v_dual_mov_b32 v133, v142
	s_delay_alu instid0(VALU_DEP_2) | instskip(SKIP_1) | instid1(VALU_DEP_3)
	v_pk_fma_f32 v[140:141], v[142:143], v[110:111], v[140:141] op_sel_hi:[1,1,0] neg_lo:[0,0,1] neg_hi:[0,0,1]
	v_mul_f32_e32 v142, v143, v128
	v_pk_add_f32 v[106:107], v[106:107], v[144:145] neg_lo:[0,1] neg_hi:[0,1]
	s_delay_alu instid0(VALU_DEP_2) | instskip(NEXT) | instid1(VALU_DEP_1)
	v_pk_fma_f32 v[132:133], v[132:133], v[110:111], v[142:143] op_sel_hi:[1,1,0]
	v_mov_b32_e32 v141, v133
	s_delay_alu instid0(VALU_DEP_1) | instskip(SKIP_3) | instid1(VALU_DEP_1)
	v_pk_add_f32 v[102:103], v[102:103], v[140:141] neg_lo:[0,1] neg_hi:[0,1]
	ds_load_2addr_b64 v[140:143], v135 offset0:12 offset1:13
	s_wait_dscnt 0x0
	v_pk_mul_f32 v[132:133], v[140:141], v[130:131] op_sel:[0,1]
	v_pk_fma_f32 v[144:145], v[140:141], v[128:129], v[132:133] op_sel:[0,0,1] op_sel_hi:[1,1,0] neg_lo:[0,0,1] neg_hi:[0,0,1]
	v_pk_fma_f32 v[132:133], v[140:141], v[128:129], v[132:133] op_sel:[0,0,1] op_sel_hi:[1,0,0]
	s_delay_alu instid0(VALU_DEP_1) | instskip(SKIP_1) | instid1(VALU_DEP_1)
	v_mov_b32_e32 v145, v133
	v_pk_mul_f32 v[132:133], v[142:143], v[130:131] op_sel:[0,1]
	v_pk_fma_f32 v[140:141], v[142:143], v[128:129], v[132:133] op_sel:[0,0,1] op_sel_hi:[1,1,0] neg_lo:[0,0,1] neg_hi:[0,0,1]
	v_pk_fma_f32 v[132:133], v[142:143], v[128:129], v[132:133] op_sel:[0,0,1] op_sel_hi:[1,0,0]
	s_delay_alu instid0(VALU_DEP_1) | instskip(SKIP_1) | instid1(VALU_DEP_2)
	v_mov_b32_e32 v141, v133
	v_pk_add_f32 v[100:101], v[100:101], v[144:145] neg_lo:[0,1] neg_hi:[0,1]
	v_pk_add_f32 v[96:97], v[96:97], v[140:141] neg_lo:[0,1] neg_hi:[0,1]
	ds_load_2addr_b64 v[140:143], v135 offset0:14 offset1:15
	s_wait_dscnt 0x0
	v_pk_mul_f32 v[132:133], v[140:141], v[130:131] op_sel:[0,1]
	s_delay_alu instid0(VALU_DEP_1) | instskip(SKIP_1) | instid1(VALU_DEP_1)
	v_pk_fma_f32 v[144:145], v[140:141], v[128:129], v[132:133] op_sel:[0,0,1] op_sel_hi:[1,1,0] neg_lo:[0,0,1] neg_hi:[0,0,1]
	v_pk_fma_f32 v[132:133], v[140:141], v[128:129], v[132:133] op_sel:[0,0,1] op_sel_hi:[1,0,0]
	v_mov_b32_e32 v145, v133
	v_pk_mul_f32 v[132:133], v[142:143], v[130:131] op_sel:[0,1]
	s_delay_alu instid0(VALU_DEP_1) | instskip(SKIP_1) | instid1(VALU_DEP_1)
	v_pk_fma_f32 v[140:141], v[142:143], v[128:129], v[132:133] op_sel:[0,0,1] op_sel_hi:[1,1,0] neg_lo:[0,0,1] neg_hi:[0,0,1]
	v_pk_fma_f32 v[132:133], v[142:143], v[128:129], v[132:133] op_sel:[0,0,1] op_sel_hi:[1,0,0]
	v_mov_b32_e32 v141, v133
	v_pk_add_f32 v[98:99], v[98:99], v[144:145] neg_lo:[0,1] neg_hi:[0,1]
	s_delay_alu instid0(VALU_DEP_2) | instskip(SKIP_3) | instid1(VALU_DEP_1)
	v_pk_add_f32 v[94:95], v[94:95], v[140:141] neg_lo:[0,1] neg_hi:[0,1]
	ds_load_2addr_b64 v[140:143], v135 offset0:16 offset1:17
	s_wait_dscnt 0x0
	v_dual_mul_f32 v132, v141, v131 :: v_dual_mul_f32 v144, v141, v128
	v_pk_fma_f32 v[132:133], v[140:141], v[110:111], v[132:133] op_sel_hi:[1,1,0] neg_lo:[0,0,1] neg_hi:[0,0,1]
	s_delay_alu instid0(VALU_DEP_2) | instskip(NEXT) | instid1(VALU_DEP_1)
	v_pk_fma_f32 v[140:141], v[140:141], v[110:111], v[144:145] op_sel:[1,0,0] op_sel_hi:[0,1,0]
	v_mov_b32_e32 v133, v141
	s_delay_alu instid0(VALU_DEP_1) | instskip(SKIP_1) | instid1(VALU_DEP_1)
	v_pk_add_f32 v[92:93], v[92:93], v[132:133] neg_lo:[0,1] neg_hi:[0,1]
	v_pk_mul_f32 v[132:133], v[142:143], v[130:131] op_sel:[0,1]
	v_pk_fma_f32 v[140:141], v[142:143], v[128:129], v[132:133] op_sel:[0,0,1] op_sel_hi:[1,1,0] neg_lo:[0,0,1] neg_hi:[0,0,1]
	v_pk_fma_f32 v[132:133], v[142:143], v[128:129], v[132:133] op_sel:[0,0,1] op_sel_hi:[1,0,0]
	s_delay_alu instid0(VALU_DEP_1) | instskip(NEXT) | instid1(VALU_DEP_1)
	v_mov_b32_e32 v141, v133
	v_pk_add_f32 v[88:89], v[88:89], v[140:141] neg_lo:[0,1] neg_hi:[0,1]
	ds_load_2addr_b64 v[140:143], v135 offset0:18 offset1:19
	s_wait_dscnt 0x0
	v_pk_mul_f32 v[132:133], v[140:141], v[130:131] op_sel:[0,1]
	s_delay_alu instid0(VALU_DEP_1) | instskip(SKIP_1) | instid1(VALU_DEP_1)
	v_pk_fma_f32 v[144:145], v[140:141], v[128:129], v[132:133] op_sel:[0,0,1] op_sel_hi:[1,1,0] neg_lo:[0,0,1] neg_hi:[0,0,1]
	v_pk_fma_f32 v[132:133], v[140:141], v[128:129], v[132:133] op_sel:[0,0,1] op_sel_hi:[1,0,0]
	v_mov_b32_e32 v145, v133
	v_pk_mul_f32 v[132:133], v[142:143], v[130:131] op_sel:[0,1]
	s_delay_alu instid0(VALU_DEP_2) | instskip(NEXT) | instid1(VALU_DEP_2)
	v_pk_add_f32 v[90:91], v[90:91], v[144:145] neg_lo:[0,1] neg_hi:[0,1]
	v_pk_fma_f32 v[140:141], v[142:143], v[128:129], v[132:133] op_sel:[0,0,1] op_sel_hi:[1,1,0] neg_lo:[0,0,1] neg_hi:[0,0,1]
	v_pk_fma_f32 v[132:133], v[142:143], v[128:129], v[132:133] op_sel:[0,0,1] op_sel_hi:[1,0,0]
	s_delay_alu instid0(VALU_DEP_1) | instskip(NEXT) | instid1(VALU_DEP_1)
	v_mov_b32_e32 v141, v133
	v_pk_add_f32 v[86:87], v[86:87], v[140:141] neg_lo:[0,1] neg_hi:[0,1]
	ds_load_2addr_b64 v[140:143], v135 offset0:20 offset1:21
	s_wait_dscnt 0x0
	v_pk_mul_f32 v[132:133], v[140:141], v[130:131] op_sel:[0,1]
	s_delay_alu instid0(VALU_DEP_1) | instskip(SKIP_2) | instid1(VALU_DEP_2)
	v_pk_fma_f32 v[144:145], v[140:141], v[128:129], v[132:133] op_sel:[0,0,1] op_sel_hi:[1,1,0] neg_lo:[0,0,1] neg_hi:[0,0,1]
	v_pk_fma_f32 v[132:133], v[140:141], v[128:129], v[132:133] op_sel:[0,0,1] op_sel_hi:[1,0,0]
	v_dual_mul_f32 v140, v143, v131 :: v_dual_mov_b32 v132, v143
	v_dual_mov_b32 v145, v133 :: v_dual_mov_b32 v133, v142
	s_delay_alu instid0(VALU_DEP_2) | instskip(SKIP_1) | instid1(VALU_DEP_3)
	v_pk_fma_f32 v[140:141], v[142:143], v[110:111], v[140:141] op_sel_hi:[1,1,0] neg_lo:[0,0,1] neg_hi:[0,0,1]
	v_mul_f32_e32 v142, v143, v128
	v_pk_add_f32 v[84:85], v[84:85], v[144:145] neg_lo:[0,1] neg_hi:[0,1]
	s_delay_alu instid0(VALU_DEP_2) | instskip(NEXT) | instid1(VALU_DEP_1)
	v_pk_fma_f32 v[132:133], v[132:133], v[110:111], v[142:143] op_sel_hi:[1,1,0]
	v_mov_b32_e32 v141, v133
	s_delay_alu instid0(VALU_DEP_1) | instskip(SKIP_3) | instid1(VALU_DEP_1)
	v_pk_add_f32 v[80:81], v[80:81], v[140:141] neg_lo:[0,1] neg_hi:[0,1]
	ds_load_2addr_b64 v[140:143], v135 offset0:22 offset1:23
	s_wait_dscnt 0x0
	v_pk_mul_f32 v[132:133], v[140:141], v[130:131] op_sel:[0,1]
	v_pk_fma_f32 v[144:145], v[140:141], v[128:129], v[132:133] op_sel:[0,0,1] op_sel_hi:[1,1,0] neg_lo:[0,0,1] neg_hi:[0,0,1]
	v_pk_fma_f32 v[132:133], v[140:141], v[128:129], v[132:133] op_sel:[0,0,1] op_sel_hi:[1,0,0]
	s_delay_alu instid0(VALU_DEP_1) | instskip(SKIP_1) | instid1(VALU_DEP_1)
	v_mov_b32_e32 v145, v133
	v_pk_mul_f32 v[132:133], v[142:143], v[130:131] op_sel:[0,1]
	v_pk_fma_f32 v[140:141], v[142:143], v[128:129], v[132:133] op_sel:[0,0,1] op_sel_hi:[1,1,0] neg_lo:[0,0,1] neg_hi:[0,0,1]
	v_pk_fma_f32 v[132:133], v[142:143], v[128:129], v[132:133] op_sel:[0,0,1] op_sel_hi:[1,0,0]
	s_delay_alu instid0(VALU_DEP_1) | instskip(SKIP_1) | instid1(VALU_DEP_2)
	v_mov_b32_e32 v141, v133
	v_pk_add_f32 v[82:83], v[82:83], v[144:145] neg_lo:[0,1] neg_hi:[0,1]
	v_pk_add_f32 v[78:79], v[78:79], v[140:141] neg_lo:[0,1] neg_hi:[0,1]
	ds_load_2addr_b64 v[140:143], v135 offset0:24 offset1:25
	s_wait_dscnt 0x0
	v_pk_mul_f32 v[132:133], v[140:141], v[130:131] op_sel:[0,1]
	s_delay_alu instid0(VALU_DEP_1) | instskip(SKIP_1) | instid1(VALU_DEP_1)
	v_pk_fma_f32 v[144:145], v[140:141], v[128:129], v[132:133] op_sel:[0,0,1] op_sel_hi:[1,1,0] neg_lo:[0,0,1] neg_hi:[0,0,1]
	v_pk_fma_f32 v[132:133], v[140:141], v[128:129], v[132:133] op_sel:[0,0,1] op_sel_hi:[1,0,0]
	v_mov_b32_e32 v145, v133
	v_pk_mul_f32 v[132:133], v[142:143], v[130:131] op_sel:[0,1]
	s_delay_alu instid0(VALU_DEP_1) | instskip(SKIP_1) | instid1(VALU_DEP_1)
	v_pk_fma_f32 v[140:141], v[142:143], v[128:129], v[132:133] op_sel:[0,0,1] op_sel_hi:[1,1,0] neg_lo:[0,0,1] neg_hi:[0,0,1]
	v_pk_fma_f32 v[132:133], v[142:143], v[128:129], v[132:133] op_sel:[0,0,1] op_sel_hi:[1,0,0]
	v_mov_b32_e32 v141, v133
	v_pk_add_f32 v[76:77], v[76:77], v[144:145] neg_lo:[0,1] neg_hi:[0,1]
	s_delay_alu instid0(VALU_DEP_2) | instskip(SKIP_3) | instid1(VALU_DEP_1)
	v_pk_add_f32 v[72:73], v[72:73], v[140:141] neg_lo:[0,1] neg_hi:[0,1]
	ds_load_2addr_b64 v[140:143], v135 offset0:26 offset1:27
	s_wait_dscnt 0x0
	v_dual_mul_f32 v132, v141, v131 :: v_dual_mul_f32 v144, v141, v128
	v_pk_fma_f32 v[132:133], v[140:141], v[110:111], v[132:133] op_sel_hi:[1,1,0] neg_lo:[0,0,1] neg_hi:[0,0,1]
	s_delay_alu instid0(VALU_DEP_2) | instskip(NEXT) | instid1(VALU_DEP_1)
	v_pk_fma_f32 v[140:141], v[140:141], v[110:111], v[144:145] op_sel:[1,0,0] op_sel_hi:[0,1,0]
	v_mov_b32_e32 v133, v141
	s_delay_alu instid0(VALU_DEP_1) | instskip(SKIP_1) | instid1(VALU_DEP_1)
	v_pk_add_f32 v[74:75], v[74:75], v[132:133] neg_lo:[0,1] neg_hi:[0,1]
	v_pk_mul_f32 v[132:133], v[142:143], v[130:131] op_sel:[0,1]
	v_pk_fma_f32 v[140:141], v[142:143], v[128:129], v[132:133] op_sel:[0,0,1] op_sel_hi:[1,1,0] neg_lo:[0,0,1] neg_hi:[0,0,1]
	v_pk_fma_f32 v[132:133], v[142:143], v[128:129], v[132:133] op_sel:[0,0,1] op_sel_hi:[1,0,0]
	s_delay_alu instid0(VALU_DEP_1) | instskip(NEXT) | instid1(VALU_DEP_1)
	v_mov_b32_e32 v141, v133
	v_pk_add_f32 v[70:71], v[70:71], v[140:141] neg_lo:[0,1] neg_hi:[0,1]
	ds_load_2addr_b64 v[140:143], v135 offset0:28 offset1:29
	s_wait_dscnt 0x0
	v_pk_mul_f32 v[132:133], v[140:141], v[130:131] op_sel:[0,1]
	s_delay_alu instid0(VALU_DEP_1) | instskip(SKIP_1) | instid1(VALU_DEP_1)
	v_pk_fma_f32 v[144:145], v[140:141], v[128:129], v[132:133] op_sel:[0,0,1] op_sel_hi:[1,1,0] neg_lo:[0,0,1] neg_hi:[0,0,1]
	v_pk_fma_f32 v[132:133], v[140:141], v[128:129], v[132:133] op_sel:[0,0,1] op_sel_hi:[1,0,0]
	v_mov_b32_e32 v145, v133
	v_pk_mul_f32 v[132:133], v[142:143], v[130:131] op_sel:[0,1]
	s_delay_alu instid0(VALU_DEP_2) | instskip(NEXT) | instid1(VALU_DEP_2)
	v_pk_add_f32 v[68:69], v[68:69], v[144:145] neg_lo:[0,1] neg_hi:[0,1]
	v_pk_fma_f32 v[140:141], v[142:143], v[128:129], v[132:133] op_sel:[0,0,1] op_sel_hi:[1,1,0] neg_lo:[0,0,1] neg_hi:[0,0,1]
	v_pk_fma_f32 v[132:133], v[142:143], v[128:129], v[132:133] op_sel:[0,0,1] op_sel_hi:[1,0,0]
	s_delay_alu instid0(VALU_DEP_1) | instskip(NEXT) | instid1(VALU_DEP_1)
	v_mov_b32_e32 v141, v133
	v_pk_add_f32 v[64:65], v[64:65], v[140:141] neg_lo:[0,1] neg_hi:[0,1]
	ds_load_2addr_b64 v[140:143], v135 offset0:30 offset1:31
	s_wait_dscnt 0x0
	v_pk_mul_f32 v[132:133], v[140:141], v[130:131] op_sel:[0,1]
	s_delay_alu instid0(VALU_DEP_1) | instskip(SKIP_2) | instid1(VALU_DEP_2)
	v_pk_fma_f32 v[144:145], v[140:141], v[128:129], v[132:133] op_sel:[0,0,1] op_sel_hi:[1,1,0] neg_lo:[0,0,1] neg_hi:[0,0,1]
	v_pk_fma_f32 v[132:133], v[140:141], v[128:129], v[132:133] op_sel:[0,0,1] op_sel_hi:[1,0,0]
	v_dual_mul_f32 v140, v143, v131 :: v_dual_mov_b32 v132, v143
	v_dual_mov_b32 v145, v133 :: v_dual_mov_b32 v133, v142
	s_delay_alu instid0(VALU_DEP_2) | instskip(SKIP_1) | instid1(VALU_DEP_3)
	v_pk_fma_f32 v[140:141], v[142:143], v[110:111], v[140:141] op_sel_hi:[1,1,0] neg_lo:[0,0,1] neg_hi:[0,0,1]
	v_mul_f32_e32 v142, v143, v128
	v_pk_add_f32 v[66:67], v[66:67], v[144:145] neg_lo:[0,1] neg_hi:[0,1]
	s_delay_alu instid0(VALU_DEP_2) | instskip(NEXT) | instid1(VALU_DEP_1)
	v_pk_fma_f32 v[132:133], v[132:133], v[110:111], v[142:143] op_sel_hi:[1,1,0]
	v_mov_b32_e32 v141, v133
	s_delay_alu instid0(VALU_DEP_1) | instskip(SKIP_3) | instid1(VALU_DEP_1)
	v_pk_add_f32 v[62:63], v[62:63], v[140:141] neg_lo:[0,1] neg_hi:[0,1]
	ds_load_2addr_b64 v[140:143], v135 offset0:32 offset1:33
	s_wait_dscnt 0x0
	v_pk_mul_f32 v[132:133], v[140:141], v[130:131] op_sel:[0,1]
	v_pk_fma_f32 v[144:145], v[140:141], v[128:129], v[132:133] op_sel:[0,0,1] op_sel_hi:[1,1,0] neg_lo:[0,0,1] neg_hi:[0,0,1]
	v_pk_fma_f32 v[132:133], v[140:141], v[128:129], v[132:133] op_sel:[0,0,1] op_sel_hi:[1,0,0]
	s_delay_alu instid0(VALU_DEP_1) | instskip(SKIP_1) | instid1(VALU_DEP_1)
	v_mov_b32_e32 v145, v133
	v_pk_mul_f32 v[132:133], v[142:143], v[130:131] op_sel:[0,1]
	v_pk_fma_f32 v[140:141], v[142:143], v[128:129], v[132:133] op_sel:[0,0,1] op_sel_hi:[1,1,0] neg_lo:[0,0,1] neg_hi:[0,0,1]
	v_pk_fma_f32 v[132:133], v[142:143], v[128:129], v[132:133] op_sel:[0,0,1] op_sel_hi:[1,0,0]
	s_delay_alu instid0(VALU_DEP_1) | instskip(SKIP_1) | instid1(VALU_DEP_2)
	v_mov_b32_e32 v141, v133
	v_pk_add_f32 v[60:61], v[60:61], v[144:145] neg_lo:[0,1] neg_hi:[0,1]
	v_pk_add_f32 v[56:57], v[56:57], v[140:141] neg_lo:[0,1] neg_hi:[0,1]
	ds_load_2addr_b64 v[140:143], v135 offset0:34 offset1:35
	s_wait_dscnt 0x0
	v_pk_mul_f32 v[132:133], v[140:141], v[130:131] op_sel:[0,1]
	s_delay_alu instid0(VALU_DEP_1) | instskip(SKIP_1) | instid1(VALU_DEP_1)
	v_pk_fma_f32 v[144:145], v[140:141], v[128:129], v[132:133] op_sel:[0,0,1] op_sel_hi:[1,1,0] neg_lo:[0,0,1] neg_hi:[0,0,1]
	v_pk_fma_f32 v[132:133], v[140:141], v[128:129], v[132:133] op_sel:[0,0,1] op_sel_hi:[1,0,0]
	v_mov_b32_e32 v145, v133
	v_pk_mul_f32 v[132:133], v[142:143], v[130:131] op_sel:[0,1]
	s_delay_alu instid0(VALU_DEP_1) | instskip(SKIP_1) | instid1(VALU_DEP_1)
	v_pk_fma_f32 v[140:141], v[142:143], v[128:129], v[132:133] op_sel:[0,0,1] op_sel_hi:[1,1,0] neg_lo:[0,0,1] neg_hi:[0,0,1]
	v_pk_fma_f32 v[132:133], v[142:143], v[128:129], v[132:133] op_sel:[0,0,1] op_sel_hi:[1,0,0]
	v_mov_b32_e32 v141, v133
	v_pk_add_f32 v[58:59], v[58:59], v[144:145] neg_lo:[0,1] neg_hi:[0,1]
	s_delay_alu instid0(VALU_DEP_2) | instskip(SKIP_3) | instid1(VALU_DEP_1)
	v_pk_add_f32 v[54:55], v[54:55], v[140:141] neg_lo:[0,1] neg_hi:[0,1]
	ds_load_2addr_b64 v[140:143], v135 offset0:36 offset1:37
	s_wait_dscnt 0x0
	v_dual_mul_f32 v132, v141, v131 :: v_dual_mul_f32 v144, v141, v128
	v_pk_fma_f32 v[132:133], v[140:141], v[110:111], v[132:133] op_sel_hi:[1,1,0] neg_lo:[0,0,1] neg_hi:[0,0,1]
	s_delay_alu instid0(VALU_DEP_2) | instskip(NEXT) | instid1(VALU_DEP_1)
	v_pk_fma_f32 v[140:141], v[140:141], v[110:111], v[144:145] op_sel:[1,0,0] op_sel_hi:[0,1,0]
	v_mov_b32_e32 v133, v141
	s_delay_alu instid0(VALU_DEP_1) | instskip(SKIP_1) | instid1(VALU_DEP_1)
	v_pk_add_f32 v[52:53], v[52:53], v[132:133] neg_lo:[0,1] neg_hi:[0,1]
	v_pk_mul_f32 v[132:133], v[142:143], v[130:131] op_sel:[0,1]
	v_pk_fma_f32 v[140:141], v[142:143], v[128:129], v[132:133] op_sel:[0,0,1] op_sel_hi:[1,1,0] neg_lo:[0,0,1] neg_hi:[0,0,1]
	v_pk_fma_f32 v[132:133], v[142:143], v[128:129], v[132:133] op_sel:[0,0,1] op_sel_hi:[1,0,0]
	s_delay_alu instid0(VALU_DEP_1) | instskip(NEXT) | instid1(VALU_DEP_1)
	v_mov_b32_e32 v141, v133
	v_pk_add_f32 v[48:49], v[48:49], v[140:141] neg_lo:[0,1] neg_hi:[0,1]
	ds_load_2addr_b64 v[140:143], v135 offset0:38 offset1:39
	s_wait_dscnt 0x0
	v_pk_mul_f32 v[132:133], v[140:141], v[130:131] op_sel:[0,1]
	s_delay_alu instid0(VALU_DEP_1) | instskip(SKIP_1) | instid1(VALU_DEP_1)
	v_pk_fma_f32 v[144:145], v[140:141], v[128:129], v[132:133] op_sel:[0,0,1] op_sel_hi:[1,1,0] neg_lo:[0,0,1] neg_hi:[0,0,1]
	v_pk_fma_f32 v[132:133], v[140:141], v[128:129], v[132:133] op_sel:[0,0,1] op_sel_hi:[1,0,0]
	v_mov_b32_e32 v145, v133
	v_pk_mul_f32 v[132:133], v[142:143], v[130:131] op_sel:[0,1]
	s_delay_alu instid0(VALU_DEP_2) | instskip(NEXT) | instid1(VALU_DEP_2)
	v_pk_add_f32 v[50:51], v[50:51], v[144:145] neg_lo:[0,1] neg_hi:[0,1]
	v_pk_fma_f32 v[140:141], v[142:143], v[128:129], v[132:133] op_sel:[0,0,1] op_sel_hi:[1,1,0] neg_lo:[0,0,1] neg_hi:[0,0,1]
	v_pk_fma_f32 v[132:133], v[142:143], v[128:129], v[132:133] op_sel:[0,0,1] op_sel_hi:[1,0,0]
	s_delay_alu instid0(VALU_DEP_1) | instskip(NEXT) | instid1(VALU_DEP_1)
	v_mov_b32_e32 v141, v133
	v_pk_add_f32 v[46:47], v[46:47], v[140:141] neg_lo:[0,1] neg_hi:[0,1]
	ds_load_2addr_b64 v[140:143], v135 offset0:40 offset1:41
	s_wait_dscnt 0x0
	v_pk_mul_f32 v[132:133], v[140:141], v[130:131] op_sel:[0,1]
	s_delay_alu instid0(VALU_DEP_1) | instskip(SKIP_2) | instid1(VALU_DEP_2)
	v_pk_fma_f32 v[144:145], v[140:141], v[128:129], v[132:133] op_sel:[0,0,1] op_sel_hi:[1,1,0] neg_lo:[0,0,1] neg_hi:[0,0,1]
	v_pk_fma_f32 v[132:133], v[140:141], v[128:129], v[132:133] op_sel:[0,0,1] op_sel_hi:[1,0,0]
	v_dual_mul_f32 v140, v143, v131 :: v_dual_mov_b32 v132, v143
	v_dual_mov_b32 v145, v133 :: v_dual_mov_b32 v133, v142
	s_delay_alu instid0(VALU_DEP_2) | instskip(SKIP_1) | instid1(VALU_DEP_3)
	v_pk_fma_f32 v[140:141], v[142:143], v[110:111], v[140:141] op_sel_hi:[1,1,0] neg_lo:[0,0,1] neg_hi:[0,0,1]
	v_mul_f32_e32 v142, v143, v128
	v_pk_add_f32 v[42:43], v[42:43], v[144:145] neg_lo:[0,1] neg_hi:[0,1]
	s_delay_alu instid0(VALU_DEP_2) | instskip(NEXT) | instid1(VALU_DEP_1)
	v_pk_fma_f32 v[132:133], v[132:133], v[110:111], v[142:143] op_sel_hi:[1,1,0]
	v_mov_b32_e32 v141, v133
	s_delay_alu instid0(VALU_DEP_1) | instskip(SKIP_3) | instid1(VALU_DEP_1)
	v_pk_add_f32 v[38:39], v[38:39], v[140:141] neg_lo:[0,1] neg_hi:[0,1]
	ds_load_2addr_b64 v[140:143], v135 offset0:42 offset1:43
	s_wait_dscnt 0x0
	v_pk_mul_f32 v[132:133], v[140:141], v[130:131] op_sel:[0,1]
	v_pk_fma_f32 v[144:145], v[140:141], v[128:129], v[132:133] op_sel:[0,0,1] op_sel_hi:[1,1,0] neg_lo:[0,0,1] neg_hi:[0,0,1]
	v_pk_fma_f32 v[132:133], v[140:141], v[128:129], v[132:133] op_sel:[0,0,1] op_sel_hi:[1,0,0]
	s_delay_alu instid0(VALU_DEP_1) | instskip(SKIP_1) | instid1(VALU_DEP_1)
	v_mov_b32_e32 v145, v133
	v_pk_mul_f32 v[132:133], v[142:143], v[130:131] op_sel:[0,1]
	v_pk_fma_f32 v[140:141], v[142:143], v[128:129], v[132:133] op_sel:[0,0,1] op_sel_hi:[1,1,0] neg_lo:[0,0,1] neg_hi:[0,0,1]
	v_pk_fma_f32 v[132:133], v[142:143], v[128:129], v[132:133] op_sel:[0,0,1] op_sel_hi:[1,0,0]
	s_delay_alu instid0(VALU_DEP_1) | instskip(SKIP_1) | instid1(VALU_DEP_2)
	v_mov_b32_e32 v141, v133
	v_pk_add_f32 v[40:41], v[40:41], v[144:145] neg_lo:[0,1] neg_hi:[0,1]
	v_pk_add_f32 v[36:37], v[36:37], v[140:141] neg_lo:[0,1] neg_hi:[0,1]
	ds_load_2addr_b64 v[140:143], v135 offset0:44 offset1:45
	s_wait_dscnt 0x0
	v_pk_mul_f32 v[132:133], v[140:141], v[130:131] op_sel:[0,1]
	s_delay_alu instid0(VALU_DEP_1) | instskip(SKIP_1) | instid1(VALU_DEP_1)
	v_pk_fma_f32 v[144:145], v[140:141], v[128:129], v[132:133] op_sel:[0,0,1] op_sel_hi:[1,1,0] neg_lo:[0,0,1] neg_hi:[0,0,1]
	v_pk_fma_f32 v[132:133], v[140:141], v[128:129], v[132:133] op_sel:[0,0,1] op_sel_hi:[1,0,0]
	v_mov_b32_e32 v145, v133
	v_pk_mul_f32 v[132:133], v[142:143], v[130:131] op_sel:[0,1]
	s_delay_alu instid0(VALU_DEP_1) | instskip(SKIP_1) | instid1(VALU_DEP_1)
	v_pk_fma_f32 v[140:141], v[142:143], v[128:129], v[132:133] op_sel:[0,0,1] op_sel_hi:[1,1,0] neg_lo:[0,0,1] neg_hi:[0,0,1]
	v_pk_fma_f32 v[132:133], v[142:143], v[128:129], v[132:133] op_sel:[0,0,1] op_sel_hi:[1,0,0]
	v_mov_b32_e32 v141, v133
	v_pk_add_f32 v[34:35], v[34:35], v[144:145] neg_lo:[0,1] neg_hi:[0,1]
	s_delay_alu instid0(VALU_DEP_2) | instskip(SKIP_3) | instid1(VALU_DEP_1)
	v_pk_add_f32 v[30:31], v[30:31], v[140:141] neg_lo:[0,1] neg_hi:[0,1]
	ds_load_2addr_b64 v[140:143], v135 offset0:46 offset1:47
	s_wait_dscnt 0x0
	v_dual_mul_f32 v132, v141, v131 :: v_dual_mul_f32 v144, v141, v128
	v_pk_fma_f32 v[132:133], v[140:141], v[110:111], v[132:133] op_sel_hi:[1,1,0] neg_lo:[0,0,1] neg_hi:[0,0,1]
	s_delay_alu instid0(VALU_DEP_2) | instskip(NEXT) | instid1(VALU_DEP_1)
	v_pk_fma_f32 v[140:141], v[140:141], v[110:111], v[144:145] op_sel:[1,0,0] op_sel_hi:[0,1,0]
	v_mov_b32_e32 v133, v141
	s_delay_alu instid0(VALU_DEP_1) | instskip(SKIP_1) | instid1(VALU_DEP_1)
	v_pk_add_f32 v[32:33], v[32:33], v[132:133] neg_lo:[0,1] neg_hi:[0,1]
	v_pk_mul_f32 v[132:133], v[142:143], v[130:131] op_sel:[0,1]
	v_pk_fma_f32 v[140:141], v[142:143], v[128:129], v[132:133] op_sel:[0,0,1] op_sel_hi:[1,1,0] neg_lo:[0,0,1] neg_hi:[0,0,1]
	v_pk_fma_f32 v[132:133], v[142:143], v[128:129], v[132:133] op_sel:[0,0,1] op_sel_hi:[1,0,0]
	s_delay_alu instid0(VALU_DEP_1) | instskip(NEXT) | instid1(VALU_DEP_1)
	v_mov_b32_e32 v141, v133
	v_pk_add_f32 v[28:29], v[28:29], v[140:141] neg_lo:[0,1] neg_hi:[0,1]
	ds_load_2addr_b64 v[140:143], v135 offset0:48 offset1:49
	s_wait_dscnt 0x0
	v_pk_mul_f32 v[132:133], v[140:141], v[130:131] op_sel:[0,1]
	s_delay_alu instid0(VALU_DEP_1) | instskip(SKIP_1) | instid1(VALU_DEP_1)
	v_pk_fma_f32 v[144:145], v[140:141], v[128:129], v[132:133] op_sel:[0,0,1] op_sel_hi:[1,1,0] neg_lo:[0,0,1] neg_hi:[0,0,1]
	v_pk_fma_f32 v[132:133], v[140:141], v[128:129], v[132:133] op_sel:[0,0,1] op_sel_hi:[1,0,0]
	v_mov_b32_e32 v145, v133
	v_pk_mul_f32 v[132:133], v[142:143], v[130:131] op_sel:[0,1]
	s_delay_alu instid0(VALU_DEP_2) | instskip(NEXT) | instid1(VALU_DEP_2)
	v_pk_add_f32 v[26:27], v[26:27], v[144:145] neg_lo:[0,1] neg_hi:[0,1]
	v_pk_fma_f32 v[140:141], v[142:143], v[128:129], v[132:133] op_sel:[0,0,1] op_sel_hi:[1,1,0] neg_lo:[0,0,1] neg_hi:[0,0,1]
	v_pk_fma_f32 v[132:133], v[142:143], v[128:129], v[132:133] op_sel:[0,0,1] op_sel_hi:[1,0,0]
	s_delay_alu instid0(VALU_DEP_1) | instskip(NEXT) | instid1(VALU_DEP_1)
	v_mov_b32_e32 v141, v133
	v_pk_add_f32 v[22:23], v[22:23], v[140:141] neg_lo:[0,1] neg_hi:[0,1]
	ds_load_2addr_b64 v[140:143], v135 offset0:50 offset1:51
	s_wait_dscnt 0x0
	v_pk_mul_f32 v[132:133], v[140:141], v[130:131] op_sel:[0,1]
	s_delay_alu instid0(VALU_DEP_1) | instskip(SKIP_2) | instid1(VALU_DEP_2)
	v_pk_fma_f32 v[144:145], v[140:141], v[128:129], v[132:133] op_sel:[0,0,1] op_sel_hi:[1,1,0] neg_lo:[0,0,1] neg_hi:[0,0,1]
	v_pk_fma_f32 v[132:133], v[140:141], v[128:129], v[132:133] op_sel:[0,0,1] op_sel_hi:[1,0,0]
	v_dual_mul_f32 v140, v143, v131 :: v_dual_mov_b32 v132, v143
	v_dual_mov_b32 v145, v133 :: v_dual_mov_b32 v133, v142
	s_delay_alu instid0(VALU_DEP_2) | instskip(SKIP_1) | instid1(VALU_DEP_3)
	v_pk_fma_f32 v[140:141], v[142:143], v[110:111], v[140:141] op_sel_hi:[1,1,0] neg_lo:[0,0,1] neg_hi:[0,0,1]
	v_mul_f32_e32 v142, v143, v128
	v_pk_add_f32 v[24:25], v[24:25], v[144:145] neg_lo:[0,1] neg_hi:[0,1]
	s_delay_alu instid0(VALU_DEP_2) | instskip(NEXT) | instid1(VALU_DEP_1)
	v_pk_fma_f32 v[132:133], v[132:133], v[110:111], v[142:143] op_sel_hi:[1,1,0]
	v_mov_b32_e32 v141, v133
	s_delay_alu instid0(VALU_DEP_1) | instskip(SKIP_3) | instid1(VALU_DEP_1)
	v_pk_add_f32 v[44:45], v[44:45], v[140:141] neg_lo:[0,1] neg_hi:[0,1]
	ds_load_2addr_b64 v[140:143], v135 offset0:52 offset1:53
	s_wait_dscnt 0x0
	v_pk_mul_f32 v[132:133], v[140:141], v[130:131] op_sel:[0,1]
	v_pk_fma_f32 v[144:145], v[140:141], v[128:129], v[132:133] op_sel:[0,0,1] op_sel_hi:[1,1,0] neg_lo:[0,0,1] neg_hi:[0,0,1]
	v_pk_fma_f32 v[132:133], v[140:141], v[128:129], v[132:133] op_sel:[0,0,1] op_sel_hi:[1,0,0]
	s_delay_alu instid0(VALU_DEP_1) | instskip(SKIP_1) | instid1(VALU_DEP_1)
	v_mov_b32_e32 v145, v133
	v_pk_mul_f32 v[132:133], v[142:143], v[130:131] op_sel:[0,1]
	v_pk_fma_f32 v[140:141], v[142:143], v[128:129], v[132:133] op_sel:[0,0,1] op_sel_hi:[1,1,0] neg_lo:[0,0,1] neg_hi:[0,0,1]
	v_pk_fma_f32 v[132:133], v[142:143], v[128:129], v[132:133] op_sel:[0,0,1] op_sel_hi:[1,0,0]
	s_delay_alu instid0(VALU_DEP_1) | instskip(SKIP_1) | instid1(VALU_DEP_2)
	v_mov_b32_e32 v141, v133
	v_pk_add_f32 v[16:17], v[16:17], v[144:145] neg_lo:[0,1] neg_hi:[0,1]
	v_pk_add_f32 v[12:13], v[12:13], v[140:141] neg_lo:[0,1] neg_hi:[0,1]
	ds_load_2addr_b64 v[140:143], v135 offset0:54 offset1:55
	s_wait_dscnt 0x0
	v_pk_mul_f32 v[132:133], v[140:141], v[130:131] op_sel:[0,1]
	s_delay_alu instid0(VALU_DEP_1) | instskip(SKIP_1) | instid1(VALU_DEP_1)
	v_pk_fma_f32 v[144:145], v[140:141], v[128:129], v[132:133] op_sel:[0,0,1] op_sel_hi:[1,1,0] neg_lo:[0,0,1] neg_hi:[0,0,1]
	v_pk_fma_f32 v[132:133], v[140:141], v[128:129], v[132:133] op_sel:[0,0,1] op_sel_hi:[1,0,0]
	v_mov_b32_e32 v145, v133
	v_pk_mul_f32 v[132:133], v[142:143], v[130:131] op_sel:[0,1]
	s_delay_alu instid0(VALU_DEP_1) | instskip(SKIP_1) | instid1(VALU_DEP_1)
	v_pk_fma_f32 v[140:141], v[142:143], v[128:129], v[132:133] op_sel:[0,0,1] op_sel_hi:[1,1,0] neg_lo:[0,0,1] neg_hi:[0,0,1]
	v_pk_fma_f32 v[132:133], v[142:143], v[128:129], v[132:133] op_sel:[0,0,1] op_sel_hi:[1,0,0]
	v_mov_b32_e32 v141, v133
	v_pk_add_f32 v[14:15], v[14:15], v[144:145] neg_lo:[0,1] neg_hi:[0,1]
	s_delay_alu instid0(VALU_DEP_2) | instskip(SKIP_3) | instid1(VALU_DEP_1)
	v_pk_add_f32 v[10:11], v[10:11], v[140:141] neg_lo:[0,1] neg_hi:[0,1]
	ds_load_2addr_b64 v[140:143], v135 offset0:56 offset1:57
	s_wait_dscnt 0x0
	v_dual_mul_f32 v132, v141, v131 :: v_dual_mul_f32 v144, v141, v128
	v_pk_fma_f32 v[132:133], v[140:141], v[110:111], v[132:133] op_sel_hi:[1,1,0] neg_lo:[0,0,1] neg_hi:[0,0,1]
	s_delay_alu instid0(VALU_DEP_2) | instskip(NEXT) | instid1(VALU_DEP_1)
	v_pk_fma_f32 v[140:141], v[140:141], v[110:111], v[144:145] op_sel:[1,0,0] op_sel_hi:[0,1,0]
	v_mov_b32_e32 v133, v141
	s_delay_alu instid0(VALU_DEP_1) | instskip(SKIP_1) | instid1(VALU_DEP_1)
	v_pk_add_f32 v[6:7], v[6:7], v[132:133] neg_lo:[0,1] neg_hi:[0,1]
	v_pk_mul_f32 v[132:133], v[142:143], v[130:131] op_sel:[0,1]
	v_pk_fma_f32 v[140:141], v[142:143], v[128:129], v[132:133] op_sel:[0,0,1] op_sel_hi:[1,1,0] neg_lo:[0,0,1] neg_hi:[0,0,1]
	v_pk_fma_f32 v[132:133], v[142:143], v[128:129], v[132:133] op_sel:[0,0,1] op_sel_hi:[1,0,0]
	s_delay_alu instid0(VALU_DEP_1) | instskip(NEXT) | instid1(VALU_DEP_1)
	v_mov_b32_e32 v141, v133
	v_pk_add_f32 v[20:21], v[20:21], v[140:141] neg_lo:[0,1] neg_hi:[0,1]
	ds_load_2addr_b64 v[140:143], v135 offset0:58 offset1:59
	s_wait_dscnt 0x0
	v_pk_mul_f32 v[132:133], v[140:141], v[130:131] op_sel:[0,1]
	s_delay_alu instid0(VALU_DEP_1) | instskip(SKIP_1) | instid1(VALU_DEP_1)
	v_pk_fma_f32 v[144:145], v[140:141], v[128:129], v[132:133] op_sel:[0,0,1] op_sel_hi:[1,1,0] neg_lo:[0,0,1] neg_hi:[0,0,1]
	v_pk_fma_f32 v[132:133], v[140:141], v[128:129], v[132:133] op_sel:[0,0,1] op_sel_hi:[1,0,0]
	v_mov_b32_e32 v145, v133
	v_pk_mul_f32 v[132:133], v[142:143], v[130:131] op_sel:[0,1]
	s_delay_alu instid0(VALU_DEP_2) | instskip(NEXT) | instid1(VALU_DEP_2)
	v_pk_add_f32 v[18:19], v[18:19], v[144:145] neg_lo:[0,1] neg_hi:[0,1]
	v_pk_fma_f32 v[140:141], v[142:143], v[128:129], v[132:133] op_sel:[0,0,1] op_sel_hi:[1,1,0] neg_lo:[0,0,1] neg_hi:[0,0,1]
	v_pk_fma_f32 v[132:133], v[142:143], v[128:129], v[132:133] op_sel:[0,0,1] op_sel_hi:[1,0,0]
	s_delay_alu instid0(VALU_DEP_1) | instskip(SKIP_4) | instid1(VALU_DEP_1)
	v_mov_b32_e32 v141, v133
	ds_load_b64 v[132:133], v135 offset:480
	v_pk_add_f32 v[8:9], v[8:9], v[140:141] neg_lo:[0,1] neg_hi:[0,1]
	s_wait_dscnt 0x0
	v_pk_mul_f32 v[130:131], v[132:133], v[130:131] op_sel:[0,1]
	v_pk_fma_f32 v[140:141], v[132:133], v[128:129], v[130:131] op_sel:[0,0,1] op_sel_hi:[1,1,0] neg_lo:[0,0,1] neg_hi:[0,0,1]
	v_pk_fma_f32 v[128:129], v[132:133], v[128:129], v[130:131] op_sel:[0,0,1] op_sel_hi:[1,0,0]
	s_delay_alu instid0(VALU_DEP_1) | instskip(NEXT) | instid1(VALU_DEP_1)
	v_mov_b32_e32 v141, v129
	v_pk_add_f32 v[126:127], v[126:127], v[140:141] neg_lo:[0,1] neg_hi:[0,1]
.LBB120_167:
	s_or_b32 exec_lo, exec_lo, s0
	v_lshl_add_u32 v128, v138, 3, v135
	s_barrier_signal -1
	s_barrier_wait -1
	ds_store_b64 v128, v[108:109]
	s_wait_dscnt 0x0
	s_barrier_signal -1
	s_barrier_wait -1
	ds_load_b64 v[130:131], v135 offset:64
	v_mov_b32_e32 v128, 8
	s_cmp_lt_i32 s18, 10
	s_cbranch_scc1 .LBB120_170
; %bb.168:
	v_add3_u32 v129, v136, 0, 0x48
	v_mov_b32_e32 v128, 8
	s_mov_b32 s0, 9
.LBB120_169:                            ; =>This Inner Loop Header: Depth=1
	ds_load_b64 v[132:133], v129
	s_wait_dscnt 0x1
	v_cmp_gt_f32_e32 vcc_lo, 0, v130
	v_cndmask_b32_e64 v140, v130, -v130, vcc_lo
	v_cmp_gt_f32_e32 vcc_lo, 0, v131
	v_cndmask_b32_e64 v142, v131, -v131, vcc_lo
	s_wait_dscnt 0x0
	v_cmp_gt_f32_e32 vcc_lo, 0, v132
	v_cndmask_b32_e64 v141, v132, -v132, vcc_lo
	v_cmp_gt_f32_e32 vcc_lo, 0, v133
	v_cndmask_b32_e64 v143, v133, -v133, vcc_lo
	s_delay_alu instid0(VALU_DEP_1) | instskip(NEXT) | instid1(VALU_DEP_1)
	v_pk_add_f32 v[140:141], v[140:141], v[142:143]
	v_cmp_lt_f32_e32 vcc_lo, v140, v141
	v_dual_cndmask_b32 v130, v130, v132 :: v_dual_add_nc_u32 v129, 8, v129
	v_cndmask_b32_e32 v131, v131, v133, vcc_lo
	v_cndmask_b32_e64 v128, v128, s0, vcc_lo
	s_add_co_i32 s0, s0, 1
	s_delay_alu instid0(SALU_CYCLE_1)
	s_cmp_lg_u32 s18, s0
	s_cbranch_scc1 .LBB120_169
.LBB120_170:
	s_wait_dscnt 0x0
	v_cmp_eq_f32_e32 vcc_lo, 0, v130
	v_cmp_eq_f32_e64 s0, 0, v131
	s_and_b32 s0, vcc_lo, s0
	s_delay_alu instid0(SALU_CYCLE_1) | instskip(NEXT) | instid1(SALU_CYCLE_1)
	s_and_saveexec_b32 s1, s0
	s_xor_b32 s0, exec_lo, s1
; %bb.171:
	v_cmp_ne_u32_e32 vcc_lo, 0, v134
	v_cndmask_b32_e32 v134, 9, v134, vcc_lo
; %bb.172:
	s_and_not1_saveexec_b32 s0, s0
	s_cbranch_execz .LBB120_178
; %bb.173:
	v_cmp_ngt_f32_e64 s1, |v130|, |v131|
	s_and_saveexec_b32 s12, s1
	s_delay_alu instid0(SALU_CYCLE_1)
	s_xor_b32 s1, exec_lo, s12
	s_cbranch_execz .LBB120_175
; %bb.174:
	v_div_scale_f32 v129, null, v131, v131, v130
	v_div_scale_f32 v139, vcc_lo, v130, v131, v130
	s_delay_alu instid0(VALU_DEP_2) | instskip(SKIP_1) | instid1(TRANS32_DEP_1)
	v_rcp_f32_e32 v132, v129
	v_nop
	v_fma_f32 v133, -v129, v132, 1.0
	s_delay_alu instid0(VALU_DEP_1) | instskip(NEXT) | instid1(VALU_DEP_1)
	v_fmac_f32_e32 v132, v133, v132
	v_mul_f32_e32 v133, v139, v132
	s_delay_alu instid0(VALU_DEP_1) | instskip(NEXT) | instid1(VALU_DEP_1)
	v_fma_f32 v140, -v129, v133, v139
	v_fmac_f32_e32 v133, v140, v132
	s_delay_alu instid0(VALU_DEP_1) | instskip(NEXT) | instid1(VALU_DEP_1)
	v_fma_f32 v129, -v129, v133, v139
	v_div_fmas_f32 v129, v129, v132, v133
	s_delay_alu instid0(VALU_DEP_1) | instskip(NEXT) | instid1(VALU_DEP_1)
	v_div_fixup_f32 v129, v129, v131, v130
	v_fmac_f32_e32 v131, v130, v129
	s_delay_alu instid0(VALU_DEP_1) | instskip(SKIP_1) | instid1(VALU_DEP_2)
	v_div_scale_f32 v130, null, v131, v131, 1.0
	v_div_scale_f32 v139, vcc_lo, 1.0, v131, 1.0
	v_rcp_f32_e32 v132, v130
	v_nop
	s_delay_alu instid0(TRANS32_DEP_1) | instskip(NEXT) | instid1(VALU_DEP_1)
	v_fma_f32 v133, -v130, v132, 1.0
	v_fmac_f32_e32 v132, v133, v132
	s_delay_alu instid0(VALU_DEP_1) | instskip(NEXT) | instid1(VALU_DEP_1)
	v_mul_f32_e32 v133, v139, v132
	v_fma_f32 v140, -v130, v133, v139
	s_delay_alu instid0(VALU_DEP_1) | instskip(NEXT) | instid1(VALU_DEP_1)
	v_fmac_f32_e32 v133, v140, v132
	v_fma_f32 v130, -v130, v133, v139
	s_delay_alu instid0(VALU_DEP_1) | instskip(NEXT) | instid1(VALU_DEP_1)
	v_div_fmas_f32 v130, v130, v132, v133
	v_div_fixup_f32 v131, v130, v131, 1.0
	s_delay_alu instid0(VALU_DEP_1)
	v_mul_f32_e32 v130, v129, v131
	v_xor_b32_e32 v131, 0x80000000, v131
.LBB120_175:
	s_and_not1_saveexec_b32 s1, s1
	s_cbranch_execz .LBB120_177
; %bb.176:
	s_delay_alu instid0(VALU_DEP_1) | instskip(SKIP_1) | instid1(VALU_DEP_2)
	v_div_scale_f32 v129, null, v130, v130, v131
	v_div_scale_f32 v139, vcc_lo, v131, v130, v131
	v_rcp_f32_e32 v132, v129
	v_nop
	s_delay_alu instid0(TRANS32_DEP_1) | instskip(NEXT) | instid1(VALU_DEP_1)
	v_fma_f32 v133, -v129, v132, 1.0
	v_fmac_f32_e32 v132, v133, v132
	s_delay_alu instid0(VALU_DEP_1) | instskip(NEXT) | instid1(VALU_DEP_1)
	v_mul_f32_e32 v133, v139, v132
	v_fma_f32 v140, -v129, v133, v139
	s_delay_alu instid0(VALU_DEP_1) | instskip(NEXT) | instid1(VALU_DEP_1)
	v_fmac_f32_e32 v133, v140, v132
	v_fma_f32 v129, -v129, v133, v139
	s_delay_alu instid0(VALU_DEP_1) | instskip(NEXT) | instid1(VALU_DEP_1)
	v_div_fmas_f32 v129, v129, v132, v133
	v_div_fixup_f32 v129, v129, v130, v131
	s_delay_alu instid0(VALU_DEP_1) | instskip(NEXT) | instid1(VALU_DEP_1)
	v_fmac_f32_e32 v130, v131, v129
	v_div_scale_f32 v131, null, v130, v130, 1.0
	s_delay_alu instid0(VALU_DEP_1) | instskip(SKIP_1) | instid1(TRANS32_DEP_1)
	v_rcp_f32_e32 v132, v131
	v_nop
	v_fma_f32 v133, -v131, v132, 1.0
	s_delay_alu instid0(VALU_DEP_1) | instskip(SKIP_1) | instid1(VALU_DEP_1)
	v_fmac_f32_e32 v132, v133, v132
	v_div_scale_f32 v133, vcc_lo, 1.0, v130, 1.0
	v_mul_f32_e32 v139, v133, v132
	s_delay_alu instid0(VALU_DEP_1) | instskip(NEXT) | instid1(VALU_DEP_1)
	v_fma_f32 v140, -v131, v139, v133
	v_fmac_f32_e32 v139, v140, v132
	s_delay_alu instid0(VALU_DEP_1) | instskip(NEXT) | instid1(VALU_DEP_1)
	v_fma_f32 v131, -v131, v139, v133
	v_div_fmas_f32 v131, v131, v132, v139
	s_delay_alu instid0(VALU_DEP_1) | instskip(NEXT) | instid1(VALU_DEP_1)
	v_div_fixup_f32 v130, v131, v130, 1.0
	v_mul_f32_e64 v131, v129, -v130
.LBB120_177:
	s_or_b32 exec_lo, exec_lo, s1
.LBB120_178:
	s_delay_alu instid0(SALU_CYCLE_1) | instskip(NEXT) | instid1(SALU_CYCLE_1)
	s_or_b32 exec_lo, exec_lo, s0
	s_mov_b32 s0, exec_lo
	v_cmpx_ne_u32_e64 v138, v128
	s_xor_b32 s0, exec_lo, s0
	s_cbranch_execz .LBB120_184
; %bb.179:
	s_mov_b32 s1, exec_lo
	v_cmpx_eq_u32_e32 8, v138
	s_cbranch_execz .LBB120_183
; %bb.180:
	v_cmp_ne_u32_e32 vcc_lo, 8, v128
	s_xor_b32 s12, s16, -1
	s_delay_alu instid0(SALU_CYCLE_1) | instskip(NEXT) | instid1(SALU_CYCLE_1)
	s_and_b32 s13, s12, vcc_lo
	s_and_saveexec_b32 s12, s13
	s_cbranch_execz .LBB120_182
; %bb.181:
	v_ashrrev_i32_e32 v129, 31, v128
	s_delay_alu instid0(VALU_DEP_1)
	v_lshl_add_u64 v[132:133], v[128:129], 2, v[4:5]
	s_clause 0x1
	global_load_b32 v129, v[132:133], off
	global_load_b32 v137, v[4:5], off offset:32
	s_wait_loadcnt 0x1
	global_store_b32 v[4:5], v129, off offset:32
	s_wait_loadcnt 0x0
	global_store_b32 v[132:133], v137, off
.LBB120_182:
	s_wait_xcnt 0x0
	s_or_b32 exec_lo, exec_lo, s12
	v_dual_mov_b32 v138, v128 :: v_dual_mov_b32 v137, v128
.LBB120_183:
	s_or_b32 exec_lo, exec_lo, s1
.LBB120_184:
	s_and_not1_saveexec_b32 s0, s0
	s_cbranch_execz .LBB120_186
; %bb.185:
	v_mov_b32_e32 v138, 8
	ds_store_2addr_b64 v135, v[104:105], v[106:107] offset0:9 offset1:10
	ds_store_2addr_b64 v135, v[102:103], v[100:101] offset0:11 offset1:12
	;; [unrolled: 1-line block ×26, first 2 shown]
.LBB120_186:
	s_or_b32 exec_lo, exec_lo, s0
	s_delay_alu instid0(SALU_CYCLE_1)
	s_mov_b32 s0, exec_lo
	s_wait_storecnt_dscnt 0x0
	s_barrier_signal -1
	s_barrier_wait -1
	v_cmpx_lt_i32_e32 8, v138
	s_cbranch_execz .LBB120_188
; %bb.187:
	ds_load_2addr_b64 v[140:143], v135 offset0:9 offset1:10
	v_pk_mul_f32 v[132:133], v[130:131], v[108:109] op_sel:[1,1] op_sel_hi:[0,1]
	s_delay_alu instid0(VALU_DEP_1) | instskip(SKIP_1) | instid1(VALU_DEP_1)
	v_pk_fma_f32 v[128:129], v[130:131], v[108:109], v[132:133] op_sel_hi:[1,0,1] neg_lo:[0,0,1] neg_hi:[0,0,1]
	v_pk_fma_f32 v[130:131], v[130:131], v[108:109], v[132:133] op_sel_hi:[1,0,1]
	v_dual_mov_b32 v108, v128 :: v_dual_mov_b32 v109, v131
	s_wait_dscnt 0x0
	s_delay_alu instid0(VALU_DEP_2) | instskip(NEXT) | instid1(VALU_DEP_1)
	v_pk_mul_f32 v[132:133], v[140:141], v[130:131] op_sel:[0,1]
	v_pk_fma_f32 v[144:145], v[140:141], v[128:129], v[132:133] op_sel:[0,0,1] op_sel_hi:[1,1,0] neg_lo:[0,0,1] neg_hi:[0,0,1]
	v_pk_fma_f32 v[132:133], v[140:141], v[128:129], v[132:133] op_sel:[0,0,1] op_sel_hi:[1,0,0]
	s_delay_alu instid0(VALU_DEP_1) | instskip(SKIP_1) | instid1(VALU_DEP_1)
	v_mov_b32_e32 v145, v133
	v_pk_mul_f32 v[132:133], v[142:143], v[130:131] op_sel:[0,1]
	v_pk_fma_f32 v[140:141], v[142:143], v[128:129], v[132:133] op_sel:[0,0,1] op_sel_hi:[1,1,0] neg_lo:[0,0,1] neg_hi:[0,0,1]
	v_pk_fma_f32 v[132:133], v[142:143], v[128:129], v[132:133] op_sel:[0,0,1] op_sel_hi:[1,0,0]
	s_delay_alu instid0(VALU_DEP_1) | instskip(SKIP_1) | instid1(VALU_DEP_2)
	v_mov_b32_e32 v141, v133
	v_pk_add_f32 v[104:105], v[104:105], v[144:145] neg_lo:[0,1] neg_hi:[0,1]
	v_pk_add_f32 v[106:107], v[106:107], v[140:141] neg_lo:[0,1] neg_hi:[0,1]
	ds_load_2addr_b64 v[140:143], v135 offset0:11 offset1:12
	s_wait_dscnt 0x0
	v_pk_mul_f32 v[132:133], v[140:141], v[130:131] op_sel:[0,1]
	s_delay_alu instid0(VALU_DEP_1) | instskip(SKIP_2) | instid1(VALU_DEP_2)
	v_pk_fma_f32 v[144:145], v[140:141], v[128:129], v[132:133] op_sel:[0,0,1] op_sel_hi:[1,1,0] neg_lo:[0,0,1] neg_hi:[0,0,1]
	v_pk_fma_f32 v[132:133], v[140:141], v[128:129], v[132:133] op_sel:[0,0,1] op_sel_hi:[1,0,0]
	v_dual_mul_f32 v140, v143, v131 :: v_dual_mov_b32 v132, v143
	v_dual_mov_b32 v145, v133 :: v_dual_mov_b32 v133, v142
	s_delay_alu instid0(VALU_DEP_2) | instskip(SKIP_1) | instid1(VALU_DEP_3)
	v_pk_fma_f32 v[140:141], v[142:143], v[108:109], v[140:141] op_sel_hi:[1,1,0] neg_lo:[0,0,1] neg_hi:[0,0,1]
	v_mul_f32_e32 v142, v143, v128
	v_pk_add_f32 v[102:103], v[102:103], v[144:145] neg_lo:[0,1] neg_hi:[0,1]
	s_delay_alu instid0(VALU_DEP_2) | instskip(NEXT) | instid1(VALU_DEP_1)
	v_pk_fma_f32 v[132:133], v[132:133], v[108:109], v[142:143] op_sel_hi:[1,1,0]
	v_mov_b32_e32 v141, v133
	s_delay_alu instid0(VALU_DEP_1) | instskip(SKIP_3) | instid1(VALU_DEP_1)
	v_pk_add_f32 v[100:101], v[100:101], v[140:141] neg_lo:[0,1] neg_hi:[0,1]
	ds_load_2addr_b64 v[140:143], v135 offset0:13 offset1:14
	s_wait_dscnt 0x0
	v_pk_mul_f32 v[132:133], v[140:141], v[130:131] op_sel:[0,1]
	v_pk_fma_f32 v[144:145], v[140:141], v[128:129], v[132:133] op_sel:[0,0,1] op_sel_hi:[1,1,0] neg_lo:[0,0,1] neg_hi:[0,0,1]
	v_pk_fma_f32 v[132:133], v[140:141], v[128:129], v[132:133] op_sel:[0,0,1] op_sel_hi:[1,0,0]
	s_delay_alu instid0(VALU_DEP_1) | instskip(SKIP_1) | instid1(VALU_DEP_1)
	v_mov_b32_e32 v145, v133
	v_pk_mul_f32 v[132:133], v[142:143], v[130:131] op_sel:[0,1]
	v_pk_fma_f32 v[140:141], v[142:143], v[128:129], v[132:133] op_sel:[0,0,1] op_sel_hi:[1,1,0] neg_lo:[0,0,1] neg_hi:[0,0,1]
	v_pk_fma_f32 v[132:133], v[142:143], v[128:129], v[132:133] op_sel:[0,0,1] op_sel_hi:[1,0,0]
	s_delay_alu instid0(VALU_DEP_1) | instskip(SKIP_1) | instid1(VALU_DEP_2)
	v_mov_b32_e32 v141, v133
	v_pk_add_f32 v[96:97], v[96:97], v[144:145] neg_lo:[0,1] neg_hi:[0,1]
	v_pk_add_f32 v[98:99], v[98:99], v[140:141] neg_lo:[0,1] neg_hi:[0,1]
	ds_load_2addr_b64 v[140:143], v135 offset0:15 offset1:16
	s_wait_dscnt 0x0
	v_pk_mul_f32 v[132:133], v[140:141], v[130:131] op_sel:[0,1]
	s_delay_alu instid0(VALU_DEP_1) | instskip(SKIP_1) | instid1(VALU_DEP_1)
	v_pk_fma_f32 v[144:145], v[140:141], v[128:129], v[132:133] op_sel:[0,0,1] op_sel_hi:[1,1,0] neg_lo:[0,0,1] neg_hi:[0,0,1]
	v_pk_fma_f32 v[132:133], v[140:141], v[128:129], v[132:133] op_sel:[0,0,1] op_sel_hi:[1,0,0]
	v_mov_b32_e32 v145, v133
	v_pk_mul_f32 v[132:133], v[142:143], v[130:131] op_sel:[0,1]
	s_delay_alu instid0(VALU_DEP_1) | instskip(SKIP_1) | instid1(VALU_DEP_1)
	v_pk_fma_f32 v[140:141], v[142:143], v[128:129], v[132:133] op_sel:[0,0,1] op_sel_hi:[1,1,0] neg_lo:[0,0,1] neg_hi:[0,0,1]
	v_pk_fma_f32 v[132:133], v[142:143], v[128:129], v[132:133] op_sel:[0,0,1] op_sel_hi:[1,0,0]
	v_mov_b32_e32 v141, v133
	v_pk_add_f32 v[94:95], v[94:95], v[144:145] neg_lo:[0,1] neg_hi:[0,1]
	s_delay_alu instid0(VALU_DEP_2) | instskip(SKIP_3) | instid1(VALU_DEP_1)
	v_pk_add_f32 v[92:93], v[92:93], v[140:141] neg_lo:[0,1] neg_hi:[0,1]
	ds_load_2addr_b64 v[140:143], v135 offset0:17 offset1:18
	s_wait_dscnt 0x0
	v_dual_mul_f32 v132, v141, v131 :: v_dual_mul_f32 v144, v141, v128
	v_pk_fma_f32 v[132:133], v[140:141], v[108:109], v[132:133] op_sel_hi:[1,1,0] neg_lo:[0,0,1] neg_hi:[0,0,1]
	s_delay_alu instid0(VALU_DEP_2) | instskip(NEXT) | instid1(VALU_DEP_1)
	v_pk_fma_f32 v[140:141], v[140:141], v[108:109], v[144:145] op_sel:[1,0,0] op_sel_hi:[0,1,0]
	v_mov_b32_e32 v133, v141
	s_delay_alu instid0(VALU_DEP_1) | instskip(SKIP_1) | instid1(VALU_DEP_1)
	v_pk_add_f32 v[88:89], v[88:89], v[132:133] neg_lo:[0,1] neg_hi:[0,1]
	v_pk_mul_f32 v[132:133], v[142:143], v[130:131] op_sel:[0,1]
	v_pk_fma_f32 v[140:141], v[142:143], v[128:129], v[132:133] op_sel:[0,0,1] op_sel_hi:[1,1,0] neg_lo:[0,0,1] neg_hi:[0,0,1]
	v_pk_fma_f32 v[132:133], v[142:143], v[128:129], v[132:133] op_sel:[0,0,1] op_sel_hi:[1,0,0]
	s_delay_alu instid0(VALU_DEP_1) | instskip(NEXT) | instid1(VALU_DEP_1)
	v_mov_b32_e32 v141, v133
	v_pk_add_f32 v[90:91], v[90:91], v[140:141] neg_lo:[0,1] neg_hi:[0,1]
	ds_load_2addr_b64 v[140:143], v135 offset0:19 offset1:20
	s_wait_dscnt 0x0
	v_pk_mul_f32 v[132:133], v[140:141], v[130:131] op_sel:[0,1]
	s_delay_alu instid0(VALU_DEP_1) | instskip(SKIP_1) | instid1(VALU_DEP_1)
	v_pk_fma_f32 v[144:145], v[140:141], v[128:129], v[132:133] op_sel:[0,0,1] op_sel_hi:[1,1,0] neg_lo:[0,0,1] neg_hi:[0,0,1]
	v_pk_fma_f32 v[132:133], v[140:141], v[128:129], v[132:133] op_sel:[0,0,1] op_sel_hi:[1,0,0]
	v_mov_b32_e32 v145, v133
	v_pk_mul_f32 v[132:133], v[142:143], v[130:131] op_sel:[0,1]
	s_delay_alu instid0(VALU_DEP_2) | instskip(NEXT) | instid1(VALU_DEP_2)
	v_pk_add_f32 v[86:87], v[86:87], v[144:145] neg_lo:[0,1] neg_hi:[0,1]
	v_pk_fma_f32 v[140:141], v[142:143], v[128:129], v[132:133] op_sel:[0,0,1] op_sel_hi:[1,1,0] neg_lo:[0,0,1] neg_hi:[0,0,1]
	v_pk_fma_f32 v[132:133], v[142:143], v[128:129], v[132:133] op_sel:[0,0,1] op_sel_hi:[1,0,0]
	s_delay_alu instid0(VALU_DEP_1) | instskip(NEXT) | instid1(VALU_DEP_1)
	v_mov_b32_e32 v141, v133
	v_pk_add_f32 v[84:85], v[84:85], v[140:141] neg_lo:[0,1] neg_hi:[0,1]
	ds_load_2addr_b64 v[140:143], v135 offset0:21 offset1:22
	s_wait_dscnt 0x0
	v_pk_mul_f32 v[132:133], v[140:141], v[130:131] op_sel:[0,1]
	s_delay_alu instid0(VALU_DEP_1) | instskip(SKIP_2) | instid1(VALU_DEP_2)
	v_pk_fma_f32 v[144:145], v[140:141], v[128:129], v[132:133] op_sel:[0,0,1] op_sel_hi:[1,1,0] neg_lo:[0,0,1] neg_hi:[0,0,1]
	v_pk_fma_f32 v[132:133], v[140:141], v[128:129], v[132:133] op_sel:[0,0,1] op_sel_hi:[1,0,0]
	v_dual_mul_f32 v140, v143, v131 :: v_dual_mov_b32 v132, v143
	v_dual_mov_b32 v145, v133 :: v_dual_mov_b32 v133, v142
	s_delay_alu instid0(VALU_DEP_2) | instskip(SKIP_1) | instid1(VALU_DEP_3)
	v_pk_fma_f32 v[140:141], v[142:143], v[108:109], v[140:141] op_sel_hi:[1,1,0] neg_lo:[0,0,1] neg_hi:[0,0,1]
	v_mul_f32_e32 v142, v143, v128
	v_pk_add_f32 v[80:81], v[80:81], v[144:145] neg_lo:[0,1] neg_hi:[0,1]
	s_delay_alu instid0(VALU_DEP_2) | instskip(NEXT) | instid1(VALU_DEP_1)
	v_pk_fma_f32 v[132:133], v[132:133], v[108:109], v[142:143] op_sel_hi:[1,1,0]
	v_mov_b32_e32 v141, v133
	s_delay_alu instid0(VALU_DEP_1) | instskip(SKIP_3) | instid1(VALU_DEP_1)
	v_pk_add_f32 v[82:83], v[82:83], v[140:141] neg_lo:[0,1] neg_hi:[0,1]
	ds_load_2addr_b64 v[140:143], v135 offset0:23 offset1:24
	s_wait_dscnt 0x0
	v_pk_mul_f32 v[132:133], v[140:141], v[130:131] op_sel:[0,1]
	v_pk_fma_f32 v[144:145], v[140:141], v[128:129], v[132:133] op_sel:[0,0,1] op_sel_hi:[1,1,0] neg_lo:[0,0,1] neg_hi:[0,0,1]
	v_pk_fma_f32 v[132:133], v[140:141], v[128:129], v[132:133] op_sel:[0,0,1] op_sel_hi:[1,0,0]
	s_delay_alu instid0(VALU_DEP_1) | instskip(SKIP_1) | instid1(VALU_DEP_1)
	v_mov_b32_e32 v145, v133
	v_pk_mul_f32 v[132:133], v[142:143], v[130:131] op_sel:[0,1]
	v_pk_fma_f32 v[140:141], v[142:143], v[128:129], v[132:133] op_sel:[0,0,1] op_sel_hi:[1,1,0] neg_lo:[0,0,1] neg_hi:[0,0,1]
	v_pk_fma_f32 v[132:133], v[142:143], v[128:129], v[132:133] op_sel:[0,0,1] op_sel_hi:[1,0,0]
	s_delay_alu instid0(VALU_DEP_1) | instskip(SKIP_1) | instid1(VALU_DEP_2)
	v_mov_b32_e32 v141, v133
	v_pk_add_f32 v[78:79], v[78:79], v[144:145] neg_lo:[0,1] neg_hi:[0,1]
	v_pk_add_f32 v[76:77], v[76:77], v[140:141] neg_lo:[0,1] neg_hi:[0,1]
	ds_load_2addr_b64 v[140:143], v135 offset0:25 offset1:26
	s_wait_dscnt 0x0
	v_pk_mul_f32 v[132:133], v[140:141], v[130:131] op_sel:[0,1]
	s_delay_alu instid0(VALU_DEP_1) | instskip(SKIP_1) | instid1(VALU_DEP_1)
	v_pk_fma_f32 v[144:145], v[140:141], v[128:129], v[132:133] op_sel:[0,0,1] op_sel_hi:[1,1,0] neg_lo:[0,0,1] neg_hi:[0,0,1]
	v_pk_fma_f32 v[132:133], v[140:141], v[128:129], v[132:133] op_sel:[0,0,1] op_sel_hi:[1,0,0]
	v_mov_b32_e32 v145, v133
	v_pk_mul_f32 v[132:133], v[142:143], v[130:131] op_sel:[0,1]
	s_delay_alu instid0(VALU_DEP_1) | instskip(SKIP_1) | instid1(VALU_DEP_1)
	v_pk_fma_f32 v[140:141], v[142:143], v[128:129], v[132:133] op_sel:[0,0,1] op_sel_hi:[1,1,0] neg_lo:[0,0,1] neg_hi:[0,0,1]
	v_pk_fma_f32 v[132:133], v[142:143], v[128:129], v[132:133] op_sel:[0,0,1] op_sel_hi:[1,0,0]
	v_mov_b32_e32 v141, v133
	v_pk_add_f32 v[72:73], v[72:73], v[144:145] neg_lo:[0,1] neg_hi:[0,1]
	s_delay_alu instid0(VALU_DEP_2) | instskip(SKIP_3) | instid1(VALU_DEP_1)
	v_pk_add_f32 v[74:75], v[74:75], v[140:141] neg_lo:[0,1] neg_hi:[0,1]
	ds_load_2addr_b64 v[140:143], v135 offset0:27 offset1:28
	s_wait_dscnt 0x0
	v_dual_mul_f32 v132, v141, v131 :: v_dual_mul_f32 v144, v141, v128
	v_pk_fma_f32 v[132:133], v[140:141], v[108:109], v[132:133] op_sel_hi:[1,1,0] neg_lo:[0,0,1] neg_hi:[0,0,1]
	s_delay_alu instid0(VALU_DEP_2) | instskip(NEXT) | instid1(VALU_DEP_1)
	v_pk_fma_f32 v[140:141], v[140:141], v[108:109], v[144:145] op_sel:[1,0,0] op_sel_hi:[0,1,0]
	v_mov_b32_e32 v133, v141
	s_delay_alu instid0(VALU_DEP_1) | instskip(SKIP_1) | instid1(VALU_DEP_1)
	v_pk_add_f32 v[70:71], v[70:71], v[132:133] neg_lo:[0,1] neg_hi:[0,1]
	v_pk_mul_f32 v[132:133], v[142:143], v[130:131] op_sel:[0,1]
	v_pk_fma_f32 v[140:141], v[142:143], v[128:129], v[132:133] op_sel:[0,0,1] op_sel_hi:[1,1,0] neg_lo:[0,0,1] neg_hi:[0,0,1]
	v_pk_fma_f32 v[132:133], v[142:143], v[128:129], v[132:133] op_sel:[0,0,1] op_sel_hi:[1,0,0]
	s_delay_alu instid0(VALU_DEP_1) | instskip(NEXT) | instid1(VALU_DEP_1)
	v_mov_b32_e32 v141, v133
	v_pk_add_f32 v[68:69], v[68:69], v[140:141] neg_lo:[0,1] neg_hi:[0,1]
	ds_load_2addr_b64 v[140:143], v135 offset0:29 offset1:30
	s_wait_dscnt 0x0
	v_pk_mul_f32 v[132:133], v[140:141], v[130:131] op_sel:[0,1]
	s_delay_alu instid0(VALU_DEP_1) | instskip(SKIP_1) | instid1(VALU_DEP_1)
	v_pk_fma_f32 v[144:145], v[140:141], v[128:129], v[132:133] op_sel:[0,0,1] op_sel_hi:[1,1,0] neg_lo:[0,0,1] neg_hi:[0,0,1]
	v_pk_fma_f32 v[132:133], v[140:141], v[128:129], v[132:133] op_sel:[0,0,1] op_sel_hi:[1,0,0]
	v_mov_b32_e32 v145, v133
	v_pk_mul_f32 v[132:133], v[142:143], v[130:131] op_sel:[0,1]
	s_delay_alu instid0(VALU_DEP_2) | instskip(NEXT) | instid1(VALU_DEP_2)
	v_pk_add_f32 v[64:65], v[64:65], v[144:145] neg_lo:[0,1] neg_hi:[0,1]
	v_pk_fma_f32 v[140:141], v[142:143], v[128:129], v[132:133] op_sel:[0,0,1] op_sel_hi:[1,1,0] neg_lo:[0,0,1] neg_hi:[0,0,1]
	v_pk_fma_f32 v[132:133], v[142:143], v[128:129], v[132:133] op_sel:[0,0,1] op_sel_hi:[1,0,0]
	s_delay_alu instid0(VALU_DEP_1) | instskip(NEXT) | instid1(VALU_DEP_1)
	v_mov_b32_e32 v141, v133
	v_pk_add_f32 v[66:67], v[66:67], v[140:141] neg_lo:[0,1] neg_hi:[0,1]
	ds_load_2addr_b64 v[140:143], v135 offset0:31 offset1:32
	s_wait_dscnt 0x0
	v_pk_mul_f32 v[132:133], v[140:141], v[130:131] op_sel:[0,1]
	s_delay_alu instid0(VALU_DEP_1) | instskip(SKIP_2) | instid1(VALU_DEP_2)
	v_pk_fma_f32 v[144:145], v[140:141], v[128:129], v[132:133] op_sel:[0,0,1] op_sel_hi:[1,1,0] neg_lo:[0,0,1] neg_hi:[0,0,1]
	v_pk_fma_f32 v[132:133], v[140:141], v[128:129], v[132:133] op_sel:[0,0,1] op_sel_hi:[1,0,0]
	v_dual_mul_f32 v140, v143, v131 :: v_dual_mov_b32 v132, v143
	v_dual_mov_b32 v145, v133 :: v_dual_mov_b32 v133, v142
	s_delay_alu instid0(VALU_DEP_2) | instskip(SKIP_1) | instid1(VALU_DEP_3)
	v_pk_fma_f32 v[140:141], v[142:143], v[108:109], v[140:141] op_sel_hi:[1,1,0] neg_lo:[0,0,1] neg_hi:[0,0,1]
	v_mul_f32_e32 v142, v143, v128
	v_pk_add_f32 v[62:63], v[62:63], v[144:145] neg_lo:[0,1] neg_hi:[0,1]
	s_delay_alu instid0(VALU_DEP_2) | instskip(NEXT) | instid1(VALU_DEP_1)
	v_pk_fma_f32 v[132:133], v[132:133], v[108:109], v[142:143] op_sel_hi:[1,1,0]
	v_mov_b32_e32 v141, v133
	s_delay_alu instid0(VALU_DEP_1) | instskip(SKIP_3) | instid1(VALU_DEP_1)
	v_pk_add_f32 v[60:61], v[60:61], v[140:141] neg_lo:[0,1] neg_hi:[0,1]
	ds_load_2addr_b64 v[140:143], v135 offset0:33 offset1:34
	s_wait_dscnt 0x0
	v_pk_mul_f32 v[132:133], v[140:141], v[130:131] op_sel:[0,1]
	v_pk_fma_f32 v[144:145], v[140:141], v[128:129], v[132:133] op_sel:[0,0,1] op_sel_hi:[1,1,0] neg_lo:[0,0,1] neg_hi:[0,0,1]
	v_pk_fma_f32 v[132:133], v[140:141], v[128:129], v[132:133] op_sel:[0,0,1] op_sel_hi:[1,0,0]
	s_delay_alu instid0(VALU_DEP_1) | instskip(SKIP_1) | instid1(VALU_DEP_1)
	v_mov_b32_e32 v145, v133
	v_pk_mul_f32 v[132:133], v[142:143], v[130:131] op_sel:[0,1]
	v_pk_fma_f32 v[140:141], v[142:143], v[128:129], v[132:133] op_sel:[0,0,1] op_sel_hi:[1,1,0] neg_lo:[0,0,1] neg_hi:[0,0,1]
	v_pk_fma_f32 v[132:133], v[142:143], v[128:129], v[132:133] op_sel:[0,0,1] op_sel_hi:[1,0,0]
	s_delay_alu instid0(VALU_DEP_1) | instskip(SKIP_1) | instid1(VALU_DEP_2)
	v_mov_b32_e32 v141, v133
	v_pk_add_f32 v[56:57], v[56:57], v[144:145] neg_lo:[0,1] neg_hi:[0,1]
	v_pk_add_f32 v[58:59], v[58:59], v[140:141] neg_lo:[0,1] neg_hi:[0,1]
	ds_load_2addr_b64 v[140:143], v135 offset0:35 offset1:36
	s_wait_dscnt 0x0
	v_pk_mul_f32 v[132:133], v[140:141], v[130:131] op_sel:[0,1]
	s_delay_alu instid0(VALU_DEP_1) | instskip(SKIP_1) | instid1(VALU_DEP_1)
	v_pk_fma_f32 v[144:145], v[140:141], v[128:129], v[132:133] op_sel:[0,0,1] op_sel_hi:[1,1,0] neg_lo:[0,0,1] neg_hi:[0,0,1]
	v_pk_fma_f32 v[132:133], v[140:141], v[128:129], v[132:133] op_sel:[0,0,1] op_sel_hi:[1,0,0]
	v_mov_b32_e32 v145, v133
	v_pk_mul_f32 v[132:133], v[142:143], v[130:131] op_sel:[0,1]
	s_delay_alu instid0(VALU_DEP_1) | instskip(SKIP_1) | instid1(VALU_DEP_1)
	v_pk_fma_f32 v[140:141], v[142:143], v[128:129], v[132:133] op_sel:[0,0,1] op_sel_hi:[1,1,0] neg_lo:[0,0,1] neg_hi:[0,0,1]
	v_pk_fma_f32 v[132:133], v[142:143], v[128:129], v[132:133] op_sel:[0,0,1] op_sel_hi:[1,0,0]
	v_mov_b32_e32 v141, v133
	v_pk_add_f32 v[54:55], v[54:55], v[144:145] neg_lo:[0,1] neg_hi:[0,1]
	s_delay_alu instid0(VALU_DEP_2) | instskip(SKIP_3) | instid1(VALU_DEP_1)
	v_pk_add_f32 v[52:53], v[52:53], v[140:141] neg_lo:[0,1] neg_hi:[0,1]
	ds_load_2addr_b64 v[140:143], v135 offset0:37 offset1:38
	s_wait_dscnt 0x0
	v_dual_mul_f32 v132, v141, v131 :: v_dual_mul_f32 v144, v141, v128
	v_pk_fma_f32 v[132:133], v[140:141], v[108:109], v[132:133] op_sel_hi:[1,1,0] neg_lo:[0,0,1] neg_hi:[0,0,1]
	s_delay_alu instid0(VALU_DEP_2) | instskip(NEXT) | instid1(VALU_DEP_1)
	v_pk_fma_f32 v[140:141], v[140:141], v[108:109], v[144:145] op_sel:[1,0,0] op_sel_hi:[0,1,0]
	v_mov_b32_e32 v133, v141
	s_delay_alu instid0(VALU_DEP_1) | instskip(SKIP_1) | instid1(VALU_DEP_1)
	v_pk_add_f32 v[48:49], v[48:49], v[132:133] neg_lo:[0,1] neg_hi:[0,1]
	v_pk_mul_f32 v[132:133], v[142:143], v[130:131] op_sel:[0,1]
	v_pk_fma_f32 v[140:141], v[142:143], v[128:129], v[132:133] op_sel:[0,0,1] op_sel_hi:[1,1,0] neg_lo:[0,0,1] neg_hi:[0,0,1]
	v_pk_fma_f32 v[132:133], v[142:143], v[128:129], v[132:133] op_sel:[0,0,1] op_sel_hi:[1,0,0]
	s_delay_alu instid0(VALU_DEP_1) | instskip(NEXT) | instid1(VALU_DEP_1)
	v_mov_b32_e32 v141, v133
	v_pk_add_f32 v[50:51], v[50:51], v[140:141] neg_lo:[0,1] neg_hi:[0,1]
	ds_load_2addr_b64 v[140:143], v135 offset0:39 offset1:40
	s_wait_dscnt 0x0
	v_pk_mul_f32 v[132:133], v[140:141], v[130:131] op_sel:[0,1]
	s_delay_alu instid0(VALU_DEP_1) | instskip(SKIP_1) | instid1(VALU_DEP_1)
	v_pk_fma_f32 v[144:145], v[140:141], v[128:129], v[132:133] op_sel:[0,0,1] op_sel_hi:[1,1,0] neg_lo:[0,0,1] neg_hi:[0,0,1]
	v_pk_fma_f32 v[132:133], v[140:141], v[128:129], v[132:133] op_sel:[0,0,1] op_sel_hi:[1,0,0]
	v_mov_b32_e32 v145, v133
	v_pk_mul_f32 v[132:133], v[142:143], v[130:131] op_sel:[0,1]
	s_delay_alu instid0(VALU_DEP_2) | instskip(NEXT) | instid1(VALU_DEP_2)
	v_pk_add_f32 v[46:47], v[46:47], v[144:145] neg_lo:[0,1] neg_hi:[0,1]
	v_pk_fma_f32 v[140:141], v[142:143], v[128:129], v[132:133] op_sel:[0,0,1] op_sel_hi:[1,1,0] neg_lo:[0,0,1] neg_hi:[0,0,1]
	v_pk_fma_f32 v[132:133], v[142:143], v[128:129], v[132:133] op_sel:[0,0,1] op_sel_hi:[1,0,0]
	s_delay_alu instid0(VALU_DEP_1) | instskip(NEXT) | instid1(VALU_DEP_1)
	v_mov_b32_e32 v141, v133
	v_pk_add_f32 v[42:43], v[42:43], v[140:141] neg_lo:[0,1] neg_hi:[0,1]
	ds_load_2addr_b64 v[140:143], v135 offset0:41 offset1:42
	s_wait_dscnt 0x0
	v_pk_mul_f32 v[132:133], v[140:141], v[130:131] op_sel:[0,1]
	s_delay_alu instid0(VALU_DEP_1) | instskip(SKIP_2) | instid1(VALU_DEP_2)
	v_pk_fma_f32 v[144:145], v[140:141], v[128:129], v[132:133] op_sel:[0,0,1] op_sel_hi:[1,1,0] neg_lo:[0,0,1] neg_hi:[0,0,1]
	v_pk_fma_f32 v[132:133], v[140:141], v[128:129], v[132:133] op_sel:[0,0,1] op_sel_hi:[1,0,0]
	v_dual_mul_f32 v140, v143, v131 :: v_dual_mov_b32 v132, v143
	v_dual_mov_b32 v145, v133 :: v_dual_mov_b32 v133, v142
	s_delay_alu instid0(VALU_DEP_2) | instskip(SKIP_1) | instid1(VALU_DEP_3)
	v_pk_fma_f32 v[140:141], v[142:143], v[108:109], v[140:141] op_sel_hi:[1,1,0] neg_lo:[0,0,1] neg_hi:[0,0,1]
	v_mul_f32_e32 v142, v143, v128
	v_pk_add_f32 v[38:39], v[38:39], v[144:145] neg_lo:[0,1] neg_hi:[0,1]
	s_delay_alu instid0(VALU_DEP_2) | instskip(NEXT) | instid1(VALU_DEP_1)
	v_pk_fma_f32 v[132:133], v[132:133], v[108:109], v[142:143] op_sel_hi:[1,1,0]
	v_mov_b32_e32 v141, v133
	s_delay_alu instid0(VALU_DEP_1) | instskip(SKIP_3) | instid1(VALU_DEP_1)
	v_pk_add_f32 v[40:41], v[40:41], v[140:141] neg_lo:[0,1] neg_hi:[0,1]
	ds_load_2addr_b64 v[140:143], v135 offset0:43 offset1:44
	s_wait_dscnt 0x0
	v_pk_mul_f32 v[132:133], v[140:141], v[130:131] op_sel:[0,1]
	v_pk_fma_f32 v[144:145], v[140:141], v[128:129], v[132:133] op_sel:[0,0,1] op_sel_hi:[1,1,0] neg_lo:[0,0,1] neg_hi:[0,0,1]
	v_pk_fma_f32 v[132:133], v[140:141], v[128:129], v[132:133] op_sel:[0,0,1] op_sel_hi:[1,0,0]
	s_delay_alu instid0(VALU_DEP_1) | instskip(SKIP_1) | instid1(VALU_DEP_1)
	v_mov_b32_e32 v145, v133
	v_pk_mul_f32 v[132:133], v[142:143], v[130:131] op_sel:[0,1]
	v_pk_fma_f32 v[140:141], v[142:143], v[128:129], v[132:133] op_sel:[0,0,1] op_sel_hi:[1,1,0] neg_lo:[0,0,1] neg_hi:[0,0,1]
	v_pk_fma_f32 v[132:133], v[142:143], v[128:129], v[132:133] op_sel:[0,0,1] op_sel_hi:[1,0,0]
	s_delay_alu instid0(VALU_DEP_1) | instskip(SKIP_1) | instid1(VALU_DEP_2)
	v_mov_b32_e32 v141, v133
	v_pk_add_f32 v[36:37], v[36:37], v[144:145] neg_lo:[0,1] neg_hi:[0,1]
	v_pk_add_f32 v[34:35], v[34:35], v[140:141] neg_lo:[0,1] neg_hi:[0,1]
	ds_load_2addr_b64 v[140:143], v135 offset0:45 offset1:46
	s_wait_dscnt 0x0
	v_pk_mul_f32 v[132:133], v[140:141], v[130:131] op_sel:[0,1]
	s_delay_alu instid0(VALU_DEP_1) | instskip(SKIP_1) | instid1(VALU_DEP_1)
	v_pk_fma_f32 v[144:145], v[140:141], v[128:129], v[132:133] op_sel:[0,0,1] op_sel_hi:[1,1,0] neg_lo:[0,0,1] neg_hi:[0,0,1]
	v_pk_fma_f32 v[132:133], v[140:141], v[128:129], v[132:133] op_sel:[0,0,1] op_sel_hi:[1,0,0]
	v_mov_b32_e32 v145, v133
	v_pk_mul_f32 v[132:133], v[142:143], v[130:131] op_sel:[0,1]
	s_delay_alu instid0(VALU_DEP_1) | instskip(SKIP_1) | instid1(VALU_DEP_1)
	v_pk_fma_f32 v[140:141], v[142:143], v[128:129], v[132:133] op_sel:[0,0,1] op_sel_hi:[1,1,0] neg_lo:[0,0,1] neg_hi:[0,0,1]
	v_pk_fma_f32 v[132:133], v[142:143], v[128:129], v[132:133] op_sel:[0,0,1] op_sel_hi:[1,0,0]
	v_mov_b32_e32 v141, v133
	v_pk_add_f32 v[30:31], v[30:31], v[144:145] neg_lo:[0,1] neg_hi:[0,1]
	s_delay_alu instid0(VALU_DEP_2) | instskip(SKIP_3) | instid1(VALU_DEP_1)
	v_pk_add_f32 v[32:33], v[32:33], v[140:141] neg_lo:[0,1] neg_hi:[0,1]
	ds_load_2addr_b64 v[140:143], v135 offset0:47 offset1:48
	s_wait_dscnt 0x0
	v_dual_mul_f32 v132, v141, v131 :: v_dual_mul_f32 v144, v141, v128
	v_pk_fma_f32 v[132:133], v[140:141], v[108:109], v[132:133] op_sel_hi:[1,1,0] neg_lo:[0,0,1] neg_hi:[0,0,1]
	s_delay_alu instid0(VALU_DEP_2) | instskip(NEXT) | instid1(VALU_DEP_1)
	v_pk_fma_f32 v[140:141], v[140:141], v[108:109], v[144:145] op_sel:[1,0,0] op_sel_hi:[0,1,0]
	v_mov_b32_e32 v133, v141
	s_delay_alu instid0(VALU_DEP_1) | instskip(SKIP_1) | instid1(VALU_DEP_1)
	v_pk_add_f32 v[28:29], v[28:29], v[132:133] neg_lo:[0,1] neg_hi:[0,1]
	v_pk_mul_f32 v[132:133], v[142:143], v[130:131] op_sel:[0,1]
	v_pk_fma_f32 v[140:141], v[142:143], v[128:129], v[132:133] op_sel:[0,0,1] op_sel_hi:[1,1,0] neg_lo:[0,0,1] neg_hi:[0,0,1]
	v_pk_fma_f32 v[132:133], v[142:143], v[128:129], v[132:133] op_sel:[0,0,1] op_sel_hi:[1,0,0]
	s_delay_alu instid0(VALU_DEP_1) | instskip(NEXT) | instid1(VALU_DEP_1)
	v_mov_b32_e32 v141, v133
	v_pk_add_f32 v[26:27], v[26:27], v[140:141] neg_lo:[0,1] neg_hi:[0,1]
	ds_load_2addr_b64 v[140:143], v135 offset0:49 offset1:50
	s_wait_dscnt 0x0
	v_pk_mul_f32 v[132:133], v[140:141], v[130:131] op_sel:[0,1]
	s_delay_alu instid0(VALU_DEP_1) | instskip(SKIP_1) | instid1(VALU_DEP_1)
	v_pk_fma_f32 v[144:145], v[140:141], v[128:129], v[132:133] op_sel:[0,0,1] op_sel_hi:[1,1,0] neg_lo:[0,0,1] neg_hi:[0,0,1]
	v_pk_fma_f32 v[132:133], v[140:141], v[128:129], v[132:133] op_sel:[0,0,1] op_sel_hi:[1,0,0]
	v_mov_b32_e32 v145, v133
	v_pk_mul_f32 v[132:133], v[142:143], v[130:131] op_sel:[0,1]
	s_delay_alu instid0(VALU_DEP_2) | instskip(NEXT) | instid1(VALU_DEP_2)
	v_pk_add_f32 v[22:23], v[22:23], v[144:145] neg_lo:[0,1] neg_hi:[0,1]
	v_pk_fma_f32 v[140:141], v[142:143], v[128:129], v[132:133] op_sel:[0,0,1] op_sel_hi:[1,1,0] neg_lo:[0,0,1] neg_hi:[0,0,1]
	v_pk_fma_f32 v[132:133], v[142:143], v[128:129], v[132:133] op_sel:[0,0,1] op_sel_hi:[1,0,0]
	s_delay_alu instid0(VALU_DEP_1) | instskip(NEXT) | instid1(VALU_DEP_1)
	v_mov_b32_e32 v141, v133
	v_pk_add_f32 v[24:25], v[24:25], v[140:141] neg_lo:[0,1] neg_hi:[0,1]
	ds_load_2addr_b64 v[140:143], v135 offset0:51 offset1:52
	s_wait_dscnt 0x0
	v_pk_mul_f32 v[132:133], v[140:141], v[130:131] op_sel:[0,1]
	s_delay_alu instid0(VALU_DEP_1) | instskip(SKIP_2) | instid1(VALU_DEP_2)
	v_pk_fma_f32 v[144:145], v[140:141], v[128:129], v[132:133] op_sel:[0,0,1] op_sel_hi:[1,1,0] neg_lo:[0,0,1] neg_hi:[0,0,1]
	v_pk_fma_f32 v[132:133], v[140:141], v[128:129], v[132:133] op_sel:[0,0,1] op_sel_hi:[1,0,0]
	v_dual_mul_f32 v140, v143, v131 :: v_dual_mov_b32 v132, v143
	v_dual_mov_b32 v145, v133 :: v_dual_mov_b32 v133, v142
	s_delay_alu instid0(VALU_DEP_2) | instskip(SKIP_1) | instid1(VALU_DEP_3)
	v_pk_fma_f32 v[140:141], v[142:143], v[108:109], v[140:141] op_sel_hi:[1,1,0] neg_lo:[0,0,1] neg_hi:[0,0,1]
	v_mul_f32_e32 v142, v143, v128
	v_pk_add_f32 v[44:45], v[44:45], v[144:145] neg_lo:[0,1] neg_hi:[0,1]
	s_delay_alu instid0(VALU_DEP_2) | instskip(NEXT) | instid1(VALU_DEP_1)
	v_pk_fma_f32 v[132:133], v[132:133], v[108:109], v[142:143] op_sel_hi:[1,1,0]
	v_mov_b32_e32 v141, v133
	s_delay_alu instid0(VALU_DEP_1) | instskip(SKIP_3) | instid1(VALU_DEP_1)
	v_pk_add_f32 v[16:17], v[16:17], v[140:141] neg_lo:[0,1] neg_hi:[0,1]
	ds_load_2addr_b64 v[140:143], v135 offset0:53 offset1:54
	s_wait_dscnt 0x0
	v_pk_mul_f32 v[132:133], v[140:141], v[130:131] op_sel:[0,1]
	v_pk_fma_f32 v[144:145], v[140:141], v[128:129], v[132:133] op_sel:[0,0,1] op_sel_hi:[1,1,0] neg_lo:[0,0,1] neg_hi:[0,0,1]
	v_pk_fma_f32 v[132:133], v[140:141], v[128:129], v[132:133] op_sel:[0,0,1] op_sel_hi:[1,0,0]
	s_delay_alu instid0(VALU_DEP_1) | instskip(SKIP_1) | instid1(VALU_DEP_1)
	v_mov_b32_e32 v145, v133
	v_pk_mul_f32 v[132:133], v[142:143], v[130:131] op_sel:[0,1]
	v_pk_fma_f32 v[140:141], v[142:143], v[128:129], v[132:133] op_sel:[0,0,1] op_sel_hi:[1,1,0] neg_lo:[0,0,1] neg_hi:[0,0,1]
	v_pk_fma_f32 v[132:133], v[142:143], v[128:129], v[132:133] op_sel:[0,0,1] op_sel_hi:[1,0,0]
	s_delay_alu instid0(VALU_DEP_1) | instskip(SKIP_1) | instid1(VALU_DEP_2)
	v_mov_b32_e32 v141, v133
	v_pk_add_f32 v[12:13], v[12:13], v[144:145] neg_lo:[0,1] neg_hi:[0,1]
	v_pk_add_f32 v[14:15], v[14:15], v[140:141] neg_lo:[0,1] neg_hi:[0,1]
	ds_load_2addr_b64 v[140:143], v135 offset0:55 offset1:56
	s_wait_dscnt 0x0
	v_pk_mul_f32 v[132:133], v[140:141], v[130:131] op_sel:[0,1]
	s_delay_alu instid0(VALU_DEP_1) | instskip(SKIP_1) | instid1(VALU_DEP_1)
	v_pk_fma_f32 v[144:145], v[140:141], v[128:129], v[132:133] op_sel:[0,0,1] op_sel_hi:[1,1,0] neg_lo:[0,0,1] neg_hi:[0,0,1]
	v_pk_fma_f32 v[132:133], v[140:141], v[128:129], v[132:133] op_sel:[0,0,1] op_sel_hi:[1,0,0]
	v_mov_b32_e32 v145, v133
	v_pk_mul_f32 v[132:133], v[142:143], v[130:131] op_sel:[0,1]
	s_delay_alu instid0(VALU_DEP_1) | instskip(SKIP_1) | instid1(VALU_DEP_1)
	v_pk_fma_f32 v[140:141], v[142:143], v[128:129], v[132:133] op_sel:[0,0,1] op_sel_hi:[1,1,0] neg_lo:[0,0,1] neg_hi:[0,0,1]
	v_pk_fma_f32 v[132:133], v[142:143], v[128:129], v[132:133] op_sel:[0,0,1] op_sel_hi:[1,0,0]
	v_mov_b32_e32 v141, v133
	v_pk_add_f32 v[10:11], v[10:11], v[144:145] neg_lo:[0,1] neg_hi:[0,1]
	s_delay_alu instid0(VALU_DEP_2) | instskip(SKIP_3) | instid1(VALU_DEP_1)
	v_pk_add_f32 v[6:7], v[6:7], v[140:141] neg_lo:[0,1] neg_hi:[0,1]
	ds_load_2addr_b64 v[140:143], v135 offset0:57 offset1:58
	s_wait_dscnt 0x0
	v_dual_mul_f32 v132, v141, v131 :: v_dual_mul_f32 v144, v141, v128
	v_pk_fma_f32 v[132:133], v[140:141], v[108:109], v[132:133] op_sel_hi:[1,1,0] neg_lo:[0,0,1] neg_hi:[0,0,1]
	s_delay_alu instid0(VALU_DEP_2) | instskip(NEXT) | instid1(VALU_DEP_1)
	v_pk_fma_f32 v[140:141], v[140:141], v[108:109], v[144:145] op_sel:[1,0,0] op_sel_hi:[0,1,0]
	v_mov_b32_e32 v133, v141
	s_delay_alu instid0(VALU_DEP_1) | instskip(SKIP_1) | instid1(VALU_DEP_1)
	v_pk_add_f32 v[20:21], v[20:21], v[132:133] neg_lo:[0,1] neg_hi:[0,1]
	v_pk_mul_f32 v[132:133], v[142:143], v[130:131] op_sel:[0,1]
	v_pk_fma_f32 v[140:141], v[142:143], v[128:129], v[132:133] op_sel:[0,0,1] op_sel_hi:[1,1,0] neg_lo:[0,0,1] neg_hi:[0,0,1]
	v_pk_fma_f32 v[132:133], v[142:143], v[128:129], v[132:133] op_sel:[0,0,1] op_sel_hi:[1,0,0]
	s_delay_alu instid0(VALU_DEP_1) | instskip(NEXT) | instid1(VALU_DEP_1)
	v_mov_b32_e32 v141, v133
	v_pk_add_f32 v[18:19], v[18:19], v[140:141] neg_lo:[0,1] neg_hi:[0,1]
	ds_load_2addr_b64 v[140:143], v135 offset0:59 offset1:60
	s_wait_dscnt 0x0
	v_pk_mul_f32 v[132:133], v[140:141], v[130:131] op_sel:[0,1]
	v_pk_mul_f32 v[130:131], v[142:143], v[130:131] op_sel:[0,1]
	s_delay_alu instid0(VALU_DEP_2) | instskip(SKIP_1) | instid1(VALU_DEP_1)
	v_pk_fma_f32 v[144:145], v[140:141], v[128:129], v[132:133] op_sel:[0,0,1] op_sel_hi:[1,1,0] neg_lo:[0,0,1] neg_hi:[0,0,1]
	v_pk_fma_f32 v[132:133], v[140:141], v[128:129], v[132:133] op_sel:[0,0,1] op_sel_hi:[1,0,0]
	v_mov_b32_e32 v145, v133
	s_delay_alu instid0(VALU_DEP_4) | instskip(SKIP_1) | instid1(VALU_DEP_3)
	v_pk_fma_f32 v[132:133], v[142:143], v[128:129], v[130:131] op_sel:[0,0,1] op_sel_hi:[1,1,0] neg_lo:[0,0,1] neg_hi:[0,0,1]
	v_pk_fma_f32 v[128:129], v[142:143], v[128:129], v[130:131] op_sel:[0,0,1] op_sel_hi:[1,0,0]
	v_pk_add_f32 v[8:9], v[8:9], v[144:145] neg_lo:[0,1] neg_hi:[0,1]
	s_delay_alu instid0(VALU_DEP_2) | instskip(NEXT) | instid1(VALU_DEP_1)
	v_mov_b32_e32 v133, v129
	v_pk_add_f32 v[126:127], v[126:127], v[132:133] neg_lo:[0,1] neg_hi:[0,1]
.LBB120_188:
	s_or_b32 exec_lo, exec_lo, s0
	v_lshl_add_u32 v128, v138, 3, v135
	s_barrier_signal -1
	s_barrier_wait -1
	ds_store_b64 v128, v[104:105]
	s_wait_dscnt 0x0
	s_barrier_signal -1
	s_barrier_wait -1
	ds_load_b64 v[130:131], v135 offset:72
	v_mov_b32_e32 v128, 9
	s_cmp_lt_i32 s18, 11
	s_cbranch_scc1 .LBB120_191
; %bb.189:
	v_add3_u32 v129, v136, 0, 0x50
	v_mov_b32_e32 v128, 9
	s_mov_b32 s0, 10
.LBB120_190:                            ; =>This Inner Loop Header: Depth=1
	ds_load_b64 v[132:133], v129
	s_wait_dscnt 0x1
	v_cmp_gt_f32_e32 vcc_lo, 0, v130
	v_cndmask_b32_e64 v140, v130, -v130, vcc_lo
	v_cmp_gt_f32_e32 vcc_lo, 0, v131
	v_cndmask_b32_e64 v142, v131, -v131, vcc_lo
	s_wait_dscnt 0x0
	v_cmp_gt_f32_e32 vcc_lo, 0, v132
	v_cndmask_b32_e64 v141, v132, -v132, vcc_lo
	v_cmp_gt_f32_e32 vcc_lo, 0, v133
	v_cndmask_b32_e64 v143, v133, -v133, vcc_lo
	s_delay_alu instid0(VALU_DEP_1) | instskip(NEXT) | instid1(VALU_DEP_1)
	v_pk_add_f32 v[140:141], v[140:141], v[142:143]
	v_cmp_lt_f32_e32 vcc_lo, v140, v141
	v_dual_cndmask_b32 v130, v130, v132 :: v_dual_add_nc_u32 v129, 8, v129
	v_cndmask_b32_e32 v131, v131, v133, vcc_lo
	v_cndmask_b32_e64 v128, v128, s0, vcc_lo
	s_add_co_i32 s0, s0, 1
	s_delay_alu instid0(SALU_CYCLE_1)
	s_cmp_lg_u32 s18, s0
	s_cbranch_scc1 .LBB120_190
.LBB120_191:
	s_wait_dscnt 0x0
	v_cmp_eq_f32_e32 vcc_lo, 0, v130
	v_cmp_eq_f32_e64 s0, 0, v131
	s_and_b32 s0, vcc_lo, s0
	s_delay_alu instid0(SALU_CYCLE_1) | instskip(NEXT) | instid1(SALU_CYCLE_1)
	s_and_saveexec_b32 s1, s0
	s_xor_b32 s0, exec_lo, s1
; %bb.192:
	v_cmp_ne_u32_e32 vcc_lo, 0, v134
	v_cndmask_b32_e32 v134, 10, v134, vcc_lo
; %bb.193:
	s_and_not1_saveexec_b32 s0, s0
	s_cbranch_execz .LBB120_199
; %bb.194:
	v_cmp_ngt_f32_e64 s1, |v130|, |v131|
	s_and_saveexec_b32 s12, s1
	s_delay_alu instid0(SALU_CYCLE_1)
	s_xor_b32 s1, exec_lo, s12
	s_cbranch_execz .LBB120_196
; %bb.195:
	v_div_scale_f32 v129, null, v131, v131, v130
	v_div_scale_f32 v139, vcc_lo, v130, v131, v130
	s_delay_alu instid0(VALU_DEP_2) | instskip(SKIP_1) | instid1(TRANS32_DEP_1)
	v_rcp_f32_e32 v132, v129
	v_nop
	v_fma_f32 v133, -v129, v132, 1.0
	s_delay_alu instid0(VALU_DEP_1) | instskip(NEXT) | instid1(VALU_DEP_1)
	v_fmac_f32_e32 v132, v133, v132
	v_mul_f32_e32 v133, v139, v132
	s_delay_alu instid0(VALU_DEP_1) | instskip(NEXT) | instid1(VALU_DEP_1)
	v_fma_f32 v140, -v129, v133, v139
	v_fmac_f32_e32 v133, v140, v132
	s_delay_alu instid0(VALU_DEP_1) | instskip(NEXT) | instid1(VALU_DEP_1)
	v_fma_f32 v129, -v129, v133, v139
	v_div_fmas_f32 v129, v129, v132, v133
	s_delay_alu instid0(VALU_DEP_1) | instskip(NEXT) | instid1(VALU_DEP_1)
	v_div_fixup_f32 v129, v129, v131, v130
	v_fmac_f32_e32 v131, v130, v129
	s_delay_alu instid0(VALU_DEP_1) | instskip(SKIP_1) | instid1(VALU_DEP_2)
	v_div_scale_f32 v130, null, v131, v131, 1.0
	v_div_scale_f32 v139, vcc_lo, 1.0, v131, 1.0
	v_rcp_f32_e32 v132, v130
	v_nop
	s_delay_alu instid0(TRANS32_DEP_1) | instskip(NEXT) | instid1(VALU_DEP_1)
	v_fma_f32 v133, -v130, v132, 1.0
	v_fmac_f32_e32 v132, v133, v132
	s_delay_alu instid0(VALU_DEP_1) | instskip(NEXT) | instid1(VALU_DEP_1)
	v_mul_f32_e32 v133, v139, v132
	v_fma_f32 v140, -v130, v133, v139
	s_delay_alu instid0(VALU_DEP_1) | instskip(NEXT) | instid1(VALU_DEP_1)
	v_fmac_f32_e32 v133, v140, v132
	v_fma_f32 v130, -v130, v133, v139
	s_delay_alu instid0(VALU_DEP_1) | instskip(NEXT) | instid1(VALU_DEP_1)
	v_div_fmas_f32 v130, v130, v132, v133
	v_div_fixup_f32 v131, v130, v131, 1.0
	s_delay_alu instid0(VALU_DEP_1)
	v_mul_f32_e32 v130, v129, v131
	v_xor_b32_e32 v131, 0x80000000, v131
.LBB120_196:
	s_and_not1_saveexec_b32 s1, s1
	s_cbranch_execz .LBB120_198
; %bb.197:
	s_delay_alu instid0(VALU_DEP_1) | instskip(SKIP_1) | instid1(VALU_DEP_2)
	v_div_scale_f32 v129, null, v130, v130, v131
	v_div_scale_f32 v139, vcc_lo, v131, v130, v131
	v_rcp_f32_e32 v132, v129
	v_nop
	s_delay_alu instid0(TRANS32_DEP_1) | instskip(NEXT) | instid1(VALU_DEP_1)
	v_fma_f32 v133, -v129, v132, 1.0
	v_fmac_f32_e32 v132, v133, v132
	s_delay_alu instid0(VALU_DEP_1) | instskip(NEXT) | instid1(VALU_DEP_1)
	v_mul_f32_e32 v133, v139, v132
	v_fma_f32 v140, -v129, v133, v139
	s_delay_alu instid0(VALU_DEP_1) | instskip(NEXT) | instid1(VALU_DEP_1)
	v_fmac_f32_e32 v133, v140, v132
	v_fma_f32 v129, -v129, v133, v139
	s_delay_alu instid0(VALU_DEP_1) | instskip(NEXT) | instid1(VALU_DEP_1)
	v_div_fmas_f32 v129, v129, v132, v133
	v_div_fixup_f32 v129, v129, v130, v131
	s_delay_alu instid0(VALU_DEP_1) | instskip(NEXT) | instid1(VALU_DEP_1)
	v_fmac_f32_e32 v130, v131, v129
	v_div_scale_f32 v131, null, v130, v130, 1.0
	s_delay_alu instid0(VALU_DEP_1) | instskip(SKIP_1) | instid1(TRANS32_DEP_1)
	v_rcp_f32_e32 v132, v131
	v_nop
	v_fma_f32 v133, -v131, v132, 1.0
	s_delay_alu instid0(VALU_DEP_1) | instskip(SKIP_1) | instid1(VALU_DEP_1)
	v_fmac_f32_e32 v132, v133, v132
	v_div_scale_f32 v133, vcc_lo, 1.0, v130, 1.0
	v_mul_f32_e32 v139, v133, v132
	s_delay_alu instid0(VALU_DEP_1) | instskip(NEXT) | instid1(VALU_DEP_1)
	v_fma_f32 v140, -v131, v139, v133
	v_fmac_f32_e32 v139, v140, v132
	s_delay_alu instid0(VALU_DEP_1) | instskip(NEXT) | instid1(VALU_DEP_1)
	v_fma_f32 v131, -v131, v139, v133
	v_div_fmas_f32 v131, v131, v132, v139
	s_delay_alu instid0(VALU_DEP_1) | instskip(NEXT) | instid1(VALU_DEP_1)
	v_div_fixup_f32 v130, v131, v130, 1.0
	v_mul_f32_e64 v131, v129, -v130
.LBB120_198:
	s_or_b32 exec_lo, exec_lo, s1
.LBB120_199:
	s_delay_alu instid0(SALU_CYCLE_1) | instskip(NEXT) | instid1(SALU_CYCLE_1)
	s_or_b32 exec_lo, exec_lo, s0
	s_mov_b32 s0, exec_lo
	v_cmpx_ne_u32_e64 v138, v128
	s_xor_b32 s0, exec_lo, s0
	s_cbranch_execz .LBB120_205
; %bb.200:
	s_mov_b32 s1, exec_lo
	v_cmpx_eq_u32_e32 9, v138
	s_cbranch_execz .LBB120_204
; %bb.201:
	v_cmp_ne_u32_e32 vcc_lo, 9, v128
	s_xor_b32 s12, s16, -1
	s_delay_alu instid0(SALU_CYCLE_1) | instskip(NEXT) | instid1(SALU_CYCLE_1)
	s_and_b32 s13, s12, vcc_lo
	s_and_saveexec_b32 s12, s13
	s_cbranch_execz .LBB120_203
; %bb.202:
	v_ashrrev_i32_e32 v129, 31, v128
	s_delay_alu instid0(VALU_DEP_1)
	v_lshl_add_u64 v[132:133], v[128:129], 2, v[4:5]
	s_clause 0x1
	global_load_b32 v129, v[132:133], off
	global_load_b32 v137, v[4:5], off offset:36
	s_wait_loadcnt 0x1
	global_store_b32 v[4:5], v129, off offset:36
	s_wait_loadcnt 0x0
	global_store_b32 v[132:133], v137, off
.LBB120_203:
	s_wait_xcnt 0x0
	s_or_b32 exec_lo, exec_lo, s12
	v_dual_mov_b32 v138, v128 :: v_dual_mov_b32 v137, v128
.LBB120_204:
	s_or_b32 exec_lo, exec_lo, s1
.LBB120_205:
	s_and_not1_saveexec_b32 s0, s0
	s_cbranch_execz .LBB120_207
; %bb.206:
	v_dual_mov_b32 v128, v106 :: v_dual_mov_b32 v129, v107
	v_dual_mov_b32 v132, v102 :: v_dual_mov_b32 v133, v103
	;; [unrolled: 1-line block ×4, first 2 shown]
	ds_store_2addr_b64 v135, v[128:129], v[132:133] offset0:10 offset1:11
	ds_store_2addr_b64 v135, v[138:139], v[140:141] offset0:12 offset1:13
	v_dual_mov_b32 v128, v98 :: v_dual_mov_b32 v129, v99
	v_dual_mov_b32 v132, v94 :: v_dual_mov_b32 v133, v95
	v_dual_mov_b32 v138, v92 :: v_dual_mov_b32 v139, v93
	v_dual_mov_b32 v140, v88 :: v_dual_mov_b32 v141, v89
	v_dual_mov_b32 v142, v90 :: v_dual_mov_b32 v143, v91
	v_dual_mov_b32 v144, v86 :: v_dual_mov_b32 v145, v87
	v_dual_mov_b32 v146, v84 :: v_dual_mov_b32 v147, v85
	v_dual_mov_b32 v148, v80 :: v_dual_mov_b32 v149, v81
	v_dual_mov_b32 v150, v82 :: v_dual_mov_b32 v151, v83
	v_dual_mov_b32 v152, v78 :: v_dual_mov_b32 v153, v79
	v_dual_mov_b32 v154, v76 :: v_dual_mov_b32 v155, v77
	v_dual_mov_b32 v156, v72 :: v_dual_mov_b32 v157, v73
	ds_store_2addr_b64 v135, v[128:129], v[132:133] offset0:14 offset1:15
	ds_store_2addr_b64 v135, v[138:139], v[140:141] offset0:16 offset1:17
	ds_store_2addr_b64 v135, v[142:143], v[144:145] offset0:18 offset1:19
	ds_store_2addr_b64 v135, v[146:147], v[148:149] offset0:20 offset1:21
	ds_store_2addr_b64 v135, v[150:151], v[152:153] offset0:22 offset1:23
	ds_store_2addr_b64 v135, v[154:155], v[156:157] offset0:24 offset1:25
	v_dual_mov_b32 v128, v74 :: v_dual_mov_b32 v129, v75
	v_dual_mov_b32 v132, v70 :: v_dual_mov_b32 v133, v71
	v_dual_mov_b32 v138, v68 :: v_dual_mov_b32 v139, v69
	v_dual_mov_b32 v140, v64 :: v_dual_mov_b32 v141, v65
	v_dual_mov_b32 v142, v66 :: v_dual_mov_b32 v143, v67
	v_dual_mov_b32 v144, v62 :: v_dual_mov_b32 v145, v63
	v_dual_mov_b32 v146, v60 :: v_dual_mov_b32 v147, v61
	v_dual_mov_b32 v148, v56 :: v_dual_mov_b32 v149, v57
	v_dual_mov_b32 v150, v58 :: v_dual_mov_b32 v151, v59
	v_dual_mov_b32 v152, v54 :: v_dual_mov_b32 v153, v55
	v_dual_mov_b32 v154, v52 :: v_dual_mov_b32 v155, v53
	v_dual_mov_b32 v156, v48 :: v_dual_mov_b32 v157, v49
	ds_store_2addr_b64 v135, v[128:129], v[132:133] offset0:26 offset1:27
	ds_store_2addr_b64 v135, v[138:139], v[140:141] offset0:28 offset1:29
	ds_store_2addr_b64 v135, v[142:143], v[144:145] offset0:30 offset1:31
	ds_store_2addr_b64 v135, v[146:147], v[148:149] offset0:32 offset1:33
	;; [unrolled: 18-line block ×3, first 2 shown]
	ds_store_2addr_b64 v135, v[150:151], v[152:153] offset0:46 offset1:47
	ds_store_2addr_b64 v135, v[154:155], v[156:157] offset0:48 offset1:49
	v_dual_mov_b32 v128, v24 :: v_dual_mov_b32 v129, v25
	v_dual_mov_b32 v132, v44 :: v_dual_mov_b32 v133, v45
	;; [unrolled: 1-line block ×6, first 2 shown]
	ds_store_2addr_b64 v135, v[128:129], v[132:133] offset0:50 offset1:51
	ds_store_2addr_b64 v135, v[138:139], v[140:141] offset0:52 offset1:53
	v_dual_mov_b32 v138, 9 :: v_dual_mov_b32 v146, v6
	v_dual_mov_b32 v147, v7 :: v_dual_mov_b32 v148, v20
	;; [unrolled: 1-line block ×4, first 2 shown]
	v_mov_b32_e32 v153, v9
	ds_store_2addr_b64 v135, v[142:143], v[144:145] offset0:54 offset1:55
	ds_store_2addr_b64 v135, v[146:147], v[148:149] offset0:56 offset1:57
	;; [unrolled: 1-line block ×3, first 2 shown]
	ds_store_b64 v135, v[126:127] offset:480
.LBB120_207:
	s_or_b32 exec_lo, exec_lo, s0
	s_delay_alu instid0(SALU_CYCLE_1)
	s_mov_b32 s0, exec_lo
	s_wait_storecnt_dscnt 0x0
	s_barrier_signal -1
	s_barrier_wait -1
	v_cmpx_lt_i32_e32 9, v138
	s_cbranch_execz .LBB120_209
; %bb.208:
	ds_load_2addr_b64 v[140:143], v135 offset0:10 offset1:11
	v_pk_mul_f32 v[132:133], v[130:131], v[104:105] op_sel:[1,1] op_sel_hi:[0,1]
	s_delay_alu instid0(VALU_DEP_1) | instskip(SKIP_1) | instid1(VALU_DEP_1)
	v_pk_fma_f32 v[128:129], v[130:131], v[104:105], v[132:133] op_sel_hi:[1,0,1] neg_lo:[0,0,1] neg_hi:[0,0,1]
	v_pk_fma_f32 v[130:131], v[130:131], v[104:105], v[132:133] op_sel_hi:[1,0,1]
	v_dual_mov_b32 v104, v128 :: v_dual_mov_b32 v105, v131
	s_wait_dscnt 0x0
	s_delay_alu instid0(VALU_DEP_2) | instskip(NEXT) | instid1(VALU_DEP_1)
	v_pk_mul_f32 v[132:133], v[140:141], v[130:131] op_sel:[0,1]
	v_pk_fma_f32 v[144:145], v[140:141], v[128:129], v[132:133] op_sel:[0,0,1] op_sel_hi:[1,1,0] neg_lo:[0,0,1] neg_hi:[0,0,1]
	v_pk_fma_f32 v[132:133], v[140:141], v[128:129], v[132:133] op_sel:[0,0,1] op_sel_hi:[1,0,0]
	s_delay_alu instid0(VALU_DEP_1) | instskip(SKIP_1) | instid1(VALU_DEP_1)
	v_mov_b32_e32 v145, v133
	v_pk_mul_f32 v[132:133], v[142:143], v[130:131] op_sel:[0,1]
	v_pk_fma_f32 v[140:141], v[142:143], v[128:129], v[132:133] op_sel:[0,0,1] op_sel_hi:[1,1,0] neg_lo:[0,0,1] neg_hi:[0,0,1]
	v_pk_fma_f32 v[132:133], v[142:143], v[128:129], v[132:133] op_sel:[0,0,1] op_sel_hi:[1,0,0]
	s_delay_alu instid0(VALU_DEP_1) | instskip(SKIP_1) | instid1(VALU_DEP_2)
	v_mov_b32_e32 v141, v133
	v_pk_add_f32 v[106:107], v[106:107], v[144:145] neg_lo:[0,1] neg_hi:[0,1]
	v_pk_add_f32 v[102:103], v[102:103], v[140:141] neg_lo:[0,1] neg_hi:[0,1]
	ds_load_2addr_b64 v[140:143], v135 offset0:12 offset1:13
	s_wait_dscnt 0x0
	v_pk_mul_f32 v[132:133], v[140:141], v[130:131] op_sel:[0,1]
	s_delay_alu instid0(VALU_DEP_1) | instskip(SKIP_2) | instid1(VALU_DEP_2)
	v_pk_fma_f32 v[144:145], v[140:141], v[128:129], v[132:133] op_sel:[0,0,1] op_sel_hi:[1,1,0] neg_lo:[0,0,1] neg_hi:[0,0,1]
	v_pk_fma_f32 v[132:133], v[140:141], v[128:129], v[132:133] op_sel:[0,0,1] op_sel_hi:[1,0,0]
	v_dual_mul_f32 v140, v143, v131 :: v_dual_mov_b32 v132, v143
	v_dual_mov_b32 v145, v133 :: v_dual_mov_b32 v133, v142
	s_delay_alu instid0(VALU_DEP_2) | instskip(SKIP_1) | instid1(VALU_DEP_3)
	v_pk_fma_f32 v[140:141], v[142:143], v[104:105], v[140:141] op_sel_hi:[1,1,0] neg_lo:[0,0,1] neg_hi:[0,0,1]
	v_mul_f32_e32 v142, v143, v128
	v_pk_add_f32 v[100:101], v[100:101], v[144:145] neg_lo:[0,1] neg_hi:[0,1]
	s_delay_alu instid0(VALU_DEP_2) | instskip(NEXT) | instid1(VALU_DEP_1)
	v_pk_fma_f32 v[132:133], v[132:133], v[104:105], v[142:143] op_sel_hi:[1,1,0]
	v_mov_b32_e32 v141, v133
	s_delay_alu instid0(VALU_DEP_1) | instskip(SKIP_3) | instid1(VALU_DEP_1)
	v_pk_add_f32 v[96:97], v[96:97], v[140:141] neg_lo:[0,1] neg_hi:[0,1]
	ds_load_2addr_b64 v[140:143], v135 offset0:14 offset1:15
	s_wait_dscnt 0x0
	v_pk_mul_f32 v[132:133], v[140:141], v[130:131] op_sel:[0,1]
	v_pk_fma_f32 v[144:145], v[140:141], v[128:129], v[132:133] op_sel:[0,0,1] op_sel_hi:[1,1,0] neg_lo:[0,0,1] neg_hi:[0,0,1]
	v_pk_fma_f32 v[132:133], v[140:141], v[128:129], v[132:133] op_sel:[0,0,1] op_sel_hi:[1,0,0]
	s_delay_alu instid0(VALU_DEP_1) | instskip(SKIP_1) | instid1(VALU_DEP_1)
	v_mov_b32_e32 v145, v133
	v_pk_mul_f32 v[132:133], v[142:143], v[130:131] op_sel:[0,1]
	v_pk_fma_f32 v[140:141], v[142:143], v[128:129], v[132:133] op_sel:[0,0,1] op_sel_hi:[1,1,0] neg_lo:[0,0,1] neg_hi:[0,0,1]
	v_pk_fma_f32 v[132:133], v[142:143], v[128:129], v[132:133] op_sel:[0,0,1] op_sel_hi:[1,0,0]
	s_delay_alu instid0(VALU_DEP_1) | instskip(SKIP_1) | instid1(VALU_DEP_2)
	v_mov_b32_e32 v141, v133
	v_pk_add_f32 v[98:99], v[98:99], v[144:145] neg_lo:[0,1] neg_hi:[0,1]
	v_pk_add_f32 v[94:95], v[94:95], v[140:141] neg_lo:[0,1] neg_hi:[0,1]
	ds_load_2addr_b64 v[140:143], v135 offset0:16 offset1:17
	s_wait_dscnt 0x0
	v_pk_mul_f32 v[132:133], v[140:141], v[130:131] op_sel:[0,1]
	s_delay_alu instid0(VALU_DEP_1) | instskip(SKIP_1) | instid1(VALU_DEP_1)
	v_pk_fma_f32 v[144:145], v[140:141], v[128:129], v[132:133] op_sel:[0,0,1] op_sel_hi:[1,1,0] neg_lo:[0,0,1] neg_hi:[0,0,1]
	v_pk_fma_f32 v[132:133], v[140:141], v[128:129], v[132:133] op_sel:[0,0,1] op_sel_hi:[1,0,0]
	v_mov_b32_e32 v145, v133
	v_pk_mul_f32 v[132:133], v[142:143], v[130:131] op_sel:[0,1]
	s_delay_alu instid0(VALU_DEP_1) | instskip(SKIP_1) | instid1(VALU_DEP_1)
	v_pk_fma_f32 v[140:141], v[142:143], v[128:129], v[132:133] op_sel:[0,0,1] op_sel_hi:[1,1,0] neg_lo:[0,0,1] neg_hi:[0,0,1]
	v_pk_fma_f32 v[132:133], v[142:143], v[128:129], v[132:133] op_sel:[0,0,1] op_sel_hi:[1,0,0]
	v_mov_b32_e32 v141, v133
	v_pk_add_f32 v[92:93], v[92:93], v[144:145] neg_lo:[0,1] neg_hi:[0,1]
	s_delay_alu instid0(VALU_DEP_2) | instskip(SKIP_3) | instid1(VALU_DEP_1)
	v_pk_add_f32 v[88:89], v[88:89], v[140:141] neg_lo:[0,1] neg_hi:[0,1]
	ds_load_2addr_b64 v[140:143], v135 offset0:18 offset1:19
	s_wait_dscnt 0x0
	v_dual_mul_f32 v132, v141, v131 :: v_dual_mul_f32 v144, v141, v128
	v_pk_fma_f32 v[132:133], v[140:141], v[104:105], v[132:133] op_sel_hi:[1,1,0] neg_lo:[0,0,1] neg_hi:[0,0,1]
	s_delay_alu instid0(VALU_DEP_2) | instskip(NEXT) | instid1(VALU_DEP_1)
	v_pk_fma_f32 v[140:141], v[140:141], v[104:105], v[144:145] op_sel:[1,0,0] op_sel_hi:[0,1,0]
	v_mov_b32_e32 v133, v141
	s_delay_alu instid0(VALU_DEP_1) | instskip(SKIP_1) | instid1(VALU_DEP_1)
	v_pk_add_f32 v[90:91], v[90:91], v[132:133] neg_lo:[0,1] neg_hi:[0,1]
	v_pk_mul_f32 v[132:133], v[142:143], v[130:131] op_sel:[0,1]
	v_pk_fma_f32 v[140:141], v[142:143], v[128:129], v[132:133] op_sel:[0,0,1] op_sel_hi:[1,1,0] neg_lo:[0,0,1] neg_hi:[0,0,1]
	v_pk_fma_f32 v[132:133], v[142:143], v[128:129], v[132:133] op_sel:[0,0,1] op_sel_hi:[1,0,0]
	s_delay_alu instid0(VALU_DEP_1) | instskip(NEXT) | instid1(VALU_DEP_1)
	v_mov_b32_e32 v141, v133
	v_pk_add_f32 v[86:87], v[86:87], v[140:141] neg_lo:[0,1] neg_hi:[0,1]
	ds_load_2addr_b64 v[140:143], v135 offset0:20 offset1:21
	s_wait_dscnt 0x0
	v_pk_mul_f32 v[132:133], v[140:141], v[130:131] op_sel:[0,1]
	s_delay_alu instid0(VALU_DEP_1) | instskip(SKIP_1) | instid1(VALU_DEP_1)
	v_pk_fma_f32 v[144:145], v[140:141], v[128:129], v[132:133] op_sel:[0,0,1] op_sel_hi:[1,1,0] neg_lo:[0,0,1] neg_hi:[0,0,1]
	v_pk_fma_f32 v[132:133], v[140:141], v[128:129], v[132:133] op_sel:[0,0,1] op_sel_hi:[1,0,0]
	v_mov_b32_e32 v145, v133
	v_pk_mul_f32 v[132:133], v[142:143], v[130:131] op_sel:[0,1]
	s_delay_alu instid0(VALU_DEP_2) | instskip(NEXT) | instid1(VALU_DEP_2)
	v_pk_add_f32 v[84:85], v[84:85], v[144:145] neg_lo:[0,1] neg_hi:[0,1]
	v_pk_fma_f32 v[140:141], v[142:143], v[128:129], v[132:133] op_sel:[0,0,1] op_sel_hi:[1,1,0] neg_lo:[0,0,1] neg_hi:[0,0,1]
	v_pk_fma_f32 v[132:133], v[142:143], v[128:129], v[132:133] op_sel:[0,0,1] op_sel_hi:[1,0,0]
	s_delay_alu instid0(VALU_DEP_1) | instskip(NEXT) | instid1(VALU_DEP_1)
	v_mov_b32_e32 v141, v133
	v_pk_add_f32 v[80:81], v[80:81], v[140:141] neg_lo:[0,1] neg_hi:[0,1]
	ds_load_2addr_b64 v[140:143], v135 offset0:22 offset1:23
	s_wait_dscnt 0x0
	v_pk_mul_f32 v[132:133], v[140:141], v[130:131] op_sel:[0,1]
	s_delay_alu instid0(VALU_DEP_1) | instskip(SKIP_2) | instid1(VALU_DEP_2)
	v_pk_fma_f32 v[144:145], v[140:141], v[128:129], v[132:133] op_sel:[0,0,1] op_sel_hi:[1,1,0] neg_lo:[0,0,1] neg_hi:[0,0,1]
	v_pk_fma_f32 v[132:133], v[140:141], v[128:129], v[132:133] op_sel:[0,0,1] op_sel_hi:[1,0,0]
	v_dual_mul_f32 v140, v143, v131 :: v_dual_mov_b32 v132, v143
	v_dual_mov_b32 v145, v133 :: v_dual_mov_b32 v133, v142
	s_delay_alu instid0(VALU_DEP_2) | instskip(SKIP_1) | instid1(VALU_DEP_3)
	v_pk_fma_f32 v[140:141], v[142:143], v[104:105], v[140:141] op_sel_hi:[1,1,0] neg_lo:[0,0,1] neg_hi:[0,0,1]
	v_mul_f32_e32 v142, v143, v128
	v_pk_add_f32 v[82:83], v[82:83], v[144:145] neg_lo:[0,1] neg_hi:[0,1]
	s_delay_alu instid0(VALU_DEP_2) | instskip(NEXT) | instid1(VALU_DEP_1)
	v_pk_fma_f32 v[132:133], v[132:133], v[104:105], v[142:143] op_sel_hi:[1,1,0]
	v_mov_b32_e32 v141, v133
	s_delay_alu instid0(VALU_DEP_1) | instskip(SKIP_3) | instid1(VALU_DEP_1)
	v_pk_add_f32 v[78:79], v[78:79], v[140:141] neg_lo:[0,1] neg_hi:[0,1]
	ds_load_2addr_b64 v[140:143], v135 offset0:24 offset1:25
	s_wait_dscnt 0x0
	v_pk_mul_f32 v[132:133], v[140:141], v[130:131] op_sel:[0,1]
	v_pk_fma_f32 v[144:145], v[140:141], v[128:129], v[132:133] op_sel:[0,0,1] op_sel_hi:[1,1,0] neg_lo:[0,0,1] neg_hi:[0,0,1]
	v_pk_fma_f32 v[132:133], v[140:141], v[128:129], v[132:133] op_sel:[0,0,1] op_sel_hi:[1,0,0]
	s_delay_alu instid0(VALU_DEP_1) | instskip(SKIP_1) | instid1(VALU_DEP_1)
	v_mov_b32_e32 v145, v133
	v_pk_mul_f32 v[132:133], v[142:143], v[130:131] op_sel:[0,1]
	v_pk_fma_f32 v[140:141], v[142:143], v[128:129], v[132:133] op_sel:[0,0,1] op_sel_hi:[1,1,0] neg_lo:[0,0,1] neg_hi:[0,0,1]
	v_pk_fma_f32 v[132:133], v[142:143], v[128:129], v[132:133] op_sel:[0,0,1] op_sel_hi:[1,0,0]
	s_delay_alu instid0(VALU_DEP_1) | instskip(SKIP_1) | instid1(VALU_DEP_2)
	v_mov_b32_e32 v141, v133
	v_pk_add_f32 v[76:77], v[76:77], v[144:145] neg_lo:[0,1] neg_hi:[0,1]
	v_pk_add_f32 v[72:73], v[72:73], v[140:141] neg_lo:[0,1] neg_hi:[0,1]
	ds_load_2addr_b64 v[140:143], v135 offset0:26 offset1:27
	s_wait_dscnt 0x0
	v_pk_mul_f32 v[132:133], v[140:141], v[130:131] op_sel:[0,1]
	s_delay_alu instid0(VALU_DEP_1) | instskip(SKIP_1) | instid1(VALU_DEP_1)
	v_pk_fma_f32 v[144:145], v[140:141], v[128:129], v[132:133] op_sel:[0,0,1] op_sel_hi:[1,1,0] neg_lo:[0,0,1] neg_hi:[0,0,1]
	v_pk_fma_f32 v[132:133], v[140:141], v[128:129], v[132:133] op_sel:[0,0,1] op_sel_hi:[1,0,0]
	v_mov_b32_e32 v145, v133
	v_pk_mul_f32 v[132:133], v[142:143], v[130:131] op_sel:[0,1]
	s_delay_alu instid0(VALU_DEP_1) | instskip(SKIP_1) | instid1(VALU_DEP_1)
	v_pk_fma_f32 v[140:141], v[142:143], v[128:129], v[132:133] op_sel:[0,0,1] op_sel_hi:[1,1,0] neg_lo:[0,0,1] neg_hi:[0,0,1]
	v_pk_fma_f32 v[132:133], v[142:143], v[128:129], v[132:133] op_sel:[0,0,1] op_sel_hi:[1,0,0]
	v_mov_b32_e32 v141, v133
	v_pk_add_f32 v[74:75], v[74:75], v[144:145] neg_lo:[0,1] neg_hi:[0,1]
	s_delay_alu instid0(VALU_DEP_2) | instskip(SKIP_3) | instid1(VALU_DEP_1)
	v_pk_add_f32 v[70:71], v[70:71], v[140:141] neg_lo:[0,1] neg_hi:[0,1]
	ds_load_2addr_b64 v[140:143], v135 offset0:28 offset1:29
	s_wait_dscnt 0x0
	v_dual_mul_f32 v132, v141, v131 :: v_dual_mul_f32 v144, v141, v128
	v_pk_fma_f32 v[132:133], v[140:141], v[104:105], v[132:133] op_sel_hi:[1,1,0] neg_lo:[0,0,1] neg_hi:[0,0,1]
	s_delay_alu instid0(VALU_DEP_2) | instskip(NEXT) | instid1(VALU_DEP_1)
	v_pk_fma_f32 v[140:141], v[140:141], v[104:105], v[144:145] op_sel:[1,0,0] op_sel_hi:[0,1,0]
	v_mov_b32_e32 v133, v141
	s_delay_alu instid0(VALU_DEP_1) | instskip(SKIP_1) | instid1(VALU_DEP_1)
	v_pk_add_f32 v[68:69], v[68:69], v[132:133] neg_lo:[0,1] neg_hi:[0,1]
	v_pk_mul_f32 v[132:133], v[142:143], v[130:131] op_sel:[0,1]
	v_pk_fma_f32 v[140:141], v[142:143], v[128:129], v[132:133] op_sel:[0,0,1] op_sel_hi:[1,1,0] neg_lo:[0,0,1] neg_hi:[0,0,1]
	v_pk_fma_f32 v[132:133], v[142:143], v[128:129], v[132:133] op_sel:[0,0,1] op_sel_hi:[1,0,0]
	s_delay_alu instid0(VALU_DEP_1) | instskip(NEXT) | instid1(VALU_DEP_1)
	v_mov_b32_e32 v141, v133
	v_pk_add_f32 v[64:65], v[64:65], v[140:141] neg_lo:[0,1] neg_hi:[0,1]
	ds_load_2addr_b64 v[140:143], v135 offset0:30 offset1:31
	s_wait_dscnt 0x0
	v_pk_mul_f32 v[132:133], v[140:141], v[130:131] op_sel:[0,1]
	s_delay_alu instid0(VALU_DEP_1) | instskip(SKIP_1) | instid1(VALU_DEP_1)
	v_pk_fma_f32 v[144:145], v[140:141], v[128:129], v[132:133] op_sel:[0,0,1] op_sel_hi:[1,1,0] neg_lo:[0,0,1] neg_hi:[0,0,1]
	v_pk_fma_f32 v[132:133], v[140:141], v[128:129], v[132:133] op_sel:[0,0,1] op_sel_hi:[1,0,0]
	v_mov_b32_e32 v145, v133
	v_pk_mul_f32 v[132:133], v[142:143], v[130:131] op_sel:[0,1]
	s_delay_alu instid0(VALU_DEP_2) | instskip(NEXT) | instid1(VALU_DEP_2)
	v_pk_add_f32 v[66:67], v[66:67], v[144:145] neg_lo:[0,1] neg_hi:[0,1]
	v_pk_fma_f32 v[140:141], v[142:143], v[128:129], v[132:133] op_sel:[0,0,1] op_sel_hi:[1,1,0] neg_lo:[0,0,1] neg_hi:[0,0,1]
	v_pk_fma_f32 v[132:133], v[142:143], v[128:129], v[132:133] op_sel:[0,0,1] op_sel_hi:[1,0,0]
	s_delay_alu instid0(VALU_DEP_1) | instskip(NEXT) | instid1(VALU_DEP_1)
	v_mov_b32_e32 v141, v133
	v_pk_add_f32 v[62:63], v[62:63], v[140:141] neg_lo:[0,1] neg_hi:[0,1]
	ds_load_2addr_b64 v[140:143], v135 offset0:32 offset1:33
	s_wait_dscnt 0x0
	v_pk_mul_f32 v[132:133], v[140:141], v[130:131] op_sel:[0,1]
	s_delay_alu instid0(VALU_DEP_1) | instskip(SKIP_2) | instid1(VALU_DEP_2)
	v_pk_fma_f32 v[144:145], v[140:141], v[128:129], v[132:133] op_sel:[0,0,1] op_sel_hi:[1,1,0] neg_lo:[0,0,1] neg_hi:[0,0,1]
	v_pk_fma_f32 v[132:133], v[140:141], v[128:129], v[132:133] op_sel:[0,0,1] op_sel_hi:[1,0,0]
	v_dual_mul_f32 v140, v143, v131 :: v_dual_mov_b32 v132, v143
	v_dual_mov_b32 v145, v133 :: v_dual_mov_b32 v133, v142
	s_delay_alu instid0(VALU_DEP_2) | instskip(SKIP_1) | instid1(VALU_DEP_3)
	v_pk_fma_f32 v[140:141], v[142:143], v[104:105], v[140:141] op_sel_hi:[1,1,0] neg_lo:[0,0,1] neg_hi:[0,0,1]
	v_mul_f32_e32 v142, v143, v128
	v_pk_add_f32 v[60:61], v[60:61], v[144:145] neg_lo:[0,1] neg_hi:[0,1]
	s_delay_alu instid0(VALU_DEP_2) | instskip(NEXT) | instid1(VALU_DEP_1)
	v_pk_fma_f32 v[132:133], v[132:133], v[104:105], v[142:143] op_sel_hi:[1,1,0]
	v_mov_b32_e32 v141, v133
	s_delay_alu instid0(VALU_DEP_1) | instskip(SKIP_3) | instid1(VALU_DEP_1)
	v_pk_add_f32 v[56:57], v[56:57], v[140:141] neg_lo:[0,1] neg_hi:[0,1]
	ds_load_2addr_b64 v[140:143], v135 offset0:34 offset1:35
	s_wait_dscnt 0x0
	v_pk_mul_f32 v[132:133], v[140:141], v[130:131] op_sel:[0,1]
	v_pk_fma_f32 v[144:145], v[140:141], v[128:129], v[132:133] op_sel:[0,0,1] op_sel_hi:[1,1,0] neg_lo:[0,0,1] neg_hi:[0,0,1]
	v_pk_fma_f32 v[132:133], v[140:141], v[128:129], v[132:133] op_sel:[0,0,1] op_sel_hi:[1,0,0]
	s_delay_alu instid0(VALU_DEP_1) | instskip(SKIP_1) | instid1(VALU_DEP_1)
	v_mov_b32_e32 v145, v133
	v_pk_mul_f32 v[132:133], v[142:143], v[130:131] op_sel:[0,1]
	v_pk_fma_f32 v[140:141], v[142:143], v[128:129], v[132:133] op_sel:[0,0,1] op_sel_hi:[1,1,0] neg_lo:[0,0,1] neg_hi:[0,0,1]
	v_pk_fma_f32 v[132:133], v[142:143], v[128:129], v[132:133] op_sel:[0,0,1] op_sel_hi:[1,0,0]
	s_delay_alu instid0(VALU_DEP_1) | instskip(SKIP_1) | instid1(VALU_DEP_2)
	v_mov_b32_e32 v141, v133
	v_pk_add_f32 v[58:59], v[58:59], v[144:145] neg_lo:[0,1] neg_hi:[0,1]
	v_pk_add_f32 v[54:55], v[54:55], v[140:141] neg_lo:[0,1] neg_hi:[0,1]
	ds_load_2addr_b64 v[140:143], v135 offset0:36 offset1:37
	s_wait_dscnt 0x0
	v_pk_mul_f32 v[132:133], v[140:141], v[130:131] op_sel:[0,1]
	s_delay_alu instid0(VALU_DEP_1) | instskip(SKIP_1) | instid1(VALU_DEP_1)
	v_pk_fma_f32 v[144:145], v[140:141], v[128:129], v[132:133] op_sel:[0,0,1] op_sel_hi:[1,1,0] neg_lo:[0,0,1] neg_hi:[0,0,1]
	v_pk_fma_f32 v[132:133], v[140:141], v[128:129], v[132:133] op_sel:[0,0,1] op_sel_hi:[1,0,0]
	v_mov_b32_e32 v145, v133
	v_pk_mul_f32 v[132:133], v[142:143], v[130:131] op_sel:[0,1]
	s_delay_alu instid0(VALU_DEP_1) | instskip(SKIP_1) | instid1(VALU_DEP_1)
	v_pk_fma_f32 v[140:141], v[142:143], v[128:129], v[132:133] op_sel:[0,0,1] op_sel_hi:[1,1,0] neg_lo:[0,0,1] neg_hi:[0,0,1]
	v_pk_fma_f32 v[132:133], v[142:143], v[128:129], v[132:133] op_sel:[0,0,1] op_sel_hi:[1,0,0]
	v_mov_b32_e32 v141, v133
	v_pk_add_f32 v[52:53], v[52:53], v[144:145] neg_lo:[0,1] neg_hi:[0,1]
	s_delay_alu instid0(VALU_DEP_2) | instskip(SKIP_3) | instid1(VALU_DEP_1)
	v_pk_add_f32 v[48:49], v[48:49], v[140:141] neg_lo:[0,1] neg_hi:[0,1]
	ds_load_2addr_b64 v[140:143], v135 offset0:38 offset1:39
	s_wait_dscnt 0x0
	v_dual_mul_f32 v132, v141, v131 :: v_dual_mul_f32 v144, v141, v128
	v_pk_fma_f32 v[132:133], v[140:141], v[104:105], v[132:133] op_sel_hi:[1,1,0] neg_lo:[0,0,1] neg_hi:[0,0,1]
	s_delay_alu instid0(VALU_DEP_2) | instskip(NEXT) | instid1(VALU_DEP_1)
	v_pk_fma_f32 v[140:141], v[140:141], v[104:105], v[144:145] op_sel:[1,0,0] op_sel_hi:[0,1,0]
	v_mov_b32_e32 v133, v141
	s_delay_alu instid0(VALU_DEP_1) | instskip(SKIP_1) | instid1(VALU_DEP_1)
	v_pk_add_f32 v[50:51], v[50:51], v[132:133] neg_lo:[0,1] neg_hi:[0,1]
	v_pk_mul_f32 v[132:133], v[142:143], v[130:131] op_sel:[0,1]
	v_pk_fma_f32 v[140:141], v[142:143], v[128:129], v[132:133] op_sel:[0,0,1] op_sel_hi:[1,1,0] neg_lo:[0,0,1] neg_hi:[0,0,1]
	v_pk_fma_f32 v[132:133], v[142:143], v[128:129], v[132:133] op_sel:[0,0,1] op_sel_hi:[1,0,0]
	s_delay_alu instid0(VALU_DEP_1) | instskip(NEXT) | instid1(VALU_DEP_1)
	v_mov_b32_e32 v141, v133
	v_pk_add_f32 v[46:47], v[46:47], v[140:141] neg_lo:[0,1] neg_hi:[0,1]
	ds_load_2addr_b64 v[140:143], v135 offset0:40 offset1:41
	s_wait_dscnt 0x0
	v_pk_mul_f32 v[132:133], v[140:141], v[130:131] op_sel:[0,1]
	s_delay_alu instid0(VALU_DEP_1) | instskip(SKIP_1) | instid1(VALU_DEP_1)
	v_pk_fma_f32 v[144:145], v[140:141], v[128:129], v[132:133] op_sel:[0,0,1] op_sel_hi:[1,1,0] neg_lo:[0,0,1] neg_hi:[0,0,1]
	v_pk_fma_f32 v[132:133], v[140:141], v[128:129], v[132:133] op_sel:[0,0,1] op_sel_hi:[1,0,0]
	v_mov_b32_e32 v145, v133
	v_pk_mul_f32 v[132:133], v[142:143], v[130:131] op_sel:[0,1]
	s_delay_alu instid0(VALU_DEP_2) | instskip(NEXT) | instid1(VALU_DEP_2)
	v_pk_add_f32 v[42:43], v[42:43], v[144:145] neg_lo:[0,1] neg_hi:[0,1]
	v_pk_fma_f32 v[140:141], v[142:143], v[128:129], v[132:133] op_sel:[0,0,1] op_sel_hi:[1,1,0] neg_lo:[0,0,1] neg_hi:[0,0,1]
	v_pk_fma_f32 v[132:133], v[142:143], v[128:129], v[132:133] op_sel:[0,0,1] op_sel_hi:[1,0,0]
	s_delay_alu instid0(VALU_DEP_1) | instskip(NEXT) | instid1(VALU_DEP_1)
	v_mov_b32_e32 v141, v133
	v_pk_add_f32 v[38:39], v[38:39], v[140:141] neg_lo:[0,1] neg_hi:[0,1]
	ds_load_2addr_b64 v[140:143], v135 offset0:42 offset1:43
	s_wait_dscnt 0x0
	v_pk_mul_f32 v[132:133], v[140:141], v[130:131] op_sel:[0,1]
	s_delay_alu instid0(VALU_DEP_1) | instskip(SKIP_2) | instid1(VALU_DEP_2)
	v_pk_fma_f32 v[144:145], v[140:141], v[128:129], v[132:133] op_sel:[0,0,1] op_sel_hi:[1,1,0] neg_lo:[0,0,1] neg_hi:[0,0,1]
	v_pk_fma_f32 v[132:133], v[140:141], v[128:129], v[132:133] op_sel:[0,0,1] op_sel_hi:[1,0,0]
	v_dual_mul_f32 v140, v143, v131 :: v_dual_mov_b32 v132, v143
	v_dual_mov_b32 v145, v133 :: v_dual_mov_b32 v133, v142
	s_delay_alu instid0(VALU_DEP_2) | instskip(SKIP_1) | instid1(VALU_DEP_3)
	v_pk_fma_f32 v[140:141], v[142:143], v[104:105], v[140:141] op_sel_hi:[1,1,0] neg_lo:[0,0,1] neg_hi:[0,0,1]
	v_mul_f32_e32 v142, v143, v128
	v_pk_add_f32 v[40:41], v[40:41], v[144:145] neg_lo:[0,1] neg_hi:[0,1]
	s_delay_alu instid0(VALU_DEP_2) | instskip(NEXT) | instid1(VALU_DEP_1)
	v_pk_fma_f32 v[132:133], v[132:133], v[104:105], v[142:143] op_sel_hi:[1,1,0]
	v_mov_b32_e32 v141, v133
	s_delay_alu instid0(VALU_DEP_1) | instskip(SKIP_3) | instid1(VALU_DEP_1)
	v_pk_add_f32 v[36:37], v[36:37], v[140:141] neg_lo:[0,1] neg_hi:[0,1]
	ds_load_2addr_b64 v[140:143], v135 offset0:44 offset1:45
	s_wait_dscnt 0x0
	v_pk_mul_f32 v[132:133], v[140:141], v[130:131] op_sel:[0,1]
	v_pk_fma_f32 v[144:145], v[140:141], v[128:129], v[132:133] op_sel:[0,0,1] op_sel_hi:[1,1,0] neg_lo:[0,0,1] neg_hi:[0,0,1]
	v_pk_fma_f32 v[132:133], v[140:141], v[128:129], v[132:133] op_sel:[0,0,1] op_sel_hi:[1,0,0]
	s_delay_alu instid0(VALU_DEP_1) | instskip(SKIP_1) | instid1(VALU_DEP_1)
	v_mov_b32_e32 v145, v133
	v_pk_mul_f32 v[132:133], v[142:143], v[130:131] op_sel:[0,1]
	v_pk_fma_f32 v[140:141], v[142:143], v[128:129], v[132:133] op_sel:[0,0,1] op_sel_hi:[1,1,0] neg_lo:[0,0,1] neg_hi:[0,0,1]
	v_pk_fma_f32 v[132:133], v[142:143], v[128:129], v[132:133] op_sel:[0,0,1] op_sel_hi:[1,0,0]
	s_delay_alu instid0(VALU_DEP_1) | instskip(SKIP_1) | instid1(VALU_DEP_2)
	v_mov_b32_e32 v141, v133
	v_pk_add_f32 v[34:35], v[34:35], v[144:145] neg_lo:[0,1] neg_hi:[0,1]
	v_pk_add_f32 v[30:31], v[30:31], v[140:141] neg_lo:[0,1] neg_hi:[0,1]
	ds_load_2addr_b64 v[140:143], v135 offset0:46 offset1:47
	s_wait_dscnt 0x0
	v_pk_mul_f32 v[132:133], v[140:141], v[130:131] op_sel:[0,1]
	s_delay_alu instid0(VALU_DEP_1) | instskip(SKIP_1) | instid1(VALU_DEP_1)
	v_pk_fma_f32 v[144:145], v[140:141], v[128:129], v[132:133] op_sel:[0,0,1] op_sel_hi:[1,1,0] neg_lo:[0,0,1] neg_hi:[0,0,1]
	v_pk_fma_f32 v[132:133], v[140:141], v[128:129], v[132:133] op_sel:[0,0,1] op_sel_hi:[1,0,0]
	v_mov_b32_e32 v145, v133
	v_pk_mul_f32 v[132:133], v[142:143], v[130:131] op_sel:[0,1]
	s_delay_alu instid0(VALU_DEP_1) | instskip(SKIP_1) | instid1(VALU_DEP_1)
	v_pk_fma_f32 v[140:141], v[142:143], v[128:129], v[132:133] op_sel:[0,0,1] op_sel_hi:[1,1,0] neg_lo:[0,0,1] neg_hi:[0,0,1]
	v_pk_fma_f32 v[132:133], v[142:143], v[128:129], v[132:133] op_sel:[0,0,1] op_sel_hi:[1,0,0]
	v_mov_b32_e32 v141, v133
	v_pk_add_f32 v[32:33], v[32:33], v[144:145] neg_lo:[0,1] neg_hi:[0,1]
	s_delay_alu instid0(VALU_DEP_2) | instskip(SKIP_3) | instid1(VALU_DEP_1)
	v_pk_add_f32 v[28:29], v[28:29], v[140:141] neg_lo:[0,1] neg_hi:[0,1]
	ds_load_2addr_b64 v[140:143], v135 offset0:48 offset1:49
	s_wait_dscnt 0x0
	v_dual_mul_f32 v132, v141, v131 :: v_dual_mul_f32 v144, v141, v128
	v_pk_fma_f32 v[132:133], v[140:141], v[104:105], v[132:133] op_sel_hi:[1,1,0] neg_lo:[0,0,1] neg_hi:[0,0,1]
	s_delay_alu instid0(VALU_DEP_2) | instskip(NEXT) | instid1(VALU_DEP_1)
	v_pk_fma_f32 v[140:141], v[140:141], v[104:105], v[144:145] op_sel:[1,0,0] op_sel_hi:[0,1,0]
	v_mov_b32_e32 v133, v141
	s_delay_alu instid0(VALU_DEP_1) | instskip(SKIP_1) | instid1(VALU_DEP_1)
	v_pk_add_f32 v[26:27], v[26:27], v[132:133] neg_lo:[0,1] neg_hi:[0,1]
	v_pk_mul_f32 v[132:133], v[142:143], v[130:131] op_sel:[0,1]
	v_pk_fma_f32 v[140:141], v[142:143], v[128:129], v[132:133] op_sel:[0,0,1] op_sel_hi:[1,1,0] neg_lo:[0,0,1] neg_hi:[0,0,1]
	v_pk_fma_f32 v[132:133], v[142:143], v[128:129], v[132:133] op_sel:[0,0,1] op_sel_hi:[1,0,0]
	s_delay_alu instid0(VALU_DEP_1) | instskip(NEXT) | instid1(VALU_DEP_1)
	v_mov_b32_e32 v141, v133
	v_pk_add_f32 v[22:23], v[22:23], v[140:141] neg_lo:[0,1] neg_hi:[0,1]
	ds_load_2addr_b64 v[140:143], v135 offset0:50 offset1:51
	s_wait_dscnt 0x0
	v_pk_mul_f32 v[132:133], v[140:141], v[130:131] op_sel:[0,1]
	s_delay_alu instid0(VALU_DEP_1) | instskip(SKIP_1) | instid1(VALU_DEP_1)
	v_pk_fma_f32 v[144:145], v[140:141], v[128:129], v[132:133] op_sel:[0,0,1] op_sel_hi:[1,1,0] neg_lo:[0,0,1] neg_hi:[0,0,1]
	v_pk_fma_f32 v[132:133], v[140:141], v[128:129], v[132:133] op_sel:[0,0,1] op_sel_hi:[1,0,0]
	v_mov_b32_e32 v145, v133
	v_pk_mul_f32 v[132:133], v[142:143], v[130:131] op_sel:[0,1]
	s_delay_alu instid0(VALU_DEP_2) | instskip(NEXT) | instid1(VALU_DEP_2)
	v_pk_add_f32 v[24:25], v[24:25], v[144:145] neg_lo:[0,1] neg_hi:[0,1]
	v_pk_fma_f32 v[140:141], v[142:143], v[128:129], v[132:133] op_sel:[0,0,1] op_sel_hi:[1,1,0] neg_lo:[0,0,1] neg_hi:[0,0,1]
	v_pk_fma_f32 v[132:133], v[142:143], v[128:129], v[132:133] op_sel:[0,0,1] op_sel_hi:[1,0,0]
	s_delay_alu instid0(VALU_DEP_1) | instskip(NEXT) | instid1(VALU_DEP_1)
	v_mov_b32_e32 v141, v133
	v_pk_add_f32 v[44:45], v[44:45], v[140:141] neg_lo:[0,1] neg_hi:[0,1]
	ds_load_2addr_b64 v[140:143], v135 offset0:52 offset1:53
	s_wait_dscnt 0x0
	v_pk_mul_f32 v[132:133], v[140:141], v[130:131] op_sel:[0,1]
	s_delay_alu instid0(VALU_DEP_1) | instskip(SKIP_2) | instid1(VALU_DEP_2)
	v_pk_fma_f32 v[144:145], v[140:141], v[128:129], v[132:133] op_sel:[0,0,1] op_sel_hi:[1,1,0] neg_lo:[0,0,1] neg_hi:[0,0,1]
	v_pk_fma_f32 v[132:133], v[140:141], v[128:129], v[132:133] op_sel:[0,0,1] op_sel_hi:[1,0,0]
	v_dual_mul_f32 v140, v143, v131 :: v_dual_mov_b32 v132, v143
	v_dual_mov_b32 v145, v133 :: v_dual_mov_b32 v133, v142
	s_delay_alu instid0(VALU_DEP_2) | instskip(SKIP_1) | instid1(VALU_DEP_3)
	v_pk_fma_f32 v[140:141], v[142:143], v[104:105], v[140:141] op_sel_hi:[1,1,0] neg_lo:[0,0,1] neg_hi:[0,0,1]
	v_mul_f32_e32 v142, v143, v128
	v_pk_add_f32 v[16:17], v[16:17], v[144:145] neg_lo:[0,1] neg_hi:[0,1]
	s_delay_alu instid0(VALU_DEP_2) | instskip(NEXT) | instid1(VALU_DEP_1)
	v_pk_fma_f32 v[132:133], v[132:133], v[104:105], v[142:143] op_sel_hi:[1,1,0]
	v_mov_b32_e32 v141, v133
	s_delay_alu instid0(VALU_DEP_1) | instskip(SKIP_3) | instid1(VALU_DEP_1)
	v_pk_add_f32 v[12:13], v[12:13], v[140:141] neg_lo:[0,1] neg_hi:[0,1]
	ds_load_2addr_b64 v[140:143], v135 offset0:54 offset1:55
	s_wait_dscnt 0x0
	v_pk_mul_f32 v[132:133], v[140:141], v[130:131] op_sel:[0,1]
	v_pk_fma_f32 v[144:145], v[140:141], v[128:129], v[132:133] op_sel:[0,0,1] op_sel_hi:[1,1,0] neg_lo:[0,0,1] neg_hi:[0,0,1]
	v_pk_fma_f32 v[132:133], v[140:141], v[128:129], v[132:133] op_sel:[0,0,1] op_sel_hi:[1,0,0]
	s_delay_alu instid0(VALU_DEP_1) | instskip(SKIP_1) | instid1(VALU_DEP_1)
	v_mov_b32_e32 v145, v133
	v_pk_mul_f32 v[132:133], v[142:143], v[130:131] op_sel:[0,1]
	v_pk_fma_f32 v[140:141], v[142:143], v[128:129], v[132:133] op_sel:[0,0,1] op_sel_hi:[1,1,0] neg_lo:[0,0,1] neg_hi:[0,0,1]
	v_pk_fma_f32 v[132:133], v[142:143], v[128:129], v[132:133] op_sel:[0,0,1] op_sel_hi:[1,0,0]
	s_delay_alu instid0(VALU_DEP_1) | instskip(SKIP_1) | instid1(VALU_DEP_2)
	v_mov_b32_e32 v141, v133
	v_pk_add_f32 v[14:15], v[14:15], v[144:145] neg_lo:[0,1] neg_hi:[0,1]
	v_pk_add_f32 v[10:11], v[10:11], v[140:141] neg_lo:[0,1] neg_hi:[0,1]
	ds_load_2addr_b64 v[140:143], v135 offset0:56 offset1:57
	s_wait_dscnt 0x0
	v_pk_mul_f32 v[132:133], v[140:141], v[130:131] op_sel:[0,1]
	s_delay_alu instid0(VALU_DEP_1) | instskip(SKIP_1) | instid1(VALU_DEP_1)
	v_pk_fma_f32 v[144:145], v[140:141], v[128:129], v[132:133] op_sel:[0,0,1] op_sel_hi:[1,1,0] neg_lo:[0,0,1] neg_hi:[0,0,1]
	v_pk_fma_f32 v[132:133], v[140:141], v[128:129], v[132:133] op_sel:[0,0,1] op_sel_hi:[1,0,0]
	v_mov_b32_e32 v145, v133
	v_pk_mul_f32 v[132:133], v[142:143], v[130:131] op_sel:[0,1]
	s_delay_alu instid0(VALU_DEP_1) | instskip(SKIP_1) | instid1(VALU_DEP_1)
	v_pk_fma_f32 v[140:141], v[142:143], v[128:129], v[132:133] op_sel:[0,0,1] op_sel_hi:[1,1,0] neg_lo:[0,0,1] neg_hi:[0,0,1]
	v_pk_fma_f32 v[132:133], v[142:143], v[128:129], v[132:133] op_sel:[0,0,1] op_sel_hi:[1,0,0]
	v_mov_b32_e32 v141, v133
	v_pk_add_f32 v[6:7], v[6:7], v[144:145] neg_lo:[0,1] neg_hi:[0,1]
	s_delay_alu instid0(VALU_DEP_2) | instskip(SKIP_3) | instid1(VALU_DEP_1)
	v_pk_add_f32 v[20:21], v[20:21], v[140:141] neg_lo:[0,1] neg_hi:[0,1]
	ds_load_2addr_b64 v[140:143], v135 offset0:58 offset1:59
	s_wait_dscnt 0x0
	v_dual_mul_f32 v132, v141, v131 :: v_dual_mul_f32 v144, v141, v128
	v_pk_fma_f32 v[132:133], v[140:141], v[104:105], v[132:133] op_sel_hi:[1,1,0] neg_lo:[0,0,1] neg_hi:[0,0,1]
	s_delay_alu instid0(VALU_DEP_2) | instskip(NEXT) | instid1(VALU_DEP_1)
	v_pk_fma_f32 v[140:141], v[140:141], v[104:105], v[144:145] op_sel:[1,0,0] op_sel_hi:[0,1,0]
	v_mov_b32_e32 v133, v141
	s_delay_alu instid0(VALU_DEP_1) | instskip(SKIP_1) | instid1(VALU_DEP_1)
	v_pk_add_f32 v[18:19], v[18:19], v[132:133] neg_lo:[0,1] neg_hi:[0,1]
	v_pk_mul_f32 v[132:133], v[142:143], v[130:131] op_sel:[0,1]
	v_pk_fma_f32 v[140:141], v[142:143], v[128:129], v[132:133] op_sel:[0,0,1] op_sel_hi:[1,1,0] neg_lo:[0,0,1] neg_hi:[0,0,1]
	v_pk_fma_f32 v[132:133], v[142:143], v[128:129], v[132:133] op_sel:[0,0,1] op_sel_hi:[1,0,0]
	s_delay_alu instid0(VALU_DEP_1) | instskip(SKIP_4) | instid1(VALU_DEP_1)
	v_mov_b32_e32 v141, v133
	ds_load_b64 v[132:133], v135 offset:480
	v_pk_add_f32 v[8:9], v[8:9], v[140:141] neg_lo:[0,1] neg_hi:[0,1]
	s_wait_dscnt 0x0
	v_pk_mul_f32 v[130:131], v[132:133], v[130:131] op_sel:[0,1]
	v_pk_fma_f32 v[140:141], v[132:133], v[128:129], v[130:131] op_sel:[0,0,1] op_sel_hi:[1,1,0] neg_lo:[0,0,1] neg_hi:[0,0,1]
	v_pk_fma_f32 v[128:129], v[132:133], v[128:129], v[130:131] op_sel:[0,0,1] op_sel_hi:[1,0,0]
	s_delay_alu instid0(VALU_DEP_1) | instskip(NEXT) | instid1(VALU_DEP_1)
	v_mov_b32_e32 v141, v129
	v_pk_add_f32 v[126:127], v[126:127], v[140:141] neg_lo:[0,1] neg_hi:[0,1]
.LBB120_209:
	s_or_b32 exec_lo, exec_lo, s0
	v_lshl_add_u32 v128, v138, 3, v135
	s_barrier_signal -1
	s_barrier_wait -1
	ds_store_b64 v128, v[106:107]
	s_wait_dscnt 0x0
	s_barrier_signal -1
	s_barrier_wait -1
	ds_load_b64 v[130:131], v135 offset:80
	v_mov_b32_e32 v128, 10
	s_cmp_lt_i32 s18, 12
	s_cbranch_scc1 .LBB120_212
; %bb.210:
	v_add3_u32 v129, v136, 0, 0x58
	v_mov_b32_e32 v128, 10
	s_mov_b32 s0, 11
.LBB120_211:                            ; =>This Inner Loop Header: Depth=1
	ds_load_b64 v[132:133], v129
	s_wait_dscnt 0x1
	v_cmp_gt_f32_e32 vcc_lo, 0, v130
	v_cndmask_b32_e64 v140, v130, -v130, vcc_lo
	v_cmp_gt_f32_e32 vcc_lo, 0, v131
	v_cndmask_b32_e64 v142, v131, -v131, vcc_lo
	s_wait_dscnt 0x0
	v_cmp_gt_f32_e32 vcc_lo, 0, v132
	v_cndmask_b32_e64 v141, v132, -v132, vcc_lo
	v_cmp_gt_f32_e32 vcc_lo, 0, v133
	v_cndmask_b32_e64 v143, v133, -v133, vcc_lo
	s_delay_alu instid0(VALU_DEP_1) | instskip(NEXT) | instid1(VALU_DEP_1)
	v_pk_add_f32 v[140:141], v[140:141], v[142:143]
	v_cmp_lt_f32_e32 vcc_lo, v140, v141
	v_dual_cndmask_b32 v130, v130, v132 :: v_dual_add_nc_u32 v129, 8, v129
	v_cndmask_b32_e32 v131, v131, v133, vcc_lo
	v_cndmask_b32_e64 v128, v128, s0, vcc_lo
	s_add_co_i32 s0, s0, 1
	s_delay_alu instid0(SALU_CYCLE_1)
	s_cmp_lg_u32 s18, s0
	s_cbranch_scc1 .LBB120_211
.LBB120_212:
	s_wait_dscnt 0x0
	v_cmp_eq_f32_e32 vcc_lo, 0, v130
	v_cmp_eq_f32_e64 s0, 0, v131
	s_and_b32 s0, vcc_lo, s0
	s_delay_alu instid0(SALU_CYCLE_1) | instskip(NEXT) | instid1(SALU_CYCLE_1)
	s_and_saveexec_b32 s1, s0
	s_xor_b32 s0, exec_lo, s1
; %bb.213:
	v_cmp_ne_u32_e32 vcc_lo, 0, v134
	v_cndmask_b32_e32 v134, 11, v134, vcc_lo
; %bb.214:
	s_and_not1_saveexec_b32 s0, s0
	s_cbranch_execz .LBB120_220
; %bb.215:
	v_cmp_ngt_f32_e64 s1, |v130|, |v131|
	s_and_saveexec_b32 s12, s1
	s_delay_alu instid0(SALU_CYCLE_1)
	s_xor_b32 s1, exec_lo, s12
	s_cbranch_execz .LBB120_217
; %bb.216:
	v_div_scale_f32 v129, null, v131, v131, v130
	v_div_scale_f32 v139, vcc_lo, v130, v131, v130
	s_delay_alu instid0(VALU_DEP_2) | instskip(SKIP_1) | instid1(TRANS32_DEP_1)
	v_rcp_f32_e32 v132, v129
	v_nop
	v_fma_f32 v133, -v129, v132, 1.0
	s_delay_alu instid0(VALU_DEP_1) | instskip(NEXT) | instid1(VALU_DEP_1)
	v_fmac_f32_e32 v132, v133, v132
	v_mul_f32_e32 v133, v139, v132
	s_delay_alu instid0(VALU_DEP_1) | instskip(NEXT) | instid1(VALU_DEP_1)
	v_fma_f32 v140, -v129, v133, v139
	v_fmac_f32_e32 v133, v140, v132
	s_delay_alu instid0(VALU_DEP_1) | instskip(NEXT) | instid1(VALU_DEP_1)
	v_fma_f32 v129, -v129, v133, v139
	v_div_fmas_f32 v129, v129, v132, v133
	s_delay_alu instid0(VALU_DEP_1) | instskip(NEXT) | instid1(VALU_DEP_1)
	v_div_fixup_f32 v129, v129, v131, v130
	v_fmac_f32_e32 v131, v130, v129
	s_delay_alu instid0(VALU_DEP_1) | instskip(SKIP_1) | instid1(VALU_DEP_2)
	v_div_scale_f32 v130, null, v131, v131, 1.0
	v_div_scale_f32 v139, vcc_lo, 1.0, v131, 1.0
	v_rcp_f32_e32 v132, v130
	v_nop
	s_delay_alu instid0(TRANS32_DEP_1) | instskip(NEXT) | instid1(VALU_DEP_1)
	v_fma_f32 v133, -v130, v132, 1.0
	v_fmac_f32_e32 v132, v133, v132
	s_delay_alu instid0(VALU_DEP_1) | instskip(NEXT) | instid1(VALU_DEP_1)
	v_mul_f32_e32 v133, v139, v132
	v_fma_f32 v140, -v130, v133, v139
	s_delay_alu instid0(VALU_DEP_1) | instskip(NEXT) | instid1(VALU_DEP_1)
	v_fmac_f32_e32 v133, v140, v132
	v_fma_f32 v130, -v130, v133, v139
	s_delay_alu instid0(VALU_DEP_1) | instskip(NEXT) | instid1(VALU_DEP_1)
	v_div_fmas_f32 v130, v130, v132, v133
	v_div_fixup_f32 v131, v130, v131, 1.0
	s_delay_alu instid0(VALU_DEP_1)
	v_mul_f32_e32 v130, v129, v131
	v_xor_b32_e32 v131, 0x80000000, v131
.LBB120_217:
	s_and_not1_saveexec_b32 s1, s1
	s_cbranch_execz .LBB120_219
; %bb.218:
	s_delay_alu instid0(VALU_DEP_1) | instskip(SKIP_1) | instid1(VALU_DEP_2)
	v_div_scale_f32 v129, null, v130, v130, v131
	v_div_scale_f32 v139, vcc_lo, v131, v130, v131
	v_rcp_f32_e32 v132, v129
	v_nop
	s_delay_alu instid0(TRANS32_DEP_1) | instskip(NEXT) | instid1(VALU_DEP_1)
	v_fma_f32 v133, -v129, v132, 1.0
	v_fmac_f32_e32 v132, v133, v132
	s_delay_alu instid0(VALU_DEP_1) | instskip(NEXT) | instid1(VALU_DEP_1)
	v_mul_f32_e32 v133, v139, v132
	v_fma_f32 v140, -v129, v133, v139
	s_delay_alu instid0(VALU_DEP_1) | instskip(NEXT) | instid1(VALU_DEP_1)
	v_fmac_f32_e32 v133, v140, v132
	v_fma_f32 v129, -v129, v133, v139
	s_delay_alu instid0(VALU_DEP_1) | instskip(NEXT) | instid1(VALU_DEP_1)
	v_div_fmas_f32 v129, v129, v132, v133
	v_div_fixup_f32 v129, v129, v130, v131
	s_delay_alu instid0(VALU_DEP_1) | instskip(NEXT) | instid1(VALU_DEP_1)
	v_fmac_f32_e32 v130, v131, v129
	v_div_scale_f32 v131, null, v130, v130, 1.0
	s_delay_alu instid0(VALU_DEP_1) | instskip(SKIP_1) | instid1(TRANS32_DEP_1)
	v_rcp_f32_e32 v132, v131
	v_nop
	v_fma_f32 v133, -v131, v132, 1.0
	s_delay_alu instid0(VALU_DEP_1) | instskip(SKIP_1) | instid1(VALU_DEP_1)
	v_fmac_f32_e32 v132, v133, v132
	v_div_scale_f32 v133, vcc_lo, 1.0, v130, 1.0
	v_mul_f32_e32 v139, v133, v132
	s_delay_alu instid0(VALU_DEP_1) | instskip(NEXT) | instid1(VALU_DEP_1)
	v_fma_f32 v140, -v131, v139, v133
	v_fmac_f32_e32 v139, v140, v132
	s_delay_alu instid0(VALU_DEP_1) | instskip(NEXT) | instid1(VALU_DEP_1)
	v_fma_f32 v131, -v131, v139, v133
	v_div_fmas_f32 v131, v131, v132, v139
	s_delay_alu instid0(VALU_DEP_1) | instskip(NEXT) | instid1(VALU_DEP_1)
	v_div_fixup_f32 v130, v131, v130, 1.0
	v_mul_f32_e64 v131, v129, -v130
.LBB120_219:
	s_or_b32 exec_lo, exec_lo, s1
.LBB120_220:
	s_delay_alu instid0(SALU_CYCLE_1) | instskip(NEXT) | instid1(SALU_CYCLE_1)
	s_or_b32 exec_lo, exec_lo, s0
	s_mov_b32 s0, exec_lo
	v_cmpx_ne_u32_e64 v138, v128
	s_xor_b32 s0, exec_lo, s0
	s_cbranch_execz .LBB120_226
; %bb.221:
	s_mov_b32 s1, exec_lo
	v_cmpx_eq_u32_e32 10, v138
	s_cbranch_execz .LBB120_225
; %bb.222:
	v_cmp_ne_u32_e32 vcc_lo, 10, v128
	s_xor_b32 s12, s16, -1
	s_delay_alu instid0(SALU_CYCLE_1) | instskip(NEXT) | instid1(SALU_CYCLE_1)
	s_and_b32 s13, s12, vcc_lo
	s_and_saveexec_b32 s12, s13
	s_cbranch_execz .LBB120_224
; %bb.223:
	v_ashrrev_i32_e32 v129, 31, v128
	s_delay_alu instid0(VALU_DEP_1)
	v_lshl_add_u64 v[132:133], v[128:129], 2, v[4:5]
	s_clause 0x1
	global_load_b32 v129, v[132:133], off
	global_load_b32 v137, v[4:5], off offset:40
	s_wait_loadcnt 0x1
	global_store_b32 v[4:5], v129, off offset:40
	s_wait_loadcnt 0x0
	global_store_b32 v[132:133], v137, off
.LBB120_224:
	s_wait_xcnt 0x0
	s_or_b32 exec_lo, exec_lo, s12
	v_dual_mov_b32 v138, v128 :: v_dual_mov_b32 v137, v128
.LBB120_225:
	s_or_b32 exec_lo, exec_lo, s1
.LBB120_226:
	s_and_not1_saveexec_b32 s0, s0
	s_cbranch_execz .LBB120_228
; %bb.227:
	v_mov_b32_e32 v138, 10
	ds_store_2addr_b64 v135, v[102:103], v[100:101] offset0:11 offset1:12
	ds_store_2addr_b64 v135, v[96:97], v[98:99] offset0:13 offset1:14
	;; [unrolled: 1-line block ×25, first 2 shown]
.LBB120_228:
	s_or_b32 exec_lo, exec_lo, s0
	s_delay_alu instid0(SALU_CYCLE_1)
	s_mov_b32 s0, exec_lo
	s_wait_storecnt_dscnt 0x0
	s_barrier_signal -1
	s_barrier_wait -1
	v_cmpx_lt_i32_e32 10, v138
	s_cbranch_execz .LBB120_230
; %bb.229:
	ds_load_2addr_b64 v[140:143], v135 offset0:11 offset1:12
	v_pk_mul_f32 v[132:133], v[130:131], v[106:107] op_sel:[1,1] op_sel_hi:[0,1]
	s_delay_alu instid0(VALU_DEP_1) | instskip(SKIP_1) | instid1(VALU_DEP_1)
	v_pk_fma_f32 v[128:129], v[130:131], v[106:107], v[132:133] op_sel_hi:[1,0,1] neg_lo:[0,0,1] neg_hi:[0,0,1]
	v_pk_fma_f32 v[130:131], v[130:131], v[106:107], v[132:133] op_sel_hi:[1,0,1]
	v_dual_mov_b32 v106, v128 :: v_dual_mov_b32 v107, v131
	s_wait_dscnt 0x0
	s_delay_alu instid0(VALU_DEP_2) | instskip(NEXT) | instid1(VALU_DEP_1)
	v_pk_mul_f32 v[132:133], v[140:141], v[130:131] op_sel:[0,1]
	v_pk_fma_f32 v[144:145], v[140:141], v[128:129], v[132:133] op_sel:[0,0,1] op_sel_hi:[1,1,0] neg_lo:[0,0,1] neg_hi:[0,0,1]
	v_pk_fma_f32 v[132:133], v[140:141], v[128:129], v[132:133] op_sel:[0,0,1] op_sel_hi:[1,0,0]
	s_delay_alu instid0(VALU_DEP_1) | instskip(SKIP_1) | instid1(VALU_DEP_1)
	v_mov_b32_e32 v145, v133
	v_pk_mul_f32 v[132:133], v[142:143], v[130:131] op_sel:[0,1]
	v_pk_fma_f32 v[140:141], v[142:143], v[128:129], v[132:133] op_sel:[0,0,1] op_sel_hi:[1,1,0] neg_lo:[0,0,1] neg_hi:[0,0,1]
	v_pk_fma_f32 v[132:133], v[142:143], v[128:129], v[132:133] op_sel:[0,0,1] op_sel_hi:[1,0,0]
	s_delay_alu instid0(VALU_DEP_1) | instskip(SKIP_1) | instid1(VALU_DEP_2)
	v_mov_b32_e32 v141, v133
	v_pk_add_f32 v[102:103], v[102:103], v[144:145] neg_lo:[0,1] neg_hi:[0,1]
	v_pk_add_f32 v[100:101], v[100:101], v[140:141] neg_lo:[0,1] neg_hi:[0,1]
	ds_load_2addr_b64 v[140:143], v135 offset0:13 offset1:14
	s_wait_dscnt 0x0
	v_pk_mul_f32 v[132:133], v[140:141], v[130:131] op_sel:[0,1]
	s_delay_alu instid0(VALU_DEP_1) | instskip(SKIP_2) | instid1(VALU_DEP_2)
	v_pk_fma_f32 v[144:145], v[140:141], v[128:129], v[132:133] op_sel:[0,0,1] op_sel_hi:[1,1,0] neg_lo:[0,0,1] neg_hi:[0,0,1]
	v_pk_fma_f32 v[132:133], v[140:141], v[128:129], v[132:133] op_sel:[0,0,1] op_sel_hi:[1,0,0]
	v_dual_mul_f32 v140, v143, v131 :: v_dual_mov_b32 v132, v143
	v_dual_mov_b32 v145, v133 :: v_dual_mov_b32 v133, v142
	s_delay_alu instid0(VALU_DEP_2) | instskip(SKIP_1) | instid1(VALU_DEP_3)
	v_pk_fma_f32 v[140:141], v[142:143], v[106:107], v[140:141] op_sel_hi:[1,1,0] neg_lo:[0,0,1] neg_hi:[0,0,1]
	v_mul_f32_e32 v142, v143, v128
	v_pk_add_f32 v[96:97], v[96:97], v[144:145] neg_lo:[0,1] neg_hi:[0,1]
	s_delay_alu instid0(VALU_DEP_2) | instskip(NEXT) | instid1(VALU_DEP_1)
	v_pk_fma_f32 v[132:133], v[132:133], v[106:107], v[142:143] op_sel_hi:[1,1,0]
	v_mov_b32_e32 v141, v133
	s_delay_alu instid0(VALU_DEP_1) | instskip(SKIP_3) | instid1(VALU_DEP_1)
	v_pk_add_f32 v[98:99], v[98:99], v[140:141] neg_lo:[0,1] neg_hi:[0,1]
	ds_load_2addr_b64 v[140:143], v135 offset0:15 offset1:16
	s_wait_dscnt 0x0
	v_pk_mul_f32 v[132:133], v[140:141], v[130:131] op_sel:[0,1]
	v_pk_fma_f32 v[144:145], v[140:141], v[128:129], v[132:133] op_sel:[0,0,1] op_sel_hi:[1,1,0] neg_lo:[0,0,1] neg_hi:[0,0,1]
	v_pk_fma_f32 v[132:133], v[140:141], v[128:129], v[132:133] op_sel:[0,0,1] op_sel_hi:[1,0,0]
	s_delay_alu instid0(VALU_DEP_1) | instskip(SKIP_1) | instid1(VALU_DEP_1)
	v_mov_b32_e32 v145, v133
	v_pk_mul_f32 v[132:133], v[142:143], v[130:131] op_sel:[0,1]
	v_pk_fma_f32 v[140:141], v[142:143], v[128:129], v[132:133] op_sel:[0,0,1] op_sel_hi:[1,1,0] neg_lo:[0,0,1] neg_hi:[0,0,1]
	v_pk_fma_f32 v[132:133], v[142:143], v[128:129], v[132:133] op_sel:[0,0,1] op_sel_hi:[1,0,0]
	s_delay_alu instid0(VALU_DEP_1) | instskip(SKIP_1) | instid1(VALU_DEP_2)
	v_mov_b32_e32 v141, v133
	v_pk_add_f32 v[94:95], v[94:95], v[144:145] neg_lo:[0,1] neg_hi:[0,1]
	v_pk_add_f32 v[92:93], v[92:93], v[140:141] neg_lo:[0,1] neg_hi:[0,1]
	ds_load_2addr_b64 v[140:143], v135 offset0:17 offset1:18
	s_wait_dscnt 0x0
	v_pk_mul_f32 v[132:133], v[140:141], v[130:131] op_sel:[0,1]
	s_delay_alu instid0(VALU_DEP_1) | instskip(SKIP_1) | instid1(VALU_DEP_1)
	v_pk_fma_f32 v[144:145], v[140:141], v[128:129], v[132:133] op_sel:[0,0,1] op_sel_hi:[1,1,0] neg_lo:[0,0,1] neg_hi:[0,0,1]
	v_pk_fma_f32 v[132:133], v[140:141], v[128:129], v[132:133] op_sel:[0,0,1] op_sel_hi:[1,0,0]
	v_mov_b32_e32 v145, v133
	v_pk_mul_f32 v[132:133], v[142:143], v[130:131] op_sel:[0,1]
	s_delay_alu instid0(VALU_DEP_1) | instskip(SKIP_1) | instid1(VALU_DEP_1)
	v_pk_fma_f32 v[140:141], v[142:143], v[128:129], v[132:133] op_sel:[0,0,1] op_sel_hi:[1,1,0] neg_lo:[0,0,1] neg_hi:[0,0,1]
	v_pk_fma_f32 v[132:133], v[142:143], v[128:129], v[132:133] op_sel:[0,0,1] op_sel_hi:[1,0,0]
	v_mov_b32_e32 v141, v133
	v_pk_add_f32 v[88:89], v[88:89], v[144:145] neg_lo:[0,1] neg_hi:[0,1]
	s_delay_alu instid0(VALU_DEP_2) | instskip(SKIP_3) | instid1(VALU_DEP_1)
	v_pk_add_f32 v[90:91], v[90:91], v[140:141] neg_lo:[0,1] neg_hi:[0,1]
	ds_load_2addr_b64 v[140:143], v135 offset0:19 offset1:20
	s_wait_dscnt 0x0
	v_dual_mul_f32 v132, v141, v131 :: v_dual_mul_f32 v144, v141, v128
	v_pk_fma_f32 v[132:133], v[140:141], v[106:107], v[132:133] op_sel_hi:[1,1,0] neg_lo:[0,0,1] neg_hi:[0,0,1]
	s_delay_alu instid0(VALU_DEP_2) | instskip(NEXT) | instid1(VALU_DEP_1)
	v_pk_fma_f32 v[140:141], v[140:141], v[106:107], v[144:145] op_sel:[1,0,0] op_sel_hi:[0,1,0]
	v_mov_b32_e32 v133, v141
	s_delay_alu instid0(VALU_DEP_1) | instskip(SKIP_1) | instid1(VALU_DEP_1)
	v_pk_add_f32 v[86:87], v[86:87], v[132:133] neg_lo:[0,1] neg_hi:[0,1]
	v_pk_mul_f32 v[132:133], v[142:143], v[130:131] op_sel:[0,1]
	v_pk_fma_f32 v[140:141], v[142:143], v[128:129], v[132:133] op_sel:[0,0,1] op_sel_hi:[1,1,0] neg_lo:[0,0,1] neg_hi:[0,0,1]
	v_pk_fma_f32 v[132:133], v[142:143], v[128:129], v[132:133] op_sel:[0,0,1] op_sel_hi:[1,0,0]
	s_delay_alu instid0(VALU_DEP_1) | instskip(NEXT) | instid1(VALU_DEP_1)
	v_mov_b32_e32 v141, v133
	v_pk_add_f32 v[84:85], v[84:85], v[140:141] neg_lo:[0,1] neg_hi:[0,1]
	ds_load_2addr_b64 v[140:143], v135 offset0:21 offset1:22
	s_wait_dscnt 0x0
	v_pk_mul_f32 v[132:133], v[140:141], v[130:131] op_sel:[0,1]
	s_delay_alu instid0(VALU_DEP_1) | instskip(SKIP_1) | instid1(VALU_DEP_1)
	v_pk_fma_f32 v[144:145], v[140:141], v[128:129], v[132:133] op_sel:[0,0,1] op_sel_hi:[1,1,0] neg_lo:[0,0,1] neg_hi:[0,0,1]
	v_pk_fma_f32 v[132:133], v[140:141], v[128:129], v[132:133] op_sel:[0,0,1] op_sel_hi:[1,0,0]
	v_mov_b32_e32 v145, v133
	v_pk_mul_f32 v[132:133], v[142:143], v[130:131] op_sel:[0,1]
	s_delay_alu instid0(VALU_DEP_2) | instskip(NEXT) | instid1(VALU_DEP_2)
	v_pk_add_f32 v[80:81], v[80:81], v[144:145] neg_lo:[0,1] neg_hi:[0,1]
	v_pk_fma_f32 v[140:141], v[142:143], v[128:129], v[132:133] op_sel:[0,0,1] op_sel_hi:[1,1,0] neg_lo:[0,0,1] neg_hi:[0,0,1]
	v_pk_fma_f32 v[132:133], v[142:143], v[128:129], v[132:133] op_sel:[0,0,1] op_sel_hi:[1,0,0]
	s_delay_alu instid0(VALU_DEP_1) | instskip(NEXT) | instid1(VALU_DEP_1)
	v_mov_b32_e32 v141, v133
	v_pk_add_f32 v[82:83], v[82:83], v[140:141] neg_lo:[0,1] neg_hi:[0,1]
	ds_load_2addr_b64 v[140:143], v135 offset0:23 offset1:24
	s_wait_dscnt 0x0
	v_pk_mul_f32 v[132:133], v[140:141], v[130:131] op_sel:[0,1]
	s_delay_alu instid0(VALU_DEP_1) | instskip(SKIP_2) | instid1(VALU_DEP_2)
	v_pk_fma_f32 v[144:145], v[140:141], v[128:129], v[132:133] op_sel:[0,0,1] op_sel_hi:[1,1,0] neg_lo:[0,0,1] neg_hi:[0,0,1]
	v_pk_fma_f32 v[132:133], v[140:141], v[128:129], v[132:133] op_sel:[0,0,1] op_sel_hi:[1,0,0]
	v_dual_mul_f32 v140, v143, v131 :: v_dual_mov_b32 v132, v143
	v_dual_mov_b32 v145, v133 :: v_dual_mov_b32 v133, v142
	s_delay_alu instid0(VALU_DEP_2) | instskip(SKIP_1) | instid1(VALU_DEP_3)
	v_pk_fma_f32 v[140:141], v[142:143], v[106:107], v[140:141] op_sel_hi:[1,1,0] neg_lo:[0,0,1] neg_hi:[0,0,1]
	v_mul_f32_e32 v142, v143, v128
	v_pk_add_f32 v[78:79], v[78:79], v[144:145] neg_lo:[0,1] neg_hi:[0,1]
	s_delay_alu instid0(VALU_DEP_2) | instskip(NEXT) | instid1(VALU_DEP_1)
	v_pk_fma_f32 v[132:133], v[132:133], v[106:107], v[142:143] op_sel_hi:[1,1,0]
	v_mov_b32_e32 v141, v133
	s_delay_alu instid0(VALU_DEP_1) | instskip(SKIP_3) | instid1(VALU_DEP_1)
	v_pk_add_f32 v[76:77], v[76:77], v[140:141] neg_lo:[0,1] neg_hi:[0,1]
	ds_load_2addr_b64 v[140:143], v135 offset0:25 offset1:26
	s_wait_dscnt 0x0
	v_pk_mul_f32 v[132:133], v[140:141], v[130:131] op_sel:[0,1]
	v_pk_fma_f32 v[144:145], v[140:141], v[128:129], v[132:133] op_sel:[0,0,1] op_sel_hi:[1,1,0] neg_lo:[0,0,1] neg_hi:[0,0,1]
	v_pk_fma_f32 v[132:133], v[140:141], v[128:129], v[132:133] op_sel:[0,0,1] op_sel_hi:[1,0,0]
	s_delay_alu instid0(VALU_DEP_1) | instskip(SKIP_1) | instid1(VALU_DEP_1)
	v_mov_b32_e32 v145, v133
	v_pk_mul_f32 v[132:133], v[142:143], v[130:131] op_sel:[0,1]
	v_pk_fma_f32 v[140:141], v[142:143], v[128:129], v[132:133] op_sel:[0,0,1] op_sel_hi:[1,1,0] neg_lo:[0,0,1] neg_hi:[0,0,1]
	v_pk_fma_f32 v[132:133], v[142:143], v[128:129], v[132:133] op_sel:[0,0,1] op_sel_hi:[1,0,0]
	s_delay_alu instid0(VALU_DEP_1) | instskip(SKIP_1) | instid1(VALU_DEP_2)
	v_mov_b32_e32 v141, v133
	v_pk_add_f32 v[72:73], v[72:73], v[144:145] neg_lo:[0,1] neg_hi:[0,1]
	v_pk_add_f32 v[74:75], v[74:75], v[140:141] neg_lo:[0,1] neg_hi:[0,1]
	ds_load_2addr_b64 v[140:143], v135 offset0:27 offset1:28
	s_wait_dscnt 0x0
	v_pk_mul_f32 v[132:133], v[140:141], v[130:131] op_sel:[0,1]
	s_delay_alu instid0(VALU_DEP_1) | instskip(SKIP_1) | instid1(VALU_DEP_1)
	v_pk_fma_f32 v[144:145], v[140:141], v[128:129], v[132:133] op_sel:[0,0,1] op_sel_hi:[1,1,0] neg_lo:[0,0,1] neg_hi:[0,0,1]
	v_pk_fma_f32 v[132:133], v[140:141], v[128:129], v[132:133] op_sel:[0,0,1] op_sel_hi:[1,0,0]
	v_mov_b32_e32 v145, v133
	v_pk_mul_f32 v[132:133], v[142:143], v[130:131] op_sel:[0,1]
	s_delay_alu instid0(VALU_DEP_1) | instskip(SKIP_1) | instid1(VALU_DEP_1)
	v_pk_fma_f32 v[140:141], v[142:143], v[128:129], v[132:133] op_sel:[0,0,1] op_sel_hi:[1,1,0] neg_lo:[0,0,1] neg_hi:[0,0,1]
	v_pk_fma_f32 v[132:133], v[142:143], v[128:129], v[132:133] op_sel:[0,0,1] op_sel_hi:[1,0,0]
	v_mov_b32_e32 v141, v133
	v_pk_add_f32 v[70:71], v[70:71], v[144:145] neg_lo:[0,1] neg_hi:[0,1]
	s_delay_alu instid0(VALU_DEP_2) | instskip(SKIP_3) | instid1(VALU_DEP_1)
	v_pk_add_f32 v[68:69], v[68:69], v[140:141] neg_lo:[0,1] neg_hi:[0,1]
	ds_load_2addr_b64 v[140:143], v135 offset0:29 offset1:30
	s_wait_dscnt 0x0
	v_dual_mul_f32 v132, v141, v131 :: v_dual_mul_f32 v144, v141, v128
	v_pk_fma_f32 v[132:133], v[140:141], v[106:107], v[132:133] op_sel_hi:[1,1,0] neg_lo:[0,0,1] neg_hi:[0,0,1]
	s_delay_alu instid0(VALU_DEP_2) | instskip(NEXT) | instid1(VALU_DEP_1)
	v_pk_fma_f32 v[140:141], v[140:141], v[106:107], v[144:145] op_sel:[1,0,0] op_sel_hi:[0,1,0]
	v_mov_b32_e32 v133, v141
	s_delay_alu instid0(VALU_DEP_1) | instskip(SKIP_1) | instid1(VALU_DEP_1)
	v_pk_add_f32 v[64:65], v[64:65], v[132:133] neg_lo:[0,1] neg_hi:[0,1]
	v_pk_mul_f32 v[132:133], v[142:143], v[130:131] op_sel:[0,1]
	v_pk_fma_f32 v[140:141], v[142:143], v[128:129], v[132:133] op_sel:[0,0,1] op_sel_hi:[1,1,0] neg_lo:[0,0,1] neg_hi:[0,0,1]
	v_pk_fma_f32 v[132:133], v[142:143], v[128:129], v[132:133] op_sel:[0,0,1] op_sel_hi:[1,0,0]
	s_delay_alu instid0(VALU_DEP_1) | instskip(NEXT) | instid1(VALU_DEP_1)
	v_mov_b32_e32 v141, v133
	v_pk_add_f32 v[66:67], v[66:67], v[140:141] neg_lo:[0,1] neg_hi:[0,1]
	ds_load_2addr_b64 v[140:143], v135 offset0:31 offset1:32
	s_wait_dscnt 0x0
	v_pk_mul_f32 v[132:133], v[140:141], v[130:131] op_sel:[0,1]
	s_delay_alu instid0(VALU_DEP_1) | instskip(SKIP_1) | instid1(VALU_DEP_1)
	v_pk_fma_f32 v[144:145], v[140:141], v[128:129], v[132:133] op_sel:[0,0,1] op_sel_hi:[1,1,0] neg_lo:[0,0,1] neg_hi:[0,0,1]
	v_pk_fma_f32 v[132:133], v[140:141], v[128:129], v[132:133] op_sel:[0,0,1] op_sel_hi:[1,0,0]
	v_mov_b32_e32 v145, v133
	v_pk_mul_f32 v[132:133], v[142:143], v[130:131] op_sel:[0,1]
	s_delay_alu instid0(VALU_DEP_2) | instskip(NEXT) | instid1(VALU_DEP_2)
	v_pk_add_f32 v[62:63], v[62:63], v[144:145] neg_lo:[0,1] neg_hi:[0,1]
	v_pk_fma_f32 v[140:141], v[142:143], v[128:129], v[132:133] op_sel:[0,0,1] op_sel_hi:[1,1,0] neg_lo:[0,0,1] neg_hi:[0,0,1]
	v_pk_fma_f32 v[132:133], v[142:143], v[128:129], v[132:133] op_sel:[0,0,1] op_sel_hi:[1,0,0]
	s_delay_alu instid0(VALU_DEP_1) | instskip(NEXT) | instid1(VALU_DEP_1)
	v_mov_b32_e32 v141, v133
	v_pk_add_f32 v[60:61], v[60:61], v[140:141] neg_lo:[0,1] neg_hi:[0,1]
	ds_load_2addr_b64 v[140:143], v135 offset0:33 offset1:34
	s_wait_dscnt 0x0
	v_pk_mul_f32 v[132:133], v[140:141], v[130:131] op_sel:[0,1]
	s_delay_alu instid0(VALU_DEP_1) | instskip(SKIP_2) | instid1(VALU_DEP_2)
	v_pk_fma_f32 v[144:145], v[140:141], v[128:129], v[132:133] op_sel:[0,0,1] op_sel_hi:[1,1,0] neg_lo:[0,0,1] neg_hi:[0,0,1]
	v_pk_fma_f32 v[132:133], v[140:141], v[128:129], v[132:133] op_sel:[0,0,1] op_sel_hi:[1,0,0]
	v_dual_mul_f32 v140, v143, v131 :: v_dual_mov_b32 v132, v143
	v_dual_mov_b32 v145, v133 :: v_dual_mov_b32 v133, v142
	s_delay_alu instid0(VALU_DEP_2) | instskip(SKIP_1) | instid1(VALU_DEP_3)
	v_pk_fma_f32 v[140:141], v[142:143], v[106:107], v[140:141] op_sel_hi:[1,1,0] neg_lo:[0,0,1] neg_hi:[0,0,1]
	v_mul_f32_e32 v142, v143, v128
	v_pk_add_f32 v[56:57], v[56:57], v[144:145] neg_lo:[0,1] neg_hi:[0,1]
	s_delay_alu instid0(VALU_DEP_2) | instskip(NEXT) | instid1(VALU_DEP_1)
	v_pk_fma_f32 v[132:133], v[132:133], v[106:107], v[142:143] op_sel_hi:[1,1,0]
	v_mov_b32_e32 v141, v133
	s_delay_alu instid0(VALU_DEP_1) | instskip(SKIP_3) | instid1(VALU_DEP_1)
	v_pk_add_f32 v[58:59], v[58:59], v[140:141] neg_lo:[0,1] neg_hi:[0,1]
	ds_load_2addr_b64 v[140:143], v135 offset0:35 offset1:36
	s_wait_dscnt 0x0
	v_pk_mul_f32 v[132:133], v[140:141], v[130:131] op_sel:[0,1]
	v_pk_fma_f32 v[144:145], v[140:141], v[128:129], v[132:133] op_sel:[0,0,1] op_sel_hi:[1,1,0] neg_lo:[0,0,1] neg_hi:[0,0,1]
	v_pk_fma_f32 v[132:133], v[140:141], v[128:129], v[132:133] op_sel:[0,0,1] op_sel_hi:[1,0,0]
	s_delay_alu instid0(VALU_DEP_1) | instskip(SKIP_1) | instid1(VALU_DEP_1)
	v_mov_b32_e32 v145, v133
	v_pk_mul_f32 v[132:133], v[142:143], v[130:131] op_sel:[0,1]
	v_pk_fma_f32 v[140:141], v[142:143], v[128:129], v[132:133] op_sel:[0,0,1] op_sel_hi:[1,1,0] neg_lo:[0,0,1] neg_hi:[0,0,1]
	v_pk_fma_f32 v[132:133], v[142:143], v[128:129], v[132:133] op_sel:[0,0,1] op_sel_hi:[1,0,0]
	s_delay_alu instid0(VALU_DEP_1) | instskip(SKIP_1) | instid1(VALU_DEP_2)
	v_mov_b32_e32 v141, v133
	v_pk_add_f32 v[54:55], v[54:55], v[144:145] neg_lo:[0,1] neg_hi:[0,1]
	v_pk_add_f32 v[52:53], v[52:53], v[140:141] neg_lo:[0,1] neg_hi:[0,1]
	ds_load_2addr_b64 v[140:143], v135 offset0:37 offset1:38
	s_wait_dscnt 0x0
	v_pk_mul_f32 v[132:133], v[140:141], v[130:131] op_sel:[0,1]
	s_delay_alu instid0(VALU_DEP_1) | instskip(SKIP_1) | instid1(VALU_DEP_1)
	v_pk_fma_f32 v[144:145], v[140:141], v[128:129], v[132:133] op_sel:[0,0,1] op_sel_hi:[1,1,0] neg_lo:[0,0,1] neg_hi:[0,0,1]
	v_pk_fma_f32 v[132:133], v[140:141], v[128:129], v[132:133] op_sel:[0,0,1] op_sel_hi:[1,0,0]
	v_mov_b32_e32 v145, v133
	v_pk_mul_f32 v[132:133], v[142:143], v[130:131] op_sel:[0,1]
	s_delay_alu instid0(VALU_DEP_1) | instskip(SKIP_1) | instid1(VALU_DEP_1)
	v_pk_fma_f32 v[140:141], v[142:143], v[128:129], v[132:133] op_sel:[0,0,1] op_sel_hi:[1,1,0] neg_lo:[0,0,1] neg_hi:[0,0,1]
	v_pk_fma_f32 v[132:133], v[142:143], v[128:129], v[132:133] op_sel:[0,0,1] op_sel_hi:[1,0,0]
	v_mov_b32_e32 v141, v133
	v_pk_add_f32 v[48:49], v[48:49], v[144:145] neg_lo:[0,1] neg_hi:[0,1]
	s_delay_alu instid0(VALU_DEP_2) | instskip(SKIP_3) | instid1(VALU_DEP_1)
	v_pk_add_f32 v[50:51], v[50:51], v[140:141] neg_lo:[0,1] neg_hi:[0,1]
	ds_load_2addr_b64 v[140:143], v135 offset0:39 offset1:40
	s_wait_dscnt 0x0
	v_dual_mul_f32 v132, v141, v131 :: v_dual_mul_f32 v144, v141, v128
	v_pk_fma_f32 v[132:133], v[140:141], v[106:107], v[132:133] op_sel_hi:[1,1,0] neg_lo:[0,0,1] neg_hi:[0,0,1]
	s_delay_alu instid0(VALU_DEP_2) | instskip(NEXT) | instid1(VALU_DEP_1)
	v_pk_fma_f32 v[140:141], v[140:141], v[106:107], v[144:145] op_sel:[1,0,0] op_sel_hi:[0,1,0]
	v_mov_b32_e32 v133, v141
	s_delay_alu instid0(VALU_DEP_1) | instskip(SKIP_1) | instid1(VALU_DEP_1)
	v_pk_add_f32 v[46:47], v[46:47], v[132:133] neg_lo:[0,1] neg_hi:[0,1]
	v_pk_mul_f32 v[132:133], v[142:143], v[130:131] op_sel:[0,1]
	v_pk_fma_f32 v[140:141], v[142:143], v[128:129], v[132:133] op_sel:[0,0,1] op_sel_hi:[1,1,0] neg_lo:[0,0,1] neg_hi:[0,0,1]
	v_pk_fma_f32 v[132:133], v[142:143], v[128:129], v[132:133] op_sel:[0,0,1] op_sel_hi:[1,0,0]
	s_delay_alu instid0(VALU_DEP_1) | instskip(NEXT) | instid1(VALU_DEP_1)
	v_mov_b32_e32 v141, v133
	v_pk_add_f32 v[42:43], v[42:43], v[140:141] neg_lo:[0,1] neg_hi:[0,1]
	ds_load_2addr_b64 v[140:143], v135 offset0:41 offset1:42
	s_wait_dscnt 0x0
	v_pk_mul_f32 v[132:133], v[140:141], v[130:131] op_sel:[0,1]
	s_delay_alu instid0(VALU_DEP_1) | instskip(SKIP_1) | instid1(VALU_DEP_1)
	v_pk_fma_f32 v[144:145], v[140:141], v[128:129], v[132:133] op_sel:[0,0,1] op_sel_hi:[1,1,0] neg_lo:[0,0,1] neg_hi:[0,0,1]
	v_pk_fma_f32 v[132:133], v[140:141], v[128:129], v[132:133] op_sel:[0,0,1] op_sel_hi:[1,0,0]
	v_mov_b32_e32 v145, v133
	v_pk_mul_f32 v[132:133], v[142:143], v[130:131] op_sel:[0,1]
	s_delay_alu instid0(VALU_DEP_2) | instskip(NEXT) | instid1(VALU_DEP_2)
	v_pk_add_f32 v[38:39], v[38:39], v[144:145] neg_lo:[0,1] neg_hi:[0,1]
	v_pk_fma_f32 v[140:141], v[142:143], v[128:129], v[132:133] op_sel:[0,0,1] op_sel_hi:[1,1,0] neg_lo:[0,0,1] neg_hi:[0,0,1]
	v_pk_fma_f32 v[132:133], v[142:143], v[128:129], v[132:133] op_sel:[0,0,1] op_sel_hi:[1,0,0]
	s_delay_alu instid0(VALU_DEP_1) | instskip(NEXT) | instid1(VALU_DEP_1)
	v_mov_b32_e32 v141, v133
	v_pk_add_f32 v[40:41], v[40:41], v[140:141] neg_lo:[0,1] neg_hi:[0,1]
	ds_load_2addr_b64 v[140:143], v135 offset0:43 offset1:44
	s_wait_dscnt 0x0
	v_pk_mul_f32 v[132:133], v[140:141], v[130:131] op_sel:[0,1]
	s_delay_alu instid0(VALU_DEP_1) | instskip(SKIP_2) | instid1(VALU_DEP_2)
	v_pk_fma_f32 v[144:145], v[140:141], v[128:129], v[132:133] op_sel:[0,0,1] op_sel_hi:[1,1,0] neg_lo:[0,0,1] neg_hi:[0,0,1]
	v_pk_fma_f32 v[132:133], v[140:141], v[128:129], v[132:133] op_sel:[0,0,1] op_sel_hi:[1,0,0]
	v_dual_mul_f32 v140, v143, v131 :: v_dual_mov_b32 v132, v143
	v_dual_mov_b32 v145, v133 :: v_dual_mov_b32 v133, v142
	s_delay_alu instid0(VALU_DEP_2) | instskip(SKIP_1) | instid1(VALU_DEP_3)
	v_pk_fma_f32 v[140:141], v[142:143], v[106:107], v[140:141] op_sel_hi:[1,1,0] neg_lo:[0,0,1] neg_hi:[0,0,1]
	v_mul_f32_e32 v142, v143, v128
	v_pk_add_f32 v[36:37], v[36:37], v[144:145] neg_lo:[0,1] neg_hi:[0,1]
	s_delay_alu instid0(VALU_DEP_2) | instskip(NEXT) | instid1(VALU_DEP_1)
	v_pk_fma_f32 v[132:133], v[132:133], v[106:107], v[142:143] op_sel_hi:[1,1,0]
	v_mov_b32_e32 v141, v133
	s_delay_alu instid0(VALU_DEP_1) | instskip(SKIP_3) | instid1(VALU_DEP_1)
	v_pk_add_f32 v[34:35], v[34:35], v[140:141] neg_lo:[0,1] neg_hi:[0,1]
	ds_load_2addr_b64 v[140:143], v135 offset0:45 offset1:46
	s_wait_dscnt 0x0
	v_pk_mul_f32 v[132:133], v[140:141], v[130:131] op_sel:[0,1]
	v_pk_fma_f32 v[144:145], v[140:141], v[128:129], v[132:133] op_sel:[0,0,1] op_sel_hi:[1,1,0] neg_lo:[0,0,1] neg_hi:[0,0,1]
	v_pk_fma_f32 v[132:133], v[140:141], v[128:129], v[132:133] op_sel:[0,0,1] op_sel_hi:[1,0,0]
	s_delay_alu instid0(VALU_DEP_1) | instskip(SKIP_1) | instid1(VALU_DEP_1)
	v_mov_b32_e32 v145, v133
	v_pk_mul_f32 v[132:133], v[142:143], v[130:131] op_sel:[0,1]
	v_pk_fma_f32 v[140:141], v[142:143], v[128:129], v[132:133] op_sel:[0,0,1] op_sel_hi:[1,1,0] neg_lo:[0,0,1] neg_hi:[0,0,1]
	v_pk_fma_f32 v[132:133], v[142:143], v[128:129], v[132:133] op_sel:[0,0,1] op_sel_hi:[1,0,0]
	s_delay_alu instid0(VALU_DEP_1) | instskip(SKIP_1) | instid1(VALU_DEP_2)
	v_mov_b32_e32 v141, v133
	v_pk_add_f32 v[30:31], v[30:31], v[144:145] neg_lo:[0,1] neg_hi:[0,1]
	v_pk_add_f32 v[32:33], v[32:33], v[140:141] neg_lo:[0,1] neg_hi:[0,1]
	ds_load_2addr_b64 v[140:143], v135 offset0:47 offset1:48
	s_wait_dscnt 0x0
	v_pk_mul_f32 v[132:133], v[140:141], v[130:131] op_sel:[0,1]
	s_delay_alu instid0(VALU_DEP_1) | instskip(SKIP_1) | instid1(VALU_DEP_1)
	v_pk_fma_f32 v[144:145], v[140:141], v[128:129], v[132:133] op_sel:[0,0,1] op_sel_hi:[1,1,0] neg_lo:[0,0,1] neg_hi:[0,0,1]
	v_pk_fma_f32 v[132:133], v[140:141], v[128:129], v[132:133] op_sel:[0,0,1] op_sel_hi:[1,0,0]
	v_mov_b32_e32 v145, v133
	v_pk_mul_f32 v[132:133], v[142:143], v[130:131] op_sel:[0,1]
	s_delay_alu instid0(VALU_DEP_1) | instskip(SKIP_1) | instid1(VALU_DEP_1)
	v_pk_fma_f32 v[140:141], v[142:143], v[128:129], v[132:133] op_sel:[0,0,1] op_sel_hi:[1,1,0] neg_lo:[0,0,1] neg_hi:[0,0,1]
	v_pk_fma_f32 v[132:133], v[142:143], v[128:129], v[132:133] op_sel:[0,0,1] op_sel_hi:[1,0,0]
	v_mov_b32_e32 v141, v133
	v_pk_add_f32 v[28:29], v[28:29], v[144:145] neg_lo:[0,1] neg_hi:[0,1]
	s_delay_alu instid0(VALU_DEP_2) | instskip(SKIP_3) | instid1(VALU_DEP_1)
	v_pk_add_f32 v[26:27], v[26:27], v[140:141] neg_lo:[0,1] neg_hi:[0,1]
	ds_load_2addr_b64 v[140:143], v135 offset0:49 offset1:50
	s_wait_dscnt 0x0
	v_dual_mul_f32 v132, v141, v131 :: v_dual_mul_f32 v144, v141, v128
	v_pk_fma_f32 v[132:133], v[140:141], v[106:107], v[132:133] op_sel_hi:[1,1,0] neg_lo:[0,0,1] neg_hi:[0,0,1]
	s_delay_alu instid0(VALU_DEP_2) | instskip(NEXT) | instid1(VALU_DEP_1)
	v_pk_fma_f32 v[140:141], v[140:141], v[106:107], v[144:145] op_sel:[1,0,0] op_sel_hi:[0,1,0]
	v_mov_b32_e32 v133, v141
	s_delay_alu instid0(VALU_DEP_1) | instskip(SKIP_1) | instid1(VALU_DEP_1)
	v_pk_add_f32 v[22:23], v[22:23], v[132:133] neg_lo:[0,1] neg_hi:[0,1]
	v_pk_mul_f32 v[132:133], v[142:143], v[130:131] op_sel:[0,1]
	v_pk_fma_f32 v[140:141], v[142:143], v[128:129], v[132:133] op_sel:[0,0,1] op_sel_hi:[1,1,0] neg_lo:[0,0,1] neg_hi:[0,0,1]
	v_pk_fma_f32 v[132:133], v[142:143], v[128:129], v[132:133] op_sel:[0,0,1] op_sel_hi:[1,0,0]
	s_delay_alu instid0(VALU_DEP_1) | instskip(NEXT) | instid1(VALU_DEP_1)
	v_mov_b32_e32 v141, v133
	v_pk_add_f32 v[24:25], v[24:25], v[140:141] neg_lo:[0,1] neg_hi:[0,1]
	ds_load_2addr_b64 v[140:143], v135 offset0:51 offset1:52
	s_wait_dscnt 0x0
	v_pk_mul_f32 v[132:133], v[140:141], v[130:131] op_sel:[0,1]
	s_delay_alu instid0(VALU_DEP_1) | instskip(SKIP_1) | instid1(VALU_DEP_1)
	v_pk_fma_f32 v[144:145], v[140:141], v[128:129], v[132:133] op_sel:[0,0,1] op_sel_hi:[1,1,0] neg_lo:[0,0,1] neg_hi:[0,0,1]
	v_pk_fma_f32 v[132:133], v[140:141], v[128:129], v[132:133] op_sel:[0,0,1] op_sel_hi:[1,0,0]
	v_mov_b32_e32 v145, v133
	v_pk_mul_f32 v[132:133], v[142:143], v[130:131] op_sel:[0,1]
	s_delay_alu instid0(VALU_DEP_2) | instskip(NEXT) | instid1(VALU_DEP_2)
	v_pk_add_f32 v[44:45], v[44:45], v[144:145] neg_lo:[0,1] neg_hi:[0,1]
	v_pk_fma_f32 v[140:141], v[142:143], v[128:129], v[132:133] op_sel:[0,0,1] op_sel_hi:[1,1,0] neg_lo:[0,0,1] neg_hi:[0,0,1]
	v_pk_fma_f32 v[132:133], v[142:143], v[128:129], v[132:133] op_sel:[0,0,1] op_sel_hi:[1,0,0]
	s_delay_alu instid0(VALU_DEP_1) | instskip(NEXT) | instid1(VALU_DEP_1)
	v_mov_b32_e32 v141, v133
	v_pk_add_f32 v[16:17], v[16:17], v[140:141] neg_lo:[0,1] neg_hi:[0,1]
	ds_load_2addr_b64 v[140:143], v135 offset0:53 offset1:54
	s_wait_dscnt 0x0
	v_pk_mul_f32 v[132:133], v[140:141], v[130:131] op_sel:[0,1]
	s_delay_alu instid0(VALU_DEP_1) | instskip(SKIP_2) | instid1(VALU_DEP_2)
	v_pk_fma_f32 v[144:145], v[140:141], v[128:129], v[132:133] op_sel:[0,0,1] op_sel_hi:[1,1,0] neg_lo:[0,0,1] neg_hi:[0,0,1]
	v_pk_fma_f32 v[132:133], v[140:141], v[128:129], v[132:133] op_sel:[0,0,1] op_sel_hi:[1,0,0]
	v_dual_mul_f32 v140, v143, v131 :: v_dual_mov_b32 v132, v143
	v_dual_mov_b32 v145, v133 :: v_dual_mov_b32 v133, v142
	s_delay_alu instid0(VALU_DEP_2) | instskip(SKIP_1) | instid1(VALU_DEP_3)
	v_pk_fma_f32 v[140:141], v[142:143], v[106:107], v[140:141] op_sel_hi:[1,1,0] neg_lo:[0,0,1] neg_hi:[0,0,1]
	v_mul_f32_e32 v142, v143, v128
	v_pk_add_f32 v[12:13], v[12:13], v[144:145] neg_lo:[0,1] neg_hi:[0,1]
	s_delay_alu instid0(VALU_DEP_2) | instskip(NEXT) | instid1(VALU_DEP_1)
	v_pk_fma_f32 v[132:133], v[132:133], v[106:107], v[142:143] op_sel_hi:[1,1,0]
	v_mov_b32_e32 v141, v133
	s_delay_alu instid0(VALU_DEP_1) | instskip(SKIP_3) | instid1(VALU_DEP_1)
	v_pk_add_f32 v[14:15], v[14:15], v[140:141] neg_lo:[0,1] neg_hi:[0,1]
	ds_load_2addr_b64 v[140:143], v135 offset0:55 offset1:56
	s_wait_dscnt 0x0
	v_pk_mul_f32 v[132:133], v[140:141], v[130:131] op_sel:[0,1]
	v_pk_fma_f32 v[144:145], v[140:141], v[128:129], v[132:133] op_sel:[0,0,1] op_sel_hi:[1,1,0] neg_lo:[0,0,1] neg_hi:[0,0,1]
	v_pk_fma_f32 v[132:133], v[140:141], v[128:129], v[132:133] op_sel:[0,0,1] op_sel_hi:[1,0,0]
	s_delay_alu instid0(VALU_DEP_1) | instskip(SKIP_1) | instid1(VALU_DEP_1)
	v_mov_b32_e32 v145, v133
	v_pk_mul_f32 v[132:133], v[142:143], v[130:131] op_sel:[0,1]
	v_pk_fma_f32 v[140:141], v[142:143], v[128:129], v[132:133] op_sel:[0,0,1] op_sel_hi:[1,1,0] neg_lo:[0,0,1] neg_hi:[0,0,1]
	v_pk_fma_f32 v[132:133], v[142:143], v[128:129], v[132:133] op_sel:[0,0,1] op_sel_hi:[1,0,0]
	s_delay_alu instid0(VALU_DEP_1) | instskip(SKIP_1) | instid1(VALU_DEP_2)
	v_mov_b32_e32 v141, v133
	v_pk_add_f32 v[10:11], v[10:11], v[144:145] neg_lo:[0,1] neg_hi:[0,1]
	v_pk_add_f32 v[6:7], v[6:7], v[140:141] neg_lo:[0,1] neg_hi:[0,1]
	ds_load_2addr_b64 v[140:143], v135 offset0:57 offset1:58
	s_wait_dscnt 0x0
	v_pk_mul_f32 v[132:133], v[140:141], v[130:131] op_sel:[0,1]
	s_delay_alu instid0(VALU_DEP_1) | instskip(SKIP_1) | instid1(VALU_DEP_1)
	v_pk_fma_f32 v[144:145], v[140:141], v[128:129], v[132:133] op_sel:[0,0,1] op_sel_hi:[1,1,0] neg_lo:[0,0,1] neg_hi:[0,0,1]
	v_pk_fma_f32 v[132:133], v[140:141], v[128:129], v[132:133] op_sel:[0,0,1] op_sel_hi:[1,0,0]
	v_mov_b32_e32 v145, v133
	v_pk_mul_f32 v[132:133], v[142:143], v[130:131] op_sel:[0,1]
	s_delay_alu instid0(VALU_DEP_1) | instskip(SKIP_1) | instid1(VALU_DEP_1)
	v_pk_fma_f32 v[140:141], v[142:143], v[128:129], v[132:133] op_sel:[0,0,1] op_sel_hi:[1,1,0] neg_lo:[0,0,1] neg_hi:[0,0,1]
	v_pk_fma_f32 v[132:133], v[142:143], v[128:129], v[132:133] op_sel:[0,0,1] op_sel_hi:[1,0,0]
	v_mov_b32_e32 v141, v133
	v_pk_add_f32 v[20:21], v[20:21], v[144:145] neg_lo:[0,1] neg_hi:[0,1]
	s_delay_alu instid0(VALU_DEP_2) | instskip(SKIP_4) | instid1(VALU_DEP_2)
	v_pk_add_f32 v[18:19], v[18:19], v[140:141] neg_lo:[0,1] neg_hi:[0,1]
	ds_load_2addr_b64 v[140:143], v135 offset0:59 offset1:60
	s_wait_dscnt 0x0
	v_dual_mul_f32 v132, v141, v131 :: v_dual_mul_f32 v144, v141, v128
	v_pk_mul_f32 v[130:131], v[142:143], v[130:131] op_sel:[0,1]
	v_pk_fma_f32 v[132:133], v[140:141], v[106:107], v[132:133] op_sel_hi:[1,1,0] neg_lo:[0,0,1] neg_hi:[0,0,1]
	s_delay_alu instid0(VALU_DEP_3) | instskip(NEXT) | instid1(VALU_DEP_1)
	v_pk_fma_f32 v[140:141], v[140:141], v[106:107], v[144:145] op_sel:[1,0,0] op_sel_hi:[0,1,0]
	v_mov_b32_e32 v133, v141
	s_delay_alu instid0(VALU_DEP_1) | instskip(SKIP_2) | instid1(VALU_DEP_1)
	v_pk_add_f32 v[8:9], v[8:9], v[132:133] neg_lo:[0,1] neg_hi:[0,1]
	v_pk_fma_f32 v[132:133], v[142:143], v[128:129], v[130:131] op_sel:[0,0,1] op_sel_hi:[1,1,0] neg_lo:[0,0,1] neg_hi:[0,0,1]
	v_pk_fma_f32 v[128:129], v[142:143], v[128:129], v[130:131] op_sel:[0,0,1] op_sel_hi:[1,0,0]
	v_mov_b32_e32 v133, v129
	s_delay_alu instid0(VALU_DEP_1)
	v_pk_add_f32 v[126:127], v[126:127], v[132:133] neg_lo:[0,1] neg_hi:[0,1]
.LBB120_230:
	s_or_b32 exec_lo, exec_lo, s0
	v_lshl_add_u32 v128, v138, 3, v135
	s_barrier_signal -1
	s_barrier_wait -1
	ds_store_b64 v128, v[102:103]
	s_wait_dscnt 0x0
	s_barrier_signal -1
	s_barrier_wait -1
	ds_load_b64 v[130:131], v135 offset:88
	v_mov_b32_e32 v128, 11
	s_cmp_lt_i32 s18, 13
	s_cbranch_scc1 .LBB120_233
; %bb.231:
	v_add3_u32 v129, v136, 0, 0x60
	v_mov_b32_e32 v128, 11
	s_mov_b32 s0, 12
.LBB120_232:                            ; =>This Inner Loop Header: Depth=1
	ds_load_b64 v[132:133], v129
	s_wait_dscnt 0x1
	v_cmp_gt_f32_e32 vcc_lo, 0, v130
	v_cndmask_b32_e64 v140, v130, -v130, vcc_lo
	v_cmp_gt_f32_e32 vcc_lo, 0, v131
	v_cndmask_b32_e64 v142, v131, -v131, vcc_lo
	s_wait_dscnt 0x0
	v_cmp_gt_f32_e32 vcc_lo, 0, v132
	v_cndmask_b32_e64 v141, v132, -v132, vcc_lo
	v_cmp_gt_f32_e32 vcc_lo, 0, v133
	v_cndmask_b32_e64 v143, v133, -v133, vcc_lo
	s_delay_alu instid0(VALU_DEP_1) | instskip(NEXT) | instid1(VALU_DEP_1)
	v_pk_add_f32 v[140:141], v[140:141], v[142:143]
	v_cmp_lt_f32_e32 vcc_lo, v140, v141
	v_dual_cndmask_b32 v130, v130, v132 :: v_dual_add_nc_u32 v129, 8, v129
	v_cndmask_b32_e32 v131, v131, v133, vcc_lo
	v_cndmask_b32_e64 v128, v128, s0, vcc_lo
	s_add_co_i32 s0, s0, 1
	s_delay_alu instid0(SALU_CYCLE_1)
	s_cmp_lg_u32 s18, s0
	s_cbranch_scc1 .LBB120_232
.LBB120_233:
	s_wait_dscnt 0x0
	v_cmp_eq_f32_e32 vcc_lo, 0, v130
	v_cmp_eq_f32_e64 s0, 0, v131
	s_and_b32 s0, vcc_lo, s0
	s_delay_alu instid0(SALU_CYCLE_1) | instskip(NEXT) | instid1(SALU_CYCLE_1)
	s_and_saveexec_b32 s1, s0
	s_xor_b32 s0, exec_lo, s1
; %bb.234:
	v_cmp_ne_u32_e32 vcc_lo, 0, v134
	v_cndmask_b32_e32 v134, 12, v134, vcc_lo
; %bb.235:
	s_and_not1_saveexec_b32 s0, s0
	s_cbranch_execz .LBB120_241
; %bb.236:
	v_cmp_ngt_f32_e64 s1, |v130|, |v131|
	s_and_saveexec_b32 s12, s1
	s_delay_alu instid0(SALU_CYCLE_1)
	s_xor_b32 s1, exec_lo, s12
	s_cbranch_execz .LBB120_238
; %bb.237:
	v_div_scale_f32 v129, null, v131, v131, v130
	v_div_scale_f32 v139, vcc_lo, v130, v131, v130
	s_delay_alu instid0(VALU_DEP_2) | instskip(SKIP_1) | instid1(TRANS32_DEP_1)
	v_rcp_f32_e32 v132, v129
	v_nop
	v_fma_f32 v133, -v129, v132, 1.0
	s_delay_alu instid0(VALU_DEP_1) | instskip(NEXT) | instid1(VALU_DEP_1)
	v_fmac_f32_e32 v132, v133, v132
	v_mul_f32_e32 v133, v139, v132
	s_delay_alu instid0(VALU_DEP_1) | instskip(NEXT) | instid1(VALU_DEP_1)
	v_fma_f32 v140, -v129, v133, v139
	v_fmac_f32_e32 v133, v140, v132
	s_delay_alu instid0(VALU_DEP_1) | instskip(NEXT) | instid1(VALU_DEP_1)
	v_fma_f32 v129, -v129, v133, v139
	v_div_fmas_f32 v129, v129, v132, v133
	s_delay_alu instid0(VALU_DEP_1) | instskip(NEXT) | instid1(VALU_DEP_1)
	v_div_fixup_f32 v129, v129, v131, v130
	v_fmac_f32_e32 v131, v130, v129
	s_delay_alu instid0(VALU_DEP_1) | instskip(SKIP_1) | instid1(VALU_DEP_2)
	v_div_scale_f32 v130, null, v131, v131, 1.0
	v_div_scale_f32 v139, vcc_lo, 1.0, v131, 1.0
	v_rcp_f32_e32 v132, v130
	v_nop
	s_delay_alu instid0(TRANS32_DEP_1) | instskip(NEXT) | instid1(VALU_DEP_1)
	v_fma_f32 v133, -v130, v132, 1.0
	v_fmac_f32_e32 v132, v133, v132
	s_delay_alu instid0(VALU_DEP_1) | instskip(NEXT) | instid1(VALU_DEP_1)
	v_mul_f32_e32 v133, v139, v132
	v_fma_f32 v140, -v130, v133, v139
	s_delay_alu instid0(VALU_DEP_1) | instskip(NEXT) | instid1(VALU_DEP_1)
	v_fmac_f32_e32 v133, v140, v132
	v_fma_f32 v130, -v130, v133, v139
	s_delay_alu instid0(VALU_DEP_1) | instskip(NEXT) | instid1(VALU_DEP_1)
	v_div_fmas_f32 v130, v130, v132, v133
	v_div_fixup_f32 v131, v130, v131, 1.0
	s_delay_alu instid0(VALU_DEP_1)
	v_mul_f32_e32 v130, v129, v131
	v_xor_b32_e32 v131, 0x80000000, v131
.LBB120_238:
	s_and_not1_saveexec_b32 s1, s1
	s_cbranch_execz .LBB120_240
; %bb.239:
	s_delay_alu instid0(VALU_DEP_1) | instskip(SKIP_1) | instid1(VALU_DEP_2)
	v_div_scale_f32 v129, null, v130, v130, v131
	v_div_scale_f32 v139, vcc_lo, v131, v130, v131
	v_rcp_f32_e32 v132, v129
	v_nop
	s_delay_alu instid0(TRANS32_DEP_1) | instskip(NEXT) | instid1(VALU_DEP_1)
	v_fma_f32 v133, -v129, v132, 1.0
	v_fmac_f32_e32 v132, v133, v132
	s_delay_alu instid0(VALU_DEP_1) | instskip(NEXT) | instid1(VALU_DEP_1)
	v_mul_f32_e32 v133, v139, v132
	v_fma_f32 v140, -v129, v133, v139
	s_delay_alu instid0(VALU_DEP_1) | instskip(NEXT) | instid1(VALU_DEP_1)
	v_fmac_f32_e32 v133, v140, v132
	v_fma_f32 v129, -v129, v133, v139
	s_delay_alu instid0(VALU_DEP_1) | instskip(NEXT) | instid1(VALU_DEP_1)
	v_div_fmas_f32 v129, v129, v132, v133
	v_div_fixup_f32 v129, v129, v130, v131
	s_delay_alu instid0(VALU_DEP_1) | instskip(NEXT) | instid1(VALU_DEP_1)
	v_fmac_f32_e32 v130, v131, v129
	v_div_scale_f32 v131, null, v130, v130, 1.0
	s_delay_alu instid0(VALU_DEP_1) | instskip(SKIP_1) | instid1(TRANS32_DEP_1)
	v_rcp_f32_e32 v132, v131
	v_nop
	v_fma_f32 v133, -v131, v132, 1.0
	s_delay_alu instid0(VALU_DEP_1) | instskip(SKIP_1) | instid1(VALU_DEP_1)
	v_fmac_f32_e32 v132, v133, v132
	v_div_scale_f32 v133, vcc_lo, 1.0, v130, 1.0
	v_mul_f32_e32 v139, v133, v132
	s_delay_alu instid0(VALU_DEP_1) | instskip(NEXT) | instid1(VALU_DEP_1)
	v_fma_f32 v140, -v131, v139, v133
	v_fmac_f32_e32 v139, v140, v132
	s_delay_alu instid0(VALU_DEP_1) | instskip(NEXT) | instid1(VALU_DEP_1)
	v_fma_f32 v131, -v131, v139, v133
	v_div_fmas_f32 v131, v131, v132, v139
	s_delay_alu instid0(VALU_DEP_1) | instskip(NEXT) | instid1(VALU_DEP_1)
	v_div_fixup_f32 v130, v131, v130, 1.0
	v_mul_f32_e64 v131, v129, -v130
.LBB120_240:
	s_or_b32 exec_lo, exec_lo, s1
.LBB120_241:
	s_delay_alu instid0(SALU_CYCLE_1) | instskip(NEXT) | instid1(SALU_CYCLE_1)
	s_or_b32 exec_lo, exec_lo, s0
	s_mov_b32 s0, exec_lo
	v_cmpx_ne_u32_e64 v138, v128
	s_xor_b32 s0, exec_lo, s0
	s_cbranch_execz .LBB120_247
; %bb.242:
	s_mov_b32 s1, exec_lo
	v_cmpx_eq_u32_e32 11, v138
	s_cbranch_execz .LBB120_246
; %bb.243:
	v_cmp_ne_u32_e32 vcc_lo, 11, v128
	s_xor_b32 s12, s16, -1
	s_delay_alu instid0(SALU_CYCLE_1) | instskip(NEXT) | instid1(SALU_CYCLE_1)
	s_and_b32 s13, s12, vcc_lo
	s_and_saveexec_b32 s12, s13
	s_cbranch_execz .LBB120_245
; %bb.244:
	v_ashrrev_i32_e32 v129, 31, v128
	s_delay_alu instid0(VALU_DEP_1)
	v_lshl_add_u64 v[132:133], v[128:129], 2, v[4:5]
	s_clause 0x1
	global_load_b32 v129, v[132:133], off
	global_load_b32 v137, v[4:5], off offset:44
	s_wait_loadcnt 0x1
	global_store_b32 v[4:5], v129, off offset:44
	s_wait_loadcnt 0x0
	global_store_b32 v[132:133], v137, off
.LBB120_245:
	s_wait_xcnt 0x0
	s_or_b32 exec_lo, exec_lo, s12
	v_dual_mov_b32 v138, v128 :: v_dual_mov_b32 v137, v128
.LBB120_246:
	s_or_b32 exec_lo, exec_lo, s1
.LBB120_247:
	s_and_not1_saveexec_b32 s0, s0
	s_cbranch_execz .LBB120_249
; %bb.248:
	v_dual_mov_b32 v128, v100 :: v_dual_mov_b32 v129, v101
	v_dual_mov_b32 v132, v96 :: v_dual_mov_b32 v133, v97
	;; [unrolled: 1-line block ×4, first 2 shown]
	ds_store_2addr_b64 v135, v[128:129], v[132:133] offset0:12 offset1:13
	ds_store_2addr_b64 v135, v[138:139], v[140:141] offset0:14 offset1:15
	v_dual_mov_b32 v128, v92 :: v_dual_mov_b32 v129, v93
	v_dual_mov_b32 v132, v88 :: v_dual_mov_b32 v133, v89
	v_dual_mov_b32 v138, v90 :: v_dual_mov_b32 v139, v91
	v_dual_mov_b32 v140, v86 :: v_dual_mov_b32 v141, v87
	v_dual_mov_b32 v142, v84 :: v_dual_mov_b32 v143, v85
	v_dual_mov_b32 v144, v80 :: v_dual_mov_b32 v145, v81
	v_dual_mov_b32 v146, v82 :: v_dual_mov_b32 v147, v83
	v_dual_mov_b32 v148, v78 :: v_dual_mov_b32 v149, v79
	v_dual_mov_b32 v150, v76 :: v_dual_mov_b32 v151, v77
	v_dual_mov_b32 v152, v72 :: v_dual_mov_b32 v153, v73
	v_dual_mov_b32 v154, v74 :: v_dual_mov_b32 v155, v75
	v_dual_mov_b32 v156, v70 :: v_dual_mov_b32 v157, v71
	ds_store_2addr_b64 v135, v[128:129], v[132:133] offset0:16 offset1:17
	ds_store_2addr_b64 v135, v[138:139], v[140:141] offset0:18 offset1:19
	ds_store_2addr_b64 v135, v[142:143], v[144:145] offset0:20 offset1:21
	ds_store_2addr_b64 v135, v[146:147], v[148:149] offset0:22 offset1:23
	ds_store_2addr_b64 v135, v[150:151], v[152:153] offset0:24 offset1:25
	ds_store_2addr_b64 v135, v[154:155], v[156:157] offset0:26 offset1:27
	v_dual_mov_b32 v128, v68 :: v_dual_mov_b32 v129, v69
	v_dual_mov_b32 v132, v64 :: v_dual_mov_b32 v133, v65
	v_dual_mov_b32 v138, v66 :: v_dual_mov_b32 v139, v67
	v_dual_mov_b32 v140, v62 :: v_dual_mov_b32 v141, v63
	v_dual_mov_b32 v142, v60 :: v_dual_mov_b32 v143, v61
	v_dual_mov_b32 v144, v56 :: v_dual_mov_b32 v145, v57
	v_dual_mov_b32 v146, v58 :: v_dual_mov_b32 v147, v59
	v_dual_mov_b32 v148, v54 :: v_dual_mov_b32 v149, v55
	v_dual_mov_b32 v150, v52 :: v_dual_mov_b32 v151, v53
	v_dual_mov_b32 v152, v48 :: v_dual_mov_b32 v153, v49
	v_dual_mov_b32 v154, v50 :: v_dual_mov_b32 v155, v51
	v_dual_mov_b32 v156, v46 :: v_dual_mov_b32 v157, v47
	ds_store_2addr_b64 v135, v[128:129], v[132:133] offset0:28 offset1:29
	ds_store_2addr_b64 v135, v[138:139], v[140:141] offset0:30 offset1:31
	ds_store_2addr_b64 v135, v[142:143], v[144:145] offset0:32 offset1:33
	ds_store_2addr_b64 v135, v[146:147], v[148:149] offset0:34 offset1:35
	;; [unrolled: 18-line block ×3, first 2 shown]
	ds_store_2addr_b64 v135, v[150:151], v[152:153] offset0:48 offset1:49
	ds_store_2addr_b64 v135, v[154:155], v[156:157] offset0:50 offset1:51
	v_dual_mov_b32 v128, v16 :: v_dual_mov_b32 v129, v17
	v_dual_mov_b32 v132, v12 :: v_dual_mov_b32 v133, v13
	;; [unrolled: 1-line block ×8, first 2 shown]
	v_mov_b32_e32 v151, v9
	ds_store_2addr_b64 v135, v[128:129], v[132:133] offset0:52 offset1:53
	ds_store_2addr_b64 v135, v[140:141], v[142:143] offset0:54 offset1:55
	;; [unrolled: 1-line block ×4, first 2 shown]
	ds_store_b64 v135, v[126:127] offset:480
.LBB120_249:
	s_or_b32 exec_lo, exec_lo, s0
	s_delay_alu instid0(SALU_CYCLE_1)
	s_mov_b32 s0, exec_lo
	s_wait_storecnt_dscnt 0x0
	s_barrier_signal -1
	s_barrier_wait -1
	v_cmpx_lt_i32_e32 11, v138
	s_cbranch_execz .LBB120_251
; %bb.250:
	ds_load_2addr_b64 v[140:143], v135 offset0:12 offset1:13
	v_pk_mul_f32 v[132:133], v[130:131], v[102:103] op_sel:[1,1] op_sel_hi:[0,1]
	s_delay_alu instid0(VALU_DEP_1) | instskip(SKIP_1) | instid1(VALU_DEP_1)
	v_pk_fma_f32 v[128:129], v[130:131], v[102:103], v[132:133] op_sel_hi:[1,0,1] neg_lo:[0,0,1] neg_hi:[0,0,1]
	v_pk_fma_f32 v[130:131], v[130:131], v[102:103], v[132:133] op_sel_hi:[1,0,1]
	v_dual_mov_b32 v102, v128 :: v_dual_mov_b32 v103, v131
	s_wait_dscnt 0x0
	s_delay_alu instid0(VALU_DEP_2) | instskip(NEXT) | instid1(VALU_DEP_1)
	v_pk_mul_f32 v[132:133], v[140:141], v[130:131] op_sel:[0,1]
	v_pk_fma_f32 v[144:145], v[140:141], v[128:129], v[132:133] op_sel:[0,0,1] op_sel_hi:[1,1,0] neg_lo:[0,0,1] neg_hi:[0,0,1]
	v_pk_fma_f32 v[132:133], v[140:141], v[128:129], v[132:133] op_sel:[0,0,1] op_sel_hi:[1,0,0]
	s_delay_alu instid0(VALU_DEP_1) | instskip(SKIP_1) | instid1(VALU_DEP_1)
	v_mov_b32_e32 v145, v133
	v_pk_mul_f32 v[132:133], v[142:143], v[130:131] op_sel:[0,1]
	v_pk_fma_f32 v[140:141], v[142:143], v[128:129], v[132:133] op_sel:[0,0,1] op_sel_hi:[1,1,0] neg_lo:[0,0,1] neg_hi:[0,0,1]
	v_pk_fma_f32 v[132:133], v[142:143], v[128:129], v[132:133] op_sel:[0,0,1] op_sel_hi:[1,0,0]
	s_delay_alu instid0(VALU_DEP_1) | instskip(SKIP_1) | instid1(VALU_DEP_2)
	v_mov_b32_e32 v141, v133
	v_pk_add_f32 v[100:101], v[100:101], v[144:145] neg_lo:[0,1] neg_hi:[0,1]
	v_pk_add_f32 v[96:97], v[96:97], v[140:141] neg_lo:[0,1] neg_hi:[0,1]
	ds_load_2addr_b64 v[140:143], v135 offset0:14 offset1:15
	s_wait_dscnt 0x0
	v_pk_mul_f32 v[132:133], v[140:141], v[130:131] op_sel:[0,1]
	s_delay_alu instid0(VALU_DEP_1) | instskip(SKIP_2) | instid1(VALU_DEP_2)
	v_pk_fma_f32 v[144:145], v[140:141], v[128:129], v[132:133] op_sel:[0,0,1] op_sel_hi:[1,1,0] neg_lo:[0,0,1] neg_hi:[0,0,1]
	v_pk_fma_f32 v[132:133], v[140:141], v[128:129], v[132:133] op_sel:[0,0,1] op_sel_hi:[1,0,0]
	v_dual_mul_f32 v140, v143, v131 :: v_dual_mov_b32 v132, v143
	v_dual_mov_b32 v145, v133 :: v_dual_mov_b32 v133, v142
	s_delay_alu instid0(VALU_DEP_2) | instskip(SKIP_1) | instid1(VALU_DEP_3)
	v_pk_fma_f32 v[140:141], v[142:143], v[102:103], v[140:141] op_sel_hi:[1,1,0] neg_lo:[0,0,1] neg_hi:[0,0,1]
	v_mul_f32_e32 v142, v143, v128
	v_pk_add_f32 v[98:99], v[98:99], v[144:145] neg_lo:[0,1] neg_hi:[0,1]
	s_delay_alu instid0(VALU_DEP_2) | instskip(NEXT) | instid1(VALU_DEP_1)
	v_pk_fma_f32 v[132:133], v[132:133], v[102:103], v[142:143] op_sel_hi:[1,1,0]
	v_mov_b32_e32 v141, v133
	s_delay_alu instid0(VALU_DEP_1) | instskip(SKIP_3) | instid1(VALU_DEP_1)
	v_pk_add_f32 v[94:95], v[94:95], v[140:141] neg_lo:[0,1] neg_hi:[0,1]
	ds_load_2addr_b64 v[140:143], v135 offset0:16 offset1:17
	s_wait_dscnt 0x0
	v_pk_mul_f32 v[132:133], v[140:141], v[130:131] op_sel:[0,1]
	v_pk_fma_f32 v[144:145], v[140:141], v[128:129], v[132:133] op_sel:[0,0,1] op_sel_hi:[1,1,0] neg_lo:[0,0,1] neg_hi:[0,0,1]
	v_pk_fma_f32 v[132:133], v[140:141], v[128:129], v[132:133] op_sel:[0,0,1] op_sel_hi:[1,0,0]
	s_delay_alu instid0(VALU_DEP_1) | instskip(SKIP_1) | instid1(VALU_DEP_1)
	v_mov_b32_e32 v145, v133
	v_pk_mul_f32 v[132:133], v[142:143], v[130:131] op_sel:[0,1]
	v_pk_fma_f32 v[140:141], v[142:143], v[128:129], v[132:133] op_sel:[0,0,1] op_sel_hi:[1,1,0] neg_lo:[0,0,1] neg_hi:[0,0,1]
	v_pk_fma_f32 v[132:133], v[142:143], v[128:129], v[132:133] op_sel:[0,0,1] op_sel_hi:[1,0,0]
	s_delay_alu instid0(VALU_DEP_1) | instskip(SKIP_1) | instid1(VALU_DEP_2)
	v_mov_b32_e32 v141, v133
	v_pk_add_f32 v[92:93], v[92:93], v[144:145] neg_lo:[0,1] neg_hi:[0,1]
	v_pk_add_f32 v[88:89], v[88:89], v[140:141] neg_lo:[0,1] neg_hi:[0,1]
	ds_load_2addr_b64 v[140:143], v135 offset0:18 offset1:19
	s_wait_dscnt 0x0
	v_pk_mul_f32 v[132:133], v[140:141], v[130:131] op_sel:[0,1]
	s_delay_alu instid0(VALU_DEP_1) | instskip(SKIP_1) | instid1(VALU_DEP_1)
	v_pk_fma_f32 v[144:145], v[140:141], v[128:129], v[132:133] op_sel:[0,0,1] op_sel_hi:[1,1,0] neg_lo:[0,0,1] neg_hi:[0,0,1]
	v_pk_fma_f32 v[132:133], v[140:141], v[128:129], v[132:133] op_sel:[0,0,1] op_sel_hi:[1,0,0]
	v_mov_b32_e32 v145, v133
	v_pk_mul_f32 v[132:133], v[142:143], v[130:131] op_sel:[0,1]
	s_delay_alu instid0(VALU_DEP_1) | instskip(SKIP_1) | instid1(VALU_DEP_1)
	v_pk_fma_f32 v[140:141], v[142:143], v[128:129], v[132:133] op_sel:[0,0,1] op_sel_hi:[1,1,0] neg_lo:[0,0,1] neg_hi:[0,0,1]
	v_pk_fma_f32 v[132:133], v[142:143], v[128:129], v[132:133] op_sel:[0,0,1] op_sel_hi:[1,0,0]
	v_mov_b32_e32 v141, v133
	v_pk_add_f32 v[90:91], v[90:91], v[144:145] neg_lo:[0,1] neg_hi:[0,1]
	s_delay_alu instid0(VALU_DEP_2) | instskip(SKIP_3) | instid1(VALU_DEP_1)
	v_pk_add_f32 v[86:87], v[86:87], v[140:141] neg_lo:[0,1] neg_hi:[0,1]
	ds_load_2addr_b64 v[140:143], v135 offset0:20 offset1:21
	s_wait_dscnt 0x0
	v_dual_mul_f32 v132, v141, v131 :: v_dual_mul_f32 v144, v141, v128
	v_pk_fma_f32 v[132:133], v[140:141], v[102:103], v[132:133] op_sel_hi:[1,1,0] neg_lo:[0,0,1] neg_hi:[0,0,1]
	s_delay_alu instid0(VALU_DEP_2) | instskip(NEXT) | instid1(VALU_DEP_1)
	v_pk_fma_f32 v[140:141], v[140:141], v[102:103], v[144:145] op_sel:[1,0,0] op_sel_hi:[0,1,0]
	v_mov_b32_e32 v133, v141
	s_delay_alu instid0(VALU_DEP_1) | instskip(SKIP_1) | instid1(VALU_DEP_1)
	v_pk_add_f32 v[84:85], v[84:85], v[132:133] neg_lo:[0,1] neg_hi:[0,1]
	v_pk_mul_f32 v[132:133], v[142:143], v[130:131] op_sel:[0,1]
	v_pk_fma_f32 v[140:141], v[142:143], v[128:129], v[132:133] op_sel:[0,0,1] op_sel_hi:[1,1,0] neg_lo:[0,0,1] neg_hi:[0,0,1]
	v_pk_fma_f32 v[132:133], v[142:143], v[128:129], v[132:133] op_sel:[0,0,1] op_sel_hi:[1,0,0]
	s_delay_alu instid0(VALU_DEP_1) | instskip(NEXT) | instid1(VALU_DEP_1)
	v_mov_b32_e32 v141, v133
	v_pk_add_f32 v[80:81], v[80:81], v[140:141] neg_lo:[0,1] neg_hi:[0,1]
	ds_load_2addr_b64 v[140:143], v135 offset0:22 offset1:23
	s_wait_dscnt 0x0
	v_pk_mul_f32 v[132:133], v[140:141], v[130:131] op_sel:[0,1]
	s_delay_alu instid0(VALU_DEP_1) | instskip(SKIP_1) | instid1(VALU_DEP_1)
	v_pk_fma_f32 v[144:145], v[140:141], v[128:129], v[132:133] op_sel:[0,0,1] op_sel_hi:[1,1,0] neg_lo:[0,0,1] neg_hi:[0,0,1]
	v_pk_fma_f32 v[132:133], v[140:141], v[128:129], v[132:133] op_sel:[0,0,1] op_sel_hi:[1,0,0]
	v_mov_b32_e32 v145, v133
	v_pk_mul_f32 v[132:133], v[142:143], v[130:131] op_sel:[0,1]
	s_delay_alu instid0(VALU_DEP_2) | instskip(NEXT) | instid1(VALU_DEP_2)
	v_pk_add_f32 v[82:83], v[82:83], v[144:145] neg_lo:[0,1] neg_hi:[0,1]
	v_pk_fma_f32 v[140:141], v[142:143], v[128:129], v[132:133] op_sel:[0,0,1] op_sel_hi:[1,1,0] neg_lo:[0,0,1] neg_hi:[0,0,1]
	v_pk_fma_f32 v[132:133], v[142:143], v[128:129], v[132:133] op_sel:[0,0,1] op_sel_hi:[1,0,0]
	s_delay_alu instid0(VALU_DEP_1) | instskip(NEXT) | instid1(VALU_DEP_1)
	v_mov_b32_e32 v141, v133
	v_pk_add_f32 v[78:79], v[78:79], v[140:141] neg_lo:[0,1] neg_hi:[0,1]
	ds_load_2addr_b64 v[140:143], v135 offset0:24 offset1:25
	s_wait_dscnt 0x0
	v_pk_mul_f32 v[132:133], v[140:141], v[130:131] op_sel:[0,1]
	s_delay_alu instid0(VALU_DEP_1) | instskip(SKIP_2) | instid1(VALU_DEP_2)
	v_pk_fma_f32 v[144:145], v[140:141], v[128:129], v[132:133] op_sel:[0,0,1] op_sel_hi:[1,1,0] neg_lo:[0,0,1] neg_hi:[0,0,1]
	v_pk_fma_f32 v[132:133], v[140:141], v[128:129], v[132:133] op_sel:[0,0,1] op_sel_hi:[1,0,0]
	v_dual_mul_f32 v140, v143, v131 :: v_dual_mov_b32 v132, v143
	v_dual_mov_b32 v145, v133 :: v_dual_mov_b32 v133, v142
	s_delay_alu instid0(VALU_DEP_2) | instskip(SKIP_1) | instid1(VALU_DEP_3)
	v_pk_fma_f32 v[140:141], v[142:143], v[102:103], v[140:141] op_sel_hi:[1,1,0] neg_lo:[0,0,1] neg_hi:[0,0,1]
	v_mul_f32_e32 v142, v143, v128
	v_pk_add_f32 v[76:77], v[76:77], v[144:145] neg_lo:[0,1] neg_hi:[0,1]
	s_delay_alu instid0(VALU_DEP_2) | instskip(NEXT) | instid1(VALU_DEP_1)
	v_pk_fma_f32 v[132:133], v[132:133], v[102:103], v[142:143] op_sel_hi:[1,1,0]
	v_mov_b32_e32 v141, v133
	s_delay_alu instid0(VALU_DEP_1) | instskip(SKIP_3) | instid1(VALU_DEP_1)
	v_pk_add_f32 v[72:73], v[72:73], v[140:141] neg_lo:[0,1] neg_hi:[0,1]
	ds_load_2addr_b64 v[140:143], v135 offset0:26 offset1:27
	s_wait_dscnt 0x0
	v_pk_mul_f32 v[132:133], v[140:141], v[130:131] op_sel:[0,1]
	v_pk_fma_f32 v[144:145], v[140:141], v[128:129], v[132:133] op_sel:[0,0,1] op_sel_hi:[1,1,0] neg_lo:[0,0,1] neg_hi:[0,0,1]
	v_pk_fma_f32 v[132:133], v[140:141], v[128:129], v[132:133] op_sel:[0,0,1] op_sel_hi:[1,0,0]
	s_delay_alu instid0(VALU_DEP_1) | instskip(SKIP_1) | instid1(VALU_DEP_1)
	v_mov_b32_e32 v145, v133
	v_pk_mul_f32 v[132:133], v[142:143], v[130:131] op_sel:[0,1]
	v_pk_fma_f32 v[140:141], v[142:143], v[128:129], v[132:133] op_sel:[0,0,1] op_sel_hi:[1,1,0] neg_lo:[0,0,1] neg_hi:[0,0,1]
	v_pk_fma_f32 v[132:133], v[142:143], v[128:129], v[132:133] op_sel:[0,0,1] op_sel_hi:[1,0,0]
	s_delay_alu instid0(VALU_DEP_1) | instskip(SKIP_1) | instid1(VALU_DEP_2)
	v_mov_b32_e32 v141, v133
	v_pk_add_f32 v[74:75], v[74:75], v[144:145] neg_lo:[0,1] neg_hi:[0,1]
	v_pk_add_f32 v[70:71], v[70:71], v[140:141] neg_lo:[0,1] neg_hi:[0,1]
	ds_load_2addr_b64 v[140:143], v135 offset0:28 offset1:29
	s_wait_dscnt 0x0
	v_pk_mul_f32 v[132:133], v[140:141], v[130:131] op_sel:[0,1]
	s_delay_alu instid0(VALU_DEP_1) | instskip(SKIP_1) | instid1(VALU_DEP_1)
	v_pk_fma_f32 v[144:145], v[140:141], v[128:129], v[132:133] op_sel:[0,0,1] op_sel_hi:[1,1,0] neg_lo:[0,0,1] neg_hi:[0,0,1]
	v_pk_fma_f32 v[132:133], v[140:141], v[128:129], v[132:133] op_sel:[0,0,1] op_sel_hi:[1,0,0]
	v_mov_b32_e32 v145, v133
	v_pk_mul_f32 v[132:133], v[142:143], v[130:131] op_sel:[0,1]
	s_delay_alu instid0(VALU_DEP_1) | instskip(SKIP_1) | instid1(VALU_DEP_1)
	v_pk_fma_f32 v[140:141], v[142:143], v[128:129], v[132:133] op_sel:[0,0,1] op_sel_hi:[1,1,0] neg_lo:[0,0,1] neg_hi:[0,0,1]
	v_pk_fma_f32 v[132:133], v[142:143], v[128:129], v[132:133] op_sel:[0,0,1] op_sel_hi:[1,0,0]
	v_mov_b32_e32 v141, v133
	v_pk_add_f32 v[68:69], v[68:69], v[144:145] neg_lo:[0,1] neg_hi:[0,1]
	s_delay_alu instid0(VALU_DEP_2) | instskip(SKIP_3) | instid1(VALU_DEP_1)
	v_pk_add_f32 v[64:65], v[64:65], v[140:141] neg_lo:[0,1] neg_hi:[0,1]
	ds_load_2addr_b64 v[140:143], v135 offset0:30 offset1:31
	s_wait_dscnt 0x0
	v_dual_mul_f32 v132, v141, v131 :: v_dual_mul_f32 v144, v141, v128
	v_pk_fma_f32 v[132:133], v[140:141], v[102:103], v[132:133] op_sel_hi:[1,1,0] neg_lo:[0,0,1] neg_hi:[0,0,1]
	s_delay_alu instid0(VALU_DEP_2) | instskip(NEXT) | instid1(VALU_DEP_1)
	v_pk_fma_f32 v[140:141], v[140:141], v[102:103], v[144:145] op_sel:[1,0,0] op_sel_hi:[0,1,0]
	v_mov_b32_e32 v133, v141
	s_delay_alu instid0(VALU_DEP_1) | instskip(SKIP_1) | instid1(VALU_DEP_1)
	v_pk_add_f32 v[66:67], v[66:67], v[132:133] neg_lo:[0,1] neg_hi:[0,1]
	v_pk_mul_f32 v[132:133], v[142:143], v[130:131] op_sel:[0,1]
	v_pk_fma_f32 v[140:141], v[142:143], v[128:129], v[132:133] op_sel:[0,0,1] op_sel_hi:[1,1,0] neg_lo:[0,0,1] neg_hi:[0,0,1]
	v_pk_fma_f32 v[132:133], v[142:143], v[128:129], v[132:133] op_sel:[0,0,1] op_sel_hi:[1,0,0]
	s_delay_alu instid0(VALU_DEP_1) | instskip(NEXT) | instid1(VALU_DEP_1)
	v_mov_b32_e32 v141, v133
	v_pk_add_f32 v[62:63], v[62:63], v[140:141] neg_lo:[0,1] neg_hi:[0,1]
	ds_load_2addr_b64 v[140:143], v135 offset0:32 offset1:33
	s_wait_dscnt 0x0
	v_pk_mul_f32 v[132:133], v[140:141], v[130:131] op_sel:[0,1]
	s_delay_alu instid0(VALU_DEP_1) | instskip(SKIP_1) | instid1(VALU_DEP_1)
	v_pk_fma_f32 v[144:145], v[140:141], v[128:129], v[132:133] op_sel:[0,0,1] op_sel_hi:[1,1,0] neg_lo:[0,0,1] neg_hi:[0,0,1]
	v_pk_fma_f32 v[132:133], v[140:141], v[128:129], v[132:133] op_sel:[0,0,1] op_sel_hi:[1,0,0]
	v_mov_b32_e32 v145, v133
	v_pk_mul_f32 v[132:133], v[142:143], v[130:131] op_sel:[0,1]
	s_delay_alu instid0(VALU_DEP_2) | instskip(NEXT) | instid1(VALU_DEP_2)
	v_pk_add_f32 v[60:61], v[60:61], v[144:145] neg_lo:[0,1] neg_hi:[0,1]
	v_pk_fma_f32 v[140:141], v[142:143], v[128:129], v[132:133] op_sel:[0,0,1] op_sel_hi:[1,1,0] neg_lo:[0,0,1] neg_hi:[0,0,1]
	v_pk_fma_f32 v[132:133], v[142:143], v[128:129], v[132:133] op_sel:[0,0,1] op_sel_hi:[1,0,0]
	s_delay_alu instid0(VALU_DEP_1) | instskip(NEXT) | instid1(VALU_DEP_1)
	v_mov_b32_e32 v141, v133
	v_pk_add_f32 v[56:57], v[56:57], v[140:141] neg_lo:[0,1] neg_hi:[0,1]
	ds_load_2addr_b64 v[140:143], v135 offset0:34 offset1:35
	s_wait_dscnt 0x0
	v_pk_mul_f32 v[132:133], v[140:141], v[130:131] op_sel:[0,1]
	s_delay_alu instid0(VALU_DEP_1) | instskip(SKIP_2) | instid1(VALU_DEP_2)
	v_pk_fma_f32 v[144:145], v[140:141], v[128:129], v[132:133] op_sel:[0,0,1] op_sel_hi:[1,1,0] neg_lo:[0,0,1] neg_hi:[0,0,1]
	v_pk_fma_f32 v[132:133], v[140:141], v[128:129], v[132:133] op_sel:[0,0,1] op_sel_hi:[1,0,0]
	v_dual_mul_f32 v140, v143, v131 :: v_dual_mov_b32 v132, v143
	v_dual_mov_b32 v145, v133 :: v_dual_mov_b32 v133, v142
	s_delay_alu instid0(VALU_DEP_2) | instskip(SKIP_1) | instid1(VALU_DEP_3)
	v_pk_fma_f32 v[140:141], v[142:143], v[102:103], v[140:141] op_sel_hi:[1,1,0] neg_lo:[0,0,1] neg_hi:[0,0,1]
	v_mul_f32_e32 v142, v143, v128
	v_pk_add_f32 v[58:59], v[58:59], v[144:145] neg_lo:[0,1] neg_hi:[0,1]
	s_delay_alu instid0(VALU_DEP_2) | instskip(NEXT) | instid1(VALU_DEP_1)
	v_pk_fma_f32 v[132:133], v[132:133], v[102:103], v[142:143] op_sel_hi:[1,1,0]
	v_mov_b32_e32 v141, v133
	s_delay_alu instid0(VALU_DEP_1) | instskip(SKIP_3) | instid1(VALU_DEP_1)
	v_pk_add_f32 v[54:55], v[54:55], v[140:141] neg_lo:[0,1] neg_hi:[0,1]
	ds_load_2addr_b64 v[140:143], v135 offset0:36 offset1:37
	s_wait_dscnt 0x0
	v_pk_mul_f32 v[132:133], v[140:141], v[130:131] op_sel:[0,1]
	v_pk_fma_f32 v[144:145], v[140:141], v[128:129], v[132:133] op_sel:[0,0,1] op_sel_hi:[1,1,0] neg_lo:[0,0,1] neg_hi:[0,0,1]
	v_pk_fma_f32 v[132:133], v[140:141], v[128:129], v[132:133] op_sel:[0,0,1] op_sel_hi:[1,0,0]
	s_delay_alu instid0(VALU_DEP_1) | instskip(SKIP_1) | instid1(VALU_DEP_1)
	v_mov_b32_e32 v145, v133
	v_pk_mul_f32 v[132:133], v[142:143], v[130:131] op_sel:[0,1]
	v_pk_fma_f32 v[140:141], v[142:143], v[128:129], v[132:133] op_sel:[0,0,1] op_sel_hi:[1,1,0] neg_lo:[0,0,1] neg_hi:[0,0,1]
	v_pk_fma_f32 v[132:133], v[142:143], v[128:129], v[132:133] op_sel:[0,0,1] op_sel_hi:[1,0,0]
	s_delay_alu instid0(VALU_DEP_1) | instskip(SKIP_1) | instid1(VALU_DEP_2)
	v_mov_b32_e32 v141, v133
	v_pk_add_f32 v[52:53], v[52:53], v[144:145] neg_lo:[0,1] neg_hi:[0,1]
	v_pk_add_f32 v[48:49], v[48:49], v[140:141] neg_lo:[0,1] neg_hi:[0,1]
	ds_load_2addr_b64 v[140:143], v135 offset0:38 offset1:39
	s_wait_dscnt 0x0
	v_pk_mul_f32 v[132:133], v[140:141], v[130:131] op_sel:[0,1]
	s_delay_alu instid0(VALU_DEP_1) | instskip(SKIP_1) | instid1(VALU_DEP_1)
	v_pk_fma_f32 v[144:145], v[140:141], v[128:129], v[132:133] op_sel:[0,0,1] op_sel_hi:[1,1,0] neg_lo:[0,0,1] neg_hi:[0,0,1]
	v_pk_fma_f32 v[132:133], v[140:141], v[128:129], v[132:133] op_sel:[0,0,1] op_sel_hi:[1,0,0]
	v_mov_b32_e32 v145, v133
	v_pk_mul_f32 v[132:133], v[142:143], v[130:131] op_sel:[0,1]
	s_delay_alu instid0(VALU_DEP_1) | instskip(SKIP_1) | instid1(VALU_DEP_1)
	v_pk_fma_f32 v[140:141], v[142:143], v[128:129], v[132:133] op_sel:[0,0,1] op_sel_hi:[1,1,0] neg_lo:[0,0,1] neg_hi:[0,0,1]
	v_pk_fma_f32 v[132:133], v[142:143], v[128:129], v[132:133] op_sel:[0,0,1] op_sel_hi:[1,0,0]
	v_mov_b32_e32 v141, v133
	v_pk_add_f32 v[50:51], v[50:51], v[144:145] neg_lo:[0,1] neg_hi:[0,1]
	s_delay_alu instid0(VALU_DEP_2) | instskip(SKIP_3) | instid1(VALU_DEP_1)
	v_pk_add_f32 v[46:47], v[46:47], v[140:141] neg_lo:[0,1] neg_hi:[0,1]
	ds_load_2addr_b64 v[140:143], v135 offset0:40 offset1:41
	s_wait_dscnt 0x0
	v_dual_mul_f32 v132, v141, v131 :: v_dual_mul_f32 v144, v141, v128
	v_pk_fma_f32 v[132:133], v[140:141], v[102:103], v[132:133] op_sel_hi:[1,1,0] neg_lo:[0,0,1] neg_hi:[0,0,1]
	s_delay_alu instid0(VALU_DEP_2) | instskip(NEXT) | instid1(VALU_DEP_1)
	v_pk_fma_f32 v[140:141], v[140:141], v[102:103], v[144:145] op_sel:[1,0,0] op_sel_hi:[0,1,0]
	v_mov_b32_e32 v133, v141
	s_delay_alu instid0(VALU_DEP_1) | instskip(SKIP_1) | instid1(VALU_DEP_1)
	v_pk_add_f32 v[42:43], v[42:43], v[132:133] neg_lo:[0,1] neg_hi:[0,1]
	v_pk_mul_f32 v[132:133], v[142:143], v[130:131] op_sel:[0,1]
	v_pk_fma_f32 v[140:141], v[142:143], v[128:129], v[132:133] op_sel:[0,0,1] op_sel_hi:[1,1,0] neg_lo:[0,0,1] neg_hi:[0,0,1]
	v_pk_fma_f32 v[132:133], v[142:143], v[128:129], v[132:133] op_sel:[0,0,1] op_sel_hi:[1,0,0]
	s_delay_alu instid0(VALU_DEP_1) | instskip(NEXT) | instid1(VALU_DEP_1)
	v_mov_b32_e32 v141, v133
	v_pk_add_f32 v[38:39], v[38:39], v[140:141] neg_lo:[0,1] neg_hi:[0,1]
	ds_load_2addr_b64 v[140:143], v135 offset0:42 offset1:43
	s_wait_dscnt 0x0
	v_pk_mul_f32 v[132:133], v[140:141], v[130:131] op_sel:[0,1]
	s_delay_alu instid0(VALU_DEP_1) | instskip(SKIP_1) | instid1(VALU_DEP_1)
	v_pk_fma_f32 v[144:145], v[140:141], v[128:129], v[132:133] op_sel:[0,0,1] op_sel_hi:[1,1,0] neg_lo:[0,0,1] neg_hi:[0,0,1]
	v_pk_fma_f32 v[132:133], v[140:141], v[128:129], v[132:133] op_sel:[0,0,1] op_sel_hi:[1,0,0]
	v_mov_b32_e32 v145, v133
	v_pk_mul_f32 v[132:133], v[142:143], v[130:131] op_sel:[0,1]
	s_delay_alu instid0(VALU_DEP_2) | instskip(NEXT) | instid1(VALU_DEP_2)
	v_pk_add_f32 v[40:41], v[40:41], v[144:145] neg_lo:[0,1] neg_hi:[0,1]
	v_pk_fma_f32 v[140:141], v[142:143], v[128:129], v[132:133] op_sel:[0,0,1] op_sel_hi:[1,1,0] neg_lo:[0,0,1] neg_hi:[0,0,1]
	v_pk_fma_f32 v[132:133], v[142:143], v[128:129], v[132:133] op_sel:[0,0,1] op_sel_hi:[1,0,0]
	s_delay_alu instid0(VALU_DEP_1) | instskip(NEXT) | instid1(VALU_DEP_1)
	v_mov_b32_e32 v141, v133
	v_pk_add_f32 v[36:37], v[36:37], v[140:141] neg_lo:[0,1] neg_hi:[0,1]
	ds_load_2addr_b64 v[140:143], v135 offset0:44 offset1:45
	s_wait_dscnt 0x0
	v_pk_mul_f32 v[132:133], v[140:141], v[130:131] op_sel:[0,1]
	s_delay_alu instid0(VALU_DEP_1) | instskip(SKIP_2) | instid1(VALU_DEP_2)
	v_pk_fma_f32 v[144:145], v[140:141], v[128:129], v[132:133] op_sel:[0,0,1] op_sel_hi:[1,1,0] neg_lo:[0,0,1] neg_hi:[0,0,1]
	v_pk_fma_f32 v[132:133], v[140:141], v[128:129], v[132:133] op_sel:[0,0,1] op_sel_hi:[1,0,0]
	v_dual_mul_f32 v140, v143, v131 :: v_dual_mov_b32 v132, v143
	v_dual_mov_b32 v145, v133 :: v_dual_mov_b32 v133, v142
	s_delay_alu instid0(VALU_DEP_2) | instskip(SKIP_1) | instid1(VALU_DEP_3)
	v_pk_fma_f32 v[140:141], v[142:143], v[102:103], v[140:141] op_sel_hi:[1,1,0] neg_lo:[0,0,1] neg_hi:[0,0,1]
	v_mul_f32_e32 v142, v143, v128
	v_pk_add_f32 v[34:35], v[34:35], v[144:145] neg_lo:[0,1] neg_hi:[0,1]
	s_delay_alu instid0(VALU_DEP_2) | instskip(NEXT) | instid1(VALU_DEP_1)
	v_pk_fma_f32 v[132:133], v[132:133], v[102:103], v[142:143] op_sel_hi:[1,1,0]
	v_mov_b32_e32 v141, v133
	s_delay_alu instid0(VALU_DEP_1) | instskip(SKIP_3) | instid1(VALU_DEP_1)
	v_pk_add_f32 v[30:31], v[30:31], v[140:141] neg_lo:[0,1] neg_hi:[0,1]
	ds_load_2addr_b64 v[140:143], v135 offset0:46 offset1:47
	s_wait_dscnt 0x0
	v_pk_mul_f32 v[132:133], v[140:141], v[130:131] op_sel:[0,1]
	v_pk_fma_f32 v[144:145], v[140:141], v[128:129], v[132:133] op_sel:[0,0,1] op_sel_hi:[1,1,0] neg_lo:[0,0,1] neg_hi:[0,0,1]
	v_pk_fma_f32 v[132:133], v[140:141], v[128:129], v[132:133] op_sel:[0,0,1] op_sel_hi:[1,0,0]
	s_delay_alu instid0(VALU_DEP_1) | instskip(SKIP_1) | instid1(VALU_DEP_1)
	v_mov_b32_e32 v145, v133
	v_pk_mul_f32 v[132:133], v[142:143], v[130:131] op_sel:[0,1]
	v_pk_fma_f32 v[140:141], v[142:143], v[128:129], v[132:133] op_sel:[0,0,1] op_sel_hi:[1,1,0] neg_lo:[0,0,1] neg_hi:[0,0,1]
	v_pk_fma_f32 v[132:133], v[142:143], v[128:129], v[132:133] op_sel:[0,0,1] op_sel_hi:[1,0,0]
	s_delay_alu instid0(VALU_DEP_1) | instskip(SKIP_1) | instid1(VALU_DEP_2)
	v_mov_b32_e32 v141, v133
	v_pk_add_f32 v[32:33], v[32:33], v[144:145] neg_lo:[0,1] neg_hi:[0,1]
	v_pk_add_f32 v[28:29], v[28:29], v[140:141] neg_lo:[0,1] neg_hi:[0,1]
	ds_load_2addr_b64 v[140:143], v135 offset0:48 offset1:49
	s_wait_dscnt 0x0
	v_pk_mul_f32 v[132:133], v[140:141], v[130:131] op_sel:[0,1]
	s_delay_alu instid0(VALU_DEP_1) | instskip(SKIP_1) | instid1(VALU_DEP_1)
	v_pk_fma_f32 v[144:145], v[140:141], v[128:129], v[132:133] op_sel:[0,0,1] op_sel_hi:[1,1,0] neg_lo:[0,0,1] neg_hi:[0,0,1]
	v_pk_fma_f32 v[132:133], v[140:141], v[128:129], v[132:133] op_sel:[0,0,1] op_sel_hi:[1,0,0]
	v_mov_b32_e32 v145, v133
	v_pk_mul_f32 v[132:133], v[142:143], v[130:131] op_sel:[0,1]
	s_delay_alu instid0(VALU_DEP_1) | instskip(SKIP_1) | instid1(VALU_DEP_1)
	v_pk_fma_f32 v[140:141], v[142:143], v[128:129], v[132:133] op_sel:[0,0,1] op_sel_hi:[1,1,0] neg_lo:[0,0,1] neg_hi:[0,0,1]
	v_pk_fma_f32 v[132:133], v[142:143], v[128:129], v[132:133] op_sel:[0,0,1] op_sel_hi:[1,0,0]
	v_mov_b32_e32 v141, v133
	v_pk_add_f32 v[26:27], v[26:27], v[144:145] neg_lo:[0,1] neg_hi:[0,1]
	s_delay_alu instid0(VALU_DEP_2) | instskip(SKIP_3) | instid1(VALU_DEP_1)
	v_pk_add_f32 v[22:23], v[22:23], v[140:141] neg_lo:[0,1] neg_hi:[0,1]
	ds_load_2addr_b64 v[140:143], v135 offset0:50 offset1:51
	s_wait_dscnt 0x0
	v_dual_mul_f32 v132, v141, v131 :: v_dual_mul_f32 v144, v141, v128
	v_pk_fma_f32 v[132:133], v[140:141], v[102:103], v[132:133] op_sel_hi:[1,1,0] neg_lo:[0,0,1] neg_hi:[0,0,1]
	s_delay_alu instid0(VALU_DEP_2) | instskip(NEXT) | instid1(VALU_DEP_1)
	v_pk_fma_f32 v[140:141], v[140:141], v[102:103], v[144:145] op_sel:[1,0,0] op_sel_hi:[0,1,0]
	v_mov_b32_e32 v133, v141
	s_delay_alu instid0(VALU_DEP_1) | instskip(SKIP_1) | instid1(VALU_DEP_1)
	v_pk_add_f32 v[24:25], v[24:25], v[132:133] neg_lo:[0,1] neg_hi:[0,1]
	v_pk_mul_f32 v[132:133], v[142:143], v[130:131] op_sel:[0,1]
	v_pk_fma_f32 v[140:141], v[142:143], v[128:129], v[132:133] op_sel:[0,0,1] op_sel_hi:[1,1,0] neg_lo:[0,0,1] neg_hi:[0,0,1]
	v_pk_fma_f32 v[132:133], v[142:143], v[128:129], v[132:133] op_sel:[0,0,1] op_sel_hi:[1,0,0]
	s_delay_alu instid0(VALU_DEP_1) | instskip(NEXT) | instid1(VALU_DEP_1)
	v_mov_b32_e32 v141, v133
	v_pk_add_f32 v[44:45], v[44:45], v[140:141] neg_lo:[0,1] neg_hi:[0,1]
	ds_load_2addr_b64 v[140:143], v135 offset0:52 offset1:53
	s_wait_dscnt 0x0
	v_pk_mul_f32 v[132:133], v[140:141], v[130:131] op_sel:[0,1]
	s_delay_alu instid0(VALU_DEP_1) | instskip(SKIP_1) | instid1(VALU_DEP_1)
	v_pk_fma_f32 v[144:145], v[140:141], v[128:129], v[132:133] op_sel:[0,0,1] op_sel_hi:[1,1,0] neg_lo:[0,0,1] neg_hi:[0,0,1]
	v_pk_fma_f32 v[132:133], v[140:141], v[128:129], v[132:133] op_sel:[0,0,1] op_sel_hi:[1,0,0]
	v_mov_b32_e32 v145, v133
	v_pk_mul_f32 v[132:133], v[142:143], v[130:131] op_sel:[0,1]
	s_delay_alu instid0(VALU_DEP_2) | instskip(NEXT) | instid1(VALU_DEP_2)
	v_pk_add_f32 v[16:17], v[16:17], v[144:145] neg_lo:[0,1] neg_hi:[0,1]
	v_pk_fma_f32 v[140:141], v[142:143], v[128:129], v[132:133] op_sel:[0,0,1] op_sel_hi:[1,1,0] neg_lo:[0,0,1] neg_hi:[0,0,1]
	v_pk_fma_f32 v[132:133], v[142:143], v[128:129], v[132:133] op_sel:[0,0,1] op_sel_hi:[1,0,0]
	s_delay_alu instid0(VALU_DEP_1) | instskip(NEXT) | instid1(VALU_DEP_1)
	v_mov_b32_e32 v141, v133
	v_pk_add_f32 v[12:13], v[12:13], v[140:141] neg_lo:[0,1] neg_hi:[0,1]
	ds_load_2addr_b64 v[140:143], v135 offset0:54 offset1:55
	s_wait_dscnt 0x0
	v_pk_mul_f32 v[132:133], v[140:141], v[130:131] op_sel:[0,1]
	s_delay_alu instid0(VALU_DEP_1) | instskip(SKIP_2) | instid1(VALU_DEP_2)
	v_pk_fma_f32 v[144:145], v[140:141], v[128:129], v[132:133] op_sel:[0,0,1] op_sel_hi:[1,1,0] neg_lo:[0,0,1] neg_hi:[0,0,1]
	v_pk_fma_f32 v[132:133], v[140:141], v[128:129], v[132:133] op_sel:[0,0,1] op_sel_hi:[1,0,0]
	v_dual_mul_f32 v140, v143, v131 :: v_dual_mov_b32 v132, v143
	v_dual_mov_b32 v145, v133 :: v_dual_mov_b32 v133, v142
	s_delay_alu instid0(VALU_DEP_2) | instskip(SKIP_1) | instid1(VALU_DEP_3)
	v_pk_fma_f32 v[140:141], v[142:143], v[102:103], v[140:141] op_sel_hi:[1,1,0] neg_lo:[0,0,1] neg_hi:[0,0,1]
	v_mul_f32_e32 v142, v143, v128
	v_pk_add_f32 v[14:15], v[14:15], v[144:145] neg_lo:[0,1] neg_hi:[0,1]
	s_delay_alu instid0(VALU_DEP_2) | instskip(NEXT) | instid1(VALU_DEP_1)
	v_pk_fma_f32 v[132:133], v[132:133], v[102:103], v[142:143] op_sel_hi:[1,1,0]
	v_mov_b32_e32 v141, v133
	s_delay_alu instid0(VALU_DEP_1) | instskip(SKIP_3) | instid1(VALU_DEP_1)
	v_pk_add_f32 v[10:11], v[10:11], v[140:141] neg_lo:[0,1] neg_hi:[0,1]
	ds_load_2addr_b64 v[140:143], v135 offset0:56 offset1:57
	s_wait_dscnt 0x0
	v_pk_mul_f32 v[132:133], v[140:141], v[130:131] op_sel:[0,1]
	v_pk_fma_f32 v[144:145], v[140:141], v[128:129], v[132:133] op_sel:[0,0,1] op_sel_hi:[1,1,0] neg_lo:[0,0,1] neg_hi:[0,0,1]
	v_pk_fma_f32 v[132:133], v[140:141], v[128:129], v[132:133] op_sel:[0,0,1] op_sel_hi:[1,0,0]
	s_delay_alu instid0(VALU_DEP_1) | instskip(SKIP_1) | instid1(VALU_DEP_1)
	v_mov_b32_e32 v145, v133
	v_pk_mul_f32 v[132:133], v[142:143], v[130:131] op_sel:[0,1]
	v_pk_fma_f32 v[140:141], v[142:143], v[128:129], v[132:133] op_sel:[0,0,1] op_sel_hi:[1,1,0] neg_lo:[0,0,1] neg_hi:[0,0,1]
	v_pk_fma_f32 v[132:133], v[142:143], v[128:129], v[132:133] op_sel:[0,0,1] op_sel_hi:[1,0,0]
	s_delay_alu instid0(VALU_DEP_1) | instskip(SKIP_1) | instid1(VALU_DEP_2)
	v_mov_b32_e32 v141, v133
	v_pk_add_f32 v[6:7], v[6:7], v[144:145] neg_lo:[0,1] neg_hi:[0,1]
	v_pk_add_f32 v[20:21], v[20:21], v[140:141] neg_lo:[0,1] neg_hi:[0,1]
	ds_load_2addr_b64 v[140:143], v135 offset0:58 offset1:59
	s_wait_dscnt 0x0
	v_pk_mul_f32 v[132:133], v[140:141], v[130:131] op_sel:[0,1]
	s_delay_alu instid0(VALU_DEP_1) | instskip(SKIP_1) | instid1(VALU_DEP_1)
	v_pk_fma_f32 v[144:145], v[140:141], v[128:129], v[132:133] op_sel:[0,0,1] op_sel_hi:[1,1,0] neg_lo:[0,0,1] neg_hi:[0,0,1]
	v_pk_fma_f32 v[132:133], v[140:141], v[128:129], v[132:133] op_sel:[0,0,1] op_sel_hi:[1,0,0]
	v_mov_b32_e32 v145, v133
	v_pk_mul_f32 v[132:133], v[142:143], v[130:131] op_sel:[0,1]
	s_delay_alu instid0(VALU_DEP_1) | instskip(SKIP_1) | instid1(VALU_DEP_1)
	v_pk_fma_f32 v[140:141], v[142:143], v[128:129], v[132:133] op_sel:[0,0,1] op_sel_hi:[1,1,0] neg_lo:[0,0,1] neg_hi:[0,0,1]
	v_pk_fma_f32 v[132:133], v[142:143], v[128:129], v[132:133] op_sel:[0,0,1] op_sel_hi:[1,0,0]
	v_mov_b32_e32 v141, v133
	ds_load_b64 v[132:133], v135 offset:480
	v_pk_add_f32 v[18:19], v[18:19], v[144:145] neg_lo:[0,1] neg_hi:[0,1]
	v_pk_add_f32 v[8:9], v[8:9], v[140:141] neg_lo:[0,1] neg_hi:[0,1]
	s_wait_dscnt 0x0
	v_pk_mul_f32 v[130:131], v[132:133], v[130:131] op_sel:[0,1]
	s_delay_alu instid0(VALU_DEP_1) | instskip(SKIP_1) | instid1(VALU_DEP_1)
	v_pk_fma_f32 v[140:141], v[132:133], v[128:129], v[130:131] op_sel:[0,0,1] op_sel_hi:[1,1,0] neg_lo:[0,0,1] neg_hi:[0,0,1]
	v_pk_fma_f32 v[128:129], v[132:133], v[128:129], v[130:131] op_sel:[0,0,1] op_sel_hi:[1,0,0]
	v_mov_b32_e32 v141, v129
	s_delay_alu instid0(VALU_DEP_1)
	v_pk_add_f32 v[126:127], v[126:127], v[140:141] neg_lo:[0,1] neg_hi:[0,1]
.LBB120_251:
	s_or_b32 exec_lo, exec_lo, s0
	v_lshl_add_u32 v128, v138, 3, v135
	s_barrier_signal -1
	s_barrier_wait -1
	ds_store_b64 v128, v[100:101]
	s_wait_dscnt 0x0
	s_barrier_signal -1
	s_barrier_wait -1
	ds_load_b64 v[130:131], v135 offset:96
	v_mov_b32_e32 v128, 12
	s_cmp_lt_i32 s18, 14
	s_cbranch_scc1 .LBB120_254
; %bb.252:
	v_add3_u32 v129, v136, 0, 0x68
	v_mov_b32_e32 v128, 12
	s_mov_b32 s0, 13
.LBB120_253:                            ; =>This Inner Loop Header: Depth=1
	ds_load_b64 v[132:133], v129
	s_wait_dscnt 0x1
	v_cmp_gt_f32_e32 vcc_lo, 0, v130
	v_cndmask_b32_e64 v140, v130, -v130, vcc_lo
	v_cmp_gt_f32_e32 vcc_lo, 0, v131
	v_cndmask_b32_e64 v142, v131, -v131, vcc_lo
	s_wait_dscnt 0x0
	v_cmp_gt_f32_e32 vcc_lo, 0, v132
	v_cndmask_b32_e64 v141, v132, -v132, vcc_lo
	v_cmp_gt_f32_e32 vcc_lo, 0, v133
	v_cndmask_b32_e64 v143, v133, -v133, vcc_lo
	s_delay_alu instid0(VALU_DEP_1) | instskip(NEXT) | instid1(VALU_DEP_1)
	v_pk_add_f32 v[140:141], v[140:141], v[142:143]
	v_cmp_lt_f32_e32 vcc_lo, v140, v141
	v_dual_cndmask_b32 v130, v130, v132 :: v_dual_add_nc_u32 v129, 8, v129
	v_cndmask_b32_e32 v131, v131, v133, vcc_lo
	v_cndmask_b32_e64 v128, v128, s0, vcc_lo
	s_add_co_i32 s0, s0, 1
	s_delay_alu instid0(SALU_CYCLE_1)
	s_cmp_lg_u32 s18, s0
	s_cbranch_scc1 .LBB120_253
.LBB120_254:
	s_wait_dscnt 0x0
	v_cmp_eq_f32_e32 vcc_lo, 0, v130
	v_cmp_eq_f32_e64 s0, 0, v131
	s_and_b32 s0, vcc_lo, s0
	s_delay_alu instid0(SALU_CYCLE_1) | instskip(NEXT) | instid1(SALU_CYCLE_1)
	s_and_saveexec_b32 s1, s0
	s_xor_b32 s0, exec_lo, s1
; %bb.255:
	v_cmp_ne_u32_e32 vcc_lo, 0, v134
	v_cndmask_b32_e32 v134, 13, v134, vcc_lo
; %bb.256:
	s_and_not1_saveexec_b32 s0, s0
	s_cbranch_execz .LBB120_262
; %bb.257:
	v_cmp_ngt_f32_e64 s1, |v130|, |v131|
	s_and_saveexec_b32 s12, s1
	s_delay_alu instid0(SALU_CYCLE_1)
	s_xor_b32 s1, exec_lo, s12
	s_cbranch_execz .LBB120_259
; %bb.258:
	v_div_scale_f32 v129, null, v131, v131, v130
	v_div_scale_f32 v139, vcc_lo, v130, v131, v130
	s_delay_alu instid0(VALU_DEP_2) | instskip(SKIP_1) | instid1(TRANS32_DEP_1)
	v_rcp_f32_e32 v132, v129
	v_nop
	v_fma_f32 v133, -v129, v132, 1.0
	s_delay_alu instid0(VALU_DEP_1) | instskip(NEXT) | instid1(VALU_DEP_1)
	v_fmac_f32_e32 v132, v133, v132
	v_mul_f32_e32 v133, v139, v132
	s_delay_alu instid0(VALU_DEP_1) | instskip(NEXT) | instid1(VALU_DEP_1)
	v_fma_f32 v140, -v129, v133, v139
	v_fmac_f32_e32 v133, v140, v132
	s_delay_alu instid0(VALU_DEP_1) | instskip(NEXT) | instid1(VALU_DEP_1)
	v_fma_f32 v129, -v129, v133, v139
	v_div_fmas_f32 v129, v129, v132, v133
	s_delay_alu instid0(VALU_DEP_1) | instskip(NEXT) | instid1(VALU_DEP_1)
	v_div_fixup_f32 v129, v129, v131, v130
	v_fmac_f32_e32 v131, v130, v129
	s_delay_alu instid0(VALU_DEP_1) | instskip(SKIP_1) | instid1(VALU_DEP_2)
	v_div_scale_f32 v130, null, v131, v131, 1.0
	v_div_scale_f32 v139, vcc_lo, 1.0, v131, 1.0
	v_rcp_f32_e32 v132, v130
	v_nop
	s_delay_alu instid0(TRANS32_DEP_1) | instskip(NEXT) | instid1(VALU_DEP_1)
	v_fma_f32 v133, -v130, v132, 1.0
	v_fmac_f32_e32 v132, v133, v132
	s_delay_alu instid0(VALU_DEP_1) | instskip(NEXT) | instid1(VALU_DEP_1)
	v_mul_f32_e32 v133, v139, v132
	v_fma_f32 v140, -v130, v133, v139
	s_delay_alu instid0(VALU_DEP_1) | instskip(NEXT) | instid1(VALU_DEP_1)
	v_fmac_f32_e32 v133, v140, v132
	v_fma_f32 v130, -v130, v133, v139
	s_delay_alu instid0(VALU_DEP_1) | instskip(NEXT) | instid1(VALU_DEP_1)
	v_div_fmas_f32 v130, v130, v132, v133
	v_div_fixup_f32 v131, v130, v131, 1.0
	s_delay_alu instid0(VALU_DEP_1)
	v_mul_f32_e32 v130, v129, v131
	v_xor_b32_e32 v131, 0x80000000, v131
.LBB120_259:
	s_and_not1_saveexec_b32 s1, s1
	s_cbranch_execz .LBB120_261
; %bb.260:
	s_delay_alu instid0(VALU_DEP_1) | instskip(SKIP_1) | instid1(VALU_DEP_2)
	v_div_scale_f32 v129, null, v130, v130, v131
	v_div_scale_f32 v139, vcc_lo, v131, v130, v131
	v_rcp_f32_e32 v132, v129
	v_nop
	s_delay_alu instid0(TRANS32_DEP_1) | instskip(NEXT) | instid1(VALU_DEP_1)
	v_fma_f32 v133, -v129, v132, 1.0
	v_fmac_f32_e32 v132, v133, v132
	s_delay_alu instid0(VALU_DEP_1) | instskip(NEXT) | instid1(VALU_DEP_1)
	v_mul_f32_e32 v133, v139, v132
	v_fma_f32 v140, -v129, v133, v139
	s_delay_alu instid0(VALU_DEP_1) | instskip(NEXT) | instid1(VALU_DEP_1)
	v_fmac_f32_e32 v133, v140, v132
	v_fma_f32 v129, -v129, v133, v139
	s_delay_alu instid0(VALU_DEP_1) | instskip(NEXT) | instid1(VALU_DEP_1)
	v_div_fmas_f32 v129, v129, v132, v133
	v_div_fixup_f32 v129, v129, v130, v131
	s_delay_alu instid0(VALU_DEP_1) | instskip(NEXT) | instid1(VALU_DEP_1)
	v_fmac_f32_e32 v130, v131, v129
	v_div_scale_f32 v131, null, v130, v130, 1.0
	s_delay_alu instid0(VALU_DEP_1) | instskip(SKIP_1) | instid1(TRANS32_DEP_1)
	v_rcp_f32_e32 v132, v131
	v_nop
	v_fma_f32 v133, -v131, v132, 1.0
	s_delay_alu instid0(VALU_DEP_1) | instskip(SKIP_1) | instid1(VALU_DEP_1)
	v_fmac_f32_e32 v132, v133, v132
	v_div_scale_f32 v133, vcc_lo, 1.0, v130, 1.0
	v_mul_f32_e32 v139, v133, v132
	s_delay_alu instid0(VALU_DEP_1) | instskip(NEXT) | instid1(VALU_DEP_1)
	v_fma_f32 v140, -v131, v139, v133
	v_fmac_f32_e32 v139, v140, v132
	s_delay_alu instid0(VALU_DEP_1) | instskip(NEXT) | instid1(VALU_DEP_1)
	v_fma_f32 v131, -v131, v139, v133
	v_div_fmas_f32 v131, v131, v132, v139
	s_delay_alu instid0(VALU_DEP_1) | instskip(NEXT) | instid1(VALU_DEP_1)
	v_div_fixup_f32 v130, v131, v130, 1.0
	v_mul_f32_e64 v131, v129, -v130
.LBB120_261:
	s_or_b32 exec_lo, exec_lo, s1
.LBB120_262:
	s_delay_alu instid0(SALU_CYCLE_1) | instskip(NEXT) | instid1(SALU_CYCLE_1)
	s_or_b32 exec_lo, exec_lo, s0
	s_mov_b32 s0, exec_lo
	v_cmpx_ne_u32_e64 v138, v128
	s_xor_b32 s0, exec_lo, s0
	s_cbranch_execz .LBB120_268
; %bb.263:
	s_mov_b32 s1, exec_lo
	v_cmpx_eq_u32_e32 12, v138
	s_cbranch_execz .LBB120_267
; %bb.264:
	v_cmp_ne_u32_e32 vcc_lo, 12, v128
	s_xor_b32 s12, s16, -1
	s_delay_alu instid0(SALU_CYCLE_1) | instskip(NEXT) | instid1(SALU_CYCLE_1)
	s_and_b32 s13, s12, vcc_lo
	s_and_saveexec_b32 s12, s13
	s_cbranch_execz .LBB120_266
; %bb.265:
	v_ashrrev_i32_e32 v129, 31, v128
	s_delay_alu instid0(VALU_DEP_1)
	v_lshl_add_u64 v[132:133], v[128:129], 2, v[4:5]
	s_clause 0x1
	global_load_b32 v129, v[132:133], off
	global_load_b32 v137, v[4:5], off offset:48
	s_wait_loadcnt 0x1
	global_store_b32 v[4:5], v129, off offset:48
	s_wait_loadcnt 0x0
	global_store_b32 v[132:133], v137, off
.LBB120_266:
	s_wait_xcnt 0x0
	s_or_b32 exec_lo, exec_lo, s12
	v_dual_mov_b32 v138, v128 :: v_dual_mov_b32 v137, v128
.LBB120_267:
	s_or_b32 exec_lo, exec_lo, s1
.LBB120_268:
	s_and_not1_saveexec_b32 s0, s0
	s_cbranch_execz .LBB120_270
; %bb.269:
	v_mov_b32_e32 v138, 12
	ds_store_2addr_b64 v135, v[96:97], v[98:99] offset0:13 offset1:14
	ds_store_2addr_b64 v135, v[94:95], v[92:93] offset0:15 offset1:16
	;; [unrolled: 1-line block ×24, first 2 shown]
.LBB120_270:
	s_or_b32 exec_lo, exec_lo, s0
	s_delay_alu instid0(SALU_CYCLE_1)
	s_mov_b32 s0, exec_lo
	s_wait_storecnt_dscnt 0x0
	s_barrier_signal -1
	s_barrier_wait -1
	v_cmpx_lt_i32_e32 12, v138
	s_cbranch_execz .LBB120_272
; %bb.271:
	ds_load_2addr_b64 v[140:143], v135 offset0:13 offset1:14
	v_pk_mul_f32 v[132:133], v[130:131], v[100:101] op_sel:[1,1] op_sel_hi:[0,1]
	s_delay_alu instid0(VALU_DEP_1) | instskip(SKIP_1) | instid1(VALU_DEP_1)
	v_pk_fma_f32 v[128:129], v[130:131], v[100:101], v[132:133] op_sel_hi:[1,0,1] neg_lo:[0,0,1] neg_hi:[0,0,1]
	v_pk_fma_f32 v[130:131], v[130:131], v[100:101], v[132:133] op_sel_hi:[1,0,1]
	v_dual_mov_b32 v100, v128 :: v_dual_mov_b32 v101, v131
	s_wait_dscnt 0x0
	s_delay_alu instid0(VALU_DEP_2) | instskip(NEXT) | instid1(VALU_DEP_1)
	v_pk_mul_f32 v[132:133], v[140:141], v[130:131] op_sel:[0,1]
	v_pk_fma_f32 v[144:145], v[140:141], v[128:129], v[132:133] op_sel:[0,0,1] op_sel_hi:[1,1,0] neg_lo:[0,0,1] neg_hi:[0,0,1]
	v_pk_fma_f32 v[132:133], v[140:141], v[128:129], v[132:133] op_sel:[0,0,1] op_sel_hi:[1,0,0]
	s_delay_alu instid0(VALU_DEP_1) | instskip(SKIP_1) | instid1(VALU_DEP_1)
	v_mov_b32_e32 v145, v133
	v_pk_mul_f32 v[132:133], v[142:143], v[130:131] op_sel:[0,1]
	v_pk_fma_f32 v[140:141], v[142:143], v[128:129], v[132:133] op_sel:[0,0,1] op_sel_hi:[1,1,0] neg_lo:[0,0,1] neg_hi:[0,0,1]
	v_pk_fma_f32 v[132:133], v[142:143], v[128:129], v[132:133] op_sel:[0,0,1] op_sel_hi:[1,0,0]
	s_delay_alu instid0(VALU_DEP_1) | instskip(SKIP_1) | instid1(VALU_DEP_2)
	v_mov_b32_e32 v141, v133
	v_pk_add_f32 v[96:97], v[96:97], v[144:145] neg_lo:[0,1] neg_hi:[0,1]
	v_pk_add_f32 v[98:99], v[98:99], v[140:141] neg_lo:[0,1] neg_hi:[0,1]
	ds_load_2addr_b64 v[140:143], v135 offset0:15 offset1:16
	s_wait_dscnt 0x0
	v_pk_mul_f32 v[132:133], v[140:141], v[130:131] op_sel:[0,1]
	s_delay_alu instid0(VALU_DEP_1) | instskip(SKIP_2) | instid1(VALU_DEP_2)
	v_pk_fma_f32 v[144:145], v[140:141], v[128:129], v[132:133] op_sel:[0,0,1] op_sel_hi:[1,1,0] neg_lo:[0,0,1] neg_hi:[0,0,1]
	v_pk_fma_f32 v[132:133], v[140:141], v[128:129], v[132:133] op_sel:[0,0,1] op_sel_hi:[1,0,0]
	v_dual_mul_f32 v140, v143, v131 :: v_dual_mov_b32 v132, v143
	v_dual_mov_b32 v145, v133 :: v_dual_mov_b32 v133, v142
	s_delay_alu instid0(VALU_DEP_2) | instskip(SKIP_1) | instid1(VALU_DEP_3)
	v_pk_fma_f32 v[140:141], v[142:143], v[100:101], v[140:141] op_sel_hi:[1,1,0] neg_lo:[0,0,1] neg_hi:[0,0,1]
	v_mul_f32_e32 v142, v143, v128
	v_pk_add_f32 v[94:95], v[94:95], v[144:145] neg_lo:[0,1] neg_hi:[0,1]
	s_delay_alu instid0(VALU_DEP_2) | instskip(NEXT) | instid1(VALU_DEP_1)
	v_pk_fma_f32 v[132:133], v[132:133], v[100:101], v[142:143] op_sel_hi:[1,1,0]
	v_mov_b32_e32 v141, v133
	s_delay_alu instid0(VALU_DEP_1) | instskip(SKIP_3) | instid1(VALU_DEP_1)
	v_pk_add_f32 v[92:93], v[92:93], v[140:141] neg_lo:[0,1] neg_hi:[0,1]
	ds_load_2addr_b64 v[140:143], v135 offset0:17 offset1:18
	s_wait_dscnt 0x0
	v_pk_mul_f32 v[132:133], v[140:141], v[130:131] op_sel:[0,1]
	v_pk_fma_f32 v[144:145], v[140:141], v[128:129], v[132:133] op_sel:[0,0,1] op_sel_hi:[1,1,0] neg_lo:[0,0,1] neg_hi:[0,0,1]
	v_pk_fma_f32 v[132:133], v[140:141], v[128:129], v[132:133] op_sel:[0,0,1] op_sel_hi:[1,0,0]
	s_delay_alu instid0(VALU_DEP_1) | instskip(SKIP_1) | instid1(VALU_DEP_1)
	v_mov_b32_e32 v145, v133
	v_pk_mul_f32 v[132:133], v[142:143], v[130:131] op_sel:[0,1]
	v_pk_fma_f32 v[140:141], v[142:143], v[128:129], v[132:133] op_sel:[0,0,1] op_sel_hi:[1,1,0] neg_lo:[0,0,1] neg_hi:[0,0,1]
	v_pk_fma_f32 v[132:133], v[142:143], v[128:129], v[132:133] op_sel:[0,0,1] op_sel_hi:[1,0,0]
	s_delay_alu instid0(VALU_DEP_1) | instskip(SKIP_1) | instid1(VALU_DEP_2)
	v_mov_b32_e32 v141, v133
	v_pk_add_f32 v[88:89], v[88:89], v[144:145] neg_lo:[0,1] neg_hi:[0,1]
	v_pk_add_f32 v[90:91], v[90:91], v[140:141] neg_lo:[0,1] neg_hi:[0,1]
	ds_load_2addr_b64 v[140:143], v135 offset0:19 offset1:20
	s_wait_dscnt 0x0
	v_pk_mul_f32 v[132:133], v[140:141], v[130:131] op_sel:[0,1]
	s_delay_alu instid0(VALU_DEP_1) | instskip(SKIP_1) | instid1(VALU_DEP_1)
	v_pk_fma_f32 v[144:145], v[140:141], v[128:129], v[132:133] op_sel:[0,0,1] op_sel_hi:[1,1,0] neg_lo:[0,0,1] neg_hi:[0,0,1]
	v_pk_fma_f32 v[132:133], v[140:141], v[128:129], v[132:133] op_sel:[0,0,1] op_sel_hi:[1,0,0]
	v_mov_b32_e32 v145, v133
	v_pk_mul_f32 v[132:133], v[142:143], v[130:131] op_sel:[0,1]
	s_delay_alu instid0(VALU_DEP_1) | instskip(SKIP_1) | instid1(VALU_DEP_1)
	v_pk_fma_f32 v[140:141], v[142:143], v[128:129], v[132:133] op_sel:[0,0,1] op_sel_hi:[1,1,0] neg_lo:[0,0,1] neg_hi:[0,0,1]
	v_pk_fma_f32 v[132:133], v[142:143], v[128:129], v[132:133] op_sel:[0,0,1] op_sel_hi:[1,0,0]
	v_mov_b32_e32 v141, v133
	v_pk_add_f32 v[86:87], v[86:87], v[144:145] neg_lo:[0,1] neg_hi:[0,1]
	s_delay_alu instid0(VALU_DEP_2) | instskip(SKIP_3) | instid1(VALU_DEP_1)
	v_pk_add_f32 v[84:85], v[84:85], v[140:141] neg_lo:[0,1] neg_hi:[0,1]
	ds_load_2addr_b64 v[140:143], v135 offset0:21 offset1:22
	s_wait_dscnt 0x0
	v_dual_mul_f32 v132, v141, v131 :: v_dual_mul_f32 v144, v141, v128
	v_pk_fma_f32 v[132:133], v[140:141], v[100:101], v[132:133] op_sel_hi:[1,1,0] neg_lo:[0,0,1] neg_hi:[0,0,1]
	s_delay_alu instid0(VALU_DEP_2) | instskip(NEXT) | instid1(VALU_DEP_1)
	v_pk_fma_f32 v[140:141], v[140:141], v[100:101], v[144:145] op_sel:[1,0,0] op_sel_hi:[0,1,0]
	v_mov_b32_e32 v133, v141
	s_delay_alu instid0(VALU_DEP_1) | instskip(SKIP_1) | instid1(VALU_DEP_1)
	v_pk_add_f32 v[80:81], v[80:81], v[132:133] neg_lo:[0,1] neg_hi:[0,1]
	v_pk_mul_f32 v[132:133], v[142:143], v[130:131] op_sel:[0,1]
	v_pk_fma_f32 v[140:141], v[142:143], v[128:129], v[132:133] op_sel:[0,0,1] op_sel_hi:[1,1,0] neg_lo:[0,0,1] neg_hi:[0,0,1]
	v_pk_fma_f32 v[132:133], v[142:143], v[128:129], v[132:133] op_sel:[0,0,1] op_sel_hi:[1,0,0]
	s_delay_alu instid0(VALU_DEP_1) | instskip(NEXT) | instid1(VALU_DEP_1)
	v_mov_b32_e32 v141, v133
	v_pk_add_f32 v[82:83], v[82:83], v[140:141] neg_lo:[0,1] neg_hi:[0,1]
	ds_load_2addr_b64 v[140:143], v135 offset0:23 offset1:24
	s_wait_dscnt 0x0
	v_pk_mul_f32 v[132:133], v[140:141], v[130:131] op_sel:[0,1]
	s_delay_alu instid0(VALU_DEP_1) | instskip(SKIP_1) | instid1(VALU_DEP_1)
	v_pk_fma_f32 v[144:145], v[140:141], v[128:129], v[132:133] op_sel:[0,0,1] op_sel_hi:[1,1,0] neg_lo:[0,0,1] neg_hi:[0,0,1]
	v_pk_fma_f32 v[132:133], v[140:141], v[128:129], v[132:133] op_sel:[0,0,1] op_sel_hi:[1,0,0]
	v_mov_b32_e32 v145, v133
	v_pk_mul_f32 v[132:133], v[142:143], v[130:131] op_sel:[0,1]
	s_delay_alu instid0(VALU_DEP_2) | instskip(NEXT) | instid1(VALU_DEP_2)
	v_pk_add_f32 v[78:79], v[78:79], v[144:145] neg_lo:[0,1] neg_hi:[0,1]
	v_pk_fma_f32 v[140:141], v[142:143], v[128:129], v[132:133] op_sel:[0,0,1] op_sel_hi:[1,1,0] neg_lo:[0,0,1] neg_hi:[0,0,1]
	v_pk_fma_f32 v[132:133], v[142:143], v[128:129], v[132:133] op_sel:[0,0,1] op_sel_hi:[1,0,0]
	s_delay_alu instid0(VALU_DEP_1) | instskip(NEXT) | instid1(VALU_DEP_1)
	v_mov_b32_e32 v141, v133
	v_pk_add_f32 v[76:77], v[76:77], v[140:141] neg_lo:[0,1] neg_hi:[0,1]
	ds_load_2addr_b64 v[140:143], v135 offset0:25 offset1:26
	s_wait_dscnt 0x0
	v_pk_mul_f32 v[132:133], v[140:141], v[130:131] op_sel:[0,1]
	s_delay_alu instid0(VALU_DEP_1) | instskip(SKIP_2) | instid1(VALU_DEP_2)
	v_pk_fma_f32 v[144:145], v[140:141], v[128:129], v[132:133] op_sel:[0,0,1] op_sel_hi:[1,1,0] neg_lo:[0,0,1] neg_hi:[0,0,1]
	v_pk_fma_f32 v[132:133], v[140:141], v[128:129], v[132:133] op_sel:[0,0,1] op_sel_hi:[1,0,0]
	v_dual_mul_f32 v140, v143, v131 :: v_dual_mov_b32 v132, v143
	v_dual_mov_b32 v145, v133 :: v_dual_mov_b32 v133, v142
	s_delay_alu instid0(VALU_DEP_2) | instskip(SKIP_1) | instid1(VALU_DEP_3)
	v_pk_fma_f32 v[140:141], v[142:143], v[100:101], v[140:141] op_sel_hi:[1,1,0] neg_lo:[0,0,1] neg_hi:[0,0,1]
	v_mul_f32_e32 v142, v143, v128
	v_pk_add_f32 v[72:73], v[72:73], v[144:145] neg_lo:[0,1] neg_hi:[0,1]
	s_delay_alu instid0(VALU_DEP_2) | instskip(NEXT) | instid1(VALU_DEP_1)
	v_pk_fma_f32 v[132:133], v[132:133], v[100:101], v[142:143] op_sel_hi:[1,1,0]
	v_mov_b32_e32 v141, v133
	s_delay_alu instid0(VALU_DEP_1) | instskip(SKIP_3) | instid1(VALU_DEP_1)
	v_pk_add_f32 v[74:75], v[74:75], v[140:141] neg_lo:[0,1] neg_hi:[0,1]
	ds_load_2addr_b64 v[140:143], v135 offset0:27 offset1:28
	s_wait_dscnt 0x0
	v_pk_mul_f32 v[132:133], v[140:141], v[130:131] op_sel:[0,1]
	v_pk_fma_f32 v[144:145], v[140:141], v[128:129], v[132:133] op_sel:[0,0,1] op_sel_hi:[1,1,0] neg_lo:[0,0,1] neg_hi:[0,0,1]
	v_pk_fma_f32 v[132:133], v[140:141], v[128:129], v[132:133] op_sel:[0,0,1] op_sel_hi:[1,0,0]
	s_delay_alu instid0(VALU_DEP_1) | instskip(SKIP_1) | instid1(VALU_DEP_1)
	v_mov_b32_e32 v145, v133
	v_pk_mul_f32 v[132:133], v[142:143], v[130:131] op_sel:[0,1]
	v_pk_fma_f32 v[140:141], v[142:143], v[128:129], v[132:133] op_sel:[0,0,1] op_sel_hi:[1,1,0] neg_lo:[0,0,1] neg_hi:[0,0,1]
	v_pk_fma_f32 v[132:133], v[142:143], v[128:129], v[132:133] op_sel:[0,0,1] op_sel_hi:[1,0,0]
	s_delay_alu instid0(VALU_DEP_1) | instskip(SKIP_1) | instid1(VALU_DEP_2)
	v_mov_b32_e32 v141, v133
	v_pk_add_f32 v[70:71], v[70:71], v[144:145] neg_lo:[0,1] neg_hi:[0,1]
	v_pk_add_f32 v[68:69], v[68:69], v[140:141] neg_lo:[0,1] neg_hi:[0,1]
	ds_load_2addr_b64 v[140:143], v135 offset0:29 offset1:30
	s_wait_dscnt 0x0
	v_pk_mul_f32 v[132:133], v[140:141], v[130:131] op_sel:[0,1]
	s_delay_alu instid0(VALU_DEP_1) | instskip(SKIP_1) | instid1(VALU_DEP_1)
	v_pk_fma_f32 v[144:145], v[140:141], v[128:129], v[132:133] op_sel:[0,0,1] op_sel_hi:[1,1,0] neg_lo:[0,0,1] neg_hi:[0,0,1]
	v_pk_fma_f32 v[132:133], v[140:141], v[128:129], v[132:133] op_sel:[0,0,1] op_sel_hi:[1,0,0]
	v_mov_b32_e32 v145, v133
	v_pk_mul_f32 v[132:133], v[142:143], v[130:131] op_sel:[0,1]
	s_delay_alu instid0(VALU_DEP_1) | instskip(SKIP_1) | instid1(VALU_DEP_1)
	v_pk_fma_f32 v[140:141], v[142:143], v[128:129], v[132:133] op_sel:[0,0,1] op_sel_hi:[1,1,0] neg_lo:[0,0,1] neg_hi:[0,0,1]
	v_pk_fma_f32 v[132:133], v[142:143], v[128:129], v[132:133] op_sel:[0,0,1] op_sel_hi:[1,0,0]
	v_mov_b32_e32 v141, v133
	v_pk_add_f32 v[64:65], v[64:65], v[144:145] neg_lo:[0,1] neg_hi:[0,1]
	s_delay_alu instid0(VALU_DEP_2) | instskip(SKIP_3) | instid1(VALU_DEP_1)
	v_pk_add_f32 v[66:67], v[66:67], v[140:141] neg_lo:[0,1] neg_hi:[0,1]
	ds_load_2addr_b64 v[140:143], v135 offset0:31 offset1:32
	s_wait_dscnt 0x0
	v_dual_mul_f32 v132, v141, v131 :: v_dual_mul_f32 v144, v141, v128
	v_pk_fma_f32 v[132:133], v[140:141], v[100:101], v[132:133] op_sel_hi:[1,1,0] neg_lo:[0,0,1] neg_hi:[0,0,1]
	s_delay_alu instid0(VALU_DEP_2) | instskip(NEXT) | instid1(VALU_DEP_1)
	v_pk_fma_f32 v[140:141], v[140:141], v[100:101], v[144:145] op_sel:[1,0,0] op_sel_hi:[0,1,0]
	v_mov_b32_e32 v133, v141
	s_delay_alu instid0(VALU_DEP_1) | instskip(SKIP_1) | instid1(VALU_DEP_1)
	v_pk_add_f32 v[62:63], v[62:63], v[132:133] neg_lo:[0,1] neg_hi:[0,1]
	v_pk_mul_f32 v[132:133], v[142:143], v[130:131] op_sel:[0,1]
	v_pk_fma_f32 v[140:141], v[142:143], v[128:129], v[132:133] op_sel:[0,0,1] op_sel_hi:[1,1,0] neg_lo:[0,0,1] neg_hi:[0,0,1]
	v_pk_fma_f32 v[132:133], v[142:143], v[128:129], v[132:133] op_sel:[0,0,1] op_sel_hi:[1,0,0]
	s_delay_alu instid0(VALU_DEP_1) | instskip(NEXT) | instid1(VALU_DEP_1)
	v_mov_b32_e32 v141, v133
	v_pk_add_f32 v[60:61], v[60:61], v[140:141] neg_lo:[0,1] neg_hi:[0,1]
	ds_load_2addr_b64 v[140:143], v135 offset0:33 offset1:34
	s_wait_dscnt 0x0
	v_pk_mul_f32 v[132:133], v[140:141], v[130:131] op_sel:[0,1]
	s_delay_alu instid0(VALU_DEP_1) | instskip(SKIP_1) | instid1(VALU_DEP_1)
	v_pk_fma_f32 v[144:145], v[140:141], v[128:129], v[132:133] op_sel:[0,0,1] op_sel_hi:[1,1,0] neg_lo:[0,0,1] neg_hi:[0,0,1]
	v_pk_fma_f32 v[132:133], v[140:141], v[128:129], v[132:133] op_sel:[0,0,1] op_sel_hi:[1,0,0]
	v_mov_b32_e32 v145, v133
	v_pk_mul_f32 v[132:133], v[142:143], v[130:131] op_sel:[0,1]
	s_delay_alu instid0(VALU_DEP_2) | instskip(NEXT) | instid1(VALU_DEP_2)
	v_pk_add_f32 v[56:57], v[56:57], v[144:145] neg_lo:[0,1] neg_hi:[0,1]
	v_pk_fma_f32 v[140:141], v[142:143], v[128:129], v[132:133] op_sel:[0,0,1] op_sel_hi:[1,1,0] neg_lo:[0,0,1] neg_hi:[0,0,1]
	v_pk_fma_f32 v[132:133], v[142:143], v[128:129], v[132:133] op_sel:[0,0,1] op_sel_hi:[1,0,0]
	s_delay_alu instid0(VALU_DEP_1) | instskip(NEXT) | instid1(VALU_DEP_1)
	v_mov_b32_e32 v141, v133
	v_pk_add_f32 v[58:59], v[58:59], v[140:141] neg_lo:[0,1] neg_hi:[0,1]
	ds_load_2addr_b64 v[140:143], v135 offset0:35 offset1:36
	s_wait_dscnt 0x0
	v_pk_mul_f32 v[132:133], v[140:141], v[130:131] op_sel:[0,1]
	s_delay_alu instid0(VALU_DEP_1) | instskip(SKIP_2) | instid1(VALU_DEP_2)
	v_pk_fma_f32 v[144:145], v[140:141], v[128:129], v[132:133] op_sel:[0,0,1] op_sel_hi:[1,1,0] neg_lo:[0,0,1] neg_hi:[0,0,1]
	v_pk_fma_f32 v[132:133], v[140:141], v[128:129], v[132:133] op_sel:[0,0,1] op_sel_hi:[1,0,0]
	v_dual_mul_f32 v140, v143, v131 :: v_dual_mov_b32 v132, v143
	v_dual_mov_b32 v145, v133 :: v_dual_mov_b32 v133, v142
	s_delay_alu instid0(VALU_DEP_2) | instskip(SKIP_1) | instid1(VALU_DEP_3)
	v_pk_fma_f32 v[140:141], v[142:143], v[100:101], v[140:141] op_sel_hi:[1,1,0] neg_lo:[0,0,1] neg_hi:[0,0,1]
	v_mul_f32_e32 v142, v143, v128
	v_pk_add_f32 v[54:55], v[54:55], v[144:145] neg_lo:[0,1] neg_hi:[0,1]
	s_delay_alu instid0(VALU_DEP_2) | instskip(NEXT) | instid1(VALU_DEP_1)
	v_pk_fma_f32 v[132:133], v[132:133], v[100:101], v[142:143] op_sel_hi:[1,1,0]
	v_mov_b32_e32 v141, v133
	s_delay_alu instid0(VALU_DEP_1) | instskip(SKIP_3) | instid1(VALU_DEP_1)
	v_pk_add_f32 v[52:53], v[52:53], v[140:141] neg_lo:[0,1] neg_hi:[0,1]
	ds_load_2addr_b64 v[140:143], v135 offset0:37 offset1:38
	s_wait_dscnt 0x0
	v_pk_mul_f32 v[132:133], v[140:141], v[130:131] op_sel:[0,1]
	v_pk_fma_f32 v[144:145], v[140:141], v[128:129], v[132:133] op_sel:[0,0,1] op_sel_hi:[1,1,0] neg_lo:[0,0,1] neg_hi:[0,0,1]
	v_pk_fma_f32 v[132:133], v[140:141], v[128:129], v[132:133] op_sel:[0,0,1] op_sel_hi:[1,0,0]
	s_delay_alu instid0(VALU_DEP_1) | instskip(SKIP_1) | instid1(VALU_DEP_1)
	v_mov_b32_e32 v145, v133
	v_pk_mul_f32 v[132:133], v[142:143], v[130:131] op_sel:[0,1]
	v_pk_fma_f32 v[140:141], v[142:143], v[128:129], v[132:133] op_sel:[0,0,1] op_sel_hi:[1,1,0] neg_lo:[0,0,1] neg_hi:[0,0,1]
	v_pk_fma_f32 v[132:133], v[142:143], v[128:129], v[132:133] op_sel:[0,0,1] op_sel_hi:[1,0,0]
	s_delay_alu instid0(VALU_DEP_1) | instskip(SKIP_1) | instid1(VALU_DEP_2)
	v_mov_b32_e32 v141, v133
	v_pk_add_f32 v[48:49], v[48:49], v[144:145] neg_lo:[0,1] neg_hi:[0,1]
	v_pk_add_f32 v[50:51], v[50:51], v[140:141] neg_lo:[0,1] neg_hi:[0,1]
	ds_load_2addr_b64 v[140:143], v135 offset0:39 offset1:40
	s_wait_dscnt 0x0
	v_pk_mul_f32 v[132:133], v[140:141], v[130:131] op_sel:[0,1]
	s_delay_alu instid0(VALU_DEP_1) | instskip(SKIP_1) | instid1(VALU_DEP_1)
	v_pk_fma_f32 v[144:145], v[140:141], v[128:129], v[132:133] op_sel:[0,0,1] op_sel_hi:[1,1,0] neg_lo:[0,0,1] neg_hi:[0,0,1]
	v_pk_fma_f32 v[132:133], v[140:141], v[128:129], v[132:133] op_sel:[0,0,1] op_sel_hi:[1,0,0]
	v_mov_b32_e32 v145, v133
	v_pk_mul_f32 v[132:133], v[142:143], v[130:131] op_sel:[0,1]
	s_delay_alu instid0(VALU_DEP_1) | instskip(SKIP_1) | instid1(VALU_DEP_1)
	v_pk_fma_f32 v[140:141], v[142:143], v[128:129], v[132:133] op_sel:[0,0,1] op_sel_hi:[1,1,0] neg_lo:[0,0,1] neg_hi:[0,0,1]
	v_pk_fma_f32 v[132:133], v[142:143], v[128:129], v[132:133] op_sel:[0,0,1] op_sel_hi:[1,0,0]
	v_mov_b32_e32 v141, v133
	v_pk_add_f32 v[46:47], v[46:47], v[144:145] neg_lo:[0,1] neg_hi:[0,1]
	s_delay_alu instid0(VALU_DEP_2) | instskip(SKIP_3) | instid1(VALU_DEP_1)
	v_pk_add_f32 v[42:43], v[42:43], v[140:141] neg_lo:[0,1] neg_hi:[0,1]
	ds_load_2addr_b64 v[140:143], v135 offset0:41 offset1:42
	s_wait_dscnt 0x0
	v_dual_mul_f32 v132, v141, v131 :: v_dual_mul_f32 v144, v141, v128
	v_pk_fma_f32 v[132:133], v[140:141], v[100:101], v[132:133] op_sel_hi:[1,1,0] neg_lo:[0,0,1] neg_hi:[0,0,1]
	s_delay_alu instid0(VALU_DEP_2) | instskip(NEXT) | instid1(VALU_DEP_1)
	v_pk_fma_f32 v[140:141], v[140:141], v[100:101], v[144:145] op_sel:[1,0,0] op_sel_hi:[0,1,0]
	v_mov_b32_e32 v133, v141
	s_delay_alu instid0(VALU_DEP_1) | instskip(SKIP_1) | instid1(VALU_DEP_1)
	v_pk_add_f32 v[38:39], v[38:39], v[132:133] neg_lo:[0,1] neg_hi:[0,1]
	v_pk_mul_f32 v[132:133], v[142:143], v[130:131] op_sel:[0,1]
	v_pk_fma_f32 v[140:141], v[142:143], v[128:129], v[132:133] op_sel:[0,0,1] op_sel_hi:[1,1,0] neg_lo:[0,0,1] neg_hi:[0,0,1]
	v_pk_fma_f32 v[132:133], v[142:143], v[128:129], v[132:133] op_sel:[0,0,1] op_sel_hi:[1,0,0]
	s_delay_alu instid0(VALU_DEP_1) | instskip(NEXT) | instid1(VALU_DEP_1)
	v_mov_b32_e32 v141, v133
	v_pk_add_f32 v[40:41], v[40:41], v[140:141] neg_lo:[0,1] neg_hi:[0,1]
	ds_load_2addr_b64 v[140:143], v135 offset0:43 offset1:44
	s_wait_dscnt 0x0
	v_pk_mul_f32 v[132:133], v[140:141], v[130:131] op_sel:[0,1]
	s_delay_alu instid0(VALU_DEP_1) | instskip(SKIP_1) | instid1(VALU_DEP_1)
	v_pk_fma_f32 v[144:145], v[140:141], v[128:129], v[132:133] op_sel:[0,0,1] op_sel_hi:[1,1,0] neg_lo:[0,0,1] neg_hi:[0,0,1]
	v_pk_fma_f32 v[132:133], v[140:141], v[128:129], v[132:133] op_sel:[0,0,1] op_sel_hi:[1,0,0]
	v_mov_b32_e32 v145, v133
	v_pk_mul_f32 v[132:133], v[142:143], v[130:131] op_sel:[0,1]
	s_delay_alu instid0(VALU_DEP_2) | instskip(NEXT) | instid1(VALU_DEP_2)
	v_pk_add_f32 v[36:37], v[36:37], v[144:145] neg_lo:[0,1] neg_hi:[0,1]
	v_pk_fma_f32 v[140:141], v[142:143], v[128:129], v[132:133] op_sel:[0,0,1] op_sel_hi:[1,1,0] neg_lo:[0,0,1] neg_hi:[0,0,1]
	v_pk_fma_f32 v[132:133], v[142:143], v[128:129], v[132:133] op_sel:[0,0,1] op_sel_hi:[1,0,0]
	s_delay_alu instid0(VALU_DEP_1) | instskip(NEXT) | instid1(VALU_DEP_1)
	v_mov_b32_e32 v141, v133
	v_pk_add_f32 v[34:35], v[34:35], v[140:141] neg_lo:[0,1] neg_hi:[0,1]
	ds_load_2addr_b64 v[140:143], v135 offset0:45 offset1:46
	s_wait_dscnt 0x0
	v_pk_mul_f32 v[132:133], v[140:141], v[130:131] op_sel:[0,1]
	s_delay_alu instid0(VALU_DEP_1) | instskip(SKIP_2) | instid1(VALU_DEP_2)
	v_pk_fma_f32 v[144:145], v[140:141], v[128:129], v[132:133] op_sel:[0,0,1] op_sel_hi:[1,1,0] neg_lo:[0,0,1] neg_hi:[0,0,1]
	v_pk_fma_f32 v[132:133], v[140:141], v[128:129], v[132:133] op_sel:[0,0,1] op_sel_hi:[1,0,0]
	v_dual_mul_f32 v140, v143, v131 :: v_dual_mov_b32 v132, v143
	v_dual_mov_b32 v145, v133 :: v_dual_mov_b32 v133, v142
	s_delay_alu instid0(VALU_DEP_2) | instskip(SKIP_1) | instid1(VALU_DEP_3)
	v_pk_fma_f32 v[140:141], v[142:143], v[100:101], v[140:141] op_sel_hi:[1,1,0] neg_lo:[0,0,1] neg_hi:[0,0,1]
	v_mul_f32_e32 v142, v143, v128
	v_pk_add_f32 v[30:31], v[30:31], v[144:145] neg_lo:[0,1] neg_hi:[0,1]
	s_delay_alu instid0(VALU_DEP_2) | instskip(NEXT) | instid1(VALU_DEP_1)
	v_pk_fma_f32 v[132:133], v[132:133], v[100:101], v[142:143] op_sel_hi:[1,1,0]
	v_mov_b32_e32 v141, v133
	s_delay_alu instid0(VALU_DEP_1) | instskip(SKIP_3) | instid1(VALU_DEP_1)
	v_pk_add_f32 v[32:33], v[32:33], v[140:141] neg_lo:[0,1] neg_hi:[0,1]
	ds_load_2addr_b64 v[140:143], v135 offset0:47 offset1:48
	s_wait_dscnt 0x0
	v_pk_mul_f32 v[132:133], v[140:141], v[130:131] op_sel:[0,1]
	v_pk_fma_f32 v[144:145], v[140:141], v[128:129], v[132:133] op_sel:[0,0,1] op_sel_hi:[1,1,0] neg_lo:[0,0,1] neg_hi:[0,0,1]
	v_pk_fma_f32 v[132:133], v[140:141], v[128:129], v[132:133] op_sel:[0,0,1] op_sel_hi:[1,0,0]
	s_delay_alu instid0(VALU_DEP_1) | instskip(SKIP_1) | instid1(VALU_DEP_1)
	v_mov_b32_e32 v145, v133
	v_pk_mul_f32 v[132:133], v[142:143], v[130:131] op_sel:[0,1]
	v_pk_fma_f32 v[140:141], v[142:143], v[128:129], v[132:133] op_sel:[0,0,1] op_sel_hi:[1,1,0] neg_lo:[0,0,1] neg_hi:[0,0,1]
	v_pk_fma_f32 v[132:133], v[142:143], v[128:129], v[132:133] op_sel:[0,0,1] op_sel_hi:[1,0,0]
	s_delay_alu instid0(VALU_DEP_1) | instskip(SKIP_1) | instid1(VALU_DEP_2)
	v_mov_b32_e32 v141, v133
	v_pk_add_f32 v[28:29], v[28:29], v[144:145] neg_lo:[0,1] neg_hi:[0,1]
	v_pk_add_f32 v[26:27], v[26:27], v[140:141] neg_lo:[0,1] neg_hi:[0,1]
	ds_load_2addr_b64 v[140:143], v135 offset0:49 offset1:50
	s_wait_dscnt 0x0
	v_pk_mul_f32 v[132:133], v[140:141], v[130:131] op_sel:[0,1]
	s_delay_alu instid0(VALU_DEP_1) | instskip(SKIP_1) | instid1(VALU_DEP_1)
	v_pk_fma_f32 v[144:145], v[140:141], v[128:129], v[132:133] op_sel:[0,0,1] op_sel_hi:[1,1,0] neg_lo:[0,0,1] neg_hi:[0,0,1]
	v_pk_fma_f32 v[132:133], v[140:141], v[128:129], v[132:133] op_sel:[0,0,1] op_sel_hi:[1,0,0]
	v_mov_b32_e32 v145, v133
	v_pk_mul_f32 v[132:133], v[142:143], v[130:131] op_sel:[0,1]
	s_delay_alu instid0(VALU_DEP_1) | instskip(SKIP_1) | instid1(VALU_DEP_1)
	v_pk_fma_f32 v[140:141], v[142:143], v[128:129], v[132:133] op_sel:[0,0,1] op_sel_hi:[1,1,0] neg_lo:[0,0,1] neg_hi:[0,0,1]
	v_pk_fma_f32 v[132:133], v[142:143], v[128:129], v[132:133] op_sel:[0,0,1] op_sel_hi:[1,0,0]
	v_mov_b32_e32 v141, v133
	v_pk_add_f32 v[22:23], v[22:23], v[144:145] neg_lo:[0,1] neg_hi:[0,1]
	s_delay_alu instid0(VALU_DEP_2) | instskip(SKIP_3) | instid1(VALU_DEP_1)
	v_pk_add_f32 v[24:25], v[24:25], v[140:141] neg_lo:[0,1] neg_hi:[0,1]
	ds_load_2addr_b64 v[140:143], v135 offset0:51 offset1:52
	s_wait_dscnt 0x0
	v_dual_mul_f32 v132, v141, v131 :: v_dual_mul_f32 v144, v141, v128
	v_pk_fma_f32 v[132:133], v[140:141], v[100:101], v[132:133] op_sel_hi:[1,1,0] neg_lo:[0,0,1] neg_hi:[0,0,1]
	s_delay_alu instid0(VALU_DEP_2) | instskip(NEXT) | instid1(VALU_DEP_1)
	v_pk_fma_f32 v[140:141], v[140:141], v[100:101], v[144:145] op_sel:[1,0,0] op_sel_hi:[0,1,0]
	v_mov_b32_e32 v133, v141
	s_delay_alu instid0(VALU_DEP_1) | instskip(SKIP_1) | instid1(VALU_DEP_1)
	v_pk_add_f32 v[44:45], v[44:45], v[132:133] neg_lo:[0,1] neg_hi:[0,1]
	v_pk_mul_f32 v[132:133], v[142:143], v[130:131] op_sel:[0,1]
	v_pk_fma_f32 v[140:141], v[142:143], v[128:129], v[132:133] op_sel:[0,0,1] op_sel_hi:[1,1,0] neg_lo:[0,0,1] neg_hi:[0,0,1]
	v_pk_fma_f32 v[132:133], v[142:143], v[128:129], v[132:133] op_sel:[0,0,1] op_sel_hi:[1,0,0]
	s_delay_alu instid0(VALU_DEP_1) | instskip(NEXT) | instid1(VALU_DEP_1)
	v_mov_b32_e32 v141, v133
	v_pk_add_f32 v[16:17], v[16:17], v[140:141] neg_lo:[0,1] neg_hi:[0,1]
	ds_load_2addr_b64 v[140:143], v135 offset0:53 offset1:54
	s_wait_dscnt 0x0
	v_pk_mul_f32 v[132:133], v[140:141], v[130:131] op_sel:[0,1]
	s_delay_alu instid0(VALU_DEP_1) | instskip(SKIP_1) | instid1(VALU_DEP_1)
	v_pk_fma_f32 v[144:145], v[140:141], v[128:129], v[132:133] op_sel:[0,0,1] op_sel_hi:[1,1,0] neg_lo:[0,0,1] neg_hi:[0,0,1]
	v_pk_fma_f32 v[132:133], v[140:141], v[128:129], v[132:133] op_sel:[0,0,1] op_sel_hi:[1,0,0]
	v_mov_b32_e32 v145, v133
	v_pk_mul_f32 v[132:133], v[142:143], v[130:131] op_sel:[0,1]
	s_delay_alu instid0(VALU_DEP_2) | instskip(NEXT) | instid1(VALU_DEP_2)
	v_pk_add_f32 v[12:13], v[12:13], v[144:145] neg_lo:[0,1] neg_hi:[0,1]
	v_pk_fma_f32 v[140:141], v[142:143], v[128:129], v[132:133] op_sel:[0,0,1] op_sel_hi:[1,1,0] neg_lo:[0,0,1] neg_hi:[0,0,1]
	v_pk_fma_f32 v[132:133], v[142:143], v[128:129], v[132:133] op_sel:[0,0,1] op_sel_hi:[1,0,0]
	s_delay_alu instid0(VALU_DEP_1) | instskip(NEXT) | instid1(VALU_DEP_1)
	v_mov_b32_e32 v141, v133
	v_pk_add_f32 v[14:15], v[14:15], v[140:141] neg_lo:[0,1] neg_hi:[0,1]
	ds_load_2addr_b64 v[140:143], v135 offset0:55 offset1:56
	s_wait_dscnt 0x0
	v_pk_mul_f32 v[132:133], v[140:141], v[130:131] op_sel:[0,1]
	s_delay_alu instid0(VALU_DEP_1) | instskip(SKIP_2) | instid1(VALU_DEP_2)
	v_pk_fma_f32 v[144:145], v[140:141], v[128:129], v[132:133] op_sel:[0,0,1] op_sel_hi:[1,1,0] neg_lo:[0,0,1] neg_hi:[0,0,1]
	v_pk_fma_f32 v[132:133], v[140:141], v[128:129], v[132:133] op_sel:[0,0,1] op_sel_hi:[1,0,0]
	v_dual_mul_f32 v140, v143, v131 :: v_dual_mov_b32 v132, v143
	v_dual_mov_b32 v145, v133 :: v_dual_mov_b32 v133, v142
	s_delay_alu instid0(VALU_DEP_2) | instskip(SKIP_1) | instid1(VALU_DEP_3)
	v_pk_fma_f32 v[140:141], v[142:143], v[100:101], v[140:141] op_sel_hi:[1,1,0] neg_lo:[0,0,1] neg_hi:[0,0,1]
	v_mul_f32_e32 v142, v143, v128
	v_pk_add_f32 v[10:11], v[10:11], v[144:145] neg_lo:[0,1] neg_hi:[0,1]
	s_delay_alu instid0(VALU_DEP_2) | instskip(NEXT) | instid1(VALU_DEP_1)
	v_pk_fma_f32 v[132:133], v[132:133], v[100:101], v[142:143] op_sel_hi:[1,1,0]
	v_mov_b32_e32 v141, v133
	s_delay_alu instid0(VALU_DEP_1) | instskip(SKIP_3) | instid1(VALU_DEP_1)
	v_pk_add_f32 v[6:7], v[6:7], v[140:141] neg_lo:[0,1] neg_hi:[0,1]
	ds_load_2addr_b64 v[140:143], v135 offset0:57 offset1:58
	s_wait_dscnt 0x0
	v_pk_mul_f32 v[132:133], v[140:141], v[130:131] op_sel:[0,1]
	v_pk_fma_f32 v[144:145], v[140:141], v[128:129], v[132:133] op_sel:[0,0,1] op_sel_hi:[1,1,0] neg_lo:[0,0,1] neg_hi:[0,0,1]
	v_pk_fma_f32 v[132:133], v[140:141], v[128:129], v[132:133] op_sel:[0,0,1] op_sel_hi:[1,0,0]
	s_delay_alu instid0(VALU_DEP_1) | instskip(SKIP_1) | instid1(VALU_DEP_1)
	v_mov_b32_e32 v145, v133
	v_pk_mul_f32 v[132:133], v[142:143], v[130:131] op_sel:[0,1]
	v_pk_fma_f32 v[140:141], v[142:143], v[128:129], v[132:133] op_sel:[0,0,1] op_sel_hi:[1,1,0] neg_lo:[0,0,1] neg_hi:[0,0,1]
	v_pk_fma_f32 v[132:133], v[142:143], v[128:129], v[132:133] op_sel:[0,0,1] op_sel_hi:[1,0,0]
	s_delay_alu instid0(VALU_DEP_1) | instskip(SKIP_1) | instid1(VALU_DEP_2)
	v_mov_b32_e32 v141, v133
	v_pk_add_f32 v[20:21], v[20:21], v[144:145] neg_lo:[0,1] neg_hi:[0,1]
	v_pk_add_f32 v[18:19], v[18:19], v[140:141] neg_lo:[0,1] neg_hi:[0,1]
	ds_load_2addr_b64 v[140:143], v135 offset0:59 offset1:60
	s_wait_dscnt 0x0
	v_pk_mul_f32 v[132:133], v[140:141], v[130:131] op_sel:[0,1]
	v_mul_f32_e32 v130, v143, v131
	s_delay_alu instid0(VALU_DEP_2) | instskip(SKIP_2) | instid1(VALU_DEP_4)
	v_pk_fma_f32 v[144:145], v[140:141], v[128:129], v[132:133] op_sel:[0,0,1] op_sel_hi:[1,1,0] neg_lo:[0,0,1] neg_hi:[0,0,1]
	v_pk_fma_f32 v[132:133], v[140:141], v[128:129], v[132:133] op_sel:[0,0,1] op_sel_hi:[1,0,0]
	v_dual_mov_b32 v132, v143 :: v_dual_mul_f32 v128, v143, v128
	v_pk_fma_f32 v[130:131], v[142:143], v[100:101], v[130:131] op_sel_hi:[1,1,0] neg_lo:[0,0,1] neg_hi:[0,0,1]
	s_delay_alu instid0(VALU_DEP_3) | instskip(NEXT) | instid1(VALU_DEP_1)
	v_dual_mov_b32 v145, v133 :: v_dual_mov_b32 v133, v142
	v_pk_add_f32 v[8:9], v[8:9], v[144:145] neg_lo:[0,1] neg_hi:[0,1]
	s_delay_alu instid0(VALU_DEP_2) | instskip(NEXT) | instid1(VALU_DEP_1)
	v_pk_fma_f32 v[128:129], v[132:133], v[100:101], v[128:129] op_sel_hi:[1,1,0]
	v_mov_b32_e32 v131, v129
	s_delay_alu instid0(VALU_DEP_1)
	v_pk_add_f32 v[126:127], v[126:127], v[130:131] neg_lo:[0,1] neg_hi:[0,1]
.LBB120_272:
	s_or_b32 exec_lo, exec_lo, s0
	v_lshl_add_u32 v128, v138, 3, v135
	s_barrier_signal -1
	s_barrier_wait -1
	ds_store_b64 v128, v[96:97]
	s_wait_dscnt 0x0
	s_barrier_signal -1
	s_barrier_wait -1
	ds_load_b64 v[130:131], v135 offset:104
	v_mov_b32_e32 v128, 13
	s_cmp_lt_i32 s18, 15
	s_cbranch_scc1 .LBB120_275
; %bb.273:
	v_add3_u32 v129, v136, 0, 0x70
	v_mov_b32_e32 v128, 13
	s_mov_b32 s0, 14
.LBB120_274:                            ; =>This Inner Loop Header: Depth=1
	ds_load_b64 v[132:133], v129
	s_wait_dscnt 0x1
	v_cmp_gt_f32_e32 vcc_lo, 0, v130
	v_cndmask_b32_e64 v140, v130, -v130, vcc_lo
	v_cmp_gt_f32_e32 vcc_lo, 0, v131
	v_cndmask_b32_e64 v142, v131, -v131, vcc_lo
	s_wait_dscnt 0x0
	v_cmp_gt_f32_e32 vcc_lo, 0, v132
	v_cndmask_b32_e64 v141, v132, -v132, vcc_lo
	v_cmp_gt_f32_e32 vcc_lo, 0, v133
	v_cndmask_b32_e64 v143, v133, -v133, vcc_lo
	s_delay_alu instid0(VALU_DEP_1) | instskip(NEXT) | instid1(VALU_DEP_1)
	v_pk_add_f32 v[140:141], v[140:141], v[142:143]
	v_cmp_lt_f32_e32 vcc_lo, v140, v141
	v_dual_cndmask_b32 v130, v130, v132 :: v_dual_add_nc_u32 v129, 8, v129
	v_cndmask_b32_e32 v131, v131, v133, vcc_lo
	v_cndmask_b32_e64 v128, v128, s0, vcc_lo
	s_add_co_i32 s0, s0, 1
	s_delay_alu instid0(SALU_CYCLE_1)
	s_cmp_lg_u32 s18, s0
	s_cbranch_scc1 .LBB120_274
.LBB120_275:
	s_wait_dscnt 0x0
	v_cmp_eq_f32_e32 vcc_lo, 0, v130
	v_cmp_eq_f32_e64 s0, 0, v131
	s_and_b32 s0, vcc_lo, s0
	s_delay_alu instid0(SALU_CYCLE_1) | instskip(NEXT) | instid1(SALU_CYCLE_1)
	s_and_saveexec_b32 s1, s0
	s_xor_b32 s0, exec_lo, s1
; %bb.276:
	v_cmp_ne_u32_e32 vcc_lo, 0, v134
	v_cndmask_b32_e32 v134, 14, v134, vcc_lo
; %bb.277:
	s_and_not1_saveexec_b32 s0, s0
	s_cbranch_execz .LBB120_283
; %bb.278:
	v_cmp_ngt_f32_e64 s1, |v130|, |v131|
	s_and_saveexec_b32 s12, s1
	s_delay_alu instid0(SALU_CYCLE_1)
	s_xor_b32 s1, exec_lo, s12
	s_cbranch_execz .LBB120_280
; %bb.279:
	v_div_scale_f32 v129, null, v131, v131, v130
	v_div_scale_f32 v139, vcc_lo, v130, v131, v130
	s_delay_alu instid0(VALU_DEP_2) | instskip(SKIP_1) | instid1(TRANS32_DEP_1)
	v_rcp_f32_e32 v132, v129
	v_nop
	v_fma_f32 v133, -v129, v132, 1.0
	s_delay_alu instid0(VALU_DEP_1) | instskip(NEXT) | instid1(VALU_DEP_1)
	v_fmac_f32_e32 v132, v133, v132
	v_mul_f32_e32 v133, v139, v132
	s_delay_alu instid0(VALU_DEP_1) | instskip(NEXT) | instid1(VALU_DEP_1)
	v_fma_f32 v140, -v129, v133, v139
	v_fmac_f32_e32 v133, v140, v132
	s_delay_alu instid0(VALU_DEP_1) | instskip(NEXT) | instid1(VALU_DEP_1)
	v_fma_f32 v129, -v129, v133, v139
	v_div_fmas_f32 v129, v129, v132, v133
	s_delay_alu instid0(VALU_DEP_1) | instskip(NEXT) | instid1(VALU_DEP_1)
	v_div_fixup_f32 v129, v129, v131, v130
	v_fmac_f32_e32 v131, v130, v129
	s_delay_alu instid0(VALU_DEP_1) | instskip(SKIP_1) | instid1(VALU_DEP_2)
	v_div_scale_f32 v130, null, v131, v131, 1.0
	v_div_scale_f32 v139, vcc_lo, 1.0, v131, 1.0
	v_rcp_f32_e32 v132, v130
	v_nop
	s_delay_alu instid0(TRANS32_DEP_1) | instskip(NEXT) | instid1(VALU_DEP_1)
	v_fma_f32 v133, -v130, v132, 1.0
	v_fmac_f32_e32 v132, v133, v132
	s_delay_alu instid0(VALU_DEP_1) | instskip(NEXT) | instid1(VALU_DEP_1)
	v_mul_f32_e32 v133, v139, v132
	v_fma_f32 v140, -v130, v133, v139
	s_delay_alu instid0(VALU_DEP_1) | instskip(NEXT) | instid1(VALU_DEP_1)
	v_fmac_f32_e32 v133, v140, v132
	v_fma_f32 v130, -v130, v133, v139
	s_delay_alu instid0(VALU_DEP_1) | instskip(NEXT) | instid1(VALU_DEP_1)
	v_div_fmas_f32 v130, v130, v132, v133
	v_div_fixup_f32 v131, v130, v131, 1.0
	s_delay_alu instid0(VALU_DEP_1)
	v_mul_f32_e32 v130, v129, v131
	v_xor_b32_e32 v131, 0x80000000, v131
.LBB120_280:
	s_and_not1_saveexec_b32 s1, s1
	s_cbranch_execz .LBB120_282
; %bb.281:
	s_delay_alu instid0(VALU_DEP_1) | instskip(SKIP_1) | instid1(VALU_DEP_2)
	v_div_scale_f32 v129, null, v130, v130, v131
	v_div_scale_f32 v139, vcc_lo, v131, v130, v131
	v_rcp_f32_e32 v132, v129
	v_nop
	s_delay_alu instid0(TRANS32_DEP_1) | instskip(NEXT) | instid1(VALU_DEP_1)
	v_fma_f32 v133, -v129, v132, 1.0
	v_fmac_f32_e32 v132, v133, v132
	s_delay_alu instid0(VALU_DEP_1) | instskip(NEXT) | instid1(VALU_DEP_1)
	v_mul_f32_e32 v133, v139, v132
	v_fma_f32 v140, -v129, v133, v139
	s_delay_alu instid0(VALU_DEP_1) | instskip(NEXT) | instid1(VALU_DEP_1)
	v_fmac_f32_e32 v133, v140, v132
	v_fma_f32 v129, -v129, v133, v139
	s_delay_alu instid0(VALU_DEP_1) | instskip(NEXT) | instid1(VALU_DEP_1)
	v_div_fmas_f32 v129, v129, v132, v133
	v_div_fixup_f32 v129, v129, v130, v131
	s_delay_alu instid0(VALU_DEP_1) | instskip(NEXT) | instid1(VALU_DEP_1)
	v_fmac_f32_e32 v130, v131, v129
	v_div_scale_f32 v131, null, v130, v130, 1.0
	s_delay_alu instid0(VALU_DEP_1) | instskip(SKIP_1) | instid1(TRANS32_DEP_1)
	v_rcp_f32_e32 v132, v131
	v_nop
	v_fma_f32 v133, -v131, v132, 1.0
	s_delay_alu instid0(VALU_DEP_1) | instskip(SKIP_1) | instid1(VALU_DEP_1)
	v_fmac_f32_e32 v132, v133, v132
	v_div_scale_f32 v133, vcc_lo, 1.0, v130, 1.0
	v_mul_f32_e32 v139, v133, v132
	s_delay_alu instid0(VALU_DEP_1) | instskip(NEXT) | instid1(VALU_DEP_1)
	v_fma_f32 v140, -v131, v139, v133
	v_fmac_f32_e32 v139, v140, v132
	s_delay_alu instid0(VALU_DEP_1) | instskip(NEXT) | instid1(VALU_DEP_1)
	v_fma_f32 v131, -v131, v139, v133
	v_div_fmas_f32 v131, v131, v132, v139
	s_delay_alu instid0(VALU_DEP_1) | instskip(NEXT) | instid1(VALU_DEP_1)
	v_div_fixup_f32 v130, v131, v130, 1.0
	v_mul_f32_e64 v131, v129, -v130
.LBB120_282:
	s_or_b32 exec_lo, exec_lo, s1
.LBB120_283:
	s_delay_alu instid0(SALU_CYCLE_1) | instskip(NEXT) | instid1(SALU_CYCLE_1)
	s_or_b32 exec_lo, exec_lo, s0
	s_mov_b32 s0, exec_lo
	v_cmpx_ne_u32_e64 v138, v128
	s_xor_b32 s0, exec_lo, s0
	s_cbranch_execz .LBB120_289
; %bb.284:
	s_mov_b32 s1, exec_lo
	v_cmpx_eq_u32_e32 13, v138
	s_cbranch_execz .LBB120_288
; %bb.285:
	v_cmp_ne_u32_e32 vcc_lo, 13, v128
	s_xor_b32 s12, s16, -1
	s_delay_alu instid0(SALU_CYCLE_1) | instskip(NEXT) | instid1(SALU_CYCLE_1)
	s_and_b32 s13, s12, vcc_lo
	s_and_saveexec_b32 s12, s13
	s_cbranch_execz .LBB120_287
; %bb.286:
	v_ashrrev_i32_e32 v129, 31, v128
	s_delay_alu instid0(VALU_DEP_1)
	v_lshl_add_u64 v[132:133], v[128:129], 2, v[4:5]
	s_clause 0x1
	global_load_b32 v129, v[132:133], off
	global_load_b32 v137, v[4:5], off offset:52
	s_wait_loadcnt 0x1
	global_store_b32 v[4:5], v129, off offset:52
	s_wait_loadcnt 0x0
	global_store_b32 v[132:133], v137, off
.LBB120_287:
	s_wait_xcnt 0x0
	s_or_b32 exec_lo, exec_lo, s12
	v_dual_mov_b32 v138, v128 :: v_dual_mov_b32 v137, v128
.LBB120_288:
	s_or_b32 exec_lo, exec_lo, s1
.LBB120_289:
	s_and_not1_saveexec_b32 s0, s0
	s_cbranch_execz .LBB120_291
; %bb.290:
	v_dual_mov_b32 v128, v98 :: v_dual_mov_b32 v129, v99
	v_dual_mov_b32 v132, v94 :: v_dual_mov_b32 v133, v95
	v_dual_mov_b32 v138, v92 :: v_dual_mov_b32 v139, v93
	v_dual_mov_b32 v140, v88 :: v_dual_mov_b32 v141, v89
	v_dual_mov_b32 v142, v90 :: v_dual_mov_b32 v143, v91
	v_dual_mov_b32 v144, v86 :: v_dual_mov_b32 v145, v87
	v_dual_mov_b32 v146, v84 :: v_dual_mov_b32 v147, v85
	v_dual_mov_b32 v148, v80 :: v_dual_mov_b32 v149, v81
	v_dual_mov_b32 v150, v82 :: v_dual_mov_b32 v151, v83
	v_dual_mov_b32 v152, v78 :: v_dual_mov_b32 v153, v79
	v_dual_mov_b32 v154, v76 :: v_dual_mov_b32 v155, v77
	v_dual_mov_b32 v156, v72 :: v_dual_mov_b32 v157, v73
	ds_store_2addr_b64 v135, v[128:129], v[132:133] offset0:14 offset1:15
	ds_store_2addr_b64 v135, v[138:139], v[140:141] offset0:16 offset1:17
	ds_store_2addr_b64 v135, v[142:143], v[144:145] offset0:18 offset1:19
	ds_store_2addr_b64 v135, v[146:147], v[148:149] offset0:20 offset1:21
	ds_store_2addr_b64 v135, v[150:151], v[152:153] offset0:22 offset1:23
	ds_store_2addr_b64 v135, v[154:155], v[156:157] offset0:24 offset1:25
	v_dual_mov_b32 v128, v74 :: v_dual_mov_b32 v129, v75
	v_dual_mov_b32 v132, v70 :: v_dual_mov_b32 v133, v71
	v_dual_mov_b32 v138, v68 :: v_dual_mov_b32 v139, v69
	v_dual_mov_b32 v140, v64 :: v_dual_mov_b32 v141, v65
	v_dual_mov_b32 v142, v66 :: v_dual_mov_b32 v143, v67
	v_dual_mov_b32 v144, v62 :: v_dual_mov_b32 v145, v63
	v_dual_mov_b32 v146, v60 :: v_dual_mov_b32 v147, v61
	v_dual_mov_b32 v148, v56 :: v_dual_mov_b32 v149, v57
	v_dual_mov_b32 v150, v58 :: v_dual_mov_b32 v151, v59
	v_dual_mov_b32 v152, v54 :: v_dual_mov_b32 v153, v55
	v_dual_mov_b32 v154, v52 :: v_dual_mov_b32 v155, v53
	v_dual_mov_b32 v156, v48 :: v_dual_mov_b32 v157, v49
	ds_store_2addr_b64 v135, v[128:129], v[132:133] offset0:26 offset1:27
	ds_store_2addr_b64 v135, v[138:139], v[140:141] offset0:28 offset1:29
	ds_store_2addr_b64 v135, v[142:143], v[144:145] offset0:30 offset1:31
	ds_store_2addr_b64 v135, v[146:147], v[148:149] offset0:32 offset1:33
	ds_store_2addr_b64 v135, v[150:151], v[152:153] offset0:34 offset1:35
	ds_store_2addr_b64 v135, v[154:155], v[156:157] offset0:36 offset1:37
	;; [unrolled: 18-line block ×3, first 2 shown]
	v_dual_mov_b32 v128, v24 :: v_dual_mov_b32 v129, v25
	v_dual_mov_b32 v132, v44 :: v_dual_mov_b32 v133, v45
	v_dual_mov_b32 v138, v16 :: v_dual_mov_b32 v139, v17
	v_dual_mov_b32 v140, v12 :: v_dual_mov_b32 v141, v13
	v_dual_mov_b32 v142, v14 :: v_dual_mov_b32 v143, v15
	v_dual_mov_b32 v144, v10 :: v_dual_mov_b32 v145, v11
	ds_store_2addr_b64 v135, v[128:129], v[132:133] offset0:50 offset1:51
	ds_store_2addr_b64 v135, v[138:139], v[140:141] offset0:52 offset1:53
	v_dual_mov_b32 v138, 13 :: v_dual_mov_b32 v146, v6
	v_dual_mov_b32 v147, v7 :: v_dual_mov_b32 v148, v20
	;; [unrolled: 1-line block ×4, first 2 shown]
	v_mov_b32_e32 v153, v9
	ds_store_2addr_b64 v135, v[142:143], v[144:145] offset0:54 offset1:55
	ds_store_2addr_b64 v135, v[146:147], v[148:149] offset0:56 offset1:57
	ds_store_2addr_b64 v135, v[150:151], v[152:153] offset0:58 offset1:59
	ds_store_b64 v135, v[126:127] offset:480
.LBB120_291:
	s_or_b32 exec_lo, exec_lo, s0
	s_delay_alu instid0(SALU_CYCLE_1)
	s_mov_b32 s0, exec_lo
	s_wait_storecnt_dscnt 0x0
	s_barrier_signal -1
	s_barrier_wait -1
	v_cmpx_lt_i32_e32 13, v138
	s_cbranch_execz .LBB120_293
; %bb.292:
	ds_load_2addr_b64 v[140:143], v135 offset0:14 offset1:15
	v_pk_mul_f32 v[132:133], v[130:131], v[96:97] op_sel:[1,1] op_sel_hi:[0,1]
	s_delay_alu instid0(VALU_DEP_1) | instskip(SKIP_1) | instid1(VALU_DEP_1)
	v_pk_fma_f32 v[128:129], v[130:131], v[96:97], v[132:133] op_sel_hi:[1,0,1] neg_lo:[0,0,1] neg_hi:[0,0,1]
	v_pk_fma_f32 v[130:131], v[130:131], v[96:97], v[132:133] op_sel_hi:[1,0,1]
	v_dual_mov_b32 v96, v128 :: v_dual_mov_b32 v97, v131
	s_wait_dscnt 0x0
	s_delay_alu instid0(VALU_DEP_2) | instskip(NEXT) | instid1(VALU_DEP_1)
	v_pk_mul_f32 v[132:133], v[140:141], v[130:131] op_sel:[0,1]
	v_pk_fma_f32 v[144:145], v[140:141], v[128:129], v[132:133] op_sel:[0,0,1] op_sel_hi:[1,1,0] neg_lo:[0,0,1] neg_hi:[0,0,1]
	v_pk_fma_f32 v[132:133], v[140:141], v[128:129], v[132:133] op_sel:[0,0,1] op_sel_hi:[1,0,0]
	s_delay_alu instid0(VALU_DEP_1) | instskip(SKIP_1) | instid1(VALU_DEP_1)
	v_mov_b32_e32 v145, v133
	v_pk_mul_f32 v[132:133], v[142:143], v[130:131] op_sel:[0,1]
	v_pk_fma_f32 v[140:141], v[142:143], v[128:129], v[132:133] op_sel:[0,0,1] op_sel_hi:[1,1,0] neg_lo:[0,0,1] neg_hi:[0,0,1]
	v_pk_fma_f32 v[132:133], v[142:143], v[128:129], v[132:133] op_sel:[0,0,1] op_sel_hi:[1,0,0]
	s_delay_alu instid0(VALU_DEP_1) | instskip(SKIP_1) | instid1(VALU_DEP_2)
	v_mov_b32_e32 v141, v133
	v_pk_add_f32 v[98:99], v[98:99], v[144:145] neg_lo:[0,1] neg_hi:[0,1]
	v_pk_add_f32 v[94:95], v[94:95], v[140:141] neg_lo:[0,1] neg_hi:[0,1]
	ds_load_2addr_b64 v[140:143], v135 offset0:16 offset1:17
	s_wait_dscnt 0x0
	v_pk_mul_f32 v[132:133], v[140:141], v[130:131] op_sel:[0,1]
	s_delay_alu instid0(VALU_DEP_1) | instskip(SKIP_2) | instid1(VALU_DEP_2)
	v_pk_fma_f32 v[144:145], v[140:141], v[128:129], v[132:133] op_sel:[0,0,1] op_sel_hi:[1,1,0] neg_lo:[0,0,1] neg_hi:[0,0,1]
	v_pk_fma_f32 v[132:133], v[140:141], v[128:129], v[132:133] op_sel:[0,0,1] op_sel_hi:[1,0,0]
	v_dual_mul_f32 v140, v143, v131 :: v_dual_mov_b32 v132, v143
	v_dual_mov_b32 v145, v133 :: v_dual_mov_b32 v133, v142
	s_delay_alu instid0(VALU_DEP_2) | instskip(SKIP_1) | instid1(VALU_DEP_3)
	v_pk_fma_f32 v[140:141], v[142:143], v[96:97], v[140:141] op_sel_hi:[1,1,0] neg_lo:[0,0,1] neg_hi:[0,0,1]
	v_mul_f32_e32 v142, v143, v128
	v_pk_add_f32 v[92:93], v[92:93], v[144:145] neg_lo:[0,1] neg_hi:[0,1]
	s_delay_alu instid0(VALU_DEP_2) | instskip(NEXT) | instid1(VALU_DEP_1)
	v_pk_fma_f32 v[132:133], v[132:133], v[96:97], v[142:143] op_sel_hi:[1,1,0]
	v_mov_b32_e32 v141, v133
	s_delay_alu instid0(VALU_DEP_1) | instskip(SKIP_3) | instid1(VALU_DEP_1)
	v_pk_add_f32 v[88:89], v[88:89], v[140:141] neg_lo:[0,1] neg_hi:[0,1]
	ds_load_2addr_b64 v[140:143], v135 offset0:18 offset1:19
	s_wait_dscnt 0x0
	v_pk_mul_f32 v[132:133], v[140:141], v[130:131] op_sel:[0,1]
	v_pk_fma_f32 v[144:145], v[140:141], v[128:129], v[132:133] op_sel:[0,0,1] op_sel_hi:[1,1,0] neg_lo:[0,0,1] neg_hi:[0,0,1]
	v_pk_fma_f32 v[132:133], v[140:141], v[128:129], v[132:133] op_sel:[0,0,1] op_sel_hi:[1,0,0]
	s_delay_alu instid0(VALU_DEP_1) | instskip(SKIP_1) | instid1(VALU_DEP_1)
	v_mov_b32_e32 v145, v133
	v_pk_mul_f32 v[132:133], v[142:143], v[130:131] op_sel:[0,1]
	v_pk_fma_f32 v[140:141], v[142:143], v[128:129], v[132:133] op_sel:[0,0,1] op_sel_hi:[1,1,0] neg_lo:[0,0,1] neg_hi:[0,0,1]
	v_pk_fma_f32 v[132:133], v[142:143], v[128:129], v[132:133] op_sel:[0,0,1] op_sel_hi:[1,0,0]
	s_delay_alu instid0(VALU_DEP_1) | instskip(SKIP_1) | instid1(VALU_DEP_2)
	v_mov_b32_e32 v141, v133
	v_pk_add_f32 v[90:91], v[90:91], v[144:145] neg_lo:[0,1] neg_hi:[0,1]
	v_pk_add_f32 v[86:87], v[86:87], v[140:141] neg_lo:[0,1] neg_hi:[0,1]
	ds_load_2addr_b64 v[140:143], v135 offset0:20 offset1:21
	s_wait_dscnt 0x0
	v_pk_mul_f32 v[132:133], v[140:141], v[130:131] op_sel:[0,1]
	s_delay_alu instid0(VALU_DEP_1) | instskip(SKIP_1) | instid1(VALU_DEP_1)
	v_pk_fma_f32 v[144:145], v[140:141], v[128:129], v[132:133] op_sel:[0,0,1] op_sel_hi:[1,1,0] neg_lo:[0,0,1] neg_hi:[0,0,1]
	v_pk_fma_f32 v[132:133], v[140:141], v[128:129], v[132:133] op_sel:[0,0,1] op_sel_hi:[1,0,0]
	v_mov_b32_e32 v145, v133
	v_pk_mul_f32 v[132:133], v[142:143], v[130:131] op_sel:[0,1]
	s_delay_alu instid0(VALU_DEP_1) | instskip(SKIP_1) | instid1(VALU_DEP_1)
	v_pk_fma_f32 v[140:141], v[142:143], v[128:129], v[132:133] op_sel:[0,0,1] op_sel_hi:[1,1,0] neg_lo:[0,0,1] neg_hi:[0,0,1]
	v_pk_fma_f32 v[132:133], v[142:143], v[128:129], v[132:133] op_sel:[0,0,1] op_sel_hi:[1,0,0]
	v_mov_b32_e32 v141, v133
	v_pk_add_f32 v[84:85], v[84:85], v[144:145] neg_lo:[0,1] neg_hi:[0,1]
	s_delay_alu instid0(VALU_DEP_2) | instskip(SKIP_3) | instid1(VALU_DEP_1)
	v_pk_add_f32 v[80:81], v[80:81], v[140:141] neg_lo:[0,1] neg_hi:[0,1]
	ds_load_2addr_b64 v[140:143], v135 offset0:22 offset1:23
	s_wait_dscnt 0x0
	v_dual_mul_f32 v132, v141, v131 :: v_dual_mul_f32 v144, v141, v128
	v_pk_fma_f32 v[132:133], v[140:141], v[96:97], v[132:133] op_sel_hi:[1,1,0] neg_lo:[0,0,1] neg_hi:[0,0,1]
	s_delay_alu instid0(VALU_DEP_2) | instskip(NEXT) | instid1(VALU_DEP_1)
	v_pk_fma_f32 v[140:141], v[140:141], v[96:97], v[144:145] op_sel:[1,0,0] op_sel_hi:[0,1,0]
	v_mov_b32_e32 v133, v141
	s_delay_alu instid0(VALU_DEP_1) | instskip(SKIP_1) | instid1(VALU_DEP_1)
	v_pk_add_f32 v[82:83], v[82:83], v[132:133] neg_lo:[0,1] neg_hi:[0,1]
	v_pk_mul_f32 v[132:133], v[142:143], v[130:131] op_sel:[0,1]
	v_pk_fma_f32 v[140:141], v[142:143], v[128:129], v[132:133] op_sel:[0,0,1] op_sel_hi:[1,1,0] neg_lo:[0,0,1] neg_hi:[0,0,1]
	v_pk_fma_f32 v[132:133], v[142:143], v[128:129], v[132:133] op_sel:[0,0,1] op_sel_hi:[1,0,0]
	s_delay_alu instid0(VALU_DEP_1) | instskip(NEXT) | instid1(VALU_DEP_1)
	v_mov_b32_e32 v141, v133
	v_pk_add_f32 v[78:79], v[78:79], v[140:141] neg_lo:[0,1] neg_hi:[0,1]
	ds_load_2addr_b64 v[140:143], v135 offset0:24 offset1:25
	s_wait_dscnt 0x0
	v_pk_mul_f32 v[132:133], v[140:141], v[130:131] op_sel:[0,1]
	s_delay_alu instid0(VALU_DEP_1) | instskip(SKIP_1) | instid1(VALU_DEP_1)
	v_pk_fma_f32 v[144:145], v[140:141], v[128:129], v[132:133] op_sel:[0,0,1] op_sel_hi:[1,1,0] neg_lo:[0,0,1] neg_hi:[0,0,1]
	v_pk_fma_f32 v[132:133], v[140:141], v[128:129], v[132:133] op_sel:[0,0,1] op_sel_hi:[1,0,0]
	v_mov_b32_e32 v145, v133
	v_pk_mul_f32 v[132:133], v[142:143], v[130:131] op_sel:[0,1]
	s_delay_alu instid0(VALU_DEP_2) | instskip(NEXT) | instid1(VALU_DEP_2)
	v_pk_add_f32 v[76:77], v[76:77], v[144:145] neg_lo:[0,1] neg_hi:[0,1]
	v_pk_fma_f32 v[140:141], v[142:143], v[128:129], v[132:133] op_sel:[0,0,1] op_sel_hi:[1,1,0] neg_lo:[0,0,1] neg_hi:[0,0,1]
	v_pk_fma_f32 v[132:133], v[142:143], v[128:129], v[132:133] op_sel:[0,0,1] op_sel_hi:[1,0,0]
	s_delay_alu instid0(VALU_DEP_1) | instskip(NEXT) | instid1(VALU_DEP_1)
	v_mov_b32_e32 v141, v133
	v_pk_add_f32 v[72:73], v[72:73], v[140:141] neg_lo:[0,1] neg_hi:[0,1]
	ds_load_2addr_b64 v[140:143], v135 offset0:26 offset1:27
	s_wait_dscnt 0x0
	v_pk_mul_f32 v[132:133], v[140:141], v[130:131] op_sel:[0,1]
	s_delay_alu instid0(VALU_DEP_1) | instskip(SKIP_2) | instid1(VALU_DEP_2)
	v_pk_fma_f32 v[144:145], v[140:141], v[128:129], v[132:133] op_sel:[0,0,1] op_sel_hi:[1,1,0] neg_lo:[0,0,1] neg_hi:[0,0,1]
	v_pk_fma_f32 v[132:133], v[140:141], v[128:129], v[132:133] op_sel:[0,0,1] op_sel_hi:[1,0,0]
	v_dual_mul_f32 v140, v143, v131 :: v_dual_mov_b32 v132, v143
	v_dual_mov_b32 v145, v133 :: v_dual_mov_b32 v133, v142
	s_delay_alu instid0(VALU_DEP_2) | instskip(SKIP_1) | instid1(VALU_DEP_3)
	v_pk_fma_f32 v[140:141], v[142:143], v[96:97], v[140:141] op_sel_hi:[1,1,0] neg_lo:[0,0,1] neg_hi:[0,0,1]
	v_mul_f32_e32 v142, v143, v128
	v_pk_add_f32 v[74:75], v[74:75], v[144:145] neg_lo:[0,1] neg_hi:[0,1]
	s_delay_alu instid0(VALU_DEP_2) | instskip(NEXT) | instid1(VALU_DEP_1)
	v_pk_fma_f32 v[132:133], v[132:133], v[96:97], v[142:143] op_sel_hi:[1,1,0]
	v_mov_b32_e32 v141, v133
	s_delay_alu instid0(VALU_DEP_1) | instskip(SKIP_3) | instid1(VALU_DEP_1)
	v_pk_add_f32 v[70:71], v[70:71], v[140:141] neg_lo:[0,1] neg_hi:[0,1]
	ds_load_2addr_b64 v[140:143], v135 offset0:28 offset1:29
	s_wait_dscnt 0x0
	v_pk_mul_f32 v[132:133], v[140:141], v[130:131] op_sel:[0,1]
	v_pk_fma_f32 v[144:145], v[140:141], v[128:129], v[132:133] op_sel:[0,0,1] op_sel_hi:[1,1,0] neg_lo:[0,0,1] neg_hi:[0,0,1]
	v_pk_fma_f32 v[132:133], v[140:141], v[128:129], v[132:133] op_sel:[0,0,1] op_sel_hi:[1,0,0]
	s_delay_alu instid0(VALU_DEP_1) | instskip(SKIP_1) | instid1(VALU_DEP_1)
	v_mov_b32_e32 v145, v133
	v_pk_mul_f32 v[132:133], v[142:143], v[130:131] op_sel:[0,1]
	v_pk_fma_f32 v[140:141], v[142:143], v[128:129], v[132:133] op_sel:[0,0,1] op_sel_hi:[1,1,0] neg_lo:[0,0,1] neg_hi:[0,0,1]
	v_pk_fma_f32 v[132:133], v[142:143], v[128:129], v[132:133] op_sel:[0,0,1] op_sel_hi:[1,0,0]
	s_delay_alu instid0(VALU_DEP_1) | instskip(SKIP_1) | instid1(VALU_DEP_2)
	v_mov_b32_e32 v141, v133
	v_pk_add_f32 v[68:69], v[68:69], v[144:145] neg_lo:[0,1] neg_hi:[0,1]
	v_pk_add_f32 v[64:65], v[64:65], v[140:141] neg_lo:[0,1] neg_hi:[0,1]
	ds_load_2addr_b64 v[140:143], v135 offset0:30 offset1:31
	s_wait_dscnt 0x0
	v_pk_mul_f32 v[132:133], v[140:141], v[130:131] op_sel:[0,1]
	s_delay_alu instid0(VALU_DEP_1) | instskip(SKIP_1) | instid1(VALU_DEP_1)
	v_pk_fma_f32 v[144:145], v[140:141], v[128:129], v[132:133] op_sel:[0,0,1] op_sel_hi:[1,1,0] neg_lo:[0,0,1] neg_hi:[0,0,1]
	v_pk_fma_f32 v[132:133], v[140:141], v[128:129], v[132:133] op_sel:[0,0,1] op_sel_hi:[1,0,0]
	v_mov_b32_e32 v145, v133
	v_pk_mul_f32 v[132:133], v[142:143], v[130:131] op_sel:[0,1]
	s_delay_alu instid0(VALU_DEP_1) | instskip(SKIP_1) | instid1(VALU_DEP_1)
	v_pk_fma_f32 v[140:141], v[142:143], v[128:129], v[132:133] op_sel:[0,0,1] op_sel_hi:[1,1,0] neg_lo:[0,0,1] neg_hi:[0,0,1]
	v_pk_fma_f32 v[132:133], v[142:143], v[128:129], v[132:133] op_sel:[0,0,1] op_sel_hi:[1,0,0]
	v_mov_b32_e32 v141, v133
	v_pk_add_f32 v[66:67], v[66:67], v[144:145] neg_lo:[0,1] neg_hi:[0,1]
	s_delay_alu instid0(VALU_DEP_2) | instskip(SKIP_3) | instid1(VALU_DEP_1)
	v_pk_add_f32 v[62:63], v[62:63], v[140:141] neg_lo:[0,1] neg_hi:[0,1]
	ds_load_2addr_b64 v[140:143], v135 offset0:32 offset1:33
	s_wait_dscnt 0x0
	v_dual_mul_f32 v132, v141, v131 :: v_dual_mul_f32 v144, v141, v128
	v_pk_fma_f32 v[132:133], v[140:141], v[96:97], v[132:133] op_sel_hi:[1,1,0] neg_lo:[0,0,1] neg_hi:[0,0,1]
	s_delay_alu instid0(VALU_DEP_2) | instskip(NEXT) | instid1(VALU_DEP_1)
	v_pk_fma_f32 v[140:141], v[140:141], v[96:97], v[144:145] op_sel:[1,0,0] op_sel_hi:[0,1,0]
	v_mov_b32_e32 v133, v141
	s_delay_alu instid0(VALU_DEP_1) | instskip(SKIP_1) | instid1(VALU_DEP_1)
	v_pk_add_f32 v[60:61], v[60:61], v[132:133] neg_lo:[0,1] neg_hi:[0,1]
	v_pk_mul_f32 v[132:133], v[142:143], v[130:131] op_sel:[0,1]
	v_pk_fma_f32 v[140:141], v[142:143], v[128:129], v[132:133] op_sel:[0,0,1] op_sel_hi:[1,1,0] neg_lo:[0,0,1] neg_hi:[0,0,1]
	v_pk_fma_f32 v[132:133], v[142:143], v[128:129], v[132:133] op_sel:[0,0,1] op_sel_hi:[1,0,0]
	s_delay_alu instid0(VALU_DEP_1) | instskip(NEXT) | instid1(VALU_DEP_1)
	v_mov_b32_e32 v141, v133
	v_pk_add_f32 v[56:57], v[56:57], v[140:141] neg_lo:[0,1] neg_hi:[0,1]
	ds_load_2addr_b64 v[140:143], v135 offset0:34 offset1:35
	s_wait_dscnt 0x0
	v_pk_mul_f32 v[132:133], v[140:141], v[130:131] op_sel:[0,1]
	s_delay_alu instid0(VALU_DEP_1) | instskip(SKIP_1) | instid1(VALU_DEP_1)
	v_pk_fma_f32 v[144:145], v[140:141], v[128:129], v[132:133] op_sel:[0,0,1] op_sel_hi:[1,1,0] neg_lo:[0,0,1] neg_hi:[0,0,1]
	v_pk_fma_f32 v[132:133], v[140:141], v[128:129], v[132:133] op_sel:[0,0,1] op_sel_hi:[1,0,0]
	v_mov_b32_e32 v145, v133
	v_pk_mul_f32 v[132:133], v[142:143], v[130:131] op_sel:[0,1]
	s_delay_alu instid0(VALU_DEP_2) | instskip(NEXT) | instid1(VALU_DEP_2)
	v_pk_add_f32 v[58:59], v[58:59], v[144:145] neg_lo:[0,1] neg_hi:[0,1]
	v_pk_fma_f32 v[140:141], v[142:143], v[128:129], v[132:133] op_sel:[0,0,1] op_sel_hi:[1,1,0] neg_lo:[0,0,1] neg_hi:[0,0,1]
	v_pk_fma_f32 v[132:133], v[142:143], v[128:129], v[132:133] op_sel:[0,0,1] op_sel_hi:[1,0,0]
	s_delay_alu instid0(VALU_DEP_1) | instskip(NEXT) | instid1(VALU_DEP_1)
	v_mov_b32_e32 v141, v133
	v_pk_add_f32 v[54:55], v[54:55], v[140:141] neg_lo:[0,1] neg_hi:[0,1]
	ds_load_2addr_b64 v[140:143], v135 offset0:36 offset1:37
	s_wait_dscnt 0x0
	v_pk_mul_f32 v[132:133], v[140:141], v[130:131] op_sel:[0,1]
	s_delay_alu instid0(VALU_DEP_1) | instskip(SKIP_2) | instid1(VALU_DEP_2)
	v_pk_fma_f32 v[144:145], v[140:141], v[128:129], v[132:133] op_sel:[0,0,1] op_sel_hi:[1,1,0] neg_lo:[0,0,1] neg_hi:[0,0,1]
	v_pk_fma_f32 v[132:133], v[140:141], v[128:129], v[132:133] op_sel:[0,0,1] op_sel_hi:[1,0,0]
	v_dual_mul_f32 v140, v143, v131 :: v_dual_mov_b32 v132, v143
	v_dual_mov_b32 v145, v133 :: v_dual_mov_b32 v133, v142
	s_delay_alu instid0(VALU_DEP_2) | instskip(SKIP_1) | instid1(VALU_DEP_3)
	v_pk_fma_f32 v[140:141], v[142:143], v[96:97], v[140:141] op_sel_hi:[1,1,0] neg_lo:[0,0,1] neg_hi:[0,0,1]
	v_mul_f32_e32 v142, v143, v128
	v_pk_add_f32 v[52:53], v[52:53], v[144:145] neg_lo:[0,1] neg_hi:[0,1]
	s_delay_alu instid0(VALU_DEP_2) | instskip(NEXT) | instid1(VALU_DEP_1)
	v_pk_fma_f32 v[132:133], v[132:133], v[96:97], v[142:143] op_sel_hi:[1,1,0]
	v_mov_b32_e32 v141, v133
	s_delay_alu instid0(VALU_DEP_1) | instskip(SKIP_3) | instid1(VALU_DEP_1)
	v_pk_add_f32 v[48:49], v[48:49], v[140:141] neg_lo:[0,1] neg_hi:[0,1]
	ds_load_2addr_b64 v[140:143], v135 offset0:38 offset1:39
	s_wait_dscnt 0x0
	v_pk_mul_f32 v[132:133], v[140:141], v[130:131] op_sel:[0,1]
	v_pk_fma_f32 v[144:145], v[140:141], v[128:129], v[132:133] op_sel:[0,0,1] op_sel_hi:[1,1,0] neg_lo:[0,0,1] neg_hi:[0,0,1]
	v_pk_fma_f32 v[132:133], v[140:141], v[128:129], v[132:133] op_sel:[0,0,1] op_sel_hi:[1,0,0]
	s_delay_alu instid0(VALU_DEP_1) | instskip(SKIP_1) | instid1(VALU_DEP_1)
	v_mov_b32_e32 v145, v133
	v_pk_mul_f32 v[132:133], v[142:143], v[130:131] op_sel:[0,1]
	v_pk_fma_f32 v[140:141], v[142:143], v[128:129], v[132:133] op_sel:[0,0,1] op_sel_hi:[1,1,0] neg_lo:[0,0,1] neg_hi:[0,0,1]
	v_pk_fma_f32 v[132:133], v[142:143], v[128:129], v[132:133] op_sel:[0,0,1] op_sel_hi:[1,0,0]
	s_delay_alu instid0(VALU_DEP_1) | instskip(SKIP_1) | instid1(VALU_DEP_2)
	v_mov_b32_e32 v141, v133
	v_pk_add_f32 v[50:51], v[50:51], v[144:145] neg_lo:[0,1] neg_hi:[0,1]
	v_pk_add_f32 v[46:47], v[46:47], v[140:141] neg_lo:[0,1] neg_hi:[0,1]
	ds_load_2addr_b64 v[140:143], v135 offset0:40 offset1:41
	s_wait_dscnt 0x0
	v_pk_mul_f32 v[132:133], v[140:141], v[130:131] op_sel:[0,1]
	s_delay_alu instid0(VALU_DEP_1) | instskip(SKIP_1) | instid1(VALU_DEP_1)
	v_pk_fma_f32 v[144:145], v[140:141], v[128:129], v[132:133] op_sel:[0,0,1] op_sel_hi:[1,1,0] neg_lo:[0,0,1] neg_hi:[0,0,1]
	v_pk_fma_f32 v[132:133], v[140:141], v[128:129], v[132:133] op_sel:[0,0,1] op_sel_hi:[1,0,0]
	v_mov_b32_e32 v145, v133
	v_pk_mul_f32 v[132:133], v[142:143], v[130:131] op_sel:[0,1]
	s_delay_alu instid0(VALU_DEP_1) | instskip(SKIP_1) | instid1(VALU_DEP_1)
	v_pk_fma_f32 v[140:141], v[142:143], v[128:129], v[132:133] op_sel:[0,0,1] op_sel_hi:[1,1,0] neg_lo:[0,0,1] neg_hi:[0,0,1]
	v_pk_fma_f32 v[132:133], v[142:143], v[128:129], v[132:133] op_sel:[0,0,1] op_sel_hi:[1,0,0]
	v_mov_b32_e32 v141, v133
	v_pk_add_f32 v[42:43], v[42:43], v[144:145] neg_lo:[0,1] neg_hi:[0,1]
	s_delay_alu instid0(VALU_DEP_2) | instskip(SKIP_3) | instid1(VALU_DEP_1)
	v_pk_add_f32 v[38:39], v[38:39], v[140:141] neg_lo:[0,1] neg_hi:[0,1]
	ds_load_2addr_b64 v[140:143], v135 offset0:42 offset1:43
	s_wait_dscnt 0x0
	v_dual_mul_f32 v132, v141, v131 :: v_dual_mul_f32 v144, v141, v128
	v_pk_fma_f32 v[132:133], v[140:141], v[96:97], v[132:133] op_sel_hi:[1,1,0] neg_lo:[0,0,1] neg_hi:[0,0,1]
	s_delay_alu instid0(VALU_DEP_2) | instskip(NEXT) | instid1(VALU_DEP_1)
	v_pk_fma_f32 v[140:141], v[140:141], v[96:97], v[144:145] op_sel:[1,0,0] op_sel_hi:[0,1,0]
	v_mov_b32_e32 v133, v141
	s_delay_alu instid0(VALU_DEP_1) | instskip(SKIP_1) | instid1(VALU_DEP_1)
	v_pk_add_f32 v[40:41], v[40:41], v[132:133] neg_lo:[0,1] neg_hi:[0,1]
	v_pk_mul_f32 v[132:133], v[142:143], v[130:131] op_sel:[0,1]
	v_pk_fma_f32 v[140:141], v[142:143], v[128:129], v[132:133] op_sel:[0,0,1] op_sel_hi:[1,1,0] neg_lo:[0,0,1] neg_hi:[0,0,1]
	v_pk_fma_f32 v[132:133], v[142:143], v[128:129], v[132:133] op_sel:[0,0,1] op_sel_hi:[1,0,0]
	s_delay_alu instid0(VALU_DEP_1) | instskip(NEXT) | instid1(VALU_DEP_1)
	v_mov_b32_e32 v141, v133
	v_pk_add_f32 v[36:37], v[36:37], v[140:141] neg_lo:[0,1] neg_hi:[0,1]
	ds_load_2addr_b64 v[140:143], v135 offset0:44 offset1:45
	s_wait_dscnt 0x0
	v_pk_mul_f32 v[132:133], v[140:141], v[130:131] op_sel:[0,1]
	s_delay_alu instid0(VALU_DEP_1) | instskip(SKIP_1) | instid1(VALU_DEP_1)
	v_pk_fma_f32 v[144:145], v[140:141], v[128:129], v[132:133] op_sel:[0,0,1] op_sel_hi:[1,1,0] neg_lo:[0,0,1] neg_hi:[0,0,1]
	v_pk_fma_f32 v[132:133], v[140:141], v[128:129], v[132:133] op_sel:[0,0,1] op_sel_hi:[1,0,0]
	v_mov_b32_e32 v145, v133
	v_pk_mul_f32 v[132:133], v[142:143], v[130:131] op_sel:[0,1]
	s_delay_alu instid0(VALU_DEP_2) | instskip(NEXT) | instid1(VALU_DEP_2)
	v_pk_add_f32 v[34:35], v[34:35], v[144:145] neg_lo:[0,1] neg_hi:[0,1]
	v_pk_fma_f32 v[140:141], v[142:143], v[128:129], v[132:133] op_sel:[0,0,1] op_sel_hi:[1,1,0] neg_lo:[0,0,1] neg_hi:[0,0,1]
	v_pk_fma_f32 v[132:133], v[142:143], v[128:129], v[132:133] op_sel:[0,0,1] op_sel_hi:[1,0,0]
	s_delay_alu instid0(VALU_DEP_1) | instskip(NEXT) | instid1(VALU_DEP_1)
	v_mov_b32_e32 v141, v133
	v_pk_add_f32 v[30:31], v[30:31], v[140:141] neg_lo:[0,1] neg_hi:[0,1]
	ds_load_2addr_b64 v[140:143], v135 offset0:46 offset1:47
	s_wait_dscnt 0x0
	v_pk_mul_f32 v[132:133], v[140:141], v[130:131] op_sel:[0,1]
	s_delay_alu instid0(VALU_DEP_1) | instskip(SKIP_2) | instid1(VALU_DEP_2)
	v_pk_fma_f32 v[144:145], v[140:141], v[128:129], v[132:133] op_sel:[0,0,1] op_sel_hi:[1,1,0] neg_lo:[0,0,1] neg_hi:[0,0,1]
	v_pk_fma_f32 v[132:133], v[140:141], v[128:129], v[132:133] op_sel:[0,0,1] op_sel_hi:[1,0,0]
	v_dual_mul_f32 v140, v143, v131 :: v_dual_mov_b32 v132, v143
	v_dual_mov_b32 v145, v133 :: v_dual_mov_b32 v133, v142
	s_delay_alu instid0(VALU_DEP_2) | instskip(SKIP_1) | instid1(VALU_DEP_3)
	v_pk_fma_f32 v[140:141], v[142:143], v[96:97], v[140:141] op_sel_hi:[1,1,0] neg_lo:[0,0,1] neg_hi:[0,0,1]
	v_mul_f32_e32 v142, v143, v128
	v_pk_add_f32 v[32:33], v[32:33], v[144:145] neg_lo:[0,1] neg_hi:[0,1]
	s_delay_alu instid0(VALU_DEP_2) | instskip(NEXT) | instid1(VALU_DEP_1)
	v_pk_fma_f32 v[132:133], v[132:133], v[96:97], v[142:143] op_sel_hi:[1,1,0]
	v_mov_b32_e32 v141, v133
	s_delay_alu instid0(VALU_DEP_1) | instskip(SKIP_3) | instid1(VALU_DEP_1)
	v_pk_add_f32 v[28:29], v[28:29], v[140:141] neg_lo:[0,1] neg_hi:[0,1]
	ds_load_2addr_b64 v[140:143], v135 offset0:48 offset1:49
	s_wait_dscnt 0x0
	v_pk_mul_f32 v[132:133], v[140:141], v[130:131] op_sel:[0,1]
	v_pk_fma_f32 v[144:145], v[140:141], v[128:129], v[132:133] op_sel:[0,0,1] op_sel_hi:[1,1,0] neg_lo:[0,0,1] neg_hi:[0,0,1]
	v_pk_fma_f32 v[132:133], v[140:141], v[128:129], v[132:133] op_sel:[0,0,1] op_sel_hi:[1,0,0]
	s_delay_alu instid0(VALU_DEP_1) | instskip(SKIP_1) | instid1(VALU_DEP_1)
	v_mov_b32_e32 v145, v133
	v_pk_mul_f32 v[132:133], v[142:143], v[130:131] op_sel:[0,1]
	v_pk_fma_f32 v[140:141], v[142:143], v[128:129], v[132:133] op_sel:[0,0,1] op_sel_hi:[1,1,0] neg_lo:[0,0,1] neg_hi:[0,0,1]
	v_pk_fma_f32 v[132:133], v[142:143], v[128:129], v[132:133] op_sel:[0,0,1] op_sel_hi:[1,0,0]
	s_delay_alu instid0(VALU_DEP_1) | instskip(SKIP_1) | instid1(VALU_DEP_2)
	v_mov_b32_e32 v141, v133
	v_pk_add_f32 v[26:27], v[26:27], v[144:145] neg_lo:[0,1] neg_hi:[0,1]
	v_pk_add_f32 v[22:23], v[22:23], v[140:141] neg_lo:[0,1] neg_hi:[0,1]
	ds_load_2addr_b64 v[140:143], v135 offset0:50 offset1:51
	s_wait_dscnt 0x0
	v_pk_mul_f32 v[132:133], v[140:141], v[130:131] op_sel:[0,1]
	s_delay_alu instid0(VALU_DEP_1) | instskip(SKIP_1) | instid1(VALU_DEP_1)
	v_pk_fma_f32 v[144:145], v[140:141], v[128:129], v[132:133] op_sel:[0,0,1] op_sel_hi:[1,1,0] neg_lo:[0,0,1] neg_hi:[0,0,1]
	v_pk_fma_f32 v[132:133], v[140:141], v[128:129], v[132:133] op_sel:[0,0,1] op_sel_hi:[1,0,0]
	v_mov_b32_e32 v145, v133
	v_pk_mul_f32 v[132:133], v[142:143], v[130:131] op_sel:[0,1]
	s_delay_alu instid0(VALU_DEP_1) | instskip(SKIP_1) | instid1(VALU_DEP_1)
	v_pk_fma_f32 v[140:141], v[142:143], v[128:129], v[132:133] op_sel:[0,0,1] op_sel_hi:[1,1,0] neg_lo:[0,0,1] neg_hi:[0,0,1]
	v_pk_fma_f32 v[132:133], v[142:143], v[128:129], v[132:133] op_sel:[0,0,1] op_sel_hi:[1,0,0]
	v_mov_b32_e32 v141, v133
	v_pk_add_f32 v[24:25], v[24:25], v[144:145] neg_lo:[0,1] neg_hi:[0,1]
	s_delay_alu instid0(VALU_DEP_2) | instskip(SKIP_3) | instid1(VALU_DEP_1)
	v_pk_add_f32 v[44:45], v[44:45], v[140:141] neg_lo:[0,1] neg_hi:[0,1]
	ds_load_2addr_b64 v[140:143], v135 offset0:52 offset1:53
	s_wait_dscnt 0x0
	v_dual_mul_f32 v132, v141, v131 :: v_dual_mul_f32 v144, v141, v128
	v_pk_fma_f32 v[132:133], v[140:141], v[96:97], v[132:133] op_sel_hi:[1,1,0] neg_lo:[0,0,1] neg_hi:[0,0,1]
	s_delay_alu instid0(VALU_DEP_2) | instskip(NEXT) | instid1(VALU_DEP_1)
	v_pk_fma_f32 v[140:141], v[140:141], v[96:97], v[144:145] op_sel:[1,0,0] op_sel_hi:[0,1,0]
	v_mov_b32_e32 v133, v141
	s_delay_alu instid0(VALU_DEP_1) | instskip(SKIP_1) | instid1(VALU_DEP_1)
	v_pk_add_f32 v[16:17], v[16:17], v[132:133] neg_lo:[0,1] neg_hi:[0,1]
	v_pk_mul_f32 v[132:133], v[142:143], v[130:131] op_sel:[0,1]
	v_pk_fma_f32 v[140:141], v[142:143], v[128:129], v[132:133] op_sel:[0,0,1] op_sel_hi:[1,1,0] neg_lo:[0,0,1] neg_hi:[0,0,1]
	v_pk_fma_f32 v[132:133], v[142:143], v[128:129], v[132:133] op_sel:[0,0,1] op_sel_hi:[1,0,0]
	s_delay_alu instid0(VALU_DEP_1) | instskip(NEXT) | instid1(VALU_DEP_1)
	v_mov_b32_e32 v141, v133
	v_pk_add_f32 v[12:13], v[12:13], v[140:141] neg_lo:[0,1] neg_hi:[0,1]
	ds_load_2addr_b64 v[140:143], v135 offset0:54 offset1:55
	s_wait_dscnt 0x0
	v_pk_mul_f32 v[132:133], v[140:141], v[130:131] op_sel:[0,1]
	s_delay_alu instid0(VALU_DEP_1) | instskip(SKIP_1) | instid1(VALU_DEP_1)
	v_pk_fma_f32 v[144:145], v[140:141], v[128:129], v[132:133] op_sel:[0,0,1] op_sel_hi:[1,1,0] neg_lo:[0,0,1] neg_hi:[0,0,1]
	v_pk_fma_f32 v[132:133], v[140:141], v[128:129], v[132:133] op_sel:[0,0,1] op_sel_hi:[1,0,0]
	v_mov_b32_e32 v145, v133
	v_pk_mul_f32 v[132:133], v[142:143], v[130:131] op_sel:[0,1]
	s_delay_alu instid0(VALU_DEP_2) | instskip(NEXT) | instid1(VALU_DEP_2)
	v_pk_add_f32 v[14:15], v[14:15], v[144:145] neg_lo:[0,1] neg_hi:[0,1]
	v_pk_fma_f32 v[140:141], v[142:143], v[128:129], v[132:133] op_sel:[0,0,1] op_sel_hi:[1,1,0] neg_lo:[0,0,1] neg_hi:[0,0,1]
	v_pk_fma_f32 v[132:133], v[142:143], v[128:129], v[132:133] op_sel:[0,0,1] op_sel_hi:[1,0,0]
	s_delay_alu instid0(VALU_DEP_1) | instskip(NEXT) | instid1(VALU_DEP_1)
	v_mov_b32_e32 v141, v133
	v_pk_add_f32 v[10:11], v[10:11], v[140:141] neg_lo:[0,1] neg_hi:[0,1]
	ds_load_2addr_b64 v[140:143], v135 offset0:56 offset1:57
	s_wait_dscnt 0x0
	v_pk_mul_f32 v[132:133], v[140:141], v[130:131] op_sel:[0,1]
	s_delay_alu instid0(VALU_DEP_1) | instskip(SKIP_2) | instid1(VALU_DEP_2)
	v_pk_fma_f32 v[144:145], v[140:141], v[128:129], v[132:133] op_sel:[0,0,1] op_sel_hi:[1,1,0] neg_lo:[0,0,1] neg_hi:[0,0,1]
	v_pk_fma_f32 v[132:133], v[140:141], v[128:129], v[132:133] op_sel:[0,0,1] op_sel_hi:[1,0,0]
	v_dual_mul_f32 v140, v143, v131 :: v_dual_mov_b32 v132, v143
	v_dual_mov_b32 v145, v133 :: v_dual_mov_b32 v133, v142
	s_delay_alu instid0(VALU_DEP_2) | instskip(SKIP_1) | instid1(VALU_DEP_3)
	v_pk_fma_f32 v[140:141], v[142:143], v[96:97], v[140:141] op_sel_hi:[1,1,0] neg_lo:[0,0,1] neg_hi:[0,0,1]
	v_mul_f32_e32 v142, v143, v128
	v_pk_add_f32 v[6:7], v[6:7], v[144:145] neg_lo:[0,1] neg_hi:[0,1]
	s_delay_alu instid0(VALU_DEP_2) | instskip(NEXT) | instid1(VALU_DEP_1)
	v_pk_fma_f32 v[132:133], v[132:133], v[96:97], v[142:143] op_sel_hi:[1,1,0]
	v_mov_b32_e32 v141, v133
	s_delay_alu instid0(VALU_DEP_1) | instskip(SKIP_3) | instid1(VALU_DEP_1)
	v_pk_add_f32 v[20:21], v[20:21], v[140:141] neg_lo:[0,1] neg_hi:[0,1]
	ds_load_2addr_b64 v[140:143], v135 offset0:58 offset1:59
	s_wait_dscnt 0x0
	v_pk_mul_f32 v[132:133], v[140:141], v[130:131] op_sel:[0,1]
	v_pk_fma_f32 v[144:145], v[140:141], v[128:129], v[132:133] op_sel:[0,0,1] op_sel_hi:[1,1,0] neg_lo:[0,0,1] neg_hi:[0,0,1]
	v_pk_fma_f32 v[132:133], v[140:141], v[128:129], v[132:133] op_sel:[0,0,1] op_sel_hi:[1,0,0]
	s_delay_alu instid0(VALU_DEP_1) | instskip(SKIP_1) | instid1(VALU_DEP_1)
	v_mov_b32_e32 v145, v133
	v_pk_mul_f32 v[132:133], v[142:143], v[130:131] op_sel:[0,1]
	v_pk_fma_f32 v[140:141], v[142:143], v[128:129], v[132:133] op_sel:[0,0,1] op_sel_hi:[1,1,0] neg_lo:[0,0,1] neg_hi:[0,0,1]
	v_pk_fma_f32 v[132:133], v[142:143], v[128:129], v[132:133] op_sel:[0,0,1] op_sel_hi:[1,0,0]
	s_delay_alu instid0(VALU_DEP_1)
	v_mov_b32_e32 v141, v133
	ds_load_b64 v[132:133], v135 offset:480
	v_pk_add_f32 v[18:19], v[18:19], v[144:145] neg_lo:[0,1] neg_hi:[0,1]
	v_pk_add_f32 v[8:9], v[8:9], v[140:141] neg_lo:[0,1] neg_hi:[0,1]
	s_wait_dscnt 0x0
	v_pk_mul_f32 v[130:131], v[132:133], v[130:131] op_sel:[0,1]
	s_delay_alu instid0(VALU_DEP_1) | instskip(SKIP_1) | instid1(VALU_DEP_1)
	v_pk_fma_f32 v[140:141], v[132:133], v[128:129], v[130:131] op_sel:[0,0,1] op_sel_hi:[1,1,0] neg_lo:[0,0,1] neg_hi:[0,0,1]
	v_pk_fma_f32 v[128:129], v[132:133], v[128:129], v[130:131] op_sel:[0,0,1] op_sel_hi:[1,0,0]
	v_mov_b32_e32 v141, v129
	s_delay_alu instid0(VALU_DEP_1)
	v_pk_add_f32 v[126:127], v[126:127], v[140:141] neg_lo:[0,1] neg_hi:[0,1]
.LBB120_293:
	s_or_b32 exec_lo, exec_lo, s0
	v_lshl_add_u32 v128, v138, 3, v135
	s_barrier_signal -1
	s_barrier_wait -1
	ds_store_b64 v128, v[98:99]
	s_wait_dscnt 0x0
	s_barrier_signal -1
	s_barrier_wait -1
	ds_load_b64 v[130:131], v135 offset:112
	v_mov_b32_e32 v128, 14
	s_cmp_lt_i32 s18, 16
	s_cbranch_scc1 .LBB120_296
; %bb.294:
	v_add3_u32 v129, v136, 0, 0x78
	v_mov_b32_e32 v128, 14
	s_mov_b32 s0, 15
.LBB120_295:                            ; =>This Inner Loop Header: Depth=1
	ds_load_b64 v[132:133], v129
	s_wait_dscnt 0x1
	v_cmp_gt_f32_e32 vcc_lo, 0, v130
	v_cndmask_b32_e64 v140, v130, -v130, vcc_lo
	v_cmp_gt_f32_e32 vcc_lo, 0, v131
	v_cndmask_b32_e64 v142, v131, -v131, vcc_lo
	s_wait_dscnt 0x0
	v_cmp_gt_f32_e32 vcc_lo, 0, v132
	v_cndmask_b32_e64 v141, v132, -v132, vcc_lo
	v_cmp_gt_f32_e32 vcc_lo, 0, v133
	v_cndmask_b32_e64 v143, v133, -v133, vcc_lo
	s_delay_alu instid0(VALU_DEP_1) | instskip(NEXT) | instid1(VALU_DEP_1)
	v_pk_add_f32 v[140:141], v[140:141], v[142:143]
	v_cmp_lt_f32_e32 vcc_lo, v140, v141
	v_dual_cndmask_b32 v130, v130, v132 :: v_dual_add_nc_u32 v129, 8, v129
	v_cndmask_b32_e32 v131, v131, v133, vcc_lo
	v_cndmask_b32_e64 v128, v128, s0, vcc_lo
	s_add_co_i32 s0, s0, 1
	s_delay_alu instid0(SALU_CYCLE_1)
	s_cmp_lg_u32 s18, s0
	s_cbranch_scc1 .LBB120_295
.LBB120_296:
	s_wait_dscnt 0x0
	v_cmp_eq_f32_e32 vcc_lo, 0, v130
	v_cmp_eq_f32_e64 s0, 0, v131
	s_and_b32 s0, vcc_lo, s0
	s_delay_alu instid0(SALU_CYCLE_1) | instskip(NEXT) | instid1(SALU_CYCLE_1)
	s_and_saveexec_b32 s1, s0
	s_xor_b32 s0, exec_lo, s1
; %bb.297:
	v_cmp_ne_u32_e32 vcc_lo, 0, v134
	v_cndmask_b32_e32 v134, 15, v134, vcc_lo
; %bb.298:
	s_and_not1_saveexec_b32 s0, s0
	s_cbranch_execz .LBB120_304
; %bb.299:
	v_cmp_ngt_f32_e64 s1, |v130|, |v131|
	s_and_saveexec_b32 s12, s1
	s_delay_alu instid0(SALU_CYCLE_1)
	s_xor_b32 s1, exec_lo, s12
	s_cbranch_execz .LBB120_301
; %bb.300:
	v_div_scale_f32 v129, null, v131, v131, v130
	v_div_scale_f32 v139, vcc_lo, v130, v131, v130
	s_delay_alu instid0(VALU_DEP_2) | instskip(SKIP_1) | instid1(TRANS32_DEP_1)
	v_rcp_f32_e32 v132, v129
	v_nop
	v_fma_f32 v133, -v129, v132, 1.0
	s_delay_alu instid0(VALU_DEP_1) | instskip(NEXT) | instid1(VALU_DEP_1)
	v_fmac_f32_e32 v132, v133, v132
	v_mul_f32_e32 v133, v139, v132
	s_delay_alu instid0(VALU_DEP_1) | instskip(NEXT) | instid1(VALU_DEP_1)
	v_fma_f32 v140, -v129, v133, v139
	v_fmac_f32_e32 v133, v140, v132
	s_delay_alu instid0(VALU_DEP_1) | instskip(NEXT) | instid1(VALU_DEP_1)
	v_fma_f32 v129, -v129, v133, v139
	v_div_fmas_f32 v129, v129, v132, v133
	s_delay_alu instid0(VALU_DEP_1) | instskip(NEXT) | instid1(VALU_DEP_1)
	v_div_fixup_f32 v129, v129, v131, v130
	v_fmac_f32_e32 v131, v130, v129
	s_delay_alu instid0(VALU_DEP_1) | instskip(SKIP_1) | instid1(VALU_DEP_2)
	v_div_scale_f32 v130, null, v131, v131, 1.0
	v_div_scale_f32 v139, vcc_lo, 1.0, v131, 1.0
	v_rcp_f32_e32 v132, v130
	v_nop
	s_delay_alu instid0(TRANS32_DEP_1) | instskip(NEXT) | instid1(VALU_DEP_1)
	v_fma_f32 v133, -v130, v132, 1.0
	v_fmac_f32_e32 v132, v133, v132
	s_delay_alu instid0(VALU_DEP_1) | instskip(NEXT) | instid1(VALU_DEP_1)
	v_mul_f32_e32 v133, v139, v132
	v_fma_f32 v140, -v130, v133, v139
	s_delay_alu instid0(VALU_DEP_1) | instskip(NEXT) | instid1(VALU_DEP_1)
	v_fmac_f32_e32 v133, v140, v132
	v_fma_f32 v130, -v130, v133, v139
	s_delay_alu instid0(VALU_DEP_1) | instskip(NEXT) | instid1(VALU_DEP_1)
	v_div_fmas_f32 v130, v130, v132, v133
	v_div_fixup_f32 v131, v130, v131, 1.0
	s_delay_alu instid0(VALU_DEP_1)
	v_mul_f32_e32 v130, v129, v131
	v_xor_b32_e32 v131, 0x80000000, v131
.LBB120_301:
	s_and_not1_saveexec_b32 s1, s1
	s_cbranch_execz .LBB120_303
; %bb.302:
	s_delay_alu instid0(VALU_DEP_1) | instskip(SKIP_1) | instid1(VALU_DEP_2)
	v_div_scale_f32 v129, null, v130, v130, v131
	v_div_scale_f32 v139, vcc_lo, v131, v130, v131
	v_rcp_f32_e32 v132, v129
	v_nop
	s_delay_alu instid0(TRANS32_DEP_1) | instskip(NEXT) | instid1(VALU_DEP_1)
	v_fma_f32 v133, -v129, v132, 1.0
	v_fmac_f32_e32 v132, v133, v132
	s_delay_alu instid0(VALU_DEP_1) | instskip(NEXT) | instid1(VALU_DEP_1)
	v_mul_f32_e32 v133, v139, v132
	v_fma_f32 v140, -v129, v133, v139
	s_delay_alu instid0(VALU_DEP_1) | instskip(NEXT) | instid1(VALU_DEP_1)
	v_fmac_f32_e32 v133, v140, v132
	v_fma_f32 v129, -v129, v133, v139
	s_delay_alu instid0(VALU_DEP_1) | instskip(NEXT) | instid1(VALU_DEP_1)
	v_div_fmas_f32 v129, v129, v132, v133
	v_div_fixup_f32 v129, v129, v130, v131
	s_delay_alu instid0(VALU_DEP_1) | instskip(NEXT) | instid1(VALU_DEP_1)
	v_fmac_f32_e32 v130, v131, v129
	v_div_scale_f32 v131, null, v130, v130, 1.0
	s_delay_alu instid0(VALU_DEP_1) | instskip(SKIP_1) | instid1(TRANS32_DEP_1)
	v_rcp_f32_e32 v132, v131
	v_nop
	v_fma_f32 v133, -v131, v132, 1.0
	s_delay_alu instid0(VALU_DEP_1) | instskip(SKIP_1) | instid1(VALU_DEP_1)
	v_fmac_f32_e32 v132, v133, v132
	v_div_scale_f32 v133, vcc_lo, 1.0, v130, 1.0
	v_mul_f32_e32 v139, v133, v132
	s_delay_alu instid0(VALU_DEP_1) | instskip(NEXT) | instid1(VALU_DEP_1)
	v_fma_f32 v140, -v131, v139, v133
	v_fmac_f32_e32 v139, v140, v132
	s_delay_alu instid0(VALU_DEP_1) | instskip(NEXT) | instid1(VALU_DEP_1)
	v_fma_f32 v131, -v131, v139, v133
	v_div_fmas_f32 v131, v131, v132, v139
	s_delay_alu instid0(VALU_DEP_1) | instskip(NEXT) | instid1(VALU_DEP_1)
	v_div_fixup_f32 v130, v131, v130, 1.0
	v_mul_f32_e64 v131, v129, -v130
.LBB120_303:
	s_or_b32 exec_lo, exec_lo, s1
.LBB120_304:
	s_delay_alu instid0(SALU_CYCLE_1) | instskip(NEXT) | instid1(SALU_CYCLE_1)
	s_or_b32 exec_lo, exec_lo, s0
	s_mov_b32 s0, exec_lo
	v_cmpx_ne_u32_e64 v138, v128
	s_xor_b32 s0, exec_lo, s0
	s_cbranch_execz .LBB120_310
; %bb.305:
	s_mov_b32 s1, exec_lo
	v_cmpx_eq_u32_e32 14, v138
	s_cbranch_execz .LBB120_309
; %bb.306:
	v_cmp_ne_u32_e32 vcc_lo, 14, v128
	s_xor_b32 s12, s16, -1
	s_delay_alu instid0(SALU_CYCLE_1) | instskip(NEXT) | instid1(SALU_CYCLE_1)
	s_and_b32 s13, s12, vcc_lo
	s_and_saveexec_b32 s12, s13
	s_cbranch_execz .LBB120_308
; %bb.307:
	v_ashrrev_i32_e32 v129, 31, v128
	s_delay_alu instid0(VALU_DEP_1)
	v_lshl_add_u64 v[132:133], v[128:129], 2, v[4:5]
	s_clause 0x1
	global_load_b32 v129, v[132:133], off
	global_load_b32 v137, v[4:5], off offset:56
	s_wait_loadcnt 0x1
	global_store_b32 v[4:5], v129, off offset:56
	s_wait_loadcnt 0x0
	global_store_b32 v[132:133], v137, off
.LBB120_308:
	s_wait_xcnt 0x0
	s_or_b32 exec_lo, exec_lo, s12
	v_dual_mov_b32 v138, v128 :: v_dual_mov_b32 v137, v128
.LBB120_309:
	s_or_b32 exec_lo, exec_lo, s1
.LBB120_310:
	s_and_not1_saveexec_b32 s0, s0
	s_cbranch_execz .LBB120_312
; %bb.311:
	v_mov_b32_e32 v138, 14
	ds_store_2addr_b64 v135, v[94:95], v[92:93] offset0:15 offset1:16
	ds_store_2addr_b64 v135, v[88:89], v[90:91] offset0:17 offset1:18
	ds_store_2addr_b64 v135, v[86:87], v[84:85] offset0:19 offset1:20
	ds_store_2addr_b64 v135, v[80:81], v[82:83] offset0:21 offset1:22
	ds_store_2addr_b64 v135, v[78:79], v[76:77] offset0:23 offset1:24
	ds_store_2addr_b64 v135, v[72:73], v[74:75] offset0:25 offset1:26
	ds_store_2addr_b64 v135, v[70:71], v[68:69] offset0:27 offset1:28
	ds_store_2addr_b64 v135, v[64:65], v[66:67] offset0:29 offset1:30
	ds_store_2addr_b64 v135, v[62:63], v[60:61] offset0:31 offset1:32
	ds_store_2addr_b64 v135, v[56:57], v[58:59] offset0:33 offset1:34
	ds_store_2addr_b64 v135, v[54:55], v[52:53] offset0:35 offset1:36
	ds_store_2addr_b64 v135, v[48:49], v[50:51] offset0:37 offset1:38
	ds_store_2addr_b64 v135, v[46:47], v[42:43] offset0:39 offset1:40
	ds_store_2addr_b64 v135, v[38:39], v[40:41] offset0:41 offset1:42
	ds_store_2addr_b64 v135, v[36:37], v[34:35] offset0:43 offset1:44
	ds_store_2addr_b64 v135, v[30:31], v[32:33] offset0:45 offset1:46
	ds_store_2addr_b64 v135, v[28:29], v[26:27] offset0:47 offset1:48
	ds_store_2addr_b64 v135, v[22:23], v[24:25] offset0:49 offset1:50
	ds_store_2addr_b64 v135, v[44:45], v[16:17] offset0:51 offset1:52
	ds_store_2addr_b64 v135, v[12:13], v[14:15] offset0:53 offset1:54
	ds_store_2addr_b64 v135, v[10:11], v[6:7] offset0:55 offset1:56
	ds_store_2addr_b64 v135, v[20:21], v[18:19] offset0:57 offset1:58
	ds_store_2addr_b64 v135, v[8:9], v[126:127] offset0:59 offset1:60
.LBB120_312:
	s_or_b32 exec_lo, exec_lo, s0
	s_delay_alu instid0(SALU_CYCLE_1)
	s_mov_b32 s0, exec_lo
	s_wait_storecnt_dscnt 0x0
	s_barrier_signal -1
	s_barrier_wait -1
	v_cmpx_lt_i32_e32 14, v138
	s_cbranch_execz .LBB120_314
; %bb.313:
	ds_load_2addr_b64 v[140:143], v135 offset0:15 offset1:16
	v_pk_mul_f32 v[132:133], v[130:131], v[98:99] op_sel:[1,1] op_sel_hi:[0,1]
	s_delay_alu instid0(VALU_DEP_1) | instskip(SKIP_1) | instid1(VALU_DEP_1)
	v_pk_fma_f32 v[128:129], v[130:131], v[98:99], v[132:133] op_sel_hi:[1,0,1] neg_lo:[0,0,1] neg_hi:[0,0,1]
	v_pk_fma_f32 v[130:131], v[130:131], v[98:99], v[132:133] op_sel_hi:[1,0,1]
	v_dual_mov_b32 v98, v128 :: v_dual_mov_b32 v99, v131
	s_wait_dscnt 0x0
	s_delay_alu instid0(VALU_DEP_2) | instskip(NEXT) | instid1(VALU_DEP_1)
	v_pk_mul_f32 v[132:133], v[140:141], v[130:131] op_sel:[0,1]
	v_pk_fma_f32 v[144:145], v[140:141], v[128:129], v[132:133] op_sel:[0,0,1] op_sel_hi:[1,1,0] neg_lo:[0,0,1] neg_hi:[0,0,1]
	v_pk_fma_f32 v[132:133], v[140:141], v[128:129], v[132:133] op_sel:[0,0,1] op_sel_hi:[1,0,0]
	s_delay_alu instid0(VALU_DEP_1) | instskip(SKIP_1) | instid1(VALU_DEP_1)
	v_mov_b32_e32 v145, v133
	v_pk_mul_f32 v[132:133], v[142:143], v[130:131] op_sel:[0,1]
	v_pk_fma_f32 v[140:141], v[142:143], v[128:129], v[132:133] op_sel:[0,0,1] op_sel_hi:[1,1,0] neg_lo:[0,0,1] neg_hi:[0,0,1]
	v_pk_fma_f32 v[132:133], v[142:143], v[128:129], v[132:133] op_sel:[0,0,1] op_sel_hi:[1,0,0]
	s_delay_alu instid0(VALU_DEP_1) | instskip(SKIP_1) | instid1(VALU_DEP_2)
	v_mov_b32_e32 v141, v133
	v_pk_add_f32 v[94:95], v[94:95], v[144:145] neg_lo:[0,1] neg_hi:[0,1]
	v_pk_add_f32 v[92:93], v[92:93], v[140:141] neg_lo:[0,1] neg_hi:[0,1]
	ds_load_2addr_b64 v[140:143], v135 offset0:17 offset1:18
	s_wait_dscnt 0x0
	v_pk_mul_f32 v[132:133], v[140:141], v[130:131] op_sel:[0,1]
	s_delay_alu instid0(VALU_DEP_1) | instskip(SKIP_2) | instid1(VALU_DEP_2)
	v_pk_fma_f32 v[144:145], v[140:141], v[128:129], v[132:133] op_sel:[0,0,1] op_sel_hi:[1,1,0] neg_lo:[0,0,1] neg_hi:[0,0,1]
	v_pk_fma_f32 v[132:133], v[140:141], v[128:129], v[132:133] op_sel:[0,0,1] op_sel_hi:[1,0,0]
	v_dual_mul_f32 v140, v143, v131 :: v_dual_mov_b32 v132, v143
	v_dual_mov_b32 v145, v133 :: v_dual_mov_b32 v133, v142
	s_delay_alu instid0(VALU_DEP_2) | instskip(SKIP_1) | instid1(VALU_DEP_3)
	v_pk_fma_f32 v[140:141], v[142:143], v[98:99], v[140:141] op_sel_hi:[1,1,0] neg_lo:[0,0,1] neg_hi:[0,0,1]
	v_mul_f32_e32 v142, v143, v128
	v_pk_add_f32 v[88:89], v[88:89], v[144:145] neg_lo:[0,1] neg_hi:[0,1]
	s_delay_alu instid0(VALU_DEP_2) | instskip(NEXT) | instid1(VALU_DEP_1)
	v_pk_fma_f32 v[132:133], v[132:133], v[98:99], v[142:143] op_sel_hi:[1,1,0]
	v_mov_b32_e32 v141, v133
	s_delay_alu instid0(VALU_DEP_1) | instskip(SKIP_3) | instid1(VALU_DEP_1)
	v_pk_add_f32 v[90:91], v[90:91], v[140:141] neg_lo:[0,1] neg_hi:[0,1]
	ds_load_2addr_b64 v[140:143], v135 offset0:19 offset1:20
	s_wait_dscnt 0x0
	v_pk_mul_f32 v[132:133], v[140:141], v[130:131] op_sel:[0,1]
	v_pk_fma_f32 v[144:145], v[140:141], v[128:129], v[132:133] op_sel:[0,0,1] op_sel_hi:[1,1,0] neg_lo:[0,0,1] neg_hi:[0,0,1]
	v_pk_fma_f32 v[132:133], v[140:141], v[128:129], v[132:133] op_sel:[0,0,1] op_sel_hi:[1,0,0]
	s_delay_alu instid0(VALU_DEP_1) | instskip(SKIP_1) | instid1(VALU_DEP_1)
	v_mov_b32_e32 v145, v133
	v_pk_mul_f32 v[132:133], v[142:143], v[130:131] op_sel:[0,1]
	v_pk_fma_f32 v[140:141], v[142:143], v[128:129], v[132:133] op_sel:[0,0,1] op_sel_hi:[1,1,0] neg_lo:[0,0,1] neg_hi:[0,0,1]
	v_pk_fma_f32 v[132:133], v[142:143], v[128:129], v[132:133] op_sel:[0,0,1] op_sel_hi:[1,0,0]
	s_delay_alu instid0(VALU_DEP_1) | instskip(SKIP_1) | instid1(VALU_DEP_2)
	v_mov_b32_e32 v141, v133
	v_pk_add_f32 v[86:87], v[86:87], v[144:145] neg_lo:[0,1] neg_hi:[0,1]
	v_pk_add_f32 v[84:85], v[84:85], v[140:141] neg_lo:[0,1] neg_hi:[0,1]
	ds_load_2addr_b64 v[140:143], v135 offset0:21 offset1:22
	s_wait_dscnt 0x0
	v_pk_mul_f32 v[132:133], v[140:141], v[130:131] op_sel:[0,1]
	s_delay_alu instid0(VALU_DEP_1) | instskip(SKIP_1) | instid1(VALU_DEP_1)
	v_pk_fma_f32 v[144:145], v[140:141], v[128:129], v[132:133] op_sel:[0,0,1] op_sel_hi:[1,1,0] neg_lo:[0,0,1] neg_hi:[0,0,1]
	v_pk_fma_f32 v[132:133], v[140:141], v[128:129], v[132:133] op_sel:[0,0,1] op_sel_hi:[1,0,0]
	v_mov_b32_e32 v145, v133
	v_pk_mul_f32 v[132:133], v[142:143], v[130:131] op_sel:[0,1]
	s_delay_alu instid0(VALU_DEP_1) | instskip(SKIP_1) | instid1(VALU_DEP_1)
	v_pk_fma_f32 v[140:141], v[142:143], v[128:129], v[132:133] op_sel:[0,0,1] op_sel_hi:[1,1,0] neg_lo:[0,0,1] neg_hi:[0,0,1]
	v_pk_fma_f32 v[132:133], v[142:143], v[128:129], v[132:133] op_sel:[0,0,1] op_sel_hi:[1,0,0]
	v_mov_b32_e32 v141, v133
	v_pk_add_f32 v[80:81], v[80:81], v[144:145] neg_lo:[0,1] neg_hi:[0,1]
	s_delay_alu instid0(VALU_DEP_2) | instskip(SKIP_3) | instid1(VALU_DEP_1)
	v_pk_add_f32 v[82:83], v[82:83], v[140:141] neg_lo:[0,1] neg_hi:[0,1]
	ds_load_2addr_b64 v[140:143], v135 offset0:23 offset1:24
	s_wait_dscnt 0x0
	v_dual_mul_f32 v132, v141, v131 :: v_dual_mul_f32 v144, v141, v128
	v_pk_fma_f32 v[132:133], v[140:141], v[98:99], v[132:133] op_sel_hi:[1,1,0] neg_lo:[0,0,1] neg_hi:[0,0,1]
	s_delay_alu instid0(VALU_DEP_2) | instskip(NEXT) | instid1(VALU_DEP_1)
	v_pk_fma_f32 v[140:141], v[140:141], v[98:99], v[144:145] op_sel:[1,0,0] op_sel_hi:[0,1,0]
	v_mov_b32_e32 v133, v141
	s_delay_alu instid0(VALU_DEP_1) | instskip(SKIP_1) | instid1(VALU_DEP_1)
	v_pk_add_f32 v[78:79], v[78:79], v[132:133] neg_lo:[0,1] neg_hi:[0,1]
	v_pk_mul_f32 v[132:133], v[142:143], v[130:131] op_sel:[0,1]
	v_pk_fma_f32 v[140:141], v[142:143], v[128:129], v[132:133] op_sel:[0,0,1] op_sel_hi:[1,1,0] neg_lo:[0,0,1] neg_hi:[0,0,1]
	v_pk_fma_f32 v[132:133], v[142:143], v[128:129], v[132:133] op_sel:[0,0,1] op_sel_hi:[1,0,0]
	s_delay_alu instid0(VALU_DEP_1) | instskip(NEXT) | instid1(VALU_DEP_1)
	v_mov_b32_e32 v141, v133
	v_pk_add_f32 v[76:77], v[76:77], v[140:141] neg_lo:[0,1] neg_hi:[0,1]
	ds_load_2addr_b64 v[140:143], v135 offset0:25 offset1:26
	s_wait_dscnt 0x0
	v_pk_mul_f32 v[132:133], v[140:141], v[130:131] op_sel:[0,1]
	s_delay_alu instid0(VALU_DEP_1) | instskip(SKIP_1) | instid1(VALU_DEP_1)
	v_pk_fma_f32 v[144:145], v[140:141], v[128:129], v[132:133] op_sel:[0,0,1] op_sel_hi:[1,1,0] neg_lo:[0,0,1] neg_hi:[0,0,1]
	v_pk_fma_f32 v[132:133], v[140:141], v[128:129], v[132:133] op_sel:[0,0,1] op_sel_hi:[1,0,0]
	v_mov_b32_e32 v145, v133
	v_pk_mul_f32 v[132:133], v[142:143], v[130:131] op_sel:[0,1]
	s_delay_alu instid0(VALU_DEP_2) | instskip(NEXT) | instid1(VALU_DEP_2)
	v_pk_add_f32 v[72:73], v[72:73], v[144:145] neg_lo:[0,1] neg_hi:[0,1]
	v_pk_fma_f32 v[140:141], v[142:143], v[128:129], v[132:133] op_sel:[0,0,1] op_sel_hi:[1,1,0] neg_lo:[0,0,1] neg_hi:[0,0,1]
	v_pk_fma_f32 v[132:133], v[142:143], v[128:129], v[132:133] op_sel:[0,0,1] op_sel_hi:[1,0,0]
	s_delay_alu instid0(VALU_DEP_1) | instskip(NEXT) | instid1(VALU_DEP_1)
	v_mov_b32_e32 v141, v133
	v_pk_add_f32 v[74:75], v[74:75], v[140:141] neg_lo:[0,1] neg_hi:[0,1]
	ds_load_2addr_b64 v[140:143], v135 offset0:27 offset1:28
	s_wait_dscnt 0x0
	v_pk_mul_f32 v[132:133], v[140:141], v[130:131] op_sel:[0,1]
	s_delay_alu instid0(VALU_DEP_1) | instskip(SKIP_2) | instid1(VALU_DEP_2)
	v_pk_fma_f32 v[144:145], v[140:141], v[128:129], v[132:133] op_sel:[0,0,1] op_sel_hi:[1,1,0] neg_lo:[0,0,1] neg_hi:[0,0,1]
	v_pk_fma_f32 v[132:133], v[140:141], v[128:129], v[132:133] op_sel:[0,0,1] op_sel_hi:[1,0,0]
	v_dual_mul_f32 v140, v143, v131 :: v_dual_mov_b32 v132, v143
	v_dual_mov_b32 v145, v133 :: v_dual_mov_b32 v133, v142
	s_delay_alu instid0(VALU_DEP_2) | instskip(SKIP_1) | instid1(VALU_DEP_3)
	v_pk_fma_f32 v[140:141], v[142:143], v[98:99], v[140:141] op_sel_hi:[1,1,0] neg_lo:[0,0,1] neg_hi:[0,0,1]
	v_mul_f32_e32 v142, v143, v128
	v_pk_add_f32 v[70:71], v[70:71], v[144:145] neg_lo:[0,1] neg_hi:[0,1]
	s_delay_alu instid0(VALU_DEP_2) | instskip(NEXT) | instid1(VALU_DEP_1)
	v_pk_fma_f32 v[132:133], v[132:133], v[98:99], v[142:143] op_sel_hi:[1,1,0]
	v_mov_b32_e32 v141, v133
	s_delay_alu instid0(VALU_DEP_1) | instskip(SKIP_3) | instid1(VALU_DEP_1)
	v_pk_add_f32 v[68:69], v[68:69], v[140:141] neg_lo:[0,1] neg_hi:[0,1]
	ds_load_2addr_b64 v[140:143], v135 offset0:29 offset1:30
	s_wait_dscnt 0x0
	v_pk_mul_f32 v[132:133], v[140:141], v[130:131] op_sel:[0,1]
	v_pk_fma_f32 v[144:145], v[140:141], v[128:129], v[132:133] op_sel:[0,0,1] op_sel_hi:[1,1,0] neg_lo:[0,0,1] neg_hi:[0,0,1]
	v_pk_fma_f32 v[132:133], v[140:141], v[128:129], v[132:133] op_sel:[0,0,1] op_sel_hi:[1,0,0]
	s_delay_alu instid0(VALU_DEP_1) | instskip(SKIP_1) | instid1(VALU_DEP_1)
	v_mov_b32_e32 v145, v133
	v_pk_mul_f32 v[132:133], v[142:143], v[130:131] op_sel:[0,1]
	v_pk_fma_f32 v[140:141], v[142:143], v[128:129], v[132:133] op_sel:[0,0,1] op_sel_hi:[1,1,0] neg_lo:[0,0,1] neg_hi:[0,0,1]
	v_pk_fma_f32 v[132:133], v[142:143], v[128:129], v[132:133] op_sel:[0,0,1] op_sel_hi:[1,0,0]
	s_delay_alu instid0(VALU_DEP_1) | instskip(SKIP_1) | instid1(VALU_DEP_2)
	v_mov_b32_e32 v141, v133
	v_pk_add_f32 v[64:65], v[64:65], v[144:145] neg_lo:[0,1] neg_hi:[0,1]
	v_pk_add_f32 v[66:67], v[66:67], v[140:141] neg_lo:[0,1] neg_hi:[0,1]
	ds_load_2addr_b64 v[140:143], v135 offset0:31 offset1:32
	s_wait_dscnt 0x0
	v_pk_mul_f32 v[132:133], v[140:141], v[130:131] op_sel:[0,1]
	s_delay_alu instid0(VALU_DEP_1) | instskip(SKIP_1) | instid1(VALU_DEP_1)
	v_pk_fma_f32 v[144:145], v[140:141], v[128:129], v[132:133] op_sel:[0,0,1] op_sel_hi:[1,1,0] neg_lo:[0,0,1] neg_hi:[0,0,1]
	v_pk_fma_f32 v[132:133], v[140:141], v[128:129], v[132:133] op_sel:[0,0,1] op_sel_hi:[1,0,0]
	v_mov_b32_e32 v145, v133
	v_pk_mul_f32 v[132:133], v[142:143], v[130:131] op_sel:[0,1]
	s_delay_alu instid0(VALU_DEP_1) | instskip(SKIP_1) | instid1(VALU_DEP_1)
	v_pk_fma_f32 v[140:141], v[142:143], v[128:129], v[132:133] op_sel:[0,0,1] op_sel_hi:[1,1,0] neg_lo:[0,0,1] neg_hi:[0,0,1]
	v_pk_fma_f32 v[132:133], v[142:143], v[128:129], v[132:133] op_sel:[0,0,1] op_sel_hi:[1,0,0]
	v_mov_b32_e32 v141, v133
	v_pk_add_f32 v[62:63], v[62:63], v[144:145] neg_lo:[0,1] neg_hi:[0,1]
	s_delay_alu instid0(VALU_DEP_2) | instskip(SKIP_3) | instid1(VALU_DEP_1)
	v_pk_add_f32 v[60:61], v[60:61], v[140:141] neg_lo:[0,1] neg_hi:[0,1]
	ds_load_2addr_b64 v[140:143], v135 offset0:33 offset1:34
	s_wait_dscnt 0x0
	v_dual_mul_f32 v132, v141, v131 :: v_dual_mul_f32 v144, v141, v128
	v_pk_fma_f32 v[132:133], v[140:141], v[98:99], v[132:133] op_sel_hi:[1,1,0] neg_lo:[0,0,1] neg_hi:[0,0,1]
	s_delay_alu instid0(VALU_DEP_2) | instskip(NEXT) | instid1(VALU_DEP_1)
	v_pk_fma_f32 v[140:141], v[140:141], v[98:99], v[144:145] op_sel:[1,0,0] op_sel_hi:[0,1,0]
	v_mov_b32_e32 v133, v141
	s_delay_alu instid0(VALU_DEP_1) | instskip(SKIP_1) | instid1(VALU_DEP_1)
	v_pk_add_f32 v[56:57], v[56:57], v[132:133] neg_lo:[0,1] neg_hi:[0,1]
	v_pk_mul_f32 v[132:133], v[142:143], v[130:131] op_sel:[0,1]
	v_pk_fma_f32 v[140:141], v[142:143], v[128:129], v[132:133] op_sel:[0,0,1] op_sel_hi:[1,1,0] neg_lo:[0,0,1] neg_hi:[0,0,1]
	v_pk_fma_f32 v[132:133], v[142:143], v[128:129], v[132:133] op_sel:[0,0,1] op_sel_hi:[1,0,0]
	s_delay_alu instid0(VALU_DEP_1) | instskip(NEXT) | instid1(VALU_DEP_1)
	v_mov_b32_e32 v141, v133
	v_pk_add_f32 v[58:59], v[58:59], v[140:141] neg_lo:[0,1] neg_hi:[0,1]
	ds_load_2addr_b64 v[140:143], v135 offset0:35 offset1:36
	s_wait_dscnt 0x0
	v_pk_mul_f32 v[132:133], v[140:141], v[130:131] op_sel:[0,1]
	s_delay_alu instid0(VALU_DEP_1) | instskip(SKIP_1) | instid1(VALU_DEP_1)
	v_pk_fma_f32 v[144:145], v[140:141], v[128:129], v[132:133] op_sel:[0,0,1] op_sel_hi:[1,1,0] neg_lo:[0,0,1] neg_hi:[0,0,1]
	v_pk_fma_f32 v[132:133], v[140:141], v[128:129], v[132:133] op_sel:[0,0,1] op_sel_hi:[1,0,0]
	v_mov_b32_e32 v145, v133
	v_pk_mul_f32 v[132:133], v[142:143], v[130:131] op_sel:[0,1]
	s_delay_alu instid0(VALU_DEP_2) | instskip(NEXT) | instid1(VALU_DEP_2)
	v_pk_add_f32 v[54:55], v[54:55], v[144:145] neg_lo:[0,1] neg_hi:[0,1]
	v_pk_fma_f32 v[140:141], v[142:143], v[128:129], v[132:133] op_sel:[0,0,1] op_sel_hi:[1,1,0] neg_lo:[0,0,1] neg_hi:[0,0,1]
	v_pk_fma_f32 v[132:133], v[142:143], v[128:129], v[132:133] op_sel:[0,0,1] op_sel_hi:[1,0,0]
	s_delay_alu instid0(VALU_DEP_1) | instskip(NEXT) | instid1(VALU_DEP_1)
	v_mov_b32_e32 v141, v133
	v_pk_add_f32 v[52:53], v[52:53], v[140:141] neg_lo:[0,1] neg_hi:[0,1]
	ds_load_2addr_b64 v[140:143], v135 offset0:37 offset1:38
	s_wait_dscnt 0x0
	v_pk_mul_f32 v[132:133], v[140:141], v[130:131] op_sel:[0,1]
	s_delay_alu instid0(VALU_DEP_1) | instskip(SKIP_2) | instid1(VALU_DEP_2)
	v_pk_fma_f32 v[144:145], v[140:141], v[128:129], v[132:133] op_sel:[0,0,1] op_sel_hi:[1,1,0] neg_lo:[0,0,1] neg_hi:[0,0,1]
	v_pk_fma_f32 v[132:133], v[140:141], v[128:129], v[132:133] op_sel:[0,0,1] op_sel_hi:[1,0,0]
	v_dual_mul_f32 v140, v143, v131 :: v_dual_mov_b32 v132, v143
	v_dual_mov_b32 v145, v133 :: v_dual_mov_b32 v133, v142
	s_delay_alu instid0(VALU_DEP_2) | instskip(SKIP_1) | instid1(VALU_DEP_3)
	v_pk_fma_f32 v[140:141], v[142:143], v[98:99], v[140:141] op_sel_hi:[1,1,0] neg_lo:[0,0,1] neg_hi:[0,0,1]
	v_mul_f32_e32 v142, v143, v128
	v_pk_add_f32 v[48:49], v[48:49], v[144:145] neg_lo:[0,1] neg_hi:[0,1]
	s_delay_alu instid0(VALU_DEP_2) | instskip(NEXT) | instid1(VALU_DEP_1)
	v_pk_fma_f32 v[132:133], v[132:133], v[98:99], v[142:143] op_sel_hi:[1,1,0]
	v_mov_b32_e32 v141, v133
	s_delay_alu instid0(VALU_DEP_1) | instskip(SKIP_3) | instid1(VALU_DEP_1)
	v_pk_add_f32 v[50:51], v[50:51], v[140:141] neg_lo:[0,1] neg_hi:[0,1]
	ds_load_2addr_b64 v[140:143], v135 offset0:39 offset1:40
	s_wait_dscnt 0x0
	v_pk_mul_f32 v[132:133], v[140:141], v[130:131] op_sel:[0,1]
	v_pk_fma_f32 v[144:145], v[140:141], v[128:129], v[132:133] op_sel:[0,0,1] op_sel_hi:[1,1,0] neg_lo:[0,0,1] neg_hi:[0,0,1]
	v_pk_fma_f32 v[132:133], v[140:141], v[128:129], v[132:133] op_sel:[0,0,1] op_sel_hi:[1,0,0]
	s_delay_alu instid0(VALU_DEP_1) | instskip(SKIP_1) | instid1(VALU_DEP_1)
	v_mov_b32_e32 v145, v133
	v_pk_mul_f32 v[132:133], v[142:143], v[130:131] op_sel:[0,1]
	v_pk_fma_f32 v[140:141], v[142:143], v[128:129], v[132:133] op_sel:[0,0,1] op_sel_hi:[1,1,0] neg_lo:[0,0,1] neg_hi:[0,0,1]
	v_pk_fma_f32 v[132:133], v[142:143], v[128:129], v[132:133] op_sel:[0,0,1] op_sel_hi:[1,0,0]
	s_delay_alu instid0(VALU_DEP_1) | instskip(SKIP_1) | instid1(VALU_DEP_2)
	v_mov_b32_e32 v141, v133
	v_pk_add_f32 v[46:47], v[46:47], v[144:145] neg_lo:[0,1] neg_hi:[0,1]
	v_pk_add_f32 v[42:43], v[42:43], v[140:141] neg_lo:[0,1] neg_hi:[0,1]
	ds_load_2addr_b64 v[140:143], v135 offset0:41 offset1:42
	s_wait_dscnt 0x0
	v_pk_mul_f32 v[132:133], v[140:141], v[130:131] op_sel:[0,1]
	s_delay_alu instid0(VALU_DEP_1) | instskip(SKIP_1) | instid1(VALU_DEP_1)
	v_pk_fma_f32 v[144:145], v[140:141], v[128:129], v[132:133] op_sel:[0,0,1] op_sel_hi:[1,1,0] neg_lo:[0,0,1] neg_hi:[0,0,1]
	v_pk_fma_f32 v[132:133], v[140:141], v[128:129], v[132:133] op_sel:[0,0,1] op_sel_hi:[1,0,0]
	v_mov_b32_e32 v145, v133
	v_pk_mul_f32 v[132:133], v[142:143], v[130:131] op_sel:[0,1]
	s_delay_alu instid0(VALU_DEP_1) | instskip(SKIP_1) | instid1(VALU_DEP_1)
	v_pk_fma_f32 v[140:141], v[142:143], v[128:129], v[132:133] op_sel:[0,0,1] op_sel_hi:[1,1,0] neg_lo:[0,0,1] neg_hi:[0,0,1]
	v_pk_fma_f32 v[132:133], v[142:143], v[128:129], v[132:133] op_sel:[0,0,1] op_sel_hi:[1,0,0]
	v_mov_b32_e32 v141, v133
	v_pk_add_f32 v[38:39], v[38:39], v[144:145] neg_lo:[0,1] neg_hi:[0,1]
	s_delay_alu instid0(VALU_DEP_2) | instskip(SKIP_3) | instid1(VALU_DEP_1)
	v_pk_add_f32 v[40:41], v[40:41], v[140:141] neg_lo:[0,1] neg_hi:[0,1]
	ds_load_2addr_b64 v[140:143], v135 offset0:43 offset1:44
	s_wait_dscnt 0x0
	v_dual_mul_f32 v132, v141, v131 :: v_dual_mul_f32 v144, v141, v128
	v_pk_fma_f32 v[132:133], v[140:141], v[98:99], v[132:133] op_sel_hi:[1,1,0] neg_lo:[0,0,1] neg_hi:[0,0,1]
	s_delay_alu instid0(VALU_DEP_2) | instskip(NEXT) | instid1(VALU_DEP_1)
	v_pk_fma_f32 v[140:141], v[140:141], v[98:99], v[144:145] op_sel:[1,0,0] op_sel_hi:[0,1,0]
	v_mov_b32_e32 v133, v141
	s_delay_alu instid0(VALU_DEP_1) | instskip(SKIP_1) | instid1(VALU_DEP_1)
	v_pk_add_f32 v[36:37], v[36:37], v[132:133] neg_lo:[0,1] neg_hi:[0,1]
	v_pk_mul_f32 v[132:133], v[142:143], v[130:131] op_sel:[0,1]
	v_pk_fma_f32 v[140:141], v[142:143], v[128:129], v[132:133] op_sel:[0,0,1] op_sel_hi:[1,1,0] neg_lo:[0,0,1] neg_hi:[0,0,1]
	v_pk_fma_f32 v[132:133], v[142:143], v[128:129], v[132:133] op_sel:[0,0,1] op_sel_hi:[1,0,0]
	s_delay_alu instid0(VALU_DEP_1) | instskip(NEXT) | instid1(VALU_DEP_1)
	v_mov_b32_e32 v141, v133
	v_pk_add_f32 v[34:35], v[34:35], v[140:141] neg_lo:[0,1] neg_hi:[0,1]
	ds_load_2addr_b64 v[140:143], v135 offset0:45 offset1:46
	s_wait_dscnt 0x0
	v_pk_mul_f32 v[132:133], v[140:141], v[130:131] op_sel:[0,1]
	s_delay_alu instid0(VALU_DEP_1) | instskip(SKIP_1) | instid1(VALU_DEP_1)
	v_pk_fma_f32 v[144:145], v[140:141], v[128:129], v[132:133] op_sel:[0,0,1] op_sel_hi:[1,1,0] neg_lo:[0,0,1] neg_hi:[0,0,1]
	v_pk_fma_f32 v[132:133], v[140:141], v[128:129], v[132:133] op_sel:[0,0,1] op_sel_hi:[1,0,0]
	v_mov_b32_e32 v145, v133
	v_pk_mul_f32 v[132:133], v[142:143], v[130:131] op_sel:[0,1]
	s_delay_alu instid0(VALU_DEP_2) | instskip(NEXT) | instid1(VALU_DEP_2)
	v_pk_add_f32 v[30:31], v[30:31], v[144:145] neg_lo:[0,1] neg_hi:[0,1]
	v_pk_fma_f32 v[140:141], v[142:143], v[128:129], v[132:133] op_sel:[0,0,1] op_sel_hi:[1,1,0] neg_lo:[0,0,1] neg_hi:[0,0,1]
	v_pk_fma_f32 v[132:133], v[142:143], v[128:129], v[132:133] op_sel:[0,0,1] op_sel_hi:[1,0,0]
	s_delay_alu instid0(VALU_DEP_1) | instskip(NEXT) | instid1(VALU_DEP_1)
	v_mov_b32_e32 v141, v133
	v_pk_add_f32 v[32:33], v[32:33], v[140:141] neg_lo:[0,1] neg_hi:[0,1]
	ds_load_2addr_b64 v[140:143], v135 offset0:47 offset1:48
	s_wait_dscnt 0x0
	v_pk_mul_f32 v[132:133], v[140:141], v[130:131] op_sel:[0,1]
	s_delay_alu instid0(VALU_DEP_1) | instskip(SKIP_2) | instid1(VALU_DEP_2)
	v_pk_fma_f32 v[144:145], v[140:141], v[128:129], v[132:133] op_sel:[0,0,1] op_sel_hi:[1,1,0] neg_lo:[0,0,1] neg_hi:[0,0,1]
	v_pk_fma_f32 v[132:133], v[140:141], v[128:129], v[132:133] op_sel:[0,0,1] op_sel_hi:[1,0,0]
	v_dual_mul_f32 v140, v143, v131 :: v_dual_mov_b32 v132, v143
	v_dual_mov_b32 v145, v133 :: v_dual_mov_b32 v133, v142
	s_delay_alu instid0(VALU_DEP_2) | instskip(SKIP_1) | instid1(VALU_DEP_3)
	v_pk_fma_f32 v[140:141], v[142:143], v[98:99], v[140:141] op_sel_hi:[1,1,0] neg_lo:[0,0,1] neg_hi:[0,0,1]
	v_mul_f32_e32 v142, v143, v128
	v_pk_add_f32 v[28:29], v[28:29], v[144:145] neg_lo:[0,1] neg_hi:[0,1]
	s_delay_alu instid0(VALU_DEP_2) | instskip(NEXT) | instid1(VALU_DEP_1)
	v_pk_fma_f32 v[132:133], v[132:133], v[98:99], v[142:143] op_sel_hi:[1,1,0]
	v_mov_b32_e32 v141, v133
	s_delay_alu instid0(VALU_DEP_1) | instskip(SKIP_3) | instid1(VALU_DEP_1)
	v_pk_add_f32 v[26:27], v[26:27], v[140:141] neg_lo:[0,1] neg_hi:[0,1]
	ds_load_2addr_b64 v[140:143], v135 offset0:49 offset1:50
	s_wait_dscnt 0x0
	v_pk_mul_f32 v[132:133], v[140:141], v[130:131] op_sel:[0,1]
	v_pk_fma_f32 v[144:145], v[140:141], v[128:129], v[132:133] op_sel:[0,0,1] op_sel_hi:[1,1,0] neg_lo:[0,0,1] neg_hi:[0,0,1]
	v_pk_fma_f32 v[132:133], v[140:141], v[128:129], v[132:133] op_sel:[0,0,1] op_sel_hi:[1,0,0]
	s_delay_alu instid0(VALU_DEP_1) | instskip(SKIP_1) | instid1(VALU_DEP_1)
	v_mov_b32_e32 v145, v133
	v_pk_mul_f32 v[132:133], v[142:143], v[130:131] op_sel:[0,1]
	v_pk_fma_f32 v[140:141], v[142:143], v[128:129], v[132:133] op_sel:[0,0,1] op_sel_hi:[1,1,0] neg_lo:[0,0,1] neg_hi:[0,0,1]
	v_pk_fma_f32 v[132:133], v[142:143], v[128:129], v[132:133] op_sel:[0,0,1] op_sel_hi:[1,0,0]
	s_delay_alu instid0(VALU_DEP_1) | instskip(SKIP_1) | instid1(VALU_DEP_2)
	v_mov_b32_e32 v141, v133
	v_pk_add_f32 v[22:23], v[22:23], v[144:145] neg_lo:[0,1] neg_hi:[0,1]
	v_pk_add_f32 v[24:25], v[24:25], v[140:141] neg_lo:[0,1] neg_hi:[0,1]
	ds_load_2addr_b64 v[140:143], v135 offset0:51 offset1:52
	s_wait_dscnt 0x0
	v_pk_mul_f32 v[132:133], v[140:141], v[130:131] op_sel:[0,1]
	s_delay_alu instid0(VALU_DEP_1) | instskip(SKIP_1) | instid1(VALU_DEP_1)
	v_pk_fma_f32 v[144:145], v[140:141], v[128:129], v[132:133] op_sel:[0,0,1] op_sel_hi:[1,1,0] neg_lo:[0,0,1] neg_hi:[0,0,1]
	v_pk_fma_f32 v[132:133], v[140:141], v[128:129], v[132:133] op_sel:[0,0,1] op_sel_hi:[1,0,0]
	v_mov_b32_e32 v145, v133
	v_pk_mul_f32 v[132:133], v[142:143], v[130:131] op_sel:[0,1]
	s_delay_alu instid0(VALU_DEP_1) | instskip(SKIP_1) | instid1(VALU_DEP_1)
	v_pk_fma_f32 v[140:141], v[142:143], v[128:129], v[132:133] op_sel:[0,0,1] op_sel_hi:[1,1,0] neg_lo:[0,0,1] neg_hi:[0,0,1]
	v_pk_fma_f32 v[132:133], v[142:143], v[128:129], v[132:133] op_sel:[0,0,1] op_sel_hi:[1,0,0]
	v_mov_b32_e32 v141, v133
	v_pk_add_f32 v[44:45], v[44:45], v[144:145] neg_lo:[0,1] neg_hi:[0,1]
	s_delay_alu instid0(VALU_DEP_2) | instskip(SKIP_3) | instid1(VALU_DEP_1)
	v_pk_add_f32 v[16:17], v[16:17], v[140:141] neg_lo:[0,1] neg_hi:[0,1]
	ds_load_2addr_b64 v[140:143], v135 offset0:53 offset1:54
	s_wait_dscnt 0x0
	v_dual_mul_f32 v132, v141, v131 :: v_dual_mul_f32 v144, v141, v128
	v_pk_fma_f32 v[132:133], v[140:141], v[98:99], v[132:133] op_sel_hi:[1,1,0] neg_lo:[0,0,1] neg_hi:[0,0,1]
	s_delay_alu instid0(VALU_DEP_2) | instskip(NEXT) | instid1(VALU_DEP_1)
	v_pk_fma_f32 v[140:141], v[140:141], v[98:99], v[144:145] op_sel:[1,0,0] op_sel_hi:[0,1,0]
	v_mov_b32_e32 v133, v141
	s_delay_alu instid0(VALU_DEP_1) | instskip(SKIP_1) | instid1(VALU_DEP_1)
	v_pk_add_f32 v[12:13], v[12:13], v[132:133] neg_lo:[0,1] neg_hi:[0,1]
	v_pk_mul_f32 v[132:133], v[142:143], v[130:131] op_sel:[0,1]
	v_pk_fma_f32 v[140:141], v[142:143], v[128:129], v[132:133] op_sel:[0,0,1] op_sel_hi:[1,1,0] neg_lo:[0,0,1] neg_hi:[0,0,1]
	v_pk_fma_f32 v[132:133], v[142:143], v[128:129], v[132:133] op_sel:[0,0,1] op_sel_hi:[1,0,0]
	s_delay_alu instid0(VALU_DEP_1) | instskip(NEXT) | instid1(VALU_DEP_1)
	v_mov_b32_e32 v141, v133
	v_pk_add_f32 v[14:15], v[14:15], v[140:141] neg_lo:[0,1] neg_hi:[0,1]
	ds_load_2addr_b64 v[140:143], v135 offset0:55 offset1:56
	s_wait_dscnt 0x0
	v_pk_mul_f32 v[132:133], v[140:141], v[130:131] op_sel:[0,1]
	s_delay_alu instid0(VALU_DEP_1) | instskip(SKIP_1) | instid1(VALU_DEP_1)
	v_pk_fma_f32 v[144:145], v[140:141], v[128:129], v[132:133] op_sel:[0,0,1] op_sel_hi:[1,1,0] neg_lo:[0,0,1] neg_hi:[0,0,1]
	v_pk_fma_f32 v[132:133], v[140:141], v[128:129], v[132:133] op_sel:[0,0,1] op_sel_hi:[1,0,0]
	v_mov_b32_e32 v145, v133
	v_pk_mul_f32 v[132:133], v[142:143], v[130:131] op_sel:[0,1]
	s_delay_alu instid0(VALU_DEP_2) | instskip(NEXT) | instid1(VALU_DEP_2)
	v_pk_add_f32 v[10:11], v[10:11], v[144:145] neg_lo:[0,1] neg_hi:[0,1]
	v_pk_fma_f32 v[140:141], v[142:143], v[128:129], v[132:133] op_sel:[0,0,1] op_sel_hi:[1,1,0] neg_lo:[0,0,1] neg_hi:[0,0,1]
	v_pk_fma_f32 v[132:133], v[142:143], v[128:129], v[132:133] op_sel:[0,0,1] op_sel_hi:[1,0,0]
	s_delay_alu instid0(VALU_DEP_1) | instskip(NEXT) | instid1(VALU_DEP_1)
	v_mov_b32_e32 v141, v133
	v_pk_add_f32 v[6:7], v[6:7], v[140:141] neg_lo:[0,1] neg_hi:[0,1]
	ds_load_2addr_b64 v[140:143], v135 offset0:57 offset1:58
	s_wait_dscnt 0x0
	v_pk_mul_f32 v[132:133], v[140:141], v[130:131] op_sel:[0,1]
	s_delay_alu instid0(VALU_DEP_1) | instskip(SKIP_2) | instid1(VALU_DEP_2)
	v_pk_fma_f32 v[144:145], v[140:141], v[128:129], v[132:133] op_sel:[0,0,1] op_sel_hi:[1,1,0] neg_lo:[0,0,1] neg_hi:[0,0,1]
	v_pk_fma_f32 v[132:133], v[140:141], v[128:129], v[132:133] op_sel:[0,0,1] op_sel_hi:[1,0,0]
	v_dual_mul_f32 v140, v143, v131 :: v_dual_mov_b32 v132, v143
	v_dual_mov_b32 v145, v133 :: v_dual_mov_b32 v133, v142
	s_delay_alu instid0(VALU_DEP_2) | instskip(SKIP_1) | instid1(VALU_DEP_3)
	v_pk_fma_f32 v[140:141], v[142:143], v[98:99], v[140:141] op_sel_hi:[1,1,0] neg_lo:[0,0,1] neg_hi:[0,0,1]
	v_mul_f32_e32 v142, v143, v128
	v_pk_add_f32 v[20:21], v[20:21], v[144:145] neg_lo:[0,1] neg_hi:[0,1]
	s_delay_alu instid0(VALU_DEP_2) | instskip(NEXT) | instid1(VALU_DEP_1)
	v_pk_fma_f32 v[132:133], v[132:133], v[98:99], v[142:143] op_sel_hi:[1,1,0]
	v_mov_b32_e32 v141, v133
	s_delay_alu instid0(VALU_DEP_1) | instskip(SKIP_4) | instid1(VALU_DEP_2)
	v_pk_add_f32 v[18:19], v[18:19], v[140:141] neg_lo:[0,1] neg_hi:[0,1]
	ds_load_2addr_b64 v[140:143], v135 offset0:59 offset1:60
	s_wait_dscnt 0x0
	v_pk_mul_f32 v[132:133], v[140:141], v[130:131] op_sel:[0,1]
	v_pk_mul_f32 v[130:131], v[142:143], v[130:131] op_sel:[0,1]
	v_pk_fma_f32 v[144:145], v[140:141], v[128:129], v[132:133] op_sel:[0,0,1] op_sel_hi:[1,1,0] neg_lo:[0,0,1] neg_hi:[0,0,1]
	v_pk_fma_f32 v[132:133], v[140:141], v[128:129], v[132:133] op_sel:[0,0,1] op_sel_hi:[1,0,0]
	s_delay_alu instid0(VALU_DEP_1) | instskip(NEXT) | instid1(VALU_DEP_4)
	v_mov_b32_e32 v145, v133
	v_pk_fma_f32 v[132:133], v[142:143], v[128:129], v[130:131] op_sel:[0,0,1] op_sel_hi:[1,1,0] neg_lo:[0,0,1] neg_hi:[0,0,1]
	v_pk_fma_f32 v[128:129], v[142:143], v[128:129], v[130:131] op_sel:[0,0,1] op_sel_hi:[1,0,0]
	s_delay_alu instid0(VALU_DEP_1) | instskip(NEXT) | instid1(VALU_DEP_4)
	v_mov_b32_e32 v133, v129
	v_pk_add_f32 v[8:9], v[8:9], v[144:145] neg_lo:[0,1] neg_hi:[0,1]
	s_delay_alu instid0(VALU_DEP_2)
	v_pk_add_f32 v[126:127], v[126:127], v[132:133] neg_lo:[0,1] neg_hi:[0,1]
.LBB120_314:
	s_or_b32 exec_lo, exec_lo, s0
	v_lshl_add_u32 v128, v138, 3, v135
	s_barrier_signal -1
	s_barrier_wait -1
	ds_store_b64 v128, v[94:95]
	s_wait_dscnt 0x0
	s_barrier_signal -1
	s_barrier_wait -1
	ds_load_b64 v[130:131], v135 offset:120
	v_mov_b32_e32 v128, 15
	s_cmp_lt_i32 s18, 17
	s_cbranch_scc1 .LBB120_317
; %bb.315:
	v_add3_u32 v129, v136, 0, 0x80
	v_mov_b32_e32 v128, 15
	s_mov_b32 s0, 16
.LBB120_316:                            ; =>This Inner Loop Header: Depth=1
	ds_load_b64 v[132:133], v129
	s_wait_dscnt 0x1
	v_cmp_gt_f32_e32 vcc_lo, 0, v130
	v_cndmask_b32_e64 v140, v130, -v130, vcc_lo
	v_cmp_gt_f32_e32 vcc_lo, 0, v131
	v_cndmask_b32_e64 v142, v131, -v131, vcc_lo
	s_wait_dscnt 0x0
	v_cmp_gt_f32_e32 vcc_lo, 0, v132
	v_cndmask_b32_e64 v141, v132, -v132, vcc_lo
	v_cmp_gt_f32_e32 vcc_lo, 0, v133
	v_cndmask_b32_e64 v143, v133, -v133, vcc_lo
	s_delay_alu instid0(VALU_DEP_1) | instskip(NEXT) | instid1(VALU_DEP_1)
	v_pk_add_f32 v[140:141], v[140:141], v[142:143]
	v_cmp_lt_f32_e32 vcc_lo, v140, v141
	v_dual_cndmask_b32 v130, v130, v132 :: v_dual_add_nc_u32 v129, 8, v129
	v_cndmask_b32_e32 v131, v131, v133, vcc_lo
	v_cndmask_b32_e64 v128, v128, s0, vcc_lo
	s_add_co_i32 s0, s0, 1
	s_delay_alu instid0(SALU_CYCLE_1)
	s_cmp_lg_u32 s18, s0
	s_cbranch_scc1 .LBB120_316
.LBB120_317:
	s_wait_dscnt 0x0
	v_cmp_eq_f32_e32 vcc_lo, 0, v130
	v_cmp_eq_f32_e64 s0, 0, v131
	s_and_b32 s0, vcc_lo, s0
	s_delay_alu instid0(SALU_CYCLE_1) | instskip(NEXT) | instid1(SALU_CYCLE_1)
	s_and_saveexec_b32 s1, s0
	s_xor_b32 s0, exec_lo, s1
; %bb.318:
	v_cmp_ne_u32_e32 vcc_lo, 0, v134
	v_cndmask_b32_e32 v134, 16, v134, vcc_lo
; %bb.319:
	s_and_not1_saveexec_b32 s0, s0
	s_cbranch_execz .LBB120_325
; %bb.320:
	v_cmp_ngt_f32_e64 s1, |v130|, |v131|
	s_and_saveexec_b32 s12, s1
	s_delay_alu instid0(SALU_CYCLE_1)
	s_xor_b32 s1, exec_lo, s12
	s_cbranch_execz .LBB120_322
; %bb.321:
	v_div_scale_f32 v129, null, v131, v131, v130
	v_div_scale_f32 v139, vcc_lo, v130, v131, v130
	s_delay_alu instid0(VALU_DEP_2) | instskip(SKIP_1) | instid1(TRANS32_DEP_1)
	v_rcp_f32_e32 v132, v129
	v_nop
	v_fma_f32 v133, -v129, v132, 1.0
	s_delay_alu instid0(VALU_DEP_1) | instskip(NEXT) | instid1(VALU_DEP_1)
	v_fmac_f32_e32 v132, v133, v132
	v_mul_f32_e32 v133, v139, v132
	s_delay_alu instid0(VALU_DEP_1) | instskip(NEXT) | instid1(VALU_DEP_1)
	v_fma_f32 v140, -v129, v133, v139
	v_fmac_f32_e32 v133, v140, v132
	s_delay_alu instid0(VALU_DEP_1) | instskip(NEXT) | instid1(VALU_DEP_1)
	v_fma_f32 v129, -v129, v133, v139
	v_div_fmas_f32 v129, v129, v132, v133
	s_delay_alu instid0(VALU_DEP_1) | instskip(NEXT) | instid1(VALU_DEP_1)
	v_div_fixup_f32 v129, v129, v131, v130
	v_fmac_f32_e32 v131, v130, v129
	s_delay_alu instid0(VALU_DEP_1) | instskip(SKIP_1) | instid1(VALU_DEP_2)
	v_div_scale_f32 v130, null, v131, v131, 1.0
	v_div_scale_f32 v139, vcc_lo, 1.0, v131, 1.0
	v_rcp_f32_e32 v132, v130
	v_nop
	s_delay_alu instid0(TRANS32_DEP_1) | instskip(NEXT) | instid1(VALU_DEP_1)
	v_fma_f32 v133, -v130, v132, 1.0
	v_fmac_f32_e32 v132, v133, v132
	s_delay_alu instid0(VALU_DEP_1) | instskip(NEXT) | instid1(VALU_DEP_1)
	v_mul_f32_e32 v133, v139, v132
	v_fma_f32 v140, -v130, v133, v139
	s_delay_alu instid0(VALU_DEP_1) | instskip(NEXT) | instid1(VALU_DEP_1)
	v_fmac_f32_e32 v133, v140, v132
	v_fma_f32 v130, -v130, v133, v139
	s_delay_alu instid0(VALU_DEP_1) | instskip(NEXT) | instid1(VALU_DEP_1)
	v_div_fmas_f32 v130, v130, v132, v133
	v_div_fixup_f32 v131, v130, v131, 1.0
	s_delay_alu instid0(VALU_DEP_1)
	v_mul_f32_e32 v130, v129, v131
	v_xor_b32_e32 v131, 0x80000000, v131
.LBB120_322:
	s_and_not1_saveexec_b32 s1, s1
	s_cbranch_execz .LBB120_324
; %bb.323:
	s_delay_alu instid0(VALU_DEP_1) | instskip(SKIP_1) | instid1(VALU_DEP_2)
	v_div_scale_f32 v129, null, v130, v130, v131
	v_div_scale_f32 v139, vcc_lo, v131, v130, v131
	v_rcp_f32_e32 v132, v129
	v_nop
	s_delay_alu instid0(TRANS32_DEP_1) | instskip(NEXT) | instid1(VALU_DEP_1)
	v_fma_f32 v133, -v129, v132, 1.0
	v_fmac_f32_e32 v132, v133, v132
	s_delay_alu instid0(VALU_DEP_1) | instskip(NEXT) | instid1(VALU_DEP_1)
	v_mul_f32_e32 v133, v139, v132
	v_fma_f32 v140, -v129, v133, v139
	s_delay_alu instid0(VALU_DEP_1) | instskip(NEXT) | instid1(VALU_DEP_1)
	v_fmac_f32_e32 v133, v140, v132
	v_fma_f32 v129, -v129, v133, v139
	s_delay_alu instid0(VALU_DEP_1) | instskip(NEXT) | instid1(VALU_DEP_1)
	v_div_fmas_f32 v129, v129, v132, v133
	v_div_fixup_f32 v129, v129, v130, v131
	s_delay_alu instid0(VALU_DEP_1) | instskip(NEXT) | instid1(VALU_DEP_1)
	v_fmac_f32_e32 v130, v131, v129
	v_div_scale_f32 v131, null, v130, v130, 1.0
	s_delay_alu instid0(VALU_DEP_1) | instskip(SKIP_1) | instid1(TRANS32_DEP_1)
	v_rcp_f32_e32 v132, v131
	v_nop
	v_fma_f32 v133, -v131, v132, 1.0
	s_delay_alu instid0(VALU_DEP_1) | instskip(SKIP_1) | instid1(VALU_DEP_1)
	v_fmac_f32_e32 v132, v133, v132
	v_div_scale_f32 v133, vcc_lo, 1.0, v130, 1.0
	v_mul_f32_e32 v139, v133, v132
	s_delay_alu instid0(VALU_DEP_1) | instskip(NEXT) | instid1(VALU_DEP_1)
	v_fma_f32 v140, -v131, v139, v133
	v_fmac_f32_e32 v139, v140, v132
	s_delay_alu instid0(VALU_DEP_1) | instskip(NEXT) | instid1(VALU_DEP_1)
	v_fma_f32 v131, -v131, v139, v133
	v_div_fmas_f32 v131, v131, v132, v139
	s_delay_alu instid0(VALU_DEP_1) | instskip(NEXT) | instid1(VALU_DEP_1)
	v_div_fixup_f32 v130, v131, v130, 1.0
	v_mul_f32_e64 v131, v129, -v130
.LBB120_324:
	s_or_b32 exec_lo, exec_lo, s1
.LBB120_325:
	s_delay_alu instid0(SALU_CYCLE_1) | instskip(NEXT) | instid1(SALU_CYCLE_1)
	s_or_b32 exec_lo, exec_lo, s0
	s_mov_b32 s0, exec_lo
	v_cmpx_ne_u32_e64 v138, v128
	s_xor_b32 s0, exec_lo, s0
	s_cbranch_execz .LBB120_331
; %bb.326:
	s_mov_b32 s1, exec_lo
	v_cmpx_eq_u32_e32 15, v138
	s_cbranch_execz .LBB120_330
; %bb.327:
	v_cmp_ne_u32_e32 vcc_lo, 15, v128
	s_xor_b32 s12, s16, -1
	s_delay_alu instid0(SALU_CYCLE_1) | instskip(NEXT) | instid1(SALU_CYCLE_1)
	s_and_b32 s13, s12, vcc_lo
	s_and_saveexec_b32 s12, s13
	s_cbranch_execz .LBB120_329
; %bb.328:
	v_ashrrev_i32_e32 v129, 31, v128
	s_delay_alu instid0(VALU_DEP_1)
	v_lshl_add_u64 v[132:133], v[128:129], 2, v[4:5]
	s_clause 0x1
	global_load_b32 v129, v[132:133], off
	global_load_b32 v137, v[4:5], off offset:60
	s_wait_loadcnt 0x1
	global_store_b32 v[4:5], v129, off offset:60
	s_wait_loadcnt 0x0
	global_store_b32 v[132:133], v137, off
.LBB120_329:
	s_wait_xcnt 0x0
	s_or_b32 exec_lo, exec_lo, s12
	v_dual_mov_b32 v138, v128 :: v_dual_mov_b32 v137, v128
.LBB120_330:
	s_or_b32 exec_lo, exec_lo, s1
.LBB120_331:
	s_and_not1_saveexec_b32 s0, s0
	s_cbranch_execz .LBB120_333
; %bb.332:
	v_dual_mov_b32 v128, v92 :: v_dual_mov_b32 v129, v93
	v_dual_mov_b32 v132, v88 :: v_dual_mov_b32 v133, v89
	v_dual_mov_b32 v138, v90 :: v_dual_mov_b32 v139, v91
	v_dual_mov_b32 v140, v86 :: v_dual_mov_b32 v141, v87
	v_dual_mov_b32 v142, v84 :: v_dual_mov_b32 v143, v85
	v_dual_mov_b32 v144, v80 :: v_dual_mov_b32 v145, v81
	v_dual_mov_b32 v146, v82 :: v_dual_mov_b32 v147, v83
	v_dual_mov_b32 v148, v78 :: v_dual_mov_b32 v149, v79
	v_dual_mov_b32 v150, v76 :: v_dual_mov_b32 v151, v77
	v_dual_mov_b32 v152, v72 :: v_dual_mov_b32 v153, v73
	v_dual_mov_b32 v154, v74 :: v_dual_mov_b32 v155, v75
	v_dual_mov_b32 v156, v70 :: v_dual_mov_b32 v157, v71
	ds_store_2addr_b64 v135, v[128:129], v[132:133] offset0:16 offset1:17
	ds_store_2addr_b64 v135, v[138:139], v[140:141] offset0:18 offset1:19
	ds_store_2addr_b64 v135, v[142:143], v[144:145] offset0:20 offset1:21
	ds_store_2addr_b64 v135, v[146:147], v[148:149] offset0:22 offset1:23
	ds_store_2addr_b64 v135, v[150:151], v[152:153] offset0:24 offset1:25
	ds_store_2addr_b64 v135, v[154:155], v[156:157] offset0:26 offset1:27
	v_dual_mov_b32 v128, v68 :: v_dual_mov_b32 v129, v69
	v_dual_mov_b32 v132, v64 :: v_dual_mov_b32 v133, v65
	v_dual_mov_b32 v138, v66 :: v_dual_mov_b32 v139, v67
	v_dual_mov_b32 v140, v62 :: v_dual_mov_b32 v141, v63
	v_dual_mov_b32 v142, v60 :: v_dual_mov_b32 v143, v61
	v_dual_mov_b32 v144, v56 :: v_dual_mov_b32 v145, v57
	v_dual_mov_b32 v146, v58 :: v_dual_mov_b32 v147, v59
	v_dual_mov_b32 v148, v54 :: v_dual_mov_b32 v149, v55
	v_dual_mov_b32 v150, v52 :: v_dual_mov_b32 v151, v53
	v_dual_mov_b32 v152, v48 :: v_dual_mov_b32 v153, v49
	v_dual_mov_b32 v154, v50 :: v_dual_mov_b32 v155, v51
	v_dual_mov_b32 v156, v46 :: v_dual_mov_b32 v157, v47
	ds_store_2addr_b64 v135, v[128:129], v[132:133] offset0:28 offset1:29
	ds_store_2addr_b64 v135, v[138:139], v[140:141] offset0:30 offset1:31
	ds_store_2addr_b64 v135, v[142:143], v[144:145] offset0:32 offset1:33
	ds_store_2addr_b64 v135, v[146:147], v[148:149] offset0:34 offset1:35
	ds_store_2addr_b64 v135, v[150:151], v[152:153] offset0:36 offset1:37
	ds_store_2addr_b64 v135, v[154:155], v[156:157] offset0:38 offset1:39
	;; [unrolled: 18-line block ×3, first 2 shown]
	v_dual_mov_b32 v128, v16 :: v_dual_mov_b32 v129, v17
	v_dual_mov_b32 v132, v12 :: v_dual_mov_b32 v133, v13
	;; [unrolled: 1-line block ×8, first 2 shown]
	v_mov_b32_e32 v151, v9
	ds_store_2addr_b64 v135, v[128:129], v[132:133] offset0:52 offset1:53
	ds_store_2addr_b64 v135, v[140:141], v[142:143] offset0:54 offset1:55
	;; [unrolled: 1-line block ×4, first 2 shown]
	ds_store_b64 v135, v[126:127] offset:480
.LBB120_333:
	s_or_b32 exec_lo, exec_lo, s0
	s_delay_alu instid0(SALU_CYCLE_1)
	s_mov_b32 s0, exec_lo
	s_wait_storecnt_dscnt 0x0
	s_barrier_signal -1
	s_barrier_wait -1
	v_cmpx_lt_i32_e32 15, v138
	s_cbranch_execz .LBB120_335
; %bb.334:
	ds_load_2addr_b64 v[140:143], v135 offset0:16 offset1:17
	v_pk_mul_f32 v[132:133], v[130:131], v[94:95] op_sel:[1,1] op_sel_hi:[0,1]
	s_delay_alu instid0(VALU_DEP_1) | instskip(SKIP_1) | instid1(VALU_DEP_1)
	v_pk_fma_f32 v[128:129], v[130:131], v[94:95], v[132:133] op_sel_hi:[1,0,1] neg_lo:[0,0,1] neg_hi:[0,0,1]
	v_pk_fma_f32 v[130:131], v[130:131], v[94:95], v[132:133] op_sel_hi:[1,0,1]
	v_dual_mov_b32 v94, v128 :: v_dual_mov_b32 v95, v131
	s_wait_dscnt 0x0
	s_delay_alu instid0(VALU_DEP_2) | instskip(NEXT) | instid1(VALU_DEP_1)
	v_pk_mul_f32 v[132:133], v[140:141], v[130:131] op_sel:[0,1]
	v_pk_fma_f32 v[144:145], v[140:141], v[128:129], v[132:133] op_sel:[0,0,1] op_sel_hi:[1,1,0] neg_lo:[0,0,1] neg_hi:[0,0,1]
	v_pk_fma_f32 v[132:133], v[140:141], v[128:129], v[132:133] op_sel:[0,0,1] op_sel_hi:[1,0,0]
	s_delay_alu instid0(VALU_DEP_1) | instskip(SKIP_1) | instid1(VALU_DEP_1)
	v_mov_b32_e32 v145, v133
	v_pk_mul_f32 v[132:133], v[142:143], v[130:131] op_sel:[0,1]
	v_pk_fma_f32 v[140:141], v[142:143], v[128:129], v[132:133] op_sel:[0,0,1] op_sel_hi:[1,1,0] neg_lo:[0,0,1] neg_hi:[0,0,1]
	v_pk_fma_f32 v[132:133], v[142:143], v[128:129], v[132:133] op_sel:[0,0,1] op_sel_hi:[1,0,0]
	s_delay_alu instid0(VALU_DEP_1) | instskip(SKIP_1) | instid1(VALU_DEP_2)
	v_mov_b32_e32 v141, v133
	v_pk_add_f32 v[92:93], v[92:93], v[144:145] neg_lo:[0,1] neg_hi:[0,1]
	v_pk_add_f32 v[88:89], v[88:89], v[140:141] neg_lo:[0,1] neg_hi:[0,1]
	ds_load_2addr_b64 v[140:143], v135 offset0:18 offset1:19
	s_wait_dscnt 0x0
	v_pk_mul_f32 v[132:133], v[140:141], v[130:131] op_sel:[0,1]
	s_delay_alu instid0(VALU_DEP_1) | instskip(SKIP_2) | instid1(VALU_DEP_2)
	v_pk_fma_f32 v[144:145], v[140:141], v[128:129], v[132:133] op_sel:[0,0,1] op_sel_hi:[1,1,0] neg_lo:[0,0,1] neg_hi:[0,0,1]
	v_pk_fma_f32 v[132:133], v[140:141], v[128:129], v[132:133] op_sel:[0,0,1] op_sel_hi:[1,0,0]
	v_dual_mul_f32 v140, v143, v131 :: v_dual_mov_b32 v132, v143
	v_dual_mov_b32 v145, v133 :: v_dual_mov_b32 v133, v142
	s_delay_alu instid0(VALU_DEP_2) | instskip(SKIP_1) | instid1(VALU_DEP_3)
	v_pk_fma_f32 v[140:141], v[142:143], v[94:95], v[140:141] op_sel_hi:[1,1,0] neg_lo:[0,0,1] neg_hi:[0,0,1]
	v_mul_f32_e32 v142, v143, v128
	v_pk_add_f32 v[90:91], v[90:91], v[144:145] neg_lo:[0,1] neg_hi:[0,1]
	s_delay_alu instid0(VALU_DEP_2) | instskip(NEXT) | instid1(VALU_DEP_1)
	v_pk_fma_f32 v[132:133], v[132:133], v[94:95], v[142:143] op_sel_hi:[1,1,0]
	v_mov_b32_e32 v141, v133
	s_delay_alu instid0(VALU_DEP_1) | instskip(SKIP_3) | instid1(VALU_DEP_1)
	v_pk_add_f32 v[86:87], v[86:87], v[140:141] neg_lo:[0,1] neg_hi:[0,1]
	ds_load_2addr_b64 v[140:143], v135 offset0:20 offset1:21
	s_wait_dscnt 0x0
	v_pk_mul_f32 v[132:133], v[140:141], v[130:131] op_sel:[0,1]
	v_pk_fma_f32 v[144:145], v[140:141], v[128:129], v[132:133] op_sel:[0,0,1] op_sel_hi:[1,1,0] neg_lo:[0,0,1] neg_hi:[0,0,1]
	v_pk_fma_f32 v[132:133], v[140:141], v[128:129], v[132:133] op_sel:[0,0,1] op_sel_hi:[1,0,0]
	s_delay_alu instid0(VALU_DEP_1) | instskip(SKIP_1) | instid1(VALU_DEP_1)
	v_mov_b32_e32 v145, v133
	v_pk_mul_f32 v[132:133], v[142:143], v[130:131] op_sel:[0,1]
	v_pk_fma_f32 v[140:141], v[142:143], v[128:129], v[132:133] op_sel:[0,0,1] op_sel_hi:[1,1,0] neg_lo:[0,0,1] neg_hi:[0,0,1]
	v_pk_fma_f32 v[132:133], v[142:143], v[128:129], v[132:133] op_sel:[0,0,1] op_sel_hi:[1,0,0]
	s_delay_alu instid0(VALU_DEP_1) | instskip(SKIP_1) | instid1(VALU_DEP_2)
	v_mov_b32_e32 v141, v133
	v_pk_add_f32 v[84:85], v[84:85], v[144:145] neg_lo:[0,1] neg_hi:[0,1]
	v_pk_add_f32 v[80:81], v[80:81], v[140:141] neg_lo:[0,1] neg_hi:[0,1]
	ds_load_2addr_b64 v[140:143], v135 offset0:22 offset1:23
	s_wait_dscnt 0x0
	v_pk_mul_f32 v[132:133], v[140:141], v[130:131] op_sel:[0,1]
	s_delay_alu instid0(VALU_DEP_1) | instskip(SKIP_1) | instid1(VALU_DEP_1)
	v_pk_fma_f32 v[144:145], v[140:141], v[128:129], v[132:133] op_sel:[0,0,1] op_sel_hi:[1,1,0] neg_lo:[0,0,1] neg_hi:[0,0,1]
	v_pk_fma_f32 v[132:133], v[140:141], v[128:129], v[132:133] op_sel:[0,0,1] op_sel_hi:[1,0,0]
	v_mov_b32_e32 v145, v133
	v_pk_mul_f32 v[132:133], v[142:143], v[130:131] op_sel:[0,1]
	s_delay_alu instid0(VALU_DEP_1) | instskip(SKIP_1) | instid1(VALU_DEP_1)
	v_pk_fma_f32 v[140:141], v[142:143], v[128:129], v[132:133] op_sel:[0,0,1] op_sel_hi:[1,1,0] neg_lo:[0,0,1] neg_hi:[0,0,1]
	v_pk_fma_f32 v[132:133], v[142:143], v[128:129], v[132:133] op_sel:[0,0,1] op_sel_hi:[1,0,0]
	v_mov_b32_e32 v141, v133
	v_pk_add_f32 v[82:83], v[82:83], v[144:145] neg_lo:[0,1] neg_hi:[0,1]
	s_delay_alu instid0(VALU_DEP_2) | instskip(SKIP_3) | instid1(VALU_DEP_1)
	v_pk_add_f32 v[78:79], v[78:79], v[140:141] neg_lo:[0,1] neg_hi:[0,1]
	ds_load_2addr_b64 v[140:143], v135 offset0:24 offset1:25
	s_wait_dscnt 0x0
	v_dual_mul_f32 v132, v141, v131 :: v_dual_mul_f32 v144, v141, v128
	v_pk_fma_f32 v[132:133], v[140:141], v[94:95], v[132:133] op_sel_hi:[1,1,0] neg_lo:[0,0,1] neg_hi:[0,0,1]
	s_delay_alu instid0(VALU_DEP_2) | instskip(NEXT) | instid1(VALU_DEP_1)
	v_pk_fma_f32 v[140:141], v[140:141], v[94:95], v[144:145] op_sel:[1,0,0] op_sel_hi:[0,1,0]
	v_mov_b32_e32 v133, v141
	s_delay_alu instid0(VALU_DEP_1) | instskip(SKIP_1) | instid1(VALU_DEP_1)
	v_pk_add_f32 v[76:77], v[76:77], v[132:133] neg_lo:[0,1] neg_hi:[0,1]
	v_pk_mul_f32 v[132:133], v[142:143], v[130:131] op_sel:[0,1]
	v_pk_fma_f32 v[140:141], v[142:143], v[128:129], v[132:133] op_sel:[0,0,1] op_sel_hi:[1,1,0] neg_lo:[0,0,1] neg_hi:[0,0,1]
	v_pk_fma_f32 v[132:133], v[142:143], v[128:129], v[132:133] op_sel:[0,0,1] op_sel_hi:[1,0,0]
	s_delay_alu instid0(VALU_DEP_1) | instskip(NEXT) | instid1(VALU_DEP_1)
	v_mov_b32_e32 v141, v133
	v_pk_add_f32 v[72:73], v[72:73], v[140:141] neg_lo:[0,1] neg_hi:[0,1]
	ds_load_2addr_b64 v[140:143], v135 offset0:26 offset1:27
	s_wait_dscnt 0x0
	v_pk_mul_f32 v[132:133], v[140:141], v[130:131] op_sel:[0,1]
	s_delay_alu instid0(VALU_DEP_1) | instskip(SKIP_1) | instid1(VALU_DEP_1)
	v_pk_fma_f32 v[144:145], v[140:141], v[128:129], v[132:133] op_sel:[0,0,1] op_sel_hi:[1,1,0] neg_lo:[0,0,1] neg_hi:[0,0,1]
	v_pk_fma_f32 v[132:133], v[140:141], v[128:129], v[132:133] op_sel:[0,0,1] op_sel_hi:[1,0,0]
	v_mov_b32_e32 v145, v133
	v_pk_mul_f32 v[132:133], v[142:143], v[130:131] op_sel:[0,1]
	s_delay_alu instid0(VALU_DEP_2) | instskip(NEXT) | instid1(VALU_DEP_2)
	v_pk_add_f32 v[74:75], v[74:75], v[144:145] neg_lo:[0,1] neg_hi:[0,1]
	v_pk_fma_f32 v[140:141], v[142:143], v[128:129], v[132:133] op_sel:[0,0,1] op_sel_hi:[1,1,0] neg_lo:[0,0,1] neg_hi:[0,0,1]
	v_pk_fma_f32 v[132:133], v[142:143], v[128:129], v[132:133] op_sel:[0,0,1] op_sel_hi:[1,0,0]
	s_delay_alu instid0(VALU_DEP_1) | instskip(NEXT) | instid1(VALU_DEP_1)
	v_mov_b32_e32 v141, v133
	v_pk_add_f32 v[70:71], v[70:71], v[140:141] neg_lo:[0,1] neg_hi:[0,1]
	ds_load_2addr_b64 v[140:143], v135 offset0:28 offset1:29
	s_wait_dscnt 0x0
	v_pk_mul_f32 v[132:133], v[140:141], v[130:131] op_sel:[0,1]
	s_delay_alu instid0(VALU_DEP_1) | instskip(SKIP_2) | instid1(VALU_DEP_2)
	v_pk_fma_f32 v[144:145], v[140:141], v[128:129], v[132:133] op_sel:[0,0,1] op_sel_hi:[1,1,0] neg_lo:[0,0,1] neg_hi:[0,0,1]
	v_pk_fma_f32 v[132:133], v[140:141], v[128:129], v[132:133] op_sel:[0,0,1] op_sel_hi:[1,0,0]
	v_dual_mul_f32 v140, v143, v131 :: v_dual_mov_b32 v132, v143
	v_dual_mov_b32 v145, v133 :: v_dual_mov_b32 v133, v142
	s_delay_alu instid0(VALU_DEP_2) | instskip(SKIP_1) | instid1(VALU_DEP_3)
	v_pk_fma_f32 v[140:141], v[142:143], v[94:95], v[140:141] op_sel_hi:[1,1,0] neg_lo:[0,0,1] neg_hi:[0,0,1]
	v_mul_f32_e32 v142, v143, v128
	v_pk_add_f32 v[68:69], v[68:69], v[144:145] neg_lo:[0,1] neg_hi:[0,1]
	s_delay_alu instid0(VALU_DEP_2) | instskip(NEXT) | instid1(VALU_DEP_1)
	v_pk_fma_f32 v[132:133], v[132:133], v[94:95], v[142:143] op_sel_hi:[1,1,0]
	v_mov_b32_e32 v141, v133
	s_delay_alu instid0(VALU_DEP_1) | instskip(SKIP_3) | instid1(VALU_DEP_1)
	v_pk_add_f32 v[64:65], v[64:65], v[140:141] neg_lo:[0,1] neg_hi:[0,1]
	ds_load_2addr_b64 v[140:143], v135 offset0:30 offset1:31
	s_wait_dscnt 0x0
	v_pk_mul_f32 v[132:133], v[140:141], v[130:131] op_sel:[0,1]
	v_pk_fma_f32 v[144:145], v[140:141], v[128:129], v[132:133] op_sel:[0,0,1] op_sel_hi:[1,1,0] neg_lo:[0,0,1] neg_hi:[0,0,1]
	v_pk_fma_f32 v[132:133], v[140:141], v[128:129], v[132:133] op_sel:[0,0,1] op_sel_hi:[1,0,0]
	s_delay_alu instid0(VALU_DEP_1) | instskip(SKIP_1) | instid1(VALU_DEP_1)
	v_mov_b32_e32 v145, v133
	v_pk_mul_f32 v[132:133], v[142:143], v[130:131] op_sel:[0,1]
	v_pk_fma_f32 v[140:141], v[142:143], v[128:129], v[132:133] op_sel:[0,0,1] op_sel_hi:[1,1,0] neg_lo:[0,0,1] neg_hi:[0,0,1]
	v_pk_fma_f32 v[132:133], v[142:143], v[128:129], v[132:133] op_sel:[0,0,1] op_sel_hi:[1,0,0]
	s_delay_alu instid0(VALU_DEP_1) | instskip(SKIP_1) | instid1(VALU_DEP_2)
	v_mov_b32_e32 v141, v133
	v_pk_add_f32 v[66:67], v[66:67], v[144:145] neg_lo:[0,1] neg_hi:[0,1]
	v_pk_add_f32 v[62:63], v[62:63], v[140:141] neg_lo:[0,1] neg_hi:[0,1]
	ds_load_2addr_b64 v[140:143], v135 offset0:32 offset1:33
	s_wait_dscnt 0x0
	v_pk_mul_f32 v[132:133], v[140:141], v[130:131] op_sel:[0,1]
	s_delay_alu instid0(VALU_DEP_1) | instskip(SKIP_1) | instid1(VALU_DEP_1)
	v_pk_fma_f32 v[144:145], v[140:141], v[128:129], v[132:133] op_sel:[0,0,1] op_sel_hi:[1,1,0] neg_lo:[0,0,1] neg_hi:[0,0,1]
	v_pk_fma_f32 v[132:133], v[140:141], v[128:129], v[132:133] op_sel:[0,0,1] op_sel_hi:[1,0,0]
	v_mov_b32_e32 v145, v133
	v_pk_mul_f32 v[132:133], v[142:143], v[130:131] op_sel:[0,1]
	s_delay_alu instid0(VALU_DEP_1) | instskip(SKIP_1) | instid1(VALU_DEP_1)
	v_pk_fma_f32 v[140:141], v[142:143], v[128:129], v[132:133] op_sel:[0,0,1] op_sel_hi:[1,1,0] neg_lo:[0,0,1] neg_hi:[0,0,1]
	v_pk_fma_f32 v[132:133], v[142:143], v[128:129], v[132:133] op_sel:[0,0,1] op_sel_hi:[1,0,0]
	v_mov_b32_e32 v141, v133
	v_pk_add_f32 v[60:61], v[60:61], v[144:145] neg_lo:[0,1] neg_hi:[0,1]
	s_delay_alu instid0(VALU_DEP_2) | instskip(SKIP_3) | instid1(VALU_DEP_1)
	v_pk_add_f32 v[56:57], v[56:57], v[140:141] neg_lo:[0,1] neg_hi:[0,1]
	ds_load_2addr_b64 v[140:143], v135 offset0:34 offset1:35
	s_wait_dscnt 0x0
	v_dual_mul_f32 v132, v141, v131 :: v_dual_mul_f32 v144, v141, v128
	v_pk_fma_f32 v[132:133], v[140:141], v[94:95], v[132:133] op_sel_hi:[1,1,0] neg_lo:[0,0,1] neg_hi:[0,0,1]
	s_delay_alu instid0(VALU_DEP_2) | instskip(NEXT) | instid1(VALU_DEP_1)
	v_pk_fma_f32 v[140:141], v[140:141], v[94:95], v[144:145] op_sel:[1,0,0] op_sel_hi:[0,1,0]
	v_mov_b32_e32 v133, v141
	s_delay_alu instid0(VALU_DEP_1) | instskip(SKIP_1) | instid1(VALU_DEP_1)
	v_pk_add_f32 v[58:59], v[58:59], v[132:133] neg_lo:[0,1] neg_hi:[0,1]
	v_pk_mul_f32 v[132:133], v[142:143], v[130:131] op_sel:[0,1]
	v_pk_fma_f32 v[140:141], v[142:143], v[128:129], v[132:133] op_sel:[0,0,1] op_sel_hi:[1,1,0] neg_lo:[0,0,1] neg_hi:[0,0,1]
	v_pk_fma_f32 v[132:133], v[142:143], v[128:129], v[132:133] op_sel:[0,0,1] op_sel_hi:[1,0,0]
	s_delay_alu instid0(VALU_DEP_1) | instskip(NEXT) | instid1(VALU_DEP_1)
	v_mov_b32_e32 v141, v133
	v_pk_add_f32 v[54:55], v[54:55], v[140:141] neg_lo:[0,1] neg_hi:[0,1]
	ds_load_2addr_b64 v[140:143], v135 offset0:36 offset1:37
	s_wait_dscnt 0x0
	v_pk_mul_f32 v[132:133], v[140:141], v[130:131] op_sel:[0,1]
	s_delay_alu instid0(VALU_DEP_1) | instskip(SKIP_1) | instid1(VALU_DEP_1)
	v_pk_fma_f32 v[144:145], v[140:141], v[128:129], v[132:133] op_sel:[0,0,1] op_sel_hi:[1,1,0] neg_lo:[0,0,1] neg_hi:[0,0,1]
	v_pk_fma_f32 v[132:133], v[140:141], v[128:129], v[132:133] op_sel:[0,0,1] op_sel_hi:[1,0,0]
	v_mov_b32_e32 v145, v133
	v_pk_mul_f32 v[132:133], v[142:143], v[130:131] op_sel:[0,1]
	s_delay_alu instid0(VALU_DEP_2) | instskip(NEXT) | instid1(VALU_DEP_2)
	v_pk_add_f32 v[52:53], v[52:53], v[144:145] neg_lo:[0,1] neg_hi:[0,1]
	v_pk_fma_f32 v[140:141], v[142:143], v[128:129], v[132:133] op_sel:[0,0,1] op_sel_hi:[1,1,0] neg_lo:[0,0,1] neg_hi:[0,0,1]
	v_pk_fma_f32 v[132:133], v[142:143], v[128:129], v[132:133] op_sel:[0,0,1] op_sel_hi:[1,0,0]
	s_delay_alu instid0(VALU_DEP_1) | instskip(NEXT) | instid1(VALU_DEP_1)
	v_mov_b32_e32 v141, v133
	v_pk_add_f32 v[48:49], v[48:49], v[140:141] neg_lo:[0,1] neg_hi:[0,1]
	ds_load_2addr_b64 v[140:143], v135 offset0:38 offset1:39
	s_wait_dscnt 0x0
	v_pk_mul_f32 v[132:133], v[140:141], v[130:131] op_sel:[0,1]
	s_delay_alu instid0(VALU_DEP_1) | instskip(SKIP_2) | instid1(VALU_DEP_2)
	v_pk_fma_f32 v[144:145], v[140:141], v[128:129], v[132:133] op_sel:[0,0,1] op_sel_hi:[1,1,0] neg_lo:[0,0,1] neg_hi:[0,0,1]
	v_pk_fma_f32 v[132:133], v[140:141], v[128:129], v[132:133] op_sel:[0,0,1] op_sel_hi:[1,0,0]
	v_dual_mul_f32 v140, v143, v131 :: v_dual_mov_b32 v132, v143
	v_dual_mov_b32 v145, v133 :: v_dual_mov_b32 v133, v142
	s_delay_alu instid0(VALU_DEP_2) | instskip(SKIP_1) | instid1(VALU_DEP_3)
	v_pk_fma_f32 v[140:141], v[142:143], v[94:95], v[140:141] op_sel_hi:[1,1,0] neg_lo:[0,0,1] neg_hi:[0,0,1]
	v_mul_f32_e32 v142, v143, v128
	v_pk_add_f32 v[50:51], v[50:51], v[144:145] neg_lo:[0,1] neg_hi:[0,1]
	s_delay_alu instid0(VALU_DEP_2) | instskip(NEXT) | instid1(VALU_DEP_1)
	v_pk_fma_f32 v[132:133], v[132:133], v[94:95], v[142:143] op_sel_hi:[1,1,0]
	v_mov_b32_e32 v141, v133
	s_delay_alu instid0(VALU_DEP_1) | instskip(SKIP_3) | instid1(VALU_DEP_1)
	v_pk_add_f32 v[46:47], v[46:47], v[140:141] neg_lo:[0,1] neg_hi:[0,1]
	ds_load_2addr_b64 v[140:143], v135 offset0:40 offset1:41
	s_wait_dscnt 0x0
	v_pk_mul_f32 v[132:133], v[140:141], v[130:131] op_sel:[0,1]
	v_pk_fma_f32 v[144:145], v[140:141], v[128:129], v[132:133] op_sel:[0,0,1] op_sel_hi:[1,1,0] neg_lo:[0,0,1] neg_hi:[0,0,1]
	v_pk_fma_f32 v[132:133], v[140:141], v[128:129], v[132:133] op_sel:[0,0,1] op_sel_hi:[1,0,0]
	s_delay_alu instid0(VALU_DEP_1) | instskip(SKIP_1) | instid1(VALU_DEP_1)
	v_mov_b32_e32 v145, v133
	v_pk_mul_f32 v[132:133], v[142:143], v[130:131] op_sel:[0,1]
	v_pk_fma_f32 v[140:141], v[142:143], v[128:129], v[132:133] op_sel:[0,0,1] op_sel_hi:[1,1,0] neg_lo:[0,0,1] neg_hi:[0,0,1]
	v_pk_fma_f32 v[132:133], v[142:143], v[128:129], v[132:133] op_sel:[0,0,1] op_sel_hi:[1,0,0]
	s_delay_alu instid0(VALU_DEP_1) | instskip(SKIP_1) | instid1(VALU_DEP_2)
	v_mov_b32_e32 v141, v133
	v_pk_add_f32 v[42:43], v[42:43], v[144:145] neg_lo:[0,1] neg_hi:[0,1]
	v_pk_add_f32 v[38:39], v[38:39], v[140:141] neg_lo:[0,1] neg_hi:[0,1]
	ds_load_2addr_b64 v[140:143], v135 offset0:42 offset1:43
	s_wait_dscnt 0x0
	v_pk_mul_f32 v[132:133], v[140:141], v[130:131] op_sel:[0,1]
	s_delay_alu instid0(VALU_DEP_1) | instskip(SKIP_1) | instid1(VALU_DEP_1)
	v_pk_fma_f32 v[144:145], v[140:141], v[128:129], v[132:133] op_sel:[0,0,1] op_sel_hi:[1,1,0] neg_lo:[0,0,1] neg_hi:[0,0,1]
	v_pk_fma_f32 v[132:133], v[140:141], v[128:129], v[132:133] op_sel:[0,0,1] op_sel_hi:[1,0,0]
	v_mov_b32_e32 v145, v133
	v_pk_mul_f32 v[132:133], v[142:143], v[130:131] op_sel:[0,1]
	s_delay_alu instid0(VALU_DEP_1) | instskip(SKIP_1) | instid1(VALU_DEP_1)
	v_pk_fma_f32 v[140:141], v[142:143], v[128:129], v[132:133] op_sel:[0,0,1] op_sel_hi:[1,1,0] neg_lo:[0,0,1] neg_hi:[0,0,1]
	v_pk_fma_f32 v[132:133], v[142:143], v[128:129], v[132:133] op_sel:[0,0,1] op_sel_hi:[1,0,0]
	v_mov_b32_e32 v141, v133
	v_pk_add_f32 v[40:41], v[40:41], v[144:145] neg_lo:[0,1] neg_hi:[0,1]
	s_delay_alu instid0(VALU_DEP_2) | instskip(SKIP_3) | instid1(VALU_DEP_1)
	v_pk_add_f32 v[36:37], v[36:37], v[140:141] neg_lo:[0,1] neg_hi:[0,1]
	ds_load_2addr_b64 v[140:143], v135 offset0:44 offset1:45
	s_wait_dscnt 0x0
	v_dual_mul_f32 v132, v141, v131 :: v_dual_mul_f32 v144, v141, v128
	v_pk_fma_f32 v[132:133], v[140:141], v[94:95], v[132:133] op_sel_hi:[1,1,0] neg_lo:[0,0,1] neg_hi:[0,0,1]
	s_delay_alu instid0(VALU_DEP_2) | instskip(NEXT) | instid1(VALU_DEP_1)
	v_pk_fma_f32 v[140:141], v[140:141], v[94:95], v[144:145] op_sel:[1,0,0] op_sel_hi:[0,1,0]
	v_mov_b32_e32 v133, v141
	s_delay_alu instid0(VALU_DEP_1) | instskip(SKIP_1) | instid1(VALU_DEP_1)
	v_pk_add_f32 v[34:35], v[34:35], v[132:133] neg_lo:[0,1] neg_hi:[0,1]
	v_pk_mul_f32 v[132:133], v[142:143], v[130:131] op_sel:[0,1]
	v_pk_fma_f32 v[140:141], v[142:143], v[128:129], v[132:133] op_sel:[0,0,1] op_sel_hi:[1,1,0] neg_lo:[0,0,1] neg_hi:[0,0,1]
	v_pk_fma_f32 v[132:133], v[142:143], v[128:129], v[132:133] op_sel:[0,0,1] op_sel_hi:[1,0,0]
	s_delay_alu instid0(VALU_DEP_1) | instskip(NEXT) | instid1(VALU_DEP_1)
	v_mov_b32_e32 v141, v133
	v_pk_add_f32 v[30:31], v[30:31], v[140:141] neg_lo:[0,1] neg_hi:[0,1]
	ds_load_2addr_b64 v[140:143], v135 offset0:46 offset1:47
	s_wait_dscnt 0x0
	v_pk_mul_f32 v[132:133], v[140:141], v[130:131] op_sel:[0,1]
	s_delay_alu instid0(VALU_DEP_1) | instskip(SKIP_1) | instid1(VALU_DEP_1)
	v_pk_fma_f32 v[144:145], v[140:141], v[128:129], v[132:133] op_sel:[0,0,1] op_sel_hi:[1,1,0] neg_lo:[0,0,1] neg_hi:[0,0,1]
	v_pk_fma_f32 v[132:133], v[140:141], v[128:129], v[132:133] op_sel:[0,0,1] op_sel_hi:[1,0,0]
	v_mov_b32_e32 v145, v133
	v_pk_mul_f32 v[132:133], v[142:143], v[130:131] op_sel:[0,1]
	s_delay_alu instid0(VALU_DEP_2) | instskip(NEXT) | instid1(VALU_DEP_2)
	v_pk_add_f32 v[32:33], v[32:33], v[144:145] neg_lo:[0,1] neg_hi:[0,1]
	v_pk_fma_f32 v[140:141], v[142:143], v[128:129], v[132:133] op_sel:[0,0,1] op_sel_hi:[1,1,0] neg_lo:[0,0,1] neg_hi:[0,0,1]
	v_pk_fma_f32 v[132:133], v[142:143], v[128:129], v[132:133] op_sel:[0,0,1] op_sel_hi:[1,0,0]
	s_delay_alu instid0(VALU_DEP_1) | instskip(NEXT) | instid1(VALU_DEP_1)
	v_mov_b32_e32 v141, v133
	v_pk_add_f32 v[28:29], v[28:29], v[140:141] neg_lo:[0,1] neg_hi:[0,1]
	ds_load_2addr_b64 v[140:143], v135 offset0:48 offset1:49
	s_wait_dscnt 0x0
	v_pk_mul_f32 v[132:133], v[140:141], v[130:131] op_sel:[0,1]
	s_delay_alu instid0(VALU_DEP_1) | instskip(SKIP_2) | instid1(VALU_DEP_2)
	v_pk_fma_f32 v[144:145], v[140:141], v[128:129], v[132:133] op_sel:[0,0,1] op_sel_hi:[1,1,0] neg_lo:[0,0,1] neg_hi:[0,0,1]
	v_pk_fma_f32 v[132:133], v[140:141], v[128:129], v[132:133] op_sel:[0,0,1] op_sel_hi:[1,0,0]
	v_dual_mul_f32 v140, v143, v131 :: v_dual_mov_b32 v132, v143
	v_dual_mov_b32 v145, v133 :: v_dual_mov_b32 v133, v142
	s_delay_alu instid0(VALU_DEP_2) | instskip(SKIP_1) | instid1(VALU_DEP_3)
	v_pk_fma_f32 v[140:141], v[142:143], v[94:95], v[140:141] op_sel_hi:[1,1,0] neg_lo:[0,0,1] neg_hi:[0,0,1]
	v_mul_f32_e32 v142, v143, v128
	v_pk_add_f32 v[26:27], v[26:27], v[144:145] neg_lo:[0,1] neg_hi:[0,1]
	s_delay_alu instid0(VALU_DEP_2) | instskip(NEXT) | instid1(VALU_DEP_1)
	v_pk_fma_f32 v[132:133], v[132:133], v[94:95], v[142:143] op_sel_hi:[1,1,0]
	v_mov_b32_e32 v141, v133
	s_delay_alu instid0(VALU_DEP_1) | instskip(SKIP_3) | instid1(VALU_DEP_1)
	v_pk_add_f32 v[22:23], v[22:23], v[140:141] neg_lo:[0,1] neg_hi:[0,1]
	ds_load_2addr_b64 v[140:143], v135 offset0:50 offset1:51
	s_wait_dscnt 0x0
	v_pk_mul_f32 v[132:133], v[140:141], v[130:131] op_sel:[0,1]
	v_pk_fma_f32 v[144:145], v[140:141], v[128:129], v[132:133] op_sel:[0,0,1] op_sel_hi:[1,1,0] neg_lo:[0,0,1] neg_hi:[0,0,1]
	v_pk_fma_f32 v[132:133], v[140:141], v[128:129], v[132:133] op_sel:[0,0,1] op_sel_hi:[1,0,0]
	s_delay_alu instid0(VALU_DEP_1) | instskip(SKIP_1) | instid1(VALU_DEP_1)
	v_mov_b32_e32 v145, v133
	v_pk_mul_f32 v[132:133], v[142:143], v[130:131] op_sel:[0,1]
	v_pk_fma_f32 v[140:141], v[142:143], v[128:129], v[132:133] op_sel:[0,0,1] op_sel_hi:[1,1,0] neg_lo:[0,0,1] neg_hi:[0,0,1]
	v_pk_fma_f32 v[132:133], v[142:143], v[128:129], v[132:133] op_sel:[0,0,1] op_sel_hi:[1,0,0]
	s_delay_alu instid0(VALU_DEP_1) | instskip(SKIP_1) | instid1(VALU_DEP_2)
	v_mov_b32_e32 v141, v133
	v_pk_add_f32 v[24:25], v[24:25], v[144:145] neg_lo:[0,1] neg_hi:[0,1]
	v_pk_add_f32 v[44:45], v[44:45], v[140:141] neg_lo:[0,1] neg_hi:[0,1]
	ds_load_2addr_b64 v[140:143], v135 offset0:52 offset1:53
	s_wait_dscnt 0x0
	v_pk_mul_f32 v[132:133], v[140:141], v[130:131] op_sel:[0,1]
	s_delay_alu instid0(VALU_DEP_1) | instskip(SKIP_1) | instid1(VALU_DEP_1)
	v_pk_fma_f32 v[144:145], v[140:141], v[128:129], v[132:133] op_sel:[0,0,1] op_sel_hi:[1,1,0] neg_lo:[0,0,1] neg_hi:[0,0,1]
	v_pk_fma_f32 v[132:133], v[140:141], v[128:129], v[132:133] op_sel:[0,0,1] op_sel_hi:[1,0,0]
	v_mov_b32_e32 v145, v133
	v_pk_mul_f32 v[132:133], v[142:143], v[130:131] op_sel:[0,1]
	s_delay_alu instid0(VALU_DEP_1) | instskip(SKIP_1) | instid1(VALU_DEP_1)
	v_pk_fma_f32 v[140:141], v[142:143], v[128:129], v[132:133] op_sel:[0,0,1] op_sel_hi:[1,1,0] neg_lo:[0,0,1] neg_hi:[0,0,1]
	v_pk_fma_f32 v[132:133], v[142:143], v[128:129], v[132:133] op_sel:[0,0,1] op_sel_hi:[1,0,0]
	v_mov_b32_e32 v141, v133
	v_pk_add_f32 v[16:17], v[16:17], v[144:145] neg_lo:[0,1] neg_hi:[0,1]
	s_delay_alu instid0(VALU_DEP_2) | instskip(SKIP_3) | instid1(VALU_DEP_1)
	v_pk_add_f32 v[12:13], v[12:13], v[140:141] neg_lo:[0,1] neg_hi:[0,1]
	ds_load_2addr_b64 v[140:143], v135 offset0:54 offset1:55
	s_wait_dscnt 0x0
	v_dual_mul_f32 v132, v141, v131 :: v_dual_mul_f32 v144, v141, v128
	v_pk_fma_f32 v[132:133], v[140:141], v[94:95], v[132:133] op_sel_hi:[1,1,0] neg_lo:[0,0,1] neg_hi:[0,0,1]
	s_delay_alu instid0(VALU_DEP_2) | instskip(NEXT) | instid1(VALU_DEP_1)
	v_pk_fma_f32 v[140:141], v[140:141], v[94:95], v[144:145] op_sel:[1,0,0] op_sel_hi:[0,1,0]
	v_mov_b32_e32 v133, v141
	s_delay_alu instid0(VALU_DEP_1) | instskip(SKIP_1) | instid1(VALU_DEP_1)
	v_pk_add_f32 v[14:15], v[14:15], v[132:133] neg_lo:[0,1] neg_hi:[0,1]
	v_pk_mul_f32 v[132:133], v[142:143], v[130:131] op_sel:[0,1]
	v_pk_fma_f32 v[140:141], v[142:143], v[128:129], v[132:133] op_sel:[0,0,1] op_sel_hi:[1,1,0] neg_lo:[0,0,1] neg_hi:[0,0,1]
	v_pk_fma_f32 v[132:133], v[142:143], v[128:129], v[132:133] op_sel:[0,0,1] op_sel_hi:[1,0,0]
	s_delay_alu instid0(VALU_DEP_1) | instskip(NEXT) | instid1(VALU_DEP_1)
	v_mov_b32_e32 v141, v133
	v_pk_add_f32 v[10:11], v[10:11], v[140:141] neg_lo:[0,1] neg_hi:[0,1]
	ds_load_2addr_b64 v[140:143], v135 offset0:56 offset1:57
	s_wait_dscnt 0x0
	v_pk_mul_f32 v[132:133], v[140:141], v[130:131] op_sel:[0,1]
	s_delay_alu instid0(VALU_DEP_1) | instskip(SKIP_1) | instid1(VALU_DEP_1)
	v_pk_fma_f32 v[144:145], v[140:141], v[128:129], v[132:133] op_sel:[0,0,1] op_sel_hi:[1,1,0] neg_lo:[0,0,1] neg_hi:[0,0,1]
	v_pk_fma_f32 v[132:133], v[140:141], v[128:129], v[132:133] op_sel:[0,0,1] op_sel_hi:[1,0,0]
	v_mov_b32_e32 v145, v133
	v_pk_mul_f32 v[132:133], v[142:143], v[130:131] op_sel:[0,1]
	s_delay_alu instid0(VALU_DEP_2) | instskip(NEXT) | instid1(VALU_DEP_2)
	v_pk_add_f32 v[6:7], v[6:7], v[144:145] neg_lo:[0,1] neg_hi:[0,1]
	v_pk_fma_f32 v[140:141], v[142:143], v[128:129], v[132:133] op_sel:[0,0,1] op_sel_hi:[1,1,0] neg_lo:[0,0,1] neg_hi:[0,0,1]
	v_pk_fma_f32 v[132:133], v[142:143], v[128:129], v[132:133] op_sel:[0,0,1] op_sel_hi:[1,0,0]
	s_delay_alu instid0(VALU_DEP_1) | instskip(NEXT) | instid1(VALU_DEP_1)
	v_mov_b32_e32 v141, v133
	v_pk_add_f32 v[20:21], v[20:21], v[140:141] neg_lo:[0,1] neg_hi:[0,1]
	ds_load_2addr_b64 v[140:143], v135 offset0:58 offset1:59
	s_wait_dscnt 0x0
	v_pk_mul_f32 v[132:133], v[140:141], v[130:131] op_sel:[0,1]
	s_delay_alu instid0(VALU_DEP_1) | instskip(SKIP_2) | instid1(VALU_DEP_2)
	v_pk_fma_f32 v[144:145], v[140:141], v[128:129], v[132:133] op_sel:[0,0,1] op_sel_hi:[1,1,0] neg_lo:[0,0,1] neg_hi:[0,0,1]
	v_pk_fma_f32 v[132:133], v[140:141], v[128:129], v[132:133] op_sel:[0,0,1] op_sel_hi:[1,0,0]
	v_dual_mul_f32 v140, v143, v131 :: v_dual_mov_b32 v132, v143
	v_dual_mov_b32 v145, v133 :: v_dual_mov_b32 v133, v142
	s_delay_alu instid0(VALU_DEP_2) | instskip(SKIP_1) | instid1(VALU_DEP_3)
	v_pk_fma_f32 v[140:141], v[142:143], v[94:95], v[140:141] op_sel_hi:[1,1,0] neg_lo:[0,0,1] neg_hi:[0,0,1]
	v_mul_f32_e32 v142, v143, v128
	v_pk_add_f32 v[18:19], v[18:19], v[144:145] neg_lo:[0,1] neg_hi:[0,1]
	s_delay_alu instid0(VALU_DEP_2) | instskip(NEXT) | instid1(VALU_DEP_1)
	v_pk_fma_f32 v[132:133], v[132:133], v[94:95], v[142:143] op_sel_hi:[1,1,0]
	v_mov_b32_e32 v141, v133
	ds_load_b64 v[132:133], v135 offset:480
	v_pk_add_f32 v[8:9], v[8:9], v[140:141] neg_lo:[0,1] neg_hi:[0,1]
	s_wait_dscnt 0x0
	v_pk_mul_f32 v[130:131], v[132:133], v[130:131] op_sel:[0,1]
	s_delay_alu instid0(VALU_DEP_1) | instskip(SKIP_1) | instid1(VALU_DEP_1)
	v_pk_fma_f32 v[140:141], v[132:133], v[128:129], v[130:131] op_sel:[0,0,1] op_sel_hi:[1,1,0] neg_lo:[0,0,1] neg_hi:[0,0,1]
	v_pk_fma_f32 v[128:129], v[132:133], v[128:129], v[130:131] op_sel:[0,0,1] op_sel_hi:[1,0,0]
	v_mov_b32_e32 v141, v129
	s_delay_alu instid0(VALU_DEP_1)
	v_pk_add_f32 v[126:127], v[126:127], v[140:141] neg_lo:[0,1] neg_hi:[0,1]
.LBB120_335:
	s_or_b32 exec_lo, exec_lo, s0
	v_lshl_add_u32 v128, v138, 3, v135
	s_barrier_signal -1
	s_barrier_wait -1
	ds_store_b64 v128, v[92:93]
	s_wait_dscnt 0x0
	s_barrier_signal -1
	s_barrier_wait -1
	ds_load_b64 v[130:131], v135 offset:128
	v_mov_b32_e32 v128, 16
	s_cmp_lt_i32 s18, 18
	s_cbranch_scc1 .LBB120_338
; %bb.336:
	v_add3_u32 v129, v136, 0, 0x88
	v_mov_b32_e32 v128, 16
	s_mov_b32 s0, 17
.LBB120_337:                            ; =>This Inner Loop Header: Depth=1
	ds_load_b64 v[132:133], v129
	s_wait_dscnt 0x1
	v_cmp_gt_f32_e32 vcc_lo, 0, v130
	v_cndmask_b32_e64 v140, v130, -v130, vcc_lo
	v_cmp_gt_f32_e32 vcc_lo, 0, v131
	v_cndmask_b32_e64 v142, v131, -v131, vcc_lo
	s_wait_dscnt 0x0
	v_cmp_gt_f32_e32 vcc_lo, 0, v132
	v_cndmask_b32_e64 v141, v132, -v132, vcc_lo
	v_cmp_gt_f32_e32 vcc_lo, 0, v133
	v_cndmask_b32_e64 v143, v133, -v133, vcc_lo
	s_delay_alu instid0(VALU_DEP_1) | instskip(NEXT) | instid1(VALU_DEP_1)
	v_pk_add_f32 v[140:141], v[140:141], v[142:143]
	v_cmp_lt_f32_e32 vcc_lo, v140, v141
	v_dual_cndmask_b32 v130, v130, v132 :: v_dual_add_nc_u32 v129, 8, v129
	v_cndmask_b32_e32 v131, v131, v133, vcc_lo
	v_cndmask_b32_e64 v128, v128, s0, vcc_lo
	s_add_co_i32 s0, s0, 1
	s_delay_alu instid0(SALU_CYCLE_1)
	s_cmp_lg_u32 s18, s0
	s_cbranch_scc1 .LBB120_337
.LBB120_338:
	s_wait_dscnt 0x0
	v_cmp_eq_f32_e32 vcc_lo, 0, v130
	v_cmp_eq_f32_e64 s0, 0, v131
	s_and_b32 s0, vcc_lo, s0
	s_delay_alu instid0(SALU_CYCLE_1) | instskip(NEXT) | instid1(SALU_CYCLE_1)
	s_and_saveexec_b32 s1, s0
	s_xor_b32 s0, exec_lo, s1
; %bb.339:
	v_cmp_ne_u32_e32 vcc_lo, 0, v134
	v_cndmask_b32_e32 v134, 17, v134, vcc_lo
; %bb.340:
	s_and_not1_saveexec_b32 s0, s0
	s_cbranch_execz .LBB120_346
; %bb.341:
	v_cmp_ngt_f32_e64 s1, |v130|, |v131|
	s_and_saveexec_b32 s12, s1
	s_delay_alu instid0(SALU_CYCLE_1)
	s_xor_b32 s1, exec_lo, s12
	s_cbranch_execz .LBB120_343
; %bb.342:
	v_div_scale_f32 v129, null, v131, v131, v130
	v_div_scale_f32 v139, vcc_lo, v130, v131, v130
	s_delay_alu instid0(VALU_DEP_2) | instskip(SKIP_1) | instid1(TRANS32_DEP_1)
	v_rcp_f32_e32 v132, v129
	v_nop
	v_fma_f32 v133, -v129, v132, 1.0
	s_delay_alu instid0(VALU_DEP_1) | instskip(NEXT) | instid1(VALU_DEP_1)
	v_fmac_f32_e32 v132, v133, v132
	v_mul_f32_e32 v133, v139, v132
	s_delay_alu instid0(VALU_DEP_1) | instskip(NEXT) | instid1(VALU_DEP_1)
	v_fma_f32 v140, -v129, v133, v139
	v_fmac_f32_e32 v133, v140, v132
	s_delay_alu instid0(VALU_DEP_1) | instskip(NEXT) | instid1(VALU_DEP_1)
	v_fma_f32 v129, -v129, v133, v139
	v_div_fmas_f32 v129, v129, v132, v133
	s_delay_alu instid0(VALU_DEP_1) | instskip(NEXT) | instid1(VALU_DEP_1)
	v_div_fixup_f32 v129, v129, v131, v130
	v_fmac_f32_e32 v131, v130, v129
	s_delay_alu instid0(VALU_DEP_1) | instskip(SKIP_1) | instid1(VALU_DEP_2)
	v_div_scale_f32 v130, null, v131, v131, 1.0
	v_div_scale_f32 v139, vcc_lo, 1.0, v131, 1.0
	v_rcp_f32_e32 v132, v130
	v_nop
	s_delay_alu instid0(TRANS32_DEP_1) | instskip(NEXT) | instid1(VALU_DEP_1)
	v_fma_f32 v133, -v130, v132, 1.0
	v_fmac_f32_e32 v132, v133, v132
	s_delay_alu instid0(VALU_DEP_1) | instskip(NEXT) | instid1(VALU_DEP_1)
	v_mul_f32_e32 v133, v139, v132
	v_fma_f32 v140, -v130, v133, v139
	s_delay_alu instid0(VALU_DEP_1) | instskip(NEXT) | instid1(VALU_DEP_1)
	v_fmac_f32_e32 v133, v140, v132
	v_fma_f32 v130, -v130, v133, v139
	s_delay_alu instid0(VALU_DEP_1) | instskip(NEXT) | instid1(VALU_DEP_1)
	v_div_fmas_f32 v130, v130, v132, v133
	v_div_fixup_f32 v131, v130, v131, 1.0
	s_delay_alu instid0(VALU_DEP_1)
	v_mul_f32_e32 v130, v129, v131
	v_xor_b32_e32 v131, 0x80000000, v131
.LBB120_343:
	s_and_not1_saveexec_b32 s1, s1
	s_cbranch_execz .LBB120_345
; %bb.344:
	s_delay_alu instid0(VALU_DEP_1) | instskip(SKIP_1) | instid1(VALU_DEP_2)
	v_div_scale_f32 v129, null, v130, v130, v131
	v_div_scale_f32 v139, vcc_lo, v131, v130, v131
	v_rcp_f32_e32 v132, v129
	v_nop
	s_delay_alu instid0(TRANS32_DEP_1) | instskip(NEXT) | instid1(VALU_DEP_1)
	v_fma_f32 v133, -v129, v132, 1.0
	v_fmac_f32_e32 v132, v133, v132
	s_delay_alu instid0(VALU_DEP_1) | instskip(NEXT) | instid1(VALU_DEP_1)
	v_mul_f32_e32 v133, v139, v132
	v_fma_f32 v140, -v129, v133, v139
	s_delay_alu instid0(VALU_DEP_1) | instskip(NEXT) | instid1(VALU_DEP_1)
	v_fmac_f32_e32 v133, v140, v132
	v_fma_f32 v129, -v129, v133, v139
	s_delay_alu instid0(VALU_DEP_1) | instskip(NEXT) | instid1(VALU_DEP_1)
	v_div_fmas_f32 v129, v129, v132, v133
	v_div_fixup_f32 v129, v129, v130, v131
	s_delay_alu instid0(VALU_DEP_1) | instskip(NEXT) | instid1(VALU_DEP_1)
	v_fmac_f32_e32 v130, v131, v129
	v_div_scale_f32 v131, null, v130, v130, 1.0
	s_delay_alu instid0(VALU_DEP_1) | instskip(SKIP_1) | instid1(TRANS32_DEP_1)
	v_rcp_f32_e32 v132, v131
	v_nop
	v_fma_f32 v133, -v131, v132, 1.0
	s_delay_alu instid0(VALU_DEP_1) | instskip(SKIP_1) | instid1(VALU_DEP_1)
	v_fmac_f32_e32 v132, v133, v132
	v_div_scale_f32 v133, vcc_lo, 1.0, v130, 1.0
	v_mul_f32_e32 v139, v133, v132
	s_delay_alu instid0(VALU_DEP_1) | instskip(NEXT) | instid1(VALU_DEP_1)
	v_fma_f32 v140, -v131, v139, v133
	v_fmac_f32_e32 v139, v140, v132
	s_delay_alu instid0(VALU_DEP_1) | instskip(NEXT) | instid1(VALU_DEP_1)
	v_fma_f32 v131, -v131, v139, v133
	v_div_fmas_f32 v131, v131, v132, v139
	s_delay_alu instid0(VALU_DEP_1) | instskip(NEXT) | instid1(VALU_DEP_1)
	v_div_fixup_f32 v130, v131, v130, 1.0
	v_mul_f32_e64 v131, v129, -v130
.LBB120_345:
	s_or_b32 exec_lo, exec_lo, s1
.LBB120_346:
	s_delay_alu instid0(SALU_CYCLE_1) | instskip(NEXT) | instid1(SALU_CYCLE_1)
	s_or_b32 exec_lo, exec_lo, s0
	s_mov_b32 s0, exec_lo
	v_cmpx_ne_u32_e64 v138, v128
	s_xor_b32 s0, exec_lo, s0
	s_cbranch_execz .LBB120_352
; %bb.347:
	s_mov_b32 s1, exec_lo
	v_cmpx_eq_u32_e32 16, v138
	s_cbranch_execz .LBB120_351
; %bb.348:
	v_cmp_ne_u32_e32 vcc_lo, 16, v128
	s_xor_b32 s12, s16, -1
	s_delay_alu instid0(SALU_CYCLE_1) | instskip(NEXT) | instid1(SALU_CYCLE_1)
	s_and_b32 s13, s12, vcc_lo
	s_and_saveexec_b32 s12, s13
	s_cbranch_execz .LBB120_350
; %bb.349:
	v_ashrrev_i32_e32 v129, 31, v128
	s_delay_alu instid0(VALU_DEP_1)
	v_lshl_add_u64 v[132:133], v[128:129], 2, v[4:5]
	s_clause 0x1
	global_load_b32 v129, v[132:133], off
	global_load_b32 v137, v[4:5], off offset:64
	s_wait_loadcnt 0x1
	global_store_b32 v[4:5], v129, off offset:64
	s_wait_loadcnt 0x0
	global_store_b32 v[132:133], v137, off
.LBB120_350:
	s_wait_xcnt 0x0
	s_or_b32 exec_lo, exec_lo, s12
	v_dual_mov_b32 v138, v128 :: v_dual_mov_b32 v137, v128
.LBB120_351:
	s_or_b32 exec_lo, exec_lo, s1
.LBB120_352:
	s_and_not1_saveexec_b32 s0, s0
	s_cbranch_execz .LBB120_354
; %bb.353:
	v_mov_b32_e32 v138, 16
	ds_store_2addr_b64 v135, v[88:89], v[90:91] offset0:17 offset1:18
	ds_store_2addr_b64 v135, v[86:87], v[84:85] offset0:19 offset1:20
	;; [unrolled: 1-line block ×22, first 2 shown]
.LBB120_354:
	s_or_b32 exec_lo, exec_lo, s0
	s_delay_alu instid0(SALU_CYCLE_1)
	s_mov_b32 s0, exec_lo
	s_wait_storecnt_dscnt 0x0
	s_barrier_signal -1
	s_barrier_wait -1
	v_cmpx_lt_i32_e32 16, v138
	s_cbranch_execz .LBB120_356
; %bb.355:
	ds_load_2addr_b64 v[140:143], v135 offset0:17 offset1:18
	v_pk_mul_f32 v[132:133], v[130:131], v[92:93] op_sel:[1,1] op_sel_hi:[0,1]
	s_delay_alu instid0(VALU_DEP_1) | instskip(SKIP_1) | instid1(VALU_DEP_1)
	v_pk_fma_f32 v[128:129], v[130:131], v[92:93], v[132:133] op_sel_hi:[1,0,1] neg_lo:[0,0,1] neg_hi:[0,0,1]
	v_pk_fma_f32 v[130:131], v[130:131], v[92:93], v[132:133] op_sel_hi:[1,0,1]
	v_dual_mov_b32 v92, v128 :: v_dual_mov_b32 v93, v131
	s_wait_dscnt 0x0
	s_delay_alu instid0(VALU_DEP_2) | instskip(NEXT) | instid1(VALU_DEP_1)
	v_pk_mul_f32 v[132:133], v[140:141], v[130:131] op_sel:[0,1]
	v_pk_fma_f32 v[144:145], v[140:141], v[128:129], v[132:133] op_sel:[0,0,1] op_sel_hi:[1,1,0] neg_lo:[0,0,1] neg_hi:[0,0,1]
	v_pk_fma_f32 v[132:133], v[140:141], v[128:129], v[132:133] op_sel:[0,0,1] op_sel_hi:[1,0,0]
	s_delay_alu instid0(VALU_DEP_1) | instskip(SKIP_1) | instid1(VALU_DEP_1)
	v_mov_b32_e32 v145, v133
	v_pk_mul_f32 v[132:133], v[142:143], v[130:131] op_sel:[0,1]
	v_pk_fma_f32 v[140:141], v[142:143], v[128:129], v[132:133] op_sel:[0,0,1] op_sel_hi:[1,1,0] neg_lo:[0,0,1] neg_hi:[0,0,1]
	v_pk_fma_f32 v[132:133], v[142:143], v[128:129], v[132:133] op_sel:[0,0,1] op_sel_hi:[1,0,0]
	s_delay_alu instid0(VALU_DEP_1) | instskip(SKIP_1) | instid1(VALU_DEP_2)
	v_mov_b32_e32 v141, v133
	v_pk_add_f32 v[88:89], v[88:89], v[144:145] neg_lo:[0,1] neg_hi:[0,1]
	v_pk_add_f32 v[90:91], v[90:91], v[140:141] neg_lo:[0,1] neg_hi:[0,1]
	ds_load_2addr_b64 v[140:143], v135 offset0:19 offset1:20
	s_wait_dscnt 0x0
	v_pk_mul_f32 v[132:133], v[140:141], v[130:131] op_sel:[0,1]
	s_delay_alu instid0(VALU_DEP_1) | instskip(SKIP_2) | instid1(VALU_DEP_2)
	v_pk_fma_f32 v[144:145], v[140:141], v[128:129], v[132:133] op_sel:[0,0,1] op_sel_hi:[1,1,0] neg_lo:[0,0,1] neg_hi:[0,0,1]
	v_pk_fma_f32 v[132:133], v[140:141], v[128:129], v[132:133] op_sel:[0,0,1] op_sel_hi:[1,0,0]
	v_dual_mul_f32 v140, v143, v131 :: v_dual_mov_b32 v132, v143
	v_dual_mov_b32 v145, v133 :: v_dual_mov_b32 v133, v142
	s_delay_alu instid0(VALU_DEP_2) | instskip(SKIP_1) | instid1(VALU_DEP_3)
	v_pk_fma_f32 v[140:141], v[142:143], v[92:93], v[140:141] op_sel_hi:[1,1,0] neg_lo:[0,0,1] neg_hi:[0,0,1]
	v_mul_f32_e32 v142, v143, v128
	v_pk_add_f32 v[86:87], v[86:87], v[144:145] neg_lo:[0,1] neg_hi:[0,1]
	s_delay_alu instid0(VALU_DEP_2) | instskip(NEXT) | instid1(VALU_DEP_1)
	v_pk_fma_f32 v[132:133], v[132:133], v[92:93], v[142:143] op_sel_hi:[1,1,0]
	v_mov_b32_e32 v141, v133
	s_delay_alu instid0(VALU_DEP_1) | instskip(SKIP_3) | instid1(VALU_DEP_1)
	v_pk_add_f32 v[84:85], v[84:85], v[140:141] neg_lo:[0,1] neg_hi:[0,1]
	ds_load_2addr_b64 v[140:143], v135 offset0:21 offset1:22
	s_wait_dscnt 0x0
	v_pk_mul_f32 v[132:133], v[140:141], v[130:131] op_sel:[0,1]
	v_pk_fma_f32 v[144:145], v[140:141], v[128:129], v[132:133] op_sel:[0,0,1] op_sel_hi:[1,1,0] neg_lo:[0,0,1] neg_hi:[0,0,1]
	v_pk_fma_f32 v[132:133], v[140:141], v[128:129], v[132:133] op_sel:[0,0,1] op_sel_hi:[1,0,0]
	s_delay_alu instid0(VALU_DEP_1) | instskip(SKIP_1) | instid1(VALU_DEP_1)
	v_mov_b32_e32 v145, v133
	v_pk_mul_f32 v[132:133], v[142:143], v[130:131] op_sel:[0,1]
	v_pk_fma_f32 v[140:141], v[142:143], v[128:129], v[132:133] op_sel:[0,0,1] op_sel_hi:[1,1,0] neg_lo:[0,0,1] neg_hi:[0,0,1]
	v_pk_fma_f32 v[132:133], v[142:143], v[128:129], v[132:133] op_sel:[0,0,1] op_sel_hi:[1,0,0]
	s_delay_alu instid0(VALU_DEP_1) | instskip(SKIP_1) | instid1(VALU_DEP_2)
	v_mov_b32_e32 v141, v133
	v_pk_add_f32 v[80:81], v[80:81], v[144:145] neg_lo:[0,1] neg_hi:[0,1]
	v_pk_add_f32 v[82:83], v[82:83], v[140:141] neg_lo:[0,1] neg_hi:[0,1]
	ds_load_2addr_b64 v[140:143], v135 offset0:23 offset1:24
	s_wait_dscnt 0x0
	v_pk_mul_f32 v[132:133], v[140:141], v[130:131] op_sel:[0,1]
	s_delay_alu instid0(VALU_DEP_1) | instskip(SKIP_1) | instid1(VALU_DEP_1)
	v_pk_fma_f32 v[144:145], v[140:141], v[128:129], v[132:133] op_sel:[0,0,1] op_sel_hi:[1,1,0] neg_lo:[0,0,1] neg_hi:[0,0,1]
	v_pk_fma_f32 v[132:133], v[140:141], v[128:129], v[132:133] op_sel:[0,0,1] op_sel_hi:[1,0,0]
	v_mov_b32_e32 v145, v133
	v_pk_mul_f32 v[132:133], v[142:143], v[130:131] op_sel:[0,1]
	s_delay_alu instid0(VALU_DEP_1) | instskip(SKIP_1) | instid1(VALU_DEP_1)
	v_pk_fma_f32 v[140:141], v[142:143], v[128:129], v[132:133] op_sel:[0,0,1] op_sel_hi:[1,1,0] neg_lo:[0,0,1] neg_hi:[0,0,1]
	v_pk_fma_f32 v[132:133], v[142:143], v[128:129], v[132:133] op_sel:[0,0,1] op_sel_hi:[1,0,0]
	v_mov_b32_e32 v141, v133
	v_pk_add_f32 v[78:79], v[78:79], v[144:145] neg_lo:[0,1] neg_hi:[0,1]
	s_delay_alu instid0(VALU_DEP_2) | instskip(SKIP_3) | instid1(VALU_DEP_1)
	v_pk_add_f32 v[76:77], v[76:77], v[140:141] neg_lo:[0,1] neg_hi:[0,1]
	ds_load_2addr_b64 v[140:143], v135 offset0:25 offset1:26
	s_wait_dscnt 0x0
	v_dual_mul_f32 v132, v141, v131 :: v_dual_mul_f32 v144, v141, v128
	v_pk_fma_f32 v[132:133], v[140:141], v[92:93], v[132:133] op_sel_hi:[1,1,0] neg_lo:[0,0,1] neg_hi:[0,0,1]
	s_delay_alu instid0(VALU_DEP_2) | instskip(NEXT) | instid1(VALU_DEP_1)
	v_pk_fma_f32 v[140:141], v[140:141], v[92:93], v[144:145] op_sel:[1,0,0] op_sel_hi:[0,1,0]
	v_mov_b32_e32 v133, v141
	s_delay_alu instid0(VALU_DEP_1) | instskip(SKIP_1) | instid1(VALU_DEP_1)
	v_pk_add_f32 v[72:73], v[72:73], v[132:133] neg_lo:[0,1] neg_hi:[0,1]
	v_pk_mul_f32 v[132:133], v[142:143], v[130:131] op_sel:[0,1]
	v_pk_fma_f32 v[140:141], v[142:143], v[128:129], v[132:133] op_sel:[0,0,1] op_sel_hi:[1,1,0] neg_lo:[0,0,1] neg_hi:[0,0,1]
	v_pk_fma_f32 v[132:133], v[142:143], v[128:129], v[132:133] op_sel:[0,0,1] op_sel_hi:[1,0,0]
	s_delay_alu instid0(VALU_DEP_1) | instskip(NEXT) | instid1(VALU_DEP_1)
	v_mov_b32_e32 v141, v133
	v_pk_add_f32 v[74:75], v[74:75], v[140:141] neg_lo:[0,1] neg_hi:[0,1]
	ds_load_2addr_b64 v[140:143], v135 offset0:27 offset1:28
	s_wait_dscnt 0x0
	v_pk_mul_f32 v[132:133], v[140:141], v[130:131] op_sel:[0,1]
	s_delay_alu instid0(VALU_DEP_1) | instskip(SKIP_1) | instid1(VALU_DEP_1)
	v_pk_fma_f32 v[144:145], v[140:141], v[128:129], v[132:133] op_sel:[0,0,1] op_sel_hi:[1,1,0] neg_lo:[0,0,1] neg_hi:[0,0,1]
	v_pk_fma_f32 v[132:133], v[140:141], v[128:129], v[132:133] op_sel:[0,0,1] op_sel_hi:[1,0,0]
	v_mov_b32_e32 v145, v133
	v_pk_mul_f32 v[132:133], v[142:143], v[130:131] op_sel:[0,1]
	s_delay_alu instid0(VALU_DEP_2) | instskip(NEXT) | instid1(VALU_DEP_2)
	v_pk_add_f32 v[70:71], v[70:71], v[144:145] neg_lo:[0,1] neg_hi:[0,1]
	v_pk_fma_f32 v[140:141], v[142:143], v[128:129], v[132:133] op_sel:[0,0,1] op_sel_hi:[1,1,0] neg_lo:[0,0,1] neg_hi:[0,0,1]
	v_pk_fma_f32 v[132:133], v[142:143], v[128:129], v[132:133] op_sel:[0,0,1] op_sel_hi:[1,0,0]
	s_delay_alu instid0(VALU_DEP_1) | instskip(NEXT) | instid1(VALU_DEP_1)
	v_mov_b32_e32 v141, v133
	v_pk_add_f32 v[68:69], v[68:69], v[140:141] neg_lo:[0,1] neg_hi:[0,1]
	ds_load_2addr_b64 v[140:143], v135 offset0:29 offset1:30
	s_wait_dscnt 0x0
	v_pk_mul_f32 v[132:133], v[140:141], v[130:131] op_sel:[0,1]
	s_delay_alu instid0(VALU_DEP_1) | instskip(SKIP_2) | instid1(VALU_DEP_2)
	v_pk_fma_f32 v[144:145], v[140:141], v[128:129], v[132:133] op_sel:[0,0,1] op_sel_hi:[1,1,0] neg_lo:[0,0,1] neg_hi:[0,0,1]
	v_pk_fma_f32 v[132:133], v[140:141], v[128:129], v[132:133] op_sel:[0,0,1] op_sel_hi:[1,0,0]
	v_dual_mul_f32 v140, v143, v131 :: v_dual_mov_b32 v132, v143
	v_dual_mov_b32 v145, v133 :: v_dual_mov_b32 v133, v142
	s_delay_alu instid0(VALU_DEP_2) | instskip(SKIP_1) | instid1(VALU_DEP_3)
	v_pk_fma_f32 v[140:141], v[142:143], v[92:93], v[140:141] op_sel_hi:[1,1,0] neg_lo:[0,0,1] neg_hi:[0,0,1]
	v_mul_f32_e32 v142, v143, v128
	v_pk_add_f32 v[64:65], v[64:65], v[144:145] neg_lo:[0,1] neg_hi:[0,1]
	s_delay_alu instid0(VALU_DEP_2) | instskip(NEXT) | instid1(VALU_DEP_1)
	v_pk_fma_f32 v[132:133], v[132:133], v[92:93], v[142:143] op_sel_hi:[1,1,0]
	v_mov_b32_e32 v141, v133
	s_delay_alu instid0(VALU_DEP_1) | instskip(SKIP_3) | instid1(VALU_DEP_1)
	v_pk_add_f32 v[66:67], v[66:67], v[140:141] neg_lo:[0,1] neg_hi:[0,1]
	ds_load_2addr_b64 v[140:143], v135 offset0:31 offset1:32
	s_wait_dscnt 0x0
	v_pk_mul_f32 v[132:133], v[140:141], v[130:131] op_sel:[0,1]
	v_pk_fma_f32 v[144:145], v[140:141], v[128:129], v[132:133] op_sel:[0,0,1] op_sel_hi:[1,1,0] neg_lo:[0,0,1] neg_hi:[0,0,1]
	v_pk_fma_f32 v[132:133], v[140:141], v[128:129], v[132:133] op_sel:[0,0,1] op_sel_hi:[1,0,0]
	s_delay_alu instid0(VALU_DEP_1) | instskip(SKIP_1) | instid1(VALU_DEP_1)
	v_mov_b32_e32 v145, v133
	v_pk_mul_f32 v[132:133], v[142:143], v[130:131] op_sel:[0,1]
	v_pk_fma_f32 v[140:141], v[142:143], v[128:129], v[132:133] op_sel:[0,0,1] op_sel_hi:[1,1,0] neg_lo:[0,0,1] neg_hi:[0,0,1]
	v_pk_fma_f32 v[132:133], v[142:143], v[128:129], v[132:133] op_sel:[0,0,1] op_sel_hi:[1,0,0]
	s_delay_alu instid0(VALU_DEP_1) | instskip(SKIP_1) | instid1(VALU_DEP_2)
	v_mov_b32_e32 v141, v133
	v_pk_add_f32 v[62:63], v[62:63], v[144:145] neg_lo:[0,1] neg_hi:[0,1]
	v_pk_add_f32 v[60:61], v[60:61], v[140:141] neg_lo:[0,1] neg_hi:[0,1]
	ds_load_2addr_b64 v[140:143], v135 offset0:33 offset1:34
	s_wait_dscnt 0x0
	v_pk_mul_f32 v[132:133], v[140:141], v[130:131] op_sel:[0,1]
	s_delay_alu instid0(VALU_DEP_1) | instskip(SKIP_1) | instid1(VALU_DEP_1)
	v_pk_fma_f32 v[144:145], v[140:141], v[128:129], v[132:133] op_sel:[0,0,1] op_sel_hi:[1,1,0] neg_lo:[0,0,1] neg_hi:[0,0,1]
	v_pk_fma_f32 v[132:133], v[140:141], v[128:129], v[132:133] op_sel:[0,0,1] op_sel_hi:[1,0,0]
	v_mov_b32_e32 v145, v133
	v_pk_mul_f32 v[132:133], v[142:143], v[130:131] op_sel:[0,1]
	s_delay_alu instid0(VALU_DEP_1) | instskip(SKIP_1) | instid1(VALU_DEP_1)
	v_pk_fma_f32 v[140:141], v[142:143], v[128:129], v[132:133] op_sel:[0,0,1] op_sel_hi:[1,1,0] neg_lo:[0,0,1] neg_hi:[0,0,1]
	v_pk_fma_f32 v[132:133], v[142:143], v[128:129], v[132:133] op_sel:[0,0,1] op_sel_hi:[1,0,0]
	v_mov_b32_e32 v141, v133
	v_pk_add_f32 v[56:57], v[56:57], v[144:145] neg_lo:[0,1] neg_hi:[0,1]
	s_delay_alu instid0(VALU_DEP_2) | instskip(SKIP_3) | instid1(VALU_DEP_1)
	v_pk_add_f32 v[58:59], v[58:59], v[140:141] neg_lo:[0,1] neg_hi:[0,1]
	ds_load_2addr_b64 v[140:143], v135 offset0:35 offset1:36
	s_wait_dscnt 0x0
	v_dual_mul_f32 v132, v141, v131 :: v_dual_mul_f32 v144, v141, v128
	v_pk_fma_f32 v[132:133], v[140:141], v[92:93], v[132:133] op_sel_hi:[1,1,0] neg_lo:[0,0,1] neg_hi:[0,0,1]
	s_delay_alu instid0(VALU_DEP_2) | instskip(NEXT) | instid1(VALU_DEP_1)
	v_pk_fma_f32 v[140:141], v[140:141], v[92:93], v[144:145] op_sel:[1,0,0] op_sel_hi:[0,1,0]
	v_mov_b32_e32 v133, v141
	s_delay_alu instid0(VALU_DEP_1) | instskip(SKIP_1) | instid1(VALU_DEP_1)
	v_pk_add_f32 v[54:55], v[54:55], v[132:133] neg_lo:[0,1] neg_hi:[0,1]
	v_pk_mul_f32 v[132:133], v[142:143], v[130:131] op_sel:[0,1]
	v_pk_fma_f32 v[140:141], v[142:143], v[128:129], v[132:133] op_sel:[0,0,1] op_sel_hi:[1,1,0] neg_lo:[0,0,1] neg_hi:[0,0,1]
	v_pk_fma_f32 v[132:133], v[142:143], v[128:129], v[132:133] op_sel:[0,0,1] op_sel_hi:[1,0,0]
	s_delay_alu instid0(VALU_DEP_1) | instskip(NEXT) | instid1(VALU_DEP_1)
	v_mov_b32_e32 v141, v133
	v_pk_add_f32 v[52:53], v[52:53], v[140:141] neg_lo:[0,1] neg_hi:[0,1]
	ds_load_2addr_b64 v[140:143], v135 offset0:37 offset1:38
	s_wait_dscnt 0x0
	v_pk_mul_f32 v[132:133], v[140:141], v[130:131] op_sel:[0,1]
	s_delay_alu instid0(VALU_DEP_1) | instskip(SKIP_1) | instid1(VALU_DEP_1)
	v_pk_fma_f32 v[144:145], v[140:141], v[128:129], v[132:133] op_sel:[0,0,1] op_sel_hi:[1,1,0] neg_lo:[0,0,1] neg_hi:[0,0,1]
	v_pk_fma_f32 v[132:133], v[140:141], v[128:129], v[132:133] op_sel:[0,0,1] op_sel_hi:[1,0,0]
	v_mov_b32_e32 v145, v133
	v_pk_mul_f32 v[132:133], v[142:143], v[130:131] op_sel:[0,1]
	s_delay_alu instid0(VALU_DEP_2) | instskip(NEXT) | instid1(VALU_DEP_2)
	v_pk_add_f32 v[48:49], v[48:49], v[144:145] neg_lo:[0,1] neg_hi:[0,1]
	v_pk_fma_f32 v[140:141], v[142:143], v[128:129], v[132:133] op_sel:[0,0,1] op_sel_hi:[1,1,0] neg_lo:[0,0,1] neg_hi:[0,0,1]
	v_pk_fma_f32 v[132:133], v[142:143], v[128:129], v[132:133] op_sel:[0,0,1] op_sel_hi:[1,0,0]
	s_delay_alu instid0(VALU_DEP_1) | instskip(NEXT) | instid1(VALU_DEP_1)
	v_mov_b32_e32 v141, v133
	v_pk_add_f32 v[50:51], v[50:51], v[140:141] neg_lo:[0,1] neg_hi:[0,1]
	ds_load_2addr_b64 v[140:143], v135 offset0:39 offset1:40
	s_wait_dscnt 0x0
	v_pk_mul_f32 v[132:133], v[140:141], v[130:131] op_sel:[0,1]
	s_delay_alu instid0(VALU_DEP_1) | instskip(SKIP_2) | instid1(VALU_DEP_2)
	v_pk_fma_f32 v[144:145], v[140:141], v[128:129], v[132:133] op_sel:[0,0,1] op_sel_hi:[1,1,0] neg_lo:[0,0,1] neg_hi:[0,0,1]
	v_pk_fma_f32 v[132:133], v[140:141], v[128:129], v[132:133] op_sel:[0,0,1] op_sel_hi:[1,0,0]
	v_dual_mul_f32 v140, v143, v131 :: v_dual_mov_b32 v132, v143
	v_dual_mov_b32 v145, v133 :: v_dual_mov_b32 v133, v142
	s_delay_alu instid0(VALU_DEP_2) | instskip(SKIP_1) | instid1(VALU_DEP_3)
	v_pk_fma_f32 v[140:141], v[142:143], v[92:93], v[140:141] op_sel_hi:[1,1,0] neg_lo:[0,0,1] neg_hi:[0,0,1]
	v_mul_f32_e32 v142, v143, v128
	v_pk_add_f32 v[46:47], v[46:47], v[144:145] neg_lo:[0,1] neg_hi:[0,1]
	s_delay_alu instid0(VALU_DEP_2) | instskip(NEXT) | instid1(VALU_DEP_1)
	v_pk_fma_f32 v[132:133], v[132:133], v[92:93], v[142:143] op_sel_hi:[1,1,0]
	v_mov_b32_e32 v141, v133
	s_delay_alu instid0(VALU_DEP_1) | instskip(SKIP_3) | instid1(VALU_DEP_1)
	v_pk_add_f32 v[42:43], v[42:43], v[140:141] neg_lo:[0,1] neg_hi:[0,1]
	ds_load_2addr_b64 v[140:143], v135 offset0:41 offset1:42
	s_wait_dscnt 0x0
	v_pk_mul_f32 v[132:133], v[140:141], v[130:131] op_sel:[0,1]
	v_pk_fma_f32 v[144:145], v[140:141], v[128:129], v[132:133] op_sel:[0,0,1] op_sel_hi:[1,1,0] neg_lo:[0,0,1] neg_hi:[0,0,1]
	v_pk_fma_f32 v[132:133], v[140:141], v[128:129], v[132:133] op_sel:[0,0,1] op_sel_hi:[1,0,0]
	s_delay_alu instid0(VALU_DEP_1) | instskip(SKIP_1) | instid1(VALU_DEP_1)
	v_mov_b32_e32 v145, v133
	v_pk_mul_f32 v[132:133], v[142:143], v[130:131] op_sel:[0,1]
	v_pk_fma_f32 v[140:141], v[142:143], v[128:129], v[132:133] op_sel:[0,0,1] op_sel_hi:[1,1,0] neg_lo:[0,0,1] neg_hi:[0,0,1]
	v_pk_fma_f32 v[132:133], v[142:143], v[128:129], v[132:133] op_sel:[0,0,1] op_sel_hi:[1,0,0]
	s_delay_alu instid0(VALU_DEP_1) | instskip(SKIP_1) | instid1(VALU_DEP_2)
	v_mov_b32_e32 v141, v133
	v_pk_add_f32 v[38:39], v[38:39], v[144:145] neg_lo:[0,1] neg_hi:[0,1]
	v_pk_add_f32 v[40:41], v[40:41], v[140:141] neg_lo:[0,1] neg_hi:[0,1]
	ds_load_2addr_b64 v[140:143], v135 offset0:43 offset1:44
	s_wait_dscnt 0x0
	v_pk_mul_f32 v[132:133], v[140:141], v[130:131] op_sel:[0,1]
	s_delay_alu instid0(VALU_DEP_1) | instskip(SKIP_1) | instid1(VALU_DEP_1)
	v_pk_fma_f32 v[144:145], v[140:141], v[128:129], v[132:133] op_sel:[0,0,1] op_sel_hi:[1,1,0] neg_lo:[0,0,1] neg_hi:[0,0,1]
	v_pk_fma_f32 v[132:133], v[140:141], v[128:129], v[132:133] op_sel:[0,0,1] op_sel_hi:[1,0,0]
	v_mov_b32_e32 v145, v133
	v_pk_mul_f32 v[132:133], v[142:143], v[130:131] op_sel:[0,1]
	s_delay_alu instid0(VALU_DEP_1) | instskip(SKIP_1) | instid1(VALU_DEP_1)
	v_pk_fma_f32 v[140:141], v[142:143], v[128:129], v[132:133] op_sel:[0,0,1] op_sel_hi:[1,1,0] neg_lo:[0,0,1] neg_hi:[0,0,1]
	v_pk_fma_f32 v[132:133], v[142:143], v[128:129], v[132:133] op_sel:[0,0,1] op_sel_hi:[1,0,0]
	v_mov_b32_e32 v141, v133
	v_pk_add_f32 v[36:37], v[36:37], v[144:145] neg_lo:[0,1] neg_hi:[0,1]
	s_delay_alu instid0(VALU_DEP_2) | instskip(SKIP_3) | instid1(VALU_DEP_1)
	v_pk_add_f32 v[34:35], v[34:35], v[140:141] neg_lo:[0,1] neg_hi:[0,1]
	ds_load_2addr_b64 v[140:143], v135 offset0:45 offset1:46
	s_wait_dscnt 0x0
	v_dual_mul_f32 v132, v141, v131 :: v_dual_mul_f32 v144, v141, v128
	v_pk_fma_f32 v[132:133], v[140:141], v[92:93], v[132:133] op_sel_hi:[1,1,0] neg_lo:[0,0,1] neg_hi:[0,0,1]
	s_delay_alu instid0(VALU_DEP_2) | instskip(NEXT) | instid1(VALU_DEP_1)
	v_pk_fma_f32 v[140:141], v[140:141], v[92:93], v[144:145] op_sel:[1,0,0] op_sel_hi:[0,1,0]
	v_mov_b32_e32 v133, v141
	s_delay_alu instid0(VALU_DEP_1) | instskip(SKIP_1) | instid1(VALU_DEP_1)
	v_pk_add_f32 v[30:31], v[30:31], v[132:133] neg_lo:[0,1] neg_hi:[0,1]
	v_pk_mul_f32 v[132:133], v[142:143], v[130:131] op_sel:[0,1]
	v_pk_fma_f32 v[140:141], v[142:143], v[128:129], v[132:133] op_sel:[0,0,1] op_sel_hi:[1,1,0] neg_lo:[0,0,1] neg_hi:[0,0,1]
	v_pk_fma_f32 v[132:133], v[142:143], v[128:129], v[132:133] op_sel:[0,0,1] op_sel_hi:[1,0,0]
	s_delay_alu instid0(VALU_DEP_1) | instskip(NEXT) | instid1(VALU_DEP_1)
	v_mov_b32_e32 v141, v133
	v_pk_add_f32 v[32:33], v[32:33], v[140:141] neg_lo:[0,1] neg_hi:[0,1]
	ds_load_2addr_b64 v[140:143], v135 offset0:47 offset1:48
	s_wait_dscnt 0x0
	v_pk_mul_f32 v[132:133], v[140:141], v[130:131] op_sel:[0,1]
	s_delay_alu instid0(VALU_DEP_1) | instskip(SKIP_1) | instid1(VALU_DEP_1)
	v_pk_fma_f32 v[144:145], v[140:141], v[128:129], v[132:133] op_sel:[0,0,1] op_sel_hi:[1,1,0] neg_lo:[0,0,1] neg_hi:[0,0,1]
	v_pk_fma_f32 v[132:133], v[140:141], v[128:129], v[132:133] op_sel:[0,0,1] op_sel_hi:[1,0,0]
	v_mov_b32_e32 v145, v133
	v_pk_mul_f32 v[132:133], v[142:143], v[130:131] op_sel:[0,1]
	s_delay_alu instid0(VALU_DEP_2) | instskip(NEXT) | instid1(VALU_DEP_2)
	v_pk_add_f32 v[28:29], v[28:29], v[144:145] neg_lo:[0,1] neg_hi:[0,1]
	v_pk_fma_f32 v[140:141], v[142:143], v[128:129], v[132:133] op_sel:[0,0,1] op_sel_hi:[1,1,0] neg_lo:[0,0,1] neg_hi:[0,0,1]
	v_pk_fma_f32 v[132:133], v[142:143], v[128:129], v[132:133] op_sel:[0,0,1] op_sel_hi:[1,0,0]
	s_delay_alu instid0(VALU_DEP_1) | instskip(NEXT) | instid1(VALU_DEP_1)
	v_mov_b32_e32 v141, v133
	v_pk_add_f32 v[26:27], v[26:27], v[140:141] neg_lo:[0,1] neg_hi:[0,1]
	ds_load_2addr_b64 v[140:143], v135 offset0:49 offset1:50
	s_wait_dscnt 0x0
	v_pk_mul_f32 v[132:133], v[140:141], v[130:131] op_sel:[0,1]
	s_delay_alu instid0(VALU_DEP_1) | instskip(SKIP_2) | instid1(VALU_DEP_2)
	v_pk_fma_f32 v[144:145], v[140:141], v[128:129], v[132:133] op_sel:[0,0,1] op_sel_hi:[1,1,0] neg_lo:[0,0,1] neg_hi:[0,0,1]
	v_pk_fma_f32 v[132:133], v[140:141], v[128:129], v[132:133] op_sel:[0,0,1] op_sel_hi:[1,0,0]
	v_dual_mul_f32 v140, v143, v131 :: v_dual_mov_b32 v132, v143
	v_dual_mov_b32 v145, v133 :: v_dual_mov_b32 v133, v142
	s_delay_alu instid0(VALU_DEP_2) | instskip(SKIP_1) | instid1(VALU_DEP_3)
	v_pk_fma_f32 v[140:141], v[142:143], v[92:93], v[140:141] op_sel_hi:[1,1,0] neg_lo:[0,0,1] neg_hi:[0,0,1]
	v_mul_f32_e32 v142, v143, v128
	v_pk_add_f32 v[22:23], v[22:23], v[144:145] neg_lo:[0,1] neg_hi:[0,1]
	s_delay_alu instid0(VALU_DEP_2) | instskip(NEXT) | instid1(VALU_DEP_1)
	v_pk_fma_f32 v[132:133], v[132:133], v[92:93], v[142:143] op_sel_hi:[1,1,0]
	v_mov_b32_e32 v141, v133
	s_delay_alu instid0(VALU_DEP_1) | instskip(SKIP_3) | instid1(VALU_DEP_1)
	v_pk_add_f32 v[24:25], v[24:25], v[140:141] neg_lo:[0,1] neg_hi:[0,1]
	ds_load_2addr_b64 v[140:143], v135 offset0:51 offset1:52
	s_wait_dscnt 0x0
	v_pk_mul_f32 v[132:133], v[140:141], v[130:131] op_sel:[0,1]
	v_pk_fma_f32 v[144:145], v[140:141], v[128:129], v[132:133] op_sel:[0,0,1] op_sel_hi:[1,1,0] neg_lo:[0,0,1] neg_hi:[0,0,1]
	v_pk_fma_f32 v[132:133], v[140:141], v[128:129], v[132:133] op_sel:[0,0,1] op_sel_hi:[1,0,0]
	s_delay_alu instid0(VALU_DEP_1) | instskip(SKIP_1) | instid1(VALU_DEP_1)
	v_mov_b32_e32 v145, v133
	v_pk_mul_f32 v[132:133], v[142:143], v[130:131] op_sel:[0,1]
	v_pk_fma_f32 v[140:141], v[142:143], v[128:129], v[132:133] op_sel:[0,0,1] op_sel_hi:[1,1,0] neg_lo:[0,0,1] neg_hi:[0,0,1]
	v_pk_fma_f32 v[132:133], v[142:143], v[128:129], v[132:133] op_sel:[0,0,1] op_sel_hi:[1,0,0]
	s_delay_alu instid0(VALU_DEP_1) | instskip(SKIP_1) | instid1(VALU_DEP_2)
	v_mov_b32_e32 v141, v133
	v_pk_add_f32 v[44:45], v[44:45], v[144:145] neg_lo:[0,1] neg_hi:[0,1]
	v_pk_add_f32 v[16:17], v[16:17], v[140:141] neg_lo:[0,1] neg_hi:[0,1]
	ds_load_2addr_b64 v[140:143], v135 offset0:53 offset1:54
	s_wait_dscnt 0x0
	v_pk_mul_f32 v[132:133], v[140:141], v[130:131] op_sel:[0,1]
	s_delay_alu instid0(VALU_DEP_1) | instskip(SKIP_1) | instid1(VALU_DEP_1)
	v_pk_fma_f32 v[144:145], v[140:141], v[128:129], v[132:133] op_sel:[0,0,1] op_sel_hi:[1,1,0] neg_lo:[0,0,1] neg_hi:[0,0,1]
	v_pk_fma_f32 v[132:133], v[140:141], v[128:129], v[132:133] op_sel:[0,0,1] op_sel_hi:[1,0,0]
	v_mov_b32_e32 v145, v133
	v_pk_mul_f32 v[132:133], v[142:143], v[130:131] op_sel:[0,1]
	s_delay_alu instid0(VALU_DEP_1) | instskip(SKIP_1) | instid1(VALU_DEP_1)
	v_pk_fma_f32 v[140:141], v[142:143], v[128:129], v[132:133] op_sel:[0,0,1] op_sel_hi:[1,1,0] neg_lo:[0,0,1] neg_hi:[0,0,1]
	v_pk_fma_f32 v[132:133], v[142:143], v[128:129], v[132:133] op_sel:[0,0,1] op_sel_hi:[1,0,0]
	v_mov_b32_e32 v141, v133
	v_pk_add_f32 v[12:13], v[12:13], v[144:145] neg_lo:[0,1] neg_hi:[0,1]
	s_delay_alu instid0(VALU_DEP_2) | instskip(SKIP_3) | instid1(VALU_DEP_1)
	v_pk_add_f32 v[14:15], v[14:15], v[140:141] neg_lo:[0,1] neg_hi:[0,1]
	ds_load_2addr_b64 v[140:143], v135 offset0:55 offset1:56
	s_wait_dscnt 0x0
	v_dual_mul_f32 v132, v141, v131 :: v_dual_mul_f32 v144, v141, v128
	v_pk_fma_f32 v[132:133], v[140:141], v[92:93], v[132:133] op_sel_hi:[1,1,0] neg_lo:[0,0,1] neg_hi:[0,0,1]
	s_delay_alu instid0(VALU_DEP_2) | instskip(NEXT) | instid1(VALU_DEP_1)
	v_pk_fma_f32 v[140:141], v[140:141], v[92:93], v[144:145] op_sel:[1,0,0] op_sel_hi:[0,1,0]
	v_mov_b32_e32 v133, v141
	s_delay_alu instid0(VALU_DEP_1) | instskip(SKIP_1) | instid1(VALU_DEP_1)
	v_pk_add_f32 v[10:11], v[10:11], v[132:133] neg_lo:[0,1] neg_hi:[0,1]
	v_pk_mul_f32 v[132:133], v[142:143], v[130:131] op_sel:[0,1]
	v_pk_fma_f32 v[140:141], v[142:143], v[128:129], v[132:133] op_sel:[0,0,1] op_sel_hi:[1,1,0] neg_lo:[0,0,1] neg_hi:[0,0,1]
	v_pk_fma_f32 v[132:133], v[142:143], v[128:129], v[132:133] op_sel:[0,0,1] op_sel_hi:[1,0,0]
	s_delay_alu instid0(VALU_DEP_1) | instskip(NEXT) | instid1(VALU_DEP_1)
	v_mov_b32_e32 v141, v133
	v_pk_add_f32 v[6:7], v[6:7], v[140:141] neg_lo:[0,1] neg_hi:[0,1]
	ds_load_2addr_b64 v[140:143], v135 offset0:57 offset1:58
	s_wait_dscnt 0x0
	v_pk_mul_f32 v[132:133], v[140:141], v[130:131] op_sel:[0,1]
	s_delay_alu instid0(VALU_DEP_1) | instskip(SKIP_1) | instid1(VALU_DEP_1)
	v_pk_fma_f32 v[144:145], v[140:141], v[128:129], v[132:133] op_sel:[0,0,1] op_sel_hi:[1,1,0] neg_lo:[0,0,1] neg_hi:[0,0,1]
	v_pk_fma_f32 v[132:133], v[140:141], v[128:129], v[132:133] op_sel:[0,0,1] op_sel_hi:[1,0,0]
	v_mov_b32_e32 v145, v133
	v_pk_mul_f32 v[132:133], v[142:143], v[130:131] op_sel:[0,1]
	s_delay_alu instid0(VALU_DEP_2) | instskip(NEXT) | instid1(VALU_DEP_2)
	v_pk_add_f32 v[20:21], v[20:21], v[144:145] neg_lo:[0,1] neg_hi:[0,1]
	v_pk_fma_f32 v[140:141], v[142:143], v[128:129], v[132:133] op_sel:[0,0,1] op_sel_hi:[1,1,0] neg_lo:[0,0,1] neg_hi:[0,0,1]
	v_pk_fma_f32 v[132:133], v[142:143], v[128:129], v[132:133] op_sel:[0,0,1] op_sel_hi:[1,0,0]
	s_delay_alu instid0(VALU_DEP_1) | instskip(NEXT) | instid1(VALU_DEP_1)
	v_mov_b32_e32 v141, v133
	v_pk_add_f32 v[18:19], v[18:19], v[140:141] neg_lo:[0,1] neg_hi:[0,1]
	ds_load_2addr_b64 v[140:143], v135 offset0:59 offset1:60
	s_wait_dscnt 0x0
	v_pk_mul_f32 v[132:133], v[140:141], v[130:131] op_sel:[0,1]
	v_pk_mul_f32 v[130:131], v[142:143], v[130:131] op_sel:[0,1]
	s_delay_alu instid0(VALU_DEP_2) | instskip(SKIP_1) | instid1(VALU_DEP_1)
	v_pk_fma_f32 v[144:145], v[140:141], v[128:129], v[132:133] op_sel:[0,0,1] op_sel_hi:[1,1,0] neg_lo:[0,0,1] neg_hi:[0,0,1]
	v_pk_fma_f32 v[132:133], v[140:141], v[128:129], v[132:133] op_sel:[0,0,1] op_sel_hi:[1,0,0]
	v_mov_b32_e32 v145, v133
	s_delay_alu instid0(VALU_DEP_4) | instskip(SKIP_1) | instid1(VALU_DEP_3)
	v_pk_fma_f32 v[132:133], v[142:143], v[128:129], v[130:131] op_sel:[0,0,1] op_sel_hi:[1,1,0] neg_lo:[0,0,1] neg_hi:[0,0,1]
	v_pk_fma_f32 v[128:129], v[142:143], v[128:129], v[130:131] op_sel:[0,0,1] op_sel_hi:[1,0,0]
	v_pk_add_f32 v[8:9], v[8:9], v[144:145] neg_lo:[0,1] neg_hi:[0,1]
	s_delay_alu instid0(VALU_DEP_2) | instskip(NEXT) | instid1(VALU_DEP_1)
	v_mov_b32_e32 v133, v129
	v_pk_add_f32 v[126:127], v[126:127], v[132:133] neg_lo:[0,1] neg_hi:[0,1]
.LBB120_356:
	s_or_b32 exec_lo, exec_lo, s0
	v_lshl_add_u32 v128, v138, 3, v135
	s_barrier_signal -1
	s_barrier_wait -1
	ds_store_b64 v128, v[88:89]
	s_wait_dscnt 0x0
	s_barrier_signal -1
	s_barrier_wait -1
	ds_load_b64 v[130:131], v135 offset:136
	v_mov_b32_e32 v128, 17
	s_cmp_lt_i32 s18, 19
	s_cbranch_scc1 .LBB120_359
; %bb.357:
	v_add3_u32 v129, v136, 0, 0x90
	v_mov_b32_e32 v128, 17
	s_mov_b32 s0, 18
.LBB120_358:                            ; =>This Inner Loop Header: Depth=1
	ds_load_b64 v[132:133], v129
	s_wait_dscnt 0x1
	v_cmp_gt_f32_e32 vcc_lo, 0, v130
	v_cndmask_b32_e64 v140, v130, -v130, vcc_lo
	v_cmp_gt_f32_e32 vcc_lo, 0, v131
	v_cndmask_b32_e64 v142, v131, -v131, vcc_lo
	s_wait_dscnt 0x0
	v_cmp_gt_f32_e32 vcc_lo, 0, v132
	v_cndmask_b32_e64 v141, v132, -v132, vcc_lo
	v_cmp_gt_f32_e32 vcc_lo, 0, v133
	v_cndmask_b32_e64 v143, v133, -v133, vcc_lo
	s_delay_alu instid0(VALU_DEP_1) | instskip(NEXT) | instid1(VALU_DEP_1)
	v_pk_add_f32 v[140:141], v[140:141], v[142:143]
	v_cmp_lt_f32_e32 vcc_lo, v140, v141
	v_dual_cndmask_b32 v130, v130, v132 :: v_dual_add_nc_u32 v129, 8, v129
	v_cndmask_b32_e32 v131, v131, v133, vcc_lo
	v_cndmask_b32_e64 v128, v128, s0, vcc_lo
	s_add_co_i32 s0, s0, 1
	s_delay_alu instid0(SALU_CYCLE_1)
	s_cmp_lg_u32 s18, s0
	s_cbranch_scc1 .LBB120_358
.LBB120_359:
	s_wait_dscnt 0x0
	v_cmp_eq_f32_e32 vcc_lo, 0, v130
	v_cmp_eq_f32_e64 s0, 0, v131
	s_and_b32 s0, vcc_lo, s0
	s_delay_alu instid0(SALU_CYCLE_1) | instskip(NEXT) | instid1(SALU_CYCLE_1)
	s_and_saveexec_b32 s1, s0
	s_xor_b32 s0, exec_lo, s1
; %bb.360:
	v_cmp_ne_u32_e32 vcc_lo, 0, v134
	v_cndmask_b32_e32 v134, 18, v134, vcc_lo
; %bb.361:
	s_and_not1_saveexec_b32 s0, s0
	s_cbranch_execz .LBB120_367
; %bb.362:
	v_cmp_ngt_f32_e64 s1, |v130|, |v131|
	s_and_saveexec_b32 s12, s1
	s_delay_alu instid0(SALU_CYCLE_1)
	s_xor_b32 s1, exec_lo, s12
	s_cbranch_execz .LBB120_364
; %bb.363:
	v_div_scale_f32 v129, null, v131, v131, v130
	v_div_scale_f32 v139, vcc_lo, v130, v131, v130
	s_delay_alu instid0(VALU_DEP_2) | instskip(SKIP_1) | instid1(TRANS32_DEP_1)
	v_rcp_f32_e32 v132, v129
	v_nop
	v_fma_f32 v133, -v129, v132, 1.0
	s_delay_alu instid0(VALU_DEP_1) | instskip(NEXT) | instid1(VALU_DEP_1)
	v_fmac_f32_e32 v132, v133, v132
	v_mul_f32_e32 v133, v139, v132
	s_delay_alu instid0(VALU_DEP_1) | instskip(NEXT) | instid1(VALU_DEP_1)
	v_fma_f32 v140, -v129, v133, v139
	v_fmac_f32_e32 v133, v140, v132
	s_delay_alu instid0(VALU_DEP_1) | instskip(NEXT) | instid1(VALU_DEP_1)
	v_fma_f32 v129, -v129, v133, v139
	v_div_fmas_f32 v129, v129, v132, v133
	s_delay_alu instid0(VALU_DEP_1) | instskip(NEXT) | instid1(VALU_DEP_1)
	v_div_fixup_f32 v129, v129, v131, v130
	v_fmac_f32_e32 v131, v130, v129
	s_delay_alu instid0(VALU_DEP_1) | instskip(SKIP_1) | instid1(VALU_DEP_2)
	v_div_scale_f32 v130, null, v131, v131, 1.0
	v_div_scale_f32 v139, vcc_lo, 1.0, v131, 1.0
	v_rcp_f32_e32 v132, v130
	v_nop
	s_delay_alu instid0(TRANS32_DEP_1) | instskip(NEXT) | instid1(VALU_DEP_1)
	v_fma_f32 v133, -v130, v132, 1.0
	v_fmac_f32_e32 v132, v133, v132
	s_delay_alu instid0(VALU_DEP_1) | instskip(NEXT) | instid1(VALU_DEP_1)
	v_mul_f32_e32 v133, v139, v132
	v_fma_f32 v140, -v130, v133, v139
	s_delay_alu instid0(VALU_DEP_1) | instskip(NEXT) | instid1(VALU_DEP_1)
	v_fmac_f32_e32 v133, v140, v132
	v_fma_f32 v130, -v130, v133, v139
	s_delay_alu instid0(VALU_DEP_1) | instskip(NEXT) | instid1(VALU_DEP_1)
	v_div_fmas_f32 v130, v130, v132, v133
	v_div_fixup_f32 v131, v130, v131, 1.0
	s_delay_alu instid0(VALU_DEP_1)
	v_mul_f32_e32 v130, v129, v131
	v_xor_b32_e32 v131, 0x80000000, v131
.LBB120_364:
	s_and_not1_saveexec_b32 s1, s1
	s_cbranch_execz .LBB120_366
; %bb.365:
	s_delay_alu instid0(VALU_DEP_1) | instskip(SKIP_1) | instid1(VALU_DEP_2)
	v_div_scale_f32 v129, null, v130, v130, v131
	v_div_scale_f32 v139, vcc_lo, v131, v130, v131
	v_rcp_f32_e32 v132, v129
	v_nop
	s_delay_alu instid0(TRANS32_DEP_1) | instskip(NEXT) | instid1(VALU_DEP_1)
	v_fma_f32 v133, -v129, v132, 1.0
	v_fmac_f32_e32 v132, v133, v132
	s_delay_alu instid0(VALU_DEP_1) | instskip(NEXT) | instid1(VALU_DEP_1)
	v_mul_f32_e32 v133, v139, v132
	v_fma_f32 v140, -v129, v133, v139
	s_delay_alu instid0(VALU_DEP_1) | instskip(NEXT) | instid1(VALU_DEP_1)
	v_fmac_f32_e32 v133, v140, v132
	v_fma_f32 v129, -v129, v133, v139
	s_delay_alu instid0(VALU_DEP_1) | instskip(NEXT) | instid1(VALU_DEP_1)
	v_div_fmas_f32 v129, v129, v132, v133
	v_div_fixup_f32 v129, v129, v130, v131
	s_delay_alu instid0(VALU_DEP_1) | instskip(NEXT) | instid1(VALU_DEP_1)
	v_fmac_f32_e32 v130, v131, v129
	v_div_scale_f32 v131, null, v130, v130, 1.0
	s_delay_alu instid0(VALU_DEP_1) | instskip(SKIP_1) | instid1(TRANS32_DEP_1)
	v_rcp_f32_e32 v132, v131
	v_nop
	v_fma_f32 v133, -v131, v132, 1.0
	s_delay_alu instid0(VALU_DEP_1) | instskip(SKIP_1) | instid1(VALU_DEP_1)
	v_fmac_f32_e32 v132, v133, v132
	v_div_scale_f32 v133, vcc_lo, 1.0, v130, 1.0
	v_mul_f32_e32 v139, v133, v132
	s_delay_alu instid0(VALU_DEP_1) | instskip(NEXT) | instid1(VALU_DEP_1)
	v_fma_f32 v140, -v131, v139, v133
	v_fmac_f32_e32 v139, v140, v132
	s_delay_alu instid0(VALU_DEP_1) | instskip(NEXT) | instid1(VALU_DEP_1)
	v_fma_f32 v131, -v131, v139, v133
	v_div_fmas_f32 v131, v131, v132, v139
	s_delay_alu instid0(VALU_DEP_1) | instskip(NEXT) | instid1(VALU_DEP_1)
	v_div_fixup_f32 v130, v131, v130, 1.0
	v_mul_f32_e64 v131, v129, -v130
.LBB120_366:
	s_or_b32 exec_lo, exec_lo, s1
.LBB120_367:
	s_delay_alu instid0(SALU_CYCLE_1) | instskip(NEXT) | instid1(SALU_CYCLE_1)
	s_or_b32 exec_lo, exec_lo, s0
	s_mov_b32 s0, exec_lo
	v_cmpx_ne_u32_e64 v138, v128
	s_xor_b32 s0, exec_lo, s0
	s_cbranch_execz .LBB120_373
; %bb.368:
	s_mov_b32 s1, exec_lo
	v_cmpx_eq_u32_e32 17, v138
	s_cbranch_execz .LBB120_372
; %bb.369:
	v_cmp_ne_u32_e32 vcc_lo, 17, v128
	s_xor_b32 s12, s16, -1
	s_delay_alu instid0(SALU_CYCLE_1) | instskip(NEXT) | instid1(SALU_CYCLE_1)
	s_and_b32 s13, s12, vcc_lo
	s_and_saveexec_b32 s12, s13
	s_cbranch_execz .LBB120_371
; %bb.370:
	v_ashrrev_i32_e32 v129, 31, v128
	s_delay_alu instid0(VALU_DEP_1)
	v_lshl_add_u64 v[132:133], v[128:129], 2, v[4:5]
	s_clause 0x1
	global_load_b32 v129, v[132:133], off
	global_load_b32 v137, v[4:5], off offset:68
	s_wait_loadcnt 0x1
	global_store_b32 v[4:5], v129, off offset:68
	s_wait_loadcnt 0x0
	global_store_b32 v[132:133], v137, off
.LBB120_371:
	s_wait_xcnt 0x0
	s_or_b32 exec_lo, exec_lo, s12
	v_dual_mov_b32 v138, v128 :: v_dual_mov_b32 v137, v128
.LBB120_372:
	s_or_b32 exec_lo, exec_lo, s1
.LBB120_373:
	s_and_not1_saveexec_b32 s0, s0
	s_cbranch_execz .LBB120_375
; %bb.374:
	v_dual_mov_b32 v128, v90 :: v_dual_mov_b32 v129, v91
	v_dual_mov_b32 v132, v86 :: v_dual_mov_b32 v133, v87
	;; [unrolled: 1-line block ×8, first 2 shown]
	ds_store_2addr_b64 v135, v[128:129], v[132:133] offset0:18 offset1:19
	ds_store_2addr_b64 v135, v[138:139], v[140:141] offset0:20 offset1:21
	;; [unrolled: 1-line block ×4, first 2 shown]
	v_dual_mov_b32 v128, v74 :: v_dual_mov_b32 v129, v75
	v_dual_mov_b32 v132, v70 :: v_dual_mov_b32 v133, v71
	;; [unrolled: 1-line block ×12, first 2 shown]
	ds_store_2addr_b64 v135, v[128:129], v[132:133] offset0:26 offset1:27
	ds_store_2addr_b64 v135, v[138:139], v[140:141] offset0:28 offset1:29
	;; [unrolled: 1-line block ×6, first 2 shown]
	v_dual_mov_b32 v128, v50 :: v_dual_mov_b32 v129, v51
	v_dual_mov_b32 v132, v46 :: v_dual_mov_b32 v133, v47
	;; [unrolled: 1-line block ×12, first 2 shown]
	ds_store_2addr_b64 v135, v[128:129], v[132:133] offset0:38 offset1:39
	ds_store_2addr_b64 v135, v[138:139], v[140:141] offset0:40 offset1:41
	;; [unrolled: 1-line block ×6, first 2 shown]
	v_dual_mov_b32 v128, v24 :: v_dual_mov_b32 v129, v25
	v_dual_mov_b32 v132, v44 :: v_dual_mov_b32 v133, v45
	;; [unrolled: 1-line block ×6, first 2 shown]
	ds_store_2addr_b64 v135, v[128:129], v[132:133] offset0:50 offset1:51
	ds_store_2addr_b64 v135, v[138:139], v[140:141] offset0:52 offset1:53
	v_dual_mov_b32 v138, 17 :: v_dual_mov_b32 v146, v6
	v_dual_mov_b32 v147, v7 :: v_dual_mov_b32 v148, v20
	;; [unrolled: 1-line block ×4, first 2 shown]
	v_mov_b32_e32 v153, v9
	ds_store_2addr_b64 v135, v[142:143], v[144:145] offset0:54 offset1:55
	ds_store_2addr_b64 v135, v[146:147], v[148:149] offset0:56 offset1:57
	;; [unrolled: 1-line block ×3, first 2 shown]
	ds_store_b64 v135, v[126:127] offset:480
.LBB120_375:
	s_or_b32 exec_lo, exec_lo, s0
	s_delay_alu instid0(SALU_CYCLE_1)
	s_mov_b32 s0, exec_lo
	s_wait_storecnt_dscnt 0x0
	s_barrier_signal -1
	s_barrier_wait -1
	v_cmpx_lt_i32_e32 17, v138
	s_cbranch_execz .LBB120_377
; %bb.376:
	ds_load_2addr_b64 v[140:143], v135 offset0:18 offset1:19
	v_pk_mul_f32 v[132:133], v[130:131], v[88:89] op_sel:[1,1] op_sel_hi:[0,1]
	s_delay_alu instid0(VALU_DEP_1) | instskip(SKIP_1) | instid1(VALU_DEP_1)
	v_pk_fma_f32 v[128:129], v[130:131], v[88:89], v[132:133] op_sel_hi:[1,0,1] neg_lo:[0,0,1] neg_hi:[0,0,1]
	v_pk_fma_f32 v[130:131], v[130:131], v[88:89], v[132:133] op_sel_hi:[1,0,1]
	v_dual_mov_b32 v88, v128 :: v_dual_mov_b32 v89, v131
	s_wait_dscnt 0x0
	s_delay_alu instid0(VALU_DEP_2) | instskip(NEXT) | instid1(VALU_DEP_1)
	v_pk_mul_f32 v[132:133], v[140:141], v[130:131] op_sel:[0,1]
	v_pk_fma_f32 v[144:145], v[140:141], v[128:129], v[132:133] op_sel:[0,0,1] op_sel_hi:[1,1,0] neg_lo:[0,0,1] neg_hi:[0,0,1]
	v_pk_fma_f32 v[132:133], v[140:141], v[128:129], v[132:133] op_sel:[0,0,1] op_sel_hi:[1,0,0]
	s_delay_alu instid0(VALU_DEP_1) | instskip(SKIP_1) | instid1(VALU_DEP_1)
	v_mov_b32_e32 v145, v133
	v_pk_mul_f32 v[132:133], v[142:143], v[130:131] op_sel:[0,1]
	v_pk_fma_f32 v[140:141], v[142:143], v[128:129], v[132:133] op_sel:[0,0,1] op_sel_hi:[1,1,0] neg_lo:[0,0,1] neg_hi:[0,0,1]
	v_pk_fma_f32 v[132:133], v[142:143], v[128:129], v[132:133] op_sel:[0,0,1] op_sel_hi:[1,0,0]
	s_delay_alu instid0(VALU_DEP_1) | instskip(SKIP_1) | instid1(VALU_DEP_2)
	v_mov_b32_e32 v141, v133
	v_pk_add_f32 v[90:91], v[90:91], v[144:145] neg_lo:[0,1] neg_hi:[0,1]
	v_pk_add_f32 v[86:87], v[86:87], v[140:141] neg_lo:[0,1] neg_hi:[0,1]
	ds_load_2addr_b64 v[140:143], v135 offset0:20 offset1:21
	s_wait_dscnt 0x0
	v_pk_mul_f32 v[132:133], v[140:141], v[130:131] op_sel:[0,1]
	s_delay_alu instid0(VALU_DEP_1) | instskip(SKIP_2) | instid1(VALU_DEP_2)
	v_pk_fma_f32 v[144:145], v[140:141], v[128:129], v[132:133] op_sel:[0,0,1] op_sel_hi:[1,1,0] neg_lo:[0,0,1] neg_hi:[0,0,1]
	v_pk_fma_f32 v[132:133], v[140:141], v[128:129], v[132:133] op_sel:[0,0,1] op_sel_hi:[1,0,0]
	v_dual_mul_f32 v140, v143, v131 :: v_dual_mov_b32 v132, v143
	v_dual_mov_b32 v145, v133 :: v_dual_mov_b32 v133, v142
	s_delay_alu instid0(VALU_DEP_2) | instskip(SKIP_1) | instid1(VALU_DEP_3)
	v_pk_fma_f32 v[140:141], v[142:143], v[88:89], v[140:141] op_sel_hi:[1,1,0] neg_lo:[0,0,1] neg_hi:[0,0,1]
	v_mul_f32_e32 v142, v143, v128
	v_pk_add_f32 v[84:85], v[84:85], v[144:145] neg_lo:[0,1] neg_hi:[0,1]
	s_delay_alu instid0(VALU_DEP_2) | instskip(NEXT) | instid1(VALU_DEP_1)
	v_pk_fma_f32 v[132:133], v[132:133], v[88:89], v[142:143] op_sel_hi:[1,1,0]
	v_mov_b32_e32 v141, v133
	s_delay_alu instid0(VALU_DEP_1) | instskip(SKIP_3) | instid1(VALU_DEP_1)
	v_pk_add_f32 v[80:81], v[80:81], v[140:141] neg_lo:[0,1] neg_hi:[0,1]
	ds_load_2addr_b64 v[140:143], v135 offset0:22 offset1:23
	s_wait_dscnt 0x0
	v_pk_mul_f32 v[132:133], v[140:141], v[130:131] op_sel:[0,1]
	v_pk_fma_f32 v[144:145], v[140:141], v[128:129], v[132:133] op_sel:[0,0,1] op_sel_hi:[1,1,0] neg_lo:[0,0,1] neg_hi:[0,0,1]
	v_pk_fma_f32 v[132:133], v[140:141], v[128:129], v[132:133] op_sel:[0,0,1] op_sel_hi:[1,0,0]
	s_delay_alu instid0(VALU_DEP_1) | instskip(SKIP_1) | instid1(VALU_DEP_1)
	v_mov_b32_e32 v145, v133
	v_pk_mul_f32 v[132:133], v[142:143], v[130:131] op_sel:[0,1]
	v_pk_fma_f32 v[140:141], v[142:143], v[128:129], v[132:133] op_sel:[0,0,1] op_sel_hi:[1,1,0] neg_lo:[0,0,1] neg_hi:[0,0,1]
	v_pk_fma_f32 v[132:133], v[142:143], v[128:129], v[132:133] op_sel:[0,0,1] op_sel_hi:[1,0,0]
	s_delay_alu instid0(VALU_DEP_1) | instskip(SKIP_1) | instid1(VALU_DEP_2)
	v_mov_b32_e32 v141, v133
	v_pk_add_f32 v[82:83], v[82:83], v[144:145] neg_lo:[0,1] neg_hi:[0,1]
	v_pk_add_f32 v[78:79], v[78:79], v[140:141] neg_lo:[0,1] neg_hi:[0,1]
	ds_load_2addr_b64 v[140:143], v135 offset0:24 offset1:25
	s_wait_dscnt 0x0
	v_pk_mul_f32 v[132:133], v[140:141], v[130:131] op_sel:[0,1]
	s_delay_alu instid0(VALU_DEP_1) | instskip(SKIP_1) | instid1(VALU_DEP_1)
	v_pk_fma_f32 v[144:145], v[140:141], v[128:129], v[132:133] op_sel:[0,0,1] op_sel_hi:[1,1,0] neg_lo:[0,0,1] neg_hi:[0,0,1]
	v_pk_fma_f32 v[132:133], v[140:141], v[128:129], v[132:133] op_sel:[0,0,1] op_sel_hi:[1,0,0]
	v_mov_b32_e32 v145, v133
	v_pk_mul_f32 v[132:133], v[142:143], v[130:131] op_sel:[0,1]
	s_delay_alu instid0(VALU_DEP_1) | instskip(SKIP_1) | instid1(VALU_DEP_1)
	v_pk_fma_f32 v[140:141], v[142:143], v[128:129], v[132:133] op_sel:[0,0,1] op_sel_hi:[1,1,0] neg_lo:[0,0,1] neg_hi:[0,0,1]
	v_pk_fma_f32 v[132:133], v[142:143], v[128:129], v[132:133] op_sel:[0,0,1] op_sel_hi:[1,0,0]
	v_mov_b32_e32 v141, v133
	v_pk_add_f32 v[76:77], v[76:77], v[144:145] neg_lo:[0,1] neg_hi:[0,1]
	s_delay_alu instid0(VALU_DEP_2) | instskip(SKIP_3) | instid1(VALU_DEP_1)
	v_pk_add_f32 v[72:73], v[72:73], v[140:141] neg_lo:[0,1] neg_hi:[0,1]
	ds_load_2addr_b64 v[140:143], v135 offset0:26 offset1:27
	s_wait_dscnt 0x0
	v_dual_mul_f32 v132, v141, v131 :: v_dual_mul_f32 v144, v141, v128
	v_pk_fma_f32 v[132:133], v[140:141], v[88:89], v[132:133] op_sel_hi:[1,1,0] neg_lo:[0,0,1] neg_hi:[0,0,1]
	s_delay_alu instid0(VALU_DEP_2) | instskip(NEXT) | instid1(VALU_DEP_1)
	v_pk_fma_f32 v[140:141], v[140:141], v[88:89], v[144:145] op_sel:[1,0,0] op_sel_hi:[0,1,0]
	v_mov_b32_e32 v133, v141
	s_delay_alu instid0(VALU_DEP_1) | instskip(SKIP_1) | instid1(VALU_DEP_1)
	v_pk_add_f32 v[74:75], v[74:75], v[132:133] neg_lo:[0,1] neg_hi:[0,1]
	v_pk_mul_f32 v[132:133], v[142:143], v[130:131] op_sel:[0,1]
	v_pk_fma_f32 v[140:141], v[142:143], v[128:129], v[132:133] op_sel:[0,0,1] op_sel_hi:[1,1,0] neg_lo:[0,0,1] neg_hi:[0,0,1]
	v_pk_fma_f32 v[132:133], v[142:143], v[128:129], v[132:133] op_sel:[0,0,1] op_sel_hi:[1,0,0]
	s_delay_alu instid0(VALU_DEP_1) | instskip(NEXT) | instid1(VALU_DEP_1)
	v_mov_b32_e32 v141, v133
	v_pk_add_f32 v[70:71], v[70:71], v[140:141] neg_lo:[0,1] neg_hi:[0,1]
	ds_load_2addr_b64 v[140:143], v135 offset0:28 offset1:29
	s_wait_dscnt 0x0
	v_pk_mul_f32 v[132:133], v[140:141], v[130:131] op_sel:[0,1]
	s_delay_alu instid0(VALU_DEP_1) | instskip(SKIP_1) | instid1(VALU_DEP_1)
	v_pk_fma_f32 v[144:145], v[140:141], v[128:129], v[132:133] op_sel:[0,0,1] op_sel_hi:[1,1,0] neg_lo:[0,0,1] neg_hi:[0,0,1]
	v_pk_fma_f32 v[132:133], v[140:141], v[128:129], v[132:133] op_sel:[0,0,1] op_sel_hi:[1,0,0]
	v_mov_b32_e32 v145, v133
	v_pk_mul_f32 v[132:133], v[142:143], v[130:131] op_sel:[0,1]
	s_delay_alu instid0(VALU_DEP_2) | instskip(NEXT) | instid1(VALU_DEP_2)
	v_pk_add_f32 v[68:69], v[68:69], v[144:145] neg_lo:[0,1] neg_hi:[0,1]
	v_pk_fma_f32 v[140:141], v[142:143], v[128:129], v[132:133] op_sel:[0,0,1] op_sel_hi:[1,1,0] neg_lo:[0,0,1] neg_hi:[0,0,1]
	v_pk_fma_f32 v[132:133], v[142:143], v[128:129], v[132:133] op_sel:[0,0,1] op_sel_hi:[1,0,0]
	s_delay_alu instid0(VALU_DEP_1) | instskip(NEXT) | instid1(VALU_DEP_1)
	v_mov_b32_e32 v141, v133
	v_pk_add_f32 v[64:65], v[64:65], v[140:141] neg_lo:[0,1] neg_hi:[0,1]
	ds_load_2addr_b64 v[140:143], v135 offset0:30 offset1:31
	s_wait_dscnt 0x0
	v_pk_mul_f32 v[132:133], v[140:141], v[130:131] op_sel:[0,1]
	s_delay_alu instid0(VALU_DEP_1) | instskip(SKIP_2) | instid1(VALU_DEP_2)
	v_pk_fma_f32 v[144:145], v[140:141], v[128:129], v[132:133] op_sel:[0,0,1] op_sel_hi:[1,1,0] neg_lo:[0,0,1] neg_hi:[0,0,1]
	v_pk_fma_f32 v[132:133], v[140:141], v[128:129], v[132:133] op_sel:[0,0,1] op_sel_hi:[1,0,0]
	v_dual_mul_f32 v140, v143, v131 :: v_dual_mov_b32 v132, v143
	v_dual_mov_b32 v145, v133 :: v_dual_mov_b32 v133, v142
	s_delay_alu instid0(VALU_DEP_2) | instskip(SKIP_1) | instid1(VALU_DEP_3)
	v_pk_fma_f32 v[140:141], v[142:143], v[88:89], v[140:141] op_sel_hi:[1,1,0] neg_lo:[0,0,1] neg_hi:[0,0,1]
	v_mul_f32_e32 v142, v143, v128
	v_pk_add_f32 v[66:67], v[66:67], v[144:145] neg_lo:[0,1] neg_hi:[0,1]
	s_delay_alu instid0(VALU_DEP_2) | instskip(NEXT) | instid1(VALU_DEP_1)
	v_pk_fma_f32 v[132:133], v[132:133], v[88:89], v[142:143] op_sel_hi:[1,1,0]
	v_mov_b32_e32 v141, v133
	s_delay_alu instid0(VALU_DEP_1) | instskip(SKIP_3) | instid1(VALU_DEP_1)
	v_pk_add_f32 v[62:63], v[62:63], v[140:141] neg_lo:[0,1] neg_hi:[0,1]
	ds_load_2addr_b64 v[140:143], v135 offset0:32 offset1:33
	s_wait_dscnt 0x0
	v_pk_mul_f32 v[132:133], v[140:141], v[130:131] op_sel:[0,1]
	v_pk_fma_f32 v[144:145], v[140:141], v[128:129], v[132:133] op_sel:[0,0,1] op_sel_hi:[1,1,0] neg_lo:[0,0,1] neg_hi:[0,0,1]
	v_pk_fma_f32 v[132:133], v[140:141], v[128:129], v[132:133] op_sel:[0,0,1] op_sel_hi:[1,0,0]
	s_delay_alu instid0(VALU_DEP_1) | instskip(SKIP_1) | instid1(VALU_DEP_1)
	v_mov_b32_e32 v145, v133
	v_pk_mul_f32 v[132:133], v[142:143], v[130:131] op_sel:[0,1]
	v_pk_fma_f32 v[140:141], v[142:143], v[128:129], v[132:133] op_sel:[0,0,1] op_sel_hi:[1,1,0] neg_lo:[0,0,1] neg_hi:[0,0,1]
	v_pk_fma_f32 v[132:133], v[142:143], v[128:129], v[132:133] op_sel:[0,0,1] op_sel_hi:[1,0,0]
	s_delay_alu instid0(VALU_DEP_1) | instskip(SKIP_1) | instid1(VALU_DEP_2)
	v_mov_b32_e32 v141, v133
	v_pk_add_f32 v[60:61], v[60:61], v[144:145] neg_lo:[0,1] neg_hi:[0,1]
	v_pk_add_f32 v[56:57], v[56:57], v[140:141] neg_lo:[0,1] neg_hi:[0,1]
	ds_load_2addr_b64 v[140:143], v135 offset0:34 offset1:35
	s_wait_dscnt 0x0
	v_pk_mul_f32 v[132:133], v[140:141], v[130:131] op_sel:[0,1]
	s_delay_alu instid0(VALU_DEP_1) | instskip(SKIP_1) | instid1(VALU_DEP_1)
	v_pk_fma_f32 v[144:145], v[140:141], v[128:129], v[132:133] op_sel:[0,0,1] op_sel_hi:[1,1,0] neg_lo:[0,0,1] neg_hi:[0,0,1]
	v_pk_fma_f32 v[132:133], v[140:141], v[128:129], v[132:133] op_sel:[0,0,1] op_sel_hi:[1,0,0]
	v_mov_b32_e32 v145, v133
	v_pk_mul_f32 v[132:133], v[142:143], v[130:131] op_sel:[0,1]
	s_delay_alu instid0(VALU_DEP_1) | instskip(SKIP_1) | instid1(VALU_DEP_1)
	v_pk_fma_f32 v[140:141], v[142:143], v[128:129], v[132:133] op_sel:[0,0,1] op_sel_hi:[1,1,0] neg_lo:[0,0,1] neg_hi:[0,0,1]
	v_pk_fma_f32 v[132:133], v[142:143], v[128:129], v[132:133] op_sel:[0,0,1] op_sel_hi:[1,0,0]
	v_mov_b32_e32 v141, v133
	v_pk_add_f32 v[58:59], v[58:59], v[144:145] neg_lo:[0,1] neg_hi:[0,1]
	s_delay_alu instid0(VALU_DEP_2) | instskip(SKIP_3) | instid1(VALU_DEP_1)
	v_pk_add_f32 v[54:55], v[54:55], v[140:141] neg_lo:[0,1] neg_hi:[0,1]
	ds_load_2addr_b64 v[140:143], v135 offset0:36 offset1:37
	s_wait_dscnt 0x0
	v_dual_mul_f32 v132, v141, v131 :: v_dual_mul_f32 v144, v141, v128
	v_pk_fma_f32 v[132:133], v[140:141], v[88:89], v[132:133] op_sel_hi:[1,1,0] neg_lo:[0,0,1] neg_hi:[0,0,1]
	s_delay_alu instid0(VALU_DEP_2) | instskip(NEXT) | instid1(VALU_DEP_1)
	v_pk_fma_f32 v[140:141], v[140:141], v[88:89], v[144:145] op_sel:[1,0,0] op_sel_hi:[0,1,0]
	v_mov_b32_e32 v133, v141
	s_delay_alu instid0(VALU_DEP_1) | instskip(SKIP_1) | instid1(VALU_DEP_1)
	v_pk_add_f32 v[52:53], v[52:53], v[132:133] neg_lo:[0,1] neg_hi:[0,1]
	v_pk_mul_f32 v[132:133], v[142:143], v[130:131] op_sel:[0,1]
	v_pk_fma_f32 v[140:141], v[142:143], v[128:129], v[132:133] op_sel:[0,0,1] op_sel_hi:[1,1,0] neg_lo:[0,0,1] neg_hi:[0,0,1]
	v_pk_fma_f32 v[132:133], v[142:143], v[128:129], v[132:133] op_sel:[0,0,1] op_sel_hi:[1,0,0]
	s_delay_alu instid0(VALU_DEP_1) | instskip(NEXT) | instid1(VALU_DEP_1)
	v_mov_b32_e32 v141, v133
	v_pk_add_f32 v[48:49], v[48:49], v[140:141] neg_lo:[0,1] neg_hi:[0,1]
	ds_load_2addr_b64 v[140:143], v135 offset0:38 offset1:39
	s_wait_dscnt 0x0
	v_pk_mul_f32 v[132:133], v[140:141], v[130:131] op_sel:[0,1]
	s_delay_alu instid0(VALU_DEP_1) | instskip(SKIP_1) | instid1(VALU_DEP_1)
	v_pk_fma_f32 v[144:145], v[140:141], v[128:129], v[132:133] op_sel:[0,0,1] op_sel_hi:[1,1,0] neg_lo:[0,0,1] neg_hi:[0,0,1]
	v_pk_fma_f32 v[132:133], v[140:141], v[128:129], v[132:133] op_sel:[0,0,1] op_sel_hi:[1,0,0]
	v_mov_b32_e32 v145, v133
	v_pk_mul_f32 v[132:133], v[142:143], v[130:131] op_sel:[0,1]
	s_delay_alu instid0(VALU_DEP_2) | instskip(NEXT) | instid1(VALU_DEP_2)
	v_pk_add_f32 v[50:51], v[50:51], v[144:145] neg_lo:[0,1] neg_hi:[0,1]
	v_pk_fma_f32 v[140:141], v[142:143], v[128:129], v[132:133] op_sel:[0,0,1] op_sel_hi:[1,1,0] neg_lo:[0,0,1] neg_hi:[0,0,1]
	v_pk_fma_f32 v[132:133], v[142:143], v[128:129], v[132:133] op_sel:[0,0,1] op_sel_hi:[1,0,0]
	s_delay_alu instid0(VALU_DEP_1) | instskip(NEXT) | instid1(VALU_DEP_1)
	v_mov_b32_e32 v141, v133
	v_pk_add_f32 v[46:47], v[46:47], v[140:141] neg_lo:[0,1] neg_hi:[0,1]
	ds_load_2addr_b64 v[140:143], v135 offset0:40 offset1:41
	s_wait_dscnt 0x0
	v_pk_mul_f32 v[132:133], v[140:141], v[130:131] op_sel:[0,1]
	s_delay_alu instid0(VALU_DEP_1) | instskip(SKIP_2) | instid1(VALU_DEP_2)
	v_pk_fma_f32 v[144:145], v[140:141], v[128:129], v[132:133] op_sel:[0,0,1] op_sel_hi:[1,1,0] neg_lo:[0,0,1] neg_hi:[0,0,1]
	v_pk_fma_f32 v[132:133], v[140:141], v[128:129], v[132:133] op_sel:[0,0,1] op_sel_hi:[1,0,0]
	v_dual_mul_f32 v140, v143, v131 :: v_dual_mov_b32 v132, v143
	v_dual_mov_b32 v145, v133 :: v_dual_mov_b32 v133, v142
	s_delay_alu instid0(VALU_DEP_2) | instskip(SKIP_1) | instid1(VALU_DEP_3)
	v_pk_fma_f32 v[140:141], v[142:143], v[88:89], v[140:141] op_sel_hi:[1,1,0] neg_lo:[0,0,1] neg_hi:[0,0,1]
	v_mul_f32_e32 v142, v143, v128
	v_pk_add_f32 v[42:43], v[42:43], v[144:145] neg_lo:[0,1] neg_hi:[0,1]
	s_delay_alu instid0(VALU_DEP_2) | instskip(NEXT) | instid1(VALU_DEP_1)
	v_pk_fma_f32 v[132:133], v[132:133], v[88:89], v[142:143] op_sel_hi:[1,1,0]
	v_mov_b32_e32 v141, v133
	s_delay_alu instid0(VALU_DEP_1) | instskip(SKIP_3) | instid1(VALU_DEP_1)
	v_pk_add_f32 v[38:39], v[38:39], v[140:141] neg_lo:[0,1] neg_hi:[0,1]
	ds_load_2addr_b64 v[140:143], v135 offset0:42 offset1:43
	s_wait_dscnt 0x0
	v_pk_mul_f32 v[132:133], v[140:141], v[130:131] op_sel:[0,1]
	v_pk_fma_f32 v[144:145], v[140:141], v[128:129], v[132:133] op_sel:[0,0,1] op_sel_hi:[1,1,0] neg_lo:[0,0,1] neg_hi:[0,0,1]
	v_pk_fma_f32 v[132:133], v[140:141], v[128:129], v[132:133] op_sel:[0,0,1] op_sel_hi:[1,0,0]
	s_delay_alu instid0(VALU_DEP_1) | instskip(SKIP_1) | instid1(VALU_DEP_1)
	v_mov_b32_e32 v145, v133
	v_pk_mul_f32 v[132:133], v[142:143], v[130:131] op_sel:[0,1]
	v_pk_fma_f32 v[140:141], v[142:143], v[128:129], v[132:133] op_sel:[0,0,1] op_sel_hi:[1,1,0] neg_lo:[0,0,1] neg_hi:[0,0,1]
	v_pk_fma_f32 v[132:133], v[142:143], v[128:129], v[132:133] op_sel:[0,0,1] op_sel_hi:[1,0,0]
	s_delay_alu instid0(VALU_DEP_1) | instskip(SKIP_1) | instid1(VALU_DEP_2)
	v_mov_b32_e32 v141, v133
	v_pk_add_f32 v[40:41], v[40:41], v[144:145] neg_lo:[0,1] neg_hi:[0,1]
	v_pk_add_f32 v[36:37], v[36:37], v[140:141] neg_lo:[0,1] neg_hi:[0,1]
	ds_load_2addr_b64 v[140:143], v135 offset0:44 offset1:45
	s_wait_dscnt 0x0
	v_pk_mul_f32 v[132:133], v[140:141], v[130:131] op_sel:[0,1]
	s_delay_alu instid0(VALU_DEP_1) | instskip(SKIP_1) | instid1(VALU_DEP_1)
	v_pk_fma_f32 v[144:145], v[140:141], v[128:129], v[132:133] op_sel:[0,0,1] op_sel_hi:[1,1,0] neg_lo:[0,0,1] neg_hi:[0,0,1]
	v_pk_fma_f32 v[132:133], v[140:141], v[128:129], v[132:133] op_sel:[0,0,1] op_sel_hi:[1,0,0]
	v_mov_b32_e32 v145, v133
	v_pk_mul_f32 v[132:133], v[142:143], v[130:131] op_sel:[0,1]
	s_delay_alu instid0(VALU_DEP_1) | instskip(SKIP_1) | instid1(VALU_DEP_1)
	v_pk_fma_f32 v[140:141], v[142:143], v[128:129], v[132:133] op_sel:[0,0,1] op_sel_hi:[1,1,0] neg_lo:[0,0,1] neg_hi:[0,0,1]
	v_pk_fma_f32 v[132:133], v[142:143], v[128:129], v[132:133] op_sel:[0,0,1] op_sel_hi:[1,0,0]
	v_mov_b32_e32 v141, v133
	v_pk_add_f32 v[34:35], v[34:35], v[144:145] neg_lo:[0,1] neg_hi:[0,1]
	s_delay_alu instid0(VALU_DEP_2) | instskip(SKIP_3) | instid1(VALU_DEP_1)
	v_pk_add_f32 v[30:31], v[30:31], v[140:141] neg_lo:[0,1] neg_hi:[0,1]
	ds_load_2addr_b64 v[140:143], v135 offset0:46 offset1:47
	s_wait_dscnt 0x0
	v_dual_mul_f32 v132, v141, v131 :: v_dual_mul_f32 v144, v141, v128
	v_pk_fma_f32 v[132:133], v[140:141], v[88:89], v[132:133] op_sel_hi:[1,1,0] neg_lo:[0,0,1] neg_hi:[0,0,1]
	s_delay_alu instid0(VALU_DEP_2) | instskip(NEXT) | instid1(VALU_DEP_1)
	v_pk_fma_f32 v[140:141], v[140:141], v[88:89], v[144:145] op_sel:[1,0,0] op_sel_hi:[0,1,0]
	v_mov_b32_e32 v133, v141
	s_delay_alu instid0(VALU_DEP_1) | instskip(SKIP_1) | instid1(VALU_DEP_1)
	v_pk_add_f32 v[32:33], v[32:33], v[132:133] neg_lo:[0,1] neg_hi:[0,1]
	v_pk_mul_f32 v[132:133], v[142:143], v[130:131] op_sel:[0,1]
	v_pk_fma_f32 v[140:141], v[142:143], v[128:129], v[132:133] op_sel:[0,0,1] op_sel_hi:[1,1,0] neg_lo:[0,0,1] neg_hi:[0,0,1]
	v_pk_fma_f32 v[132:133], v[142:143], v[128:129], v[132:133] op_sel:[0,0,1] op_sel_hi:[1,0,0]
	s_delay_alu instid0(VALU_DEP_1) | instskip(NEXT) | instid1(VALU_DEP_1)
	v_mov_b32_e32 v141, v133
	v_pk_add_f32 v[28:29], v[28:29], v[140:141] neg_lo:[0,1] neg_hi:[0,1]
	ds_load_2addr_b64 v[140:143], v135 offset0:48 offset1:49
	s_wait_dscnt 0x0
	v_pk_mul_f32 v[132:133], v[140:141], v[130:131] op_sel:[0,1]
	s_delay_alu instid0(VALU_DEP_1) | instskip(SKIP_1) | instid1(VALU_DEP_1)
	v_pk_fma_f32 v[144:145], v[140:141], v[128:129], v[132:133] op_sel:[0,0,1] op_sel_hi:[1,1,0] neg_lo:[0,0,1] neg_hi:[0,0,1]
	v_pk_fma_f32 v[132:133], v[140:141], v[128:129], v[132:133] op_sel:[0,0,1] op_sel_hi:[1,0,0]
	v_mov_b32_e32 v145, v133
	v_pk_mul_f32 v[132:133], v[142:143], v[130:131] op_sel:[0,1]
	s_delay_alu instid0(VALU_DEP_2) | instskip(NEXT) | instid1(VALU_DEP_2)
	v_pk_add_f32 v[26:27], v[26:27], v[144:145] neg_lo:[0,1] neg_hi:[0,1]
	v_pk_fma_f32 v[140:141], v[142:143], v[128:129], v[132:133] op_sel:[0,0,1] op_sel_hi:[1,1,0] neg_lo:[0,0,1] neg_hi:[0,0,1]
	v_pk_fma_f32 v[132:133], v[142:143], v[128:129], v[132:133] op_sel:[0,0,1] op_sel_hi:[1,0,0]
	s_delay_alu instid0(VALU_DEP_1) | instskip(NEXT) | instid1(VALU_DEP_1)
	v_mov_b32_e32 v141, v133
	v_pk_add_f32 v[22:23], v[22:23], v[140:141] neg_lo:[0,1] neg_hi:[0,1]
	ds_load_2addr_b64 v[140:143], v135 offset0:50 offset1:51
	s_wait_dscnt 0x0
	v_pk_mul_f32 v[132:133], v[140:141], v[130:131] op_sel:[0,1]
	s_delay_alu instid0(VALU_DEP_1) | instskip(SKIP_2) | instid1(VALU_DEP_2)
	v_pk_fma_f32 v[144:145], v[140:141], v[128:129], v[132:133] op_sel:[0,0,1] op_sel_hi:[1,1,0] neg_lo:[0,0,1] neg_hi:[0,0,1]
	v_pk_fma_f32 v[132:133], v[140:141], v[128:129], v[132:133] op_sel:[0,0,1] op_sel_hi:[1,0,0]
	v_dual_mul_f32 v140, v143, v131 :: v_dual_mov_b32 v132, v143
	v_dual_mov_b32 v145, v133 :: v_dual_mov_b32 v133, v142
	s_delay_alu instid0(VALU_DEP_2) | instskip(SKIP_1) | instid1(VALU_DEP_3)
	v_pk_fma_f32 v[140:141], v[142:143], v[88:89], v[140:141] op_sel_hi:[1,1,0] neg_lo:[0,0,1] neg_hi:[0,0,1]
	v_mul_f32_e32 v142, v143, v128
	v_pk_add_f32 v[24:25], v[24:25], v[144:145] neg_lo:[0,1] neg_hi:[0,1]
	s_delay_alu instid0(VALU_DEP_2) | instskip(NEXT) | instid1(VALU_DEP_1)
	v_pk_fma_f32 v[132:133], v[132:133], v[88:89], v[142:143] op_sel_hi:[1,1,0]
	v_mov_b32_e32 v141, v133
	s_delay_alu instid0(VALU_DEP_1) | instskip(SKIP_3) | instid1(VALU_DEP_1)
	v_pk_add_f32 v[44:45], v[44:45], v[140:141] neg_lo:[0,1] neg_hi:[0,1]
	ds_load_2addr_b64 v[140:143], v135 offset0:52 offset1:53
	s_wait_dscnt 0x0
	v_pk_mul_f32 v[132:133], v[140:141], v[130:131] op_sel:[0,1]
	v_pk_fma_f32 v[144:145], v[140:141], v[128:129], v[132:133] op_sel:[0,0,1] op_sel_hi:[1,1,0] neg_lo:[0,0,1] neg_hi:[0,0,1]
	v_pk_fma_f32 v[132:133], v[140:141], v[128:129], v[132:133] op_sel:[0,0,1] op_sel_hi:[1,0,0]
	s_delay_alu instid0(VALU_DEP_1) | instskip(SKIP_1) | instid1(VALU_DEP_1)
	v_mov_b32_e32 v145, v133
	v_pk_mul_f32 v[132:133], v[142:143], v[130:131] op_sel:[0,1]
	v_pk_fma_f32 v[140:141], v[142:143], v[128:129], v[132:133] op_sel:[0,0,1] op_sel_hi:[1,1,0] neg_lo:[0,0,1] neg_hi:[0,0,1]
	v_pk_fma_f32 v[132:133], v[142:143], v[128:129], v[132:133] op_sel:[0,0,1] op_sel_hi:[1,0,0]
	s_delay_alu instid0(VALU_DEP_1) | instskip(SKIP_1) | instid1(VALU_DEP_2)
	v_mov_b32_e32 v141, v133
	v_pk_add_f32 v[16:17], v[16:17], v[144:145] neg_lo:[0,1] neg_hi:[0,1]
	v_pk_add_f32 v[12:13], v[12:13], v[140:141] neg_lo:[0,1] neg_hi:[0,1]
	ds_load_2addr_b64 v[140:143], v135 offset0:54 offset1:55
	s_wait_dscnt 0x0
	v_pk_mul_f32 v[132:133], v[140:141], v[130:131] op_sel:[0,1]
	s_delay_alu instid0(VALU_DEP_1) | instskip(SKIP_1) | instid1(VALU_DEP_1)
	v_pk_fma_f32 v[144:145], v[140:141], v[128:129], v[132:133] op_sel:[0,0,1] op_sel_hi:[1,1,0] neg_lo:[0,0,1] neg_hi:[0,0,1]
	v_pk_fma_f32 v[132:133], v[140:141], v[128:129], v[132:133] op_sel:[0,0,1] op_sel_hi:[1,0,0]
	v_mov_b32_e32 v145, v133
	v_pk_mul_f32 v[132:133], v[142:143], v[130:131] op_sel:[0,1]
	s_delay_alu instid0(VALU_DEP_1) | instskip(SKIP_1) | instid1(VALU_DEP_1)
	v_pk_fma_f32 v[140:141], v[142:143], v[128:129], v[132:133] op_sel:[0,0,1] op_sel_hi:[1,1,0] neg_lo:[0,0,1] neg_hi:[0,0,1]
	v_pk_fma_f32 v[132:133], v[142:143], v[128:129], v[132:133] op_sel:[0,0,1] op_sel_hi:[1,0,0]
	v_mov_b32_e32 v141, v133
	v_pk_add_f32 v[14:15], v[14:15], v[144:145] neg_lo:[0,1] neg_hi:[0,1]
	s_delay_alu instid0(VALU_DEP_2) | instskip(SKIP_3) | instid1(VALU_DEP_1)
	v_pk_add_f32 v[10:11], v[10:11], v[140:141] neg_lo:[0,1] neg_hi:[0,1]
	ds_load_2addr_b64 v[140:143], v135 offset0:56 offset1:57
	s_wait_dscnt 0x0
	v_dual_mul_f32 v132, v141, v131 :: v_dual_mul_f32 v144, v141, v128
	v_pk_fma_f32 v[132:133], v[140:141], v[88:89], v[132:133] op_sel_hi:[1,1,0] neg_lo:[0,0,1] neg_hi:[0,0,1]
	s_delay_alu instid0(VALU_DEP_2) | instskip(NEXT) | instid1(VALU_DEP_1)
	v_pk_fma_f32 v[140:141], v[140:141], v[88:89], v[144:145] op_sel:[1,0,0] op_sel_hi:[0,1,0]
	v_mov_b32_e32 v133, v141
	s_delay_alu instid0(VALU_DEP_1) | instskip(SKIP_1) | instid1(VALU_DEP_1)
	v_pk_add_f32 v[6:7], v[6:7], v[132:133] neg_lo:[0,1] neg_hi:[0,1]
	v_pk_mul_f32 v[132:133], v[142:143], v[130:131] op_sel:[0,1]
	v_pk_fma_f32 v[140:141], v[142:143], v[128:129], v[132:133] op_sel:[0,0,1] op_sel_hi:[1,1,0] neg_lo:[0,0,1] neg_hi:[0,0,1]
	v_pk_fma_f32 v[132:133], v[142:143], v[128:129], v[132:133] op_sel:[0,0,1] op_sel_hi:[1,0,0]
	s_delay_alu instid0(VALU_DEP_1) | instskip(NEXT) | instid1(VALU_DEP_1)
	v_mov_b32_e32 v141, v133
	v_pk_add_f32 v[20:21], v[20:21], v[140:141] neg_lo:[0,1] neg_hi:[0,1]
	ds_load_2addr_b64 v[140:143], v135 offset0:58 offset1:59
	s_wait_dscnt 0x0
	v_pk_mul_f32 v[132:133], v[140:141], v[130:131] op_sel:[0,1]
	s_delay_alu instid0(VALU_DEP_1) | instskip(SKIP_1) | instid1(VALU_DEP_1)
	v_pk_fma_f32 v[144:145], v[140:141], v[128:129], v[132:133] op_sel:[0,0,1] op_sel_hi:[1,1,0] neg_lo:[0,0,1] neg_hi:[0,0,1]
	v_pk_fma_f32 v[132:133], v[140:141], v[128:129], v[132:133] op_sel:[0,0,1] op_sel_hi:[1,0,0]
	v_mov_b32_e32 v145, v133
	v_pk_mul_f32 v[132:133], v[142:143], v[130:131] op_sel:[0,1]
	s_delay_alu instid0(VALU_DEP_2) | instskip(NEXT) | instid1(VALU_DEP_2)
	v_pk_add_f32 v[18:19], v[18:19], v[144:145] neg_lo:[0,1] neg_hi:[0,1]
	v_pk_fma_f32 v[140:141], v[142:143], v[128:129], v[132:133] op_sel:[0,0,1] op_sel_hi:[1,1,0] neg_lo:[0,0,1] neg_hi:[0,0,1]
	v_pk_fma_f32 v[132:133], v[142:143], v[128:129], v[132:133] op_sel:[0,0,1] op_sel_hi:[1,0,0]
	s_delay_alu instid0(VALU_DEP_1) | instskip(SKIP_4) | instid1(VALU_DEP_1)
	v_mov_b32_e32 v141, v133
	ds_load_b64 v[132:133], v135 offset:480
	v_pk_add_f32 v[8:9], v[8:9], v[140:141] neg_lo:[0,1] neg_hi:[0,1]
	s_wait_dscnt 0x0
	v_pk_mul_f32 v[130:131], v[132:133], v[130:131] op_sel:[0,1]
	v_pk_fma_f32 v[140:141], v[132:133], v[128:129], v[130:131] op_sel:[0,0,1] op_sel_hi:[1,1,0] neg_lo:[0,0,1] neg_hi:[0,0,1]
	v_pk_fma_f32 v[128:129], v[132:133], v[128:129], v[130:131] op_sel:[0,0,1] op_sel_hi:[1,0,0]
	s_delay_alu instid0(VALU_DEP_1) | instskip(NEXT) | instid1(VALU_DEP_1)
	v_mov_b32_e32 v141, v129
	v_pk_add_f32 v[126:127], v[126:127], v[140:141] neg_lo:[0,1] neg_hi:[0,1]
.LBB120_377:
	s_or_b32 exec_lo, exec_lo, s0
	v_lshl_add_u32 v128, v138, 3, v135
	s_barrier_signal -1
	s_barrier_wait -1
	ds_store_b64 v128, v[90:91]
	s_wait_dscnt 0x0
	s_barrier_signal -1
	s_barrier_wait -1
	ds_load_b64 v[130:131], v135 offset:144
	v_mov_b32_e32 v128, 18
	s_cmp_lt_i32 s18, 20
	s_cbranch_scc1 .LBB120_380
; %bb.378:
	v_add3_u32 v129, v136, 0, 0x98
	v_mov_b32_e32 v128, 18
	s_mov_b32 s0, 19
.LBB120_379:                            ; =>This Inner Loop Header: Depth=1
	ds_load_b64 v[132:133], v129
	s_wait_dscnt 0x1
	v_cmp_gt_f32_e32 vcc_lo, 0, v130
	v_cndmask_b32_e64 v140, v130, -v130, vcc_lo
	v_cmp_gt_f32_e32 vcc_lo, 0, v131
	v_cndmask_b32_e64 v142, v131, -v131, vcc_lo
	s_wait_dscnt 0x0
	v_cmp_gt_f32_e32 vcc_lo, 0, v132
	v_cndmask_b32_e64 v141, v132, -v132, vcc_lo
	v_cmp_gt_f32_e32 vcc_lo, 0, v133
	v_cndmask_b32_e64 v143, v133, -v133, vcc_lo
	s_delay_alu instid0(VALU_DEP_1) | instskip(NEXT) | instid1(VALU_DEP_1)
	v_pk_add_f32 v[140:141], v[140:141], v[142:143]
	v_cmp_lt_f32_e32 vcc_lo, v140, v141
	v_dual_cndmask_b32 v130, v130, v132 :: v_dual_add_nc_u32 v129, 8, v129
	v_cndmask_b32_e32 v131, v131, v133, vcc_lo
	v_cndmask_b32_e64 v128, v128, s0, vcc_lo
	s_add_co_i32 s0, s0, 1
	s_delay_alu instid0(SALU_CYCLE_1)
	s_cmp_lg_u32 s18, s0
	s_cbranch_scc1 .LBB120_379
.LBB120_380:
	s_wait_dscnt 0x0
	v_cmp_eq_f32_e32 vcc_lo, 0, v130
	v_cmp_eq_f32_e64 s0, 0, v131
	s_and_b32 s0, vcc_lo, s0
	s_delay_alu instid0(SALU_CYCLE_1) | instskip(NEXT) | instid1(SALU_CYCLE_1)
	s_and_saveexec_b32 s1, s0
	s_xor_b32 s0, exec_lo, s1
; %bb.381:
	v_cmp_ne_u32_e32 vcc_lo, 0, v134
	v_cndmask_b32_e32 v134, 19, v134, vcc_lo
; %bb.382:
	s_and_not1_saveexec_b32 s0, s0
	s_cbranch_execz .LBB120_388
; %bb.383:
	v_cmp_ngt_f32_e64 s1, |v130|, |v131|
	s_and_saveexec_b32 s12, s1
	s_delay_alu instid0(SALU_CYCLE_1)
	s_xor_b32 s1, exec_lo, s12
	s_cbranch_execz .LBB120_385
; %bb.384:
	v_div_scale_f32 v129, null, v131, v131, v130
	v_div_scale_f32 v139, vcc_lo, v130, v131, v130
	s_delay_alu instid0(VALU_DEP_2) | instskip(SKIP_1) | instid1(TRANS32_DEP_1)
	v_rcp_f32_e32 v132, v129
	v_nop
	v_fma_f32 v133, -v129, v132, 1.0
	s_delay_alu instid0(VALU_DEP_1) | instskip(NEXT) | instid1(VALU_DEP_1)
	v_fmac_f32_e32 v132, v133, v132
	v_mul_f32_e32 v133, v139, v132
	s_delay_alu instid0(VALU_DEP_1) | instskip(NEXT) | instid1(VALU_DEP_1)
	v_fma_f32 v140, -v129, v133, v139
	v_fmac_f32_e32 v133, v140, v132
	s_delay_alu instid0(VALU_DEP_1) | instskip(NEXT) | instid1(VALU_DEP_1)
	v_fma_f32 v129, -v129, v133, v139
	v_div_fmas_f32 v129, v129, v132, v133
	s_delay_alu instid0(VALU_DEP_1) | instskip(NEXT) | instid1(VALU_DEP_1)
	v_div_fixup_f32 v129, v129, v131, v130
	v_fmac_f32_e32 v131, v130, v129
	s_delay_alu instid0(VALU_DEP_1) | instskip(SKIP_1) | instid1(VALU_DEP_2)
	v_div_scale_f32 v130, null, v131, v131, 1.0
	v_div_scale_f32 v139, vcc_lo, 1.0, v131, 1.0
	v_rcp_f32_e32 v132, v130
	v_nop
	s_delay_alu instid0(TRANS32_DEP_1) | instskip(NEXT) | instid1(VALU_DEP_1)
	v_fma_f32 v133, -v130, v132, 1.0
	v_fmac_f32_e32 v132, v133, v132
	s_delay_alu instid0(VALU_DEP_1) | instskip(NEXT) | instid1(VALU_DEP_1)
	v_mul_f32_e32 v133, v139, v132
	v_fma_f32 v140, -v130, v133, v139
	s_delay_alu instid0(VALU_DEP_1) | instskip(NEXT) | instid1(VALU_DEP_1)
	v_fmac_f32_e32 v133, v140, v132
	v_fma_f32 v130, -v130, v133, v139
	s_delay_alu instid0(VALU_DEP_1) | instskip(NEXT) | instid1(VALU_DEP_1)
	v_div_fmas_f32 v130, v130, v132, v133
	v_div_fixup_f32 v131, v130, v131, 1.0
	s_delay_alu instid0(VALU_DEP_1)
	v_mul_f32_e32 v130, v129, v131
	v_xor_b32_e32 v131, 0x80000000, v131
.LBB120_385:
	s_and_not1_saveexec_b32 s1, s1
	s_cbranch_execz .LBB120_387
; %bb.386:
	s_delay_alu instid0(VALU_DEP_1) | instskip(SKIP_1) | instid1(VALU_DEP_2)
	v_div_scale_f32 v129, null, v130, v130, v131
	v_div_scale_f32 v139, vcc_lo, v131, v130, v131
	v_rcp_f32_e32 v132, v129
	v_nop
	s_delay_alu instid0(TRANS32_DEP_1) | instskip(NEXT) | instid1(VALU_DEP_1)
	v_fma_f32 v133, -v129, v132, 1.0
	v_fmac_f32_e32 v132, v133, v132
	s_delay_alu instid0(VALU_DEP_1) | instskip(NEXT) | instid1(VALU_DEP_1)
	v_mul_f32_e32 v133, v139, v132
	v_fma_f32 v140, -v129, v133, v139
	s_delay_alu instid0(VALU_DEP_1) | instskip(NEXT) | instid1(VALU_DEP_1)
	v_fmac_f32_e32 v133, v140, v132
	v_fma_f32 v129, -v129, v133, v139
	s_delay_alu instid0(VALU_DEP_1) | instskip(NEXT) | instid1(VALU_DEP_1)
	v_div_fmas_f32 v129, v129, v132, v133
	v_div_fixup_f32 v129, v129, v130, v131
	s_delay_alu instid0(VALU_DEP_1) | instskip(NEXT) | instid1(VALU_DEP_1)
	v_fmac_f32_e32 v130, v131, v129
	v_div_scale_f32 v131, null, v130, v130, 1.0
	s_delay_alu instid0(VALU_DEP_1) | instskip(SKIP_1) | instid1(TRANS32_DEP_1)
	v_rcp_f32_e32 v132, v131
	v_nop
	v_fma_f32 v133, -v131, v132, 1.0
	s_delay_alu instid0(VALU_DEP_1) | instskip(SKIP_1) | instid1(VALU_DEP_1)
	v_fmac_f32_e32 v132, v133, v132
	v_div_scale_f32 v133, vcc_lo, 1.0, v130, 1.0
	v_mul_f32_e32 v139, v133, v132
	s_delay_alu instid0(VALU_DEP_1) | instskip(NEXT) | instid1(VALU_DEP_1)
	v_fma_f32 v140, -v131, v139, v133
	v_fmac_f32_e32 v139, v140, v132
	s_delay_alu instid0(VALU_DEP_1) | instskip(NEXT) | instid1(VALU_DEP_1)
	v_fma_f32 v131, -v131, v139, v133
	v_div_fmas_f32 v131, v131, v132, v139
	s_delay_alu instid0(VALU_DEP_1) | instskip(NEXT) | instid1(VALU_DEP_1)
	v_div_fixup_f32 v130, v131, v130, 1.0
	v_mul_f32_e64 v131, v129, -v130
.LBB120_387:
	s_or_b32 exec_lo, exec_lo, s1
.LBB120_388:
	s_delay_alu instid0(SALU_CYCLE_1) | instskip(NEXT) | instid1(SALU_CYCLE_1)
	s_or_b32 exec_lo, exec_lo, s0
	s_mov_b32 s0, exec_lo
	v_cmpx_ne_u32_e64 v138, v128
	s_xor_b32 s0, exec_lo, s0
	s_cbranch_execz .LBB120_394
; %bb.389:
	s_mov_b32 s1, exec_lo
	v_cmpx_eq_u32_e32 18, v138
	s_cbranch_execz .LBB120_393
; %bb.390:
	v_cmp_ne_u32_e32 vcc_lo, 18, v128
	s_xor_b32 s12, s16, -1
	s_delay_alu instid0(SALU_CYCLE_1) | instskip(NEXT) | instid1(SALU_CYCLE_1)
	s_and_b32 s13, s12, vcc_lo
	s_and_saveexec_b32 s12, s13
	s_cbranch_execz .LBB120_392
; %bb.391:
	v_ashrrev_i32_e32 v129, 31, v128
	s_delay_alu instid0(VALU_DEP_1)
	v_lshl_add_u64 v[132:133], v[128:129], 2, v[4:5]
	s_clause 0x1
	global_load_b32 v129, v[132:133], off
	global_load_b32 v137, v[4:5], off offset:72
	s_wait_loadcnt 0x1
	global_store_b32 v[4:5], v129, off offset:72
	s_wait_loadcnt 0x0
	global_store_b32 v[132:133], v137, off
.LBB120_392:
	s_wait_xcnt 0x0
	s_or_b32 exec_lo, exec_lo, s12
	v_dual_mov_b32 v138, v128 :: v_dual_mov_b32 v137, v128
.LBB120_393:
	s_or_b32 exec_lo, exec_lo, s1
.LBB120_394:
	s_and_not1_saveexec_b32 s0, s0
	s_cbranch_execz .LBB120_396
; %bb.395:
	v_mov_b32_e32 v138, 18
	ds_store_2addr_b64 v135, v[86:87], v[84:85] offset0:19 offset1:20
	ds_store_2addr_b64 v135, v[80:81], v[82:83] offset0:21 offset1:22
	;; [unrolled: 1-line block ×21, first 2 shown]
.LBB120_396:
	s_or_b32 exec_lo, exec_lo, s0
	s_delay_alu instid0(SALU_CYCLE_1)
	s_mov_b32 s0, exec_lo
	s_wait_storecnt_dscnt 0x0
	s_barrier_signal -1
	s_barrier_wait -1
	v_cmpx_lt_i32_e32 18, v138
	s_cbranch_execz .LBB120_398
; %bb.397:
	ds_load_2addr_b64 v[140:143], v135 offset0:19 offset1:20
	v_pk_mul_f32 v[132:133], v[130:131], v[90:91] op_sel:[1,1] op_sel_hi:[0,1]
	s_delay_alu instid0(VALU_DEP_1) | instskip(SKIP_1) | instid1(VALU_DEP_1)
	v_pk_fma_f32 v[128:129], v[130:131], v[90:91], v[132:133] op_sel_hi:[1,0,1] neg_lo:[0,0,1] neg_hi:[0,0,1]
	v_pk_fma_f32 v[130:131], v[130:131], v[90:91], v[132:133] op_sel_hi:[1,0,1]
	v_dual_mov_b32 v90, v128 :: v_dual_mov_b32 v91, v131
	s_wait_dscnt 0x0
	s_delay_alu instid0(VALU_DEP_2) | instskip(NEXT) | instid1(VALU_DEP_1)
	v_pk_mul_f32 v[132:133], v[140:141], v[130:131] op_sel:[0,1]
	v_pk_fma_f32 v[144:145], v[140:141], v[128:129], v[132:133] op_sel:[0,0,1] op_sel_hi:[1,1,0] neg_lo:[0,0,1] neg_hi:[0,0,1]
	v_pk_fma_f32 v[132:133], v[140:141], v[128:129], v[132:133] op_sel:[0,0,1] op_sel_hi:[1,0,0]
	s_delay_alu instid0(VALU_DEP_1) | instskip(SKIP_1) | instid1(VALU_DEP_1)
	v_mov_b32_e32 v145, v133
	v_pk_mul_f32 v[132:133], v[142:143], v[130:131] op_sel:[0,1]
	v_pk_fma_f32 v[140:141], v[142:143], v[128:129], v[132:133] op_sel:[0,0,1] op_sel_hi:[1,1,0] neg_lo:[0,0,1] neg_hi:[0,0,1]
	v_pk_fma_f32 v[132:133], v[142:143], v[128:129], v[132:133] op_sel:[0,0,1] op_sel_hi:[1,0,0]
	s_delay_alu instid0(VALU_DEP_1) | instskip(SKIP_1) | instid1(VALU_DEP_2)
	v_mov_b32_e32 v141, v133
	v_pk_add_f32 v[86:87], v[86:87], v[144:145] neg_lo:[0,1] neg_hi:[0,1]
	v_pk_add_f32 v[84:85], v[84:85], v[140:141] neg_lo:[0,1] neg_hi:[0,1]
	ds_load_2addr_b64 v[140:143], v135 offset0:21 offset1:22
	s_wait_dscnt 0x0
	v_pk_mul_f32 v[132:133], v[140:141], v[130:131] op_sel:[0,1]
	s_delay_alu instid0(VALU_DEP_1) | instskip(SKIP_2) | instid1(VALU_DEP_2)
	v_pk_fma_f32 v[144:145], v[140:141], v[128:129], v[132:133] op_sel:[0,0,1] op_sel_hi:[1,1,0] neg_lo:[0,0,1] neg_hi:[0,0,1]
	v_pk_fma_f32 v[132:133], v[140:141], v[128:129], v[132:133] op_sel:[0,0,1] op_sel_hi:[1,0,0]
	v_dual_mul_f32 v140, v143, v131 :: v_dual_mov_b32 v132, v143
	v_dual_mov_b32 v145, v133 :: v_dual_mov_b32 v133, v142
	s_delay_alu instid0(VALU_DEP_2) | instskip(SKIP_1) | instid1(VALU_DEP_3)
	v_pk_fma_f32 v[140:141], v[142:143], v[90:91], v[140:141] op_sel_hi:[1,1,0] neg_lo:[0,0,1] neg_hi:[0,0,1]
	v_mul_f32_e32 v142, v143, v128
	v_pk_add_f32 v[80:81], v[80:81], v[144:145] neg_lo:[0,1] neg_hi:[0,1]
	s_delay_alu instid0(VALU_DEP_2) | instskip(NEXT) | instid1(VALU_DEP_1)
	v_pk_fma_f32 v[132:133], v[132:133], v[90:91], v[142:143] op_sel_hi:[1,1,0]
	v_mov_b32_e32 v141, v133
	s_delay_alu instid0(VALU_DEP_1) | instskip(SKIP_3) | instid1(VALU_DEP_1)
	v_pk_add_f32 v[82:83], v[82:83], v[140:141] neg_lo:[0,1] neg_hi:[0,1]
	ds_load_2addr_b64 v[140:143], v135 offset0:23 offset1:24
	s_wait_dscnt 0x0
	v_pk_mul_f32 v[132:133], v[140:141], v[130:131] op_sel:[0,1]
	v_pk_fma_f32 v[144:145], v[140:141], v[128:129], v[132:133] op_sel:[0,0,1] op_sel_hi:[1,1,0] neg_lo:[0,0,1] neg_hi:[0,0,1]
	v_pk_fma_f32 v[132:133], v[140:141], v[128:129], v[132:133] op_sel:[0,0,1] op_sel_hi:[1,0,0]
	s_delay_alu instid0(VALU_DEP_1) | instskip(SKIP_1) | instid1(VALU_DEP_1)
	v_mov_b32_e32 v145, v133
	v_pk_mul_f32 v[132:133], v[142:143], v[130:131] op_sel:[0,1]
	v_pk_fma_f32 v[140:141], v[142:143], v[128:129], v[132:133] op_sel:[0,0,1] op_sel_hi:[1,1,0] neg_lo:[0,0,1] neg_hi:[0,0,1]
	v_pk_fma_f32 v[132:133], v[142:143], v[128:129], v[132:133] op_sel:[0,0,1] op_sel_hi:[1,0,0]
	s_delay_alu instid0(VALU_DEP_1) | instskip(SKIP_1) | instid1(VALU_DEP_2)
	v_mov_b32_e32 v141, v133
	v_pk_add_f32 v[78:79], v[78:79], v[144:145] neg_lo:[0,1] neg_hi:[0,1]
	v_pk_add_f32 v[76:77], v[76:77], v[140:141] neg_lo:[0,1] neg_hi:[0,1]
	ds_load_2addr_b64 v[140:143], v135 offset0:25 offset1:26
	s_wait_dscnt 0x0
	v_pk_mul_f32 v[132:133], v[140:141], v[130:131] op_sel:[0,1]
	s_delay_alu instid0(VALU_DEP_1) | instskip(SKIP_1) | instid1(VALU_DEP_1)
	v_pk_fma_f32 v[144:145], v[140:141], v[128:129], v[132:133] op_sel:[0,0,1] op_sel_hi:[1,1,0] neg_lo:[0,0,1] neg_hi:[0,0,1]
	v_pk_fma_f32 v[132:133], v[140:141], v[128:129], v[132:133] op_sel:[0,0,1] op_sel_hi:[1,0,0]
	v_mov_b32_e32 v145, v133
	v_pk_mul_f32 v[132:133], v[142:143], v[130:131] op_sel:[0,1]
	s_delay_alu instid0(VALU_DEP_1) | instskip(SKIP_1) | instid1(VALU_DEP_1)
	v_pk_fma_f32 v[140:141], v[142:143], v[128:129], v[132:133] op_sel:[0,0,1] op_sel_hi:[1,1,0] neg_lo:[0,0,1] neg_hi:[0,0,1]
	v_pk_fma_f32 v[132:133], v[142:143], v[128:129], v[132:133] op_sel:[0,0,1] op_sel_hi:[1,0,0]
	v_mov_b32_e32 v141, v133
	v_pk_add_f32 v[72:73], v[72:73], v[144:145] neg_lo:[0,1] neg_hi:[0,1]
	s_delay_alu instid0(VALU_DEP_2) | instskip(SKIP_3) | instid1(VALU_DEP_1)
	v_pk_add_f32 v[74:75], v[74:75], v[140:141] neg_lo:[0,1] neg_hi:[0,1]
	ds_load_2addr_b64 v[140:143], v135 offset0:27 offset1:28
	s_wait_dscnt 0x0
	v_dual_mul_f32 v132, v141, v131 :: v_dual_mul_f32 v144, v141, v128
	v_pk_fma_f32 v[132:133], v[140:141], v[90:91], v[132:133] op_sel_hi:[1,1,0] neg_lo:[0,0,1] neg_hi:[0,0,1]
	s_delay_alu instid0(VALU_DEP_2) | instskip(NEXT) | instid1(VALU_DEP_1)
	v_pk_fma_f32 v[140:141], v[140:141], v[90:91], v[144:145] op_sel:[1,0,0] op_sel_hi:[0,1,0]
	v_mov_b32_e32 v133, v141
	s_delay_alu instid0(VALU_DEP_1) | instskip(SKIP_1) | instid1(VALU_DEP_1)
	v_pk_add_f32 v[70:71], v[70:71], v[132:133] neg_lo:[0,1] neg_hi:[0,1]
	v_pk_mul_f32 v[132:133], v[142:143], v[130:131] op_sel:[0,1]
	v_pk_fma_f32 v[140:141], v[142:143], v[128:129], v[132:133] op_sel:[0,0,1] op_sel_hi:[1,1,0] neg_lo:[0,0,1] neg_hi:[0,0,1]
	v_pk_fma_f32 v[132:133], v[142:143], v[128:129], v[132:133] op_sel:[0,0,1] op_sel_hi:[1,0,0]
	s_delay_alu instid0(VALU_DEP_1) | instskip(NEXT) | instid1(VALU_DEP_1)
	v_mov_b32_e32 v141, v133
	v_pk_add_f32 v[68:69], v[68:69], v[140:141] neg_lo:[0,1] neg_hi:[0,1]
	ds_load_2addr_b64 v[140:143], v135 offset0:29 offset1:30
	s_wait_dscnt 0x0
	v_pk_mul_f32 v[132:133], v[140:141], v[130:131] op_sel:[0,1]
	s_delay_alu instid0(VALU_DEP_1) | instskip(SKIP_1) | instid1(VALU_DEP_1)
	v_pk_fma_f32 v[144:145], v[140:141], v[128:129], v[132:133] op_sel:[0,0,1] op_sel_hi:[1,1,0] neg_lo:[0,0,1] neg_hi:[0,0,1]
	v_pk_fma_f32 v[132:133], v[140:141], v[128:129], v[132:133] op_sel:[0,0,1] op_sel_hi:[1,0,0]
	v_mov_b32_e32 v145, v133
	v_pk_mul_f32 v[132:133], v[142:143], v[130:131] op_sel:[0,1]
	s_delay_alu instid0(VALU_DEP_2) | instskip(NEXT) | instid1(VALU_DEP_2)
	v_pk_add_f32 v[64:65], v[64:65], v[144:145] neg_lo:[0,1] neg_hi:[0,1]
	v_pk_fma_f32 v[140:141], v[142:143], v[128:129], v[132:133] op_sel:[0,0,1] op_sel_hi:[1,1,0] neg_lo:[0,0,1] neg_hi:[0,0,1]
	v_pk_fma_f32 v[132:133], v[142:143], v[128:129], v[132:133] op_sel:[0,0,1] op_sel_hi:[1,0,0]
	s_delay_alu instid0(VALU_DEP_1) | instskip(NEXT) | instid1(VALU_DEP_1)
	v_mov_b32_e32 v141, v133
	v_pk_add_f32 v[66:67], v[66:67], v[140:141] neg_lo:[0,1] neg_hi:[0,1]
	ds_load_2addr_b64 v[140:143], v135 offset0:31 offset1:32
	s_wait_dscnt 0x0
	v_pk_mul_f32 v[132:133], v[140:141], v[130:131] op_sel:[0,1]
	s_delay_alu instid0(VALU_DEP_1) | instskip(SKIP_2) | instid1(VALU_DEP_2)
	v_pk_fma_f32 v[144:145], v[140:141], v[128:129], v[132:133] op_sel:[0,0,1] op_sel_hi:[1,1,0] neg_lo:[0,0,1] neg_hi:[0,0,1]
	v_pk_fma_f32 v[132:133], v[140:141], v[128:129], v[132:133] op_sel:[0,0,1] op_sel_hi:[1,0,0]
	v_dual_mul_f32 v140, v143, v131 :: v_dual_mov_b32 v132, v143
	v_dual_mov_b32 v145, v133 :: v_dual_mov_b32 v133, v142
	s_delay_alu instid0(VALU_DEP_2) | instskip(SKIP_1) | instid1(VALU_DEP_3)
	v_pk_fma_f32 v[140:141], v[142:143], v[90:91], v[140:141] op_sel_hi:[1,1,0] neg_lo:[0,0,1] neg_hi:[0,0,1]
	v_mul_f32_e32 v142, v143, v128
	v_pk_add_f32 v[62:63], v[62:63], v[144:145] neg_lo:[0,1] neg_hi:[0,1]
	s_delay_alu instid0(VALU_DEP_2) | instskip(NEXT) | instid1(VALU_DEP_1)
	v_pk_fma_f32 v[132:133], v[132:133], v[90:91], v[142:143] op_sel_hi:[1,1,0]
	v_mov_b32_e32 v141, v133
	s_delay_alu instid0(VALU_DEP_1) | instskip(SKIP_3) | instid1(VALU_DEP_1)
	v_pk_add_f32 v[60:61], v[60:61], v[140:141] neg_lo:[0,1] neg_hi:[0,1]
	ds_load_2addr_b64 v[140:143], v135 offset0:33 offset1:34
	s_wait_dscnt 0x0
	v_pk_mul_f32 v[132:133], v[140:141], v[130:131] op_sel:[0,1]
	v_pk_fma_f32 v[144:145], v[140:141], v[128:129], v[132:133] op_sel:[0,0,1] op_sel_hi:[1,1,0] neg_lo:[0,0,1] neg_hi:[0,0,1]
	v_pk_fma_f32 v[132:133], v[140:141], v[128:129], v[132:133] op_sel:[0,0,1] op_sel_hi:[1,0,0]
	s_delay_alu instid0(VALU_DEP_1) | instskip(SKIP_1) | instid1(VALU_DEP_1)
	v_mov_b32_e32 v145, v133
	v_pk_mul_f32 v[132:133], v[142:143], v[130:131] op_sel:[0,1]
	v_pk_fma_f32 v[140:141], v[142:143], v[128:129], v[132:133] op_sel:[0,0,1] op_sel_hi:[1,1,0] neg_lo:[0,0,1] neg_hi:[0,0,1]
	v_pk_fma_f32 v[132:133], v[142:143], v[128:129], v[132:133] op_sel:[0,0,1] op_sel_hi:[1,0,0]
	s_delay_alu instid0(VALU_DEP_1) | instskip(SKIP_1) | instid1(VALU_DEP_2)
	v_mov_b32_e32 v141, v133
	v_pk_add_f32 v[56:57], v[56:57], v[144:145] neg_lo:[0,1] neg_hi:[0,1]
	v_pk_add_f32 v[58:59], v[58:59], v[140:141] neg_lo:[0,1] neg_hi:[0,1]
	ds_load_2addr_b64 v[140:143], v135 offset0:35 offset1:36
	s_wait_dscnt 0x0
	v_pk_mul_f32 v[132:133], v[140:141], v[130:131] op_sel:[0,1]
	s_delay_alu instid0(VALU_DEP_1) | instskip(SKIP_1) | instid1(VALU_DEP_1)
	v_pk_fma_f32 v[144:145], v[140:141], v[128:129], v[132:133] op_sel:[0,0,1] op_sel_hi:[1,1,0] neg_lo:[0,0,1] neg_hi:[0,0,1]
	v_pk_fma_f32 v[132:133], v[140:141], v[128:129], v[132:133] op_sel:[0,0,1] op_sel_hi:[1,0,0]
	v_mov_b32_e32 v145, v133
	v_pk_mul_f32 v[132:133], v[142:143], v[130:131] op_sel:[0,1]
	s_delay_alu instid0(VALU_DEP_1) | instskip(SKIP_1) | instid1(VALU_DEP_1)
	v_pk_fma_f32 v[140:141], v[142:143], v[128:129], v[132:133] op_sel:[0,0,1] op_sel_hi:[1,1,0] neg_lo:[0,0,1] neg_hi:[0,0,1]
	v_pk_fma_f32 v[132:133], v[142:143], v[128:129], v[132:133] op_sel:[0,0,1] op_sel_hi:[1,0,0]
	v_mov_b32_e32 v141, v133
	v_pk_add_f32 v[54:55], v[54:55], v[144:145] neg_lo:[0,1] neg_hi:[0,1]
	s_delay_alu instid0(VALU_DEP_2) | instskip(SKIP_3) | instid1(VALU_DEP_1)
	v_pk_add_f32 v[52:53], v[52:53], v[140:141] neg_lo:[0,1] neg_hi:[0,1]
	ds_load_2addr_b64 v[140:143], v135 offset0:37 offset1:38
	s_wait_dscnt 0x0
	v_dual_mul_f32 v132, v141, v131 :: v_dual_mul_f32 v144, v141, v128
	v_pk_fma_f32 v[132:133], v[140:141], v[90:91], v[132:133] op_sel_hi:[1,1,0] neg_lo:[0,0,1] neg_hi:[0,0,1]
	s_delay_alu instid0(VALU_DEP_2) | instskip(NEXT) | instid1(VALU_DEP_1)
	v_pk_fma_f32 v[140:141], v[140:141], v[90:91], v[144:145] op_sel:[1,0,0] op_sel_hi:[0,1,0]
	v_mov_b32_e32 v133, v141
	s_delay_alu instid0(VALU_DEP_1) | instskip(SKIP_1) | instid1(VALU_DEP_1)
	v_pk_add_f32 v[48:49], v[48:49], v[132:133] neg_lo:[0,1] neg_hi:[0,1]
	v_pk_mul_f32 v[132:133], v[142:143], v[130:131] op_sel:[0,1]
	v_pk_fma_f32 v[140:141], v[142:143], v[128:129], v[132:133] op_sel:[0,0,1] op_sel_hi:[1,1,0] neg_lo:[0,0,1] neg_hi:[0,0,1]
	v_pk_fma_f32 v[132:133], v[142:143], v[128:129], v[132:133] op_sel:[0,0,1] op_sel_hi:[1,0,0]
	s_delay_alu instid0(VALU_DEP_1) | instskip(NEXT) | instid1(VALU_DEP_1)
	v_mov_b32_e32 v141, v133
	v_pk_add_f32 v[50:51], v[50:51], v[140:141] neg_lo:[0,1] neg_hi:[0,1]
	ds_load_2addr_b64 v[140:143], v135 offset0:39 offset1:40
	s_wait_dscnt 0x0
	v_pk_mul_f32 v[132:133], v[140:141], v[130:131] op_sel:[0,1]
	s_delay_alu instid0(VALU_DEP_1) | instskip(SKIP_1) | instid1(VALU_DEP_1)
	v_pk_fma_f32 v[144:145], v[140:141], v[128:129], v[132:133] op_sel:[0,0,1] op_sel_hi:[1,1,0] neg_lo:[0,0,1] neg_hi:[0,0,1]
	v_pk_fma_f32 v[132:133], v[140:141], v[128:129], v[132:133] op_sel:[0,0,1] op_sel_hi:[1,0,0]
	v_mov_b32_e32 v145, v133
	v_pk_mul_f32 v[132:133], v[142:143], v[130:131] op_sel:[0,1]
	s_delay_alu instid0(VALU_DEP_2) | instskip(NEXT) | instid1(VALU_DEP_2)
	v_pk_add_f32 v[46:47], v[46:47], v[144:145] neg_lo:[0,1] neg_hi:[0,1]
	v_pk_fma_f32 v[140:141], v[142:143], v[128:129], v[132:133] op_sel:[0,0,1] op_sel_hi:[1,1,0] neg_lo:[0,0,1] neg_hi:[0,0,1]
	v_pk_fma_f32 v[132:133], v[142:143], v[128:129], v[132:133] op_sel:[0,0,1] op_sel_hi:[1,0,0]
	s_delay_alu instid0(VALU_DEP_1) | instskip(NEXT) | instid1(VALU_DEP_1)
	v_mov_b32_e32 v141, v133
	v_pk_add_f32 v[42:43], v[42:43], v[140:141] neg_lo:[0,1] neg_hi:[0,1]
	ds_load_2addr_b64 v[140:143], v135 offset0:41 offset1:42
	s_wait_dscnt 0x0
	v_pk_mul_f32 v[132:133], v[140:141], v[130:131] op_sel:[0,1]
	s_delay_alu instid0(VALU_DEP_1) | instskip(SKIP_2) | instid1(VALU_DEP_2)
	v_pk_fma_f32 v[144:145], v[140:141], v[128:129], v[132:133] op_sel:[0,0,1] op_sel_hi:[1,1,0] neg_lo:[0,0,1] neg_hi:[0,0,1]
	v_pk_fma_f32 v[132:133], v[140:141], v[128:129], v[132:133] op_sel:[0,0,1] op_sel_hi:[1,0,0]
	v_dual_mul_f32 v140, v143, v131 :: v_dual_mov_b32 v132, v143
	v_dual_mov_b32 v145, v133 :: v_dual_mov_b32 v133, v142
	s_delay_alu instid0(VALU_DEP_2) | instskip(SKIP_1) | instid1(VALU_DEP_3)
	v_pk_fma_f32 v[140:141], v[142:143], v[90:91], v[140:141] op_sel_hi:[1,1,0] neg_lo:[0,0,1] neg_hi:[0,0,1]
	v_mul_f32_e32 v142, v143, v128
	v_pk_add_f32 v[38:39], v[38:39], v[144:145] neg_lo:[0,1] neg_hi:[0,1]
	s_delay_alu instid0(VALU_DEP_2) | instskip(NEXT) | instid1(VALU_DEP_1)
	v_pk_fma_f32 v[132:133], v[132:133], v[90:91], v[142:143] op_sel_hi:[1,1,0]
	v_mov_b32_e32 v141, v133
	s_delay_alu instid0(VALU_DEP_1) | instskip(SKIP_3) | instid1(VALU_DEP_1)
	v_pk_add_f32 v[40:41], v[40:41], v[140:141] neg_lo:[0,1] neg_hi:[0,1]
	ds_load_2addr_b64 v[140:143], v135 offset0:43 offset1:44
	s_wait_dscnt 0x0
	v_pk_mul_f32 v[132:133], v[140:141], v[130:131] op_sel:[0,1]
	v_pk_fma_f32 v[144:145], v[140:141], v[128:129], v[132:133] op_sel:[0,0,1] op_sel_hi:[1,1,0] neg_lo:[0,0,1] neg_hi:[0,0,1]
	v_pk_fma_f32 v[132:133], v[140:141], v[128:129], v[132:133] op_sel:[0,0,1] op_sel_hi:[1,0,0]
	s_delay_alu instid0(VALU_DEP_1) | instskip(SKIP_1) | instid1(VALU_DEP_1)
	v_mov_b32_e32 v145, v133
	v_pk_mul_f32 v[132:133], v[142:143], v[130:131] op_sel:[0,1]
	v_pk_fma_f32 v[140:141], v[142:143], v[128:129], v[132:133] op_sel:[0,0,1] op_sel_hi:[1,1,0] neg_lo:[0,0,1] neg_hi:[0,0,1]
	v_pk_fma_f32 v[132:133], v[142:143], v[128:129], v[132:133] op_sel:[0,0,1] op_sel_hi:[1,0,0]
	s_delay_alu instid0(VALU_DEP_1) | instskip(SKIP_1) | instid1(VALU_DEP_2)
	v_mov_b32_e32 v141, v133
	v_pk_add_f32 v[36:37], v[36:37], v[144:145] neg_lo:[0,1] neg_hi:[0,1]
	v_pk_add_f32 v[34:35], v[34:35], v[140:141] neg_lo:[0,1] neg_hi:[0,1]
	ds_load_2addr_b64 v[140:143], v135 offset0:45 offset1:46
	s_wait_dscnt 0x0
	v_pk_mul_f32 v[132:133], v[140:141], v[130:131] op_sel:[0,1]
	s_delay_alu instid0(VALU_DEP_1) | instskip(SKIP_1) | instid1(VALU_DEP_1)
	v_pk_fma_f32 v[144:145], v[140:141], v[128:129], v[132:133] op_sel:[0,0,1] op_sel_hi:[1,1,0] neg_lo:[0,0,1] neg_hi:[0,0,1]
	v_pk_fma_f32 v[132:133], v[140:141], v[128:129], v[132:133] op_sel:[0,0,1] op_sel_hi:[1,0,0]
	v_mov_b32_e32 v145, v133
	v_pk_mul_f32 v[132:133], v[142:143], v[130:131] op_sel:[0,1]
	s_delay_alu instid0(VALU_DEP_1) | instskip(SKIP_1) | instid1(VALU_DEP_1)
	v_pk_fma_f32 v[140:141], v[142:143], v[128:129], v[132:133] op_sel:[0,0,1] op_sel_hi:[1,1,0] neg_lo:[0,0,1] neg_hi:[0,0,1]
	v_pk_fma_f32 v[132:133], v[142:143], v[128:129], v[132:133] op_sel:[0,0,1] op_sel_hi:[1,0,0]
	v_mov_b32_e32 v141, v133
	v_pk_add_f32 v[30:31], v[30:31], v[144:145] neg_lo:[0,1] neg_hi:[0,1]
	s_delay_alu instid0(VALU_DEP_2) | instskip(SKIP_3) | instid1(VALU_DEP_1)
	v_pk_add_f32 v[32:33], v[32:33], v[140:141] neg_lo:[0,1] neg_hi:[0,1]
	ds_load_2addr_b64 v[140:143], v135 offset0:47 offset1:48
	s_wait_dscnt 0x0
	v_dual_mul_f32 v132, v141, v131 :: v_dual_mul_f32 v144, v141, v128
	v_pk_fma_f32 v[132:133], v[140:141], v[90:91], v[132:133] op_sel_hi:[1,1,0] neg_lo:[0,0,1] neg_hi:[0,0,1]
	s_delay_alu instid0(VALU_DEP_2) | instskip(NEXT) | instid1(VALU_DEP_1)
	v_pk_fma_f32 v[140:141], v[140:141], v[90:91], v[144:145] op_sel:[1,0,0] op_sel_hi:[0,1,0]
	v_mov_b32_e32 v133, v141
	s_delay_alu instid0(VALU_DEP_1) | instskip(SKIP_1) | instid1(VALU_DEP_1)
	v_pk_add_f32 v[28:29], v[28:29], v[132:133] neg_lo:[0,1] neg_hi:[0,1]
	v_pk_mul_f32 v[132:133], v[142:143], v[130:131] op_sel:[0,1]
	v_pk_fma_f32 v[140:141], v[142:143], v[128:129], v[132:133] op_sel:[0,0,1] op_sel_hi:[1,1,0] neg_lo:[0,0,1] neg_hi:[0,0,1]
	v_pk_fma_f32 v[132:133], v[142:143], v[128:129], v[132:133] op_sel:[0,0,1] op_sel_hi:[1,0,0]
	s_delay_alu instid0(VALU_DEP_1) | instskip(NEXT) | instid1(VALU_DEP_1)
	v_mov_b32_e32 v141, v133
	v_pk_add_f32 v[26:27], v[26:27], v[140:141] neg_lo:[0,1] neg_hi:[0,1]
	ds_load_2addr_b64 v[140:143], v135 offset0:49 offset1:50
	s_wait_dscnt 0x0
	v_pk_mul_f32 v[132:133], v[140:141], v[130:131] op_sel:[0,1]
	s_delay_alu instid0(VALU_DEP_1) | instskip(SKIP_1) | instid1(VALU_DEP_1)
	v_pk_fma_f32 v[144:145], v[140:141], v[128:129], v[132:133] op_sel:[0,0,1] op_sel_hi:[1,1,0] neg_lo:[0,0,1] neg_hi:[0,0,1]
	v_pk_fma_f32 v[132:133], v[140:141], v[128:129], v[132:133] op_sel:[0,0,1] op_sel_hi:[1,0,0]
	v_mov_b32_e32 v145, v133
	v_pk_mul_f32 v[132:133], v[142:143], v[130:131] op_sel:[0,1]
	s_delay_alu instid0(VALU_DEP_2) | instskip(NEXT) | instid1(VALU_DEP_2)
	v_pk_add_f32 v[22:23], v[22:23], v[144:145] neg_lo:[0,1] neg_hi:[0,1]
	v_pk_fma_f32 v[140:141], v[142:143], v[128:129], v[132:133] op_sel:[0,0,1] op_sel_hi:[1,1,0] neg_lo:[0,0,1] neg_hi:[0,0,1]
	v_pk_fma_f32 v[132:133], v[142:143], v[128:129], v[132:133] op_sel:[0,0,1] op_sel_hi:[1,0,0]
	s_delay_alu instid0(VALU_DEP_1) | instskip(NEXT) | instid1(VALU_DEP_1)
	v_mov_b32_e32 v141, v133
	v_pk_add_f32 v[24:25], v[24:25], v[140:141] neg_lo:[0,1] neg_hi:[0,1]
	ds_load_2addr_b64 v[140:143], v135 offset0:51 offset1:52
	s_wait_dscnt 0x0
	v_pk_mul_f32 v[132:133], v[140:141], v[130:131] op_sel:[0,1]
	s_delay_alu instid0(VALU_DEP_1) | instskip(SKIP_2) | instid1(VALU_DEP_2)
	v_pk_fma_f32 v[144:145], v[140:141], v[128:129], v[132:133] op_sel:[0,0,1] op_sel_hi:[1,1,0] neg_lo:[0,0,1] neg_hi:[0,0,1]
	v_pk_fma_f32 v[132:133], v[140:141], v[128:129], v[132:133] op_sel:[0,0,1] op_sel_hi:[1,0,0]
	v_dual_mul_f32 v140, v143, v131 :: v_dual_mov_b32 v132, v143
	v_dual_mov_b32 v145, v133 :: v_dual_mov_b32 v133, v142
	s_delay_alu instid0(VALU_DEP_2) | instskip(SKIP_1) | instid1(VALU_DEP_3)
	v_pk_fma_f32 v[140:141], v[142:143], v[90:91], v[140:141] op_sel_hi:[1,1,0] neg_lo:[0,0,1] neg_hi:[0,0,1]
	v_mul_f32_e32 v142, v143, v128
	v_pk_add_f32 v[44:45], v[44:45], v[144:145] neg_lo:[0,1] neg_hi:[0,1]
	s_delay_alu instid0(VALU_DEP_2) | instskip(NEXT) | instid1(VALU_DEP_1)
	v_pk_fma_f32 v[132:133], v[132:133], v[90:91], v[142:143] op_sel_hi:[1,1,0]
	v_mov_b32_e32 v141, v133
	s_delay_alu instid0(VALU_DEP_1) | instskip(SKIP_3) | instid1(VALU_DEP_1)
	v_pk_add_f32 v[16:17], v[16:17], v[140:141] neg_lo:[0,1] neg_hi:[0,1]
	ds_load_2addr_b64 v[140:143], v135 offset0:53 offset1:54
	s_wait_dscnt 0x0
	v_pk_mul_f32 v[132:133], v[140:141], v[130:131] op_sel:[0,1]
	v_pk_fma_f32 v[144:145], v[140:141], v[128:129], v[132:133] op_sel:[0,0,1] op_sel_hi:[1,1,0] neg_lo:[0,0,1] neg_hi:[0,0,1]
	v_pk_fma_f32 v[132:133], v[140:141], v[128:129], v[132:133] op_sel:[0,0,1] op_sel_hi:[1,0,0]
	s_delay_alu instid0(VALU_DEP_1) | instskip(SKIP_1) | instid1(VALU_DEP_1)
	v_mov_b32_e32 v145, v133
	v_pk_mul_f32 v[132:133], v[142:143], v[130:131] op_sel:[0,1]
	v_pk_fma_f32 v[140:141], v[142:143], v[128:129], v[132:133] op_sel:[0,0,1] op_sel_hi:[1,1,0] neg_lo:[0,0,1] neg_hi:[0,0,1]
	v_pk_fma_f32 v[132:133], v[142:143], v[128:129], v[132:133] op_sel:[0,0,1] op_sel_hi:[1,0,0]
	s_delay_alu instid0(VALU_DEP_1) | instskip(SKIP_1) | instid1(VALU_DEP_2)
	v_mov_b32_e32 v141, v133
	v_pk_add_f32 v[12:13], v[12:13], v[144:145] neg_lo:[0,1] neg_hi:[0,1]
	v_pk_add_f32 v[14:15], v[14:15], v[140:141] neg_lo:[0,1] neg_hi:[0,1]
	ds_load_2addr_b64 v[140:143], v135 offset0:55 offset1:56
	s_wait_dscnt 0x0
	v_pk_mul_f32 v[132:133], v[140:141], v[130:131] op_sel:[0,1]
	s_delay_alu instid0(VALU_DEP_1) | instskip(SKIP_1) | instid1(VALU_DEP_1)
	v_pk_fma_f32 v[144:145], v[140:141], v[128:129], v[132:133] op_sel:[0,0,1] op_sel_hi:[1,1,0] neg_lo:[0,0,1] neg_hi:[0,0,1]
	v_pk_fma_f32 v[132:133], v[140:141], v[128:129], v[132:133] op_sel:[0,0,1] op_sel_hi:[1,0,0]
	v_mov_b32_e32 v145, v133
	v_pk_mul_f32 v[132:133], v[142:143], v[130:131] op_sel:[0,1]
	s_delay_alu instid0(VALU_DEP_1) | instskip(SKIP_1) | instid1(VALU_DEP_1)
	v_pk_fma_f32 v[140:141], v[142:143], v[128:129], v[132:133] op_sel:[0,0,1] op_sel_hi:[1,1,0] neg_lo:[0,0,1] neg_hi:[0,0,1]
	v_pk_fma_f32 v[132:133], v[142:143], v[128:129], v[132:133] op_sel:[0,0,1] op_sel_hi:[1,0,0]
	v_mov_b32_e32 v141, v133
	v_pk_add_f32 v[10:11], v[10:11], v[144:145] neg_lo:[0,1] neg_hi:[0,1]
	s_delay_alu instid0(VALU_DEP_2) | instskip(SKIP_3) | instid1(VALU_DEP_1)
	v_pk_add_f32 v[6:7], v[6:7], v[140:141] neg_lo:[0,1] neg_hi:[0,1]
	ds_load_2addr_b64 v[140:143], v135 offset0:57 offset1:58
	s_wait_dscnt 0x0
	v_dual_mul_f32 v132, v141, v131 :: v_dual_mul_f32 v144, v141, v128
	v_pk_fma_f32 v[132:133], v[140:141], v[90:91], v[132:133] op_sel_hi:[1,1,0] neg_lo:[0,0,1] neg_hi:[0,0,1]
	s_delay_alu instid0(VALU_DEP_2) | instskip(NEXT) | instid1(VALU_DEP_1)
	v_pk_fma_f32 v[140:141], v[140:141], v[90:91], v[144:145] op_sel:[1,0,0] op_sel_hi:[0,1,0]
	v_mov_b32_e32 v133, v141
	s_delay_alu instid0(VALU_DEP_1) | instskip(SKIP_1) | instid1(VALU_DEP_1)
	v_pk_add_f32 v[20:21], v[20:21], v[132:133] neg_lo:[0,1] neg_hi:[0,1]
	v_pk_mul_f32 v[132:133], v[142:143], v[130:131] op_sel:[0,1]
	v_pk_fma_f32 v[140:141], v[142:143], v[128:129], v[132:133] op_sel:[0,0,1] op_sel_hi:[1,1,0] neg_lo:[0,0,1] neg_hi:[0,0,1]
	v_pk_fma_f32 v[132:133], v[142:143], v[128:129], v[132:133] op_sel:[0,0,1] op_sel_hi:[1,0,0]
	s_delay_alu instid0(VALU_DEP_1) | instskip(NEXT) | instid1(VALU_DEP_1)
	v_mov_b32_e32 v141, v133
	v_pk_add_f32 v[18:19], v[18:19], v[140:141] neg_lo:[0,1] neg_hi:[0,1]
	ds_load_2addr_b64 v[140:143], v135 offset0:59 offset1:60
	s_wait_dscnt 0x0
	v_pk_mul_f32 v[132:133], v[140:141], v[130:131] op_sel:[0,1]
	v_mul_f32_e32 v130, v143, v131
	s_delay_alu instid0(VALU_DEP_2) | instskip(SKIP_2) | instid1(VALU_DEP_4)
	v_pk_fma_f32 v[144:145], v[140:141], v[128:129], v[132:133] op_sel:[0,0,1] op_sel_hi:[1,1,0] neg_lo:[0,0,1] neg_hi:[0,0,1]
	v_pk_fma_f32 v[132:133], v[140:141], v[128:129], v[132:133] op_sel:[0,0,1] op_sel_hi:[1,0,0]
	v_dual_mov_b32 v132, v143 :: v_dual_mul_f32 v128, v143, v128
	v_pk_fma_f32 v[130:131], v[142:143], v[90:91], v[130:131] op_sel_hi:[1,1,0] neg_lo:[0,0,1] neg_hi:[0,0,1]
	s_delay_alu instid0(VALU_DEP_3) | instskip(NEXT) | instid1(VALU_DEP_1)
	v_dual_mov_b32 v145, v133 :: v_dual_mov_b32 v133, v142
	v_pk_add_f32 v[8:9], v[8:9], v[144:145] neg_lo:[0,1] neg_hi:[0,1]
	s_delay_alu instid0(VALU_DEP_2) | instskip(NEXT) | instid1(VALU_DEP_1)
	v_pk_fma_f32 v[128:129], v[132:133], v[90:91], v[128:129] op_sel_hi:[1,1,0]
	v_mov_b32_e32 v131, v129
	s_delay_alu instid0(VALU_DEP_1)
	v_pk_add_f32 v[126:127], v[126:127], v[130:131] neg_lo:[0,1] neg_hi:[0,1]
.LBB120_398:
	s_or_b32 exec_lo, exec_lo, s0
	v_lshl_add_u32 v128, v138, 3, v135
	s_barrier_signal -1
	s_barrier_wait -1
	ds_store_b64 v128, v[86:87]
	s_wait_dscnt 0x0
	s_barrier_signal -1
	s_barrier_wait -1
	ds_load_b64 v[130:131], v135 offset:152
	v_mov_b32_e32 v128, 19
	s_cmp_lt_i32 s18, 21
	s_cbranch_scc1 .LBB120_401
; %bb.399:
	v_add3_u32 v129, v136, 0, 0xa0
	v_mov_b32_e32 v128, 19
	s_mov_b32 s0, 20
.LBB120_400:                            ; =>This Inner Loop Header: Depth=1
	ds_load_b64 v[132:133], v129
	s_wait_dscnt 0x1
	v_cmp_gt_f32_e32 vcc_lo, 0, v130
	v_cndmask_b32_e64 v140, v130, -v130, vcc_lo
	v_cmp_gt_f32_e32 vcc_lo, 0, v131
	v_cndmask_b32_e64 v142, v131, -v131, vcc_lo
	s_wait_dscnt 0x0
	v_cmp_gt_f32_e32 vcc_lo, 0, v132
	v_cndmask_b32_e64 v141, v132, -v132, vcc_lo
	v_cmp_gt_f32_e32 vcc_lo, 0, v133
	v_cndmask_b32_e64 v143, v133, -v133, vcc_lo
	s_delay_alu instid0(VALU_DEP_1) | instskip(NEXT) | instid1(VALU_DEP_1)
	v_pk_add_f32 v[140:141], v[140:141], v[142:143]
	v_cmp_lt_f32_e32 vcc_lo, v140, v141
	v_dual_cndmask_b32 v130, v130, v132 :: v_dual_add_nc_u32 v129, 8, v129
	v_cndmask_b32_e32 v131, v131, v133, vcc_lo
	v_cndmask_b32_e64 v128, v128, s0, vcc_lo
	s_add_co_i32 s0, s0, 1
	s_delay_alu instid0(SALU_CYCLE_1)
	s_cmp_lg_u32 s18, s0
	s_cbranch_scc1 .LBB120_400
.LBB120_401:
	s_wait_dscnt 0x0
	v_cmp_eq_f32_e32 vcc_lo, 0, v130
	v_cmp_eq_f32_e64 s0, 0, v131
	s_and_b32 s0, vcc_lo, s0
	s_delay_alu instid0(SALU_CYCLE_1) | instskip(NEXT) | instid1(SALU_CYCLE_1)
	s_and_saveexec_b32 s1, s0
	s_xor_b32 s0, exec_lo, s1
; %bb.402:
	v_cmp_ne_u32_e32 vcc_lo, 0, v134
	v_cndmask_b32_e32 v134, 20, v134, vcc_lo
; %bb.403:
	s_and_not1_saveexec_b32 s0, s0
	s_cbranch_execz .LBB120_409
; %bb.404:
	v_cmp_ngt_f32_e64 s1, |v130|, |v131|
	s_and_saveexec_b32 s12, s1
	s_delay_alu instid0(SALU_CYCLE_1)
	s_xor_b32 s1, exec_lo, s12
	s_cbranch_execz .LBB120_406
; %bb.405:
	v_div_scale_f32 v129, null, v131, v131, v130
	v_div_scale_f32 v139, vcc_lo, v130, v131, v130
	s_delay_alu instid0(VALU_DEP_2) | instskip(SKIP_1) | instid1(TRANS32_DEP_1)
	v_rcp_f32_e32 v132, v129
	v_nop
	v_fma_f32 v133, -v129, v132, 1.0
	s_delay_alu instid0(VALU_DEP_1) | instskip(NEXT) | instid1(VALU_DEP_1)
	v_fmac_f32_e32 v132, v133, v132
	v_mul_f32_e32 v133, v139, v132
	s_delay_alu instid0(VALU_DEP_1) | instskip(NEXT) | instid1(VALU_DEP_1)
	v_fma_f32 v140, -v129, v133, v139
	v_fmac_f32_e32 v133, v140, v132
	s_delay_alu instid0(VALU_DEP_1) | instskip(NEXT) | instid1(VALU_DEP_1)
	v_fma_f32 v129, -v129, v133, v139
	v_div_fmas_f32 v129, v129, v132, v133
	s_delay_alu instid0(VALU_DEP_1) | instskip(NEXT) | instid1(VALU_DEP_1)
	v_div_fixup_f32 v129, v129, v131, v130
	v_fmac_f32_e32 v131, v130, v129
	s_delay_alu instid0(VALU_DEP_1) | instskip(SKIP_1) | instid1(VALU_DEP_2)
	v_div_scale_f32 v130, null, v131, v131, 1.0
	v_div_scale_f32 v139, vcc_lo, 1.0, v131, 1.0
	v_rcp_f32_e32 v132, v130
	v_nop
	s_delay_alu instid0(TRANS32_DEP_1) | instskip(NEXT) | instid1(VALU_DEP_1)
	v_fma_f32 v133, -v130, v132, 1.0
	v_fmac_f32_e32 v132, v133, v132
	s_delay_alu instid0(VALU_DEP_1) | instskip(NEXT) | instid1(VALU_DEP_1)
	v_mul_f32_e32 v133, v139, v132
	v_fma_f32 v140, -v130, v133, v139
	s_delay_alu instid0(VALU_DEP_1) | instskip(NEXT) | instid1(VALU_DEP_1)
	v_fmac_f32_e32 v133, v140, v132
	v_fma_f32 v130, -v130, v133, v139
	s_delay_alu instid0(VALU_DEP_1) | instskip(NEXT) | instid1(VALU_DEP_1)
	v_div_fmas_f32 v130, v130, v132, v133
	v_div_fixup_f32 v131, v130, v131, 1.0
	s_delay_alu instid0(VALU_DEP_1)
	v_mul_f32_e32 v130, v129, v131
	v_xor_b32_e32 v131, 0x80000000, v131
.LBB120_406:
	s_and_not1_saveexec_b32 s1, s1
	s_cbranch_execz .LBB120_408
; %bb.407:
	s_delay_alu instid0(VALU_DEP_1) | instskip(SKIP_1) | instid1(VALU_DEP_2)
	v_div_scale_f32 v129, null, v130, v130, v131
	v_div_scale_f32 v139, vcc_lo, v131, v130, v131
	v_rcp_f32_e32 v132, v129
	v_nop
	s_delay_alu instid0(TRANS32_DEP_1) | instskip(NEXT) | instid1(VALU_DEP_1)
	v_fma_f32 v133, -v129, v132, 1.0
	v_fmac_f32_e32 v132, v133, v132
	s_delay_alu instid0(VALU_DEP_1) | instskip(NEXT) | instid1(VALU_DEP_1)
	v_mul_f32_e32 v133, v139, v132
	v_fma_f32 v140, -v129, v133, v139
	s_delay_alu instid0(VALU_DEP_1) | instskip(NEXT) | instid1(VALU_DEP_1)
	v_fmac_f32_e32 v133, v140, v132
	v_fma_f32 v129, -v129, v133, v139
	s_delay_alu instid0(VALU_DEP_1) | instskip(NEXT) | instid1(VALU_DEP_1)
	v_div_fmas_f32 v129, v129, v132, v133
	v_div_fixup_f32 v129, v129, v130, v131
	s_delay_alu instid0(VALU_DEP_1) | instskip(NEXT) | instid1(VALU_DEP_1)
	v_fmac_f32_e32 v130, v131, v129
	v_div_scale_f32 v131, null, v130, v130, 1.0
	s_delay_alu instid0(VALU_DEP_1) | instskip(SKIP_1) | instid1(TRANS32_DEP_1)
	v_rcp_f32_e32 v132, v131
	v_nop
	v_fma_f32 v133, -v131, v132, 1.0
	s_delay_alu instid0(VALU_DEP_1) | instskip(SKIP_1) | instid1(VALU_DEP_1)
	v_fmac_f32_e32 v132, v133, v132
	v_div_scale_f32 v133, vcc_lo, 1.0, v130, 1.0
	v_mul_f32_e32 v139, v133, v132
	s_delay_alu instid0(VALU_DEP_1) | instskip(NEXT) | instid1(VALU_DEP_1)
	v_fma_f32 v140, -v131, v139, v133
	v_fmac_f32_e32 v139, v140, v132
	s_delay_alu instid0(VALU_DEP_1) | instskip(NEXT) | instid1(VALU_DEP_1)
	v_fma_f32 v131, -v131, v139, v133
	v_div_fmas_f32 v131, v131, v132, v139
	s_delay_alu instid0(VALU_DEP_1) | instskip(NEXT) | instid1(VALU_DEP_1)
	v_div_fixup_f32 v130, v131, v130, 1.0
	v_mul_f32_e64 v131, v129, -v130
.LBB120_408:
	s_or_b32 exec_lo, exec_lo, s1
.LBB120_409:
	s_delay_alu instid0(SALU_CYCLE_1) | instskip(NEXT) | instid1(SALU_CYCLE_1)
	s_or_b32 exec_lo, exec_lo, s0
	s_mov_b32 s0, exec_lo
	v_cmpx_ne_u32_e64 v138, v128
	s_xor_b32 s0, exec_lo, s0
	s_cbranch_execz .LBB120_415
; %bb.410:
	s_mov_b32 s1, exec_lo
	v_cmpx_eq_u32_e32 19, v138
	s_cbranch_execz .LBB120_414
; %bb.411:
	v_cmp_ne_u32_e32 vcc_lo, 19, v128
	s_xor_b32 s12, s16, -1
	s_delay_alu instid0(SALU_CYCLE_1) | instskip(NEXT) | instid1(SALU_CYCLE_1)
	s_and_b32 s13, s12, vcc_lo
	s_and_saveexec_b32 s12, s13
	s_cbranch_execz .LBB120_413
; %bb.412:
	v_ashrrev_i32_e32 v129, 31, v128
	s_delay_alu instid0(VALU_DEP_1)
	v_lshl_add_u64 v[132:133], v[128:129], 2, v[4:5]
	s_clause 0x1
	global_load_b32 v129, v[132:133], off
	global_load_b32 v137, v[4:5], off offset:76
	s_wait_loadcnt 0x1
	global_store_b32 v[4:5], v129, off offset:76
	s_wait_loadcnt 0x0
	global_store_b32 v[132:133], v137, off
.LBB120_413:
	s_wait_xcnt 0x0
	s_or_b32 exec_lo, exec_lo, s12
	v_dual_mov_b32 v138, v128 :: v_dual_mov_b32 v137, v128
.LBB120_414:
	s_or_b32 exec_lo, exec_lo, s1
.LBB120_415:
	s_and_not1_saveexec_b32 s0, s0
	s_cbranch_execz .LBB120_417
; %bb.416:
	v_dual_mov_b32 v128, v84 :: v_dual_mov_b32 v129, v85
	v_dual_mov_b32 v132, v80 :: v_dual_mov_b32 v133, v81
	;; [unrolled: 1-line block ×8, first 2 shown]
	ds_store_2addr_b64 v135, v[128:129], v[132:133] offset0:20 offset1:21
	ds_store_2addr_b64 v135, v[138:139], v[140:141] offset0:22 offset1:23
	ds_store_2addr_b64 v135, v[142:143], v[144:145] offset0:24 offset1:25
	ds_store_2addr_b64 v135, v[146:147], v[148:149] offset0:26 offset1:27
	v_dual_mov_b32 v128, v68 :: v_dual_mov_b32 v129, v69
	v_dual_mov_b32 v132, v64 :: v_dual_mov_b32 v133, v65
	;; [unrolled: 1-line block ×12, first 2 shown]
	ds_store_2addr_b64 v135, v[128:129], v[132:133] offset0:28 offset1:29
	ds_store_2addr_b64 v135, v[138:139], v[140:141] offset0:30 offset1:31
	;; [unrolled: 1-line block ×6, first 2 shown]
	v_dual_mov_b32 v128, v42 :: v_dual_mov_b32 v129, v43
	v_dual_mov_b32 v132, v38 :: v_dual_mov_b32 v133, v39
	;; [unrolled: 1-line block ×12, first 2 shown]
	ds_store_2addr_b64 v135, v[128:129], v[132:133] offset0:40 offset1:41
	ds_store_2addr_b64 v135, v[138:139], v[140:141] offset0:42 offset1:43
	;; [unrolled: 1-line block ×6, first 2 shown]
	v_dual_mov_b32 v128, v16 :: v_dual_mov_b32 v129, v17
	v_dual_mov_b32 v132, v12 :: v_dual_mov_b32 v133, v13
	;; [unrolled: 1-line block ×8, first 2 shown]
	v_mov_b32_e32 v151, v9
	ds_store_2addr_b64 v135, v[128:129], v[132:133] offset0:52 offset1:53
	ds_store_2addr_b64 v135, v[140:141], v[142:143] offset0:54 offset1:55
	;; [unrolled: 1-line block ×4, first 2 shown]
	ds_store_b64 v135, v[126:127] offset:480
.LBB120_417:
	s_or_b32 exec_lo, exec_lo, s0
	s_delay_alu instid0(SALU_CYCLE_1)
	s_mov_b32 s0, exec_lo
	s_wait_storecnt_dscnt 0x0
	s_barrier_signal -1
	s_barrier_wait -1
	v_cmpx_lt_i32_e32 19, v138
	s_cbranch_execz .LBB120_419
; %bb.418:
	ds_load_2addr_b64 v[140:143], v135 offset0:20 offset1:21
	v_pk_mul_f32 v[132:133], v[130:131], v[86:87] op_sel:[1,1] op_sel_hi:[0,1]
	s_delay_alu instid0(VALU_DEP_1) | instskip(SKIP_1) | instid1(VALU_DEP_1)
	v_pk_fma_f32 v[128:129], v[130:131], v[86:87], v[132:133] op_sel_hi:[1,0,1] neg_lo:[0,0,1] neg_hi:[0,0,1]
	v_pk_fma_f32 v[130:131], v[130:131], v[86:87], v[132:133] op_sel_hi:[1,0,1]
	v_dual_mov_b32 v86, v128 :: v_dual_mov_b32 v87, v131
	s_wait_dscnt 0x0
	s_delay_alu instid0(VALU_DEP_2) | instskip(NEXT) | instid1(VALU_DEP_1)
	v_pk_mul_f32 v[132:133], v[140:141], v[130:131] op_sel:[0,1]
	v_pk_fma_f32 v[144:145], v[140:141], v[128:129], v[132:133] op_sel:[0,0,1] op_sel_hi:[1,1,0] neg_lo:[0,0,1] neg_hi:[0,0,1]
	v_pk_fma_f32 v[132:133], v[140:141], v[128:129], v[132:133] op_sel:[0,0,1] op_sel_hi:[1,0,0]
	s_delay_alu instid0(VALU_DEP_1) | instskip(SKIP_1) | instid1(VALU_DEP_1)
	v_mov_b32_e32 v145, v133
	v_pk_mul_f32 v[132:133], v[142:143], v[130:131] op_sel:[0,1]
	v_pk_fma_f32 v[140:141], v[142:143], v[128:129], v[132:133] op_sel:[0,0,1] op_sel_hi:[1,1,0] neg_lo:[0,0,1] neg_hi:[0,0,1]
	v_pk_fma_f32 v[132:133], v[142:143], v[128:129], v[132:133] op_sel:[0,0,1] op_sel_hi:[1,0,0]
	s_delay_alu instid0(VALU_DEP_1) | instskip(SKIP_1) | instid1(VALU_DEP_2)
	v_mov_b32_e32 v141, v133
	v_pk_add_f32 v[84:85], v[84:85], v[144:145] neg_lo:[0,1] neg_hi:[0,1]
	v_pk_add_f32 v[80:81], v[80:81], v[140:141] neg_lo:[0,1] neg_hi:[0,1]
	ds_load_2addr_b64 v[140:143], v135 offset0:22 offset1:23
	s_wait_dscnt 0x0
	v_pk_mul_f32 v[132:133], v[140:141], v[130:131] op_sel:[0,1]
	s_delay_alu instid0(VALU_DEP_1) | instskip(SKIP_2) | instid1(VALU_DEP_2)
	v_pk_fma_f32 v[144:145], v[140:141], v[128:129], v[132:133] op_sel:[0,0,1] op_sel_hi:[1,1,0] neg_lo:[0,0,1] neg_hi:[0,0,1]
	v_pk_fma_f32 v[132:133], v[140:141], v[128:129], v[132:133] op_sel:[0,0,1] op_sel_hi:[1,0,0]
	v_dual_mul_f32 v140, v143, v131 :: v_dual_mov_b32 v132, v143
	v_dual_mov_b32 v145, v133 :: v_dual_mov_b32 v133, v142
	s_delay_alu instid0(VALU_DEP_2) | instskip(SKIP_1) | instid1(VALU_DEP_3)
	v_pk_fma_f32 v[140:141], v[142:143], v[86:87], v[140:141] op_sel_hi:[1,1,0] neg_lo:[0,0,1] neg_hi:[0,0,1]
	v_mul_f32_e32 v142, v143, v128
	v_pk_add_f32 v[82:83], v[82:83], v[144:145] neg_lo:[0,1] neg_hi:[0,1]
	s_delay_alu instid0(VALU_DEP_2) | instskip(NEXT) | instid1(VALU_DEP_1)
	v_pk_fma_f32 v[132:133], v[132:133], v[86:87], v[142:143] op_sel_hi:[1,1,0]
	v_mov_b32_e32 v141, v133
	s_delay_alu instid0(VALU_DEP_1) | instskip(SKIP_3) | instid1(VALU_DEP_1)
	v_pk_add_f32 v[78:79], v[78:79], v[140:141] neg_lo:[0,1] neg_hi:[0,1]
	ds_load_2addr_b64 v[140:143], v135 offset0:24 offset1:25
	s_wait_dscnt 0x0
	v_pk_mul_f32 v[132:133], v[140:141], v[130:131] op_sel:[0,1]
	v_pk_fma_f32 v[144:145], v[140:141], v[128:129], v[132:133] op_sel:[0,0,1] op_sel_hi:[1,1,0] neg_lo:[0,0,1] neg_hi:[0,0,1]
	v_pk_fma_f32 v[132:133], v[140:141], v[128:129], v[132:133] op_sel:[0,0,1] op_sel_hi:[1,0,0]
	s_delay_alu instid0(VALU_DEP_1) | instskip(SKIP_1) | instid1(VALU_DEP_1)
	v_mov_b32_e32 v145, v133
	v_pk_mul_f32 v[132:133], v[142:143], v[130:131] op_sel:[0,1]
	v_pk_fma_f32 v[140:141], v[142:143], v[128:129], v[132:133] op_sel:[0,0,1] op_sel_hi:[1,1,0] neg_lo:[0,0,1] neg_hi:[0,0,1]
	v_pk_fma_f32 v[132:133], v[142:143], v[128:129], v[132:133] op_sel:[0,0,1] op_sel_hi:[1,0,0]
	s_delay_alu instid0(VALU_DEP_1) | instskip(SKIP_1) | instid1(VALU_DEP_2)
	v_mov_b32_e32 v141, v133
	v_pk_add_f32 v[76:77], v[76:77], v[144:145] neg_lo:[0,1] neg_hi:[0,1]
	v_pk_add_f32 v[72:73], v[72:73], v[140:141] neg_lo:[0,1] neg_hi:[0,1]
	ds_load_2addr_b64 v[140:143], v135 offset0:26 offset1:27
	s_wait_dscnt 0x0
	v_pk_mul_f32 v[132:133], v[140:141], v[130:131] op_sel:[0,1]
	s_delay_alu instid0(VALU_DEP_1) | instskip(SKIP_1) | instid1(VALU_DEP_1)
	v_pk_fma_f32 v[144:145], v[140:141], v[128:129], v[132:133] op_sel:[0,0,1] op_sel_hi:[1,1,0] neg_lo:[0,0,1] neg_hi:[0,0,1]
	v_pk_fma_f32 v[132:133], v[140:141], v[128:129], v[132:133] op_sel:[0,0,1] op_sel_hi:[1,0,0]
	v_mov_b32_e32 v145, v133
	v_pk_mul_f32 v[132:133], v[142:143], v[130:131] op_sel:[0,1]
	s_delay_alu instid0(VALU_DEP_1) | instskip(SKIP_1) | instid1(VALU_DEP_1)
	v_pk_fma_f32 v[140:141], v[142:143], v[128:129], v[132:133] op_sel:[0,0,1] op_sel_hi:[1,1,0] neg_lo:[0,0,1] neg_hi:[0,0,1]
	v_pk_fma_f32 v[132:133], v[142:143], v[128:129], v[132:133] op_sel:[0,0,1] op_sel_hi:[1,0,0]
	v_mov_b32_e32 v141, v133
	v_pk_add_f32 v[74:75], v[74:75], v[144:145] neg_lo:[0,1] neg_hi:[0,1]
	s_delay_alu instid0(VALU_DEP_2) | instskip(SKIP_3) | instid1(VALU_DEP_1)
	v_pk_add_f32 v[70:71], v[70:71], v[140:141] neg_lo:[0,1] neg_hi:[0,1]
	ds_load_2addr_b64 v[140:143], v135 offset0:28 offset1:29
	s_wait_dscnt 0x0
	v_dual_mul_f32 v132, v141, v131 :: v_dual_mul_f32 v144, v141, v128
	v_pk_fma_f32 v[132:133], v[140:141], v[86:87], v[132:133] op_sel_hi:[1,1,0] neg_lo:[0,0,1] neg_hi:[0,0,1]
	s_delay_alu instid0(VALU_DEP_2) | instskip(NEXT) | instid1(VALU_DEP_1)
	v_pk_fma_f32 v[140:141], v[140:141], v[86:87], v[144:145] op_sel:[1,0,0] op_sel_hi:[0,1,0]
	v_mov_b32_e32 v133, v141
	s_delay_alu instid0(VALU_DEP_1) | instskip(SKIP_1) | instid1(VALU_DEP_1)
	v_pk_add_f32 v[68:69], v[68:69], v[132:133] neg_lo:[0,1] neg_hi:[0,1]
	v_pk_mul_f32 v[132:133], v[142:143], v[130:131] op_sel:[0,1]
	v_pk_fma_f32 v[140:141], v[142:143], v[128:129], v[132:133] op_sel:[0,0,1] op_sel_hi:[1,1,0] neg_lo:[0,0,1] neg_hi:[0,0,1]
	v_pk_fma_f32 v[132:133], v[142:143], v[128:129], v[132:133] op_sel:[0,0,1] op_sel_hi:[1,0,0]
	s_delay_alu instid0(VALU_DEP_1) | instskip(NEXT) | instid1(VALU_DEP_1)
	v_mov_b32_e32 v141, v133
	v_pk_add_f32 v[64:65], v[64:65], v[140:141] neg_lo:[0,1] neg_hi:[0,1]
	ds_load_2addr_b64 v[140:143], v135 offset0:30 offset1:31
	s_wait_dscnt 0x0
	v_pk_mul_f32 v[132:133], v[140:141], v[130:131] op_sel:[0,1]
	s_delay_alu instid0(VALU_DEP_1) | instskip(SKIP_1) | instid1(VALU_DEP_1)
	v_pk_fma_f32 v[144:145], v[140:141], v[128:129], v[132:133] op_sel:[0,0,1] op_sel_hi:[1,1,0] neg_lo:[0,0,1] neg_hi:[0,0,1]
	v_pk_fma_f32 v[132:133], v[140:141], v[128:129], v[132:133] op_sel:[0,0,1] op_sel_hi:[1,0,0]
	v_mov_b32_e32 v145, v133
	v_pk_mul_f32 v[132:133], v[142:143], v[130:131] op_sel:[0,1]
	s_delay_alu instid0(VALU_DEP_2) | instskip(NEXT) | instid1(VALU_DEP_2)
	v_pk_add_f32 v[66:67], v[66:67], v[144:145] neg_lo:[0,1] neg_hi:[0,1]
	v_pk_fma_f32 v[140:141], v[142:143], v[128:129], v[132:133] op_sel:[0,0,1] op_sel_hi:[1,1,0] neg_lo:[0,0,1] neg_hi:[0,0,1]
	v_pk_fma_f32 v[132:133], v[142:143], v[128:129], v[132:133] op_sel:[0,0,1] op_sel_hi:[1,0,0]
	s_delay_alu instid0(VALU_DEP_1) | instskip(NEXT) | instid1(VALU_DEP_1)
	v_mov_b32_e32 v141, v133
	v_pk_add_f32 v[62:63], v[62:63], v[140:141] neg_lo:[0,1] neg_hi:[0,1]
	ds_load_2addr_b64 v[140:143], v135 offset0:32 offset1:33
	s_wait_dscnt 0x0
	v_pk_mul_f32 v[132:133], v[140:141], v[130:131] op_sel:[0,1]
	s_delay_alu instid0(VALU_DEP_1) | instskip(SKIP_2) | instid1(VALU_DEP_2)
	v_pk_fma_f32 v[144:145], v[140:141], v[128:129], v[132:133] op_sel:[0,0,1] op_sel_hi:[1,1,0] neg_lo:[0,0,1] neg_hi:[0,0,1]
	v_pk_fma_f32 v[132:133], v[140:141], v[128:129], v[132:133] op_sel:[0,0,1] op_sel_hi:[1,0,0]
	v_dual_mul_f32 v140, v143, v131 :: v_dual_mov_b32 v132, v143
	v_dual_mov_b32 v145, v133 :: v_dual_mov_b32 v133, v142
	s_delay_alu instid0(VALU_DEP_2) | instskip(SKIP_1) | instid1(VALU_DEP_3)
	v_pk_fma_f32 v[140:141], v[142:143], v[86:87], v[140:141] op_sel_hi:[1,1,0] neg_lo:[0,0,1] neg_hi:[0,0,1]
	v_mul_f32_e32 v142, v143, v128
	v_pk_add_f32 v[60:61], v[60:61], v[144:145] neg_lo:[0,1] neg_hi:[0,1]
	s_delay_alu instid0(VALU_DEP_2) | instskip(NEXT) | instid1(VALU_DEP_1)
	v_pk_fma_f32 v[132:133], v[132:133], v[86:87], v[142:143] op_sel_hi:[1,1,0]
	v_mov_b32_e32 v141, v133
	s_delay_alu instid0(VALU_DEP_1) | instskip(SKIP_3) | instid1(VALU_DEP_1)
	v_pk_add_f32 v[56:57], v[56:57], v[140:141] neg_lo:[0,1] neg_hi:[0,1]
	ds_load_2addr_b64 v[140:143], v135 offset0:34 offset1:35
	s_wait_dscnt 0x0
	v_pk_mul_f32 v[132:133], v[140:141], v[130:131] op_sel:[0,1]
	v_pk_fma_f32 v[144:145], v[140:141], v[128:129], v[132:133] op_sel:[0,0,1] op_sel_hi:[1,1,0] neg_lo:[0,0,1] neg_hi:[0,0,1]
	v_pk_fma_f32 v[132:133], v[140:141], v[128:129], v[132:133] op_sel:[0,0,1] op_sel_hi:[1,0,0]
	s_delay_alu instid0(VALU_DEP_1) | instskip(SKIP_1) | instid1(VALU_DEP_1)
	v_mov_b32_e32 v145, v133
	v_pk_mul_f32 v[132:133], v[142:143], v[130:131] op_sel:[0,1]
	v_pk_fma_f32 v[140:141], v[142:143], v[128:129], v[132:133] op_sel:[0,0,1] op_sel_hi:[1,1,0] neg_lo:[0,0,1] neg_hi:[0,0,1]
	v_pk_fma_f32 v[132:133], v[142:143], v[128:129], v[132:133] op_sel:[0,0,1] op_sel_hi:[1,0,0]
	s_delay_alu instid0(VALU_DEP_1) | instskip(SKIP_1) | instid1(VALU_DEP_2)
	v_mov_b32_e32 v141, v133
	v_pk_add_f32 v[58:59], v[58:59], v[144:145] neg_lo:[0,1] neg_hi:[0,1]
	v_pk_add_f32 v[54:55], v[54:55], v[140:141] neg_lo:[0,1] neg_hi:[0,1]
	ds_load_2addr_b64 v[140:143], v135 offset0:36 offset1:37
	s_wait_dscnt 0x0
	v_pk_mul_f32 v[132:133], v[140:141], v[130:131] op_sel:[0,1]
	s_delay_alu instid0(VALU_DEP_1) | instskip(SKIP_1) | instid1(VALU_DEP_1)
	v_pk_fma_f32 v[144:145], v[140:141], v[128:129], v[132:133] op_sel:[0,0,1] op_sel_hi:[1,1,0] neg_lo:[0,0,1] neg_hi:[0,0,1]
	v_pk_fma_f32 v[132:133], v[140:141], v[128:129], v[132:133] op_sel:[0,0,1] op_sel_hi:[1,0,0]
	v_mov_b32_e32 v145, v133
	v_pk_mul_f32 v[132:133], v[142:143], v[130:131] op_sel:[0,1]
	s_delay_alu instid0(VALU_DEP_1) | instskip(SKIP_1) | instid1(VALU_DEP_1)
	v_pk_fma_f32 v[140:141], v[142:143], v[128:129], v[132:133] op_sel:[0,0,1] op_sel_hi:[1,1,0] neg_lo:[0,0,1] neg_hi:[0,0,1]
	v_pk_fma_f32 v[132:133], v[142:143], v[128:129], v[132:133] op_sel:[0,0,1] op_sel_hi:[1,0,0]
	v_mov_b32_e32 v141, v133
	v_pk_add_f32 v[52:53], v[52:53], v[144:145] neg_lo:[0,1] neg_hi:[0,1]
	s_delay_alu instid0(VALU_DEP_2) | instskip(SKIP_3) | instid1(VALU_DEP_1)
	v_pk_add_f32 v[48:49], v[48:49], v[140:141] neg_lo:[0,1] neg_hi:[0,1]
	ds_load_2addr_b64 v[140:143], v135 offset0:38 offset1:39
	s_wait_dscnt 0x0
	v_dual_mul_f32 v132, v141, v131 :: v_dual_mul_f32 v144, v141, v128
	v_pk_fma_f32 v[132:133], v[140:141], v[86:87], v[132:133] op_sel_hi:[1,1,0] neg_lo:[0,0,1] neg_hi:[0,0,1]
	s_delay_alu instid0(VALU_DEP_2) | instskip(NEXT) | instid1(VALU_DEP_1)
	v_pk_fma_f32 v[140:141], v[140:141], v[86:87], v[144:145] op_sel:[1,0,0] op_sel_hi:[0,1,0]
	v_mov_b32_e32 v133, v141
	s_delay_alu instid0(VALU_DEP_1) | instskip(SKIP_1) | instid1(VALU_DEP_1)
	v_pk_add_f32 v[50:51], v[50:51], v[132:133] neg_lo:[0,1] neg_hi:[0,1]
	v_pk_mul_f32 v[132:133], v[142:143], v[130:131] op_sel:[0,1]
	v_pk_fma_f32 v[140:141], v[142:143], v[128:129], v[132:133] op_sel:[0,0,1] op_sel_hi:[1,1,0] neg_lo:[0,0,1] neg_hi:[0,0,1]
	v_pk_fma_f32 v[132:133], v[142:143], v[128:129], v[132:133] op_sel:[0,0,1] op_sel_hi:[1,0,0]
	s_delay_alu instid0(VALU_DEP_1) | instskip(NEXT) | instid1(VALU_DEP_1)
	v_mov_b32_e32 v141, v133
	v_pk_add_f32 v[46:47], v[46:47], v[140:141] neg_lo:[0,1] neg_hi:[0,1]
	ds_load_2addr_b64 v[140:143], v135 offset0:40 offset1:41
	s_wait_dscnt 0x0
	v_pk_mul_f32 v[132:133], v[140:141], v[130:131] op_sel:[0,1]
	s_delay_alu instid0(VALU_DEP_1) | instskip(SKIP_1) | instid1(VALU_DEP_1)
	v_pk_fma_f32 v[144:145], v[140:141], v[128:129], v[132:133] op_sel:[0,0,1] op_sel_hi:[1,1,0] neg_lo:[0,0,1] neg_hi:[0,0,1]
	v_pk_fma_f32 v[132:133], v[140:141], v[128:129], v[132:133] op_sel:[0,0,1] op_sel_hi:[1,0,0]
	v_mov_b32_e32 v145, v133
	v_pk_mul_f32 v[132:133], v[142:143], v[130:131] op_sel:[0,1]
	s_delay_alu instid0(VALU_DEP_2) | instskip(NEXT) | instid1(VALU_DEP_2)
	v_pk_add_f32 v[42:43], v[42:43], v[144:145] neg_lo:[0,1] neg_hi:[0,1]
	v_pk_fma_f32 v[140:141], v[142:143], v[128:129], v[132:133] op_sel:[0,0,1] op_sel_hi:[1,1,0] neg_lo:[0,0,1] neg_hi:[0,0,1]
	v_pk_fma_f32 v[132:133], v[142:143], v[128:129], v[132:133] op_sel:[0,0,1] op_sel_hi:[1,0,0]
	s_delay_alu instid0(VALU_DEP_1) | instskip(NEXT) | instid1(VALU_DEP_1)
	v_mov_b32_e32 v141, v133
	v_pk_add_f32 v[38:39], v[38:39], v[140:141] neg_lo:[0,1] neg_hi:[0,1]
	ds_load_2addr_b64 v[140:143], v135 offset0:42 offset1:43
	s_wait_dscnt 0x0
	v_pk_mul_f32 v[132:133], v[140:141], v[130:131] op_sel:[0,1]
	s_delay_alu instid0(VALU_DEP_1) | instskip(SKIP_2) | instid1(VALU_DEP_2)
	v_pk_fma_f32 v[144:145], v[140:141], v[128:129], v[132:133] op_sel:[0,0,1] op_sel_hi:[1,1,0] neg_lo:[0,0,1] neg_hi:[0,0,1]
	v_pk_fma_f32 v[132:133], v[140:141], v[128:129], v[132:133] op_sel:[0,0,1] op_sel_hi:[1,0,0]
	v_dual_mul_f32 v140, v143, v131 :: v_dual_mov_b32 v132, v143
	v_dual_mov_b32 v145, v133 :: v_dual_mov_b32 v133, v142
	s_delay_alu instid0(VALU_DEP_2) | instskip(SKIP_1) | instid1(VALU_DEP_3)
	v_pk_fma_f32 v[140:141], v[142:143], v[86:87], v[140:141] op_sel_hi:[1,1,0] neg_lo:[0,0,1] neg_hi:[0,0,1]
	v_mul_f32_e32 v142, v143, v128
	v_pk_add_f32 v[40:41], v[40:41], v[144:145] neg_lo:[0,1] neg_hi:[0,1]
	s_delay_alu instid0(VALU_DEP_2) | instskip(NEXT) | instid1(VALU_DEP_1)
	v_pk_fma_f32 v[132:133], v[132:133], v[86:87], v[142:143] op_sel_hi:[1,1,0]
	v_mov_b32_e32 v141, v133
	s_delay_alu instid0(VALU_DEP_1) | instskip(SKIP_3) | instid1(VALU_DEP_1)
	v_pk_add_f32 v[36:37], v[36:37], v[140:141] neg_lo:[0,1] neg_hi:[0,1]
	ds_load_2addr_b64 v[140:143], v135 offset0:44 offset1:45
	s_wait_dscnt 0x0
	v_pk_mul_f32 v[132:133], v[140:141], v[130:131] op_sel:[0,1]
	v_pk_fma_f32 v[144:145], v[140:141], v[128:129], v[132:133] op_sel:[0,0,1] op_sel_hi:[1,1,0] neg_lo:[0,0,1] neg_hi:[0,0,1]
	v_pk_fma_f32 v[132:133], v[140:141], v[128:129], v[132:133] op_sel:[0,0,1] op_sel_hi:[1,0,0]
	s_delay_alu instid0(VALU_DEP_1) | instskip(SKIP_1) | instid1(VALU_DEP_1)
	v_mov_b32_e32 v145, v133
	v_pk_mul_f32 v[132:133], v[142:143], v[130:131] op_sel:[0,1]
	v_pk_fma_f32 v[140:141], v[142:143], v[128:129], v[132:133] op_sel:[0,0,1] op_sel_hi:[1,1,0] neg_lo:[0,0,1] neg_hi:[0,0,1]
	v_pk_fma_f32 v[132:133], v[142:143], v[128:129], v[132:133] op_sel:[0,0,1] op_sel_hi:[1,0,0]
	s_delay_alu instid0(VALU_DEP_1) | instskip(SKIP_1) | instid1(VALU_DEP_2)
	v_mov_b32_e32 v141, v133
	v_pk_add_f32 v[34:35], v[34:35], v[144:145] neg_lo:[0,1] neg_hi:[0,1]
	v_pk_add_f32 v[30:31], v[30:31], v[140:141] neg_lo:[0,1] neg_hi:[0,1]
	ds_load_2addr_b64 v[140:143], v135 offset0:46 offset1:47
	s_wait_dscnt 0x0
	v_pk_mul_f32 v[132:133], v[140:141], v[130:131] op_sel:[0,1]
	s_delay_alu instid0(VALU_DEP_1) | instskip(SKIP_1) | instid1(VALU_DEP_1)
	v_pk_fma_f32 v[144:145], v[140:141], v[128:129], v[132:133] op_sel:[0,0,1] op_sel_hi:[1,1,0] neg_lo:[0,0,1] neg_hi:[0,0,1]
	v_pk_fma_f32 v[132:133], v[140:141], v[128:129], v[132:133] op_sel:[0,0,1] op_sel_hi:[1,0,0]
	v_mov_b32_e32 v145, v133
	v_pk_mul_f32 v[132:133], v[142:143], v[130:131] op_sel:[0,1]
	s_delay_alu instid0(VALU_DEP_1) | instskip(SKIP_1) | instid1(VALU_DEP_1)
	v_pk_fma_f32 v[140:141], v[142:143], v[128:129], v[132:133] op_sel:[0,0,1] op_sel_hi:[1,1,0] neg_lo:[0,0,1] neg_hi:[0,0,1]
	v_pk_fma_f32 v[132:133], v[142:143], v[128:129], v[132:133] op_sel:[0,0,1] op_sel_hi:[1,0,0]
	v_mov_b32_e32 v141, v133
	v_pk_add_f32 v[32:33], v[32:33], v[144:145] neg_lo:[0,1] neg_hi:[0,1]
	s_delay_alu instid0(VALU_DEP_2) | instskip(SKIP_3) | instid1(VALU_DEP_1)
	v_pk_add_f32 v[28:29], v[28:29], v[140:141] neg_lo:[0,1] neg_hi:[0,1]
	ds_load_2addr_b64 v[140:143], v135 offset0:48 offset1:49
	s_wait_dscnt 0x0
	v_dual_mul_f32 v132, v141, v131 :: v_dual_mul_f32 v144, v141, v128
	v_pk_fma_f32 v[132:133], v[140:141], v[86:87], v[132:133] op_sel_hi:[1,1,0] neg_lo:[0,0,1] neg_hi:[0,0,1]
	s_delay_alu instid0(VALU_DEP_2) | instskip(NEXT) | instid1(VALU_DEP_1)
	v_pk_fma_f32 v[140:141], v[140:141], v[86:87], v[144:145] op_sel:[1,0,0] op_sel_hi:[0,1,0]
	v_mov_b32_e32 v133, v141
	s_delay_alu instid0(VALU_DEP_1) | instskip(SKIP_1) | instid1(VALU_DEP_1)
	v_pk_add_f32 v[26:27], v[26:27], v[132:133] neg_lo:[0,1] neg_hi:[0,1]
	v_pk_mul_f32 v[132:133], v[142:143], v[130:131] op_sel:[0,1]
	v_pk_fma_f32 v[140:141], v[142:143], v[128:129], v[132:133] op_sel:[0,0,1] op_sel_hi:[1,1,0] neg_lo:[0,0,1] neg_hi:[0,0,1]
	v_pk_fma_f32 v[132:133], v[142:143], v[128:129], v[132:133] op_sel:[0,0,1] op_sel_hi:[1,0,0]
	s_delay_alu instid0(VALU_DEP_1) | instskip(NEXT) | instid1(VALU_DEP_1)
	v_mov_b32_e32 v141, v133
	v_pk_add_f32 v[22:23], v[22:23], v[140:141] neg_lo:[0,1] neg_hi:[0,1]
	ds_load_2addr_b64 v[140:143], v135 offset0:50 offset1:51
	s_wait_dscnt 0x0
	v_pk_mul_f32 v[132:133], v[140:141], v[130:131] op_sel:[0,1]
	s_delay_alu instid0(VALU_DEP_1) | instskip(SKIP_1) | instid1(VALU_DEP_1)
	v_pk_fma_f32 v[144:145], v[140:141], v[128:129], v[132:133] op_sel:[0,0,1] op_sel_hi:[1,1,0] neg_lo:[0,0,1] neg_hi:[0,0,1]
	v_pk_fma_f32 v[132:133], v[140:141], v[128:129], v[132:133] op_sel:[0,0,1] op_sel_hi:[1,0,0]
	v_mov_b32_e32 v145, v133
	v_pk_mul_f32 v[132:133], v[142:143], v[130:131] op_sel:[0,1]
	s_delay_alu instid0(VALU_DEP_2) | instskip(NEXT) | instid1(VALU_DEP_2)
	v_pk_add_f32 v[24:25], v[24:25], v[144:145] neg_lo:[0,1] neg_hi:[0,1]
	v_pk_fma_f32 v[140:141], v[142:143], v[128:129], v[132:133] op_sel:[0,0,1] op_sel_hi:[1,1,0] neg_lo:[0,0,1] neg_hi:[0,0,1]
	v_pk_fma_f32 v[132:133], v[142:143], v[128:129], v[132:133] op_sel:[0,0,1] op_sel_hi:[1,0,0]
	s_delay_alu instid0(VALU_DEP_1) | instskip(NEXT) | instid1(VALU_DEP_1)
	v_mov_b32_e32 v141, v133
	v_pk_add_f32 v[44:45], v[44:45], v[140:141] neg_lo:[0,1] neg_hi:[0,1]
	ds_load_2addr_b64 v[140:143], v135 offset0:52 offset1:53
	s_wait_dscnt 0x0
	v_pk_mul_f32 v[132:133], v[140:141], v[130:131] op_sel:[0,1]
	s_delay_alu instid0(VALU_DEP_1) | instskip(SKIP_2) | instid1(VALU_DEP_2)
	v_pk_fma_f32 v[144:145], v[140:141], v[128:129], v[132:133] op_sel:[0,0,1] op_sel_hi:[1,1,0] neg_lo:[0,0,1] neg_hi:[0,0,1]
	v_pk_fma_f32 v[132:133], v[140:141], v[128:129], v[132:133] op_sel:[0,0,1] op_sel_hi:[1,0,0]
	v_dual_mul_f32 v140, v143, v131 :: v_dual_mov_b32 v132, v143
	v_dual_mov_b32 v145, v133 :: v_dual_mov_b32 v133, v142
	s_delay_alu instid0(VALU_DEP_2) | instskip(SKIP_1) | instid1(VALU_DEP_3)
	v_pk_fma_f32 v[140:141], v[142:143], v[86:87], v[140:141] op_sel_hi:[1,1,0] neg_lo:[0,0,1] neg_hi:[0,0,1]
	v_mul_f32_e32 v142, v143, v128
	v_pk_add_f32 v[16:17], v[16:17], v[144:145] neg_lo:[0,1] neg_hi:[0,1]
	s_delay_alu instid0(VALU_DEP_2) | instskip(NEXT) | instid1(VALU_DEP_1)
	v_pk_fma_f32 v[132:133], v[132:133], v[86:87], v[142:143] op_sel_hi:[1,1,0]
	v_mov_b32_e32 v141, v133
	s_delay_alu instid0(VALU_DEP_1) | instskip(SKIP_3) | instid1(VALU_DEP_1)
	v_pk_add_f32 v[12:13], v[12:13], v[140:141] neg_lo:[0,1] neg_hi:[0,1]
	ds_load_2addr_b64 v[140:143], v135 offset0:54 offset1:55
	s_wait_dscnt 0x0
	v_pk_mul_f32 v[132:133], v[140:141], v[130:131] op_sel:[0,1]
	v_pk_fma_f32 v[144:145], v[140:141], v[128:129], v[132:133] op_sel:[0,0,1] op_sel_hi:[1,1,0] neg_lo:[0,0,1] neg_hi:[0,0,1]
	v_pk_fma_f32 v[132:133], v[140:141], v[128:129], v[132:133] op_sel:[0,0,1] op_sel_hi:[1,0,0]
	s_delay_alu instid0(VALU_DEP_1) | instskip(SKIP_1) | instid1(VALU_DEP_1)
	v_mov_b32_e32 v145, v133
	v_pk_mul_f32 v[132:133], v[142:143], v[130:131] op_sel:[0,1]
	v_pk_fma_f32 v[140:141], v[142:143], v[128:129], v[132:133] op_sel:[0,0,1] op_sel_hi:[1,1,0] neg_lo:[0,0,1] neg_hi:[0,0,1]
	v_pk_fma_f32 v[132:133], v[142:143], v[128:129], v[132:133] op_sel:[0,0,1] op_sel_hi:[1,0,0]
	s_delay_alu instid0(VALU_DEP_1) | instskip(SKIP_1) | instid1(VALU_DEP_2)
	v_mov_b32_e32 v141, v133
	v_pk_add_f32 v[14:15], v[14:15], v[144:145] neg_lo:[0,1] neg_hi:[0,1]
	v_pk_add_f32 v[10:11], v[10:11], v[140:141] neg_lo:[0,1] neg_hi:[0,1]
	ds_load_2addr_b64 v[140:143], v135 offset0:56 offset1:57
	s_wait_dscnt 0x0
	v_pk_mul_f32 v[132:133], v[140:141], v[130:131] op_sel:[0,1]
	s_delay_alu instid0(VALU_DEP_1) | instskip(SKIP_1) | instid1(VALU_DEP_1)
	v_pk_fma_f32 v[144:145], v[140:141], v[128:129], v[132:133] op_sel:[0,0,1] op_sel_hi:[1,1,0] neg_lo:[0,0,1] neg_hi:[0,0,1]
	v_pk_fma_f32 v[132:133], v[140:141], v[128:129], v[132:133] op_sel:[0,0,1] op_sel_hi:[1,0,0]
	v_mov_b32_e32 v145, v133
	v_pk_mul_f32 v[132:133], v[142:143], v[130:131] op_sel:[0,1]
	s_delay_alu instid0(VALU_DEP_1) | instskip(SKIP_1) | instid1(VALU_DEP_1)
	v_pk_fma_f32 v[140:141], v[142:143], v[128:129], v[132:133] op_sel:[0,0,1] op_sel_hi:[1,1,0] neg_lo:[0,0,1] neg_hi:[0,0,1]
	v_pk_fma_f32 v[132:133], v[142:143], v[128:129], v[132:133] op_sel:[0,0,1] op_sel_hi:[1,0,0]
	v_mov_b32_e32 v141, v133
	v_pk_add_f32 v[6:7], v[6:7], v[144:145] neg_lo:[0,1] neg_hi:[0,1]
	s_delay_alu instid0(VALU_DEP_2) | instskip(SKIP_3) | instid1(VALU_DEP_1)
	v_pk_add_f32 v[20:21], v[20:21], v[140:141] neg_lo:[0,1] neg_hi:[0,1]
	ds_load_2addr_b64 v[140:143], v135 offset0:58 offset1:59
	s_wait_dscnt 0x0
	v_dual_mul_f32 v132, v141, v131 :: v_dual_mul_f32 v144, v141, v128
	v_pk_fma_f32 v[132:133], v[140:141], v[86:87], v[132:133] op_sel_hi:[1,1,0] neg_lo:[0,0,1] neg_hi:[0,0,1]
	s_delay_alu instid0(VALU_DEP_2) | instskip(NEXT) | instid1(VALU_DEP_1)
	v_pk_fma_f32 v[140:141], v[140:141], v[86:87], v[144:145] op_sel:[1,0,0] op_sel_hi:[0,1,0]
	v_mov_b32_e32 v133, v141
	s_delay_alu instid0(VALU_DEP_1) | instskip(SKIP_1) | instid1(VALU_DEP_1)
	v_pk_add_f32 v[18:19], v[18:19], v[132:133] neg_lo:[0,1] neg_hi:[0,1]
	v_pk_mul_f32 v[132:133], v[142:143], v[130:131] op_sel:[0,1]
	v_pk_fma_f32 v[140:141], v[142:143], v[128:129], v[132:133] op_sel:[0,0,1] op_sel_hi:[1,1,0] neg_lo:[0,0,1] neg_hi:[0,0,1]
	v_pk_fma_f32 v[132:133], v[142:143], v[128:129], v[132:133] op_sel:[0,0,1] op_sel_hi:[1,0,0]
	s_delay_alu instid0(VALU_DEP_1) | instskip(SKIP_4) | instid1(VALU_DEP_1)
	v_mov_b32_e32 v141, v133
	ds_load_b64 v[132:133], v135 offset:480
	v_pk_add_f32 v[8:9], v[8:9], v[140:141] neg_lo:[0,1] neg_hi:[0,1]
	s_wait_dscnt 0x0
	v_pk_mul_f32 v[130:131], v[132:133], v[130:131] op_sel:[0,1]
	v_pk_fma_f32 v[140:141], v[132:133], v[128:129], v[130:131] op_sel:[0,0,1] op_sel_hi:[1,1,0] neg_lo:[0,0,1] neg_hi:[0,0,1]
	v_pk_fma_f32 v[128:129], v[132:133], v[128:129], v[130:131] op_sel:[0,0,1] op_sel_hi:[1,0,0]
	s_delay_alu instid0(VALU_DEP_1) | instskip(NEXT) | instid1(VALU_DEP_1)
	v_mov_b32_e32 v141, v129
	v_pk_add_f32 v[126:127], v[126:127], v[140:141] neg_lo:[0,1] neg_hi:[0,1]
.LBB120_419:
	s_or_b32 exec_lo, exec_lo, s0
	v_lshl_add_u32 v128, v138, 3, v135
	s_barrier_signal -1
	s_barrier_wait -1
	ds_store_b64 v128, v[84:85]
	s_wait_dscnt 0x0
	s_barrier_signal -1
	s_barrier_wait -1
	ds_load_b64 v[130:131], v135 offset:160
	v_mov_b32_e32 v128, 20
	s_cmp_lt_i32 s18, 22
	s_cbranch_scc1 .LBB120_422
; %bb.420:
	v_add3_u32 v129, v136, 0, 0xa8
	v_mov_b32_e32 v128, 20
	s_mov_b32 s0, 21
.LBB120_421:                            ; =>This Inner Loop Header: Depth=1
	ds_load_b64 v[132:133], v129
	s_wait_dscnt 0x1
	v_cmp_gt_f32_e32 vcc_lo, 0, v130
	v_cndmask_b32_e64 v140, v130, -v130, vcc_lo
	v_cmp_gt_f32_e32 vcc_lo, 0, v131
	v_cndmask_b32_e64 v142, v131, -v131, vcc_lo
	s_wait_dscnt 0x0
	v_cmp_gt_f32_e32 vcc_lo, 0, v132
	v_cndmask_b32_e64 v141, v132, -v132, vcc_lo
	v_cmp_gt_f32_e32 vcc_lo, 0, v133
	v_cndmask_b32_e64 v143, v133, -v133, vcc_lo
	s_delay_alu instid0(VALU_DEP_1) | instskip(NEXT) | instid1(VALU_DEP_1)
	v_pk_add_f32 v[140:141], v[140:141], v[142:143]
	v_cmp_lt_f32_e32 vcc_lo, v140, v141
	v_dual_cndmask_b32 v130, v130, v132 :: v_dual_add_nc_u32 v129, 8, v129
	v_cndmask_b32_e32 v131, v131, v133, vcc_lo
	v_cndmask_b32_e64 v128, v128, s0, vcc_lo
	s_add_co_i32 s0, s0, 1
	s_delay_alu instid0(SALU_CYCLE_1)
	s_cmp_lg_u32 s18, s0
	s_cbranch_scc1 .LBB120_421
.LBB120_422:
	s_wait_dscnt 0x0
	v_cmp_eq_f32_e32 vcc_lo, 0, v130
	v_cmp_eq_f32_e64 s0, 0, v131
	s_and_b32 s0, vcc_lo, s0
	s_delay_alu instid0(SALU_CYCLE_1) | instskip(NEXT) | instid1(SALU_CYCLE_1)
	s_and_saveexec_b32 s1, s0
	s_xor_b32 s0, exec_lo, s1
; %bb.423:
	v_cmp_ne_u32_e32 vcc_lo, 0, v134
	v_cndmask_b32_e32 v134, 21, v134, vcc_lo
; %bb.424:
	s_and_not1_saveexec_b32 s0, s0
	s_cbranch_execz .LBB120_430
; %bb.425:
	v_cmp_ngt_f32_e64 s1, |v130|, |v131|
	s_and_saveexec_b32 s12, s1
	s_delay_alu instid0(SALU_CYCLE_1)
	s_xor_b32 s1, exec_lo, s12
	s_cbranch_execz .LBB120_427
; %bb.426:
	v_div_scale_f32 v129, null, v131, v131, v130
	v_div_scale_f32 v139, vcc_lo, v130, v131, v130
	s_delay_alu instid0(VALU_DEP_2) | instskip(SKIP_1) | instid1(TRANS32_DEP_1)
	v_rcp_f32_e32 v132, v129
	v_nop
	v_fma_f32 v133, -v129, v132, 1.0
	s_delay_alu instid0(VALU_DEP_1) | instskip(NEXT) | instid1(VALU_DEP_1)
	v_fmac_f32_e32 v132, v133, v132
	v_mul_f32_e32 v133, v139, v132
	s_delay_alu instid0(VALU_DEP_1) | instskip(NEXT) | instid1(VALU_DEP_1)
	v_fma_f32 v140, -v129, v133, v139
	v_fmac_f32_e32 v133, v140, v132
	s_delay_alu instid0(VALU_DEP_1) | instskip(NEXT) | instid1(VALU_DEP_1)
	v_fma_f32 v129, -v129, v133, v139
	v_div_fmas_f32 v129, v129, v132, v133
	s_delay_alu instid0(VALU_DEP_1) | instskip(NEXT) | instid1(VALU_DEP_1)
	v_div_fixup_f32 v129, v129, v131, v130
	v_fmac_f32_e32 v131, v130, v129
	s_delay_alu instid0(VALU_DEP_1) | instskip(SKIP_1) | instid1(VALU_DEP_2)
	v_div_scale_f32 v130, null, v131, v131, 1.0
	v_div_scale_f32 v139, vcc_lo, 1.0, v131, 1.0
	v_rcp_f32_e32 v132, v130
	v_nop
	s_delay_alu instid0(TRANS32_DEP_1) | instskip(NEXT) | instid1(VALU_DEP_1)
	v_fma_f32 v133, -v130, v132, 1.0
	v_fmac_f32_e32 v132, v133, v132
	s_delay_alu instid0(VALU_DEP_1) | instskip(NEXT) | instid1(VALU_DEP_1)
	v_mul_f32_e32 v133, v139, v132
	v_fma_f32 v140, -v130, v133, v139
	s_delay_alu instid0(VALU_DEP_1) | instskip(NEXT) | instid1(VALU_DEP_1)
	v_fmac_f32_e32 v133, v140, v132
	v_fma_f32 v130, -v130, v133, v139
	s_delay_alu instid0(VALU_DEP_1) | instskip(NEXT) | instid1(VALU_DEP_1)
	v_div_fmas_f32 v130, v130, v132, v133
	v_div_fixup_f32 v131, v130, v131, 1.0
	s_delay_alu instid0(VALU_DEP_1)
	v_mul_f32_e32 v130, v129, v131
	v_xor_b32_e32 v131, 0x80000000, v131
.LBB120_427:
	s_and_not1_saveexec_b32 s1, s1
	s_cbranch_execz .LBB120_429
; %bb.428:
	s_delay_alu instid0(VALU_DEP_1) | instskip(SKIP_1) | instid1(VALU_DEP_2)
	v_div_scale_f32 v129, null, v130, v130, v131
	v_div_scale_f32 v139, vcc_lo, v131, v130, v131
	v_rcp_f32_e32 v132, v129
	v_nop
	s_delay_alu instid0(TRANS32_DEP_1) | instskip(NEXT) | instid1(VALU_DEP_1)
	v_fma_f32 v133, -v129, v132, 1.0
	v_fmac_f32_e32 v132, v133, v132
	s_delay_alu instid0(VALU_DEP_1) | instskip(NEXT) | instid1(VALU_DEP_1)
	v_mul_f32_e32 v133, v139, v132
	v_fma_f32 v140, -v129, v133, v139
	s_delay_alu instid0(VALU_DEP_1) | instskip(NEXT) | instid1(VALU_DEP_1)
	v_fmac_f32_e32 v133, v140, v132
	v_fma_f32 v129, -v129, v133, v139
	s_delay_alu instid0(VALU_DEP_1) | instskip(NEXT) | instid1(VALU_DEP_1)
	v_div_fmas_f32 v129, v129, v132, v133
	v_div_fixup_f32 v129, v129, v130, v131
	s_delay_alu instid0(VALU_DEP_1) | instskip(NEXT) | instid1(VALU_DEP_1)
	v_fmac_f32_e32 v130, v131, v129
	v_div_scale_f32 v131, null, v130, v130, 1.0
	s_delay_alu instid0(VALU_DEP_1) | instskip(SKIP_1) | instid1(TRANS32_DEP_1)
	v_rcp_f32_e32 v132, v131
	v_nop
	v_fma_f32 v133, -v131, v132, 1.0
	s_delay_alu instid0(VALU_DEP_1) | instskip(SKIP_1) | instid1(VALU_DEP_1)
	v_fmac_f32_e32 v132, v133, v132
	v_div_scale_f32 v133, vcc_lo, 1.0, v130, 1.0
	v_mul_f32_e32 v139, v133, v132
	s_delay_alu instid0(VALU_DEP_1) | instskip(NEXT) | instid1(VALU_DEP_1)
	v_fma_f32 v140, -v131, v139, v133
	v_fmac_f32_e32 v139, v140, v132
	s_delay_alu instid0(VALU_DEP_1) | instskip(NEXT) | instid1(VALU_DEP_1)
	v_fma_f32 v131, -v131, v139, v133
	v_div_fmas_f32 v131, v131, v132, v139
	s_delay_alu instid0(VALU_DEP_1) | instskip(NEXT) | instid1(VALU_DEP_1)
	v_div_fixup_f32 v130, v131, v130, 1.0
	v_mul_f32_e64 v131, v129, -v130
.LBB120_429:
	s_or_b32 exec_lo, exec_lo, s1
.LBB120_430:
	s_delay_alu instid0(SALU_CYCLE_1) | instskip(NEXT) | instid1(SALU_CYCLE_1)
	s_or_b32 exec_lo, exec_lo, s0
	s_mov_b32 s0, exec_lo
	v_cmpx_ne_u32_e64 v138, v128
	s_xor_b32 s0, exec_lo, s0
	s_cbranch_execz .LBB120_436
; %bb.431:
	s_mov_b32 s1, exec_lo
	v_cmpx_eq_u32_e32 20, v138
	s_cbranch_execz .LBB120_435
; %bb.432:
	v_cmp_ne_u32_e32 vcc_lo, 20, v128
	s_xor_b32 s12, s16, -1
	s_delay_alu instid0(SALU_CYCLE_1) | instskip(NEXT) | instid1(SALU_CYCLE_1)
	s_and_b32 s13, s12, vcc_lo
	s_and_saveexec_b32 s12, s13
	s_cbranch_execz .LBB120_434
; %bb.433:
	v_ashrrev_i32_e32 v129, 31, v128
	s_delay_alu instid0(VALU_DEP_1)
	v_lshl_add_u64 v[132:133], v[128:129], 2, v[4:5]
	s_clause 0x1
	global_load_b32 v129, v[132:133], off
	global_load_b32 v137, v[4:5], off offset:80
	s_wait_loadcnt 0x1
	global_store_b32 v[4:5], v129, off offset:80
	s_wait_loadcnt 0x0
	global_store_b32 v[132:133], v137, off
.LBB120_434:
	s_wait_xcnt 0x0
	s_or_b32 exec_lo, exec_lo, s12
	v_dual_mov_b32 v138, v128 :: v_dual_mov_b32 v137, v128
.LBB120_435:
	s_or_b32 exec_lo, exec_lo, s1
.LBB120_436:
	s_and_not1_saveexec_b32 s0, s0
	s_cbranch_execz .LBB120_438
; %bb.437:
	v_mov_b32_e32 v138, 20
	ds_store_2addr_b64 v135, v[80:81], v[82:83] offset0:21 offset1:22
	ds_store_2addr_b64 v135, v[78:79], v[76:77] offset0:23 offset1:24
	;; [unrolled: 1-line block ×20, first 2 shown]
.LBB120_438:
	s_or_b32 exec_lo, exec_lo, s0
	s_delay_alu instid0(SALU_CYCLE_1)
	s_mov_b32 s0, exec_lo
	s_wait_storecnt_dscnt 0x0
	s_barrier_signal -1
	s_barrier_wait -1
	v_cmpx_lt_i32_e32 20, v138
	s_cbranch_execz .LBB120_440
; %bb.439:
	ds_load_2addr_b64 v[140:143], v135 offset0:21 offset1:22
	v_pk_mul_f32 v[132:133], v[130:131], v[84:85] op_sel:[1,1] op_sel_hi:[0,1]
	s_delay_alu instid0(VALU_DEP_1) | instskip(SKIP_1) | instid1(VALU_DEP_1)
	v_pk_fma_f32 v[128:129], v[130:131], v[84:85], v[132:133] op_sel_hi:[1,0,1] neg_lo:[0,0,1] neg_hi:[0,0,1]
	v_pk_fma_f32 v[130:131], v[130:131], v[84:85], v[132:133] op_sel_hi:[1,0,1]
	v_dual_mov_b32 v84, v128 :: v_dual_mov_b32 v85, v131
	s_wait_dscnt 0x0
	s_delay_alu instid0(VALU_DEP_2) | instskip(NEXT) | instid1(VALU_DEP_1)
	v_pk_mul_f32 v[132:133], v[140:141], v[130:131] op_sel:[0,1]
	v_pk_fma_f32 v[144:145], v[140:141], v[128:129], v[132:133] op_sel:[0,0,1] op_sel_hi:[1,1,0] neg_lo:[0,0,1] neg_hi:[0,0,1]
	v_pk_fma_f32 v[132:133], v[140:141], v[128:129], v[132:133] op_sel:[0,0,1] op_sel_hi:[1,0,0]
	s_delay_alu instid0(VALU_DEP_1) | instskip(SKIP_1) | instid1(VALU_DEP_1)
	v_mov_b32_e32 v145, v133
	v_pk_mul_f32 v[132:133], v[142:143], v[130:131] op_sel:[0,1]
	v_pk_fma_f32 v[140:141], v[142:143], v[128:129], v[132:133] op_sel:[0,0,1] op_sel_hi:[1,1,0] neg_lo:[0,0,1] neg_hi:[0,0,1]
	v_pk_fma_f32 v[132:133], v[142:143], v[128:129], v[132:133] op_sel:[0,0,1] op_sel_hi:[1,0,0]
	s_delay_alu instid0(VALU_DEP_1) | instskip(SKIP_1) | instid1(VALU_DEP_2)
	v_mov_b32_e32 v141, v133
	v_pk_add_f32 v[80:81], v[80:81], v[144:145] neg_lo:[0,1] neg_hi:[0,1]
	v_pk_add_f32 v[82:83], v[82:83], v[140:141] neg_lo:[0,1] neg_hi:[0,1]
	ds_load_2addr_b64 v[140:143], v135 offset0:23 offset1:24
	s_wait_dscnt 0x0
	v_pk_mul_f32 v[132:133], v[140:141], v[130:131] op_sel:[0,1]
	s_delay_alu instid0(VALU_DEP_1) | instskip(SKIP_2) | instid1(VALU_DEP_2)
	v_pk_fma_f32 v[144:145], v[140:141], v[128:129], v[132:133] op_sel:[0,0,1] op_sel_hi:[1,1,0] neg_lo:[0,0,1] neg_hi:[0,0,1]
	v_pk_fma_f32 v[132:133], v[140:141], v[128:129], v[132:133] op_sel:[0,0,1] op_sel_hi:[1,0,0]
	v_dual_mul_f32 v140, v143, v131 :: v_dual_mov_b32 v132, v143
	v_dual_mov_b32 v145, v133 :: v_dual_mov_b32 v133, v142
	s_delay_alu instid0(VALU_DEP_2) | instskip(SKIP_1) | instid1(VALU_DEP_3)
	v_pk_fma_f32 v[140:141], v[142:143], v[84:85], v[140:141] op_sel_hi:[1,1,0] neg_lo:[0,0,1] neg_hi:[0,0,1]
	v_mul_f32_e32 v142, v143, v128
	v_pk_add_f32 v[78:79], v[78:79], v[144:145] neg_lo:[0,1] neg_hi:[0,1]
	s_delay_alu instid0(VALU_DEP_2) | instskip(NEXT) | instid1(VALU_DEP_1)
	v_pk_fma_f32 v[132:133], v[132:133], v[84:85], v[142:143] op_sel_hi:[1,1,0]
	v_mov_b32_e32 v141, v133
	s_delay_alu instid0(VALU_DEP_1) | instskip(SKIP_3) | instid1(VALU_DEP_1)
	v_pk_add_f32 v[76:77], v[76:77], v[140:141] neg_lo:[0,1] neg_hi:[0,1]
	ds_load_2addr_b64 v[140:143], v135 offset0:25 offset1:26
	s_wait_dscnt 0x0
	v_pk_mul_f32 v[132:133], v[140:141], v[130:131] op_sel:[0,1]
	v_pk_fma_f32 v[144:145], v[140:141], v[128:129], v[132:133] op_sel:[0,0,1] op_sel_hi:[1,1,0] neg_lo:[0,0,1] neg_hi:[0,0,1]
	v_pk_fma_f32 v[132:133], v[140:141], v[128:129], v[132:133] op_sel:[0,0,1] op_sel_hi:[1,0,0]
	s_delay_alu instid0(VALU_DEP_1) | instskip(SKIP_1) | instid1(VALU_DEP_1)
	v_mov_b32_e32 v145, v133
	v_pk_mul_f32 v[132:133], v[142:143], v[130:131] op_sel:[0,1]
	v_pk_fma_f32 v[140:141], v[142:143], v[128:129], v[132:133] op_sel:[0,0,1] op_sel_hi:[1,1,0] neg_lo:[0,0,1] neg_hi:[0,0,1]
	v_pk_fma_f32 v[132:133], v[142:143], v[128:129], v[132:133] op_sel:[0,0,1] op_sel_hi:[1,0,0]
	s_delay_alu instid0(VALU_DEP_1) | instskip(SKIP_1) | instid1(VALU_DEP_2)
	v_mov_b32_e32 v141, v133
	v_pk_add_f32 v[72:73], v[72:73], v[144:145] neg_lo:[0,1] neg_hi:[0,1]
	v_pk_add_f32 v[74:75], v[74:75], v[140:141] neg_lo:[0,1] neg_hi:[0,1]
	ds_load_2addr_b64 v[140:143], v135 offset0:27 offset1:28
	s_wait_dscnt 0x0
	v_pk_mul_f32 v[132:133], v[140:141], v[130:131] op_sel:[0,1]
	s_delay_alu instid0(VALU_DEP_1) | instskip(SKIP_1) | instid1(VALU_DEP_1)
	v_pk_fma_f32 v[144:145], v[140:141], v[128:129], v[132:133] op_sel:[0,0,1] op_sel_hi:[1,1,0] neg_lo:[0,0,1] neg_hi:[0,0,1]
	v_pk_fma_f32 v[132:133], v[140:141], v[128:129], v[132:133] op_sel:[0,0,1] op_sel_hi:[1,0,0]
	v_mov_b32_e32 v145, v133
	v_pk_mul_f32 v[132:133], v[142:143], v[130:131] op_sel:[0,1]
	s_delay_alu instid0(VALU_DEP_1) | instskip(SKIP_1) | instid1(VALU_DEP_1)
	v_pk_fma_f32 v[140:141], v[142:143], v[128:129], v[132:133] op_sel:[0,0,1] op_sel_hi:[1,1,0] neg_lo:[0,0,1] neg_hi:[0,0,1]
	v_pk_fma_f32 v[132:133], v[142:143], v[128:129], v[132:133] op_sel:[0,0,1] op_sel_hi:[1,0,0]
	v_mov_b32_e32 v141, v133
	v_pk_add_f32 v[70:71], v[70:71], v[144:145] neg_lo:[0,1] neg_hi:[0,1]
	s_delay_alu instid0(VALU_DEP_2) | instskip(SKIP_3) | instid1(VALU_DEP_1)
	v_pk_add_f32 v[68:69], v[68:69], v[140:141] neg_lo:[0,1] neg_hi:[0,1]
	ds_load_2addr_b64 v[140:143], v135 offset0:29 offset1:30
	s_wait_dscnt 0x0
	v_dual_mul_f32 v132, v141, v131 :: v_dual_mul_f32 v144, v141, v128
	v_pk_fma_f32 v[132:133], v[140:141], v[84:85], v[132:133] op_sel_hi:[1,1,0] neg_lo:[0,0,1] neg_hi:[0,0,1]
	s_delay_alu instid0(VALU_DEP_2) | instskip(NEXT) | instid1(VALU_DEP_1)
	v_pk_fma_f32 v[140:141], v[140:141], v[84:85], v[144:145] op_sel:[1,0,0] op_sel_hi:[0,1,0]
	v_mov_b32_e32 v133, v141
	s_delay_alu instid0(VALU_DEP_1) | instskip(SKIP_1) | instid1(VALU_DEP_1)
	v_pk_add_f32 v[64:65], v[64:65], v[132:133] neg_lo:[0,1] neg_hi:[0,1]
	v_pk_mul_f32 v[132:133], v[142:143], v[130:131] op_sel:[0,1]
	v_pk_fma_f32 v[140:141], v[142:143], v[128:129], v[132:133] op_sel:[0,0,1] op_sel_hi:[1,1,0] neg_lo:[0,0,1] neg_hi:[0,0,1]
	v_pk_fma_f32 v[132:133], v[142:143], v[128:129], v[132:133] op_sel:[0,0,1] op_sel_hi:[1,0,0]
	s_delay_alu instid0(VALU_DEP_1) | instskip(NEXT) | instid1(VALU_DEP_1)
	v_mov_b32_e32 v141, v133
	v_pk_add_f32 v[66:67], v[66:67], v[140:141] neg_lo:[0,1] neg_hi:[0,1]
	ds_load_2addr_b64 v[140:143], v135 offset0:31 offset1:32
	s_wait_dscnt 0x0
	v_pk_mul_f32 v[132:133], v[140:141], v[130:131] op_sel:[0,1]
	s_delay_alu instid0(VALU_DEP_1) | instskip(SKIP_1) | instid1(VALU_DEP_1)
	v_pk_fma_f32 v[144:145], v[140:141], v[128:129], v[132:133] op_sel:[0,0,1] op_sel_hi:[1,1,0] neg_lo:[0,0,1] neg_hi:[0,0,1]
	v_pk_fma_f32 v[132:133], v[140:141], v[128:129], v[132:133] op_sel:[0,0,1] op_sel_hi:[1,0,0]
	v_mov_b32_e32 v145, v133
	v_pk_mul_f32 v[132:133], v[142:143], v[130:131] op_sel:[0,1]
	s_delay_alu instid0(VALU_DEP_2) | instskip(NEXT) | instid1(VALU_DEP_2)
	v_pk_add_f32 v[62:63], v[62:63], v[144:145] neg_lo:[0,1] neg_hi:[0,1]
	v_pk_fma_f32 v[140:141], v[142:143], v[128:129], v[132:133] op_sel:[0,0,1] op_sel_hi:[1,1,0] neg_lo:[0,0,1] neg_hi:[0,0,1]
	v_pk_fma_f32 v[132:133], v[142:143], v[128:129], v[132:133] op_sel:[0,0,1] op_sel_hi:[1,0,0]
	s_delay_alu instid0(VALU_DEP_1) | instskip(NEXT) | instid1(VALU_DEP_1)
	v_mov_b32_e32 v141, v133
	v_pk_add_f32 v[60:61], v[60:61], v[140:141] neg_lo:[0,1] neg_hi:[0,1]
	ds_load_2addr_b64 v[140:143], v135 offset0:33 offset1:34
	s_wait_dscnt 0x0
	v_pk_mul_f32 v[132:133], v[140:141], v[130:131] op_sel:[0,1]
	s_delay_alu instid0(VALU_DEP_1) | instskip(SKIP_2) | instid1(VALU_DEP_2)
	v_pk_fma_f32 v[144:145], v[140:141], v[128:129], v[132:133] op_sel:[0,0,1] op_sel_hi:[1,1,0] neg_lo:[0,0,1] neg_hi:[0,0,1]
	v_pk_fma_f32 v[132:133], v[140:141], v[128:129], v[132:133] op_sel:[0,0,1] op_sel_hi:[1,0,0]
	v_dual_mul_f32 v140, v143, v131 :: v_dual_mov_b32 v132, v143
	v_dual_mov_b32 v145, v133 :: v_dual_mov_b32 v133, v142
	s_delay_alu instid0(VALU_DEP_2) | instskip(SKIP_1) | instid1(VALU_DEP_3)
	v_pk_fma_f32 v[140:141], v[142:143], v[84:85], v[140:141] op_sel_hi:[1,1,0] neg_lo:[0,0,1] neg_hi:[0,0,1]
	v_mul_f32_e32 v142, v143, v128
	v_pk_add_f32 v[56:57], v[56:57], v[144:145] neg_lo:[0,1] neg_hi:[0,1]
	s_delay_alu instid0(VALU_DEP_2) | instskip(NEXT) | instid1(VALU_DEP_1)
	v_pk_fma_f32 v[132:133], v[132:133], v[84:85], v[142:143] op_sel_hi:[1,1,0]
	v_mov_b32_e32 v141, v133
	s_delay_alu instid0(VALU_DEP_1) | instskip(SKIP_3) | instid1(VALU_DEP_1)
	v_pk_add_f32 v[58:59], v[58:59], v[140:141] neg_lo:[0,1] neg_hi:[0,1]
	ds_load_2addr_b64 v[140:143], v135 offset0:35 offset1:36
	s_wait_dscnt 0x0
	v_pk_mul_f32 v[132:133], v[140:141], v[130:131] op_sel:[0,1]
	v_pk_fma_f32 v[144:145], v[140:141], v[128:129], v[132:133] op_sel:[0,0,1] op_sel_hi:[1,1,0] neg_lo:[0,0,1] neg_hi:[0,0,1]
	v_pk_fma_f32 v[132:133], v[140:141], v[128:129], v[132:133] op_sel:[0,0,1] op_sel_hi:[1,0,0]
	s_delay_alu instid0(VALU_DEP_1) | instskip(SKIP_1) | instid1(VALU_DEP_1)
	v_mov_b32_e32 v145, v133
	v_pk_mul_f32 v[132:133], v[142:143], v[130:131] op_sel:[0,1]
	v_pk_fma_f32 v[140:141], v[142:143], v[128:129], v[132:133] op_sel:[0,0,1] op_sel_hi:[1,1,0] neg_lo:[0,0,1] neg_hi:[0,0,1]
	v_pk_fma_f32 v[132:133], v[142:143], v[128:129], v[132:133] op_sel:[0,0,1] op_sel_hi:[1,0,0]
	s_delay_alu instid0(VALU_DEP_1) | instskip(SKIP_1) | instid1(VALU_DEP_2)
	v_mov_b32_e32 v141, v133
	v_pk_add_f32 v[54:55], v[54:55], v[144:145] neg_lo:[0,1] neg_hi:[0,1]
	v_pk_add_f32 v[52:53], v[52:53], v[140:141] neg_lo:[0,1] neg_hi:[0,1]
	ds_load_2addr_b64 v[140:143], v135 offset0:37 offset1:38
	s_wait_dscnt 0x0
	v_pk_mul_f32 v[132:133], v[140:141], v[130:131] op_sel:[0,1]
	s_delay_alu instid0(VALU_DEP_1) | instskip(SKIP_1) | instid1(VALU_DEP_1)
	v_pk_fma_f32 v[144:145], v[140:141], v[128:129], v[132:133] op_sel:[0,0,1] op_sel_hi:[1,1,0] neg_lo:[0,0,1] neg_hi:[0,0,1]
	v_pk_fma_f32 v[132:133], v[140:141], v[128:129], v[132:133] op_sel:[0,0,1] op_sel_hi:[1,0,0]
	v_mov_b32_e32 v145, v133
	v_pk_mul_f32 v[132:133], v[142:143], v[130:131] op_sel:[0,1]
	s_delay_alu instid0(VALU_DEP_1) | instskip(SKIP_1) | instid1(VALU_DEP_1)
	v_pk_fma_f32 v[140:141], v[142:143], v[128:129], v[132:133] op_sel:[0,0,1] op_sel_hi:[1,1,0] neg_lo:[0,0,1] neg_hi:[0,0,1]
	v_pk_fma_f32 v[132:133], v[142:143], v[128:129], v[132:133] op_sel:[0,0,1] op_sel_hi:[1,0,0]
	v_mov_b32_e32 v141, v133
	v_pk_add_f32 v[48:49], v[48:49], v[144:145] neg_lo:[0,1] neg_hi:[0,1]
	s_delay_alu instid0(VALU_DEP_2) | instskip(SKIP_3) | instid1(VALU_DEP_1)
	v_pk_add_f32 v[50:51], v[50:51], v[140:141] neg_lo:[0,1] neg_hi:[0,1]
	ds_load_2addr_b64 v[140:143], v135 offset0:39 offset1:40
	s_wait_dscnt 0x0
	v_dual_mul_f32 v132, v141, v131 :: v_dual_mul_f32 v144, v141, v128
	v_pk_fma_f32 v[132:133], v[140:141], v[84:85], v[132:133] op_sel_hi:[1,1,0] neg_lo:[0,0,1] neg_hi:[0,0,1]
	s_delay_alu instid0(VALU_DEP_2) | instskip(NEXT) | instid1(VALU_DEP_1)
	v_pk_fma_f32 v[140:141], v[140:141], v[84:85], v[144:145] op_sel:[1,0,0] op_sel_hi:[0,1,0]
	v_mov_b32_e32 v133, v141
	s_delay_alu instid0(VALU_DEP_1) | instskip(SKIP_1) | instid1(VALU_DEP_1)
	v_pk_add_f32 v[46:47], v[46:47], v[132:133] neg_lo:[0,1] neg_hi:[0,1]
	v_pk_mul_f32 v[132:133], v[142:143], v[130:131] op_sel:[0,1]
	v_pk_fma_f32 v[140:141], v[142:143], v[128:129], v[132:133] op_sel:[0,0,1] op_sel_hi:[1,1,0] neg_lo:[0,0,1] neg_hi:[0,0,1]
	v_pk_fma_f32 v[132:133], v[142:143], v[128:129], v[132:133] op_sel:[0,0,1] op_sel_hi:[1,0,0]
	s_delay_alu instid0(VALU_DEP_1) | instskip(NEXT) | instid1(VALU_DEP_1)
	v_mov_b32_e32 v141, v133
	v_pk_add_f32 v[42:43], v[42:43], v[140:141] neg_lo:[0,1] neg_hi:[0,1]
	ds_load_2addr_b64 v[140:143], v135 offset0:41 offset1:42
	s_wait_dscnt 0x0
	v_pk_mul_f32 v[132:133], v[140:141], v[130:131] op_sel:[0,1]
	s_delay_alu instid0(VALU_DEP_1) | instskip(SKIP_1) | instid1(VALU_DEP_1)
	v_pk_fma_f32 v[144:145], v[140:141], v[128:129], v[132:133] op_sel:[0,0,1] op_sel_hi:[1,1,0] neg_lo:[0,0,1] neg_hi:[0,0,1]
	v_pk_fma_f32 v[132:133], v[140:141], v[128:129], v[132:133] op_sel:[0,0,1] op_sel_hi:[1,0,0]
	v_mov_b32_e32 v145, v133
	v_pk_mul_f32 v[132:133], v[142:143], v[130:131] op_sel:[0,1]
	s_delay_alu instid0(VALU_DEP_2) | instskip(NEXT) | instid1(VALU_DEP_2)
	v_pk_add_f32 v[38:39], v[38:39], v[144:145] neg_lo:[0,1] neg_hi:[0,1]
	v_pk_fma_f32 v[140:141], v[142:143], v[128:129], v[132:133] op_sel:[0,0,1] op_sel_hi:[1,1,0] neg_lo:[0,0,1] neg_hi:[0,0,1]
	v_pk_fma_f32 v[132:133], v[142:143], v[128:129], v[132:133] op_sel:[0,0,1] op_sel_hi:[1,0,0]
	s_delay_alu instid0(VALU_DEP_1) | instskip(NEXT) | instid1(VALU_DEP_1)
	v_mov_b32_e32 v141, v133
	v_pk_add_f32 v[40:41], v[40:41], v[140:141] neg_lo:[0,1] neg_hi:[0,1]
	ds_load_2addr_b64 v[140:143], v135 offset0:43 offset1:44
	s_wait_dscnt 0x0
	v_pk_mul_f32 v[132:133], v[140:141], v[130:131] op_sel:[0,1]
	s_delay_alu instid0(VALU_DEP_1) | instskip(SKIP_2) | instid1(VALU_DEP_2)
	v_pk_fma_f32 v[144:145], v[140:141], v[128:129], v[132:133] op_sel:[0,0,1] op_sel_hi:[1,1,0] neg_lo:[0,0,1] neg_hi:[0,0,1]
	v_pk_fma_f32 v[132:133], v[140:141], v[128:129], v[132:133] op_sel:[0,0,1] op_sel_hi:[1,0,0]
	v_dual_mul_f32 v140, v143, v131 :: v_dual_mov_b32 v132, v143
	v_dual_mov_b32 v145, v133 :: v_dual_mov_b32 v133, v142
	s_delay_alu instid0(VALU_DEP_2) | instskip(SKIP_1) | instid1(VALU_DEP_3)
	v_pk_fma_f32 v[140:141], v[142:143], v[84:85], v[140:141] op_sel_hi:[1,1,0] neg_lo:[0,0,1] neg_hi:[0,0,1]
	v_mul_f32_e32 v142, v143, v128
	v_pk_add_f32 v[36:37], v[36:37], v[144:145] neg_lo:[0,1] neg_hi:[0,1]
	s_delay_alu instid0(VALU_DEP_2) | instskip(NEXT) | instid1(VALU_DEP_1)
	v_pk_fma_f32 v[132:133], v[132:133], v[84:85], v[142:143] op_sel_hi:[1,1,0]
	v_mov_b32_e32 v141, v133
	s_delay_alu instid0(VALU_DEP_1) | instskip(SKIP_3) | instid1(VALU_DEP_1)
	v_pk_add_f32 v[34:35], v[34:35], v[140:141] neg_lo:[0,1] neg_hi:[0,1]
	ds_load_2addr_b64 v[140:143], v135 offset0:45 offset1:46
	s_wait_dscnt 0x0
	v_pk_mul_f32 v[132:133], v[140:141], v[130:131] op_sel:[0,1]
	v_pk_fma_f32 v[144:145], v[140:141], v[128:129], v[132:133] op_sel:[0,0,1] op_sel_hi:[1,1,0] neg_lo:[0,0,1] neg_hi:[0,0,1]
	v_pk_fma_f32 v[132:133], v[140:141], v[128:129], v[132:133] op_sel:[0,0,1] op_sel_hi:[1,0,0]
	s_delay_alu instid0(VALU_DEP_1) | instskip(SKIP_1) | instid1(VALU_DEP_1)
	v_mov_b32_e32 v145, v133
	v_pk_mul_f32 v[132:133], v[142:143], v[130:131] op_sel:[0,1]
	v_pk_fma_f32 v[140:141], v[142:143], v[128:129], v[132:133] op_sel:[0,0,1] op_sel_hi:[1,1,0] neg_lo:[0,0,1] neg_hi:[0,0,1]
	v_pk_fma_f32 v[132:133], v[142:143], v[128:129], v[132:133] op_sel:[0,0,1] op_sel_hi:[1,0,0]
	s_delay_alu instid0(VALU_DEP_1) | instskip(SKIP_1) | instid1(VALU_DEP_2)
	v_mov_b32_e32 v141, v133
	v_pk_add_f32 v[30:31], v[30:31], v[144:145] neg_lo:[0,1] neg_hi:[0,1]
	v_pk_add_f32 v[32:33], v[32:33], v[140:141] neg_lo:[0,1] neg_hi:[0,1]
	ds_load_2addr_b64 v[140:143], v135 offset0:47 offset1:48
	s_wait_dscnt 0x0
	v_pk_mul_f32 v[132:133], v[140:141], v[130:131] op_sel:[0,1]
	s_delay_alu instid0(VALU_DEP_1) | instskip(SKIP_1) | instid1(VALU_DEP_1)
	v_pk_fma_f32 v[144:145], v[140:141], v[128:129], v[132:133] op_sel:[0,0,1] op_sel_hi:[1,1,0] neg_lo:[0,0,1] neg_hi:[0,0,1]
	v_pk_fma_f32 v[132:133], v[140:141], v[128:129], v[132:133] op_sel:[0,0,1] op_sel_hi:[1,0,0]
	v_mov_b32_e32 v145, v133
	v_pk_mul_f32 v[132:133], v[142:143], v[130:131] op_sel:[0,1]
	s_delay_alu instid0(VALU_DEP_1) | instskip(SKIP_1) | instid1(VALU_DEP_1)
	v_pk_fma_f32 v[140:141], v[142:143], v[128:129], v[132:133] op_sel:[0,0,1] op_sel_hi:[1,1,0] neg_lo:[0,0,1] neg_hi:[0,0,1]
	v_pk_fma_f32 v[132:133], v[142:143], v[128:129], v[132:133] op_sel:[0,0,1] op_sel_hi:[1,0,0]
	v_mov_b32_e32 v141, v133
	v_pk_add_f32 v[28:29], v[28:29], v[144:145] neg_lo:[0,1] neg_hi:[0,1]
	s_delay_alu instid0(VALU_DEP_2) | instskip(SKIP_3) | instid1(VALU_DEP_1)
	v_pk_add_f32 v[26:27], v[26:27], v[140:141] neg_lo:[0,1] neg_hi:[0,1]
	ds_load_2addr_b64 v[140:143], v135 offset0:49 offset1:50
	s_wait_dscnt 0x0
	v_dual_mul_f32 v132, v141, v131 :: v_dual_mul_f32 v144, v141, v128
	v_pk_fma_f32 v[132:133], v[140:141], v[84:85], v[132:133] op_sel_hi:[1,1,0] neg_lo:[0,0,1] neg_hi:[0,0,1]
	s_delay_alu instid0(VALU_DEP_2) | instskip(NEXT) | instid1(VALU_DEP_1)
	v_pk_fma_f32 v[140:141], v[140:141], v[84:85], v[144:145] op_sel:[1,0,0] op_sel_hi:[0,1,0]
	v_mov_b32_e32 v133, v141
	s_delay_alu instid0(VALU_DEP_1) | instskip(SKIP_1) | instid1(VALU_DEP_1)
	v_pk_add_f32 v[22:23], v[22:23], v[132:133] neg_lo:[0,1] neg_hi:[0,1]
	v_pk_mul_f32 v[132:133], v[142:143], v[130:131] op_sel:[0,1]
	v_pk_fma_f32 v[140:141], v[142:143], v[128:129], v[132:133] op_sel:[0,0,1] op_sel_hi:[1,1,0] neg_lo:[0,0,1] neg_hi:[0,0,1]
	v_pk_fma_f32 v[132:133], v[142:143], v[128:129], v[132:133] op_sel:[0,0,1] op_sel_hi:[1,0,0]
	s_delay_alu instid0(VALU_DEP_1) | instskip(NEXT) | instid1(VALU_DEP_1)
	v_mov_b32_e32 v141, v133
	v_pk_add_f32 v[24:25], v[24:25], v[140:141] neg_lo:[0,1] neg_hi:[0,1]
	ds_load_2addr_b64 v[140:143], v135 offset0:51 offset1:52
	s_wait_dscnt 0x0
	v_pk_mul_f32 v[132:133], v[140:141], v[130:131] op_sel:[0,1]
	s_delay_alu instid0(VALU_DEP_1) | instskip(SKIP_1) | instid1(VALU_DEP_1)
	v_pk_fma_f32 v[144:145], v[140:141], v[128:129], v[132:133] op_sel:[0,0,1] op_sel_hi:[1,1,0] neg_lo:[0,0,1] neg_hi:[0,0,1]
	v_pk_fma_f32 v[132:133], v[140:141], v[128:129], v[132:133] op_sel:[0,0,1] op_sel_hi:[1,0,0]
	v_mov_b32_e32 v145, v133
	v_pk_mul_f32 v[132:133], v[142:143], v[130:131] op_sel:[0,1]
	s_delay_alu instid0(VALU_DEP_2) | instskip(NEXT) | instid1(VALU_DEP_2)
	v_pk_add_f32 v[44:45], v[44:45], v[144:145] neg_lo:[0,1] neg_hi:[0,1]
	v_pk_fma_f32 v[140:141], v[142:143], v[128:129], v[132:133] op_sel:[0,0,1] op_sel_hi:[1,1,0] neg_lo:[0,0,1] neg_hi:[0,0,1]
	v_pk_fma_f32 v[132:133], v[142:143], v[128:129], v[132:133] op_sel:[0,0,1] op_sel_hi:[1,0,0]
	s_delay_alu instid0(VALU_DEP_1) | instskip(NEXT) | instid1(VALU_DEP_1)
	v_mov_b32_e32 v141, v133
	v_pk_add_f32 v[16:17], v[16:17], v[140:141] neg_lo:[0,1] neg_hi:[0,1]
	ds_load_2addr_b64 v[140:143], v135 offset0:53 offset1:54
	s_wait_dscnt 0x0
	v_pk_mul_f32 v[132:133], v[140:141], v[130:131] op_sel:[0,1]
	s_delay_alu instid0(VALU_DEP_1) | instskip(SKIP_2) | instid1(VALU_DEP_2)
	v_pk_fma_f32 v[144:145], v[140:141], v[128:129], v[132:133] op_sel:[0,0,1] op_sel_hi:[1,1,0] neg_lo:[0,0,1] neg_hi:[0,0,1]
	v_pk_fma_f32 v[132:133], v[140:141], v[128:129], v[132:133] op_sel:[0,0,1] op_sel_hi:[1,0,0]
	v_dual_mul_f32 v140, v143, v131 :: v_dual_mov_b32 v132, v143
	v_dual_mov_b32 v145, v133 :: v_dual_mov_b32 v133, v142
	s_delay_alu instid0(VALU_DEP_2) | instskip(SKIP_1) | instid1(VALU_DEP_3)
	v_pk_fma_f32 v[140:141], v[142:143], v[84:85], v[140:141] op_sel_hi:[1,1,0] neg_lo:[0,0,1] neg_hi:[0,0,1]
	v_mul_f32_e32 v142, v143, v128
	v_pk_add_f32 v[12:13], v[12:13], v[144:145] neg_lo:[0,1] neg_hi:[0,1]
	s_delay_alu instid0(VALU_DEP_2) | instskip(NEXT) | instid1(VALU_DEP_1)
	v_pk_fma_f32 v[132:133], v[132:133], v[84:85], v[142:143] op_sel_hi:[1,1,0]
	v_mov_b32_e32 v141, v133
	s_delay_alu instid0(VALU_DEP_1) | instskip(SKIP_3) | instid1(VALU_DEP_1)
	v_pk_add_f32 v[14:15], v[14:15], v[140:141] neg_lo:[0,1] neg_hi:[0,1]
	ds_load_2addr_b64 v[140:143], v135 offset0:55 offset1:56
	s_wait_dscnt 0x0
	v_pk_mul_f32 v[132:133], v[140:141], v[130:131] op_sel:[0,1]
	v_pk_fma_f32 v[144:145], v[140:141], v[128:129], v[132:133] op_sel:[0,0,1] op_sel_hi:[1,1,0] neg_lo:[0,0,1] neg_hi:[0,0,1]
	v_pk_fma_f32 v[132:133], v[140:141], v[128:129], v[132:133] op_sel:[0,0,1] op_sel_hi:[1,0,0]
	s_delay_alu instid0(VALU_DEP_1) | instskip(SKIP_1) | instid1(VALU_DEP_1)
	v_mov_b32_e32 v145, v133
	v_pk_mul_f32 v[132:133], v[142:143], v[130:131] op_sel:[0,1]
	v_pk_fma_f32 v[140:141], v[142:143], v[128:129], v[132:133] op_sel:[0,0,1] op_sel_hi:[1,1,0] neg_lo:[0,0,1] neg_hi:[0,0,1]
	v_pk_fma_f32 v[132:133], v[142:143], v[128:129], v[132:133] op_sel:[0,0,1] op_sel_hi:[1,0,0]
	s_delay_alu instid0(VALU_DEP_1) | instskip(SKIP_1) | instid1(VALU_DEP_2)
	v_mov_b32_e32 v141, v133
	v_pk_add_f32 v[10:11], v[10:11], v[144:145] neg_lo:[0,1] neg_hi:[0,1]
	v_pk_add_f32 v[6:7], v[6:7], v[140:141] neg_lo:[0,1] neg_hi:[0,1]
	ds_load_2addr_b64 v[140:143], v135 offset0:57 offset1:58
	s_wait_dscnt 0x0
	v_pk_mul_f32 v[132:133], v[140:141], v[130:131] op_sel:[0,1]
	s_delay_alu instid0(VALU_DEP_1) | instskip(SKIP_1) | instid1(VALU_DEP_1)
	v_pk_fma_f32 v[144:145], v[140:141], v[128:129], v[132:133] op_sel:[0,0,1] op_sel_hi:[1,1,0] neg_lo:[0,0,1] neg_hi:[0,0,1]
	v_pk_fma_f32 v[132:133], v[140:141], v[128:129], v[132:133] op_sel:[0,0,1] op_sel_hi:[1,0,0]
	v_mov_b32_e32 v145, v133
	v_pk_mul_f32 v[132:133], v[142:143], v[130:131] op_sel:[0,1]
	s_delay_alu instid0(VALU_DEP_1) | instskip(SKIP_1) | instid1(VALU_DEP_1)
	v_pk_fma_f32 v[140:141], v[142:143], v[128:129], v[132:133] op_sel:[0,0,1] op_sel_hi:[1,1,0] neg_lo:[0,0,1] neg_hi:[0,0,1]
	v_pk_fma_f32 v[132:133], v[142:143], v[128:129], v[132:133] op_sel:[0,0,1] op_sel_hi:[1,0,0]
	v_mov_b32_e32 v141, v133
	v_pk_add_f32 v[20:21], v[20:21], v[144:145] neg_lo:[0,1] neg_hi:[0,1]
	s_delay_alu instid0(VALU_DEP_2) | instskip(SKIP_4) | instid1(VALU_DEP_2)
	v_pk_add_f32 v[18:19], v[18:19], v[140:141] neg_lo:[0,1] neg_hi:[0,1]
	ds_load_2addr_b64 v[140:143], v135 offset0:59 offset1:60
	s_wait_dscnt 0x0
	v_dual_mul_f32 v132, v141, v131 :: v_dual_mul_f32 v144, v141, v128
	v_pk_mul_f32 v[130:131], v[142:143], v[130:131] op_sel:[0,1]
	v_pk_fma_f32 v[132:133], v[140:141], v[84:85], v[132:133] op_sel_hi:[1,1,0] neg_lo:[0,0,1] neg_hi:[0,0,1]
	s_delay_alu instid0(VALU_DEP_3) | instskip(NEXT) | instid1(VALU_DEP_1)
	v_pk_fma_f32 v[140:141], v[140:141], v[84:85], v[144:145] op_sel:[1,0,0] op_sel_hi:[0,1,0]
	v_mov_b32_e32 v133, v141
	s_delay_alu instid0(VALU_DEP_1) | instskip(SKIP_2) | instid1(VALU_DEP_1)
	v_pk_add_f32 v[8:9], v[8:9], v[132:133] neg_lo:[0,1] neg_hi:[0,1]
	v_pk_fma_f32 v[132:133], v[142:143], v[128:129], v[130:131] op_sel:[0,0,1] op_sel_hi:[1,1,0] neg_lo:[0,0,1] neg_hi:[0,0,1]
	v_pk_fma_f32 v[128:129], v[142:143], v[128:129], v[130:131] op_sel:[0,0,1] op_sel_hi:[1,0,0]
	v_mov_b32_e32 v133, v129
	s_delay_alu instid0(VALU_DEP_1)
	v_pk_add_f32 v[126:127], v[126:127], v[132:133] neg_lo:[0,1] neg_hi:[0,1]
.LBB120_440:
	s_or_b32 exec_lo, exec_lo, s0
	v_lshl_add_u32 v128, v138, 3, v135
	s_barrier_signal -1
	s_barrier_wait -1
	ds_store_b64 v128, v[80:81]
	s_wait_dscnt 0x0
	s_barrier_signal -1
	s_barrier_wait -1
	ds_load_b64 v[130:131], v135 offset:168
	v_mov_b32_e32 v128, 21
	s_cmp_lt_i32 s18, 23
	s_cbranch_scc1 .LBB120_443
; %bb.441:
	v_add3_u32 v129, v136, 0, 0xb0
	v_mov_b32_e32 v128, 21
	s_mov_b32 s0, 22
.LBB120_442:                            ; =>This Inner Loop Header: Depth=1
	ds_load_b64 v[132:133], v129
	s_wait_dscnt 0x1
	v_cmp_gt_f32_e32 vcc_lo, 0, v130
	v_cndmask_b32_e64 v140, v130, -v130, vcc_lo
	v_cmp_gt_f32_e32 vcc_lo, 0, v131
	v_cndmask_b32_e64 v142, v131, -v131, vcc_lo
	s_wait_dscnt 0x0
	v_cmp_gt_f32_e32 vcc_lo, 0, v132
	v_cndmask_b32_e64 v141, v132, -v132, vcc_lo
	v_cmp_gt_f32_e32 vcc_lo, 0, v133
	v_cndmask_b32_e64 v143, v133, -v133, vcc_lo
	s_delay_alu instid0(VALU_DEP_1) | instskip(NEXT) | instid1(VALU_DEP_1)
	v_pk_add_f32 v[140:141], v[140:141], v[142:143]
	v_cmp_lt_f32_e32 vcc_lo, v140, v141
	v_dual_cndmask_b32 v130, v130, v132 :: v_dual_add_nc_u32 v129, 8, v129
	v_cndmask_b32_e32 v131, v131, v133, vcc_lo
	v_cndmask_b32_e64 v128, v128, s0, vcc_lo
	s_add_co_i32 s0, s0, 1
	s_delay_alu instid0(SALU_CYCLE_1)
	s_cmp_lg_u32 s18, s0
	s_cbranch_scc1 .LBB120_442
.LBB120_443:
	s_wait_dscnt 0x0
	v_cmp_eq_f32_e32 vcc_lo, 0, v130
	v_cmp_eq_f32_e64 s0, 0, v131
	s_and_b32 s0, vcc_lo, s0
	s_delay_alu instid0(SALU_CYCLE_1) | instskip(NEXT) | instid1(SALU_CYCLE_1)
	s_and_saveexec_b32 s1, s0
	s_xor_b32 s0, exec_lo, s1
; %bb.444:
	v_cmp_ne_u32_e32 vcc_lo, 0, v134
	v_cndmask_b32_e32 v134, 22, v134, vcc_lo
; %bb.445:
	s_and_not1_saveexec_b32 s0, s0
	s_cbranch_execz .LBB120_451
; %bb.446:
	v_cmp_ngt_f32_e64 s1, |v130|, |v131|
	s_and_saveexec_b32 s12, s1
	s_delay_alu instid0(SALU_CYCLE_1)
	s_xor_b32 s1, exec_lo, s12
	s_cbranch_execz .LBB120_448
; %bb.447:
	v_div_scale_f32 v129, null, v131, v131, v130
	v_div_scale_f32 v139, vcc_lo, v130, v131, v130
	s_delay_alu instid0(VALU_DEP_2) | instskip(SKIP_1) | instid1(TRANS32_DEP_1)
	v_rcp_f32_e32 v132, v129
	v_nop
	v_fma_f32 v133, -v129, v132, 1.0
	s_delay_alu instid0(VALU_DEP_1) | instskip(NEXT) | instid1(VALU_DEP_1)
	v_fmac_f32_e32 v132, v133, v132
	v_mul_f32_e32 v133, v139, v132
	s_delay_alu instid0(VALU_DEP_1) | instskip(NEXT) | instid1(VALU_DEP_1)
	v_fma_f32 v140, -v129, v133, v139
	v_fmac_f32_e32 v133, v140, v132
	s_delay_alu instid0(VALU_DEP_1) | instskip(NEXT) | instid1(VALU_DEP_1)
	v_fma_f32 v129, -v129, v133, v139
	v_div_fmas_f32 v129, v129, v132, v133
	s_delay_alu instid0(VALU_DEP_1) | instskip(NEXT) | instid1(VALU_DEP_1)
	v_div_fixup_f32 v129, v129, v131, v130
	v_fmac_f32_e32 v131, v130, v129
	s_delay_alu instid0(VALU_DEP_1) | instskip(SKIP_1) | instid1(VALU_DEP_2)
	v_div_scale_f32 v130, null, v131, v131, 1.0
	v_div_scale_f32 v139, vcc_lo, 1.0, v131, 1.0
	v_rcp_f32_e32 v132, v130
	v_nop
	s_delay_alu instid0(TRANS32_DEP_1) | instskip(NEXT) | instid1(VALU_DEP_1)
	v_fma_f32 v133, -v130, v132, 1.0
	v_fmac_f32_e32 v132, v133, v132
	s_delay_alu instid0(VALU_DEP_1) | instskip(NEXT) | instid1(VALU_DEP_1)
	v_mul_f32_e32 v133, v139, v132
	v_fma_f32 v140, -v130, v133, v139
	s_delay_alu instid0(VALU_DEP_1) | instskip(NEXT) | instid1(VALU_DEP_1)
	v_fmac_f32_e32 v133, v140, v132
	v_fma_f32 v130, -v130, v133, v139
	s_delay_alu instid0(VALU_DEP_1) | instskip(NEXT) | instid1(VALU_DEP_1)
	v_div_fmas_f32 v130, v130, v132, v133
	v_div_fixup_f32 v131, v130, v131, 1.0
	s_delay_alu instid0(VALU_DEP_1)
	v_mul_f32_e32 v130, v129, v131
	v_xor_b32_e32 v131, 0x80000000, v131
.LBB120_448:
	s_and_not1_saveexec_b32 s1, s1
	s_cbranch_execz .LBB120_450
; %bb.449:
	s_delay_alu instid0(VALU_DEP_1) | instskip(SKIP_1) | instid1(VALU_DEP_2)
	v_div_scale_f32 v129, null, v130, v130, v131
	v_div_scale_f32 v139, vcc_lo, v131, v130, v131
	v_rcp_f32_e32 v132, v129
	v_nop
	s_delay_alu instid0(TRANS32_DEP_1) | instskip(NEXT) | instid1(VALU_DEP_1)
	v_fma_f32 v133, -v129, v132, 1.0
	v_fmac_f32_e32 v132, v133, v132
	s_delay_alu instid0(VALU_DEP_1) | instskip(NEXT) | instid1(VALU_DEP_1)
	v_mul_f32_e32 v133, v139, v132
	v_fma_f32 v140, -v129, v133, v139
	s_delay_alu instid0(VALU_DEP_1) | instskip(NEXT) | instid1(VALU_DEP_1)
	v_fmac_f32_e32 v133, v140, v132
	v_fma_f32 v129, -v129, v133, v139
	s_delay_alu instid0(VALU_DEP_1) | instskip(NEXT) | instid1(VALU_DEP_1)
	v_div_fmas_f32 v129, v129, v132, v133
	v_div_fixup_f32 v129, v129, v130, v131
	s_delay_alu instid0(VALU_DEP_1) | instskip(NEXT) | instid1(VALU_DEP_1)
	v_fmac_f32_e32 v130, v131, v129
	v_div_scale_f32 v131, null, v130, v130, 1.0
	s_delay_alu instid0(VALU_DEP_1) | instskip(SKIP_1) | instid1(TRANS32_DEP_1)
	v_rcp_f32_e32 v132, v131
	v_nop
	v_fma_f32 v133, -v131, v132, 1.0
	s_delay_alu instid0(VALU_DEP_1) | instskip(SKIP_1) | instid1(VALU_DEP_1)
	v_fmac_f32_e32 v132, v133, v132
	v_div_scale_f32 v133, vcc_lo, 1.0, v130, 1.0
	v_mul_f32_e32 v139, v133, v132
	s_delay_alu instid0(VALU_DEP_1) | instskip(NEXT) | instid1(VALU_DEP_1)
	v_fma_f32 v140, -v131, v139, v133
	v_fmac_f32_e32 v139, v140, v132
	s_delay_alu instid0(VALU_DEP_1) | instskip(NEXT) | instid1(VALU_DEP_1)
	v_fma_f32 v131, -v131, v139, v133
	v_div_fmas_f32 v131, v131, v132, v139
	s_delay_alu instid0(VALU_DEP_1) | instskip(NEXT) | instid1(VALU_DEP_1)
	v_div_fixup_f32 v130, v131, v130, 1.0
	v_mul_f32_e64 v131, v129, -v130
.LBB120_450:
	s_or_b32 exec_lo, exec_lo, s1
.LBB120_451:
	s_delay_alu instid0(SALU_CYCLE_1) | instskip(NEXT) | instid1(SALU_CYCLE_1)
	s_or_b32 exec_lo, exec_lo, s0
	s_mov_b32 s0, exec_lo
	v_cmpx_ne_u32_e64 v138, v128
	s_xor_b32 s0, exec_lo, s0
	s_cbranch_execz .LBB120_457
; %bb.452:
	s_mov_b32 s1, exec_lo
	v_cmpx_eq_u32_e32 21, v138
	s_cbranch_execz .LBB120_456
; %bb.453:
	v_cmp_ne_u32_e32 vcc_lo, 21, v128
	s_xor_b32 s12, s16, -1
	s_delay_alu instid0(SALU_CYCLE_1) | instskip(NEXT) | instid1(SALU_CYCLE_1)
	s_and_b32 s13, s12, vcc_lo
	s_and_saveexec_b32 s12, s13
	s_cbranch_execz .LBB120_455
; %bb.454:
	v_ashrrev_i32_e32 v129, 31, v128
	s_delay_alu instid0(VALU_DEP_1)
	v_lshl_add_u64 v[132:133], v[128:129], 2, v[4:5]
	s_clause 0x1
	global_load_b32 v129, v[132:133], off
	global_load_b32 v137, v[4:5], off offset:84
	s_wait_loadcnt 0x1
	global_store_b32 v[4:5], v129, off offset:84
	s_wait_loadcnt 0x0
	global_store_b32 v[132:133], v137, off
.LBB120_455:
	s_wait_xcnt 0x0
	s_or_b32 exec_lo, exec_lo, s12
	v_dual_mov_b32 v138, v128 :: v_dual_mov_b32 v137, v128
.LBB120_456:
	s_or_b32 exec_lo, exec_lo, s1
.LBB120_457:
	s_and_not1_saveexec_b32 s0, s0
	s_cbranch_execz .LBB120_459
; %bb.458:
	v_dual_mov_b32 v128, v82 :: v_dual_mov_b32 v129, v83
	v_dual_mov_b32 v132, v78 :: v_dual_mov_b32 v133, v79
	;; [unrolled: 1-line block ×4, first 2 shown]
	ds_store_2addr_b64 v135, v[128:129], v[132:133] offset0:22 offset1:23
	ds_store_2addr_b64 v135, v[138:139], v[140:141] offset0:24 offset1:25
	v_dual_mov_b32 v128, v74 :: v_dual_mov_b32 v129, v75
	v_dual_mov_b32 v132, v70 :: v_dual_mov_b32 v133, v71
	;; [unrolled: 1-line block ×12, first 2 shown]
	ds_store_2addr_b64 v135, v[128:129], v[132:133] offset0:26 offset1:27
	ds_store_2addr_b64 v135, v[138:139], v[140:141] offset0:28 offset1:29
	;; [unrolled: 1-line block ×6, first 2 shown]
	v_dual_mov_b32 v128, v50 :: v_dual_mov_b32 v129, v51
	v_dual_mov_b32 v132, v46 :: v_dual_mov_b32 v133, v47
	;; [unrolled: 1-line block ×12, first 2 shown]
	ds_store_2addr_b64 v135, v[128:129], v[132:133] offset0:38 offset1:39
	ds_store_2addr_b64 v135, v[138:139], v[140:141] offset0:40 offset1:41
	;; [unrolled: 1-line block ×6, first 2 shown]
	v_dual_mov_b32 v128, v24 :: v_dual_mov_b32 v129, v25
	v_dual_mov_b32 v132, v44 :: v_dual_mov_b32 v133, v45
	;; [unrolled: 1-line block ×6, first 2 shown]
	ds_store_2addr_b64 v135, v[128:129], v[132:133] offset0:50 offset1:51
	ds_store_2addr_b64 v135, v[138:139], v[140:141] offset0:52 offset1:53
	v_dual_mov_b32 v138, 21 :: v_dual_mov_b32 v146, v6
	v_dual_mov_b32 v147, v7 :: v_dual_mov_b32 v148, v20
	;; [unrolled: 1-line block ×4, first 2 shown]
	v_mov_b32_e32 v153, v9
	ds_store_2addr_b64 v135, v[142:143], v[144:145] offset0:54 offset1:55
	ds_store_2addr_b64 v135, v[146:147], v[148:149] offset0:56 offset1:57
	;; [unrolled: 1-line block ×3, first 2 shown]
	ds_store_b64 v135, v[126:127] offset:480
.LBB120_459:
	s_or_b32 exec_lo, exec_lo, s0
	s_delay_alu instid0(SALU_CYCLE_1)
	s_mov_b32 s0, exec_lo
	s_wait_storecnt_dscnt 0x0
	s_barrier_signal -1
	s_barrier_wait -1
	v_cmpx_lt_i32_e32 21, v138
	s_cbranch_execz .LBB120_461
; %bb.460:
	ds_load_2addr_b64 v[140:143], v135 offset0:22 offset1:23
	v_pk_mul_f32 v[132:133], v[130:131], v[80:81] op_sel:[1,1] op_sel_hi:[0,1]
	s_delay_alu instid0(VALU_DEP_1) | instskip(SKIP_1) | instid1(VALU_DEP_1)
	v_pk_fma_f32 v[128:129], v[130:131], v[80:81], v[132:133] op_sel_hi:[1,0,1] neg_lo:[0,0,1] neg_hi:[0,0,1]
	v_pk_fma_f32 v[130:131], v[130:131], v[80:81], v[132:133] op_sel_hi:[1,0,1]
	v_dual_mov_b32 v80, v128 :: v_dual_mov_b32 v81, v131
	s_wait_dscnt 0x0
	s_delay_alu instid0(VALU_DEP_2) | instskip(NEXT) | instid1(VALU_DEP_1)
	v_pk_mul_f32 v[132:133], v[140:141], v[130:131] op_sel:[0,1]
	v_pk_fma_f32 v[144:145], v[140:141], v[128:129], v[132:133] op_sel:[0,0,1] op_sel_hi:[1,1,0] neg_lo:[0,0,1] neg_hi:[0,0,1]
	v_pk_fma_f32 v[132:133], v[140:141], v[128:129], v[132:133] op_sel:[0,0,1] op_sel_hi:[1,0,0]
	s_delay_alu instid0(VALU_DEP_1) | instskip(SKIP_1) | instid1(VALU_DEP_1)
	v_mov_b32_e32 v145, v133
	v_pk_mul_f32 v[132:133], v[142:143], v[130:131] op_sel:[0,1]
	v_pk_fma_f32 v[140:141], v[142:143], v[128:129], v[132:133] op_sel:[0,0,1] op_sel_hi:[1,1,0] neg_lo:[0,0,1] neg_hi:[0,0,1]
	v_pk_fma_f32 v[132:133], v[142:143], v[128:129], v[132:133] op_sel:[0,0,1] op_sel_hi:[1,0,0]
	s_delay_alu instid0(VALU_DEP_1) | instskip(SKIP_1) | instid1(VALU_DEP_2)
	v_mov_b32_e32 v141, v133
	v_pk_add_f32 v[82:83], v[82:83], v[144:145] neg_lo:[0,1] neg_hi:[0,1]
	v_pk_add_f32 v[78:79], v[78:79], v[140:141] neg_lo:[0,1] neg_hi:[0,1]
	ds_load_2addr_b64 v[140:143], v135 offset0:24 offset1:25
	s_wait_dscnt 0x0
	v_pk_mul_f32 v[132:133], v[140:141], v[130:131] op_sel:[0,1]
	s_delay_alu instid0(VALU_DEP_1) | instskip(SKIP_2) | instid1(VALU_DEP_2)
	v_pk_fma_f32 v[144:145], v[140:141], v[128:129], v[132:133] op_sel:[0,0,1] op_sel_hi:[1,1,0] neg_lo:[0,0,1] neg_hi:[0,0,1]
	v_pk_fma_f32 v[132:133], v[140:141], v[128:129], v[132:133] op_sel:[0,0,1] op_sel_hi:[1,0,0]
	v_dual_mul_f32 v140, v143, v131 :: v_dual_mov_b32 v132, v143
	v_dual_mov_b32 v145, v133 :: v_dual_mov_b32 v133, v142
	s_delay_alu instid0(VALU_DEP_2) | instskip(SKIP_1) | instid1(VALU_DEP_3)
	v_pk_fma_f32 v[140:141], v[142:143], v[80:81], v[140:141] op_sel_hi:[1,1,0] neg_lo:[0,0,1] neg_hi:[0,0,1]
	v_mul_f32_e32 v142, v143, v128
	v_pk_add_f32 v[76:77], v[76:77], v[144:145] neg_lo:[0,1] neg_hi:[0,1]
	s_delay_alu instid0(VALU_DEP_2) | instskip(NEXT) | instid1(VALU_DEP_1)
	v_pk_fma_f32 v[132:133], v[132:133], v[80:81], v[142:143] op_sel_hi:[1,1,0]
	v_mov_b32_e32 v141, v133
	s_delay_alu instid0(VALU_DEP_1) | instskip(SKIP_3) | instid1(VALU_DEP_1)
	v_pk_add_f32 v[72:73], v[72:73], v[140:141] neg_lo:[0,1] neg_hi:[0,1]
	ds_load_2addr_b64 v[140:143], v135 offset0:26 offset1:27
	s_wait_dscnt 0x0
	v_pk_mul_f32 v[132:133], v[140:141], v[130:131] op_sel:[0,1]
	v_pk_fma_f32 v[144:145], v[140:141], v[128:129], v[132:133] op_sel:[0,0,1] op_sel_hi:[1,1,0] neg_lo:[0,0,1] neg_hi:[0,0,1]
	v_pk_fma_f32 v[132:133], v[140:141], v[128:129], v[132:133] op_sel:[0,0,1] op_sel_hi:[1,0,0]
	s_delay_alu instid0(VALU_DEP_1) | instskip(SKIP_1) | instid1(VALU_DEP_1)
	v_mov_b32_e32 v145, v133
	v_pk_mul_f32 v[132:133], v[142:143], v[130:131] op_sel:[0,1]
	v_pk_fma_f32 v[140:141], v[142:143], v[128:129], v[132:133] op_sel:[0,0,1] op_sel_hi:[1,1,0] neg_lo:[0,0,1] neg_hi:[0,0,1]
	v_pk_fma_f32 v[132:133], v[142:143], v[128:129], v[132:133] op_sel:[0,0,1] op_sel_hi:[1,0,0]
	s_delay_alu instid0(VALU_DEP_1) | instskip(SKIP_1) | instid1(VALU_DEP_2)
	v_mov_b32_e32 v141, v133
	v_pk_add_f32 v[74:75], v[74:75], v[144:145] neg_lo:[0,1] neg_hi:[0,1]
	v_pk_add_f32 v[70:71], v[70:71], v[140:141] neg_lo:[0,1] neg_hi:[0,1]
	ds_load_2addr_b64 v[140:143], v135 offset0:28 offset1:29
	s_wait_dscnt 0x0
	v_pk_mul_f32 v[132:133], v[140:141], v[130:131] op_sel:[0,1]
	s_delay_alu instid0(VALU_DEP_1) | instskip(SKIP_1) | instid1(VALU_DEP_1)
	v_pk_fma_f32 v[144:145], v[140:141], v[128:129], v[132:133] op_sel:[0,0,1] op_sel_hi:[1,1,0] neg_lo:[0,0,1] neg_hi:[0,0,1]
	v_pk_fma_f32 v[132:133], v[140:141], v[128:129], v[132:133] op_sel:[0,0,1] op_sel_hi:[1,0,0]
	v_mov_b32_e32 v145, v133
	v_pk_mul_f32 v[132:133], v[142:143], v[130:131] op_sel:[0,1]
	s_delay_alu instid0(VALU_DEP_1) | instskip(SKIP_1) | instid1(VALU_DEP_1)
	v_pk_fma_f32 v[140:141], v[142:143], v[128:129], v[132:133] op_sel:[0,0,1] op_sel_hi:[1,1,0] neg_lo:[0,0,1] neg_hi:[0,0,1]
	v_pk_fma_f32 v[132:133], v[142:143], v[128:129], v[132:133] op_sel:[0,0,1] op_sel_hi:[1,0,0]
	v_mov_b32_e32 v141, v133
	v_pk_add_f32 v[68:69], v[68:69], v[144:145] neg_lo:[0,1] neg_hi:[0,1]
	s_delay_alu instid0(VALU_DEP_2) | instskip(SKIP_3) | instid1(VALU_DEP_1)
	v_pk_add_f32 v[64:65], v[64:65], v[140:141] neg_lo:[0,1] neg_hi:[0,1]
	ds_load_2addr_b64 v[140:143], v135 offset0:30 offset1:31
	s_wait_dscnt 0x0
	v_dual_mul_f32 v132, v141, v131 :: v_dual_mul_f32 v144, v141, v128
	v_pk_fma_f32 v[132:133], v[140:141], v[80:81], v[132:133] op_sel_hi:[1,1,0] neg_lo:[0,0,1] neg_hi:[0,0,1]
	s_delay_alu instid0(VALU_DEP_2) | instskip(NEXT) | instid1(VALU_DEP_1)
	v_pk_fma_f32 v[140:141], v[140:141], v[80:81], v[144:145] op_sel:[1,0,0] op_sel_hi:[0,1,0]
	v_mov_b32_e32 v133, v141
	s_delay_alu instid0(VALU_DEP_1) | instskip(SKIP_1) | instid1(VALU_DEP_1)
	v_pk_add_f32 v[66:67], v[66:67], v[132:133] neg_lo:[0,1] neg_hi:[0,1]
	v_pk_mul_f32 v[132:133], v[142:143], v[130:131] op_sel:[0,1]
	v_pk_fma_f32 v[140:141], v[142:143], v[128:129], v[132:133] op_sel:[0,0,1] op_sel_hi:[1,1,0] neg_lo:[0,0,1] neg_hi:[0,0,1]
	v_pk_fma_f32 v[132:133], v[142:143], v[128:129], v[132:133] op_sel:[0,0,1] op_sel_hi:[1,0,0]
	s_delay_alu instid0(VALU_DEP_1) | instskip(NEXT) | instid1(VALU_DEP_1)
	v_mov_b32_e32 v141, v133
	v_pk_add_f32 v[62:63], v[62:63], v[140:141] neg_lo:[0,1] neg_hi:[0,1]
	ds_load_2addr_b64 v[140:143], v135 offset0:32 offset1:33
	s_wait_dscnt 0x0
	v_pk_mul_f32 v[132:133], v[140:141], v[130:131] op_sel:[0,1]
	s_delay_alu instid0(VALU_DEP_1) | instskip(SKIP_1) | instid1(VALU_DEP_1)
	v_pk_fma_f32 v[144:145], v[140:141], v[128:129], v[132:133] op_sel:[0,0,1] op_sel_hi:[1,1,0] neg_lo:[0,0,1] neg_hi:[0,0,1]
	v_pk_fma_f32 v[132:133], v[140:141], v[128:129], v[132:133] op_sel:[0,0,1] op_sel_hi:[1,0,0]
	v_mov_b32_e32 v145, v133
	v_pk_mul_f32 v[132:133], v[142:143], v[130:131] op_sel:[0,1]
	s_delay_alu instid0(VALU_DEP_2) | instskip(NEXT) | instid1(VALU_DEP_2)
	v_pk_add_f32 v[60:61], v[60:61], v[144:145] neg_lo:[0,1] neg_hi:[0,1]
	v_pk_fma_f32 v[140:141], v[142:143], v[128:129], v[132:133] op_sel:[0,0,1] op_sel_hi:[1,1,0] neg_lo:[0,0,1] neg_hi:[0,0,1]
	v_pk_fma_f32 v[132:133], v[142:143], v[128:129], v[132:133] op_sel:[0,0,1] op_sel_hi:[1,0,0]
	s_delay_alu instid0(VALU_DEP_1) | instskip(NEXT) | instid1(VALU_DEP_1)
	v_mov_b32_e32 v141, v133
	v_pk_add_f32 v[56:57], v[56:57], v[140:141] neg_lo:[0,1] neg_hi:[0,1]
	ds_load_2addr_b64 v[140:143], v135 offset0:34 offset1:35
	s_wait_dscnt 0x0
	v_pk_mul_f32 v[132:133], v[140:141], v[130:131] op_sel:[0,1]
	s_delay_alu instid0(VALU_DEP_1) | instskip(SKIP_2) | instid1(VALU_DEP_2)
	v_pk_fma_f32 v[144:145], v[140:141], v[128:129], v[132:133] op_sel:[0,0,1] op_sel_hi:[1,1,0] neg_lo:[0,0,1] neg_hi:[0,0,1]
	v_pk_fma_f32 v[132:133], v[140:141], v[128:129], v[132:133] op_sel:[0,0,1] op_sel_hi:[1,0,0]
	v_dual_mul_f32 v140, v143, v131 :: v_dual_mov_b32 v132, v143
	v_dual_mov_b32 v145, v133 :: v_dual_mov_b32 v133, v142
	s_delay_alu instid0(VALU_DEP_2) | instskip(SKIP_1) | instid1(VALU_DEP_3)
	v_pk_fma_f32 v[140:141], v[142:143], v[80:81], v[140:141] op_sel_hi:[1,1,0] neg_lo:[0,0,1] neg_hi:[0,0,1]
	v_mul_f32_e32 v142, v143, v128
	v_pk_add_f32 v[58:59], v[58:59], v[144:145] neg_lo:[0,1] neg_hi:[0,1]
	s_delay_alu instid0(VALU_DEP_2) | instskip(NEXT) | instid1(VALU_DEP_1)
	v_pk_fma_f32 v[132:133], v[132:133], v[80:81], v[142:143] op_sel_hi:[1,1,0]
	v_mov_b32_e32 v141, v133
	s_delay_alu instid0(VALU_DEP_1) | instskip(SKIP_3) | instid1(VALU_DEP_1)
	v_pk_add_f32 v[54:55], v[54:55], v[140:141] neg_lo:[0,1] neg_hi:[0,1]
	ds_load_2addr_b64 v[140:143], v135 offset0:36 offset1:37
	s_wait_dscnt 0x0
	v_pk_mul_f32 v[132:133], v[140:141], v[130:131] op_sel:[0,1]
	v_pk_fma_f32 v[144:145], v[140:141], v[128:129], v[132:133] op_sel:[0,0,1] op_sel_hi:[1,1,0] neg_lo:[0,0,1] neg_hi:[0,0,1]
	v_pk_fma_f32 v[132:133], v[140:141], v[128:129], v[132:133] op_sel:[0,0,1] op_sel_hi:[1,0,0]
	s_delay_alu instid0(VALU_DEP_1) | instskip(SKIP_1) | instid1(VALU_DEP_1)
	v_mov_b32_e32 v145, v133
	v_pk_mul_f32 v[132:133], v[142:143], v[130:131] op_sel:[0,1]
	v_pk_fma_f32 v[140:141], v[142:143], v[128:129], v[132:133] op_sel:[0,0,1] op_sel_hi:[1,1,0] neg_lo:[0,0,1] neg_hi:[0,0,1]
	v_pk_fma_f32 v[132:133], v[142:143], v[128:129], v[132:133] op_sel:[0,0,1] op_sel_hi:[1,0,0]
	s_delay_alu instid0(VALU_DEP_1) | instskip(SKIP_1) | instid1(VALU_DEP_2)
	v_mov_b32_e32 v141, v133
	v_pk_add_f32 v[52:53], v[52:53], v[144:145] neg_lo:[0,1] neg_hi:[0,1]
	v_pk_add_f32 v[48:49], v[48:49], v[140:141] neg_lo:[0,1] neg_hi:[0,1]
	ds_load_2addr_b64 v[140:143], v135 offset0:38 offset1:39
	s_wait_dscnt 0x0
	v_pk_mul_f32 v[132:133], v[140:141], v[130:131] op_sel:[0,1]
	s_delay_alu instid0(VALU_DEP_1) | instskip(SKIP_1) | instid1(VALU_DEP_1)
	v_pk_fma_f32 v[144:145], v[140:141], v[128:129], v[132:133] op_sel:[0,0,1] op_sel_hi:[1,1,0] neg_lo:[0,0,1] neg_hi:[0,0,1]
	v_pk_fma_f32 v[132:133], v[140:141], v[128:129], v[132:133] op_sel:[0,0,1] op_sel_hi:[1,0,0]
	v_mov_b32_e32 v145, v133
	v_pk_mul_f32 v[132:133], v[142:143], v[130:131] op_sel:[0,1]
	s_delay_alu instid0(VALU_DEP_1) | instskip(SKIP_1) | instid1(VALU_DEP_1)
	v_pk_fma_f32 v[140:141], v[142:143], v[128:129], v[132:133] op_sel:[0,0,1] op_sel_hi:[1,1,0] neg_lo:[0,0,1] neg_hi:[0,0,1]
	v_pk_fma_f32 v[132:133], v[142:143], v[128:129], v[132:133] op_sel:[0,0,1] op_sel_hi:[1,0,0]
	v_mov_b32_e32 v141, v133
	v_pk_add_f32 v[50:51], v[50:51], v[144:145] neg_lo:[0,1] neg_hi:[0,1]
	s_delay_alu instid0(VALU_DEP_2) | instskip(SKIP_3) | instid1(VALU_DEP_1)
	v_pk_add_f32 v[46:47], v[46:47], v[140:141] neg_lo:[0,1] neg_hi:[0,1]
	ds_load_2addr_b64 v[140:143], v135 offset0:40 offset1:41
	s_wait_dscnt 0x0
	v_dual_mul_f32 v132, v141, v131 :: v_dual_mul_f32 v144, v141, v128
	v_pk_fma_f32 v[132:133], v[140:141], v[80:81], v[132:133] op_sel_hi:[1,1,0] neg_lo:[0,0,1] neg_hi:[0,0,1]
	s_delay_alu instid0(VALU_DEP_2) | instskip(NEXT) | instid1(VALU_DEP_1)
	v_pk_fma_f32 v[140:141], v[140:141], v[80:81], v[144:145] op_sel:[1,0,0] op_sel_hi:[0,1,0]
	v_mov_b32_e32 v133, v141
	s_delay_alu instid0(VALU_DEP_1) | instskip(SKIP_1) | instid1(VALU_DEP_1)
	v_pk_add_f32 v[42:43], v[42:43], v[132:133] neg_lo:[0,1] neg_hi:[0,1]
	v_pk_mul_f32 v[132:133], v[142:143], v[130:131] op_sel:[0,1]
	v_pk_fma_f32 v[140:141], v[142:143], v[128:129], v[132:133] op_sel:[0,0,1] op_sel_hi:[1,1,0] neg_lo:[0,0,1] neg_hi:[0,0,1]
	v_pk_fma_f32 v[132:133], v[142:143], v[128:129], v[132:133] op_sel:[0,0,1] op_sel_hi:[1,0,0]
	s_delay_alu instid0(VALU_DEP_1) | instskip(NEXT) | instid1(VALU_DEP_1)
	v_mov_b32_e32 v141, v133
	v_pk_add_f32 v[38:39], v[38:39], v[140:141] neg_lo:[0,1] neg_hi:[0,1]
	ds_load_2addr_b64 v[140:143], v135 offset0:42 offset1:43
	s_wait_dscnt 0x0
	v_pk_mul_f32 v[132:133], v[140:141], v[130:131] op_sel:[0,1]
	s_delay_alu instid0(VALU_DEP_1) | instskip(SKIP_1) | instid1(VALU_DEP_1)
	v_pk_fma_f32 v[144:145], v[140:141], v[128:129], v[132:133] op_sel:[0,0,1] op_sel_hi:[1,1,0] neg_lo:[0,0,1] neg_hi:[0,0,1]
	v_pk_fma_f32 v[132:133], v[140:141], v[128:129], v[132:133] op_sel:[0,0,1] op_sel_hi:[1,0,0]
	v_mov_b32_e32 v145, v133
	v_pk_mul_f32 v[132:133], v[142:143], v[130:131] op_sel:[0,1]
	s_delay_alu instid0(VALU_DEP_2) | instskip(NEXT) | instid1(VALU_DEP_2)
	v_pk_add_f32 v[40:41], v[40:41], v[144:145] neg_lo:[0,1] neg_hi:[0,1]
	v_pk_fma_f32 v[140:141], v[142:143], v[128:129], v[132:133] op_sel:[0,0,1] op_sel_hi:[1,1,0] neg_lo:[0,0,1] neg_hi:[0,0,1]
	v_pk_fma_f32 v[132:133], v[142:143], v[128:129], v[132:133] op_sel:[0,0,1] op_sel_hi:[1,0,0]
	s_delay_alu instid0(VALU_DEP_1) | instskip(NEXT) | instid1(VALU_DEP_1)
	v_mov_b32_e32 v141, v133
	v_pk_add_f32 v[36:37], v[36:37], v[140:141] neg_lo:[0,1] neg_hi:[0,1]
	ds_load_2addr_b64 v[140:143], v135 offset0:44 offset1:45
	s_wait_dscnt 0x0
	v_pk_mul_f32 v[132:133], v[140:141], v[130:131] op_sel:[0,1]
	s_delay_alu instid0(VALU_DEP_1) | instskip(SKIP_2) | instid1(VALU_DEP_2)
	v_pk_fma_f32 v[144:145], v[140:141], v[128:129], v[132:133] op_sel:[0,0,1] op_sel_hi:[1,1,0] neg_lo:[0,0,1] neg_hi:[0,0,1]
	v_pk_fma_f32 v[132:133], v[140:141], v[128:129], v[132:133] op_sel:[0,0,1] op_sel_hi:[1,0,0]
	v_dual_mul_f32 v140, v143, v131 :: v_dual_mov_b32 v132, v143
	v_dual_mov_b32 v145, v133 :: v_dual_mov_b32 v133, v142
	s_delay_alu instid0(VALU_DEP_2) | instskip(SKIP_1) | instid1(VALU_DEP_3)
	v_pk_fma_f32 v[140:141], v[142:143], v[80:81], v[140:141] op_sel_hi:[1,1,0] neg_lo:[0,0,1] neg_hi:[0,0,1]
	v_mul_f32_e32 v142, v143, v128
	v_pk_add_f32 v[34:35], v[34:35], v[144:145] neg_lo:[0,1] neg_hi:[0,1]
	s_delay_alu instid0(VALU_DEP_2) | instskip(NEXT) | instid1(VALU_DEP_1)
	v_pk_fma_f32 v[132:133], v[132:133], v[80:81], v[142:143] op_sel_hi:[1,1,0]
	v_mov_b32_e32 v141, v133
	s_delay_alu instid0(VALU_DEP_1) | instskip(SKIP_3) | instid1(VALU_DEP_1)
	v_pk_add_f32 v[30:31], v[30:31], v[140:141] neg_lo:[0,1] neg_hi:[0,1]
	ds_load_2addr_b64 v[140:143], v135 offset0:46 offset1:47
	s_wait_dscnt 0x0
	v_pk_mul_f32 v[132:133], v[140:141], v[130:131] op_sel:[0,1]
	v_pk_fma_f32 v[144:145], v[140:141], v[128:129], v[132:133] op_sel:[0,0,1] op_sel_hi:[1,1,0] neg_lo:[0,0,1] neg_hi:[0,0,1]
	v_pk_fma_f32 v[132:133], v[140:141], v[128:129], v[132:133] op_sel:[0,0,1] op_sel_hi:[1,0,0]
	s_delay_alu instid0(VALU_DEP_1) | instskip(SKIP_1) | instid1(VALU_DEP_1)
	v_mov_b32_e32 v145, v133
	v_pk_mul_f32 v[132:133], v[142:143], v[130:131] op_sel:[0,1]
	v_pk_fma_f32 v[140:141], v[142:143], v[128:129], v[132:133] op_sel:[0,0,1] op_sel_hi:[1,1,0] neg_lo:[0,0,1] neg_hi:[0,0,1]
	v_pk_fma_f32 v[132:133], v[142:143], v[128:129], v[132:133] op_sel:[0,0,1] op_sel_hi:[1,0,0]
	s_delay_alu instid0(VALU_DEP_1) | instskip(SKIP_1) | instid1(VALU_DEP_2)
	v_mov_b32_e32 v141, v133
	v_pk_add_f32 v[32:33], v[32:33], v[144:145] neg_lo:[0,1] neg_hi:[0,1]
	v_pk_add_f32 v[28:29], v[28:29], v[140:141] neg_lo:[0,1] neg_hi:[0,1]
	ds_load_2addr_b64 v[140:143], v135 offset0:48 offset1:49
	s_wait_dscnt 0x0
	v_pk_mul_f32 v[132:133], v[140:141], v[130:131] op_sel:[0,1]
	s_delay_alu instid0(VALU_DEP_1) | instskip(SKIP_1) | instid1(VALU_DEP_1)
	v_pk_fma_f32 v[144:145], v[140:141], v[128:129], v[132:133] op_sel:[0,0,1] op_sel_hi:[1,1,0] neg_lo:[0,0,1] neg_hi:[0,0,1]
	v_pk_fma_f32 v[132:133], v[140:141], v[128:129], v[132:133] op_sel:[0,0,1] op_sel_hi:[1,0,0]
	v_mov_b32_e32 v145, v133
	v_pk_mul_f32 v[132:133], v[142:143], v[130:131] op_sel:[0,1]
	s_delay_alu instid0(VALU_DEP_1) | instskip(SKIP_1) | instid1(VALU_DEP_1)
	v_pk_fma_f32 v[140:141], v[142:143], v[128:129], v[132:133] op_sel:[0,0,1] op_sel_hi:[1,1,0] neg_lo:[0,0,1] neg_hi:[0,0,1]
	v_pk_fma_f32 v[132:133], v[142:143], v[128:129], v[132:133] op_sel:[0,0,1] op_sel_hi:[1,0,0]
	v_mov_b32_e32 v141, v133
	v_pk_add_f32 v[26:27], v[26:27], v[144:145] neg_lo:[0,1] neg_hi:[0,1]
	s_delay_alu instid0(VALU_DEP_2) | instskip(SKIP_3) | instid1(VALU_DEP_1)
	v_pk_add_f32 v[22:23], v[22:23], v[140:141] neg_lo:[0,1] neg_hi:[0,1]
	ds_load_2addr_b64 v[140:143], v135 offset0:50 offset1:51
	s_wait_dscnt 0x0
	v_dual_mul_f32 v132, v141, v131 :: v_dual_mul_f32 v144, v141, v128
	v_pk_fma_f32 v[132:133], v[140:141], v[80:81], v[132:133] op_sel_hi:[1,1,0] neg_lo:[0,0,1] neg_hi:[0,0,1]
	s_delay_alu instid0(VALU_DEP_2) | instskip(NEXT) | instid1(VALU_DEP_1)
	v_pk_fma_f32 v[140:141], v[140:141], v[80:81], v[144:145] op_sel:[1,0,0] op_sel_hi:[0,1,0]
	v_mov_b32_e32 v133, v141
	s_delay_alu instid0(VALU_DEP_1) | instskip(SKIP_1) | instid1(VALU_DEP_1)
	v_pk_add_f32 v[24:25], v[24:25], v[132:133] neg_lo:[0,1] neg_hi:[0,1]
	v_pk_mul_f32 v[132:133], v[142:143], v[130:131] op_sel:[0,1]
	v_pk_fma_f32 v[140:141], v[142:143], v[128:129], v[132:133] op_sel:[0,0,1] op_sel_hi:[1,1,0] neg_lo:[0,0,1] neg_hi:[0,0,1]
	v_pk_fma_f32 v[132:133], v[142:143], v[128:129], v[132:133] op_sel:[0,0,1] op_sel_hi:[1,0,0]
	s_delay_alu instid0(VALU_DEP_1) | instskip(NEXT) | instid1(VALU_DEP_1)
	v_mov_b32_e32 v141, v133
	v_pk_add_f32 v[44:45], v[44:45], v[140:141] neg_lo:[0,1] neg_hi:[0,1]
	ds_load_2addr_b64 v[140:143], v135 offset0:52 offset1:53
	s_wait_dscnt 0x0
	v_pk_mul_f32 v[132:133], v[140:141], v[130:131] op_sel:[0,1]
	s_delay_alu instid0(VALU_DEP_1) | instskip(SKIP_1) | instid1(VALU_DEP_1)
	v_pk_fma_f32 v[144:145], v[140:141], v[128:129], v[132:133] op_sel:[0,0,1] op_sel_hi:[1,1,0] neg_lo:[0,0,1] neg_hi:[0,0,1]
	v_pk_fma_f32 v[132:133], v[140:141], v[128:129], v[132:133] op_sel:[0,0,1] op_sel_hi:[1,0,0]
	v_mov_b32_e32 v145, v133
	v_pk_mul_f32 v[132:133], v[142:143], v[130:131] op_sel:[0,1]
	s_delay_alu instid0(VALU_DEP_2) | instskip(NEXT) | instid1(VALU_DEP_2)
	v_pk_add_f32 v[16:17], v[16:17], v[144:145] neg_lo:[0,1] neg_hi:[0,1]
	v_pk_fma_f32 v[140:141], v[142:143], v[128:129], v[132:133] op_sel:[0,0,1] op_sel_hi:[1,1,0] neg_lo:[0,0,1] neg_hi:[0,0,1]
	v_pk_fma_f32 v[132:133], v[142:143], v[128:129], v[132:133] op_sel:[0,0,1] op_sel_hi:[1,0,0]
	s_delay_alu instid0(VALU_DEP_1) | instskip(NEXT) | instid1(VALU_DEP_1)
	v_mov_b32_e32 v141, v133
	v_pk_add_f32 v[12:13], v[12:13], v[140:141] neg_lo:[0,1] neg_hi:[0,1]
	ds_load_2addr_b64 v[140:143], v135 offset0:54 offset1:55
	s_wait_dscnt 0x0
	v_pk_mul_f32 v[132:133], v[140:141], v[130:131] op_sel:[0,1]
	s_delay_alu instid0(VALU_DEP_1) | instskip(SKIP_2) | instid1(VALU_DEP_2)
	v_pk_fma_f32 v[144:145], v[140:141], v[128:129], v[132:133] op_sel:[0,0,1] op_sel_hi:[1,1,0] neg_lo:[0,0,1] neg_hi:[0,0,1]
	v_pk_fma_f32 v[132:133], v[140:141], v[128:129], v[132:133] op_sel:[0,0,1] op_sel_hi:[1,0,0]
	v_dual_mul_f32 v140, v143, v131 :: v_dual_mov_b32 v132, v143
	v_dual_mov_b32 v145, v133 :: v_dual_mov_b32 v133, v142
	s_delay_alu instid0(VALU_DEP_2) | instskip(SKIP_1) | instid1(VALU_DEP_3)
	v_pk_fma_f32 v[140:141], v[142:143], v[80:81], v[140:141] op_sel_hi:[1,1,0] neg_lo:[0,0,1] neg_hi:[0,0,1]
	v_mul_f32_e32 v142, v143, v128
	v_pk_add_f32 v[14:15], v[14:15], v[144:145] neg_lo:[0,1] neg_hi:[0,1]
	s_delay_alu instid0(VALU_DEP_2) | instskip(NEXT) | instid1(VALU_DEP_1)
	v_pk_fma_f32 v[132:133], v[132:133], v[80:81], v[142:143] op_sel_hi:[1,1,0]
	v_mov_b32_e32 v141, v133
	s_delay_alu instid0(VALU_DEP_1) | instskip(SKIP_3) | instid1(VALU_DEP_1)
	v_pk_add_f32 v[10:11], v[10:11], v[140:141] neg_lo:[0,1] neg_hi:[0,1]
	ds_load_2addr_b64 v[140:143], v135 offset0:56 offset1:57
	s_wait_dscnt 0x0
	v_pk_mul_f32 v[132:133], v[140:141], v[130:131] op_sel:[0,1]
	v_pk_fma_f32 v[144:145], v[140:141], v[128:129], v[132:133] op_sel:[0,0,1] op_sel_hi:[1,1,0] neg_lo:[0,0,1] neg_hi:[0,0,1]
	v_pk_fma_f32 v[132:133], v[140:141], v[128:129], v[132:133] op_sel:[0,0,1] op_sel_hi:[1,0,0]
	s_delay_alu instid0(VALU_DEP_1) | instskip(SKIP_1) | instid1(VALU_DEP_1)
	v_mov_b32_e32 v145, v133
	v_pk_mul_f32 v[132:133], v[142:143], v[130:131] op_sel:[0,1]
	v_pk_fma_f32 v[140:141], v[142:143], v[128:129], v[132:133] op_sel:[0,0,1] op_sel_hi:[1,1,0] neg_lo:[0,0,1] neg_hi:[0,0,1]
	v_pk_fma_f32 v[132:133], v[142:143], v[128:129], v[132:133] op_sel:[0,0,1] op_sel_hi:[1,0,0]
	s_delay_alu instid0(VALU_DEP_1) | instskip(SKIP_1) | instid1(VALU_DEP_2)
	v_mov_b32_e32 v141, v133
	v_pk_add_f32 v[6:7], v[6:7], v[144:145] neg_lo:[0,1] neg_hi:[0,1]
	v_pk_add_f32 v[20:21], v[20:21], v[140:141] neg_lo:[0,1] neg_hi:[0,1]
	ds_load_2addr_b64 v[140:143], v135 offset0:58 offset1:59
	s_wait_dscnt 0x0
	v_pk_mul_f32 v[132:133], v[140:141], v[130:131] op_sel:[0,1]
	s_delay_alu instid0(VALU_DEP_1) | instskip(SKIP_1) | instid1(VALU_DEP_1)
	v_pk_fma_f32 v[144:145], v[140:141], v[128:129], v[132:133] op_sel:[0,0,1] op_sel_hi:[1,1,0] neg_lo:[0,0,1] neg_hi:[0,0,1]
	v_pk_fma_f32 v[132:133], v[140:141], v[128:129], v[132:133] op_sel:[0,0,1] op_sel_hi:[1,0,0]
	v_mov_b32_e32 v145, v133
	v_pk_mul_f32 v[132:133], v[142:143], v[130:131] op_sel:[0,1]
	s_delay_alu instid0(VALU_DEP_1) | instskip(SKIP_1) | instid1(VALU_DEP_1)
	v_pk_fma_f32 v[140:141], v[142:143], v[128:129], v[132:133] op_sel:[0,0,1] op_sel_hi:[1,1,0] neg_lo:[0,0,1] neg_hi:[0,0,1]
	v_pk_fma_f32 v[132:133], v[142:143], v[128:129], v[132:133] op_sel:[0,0,1] op_sel_hi:[1,0,0]
	v_mov_b32_e32 v141, v133
	ds_load_b64 v[132:133], v135 offset:480
	v_pk_add_f32 v[18:19], v[18:19], v[144:145] neg_lo:[0,1] neg_hi:[0,1]
	v_pk_add_f32 v[8:9], v[8:9], v[140:141] neg_lo:[0,1] neg_hi:[0,1]
	s_wait_dscnt 0x0
	v_pk_mul_f32 v[130:131], v[132:133], v[130:131] op_sel:[0,1]
	s_delay_alu instid0(VALU_DEP_1) | instskip(SKIP_1) | instid1(VALU_DEP_1)
	v_pk_fma_f32 v[140:141], v[132:133], v[128:129], v[130:131] op_sel:[0,0,1] op_sel_hi:[1,1,0] neg_lo:[0,0,1] neg_hi:[0,0,1]
	v_pk_fma_f32 v[128:129], v[132:133], v[128:129], v[130:131] op_sel:[0,0,1] op_sel_hi:[1,0,0]
	v_mov_b32_e32 v141, v129
	s_delay_alu instid0(VALU_DEP_1)
	v_pk_add_f32 v[126:127], v[126:127], v[140:141] neg_lo:[0,1] neg_hi:[0,1]
.LBB120_461:
	s_or_b32 exec_lo, exec_lo, s0
	v_lshl_add_u32 v128, v138, 3, v135
	s_barrier_signal -1
	s_barrier_wait -1
	ds_store_b64 v128, v[82:83]
	s_wait_dscnt 0x0
	s_barrier_signal -1
	s_barrier_wait -1
	ds_load_b64 v[130:131], v135 offset:176
	v_mov_b32_e32 v128, 22
	s_cmp_lt_i32 s18, 24
	s_cbranch_scc1 .LBB120_464
; %bb.462:
	v_add3_u32 v129, v136, 0, 0xb8
	v_mov_b32_e32 v128, 22
	s_mov_b32 s0, 23
.LBB120_463:                            ; =>This Inner Loop Header: Depth=1
	ds_load_b64 v[132:133], v129
	s_wait_dscnt 0x1
	v_cmp_gt_f32_e32 vcc_lo, 0, v130
	v_cndmask_b32_e64 v140, v130, -v130, vcc_lo
	v_cmp_gt_f32_e32 vcc_lo, 0, v131
	v_cndmask_b32_e64 v142, v131, -v131, vcc_lo
	s_wait_dscnt 0x0
	v_cmp_gt_f32_e32 vcc_lo, 0, v132
	v_cndmask_b32_e64 v141, v132, -v132, vcc_lo
	v_cmp_gt_f32_e32 vcc_lo, 0, v133
	v_cndmask_b32_e64 v143, v133, -v133, vcc_lo
	s_delay_alu instid0(VALU_DEP_1) | instskip(NEXT) | instid1(VALU_DEP_1)
	v_pk_add_f32 v[140:141], v[140:141], v[142:143]
	v_cmp_lt_f32_e32 vcc_lo, v140, v141
	v_dual_cndmask_b32 v130, v130, v132 :: v_dual_add_nc_u32 v129, 8, v129
	v_cndmask_b32_e32 v131, v131, v133, vcc_lo
	v_cndmask_b32_e64 v128, v128, s0, vcc_lo
	s_add_co_i32 s0, s0, 1
	s_delay_alu instid0(SALU_CYCLE_1)
	s_cmp_lg_u32 s18, s0
	s_cbranch_scc1 .LBB120_463
.LBB120_464:
	s_wait_dscnt 0x0
	v_cmp_eq_f32_e32 vcc_lo, 0, v130
	v_cmp_eq_f32_e64 s0, 0, v131
	s_and_b32 s0, vcc_lo, s0
	s_delay_alu instid0(SALU_CYCLE_1) | instskip(NEXT) | instid1(SALU_CYCLE_1)
	s_and_saveexec_b32 s1, s0
	s_xor_b32 s0, exec_lo, s1
; %bb.465:
	v_cmp_ne_u32_e32 vcc_lo, 0, v134
	v_cndmask_b32_e32 v134, 23, v134, vcc_lo
; %bb.466:
	s_and_not1_saveexec_b32 s0, s0
	s_cbranch_execz .LBB120_472
; %bb.467:
	v_cmp_ngt_f32_e64 s1, |v130|, |v131|
	s_and_saveexec_b32 s12, s1
	s_delay_alu instid0(SALU_CYCLE_1)
	s_xor_b32 s1, exec_lo, s12
	s_cbranch_execz .LBB120_469
; %bb.468:
	v_div_scale_f32 v129, null, v131, v131, v130
	v_div_scale_f32 v139, vcc_lo, v130, v131, v130
	s_delay_alu instid0(VALU_DEP_2) | instskip(SKIP_1) | instid1(TRANS32_DEP_1)
	v_rcp_f32_e32 v132, v129
	v_nop
	v_fma_f32 v133, -v129, v132, 1.0
	s_delay_alu instid0(VALU_DEP_1) | instskip(NEXT) | instid1(VALU_DEP_1)
	v_fmac_f32_e32 v132, v133, v132
	v_mul_f32_e32 v133, v139, v132
	s_delay_alu instid0(VALU_DEP_1) | instskip(NEXT) | instid1(VALU_DEP_1)
	v_fma_f32 v140, -v129, v133, v139
	v_fmac_f32_e32 v133, v140, v132
	s_delay_alu instid0(VALU_DEP_1) | instskip(NEXT) | instid1(VALU_DEP_1)
	v_fma_f32 v129, -v129, v133, v139
	v_div_fmas_f32 v129, v129, v132, v133
	s_delay_alu instid0(VALU_DEP_1) | instskip(NEXT) | instid1(VALU_DEP_1)
	v_div_fixup_f32 v129, v129, v131, v130
	v_fmac_f32_e32 v131, v130, v129
	s_delay_alu instid0(VALU_DEP_1) | instskip(SKIP_1) | instid1(VALU_DEP_2)
	v_div_scale_f32 v130, null, v131, v131, 1.0
	v_div_scale_f32 v139, vcc_lo, 1.0, v131, 1.0
	v_rcp_f32_e32 v132, v130
	v_nop
	s_delay_alu instid0(TRANS32_DEP_1) | instskip(NEXT) | instid1(VALU_DEP_1)
	v_fma_f32 v133, -v130, v132, 1.0
	v_fmac_f32_e32 v132, v133, v132
	s_delay_alu instid0(VALU_DEP_1) | instskip(NEXT) | instid1(VALU_DEP_1)
	v_mul_f32_e32 v133, v139, v132
	v_fma_f32 v140, -v130, v133, v139
	s_delay_alu instid0(VALU_DEP_1) | instskip(NEXT) | instid1(VALU_DEP_1)
	v_fmac_f32_e32 v133, v140, v132
	v_fma_f32 v130, -v130, v133, v139
	s_delay_alu instid0(VALU_DEP_1) | instskip(NEXT) | instid1(VALU_DEP_1)
	v_div_fmas_f32 v130, v130, v132, v133
	v_div_fixup_f32 v131, v130, v131, 1.0
	s_delay_alu instid0(VALU_DEP_1)
	v_mul_f32_e32 v130, v129, v131
	v_xor_b32_e32 v131, 0x80000000, v131
.LBB120_469:
	s_and_not1_saveexec_b32 s1, s1
	s_cbranch_execz .LBB120_471
; %bb.470:
	s_delay_alu instid0(VALU_DEP_1) | instskip(SKIP_1) | instid1(VALU_DEP_2)
	v_div_scale_f32 v129, null, v130, v130, v131
	v_div_scale_f32 v139, vcc_lo, v131, v130, v131
	v_rcp_f32_e32 v132, v129
	v_nop
	s_delay_alu instid0(TRANS32_DEP_1) | instskip(NEXT) | instid1(VALU_DEP_1)
	v_fma_f32 v133, -v129, v132, 1.0
	v_fmac_f32_e32 v132, v133, v132
	s_delay_alu instid0(VALU_DEP_1) | instskip(NEXT) | instid1(VALU_DEP_1)
	v_mul_f32_e32 v133, v139, v132
	v_fma_f32 v140, -v129, v133, v139
	s_delay_alu instid0(VALU_DEP_1) | instskip(NEXT) | instid1(VALU_DEP_1)
	v_fmac_f32_e32 v133, v140, v132
	v_fma_f32 v129, -v129, v133, v139
	s_delay_alu instid0(VALU_DEP_1) | instskip(NEXT) | instid1(VALU_DEP_1)
	v_div_fmas_f32 v129, v129, v132, v133
	v_div_fixup_f32 v129, v129, v130, v131
	s_delay_alu instid0(VALU_DEP_1) | instskip(NEXT) | instid1(VALU_DEP_1)
	v_fmac_f32_e32 v130, v131, v129
	v_div_scale_f32 v131, null, v130, v130, 1.0
	s_delay_alu instid0(VALU_DEP_1) | instskip(SKIP_1) | instid1(TRANS32_DEP_1)
	v_rcp_f32_e32 v132, v131
	v_nop
	v_fma_f32 v133, -v131, v132, 1.0
	s_delay_alu instid0(VALU_DEP_1) | instskip(SKIP_1) | instid1(VALU_DEP_1)
	v_fmac_f32_e32 v132, v133, v132
	v_div_scale_f32 v133, vcc_lo, 1.0, v130, 1.0
	v_mul_f32_e32 v139, v133, v132
	s_delay_alu instid0(VALU_DEP_1) | instskip(NEXT) | instid1(VALU_DEP_1)
	v_fma_f32 v140, -v131, v139, v133
	v_fmac_f32_e32 v139, v140, v132
	s_delay_alu instid0(VALU_DEP_1) | instskip(NEXT) | instid1(VALU_DEP_1)
	v_fma_f32 v131, -v131, v139, v133
	v_div_fmas_f32 v131, v131, v132, v139
	s_delay_alu instid0(VALU_DEP_1) | instskip(NEXT) | instid1(VALU_DEP_1)
	v_div_fixup_f32 v130, v131, v130, 1.0
	v_mul_f32_e64 v131, v129, -v130
.LBB120_471:
	s_or_b32 exec_lo, exec_lo, s1
.LBB120_472:
	s_delay_alu instid0(SALU_CYCLE_1) | instskip(NEXT) | instid1(SALU_CYCLE_1)
	s_or_b32 exec_lo, exec_lo, s0
	s_mov_b32 s0, exec_lo
	v_cmpx_ne_u32_e64 v138, v128
	s_xor_b32 s0, exec_lo, s0
	s_cbranch_execz .LBB120_478
; %bb.473:
	s_mov_b32 s1, exec_lo
	v_cmpx_eq_u32_e32 22, v138
	s_cbranch_execz .LBB120_477
; %bb.474:
	v_cmp_ne_u32_e32 vcc_lo, 22, v128
	s_xor_b32 s12, s16, -1
	s_delay_alu instid0(SALU_CYCLE_1) | instskip(NEXT) | instid1(SALU_CYCLE_1)
	s_and_b32 s13, s12, vcc_lo
	s_and_saveexec_b32 s12, s13
	s_cbranch_execz .LBB120_476
; %bb.475:
	v_ashrrev_i32_e32 v129, 31, v128
	s_delay_alu instid0(VALU_DEP_1)
	v_lshl_add_u64 v[132:133], v[128:129], 2, v[4:5]
	s_clause 0x1
	global_load_b32 v129, v[132:133], off
	global_load_b32 v137, v[4:5], off offset:88
	s_wait_loadcnt 0x1
	global_store_b32 v[4:5], v129, off offset:88
	s_wait_loadcnt 0x0
	global_store_b32 v[132:133], v137, off
.LBB120_476:
	s_wait_xcnt 0x0
	s_or_b32 exec_lo, exec_lo, s12
	v_dual_mov_b32 v138, v128 :: v_dual_mov_b32 v137, v128
.LBB120_477:
	s_or_b32 exec_lo, exec_lo, s1
.LBB120_478:
	s_and_not1_saveexec_b32 s0, s0
	s_cbranch_execz .LBB120_480
; %bb.479:
	v_mov_b32_e32 v138, 22
	ds_store_2addr_b64 v135, v[78:79], v[76:77] offset0:23 offset1:24
	ds_store_2addr_b64 v135, v[72:73], v[74:75] offset0:25 offset1:26
	;; [unrolled: 1-line block ×19, first 2 shown]
.LBB120_480:
	s_or_b32 exec_lo, exec_lo, s0
	s_delay_alu instid0(SALU_CYCLE_1)
	s_mov_b32 s0, exec_lo
	s_wait_storecnt_dscnt 0x0
	s_barrier_signal -1
	s_barrier_wait -1
	v_cmpx_lt_i32_e32 22, v138
	s_cbranch_execz .LBB120_482
; %bb.481:
	ds_load_2addr_b64 v[140:143], v135 offset0:23 offset1:24
	v_pk_mul_f32 v[132:133], v[130:131], v[82:83] op_sel:[1,1] op_sel_hi:[0,1]
	s_delay_alu instid0(VALU_DEP_1) | instskip(SKIP_1) | instid1(VALU_DEP_1)
	v_pk_fma_f32 v[128:129], v[130:131], v[82:83], v[132:133] op_sel_hi:[1,0,1] neg_lo:[0,0,1] neg_hi:[0,0,1]
	v_pk_fma_f32 v[130:131], v[130:131], v[82:83], v[132:133] op_sel_hi:[1,0,1]
	v_dual_mov_b32 v82, v128 :: v_dual_mov_b32 v83, v131
	s_wait_dscnt 0x0
	s_delay_alu instid0(VALU_DEP_2) | instskip(NEXT) | instid1(VALU_DEP_1)
	v_pk_mul_f32 v[132:133], v[140:141], v[130:131] op_sel:[0,1]
	v_pk_fma_f32 v[144:145], v[140:141], v[128:129], v[132:133] op_sel:[0,0,1] op_sel_hi:[1,1,0] neg_lo:[0,0,1] neg_hi:[0,0,1]
	v_pk_fma_f32 v[132:133], v[140:141], v[128:129], v[132:133] op_sel:[0,0,1] op_sel_hi:[1,0,0]
	s_delay_alu instid0(VALU_DEP_1) | instskip(SKIP_1) | instid1(VALU_DEP_1)
	v_mov_b32_e32 v145, v133
	v_pk_mul_f32 v[132:133], v[142:143], v[130:131] op_sel:[0,1]
	v_pk_fma_f32 v[140:141], v[142:143], v[128:129], v[132:133] op_sel:[0,0,1] op_sel_hi:[1,1,0] neg_lo:[0,0,1] neg_hi:[0,0,1]
	v_pk_fma_f32 v[132:133], v[142:143], v[128:129], v[132:133] op_sel:[0,0,1] op_sel_hi:[1,0,0]
	s_delay_alu instid0(VALU_DEP_1) | instskip(SKIP_1) | instid1(VALU_DEP_2)
	v_mov_b32_e32 v141, v133
	v_pk_add_f32 v[78:79], v[78:79], v[144:145] neg_lo:[0,1] neg_hi:[0,1]
	v_pk_add_f32 v[76:77], v[76:77], v[140:141] neg_lo:[0,1] neg_hi:[0,1]
	ds_load_2addr_b64 v[140:143], v135 offset0:25 offset1:26
	s_wait_dscnt 0x0
	v_pk_mul_f32 v[132:133], v[140:141], v[130:131] op_sel:[0,1]
	s_delay_alu instid0(VALU_DEP_1) | instskip(SKIP_2) | instid1(VALU_DEP_2)
	v_pk_fma_f32 v[144:145], v[140:141], v[128:129], v[132:133] op_sel:[0,0,1] op_sel_hi:[1,1,0] neg_lo:[0,0,1] neg_hi:[0,0,1]
	v_pk_fma_f32 v[132:133], v[140:141], v[128:129], v[132:133] op_sel:[0,0,1] op_sel_hi:[1,0,0]
	v_dual_mul_f32 v140, v143, v131 :: v_dual_mov_b32 v132, v143
	v_dual_mov_b32 v145, v133 :: v_dual_mov_b32 v133, v142
	s_delay_alu instid0(VALU_DEP_2) | instskip(SKIP_1) | instid1(VALU_DEP_3)
	v_pk_fma_f32 v[140:141], v[142:143], v[82:83], v[140:141] op_sel_hi:[1,1,0] neg_lo:[0,0,1] neg_hi:[0,0,1]
	v_mul_f32_e32 v142, v143, v128
	v_pk_add_f32 v[72:73], v[72:73], v[144:145] neg_lo:[0,1] neg_hi:[0,1]
	s_delay_alu instid0(VALU_DEP_2) | instskip(NEXT) | instid1(VALU_DEP_1)
	v_pk_fma_f32 v[132:133], v[132:133], v[82:83], v[142:143] op_sel_hi:[1,1,0]
	v_mov_b32_e32 v141, v133
	s_delay_alu instid0(VALU_DEP_1) | instskip(SKIP_3) | instid1(VALU_DEP_1)
	v_pk_add_f32 v[74:75], v[74:75], v[140:141] neg_lo:[0,1] neg_hi:[0,1]
	ds_load_2addr_b64 v[140:143], v135 offset0:27 offset1:28
	s_wait_dscnt 0x0
	v_pk_mul_f32 v[132:133], v[140:141], v[130:131] op_sel:[0,1]
	v_pk_fma_f32 v[144:145], v[140:141], v[128:129], v[132:133] op_sel:[0,0,1] op_sel_hi:[1,1,0] neg_lo:[0,0,1] neg_hi:[0,0,1]
	v_pk_fma_f32 v[132:133], v[140:141], v[128:129], v[132:133] op_sel:[0,0,1] op_sel_hi:[1,0,0]
	s_delay_alu instid0(VALU_DEP_1) | instskip(SKIP_1) | instid1(VALU_DEP_1)
	v_mov_b32_e32 v145, v133
	v_pk_mul_f32 v[132:133], v[142:143], v[130:131] op_sel:[0,1]
	v_pk_fma_f32 v[140:141], v[142:143], v[128:129], v[132:133] op_sel:[0,0,1] op_sel_hi:[1,1,0] neg_lo:[0,0,1] neg_hi:[0,0,1]
	v_pk_fma_f32 v[132:133], v[142:143], v[128:129], v[132:133] op_sel:[0,0,1] op_sel_hi:[1,0,0]
	s_delay_alu instid0(VALU_DEP_1) | instskip(SKIP_1) | instid1(VALU_DEP_2)
	v_mov_b32_e32 v141, v133
	v_pk_add_f32 v[70:71], v[70:71], v[144:145] neg_lo:[0,1] neg_hi:[0,1]
	v_pk_add_f32 v[68:69], v[68:69], v[140:141] neg_lo:[0,1] neg_hi:[0,1]
	ds_load_2addr_b64 v[140:143], v135 offset0:29 offset1:30
	s_wait_dscnt 0x0
	v_pk_mul_f32 v[132:133], v[140:141], v[130:131] op_sel:[0,1]
	s_delay_alu instid0(VALU_DEP_1) | instskip(SKIP_1) | instid1(VALU_DEP_1)
	v_pk_fma_f32 v[144:145], v[140:141], v[128:129], v[132:133] op_sel:[0,0,1] op_sel_hi:[1,1,0] neg_lo:[0,0,1] neg_hi:[0,0,1]
	v_pk_fma_f32 v[132:133], v[140:141], v[128:129], v[132:133] op_sel:[0,0,1] op_sel_hi:[1,0,0]
	v_mov_b32_e32 v145, v133
	v_pk_mul_f32 v[132:133], v[142:143], v[130:131] op_sel:[0,1]
	s_delay_alu instid0(VALU_DEP_1) | instskip(SKIP_1) | instid1(VALU_DEP_1)
	v_pk_fma_f32 v[140:141], v[142:143], v[128:129], v[132:133] op_sel:[0,0,1] op_sel_hi:[1,1,0] neg_lo:[0,0,1] neg_hi:[0,0,1]
	v_pk_fma_f32 v[132:133], v[142:143], v[128:129], v[132:133] op_sel:[0,0,1] op_sel_hi:[1,0,0]
	v_mov_b32_e32 v141, v133
	v_pk_add_f32 v[64:65], v[64:65], v[144:145] neg_lo:[0,1] neg_hi:[0,1]
	s_delay_alu instid0(VALU_DEP_2) | instskip(SKIP_3) | instid1(VALU_DEP_1)
	v_pk_add_f32 v[66:67], v[66:67], v[140:141] neg_lo:[0,1] neg_hi:[0,1]
	ds_load_2addr_b64 v[140:143], v135 offset0:31 offset1:32
	s_wait_dscnt 0x0
	v_dual_mul_f32 v132, v141, v131 :: v_dual_mul_f32 v144, v141, v128
	v_pk_fma_f32 v[132:133], v[140:141], v[82:83], v[132:133] op_sel_hi:[1,1,0] neg_lo:[0,0,1] neg_hi:[0,0,1]
	s_delay_alu instid0(VALU_DEP_2) | instskip(NEXT) | instid1(VALU_DEP_1)
	v_pk_fma_f32 v[140:141], v[140:141], v[82:83], v[144:145] op_sel:[1,0,0] op_sel_hi:[0,1,0]
	v_mov_b32_e32 v133, v141
	s_delay_alu instid0(VALU_DEP_1) | instskip(SKIP_1) | instid1(VALU_DEP_1)
	v_pk_add_f32 v[62:63], v[62:63], v[132:133] neg_lo:[0,1] neg_hi:[0,1]
	v_pk_mul_f32 v[132:133], v[142:143], v[130:131] op_sel:[0,1]
	v_pk_fma_f32 v[140:141], v[142:143], v[128:129], v[132:133] op_sel:[0,0,1] op_sel_hi:[1,1,0] neg_lo:[0,0,1] neg_hi:[0,0,1]
	v_pk_fma_f32 v[132:133], v[142:143], v[128:129], v[132:133] op_sel:[0,0,1] op_sel_hi:[1,0,0]
	s_delay_alu instid0(VALU_DEP_1) | instskip(NEXT) | instid1(VALU_DEP_1)
	v_mov_b32_e32 v141, v133
	v_pk_add_f32 v[60:61], v[60:61], v[140:141] neg_lo:[0,1] neg_hi:[0,1]
	ds_load_2addr_b64 v[140:143], v135 offset0:33 offset1:34
	s_wait_dscnt 0x0
	v_pk_mul_f32 v[132:133], v[140:141], v[130:131] op_sel:[0,1]
	s_delay_alu instid0(VALU_DEP_1) | instskip(SKIP_1) | instid1(VALU_DEP_1)
	v_pk_fma_f32 v[144:145], v[140:141], v[128:129], v[132:133] op_sel:[0,0,1] op_sel_hi:[1,1,0] neg_lo:[0,0,1] neg_hi:[0,0,1]
	v_pk_fma_f32 v[132:133], v[140:141], v[128:129], v[132:133] op_sel:[0,0,1] op_sel_hi:[1,0,0]
	v_mov_b32_e32 v145, v133
	v_pk_mul_f32 v[132:133], v[142:143], v[130:131] op_sel:[0,1]
	s_delay_alu instid0(VALU_DEP_2) | instskip(NEXT) | instid1(VALU_DEP_2)
	v_pk_add_f32 v[56:57], v[56:57], v[144:145] neg_lo:[0,1] neg_hi:[0,1]
	v_pk_fma_f32 v[140:141], v[142:143], v[128:129], v[132:133] op_sel:[0,0,1] op_sel_hi:[1,1,0] neg_lo:[0,0,1] neg_hi:[0,0,1]
	v_pk_fma_f32 v[132:133], v[142:143], v[128:129], v[132:133] op_sel:[0,0,1] op_sel_hi:[1,0,0]
	s_delay_alu instid0(VALU_DEP_1) | instskip(NEXT) | instid1(VALU_DEP_1)
	v_mov_b32_e32 v141, v133
	v_pk_add_f32 v[58:59], v[58:59], v[140:141] neg_lo:[0,1] neg_hi:[0,1]
	ds_load_2addr_b64 v[140:143], v135 offset0:35 offset1:36
	s_wait_dscnt 0x0
	v_pk_mul_f32 v[132:133], v[140:141], v[130:131] op_sel:[0,1]
	s_delay_alu instid0(VALU_DEP_1) | instskip(SKIP_2) | instid1(VALU_DEP_2)
	v_pk_fma_f32 v[144:145], v[140:141], v[128:129], v[132:133] op_sel:[0,0,1] op_sel_hi:[1,1,0] neg_lo:[0,0,1] neg_hi:[0,0,1]
	v_pk_fma_f32 v[132:133], v[140:141], v[128:129], v[132:133] op_sel:[0,0,1] op_sel_hi:[1,0,0]
	v_dual_mul_f32 v140, v143, v131 :: v_dual_mov_b32 v132, v143
	v_dual_mov_b32 v145, v133 :: v_dual_mov_b32 v133, v142
	s_delay_alu instid0(VALU_DEP_2) | instskip(SKIP_1) | instid1(VALU_DEP_3)
	v_pk_fma_f32 v[140:141], v[142:143], v[82:83], v[140:141] op_sel_hi:[1,1,0] neg_lo:[0,0,1] neg_hi:[0,0,1]
	v_mul_f32_e32 v142, v143, v128
	v_pk_add_f32 v[54:55], v[54:55], v[144:145] neg_lo:[0,1] neg_hi:[0,1]
	s_delay_alu instid0(VALU_DEP_2) | instskip(NEXT) | instid1(VALU_DEP_1)
	v_pk_fma_f32 v[132:133], v[132:133], v[82:83], v[142:143] op_sel_hi:[1,1,0]
	v_mov_b32_e32 v141, v133
	s_delay_alu instid0(VALU_DEP_1) | instskip(SKIP_3) | instid1(VALU_DEP_1)
	v_pk_add_f32 v[52:53], v[52:53], v[140:141] neg_lo:[0,1] neg_hi:[0,1]
	ds_load_2addr_b64 v[140:143], v135 offset0:37 offset1:38
	s_wait_dscnt 0x0
	v_pk_mul_f32 v[132:133], v[140:141], v[130:131] op_sel:[0,1]
	v_pk_fma_f32 v[144:145], v[140:141], v[128:129], v[132:133] op_sel:[0,0,1] op_sel_hi:[1,1,0] neg_lo:[0,0,1] neg_hi:[0,0,1]
	v_pk_fma_f32 v[132:133], v[140:141], v[128:129], v[132:133] op_sel:[0,0,1] op_sel_hi:[1,0,0]
	s_delay_alu instid0(VALU_DEP_1) | instskip(SKIP_1) | instid1(VALU_DEP_1)
	v_mov_b32_e32 v145, v133
	v_pk_mul_f32 v[132:133], v[142:143], v[130:131] op_sel:[0,1]
	v_pk_fma_f32 v[140:141], v[142:143], v[128:129], v[132:133] op_sel:[0,0,1] op_sel_hi:[1,1,0] neg_lo:[0,0,1] neg_hi:[0,0,1]
	v_pk_fma_f32 v[132:133], v[142:143], v[128:129], v[132:133] op_sel:[0,0,1] op_sel_hi:[1,0,0]
	s_delay_alu instid0(VALU_DEP_1) | instskip(SKIP_1) | instid1(VALU_DEP_2)
	v_mov_b32_e32 v141, v133
	v_pk_add_f32 v[48:49], v[48:49], v[144:145] neg_lo:[0,1] neg_hi:[0,1]
	v_pk_add_f32 v[50:51], v[50:51], v[140:141] neg_lo:[0,1] neg_hi:[0,1]
	ds_load_2addr_b64 v[140:143], v135 offset0:39 offset1:40
	s_wait_dscnt 0x0
	v_pk_mul_f32 v[132:133], v[140:141], v[130:131] op_sel:[0,1]
	s_delay_alu instid0(VALU_DEP_1) | instskip(SKIP_1) | instid1(VALU_DEP_1)
	v_pk_fma_f32 v[144:145], v[140:141], v[128:129], v[132:133] op_sel:[0,0,1] op_sel_hi:[1,1,0] neg_lo:[0,0,1] neg_hi:[0,0,1]
	v_pk_fma_f32 v[132:133], v[140:141], v[128:129], v[132:133] op_sel:[0,0,1] op_sel_hi:[1,0,0]
	v_mov_b32_e32 v145, v133
	v_pk_mul_f32 v[132:133], v[142:143], v[130:131] op_sel:[0,1]
	s_delay_alu instid0(VALU_DEP_1) | instskip(SKIP_1) | instid1(VALU_DEP_1)
	v_pk_fma_f32 v[140:141], v[142:143], v[128:129], v[132:133] op_sel:[0,0,1] op_sel_hi:[1,1,0] neg_lo:[0,0,1] neg_hi:[0,0,1]
	v_pk_fma_f32 v[132:133], v[142:143], v[128:129], v[132:133] op_sel:[0,0,1] op_sel_hi:[1,0,0]
	v_mov_b32_e32 v141, v133
	v_pk_add_f32 v[46:47], v[46:47], v[144:145] neg_lo:[0,1] neg_hi:[0,1]
	s_delay_alu instid0(VALU_DEP_2) | instskip(SKIP_3) | instid1(VALU_DEP_1)
	v_pk_add_f32 v[42:43], v[42:43], v[140:141] neg_lo:[0,1] neg_hi:[0,1]
	ds_load_2addr_b64 v[140:143], v135 offset0:41 offset1:42
	s_wait_dscnt 0x0
	v_dual_mul_f32 v132, v141, v131 :: v_dual_mul_f32 v144, v141, v128
	v_pk_fma_f32 v[132:133], v[140:141], v[82:83], v[132:133] op_sel_hi:[1,1,0] neg_lo:[0,0,1] neg_hi:[0,0,1]
	s_delay_alu instid0(VALU_DEP_2) | instskip(NEXT) | instid1(VALU_DEP_1)
	v_pk_fma_f32 v[140:141], v[140:141], v[82:83], v[144:145] op_sel:[1,0,0] op_sel_hi:[0,1,0]
	v_mov_b32_e32 v133, v141
	s_delay_alu instid0(VALU_DEP_1) | instskip(SKIP_1) | instid1(VALU_DEP_1)
	v_pk_add_f32 v[38:39], v[38:39], v[132:133] neg_lo:[0,1] neg_hi:[0,1]
	v_pk_mul_f32 v[132:133], v[142:143], v[130:131] op_sel:[0,1]
	v_pk_fma_f32 v[140:141], v[142:143], v[128:129], v[132:133] op_sel:[0,0,1] op_sel_hi:[1,1,0] neg_lo:[0,0,1] neg_hi:[0,0,1]
	v_pk_fma_f32 v[132:133], v[142:143], v[128:129], v[132:133] op_sel:[0,0,1] op_sel_hi:[1,0,0]
	s_delay_alu instid0(VALU_DEP_1) | instskip(NEXT) | instid1(VALU_DEP_1)
	v_mov_b32_e32 v141, v133
	v_pk_add_f32 v[40:41], v[40:41], v[140:141] neg_lo:[0,1] neg_hi:[0,1]
	ds_load_2addr_b64 v[140:143], v135 offset0:43 offset1:44
	s_wait_dscnt 0x0
	v_pk_mul_f32 v[132:133], v[140:141], v[130:131] op_sel:[0,1]
	s_delay_alu instid0(VALU_DEP_1) | instskip(SKIP_1) | instid1(VALU_DEP_1)
	v_pk_fma_f32 v[144:145], v[140:141], v[128:129], v[132:133] op_sel:[0,0,1] op_sel_hi:[1,1,0] neg_lo:[0,0,1] neg_hi:[0,0,1]
	v_pk_fma_f32 v[132:133], v[140:141], v[128:129], v[132:133] op_sel:[0,0,1] op_sel_hi:[1,0,0]
	v_mov_b32_e32 v145, v133
	v_pk_mul_f32 v[132:133], v[142:143], v[130:131] op_sel:[0,1]
	s_delay_alu instid0(VALU_DEP_2) | instskip(NEXT) | instid1(VALU_DEP_2)
	v_pk_add_f32 v[36:37], v[36:37], v[144:145] neg_lo:[0,1] neg_hi:[0,1]
	v_pk_fma_f32 v[140:141], v[142:143], v[128:129], v[132:133] op_sel:[0,0,1] op_sel_hi:[1,1,0] neg_lo:[0,0,1] neg_hi:[0,0,1]
	v_pk_fma_f32 v[132:133], v[142:143], v[128:129], v[132:133] op_sel:[0,0,1] op_sel_hi:[1,0,0]
	s_delay_alu instid0(VALU_DEP_1) | instskip(NEXT) | instid1(VALU_DEP_1)
	v_mov_b32_e32 v141, v133
	v_pk_add_f32 v[34:35], v[34:35], v[140:141] neg_lo:[0,1] neg_hi:[0,1]
	ds_load_2addr_b64 v[140:143], v135 offset0:45 offset1:46
	s_wait_dscnt 0x0
	v_pk_mul_f32 v[132:133], v[140:141], v[130:131] op_sel:[0,1]
	s_delay_alu instid0(VALU_DEP_1) | instskip(SKIP_2) | instid1(VALU_DEP_2)
	v_pk_fma_f32 v[144:145], v[140:141], v[128:129], v[132:133] op_sel:[0,0,1] op_sel_hi:[1,1,0] neg_lo:[0,0,1] neg_hi:[0,0,1]
	v_pk_fma_f32 v[132:133], v[140:141], v[128:129], v[132:133] op_sel:[0,0,1] op_sel_hi:[1,0,0]
	v_dual_mul_f32 v140, v143, v131 :: v_dual_mov_b32 v132, v143
	v_dual_mov_b32 v145, v133 :: v_dual_mov_b32 v133, v142
	s_delay_alu instid0(VALU_DEP_2) | instskip(SKIP_1) | instid1(VALU_DEP_3)
	v_pk_fma_f32 v[140:141], v[142:143], v[82:83], v[140:141] op_sel_hi:[1,1,0] neg_lo:[0,0,1] neg_hi:[0,0,1]
	v_mul_f32_e32 v142, v143, v128
	v_pk_add_f32 v[30:31], v[30:31], v[144:145] neg_lo:[0,1] neg_hi:[0,1]
	s_delay_alu instid0(VALU_DEP_2) | instskip(NEXT) | instid1(VALU_DEP_1)
	v_pk_fma_f32 v[132:133], v[132:133], v[82:83], v[142:143] op_sel_hi:[1,1,0]
	v_mov_b32_e32 v141, v133
	s_delay_alu instid0(VALU_DEP_1) | instskip(SKIP_3) | instid1(VALU_DEP_1)
	v_pk_add_f32 v[32:33], v[32:33], v[140:141] neg_lo:[0,1] neg_hi:[0,1]
	ds_load_2addr_b64 v[140:143], v135 offset0:47 offset1:48
	s_wait_dscnt 0x0
	v_pk_mul_f32 v[132:133], v[140:141], v[130:131] op_sel:[0,1]
	v_pk_fma_f32 v[144:145], v[140:141], v[128:129], v[132:133] op_sel:[0,0,1] op_sel_hi:[1,1,0] neg_lo:[0,0,1] neg_hi:[0,0,1]
	v_pk_fma_f32 v[132:133], v[140:141], v[128:129], v[132:133] op_sel:[0,0,1] op_sel_hi:[1,0,0]
	s_delay_alu instid0(VALU_DEP_1) | instskip(SKIP_1) | instid1(VALU_DEP_1)
	v_mov_b32_e32 v145, v133
	v_pk_mul_f32 v[132:133], v[142:143], v[130:131] op_sel:[0,1]
	v_pk_fma_f32 v[140:141], v[142:143], v[128:129], v[132:133] op_sel:[0,0,1] op_sel_hi:[1,1,0] neg_lo:[0,0,1] neg_hi:[0,0,1]
	v_pk_fma_f32 v[132:133], v[142:143], v[128:129], v[132:133] op_sel:[0,0,1] op_sel_hi:[1,0,0]
	s_delay_alu instid0(VALU_DEP_1) | instskip(SKIP_1) | instid1(VALU_DEP_2)
	v_mov_b32_e32 v141, v133
	v_pk_add_f32 v[28:29], v[28:29], v[144:145] neg_lo:[0,1] neg_hi:[0,1]
	v_pk_add_f32 v[26:27], v[26:27], v[140:141] neg_lo:[0,1] neg_hi:[0,1]
	ds_load_2addr_b64 v[140:143], v135 offset0:49 offset1:50
	s_wait_dscnt 0x0
	v_pk_mul_f32 v[132:133], v[140:141], v[130:131] op_sel:[0,1]
	s_delay_alu instid0(VALU_DEP_1) | instskip(SKIP_1) | instid1(VALU_DEP_1)
	v_pk_fma_f32 v[144:145], v[140:141], v[128:129], v[132:133] op_sel:[0,0,1] op_sel_hi:[1,1,0] neg_lo:[0,0,1] neg_hi:[0,0,1]
	v_pk_fma_f32 v[132:133], v[140:141], v[128:129], v[132:133] op_sel:[0,0,1] op_sel_hi:[1,0,0]
	v_mov_b32_e32 v145, v133
	v_pk_mul_f32 v[132:133], v[142:143], v[130:131] op_sel:[0,1]
	s_delay_alu instid0(VALU_DEP_1) | instskip(SKIP_1) | instid1(VALU_DEP_1)
	v_pk_fma_f32 v[140:141], v[142:143], v[128:129], v[132:133] op_sel:[0,0,1] op_sel_hi:[1,1,0] neg_lo:[0,0,1] neg_hi:[0,0,1]
	v_pk_fma_f32 v[132:133], v[142:143], v[128:129], v[132:133] op_sel:[0,0,1] op_sel_hi:[1,0,0]
	v_mov_b32_e32 v141, v133
	v_pk_add_f32 v[22:23], v[22:23], v[144:145] neg_lo:[0,1] neg_hi:[0,1]
	s_delay_alu instid0(VALU_DEP_2) | instskip(SKIP_3) | instid1(VALU_DEP_1)
	v_pk_add_f32 v[24:25], v[24:25], v[140:141] neg_lo:[0,1] neg_hi:[0,1]
	ds_load_2addr_b64 v[140:143], v135 offset0:51 offset1:52
	s_wait_dscnt 0x0
	v_dual_mul_f32 v132, v141, v131 :: v_dual_mul_f32 v144, v141, v128
	v_pk_fma_f32 v[132:133], v[140:141], v[82:83], v[132:133] op_sel_hi:[1,1,0] neg_lo:[0,0,1] neg_hi:[0,0,1]
	s_delay_alu instid0(VALU_DEP_2) | instskip(NEXT) | instid1(VALU_DEP_1)
	v_pk_fma_f32 v[140:141], v[140:141], v[82:83], v[144:145] op_sel:[1,0,0] op_sel_hi:[0,1,0]
	v_mov_b32_e32 v133, v141
	s_delay_alu instid0(VALU_DEP_1) | instskip(SKIP_1) | instid1(VALU_DEP_1)
	v_pk_add_f32 v[44:45], v[44:45], v[132:133] neg_lo:[0,1] neg_hi:[0,1]
	v_pk_mul_f32 v[132:133], v[142:143], v[130:131] op_sel:[0,1]
	v_pk_fma_f32 v[140:141], v[142:143], v[128:129], v[132:133] op_sel:[0,0,1] op_sel_hi:[1,1,0] neg_lo:[0,0,1] neg_hi:[0,0,1]
	v_pk_fma_f32 v[132:133], v[142:143], v[128:129], v[132:133] op_sel:[0,0,1] op_sel_hi:[1,0,0]
	s_delay_alu instid0(VALU_DEP_1) | instskip(NEXT) | instid1(VALU_DEP_1)
	v_mov_b32_e32 v141, v133
	v_pk_add_f32 v[16:17], v[16:17], v[140:141] neg_lo:[0,1] neg_hi:[0,1]
	ds_load_2addr_b64 v[140:143], v135 offset0:53 offset1:54
	s_wait_dscnt 0x0
	v_pk_mul_f32 v[132:133], v[140:141], v[130:131] op_sel:[0,1]
	s_delay_alu instid0(VALU_DEP_1) | instskip(SKIP_1) | instid1(VALU_DEP_1)
	v_pk_fma_f32 v[144:145], v[140:141], v[128:129], v[132:133] op_sel:[0,0,1] op_sel_hi:[1,1,0] neg_lo:[0,0,1] neg_hi:[0,0,1]
	v_pk_fma_f32 v[132:133], v[140:141], v[128:129], v[132:133] op_sel:[0,0,1] op_sel_hi:[1,0,0]
	v_mov_b32_e32 v145, v133
	v_pk_mul_f32 v[132:133], v[142:143], v[130:131] op_sel:[0,1]
	s_delay_alu instid0(VALU_DEP_2) | instskip(NEXT) | instid1(VALU_DEP_2)
	v_pk_add_f32 v[12:13], v[12:13], v[144:145] neg_lo:[0,1] neg_hi:[0,1]
	v_pk_fma_f32 v[140:141], v[142:143], v[128:129], v[132:133] op_sel:[0,0,1] op_sel_hi:[1,1,0] neg_lo:[0,0,1] neg_hi:[0,0,1]
	v_pk_fma_f32 v[132:133], v[142:143], v[128:129], v[132:133] op_sel:[0,0,1] op_sel_hi:[1,0,0]
	s_delay_alu instid0(VALU_DEP_1) | instskip(NEXT) | instid1(VALU_DEP_1)
	v_mov_b32_e32 v141, v133
	v_pk_add_f32 v[14:15], v[14:15], v[140:141] neg_lo:[0,1] neg_hi:[0,1]
	ds_load_2addr_b64 v[140:143], v135 offset0:55 offset1:56
	s_wait_dscnt 0x0
	v_pk_mul_f32 v[132:133], v[140:141], v[130:131] op_sel:[0,1]
	s_delay_alu instid0(VALU_DEP_1) | instskip(SKIP_2) | instid1(VALU_DEP_2)
	v_pk_fma_f32 v[144:145], v[140:141], v[128:129], v[132:133] op_sel:[0,0,1] op_sel_hi:[1,1,0] neg_lo:[0,0,1] neg_hi:[0,0,1]
	v_pk_fma_f32 v[132:133], v[140:141], v[128:129], v[132:133] op_sel:[0,0,1] op_sel_hi:[1,0,0]
	v_dual_mul_f32 v140, v143, v131 :: v_dual_mov_b32 v132, v143
	v_dual_mov_b32 v145, v133 :: v_dual_mov_b32 v133, v142
	s_delay_alu instid0(VALU_DEP_2) | instskip(SKIP_1) | instid1(VALU_DEP_3)
	v_pk_fma_f32 v[140:141], v[142:143], v[82:83], v[140:141] op_sel_hi:[1,1,0] neg_lo:[0,0,1] neg_hi:[0,0,1]
	v_mul_f32_e32 v142, v143, v128
	v_pk_add_f32 v[10:11], v[10:11], v[144:145] neg_lo:[0,1] neg_hi:[0,1]
	s_delay_alu instid0(VALU_DEP_2) | instskip(NEXT) | instid1(VALU_DEP_1)
	v_pk_fma_f32 v[132:133], v[132:133], v[82:83], v[142:143] op_sel_hi:[1,1,0]
	v_mov_b32_e32 v141, v133
	s_delay_alu instid0(VALU_DEP_1) | instskip(SKIP_3) | instid1(VALU_DEP_1)
	v_pk_add_f32 v[6:7], v[6:7], v[140:141] neg_lo:[0,1] neg_hi:[0,1]
	ds_load_2addr_b64 v[140:143], v135 offset0:57 offset1:58
	s_wait_dscnt 0x0
	v_pk_mul_f32 v[132:133], v[140:141], v[130:131] op_sel:[0,1]
	v_pk_fma_f32 v[144:145], v[140:141], v[128:129], v[132:133] op_sel:[0,0,1] op_sel_hi:[1,1,0] neg_lo:[0,0,1] neg_hi:[0,0,1]
	v_pk_fma_f32 v[132:133], v[140:141], v[128:129], v[132:133] op_sel:[0,0,1] op_sel_hi:[1,0,0]
	s_delay_alu instid0(VALU_DEP_1) | instskip(SKIP_1) | instid1(VALU_DEP_1)
	v_mov_b32_e32 v145, v133
	v_pk_mul_f32 v[132:133], v[142:143], v[130:131] op_sel:[0,1]
	v_pk_fma_f32 v[140:141], v[142:143], v[128:129], v[132:133] op_sel:[0,0,1] op_sel_hi:[1,1,0] neg_lo:[0,0,1] neg_hi:[0,0,1]
	v_pk_fma_f32 v[132:133], v[142:143], v[128:129], v[132:133] op_sel:[0,0,1] op_sel_hi:[1,0,0]
	s_delay_alu instid0(VALU_DEP_1) | instskip(SKIP_1) | instid1(VALU_DEP_2)
	v_mov_b32_e32 v141, v133
	v_pk_add_f32 v[20:21], v[20:21], v[144:145] neg_lo:[0,1] neg_hi:[0,1]
	v_pk_add_f32 v[18:19], v[18:19], v[140:141] neg_lo:[0,1] neg_hi:[0,1]
	ds_load_2addr_b64 v[140:143], v135 offset0:59 offset1:60
	s_wait_dscnt 0x0
	v_pk_mul_f32 v[132:133], v[140:141], v[130:131] op_sel:[0,1]
	v_pk_mul_f32 v[130:131], v[142:143], v[130:131] op_sel:[0,1]
	s_delay_alu instid0(VALU_DEP_2) | instskip(SKIP_1) | instid1(VALU_DEP_1)
	v_pk_fma_f32 v[144:145], v[140:141], v[128:129], v[132:133] op_sel:[0,0,1] op_sel_hi:[1,1,0] neg_lo:[0,0,1] neg_hi:[0,0,1]
	v_pk_fma_f32 v[132:133], v[140:141], v[128:129], v[132:133] op_sel:[0,0,1] op_sel_hi:[1,0,0]
	v_mov_b32_e32 v145, v133
	s_delay_alu instid0(VALU_DEP_4) | instskip(SKIP_1) | instid1(VALU_DEP_1)
	v_pk_fma_f32 v[132:133], v[142:143], v[128:129], v[130:131] op_sel:[0,0,1] op_sel_hi:[1,1,0] neg_lo:[0,0,1] neg_hi:[0,0,1]
	v_pk_fma_f32 v[128:129], v[142:143], v[128:129], v[130:131] op_sel:[0,0,1] op_sel_hi:[1,0,0]
	v_mov_b32_e32 v133, v129
	s_delay_alu instid0(VALU_DEP_4) | instskip(NEXT) | instid1(VALU_DEP_2)
	v_pk_add_f32 v[8:9], v[8:9], v[144:145] neg_lo:[0,1] neg_hi:[0,1]
	v_pk_add_f32 v[126:127], v[126:127], v[132:133] neg_lo:[0,1] neg_hi:[0,1]
.LBB120_482:
	s_or_b32 exec_lo, exec_lo, s0
	v_lshl_add_u32 v128, v138, 3, v135
	s_barrier_signal -1
	s_barrier_wait -1
	ds_store_b64 v128, v[78:79]
	s_wait_dscnt 0x0
	s_barrier_signal -1
	s_barrier_wait -1
	ds_load_b64 v[130:131], v135 offset:184
	v_mov_b32_e32 v128, 23
	s_cmp_lt_i32 s18, 25
	s_cbranch_scc1 .LBB120_485
; %bb.483:
	v_add3_u32 v129, v136, 0, 0xc0
	v_mov_b32_e32 v128, 23
	s_mov_b32 s0, 24
.LBB120_484:                            ; =>This Inner Loop Header: Depth=1
	ds_load_b64 v[132:133], v129
	s_wait_dscnt 0x1
	v_cmp_gt_f32_e32 vcc_lo, 0, v130
	v_cndmask_b32_e64 v140, v130, -v130, vcc_lo
	v_cmp_gt_f32_e32 vcc_lo, 0, v131
	v_cndmask_b32_e64 v142, v131, -v131, vcc_lo
	s_wait_dscnt 0x0
	v_cmp_gt_f32_e32 vcc_lo, 0, v132
	v_cndmask_b32_e64 v141, v132, -v132, vcc_lo
	v_cmp_gt_f32_e32 vcc_lo, 0, v133
	v_cndmask_b32_e64 v143, v133, -v133, vcc_lo
	s_delay_alu instid0(VALU_DEP_1) | instskip(NEXT) | instid1(VALU_DEP_1)
	v_pk_add_f32 v[140:141], v[140:141], v[142:143]
	v_cmp_lt_f32_e32 vcc_lo, v140, v141
	v_dual_cndmask_b32 v130, v130, v132 :: v_dual_add_nc_u32 v129, 8, v129
	v_cndmask_b32_e32 v131, v131, v133, vcc_lo
	v_cndmask_b32_e64 v128, v128, s0, vcc_lo
	s_add_co_i32 s0, s0, 1
	s_delay_alu instid0(SALU_CYCLE_1)
	s_cmp_lg_u32 s18, s0
	s_cbranch_scc1 .LBB120_484
.LBB120_485:
	s_wait_dscnt 0x0
	v_cmp_eq_f32_e32 vcc_lo, 0, v130
	v_cmp_eq_f32_e64 s0, 0, v131
	s_and_b32 s0, vcc_lo, s0
	s_delay_alu instid0(SALU_CYCLE_1) | instskip(NEXT) | instid1(SALU_CYCLE_1)
	s_and_saveexec_b32 s1, s0
	s_xor_b32 s0, exec_lo, s1
; %bb.486:
	v_cmp_ne_u32_e32 vcc_lo, 0, v134
	v_cndmask_b32_e32 v134, 24, v134, vcc_lo
; %bb.487:
	s_and_not1_saveexec_b32 s0, s0
	s_cbranch_execz .LBB120_493
; %bb.488:
	v_cmp_ngt_f32_e64 s1, |v130|, |v131|
	s_and_saveexec_b32 s12, s1
	s_delay_alu instid0(SALU_CYCLE_1)
	s_xor_b32 s1, exec_lo, s12
	s_cbranch_execz .LBB120_490
; %bb.489:
	v_div_scale_f32 v129, null, v131, v131, v130
	v_div_scale_f32 v139, vcc_lo, v130, v131, v130
	s_delay_alu instid0(VALU_DEP_2) | instskip(SKIP_1) | instid1(TRANS32_DEP_1)
	v_rcp_f32_e32 v132, v129
	v_nop
	v_fma_f32 v133, -v129, v132, 1.0
	s_delay_alu instid0(VALU_DEP_1) | instskip(NEXT) | instid1(VALU_DEP_1)
	v_fmac_f32_e32 v132, v133, v132
	v_mul_f32_e32 v133, v139, v132
	s_delay_alu instid0(VALU_DEP_1) | instskip(NEXT) | instid1(VALU_DEP_1)
	v_fma_f32 v140, -v129, v133, v139
	v_fmac_f32_e32 v133, v140, v132
	s_delay_alu instid0(VALU_DEP_1) | instskip(NEXT) | instid1(VALU_DEP_1)
	v_fma_f32 v129, -v129, v133, v139
	v_div_fmas_f32 v129, v129, v132, v133
	s_delay_alu instid0(VALU_DEP_1) | instskip(NEXT) | instid1(VALU_DEP_1)
	v_div_fixup_f32 v129, v129, v131, v130
	v_fmac_f32_e32 v131, v130, v129
	s_delay_alu instid0(VALU_DEP_1) | instskip(SKIP_1) | instid1(VALU_DEP_2)
	v_div_scale_f32 v130, null, v131, v131, 1.0
	v_div_scale_f32 v139, vcc_lo, 1.0, v131, 1.0
	v_rcp_f32_e32 v132, v130
	v_nop
	s_delay_alu instid0(TRANS32_DEP_1) | instskip(NEXT) | instid1(VALU_DEP_1)
	v_fma_f32 v133, -v130, v132, 1.0
	v_fmac_f32_e32 v132, v133, v132
	s_delay_alu instid0(VALU_DEP_1) | instskip(NEXT) | instid1(VALU_DEP_1)
	v_mul_f32_e32 v133, v139, v132
	v_fma_f32 v140, -v130, v133, v139
	s_delay_alu instid0(VALU_DEP_1) | instskip(NEXT) | instid1(VALU_DEP_1)
	v_fmac_f32_e32 v133, v140, v132
	v_fma_f32 v130, -v130, v133, v139
	s_delay_alu instid0(VALU_DEP_1) | instskip(NEXT) | instid1(VALU_DEP_1)
	v_div_fmas_f32 v130, v130, v132, v133
	v_div_fixup_f32 v131, v130, v131, 1.0
	s_delay_alu instid0(VALU_DEP_1)
	v_mul_f32_e32 v130, v129, v131
	v_xor_b32_e32 v131, 0x80000000, v131
.LBB120_490:
	s_and_not1_saveexec_b32 s1, s1
	s_cbranch_execz .LBB120_492
; %bb.491:
	s_delay_alu instid0(VALU_DEP_1) | instskip(SKIP_1) | instid1(VALU_DEP_2)
	v_div_scale_f32 v129, null, v130, v130, v131
	v_div_scale_f32 v139, vcc_lo, v131, v130, v131
	v_rcp_f32_e32 v132, v129
	v_nop
	s_delay_alu instid0(TRANS32_DEP_1) | instskip(NEXT) | instid1(VALU_DEP_1)
	v_fma_f32 v133, -v129, v132, 1.0
	v_fmac_f32_e32 v132, v133, v132
	s_delay_alu instid0(VALU_DEP_1) | instskip(NEXT) | instid1(VALU_DEP_1)
	v_mul_f32_e32 v133, v139, v132
	v_fma_f32 v140, -v129, v133, v139
	s_delay_alu instid0(VALU_DEP_1) | instskip(NEXT) | instid1(VALU_DEP_1)
	v_fmac_f32_e32 v133, v140, v132
	v_fma_f32 v129, -v129, v133, v139
	s_delay_alu instid0(VALU_DEP_1) | instskip(NEXT) | instid1(VALU_DEP_1)
	v_div_fmas_f32 v129, v129, v132, v133
	v_div_fixup_f32 v129, v129, v130, v131
	s_delay_alu instid0(VALU_DEP_1) | instskip(NEXT) | instid1(VALU_DEP_1)
	v_fmac_f32_e32 v130, v131, v129
	v_div_scale_f32 v131, null, v130, v130, 1.0
	s_delay_alu instid0(VALU_DEP_1) | instskip(SKIP_1) | instid1(TRANS32_DEP_1)
	v_rcp_f32_e32 v132, v131
	v_nop
	v_fma_f32 v133, -v131, v132, 1.0
	s_delay_alu instid0(VALU_DEP_1) | instskip(SKIP_1) | instid1(VALU_DEP_1)
	v_fmac_f32_e32 v132, v133, v132
	v_div_scale_f32 v133, vcc_lo, 1.0, v130, 1.0
	v_mul_f32_e32 v139, v133, v132
	s_delay_alu instid0(VALU_DEP_1) | instskip(NEXT) | instid1(VALU_DEP_1)
	v_fma_f32 v140, -v131, v139, v133
	v_fmac_f32_e32 v139, v140, v132
	s_delay_alu instid0(VALU_DEP_1) | instskip(NEXT) | instid1(VALU_DEP_1)
	v_fma_f32 v131, -v131, v139, v133
	v_div_fmas_f32 v131, v131, v132, v139
	s_delay_alu instid0(VALU_DEP_1) | instskip(NEXT) | instid1(VALU_DEP_1)
	v_div_fixup_f32 v130, v131, v130, 1.0
	v_mul_f32_e64 v131, v129, -v130
.LBB120_492:
	s_or_b32 exec_lo, exec_lo, s1
.LBB120_493:
	s_delay_alu instid0(SALU_CYCLE_1) | instskip(NEXT) | instid1(SALU_CYCLE_1)
	s_or_b32 exec_lo, exec_lo, s0
	s_mov_b32 s0, exec_lo
	v_cmpx_ne_u32_e64 v138, v128
	s_xor_b32 s0, exec_lo, s0
	s_cbranch_execz .LBB120_499
; %bb.494:
	s_mov_b32 s1, exec_lo
	v_cmpx_eq_u32_e32 23, v138
	s_cbranch_execz .LBB120_498
; %bb.495:
	v_cmp_ne_u32_e32 vcc_lo, 23, v128
	s_xor_b32 s12, s16, -1
	s_delay_alu instid0(SALU_CYCLE_1) | instskip(NEXT) | instid1(SALU_CYCLE_1)
	s_and_b32 s13, s12, vcc_lo
	s_and_saveexec_b32 s12, s13
	s_cbranch_execz .LBB120_497
; %bb.496:
	v_ashrrev_i32_e32 v129, 31, v128
	s_delay_alu instid0(VALU_DEP_1)
	v_lshl_add_u64 v[132:133], v[128:129], 2, v[4:5]
	s_clause 0x1
	global_load_b32 v129, v[132:133], off
	global_load_b32 v137, v[4:5], off offset:92
	s_wait_loadcnt 0x1
	global_store_b32 v[4:5], v129, off offset:92
	s_wait_loadcnt 0x0
	global_store_b32 v[132:133], v137, off
.LBB120_497:
	s_wait_xcnt 0x0
	s_or_b32 exec_lo, exec_lo, s12
	v_dual_mov_b32 v138, v128 :: v_dual_mov_b32 v137, v128
.LBB120_498:
	s_or_b32 exec_lo, exec_lo, s1
.LBB120_499:
	s_and_not1_saveexec_b32 s0, s0
	s_cbranch_execz .LBB120_501
; %bb.500:
	v_dual_mov_b32 v128, v76 :: v_dual_mov_b32 v129, v77
	v_dual_mov_b32 v132, v72 :: v_dual_mov_b32 v133, v73
	;; [unrolled: 1-line block ×4, first 2 shown]
	ds_store_2addr_b64 v135, v[128:129], v[132:133] offset0:24 offset1:25
	ds_store_2addr_b64 v135, v[138:139], v[140:141] offset0:26 offset1:27
	v_dual_mov_b32 v128, v68 :: v_dual_mov_b32 v129, v69
	v_dual_mov_b32 v132, v64 :: v_dual_mov_b32 v133, v65
	;; [unrolled: 1-line block ×12, first 2 shown]
	ds_store_2addr_b64 v135, v[128:129], v[132:133] offset0:28 offset1:29
	ds_store_2addr_b64 v135, v[138:139], v[140:141] offset0:30 offset1:31
	ds_store_2addr_b64 v135, v[142:143], v[144:145] offset0:32 offset1:33
	ds_store_2addr_b64 v135, v[146:147], v[148:149] offset0:34 offset1:35
	ds_store_2addr_b64 v135, v[150:151], v[152:153] offset0:36 offset1:37
	ds_store_2addr_b64 v135, v[154:155], v[156:157] offset0:38 offset1:39
	v_dual_mov_b32 v128, v42 :: v_dual_mov_b32 v129, v43
	v_dual_mov_b32 v132, v38 :: v_dual_mov_b32 v133, v39
	;; [unrolled: 1-line block ×12, first 2 shown]
	ds_store_2addr_b64 v135, v[128:129], v[132:133] offset0:40 offset1:41
	ds_store_2addr_b64 v135, v[138:139], v[140:141] offset0:42 offset1:43
	;; [unrolled: 1-line block ×6, first 2 shown]
	v_dual_mov_b32 v128, v16 :: v_dual_mov_b32 v129, v17
	v_dual_mov_b32 v132, v12 :: v_dual_mov_b32 v133, v13
	;; [unrolled: 1-line block ×8, first 2 shown]
	v_mov_b32_e32 v151, v9
	ds_store_2addr_b64 v135, v[128:129], v[132:133] offset0:52 offset1:53
	ds_store_2addr_b64 v135, v[140:141], v[142:143] offset0:54 offset1:55
	;; [unrolled: 1-line block ×4, first 2 shown]
	ds_store_b64 v135, v[126:127] offset:480
.LBB120_501:
	s_or_b32 exec_lo, exec_lo, s0
	s_delay_alu instid0(SALU_CYCLE_1)
	s_mov_b32 s0, exec_lo
	s_wait_storecnt_dscnt 0x0
	s_barrier_signal -1
	s_barrier_wait -1
	v_cmpx_lt_i32_e32 23, v138
	s_cbranch_execz .LBB120_503
; %bb.502:
	ds_load_2addr_b64 v[140:143], v135 offset0:24 offset1:25
	v_pk_mul_f32 v[132:133], v[130:131], v[78:79] op_sel:[1,1] op_sel_hi:[0,1]
	s_delay_alu instid0(VALU_DEP_1) | instskip(SKIP_1) | instid1(VALU_DEP_1)
	v_pk_fma_f32 v[128:129], v[130:131], v[78:79], v[132:133] op_sel_hi:[1,0,1] neg_lo:[0,0,1] neg_hi:[0,0,1]
	v_pk_fma_f32 v[130:131], v[130:131], v[78:79], v[132:133] op_sel_hi:[1,0,1]
	v_dual_mov_b32 v78, v128 :: v_dual_mov_b32 v79, v131
	s_wait_dscnt 0x0
	s_delay_alu instid0(VALU_DEP_2) | instskip(NEXT) | instid1(VALU_DEP_1)
	v_pk_mul_f32 v[132:133], v[140:141], v[130:131] op_sel:[0,1]
	v_pk_fma_f32 v[144:145], v[140:141], v[128:129], v[132:133] op_sel:[0,0,1] op_sel_hi:[1,1,0] neg_lo:[0,0,1] neg_hi:[0,0,1]
	v_pk_fma_f32 v[132:133], v[140:141], v[128:129], v[132:133] op_sel:[0,0,1] op_sel_hi:[1,0,0]
	s_delay_alu instid0(VALU_DEP_1) | instskip(SKIP_1) | instid1(VALU_DEP_1)
	v_mov_b32_e32 v145, v133
	v_pk_mul_f32 v[132:133], v[142:143], v[130:131] op_sel:[0,1]
	v_pk_fma_f32 v[140:141], v[142:143], v[128:129], v[132:133] op_sel:[0,0,1] op_sel_hi:[1,1,0] neg_lo:[0,0,1] neg_hi:[0,0,1]
	v_pk_fma_f32 v[132:133], v[142:143], v[128:129], v[132:133] op_sel:[0,0,1] op_sel_hi:[1,0,0]
	s_delay_alu instid0(VALU_DEP_1) | instskip(SKIP_1) | instid1(VALU_DEP_2)
	v_mov_b32_e32 v141, v133
	v_pk_add_f32 v[76:77], v[76:77], v[144:145] neg_lo:[0,1] neg_hi:[0,1]
	v_pk_add_f32 v[72:73], v[72:73], v[140:141] neg_lo:[0,1] neg_hi:[0,1]
	ds_load_2addr_b64 v[140:143], v135 offset0:26 offset1:27
	s_wait_dscnt 0x0
	v_pk_mul_f32 v[132:133], v[140:141], v[130:131] op_sel:[0,1]
	s_delay_alu instid0(VALU_DEP_1) | instskip(SKIP_2) | instid1(VALU_DEP_2)
	v_pk_fma_f32 v[144:145], v[140:141], v[128:129], v[132:133] op_sel:[0,0,1] op_sel_hi:[1,1,0] neg_lo:[0,0,1] neg_hi:[0,0,1]
	v_pk_fma_f32 v[132:133], v[140:141], v[128:129], v[132:133] op_sel:[0,0,1] op_sel_hi:[1,0,0]
	v_dual_mul_f32 v140, v143, v131 :: v_dual_mov_b32 v132, v143
	v_dual_mov_b32 v145, v133 :: v_dual_mov_b32 v133, v142
	s_delay_alu instid0(VALU_DEP_2) | instskip(SKIP_1) | instid1(VALU_DEP_3)
	v_pk_fma_f32 v[140:141], v[142:143], v[78:79], v[140:141] op_sel_hi:[1,1,0] neg_lo:[0,0,1] neg_hi:[0,0,1]
	v_mul_f32_e32 v142, v143, v128
	v_pk_add_f32 v[74:75], v[74:75], v[144:145] neg_lo:[0,1] neg_hi:[0,1]
	s_delay_alu instid0(VALU_DEP_2) | instskip(NEXT) | instid1(VALU_DEP_1)
	v_pk_fma_f32 v[132:133], v[132:133], v[78:79], v[142:143] op_sel_hi:[1,1,0]
	v_mov_b32_e32 v141, v133
	s_delay_alu instid0(VALU_DEP_1) | instskip(SKIP_3) | instid1(VALU_DEP_1)
	v_pk_add_f32 v[70:71], v[70:71], v[140:141] neg_lo:[0,1] neg_hi:[0,1]
	ds_load_2addr_b64 v[140:143], v135 offset0:28 offset1:29
	s_wait_dscnt 0x0
	v_pk_mul_f32 v[132:133], v[140:141], v[130:131] op_sel:[0,1]
	v_pk_fma_f32 v[144:145], v[140:141], v[128:129], v[132:133] op_sel:[0,0,1] op_sel_hi:[1,1,0] neg_lo:[0,0,1] neg_hi:[0,0,1]
	v_pk_fma_f32 v[132:133], v[140:141], v[128:129], v[132:133] op_sel:[0,0,1] op_sel_hi:[1,0,0]
	s_delay_alu instid0(VALU_DEP_1) | instskip(SKIP_1) | instid1(VALU_DEP_1)
	v_mov_b32_e32 v145, v133
	v_pk_mul_f32 v[132:133], v[142:143], v[130:131] op_sel:[0,1]
	v_pk_fma_f32 v[140:141], v[142:143], v[128:129], v[132:133] op_sel:[0,0,1] op_sel_hi:[1,1,0] neg_lo:[0,0,1] neg_hi:[0,0,1]
	v_pk_fma_f32 v[132:133], v[142:143], v[128:129], v[132:133] op_sel:[0,0,1] op_sel_hi:[1,0,0]
	s_delay_alu instid0(VALU_DEP_1) | instskip(SKIP_1) | instid1(VALU_DEP_2)
	v_mov_b32_e32 v141, v133
	v_pk_add_f32 v[68:69], v[68:69], v[144:145] neg_lo:[0,1] neg_hi:[0,1]
	v_pk_add_f32 v[64:65], v[64:65], v[140:141] neg_lo:[0,1] neg_hi:[0,1]
	ds_load_2addr_b64 v[140:143], v135 offset0:30 offset1:31
	s_wait_dscnt 0x0
	v_pk_mul_f32 v[132:133], v[140:141], v[130:131] op_sel:[0,1]
	s_delay_alu instid0(VALU_DEP_1) | instskip(SKIP_1) | instid1(VALU_DEP_1)
	v_pk_fma_f32 v[144:145], v[140:141], v[128:129], v[132:133] op_sel:[0,0,1] op_sel_hi:[1,1,0] neg_lo:[0,0,1] neg_hi:[0,0,1]
	v_pk_fma_f32 v[132:133], v[140:141], v[128:129], v[132:133] op_sel:[0,0,1] op_sel_hi:[1,0,0]
	v_mov_b32_e32 v145, v133
	v_pk_mul_f32 v[132:133], v[142:143], v[130:131] op_sel:[0,1]
	s_delay_alu instid0(VALU_DEP_1) | instskip(SKIP_1) | instid1(VALU_DEP_1)
	v_pk_fma_f32 v[140:141], v[142:143], v[128:129], v[132:133] op_sel:[0,0,1] op_sel_hi:[1,1,0] neg_lo:[0,0,1] neg_hi:[0,0,1]
	v_pk_fma_f32 v[132:133], v[142:143], v[128:129], v[132:133] op_sel:[0,0,1] op_sel_hi:[1,0,0]
	v_mov_b32_e32 v141, v133
	v_pk_add_f32 v[66:67], v[66:67], v[144:145] neg_lo:[0,1] neg_hi:[0,1]
	s_delay_alu instid0(VALU_DEP_2) | instskip(SKIP_3) | instid1(VALU_DEP_1)
	v_pk_add_f32 v[62:63], v[62:63], v[140:141] neg_lo:[0,1] neg_hi:[0,1]
	ds_load_2addr_b64 v[140:143], v135 offset0:32 offset1:33
	s_wait_dscnt 0x0
	v_dual_mul_f32 v132, v141, v131 :: v_dual_mul_f32 v144, v141, v128
	v_pk_fma_f32 v[132:133], v[140:141], v[78:79], v[132:133] op_sel_hi:[1,1,0] neg_lo:[0,0,1] neg_hi:[0,0,1]
	s_delay_alu instid0(VALU_DEP_2) | instskip(NEXT) | instid1(VALU_DEP_1)
	v_pk_fma_f32 v[140:141], v[140:141], v[78:79], v[144:145] op_sel:[1,0,0] op_sel_hi:[0,1,0]
	v_mov_b32_e32 v133, v141
	s_delay_alu instid0(VALU_DEP_1) | instskip(SKIP_1) | instid1(VALU_DEP_1)
	v_pk_add_f32 v[60:61], v[60:61], v[132:133] neg_lo:[0,1] neg_hi:[0,1]
	v_pk_mul_f32 v[132:133], v[142:143], v[130:131] op_sel:[0,1]
	v_pk_fma_f32 v[140:141], v[142:143], v[128:129], v[132:133] op_sel:[0,0,1] op_sel_hi:[1,1,0] neg_lo:[0,0,1] neg_hi:[0,0,1]
	v_pk_fma_f32 v[132:133], v[142:143], v[128:129], v[132:133] op_sel:[0,0,1] op_sel_hi:[1,0,0]
	s_delay_alu instid0(VALU_DEP_1) | instskip(NEXT) | instid1(VALU_DEP_1)
	v_mov_b32_e32 v141, v133
	v_pk_add_f32 v[56:57], v[56:57], v[140:141] neg_lo:[0,1] neg_hi:[0,1]
	ds_load_2addr_b64 v[140:143], v135 offset0:34 offset1:35
	s_wait_dscnt 0x0
	v_pk_mul_f32 v[132:133], v[140:141], v[130:131] op_sel:[0,1]
	s_delay_alu instid0(VALU_DEP_1) | instskip(SKIP_1) | instid1(VALU_DEP_1)
	v_pk_fma_f32 v[144:145], v[140:141], v[128:129], v[132:133] op_sel:[0,0,1] op_sel_hi:[1,1,0] neg_lo:[0,0,1] neg_hi:[0,0,1]
	v_pk_fma_f32 v[132:133], v[140:141], v[128:129], v[132:133] op_sel:[0,0,1] op_sel_hi:[1,0,0]
	v_mov_b32_e32 v145, v133
	v_pk_mul_f32 v[132:133], v[142:143], v[130:131] op_sel:[0,1]
	s_delay_alu instid0(VALU_DEP_2) | instskip(NEXT) | instid1(VALU_DEP_2)
	v_pk_add_f32 v[58:59], v[58:59], v[144:145] neg_lo:[0,1] neg_hi:[0,1]
	v_pk_fma_f32 v[140:141], v[142:143], v[128:129], v[132:133] op_sel:[0,0,1] op_sel_hi:[1,1,0] neg_lo:[0,0,1] neg_hi:[0,0,1]
	v_pk_fma_f32 v[132:133], v[142:143], v[128:129], v[132:133] op_sel:[0,0,1] op_sel_hi:[1,0,0]
	s_delay_alu instid0(VALU_DEP_1) | instskip(NEXT) | instid1(VALU_DEP_1)
	v_mov_b32_e32 v141, v133
	v_pk_add_f32 v[54:55], v[54:55], v[140:141] neg_lo:[0,1] neg_hi:[0,1]
	ds_load_2addr_b64 v[140:143], v135 offset0:36 offset1:37
	s_wait_dscnt 0x0
	v_pk_mul_f32 v[132:133], v[140:141], v[130:131] op_sel:[0,1]
	s_delay_alu instid0(VALU_DEP_1) | instskip(SKIP_2) | instid1(VALU_DEP_2)
	v_pk_fma_f32 v[144:145], v[140:141], v[128:129], v[132:133] op_sel:[0,0,1] op_sel_hi:[1,1,0] neg_lo:[0,0,1] neg_hi:[0,0,1]
	v_pk_fma_f32 v[132:133], v[140:141], v[128:129], v[132:133] op_sel:[0,0,1] op_sel_hi:[1,0,0]
	v_dual_mul_f32 v140, v143, v131 :: v_dual_mov_b32 v132, v143
	v_dual_mov_b32 v145, v133 :: v_dual_mov_b32 v133, v142
	s_delay_alu instid0(VALU_DEP_2) | instskip(SKIP_1) | instid1(VALU_DEP_3)
	v_pk_fma_f32 v[140:141], v[142:143], v[78:79], v[140:141] op_sel_hi:[1,1,0] neg_lo:[0,0,1] neg_hi:[0,0,1]
	v_mul_f32_e32 v142, v143, v128
	v_pk_add_f32 v[52:53], v[52:53], v[144:145] neg_lo:[0,1] neg_hi:[0,1]
	s_delay_alu instid0(VALU_DEP_2) | instskip(NEXT) | instid1(VALU_DEP_1)
	v_pk_fma_f32 v[132:133], v[132:133], v[78:79], v[142:143] op_sel_hi:[1,1,0]
	v_mov_b32_e32 v141, v133
	s_delay_alu instid0(VALU_DEP_1) | instskip(SKIP_3) | instid1(VALU_DEP_1)
	v_pk_add_f32 v[48:49], v[48:49], v[140:141] neg_lo:[0,1] neg_hi:[0,1]
	ds_load_2addr_b64 v[140:143], v135 offset0:38 offset1:39
	s_wait_dscnt 0x0
	v_pk_mul_f32 v[132:133], v[140:141], v[130:131] op_sel:[0,1]
	v_pk_fma_f32 v[144:145], v[140:141], v[128:129], v[132:133] op_sel:[0,0,1] op_sel_hi:[1,1,0] neg_lo:[0,0,1] neg_hi:[0,0,1]
	v_pk_fma_f32 v[132:133], v[140:141], v[128:129], v[132:133] op_sel:[0,0,1] op_sel_hi:[1,0,0]
	s_delay_alu instid0(VALU_DEP_1) | instskip(SKIP_1) | instid1(VALU_DEP_1)
	v_mov_b32_e32 v145, v133
	v_pk_mul_f32 v[132:133], v[142:143], v[130:131] op_sel:[0,1]
	v_pk_fma_f32 v[140:141], v[142:143], v[128:129], v[132:133] op_sel:[0,0,1] op_sel_hi:[1,1,0] neg_lo:[0,0,1] neg_hi:[0,0,1]
	v_pk_fma_f32 v[132:133], v[142:143], v[128:129], v[132:133] op_sel:[0,0,1] op_sel_hi:[1,0,0]
	s_delay_alu instid0(VALU_DEP_1) | instskip(SKIP_1) | instid1(VALU_DEP_2)
	v_mov_b32_e32 v141, v133
	v_pk_add_f32 v[50:51], v[50:51], v[144:145] neg_lo:[0,1] neg_hi:[0,1]
	v_pk_add_f32 v[46:47], v[46:47], v[140:141] neg_lo:[0,1] neg_hi:[0,1]
	ds_load_2addr_b64 v[140:143], v135 offset0:40 offset1:41
	s_wait_dscnt 0x0
	v_pk_mul_f32 v[132:133], v[140:141], v[130:131] op_sel:[0,1]
	s_delay_alu instid0(VALU_DEP_1) | instskip(SKIP_1) | instid1(VALU_DEP_1)
	v_pk_fma_f32 v[144:145], v[140:141], v[128:129], v[132:133] op_sel:[0,0,1] op_sel_hi:[1,1,0] neg_lo:[0,0,1] neg_hi:[0,0,1]
	v_pk_fma_f32 v[132:133], v[140:141], v[128:129], v[132:133] op_sel:[0,0,1] op_sel_hi:[1,0,0]
	v_mov_b32_e32 v145, v133
	v_pk_mul_f32 v[132:133], v[142:143], v[130:131] op_sel:[0,1]
	s_delay_alu instid0(VALU_DEP_1) | instskip(SKIP_1) | instid1(VALU_DEP_1)
	v_pk_fma_f32 v[140:141], v[142:143], v[128:129], v[132:133] op_sel:[0,0,1] op_sel_hi:[1,1,0] neg_lo:[0,0,1] neg_hi:[0,0,1]
	v_pk_fma_f32 v[132:133], v[142:143], v[128:129], v[132:133] op_sel:[0,0,1] op_sel_hi:[1,0,0]
	v_mov_b32_e32 v141, v133
	v_pk_add_f32 v[42:43], v[42:43], v[144:145] neg_lo:[0,1] neg_hi:[0,1]
	s_delay_alu instid0(VALU_DEP_2) | instskip(SKIP_3) | instid1(VALU_DEP_1)
	v_pk_add_f32 v[38:39], v[38:39], v[140:141] neg_lo:[0,1] neg_hi:[0,1]
	ds_load_2addr_b64 v[140:143], v135 offset0:42 offset1:43
	s_wait_dscnt 0x0
	v_dual_mul_f32 v132, v141, v131 :: v_dual_mul_f32 v144, v141, v128
	v_pk_fma_f32 v[132:133], v[140:141], v[78:79], v[132:133] op_sel_hi:[1,1,0] neg_lo:[0,0,1] neg_hi:[0,0,1]
	s_delay_alu instid0(VALU_DEP_2) | instskip(NEXT) | instid1(VALU_DEP_1)
	v_pk_fma_f32 v[140:141], v[140:141], v[78:79], v[144:145] op_sel:[1,0,0] op_sel_hi:[0,1,0]
	v_mov_b32_e32 v133, v141
	s_delay_alu instid0(VALU_DEP_1) | instskip(SKIP_1) | instid1(VALU_DEP_1)
	v_pk_add_f32 v[40:41], v[40:41], v[132:133] neg_lo:[0,1] neg_hi:[0,1]
	v_pk_mul_f32 v[132:133], v[142:143], v[130:131] op_sel:[0,1]
	v_pk_fma_f32 v[140:141], v[142:143], v[128:129], v[132:133] op_sel:[0,0,1] op_sel_hi:[1,1,0] neg_lo:[0,0,1] neg_hi:[0,0,1]
	v_pk_fma_f32 v[132:133], v[142:143], v[128:129], v[132:133] op_sel:[0,0,1] op_sel_hi:[1,0,0]
	s_delay_alu instid0(VALU_DEP_1) | instskip(NEXT) | instid1(VALU_DEP_1)
	v_mov_b32_e32 v141, v133
	v_pk_add_f32 v[36:37], v[36:37], v[140:141] neg_lo:[0,1] neg_hi:[0,1]
	ds_load_2addr_b64 v[140:143], v135 offset0:44 offset1:45
	s_wait_dscnt 0x0
	v_pk_mul_f32 v[132:133], v[140:141], v[130:131] op_sel:[0,1]
	s_delay_alu instid0(VALU_DEP_1) | instskip(SKIP_1) | instid1(VALU_DEP_1)
	v_pk_fma_f32 v[144:145], v[140:141], v[128:129], v[132:133] op_sel:[0,0,1] op_sel_hi:[1,1,0] neg_lo:[0,0,1] neg_hi:[0,0,1]
	v_pk_fma_f32 v[132:133], v[140:141], v[128:129], v[132:133] op_sel:[0,0,1] op_sel_hi:[1,0,0]
	v_mov_b32_e32 v145, v133
	v_pk_mul_f32 v[132:133], v[142:143], v[130:131] op_sel:[0,1]
	s_delay_alu instid0(VALU_DEP_2) | instskip(NEXT) | instid1(VALU_DEP_2)
	v_pk_add_f32 v[34:35], v[34:35], v[144:145] neg_lo:[0,1] neg_hi:[0,1]
	v_pk_fma_f32 v[140:141], v[142:143], v[128:129], v[132:133] op_sel:[0,0,1] op_sel_hi:[1,1,0] neg_lo:[0,0,1] neg_hi:[0,0,1]
	v_pk_fma_f32 v[132:133], v[142:143], v[128:129], v[132:133] op_sel:[0,0,1] op_sel_hi:[1,0,0]
	s_delay_alu instid0(VALU_DEP_1) | instskip(NEXT) | instid1(VALU_DEP_1)
	v_mov_b32_e32 v141, v133
	v_pk_add_f32 v[30:31], v[30:31], v[140:141] neg_lo:[0,1] neg_hi:[0,1]
	ds_load_2addr_b64 v[140:143], v135 offset0:46 offset1:47
	s_wait_dscnt 0x0
	v_pk_mul_f32 v[132:133], v[140:141], v[130:131] op_sel:[0,1]
	s_delay_alu instid0(VALU_DEP_1) | instskip(SKIP_2) | instid1(VALU_DEP_2)
	v_pk_fma_f32 v[144:145], v[140:141], v[128:129], v[132:133] op_sel:[0,0,1] op_sel_hi:[1,1,0] neg_lo:[0,0,1] neg_hi:[0,0,1]
	v_pk_fma_f32 v[132:133], v[140:141], v[128:129], v[132:133] op_sel:[0,0,1] op_sel_hi:[1,0,0]
	v_dual_mul_f32 v140, v143, v131 :: v_dual_mov_b32 v132, v143
	v_dual_mov_b32 v145, v133 :: v_dual_mov_b32 v133, v142
	s_delay_alu instid0(VALU_DEP_2) | instskip(SKIP_1) | instid1(VALU_DEP_3)
	v_pk_fma_f32 v[140:141], v[142:143], v[78:79], v[140:141] op_sel_hi:[1,1,0] neg_lo:[0,0,1] neg_hi:[0,0,1]
	v_mul_f32_e32 v142, v143, v128
	v_pk_add_f32 v[32:33], v[32:33], v[144:145] neg_lo:[0,1] neg_hi:[0,1]
	s_delay_alu instid0(VALU_DEP_2) | instskip(NEXT) | instid1(VALU_DEP_1)
	v_pk_fma_f32 v[132:133], v[132:133], v[78:79], v[142:143] op_sel_hi:[1,1,0]
	v_mov_b32_e32 v141, v133
	s_delay_alu instid0(VALU_DEP_1) | instskip(SKIP_3) | instid1(VALU_DEP_1)
	v_pk_add_f32 v[28:29], v[28:29], v[140:141] neg_lo:[0,1] neg_hi:[0,1]
	ds_load_2addr_b64 v[140:143], v135 offset0:48 offset1:49
	s_wait_dscnt 0x0
	v_pk_mul_f32 v[132:133], v[140:141], v[130:131] op_sel:[0,1]
	v_pk_fma_f32 v[144:145], v[140:141], v[128:129], v[132:133] op_sel:[0,0,1] op_sel_hi:[1,1,0] neg_lo:[0,0,1] neg_hi:[0,0,1]
	v_pk_fma_f32 v[132:133], v[140:141], v[128:129], v[132:133] op_sel:[0,0,1] op_sel_hi:[1,0,0]
	s_delay_alu instid0(VALU_DEP_1) | instskip(SKIP_1) | instid1(VALU_DEP_1)
	v_mov_b32_e32 v145, v133
	v_pk_mul_f32 v[132:133], v[142:143], v[130:131] op_sel:[0,1]
	v_pk_fma_f32 v[140:141], v[142:143], v[128:129], v[132:133] op_sel:[0,0,1] op_sel_hi:[1,1,0] neg_lo:[0,0,1] neg_hi:[0,0,1]
	v_pk_fma_f32 v[132:133], v[142:143], v[128:129], v[132:133] op_sel:[0,0,1] op_sel_hi:[1,0,0]
	s_delay_alu instid0(VALU_DEP_1) | instskip(SKIP_1) | instid1(VALU_DEP_2)
	v_mov_b32_e32 v141, v133
	v_pk_add_f32 v[26:27], v[26:27], v[144:145] neg_lo:[0,1] neg_hi:[0,1]
	v_pk_add_f32 v[22:23], v[22:23], v[140:141] neg_lo:[0,1] neg_hi:[0,1]
	ds_load_2addr_b64 v[140:143], v135 offset0:50 offset1:51
	s_wait_dscnt 0x0
	v_pk_mul_f32 v[132:133], v[140:141], v[130:131] op_sel:[0,1]
	s_delay_alu instid0(VALU_DEP_1) | instskip(SKIP_1) | instid1(VALU_DEP_1)
	v_pk_fma_f32 v[144:145], v[140:141], v[128:129], v[132:133] op_sel:[0,0,1] op_sel_hi:[1,1,0] neg_lo:[0,0,1] neg_hi:[0,0,1]
	v_pk_fma_f32 v[132:133], v[140:141], v[128:129], v[132:133] op_sel:[0,0,1] op_sel_hi:[1,0,0]
	v_mov_b32_e32 v145, v133
	v_pk_mul_f32 v[132:133], v[142:143], v[130:131] op_sel:[0,1]
	s_delay_alu instid0(VALU_DEP_1) | instskip(SKIP_1) | instid1(VALU_DEP_1)
	v_pk_fma_f32 v[140:141], v[142:143], v[128:129], v[132:133] op_sel:[0,0,1] op_sel_hi:[1,1,0] neg_lo:[0,0,1] neg_hi:[0,0,1]
	v_pk_fma_f32 v[132:133], v[142:143], v[128:129], v[132:133] op_sel:[0,0,1] op_sel_hi:[1,0,0]
	v_mov_b32_e32 v141, v133
	v_pk_add_f32 v[24:25], v[24:25], v[144:145] neg_lo:[0,1] neg_hi:[0,1]
	s_delay_alu instid0(VALU_DEP_2) | instskip(SKIP_3) | instid1(VALU_DEP_1)
	v_pk_add_f32 v[44:45], v[44:45], v[140:141] neg_lo:[0,1] neg_hi:[0,1]
	ds_load_2addr_b64 v[140:143], v135 offset0:52 offset1:53
	s_wait_dscnt 0x0
	v_dual_mul_f32 v132, v141, v131 :: v_dual_mul_f32 v144, v141, v128
	v_pk_fma_f32 v[132:133], v[140:141], v[78:79], v[132:133] op_sel_hi:[1,1,0] neg_lo:[0,0,1] neg_hi:[0,0,1]
	s_delay_alu instid0(VALU_DEP_2) | instskip(NEXT) | instid1(VALU_DEP_1)
	v_pk_fma_f32 v[140:141], v[140:141], v[78:79], v[144:145] op_sel:[1,0,0] op_sel_hi:[0,1,0]
	v_mov_b32_e32 v133, v141
	s_delay_alu instid0(VALU_DEP_1) | instskip(SKIP_1) | instid1(VALU_DEP_1)
	v_pk_add_f32 v[16:17], v[16:17], v[132:133] neg_lo:[0,1] neg_hi:[0,1]
	v_pk_mul_f32 v[132:133], v[142:143], v[130:131] op_sel:[0,1]
	v_pk_fma_f32 v[140:141], v[142:143], v[128:129], v[132:133] op_sel:[0,0,1] op_sel_hi:[1,1,0] neg_lo:[0,0,1] neg_hi:[0,0,1]
	v_pk_fma_f32 v[132:133], v[142:143], v[128:129], v[132:133] op_sel:[0,0,1] op_sel_hi:[1,0,0]
	s_delay_alu instid0(VALU_DEP_1) | instskip(NEXT) | instid1(VALU_DEP_1)
	v_mov_b32_e32 v141, v133
	v_pk_add_f32 v[12:13], v[12:13], v[140:141] neg_lo:[0,1] neg_hi:[0,1]
	ds_load_2addr_b64 v[140:143], v135 offset0:54 offset1:55
	s_wait_dscnt 0x0
	v_pk_mul_f32 v[132:133], v[140:141], v[130:131] op_sel:[0,1]
	s_delay_alu instid0(VALU_DEP_1) | instskip(SKIP_1) | instid1(VALU_DEP_1)
	v_pk_fma_f32 v[144:145], v[140:141], v[128:129], v[132:133] op_sel:[0,0,1] op_sel_hi:[1,1,0] neg_lo:[0,0,1] neg_hi:[0,0,1]
	v_pk_fma_f32 v[132:133], v[140:141], v[128:129], v[132:133] op_sel:[0,0,1] op_sel_hi:[1,0,0]
	v_mov_b32_e32 v145, v133
	v_pk_mul_f32 v[132:133], v[142:143], v[130:131] op_sel:[0,1]
	s_delay_alu instid0(VALU_DEP_2) | instskip(NEXT) | instid1(VALU_DEP_2)
	v_pk_add_f32 v[14:15], v[14:15], v[144:145] neg_lo:[0,1] neg_hi:[0,1]
	v_pk_fma_f32 v[140:141], v[142:143], v[128:129], v[132:133] op_sel:[0,0,1] op_sel_hi:[1,1,0] neg_lo:[0,0,1] neg_hi:[0,0,1]
	v_pk_fma_f32 v[132:133], v[142:143], v[128:129], v[132:133] op_sel:[0,0,1] op_sel_hi:[1,0,0]
	s_delay_alu instid0(VALU_DEP_1) | instskip(NEXT) | instid1(VALU_DEP_1)
	v_mov_b32_e32 v141, v133
	v_pk_add_f32 v[10:11], v[10:11], v[140:141] neg_lo:[0,1] neg_hi:[0,1]
	ds_load_2addr_b64 v[140:143], v135 offset0:56 offset1:57
	s_wait_dscnt 0x0
	v_pk_mul_f32 v[132:133], v[140:141], v[130:131] op_sel:[0,1]
	s_delay_alu instid0(VALU_DEP_1) | instskip(SKIP_2) | instid1(VALU_DEP_2)
	v_pk_fma_f32 v[144:145], v[140:141], v[128:129], v[132:133] op_sel:[0,0,1] op_sel_hi:[1,1,0] neg_lo:[0,0,1] neg_hi:[0,0,1]
	v_pk_fma_f32 v[132:133], v[140:141], v[128:129], v[132:133] op_sel:[0,0,1] op_sel_hi:[1,0,0]
	v_dual_mul_f32 v140, v143, v131 :: v_dual_mov_b32 v132, v143
	v_dual_mov_b32 v145, v133 :: v_dual_mov_b32 v133, v142
	s_delay_alu instid0(VALU_DEP_2) | instskip(SKIP_1) | instid1(VALU_DEP_3)
	v_pk_fma_f32 v[140:141], v[142:143], v[78:79], v[140:141] op_sel_hi:[1,1,0] neg_lo:[0,0,1] neg_hi:[0,0,1]
	v_mul_f32_e32 v142, v143, v128
	v_pk_add_f32 v[6:7], v[6:7], v[144:145] neg_lo:[0,1] neg_hi:[0,1]
	s_delay_alu instid0(VALU_DEP_2) | instskip(NEXT) | instid1(VALU_DEP_1)
	v_pk_fma_f32 v[132:133], v[132:133], v[78:79], v[142:143] op_sel_hi:[1,1,0]
	v_mov_b32_e32 v141, v133
	s_delay_alu instid0(VALU_DEP_1) | instskip(SKIP_3) | instid1(VALU_DEP_1)
	v_pk_add_f32 v[20:21], v[20:21], v[140:141] neg_lo:[0,1] neg_hi:[0,1]
	ds_load_2addr_b64 v[140:143], v135 offset0:58 offset1:59
	s_wait_dscnt 0x0
	v_pk_mul_f32 v[132:133], v[140:141], v[130:131] op_sel:[0,1]
	v_pk_fma_f32 v[144:145], v[140:141], v[128:129], v[132:133] op_sel:[0,0,1] op_sel_hi:[1,1,0] neg_lo:[0,0,1] neg_hi:[0,0,1]
	v_pk_fma_f32 v[132:133], v[140:141], v[128:129], v[132:133] op_sel:[0,0,1] op_sel_hi:[1,0,0]
	s_delay_alu instid0(VALU_DEP_1) | instskip(SKIP_1) | instid1(VALU_DEP_1)
	v_mov_b32_e32 v145, v133
	v_pk_mul_f32 v[132:133], v[142:143], v[130:131] op_sel:[0,1]
	v_pk_fma_f32 v[140:141], v[142:143], v[128:129], v[132:133] op_sel:[0,0,1] op_sel_hi:[1,1,0] neg_lo:[0,0,1] neg_hi:[0,0,1]
	v_pk_fma_f32 v[132:133], v[142:143], v[128:129], v[132:133] op_sel:[0,0,1] op_sel_hi:[1,0,0]
	s_delay_alu instid0(VALU_DEP_1)
	v_mov_b32_e32 v141, v133
	ds_load_b64 v[132:133], v135 offset:480
	v_pk_add_f32 v[18:19], v[18:19], v[144:145] neg_lo:[0,1] neg_hi:[0,1]
	v_pk_add_f32 v[8:9], v[8:9], v[140:141] neg_lo:[0,1] neg_hi:[0,1]
	s_wait_dscnt 0x0
	v_pk_mul_f32 v[130:131], v[132:133], v[130:131] op_sel:[0,1]
	s_delay_alu instid0(VALU_DEP_1) | instskip(SKIP_1) | instid1(VALU_DEP_1)
	v_pk_fma_f32 v[140:141], v[132:133], v[128:129], v[130:131] op_sel:[0,0,1] op_sel_hi:[1,1,0] neg_lo:[0,0,1] neg_hi:[0,0,1]
	v_pk_fma_f32 v[128:129], v[132:133], v[128:129], v[130:131] op_sel:[0,0,1] op_sel_hi:[1,0,0]
	v_mov_b32_e32 v141, v129
	s_delay_alu instid0(VALU_DEP_1)
	v_pk_add_f32 v[126:127], v[126:127], v[140:141] neg_lo:[0,1] neg_hi:[0,1]
.LBB120_503:
	s_or_b32 exec_lo, exec_lo, s0
	v_lshl_add_u32 v128, v138, 3, v135
	s_barrier_signal -1
	s_barrier_wait -1
	ds_store_b64 v128, v[76:77]
	s_wait_dscnt 0x0
	s_barrier_signal -1
	s_barrier_wait -1
	ds_load_b64 v[130:131], v135 offset:192
	v_mov_b32_e32 v128, 24
	s_cmp_lt_i32 s18, 26
	s_cbranch_scc1 .LBB120_506
; %bb.504:
	v_add3_u32 v129, v136, 0, 0xc8
	v_mov_b32_e32 v128, 24
	s_mov_b32 s0, 25
.LBB120_505:                            ; =>This Inner Loop Header: Depth=1
	ds_load_b64 v[132:133], v129
	s_wait_dscnt 0x1
	v_cmp_gt_f32_e32 vcc_lo, 0, v130
	v_cndmask_b32_e64 v140, v130, -v130, vcc_lo
	v_cmp_gt_f32_e32 vcc_lo, 0, v131
	v_cndmask_b32_e64 v142, v131, -v131, vcc_lo
	s_wait_dscnt 0x0
	v_cmp_gt_f32_e32 vcc_lo, 0, v132
	v_cndmask_b32_e64 v141, v132, -v132, vcc_lo
	v_cmp_gt_f32_e32 vcc_lo, 0, v133
	v_cndmask_b32_e64 v143, v133, -v133, vcc_lo
	s_delay_alu instid0(VALU_DEP_1) | instskip(NEXT) | instid1(VALU_DEP_1)
	v_pk_add_f32 v[140:141], v[140:141], v[142:143]
	v_cmp_lt_f32_e32 vcc_lo, v140, v141
	v_dual_cndmask_b32 v130, v130, v132 :: v_dual_add_nc_u32 v129, 8, v129
	v_cndmask_b32_e32 v131, v131, v133, vcc_lo
	v_cndmask_b32_e64 v128, v128, s0, vcc_lo
	s_add_co_i32 s0, s0, 1
	s_delay_alu instid0(SALU_CYCLE_1)
	s_cmp_lg_u32 s18, s0
	s_cbranch_scc1 .LBB120_505
.LBB120_506:
	s_wait_dscnt 0x0
	v_cmp_eq_f32_e32 vcc_lo, 0, v130
	v_cmp_eq_f32_e64 s0, 0, v131
	s_and_b32 s0, vcc_lo, s0
	s_delay_alu instid0(SALU_CYCLE_1) | instskip(NEXT) | instid1(SALU_CYCLE_1)
	s_and_saveexec_b32 s1, s0
	s_xor_b32 s0, exec_lo, s1
; %bb.507:
	v_cmp_ne_u32_e32 vcc_lo, 0, v134
	v_cndmask_b32_e32 v134, 25, v134, vcc_lo
; %bb.508:
	s_and_not1_saveexec_b32 s0, s0
	s_cbranch_execz .LBB120_514
; %bb.509:
	v_cmp_ngt_f32_e64 s1, |v130|, |v131|
	s_and_saveexec_b32 s12, s1
	s_delay_alu instid0(SALU_CYCLE_1)
	s_xor_b32 s1, exec_lo, s12
	s_cbranch_execz .LBB120_511
; %bb.510:
	v_div_scale_f32 v129, null, v131, v131, v130
	v_div_scale_f32 v139, vcc_lo, v130, v131, v130
	s_delay_alu instid0(VALU_DEP_2) | instskip(SKIP_1) | instid1(TRANS32_DEP_1)
	v_rcp_f32_e32 v132, v129
	v_nop
	v_fma_f32 v133, -v129, v132, 1.0
	s_delay_alu instid0(VALU_DEP_1) | instskip(NEXT) | instid1(VALU_DEP_1)
	v_fmac_f32_e32 v132, v133, v132
	v_mul_f32_e32 v133, v139, v132
	s_delay_alu instid0(VALU_DEP_1) | instskip(NEXT) | instid1(VALU_DEP_1)
	v_fma_f32 v140, -v129, v133, v139
	v_fmac_f32_e32 v133, v140, v132
	s_delay_alu instid0(VALU_DEP_1) | instskip(NEXT) | instid1(VALU_DEP_1)
	v_fma_f32 v129, -v129, v133, v139
	v_div_fmas_f32 v129, v129, v132, v133
	s_delay_alu instid0(VALU_DEP_1) | instskip(NEXT) | instid1(VALU_DEP_1)
	v_div_fixup_f32 v129, v129, v131, v130
	v_fmac_f32_e32 v131, v130, v129
	s_delay_alu instid0(VALU_DEP_1) | instskip(SKIP_1) | instid1(VALU_DEP_2)
	v_div_scale_f32 v130, null, v131, v131, 1.0
	v_div_scale_f32 v139, vcc_lo, 1.0, v131, 1.0
	v_rcp_f32_e32 v132, v130
	v_nop
	s_delay_alu instid0(TRANS32_DEP_1) | instskip(NEXT) | instid1(VALU_DEP_1)
	v_fma_f32 v133, -v130, v132, 1.0
	v_fmac_f32_e32 v132, v133, v132
	s_delay_alu instid0(VALU_DEP_1) | instskip(NEXT) | instid1(VALU_DEP_1)
	v_mul_f32_e32 v133, v139, v132
	v_fma_f32 v140, -v130, v133, v139
	s_delay_alu instid0(VALU_DEP_1) | instskip(NEXT) | instid1(VALU_DEP_1)
	v_fmac_f32_e32 v133, v140, v132
	v_fma_f32 v130, -v130, v133, v139
	s_delay_alu instid0(VALU_DEP_1) | instskip(NEXT) | instid1(VALU_DEP_1)
	v_div_fmas_f32 v130, v130, v132, v133
	v_div_fixup_f32 v131, v130, v131, 1.0
	s_delay_alu instid0(VALU_DEP_1)
	v_mul_f32_e32 v130, v129, v131
	v_xor_b32_e32 v131, 0x80000000, v131
.LBB120_511:
	s_and_not1_saveexec_b32 s1, s1
	s_cbranch_execz .LBB120_513
; %bb.512:
	s_delay_alu instid0(VALU_DEP_1) | instskip(SKIP_1) | instid1(VALU_DEP_2)
	v_div_scale_f32 v129, null, v130, v130, v131
	v_div_scale_f32 v139, vcc_lo, v131, v130, v131
	v_rcp_f32_e32 v132, v129
	v_nop
	s_delay_alu instid0(TRANS32_DEP_1) | instskip(NEXT) | instid1(VALU_DEP_1)
	v_fma_f32 v133, -v129, v132, 1.0
	v_fmac_f32_e32 v132, v133, v132
	s_delay_alu instid0(VALU_DEP_1) | instskip(NEXT) | instid1(VALU_DEP_1)
	v_mul_f32_e32 v133, v139, v132
	v_fma_f32 v140, -v129, v133, v139
	s_delay_alu instid0(VALU_DEP_1) | instskip(NEXT) | instid1(VALU_DEP_1)
	v_fmac_f32_e32 v133, v140, v132
	v_fma_f32 v129, -v129, v133, v139
	s_delay_alu instid0(VALU_DEP_1) | instskip(NEXT) | instid1(VALU_DEP_1)
	v_div_fmas_f32 v129, v129, v132, v133
	v_div_fixup_f32 v129, v129, v130, v131
	s_delay_alu instid0(VALU_DEP_1) | instskip(NEXT) | instid1(VALU_DEP_1)
	v_fmac_f32_e32 v130, v131, v129
	v_div_scale_f32 v131, null, v130, v130, 1.0
	s_delay_alu instid0(VALU_DEP_1) | instskip(SKIP_1) | instid1(TRANS32_DEP_1)
	v_rcp_f32_e32 v132, v131
	v_nop
	v_fma_f32 v133, -v131, v132, 1.0
	s_delay_alu instid0(VALU_DEP_1) | instskip(SKIP_1) | instid1(VALU_DEP_1)
	v_fmac_f32_e32 v132, v133, v132
	v_div_scale_f32 v133, vcc_lo, 1.0, v130, 1.0
	v_mul_f32_e32 v139, v133, v132
	s_delay_alu instid0(VALU_DEP_1) | instskip(NEXT) | instid1(VALU_DEP_1)
	v_fma_f32 v140, -v131, v139, v133
	v_fmac_f32_e32 v139, v140, v132
	s_delay_alu instid0(VALU_DEP_1) | instskip(NEXT) | instid1(VALU_DEP_1)
	v_fma_f32 v131, -v131, v139, v133
	v_div_fmas_f32 v131, v131, v132, v139
	s_delay_alu instid0(VALU_DEP_1) | instskip(NEXT) | instid1(VALU_DEP_1)
	v_div_fixup_f32 v130, v131, v130, 1.0
	v_mul_f32_e64 v131, v129, -v130
.LBB120_513:
	s_or_b32 exec_lo, exec_lo, s1
.LBB120_514:
	s_delay_alu instid0(SALU_CYCLE_1) | instskip(NEXT) | instid1(SALU_CYCLE_1)
	s_or_b32 exec_lo, exec_lo, s0
	s_mov_b32 s0, exec_lo
	v_cmpx_ne_u32_e64 v138, v128
	s_xor_b32 s0, exec_lo, s0
	s_cbranch_execz .LBB120_520
; %bb.515:
	s_mov_b32 s1, exec_lo
	v_cmpx_eq_u32_e32 24, v138
	s_cbranch_execz .LBB120_519
; %bb.516:
	v_cmp_ne_u32_e32 vcc_lo, 24, v128
	s_xor_b32 s12, s16, -1
	s_delay_alu instid0(SALU_CYCLE_1) | instskip(NEXT) | instid1(SALU_CYCLE_1)
	s_and_b32 s13, s12, vcc_lo
	s_and_saveexec_b32 s12, s13
	s_cbranch_execz .LBB120_518
; %bb.517:
	v_ashrrev_i32_e32 v129, 31, v128
	s_delay_alu instid0(VALU_DEP_1)
	v_lshl_add_u64 v[132:133], v[128:129], 2, v[4:5]
	s_clause 0x1
	global_load_b32 v129, v[132:133], off
	global_load_b32 v137, v[4:5], off offset:96
	s_wait_loadcnt 0x1
	global_store_b32 v[4:5], v129, off offset:96
	s_wait_loadcnt 0x0
	global_store_b32 v[132:133], v137, off
.LBB120_518:
	s_wait_xcnt 0x0
	s_or_b32 exec_lo, exec_lo, s12
	v_dual_mov_b32 v138, v128 :: v_dual_mov_b32 v137, v128
.LBB120_519:
	s_or_b32 exec_lo, exec_lo, s1
.LBB120_520:
	s_and_not1_saveexec_b32 s0, s0
	s_cbranch_execz .LBB120_522
; %bb.521:
	v_mov_b32_e32 v138, 24
	ds_store_2addr_b64 v135, v[72:73], v[74:75] offset0:25 offset1:26
	ds_store_2addr_b64 v135, v[70:71], v[68:69] offset0:27 offset1:28
	;; [unrolled: 1-line block ×18, first 2 shown]
.LBB120_522:
	s_or_b32 exec_lo, exec_lo, s0
	s_delay_alu instid0(SALU_CYCLE_1)
	s_mov_b32 s0, exec_lo
	s_wait_storecnt_dscnt 0x0
	s_barrier_signal -1
	s_barrier_wait -1
	v_cmpx_lt_i32_e32 24, v138
	s_cbranch_execz .LBB120_524
; %bb.523:
	ds_load_2addr_b64 v[140:143], v135 offset0:25 offset1:26
	v_pk_mul_f32 v[132:133], v[130:131], v[76:77] op_sel:[1,1] op_sel_hi:[0,1]
	s_delay_alu instid0(VALU_DEP_1) | instskip(SKIP_1) | instid1(VALU_DEP_1)
	v_pk_fma_f32 v[128:129], v[130:131], v[76:77], v[132:133] op_sel_hi:[1,0,1] neg_lo:[0,0,1] neg_hi:[0,0,1]
	v_pk_fma_f32 v[130:131], v[130:131], v[76:77], v[132:133] op_sel_hi:[1,0,1]
	v_dual_mov_b32 v76, v128 :: v_dual_mov_b32 v77, v131
	s_wait_dscnt 0x0
	s_delay_alu instid0(VALU_DEP_2) | instskip(NEXT) | instid1(VALU_DEP_1)
	v_pk_mul_f32 v[132:133], v[140:141], v[130:131] op_sel:[0,1]
	v_pk_fma_f32 v[144:145], v[140:141], v[128:129], v[132:133] op_sel:[0,0,1] op_sel_hi:[1,1,0] neg_lo:[0,0,1] neg_hi:[0,0,1]
	v_pk_fma_f32 v[132:133], v[140:141], v[128:129], v[132:133] op_sel:[0,0,1] op_sel_hi:[1,0,0]
	s_delay_alu instid0(VALU_DEP_1) | instskip(SKIP_1) | instid1(VALU_DEP_1)
	v_mov_b32_e32 v145, v133
	v_pk_mul_f32 v[132:133], v[142:143], v[130:131] op_sel:[0,1]
	v_pk_fma_f32 v[140:141], v[142:143], v[128:129], v[132:133] op_sel:[0,0,1] op_sel_hi:[1,1,0] neg_lo:[0,0,1] neg_hi:[0,0,1]
	v_pk_fma_f32 v[132:133], v[142:143], v[128:129], v[132:133] op_sel:[0,0,1] op_sel_hi:[1,0,0]
	s_delay_alu instid0(VALU_DEP_1) | instskip(SKIP_1) | instid1(VALU_DEP_2)
	v_mov_b32_e32 v141, v133
	v_pk_add_f32 v[72:73], v[72:73], v[144:145] neg_lo:[0,1] neg_hi:[0,1]
	v_pk_add_f32 v[74:75], v[74:75], v[140:141] neg_lo:[0,1] neg_hi:[0,1]
	ds_load_2addr_b64 v[140:143], v135 offset0:27 offset1:28
	s_wait_dscnt 0x0
	v_pk_mul_f32 v[132:133], v[140:141], v[130:131] op_sel:[0,1]
	s_delay_alu instid0(VALU_DEP_1) | instskip(SKIP_2) | instid1(VALU_DEP_2)
	v_pk_fma_f32 v[144:145], v[140:141], v[128:129], v[132:133] op_sel:[0,0,1] op_sel_hi:[1,1,0] neg_lo:[0,0,1] neg_hi:[0,0,1]
	v_pk_fma_f32 v[132:133], v[140:141], v[128:129], v[132:133] op_sel:[0,0,1] op_sel_hi:[1,0,0]
	v_dual_mul_f32 v140, v143, v131 :: v_dual_mov_b32 v132, v143
	v_dual_mov_b32 v145, v133 :: v_dual_mov_b32 v133, v142
	s_delay_alu instid0(VALU_DEP_2) | instskip(SKIP_1) | instid1(VALU_DEP_3)
	v_pk_fma_f32 v[140:141], v[142:143], v[76:77], v[140:141] op_sel_hi:[1,1,0] neg_lo:[0,0,1] neg_hi:[0,0,1]
	v_mul_f32_e32 v142, v143, v128
	v_pk_add_f32 v[70:71], v[70:71], v[144:145] neg_lo:[0,1] neg_hi:[0,1]
	s_delay_alu instid0(VALU_DEP_2) | instskip(NEXT) | instid1(VALU_DEP_1)
	v_pk_fma_f32 v[132:133], v[132:133], v[76:77], v[142:143] op_sel_hi:[1,1,0]
	v_mov_b32_e32 v141, v133
	s_delay_alu instid0(VALU_DEP_1) | instskip(SKIP_3) | instid1(VALU_DEP_1)
	v_pk_add_f32 v[68:69], v[68:69], v[140:141] neg_lo:[0,1] neg_hi:[0,1]
	ds_load_2addr_b64 v[140:143], v135 offset0:29 offset1:30
	s_wait_dscnt 0x0
	v_pk_mul_f32 v[132:133], v[140:141], v[130:131] op_sel:[0,1]
	v_pk_fma_f32 v[144:145], v[140:141], v[128:129], v[132:133] op_sel:[0,0,1] op_sel_hi:[1,1,0] neg_lo:[0,0,1] neg_hi:[0,0,1]
	v_pk_fma_f32 v[132:133], v[140:141], v[128:129], v[132:133] op_sel:[0,0,1] op_sel_hi:[1,0,0]
	s_delay_alu instid0(VALU_DEP_1) | instskip(SKIP_1) | instid1(VALU_DEP_1)
	v_mov_b32_e32 v145, v133
	v_pk_mul_f32 v[132:133], v[142:143], v[130:131] op_sel:[0,1]
	v_pk_fma_f32 v[140:141], v[142:143], v[128:129], v[132:133] op_sel:[0,0,1] op_sel_hi:[1,1,0] neg_lo:[0,0,1] neg_hi:[0,0,1]
	v_pk_fma_f32 v[132:133], v[142:143], v[128:129], v[132:133] op_sel:[0,0,1] op_sel_hi:[1,0,0]
	s_delay_alu instid0(VALU_DEP_1) | instskip(SKIP_1) | instid1(VALU_DEP_2)
	v_mov_b32_e32 v141, v133
	v_pk_add_f32 v[64:65], v[64:65], v[144:145] neg_lo:[0,1] neg_hi:[0,1]
	v_pk_add_f32 v[66:67], v[66:67], v[140:141] neg_lo:[0,1] neg_hi:[0,1]
	ds_load_2addr_b64 v[140:143], v135 offset0:31 offset1:32
	s_wait_dscnt 0x0
	v_pk_mul_f32 v[132:133], v[140:141], v[130:131] op_sel:[0,1]
	s_delay_alu instid0(VALU_DEP_1) | instskip(SKIP_1) | instid1(VALU_DEP_1)
	v_pk_fma_f32 v[144:145], v[140:141], v[128:129], v[132:133] op_sel:[0,0,1] op_sel_hi:[1,1,0] neg_lo:[0,0,1] neg_hi:[0,0,1]
	v_pk_fma_f32 v[132:133], v[140:141], v[128:129], v[132:133] op_sel:[0,0,1] op_sel_hi:[1,0,0]
	v_mov_b32_e32 v145, v133
	v_pk_mul_f32 v[132:133], v[142:143], v[130:131] op_sel:[0,1]
	s_delay_alu instid0(VALU_DEP_1) | instskip(SKIP_1) | instid1(VALU_DEP_1)
	v_pk_fma_f32 v[140:141], v[142:143], v[128:129], v[132:133] op_sel:[0,0,1] op_sel_hi:[1,1,0] neg_lo:[0,0,1] neg_hi:[0,0,1]
	v_pk_fma_f32 v[132:133], v[142:143], v[128:129], v[132:133] op_sel:[0,0,1] op_sel_hi:[1,0,0]
	v_mov_b32_e32 v141, v133
	v_pk_add_f32 v[62:63], v[62:63], v[144:145] neg_lo:[0,1] neg_hi:[0,1]
	s_delay_alu instid0(VALU_DEP_2) | instskip(SKIP_3) | instid1(VALU_DEP_1)
	v_pk_add_f32 v[60:61], v[60:61], v[140:141] neg_lo:[0,1] neg_hi:[0,1]
	ds_load_2addr_b64 v[140:143], v135 offset0:33 offset1:34
	s_wait_dscnt 0x0
	v_dual_mul_f32 v132, v141, v131 :: v_dual_mul_f32 v144, v141, v128
	v_pk_fma_f32 v[132:133], v[140:141], v[76:77], v[132:133] op_sel_hi:[1,1,0] neg_lo:[0,0,1] neg_hi:[0,0,1]
	s_delay_alu instid0(VALU_DEP_2) | instskip(NEXT) | instid1(VALU_DEP_1)
	v_pk_fma_f32 v[140:141], v[140:141], v[76:77], v[144:145] op_sel:[1,0,0] op_sel_hi:[0,1,0]
	v_mov_b32_e32 v133, v141
	s_delay_alu instid0(VALU_DEP_1) | instskip(SKIP_1) | instid1(VALU_DEP_1)
	v_pk_add_f32 v[56:57], v[56:57], v[132:133] neg_lo:[0,1] neg_hi:[0,1]
	v_pk_mul_f32 v[132:133], v[142:143], v[130:131] op_sel:[0,1]
	v_pk_fma_f32 v[140:141], v[142:143], v[128:129], v[132:133] op_sel:[0,0,1] op_sel_hi:[1,1,0] neg_lo:[0,0,1] neg_hi:[0,0,1]
	v_pk_fma_f32 v[132:133], v[142:143], v[128:129], v[132:133] op_sel:[0,0,1] op_sel_hi:[1,0,0]
	s_delay_alu instid0(VALU_DEP_1) | instskip(NEXT) | instid1(VALU_DEP_1)
	v_mov_b32_e32 v141, v133
	v_pk_add_f32 v[58:59], v[58:59], v[140:141] neg_lo:[0,1] neg_hi:[0,1]
	ds_load_2addr_b64 v[140:143], v135 offset0:35 offset1:36
	s_wait_dscnt 0x0
	v_pk_mul_f32 v[132:133], v[140:141], v[130:131] op_sel:[0,1]
	s_delay_alu instid0(VALU_DEP_1) | instskip(SKIP_1) | instid1(VALU_DEP_1)
	v_pk_fma_f32 v[144:145], v[140:141], v[128:129], v[132:133] op_sel:[0,0,1] op_sel_hi:[1,1,0] neg_lo:[0,0,1] neg_hi:[0,0,1]
	v_pk_fma_f32 v[132:133], v[140:141], v[128:129], v[132:133] op_sel:[0,0,1] op_sel_hi:[1,0,0]
	v_mov_b32_e32 v145, v133
	v_pk_mul_f32 v[132:133], v[142:143], v[130:131] op_sel:[0,1]
	s_delay_alu instid0(VALU_DEP_2) | instskip(NEXT) | instid1(VALU_DEP_2)
	v_pk_add_f32 v[54:55], v[54:55], v[144:145] neg_lo:[0,1] neg_hi:[0,1]
	v_pk_fma_f32 v[140:141], v[142:143], v[128:129], v[132:133] op_sel:[0,0,1] op_sel_hi:[1,1,0] neg_lo:[0,0,1] neg_hi:[0,0,1]
	v_pk_fma_f32 v[132:133], v[142:143], v[128:129], v[132:133] op_sel:[0,0,1] op_sel_hi:[1,0,0]
	s_delay_alu instid0(VALU_DEP_1) | instskip(NEXT) | instid1(VALU_DEP_1)
	v_mov_b32_e32 v141, v133
	v_pk_add_f32 v[52:53], v[52:53], v[140:141] neg_lo:[0,1] neg_hi:[0,1]
	ds_load_2addr_b64 v[140:143], v135 offset0:37 offset1:38
	s_wait_dscnt 0x0
	v_pk_mul_f32 v[132:133], v[140:141], v[130:131] op_sel:[0,1]
	s_delay_alu instid0(VALU_DEP_1) | instskip(SKIP_2) | instid1(VALU_DEP_2)
	v_pk_fma_f32 v[144:145], v[140:141], v[128:129], v[132:133] op_sel:[0,0,1] op_sel_hi:[1,1,0] neg_lo:[0,0,1] neg_hi:[0,0,1]
	v_pk_fma_f32 v[132:133], v[140:141], v[128:129], v[132:133] op_sel:[0,0,1] op_sel_hi:[1,0,0]
	v_dual_mul_f32 v140, v143, v131 :: v_dual_mov_b32 v132, v143
	v_dual_mov_b32 v145, v133 :: v_dual_mov_b32 v133, v142
	s_delay_alu instid0(VALU_DEP_2) | instskip(SKIP_1) | instid1(VALU_DEP_3)
	v_pk_fma_f32 v[140:141], v[142:143], v[76:77], v[140:141] op_sel_hi:[1,1,0] neg_lo:[0,0,1] neg_hi:[0,0,1]
	v_mul_f32_e32 v142, v143, v128
	v_pk_add_f32 v[48:49], v[48:49], v[144:145] neg_lo:[0,1] neg_hi:[0,1]
	s_delay_alu instid0(VALU_DEP_2) | instskip(NEXT) | instid1(VALU_DEP_1)
	v_pk_fma_f32 v[132:133], v[132:133], v[76:77], v[142:143] op_sel_hi:[1,1,0]
	v_mov_b32_e32 v141, v133
	s_delay_alu instid0(VALU_DEP_1) | instskip(SKIP_3) | instid1(VALU_DEP_1)
	v_pk_add_f32 v[50:51], v[50:51], v[140:141] neg_lo:[0,1] neg_hi:[0,1]
	ds_load_2addr_b64 v[140:143], v135 offset0:39 offset1:40
	s_wait_dscnt 0x0
	v_pk_mul_f32 v[132:133], v[140:141], v[130:131] op_sel:[0,1]
	v_pk_fma_f32 v[144:145], v[140:141], v[128:129], v[132:133] op_sel:[0,0,1] op_sel_hi:[1,1,0] neg_lo:[0,0,1] neg_hi:[0,0,1]
	v_pk_fma_f32 v[132:133], v[140:141], v[128:129], v[132:133] op_sel:[0,0,1] op_sel_hi:[1,0,0]
	s_delay_alu instid0(VALU_DEP_1) | instskip(SKIP_1) | instid1(VALU_DEP_1)
	v_mov_b32_e32 v145, v133
	v_pk_mul_f32 v[132:133], v[142:143], v[130:131] op_sel:[0,1]
	v_pk_fma_f32 v[140:141], v[142:143], v[128:129], v[132:133] op_sel:[0,0,1] op_sel_hi:[1,1,0] neg_lo:[0,0,1] neg_hi:[0,0,1]
	v_pk_fma_f32 v[132:133], v[142:143], v[128:129], v[132:133] op_sel:[0,0,1] op_sel_hi:[1,0,0]
	s_delay_alu instid0(VALU_DEP_1) | instskip(SKIP_1) | instid1(VALU_DEP_2)
	v_mov_b32_e32 v141, v133
	v_pk_add_f32 v[46:47], v[46:47], v[144:145] neg_lo:[0,1] neg_hi:[0,1]
	v_pk_add_f32 v[42:43], v[42:43], v[140:141] neg_lo:[0,1] neg_hi:[0,1]
	ds_load_2addr_b64 v[140:143], v135 offset0:41 offset1:42
	s_wait_dscnt 0x0
	v_pk_mul_f32 v[132:133], v[140:141], v[130:131] op_sel:[0,1]
	s_delay_alu instid0(VALU_DEP_1) | instskip(SKIP_1) | instid1(VALU_DEP_1)
	v_pk_fma_f32 v[144:145], v[140:141], v[128:129], v[132:133] op_sel:[0,0,1] op_sel_hi:[1,1,0] neg_lo:[0,0,1] neg_hi:[0,0,1]
	v_pk_fma_f32 v[132:133], v[140:141], v[128:129], v[132:133] op_sel:[0,0,1] op_sel_hi:[1,0,0]
	v_mov_b32_e32 v145, v133
	v_pk_mul_f32 v[132:133], v[142:143], v[130:131] op_sel:[0,1]
	s_delay_alu instid0(VALU_DEP_1) | instskip(SKIP_1) | instid1(VALU_DEP_1)
	v_pk_fma_f32 v[140:141], v[142:143], v[128:129], v[132:133] op_sel:[0,0,1] op_sel_hi:[1,1,0] neg_lo:[0,0,1] neg_hi:[0,0,1]
	v_pk_fma_f32 v[132:133], v[142:143], v[128:129], v[132:133] op_sel:[0,0,1] op_sel_hi:[1,0,0]
	v_mov_b32_e32 v141, v133
	v_pk_add_f32 v[38:39], v[38:39], v[144:145] neg_lo:[0,1] neg_hi:[0,1]
	s_delay_alu instid0(VALU_DEP_2) | instskip(SKIP_3) | instid1(VALU_DEP_1)
	v_pk_add_f32 v[40:41], v[40:41], v[140:141] neg_lo:[0,1] neg_hi:[0,1]
	ds_load_2addr_b64 v[140:143], v135 offset0:43 offset1:44
	s_wait_dscnt 0x0
	v_dual_mul_f32 v132, v141, v131 :: v_dual_mul_f32 v144, v141, v128
	v_pk_fma_f32 v[132:133], v[140:141], v[76:77], v[132:133] op_sel_hi:[1,1,0] neg_lo:[0,0,1] neg_hi:[0,0,1]
	s_delay_alu instid0(VALU_DEP_2) | instskip(NEXT) | instid1(VALU_DEP_1)
	v_pk_fma_f32 v[140:141], v[140:141], v[76:77], v[144:145] op_sel:[1,0,0] op_sel_hi:[0,1,0]
	v_mov_b32_e32 v133, v141
	s_delay_alu instid0(VALU_DEP_1) | instskip(SKIP_1) | instid1(VALU_DEP_1)
	v_pk_add_f32 v[36:37], v[36:37], v[132:133] neg_lo:[0,1] neg_hi:[0,1]
	v_pk_mul_f32 v[132:133], v[142:143], v[130:131] op_sel:[0,1]
	v_pk_fma_f32 v[140:141], v[142:143], v[128:129], v[132:133] op_sel:[0,0,1] op_sel_hi:[1,1,0] neg_lo:[0,0,1] neg_hi:[0,0,1]
	v_pk_fma_f32 v[132:133], v[142:143], v[128:129], v[132:133] op_sel:[0,0,1] op_sel_hi:[1,0,0]
	s_delay_alu instid0(VALU_DEP_1) | instskip(NEXT) | instid1(VALU_DEP_1)
	v_mov_b32_e32 v141, v133
	v_pk_add_f32 v[34:35], v[34:35], v[140:141] neg_lo:[0,1] neg_hi:[0,1]
	ds_load_2addr_b64 v[140:143], v135 offset0:45 offset1:46
	s_wait_dscnt 0x0
	v_pk_mul_f32 v[132:133], v[140:141], v[130:131] op_sel:[0,1]
	s_delay_alu instid0(VALU_DEP_1) | instskip(SKIP_1) | instid1(VALU_DEP_1)
	v_pk_fma_f32 v[144:145], v[140:141], v[128:129], v[132:133] op_sel:[0,0,1] op_sel_hi:[1,1,0] neg_lo:[0,0,1] neg_hi:[0,0,1]
	v_pk_fma_f32 v[132:133], v[140:141], v[128:129], v[132:133] op_sel:[0,0,1] op_sel_hi:[1,0,0]
	v_mov_b32_e32 v145, v133
	v_pk_mul_f32 v[132:133], v[142:143], v[130:131] op_sel:[0,1]
	s_delay_alu instid0(VALU_DEP_2) | instskip(NEXT) | instid1(VALU_DEP_2)
	v_pk_add_f32 v[30:31], v[30:31], v[144:145] neg_lo:[0,1] neg_hi:[0,1]
	v_pk_fma_f32 v[140:141], v[142:143], v[128:129], v[132:133] op_sel:[0,0,1] op_sel_hi:[1,1,0] neg_lo:[0,0,1] neg_hi:[0,0,1]
	v_pk_fma_f32 v[132:133], v[142:143], v[128:129], v[132:133] op_sel:[0,0,1] op_sel_hi:[1,0,0]
	s_delay_alu instid0(VALU_DEP_1) | instskip(NEXT) | instid1(VALU_DEP_1)
	v_mov_b32_e32 v141, v133
	v_pk_add_f32 v[32:33], v[32:33], v[140:141] neg_lo:[0,1] neg_hi:[0,1]
	ds_load_2addr_b64 v[140:143], v135 offset0:47 offset1:48
	s_wait_dscnt 0x0
	v_pk_mul_f32 v[132:133], v[140:141], v[130:131] op_sel:[0,1]
	s_delay_alu instid0(VALU_DEP_1) | instskip(SKIP_2) | instid1(VALU_DEP_2)
	v_pk_fma_f32 v[144:145], v[140:141], v[128:129], v[132:133] op_sel:[0,0,1] op_sel_hi:[1,1,0] neg_lo:[0,0,1] neg_hi:[0,0,1]
	v_pk_fma_f32 v[132:133], v[140:141], v[128:129], v[132:133] op_sel:[0,0,1] op_sel_hi:[1,0,0]
	v_dual_mul_f32 v140, v143, v131 :: v_dual_mov_b32 v132, v143
	v_dual_mov_b32 v145, v133 :: v_dual_mov_b32 v133, v142
	s_delay_alu instid0(VALU_DEP_2) | instskip(SKIP_1) | instid1(VALU_DEP_3)
	v_pk_fma_f32 v[140:141], v[142:143], v[76:77], v[140:141] op_sel_hi:[1,1,0] neg_lo:[0,0,1] neg_hi:[0,0,1]
	v_mul_f32_e32 v142, v143, v128
	v_pk_add_f32 v[28:29], v[28:29], v[144:145] neg_lo:[0,1] neg_hi:[0,1]
	s_delay_alu instid0(VALU_DEP_2) | instskip(NEXT) | instid1(VALU_DEP_1)
	v_pk_fma_f32 v[132:133], v[132:133], v[76:77], v[142:143] op_sel_hi:[1,1,0]
	v_mov_b32_e32 v141, v133
	s_delay_alu instid0(VALU_DEP_1) | instskip(SKIP_3) | instid1(VALU_DEP_1)
	v_pk_add_f32 v[26:27], v[26:27], v[140:141] neg_lo:[0,1] neg_hi:[0,1]
	ds_load_2addr_b64 v[140:143], v135 offset0:49 offset1:50
	s_wait_dscnt 0x0
	v_pk_mul_f32 v[132:133], v[140:141], v[130:131] op_sel:[0,1]
	v_pk_fma_f32 v[144:145], v[140:141], v[128:129], v[132:133] op_sel:[0,0,1] op_sel_hi:[1,1,0] neg_lo:[0,0,1] neg_hi:[0,0,1]
	v_pk_fma_f32 v[132:133], v[140:141], v[128:129], v[132:133] op_sel:[0,0,1] op_sel_hi:[1,0,0]
	s_delay_alu instid0(VALU_DEP_1) | instskip(SKIP_1) | instid1(VALU_DEP_1)
	v_mov_b32_e32 v145, v133
	v_pk_mul_f32 v[132:133], v[142:143], v[130:131] op_sel:[0,1]
	v_pk_fma_f32 v[140:141], v[142:143], v[128:129], v[132:133] op_sel:[0,0,1] op_sel_hi:[1,1,0] neg_lo:[0,0,1] neg_hi:[0,0,1]
	v_pk_fma_f32 v[132:133], v[142:143], v[128:129], v[132:133] op_sel:[0,0,1] op_sel_hi:[1,0,0]
	s_delay_alu instid0(VALU_DEP_1) | instskip(SKIP_1) | instid1(VALU_DEP_2)
	v_mov_b32_e32 v141, v133
	v_pk_add_f32 v[22:23], v[22:23], v[144:145] neg_lo:[0,1] neg_hi:[0,1]
	v_pk_add_f32 v[24:25], v[24:25], v[140:141] neg_lo:[0,1] neg_hi:[0,1]
	ds_load_2addr_b64 v[140:143], v135 offset0:51 offset1:52
	s_wait_dscnt 0x0
	v_pk_mul_f32 v[132:133], v[140:141], v[130:131] op_sel:[0,1]
	s_delay_alu instid0(VALU_DEP_1) | instskip(SKIP_1) | instid1(VALU_DEP_1)
	v_pk_fma_f32 v[144:145], v[140:141], v[128:129], v[132:133] op_sel:[0,0,1] op_sel_hi:[1,1,0] neg_lo:[0,0,1] neg_hi:[0,0,1]
	v_pk_fma_f32 v[132:133], v[140:141], v[128:129], v[132:133] op_sel:[0,0,1] op_sel_hi:[1,0,0]
	v_mov_b32_e32 v145, v133
	v_pk_mul_f32 v[132:133], v[142:143], v[130:131] op_sel:[0,1]
	s_delay_alu instid0(VALU_DEP_1) | instskip(SKIP_1) | instid1(VALU_DEP_1)
	v_pk_fma_f32 v[140:141], v[142:143], v[128:129], v[132:133] op_sel:[0,0,1] op_sel_hi:[1,1,0] neg_lo:[0,0,1] neg_hi:[0,0,1]
	v_pk_fma_f32 v[132:133], v[142:143], v[128:129], v[132:133] op_sel:[0,0,1] op_sel_hi:[1,0,0]
	v_mov_b32_e32 v141, v133
	v_pk_add_f32 v[44:45], v[44:45], v[144:145] neg_lo:[0,1] neg_hi:[0,1]
	s_delay_alu instid0(VALU_DEP_2) | instskip(SKIP_3) | instid1(VALU_DEP_1)
	v_pk_add_f32 v[16:17], v[16:17], v[140:141] neg_lo:[0,1] neg_hi:[0,1]
	ds_load_2addr_b64 v[140:143], v135 offset0:53 offset1:54
	s_wait_dscnt 0x0
	v_dual_mul_f32 v132, v141, v131 :: v_dual_mul_f32 v144, v141, v128
	v_pk_fma_f32 v[132:133], v[140:141], v[76:77], v[132:133] op_sel_hi:[1,1,0] neg_lo:[0,0,1] neg_hi:[0,0,1]
	s_delay_alu instid0(VALU_DEP_2) | instskip(NEXT) | instid1(VALU_DEP_1)
	v_pk_fma_f32 v[140:141], v[140:141], v[76:77], v[144:145] op_sel:[1,0,0] op_sel_hi:[0,1,0]
	v_mov_b32_e32 v133, v141
	s_delay_alu instid0(VALU_DEP_1) | instskip(SKIP_1) | instid1(VALU_DEP_1)
	v_pk_add_f32 v[12:13], v[12:13], v[132:133] neg_lo:[0,1] neg_hi:[0,1]
	v_pk_mul_f32 v[132:133], v[142:143], v[130:131] op_sel:[0,1]
	v_pk_fma_f32 v[140:141], v[142:143], v[128:129], v[132:133] op_sel:[0,0,1] op_sel_hi:[1,1,0] neg_lo:[0,0,1] neg_hi:[0,0,1]
	v_pk_fma_f32 v[132:133], v[142:143], v[128:129], v[132:133] op_sel:[0,0,1] op_sel_hi:[1,0,0]
	s_delay_alu instid0(VALU_DEP_1) | instskip(NEXT) | instid1(VALU_DEP_1)
	v_mov_b32_e32 v141, v133
	v_pk_add_f32 v[14:15], v[14:15], v[140:141] neg_lo:[0,1] neg_hi:[0,1]
	ds_load_2addr_b64 v[140:143], v135 offset0:55 offset1:56
	s_wait_dscnt 0x0
	v_pk_mul_f32 v[132:133], v[140:141], v[130:131] op_sel:[0,1]
	s_delay_alu instid0(VALU_DEP_1) | instskip(SKIP_1) | instid1(VALU_DEP_1)
	v_pk_fma_f32 v[144:145], v[140:141], v[128:129], v[132:133] op_sel:[0,0,1] op_sel_hi:[1,1,0] neg_lo:[0,0,1] neg_hi:[0,0,1]
	v_pk_fma_f32 v[132:133], v[140:141], v[128:129], v[132:133] op_sel:[0,0,1] op_sel_hi:[1,0,0]
	v_mov_b32_e32 v145, v133
	v_pk_mul_f32 v[132:133], v[142:143], v[130:131] op_sel:[0,1]
	s_delay_alu instid0(VALU_DEP_2) | instskip(NEXT) | instid1(VALU_DEP_2)
	v_pk_add_f32 v[10:11], v[10:11], v[144:145] neg_lo:[0,1] neg_hi:[0,1]
	v_pk_fma_f32 v[140:141], v[142:143], v[128:129], v[132:133] op_sel:[0,0,1] op_sel_hi:[1,1,0] neg_lo:[0,0,1] neg_hi:[0,0,1]
	v_pk_fma_f32 v[132:133], v[142:143], v[128:129], v[132:133] op_sel:[0,0,1] op_sel_hi:[1,0,0]
	s_delay_alu instid0(VALU_DEP_1) | instskip(NEXT) | instid1(VALU_DEP_1)
	v_mov_b32_e32 v141, v133
	v_pk_add_f32 v[6:7], v[6:7], v[140:141] neg_lo:[0,1] neg_hi:[0,1]
	ds_load_2addr_b64 v[140:143], v135 offset0:57 offset1:58
	s_wait_dscnt 0x0
	v_pk_mul_f32 v[132:133], v[140:141], v[130:131] op_sel:[0,1]
	s_delay_alu instid0(VALU_DEP_1) | instskip(SKIP_2) | instid1(VALU_DEP_2)
	v_pk_fma_f32 v[144:145], v[140:141], v[128:129], v[132:133] op_sel:[0,0,1] op_sel_hi:[1,1,0] neg_lo:[0,0,1] neg_hi:[0,0,1]
	v_pk_fma_f32 v[132:133], v[140:141], v[128:129], v[132:133] op_sel:[0,0,1] op_sel_hi:[1,0,0]
	v_dual_mul_f32 v140, v143, v131 :: v_dual_mov_b32 v132, v143
	v_dual_mov_b32 v145, v133 :: v_dual_mov_b32 v133, v142
	s_delay_alu instid0(VALU_DEP_2) | instskip(SKIP_1) | instid1(VALU_DEP_3)
	v_pk_fma_f32 v[140:141], v[142:143], v[76:77], v[140:141] op_sel_hi:[1,1,0] neg_lo:[0,0,1] neg_hi:[0,0,1]
	v_mul_f32_e32 v142, v143, v128
	v_pk_add_f32 v[20:21], v[20:21], v[144:145] neg_lo:[0,1] neg_hi:[0,1]
	s_delay_alu instid0(VALU_DEP_2) | instskip(NEXT) | instid1(VALU_DEP_1)
	v_pk_fma_f32 v[132:133], v[132:133], v[76:77], v[142:143] op_sel_hi:[1,1,0]
	v_mov_b32_e32 v141, v133
	s_delay_alu instid0(VALU_DEP_1) | instskip(SKIP_4) | instid1(VALU_DEP_2)
	v_pk_add_f32 v[18:19], v[18:19], v[140:141] neg_lo:[0,1] neg_hi:[0,1]
	ds_load_2addr_b64 v[140:143], v135 offset0:59 offset1:60
	s_wait_dscnt 0x0
	v_pk_mul_f32 v[132:133], v[140:141], v[130:131] op_sel:[0,1]
	v_mul_f32_e32 v130, v143, v131
	v_pk_fma_f32 v[144:145], v[140:141], v[128:129], v[132:133] op_sel:[0,0,1] op_sel_hi:[1,1,0] neg_lo:[0,0,1] neg_hi:[0,0,1]
	v_pk_fma_f32 v[132:133], v[140:141], v[128:129], v[132:133] op_sel:[0,0,1] op_sel_hi:[1,0,0]
	v_dual_mov_b32 v132, v143 :: v_dual_mul_f32 v128, v143, v128
	s_delay_alu instid0(VALU_DEP_4) | instskip(NEXT) | instid1(VALU_DEP_3)
	v_pk_fma_f32 v[130:131], v[142:143], v[76:77], v[130:131] op_sel_hi:[1,1,0] neg_lo:[0,0,1] neg_hi:[0,0,1]
	v_dual_mov_b32 v145, v133 :: v_dual_mov_b32 v133, v142
	s_delay_alu instid0(VALU_DEP_1) | instskip(NEXT) | instid1(VALU_DEP_2)
	v_pk_add_f32 v[8:9], v[8:9], v[144:145] neg_lo:[0,1] neg_hi:[0,1]
	v_pk_fma_f32 v[128:129], v[132:133], v[76:77], v[128:129] op_sel_hi:[1,1,0]
	s_delay_alu instid0(VALU_DEP_1) | instskip(NEXT) | instid1(VALU_DEP_1)
	v_mov_b32_e32 v131, v129
	v_pk_add_f32 v[126:127], v[126:127], v[130:131] neg_lo:[0,1] neg_hi:[0,1]
.LBB120_524:
	s_or_b32 exec_lo, exec_lo, s0
	v_lshl_add_u32 v128, v138, 3, v135
	s_barrier_signal -1
	s_barrier_wait -1
	ds_store_b64 v128, v[72:73]
	s_wait_dscnt 0x0
	s_barrier_signal -1
	s_barrier_wait -1
	ds_load_b64 v[130:131], v135 offset:200
	v_mov_b32_e32 v128, 25
	s_cmp_lt_i32 s18, 27
	s_cbranch_scc1 .LBB120_527
; %bb.525:
	v_add3_u32 v129, v136, 0, 0xd0
	v_mov_b32_e32 v128, 25
	s_mov_b32 s0, 26
.LBB120_526:                            ; =>This Inner Loop Header: Depth=1
	ds_load_b64 v[132:133], v129
	s_wait_dscnt 0x1
	v_cmp_gt_f32_e32 vcc_lo, 0, v130
	v_cndmask_b32_e64 v140, v130, -v130, vcc_lo
	v_cmp_gt_f32_e32 vcc_lo, 0, v131
	v_cndmask_b32_e64 v142, v131, -v131, vcc_lo
	s_wait_dscnt 0x0
	v_cmp_gt_f32_e32 vcc_lo, 0, v132
	v_cndmask_b32_e64 v141, v132, -v132, vcc_lo
	v_cmp_gt_f32_e32 vcc_lo, 0, v133
	v_cndmask_b32_e64 v143, v133, -v133, vcc_lo
	s_delay_alu instid0(VALU_DEP_1) | instskip(NEXT) | instid1(VALU_DEP_1)
	v_pk_add_f32 v[140:141], v[140:141], v[142:143]
	v_cmp_lt_f32_e32 vcc_lo, v140, v141
	v_dual_cndmask_b32 v130, v130, v132 :: v_dual_add_nc_u32 v129, 8, v129
	v_cndmask_b32_e32 v131, v131, v133, vcc_lo
	v_cndmask_b32_e64 v128, v128, s0, vcc_lo
	s_add_co_i32 s0, s0, 1
	s_delay_alu instid0(SALU_CYCLE_1)
	s_cmp_lg_u32 s18, s0
	s_cbranch_scc1 .LBB120_526
.LBB120_527:
	s_wait_dscnt 0x0
	v_cmp_eq_f32_e32 vcc_lo, 0, v130
	v_cmp_eq_f32_e64 s0, 0, v131
	s_and_b32 s0, vcc_lo, s0
	s_delay_alu instid0(SALU_CYCLE_1) | instskip(NEXT) | instid1(SALU_CYCLE_1)
	s_and_saveexec_b32 s1, s0
	s_xor_b32 s0, exec_lo, s1
; %bb.528:
	v_cmp_ne_u32_e32 vcc_lo, 0, v134
	v_cndmask_b32_e32 v134, 26, v134, vcc_lo
; %bb.529:
	s_and_not1_saveexec_b32 s0, s0
	s_cbranch_execz .LBB120_535
; %bb.530:
	v_cmp_ngt_f32_e64 s1, |v130|, |v131|
	s_and_saveexec_b32 s12, s1
	s_delay_alu instid0(SALU_CYCLE_1)
	s_xor_b32 s1, exec_lo, s12
	s_cbranch_execz .LBB120_532
; %bb.531:
	v_div_scale_f32 v129, null, v131, v131, v130
	v_div_scale_f32 v139, vcc_lo, v130, v131, v130
	s_delay_alu instid0(VALU_DEP_2) | instskip(SKIP_1) | instid1(TRANS32_DEP_1)
	v_rcp_f32_e32 v132, v129
	v_nop
	v_fma_f32 v133, -v129, v132, 1.0
	s_delay_alu instid0(VALU_DEP_1) | instskip(NEXT) | instid1(VALU_DEP_1)
	v_fmac_f32_e32 v132, v133, v132
	v_mul_f32_e32 v133, v139, v132
	s_delay_alu instid0(VALU_DEP_1) | instskip(NEXT) | instid1(VALU_DEP_1)
	v_fma_f32 v140, -v129, v133, v139
	v_fmac_f32_e32 v133, v140, v132
	s_delay_alu instid0(VALU_DEP_1) | instskip(NEXT) | instid1(VALU_DEP_1)
	v_fma_f32 v129, -v129, v133, v139
	v_div_fmas_f32 v129, v129, v132, v133
	s_delay_alu instid0(VALU_DEP_1) | instskip(NEXT) | instid1(VALU_DEP_1)
	v_div_fixup_f32 v129, v129, v131, v130
	v_fmac_f32_e32 v131, v130, v129
	s_delay_alu instid0(VALU_DEP_1) | instskip(SKIP_1) | instid1(VALU_DEP_2)
	v_div_scale_f32 v130, null, v131, v131, 1.0
	v_div_scale_f32 v139, vcc_lo, 1.0, v131, 1.0
	v_rcp_f32_e32 v132, v130
	v_nop
	s_delay_alu instid0(TRANS32_DEP_1) | instskip(NEXT) | instid1(VALU_DEP_1)
	v_fma_f32 v133, -v130, v132, 1.0
	v_fmac_f32_e32 v132, v133, v132
	s_delay_alu instid0(VALU_DEP_1) | instskip(NEXT) | instid1(VALU_DEP_1)
	v_mul_f32_e32 v133, v139, v132
	v_fma_f32 v140, -v130, v133, v139
	s_delay_alu instid0(VALU_DEP_1) | instskip(NEXT) | instid1(VALU_DEP_1)
	v_fmac_f32_e32 v133, v140, v132
	v_fma_f32 v130, -v130, v133, v139
	s_delay_alu instid0(VALU_DEP_1) | instskip(NEXT) | instid1(VALU_DEP_1)
	v_div_fmas_f32 v130, v130, v132, v133
	v_div_fixup_f32 v131, v130, v131, 1.0
	s_delay_alu instid0(VALU_DEP_1)
	v_mul_f32_e32 v130, v129, v131
	v_xor_b32_e32 v131, 0x80000000, v131
.LBB120_532:
	s_and_not1_saveexec_b32 s1, s1
	s_cbranch_execz .LBB120_534
; %bb.533:
	s_delay_alu instid0(VALU_DEP_1) | instskip(SKIP_1) | instid1(VALU_DEP_2)
	v_div_scale_f32 v129, null, v130, v130, v131
	v_div_scale_f32 v139, vcc_lo, v131, v130, v131
	v_rcp_f32_e32 v132, v129
	v_nop
	s_delay_alu instid0(TRANS32_DEP_1) | instskip(NEXT) | instid1(VALU_DEP_1)
	v_fma_f32 v133, -v129, v132, 1.0
	v_fmac_f32_e32 v132, v133, v132
	s_delay_alu instid0(VALU_DEP_1) | instskip(NEXT) | instid1(VALU_DEP_1)
	v_mul_f32_e32 v133, v139, v132
	v_fma_f32 v140, -v129, v133, v139
	s_delay_alu instid0(VALU_DEP_1) | instskip(NEXT) | instid1(VALU_DEP_1)
	v_fmac_f32_e32 v133, v140, v132
	v_fma_f32 v129, -v129, v133, v139
	s_delay_alu instid0(VALU_DEP_1) | instskip(NEXT) | instid1(VALU_DEP_1)
	v_div_fmas_f32 v129, v129, v132, v133
	v_div_fixup_f32 v129, v129, v130, v131
	s_delay_alu instid0(VALU_DEP_1) | instskip(NEXT) | instid1(VALU_DEP_1)
	v_fmac_f32_e32 v130, v131, v129
	v_div_scale_f32 v131, null, v130, v130, 1.0
	s_delay_alu instid0(VALU_DEP_1) | instskip(SKIP_1) | instid1(TRANS32_DEP_1)
	v_rcp_f32_e32 v132, v131
	v_nop
	v_fma_f32 v133, -v131, v132, 1.0
	s_delay_alu instid0(VALU_DEP_1) | instskip(SKIP_1) | instid1(VALU_DEP_1)
	v_fmac_f32_e32 v132, v133, v132
	v_div_scale_f32 v133, vcc_lo, 1.0, v130, 1.0
	v_mul_f32_e32 v139, v133, v132
	s_delay_alu instid0(VALU_DEP_1) | instskip(NEXT) | instid1(VALU_DEP_1)
	v_fma_f32 v140, -v131, v139, v133
	v_fmac_f32_e32 v139, v140, v132
	s_delay_alu instid0(VALU_DEP_1) | instskip(NEXT) | instid1(VALU_DEP_1)
	v_fma_f32 v131, -v131, v139, v133
	v_div_fmas_f32 v131, v131, v132, v139
	s_delay_alu instid0(VALU_DEP_1) | instskip(NEXT) | instid1(VALU_DEP_1)
	v_div_fixup_f32 v130, v131, v130, 1.0
	v_mul_f32_e64 v131, v129, -v130
.LBB120_534:
	s_or_b32 exec_lo, exec_lo, s1
.LBB120_535:
	s_delay_alu instid0(SALU_CYCLE_1) | instskip(NEXT) | instid1(SALU_CYCLE_1)
	s_or_b32 exec_lo, exec_lo, s0
	s_mov_b32 s0, exec_lo
	v_cmpx_ne_u32_e64 v138, v128
	s_xor_b32 s0, exec_lo, s0
	s_cbranch_execz .LBB120_541
; %bb.536:
	s_mov_b32 s1, exec_lo
	v_cmpx_eq_u32_e32 25, v138
	s_cbranch_execz .LBB120_540
; %bb.537:
	v_cmp_ne_u32_e32 vcc_lo, 25, v128
	s_xor_b32 s12, s16, -1
	s_delay_alu instid0(SALU_CYCLE_1) | instskip(NEXT) | instid1(SALU_CYCLE_1)
	s_and_b32 s13, s12, vcc_lo
	s_and_saveexec_b32 s12, s13
	s_cbranch_execz .LBB120_539
; %bb.538:
	v_ashrrev_i32_e32 v129, 31, v128
	s_delay_alu instid0(VALU_DEP_1)
	v_lshl_add_u64 v[132:133], v[128:129], 2, v[4:5]
	s_clause 0x1
	global_load_b32 v129, v[132:133], off
	global_load_b32 v137, v[4:5], off offset:100
	s_wait_loadcnt 0x1
	global_store_b32 v[4:5], v129, off offset:100
	s_wait_loadcnt 0x0
	global_store_b32 v[132:133], v137, off
.LBB120_539:
	s_wait_xcnt 0x0
	s_or_b32 exec_lo, exec_lo, s12
	v_dual_mov_b32 v138, v128 :: v_dual_mov_b32 v137, v128
.LBB120_540:
	s_or_b32 exec_lo, exec_lo, s1
.LBB120_541:
	s_and_not1_saveexec_b32 s0, s0
	s_cbranch_execz .LBB120_543
; %bb.542:
	v_dual_mov_b32 v128, v74 :: v_dual_mov_b32 v129, v75
	v_dual_mov_b32 v132, v70 :: v_dual_mov_b32 v133, v71
	v_dual_mov_b32 v138, v68 :: v_dual_mov_b32 v139, v69
	v_dual_mov_b32 v140, v64 :: v_dual_mov_b32 v141, v65
	v_dual_mov_b32 v142, v66 :: v_dual_mov_b32 v143, v67
	v_dual_mov_b32 v144, v62 :: v_dual_mov_b32 v145, v63
	v_dual_mov_b32 v146, v60 :: v_dual_mov_b32 v147, v61
	v_dual_mov_b32 v148, v56 :: v_dual_mov_b32 v149, v57
	v_dual_mov_b32 v150, v58 :: v_dual_mov_b32 v151, v59
	v_dual_mov_b32 v152, v54 :: v_dual_mov_b32 v153, v55
	v_dual_mov_b32 v154, v52 :: v_dual_mov_b32 v155, v53
	v_dual_mov_b32 v156, v48 :: v_dual_mov_b32 v157, v49
	ds_store_2addr_b64 v135, v[128:129], v[132:133] offset0:26 offset1:27
	ds_store_2addr_b64 v135, v[138:139], v[140:141] offset0:28 offset1:29
	;; [unrolled: 1-line block ×6, first 2 shown]
	v_dual_mov_b32 v128, v50 :: v_dual_mov_b32 v129, v51
	v_dual_mov_b32 v132, v46 :: v_dual_mov_b32 v133, v47
	v_dual_mov_b32 v138, v42 :: v_dual_mov_b32 v139, v43
	v_dual_mov_b32 v140, v38 :: v_dual_mov_b32 v141, v39
	v_dual_mov_b32 v142, v40 :: v_dual_mov_b32 v143, v41
	v_dual_mov_b32 v144, v36 :: v_dual_mov_b32 v145, v37
	v_dual_mov_b32 v146, v34 :: v_dual_mov_b32 v147, v35
	v_dual_mov_b32 v148, v30 :: v_dual_mov_b32 v149, v31
	v_dual_mov_b32 v150, v32 :: v_dual_mov_b32 v151, v33
	v_dual_mov_b32 v152, v28 :: v_dual_mov_b32 v153, v29
	v_dual_mov_b32 v154, v26 :: v_dual_mov_b32 v155, v27
	v_dual_mov_b32 v156, v22 :: v_dual_mov_b32 v157, v23
	ds_store_2addr_b64 v135, v[128:129], v[132:133] offset0:38 offset1:39
	ds_store_2addr_b64 v135, v[138:139], v[140:141] offset0:40 offset1:41
	;; [unrolled: 1-line block ×6, first 2 shown]
	v_dual_mov_b32 v128, v24 :: v_dual_mov_b32 v129, v25
	v_dual_mov_b32 v132, v44 :: v_dual_mov_b32 v133, v45
	;; [unrolled: 1-line block ×6, first 2 shown]
	ds_store_2addr_b64 v135, v[128:129], v[132:133] offset0:50 offset1:51
	ds_store_2addr_b64 v135, v[138:139], v[140:141] offset0:52 offset1:53
	v_dual_mov_b32 v138, 25 :: v_dual_mov_b32 v146, v6
	v_dual_mov_b32 v147, v7 :: v_dual_mov_b32 v148, v20
	;; [unrolled: 1-line block ×4, first 2 shown]
	v_mov_b32_e32 v153, v9
	ds_store_2addr_b64 v135, v[142:143], v[144:145] offset0:54 offset1:55
	ds_store_2addr_b64 v135, v[146:147], v[148:149] offset0:56 offset1:57
	;; [unrolled: 1-line block ×3, first 2 shown]
	ds_store_b64 v135, v[126:127] offset:480
.LBB120_543:
	s_or_b32 exec_lo, exec_lo, s0
	s_delay_alu instid0(SALU_CYCLE_1)
	s_mov_b32 s0, exec_lo
	s_wait_storecnt_dscnt 0x0
	s_barrier_signal -1
	s_barrier_wait -1
	v_cmpx_lt_i32_e32 25, v138
	s_cbranch_execz .LBB120_545
; %bb.544:
	ds_load_2addr_b64 v[140:143], v135 offset0:26 offset1:27
	v_pk_mul_f32 v[132:133], v[130:131], v[72:73] op_sel:[1,1] op_sel_hi:[0,1]
	s_delay_alu instid0(VALU_DEP_1) | instskip(SKIP_1) | instid1(VALU_DEP_1)
	v_pk_fma_f32 v[128:129], v[130:131], v[72:73], v[132:133] op_sel_hi:[1,0,1] neg_lo:[0,0,1] neg_hi:[0,0,1]
	v_pk_fma_f32 v[130:131], v[130:131], v[72:73], v[132:133] op_sel_hi:[1,0,1]
	v_dual_mov_b32 v72, v128 :: v_dual_mov_b32 v73, v131
	s_wait_dscnt 0x0
	s_delay_alu instid0(VALU_DEP_2) | instskip(NEXT) | instid1(VALU_DEP_1)
	v_pk_mul_f32 v[132:133], v[140:141], v[130:131] op_sel:[0,1]
	v_pk_fma_f32 v[144:145], v[140:141], v[128:129], v[132:133] op_sel:[0,0,1] op_sel_hi:[1,1,0] neg_lo:[0,0,1] neg_hi:[0,0,1]
	v_pk_fma_f32 v[132:133], v[140:141], v[128:129], v[132:133] op_sel:[0,0,1] op_sel_hi:[1,0,0]
	s_delay_alu instid0(VALU_DEP_1) | instskip(SKIP_1) | instid1(VALU_DEP_1)
	v_mov_b32_e32 v145, v133
	v_pk_mul_f32 v[132:133], v[142:143], v[130:131] op_sel:[0,1]
	v_pk_fma_f32 v[140:141], v[142:143], v[128:129], v[132:133] op_sel:[0,0,1] op_sel_hi:[1,1,0] neg_lo:[0,0,1] neg_hi:[0,0,1]
	v_pk_fma_f32 v[132:133], v[142:143], v[128:129], v[132:133] op_sel:[0,0,1] op_sel_hi:[1,0,0]
	s_delay_alu instid0(VALU_DEP_1) | instskip(SKIP_1) | instid1(VALU_DEP_2)
	v_mov_b32_e32 v141, v133
	v_pk_add_f32 v[74:75], v[74:75], v[144:145] neg_lo:[0,1] neg_hi:[0,1]
	v_pk_add_f32 v[70:71], v[70:71], v[140:141] neg_lo:[0,1] neg_hi:[0,1]
	ds_load_2addr_b64 v[140:143], v135 offset0:28 offset1:29
	s_wait_dscnt 0x0
	v_pk_mul_f32 v[132:133], v[140:141], v[130:131] op_sel:[0,1]
	s_delay_alu instid0(VALU_DEP_1) | instskip(SKIP_2) | instid1(VALU_DEP_2)
	v_pk_fma_f32 v[144:145], v[140:141], v[128:129], v[132:133] op_sel:[0,0,1] op_sel_hi:[1,1,0] neg_lo:[0,0,1] neg_hi:[0,0,1]
	v_pk_fma_f32 v[132:133], v[140:141], v[128:129], v[132:133] op_sel:[0,0,1] op_sel_hi:[1,0,0]
	v_dual_mul_f32 v140, v143, v131 :: v_dual_mov_b32 v132, v143
	v_dual_mov_b32 v145, v133 :: v_dual_mov_b32 v133, v142
	s_delay_alu instid0(VALU_DEP_2) | instskip(SKIP_1) | instid1(VALU_DEP_3)
	v_pk_fma_f32 v[140:141], v[142:143], v[72:73], v[140:141] op_sel_hi:[1,1,0] neg_lo:[0,0,1] neg_hi:[0,0,1]
	v_mul_f32_e32 v142, v143, v128
	v_pk_add_f32 v[68:69], v[68:69], v[144:145] neg_lo:[0,1] neg_hi:[0,1]
	s_delay_alu instid0(VALU_DEP_2) | instskip(NEXT) | instid1(VALU_DEP_1)
	v_pk_fma_f32 v[132:133], v[132:133], v[72:73], v[142:143] op_sel_hi:[1,1,0]
	v_mov_b32_e32 v141, v133
	s_delay_alu instid0(VALU_DEP_1) | instskip(SKIP_3) | instid1(VALU_DEP_1)
	v_pk_add_f32 v[64:65], v[64:65], v[140:141] neg_lo:[0,1] neg_hi:[0,1]
	ds_load_2addr_b64 v[140:143], v135 offset0:30 offset1:31
	s_wait_dscnt 0x0
	v_pk_mul_f32 v[132:133], v[140:141], v[130:131] op_sel:[0,1]
	v_pk_fma_f32 v[144:145], v[140:141], v[128:129], v[132:133] op_sel:[0,0,1] op_sel_hi:[1,1,0] neg_lo:[0,0,1] neg_hi:[0,0,1]
	v_pk_fma_f32 v[132:133], v[140:141], v[128:129], v[132:133] op_sel:[0,0,1] op_sel_hi:[1,0,0]
	s_delay_alu instid0(VALU_DEP_1) | instskip(SKIP_1) | instid1(VALU_DEP_1)
	v_mov_b32_e32 v145, v133
	v_pk_mul_f32 v[132:133], v[142:143], v[130:131] op_sel:[0,1]
	v_pk_fma_f32 v[140:141], v[142:143], v[128:129], v[132:133] op_sel:[0,0,1] op_sel_hi:[1,1,0] neg_lo:[0,0,1] neg_hi:[0,0,1]
	v_pk_fma_f32 v[132:133], v[142:143], v[128:129], v[132:133] op_sel:[0,0,1] op_sel_hi:[1,0,0]
	s_delay_alu instid0(VALU_DEP_1) | instskip(SKIP_1) | instid1(VALU_DEP_2)
	v_mov_b32_e32 v141, v133
	v_pk_add_f32 v[66:67], v[66:67], v[144:145] neg_lo:[0,1] neg_hi:[0,1]
	v_pk_add_f32 v[62:63], v[62:63], v[140:141] neg_lo:[0,1] neg_hi:[0,1]
	ds_load_2addr_b64 v[140:143], v135 offset0:32 offset1:33
	s_wait_dscnt 0x0
	v_pk_mul_f32 v[132:133], v[140:141], v[130:131] op_sel:[0,1]
	s_delay_alu instid0(VALU_DEP_1) | instskip(SKIP_1) | instid1(VALU_DEP_1)
	v_pk_fma_f32 v[144:145], v[140:141], v[128:129], v[132:133] op_sel:[0,0,1] op_sel_hi:[1,1,0] neg_lo:[0,0,1] neg_hi:[0,0,1]
	v_pk_fma_f32 v[132:133], v[140:141], v[128:129], v[132:133] op_sel:[0,0,1] op_sel_hi:[1,0,0]
	v_mov_b32_e32 v145, v133
	v_pk_mul_f32 v[132:133], v[142:143], v[130:131] op_sel:[0,1]
	s_delay_alu instid0(VALU_DEP_1) | instskip(SKIP_1) | instid1(VALU_DEP_1)
	v_pk_fma_f32 v[140:141], v[142:143], v[128:129], v[132:133] op_sel:[0,0,1] op_sel_hi:[1,1,0] neg_lo:[0,0,1] neg_hi:[0,0,1]
	v_pk_fma_f32 v[132:133], v[142:143], v[128:129], v[132:133] op_sel:[0,0,1] op_sel_hi:[1,0,0]
	v_mov_b32_e32 v141, v133
	v_pk_add_f32 v[60:61], v[60:61], v[144:145] neg_lo:[0,1] neg_hi:[0,1]
	s_delay_alu instid0(VALU_DEP_2) | instskip(SKIP_3) | instid1(VALU_DEP_1)
	v_pk_add_f32 v[56:57], v[56:57], v[140:141] neg_lo:[0,1] neg_hi:[0,1]
	ds_load_2addr_b64 v[140:143], v135 offset0:34 offset1:35
	s_wait_dscnt 0x0
	v_dual_mul_f32 v132, v141, v131 :: v_dual_mul_f32 v144, v141, v128
	v_pk_fma_f32 v[132:133], v[140:141], v[72:73], v[132:133] op_sel_hi:[1,1,0] neg_lo:[0,0,1] neg_hi:[0,0,1]
	s_delay_alu instid0(VALU_DEP_2) | instskip(NEXT) | instid1(VALU_DEP_1)
	v_pk_fma_f32 v[140:141], v[140:141], v[72:73], v[144:145] op_sel:[1,0,0] op_sel_hi:[0,1,0]
	v_mov_b32_e32 v133, v141
	s_delay_alu instid0(VALU_DEP_1) | instskip(SKIP_1) | instid1(VALU_DEP_1)
	v_pk_add_f32 v[58:59], v[58:59], v[132:133] neg_lo:[0,1] neg_hi:[0,1]
	v_pk_mul_f32 v[132:133], v[142:143], v[130:131] op_sel:[0,1]
	v_pk_fma_f32 v[140:141], v[142:143], v[128:129], v[132:133] op_sel:[0,0,1] op_sel_hi:[1,1,0] neg_lo:[0,0,1] neg_hi:[0,0,1]
	v_pk_fma_f32 v[132:133], v[142:143], v[128:129], v[132:133] op_sel:[0,0,1] op_sel_hi:[1,0,0]
	s_delay_alu instid0(VALU_DEP_1) | instskip(NEXT) | instid1(VALU_DEP_1)
	v_mov_b32_e32 v141, v133
	v_pk_add_f32 v[54:55], v[54:55], v[140:141] neg_lo:[0,1] neg_hi:[0,1]
	ds_load_2addr_b64 v[140:143], v135 offset0:36 offset1:37
	s_wait_dscnt 0x0
	v_pk_mul_f32 v[132:133], v[140:141], v[130:131] op_sel:[0,1]
	s_delay_alu instid0(VALU_DEP_1) | instskip(SKIP_1) | instid1(VALU_DEP_1)
	v_pk_fma_f32 v[144:145], v[140:141], v[128:129], v[132:133] op_sel:[0,0,1] op_sel_hi:[1,1,0] neg_lo:[0,0,1] neg_hi:[0,0,1]
	v_pk_fma_f32 v[132:133], v[140:141], v[128:129], v[132:133] op_sel:[0,0,1] op_sel_hi:[1,0,0]
	v_mov_b32_e32 v145, v133
	v_pk_mul_f32 v[132:133], v[142:143], v[130:131] op_sel:[0,1]
	s_delay_alu instid0(VALU_DEP_2) | instskip(NEXT) | instid1(VALU_DEP_2)
	v_pk_add_f32 v[52:53], v[52:53], v[144:145] neg_lo:[0,1] neg_hi:[0,1]
	v_pk_fma_f32 v[140:141], v[142:143], v[128:129], v[132:133] op_sel:[0,0,1] op_sel_hi:[1,1,0] neg_lo:[0,0,1] neg_hi:[0,0,1]
	v_pk_fma_f32 v[132:133], v[142:143], v[128:129], v[132:133] op_sel:[0,0,1] op_sel_hi:[1,0,0]
	s_delay_alu instid0(VALU_DEP_1) | instskip(NEXT) | instid1(VALU_DEP_1)
	v_mov_b32_e32 v141, v133
	v_pk_add_f32 v[48:49], v[48:49], v[140:141] neg_lo:[0,1] neg_hi:[0,1]
	ds_load_2addr_b64 v[140:143], v135 offset0:38 offset1:39
	s_wait_dscnt 0x0
	v_pk_mul_f32 v[132:133], v[140:141], v[130:131] op_sel:[0,1]
	s_delay_alu instid0(VALU_DEP_1) | instskip(SKIP_2) | instid1(VALU_DEP_2)
	v_pk_fma_f32 v[144:145], v[140:141], v[128:129], v[132:133] op_sel:[0,0,1] op_sel_hi:[1,1,0] neg_lo:[0,0,1] neg_hi:[0,0,1]
	v_pk_fma_f32 v[132:133], v[140:141], v[128:129], v[132:133] op_sel:[0,0,1] op_sel_hi:[1,0,0]
	v_dual_mul_f32 v140, v143, v131 :: v_dual_mov_b32 v132, v143
	v_dual_mov_b32 v145, v133 :: v_dual_mov_b32 v133, v142
	s_delay_alu instid0(VALU_DEP_2) | instskip(SKIP_1) | instid1(VALU_DEP_3)
	v_pk_fma_f32 v[140:141], v[142:143], v[72:73], v[140:141] op_sel_hi:[1,1,0] neg_lo:[0,0,1] neg_hi:[0,0,1]
	v_mul_f32_e32 v142, v143, v128
	v_pk_add_f32 v[50:51], v[50:51], v[144:145] neg_lo:[0,1] neg_hi:[0,1]
	s_delay_alu instid0(VALU_DEP_2) | instskip(NEXT) | instid1(VALU_DEP_1)
	v_pk_fma_f32 v[132:133], v[132:133], v[72:73], v[142:143] op_sel_hi:[1,1,0]
	v_mov_b32_e32 v141, v133
	s_delay_alu instid0(VALU_DEP_1) | instskip(SKIP_3) | instid1(VALU_DEP_1)
	v_pk_add_f32 v[46:47], v[46:47], v[140:141] neg_lo:[0,1] neg_hi:[0,1]
	ds_load_2addr_b64 v[140:143], v135 offset0:40 offset1:41
	s_wait_dscnt 0x0
	v_pk_mul_f32 v[132:133], v[140:141], v[130:131] op_sel:[0,1]
	v_pk_fma_f32 v[144:145], v[140:141], v[128:129], v[132:133] op_sel:[0,0,1] op_sel_hi:[1,1,0] neg_lo:[0,0,1] neg_hi:[0,0,1]
	v_pk_fma_f32 v[132:133], v[140:141], v[128:129], v[132:133] op_sel:[0,0,1] op_sel_hi:[1,0,0]
	s_delay_alu instid0(VALU_DEP_1) | instskip(SKIP_1) | instid1(VALU_DEP_1)
	v_mov_b32_e32 v145, v133
	v_pk_mul_f32 v[132:133], v[142:143], v[130:131] op_sel:[0,1]
	v_pk_fma_f32 v[140:141], v[142:143], v[128:129], v[132:133] op_sel:[0,0,1] op_sel_hi:[1,1,0] neg_lo:[0,0,1] neg_hi:[0,0,1]
	v_pk_fma_f32 v[132:133], v[142:143], v[128:129], v[132:133] op_sel:[0,0,1] op_sel_hi:[1,0,0]
	s_delay_alu instid0(VALU_DEP_1) | instskip(SKIP_1) | instid1(VALU_DEP_2)
	v_mov_b32_e32 v141, v133
	v_pk_add_f32 v[42:43], v[42:43], v[144:145] neg_lo:[0,1] neg_hi:[0,1]
	v_pk_add_f32 v[38:39], v[38:39], v[140:141] neg_lo:[0,1] neg_hi:[0,1]
	ds_load_2addr_b64 v[140:143], v135 offset0:42 offset1:43
	s_wait_dscnt 0x0
	v_pk_mul_f32 v[132:133], v[140:141], v[130:131] op_sel:[0,1]
	s_delay_alu instid0(VALU_DEP_1) | instskip(SKIP_1) | instid1(VALU_DEP_1)
	v_pk_fma_f32 v[144:145], v[140:141], v[128:129], v[132:133] op_sel:[0,0,1] op_sel_hi:[1,1,0] neg_lo:[0,0,1] neg_hi:[0,0,1]
	v_pk_fma_f32 v[132:133], v[140:141], v[128:129], v[132:133] op_sel:[0,0,1] op_sel_hi:[1,0,0]
	v_mov_b32_e32 v145, v133
	v_pk_mul_f32 v[132:133], v[142:143], v[130:131] op_sel:[0,1]
	s_delay_alu instid0(VALU_DEP_1) | instskip(SKIP_1) | instid1(VALU_DEP_1)
	v_pk_fma_f32 v[140:141], v[142:143], v[128:129], v[132:133] op_sel:[0,0,1] op_sel_hi:[1,1,0] neg_lo:[0,0,1] neg_hi:[0,0,1]
	v_pk_fma_f32 v[132:133], v[142:143], v[128:129], v[132:133] op_sel:[0,0,1] op_sel_hi:[1,0,0]
	v_mov_b32_e32 v141, v133
	v_pk_add_f32 v[40:41], v[40:41], v[144:145] neg_lo:[0,1] neg_hi:[0,1]
	s_delay_alu instid0(VALU_DEP_2) | instskip(SKIP_3) | instid1(VALU_DEP_1)
	v_pk_add_f32 v[36:37], v[36:37], v[140:141] neg_lo:[0,1] neg_hi:[0,1]
	ds_load_2addr_b64 v[140:143], v135 offset0:44 offset1:45
	s_wait_dscnt 0x0
	v_dual_mul_f32 v132, v141, v131 :: v_dual_mul_f32 v144, v141, v128
	v_pk_fma_f32 v[132:133], v[140:141], v[72:73], v[132:133] op_sel_hi:[1,1,0] neg_lo:[0,0,1] neg_hi:[0,0,1]
	s_delay_alu instid0(VALU_DEP_2) | instskip(NEXT) | instid1(VALU_DEP_1)
	v_pk_fma_f32 v[140:141], v[140:141], v[72:73], v[144:145] op_sel:[1,0,0] op_sel_hi:[0,1,0]
	v_mov_b32_e32 v133, v141
	s_delay_alu instid0(VALU_DEP_1) | instskip(SKIP_1) | instid1(VALU_DEP_1)
	v_pk_add_f32 v[34:35], v[34:35], v[132:133] neg_lo:[0,1] neg_hi:[0,1]
	v_pk_mul_f32 v[132:133], v[142:143], v[130:131] op_sel:[0,1]
	v_pk_fma_f32 v[140:141], v[142:143], v[128:129], v[132:133] op_sel:[0,0,1] op_sel_hi:[1,1,0] neg_lo:[0,0,1] neg_hi:[0,0,1]
	v_pk_fma_f32 v[132:133], v[142:143], v[128:129], v[132:133] op_sel:[0,0,1] op_sel_hi:[1,0,0]
	s_delay_alu instid0(VALU_DEP_1) | instskip(NEXT) | instid1(VALU_DEP_1)
	v_mov_b32_e32 v141, v133
	v_pk_add_f32 v[30:31], v[30:31], v[140:141] neg_lo:[0,1] neg_hi:[0,1]
	ds_load_2addr_b64 v[140:143], v135 offset0:46 offset1:47
	s_wait_dscnt 0x0
	v_pk_mul_f32 v[132:133], v[140:141], v[130:131] op_sel:[0,1]
	s_delay_alu instid0(VALU_DEP_1) | instskip(SKIP_1) | instid1(VALU_DEP_1)
	v_pk_fma_f32 v[144:145], v[140:141], v[128:129], v[132:133] op_sel:[0,0,1] op_sel_hi:[1,1,0] neg_lo:[0,0,1] neg_hi:[0,0,1]
	v_pk_fma_f32 v[132:133], v[140:141], v[128:129], v[132:133] op_sel:[0,0,1] op_sel_hi:[1,0,0]
	v_mov_b32_e32 v145, v133
	v_pk_mul_f32 v[132:133], v[142:143], v[130:131] op_sel:[0,1]
	s_delay_alu instid0(VALU_DEP_2) | instskip(NEXT) | instid1(VALU_DEP_2)
	v_pk_add_f32 v[32:33], v[32:33], v[144:145] neg_lo:[0,1] neg_hi:[0,1]
	v_pk_fma_f32 v[140:141], v[142:143], v[128:129], v[132:133] op_sel:[0,0,1] op_sel_hi:[1,1,0] neg_lo:[0,0,1] neg_hi:[0,0,1]
	v_pk_fma_f32 v[132:133], v[142:143], v[128:129], v[132:133] op_sel:[0,0,1] op_sel_hi:[1,0,0]
	s_delay_alu instid0(VALU_DEP_1) | instskip(NEXT) | instid1(VALU_DEP_1)
	v_mov_b32_e32 v141, v133
	v_pk_add_f32 v[28:29], v[28:29], v[140:141] neg_lo:[0,1] neg_hi:[0,1]
	ds_load_2addr_b64 v[140:143], v135 offset0:48 offset1:49
	s_wait_dscnt 0x0
	v_pk_mul_f32 v[132:133], v[140:141], v[130:131] op_sel:[0,1]
	s_delay_alu instid0(VALU_DEP_1) | instskip(SKIP_2) | instid1(VALU_DEP_2)
	v_pk_fma_f32 v[144:145], v[140:141], v[128:129], v[132:133] op_sel:[0,0,1] op_sel_hi:[1,1,0] neg_lo:[0,0,1] neg_hi:[0,0,1]
	v_pk_fma_f32 v[132:133], v[140:141], v[128:129], v[132:133] op_sel:[0,0,1] op_sel_hi:[1,0,0]
	v_dual_mul_f32 v140, v143, v131 :: v_dual_mov_b32 v132, v143
	v_dual_mov_b32 v145, v133 :: v_dual_mov_b32 v133, v142
	s_delay_alu instid0(VALU_DEP_2) | instskip(SKIP_1) | instid1(VALU_DEP_3)
	v_pk_fma_f32 v[140:141], v[142:143], v[72:73], v[140:141] op_sel_hi:[1,1,0] neg_lo:[0,0,1] neg_hi:[0,0,1]
	v_mul_f32_e32 v142, v143, v128
	v_pk_add_f32 v[26:27], v[26:27], v[144:145] neg_lo:[0,1] neg_hi:[0,1]
	s_delay_alu instid0(VALU_DEP_2) | instskip(NEXT) | instid1(VALU_DEP_1)
	v_pk_fma_f32 v[132:133], v[132:133], v[72:73], v[142:143] op_sel_hi:[1,1,0]
	v_mov_b32_e32 v141, v133
	s_delay_alu instid0(VALU_DEP_1) | instskip(SKIP_3) | instid1(VALU_DEP_1)
	v_pk_add_f32 v[22:23], v[22:23], v[140:141] neg_lo:[0,1] neg_hi:[0,1]
	ds_load_2addr_b64 v[140:143], v135 offset0:50 offset1:51
	s_wait_dscnt 0x0
	v_pk_mul_f32 v[132:133], v[140:141], v[130:131] op_sel:[0,1]
	v_pk_fma_f32 v[144:145], v[140:141], v[128:129], v[132:133] op_sel:[0,0,1] op_sel_hi:[1,1,0] neg_lo:[0,0,1] neg_hi:[0,0,1]
	v_pk_fma_f32 v[132:133], v[140:141], v[128:129], v[132:133] op_sel:[0,0,1] op_sel_hi:[1,0,0]
	s_delay_alu instid0(VALU_DEP_1) | instskip(SKIP_1) | instid1(VALU_DEP_1)
	v_mov_b32_e32 v145, v133
	v_pk_mul_f32 v[132:133], v[142:143], v[130:131] op_sel:[0,1]
	v_pk_fma_f32 v[140:141], v[142:143], v[128:129], v[132:133] op_sel:[0,0,1] op_sel_hi:[1,1,0] neg_lo:[0,0,1] neg_hi:[0,0,1]
	v_pk_fma_f32 v[132:133], v[142:143], v[128:129], v[132:133] op_sel:[0,0,1] op_sel_hi:[1,0,0]
	s_delay_alu instid0(VALU_DEP_1) | instskip(SKIP_1) | instid1(VALU_DEP_2)
	v_mov_b32_e32 v141, v133
	v_pk_add_f32 v[24:25], v[24:25], v[144:145] neg_lo:[0,1] neg_hi:[0,1]
	v_pk_add_f32 v[44:45], v[44:45], v[140:141] neg_lo:[0,1] neg_hi:[0,1]
	ds_load_2addr_b64 v[140:143], v135 offset0:52 offset1:53
	s_wait_dscnt 0x0
	v_pk_mul_f32 v[132:133], v[140:141], v[130:131] op_sel:[0,1]
	s_delay_alu instid0(VALU_DEP_1) | instskip(SKIP_1) | instid1(VALU_DEP_1)
	v_pk_fma_f32 v[144:145], v[140:141], v[128:129], v[132:133] op_sel:[0,0,1] op_sel_hi:[1,1,0] neg_lo:[0,0,1] neg_hi:[0,0,1]
	v_pk_fma_f32 v[132:133], v[140:141], v[128:129], v[132:133] op_sel:[0,0,1] op_sel_hi:[1,0,0]
	v_mov_b32_e32 v145, v133
	v_pk_mul_f32 v[132:133], v[142:143], v[130:131] op_sel:[0,1]
	s_delay_alu instid0(VALU_DEP_1) | instskip(SKIP_1) | instid1(VALU_DEP_1)
	v_pk_fma_f32 v[140:141], v[142:143], v[128:129], v[132:133] op_sel:[0,0,1] op_sel_hi:[1,1,0] neg_lo:[0,0,1] neg_hi:[0,0,1]
	v_pk_fma_f32 v[132:133], v[142:143], v[128:129], v[132:133] op_sel:[0,0,1] op_sel_hi:[1,0,0]
	v_mov_b32_e32 v141, v133
	v_pk_add_f32 v[16:17], v[16:17], v[144:145] neg_lo:[0,1] neg_hi:[0,1]
	s_delay_alu instid0(VALU_DEP_2) | instskip(SKIP_3) | instid1(VALU_DEP_1)
	v_pk_add_f32 v[12:13], v[12:13], v[140:141] neg_lo:[0,1] neg_hi:[0,1]
	ds_load_2addr_b64 v[140:143], v135 offset0:54 offset1:55
	s_wait_dscnt 0x0
	v_dual_mul_f32 v132, v141, v131 :: v_dual_mul_f32 v144, v141, v128
	v_pk_fma_f32 v[132:133], v[140:141], v[72:73], v[132:133] op_sel_hi:[1,1,0] neg_lo:[0,0,1] neg_hi:[0,0,1]
	s_delay_alu instid0(VALU_DEP_2) | instskip(NEXT) | instid1(VALU_DEP_1)
	v_pk_fma_f32 v[140:141], v[140:141], v[72:73], v[144:145] op_sel:[1,0,0] op_sel_hi:[0,1,0]
	v_mov_b32_e32 v133, v141
	s_delay_alu instid0(VALU_DEP_1) | instskip(SKIP_1) | instid1(VALU_DEP_1)
	v_pk_add_f32 v[14:15], v[14:15], v[132:133] neg_lo:[0,1] neg_hi:[0,1]
	v_pk_mul_f32 v[132:133], v[142:143], v[130:131] op_sel:[0,1]
	v_pk_fma_f32 v[140:141], v[142:143], v[128:129], v[132:133] op_sel:[0,0,1] op_sel_hi:[1,1,0] neg_lo:[0,0,1] neg_hi:[0,0,1]
	v_pk_fma_f32 v[132:133], v[142:143], v[128:129], v[132:133] op_sel:[0,0,1] op_sel_hi:[1,0,0]
	s_delay_alu instid0(VALU_DEP_1) | instskip(NEXT) | instid1(VALU_DEP_1)
	v_mov_b32_e32 v141, v133
	v_pk_add_f32 v[10:11], v[10:11], v[140:141] neg_lo:[0,1] neg_hi:[0,1]
	ds_load_2addr_b64 v[140:143], v135 offset0:56 offset1:57
	s_wait_dscnt 0x0
	v_pk_mul_f32 v[132:133], v[140:141], v[130:131] op_sel:[0,1]
	s_delay_alu instid0(VALU_DEP_1) | instskip(SKIP_1) | instid1(VALU_DEP_1)
	v_pk_fma_f32 v[144:145], v[140:141], v[128:129], v[132:133] op_sel:[0,0,1] op_sel_hi:[1,1,0] neg_lo:[0,0,1] neg_hi:[0,0,1]
	v_pk_fma_f32 v[132:133], v[140:141], v[128:129], v[132:133] op_sel:[0,0,1] op_sel_hi:[1,0,0]
	v_mov_b32_e32 v145, v133
	v_pk_mul_f32 v[132:133], v[142:143], v[130:131] op_sel:[0,1]
	s_delay_alu instid0(VALU_DEP_2) | instskip(NEXT) | instid1(VALU_DEP_2)
	v_pk_add_f32 v[6:7], v[6:7], v[144:145] neg_lo:[0,1] neg_hi:[0,1]
	v_pk_fma_f32 v[140:141], v[142:143], v[128:129], v[132:133] op_sel:[0,0,1] op_sel_hi:[1,1,0] neg_lo:[0,0,1] neg_hi:[0,0,1]
	v_pk_fma_f32 v[132:133], v[142:143], v[128:129], v[132:133] op_sel:[0,0,1] op_sel_hi:[1,0,0]
	s_delay_alu instid0(VALU_DEP_1) | instskip(NEXT) | instid1(VALU_DEP_1)
	v_mov_b32_e32 v141, v133
	v_pk_add_f32 v[20:21], v[20:21], v[140:141] neg_lo:[0,1] neg_hi:[0,1]
	ds_load_2addr_b64 v[140:143], v135 offset0:58 offset1:59
	s_wait_dscnt 0x0
	v_pk_mul_f32 v[132:133], v[140:141], v[130:131] op_sel:[0,1]
	s_delay_alu instid0(VALU_DEP_1) | instskip(SKIP_2) | instid1(VALU_DEP_2)
	v_pk_fma_f32 v[144:145], v[140:141], v[128:129], v[132:133] op_sel:[0,0,1] op_sel_hi:[1,1,0] neg_lo:[0,0,1] neg_hi:[0,0,1]
	v_pk_fma_f32 v[132:133], v[140:141], v[128:129], v[132:133] op_sel:[0,0,1] op_sel_hi:[1,0,0]
	v_dual_mul_f32 v140, v143, v131 :: v_dual_mov_b32 v132, v143
	v_dual_mov_b32 v145, v133 :: v_dual_mov_b32 v133, v142
	s_delay_alu instid0(VALU_DEP_2) | instskip(SKIP_1) | instid1(VALU_DEP_3)
	v_pk_fma_f32 v[140:141], v[142:143], v[72:73], v[140:141] op_sel_hi:[1,1,0] neg_lo:[0,0,1] neg_hi:[0,0,1]
	v_mul_f32_e32 v142, v143, v128
	v_pk_add_f32 v[18:19], v[18:19], v[144:145] neg_lo:[0,1] neg_hi:[0,1]
	s_delay_alu instid0(VALU_DEP_2) | instskip(NEXT) | instid1(VALU_DEP_1)
	v_pk_fma_f32 v[132:133], v[132:133], v[72:73], v[142:143] op_sel_hi:[1,1,0]
	v_mov_b32_e32 v141, v133
	ds_load_b64 v[132:133], v135 offset:480
	v_pk_add_f32 v[8:9], v[8:9], v[140:141] neg_lo:[0,1] neg_hi:[0,1]
	s_wait_dscnt 0x0
	v_pk_mul_f32 v[130:131], v[132:133], v[130:131] op_sel:[0,1]
	s_delay_alu instid0(VALU_DEP_1) | instskip(SKIP_1) | instid1(VALU_DEP_1)
	v_pk_fma_f32 v[140:141], v[132:133], v[128:129], v[130:131] op_sel:[0,0,1] op_sel_hi:[1,1,0] neg_lo:[0,0,1] neg_hi:[0,0,1]
	v_pk_fma_f32 v[128:129], v[132:133], v[128:129], v[130:131] op_sel:[0,0,1] op_sel_hi:[1,0,0]
	v_mov_b32_e32 v141, v129
	s_delay_alu instid0(VALU_DEP_1)
	v_pk_add_f32 v[126:127], v[126:127], v[140:141] neg_lo:[0,1] neg_hi:[0,1]
.LBB120_545:
	s_or_b32 exec_lo, exec_lo, s0
	v_lshl_add_u32 v128, v138, 3, v135
	s_barrier_signal -1
	s_barrier_wait -1
	ds_store_b64 v128, v[74:75]
	s_wait_dscnt 0x0
	s_barrier_signal -1
	s_barrier_wait -1
	ds_load_b64 v[130:131], v135 offset:208
	v_mov_b32_e32 v128, 26
	s_cmp_lt_i32 s18, 28
	s_cbranch_scc1 .LBB120_548
; %bb.546:
	v_add3_u32 v129, v136, 0, 0xd8
	v_mov_b32_e32 v128, 26
	s_mov_b32 s0, 27
.LBB120_547:                            ; =>This Inner Loop Header: Depth=1
	ds_load_b64 v[132:133], v129
	s_wait_dscnt 0x1
	v_cmp_gt_f32_e32 vcc_lo, 0, v130
	v_cndmask_b32_e64 v140, v130, -v130, vcc_lo
	v_cmp_gt_f32_e32 vcc_lo, 0, v131
	v_cndmask_b32_e64 v142, v131, -v131, vcc_lo
	s_wait_dscnt 0x0
	v_cmp_gt_f32_e32 vcc_lo, 0, v132
	v_cndmask_b32_e64 v141, v132, -v132, vcc_lo
	v_cmp_gt_f32_e32 vcc_lo, 0, v133
	v_cndmask_b32_e64 v143, v133, -v133, vcc_lo
	s_delay_alu instid0(VALU_DEP_1) | instskip(NEXT) | instid1(VALU_DEP_1)
	v_pk_add_f32 v[140:141], v[140:141], v[142:143]
	v_cmp_lt_f32_e32 vcc_lo, v140, v141
	v_dual_cndmask_b32 v130, v130, v132 :: v_dual_add_nc_u32 v129, 8, v129
	v_cndmask_b32_e32 v131, v131, v133, vcc_lo
	v_cndmask_b32_e64 v128, v128, s0, vcc_lo
	s_add_co_i32 s0, s0, 1
	s_delay_alu instid0(SALU_CYCLE_1)
	s_cmp_lg_u32 s18, s0
	s_cbranch_scc1 .LBB120_547
.LBB120_548:
	s_wait_dscnt 0x0
	v_cmp_eq_f32_e32 vcc_lo, 0, v130
	v_cmp_eq_f32_e64 s0, 0, v131
	s_and_b32 s0, vcc_lo, s0
	s_delay_alu instid0(SALU_CYCLE_1) | instskip(NEXT) | instid1(SALU_CYCLE_1)
	s_and_saveexec_b32 s1, s0
	s_xor_b32 s0, exec_lo, s1
; %bb.549:
	v_cmp_ne_u32_e32 vcc_lo, 0, v134
	v_cndmask_b32_e32 v134, 27, v134, vcc_lo
; %bb.550:
	s_and_not1_saveexec_b32 s0, s0
	s_cbranch_execz .LBB120_556
; %bb.551:
	v_cmp_ngt_f32_e64 s1, |v130|, |v131|
	s_and_saveexec_b32 s12, s1
	s_delay_alu instid0(SALU_CYCLE_1)
	s_xor_b32 s1, exec_lo, s12
	s_cbranch_execz .LBB120_553
; %bb.552:
	v_div_scale_f32 v129, null, v131, v131, v130
	v_div_scale_f32 v139, vcc_lo, v130, v131, v130
	s_delay_alu instid0(VALU_DEP_2) | instskip(SKIP_1) | instid1(TRANS32_DEP_1)
	v_rcp_f32_e32 v132, v129
	v_nop
	v_fma_f32 v133, -v129, v132, 1.0
	s_delay_alu instid0(VALU_DEP_1) | instskip(NEXT) | instid1(VALU_DEP_1)
	v_fmac_f32_e32 v132, v133, v132
	v_mul_f32_e32 v133, v139, v132
	s_delay_alu instid0(VALU_DEP_1) | instskip(NEXT) | instid1(VALU_DEP_1)
	v_fma_f32 v140, -v129, v133, v139
	v_fmac_f32_e32 v133, v140, v132
	s_delay_alu instid0(VALU_DEP_1) | instskip(NEXT) | instid1(VALU_DEP_1)
	v_fma_f32 v129, -v129, v133, v139
	v_div_fmas_f32 v129, v129, v132, v133
	s_delay_alu instid0(VALU_DEP_1) | instskip(NEXT) | instid1(VALU_DEP_1)
	v_div_fixup_f32 v129, v129, v131, v130
	v_fmac_f32_e32 v131, v130, v129
	s_delay_alu instid0(VALU_DEP_1) | instskip(SKIP_1) | instid1(VALU_DEP_2)
	v_div_scale_f32 v130, null, v131, v131, 1.0
	v_div_scale_f32 v139, vcc_lo, 1.0, v131, 1.0
	v_rcp_f32_e32 v132, v130
	v_nop
	s_delay_alu instid0(TRANS32_DEP_1) | instskip(NEXT) | instid1(VALU_DEP_1)
	v_fma_f32 v133, -v130, v132, 1.0
	v_fmac_f32_e32 v132, v133, v132
	s_delay_alu instid0(VALU_DEP_1) | instskip(NEXT) | instid1(VALU_DEP_1)
	v_mul_f32_e32 v133, v139, v132
	v_fma_f32 v140, -v130, v133, v139
	s_delay_alu instid0(VALU_DEP_1) | instskip(NEXT) | instid1(VALU_DEP_1)
	v_fmac_f32_e32 v133, v140, v132
	v_fma_f32 v130, -v130, v133, v139
	s_delay_alu instid0(VALU_DEP_1) | instskip(NEXT) | instid1(VALU_DEP_1)
	v_div_fmas_f32 v130, v130, v132, v133
	v_div_fixup_f32 v131, v130, v131, 1.0
	s_delay_alu instid0(VALU_DEP_1)
	v_mul_f32_e32 v130, v129, v131
	v_xor_b32_e32 v131, 0x80000000, v131
.LBB120_553:
	s_and_not1_saveexec_b32 s1, s1
	s_cbranch_execz .LBB120_555
; %bb.554:
	s_delay_alu instid0(VALU_DEP_1) | instskip(SKIP_1) | instid1(VALU_DEP_2)
	v_div_scale_f32 v129, null, v130, v130, v131
	v_div_scale_f32 v139, vcc_lo, v131, v130, v131
	v_rcp_f32_e32 v132, v129
	v_nop
	s_delay_alu instid0(TRANS32_DEP_1) | instskip(NEXT) | instid1(VALU_DEP_1)
	v_fma_f32 v133, -v129, v132, 1.0
	v_fmac_f32_e32 v132, v133, v132
	s_delay_alu instid0(VALU_DEP_1) | instskip(NEXT) | instid1(VALU_DEP_1)
	v_mul_f32_e32 v133, v139, v132
	v_fma_f32 v140, -v129, v133, v139
	s_delay_alu instid0(VALU_DEP_1) | instskip(NEXT) | instid1(VALU_DEP_1)
	v_fmac_f32_e32 v133, v140, v132
	v_fma_f32 v129, -v129, v133, v139
	s_delay_alu instid0(VALU_DEP_1) | instskip(NEXT) | instid1(VALU_DEP_1)
	v_div_fmas_f32 v129, v129, v132, v133
	v_div_fixup_f32 v129, v129, v130, v131
	s_delay_alu instid0(VALU_DEP_1) | instskip(NEXT) | instid1(VALU_DEP_1)
	v_fmac_f32_e32 v130, v131, v129
	v_div_scale_f32 v131, null, v130, v130, 1.0
	s_delay_alu instid0(VALU_DEP_1) | instskip(SKIP_1) | instid1(TRANS32_DEP_1)
	v_rcp_f32_e32 v132, v131
	v_nop
	v_fma_f32 v133, -v131, v132, 1.0
	s_delay_alu instid0(VALU_DEP_1) | instskip(SKIP_1) | instid1(VALU_DEP_1)
	v_fmac_f32_e32 v132, v133, v132
	v_div_scale_f32 v133, vcc_lo, 1.0, v130, 1.0
	v_mul_f32_e32 v139, v133, v132
	s_delay_alu instid0(VALU_DEP_1) | instskip(NEXT) | instid1(VALU_DEP_1)
	v_fma_f32 v140, -v131, v139, v133
	v_fmac_f32_e32 v139, v140, v132
	s_delay_alu instid0(VALU_DEP_1) | instskip(NEXT) | instid1(VALU_DEP_1)
	v_fma_f32 v131, -v131, v139, v133
	v_div_fmas_f32 v131, v131, v132, v139
	s_delay_alu instid0(VALU_DEP_1) | instskip(NEXT) | instid1(VALU_DEP_1)
	v_div_fixup_f32 v130, v131, v130, 1.0
	v_mul_f32_e64 v131, v129, -v130
.LBB120_555:
	s_or_b32 exec_lo, exec_lo, s1
.LBB120_556:
	s_delay_alu instid0(SALU_CYCLE_1) | instskip(NEXT) | instid1(SALU_CYCLE_1)
	s_or_b32 exec_lo, exec_lo, s0
	s_mov_b32 s0, exec_lo
	v_cmpx_ne_u32_e64 v138, v128
	s_xor_b32 s0, exec_lo, s0
	s_cbranch_execz .LBB120_562
; %bb.557:
	s_mov_b32 s1, exec_lo
	v_cmpx_eq_u32_e32 26, v138
	s_cbranch_execz .LBB120_561
; %bb.558:
	v_cmp_ne_u32_e32 vcc_lo, 26, v128
	s_xor_b32 s12, s16, -1
	s_delay_alu instid0(SALU_CYCLE_1) | instskip(NEXT) | instid1(SALU_CYCLE_1)
	s_and_b32 s13, s12, vcc_lo
	s_and_saveexec_b32 s12, s13
	s_cbranch_execz .LBB120_560
; %bb.559:
	v_ashrrev_i32_e32 v129, 31, v128
	s_delay_alu instid0(VALU_DEP_1)
	v_lshl_add_u64 v[132:133], v[128:129], 2, v[4:5]
	s_clause 0x1
	global_load_b32 v129, v[132:133], off
	global_load_b32 v137, v[4:5], off offset:104
	s_wait_loadcnt 0x1
	global_store_b32 v[4:5], v129, off offset:104
	s_wait_loadcnt 0x0
	global_store_b32 v[132:133], v137, off
.LBB120_560:
	s_wait_xcnt 0x0
	s_or_b32 exec_lo, exec_lo, s12
	v_dual_mov_b32 v138, v128 :: v_dual_mov_b32 v137, v128
.LBB120_561:
	s_or_b32 exec_lo, exec_lo, s1
.LBB120_562:
	s_and_not1_saveexec_b32 s0, s0
	s_cbranch_execz .LBB120_564
; %bb.563:
	v_mov_b32_e32 v138, 26
	ds_store_2addr_b64 v135, v[70:71], v[68:69] offset0:27 offset1:28
	ds_store_2addr_b64 v135, v[64:65], v[66:67] offset0:29 offset1:30
	;; [unrolled: 1-line block ×17, first 2 shown]
.LBB120_564:
	s_or_b32 exec_lo, exec_lo, s0
	s_delay_alu instid0(SALU_CYCLE_1)
	s_mov_b32 s0, exec_lo
	s_wait_storecnt_dscnt 0x0
	s_barrier_signal -1
	s_barrier_wait -1
	v_cmpx_lt_i32_e32 26, v138
	s_cbranch_execz .LBB120_566
; %bb.565:
	ds_load_2addr_b64 v[140:143], v135 offset0:27 offset1:28
	v_pk_mul_f32 v[132:133], v[130:131], v[74:75] op_sel:[1,1] op_sel_hi:[0,1]
	s_delay_alu instid0(VALU_DEP_1) | instskip(SKIP_1) | instid1(VALU_DEP_1)
	v_pk_fma_f32 v[128:129], v[130:131], v[74:75], v[132:133] op_sel_hi:[1,0,1] neg_lo:[0,0,1] neg_hi:[0,0,1]
	v_pk_fma_f32 v[130:131], v[130:131], v[74:75], v[132:133] op_sel_hi:[1,0,1]
	v_dual_mov_b32 v74, v128 :: v_dual_mov_b32 v75, v131
	s_wait_dscnt 0x0
	s_delay_alu instid0(VALU_DEP_2) | instskip(NEXT) | instid1(VALU_DEP_1)
	v_pk_mul_f32 v[132:133], v[140:141], v[130:131] op_sel:[0,1]
	v_pk_fma_f32 v[144:145], v[140:141], v[128:129], v[132:133] op_sel:[0,0,1] op_sel_hi:[1,1,0] neg_lo:[0,0,1] neg_hi:[0,0,1]
	v_pk_fma_f32 v[132:133], v[140:141], v[128:129], v[132:133] op_sel:[0,0,1] op_sel_hi:[1,0,0]
	s_delay_alu instid0(VALU_DEP_1) | instskip(SKIP_1) | instid1(VALU_DEP_1)
	v_mov_b32_e32 v145, v133
	v_pk_mul_f32 v[132:133], v[142:143], v[130:131] op_sel:[0,1]
	v_pk_fma_f32 v[140:141], v[142:143], v[128:129], v[132:133] op_sel:[0,0,1] op_sel_hi:[1,1,0] neg_lo:[0,0,1] neg_hi:[0,0,1]
	v_pk_fma_f32 v[132:133], v[142:143], v[128:129], v[132:133] op_sel:[0,0,1] op_sel_hi:[1,0,0]
	s_delay_alu instid0(VALU_DEP_1) | instskip(SKIP_1) | instid1(VALU_DEP_2)
	v_mov_b32_e32 v141, v133
	v_pk_add_f32 v[70:71], v[70:71], v[144:145] neg_lo:[0,1] neg_hi:[0,1]
	v_pk_add_f32 v[68:69], v[68:69], v[140:141] neg_lo:[0,1] neg_hi:[0,1]
	ds_load_2addr_b64 v[140:143], v135 offset0:29 offset1:30
	s_wait_dscnt 0x0
	v_pk_mul_f32 v[132:133], v[140:141], v[130:131] op_sel:[0,1]
	s_delay_alu instid0(VALU_DEP_1) | instskip(SKIP_2) | instid1(VALU_DEP_2)
	v_pk_fma_f32 v[144:145], v[140:141], v[128:129], v[132:133] op_sel:[0,0,1] op_sel_hi:[1,1,0] neg_lo:[0,0,1] neg_hi:[0,0,1]
	v_pk_fma_f32 v[132:133], v[140:141], v[128:129], v[132:133] op_sel:[0,0,1] op_sel_hi:[1,0,0]
	v_dual_mul_f32 v140, v143, v131 :: v_dual_mov_b32 v132, v143
	v_dual_mov_b32 v145, v133 :: v_dual_mov_b32 v133, v142
	s_delay_alu instid0(VALU_DEP_2) | instskip(SKIP_1) | instid1(VALU_DEP_3)
	v_pk_fma_f32 v[140:141], v[142:143], v[74:75], v[140:141] op_sel_hi:[1,1,0] neg_lo:[0,0,1] neg_hi:[0,0,1]
	v_mul_f32_e32 v142, v143, v128
	v_pk_add_f32 v[64:65], v[64:65], v[144:145] neg_lo:[0,1] neg_hi:[0,1]
	s_delay_alu instid0(VALU_DEP_2) | instskip(NEXT) | instid1(VALU_DEP_1)
	v_pk_fma_f32 v[132:133], v[132:133], v[74:75], v[142:143] op_sel_hi:[1,1,0]
	v_mov_b32_e32 v141, v133
	s_delay_alu instid0(VALU_DEP_1) | instskip(SKIP_3) | instid1(VALU_DEP_1)
	v_pk_add_f32 v[66:67], v[66:67], v[140:141] neg_lo:[0,1] neg_hi:[0,1]
	ds_load_2addr_b64 v[140:143], v135 offset0:31 offset1:32
	s_wait_dscnt 0x0
	v_pk_mul_f32 v[132:133], v[140:141], v[130:131] op_sel:[0,1]
	v_pk_fma_f32 v[144:145], v[140:141], v[128:129], v[132:133] op_sel:[0,0,1] op_sel_hi:[1,1,0] neg_lo:[0,0,1] neg_hi:[0,0,1]
	v_pk_fma_f32 v[132:133], v[140:141], v[128:129], v[132:133] op_sel:[0,0,1] op_sel_hi:[1,0,0]
	s_delay_alu instid0(VALU_DEP_1) | instskip(SKIP_1) | instid1(VALU_DEP_1)
	v_mov_b32_e32 v145, v133
	v_pk_mul_f32 v[132:133], v[142:143], v[130:131] op_sel:[0,1]
	v_pk_fma_f32 v[140:141], v[142:143], v[128:129], v[132:133] op_sel:[0,0,1] op_sel_hi:[1,1,0] neg_lo:[0,0,1] neg_hi:[0,0,1]
	v_pk_fma_f32 v[132:133], v[142:143], v[128:129], v[132:133] op_sel:[0,0,1] op_sel_hi:[1,0,0]
	s_delay_alu instid0(VALU_DEP_1) | instskip(SKIP_1) | instid1(VALU_DEP_2)
	v_mov_b32_e32 v141, v133
	v_pk_add_f32 v[62:63], v[62:63], v[144:145] neg_lo:[0,1] neg_hi:[0,1]
	v_pk_add_f32 v[60:61], v[60:61], v[140:141] neg_lo:[0,1] neg_hi:[0,1]
	ds_load_2addr_b64 v[140:143], v135 offset0:33 offset1:34
	s_wait_dscnt 0x0
	v_pk_mul_f32 v[132:133], v[140:141], v[130:131] op_sel:[0,1]
	s_delay_alu instid0(VALU_DEP_1) | instskip(SKIP_1) | instid1(VALU_DEP_1)
	v_pk_fma_f32 v[144:145], v[140:141], v[128:129], v[132:133] op_sel:[0,0,1] op_sel_hi:[1,1,0] neg_lo:[0,0,1] neg_hi:[0,0,1]
	v_pk_fma_f32 v[132:133], v[140:141], v[128:129], v[132:133] op_sel:[0,0,1] op_sel_hi:[1,0,0]
	v_mov_b32_e32 v145, v133
	v_pk_mul_f32 v[132:133], v[142:143], v[130:131] op_sel:[0,1]
	s_delay_alu instid0(VALU_DEP_1) | instskip(SKIP_1) | instid1(VALU_DEP_1)
	v_pk_fma_f32 v[140:141], v[142:143], v[128:129], v[132:133] op_sel:[0,0,1] op_sel_hi:[1,1,0] neg_lo:[0,0,1] neg_hi:[0,0,1]
	v_pk_fma_f32 v[132:133], v[142:143], v[128:129], v[132:133] op_sel:[0,0,1] op_sel_hi:[1,0,0]
	v_mov_b32_e32 v141, v133
	v_pk_add_f32 v[56:57], v[56:57], v[144:145] neg_lo:[0,1] neg_hi:[0,1]
	s_delay_alu instid0(VALU_DEP_2) | instskip(SKIP_3) | instid1(VALU_DEP_1)
	v_pk_add_f32 v[58:59], v[58:59], v[140:141] neg_lo:[0,1] neg_hi:[0,1]
	ds_load_2addr_b64 v[140:143], v135 offset0:35 offset1:36
	s_wait_dscnt 0x0
	v_dual_mul_f32 v132, v141, v131 :: v_dual_mul_f32 v144, v141, v128
	v_pk_fma_f32 v[132:133], v[140:141], v[74:75], v[132:133] op_sel_hi:[1,1,0] neg_lo:[0,0,1] neg_hi:[0,0,1]
	s_delay_alu instid0(VALU_DEP_2) | instskip(NEXT) | instid1(VALU_DEP_1)
	v_pk_fma_f32 v[140:141], v[140:141], v[74:75], v[144:145] op_sel:[1,0,0] op_sel_hi:[0,1,0]
	v_mov_b32_e32 v133, v141
	s_delay_alu instid0(VALU_DEP_1) | instskip(SKIP_1) | instid1(VALU_DEP_1)
	v_pk_add_f32 v[54:55], v[54:55], v[132:133] neg_lo:[0,1] neg_hi:[0,1]
	v_pk_mul_f32 v[132:133], v[142:143], v[130:131] op_sel:[0,1]
	v_pk_fma_f32 v[140:141], v[142:143], v[128:129], v[132:133] op_sel:[0,0,1] op_sel_hi:[1,1,0] neg_lo:[0,0,1] neg_hi:[0,0,1]
	v_pk_fma_f32 v[132:133], v[142:143], v[128:129], v[132:133] op_sel:[0,0,1] op_sel_hi:[1,0,0]
	s_delay_alu instid0(VALU_DEP_1) | instskip(NEXT) | instid1(VALU_DEP_1)
	v_mov_b32_e32 v141, v133
	v_pk_add_f32 v[52:53], v[52:53], v[140:141] neg_lo:[0,1] neg_hi:[0,1]
	ds_load_2addr_b64 v[140:143], v135 offset0:37 offset1:38
	s_wait_dscnt 0x0
	v_pk_mul_f32 v[132:133], v[140:141], v[130:131] op_sel:[0,1]
	s_delay_alu instid0(VALU_DEP_1) | instskip(SKIP_1) | instid1(VALU_DEP_1)
	v_pk_fma_f32 v[144:145], v[140:141], v[128:129], v[132:133] op_sel:[0,0,1] op_sel_hi:[1,1,0] neg_lo:[0,0,1] neg_hi:[0,0,1]
	v_pk_fma_f32 v[132:133], v[140:141], v[128:129], v[132:133] op_sel:[0,0,1] op_sel_hi:[1,0,0]
	v_mov_b32_e32 v145, v133
	v_pk_mul_f32 v[132:133], v[142:143], v[130:131] op_sel:[0,1]
	s_delay_alu instid0(VALU_DEP_2) | instskip(NEXT) | instid1(VALU_DEP_2)
	v_pk_add_f32 v[48:49], v[48:49], v[144:145] neg_lo:[0,1] neg_hi:[0,1]
	v_pk_fma_f32 v[140:141], v[142:143], v[128:129], v[132:133] op_sel:[0,0,1] op_sel_hi:[1,1,0] neg_lo:[0,0,1] neg_hi:[0,0,1]
	v_pk_fma_f32 v[132:133], v[142:143], v[128:129], v[132:133] op_sel:[0,0,1] op_sel_hi:[1,0,0]
	s_delay_alu instid0(VALU_DEP_1) | instskip(NEXT) | instid1(VALU_DEP_1)
	v_mov_b32_e32 v141, v133
	v_pk_add_f32 v[50:51], v[50:51], v[140:141] neg_lo:[0,1] neg_hi:[0,1]
	ds_load_2addr_b64 v[140:143], v135 offset0:39 offset1:40
	s_wait_dscnt 0x0
	v_pk_mul_f32 v[132:133], v[140:141], v[130:131] op_sel:[0,1]
	s_delay_alu instid0(VALU_DEP_1) | instskip(SKIP_2) | instid1(VALU_DEP_2)
	v_pk_fma_f32 v[144:145], v[140:141], v[128:129], v[132:133] op_sel:[0,0,1] op_sel_hi:[1,1,0] neg_lo:[0,0,1] neg_hi:[0,0,1]
	v_pk_fma_f32 v[132:133], v[140:141], v[128:129], v[132:133] op_sel:[0,0,1] op_sel_hi:[1,0,0]
	v_dual_mul_f32 v140, v143, v131 :: v_dual_mov_b32 v132, v143
	v_dual_mov_b32 v145, v133 :: v_dual_mov_b32 v133, v142
	s_delay_alu instid0(VALU_DEP_2) | instskip(SKIP_1) | instid1(VALU_DEP_3)
	v_pk_fma_f32 v[140:141], v[142:143], v[74:75], v[140:141] op_sel_hi:[1,1,0] neg_lo:[0,0,1] neg_hi:[0,0,1]
	v_mul_f32_e32 v142, v143, v128
	v_pk_add_f32 v[46:47], v[46:47], v[144:145] neg_lo:[0,1] neg_hi:[0,1]
	s_delay_alu instid0(VALU_DEP_2) | instskip(NEXT) | instid1(VALU_DEP_1)
	v_pk_fma_f32 v[132:133], v[132:133], v[74:75], v[142:143] op_sel_hi:[1,1,0]
	v_mov_b32_e32 v141, v133
	s_delay_alu instid0(VALU_DEP_1) | instskip(SKIP_3) | instid1(VALU_DEP_1)
	v_pk_add_f32 v[42:43], v[42:43], v[140:141] neg_lo:[0,1] neg_hi:[0,1]
	ds_load_2addr_b64 v[140:143], v135 offset0:41 offset1:42
	s_wait_dscnt 0x0
	v_pk_mul_f32 v[132:133], v[140:141], v[130:131] op_sel:[0,1]
	v_pk_fma_f32 v[144:145], v[140:141], v[128:129], v[132:133] op_sel:[0,0,1] op_sel_hi:[1,1,0] neg_lo:[0,0,1] neg_hi:[0,0,1]
	v_pk_fma_f32 v[132:133], v[140:141], v[128:129], v[132:133] op_sel:[0,0,1] op_sel_hi:[1,0,0]
	s_delay_alu instid0(VALU_DEP_1) | instskip(SKIP_1) | instid1(VALU_DEP_1)
	v_mov_b32_e32 v145, v133
	v_pk_mul_f32 v[132:133], v[142:143], v[130:131] op_sel:[0,1]
	v_pk_fma_f32 v[140:141], v[142:143], v[128:129], v[132:133] op_sel:[0,0,1] op_sel_hi:[1,1,0] neg_lo:[0,0,1] neg_hi:[0,0,1]
	v_pk_fma_f32 v[132:133], v[142:143], v[128:129], v[132:133] op_sel:[0,0,1] op_sel_hi:[1,0,0]
	s_delay_alu instid0(VALU_DEP_1) | instskip(SKIP_1) | instid1(VALU_DEP_2)
	v_mov_b32_e32 v141, v133
	v_pk_add_f32 v[38:39], v[38:39], v[144:145] neg_lo:[0,1] neg_hi:[0,1]
	v_pk_add_f32 v[40:41], v[40:41], v[140:141] neg_lo:[0,1] neg_hi:[0,1]
	ds_load_2addr_b64 v[140:143], v135 offset0:43 offset1:44
	s_wait_dscnt 0x0
	v_pk_mul_f32 v[132:133], v[140:141], v[130:131] op_sel:[0,1]
	s_delay_alu instid0(VALU_DEP_1) | instskip(SKIP_1) | instid1(VALU_DEP_1)
	v_pk_fma_f32 v[144:145], v[140:141], v[128:129], v[132:133] op_sel:[0,0,1] op_sel_hi:[1,1,0] neg_lo:[0,0,1] neg_hi:[0,0,1]
	v_pk_fma_f32 v[132:133], v[140:141], v[128:129], v[132:133] op_sel:[0,0,1] op_sel_hi:[1,0,0]
	v_mov_b32_e32 v145, v133
	v_pk_mul_f32 v[132:133], v[142:143], v[130:131] op_sel:[0,1]
	s_delay_alu instid0(VALU_DEP_1) | instskip(SKIP_1) | instid1(VALU_DEP_1)
	v_pk_fma_f32 v[140:141], v[142:143], v[128:129], v[132:133] op_sel:[0,0,1] op_sel_hi:[1,1,0] neg_lo:[0,0,1] neg_hi:[0,0,1]
	v_pk_fma_f32 v[132:133], v[142:143], v[128:129], v[132:133] op_sel:[0,0,1] op_sel_hi:[1,0,0]
	v_mov_b32_e32 v141, v133
	v_pk_add_f32 v[36:37], v[36:37], v[144:145] neg_lo:[0,1] neg_hi:[0,1]
	s_delay_alu instid0(VALU_DEP_2) | instskip(SKIP_3) | instid1(VALU_DEP_1)
	v_pk_add_f32 v[34:35], v[34:35], v[140:141] neg_lo:[0,1] neg_hi:[0,1]
	ds_load_2addr_b64 v[140:143], v135 offset0:45 offset1:46
	s_wait_dscnt 0x0
	v_dual_mul_f32 v132, v141, v131 :: v_dual_mul_f32 v144, v141, v128
	v_pk_fma_f32 v[132:133], v[140:141], v[74:75], v[132:133] op_sel_hi:[1,1,0] neg_lo:[0,0,1] neg_hi:[0,0,1]
	s_delay_alu instid0(VALU_DEP_2) | instskip(NEXT) | instid1(VALU_DEP_1)
	v_pk_fma_f32 v[140:141], v[140:141], v[74:75], v[144:145] op_sel:[1,0,0] op_sel_hi:[0,1,0]
	v_mov_b32_e32 v133, v141
	s_delay_alu instid0(VALU_DEP_1) | instskip(SKIP_1) | instid1(VALU_DEP_1)
	v_pk_add_f32 v[30:31], v[30:31], v[132:133] neg_lo:[0,1] neg_hi:[0,1]
	v_pk_mul_f32 v[132:133], v[142:143], v[130:131] op_sel:[0,1]
	v_pk_fma_f32 v[140:141], v[142:143], v[128:129], v[132:133] op_sel:[0,0,1] op_sel_hi:[1,1,0] neg_lo:[0,0,1] neg_hi:[0,0,1]
	v_pk_fma_f32 v[132:133], v[142:143], v[128:129], v[132:133] op_sel:[0,0,1] op_sel_hi:[1,0,0]
	s_delay_alu instid0(VALU_DEP_1) | instskip(NEXT) | instid1(VALU_DEP_1)
	v_mov_b32_e32 v141, v133
	v_pk_add_f32 v[32:33], v[32:33], v[140:141] neg_lo:[0,1] neg_hi:[0,1]
	ds_load_2addr_b64 v[140:143], v135 offset0:47 offset1:48
	s_wait_dscnt 0x0
	v_pk_mul_f32 v[132:133], v[140:141], v[130:131] op_sel:[0,1]
	s_delay_alu instid0(VALU_DEP_1) | instskip(SKIP_1) | instid1(VALU_DEP_1)
	v_pk_fma_f32 v[144:145], v[140:141], v[128:129], v[132:133] op_sel:[0,0,1] op_sel_hi:[1,1,0] neg_lo:[0,0,1] neg_hi:[0,0,1]
	v_pk_fma_f32 v[132:133], v[140:141], v[128:129], v[132:133] op_sel:[0,0,1] op_sel_hi:[1,0,0]
	v_mov_b32_e32 v145, v133
	v_pk_mul_f32 v[132:133], v[142:143], v[130:131] op_sel:[0,1]
	s_delay_alu instid0(VALU_DEP_2) | instskip(NEXT) | instid1(VALU_DEP_2)
	v_pk_add_f32 v[28:29], v[28:29], v[144:145] neg_lo:[0,1] neg_hi:[0,1]
	v_pk_fma_f32 v[140:141], v[142:143], v[128:129], v[132:133] op_sel:[0,0,1] op_sel_hi:[1,1,0] neg_lo:[0,0,1] neg_hi:[0,0,1]
	v_pk_fma_f32 v[132:133], v[142:143], v[128:129], v[132:133] op_sel:[0,0,1] op_sel_hi:[1,0,0]
	s_delay_alu instid0(VALU_DEP_1) | instskip(NEXT) | instid1(VALU_DEP_1)
	v_mov_b32_e32 v141, v133
	v_pk_add_f32 v[26:27], v[26:27], v[140:141] neg_lo:[0,1] neg_hi:[0,1]
	ds_load_2addr_b64 v[140:143], v135 offset0:49 offset1:50
	s_wait_dscnt 0x0
	v_pk_mul_f32 v[132:133], v[140:141], v[130:131] op_sel:[0,1]
	s_delay_alu instid0(VALU_DEP_1) | instskip(SKIP_2) | instid1(VALU_DEP_2)
	v_pk_fma_f32 v[144:145], v[140:141], v[128:129], v[132:133] op_sel:[0,0,1] op_sel_hi:[1,1,0] neg_lo:[0,0,1] neg_hi:[0,0,1]
	v_pk_fma_f32 v[132:133], v[140:141], v[128:129], v[132:133] op_sel:[0,0,1] op_sel_hi:[1,0,0]
	v_dual_mul_f32 v140, v143, v131 :: v_dual_mov_b32 v132, v143
	v_dual_mov_b32 v145, v133 :: v_dual_mov_b32 v133, v142
	s_delay_alu instid0(VALU_DEP_2) | instskip(SKIP_1) | instid1(VALU_DEP_3)
	v_pk_fma_f32 v[140:141], v[142:143], v[74:75], v[140:141] op_sel_hi:[1,1,0] neg_lo:[0,0,1] neg_hi:[0,0,1]
	v_mul_f32_e32 v142, v143, v128
	v_pk_add_f32 v[22:23], v[22:23], v[144:145] neg_lo:[0,1] neg_hi:[0,1]
	s_delay_alu instid0(VALU_DEP_2) | instskip(NEXT) | instid1(VALU_DEP_1)
	v_pk_fma_f32 v[132:133], v[132:133], v[74:75], v[142:143] op_sel_hi:[1,1,0]
	v_mov_b32_e32 v141, v133
	s_delay_alu instid0(VALU_DEP_1) | instskip(SKIP_3) | instid1(VALU_DEP_1)
	v_pk_add_f32 v[24:25], v[24:25], v[140:141] neg_lo:[0,1] neg_hi:[0,1]
	ds_load_2addr_b64 v[140:143], v135 offset0:51 offset1:52
	s_wait_dscnt 0x0
	v_pk_mul_f32 v[132:133], v[140:141], v[130:131] op_sel:[0,1]
	v_pk_fma_f32 v[144:145], v[140:141], v[128:129], v[132:133] op_sel:[0,0,1] op_sel_hi:[1,1,0] neg_lo:[0,0,1] neg_hi:[0,0,1]
	v_pk_fma_f32 v[132:133], v[140:141], v[128:129], v[132:133] op_sel:[0,0,1] op_sel_hi:[1,0,0]
	s_delay_alu instid0(VALU_DEP_1) | instskip(SKIP_1) | instid1(VALU_DEP_1)
	v_mov_b32_e32 v145, v133
	v_pk_mul_f32 v[132:133], v[142:143], v[130:131] op_sel:[0,1]
	v_pk_fma_f32 v[140:141], v[142:143], v[128:129], v[132:133] op_sel:[0,0,1] op_sel_hi:[1,1,0] neg_lo:[0,0,1] neg_hi:[0,0,1]
	v_pk_fma_f32 v[132:133], v[142:143], v[128:129], v[132:133] op_sel:[0,0,1] op_sel_hi:[1,0,0]
	s_delay_alu instid0(VALU_DEP_1) | instskip(SKIP_1) | instid1(VALU_DEP_2)
	v_mov_b32_e32 v141, v133
	v_pk_add_f32 v[44:45], v[44:45], v[144:145] neg_lo:[0,1] neg_hi:[0,1]
	v_pk_add_f32 v[16:17], v[16:17], v[140:141] neg_lo:[0,1] neg_hi:[0,1]
	ds_load_2addr_b64 v[140:143], v135 offset0:53 offset1:54
	s_wait_dscnt 0x0
	v_pk_mul_f32 v[132:133], v[140:141], v[130:131] op_sel:[0,1]
	s_delay_alu instid0(VALU_DEP_1) | instskip(SKIP_1) | instid1(VALU_DEP_1)
	v_pk_fma_f32 v[144:145], v[140:141], v[128:129], v[132:133] op_sel:[0,0,1] op_sel_hi:[1,1,0] neg_lo:[0,0,1] neg_hi:[0,0,1]
	v_pk_fma_f32 v[132:133], v[140:141], v[128:129], v[132:133] op_sel:[0,0,1] op_sel_hi:[1,0,0]
	v_mov_b32_e32 v145, v133
	v_pk_mul_f32 v[132:133], v[142:143], v[130:131] op_sel:[0,1]
	s_delay_alu instid0(VALU_DEP_1) | instskip(SKIP_1) | instid1(VALU_DEP_1)
	v_pk_fma_f32 v[140:141], v[142:143], v[128:129], v[132:133] op_sel:[0,0,1] op_sel_hi:[1,1,0] neg_lo:[0,0,1] neg_hi:[0,0,1]
	v_pk_fma_f32 v[132:133], v[142:143], v[128:129], v[132:133] op_sel:[0,0,1] op_sel_hi:[1,0,0]
	v_mov_b32_e32 v141, v133
	v_pk_add_f32 v[12:13], v[12:13], v[144:145] neg_lo:[0,1] neg_hi:[0,1]
	s_delay_alu instid0(VALU_DEP_2) | instskip(SKIP_3) | instid1(VALU_DEP_1)
	v_pk_add_f32 v[14:15], v[14:15], v[140:141] neg_lo:[0,1] neg_hi:[0,1]
	ds_load_2addr_b64 v[140:143], v135 offset0:55 offset1:56
	s_wait_dscnt 0x0
	v_dual_mul_f32 v132, v141, v131 :: v_dual_mul_f32 v144, v141, v128
	v_pk_fma_f32 v[132:133], v[140:141], v[74:75], v[132:133] op_sel_hi:[1,1,0] neg_lo:[0,0,1] neg_hi:[0,0,1]
	s_delay_alu instid0(VALU_DEP_2) | instskip(NEXT) | instid1(VALU_DEP_1)
	v_pk_fma_f32 v[140:141], v[140:141], v[74:75], v[144:145] op_sel:[1,0,0] op_sel_hi:[0,1,0]
	v_mov_b32_e32 v133, v141
	s_delay_alu instid0(VALU_DEP_1) | instskip(SKIP_1) | instid1(VALU_DEP_1)
	v_pk_add_f32 v[10:11], v[10:11], v[132:133] neg_lo:[0,1] neg_hi:[0,1]
	v_pk_mul_f32 v[132:133], v[142:143], v[130:131] op_sel:[0,1]
	v_pk_fma_f32 v[140:141], v[142:143], v[128:129], v[132:133] op_sel:[0,0,1] op_sel_hi:[1,1,0] neg_lo:[0,0,1] neg_hi:[0,0,1]
	v_pk_fma_f32 v[132:133], v[142:143], v[128:129], v[132:133] op_sel:[0,0,1] op_sel_hi:[1,0,0]
	s_delay_alu instid0(VALU_DEP_1) | instskip(NEXT) | instid1(VALU_DEP_1)
	v_mov_b32_e32 v141, v133
	v_pk_add_f32 v[6:7], v[6:7], v[140:141] neg_lo:[0,1] neg_hi:[0,1]
	ds_load_2addr_b64 v[140:143], v135 offset0:57 offset1:58
	s_wait_dscnt 0x0
	v_pk_mul_f32 v[132:133], v[140:141], v[130:131] op_sel:[0,1]
	s_delay_alu instid0(VALU_DEP_1) | instskip(SKIP_1) | instid1(VALU_DEP_1)
	v_pk_fma_f32 v[144:145], v[140:141], v[128:129], v[132:133] op_sel:[0,0,1] op_sel_hi:[1,1,0] neg_lo:[0,0,1] neg_hi:[0,0,1]
	v_pk_fma_f32 v[132:133], v[140:141], v[128:129], v[132:133] op_sel:[0,0,1] op_sel_hi:[1,0,0]
	v_mov_b32_e32 v145, v133
	v_pk_mul_f32 v[132:133], v[142:143], v[130:131] op_sel:[0,1]
	s_delay_alu instid0(VALU_DEP_2) | instskip(NEXT) | instid1(VALU_DEP_2)
	v_pk_add_f32 v[20:21], v[20:21], v[144:145] neg_lo:[0,1] neg_hi:[0,1]
	v_pk_fma_f32 v[140:141], v[142:143], v[128:129], v[132:133] op_sel:[0,0,1] op_sel_hi:[1,1,0] neg_lo:[0,0,1] neg_hi:[0,0,1]
	v_pk_fma_f32 v[132:133], v[142:143], v[128:129], v[132:133] op_sel:[0,0,1] op_sel_hi:[1,0,0]
	s_delay_alu instid0(VALU_DEP_1) | instskip(NEXT) | instid1(VALU_DEP_1)
	v_mov_b32_e32 v141, v133
	v_pk_add_f32 v[18:19], v[18:19], v[140:141] neg_lo:[0,1] neg_hi:[0,1]
	ds_load_2addr_b64 v[140:143], v135 offset0:59 offset1:60
	s_wait_dscnt 0x0
	v_pk_mul_f32 v[132:133], v[140:141], v[130:131] op_sel:[0,1]
	v_pk_mul_f32 v[130:131], v[142:143], v[130:131] op_sel:[0,1]
	s_delay_alu instid0(VALU_DEP_2) | instskip(SKIP_1) | instid1(VALU_DEP_1)
	v_pk_fma_f32 v[144:145], v[140:141], v[128:129], v[132:133] op_sel:[0,0,1] op_sel_hi:[1,1,0] neg_lo:[0,0,1] neg_hi:[0,0,1]
	v_pk_fma_f32 v[132:133], v[140:141], v[128:129], v[132:133] op_sel:[0,0,1] op_sel_hi:[1,0,0]
	v_mov_b32_e32 v145, v133
	s_delay_alu instid0(VALU_DEP_4) | instskip(SKIP_1) | instid1(VALU_DEP_3)
	v_pk_fma_f32 v[132:133], v[142:143], v[128:129], v[130:131] op_sel:[0,0,1] op_sel_hi:[1,1,0] neg_lo:[0,0,1] neg_hi:[0,0,1]
	v_pk_fma_f32 v[128:129], v[142:143], v[128:129], v[130:131] op_sel:[0,0,1] op_sel_hi:[1,0,0]
	v_pk_add_f32 v[8:9], v[8:9], v[144:145] neg_lo:[0,1] neg_hi:[0,1]
	s_delay_alu instid0(VALU_DEP_2) | instskip(NEXT) | instid1(VALU_DEP_1)
	v_mov_b32_e32 v133, v129
	v_pk_add_f32 v[126:127], v[126:127], v[132:133] neg_lo:[0,1] neg_hi:[0,1]
.LBB120_566:
	s_or_b32 exec_lo, exec_lo, s0
	v_lshl_add_u32 v128, v138, 3, v135
	s_barrier_signal -1
	s_barrier_wait -1
	ds_store_b64 v128, v[70:71]
	s_wait_dscnt 0x0
	s_barrier_signal -1
	s_barrier_wait -1
	ds_load_b64 v[130:131], v135 offset:216
	v_mov_b32_e32 v128, 27
	s_cmp_lt_i32 s18, 29
	s_cbranch_scc1 .LBB120_569
; %bb.567:
	v_add3_u32 v129, v136, 0, 0xe0
	v_mov_b32_e32 v128, 27
	s_mov_b32 s0, 28
.LBB120_568:                            ; =>This Inner Loop Header: Depth=1
	ds_load_b64 v[132:133], v129
	s_wait_dscnt 0x1
	v_cmp_gt_f32_e32 vcc_lo, 0, v130
	v_cndmask_b32_e64 v140, v130, -v130, vcc_lo
	v_cmp_gt_f32_e32 vcc_lo, 0, v131
	v_cndmask_b32_e64 v142, v131, -v131, vcc_lo
	s_wait_dscnt 0x0
	v_cmp_gt_f32_e32 vcc_lo, 0, v132
	v_cndmask_b32_e64 v141, v132, -v132, vcc_lo
	v_cmp_gt_f32_e32 vcc_lo, 0, v133
	v_cndmask_b32_e64 v143, v133, -v133, vcc_lo
	s_delay_alu instid0(VALU_DEP_1) | instskip(NEXT) | instid1(VALU_DEP_1)
	v_pk_add_f32 v[140:141], v[140:141], v[142:143]
	v_cmp_lt_f32_e32 vcc_lo, v140, v141
	v_dual_cndmask_b32 v130, v130, v132 :: v_dual_add_nc_u32 v129, 8, v129
	v_cndmask_b32_e32 v131, v131, v133, vcc_lo
	v_cndmask_b32_e64 v128, v128, s0, vcc_lo
	s_add_co_i32 s0, s0, 1
	s_delay_alu instid0(SALU_CYCLE_1)
	s_cmp_lg_u32 s18, s0
	s_cbranch_scc1 .LBB120_568
.LBB120_569:
	s_wait_dscnt 0x0
	v_cmp_eq_f32_e32 vcc_lo, 0, v130
	v_cmp_eq_f32_e64 s0, 0, v131
	s_and_b32 s0, vcc_lo, s0
	s_delay_alu instid0(SALU_CYCLE_1) | instskip(NEXT) | instid1(SALU_CYCLE_1)
	s_and_saveexec_b32 s1, s0
	s_xor_b32 s0, exec_lo, s1
; %bb.570:
	v_cmp_ne_u32_e32 vcc_lo, 0, v134
	v_cndmask_b32_e32 v134, 28, v134, vcc_lo
; %bb.571:
	s_and_not1_saveexec_b32 s0, s0
	s_cbranch_execz .LBB120_577
; %bb.572:
	v_cmp_ngt_f32_e64 s1, |v130|, |v131|
	s_and_saveexec_b32 s12, s1
	s_delay_alu instid0(SALU_CYCLE_1)
	s_xor_b32 s1, exec_lo, s12
	s_cbranch_execz .LBB120_574
; %bb.573:
	v_div_scale_f32 v129, null, v131, v131, v130
	v_div_scale_f32 v139, vcc_lo, v130, v131, v130
	s_delay_alu instid0(VALU_DEP_2) | instskip(SKIP_1) | instid1(TRANS32_DEP_1)
	v_rcp_f32_e32 v132, v129
	v_nop
	v_fma_f32 v133, -v129, v132, 1.0
	s_delay_alu instid0(VALU_DEP_1) | instskip(NEXT) | instid1(VALU_DEP_1)
	v_fmac_f32_e32 v132, v133, v132
	v_mul_f32_e32 v133, v139, v132
	s_delay_alu instid0(VALU_DEP_1) | instskip(NEXT) | instid1(VALU_DEP_1)
	v_fma_f32 v140, -v129, v133, v139
	v_fmac_f32_e32 v133, v140, v132
	s_delay_alu instid0(VALU_DEP_1) | instskip(NEXT) | instid1(VALU_DEP_1)
	v_fma_f32 v129, -v129, v133, v139
	v_div_fmas_f32 v129, v129, v132, v133
	s_delay_alu instid0(VALU_DEP_1) | instskip(NEXT) | instid1(VALU_DEP_1)
	v_div_fixup_f32 v129, v129, v131, v130
	v_fmac_f32_e32 v131, v130, v129
	s_delay_alu instid0(VALU_DEP_1) | instskip(SKIP_1) | instid1(VALU_DEP_2)
	v_div_scale_f32 v130, null, v131, v131, 1.0
	v_div_scale_f32 v139, vcc_lo, 1.0, v131, 1.0
	v_rcp_f32_e32 v132, v130
	v_nop
	s_delay_alu instid0(TRANS32_DEP_1) | instskip(NEXT) | instid1(VALU_DEP_1)
	v_fma_f32 v133, -v130, v132, 1.0
	v_fmac_f32_e32 v132, v133, v132
	s_delay_alu instid0(VALU_DEP_1) | instskip(NEXT) | instid1(VALU_DEP_1)
	v_mul_f32_e32 v133, v139, v132
	v_fma_f32 v140, -v130, v133, v139
	s_delay_alu instid0(VALU_DEP_1) | instskip(NEXT) | instid1(VALU_DEP_1)
	v_fmac_f32_e32 v133, v140, v132
	v_fma_f32 v130, -v130, v133, v139
	s_delay_alu instid0(VALU_DEP_1) | instskip(NEXT) | instid1(VALU_DEP_1)
	v_div_fmas_f32 v130, v130, v132, v133
	v_div_fixup_f32 v131, v130, v131, 1.0
	s_delay_alu instid0(VALU_DEP_1)
	v_mul_f32_e32 v130, v129, v131
	v_xor_b32_e32 v131, 0x80000000, v131
.LBB120_574:
	s_and_not1_saveexec_b32 s1, s1
	s_cbranch_execz .LBB120_576
; %bb.575:
	s_delay_alu instid0(VALU_DEP_1) | instskip(SKIP_1) | instid1(VALU_DEP_2)
	v_div_scale_f32 v129, null, v130, v130, v131
	v_div_scale_f32 v139, vcc_lo, v131, v130, v131
	v_rcp_f32_e32 v132, v129
	v_nop
	s_delay_alu instid0(TRANS32_DEP_1) | instskip(NEXT) | instid1(VALU_DEP_1)
	v_fma_f32 v133, -v129, v132, 1.0
	v_fmac_f32_e32 v132, v133, v132
	s_delay_alu instid0(VALU_DEP_1) | instskip(NEXT) | instid1(VALU_DEP_1)
	v_mul_f32_e32 v133, v139, v132
	v_fma_f32 v140, -v129, v133, v139
	s_delay_alu instid0(VALU_DEP_1) | instskip(NEXT) | instid1(VALU_DEP_1)
	v_fmac_f32_e32 v133, v140, v132
	v_fma_f32 v129, -v129, v133, v139
	s_delay_alu instid0(VALU_DEP_1) | instskip(NEXT) | instid1(VALU_DEP_1)
	v_div_fmas_f32 v129, v129, v132, v133
	v_div_fixup_f32 v129, v129, v130, v131
	s_delay_alu instid0(VALU_DEP_1) | instskip(NEXT) | instid1(VALU_DEP_1)
	v_fmac_f32_e32 v130, v131, v129
	v_div_scale_f32 v131, null, v130, v130, 1.0
	s_delay_alu instid0(VALU_DEP_1) | instskip(SKIP_1) | instid1(TRANS32_DEP_1)
	v_rcp_f32_e32 v132, v131
	v_nop
	v_fma_f32 v133, -v131, v132, 1.0
	s_delay_alu instid0(VALU_DEP_1) | instskip(SKIP_1) | instid1(VALU_DEP_1)
	v_fmac_f32_e32 v132, v133, v132
	v_div_scale_f32 v133, vcc_lo, 1.0, v130, 1.0
	v_mul_f32_e32 v139, v133, v132
	s_delay_alu instid0(VALU_DEP_1) | instskip(NEXT) | instid1(VALU_DEP_1)
	v_fma_f32 v140, -v131, v139, v133
	v_fmac_f32_e32 v139, v140, v132
	s_delay_alu instid0(VALU_DEP_1) | instskip(NEXT) | instid1(VALU_DEP_1)
	v_fma_f32 v131, -v131, v139, v133
	v_div_fmas_f32 v131, v131, v132, v139
	s_delay_alu instid0(VALU_DEP_1) | instskip(NEXT) | instid1(VALU_DEP_1)
	v_div_fixup_f32 v130, v131, v130, 1.0
	v_mul_f32_e64 v131, v129, -v130
.LBB120_576:
	s_or_b32 exec_lo, exec_lo, s1
.LBB120_577:
	s_delay_alu instid0(SALU_CYCLE_1) | instskip(NEXT) | instid1(SALU_CYCLE_1)
	s_or_b32 exec_lo, exec_lo, s0
	s_mov_b32 s0, exec_lo
	v_cmpx_ne_u32_e64 v138, v128
	s_xor_b32 s0, exec_lo, s0
	s_cbranch_execz .LBB120_583
; %bb.578:
	s_mov_b32 s1, exec_lo
	v_cmpx_eq_u32_e32 27, v138
	s_cbranch_execz .LBB120_582
; %bb.579:
	v_cmp_ne_u32_e32 vcc_lo, 27, v128
	s_xor_b32 s12, s16, -1
	s_delay_alu instid0(SALU_CYCLE_1) | instskip(NEXT) | instid1(SALU_CYCLE_1)
	s_and_b32 s13, s12, vcc_lo
	s_and_saveexec_b32 s12, s13
	s_cbranch_execz .LBB120_581
; %bb.580:
	v_ashrrev_i32_e32 v129, 31, v128
	s_delay_alu instid0(VALU_DEP_1)
	v_lshl_add_u64 v[132:133], v[128:129], 2, v[4:5]
	s_clause 0x1
	global_load_b32 v129, v[132:133], off
	global_load_b32 v137, v[4:5], off offset:108
	s_wait_loadcnt 0x1
	global_store_b32 v[4:5], v129, off offset:108
	s_wait_loadcnt 0x0
	global_store_b32 v[132:133], v137, off
.LBB120_581:
	s_wait_xcnt 0x0
	s_or_b32 exec_lo, exec_lo, s12
	v_dual_mov_b32 v138, v128 :: v_dual_mov_b32 v137, v128
.LBB120_582:
	s_or_b32 exec_lo, exec_lo, s1
.LBB120_583:
	s_and_not1_saveexec_b32 s0, s0
	s_cbranch_execz .LBB120_585
; %bb.584:
	v_dual_mov_b32 v128, v68 :: v_dual_mov_b32 v129, v69
	v_dual_mov_b32 v132, v64 :: v_dual_mov_b32 v133, v65
	;; [unrolled: 1-line block ×12, first 2 shown]
	ds_store_2addr_b64 v135, v[128:129], v[132:133] offset0:28 offset1:29
	ds_store_2addr_b64 v135, v[138:139], v[140:141] offset0:30 offset1:31
	;; [unrolled: 1-line block ×6, first 2 shown]
	v_dual_mov_b32 v128, v42 :: v_dual_mov_b32 v129, v43
	v_dual_mov_b32 v132, v38 :: v_dual_mov_b32 v133, v39
	;; [unrolled: 1-line block ×12, first 2 shown]
	ds_store_2addr_b64 v135, v[128:129], v[132:133] offset0:40 offset1:41
	ds_store_2addr_b64 v135, v[138:139], v[140:141] offset0:42 offset1:43
	;; [unrolled: 1-line block ×6, first 2 shown]
	v_dual_mov_b32 v128, v16 :: v_dual_mov_b32 v129, v17
	v_dual_mov_b32 v132, v12 :: v_dual_mov_b32 v133, v13
	;; [unrolled: 1-line block ×8, first 2 shown]
	v_mov_b32_e32 v151, v9
	ds_store_2addr_b64 v135, v[128:129], v[132:133] offset0:52 offset1:53
	ds_store_2addr_b64 v135, v[140:141], v[142:143] offset0:54 offset1:55
	;; [unrolled: 1-line block ×4, first 2 shown]
	ds_store_b64 v135, v[126:127] offset:480
.LBB120_585:
	s_or_b32 exec_lo, exec_lo, s0
	s_delay_alu instid0(SALU_CYCLE_1)
	s_mov_b32 s0, exec_lo
	s_wait_storecnt_dscnt 0x0
	s_barrier_signal -1
	s_barrier_wait -1
	v_cmpx_lt_i32_e32 27, v138
	s_cbranch_execz .LBB120_587
; %bb.586:
	ds_load_2addr_b64 v[140:143], v135 offset0:28 offset1:29
	v_pk_mul_f32 v[132:133], v[130:131], v[70:71] op_sel:[1,1] op_sel_hi:[0,1]
	s_delay_alu instid0(VALU_DEP_1) | instskip(SKIP_1) | instid1(VALU_DEP_1)
	v_pk_fma_f32 v[128:129], v[130:131], v[70:71], v[132:133] op_sel_hi:[1,0,1] neg_lo:[0,0,1] neg_hi:[0,0,1]
	v_pk_fma_f32 v[130:131], v[130:131], v[70:71], v[132:133] op_sel_hi:[1,0,1]
	v_dual_mov_b32 v70, v128 :: v_dual_mov_b32 v71, v131
	s_wait_dscnt 0x0
	s_delay_alu instid0(VALU_DEP_2) | instskip(NEXT) | instid1(VALU_DEP_1)
	v_pk_mul_f32 v[132:133], v[140:141], v[130:131] op_sel:[0,1]
	v_pk_fma_f32 v[144:145], v[140:141], v[128:129], v[132:133] op_sel:[0,0,1] op_sel_hi:[1,1,0] neg_lo:[0,0,1] neg_hi:[0,0,1]
	v_pk_fma_f32 v[132:133], v[140:141], v[128:129], v[132:133] op_sel:[0,0,1] op_sel_hi:[1,0,0]
	s_delay_alu instid0(VALU_DEP_1) | instskip(SKIP_1) | instid1(VALU_DEP_1)
	v_mov_b32_e32 v145, v133
	v_pk_mul_f32 v[132:133], v[142:143], v[130:131] op_sel:[0,1]
	v_pk_fma_f32 v[140:141], v[142:143], v[128:129], v[132:133] op_sel:[0,0,1] op_sel_hi:[1,1,0] neg_lo:[0,0,1] neg_hi:[0,0,1]
	v_pk_fma_f32 v[132:133], v[142:143], v[128:129], v[132:133] op_sel:[0,0,1] op_sel_hi:[1,0,0]
	s_delay_alu instid0(VALU_DEP_1) | instskip(SKIP_1) | instid1(VALU_DEP_2)
	v_mov_b32_e32 v141, v133
	v_pk_add_f32 v[68:69], v[68:69], v[144:145] neg_lo:[0,1] neg_hi:[0,1]
	v_pk_add_f32 v[64:65], v[64:65], v[140:141] neg_lo:[0,1] neg_hi:[0,1]
	ds_load_2addr_b64 v[140:143], v135 offset0:30 offset1:31
	s_wait_dscnt 0x0
	v_pk_mul_f32 v[132:133], v[140:141], v[130:131] op_sel:[0,1]
	s_delay_alu instid0(VALU_DEP_1) | instskip(SKIP_2) | instid1(VALU_DEP_2)
	v_pk_fma_f32 v[144:145], v[140:141], v[128:129], v[132:133] op_sel:[0,0,1] op_sel_hi:[1,1,0] neg_lo:[0,0,1] neg_hi:[0,0,1]
	v_pk_fma_f32 v[132:133], v[140:141], v[128:129], v[132:133] op_sel:[0,0,1] op_sel_hi:[1,0,0]
	v_dual_mul_f32 v140, v143, v131 :: v_dual_mov_b32 v132, v143
	v_dual_mov_b32 v145, v133 :: v_dual_mov_b32 v133, v142
	s_delay_alu instid0(VALU_DEP_2) | instskip(SKIP_1) | instid1(VALU_DEP_3)
	v_pk_fma_f32 v[140:141], v[142:143], v[70:71], v[140:141] op_sel_hi:[1,1,0] neg_lo:[0,0,1] neg_hi:[0,0,1]
	v_mul_f32_e32 v142, v143, v128
	v_pk_add_f32 v[66:67], v[66:67], v[144:145] neg_lo:[0,1] neg_hi:[0,1]
	s_delay_alu instid0(VALU_DEP_2) | instskip(NEXT) | instid1(VALU_DEP_1)
	v_pk_fma_f32 v[132:133], v[132:133], v[70:71], v[142:143] op_sel_hi:[1,1,0]
	v_mov_b32_e32 v141, v133
	s_delay_alu instid0(VALU_DEP_1) | instskip(SKIP_3) | instid1(VALU_DEP_1)
	v_pk_add_f32 v[62:63], v[62:63], v[140:141] neg_lo:[0,1] neg_hi:[0,1]
	ds_load_2addr_b64 v[140:143], v135 offset0:32 offset1:33
	s_wait_dscnt 0x0
	v_pk_mul_f32 v[132:133], v[140:141], v[130:131] op_sel:[0,1]
	v_pk_fma_f32 v[144:145], v[140:141], v[128:129], v[132:133] op_sel:[0,0,1] op_sel_hi:[1,1,0] neg_lo:[0,0,1] neg_hi:[0,0,1]
	v_pk_fma_f32 v[132:133], v[140:141], v[128:129], v[132:133] op_sel:[0,0,1] op_sel_hi:[1,0,0]
	s_delay_alu instid0(VALU_DEP_1) | instskip(SKIP_1) | instid1(VALU_DEP_1)
	v_mov_b32_e32 v145, v133
	v_pk_mul_f32 v[132:133], v[142:143], v[130:131] op_sel:[0,1]
	v_pk_fma_f32 v[140:141], v[142:143], v[128:129], v[132:133] op_sel:[0,0,1] op_sel_hi:[1,1,0] neg_lo:[0,0,1] neg_hi:[0,0,1]
	v_pk_fma_f32 v[132:133], v[142:143], v[128:129], v[132:133] op_sel:[0,0,1] op_sel_hi:[1,0,0]
	s_delay_alu instid0(VALU_DEP_1) | instskip(SKIP_1) | instid1(VALU_DEP_2)
	v_mov_b32_e32 v141, v133
	v_pk_add_f32 v[60:61], v[60:61], v[144:145] neg_lo:[0,1] neg_hi:[0,1]
	v_pk_add_f32 v[56:57], v[56:57], v[140:141] neg_lo:[0,1] neg_hi:[0,1]
	ds_load_2addr_b64 v[140:143], v135 offset0:34 offset1:35
	s_wait_dscnt 0x0
	v_pk_mul_f32 v[132:133], v[140:141], v[130:131] op_sel:[0,1]
	s_delay_alu instid0(VALU_DEP_1) | instskip(SKIP_1) | instid1(VALU_DEP_1)
	v_pk_fma_f32 v[144:145], v[140:141], v[128:129], v[132:133] op_sel:[0,0,1] op_sel_hi:[1,1,0] neg_lo:[0,0,1] neg_hi:[0,0,1]
	v_pk_fma_f32 v[132:133], v[140:141], v[128:129], v[132:133] op_sel:[0,0,1] op_sel_hi:[1,0,0]
	v_mov_b32_e32 v145, v133
	v_pk_mul_f32 v[132:133], v[142:143], v[130:131] op_sel:[0,1]
	s_delay_alu instid0(VALU_DEP_1) | instskip(SKIP_1) | instid1(VALU_DEP_1)
	v_pk_fma_f32 v[140:141], v[142:143], v[128:129], v[132:133] op_sel:[0,0,1] op_sel_hi:[1,1,0] neg_lo:[0,0,1] neg_hi:[0,0,1]
	v_pk_fma_f32 v[132:133], v[142:143], v[128:129], v[132:133] op_sel:[0,0,1] op_sel_hi:[1,0,0]
	v_mov_b32_e32 v141, v133
	v_pk_add_f32 v[58:59], v[58:59], v[144:145] neg_lo:[0,1] neg_hi:[0,1]
	s_delay_alu instid0(VALU_DEP_2) | instskip(SKIP_3) | instid1(VALU_DEP_1)
	v_pk_add_f32 v[54:55], v[54:55], v[140:141] neg_lo:[0,1] neg_hi:[0,1]
	ds_load_2addr_b64 v[140:143], v135 offset0:36 offset1:37
	s_wait_dscnt 0x0
	v_dual_mul_f32 v132, v141, v131 :: v_dual_mul_f32 v144, v141, v128
	v_pk_fma_f32 v[132:133], v[140:141], v[70:71], v[132:133] op_sel_hi:[1,1,0] neg_lo:[0,0,1] neg_hi:[0,0,1]
	s_delay_alu instid0(VALU_DEP_2) | instskip(NEXT) | instid1(VALU_DEP_1)
	v_pk_fma_f32 v[140:141], v[140:141], v[70:71], v[144:145] op_sel:[1,0,0] op_sel_hi:[0,1,0]
	v_mov_b32_e32 v133, v141
	s_delay_alu instid0(VALU_DEP_1) | instskip(SKIP_1) | instid1(VALU_DEP_1)
	v_pk_add_f32 v[52:53], v[52:53], v[132:133] neg_lo:[0,1] neg_hi:[0,1]
	v_pk_mul_f32 v[132:133], v[142:143], v[130:131] op_sel:[0,1]
	v_pk_fma_f32 v[140:141], v[142:143], v[128:129], v[132:133] op_sel:[0,0,1] op_sel_hi:[1,1,0] neg_lo:[0,0,1] neg_hi:[0,0,1]
	v_pk_fma_f32 v[132:133], v[142:143], v[128:129], v[132:133] op_sel:[0,0,1] op_sel_hi:[1,0,0]
	s_delay_alu instid0(VALU_DEP_1) | instskip(NEXT) | instid1(VALU_DEP_1)
	v_mov_b32_e32 v141, v133
	v_pk_add_f32 v[48:49], v[48:49], v[140:141] neg_lo:[0,1] neg_hi:[0,1]
	ds_load_2addr_b64 v[140:143], v135 offset0:38 offset1:39
	s_wait_dscnt 0x0
	v_pk_mul_f32 v[132:133], v[140:141], v[130:131] op_sel:[0,1]
	s_delay_alu instid0(VALU_DEP_1) | instskip(SKIP_1) | instid1(VALU_DEP_1)
	v_pk_fma_f32 v[144:145], v[140:141], v[128:129], v[132:133] op_sel:[0,0,1] op_sel_hi:[1,1,0] neg_lo:[0,0,1] neg_hi:[0,0,1]
	v_pk_fma_f32 v[132:133], v[140:141], v[128:129], v[132:133] op_sel:[0,0,1] op_sel_hi:[1,0,0]
	v_mov_b32_e32 v145, v133
	v_pk_mul_f32 v[132:133], v[142:143], v[130:131] op_sel:[0,1]
	s_delay_alu instid0(VALU_DEP_2) | instskip(NEXT) | instid1(VALU_DEP_2)
	v_pk_add_f32 v[50:51], v[50:51], v[144:145] neg_lo:[0,1] neg_hi:[0,1]
	v_pk_fma_f32 v[140:141], v[142:143], v[128:129], v[132:133] op_sel:[0,0,1] op_sel_hi:[1,1,0] neg_lo:[0,0,1] neg_hi:[0,0,1]
	v_pk_fma_f32 v[132:133], v[142:143], v[128:129], v[132:133] op_sel:[0,0,1] op_sel_hi:[1,0,0]
	s_delay_alu instid0(VALU_DEP_1) | instskip(NEXT) | instid1(VALU_DEP_1)
	v_mov_b32_e32 v141, v133
	v_pk_add_f32 v[46:47], v[46:47], v[140:141] neg_lo:[0,1] neg_hi:[0,1]
	ds_load_2addr_b64 v[140:143], v135 offset0:40 offset1:41
	s_wait_dscnt 0x0
	v_pk_mul_f32 v[132:133], v[140:141], v[130:131] op_sel:[0,1]
	s_delay_alu instid0(VALU_DEP_1) | instskip(SKIP_2) | instid1(VALU_DEP_2)
	v_pk_fma_f32 v[144:145], v[140:141], v[128:129], v[132:133] op_sel:[0,0,1] op_sel_hi:[1,1,0] neg_lo:[0,0,1] neg_hi:[0,0,1]
	v_pk_fma_f32 v[132:133], v[140:141], v[128:129], v[132:133] op_sel:[0,0,1] op_sel_hi:[1,0,0]
	v_dual_mul_f32 v140, v143, v131 :: v_dual_mov_b32 v132, v143
	v_dual_mov_b32 v145, v133 :: v_dual_mov_b32 v133, v142
	s_delay_alu instid0(VALU_DEP_2) | instskip(SKIP_1) | instid1(VALU_DEP_3)
	v_pk_fma_f32 v[140:141], v[142:143], v[70:71], v[140:141] op_sel_hi:[1,1,0] neg_lo:[0,0,1] neg_hi:[0,0,1]
	v_mul_f32_e32 v142, v143, v128
	v_pk_add_f32 v[42:43], v[42:43], v[144:145] neg_lo:[0,1] neg_hi:[0,1]
	s_delay_alu instid0(VALU_DEP_2) | instskip(NEXT) | instid1(VALU_DEP_1)
	v_pk_fma_f32 v[132:133], v[132:133], v[70:71], v[142:143] op_sel_hi:[1,1,0]
	v_mov_b32_e32 v141, v133
	s_delay_alu instid0(VALU_DEP_1) | instskip(SKIP_3) | instid1(VALU_DEP_1)
	v_pk_add_f32 v[38:39], v[38:39], v[140:141] neg_lo:[0,1] neg_hi:[0,1]
	ds_load_2addr_b64 v[140:143], v135 offset0:42 offset1:43
	s_wait_dscnt 0x0
	v_pk_mul_f32 v[132:133], v[140:141], v[130:131] op_sel:[0,1]
	v_pk_fma_f32 v[144:145], v[140:141], v[128:129], v[132:133] op_sel:[0,0,1] op_sel_hi:[1,1,0] neg_lo:[0,0,1] neg_hi:[0,0,1]
	v_pk_fma_f32 v[132:133], v[140:141], v[128:129], v[132:133] op_sel:[0,0,1] op_sel_hi:[1,0,0]
	s_delay_alu instid0(VALU_DEP_1) | instskip(SKIP_1) | instid1(VALU_DEP_1)
	v_mov_b32_e32 v145, v133
	v_pk_mul_f32 v[132:133], v[142:143], v[130:131] op_sel:[0,1]
	v_pk_fma_f32 v[140:141], v[142:143], v[128:129], v[132:133] op_sel:[0,0,1] op_sel_hi:[1,1,0] neg_lo:[0,0,1] neg_hi:[0,0,1]
	v_pk_fma_f32 v[132:133], v[142:143], v[128:129], v[132:133] op_sel:[0,0,1] op_sel_hi:[1,0,0]
	s_delay_alu instid0(VALU_DEP_1) | instskip(SKIP_1) | instid1(VALU_DEP_2)
	v_mov_b32_e32 v141, v133
	v_pk_add_f32 v[40:41], v[40:41], v[144:145] neg_lo:[0,1] neg_hi:[0,1]
	v_pk_add_f32 v[36:37], v[36:37], v[140:141] neg_lo:[0,1] neg_hi:[0,1]
	ds_load_2addr_b64 v[140:143], v135 offset0:44 offset1:45
	s_wait_dscnt 0x0
	v_pk_mul_f32 v[132:133], v[140:141], v[130:131] op_sel:[0,1]
	s_delay_alu instid0(VALU_DEP_1) | instskip(SKIP_1) | instid1(VALU_DEP_1)
	v_pk_fma_f32 v[144:145], v[140:141], v[128:129], v[132:133] op_sel:[0,0,1] op_sel_hi:[1,1,0] neg_lo:[0,0,1] neg_hi:[0,0,1]
	v_pk_fma_f32 v[132:133], v[140:141], v[128:129], v[132:133] op_sel:[0,0,1] op_sel_hi:[1,0,0]
	v_mov_b32_e32 v145, v133
	v_pk_mul_f32 v[132:133], v[142:143], v[130:131] op_sel:[0,1]
	s_delay_alu instid0(VALU_DEP_1) | instskip(SKIP_1) | instid1(VALU_DEP_1)
	v_pk_fma_f32 v[140:141], v[142:143], v[128:129], v[132:133] op_sel:[0,0,1] op_sel_hi:[1,1,0] neg_lo:[0,0,1] neg_hi:[0,0,1]
	v_pk_fma_f32 v[132:133], v[142:143], v[128:129], v[132:133] op_sel:[0,0,1] op_sel_hi:[1,0,0]
	v_mov_b32_e32 v141, v133
	v_pk_add_f32 v[34:35], v[34:35], v[144:145] neg_lo:[0,1] neg_hi:[0,1]
	s_delay_alu instid0(VALU_DEP_2) | instskip(SKIP_3) | instid1(VALU_DEP_1)
	v_pk_add_f32 v[30:31], v[30:31], v[140:141] neg_lo:[0,1] neg_hi:[0,1]
	ds_load_2addr_b64 v[140:143], v135 offset0:46 offset1:47
	s_wait_dscnt 0x0
	v_dual_mul_f32 v132, v141, v131 :: v_dual_mul_f32 v144, v141, v128
	v_pk_fma_f32 v[132:133], v[140:141], v[70:71], v[132:133] op_sel_hi:[1,1,0] neg_lo:[0,0,1] neg_hi:[0,0,1]
	s_delay_alu instid0(VALU_DEP_2) | instskip(NEXT) | instid1(VALU_DEP_1)
	v_pk_fma_f32 v[140:141], v[140:141], v[70:71], v[144:145] op_sel:[1,0,0] op_sel_hi:[0,1,0]
	v_mov_b32_e32 v133, v141
	s_delay_alu instid0(VALU_DEP_1) | instskip(SKIP_1) | instid1(VALU_DEP_1)
	v_pk_add_f32 v[32:33], v[32:33], v[132:133] neg_lo:[0,1] neg_hi:[0,1]
	v_pk_mul_f32 v[132:133], v[142:143], v[130:131] op_sel:[0,1]
	v_pk_fma_f32 v[140:141], v[142:143], v[128:129], v[132:133] op_sel:[0,0,1] op_sel_hi:[1,1,0] neg_lo:[0,0,1] neg_hi:[0,0,1]
	v_pk_fma_f32 v[132:133], v[142:143], v[128:129], v[132:133] op_sel:[0,0,1] op_sel_hi:[1,0,0]
	s_delay_alu instid0(VALU_DEP_1) | instskip(NEXT) | instid1(VALU_DEP_1)
	v_mov_b32_e32 v141, v133
	v_pk_add_f32 v[28:29], v[28:29], v[140:141] neg_lo:[0,1] neg_hi:[0,1]
	ds_load_2addr_b64 v[140:143], v135 offset0:48 offset1:49
	s_wait_dscnt 0x0
	v_pk_mul_f32 v[132:133], v[140:141], v[130:131] op_sel:[0,1]
	s_delay_alu instid0(VALU_DEP_1) | instskip(SKIP_1) | instid1(VALU_DEP_1)
	v_pk_fma_f32 v[144:145], v[140:141], v[128:129], v[132:133] op_sel:[0,0,1] op_sel_hi:[1,1,0] neg_lo:[0,0,1] neg_hi:[0,0,1]
	v_pk_fma_f32 v[132:133], v[140:141], v[128:129], v[132:133] op_sel:[0,0,1] op_sel_hi:[1,0,0]
	v_mov_b32_e32 v145, v133
	v_pk_mul_f32 v[132:133], v[142:143], v[130:131] op_sel:[0,1]
	s_delay_alu instid0(VALU_DEP_2) | instskip(NEXT) | instid1(VALU_DEP_2)
	v_pk_add_f32 v[26:27], v[26:27], v[144:145] neg_lo:[0,1] neg_hi:[0,1]
	v_pk_fma_f32 v[140:141], v[142:143], v[128:129], v[132:133] op_sel:[0,0,1] op_sel_hi:[1,1,0] neg_lo:[0,0,1] neg_hi:[0,0,1]
	v_pk_fma_f32 v[132:133], v[142:143], v[128:129], v[132:133] op_sel:[0,0,1] op_sel_hi:[1,0,0]
	s_delay_alu instid0(VALU_DEP_1) | instskip(NEXT) | instid1(VALU_DEP_1)
	v_mov_b32_e32 v141, v133
	v_pk_add_f32 v[22:23], v[22:23], v[140:141] neg_lo:[0,1] neg_hi:[0,1]
	ds_load_2addr_b64 v[140:143], v135 offset0:50 offset1:51
	s_wait_dscnt 0x0
	v_pk_mul_f32 v[132:133], v[140:141], v[130:131] op_sel:[0,1]
	s_delay_alu instid0(VALU_DEP_1) | instskip(SKIP_2) | instid1(VALU_DEP_2)
	v_pk_fma_f32 v[144:145], v[140:141], v[128:129], v[132:133] op_sel:[0,0,1] op_sel_hi:[1,1,0] neg_lo:[0,0,1] neg_hi:[0,0,1]
	v_pk_fma_f32 v[132:133], v[140:141], v[128:129], v[132:133] op_sel:[0,0,1] op_sel_hi:[1,0,0]
	v_dual_mul_f32 v140, v143, v131 :: v_dual_mov_b32 v132, v143
	v_dual_mov_b32 v145, v133 :: v_dual_mov_b32 v133, v142
	s_delay_alu instid0(VALU_DEP_2) | instskip(SKIP_1) | instid1(VALU_DEP_3)
	v_pk_fma_f32 v[140:141], v[142:143], v[70:71], v[140:141] op_sel_hi:[1,1,0] neg_lo:[0,0,1] neg_hi:[0,0,1]
	v_mul_f32_e32 v142, v143, v128
	v_pk_add_f32 v[24:25], v[24:25], v[144:145] neg_lo:[0,1] neg_hi:[0,1]
	s_delay_alu instid0(VALU_DEP_2) | instskip(NEXT) | instid1(VALU_DEP_1)
	v_pk_fma_f32 v[132:133], v[132:133], v[70:71], v[142:143] op_sel_hi:[1,1,0]
	v_mov_b32_e32 v141, v133
	s_delay_alu instid0(VALU_DEP_1) | instskip(SKIP_3) | instid1(VALU_DEP_1)
	v_pk_add_f32 v[44:45], v[44:45], v[140:141] neg_lo:[0,1] neg_hi:[0,1]
	ds_load_2addr_b64 v[140:143], v135 offset0:52 offset1:53
	s_wait_dscnt 0x0
	v_pk_mul_f32 v[132:133], v[140:141], v[130:131] op_sel:[0,1]
	v_pk_fma_f32 v[144:145], v[140:141], v[128:129], v[132:133] op_sel:[0,0,1] op_sel_hi:[1,1,0] neg_lo:[0,0,1] neg_hi:[0,0,1]
	v_pk_fma_f32 v[132:133], v[140:141], v[128:129], v[132:133] op_sel:[0,0,1] op_sel_hi:[1,0,0]
	s_delay_alu instid0(VALU_DEP_1) | instskip(SKIP_1) | instid1(VALU_DEP_1)
	v_mov_b32_e32 v145, v133
	v_pk_mul_f32 v[132:133], v[142:143], v[130:131] op_sel:[0,1]
	v_pk_fma_f32 v[140:141], v[142:143], v[128:129], v[132:133] op_sel:[0,0,1] op_sel_hi:[1,1,0] neg_lo:[0,0,1] neg_hi:[0,0,1]
	v_pk_fma_f32 v[132:133], v[142:143], v[128:129], v[132:133] op_sel:[0,0,1] op_sel_hi:[1,0,0]
	s_delay_alu instid0(VALU_DEP_1) | instskip(SKIP_1) | instid1(VALU_DEP_2)
	v_mov_b32_e32 v141, v133
	v_pk_add_f32 v[16:17], v[16:17], v[144:145] neg_lo:[0,1] neg_hi:[0,1]
	v_pk_add_f32 v[12:13], v[12:13], v[140:141] neg_lo:[0,1] neg_hi:[0,1]
	ds_load_2addr_b64 v[140:143], v135 offset0:54 offset1:55
	s_wait_dscnt 0x0
	v_pk_mul_f32 v[132:133], v[140:141], v[130:131] op_sel:[0,1]
	s_delay_alu instid0(VALU_DEP_1) | instskip(SKIP_1) | instid1(VALU_DEP_1)
	v_pk_fma_f32 v[144:145], v[140:141], v[128:129], v[132:133] op_sel:[0,0,1] op_sel_hi:[1,1,0] neg_lo:[0,0,1] neg_hi:[0,0,1]
	v_pk_fma_f32 v[132:133], v[140:141], v[128:129], v[132:133] op_sel:[0,0,1] op_sel_hi:[1,0,0]
	v_mov_b32_e32 v145, v133
	v_pk_mul_f32 v[132:133], v[142:143], v[130:131] op_sel:[0,1]
	s_delay_alu instid0(VALU_DEP_1) | instskip(SKIP_1) | instid1(VALU_DEP_1)
	v_pk_fma_f32 v[140:141], v[142:143], v[128:129], v[132:133] op_sel:[0,0,1] op_sel_hi:[1,1,0] neg_lo:[0,0,1] neg_hi:[0,0,1]
	v_pk_fma_f32 v[132:133], v[142:143], v[128:129], v[132:133] op_sel:[0,0,1] op_sel_hi:[1,0,0]
	v_mov_b32_e32 v141, v133
	v_pk_add_f32 v[14:15], v[14:15], v[144:145] neg_lo:[0,1] neg_hi:[0,1]
	s_delay_alu instid0(VALU_DEP_2) | instskip(SKIP_3) | instid1(VALU_DEP_1)
	v_pk_add_f32 v[10:11], v[10:11], v[140:141] neg_lo:[0,1] neg_hi:[0,1]
	ds_load_2addr_b64 v[140:143], v135 offset0:56 offset1:57
	s_wait_dscnt 0x0
	v_dual_mul_f32 v132, v141, v131 :: v_dual_mul_f32 v144, v141, v128
	v_pk_fma_f32 v[132:133], v[140:141], v[70:71], v[132:133] op_sel_hi:[1,1,0] neg_lo:[0,0,1] neg_hi:[0,0,1]
	s_delay_alu instid0(VALU_DEP_2) | instskip(NEXT) | instid1(VALU_DEP_1)
	v_pk_fma_f32 v[140:141], v[140:141], v[70:71], v[144:145] op_sel:[1,0,0] op_sel_hi:[0,1,0]
	v_mov_b32_e32 v133, v141
	s_delay_alu instid0(VALU_DEP_1) | instskip(SKIP_1) | instid1(VALU_DEP_1)
	v_pk_add_f32 v[6:7], v[6:7], v[132:133] neg_lo:[0,1] neg_hi:[0,1]
	v_pk_mul_f32 v[132:133], v[142:143], v[130:131] op_sel:[0,1]
	v_pk_fma_f32 v[140:141], v[142:143], v[128:129], v[132:133] op_sel:[0,0,1] op_sel_hi:[1,1,0] neg_lo:[0,0,1] neg_hi:[0,0,1]
	v_pk_fma_f32 v[132:133], v[142:143], v[128:129], v[132:133] op_sel:[0,0,1] op_sel_hi:[1,0,0]
	s_delay_alu instid0(VALU_DEP_1) | instskip(NEXT) | instid1(VALU_DEP_1)
	v_mov_b32_e32 v141, v133
	v_pk_add_f32 v[20:21], v[20:21], v[140:141] neg_lo:[0,1] neg_hi:[0,1]
	ds_load_2addr_b64 v[140:143], v135 offset0:58 offset1:59
	s_wait_dscnt 0x0
	v_pk_mul_f32 v[132:133], v[140:141], v[130:131] op_sel:[0,1]
	s_delay_alu instid0(VALU_DEP_1) | instskip(SKIP_1) | instid1(VALU_DEP_1)
	v_pk_fma_f32 v[144:145], v[140:141], v[128:129], v[132:133] op_sel:[0,0,1] op_sel_hi:[1,1,0] neg_lo:[0,0,1] neg_hi:[0,0,1]
	v_pk_fma_f32 v[132:133], v[140:141], v[128:129], v[132:133] op_sel:[0,0,1] op_sel_hi:[1,0,0]
	v_mov_b32_e32 v145, v133
	v_pk_mul_f32 v[132:133], v[142:143], v[130:131] op_sel:[0,1]
	s_delay_alu instid0(VALU_DEP_2) | instskip(NEXT) | instid1(VALU_DEP_2)
	v_pk_add_f32 v[18:19], v[18:19], v[144:145] neg_lo:[0,1] neg_hi:[0,1]
	v_pk_fma_f32 v[140:141], v[142:143], v[128:129], v[132:133] op_sel:[0,0,1] op_sel_hi:[1,1,0] neg_lo:[0,0,1] neg_hi:[0,0,1]
	v_pk_fma_f32 v[132:133], v[142:143], v[128:129], v[132:133] op_sel:[0,0,1] op_sel_hi:[1,0,0]
	s_delay_alu instid0(VALU_DEP_1) | instskip(SKIP_4) | instid1(VALU_DEP_1)
	v_mov_b32_e32 v141, v133
	ds_load_b64 v[132:133], v135 offset:480
	v_pk_add_f32 v[8:9], v[8:9], v[140:141] neg_lo:[0,1] neg_hi:[0,1]
	s_wait_dscnt 0x0
	v_pk_mul_f32 v[130:131], v[132:133], v[130:131] op_sel:[0,1]
	v_pk_fma_f32 v[140:141], v[132:133], v[128:129], v[130:131] op_sel:[0,0,1] op_sel_hi:[1,1,0] neg_lo:[0,0,1] neg_hi:[0,0,1]
	v_pk_fma_f32 v[128:129], v[132:133], v[128:129], v[130:131] op_sel:[0,0,1] op_sel_hi:[1,0,0]
	s_delay_alu instid0(VALU_DEP_1) | instskip(NEXT) | instid1(VALU_DEP_1)
	v_mov_b32_e32 v141, v129
	v_pk_add_f32 v[126:127], v[126:127], v[140:141] neg_lo:[0,1] neg_hi:[0,1]
.LBB120_587:
	s_or_b32 exec_lo, exec_lo, s0
	v_lshl_add_u32 v128, v138, 3, v135
	s_barrier_signal -1
	s_barrier_wait -1
	ds_store_b64 v128, v[68:69]
	s_wait_dscnt 0x0
	s_barrier_signal -1
	s_barrier_wait -1
	ds_load_b64 v[130:131], v135 offset:224
	v_mov_b32_e32 v128, 28
	s_cmp_lt_i32 s18, 30
	s_cbranch_scc1 .LBB120_590
; %bb.588:
	v_add3_u32 v129, v136, 0, 0xe8
	v_mov_b32_e32 v128, 28
	s_mov_b32 s0, 29
.LBB120_589:                            ; =>This Inner Loop Header: Depth=1
	ds_load_b64 v[132:133], v129
	s_wait_dscnt 0x1
	v_cmp_gt_f32_e32 vcc_lo, 0, v130
	v_cndmask_b32_e64 v140, v130, -v130, vcc_lo
	v_cmp_gt_f32_e32 vcc_lo, 0, v131
	v_cndmask_b32_e64 v142, v131, -v131, vcc_lo
	s_wait_dscnt 0x0
	v_cmp_gt_f32_e32 vcc_lo, 0, v132
	v_cndmask_b32_e64 v141, v132, -v132, vcc_lo
	v_cmp_gt_f32_e32 vcc_lo, 0, v133
	v_cndmask_b32_e64 v143, v133, -v133, vcc_lo
	s_delay_alu instid0(VALU_DEP_1) | instskip(NEXT) | instid1(VALU_DEP_1)
	v_pk_add_f32 v[140:141], v[140:141], v[142:143]
	v_cmp_lt_f32_e32 vcc_lo, v140, v141
	v_dual_cndmask_b32 v130, v130, v132 :: v_dual_add_nc_u32 v129, 8, v129
	v_cndmask_b32_e32 v131, v131, v133, vcc_lo
	v_cndmask_b32_e64 v128, v128, s0, vcc_lo
	s_add_co_i32 s0, s0, 1
	s_delay_alu instid0(SALU_CYCLE_1)
	s_cmp_lg_u32 s18, s0
	s_cbranch_scc1 .LBB120_589
.LBB120_590:
	s_wait_dscnt 0x0
	v_cmp_eq_f32_e32 vcc_lo, 0, v130
	v_cmp_eq_f32_e64 s0, 0, v131
	s_and_b32 s0, vcc_lo, s0
	s_delay_alu instid0(SALU_CYCLE_1) | instskip(NEXT) | instid1(SALU_CYCLE_1)
	s_and_saveexec_b32 s1, s0
	s_xor_b32 s0, exec_lo, s1
; %bb.591:
	v_cmp_ne_u32_e32 vcc_lo, 0, v134
	v_cndmask_b32_e32 v134, 29, v134, vcc_lo
; %bb.592:
	s_and_not1_saveexec_b32 s0, s0
	s_cbranch_execz .LBB120_598
; %bb.593:
	v_cmp_ngt_f32_e64 s1, |v130|, |v131|
	s_and_saveexec_b32 s12, s1
	s_delay_alu instid0(SALU_CYCLE_1)
	s_xor_b32 s1, exec_lo, s12
	s_cbranch_execz .LBB120_595
; %bb.594:
	v_div_scale_f32 v129, null, v131, v131, v130
	v_div_scale_f32 v139, vcc_lo, v130, v131, v130
	s_delay_alu instid0(VALU_DEP_2) | instskip(SKIP_1) | instid1(TRANS32_DEP_1)
	v_rcp_f32_e32 v132, v129
	v_nop
	v_fma_f32 v133, -v129, v132, 1.0
	s_delay_alu instid0(VALU_DEP_1) | instskip(NEXT) | instid1(VALU_DEP_1)
	v_fmac_f32_e32 v132, v133, v132
	v_mul_f32_e32 v133, v139, v132
	s_delay_alu instid0(VALU_DEP_1) | instskip(NEXT) | instid1(VALU_DEP_1)
	v_fma_f32 v140, -v129, v133, v139
	v_fmac_f32_e32 v133, v140, v132
	s_delay_alu instid0(VALU_DEP_1) | instskip(NEXT) | instid1(VALU_DEP_1)
	v_fma_f32 v129, -v129, v133, v139
	v_div_fmas_f32 v129, v129, v132, v133
	s_delay_alu instid0(VALU_DEP_1) | instskip(NEXT) | instid1(VALU_DEP_1)
	v_div_fixup_f32 v129, v129, v131, v130
	v_fmac_f32_e32 v131, v130, v129
	s_delay_alu instid0(VALU_DEP_1) | instskip(SKIP_1) | instid1(VALU_DEP_2)
	v_div_scale_f32 v130, null, v131, v131, 1.0
	v_div_scale_f32 v139, vcc_lo, 1.0, v131, 1.0
	v_rcp_f32_e32 v132, v130
	v_nop
	s_delay_alu instid0(TRANS32_DEP_1) | instskip(NEXT) | instid1(VALU_DEP_1)
	v_fma_f32 v133, -v130, v132, 1.0
	v_fmac_f32_e32 v132, v133, v132
	s_delay_alu instid0(VALU_DEP_1) | instskip(NEXT) | instid1(VALU_DEP_1)
	v_mul_f32_e32 v133, v139, v132
	v_fma_f32 v140, -v130, v133, v139
	s_delay_alu instid0(VALU_DEP_1) | instskip(NEXT) | instid1(VALU_DEP_1)
	v_fmac_f32_e32 v133, v140, v132
	v_fma_f32 v130, -v130, v133, v139
	s_delay_alu instid0(VALU_DEP_1) | instskip(NEXT) | instid1(VALU_DEP_1)
	v_div_fmas_f32 v130, v130, v132, v133
	v_div_fixup_f32 v131, v130, v131, 1.0
	s_delay_alu instid0(VALU_DEP_1)
	v_mul_f32_e32 v130, v129, v131
	v_xor_b32_e32 v131, 0x80000000, v131
.LBB120_595:
	s_and_not1_saveexec_b32 s1, s1
	s_cbranch_execz .LBB120_597
; %bb.596:
	s_delay_alu instid0(VALU_DEP_1) | instskip(SKIP_1) | instid1(VALU_DEP_2)
	v_div_scale_f32 v129, null, v130, v130, v131
	v_div_scale_f32 v139, vcc_lo, v131, v130, v131
	v_rcp_f32_e32 v132, v129
	v_nop
	s_delay_alu instid0(TRANS32_DEP_1) | instskip(NEXT) | instid1(VALU_DEP_1)
	v_fma_f32 v133, -v129, v132, 1.0
	v_fmac_f32_e32 v132, v133, v132
	s_delay_alu instid0(VALU_DEP_1) | instskip(NEXT) | instid1(VALU_DEP_1)
	v_mul_f32_e32 v133, v139, v132
	v_fma_f32 v140, -v129, v133, v139
	s_delay_alu instid0(VALU_DEP_1) | instskip(NEXT) | instid1(VALU_DEP_1)
	v_fmac_f32_e32 v133, v140, v132
	v_fma_f32 v129, -v129, v133, v139
	s_delay_alu instid0(VALU_DEP_1) | instskip(NEXT) | instid1(VALU_DEP_1)
	v_div_fmas_f32 v129, v129, v132, v133
	v_div_fixup_f32 v129, v129, v130, v131
	s_delay_alu instid0(VALU_DEP_1) | instskip(NEXT) | instid1(VALU_DEP_1)
	v_fmac_f32_e32 v130, v131, v129
	v_div_scale_f32 v131, null, v130, v130, 1.0
	s_delay_alu instid0(VALU_DEP_1) | instskip(SKIP_1) | instid1(TRANS32_DEP_1)
	v_rcp_f32_e32 v132, v131
	v_nop
	v_fma_f32 v133, -v131, v132, 1.0
	s_delay_alu instid0(VALU_DEP_1) | instskip(SKIP_1) | instid1(VALU_DEP_1)
	v_fmac_f32_e32 v132, v133, v132
	v_div_scale_f32 v133, vcc_lo, 1.0, v130, 1.0
	v_mul_f32_e32 v139, v133, v132
	s_delay_alu instid0(VALU_DEP_1) | instskip(NEXT) | instid1(VALU_DEP_1)
	v_fma_f32 v140, -v131, v139, v133
	v_fmac_f32_e32 v139, v140, v132
	s_delay_alu instid0(VALU_DEP_1) | instskip(NEXT) | instid1(VALU_DEP_1)
	v_fma_f32 v131, -v131, v139, v133
	v_div_fmas_f32 v131, v131, v132, v139
	s_delay_alu instid0(VALU_DEP_1) | instskip(NEXT) | instid1(VALU_DEP_1)
	v_div_fixup_f32 v130, v131, v130, 1.0
	v_mul_f32_e64 v131, v129, -v130
.LBB120_597:
	s_or_b32 exec_lo, exec_lo, s1
.LBB120_598:
	s_delay_alu instid0(SALU_CYCLE_1) | instskip(NEXT) | instid1(SALU_CYCLE_1)
	s_or_b32 exec_lo, exec_lo, s0
	s_mov_b32 s0, exec_lo
	v_cmpx_ne_u32_e64 v138, v128
	s_xor_b32 s0, exec_lo, s0
	s_cbranch_execz .LBB120_604
; %bb.599:
	s_mov_b32 s1, exec_lo
	v_cmpx_eq_u32_e32 28, v138
	s_cbranch_execz .LBB120_603
; %bb.600:
	v_cmp_ne_u32_e32 vcc_lo, 28, v128
	s_xor_b32 s12, s16, -1
	s_delay_alu instid0(SALU_CYCLE_1) | instskip(NEXT) | instid1(SALU_CYCLE_1)
	s_and_b32 s13, s12, vcc_lo
	s_and_saveexec_b32 s12, s13
	s_cbranch_execz .LBB120_602
; %bb.601:
	v_ashrrev_i32_e32 v129, 31, v128
	s_delay_alu instid0(VALU_DEP_1)
	v_lshl_add_u64 v[132:133], v[128:129], 2, v[4:5]
	s_clause 0x1
	global_load_b32 v129, v[132:133], off
	global_load_b32 v137, v[4:5], off offset:112
	s_wait_loadcnt 0x1
	global_store_b32 v[4:5], v129, off offset:112
	s_wait_loadcnt 0x0
	global_store_b32 v[132:133], v137, off
.LBB120_602:
	s_wait_xcnt 0x0
	s_or_b32 exec_lo, exec_lo, s12
	v_dual_mov_b32 v138, v128 :: v_dual_mov_b32 v137, v128
.LBB120_603:
	s_or_b32 exec_lo, exec_lo, s1
.LBB120_604:
	s_and_not1_saveexec_b32 s0, s0
	s_cbranch_execz .LBB120_606
; %bb.605:
	v_mov_b32_e32 v138, 28
	ds_store_2addr_b64 v135, v[64:65], v[66:67] offset0:29 offset1:30
	ds_store_2addr_b64 v135, v[62:63], v[60:61] offset0:31 offset1:32
	;; [unrolled: 1-line block ×16, first 2 shown]
.LBB120_606:
	s_or_b32 exec_lo, exec_lo, s0
	s_delay_alu instid0(SALU_CYCLE_1)
	s_mov_b32 s0, exec_lo
	s_wait_storecnt_dscnt 0x0
	s_barrier_signal -1
	s_barrier_wait -1
	v_cmpx_lt_i32_e32 28, v138
	s_cbranch_execz .LBB120_608
; %bb.607:
	ds_load_2addr_b64 v[140:143], v135 offset0:29 offset1:30
	v_pk_mul_f32 v[132:133], v[130:131], v[68:69] op_sel:[1,1] op_sel_hi:[0,1]
	s_delay_alu instid0(VALU_DEP_1) | instskip(SKIP_1) | instid1(VALU_DEP_1)
	v_pk_fma_f32 v[128:129], v[130:131], v[68:69], v[132:133] op_sel_hi:[1,0,1] neg_lo:[0,0,1] neg_hi:[0,0,1]
	v_pk_fma_f32 v[130:131], v[130:131], v[68:69], v[132:133] op_sel_hi:[1,0,1]
	v_dual_mov_b32 v68, v128 :: v_dual_mov_b32 v69, v131
	s_wait_dscnt 0x0
	s_delay_alu instid0(VALU_DEP_2) | instskip(NEXT) | instid1(VALU_DEP_1)
	v_pk_mul_f32 v[132:133], v[140:141], v[130:131] op_sel:[0,1]
	v_pk_fma_f32 v[144:145], v[140:141], v[128:129], v[132:133] op_sel:[0,0,1] op_sel_hi:[1,1,0] neg_lo:[0,0,1] neg_hi:[0,0,1]
	v_pk_fma_f32 v[132:133], v[140:141], v[128:129], v[132:133] op_sel:[0,0,1] op_sel_hi:[1,0,0]
	s_delay_alu instid0(VALU_DEP_1) | instskip(SKIP_1) | instid1(VALU_DEP_1)
	v_mov_b32_e32 v145, v133
	v_pk_mul_f32 v[132:133], v[142:143], v[130:131] op_sel:[0,1]
	v_pk_fma_f32 v[140:141], v[142:143], v[128:129], v[132:133] op_sel:[0,0,1] op_sel_hi:[1,1,0] neg_lo:[0,0,1] neg_hi:[0,0,1]
	v_pk_fma_f32 v[132:133], v[142:143], v[128:129], v[132:133] op_sel:[0,0,1] op_sel_hi:[1,0,0]
	s_delay_alu instid0(VALU_DEP_1) | instskip(SKIP_1) | instid1(VALU_DEP_2)
	v_mov_b32_e32 v141, v133
	v_pk_add_f32 v[64:65], v[64:65], v[144:145] neg_lo:[0,1] neg_hi:[0,1]
	v_pk_add_f32 v[66:67], v[66:67], v[140:141] neg_lo:[0,1] neg_hi:[0,1]
	ds_load_2addr_b64 v[140:143], v135 offset0:31 offset1:32
	s_wait_dscnt 0x0
	v_pk_mul_f32 v[132:133], v[140:141], v[130:131] op_sel:[0,1]
	s_delay_alu instid0(VALU_DEP_1) | instskip(SKIP_2) | instid1(VALU_DEP_2)
	v_pk_fma_f32 v[144:145], v[140:141], v[128:129], v[132:133] op_sel:[0,0,1] op_sel_hi:[1,1,0] neg_lo:[0,0,1] neg_hi:[0,0,1]
	v_pk_fma_f32 v[132:133], v[140:141], v[128:129], v[132:133] op_sel:[0,0,1] op_sel_hi:[1,0,0]
	v_dual_mul_f32 v140, v143, v131 :: v_dual_mov_b32 v132, v143
	v_dual_mov_b32 v145, v133 :: v_dual_mov_b32 v133, v142
	s_delay_alu instid0(VALU_DEP_2) | instskip(SKIP_1) | instid1(VALU_DEP_3)
	v_pk_fma_f32 v[140:141], v[142:143], v[68:69], v[140:141] op_sel_hi:[1,1,0] neg_lo:[0,0,1] neg_hi:[0,0,1]
	v_mul_f32_e32 v142, v143, v128
	v_pk_add_f32 v[62:63], v[62:63], v[144:145] neg_lo:[0,1] neg_hi:[0,1]
	s_delay_alu instid0(VALU_DEP_2) | instskip(NEXT) | instid1(VALU_DEP_1)
	v_pk_fma_f32 v[132:133], v[132:133], v[68:69], v[142:143] op_sel_hi:[1,1,0]
	v_mov_b32_e32 v141, v133
	s_delay_alu instid0(VALU_DEP_1) | instskip(SKIP_3) | instid1(VALU_DEP_1)
	v_pk_add_f32 v[60:61], v[60:61], v[140:141] neg_lo:[0,1] neg_hi:[0,1]
	ds_load_2addr_b64 v[140:143], v135 offset0:33 offset1:34
	s_wait_dscnt 0x0
	v_pk_mul_f32 v[132:133], v[140:141], v[130:131] op_sel:[0,1]
	v_pk_fma_f32 v[144:145], v[140:141], v[128:129], v[132:133] op_sel:[0,0,1] op_sel_hi:[1,1,0] neg_lo:[0,0,1] neg_hi:[0,0,1]
	v_pk_fma_f32 v[132:133], v[140:141], v[128:129], v[132:133] op_sel:[0,0,1] op_sel_hi:[1,0,0]
	s_delay_alu instid0(VALU_DEP_1) | instskip(SKIP_1) | instid1(VALU_DEP_1)
	v_mov_b32_e32 v145, v133
	v_pk_mul_f32 v[132:133], v[142:143], v[130:131] op_sel:[0,1]
	v_pk_fma_f32 v[140:141], v[142:143], v[128:129], v[132:133] op_sel:[0,0,1] op_sel_hi:[1,1,0] neg_lo:[0,0,1] neg_hi:[0,0,1]
	v_pk_fma_f32 v[132:133], v[142:143], v[128:129], v[132:133] op_sel:[0,0,1] op_sel_hi:[1,0,0]
	s_delay_alu instid0(VALU_DEP_1) | instskip(SKIP_1) | instid1(VALU_DEP_2)
	v_mov_b32_e32 v141, v133
	v_pk_add_f32 v[56:57], v[56:57], v[144:145] neg_lo:[0,1] neg_hi:[0,1]
	v_pk_add_f32 v[58:59], v[58:59], v[140:141] neg_lo:[0,1] neg_hi:[0,1]
	ds_load_2addr_b64 v[140:143], v135 offset0:35 offset1:36
	s_wait_dscnt 0x0
	v_pk_mul_f32 v[132:133], v[140:141], v[130:131] op_sel:[0,1]
	s_delay_alu instid0(VALU_DEP_1) | instskip(SKIP_1) | instid1(VALU_DEP_1)
	v_pk_fma_f32 v[144:145], v[140:141], v[128:129], v[132:133] op_sel:[0,0,1] op_sel_hi:[1,1,0] neg_lo:[0,0,1] neg_hi:[0,0,1]
	v_pk_fma_f32 v[132:133], v[140:141], v[128:129], v[132:133] op_sel:[0,0,1] op_sel_hi:[1,0,0]
	v_mov_b32_e32 v145, v133
	v_pk_mul_f32 v[132:133], v[142:143], v[130:131] op_sel:[0,1]
	s_delay_alu instid0(VALU_DEP_1) | instskip(SKIP_1) | instid1(VALU_DEP_1)
	v_pk_fma_f32 v[140:141], v[142:143], v[128:129], v[132:133] op_sel:[0,0,1] op_sel_hi:[1,1,0] neg_lo:[0,0,1] neg_hi:[0,0,1]
	v_pk_fma_f32 v[132:133], v[142:143], v[128:129], v[132:133] op_sel:[0,0,1] op_sel_hi:[1,0,0]
	v_mov_b32_e32 v141, v133
	v_pk_add_f32 v[54:55], v[54:55], v[144:145] neg_lo:[0,1] neg_hi:[0,1]
	s_delay_alu instid0(VALU_DEP_2) | instskip(SKIP_3) | instid1(VALU_DEP_1)
	v_pk_add_f32 v[52:53], v[52:53], v[140:141] neg_lo:[0,1] neg_hi:[0,1]
	ds_load_2addr_b64 v[140:143], v135 offset0:37 offset1:38
	s_wait_dscnt 0x0
	v_dual_mul_f32 v132, v141, v131 :: v_dual_mul_f32 v144, v141, v128
	v_pk_fma_f32 v[132:133], v[140:141], v[68:69], v[132:133] op_sel_hi:[1,1,0] neg_lo:[0,0,1] neg_hi:[0,0,1]
	s_delay_alu instid0(VALU_DEP_2) | instskip(NEXT) | instid1(VALU_DEP_1)
	v_pk_fma_f32 v[140:141], v[140:141], v[68:69], v[144:145] op_sel:[1,0,0] op_sel_hi:[0,1,0]
	v_mov_b32_e32 v133, v141
	s_delay_alu instid0(VALU_DEP_1) | instskip(SKIP_1) | instid1(VALU_DEP_1)
	v_pk_add_f32 v[48:49], v[48:49], v[132:133] neg_lo:[0,1] neg_hi:[0,1]
	v_pk_mul_f32 v[132:133], v[142:143], v[130:131] op_sel:[0,1]
	v_pk_fma_f32 v[140:141], v[142:143], v[128:129], v[132:133] op_sel:[0,0,1] op_sel_hi:[1,1,0] neg_lo:[0,0,1] neg_hi:[0,0,1]
	v_pk_fma_f32 v[132:133], v[142:143], v[128:129], v[132:133] op_sel:[0,0,1] op_sel_hi:[1,0,0]
	s_delay_alu instid0(VALU_DEP_1) | instskip(NEXT) | instid1(VALU_DEP_1)
	v_mov_b32_e32 v141, v133
	v_pk_add_f32 v[50:51], v[50:51], v[140:141] neg_lo:[0,1] neg_hi:[0,1]
	ds_load_2addr_b64 v[140:143], v135 offset0:39 offset1:40
	s_wait_dscnt 0x0
	v_pk_mul_f32 v[132:133], v[140:141], v[130:131] op_sel:[0,1]
	s_delay_alu instid0(VALU_DEP_1) | instskip(SKIP_1) | instid1(VALU_DEP_1)
	v_pk_fma_f32 v[144:145], v[140:141], v[128:129], v[132:133] op_sel:[0,0,1] op_sel_hi:[1,1,0] neg_lo:[0,0,1] neg_hi:[0,0,1]
	v_pk_fma_f32 v[132:133], v[140:141], v[128:129], v[132:133] op_sel:[0,0,1] op_sel_hi:[1,0,0]
	v_mov_b32_e32 v145, v133
	v_pk_mul_f32 v[132:133], v[142:143], v[130:131] op_sel:[0,1]
	s_delay_alu instid0(VALU_DEP_2) | instskip(NEXT) | instid1(VALU_DEP_2)
	v_pk_add_f32 v[46:47], v[46:47], v[144:145] neg_lo:[0,1] neg_hi:[0,1]
	v_pk_fma_f32 v[140:141], v[142:143], v[128:129], v[132:133] op_sel:[0,0,1] op_sel_hi:[1,1,0] neg_lo:[0,0,1] neg_hi:[0,0,1]
	v_pk_fma_f32 v[132:133], v[142:143], v[128:129], v[132:133] op_sel:[0,0,1] op_sel_hi:[1,0,0]
	s_delay_alu instid0(VALU_DEP_1) | instskip(NEXT) | instid1(VALU_DEP_1)
	v_mov_b32_e32 v141, v133
	v_pk_add_f32 v[42:43], v[42:43], v[140:141] neg_lo:[0,1] neg_hi:[0,1]
	ds_load_2addr_b64 v[140:143], v135 offset0:41 offset1:42
	s_wait_dscnt 0x0
	v_pk_mul_f32 v[132:133], v[140:141], v[130:131] op_sel:[0,1]
	s_delay_alu instid0(VALU_DEP_1) | instskip(SKIP_2) | instid1(VALU_DEP_2)
	v_pk_fma_f32 v[144:145], v[140:141], v[128:129], v[132:133] op_sel:[0,0,1] op_sel_hi:[1,1,0] neg_lo:[0,0,1] neg_hi:[0,0,1]
	v_pk_fma_f32 v[132:133], v[140:141], v[128:129], v[132:133] op_sel:[0,0,1] op_sel_hi:[1,0,0]
	v_dual_mul_f32 v140, v143, v131 :: v_dual_mov_b32 v132, v143
	v_dual_mov_b32 v145, v133 :: v_dual_mov_b32 v133, v142
	s_delay_alu instid0(VALU_DEP_2) | instskip(SKIP_1) | instid1(VALU_DEP_3)
	v_pk_fma_f32 v[140:141], v[142:143], v[68:69], v[140:141] op_sel_hi:[1,1,0] neg_lo:[0,0,1] neg_hi:[0,0,1]
	v_mul_f32_e32 v142, v143, v128
	v_pk_add_f32 v[38:39], v[38:39], v[144:145] neg_lo:[0,1] neg_hi:[0,1]
	s_delay_alu instid0(VALU_DEP_2) | instskip(NEXT) | instid1(VALU_DEP_1)
	v_pk_fma_f32 v[132:133], v[132:133], v[68:69], v[142:143] op_sel_hi:[1,1,0]
	v_mov_b32_e32 v141, v133
	s_delay_alu instid0(VALU_DEP_1) | instskip(SKIP_3) | instid1(VALU_DEP_1)
	v_pk_add_f32 v[40:41], v[40:41], v[140:141] neg_lo:[0,1] neg_hi:[0,1]
	ds_load_2addr_b64 v[140:143], v135 offset0:43 offset1:44
	s_wait_dscnt 0x0
	v_pk_mul_f32 v[132:133], v[140:141], v[130:131] op_sel:[0,1]
	v_pk_fma_f32 v[144:145], v[140:141], v[128:129], v[132:133] op_sel:[0,0,1] op_sel_hi:[1,1,0] neg_lo:[0,0,1] neg_hi:[0,0,1]
	v_pk_fma_f32 v[132:133], v[140:141], v[128:129], v[132:133] op_sel:[0,0,1] op_sel_hi:[1,0,0]
	s_delay_alu instid0(VALU_DEP_1) | instskip(SKIP_1) | instid1(VALU_DEP_1)
	v_mov_b32_e32 v145, v133
	v_pk_mul_f32 v[132:133], v[142:143], v[130:131] op_sel:[0,1]
	v_pk_fma_f32 v[140:141], v[142:143], v[128:129], v[132:133] op_sel:[0,0,1] op_sel_hi:[1,1,0] neg_lo:[0,0,1] neg_hi:[0,0,1]
	v_pk_fma_f32 v[132:133], v[142:143], v[128:129], v[132:133] op_sel:[0,0,1] op_sel_hi:[1,0,0]
	s_delay_alu instid0(VALU_DEP_1) | instskip(SKIP_1) | instid1(VALU_DEP_2)
	v_mov_b32_e32 v141, v133
	v_pk_add_f32 v[36:37], v[36:37], v[144:145] neg_lo:[0,1] neg_hi:[0,1]
	v_pk_add_f32 v[34:35], v[34:35], v[140:141] neg_lo:[0,1] neg_hi:[0,1]
	ds_load_2addr_b64 v[140:143], v135 offset0:45 offset1:46
	s_wait_dscnt 0x0
	v_pk_mul_f32 v[132:133], v[140:141], v[130:131] op_sel:[0,1]
	s_delay_alu instid0(VALU_DEP_1) | instskip(SKIP_1) | instid1(VALU_DEP_1)
	v_pk_fma_f32 v[144:145], v[140:141], v[128:129], v[132:133] op_sel:[0,0,1] op_sel_hi:[1,1,0] neg_lo:[0,0,1] neg_hi:[0,0,1]
	v_pk_fma_f32 v[132:133], v[140:141], v[128:129], v[132:133] op_sel:[0,0,1] op_sel_hi:[1,0,0]
	v_mov_b32_e32 v145, v133
	v_pk_mul_f32 v[132:133], v[142:143], v[130:131] op_sel:[0,1]
	s_delay_alu instid0(VALU_DEP_1) | instskip(SKIP_1) | instid1(VALU_DEP_1)
	v_pk_fma_f32 v[140:141], v[142:143], v[128:129], v[132:133] op_sel:[0,0,1] op_sel_hi:[1,1,0] neg_lo:[0,0,1] neg_hi:[0,0,1]
	v_pk_fma_f32 v[132:133], v[142:143], v[128:129], v[132:133] op_sel:[0,0,1] op_sel_hi:[1,0,0]
	v_mov_b32_e32 v141, v133
	v_pk_add_f32 v[30:31], v[30:31], v[144:145] neg_lo:[0,1] neg_hi:[0,1]
	s_delay_alu instid0(VALU_DEP_2) | instskip(SKIP_3) | instid1(VALU_DEP_1)
	v_pk_add_f32 v[32:33], v[32:33], v[140:141] neg_lo:[0,1] neg_hi:[0,1]
	ds_load_2addr_b64 v[140:143], v135 offset0:47 offset1:48
	s_wait_dscnt 0x0
	v_dual_mul_f32 v132, v141, v131 :: v_dual_mul_f32 v144, v141, v128
	v_pk_fma_f32 v[132:133], v[140:141], v[68:69], v[132:133] op_sel_hi:[1,1,0] neg_lo:[0,0,1] neg_hi:[0,0,1]
	s_delay_alu instid0(VALU_DEP_2) | instskip(NEXT) | instid1(VALU_DEP_1)
	v_pk_fma_f32 v[140:141], v[140:141], v[68:69], v[144:145] op_sel:[1,0,0] op_sel_hi:[0,1,0]
	v_mov_b32_e32 v133, v141
	s_delay_alu instid0(VALU_DEP_1) | instskip(SKIP_1) | instid1(VALU_DEP_1)
	v_pk_add_f32 v[28:29], v[28:29], v[132:133] neg_lo:[0,1] neg_hi:[0,1]
	v_pk_mul_f32 v[132:133], v[142:143], v[130:131] op_sel:[0,1]
	v_pk_fma_f32 v[140:141], v[142:143], v[128:129], v[132:133] op_sel:[0,0,1] op_sel_hi:[1,1,0] neg_lo:[0,0,1] neg_hi:[0,0,1]
	v_pk_fma_f32 v[132:133], v[142:143], v[128:129], v[132:133] op_sel:[0,0,1] op_sel_hi:[1,0,0]
	s_delay_alu instid0(VALU_DEP_1) | instskip(NEXT) | instid1(VALU_DEP_1)
	v_mov_b32_e32 v141, v133
	v_pk_add_f32 v[26:27], v[26:27], v[140:141] neg_lo:[0,1] neg_hi:[0,1]
	ds_load_2addr_b64 v[140:143], v135 offset0:49 offset1:50
	s_wait_dscnt 0x0
	v_pk_mul_f32 v[132:133], v[140:141], v[130:131] op_sel:[0,1]
	s_delay_alu instid0(VALU_DEP_1) | instskip(SKIP_1) | instid1(VALU_DEP_1)
	v_pk_fma_f32 v[144:145], v[140:141], v[128:129], v[132:133] op_sel:[0,0,1] op_sel_hi:[1,1,0] neg_lo:[0,0,1] neg_hi:[0,0,1]
	v_pk_fma_f32 v[132:133], v[140:141], v[128:129], v[132:133] op_sel:[0,0,1] op_sel_hi:[1,0,0]
	v_mov_b32_e32 v145, v133
	v_pk_mul_f32 v[132:133], v[142:143], v[130:131] op_sel:[0,1]
	s_delay_alu instid0(VALU_DEP_2) | instskip(NEXT) | instid1(VALU_DEP_2)
	v_pk_add_f32 v[22:23], v[22:23], v[144:145] neg_lo:[0,1] neg_hi:[0,1]
	v_pk_fma_f32 v[140:141], v[142:143], v[128:129], v[132:133] op_sel:[0,0,1] op_sel_hi:[1,1,0] neg_lo:[0,0,1] neg_hi:[0,0,1]
	v_pk_fma_f32 v[132:133], v[142:143], v[128:129], v[132:133] op_sel:[0,0,1] op_sel_hi:[1,0,0]
	s_delay_alu instid0(VALU_DEP_1) | instskip(NEXT) | instid1(VALU_DEP_1)
	v_mov_b32_e32 v141, v133
	v_pk_add_f32 v[24:25], v[24:25], v[140:141] neg_lo:[0,1] neg_hi:[0,1]
	ds_load_2addr_b64 v[140:143], v135 offset0:51 offset1:52
	s_wait_dscnt 0x0
	v_pk_mul_f32 v[132:133], v[140:141], v[130:131] op_sel:[0,1]
	s_delay_alu instid0(VALU_DEP_1) | instskip(SKIP_2) | instid1(VALU_DEP_2)
	v_pk_fma_f32 v[144:145], v[140:141], v[128:129], v[132:133] op_sel:[0,0,1] op_sel_hi:[1,1,0] neg_lo:[0,0,1] neg_hi:[0,0,1]
	v_pk_fma_f32 v[132:133], v[140:141], v[128:129], v[132:133] op_sel:[0,0,1] op_sel_hi:[1,0,0]
	v_dual_mul_f32 v140, v143, v131 :: v_dual_mov_b32 v132, v143
	v_dual_mov_b32 v145, v133 :: v_dual_mov_b32 v133, v142
	s_delay_alu instid0(VALU_DEP_2) | instskip(SKIP_1) | instid1(VALU_DEP_3)
	v_pk_fma_f32 v[140:141], v[142:143], v[68:69], v[140:141] op_sel_hi:[1,1,0] neg_lo:[0,0,1] neg_hi:[0,0,1]
	v_mul_f32_e32 v142, v143, v128
	v_pk_add_f32 v[44:45], v[44:45], v[144:145] neg_lo:[0,1] neg_hi:[0,1]
	s_delay_alu instid0(VALU_DEP_2) | instskip(NEXT) | instid1(VALU_DEP_1)
	v_pk_fma_f32 v[132:133], v[132:133], v[68:69], v[142:143] op_sel_hi:[1,1,0]
	v_mov_b32_e32 v141, v133
	s_delay_alu instid0(VALU_DEP_1) | instskip(SKIP_3) | instid1(VALU_DEP_1)
	v_pk_add_f32 v[16:17], v[16:17], v[140:141] neg_lo:[0,1] neg_hi:[0,1]
	ds_load_2addr_b64 v[140:143], v135 offset0:53 offset1:54
	s_wait_dscnt 0x0
	v_pk_mul_f32 v[132:133], v[140:141], v[130:131] op_sel:[0,1]
	v_pk_fma_f32 v[144:145], v[140:141], v[128:129], v[132:133] op_sel:[0,0,1] op_sel_hi:[1,1,0] neg_lo:[0,0,1] neg_hi:[0,0,1]
	v_pk_fma_f32 v[132:133], v[140:141], v[128:129], v[132:133] op_sel:[0,0,1] op_sel_hi:[1,0,0]
	s_delay_alu instid0(VALU_DEP_1) | instskip(SKIP_1) | instid1(VALU_DEP_1)
	v_mov_b32_e32 v145, v133
	v_pk_mul_f32 v[132:133], v[142:143], v[130:131] op_sel:[0,1]
	v_pk_fma_f32 v[140:141], v[142:143], v[128:129], v[132:133] op_sel:[0,0,1] op_sel_hi:[1,1,0] neg_lo:[0,0,1] neg_hi:[0,0,1]
	v_pk_fma_f32 v[132:133], v[142:143], v[128:129], v[132:133] op_sel:[0,0,1] op_sel_hi:[1,0,0]
	s_delay_alu instid0(VALU_DEP_1) | instskip(SKIP_1) | instid1(VALU_DEP_2)
	v_mov_b32_e32 v141, v133
	v_pk_add_f32 v[12:13], v[12:13], v[144:145] neg_lo:[0,1] neg_hi:[0,1]
	v_pk_add_f32 v[14:15], v[14:15], v[140:141] neg_lo:[0,1] neg_hi:[0,1]
	ds_load_2addr_b64 v[140:143], v135 offset0:55 offset1:56
	s_wait_dscnt 0x0
	v_pk_mul_f32 v[132:133], v[140:141], v[130:131] op_sel:[0,1]
	s_delay_alu instid0(VALU_DEP_1) | instskip(SKIP_1) | instid1(VALU_DEP_1)
	v_pk_fma_f32 v[144:145], v[140:141], v[128:129], v[132:133] op_sel:[0,0,1] op_sel_hi:[1,1,0] neg_lo:[0,0,1] neg_hi:[0,0,1]
	v_pk_fma_f32 v[132:133], v[140:141], v[128:129], v[132:133] op_sel:[0,0,1] op_sel_hi:[1,0,0]
	v_mov_b32_e32 v145, v133
	v_pk_mul_f32 v[132:133], v[142:143], v[130:131] op_sel:[0,1]
	s_delay_alu instid0(VALU_DEP_1) | instskip(SKIP_1) | instid1(VALU_DEP_1)
	v_pk_fma_f32 v[140:141], v[142:143], v[128:129], v[132:133] op_sel:[0,0,1] op_sel_hi:[1,1,0] neg_lo:[0,0,1] neg_hi:[0,0,1]
	v_pk_fma_f32 v[132:133], v[142:143], v[128:129], v[132:133] op_sel:[0,0,1] op_sel_hi:[1,0,0]
	v_mov_b32_e32 v141, v133
	v_pk_add_f32 v[10:11], v[10:11], v[144:145] neg_lo:[0,1] neg_hi:[0,1]
	s_delay_alu instid0(VALU_DEP_2) | instskip(SKIP_3) | instid1(VALU_DEP_1)
	v_pk_add_f32 v[6:7], v[6:7], v[140:141] neg_lo:[0,1] neg_hi:[0,1]
	ds_load_2addr_b64 v[140:143], v135 offset0:57 offset1:58
	s_wait_dscnt 0x0
	v_dual_mul_f32 v132, v141, v131 :: v_dual_mul_f32 v144, v141, v128
	v_pk_fma_f32 v[132:133], v[140:141], v[68:69], v[132:133] op_sel_hi:[1,1,0] neg_lo:[0,0,1] neg_hi:[0,0,1]
	s_delay_alu instid0(VALU_DEP_2) | instskip(NEXT) | instid1(VALU_DEP_1)
	v_pk_fma_f32 v[140:141], v[140:141], v[68:69], v[144:145] op_sel:[1,0,0] op_sel_hi:[0,1,0]
	v_mov_b32_e32 v133, v141
	s_delay_alu instid0(VALU_DEP_1) | instskip(SKIP_1) | instid1(VALU_DEP_1)
	v_pk_add_f32 v[20:21], v[20:21], v[132:133] neg_lo:[0,1] neg_hi:[0,1]
	v_pk_mul_f32 v[132:133], v[142:143], v[130:131] op_sel:[0,1]
	v_pk_fma_f32 v[140:141], v[142:143], v[128:129], v[132:133] op_sel:[0,0,1] op_sel_hi:[1,1,0] neg_lo:[0,0,1] neg_hi:[0,0,1]
	v_pk_fma_f32 v[132:133], v[142:143], v[128:129], v[132:133] op_sel:[0,0,1] op_sel_hi:[1,0,0]
	s_delay_alu instid0(VALU_DEP_1) | instskip(NEXT) | instid1(VALU_DEP_1)
	v_mov_b32_e32 v141, v133
	v_pk_add_f32 v[18:19], v[18:19], v[140:141] neg_lo:[0,1] neg_hi:[0,1]
	ds_load_2addr_b64 v[140:143], v135 offset0:59 offset1:60
	s_wait_dscnt 0x0
	v_pk_mul_f32 v[132:133], v[140:141], v[130:131] op_sel:[0,1]
	v_pk_mul_f32 v[130:131], v[142:143], v[130:131] op_sel:[0,1]
	s_delay_alu instid0(VALU_DEP_2) | instskip(SKIP_1) | instid1(VALU_DEP_1)
	v_pk_fma_f32 v[144:145], v[140:141], v[128:129], v[132:133] op_sel:[0,0,1] op_sel_hi:[1,1,0] neg_lo:[0,0,1] neg_hi:[0,0,1]
	v_pk_fma_f32 v[132:133], v[140:141], v[128:129], v[132:133] op_sel:[0,0,1] op_sel_hi:[1,0,0]
	v_mov_b32_e32 v145, v133
	s_delay_alu instid0(VALU_DEP_4) | instskip(SKIP_1) | instid1(VALU_DEP_3)
	v_pk_fma_f32 v[132:133], v[142:143], v[128:129], v[130:131] op_sel:[0,0,1] op_sel_hi:[1,1,0] neg_lo:[0,0,1] neg_hi:[0,0,1]
	v_pk_fma_f32 v[128:129], v[142:143], v[128:129], v[130:131] op_sel:[0,0,1] op_sel_hi:[1,0,0]
	v_pk_add_f32 v[8:9], v[8:9], v[144:145] neg_lo:[0,1] neg_hi:[0,1]
	s_delay_alu instid0(VALU_DEP_2) | instskip(NEXT) | instid1(VALU_DEP_1)
	v_mov_b32_e32 v133, v129
	v_pk_add_f32 v[126:127], v[126:127], v[132:133] neg_lo:[0,1] neg_hi:[0,1]
.LBB120_608:
	s_or_b32 exec_lo, exec_lo, s0
	v_lshl_add_u32 v128, v138, 3, v135
	s_barrier_signal -1
	s_barrier_wait -1
	ds_store_b64 v128, v[64:65]
	s_wait_dscnt 0x0
	s_barrier_signal -1
	s_barrier_wait -1
	ds_load_b64 v[130:131], v135 offset:232
	v_mov_b32_e32 v128, 29
	s_cmp_lt_i32 s18, 31
	s_cbranch_scc1 .LBB120_611
; %bb.609:
	v_add3_u32 v129, v136, 0, 0xf0
	v_mov_b32_e32 v128, 29
	s_mov_b32 s0, 30
.LBB120_610:                            ; =>This Inner Loop Header: Depth=1
	ds_load_b64 v[132:133], v129
	s_wait_dscnt 0x1
	v_cmp_gt_f32_e32 vcc_lo, 0, v130
	v_cndmask_b32_e64 v140, v130, -v130, vcc_lo
	v_cmp_gt_f32_e32 vcc_lo, 0, v131
	v_cndmask_b32_e64 v142, v131, -v131, vcc_lo
	s_wait_dscnt 0x0
	v_cmp_gt_f32_e32 vcc_lo, 0, v132
	v_cndmask_b32_e64 v141, v132, -v132, vcc_lo
	v_cmp_gt_f32_e32 vcc_lo, 0, v133
	v_cndmask_b32_e64 v143, v133, -v133, vcc_lo
	s_delay_alu instid0(VALU_DEP_1) | instskip(NEXT) | instid1(VALU_DEP_1)
	v_pk_add_f32 v[140:141], v[140:141], v[142:143]
	v_cmp_lt_f32_e32 vcc_lo, v140, v141
	v_dual_cndmask_b32 v130, v130, v132 :: v_dual_add_nc_u32 v129, 8, v129
	v_cndmask_b32_e32 v131, v131, v133, vcc_lo
	v_cndmask_b32_e64 v128, v128, s0, vcc_lo
	s_add_co_i32 s0, s0, 1
	s_delay_alu instid0(SALU_CYCLE_1)
	s_cmp_lg_u32 s18, s0
	s_cbranch_scc1 .LBB120_610
.LBB120_611:
	s_wait_dscnt 0x0
	v_cmp_eq_f32_e32 vcc_lo, 0, v130
	v_cmp_eq_f32_e64 s0, 0, v131
	s_and_b32 s0, vcc_lo, s0
	s_delay_alu instid0(SALU_CYCLE_1) | instskip(NEXT) | instid1(SALU_CYCLE_1)
	s_and_saveexec_b32 s1, s0
	s_xor_b32 s0, exec_lo, s1
; %bb.612:
	v_cmp_ne_u32_e32 vcc_lo, 0, v134
	v_cndmask_b32_e32 v134, 30, v134, vcc_lo
; %bb.613:
	s_and_not1_saveexec_b32 s0, s0
	s_cbranch_execz .LBB120_619
; %bb.614:
	v_cmp_ngt_f32_e64 s1, |v130|, |v131|
	s_and_saveexec_b32 s12, s1
	s_delay_alu instid0(SALU_CYCLE_1)
	s_xor_b32 s1, exec_lo, s12
	s_cbranch_execz .LBB120_616
; %bb.615:
	v_div_scale_f32 v129, null, v131, v131, v130
	v_div_scale_f32 v139, vcc_lo, v130, v131, v130
	s_delay_alu instid0(VALU_DEP_2) | instskip(SKIP_1) | instid1(TRANS32_DEP_1)
	v_rcp_f32_e32 v132, v129
	v_nop
	v_fma_f32 v133, -v129, v132, 1.0
	s_delay_alu instid0(VALU_DEP_1) | instskip(NEXT) | instid1(VALU_DEP_1)
	v_fmac_f32_e32 v132, v133, v132
	v_mul_f32_e32 v133, v139, v132
	s_delay_alu instid0(VALU_DEP_1) | instskip(NEXT) | instid1(VALU_DEP_1)
	v_fma_f32 v140, -v129, v133, v139
	v_fmac_f32_e32 v133, v140, v132
	s_delay_alu instid0(VALU_DEP_1) | instskip(NEXT) | instid1(VALU_DEP_1)
	v_fma_f32 v129, -v129, v133, v139
	v_div_fmas_f32 v129, v129, v132, v133
	s_delay_alu instid0(VALU_DEP_1) | instskip(NEXT) | instid1(VALU_DEP_1)
	v_div_fixup_f32 v129, v129, v131, v130
	v_fmac_f32_e32 v131, v130, v129
	s_delay_alu instid0(VALU_DEP_1) | instskip(SKIP_1) | instid1(VALU_DEP_2)
	v_div_scale_f32 v130, null, v131, v131, 1.0
	v_div_scale_f32 v139, vcc_lo, 1.0, v131, 1.0
	v_rcp_f32_e32 v132, v130
	v_nop
	s_delay_alu instid0(TRANS32_DEP_1) | instskip(NEXT) | instid1(VALU_DEP_1)
	v_fma_f32 v133, -v130, v132, 1.0
	v_fmac_f32_e32 v132, v133, v132
	s_delay_alu instid0(VALU_DEP_1) | instskip(NEXT) | instid1(VALU_DEP_1)
	v_mul_f32_e32 v133, v139, v132
	v_fma_f32 v140, -v130, v133, v139
	s_delay_alu instid0(VALU_DEP_1) | instskip(NEXT) | instid1(VALU_DEP_1)
	v_fmac_f32_e32 v133, v140, v132
	v_fma_f32 v130, -v130, v133, v139
	s_delay_alu instid0(VALU_DEP_1) | instskip(NEXT) | instid1(VALU_DEP_1)
	v_div_fmas_f32 v130, v130, v132, v133
	v_div_fixup_f32 v131, v130, v131, 1.0
	s_delay_alu instid0(VALU_DEP_1)
	v_mul_f32_e32 v130, v129, v131
	v_xor_b32_e32 v131, 0x80000000, v131
.LBB120_616:
	s_and_not1_saveexec_b32 s1, s1
	s_cbranch_execz .LBB120_618
; %bb.617:
	s_delay_alu instid0(VALU_DEP_1) | instskip(SKIP_1) | instid1(VALU_DEP_2)
	v_div_scale_f32 v129, null, v130, v130, v131
	v_div_scale_f32 v139, vcc_lo, v131, v130, v131
	v_rcp_f32_e32 v132, v129
	v_nop
	s_delay_alu instid0(TRANS32_DEP_1) | instskip(NEXT) | instid1(VALU_DEP_1)
	v_fma_f32 v133, -v129, v132, 1.0
	v_fmac_f32_e32 v132, v133, v132
	s_delay_alu instid0(VALU_DEP_1) | instskip(NEXT) | instid1(VALU_DEP_1)
	v_mul_f32_e32 v133, v139, v132
	v_fma_f32 v140, -v129, v133, v139
	s_delay_alu instid0(VALU_DEP_1) | instskip(NEXT) | instid1(VALU_DEP_1)
	v_fmac_f32_e32 v133, v140, v132
	v_fma_f32 v129, -v129, v133, v139
	s_delay_alu instid0(VALU_DEP_1) | instskip(NEXT) | instid1(VALU_DEP_1)
	v_div_fmas_f32 v129, v129, v132, v133
	v_div_fixup_f32 v129, v129, v130, v131
	s_delay_alu instid0(VALU_DEP_1) | instskip(NEXT) | instid1(VALU_DEP_1)
	v_fmac_f32_e32 v130, v131, v129
	v_div_scale_f32 v131, null, v130, v130, 1.0
	s_delay_alu instid0(VALU_DEP_1) | instskip(SKIP_1) | instid1(TRANS32_DEP_1)
	v_rcp_f32_e32 v132, v131
	v_nop
	v_fma_f32 v133, -v131, v132, 1.0
	s_delay_alu instid0(VALU_DEP_1) | instskip(SKIP_1) | instid1(VALU_DEP_1)
	v_fmac_f32_e32 v132, v133, v132
	v_div_scale_f32 v133, vcc_lo, 1.0, v130, 1.0
	v_mul_f32_e32 v139, v133, v132
	s_delay_alu instid0(VALU_DEP_1) | instskip(NEXT) | instid1(VALU_DEP_1)
	v_fma_f32 v140, -v131, v139, v133
	v_fmac_f32_e32 v139, v140, v132
	s_delay_alu instid0(VALU_DEP_1) | instskip(NEXT) | instid1(VALU_DEP_1)
	v_fma_f32 v131, -v131, v139, v133
	v_div_fmas_f32 v131, v131, v132, v139
	s_delay_alu instid0(VALU_DEP_1) | instskip(NEXT) | instid1(VALU_DEP_1)
	v_div_fixup_f32 v130, v131, v130, 1.0
	v_mul_f32_e64 v131, v129, -v130
.LBB120_618:
	s_or_b32 exec_lo, exec_lo, s1
.LBB120_619:
	s_delay_alu instid0(SALU_CYCLE_1) | instskip(NEXT) | instid1(SALU_CYCLE_1)
	s_or_b32 exec_lo, exec_lo, s0
	s_mov_b32 s0, exec_lo
	v_cmpx_ne_u32_e64 v138, v128
	s_xor_b32 s0, exec_lo, s0
	s_cbranch_execz .LBB120_625
; %bb.620:
	s_mov_b32 s1, exec_lo
	v_cmpx_eq_u32_e32 29, v138
	s_cbranch_execz .LBB120_624
; %bb.621:
	v_cmp_ne_u32_e32 vcc_lo, 29, v128
	s_xor_b32 s12, s16, -1
	s_delay_alu instid0(SALU_CYCLE_1) | instskip(NEXT) | instid1(SALU_CYCLE_1)
	s_and_b32 s13, s12, vcc_lo
	s_and_saveexec_b32 s12, s13
	s_cbranch_execz .LBB120_623
; %bb.622:
	v_ashrrev_i32_e32 v129, 31, v128
	s_delay_alu instid0(VALU_DEP_1)
	v_lshl_add_u64 v[132:133], v[128:129], 2, v[4:5]
	s_clause 0x1
	global_load_b32 v129, v[132:133], off
	global_load_b32 v137, v[4:5], off offset:116
	s_wait_loadcnt 0x1
	global_store_b32 v[4:5], v129, off offset:116
	s_wait_loadcnt 0x0
	global_store_b32 v[132:133], v137, off
.LBB120_623:
	s_wait_xcnt 0x0
	s_or_b32 exec_lo, exec_lo, s12
	v_dual_mov_b32 v138, v128 :: v_dual_mov_b32 v137, v128
.LBB120_624:
	s_or_b32 exec_lo, exec_lo, s1
.LBB120_625:
	s_and_not1_saveexec_b32 s0, s0
	s_cbranch_execz .LBB120_627
; %bb.626:
	v_dual_mov_b32 v128, v66 :: v_dual_mov_b32 v129, v67
	v_dual_mov_b32 v132, v62 :: v_dual_mov_b32 v133, v63
	;; [unrolled: 1-line block ×8, first 2 shown]
	ds_store_2addr_b64 v135, v[128:129], v[132:133] offset0:30 offset1:31
	ds_store_2addr_b64 v135, v[138:139], v[140:141] offset0:32 offset1:33
	;; [unrolled: 1-line block ×4, first 2 shown]
	v_dual_mov_b32 v128, v50 :: v_dual_mov_b32 v129, v51
	v_dual_mov_b32 v132, v46 :: v_dual_mov_b32 v133, v47
	;; [unrolled: 1-line block ×12, first 2 shown]
	ds_store_2addr_b64 v135, v[128:129], v[132:133] offset0:38 offset1:39
	ds_store_2addr_b64 v135, v[138:139], v[140:141] offset0:40 offset1:41
	;; [unrolled: 1-line block ×6, first 2 shown]
	v_dual_mov_b32 v128, v24 :: v_dual_mov_b32 v129, v25
	v_dual_mov_b32 v132, v44 :: v_dual_mov_b32 v133, v45
	;; [unrolled: 1-line block ×6, first 2 shown]
	ds_store_2addr_b64 v135, v[128:129], v[132:133] offset0:50 offset1:51
	ds_store_2addr_b64 v135, v[138:139], v[140:141] offset0:52 offset1:53
	v_dual_mov_b32 v138, 29 :: v_dual_mov_b32 v146, v6
	v_dual_mov_b32 v147, v7 :: v_dual_mov_b32 v148, v20
	v_dual_mov_b32 v149, v21 :: v_dual_mov_b32 v150, v18
	v_dual_mov_b32 v151, v19 :: v_dual_mov_b32 v152, v8
	v_mov_b32_e32 v153, v9
	ds_store_2addr_b64 v135, v[142:143], v[144:145] offset0:54 offset1:55
	ds_store_2addr_b64 v135, v[146:147], v[148:149] offset0:56 offset1:57
	;; [unrolled: 1-line block ×3, first 2 shown]
	ds_store_b64 v135, v[126:127] offset:480
.LBB120_627:
	s_or_b32 exec_lo, exec_lo, s0
	s_delay_alu instid0(SALU_CYCLE_1)
	s_mov_b32 s0, exec_lo
	s_wait_storecnt_dscnt 0x0
	s_barrier_signal -1
	s_barrier_wait -1
	v_cmpx_lt_i32_e32 29, v138
	s_cbranch_execz .LBB120_629
; %bb.628:
	ds_load_2addr_b64 v[140:143], v135 offset0:30 offset1:31
	v_pk_mul_f32 v[132:133], v[130:131], v[64:65] op_sel:[1,1] op_sel_hi:[0,1]
	s_delay_alu instid0(VALU_DEP_1) | instskip(SKIP_1) | instid1(VALU_DEP_1)
	v_pk_fma_f32 v[128:129], v[130:131], v[64:65], v[132:133] op_sel_hi:[1,0,1] neg_lo:[0,0,1] neg_hi:[0,0,1]
	v_pk_fma_f32 v[130:131], v[130:131], v[64:65], v[132:133] op_sel_hi:[1,0,1]
	v_dual_mov_b32 v64, v128 :: v_dual_mov_b32 v65, v131
	s_wait_dscnt 0x0
	s_delay_alu instid0(VALU_DEP_2) | instskip(NEXT) | instid1(VALU_DEP_1)
	v_pk_mul_f32 v[132:133], v[140:141], v[130:131] op_sel:[0,1]
	v_pk_fma_f32 v[144:145], v[140:141], v[128:129], v[132:133] op_sel:[0,0,1] op_sel_hi:[1,1,0] neg_lo:[0,0,1] neg_hi:[0,0,1]
	v_pk_fma_f32 v[132:133], v[140:141], v[128:129], v[132:133] op_sel:[0,0,1] op_sel_hi:[1,0,0]
	s_delay_alu instid0(VALU_DEP_1) | instskip(SKIP_1) | instid1(VALU_DEP_1)
	v_mov_b32_e32 v145, v133
	v_pk_mul_f32 v[132:133], v[142:143], v[130:131] op_sel:[0,1]
	v_pk_fma_f32 v[140:141], v[142:143], v[128:129], v[132:133] op_sel:[0,0,1] op_sel_hi:[1,1,0] neg_lo:[0,0,1] neg_hi:[0,0,1]
	v_pk_fma_f32 v[132:133], v[142:143], v[128:129], v[132:133] op_sel:[0,0,1] op_sel_hi:[1,0,0]
	s_delay_alu instid0(VALU_DEP_1) | instskip(SKIP_1) | instid1(VALU_DEP_2)
	v_mov_b32_e32 v141, v133
	v_pk_add_f32 v[66:67], v[66:67], v[144:145] neg_lo:[0,1] neg_hi:[0,1]
	v_pk_add_f32 v[62:63], v[62:63], v[140:141] neg_lo:[0,1] neg_hi:[0,1]
	ds_load_2addr_b64 v[140:143], v135 offset0:32 offset1:33
	s_wait_dscnt 0x0
	v_pk_mul_f32 v[132:133], v[140:141], v[130:131] op_sel:[0,1]
	s_delay_alu instid0(VALU_DEP_1) | instskip(SKIP_2) | instid1(VALU_DEP_2)
	v_pk_fma_f32 v[144:145], v[140:141], v[128:129], v[132:133] op_sel:[0,0,1] op_sel_hi:[1,1,0] neg_lo:[0,0,1] neg_hi:[0,0,1]
	v_pk_fma_f32 v[132:133], v[140:141], v[128:129], v[132:133] op_sel:[0,0,1] op_sel_hi:[1,0,0]
	v_dual_mul_f32 v140, v143, v131 :: v_dual_mov_b32 v132, v143
	v_dual_mov_b32 v145, v133 :: v_dual_mov_b32 v133, v142
	s_delay_alu instid0(VALU_DEP_2) | instskip(SKIP_1) | instid1(VALU_DEP_3)
	v_pk_fma_f32 v[140:141], v[142:143], v[64:65], v[140:141] op_sel_hi:[1,1,0] neg_lo:[0,0,1] neg_hi:[0,0,1]
	v_mul_f32_e32 v142, v143, v128
	v_pk_add_f32 v[60:61], v[60:61], v[144:145] neg_lo:[0,1] neg_hi:[0,1]
	s_delay_alu instid0(VALU_DEP_2) | instskip(NEXT) | instid1(VALU_DEP_1)
	v_pk_fma_f32 v[132:133], v[132:133], v[64:65], v[142:143] op_sel_hi:[1,1,0]
	v_mov_b32_e32 v141, v133
	s_delay_alu instid0(VALU_DEP_1) | instskip(SKIP_3) | instid1(VALU_DEP_1)
	v_pk_add_f32 v[56:57], v[56:57], v[140:141] neg_lo:[0,1] neg_hi:[0,1]
	ds_load_2addr_b64 v[140:143], v135 offset0:34 offset1:35
	s_wait_dscnt 0x0
	v_pk_mul_f32 v[132:133], v[140:141], v[130:131] op_sel:[0,1]
	v_pk_fma_f32 v[144:145], v[140:141], v[128:129], v[132:133] op_sel:[0,0,1] op_sel_hi:[1,1,0] neg_lo:[0,0,1] neg_hi:[0,0,1]
	v_pk_fma_f32 v[132:133], v[140:141], v[128:129], v[132:133] op_sel:[0,0,1] op_sel_hi:[1,0,0]
	s_delay_alu instid0(VALU_DEP_1) | instskip(SKIP_1) | instid1(VALU_DEP_1)
	v_mov_b32_e32 v145, v133
	v_pk_mul_f32 v[132:133], v[142:143], v[130:131] op_sel:[0,1]
	v_pk_fma_f32 v[140:141], v[142:143], v[128:129], v[132:133] op_sel:[0,0,1] op_sel_hi:[1,1,0] neg_lo:[0,0,1] neg_hi:[0,0,1]
	v_pk_fma_f32 v[132:133], v[142:143], v[128:129], v[132:133] op_sel:[0,0,1] op_sel_hi:[1,0,0]
	s_delay_alu instid0(VALU_DEP_1) | instskip(SKIP_1) | instid1(VALU_DEP_2)
	v_mov_b32_e32 v141, v133
	v_pk_add_f32 v[58:59], v[58:59], v[144:145] neg_lo:[0,1] neg_hi:[0,1]
	v_pk_add_f32 v[54:55], v[54:55], v[140:141] neg_lo:[0,1] neg_hi:[0,1]
	ds_load_2addr_b64 v[140:143], v135 offset0:36 offset1:37
	s_wait_dscnt 0x0
	v_pk_mul_f32 v[132:133], v[140:141], v[130:131] op_sel:[0,1]
	s_delay_alu instid0(VALU_DEP_1) | instskip(SKIP_1) | instid1(VALU_DEP_1)
	v_pk_fma_f32 v[144:145], v[140:141], v[128:129], v[132:133] op_sel:[0,0,1] op_sel_hi:[1,1,0] neg_lo:[0,0,1] neg_hi:[0,0,1]
	v_pk_fma_f32 v[132:133], v[140:141], v[128:129], v[132:133] op_sel:[0,0,1] op_sel_hi:[1,0,0]
	v_mov_b32_e32 v145, v133
	v_pk_mul_f32 v[132:133], v[142:143], v[130:131] op_sel:[0,1]
	s_delay_alu instid0(VALU_DEP_1) | instskip(SKIP_1) | instid1(VALU_DEP_1)
	v_pk_fma_f32 v[140:141], v[142:143], v[128:129], v[132:133] op_sel:[0,0,1] op_sel_hi:[1,1,0] neg_lo:[0,0,1] neg_hi:[0,0,1]
	v_pk_fma_f32 v[132:133], v[142:143], v[128:129], v[132:133] op_sel:[0,0,1] op_sel_hi:[1,0,0]
	v_mov_b32_e32 v141, v133
	v_pk_add_f32 v[52:53], v[52:53], v[144:145] neg_lo:[0,1] neg_hi:[0,1]
	s_delay_alu instid0(VALU_DEP_2) | instskip(SKIP_3) | instid1(VALU_DEP_1)
	v_pk_add_f32 v[48:49], v[48:49], v[140:141] neg_lo:[0,1] neg_hi:[0,1]
	ds_load_2addr_b64 v[140:143], v135 offset0:38 offset1:39
	s_wait_dscnt 0x0
	v_dual_mul_f32 v132, v141, v131 :: v_dual_mul_f32 v144, v141, v128
	v_pk_fma_f32 v[132:133], v[140:141], v[64:65], v[132:133] op_sel_hi:[1,1,0] neg_lo:[0,0,1] neg_hi:[0,0,1]
	s_delay_alu instid0(VALU_DEP_2) | instskip(NEXT) | instid1(VALU_DEP_1)
	v_pk_fma_f32 v[140:141], v[140:141], v[64:65], v[144:145] op_sel:[1,0,0] op_sel_hi:[0,1,0]
	v_mov_b32_e32 v133, v141
	s_delay_alu instid0(VALU_DEP_1) | instskip(SKIP_1) | instid1(VALU_DEP_1)
	v_pk_add_f32 v[50:51], v[50:51], v[132:133] neg_lo:[0,1] neg_hi:[0,1]
	v_pk_mul_f32 v[132:133], v[142:143], v[130:131] op_sel:[0,1]
	v_pk_fma_f32 v[140:141], v[142:143], v[128:129], v[132:133] op_sel:[0,0,1] op_sel_hi:[1,1,0] neg_lo:[0,0,1] neg_hi:[0,0,1]
	v_pk_fma_f32 v[132:133], v[142:143], v[128:129], v[132:133] op_sel:[0,0,1] op_sel_hi:[1,0,0]
	s_delay_alu instid0(VALU_DEP_1) | instskip(NEXT) | instid1(VALU_DEP_1)
	v_mov_b32_e32 v141, v133
	v_pk_add_f32 v[46:47], v[46:47], v[140:141] neg_lo:[0,1] neg_hi:[0,1]
	ds_load_2addr_b64 v[140:143], v135 offset0:40 offset1:41
	s_wait_dscnt 0x0
	v_pk_mul_f32 v[132:133], v[140:141], v[130:131] op_sel:[0,1]
	s_delay_alu instid0(VALU_DEP_1) | instskip(SKIP_1) | instid1(VALU_DEP_1)
	v_pk_fma_f32 v[144:145], v[140:141], v[128:129], v[132:133] op_sel:[0,0,1] op_sel_hi:[1,1,0] neg_lo:[0,0,1] neg_hi:[0,0,1]
	v_pk_fma_f32 v[132:133], v[140:141], v[128:129], v[132:133] op_sel:[0,0,1] op_sel_hi:[1,0,0]
	v_mov_b32_e32 v145, v133
	v_pk_mul_f32 v[132:133], v[142:143], v[130:131] op_sel:[0,1]
	s_delay_alu instid0(VALU_DEP_2) | instskip(NEXT) | instid1(VALU_DEP_2)
	v_pk_add_f32 v[42:43], v[42:43], v[144:145] neg_lo:[0,1] neg_hi:[0,1]
	v_pk_fma_f32 v[140:141], v[142:143], v[128:129], v[132:133] op_sel:[0,0,1] op_sel_hi:[1,1,0] neg_lo:[0,0,1] neg_hi:[0,0,1]
	v_pk_fma_f32 v[132:133], v[142:143], v[128:129], v[132:133] op_sel:[0,0,1] op_sel_hi:[1,0,0]
	s_delay_alu instid0(VALU_DEP_1) | instskip(NEXT) | instid1(VALU_DEP_1)
	v_mov_b32_e32 v141, v133
	v_pk_add_f32 v[38:39], v[38:39], v[140:141] neg_lo:[0,1] neg_hi:[0,1]
	ds_load_2addr_b64 v[140:143], v135 offset0:42 offset1:43
	s_wait_dscnt 0x0
	v_pk_mul_f32 v[132:133], v[140:141], v[130:131] op_sel:[0,1]
	s_delay_alu instid0(VALU_DEP_1) | instskip(SKIP_2) | instid1(VALU_DEP_2)
	v_pk_fma_f32 v[144:145], v[140:141], v[128:129], v[132:133] op_sel:[0,0,1] op_sel_hi:[1,1,0] neg_lo:[0,0,1] neg_hi:[0,0,1]
	v_pk_fma_f32 v[132:133], v[140:141], v[128:129], v[132:133] op_sel:[0,0,1] op_sel_hi:[1,0,0]
	v_dual_mul_f32 v140, v143, v131 :: v_dual_mov_b32 v132, v143
	v_dual_mov_b32 v145, v133 :: v_dual_mov_b32 v133, v142
	s_delay_alu instid0(VALU_DEP_2) | instskip(SKIP_1) | instid1(VALU_DEP_3)
	v_pk_fma_f32 v[140:141], v[142:143], v[64:65], v[140:141] op_sel_hi:[1,1,0] neg_lo:[0,0,1] neg_hi:[0,0,1]
	v_mul_f32_e32 v142, v143, v128
	v_pk_add_f32 v[40:41], v[40:41], v[144:145] neg_lo:[0,1] neg_hi:[0,1]
	s_delay_alu instid0(VALU_DEP_2) | instskip(NEXT) | instid1(VALU_DEP_1)
	v_pk_fma_f32 v[132:133], v[132:133], v[64:65], v[142:143] op_sel_hi:[1,1,0]
	v_mov_b32_e32 v141, v133
	s_delay_alu instid0(VALU_DEP_1) | instskip(SKIP_3) | instid1(VALU_DEP_1)
	v_pk_add_f32 v[36:37], v[36:37], v[140:141] neg_lo:[0,1] neg_hi:[0,1]
	ds_load_2addr_b64 v[140:143], v135 offset0:44 offset1:45
	s_wait_dscnt 0x0
	v_pk_mul_f32 v[132:133], v[140:141], v[130:131] op_sel:[0,1]
	v_pk_fma_f32 v[144:145], v[140:141], v[128:129], v[132:133] op_sel:[0,0,1] op_sel_hi:[1,1,0] neg_lo:[0,0,1] neg_hi:[0,0,1]
	v_pk_fma_f32 v[132:133], v[140:141], v[128:129], v[132:133] op_sel:[0,0,1] op_sel_hi:[1,0,0]
	s_delay_alu instid0(VALU_DEP_1) | instskip(SKIP_1) | instid1(VALU_DEP_1)
	v_mov_b32_e32 v145, v133
	v_pk_mul_f32 v[132:133], v[142:143], v[130:131] op_sel:[0,1]
	v_pk_fma_f32 v[140:141], v[142:143], v[128:129], v[132:133] op_sel:[0,0,1] op_sel_hi:[1,1,0] neg_lo:[0,0,1] neg_hi:[0,0,1]
	v_pk_fma_f32 v[132:133], v[142:143], v[128:129], v[132:133] op_sel:[0,0,1] op_sel_hi:[1,0,0]
	s_delay_alu instid0(VALU_DEP_1) | instskip(SKIP_1) | instid1(VALU_DEP_2)
	v_mov_b32_e32 v141, v133
	v_pk_add_f32 v[34:35], v[34:35], v[144:145] neg_lo:[0,1] neg_hi:[0,1]
	v_pk_add_f32 v[30:31], v[30:31], v[140:141] neg_lo:[0,1] neg_hi:[0,1]
	ds_load_2addr_b64 v[140:143], v135 offset0:46 offset1:47
	s_wait_dscnt 0x0
	v_pk_mul_f32 v[132:133], v[140:141], v[130:131] op_sel:[0,1]
	s_delay_alu instid0(VALU_DEP_1) | instskip(SKIP_1) | instid1(VALU_DEP_1)
	v_pk_fma_f32 v[144:145], v[140:141], v[128:129], v[132:133] op_sel:[0,0,1] op_sel_hi:[1,1,0] neg_lo:[0,0,1] neg_hi:[0,0,1]
	v_pk_fma_f32 v[132:133], v[140:141], v[128:129], v[132:133] op_sel:[0,0,1] op_sel_hi:[1,0,0]
	v_mov_b32_e32 v145, v133
	v_pk_mul_f32 v[132:133], v[142:143], v[130:131] op_sel:[0,1]
	s_delay_alu instid0(VALU_DEP_1) | instskip(SKIP_1) | instid1(VALU_DEP_1)
	v_pk_fma_f32 v[140:141], v[142:143], v[128:129], v[132:133] op_sel:[0,0,1] op_sel_hi:[1,1,0] neg_lo:[0,0,1] neg_hi:[0,0,1]
	v_pk_fma_f32 v[132:133], v[142:143], v[128:129], v[132:133] op_sel:[0,0,1] op_sel_hi:[1,0,0]
	v_mov_b32_e32 v141, v133
	v_pk_add_f32 v[32:33], v[32:33], v[144:145] neg_lo:[0,1] neg_hi:[0,1]
	s_delay_alu instid0(VALU_DEP_2) | instskip(SKIP_3) | instid1(VALU_DEP_1)
	v_pk_add_f32 v[28:29], v[28:29], v[140:141] neg_lo:[0,1] neg_hi:[0,1]
	ds_load_2addr_b64 v[140:143], v135 offset0:48 offset1:49
	s_wait_dscnt 0x0
	v_dual_mul_f32 v132, v141, v131 :: v_dual_mul_f32 v144, v141, v128
	v_pk_fma_f32 v[132:133], v[140:141], v[64:65], v[132:133] op_sel_hi:[1,1,0] neg_lo:[0,0,1] neg_hi:[0,0,1]
	s_delay_alu instid0(VALU_DEP_2) | instskip(NEXT) | instid1(VALU_DEP_1)
	v_pk_fma_f32 v[140:141], v[140:141], v[64:65], v[144:145] op_sel:[1,0,0] op_sel_hi:[0,1,0]
	v_mov_b32_e32 v133, v141
	s_delay_alu instid0(VALU_DEP_1) | instskip(SKIP_1) | instid1(VALU_DEP_1)
	v_pk_add_f32 v[26:27], v[26:27], v[132:133] neg_lo:[0,1] neg_hi:[0,1]
	v_pk_mul_f32 v[132:133], v[142:143], v[130:131] op_sel:[0,1]
	v_pk_fma_f32 v[140:141], v[142:143], v[128:129], v[132:133] op_sel:[0,0,1] op_sel_hi:[1,1,0] neg_lo:[0,0,1] neg_hi:[0,0,1]
	v_pk_fma_f32 v[132:133], v[142:143], v[128:129], v[132:133] op_sel:[0,0,1] op_sel_hi:[1,0,0]
	s_delay_alu instid0(VALU_DEP_1) | instskip(NEXT) | instid1(VALU_DEP_1)
	v_mov_b32_e32 v141, v133
	v_pk_add_f32 v[22:23], v[22:23], v[140:141] neg_lo:[0,1] neg_hi:[0,1]
	ds_load_2addr_b64 v[140:143], v135 offset0:50 offset1:51
	s_wait_dscnt 0x0
	v_pk_mul_f32 v[132:133], v[140:141], v[130:131] op_sel:[0,1]
	s_delay_alu instid0(VALU_DEP_1) | instskip(SKIP_1) | instid1(VALU_DEP_1)
	v_pk_fma_f32 v[144:145], v[140:141], v[128:129], v[132:133] op_sel:[0,0,1] op_sel_hi:[1,1,0] neg_lo:[0,0,1] neg_hi:[0,0,1]
	v_pk_fma_f32 v[132:133], v[140:141], v[128:129], v[132:133] op_sel:[0,0,1] op_sel_hi:[1,0,0]
	v_mov_b32_e32 v145, v133
	v_pk_mul_f32 v[132:133], v[142:143], v[130:131] op_sel:[0,1]
	s_delay_alu instid0(VALU_DEP_2) | instskip(NEXT) | instid1(VALU_DEP_2)
	v_pk_add_f32 v[24:25], v[24:25], v[144:145] neg_lo:[0,1] neg_hi:[0,1]
	v_pk_fma_f32 v[140:141], v[142:143], v[128:129], v[132:133] op_sel:[0,0,1] op_sel_hi:[1,1,0] neg_lo:[0,0,1] neg_hi:[0,0,1]
	v_pk_fma_f32 v[132:133], v[142:143], v[128:129], v[132:133] op_sel:[0,0,1] op_sel_hi:[1,0,0]
	s_delay_alu instid0(VALU_DEP_1) | instskip(NEXT) | instid1(VALU_DEP_1)
	v_mov_b32_e32 v141, v133
	v_pk_add_f32 v[44:45], v[44:45], v[140:141] neg_lo:[0,1] neg_hi:[0,1]
	ds_load_2addr_b64 v[140:143], v135 offset0:52 offset1:53
	s_wait_dscnt 0x0
	v_pk_mul_f32 v[132:133], v[140:141], v[130:131] op_sel:[0,1]
	s_delay_alu instid0(VALU_DEP_1) | instskip(SKIP_2) | instid1(VALU_DEP_2)
	v_pk_fma_f32 v[144:145], v[140:141], v[128:129], v[132:133] op_sel:[0,0,1] op_sel_hi:[1,1,0] neg_lo:[0,0,1] neg_hi:[0,0,1]
	v_pk_fma_f32 v[132:133], v[140:141], v[128:129], v[132:133] op_sel:[0,0,1] op_sel_hi:[1,0,0]
	v_dual_mul_f32 v140, v143, v131 :: v_dual_mov_b32 v132, v143
	v_dual_mov_b32 v145, v133 :: v_dual_mov_b32 v133, v142
	s_delay_alu instid0(VALU_DEP_2) | instskip(SKIP_1) | instid1(VALU_DEP_3)
	v_pk_fma_f32 v[140:141], v[142:143], v[64:65], v[140:141] op_sel_hi:[1,1,0] neg_lo:[0,0,1] neg_hi:[0,0,1]
	v_mul_f32_e32 v142, v143, v128
	v_pk_add_f32 v[16:17], v[16:17], v[144:145] neg_lo:[0,1] neg_hi:[0,1]
	s_delay_alu instid0(VALU_DEP_2) | instskip(NEXT) | instid1(VALU_DEP_1)
	v_pk_fma_f32 v[132:133], v[132:133], v[64:65], v[142:143] op_sel_hi:[1,1,0]
	v_mov_b32_e32 v141, v133
	s_delay_alu instid0(VALU_DEP_1) | instskip(SKIP_3) | instid1(VALU_DEP_1)
	v_pk_add_f32 v[12:13], v[12:13], v[140:141] neg_lo:[0,1] neg_hi:[0,1]
	ds_load_2addr_b64 v[140:143], v135 offset0:54 offset1:55
	s_wait_dscnt 0x0
	v_pk_mul_f32 v[132:133], v[140:141], v[130:131] op_sel:[0,1]
	v_pk_fma_f32 v[144:145], v[140:141], v[128:129], v[132:133] op_sel:[0,0,1] op_sel_hi:[1,1,0] neg_lo:[0,0,1] neg_hi:[0,0,1]
	v_pk_fma_f32 v[132:133], v[140:141], v[128:129], v[132:133] op_sel:[0,0,1] op_sel_hi:[1,0,0]
	s_delay_alu instid0(VALU_DEP_1) | instskip(SKIP_1) | instid1(VALU_DEP_1)
	v_mov_b32_e32 v145, v133
	v_pk_mul_f32 v[132:133], v[142:143], v[130:131] op_sel:[0,1]
	v_pk_fma_f32 v[140:141], v[142:143], v[128:129], v[132:133] op_sel:[0,0,1] op_sel_hi:[1,1,0] neg_lo:[0,0,1] neg_hi:[0,0,1]
	v_pk_fma_f32 v[132:133], v[142:143], v[128:129], v[132:133] op_sel:[0,0,1] op_sel_hi:[1,0,0]
	s_delay_alu instid0(VALU_DEP_1) | instskip(SKIP_1) | instid1(VALU_DEP_2)
	v_mov_b32_e32 v141, v133
	v_pk_add_f32 v[14:15], v[14:15], v[144:145] neg_lo:[0,1] neg_hi:[0,1]
	v_pk_add_f32 v[10:11], v[10:11], v[140:141] neg_lo:[0,1] neg_hi:[0,1]
	ds_load_2addr_b64 v[140:143], v135 offset0:56 offset1:57
	s_wait_dscnt 0x0
	v_pk_mul_f32 v[132:133], v[140:141], v[130:131] op_sel:[0,1]
	s_delay_alu instid0(VALU_DEP_1) | instskip(SKIP_1) | instid1(VALU_DEP_1)
	v_pk_fma_f32 v[144:145], v[140:141], v[128:129], v[132:133] op_sel:[0,0,1] op_sel_hi:[1,1,0] neg_lo:[0,0,1] neg_hi:[0,0,1]
	v_pk_fma_f32 v[132:133], v[140:141], v[128:129], v[132:133] op_sel:[0,0,1] op_sel_hi:[1,0,0]
	v_mov_b32_e32 v145, v133
	v_pk_mul_f32 v[132:133], v[142:143], v[130:131] op_sel:[0,1]
	s_delay_alu instid0(VALU_DEP_1) | instskip(SKIP_1) | instid1(VALU_DEP_1)
	v_pk_fma_f32 v[140:141], v[142:143], v[128:129], v[132:133] op_sel:[0,0,1] op_sel_hi:[1,1,0] neg_lo:[0,0,1] neg_hi:[0,0,1]
	v_pk_fma_f32 v[132:133], v[142:143], v[128:129], v[132:133] op_sel:[0,0,1] op_sel_hi:[1,0,0]
	v_mov_b32_e32 v141, v133
	v_pk_add_f32 v[6:7], v[6:7], v[144:145] neg_lo:[0,1] neg_hi:[0,1]
	s_delay_alu instid0(VALU_DEP_2) | instskip(SKIP_3) | instid1(VALU_DEP_1)
	v_pk_add_f32 v[20:21], v[20:21], v[140:141] neg_lo:[0,1] neg_hi:[0,1]
	ds_load_2addr_b64 v[140:143], v135 offset0:58 offset1:59
	s_wait_dscnt 0x0
	v_dual_mul_f32 v132, v141, v131 :: v_dual_mul_f32 v144, v141, v128
	v_pk_fma_f32 v[132:133], v[140:141], v[64:65], v[132:133] op_sel_hi:[1,1,0] neg_lo:[0,0,1] neg_hi:[0,0,1]
	s_delay_alu instid0(VALU_DEP_2) | instskip(NEXT) | instid1(VALU_DEP_1)
	v_pk_fma_f32 v[140:141], v[140:141], v[64:65], v[144:145] op_sel:[1,0,0] op_sel_hi:[0,1,0]
	v_mov_b32_e32 v133, v141
	s_delay_alu instid0(VALU_DEP_1) | instskip(SKIP_1) | instid1(VALU_DEP_1)
	v_pk_add_f32 v[18:19], v[18:19], v[132:133] neg_lo:[0,1] neg_hi:[0,1]
	v_pk_mul_f32 v[132:133], v[142:143], v[130:131] op_sel:[0,1]
	v_pk_fma_f32 v[140:141], v[142:143], v[128:129], v[132:133] op_sel:[0,0,1] op_sel_hi:[1,1,0] neg_lo:[0,0,1] neg_hi:[0,0,1]
	v_pk_fma_f32 v[132:133], v[142:143], v[128:129], v[132:133] op_sel:[0,0,1] op_sel_hi:[1,0,0]
	s_delay_alu instid0(VALU_DEP_1) | instskip(SKIP_4) | instid1(VALU_DEP_1)
	v_mov_b32_e32 v141, v133
	ds_load_b64 v[132:133], v135 offset:480
	v_pk_add_f32 v[8:9], v[8:9], v[140:141] neg_lo:[0,1] neg_hi:[0,1]
	s_wait_dscnt 0x0
	v_pk_mul_f32 v[130:131], v[132:133], v[130:131] op_sel:[0,1]
	v_pk_fma_f32 v[140:141], v[132:133], v[128:129], v[130:131] op_sel:[0,0,1] op_sel_hi:[1,1,0] neg_lo:[0,0,1] neg_hi:[0,0,1]
	v_pk_fma_f32 v[128:129], v[132:133], v[128:129], v[130:131] op_sel:[0,0,1] op_sel_hi:[1,0,0]
	s_delay_alu instid0(VALU_DEP_1) | instskip(NEXT) | instid1(VALU_DEP_1)
	v_mov_b32_e32 v141, v129
	v_pk_add_f32 v[126:127], v[126:127], v[140:141] neg_lo:[0,1] neg_hi:[0,1]
.LBB120_629:
	s_or_b32 exec_lo, exec_lo, s0
	v_lshl_add_u32 v128, v138, 3, v135
	s_barrier_signal -1
	s_barrier_wait -1
	ds_store_b64 v128, v[66:67]
	s_wait_dscnt 0x0
	s_barrier_signal -1
	s_barrier_wait -1
	ds_load_b64 v[130:131], v135 offset:240
	v_mov_b32_e32 v128, 30
	s_cmp_lt_i32 s18, 32
	s_cbranch_scc1 .LBB120_632
; %bb.630:
	v_add3_u32 v129, v136, 0, 0xf8
	v_mov_b32_e32 v128, 30
	s_mov_b32 s0, 31
.LBB120_631:                            ; =>This Inner Loop Header: Depth=1
	ds_load_b64 v[132:133], v129
	s_wait_dscnt 0x1
	v_cmp_gt_f32_e32 vcc_lo, 0, v130
	v_cndmask_b32_e64 v140, v130, -v130, vcc_lo
	v_cmp_gt_f32_e32 vcc_lo, 0, v131
	v_cndmask_b32_e64 v142, v131, -v131, vcc_lo
	s_wait_dscnt 0x0
	v_cmp_gt_f32_e32 vcc_lo, 0, v132
	v_cndmask_b32_e64 v141, v132, -v132, vcc_lo
	v_cmp_gt_f32_e32 vcc_lo, 0, v133
	v_cndmask_b32_e64 v143, v133, -v133, vcc_lo
	s_delay_alu instid0(VALU_DEP_1) | instskip(NEXT) | instid1(VALU_DEP_1)
	v_pk_add_f32 v[140:141], v[140:141], v[142:143]
	v_cmp_lt_f32_e32 vcc_lo, v140, v141
	v_dual_cndmask_b32 v130, v130, v132 :: v_dual_add_nc_u32 v129, 8, v129
	v_cndmask_b32_e32 v131, v131, v133, vcc_lo
	v_cndmask_b32_e64 v128, v128, s0, vcc_lo
	s_add_co_i32 s0, s0, 1
	s_delay_alu instid0(SALU_CYCLE_1)
	s_cmp_lg_u32 s18, s0
	s_cbranch_scc1 .LBB120_631
.LBB120_632:
	s_wait_dscnt 0x0
	v_cmp_eq_f32_e32 vcc_lo, 0, v130
	v_cmp_eq_f32_e64 s0, 0, v131
	s_and_b32 s0, vcc_lo, s0
	s_delay_alu instid0(SALU_CYCLE_1) | instskip(NEXT) | instid1(SALU_CYCLE_1)
	s_and_saveexec_b32 s1, s0
	s_xor_b32 s0, exec_lo, s1
; %bb.633:
	v_cmp_ne_u32_e32 vcc_lo, 0, v134
	v_cndmask_b32_e32 v134, 31, v134, vcc_lo
; %bb.634:
	s_and_not1_saveexec_b32 s0, s0
	s_cbranch_execz .LBB120_640
; %bb.635:
	v_cmp_ngt_f32_e64 s1, |v130|, |v131|
	s_and_saveexec_b32 s12, s1
	s_delay_alu instid0(SALU_CYCLE_1)
	s_xor_b32 s1, exec_lo, s12
	s_cbranch_execz .LBB120_637
; %bb.636:
	v_div_scale_f32 v129, null, v131, v131, v130
	v_div_scale_f32 v139, vcc_lo, v130, v131, v130
	s_delay_alu instid0(VALU_DEP_2) | instskip(SKIP_1) | instid1(TRANS32_DEP_1)
	v_rcp_f32_e32 v132, v129
	v_nop
	v_fma_f32 v133, -v129, v132, 1.0
	s_delay_alu instid0(VALU_DEP_1) | instskip(NEXT) | instid1(VALU_DEP_1)
	v_fmac_f32_e32 v132, v133, v132
	v_mul_f32_e32 v133, v139, v132
	s_delay_alu instid0(VALU_DEP_1) | instskip(NEXT) | instid1(VALU_DEP_1)
	v_fma_f32 v140, -v129, v133, v139
	v_fmac_f32_e32 v133, v140, v132
	s_delay_alu instid0(VALU_DEP_1) | instskip(NEXT) | instid1(VALU_DEP_1)
	v_fma_f32 v129, -v129, v133, v139
	v_div_fmas_f32 v129, v129, v132, v133
	s_delay_alu instid0(VALU_DEP_1) | instskip(NEXT) | instid1(VALU_DEP_1)
	v_div_fixup_f32 v129, v129, v131, v130
	v_fmac_f32_e32 v131, v130, v129
	s_delay_alu instid0(VALU_DEP_1) | instskip(SKIP_1) | instid1(VALU_DEP_2)
	v_div_scale_f32 v130, null, v131, v131, 1.0
	v_div_scale_f32 v139, vcc_lo, 1.0, v131, 1.0
	v_rcp_f32_e32 v132, v130
	v_nop
	s_delay_alu instid0(TRANS32_DEP_1) | instskip(NEXT) | instid1(VALU_DEP_1)
	v_fma_f32 v133, -v130, v132, 1.0
	v_fmac_f32_e32 v132, v133, v132
	s_delay_alu instid0(VALU_DEP_1) | instskip(NEXT) | instid1(VALU_DEP_1)
	v_mul_f32_e32 v133, v139, v132
	v_fma_f32 v140, -v130, v133, v139
	s_delay_alu instid0(VALU_DEP_1) | instskip(NEXT) | instid1(VALU_DEP_1)
	v_fmac_f32_e32 v133, v140, v132
	v_fma_f32 v130, -v130, v133, v139
	s_delay_alu instid0(VALU_DEP_1) | instskip(NEXT) | instid1(VALU_DEP_1)
	v_div_fmas_f32 v130, v130, v132, v133
	v_div_fixup_f32 v131, v130, v131, 1.0
	s_delay_alu instid0(VALU_DEP_1)
	v_mul_f32_e32 v130, v129, v131
	v_xor_b32_e32 v131, 0x80000000, v131
.LBB120_637:
	s_and_not1_saveexec_b32 s1, s1
	s_cbranch_execz .LBB120_639
; %bb.638:
	s_delay_alu instid0(VALU_DEP_1) | instskip(SKIP_1) | instid1(VALU_DEP_2)
	v_div_scale_f32 v129, null, v130, v130, v131
	v_div_scale_f32 v139, vcc_lo, v131, v130, v131
	v_rcp_f32_e32 v132, v129
	v_nop
	s_delay_alu instid0(TRANS32_DEP_1) | instskip(NEXT) | instid1(VALU_DEP_1)
	v_fma_f32 v133, -v129, v132, 1.0
	v_fmac_f32_e32 v132, v133, v132
	s_delay_alu instid0(VALU_DEP_1) | instskip(NEXT) | instid1(VALU_DEP_1)
	v_mul_f32_e32 v133, v139, v132
	v_fma_f32 v140, -v129, v133, v139
	s_delay_alu instid0(VALU_DEP_1) | instskip(NEXT) | instid1(VALU_DEP_1)
	v_fmac_f32_e32 v133, v140, v132
	v_fma_f32 v129, -v129, v133, v139
	s_delay_alu instid0(VALU_DEP_1) | instskip(NEXT) | instid1(VALU_DEP_1)
	v_div_fmas_f32 v129, v129, v132, v133
	v_div_fixup_f32 v129, v129, v130, v131
	s_delay_alu instid0(VALU_DEP_1) | instskip(NEXT) | instid1(VALU_DEP_1)
	v_fmac_f32_e32 v130, v131, v129
	v_div_scale_f32 v131, null, v130, v130, 1.0
	s_delay_alu instid0(VALU_DEP_1) | instskip(SKIP_1) | instid1(TRANS32_DEP_1)
	v_rcp_f32_e32 v132, v131
	v_nop
	v_fma_f32 v133, -v131, v132, 1.0
	s_delay_alu instid0(VALU_DEP_1) | instskip(SKIP_1) | instid1(VALU_DEP_1)
	v_fmac_f32_e32 v132, v133, v132
	v_div_scale_f32 v133, vcc_lo, 1.0, v130, 1.0
	v_mul_f32_e32 v139, v133, v132
	s_delay_alu instid0(VALU_DEP_1) | instskip(NEXT) | instid1(VALU_DEP_1)
	v_fma_f32 v140, -v131, v139, v133
	v_fmac_f32_e32 v139, v140, v132
	s_delay_alu instid0(VALU_DEP_1) | instskip(NEXT) | instid1(VALU_DEP_1)
	v_fma_f32 v131, -v131, v139, v133
	v_div_fmas_f32 v131, v131, v132, v139
	s_delay_alu instid0(VALU_DEP_1) | instskip(NEXT) | instid1(VALU_DEP_1)
	v_div_fixup_f32 v130, v131, v130, 1.0
	v_mul_f32_e64 v131, v129, -v130
.LBB120_639:
	s_or_b32 exec_lo, exec_lo, s1
.LBB120_640:
	s_delay_alu instid0(SALU_CYCLE_1) | instskip(NEXT) | instid1(SALU_CYCLE_1)
	s_or_b32 exec_lo, exec_lo, s0
	s_mov_b32 s0, exec_lo
	v_cmpx_ne_u32_e64 v138, v128
	s_xor_b32 s0, exec_lo, s0
	s_cbranch_execz .LBB120_646
; %bb.641:
	s_mov_b32 s1, exec_lo
	v_cmpx_eq_u32_e32 30, v138
	s_cbranch_execz .LBB120_645
; %bb.642:
	v_cmp_ne_u32_e32 vcc_lo, 30, v128
	s_xor_b32 s12, s16, -1
	s_delay_alu instid0(SALU_CYCLE_1) | instskip(NEXT) | instid1(SALU_CYCLE_1)
	s_and_b32 s13, s12, vcc_lo
	s_and_saveexec_b32 s12, s13
	s_cbranch_execz .LBB120_644
; %bb.643:
	v_ashrrev_i32_e32 v129, 31, v128
	s_delay_alu instid0(VALU_DEP_1)
	v_lshl_add_u64 v[132:133], v[128:129], 2, v[4:5]
	s_clause 0x1
	global_load_b32 v129, v[132:133], off
	global_load_b32 v137, v[4:5], off offset:120
	s_wait_loadcnt 0x1
	global_store_b32 v[4:5], v129, off offset:120
	s_wait_loadcnt 0x0
	global_store_b32 v[132:133], v137, off
.LBB120_644:
	s_wait_xcnt 0x0
	s_or_b32 exec_lo, exec_lo, s12
	v_dual_mov_b32 v138, v128 :: v_dual_mov_b32 v137, v128
.LBB120_645:
	s_or_b32 exec_lo, exec_lo, s1
.LBB120_646:
	s_and_not1_saveexec_b32 s0, s0
	s_cbranch_execz .LBB120_648
; %bb.647:
	v_mov_b32_e32 v138, 30
	ds_store_2addr_b64 v135, v[62:63], v[60:61] offset0:31 offset1:32
	ds_store_2addr_b64 v135, v[56:57], v[58:59] offset0:33 offset1:34
	;; [unrolled: 1-line block ×15, first 2 shown]
.LBB120_648:
	s_or_b32 exec_lo, exec_lo, s0
	s_delay_alu instid0(SALU_CYCLE_1)
	s_mov_b32 s0, exec_lo
	s_wait_storecnt_dscnt 0x0
	s_barrier_signal -1
	s_barrier_wait -1
	v_cmpx_lt_i32_e32 30, v138
	s_cbranch_execz .LBB120_650
; %bb.649:
	ds_load_2addr_b64 v[140:143], v135 offset0:31 offset1:32
	v_pk_mul_f32 v[132:133], v[130:131], v[66:67] op_sel:[1,1] op_sel_hi:[0,1]
	s_delay_alu instid0(VALU_DEP_1) | instskip(SKIP_1) | instid1(VALU_DEP_1)
	v_pk_fma_f32 v[128:129], v[130:131], v[66:67], v[132:133] op_sel_hi:[1,0,1] neg_lo:[0,0,1] neg_hi:[0,0,1]
	v_pk_fma_f32 v[130:131], v[130:131], v[66:67], v[132:133] op_sel_hi:[1,0,1]
	v_dual_mov_b32 v66, v128 :: v_dual_mov_b32 v67, v131
	s_wait_dscnt 0x0
	s_delay_alu instid0(VALU_DEP_2) | instskip(NEXT) | instid1(VALU_DEP_1)
	v_pk_mul_f32 v[132:133], v[140:141], v[130:131] op_sel:[0,1]
	v_pk_fma_f32 v[144:145], v[140:141], v[128:129], v[132:133] op_sel:[0,0,1] op_sel_hi:[1,1,0] neg_lo:[0,0,1] neg_hi:[0,0,1]
	v_pk_fma_f32 v[132:133], v[140:141], v[128:129], v[132:133] op_sel:[0,0,1] op_sel_hi:[1,0,0]
	s_delay_alu instid0(VALU_DEP_1) | instskip(SKIP_1) | instid1(VALU_DEP_1)
	v_mov_b32_e32 v145, v133
	v_pk_mul_f32 v[132:133], v[142:143], v[130:131] op_sel:[0,1]
	v_pk_fma_f32 v[140:141], v[142:143], v[128:129], v[132:133] op_sel:[0,0,1] op_sel_hi:[1,1,0] neg_lo:[0,0,1] neg_hi:[0,0,1]
	v_pk_fma_f32 v[132:133], v[142:143], v[128:129], v[132:133] op_sel:[0,0,1] op_sel_hi:[1,0,0]
	s_delay_alu instid0(VALU_DEP_1) | instskip(SKIP_1) | instid1(VALU_DEP_2)
	v_mov_b32_e32 v141, v133
	v_pk_add_f32 v[62:63], v[62:63], v[144:145] neg_lo:[0,1] neg_hi:[0,1]
	v_pk_add_f32 v[60:61], v[60:61], v[140:141] neg_lo:[0,1] neg_hi:[0,1]
	ds_load_2addr_b64 v[140:143], v135 offset0:33 offset1:34
	s_wait_dscnt 0x0
	v_pk_mul_f32 v[132:133], v[140:141], v[130:131] op_sel:[0,1]
	s_delay_alu instid0(VALU_DEP_1) | instskip(SKIP_2) | instid1(VALU_DEP_2)
	v_pk_fma_f32 v[144:145], v[140:141], v[128:129], v[132:133] op_sel:[0,0,1] op_sel_hi:[1,1,0] neg_lo:[0,0,1] neg_hi:[0,0,1]
	v_pk_fma_f32 v[132:133], v[140:141], v[128:129], v[132:133] op_sel:[0,0,1] op_sel_hi:[1,0,0]
	v_dual_mul_f32 v140, v143, v131 :: v_dual_mov_b32 v132, v143
	v_dual_mov_b32 v145, v133 :: v_dual_mov_b32 v133, v142
	s_delay_alu instid0(VALU_DEP_2) | instskip(SKIP_1) | instid1(VALU_DEP_3)
	v_pk_fma_f32 v[140:141], v[142:143], v[66:67], v[140:141] op_sel_hi:[1,1,0] neg_lo:[0,0,1] neg_hi:[0,0,1]
	v_mul_f32_e32 v142, v143, v128
	v_pk_add_f32 v[56:57], v[56:57], v[144:145] neg_lo:[0,1] neg_hi:[0,1]
	s_delay_alu instid0(VALU_DEP_2) | instskip(NEXT) | instid1(VALU_DEP_1)
	v_pk_fma_f32 v[132:133], v[132:133], v[66:67], v[142:143] op_sel_hi:[1,1,0]
	v_mov_b32_e32 v141, v133
	s_delay_alu instid0(VALU_DEP_1) | instskip(SKIP_3) | instid1(VALU_DEP_1)
	v_pk_add_f32 v[58:59], v[58:59], v[140:141] neg_lo:[0,1] neg_hi:[0,1]
	ds_load_2addr_b64 v[140:143], v135 offset0:35 offset1:36
	s_wait_dscnt 0x0
	v_pk_mul_f32 v[132:133], v[140:141], v[130:131] op_sel:[0,1]
	v_pk_fma_f32 v[144:145], v[140:141], v[128:129], v[132:133] op_sel:[0,0,1] op_sel_hi:[1,1,0] neg_lo:[0,0,1] neg_hi:[0,0,1]
	v_pk_fma_f32 v[132:133], v[140:141], v[128:129], v[132:133] op_sel:[0,0,1] op_sel_hi:[1,0,0]
	s_delay_alu instid0(VALU_DEP_1) | instskip(SKIP_1) | instid1(VALU_DEP_1)
	v_mov_b32_e32 v145, v133
	v_pk_mul_f32 v[132:133], v[142:143], v[130:131] op_sel:[0,1]
	v_pk_fma_f32 v[140:141], v[142:143], v[128:129], v[132:133] op_sel:[0,0,1] op_sel_hi:[1,1,0] neg_lo:[0,0,1] neg_hi:[0,0,1]
	v_pk_fma_f32 v[132:133], v[142:143], v[128:129], v[132:133] op_sel:[0,0,1] op_sel_hi:[1,0,0]
	s_delay_alu instid0(VALU_DEP_1) | instskip(SKIP_1) | instid1(VALU_DEP_2)
	v_mov_b32_e32 v141, v133
	v_pk_add_f32 v[54:55], v[54:55], v[144:145] neg_lo:[0,1] neg_hi:[0,1]
	v_pk_add_f32 v[52:53], v[52:53], v[140:141] neg_lo:[0,1] neg_hi:[0,1]
	ds_load_2addr_b64 v[140:143], v135 offset0:37 offset1:38
	s_wait_dscnt 0x0
	v_pk_mul_f32 v[132:133], v[140:141], v[130:131] op_sel:[0,1]
	s_delay_alu instid0(VALU_DEP_1) | instskip(SKIP_1) | instid1(VALU_DEP_1)
	v_pk_fma_f32 v[144:145], v[140:141], v[128:129], v[132:133] op_sel:[0,0,1] op_sel_hi:[1,1,0] neg_lo:[0,0,1] neg_hi:[0,0,1]
	v_pk_fma_f32 v[132:133], v[140:141], v[128:129], v[132:133] op_sel:[0,0,1] op_sel_hi:[1,0,0]
	v_mov_b32_e32 v145, v133
	v_pk_mul_f32 v[132:133], v[142:143], v[130:131] op_sel:[0,1]
	s_delay_alu instid0(VALU_DEP_1) | instskip(SKIP_1) | instid1(VALU_DEP_1)
	v_pk_fma_f32 v[140:141], v[142:143], v[128:129], v[132:133] op_sel:[0,0,1] op_sel_hi:[1,1,0] neg_lo:[0,0,1] neg_hi:[0,0,1]
	v_pk_fma_f32 v[132:133], v[142:143], v[128:129], v[132:133] op_sel:[0,0,1] op_sel_hi:[1,0,0]
	v_mov_b32_e32 v141, v133
	v_pk_add_f32 v[48:49], v[48:49], v[144:145] neg_lo:[0,1] neg_hi:[0,1]
	s_delay_alu instid0(VALU_DEP_2) | instskip(SKIP_3) | instid1(VALU_DEP_1)
	v_pk_add_f32 v[50:51], v[50:51], v[140:141] neg_lo:[0,1] neg_hi:[0,1]
	ds_load_2addr_b64 v[140:143], v135 offset0:39 offset1:40
	s_wait_dscnt 0x0
	v_dual_mul_f32 v132, v141, v131 :: v_dual_mul_f32 v144, v141, v128
	v_pk_fma_f32 v[132:133], v[140:141], v[66:67], v[132:133] op_sel_hi:[1,1,0] neg_lo:[0,0,1] neg_hi:[0,0,1]
	s_delay_alu instid0(VALU_DEP_2) | instskip(NEXT) | instid1(VALU_DEP_1)
	v_pk_fma_f32 v[140:141], v[140:141], v[66:67], v[144:145] op_sel:[1,0,0] op_sel_hi:[0,1,0]
	v_mov_b32_e32 v133, v141
	s_delay_alu instid0(VALU_DEP_1) | instskip(SKIP_1) | instid1(VALU_DEP_1)
	v_pk_add_f32 v[46:47], v[46:47], v[132:133] neg_lo:[0,1] neg_hi:[0,1]
	v_pk_mul_f32 v[132:133], v[142:143], v[130:131] op_sel:[0,1]
	v_pk_fma_f32 v[140:141], v[142:143], v[128:129], v[132:133] op_sel:[0,0,1] op_sel_hi:[1,1,0] neg_lo:[0,0,1] neg_hi:[0,0,1]
	v_pk_fma_f32 v[132:133], v[142:143], v[128:129], v[132:133] op_sel:[0,0,1] op_sel_hi:[1,0,0]
	s_delay_alu instid0(VALU_DEP_1) | instskip(NEXT) | instid1(VALU_DEP_1)
	v_mov_b32_e32 v141, v133
	v_pk_add_f32 v[42:43], v[42:43], v[140:141] neg_lo:[0,1] neg_hi:[0,1]
	ds_load_2addr_b64 v[140:143], v135 offset0:41 offset1:42
	s_wait_dscnt 0x0
	v_pk_mul_f32 v[132:133], v[140:141], v[130:131] op_sel:[0,1]
	s_delay_alu instid0(VALU_DEP_1) | instskip(SKIP_1) | instid1(VALU_DEP_1)
	v_pk_fma_f32 v[144:145], v[140:141], v[128:129], v[132:133] op_sel:[0,0,1] op_sel_hi:[1,1,0] neg_lo:[0,0,1] neg_hi:[0,0,1]
	v_pk_fma_f32 v[132:133], v[140:141], v[128:129], v[132:133] op_sel:[0,0,1] op_sel_hi:[1,0,0]
	v_mov_b32_e32 v145, v133
	v_pk_mul_f32 v[132:133], v[142:143], v[130:131] op_sel:[0,1]
	s_delay_alu instid0(VALU_DEP_2) | instskip(NEXT) | instid1(VALU_DEP_2)
	v_pk_add_f32 v[38:39], v[38:39], v[144:145] neg_lo:[0,1] neg_hi:[0,1]
	v_pk_fma_f32 v[140:141], v[142:143], v[128:129], v[132:133] op_sel:[0,0,1] op_sel_hi:[1,1,0] neg_lo:[0,0,1] neg_hi:[0,0,1]
	v_pk_fma_f32 v[132:133], v[142:143], v[128:129], v[132:133] op_sel:[0,0,1] op_sel_hi:[1,0,0]
	s_delay_alu instid0(VALU_DEP_1) | instskip(NEXT) | instid1(VALU_DEP_1)
	v_mov_b32_e32 v141, v133
	v_pk_add_f32 v[40:41], v[40:41], v[140:141] neg_lo:[0,1] neg_hi:[0,1]
	ds_load_2addr_b64 v[140:143], v135 offset0:43 offset1:44
	s_wait_dscnt 0x0
	v_pk_mul_f32 v[132:133], v[140:141], v[130:131] op_sel:[0,1]
	s_delay_alu instid0(VALU_DEP_1) | instskip(SKIP_2) | instid1(VALU_DEP_2)
	v_pk_fma_f32 v[144:145], v[140:141], v[128:129], v[132:133] op_sel:[0,0,1] op_sel_hi:[1,1,0] neg_lo:[0,0,1] neg_hi:[0,0,1]
	v_pk_fma_f32 v[132:133], v[140:141], v[128:129], v[132:133] op_sel:[0,0,1] op_sel_hi:[1,0,0]
	v_dual_mul_f32 v140, v143, v131 :: v_dual_mov_b32 v132, v143
	v_dual_mov_b32 v145, v133 :: v_dual_mov_b32 v133, v142
	s_delay_alu instid0(VALU_DEP_2) | instskip(SKIP_1) | instid1(VALU_DEP_3)
	v_pk_fma_f32 v[140:141], v[142:143], v[66:67], v[140:141] op_sel_hi:[1,1,0] neg_lo:[0,0,1] neg_hi:[0,0,1]
	v_mul_f32_e32 v142, v143, v128
	v_pk_add_f32 v[36:37], v[36:37], v[144:145] neg_lo:[0,1] neg_hi:[0,1]
	s_delay_alu instid0(VALU_DEP_2) | instskip(NEXT) | instid1(VALU_DEP_1)
	v_pk_fma_f32 v[132:133], v[132:133], v[66:67], v[142:143] op_sel_hi:[1,1,0]
	v_mov_b32_e32 v141, v133
	s_delay_alu instid0(VALU_DEP_1) | instskip(SKIP_3) | instid1(VALU_DEP_1)
	v_pk_add_f32 v[34:35], v[34:35], v[140:141] neg_lo:[0,1] neg_hi:[0,1]
	ds_load_2addr_b64 v[140:143], v135 offset0:45 offset1:46
	s_wait_dscnt 0x0
	v_pk_mul_f32 v[132:133], v[140:141], v[130:131] op_sel:[0,1]
	v_pk_fma_f32 v[144:145], v[140:141], v[128:129], v[132:133] op_sel:[0,0,1] op_sel_hi:[1,1,0] neg_lo:[0,0,1] neg_hi:[0,0,1]
	v_pk_fma_f32 v[132:133], v[140:141], v[128:129], v[132:133] op_sel:[0,0,1] op_sel_hi:[1,0,0]
	s_delay_alu instid0(VALU_DEP_1) | instskip(SKIP_1) | instid1(VALU_DEP_1)
	v_mov_b32_e32 v145, v133
	v_pk_mul_f32 v[132:133], v[142:143], v[130:131] op_sel:[0,1]
	v_pk_fma_f32 v[140:141], v[142:143], v[128:129], v[132:133] op_sel:[0,0,1] op_sel_hi:[1,1,0] neg_lo:[0,0,1] neg_hi:[0,0,1]
	v_pk_fma_f32 v[132:133], v[142:143], v[128:129], v[132:133] op_sel:[0,0,1] op_sel_hi:[1,0,0]
	s_delay_alu instid0(VALU_DEP_1) | instskip(SKIP_1) | instid1(VALU_DEP_2)
	v_mov_b32_e32 v141, v133
	v_pk_add_f32 v[30:31], v[30:31], v[144:145] neg_lo:[0,1] neg_hi:[0,1]
	v_pk_add_f32 v[32:33], v[32:33], v[140:141] neg_lo:[0,1] neg_hi:[0,1]
	ds_load_2addr_b64 v[140:143], v135 offset0:47 offset1:48
	s_wait_dscnt 0x0
	v_pk_mul_f32 v[132:133], v[140:141], v[130:131] op_sel:[0,1]
	s_delay_alu instid0(VALU_DEP_1) | instskip(SKIP_1) | instid1(VALU_DEP_1)
	v_pk_fma_f32 v[144:145], v[140:141], v[128:129], v[132:133] op_sel:[0,0,1] op_sel_hi:[1,1,0] neg_lo:[0,0,1] neg_hi:[0,0,1]
	v_pk_fma_f32 v[132:133], v[140:141], v[128:129], v[132:133] op_sel:[0,0,1] op_sel_hi:[1,0,0]
	v_mov_b32_e32 v145, v133
	v_pk_mul_f32 v[132:133], v[142:143], v[130:131] op_sel:[0,1]
	s_delay_alu instid0(VALU_DEP_1) | instskip(SKIP_1) | instid1(VALU_DEP_1)
	v_pk_fma_f32 v[140:141], v[142:143], v[128:129], v[132:133] op_sel:[0,0,1] op_sel_hi:[1,1,0] neg_lo:[0,0,1] neg_hi:[0,0,1]
	v_pk_fma_f32 v[132:133], v[142:143], v[128:129], v[132:133] op_sel:[0,0,1] op_sel_hi:[1,0,0]
	v_mov_b32_e32 v141, v133
	v_pk_add_f32 v[28:29], v[28:29], v[144:145] neg_lo:[0,1] neg_hi:[0,1]
	s_delay_alu instid0(VALU_DEP_2) | instskip(SKIP_3) | instid1(VALU_DEP_1)
	v_pk_add_f32 v[26:27], v[26:27], v[140:141] neg_lo:[0,1] neg_hi:[0,1]
	ds_load_2addr_b64 v[140:143], v135 offset0:49 offset1:50
	s_wait_dscnt 0x0
	v_dual_mul_f32 v132, v141, v131 :: v_dual_mul_f32 v144, v141, v128
	v_pk_fma_f32 v[132:133], v[140:141], v[66:67], v[132:133] op_sel_hi:[1,1,0] neg_lo:[0,0,1] neg_hi:[0,0,1]
	s_delay_alu instid0(VALU_DEP_2) | instskip(NEXT) | instid1(VALU_DEP_1)
	v_pk_fma_f32 v[140:141], v[140:141], v[66:67], v[144:145] op_sel:[1,0,0] op_sel_hi:[0,1,0]
	v_mov_b32_e32 v133, v141
	s_delay_alu instid0(VALU_DEP_1) | instskip(SKIP_1) | instid1(VALU_DEP_1)
	v_pk_add_f32 v[22:23], v[22:23], v[132:133] neg_lo:[0,1] neg_hi:[0,1]
	v_pk_mul_f32 v[132:133], v[142:143], v[130:131] op_sel:[0,1]
	v_pk_fma_f32 v[140:141], v[142:143], v[128:129], v[132:133] op_sel:[0,0,1] op_sel_hi:[1,1,0] neg_lo:[0,0,1] neg_hi:[0,0,1]
	v_pk_fma_f32 v[132:133], v[142:143], v[128:129], v[132:133] op_sel:[0,0,1] op_sel_hi:[1,0,0]
	s_delay_alu instid0(VALU_DEP_1) | instskip(NEXT) | instid1(VALU_DEP_1)
	v_mov_b32_e32 v141, v133
	v_pk_add_f32 v[24:25], v[24:25], v[140:141] neg_lo:[0,1] neg_hi:[0,1]
	ds_load_2addr_b64 v[140:143], v135 offset0:51 offset1:52
	s_wait_dscnt 0x0
	v_pk_mul_f32 v[132:133], v[140:141], v[130:131] op_sel:[0,1]
	s_delay_alu instid0(VALU_DEP_1) | instskip(SKIP_1) | instid1(VALU_DEP_1)
	v_pk_fma_f32 v[144:145], v[140:141], v[128:129], v[132:133] op_sel:[0,0,1] op_sel_hi:[1,1,0] neg_lo:[0,0,1] neg_hi:[0,0,1]
	v_pk_fma_f32 v[132:133], v[140:141], v[128:129], v[132:133] op_sel:[0,0,1] op_sel_hi:[1,0,0]
	v_mov_b32_e32 v145, v133
	v_pk_mul_f32 v[132:133], v[142:143], v[130:131] op_sel:[0,1]
	s_delay_alu instid0(VALU_DEP_2) | instskip(NEXT) | instid1(VALU_DEP_2)
	v_pk_add_f32 v[44:45], v[44:45], v[144:145] neg_lo:[0,1] neg_hi:[0,1]
	v_pk_fma_f32 v[140:141], v[142:143], v[128:129], v[132:133] op_sel:[0,0,1] op_sel_hi:[1,1,0] neg_lo:[0,0,1] neg_hi:[0,0,1]
	v_pk_fma_f32 v[132:133], v[142:143], v[128:129], v[132:133] op_sel:[0,0,1] op_sel_hi:[1,0,0]
	s_delay_alu instid0(VALU_DEP_1) | instskip(NEXT) | instid1(VALU_DEP_1)
	v_mov_b32_e32 v141, v133
	v_pk_add_f32 v[16:17], v[16:17], v[140:141] neg_lo:[0,1] neg_hi:[0,1]
	ds_load_2addr_b64 v[140:143], v135 offset0:53 offset1:54
	s_wait_dscnt 0x0
	v_pk_mul_f32 v[132:133], v[140:141], v[130:131] op_sel:[0,1]
	s_delay_alu instid0(VALU_DEP_1) | instskip(SKIP_2) | instid1(VALU_DEP_2)
	v_pk_fma_f32 v[144:145], v[140:141], v[128:129], v[132:133] op_sel:[0,0,1] op_sel_hi:[1,1,0] neg_lo:[0,0,1] neg_hi:[0,0,1]
	v_pk_fma_f32 v[132:133], v[140:141], v[128:129], v[132:133] op_sel:[0,0,1] op_sel_hi:[1,0,0]
	v_dual_mul_f32 v140, v143, v131 :: v_dual_mov_b32 v132, v143
	v_dual_mov_b32 v145, v133 :: v_dual_mov_b32 v133, v142
	s_delay_alu instid0(VALU_DEP_2) | instskip(SKIP_1) | instid1(VALU_DEP_3)
	v_pk_fma_f32 v[140:141], v[142:143], v[66:67], v[140:141] op_sel_hi:[1,1,0] neg_lo:[0,0,1] neg_hi:[0,0,1]
	v_mul_f32_e32 v142, v143, v128
	v_pk_add_f32 v[12:13], v[12:13], v[144:145] neg_lo:[0,1] neg_hi:[0,1]
	s_delay_alu instid0(VALU_DEP_2) | instskip(NEXT) | instid1(VALU_DEP_1)
	v_pk_fma_f32 v[132:133], v[132:133], v[66:67], v[142:143] op_sel_hi:[1,1,0]
	v_mov_b32_e32 v141, v133
	s_delay_alu instid0(VALU_DEP_1) | instskip(SKIP_3) | instid1(VALU_DEP_1)
	v_pk_add_f32 v[14:15], v[14:15], v[140:141] neg_lo:[0,1] neg_hi:[0,1]
	ds_load_2addr_b64 v[140:143], v135 offset0:55 offset1:56
	s_wait_dscnt 0x0
	v_pk_mul_f32 v[132:133], v[140:141], v[130:131] op_sel:[0,1]
	v_pk_fma_f32 v[144:145], v[140:141], v[128:129], v[132:133] op_sel:[0,0,1] op_sel_hi:[1,1,0] neg_lo:[0,0,1] neg_hi:[0,0,1]
	v_pk_fma_f32 v[132:133], v[140:141], v[128:129], v[132:133] op_sel:[0,0,1] op_sel_hi:[1,0,0]
	s_delay_alu instid0(VALU_DEP_1) | instskip(SKIP_1) | instid1(VALU_DEP_1)
	v_mov_b32_e32 v145, v133
	v_pk_mul_f32 v[132:133], v[142:143], v[130:131] op_sel:[0,1]
	v_pk_fma_f32 v[140:141], v[142:143], v[128:129], v[132:133] op_sel:[0,0,1] op_sel_hi:[1,1,0] neg_lo:[0,0,1] neg_hi:[0,0,1]
	v_pk_fma_f32 v[132:133], v[142:143], v[128:129], v[132:133] op_sel:[0,0,1] op_sel_hi:[1,0,0]
	s_delay_alu instid0(VALU_DEP_1) | instskip(SKIP_1) | instid1(VALU_DEP_2)
	v_mov_b32_e32 v141, v133
	v_pk_add_f32 v[10:11], v[10:11], v[144:145] neg_lo:[0,1] neg_hi:[0,1]
	v_pk_add_f32 v[6:7], v[6:7], v[140:141] neg_lo:[0,1] neg_hi:[0,1]
	ds_load_2addr_b64 v[140:143], v135 offset0:57 offset1:58
	s_wait_dscnt 0x0
	v_pk_mul_f32 v[132:133], v[140:141], v[130:131] op_sel:[0,1]
	s_delay_alu instid0(VALU_DEP_1) | instskip(SKIP_1) | instid1(VALU_DEP_1)
	v_pk_fma_f32 v[144:145], v[140:141], v[128:129], v[132:133] op_sel:[0,0,1] op_sel_hi:[1,1,0] neg_lo:[0,0,1] neg_hi:[0,0,1]
	v_pk_fma_f32 v[132:133], v[140:141], v[128:129], v[132:133] op_sel:[0,0,1] op_sel_hi:[1,0,0]
	v_mov_b32_e32 v145, v133
	v_pk_mul_f32 v[132:133], v[142:143], v[130:131] op_sel:[0,1]
	s_delay_alu instid0(VALU_DEP_1) | instskip(SKIP_1) | instid1(VALU_DEP_1)
	v_pk_fma_f32 v[140:141], v[142:143], v[128:129], v[132:133] op_sel:[0,0,1] op_sel_hi:[1,1,0] neg_lo:[0,0,1] neg_hi:[0,0,1]
	v_pk_fma_f32 v[132:133], v[142:143], v[128:129], v[132:133] op_sel:[0,0,1] op_sel_hi:[1,0,0]
	v_mov_b32_e32 v141, v133
	v_pk_add_f32 v[20:21], v[20:21], v[144:145] neg_lo:[0,1] neg_hi:[0,1]
	s_delay_alu instid0(VALU_DEP_2) | instskip(SKIP_3) | instid1(VALU_DEP_1)
	v_pk_add_f32 v[18:19], v[18:19], v[140:141] neg_lo:[0,1] neg_hi:[0,1]
	ds_load_2addr_b64 v[140:143], v135 offset0:59 offset1:60
	s_wait_dscnt 0x0
	v_mul_f32_e32 v130, v141, v131
	v_pk_fma_f32 v[132:133], v[140:141], v[66:67], v[130:131] op_sel_hi:[1,1,0] neg_lo:[0,0,1] neg_hi:[0,0,1]
	v_dual_mul_f32 v130, v141, v128 :: v_dual_mul_f32 v128, v143, v128
	s_delay_alu instid0(VALU_DEP_1) | instskip(NEXT) | instid1(VALU_DEP_1)
	v_pk_fma_f32 v[140:141], v[140:141], v[66:67], v[130:131] op_sel:[1,0,0] op_sel_hi:[0,1,0]
	v_dual_mul_f32 v130, v143, v131 :: v_dual_mov_b32 v133, v141
	s_delay_alu instid0(VALU_DEP_1) | instskip(NEXT) | instid1(VALU_DEP_2)
	v_pk_fma_f32 v[130:131], v[142:143], v[66:67], v[130:131] op_sel_hi:[1,1,0] neg_lo:[0,0,1] neg_hi:[0,0,1]
	v_pk_add_f32 v[8:9], v[8:9], v[132:133] neg_lo:[0,1] neg_hi:[0,1]
	v_dual_mov_b32 v132, v143 :: v_dual_mov_b32 v133, v142
	s_delay_alu instid0(VALU_DEP_1) | instskip(NEXT) | instid1(VALU_DEP_1)
	v_pk_fma_f32 v[128:129], v[132:133], v[66:67], v[128:129] op_sel_hi:[1,1,0]
	v_mov_b32_e32 v131, v129
	s_delay_alu instid0(VALU_DEP_1)
	v_pk_add_f32 v[126:127], v[126:127], v[130:131] neg_lo:[0,1] neg_hi:[0,1]
.LBB120_650:
	s_or_b32 exec_lo, exec_lo, s0
	v_lshl_add_u32 v128, v138, 3, v135
	s_barrier_signal -1
	s_barrier_wait -1
	ds_store_b64 v128, v[62:63]
	s_wait_dscnt 0x0
	s_barrier_signal -1
	s_barrier_wait -1
	ds_load_b64 v[130:131], v135 offset:248
	v_mov_b32_e32 v128, 31
	s_cmp_lt_i32 s18, 33
	s_cbranch_scc1 .LBB120_653
; %bb.651:
	v_add3_u32 v129, v136, 0, 0x100
	v_mov_b32_e32 v128, 31
	s_mov_b32 s0, 32
.LBB120_652:                            ; =>This Inner Loop Header: Depth=1
	ds_load_b64 v[132:133], v129
	s_wait_dscnt 0x1
	v_cmp_gt_f32_e32 vcc_lo, 0, v130
	v_cndmask_b32_e64 v140, v130, -v130, vcc_lo
	v_cmp_gt_f32_e32 vcc_lo, 0, v131
	v_cndmask_b32_e64 v142, v131, -v131, vcc_lo
	s_wait_dscnt 0x0
	v_cmp_gt_f32_e32 vcc_lo, 0, v132
	v_cndmask_b32_e64 v141, v132, -v132, vcc_lo
	v_cmp_gt_f32_e32 vcc_lo, 0, v133
	v_cndmask_b32_e64 v143, v133, -v133, vcc_lo
	s_delay_alu instid0(VALU_DEP_1) | instskip(NEXT) | instid1(VALU_DEP_1)
	v_pk_add_f32 v[140:141], v[140:141], v[142:143]
	v_cmp_lt_f32_e32 vcc_lo, v140, v141
	v_dual_cndmask_b32 v130, v130, v132 :: v_dual_add_nc_u32 v129, 8, v129
	v_cndmask_b32_e32 v131, v131, v133, vcc_lo
	v_cndmask_b32_e64 v128, v128, s0, vcc_lo
	s_add_co_i32 s0, s0, 1
	s_delay_alu instid0(SALU_CYCLE_1)
	s_cmp_lg_u32 s18, s0
	s_cbranch_scc1 .LBB120_652
.LBB120_653:
	s_wait_dscnt 0x0
	v_cmp_eq_f32_e32 vcc_lo, 0, v130
	v_cmp_eq_f32_e64 s0, 0, v131
	s_and_b32 s0, vcc_lo, s0
	s_delay_alu instid0(SALU_CYCLE_1) | instskip(NEXT) | instid1(SALU_CYCLE_1)
	s_and_saveexec_b32 s1, s0
	s_xor_b32 s0, exec_lo, s1
; %bb.654:
	v_cmp_ne_u32_e32 vcc_lo, 0, v134
	v_cndmask_b32_e32 v134, 32, v134, vcc_lo
; %bb.655:
	s_and_not1_saveexec_b32 s0, s0
	s_cbranch_execz .LBB120_661
; %bb.656:
	v_cmp_ngt_f32_e64 s1, |v130|, |v131|
	s_and_saveexec_b32 s12, s1
	s_delay_alu instid0(SALU_CYCLE_1)
	s_xor_b32 s1, exec_lo, s12
	s_cbranch_execz .LBB120_658
; %bb.657:
	v_div_scale_f32 v129, null, v131, v131, v130
	v_div_scale_f32 v139, vcc_lo, v130, v131, v130
	s_delay_alu instid0(VALU_DEP_2) | instskip(SKIP_1) | instid1(TRANS32_DEP_1)
	v_rcp_f32_e32 v132, v129
	v_nop
	v_fma_f32 v133, -v129, v132, 1.0
	s_delay_alu instid0(VALU_DEP_1) | instskip(NEXT) | instid1(VALU_DEP_1)
	v_fmac_f32_e32 v132, v133, v132
	v_mul_f32_e32 v133, v139, v132
	s_delay_alu instid0(VALU_DEP_1) | instskip(NEXT) | instid1(VALU_DEP_1)
	v_fma_f32 v140, -v129, v133, v139
	v_fmac_f32_e32 v133, v140, v132
	s_delay_alu instid0(VALU_DEP_1) | instskip(NEXT) | instid1(VALU_DEP_1)
	v_fma_f32 v129, -v129, v133, v139
	v_div_fmas_f32 v129, v129, v132, v133
	s_delay_alu instid0(VALU_DEP_1) | instskip(NEXT) | instid1(VALU_DEP_1)
	v_div_fixup_f32 v129, v129, v131, v130
	v_fmac_f32_e32 v131, v130, v129
	s_delay_alu instid0(VALU_DEP_1) | instskip(SKIP_1) | instid1(VALU_DEP_2)
	v_div_scale_f32 v130, null, v131, v131, 1.0
	v_div_scale_f32 v139, vcc_lo, 1.0, v131, 1.0
	v_rcp_f32_e32 v132, v130
	v_nop
	s_delay_alu instid0(TRANS32_DEP_1) | instskip(NEXT) | instid1(VALU_DEP_1)
	v_fma_f32 v133, -v130, v132, 1.0
	v_fmac_f32_e32 v132, v133, v132
	s_delay_alu instid0(VALU_DEP_1) | instskip(NEXT) | instid1(VALU_DEP_1)
	v_mul_f32_e32 v133, v139, v132
	v_fma_f32 v140, -v130, v133, v139
	s_delay_alu instid0(VALU_DEP_1) | instskip(NEXT) | instid1(VALU_DEP_1)
	v_fmac_f32_e32 v133, v140, v132
	v_fma_f32 v130, -v130, v133, v139
	s_delay_alu instid0(VALU_DEP_1) | instskip(NEXT) | instid1(VALU_DEP_1)
	v_div_fmas_f32 v130, v130, v132, v133
	v_div_fixup_f32 v131, v130, v131, 1.0
	s_delay_alu instid0(VALU_DEP_1)
	v_mul_f32_e32 v130, v129, v131
	v_xor_b32_e32 v131, 0x80000000, v131
.LBB120_658:
	s_and_not1_saveexec_b32 s1, s1
	s_cbranch_execz .LBB120_660
; %bb.659:
	s_delay_alu instid0(VALU_DEP_1) | instskip(SKIP_1) | instid1(VALU_DEP_2)
	v_div_scale_f32 v129, null, v130, v130, v131
	v_div_scale_f32 v139, vcc_lo, v131, v130, v131
	v_rcp_f32_e32 v132, v129
	v_nop
	s_delay_alu instid0(TRANS32_DEP_1) | instskip(NEXT) | instid1(VALU_DEP_1)
	v_fma_f32 v133, -v129, v132, 1.0
	v_fmac_f32_e32 v132, v133, v132
	s_delay_alu instid0(VALU_DEP_1) | instskip(NEXT) | instid1(VALU_DEP_1)
	v_mul_f32_e32 v133, v139, v132
	v_fma_f32 v140, -v129, v133, v139
	s_delay_alu instid0(VALU_DEP_1) | instskip(NEXT) | instid1(VALU_DEP_1)
	v_fmac_f32_e32 v133, v140, v132
	v_fma_f32 v129, -v129, v133, v139
	s_delay_alu instid0(VALU_DEP_1) | instskip(NEXT) | instid1(VALU_DEP_1)
	v_div_fmas_f32 v129, v129, v132, v133
	v_div_fixup_f32 v129, v129, v130, v131
	s_delay_alu instid0(VALU_DEP_1) | instskip(NEXT) | instid1(VALU_DEP_1)
	v_fmac_f32_e32 v130, v131, v129
	v_div_scale_f32 v131, null, v130, v130, 1.0
	s_delay_alu instid0(VALU_DEP_1) | instskip(SKIP_1) | instid1(TRANS32_DEP_1)
	v_rcp_f32_e32 v132, v131
	v_nop
	v_fma_f32 v133, -v131, v132, 1.0
	s_delay_alu instid0(VALU_DEP_1) | instskip(SKIP_1) | instid1(VALU_DEP_1)
	v_fmac_f32_e32 v132, v133, v132
	v_div_scale_f32 v133, vcc_lo, 1.0, v130, 1.0
	v_mul_f32_e32 v139, v133, v132
	s_delay_alu instid0(VALU_DEP_1) | instskip(NEXT) | instid1(VALU_DEP_1)
	v_fma_f32 v140, -v131, v139, v133
	v_fmac_f32_e32 v139, v140, v132
	s_delay_alu instid0(VALU_DEP_1) | instskip(NEXT) | instid1(VALU_DEP_1)
	v_fma_f32 v131, -v131, v139, v133
	v_div_fmas_f32 v131, v131, v132, v139
	s_delay_alu instid0(VALU_DEP_1) | instskip(NEXT) | instid1(VALU_DEP_1)
	v_div_fixup_f32 v130, v131, v130, 1.0
	v_mul_f32_e64 v131, v129, -v130
.LBB120_660:
	s_or_b32 exec_lo, exec_lo, s1
.LBB120_661:
	s_delay_alu instid0(SALU_CYCLE_1) | instskip(NEXT) | instid1(SALU_CYCLE_1)
	s_or_b32 exec_lo, exec_lo, s0
	s_mov_b32 s0, exec_lo
	v_cmpx_ne_u32_e64 v138, v128
	s_xor_b32 s0, exec_lo, s0
	s_cbranch_execz .LBB120_667
; %bb.662:
	s_mov_b32 s1, exec_lo
	v_cmpx_eq_u32_e32 31, v138
	s_cbranch_execz .LBB120_666
; %bb.663:
	v_cmp_ne_u32_e32 vcc_lo, 31, v128
	s_xor_b32 s12, s16, -1
	s_delay_alu instid0(SALU_CYCLE_1) | instskip(NEXT) | instid1(SALU_CYCLE_1)
	s_and_b32 s13, s12, vcc_lo
	s_and_saveexec_b32 s12, s13
	s_cbranch_execz .LBB120_665
; %bb.664:
	v_ashrrev_i32_e32 v129, 31, v128
	s_delay_alu instid0(VALU_DEP_1)
	v_lshl_add_u64 v[132:133], v[128:129], 2, v[4:5]
	s_clause 0x1
	global_load_b32 v129, v[132:133], off
	global_load_b32 v137, v[4:5], off offset:124
	s_wait_loadcnt 0x1
	global_store_b32 v[4:5], v129, off offset:124
	s_wait_loadcnt 0x0
	global_store_b32 v[132:133], v137, off
.LBB120_665:
	s_wait_xcnt 0x0
	s_or_b32 exec_lo, exec_lo, s12
	v_dual_mov_b32 v138, v128 :: v_dual_mov_b32 v137, v128
.LBB120_666:
	s_or_b32 exec_lo, exec_lo, s1
.LBB120_667:
	s_and_not1_saveexec_b32 s0, s0
	s_cbranch_execz .LBB120_669
; %bb.668:
	v_dual_mov_b32 v128, v60 :: v_dual_mov_b32 v129, v61
	v_dual_mov_b32 v132, v56 :: v_dual_mov_b32 v133, v57
	;; [unrolled: 1-line block ×8, first 2 shown]
	ds_store_2addr_b64 v135, v[128:129], v[132:133] offset0:32 offset1:33
	ds_store_2addr_b64 v135, v[138:139], v[140:141] offset0:34 offset1:35
	;; [unrolled: 1-line block ×4, first 2 shown]
	v_dual_mov_b32 v128, v42 :: v_dual_mov_b32 v129, v43
	v_dual_mov_b32 v132, v38 :: v_dual_mov_b32 v133, v39
	;; [unrolled: 1-line block ×12, first 2 shown]
	ds_store_2addr_b64 v135, v[128:129], v[132:133] offset0:40 offset1:41
	ds_store_2addr_b64 v135, v[138:139], v[140:141] offset0:42 offset1:43
	;; [unrolled: 1-line block ×6, first 2 shown]
	v_dual_mov_b32 v128, v16 :: v_dual_mov_b32 v129, v17
	v_dual_mov_b32 v132, v12 :: v_dual_mov_b32 v133, v13
	;; [unrolled: 1-line block ×8, first 2 shown]
	v_mov_b32_e32 v151, v9
	ds_store_2addr_b64 v135, v[128:129], v[132:133] offset0:52 offset1:53
	ds_store_2addr_b64 v135, v[140:141], v[142:143] offset0:54 offset1:55
	;; [unrolled: 1-line block ×4, first 2 shown]
	ds_store_b64 v135, v[126:127] offset:480
.LBB120_669:
	s_or_b32 exec_lo, exec_lo, s0
	s_delay_alu instid0(SALU_CYCLE_1)
	s_mov_b32 s0, exec_lo
	s_wait_storecnt_dscnt 0x0
	s_barrier_signal -1
	s_barrier_wait -1
	v_cmpx_lt_i32_e32 31, v138
	s_cbranch_execz .LBB120_671
; %bb.670:
	ds_load_2addr_b64 v[140:143], v135 offset0:32 offset1:33
	v_pk_mul_f32 v[132:133], v[130:131], v[62:63] op_sel:[1,1] op_sel_hi:[0,1]
	s_delay_alu instid0(VALU_DEP_1) | instskip(SKIP_1) | instid1(VALU_DEP_1)
	v_pk_fma_f32 v[128:129], v[130:131], v[62:63], v[132:133] op_sel_hi:[1,0,1] neg_lo:[0,0,1] neg_hi:[0,0,1]
	v_pk_fma_f32 v[130:131], v[130:131], v[62:63], v[132:133] op_sel_hi:[1,0,1]
	v_dual_mov_b32 v62, v128 :: v_dual_mov_b32 v63, v131
	s_wait_dscnt 0x0
	s_delay_alu instid0(VALU_DEP_2) | instskip(NEXT) | instid1(VALU_DEP_1)
	v_pk_mul_f32 v[132:133], v[140:141], v[130:131] op_sel:[0,1]
	v_pk_fma_f32 v[144:145], v[140:141], v[128:129], v[132:133] op_sel:[0,0,1] op_sel_hi:[1,1,0] neg_lo:[0,0,1] neg_hi:[0,0,1]
	v_pk_fma_f32 v[132:133], v[140:141], v[128:129], v[132:133] op_sel:[0,0,1] op_sel_hi:[1,0,0]
	s_delay_alu instid0(VALU_DEP_1) | instskip(SKIP_1) | instid1(VALU_DEP_1)
	v_mov_b32_e32 v145, v133
	v_pk_mul_f32 v[132:133], v[142:143], v[130:131] op_sel:[0,1]
	v_pk_fma_f32 v[140:141], v[142:143], v[128:129], v[132:133] op_sel:[0,0,1] op_sel_hi:[1,1,0] neg_lo:[0,0,1] neg_hi:[0,0,1]
	v_pk_fma_f32 v[132:133], v[142:143], v[128:129], v[132:133] op_sel:[0,0,1] op_sel_hi:[1,0,0]
	s_delay_alu instid0(VALU_DEP_1) | instskip(SKIP_1) | instid1(VALU_DEP_2)
	v_mov_b32_e32 v141, v133
	v_pk_add_f32 v[60:61], v[60:61], v[144:145] neg_lo:[0,1] neg_hi:[0,1]
	v_pk_add_f32 v[56:57], v[56:57], v[140:141] neg_lo:[0,1] neg_hi:[0,1]
	ds_load_2addr_b64 v[140:143], v135 offset0:34 offset1:35
	s_wait_dscnt 0x0
	v_pk_mul_f32 v[132:133], v[140:141], v[130:131] op_sel:[0,1]
	s_delay_alu instid0(VALU_DEP_1) | instskip(SKIP_2) | instid1(VALU_DEP_2)
	v_pk_fma_f32 v[144:145], v[140:141], v[128:129], v[132:133] op_sel:[0,0,1] op_sel_hi:[1,1,0] neg_lo:[0,0,1] neg_hi:[0,0,1]
	v_pk_fma_f32 v[132:133], v[140:141], v[128:129], v[132:133] op_sel:[0,0,1] op_sel_hi:[1,0,0]
	v_dual_mul_f32 v140, v143, v131 :: v_dual_mov_b32 v132, v143
	v_dual_mov_b32 v145, v133 :: v_dual_mov_b32 v133, v142
	s_delay_alu instid0(VALU_DEP_2) | instskip(SKIP_1) | instid1(VALU_DEP_3)
	v_pk_fma_f32 v[140:141], v[142:143], v[62:63], v[140:141] op_sel_hi:[1,1,0] neg_lo:[0,0,1] neg_hi:[0,0,1]
	v_mul_f32_e32 v142, v143, v128
	v_pk_add_f32 v[58:59], v[58:59], v[144:145] neg_lo:[0,1] neg_hi:[0,1]
	s_delay_alu instid0(VALU_DEP_2) | instskip(NEXT) | instid1(VALU_DEP_1)
	v_pk_fma_f32 v[132:133], v[132:133], v[62:63], v[142:143] op_sel_hi:[1,1,0]
	v_mov_b32_e32 v141, v133
	s_delay_alu instid0(VALU_DEP_1) | instskip(SKIP_3) | instid1(VALU_DEP_1)
	v_pk_add_f32 v[54:55], v[54:55], v[140:141] neg_lo:[0,1] neg_hi:[0,1]
	ds_load_2addr_b64 v[140:143], v135 offset0:36 offset1:37
	s_wait_dscnt 0x0
	v_pk_mul_f32 v[132:133], v[140:141], v[130:131] op_sel:[0,1]
	v_pk_fma_f32 v[144:145], v[140:141], v[128:129], v[132:133] op_sel:[0,0,1] op_sel_hi:[1,1,0] neg_lo:[0,0,1] neg_hi:[0,0,1]
	v_pk_fma_f32 v[132:133], v[140:141], v[128:129], v[132:133] op_sel:[0,0,1] op_sel_hi:[1,0,0]
	s_delay_alu instid0(VALU_DEP_1) | instskip(SKIP_1) | instid1(VALU_DEP_1)
	v_mov_b32_e32 v145, v133
	v_pk_mul_f32 v[132:133], v[142:143], v[130:131] op_sel:[0,1]
	v_pk_fma_f32 v[140:141], v[142:143], v[128:129], v[132:133] op_sel:[0,0,1] op_sel_hi:[1,1,0] neg_lo:[0,0,1] neg_hi:[0,0,1]
	v_pk_fma_f32 v[132:133], v[142:143], v[128:129], v[132:133] op_sel:[0,0,1] op_sel_hi:[1,0,0]
	s_delay_alu instid0(VALU_DEP_1) | instskip(SKIP_1) | instid1(VALU_DEP_2)
	v_mov_b32_e32 v141, v133
	v_pk_add_f32 v[52:53], v[52:53], v[144:145] neg_lo:[0,1] neg_hi:[0,1]
	v_pk_add_f32 v[48:49], v[48:49], v[140:141] neg_lo:[0,1] neg_hi:[0,1]
	ds_load_2addr_b64 v[140:143], v135 offset0:38 offset1:39
	s_wait_dscnt 0x0
	v_pk_mul_f32 v[132:133], v[140:141], v[130:131] op_sel:[0,1]
	s_delay_alu instid0(VALU_DEP_1) | instskip(SKIP_1) | instid1(VALU_DEP_1)
	v_pk_fma_f32 v[144:145], v[140:141], v[128:129], v[132:133] op_sel:[0,0,1] op_sel_hi:[1,1,0] neg_lo:[0,0,1] neg_hi:[0,0,1]
	v_pk_fma_f32 v[132:133], v[140:141], v[128:129], v[132:133] op_sel:[0,0,1] op_sel_hi:[1,0,0]
	v_mov_b32_e32 v145, v133
	v_pk_mul_f32 v[132:133], v[142:143], v[130:131] op_sel:[0,1]
	s_delay_alu instid0(VALU_DEP_1) | instskip(SKIP_1) | instid1(VALU_DEP_1)
	v_pk_fma_f32 v[140:141], v[142:143], v[128:129], v[132:133] op_sel:[0,0,1] op_sel_hi:[1,1,0] neg_lo:[0,0,1] neg_hi:[0,0,1]
	v_pk_fma_f32 v[132:133], v[142:143], v[128:129], v[132:133] op_sel:[0,0,1] op_sel_hi:[1,0,0]
	v_mov_b32_e32 v141, v133
	v_pk_add_f32 v[50:51], v[50:51], v[144:145] neg_lo:[0,1] neg_hi:[0,1]
	s_delay_alu instid0(VALU_DEP_2) | instskip(SKIP_3) | instid1(VALU_DEP_1)
	v_pk_add_f32 v[46:47], v[46:47], v[140:141] neg_lo:[0,1] neg_hi:[0,1]
	ds_load_2addr_b64 v[140:143], v135 offset0:40 offset1:41
	s_wait_dscnt 0x0
	v_dual_mul_f32 v132, v141, v131 :: v_dual_mul_f32 v144, v141, v128
	v_pk_fma_f32 v[132:133], v[140:141], v[62:63], v[132:133] op_sel_hi:[1,1,0] neg_lo:[0,0,1] neg_hi:[0,0,1]
	s_delay_alu instid0(VALU_DEP_2) | instskip(NEXT) | instid1(VALU_DEP_1)
	v_pk_fma_f32 v[140:141], v[140:141], v[62:63], v[144:145] op_sel:[1,0,0] op_sel_hi:[0,1,0]
	v_mov_b32_e32 v133, v141
	s_delay_alu instid0(VALU_DEP_1) | instskip(SKIP_1) | instid1(VALU_DEP_1)
	v_pk_add_f32 v[42:43], v[42:43], v[132:133] neg_lo:[0,1] neg_hi:[0,1]
	v_pk_mul_f32 v[132:133], v[142:143], v[130:131] op_sel:[0,1]
	v_pk_fma_f32 v[140:141], v[142:143], v[128:129], v[132:133] op_sel:[0,0,1] op_sel_hi:[1,1,0] neg_lo:[0,0,1] neg_hi:[0,0,1]
	v_pk_fma_f32 v[132:133], v[142:143], v[128:129], v[132:133] op_sel:[0,0,1] op_sel_hi:[1,0,0]
	s_delay_alu instid0(VALU_DEP_1) | instskip(NEXT) | instid1(VALU_DEP_1)
	v_mov_b32_e32 v141, v133
	v_pk_add_f32 v[38:39], v[38:39], v[140:141] neg_lo:[0,1] neg_hi:[0,1]
	ds_load_2addr_b64 v[140:143], v135 offset0:42 offset1:43
	s_wait_dscnt 0x0
	v_pk_mul_f32 v[132:133], v[140:141], v[130:131] op_sel:[0,1]
	s_delay_alu instid0(VALU_DEP_1) | instskip(SKIP_1) | instid1(VALU_DEP_1)
	v_pk_fma_f32 v[144:145], v[140:141], v[128:129], v[132:133] op_sel:[0,0,1] op_sel_hi:[1,1,0] neg_lo:[0,0,1] neg_hi:[0,0,1]
	v_pk_fma_f32 v[132:133], v[140:141], v[128:129], v[132:133] op_sel:[0,0,1] op_sel_hi:[1,0,0]
	v_mov_b32_e32 v145, v133
	v_pk_mul_f32 v[132:133], v[142:143], v[130:131] op_sel:[0,1]
	s_delay_alu instid0(VALU_DEP_2) | instskip(NEXT) | instid1(VALU_DEP_2)
	v_pk_add_f32 v[40:41], v[40:41], v[144:145] neg_lo:[0,1] neg_hi:[0,1]
	v_pk_fma_f32 v[140:141], v[142:143], v[128:129], v[132:133] op_sel:[0,0,1] op_sel_hi:[1,1,0] neg_lo:[0,0,1] neg_hi:[0,0,1]
	v_pk_fma_f32 v[132:133], v[142:143], v[128:129], v[132:133] op_sel:[0,0,1] op_sel_hi:[1,0,0]
	s_delay_alu instid0(VALU_DEP_1) | instskip(NEXT) | instid1(VALU_DEP_1)
	v_mov_b32_e32 v141, v133
	v_pk_add_f32 v[36:37], v[36:37], v[140:141] neg_lo:[0,1] neg_hi:[0,1]
	ds_load_2addr_b64 v[140:143], v135 offset0:44 offset1:45
	s_wait_dscnt 0x0
	v_pk_mul_f32 v[132:133], v[140:141], v[130:131] op_sel:[0,1]
	s_delay_alu instid0(VALU_DEP_1) | instskip(SKIP_2) | instid1(VALU_DEP_2)
	v_pk_fma_f32 v[144:145], v[140:141], v[128:129], v[132:133] op_sel:[0,0,1] op_sel_hi:[1,1,0] neg_lo:[0,0,1] neg_hi:[0,0,1]
	v_pk_fma_f32 v[132:133], v[140:141], v[128:129], v[132:133] op_sel:[0,0,1] op_sel_hi:[1,0,0]
	v_dual_mul_f32 v140, v143, v131 :: v_dual_mov_b32 v132, v143
	v_dual_mov_b32 v145, v133 :: v_dual_mov_b32 v133, v142
	s_delay_alu instid0(VALU_DEP_2) | instskip(SKIP_1) | instid1(VALU_DEP_3)
	v_pk_fma_f32 v[140:141], v[142:143], v[62:63], v[140:141] op_sel_hi:[1,1,0] neg_lo:[0,0,1] neg_hi:[0,0,1]
	v_mul_f32_e32 v142, v143, v128
	v_pk_add_f32 v[34:35], v[34:35], v[144:145] neg_lo:[0,1] neg_hi:[0,1]
	s_delay_alu instid0(VALU_DEP_2) | instskip(NEXT) | instid1(VALU_DEP_1)
	v_pk_fma_f32 v[132:133], v[132:133], v[62:63], v[142:143] op_sel_hi:[1,1,0]
	v_mov_b32_e32 v141, v133
	s_delay_alu instid0(VALU_DEP_1) | instskip(SKIP_3) | instid1(VALU_DEP_1)
	v_pk_add_f32 v[30:31], v[30:31], v[140:141] neg_lo:[0,1] neg_hi:[0,1]
	ds_load_2addr_b64 v[140:143], v135 offset0:46 offset1:47
	s_wait_dscnt 0x0
	v_pk_mul_f32 v[132:133], v[140:141], v[130:131] op_sel:[0,1]
	v_pk_fma_f32 v[144:145], v[140:141], v[128:129], v[132:133] op_sel:[0,0,1] op_sel_hi:[1,1,0] neg_lo:[0,0,1] neg_hi:[0,0,1]
	v_pk_fma_f32 v[132:133], v[140:141], v[128:129], v[132:133] op_sel:[0,0,1] op_sel_hi:[1,0,0]
	s_delay_alu instid0(VALU_DEP_1) | instskip(SKIP_1) | instid1(VALU_DEP_1)
	v_mov_b32_e32 v145, v133
	v_pk_mul_f32 v[132:133], v[142:143], v[130:131] op_sel:[0,1]
	v_pk_fma_f32 v[140:141], v[142:143], v[128:129], v[132:133] op_sel:[0,0,1] op_sel_hi:[1,1,0] neg_lo:[0,0,1] neg_hi:[0,0,1]
	v_pk_fma_f32 v[132:133], v[142:143], v[128:129], v[132:133] op_sel:[0,0,1] op_sel_hi:[1,0,0]
	s_delay_alu instid0(VALU_DEP_1) | instskip(SKIP_1) | instid1(VALU_DEP_2)
	v_mov_b32_e32 v141, v133
	v_pk_add_f32 v[32:33], v[32:33], v[144:145] neg_lo:[0,1] neg_hi:[0,1]
	v_pk_add_f32 v[28:29], v[28:29], v[140:141] neg_lo:[0,1] neg_hi:[0,1]
	ds_load_2addr_b64 v[140:143], v135 offset0:48 offset1:49
	s_wait_dscnt 0x0
	v_pk_mul_f32 v[132:133], v[140:141], v[130:131] op_sel:[0,1]
	s_delay_alu instid0(VALU_DEP_1) | instskip(SKIP_1) | instid1(VALU_DEP_1)
	v_pk_fma_f32 v[144:145], v[140:141], v[128:129], v[132:133] op_sel:[0,0,1] op_sel_hi:[1,1,0] neg_lo:[0,0,1] neg_hi:[0,0,1]
	v_pk_fma_f32 v[132:133], v[140:141], v[128:129], v[132:133] op_sel:[0,0,1] op_sel_hi:[1,0,0]
	v_mov_b32_e32 v145, v133
	v_pk_mul_f32 v[132:133], v[142:143], v[130:131] op_sel:[0,1]
	s_delay_alu instid0(VALU_DEP_1) | instskip(SKIP_1) | instid1(VALU_DEP_1)
	v_pk_fma_f32 v[140:141], v[142:143], v[128:129], v[132:133] op_sel:[0,0,1] op_sel_hi:[1,1,0] neg_lo:[0,0,1] neg_hi:[0,0,1]
	v_pk_fma_f32 v[132:133], v[142:143], v[128:129], v[132:133] op_sel:[0,0,1] op_sel_hi:[1,0,0]
	v_mov_b32_e32 v141, v133
	v_pk_add_f32 v[26:27], v[26:27], v[144:145] neg_lo:[0,1] neg_hi:[0,1]
	s_delay_alu instid0(VALU_DEP_2) | instskip(SKIP_3) | instid1(VALU_DEP_1)
	v_pk_add_f32 v[22:23], v[22:23], v[140:141] neg_lo:[0,1] neg_hi:[0,1]
	ds_load_2addr_b64 v[140:143], v135 offset0:50 offset1:51
	s_wait_dscnt 0x0
	v_dual_mul_f32 v132, v141, v131 :: v_dual_mul_f32 v144, v141, v128
	v_pk_fma_f32 v[132:133], v[140:141], v[62:63], v[132:133] op_sel_hi:[1,1,0] neg_lo:[0,0,1] neg_hi:[0,0,1]
	s_delay_alu instid0(VALU_DEP_2) | instskip(NEXT) | instid1(VALU_DEP_1)
	v_pk_fma_f32 v[140:141], v[140:141], v[62:63], v[144:145] op_sel:[1,0,0] op_sel_hi:[0,1,0]
	v_mov_b32_e32 v133, v141
	s_delay_alu instid0(VALU_DEP_1) | instskip(SKIP_1) | instid1(VALU_DEP_1)
	v_pk_add_f32 v[24:25], v[24:25], v[132:133] neg_lo:[0,1] neg_hi:[0,1]
	v_pk_mul_f32 v[132:133], v[142:143], v[130:131] op_sel:[0,1]
	v_pk_fma_f32 v[140:141], v[142:143], v[128:129], v[132:133] op_sel:[0,0,1] op_sel_hi:[1,1,0] neg_lo:[0,0,1] neg_hi:[0,0,1]
	v_pk_fma_f32 v[132:133], v[142:143], v[128:129], v[132:133] op_sel:[0,0,1] op_sel_hi:[1,0,0]
	s_delay_alu instid0(VALU_DEP_1) | instskip(NEXT) | instid1(VALU_DEP_1)
	v_mov_b32_e32 v141, v133
	v_pk_add_f32 v[44:45], v[44:45], v[140:141] neg_lo:[0,1] neg_hi:[0,1]
	ds_load_2addr_b64 v[140:143], v135 offset0:52 offset1:53
	s_wait_dscnt 0x0
	v_pk_mul_f32 v[132:133], v[140:141], v[130:131] op_sel:[0,1]
	s_delay_alu instid0(VALU_DEP_1) | instskip(SKIP_1) | instid1(VALU_DEP_1)
	v_pk_fma_f32 v[144:145], v[140:141], v[128:129], v[132:133] op_sel:[0,0,1] op_sel_hi:[1,1,0] neg_lo:[0,0,1] neg_hi:[0,0,1]
	v_pk_fma_f32 v[132:133], v[140:141], v[128:129], v[132:133] op_sel:[0,0,1] op_sel_hi:[1,0,0]
	v_mov_b32_e32 v145, v133
	v_pk_mul_f32 v[132:133], v[142:143], v[130:131] op_sel:[0,1]
	s_delay_alu instid0(VALU_DEP_2) | instskip(NEXT) | instid1(VALU_DEP_2)
	v_pk_add_f32 v[16:17], v[16:17], v[144:145] neg_lo:[0,1] neg_hi:[0,1]
	v_pk_fma_f32 v[140:141], v[142:143], v[128:129], v[132:133] op_sel:[0,0,1] op_sel_hi:[1,1,0] neg_lo:[0,0,1] neg_hi:[0,0,1]
	v_pk_fma_f32 v[132:133], v[142:143], v[128:129], v[132:133] op_sel:[0,0,1] op_sel_hi:[1,0,0]
	s_delay_alu instid0(VALU_DEP_1) | instskip(NEXT) | instid1(VALU_DEP_1)
	v_mov_b32_e32 v141, v133
	v_pk_add_f32 v[12:13], v[12:13], v[140:141] neg_lo:[0,1] neg_hi:[0,1]
	ds_load_2addr_b64 v[140:143], v135 offset0:54 offset1:55
	s_wait_dscnt 0x0
	v_pk_mul_f32 v[132:133], v[140:141], v[130:131] op_sel:[0,1]
	s_delay_alu instid0(VALU_DEP_1) | instskip(SKIP_2) | instid1(VALU_DEP_2)
	v_pk_fma_f32 v[144:145], v[140:141], v[128:129], v[132:133] op_sel:[0,0,1] op_sel_hi:[1,1,0] neg_lo:[0,0,1] neg_hi:[0,0,1]
	v_pk_fma_f32 v[132:133], v[140:141], v[128:129], v[132:133] op_sel:[0,0,1] op_sel_hi:[1,0,0]
	v_dual_mul_f32 v140, v143, v131 :: v_dual_mov_b32 v132, v143
	v_dual_mov_b32 v145, v133 :: v_dual_mov_b32 v133, v142
	s_delay_alu instid0(VALU_DEP_2) | instskip(SKIP_1) | instid1(VALU_DEP_3)
	v_pk_fma_f32 v[140:141], v[142:143], v[62:63], v[140:141] op_sel_hi:[1,1,0] neg_lo:[0,0,1] neg_hi:[0,0,1]
	v_mul_f32_e32 v142, v143, v128
	v_pk_add_f32 v[14:15], v[14:15], v[144:145] neg_lo:[0,1] neg_hi:[0,1]
	s_delay_alu instid0(VALU_DEP_2) | instskip(NEXT) | instid1(VALU_DEP_1)
	v_pk_fma_f32 v[132:133], v[132:133], v[62:63], v[142:143] op_sel_hi:[1,1,0]
	v_mov_b32_e32 v141, v133
	s_delay_alu instid0(VALU_DEP_1) | instskip(SKIP_3) | instid1(VALU_DEP_1)
	v_pk_add_f32 v[10:11], v[10:11], v[140:141] neg_lo:[0,1] neg_hi:[0,1]
	ds_load_2addr_b64 v[140:143], v135 offset0:56 offset1:57
	s_wait_dscnt 0x0
	v_pk_mul_f32 v[132:133], v[140:141], v[130:131] op_sel:[0,1]
	v_pk_fma_f32 v[144:145], v[140:141], v[128:129], v[132:133] op_sel:[0,0,1] op_sel_hi:[1,1,0] neg_lo:[0,0,1] neg_hi:[0,0,1]
	v_pk_fma_f32 v[132:133], v[140:141], v[128:129], v[132:133] op_sel:[0,0,1] op_sel_hi:[1,0,0]
	s_delay_alu instid0(VALU_DEP_1) | instskip(SKIP_1) | instid1(VALU_DEP_1)
	v_mov_b32_e32 v145, v133
	v_pk_mul_f32 v[132:133], v[142:143], v[130:131] op_sel:[0,1]
	v_pk_fma_f32 v[140:141], v[142:143], v[128:129], v[132:133] op_sel:[0,0,1] op_sel_hi:[1,1,0] neg_lo:[0,0,1] neg_hi:[0,0,1]
	v_pk_fma_f32 v[132:133], v[142:143], v[128:129], v[132:133] op_sel:[0,0,1] op_sel_hi:[1,0,0]
	s_delay_alu instid0(VALU_DEP_1) | instskip(SKIP_1) | instid1(VALU_DEP_2)
	v_mov_b32_e32 v141, v133
	v_pk_add_f32 v[6:7], v[6:7], v[144:145] neg_lo:[0,1] neg_hi:[0,1]
	v_pk_add_f32 v[20:21], v[20:21], v[140:141] neg_lo:[0,1] neg_hi:[0,1]
	ds_load_2addr_b64 v[140:143], v135 offset0:58 offset1:59
	s_wait_dscnt 0x0
	v_pk_mul_f32 v[132:133], v[140:141], v[130:131] op_sel:[0,1]
	s_delay_alu instid0(VALU_DEP_1) | instskip(SKIP_1) | instid1(VALU_DEP_1)
	v_pk_fma_f32 v[144:145], v[140:141], v[128:129], v[132:133] op_sel:[0,0,1] op_sel_hi:[1,1,0] neg_lo:[0,0,1] neg_hi:[0,0,1]
	v_pk_fma_f32 v[132:133], v[140:141], v[128:129], v[132:133] op_sel:[0,0,1] op_sel_hi:[1,0,0]
	v_mov_b32_e32 v145, v133
	v_pk_mul_f32 v[132:133], v[142:143], v[130:131] op_sel:[0,1]
	s_delay_alu instid0(VALU_DEP_1) | instskip(SKIP_1) | instid1(VALU_DEP_1)
	v_pk_fma_f32 v[140:141], v[142:143], v[128:129], v[132:133] op_sel:[0,0,1] op_sel_hi:[1,1,0] neg_lo:[0,0,1] neg_hi:[0,0,1]
	v_pk_fma_f32 v[132:133], v[142:143], v[128:129], v[132:133] op_sel:[0,0,1] op_sel_hi:[1,0,0]
	v_mov_b32_e32 v141, v133
	ds_load_b64 v[132:133], v135 offset:480
	v_pk_add_f32 v[18:19], v[18:19], v[144:145] neg_lo:[0,1] neg_hi:[0,1]
	v_pk_add_f32 v[8:9], v[8:9], v[140:141] neg_lo:[0,1] neg_hi:[0,1]
	s_wait_dscnt 0x0
	v_pk_mul_f32 v[130:131], v[132:133], v[130:131] op_sel:[0,1]
	s_delay_alu instid0(VALU_DEP_1) | instskip(SKIP_1) | instid1(VALU_DEP_1)
	v_pk_fma_f32 v[140:141], v[132:133], v[128:129], v[130:131] op_sel:[0,0,1] op_sel_hi:[1,1,0] neg_lo:[0,0,1] neg_hi:[0,0,1]
	v_pk_fma_f32 v[128:129], v[132:133], v[128:129], v[130:131] op_sel:[0,0,1] op_sel_hi:[1,0,0]
	v_mov_b32_e32 v141, v129
	s_delay_alu instid0(VALU_DEP_1)
	v_pk_add_f32 v[126:127], v[126:127], v[140:141] neg_lo:[0,1] neg_hi:[0,1]
.LBB120_671:
	s_or_b32 exec_lo, exec_lo, s0
	v_lshl_add_u32 v128, v138, 3, v135
	s_barrier_signal -1
	s_barrier_wait -1
	ds_store_b64 v128, v[60:61]
	s_wait_dscnt 0x0
	s_barrier_signal -1
	s_barrier_wait -1
	ds_load_b64 v[130:131], v135 offset:256
	v_mov_b32_e32 v128, 32
	s_cmp_lt_i32 s18, 34
	s_cbranch_scc1 .LBB120_674
; %bb.672:
	v_add3_u32 v129, v136, 0, 0x108
	v_mov_b32_e32 v128, 32
	s_mov_b32 s0, 33
.LBB120_673:                            ; =>This Inner Loop Header: Depth=1
	ds_load_b64 v[132:133], v129
	s_wait_dscnt 0x1
	v_cmp_gt_f32_e32 vcc_lo, 0, v130
	v_cndmask_b32_e64 v140, v130, -v130, vcc_lo
	v_cmp_gt_f32_e32 vcc_lo, 0, v131
	v_cndmask_b32_e64 v142, v131, -v131, vcc_lo
	s_wait_dscnt 0x0
	v_cmp_gt_f32_e32 vcc_lo, 0, v132
	v_cndmask_b32_e64 v141, v132, -v132, vcc_lo
	v_cmp_gt_f32_e32 vcc_lo, 0, v133
	v_cndmask_b32_e64 v143, v133, -v133, vcc_lo
	s_delay_alu instid0(VALU_DEP_1) | instskip(NEXT) | instid1(VALU_DEP_1)
	v_pk_add_f32 v[140:141], v[140:141], v[142:143]
	v_cmp_lt_f32_e32 vcc_lo, v140, v141
	v_dual_cndmask_b32 v130, v130, v132 :: v_dual_add_nc_u32 v129, 8, v129
	v_cndmask_b32_e32 v131, v131, v133, vcc_lo
	v_cndmask_b32_e64 v128, v128, s0, vcc_lo
	s_add_co_i32 s0, s0, 1
	s_delay_alu instid0(SALU_CYCLE_1)
	s_cmp_lg_u32 s18, s0
	s_cbranch_scc1 .LBB120_673
.LBB120_674:
	s_wait_dscnt 0x0
	v_cmp_eq_f32_e32 vcc_lo, 0, v130
	v_cmp_eq_f32_e64 s0, 0, v131
	s_and_b32 s0, vcc_lo, s0
	s_delay_alu instid0(SALU_CYCLE_1) | instskip(NEXT) | instid1(SALU_CYCLE_1)
	s_and_saveexec_b32 s1, s0
	s_xor_b32 s0, exec_lo, s1
; %bb.675:
	v_cmp_ne_u32_e32 vcc_lo, 0, v134
	v_cndmask_b32_e32 v134, 33, v134, vcc_lo
; %bb.676:
	s_and_not1_saveexec_b32 s0, s0
	s_cbranch_execz .LBB120_682
; %bb.677:
	v_cmp_ngt_f32_e64 s1, |v130|, |v131|
	s_and_saveexec_b32 s12, s1
	s_delay_alu instid0(SALU_CYCLE_1)
	s_xor_b32 s1, exec_lo, s12
	s_cbranch_execz .LBB120_679
; %bb.678:
	v_div_scale_f32 v129, null, v131, v131, v130
	v_div_scale_f32 v139, vcc_lo, v130, v131, v130
	s_delay_alu instid0(VALU_DEP_2) | instskip(SKIP_1) | instid1(TRANS32_DEP_1)
	v_rcp_f32_e32 v132, v129
	v_nop
	v_fma_f32 v133, -v129, v132, 1.0
	s_delay_alu instid0(VALU_DEP_1) | instskip(NEXT) | instid1(VALU_DEP_1)
	v_fmac_f32_e32 v132, v133, v132
	v_mul_f32_e32 v133, v139, v132
	s_delay_alu instid0(VALU_DEP_1) | instskip(NEXT) | instid1(VALU_DEP_1)
	v_fma_f32 v140, -v129, v133, v139
	v_fmac_f32_e32 v133, v140, v132
	s_delay_alu instid0(VALU_DEP_1) | instskip(NEXT) | instid1(VALU_DEP_1)
	v_fma_f32 v129, -v129, v133, v139
	v_div_fmas_f32 v129, v129, v132, v133
	s_delay_alu instid0(VALU_DEP_1) | instskip(NEXT) | instid1(VALU_DEP_1)
	v_div_fixup_f32 v129, v129, v131, v130
	v_fmac_f32_e32 v131, v130, v129
	s_delay_alu instid0(VALU_DEP_1) | instskip(SKIP_1) | instid1(VALU_DEP_2)
	v_div_scale_f32 v130, null, v131, v131, 1.0
	v_div_scale_f32 v139, vcc_lo, 1.0, v131, 1.0
	v_rcp_f32_e32 v132, v130
	v_nop
	s_delay_alu instid0(TRANS32_DEP_1) | instskip(NEXT) | instid1(VALU_DEP_1)
	v_fma_f32 v133, -v130, v132, 1.0
	v_fmac_f32_e32 v132, v133, v132
	s_delay_alu instid0(VALU_DEP_1) | instskip(NEXT) | instid1(VALU_DEP_1)
	v_mul_f32_e32 v133, v139, v132
	v_fma_f32 v140, -v130, v133, v139
	s_delay_alu instid0(VALU_DEP_1) | instskip(NEXT) | instid1(VALU_DEP_1)
	v_fmac_f32_e32 v133, v140, v132
	v_fma_f32 v130, -v130, v133, v139
	s_delay_alu instid0(VALU_DEP_1) | instskip(NEXT) | instid1(VALU_DEP_1)
	v_div_fmas_f32 v130, v130, v132, v133
	v_div_fixup_f32 v131, v130, v131, 1.0
	s_delay_alu instid0(VALU_DEP_1)
	v_mul_f32_e32 v130, v129, v131
	v_xor_b32_e32 v131, 0x80000000, v131
.LBB120_679:
	s_and_not1_saveexec_b32 s1, s1
	s_cbranch_execz .LBB120_681
; %bb.680:
	s_delay_alu instid0(VALU_DEP_1) | instskip(SKIP_1) | instid1(VALU_DEP_2)
	v_div_scale_f32 v129, null, v130, v130, v131
	v_div_scale_f32 v139, vcc_lo, v131, v130, v131
	v_rcp_f32_e32 v132, v129
	v_nop
	s_delay_alu instid0(TRANS32_DEP_1) | instskip(NEXT) | instid1(VALU_DEP_1)
	v_fma_f32 v133, -v129, v132, 1.0
	v_fmac_f32_e32 v132, v133, v132
	s_delay_alu instid0(VALU_DEP_1) | instskip(NEXT) | instid1(VALU_DEP_1)
	v_mul_f32_e32 v133, v139, v132
	v_fma_f32 v140, -v129, v133, v139
	s_delay_alu instid0(VALU_DEP_1) | instskip(NEXT) | instid1(VALU_DEP_1)
	v_fmac_f32_e32 v133, v140, v132
	v_fma_f32 v129, -v129, v133, v139
	s_delay_alu instid0(VALU_DEP_1) | instskip(NEXT) | instid1(VALU_DEP_1)
	v_div_fmas_f32 v129, v129, v132, v133
	v_div_fixup_f32 v129, v129, v130, v131
	s_delay_alu instid0(VALU_DEP_1) | instskip(NEXT) | instid1(VALU_DEP_1)
	v_fmac_f32_e32 v130, v131, v129
	v_div_scale_f32 v131, null, v130, v130, 1.0
	s_delay_alu instid0(VALU_DEP_1) | instskip(SKIP_1) | instid1(TRANS32_DEP_1)
	v_rcp_f32_e32 v132, v131
	v_nop
	v_fma_f32 v133, -v131, v132, 1.0
	s_delay_alu instid0(VALU_DEP_1) | instskip(SKIP_1) | instid1(VALU_DEP_1)
	v_fmac_f32_e32 v132, v133, v132
	v_div_scale_f32 v133, vcc_lo, 1.0, v130, 1.0
	v_mul_f32_e32 v139, v133, v132
	s_delay_alu instid0(VALU_DEP_1) | instskip(NEXT) | instid1(VALU_DEP_1)
	v_fma_f32 v140, -v131, v139, v133
	v_fmac_f32_e32 v139, v140, v132
	s_delay_alu instid0(VALU_DEP_1) | instskip(NEXT) | instid1(VALU_DEP_1)
	v_fma_f32 v131, -v131, v139, v133
	v_div_fmas_f32 v131, v131, v132, v139
	s_delay_alu instid0(VALU_DEP_1) | instskip(NEXT) | instid1(VALU_DEP_1)
	v_div_fixup_f32 v130, v131, v130, 1.0
	v_mul_f32_e64 v131, v129, -v130
.LBB120_681:
	s_or_b32 exec_lo, exec_lo, s1
.LBB120_682:
	s_delay_alu instid0(SALU_CYCLE_1) | instskip(NEXT) | instid1(SALU_CYCLE_1)
	s_or_b32 exec_lo, exec_lo, s0
	s_mov_b32 s0, exec_lo
	v_cmpx_ne_u32_e64 v138, v128
	s_xor_b32 s0, exec_lo, s0
	s_cbranch_execz .LBB120_688
; %bb.683:
	s_mov_b32 s1, exec_lo
	v_cmpx_eq_u32_e32 32, v138
	s_cbranch_execz .LBB120_687
; %bb.684:
	v_cmp_ne_u32_e32 vcc_lo, 32, v128
	s_xor_b32 s12, s16, -1
	s_delay_alu instid0(SALU_CYCLE_1) | instskip(NEXT) | instid1(SALU_CYCLE_1)
	s_and_b32 s13, s12, vcc_lo
	s_and_saveexec_b32 s12, s13
	s_cbranch_execz .LBB120_686
; %bb.685:
	v_ashrrev_i32_e32 v129, 31, v128
	s_delay_alu instid0(VALU_DEP_1)
	v_lshl_add_u64 v[132:133], v[128:129], 2, v[4:5]
	s_clause 0x1
	global_load_b32 v129, v[132:133], off
	global_load_b32 v137, v[4:5], off offset:128
	s_wait_loadcnt 0x1
	global_store_b32 v[4:5], v129, off offset:128
	s_wait_loadcnt 0x0
	global_store_b32 v[132:133], v137, off
.LBB120_686:
	s_wait_xcnt 0x0
	s_or_b32 exec_lo, exec_lo, s12
	v_dual_mov_b32 v138, v128 :: v_dual_mov_b32 v137, v128
.LBB120_687:
	s_or_b32 exec_lo, exec_lo, s1
.LBB120_688:
	s_and_not1_saveexec_b32 s0, s0
	s_cbranch_execz .LBB120_690
; %bb.689:
	v_mov_b32_e32 v138, 32
	ds_store_2addr_b64 v135, v[56:57], v[58:59] offset0:33 offset1:34
	ds_store_2addr_b64 v135, v[54:55], v[52:53] offset0:35 offset1:36
	;; [unrolled: 1-line block ×14, first 2 shown]
.LBB120_690:
	s_or_b32 exec_lo, exec_lo, s0
	s_delay_alu instid0(SALU_CYCLE_1)
	s_mov_b32 s0, exec_lo
	s_wait_storecnt_dscnt 0x0
	s_barrier_signal -1
	s_barrier_wait -1
	v_cmpx_lt_i32_e32 32, v138
	s_cbranch_execz .LBB120_692
; %bb.691:
	ds_load_2addr_b64 v[140:143], v135 offset0:33 offset1:34
	v_pk_mul_f32 v[132:133], v[130:131], v[60:61] op_sel:[1,1] op_sel_hi:[0,1]
	s_delay_alu instid0(VALU_DEP_1) | instskip(SKIP_1) | instid1(VALU_DEP_1)
	v_pk_fma_f32 v[128:129], v[130:131], v[60:61], v[132:133] op_sel_hi:[1,0,1] neg_lo:[0,0,1] neg_hi:[0,0,1]
	v_pk_fma_f32 v[130:131], v[130:131], v[60:61], v[132:133] op_sel_hi:[1,0,1]
	v_dual_mov_b32 v60, v128 :: v_dual_mov_b32 v61, v131
	s_wait_dscnt 0x0
	s_delay_alu instid0(VALU_DEP_2) | instskip(NEXT) | instid1(VALU_DEP_1)
	v_pk_mul_f32 v[132:133], v[140:141], v[130:131] op_sel:[0,1]
	v_pk_fma_f32 v[144:145], v[140:141], v[128:129], v[132:133] op_sel:[0,0,1] op_sel_hi:[1,1,0] neg_lo:[0,0,1] neg_hi:[0,0,1]
	v_pk_fma_f32 v[132:133], v[140:141], v[128:129], v[132:133] op_sel:[0,0,1] op_sel_hi:[1,0,0]
	s_delay_alu instid0(VALU_DEP_1) | instskip(SKIP_1) | instid1(VALU_DEP_1)
	v_mov_b32_e32 v145, v133
	v_pk_mul_f32 v[132:133], v[142:143], v[130:131] op_sel:[0,1]
	v_pk_fma_f32 v[140:141], v[142:143], v[128:129], v[132:133] op_sel:[0,0,1] op_sel_hi:[1,1,0] neg_lo:[0,0,1] neg_hi:[0,0,1]
	v_pk_fma_f32 v[132:133], v[142:143], v[128:129], v[132:133] op_sel:[0,0,1] op_sel_hi:[1,0,0]
	s_delay_alu instid0(VALU_DEP_1) | instskip(SKIP_1) | instid1(VALU_DEP_2)
	v_mov_b32_e32 v141, v133
	v_pk_add_f32 v[56:57], v[56:57], v[144:145] neg_lo:[0,1] neg_hi:[0,1]
	v_pk_add_f32 v[58:59], v[58:59], v[140:141] neg_lo:[0,1] neg_hi:[0,1]
	ds_load_2addr_b64 v[140:143], v135 offset0:35 offset1:36
	s_wait_dscnt 0x0
	v_pk_mul_f32 v[132:133], v[140:141], v[130:131] op_sel:[0,1]
	s_delay_alu instid0(VALU_DEP_1) | instskip(SKIP_2) | instid1(VALU_DEP_2)
	v_pk_fma_f32 v[144:145], v[140:141], v[128:129], v[132:133] op_sel:[0,0,1] op_sel_hi:[1,1,0] neg_lo:[0,0,1] neg_hi:[0,0,1]
	v_pk_fma_f32 v[132:133], v[140:141], v[128:129], v[132:133] op_sel:[0,0,1] op_sel_hi:[1,0,0]
	v_dual_mul_f32 v140, v143, v131 :: v_dual_mov_b32 v132, v143
	v_dual_mov_b32 v145, v133 :: v_dual_mov_b32 v133, v142
	s_delay_alu instid0(VALU_DEP_2) | instskip(SKIP_1) | instid1(VALU_DEP_3)
	v_pk_fma_f32 v[140:141], v[142:143], v[60:61], v[140:141] op_sel_hi:[1,1,0] neg_lo:[0,0,1] neg_hi:[0,0,1]
	v_mul_f32_e32 v142, v143, v128
	v_pk_add_f32 v[54:55], v[54:55], v[144:145] neg_lo:[0,1] neg_hi:[0,1]
	s_delay_alu instid0(VALU_DEP_2) | instskip(NEXT) | instid1(VALU_DEP_1)
	v_pk_fma_f32 v[132:133], v[132:133], v[60:61], v[142:143] op_sel_hi:[1,1,0]
	v_mov_b32_e32 v141, v133
	s_delay_alu instid0(VALU_DEP_1) | instskip(SKIP_3) | instid1(VALU_DEP_1)
	v_pk_add_f32 v[52:53], v[52:53], v[140:141] neg_lo:[0,1] neg_hi:[0,1]
	ds_load_2addr_b64 v[140:143], v135 offset0:37 offset1:38
	s_wait_dscnt 0x0
	v_pk_mul_f32 v[132:133], v[140:141], v[130:131] op_sel:[0,1]
	v_pk_fma_f32 v[144:145], v[140:141], v[128:129], v[132:133] op_sel:[0,0,1] op_sel_hi:[1,1,0] neg_lo:[0,0,1] neg_hi:[0,0,1]
	v_pk_fma_f32 v[132:133], v[140:141], v[128:129], v[132:133] op_sel:[0,0,1] op_sel_hi:[1,0,0]
	s_delay_alu instid0(VALU_DEP_1) | instskip(SKIP_1) | instid1(VALU_DEP_1)
	v_mov_b32_e32 v145, v133
	v_pk_mul_f32 v[132:133], v[142:143], v[130:131] op_sel:[0,1]
	v_pk_fma_f32 v[140:141], v[142:143], v[128:129], v[132:133] op_sel:[0,0,1] op_sel_hi:[1,1,0] neg_lo:[0,0,1] neg_hi:[0,0,1]
	v_pk_fma_f32 v[132:133], v[142:143], v[128:129], v[132:133] op_sel:[0,0,1] op_sel_hi:[1,0,0]
	s_delay_alu instid0(VALU_DEP_1) | instskip(SKIP_1) | instid1(VALU_DEP_2)
	v_mov_b32_e32 v141, v133
	v_pk_add_f32 v[48:49], v[48:49], v[144:145] neg_lo:[0,1] neg_hi:[0,1]
	v_pk_add_f32 v[50:51], v[50:51], v[140:141] neg_lo:[0,1] neg_hi:[0,1]
	ds_load_2addr_b64 v[140:143], v135 offset0:39 offset1:40
	s_wait_dscnt 0x0
	v_pk_mul_f32 v[132:133], v[140:141], v[130:131] op_sel:[0,1]
	s_delay_alu instid0(VALU_DEP_1) | instskip(SKIP_1) | instid1(VALU_DEP_1)
	v_pk_fma_f32 v[144:145], v[140:141], v[128:129], v[132:133] op_sel:[0,0,1] op_sel_hi:[1,1,0] neg_lo:[0,0,1] neg_hi:[0,0,1]
	v_pk_fma_f32 v[132:133], v[140:141], v[128:129], v[132:133] op_sel:[0,0,1] op_sel_hi:[1,0,0]
	v_mov_b32_e32 v145, v133
	v_pk_mul_f32 v[132:133], v[142:143], v[130:131] op_sel:[0,1]
	s_delay_alu instid0(VALU_DEP_1) | instskip(SKIP_1) | instid1(VALU_DEP_1)
	v_pk_fma_f32 v[140:141], v[142:143], v[128:129], v[132:133] op_sel:[0,0,1] op_sel_hi:[1,1,0] neg_lo:[0,0,1] neg_hi:[0,0,1]
	v_pk_fma_f32 v[132:133], v[142:143], v[128:129], v[132:133] op_sel:[0,0,1] op_sel_hi:[1,0,0]
	v_mov_b32_e32 v141, v133
	v_pk_add_f32 v[46:47], v[46:47], v[144:145] neg_lo:[0,1] neg_hi:[0,1]
	s_delay_alu instid0(VALU_DEP_2) | instskip(SKIP_3) | instid1(VALU_DEP_1)
	v_pk_add_f32 v[42:43], v[42:43], v[140:141] neg_lo:[0,1] neg_hi:[0,1]
	ds_load_2addr_b64 v[140:143], v135 offset0:41 offset1:42
	s_wait_dscnt 0x0
	v_dual_mul_f32 v132, v141, v131 :: v_dual_mul_f32 v144, v141, v128
	v_pk_fma_f32 v[132:133], v[140:141], v[60:61], v[132:133] op_sel_hi:[1,1,0] neg_lo:[0,0,1] neg_hi:[0,0,1]
	s_delay_alu instid0(VALU_DEP_2) | instskip(NEXT) | instid1(VALU_DEP_1)
	v_pk_fma_f32 v[140:141], v[140:141], v[60:61], v[144:145] op_sel:[1,0,0] op_sel_hi:[0,1,0]
	v_mov_b32_e32 v133, v141
	s_delay_alu instid0(VALU_DEP_1) | instskip(SKIP_1) | instid1(VALU_DEP_1)
	v_pk_add_f32 v[38:39], v[38:39], v[132:133] neg_lo:[0,1] neg_hi:[0,1]
	v_pk_mul_f32 v[132:133], v[142:143], v[130:131] op_sel:[0,1]
	v_pk_fma_f32 v[140:141], v[142:143], v[128:129], v[132:133] op_sel:[0,0,1] op_sel_hi:[1,1,0] neg_lo:[0,0,1] neg_hi:[0,0,1]
	v_pk_fma_f32 v[132:133], v[142:143], v[128:129], v[132:133] op_sel:[0,0,1] op_sel_hi:[1,0,0]
	s_delay_alu instid0(VALU_DEP_1) | instskip(NEXT) | instid1(VALU_DEP_1)
	v_mov_b32_e32 v141, v133
	v_pk_add_f32 v[40:41], v[40:41], v[140:141] neg_lo:[0,1] neg_hi:[0,1]
	ds_load_2addr_b64 v[140:143], v135 offset0:43 offset1:44
	s_wait_dscnt 0x0
	v_pk_mul_f32 v[132:133], v[140:141], v[130:131] op_sel:[0,1]
	s_delay_alu instid0(VALU_DEP_1) | instskip(SKIP_1) | instid1(VALU_DEP_1)
	v_pk_fma_f32 v[144:145], v[140:141], v[128:129], v[132:133] op_sel:[0,0,1] op_sel_hi:[1,1,0] neg_lo:[0,0,1] neg_hi:[0,0,1]
	v_pk_fma_f32 v[132:133], v[140:141], v[128:129], v[132:133] op_sel:[0,0,1] op_sel_hi:[1,0,0]
	v_mov_b32_e32 v145, v133
	v_pk_mul_f32 v[132:133], v[142:143], v[130:131] op_sel:[0,1]
	s_delay_alu instid0(VALU_DEP_2) | instskip(NEXT) | instid1(VALU_DEP_2)
	v_pk_add_f32 v[36:37], v[36:37], v[144:145] neg_lo:[0,1] neg_hi:[0,1]
	v_pk_fma_f32 v[140:141], v[142:143], v[128:129], v[132:133] op_sel:[0,0,1] op_sel_hi:[1,1,0] neg_lo:[0,0,1] neg_hi:[0,0,1]
	v_pk_fma_f32 v[132:133], v[142:143], v[128:129], v[132:133] op_sel:[0,0,1] op_sel_hi:[1,0,0]
	s_delay_alu instid0(VALU_DEP_1) | instskip(NEXT) | instid1(VALU_DEP_1)
	v_mov_b32_e32 v141, v133
	v_pk_add_f32 v[34:35], v[34:35], v[140:141] neg_lo:[0,1] neg_hi:[0,1]
	ds_load_2addr_b64 v[140:143], v135 offset0:45 offset1:46
	s_wait_dscnt 0x0
	v_pk_mul_f32 v[132:133], v[140:141], v[130:131] op_sel:[0,1]
	s_delay_alu instid0(VALU_DEP_1) | instskip(SKIP_2) | instid1(VALU_DEP_2)
	v_pk_fma_f32 v[144:145], v[140:141], v[128:129], v[132:133] op_sel:[0,0,1] op_sel_hi:[1,1,0] neg_lo:[0,0,1] neg_hi:[0,0,1]
	v_pk_fma_f32 v[132:133], v[140:141], v[128:129], v[132:133] op_sel:[0,0,1] op_sel_hi:[1,0,0]
	v_dual_mul_f32 v140, v143, v131 :: v_dual_mov_b32 v132, v143
	v_dual_mov_b32 v145, v133 :: v_dual_mov_b32 v133, v142
	s_delay_alu instid0(VALU_DEP_2) | instskip(SKIP_1) | instid1(VALU_DEP_3)
	v_pk_fma_f32 v[140:141], v[142:143], v[60:61], v[140:141] op_sel_hi:[1,1,0] neg_lo:[0,0,1] neg_hi:[0,0,1]
	v_mul_f32_e32 v142, v143, v128
	v_pk_add_f32 v[30:31], v[30:31], v[144:145] neg_lo:[0,1] neg_hi:[0,1]
	s_delay_alu instid0(VALU_DEP_2) | instskip(NEXT) | instid1(VALU_DEP_1)
	v_pk_fma_f32 v[132:133], v[132:133], v[60:61], v[142:143] op_sel_hi:[1,1,0]
	v_mov_b32_e32 v141, v133
	s_delay_alu instid0(VALU_DEP_1) | instskip(SKIP_3) | instid1(VALU_DEP_1)
	v_pk_add_f32 v[32:33], v[32:33], v[140:141] neg_lo:[0,1] neg_hi:[0,1]
	ds_load_2addr_b64 v[140:143], v135 offset0:47 offset1:48
	s_wait_dscnt 0x0
	v_pk_mul_f32 v[132:133], v[140:141], v[130:131] op_sel:[0,1]
	v_pk_fma_f32 v[144:145], v[140:141], v[128:129], v[132:133] op_sel:[0,0,1] op_sel_hi:[1,1,0] neg_lo:[0,0,1] neg_hi:[0,0,1]
	v_pk_fma_f32 v[132:133], v[140:141], v[128:129], v[132:133] op_sel:[0,0,1] op_sel_hi:[1,0,0]
	s_delay_alu instid0(VALU_DEP_1) | instskip(SKIP_1) | instid1(VALU_DEP_1)
	v_mov_b32_e32 v145, v133
	v_pk_mul_f32 v[132:133], v[142:143], v[130:131] op_sel:[0,1]
	v_pk_fma_f32 v[140:141], v[142:143], v[128:129], v[132:133] op_sel:[0,0,1] op_sel_hi:[1,1,0] neg_lo:[0,0,1] neg_hi:[0,0,1]
	v_pk_fma_f32 v[132:133], v[142:143], v[128:129], v[132:133] op_sel:[0,0,1] op_sel_hi:[1,0,0]
	s_delay_alu instid0(VALU_DEP_1) | instskip(SKIP_1) | instid1(VALU_DEP_2)
	v_mov_b32_e32 v141, v133
	v_pk_add_f32 v[28:29], v[28:29], v[144:145] neg_lo:[0,1] neg_hi:[0,1]
	v_pk_add_f32 v[26:27], v[26:27], v[140:141] neg_lo:[0,1] neg_hi:[0,1]
	ds_load_2addr_b64 v[140:143], v135 offset0:49 offset1:50
	s_wait_dscnt 0x0
	v_pk_mul_f32 v[132:133], v[140:141], v[130:131] op_sel:[0,1]
	s_delay_alu instid0(VALU_DEP_1) | instskip(SKIP_1) | instid1(VALU_DEP_1)
	v_pk_fma_f32 v[144:145], v[140:141], v[128:129], v[132:133] op_sel:[0,0,1] op_sel_hi:[1,1,0] neg_lo:[0,0,1] neg_hi:[0,0,1]
	v_pk_fma_f32 v[132:133], v[140:141], v[128:129], v[132:133] op_sel:[0,0,1] op_sel_hi:[1,0,0]
	v_mov_b32_e32 v145, v133
	v_pk_mul_f32 v[132:133], v[142:143], v[130:131] op_sel:[0,1]
	s_delay_alu instid0(VALU_DEP_1) | instskip(SKIP_1) | instid1(VALU_DEP_1)
	v_pk_fma_f32 v[140:141], v[142:143], v[128:129], v[132:133] op_sel:[0,0,1] op_sel_hi:[1,1,0] neg_lo:[0,0,1] neg_hi:[0,0,1]
	v_pk_fma_f32 v[132:133], v[142:143], v[128:129], v[132:133] op_sel:[0,0,1] op_sel_hi:[1,0,0]
	v_mov_b32_e32 v141, v133
	v_pk_add_f32 v[22:23], v[22:23], v[144:145] neg_lo:[0,1] neg_hi:[0,1]
	s_delay_alu instid0(VALU_DEP_2) | instskip(SKIP_3) | instid1(VALU_DEP_1)
	v_pk_add_f32 v[24:25], v[24:25], v[140:141] neg_lo:[0,1] neg_hi:[0,1]
	ds_load_2addr_b64 v[140:143], v135 offset0:51 offset1:52
	s_wait_dscnt 0x0
	v_dual_mul_f32 v132, v141, v131 :: v_dual_mul_f32 v144, v141, v128
	v_pk_fma_f32 v[132:133], v[140:141], v[60:61], v[132:133] op_sel_hi:[1,1,0] neg_lo:[0,0,1] neg_hi:[0,0,1]
	s_delay_alu instid0(VALU_DEP_2) | instskip(NEXT) | instid1(VALU_DEP_1)
	v_pk_fma_f32 v[140:141], v[140:141], v[60:61], v[144:145] op_sel:[1,0,0] op_sel_hi:[0,1,0]
	v_mov_b32_e32 v133, v141
	s_delay_alu instid0(VALU_DEP_1) | instskip(SKIP_1) | instid1(VALU_DEP_1)
	v_pk_add_f32 v[44:45], v[44:45], v[132:133] neg_lo:[0,1] neg_hi:[0,1]
	v_pk_mul_f32 v[132:133], v[142:143], v[130:131] op_sel:[0,1]
	v_pk_fma_f32 v[140:141], v[142:143], v[128:129], v[132:133] op_sel:[0,0,1] op_sel_hi:[1,1,0] neg_lo:[0,0,1] neg_hi:[0,0,1]
	v_pk_fma_f32 v[132:133], v[142:143], v[128:129], v[132:133] op_sel:[0,0,1] op_sel_hi:[1,0,0]
	s_delay_alu instid0(VALU_DEP_1) | instskip(NEXT) | instid1(VALU_DEP_1)
	v_mov_b32_e32 v141, v133
	v_pk_add_f32 v[16:17], v[16:17], v[140:141] neg_lo:[0,1] neg_hi:[0,1]
	ds_load_2addr_b64 v[140:143], v135 offset0:53 offset1:54
	s_wait_dscnt 0x0
	v_pk_mul_f32 v[132:133], v[140:141], v[130:131] op_sel:[0,1]
	s_delay_alu instid0(VALU_DEP_1) | instskip(SKIP_1) | instid1(VALU_DEP_1)
	v_pk_fma_f32 v[144:145], v[140:141], v[128:129], v[132:133] op_sel:[0,0,1] op_sel_hi:[1,1,0] neg_lo:[0,0,1] neg_hi:[0,0,1]
	v_pk_fma_f32 v[132:133], v[140:141], v[128:129], v[132:133] op_sel:[0,0,1] op_sel_hi:[1,0,0]
	v_mov_b32_e32 v145, v133
	v_pk_mul_f32 v[132:133], v[142:143], v[130:131] op_sel:[0,1]
	s_delay_alu instid0(VALU_DEP_2) | instskip(NEXT) | instid1(VALU_DEP_2)
	v_pk_add_f32 v[12:13], v[12:13], v[144:145] neg_lo:[0,1] neg_hi:[0,1]
	v_pk_fma_f32 v[140:141], v[142:143], v[128:129], v[132:133] op_sel:[0,0,1] op_sel_hi:[1,1,0] neg_lo:[0,0,1] neg_hi:[0,0,1]
	v_pk_fma_f32 v[132:133], v[142:143], v[128:129], v[132:133] op_sel:[0,0,1] op_sel_hi:[1,0,0]
	s_delay_alu instid0(VALU_DEP_1) | instskip(NEXT) | instid1(VALU_DEP_1)
	v_mov_b32_e32 v141, v133
	v_pk_add_f32 v[14:15], v[14:15], v[140:141] neg_lo:[0,1] neg_hi:[0,1]
	ds_load_2addr_b64 v[140:143], v135 offset0:55 offset1:56
	s_wait_dscnt 0x0
	v_pk_mul_f32 v[132:133], v[140:141], v[130:131] op_sel:[0,1]
	s_delay_alu instid0(VALU_DEP_1) | instskip(SKIP_2) | instid1(VALU_DEP_2)
	v_pk_fma_f32 v[144:145], v[140:141], v[128:129], v[132:133] op_sel:[0,0,1] op_sel_hi:[1,1,0] neg_lo:[0,0,1] neg_hi:[0,0,1]
	v_pk_fma_f32 v[132:133], v[140:141], v[128:129], v[132:133] op_sel:[0,0,1] op_sel_hi:[1,0,0]
	v_dual_mul_f32 v140, v143, v131 :: v_dual_mov_b32 v132, v143
	v_dual_mov_b32 v145, v133 :: v_dual_mov_b32 v133, v142
	s_delay_alu instid0(VALU_DEP_2) | instskip(SKIP_1) | instid1(VALU_DEP_3)
	v_pk_fma_f32 v[140:141], v[142:143], v[60:61], v[140:141] op_sel_hi:[1,1,0] neg_lo:[0,0,1] neg_hi:[0,0,1]
	v_mul_f32_e32 v142, v143, v128
	v_pk_add_f32 v[10:11], v[10:11], v[144:145] neg_lo:[0,1] neg_hi:[0,1]
	s_delay_alu instid0(VALU_DEP_2) | instskip(NEXT) | instid1(VALU_DEP_1)
	v_pk_fma_f32 v[132:133], v[132:133], v[60:61], v[142:143] op_sel_hi:[1,1,0]
	v_mov_b32_e32 v141, v133
	s_delay_alu instid0(VALU_DEP_1) | instskip(SKIP_3) | instid1(VALU_DEP_1)
	v_pk_add_f32 v[6:7], v[6:7], v[140:141] neg_lo:[0,1] neg_hi:[0,1]
	ds_load_2addr_b64 v[140:143], v135 offset0:57 offset1:58
	s_wait_dscnt 0x0
	v_pk_mul_f32 v[132:133], v[140:141], v[130:131] op_sel:[0,1]
	v_pk_fma_f32 v[144:145], v[140:141], v[128:129], v[132:133] op_sel:[0,0,1] op_sel_hi:[1,1,0] neg_lo:[0,0,1] neg_hi:[0,0,1]
	v_pk_fma_f32 v[132:133], v[140:141], v[128:129], v[132:133] op_sel:[0,0,1] op_sel_hi:[1,0,0]
	s_delay_alu instid0(VALU_DEP_1) | instskip(SKIP_1) | instid1(VALU_DEP_1)
	v_mov_b32_e32 v145, v133
	v_pk_mul_f32 v[132:133], v[142:143], v[130:131] op_sel:[0,1]
	v_pk_fma_f32 v[140:141], v[142:143], v[128:129], v[132:133] op_sel:[0,0,1] op_sel_hi:[1,1,0] neg_lo:[0,0,1] neg_hi:[0,0,1]
	v_pk_fma_f32 v[132:133], v[142:143], v[128:129], v[132:133] op_sel:[0,0,1] op_sel_hi:[1,0,0]
	s_delay_alu instid0(VALU_DEP_1) | instskip(SKIP_1) | instid1(VALU_DEP_2)
	v_mov_b32_e32 v141, v133
	v_pk_add_f32 v[20:21], v[20:21], v[144:145] neg_lo:[0,1] neg_hi:[0,1]
	v_pk_add_f32 v[18:19], v[18:19], v[140:141] neg_lo:[0,1] neg_hi:[0,1]
	ds_load_2addr_b64 v[140:143], v135 offset0:59 offset1:60
	s_wait_dscnt 0x0
	v_pk_mul_f32 v[132:133], v[140:141], v[130:131] op_sel:[0,1]
	v_pk_mul_f32 v[130:131], v[142:143], v[130:131] op_sel:[0,1]
	s_delay_alu instid0(VALU_DEP_2) | instskip(SKIP_1) | instid1(VALU_DEP_1)
	v_pk_fma_f32 v[144:145], v[140:141], v[128:129], v[132:133] op_sel:[0,0,1] op_sel_hi:[1,1,0] neg_lo:[0,0,1] neg_hi:[0,0,1]
	v_pk_fma_f32 v[132:133], v[140:141], v[128:129], v[132:133] op_sel:[0,0,1] op_sel_hi:[1,0,0]
	v_mov_b32_e32 v145, v133
	s_delay_alu instid0(VALU_DEP_4) | instskip(SKIP_1) | instid1(VALU_DEP_1)
	v_pk_fma_f32 v[132:133], v[142:143], v[128:129], v[130:131] op_sel:[0,0,1] op_sel_hi:[1,1,0] neg_lo:[0,0,1] neg_hi:[0,0,1]
	v_pk_fma_f32 v[128:129], v[142:143], v[128:129], v[130:131] op_sel:[0,0,1] op_sel_hi:[1,0,0]
	v_mov_b32_e32 v133, v129
	s_delay_alu instid0(VALU_DEP_4) | instskip(NEXT) | instid1(VALU_DEP_2)
	v_pk_add_f32 v[8:9], v[8:9], v[144:145] neg_lo:[0,1] neg_hi:[0,1]
	v_pk_add_f32 v[126:127], v[126:127], v[132:133] neg_lo:[0,1] neg_hi:[0,1]
.LBB120_692:
	s_or_b32 exec_lo, exec_lo, s0
	v_lshl_add_u32 v128, v138, 3, v135
	s_barrier_signal -1
	s_barrier_wait -1
	ds_store_b64 v128, v[56:57]
	s_wait_dscnt 0x0
	s_barrier_signal -1
	s_barrier_wait -1
	ds_load_b64 v[130:131], v135 offset:264
	v_mov_b32_e32 v128, 33
	s_cmp_lt_i32 s18, 35
	s_cbranch_scc1 .LBB120_695
; %bb.693:
	v_add3_u32 v129, v136, 0, 0x110
	v_mov_b32_e32 v128, 33
	s_mov_b32 s0, 34
.LBB120_694:                            ; =>This Inner Loop Header: Depth=1
	ds_load_b64 v[132:133], v129
	s_wait_dscnt 0x1
	v_cmp_gt_f32_e32 vcc_lo, 0, v130
	v_cndmask_b32_e64 v140, v130, -v130, vcc_lo
	v_cmp_gt_f32_e32 vcc_lo, 0, v131
	v_cndmask_b32_e64 v142, v131, -v131, vcc_lo
	s_wait_dscnt 0x0
	v_cmp_gt_f32_e32 vcc_lo, 0, v132
	v_cndmask_b32_e64 v141, v132, -v132, vcc_lo
	v_cmp_gt_f32_e32 vcc_lo, 0, v133
	v_cndmask_b32_e64 v143, v133, -v133, vcc_lo
	s_delay_alu instid0(VALU_DEP_1) | instskip(NEXT) | instid1(VALU_DEP_1)
	v_pk_add_f32 v[140:141], v[140:141], v[142:143]
	v_cmp_lt_f32_e32 vcc_lo, v140, v141
	v_dual_cndmask_b32 v130, v130, v132 :: v_dual_add_nc_u32 v129, 8, v129
	v_cndmask_b32_e32 v131, v131, v133, vcc_lo
	v_cndmask_b32_e64 v128, v128, s0, vcc_lo
	s_add_co_i32 s0, s0, 1
	s_delay_alu instid0(SALU_CYCLE_1)
	s_cmp_lg_u32 s18, s0
	s_cbranch_scc1 .LBB120_694
.LBB120_695:
	s_wait_dscnt 0x0
	v_cmp_eq_f32_e32 vcc_lo, 0, v130
	v_cmp_eq_f32_e64 s0, 0, v131
	s_and_b32 s0, vcc_lo, s0
	s_delay_alu instid0(SALU_CYCLE_1) | instskip(NEXT) | instid1(SALU_CYCLE_1)
	s_and_saveexec_b32 s1, s0
	s_xor_b32 s0, exec_lo, s1
; %bb.696:
	v_cmp_ne_u32_e32 vcc_lo, 0, v134
	v_cndmask_b32_e32 v134, 34, v134, vcc_lo
; %bb.697:
	s_and_not1_saveexec_b32 s0, s0
	s_cbranch_execz .LBB120_703
; %bb.698:
	v_cmp_ngt_f32_e64 s1, |v130|, |v131|
	s_and_saveexec_b32 s12, s1
	s_delay_alu instid0(SALU_CYCLE_1)
	s_xor_b32 s1, exec_lo, s12
	s_cbranch_execz .LBB120_700
; %bb.699:
	v_div_scale_f32 v129, null, v131, v131, v130
	v_div_scale_f32 v139, vcc_lo, v130, v131, v130
	s_delay_alu instid0(VALU_DEP_2) | instskip(SKIP_1) | instid1(TRANS32_DEP_1)
	v_rcp_f32_e32 v132, v129
	v_nop
	v_fma_f32 v133, -v129, v132, 1.0
	s_delay_alu instid0(VALU_DEP_1) | instskip(NEXT) | instid1(VALU_DEP_1)
	v_fmac_f32_e32 v132, v133, v132
	v_mul_f32_e32 v133, v139, v132
	s_delay_alu instid0(VALU_DEP_1) | instskip(NEXT) | instid1(VALU_DEP_1)
	v_fma_f32 v140, -v129, v133, v139
	v_fmac_f32_e32 v133, v140, v132
	s_delay_alu instid0(VALU_DEP_1) | instskip(NEXT) | instid1(VALU_DEP_1)
	v_fma_f32 v129, -v129, v133, v139
	v_div_fmas_f32 v129, v129, v132, v133
	s_delay_alu instid0(VALU_DEP_1) | instskip(NEXT) | instid1(VALU_DEP_1)
	v_div_fixup_f32 v129, v129, v131, v130
	v_fmac_f32_e32 v131, v130, v129
	s_delay_alu instid0(VALU_DEP_1) | instskip(SKIP_1) | instid1(VALU_DEP_2)
	v_div_scale_f32 v130, null, v131, v131, 1.0
	v_div_scale_f32 v139, vcc_lo, 1.0, v131, 1.0
	v_rcp_f32_e32 v132, v130
	v_nop
	s_delay_alu instid0(TRANS32_DEP_1) | instskip(NEXT) | instid1(VALU_DEP_1)
	v_fma_f32 v133, -v130, v132, 1.0
	v_fmac_f32_e32 v132, v133, v132
	s_delay_alu instid0(VALU_DEP_1) | instskip(NEXT) | instid1(VALU_DEP_1)
	v_mul_f32_e32 v133, v139, v132
	v_fma_f32 v140, -v130, v133, v139
	s_delay_alu instid0(VALU_DEP_1) | instskip(NEXT) | instid1(VALU_DEP_1)
	v_fmac_f32_e32 v133, v140, v132
	v_fma_f32 v130, -v130, v133, v139
	s_delay_alu instid0(VALU_DEP_1) | instskip(NEXT) | instid1(VALU_DEP_1)
	v_div_fmas_f32 v130, v130, v132, v133
	v_div_fixup_f32 v131, v130, v131, 1.0
	s_delay_alu instid0(VALU_DEP_1)
	v_mul_f32_e32 v130, v129, v131
	v_xor_b32_e32 v131, 0x80000000, v131
.LBB120_700:
	s_and_not1_saveexec_b32 s1, s1
	s_cbranch_execz .LBB120_702
; %bb.701:
	s_delay_alu instid0(VALU_DEP_1) | instskip(SKIP_1) | instid1(VALU_DEP_2)
	v_div_scale_f32 v129, null, v130, v130, v131
	v_div_scale_f32 v139, vcc_lo, v131, v130, v131
	v_rcp_f32_e32 v132, v129
	v_nop
	s_delay_alu instid0(TRANS32_DEP_1) | instskip(NEXT) | instid1(VALU_DEP_1)
	v_fma_f32 v133, -v129, v132, 1.0
	v_fmac_f32_e32 v132, v133, v132
	s_delay_alu instid0(VALU_DEP_1) | instskip(NEXT) | instid1(VALU_DEP_1)
	v_mul_f32_e32 v133, v139, v132
	v_fma_f32 v140, -v129, v133, v139
	s_delay_alu instid0(VALU_DEP_1) | instskip(NEXT) | instid1(VALU_DEP_1)
	v_fmac_f32_e32 v133, v140, v132
	v_fma_f32 v129, -v129, v133, v139
	s_delay_alu instid0(VALU_DEP_1) | instskip(NEXT) | instid1(VALU_DEP_1)
	v_div_fmas_f32 v129, v129, v132, v133
	v_div_fixup_f32 v129, v129, v130, v131
	s_delay_alu instid0(VALU_DEP_1) | instskip(NEXT) | instid1(VALU_DEP_1)
	v_fmac_f32_e32 v130, v131, v129
	v_div_scale_f32 v131, null, v130, v130, 1.0
	s_delay_alu instid0(VALU_DEP_1) | instskip(SKIP_1) | instid1(TRANS32_DEP_1)
	v_rcp_f32_e32 v132, v131
	v_nop
	v_fma_f32 v133, -v131, v132, 1.0
	s_delay_alu instid0(VALU_DEP_1) | instskip(SKIP_1) | instid1(VALU_DEP_1)
	v_fmac_f32_e32 v132, v133, v132
	v_div_scale_f32 v133, vcc_lo, 1.0, v130, 1.0
	v_mul_f32_e32 v139, v133, v132
	s_delay_alu instid0(VALU_DEP_1) | instskip(NEXT) | instid1(VALU_DEP_1)
	v_fma_f32 v140, -v131, v139, v133
	v_fmac_f32_e32 v139, v140, v132
	s_delay_alu instid0(VALU_DEP_1) | instskip(NEXT) | instid1(VALU_DEP_1)
	v_fma_f32 v131, -v131, v139, v133
	v_div_fmas_f32 v131, v131, v132, v139
	s_delay_alu instid0(VALU_DEP_1) | instskip(NEXT) | instid1(VALU_DEP_1)
	v_div_fixup_f32 v130, v131, v130, 1.0
	v_mul_f32_e64 v131, v129, -v130
.LBB120_702:
	s_or_b32 exec_lo, exec_lo, s1
.LBB120_703:
	s_delay_alu instid0(SALU_CYCLE_1) | instskip(NEXT) | instid1(SALU_CYCLE_1)
	s_or_b32 exec_lo, exec_lo, s0
	s_mov_b32 s0, exec_lo
	v_cmpx_ne_u32_e64 v138, v128
	s_xor_b32 s0, exec_lo, s0
	s_cbranch_execz .LBB120_709
; %bb.704:
	s_mov_b32 s1, exec_lo
	v_cmpx_eq_u32_e32 33, v138
	s_cbranch_execz .LBB120_708
; %bb.705:
	v_cmp_ne_u32_e32 vcc_lo, 33, v128
	s_xor_b32 s12, s16, -1
	s_delay_alu instid0(SALU_CYCLE_1) | instskip(NEXT) | instid1(SALU_CYCLE_1)
	s_and_b32 s13, s12, vcc_lo
	s_and_saveexec_b32 s12, s13
	s_cbranch_execz .LBB120_707
; %bb.706:
	v_ashrrev_i32_e32 v129, 31, v128
	s_delay_alu instid0(VALU_DEP_1)
	v_lshl_add_u64 v[132:133], v[128:129], 2, v[4:5]
	s_clause 0x1
	global_load_b32 v129, v[132:133], off
	global_load_b32 v137, v[4:5], off offset:132
	s_wait_loadcnt 0x1
	global_store_b32 v[4:5], v129, off offset:132
	s_wait_loadcnt 0x0
	global_store_b32 v[132:133], v137, off
.LBB120_707:
	s_wait_xcnt 0x0
	s_or_b32 exec_lo, exec_lo, s12
	v_dual_mov_b32 v138, v128 :: v_dual_mov_b32 v137, v128
.LBB120_708:
	s_or_b32 exec_lo, exec_lo, s1
.LBB120_709:
	s_and_not1_saveexec_b32 s0, s0
	s_cbranch_execz .LBB120_711
; %bb.710:
	v_dual_mov_b32 v128, v58 :: v_dual_mov_b32 v129, v59
	v_dual_mov_b32 v132, v54 :: v_dual_mov_b32 v133, v55
	;; [unrolled: 1-line block ×4, first 2 shown]
	ds_store_2addr_b64 v135, v[128:129], v[132:133] offset0:34 offset1:35
	ds_store_2addr_b64 v135, v[138:139], v[140:141] offset0:36 offset1:37
	v_dual_mov_b32 v128, v50 :: v_dual_mov_b32 v129, v51
	v_dual_mov_b32 v132, v46 :: v_dual_mov_b32 v133, v47
	;; [unrolled: 1-line block ×12, first 2 shown]
	ds_store_2addr_b64 v135, v[128:129], v[132:133] offset0:38 offset1:39
	ds_store_2addr_b64 v135, v[138:139], v[140:141] offset0:40 offset1:41
	;; [unrolled: 1-line block ×6, first 2 shown]
	v_dual_mov_b32 v128, v24 :: v_dual_mov_b32 v129, v25
	v_dual_mov_b32 v132, v44 :: v_dual_mov_b32 v133, v45
	;; [unrolled: 1-line block ×6, first 2 shown]
	ds_store_2addr_b64 v135, v[128:129], v[132:133] offset0:50 offset1:51
	ds_store_2addr_b64 v135, v[138:139], v[140:141] offset0:52 offset1:53
	v_dual_mov_b32 v138, 33 :: v_dual_mov_b32 v146, v6
	v_dual_mov_b32 v147, v7 :: v_dual_mov_b32 v148, v20
	;; [unrolled: 1-line block ×4, first 2 shown]
	v_mov_b32_e32 v153, v9
	ds_store_2addr_b64 v135, v[142:143], v[144:145] offset0:54 offset1:55
	ds_store_2addr_b64 v135, v[146:147], v[148:149] offset0:56 offset1:57
	;; [unrolled: 1-line block ×3, first 2 shown]
	ds_store_b64 v135, v[126:127] offset:480
.LBB120_711:
	s_or_b32 exec_lo, exec_lo, s0
	s_delay_alu instid0(SALU_CYCLE_1)
	s_mov_b32 s0, exec_lo
	s_wait_storecnt_dscnt 0x0
	s_barrier_signal -1
	s_barrier_wait -1
	v_cmpx_lt_i32_e32 33, v138
	s_cbranch_execz .LBB120_713
; %bb.712:
	ds_load_2addr_b64 v[140:143], v135 offset0:34 offset1:35
	v_pk_mul_f32 v[132:133], v[130:131], v[56:57] op_sel:[1,1] op_sel_hi:[0,1]
	s_delay_alu instid0(VALU_DEP_1) | instskip(SKIP_1) | instid1(VALU_DEP_1)
	v_pk_fma_f32 v[128:129], v[130:131], v[56:57], v[132:133] op_sel_hi:[1,0,1] neg_lo:[0,0,1] neg_hi:[0,0,1]
	v_pk_fma_f32 v[130:131], v[130:131], v[56:57], v[132:133] op_sel_hi:[1,0,1]
	v_dual_mov_b32 v56, v128 :: v_dual_mov_b32 v57, v131
	s_wait_dscnt 0x0
	s_delay_alu instid0(VALU_DEP_2) | instskip(NEXT) | instid1(VALU_DEP_1)
	v_pk_mul_f32 v[132:133], v[140:141], v[130:131] op_sel:[0,1]
	v_pk_fma_f32 v[144:145], v[140:141], v[128:129], v[132:133] op_sel:[0,0,1] op_sel_hi:[1,1,0] neg_lo:[0,0,1] neg_hi:[0,0,1]
	v_pk_fma_f32 v[132:133], v[140:141], v[128:129], v[132:133] op_sel:[0,0,1] op_sel_hi:[1,0,0]
	s_delay_alu instid0(VALU_DEP_1) | instskip(SKIP_1) | instid1(VALU_DEP_1)
	v_mov_b32_e32 v145, v133
	v_pk_mul_f32 v[132:133], v[142:143], v[130:131] op_sel:[0,1]
	v_pk_fma_f32 v[140:141], v[142:143], v[128:129], v[132:133] op_sel:[0,0,1] op_sel_hi:[1,1,0] neg_lo:[0,0,1] neg_hi:[0,0,1]
	v_pk_fma_f32 v[132:133], v[142:143], v[128:129], v[132:133] op_sel:[0,0,1] op_sel_hi:[1,0,0]
	s_delay_alu instid0(VALU_DEP_1) | instskip(SKIP_1) | instid1(VALU_DEP_2)
	v_mov_b32_e32 v141, v133
	v_pk_add_f32 v[58:59], v[58:59], v[144:145] neg_lo:[0,1] neg_hi:[0,1]
	v_pk_add_f32 v[54:55], v[54:55], v[140:141] neg_lo:[0,1] neg_hi:[0,1]
	ds_load_2addr_b64 v[140:143], v135 offset0:36 offset1:37
	s_wait_dscnt 0x0
	v_pk_mul_f32 v[132:133], v[140:141], v[130:131] op_sel:[0,1]
	s_delay_alu instid0(VALU_DEP_1) | instskip(SKIP_2) | instid1(VALU_DEP_2)
	v_pk_fma_f32 v[144:145], v[140:141], v[128:129], v[132:133] op_sel:[0,0,1] op_sel_hi:[1,1,0] neg_lo:[0,0,1] neg_hi:[0,0,1]
	v_pk_fma_f32 v[132:133], v[140:141], v[128:129], v[132:133] op_sel:[0,0,1] op_sel_hi:[1,0,0]
	v_dual_mul_f32 v140, v143, v131 :: v_dual_mov_b32 v132, v143
	v_dual_mov_b32 v145, v133 :: v_dual_mov_b32 v133, v142
	s_delay_alu instid0(VALU_DEP_2) | instskip(SKIP_1) | instid1(VALU_DEP_3)
	v_pk_fma_f32 v[140:141], v[142:143], v[56:57], v[140:141] op_sel_hi:[1,1,0] neg_lo:[0,0,1] neg_hi:[0,0,1]
	v_mul_f32_e32 v142, v143, v128
	v_pk_add_f32 v[52:53], v[52:53], v[144:145] neg_lo:[0,1] neg_hi:[0,1]
	s_delay_alu instid0(VALU_DEP_2) | instskip(NEXT) | instid1(VALU_DEP_1)
	v_pk_fma_f32 v[132:133], v[132:133], v[56:57], v[142:143] op_sel_hi:[1,1,0]
	v_mov_b32_e32 v141, v133
	s_delay_alu instid0(VALU_DEP_1) | instskip(SKIP_3) | instid1(VALU_DEP_1)
	v_pk_add_f32 v[48:49], v[48:49], v[140:141] neg_lo:[0,1] neg_hi:[0,1]
	ds_load_2addr_b64 v[140:143], v135 offset0:38 offset1:39
	s_wait_dscnt 0x0
	v_pk_mul_f32 v[132:133], v[140:141], v[130:131] op_sel:[0,1]
	v_pk_fma_f32 v[144:145], v[140:141], v[128:129], v[132:133] op_sel:[0,0,1] op_sel_hi:[1,1,0] neg_lo:[0,0,1] neg_hi:[0,0,1]
	v_pk_fma_f32 v[132:133], v[140:141], v[128:129], v[132:133] op_sel:[0,0,1] op_sel_hi:[1,0,0]
	s_delay_alu instid0(VALU_DEP_1) | instskip(SKIP_1) | instid1(VALU_DEP_1)
	v_mov_b32_e32 v145, v133
	v_pk_mul_f32 v[132:133], v[142:143], v[130:131] op_sel:[0,1]
	v_pk_fma_f32 v[140:141], v[142:143], v[128:129], v[132:133] op_sel:[0,0,1] op_sel_hi:[1,1,0] neg_lo:[0,0,1] neg_hi:[0,0,1]
	v_pk_fma_f32 v[132:133], v[142:143], v[128:129], v[132:133] op_sel:[0,0,1] op_sel_hi:[1,0,0]
	s_delay_alu instid0(VALU_DEP_1) | instskip(SKIP_1) | instid1(VALU_DEP_2)
	v_mov_b32_e32 v141, v133
	v_pk_add_f32 v[50:51], v[50:51], v[144:145] neg_lo:[0,1] neg_hi:[0,1]
	v_pk_add_f32 v[46:47], v[46:47], v[140:141] neg_lo:[0,1] neg_hi:[0,1]
	ds_load_2addr_b64 v[140:143], v135 offset0:40 offset1:41
	s_wait_dscnt 0x0
	v_pk_mul_f32 v[132:133], v[140:141], v[130:131] op_sel:[0,1]
	s_delay_alu instid0(VALU_DEP_1) | instskip(SKIP_1) | instid1(VALU_DEP_1)
	v_pk_fma_f32 v[144:145], v[140:141], v[128:129], v[132:133] op_sel:[0,0,1] op_sel_hi:[1,1,0] neg_lo:[0,0,1] neg_hi:[0,0,1]
	v_pk_fma_f32 v[132:133], v[140:141], v[128:129], v[132:133] op_sel:[0,0,1] op_sel_hi:[1,0,0]
	v_mov_b32_e32 v145, v133
	v_pk_mul_f32 v[132:133], v[142:143], v[130:131] op_sel:[0,1]
	s_delay_alu instid0(VALU_DEP_1) | instskip(SKIP_1) | instid1(VALU_DEP_1)
	v_pk_fma_f32 v[140:141], v[142:143], v[128:129], v[132:133] op_sel:[0,0,1] op_sel_hi:[1,1,0] neg_lo:[0,0,1] neg_hi:[0,0,1]
	v_pk_fma_f32 v[132:133], v[142:143], v[128:129], v[132:133] op_sel:[0,0,1] op_sel_hi:[1,0,0]
	v_mov_b32_e32 v141, v133
	v_pk_add_f32 v[42:43], v[42:43], v[144:145] neg_lo:[0,1] neg_hi:[0,1]
	s_delay_alu instid0(VALU_DEP_2) | instskip(SKIP_3) | instid1(VALU_DEP_1)
	v_pk_add_f32 v[38:39], v[38:39], v[140:141] neg_lo:[0,1] neg_hi:[0,1]
	ds_load_2addr_b64 v[140:143], v135 offset0:42 offset1:43
	s_wait_dscnt 0x0
	v_dual_mul_f32 v132, v141, v131 :: v_dual_mul_f32 v144, v141, v128
	v_pk_fma_f32 v[132:133], v[140:141], v[56:57], v[132:133] op_sel_hi:[1,1,0] neg_lo:[0,0,1] neg_hi:[0,0,1]
	s_delay_alu instid0(VALU_DEP_2) | instskip(NEXT) | instid1(VALU_DEP_1)
	v_pk_fma_f32 v[140:141], v[140:141], v[56:57], v[144:145] op_sel:[1,0,0] op_sel_hi:[0,1,0]
	v_mov_b32_e32 v133, v141
	s_delay_alu instid0(VALU_DEP_1) | instskip(SKIP_1) | instid1(VALU_DEP_1)
	v_pk_add_f32 v[40:41], v[40:41], v[132:133] neg_lo:[0,1] neg_hi:[0,1]
	v_pk_mul_f32 v[132:133], v[142:143], v[130:131] op_sel:[0,1]
	v_pk_fma_f32 v[140:141], v[142:143], v[128:129], v[132:133] op_sel:[0,0,1] op_sel_hi:[1,1,0] neg_lo:[0,0,1] neg_hi:[0,0,1]
	v_pk_fma_f32 v[132:133], v[142:143], v[128:129], v[132:133] op_sel:[0,0,1] op_sel_hi:[1,0,0]
	s_delay_alu instid0(VALU_DEP_1) | instskip(NEXT) | instid1(VALU_DEP_1)
	v_mov_b32_e32 v141, v133
	v_pk_add_f32 v[36:37], v[36:37], v[140:141] neg_lo:[0,1] neg_hi:[0,1]
	ds_load_2addr_b64 v[140:143], v135 offset0:44 offset1:45
	s_wait_dscnt 0x0
	v_pk_mul_f32 v[132:133], v[140:141], v[130:131] op_sel:[0,1]
	s_delay_alu instid0(VALU_DEP_1) | instskip(SKIP_1) | instid1(VALU_DEP_1)
	v_pk_fma_f32 v[144:145], v[140:141], v[128:129], v[132:133] op_sel:[0,0,1] op_sel_hi:[1,1,0] neg_lo:[0,0,1] neg_hi:[0,0,1]
	v_pk_fma_f32 v[132:133], v[140:141], v[128:129], v[132:133] op_sel:[0,0,1] op_sel_hi:[1,0,0]
	v_mov_b32_e32 v145, v133
	v_pk_mul_f32 v[132:133], v[142:143], v[130:131] op_sel:[0,1]
	s_delay_alu instid0(VALU_DEP_2) | instskip(NEXT) | instid1(VALU_DEP_2)
	v_pk_add_f32 v[34:35], v[34:35], v[144:145] neg_lo:[0,1] neg_hi:[0,1]
	v_pk_fma_f32 v[140:141], v[142:143], v[128:129], v[132:133] op_sel:[0,0,1] op_sel_hi:[1,1,0] neg_lo:[0,0,1] neg_hi:[0,0,1]
	v_pk_fma_f32 v[132:133], v[142:143], v[128:129], v[132:133] op_sel:[0,0,1] op_sel_hi:[1,0,0]
	s_delay_alu instid0(VALU_DEP_1) | instskip(NEXT) | instid1(VALU_DEP_1)
	v_mov_b32_e32 v141, v133
	v_pk_add_f32 v[30:31], v[30:31], v[140:141] neg_lo:[0,1] neg_hi:[0,1]
	ds_load_2addr_b64 v[140:143], v135 offset0:46 offset1:47
	s_wait_dscnt 0x0
	v_pk_mul_f32 v[132:133], v[140:141], v[130:131] op_sel:[0,1]
	s_delay_alu instid0(VALU_DEP_1) | instskip(SKIP_2) | instid1(VALU_DEP_2)
	v_pk_fma_f32 v[144:145], v[140:141], v[128:129], v[132:133] op_sel:[0,0,1] op_sel_hi:[1,1,0] neg_lo:[0,0,1] neg_hi:[0,0,1]
	v_pk_fma_f32 v[132:133], v[140:141], v[128:129], v[132:133] op_sel:[0,0,1] op_sel_hi:[1,0,0]
	v_dual_mul_f32 v140, v143, v131 :: v_dual_mov_b32 v132, v143
	v_dual_mov_b32 v145, v133 :: v_dual_mov_b32 v133, v142
	s_delay_alu instid0(VALU_DEP_2) | instskip(SKIP_1) | instid1(VALU_DEP_3)
	v_pk_fma_f32 v[140:141], v[142:143], v[56:57], v[140:141] op_sel_hi:[1,1,0] neg_lo:[0,0,1] neg_hi:[0,0,1]
	v_mul_f32_e32 v142, v143, v128
	v_pk_add_f32 v[32:33], v[32:33], v[144:145] neg_lo:[0,1] neg_hi:[0,1]
	s_delay_alu instid0(VALU_DEP_2) | instskip(NEXT) | instid1(VALU_DEP_1)
	v_pk_fma_f32 v[132:133], v[132:133], v[56:57], v[142:143] op_sel_hi:[1,1,0]
	v_mov_b32_e32 v141, v133
	s_delay_alu instid0(VALU_DEP_1) | instskip(SKIP_3) | instid1(VALU_DEP_1)
	v_pk_add_f32 v[28:29], v[28:29], v[140:141] neg_lo:[0,1] neg_hi:[0,1]
	ds_load_2addr_b64 v[140:143], v135 offset0:48 offset1:49
	s_wait_dscnt 0x0
	v_pk_mul_f32 v[132:133], v[140:141], v[130:131] op_sel:[0,1]
	v_pk_fma_f32 v[144:145], v[140:141], v[128:129], v[132:133] op_sel:[0,0,1] op_sel_hi:[1,1,0] neg_lo:[0,0,1] neg_hi:[0,0,1]
	v_pk_fma_f32 v[132:133], v[140:141], v[128:129], v[132:133] op_sel:[0,0,1] op_sel_hi:[1,0,0]
	s_delay_alu instid0(VALU_DEP_1) | instskip(SKIP_1) | instid1(VALU_DEP_1)
	v_mov_b32_e32 v145, v133
	v_pk_mul_f32 v[132:133], v[142:143], v[130:131] op_sel:[0,1]
	v_pk_fma_f32 v[140:141], v[142:143], v[128:129], v[132:133] op_sel:[0,0,1] op_sel_hi:[1,1,0] neg_lo:[0,0,1] neg_hi:[0,0,1]
	v_pk_fma_f32 v[132:133], v[142:143], v[128:129], v[132:133] op_sel:[0,0,1] op_sel_hi:[1,0,0]
	s_delay_alu instid0(VALU_DEP_1) | instskip(SKIP_1) | instid1(VALU_DEP_2)
	v_mov_b32_e32 v141, v133
	v_pk_add_f32 v[26:27], v[26:27], v[144:145] neg_lo:[0,1] neg_hi:[0,1]
	v_pk_add_f32 v[22:23], v[22:23], v[140:141] neg_lo:[0,1] neg_hi:[0,1]
	ds_load_2addr_b64 v[140:143], v135 offset0:50 offset1:51
	s_wait_dscnt 0x0
	v_pk_mul_f32 v[132:133], v[140:141], v[130:131] op_sel:[0,1]
	s_delay_alu instid0(VALU_DEP_1) | instskip(SKIP_1) | instid1(VALU_DEP_1)
	v_pk_fma_f32 v[144:145], v[140:141], v[128:129], v[132:133] op_sel:[0,0,1] op_sel_hi:[1,1,0] neg_lo:[0,0,1] neg_hi:[0,0,1]
	v_pk_fma_f32 v[132:133], v[140:141], v[128:129], v[132:133] op_sel:[0,0,1] op_sel_hi:[1,0,0]
	v_mov_b32_e32 v145, v133
	v_pk_mul_f32 v[132:133], v[142:143], v[130:131] op_sel:[0,1]
	s_delay_alu instid0(VALU_DEP_1) | instskip(SKIP_1) | instid1(VALU_DEP_1)
	v_pk_fma_f32 v[140:141], v[142:143], v[128:129], v[132:133] op_sel:[0,0,1] op_sel_hi:[1,1,0] neg_lo:[0,0,1] neg_hi:[0,0,1]
	v_pk_fma_f32 v[132:133], v[142:143], v[128:129], v[132:133] op_sel:[0,0,1] op_sel_hi:[1,0,0]
	v_mov_b32_e32 v141, v133
	v_pk_add_f32 v[24:25], v[24:25], v[144:145] neg_lo:[0,1] neg_hi:[0,1]
	s_delay_alu instid0(VALU_DEP_2) | instskip(SKIP_3) | instid1(VALU_DEP_1)
	v_pk_add_f32 v[44:45], v[44:45], v[140:141] neg_lo:[0,1] neg_hi:[0,1]
	ds_load_2addr_b64 v[140:143], v135 offset0:52 offset1:53
	s_wait_dscnt 0x0
	v_dual_mul_f32 v132, v141, v131 :: v_dual_mul_f32 v144, v141, v128
	v_pk_fma_f32 v[132:133], v[140:141], v[56:57], v[132:133] op_sel_hi:[1,1,0] neg_lo:[0,0,1] neg_hi:[0,0,1]
	s_delay_alu instid0(VALU_DEP_2) | instskip(NEXT) | instid1(VALU_DEP_1)
	v_pk_fma_f32 v[140:141], v[140:141], v[56:57], v[144:145] op_sel:[1,0,0] op_sel_hi:[0,1,0]
	v_mov_b32_e32 v133, v141
	s_delay_alu instid0(VALU_DEP_1) | instskip(SKIP_1) | instid1(VALU_DEP_1)
	v_pk_add_f32 v[16:17], v[16:17], v[132:133] neg_lo:[0,1] neg_hi:[0,1]
	v_pk_mul_f32 v[132:133], v[142:143], v[130:131] op_sel:[0,1]
	v_pk_fma_f32 v[140:141], v[142:143], v[128:129], v[132:133] op_sel:[0,0,1] op_sel_hi:[1,1,0] neg_lo:[0,0,1] neg_hi:[0,0,1]
	v_pk_fma_f32 v[132:133], v[142:143], v[128:129], v[132:133] op_sel:[0,0,1] op_sel_hi:[1,0,0]
	s_delay_alu instid0(VALU_DEP_1) | instskip(NEXT) | instid1(VALU_DEP_1)
	v_mov_b32_e32 v141, v133
	v_pk_add_f32 v[12:13], v[12:13], v[140:141] neg_lo:[0,1] neg_hi:[0,1]
	ds_load_2addr_b64 v[140:143], v135 offset0:54 offset1:55
	s_wait_dscnt 0x0
	v_pk_mul_f32 v[132:133], v[140:141], v[130:131] op_sel:[0,1]
	s_delay_alu instid0(VALU_DEP_1) | instskip(SKIP_1) | instid1(VALU_DEP_1)
	v_pk_fma_f32 v[144:145], v[140:141], v[128:129], v[132:133] op_sel:[0,0,1] op_sel_hi:[1,1,0] neg_lo:[0,0,1] neg_hi:[0,0,1]
	v_pk_fma_f32 v[132:133], v[140:141], v[128:129], v[132:133] op_sel:[0,0,1] op_sel_hi:[1,0,0]
	v_mov_b32_e32 v145, v133
	v_pk_mul_f32 v[132:133], v[142:143], v[130:131] op_sel:[0,1]
	s_delay_alu instid0(VALU_DEP_2) | instskip(NEXT) | instid1(VALU_DEP_2)
	v_pk_add_f32 v[14:15], v[14:15], v[144:145] neg_lo:[0,1] neg_hi:[0,1]
	v_pk_fma_f32 v[140:141], v[142:143], v[128:129], v[132:133] op_sel:[0,0,1] op_sel_hi:[1,1,0] neg_lo:[0,0,1] neg_hi:[0,0,1]
	v_pk_fma_f32 v[132:133], v[142:143], v[128:129], v[132:133] op_sel:[0,0,1] op_sel_hi:[1,0,0]
	s_delay_alu instid0(VALU_DEP_1) | instskip(NEXT) | instid1(VALU_DEP_1)
	v_mov_b32_e32 v141, v133
	v_pk_add_f32 v[10:11], v[10:11], v[140:141] neg_lo:[0,1] neg_hi:[0,1]
	ds_load_2addr_b64 v[140:143], v135 offset0:56 offset1:57
	s_wait_dscnt 0x0
	v_pk_mul_f32 v[132:133], v[140:141], v[130:131] op_sel:[0,1]
	s_delay_alu instid0(VALU_DEP_1) | instskip(SKIP_2) | instid1(VALU_DEP_2)
	v_pk_fma_f32 v[144:145], v[140:141], v[128:129], v[132:133] op_sel:[0,0,1] op_sel_hi:[1,1,0] neg_lo:[0,0,1] neg_hi:[0,0,1]
	v_pk_fma_f32 v[132:133], v[140:141], v[128:129], v[132:133] op_sel:[0,0,1] op_sel_hi:[1,0,0]
	v_dual_mul_f32 v140, v143, v131 :: v_dual_mov_b32 v132, v143
	v_dual_mov_b32 v145, v133 :: v_dual_mov_b32 v133, v142
	s_delay_alu instid0(VALU_DEP_2) | instskip(SKIP_1) | instid1(VALU_DEP_3)
	v_pk_fma_f32 v[140:141], v[142:143], v[56:57], v[140:141] op_sel_hi:[1,1,0] neg_lo:[0,0,1] neg_hi:[0,0,1]
	v_mul_f32_e32 v142, v143, v128
	v_pk_add_f32 v[6:7], v[6:7], v[144:145] neg_lo:[0,1] neg_hi:[0,1]
	s_delay_alu instid0(VALU_DEP_2) | instskip(NEXT) | instid1(VALU_DEP_1)
	v_pk_fma_f32 v[132:133], v[132:133], v[56:57], v[142:143] op_sel_hi:[1,1,0]
	v_mov_b32_e32 v141, v133
	s_delay_alu instid0(VALU_DEP_1) | instskip(SKIP_3) | instid1(VALU_DEP_1)
	v_pk_add_f32 v[20:21], v[20:21], v[140:141] neg_lo:[0,1] neg_hi:[0,1]
	ds_load_2addr_b64 v[140:143], v135 offset0:58 offset1:59
	s_wait_dscnt 0x0
	v_pk_mul_f32 v[132:133], v[140:141], v[130:131] op_sel:[0,1]
	v_pk_fma_f32 v[144:145], v[140:141], v[128:129], v[132:133] op_sel:[0,0,1] op_sel_hi:[1,1,0] neg_lo:[0,0,1] neg_hi:[0,0,1]
	v_pk_fma_f32 v[132:133], v[140:141], v[128:129], v[132:133] op_sel:[0,0,1] op_sel_hi:[1,0,0]
	s_delay_alu instid0(VALU_DEP_1) | instskip(SKIP_1) | instid1(VALU_DEP_1)
	v_mov_b32_e32 v145, v133
	v_pk_mul_f32 v[132:133], v[142:143], v[130:131] op_sel:[0,1]
	v_pk_fma_f32 v[140:141], v[142:143], v[128:129], v[132:133] op_sel:[0,0,1] op_sel_hi:[1,1,0] neg_lo:[0,0,1] neg_hi:[0,0,1]
	v_pk_fma_f32 v[132:133], v[142:143], v[128:129], v[132:133] op_sel:[0,0,1] op_sel_hi:[1,0,0]
	s_delay_alu instid0(VALU_DEP_1)
	v_mov_b32_e32 v141, v133
	ds_load_b64 v[132:133], v135 offset:480
	v_pk_add_f32 v[18:19], v[18:19], v[144:145] neg_lo:[0,1] neg_hi:[0,1]
	v_pk_add_f32 v[8:9], v[8:9], v[140:141] neg_lo:[0,1] neg_hi:[0,1]
	s_wait_dscnt 0x0
	v_pk_mul_f32 v[130:131], v[132:133], v[130:131] op_sel:[0,1]
	s_delay_alu instid0(VALU_DEP_1) | instskip(SKIP_1) | instid1(VALU_DEP_1)
	v_pk_fma_f32 v[140:141], v[132:133], v[128:129], v[130:131] op_sel:[0,0,1] op_sel_hi:[1,1,0] neg_lo:[0,0,1] neg_hi:[0,0,1]
	v_pk_fma_f32 v[128:129], v[132:133], v[128:129], v[130:131] op_sel:[0,0,1] op_sel_hi:[1,0,0]
	v_mov_b32_e32 v141, v129
	s_delay_alu instid0(VALU_DEP_1)
	v_pk_add_f32 v[126:127], v[126:127], v[140:141] neg_lo:[0,1] neg_hi:[0,1]
.LBB120_713:
	s_or_b32 exec_lo, exec_lo, s0
	v_lshl_add_u32 v128, v138, 3, v135
	s_barrier_signal -1
	s_barrier_wait -1
	ds_store_b64 v128, v[58:59]
	s_wait_dscnt 0x0
	s_barrier_signal -1
	s_barrier_wait -1
	ds_load_b64 v[130:131], v135 offset:272
	v_mov_b32_e32 v128, 34
	s_cmp_lt_i32 s18, 36
	s_cbranch_scc1 .LBB120_716
; %bb.714:
	v_add3_u32 v129, v136, 0, 0x118
	v_mov_b32_e32 v128, 34
	s_mov_b32 s0, 35
.LBB120_715:                            ; =>This Inner Loop Header: Depth=1
	ds_load_b64 v[132:133], v129
	s_wait_dscnt 0x1
	v_cmp_gt_f32_e32 vcc_lo, 0, v130
	v_cndmask_b32_e64 v140, v130, -v130, vcc_lo
	v_cmp_gt_f32_e32 vcc_lo, 0, v131
	v_cndmask_b32_e64 v142, v131, -v131, vcc_lo
	s_wait_dscnt 0x0
	v_cmp_gt_f32_e32 vcc_lo, 0, v132
	v_cndmask_b32_e64 v141, v132, -v132, vcc_lo
	v_cmp_gt_f32_e32 vcc_lo, 0, v133
	v_cndmask_b32_e64 v143, v133, -v133, vcc_lo
	s_delay_alu instid0(VALU_DEP_1) | instskip(NEXT) | instid1(VALU_DEP_1)
	v_pk_add_f32 v[140:141], v[140:141], v[142:143]
	v_cmp_lt_f32_e32 vcc_lo, v140, v141
	v_dual_cndmask_b32 v130, v130, v132 :: v_dual_add_nc_u32 v129, 8, v129
	v_cndmask_b32_e32 v131, v131, v133, vcc_lo
	v_cndmask_b32_e64 v128, v128, s0, vcc_lo
	s_add_co_i32 s0, s0, 1
	s_delay_alu instid0(SALU_CYCLE_1)
	s_cmp_lg_u32 s18, s0
	s_cbranch_scc1 .LBB120_715
.LBB120_716:
	s_wait_dscnt 0x0
	v_cmp_eq_f32_e32 vcc_lo, 0, v130
	v_cmp_eq_f32_e64 s0, 0, v131
	s_and_b32 s0, vcc_lo, s0
	s_delay_alu instid0(SALU_CYCLE_1) | instskip(NEXT) | instid1(SALU_CYCLE_1)
	s_and_saveexec_b32 s1, s0
	s_xor_b32 s0, exec_lo, s1
; %bb.717:
	v_cmp_ne_u32_e32 vcc_lo, 0, v134
	v_cndmask_b32_e32 v134, 35, v134, vcc_lo
; %bb.718:
	s_and_not1_saveexec_b32 s0, s0
	s_cbranch_execz .LBB120_724
; %bb.719:
	v_cmp_ngt_f32_e64 s1, |v130|, |v131|
	s_and_saveexec_b32 s12, s1
	s_delay_alu instid0(SALU_CYCLE_1)
	s_xor_b32 s1, exec_lo, s12
	s_cbranch_execz .LBB120_721
; %bb.720:
	v_div_scale_f32 v129, null, v131, v131, v130
	v_div_scale_f32 v139, vcc_lo, v130, v131, v130
	s_delay_alu instid0(VALU_DEP_2) | instskip(SKIP_1) | instid1(TRANS32_DEP_1)
	v_rcp_f32_e32 v132, v129
	v_nop
	v_fma_f32 v133, -v129, v132, 1.0
	s_delay_alu instid0(VALU_DEP_1) | instskip(NEXT) | instid1(VALU_DEP_1)
	v_fmac_f32_e32 v132, v133, v132
	v_mul_f32_e32 v133, v139, v132
	s_delay_alu instid0(VALU_DEP_1) | instskip(NEXT) | instid1(VALU_DEP_1)
	v_fma_f32 v140, -v129, v133, v139
	v_fmac_f32_e32 v133, v140, v132
	s_delay_alu instid0(VALU_DEP_1) | instskip(NEXT) | instid1(VALU_DEP_1)
	v_fma_f32 v129, -v129, v133, v139
	v_div_fmas_f32 v129, v129, v132, v133
	s_delay_alu instid0(VALU_DEP_1) | instskip(NEXT) | instid1(VALU_DEP_1)
	v_div_fixup_f32 v129, v129, v131, v130
	v_fmac_f32_e32 v131, v130, v129
	s_delay_alu instid0(VALU_DEP_1) | instskip(SKIP_1) | instid1(VALU_DEP_2)
	v_div_scale_f32 v130, null, v131, v131, 1.0
	v_div_scale_f32 v139, vcc_lo, 1.0, v131, 1.0
	v_rcp_f32_e32 v132, v130
	v_nop
	s_delay_alu instid0(TRANS32_DEP_1) | instskip(NEXT) | instid1(VALU_DEP_1)
	v_fma_f32 v133, -v130, v132, 1.0
	v_fmac_f32_e32 v132, v133, v132
	s_delay_alu instid0(VALU_DEP_1) | instskip(NEXT) | instid1(VALU_DEP_1)
	v_mul_f32_e32 v133, v139, v132
	v_fma_f32 v140, -v130, v133, v139
	s_delay_alu instid0(VALU_DEP_1) | instskip(NEXT) | instid1(VALU_DEP_1)
	v_fmac_f32_e32 v133, v140, v132
	v_fma_f32 v130, -v130, v133, v139
	s_delay_alu instid0(VALU_DEP_1) | instskip(NEXT) | instid1(VALU_DEP_1)
	v_div_fmas_f32 v130, v130, v132, v133
	v_div_fixup_f32 v131, v130, v131, 1.0
	s_delay_alu instid0(VALU_DEP_1)
	v_mul_f32_e32 v130, v129, v131
	v_xor_b32_e32 v131, 0x80000000, v131
.LBB120_721:
	s_and_not1_saveexec_b32 s1, s1
	s_cbranch_execz .LBB120_723
; %bb.722:
	s_delay_alu instid0(VALU_DEP_1) | instskip(SKIP_1) | instid1(VALU_DEP_2)
	v_div_scale_f32 v129, null, v130, v130, v131
	v_div_scale_f32 v139, vcc_lo, v131, v130, v131
	v_rcp_f32_e32 v132, v129
	v_nop
	s_delay_alu instid0(TRANS32_DEP_1) | instskip(NEXT) | instid1(VALU_DEP_1)
	v_fma_f32 v133, -v129, v132, 1.0
	v_fmac_f32_e32 v132, v133, v132
	s_delay_alu instid0(VALU_DEP_1) | instskip(NEXT) | instid1(VALU_DEP_1)
	v_mul_f32_e32 v133, v139, v132
	v_fma_f32 v140, -v129, v133, v139
	s_delay_alu instid0(VALU_DEP_1) | instskip(NEXT) | instid1(VALU_DEP_1)
	v_fmac_f32_e32 v133, v140, v132
	v_fma_f32 v129, -v129, v133, v139
	s_delay_alu instid0(VALU_DEP_1) | instskip(NEXT) | instid1(VALU_DEP_1)
	v_div_fmas_f32 v129, v129, v132, v133
	v_div_fixup_f32 v129, v129, v130, v131
	s_delay_alu instid0(VALU_DEP_1) | instskip(NEXT) | instid1(VALU_DEP_1)
	v_fmac_f32_e32 v130, v131, v129
	v_div_scale_f32 v131, null, v130, v130, 1.0
	s_delay_alu instid0(VALU_DEP_1) | instskip(SKIP_1) | instid1(TRANS32_DEP_1)
	v_rcp_f32_e32 v132, v131
	v_nop
	v_fma_f32 v133, -v131, v132, 1.0
	s_delay_alu instid0(VALU_DEP_1) | instskip(SKIP_1) | instid1(VALU_DEP_1)
	v_fmac_f32_e32 v132, v133, v132
	v_div_scale_f32 v133, vcc_lo, 1.0, v130, 1.0
	v_mul_f32_e32 v139, v133, v132
	s_delay_alu instid0(VALU_DEP_1) | instskip(NEXT) | instid1(VALU_DEP_1)
	v_fma_f32 v140, -v131, v139, v133
	v_fmac_f32_e32 v139, v140, v132
	s_delay_alu instid0(VALU_DEP_1) | instskip(NEXT) | instid1(VALU_DEP_1)
	v_fma_f32 v131, -v131, v139, v133
	v_div_fmas_f32 v131, v131, v132, v139
	s_delay_alu instid0(VALU_DEP_1) | instskip(NEXT) | instid1(VALU_DEP_1)
	v_div_fixup_f32 v130, v131, v130, 1.0
	v_mul_f32_e64 v131, v129, -v130
.LBB120_723:
	s_or_b32 exec_lo, exec_lo, s1
.LBB120_724:
	s_delay_alu instid0(SALU_CYCLE_1) | instskip(NEXT) | instid1(SALU_CYCLE_1)
	s_or_b32 exec_lo, exec_lo, s0
	s_mov_b32 s0, exec_lo
	v_cmpx_ne_u32_e64 v138, v128
	s_xor_b32 s0, exec_lo, s0
	s_cbranch_execz .LBB120_730
; %bb.725:
	s_mov_b32 s1, exec_lo
	v_cmpx_eq_u32_e32 34, v138
	s_cbranch_execz .LBB120_729
; %bb.726:
	v_cmp_ne_u32_e32 vcc_lo, 34, v128
	s_xor_b32 s12, s16, -1
	s_delay_alu instid0(SALU_CYCLE_1) | instskip(NEXT) | instid1(SALU_CYCLE_1)
	s_and_b32 s13, s12, vcc_lo
	s_and_saveexec_b32 s12, s13
	s_cbranch_execz .LBB120_728
; %bb.727:
	v_ashrrev_i32_e32 v129, 31, v128
	s_delay_alu instid0(VALU_DEP_1)
	v_lshl_add_u64 v[132:133], v[128:129], 2, v[4:5]
	s_clause 0x1
	global_load_b32 v129, v[132:133], off
	global_load_b32 v137, v[4:5], off offset:136
	s_wait_loadcnt 0x1
	global_store_b32 v[4:5], v129, off offset:136
	s_wait_loadcnt 0x0
	global_store_b32 v[132:133], v137, off
.LBB120_728:
	s_wait_xcnt 0x0
	s_or_b32 exec_lo, exec_lo, s12
	v_dual_mov_b32 v138, v128 :: v_dual_mov_b32 v137, v128
.LBB120_729:
	s_or_b32 exec_lo, exec_lo, s1
.LBB120_730:
	s_and_not1_saveexec_b32 s0, s0
	s_cbranch_execz .LBB120_732
; %bb.731:
	v_mov_b32_e32 v138, 34
	ds_store_2addr_b64 v135, v[54:55], v[52:53] offset0:35 offset1:36
	ds_store_2addr_b64 v135, v[48:49], v[50:51] offset0:37 offset1:38
	;; [unrolled: 1-line block ×13, first 2 shown]
.LBB120_732:
	s_or_b32 exec_lo, exec_lo, s0
	s_delay_alu instid0(SALU_CYCLE_1)
	s_mov_b32 s0, exec_lo
	s_wait_storecnt_dscnt 0x0
	s_barrier_signal -1
	s_barrier_wait -1
	v_cmpx_lt_i32_e32 34, v138
	s_cbranch_execz .LBB120_734
; %bb.733:
	ds_load_2addr_b64 v[140:143], v135 offset0:35 offset1:36
	v_pk_mul_f32 v[132:133], v[130:131], v[58:59] op_sel:[1,1] op_sel_hi:[0,1]
	s_delay_alu instid0(VALU_DEP_1) | instskip(SKIP_1) | instid1(VALU_DEP_1)
	v_pk_fma_f32 v[128:129], v[130:131], v[58:59], v[132:133] op_sel_hi:[1,0,1] neg_lo:[0,0,1] neg_hi:[0,0,1]
	v_pk_fma_f32 v[130:131], v[130:131], v[58:59], v[132:133] op_sel_hi:[1,0,1]
	v_dual_mov_b32 v58, v128 :: v_dual_mov_b32 v59, v131
	s_wait_dscnt 0x0
	s_delay_alu instid0(VALU_DEP_2) | instskip(NEXT) | instid1(VALU_DEP_1)
	v_pk_mul_f32 v[132:133], v[140:141], v[130:131] op_sel:[0,1]
	v_pk_fma_f32 v[144:145], v[140:141], v[128:129], v[132:133] op_sel:[0,0,1] op_sel_hi:[1,1,0] neg_lo:[0,0,1] neg_hi:[0,0,1]
	v_pk_fma_f32 v[132:133], v[140:141], v[128:129], v[132:133] op_sel:[0,0,1] op_sel_hi:[1,0,0]
	s_delay_alu instid0(VALU_DEP_1) | instskip(SKIP_1) | instid1(VALU_DEP_1)
	v_mov_b32_e32 v145, v133
	v_pk_mul_f32 v[132:133], v[142:143], v[130:131] op_sel:[0,1]
	v_pk_fma_f32 v[140:141], v[142:143], v[128:129], v[132:133] op_sel:[0,0,1] op_sel_hi:[1,1,0] neg_lo:[0,0,1] neg_hi:[0,0,1]
	v_pk_fma_f32 v[132:133], v[142:143], v[128:129], v[132:133] op_sel:[0,0,1] op_sel_hi:[1,0,0]
	s_delay_alu instid0(VALU_DEP_1) | instskip(SKIP_1) | instid1(VALU_DEP_2)
	v_mov_b32_e32 v141, v133
	v_pk_add_f32 v[54:55], v[54:55], v[144:145] neg_lo:[0,1] neg_hi:[0,1]
	v_pk_add_f32 v[52:53], v[52:53], v[140:141] neg_lo:[0,1] neg_hi:[0,1]
	ds_load_2addr_b64 v[140:143], v135 offset0:37 offset1:38
	s_wait_dscnt 0x0
	v_pk_mul_f32 v[132:133], v[140:141], v[130:131] op_sel:[0,1]
	s_delay_alu instid0(VALU_DEP_1) | instskip(SKIP_2) | instid1(VALU_DEP_2)
	v_pk_fma_f32 v[144:145], v[140:141], v[128:129], v[132:133] op_sel:[0,0,1] op_sel_hi:[1,1,0] neg_lo:[0,0,1] neg_hi:[0,0,1]
	v_pk_fma_f32 v[132:133], v[140:141], v[128:129], v[132:133] op_sel:[0,0,1] op_sel_hi:[1,0,0]
	v_dual_mul_f32 v140, v143, v131 :: v_dual_mov_b32 v132, v143
	v_dual_mov_b32 v145, v133 :: v_dual_mov_b32 v133, v142
	s_delay_alu instid0(VALU_DEP_2) | instskip(SKIP_1) | instid1(VALU_DEP_3)
	v_pk_fma_f32 v[140:141], v[142:143], v[58:59], v[140:141] op_sel_hi:[1,1,0] neg_lo:[0,0,1] neg_hi:[0,0,1]
	v_mul_f32_e32 v142, v143, v128
	v_pk_add_f32 v[48:49], v[48:49], v[144:145] neg_lo:[0,1] neg_hi:[0,1]
	s_delay_alu instid0(VALU_DEP_2) | instskip(NEXT) | instid1(VALU_DEP_1)
	v_pk_fma_f32 v[132:133], v[132:133], v[58:59], v[142:143] op_sel_hi:[1,1,0]
	v_mov_b32_e32 v141, v133
	s_delay_alu instid0(VALU_DEP_1) | instskip(SKIP_3) | instid1(VALU_DEP_1)
	v_pk_add_f32 v[50:51], v[50:51], v[140:141] neg_lo:[0,1] neg_hi:[0,1]
	ds_load_2addr_b64 v[140:143], v135 offset0:39 offset1:40
	s_wait_dscnt 0x0
	v_pk_mul_f32 v[132:133], v[140:141], v[130:131] op_sel:[0,1]
	v_pk_fma_f32 v[144:145], v[140:141], v[128:129], v[132:133] op_sel:[0,0,1] op_sel_hi:[1,1,0] neg_lo:[0,0,1] neg_hi:[0,0,1]
	v_pk_fma_f32 v[132:133], v[140:141], v[128:129], v[132:133] op_sel:[0,0,1] op_sel_hi:[1,0,0]
	s_delay_alu instid0(VALU_DEP_1) | instskip(SKIP_1) | instid1(VALU_DEP_1)
	v_mov_b32_e32 v145, v133
	v_pk_mul_f32 v[132:133], v[142:143], v[130:131] op_sel:[0,1]
	v_pk_fma_f32 v[140:141], v[142:143], v[128:129], v[132:133] op_sel:[0,0,1] op_sel_hi:[1,1,0] neg_lo:[0,0,1] neg_hi:[0,0,1]
	v_pk_fma_f32 v[132:133], v[142:143], v[128:129], v[132:133] op_sel:[0,0,1] op_sel_hi:[1,0,0]
	s_delay_alu instid0(VALU_DEP_1) | instskip(SKIP_1) | instid1(VALU_DEP_2)
	v_mov_b32_e32 v141, v133
	v_pk_add_f32 v[46:47], v[46:47], v[144:145] neg_lo:[0,1] neg_hi:[0,1]
	v_pk_add_f32 v[42:43], v[42:43], v[140:141] neg_lo:[0,1] neg_hi:[0,1]
	ds_load_2addr_b64 v[140:143], v135 offset0:41 offset1:42
	s_wait_dscnt 0x0
	v_pk_mul_f32 v[132:133], v[140:141], v[130:131] op_sel:[0,1]
	s_delay_alu instid0(VALU_DEP_1) | instskip(SKIP_1) | instid1(VALU_DEP_1)
	v_pk_fma_f32 v[144:145], v[140:141], v[128:129], v[132:133] op_sel:[0,0,1] op_sel_hi:[1,1,0] neg_lo:[0,0,1] neg_hi:[0,0,1]
	v_pk_fma_f32 v[132:133], v[140:141], v[128:129], v[132:133] op_sel:[0,0,1] op_sel_hi:[1,0,0]
	v_mov_b32_e32 v145, v133
	v_pk_mul_f32 v[132:133], v[142:143], v[130:131] op_sel:[0,1]
	s_delay_alu instid0(VALU_DEP_1) | instskip(SKIP_1) | instid1(VALU_DEP_1)
	v_pk_fma_f32 v[140:141], v[142:143], v[128:129], v[132:133] op_sel:[0,0,1] op_sel_hi:[1,1,0] neg_lo:[0,0,1] neg_hi:[0,0,1]
	v_pk_fma_f32 v[132:133], v[142:143], v[128:129], v[132:133] op_sel:[0,0,1] op_sel_hi:[1,0,0]
	v_mov_b32_e32 v141, v133
	v_pk_add_f32 v[38:39], v[38:39], v[144:145] neg_lo:[0,1] neg_hi:[0,1]
	s_delay_alu instid0(VALU_DEP_2) | instskip(SKIP_3) | instid1(VALU_DEP_1)
	v_pk_add_f32 v[40:41], v[40:41], v[140:141] neg_lo:[0,1] neg_hi:[0,1]
	ds_load_2addr_b64 v[140:143], v135 offset0:43 offset1:44
	s_wait_dscnt 0x0
	v_dual_mul_f32 v132, v141, v131 :: v_dual_mul_f32 v144, v141, v128
	v_pk_fma_f32 v[132:133], v[140:141], v[58:59], v[132:133] op_sel_hi:[1,1,0] neg_lo:[0,0,1] neg_hi:[0,0,1]
	s_delay_alu instid0(VALU_DEP_2) | instskip(NEXT) | instid1(VALU_DEP_1)
	v_pk_fma_f32 v[140:141], v[140:141], v[58:59], v[144:145] op_sel:[1,0,0] op_sel_hi:[0,1,0]
	v_mov_b32_e32 v133, v141
	s_delay_alu instid0(VALU_DEP_1) | instskip(SKIP_1) | instid1(VALU_DEP_1)
	v_pk_add_f32 v[36:37], v[36:37], v[132:133] neg_lo:[0,1] neg_hi:[0,1]
	v_pk_mul_f32 v[132:133], v[142:143], v[130:131] op_sel:[0,1]
	v_pk_fma_f32 v[140:141], v[142:143], v[128:129], v[132:133] op_sel:[0,0,1] op_sel_hi:[1,1,0] neg_lo:[0,0,1] neg_hi:[0,0,1]
	v_pk_fma_f32 v[132:133], v[142:143], v[128:129], v[132:133] op_sel:[0,0,1] op_sel_hi:[1,0,0]
	s_delay_alu instid0(VALU_DEP_1) | instskip(NEXT) | instid1(VALU_DEP_1)
	v_mov_b32_e32 v141, v133
	v_pk_add_f32 v[34:35], v[34:35], v[140:141] neg_lo:[0,1] neg_hi:[0,1]
	ds_load_2addr_b64 v[140:143], v135 offset0:45 offset1:46
	s_wait_dscnt 0x0
	v_pk_mul_f32 v[132:133], v[140:141], v[130:131] op_sel:[0,1]
	s_delay_alu instid0(VALU_DEP_1) | instskip(SKIP_1) | instid1(VALU_DEP_1)
	v_pk_fma_f32 v[144:145], v[140:141], v[128:129], v[132:133] op_sel:[0,0,1] op_sel_hi:[1,1,0] neg_lo:[0,0,1] neg_hi:[0,0,1]
	v_pk_fma_f32 v[132:133], v[140:141], v[128:129], v[132:133] op_sel:[0,0,1] op_sel_hi:[1,0,0]
	v_mov_b32_e32 v145, v133
	v_pk_mul_f32 v[132:133], v[142:143], v[130:131] op_sel:[0,1]
	s_delay_alu instid0(VALU_DEP_2) | instskip(NEXT) | instid1(VALU_DEP_2)
	v_pk_add_f32 v[30:31], v[30:31], v[144:145] neg_lo:[0,1] neg_hi:[0,1]
	v_pk_fma_f32 v[140:141], v[142:143], v[128:129], v[132:133] op_sel:[0,0,1] op_sel_hi:[1,1,0] neg_lo:[0,0,1] neg_hi:[0,0,1]
	v_pk_fma_f32 v[132:133], v[142:143], v[128:129], v[132:133] op_sel:[0,0,1] op_sel_hi:[1,0,0]
	s_delay_alu instid0(VALU_DEP_1) | instskip(NEXT) | instid1(VALU_DEP_1)
	v_mov_b32_e32 v141, v133
	v_pk_add_f32 v[32:33], v[32:33], v[140:141] neg_lo:[0,1] neg_hi:[0,1]
	ds_load_2addr_b64 v[140:143], v135 offset0:47 offset1:48
	s_wait_dscnt 0x0
	v_pk_mul_f32 v[132:133], v[140:141], v[130:131] op_sel:[0,1]
	s_delay_alu instid0(VALU_DEP_1) | instskip(SKIP_2) | instid1(VALU_DEP_2)
	v_pk_fma_f32 v[144:145], v[140:141], v[128:129], v[132:133] op_sel:[0,0,1] op_sel_hi:[1,1,0] neg_lo:[0,0,1] neg_hi:[0,0,1]
	v_pk_fma_f32 v[132:133], v[140:141], v[128:129], v[132:133] op_sel:[0,0,1] op_sel_hi:[1,0,0]
	v_dual_mul_f32 v140, v143, v131 :: v_dual_mov_b32 v132, v143
	v_dual_mov_b32 v145, v133 :: v_dual_mov_b32 v133, v142
	s_delay_alu instid0(VALU_DEP_2) | instskip(SKIP_1) | instid1(VALU_DEP_3)
	v_pk_fma_f32 v[140:141], v[142:143], v[58:59], v[140:141] op_sel_hi:[1,1,0] neg_lo:[0,0,1] neg_hi:[0,0,1]
	v_mul_f32_e32 v142, v143, v128
	v_pk_add_f32 v[28:29], v[28:29], v[144:145] neg_lo:[0,1] neg_hi:[0,1]
	s_delay_alu instid0(VALU_DEP_2) | instskip(NEXT) | instid1(VALU_DEP_1)
	v_pk_fma_f32 v[132:133], v[132:133], v[58:59], v[142:143] op_sel_hi:[1,1,0]
	v_mov_b32_e32 v141, v133
	s_delay_alu instid0(VALU_DEP_1) | instskip(SKIP_3) | instid1(VALU_DEP_1)
	v_pk_add_f32 v[26:27], v[26:27], v[140:141] neg_lo:[0,1] neg_hi:[0,1]
	ds_load_2addr_b64 v[140:143], v135 offset0:49 offset1:50
	s_wait_dscnt 0x0
	v_pk_mul_f32 v[132:133], v[140:141], v[130:131] op_sel:[0,1]
	v_pk_fma_f32 v[144:145], v[140:141], v[128:129], v[132:133] op_sel:[0,0,1] op_sel_hi:[1,1,0] neg_lo:[0,0,1] neg_hi:[0,0,1]
	v_pk_fma_f32 v[132:133], v[140:141], v[128:129], v[132:133] op_sel:[0,0,1] op_sel_hi:[1,0,0]
	s_delay_alu instid0(VALU_DEP_1) | instskip(SKIP_1) | instid1(VALU_DEP_1)
	v_mov_b32_e32 v145, v133
	v_pk_mul_f32 v[132:133], v[142:143], v[130:131] op_sel:[0,1]
	v_pk_fma_f32 v[140:141], v[142:143], v[128:129], v[132:133] op_sel:[0,0,1] op_sel_hi:[1,1,0] neg_lo:[0,0,1] neg_hi:[0,0,1]
	v_pk_fma_f32 v[132:133], v[142:143], v[128:129], v[132:133] op_sel:[0,0,1] op_sel_hi:[1,0,0]
	s_delay_alu instid0(VALU_DEP_1) | instskip(SKIP_1) | instid1(VALU_DEP_2)
	v_mov_b32_e32 v141, v133
	v_pk_add_f32 v[22:23], v[22:23], v[144:145] neg_lo:[0,1] neg_hi:[0,1]
	v_pk_add_f32 v[24:25], v[24:25], v[140:141] neg_lo:[0,1] neg_hi:[0,1]
	ds_load_2addr_b64 v[140:143], v135 offset0:51 offset1:52
	s_wait_dscnt 0x0
	v_pk_mul_f32 v[132:133], v[140:141], v[130:131] op_sel:[0,1]
	s_delay_alu instid0(VALU_DEP_1) | instskip(SKIP_1) | instid1(VALU_DEP_1)
	v_pk_fma_f32 v[144:145], v[140:141], v[128:129], v[132:133] op_sel:[0,0,1] op_sel_hi:[1,1,0] neg_lo:[0,0,1] neg_hi:[0,0,1]
	v_pk_fma_f32 v[132:133], v[140:141], v[128:129], v[132:133] op_sel:[0,0,1] op_sel_hi:[1,0,0]
	v_mov_b32_e32 v145, v133
	v_pk_mul_f32 v[132:133], v[142:143], v[130:131] op_sel:[0,1]
	s_delay_alu instid0(VALU_DEP_1) | instskip(SKIP_1) | instid1(VALU_DEP_1)
	v_pk_fma_f32 v[140:141], v[142:143], v[128:129], v[132:133] op_sel:[0,0,1] op_sel_hi:[1,1,0] neg_lo:[0,0,1] neg_hi:[0,0,1]
	v_pk_fma_f32 v[132:133], v[142:143], v[128:129], v[132:133] op_sel:[0,0,1] op_sel_hi:[1,0,0]
	v_mov_b32_e32 v141, v133
	v_pk_add_f32 v[44:45], v[44:45], v[144:145] neg_lo:[0,1] neg_hi:[0,1]
	s_delay_alu instid0(VALU_DEP_2) | instskip(SKIP_3) | instid1(VALU_DEP_1)
	v_pk_add_f32 v[16:17], v[16:17], v[140:141] neg_lo:[0,1] neg_hi:[0,1]
	ds_load_2addr_b64 v[140:143], v135 offset0:53 offset1:54
	s_wait_dscnt 0x0
	v_dual_mul_f32 v132, v141, v131 :: v_dual_mul_f32 v144, v141, v128
	v_pk_fma_f32 v[132:133], v[140:141], v[58:59], v[132:133] op_sel_hi:[1,1,0] neg_lo:[0,0,1] neg_hi:[0,0,1]
	s_delay_alu instid0(VALU_DEP_2) | instskip(NEXT) | instid1(VALU_DEP_1)
	v_pk_fma_f32 v[140:141], v[140:141], v[58:59], v[144:145] op_sel:[1,0,0] op_sel_hi:[0,1,0]
	v_mov_b32_e32 v133, v141
	s_delay_alu instid0(VALU_DEP_1) | instskip(SKIP_1) | instid1(VALU_DEP_1)
	v_pk_add_f32 v[12:13], v[12:13], v[132:133] neg_lo:[0,1] neg_hi:[0,1]
	v_pk_mul_f32 v[132:133], v[142:143], v[130:131] op_sel:[0,1]
	v_pk_fma_f32 v[140:141], v[142:143], v[128:129], v[132:133] op_sel:[0,0,1] op_sel_hi:[1,1,0] neg_lo:[0,0,1] neg_hi:[0,0,1]
	v_pk_fma_f32 v[132:133], v[142:143], v[128:129], v[132:133] op_sel:[0,0,1] op_sel_hi:[1,0,0]
	s_delay_alu instid0(VALU_DEP_1) | instskip(NEXT) | instid1(VALU_DEP_1)
	v_mov_b32_e32 v141, v133
	v_pk_add_f32 v[14:15], v[14:15], v[140:141] neg_lo:[0,1] neg_hi:[0,1]
	ds_load_2addr_b64 v[140:143], v135 offset0:55 offset1:56
	s_wait_dscnt 0x0
	v_pk_mul_f32 v[132:133], v[140:141], v[130:131] op_sel:[0,1]
	s_delay_alu instid0(VALU_DEP_1) | instskip(SKIP_1) | instid1(VALU_DEP_1)
	v_pk_fma_f32 v[144:145], v[140:141], v[128:129], v[132:133] op_sel:[0,0,1] op_sel_hi:[1,1,0] neg_lo:[0,0,1] neg_hi:[0,0,1]
	v_pk_fma_f32 v[132:133], v[140:141], v[128:129], v[132:133] op_sel:[0,0,1] op_sel_hi:[1,0,0]
	v_mov_b32_e32 v145, v133
	v_pk_mul_f32 v[132:133], v[142:143], v[130:131] op_sel:[0,1]
	s_delay_alu instid0(VALU_DEP_2) | instskip(NEXT) | instid1(VALU_DEP_2)
	v_pk_add_f32 v[10:11], v[10:11], v[144:145] neg_lo:[0,1] neg_hi:[0,1]
	v_pk_fma_f32 v[140:141], v[142:143], v[128:129], v[132:133] op_sel:[0,0,1] op_sel_hi:[1,1,0] neg_lo:[0,0,1] neg_hi:[0,0,1]
	v_pk_fma_f32 v[132:133], v[142:143], v[128:129], v[132:133] op_sel:[0,0,1] op_sel_hi:[1,0,0]
	s_delay_alu instid0(VALU_DEP_1) | instskip(NEXT) | instid1(VALU_DEP_1)
	v_mov_b32_e32 v141, v133
	v_pk_add_f32 v[6:7], v[6:7], v[140:141] neg_lo:[0,1] neg_hi:[0,1]
	ds_load_2addr_b64 v[140:143], v135 offset0:57 offset1:58
	s_wait_dscnt 0x0
	v_pk_mul_f32 v[132:133], v[140:141], v[130:131] op_sel:[0,1]
	s_delay_alu instid0(VALU_DEP_1) | instskip(SKIP_2) | instid1(VALU_DEP_2)
	v_pk_fma_f32 v[144:145], v[140:141], v[128:129], v[132:133] op_sel:[0,0,1] op_sel_hi:[1,1,0] neg_lo:[0,0,1] neg_hi:[0,0,1]
	v_pk_fma_f32 v[132:133], v[140:141], v[128:129], v[132:133] op_sel:[0,0,1] op_sel_hi:[1,0,0]
	v_dual_mul_f32 v140, v143, v131 :: v_dual_mov_b32 v132, v143
	v_dual_mov_b32 v145, v133 :: v_dual_mov_b32 v133, v142
	s_delay_alu instid0(VALU_DEP_2) | instskip(SKIP_1) | instid1(VALU_DEP_3)
	v_pk_fma_f32 v[140:141], v[142:143], v[58:59], v[140:141] op_sel_hi:[1,1,0] neg_lo:[0,0,1] neg_hi:[0,0,1]
	v_mul_f32_e32 v142, v143, v128
	v_pk_add_f32 v[20:21], v[20:21], v[144:145] neg_lo:[0,1] neg_hi:[0,1]
	s_delay_alu instid0(VALU_DEP_2) | instskip(NEXT) | instid1(VALU_DEP_1)
	v_pk_fma_f32 v[132:133], v[132:133], v[58:59], v[142:143] op_sel_hi:[1,1,0]
	v_mov_b32_e32 v141, v133
	s_delay_alu instid0(VALU_DEP_1) | instskip(SKIP_4) | instid1(VALU_DEP_2)
	v_pk_add_f32 v[18:19], v[18:19], v[140:141] neg_lo:[0,1] neg_hi:[0,1]
	ds_load_2addr_b64 v[140:143], v135 offset0:59 offset1:60
	s_wait_dscnt 0x0
	v_pk_mul_f32 v[132:133], v[140:141], v[130:131] op_sel:[0,1]
	v_pk_mul_f32 v[130:131], v[142:143], v[130:131] op_sel:[0,1]
	v_pk_fma_f32 v[144:145], v[140:141], v[128:129], v[132:133] op_sel:[0,0,1] op_sel_hi:[1,1,0] neg_lo:[0,0,1] neg_hi:[0,0,1]
	v_pk_fma_f32 v[132:133], v[140:141], v[128:129], v[132:133] op_sel:[0,0,1] op_sel_hi:[1,0,0]
	s_delay_alu instid0(VALU_DEP_1) | instskip(NEXT) | instid1(VALU_DEP_4)
	v_mov_b32_e32 v145, v133
	v_pk_fma_f32 v[132:133], v[142:143], v[128:129], v[130:131] op_sel:[0,0,1] op_sel_hi:[1,1,0] neg_lo:[0,0,1] neg_hi:[0,0,1]
	v_pk_fma_f32 v[128:129], v[142:143], v[128:129], v[130:131] op_sel:[0,0,1] op_sel_hi:[1,0,0]
	s_delay_alu instid0(VALU_DEP_1) | instskip(NEXT) | instid1(VALU_DEP_4)
	v_mov_b32_e32 v133, v129
	v_pk_add_f32 v[8:9], v[8:9], v[144:145] neg_lo:[0,1] neg_hi:[0,1]
	s_delay_alu instid0(VALU_DEP_2)
	v_pk_add_f32 v[126:127], v[126:127], v[132:133] neg_lo:[0,1] neg_hi:[0,1]
.LBB120_734:
	s_or_b32 exec_lo, exec_lo, s0
	v_lshl_add_u32 v128, v138, 3, v135
	s_barrier_signal -1
	s_barrier_wait -1
	ds_store_b64 v128, v[54:55]
	s_wait_dscnt 0x0
	s_barrier_signal -1
	s_barrier_wait -1
	ds_load_b64 v[130:131], v135 offset:280
	v_mov_b32_e32 v128, 35
	s_cmp_lt_i32 s18, 37
	s_cbranch_scc1 .LBB120_737
; %bb.735:
	v_add3_u32 v129, v136, 0, 0x120
	v_mov_b32_e32 v128, 35
	s_mov_b32 s0, 36
.LBB120_736:                            ; =>This Inner Loop Header: Depth=1
	ds_load_b64 v[132:133], v129
	s_wait_dscnt 0x1
	v_cmp_gt_f32_e32 vcc_lo, 0, v130
	v_cndmask_b32_e64 v140, v130, -v130, vcc_lo
	v_cmp_gt_f32_e32 vcc_lo, 0, v131
	v_cndmask_b32_e64 v142, v131, -v131, vcc_lo
	s_wait_dscnt 0x0
	v_cmp_gt_f32_e32 vcc_lo, 0, v132
	v_cndmask_b32_e64 v141, v132, -v132, vcc_lo
	v_cmp_gt_f32_e32 vcc_lo, 0, v133
	v_cndmask_b32_e64 v143, v133, -v133, vcc_lo
	s_delay_alu instid0(VALU_DEP_1) | instskip(NEXT) | instid1(VALU_DEP_1)
	v_pk_add_f32 v[140:141], v[140:141], v[142:143]
	v_cmp_lt_f32_e32 vcc_lo, v140, v141
	v_dual_cndmask_b32 v130, v130, v132 :: v_dual_add_nc_u32 v129, 8, v129
	v_cndmask_b32_e32 v131, v131, v133, vcc_lo
	v_cndmask_b32_e64 v128, v128, s0, vcc_lo
	s_add_co_i32 s0, s0, 1
	s_delay_alu instid0(SALU_CYCLE_1)
	s_cmp_lg_u32 s18, s0
	s_cbranch_scc1 .LBB120_736
.LBB120_737:
	s_wait_dscnt 0x0
	v_cmp_eq_f32_e32 vcc_lo, 0, v130
	v_cmp_eq_f32_e64 s0, 0, v131
	s_and_b32 s0, vcc_lo, s0
	s_delay_alu instid0(SALU_CYCLE_1) | instskip(NEXT) | instid1(SALU_CYCLE_1)
	s_and_saveexec_b32 s1, s0
	s_xor_b32 s0, exec_lo, s1
; %bb.738:
	v_cmp_ne_u32_e32 vcc_lo, 0, v134
	v_cndmask_b32_e32 v134, 36, v134, vcc_lo
; %bb.739:
	s_and_not1_saveexec_b32 s0, s0
	s_cbranch_execz .LBB120_745
; %bb.740:
	v_cmp_ngt_f32_e64 s1, |v130|, |v131|
	s_and_saveexec_b32 s12, s1
	s_delay_alu instid0(SALU_CYCLE_1)
	s_xor_b32 s1, exec_lo, s12
	s_cbranch_execz .LBB120_742
; %bb.741:
	v_div_scale_f32 v129, null, v131, v131, v130
	v_div_scale_f32 v139, vcc_lo, v130, v131, v130
	s_delay_alu instid0(VALU_DEP_2) | instskip(SKIP_1) | instid1(TRANS32_DEP_1)
	v_rcp_f32_e32 v132, v129
	v_nop
	v_fma_f32 v133, -v129, v132, 1.0
	s_delay_alu instid0(VALU_DEP_1) | instskip(NEXT) | instid1(VALU_DEP_1)
	v_fmac_f32_e32 v132, v133, v132
	v_mul_f32_e32 v133, v139, v132
	s_delay_alu instid0(VALU_DEP_1) | instskip(NEXT) | instid1(VALU_DEP_1)
	v_fma_f32 v140, -v129, v133, v139
	v_fmac_f32_e32 v133, v140, v132
	s_delay_alu instid0(VALU_DEP_1) | instskip(NEXT) | instid1(VALU_DEP_1)
	v_fma_f32 v129, -v129, v133, v139
	v_div_fmas_f32 v129, v129, v132, v133
	s_delay_alu instid0(VALU_DEP_1) | instskip(NEXT) | instid1(VALU_DEP_1)
	v_div_fixup_f32 v129, v129, v131, v130
	v_fmac_f32_e32 v131, v130, v129
	s_delay_alu instid0(VALU_DEP_1) | instskip(SKIP_1) | instid1(VALU_DEP_2)
	v_div_scale_f32 v130, null, v131, v131, 1.0
	v_div_scale_f32 v139, vcc_lo, 1.0, v131, 1.0
	v_rcp_f32_e32 v132, v130
	v_nop
	s_delay_alu instid0(TRANS32_DEP_1) | instskip(NEXT) | instid1(VALU_DEP_1)
	v_fma_f32 v133, -v130, v132, 1.0
	v_fmac_f32_e32 v132, v133, v132
	s_delay_alu instid0(VALU_DEP_1) | instskip(NEXT) | instid1(VALU_DEP_1)
	v_mul_f32_e32 v133, v139, v132
	v_fma_f32 v140, -v130, v133, v139
	s_delay_alu instid0(VALU_DEP_1) | instskip(NEXT) | instid1(VALU_DEP_1)
	v_fmac_f32_e32 v133, v140, v132
	v_fma_f32 v130, -v130, v133, v139
	s_delay_alu instid0(VALU_DEP_1) | instskip(NEXT) | instid1(VALU_DEP_1)
	v_div_fmas_f32 v130, v130, v132, v133
	v_div_fixup_f32 v131, v130, v131, 1.0
	s_delay_alu instid0(VALU_DEP_1)
	v_mul_f32_e32 v130, v129, v131
	v_xor_b32_e32 v131, 0x80000000, v131
.LBB120_742:
	s_and_not1_saveexec_b32 s1, s1
	s_cbranch_execz .LBB120_744
; %bb.743:
	s_delay_alu instid0(VALU_DEP_1) | instskip(SKIP_1) | instid1(VALU_DEP_2)
	v_div_scale_f32 v129, null, v130, v130, v131
	v_div_scale_f32 v139, vcc_lo, v131, v130, v131
	v_rcp_f32_e32 v132, v129
	v_nop
	s_delay_alu instid0(TRANS32_DEP_1) | instskip(NEXT) | instid1(VALU_DEP_1)
	v_fma_f32 v133, -v129, v132, 1.0
	v_fmac_f32_e32 v132, v133, v132
	s_delay_alu instid0(VALU_DEP_1) | instskip(NEXT) | instid1(VALU_DEP_1)
	v_mul_f32_e32 v133, v139, v132
	v_fma_f32 v140, -v129, v133, v139
	s_delay_alu instid0(VALU_DEP_1) | instskip(NEXT) | instid1(VALU_DEP_1)
	v_fmac_f32_e32 v133, v140, v132
	v_fma_f32 v129, -v129, v133, v139
	s_delay_alu instid0(VALU_DEP_1) | instskip(NEXT) | instid1(VALU_DEP_1)
	v_div_fmas_f32 v129, v129, v132, v133
	v_div_fixup_f32 v129, v129, v130, v131
	s_delay_alu instid0(VALU_DEP_1) | instskip(NEXT) | instid1(VALU_DEP_1)
	v_fmac_f32_e32 v130, v131, v129
	v_div_scale_f32 v131, null, v130, v130, 1.0
	s_delay_alu instid0(VALU_DEP_1) | instskip(SKIP_1) | instid1(TRANS32_DEP_1)
	v_rcp_f32_e32 v132, v131
	v_nop
	v_fma_f32 v133, -v131, v132, 1.0
	s_delay_alu instid0(VALU_DEP_1) | instskip(SKIP_1) | instid1(VALU_DEP_1)
	v_fmac_f32_e32 v132, v133, v132
	v_div_scale_f32 v133, vcc_lo, 1.0, v130, 1.0
	v_mul_f32_e32 v139, v133, v132
	s_delay_alu instid0(VALU_DEP_1) | instskip(NEXT) | instid1(VALU_DEP_1)
	v_fma_f32 v140, -v131, v139, v133
	v_fmac_f32_e32 v139, v140, v132
	s_delay_alu instid0(VALU_DEP_1) | instskip(NEXT) | instid1(VALU_DEP_1)
	v_fma_f32 v131, -v131, v139, v133
	v_div_fmas_f32 v131, v131, v132, v139
	s_delay_alu instid0(VALU_DEP_1) | instskip(NEXT) | instid1(VALU_DEP_1)
	v_div_fixup_f32 v130, v131, v130, 1.0
	v_mul_f32_e64 v131, v129, -v130
.LBB120_744:
	s_or_b32 exec_lo, exec_lo, s1
.LBB120_745:
	s_delay_alu instid0(SALU_CYCLE_1) | instskip(NEXT) | instid1(SALU_CYCLE_1)
	s_or_b32 exec_lo, exec_lo, s0
	s_mov_b32 s0, exec_lo
	v_cmpx_ne_u32_e64 v138, v128
	s_xor_b32 s0, exec_lo, s0
	s_cbranch_execz .LBB120_751
; %bb.746:
	s_mov_b32 s1, exec_lo
	v_cmpx_eq_u32_e32 35, v138
	s_cbranch_execz .LBB120_750
; %bb.747:
	v_cmp_ne_u32_e32 vcc_lo, 35, v128
	s_xor_b32 s12, s16, -1
	s_delay_alu instid0(SALU_CYCLE_1) | instskip(NEXT) | instid1(SALU_CYCLE_1)
	s_and_b32 s13, s12, vcc_lo
	s_and_saveexec_b32 s12, s13
	s_cbranch_execz .LBB120_749
; %bb.748:
	v_ashrrev_i32_e32 v129, 31, v128
	s_delay_alu instid0(VALU_DEP_1)
	v_lshl_add_u64 v[132:133], v[128:129], 2, v[4:5]
	s_clause 0x1
	global_load_b32 v129, v[132:133], off
	global_load_b32 v137, v[4:5], off offset:140
	s_wait_loadcnt 0x1
	global_store_b32 v[4:5], v129, off offset:140
	s_wait_loadcnt 0x0
	global_store_b32 v[132:133], v137, off
.LBB120_749:
	s_wait_xcnt 0x0
	s_or_b32 exec_lo, exec_lo, s12
	v_dual_mov_b32 v138, v128 :: v_dual_mov_b32 v137, v128
.LBB120_750:
	s_or_b32 exec_lo, exec_lo, s1
.LBB120_751:
	s_and_not1_saveexec_b32 s0, s0
	s_cbranch_execz .LBB120_753
; %bb.752:
	v_dual_mov_b32 v128, v52 :: v_dual_mov_b32 v129, v53
	v_dual_mov_b32 v132, v48 :: v_dual_mov_b32 v133, v49
	;; [unrolled: 1-line block ×4, first 2 shown]
	ds_store_2addr_b64 v135, v[128:129], v[132:133] offset0:36 offset1:37
	ds_store_2addr_b64 v135, v[138:139], v[140:141] offset0:38 offset1:39
	v_dual_mov_b32 v128, v42 :: v_dual_mov_b32 v129, v43
	v_dual_mov_b32 v132, v38 :: v_dual_mov_b32 v133, v39
	;; [unrolled: 1-line block ×12, first 2 shown]
	ds_store_2addr_b64 v135, v[128:129], v[132:133] offset0:40 offset1:41
	ds_store_2addr_b64 v135, v[138:139], v[140:141] offset0:42 offset1:43
	;; [unrolled: 1-line block ×6, first 2 shown]
	v_dual_mov_b32 v128, v16 :: v_dual_mov_b32 v129, v17
	v_dual_mov_b32 v132, v12 :: v_dual_mov_b32 v133, v13
	;; [unrolled: 1-line block ×8, first 2 shown]
	v_mov_b32_e32 v151, v9
	ds_store_2addr_b64 v135, v[128:129], v[132:133] offset0:52 offset1:53
	ds_store_2addr_b64 v135, v[140:141], v[142:143] offset0:54 offset1:55
	;; [unrolled: 1-line block ×4, first 2 shown]
	ds_store_b64 v135, v[126:127] offset:480
.LBB120_753:
	s_or_b32 exec_lo, exec_lo, s0
	s_delay_alu instid0(SALU_CYCLE_1)
	s_mov_b32 s0, exec_lo
	s_wait_storecnt_dscnt 0x0
	s_barrier_signal -1
	s_barrier_wait -1
	v_cmpx_lt_i32_e32 35, v138
	s_cbranch_execz .LBB120_755
; %bb.754:
	ds_load_2addr_b64 v[140:143], v135 offset0:36 offset1:37
	v_pk_mul_f32 v[132:133], v[130:131], v[54:55] op_sel:[1,1] op_sel_hi:[0,1]
	s_delay_alu instid0(VALU_DEP_1) | instskip(SKIP_1) | instid1(VALU_DEP_1)
	v_pk_fma_f32 v[128:129], v[130:131], v[54:55], v[132:133] op_sel_hi:[1,0,1] neg_lo:[0,0,1] neg_hi:[0,0,1]
	v_pk_fma_f32 v[130:131], v[130:131], v[54:55], v[132:133] op_sel_hi:[1,0,1]
	v_dual_mov_b32 v54, v128 :: v_dual_mov_b32 v55, v131
	s_wait_dscnt 0x0
	s_delay_alu instid0(VALU_DEP_2) | instskip(NEXT) | instid1(VALU_DEP_1)
	v_pk_mul_f32 v[132:133], v[140:141], v[130:131] op_sel:[0,1]
	v_pk_fma_f32 v[144:145], v[140:141], v[128:129], v[132:133] op_sel:[0,0,1] op_sel_hi:[1,1,0] neg_lo:[0,0,1] neg_hi:[0,0,1]
	v_pk_fma_f32 v[132:133], v[140:141], v[128:129], v[132:133] op_sel:[0,0,1] op_sel_hi:[1,0,0]
	s_delay_alu instid0(VALU_DEP_1) | instskip(SKIP_1) | instid1(VALU_DEP_1)
	v_mov_b32_e32 v145, v133
	v_pk_mul_f32 v[132:133], v[142:143], v[130:131] op_sel:[0,1]
	v_pk_fma_f32 v[140:141], v[142:143], v[128:129], v[132:133] op_sel:[0,0,1] op_sel_hi:[1,1,0] neg_lo:[0,0,1] neg_hi:[0,0,1]
	v_pk_fma_f32 v[132:133], v[142:143], v[128:129], v[132:133] op_sel:[0,0,1] op_sel_hi:[1,0,0]
	s_delay_alu instid0(VALU_DEP_1) | instskip(SKIP_1) | instid1(VALU_DEP_2)
	v_mov_b32_e32 v141, v133
	v_pk_add_f32 v[52:53], v[52:53], v[144:145] neg_lo:[0,1] neg_hi:[0,1]
	v_pk_add_f32 v[48:49], v[48:49], v[140:141] neg_lo:[0,1] neg_hi:[0,1]
	ds_load_2addr_b64 v[140:143], v135 offset0:38 offset1:39
	s_wait_dscnt 0x0
	v_pk_mul_f32 v[132:133], v[140:141], v[130:131] op_sel:[0,1]
	s_delay_alu instid0(VALU_DEP_1) | instskip(SKIP_2) | instid1(VALU_DEP_2)
	v_pk_fma_f32 v[144:145], v[140:141], v[128:129], v[132:133] op_sel:[0,0,1] op_sel_hi:[1,1,0] neg_lo:[0,0,1] neg_hi:[0,0,1]
	v_pk_fma_f32 v[132:133], v[140:141], v[128:129], v[132:133] op_sel:[0,0,1] op_sel_hi:[1,0,0]
	v_dual_mul_f32 v140, v143, v131 :: v_dual_mov_b32 v132, v143
	v_dual_mov_b32 v145, v133 :: v_dual_mov_b32 v133, v142
	s_delay_alu instid0(VALU_DEP_2) | instskip(SKIP_1) | instid1(VALU_DEP_3)
	v_pk_fma_f32 v[140:141], v[142:143], v[54:55], v[140:141] op_sel_hi:[1,1,0] neg_lo:[0,0,1] neg_hi:[0,0,1]
	v_mul_f32_e32 v142, v143, v128
	v_pk_add_f32 v[50:51], v[50:51], v[144:145] neg_lo:[0,1] neg_hi:[0,1]
	s_delay_alu instid0(VALU_DEP_2) | instskip(NEXT) | instid1(VALU_DEP_1)
	v_pk_fma_f32 v[132:133], v[132:133], v[54:55], v[142:143] op_sel_hi:[1,1,0]
	v_mov_b32_e32 v141, v133
	s_delay_alu instid0(VALU_DEP_1) | instskip(SKIP_3) | instid1(VALU_DEP_1)
	v_pk_add_f32 v[46:47], v[46:47], v[140:141] neg_lo:[0,1] neg_hi:[0,1]
	ds_load_2addr_b64 v[140:143], v135 offset0:40 offset1:41
	s_wait_dscnt 0x0
	v_pk_mul_f32 v[132:133], v[140:141], v[130:131] op_sel:[0,1]
	v_pk_fma_f32 v[144:145], v[140:141], v[128:129], v[132:133] op_sel:[0,0,1] op_sel_hi:[1,1,0] neg_lo:[0,0,1] neg_hi:[0,0,1]
	v_pk_fma_f32 v[132:133], v[140:141], v[128:129], v[132:133] op_sel:[0,0,1] op_sel_hi:[1,0,0]
	s_delay_alu instid0(VALU_DEP_1) | instskip(SKIP_1) | instid1(VALU_DEP_1)
	v_mov_b32_e32 v145, v133
	v_pk_mul_f32 v[132:133], v[142:143], v[130:131] op_sel:[0,1]
	v_pk_fma_f32 v[140:141], v[142:143], v[128:129], v[132:133] op_sel:[0,0,1] op_sel_hi:[1,1,0] neg_lo:[0,0,1] neg_hi:[0,0,1]
	v_pk_fma_f32 v[132:133], v[142:143], v[128:129], v[132:133] op_sel:[0,0,1] op_sel_hi:[1,0,0]
	s_delay_alu instid0(VALU_DEP_1) | instskip(SKIP_1) | instid1(VALU_DEP_2)
	v_mov_b32_e32 v141, v133
	v_pk_add_f32 v[42:43], v[42:43], v[144:145] neg_lo:[0,1] neg_hi:[0,1]
	v_pk_add_f32 v[38:39], v[38:39], v[140:141] neg_lo:[0,1] neg_hi:[0,1]
	ds_load_2addr_b64 v[140:143], v135 offset0:42 offset1:43
	s_wait_dscnt 0x0
	v_pk_mul_f32 v[132:133], v[140:141], v[130:131] op_sel:[0,1]
	s_delay_alu instid0(VALU_DEP_1) | instskip(SKIP_1) | instid1(VALU_DEP_1)
	v_pk_fma_f32 v[144:145], v[140:141], v[128:129], v[132:133] op_sel:[0,0,1] op_sel_hi:[1,1,0] neg_lo:[0,0,1] neg_hi:[0,0,1]
	v_pk_fma_f32 v[132:133], v[140:141], v[128:129], v[132:133] op_sel:[0,0,1] op_sel_hi:[1,0,0]
	v_mov_b32_e32 v145, v133
	v_pk_mul_f32 v[132:133], v[142:143], v[130:131] op_sel:[0,1]
	s_delay_alu instid0(VALU_DEP_1) | instskip(SKIP_1) | instid1(VALU_DEP_1)
	v_pk_fma_f32 v[140:141], v[142:143], v[128:129], v[132:133] op_sel:[0,0,1] op_sel_hi:[1,1,0] neg_lo:[0,0,1] neg_hi:[0,0,1]
	v_pk_fma_f32 v[132:133], v[142:143], v[128:129], v[132:133] op_sel:[0,0,1] op_sel_hi:[1,0,0]
	v_mov_b32_e32 v141, v133
	v_pk_add_f32 v[40:41], v[40:41], v[144:145] neg_lo:[0,1] neg_hi:[0,1]
	s_delay_alu instid0(VALU_DEP_2) | instskip(SKIP_3) | instid1(VALU_DEP_1)
	v_pk_add_f32 v[36:37], v[36:37], v[140:141] neg_lo:[0,1] neg_hi:[0,1]
	ds_load_2addr_b64 v[140:143], v135 offset0:44 offset1:45
	s_wait_dscnt 0x0
	v_dual_mul_f32 v132, v141, v131 :: v_dual_mul_f32 v144, v141, v128
	v_pk_fma_f32 v[132:133], v[140:141], v[54:55], v[132:133] op_sel_hi:[1,1,0] neg_lo:[0,0,1] neg_hi:[0,0,1]
	s_delay_alu instid0(VALU_DEP_2) | instskip(NEXT) | instid1(VALU_DEP_1)
	v_pk_fma_f32 v[140:141], v[140:141], v[54:55], v[144:145] op_sel:[1,0,0] op_sel_hi:[0,1,0]
	v_mov_b32_e32 v133, v141
	s_delay_alu instid0(VALU_DEP_1) | instskip(SKIP_1) | instid1(VALU_DEP_1)
	v_pk_add_f32 v[34:35], v[34:35], v[132:133] neg_lo:[0,1] neg_hi:[0,1]
	v_pk_mul_f32 v[132:133], v[142:143], v[130:131] op_sel:[0,1]
	v_pk_fma_f32 v[140:141], v[142:143], v[128:129], v[132:133] op_sel:[0,0,1] op_sel_hi:[1,1,0] neg_lo:[0,0,1] neg_hi:[0,0,1]
	v_pk_fma_f32 v[132:133], v[142:143], v[128:129], v[132:133] op_sel:[0,0,1] op_sel_hi:[1,0,0]
	s_delay_alu instid0(VALU_DEP_1) | instskip(NEXT) | instid1(VALU_DEP_1)
	v_mov_b32_e32 v141, v133
	v_pk_add_f32 v[30:31], v[30:31], v[140:141] neg_lo:[0,1] neg_hi:[0,1]
	ds_load_2addr_b64 v[140:143], v135 offset0:46 offset1:47
	s_wait_dscnt 0x0
	v_pk_mul_f32 v[132:133], v[140:141], v[130:131] op_sel:[0,1]
	s_delay_alu instid0(VALU_DEP_1) | instskip(SKIP_1) | instid1(VALU_DEP_1)
	v_pk_fma_f32 v[144:145], v[140:141], v[128:129], v[132:133] op_sel:[0,0,1] op_sel_hi:[1,1,0] neg_lo:[0,0,1] neg_hi:[0,0,1]
	v_pk_fma_f32 v[132:133], v[140:141], v[128:129], v[132:133] op_sel:[0,0,1] op_sel_hi:[1,0,0]
	v_mov_b32_e32 v145, v133
	v_pk_mul_f32 v[132:133], v[142:143], v[130:131] op_sel:[0,1]
	s_delay_alu instid0(VALU_DEP_2) | instskip(NEXT) | instid1(VALU_DEP_2)
	v_pk_add_f32 v[32:33], v[32:33], v[144:145] neg_lo:[0,1] neg_hi:[0,1]
	v_pk_fma_f32 v[140:141], v[142:143], v[128:129], v[132:133] op_sel:[0,0,1] op_sel_hi:[1,1,0] neg_lo:[0,0,1] neg_hi:[0,0,1]
	v_pk_fma_f32 v[132:133], v[142:143], v[128:129], v[132:133] op_sel:[0,0,1] op_sel_hi:[1,0,0]
	s_delay_alu instid0(VALU_DEP_1) | instskip(NEXT) | instid1(VALU_DEP_1)
	v_mov_b32_e32 v141, v133
	v_pk_add_f32 v[28:29], v[28:29], v[140:141] neg_lo:[0,1] neg_hi:[0,1]
	ds_load_2addr_b64 v[140:143], v135 offset0:48 offset1:49
	s_wait_dscnt 0x0
	v_pk_mul_f32 v[132:133], v[140:141], v[130:131] op_sel:[0,1]
	s_delay_alu instid0(VALU_DEP_1) | instskip(SKIP_2) | instid1(VALU_DEP_2)
	v_pk_fma_f32 v[144:145], v[140:141], v[128:129], v[132:133] op_sel:[0,0,1] op_sel_hi:[1,1,0] neg_lo:[0,0,1] neg_hi:[0,0,1]
	v_pk_fma_f32 v[132:133], v[140:141], v[128:129], v[132:133] op_sel:[0,0,1] op_sel_hi:[1,0,0]
	v_dual_mul_f32 v140, v143, v131 :: v_dual_mov_b32 v132, v143
	v_dual_mov_b32 v145, v133 :: v_dual_mov_b32 v133, v142
	s_delay_alu instid0(VALU_DEP_2) | instskip(SKIP_1) | instid1(VALU_DEP_3)
	v_pk_fma_f32 v[140:141], v[142:143], v[54:55], v[140:141] op_sel_hi:[1,1,0] neg_lo:[0,0,1] neg_hi:[0,0,1]
	v_mul_f32_e32 v142, v143, v128
	v_pk_add_f32 v[26:27], v[26:27], v[144:145] neg_lo:[0,1] neg_hi:[0,1]
	s_delay_alu instid0(VALU_DEP_2) | instskip(NEXT) | instid1(VALU_DEP_1)
	v_pk_fma_f32 v[132:133], v[132:133], v[54:55], v[142:143] op_sel_hi:[1,1,0]
	v_mov_b32_e32 v141, v133
	s_delay_alu instid0(VALU_DEP_1) | instskip(SKIP_3) | instid1(VALU_DEP_1)
	v_pk_add_f32 v[22:23], v[22:23], v[140:141] neg_lo:[0,1] neg_hi:[0,1]
	ds_load_2addr_b64 v[140:143], v135 offset0:50 offset1:51
	s_wait_dscnt 0x0
	v_pk_mul_f32 v[132:133], v[140:141], v[130:131] op_sel:[0,1]
	v_pk_fma_f32 v[144:145], v[140:141], v[128:129], v[132:133] op_sel:[0,0,1] op_sel_hi:[1,1,0] neg_lo:[0,0,1] neg_hi:[0,0,1]
	v_pk_fma_f32 v[132:133], v[140:141], v[128:129], v[132:133] op_sel:[0,0,1] op_sel_hi:[1,0,0]
	s_delay_alu instid0(VALU_DEP_1) | instskip(SKIP_1) | instid1(VALU_DEP_1)
	v_mov_b32_e32 v145, v133
	v_pk_mul_f32 v[132:133], v[142:143], v[130:131] op_sel:[0,1]
	v_pk_fma_f32 v[140:141], v[142:143], v[128:129], v[132:133] op_sel:[0,0,1] op_sel_hi:[1,1,0] neg_lo:[0,0,1] neg_hi:[0,0,1]
	v_pk_fma_f32 v[132:133], v[142:143], v[128:129], v[132:133] op_sel:[0,0,1] op_sel_hi:[1,0,0]
	s_delay_alu instid0(VALU_DEP_1) | instskip(SKIP_1) | instid1(VALU_DEP_2)
	v_mov_b32_e32 v141, v133
	v_pk_add_f32 v[24:25], v[24:25], v[144:145] neg_lo:[0,1] neg_hi:[0,1]
	v_pk_add_f32 v[44:45], v[44:45], v[140:141] neg_lo:[0,1] neg_hi:[0,1]
	ds_load_2addr_b64 v[140:143], v135 offset0:52 offset1:53
	s_wait_dscnt 0x0
	v_pk_mul_f32 v[132:133], v[140:141], v[130:131] op_sel:[0,1]
	s_delay_alu instid0(VALU_DEP_1) | instskip(SKIP_1) | instid1(VALU_DEP_1)
	v_pk_fma_f32 v[144:145], v[140:141], v[128:129], v[132:133] op_sel:[0,0,1] op_sel_hi:[1,1,0] neg_lo:[0,0,1] neg_hi:[0,0,1]
	v_pk_fma_f32 v[132:133], v[140:141], v[128:129], v[132:133] op_sel:[0,0,1] op_sel_hi:[1,0,0]
	v_mov_b32_e32 v145, v133
	v_pk_mul_f32 v[132:133], v[142:143], v[130:131] op_sel:[0,1]
	s_delay_alu instid0(VALU_DEP_1) | instskip(SKIP_1) | instid1(VALU_DEP_1)
	v_pk_fma_f32 v[140:141], v[142:143], v[128:129], v[132:133] op_sel:[0,0,1] op_sel_hi:[1,1,0] neg_lo:[0,0,1] neg_hi:[0,0,1]
	v_pk_fma_f32 v[132:133], v[142:143], v[128:129], v[132:133] op_sel:[0,0,1] op_sel_hi:[1,0,0]
	v_mov_b32_e32 v141, v133
	v_pk_add_f32 v[16:17], v[16:17], v[144:145] neg_lo:[0,1] neg_hi:[0,1]
	s_delay_alu instid0(VALU_DEP_2) | instskip(SKIP_3) | instid1(VALU_DEP_1)
	v_pk_add_f32 v[12:13], v[12:13], v[140:141] neg_lo:[0,1] neg_hi:[0,1]
	ds_load_2addr_b64 v[140:143], v135 offset0:54 offset1:55
	s_wait_dscnt 0x0
	v_dual_mul_f32 v132, v141, v131 :: v_dual_mul_f32 v144, v141, v128
	v_pk_fma_f32 v[132:133], v[140:141], v[54:55], v[132:133] op_sel_hi:[1,1,0] neg_lo:[0,0,1] neg_hi:[0,0,1]
	s_delay_alu instid0(VALU_DEP_2) | instskip(NEXT) | instid1(VALU_DEP_1)
	v_pk_fma_f32 v[140:141], v[140:141], v[54:55], v[144:145] op_sel:[1,0,0] op_sel_hi:[0,1,0]
	v_mov_b32_e32 v133, v141
	s_delay_alu instid0(VALU_DEP_1) | instskip(SKIP_1) | instid1(VALU_DEP_1)
	v_pk_add_f32 v[14:15], v[14:15], v[132:133] neg_lo:[0,1] neg_hi:[0,1]
	v_pk_mul_f32 v[132:133], v[142:143], v[130:131] op_sel:[0,1]
	v_pk_fma_f32 v[140:141], v[142:143], v[128:129], v[132:133] op_sel:[0,0,1] op_sel_hi:[1,1,0] neg_lo:[0,0,1] neg_hi:[0,0,1]
	v_pk_fma_f32 v[132:133], v[142:143], v[128:129], v[132:133] op_sel:[0,0,1] op_sel_hi:[1,0,0]
	s_delay_alu instid0(VALU_DEP_1) | instskip(NEXT) | instid1(VALU_DEP_1)
	v_mov_b32_e32 v141, v133
	v_pk_add_f32 v[10:11], v[10:11], v[140:141] neg_lo:[0,1] neg_hi:[0,1]
	ds_load_2addr_b64 v[140:143], v135 offset0:56 offset1:57
	s_wait_dscnt 0x0
	v_pk_mul_f32 v[132:133], v[140:141], v[130:131] op_sel:[0,1]
	s_delay_alu instid0(VALU_DEP_1) | instskip(SKIP_1) | instid1(VALU_DEP_1)
	v_pk_fma_f32 v[144:145], v[140:141], v[128:129], v[132:133] op_sel:[0,0,1] op_sel_hi:[1,1,0] neg_lo:[0,0,1] neg_hi:[0,0,1]
	v_pk_fma_f32 v[132:133], v[140:141], v[128:129], v[132:133] op_sel:[0,0,1] op_sel_hi:[1,0,0]
	v_mov_b32_e32 v145, v133
	v_pk_mul_f32 v[132:133], v[142:143], v[130:131] op_sel:[0,1]
	s_delay_alu instid0(VALU_DEP_2) | instskip(NEXT) | instid1(VALU_DEP_2)
	v_pk_add_f32 v[6:7], v[6:7], v[144:145] neg_lo:[0,1] neg_hi:[0,1]
	v_pk_fma_f32 v[140:141], v[142:143], v[128:129], v[132:133] op_sel:[0,0,1] op_sel_hi:[1,1,0] neg_lo:[0,0,1] neg_hi:[0,0,1]
	v_pk_fma_f32 v[132:133], v[142:143], v[128:129], v[132:133] op_sel:[0,0,1] op_sel_hi:[1,0,0]
	s_delay_alu instid0(VALU_DEP_1) | instskip(NEXT) | instid1(VALU_DEP_1)
	v_mov_b32_e32 v141, v133
	v_pk_add_f32 v[20:21], v[20:21], v[140:141] neg_lo:[0,1] neg_hi:[0,1]
	ds_load_2addr_b64 v[140:143], v135 offset0:58 offset1:59
	s_wait_dscnt 0x0
	v_pk_mul_f32 v[132:133], v[140:141], v[130:131] op_sel:[0,1]
	s_delay_alu instid0(VALU_DEP_1) | instskip(SKIP_2) | instid1(VALU_DEP_2)
	v_pk_fma_f32 v[144:145], v[140:141], v[128:129], v[132:133] op_sel:[0,0,1] op_sel_hi:[1,1,0] neg_lo:[0,0,1] neg_hi:[0,0,1]
	v_pk_fma_f32 v[132:133], v[140:141], v[128:129], v[132:133] op_sel:[0,0,1] op_sel_hi:[1,0,0]
	v_dual_mul_f32 v140, v143, v131 :: v_dual_mov_b32 v132, v143
	v_dual_mov_b32 v145, v133 :: v_dual_mov_b32 v133, v142
	s_delay_alu instid0(VALU_DEP_2) | instskip(SKIP_1) | instid1(VALU_DEP_3)
	v_pk_fma_f32 v[140:141], v[142:143], v[54:55], v[140:141] op_sel_hi:[1,1,0] neg_lo:[0,0,1] neg_hi:[0,0,1]
	v_mul_f32_e32 v142, v143, v128
	v_pk_add_f32 v[18:19], v[18:19], v[144:145] neg_lo:[0,1] neg_hi:[0,1]
	s_delay_alu instid0(VALU_DEP_2) | instskip(NEXT) | instid1(VALU_DEP_1)
	v_pk_fma_f32 v[132:133], v[132:133], v[54:55], v[142:143] op_sel_hi:[1,1,0]
	v_mov_b32_e32 v141, v133
	ds_load_b64 v[132:133], v135 offset:480
	v_pk_add_f32 v[8:9], v[8:9], v[140:141] neg_lo:[0,1] neg_hi:[0,1]
	s_wait_dscnt 0x0
	v_pk_mul_f32 v[130:131], v[132:133], v[130:131] op_sel:[0,1]
	s_delay_alu instid0(VALU_DEP_1) | instskip(SKIP_1) | instid1(VALU_DEP_1)
	v_pk_fma_f32 v[140:141], v[132:133], v[128:129], v[130:131] op_sel:[0,0,1] op_sel_hi:[1,1,0] neg_lo:[0,0,1] neg_hi:[0,0,1]
	v_pk_fma_f32 v[128:129], v[132:133], v[128:129], v[130:131] op_sel:[0,0,1] op_sel_hi:[1,0,0]
	v_mov_b32_e32 v141, v129
	s_delay_alu instid0(VALU_DEP_1)
	v_pk_add_f32 v[126:127], v[126:127], v[140:141] neg_lo:[0,1] neg_hi:[0,1]
.LBB120_755:
	s_or_b32 exec_lo, exec_lo, s0
	v_lshl_add_u32 v128, v138, 3, v135
	s_barrier_signal -1
	s_barrier_wait -1
	ds_store_b64 v128, v[52:53]
	s_wait_dscnt 0x0
	s_barrier_signal -1
	s_barrier_wait -1
	ds_load_b64 v[130:131], v135 offset:288
	v_mov_b32_e32 v128, 36
	s_cmp_lt_i32 s18, 38
	s_cbranch_scc1 .LBB120_758
; %bb.756:
	v_add3_u32 v129, v136, 0, 0x128
	v_mov_b32_e32 v128, 36
	s_mov_b32 s0, 37
.LBB120_757:                            ; =>This Inner Loop Header: Depth=1
	ds_load_b64 v[132:133], v129
	s_wait_dscnt 0x1
	v_cmp_gt_f32_e32 vcc_lo, 0, v130
	v_cndmask_b32_e64 v140, v130, -v130, vcc_lo
	v_cmp_gt_f32_e32 vcc_lo, 0, v131
	v_cndmask_b32_e64 v142, v131, -v131, vcc_lo
	s_wait_dscnt 0x0
	v_cmp_gt_f32_e32 vcc_lo, 0, v132
	v_cndmask_b32_e64 v141, v132, -v132, vcc_lo
	v_cmp_gt_f32_e32 vcc_lo, 0, v133
	v_cndmask_b32_e64 v143, v133, -v133, vcc_lo
	s_delay_alu instid0(VALU_DEP_1) | instskip(NEXT) | instid1(VALU_DEP_1)
	v_pk_add_f32 v[140:141], v[140:141], v[142:143]
	v_cmp_lt_f32_e32 vcc_lo, v140, v141
	v_dual_cndmask_b32 v130, v130, v132 :: v_dual_add_nc_u32 v129, 8, v129
	v_cndmask_b32_e32 v131, v131, v133, vcc_lo
	v_cndmask_b32_e64 v128, v128, s0, vcc_lo
	s_add_co_i32 s0, s0, 1
	s_delay_alu instid0(SALU_CYCLE_1)
	s_cmp_lg_u32 s18, s0
	s_cbranch_scc1 .LBB120_757
.LBB120_758:
	s_wait_dscnt 0x0
	v_cmp_eq_f32_e32 vcc_lo, 0, v130
	v_cmp_eq_f32_e64 s0, 0, v131
	s_and_b32 s0, vcc_lo, s0
	s_delay_alu instid0(SALU_CYCLE_1) | instskip(NEXT) | instid1(SALU_CYCLE_1)
	s_and_saveexec_b32 s1, s0
	s_xor_b32 s0, exec_lo, s1
; %bb.759:
	v_cmp_ne_u32_e32 vcc_lo, 0, v134
	v_cndmask_b32_e32 v134, 37, v134, vcc_lo
; %bb.760:
	s_and_not1_saveexec_b32 s0, s0
	s_cbranch_execz .LBB120_766
; %bb.761:
	v_cmp_ngt_f32_e64 s1, |v130|, |v131|
	s_and_saveexec_b32 s12, s1
	s_delay_alu instid0(SALU_CYCLE_1)
	s_xor_b32 s1, exec_lo, s12
	s_cbranch_execz .LBB120_763
; %bb.762:
	v_div_scale_f32 v129, null, v131, v131, v130
	v_div_scale_f32 v139, vcc_lo, v130, v131, v130
	s_delay_alu instid0(VALU_DEP_2) | instskip(SKIP_1) | instid1(TRANS32_DEP_1)
	v_rcp_f32_e32 v132, v129
	v_nop
	v_fma_f32 v133, -v129, v132, 1.0
	s_delay_alu instid0(VALU_DEP_1) | instskip(NEXT) | instid1(VALU_DEP_1)
	v_fmac_f32_e32 v132, v133, v132
	v_mul_f32_e32 v133, v139, v132
	s_delay_alu instid0(VALU_DEP_1) | instskip(NEXT) | instid1(VALU_DEP_1)
	v_fma_f32 v140, -v129, v133, v139
	v_fmac_f32_e32 v133, v140, v132
	s_delay_alu instid0(VALU_DEP_1) | instskip(NEXT) | instid1(VALU_DEP_1)
	v_fma_f32 v129, -v129, v133, v139
	v_div_fmas_f32 v129, v129, v132, v133
	s_delay_alu instid0(VALU_DEP_1) | instskip(NEXT) | instid1(VALU_DEP_1)
	v_div_fixup_f32 v129, v129, v131, v130
	v_fmac_f32_e32 v131, v130, v129
	s_delay_alu instid0(VALU_DEP_1) | instskip(SKIP_1) | instid1(VALU_DEP_2)
	v_div_scale_f32 v130, null, v131, v131, 1.0
	v_div_scale_f32 v139, vcc_lo, 1.0, v131, 1.0
	v_rcp_f32_e32 v132, v130
	v_nop
	s_delay_alu instid0(TRANS32_DEP_1) | instskip(NEXT) | instid1(VALU_DEP_1)
	v_fma_f32 v133, -v130, v132, 1.0
	v_fmac_f32_e32 v132, v133, v132
	s_delay_alu instid0(VALU_DEP_1) | instskip(NEXT) | instid1(VALU_DEP_1)
	v_mul_f32_e32 v133, v139, v132
	v_fma_f32 v140, -v130, v133, v139
	s_delay_alu instid0(VALU_DEP_1) | instskip(NEXT) | instid1(VALU_DEP_1)
	v_fmac_f32_e32 v133, v140, v132
	v_fma_f32 v130, -v130, v133, v139
	s_delay_alu instid0(VALU_DEP_1) | instskip(NEXT) | instid1(VALU_DEP_1)
	v_div_fmas_f32 v130, v130, v132, v133
	v_div_fixup_f32 v131, v130, v131, 1.0
	s_delay_alu instid0(VALU_DEP_1)
	v_mul_f32_e32 v130, v129, v131
	v_xor_b32_e32 v131, 0x80000000, v131
.LBB120_763:
	s_and_not1_saveexec_b32 s1, s1
	s_cbranch_execz .LBB120_765
; %bb.764:
	s_delay_alu instid0(VALU_DEP_1) | instskip(SKIP_1) | instid1(VALU_DEP_2)
	v_div_scale_f32 v129, null, v130, v130, v131
	v_div_scale_f32 v139, vcc_lo, v131, v130, v131
	v_rcp_f32_e32 v132, v129
	v_nop
	s_delay_alu instid0(TRANS32_DEP_1) | instskip(NEXT) | instid1(VALU_DEP_1)
	v_fma_f32 v133, -v129, v132, 1.0
	v_fmac_f32_e32 v132, v133, v132
	s_delay_alu instid0(VALU_DEP_1) | instskip(NEXT) | instid1(VALU_DEP_1)
	v_mul_f32_e32 v133, v139, v132
	v_fma_f32 v140, -v129, v133, v139
	s_delay_alu instid0(VALU_DEP_1) | instskip(NEXT) | instid1(VALU_DEP_1)
	v_fmac_f32_e32 v133, v140, v132
	v_fma_f32 v129, -v129, v133, v139
	s_delay_alu instid0(VALU_DEP_1) | instskip(NEXT) | instid1(VALU_DEP_1)
	v_div_fmas_f32 v129, v129, v132, v133
	v_div_fixup_f32 v129, v129, v130, v131
	s_delay_alu instid0(VALU_DEP_1) | instskip(NEXT) | instid1(VALU_DEP_1)
	v_fmac_f32_e32 v130, v131, v129
	v_div_scale_f32 v131, null, v130, v130, 1.0
	s_delay_alu instid0(VALU_DEP_1) | instskip(SKIP_1) | instid1(TRANS32_DEP_1)
	v_rcp_f32_e32 v132, v131
	v_nop
	v_fma_f32 v133, -v131, v132, 1.0
	s_delay_alu instid0(VALU_DEP_1) | instskip(SKIP_1) | instid1(VALU_DEP_1)
	v_fmac_f32_e32 v132, v133, v132
	v_div_scale_f32 v133, vcc_lo, 1.0, v130, 1.0
	v_mul_f32_e32 v139, v133, v132
	s_delay_alu instid0(VALU_DEP_1) | instskip(NEXT) | instid1(VALU_DEP_1)
	v_fma_f32 v140, -v131, v139, v133
	v_fmac_f32_e32 v139, v140, v132
	s_delay_alu instid0(VALU_DEP_1) | instskip(NEXT) | instid1(VALU_DEP_1)
	v_fma_f32 v131, -v131, v139, v133
	v_div_fmas_f32 v131, v131, v132, v139
	s_delay_alu instid0(VALU_DEP_1) | instskip(NEXT) | instid1(VALU_DEP_1)
	v_div_fixup_f32 v130, v131, v130, 1.0
	v_mul_f32_e64 v131, v129, -v130
.LBB120_765:
	s_or_b32 exec_lo, exec_lo, s1
.LBB120_766:
	s_delay_alu instid0(SALU_CYCLE_1) | instskip(NEXT) | instid1(SALU_CYCLE_1)
	s_or_b32 exec_lo, exec_lo, s0
	s_mov_b32 s0, exec_lo
	v_cmpx_ne_u32_e64 v138, v128
	s_xor_b32 s0, exec_lo, s0
	s_cbranch_execz .LBB120_772
; %bb.767:
	s_mov_b32 s1, exec_lo
	v_cmpx_eq_u32_e32 36, v138
	s_cbranch_execz .LBB120_771
; %bb.768:
	v_cmp_ne_u32_e32 vcc_lo, 36, v128
	s_xor_b32 s12, s16, -1
	s_delay_alu instid0(SALU_CYCLE_1) | instskip(NEXT) | instid1(SALU_CYCLE_1)
	s_and_b32 s13, s12, vcc_lo
	s_and_saveexec_b32 s12, s13
	s_cbranch_execz .LBB120_770
; %bb.769:
	v_ashrrev_i32_e32 v129, 31, v128
	s_delay_alu instid0(VALU_DEP_1)
	v_lshl_add_u64 v[132:133], v[128:129], 2, v[4:5]
	s_clause 0x1
	global_load_b32 v129, v[132:133], off
	global_load_b32 v137, v[4:5], off offset:144
	s_wait_loadcnt 0x1
	global_store_b32 v[4:5], v129, off offset:144
	s_wait_loadcnt 0x0
	global_store_b32 v[132:133], v137, off
.LBB120_770:
	s_wait_xcnt 0x0
	s_or_b32 exec_lo, exec_lo, s12
	v_dual_mov_b32 v138, v128 :: v_dual_mov_b32 v137, v128
.LBB120_771:
	s_or_b32 exec_lo, exec_lo, s1
.LBB120_772:
	s_and_not1_saveexec_b32 s0, s0
	s_cbranch_execz .LBB120_774
; %bb.773:
	v_mov_b32_e32 v138, 36
	ds_store_2addr_b64 v135, v[48:49], v[50:51] offset0:37 offset1:38
	ds_store_2addr_b64 v135, v[46:47], v[42:43] offset0:39 offset1:40
	;; [unrolled: 1-line block ×12, first 2 shown]
.LBB120_774:
	s_or_b32 exec_lo, exec_lo, s0
	s_delay_alu instid0(SALU_CYCLE_1)
	s_mov_b32 s0, exec_lo
	s_wait_storecnt_dscnt 0x0
	s_barrier_signal -1
	s_barrier_wait -1
	v_cmpx_lt_i32_e32 36, v138
	s_cbranch_execz .LBB120_776
; %bb.775:
	ds_load_2addr_b64 v[140:143], v135 offset0:37 offset1:38
	v_pk_mul_f32 v[132:133], v[130:131], v[52:53] op_sel:[1,1] op_sel_hi:[0,1]
	s_delay_alu instid0(VALU_DEP_1) | instskip(SKIP_1) | instid1(VALU_DEP_1)
	v_pk_fma_f32 v[128:129], v[130:131], v[52:53], v[132:133] op_sel_hi:[1,0,1] neg_lo:[0,0,1] neg_hi:[0,0,1]
	v_pk_fma_f32 v[130:131], v[130:131], v[52:53], v[132:133] op_sel_hi:[1,0,1]
	v_dual_mov_b32 v52, v128 :: v_dual_mov_b32 v53, v131
	s_wait_dscnt 0x0
	s_delay_alu instid0(VALU_DEP_2) | instskip(NEXT) | instid1(VALU_DEP_1)
	v_pk_mul_f32 v[132:133], v[140:141], v[130:131] op_sel:[0,1]
	v_pk_fma_f32 v[144:145], v[140:141], v[128:129], v[132:133] op_sel:[0,0,1] op_sel_hi:[1,1,0] neg_lo:[0,0,1] neg_hi:[0,0,1]
	v_pk_fma_f32 v[132:133], v[140:141], v[128:129], v[132:133] op_sel:[0,0,1] op_sel_hi:[1,0,0]
	s_delay_alu instid0(VALU_DEP_1) | instskip(SKIP_1) | instid1(VALU_DEP_1)
	v_mov_b32_e32 v145, v133
	v_pk_mul_f32 v[132:133], v[142:143], v[130:131] op_sel:[0,1]
	v_pk_fma_f32 v[140:141], v[142:143], v[128:129], v[132:133] op_sel:[0,0,1] op_sel_hi:[1,1,0] neg_lo:[0,0,1] neg_hi:[0,0,1]
	v_pk_fma_f32 v[132:133], v[142:143], v[128:129], v[132:133] op_sel:[0,0,1] op_sel_hi:[1,0,0]
	s_delay_alu instid0(VALU_DEP_1) | instskip(SKIP_1) | instid1(VALU_DEP_2)
	v_mov_b32_e32 v141, v133
	v_pk_add_f32 v[48:49], v[48:49], v[144:145] neg_lo:[0,1] neg_hi:[0,1]
	v_pk_add_f32 v[50:51], v[50:51], v[140:141] neg_lo:[0,1] neg_hi:[0,1]
	ds_load_2addr_b64 v[140:143], v135 offset0:39 offset1:40
	s_wait_dscnt 0x0
	v_pk_mul_f32 v[132:133], v[140:141], v[130:131] op_sel:[0,1]
	s_delay_alu instid0(VALU_DEP_1) | instskip(SKIP_2) | instid1(VALU_DEP_2)
	v_pk_fma_f32 v[144:145], v[140:141], v[128:129], v[132:133] op_sel:[0,0,1] op_sel_hi:[1,1,0] neg_lo:[0,0,1] neg_hi:[0,0,1]
	v_pk_fma_f32 v[132:133], v[140:141], v[128:129], v[132:133] op_sel:[0,0,1] op_sel_hi:[1,0,0]
	v_dual_mul_f32 v140, v143, v131 :: v_dual_mov_b32 v132, v143
	v_dual_mov_b32 v145, v133 :: v_dual_mov_b32 v133, v142
	s_delay_alu instid0(VALU_DEP_2) | instskip(SKIP_1) | instid1(VALU_DEP_3)
	v_pk_fma_f32 v[140:141], v[142:143], v[52:53], v[140:141] op_sel_hi:[1,1,0] neg_lo:[0,0,1] neg_hi:[0,0,1]
	v_mul_f32_e32 v142, v143, v128
	v_pk_add_f32 v[46:47], v[46:47], v[144:145] neg_lo:[0,1] neg_hi:[0,1]
	s_delay_alu instid0(VALU_DEP_2) | instskip(NEXT) | instid1(VALU_DEP_1)
	v_pk_fma_f32 v[132:133], v[132:133], v[52:53], v[142:143] op_sel_hi:[1,1,0]
	v_mov_b32_e32 v141, v133
	s_delay_alu instid0(VALU_DEP_1) | instskip(SKIP_3) | instid1(VALU_DEP_1)
	v_pk_add_f32 v[42:43], v[42:43], v[140:141] neg_lo:[0,1] neg_hi:[0,1]
	ds_load_2addr_b64 v[140:143], v135 offset0:41 offset1:42
	s_wait_dscnt 0x0
	v_pk_mul_f32 v[132:133], v[140:141], v[130:131] op_sel:[0,1]
	v_pk_fma_f32 v[144:145], v[140:141], v[128:129], v[132:133] op_sel:[0,0,1] op_sel_hi:[1,1,0] neg_lo:[0,0,1] neg_hi:[0,0,1]
	v_pk_fma_f32 v[132:133], v[140:141], v[128:129], v[132:133] op_sel:[0,0,1] op_sel_hi:[1,0,0]
	s_delay_alu instid0(VALU_DEP_1) | instskip(SKIP_1) | instid1(VALU_DEP_1)
	v_mov_b32_e32 v145, v133
	v_pk_mul_f32 v[132:133], v[142:143], v[130:131] op_sel:[0,1]
	v_pk_fma_f32 v[140:141], v[142:143], v[128:129], v[132:133] op_sel:[0,0,1] op_sel_hi:[1,1,0] neg_lo:[0,0,1] neg_hi:[0,0,1]
	v_pk_fma_f32 v[132:133], v[142:143], v[128:129], v[132:133] op_sel:[0,0,1] op_sel_hi:[1,0,0]
	s_delay_alu instid0(VALU_DEP_1) | instskip(SKIP_1) | instid1(VALU_DEP_2)
	v_mov_b32_e32 v141, v133
	v_pk_add_f32 v[38:39], v[38:39], v[144:145] neg_lo:[0,1] neg_hi:[0,1]
	v_pk_add_f32 v[40:41], v[40:41], v[140:141] neg_lo:[0,1] neg_hi:[0,1]
	ds_load_2addr_b64 v[140:143], v135 offset0:43 offset1:44
	s_wait_dscnt 0x0
	v_pk_mul_f32 v[132:133], v[140:141], v[130:131] op_sel:[0,1]
	s_delay_alu instid0(VALU_DEP_1) | instskip(SKIP_1) | instid1(VALU_DEP_1)
	v_pk_fma_f32 v[144:145], v[140:141], v[128:129], v[132:133] op_sel:[0,0,1] op_sel_hi:[1,1,0] neg_lo:[0,0,1] neg_hi:[0,0,1]
	v_pk_fma_f32 v[132:133], v[140:141], v[128:129], v[132:133] op_sel:[0,0,1] op_sel_hi:[1,0,0]
	v_mov_b32_e32 v145, v133
	v_pk_mul_f32 v[132:133], v[142:143], v[130:131] op_sel:[0,1]
	s_delay_alu instid0(VALU_DEP_1) | instskip(SKIP_1) | instid1(VALU_DEP_1)
	v_pk_fma_f32 v[140:141], v[142:143], v[128:129], v[132:133] op_sel:[0,0,1] op_sel_hi:[1,1,0] neg_lo:[0,0,1] neg_hi:[0,0,1]
	v_pk_fma_f32 v[132:133], v[142:143], v[128:129], v[132:133] op_sel:[0,0,1] op_sel_hi:[1,0,0]
	v_mov_b32_e32 v141, v133
	v_pk_add_f32 v[36:37], v[36:37], v[144:145] neg_lo:[0,1] neg_hi:[0,1]
	s_delay_alu instid0(VALU_DEP_2) | instskip(SKIP_3) | instid1(VALU_DEP_1)
	v_pk_add_f32 v[34:35], v[34:35], v[140:141] neg_lo:[0,1] neg_hi:[0,1]
	ds_load_2addr_b64 v[140:143], v135 offset0:45 offset1:46
	s_wait_dscnt 0x0
	v_dual_mul_f32 v132, v141, v131 :: v_dual_mul_f32 v144, v141, v128
	v_pk_fma_f32 v[132:133], v[140:141], v[52:53], v[132:133] op_sel_hi:[1,1,0] neg_lo:[0,0,1] neg_hi:[0,0,1]
	s_delay_alu instid0(VALU_DEP_2) | instskip(NEXT) | instid1(VALU_DEP_1)
	v_pk_fma_f32 v[140:141], v[140:141], v[52:53], v[144:145] op_sel:[1,0,0] op_sel_hi:[0,1,0]
	v_mov_b32_e32 v133, v141
	s_delay_alu instid0(VALU_DEP_1) | instskip(SKIP_1) | instid1(VALU_DEP_1)
	v_pk_add_f32 v[30:31], v[30:31], v[132:133] neg_lo:[0,1] neg_hi:[0,1]
	v_pk_mul_f32 v[132:133], v[142:143], v[130:131] op_sel:[0,1]
	v_pk_fma_f32 v[140:141], v[142:143], v[128:129], v[132:133] op_sel:[0,0,1] op_sel_hi:[1,1,0] neg_lo:[0,0,1] neg_hi:[0,0,1]
	v_pk_fma_f32 v[132:133], v[142:143], v[128:129], v[132:133] op_sel:[0,0,1] op_sel_hi:[1,0,0]
	s_delay_alu instid0(VALU_DEP_1) | instskip(NEXT) | instid1(VALU_DEP_1)
	v_mov_b32_e32 v141, v133
	v_pk_add_f32 v[32:33], v[32:33], v[140:141] neg_lo:[0,1] neg_hi:[0,1]
	ds_load_2addr_b64 v[140:143], v135 offset0:47 offset1:48
	s_wait_dscnt 0x0
	v_pk_mul_f32 v[132:133], v[140:141], v[130:131] op_sel:[0,1]
	s_delay_alu instid0(VALU_DEP_1) | instskip(SKIP_1) | instid1(VALU_DEP_1)
	v_pk_fma_f32 v[144:145], v[140:141], v[128:129], v[132:133] op_sel:[0,0,1] op_sel_hi:[1,1,0] neg_lo:[0,0,1] neg_hi:[0,0,1]
	v_pk_fma_f32 v[132:133], v[140:141], v[128:129], v[132:133] op_sel:[0,0,1] op_sel_hi:[1,0,0]
	v_mov_b32_e32 v145, v133
	v_pk_mul_f32 v[132:133], v[142:143], v[130:131] op_sel:[0,1]
	s_delay_alu instid0(VALU_DEP_2) | instskip(NEXT) | instid1(VALU_DEP_2)
	v_pk_add_f32 v[28:29], v[28:29], v[144:145] neg_lo:[0,1] neg_hi:[0,1]
	v_pk_fma_f32 v[140:141], v[142:143], v[128:129], v[132:133] op_sel:[0,0,1] op_sel_hi:[1,1,0] neg_lo:[0,0,1] neg_hi:[0,0,1]
	v_pk_fma_f32 v[132:133], v[142:143], v[128:129], v[132:133] op_sel:[0,0,1] op_sel_hi:[1,0,0]
	s_delay_alu instid0(VALU_DEP_1) | instskip(NEXT) | instid1(VALU_DEP_1)
	v_mov_b32_e32 v141, v133
	v_pk_add_f32 v[26:27], v[26:27], v[140:141] neg_lo:[0,1] neg_hi:[0,1]
	ds_load_2addr_b64 v[140:143], v135 offset0:49 offset1:50
	s_wait_dscnt 0x0
	v_pk_mul_f32 v[132:133], v[140:141], v[130:131] op_sel:[0,1]
	s_delay_alu instid0(VALU_DEP_1) | instskip(SKIP_2) | instid1(VALU_DEP_2)
	v_pk_fma_f32 v[144:145], v[140:141], v[128:129], v[132:133] op_sel:[0,0,1] op_sel_hi:[1,1,0] neg_lo:[0,0,1] neg_hi:[0,0,1]
	v_pk_fma_f32 v[132:133], v[140:141], v[128:129], v[132:133] op_sel:[0,0,1] op_sel_hi:[1,0,0]
	v_dual_mul_f32 v140, v143, v131 :: v_dual_mov_b32 v132, v143
	v_dual_mov_b32 v145, v133 :: v_dual_mov_b32 v133, v142
	s_delay_alu instid0(VALU_DEP_2) | instskip(SKIP_1) | instid1(VALU_DEP_3)
	v_pk_fma_f32 v[140:141], v[142:143], v[52:53], v[140:141] op_sel_hi:[1,1,0] neg_lo:[0,0,1] neg_hi:[0,0,1]
	v_mul_f32_e32 v142, v143, v128
	v_pk_add_f32 v[22:23], v[22:23], v[144:145] neg_lo:[0,1] neg_hi:[0,1]
	s_delay_alu instid0(VALU_DEP_2) | instskip(NEXT) | instid1(VALU_DEP_1)
	v_pk_fma_f32 v[132:133], v[132:133], v[52:53], v[142:143] op_sel_hi:[1,1,0]
	v_mov_b32_e32 v141, v133
	s_delay_alu instid0(VALU_DEP_1) | instskip(SKIP_3) | instid1(VALU_DEP_1)
	v_pk_add_f32 v[24:25], v[24:25], v[140:141] neg_lo:[0,1] neg_hi:[0,1]
	ds_load_2addr_b64 v[140:143], v135 offset0:51 offset1:52
	s_wait_dscnt 0x0
	v_pk_mul_f32 v[132:133], v[140:141], v[130:131] op_sel:[0,1]
	v_pk_fma_f32 v[144:145], v[140:141], v[128:129], v[132:133] op_sel:[0,0,1] op_sel_hi:[1,1,0] neg_lo:[0,0,1] neg_hi:[0,0,1]
	v_pk_fma_f32 v[132:133], v[140:141], v[128:129], v[132:133] op_sel:[0,0,1] op_sel_hi:[1,0,0]
	s_delay_alu instid0(VALU_DEP_1) | instskip(SKIP_1) | instid1(VALU_DEP_1)
	v_mov_b32_e32 v145, v133
	v_pk_mul_f32 v[132:133], v[142:143], v[130:131] op_sel:[0,1]
	v_pk_fma_f32 v[140:141], v[142:143], v[128:129], v[132:133] op_sel:[0,0,1] op_sel_hi:[1,1,0] neg_lo:[0,0,1] neg_hi:[0,0,1]
	v_pk_fma_f32 v[132:133], v[142:143], v[128:129], v[132:133] op_sel:[0,0,1] op_sel_hi:[1,0,0]
	s_delay_alu instid0(VALU_DEP_1) | instskip(SKIP_1) | instid1(VALU_DEP_2)
	v_mov_b32_e32 v141, v133
	v_pk_add_f32 v[44:45], v[44:45], v[144:145] neg_lo:[0,1] neg_hi:[0,1]
	v_pk_add_f32 v[16:17], v[16:17], v[140:141] neg_lo:[0,1] neg_hi:[0,1]
	ds_load_2addr_b64 v[140:143], v135 offset0:53 offset1:54
	s_wait_dscnt 0x0
	v_pk_mul_f32 v[132:133], v[140:141], v[130:131] op_sel:[0,1]
	s_delay_alu instid0(VALU_DEP_1) | instskip(SKIP_1) | instid1(VALU_DEP_1)
	v_pk_fma_f32 v[144:145], v[140:141], v[128:129], v[132:133] op_sel:[0,0,1] op_sel_hi:[1,1,0] neg_lo:[0,0,1] neg_hi:[0,0,1]
	v_pk_fma_f32 v[132:133], v[140:141], v[128:129], v[132:133] op_sel:[0,0,1] op_sel_hi:[1,0,0]
	v_mov_b32_e32 v145, v133
	v_pk_mul_f32 v[132:133], v[142:143], v[130:131] op_sel:[0,1]
	s_delay_alu instid0(VALU_DEP_1) | instskip(SKIP_1) | instid1(VALU_DEP_1)
	v_pk_fma_f32 v[140:141], v[142:143], v[128:129], v[132:133] op_sel:[0,0,1] op_sel_hi:[1,1,0] neg_lo:[0,0,1] neg_hi:[0,0,1]
	v_pk_fma_f32 v[132:133], v[142:143], v[128:129], v[132:133] op_sel:[0,0,1] op_sel_hi:[1,0,0]
	v_mov_b32_e32 v141, v133
	v_pk_add_f32 v[12:13], v[12:13], v[144:145] neg_lo:[0,1] neg_hi:[0,1]
	s_delay_alu instid0(VALU_DEP_2) | instskip(SKIP_3) | instid1(VALU_DEP_1)
	v_pk_add_f32 v[14:15], v[14:15], v[140:141] neg_lo:[0,1] neg_hi:[0,1]
	ds_load_2addr_b64 v[140:143], v135 offset0:55 offset1:56
	s_wait_dscnt 0x0
	v_dual_mul_f32 v132, v141, v131 :: v_dual_mul_f32 v144, v141, v128
	v_pk_fma_f32 v[132:133], v[140:141], v[52:53], v[132:133] op_sel_hi:[1,1,0] neg_lo:[0,0,1] neg_hi:[0,0,1]
	s_delay_alu instid0(VALU_DEP_2) | instskip(NEXT) | instid1(VALU_DEP_1)
	v_pk_fma_f32 v[140:141], v[140:141], v[52:53], v[144:145] op_sel:[1,0,0] op_sel_hi:[0,1,0]
	v_mov_b32_e32 v133, v141
	s_delay_alu instid0(VALU_DEP_1) | instskip(SKIP_1) | instid1(VALU_DEP_1)
	v_pk_add_f32 v[10:11], v[10:11], v[132:133] neg_lo:[0,1] neg_hi:[0,1]
	v_pk_mul_f32 v[132:133], v[142:143], v[130:131] op_sel:[0,1]
	v_pk_fma_f32 v[140:141], v[142:143], v[128:129], v[132:133] op_sel:[0,0,1] op_sel_hi:[1,1,0] neg_lo:[0,0,1] neg_hi:[0,0,1]
	v_pk_fma_f32 v[132:133], v[142:143], v[128:129], v[132:133] op_sel:[0,0,1] op_sel_hi:[1,0,0]
	s_delay_alu instid0(VALU_DEP_1) | instskip(NEXT) | instid1(VALU_DEP_1)
	v_mov_b32_e32 v141, v133
	v_pk_add_f32 v[6:7], v[6:7], v[140:141] neg_lo:[0,1] neg_hi:[0,1]
	ds_load_2addr_b64 v[140:143], v135 offset0:57 offset1:58
	s_wait_dscnt 0x0
	v_pk_mul_f32 v[132:133], v[140:141], v[130:131] op_sel:[0,1]
	s_delay_alu instid0(VALU_DEP_1) | instskip(SKIP_1) | instid1(VALU_DEP_1)
	v_pk_fma_f32 v[144:145], v[140:141], v[128:129], v[132:133] op_sel:[0,0,1] op_sel_hi:[1,1,0] neg_lo:[0,0,1] neg_hi:[0,0,1]
	v_pk_fma_f32 v[132:133], v[140:141], v[128:129], v[132:133] op_sel:[0,0,1] op_sel_hi:[1,0,0]
	v_mov_b32_e32 v145, v133
	v_pk_mul_f32 v[132:133], v[142:143], v[130:131] op_sel:[0,1]
	s_delay_alu instid0(VALU_DEP_2) | instskip(NEXT) | instid1(VALU_DEP_2)
	v_pk_add_f32 v[20:21], v[20:21], v[144:145] neg_lo:[0,1] neg_hi:[0,1]
	v_pk_fma_f32 v[140:141], v[142:143], v[128:129], v[132:133] op_sel:[0,0,1] op_sel_hi:[1,1,0] neg_lo:[0,0,1] neg_hi:[0,0,1]
	v_pk_fma_f32 v[132:133], v[142:143], v[128:129], v[132:133] op_sel:[0,0,1] op_sel_hi:[1,0,0]
	s_delay_alu instid0(VALU_DEP_1) | instskip(NEXT) | instid1(VALU_DEP_1)
	v_mov_b32_e32 v141, v133
	v_pk_add_f32 v[18:19], v[18:19], v[140:141] neg_lo:[0,1] neg_hi:[0,1]
	ds_load_2addr_b64 v[140:143], v135 offset0:59 offset1:60
	s_wait_dscnt 0x0
	v_pk_mul_f32 v[132:133], v[140:141], v[130:131] op_sel:[0,1]
	v_mul_f32_e32 v130, v143, v131
	s_delay_alu instid0(VALU_DEP_2) | instskip(SKIP_2) | instid1(VALU_DEP_4)
	v_pk_fma_f32 v[144:145], v[140:141], v[128:129], v[132:133] op_sel:[0,0,1] op_sel_hi:[1,1,0] neg_lo:[0,0,1] neg_hi:[0,0,1]
	v_pk_fma_f32 v[132:133], v[140:141], v[128:129], v[132:133] op_sel:[0,0,1] op_sel_hi:[1,0,0]
	v_dual_mov_b32 v132, v143 :: v_dual_mul_f32 v128, v143, v128
	v_pk_fma_f32 v[130:131], v[142:143], v[52:53], v[130:131] op_sel_hi:[1,1,0] neg_lo:[0,0,1] neg_hi:[0,0,1]
	s_delay_alu instid0(VALU_DEP_3) | instskip(NEXT) | instid1(VALU_DEP_1)
	v_dual_mov_b32 v145, v133 :: v_dual_mov_b32 v133, v142
	v_pk_add_f32 v[8:9], v[8:9], v[144:145] neg_lo:[0,1] neg_hi:[0,1]
	s_delay_alu instid0(VALU_DEP_2) | instskip(NEXT) | instid1(VALU_DEP_1)
	v_pk_fma_f32 v[128:129], v[132:133], v[52:53], v[128:129] op_sel_hi:[1,1,0]
	v_mov_b32_e32 v131, v129
	s_delay_alu instid0(VALU_DEP_1)
	v_pk_add_f32 v[126:127], v[126:127], v[130:131] neg_lo:[0,1] neg_hi:[0,1]
.LBB120_776:
	s_or_b32 exec_lo, exec_lo, s0
	v_lshl_add_u32 v128, v138, 3, v135
	s_barrier_signal -1
	s_barrier_wait -1
	ds_store_b64 v128, v[48:49]
	s_wait_dscnt 0x0
	s_barrier_signal -1
	s_barrier_wait -1
	ds_load_b64 v[130:131], v135 offset:296
	v_mov_b32_e32 v128, 37
	s_cmp_lt_i32 s18, 39
	s_cbranch_scc1 .LBB120_779
; %bb.777:
	v_add3_u32 v129, v136, 0, 0x130
	v_mov_b32_e32 v128, 37
	s_mov_b32 s0, 38
.LBB120_778:                            ; =>This Inner Loop Header: Depth=1
	ds_load_b64 v[132:133], v129
	s_wait_dscnt 0x1
	v_cmp_gt_f32_e32 vcc_lo, 0, v130
	v_cndmask_b32_e64 v140, v130, -v130, vcc_lo
	v_cmp_gt_f32_e32 vcc_lo, 0, v131
	v_cndmask_b32_e64 v142, v131, -v131, vcc_lo
	s_wait_dscnt 0x0
	v_cmp_gt_f32_e32 vcc_lo, 0, v132
	v_cndmask_b32_e64 v141, v132, -v132, vcc_lo
	v_cmp_gt_f32_e32 vcc_lo, 0, v133
	v_cndmask_b32_e64 v143, v133, -v133, vcc_lo
	s_delay_alu instid0(VALU_DEP_1) | instskip(NEXT) | instid1(VALU_DEP_1)
	v_pk_add_f32 v[140:141], v[140:141], v[142:143]
	v_cmp_lt_f32_e32 vcc_lo, v140, v141
	v_dual_cndmask_b32 v130, v130, v132 :: v_dual_add_nc_u32 v129, 8, v129
	v_cndmask_b32_e32 v131, v131, v133, vcc_lo
	v_cndmask_b32_e64 v128, v128, s0, vcc_lo
	s_add_co_i32 s0, s0, 1
	s_delay_alu instid0(SALU_CYCLE_1)
	s_cmp_lg_u32 s18, s0
	s_cbranch_scc1 .LBB120_778
.LBB120_779:
	s_wait_dscnt 0x0
	v_cmp_eq_f32_e32 vcc_lo, 0, v130
	v_cmp_eq_f32_e64 s0, 0, v131
	s_and_b32 s0, vcc_lo, s0
	s_delay_alu instid0(SALU_CYCLE_1) | instskip(NEXT) | instid1(SALU_CYCLE_1)
	s_and_saveexec_b32 s1, s0
	s_xor_b32 s0, exec_lo, s1
; %bb.780:
	v_cmp_ne_u32_e32 vcc_lo, 0, v134
	v_cndmask_b32_e32 v134, 38, v134, vcc_lo
; %bb.781:
	s_and_not1_saveexec_b32 s0, s0
	s_cbranch_execz .LBB120_787
; %bb.782:
	v_cmp_ngt_f32_e64 s1, |v130|, |v131|
	s_and_saveexec_b32 s12, s1
	s_delay_alu instid0(SALU_CYCLE_1)
	s_xor_b32 s1, exec_lo, s12
	s_cbranch_execz .LBB120_784
; %bb.783:
	v_div_scale_f32 v129, null, v131, v131, v130
	v_div_scale_f32 v139, vcc_lo, v130, v131, v130
	s_delay_alu instid0(VALU_DEP_2) | instskip(SKIP_1) | instid1(TRANS32_DEP_1)
	v_rcp_f32_e32 v132, v129
	v_nop
	v_fma_f32 v133, -v129, v132, 1.0
	s_delay_alu instid0(VALU_DEP_1) | instskip(NEXT) | instid1(VALU_DEP_1)
	v_fmac_f32_e32 v132, v133, v132
	v_mul_f32_e32 v133, v139, v132
	s_delay_alu instid0(VALU_DEP_1) | instskip(NEXT) | instid1(VALU_DEP_1)
	v_fma_f32 v140, -v129, v133, v139
	v_fmac_f32_e32 v133, v140, v132
	s_delay_alu instid0(VALU_DEP_1) | instskip(NEXT) | instid1(VALU_DEP_1)
	v_fma_f32 v129, -v129, v133, v139
	v_div_fmas_f32 v129, v129, v132, v133
	s_delay_alu instid0(VALU_DEP_1) | instskip(NEXT) | instid1(VALU_DEP_1)
	v_div_fixup_f32 v129, v129, v131, v130
	v_fmac_f32_e32 v131, v130, v129
	s_delay_alu instid0(VALU_DEP_1) | instskip(SKIP_1) | instid1(VALU_DEP_2)
	v_div_scale_f32 v130, null, v131, v131, 1.0
	v_div_scale_f32 v139, vcc_lo, 1.0, v131, 1.0
	v_rcp_f32_e32 v132, v130
	v_nop
	s_delay_alu instid0(TRANS32_DEP_1) | instskip(NEXT) | instid1(VALU_DEP_1)
	v_fma_f32 v133, -v130, v132, 1.0
	v_fmac_f32_e32 v132, v133, v132
	s_delay_alu instid0(VALU_DEP_1) | instskip(NEXT) | instid1(VALU_DEP_1)
	v_mul_f32_e32 v133, v139, v132
	v_fma_f32 v140, -v130, v133, v139
	s_delay_alu instid0(VALU_DEP_1) | instskip(NEXT) | instid1(VALU_DEP_1)
	v_fmac_f32_e32 v133, v140, v132
	v_fma_f32 v130, -v130, v133, v139
	s_delay_alu instid0(VALU_DEP_1) | instskip(NEXT) | instid1(VALU_DEP_1)
	v_div_fmas_f32 v130, v130, v132, v133
	v_div_fixup_f32 v131, v130, v131, 1.0
	s_delay_alu instid0(VALU_DEP_1)
	v_mul_f32_e32 v130, v129, v131
	v_xor_b32_e32 v131, 0x80000000, v131
.LBB120_784:
	s_and_not1_saveexec_b32 s1, s1
	s_cbranch_execz .LBB120_786
; %bb.785:
	s_delay_alu instid0(VALU_DEP_1) | instskip(SKIP_1) | instid1(VALU_DEP_2)
	v_div_scale_f32 v129, null, v130, v130, v131
	v_div_scale_f32 v139, vcc_lo, v131, v130, v131
	v_rcp_f32_e32 v132, v129
	v_nop
	s_delay_alu instid0(TRANS32_DEP_1) | instskip(NEXT) | instid1(VALU_DEP_1)
	v_fma_f32 v133, -v129, v132, 1.0
	v_fmac_f32_e32 v132, v133, v132
	s_delay_alu instid0(VALU_DEP_1) | instskip(NEXT) | instid1(VALU_DEP_1)
	v_mul_f32_e32 v133, v139, v132
	v_fma_f32 v140, -v129, v133, v139
	s_delay_alu instid0(VALU_DEP_1) | instskip(NEXT) | instid1(VALU_DEP_1)
	v_fmac_f32_e32 v133, v140, v132
	v_fma_f32 v129, -v129, v133, v139
	s_delay_alu instid0(VALU_DEP_1) | instskip(NEXT) | instid1(VALU_DEP_1)
	v_div_fmas_f32 v129, v129, v132, v133
	v_div_fixup_f32 v129, v129, v130, v131
	s_delay_alu instid0(VALU_DEP_1) | instskip(NEXT) | instid1(VALU_DEP_1)
	v_fmac_f32_e32 v130, v131, v129
	v_div_scale_f32 v131, null, v130, v130, 1.0
	s_delay_alu instid0(VALU_DEP_1) | instskip(SKIP_1) | instid1(TRANS32_DEP_1)
	v_rcp_f32_e32 v132, v131
	v_nop
	v_fma_f32 v133, -v131, v132, 1.0
	s_delay_alu instid0(VALU_DEP_1) | instskip(SKIP_1) | instid1(VALU_DEP_1)
	v_fmac_f32_e32 v132, v133, v132
	v_div_scale_f32 v133, vcc_lo, 1.0, v130, 1.0
	v_mul_f32_e32 v139, v133, v132
	s_delay_alu instid0(VALU_DEP_1) | instskip(NEXT) | instid1(VALU_DEP_1)
	v_fma_f32 v140, -v131, v139, v133
	v_fmac_f32_e32 v139, v140, v132
	s_delay_alu instid0(VALU_DEP_1) | instskip(NEXT) | instid1(VALU_DEP_1)
	v_fma_f32 v131, -v131, v139, v133
	v_div_fmas_f32 v131, v131, v132, v139
	s_delay_alu instid0(VALU_DEP_1) | instskip(NEXT) | instid1(VALU_DEP_1)
	v_div_fixup_f32 v130, v131, v130, 1.0
	v_mul_f32_e64 v131, v129, -v130
.LBB120_786:
	s_or_b32 exec_lo, exec_lo, s1
.LBB120_787:
	s_delay_alu instid0(SALU_CYCLE_1) | instskip(NEXT) | instid1(SALU_CYCLE_1)
	s_or_b32 exec_lo, exec_lo, s0
	s_mov_b32 s0, exec_lo
	v_cmpx_ne_u32_e64 v138, v128
	s_xor_b32 s0, exec_lo, s0
	s_cbranch_execz .LBB120_793
; %bb.788:
	s_mov_b32 s1, exec_lo
	v_cmpx_eq_u32_e32 37, v138
	s_cbranch_execz .LBB120_792
; %bb.789:
	v_cmp_ne_u32_e32 vcc_lo, 37, v128
	s_xor_b32 s12, s16, -1
	s_delay_alu instid0(SALU_CYCLE_1) | instskip(NEXT) | instid1(SALU_CYCLE_1)
	s_and_b32 s13, s12, vcc_lo
	s_and_saveexec_b32 s12, s13
	s_cbranch_execz .LBB120_791
; %bb.790:
	v_ashrrev_i32_e32 v129, 31, v128
	s_delay_alu instid0(VALU_DEP_1)
	v_lshl_add_u64 v[132:133], v[128:129], 2, v[4:5]
	s_clause 0x1
	global_load_b32 v129, v[132:133], off
	global_load_b32 v137, v[4:5], off offset:148
	s_wait_loadcnt 0x1
	global_store_b32 v[4:5], v129, off offset:148
	s_wait_loadcnt 0x0
	global_store_b32 v[132:133], v137, off
.LBB120_791:
	s_wait_xcnt 0x0
	s_or_b32 exec_lo, exec_lo, s12
	v_dual_mov_b32 v138, v128 :: v_dual_mov_b32 v137, v128
.LBB120_792:
	s_or_b32 exec_lo, exec_lo, s1
.LBB120_793:
	s_and_not1_saveexec_b32 s0, s0
	s_cbranch_execz .LBB120_795
; %bb.794:
	v_dual_mov_b32 v128, v50 :: v_dual_mov_b32 v129, v51
	v_dual_mov_b32 v132, v46 :: v_dual_mov_b32 v133, v47
	;; [unrolled: 1-line block ×12, first 2 shown]
	ds_store_2addr_b64 v135, v[128:129], v[132:133] offset0:38 offset1:39
	ds_store_2addr_b64 v135, v[138:139], v[140:141] offset0:40 offset1:41
	;; [unrolled: 1-line block ×6, first 2 shown]
	v_dual_mov_b32 v128, v24 :: v_dual_mov_b32 v129, v25
	v_dual_mov_b32 v132, v44 :: v_dual_mov_b32 v133, v45
	;; [unrolled: 1-line block ×6, first 2 shown]
	ds_store_2addr_b64 v135, v[128:129], v[132:133] offset0:50 offset1:51
	ds_store_2addr_b64 v135, v[138:139], v[140:141] offset0:52 offset1:53
	v_dual_mov_b32 v138, 37 :: v_dual_mov_b32 v146, v6
	v_dual_mov_b32 v147, v7 :: v_dual_mov_b32 v148, v20
	;; [unrolled: 1-line block ×4, first 2 shown]
	v_mov_b32_e32 v153, v9
	ds_store_2addr_b64 v135, v[142:143], v[144:145] offset0:54 offset1:55
	ds_store_2addr_b64 v135, v[146:147], v[148:149] offset0:56 offset1:57
	;; [unrolled: 1-line block ×3, first 2 shown]
	ds_store_b64 v135, v[126:127] offset:480
.LBB120_795:
	s_or_b32 exec_lo, exec_lo, s0
	s_delay_alu instid0(SALU_CYCLE_1)
	s_mov_b32 s0, exec_lo
	s_wait_storecnt_dscnt 0x0
	s_barrier_signal -1
	s_barrier_wait -1
	v_cmpx_lt_i32_e32 37, v138
	s_cbranch_execz .LBB120_797
; %bb.796:
	ds_load_2addr_b64 v[140:143], v135 offset0:38 offset1:39
	v_pk_mul_f32 v[132:133], v[130:131], v[48:49] op_sel:[1,1] op_sel_hi:[0,1]
	s_delay_alu instid0(VALU_DEP_1) | instskip(SKIP_1) | instid1(VALU_DEP_1)
	v_pk_fma_f32 v[128:129], v[130:131], v[48:49], v[132:133] op_sel_hi:[1,0,1] neg_lo:[0,0,1] neg_hi:[0,0,1]
	v_pk_fma_f32 v[130:131], v[130:131], v[48:49], v[132:133] op_sel_hi:[1,0,1]
	v_dual_mov_b32 v48, v128 :: v_dual_mov_b32 v49, v131
	s_wait_dscnt 0x0
	s_delay_alu instid0(VALU_DEP_2) | instskip(NEXT) | instid1(VALU_DEP_1)
	v_pk_mul_f32 v[132:133], v[140:141], v[130:131] op_sel:[0,1]
	v_pk_fma_f32 v[144:145], v[140:141], v[128:129], v[132:133] op_sel:[0,0,1] op_sel_hi:[1,1,0] neg_lo:[0,0,1] neg_hi:[0,0,1]
	v_pk_fma_f32 v[132:133], v[140:141], v[128:129], v[132:133] op_sel:[0,0,1] op_sel_hi:[1,0,0]
	s_delay_alu instid0(VALU_DEP_1) | instskip(SKIP_1) | instid1(VALU_DEP_1)
	v_mov_b32_e32 v145, v133
	v_pk_mul_f32 v[132:133], v[142:143], v[130:131] op_sel:[0,1]
	v_pk_fma_f32 v[140:141], v[142:143], v[128:129], v[132:133] op_sel:[0,0,1] op_sel_hi:[1,1,0] neg_lo:[0,0,1] neg_hi:[0,0,1]
	v_pk_fma_f32 v[132:133], v[142:143], v[128:129], v[132:133] op_sel:[0,0,1] op_sel_hi:[1,0,0]
	s_delay_alu instid0(VALU_DEP_1) | instskip(SKIP_1) | instid1(VALU_DEP_2)
	v_mov_b32_e32 v141, v133
	v_pk_add_f32 v[50:51], v[50:51], v[144:145] neg_lo:[0,1] neg_hi:[0,1]
	v_pk_add_f32 v[46:47], v[46:47], v[140:141] neg_lo:[0,1] neg_hi:[0,1]
	ds_load_2addr_b64 v[140:143], v135 offset0:40 offset1:41
	s_wait_dscnt 0x0
	v_pk_mul_f32 v[132:133], v[140:141], v[130:131] op_sel:[0,1]
	s_delay_alu instid0(VALU_DEP_1) | instskip(SKIP_2) | instid1(VALU_DEP_2)
	v_pk_fma_f32 v[144:145], v[140:141], v[128:129], v[132:133] op_sel:[0,0,1] op_sel_hi:[1,1,0] neg_lo:[0,0,1] neg_hi:[0,0,1]
	v_pk_fma_f32 v[132:133], v[140:141], v[128:129], v[132:133] op_sel:[0,0,1] op_sel_hi:[1,0,0]
	v_dual_mul_f32 v140, v143, v131 :: v_dual_mov_b32 v132, v143
	v_dual_mov_b32 v145, v133 :: v_dual_mov_b32 v133, v142
	s_delay_alu instid0(VALU_DEP_2) | instskip(SKIP_1) | instid1(VALU_DEP_3)
	v_pk_fma_f32 v[140:141], v[142:143], v[48:49], v[140:141] op_sel_hi:[1,1,0] neg_lo:[0,0,1] neg_hi:[0,0,1]
	v_mul_f32_e32 v142, v143, v128
	v_pk_add_f32 v[42:43], v[42:43], v[144:145] neg_lo:[0,1] neg_hi:[0,1]
	s_delay_alu instid0(VALU_DEP_2) | instskip(NEXT) | instid1(VALU_DEP_1)
	v_pk_fma_f32 v[132:133], v[132:133], v[48:49], v[142:143] op_sel_hi:[1,1,0]
	v_mov_b32_e32 v141, v133
	s_delay_alu instid0(VALU_DEP_1) | instskip(SKIP_3) | instid1(VALU_DEP_1)
	v_pk_add_f32 v[38:39], v[38:39], v[140:141] neg_lo:[0,1] neg_hi:[0,1]
	ds_load_2addr_b64 v[140:143], v135 offset0:42 offset1:43
	s_wait_dscnt 0x0
	v_pk_mul_f32 v[132:133], v[140:141], v[130:131] op_sel:[0,1]
	v_pk_fma_f32 v[144:145], v[140:141], v[128:129], v[132:133] op_sel:[0,0,1] op_sel_hi:[1,1,0] neg_lo:[0,0,1] neg_hi:[0,0,1]
	v_pk_fma_f32 v[132:133], v[140:141], v[128:129], v[132:133] op_sel:[0,0,1] op_sel_hi:[1,0,0]
	s_delay_alu instid0(VALU_DEP_1) | instskip(SKIP_1) | instid1(VALU_DEP_1)
	v_mov_b32_e32 v145, v133
	v_pk_mul_f32 v[132:133], v[142:143], v[130:131] op_sel:[0,1]
	v_pk_fma_f32 v[140:141], v[142:143], v[128:129], v[132:133] op_sel:[0,0,1] op_sel_hi:[1,1,0] neg_lo:[0,0,1] neg_hi:[0,0,1]
	v_pk_fma_f32 v[132:133], v[142:143], v[128:129], v[132:133] op_sel:[0,0,1] op_sel_hi:[1,0,0]
	s_delay_alu instid0(VALU_DEP_1) | instskip(SKIP_1) | instid1(VALU_DEP_2)
	v_mov_b32_e32 v141, v133
	v_pk_add_f32 v[40:41], v[40:41], v[144:145] neg_lo:[0,1] neg_hi:[0,1]
	v_pk_add_f32 v[36:37], v[36:37], v[140:141] neg_lo:[0,1] neg_hi:[0,1]
	ds_load_2addr_b64 v[140:143], v135 offset0:44 offset1:45
	s_wait_dscnt 0x0
	v_pk_mul_f32 v[132:133], v[140:141], v[130:131] op_sel:[0,1]
	s_delay_alu instid0(VALU_DEP_1) | instskip(SKIP_1) | instid1(VALU_DEP_1)
	v_pk_fma_f32 v[144:145], v[140:141], v[128:129], v[132:133] op_sel:[0,0,1] op_sel_hi:[1,1,0] neg_lo:[0,0,1] neg_hi:[0,0,1]
	v_pk_fma_f32 v[132:133], v[140:141], v[128:129], v[132:133] op_sel:[0,0,1] op_sel_hi:[1,0,0]
	v_mov_b32_e32 v145, v133
	v_pk_mul_f32 v[132:133], v[142:143], v[130:131] op_sel:[0,1]
	s_delay_alu instid0(VALU_DEP_1) | instskip(SKIP_1) | instid1(VALU_DEP_1)
	v_pk_fma_f32 v[140:141], v[142:143], v[128:129], v[132:133] op_sel:[0,0,1] op_sel_hi:[1,1,0] neg_lo:[0,0,1] neg_hi:[0,0,1]
	v_pk_fma_f32 v[132:133], v[142:143], v[128:129], v[132:133] op_sel:[0,0,1] op_sel_hi:[1,0,0]
	v_mov_b32_e32 v141, v133
	v_pk_add_f32 v[34:35], v[34:35], v[144:145] neg_lo:[0,1] neg_hi:[0,1]
	s_delay_alu instid0(VALU_DEP_2) | instskip(SKIP_3) | instid1(VALU_DEP_1)
	v_pk_add_f32 v[30:31], v[30:31], v[140:141] neg_lo:[0,1] neg_hi:[0,1]
	ds_load_2addr_b64 v[140:143], v135 offset0:46 offset1:47
	s_wait_dscnt 0x0
	v_dual_mul_f32 v132, v141, v131 :: v_dual_mul_f32 v144, v141, v128
	v_pk_fma_f32 v[132:133], v[140:141], v[48:49], v[132:133] op_sel_hi:[1,1,0] neg_lo:[0,0,1] neg_hi:[0,0,1]
	s_delay_alu instid0(VALU_DEP_2) | instskip(NEXT) | instid1(VALU_DEP_1)
	v_pk_fma_f32 v[140:141], v[140:141], v[48:49], v[144:145] op_sel:[1,0,0] op_sel_hi:[0,1,0]
	v_mov_b32_e32 v133, v141
	s_delay_alu instid0(VALU_DEP_1) | instskip(SKIP_1) | instid1(VALU_DEP_1)
	v_pk_add_f32 v[32:33], v[32:33], v[132:133] neg_lo:[0,1] neg_hi:[0,1]
	v_pk_mul_f32 v[132:133], v[142:143], v[130:131] op_sel:[0,1]
	v_pk_fma_f32 v[140:141], v[142:143], v[128:129], v[132:133] op_sel:[0,0,1] op_sel_hi:[1,1,0] neg_lo:[0,0,1] neg_hi:[0,0,1]
	v_pk_fma_f32 v[132:133], v[142:143], v[128:129], v[132:133] op_sel:[0,0,1] op_sel_hi:[1,0,0]
	s_delay_alu instid0(VALU_DEP_1) | instskip(NEXT) | instid1(VALU_DEP_1)
	v_mov_b32_e32 v141, v133
	v_pk_add_f32 v[28:29], v[28:29], v[140:141] neg_lo:[0,1] neg_hi:[0,1]
	ds_load_2addr_b64 v[140:143], v135 offset0:48 offset1:49
	s_wait_dscnt 0x0
	v_pk_mul_f32 v[132:133], v[140:141], v[130:131] op_sel:[0,1]
	s_delay_alu instid0(VALU_DEP_1) | instskip(SKIP_1) | instid1(VALU_DEP_1)
	v_pk_fma_f32 v[144:145], v[140:141], v[128:129], v[132:133] op_sel:[0,0,1] op_sel_hi:[1,1,0] neg_lo:[0,0,1] neg_hi:[0,0,1]
	v_pk_fma_f32 v[132:133], v[140:141], v[128:129], v[132:133] op_sel:[0,0,1] op_sel_hi:[1,0,0]
	v_mov_b32_e32 v145, v133
	v_pk_mul_f32 v[132:133], v[142:143], v[130:131] op_sel:[0,1]
	s_delay_alu instid0(VALU_DEP_2) | instskip(NEXT) | instid1(VALU_DEP_2)
	v_pk_add_f32 v[26:27], v[26:27], v[144:145] neg_lo:[0,1] neg_hi:[0,1]
	v_pk_fma_f32 v[140:141], v[142:143], v[128:129], v[132:133] op_sel:[0,0,1] op_sel_hi:[1,1,0] neg_lo:[0,0,1] neg_hi:[0,0,1]
	v_pk_fma_f32 v[132:133], v[142:143], v[128:129], v[132:133] op_sel:[0,0,1] op_sel_hi:[1,0,0]
	s_delay_alu instid0(VALU_DEP_1) | instskip(NEXT) | instid1(VALU_DEP_1)
	v_mov_b32_e32 v141, v133
	v_pk_add_f32 v[22:23], v[22:23], v[140:141] neg_lo:[0,1] neg_hi:[0,1]
	ds_load_2addr_b64 v[140:143], v135 offset0:50 offset1:51
	s_wait_dscnt 0x0
	v_pk_mul_f32 v[132:133], v[140:141], v[130:131] op_sel:[0,1]
	s_delay_alu instid0(VALU_DEP_1) | instskip(SKIP_2) | instid1(VALU_DEP_2)
	v_pk_fma_f32 v[144:145], v[140:141], v[128:129], v[132:133] op_sel:[0,0,1] op_sel_hi:[1,1,0] neg_lo:[0,0,1] neg_hi:[0,0,1]
	v_pk_fma_f32 v[132:133], v[140:141], v[128:129], v[132:133] op_sel:[0,0,1] op_sel_hi:[1,0,0]
	v_dual_mul_f32 v140, v143, v131 :: v_dual_mov_b32 v132, v143
	v_dual_mov_b32 v145, v133 :: v_dual_mov_b32 v133, v142
	s_delay_alu instid0(VALU_DEP_2) | instskip(SKIP_1) | instid1(VALU_DEP_3)
	v_pk_fma_f32 v[140:141], v[142:143], v[48:49], v[140:141] op_sel_hi:[1,1,0] neg_lo:[0,0,1] neg_hi:[0,0,1]
	v_mul_f32_e32 v142, v143, v128
	v_pk_add_f32 v[24:25], v[24:25], v[144:145] neg_lo:[0,1] neg_hi:[0,1]
	s_delay_alu instid0(VALU_DEP_2) | instskip(NEXT) | instid1(VALU_DEP_1)
	v_pk_fma_f32 v[132:133], v[132:133], v[48:49], v[142:143] op_sel_hi:[1,1,0]
	v_mov_b32_e32 v141, v133
	s_delay_alu instid0(VALU_DEP_1) | instskip(SKIP_3) | instid1(VALU_DEP_1)
	v_pk_add_f32 v[44:45], v[44:45], v[140:141] neg_lo:[0,1] neg_hi:[0,1]
	ds_load_2addr_b64 v[140:143], v135 offset0:52 offset1:53
	s_wait_dscnt 0x0
	v_pk_mul_f32 v[132:133], v[140:141], v[130:131] op_sel:[0,1]
	v_pk_fma_f32 v[144:145], v[140:141], v[128:129], v[132:133] op_sel:[0,0,1] op_sel_hi:[1,1,0] neg_lo:[0,0,1] neg_hi:[0,0,1]
	v_pk_fma_f32 v[132:133], v[140:141], v[128:129], v[132:133] op_sel:[0,0,1] op_sel_hi:[1,0,0]
	s_delay_alu instid0(VALU_DEP_1) | instskip(SKIP_1) | instid1(VALU_DEP_1)
	v_mov_b32_e32 v145, v133
	v_pk_mul_f32 v[132:133], v[142:143], v[130:131] op_sel:[0,1]
	v_pk_fma_f32 v[140:141], v[142:143], v[128:129], v[132:133] op_sel:[0,0,1] op_sel_hi:[1,1,0] neg_lo:[0,0,1] neg_hi:[0,0,1]
	v_pk_fma_f32 v[132:133], v[142:143], v[128:129], v[132:133] op_sel:[0,0,1] op_sel_hi:[1,0,0]
	s_delay_alu instid0(VALU_DEP_1) | instskip(SKIP_1) | instid1(VALU_DEP_2)
	v_mov_b32_e32 v141, v133
	v_pk_add_f32 v[16:17], v[16:17], v[144:145] neg_lo:[0,1] neg_hi:[0,1]
	v_pk_add_f32 v[12:13], v[12:13], v[140:141] neg_lo:[0,1] neg_hi:[0,1]
	ds_load_2addr_b64 v[140:143], v135 offset0:54 offset1:55
	s_wait_dscnt 0x0
	v_pk_mul_f32 v[132:133], v[140:141], v[130:131] op_sel:[0,1]
	s_delay_alu instid0(VALU_DEP_1) | instskip(SKIP_1) | instid1(VALU_DEP_1)
	v_pk_fma_f32 v[144:145], v[140:141], v[128:129], v[132:133] op_sel:[0,0,1] op_sel_hi:[1,1,0] neg_lo:[0,0,1] neg_hi:[0,0,1]
	v_pk_fma_f32 v[132:133], v[140:141], v[128:129], v[132:133] op_sel:[0,0,1] op_sel_hi:[1,0,0]
	v_mov_b32_e32 v145, v133
	v_pk_mul_f32 v[132:133], v[142:143], v[130:131] op_sel:[0,1]
	s_delay_alu instid0(VALU_DEP_1) | instskip(SKIP_1) | instid1(VALU_DEP_1)
	v_pk_fma_f32 v[140:141], v[142:143], v[128:129], v[132:133] op_sel:[0,0,1] op_sel_hi:[1,1,0] neg_lo:[0,0,1] neg_hi:[0,0,1]
	v_pk_fma_f32 v[132:133], v[142:143], v[128:129], v[132:133] op_sel:[0,0,1] op_sel_hi:[1,0,0]
	v_mov_b32_e32 v141, v133
	v_pk_add_f32 v[14:15], v[14:15], v[144:145] neg_lo:[0,1] neg_hi:[0,1]
	s_delay_alu instid0(VALU_DEP_2) | instskip(SKIP_3) | instid1(VALU_DEP_1)
	v_pk_add_f32 v[10:11], v[10:11], v[140:141] neg_lo:[0,1] neg_hi:[0,1]
	ds_load_2addr_b64 v[140:143], v135 offset0:56 offset1:57
	s_wait_dscnt 0x0
	v_dual_mul_f32 v132, v141, v131 :: v_dual_mul_f32 v144, v141, v128
	v_pk_fma_f32 v[132:133], v[140:141], v[48:49], v[132:133] op_sel_hi:[1,1,0] neg_lo:[0,0,1] neg_hi:[0,0,1]
	s_delay_alu instid0(VALU_DEP_2) | instskip(NEXT) | instid1(VALU_DEP_1)
	v_pk_fma_f32 v[140:141], v[140:141], v[48:49], v[144:145] op_sel:[1,0,0] op_sel_hi:[0,1,0]
	v_mov_b32_e32 v133, v141
	s_delay_alu instid0(VALU_DEP_1) | instskip(SKIP_1) | instid1(VALU_DEP_1)
	v_pk_add_f32 v[6:7], v[6:7], v[132:133] neg_lo:[0,1] neg_hi:[0,1]
	v_pk_mul_f32 v[132:133], v[142:143], v[130:131] op_sel:[0,1]
	v_pk_fma_f32 v[140:141], v[142:143], v[128:129], v[132:133] op_sel:[0,0,1] op_sel_hi:[1,1,0] neg_lo:[0,0,1] neg_hi:[0,0,1]
	v_pk_fma_f32 v[132:133], v[142:143], v[128:129], v[132:133] op_sel:[0,0,1] op_sel_hi:[1,0,0]
	s_delay_alu instid0(VALU_DEP_1) | instskip(NEXT) | instid1(VALU_DEP_1)
	v_mov_b32_e32 v141, v133
	v_pk_add_f32 v[20:21], v[20:21], v[140:141] neg_lo:[0,1] neg_hi:[0,1]
	ds_load_2addr_b64 v[140:143], v135 offset0:58 offset1:59
	s_wait_dscnt 0x0
	v_pk_mul_f32 v[132:133], v[140:141], v[130:131] op_sel:[0,1]
	s_delay_alu instid0(VALU_DEP_1) | instskip(SKIP_1) | instid1(VALU_DEP_1)
	v_pk_fma_f32 v[144:145], v[140:141], v[128:129], v[132:133] op_sel:[0,0,1] op_sel_hi:[1,1,0] neg_lo:[0,0,1] neg_hi:[0,0,1]
	v_pk_fma_f32 v[132:133], v[140:141], v[128:129], v[132:133] op_sel:[0,0,1] op_sel_hi:[1,0,0]
	v_mov_b32_e32 v145, v133
	v_pk_mul_f32 v[132:133], v[142:143], v[130:131] op_sel:[0,1]
	s_delay_alu instid0(VALU_DEP_2) | instskip(NEXT) | instid1(VALU_DEP_2)
	v_pk_add_f32 v[18:19], v[18:19], v[144:145] neg_lo:[0,1] neg_hi:[0,1]
	v_pk_fma_f32 v[140:141], v[142:143], v[128:129], v[132:133] op_sel:[0,0,1] op_sel_hi:[1,1,0] neg_lo:[0,0,1] neg_hi:[0,0,1]
	v_pk_fma_f32 v[132:133], v[142:143], v[128:129], v[132:133] op_sel:[0,0,1] op_sel_hi:[1,0,0]
	s_delay_alu instid0(VALU_DEP_1) | instskip(SKIP_4) | instid1(VALU_DEP_1)
	v_mov_b32_e32 v141, v133
	ds_load_b64 v[132:133], v135 offset:480
	v_pk_add_f32 v[8:9], v[8:9], v[140:141] neg_lo:[0,1] neg_hi:[0,1]
	s_wait_dscnt 0x0
	v_pk_mul_f32 v[130:131], v[132:133], v[130:131] op_sel:[0,1]
	v_pk_fma_f32 v[140:141], v[132:133], v[128:129], v[130:131] op_sel:[0,0,1] op_sel_hi:[1,1,0] neg_lo:[0,0,1] neg_hi:[0,0,1]
	v_pk_fma_f32 v[128:129], v[132:133], v[128:129], v[130:131] op_sel:[0,0,1] op_sel_hi:[1,0,0]
	s_delay_alu instid0(VALU_DEP_1) | instskip(NEXT) | instid1(VALU_DEP_1)
	v_mov_b32_e32 v141, v129
	v_pk_add_f32 v[126:127], v[126:127], v[140:141] neg_lo:[0,1] neg_hi:[0,1]
.LBB120_797:
	s_or_b32 exec_lo, exec_lo, s0
	v_lshl_add_u32 v128, v138, 3, v135
	s_barrier_signal -1
	s_barrier_wait -1
	ds_store_b64 v128, v[50:51]
	s_wait_dscnt 0x0
	s_barrier_signal -1
	s_barrier_wait -1
	ds_load_b64 v[130:131], v135 offset:304
	v_mov_b32_e32 v128, 38
	s_cmp_lt_i32 s18, 40
	s_cbranch_scc1 .LBB120_800
; %bb.798:
	v_add3_u32 v129, v136, 0, 0x138
	v_mov_b32_e32 v128, 38
	s_mov_b32 s0, 39
.LBB120_799:                            ; =>This Inner Loop Header: Depth=1
	ds_load_b64 v[132:133], v129
	s_wait_dscnt 0x1
	v_cmp_gt_f32_e32 vcc_lo, 0, v130
	v_cndmask_b32_e64 v140, v130, -v130, vcc_lo
	v_cmp_gt_f32_e32 vcc_lo, 0, v131
	v_cndmask_b32_e64 v142, v131, -v131, vcc_lo
	s_wait_dscnt 0x0
	v_cmp_gt_f32_e32 vcc_lo, 0, v132
	v_cndmask_b32_e64 v141, v132, -v132, vcc_lo
	v_cmp_gt_f32_e32 vcc_lo, 0, v133
	v_cndmask_b32_e64 v143, v133, -v133, vcc_lo
	s_delay_alu instid0(VALU_DEP_1) | instskip(NEXT) | instid1(VALU_DEP_1)
	v_pk_add_f32 v[140:141], v[140:141], v[142:143]
	v_cmp_lt_f32_e32 vcc_lo, v140, v141
	v_dual_cndmask_b32 v130, v130, v132 :: v_dual_add_nc_u32 v129, 8, v129
	v_cndmask_b32_e32 v131, v131, v133, vcc_lo
	v_cndmask_b32_e64 v128, v128, s0, vcc_lo
	s_add_co_i32 s0, s0, 1
	s_delay_alu instid0(SALU_CYCLE_1)
	s_cmp_lg_u32 s18, s0
	s_cbranch_scc1 .LBB120_799
.LBB120_800:
	s_wait_dscnt 0x0
	v_cmp_eq_f32_e32 vcc_lo, 0, v130
	v_cmp_eq_f32_e64 s0, 0, v131
	s_and_b32 s0, vcc_lo, s0
	s_delay_alu instid0(SALU_CYCLE_1) | instskip(NEXT) | instid1(SALU_CYCLE_1)
	s_and_saveexec_b32 s1, s0
	s_xor_b32 s0, exec_lo, s1
; %bb.801:
	v_cmp_ne_u32_e32 vcc_lo, 0, v134
	v_cndmask_b32_e32 v134, 39, v134, vcc_lo
; %bb.802:
	s_and_not1_saveexec_b32 s0, s0
	s_cbranch_execz .LBB120_808
; %bb.803:
	v_cmp_ngt_f32_e64 s1, |v130|, |v131|
	s_and_saveexec_b32 s12, s1
	s_delay_alu instid0(SALU_CYCLE_1)
	s_xor_b32 s1, exec_lo, s12
	s_cbranch_execz .LBB120_805
; %bb.804:
	v_div_scale_f32 v129, null, v131, v131, v130
	v_div_scale_f32 v139, vcc_lo, v130, v131, v130
	s_delay_alu instid0(VALU_DEP_2) | instskip(SKIP_1) | instid1(TRANS32_DEP_1)
	v_rcp_f32_e32 v132, v129
	v_nop
	v_fma_f32 v133, -v129, v132, 1.0
	s_delay_alu instid0(VALU_DEP_1) | instskip(NEXT) | instid1(VALU_DEP_1)
	v_fmac_f32_e32 v132, v133, v132
	v_mul_f32_e32 v133, v139, v132
	s_delay_alu instid0(VALU_DEP_1) | instskip(NEXT) | instid1(VALU_DEP_1)
	v_fma_f32 v140, -v129, v133, v139
	v_fmac_f32_e32 v133, v140, v132
	s_delay_alu instid0(VALU_DEP_1) | instskip(NEXT) | instid1(VALU_DEP_1)
	v_fma_f32 v129, -v129, v133, v139
	v_div_fmas_f32 v129, v129, v132, v133
	s_delay_alu instid0(VALU_DEP_1) | instskip(NEXT) | instid1(VALU_DEP_1)
	v_div_fixup_f32 v129, v129, v131, v130
	v_fmac_f32_e32 v131, v130, v129
	s_delay_alu instid0(VALU_DEP_1) | instskip(SKIP_1) | instid1(VALU_DEP_2)
	v_div_scale_f32 v130, null, v131, v131, 1.0
	v_div_scale_f32 v139, vcc_lo, 1.0, v131, 1.0
	v_rcp_f32_e32 v132, v130
	v_nop
	s_delay_alu instid0(TRANS32_DEP_1) | instskip(NEXT) | instid1(VALU_DEP_1)
	v_fma_f32 v133, -v130, v132, 1.0
	v_fmac_f32_e32 v132, v133, v132
	s_delay_alu instid0(VALU_DEP_1) | instskip(NEXT) | instid1(VALU_DEP_1)
	v_mul_f32_e32 v133, v139, v132
	v_fma_f32 v140, -v130, v133, v139
	s_delay_alu instid0(VALU_DEP_1) | instskip(NEXT) | instid1(VALU_DEP_1)
	v_fmac_f32_e32 v133, v140, v132
	v_fma_f32 v130, -v130, v133, v139
	s_delay_alu instid0(VALU_DEP_1) | instskip(NEXT) | instid1(VALU_DEP_1)
	v_div_fmas_f32 v130, v130, v132, v133
	v_div_fixup_f32 v131, v130, v131, 1.0
	s_delay_alu instid0(VALU_DEP_1)
	v_mul_f32_e32 v130, v129, v131
	v_xor_b32_e32 v131, 0x80000000, v131
.LBB120_805:
	s_and_not1_saveexec_b32 s1, s1
	s_cbranch_execz .LBB120_807
; %bb.806:
	s_delay_alu instid0(VALU_DEP_1) | instskip(SKIP_1) | instid1(VALU_DEP_2)
	v_div_scale_f32 v129, null, v130, v130, v131
	v_div_scale_f32 v139, vcc_lo, v131, v130, v131
	v_rcp_f32_e32 v132, v129
	v_nop
	s_delay_alu instid0(TRANS32_DEP_1) | instskip(NEXT) | instid1(VALU_DEP_1)
	v_fma_f32 v133, -v129, v132, 1.0
	v_fmac_f32_e32 v132, v133, v132
	s_delay_alu instid0(VALU_DEP_1) | instskip(NEXT) | instid1(VALU_DEP_1)
	v_mul_f32_e32 v133, v139, v132
	v_fma_f32 v140, -v129, v133, v139
	s_delay_alu instid0(VALU_DEP_1) | instskip(NEXT) | instid1(VALU_DEP_1)
	v_fmac_f32_e32 v133, v140, v132
	v_fma_f32 v129, -v129, v133, v139
	s_delay_alu instid0(VALU_DEP_1) | instskip(NEXT) | instid1(VALU_DEP_1)
	v_div_fmas_f32 v129, v129, v132, v133
	v_div_fixup_f32 v129, v129, v130, v131
	s_delay_alu instid0(VALU_DEP_1) | instskip(NEXT) | instid1(VALU_DEP_1)
	v_fmac_f32_e32 v130, v131, v129
	v_div_scale_f32 v131, null, v130, v130, 1.0
	s_delay_alu instid0(VALU_DEP_1) | instskip(SKIP_1) | instid1(TRANS32_DEP_1)
	v_rcp_f32_e32 v132, v131
	v_nop
	v_fma_f32 v133, -v131, v132, 1.0
	s_delay_alu instid0(VALU_DEP_1) | instskip(SKIP_1) | instid1(VALU_DEP_1)
	v_fmac_f32_e32 v132, v133, v132
	v_div_scale_f32 v133, vcc_lo, 1.0, v130, 1.0
	v_mul_f32_e32 v139, v133, v132
	s_delay_alu instid0(VALU_DEP_1) | instskip(NEXT) | instid1(VALU_DEP_1)
	v_fma_f32 v140, -v131, v139, v133
	v_fmac_f32_e32 v139, v140, v132
	s_delay_alu instid0(VALU_DEP_1) | instskip(NEXT) | instid1(VALU_DEP_1)
	v_fma_f32 v131, -v131, v139, v133
	v_div_fmas_f32 v131, v131, v132, v139
	s_delay_alu instid0(VALU_DEP_1) | instskip(NEXT) | instid1(VALU_DEP_1)
	v_div_fixup_f32 v130, v131, v130, 1.0
	v_mul_f32_e64 v131, v129, -v130
.LBB120_807:
	s_or_b32 exec_lo, exec_lo, s1
.LBB120_808:
	s_delay_alu instid0(SALU_CYCLE_1) | instskip(NEXT) | instid1(SALU_CYCLE_1)
	s_or_b32 exec_lo, exec_lo, s0
	s_mov_b32 s0, exec_lo
	v_cmpx_ne_u32_e64 v138, v128
	s_xor_b32 s0, exec_lo, s0
	s_cbranch_execz .LBB120_814
; %bb.809:
	s_mov_b32 s1, exec_lo
	v_cmpx_eq_u32_e32 38, v138
	s_cbranch_execz .LBB120_813
; %bb.810:
	v_cmp_ne_u32_e32 vcc_lo, 38, v128
	s_xor_b32 s12, s16, -1
	s_delay_alu instid0(SALU_CYCLE_1) | instskip(NEXT) | instid1(SALU_CYCLE_1)
	s_and_b32 s13, s12, vcc_lo
	s_and_saveexec_b32 s12, s13
	s_cbranch_execz .LBB120_812
; %bb.811:
	v_ashrrev_i32_e32 v129, 31, v128
	s_delay_alu instid0(VALU_DEP_1)
	v_lshl_add_u64 v[132:133], v[128:129], 2, v[4:5]
	s_clause 0x1
	global_load_b32 v129, v[132:133], off
	global_load_b32 v137, v[4:5], off offset:152
	s_wait_loadcnt 0x1
	global_store_b32 v[4:5], v129, off offset:152
	s_wait_loadcnt 0x0
	global_store_b32 v[132:133], v137, off
.LBB120_812:
	s_wait_xcnt 0x0
	s_or_b32 exec_lo, exec_lo, s12
	v_dual_mov_b32 v138, v128 :: v_dual_mov_b32 v137, v128
.LBB120_813:
	s_or_b32 exec_lo, exec_lo, s1
.LBB120_814:
	s_and_not1_saveexec_b32 s0, s0
	s_cbranch_execz .LBB120_816
; %bb.815:
	v_mov_b32_e32 v138, 38
	ds_store_2addr_b64 v135, v[46:47], v[42:43] offset0:39 offset1:40
	ds_store_2addr_b64 v135, v[38:39], v[40:41] offset0:41 offset1:42
	;; [unrolled: 1-line block ×11, first 2 shown]
.LBB120_816:
	s_or_b32 exec_lo, exec_lo, s0
	s_delay_alu instid0(SALU_CYCLE_1)
	s_mov_b32 s0, exec_lo
	s_wait_storecnt_dscnt 0x0
	s_barrier_signal -1
	s_barrier_wait -1
	v_cmpx_lt_i32_e32 38, v138
	s_cbranch_execz .LBB120_818
; %bb.817:
	ds_load_2addr_b64 v[140:143], v135 offset0:39 offset1:40
	v_pk_mul_f32 v[132:133], v[130:131], v[50:51] op_sel:[1,1] op_sel_hi:[0,1]
	s_delay_alu instid0(VALU_DEP_1) | instskip(SKIP_1) | instid1(VALU_DEP_1)
	v_pk_fma_f32 v[128:129], v[130:131], v[50:51], v[132:133] op_sel_hi:[1,0,1] neg_lo:[0,0,1] neg_hi:[0,0,1]
	v_pk_fma_f32 v[130:131], v[130:131], v[50:51], v[132:133] op_sel_hi:[1,0,1]
	v_dual_mov_b32 v50, v128 :: v_dual_mov_b32 v51, v131
	s_wait_dscnt 0x0
	s_delay_alu instid0(VALU_DEP_2) | instskip(NEXT) | instid1(VALU_DEP_1)
	v_pk_mul_f32 v[132:133], v[140:141], v[130:131] op_sel:[0,1]
	v_pk_fma_f32 v[144:145], v[140:141], v[128:129], v[132:133] op_sel:[0,0,1] op_sel_hi:[1,1,0] neg_lo:[0,0,1] neg_hi:[0,0,1]
	v_pk_fma_f32 v[132:133], v[140:141], v[128:129], v[132:133] op_sel:[0,0,1] op_sel_hi:[1,0,0]
	s_delay_alu instid0(VALU_DEP_1) | instskip(SKIP_1) | instid1(VALU_DEP_1)
	v_mov_b32_e32 v145, v133
	v_pk_mul_f32 v[132:133], v[142:143], v[130:131] op_sel:[0,1]
	v_pk_fma_f32 v[140:141], v[142:143], v[128:129], v[132:133] op_sel:[0,0,1] op_sel_hi:[1,1,0] neg_lo:[0,0,1] neg_hi:[0,0,1]
	v_pk_fma_f32 v[132:133], v[142:143], v[128:129], v[132:133] op_sel:[0,0,1] op_sel_hi:[1,0,0]
	s_delay_alu instid0(VALU_DEP_1) | instskip(SKIP_1) | instid1(VALU_DEP_2)
	v_mov_b32_e32 v141, v133
	v_pk_add_f32 v[46:47], v[46:47], v[144:145] neg_lo:[0,1] neg_hi:[0,1]
	v_pk_add_f32 v[42:43], v[42:43], v[140:141] neg_lo:[0,1] neg_hi:[0,1]
	ds_load_2addr_b64 v[140:143], v135 offset0:41 offset1:42
	s_wait_dscnt 0x0
	v_pk_mul_f32 v[132:133], v[140:141], v[130:131] op_sel:[0,1]
	s_delay_alu instid0(VALU_DEP_1) | instskip(SKIP_2) | instid1(VALU_DEP_2)
	v_pk_fma_f32 v[144:145], v[140:141], v[128:129], v[132:133] op_sel:[0,0,1] op_sel_hi:[1,1,0] neg_lo:[0,0,1] neg_hi:[0,0,1]
	v_pk_fma_f32 v[132:133], v[140:141], v[128:129], v[132:133] op_sel:[0,0,1] op_sel_hi:[1,0,0]
	v_dual_mul_f32 v140, v143, v131 :: v_dual_mov_b32 v132, v143
	v_dual_mov_b32 v145, v133 :: v_dual_mov_b32 v133, v142
	s_delay_alu instid0(VALU_DEP_2) | instskip(SKIP_1) | instid1(VALU_DEP_3)
	v_pk_fma_f32 v[140:141], v[142:143], v[50:51], v[140:141] op_sel_hi:[1,1,0] neg_lo:[0,0,1] neg_hi:[0,0,1]
	v_mul_f32_e32 v142, v143, v128
	v_pk_add_f32 v[38:39], v[38:39], v[144:145] neg_lo:[0,1] neg_hi:[0,1]
	s_delay_alu instid0(VALU_DEP_2) | instskip(NEXT) | instid1(VALU_DEP_1)
	v_pk_fma_f32 v[132:133], v[132:133], v[50:51], v[142:143] op_sel_hi:[1,1,0]
	v_mov_b32_e32 v141, v133
	s_delay_alu instid0(VALU_DEP_1) | instskip(SKIP_3) | instid1(VALU_DEP_1)
	v_pk_add_f32 v[40:41], v[40:41], v[140:141] neg_lo:[0,1] neg_hi:[0,1]
	ds_load_2addr_b64 v[140:143], v135 offset0:43 offset1:44
	s_wait_dscnt 0x0
	v_pk_mul_f32 v[132:133], v[140:141], v[130:131] op_sel:[0,1]
	v_pk_fma_f32 v[144:145], v[140:141], v[128:129], v[132:133] op_sel:[0,0,1] op_sel_hi:[1,1,0] neg_lo:[0,0,1] neg_hi:[0,0,1]
	v_pk_fma_f32 v[132:133], v[140:141], v[128:129], v[132:133] op_sel:[0,0,1] op_sel_hi:[1,0,0]
	s_delay_alu instid0(VALU_DEP_1) | instskip(SKIP_1) | instid1(VALU_DEP_1)
	v_mov_b32_e32 v145, v133
	v_pk_mul_f32 v[132:133], v[142:143], v[130:131] op_sel:[0,1]
	v_pk_fma_f32 v[140:141], v[142:143], v[128:129], v[132:133] op_sel:[0,0,1] op_sel_hi:[1,1,0] neg_lo:[0,0,1] neg_hi:[0,0,1]
	v_pk_fma_f32 v[132:133], v[142:143], v[128:129], v[132:133] op_sel:[0,0,1] op_sel_hi:[1,0,0]
	s_delay_alu instid0(VALU_DEP_1) | instskip(SKIP_1) | instid1(VALU_DEP_2)
	v_mov_b32_e32 v141, v133
	v_pk_add_f32 v[36:37], v[36:37], v[144:145] neg_lo:[0,1] neg_hi:[0,1]
	v_pk_add_f32 v[34:35], v[34:35], v[140:141] neg_lo:[0,1] neg_hi:[0,1]
	ds_load_2addr_b64 v[140:143], v135 offset0:45 offset1:46
	s_wait_dscnt 0x0
	v_pk_mul_f32 v[132:133], v[140:141], v[130:131] op_sel:[0,1]
	s_delay_alu instid0(VALU_DEP_1) | instskip(SKIP_1) | instid1(VALU_DEP_1)
	v_pk_fma_f32 v[144:145], v[140:141], v[128:129], v[132:133] op_sel:[0,0,1] op_sel_hi:[1,1,0] neg_lo:[0,0,1] neg_hi:[0,0,1]
	v_pk_fma_f32 v[132:133], v[140:141], v[128:129], v[132:133] op_sel:[0,0,1] op_sel_hi:[1,0,0]
	v_mov_b32_e32 v145, v133
	v_pk_mul_f32 v[132:133], v[142:143], v[130:131] op_sel:[0,1]
	s_delay_alu instid0(VALU_DEP_1) | instskip(SKIP_1) | instid1(VALU_DEP_1)
	v_pk_fma_f32 v[140:141], v[142:143], v[128:129], v[132:133] op_sel:[0,0,1] op_sel_hi:[1,1,0] neg_lo:[0,0,1] neg_hi:[0,0,1]
	v_pk_fma_f32 v[132:133], v[142:143], v[128:129], v[132:133] op_sel:[0,0,1] op_sel_hi:[1,0,0]
	v_mov_b32_e32 v141, v133
	v_pk_add_f32 v[30:31], v[30:31], v[144:145] neg_lo:[0,1] neg_hi:[0,1]
	s_delay_alu instid0(VALU_DEP_2) | instskip(SKIP_3) | instid1(VALU_DEP_1)
	v_pk_add_f32 v[32:33], v[32:33], v[140:141] neg_lo:[0,1] neg_hi:[0,1]
	ds_load_2addr_b64 v[140:143], v135 offset0:47 offset1:48
	s_wait_dscnt 0x0
	v_dual_mul_f32 v132, v141, v131 :: v_dual_mul_f32 v144, v141, v128
	v_pk_fma_f32 v[132:133], v[140:141], v[50:51], v[132:133] op_sel_hi:[1,1,0] neg_lo:[0,0,1] neg_hi:[0,0,1]
	s_delay_alu instid0(VALU_DEP_2) | instskip(NEXT) | instid1(VALU_DEP_1)
	v_pk_fma_f32 v[140:141], v[140:141], v[50:51], v[144:145] op_sel:[1,0,0] op_sel_hi:[0,1,0]
	v_mov_b32_e32 v133, v141
	s_delay_alu instid0(VALU_DEP_1) | instskip(SKIP_1) | instid1(VALU_DEP_1)
	v_pk_add_f32 v[28:29], v[28:29], v[132:133] neg_lo:[0,1] neg_hi:[0,1]
	v_pk_mul_f32 v[132:133], v[142:143], v[130:131] op_sel:[0,1]
	v_pk_fma_f32 v[140:141], v[142:143], v[128:129], v[132:133] op_sel:[0,0,1] op_sel_hi:[1,1,0] neg_lo:[0,0,1] neg_hi:[0,0,1]
	v_pk_fma_f32 v[132:133], v[142:143], v[128:129], v[132:133] op_sel:[0,0,1] op_sel_hi:[1,0,0]
	s_delay_alu instid0(VALU_DEP_1) | instskip(NEXT) | instid1(VALU_DEP_1)
	v_mov_b32_e32 v141, v133
	v_pk_add_f32 v[26:27], v[26:27], v[140:141] neg_lo:[0,1] neg_hi:[0,1]
	ds_load_2addr_b64 v[140:143], v135 offset0:49 offset1:50
	s_wait_dscnt 0x0
	v_pk_mul_f32 v[132:133], v[140:141], v[130:131] op_sel:[0,1]
	s_delay_alu instid0(VALU_DEP_1) | instskip(SKIP_1) | instid1(VALU_DEP_1)
	v_pk_fma_f32 v[144:145], v[140:141], v[128:129], v[132:133] op_sel:[0,0,1] op_sel_hi:[1,1,0] neg_lo:[0,0,1] neg_hi:[0,0,1]
	v_pk_fma_f32 v[132:133], v[140:141], v[128:129], v[132:133] op_sel:[0,0,1] op_sel_hi:[1,0,0]
	v_mov_b32_e32 v145, v133
	v_pk_mul_f32 v[132:133], v[142:143], v[130:131] op_sel:[0,1]
	s_delay_alu instid0(VALU_DEP_2) | instskip(NEXT) | instid1(VALU_DEP_2)
	v_pk_add_f32 v[22:23], v[22:23], v[144:145] neg_lo:[0,1] neg_hi:[0,1]
	v_pk_fma_f32 v[140:141], v[142:143], v[128:129], v[132:133] op_sel:[0,0,1] op_sel_hi:[1,1,0] neg_lo:[0,0,1] neg_hi:[0,0,1]
	v_pk_fma_f32 v[132:133], v[142:143], v[128:129], v[132:133] op_sel:[0,0,1] op_sel_hi:[1,0,0]
	s_delay_alu instid0(VALU_DEP_1) | instskip(NEXT) | instid1(VALU_DEP_1)
	v_mov_b32_e32 v141, v133
	v_pk_add_f32 v[24:25], v[24:25], v[140:141] neg_lo:[0,1] neg_hi:[0,1]
	ds_load_2addr_b64 v[140:143], v135 offset0:51 offset1:52
	s_wait_dscnt 0x0
	v_pk_mul_f32 v[132:133], v[140:141], v[130:131] op_sel:[0,1]
	s_delay_alu instid0(VALU_DEP_1) | instskip(SKIP_2) | instid1(VALU_DEP_2)
	v_pk_fma_f32 v[144:145], v[140:141], v[128:129], v[132:133] op_sel:[0,0,1] op_sel_hi:[1,1,0] neg_lo:[0,0,1] neg_hi:[0,0,1]
	v_pk_fma_f32 v[132:133], v[140:141], v[128:129], v[132:133] op_sel:[0,0,1] op_sel_hi:[1,0,0]
	v_dual_mul_f32 v140, v143, v131 :: v_dual_mov_b32 v132, v143
	v_dual_mov_b32 v145, v133 :: v_dual_mov_b32 v133, v142
	s_delay_alu instid0(VALU_DEP_2) | instskip(SKIP_1) | instid1(VALU_DEP_3)
	v_pk_fma_f32 v[140:141], v[142:143], v[50:51], v[140:141] op_sel_hi:[1,1,0] neg_lo:[0,0,1] neg_hi:[0,0,1]
	v_mul_f32_e32 v142, v143, v128
	v_pk_add_f32 v[44:45], v[44:45], v[144:145] neg_lo:[0,1] neg_hi:[0,1]
	s_delay_alu instid0(VALU_DEP_2) | instskip(NEXT) | instid1(VALU_DEP_1)
	v_pk_fma_f32 v[132:133], v[132:133], v[50:51], v[142:143] op_sel_hi:[1,1,0]
	v_mov_b32_e32 v141, v133
	s_delay_alu instid0(VALU_DEP_1) | instskip(SKIP_3) | instid1(VALU_DEP_1)
	v_pk_add_f32 v[16:17], v[16:17], v[140:141] neg_lo:[0,1] neg_hi:[0,1]
	ds_load_2addr_b64 v[140:143], v135 offset0:53 offset1:54
	s_wait_dscnt 0x0
	v_pk_mul_f32 v[132:133], v[140:141], v[130:131] op_sel:[0,1]
	v_pk_fma_f32 v[144:145], v[140:141], v[128:129], v[132:133] op_sel:[0,0,1] op_sel_hi:[1,1,0] neg_lo:[0,0,1] neg_hi:[0,0,1]
	v_pk_fma_f32 v[132:133], v[140:141], v[128:129], v[132:133] op_sel:[0,0,1] op_sel_hi:[1,0,0]
	s_delay_alu instid0(VALU_DEP_1) | instskip(SKIP_1) | instid1(VALU_DEP_1)
	v_mov_b32_e32 v145, v133
	v_pk_mul_f32 v[132:133], v[142:143], v[130:131] op_sel:[0,1]
	v_pk_fma_f32 v[140:141], v[142:143], v[128:129], v[132:133] op_sel:[0,0,1] op_sel_hi:[1,1,0] neg_lo:[0,0,1] neg_hi:[0,0,1]
	v_pk_fma_f32 v[132:133], v[142:143], v[128:129], v[132:133] op_sel:[0,0,1] op_sel_hi:[1,0,0]
	s_delay_alu instid0(VALU_DEP_1) | instskip(SKIP_1) | instid1(VALU_DEP_2)
	v_mov_b32_e32 v141, v133
	v_pk_add_f32 v[12:13], v[12:13], v[144:145] neg_lo:[0,1] neg_hi:[0,1]
	v_pk_add_f32 v[14:15], v[14:15], v[140:141] neg_lo:[0,1] neg_hi:[0,1]
	ds_load_2addr_b64 v[140:143], v135 offset0:55 offset1:56
	s_wait_dscnt 0x0
	v_pk_mul_f32 v[132:133], v[140:141], v[130:131] op_sel:[0,1]
	s_delay_alu instid0(VALU_DEP_1) | instskip(SKIP_1) | instid1(VALU_DEP_1)
	v_pk_fma_f32 v[144:145], v[140:141], v[128:129], v[132:133] op_sel:[0,0,1] op_sel_hi:[1,1,0] neg_lo:[0,0,1] neg_hi:[0,0,1]
	v_pk_fma_f32 v[132:133], v[140:141], v[128:129], v[132:133] op_sel:[0,0,1] op_sel_hi:[1,0,0]
	v_mov_b32_e32 v145, v133
	v_pk_mul_f32 v[132:133], v[142:143], v[130:131] op_sel:[0,1]
	s_delay_alu instid0(VALU_DEP_1) | instskip(SKIP_1) | instid1(VALU_DEP_1)
	v_pk_fma_f32 v[140:141], v[142:143], v[128:129], v[132:133] op_sel:[0,0,1] op_sel_hi:[1,1,0] neg_lo:[0,0,1] neg_hi:[0,0,1]
	v_pk_fma_f32 v[132:133], v[142:143], v[128:129], v[132:133] op_sel:[0,0,1] op_sel_hi:[1,0,0]
	v_mov_b32_e32 v141, v133
	v_pk_add_f32 v[10:11], v[10:11], v[144:145] neg_lo:[0,1] neg_hi:[0,1]
	s_delay_alu instid0(VALU_DEP_2) | instskip(SKIP_3) | instid1(VALU_DEP_1)
	v_pk_add_f32 v[6:7], v[6:7], v[140:141] neg_lo:[0,1] neg_hi:[0,1]
	ds_load_2addr_b64 v[140:143], v135 offset0:57 offset1:58
	s_wait_dscnt 0x0
	v_dual_mul_f32 v132, v141, v131 :: v_dual_mul_f32 v144, v141, v128
	v_pk_fma_f32 v[132:133], v[140:141], v[50:51], v[132:133] op_sel_hi:[1,1,0] neg_lo:[0,0,1] neg_hi:[0,0,1]
	s_delay_alu instid0(VALU_DEP_2) | instskip(NEXT) | instid1(VALU_DEP_1)
	v_pk_fma_f32 v[140:141], v[140:141], v[50:51], v[144:145] op_sel:[1,0,0] op_sel_hi:[0,1,0]
	v_mov_b32_e32 v133, v141
	s_delay_alu instid0(VALU_DEP_1) | instskip(SKIP_1) | instid1(VALU_DEP_1)
	v_pk_add_f32 v[20:21], v[20:21], v[132:133] neg_lo:[0,1] neg_hi:[0,1]
	v_pk_mul_f32 v[132:133], v[142:143], v[130:131] op_sel:[0,1]
	v_pk_fma_f32 v[140:141], v[142:143], v[128:129], v[132:133] op_sel:[0,0,1] op_sel_hi:[1,1,0] neg_lo:[0,0,1] neg_hi:[0,0,1]
	v_pk_fma_f32 v[132:133], v[142:143], v[128:129], v[132:133] op_sel:[0,0,1] op_sel_hi:[1,0,0]
	s_delay_alu instid0(VALU_DEP_1) | instskip(NEXT) | instid1(VALU_DEP_1)
	v_mov_b32_e32 v141, v133
	v_pk_add_f32 v[18:19], v[18:19], v[140:141] neg_lo:[0,1] neg_hi:[0,1]
	ds_load_2addr_b64 v[140:143], v135 offset0:59 offset1:60
	s_wait_dscnt 0x0
	v_pk_mul_f32 v[132:133], v[140:141], v[130:131] op_sel:[0,1]
	v_pk_mul_f32 v[130:131], v[142:143], v[130:131] op_sel:[0,1]
	s_delay_alu instid0(VALU_DEP_2) | instskip(SKIP_1) | instid1(VALU_DEP_1)
	v_pk_fma_f32 v[144:145], v[140:141], v[128:129], v[132:133] op_sel:[0,0,1] op_sel_hi:[1,1,0] neg_lo:[0,0,1] neg_hi:[0,0,1]
	v_pk_fma_f32 v[132:133], v[140:141], v[128:129], v[132:133] op_sel:[0,0,1] op_sel_hi:[1,0,0]
	v_mov_b32_e32 v145, v133
	s_delay_alu instid0(VALU_DEP_4) | instskip(SKIP_1) | instid1(VALU_DEP_3)
	v_pk_fma_f32 v[132:133], v[142:143], v[128:129], v[130:131] op_sel:[0,0,1] op_sel_hi:[1,1,0] neg_lo:[0,0,1] neg_hi:[0,0,1]
	v_pk_fma_f32 v[128:129], v[142:143], v[128:129], v[130:131] op_sel:[0,0,1] op_sel_hi:[1,0,0]
	v_pk_add_f32 v[8:9], v[8:9], v[144:145] neg_lo:[0,1] neg_hi:[0,1]
	s_delay_alu instid0(VALU_DEP_2) | instskip(NEXT) | instid1(VALU_DEP_1)
	v_mov_b32_e32 v133, v129
	v_pk_add_f32 v[126:127], v[126:127], v[132:133] neg_lo:[0,1] neg_hi:[0,1]
.LBB120_818:
	s_or_b32 exec_lo, exec_lo, s0
	v_lshl_add_u32 v128, v138, 3, v135
	s_barrier_signal -1
	s_barrier_wait -1
	ds_store_b64 v128, v[46:47]
	s_wait_dscnt 0x0
	s_barrier_signal -1
	s_barrier_wait -1
	ds_load_b64 v[130:131], v135 offset:312
	v_mov_b32_e32 v128, 39
	s_cmp_lt_i32 s18, 41
	s_cbranch_scc1 .LBB120_821
; %bb.819:
	v_add3_u32 v129, v136, 0, 0x140
	v_mov_b32_e32 v128, 39
	s_mov_b32 s0, 40
.LBB120_820:                            ; =>This Inner Loop Header: Depth=1
	ds_load_b64 v[132:133], v129
	s_wait_dscnt 0x1
	v_cmp_gt_f32_e32 vcc_lo, 0, v130
	v_cndmask_b32_e64 v140, v130, -v130, vcc_lo
	v_cmp_gt_f32_e32 vcc_lo, 0, v131
	v_cndmask_b32_e64 v142, v131, -v131, vcc_lo
	s_wait_dscnt 0x0
	v_cmp_gt_f32_e32 vcc_lo, 0, v132
	v_cndmask_b32_e64 v141, v132, -v132, vcc_lo
	v_cmp_gt_f32_e32 vcc_lo, 0, v133
	v_cndmask_b32_e64 v143, v133, -v133, vcc_lo
	s_delay_alu instid0(VALU_DEP_1) | instskip(NEXT) | instid1(VALU_DEP_1)
	v_pk_add_f32 v[140:141], v[140:141], v[142:143]
	v_cmp_lt_f32_e32 vcc_lo, v140, v141
	v_dual_cndmask_b32 v130, v130, v132 :: v_dual_add_nc_u32 v129, 8, v129
	v_cndmask_b32_e32 v131, v131, v133, vcc_lo
	v_cndmask_b32_e64 v128, v128, s0, vcc_lo
	s_add_co_i32 s0, s0, 1
	s_delay_alu instid0(SALU_CYCLE_1)
	s_cmp_lg_u32 s18, s0
	s_cbranch_scc1 .LBB120_820
.LBB120_821:
	s_wait_dscnt 0x0
	v_cmp_eq_f32_e32 vcc_lo, 0, v130
	v_cmp_eq_f32_e64 s0, 0, v131
	s_and_b32 s0, vcc_lo, s0
	s_delay_alu instid0(SALU_CYCLE_1) | instskip(NEXT) | instid1(SALU_CYCLE_1)
	s_and_saveexec_b32 s1, s0
	s_xor_b32 s0, exec_lo, s1
; %bb.822:
	v_cmp_ne_u32_e32 vcc_lo, 0, v134
	v_cndmask_b32_e32 v134, 40, v134, vcc_lo
; %bb.823:
	s_and_not1_saveexec_b32 s0, s0
	s_cbranch_execz .LBB120_829
; %bb.824:
	v_cmp_ngt_f32_e64 s1, |v130|, |v131|
	s_and_saveexec_b32 s12, s1
	s_delay_alu instid0(SALU_CYCLE_1)
	s_xor_b32 s1, exec_lo, s12
	s_cbranch_execz .LBB120_826
; %bb.825:
	v_div_scale_f32 v129, null, v131, v131, v130
	v_div_scale_f32 v139, vcc_lo, v130, v131, v130
	s_delay_alu instid0(VALU_DEP_2) | instskip(SKIP_1) | instid1(TRANS32_DEP_1)
	v_rcp_f32_e32 v132, v129
	v_nop
	v_fma_f32 v133, -v129, v132, 1.0
	s_delay_alu instid0(VALU_DEP_1) | instskip(NEXT) | instid1(VALU_DEP_1)
	v_fmac_f32_e32 v132, v133, v132
	v_mul_f32_e32 v133, v139, v132
	s_delay_alu instid0(VALU_DEP_1) | instskip(NEXT) | instid1(VALU_DEP_1)
	v_fma_f32 v140, -v129, v133, v139
	v_fmac_f32_e32 v133, v140, v132
	s_delay_alu instid0(VALU_DEP_1) | instskip(NEXT) | instid1(VALU_DEP_1)
	v_fma_f32 v129, -v129, v133, v139
	v_div_fmas_f32 v129, v129, v132, v133
	s_delay_alu instid0(VALU_DEP_1) | instskip(NEXT) | instid1(VALU_DEP_1)
	v_div_fixup_f32 v129, v129, v131, v130
	v_fmac_f32_e32 v131, v130, v129
	s_delay_alu instid0(VALU_DEP_1) | instskip(SKIP_1) | instid1(VALU_DEP_2)
	v_div_scale_f32 v130, null, v131, v131, 1.0
	v_div_scale_f32 v139, vcc_lo, 1.0, v131, 1.0
	v_rcp_f32_e32 v132, v130
	v_nop
	s_delay_alu instid0(TRANS32_DEP_1) | instskip(NEXT) | instid1(VALU_DEP_1)
	v_fma_f32 v133, -v130, v132, 1.0
	v_fmac_f32_e32 v132, v133, v132
	s_delay_alu instid0(VALU_DEP_1) | instskip(NEXT) | instid1(VALU_DEP_1)
	v_mul_f32_e32 v133, v139, v132
	v_fma_f32 v140, -v130, v133, v139
	s_delay_alu instid0(VALU_DEP_1) | instskip(NEXT) | instid1(VALU_DEP_1)
	v_fmac_f32_e32 v133, v140, v132
	v_fma_f32 v130, -v130, v133, v139
	s_delay_alu instid0(VALU_DEP_1) | instskip(NEXT) | instid1(VALU_DEP_1)
	v_div_fmas_f32 v130, v130, v132, v133
	v_div_fixup_f32 v131, v130, v131, 1.0
	s_delay_alu instid0(VALU_DEP_1)
	v_mul_f32_e32 v130, v129, v131
	v_xor_b32_e32 v131, 0x80000000, v131
.LBB120_826:
	s_and_not1_saveexec_b32 s1, s1
	s_cbranch_execz .LBB120_828
; %bb.827:
	s_delay_alu instid0(VALU_DEP_1) | instskip(SKIP_1) | instid1(VALU_DEP_2)
	v_div_scale_f32 v129, null, v130, v130, v131
	v_div_scale_f32 v139, vcc_lo, v131, v130, v131
	v_rcp_f32_e32 v132, v129
	v_nop
	s_delay_alu instid0(TRANS32_DEP_1) | instskip(NEXT) | instid1(VALU_DEP_1)
	v_fma_f32 v133, -v129, v132, 1.0
	v_fmac_f32_e32 v132, v133, v132
	s_delay_alu instid0(VALU_DEP_1) | instskip(NEXT) | instid1(VALU_DEP_1)
	v_mul_f32_e32 v133, v139, v132
	v_fma_f32 v140, -v129, v133, v139
	s_delay_alu instid0(VALU_DEP_1) | instskip(NEXT) | instid1(VALU_DEP_1)
	v_fmac_f32_e32 v133, v140, v132
	v_fma_f32 v129, -v129, v133, v139
	s_delay_alu instid0(VALU_DEP_1) | instskip(NEXT) | instid1(VALU_DEP_1)
	v_div_fmas_f32 v129, v129, v132, v133
	v_div_fixup_f32 v129, v129, v130, v131
	s_delay_alu instid0(VALU_DEP_1) | instskip(NEXT) | instid1(VALU_DEP_1)
	v_fmac_f32_e32 v130, v131, v129
	v_div_scale_f32 v131, null, v130, v130, 1.0
	s_delay_alu instid0(VALU_DEP_1) | instskip(SKIP_1) | instid1(TRANS32_DEP_1)
	v_rcp_f32_e32 v132, v131
	v_nop
	v_fma_f32 v133, -v131, v132, 1.0
	s_delay_alu instid0(VALU_DEP_1) | instskip(SKIP_1) | instid1(VALU_DEP_1)
	v_fmac_f32_e32 v132, v133, v132
	v_div_scale_f32 v133, vcc_lo, 1.0, v130, 1.0
	v_mul_f32_e32 v139, v133, v132
	s_delay_alu instid0(VALU_DEP_1) | instskip(NEXT) | instid1(VALU_DEP_1)
	v_fma_f32 v140, -v131, v139, v133
	v_fmac_f32_e32 v139, v140, v132
	s_delay_alu instid0(VALU_DEP_1) | instskip(NEXT) | instid1(VALU_DEP_1)
	v_fma_f32 v131, -v131, v139, v133
	v_div_fmas_f32 v131, v131, v132, v139
	s_delay_alu instid0(VALU_DEP_1) | instskip(NEXT) | instid1(VALU_DEP_1)
	v_div_fixup_f32 v130, v131, v130, 1.0
	v_mul_f32_e64 v131, v129, -v130
.LBB120_828:
	s_or_b32 exec_lo, exec_lo, s1
.LBB120_829:
	s_delay_alu instid0(SALU_CYCLE_1) | instskip(NEXT) | instid1(SALU_CYCLE_1)
	s_or_b32 exec_lo, exec_lo, s0
	s_mov_b32 s0, exec_lo
	v_cmpx_ne_u32_e64 v138, v128
	s_xor_b32 s0, exec_lo, s0
	s_cbranch_execz .LBB120_835
; %bb.830:
	s_mov_b32 s1, exec_lo
	v_cmpx_eq_u32_e32 39, v138
	s_cbranch_execz .LBB120_834
; %bb.831:
	v_cmp_ne_u32_e32 vcc_lo, 39, v128
	s_xor_b32 s12, s16, -1
	s_delay_alu instid0(SALU_CYCLE_1) | instskip(NEXT) | instid1(SALU_CYCLE_1)
	s_and_b32 s13, s12, vcc_lo
	s_and_saveexec_b32 s12, s13
	s_cbranch_execz .LBB120_833
; %bb.832:
	v_ashrrev_i32_e32 v129, 31, v128
	s_delay_alu instid0(VALU_DEP_1)
	v_lshl_add_u64 v[132:133], v[128:129], 2, v[4:5]
	s_clause 0x1
	global_load_b32 v129, v[132:133], off
	global_load_b32 v137, v[4:5], off offset:156
	s_wait_loadcnt 0x1
	global_store_b32 v[4:5], v129, off offset:156
	s_wait_loadcnt 0x0
	global_store_b32 v[132:133], v137, off
.LBB120_833:
	s_wait_xcnt 0x0
	s_or_b32 exec_lo, exec_lo, s12
	v_dual_mov_b32 v138, v128 :: v_dual_mov_b32 v137, v128
.LBB120_834:
	s_or_b32 exec_lo, exec_lo, s1
.LBB120_835:
	s_and_not1_saveexec_b32 s0, s0
	s_cbranch_execz .LBB120_837
; %bb.836:
	v_dual_mov_b32 v128, v42 :: v_dual_mov_b32 v129, v43
	v_dual_mov_b32 v132, v38 :: v_dual_mov_b32 v133, v39
	;; [unrolled: 1-line block ×12, first 2 shown]
	ds_store_2addr_b64 v135, v[128:129], v[132:133] offset0:40 offset1:41
	ds_store_2addr_b64 v135, v[138:139], v[140:141] offset0:42 offset1:43
	;; [unrolled: 1-line block ×6, first 2 shown]
	v_dual_mov_b32 v128, v16 :: v_dual_mov_b32 v129, v17
	v_dual_mov_b32 v132, v12 :: v_dual_mov_b32 v133, v13
	v_dual_mov_b32 v138, 39 :: v_dual_mov_b32 v140, v14
	v_dual_mov_b32 v141, v15 :: v_dual_mov_b32 v142, v10
	v_dual_mov_b32 v143, v11 :: v_dual_mov_b32 v144, v6
	v_dual_mov_b32 v145, v7 :: v_dual_mov_b32 v146, v20
	v_dual_mov_b32 v147, v21 :: v_dual_mov_b32 v148, v18
	v_dual_mov_b32 v149, v19 :: v_dual_mov_b32 v150, v8
	v_mov_b32_e32 v151, v9
	ds_store_2addr_b64 v135, v[128:129], v[132:133] offset0:52 offset1:53
	ds_store_2addr_b64 v135, v[140:141], v[142:143] offset0:54 offset1:55
	;; [unrolled: 1-line block ×4, first 2 shown]
	ds_store_b64 v135, v[126:127] offset:480
.LBB120_837:
	s_or_b32 exec_lo, exec_lo, s0
	s_delay_alu instid0(SALU_CYCLE_1)
	s_mov_b32 s0, exec_lo
	s_wait_storecnt_dscnt 0x0
	s_barrier_signal -1
	s_barrier_wait -1
	v_cmpx_lt_i32_e32 39, v138
	s_cbranch_execz .LBB120_839
; %bb.838:
	ds_load_2addr_b64 v[140:143], v135 offset0:40 offset1:41
	v_pk_mul_f32 v[132:133], v[130:131], v[46:47] op_sel:[1,1] op_sel_hi:[0,1]
	s_delay_alu instid0(VALU_DEP_1) | instskip(SKIP_1) | instid1(VALU_DEP_1)
	v_pk_fma_f32 v[128:129], v[130:131], v[46:47], v[132:133] op_sel_hi:[1,0,1] neg_lo:[0,0,1] neg_hi:[0,0,1]
	v_pk_fma_f32 v[130:131], v[130:131], v[46:47], v[132:133] op_sel_hi:[1,0,1]
	v_dual_mov_b32 v46, v128 :: v_dual_mov_b32 v47, v131
	s_wait_dscnt 0x0
	s_delay_alu instid0(VALU_DEP_2) | instskip(NEXT) | instid1(VALU_DEP_1)
	v_pk_mul_f32 v[132:133], v[140:141], v[130:131] op_sel:[0,1]
	v_pk_fma_f32 v[144:145], v[140:141], v[128:129], v[132:133] op_sel:[0,0,1] op_sel_hi:[1,1,0] neg_lo:[0,0,1] neg_hi:[0,0,1]
	v_pk_fma_f32 v[132:133], v[140:141], v[128:129], v[132:133] op_sel:[0,0,1] op_sel_hi:[1,0,0]
	s_delay_alu instid0(VALU_DEP_1) | instskip(SKIP_1) | instid1(VALU_DEP_1)
	v_mov_b32_e32 v145, v133
	v_pk_mul_f32 v[132:133], v[142:143], v[130:131] op_sel:[0,1]
	v_pk_fma_f32 v[140:141], v[142:143], v[128:129], v[132:133] op_sel:[0,0,1] op_sel_hi:[1,1,0] neg_lo:[0,0,1] neg_hi:[0,0,1]
	v_pk_fma_f32 v[132:133], v[142:143], v[128:129], v[132:133] op_sel:[0,0,1] op_sel_hi:[1,0,0]
	s_delay_alu instid0(VALU_DEP_1) | instskip(SKIP_1) | instid1(VALU_DEP_2)
	v_mov_b32_e32 v141, v133
	v_pk_add_f32 v[42:43], v[42:43], v[144:145] neg_lo:[0,1] neg_hi:[0,1]
	v_pk_add_f32 v[38:39], v[38:39], v[140:141] neg_lo:[0,1] neg_hi:[0,1]
	ds_load_2addr_b64 v[140:143], v135 offset0:42 offset1:43
	s_wait_dscnt 0x0
	v_pk_mul_f32 v[132:133], v[140:141], v[130:131] op_sel:[0,1]
	s_delay_alu instid0(VALU_DEP_1) | instskip(SKIP_2) | instid1(VALU_DEP_2)
	v_pk_fma_f32 v[144:145], v[140:141], v[128:129], v[132:133] op_sel:[0,0,1] op_sel_hi:[1,1,0] neg_lo:[0,0,1] neg_hi:[0,0,1]
	v_pk_fma_f32 v[132:133], v[140:141], v[128:129], v[132:133] op_sel:[0,0,1] op_sel_hi:[1,0,0]
	v_dual_mul_f32 v140, v143, v131 :: v_dual_mov_b32 v132, v143
	v_dual_mov_b32 v145, v133 :: v_dual_mov_b32 v133, v142
	s_delay_alu instid0(VALU_DEP_2) | instskip(SKIP_1) | instid1(VALU_DEP_3)
	v_pk_fma_f32 v[140:141], v[142:143], v[46:47], v[140:141] op_sel_hi:[1,1,0] neg_lo:[0,0,1] neg_hi:[0,0,1]
	v_mul_f32_e32 v142, v143, v128
	v_pk_add_f32 v[40:41], v[40:41], v[144:145] neg_lo:[0,1] neg_hi:[0,1]
	s_delay_alu instid0(VALU_DEP_2) | instskip(NEXT) | instid1(VALU_DEP_1)
	v_pk_fma_f32 v[132:133], v[132:133], v[46:47], v[142:143] op_sel_hi:[1,1,0]
	v_mov_b32_e32 v141, v133
	s_delay_alu instid0(VALU_DEP_1) | instskip(SKIP_3) | instid1(VALU_DEP_1)
	v_pk_add_f32 v[36:37], v[36:37], v[140:141] neg_lo:[0,1] neg_hi:[0,1]
	ds_load_2addr_b64 v[140:143], v135 offset0:44 offset1:45
	s_wait_dscnt 0x0
	v_pk_mul_f32 v[132:133], v[140:141], v[130:131] op_sel:[0,1]
	v_pk_fma_f32 v[144:145], v[140:141], v[128:129], v[132:133] op_sel:[0,0,1] op_sel_hi:[1,1,0] neg_lo:[0,0,1] neg_hi:[0,0,1]
	v_pk_fma_f32 v[132:133], v[140:141], v[128:129], v[132:133] op_sel:[0,0,1] op_sel_hi:[1,0,0]
	s_delay_alu instid0(VALU_DEP_1) | instskip(SKIP_1) | instid1(VALU_DEP_1)
	v_mov_b32_e32 v145, v133
	v_pk_mul_f32 v[132:133], v[142:143], v[130:131] op_sel:[0,1]
	v_pk_fma_f32 v[140:141], v[142:143], v[128:129], v[132:133] op_sel:[0,0,1] op_sel_hi:[1,1,0] neg_lo:[0,0,1] neg_hi:[0,0,1]
	v_pk_fma_f32 v[132:133], v[142:143], v[128:129], v[132:133] op_sel:[0,0,1] op_sel_hi:[1,0,0]
	s_delay_alu instid0(VALU_DEP_1) | instskip(SKIP_1) | instid1(VALU_DEP_2)
	v_mov_b32_e32 v141, v133
	v_pk_add_f32 v[34:35], v[34:35], v[144:145] neg_lo:[0,1] neg_hi:[0,1]
	v_pk_add_f32 v[30:31], v[30:31], v[140:141] neg_lo:[0,1] neg_hi:[0,1]
	ds_load_2addr_b64 v[140:143], v135 offset0:46 offset1:47
	s_wait_dscnt 0x0
	v_pk_mul_f32 v[132:133], v[140:141], v[130:131] op_sel:[0,1]
	s_delay_alu instid0(VALU_DEP_1) | instskip(SKIP_1) | instid1(VALU_DEP_1)
	v_pk_fma_f32 v[144:145], v[140:141], v[128:129], v[132:133] op_sel:[0,0,1] op_sel_hi:[1,1,0] neg_lo:[0,0,1] neg_hi:[0,0,1]
	v_pk_fma_f32 v[132:133], v[140:141], v[128:129], v[132:133] op_sel:[0,0,1] op_sel_hi:[1,0,0]
	v_mov_b32_e32 v145, v133
	v_pk_mul_f32 v[132:133], v[142:143], v[130:131] op_sel:[0,1]
	s_delay_alu instid0(VALU_DEP_1) | instskip(SKIP_1) | instid1(VALU_DEP_1)
	v_pk_fma_f32 v[140:141], v[142:143], v[128:129], v[132:133] op_sel:[0,0,1] op_sel_hi:[1,1,0] neg_lo:[0,0,1] neg_hi:[0,0,1]
	v_pk_fma_f32 v[132:133], v[142:143], v[128:129], v[132:133] op_sel:[0,0,1] op_sel_hi:[1,0,0]
	v_mov_b32_e32 v141, v133
	v_pk_add_f32 v[32:33], v[32:33], v[144:145] neg_lo:[0,1] neg_hi:[0,1]
	s_delay_alu instid0(VALU_DEP_2) | instskip(SKIP_3) | instid1(VALU_DEP_1)
	v_pk_add_f32 v[28:29], v[28:29], v[140:141] neg_lo:[0,1] neg_hi:[0,1]
	ds_load_2addr_b64 v[140:143], v135 offset0:48 offset1:49
	s_wait_dscnt 0x0
	v_dual_mul_f32 v132, v141, v131 :: v_dual_mul_f32 v144, v141, v128
	v_pk_fma_f32 v[132:133], v[140:141], v[46:47], v[132:133] op_sel_hi:[1,1,0] neg_lo:[0,0,1] neg_hi:[0,0,1]
	s_delay_alu instid0(VALU_DEP_2) | instskip(NEXT) | instid1(VALU_DEP_1)
	v_pk_fma_f32 v[140:141], v[140:141], v[46:47], v[144:145] op_sel:[1,0,0] op_sel_hi:[0,1,0]
	v_mov_b32_e32 v133, v141
	s_delay_alu instid0(VALU_DEP_1) | instskip(SKIP_1) | instid1(VALU_DEP_1)
	v_pk_add_f32 v[26:27], v[26:27], v[132:133] neg_lo:[0,1] neg_hi:[0,1]
	v_pk_mul_f32 v[132:133], v[142:143], v[130:131] op_sel:[0,1]
	v_pk_fma_f32 v[140:141], v[142:143], v[128:129], v[132:133] op_sel:[0,0,1] op_sel_hi:[1,1,0] neg_lo:[0,0,1] neg_hi:[0,0,1]
	v_pk_fma_f32 v[132:133], v[142:143], v[128:129], v[132:133] op_sel:[0,0,1] op_sel_hi:[1,0,0]
	s_delay_alu instid0(VALU_DEP_1) | instskip(NEXT) | instid1(VALU_DEP_1)
	v_mov_b32_e32 v141, v133
	v_pk_add_f32 v[22:23], v[22:23], v[140:141] neg_lo:[0,1] neg_hi:[0,1]
	ds_load_2addr_b64 v[140:143], v135 offset0:50 offset1:51
	s_wait_dscnt 0x0
	v_pk_mul_f32 v[132:133], v[140:141], v[130:131] op_sel:[0,1]
	s_delay_alu instid0(VALU_DEP_1) | instskip(SKIP_1) | instid1(VALU_DEP_1)
	v_pk_fma_f32 v[144:145], v[140:141], v[128:129], v[132:133] op_sel:[0,0,1] op_sel_hi:[1,1,0] neg_lo:[0,0,1] neg_hi:[0,0,1]
	v_pk_fma_f32 v[132:133], v[140:141], v[128:129], v[132:133] op_sel:[0,0,1] op_sel_hi:[1,0,0]
	v_mov_b32_e32 v145, v133
	v_pk_mul_f32 v[132:133], v[142:143], v[130:131] op_sel:[0,1]
	s_delay_alu instid0(VALU_DEP_2) | instskip(NEXT) | instid1(VALU_DEP_2)
	v_pk_add_f32 v[24:25], v[24:25], v[144:145] neg_lo:[0,1] neg_hi:[0,1]
	v_pk_fma_f32 v[140:141], v[142:143], v[128:129], v[132:133] op_sel:[0,0,1] op_sel_hi:[1,1,0] neg_lo:[0,0,1] neg_hi:[0,0,1]
	v_pk_fma_f32 v[132:133], v[142:143], v[128:129], v[132:133] op_sel:[0,0,1] op_sel_hi:[1,0,0]
	s_delay_alu instid0(VALU_DEP_1) | instskip(NEXT) | instid1(VALU_DEP_1)
	v_mov_b32_e32 v141, v133
	v_pk_add_f32 v[44:45], v[44:45], v[140:141] neg_lo:[0,1] neg_hi:[0,1]
	ds_load_2addr_b64 v[140:143], v135 offset0:52 offset1:53
	s_wait_dscnt 0x0
	v_pk_mul_f32 v[132:133], v[140:141], v[130:131] op_sel:[0,1]
	s_delay_alu instid0(VALU_DEP_1) | instskip(SKIP_2) | instid1(VALU_DEP_2)
	v_pk_fma_f32 v[144:145], v[140:141], v[128:129], v[132:133] op_sel:[0,0,1] op_sel_hi:[1,1,0] neg_lo:[0,0,1] neg_hi:[0,0,1]
	v_pk_fma_f32 v[132:133], v[140:141], v[128:129], v[132:133] op_sel:[0,0,1] op_sel_hi:[1,0,0]
	v_dual_mul_f32 v140, v143, v131 :: v_dual_mov_b32 v132, v143
	v_dual_mov_b32 v145, v133 :: v_dual_mov_b32 v133, v142
	s_delay_alu instid0(VALU_DEP_2) | instskip(SKIP_1) | instid1(VALU_DEP_3)
	v_pk_fma_f32 v[140:141], v[142:143], v[46:47], v[140:141] op_sel_hi:[1,1,0] neg_lo:[0,0,1] neg_hi:[0,0,1]
	v_mul_f32_e32 v142, v143, v128
	v_pk_add_f32 v[16:17], v[16:17], v[144:145] neg_lo:[0,1] neg_hi:[0,1]
	s_delay_alu instid0(VALU_DEP_2) | instskip(NEXT) | instid1(VALU_DEP_1)
	v_pk_fma_f32 v[132:133], v[132:133], v[46:47], v[142:143] op_sel_hi:[1,1,0]
	v_mov_b32_e32 v141, v133
	s_delay_alu instid0(VALU_DEP_1) | instskip(SKIP_3) | instid1(VALU_DEP_1)
	v_pk_add_f32 v[12:13], v[12:13], v[140:141] neg_lo:[0,1] neg_hi:[0,1]
	ds_load_2addr_b64 v[140:143], v135 offset0:54 offset1:55
	s_wait_dscnt 0x0
	v_pk_mul_f32 v[132:133], v[140:141], v[130:131] op_sel:[0,1]
	v_pk_fma_f32 v[144:145], v[140:141], v[128:129], v[132:133] op_sel:[0,0,1] op_sel_hi:[1,1,0] neg_lo:[0,0,1] neg_hi:[0,0,1]
	v_pk_fma_f32 v[132:133], v[140:141], v[128:129], v[132:133] op_sel:[0,0,1] op_sel_hi:[1,0,0]
	s_delay_alu instid0(VALU_DEP_1) | instskip(SKIP_1) | instid1(VALU_DEP_1)
	v_mov_b32_e32 v145, v133
	v_pk_mul_f32 v[132:133], v[142:143], v[130:131] op_sel:[0,1]
	v_pk_fma_f32 v[140:141], v[142:143], v[128:129], v[132:133] op_sel:[0,0,1] op_sel_hi:[1,1,0] neg_lo:[0,0,1] neg_hi:[0,0,1]
	v_pk_fma_f32 v[132:133], v[142:143], v[128:129], v[132:133] op_sel:[0,0,1] op_sel_hi:[1,0,0]
	s_delay_alu instid0(VALU_DEP_1) | instskip(SKIP_1) | instid1(VALU_DEP_2)
	v_mov_b32_e32 v141, v133
	v_pk_add_f32 v[14:15], v[14:15], v[144:145] neg_lo:[0,1] neg_hi:[0,1]
	v_pk_add_f32 v[10:11], v[10:11], v[140:141] neg_lo:[0,1] neg_hi:[0,1]
	ds_load_2addr_b64 v[140:143], v135 offset0:56 offset1:57
	s_wait_dscnt 0x0
	v_pk_mul_f32 v[132:133], v[140:141], v[130:131] op_sel:[0,1]
	s_delay_alu instid0(VALU_DEP_1) | instskip(SKIP_1) | instid1(VALU_DEP_1)
	v_pk_fma_f32 v[144:145], v[140:141], v[128:129], v[132:133] op_sel:[0,0,1] op_sel_hi:[1,1,0] neg_lo:[0,0,1] neg_hi:[0,0,1]
	v_pk_fma_f32 v[132:133], v[140:141], v[128:129], v[132:133] op_sel:[0,0,1] op_sel_hi:[1,0,0]
	v_mov_b32_e32 v145, v133
	v_pk_mul_f32 v[132:133], v[142:143], v[130:131] op_sel:[0,1]
	s_delay_alu instid0(VALU_DEP_1) | instskip(SKIP_1) | instid1(VALU_DEP_1)
	v_pk_fma_f32 v[140:141], v[142:143], v[128:129], v[132:133] op_sel:[0,0,1] op_sel_hi:[1,1,0] neg_lo:[0,0,1] neg_hi:[0,0,1]
	v_pk_fma_f32 v[132:133], v[142:143], v[128:129], v[132:133] op_sel:[0,0,1] op_sel_hi:[1,0,0]
	v_mov_b32_e32 v141, v133
	v_pk_add_f32 v[6:7], v[6:7], v[144:145] neg_lo:[0,1] neg_hi:[0,1]
	s_delay_alu instid0(VALU_DEP_2) | instskip(SKIP_3) | instid1(VALU_DEP_1)
	v_pk_add_f32 v[20:21], v[20:21], v[140:141] neg_lo:[0,1] neg_hi:[0,1]
	ds_load_2addr_b64 v[140:143], v135 offset0:58 offset1:59
	s_wait_dscnt 0x0
	v_dual_mul_f32 v132, v141, v131 :: v_dual_mul_f32 v144, v141, v128
	v_pk_fma_f32 v[132:133], v[140:141], v[46:47], v[132:133] op_sel_hi:[1,1,0] neg_lo:[0,0,1] neg_hi:[0,0,1]
	s_delay_alu instid0(VALU_DEP_2) | instskip(NEXT) | instid1(VALU_DEP_1)
	v_pk_fma_f32 v[140:141], v[140:141], v[46:47], v[144:145] op_sel:[1,0,0] op_sel_hi:[0,1,0]
	v_mov_b32_e32 v133, v141
	s_delay_alu instid0(VALU_DEP_1) | instskip(SKIP_1) | instid1(VALU_DEP_1)
	v_pk_add_f32 v[18:19], v[18:19], v[132:133] neg_lo:[0,1] neg_hi:[0,1]
	v_pk_mul_f32 v[132:133], v[142:143], v[130:131] op_sel:[0,1]
	v_pk_fma_f32 v[140:141], v[142:143], v[128:129], v[132:133] op_sel:[0,0,1] op_sel_hi:[1,1,0] neg_lo:[0,0,1] neg_hi:[0,0,1]
	v_pk_fma_f32 v[132:133], v[142:143], v[128:129], v[132:133] op_sel:[0,0,1] op_sel_hi:[1,0,0]
	s_delay_alu instid0(VALU_DEP_1) | instskip(SKIP_4) | instid1(VALU_DEP_1)
	v_mov_b32_e32 v141, v133
	ds_load_b64 v[132:133], v135 offset:480
	v_pk_add_f32 v[8:9], v[8:9], v[140:141] neg_lo:[0,1] neg_hi:[0,1]
	s_wait_dscnt 0x0
	v_pk_mul_f32 v[130:131], v[132:133], v[130:131] op_sel:[0,1]
	v_pk_fma_f32 v[140:141], v[132:133], v[128:129], v[130:131] op_sel:[0,0,1] op_sel_hi:[1,1,0] neg_lo:[0,0,1] neg_hi:[0,0,1]
	v_pk_fma_f32 v[128:129], v[132:133], v[128:129], v[130:131] op_sel:[0,0,1] op_sel_hi:[1,0,0]
	s_delay_alu instid0(VALU_DEP_1) | instskip(NEXT) | instid1(VALU_DEP_1)
	v_mov_b32_e32 v141, v129
	v_pk_add_f32 v[126:127], v[126:127], v[140:141] neg_lo:[0,1] neg_hi:[0,1]
.LBB120_839:
	s_or_b32 exec_lo, exec_lo, s0
	v_lshl_add_u32 v128, v138, 3, v135
	s_barrier_signal -1
	s_barrier_wait -1
	ds_store_b64 v128, v[42:43]
	s_wait_dscnt 0x0
	s_barrier_signal -1
	s_barrier_wait -1
	ds_load_b64 v[130:131], v135 offset:320
	v_mov_b32_e32 v128, 40
	s_cmp_lt_i32 s18, 42
	s_cbranch_scc1 .LBB120_842
; %bb.840:
	v_add3_u32 v129, v136, 0, 0x148
	v_mov_b32_e32 v128, 40
	s_mov_b32 s0, 41
.LBB120_841:                            ; =>This Inner Loop Header: Depth=1
	ds_load_b64 v[132:133], v129
	s_wait_dscnt 0x1
	v_cmp_gt_f32_e32 vcc_lo, 0, v130
	v_cndmask_b32_e64 v140, v130, -v130, vcc_lo
	v_cmp_gt_f32_e32 vcc_lo, 0, v131
	v_cndmask_b32_e64 v142, v131, -v131, vcc_lo
	s_wait_dscnt 0x0
	v_cmp_gt_f32_e32 vcc_lo, 0, v132
	v_cndmask_b32_e64 v141, v132, -v132, vcc_lo
	v_cmp_gt_f32_e32 vcc_lo, 0, v133
	v_cndmask_b32_e64 v143, v133, -v133, vcc_lo
	s_delay_alu instid0(VALU_DEP_1) | instskip(NEXT) | instid1(VALU_DEP_1)
	v_pk_add_f32 v[140:141], v[140:141], v[142:143]
	v_cmp_lt_f32_e32 vcc_lo, v140, v141
	v_dual_cndmask_b32 v130, v130, v132 :: v_dual_add_nc_u32 v129, 8, v129
	v_cndmask_b32_e32 v131, v131, v133, vcc_lo
	v_cndmask_b32_e64 v128, v128, s0, vcc_lo
	s_add_co_i32 s0, s0, 1
	s_delay_alu instid0(SALU_CYCLE_1)
	s_cmp_lg_u32 s18, s0
	s_cbranch_scc1 .LBB120_841
.LBB120_842:
	s_wait_dscnt 0x0
	v_cmp_eq_f32_e32 vcc_lo, 0, v130
	v_cmp_eq_f32_e64 s0, 0, v131
	s_and_b32 s0, vcc_lo, s0
	s_delay_alu instid0(SALU_CYCLE_1) | instskip(NEXT) | instid1(SALU_CYCLE_1)
	s_and_saveexec_b32 s1, s0
	s_xor_b32 s0, exec_lo, s1
; %bb.843:
	v_cmp_ne_u32_e32 vcc_lo, 0, v134
	v_cndmask_b32_e32 v134, 41, v134, vcc_lo
; %bb.844:
	s_and_not1_saveexec_b32 s0, s0
	s_cbranch_execz .LBB120_850
; %bb.845:
	v_cmp_ngt_f32_e64 s1, |v130|, |v131|
	s_and_saveexec_b32 s12, s1
	s_delay_alu instid0(SALU_CYCLE_1)
	s_xor_b32 s1, exec_lo, s12
	s_cbranch_execz .LBB120_847
; %bb.846:
	v_div_scale_f32 v129, null, v131, v131, v130
	v_div_scale_f32 v139, vcc_lo, v130, v131, v130
	s_delay_alu instid0(VALU_DEP_2) | instskip(SKIP_1) | instid1(TRANS32_DEP_1)
	v_rcp_f32_e32 v132, v129
	v_nop
	v_fma_f32 v133, -v129, v132, 1.0
	s_delay_alu instid0(VALU_DEP_1) | instskip(NEXT) | instid1(VALU_DEP_1)
	v_fmac_f32_e32 v132, v133, v132
	v_mul_f32_e32 v133, v139, v132
	s_delay_alu instid0(VALU_DEP_1) | instskip(NEXT) | instid1(VALU_DEP_1)
	v_fma_f32 v140, -v129, v133, v139
	v_fmac_f32_e32 v133, v140, v132
	s_delay_alu instid0(VALU_DEP_1) | instskip(NEXT) | instid1(VALU_DEP_1)
	v_fma_f32 v129, -v129, v133, v139
	v_div_fmas_f32 v129, v129, v132, v133
	s_delay_alu instid0(VALU_DEP_1) | instskip(NEXT) | instid1(VALU_DEP_1)
	v_div_fixup_f32 v129, v129, v131, v130
	v_fmac_f32_e32 v131, v130, v129
	s_delay_alu instid0(VALU_DEP_1) | instskip(SKIP_1) | instid1(VALU_DEP_2)
	v_div_scale_f32 v130, null, v131, v131, 1.0
	v_div_scale_f32 v139, vcc_lo, 1.0, v131, 1.0
	v_rcp_f32_e32 v132, v130
	v_nop
	s_delay_alu instid0(TRANS32_DEP_1) | instskip(NEXT) | instid1(VALU_DEP_1)
	v_fma_f32 v133, -v130, v132, 1.0
	v_fmac_f32_e32 v132, v133, v132
	s_delay_alu instid0(VALU_DEP_1) | instskip(NEXT) | instid1(VALU_DEP_1)
	v_mul_f32_e32 v133, v139, v132
	v_fma_f32 v140, -v130, v133, v139
	s_delay_alu instid0(VALU_DEP_1) | instskip(NEXT) | instid1(VALU_DEP_1)
	v_fmac_f32_e32 v133, v140, v132
	v_fma_f32 v130, -v130, v133, v139
	s_delay_alu instid0(VALU_DEP_1) | instskip(NEXT) | instid1(VALU_DEP_1)
	v_div_fmas_f32 v130, v130, v132, v133
	v_div_fixup_f32 v131, v130, v131, 1.0
	s_delay_alu instid0(VALU_DEP_1)
	v_mul_f32_e32 v130, v129, v131
	v_xor_b32_e32 v131, 0x80000000, v131
.LBB120_847:
	s_and_not1_saveexec_b32 s1, s1
	s_cbranch_execz .LBB120_849
; %bb.848:
	s_delay_alu instid0(VALU_DEP_1) | instskip(SKIP_1) | instid1(VALU_DEP_2)
	v_div_scale_f32 v129, null, v130, v130, v131
	v_div_scale_f32 v139, vcc_lo, v131, v130, v131
	v_rcp_f32_e32 v132, v129
	v_nop
	s_delay_alu instid0(TRANS32_DEP_1) | instskip(NEXT) | instid1(VALU_DEP_1)
	v_fma_f32 v133, -v129, v132, 1.0
	v_fmac_f32_e32 v132, v133, v132
	s_delay_alu instid0(VALU_DEP_1) | instskip(NEXT) | instid1(VALU_DEP_1)
	v_mul_f32_e32 v133, v139, v132
	v_fma_f32 v140, -v129, v133, v139
	s_delay_alu instid0(VALU_DEP_1) | instskip(NEXT) | instid1(VALU_DEP_1)
	v_fmac_f32_e32 v133, v140, v132
	v_fma_f32 v129, -v129, v133, v139
	s_delay_alu instid0(VALU_DEP_1) | instskip(NEXT) | instid1(VALU_DEP_1)
	v_div_fmas_f32 v129, v129, v132, v133
	v_div_fixup_f32 v129, v129, v130, v131
	s_delay_alu instid0(VALU_DEP_1) | instskip(NEXT) | instid1(VALU_DEP_1)
	v_fmac_f32_e32 v130, v131, v129
	v_div_scale_f32 v131, null, v130, v130, 1.0
	s_delay_alu instid0(VALU_DEP_1) | instskip(SKIP_1) | instid1(TRANS32_DEP_1)
	v_rcp_f32_e32 v132, v131
	v_nop
	v_fma_f32 v133, -v131, v132, 1.0
	s_delay_alu instid0(VALU_DEP_1) | instskip(SKIP_1) | instid1(VALU_DEP_1)
	v_fmac_f32_e32 v132, v133, v132
	v_div_scale_f32 v133, vcc_lo, 1.0, v130, 1.0
	v_mul_f32_e32 v139, v133, v132
	s_delay_alu instid0(VALU_DEP_1) | instskip(NEXT) | instid1(VALU_DEP_1)
	v_fma_f32 v140, -v131, v139, v133
	v_fmac_f32_e32 v139, v140, v132
	s_delay_alu instid0(VALU_DEP_1) | instskip(NEXT) | instid1(VALU_DEP_1)
	v_fma_f32 v131, -v131, v139, v133
	v_div_fmas_f32 v131, v131, v132, v139
	s_delay_alu instid0(VALU_DEP_1) | instskip(NEXT) | instid1(VALU_DEP_1)
	v_div_fixup_f32 v130, v131, v130, 1.0
	v_mul_f32_e64 v131, v129, -v130
.LBB120_849:
	s_or_b32 exec_lo, exec_lo, s1
.LBB120_850:
	s_delay_alu instid0(SALU_CYCLE_1) | instskip(NEXT) | instid1(SALU_CYCLE_1)
	s_or_b32 exec_lo, exec_lo, s0
	s_mov_b32 s0, exec_lo
	v_cmpx_ne_u32_e64 v138, v128
	s_xor_b32 s0, exec_lo, s0
	s_cbranch_execz .LBB120_856
; %bb.851:
	s_mov_b32 s1, exec_lo
	v_cmpx_eq_u32_e32 40, v138
	s_cbranch_execz .LBB120_855
; %bb.852:
	v_cmp_ne_u32_e32 vcc_lo, 40, v128
	s_xor_b32 s12, s16, -1
	s_delay_alu instid0(SALU_CYCLE_1) | instskip(NEXT) | instid1(SALU_CYCLE_1)
	s_and_b32 s13, s12, vcc_lo
	s_and_saveexec_b32 s12, s13
	s_cbranch_execz .LBB120_854
; %bb.853:
	v_ashrrev_i32_e32 v129, 31, v128
	s_delay_alu instid0(VALU_DEP_1)
	v_lshl_add_u64 v[132:133], v[128:129], 2, v[4:5]
	s_clause 0x1
	global_load_b32 v129, v[132:133], off
	global_load_b32 v137, v[4:5], off offset:160
	s_wait_loadcnt 0x1
	global_store_b32 v[4:5], v129, off offset:160
	s_wait_loadcnt 0x0
	global_store_b32 v[132:133], v137, off
.LBB120_854:
	s_wait_xcnt 0x0
	s_or_b32 exec_lo, exec_lo, s12
	v_dual_mov_b32 v138, v128 :: v_dual_mov_b32 v137, v128
.LBB120_855:
	s_or_b32 exec_lo, exec_lo, s1
.LBB120_856:
	s_and_not1_saveexec_b32 s0, s0
	s_cbranch_execz .LBB120_858
; %bb.857:
	v_mov_b32_e32 v138, 40
	ds_store_2addr_b64 v135, v[38:39], v[40:41] offset0:41 offset1:42
	ds_store_2addr_b64 v135, v[36:37], v[34:35] offset0:43 offset1:44
	;; [unrolled: 1-line block ×10, first 2 shown]
.LBB120_858:
	s_or_b32 exec_lo, exec_lo, s0
	s_delay_alu instid0(SALU_CYCLE_1)
	s_mov_b32 s0, exec_lo
	s_wait_storecnt_dscnt 0x0
	s_barrier_signal -1
	s_barrier_wait -1
	v_cmpx_lt_i32_e32 40, v138
	s_cbranch_execz .LBB120_860
; %bb.859:
	ds_load_2addr_b64 v[140:143], v135 offset0:41 offset1:42
	v_pk_mul_f32 v[132:133], v[130:131], v[42:43] op_sel:[1,1] op_sel_hi:[0,1]
	s_delay_alu instid0(VALU_DEP_1) | instskip(SKIP_1) | instid1(VALU_DEP_1)
	v_pk_fma_f32 v[128:129], v[130:131], v[42:43], v[132:133] op_sel_hi:[1,0,1] neg_lo:[0,0,1] neg_hi:[0,0,1]
	v_pk_fma_f32 v[130:131], v[130:131], v[42:43], v[132:133] op_sel_hi:[1,0,1]
	v_dual_mov_b32 v42, v128 :: v_dual_mov_b32 v43, v131
	s_wait_dscnt 0x0
	s_delay_alu instid0(VALU_DEP_2) | instskip(NEXT) | instid1(VALU_DEP_1)
	v_pk_mul_f32 v[132:133], v[140:141], v[130:131] op_sel:[0,1]
	v_pk_fma_f32 v[144:145], v[140:141], v[128:129], v[132:133] op_sel:[0,0,1] op_sel_hi:[1,1,0] neg_lo:[0,0,1] neg_hi:[0,0,1]
	v_pk_fma_f32 v[132:133], v[140:141], v[128:129], v[132:133] op_sel:[0,0,1] op_sel_hi:[1,0,0]
	s_delay_alu instid0(VALU_DEP_1) | instskip(SKIP_1) | instid1(VALU_DEP_1)
	v_mov_b32_e32 v145, v133
	v_pk_mul_f32 v[132:133], v[142:143], v[130:131] op_sel:[0,1]
	v_pk_fma_f32 v[140:141], v[142:143], v[128:129], v[132:133] op_sel:[0,0,1] op_sel_hi:[1,1,0] neg_lo:[0,0,1] neg_hi:[0,0,1]
	v_pk_fma_f32 v[132:133], v[142:143], v[128:129], v[132:133] op_sel:[0,0,1] op_sel_hi:[1,0,0]
	s_delay_alu instid0(VALU_DEP_1) | instskip(SKIP_1) | instid1(VALU_DEP_2)
	v_mov_b32_e32 v141, v133
	v_pk_add_f32 v[38:39], v[38:39], v[144:145] neg_lo:[0,1] neg_hi:[0,1]
	v_pk_add_f32 v[40:41], v[40:41], v[140:141] neg_lo:[0,1] neg_hi:[0,1]
	ds_load_2addr_b64 v[140:143], v135 offset0:43 offset1:44
	s_wait_dscnt 0x0
	v_pk_mul_f32 v[132:133], v[140:141], v[130:131] op_sel:[0,1]
	s_delay_alu instid0(VALU_DEP_1) | instskip(SKIP_2) | instid1(VALU_DEP_2)
	v_pk_fma_f32 v[144:145], v[140:141], v[128:129], v[132:133] op_sel:[0,0,1] op_sel_hi:[1,1,0] neg_lo:[0,0,1] neg_hi:[0,0,1]
	v_pk_fma_f32 v[132:133], v[140:141], v[128:129], v[132:133] op_sel:[0,0,1] op_sel_hi:[1,0,0]
	v_dual_mul_f32 v140, v143, v131 :: v_dual_mov_b32 v132, v143
	v_dual_mov_b32 v145, v133 :: v_dual_mov_b32 v133, v142
	s_delay_alu instid0(VALU_DEP_2) | instskip(SKIP_1) | instid1(VALU_DEP_3)
	v_pk_fma_f32 v[140:141], v[142:143], v[42:43], v[140:141] op_sel_hi:[1,1,0] neg_lo:[0,0,1] neg_hi:[0,0,1]
	v_mul_f32_e32 v142, v143, v128
	v_pk_add_f32 v[36:37], v[36:37], v[144:145] neg_lo:[0,1] neg_hi:[0,1]
	s_delay_alu instid0(VALU_DEP_2) | instskip(NEXT) | instid1(VALU_DEP_1)
	v_pk_fma_f32 v[132:133], v[132:133], v[42:43], v[142:143] op_sel_hi:[1,1,0]
	v_mov_b32_e32 v141, v133
	s_delay_alu instid0(VALU_DEP_1) | instskip(SKIP_3) | instid1(VALU_DEP_1)
	v_pk_add_f32 v[34:35], v[34:35], v[140:141] neg_lo:[0,1] neg_hi:[0,1]
	ds_load_2addr_b64 v[140:143], v135 offset0:45 offset1:46
	s_wait_dscnt 0x0
	v_pk_mul_f32 v[132:133], v[140:141], v[130:131] op_sel:[0,1]
	v_pk_fma_f32 v[144:145], v[140:141], v[128:129], v[132:133] op_sel:[0,0,1] op_sel_hi:[1,1,0] neg_lo:[0,0,1] neg_hi:[0,0,1]
	v_pk_fma_f32 v[132:133], v[140:141], v[128:129], v[132:133] op_sel:[0,0,1] op_sel_hi:[1,0,0]
	s_delay_alu instid0(VALU_DEP_1) | instskip(SKIP_1) | instid1(VALU_DEP_1)
	v_mov_b32_e32 v145, v133
	v_pk_mul_f32 v[132:133], v[142:143], v[130:131] op_sel:[0,1]
	v_pk_fma_f32 v[140:141], v[142:143], v[128:129], v[132:133] op_sel:[0,0,1] op_sel_hi:[1,1,0] neg_lo:[0,0,1] neg_hi:[0,0,1]
	v_pk_fma_f32 v[132:133], v[142:143], v[128:129], v[132:133] op_sel:[0,0,1] op_sel_hi:[1,0,0]
	s_delay_alu instid0(VALU_DEP_1) | instskip(SKIP_1) | instid1(VALU_DEP_2)
	v_mov_b32_e32 v141, v133
	v_pk_add_f32 v[30:31], v[30:31], v[144:145] neg_lo:[0,1] neg_hi:[0,1]
	v_pk_add_f32 v[32:33], v[32:33], v[140:141] neg_lo:[0,1] neg_hi:[0,1]
	ds_load_2addr_b64 v[140:143], v135 offset0:47 offset1:48
	s_wait_dscnt 0x0
	v_pk_mul_f32 v[132:133], v[140:141], v[130:131] op_sel:[0,1]
	s_delay_alu instid0(VALU_DEP_1) | instskip(SKIP_1) | instid1(VALU_DEP_1)
	v_pk_fma_f32 v[144:145], v[140:141], v[128:129], v[132:133] op_sel:[0,0,1] op_sel_hi:[1,1,0] neg_lo:[0,0,1] neg_hi:[0,0,1]
	v_pk_fma_f32 v[132:133], v[140:141], v[128:129], v[132:133] op_sel:[0,0,1] op_sel_hi:[1,0,0]
	v_mov_b32_e32 v145, v133
	v_pk_mul_f32 v[132:133], v[142:143], v[130:131] op_sel:[0,1]
	s_delay_alu instid0(VALU_DEP_1) | instskip(SKIP_1) | instid1(VALU_DEP_1)
	v_pk_fma_f32 v[140:141], v[142:143], v[128:129], v[132:133] op_sel:[0,0,1] op_sel_hi:[1,1,0] neg_lo:[0,0,1] neg_hi:[0,0,1]
	v_pk_fma_f32 v[132:133], v[142:143], v[128:129], v[132:133] op_sel:[0,0,1] op_sel_hi:[1,0,0]
	v_mov_b32_e32 v141, v133
	v_pk_add_f32 v[28:29], v[28:29], v[144:145] neg_lo:[0,1] neg_hi:[0,1]
	s_delay_alu instid0(VALU_DEP_2) | instskip(SKIP_3) | instid1(VALU_DEP_1)
	v_pk_add_f32 v[26:27], v[26:27], v[140:141] neg_lo:[0,1] neg_hi:[0,1]
	ds_load_2addr_b64 v[140:143], v135 offset0:49 offset1:50
	s_wait_dscnt 0x0
	v_dual_mul_f32 v132, v141, v131 :: v_dual_mul_f32 v144, v141, v128
	v_pk_fma_f32 v[132:133], v[140:141], v[42:43], v[132:133] op_sel_hi:[1,1,0] neg_lo:[0,0,1] neg_hi:[0,0,1]
	s_delay_alu instid0(VALU_DEP_2) | instskip(NEXT) | instid1(VALU_DEP_1)
	v_pk_fma_f32 v[140:141], v[140:141], v[42:43], v[144:145] op_sel:[1,0,0] op_sel_hi:[0,1,0]
	v_mov_b32_e32 v133, v141
	s_delay_alu instid0(VALU_DEP_1) | instskip(SKIP_1) | instid1(VALU_DEP_1)
	v_pk_add_f32 v[22:23], v[22:23], v[132:133] neg_lo:[0,1] neg_hi:[0,1]
	v_pk_mul_f32 v[132:133], v[142:143], v[130:131] op_sel:[0,1]
	v_pk_fma_f32 v[140:141], v[142:143], v[128:129], v[132:133] op_sel:[0,0,1] op_sel_hi:[1,1,0] neg_lo:[0,0,1] neg_hi:[0,0,1]
	v_pk_fma_f32 v[132:133], v[142:143], v[128:129], v[132:133] op_sel:[0,0,1] op_sel_hi:[1,0,0]
	s_delay_alu instid0(VALU_DEP_1) | instskip(NEXT) | instid1(VALU_DEP_1)
	v_mov_b32_e32 v141, v133
	v_pk_add_f32 v[24:25], v[24:25], v[140:141] neg_lo:[0,1] neg_hi:[0,1]
	ds_load_2addr_b64 v[140:143], v135 offset0:51 offset1:52
	s_wait_dscnt 0x0
	v_pk_mul_f32 v[132:133], v[140:141], v[130:131] op_sel:[0,1]
	s_delay_alu instid0(VALU_DEP_1) | instskip(SKIP_1) | instid1(VALU_DEP_1)
	v_pk_fma_f32 v[144:145], v[140:141], v[128:129], v[132:133] op_sel:[0,0,1] op_sel_hi:[1,1,0] neg_lo:[0,0,1] neg_hi:[0,0,1]
	v_pk_fma_f32 v[132:133], v[140:141], v[128:129], v[132:133] op_sel:[0,0,1] op_sel_hi:[1,0,0]
	v_mov_b32_e32 v145, v133
	v_pk_mul_f32 v[132:133], v[142:143], v[130:131] op_sel:[0,1]
	s_delay_alu instid0(VALU_DEP_2) | instskip(NEXT) | instid1(VALU_DEP_2)
	v_pk_add_f32 v[44:45], v[44:45], v[144:145] neg_lo:[0,1] neg_hi:[0,1]
	v_pk_fma_f32 v[140:141], v[142:143], v[128:129], v[132:133] op_sel:[0,0,1] op_sel_hi:[1,1,0] neg_lo:[0,0,1] neg_hi:[0,0,1]
	v_pk_fma_f32 v[132:133], v[142:143], v[128:129], v[132:133] op_sel:[0,0,1] op_sel_hi:[1,0,0]
	s_delay_alu instid0(VALU_DEP_1) | instskip(NEXT) | instid1(VALU_DEP_1)
	v_mov_b32_e32 v141, v133
	v_pk_add_f32 v[16:17], v[16:17], v[140:141] neg_lo:[0,1] neg_hi:[0,1]
	ds_load_2addr_b64 v[140:143], v135 offset0:53 offset1:54
	s_wait_dscnt 0x0
	v_pk_mul_f32 v[132:133], v[140:141], v[130:131] op_sel:[0,1]
	s_delay_alu instid0(VALU_DEP_1) | instskip(SKIP_2) | instid1(VALU_DEP_2)
	v_pk_fma_f32 v[144:145], v[140:141], v[128:129], v[132:133] op_sel:[0,0,1] op_sel_hi:[1,1,0] neg_lo:[0,0,1] neg_hi:[0,0,1]
	v_pk_fma_f32 v[132:133], v[140:141], v[128:129], v[132:133] op_sel:[0,0,1] op_sel_hi:[1,0,0]
	v_dual_mul_f32 v140, v143, v131 :: v_dual_mov_b32 v132, v143
	v_dual_mov_b32 v145, v133 :: v_dual_mov_b32 v133, v142
	s_delay_alu instid0(VALU_DEP_2) | instskip(SKIP_1) | instid1(VALU_DEP_3)
	v_pk_fma_f32 v[140:141], v[142:143], v[42:43], v[140:141] op_sel_hi:[1,1,0] neg_lo:[0,0,1] neg_hi:[0,0,1]
	v_mul_f32_e32 v142, v143, v128
	v_pk_add_f32 v[12:13], v[12:13], v[144:145] neg_lo:[0,1] neg_hi:[0,1]
	s_delay_alu instid0(VALU_DEP_2) | instskip(NEXT) | instid1(VALU_DEP_1)
	v_pk_fma_f32 v[132:133], v[132:133], v[42:43], v[142:143] op_sel_hi:[1,1,0]
	v_mov_b32_e32 v141, v133
	s_delay_alu instid0(VALU_DEP_1) | instskip(SKIP_3) | instid1(VALU_DEP_1)
	v_pk_add_f32 v[14:15], v[14:15], v[140:141] neg_lo:[0,1] neg_hi:[0,1]
	ds_load_2addr_b64 v[140:143], v135 offset0:55 offset1:56
	s_wait_dscnt 0x0
	v_pk_mul_f32 v[132:133], v[140:141], v[130:131] op_sel:[0,1]
	v_pk_fma_f32 v[144:145], v[140:141], v[128:129], v[132:133] op_sel:[0,0,1] op_sel_hi:[1,1,0] neg_lo:[0,0,1] neg_hi:[0,0,1]
	v_pk_fma_f32 v[132:133], v[140:141], v[128:129], v[132:133] op_sel:[0,0,1] op_sel_hi:[1,0,0]
	s_delay_alu instid0(VALU_DEP_1) | instskip(SKIP_1) | instid1(VALU_DEP_1)
	v_mov_b32_e32 v145, v133
	v_pk_mul_f32 v[132:133], v[142:143], v[130:131] op_sel:[0,1]
	v_pk_fma_f32 v[140:141], v[142:143], v[128:129], v[132:133] op_sel:[0,0,1] op_sel_hi:[1,1,0] neg_lo:[0,0,1] neg_hi:[0,0,1]
	v_pk_fma_f32 v[132:133], v[142:143], v[128:129], v[132:133] op_sel:[0,0,1] op_sel_hi:[1,0,0]
	s_delay_alu instid0(VALU_DEP_1) | instskip(SKIP_1) | instid1(VALU_DEP_2)
	v_mov_b32_e32 v141, v133
	v_pk_add_f32 v[10:11], v[10:11], v[144:145] neg_lo:[0,1] neg_hi:[0,1]
	v_pk_add_f32 v[6:7], v[6:7], v[140:141] neg_lo:[0,1] neg_hi:[0,1]
	ds_load_2addr_b64 v[140:143], v135 offset0:57 offset1:58
	s_wait_dscnt 0x0
	v_pk_mul_f32 v[132:133], v[140:141], v[130:131] op_sel:[0,1]
	s_delay_alu instid0(VALU_DEP_1) | instskip(SKIP_1) | instid1(VALU_DEP_1)
	v_pk_fma_f32 v[144:145], v[140:141], v[128:129], v[132:133] op_sel:[0,0,1] op_sel_hi:[1,1,0] neg_lo:[0,0,1] neg_hi:[0,0,1]
	v_pk_fma_f32 v[132:133], v[140:141], v[128:129], v[132:133] op_sel:[0,0,1] op_sel_hi:[1,0,0]
	v_mov_b32_e32 v145, v133
	v_pk_mul_f32 v[132:133], v[142:143], v[130:131] op_sel:[0,1]
	s_delay_alu instid0(VALU_DEP_1) | instskip(SKIP_1) | instid1(VALU_DEP_1)
	v_pk_fma_f32 v[140:141], v[142:143], v[128:129], v[132:133] op_sel:[0,0,1] op_sel_hi:[1,1,0] neg_lo:[0,0,1] neg_hi:[0,0,1]
	v_pk_fma_f32 v[132:133], v[142:143], v[128:129], v[132:133] op_sel:[0,0,1] op_sel_hi:[1,0,0]
	v_mov_b32_e32 v141, v133
	v_pk_add_f32 v[20:21], v[20:21], v[144:145] neg_lo:[0,1] neg_hi:[0,1]
	s_delay_alu instid0(VALU_DEP_2) | instskip(SKIP_4) | instid1(VALU_DEP_2)
	v_pk_add_f32 v[18:19], v[18:19], v[140:141] neg_lo:[0,1] neg_hi:[0,1]
	ds_load_2addr_b64 v[140:143], v135 offset0:59 offset1:60
	s_wait_dscnt 0x0
	v_dual_mul_f32 v132, v141, v131 :: v_dual_mul_f32 v144, v141, v128
	v_pk_mul_f32 v[130:131], v[142:143], v[130:131] op_sel:[0,1]
	v_pk_fma_f32 v[132:133], v[140:141], v[42:43], v[132:133] op_sel_hi:[1,1,0] neg_lo:[0,0,1] neg_hi:[0,0,1]
	s_delay_alu instid0(VALU_DEP_3) | instskip(NEXT) | instid1(VALU_DEP_1)
	v_pk_fma_f32 v[140:141], v[140:141], v[42:43], v[144:145] op_sel:[1,0,0] op_sel_hi:[0,1,0]
	v_mov_b32_e32 v133, v141
	s_delay_alu instid0(VALU_DEP_1) | instskip(SKIP_2) | instid1(VALU_DEP_1)
	v_pk_add_f32 v[8:9], v[8:9], v[132:133] neg_lo:[0,1] neg_hi:[0,1]
	v_pk_fma_f32 v[132:133], v[142:143], v[128:129], v[130:131] op_sel:[0,0,1] op_sel_hi:[1,1,0] neg_lo:[0,0,1] neg_hi:[0,0,1]
	v_pk_fma_f32 v[128:129], v[142:143], v[128:129], v[130:131] op_sel:[0,0,1] op_sel_hi:[1,0,0]
	v_mov_b32_e32 v133, v129
	s_delay_alu instid0(VALU_DEP_1)
	v_pk_add_f32 v[126:127], v[126:127], v[132:133] neg_lo:[0,1] neg_hi:[0,1]
.LBB120_860:
	s_or_b32 exec_lo, exec_lo, s0
	v_lshl_add_u32 v128, v138, 3, v135
	s_barrier_signal -1
	s_barrier_wait -1
	ds_store_b64 v128, v[38:39]
	s_wait_dscnt 0x0
	s_barrier_signal -1
	s_barrier_wait -1
	ds_load_b64 v[128:129], v135 offset:328
	v_mov_b32_e32 v130, 41
	s_cmp_lt_i32 s18, 43
	s_cbranch_scc1 .LBB120_863
; %bb.861:
	v_add3_u32 v131, v136, 0, 0x150
	v_mov_b32_e32 v130, 41
	s_mov_b32 s0, 42
.LBB120_862:                            ; =>This Inner Loop Header: Depth=1
	ds_load_b64 v[132:133], v131
	s_wait_dscnt 0x1
	v_cmp_gt_f32_e32 vcc_lo, 0, v128
	v_cndmask_b32_e64 v140, v128, -v128, vcc_lo
	v_cmp_gt_f32_e32 vcc_lo, 0, v129
	v_cndmask_b32_e64 v142, v129, -v129, vcc_lo
	s_wait_dscnt 0x0
	v_cmp_gt_f32_e32 vcc_lo, 0, v132
	v_cndmask_b32_e64 v141, v132, -v132, vcc_lo
	v_cmp_gt_f32_e32 vcc_lo, 0, v133
	v_cndmask_b32_e64 v143, v133, -v133, vcc_lo
	s_delay_alu instid0(VALU_DEP_1) | instskip(NEXT) | instid1(VALU_DEP_1)
	v_pk_add_f32 v[140:141], v[140:141], v[142:143]
	v_cmp_lt_f32_e32 vcc_lo, v140, v141
	v_dual_add_nc_u32 v131, 8, v131 :: v_dual_cndmask_b32 v129, v129, v133, vcc_lo
	v_cndmask_b32_e32 v128, v128, v132, vcc_lo
	v_cndmask_b32_e64 v130, v130, s0, vcc_lo
	s_add_co_i32 s0, s0, 1
	s_delay_alu instid0(SALU_CYCLE_1)
	s_cmp_lg_u32 s18, s0
	s_cbranch_scc1 .LBB120_862
.LBB120_863:
	s_wait_dscnt 0x0
	v_cmp_eq_f32_e32 vcc_lo, 0, v128
	v_cmp_eq_f32_e64 s0, 0, v129
	s_and_b32 s0, vcc_lo, s0
	s_delay_alu instid0(SALU_CYCLE_1) | instskip(NEXT) | instid1(SALU_CYCLE_1)
	s_and_saveexec_b32 s1, s0
	s_xor_b32 s0, exec_lo, s1
; %bb.864:
	v_cmp_ne_u32_e32 vcc_lo, 0, v134
	v_cndmask_b32_e32 v134, 42, v134, vcc_lo
; %bb.865:
	s_and_not1_saveexec_b32 s0, s0
	s_cbranch_execz .LBB120_871
; %bb.866:
	v_cmp_ngt_f32_e64 s1, |v128|, |v129|
	s_and_saveexec_b32 s12, s1
	s_delay_alu instid0(SALU_CYCLE_1)
	s_xor_b32 s1, exec_lo, s12
	s_cbranch_execz .LBB120_868
; %bb.867:
	v_div_scale_f32 v131, null, v129, v129, v128
	v_div_scale_f32 v139, vcc_lo, v128, v129, v128
	s_delay_alu instid0(VALU_DEP_2) | instskip(SKIP_1) | instid1(TRANS32_DEP_1)
	v_rcp_f32_e32 v132, v131
	v_nop
	v_fma_f32 v133, -v131, v132, 1.0
	s_delay_alu instid0(VALU_DEP_1) | instskip(NEXT) | instid1(VALU_DEP_1)
	v_fmac_f32_e32 v132, v133, v132
	v_mul_f32_e32 v133, v139, v132
	s_delay_alu instid0(VALU_DEP_1) | instskip(NEXT) | instid1(VALU_DEP_1)
	v_fma_f32 v140, -v131, v133, v139
	v_fmac_f32_e32 v133, v140, v132
	s_delay_alu instid0(VALU_DEP_1) | instskip(NEXT) | instid1(VALU_DEP_1)
	v_fma_f32 v131, -v131, v133, v139
	v_div_fmas_f32 v131, v131, v132, v133
	s_delay_alu instid0(VALU_DEP_1) | instskip(NEXT) | instid1(VALU_DEP_1)
	v_div_fixup_f32 v131, v131, v129, v128
	v_fmac_f32_e32 v129, v128, v131
	s_delay_alu instid0(VALU_DEP_1) | instskip(SKIP_1) | instid1(VALU_DEP_2)
	v_div_scale_f32 v128, null, v129, v129, 1.0
	v_div_scale_f32 v139, vcc_lo, 1.0, v129, 1.0
	v_rcp_f32_e32 v132, v128
	v_nop
	s_delay_alu instid0(TRANS32_DEP_1) | instskip(NEXT) | instid1(VALU_DEP_1)
	v_fma_f32 v133, -v128, v132, 1.0
	v_fmac_f32_e32 v132, v133, v132
	s_delay_alu instid0(VALU_DEP_1) | instskip(NEXT) | instid1(VALU_DEP_1)
	v_mul_f32_e32 v133, v139, v132
	v_fma_f32 v140, -v128, v133, v139
	s_delay_alu instid0(VALU_DEP_1) | instskip(NEXT) | instid1(VALU_DEP_1)
	v_fmac_f32_e32 v133, v140, v132
	v_fma_f32 v128, -v128, v133, v139
	s_delay_alu instid0(VALU_DEP_1) | instskip(NEXT) | instid1(VALU_DEP_1)
	v_div_fmas_f32 v128, v128, v132, v133
	v_div_fixup_f32 v129, v128, v129, 1.0
	s_delay_alu instid0(VALU_DEP_1)
	v_mul_f32_e32 v128, v131, v129
	v_xor_b32_e32 v129, 0x80000000, v129
.LBB120_868:
	s_and_not1_saveexec_b32 s1, s1
	s_cbranch_execz .LBB120_870
; %bb.869:
	s_delay_alu instid0(VALU_DEP_1) | instskip(SKIP_1) | instid1(VALU_DEP_2)
	v_div_scale_f32 v131, null, v128, v128, v129
	v_div_scale_f32 v139, vcc_lo, v129, v128, v129
	v_rcp_f32_e32 v132, v131
	v_nop
	s_delay_alu instid0(TRANS32_DEP_1) | instskip(NEXT) | instid1(VALU_DEP_1)
	v_fma_f32 v133, -v131, v132, 1.0
	v_fmac_f32_e32 v132, v133, v132
	s_delay_alu instid0(VALU_DEP_1) | instskip(NEXT) | instid1(VALU_DEP_1)
	v_mul_f32_e32 v133, v139, v132
	v_fma_f32 v140, -v131, v133, v139
	s_delay_alu instid0(VALU_DEP_1) | instskip(NEXT) | instid1(VALU_DEP_1)
	v_fmac_f32_e32 v133, v140, v132
	v_fma_f32 v131, -v131, v133, v139
	s_delay_alu instid0(VALU_DEP_1) | instskip(NEXT) | instid1(VALU_DEP_1)
	v_div_fmas_f32 v131, v131, v132, v133
	v_div_fixup_f32 v131, v131, v128, v129
	s_delay_alu instid0(VALU_DEP_1) | instskip(NEXT) | instid1(VALU_DEP_1)
	v_fmac_f32_e32 v128, v129, v131
	v_div_scale_f32 v129, null, v128, v128, 1.0
	s_delay_alu instid0(VALU_DEP_1) | instskip(SKIP_1) | instid1(TRANS32_DEP_1)
	v_rcp_f32_e32 v132, v129
	v_nop
	v_fma_f32 v133, -v129, v132, 1.0
	s_delay_alu instid0(VALU_DEP_1) | instskip(SKIP_1) | instid1(VALU_DEP_1)
	v_fmac_f32_e32 v132, v133, v132
	v_div_scale_f32 v133, vcc_lo, 1.0, v128, 1.0
	v_mul_f32_e32 v139, v133, v132
	s_delay_alu instid0(VALU_DEP_1) | instskip(NEXT) | instid1(VALU_DEP_1)
	v_fma_f32 v140, -v129, v139, v133
	v_fmac_f32_e32 v139, v140, v132
	s_delay_alu instid0(VALU_DEP_1) | instskip(NEXT) | instid1(VALU_DEP_1)
	v_fma_f32 v129, -v129, v139, v133
	v_div_fmas_f32 v129, v129, v132, v139
	s_delay_alu instid0(VALU_DEP_1) | instskip(NEXT) | instid1(VALU_DEP_1)
	v_div_fixup_f32 v128, v129, v128, 1.0
	v_mul_f32_e64 v129, v131, -v128
.LBB120_870:
	s_or_b32 exec_lo, exec_lo, s1
.LBB120_871:
	s_delay_alu instid0(SALU_CYCLE_1) | instskip(NEXT) | instid1(SALU_CYCLE_1)
	s_or_b32 exec_lo, exec_lo, s0
	s_mov_b32 s0, exec_lo
	v_cmpx_ne_u32_e64 v138, v130
	s_xor_b32 s0, exec_lo, s0
	s_cbranch_execz .LBB120_877
; %bb.872:
	s_mov_b32 s1, exec_lo
	v_cmpx_eq_u32_e32 41, v138
	s_cbranch_execz .LBB120_876
; %bb.873:
	v_cmp_ne_u32_e32 vcc_lo, 41, v130
	s_xor_b32 s12, s16, -1
	s_delay_alu instid0(SALU_CYCLE_1) | instskip(NEXT) | instid1(SALU_CYCLE_1)
	s_and_b32 s13, s12, vcc_lo
	s_and_saveexec_b32 s12, s13
	s_cbranch_execz .LBB120_875
; %bb.874:
	v_ashrrev_i32_e32 v131, 31, v130
	s_delay_alu instid0(VALU_DEP_1)
	v_lshl_add_u64 v[132:133], v[130:131], 2, v[4:5]
	s_clause 0x1
	global_load_b32 v131, v[132:133], off
	global_load_b32 v137, v[4:5], off offset:164
	s_wait_loadcnt 0x1
	global_store_b32 v[4:5], v131, off offset:164
	s_wait_loadcnt 0x0
	global_store_b32 v[132:133], v137, off
.LBB120_875:
	s_wait_xcnt 0x0
	s_or_b32 exec_lo, exec_lo, s12
	v_dual_mov_b32 v138, v130 :: v_dual_mov_b32 v137, v130
.LBB120_876:
	s_or_b32 exec_lo, exec_lo, s1
.LBB120_877:
	s_and_not1_saveexec_b32 s0, s0
	s_cbranch_execz .LBB120_879
; %bb.878:
	v_dual_mov_b32 v130, v40 :: v_dual_mov_b32 v131, v41
	v_dual_mov_b32 v132, v36 :: v_dual_mov_b32 v133, v37
	;; [unrolled: 1-line block ×8, first 2 shown]
	ds_store_2addr_b64 v135, v[130:131], v[132:133] offset0:42 offset1:43
	ds_store_2addr_b64 v135, v[138:139], v[140:141] offset0:44 offset1:45
	;; [unrolled: 1-line block ×4, first 2 shown]
	v_dual_mov_b32 v130, v24 :: v_dual_mov_b32 v131, v25
	v_dual_mov_b32 v132, v44 :: v_dual_mov_b32 v133, v45
	;; [unrolled: 1-line block ×6, first 2 shown]
	ds_store_2addr_b64 v135, v[130:131], v[132:133] offset0:50 offset1:51
	ds_store_2addr_b64 v135, v[138:139], v[140:141] offset0:52 offset1:53
	v_dual_mov_b32 v138, 41 :: v_dual_mov_b32 v146, v6
	v_dual_mov_b32 v147, v7 :: v_dual_mov_b32 v148, v20
	;; [unrolled: 1-line block ×4, first 2 shown]
	v_mov_b32_e32 v153, v9
	ds_store_2addr_b64 v135, v[142:143], v[144:145] offset0:54 offset1:55
	ds_store_2addr_b64 v135, v[146:147], v[148:149] offset0:56 offset1:57
	;; [unrolled: 1-line block ×3, first 2 shown]
	ds_store_b64 v135, v[126:127] offset:480
.LBB120_879:
	s_or_b32 exec_lo, exec_lo, s0
	s_delay_alu instid0(SALU_CYCLE_1)
	s_mov_b32 s0, exec_lo
	s_wait_storecnt_dscnt 0x0
	s_barrier_signal -1
	s_barrier_wait -1
	v_cmpx_lt_i32_e32 41, v138
	s_cbranch_execz .LBB120_881
; %bb.880:
	ds_load_2addr_b64 v[140:143], v135 offset0:42 offset1:43
	v_pk_mul_f32 v[132:133], v[128:129], v[38:39] op_sel:[1,1] op_sel_hi:[0,1]
	s_delay_alu instid0(VALU_DEP_1) | instskip(SKIP_1) | instid1(VALU_DEP_1)
	v_pk_fma_f32 v[130:131], v[128:129], v[38:39], v[132:133] op_sel_hi:[1,0,1] neg_lo:[0,0,1] neg_hi:[0,0,1]
	v_pk_fma_f32 v[128:129], v[128:129], v[38:39], v[132:133] op_sel_hi:[1,0,1]
	v_dual_mov_b32 v38, v130 :: v_dual_mov_b32 v39, v129
	s_wait_dscnt 0x0
	s_delay_alu instid0(VALU_DEP_2) | instskip(NEXT) | instid1(VALU_DEP_1)
	v_pk_mul_f32 v[132:133], v[140:141], v[128:129] op_sel:[0,1]
	v_pk_fma_f32 v[144:145], v[140:141], v[130:131], v[132:133] op_sel:[0,0,1] op_sel_hi:[1,1,0] neg_lo:[0,0,1] neg_hi:[0,0,1]
	v_pk_fma_f32 v[132:133], v[140:141], v[130:131], v[132:133] op_sel:[0,0,1] op_sel_hi:[1,0,0]
	s_delay_alu instid0(VALU_DEP_1) | instskip(SKIP_1) | instid1(VALU_DEP_1)
	v_mov_b32_e32 v145, v133
	v_pk_mul_f32 v[132:133], v[142:143], v[128:129] op_sel:[0,1]
	v_pk_fma_f32 v[140:141], v[142:143], v[130:131], v[132:133] op_sel:[0,0,1] op_sel_hi:[1,1,0] neg_lo:[0,0,1] neg_hi:[0,0,1]
	v_pk_fma_f32 v[132:133], v[142:143], v[130:131], v[132:133] op_sel:[0,0,1] op_sel_hi:[1,0,0]
	s_delay_alu instid0(VALU_DEP_1) | instskip(SKIP_1) | instid1(VALU_DEP_2)
	v_mov_b32_e32 v141, v133
	v_pk_add_f32 v[40:41], v[40:41], v[144:145] neg_lo:[0,1] neg_hi:[0,1]
	v_pk_add_f32 v[36:37], v[36:37], v[140:141] neg_lo:[0,1] neg_hi:[0,1]
	ds_load_2addr_b64 v[140:143], v135 offset0:44 offset1:45
	s_wait_dscnt 0x0
	v_pk_mul_f32 v[132:133], v[140:141], v[128:129] op_sel:[0,1]
	s_delay_alu instid0(VALU_DEP_1) | instskip(SKIP_2) | instid1(VALU_DEP_2)
	v_pk_fma_f32 v[144:145], v[140:141], v[130:131], v[132:133] op_sel:[0,0,1] op_sel_hi:[1,1,0] neg_lo:[0,0,1] neg_hi:[0,0,1]
	v_pk_fma_f32 v[132:133], v[140:141], v[130:131], v[132:133] op_sel:[0,0,1] op_sel_hi:[1,0,0]
	v_dual_mul_f32 v140, v143, v129 :: v_dual_mov_b32 v132, v143
	v_dual_mov_b32 v145, v133 :: v_dual_mov_b32 v133, v142
	s_delay_alu instid0(VALU_DEP_2) | instskip(SKIP_1) | instid1(VALU_DEP_3)
	v_pk_fma_f32 v[140:141], v[142:143], v[38:39], v[140:141] op_sel_hi:[1,1,0] neg_lo:[0,0,1] neg_hi:[0,0,1]
	v_mul_f32_e32 v142, v143, v130
	v_pk_add_f32 v[34:35], v[34:35], v[144:145] neg_lo:[0,1] neg_hi:[0,1]
	s_delay_alu instid0(VALU_DEP_2) | instskip(NEXT) | instid1(VALU_DEP_1)
	v_pk_fma_f32 v[132:133], v[132:133], v[38:39], v[142:143] op_sel_hi:[1,1,0]
	v_mov_b32_e32 v141, v133
	s_delay_alu instid0(VALU_DEP_1) | instskip(SKIP_3) | instid1(VALU_DEP_1)
	v_pk_add_f32 v[30:31], v[30:31], v[140:141] neg_lo:[0,1] neg_hi:[0,1]
	ds_load_2addr_b64 v[140:143], v135 offset0:46 offset1:47
	s_wait_dscnt 0x0
	v_pk_mul_f32 v[132:133], v[140:141], v[128:129] op_sel:[0,1]
	v_pk_fma_f32 v[144:145], v[140:141], v[130:131], v[132:133] op_sel:[0,0,1] op_sel_hi:[1,1,0] neg_lo:[0,0,1] neg_hi:[0,0,1]
	v_pk_fma_f32 v[132:133], v[140:141], v[130:131], v[132:133] op_sel:[0,0,1] op_sel_hi:[1,0,0]
	s_delay_alu instid0(VALU_DEP_1) | instskip(SKIP_1) | instid1(VALU_DEP_1)
	v_mov_b32_e32 v145, v133
	v_pk_mul_f32 v[132:133], v[142:143], v[128:129] op_sel:[0,1]
	v_pk_fma_f32 v[140:141], v[142:143], v[130:131], v[132:133] op_sel:[0,0,1] op_sel_hi:[1,1,0] neg_lo:[0,0,1] neg_hi:[0,0,1]
	v_pk_fma_f32 v[132:133], v[142:143], v[130:131], v[132:133] op_sel:[0,0,1] op_sel_hi:[1,0,0]
	s_delay_alu instid0(VALU_DEP_1) | instskip(SKIP_1) | instid1(VALU_DEP_2)
	v_mov_b32_e32 v141, v133
	v_pk_add_f32 v[32:33], v[32:33], v[144:145] neg_lo:[0,1] neg_hi:[0,1]
	v_pk_add_f32 v[28:29], v[28:29], v[140:141] neg_lo:[0,1] neg_hi:[0,1]
	ds_load_2addr_b64 v[140:143], v135 offset0:48 offset1:49
	s_wait_dscnt 0x0
	v_pk_mul_f32 v[132:133], v[140:141], v[128:129] op_sel:[0,1]
	s_delay_alu instid0(VALU_DEP_1) | instskip(SKIP_1) | instid1(VALU_DEP_1)
	v_pk_fma_f32 v[144:145], v[140:141], v[130:131], v[132:133] op_sel:[0,0,1] op_sel_hi:[1,1,0] neg_lo:[0,0,1] neg_hi:[0,0,1]
	v_pk_fma_f32 v[132:133], v[140:141], v[130:131], v[132:133] op_sel:[0,0,1] op_sel_hi:[1,0,0]
	v_mov_b32_e32 v145, v133
	v_pk_mul_f32 v[132:133], v[142:143], v[128:129] op_sel:[0,1]
	s_delay_alu instid0(VALU_DEP_1) | instskip(SKIP_1) | instid1(VALU_DEP_1)
	v_pk_fma_f32 v[140:141], v[142:143], v[130:131], v[132:133] op_sel:[0,0,1] op_sel_hi:[1,1,0] neg_lo:[0,0,1] neg_hi:[0,0,1]
	v_pk_fma_f32 v[132:133], v[142:143], v[130:131], v[132:133] op_sel:[0,0,1] op_sel_hi:[1,0,0]
	v_mov_b32_e32 v141, v133
	v_pk_add_f32 v[26:27], v[26:27], v[144:145] neg_lo:[0,1] neg_hi:[0,1]
	s_delay_alu instid0(VALU_DEP_2) | instskip(SKIP_3) | instid1(VALU_DEP_1)
	v_pk_add_f32 v[22:23], v[22:23], v[140:141] neg_lo:[0,1] neg_hi:[0,1]
	ds_load_2addr_b64 v[140:143], v135 offset0:50 offset1:51
	s_wait_dscnt 0x0
	v_dual_mul_f32 v132, v141, v129 :: v_dual_mul_f32 v144, v141, v130
	v_pk_fma_f32 v[132:133], v[140:141], v[38:39], v[132:133] op_sel_hi:[1,1,0] neg_lo:[0,0,1] neg_hi:[0,0,1]
	s_delay_alu instid0(VALU_DEP_2) | instskip(NEXT) | instid1(VALU_DEP_1)
	v_pk_fma_f32 v[140:141], v[140:141], v[38:39], v[144:145] op_sel:[1,0,0] op_sel_hi:[0,1,0]
	v_mov_b32_e32 v133, v141
	s_delay_alu instid0(VALU_DEP_1) | instskip(SKIP_1) | instid1(VALU_DEP_1)
	v_pk_add_f32 v[24:25], v[24:25], v[132:133] neg_lo:[0,1] neg_hi:[0,1]
	v_pk_mul_f32 v[132:133], v[142:143], v[128:129] op_sel:[0,1]
	v_pk_fma_f32 v[140:141], v[142:143], v[130:131], v[132:133] op_sel:[0,0,1] op_sel_hi:[1,1,0] neg_lo:[0,0,1] neg_hi:[0,0,1]
	v_pk_fma_f32 v[132:133], v[142:143], v[130:131], v[132:133] op_sel:[0,0,1] op_sel_hi:[1,0,0]
	s_delay_alu instid0(VALU_DEP_1) | instskip(NEXT) | instid1(VALU_DEP_1)
	v_mov_b32_e32 v141, v133
	v_pk_add_f32 v[44:45], v[44:45], v[140:141] neg_lo:[0,1] neg_hi:[0,1]
	ds_load_2addr_b64 v[140:143], v135 offset0:52 offset1:53
	s_wait_dscnt 0x0
	v_pk_mul_f32 v[132:133], v[140:141], v[128:129] op_sel:[0,1]
	s_delay_alu instid0(VALU_DEP_1) | instskip(SKIP_1) | instid1(VALU_DEP_1)
	v_pk_fma_f32 v[144:145], v[140:141], v[130:131], v[132:133] op_sel:[0,0,1] op_sel_hi:[1,1,0] neg_lo:[0,0,1] neg_hi:[0,0,1]
	v_pk_fma_f32 v[132:133], v[140:141], v[130:131], v[132:133] op_sel:[0,0,1] op_sel_hi:[1,0,0]
	v_mov_b32_e32 v145, v133
	v_pk_mul_f32 v[132:133], v[142:143], v[128:129] op_sel:[0,1]
	s_delay_alu instid0(VALU_DEP_2) | instskip(NEXT) | instid1(VALU_DEP_2)
	v_pk_add_f32 v[16:17], v[16:17], v[144:145] neg_lo:[0,1] neg_hi:[0,1]
	v_pk_fma_f32 v[140:141], v[142:143], v[130:131], v[132:133] op_sel:[0,0,1] op_sel_hi:[1,1,0] neg_lo:[0,0,1] neg_hi:[0,0,1]
	v_pk_fma_f32 v[132:133], v[142:143], v[130:131], v[132:133] op_sel:[0,0,1] op_sel_hi:[1,0,0]
	s_delay_alu instid0(VALU_DEP_1) | instskip(NEXT) | instid1(VALU_DEP_1)
	v_mov_b32_e32 v141, v133
	v_pk_add_f32 v[12:13], v[12:13], v[140:141] neg_lo:[0,1] neg_hi:[0,1]
	ds_load_2addr_b64 v[140:143], v135 offset0:54 offset1:55
	s_wait_dscnt 0x0
	v_pk_mul_f32 v[132:133], v[140:141], v[128:129] op_sel:[0,1]
	s_delay_alu instid0(VALU_DEP_1) | instskip(SKIP_2) | instid1(VALU_DEP_2)
	v_pk_fma_f32 v[144:145], v[140:141], v[130:131], v[132:133] op_sel:[0,0,1] op_sel_hi:[1,1,0] neg_lo:[0,0,1] neg_hi:[0,0,1]
	v_pk_fma_f32 v[132:133], v[140:141], v[130:131], v[132:133] op_sel:[0,0,1] op_sel_hi:[1,0,0]
	v_dual_mul_f32 v140, v143, v129 :: v_dual_mov_b32 v132, v143
	v_dual_mov_b32 v145, v133 :: v_dual_mov_b32 v133, v142
	s_delay_alu instid0(VALU_DEP_2) | instskip(SKIP_1) | instid1(VALU_DEP_3)
	v_pk_fma_f32 v[140:141], v[142:143], v[38:39], v[140:141] op_sel_hi:[1,1,0] neg_lo:[0,0,1] neg_hi:[0,0,1]
	v_mul_f32_e32 v142, v143, v130
	v_pk_add_f32 v[14:15], v[14:15], v[144:145] neg_lo:[0,1] neg_hi:[0,1]
	s_delay_alu instid0(VALU_DEP_2) | instskip(NEXT) | instid1(VALU_DEP_1)
	v_pk_fma_f32 v[132:133], v[132:133], v[38:39], v[142:143] op_sel_hi:[1,1,0]
	v_mov_b32_e32 v141, v133
	s_delay_alu instid0(VALU_DEP_1) | instskip(SKIP_3) | instid1(VALU_DEP_1)
	v_pk_add_f32 v[10:11], v[10:11], v[140:141] neg_lo:[0,1] neg_hi:[0,1]
	ds_load_2addr_b64 v[140:143], v135 offset0:56 offset1:57
	s_wait_dscnt 0x0
	v_pk_mul_f32 v[132:133], v[140:141], v[128:129] op_sel:[0,1]
	v_pk_fma_f32 v[144:145], v[140:141], v[130:131], v[132:133] op_sel:[0,0,1] op_sel_hi:[1,1,0] neg_lo:[0,0,1] neg_hi:[0,0,1]
	v_pk_fma_f32 v[132:133], v[140:141], v[130:131], v[132:133] op_sel:[0,0,1] op_sel_hi:[1,0,0]
	s_delay_alu instid0(VALU_DEP_1) | instskip(SKIP_1) | instid1(VALU_DEP_1)
	v_mov_b32_e32 v145, v133
	v_pk_mul_f32 v[132:133], v[142:143], v[128:129] op_sel:[0,1]
	v_pk_fma_f32 v[140:141], v[142:143], v[130:131], v[132:133] op_sel:[0,0,1] op_sel_hi:[1,1,0] neg_lo:[0,0,1] neg_hi:[0,0,1]
	v_pk_fma_f32 v[132:133], v[142:143], v[130:131], v[132:133] op_sel:[0,0,1] op_sel_hi:[1,0,0]
	s_delay_alu instid0(VALU_DEP_1) | instskip(SKIP_1) | instid1(VALU_DEP_2)
	v_mov_b32_e32 v141, v133
	v_pk_add_f32 v[6:7], v[6:7], v[144:145] neg_lo:[0,1] neg_hi:[0,1]
	v_pk_add_f32 v[20:21], v[20:21], v[140:141] neg_lo:[0,1] neg_hi:[0,1]
	ds_load_2addr_b64 v[140:143], v135 offset0:58 offset1:59
	s_wait_dscnt 0x0
	v_pk_mul_f32 v[132:133], v[140:141], v[128:129] op_sel:[0,1]
	s_delay_alu instid0(VALU_DEP_1) | instskip(SKIP_1) | instid1(VALU_DEP_1)
	v_pk_fma_f32 v[144:145], v[140:141], v[130:131], v[132:133] op_sel:[0,0,1] op_sel_hi:[1,1,0] neg_lo:[0,0,1] neg_hi:[0,0,1]
	v_pk_fma_f32 v[132:133], v[140:141], v[130:131], v[132:133] op_sel:[0,0,1] op_sel_hi:[1,0,0]
	v_mov_b32_e32 v145, v133
	v_pk_mul_f32 v[132:133], v[142:143], v[128:129] op_sel:[0,1]
	s_delay_alu instid0(VALU_DEP_1) | instskip(SKIP_1) | instid1(VALU_DEP_1)
	v_pk_fma_f32 v[140:141], v[142:143], v[130:131], v[132:133] op_sel:[0,0,1] op_sel_hi:[1,1,0] neg_lo:[0,0,1] neg_hi:[0,0,1]
	v_pk_fma_f32 v[132:133], v[142:143], v[130:131], v[132:133] op_sel:[0,0,1] op_sel_hi:[1,0,0]
	v_mov_b32_e32 v141, v133
	ds_load_b64 v[132:133], v135 offset:480
	v_pk_add_f32 v[18:19], v[18:19], v[144:145] neg_lo:[0,1] neg_hi:[0,1]
	v_pk_add_f32 v[8:9], v[8:9], v[140:141] neg_lo:[0,1] neg_hi:[0,1]
	s_wait_dscnt 0x0
	v_pk_mul_f32 v[128:129], v[132:133], v[128:129] op_sel:[0,1]
	s_delay_alu instid0(VALU_DEP_1) | instskip(SKIP_1) | instid1(VALU_DEP_1)
	v_pk_fma_f32 v[140:141], v[132:133], v[130:131], v[128:129] op_sel:[0,0,1] op_sel_hi:[1,1,0] neg_lo:[0,0,1] neg_hi:[0,0,1]
	v_pk_fma_f32 v[128:129], v[132:133], v[130:131], v[128:129] op_sel:[0,0,1] op_sel_hi:[1,0,0]
	v_mov_b32_e32 v141, v129
	s_delay_alu instid0(VALU_DEP_1)
	v_pk_add_f32 v[126:127], v[126:127], v[140:141] neg_lo:[0,1] neg_hi:[0,1]
.LBB120_881:
	s_or_b32 exec_lo, exec_lo, s0
	v_lshl_add_u32 v128, v138, 3, v135
	s_barrier_signal -1
	s_barrier_wait -1
	ds_store_b64 v128, v[40:41]
	s_wait_dscnt 0x0
	s_barrier_signal -1
	s_barrier_wait -1
	ds_load_b64 v[128:129], v135 offset:336
	v_mov_b32_e32 v130, 42
	s_cmp_lt_i32 s18, 44
	s_cbranch_scc1 .LBB120_884
; %bb.882:
	v_add3_u32 v131, v136, 0, 0x158
	v_mov_b32_e32 v130, 42
	s_mov_b32 s0, 43
.LBB120_883:                            ; =>This Inner Loop Header: Depth=1
	ds_load_b64 v[132:133], v131
	s_wait_dscnt 0x1
	v_cmp_gt_f32_e32 vcc_lo, 0, v128
	v_cndmask_b32_e64 v140, v128, -v128, vcc_lo
	v_cmp_gt_f32_e32 vcc_lo, 0, v129
	v_cndmask_b32_e64 v142, v129, -v129, vcc_lo
	s_wait_dscnt 0x0
	v_cmp_gt_f32_e32 vcc_lo, 0, v132
	v_cndmask_b32_e64 v141, v132, -v132, vcc_lo
	v_cmp_gt_f32_e32 vcc_lo, 0, v133
	v_cndmask_b32_e64 v143, v133, -v133, vcc_lo
	s_delay_alu instid0(VALU_DEP_1) | instskip(NEXT) | instid1(VALU_DEP_1)
	v_pk_add_f32 v[140:141], v[140:141], v[142:143]
	v_cmp_lt_f32_e32 vcc_lo, v140, v141
	v_dual_add_nc_u32 v131, 8, v131 :: v_dual_cndmask_b32 v129, v129, v133, vcc_lo
	v_cndmask_b32_e32 v128, v128, v132, vcc_lo
	v_cndmask_b32_e64 v130, v130, s0, vcc_lo
	s_add_co_i32 s0, s0, 1
	s_delay_alu instid0(SALU_CYCLE_1)
	s_cmp_lg_u32 s18, s0
	s_cbranch_scc1 .LBB120_883
.LBB120_884:
	s_wait_dscnt 0x0
	v_cmp_eq_f32_e32 vcc_lo, 0, v128
	v_cmp_eq_f32_e64 s0, 0, v129
	s_and_b32 s0, vcc_lo, s0
	s_delay_alu instid0(SALU_CYCLE_1) | instskip(NEXT) | instid1(SALU_CYCLE_1)
	s_and_saveexec_b32 s1, s0
	s_xor_b32 s0, exec_lo, s1
; %bb.885:
	v_cmp_ne_u32_e32 vcc_lo, 0, v134
	v_cndmask_b32_e32 v134, 43, v134, vcc_lo
; %bb.886:
	s_and_not1_saveexec_b32 s0, s0
	s_cbranch_execz .LBB120_892
; %bb.887:
	v_cmp_ngt_f32_e64 s1, |v128|, |v129|
	s_and_saveexec_b32 s12, s1
	s_delay_alu instid0(SALU_CYCLE_1)
	s_xor_b32 s1, exec_lo, s12
	s_cbranch_execz .LBB120_889
; %bb.888:
	v_div_scale_f32 v131, null, v129, v129, v128
	v_div_scale_f32 v139, vcc_lo, v128, v129, v128
	s_delay_alu instid0(VALU_DEP_2) | instskip(SKIP_1) | instid1(TRANS32_DEP_1)
	v_rcp_f32_e32 v132, v131
	v_nop
	v_fma_f32 v133, -v131, v132, 1.0
	s_delay_alu instid0(VALU_DEP_1) | instskip(NEXT) | instid1(VALU_DEP_1)
	v_fmac_f32_e32 v132, v133, v132
	v_mul_f32_e32 v133, v139, v132
	s_delay_alu instid0(VALU_DEP_1) | instskip(NEXT) | instid1(VALU_DEP_1)
	v_fma_f32 v140, -v131, v133, v139
	v_fmac_f32_e32 v133, v140, v132
	s_delay_alu instid0(VALU_DEP_1) | instskip(NEXT) | instid1(VALU_DEP_1)
	v_fma_f32 v131, -v131, v133, v139
	v_div_fmas_f32 v131, v131, v132, v133
	s_delay_alu instid0(VALU_DEP_1) | instskip(NEXT) | instid1(VALU_DEP_1)
	v_div_fixup_f32 v131, v131, v129, v128
	v_fmac_f32_e32 v129, v128, v131
	s_delay_alu instid0(VALU_DEP_1) | instskip(SKIP_1) | instid1(VALU_DEP_2)
	v_div_scale_f32 v128, null, v129, v129, 1.0
	v_div_scale_f32 v139, vcc_lo, 1.0, v129, 1.0
	v_rcp_f32_e32 v132, v128
	v_nop
	s_delay_alu instid0(TRANS32_DEP_1) | instskip(NEXT) | instid1(VALU_DEP_1)
	v_fma_f32 v133, -v128, v132, 1.0
	v_fmac_f32_e32 v132, v133, v132
	s_delay_alu instid0(VALU_DEP_1) | instskip(NEXT) | instid1(VALU_DEP_1)
	v_mul_f32_e32 v133, v139, v132
	v_fma_f32 v140, -v128, v133, v139
	s_delay_alu instid0(VALU_DEP_1) | instskip(NEXT) | instid1(VALU_DEP_1)
	v_fmac_f32_e32 v133, v140, v132
	v_fma_f32 v128, -v128, v133, v139
	s_delay_alu instid0(VALU_DEP_1) | instskip(NEXT) | instid1(VALU_DEP_1)
	v_div_fmas_f32 v128, v128, v132, v133
	v_div_fixup_f32 v129, v128, v129, 1.0
	s_delay_alu instid0(VALU_DEP_1)
	v_mul_f32_e32 v128, v131, v129
	v_xor_b32_e32 v129, 0x80000000, v129
.LBB120_889:
	s_and_not1_saveexec_b32 s1, s1
	s_cbranch_execz .LBB120_891
; %bb.890:
	s_delay_alu instid0(VALU_DEP_1) | instskip(SKIP_1) | instid1(VALU_DEP_2)
	v_div_scale_f32 v131, null, v128, v128, v129
	v_div_scale_f32 v139, vcc_lo, v129, v128, v129
	v_rcp_f32_e32 v132, v131
	v_nop
	s_delay_alu instid0(TRANS32_DEP_1) | instskip(NEXT) | instid1(VALU_DEP_1)
	v_fma_f32 v133, -v131, v132, 1.0
	v_fmac_f32_e32 v132, v133, v132
	s_delay_alu instid0(VALU_DEP_1) | instskip(NEXT) | instid1(VALU_DEP_1)
	v_mul_f32_e32 v133, v139, v132
	v_fma_f32 v140, -v131, v133, v139
	s_delay_alu instid0(VALU_DEP_1) | instskip(NEXT) | instid1(VALU_DEP_1)
	v_fmac_f32_e32 v133, v140, v132
	v_fma_f32 v131, -v131, v133, v139
	s_delay_alu instid0(VALU_DEP_1) | instskip(NEXT) | instid1(VALU_DEP_1)
	v_div_fmas_f32 v131, v131, v132, v133
	v_div_fixup_f32 v131, v131, v128, v129
	s_delay_alu instid0(VALU_DEP_1) | instskip(NEXT) | instid1(VALU_DEP_1)
	v_fmac_f32_e32 v128, v129, v131
	v_div_scale_f32 v129, null, v128, v128, 1.0
	s_delay_alu instid0(VALU_DEP_1) | instskip(SKIP_1) | instid1(TRANS32_DEP_1)
	v_rcp_f32_e32 v132, v129
	v_nop
	v_fma_f32 v133, -v129, v132, 1.0
	s_delay_alu instid0(VALU_DEP_1) | instskip(SKIP_1) | instid1(VALU_DEP_1)
	v_fmac_f32_e32 v132, v133, v132
	v_div_scale_f32 v133, vcc_lo, 1.0, v128, 1.0
	v_mul_f32_e32 v139, v133, v132
	s_delay_alu instid0(VALU_DEP_1) | instskip(NEXT) | instid1(VALU_DEP_1)
	v_fma_f32 v140, -v129, v139, v133
	v_fmac_f32_e32 v139, v140, v132
	s_delay_alu instid0(VALU_DEP_1) | instskip(NEXT) | instid1(VALU_DEP_1)
	v_fma_f32 v129, -v129, v139, v133
	v_div_fmas_f32 v129, v129, v132, v139
	s_delay_alu instid0(VALU_DEP_1) | instskip(NEXT) | instid1(VALU_DEP_1)
	v_div_fixup_f32 v128, v129, v128, 1.0
	v_mul_f32_e64 v129, v131, -v128
.LBB120_891:
	s_or_b32 exec_lo, exec_lo, s1
.LBB120_892:
	s_delay_alu instid0(SALU_CYCLE_1) | instskip(NEXT) | instid1(SALU_CYCLE_1)
	s_or_b32 exec_lo, exec_lo, s0
	s_mov_b32 s0, exec_lo
	v_cmpx_ne_u32_e64 v138, v130
	s_xor_b32 s0, exec_lo, s0
	s_cbranch_execz .LBB120_898
; %bb.893:
	s_mov_b32 s1, exec_lo
	v_cmpx_eq_u32_e32 42, v138
	s_cbranch_execz .LBB120_897
; %bb.894:
	v_cmp_ne_u32_e32 vcc_lo, 42, v130
	s_xor_b32 s12, s16, -1
	s_delay_alu instid0(SALU_CYCLE_1) | instskip(NEXT) | instid1(SALU_CYCLE_1)
	s_and_b32 s13, s12, vcc_lo
	s_and_saveexec_b32 s12, s13
	s_cbranch_execz .LBB120_896
; %bb.895:
	v_ashrrev_i32_e32 v131, 31, v130
	s_delay_alu instid0(VALU_DEP_1)
	v_lshl_add_u64 v[132:133], v[130:131], 2, v[4:5]
	s_clause 0x1
	global_load_b32 v131, v[132:133], off
	global_load_b32 v137, v[4:5], off offset:168
	s_wait_loadcnt 0x1
	global_store_b32 v[4:5], v131, off offset:168
	s_wait_loadcnt 0x0
	global_store_b32 v[132:133], v137, off
.LBB120_896:
	s_wait_xcnt 0x0
	s_or_b32 exec_lo, exec_lo, s12
	v_dual_mov_b32 v138, v130 :: v_dual_mov_b32 v137, v130
.LBB120_897:
	s_or_b32 exec_lo, exec_lo, s1
.LBB120_898:
	s_and_not1_saveexec_b32 s0, s0
	s_cbranch_execz .LBB120_900
; %bb.899:
	v_mov_b32_e32 v138, 42
	ds_store_2addr_b64 v135, v[36:37], v[34:35] offset0:43 offset1:44
	ds_store_2addr_b64 v135, v[30:31], v[32:33] offset0:45 offset1:46
	;; [unrolled: 1-line block ×9, first 2 shown]
.LBB120_900:
	s_or_b32 exec_lo, exec_lo, s0
	s_delay_alu instid0(SALU_CYCLE_1)
	s_mov_b32 s0, exec_lo
	s_wait_storecnt_dscnt 0x0
	s_barrier_signal -1
	s_barrier_wait -1
	v_cmpx_lt_i32_e32 42, v138
	s_cbranch_execz .LBB120_902
; %bb.901:
	ds_load_2addr_b64 v[140:143], v135 offset0:43 offset1:44
	v_pk_mul_f32 v[132:133], v[128:129], v[40:41] op_sel:[1,1] op_sel_hi:[0,1]
	s_delay_alu instid0(VALU_DEP_1) | instskip(SKIP_1) | instid1(VALU_DEP_1)
	v_pk_fma_f32 v[130:131], v[128:129], v[40:41], v[132:133] op_sel_hi:[1,0,1] neg_lo:[0,0,1] neg_hi:[0,0,1]
	v_pk_fma_f32 v[128:129], v[128:129], v[40:41], v[132:133] op_sel_hi:[1,0,1]
	v_dual_mov_b32 v40, v130 :: v_dual_mov_b32 v41, v129
	s_wait_dscnt 0x0
	s_delay_alu instid0(VALU_DEP_2) | instskip(NEXT) | instid1(VALU_DEP_1)
	v_pk_mul_f32 v[132:133], v[140:141], v[128:129] op_sel:[0,1]
	v_pk_fma_f32 v[144:145], v[140:141], v[130:131], v[132:133] op_sel:[0,0,1] op_sel_hi:[1,1,0] neg_lo:[0,0,1] neg_hi:[0,0,1]
	v_pk_fma_f32 v[132:133], v[140:141], v[130:131], v[132:133] op_sel:[0,0,1] op_sel_hi:[1,0,0]
	s_delay_alu instid0(VALU_DEP_1) | instskip(SKIP_1) | instid1(VALU_DEP_1)
	v_mov_b32_e32 v145, v133
	v_pk_mul_f32 v[132:133], v[142:143], v[128:129] op_sel:[0,1]
	v_pk_fma_f32 v[140:141], v[142:143], v[130:131], v[132:133] op_sel:[0,0,1] op_sel_hi:[1,1,0] neg_lo:[0,0,1] neg_hi:[0,0,1]
	v_pk_fma_f32 v[132:133], v[142:143], v[130:131], v[132:133] op_sel:[0,0,1] op_sel_hi:[1,0,0]
	s_delay_alu instid0(VALU_DEP_1) | instskip(SKIP_1) | instid1(VALU_DEP_2)
	v_mov_b32_e32 v141, v133
	v_pk_add_f32 v[36:37], v[36:37], v[144:145] neg_lo:[0,1] neg_hi:[0,1]
	v_pk_add_f32 v[34:35], v[34:35], v[140:141] neg_lo:[0,1] neg_hi:[0,1]
	ds_load_2addr_b64 v[140:143], v135 offset0:45 offset1:46
	s_wait_dscnt 0x0
	v_pk_mul_f32 v[132:133], v[140:141], v[128:129] op_sel:[0,1]
	s_delay_alu instid0(VALU_DEP_1) | instskip(SKIP_2) | instid1(VALU_DEP_2)
	v_pk_fma_f32 v[144:145], v[140:141], v[130:131], v[132:133] op_sel:[0,0,1] op_sel_hi:[1,1,0] neg_lo:[0,0,1] neg_hi:[0,0,1]
	v_pk_fma_f32 v[132:133], v[140:141], v[130:131], v[132:133] op_sel:[0,0,1] op_sel_hi:[1,0,0]
	v_dual_mul_f32 v140, v143, v129 :: v_dual_mov_b32 v132, v143
	v_dual_mov_b32 v145, v133 :: v_dual_mov_b32 v133, v142
	s_delay_alu instid0(VALU_DEP_2) | instskip(SKIP_1) | instid1(VALU_DEP_3)
	v_pk_fma_f32 v[140:141], v[142:143], v[40:41], v[140:141] op_sel_hi:[1,1,0] neg_lo:[0,0,1] neg_hi:[0,0,1]
	v_mul_f32_e32 v142, v143, v130
	v_pk_add_f32 v[30:31], v[30:31], v[144:145] neg_lo:[0,1] neg_hi:[0,1]
	s_delay_alu instid0(VALU_DEP_2) | instskip(NEXT) | instid1(VALU_DEP_1)
	v_pk_fma_f32 v[132:133], v[132:133], v[40:41], v[142:143] op_sel_hi:[1,1,0]
	v_mov_b32_e32 v141, v133
	s_delay_alu instid0(VALU_DEP_1) | instskip(SKIP_3) | instid1(VALU_DEP_1)
	v_pk_add_f32 v[32:33], v[32:33], v[140:141] neg_lo:[0,1] neg_hi:[0,1]
	ds_load_2addr_b64 v[140:143], v135 offset0:47 offset1:48
	s_wait_dscnt 0x0
	v_pk_mul_f32 v[132:133], v[140:141], v[128:129] op_sel:[0,1]
	v_pk_fma_f32 v[144:145], v[140:141], v[130:131], v[132:133] op_sel:[0,0,1] op_sel_hi:[1,1,0] neg_lo:[0,0,1] neg_hi:[0,0,1]
	v_pk_fma_f32 v[132:133], v[140:141], v[130:131], v[132:133] op_sel:[0,0,1] op_sel_hi:[1,0,0]
	s_delay_alu instid0(VALU_DEP_1) | instskip(SKIP_1) | instid1(VALU_DEP_1)
	v_mov_b32_e32 v145, v133
	v_pk_mul_f32 v[132:133], v[142:143], v[128:129] op_sel:[0,1]
	v_pk_fma_f32 v[140:141], v[142:143], v[130:131], v[132:133] op_sel:[0,0,1] op_sel_hi:[1,1,0] neg_lo:[0,0,1] neg_hi:[0,0,1]
	v_pk_fma_f32 v[132:133], v[142:143], v[130:131], v[132:133] op_sel:[0,0,1] op_sel_hi:[1,0,0]
	s_delay_alu instid0(VALU_DEP_1) | instskip(SKIP_1) | instid1(VALU_DEP_2)
	v_mov_b32_e32 v141, v133
	v_pk_add_f32 v[28:29], v[28:29], v[144:145] neg_lo:[0,1] neg_hi:[0,1]
	v_pk_add_f32 v[26:27], v[26:27], v[140:141] neg_lo:[0,1] neg_hi:[0,1]
	ds_load_2addr_b64 v[140:143], v135 offset0:49 offset1:50
	s_wait_dscnt 0x0
	v_pk_mul_f32 v[132:133], v[140:141], v[128:129] op_sel:[0,1]
	s_delay_alu instid0(VALU_DEP_1) | instskip(SKIP_1) | instid1(VALU_DEP_1)
	v_pk_fma_f32 v[144:145], v[140:141], v[130:131], v[132:133] op_sel:[0,0,1] op_sel_hi:[1,1,0] neg_lo:[0,0,1] neg_hi:[0,0,1]
	v_pk_fma_f32 v[132:133], v[140:141], v[130:131], v[132:133] op_sel:[0,0,1] op_sel_hi:[1,0,0]
	v_mov_b32_e32 v145, v133
	v_pk_mul_f32 v[132:133], v[142:143], v[128:129] op_sel:[0,1]
	s_delay_alu instid0(VALU_DEP_1) | instskip(SKIP_1) | instid1(VALU_DEP_1)
	v_pk_fma_f32 v[140:141], v[142:143], v[130:131], v[132:133] op_sel:[0,0,1] op_sel_hi:[1,1,0] neg_lo:[0,0,1] neg_hi:[0,0,1]
	v_pk_fma_f32 v[132:133], v[142:143], v[130:131], v[132:133] op_sel:[0,0,1] op_sel_hi:[1,0,0]
	v_mov_b32_e32 v141, v133
	v_pk_add_f32 v[22:23], v[22:23], v[144:145] neg_lo:[0,1] neg_hi:[0,1]
	s_delay_alu instid0(VALU_DEP_2) | instskip(SKIP_3) | instid1(VALU_DEP_1)
	v_pk_add_f32 v[24:25], v[24:25], v[140:141] neg_lo:[0,1] neg_hi:[0,1]
	ds_load_2addr_b64 v[140:143], v135 offset0:51 offset1:52
	s_wait_dscnt 0x0
	v_dual_mul_f32 v132, v141, v129 :: v_dual_mul_f32 v144, v141, v130
	v_pk_fma_f32 v[132:133], v[140:141], v[40:41], v[132:133] op_sel_hi:[1,1,0] neg_lo:[0,0,1] neg_hi:[0,0,1]
	s_delay_alu instid0(VALU_DEP_2) | instskip(NEXT) | instid1(VALU_DEP_1)
	v_pk_fma_f32 v[140:141], v[140:141], v[40:41], v[144:145] op_sel:[1,0,0] op_sel_hi:[0,1,0]
	v_mov_b32_e32 v133, v141
	s_delay_alu instid0(VALU_DEP_1) | instskip(SKIP_1) | instid1(VALU_DEP_1)
	v_pk_add_f32 v[44:45], v[44:45], v[132:133] neg_lo:[0,1] neg_hi:[0,1]
	v_pk_mul_f32 v[132:133], v[142:143], v[128:129] op_sel:[0,1]
	v_pk_fma_f32 v[140:141], v[142:143], v[130:131], v[132:133] op_sel:[0,0,1] op_sel_hi:[1,1,0] neg_lo:[0,0,1] neg_hi:[0,0,1]
	v_pk_fma_f32 v[132:133], v[142:143], v[130:131], v[132:133] op_sel:[0,0,1] op_sel_hi:[1,0,0]
	s_delay_alu instid0(VALU_DEP_1) | instskip(NEXT) | instid1(VALU_DEP_1)
	v_mov_b32_e32 v141, v133
	v_pk_add_f32 v[16:17], v[16:17], v[140:141] neg_lo:[0,1] neg_hi:[0,1]
	ds_load_2addr_b64 v[140:143], v135 offset0:53 offset1:54
	s_wait_dscnt 0x0
	v_pk_mul_f32 v[132:133], v[140:141], v[128:129] op_sel:[0,1]
	s_delay_alu instid0(VALU_DEP_1) | instskip(SKIP_1) | instid1(VALU_DEP_1)
	v_pk_fma_f32 v[144:145], v[140:141], v[130:131], v[132:133] op_sel:[0,0,1] op_sel_hi:[1,1,0] neg_lo:[0,0,1] neg_hi:[0,0,1]
	v_pk_fma_f32 v[132:133], v[140:141], v[130:131], v[132:133] op_sel:[0,0,1] op_sel_hi:[1,0,0]
	v_mov_b32_e32 v145, v133
	v_pk_mul_f32 v[132:133], v[142:143], v[128:129] op_sel:[0,1]
	s_delay_alu instid0(VALU_DEP_2) | instskip(NEXT) | instid1(VALU_DEP_2)
	v_pk_add_f32 v[12:13], v[12:13], v[144:145] neg_lo:[0,1] neg_hi:[0,1]
	v_pk_fma_f32 v[140:141], v[142:143], v[130:131], v[132:133] op_sel:[0,0,1] op_sel_hi:[1,1,0] neg_lo:[0,0,1] neg_hi:[0,0,1]
	v_pk_fma_f32 v[132:133], v[142:143], v[130:131], v[132:133] op_sel:[0,0,1] op_sel_hi:[1,0,0]
	s_delay_alu instid0(VALU_DEP_1) | instskip(NEXT) | instid1(VALU_DEP_1)
	v_mov_b32_e32 v141, v133
	v_pk_add_f32 v[14:15], v[14:15], v[140:141] neg_lo:[0,1] neg_hi:[0,1]
	ds_load_2addr_b64 v[140:143], v135 offset0:55 offset1:56
	s_wait_dscnt 0x0
	v_pk_mul_f32 v[132:133], v[140:141], v[128:129] op_sel:[0,1]
	s_delay_alu instid0(VALU_DEP_1) | instskip(SKIP_2) | instid1(VALU_DEP_2)
	v_pk_fma_f32 v[144:145], v[140:141], v[130:131], v[132:133] op_sel:[0,0,1] op_sel_hi:[1,1,0] neg_lo:[0,0,1] neg_hi:[0,0,1]
	v_pk_fma_f32 v[132:133], v[140:141], v[130:131], v[132:133] op_sel:[0,0,1] op_sel_hi:[1,0,0]
	v_dual_mul_f32 v140, v143, v129 :: v_dual_mov_b32 v132, v143
	v_dual_mov_b32 v145, v133 :: v_dual_mov_b32 v133, v142
	s_delay_alu instid0(VALU_DEP_2) | instskip(SKIP_1) | instid1(VALU_DEP_3)
	v_pk_fma_f32 v[140:141], v[142:143], v[40:41], v[140:141] op_sel_hi:[1,1,0] neg_lo:[0,0,1] neg_hi:[0,0,1]
	v_mul_f32_e32 v142, v143, v130
	v_pk_add_f32 v[10:11], v[10:11], v[144:145] neg_lo:[0,1] neg_hi:[0,1]
	s_delay_alu instid0(VALU_DEP_2) | instskip(NEXT) | instid1(VALU_DEP_1)
	v_pk_fma_f32 v[132:133], v[132:133], v[40:41], v[142:143] op_sel_hi:[1,1,0]
	v_mov_b32_e32 v141, v133
	s_delay_alu instid0(VALU_DEP_1) | instskip(SKIP_3) | instid1(VALU_DEP_1)
	v_pk_add_f32 v[6:7], v[6:7], v[140:141] neg_lo:[0,1] neg_hi:[0,1]
	ds_load_2addr_b64 v[140:143], v135 offset0:57 offset1:58
	s_wait_dscnt 0x0
	v_pk_mul_f32 v[132:133], v[140:141], v[128:129] op_sel:[0,1]
	v_pk_fma_f32 v[144:145], v[140:141], v[130:131], v[132:133] op_sel:[0,0,1] op_sel_hi:[1,1,0] neg_lo:[0,0,1] neg_hi:[0,0,1]
	v_pk_fma_f32 v[132:133], v[140:141], v[130:131], v[132:133] op_sel:[0,0,1] op_sel_hi:[1,0,0]
	s_delay_alu instid0(VALU_DEP_1) | instskip(SKIP_1) | instid1(VALU_DEP_1)
	v_mov_b32_e32 v145, v133
	v_pk_mul_f32 v[132:133], v[142:143], v[128:129] op_sel:[0,1]
	v_pk_fma_f32 v[140:141], v[142:143], v[130:131], v[132:133] op_sel:[0,0,1] op_sel_hi:[1,1,0] neg_lo:[0,0,1] neg_hi:[0,0,1]
	v_pk_fma_f32 v[132:133], v[142:143], v[130:131], v[132:133] op_sel:[0,0,1] op_sel_hi:[1,0,0]
	s_delay_alu instid0(VALU_DEP_1) | instskip(SKIP_1) | instid1(VALU_DEP_2)
	v_mov_b32_e32 v141, v133
	v_pk_add_f32 v[20:21], v[20:21], v[144:145] neg_lo:[0,1] neg_hi:[0,1]
	v_pk_add_f32 v[18:19], v[18:19], v[140:141] neg_lo:[0,1] neg_hi:[0,1]
	ds_load_2addr_b64 v[140:143], v135 offset0:59 offset1:60
	s_wait_dscnt 0x0
	v_pk_mul_f32 v[132:133], v[140:141], v[128:129] op_sel:[0,1]
	v_mul_f32_e32 v128, v143, v129
	s_delay_alu instid0(VALU_DEP_2) | instskip(SKIP_2) | instid1(VALU_DEP_4)
	v_pk_fma_f32 v[144:145], v[140:141], v[130:131], v[132:133] op_sel:[0,0,1] op_sel_hi:[1,1,0] neg_lo:[0,0,1] neg_hi:[0,0,1]
	v_pk_fma_f32 v[132:133], v[140:141], v[130:131], v[132:133] op_sel:[0,0,1] op_sel_hi:[1,0,0]
	v_dual_mov_b32 v132, v143 :: v_dual_mul_f32 v130, v143, v130
	v_pk_fma_f32 v[128:129], v[142:143], v[40:41], v[128:129] op_sel_hi:[1,1,0] neg_lo:[0,0,1] neg_hi:[0,0,1]
	s_delay_alu instid0(VALU_DEP_3) | instskip(NEXT) | instid1(VALU_DEP_1)
	v_dual_mov_b32 v145, v133 :: v_dual_mov_b32 v133, v142
	v_pk_add_f32 v[8:9], v[8:9], v[144:145] neg_lo:[0,1] neg_hi:[0,1]
	s_delay_alu instid0(VALU_DEP_2) | instskip(NEXT) | instid1(VALU_DEP_1)
	v_pk_fma_f32 v[130:131], v[132:133], v[40:41], v[130:131] op_sel_hi:[1,1,0]
	v_mov_b32_e32 v129, v131
	s_delay_alu instid0(VALU_DEP_1)
	v_pk_add_f32 v[126:127], v[126:127], v[128:129] neg_lo:[0,1] neg_hi:[0,1]
.LBB120_902:
	s_or_b32 exec_lo, exec_lo, s0
	v_lshl_add_u32 v128, v138, 3, v135
	s_barrier_signal -1
	s_barrier_wait -1
	ds_store_b64 v128, v[36:37]
	s_wait_dscnt 0x0
	s_barrier_signal -1
	s_barrier_wait -1
	ds_load_b64 v[128:129], v135 offset:344
	v_mov_b32_e32 v130, 43
	s_cmp_lt_i32 s18, 45
	s_cbranch_scc1 .LBB120_905
; %bb.903:
	v_add3_u32 v131, v136, 0, 0x160
	v_mov_b32_e32 v130, 43
	s_mov_b32 s0, 44
.LBB120_904:                            ; =>This Inner Loop Header: Depth=1
	ds_load_b64 v[132:133], v131
	s_wait_dscnt 0x1
	v_cmp_gt_f32_e32 vcc_lo, 0, v128
	v_cndmask_b32_e64 v140, v128, -v128, vcc_lo
	v_cmp_gt_f32_e32 vcc_lo, 0, v129
	v_cndmask_b32_e64 v142, v129, -v129, vcc_lo
	s_wait_dscnt 0x0
	v_cmp_gt_f32_e32 vcc_lo, 0, v132
	v_cndmask_b32_e64 v141, v132, -v132, vcc_lo
	v_cmp_gt_f32_e32 vcc_lo, 0, v133
	v_cndmask_b32_e64 v143, v133, -v133, vcc_lo
	s_delay_alu instid0(VALU_DEP_1) | instskip(NEXT) | instid1(VALU_DEP_1)
	v_pk_add_f32 v[140:141], v[140:141], v[142:143]
	v_cmp_lt_f32_e32 vcc_lo, v140, v141
	v_dual_add_nc_u32 v131, 8, v131 :: v_dual_cndmask_b32 v129, v129, v133, vcc_lo
	v_cndmask_b32_e32 v128, v128, v132, vcc_lo
	v_cndmask_b32_e64 v130, v130, s0, vcc_lo
	s_add_co_i32 s0, s0, 1
	s_delay_alu instid0(SALU_CYCLE_1)
	s_cmp_lg_u32 s18, s0
	s_cbranch_scc1 .LBB120_904
.LBB120_905:
	s_wait_dscnt 0x0
	v_cmp_eq_f32_e32 vcc_lo, 0, v128
	v_cmp_eq_f32_e64 s0, 0, v129
	s_and_b32 s0, vcc_lo, s0
	s_delay_alu instid0(SALU_CYCLE_1) | instskip(NEXT) | instid1(SALU_CYCLE_1)
	s_and_saveexec_b32 s1, s0
	s_xor_b32 s0, exec_lo, s1
; %bb.906:
	v_cmp_ne_u32_e32 vcc_lo, 0, v134
	v_cndmask_b32_e32 v134, 44, v134, vcc_lo
; %bb.907:
	s_and_not1_saveexec_b32 s0, s0
	s_cbranch_execz .LBB120_913
; %bb.908:
	v_cmp_ngt_f32_e64 s1, |v128|, |v129|
	s_and_saveexec_b32 s12, s1
	s_delay_alu instid0(SALU_CYCLE_1)
	s_xor_b32 s1, exec_lo, s12
	s_cbranch_execz .LBB120_910
; %bb.909:
	v_div_scale_f32 v131, null, v129, v129, v128
	v_div_scale_f32 v139, vcc_lo, v128, v129, v128
	s_delay_alu instid0(VALU_DEP_2) | instskip(SKIP_1) | instid1(TRANS32_DEP_1)
	v_rcp_f32_e32 v132, v131
	v_nop
	v_fma_f32 v133, -v131, v132, 1.0
	s_delay_alu instid0(VALU_DEP_1) | instskip(NEXT) | instid1(VALU_DEP_1)
	v_fmac_f32_e32 v132, v133, v132
	v_mul_f32_e32 v133, v139, v132
	s_delay_alu instid0(VALU_DEP_1) | instskip(NEXT) | instid1(VALU_DEP_1)
	v_fma_f32 v140, -v131, v133, v139
	v_fmac_f32_e32 v133, v140, v132
	s_delay_alu instid0(VALU_DEP_1) | instskip(NEXT) | instid1(VALU_DEP_1)
	v_fma_f32 v131, -v131, v133, v139
	v_div_fmas_f32 v131, v131, v132, v133
	s_delay_alu instid0(VALU_DEP_1) | instskip(NEXT) | instid1(VALU_DEP_1)
	v_div_fixup_f32 v131, v131, v129, v128
	v_fmac_f32_e32 v129, v128, v131
	s_delay_alu instid0(VALU_DEP_1) | instskip(SKIP_1) | instid1(VALU_DEP_2)
	v_div_scale_f32 v128, null, v129, v129, 1.0
	v_div_scale_f32 v139, vcc_lo, 1.0, v129, 1.0
	v_rcp_f32_e32 v132, v128
	v_nop
	s_delay_alu instid0(TRANS32_DEP_1) | instskip(NEXT) | instid1(VALU_DEP_1)
	v_fma_f32 v133, -v128, v132, 1.0
	v_fmac_f32_e32 v132, v133, v132
	s_delay_alu instid0(VALU_DEP_1) | instskip(NEXT) | instid1(VALU_DEP_1)
	v_mul_f32_e32 v133, v139, v132
	v_fma_f32 v140, -v128, v133, v139
	s_delay_alu instid0(VALU_DEP_1) | instskip(NEXT) | instid1(VALU_DEP_1)
	v_fmac_f32_e32 v133, v140, v132
	v_fma_f32 v128, -v128, v133, v139
	s_delay_alu instid0(VALU_DEP_1) | instskip(NEXT) | instid1(VALU_DEP_1)
	v_div_fmas_f32 v128, v128, v132, v133
	v_div_fixup_f32 v129, v128, v129, 1.0
	s_delay_alu instid0(VALU_DEP_1)
	v_mul_f32_e32 v128, v131, v129
	v_xor_b32_e32 v129, 0x80000000, v129
.LBB120_910:
	s_and_not1_saveexec_b32 s1, s1
	s_cbranch_execz .LBB120_912
; %bb.911:
	s_delay_alu instid0(VALU_DEP_1) | instskip(SKIP_1) | instid1(VALU_DEP_2)
	v_div_scale_f32 v131, null, v128, v128, v129
	v_div_scale_f32 v139, vcc_lo, v129, v128, v129
	v_rcp_f32_e32 v132, v131
	v_nop
	s_delay_alu instid0(TRANS32_DEP_1) | instskip(NEXT) | instid1(VALU_DEP_1)
	v_fma_f32 v133, -v131, v132, 1.0
	v_fmac_f32_e32 v132, v133, v132
	s_delay_alu instid0(VALU_DEP_1) | instskip(NEXT) | instid1(VALU_DEP_1)
	v_mul_f32_e32 v133, v139, v132
	v_fma_f32 v140, -v131, v133, v139
	s_delay_alu instid0(VALU_DEP_1) | instskip(NEXT) | instid1(VALU_DEP_1)
	v_fmac_f32_e32 v133, v140, v132
	v_fma_f32 v131, -v131, v133, v139
	s_delay_alu instid0(VALU_DEP_1) | instskip(NEXT) | instid1(VALU_DEP_1)
	v_div_fmas_f32 v131, v131, v132, v133
	v_div_fixup_f32 v131, v131, v128, v129
	s_delay_alu instid0(VALU_DEP_1) | instskip(NEXT) | instid1(VALU_DEP_1)
	v_fmac_f32_e32 v128, v129, v131
	v_div_scale_f32 v129, null, v128, v128, 1.0
	s_delay_alu instid0(VALU_DEP_1) | instskip(SKIP_1) | instid1(TRANS32_DEP_1)
	v_rcp_f32_e32 v132, v129
	v_nop
	v_fma_f32 v133, -v129, v132, 1.0
	s_delay_alu instid0(VALU_DEP_1) | instskip(SKIP_1) | instid1(VALU_DEP_1)
	v_fmac_f32_e32 v132, v133, v132
	v_div_scale_f32 v133, vcc_lo, 1.0, v128, 1.0
	v_mul_f32_e32 v139, v133, v132
	s_delay_alu instid0(VALU_DEP_1) | instskip(NEXT) | instid1(VALU_DEP_1)
	v_fma_f32 v140, -v129, v139, v133
	v_fmac_f32_e32 v139, v140, v132
	s_delay_alu instid0(VALU_DEP_1) | instskip(NEXT) | instid1(VALU_DEP_1)
	v_fma_f32 v129, -v129, v139, v133
	v_div_fmas_f32 v129, v129, v132, v139
	s_delay_alu instid0(VALU_DEP_1) | instskip(NEXT) | instid1(VALU_DEP_1)
	v_div_fixup_f32 v128, v129, v128, 1.0
	v_mul_f32_e64 v129, v131, -v128
.LBB120_912:
	s_or_b32 exec_lo, exec_lo, s1
.LBB120_913:
	s_delay_alu instid0(SALU_CYCLE_1) | instskip(NEXT) | instid1(SALU_CYCLE_1)
	s_or_b32 exec_lo, exec_lo, s0
	s_mov_b32 s0, exec_lo
	v_cmpx_ne_u32_e64 v138, v130
	s_xor_b32 s0, exec_lo, s0
	s_cbranch_execz .LBB120_919
; %bb.914:
	s_mov_b32 s1, exec_lo
	v_cmpx_eq_u32_e32 43, v138
	s_cbranch_execz .LBB120_918
; %bb.915:
	v_cmp_ne_u32_e32 vcc_lo, 43, v130
	s_xor_b32 s12, s16, -1
	s_delay_alu instid0(SALU_CYCLE_1) | instskip(NEXT) | instid1(SALU_CYCLE_1)
	s_and_b32 s13, s12, vcc_lo
	s_and_saveexec_b32 s12, s13
	s_cbranch_execz .LBB120_917
; %bb.916:
	v_ashrrev_i32_e32 v131, 31, v130
	s_delay_alu instid0(VALU_DEP_1)
	v_lshl_add_u64 v[132:133], v[130:131], 2, v[4:5]
	s_clause 0x1
	global_load_b32 v131, v[132:133], off
	global_load_b32 v137, v[4:5], off offset:172
	s_wait_loadcnt 0x1
	global_store_b32 v[4:5], v131, off offset:172
	s_wait_loadcnt 0x0
	global_store_b32 v[132:133], v137, off
.LBB120_917:
	s_wait_xcnt 0x0
	s_or_b32 exec_lo, exec_lo, s12
	v_dual_mov_b32 v138, v130 :: v_dual_mov_b32 v137, v130
.LBB120_918:
	s_or_b32 exec_lo, exec_lo, s1
.LBB120_919:
	s_and_not1_saveexec_b32 s0, s0
	s_cbranch_execz .LBB120_921
; %bb.920:
	v_dual_mov_b32 v130, v34 :: v_dual_mov_b32 v131, v35
	v_dual_mov_b32 v132, v30 :: v_dual_mov_b32 v133, v31
	;; [unrolled: 1-line block ×8, first 2 shown]
	ds_store_2addr_b64 v135, v[130:131], v[132:133] offset0:44 offset1:45
	ds_store_2addr_b64 v135, v[138:139], v[140:141] offset0:46 offset1:47
	ds_store_2addr_b64 v135, v[142:143], v[144:145] offset0:48 offset1:49
	ds_store_2addr_b64 v135, v[146:147], v[148:149] offset0:50 offset1:51
	v_dual_mov_b32 v130, v16 :: v_dual_mov_b32 v131, v17
	v_dual_mov_b32 v132, v12 :: v_dual_mov_b32 v133, v13
	;; [unrolled: 1-line block ×8, first 2 shown]
	v_mov_b32_e32 v151, v9
	ds_store_2addr_b64 v135, v[130:131], v[132:133] offset0:52 offset1:53
	ds_store_2addr_b64 v135, v[140:141], v[142:143] offset0:54 offset1:55
	;; [unrolled: 1-line block ×4, first 2 shown]
	ds_store_b64 v135, v[126:127] offset:480
.LBB120_921:
	s_or_b32 exec_lo, exec_lo, s0
	s_delay_alu instid0(SALU_CYCLE_1)
	s_mov_b32 s0, exec_lo
	s_wait_storecnt_dscnt 0x0
	s_barrier_signal -1
	s_barrier_wait -1
	v_cmpx_lt_i32_e32 43, v138
	s_cbranch_execz .LBB120_923
; %bb.922:
	ds_load_2addr_b64 v[140:143], v135 offset0:44 offset1:45
	v_pk_mul_f32 v[132:133], v[128:129], v[36:37] op_sel:[1,1] op_sel_hi:[0,1]
	s_delay_alu instid0(VALU_DEP_1) | instskip(SKIP_1) | instid1(VALU_DEP_1)
	v_pk_fma_f32 v[130:131], v[128:129], v[36:37], v[132:133] op_sel_hi:[1,0,1] neg_lo:[0,0,1] neg_hi:[0,0,1]
	v_pk_fma_f32 v[128:129], v[128:129], v[36:37], v[132:133] op_sel_hi:[1,0,1]
	v_dual_mov_b32 v36, v130 :: v_dual_mov_b32 v37, v129
	s_wait_dscnt 0x0
	s_delay_alu instid0(VALU_DEP_2) | instskip(NEXT) | instid1(VALU_DEP_1)
	v_pk_mul_f32 v[132:133], v[140:141], v[128:129] op_sel:[0,1]
	v_pk_fma_f32 v[144:145], v[140:141], v[130:131], v[132:133] op_sel:[0,0,1] op_sel_hi:[1,1,0] neg_lo:[0,0,1] neg_hi:[0,0,1]
	v_pk_fma_f32 v[132:133], v[140:141], v[130:131], v[132:133] op_sel:[0,0,1] op_sel_hi:[1,0,0]
	s_delay_alu instid0(VALU_DEP_1) | instskip(SKIP_1) | instid1(VALU_DEP_1)
	v_mov_b32_e32 v145, v133
	v_pk_mul_f32 v[132:133], v[142:143], v[128:129] op_sel:[0,1]
	v_pk_fma_f32 v[140:141], v[142:143], v[130:131], v[132:133] op_sel:[0,0,1] op_sel_hi:[1,1,0] neg_lo:[0,0,1] neg_hi:[0,0,1]
	v_pk_fma_f32 v[132:133], v[142:143], v[130:131], v[132:133] op_sel:[0,0,1] op_sel_hi:[1,0,0]
	s_delay_alu instid0(VALU_DEP_1) | instskip(SKIP_1) | instid1(VALU_DEP_2)
	v_mov_b32_e32 v141, v133
	v_pk_add_f32 v[34:35], v[34:35], v[144:145] neg_lo:[0,1] neg_hi:[0,1]
	v_pk_add_f32 v[30:31], v[30:31], v[140:141] neg_lo:[0,1] neg_hi:[0,1]
	ds_load_2addr_b64 v[140:143], v135 offset0:46 offset1:47
	s_wait_dscnt 0x0
	v_pk_mul_f32 v[132:133], v[140:141], v[128:129] op_sel:[0,1]
	s_delay_alu instid0(VALU_DEP_1) | instskip(SKIP_2) | instid1(VALU_DEP_2)
	v_pk_fma_f32 v[144:145], v[140:141], v[130:131], v[132:133] op_sel:[0,0,1] op_sel_hi:[1,1,0] neg_lo:[0,0,1] neg_hi:[0,0,1]
	v_pk_fma_f32 v[132:133], v[140:141], v[130:131], v[132:133] op_sel:[0,0,1] op_sel_hi:[1,0,0]
	v_dual_mul_f32 v140, v143, v129 :: v_dual_mov_b32 v132, v143
	v_dual_mov_b32 v145, v133 :: v_dual_mov_b32 v133, v142
	s_delay_alu instid0(VALU_DEP_2) | instskip(SKIP_1) | instid1(VALU_DEP_3)
	v_pk_fma_f32 v[140:141], v[142:143], v[36:37], v[140:141] op_sel_hi:[1,1,0] neg_lo:[0,0,1] neg_hi:[0,0,1]
	v_mul_f32_e32 v142, v143, v130
	v_pk_add_f32 v[32:33], v[32:33], v[144:145] neg_lo:[0,1] neg_hi:[0,1]
	s_delay_alu instid0(VALU_DEP_2) | instskip(NEXT) | instid1(VALU_DEP_1)
	v_pk_fma_f32 v[132:133], v[132:133], v[36:37], v[142:143] op_sel_hi:[1,1,0]
	v_mov_b32_e32 v141, v133
	s_delay_alu instid0(VALU_DEP_1) | instskip(SKIP_3) | instid1(VALU_DEP_1)
	v_pk_add_f32 v[28:29], v[28:29], v[140:141] neg_lo:[0,1] neg_hi:[0,1]
	ds_load_2addr_b64 v[140:143], v135 offset0:48 offset1:49
	s_wait_dscnt 0x0
	v_pk_mul_f32 v[132:133], v[140:141], v[128:129] op_sel:[0,1]
	v_pk_fma_f32 v[144:145], v[140:141], v[130:131], v[132:133] op_sel:[0,0,1] op_sel_hi:[1,1,0] neg_lo:[0,0,1] neg_hi:[0,0,1]
	v_pk_fma_f32 v[132:133], v[140:141], v[130:131], v[132:133] op_sel:[0,0,1] op_sel_hi:[1,0,0]
	s_delay_alu instid0(VALU_DEP_1) | instskip(SKIP_1) | instid1(VALU_DEP_1)
	v_mov_b32_e32 v145, v133
	v_pk_mul_f32 v[132:133], v[142:143], v[128:129] op_sel:[0,1]
	v_pk_fma_f32 v[140:141], v[142:143], v[130:131], v[132:133] op_sel:[0,0,1] op_sel_hi:[1,1,0] neg_lo:[0,0,1] neg_hi:[0,0,1]
	v_pk_fma_f32 v[132:133], v[142:143], v[130:131], v[132:133] op_sel:[0,0,1] op_sel_hi:[1,0,0]
	s_delay_alu instid0(VALU_DEP_1) | instskip(SKIP_1) | instid1(VALU_DEP_2)
	v_mov_b32_e32 v141, v133
	v_pk_add_f32 v[26:27], v[26:27], v[144:145] neg_lo:[0,1] neg_hi:[0,1]
	v_pk_add_f32 v[22:23], v[22:23], v[140:141] neg_lo:[0,1] neg_hi:[0,1]
	ds_load_2addr_b64 v[140:143], v135 offset0:50 offset1:51
	s_wait_dscnt 0x0
	v_pk_mul_f32 v[132:133], v[140:141], v[128:129] op_sel:[0,1]
	s_delay_alu instid0(VALU_DEP_1) | instskip(SKIP_1) | instid1(VALU_DEP_1)
	v_pk_fma_f32 v[144:145], v[140:141], v[130:131], v[132:133] op_sel:[0,0,1] op_sel_hi:[1,1,0] neg_lo:[0,0,1] neg_hi:[0,0,1]
	v_pk_fma_f32 v[132:133], v[140:141], v[130:131], v[132:133] op_sel:[0,0,1] op_sel_hi:[1,0,0]
	v_mov_b32_e32 v145, v133
	v_pk_mul_f32 v[132:133], v[142:143], v[128:129] op_sel:[0,1]
	s_delay_alu instid0(VALU_DEP_1) | instskip(SKIP_1) | instid1(VALU_DEP_1)
	v_pk_fma_f32 v[140:141], v[142:143], v[130:131], v[132:133] op_sel:[0,0,1] op_sel_hi:[1,1,0] neg_lo:[0,0,1] neg_hi:[0,0,1]
	v_pk_fma_f32 v[132:133], v[142:143], v[130:131], v[132:133] op_sel:[0,0,1] op_sel_hi:[1,0,0]
	v_mov_b32_e32 v141, v133
	v_pk_add_f32 v[24:25], v[24:25], v[144:145] neg_lo:[0,1] neg_hi:[0,1]
	s_delay_alu instid0(VALU_DEP_2) | instskip(SKIP_3) | instid1(VALU_DEP_1)
	v_pk_add_f32 v[44:45], v[44:45], v[140:141] neg_lo:[0,1] neg_hi:[0,1]
	ds_load_2addr_b64 v[140:143], v135 offset0:52 offset1:53
	s_wait_dscnt 0x0
	v_dual_mul_f32 v132, v141, v129 :: v_dual_mul_f32 v144, v141, v130
	v_pk_fma_f32 v[132:133], v[140:141], v[36:37], v[132:133] op_sel_hi:[1,1,0] neg_lo:[0,0,1] neg_hi:[0,0,1]
	s_delay_alu instid0(VALU_DEP_2) | instskip(NEXT) | instid1(VALU_DEP_1)
	v_pk_fma_f32 v[140:141], v[140:141], v[36:37], v[144:145] op_sel:[1,0,0] op_sel_hi:[0,1,0]
	v_mov_b32_e32 v133, v141
	s_delay_alu instid0(VALU_DEP_1) | instskip(SKIP_1) | instid1(VALU_DEP_1)
	v_pk_add_f32 v[16:17], v[16:17], v[132:133] neg_lo:[0,1] neg_hi:[0,1]
	v_pk_mul_f32 v[132:133], v[142:143], v[128:129] op_sel:[0,1]
	v_pk_fma_f32 v[140:141], v[142:143], v[130:131], v[132:133] op_sel:[0,0,1] op_sel_hi:[1,1,0] neg_lo:[0,0,1] neg_hi:[0,0,1]
	v_pk_fma_f32 v[132:133], v[142:143], v[130:131], v[132:133] op_sel:[0,0,1] op_sel_hi:[1,0,0]
	s_delay_alu instid0(VALU_DEP_1) | instskip(NEXT) | instid1(VALU_DEP_1)
	v_mov_b32_e32 v141, v133
	v_pk_add_f32 v[12:13], v[12:13], v[140:141] neg_lo:[0,1] neg_hi:[0,1]
	ds_load_2addr_b64 v[140:143], v135 offset0:54 offset1:55
	s_wait_dscnt 0x0
	v_pk_mul_f32 v[132:133], v[140:141], v[128:129] op_sel:[0,1]
	s_delay_alu instid0(VALU_DEP_1) | instskip(SKIP_1) | instid1(VALU_DEP_1)
	v_pk_fma_f32 v[144:145], v[140:141], v[130:131], v[132:133] op_sel:[0,0,1] op_sel_hi:[1,1,0] neg_lo:[0,0,1] neg_hi:[0,0,1]
	v_pk_fma_f32 v[132:133], v[140:141], v[130:131], v[132:133] op_sel:[0,0,1] op_sel_hi:[1,0,0]
	v_mov_b32_e32 v145, v133
	v_pk_mul_f32 v[132:133], v[142:143], v[128:129] op_sel:[0,1]
	s_delay_alu instid0(VALU_DEP_2) | instskip(NEXT) | instid1(VALU_DEP_2)
	v_pk_add_f32 v[14:15], v[14:15], v[144:145] neg_lo:[0,1] neg_hi:[0,1]
	v_pk_fma_f32 v[140:141], v[142:143], v[130:131], v[132:133] op_sel:[0,0,1] op_sel_hi:[1,1,0] neg_lo:[0,0,1] neg_hi:[0,0,1]
	v_pk_fma_f32 v[132:133], v[142:143], v[130:131], v[132:133] op_sel:[0,0,1] op_sel_hi:[1,0,0]
	s_delay_alu instid0(VALU_DEP_1) | instskip(NEXT) | instid1(VALU_DEP_1)
	v_mov_b32_e32 v141, v133
	v_pk_add_f32 v[10:11], v[10:11], v[140:141] neg_lo:[0,1] neg_hi:[0,1]
	ds_load_2addr_b64 v[140:143], v135 offset0:56 offset1:57
	s_wait_dscnt 0x0
	v_pk_mul_f32 v[132:133], v[140:141], v[128:129] op_sel:[0,1]
	s_delay_alu instid0(VALU_DEP_1) | instskip(SKIP_2) | instid1(VALU_DEP_2)
	v_pk_fma_f32 v[144:145], v[140:141], v[130:131], v[132:133] op_sel:[0,0,1] op_sel_hi:[1,1,0] neg_lo:[0,0,1] neg_hi:[0,0,1]
	v_pk_fma_f32 v[132:133], v[140:141], v[130:131], v[132:133] op_sel:[0,0,1] op_sel_hi:[1,0,0]
	v_dual_mul_f32 v140, v143, v129 :: v_dual_mov_b32 v132, v143
	v_dual_mov_b32 v145, v133 :: v_dual_mov_b32 v133, v142
	s_delay_alu instid0(VALU_DEP_2) | instskip(SKIP_1) | instid1(VALU_DEP_3)
	v_pk_fma_f32 v[140:141], v[142:143], v[36:37], v[140:141] op_sel_hi:[1,1,0] neg_lo:[0,0,1] neg_hi:[0,0,1]
	v_mul_f32_e32 v142, v143, v130
	v_pk_add_f32 v[6:7], v[6:7], v[144:145] neg_lo:[0,1] neg_hi:[0,1]
	s_delay_alu instid0(VALU_DEP_2) | instskip(NEXT) | instid1(VALU_DEP_1)
	v_pk_fma_f32 v[132:133], v[132:133], v[36:37], v[142:143] op_sel_hi:[1,1,0]
	v_mov_b32_e32 v141, v133
	s_delay_alu instid0(VALU_DEP_1) | instskip(SKIP_3) | instid1(VALU_DEP_1)
	v_pk_add_f32 v[20:21], v[20:21], v[140:141] neg_lo:[0,1] neg_hi:[0,1]
	ds_load_2addr_b64 v[140:143], v135 offset0:58 offset1:59
	s_wait_dscnt 0x0
	v_pk_mul_f32 v[132:133], v[140:141], v[128:129] op_sel:[0,1]
	v_pk_fma_f32 v[144:145], v[140:141], v[130:131], v[132:133] op_sel:[0,0,1] op_sel_hi:[1,1,0] neg_lo:[0,0,1] neg_hi:[0,0,1]
	v_pk_fma_f32 v[132:133], v[140:141], v[130:131], v[132:133] op_sel:[0,0,1] op_sel_hi:[1,0,0]
	s_delay_alu instid0(VALU_DEP_1) | instskip(SKIP_1) | instid1(VALU_DEP_1)
	v_mov_b32_e32 v145, v133
	v_pk_mul_f32 v[132:133], v[142:143], v[128:129] op_sel:[0,1]
	v_pk_fma_f32 v[140:141], v[142:143], v[130:131], v[132:133] op_sel:[0,0,1] op_sel_hi:[1,1,0] neg_lo:[0,0,1] neg_hi:[0,0,1]
	v_pk_fma_f32 v[132:133], v[142:143], v[130:131], v[132:133] op_sel:[0,0,1] op_sel_hi:[1,0,0]
	s_delay_alu instid0(VALU_DEP_1)
	v_mov_b32_e32 v141, v133
	ds_load_b64 v[132:133], v135 offset:480
	v_pk_add_f32 v[18:19], v[18:19], v[144:145] neg_lo:[0,1] neg_hi:[0,1]
	v_pk_add_f32 v[8:9], v[8:9], v[140:141] neg_lo:[0,1] neg_hi:[0,1]
	s_wait_dscnt 0x0
	v_pk_mul_f32 v[128:129], v[132:133], v[128:129] op_sel:[0,1]
	s_delay_alu instid0(VALU_DEP_1) | instskip(SKIP_1) | instid1(VALU_DEP_1)
	v_pk_fma_f32 v[140:141], v[132:133], v[130:131], v[128:129] op_sel:[0,0,1] op_sel_hi:[1,1,0] neg_lo:[0,0,1] neg_hi:[0,0,1]
	v_pk_fma_f32 v[128:129], v[132:133], v[130:131], v[128:129] op_sel:[0,0,1] op_sel_hi:[1,0,0]
	v_mov_b32_e32 v141, v129
	s_delay_alu instid0(VALU_DEP_1)
	v_pk_add_f32 v[126:127], v[126:127], v[140:141] neg_lo:[0,1] neg_hi:[0,1]
.LBB120_923:
	s_or_b32 exec_lo, exec_lo, s0
	v_lshl_add_u32 v128, v138, 3, v135
	s_barrier_signal -1
	s_barrier_wait -1
	ds_store_b64 v128, v[34:35]
	s_wait_dscnt 0x0
	s_barrier_signal -1
	s_barrier_wait -1
	ds_load_b64 v[128:129], v135 offset:352
	v_mov_b32_e32 v130, 44
	s_cmp_lt_i32 s18, 46
	s_cbranch_scc1 .LBB120_926
; %bb.924:
	v_add3_u32 v131, v136, 0, 0x168
	v_mov_b32_e32 v130, 44
	s_mov_b32 s0, 45
.LBB120_925:                            ; =>This Inner Loop Header: Depth=1
	ds_load_b64 v[132:133], v131
	s_wait_dscnt 0x1
	v_cmp_gt_f32_e32 vcc_lo, 0, v128
	v_cndmask_b32_e64 v140, v128, -v128, vcc_lo
	v_cmp_gt_f32_e32 vcc_lo, 0, v129
	v_cndmask_b32_e64 v142, v129, -v129, vcc_lo
	s_wait_dscnt 0x0
	v_cmp_gt_f32_e32 vcc_lo, 0, v132
	v_cndmask_b32_e64 v141, v132, -v132, vcc_lo
	v_cmp_gt_f32_e32 vcc_lo, 0, v133
	v_cndmask_b32_e64 v143, v133, -v133, vcc_lo
	s_delay_alu instid0(VALU_DEP_1) | instskip(NEXT) | instid1(VALU_DEP_1)
	v_pk_add_f32 v[140:141], v[140:141], v[142:143]
	v_cmp_lt_f32_e32 vcc_lo, v140, v141
	v_dual_add_nc_u32 v131, 8, v131 :: v_dual_cndmask_b32 v129, v129, v133, vcc_lo
	v_cndmask_b32_e32 v128, v128, v132, vcc_lo
	v_cndmask_b32_e64 v130, v130, s0, vcc_lo
	s_add_co_i32 s0, s0, 1
	s_delay_alu instid0(SALU_CYCLE_1)
	s_cmp_lg_u32 s18, s0
	s_cbranch_scc1 .LBB120_925
.LBB120_926:
	s_wait_dscnt 0x0
	v_cmp_eq_f32_e32 vcc_lo, 0, v128
	v_cmp_eq_f32_e64 s0, 0, v129
	s_and_b32 s0, vcc_lo, s0
	s_delay_alu instid0(SALU_CYCLE_1) | instskip(NEXT) | instid1(SALU_CYCLE_1)
	s_and_saveexec_b32 s1, s0
	s_xor_b32 s0, exec_lo, s1
; %bb.927:
	v_cmp_ne_u32_e32 vcc_lo, 0, v134
	v_cndmask_b32_e32 v134, 45, v134, vcc_lo
; %bb.928:
	s_and_not1_saveexec_b32 s0, s0
	s_cbranch_execz .LBB120_934
; %bb.929:
	v_cmp_ngt_f32_e64 s1, |v128|, |v129|
	s_and_saveexec_b32 s12, s1
	s_delay_alu instid0(SALU_CYCLE_1)
	s_xor_b32 s1, exec_lo, s12
	s_cbranch_execz .LBB120_931
; %bb.930:
	v_div_scale_f32 v131, null, v129, v129, v128
	v_div_scale_f32 v139, vcc_lo, v128, v129, v128
	s_delay_alu instid0(VALU_DEP_2) | instskip(SKIP_1) | instid1(TRANS32_DEP_1)
	v_rcp_f32_e32 v132, v131
	v_nop
	v_fma_f32 v133, -v131, v132, 1.0
	s_delay_alu instid0(VALU_DEP_1) | instskip(NEXT) | instid1(VALU_DEP_1)
	v_fmac_f32_e32 v132, v133, v132
	v_mul_f32_e32 v133, v139, v132
	s_delay_alu instid0(VALU_DEP_1) | instskip(NEXT) | instid1(VALU_DEP_1)
	v_fma_f32 v140, -v131, v133, v139
	v_fmac_f32_e32 v133, v140, v132
	s_delay_alu instid0(VALU_DEP_1) | instskip(NEXT) | instid1(VALU_DEP_1)
	v_fma_f32 v131, -v131, v133, v139
	v_div_fmas_f32 v131, v131, v132, v133
	s_delay_alu instid0(VALU_DEP_1) | instskip(NEXT) | instid1(VALU_DEP_1)
	v_div_fixup_f32 v131, v131, v129, v128
	v_fmac_f32_e32 v129, v128, v131
	s_delay_alu instid0(VALU_DEP_1) | instskip(SKIP_1) | instid1(VALU_DEP_2)
	v_div_scale_f32 v128, null, v129, v129, 1.0
	v_div_scale_f32 v139, vcc_lo, 1.0, v129, 1.0
	v_rcp_f32_e32 v132, v128
	v_nop
	s_delay_alu instid0(TRANS32_DEP_1) | instskip(NEXT) | instid1(VALU_DEP_1)
	v_fma_f32 v133, -v128, v132, 1.0
	v_fmac_f32_e32 v132, v133, v132
	s_delay_alu instid0(VALU_DEP_1) | instskip(NEXT) | instid1(VALU_DEP_1)
	v_mul_f32_e32 v133, v139, v132
	v_fma_f32 v140, -v128, v133, v139
	s_delay_alu instid0(VALU_DEP_1) | instskip(NEXT) | instid1(VALU_DEP_1)
	v_fmac_f32_e32 v133, v140, v132
	v_fma_f32 v128, -v128, v133, v139
	s_delay_alu instid0(VALU_DEP_1) | instskip(NEXT) | instid1(VALU_DEP_1)
	v_div_fmas_f32 v128, v128, v132, v133
	v_div_fixup_f32 v129, v128, v129, 1.0
	s_delay_alu instid0(VALU_DEP_1)
	v_mul_f32_e32 v128, v131, v129
	v_xor_b32_e32 v129, 0x80000000, v129
.LBB120_931:
	s_and_not1_saveexec_b32 s1, s1
	s_cbranch_execz .LBB120_933
; %bb.932:
	s_delay_alu instid0(VALU_DEP_1) | instskip(SKIP_1) | instid1(VALU_DEP_2)
	v_div_scale_f32 v131, null, v128, v128, v129
	v_div_scale_f32 v139, vcc_lo, v129, v128, v129
	v_rcp_f32_e32 v132, v131
	v_nop
	s_delay_alu instid0(TRANS32_DEP_1) | instskip(NEXT) | instid1(VALU_DEP_1)
	v_fma_f32 v133, -v131, v132, 1.0
	v_fmac_f32_e32 v132, v133, v132
	s_delay_alu instid0(VALU_DEP_1) | instskip(NEXT) | instid1(VALU_DEP_1)
	v_mul_f32_e32 v133, v139, v132
	v_fma_f32 v140, -v131, v133, v139
	s_delay_alu instid0(VALU_DEP_1) | instskip(NEXT) | instid1(VALU_DEP_1)
	v_fmac_f32_e32 v133, v140, v132
	v_fma_f32 v131, -v131, v133, v139
	s_delay_alu instid0(VALU_DEP_1) | instskip(NEXT) | instid1(VALU_DEP_1)
	v_div_fmas_f32 v131, v131, v132, v133
	v_div_fixup_f32 v131, v131, v128, v129
	s_delay_alu instid0(VALU_DEP_1) | instskip(NEXT) | instid1(VALU_DEP_1)
	v_fmac_f32_e32 v128, v129, v131
	v_div_scale_f32 v129, null, v128, v128, 1.0
	s_delay_alu instid0(VALU_DEP_1) | instskip(SKIP_1) | instid1(TRANS32_DEP_1)
	v_rcp_f32_e32 v132, v129
	v_nop
	v_fma_f32 v133, -v129, v132, 1.0
	s_delay_alu instid0(VALU_DEP_1) | instskip(SKIP_1) | instid1(VALU_DEP_1)
	v_fmac_f32_e32 v132, v133, v132
	v_div_scale_f32 v133, vcc_lo, 1.0, v128, 1.0
	v_mul_f32_e32 v139, v133, v132
	s_delay_alu instid0(VALU_DEP_1) | instskip(NEXT) | instid1(VALU_DEP_1)
	v_fma_f32 v140, -v129, v139, v133
	v_fmac_f32_e32 v139, v140, v132
	s_delay_alu instid0(VALU_DEP_1) | instskip(NEXT) | instid1(VALU_DEP_1)
	v_fma_f32 v129, -v129, v139, v133
	v_div_fmas_f32 v129, v129, v132, v139
	s_delay_alu instid0(VALU_DEP_1) | instskip(NEXT) | instid1(VALU_DEP_1)
	v_div_fixup_f32 v128, v129, v128, 1.0
	v_mul_f32_e64 v129, v131, -v128
.LBB120_933:
	s_or_b32 exec_lo, exec_lo, s1
.LBB120_934:
	s_delay_alu instid0(SALU_CYCLE_1) | instskip(NEXT) | instid1(SALU_CYCLE_1)
	s_or_b32 exec_lo, exec_lo, s0
	s_mov_b32 s0, exec_lo
	v_cmpx_ne_u32_e64 v138, v130
	s_xor_b32 s0, exec_lo, s0
	s_cbranch_execz .LBB120_940
; %bb.935:
	s_mov_b32 s1, exec_lo
	v_cmpx_eq_u32_e32 44, v138
	s_cbranch_execz .LBB120_939
; %bb.936:
	v_cmp_ne_u32_e32 vcc_lo, 44, v130
	s_xor_b32 s12, s16, -1
	s_delay_alu instid0(SALU_CYCLE_1) | instskip(NEXT) | instid1(SALU_CYCLE_1)
	s_and_b32 s13, s12, vcc_lo
	s_and_saveexec_b32 s12, s13
	s_cbranch_execz .LBB120_938
; %bb.937:
	v_ashrrev_i32_e32 v131, 31, v130
	s_delay_alu instid0(VALU_DEP_1)
	v_lshl_add_u64 v[132:133], v[130:131], 2, v[4:5]
	s_clause 0x1
	global_load_b32 v131, v[132:133], off
	global_load_b32 v137, v[4:5], off offset:176
	s_wait_loadcnt 0x1
	global_store_b32 v[4:5], v131, off offset:176
	s_wait_loadcnt 0x0
	global_store_b32 v[132:133], v137, off
.LBB120_938:
	s_wait_xcnt 0x0
	s_or_b32 exec_lo, exec_lo, s12
	v_dual_mov_b32 v138, v130 :: v_dual_mov_b32 v137, v130
.LBB120_939:
	s_or_b32 exec_lo, exec_lo, s1
.LBB120_940:
	s_and_not1_saveexec_b32 s0, s0
	s_cbranch_execz .LBB120_942
; %bb.941:
	v_mov_b32_e32 v138, 44
	ds_store_2addr_b64 v135, v[30:31], v[32:33] offset0:45 offset1:46
	ds_store_2addr_b64 v135, v[28:29], v[26:27] offset0:47 offset1:48
	ds_store_2addr_b64 v135, v[22:23], v[24:25] offset0:49 offset1:50
	ds_store_2addr_b64 v135, v[44:45], v[16:17] offset0:51 offset1:52
	ds_store_2addr_b64 v135, v[12:13], v[14:15] offset0:53 offset1:54
	ds_store_2addr_b64 v135, v[10:11], v[6:7] offset0:55 offset1:56
	ds_store_2addr_b64 v135, v[20:21], v[18:19] offset0:57 offset1:58
	ds_store_2addr_b64 v135, v[8:9], v[126:127] offset0:59 offset1:60
.LBB120_942:
	s_or_b32 exec_lo, exec_lo, s0
	s_delay_alu instid0(SALU_CYCLE_1)
	s_mov_b32 s0, exec_lo
	s_wait_storecnt_dscnt 0x0
	s_barrier_signal -1
	s_barrier_wait -1
	v_cmpx_lt_i32_e32 44, v138
	s_cbranch_execz .LBB120_944
; %bb.943:
	ds_load_2addr_b64 v[140:143], v135 offset0:45 offset1:46
	v_pk_mul_f32 v[132:133], v[128:129], v[34:35] op_sel:[1,1] op_sel_hi:[0,1]
	s_delay_alu instid0(VALU_DEP_1) | instskip(SKIP_1) | instid1(VALU_DEP_1)
	v_pk_fma_f32 v[130:131], v[128:129], v[34:35], v[132:133] op_sel_hi:[1,0,1] neg_lo:[0,0,1] neg_hi:[0,0,1]
	v_pk_fma_f32 v[128:129], v[128:129], v[34:35], v[132:133] op_sel_hi:[1,0,1]
	v_dual_mov_b32 v34, v130 :: v_dual_mov_b32 v35, v129
	s_wait_dscnt 0x0
	s_delay_alu instid0(VALU_DEP_2) | instskip(NEXT) | instid1(VALU_DEP_1)
	v_pk_mul_f32 v[132:133], v[140:141], v[128:129] op_sel:[0,1]
	v_pk_fma_f32 v[144:145], v[140:141], v[130:131], v[132:133] op_sel:[0,0,1] op_sel_hi:[1,1,0] neg_lo:[0,0,1] neg_hi:[0,0,1]
	v_pk_fma_f32 v[132:133], v[140:141], v[130:131], v[132:133] op_sel:[0,0,1] op_sel_hi:[1,0,0]
	s_delay_alu instid0(VALU_DEP_1) | instskip(SKIP_1) | instid1(VALU_DEP_1)
	v_mov_b32_e32 v145, v133
	v_pk_mul_f32 v[132:133], v[142:143], v[128:129] op_sel:[0,1]
	v_pk_fma_f32 v[140:141], v[142:143], v[130:131], v[132:133] op_sel:[0,0,1] op_sel_hi:[1,1,0] neg_lo:[0,0,1] neg_hi:[0,0,1]
	v_pk_fma_f32 v[132:133], v[142:143], v[130:131], v[132:133] op_sel:[0,0,1] op_sel_hi:[1,0,0]
	s_delay_alu instid0(VALU_DEP_1) | instskip(SKIP_1) | instid1(VALU_DEP_2)
	v_mov_b32_e32 v141, v133
	v_pk_add_f32 v[30:31], v[30:31], v[144:145] neg_lo:[0,1] neg_hi:[0,1]
	v_pk_add_f32 v[32:33], v[32:33], v[140:141] neg_lo:[0,1] neg_hi:[0,1]
	ds_load_2addr_b64 v[140:143], v135 offset0:47 offset1:48
	s_wait_dscnt 0x0
	v_pk_mul_f32 v[132:133], v[140:141], v[128:129] op_sel:[0,1]
	s_delay_alu instid0(VALU_DEP_1) | instskip(SKIP_2) | instid1(VALU_DEP_2)
	v_pk_fma_f32 v[144:145], v[140:141], v[130:131], v[132:133] op_sel:[0,0,1] op_sel_hi:[1,1,0] neg_lo:[0,0,1] neg_hi:[0,0,1]
	v_pk_fma_f32 v[132:133], v[140:141], v[130:131], v[132:133] op_sel:[0,0,1] op_sel_hi:[1,0,0]
	v_dual_mul_f32 v140, v143, v129 :: v_dual_mov_b32 v132, v143
	v_dual_mov_b32 v145, v133 :: v_dual_mov_b32 v133, v142
	s_delay_alu instid0(VALU_DEP_2) | instskip(SKIP_1) | instid1(VALU_DEP_3)
	v_pk_fma_f32 v[140:141], v[142:143], v[34:35], v[140:141] op_sel_hi:[1,1,0] neg_lo:[0,0,1] neg_hi:[0,0,1]
	v_mul_f32_e32 v142, v143, v130
	v_pk_add_f32 v[28:29], v[28:29], v[144:145] neg_lo:[0,1] neg_hi:[0,1]
	s_delay_alu instid0(VALU_DEP_2) | instskip(NEXT) | instid1(VALU_DEP_1)
	v_pk_fma_f32 v[132:133], v[132:133], v[34:35], v[142:143] op_sel_hi:[1,1,0]
	v_mov_b32_e32 v141, v133
	s_delay_alu instid0(VALU_DEP_1) | instskip(SKIP_3) | instid1(VALU_DEP_1)
	v_pk_add_f32 v[26:27], v[26:27], v[140:141] neg_lo:[0,1] neg_hi:[0,1]
	ds_load_2addr_b64 v[140:143], v135 offset0:49 offset1:50
	s_wait_dscnt 0x0
	v_pk_mul_f32 v[132:133], v[140:141], v[128:129] op_sel:[0,1]
	v_pk_fma_f32 v[144:145], v[140:141], v[130:131], v[132:133] op_sel:[0,0,1] op_sel_hi:[1,1,0] neg_lo:[0,0,1] neg_hi:[0,0,1]
	v_pk_fma_f32 v[132:133], v[140:141], v[130:131], v[132:133] op_sel:[0,0,1] op_sel_hi:[1,0,0]
	s_delay_alu instid0(VALU_DEP_1) | instskip(SKIP_1) | instid1(VALU_DEP_1)
	v_mov_b32_e32 v145, v133
	v_pk_mul_f32 v[132:133], v[142:143], v[128:129] op_sel:[0,1]
	v_pk_fma_f32 v[140:141], v[142:143], v[130:131], v[132:133] op_sel:[0,0,1] op_sel_hi:[1,1,0] neg_lo:[0,0,1] neg_hi:[0,0,1]
	v_pk_fma_f32 v[132:133], v[142:143], v[130:131], v[132:133] op_sel:[0,0,1] op_sel_hi:[1,0,0]
	s_delay_alu instid0(VALU_DEP_1) | instskip(SKIP_1) | instid1(VALU_DEP_2)
	v_mov_b32_e32 v141, v133
	v_pk_add_f32 v[22:23], v[22:23], v[144:145] neg_lo:[0,1] neg_hi:[0,1]
	v_pk_add_f32 v[24:25], v[24:25], v[140:141] neg_lo:[0,1] neg_hi:[0,1]
	ds_load_2addr_b64 v[140:143], v135 offset0:51 offset1:52
	s_wait_dscnt 0x0
	v_pk_mul_f32 v[132:133], v[140:141], v[128:129] op_sel:[0,1]
	s_delay_alu instid0(VALU_DEP_1) | instskip(SKIP_1) | instid1(VALU_DEP_1)
	v_pk_fma_f32 v[144:145], v[140:141], v[130:131], v[132:133] op_sel:[0,0,1] op_sel_hi:[1,1,0] neg_lo:[0,0,1] neg_hi:[0,0,1]
	v_pk_fma_f32 v[132:133], v[140:141], v[130:131], v[132:133] op_sel:[0,0,1] op_sel_hi:[1,0,0]
	v_mov_b32_e32 v145, v133
	v_pk_mul_f32 v[132:133], v[142:143], v[128:129] op_sel:[0,1]
	s_delay_alu instid0(VALU_DEP_1) | instskip(SKIP_1) | instid1(VALU_DEP_1)
	v_pk_fma_f32 v[140:141], v[142:143], v[130:131], v[132:133] op_sel:[0,0,1] op_sel_hi:[1,1,0] neg_lo:[0,0,1] neg_hi:[0,0,1]
	v_pk_fma_f32 v[132:133], v[142:143], v[130:131], v[132:133] op_sel:[0,0,1] op_sel_hi:[1,0,0]
	v_mov_b32_e32 v141, v133
	v_pk_add_f32 v[44:45], v[44:45], v[144:145] neg_lo:[0,1] neg_hi:[0,1]
	s_delay_alu instid0(VALU_DEP_2) | instskip(SKIP_3) | instid1(VALU_DEP_1)
	v_pk_add_f32 v[16:17], v[16:17], v[140:141] neg_lo:[0,1] neg_hi:[0,1]
	ds_load_2addr_b64 v[140:143], v135 offset0:53 offset1:54
	s_wait_dscnt 0x0
	v_dual_mul_f32 v132, v141, v129 :: v_dual_mul_f32 v144, v141, v130
	v_pk_fma_f32 v[132:133], v[140:141], v[34:35], v[132:133] op_sel_hi:[1,1,0] neg_lo:[0,0,1] neg_hi:[0,0,1]
	s_delay_alu instid0(VALU_DEP_2) | instskip(NEXT) | instid1(VALU_DEP_1)
	v_pk_fma_f32 v[140:141], v[140:141], v[34:35], v[144:145] op_sel:[1,0,0] op_sel_hi:[0,1,0]
	v_mov_b32_e32 v133, v141
	s_delay_alu instid0(VALU_DEP_1) | instskip(SKIP_1) | instid1(VALU_DEP_1)
	v_pk_add_f32 v[12:13], v[12:13], v[132:133] neg_lo:[0,1] neg_hi:[0,1]
	v_pk_mul_f32 v[132:133], v[142:143], v[128:129] op_sel:[0,1]
	v_pk_fma_f32 v[140:141], v[142:143], v[130:131], v[132:133] op_sel:[0,0,1] op_sel_hi:[1,1,0] neg_lo:[0,0,1] neg_hi:[0,0,1]
	v_pk_fma_f32 v[132:133], v[142:143], v[130:131], v[132:133] op_sel:[0,0,1] op_sel_hi:[1,0,0]
	s_delay_alu instid0(VALU_DEP_1) | instskip(NEXT) | instid1(VALU_DEP_1)
	v_mov_b32_e32 v141, v133
	v_pk_add_f32 v[14:15], v[14:15], v[140:141] neg_lo:[0,1] neg_hi:[0,1]
	ds_load_2addr_b64 v[140:143], v135 offset0:55 offset1:56
	s_wait_dscnt 0x0
	v_pk_mul_f32 v[132:133], v[140:141], v[128:129] op_sel:[0,1]
	s_delay_alu instid0(VALU_DEP_1) | instskip(SKIP_1) | instid1(VALU_DEP_1)
	v_pk_fma_f32 v[144:145], v[140:141], v[130:131], v[132:133] op_sel:[0,0,1] op_sel_hi:[1,1,0] neg_lo:[0,0,1] neg_hi:[0,0,1]
	v_pk_fma_f32 v[132:133], v[140:141], v[130:131], v[132:133] op_sel:[0,0,1] op_sel_hi:[1,0,0]
	v_mov_b32_e32 v145, v133
	v_pk_mul_f32 v[132:133], v[142:143], v[128:129] op_sel:[0,1]
	s_delay_alu instid0(VALU_DEP_2) | instskip(NEXT) | instid1(VALU_DEP_2)
	v_pk_add_f32 v[10:11], v[10:11], v[144:145] neg_lo:[0,1] neg_hi:[0,1]
	v_pk_fma_f32 v[140:141], v[142:143], v[130:131], v[132:133] op_sel:[0,0,1] op_sel_hi:[1,1,0] neg_lo:[0,0,1] neg_hi:[0,0,1]
	v_pk_fma_f32 v[132:133], v[142:143], v[130:131], v[132:133] op_sel:[0,0,1] op_sel_hi:[1,0,0]
	s_delay_alu instid0(VALU_DEP_1) | instskip(NEXT) | instid1(VALU_DEP_1)
	v_mov_b32_e32 v141, v133
	v_pk_add_f32 v[6:7], v[6:7], v[140:141] neg_lo:[0,1] neg_hi:[0,1]
	ds_load_2addr_b64 v[140:143], v135 offset0:57 offset1:58
	s_wait_dscnt 0x0
	v_pk_mul_f32 v[132:133], v[140:141], v[128:129] op_sel:[0,1]
	s_delay_alu instid0(VALU_DEP_1) | instskip(SKIP_2) | instid1(VALU_DEP_2)
	v_pk_fma_f32 v[144:145], v[140:141], v[130:131], v[132:133] op_sel:[0,0,1] op_sel_hi:[1,1,0] neg_lo:[0,0,1] neg_hi:[0,0,1]
	v_pk_fma_f32 v[132:133], v[140:141], v[130:131], v[132:133] op_sel:[0,0,1] op_sel_hi:[1,0,0]
	v_dual_mul_f32 v140, v143, v129 :: v_dual_mov_b32 v132, v143
	v_dual_mov_b32 v145, v133 :: v_dual_mov_b32 v133, v142
	s_delay_alu instid0(VALU_DEP_2) | instskip(SKIP_1) | instid1(VALU_DEP_3)
	v_pk_fma_f32 v[140:141], v[142:143], v[34:35], v[140:141] op_sel_hi:[1,1,0] neg_lo:[0,0,1] neg_hi:[0,0,1]
	v_mul_f32_e32 v142, v143, v130
	v_pk_add_f32 v[20:21], v[20:21], v[144:145] neg_lo:[0,1] neg_hi:[0,1]
	s_delay_alu instid0(VALU_DEP_2) | instskip(NEXT) | instid1(VALU_DEP_1)
	v_pk_fma_f32 v[132:133], v[132:133], v[34:35], v[142:143] op_sel_hi:[1,1,0]
	v_mov_b32_e32 v141, v133
	s_delay_alu instid0(VALU_DEP_1) | instskip(SKIP_4) | instid1(VALU_DEP_2)
	v_pk_add_f32 v[18:19], v[18:19], v[140:141] neg_lo:[0,1] neg_hi:[0,1]
	ds_load_2addr_b64 v[140:143], v135 offset0:59 offset1:60
	s_wait_dscnt 0x0
	v_pk_mul_f32 v[132:133], v[140:141], v[128:129] op_sel:[0,1]
	v_pk_mul_f32 v[128:129], v[142:143], v[128:129] op_sel:[0,1]
	v_pk_fma_f32 v[144:145], v[140:141], v[130:131], v[132:133] op_sel:[0,0,1] op_sel_hi:[1,1,0] neg_lo:[0,0,1] neg_hi:[0,0,1]
	v_pk_fma_f32 v[132:133], v[140:141], v[130:131], v[132:133] op_sel:[0,0,1] op_sel_hi:[1,0,0]
	s_delay_alu instid0(VALU_DEP_1) | instskip(NEXT) | instid1(VALU_DEP_4)
	v_mov_b32_e32 v145, v133
	v_pk_fma_f32 v[132:133], v[142:143], v[130:131], v[128:129] op_sel:[0,0,1] op_sel_hi:[1,1,0] neg_lo:[0,0,1] neg_hi:[0,0,1]
	v_pk_fma_f32 v[128:129], v[142:143], v[130:131], v[128:129] op_sel:[0,0,1] op_sel_hi:[1,0,0]
	s_delay_alu instid0(VALU_DEP_1) | instskip(NEXT) | instid1(VALU_DEP_4)
	v_mov_b32_e32 v133, v129
	v_pk_add_f32 v[8:9], v[8:9], v[144:145] neg_lo:[0,1] neg_hi:[0,1]
	s_delay_alu instid0(VALU_DEP_2)
	v_pk_add_f32 v[126:127], v[126:127], v[132:133] neg_lo:[0,1] neg_hi:[0,1]
.LBB120_944:
	s_or_b32 exec_lo, exec_lo, s0
	v_lshl_add_u32 v128, v138, 3, v135
	s_barrier_signal -1
	s_barrier_wait -1
	ds_store_b64 v128, v[30:31]
	s_wait_dscnt 0x0
	s_barrier_signal -1
	s_barrier_wait -1
	ds_load_b64 v[128:129], v135 offset:360
	v_mov_b32_e32 v130, 45
	s_cmp_lt_i32 s18, 47
	s_cbranch_scc1 .LBB120_947
; %bb.945:
	v_add3_u32 v131, v136, 0, 0x170
	v_mov_b32_e32 v130, 45
	s_mov_b32 s0, 46
.LBB120_946:                            ; =>This Inner Loop Header: Depth=1
	ds_load_b64 v[132:133], v131
	s_wait_dscnt 0x1
	v_cmp_gt_f32_e32 vcc_lo, 0, v128
	v_cndmask_b32_e64 v140, v128, -v128, vcc_lo
	v_cmp_gt_f32_e32 vcc_lo, 0, v129
	v_cndmask_b32_e64 v142, v129, -v129, vcc_lo
	s_wait_dscnt 0x0
	v_cmp_gt_f32_e32 vcc_lo, 0, v132
	v_cndmask_b32_e64 v141, v132, -v132, vcc_lo
	v_cmp_gt_f32_e32 vcc_lo, 0, v133
	v_cndmask_b32_e64 v143, v133, -v133, vcc_lo
	s_delay_alu instid0(VALU_DEP_1) | instskip(NEXT) | instid1(VALU_DEP_1)
	v_pk_add_f32 v[140:141], v[140:141], v[142:143]
	v_cmp_lt_f32_e32 vcc_lo, v140, v141
	v_dual_add_nc_u32 v131, 8, v131 :: v_dual_cndmask_b32 v129, v129, v133, vcc_lo
	v_cndmask_b32_e32 v128, v128, v132, vcc_lo
	v_cndmask_b32_e64 v130, v130, s0, vcc_lo
	s_add_co_i32 s0, s0, 1
	s_delay_alu instid0(SALU_CYCLE_1)
	s_cmp_lg_u32 s18, s0
	s_cbranch_scc1 .LBB120_946
.LBB120_947:
	s_wait_dscnt 0x0
	v_cmp_eq_f32_e32 vcc_lo, 0, v128
	v_cmp_eq_f32_e64 s0, 0, v129
	s_and_b32 s0, vcc_lo, s0
	s_delay_alu instid0(SALU_CYCLE_1) | instskip(NEXT) | instid1(SALU_CYCLE_1)
	s_and_saveexec_b32 s1, s0
	s_xor_b32 s0, exec_lo, s1
; %bb.948:
	v_cmp_ne_u32_e32 vcc_lo, 0, v134
	v_cndmask_b32_e32 v134, 46, v134, vcc_lo
; %bb.949:
	s_and_not1_saveexec_b32 s0, s0
	s_cbranch_execz .LBB120_955
; %bb.950:
	v_cmp_ngt_f32_e64 s1, |v128|, |v129|
	s_and_saveexec_b32 s12, s1
	s_delay_alu instid0(SALU_CYCLE_1)
	s_xor_b32 s1, exec_lo, s12
	s_cbranch_execz .LBB120_952
; %bb.951:
	v_div_scale_f32 v131, null, v129, v129, v128
	v_div_scale_f32 v139, vcc_lo, v128, v129, v128
	s_delay_alu instid0(VALU_DEP_2) | instskip(SKIP_1) | instid1(TRANS32_DEP_1)
	v_rcp_f32_e32 v132, v131
	v_nop
	v_fma_f32 v133, -v131, v132, 1.0
	s_delay_alu instid0(VALU_DEP_1) | instskip(NEXT) | instid1(VALU_DEP_1)
	v_fmac_f32_e32 v132, v133, v132
	v_mul_f32_e32 v133, v139, v132
	s_delay_alu instid0(VALU_DEP_1) | instskip(NEXT) | instid1(VALU_DEP_1)
	v_fma_f32 v140, -v131, v133, v139
	v_fmac_f32_e32 v133, v140, v132
	s_delay_alu instid0(VALU_DEP_1) | instskip(NEXT) | instid1(VALU_DEP_1)
	v_fma_f32 v131, -v131, v133, v139
	v_div_fmas_f32 v131, v131, v132, v133
	s_delay_alu instid0(VALU_DEP_1) | instskip(NEXT) | instid1(VALU_DEP_1)
	v_div_fixup_f32 v131, v131, v129, v128
	v_fmac_f32_e32 v129, v128, v131
	s_delay_alu instid0(VALU_DEP_1) | instskip(SKIP_1) | instid1(VALU_DEP_2)
	v_div_scale_f32 v128, null, v129, v129, 1.0
	v_div_scale_f32 v139, vcc_lo, 1.0, v129, 1.0
	v_rcp_f32_e32 v132, v128
	v_nop
	s_delay_alu instid0(TRANS32_DEP_1) | instskip(NEXT) | instid1(VALU_DEP_1)
	v_fma_f32 v133, -v128, v132, 1.0
	v_fmac_f32_e32 v132, v133, v132
	s_delay_alu instid0(VALU_DEP_1) | instskip(NEXT) | instid1(VALU_DEP_1)
	v_mul_f32_e32 v133, v139, v132
	v_fma_f32 v140, -v128, v133, v139
	s_delay_alu instid0(VALU_DEP_1) | instskip(NEXT) | instid1(VALU_DEP_1)
	v_fmac_f32_e32 v133, v140, v132
	v_fma_f32 v128, -v128, v133, v139
	s_delay_alu instid0(VALU_DEP_1) | instskip(NEXT) | instid1(VALU_DEP_1)
	v_div_fmas_f32 v128, v128, v132, v133
	v_div_fixup_f32 v129, v128, v129, 1.0
	s_delay_alu instid0(VALU_DEP_1)
	v_mul_f32_e32 v128, v131, v129
	v_xor_b32_e32 v129, 0x80000000, v129
.LBB120_952:
	s_and_not1_saveexec_b32 s1, s1
	s_cbranch_execz .LBB120_954
; %bb.953:
	s_delay_alu instid0(VALU_DEP_1) | instskip(SKIP_1) | instid1(VALU_DEP_2)
	v_div_scale_f32 v131, null, v128, v128, v129
	v_div_scale_f32 v139, vcc_lo, v129, v128, v129
	v_rcp_f32_e32 v132, v131
	v_nop
	s_delay_alu instid0(TRANS32_DEP_1) | instskip(NEXT) | instid1(VALU_DEP_1)
	v_fma_f32 v133, -v131, v132, 1.0
	v_fmac_f32_e32 v132, v133, v132
	s_delay_alu instid0(VALU_DEP_1) | instskip(NEXT) | instid1(VALU_DEP_1)
	v_mul_f32_e32 v133, v139, v132
	v_fma_f32 v140, -v131, v133, v139
	s_delay_alu instid0(VALU_DEP_1) | instskip(NEXT) | instid1(VALU_DEP_1)
	v_fmac_f32_e32 v133, v140, v132
	v_fma_f32 v131, -v131, v133, v139
	s_delay_alu instid0(VALU_DEP_1) | instskip(NEXT) | instid1(VALU_DEP_1)
	v_div_fmas_f32 v131, v131, v132, v133
	v_div_fixup_f32 v131, v131, v128, v129
	s_delay_alu instid0(VALU_DEP_1) | instskip(NEXT) | instid1(VALU_DEP_1)
	v_fmac_f32_e32 v128, v129, v131
	v_div_scale_f32 v129, null, v128, v128, 1.0
	s_delay_alu instid0(VALU_DEP_1) | instskip(SKIP_1) | instid1(TRANS32_DEP_1)
	v_rcp_f32_e32 v132, v129
	v_nop
	v_fma_f32 v133, -v129, v132, 1.0
	s_delay_alu instid0(VALU_DEP_1) | instskip(SKIP_1) | instid1(VALU_DEP_1)
	v_fmac_f32_e32 v132, v133, v132
	v_div_scale_f32 v133, vcc_lo, 1.0, v128, 1.0
	v_mul_f32_e32 v139, v133, v132
	s_delay_alu instid0(VALU_DEP_1) | instskip(NEXT) | instid1(VALU_DEP_1)
	v_fma_f32 v140, -v129, v139, v133
	v_fmac_f32_e32 v139, v140, v132
	s_delay_alu instid0(VALU_DEP_1) | instskip(NEXT) | instid1(VALU_DEP_1)
	v_fma_f32 v129, -v129, v139, v133
	v_div_fmas_f32 v129, v129, v132, v139
	s_delay_alu instid0(VALU_DEP_1) | instskip(NEXT) | instid1(VALU_DEP_1)
	v_div_fixup_f32 v128, v129, v128, 1.0
	v_mul_f32_e64 v129, v131, -v128
.LBB120_954:
	s_or_b32 exec_lo, exec_lo, s1
.LBB120_955:
	s_delay_alu instid0(SALU_CYCLE_1) | instskip(NEXT) | instid1(SALU_CYCLE_1)
	s_or_b32 exec_lo, exec_lo, s0
	s_mov_b32 s0, exec_lo
	v_cmpx_ne_u32_e64 v138, v130
	s_xor_b32 s0, exec_lo, s0
	s_cbranch_execz .LBB120_961
; %bb.956:
	s_mov_b32 s1, exec_lo
	v_cmpx_eq_u32_e32 45, v138
	s_cbranch_execz .LBB120_960
; %bb.957:
	v_cmp_ne_u32_e32 vcc_lo, 45, v130
	s_xor_b32 s12, s16, -1
	s_delay_alu instid0(SALU_CYCLE_1) | instskip(NEXT) | instid1(SALU_CYCLE_1)
	s_and_b32 s13, s12, vcc_lo
	s_and_saveexec_b32 s12, s13
	s_cbranch_execz .LBB120_959
; %bb.958:
	v_ashrrev_i32_e32 v131, 31, v130
	s_delay_alu instid0(VALU_DEP_1)
	v_lshl_add_u64 v[132:133], v[130:131], 2, v[4:5]
	s_clause 0x1
	global_load_b32 v131, v[132:133], off
	global_load_b32 v137, v[4:5], off offset:180
	s_wait_loadcnt 0x1
	global_store_b32 v[4:5], v131, off offset:180
	s_wait_loadcnt 0x0
	global_store_b32 v[132:133], v137, off
.LBB120_959:
	s_wait_xcnt 0x0
	s_or_b32 exec_lo, exec_lo, s12
	v_dual_mov_b32 v138, v130 :: v_dual_mov_b32 v137, v130
.LBB120_960:
	s_or_b32 exec_lo, exec_lo, s1
.LBB120_961:
	s_and_not1_saveexec_b32 s0, s0
	s_cbranch_execz .LBB120_963
; %bb.962:
	v_dual_mov_b32 v130, v32 :: v_dual_mov_b32 v131, v33
	v_dual_mov_b32 v132, v28 :: v_dual_mov_b32 v133, v29
	;; [unrolled: 1-line block ×4, first 2 shown]
	ds_store_2addr_b64 v135, v[130:131], v[132:133] offset0:46 offset1:47
	ds_store_2addr_b64 v135, v[138:139], v[140:141] offset0:48 offset1:49
	v_dual_mov_b32 v130, v24 :: v_dual_mov_b32 v131, v25
	v_dual_mov_b32 v132, v44 :: v_dual_mov_b32 v133, v45
	;; [unrolled: 1-line block ×6, first 2 shown]
	ds_store_2addr_b64 v135, v[130:131], v[132:133] offset0:50 offset1:51
	ds_store_2addr_b64 v135, v[138:139], v[140:141] offset0:52 offset1:53
	v_dual_mov_b32 v138, 45 :: v_dual_mov_b32 v146, v6
	v_dual_mov_b32 v147, v7 :: v_dual_mov_b32 v148, v20
	;; [unrolled: 1-line block ×4, first 2 shown]
	v_mov_b32_e32 v153, v9
	ds_store_2addr_b64 v135, v[142:143], v[144:145] offset0:54 offset1:55
	ds_store_2addr_b64 v135, v[146:147], v[148:149] offset0:56 offset1:57
	;; [unrolled: 1-line block ×3, first 2 shown]
	ds_store_b64 v135, v[126:127] offset:480
.LBB120_963:
	s_or_b32 exec_lo, exec_lo, s0
	s_delay_alu instid0(SALU_CYCLE_1)
	s_mov_b32 s0, exec_lo
	s_wait_storecnt_dscnt 0x0
	s_barrier_signal -1
	s_barrier_wait -1
	v_cmpx_lt_i32_e32 45, v138
	s_cbranch_execz .LBB120_965
; %bb.964:
	ds_load_2addr_b64 v[140:143], v135 offset0:46 offset1:47
	v_pk_mul_f32 v[132:133], v[128:129], v[30:31] op_sel:[1,1] op_sel_hi:[0,1]
	s_delay_alu instid0(VALU_DEP_1) | instskip(SKIP_1) | instid1(VALU_DEP_1)
	v_pk_fma_f32 v[130:131], v[128:129], v[30:31], v[132:133] op_sel_hi:[1,0,1] neg_lo:[0,0,1] neg_hi:[0,0,1]
	v_pk_fma_f32 v[128:129], v[128:129], v[30:31], v[132:133] op_sel_hi:[1,0,1]
	v_dual_mov_b32 v30, v130 :: v_dual_mov_b32 v31, v129
	s_wait_dscnt 0x0
	s_delay_alu instid0(VALU_DEP_2) | instskip(NEXT) | instid1(VALU_DEP_1)
	v_pk_mul_f32 v[132:133], v[140:141], v[128:129] op_sel:[0,1]
	v_pk_fma_f32 v[144:145], v[140:141], v[130:131], v[132:133] op_sel:[0,0,1] op_sel_hi:[1,1,0] neg_lo:[0,0,1] neg_hi:[0,0,1]
	v_pk_fma_f32 v[132:133], v[140:141], v[130:131], v[132:133] op_sel:[0,0,1] op_sel_hi:[1,0,0]
	s_delay_alu instid0(VALU_DEP_1) | instskip(SKIP_1) | instid1(VALU_DEP_1)
	v_mov_b32_e32 v145, v133
	v_pk_mul_f32 v[132:133], v[142:143], v[128:129] op_sel:[0,1]
	v_pk_fma_f32 v[140:141], v[142:143], v[130:131], v[132:133] op_sel:[0,0,1] op_sel_hi:[1,1,0] neg_lo:[0,0,1] neg_hi:[0,0,1]
	v_pk_fma_f32 v[132:133], v[142:143], v[130:131], v[132:133] op_sel:[0,0,1] op_sel_hi:[1,0,0]
	s_delay_alu instid0(VALU_DEP_1) | instskip(SKIP_1) | instid1(VALU_DEP_2)
	v_mov_b32_e32 v141, v133
	v_pk_add_f32 v[32:33], v[32:33], v[144:145] neg_lo:[0,1] neg_hi:[0,1]
	v_pk_add_f32 v[28:29], v[28:29], v[140:141] neg_lo:[0,1] neg_hi:[0,1]
	ds_load_2addr_b64 v[140:143], v135 offset0:48 offset1:49
	s_wait_dscnt 0x0
	v_pk_mul_f32 v[132:133], v[140:141], v[128:129] op_sel:[0,1]
	s_delay_alu instid0(VALU_DEP_1) | instskip(SKIP_2) | instid1(VALU_DEP_2)
	v_pk_fma_f32 v[144:145], v[140:141], v[130:131], v[132:133] op_sel:[0,0,1] op_sel_hi:[1,1,0] neg_lo:[0,0,1] neg_hi:[0,0,1]
	v_pk_fma_f32 v[132:133], v[140:141], v[130:131], v[132:133] op_sel:[0,0,1] op_sel_hi:[1,0,0]
	v_dual_mul_f32 v140, v143, v129 :: v_dual_mov_b32 v132, v143
	v_dual_mov_b32 v145, v133 :: v_dual_mov_b32 v133, v142
	s_delay_alu instid0(VALU_DEP_2) | instskip(SKIP_1) | instid1(VALU_DEP_3)
	v_pk_fma_f32 v[140:141], v[142:143], v[30:31], v[140:141] op_sel_hi:[1,1,0] neg_lo:[0,0,1] neg_hi:[0,0,1]
	v_mul_f32_e32 v142, v143, v130
	v_pk_add_f32 v[26:27], v[26:27], v[144:145] neg_lo:[0,1] neg_hi:[0,1]
	s_delay_alu instid0(VALU_DEP_2) | instskip(NEXT) | instid1(VALU_DEP_1)
	v_pk_fma_f32 v[132:133], v[132:133], v[30:31], v[142:143] op_sel_hi:[1,1,0]
	v_mov_b32_e32 v141, v133
	s_delay_alu instid0(VALU_DEP_1) | instskip(SKIP_3) | instid1(VALU_DEP_1)
	v_pk_add_f32 v[22:23], v[22:23], v[140:141] neg_lo:[0,1] neg_hi:[0,1]
	ds_load_2addr_b64 v[140:143], v135 offset0:50 offset1:51
	s_wait_dscnt 0x0
	v_pk_mul_f32 v[132:133], v[140:141], v[128:129] op_sel:[0,1]
	v_pk_fma_f32 v[144:145], v[140:141], v[130:131], v[132:133] op_sel:[0,0,1] op_sel_hi:[1,1,0] neg_lo:[0,0,1] neg_hi:[0,0,1]
	v_pk_fma_f32 v[132:133], v[140:141], v[130:131], v[132:133] op_sel:[0,0,1] op_sel_hi:[1,0,0]
	s_delay_alu instid0(VALU_DEP_1) | instskip(SKIP_1) | instid1(VALU_DEP_1)
	v_mov_b32_e32 v145, v133
	v_pk_mul_f32 v[132:133], v[142:143], v[128:129] op_sel:[0,1]
	v_pk_fma_f32 v[140:141], v[142:143], v[130:131], v[132:133] op_sel:[0,0,1] op_sel_hi:[1,1,0] neg_lo:[0,0,1] neg_hi:[0,0,1]
	v_pk_fma_f32 v[132:133], v[142:143], v[130:131], v[132:133] op_sel:[0,0,1] op_sel_hi:[1,0,0]
	s_delay_alu instid0(VALU_DEP_1) | instskip(SKIP_1) | instid1(VALU_DEP_2)
	v_mov_b32_e32 v141, v133
	v_pk_add_f32 v[24:25], v[24:25], v[144:145] neg_lo:[0,1] neg_hi:[0,1]
	v_pk_add_f32 v[44:45], v[44:45], v[140:141] neg_lo:[0,1] neg_hi:[0,1]
	ds_load_2addr_b64 v[140:143], v135 offset0:52 offset1:53
	s_wait_dscnt 0x0
	v_pk_mul_f32 v[132:133], v[140:141], v[128:129] op_sel:[0,1]
	s_delay_alu instid0(VALU_DEP_1) | instskip(SKIP_1) | instid1(VALU_DEP_1)
	v_pk_fma_f32 v[144:145], v[140:141], v[130:131], v[132:133] op_sel:[0,0,1] op_sel_hi:[1,1,0] neg_lo:[0,0,1] neg_hi:[0,0,1]
	v_pk_fma_f32 v[132:133], v[140:141], v[130:131], v[132:133] op_sel:[0,0,1] op_sel_hi:[1,0,0]
	v_mov_b32_e32 v145, v133
	v_pk_mul_f32 v[132:133], v[142:143], v[128:129] op_sel:[0,1]
	s_delay_alu instid0(VALU_DEP_1) | instskip(SKIP_1) | instid1(VALU_DEP_1)
	v_pk_fma_f32 v[140:141], v[142:143], v[130:131], v[132:133] op_sel:[0,0,1] op_sel_hi:[1,1,0] neg_lo:[0,0,1] neg_hi:[0,0,1]
	v_pk_fma_f32 v[132:133], v[142:143], v[130:131], v[132:133] op_sel:[0,0,1] op_sel_hi:[1,0,0]
	v_mov_b32_e32 v141, v133
	v_pk_add_f32 v[16:17], v[16:17], v[144:145] neg_lo:[0,1] neg_hi:[0,1]
	s_delay_alu instid0(VALU_DEP_2) | instskip(SKIP_3) | instid1(VALU_DEP_1)
	v_pk_add_f32 v[12:13], v[12:13], v[140:141] neg_lo:[0,1] neg_hi:[0,1]
	ds_load_2addr_b64 v[140:143], v135 offset0:54 offset1:55
	s_wait_dscnt 0x0
	v_dual_mul_f32 v132, v141, v129 :: v_dual_mul_f32 v144, v141, v130
	v_pk_fma_f32 v[132:133], v[140:141], v[30:31], v[132:133] op_sel_hi:[1,1,0] neg_lo:[0,0,1] neg_hi:[0,0,1]
	s_delay_alu instid0(VALU_DEP_2) | instskip(NEXT) | instid1(VALU_DEP_1)
	v_pk_fma_f32 v[140:141], v[140:141], v[30:31], v[144:145] op_sel:[1,0,0] op_sel_hi:[0,1,0]
	v_mov_b32_e32 v133, v141
	s_delay_alu instid0(VALU_DEP_1) | instskip(SKIP_1) | instid1(VALU_DEP_1)
	v_pk_add_f32 v[14:15], v[14:15], v[132:133] neg_lo:[0,1] neg_hi:[0,1]
	v_pk_mul_f32 v[132:133], v[142:143], v[128:129] op_sel:[0,1]
	v_pk_fma_f32 v[140:141], v[142:143], v[130:131], v[132:133] op_sel:[0,0,1] op_sel_hi:[1,1,0] neg_lo:[0,0,1] neg_hi:[0,0,1]
	v_pk_fma_f32 v[132:133], v[142:143], v[130:131], v[132:133] op_sel:[0,0,1] op_sel_hi:[1,0,0]
	s_delay_alu instid0(VALU_DEP_1) | instskip(NEXT) | instid1(VALU_DEP_1)
	v_mov_b32_e32 v141, v133
	v_pk_add_f32 v[10:11], v[10:11], v[140:141] neg_lo:[0,1] neg_hi:[0,1]
	ds_load_2addr_b64 v[140:143], v135 offset0:56 offset1:57
	s_wait_dscnt 0x0
	v_pk_mul_f32 v[132:133], v[140:141], v[128:129] op_sel:[0,1]
	s_delay_alu instid0(VALU_DEP_1) | instskip(SKIP_1) | instid1(VALU_DEP_1)
	v_pk_fma_f32 v[144:145], v[140:141], v[130:131], v[132:133] op_sel:[0,0,1] op_sel_hi:[1,1,0] neg_lo:[0,0,1] neg_hi:[0,0,1]
	v_pk_fma_f32 v[132:133], v[140:141], v[130:131], v[132:133] op_sel:[0,0,1] op_sel_hi:[1,0,0]
	v_mov_b32_e32 v145, v133
	v_pk_mul_f32 v[132:133], v[142:143], v[128:129] op_sel:[0,1]
	s_delay_alu instid0(VALU_DEP_2) | instskip(NEXT) | instid1(VALU_DEP_2)
	v_pk_add_f32 v[6:7], v[6:7], v[144:145] neg_lo:[0,1] neg_hi:[0,1]
	v_pk_fma_f32 v[140:141], v[142:143], v[130:131], v[132:133] op_sel:[0,0,1] op_sel_hi:[1,1,0] neg_lo:[0,0,1] neg_hi:[0,0,1]
	v_pk_fma_f32 v[132:133], v[142:143], v[130:131], v[132:133] op_sel:[0,0,1] op_sel_hi:[1,0,0]
	s_delay_alu instid0(VALU_DEP_1) | instskip(NEXT) | instid1(VALU_DEP_1)
	v_mov_b32_e32 v141, v133
	v_pk_add_f32 v[20:21], v[20:21], v[140:141] neg_lo:[0,1] neg_hi:[0,1]
	ds_load_2addr_b64 v[140:143], v135 offset0:58 offset1:59
	s_wait_dscnt 0x0
	v_pk_mul_f32 v[132:133], v[140:141], v[128:129] op_sel:[0,1]
	s_delay_alu instid0(VALU_DEP_1) | instskip(SKIP_2) | instid1(VALU_DEP_2)
	v_pk_fma_f32 v[144:145], v[140:141], v[130:131], v[132:133] op_sel:[0,0,1] op_sel_hi:[1,1,0] neg_lo:[0,0,1] neg_hi:[0,0,1]
	v_pk_fma_f32 v[132:133], v[140:141], v[130:131], v[132:133] op_sel:[0,0,1] op_sel_hi:[1,0,0]
	v_dual_mul_f32 v140, v143, v129 :: v_dual_mov_b32 v132, v143
	v_dual_mov_b32 v145, v133 :: v_dual_mov_b32 v133, v142
	s_delay_alu instid0(VALU_DEP_2) | instskip(SKIP_1) | instid1(VALU_DEP_3)
	v_pk_fma_f32 v[140:141], v[142:143], v[30:31], v[140:141] op_sel_hi:[1,1,0] neg_lo:[0,0,1] neg_hi:[0,0,1]
	v_mul_f32_e32 v142, v143, v130
	v_pk_add_f32 v[18:19], v[18:19], v[144:145] neg_lo:[0,1] neg_hi:[0,1]
	s_delay_alu instid0(VALU_DEP_2) | instskip(NEXT) | instid1(VALU_DEP_1)
	v_pk_fma_f32 v[132:133], v[132:133], v[30:31], v[142:143] op_sel_hi:[1,1,0]
	v_mov_b32_e32 v141, v133
	ds_load_b64 v[132:133], v135 offset:480
	v_pk_add_f32 v[8:9], v[8:9], v[140:141] neg_lo:[0,1] neg_hi:[0,1]
	s_wait_dscnt 0x0
	v_pk_mul_f32 v[128:129], v[132:133], v[128:129] op_sel:[0,1]
	s_delay_alu instid0(VALU_DEP_1) | instskip(SKIP_1) | instid1(VALU_DEP_1)
	v_pk_fma_f32 v[140:141], v[132:133], v[130:131], v[128:129] op_sel:[0,0,1] op_sel_hi:[1,1,0] neg_lo:[0,0,1] neg_hi:[0,0,1]
	v_pk_fma_f32 v[128:129], v[132:133], v[130:131], v[128:129] op_sel:[0,0,1] op_sel_hi:[1,0,0]
	v_mov_b32_e32 v141, v129
	s_delay_alu instid0(VALU_DEP_1)
	v_pk_add_f32 v[126:127], v[126:127], v[140:141] neg_lo:[0,1] neg_hi:[0,1]
.LBB120_965:
	s_or_b32 exec_lo, exec_lo, s0
	v_lshl_add_u32 v128, v138, 3, v135
	s_barrier_signal -1
	s_barrier_wait -1
	ds_store_b64 v128, v[32:33]
	s_wait_dscnt 0x0
	s_barrier_signal -1
	s_barrier_wait -1
	ds_load_b64 v[128:129], v135 offset:368
	v_mov_b32_e32 v130, 46
	s_cmp_lt_i32 s18, 48
	s_cbranch_scc1 .LBB120_968
; %bb.966:
	v_add3_u32 v131, v136, 0, 0x178
	v_mov_b32_e32 v130, 46
	s_mov_b32 s0, 47
.LBB120_967:                            ; =>This Inner Loop Header: Depth=1
	ds_load_b64 v[132:133], v131
	s_wait_dscnt 0x1
	v_cmp_gt_f32_e32 vcc_lo, 0, v128
	v_cndmask_b32_e64 v140, v128, -v128, vcc_lo
	v_cmp_gt_f32_e32 vcc_lo, 0, v129
	v_cndmask_b32_e64 v142, v129, -v129, vcc_lo
	s_wait_dscnt 0x0
	v_cmp_gt_f32_e32 vcc_lo, 0, v132
	v_cndmask_b32_e64 v141, v132, -v132, vcc_lo
	v_cmp_gt_f32_e32 vcc_lo, 0, v133
	v_cndmask_b32_e64 v143, v133, -v133, vcc_lo
	s_delay_alu instid0(VALU_DEP_1) | instskip(NEXT) | instid1(VALU_DEP_1)
	v_pk_add_f32 v[140:141], v[140:141], v[142:143]
	v_cmp_lt_f32_e32 vcc_lo, v140, v141
	v_dual_add_nc_u32 v131, 8, v131 :: v_dual_cndmask_b32 v129, v129, v133, vcc_lo
	v_cndmask_b32_e32 v128, v128, v132, vcc_lo
	v_cndmask_b32_e64 v130, v130, s0, vcc_lo
	s_add_co_i32 s0, s0, 1
	s_delay_alu instid0(SALU_CYCLE_1)
	s_cmp_lg_u32 s18, s0
	s_cbranch_scc1 .LBB120_967
.LBB120_968:
	s_wait_dscnt 0x0
	v_cmp_eq_f32_e32 vcc_lo, 0, v128
	v_cmp_eq_f32_e64 s0, 0, v129
	s_and_b32 s0, vcc_lo, s0
	s_delay_alu instid0(SALU_CYCLE_1) | instskip(NEXT) | instid1(SALU_CYCLE_1)
	s_and_saveexec_b32 s1, s0
	s_xor_b32 s0, exec_lo, s1
; %bb.969:
	v_cmp_ne_u32_e32 vcc_lo, 0, v134
	v_cndmask_b32_e32 v134, 47, v134, vcc_lo
; %bb.970:
	s_and_not1_saveexec_b32 s0, s0
	s_cbranch_execz .LBB120_976
; %bb.971:
	v_cmp_ngt_f32_e64 s1, |v128|, |v129|
	s_and_saveexec_b32 s12, s1
	s_delay_alu instid0(SALU_CYCLE_1)
	s_xor_b32 s1, exec_lo, s12
	s_cbranch_execz .LBB120_973
; %bb.972:
	v_div_scale_f32 v131, null, v129, v129, v128
	v_div_scale_f32 v139, vcc_lo, v128, v129, v128
	s_delay_alu instid0(VALU_DEP_2) | instskip(SKIP_1) | instid1(TRANS32_DEP_1)
	v_rcp_f32_e32 v132, v131
	v_nop
	v_fma_f32 v133, -v131, v132, 1.0
	s_delay_alu instid0(VALU_DEP_1) | instskip(NEXT) | instid1(VALU_DEP_1)
	v_fmac_f32_e32 v132, v133, v132
	v_mul_f32_e32 v133, v139, v132
	s_delay_alu instid0(VALU_DEP_1) | instskip(NEXT) | instid1(VALU_DEP_1)
	v_fma_f32 v140, -v131, v133, v139
	v_fmac_f32_e32 v133, v140, v132
	s_delay_alu instid0(VALU_DEP_1) | instskip(NEXT) | instid1(VALU_DEP_1)
	v_fma_f32 v131, -v131, v133, v139
	v_div_fmas_f32 v131, v131, v132, v133
	s_delay_alu instid0(VALU_DEP_1) | instskip(NEXT) | instid1(VALU_DEP_1)
	v_div_fixup_f32 v131, v131, v129, v128
	v_fmac_f32_e32 v129, v128, v131
	s_delay_alu instid0(VALU_DEP_1) | instskip(SKIP_1) | instid1(VALU_DEP_2)
	v_div_scale_f32 v128, null, v129, v129, 1.0
	v_div_scale_f32 v139, vcc_lo, 1.0, v129, 1.0
	v_rcp_f32_e32 v132, v128
	v_nop
	s_delay_alu instid0(TRANS32_DEP_1) | instskip(NEXT) | instid1(VALU_DEP_1)
	v_fma_f32 v133, -v128, v132, 1.0
	v_fmac_f32_e32 v132, v133, v132
	s_delay_alu instid0(VALU_DEP_1) | instskip(NEXT) | instid1(VALU_DEP_1)
	v_mul_f32_e32 v133, v139, v132
	v_fma_f32 v140, -v128, v133, v139
	s_delay_alu instid0(VALU_DEP_1) | instskip(NEXT) | instid1(VALU_DEP_1)
	v_fmac_f32_e32 v133, v140, v132
	v_fma_f32 v128, -v128, v133, v139
	s_delay_alu instid0(VALU_DEP_1) | instskip(NEXT) | instid1(VALU_DEP_1)
	v_div_fmas_f32 v128, v128, v132, v133
	v_div_fixup_f32 v129, v128, v129, 1.0
	s_delay_alu instid0(VALU_DEP_1)
	v_mul_f32_e32 v128, v131, v129
	v_xor_b32_e32 v129, 0x80000000, v129
.LBB120_973:
	s_and_not1_saveexec_b32 s1, s1
	s_cbranch_execz .LBB120_975
; %bb.974:
	s_delay_alu instid0(VALU_DEP_1) | instskip(SKIP_1) | instid1(VALU_DEP_2)
	v_div_scale_f32 v131, null, v128, v128, v129
	v_div_scale_f32 v139, vcc_lo, v129, v128, v129
	v_rcp_f32_e32 v132, v131
	v_nop
	s_delay_alu instid0(TRANS32_DEP_1) | instskip(NEXT) | instid1(VALU_DEP_1)
	v_fma_f32 v133, -v131, v132, 1.0
	v_fmac_f32_e32 v132, v133, v132
	s_delay_alu instid0(VALU_DEP_1) | instskip(NEXT) | instid1(VALU_DEP_1)
	v_mul_f32_e32 v133, v139, v132
	v_fma_f32 v140, -v131, v133, v139
	s_delay_alu instid0(VALU_DEP_1) | instskip(NEXT) | instid1(VALU_DEP_1)
	v_fmac_f32_e32 v133, v140, v132
	v_fma_f32 v131, -v131, v133, v139
	s_delay_alu instid0(VALU_DEP_1) | instskip(NEXT) | instid1(VALU_DEP_1)
	v_div_fmas_f32 v131, v131, v132, v133
	v_div_fixup_f32 v131, v131, v128, v129
	s_delay_alu instid0(VALU_DEP_1) | instskip(NEXT) | instid1(VALU_DEP_1)
	v_fmac_f32_e32 v128, v129, v131
	v_div_scale_f32 v129, null, v128, v128, 1.0
	s_delay_alu instid0(VALU_DEP_1) | instskip(SKIP_1) | instid1(TRANS32_DEP_1)
	v_rcp_f32_e32 v132, v129
	v_nop
	v_fma_f32 v133, -v129, v132, 1.0
	s_delay_alu instid0(VALU_DEP_1) | instskip(SKIP_1) | instid1(VALU_DEP_1)
	v_fmac_f32_e32 v132, v133, v132
	v_div_scale_f32 v133, vcc_lo, 1.0, v128, 1.0
	v_mul_f32_e32 v139, v133, v132
	s_delay_alu instid0(VALU_DEP_1) | instskip(NEXT) | instid1(VALU_DEP_1)
	v_fma_f32 v140, -v129, v139, v133
	v_fmac_f32_e32 v139, v140, v132
	s_delay_alu instid0(VALU_DEP_1) | instskip(NEXT) | instid1(VALU_DEP_1)
	v_fma_f32 v129, -v129, v139, v133
	v_div_fmas_f32 v129, v129, v132, v139
	s_delay_alu instid0(VALU_DEP_1) | instskip(NEXT) | instid1(VALU_DEP_1)
	v_div_fixup_f32 v128, v129, v128, 1.0
	v_mul_f32_e64 v129, v131, -v128
.LBB120_975:
	s_or_b32 exec_lo, exec_lo, s1
.LBB120_976:
	s_delay_alu instid0(SALU_CYCLE_1) | instskip(NEXT) | instid1(SALU_CYCLE_1)
	s_or_b32 exec_lo, exec_lo, s0
	s_mov_b32 s0, exec_lo
	v_cmpx_ne_u32_e64 v138, v130
	s_xor_b32 s0, exec_lo, s0
	s_cbranch_execz .LBB120_982
; %bb.977:
	s_mov_b32 s1, exec_lo
	v_cmpx_eq_u32_e32 46, v138
	s_cbranch_execz .LBB120_981
; %bb.978:
	v_cmp_ne_u32_e32 vcc_lo, 46, v130
	s_xor_b32 s12, s16, -1
	s_delay_alu instid0(SALU_CYCLE_1) | instskip(NEXT) | instid1(SALU_CYCLE_1)
	s_and_b32 s13, s12, vcc_lo
	s_and_saveexec_b32 s12, s13
	s_cbranch_execz .LBB120_980
; %bb.979:
	v_ashrrev_i32_e32 v131, 31, v130
	s_delay_alu instid0(VALU_DEP_1)
	v_lshl_add_u64 v[132:133], v[130:131], 2, v[4:5]
	s_clause 0x1
	global_load_b32 v131, v[132:133], off
	global_load_b32 v137, v[4:5], off offset:184
	s_wait_loadcnt 0x1
	global_store_b32 v[4:5], v131, off offset:184
	s_wait_loadcnt 0x0
	global_store_b32 v[132:133], v137, off
.LBB120_980:
	s_wait_xcnt 0x0
	s_or_b32 exec_lo, exec_lo, s12
	v_dual_mov_b32 v138, v130 :: v_dual_mov_b32 v137, v130
.LBB120_981:
	s_or_b32 exec_lo, exec_lo, s1
.LBB120_982:
	s_and_not1_saveexec_b32 s0, s0
	s_cbranch_execz .LBB120_984
; %bb.983:
	v_mov_b32_e32 v138, 46
	ds_store_2addr_b64 v135, v[28:29], v[26:27] offset0:47 offset1:48
	ds_store_2addr_b64 v135, v[22:23], v[24:25] offset0:49 offset1:50
	;; [unrolled: 1-line block ×7, first 2 shown]
.LBB120_984:
	s_or_b32 exec_lo, exec_lo, s0
	s_delay_alu instid0(SALU_CYCLE_1)
	s_mov_b32 s0, exec_lo
	s_wait_storecnt_dscnt 0x0
	s_barrier_signal -1
	s_barrier_wait -1
	v_cmpx_lt_i32_e32 46, v138
	s_cbranch_execz .LBB120_986
; %bb.985:
	v_pk_mul_f32 v[130:131], v[128:129], v[32:33] op_sel:[1,1] op_sel_hi:[0,1]
	s_delay_alu instid0(VALU_DEP_1)
	v_pk_fma_f32 v[132:133], v[128:129], v[32:33], v[130:131] op_sel_hi:[1,0,1] neg_lo:[0,0,1] neg_hi:[0,0,1]
	v_pk_fma_f32 v[140:141], v[128:129], v[32:33], v[130:131] op_sel_hi:[1,0,1]
	ds_load_2addr_b64 v[128:131], v135 offset0:47 offset1:48
	v_dual_mov_b32 v32, v132 :: v_dual_mov_b32 v33, v141
	s_wait_dscnt 0x0
	v_pk_mul_f32 v[142:143], v[128:129], v[140:141] op_sel:[0,1]
	s_delay_alu instid0(VALU_DEP_1) | instskip(SKIP_1) | instid1(VALU_DEP_1)
	v_pk_fma_f32 v[144:145], v[128:129], v[132:133], v[142:143] op_sel:[0,0,1] op_sel_hi:[1,1,0] neg_lo:[0,0,1] neg_hi:[0,0,1]
	v_pk_fma_f32 v[128:129], v[128:129], v[132:133], v[142:143] op_sel:[0,0,1] op_sel_hi:[1,0,0]
	v_mov_b32_e32 v145, v129
	v_pk_mul_f32 v[128:129], v[130:131], v[140:141] op_sel:[0,1]
	s_delay_alu instid0(VALU_DEP_1) | instskip(SKIP_1) | instid1(VALU_DEP_1)
	v_pk_fma_f32 v[142:143], v[130:131], v[132:133], v[128:129] op_sel:[0,0,1] op_sel_hi:[1,1,0] neg_lo:[0,0,1] neg_hi:[0,0,1]
	v_pk_fma_f32 v[128:129], v[130:131], v[132:133], v[128:129] op_sel:[0,0,1] op_sel_hi:[1,0,0]
	v_mov_b32_e32 v143, v129
	ds_load_2addr_b64 v[128:131], v135 offset0:49 offset1:50
	v_pk_add_f32 v[28:29], v[28:29], v[144:145] neg_lo:[0,1] neg_hi:[0,1]
	v_pk_add_f32 v[26:27], v[26:27], v[142:143] neg_lo:[0,1] neg_hi:[0,1]
	s_wait_dscnt 0x0
	v_pk_mul_f32 v[142:143], v[128:129], v[140:141] op_sel:[0,1]
	s_delay_alu instid0(VALU_DEP_1) | instskip(SKIP_2) | instid1(VALU_DEP_2)
	v_pk_fma_f32 v[144:145], v[128:129], v[132:133], v[142:143] op_sel:[0,0,1] op_sel_hi:[1,1,0] neg_lo:[0,0,1] neg_hi:[0,0,1]
	v_pk_fma_f32 v[128:129], v[128:129], v[132:133], v[142:143] op_sel:[0,0,1] op_sel_hi:[1,0,0]
	v_dual_mul_f32 v142, v131, v141 :: v_dual_mov_b32 v128, v131
	v_dual_mov_b32 v145, v129 :: v_dual_mov_b32 v129, v130
	s_delay_alu instid0(VALU_DEP_2) | instskip(SKIP_1) | instid1(VALU_DEP_3)
	v_pk_fma_f32 v[142:143], v[130:131], v[32:33], v[142:143] op_sel_hi:[1,1,0] neg_lo:[0,0,1] neg_hi:[0,0,1]
	v_mul_f32_e32 v130, v131, v132
	v_pk_add_f32 v[22:23], v[22:23], v[144:145] neg_lo:[0,1] neg_hi:[0,1]
	s_delay_alu instid0(VALU_DEP_2) | instskip(NEXT) | instid1(VALU_DEP_1)
	v_pk_fma_f32 v[128:129], v[128:129], v[32:33], v[130:131] op_sel_hi:[1,1,0]
	v_mov_b32_e32 v143, v129
	ds_load_2addr_b64 v[128:131], v135 offset0:51 offset1:52
	v_pk_add_f32 v[24:25], v[24:25], v[142:143] neg_lo:[0,1] neg_hi:[0,1]
	s_wait_dscnt 0x0
	v_pk_mul_f32 v[142:143], v[128:129], v[140:141] op_sel:[0,1]
	s_delay_alu instid0(VALU_DEP_1) | instskip(SKIP_1) | instid1(VALU_DEP_1)
	v_pk_fma_f32 v[144:145], v[128:129], v[132:133], v[142:143] op_sel:[0,0,1] op_sel_hi:[1,1,0] neg_lo:[0,0,1] neg_hi:[0,0,1]
	v_pk_fma_f32 v[128:129], v[128:129], v[132:133], v[142:143] op_sel:[0,0,1] op_sel_hi:[1,0,0]
	v_mov_b32_e32 v145, v129
	v_pk_mul_f32 v[128:129], v[130:131], v[140:141] op_sel:[0,1]
	s_delay_alu instid0(VALU_DEP_1) | instskip(SKIP_1) | instid1(VALU_DEP_1)
	v_pk_fma_f32 v[142:143], v[130:131], v[132:133], v[128:129] op_sel:[0,0,1] op_sel_hi:[1,1,0] neg_lo:[0,0,1] neg_hi:[0,0,1]
	v_pk_fma_f32 v[128:129], v[130:131], v[132:133], v[128:129] op_sel:[0,0,1] op_sel_hi:[1,0,0]
	v_mov_b32_e32 v143, v129
	ds_load_2addr_b64 v[128:131], v135 offset0:53 offset1:54
	v_pk_add_f32 v[44:45], v[44:45], v[144:145] neg_lo:[0,1] neg_hi:[0,1]
	v_pk_add_f32 v[16:17], v[16:17], v[142:143] neg_lo:[0,1] neg_hi:[0,1]
	s_wait_dscnt 0x0
	v_pk_mul_f32 v[142:143], v[128:129], v[140:141] op_sel:[0,1]
	s_delay_alu instid0(VALU_DEP_1) | instskip(SKIP_1) | instid1(VALU_DEP_1)
	v_pk_fma_f32 v[144:145], v[128:129], v[132:133], v[142:143] op_sel:[0,0,1] op_sel_hi:[1,1,0] neg_lo:[0,0,1] neg_hi:[0,0,1]
	v_pk_fma_f32 v[128:129], v[128:129], v[132:133], v[142:143] op_sel:[0,0,1] op_sel_hi:[1,0,0]
	v_mov_b32_e32 v145, v129
	v_pk_mul_f32 v[128:129], v[130:131], v[140:141] op_sel:[0,1]
	s_delay_alu instid0(VALU_DEP_1) | instskip(SKIP_1) | instid1(VALU_DEP_1)
	v_pk_fma_f32 v[142:143], v[130:131], v[132:133], v[128:129] op_sel:[0,0,1] op_sel_hi:[1,1,0] neg_lo:[0,0,1] neg_hi:[0,0,1]
	v_pk_fma_f32 v[128:129], v[130:131], v[132:133], v[128:129] op_sel:[0,0,1] op_sel_hi:[1,0,0]
	v_mov_b32_e32 v143, v129
	ds_load_2addr_b64 v[128:131], v135 offset0:55 offset1:56
	v_pk_add_f32 v[12:13], v[12:13], v[144:145] neg_lo:[0,1] neg_hi:[0,1]
	v_pk_add_f32 v[14:15], v[14:15], v[142:143] neg_lo:[0,1] neg_hi:[0,1]
	s_wait_dscnt 0x0
	v_dual_mul_f32 v142, v129, v141 :: v_dual_mul_f32 v144, v129, v132
	s_delay_alu instid0(VALU_DEP_1) | instskip(NEXT) | instid1(VALU_DEP_2)
	v_pk_fma_f32 v[142:143], v[128:129], v[32:33], v[142:143] op_sel_hi:[1,1,0] neg_lo:[0,0,1] neg_hi:[0,0,1]
	v_pk_fma_f32 v[128:129], v[128:129], v[32:33], v[144:145] op_sel:[1,0,0] op_sel_hi:[0,1,0]
	s_delay_alu instid0(VALU_DEP_1) | instskip(SKIP_1) | instid1(VALU_DEP_2)
	v_mov_b32_e32 v143, v129
	v_pk_mul_f32 v[128:129], v[130:131], v[140:141] op_sel:[0,1]
	v_pk_add_f32 v[10:11], v[10:11], v[142:143] neg_lo:[0,1] neg_hi:[0,1]
	s_delay_alu instid0(VALU_DEP_2) | instskip(SKIP_1) | instid1(VALU_DEP_1)
	v_pk_fma_f32 v[142:143], v[130:131], v[132:133], v[128:129] op_sel:[0,0,1] op_sel_hi:[1,1,0] neg_lo:[0,0,1] neg_hi:[0,0,1]
	v_pk_fma_f32 v[128:129], v[130:131], v[132:133], v[128:129] op_sel:[0,0,1] op_sel_hi:[1,0,0]
	v_mov_b32_e32 v143, v129
	ds_load_2addr_b64 v[128:131], v135 offset0:57 offset1:58
	v_pk_add_f32 v[6:7], v[6:7], v[142:143] neg_lo:[0,1] neg_hi:[0,1]
	s_wait_dscnt 0x0
	v_pk_mul_f32 v[142:143], v[128:129], v[140:141] op_sel:[0,1]
	s_delay_alu instid0(VALU_DEP_1) | instskip(SKIP_1) | instid1(VALU_DEP_1)
	v_pk_fma_f32 v[144:145], v[128:129], v[132:133], v[142:143] op_sel:[0,0,1] op_sel_hi:[1,1,0] neg_lo:[0,0,1] neg_hi:[0,0,1]
	v_pk_fma_f32 v[128:129], v[128:129], v[132:133], v[142:143] op_sel:[0,0,1] op_sel_hi:[1,0,0]
	v_mov_b32_e32 v145, v129
	v_pk_mul_f32 v[128:129], v[130:131], v[140:141] op_sel:[0,1]
	s_delay_alu instid0(VALU_DEP_2) | instskip(NEXT) | instid1(VALU_DEP_2)
	v_pk_add_f32 v[20:21], v[20:21], v[144:145] neg_lo:[0,1] neg_hi:[0,1]
	v_pk_fma_f32 v[142:143], v[130:131], v[132:133], v[128:129] op_sel:[0,0,1] op_sel_hi:[1,1,0] neg_lo:[0,0,1] neg_hi:[0,0,1]
	v_pk_fma_f32 v[128:129], v[130:131], v[132:133], v[128:129] op_sel:[0,0,1] op_sel_hi:[1,0,0]
	s_delay_alu instid0(VALU_DEP_1) | instskip(SKIP_4) | instid1(VALU_DEP_1)
	v_mov_b32_e32 v143, v129
	ds_load_2addr_b64 v[128:131], v135 offset0:59 offset1:60
	v_pk_add_f32 v[18:19], v[18:19], v[142:143] neg_lo:[0,1] neg_hi:[0,1]
	s_wait_dscnt 0x0
	v_pk_mul_f32 v[142:143], v[128:129], v[140:141] op_sel:[0,1]
	v_pk_fma_f32 v[144:145], v[128:129], v[132:133], v[142:143] op_sel:[0,0,1] op_sel_hi:[1,1,0] neg_lo:[0,0,1] neg_hi:[0,0,1]
	v_pk_fma_f32 v[128:129], v[128:129], v[132:133], v[142:143] op_sel:[0,0,1] op_sel_hi:[1,0,0]
	s_delay_alu instid0(VALU_DEP_1) | instskip(SKIP_1) | instid1(VALU_DEP_2)
	v_mov_b32_e32 v145, v129
	v_pk_mul_f32 v[128:129], v[130:131], v[140:141] op_sel:[0,1]
	v_pk_add_f32 v[8:9], v[8:9], v[144:145] neg_lo:[0,1] neg_hi:[0,1]
	s_delay_alu instid0(VALU_DEP_2) | instskip(SKIP_1) | instid1(VALU_DEP_1)
	v_pk_fma_f32 v[140:141], v[130:131], v[132:133], v[128:129] op_sel:[0,0,1] op_sel_hi:[1,1,0] neg_lo:[0,0,1] neg_hi:[0,0,1]
	v_pk_fma_f32 v[128:129], v[130:131], v[132:133], v[128:129] op_sel:[0,0,1] op_sel_hi:[1,0,0]
	v_mov_b32_e32 v141, v129
	s_delay_alu instid0(VALU_DEP_1)
	v_pk_add_f32 v[126:127], v[126:127], v[140:141] neg_lo:[0,1] neg_hi:[0,1]
.LBB120_986:
	s_or_b32 exec_lo, exec_lo, s0
	v_lshl_add_u32 v128, v138, 3, v135
	s_barrier_signal -1
	s_barrier_wait -1
	ds_store_b64 v128, v[28:29]
	s_wait_dscnt 0x0
	s_barrier_signal -1
	s_barrier_wait -1
	ds_load_b64 v[128:129], v135 offset:376
	v_mov_b32_e32 v130, 47
	s_cmp_lt_i32 s18, 49
	s_cbranch_scc1 .LBB120_989
; %bb.987:
	v_add3_u32 v131, v136, 0, 0x180
	v_mov_b32_e32 v130, 47
	s_mov_b32 s0, 48
.LBB120_988:                            ; =>This Inner Loop Header: Depth=1
	ds_load_b64 v[132:133], v131
	s_wait_dscnt 0x1
	v_cmp_gt_f32_e32 vcc_lo, 0, v128
	v_cndmask_b32_e64 v140, v128, -v128, vcc_lo
	v_cmp_gt_f32_e32 vcc_lo, 0, v129
	v_cndmask_b32_e64 v142, v129, -v129, vcc_lo
	s_wait_dscnt 0x0
	v_cmp_gt_f32_e32 vcc_lo, 0, v132
	v_cndmask_b32_e64 v141, v132, -v132, vcc_lo
	v_cmp_gt_f32_e32 vcc_lo, 0, v133
	v_cndmask_b32_e64 v143, v133, -v133, vcc_lo
	s_delay_alu instid0(VALU_DEP_1) | instskip(NEXT) | instid1(VALU_DEP_1)
	v_pk_add_f32 v[140:141], v[140:141], v[142:143]
	v_cmp_lt_f32_e32 vcc_lo, v140, v141
	v_dual_add_nc_u32 v131, 8, v131 :: v_dual_cndmask_b32 v129, v129, v133, vcc_lo
	v_cndmask_b32_e32 v128, v128, v132, vcc_lo
	v_cndmask_b32_e64 v130, v130, s0, vcc_lo
	s_add_co_i32 s0, s0, 1
	s_delay_alu instid0(SALU_CYCLE_1)
	s_cmp_lg_u32 s18, s0
	s_cbranch_scc1 .LBB120_988
.LBB120_989:
	s_wait_dscnt 0x0
	v_cmp_eq_f32_e32 vcc_lo, 0, v128
	v_cmp_eq_f32_e64 s0, 0, v129
	s_and_b32 s0, vcc_lo, s0
	s_delay_alu instid0(SALU_CYCLE_1) | instskip(NEXT) | instid1(SALU_CYCLE_1)
	s_and_saveexec_b32 s1, s0
	s_xor_b32 s0, exec_lo, s1
; %bb.990:
	v_cmp_ne_u32_e32 vcc_lo, 0, v134
	v_cndmask_b32_e32 v134, 48, v134, vcc_lo
; %bb.991:
	s_and_not1_saveexec_b32 s0, s0
	s_cbranch_execz .LBB120_997
; %bb.992:
	v_cmp_ngt_f32_e64 s1, |v128|, |v129|
	s_and_saveexec_b32 s12, s1
	s_delay_alu instid0(SALU_CYCLE_1)
	s_xor_b32 s1, exec_lo, s12
	s_cbranch_execz .LBB120_994
; %bb.993:
	v_div_scale_f32 v131, null, v129, v129, v128
	v_div_scale_f32 v139, vcc_lo, v128, v129, v128
	s_delay_alu instid0(VALU_DEP_2) | instskip(SKIP_1) | instid1(TRANS32_DEP_1)
	v_rcp_f32_e32 v132, v131
	v_nop
	v_fma_f32 v133, -v131, v132, 1.0
	s_delay_alu instid0(VALU_DEP_1) | instskip(NEXT) | instid1(VALU_DEP_1)
	v_fmac_f32_e32 v132, v133, v132
	v_mul_f32_e32 v133, v139, v132
	s_delay_alu instid0(VALU_DEP_1) | instskip(NEXT) | instid1(VALU_DEP_1)
	v_fma_f32 v140, -v131, v133, v139
	v_fmac_f32_e32 v133, v140, v132
	s_delay_alu instid0(VALU_DEP_1) | instskip(NEXT) | instid1(VALU_DEP_1)
	v_fma_f32 v131, -v131, v133, v139
	v_div_fmas_f32 v131, v131, v132, v133
	s_delay_alu instid0(VALU_DEP_1) | instskip(NEXT) | instid1(VALU_DEP_1)
	v_div_fixup_f32 v131, v131, v129, v128
	v_fmac_f32_e32 v129, v128, v131
	s_delay_alu instid0(VALU_DEP_1) | instskip(SKIP_1) | instid1(VALU_DEP_2)
	v_div_scale_f32 v128, null, v129, v129, 1.0
	v_div_scale_f32 v139, vcc_lo, 1.0, v129, 1.0
	v_rcp_f32_e32 v132, v128
	v_nop
	s_delay_alu instid0(TRANS32_DEP_1) | instskip(NEXT) | instid1(VALU_DEP_1)
	v_fma_f32 v133, -v128, v132, 1.0
	v_fmac_f32_e32 v132, v133, v132
	s_delay_alu instid0(VALU_DEP_1) | instskip(NEXT) | instid1(VALU_DEP_1)
	v_mul_f32_e32 v133, v139, v132
	v_fma_f32 v140, -v128, v133, v139
	s_delay_alu instid0(VALU_DEP_1) | instskip(NEXT) | instid1(VALU_DEP_1)
	v_fmac_f32_e32 v133, v140, v132
	v_fma_f32 v128, -v128, v133, v139
	s_delay_alu instid0(VALU_DEP_1) | instskip(NEXT) | instid1(VALU_DEP_1)
	v_div_fmas_f32 v128, v128, v132, v133
	v_div_fixup_f32 v129, v128, v129, 1.0
	s_delay_alu instid0(VALU_DEP_1)
	v_mul_f32_e32 v128, v131, v129
	v_xor_b32_e32 v129, 0x80000000, v129
.LBB120_994:
	s_and_not1_saveexec_b32 s1, s1
	s_cbranch_execz .LBB120_996
; %bb.995:
	s_delay_alu instid0(VALU_DEP_1) | instskip(SKIP_1) | instid1(VALU_DEP_2)
	v_div_scale_f32 v131, null, v128, v128, v129
	v_div_scale_f32 v139, vcc_lo, v129, v128, v129
	v_rcp_f32_e32 v132, v131
	v_nop
	s_delay_alu instid0(TRANS32_DEP_1) | instskip(NEXT) | instid1(VALU_DEP_1)
	v_fma_f32 v133, -v131, v132, 1.0
	v_fmac_f32_e32 v132, v133, v132
	s_delay_alu instid0(VALU_DEP_1) | instskip(NEXT) | instid1(VALU_DEP_1)
	v_mul_f32_e32 v133, v139, v132
	v_fma_f32 v140, -v131, v133, v139
	s_delay_alu instid0(VALU_DEP_1) | instskip(NEXT) | instid1(VALU_DEP_1)
	v_fmac_f32_e32 v133, v140, v132
	v_fma_f32 v131, -v131, v133, v139
	s_delay_alu instid0(VALU_DEP_1) | instskip(NEXT) | instid1(VALU_DEP_1)
	v_div_fmas_f32 v131, v131, v132, v133
	v_div_fixup_f32 v131, v131, v128, v129
	s_delay_alu instid0(VALU_DEP_1) | instskip(NEXT) | instid1(VALU_DEP_1)
	v_fmac_f32_e32 v128, v129, v131
	v_div_scale_f32 v129, null, v128, v128, 1.0
	s_delay_alu instid0(VALU_DEP_1) | instskip(SKIP_1) | instid1(TRANS32_DEP_1)
	v_rcp_f32_e32 v132, v129
	v_nop
	v_fma_f32 v133, -v129, v132, 1.0
	s_delay_alu instid0(VALU_DEP_1) | instskip(SKIP_1) | instid1(VALU_DEP_1)
	v_fmac_f32_e32 v132, v133, v132
	v_div_scale_f32 v133, vcc_lo, 1.0, v128, 1.0
	v_mul_f32_e32 v139, v133, v132
	s_delay_alu instid0(VALU_DEP_1) | instskip(NEXT) | instid1(VALU_DEP_1)
	v_fma_f32 v140, -v129, v139, v133
	v_fmac_f32_e32 v139, v140, v132
	s_delay_alu instid0(VALU_DEP_1) | instskip(NEXT) | instid1(VALU_DEP_1)
	v_fma_f32 v129, -v129, v139, v133
	v_div_fmas_f32 v129, v129, v132, v139
	s_delay_alu instid0(VALU_DEP_1) | instskip(NEXT) | instid1(VALU_DEP_1)
	v_div_fixup_f32 v128, v129, v128, 1.0
	v_mul_f32_e64 v129, v131, -v128
.LBB120_996:
	s_or_b32 exec_lo, exec_lo, s1
.LBB120_997:
	s_delay_alu instid0(SALU_CYCLE_1) | instskip(NEXT) | instid1(SALU_CYCLE_1)
	s_or_b32 exec_lo, exec_lo, s0
	s_mov_b32 s0, exec_lo
	v_cmpx_ne_u32_e64 v138, v130
	s_xor_b32 s0, exec_lo, s0
	s_cbranch_execz .LBB120_1003
; %bb.998:
	s_mov_b32 s1, exec_lo
	v_cmpx_eq_u32_e32 47, v138
	s_cbranch_execz .LBB120_1002
; %bb.999:
	v_cmp_ne_u32_e32 vcc_lo, 47, v130
	s_xor_b32 s12, s16, -1
	s_delay_alu instid0(SALU_CYCLE_1) | instskip(NEXT) | instid1(SALU_CYCLE_1)
	s_and_b32 s13, s12, vcc_lo
	s_and_saveexec_b32 s12, s13
	s_cbranch_execz .LBB120_1001
; %bb.1000:
	v_ashrrev_i32_e32 v131, 31, v130
	s_delay_alu instid0(VALU_DEP_1)
	v_lshl_add_u64 v[132:133], v[130:131], 2, v[4:5]
	s_clause 0x1
	global_load_b32 v131, v[132:133], off
	global_load_b32 v137, v[4:5], off offset:188
	s_wait_loadcnt 0x1
	global_store_b32 v[4:5], v131, off offset:188
	s_wait_loadcnt 0x0
	global_store_b32 v[132:133], v137, off
.LBB120_1001:
	s_wait_xcnt 0x0
	s_or_b32 exec_lo, exec_lo, s12
	v_dual_mov_b32 v138, v130 :: v_dual_mov_b32 v137, v130
.LBB120_1002:
	s_or_b32 exec_lo, exec_lo, s1
.LBB120_1003:
	s_and_not1_saveexec_b32 s0, s0
	s_cbranch_execz .LBB120_1005
; %bb.1004:
	v_dual_mov_b32 v130, v26 :: v_dual_mov_b32 v131, v27
	v_dual_mov_b32 v132, v22 :: v_dual_mov_b32 v133, v23
	;; [unrolled: 1-line block ×4, first 2 shown]
	ds_store_2addr_b64 v135, v[130:131], v[132:133] offset0:48 offset1:49
	ds_store_2addr_b64 v135, v[138:139], v[140:141] offset0:50 offset1:51
	v_dual_mov_b32 v130, v16 :: v_dual_mov_b32 v131, v17
	v_dual_mov_b32 v132, v12 :: v_dual_mov_b32 v133, v13
	;; [unrolled: 1-line block ×8, first 2 shown]
	v_mov_b32_e32 v151, v9
	ds_store_2addr_b64 v135, v[130:131], v[132:133] offset0:52 offset1:53
	ds_store_2addr_b64 v135, v[140:141], v[142:143] offset0:54 offset1:55
	;; [unrolled: 1-line block ×4, first 2 shown]
	ds_store_b64 v135, v[126:127] offset:480
.LBB120_1005:
	s_or_b32 exec_lo, exec_lo, s0
	s_delay_alu instid0(SALU_CYCLE_1)
	s_mov_b32 s0, exec_lo
	s_wait_storecnt_dscnt 0x0
	s_barrier_signal -1
	s_barrier_wait -1
	v_cmpx_lt_i32_e32 47, v138
	s_cbranch_execz .LBB120_1007
; %bb.1006:
	v_pk_mul_f32 v[130:131], v[128:129], v[28:29] op_sel:[1,1] op_sel_hi:[0,1]
	s_delay_alu instid0(VALU_DEP_1)
	v_pk_fma_f32 v[132:133], v[128:129], v[28:29], v[130:131] op_sel_hi:[1,0,1] neg_lo:[0,0,1] neg_hi:[0,0,1]
	v_pk_fma_f32 v[140:141], v[128:129], v[28:29], v[130:131] op_sel_hi:[1,0,1]
	ds_load_2addr_b64 v[128:131], v135 offset0:48 offset1:49
	v_dual_mov_b32 v28, v132 :: v_dual_mov_b32 v29, v141
	s_wait_dscnt 0x0
	v_pk_mul_f32 v[142:143], v[128:129], v[140:141] op_sel:[0,1]
	s_delay_alu instid0(VALU_DEP_1) | instskip(SKIP_1) | instid1(VALU_DEP_1)
	v_pk_fma_f32 v[144:145], v[128:129], v[132:133], v[142:143] op_sel:[0,0,1] op_sel_hi:[1,1,0] neg_lo:[0,0,1] neg_hi:[0,0,1]
	v_pk_fma_f32 v[128:129], v[128:129], v[132:133], v[142:143] op_sel:[0,0,1] op_sel_hi:[1,0,0]
	v_mov_b32_e32 v145, v129
	v_pk_mul_f32 v[128:129], v[130:131], v[140:141] op_sel:[0,1]
	s_delay_alu instid0(VALU_DEP_1) | instskip(SKIP_1) | instid1(VALU_DEP_1)
	v_pk_fma_f32 v[142:143], v[130:131], v[132:133], v[128:129] op_sel:[0,0,1] op_sel_hi:[1,1,0] neg_lo:[0,0,1] neg_hi:[0,0,1]
	v_pk_fma_f32 v[128:129], v[130:131], v[132:133], v[128:129] op_sel:[0,0,1] op_sel_hi:[1,0,0]
	v_mov_b32_e32 v143, v129
	ds_load_2addr_b64 v[128:131], v135 offset0:50 offset1:51
	v_pk_add_f32 v[26:27], v[26:27], v[144:145] neg_lo:[0,1] neg_hi:[0,1]
	v_pk_add_f32 v[22:23], v[22:23], v[142:143] neg_lo:[0,1] neg_hi:[0,1]
	s_wait_dscnt 0x0
	v_pk_mul_f32 v[142:143], v[128:129], v[140:141] op_sel:[0,1]
	s_delay_alu instid0(VALU_DEP_1) | instskip(SKIP_2) | instid1(VALU_DEP_2)
	v_pk_fma_f32 v[144:145], v[128:129], v[132:133], v[142:143] op_sel:[0,0,1] op_sel_hi:[1,1,0] neg_lo:[0,0,1] neg_hi:[0,0,1]
	v_pk_fma_f32 v[128:129], v[128:129], v[132:133], v[142:143] op_sel:[0,0,1] op_sel_hi:[1,0,0]
	v_dual_mul_f32 v142, v131, v141 :: v_dual_mov_b32 v128, v131
	v_dual_mov_b32 v145, v129 :: v_dual_mov_b32 v129, v130
	s_delay_alu instid0(VALU_DEP_2) | instskip(SKIP_1) | instid1(VALU_DEP_3)
	v_pk_fma_f32 v[142:143], v[130:131], v[28:29], v[142:143] op_sel_hi:[1,1,0] neg_lo:[0,0,1] neg_hi:[0,0,1]
	v_mul_f32_e32 v130, v131, v132
	v_pk_add_f32 v[24:25], v[24:25], v[144:145] neg_lo:[0,1] neg_hi:[0,1]
	s_delay_alu instid0(VALU_DEP_2) | instskip(NEXT) | instid1(VALU_DEP_1)
	v_pk_fma_f32 v[128:129], v[128:129], v[28:29], v[130:131] op_sel_hi:[1,1,0]
	v_mov_b32_e32 v143, v129
	ds_load_2addr_b64 v[128:131], v135 offset0:52 offset1:53
	v_pk_add_f32 v[44:45], v[44:45], v[142:143] neg_lo:[0,1] neg_hi:[0,1]
	s_wait_dscnt 0x0
	v_pk_mul_f32 v[142:143], v[128:129], v[140:141] op_sel:[0,1]
	s_delay_alu instid0(VALU_DEP_1) | instskip(SKIP_1) | instid1(VALU_DEP_1)
	v_pk_fma_f32 v[144:145], v[128:129], v[132:133], v[142:143] op_sel:[0,0,1] op_sel_hi:[1,1,0] neg_lo:[0,0,1] neg_hi:[0,0,1]
	v_pk_fma_f32 v[128:129], v[128:129], v[132:133], v[142:143] op_sel:[0,0,1] op_sel_hi:[1,0,0]
	v_mov_b32_e32 v145, v129
	v_pk_mul_f32 v[128:129], v[130:131], v[140:141] op_sel:[0,1]
	s_delay_alu instid0(VALU_DEP_1) | instskip(SKIP_1) | instid1(VALU_DEP_1)
	v_pk_fma_f32 v[142:143], v[130:131], v[132:133], v[128:129] op_sel:[0,0,1] op_sel_hi:[1,1,0] neg_lo:[0,0,1] neg_hi:[0,0,1]
	v_pk_fma_f32 v[128:129], v[130:131], v[132:133], v[128:129] op_sel:[0,0,1] op_sel_hi:[1,0,0]
	v_mov_b32_e32 v143, v129
	ds_load_2addr_b64 v[128:131], v135 offset0:54 offset1:55
	v_pk_add_f32 v[16:17], v[16:17], v[144:145] neg_lo:[0,1] neg_hi:[0,1]
	v_pk_add_f32 v[12:13], v[12:13], v[142:143] neg_lo:[0,1] neg_hi:[0,1]
	s_wait_dscnt 0x0
	v_pk_mul_f32 v[142:143], v[128:129], v[140:141] op_sel:[0,1]
	s_delay_alu instid0(VALU_DEP_1) | instskip(SKIP_1) | instid1(VALU_DEP_1)
	v_pk_fma_f32 v[144:145], v[128:129], v[132:133], v[142:143] op_sel:[0,0,1] op_sel_hi:[1,1,0] neg_lo:[0,0,1] neg_hi:[0,0,1]
	v_pk_fma_f32 v[128:129], v[128:129], v[132:133], v[142:143] op_sel:[0,0,1] op_sel_hi:[1,0,0]
	v_mov_b32_e32 v145, v129
	v_pk_mul_f32 v[128:129], v[130:131], v[140:141] op_sel:[0,1]
	s_delay_alu instid0(VALU_DEP_1) | instskip(SKIP_1) | instid1(VALU_DEP_1)
	v_pk_fma_f32 v[142:143], v[130:131], v[132:133], v[128:129] op_sel:[0,0,1] op_sel_hi:[1,1,0] neg_lo:[0,0,1] neg_hi:[0,0,1]
	v_pk_fma_f32 v[128:129], v[130:131], v[132:133], v[128:129] op_sel:[0,0,1] op_sel_hi:[1,0,0]
	v_mov_b32_e32 v143, v129
	ds_load_2addr_b64 v[128:131], v135 offset0:56 offset1:57
	v_pk_add_f32 v[14:15], v[14:15], v[144:145] neg_lo:[0,1] neg_hi:[0,1]
	v_pk_add_f32 v[10:11], v[10:11], v[142:143] neg_lo:[0,1] neg_hi:[0,1]
	s_wait_dscnt 0x0
	v_dual_mul_f32 v142, v129, v141 :: v_dual_mul_f32 v144, v129, v132
	s_delay_alu instid0(VALU_DEP_1) | instskip(NEXT) | instid1(VALU_DEP_2)
	v_pk_fma_f32 v[142:143], v[128:129], v[28:29], v[142:143] op_sel_hi:[1,1,0] neg_lo:[0,0,1] neg_hi:[0,0,1]
	v_pk_fma_f32 v[128:129], v[128:129], v[28:29], v[144:145] op_sel:[1,0,0] op_sel_hi:[0,1,0]
	s_delay_alu instid0(VALU_DEP_1) | instskip(SKIP_1) | instid1(VALU_DEP_2)
	v_mov_b32_e32 v143, v129
	v_pk_mul_f32 v[128:129], v[130:131], v[140:141] op_sel:[0,1]
	v_pk_add_f32 v[6:7], v[6:7], v[142:143] neg_lo:[0,1] neg_hi:[0,1]
	s_delay_alu instid0(VALU_DEP_2) | instskip(SKIP_1) | instid1(VALU_DEP_1)
	v_pk_fma_f32 v[142:143], v[130:131], v[132:133], v[128:129] op_sel:[0,0,1] op_sel_hi:[1,1,0] neg_lo:[0,0,1] neg_hi:[0,0,1]
	v_pk_fma_f32 v[128:129], v[130:131], v[132:133], v[128:129] op_sel:[0,0,1] op_sel_hi:[1,0,0]
	v_mov_b32_e32 v143, v129
	ds_load_2addr_b64 v[128:131], v135 offset0:58 offset1:59
	v_pk_add_f32 v[20:21], v[20:21], v[142:143] neg_lo:[0,1] neg_hi:[0,1]
	s_wait_dscnt 0x0
	v_pk_mul_f32 v[142:143], v[128:129], v[140:141] op_sel:[0,1]
	s_delay_alu instid0(VALU_DEP_1) | instskip(SKIP_1) | instid1(VALU_DEP_1)
	v_pk_fma_f32 v[144:145], v[128:129], v[132:133], v[142:143] op_sel:[0,0,1] op_sel_hi:[1,1,0] neg_lo:[0,0,1] neg_hi:[0,0,1]
	v_pk_fma_f32 v[128:129], v[128:129], v[132:133], v[142:143] op_sel:[0,0,1] op_sel_hi:[1,0,0]
	v_mov_b32_e32 v145, v129
	v_pk_mul_f32 v[128:129], v[130:131], v[140:141] op_sel:[0,1]
	s_delay_alu instid0(VALU_DEP_2) | instskip(NEXT) | instid1(VALU_DEP_2)
	v_pk_add_f32 v[18:19], v[18:19], v[144:145] neg_lo:[0,1] neg_hi:[0,1]
	v_pk_fma_f32 v[142:143], v[130:131], v[132:133], v[128:129] op_sel:[0,0,1] op_sel_hi:[1,1,0] neg_lo:[0,0,1] neg_hi:[0,0,1]
	v_pk_fma_f32 v[128:129], v[130:131], v[132:133], v[128:129] op_sel:[0,0,1] op_sel_hi:[1,0,0]
	s_delay_alu instid0(VALU_DEP_1) | instskip(SKIP_4) | instid1(VALU_DEP_1)
	v_mov_b32_e32 v143, v129
	ds_load_b64 v[128:129], v135 offset:480
	v_pk_add_f32 v[8:9], v[8:9], v[142:143] neg_lo:[0,1] neg_hi:[0,1]
	s_wait_dscnt 0x0
	v_pk_mul_f32 v[130:131], v[128:129], v[140:141] op_sel:[0,1]
	v_pk_fma_f32 v[140:141], v[128:129], v[132:133], v[130:131] op_sel:[0,0,1] op_sel_hi:[1,1,0] neg_lo:[0,0,1] neg_hi:[0,0,1]
	v_pk_fma_f32 v[128:129], v[128:129], v[132:133], v[130:131] op_sel:[0,0,1] op_sel_hi:[1,0,0]
	s_delay_alu instid0(VALU_DEP_1) | instskip(NEXT) | instid1(VALU_DEP_1)
	v_mov_b32_e32 v141, v129
	v_pk_add_f32 v[126:127], v[126:127], v[140:141] neg_lo:[0,1] neg_hi:[0,1]
.LBB120_1007:
	s_or_b32 exec_lo, exec_lo, s0
	v_lshl_add_u32 v128, v138, 3, v135
	s_barrier_signal -1
	s_barrier_wait -1
	ds_store_b64 v128, v[26:27]
	s_wait_dscnt 0x0
	s_barrier_signal -1
	s_barrier_wait -1
	ds_load_b64 v[128:129], v135 offset:384
	v_mov_b32_e32 v130, 48
	s_cmp_lt_i32 s18, 50
	s_cbranch_scc1 .LBB120_1010
; %bb.1008:
	v_add3_u32 v131, v136, 0, 0x188
	v_mov_b32_e32 v130, 48
	s_mov_b32 s0, 49
.LBB120_1009:                           ; =>This Inner Loop Header: Depth=1
	ds_load_b64 v[132:133], v131
	s_wait_dscnt 0x1
	v_cmp_gt_f32_e32 vcc_lo, 0, v128
	v_cndmask_b32_e64 v140, v128, -v128, vcc_lo
	v_cmp_gt_f32_e32 vcc_lo, 0, v129
	v_cndmask_b32_e64 v142, v129, -v129, vcc_lo
	s_wait_dscnt 0x0
	v_cmp_gt_f32_e32 vcc_lo, 0, v132
	v_cndmask_b32_e64 v141, v132, -v132, vcc_lo
	v_cmp_gt_f32_e32 vcc_lo, 0, v133
	v_cndmask_b32_e64 v143, v133, -v133, vcc_lo
	s_delay_alu instid0(VALU_DEP_1) | instskip(NEXT) | instid1(VALU_DEP_1)
	v_pk_add_f32 v[140:141], v[140:141], v[142:143]
	v_cmp_lt_f32_e32 vcc_lo, v140, v141
	v_dual_add_nc_u32 v131, 8, v131 :: v_dual_cndmask_b32 v129, v129, v133, vcc_lo
	v_cndmask_b32_e32 v128, v128, v132, vcc_lo
	v_cndmask_b32_e64 v130, v130, s0, vcc_lo
	s_add_co_i32 s0, s0, 1
	s_delay_alu instid0(SALU_CYCLE_1)
	s_cmp_lg_u32 s18, s0
	s_cbranch_scc1 .LBB120_1009
.LBB120_1010:
	s_wait_dscnt 0x0
	v_cmp_eq_f32_e32 vcc_lo, 0, v128
	v_cmp_eq_f32_e64 s0, 0, v129
	s_and_b32 s0, vcc_lo, s0
	s_delay_alu instid0(SALU_CYCLE_1) | instskip(NEXT) | instid1(SALU_CYCLE_1)
	s_and_saveexec_b32 s1, s0
	s_xor_b32 s0, exec_lo, s1
; %bb.1011:
	v_cmp_ne_u32_e32 vcc_lo, 0, v134
	v_cndmask_b32_e32 v134, 49, v134, vcc_lo
; %bb.1012:
	s_and_not1_saveexec_b32 s0, s0
	s_cbranch_execz .LBB120_1018
; %bb.1013:
	v_cmp_ngt_f32_e64 s1, |v128|, |v129|
	s_and_saveexec_b32 s12, s1
	s_delay_alu instid0(SALU_CYCLE_1)
	s_xor_b32 s1, exec_lo, s12
	s_cbranch_execz .LBB120_1015
; %bb.1014:
	v_div_scale_f32 v131, null, v129, v129, v128
	v_div_scale_f32 v139, vcc_lo, v128, v129, v128
	s_delay_alu instid0(VALU_DEP_2) | instskip(SKIP_1) | instid1(TRANS32_DEP_1)
	v_rcp_f32_e32 v132, v131
	v_nop
	v_fma_f32 v133, -v131, v132, 1.0
	s_delay_alu instid0(VALU_DEP_1) | instskip(NEXT) | instid1(VALU_DEP_1)
	v_fmac_f32_e32 v132, v133, v132
	v_mul_f32_e32 v133, v139, v132
	s_delay_alu instid0(VALU_DEP_1) | instskip(NEXT) | instid1(VALU_DEP_1)
	v_fma_f32 v140, -v131, v133, v139
	v_fmac_f32_e32 v133, v140, v132
	s_delay_alu instid0(VALU_DEP_1) | instskip(NEXT) | instid1(VALU_DEP_1)
	v_fma_f32 v131, -v131, v133, v139
	v_div_fmas_f32 v131, v131, v132, v133
	s_delay_alu instid0(VALU_DEP_1) | instskip(NEXT) | instid1(VALU_DEP_1)
	v_div_fixup_f32 v131, v131, v129, v128
	v_fmac_f32_e32 v129, v128, v131
	s_delay_alu instid0(VALU_DEP_1) | instskip(SKIP_1) | instid1(VALU_DEP_2)
	v_div_scale_f32 v128, null, v129, v129, 1.0
	v_div_scale_f32 v139, vcc_lo, 1.0, v129, 1.0
	v_rcp_f32_e32 v132, v128
	v_nop
	s_delay_alu instid0(TRANS32_DEP_1) | instskip(NEXT) | instid1(VALU_DEP_1)
	v_fma_f32 v133, -v128, v132, 1.0
	v_fmac_f32_e32 v132, v133, v132
	s_delay_alu instid0(VALU_DEP_1) | instskip(NEXT) | instid1(VALU_DEP_1)
	v_mul_f32_e32 v133, v139, v132
	v_fma_f32 v140, -v128, v133, v139
	s_delay_alu instid0(VALU_DEP_1) | instskip(NEXT) | instid1(VALU_DEP_1)
	v_fmac_f32_e32 v133, v140, v132
	v_fma_f32 v128, -v128, v133, v139
	s_delay_alu instid0(VALU_DEP_1) | instskip(NEXT) | instid1(VALU_DEP_1)
	v_div_fmas_f32 v128, v128, v132, v133
	v_div_fixup_f32 v129, v128, v129, 1.0
	s_delay_alu instid0(VALU_DEP_1)
	v_mul_f32_e32 v128, v131, v129
	v_xor_b32_e32 v129, 0x80000000, v129
.LBB120_1015:
	s_and_not1_saveexec_b32 s1, s1
	s_cbranch_execz .LBB120_1017
; %bb.1016:
	s_delay_alu instid0(VALU_DEP_1) | instskip(SKIP_1) | instid1(VALU_DEP_2)
	v_div_scale_f32 v131, null, v128, v128, v129
	v_div_scale_f32 v139, vcc_lo, v129, v128, v129
	v_rcp_f32_e32 v132, v131
	v_nop
	s_delay_alu instid0(TRANS32_DEP_1) | instskip(NEXT) | instid1(VALU_DEP_1)
	v_fma_f32 v133, -v131, v132, 1.0
	v_fmac_f32_e32 v132, v133, v132
	s_delay_alu instid0(VALU_DEP_1) | instskip(NEXT) | instid1(VALU_DEP_1)
	v_mul_f32_e32 v133, v139, v132
	v_fma_f32 v140, -v131, v133, v139
	s_delay_alu instid0(VALU_DEP_1) | instskip(NEXT) | instid1(VALU_DEP_1)
	v_fmac_f32_e32 v133, v140, v132
	v_fma_f32 v131, -v131, v133, v139
	s_delay_alu instid0(VALU_DEP_1) | instskip(NEXT) | instid1(VALU_DEP_1)
	v_div_fmas_f32 v131, v131, v132, v133
	v_div_fixup_f32 v131, v131, v128, v129
	s_delay_alu instid0(VALU_DEP_1) | instskip(NEXT) | instid1(VALU_DEP_1)
	v_fmac_f32_e32 v128, v129, v131
	v_div_scale_f32 v129, null, v128, v128, 1.0
	s_delay_alu instid0(VALU_DEP_1) | instskip(SKIP_1) | instid1(TRANS32_DEP_1)
	v_rcp_f32_e32 v132, v129
	v_nop
	v_fma_f32 v133, -v129, v132, 1.0
	s_delay_alu instid0(VALU_DEP_1) | instskip(SKIP_1) | instid1(VALU_DEP_1)
	v_fmac_f32_e32 v132, v133, v132
	v_div_scale_f32 v133, vcc_lo, 1.0, v128, 1.0
	v_mul_f32_e32 v139, v133, v132
	s_delay_alu instid0(VALU_DEP_1) | instskip(NEXT) | instid1(VALU_DEP_1)
	v_fma_f32 v140, -v129, v139, v133
	v_fmac_f32_e32 v139, v140, v132
	s_delay_alu instid0(VALU_DEP_1) | instskip(NEXT) | instid1(VALU_DEP_1)
	v_fma_f32 v129, -v129, v139, v133
	v_div_fmas_f32 v129, v129, v132, v139
	s_delay_alu instid0(VALU_DEP_1) | instskip(NEXT) | instid1(VALU_DEP_1)
	v_div_fixup_f32 v128, v129, v128, 1.0
	v_mul_f32_e64 v129, v131, -v128
.LBB120_1017:
	s_or_b32 exec_lo, exec_lo, s1
.LBB120_1018:
	s_delay_alu instid0(SALU_CYCLE_1) | instskip(NEXT) | instid1(SALU_CYCLE_1)
	s_or_b32 exec_lo, exec_lo, s0
	s_mov_b32 s0, exec_lo
	v_cmpx_ne_u32_e64 v138, v130
	s_xor_b32 s0, exec_lo, s0
	s_cbranch_execz .LBB120_1024
; %bb.1019:
	s_mov_b32 s1, exec_lo
	v_cmpx_eq_u32_e32 48, v138
	s_cbranch_execz .LBB120_1023
; %bb.1020:
	v_cmp_ne_u32_e32 vcc_lo, 48, v130
	s_xor_b32 s12, s16, -1
	s_delay_alu instid0(SALU_CYCLE_1) | instskip(NEXT) | instid1(SALU_CYCLE_1)
	s_and_b32 s13, s12, vcc_lo
	s_and_saveexec_b32 s12, s13
	s_cbranch_execz .LBB120_1022
; %bb.1021:
	v_ashrrev_i32_e32 v131, 31, v130
	s_delay_alu instid0(VALU_DEP_1)
	v_lshl_add_u64 v[132:133], v[130:131], 2, v[4:5]
	s_clause 0x1
	global_load_b32 v131, v[132:133], off
	global_load_b32 v137, v[4:5], off offset:192
	s_wait_loadcnt 0x1
	global_store_b32 v[4:5], v131, off offset:192
	s_wait_loadcnt 0x0
	global_store_b32 v[132:133], v137, off
.LBB120_1022:
	s_wait_xcnt 0x0
	s_or_b32 exec_lo, exec_lo, s12
	v_dual_mov_b32 v138, v130 :: v_dual_mov_b32 v137, v130
.LBB120_1023:
	s_or_b32 exec_lo, exec_lo, s1
.LBB120_1024:
	s_and_not1_saveexec_b32 s0, s0
	s_cbranch_execz .LBB120_1026
; %bb.1025:
	v_mov_b32_e32 v138, 48
	ds_store_2addr_b64 v135, v[22:23], v[24:25] offset0:49 offset1:50
	ds_store_2addr_b64 v135, v[44:45], v[16:17] offset0:51 offset1:52
	;; [unrolled: 1-line block ×6, first 2 shown]
.LBB120_1026:
	s_or_b32 exec_lo, exec_lo, s0
	s_delay_alu instid0(SALU_CYCLE_1)
	s_mov_b32 s0, exec_lo
	s_wait_storecnt_dscnt 0x0
	s_barrier_signal -1
	s_barrier_wait -1
	v_cmpx_lt_i32_e32 48, v138
	s_cbranch_execz .LBB120_1028
; %bb.1027:
	v_pk_mul_f32 v[130:131], v[128:129], v[26:27] op_sel:[1,1] op_sel_hi:[0,1]
	s_delay_alu instid0(VALU_DEP_1)
	v_pk_fma_f32 v[132:133], v[128:129], v[26:27], v[130:131] op_sel_hi:[1,0,1] neg_lo:[0,0,1] neg_hi:[0,0,1]
	v_pk_fma_f32 v[140:141], v[128:129], v[26:27], v[130:131] op_sel_hi:[1,0,1]
	ds_load_2addr_b64 v[128:131], v135 offset0:49 offset1:50
	v_dual_mov_b32 v26, v132 :: v_dual_mov_b32 v27, v141
	s_wait_dscnt 0x0
	v_pk_mul_f32 v[142:143], v[128:129], v[140:141] op_sel:[0,1]
	s_delay_alu instid0(VALU_DEP_1) | instskip(SKIP_1) | instid1(VALU_DEP_1)
	v_pk_fma_f32 v[144:145], v[128:129], v[132:133], v[142:143] op_sel:[0,0,1] op_sel_hi:[1,1,0] neg_lo:[0,0,1] neg_hi:[0,0,1]
	v_pk_fma_f32 v[128:129], v[128:129], v[132:133], v[142:143] op_sel:[0,0,1] op_sel_hi:[1,0,0]
	v_mov_b32_e32 v145, v129
	v_pk_mul_f32 v[128:129], v[130:131], v[140:141] op_sel:[0,1]
	s_delay_alu instid0(VALU_DEP_1) | instskip(SKIP_1) | instid1(VALU_DEP_1)
	v_pk_fma_f32 v[142:143], v[130:131], v[132:133], v[128:129] op_sel:[0,0,1] op_sel_hi:[1,1,0] neg_lo:[0,0,1] neg_hi:[0,0,1]
	v_pk_fma_f32 v[128:129], v[130:131], v[132:133], v[128:129] op_sel:[0,0,1] op_sel_hi:[1,0,0]
	v_mov_b32_e32 v143, v129
	ds_load_2addr_b64 v[128:131], v135 offset0:51 offset1:52
	v_pk_add_f32 v[22:23], v[22:23], v[144:145] neg_lo:[0,1] neg_hi:[0,1]
	v_pk_add_f32 v[24:25], v[24:25], v[142:143] neg_lo:[0,1] neg_hi:[0,1]
	s_wait_dscnt 0x0
	v_pk_mul_f32 v[142:143], v[128:129], v[140:141] op_sel:[0,1]
	s_delay_alu instid0(VALU_DEP_1) | instskip(SKIP_2) | instid1(VALU_DEP_2)
	v_pk_fma_f32 v[144:145], v[128:129], v[132:133], v[142:143] op_sel:[0,0,1] op_sel_hi:[1,1,0] neg_lo:[0,0,1] neg_hi:[0,0,1]
	v_pk_fma_f32 v[128:129], v[128:129], v[132:133], v[142:143] op_sel:[0,0,1] op_sel_hi:[1,0,0]
	v_dual_mul_f32 v142, v131, v141 :: v_dual_mov_b32 v128, v131
	v_dual_mov_b32 v145, v129 :: v_dual_mov_b32 v129, v130
	s_delay_alu instid0(VALU_DEP_2) | instskip(SKIP_1) | instid1(VALU_DEP_3)
	v_pk_fma_f32 v[142:143], v[130:131], v[26:27], v[142:143] op_sel_hi:[1,1,0] neg_lo:[0,0,1] neg_hi:[0,0,1]
	v_mul_f32_e32 v130, v131, v132
	v_pk_add_f32 v[44:45], v[44:45], v[144:145] neg_lo:[0,1] neg_hi:[0,1]
	s_delay_alu instid0(VALU_DEP_2) | instskip(NEXT) | instid1(VALU_DEP_1)
	v_pk_fma_f32 v[128:129], v[128:129], v[26:27], v[130:131] op_sel_hi:[1,1,0]
	v_mov_b32_e32 v143, v129
	ds_load_2addr_b64 v[128:131], v135 offset0:53 offset1:54
	v_pk_add_f32 v[16:17], v[16:17], v[142:143] neg_lo:[0,1] neg_hi:[0,1]
	s_wait_dscnt 0x0
	v_pk_mul_f32 v[142:143], v[128:129], v[140:141] op_sel:[0,1]
	s_delay_alu instid0(VALU_DEP_1) | instskip(SKIP_1) | instid1(VALU_DEP_1)
	v_pk_fma_f32 v[144:145], v[128:129], v[132:133], v[142:143] op_sel:[0,0,1] op_sel_hi:[1,1,0] neg_lo:[0,0,1] neg_hi:[0,0,1]
	v_pk_fma_f32 v[128:129], v[128:129], v[132:133], v[142:143] op_sel:[0,0,1] op_sel_hi:[1,0,0]
	v_mov_b32_e32 v145, v129
	v_pk_mul_f32 v[128:129], v[130:131], v[140:141] op_sel:[0,1]
	s_delay_alu instid0(VALU_DEP_1) | instskip(SKIP_1) | instid1(VALU_DEP_1)
	v_pk_fma_f32 v[142:143], v[130:131], v[132:133], v[128:129] op_sel:[0,0,1] op_sel_hi:[1,1,0] neg_lo:[0,0,1] neg_hi:[0,0,1]
	v_pk_fma_f32 v[128:129], v[130:131], v[132:133], v[128:129] op_sel:[0,0,1] op_sel_hi:[1,0,0]
	v_mov_b32_e32 v143, v129
	ds_load_2addr_b64 v[128:131], v135 offset0:55 offset1:56
	v_pk_add_f32 v[12:13], v[12:13], v[144:145] neg_lo:[0,1] neg_hi:[0,1]
	v_pk_add_f32 v[14:15], v[14:15], v[142:143] neg_lo:[0,1] neg_hi:[0,1]
	s_wait_dscnt 0x0
	v_pk_mul_f32 v[142:143], v[128:129], v[140:141] op_sel:[0,1]
	s_delay_alu instid0(VALU_DEP_1) | instskip(SKIP_1) | instid1(VALU_DEP_1)
	v_pk_fma_f32 v[144:145], v[128:129], v[132:133], v[142:143] op_sel:[0,0,1] op_sel_hi:[1,1,0] neg_lo:[0,0,1] neg_hi:[0,0,1]
	v_pk_fma_f32 v[128:129], v[128:129], v[132:133], v[142:143] op_sel:[0,0,1] op_sel_hi:[1,0,0]
	v_mov_b32_e32 v145, v129
	v_pk_mul_f32 v[128:129], v[130:131], v[140:141] op_sel:[0,1]
	s_delay_alu instid0(VALU_DEP_1) | instskip(SKIP_1) | instid1(VALU_DEP_1)
	v_pk_fma_f32 v[142:143], v[130:131], v[132:133], v[128:129] op_sel:[0,0,1] op_sel_hi:[1,1,0] neg_lo:[0,0,1] neg_hi:[0,0,1]
	v_pk_fma_f32 v[128:129], v[130:131], v[132:133], v[128:129] op_sel:[0,0,1] op_sel_hi:[1,0,0]
	v_mov_b32_e32 v143, v129
	ds_load_2addr_b64 v[128:131], v135 offset0:57 offset1:58
	v_pk_add_f32 v[10:11], v[10:11], v[144:145] neg_lo:[0,1] neg_hi:[0,1]
	v_pk_add_f32 v[6:7], v[6:7], v[142:143] neg_lo:[0,1] neg_hi:[0,1]
	s_wait_dscnt 0x0
	v_dual_mul_f32 v142, v129, v141 :: v_dual_mul_f32 v144, v129, v132
	s_delay_alu instid0(VALU_DEP_1) | instskip(NEXT) | instid1(VALU_DEP_2)
	v_pk_fma_f32 v[142:143], v[128:129], v[26:27], v[142:143] op_sel_hi:[1,1,0] neg_lo:[0,0,1] neg_hi:[0,0,1]
	v_pk_fma_f32 v[128:129], v[128:129], v[26:27], v[144:145] op_sel:[1,0,0] op_sel_hi:[0,1,0]
	s_delay_alu instid0(VALU_DEP_1) | instskip(SKIP_1) | instid1(VALU_DEP_2)
	v_mov_b32_e32 v143, v129
	v_pk_mul_f32 v[128:129], v[130:131], v[140:141] op_sel:[0,1]
	v_pk_add_f32 v[20:21], v[20:21], v[142:143] neg_lo:[0,1] neg_hi:[0,1]
	s_delay_alu instid0(VALU_DEP_2) | instskip(SKIP_1) | instid1(VALU_DEP_1)
	v_pk_fma_f32 v[142:143], v[130:131], v[132:133], v[128:129] op_sel:[0,0,1] op_sel_hi:[1,1,0] neg_lo:[0,0,1] neg_hi:[0,0,1]
	v_pk_fma_f32 v[128:129], v[130:131], v[132:133], v[128:129] op_sel:[0,0,1] op_sel_hi:[1,0,0]
	v_mov_b32_e32 v143, v129
	ds_load_2addr_b64 v[128:131], v135 offset0:59 offset1:60
	v_pk_add_f32 v[18:19], v[18:19], v[142:143] neg_lo:[0,1] neg_hi:[0,1]
	s_wait_dscnt 0x0
	v_pk_mul_f32 v[142:143], v[128:129], v[140:141] op_sel:[0,1]
	v_mul_f32_e32 v140, v131, v141
	s_delay_alu instid0(VALU_DEP_2) | instskip(SKIP_2) | instid1(VALU_DEP_4)
	v_pk_fma_f32 v[144:145], v[128:129], v[132:133], v[142:143] op_sel:[0,0,1] op_sel_hi:[1,1,0] neg_lo:[0,0,1] neg_hi:[0,0,1]
	v_pk_fma_f32 v[128:129], v[128:129], v[132:133], v[142:143] op_sel:[0,0,1] op_sel_hi:[1,0,0]
	v_mov_b32_e32 v128, v131
	v_pk_fma_f32 v[140:141], v[130:131], v[26:27], v[140:141] op_sel_hi:[1,1,0] neg_lo:[0,0,1] neg_hi:[0,0,1]
	s_delay_alu instid0(VALU_DEP_3) | instskip(SKIP_1) | instid1(VALU_DEP_2)
	v_dual_mov_b32 v145, v129 :: v_dual_mov_b32 v129, v130
	v_mul_f32_e32 v130, v131, v132
	v_pk_add_f32 v[8:9], v[8:9], v[144:145] neg_lo:[0,1] neg_hi:[0,1]
	s_delay_alu instid0(VALU_DEP_2) | instskip(NEXT) | instid1(VALU_DEP_1)
	v_pk_fma_f32 v[128:129], v[128:129], v[26:27], v[130:131] op_sel_hi:[1,1,0]
	v_mov_b32_e32 v141, v129
	s_delay_alu instid0(VALU_DEP_1)
	v_pk_add_f32 v[126:127], v[126:127], v[140:141] neg_lo:[0,1] neg_hi:[0,1]
.LBB120_1028:
	s_or_b32 exec_lo, exec_lo, s0
	v_lshl_add_u32 v128, v138, 3, v135
	s_barrier_signal -1
	s_barrier_wait -1
	ds_store_b64 v128, v[22:23]
	s_wait_dscnt 0x0
	s_barrier_signal -1
	s_barrier_wait -1
	ds_load_b64 v[128:129], v135 offset:392
	v_mov_b32_e32 v130, 49
	s_cmp_lt_i32 s18, 51
	s_cbranch_scc1 .LBB120_1031
; %bb.1029:
	v_add3_u32 v131, v136, 0, 0x190
	v_mov_b32_e32 v130, 49
	s_mov_b32 s0, 50
.LBB120_1030:                           ; =>This Inner Loop Header: Depth=1
	ds_load_b64 v[132:133], v131
	s_wait_dscnt 0x1
	v_cmp_gt_f32_e32 vcc_lo, 0, v128
	v_cndmask_b32_e64 v140, v128, -v128, vcc_lo
	v_cmp_gt_f32_e32 vcc_lo, 0, v129
	v_cndmask_b32_e64 v142, v129, -v129, vcc_lo
	s_wait_dscnt 0x0
	v_cmp_gt_f32_e32 vcc_lo, 0, v132
	v_cndmask_b32_e64 v141, v132, -v132, vcc_lo
	v_cmp_gt_f32_e32 vcc_lo, 0, v133
	v_cndmask_b32_e64 v143, v133, -v133, vcc_lo
	s_delay_alu instid0(VALU_DEP_1) | instskip(NEXT) | instid1(VALU_DEP_1)
	v_pk_add_f32 v[140:141], v[140:141], v[142:143]
	v_cmp_lt_f32_e32 vcc_lo, v140, v141
	v_dual_add_nc_u32 v131, 8, v131 :: v_dual_cndmask_b32 v129, v129, v133, vcc_lo
	v_cndmask_b32_e32 v128, v128, v132, vcc_lo
	v_cndmask_b32_e64 v130, v130, s0, vcc_lo
	s_add_co_i32 s0, s0, 1
	s_delay_alu instid0(SALU_CYCLE_1)
	s_cmp_lg_u32 s18, s0
	s_cbranch_scc1 .LBB120_1030
.LBB120_1031:
	s_wait_dscnt 0x0
	v_cmp_eq_f32_e32 vcc_lo, 0, v128
	v_cmp_eq_f32_e64 s0, 0, v129
	s_and_b32 s0, vcc_lo, s0
	s_delay_alu instid0(SALU_CYCLE_1) | instskip(NEXT) | instid1(SALU_CYCLE_1)
	s_and_saveexec_b32 s1, s0
	s_xor_b32 s0, exec_lo, s1
; %bb.1032:
	v_cmp_ne_u32_e32 vcc_lo, 0, v134
	v_cndmask_b32_e32 v134, 50, v134, vcc_lo
; %bb.1033:
	s_and_not1_saveexec_b32 s0, s0
	s_cbranch_execz .LBB120_1039
; %bb.1034:
	v_cmp_ngt_f32_e64 s1, |v128|, |v129|
	s_and_saveexec_b32 s12, s1
	s_delay_alu instid0(SALU_CYCLE_1)
	s_xor_b32 s1, exec_lo, s12
	s_cbranch_execz .LBB120_1036
; %bb.1035:
	v_div_scale_f32 v131, null, v129, v129, v128
	v_div_scale_f32 v139, vcc_lo, v128, v129, v128
	s_delay_alu instid0(VALU_DEP_2) | instskip(SKIP_1) | instid1(TRANS32_DEP_1)
	v_rcp_f32_e32 v132, v131
	v_nop
	v_fma_f32 v133, -v131, v132, 1.0
	s_delay_alu instid0(VALU_DEP_1) | instskip(NEXT) | instid1(VALU_DEP_1)
	v_fmac_f32_e32 v132, v133, v132
	v_mul_f32_e32 v133, v139, v132
	s_delay_alu instid0(VALU_DEP_1) | instskip(NEXT) | instid1(VALU_DEP_1)
	v_fma_f32 v140, -v131, v133, v139
	v_fmac_f32_e32 v133, v140, v132
	s_delay_alu instid0(VALU_DEP_1) | instskip(NEXT) | instid1(VALU_DEP_1)
	v_fma_f32 v131, -v131, v133, v139
	v_div_fmas_f32 v131, v131, v132, v133
	s_delay_alu instid0(VALU_DEP_1) | instskip(NEXT) | instid1(VALU_DEP_1)
	v_div_fixup_f32 v131, v131, v129, v128
	v_fmac_f32_e32 v129, v128, v131
	s_delay_alu instid0(VALU_DEP_1) | instskip(SKIP_1) | instid1(VALU_DEP_2)
	v_div_scale_f32 v128, null, v129, v129, 1.0
	v_div_scale_f32 v139, vcc_lo, 1.0, v129, 1.0
	v_rcp_f32_e32 v132, v128
	v_nop
	s_delay_alu instid0(TRANS32_DEP_1) | instskip(NEXT) | instid1(VALU_DEP_1)
	v_fma_f32 v133, -v128, v132, 1.0
	v_fmac_f32_e32 v132, v133, v132
	s_delay_alu instid0(VALU_DEP_1) | instskip(NEXT) | instid1(VALU_DEP_1)
	v_mul_f32_e32 v133, v139, v132
	v_fma_f32 v140, -v128, v133, v139
	s_delay_alu instid0(VALU_DEP_1) | instskip(NEXT) | instid1(VALU_DEP_1)
	v_fmac_f32_e32 v133, v140, v132
	v_fma_f32 v128, -v128, v133, v139
	s_delay_alu instid0(VALU_DEP_1) | instskip(NEXT) | instid1(VALU_DEP_1)
	v_div_fmas_f32 v128, v128, v132, v133
	v_div_fixup_f32 v129, v128, v129, 1.0
	s_delay_alu instid0(VALU_DEP_1)
	v_mul_f32_e32 v128, v131, v129
	v_xor_b32_e32 v129, 0x80000000, v129
.LBB120_1036:
	s_and_not1_saveexec_b32 s1, s1
	s_cbranch_execz .LBB120_1038
; %bb.1037:
	s_delay_alu instid0(VALU_DEP_1) | instskip(SKIP_1) | instid1(VALU_DEP_2)
	v_div_scale_f32 v131, null, v128, v128, v129
	v_div_scale_f32 v139, vcc_lo, v129, v128, v129
	v_rcp_f32_e32 v132, v131
	v_nop
	s_delay_alu instid0(TRANS32_DEP_1) | instskip(NEXT) | instid1(VALU_DEP_1)
	v_fma_f32 v133, -v131, v132, 1.0
	v_fmac_f32_e32 v132, v133, v132
	s_delay_alu instid0(VALU_DEP_1) | instskip(NEXT) | instid1(VALU_DEP_1)
	v_mul_f32_e32 v133, v139, v132
	v_fma_f32 v140, -v131, v133, v139
	s_delay_alu instid0(VALU_DEP_1) | instskip(NEXT) | instid1(VALU_DEP_1)
	v_fmac_f32_e32 v133, v140, v132
	v_fma_f32 v131, -v131, v133, v139
	s_delay_alu instid0(VALU_DEP_1) | instskip(NEXT) | instid1(VALU_DEP_1)
	v_div_fmas_f32 v131, v131, v132, v133
	v_div_fixup_f32 v131, v131, v128, v129
	s_delay_alu instid0(VALU_DEP_1) | instskip(NEXT) | instid1(VALU_DEP_1)
	v_fmac_f32_e32 v128, v129, v131
	v_div_scale_f32 v129, null, v128, v128, 1.0
	s_delay_alu instid0(VALU_DEP_1) | instskip(SKIP_1) | instid1(TRANS32_DEP_1)
	v_rcp_f32_e32 v132, v129
	v_nop
	v_fma_f32 v133, -v129, v132, 1.0
	s_delay_alu instid0(VALU_DEP_1) | instskip(SKIP_1) | instid1(VALU_DEP_1)
	v_fmac_f32_e32 v132, v133, v132
	v_div_scale_f32 v133, vcc_lo, 1.0, v128, 1.0
	v_mul_f32_e32 v139, v133, v132
	s_delay_alu instid0(VALU_DEP_1) | instskip(NEXT) | instid1(VALU_DEP_1)
	v_fma_f32 v140, -v129, v139, v133
	v_fmac_f32_e32 v139, v140, v132
	s_delay_alu instid0(VALU_DEP_1) | instskip(NEXT) | instid1(VALU_DEP_1)
	v_fma_f32 v129, -v129, v139, v133
	v_div_fmas_f32 v129, v129, v132, v139
	s_delay_alu instid0(VALU_DEP_1) | instskip(NEXT) | instid1(VALU_DEP_1)
	v_div_fixup_f32 v128, v129, v128, 1.0
	v_mul_f32_e64 v129, v131, -v128
.LBB120_1038:
	s_or_b32 exec_lo, exec_lo, s1
.LBB120_1039:
	s_delay_alu instid0(SALU_CYCLE_1) | instskip(NEXT) | instid1(SALU_CYCLE_1)
	s_or_b32 exec_lo, exec_lo, s0
	s_mov_b32 s0, exec_lo
	v_cmpx_ne_u32_e64 v138, v130
	s_xor_b32 s0, exec_lo, s0
	s_cbranch_execz .LBB120_1045
; %bb.1040:
	s_mov_b32 s1, exec_lo
	v_cmpx_eq_u32_e32 49, v138
	s_cbranch_execz .LBB120_1044
; %bb.1041:
	v_cmp_ne_u32_e32 vcc_lo, 49, v130
	s_xor_b32 s12, s16, -1
	s_delay_alu instid0(SALU_CYCLE_1) | instskip(NEXT) | instid1(SALU_CYCLE_1)
	s_and_b32 s13, s12, vcc_lo
	s_and_saveexec_b32 s12, s13
	s_cbranch_execz .LBB120_1043
; %bb.1042:
	v_ashrrev_i32_e32 v131, 31, v130
	s_delay_alu instid0(VALU_DEP_1)
	v_lshl_add_u64 v[132:133], v[130:131], 2, v[4:5]
	s_clause 0x1
	global_load_b32 v131, v[132:133], off
	global_load_b32 v137, v[4:5], off offset:196
	s_wait_loadcnt 0x1
	global_store_b32 v[4:5], v131, off offset:196
	s_wait_loadcnt 0x0
	global_store_b32 v[132:133], v137, off
.LBB120_1043:
	s_wait_xcnt 0x0
	s_or_b32 exec_lo, exec_lo, s12
	v_dual_mov_b32 v138, v130 :: v_dual_mov_b32 v137, v130
.LBB120_1044:
	s_or_b32 exec_lo, exec_lo, s1
.LBB120_1045:
	s_and_not1_saveexec_b32 s0, s0
	s_cbranch_execz .LBB120_1047
; %bb.1046:
	v_dual_mov_b32 v130, v24 :: v_dual_mov_b32 v131, v25
	v_dual_mov_b32 v132, v44 :: v_dual_mov_b32 v133, v45
	v_dual_mov_b32 v138, v16 :: v_dual_mov_b32 v139, v17
	v_dual_mov_b32 v140, v12 :: v_dual_mov_b32 v141, v13
	v_dual_mov_b32 v142, v14 :: v_dual_mov_b32 v143, v15
	v_dual_mov_b32 v144, v10 :: v_dual_mov_b32 v145, v11
	ds_store_2addr_b64 v135, v[130:131], v[132:133] offset0:50 offset1:51
	ds_store_2addr_b64 v135, v[138:139], v[140:141] offset0:52 offset1:53
	v_dual_mov_b32 v138, 49 :: v_dual_mov_b32 v146, v6
	v_dual_mov_b32 v147, v7 :: v_dual_mov_b32 v148, v20
	;; [unrolled: 1-line block ×4, first 2 shown]
	v_mov_b32_e32 v153, v9
	ds_store_2addr_b64 v135, v[142:143], v[144:145] offset0:54 offset1:55
	ds_store_2addr_b64 v135, v[146:147], v[148:149] offset0:56 offset1:57
	;; [unrolled: 1-line block ×3, first 2 shown]
	ds_store_b64 v135, v[126:127] offset:480
.LBB120_1047:
	s_or_b32 exec_lo, exec_lo, s0
	s_delay_alu instid0(SALU_CYCLE_1)
	s_mov_b32 s0, exec_lo
	s_wait_storecnt_dscnt 0x0
	s_barrier_signal -1
	s_barrier_wait -1
	v_cmpx_lt_i32_e32 49, v138
	s_cbranch_execz .LBB120_1049
; %bb.1048:
	v_pk_mul_f32 v[130:131], v[128:129], v[22:23] op_sel:[1,1] op_sel_hi:[0,1]
	s_delay_alu instid0(VALU_DEP_1)
	v_pk_fma_f32 v[132:133], v[128:129], v[22:23], v[130:131] op_sel_hi:[1,0,1] neg_lo:[0,0,1] neg_hi:[0,0,1]
	v_pk_fma_f32 v[140:141], v[128:129], v[22:23], v[130:131] op_sel_hi:[1,0,1]
	ds_load_2addr_b64 v[128:131], v135 offset0:50 offset1:51
	v_dual_mov_b32 v22, v132 :: v_dual_mov_b32 v23, v141
	s_wait_dscnt 0x0
	v_pk_mul_f32 v[142:143], v[128:129], v[140:141] op_sel:[0,1]
	s_delay_alu instid0(VALU_DEP_1) | instskip(SKIP_1) | instid1(VALU_DEP_1)
	v_pk_fma_f32 v[144:145], v[128:129], v[132:133], v[142:143] op_sel:[0,0,1] op_sel_hi:[1,1,0] neg_lo:[0,0,1] neg_hi:[0,0,1]
	v_pk_fma_f32 v[128:129], v[128:129], v[132:133], v[142:143] op_sel:[0,0,1] op_sel_hi:[1,0,0]
	v_mov_b32_e32 v145, v129
	v_pk_mul_f32 v[128:129], v[130:131], v[140:141] op_sel:[0,1]
	s_delay_alu instid0(VALU_DEP_1) | instskip(SKIP_1) | instid1(VALU_DEP_1)
	v_pk_fma_f32 v[142:143], v[130:131], v[132:133], v[128:129] op_sel:[0,0,1] op_sel_hi:[1,1,0] neg_lo:[0,0,1] neg_hi:[0,0,1]
	v_pk_fma_f32 v[128:129], v[130:131], v[132:133], v[128:129] op_sel:[0,0,1] op_sel_hi:[1,0,0]
	v_mov_b32_e32 v143, v129
	ds_load_2addr_b64 v[128:131], v135 offset0:52 offset1:53
	v_pk_add_f32 v[24:25], v[24:25], v[144:145] neg_lo:[0,1] neg_hi:[0,1]
	v_pk_add_f32 v[44:45], v[44:45], v[142:143] neg_lo:[0,1] neg_hi:[0,1]
	s_wait_dscnt 0x0
	v_pk_mul_f32 v[142:143], v[128:129], v[140:141] op_sel:[0,1]
	s_delay_alu instid0(VALU_DEP_1) | instskip(SKIP_2) | instid1(VALU_DEP_2)
	v_pk_fma_f32 v[144:145], v[128:129], v[132:133], v[142:143] op_sel:[0,0,1] op_sel_hi:[1,1,0] neg_lo:[0,0,1] neg_hi:[0,0,1]
	v_pk_fma_f32 v[128:129], v[128:129], v[132:133], v[142:143] op_sel:[0,0,1] op_sel_hi:[1,0,0]
	v_dual_mul_f32 v142, v131, v141 :: v_dual_mov_b32 v128, v131
	v_dual_mov_b32 v145, v129 :: v_dual_mov_b32 v129, v130
	s_delay_alu instid0(VALU_DEP_2) | instskip(SKIP_1) | instid1(VALU_DEP_3)
	v_pk_fma_f32 v[142:143], v[130:131], v[22:23], v[142:143] op_sel_hi:[1,1,0] neg_lo:[0,0,1] neg_hi:[0,0,1]
	v_mul_f32_e32 v130, v131, v132
	v_pk_add_f32 v[16:17], v[16:17], v[144:145] neg_lo:[0,1] neg_hi:[0,1]
	s_delay_alu instid0(VALU_DEP_2) | instskip(NEXT) | instid1(VALU_DEP_1)
	v_pk_fma_f32 v[128:129], v[128:129], v[22:23], v[130:131] op_sel_hi:[1,1,0]
	v_mov_b32_e32 v143, v129
	ds_load_2addr_b64 v[128:131], v135 offset0:54 offset1:55
	v_pk_add_f32 v[12:13], v[12:13], v[142:143] neg_lo:[0,1] neg_hi:[0,1]
	s_wait_dscnt 0x0
	v_pk_mul_f32 v[142:143], v[128:129], v[140:141] op_sel:[0,1]
	s_delay_alu instid0(VALU_DEP_1) | instskip(SKIP_1) | instid1(VALU_DEP_1)
	v_pk_fma_f32 v[144:145], v[128:129], v[132:133], v[142:143] op_sel:[0,0,1] op_sel_hi:[1,1,0] neg_lo:[0,0,1] neg_hi:[0,0,1]
	v_pk_fma_f32 v[128:129], v[128:129], v[132:133], v[142:143] op_sel:[0,0,1] op_sel_hi:[1,0,0]
	v_mov_b32_e32 v145, v129
	v_pk_mul_f32 v[128:129], v[130:131], v[140:141] op_sel:[0,1]
	s_delay_alu instid0(VALU_DEP_1) | instskip(SKIP_1) | instid1(VALU_DEP_1)
	v_pk_fma_f32 v[142:143], v[130:131], v[132:133], v[128:129] op_sel:[0,0,1] op_sel_hi:[1,1,0] neg_lo:[0,0,1] neg_hi:[0,0,1]
	v_pk_fma_f32 v[128:129], v[130:131], v[132:133], v[128:129] op_sel:[0,0,1] op_sel_hi:[1,0,0]
	v_mov_b32_e32 v143, v129
	ds_load_2addr_b64 v[128:131], v135 offset0:56 offset1:57
	v_pk_add_f32 v[14:15], v[14:15], v[144:145] neg_lo:[0,1] neg_hi:[0,1]
	v_pk_add_f32 v[10:11], v[10:11], v[142:143] neg_lo:[0,1] neg_hi:[0,1]
	s_wait_dscnt 0x0
	v_pk_mul_f32 v[142:143], v[128:129], v[140:141] op_sel:[0,1]
	s_delay_alu instid0(VALU_DEP_1) | instskip(SKIP_1) | instid1(VALU_DEP_1)
	v_pk_fma_f32 v[144:145], v[128:129], v[132:133], v[142:143] op_sel:[0,0,1] op_sel_hi:[1,1,0] neg_lo:[0,0,1] neg_hi:[0,0,1]
	v_pk_fma_f32 v[128:129], v[128:129], v[132:133], v[142:143] op_sel:[0,0,1] op_sel_hi:[1,0,0]
	v_mov_b32_e32 v145, v129
	v_pk_mul_f32 v[128:129], v[130:131], v[140:141] op_sel:[0,1]
	s_delay_alu instid0(VALU_DEP_1) | instskip(SKIP_1) | instid1(VALU_DEP_1)
	v_pk_fma_f32 v[142:143], v[130:131], v[132:133], v[128:129] op_sel:[0,0,1] op_sel_hi:[1,1,0] neg_lo:[0,0,1] neg_hi:[0,0,1]
	v_pk_fma_f32 v[128:129], v[130:131], v[132:133], v[128:129] op_sel:[0,0,1] op_sel_hi:[1,0,0]
	v_mov_b32_e32 v143, v129
	ds_load_2addr_b64 v[128:131], v135 offset0:58 offset1:59
	v_pk_add_f32 v[6:7], v[6:7], v[144:145] neg_lo:[0,1] neg_hi:[0,1]
	v_pk_add_f32 v[20:21], v[20:21], v[142:143] neg_lo:[0,1] neg_hi:[0,1]
	s_wait_dscnt 0x0
	v_dual_mul_f32 v142, v129, v141 :: v_dual_mul_f32 v144, v129, v132
	s_delay_alu instid0(VALU_DEP_1) | instskip(NEXT) | instid1(VALU_DEP_2)
	v_pk_fma_f32 v[142:143], v[128:129], v[22:23], v[142:143] op_sel_hi:[1,1,0] neg_lo:[0,0,1] neg_hi:[0,0,1]
	v_pk_fma_f32 v[128:129], v[128:129], v[22:23], v[144:145] op_sel:[1,0,0] op_sel_hi:[0,1,0]
	s_delay_alu instid0(VALU_DEP_1) | instskip(SKIP_1) | instid1(VALU_DEP_2)
	v_mov_b32_e32 v143, v129
	v_pk_mul_f32 v[128:129], v[130:131], v[140:141] op_sel:[0,1]
	v_pk_add_f32 v[18:19], v[18:19], v[142:143] neg_lo:[0,1] neg_hi:[0,1]
	s_delay_alu instid0(VALU_DEP_2) | instskip(SKIP_1) | instid1(VALU_DEP_1)
	v_pk_fma_f32 v[142:143], v[130:131], v[132:133], v[128:129] op_sel:[0,0,1] op_sel_hi:[1,1,0] neg_lo:[0,0,1] neg_hi:[0,0,1]
	v_pk_fma_f32 v[128:129], v[130:131], v[132:133], v[128:129] op_sel:[0,0,1] op_sel_hi:[1,0,0]
	v_mov_b32_e32 v143, v129
	ds_load_b64 v[128:129], v135 offset:480
	v_pk_add_f32 v[8:9], v[8:9], v[142:143] neg_lo:[0,1] neg_hi:[0,1]
	s_wait_dscnt 0x0
	v_pk_mul_f32 v[130:131], v[128:129], v[140:141] op_sel:[0,1]
	s_delay_alu instid0(VALU_DEP_1) | instskip(SKIP_1) | instid1(VALU_DEP_1)
	v_pk_fma_f32 v[140:141], v[128:129], v[132:133], v[130:131] op_sel:[0,0,1] op_sel_hi:[1,1,0] neg_lo:[0,0,1] neg_hi:[0,0,1]
	v_pk_fma_f32 v[128:129], v[128:129], v[132:133], v[130:131] op_sel:[0,0,1] op_sel_hi:[1,0,0]
	v_mov_b32_e32 v141, v129
	s_delay_alu instid0(VALU_DEP_1)
	v_pk_add_f32 v[126:127], v[126:127], v[140:141] neg_lo:[0,1] neg_hi:[0,1]
.LBB120_1049:
	s_or_b32 exec_lo, exec_lo, s0
	v_lshl_add_u32 v128, v138, 3, v135
	s_barrier_signal -1
	s_barrier_wait -1
	ds_store_b64 v128, v[24:25]
	s_wait_dscnt 0x0
	s_barrier_signal -1
	s_barrier_wait -1
	ds_load_b64 v[128:129], v135 offset:400
	v_mov_b32_e32 v130, 50
	s_cmp_lt_i32 s18, 52
	s_cbranch_scc1 .LBB120_1052
; %bb.1050:
	v_add3_u32 v131, v136, 0, 0x198
	v_mov_b32_e32 v130, 50
	s_mov_b32 s0, 51
.LBB120_1051:                           ; =>This Inner Loop Header: Depth=1
	ds_load_b64 v[132:133], v131
	s_wait_dscnt 0x1
	v_cmp_gt_f32_e32 vcc_lo, 0, v128
	v_cndmask_b32_e64 v140, v128, -v128, vcc_lo
	v_cmp_gt_f32_e32 vcc_lo, 0, v129
	v_cndmask_b32_e64 v142, v129, -v129, vcc_lo
	s_wait_dscnt 0x0
	v_cmp_gt_f32_e32 vcc_lo, 0, v132
	v_cndmask_b32_e64 v141, v132, -v132, vcc_lo
	v_cmp_gt_f32_e32 vcc_lo, 0, v133
	v_cndmask_b32_e64 v143, v133, -v133, vcc_lo
	s_delay_alu instid0(VALU_DEP_1) | instskip(NEXT) | instid1(VALU_DEP_1)
	v_pk_add_f32 v[140:141], v[140:141], v[142:143]
	v_cmp_lt_f32_e32 vcc_lo, v140, v141
	v_dual_add_nc_u32 v131, 8, v131 :: v_dual_cndmask_b32 v129, v129, v133, vcc_lo
	v_cndmask_b32_e32 v128, v128, v132, vcc_lo
	v_cndmask_b32_e64 v130, v130, s0, vcc_lo
	s_add_co_i32 s0, s0, 1
	s_delay_alu instid0(SALU_CYCLE_1)
	s_cmp_lg_u32 s18, s0
	s_cbranch_scc1 .LBB120_1051
.LBB120_1052:
	s_wait_dscnt 0x0
	v_cmp_eq_f32_e32 vcc_lo, 0, v128
	v_cmp_eq_f32_e64 s0, 0, v129
	s_and_b32 s0, vcc_lo, s0
	s_delay_alu instid0(SALU_CYCLE_1) | instskip(NEXT) | instid1(SALU_CYCLE_1)
	s_and_saveexec_b32 s1, s0
	s_xor_b32 s0, exec_lo, s1
; %bb.1053:
	v_cmp_ne_u32_e32 vcc_lo, 0, v134
	v_cndmask_b32_e32 v134, 51, v134, vcc_lo
; %bb.1054:
	s_and_not1_saveexec_b32 s0, s0
	s_cbranch_execz .LBB120_1060
; %bb.1055:
	v_cmp_ngt_f32_e64 s1, |v128|, |v129|
	s_and_saveexec_b32 s12, s1
	s_delay_alu instid0(SALU_CYCLE_1)
	s_xor_b32 s1, exec_lo, s12
	s_cbranch_execz .LBB120_1057
; %bb.1056:
	v_div_scale_f32 v131, null, v129, v129, v128
	v_div_scale_f32 v139, vcc_lo, v128, v129, v128
	s_delay_alu instid0(VALU_DEP_2) | instskip(SKIP_1) | instid1(TRANS32_DEP_1)
	v_rcp_f32_e32 v132, v131
	v_nop
	v_fma_f32 v133, -v131, v132, 1.0
	s_delay_alu instid0(VALU_DEP_1) | instskip(NEXT) | instid1(VALU_DEP_1)
	v_fmac_f32_e32 v132, v133, v132
	v_mul_f32_e32 v133, v139, v132
	s_delay_alu instid0(VALU_DEP_1) | instskip(NEXT) | instid1(VALU_DEP_1)
	v_fma_f32 v140, -v131, v133, v139
	v_fmac_f32_e32 v133, v140, v132
	s_delay_alu instid0(VALU_DEP_1) | instskip(NEXT) | instid1(VALU_DEP_1)
	v_fma_f32 v131, -v131, v133, v139
	v_div_fmas_f32 v131, v131, v132, v133
	s_delay_alu instid0(VALU_DEP_1) | instskip(NEXT) | instid1(VALU_DEP_1)
	v_div_fixup_f32 v131, v131, v129, v128
	v_fmac_f32_e32 v129, v128, v131
	s_delay_alu instid0(VALU_DEP_1) | instskip(SKIP_1) | instid1(VALU_DEP_2)
	v_div_scale_f32 v128, null, v129, v129, 1.0
	v_div_scale_f32 v139, vcc_lo, 1.0, v129, 1.0
	v_rcp_f32_e32 v132, v128
	v_nop
	s_delay_alu instid0(TRANS32_DEP_1) | instskip(NEXT) | instid1(VALU_DEP_1)
	v_fma_f32 v133, -v128, v132, 1.0
	v_fmac_f32_e32 v132, v133, v132
	s_delay_alu instid0(VALU_DEP_1) | instskip(NEXT) | instid1(VALU_DEP_1)
	v_mul_f32_e32 v133, v139, v132
	v_fma_f32 v140, -v128, v133, v139
	s_delay_alu instid0(VALU_DEP_1) | instskip(NEXT) | instid1(VALU_DEP_1)
	v_fmac_f32_e32 v133, v140, v132
	v_fma_f32 v128, -v128, v133, v139
	s_delay_alu instid0(VALU_DEP_1) | instskip(NEXT) | instid1(VALU_DEP_1)
	v_div_fmas_f32 v128, v128, v132, v133
	v_div_fixup_f32 v129, v128, v129, 1.0
	s_delay_alu instid0(VALU_DEP_1)
	v_mul_f32_e32 v128, v131, v129
	v_xor_b32_e32 v129, 0x80000000, v129
.LBB120_1057:
	s_and_not1_saveexec_b32 s1, s1
	s_cbranch_execz .LBB120_1059
; %bb.1058:
	s_delay_alu instid0(VALU_DEP_1) | instskip(SKIP_1) | instid1(VALU_DEP_2)
	v_div_scale_f32 v131, null, v128, v128, v129
	v_div_scale_f32 v139, vcc_lo, v129, v128, v129
	v_rcp_f32_e32 v132, v131
	v_nop
	s_delay_alu instid0(TRANS32_DEP_1) | instskip(NEXT) | instid1(VALU_DEP_1)
	v_fma_f32 v133, -v131, v132, 1.0
	v_fmac_f32_e32 v132, v133, v132
	s_delay_alu instid0(VALU_DEP_1) | instskip(NEXT) | instid1(VALU_DEP_1)
	v_mul_f32_e32 v133, v139, v132
	v_fma_f32 v140, -v131, v133, v139
	s_delay_alu instid0(VALU_DEP_1) | instskip(NEXT) | instid1(VALU_DEP_1)
	v_fmac_f32_e32 v133, v140, v132
	v_fma_f32 v131, -v131, v133, v139
	s_delay_alu instid0(VALU_DEP_1) | instskip(NEXT) | instid1(VALU_DEP_1)
	v_div_fmas_f32 v131, v131, v132, v133
	v_div_fixup_f32 v131, v131, v128, v129
	s_delay_alu instid0(VALU_DEP_1) | instskip(NEXT) | instid1(VALU_DEP_1)
	v_fmac_f32_e32 v128, v129, v131
	v_div_scale_f32 v129, null, v128, v128, 1.0
	s_delay_alu instid0(VALU_DEP_1) | instskip(SKIP_1) | instid1(TRANS32_DEP_1)
	v_rcp_f32_e32 v132, v129
	v_nop
	v_fma_f32 v133, -v129, v132, 1.0
	s_delay_alu instid0(VALU_DEP_1) | instskip(SKIP_1) | instid1(VALU_DEP_1)
	v_fmac_f32_e32 v132, v133, v132
	v_div_scale_f32 v133, vcc_lo, 1.0, v128, 1.0
	v_mul_f32_e32 v139, v133, v132
	s_delay_alu instid0(VALU_DEP_1) | instskip(NEXT) | instid1(VALU_DEP_1)
	v_fma_f32 v140, -v129, v139, v133
	v_fmac_f32_e32 v139, v140, v132
	s_delay_alu instid0(VALU_DEP_1) | instskip(NEXT) | instid1(VALU_DEP_1)
	v_fma_f32 v129, -v129, v139, v133
	v_div_fmas_f32 v129, v129, v132, v139
	s_delay_alu instid0(VALU_DEP_1) | instskip(NEXT) | instid1(VALU_DEP_1)
	v_div_fixup_f32 v128, v129, v128, 1.0
	v_mul_f32_e64 v129, v131, -v128
.LBB120_1059:
	s_or_b32 exec_lo, exec_lo, s1
.LBB120_1060:
	s_delay_alu instid0(SALU_CYCLE_1) | instskip(NEXT) | instid1(SALU_CYCLE_1)
	s_or_b32 exec_lo, exec_lo, s0
	s_mov_b32 s0, exec_lo
	v_cmpx_ne_u32_e64 v138, v130
	s_xor_b32 s0, exec_lo, s0
	s_cbranch_execz .LBB120_1066
; %bb.1061:
	s_mov_b32 s1, exec_lo
	v_cmpx_eq_u32_e32 50, v138
	s_cbranch_execz .LBB120_1065
; %bb.1062:
	v_cmp_ne_u32_e32 vcc_lo, 50, v130
	s_xor_b32 s12, s16, -1
	s_delay_alu instid0(SALU_CYCLE_1) | instskip(NEXT) | instid1(SALU_CYCLE_1)
	s_and_b32 s13, s12, vcc_lo
	s_and_saveexec_b32 s12, s13
	s_cbranch_execz .LBB120_1064
; %bb.1063:
	v_ashrrev_i32_e32 v131, 31, v130
	s_delay_alu instid0(VALU_DEP_1)
	v_lshl_add_u64 v[132:133], v[130:131], 2, v[4:5]
	s_clause 0x1
	global_load_b32 v131, v[132:133], off
	global_load_b32 v137, v[4:5], off offset:200
	s_wait_loadcnt 0x1
	global_store_b32 v[4:5], v131, off offset:200
	s_wait_loadcnt 0x0
	global_store_b32 v[132:133], v137, off
.LBB120_1064:
	s_wait_xcnt 0x0
	s_or_b32 exec_lo, exec_lo, s12
	v_dual_mov_b32 v138, v130 :: v_dual_mov_b32 v137, v130
.LBB120_1065:
	s_or_b32 exec_lo, exec_lo, s1
.LBB120_1066:
	s_and_not1_saveexec_b32 s0, s0
	s_cbranch_execz .LBB120_1068
; %bb.1067:
	v_mov_b32_e32 v138, 50
	ds_store_2addr_b64 v135, v[44:45], v[16:17] offset0:51 offset1:52
	ds_store_2addr_b64 v135, v[12:13], v[14:15] offset0:53 offset1:54
	;; [unrolled: 1-line block ×5, first 2 shown]
.LBB120_1068:
	s_or_b32 exec_lo, exec_lo, s0
	s_delay_alu instid0(SALU_CYCLE_1)
	s_mov_b32 s0, exec_lo
	s_wait_storecnt_dscnt 0x0
	s_barrier_signal -1
	s_barrier_wait -1
	v_cmpx_lt_i32_e32 50, v138
	s_cbranch_execz .LBB120_1070
; %bb.1069:
	v_pk_mul_f32 v[130:131], v[128:129], v[24:25] op_sel:[1,1] op_sel_hi:[0,1]
	s_delay_alu instid0(VALU_DEP_1)
	v_pk_fma_f32 v[132:133], v[128:129], v[24:25], v[130:131] op_sel_hi:[1,0,1] neg_lo:[0,0,1] neg_hi:[0,0,1]
	v_pk_fma_f32 v[140:141], v[128:129], v[24:25], v[130:131] op_sel_hi:[1,0,1]
	ds_load_2addr_b64 v[128:131], v135 offset0:51 offset1:52
	v_dual_mov_b32 v24, v132 :: v_dual_mov_b32 v25, v141
	s_wait_dscnt 0x0
	v_pk_mul_f32 v[142:143], v[128:129], v[140:141] op_sel:[0,1]
	s_delay_alu instid0(VALU_DEP_1) | instskip(SKIP_1) | instid1(VALU_DEP_1)
	v_pk_fma_f32 v[144:145], v[128:129], v[132:133], v[142:143] op_sel:[0,0,1] op_sel_hi:[1,1,0] neg_lo:[0,0,1] neg_hi:[0,0,1]
	v_pk_fma_f32 v[128:129], v[128:129], v[132:133], v[142:143] op_sel:[0,0,1] op_sel_hi:[1,0,0]
	v_mov_b32_e32 v145, v129
	v_pk_mul_f32 v[128:129], v[130:131], v[140:141] op_sel:[0,1]
	s_delay_alu instid0(VALU_DEP_1) | instskip(SKIP_1) | instid1(VALU_DEP_1)
	v_pk_fma_f32 v[142:143], v[130:131], v[132:133], v[128:129] op_sel:[0,0,1] op_sel_hi:[1,1,0] neg_lo:[0,0,1] neg_hi:[0,0,1]
	v_pk_fma_f32 v[128:129], v[130:131], v[132:133], v[128:129] op_sel:[0,0,1] op_sel_hi:[1,0,0]
	v_mov_b32_e32 v143, v129
	ds_load_2addr_b64 v[128:131], v135 offset0:53 offset1:54
	v_pk_add_f32 v[44:45], v[44:45], v[144:145] neg_lo:[0,1] neg_hi:[0,1]
	v_pk_add_f32 v[16:17], v[16:17], v[142:143] neg_lo:[0,1] neg_hi:[0,1]
	s_wait_dscnt 0x0
	v_pk_mul_f32 v[142:143], v[128:129], v[140:141] op_sel:[0,1]
	s_delay_alu instid0(VALU_DEP_1) | instskip(SKIP_2) | instid1(VALU_DEP_2)
	v_pk_fma_f32 v[144:145], v[128:129], v[132:133], v[142:143] op_sel:[0,0,1] op_sel_hi:[1,1,0] neg_lo:[0,0,1] neg_hi:[0,0,1]
	v_pk_fma_f32 v[128:129], v[128:129], v[132:133], v[142:143] op_sel:[0,0,1] op_sel_hi:[1,0,0]
	v_dual_mul_f32 v142, v131, v141 :: v_dual_mov_b32 v128, v131
	v_dual_mov_b32 v145, v129 :: v_dual_mov_b32 v129, v130
	s_delay_alu instid0(VALU_DEP_2) | instskip(SKIP_1) | instid1(VALU_DEP_3)
	v_pk_fma_f32 v[142:143], v[130:131], v[24:25], v[142:143] op_sel_hi:[1,1,0] neg_lo:[0,0,1] neg_hi:[0,0,1]
	v_mul_f32_e32 v130, v131, v132
	v_pk_add_f32 v[12:13], v[12:13], v[144:145] neg_lo:[0,1] neg_hi:[0,1]
	s_delay_alu instid0(VALU_DEP_2) | instskip(NEXT) | instid1(VALU_DEP_1)
	v_pk_fma_f32 v[128:129], v[128:129], v[24:25], v[130:131] op_sel_hi:[1,1,0]
	v_mov_b32_e32 v143, v129
	ds_load_2addr_b64 v[128:131], v135 offset0:55 offset1:56
	v_pk_add_f32 v[14:15], v[14:15], v[142:143] neg_lo:[0,1] neg_hi:[0,1]
	s_wait_dscnt 0x0
	v_pk_mul_f32 v[142:143], v[128:129], v[140:141] op_sel:[0,1]
	s_delay_alu instid0(VALU_DEP_1) | instskip(SKIP_1) | instid1(VALU_DEP_1)
	v_pk_fma_f32 v[144:145], v[128:129], v[132:133], v[142:143] op_sel:[0,0,1] op_sel_hi:[1,1,0] neg_lo:[0,0,1] neg_hi:[0,0,1]
	v_pk_fma_f32 v[128:129], v[128:129], v[132:133], v[142:143] op_sel:[0,0,1] op_sel_hi:[1,0,0]
	v_mov_b32_e32 v145, v129
	v_pk_mul_f32 v[128:129], v[130:131], v[140:141] op_sel:[0,1]
	s_delay_alu instid0(VALU_DEP_1) | instskip(SKIP_1) | instid1(VALU_DEP_1)
	v_pk_fma_f32 v[142:143], v[130:131], v[132:133], v[128:129] op_sel:[0,0,1] op_sel_hi:[1,1,0] neg_lo:[0,0,1] neg_hi:[0,0,1]
	v_pk_fma_f32 v[128:129], v[130:131], v[132:133], v[128:129] op_sel:[0,0,1] op_sel_hi:[1,0,0]
	v_mov_b32_e32 v143, v129
	ds_load_2addr_b64 v[128:131], v135 offset0:57 offset1:58
	v_pk_add_f32 v[10:11], v[10:11], v[144:145] neg_lo:[0,1] neg_hi:[0,1]
	v_pk_add_f32 v[6:7], v[6:7], v[142:143] neg_lo:[0,1] neg_hi:[0,1]
	s_wait_dscnt 0x0
	v_pk_mul_f32 v[142:143], v[128:129], v[140:141] op_sel:[0,1]
	s_delay_alu instid0(VALU_DEP_1) | instskip(SKIP_1) | instid1(VALU_DEP_1)
	v_pk_fma_f32 v[144:145], v[128:129], v[132:133], v[142:143] op_sel:[0,0,1] op_sel_hi:[1,1,0] neg_lo:[0,0,1] neg_hi:[0,0,1]
	v_pk_fma_f32 v[128:129], v[128:129], v[132:133], v[142:143] op_sel:[0,0,1] op_sel_hi:[1,0,0]
	v_mov_b32_e32 v145, v129
	v_pk_mul_f32 v[128:129], v[130:131], v[140:141] op_sel:[0,1]
	s_delay_alu instid0(VALU_DEP_1) | instskip(SKIP_1) | instid1(VALU_DEP_1)
	v_pk_fma_f32 v[142:143], v[130:131], v[132:133], v[128:129] op_sel:[0,0,1] op_sel_hi:[1,1,0] neg_lo:[0,0,1] neg_hi:[0,0,1]
	v_pk_fma_f32 v[128:129], v[130:131], v[132:133], v[128:129] op_sel:[0,0,1] op_sel_hi:[1,0,0]
	v_mov_b32_e32 v143, v129
	ds_load_2addr_b64 v[128:131], v135 offset0:59 offset1:60
	v_pk_add_f32 v[20:21], v[20:21], v[144:145] neg_lo:[0,1] neg_hi:[0,1]
	v_pk_add_f32 v[18:19], v[18:19], v[142:143] neg_lo:[0,1] neg_hi:[0,1]
	s_wait_dscnt 0x0
	v_dual_mul_f32 v142, v129, v141 :: v_dual_mul_f32 v144, v129, v132
	s_delay_alu instid0(VALU_DEP_1) | instskip(NEXT) | instid1(VALU_DEP_2)
	v_pk_fma_f32 v[142:143], v[128:129], v[24:25], v[142:143] op_sel_hi:[1,1,0] neg_lo:[0,0,1] neg_hi:[0,0,1]
	v_pk_fma_f32 v[128:129], v[128:129], v[24:25], v[144:145] op_sel:[1,0,0] op_sel_hi:[0,1,0]
	s_delay_alu instid0(VALU_DEP_1) | instskip(SKIP_1) | instid1(VALU_DEP_1)
	v_mov_b32_e32 v143, v129
	v_pk_mul_f32 v[128:129], v[130:131], v[140:141] op_sel:[0,1]
	v_pk_fma_f32 v[140:141], v[130:131], v[132:133], v[128:129] op_sel:[0,0,1] op_sel_hi:[1,1,0] neg_lo:[0,0,1] neg_hi:[0,0,1]
	v_pk_fma_f32 v[128:129], v[130:131], v[132:133], v[128:129] op_sel:[0,0,1] op_sel_hi:[1,0,0]
	s_delay_alu instid0(VALU_DEP_1) | instskip(SKIP_1) | instid1(VALU_DEP_2)
	v_mov_b32_e32 v141, v129
	v_pk_add_f32 v[8:9], v[8:9], v[142:143] neg_lo:[0,1] neg_hi:[0,1]
	v_pk_add_f32 v[126:127], v[126:127], v[140:141] neg_lo:[0,1] neg_hi:[0,1]
.LBB120_1070:
	s_or_b32 exec_lo, exec_lo, s0
	v_lshl_add_u32 v128, v138, 3, v135
	s_barrier_signal -1
	s_barrier_wait -1
	ds_store_b64 v128, v[44:45]
	s_wait_dscnt 0x0
	s_barrier_signal -1
	s_barrier_wait -1
	ds_load_b64 v[128:129], v135 offset:408
	v_mov_b32_e32 v130, 51
	s_cmp_lt_i32 s18, 53
	s_cbranch_scc1 .LBB120_1073
; %bb.1071:
	v_add3_u32 v131, v136, 0, 0x1a0
	v_mov_b32_e32 v130, 51
	s_mov_b32 s0, 52
.LBB120_1072:                           ; =>This Inner Loop Header: Depth=1
	ds_load_b64 v[132:133], v131
	s_wait_dscnt 0x1
	v_cmp_gt_f32_e32 vcc_lo, 0, v128
	v_cndmask_b32_e64 v140, v128, -v128, vcc_lo
	v_cmp_gt_f32_e32 vcc_lo, 0, v129
	v_cndmask_b32_e64 v142, v129, -v129, vcc_lo
	s_wait_dscnt 0x0
	v_cmp_gt_f32_e32 vcc_lo, 0, v132
	v_cndmask_b32_e64 v141, v132, -v132, vcc_lo
	v_cmp_gt_f32_e32 vcc_lo, 0, v133
	v_cndmask_b32_e64 v143, v133, -v133, vcc_lo
	s_delay_alu instid0(VALU_DEP_1) | instskip(NEXT) | instid1(VALU_DEP_1)
	v_pk_add_f32 v[140:141], v[140:141], v[142:143]
	v_cmp_lt_f32_e32 vcc_lo, v140, v141
	v_dual_add_nc_u32 v131, 8, v131 :: v_dual_cndmask_b32 v129, v129, v133, vcc_lo
	v_cndmask_b32_e32 v128, v128, v132, vcc_lo
	v_cndmask_b32_e64 v130, v130, s0, vcc_lo
	s_add_co_i32 s0, s0, 1
	s_delay_alu instid0(SALU_CYCLE_1)
	s_cmp_lg_u32 s18, s0
	s_cbranch_scc1 .LBB120_1072
.LBB120_1073:
	s_wait_dscnt 0x0
	v_cmp_eq_f32_e32 vcc_lo, 0, v128
	v_cmp_eq_f32_e64 s0, 0, v129
	s_and_b32 s0, vcc_lo, s0
	s_delay_alu instid0(SALU_CYCLE_1) | instskip(NEXT) | instid1(SALU_CYCLE_1)
	s_and_saveexec_b32 s1, s0
	s_xor_b32 s0, exec_lo, s1
; %bb.1074:
	v_cmp_ne_u32_e32 vcc_lo, 0, v134
	v_cndmask_b32_e32 v134, 52, v134, vcc_lo
; %bb.1075:
	s_and_not1_saveexec_b32 s0, s0
	s_cbranch_execz .LBB120_1081
; %bb.1076:
	v_cmp_ngt_f32_e64 s1, |v128|, |v129|
	s_and_saveexec_b32 s12, s1
	s_delay_alu instid0(SALU_CYCLE_1)
	s_xor_b32 s1, exec_lo, s12
	s_cbranch_execz .LBB120_1078
; %bb.1077:
	v_div_scale_f32 v131, null, v129, v129, v128
	v_div_scale_f32 v139, vcc_lo, v128, v129, v128
	s_delay_alu instid0(VALU_DEP_2) | instskip(SKIP_1) | instid1(TRANS32_DEP_1)
	v_rcp_f32_e32 v132, v131
	v_nop
	v_fma_f32 v133, -v131, v132, 1.0
	s_delay_alu instid0(VALU_DEP_1) | instskip(NEXT) | instid1(VALU_DEP_1)
	v_fmac_f32_e32 v132, v133, v132
	v_mul_f32_e32 v133, v139, v132
	s_delay_alu instid0(VALU_DEP_1) | instskip(NEXT) | instid1(VALU_DEP_1)
	v_fma_f32 v140, -v131, v133, v139
	v_fmac_f32_e32 v133, v140, v132
	s_delay_alu instid0(VALU_DEP_1) | instskip(NEXT) | instid1(VALU_DEP_1)
	v_fma_f32 v131, -v131, v133, v139
	v_div_fmas_f32 v131, v131, v132, v133
	s_delay_alu instid0(VALU_DEP_1) | instskip(NEXT) | instid1(VALU_DEP_1)
	v_div_fixup_f32 v131, v131, v129, v128
	v_fmac_f32_e32 v129, v128, v131
	s_delay_alu instid0(VALU_DEP_1) | instskip(SKIP_1) | instid1(VALU_DEP_2)
	v_div_scale_f32 v128, null, v129, v129, 1.0
	v_div_scale_f32 v139, vcc_lo, 1.0, v129, 1.0
	v_rcp_f32_e32 v132, v128
	v_nop
	s_delay_alu instid0(TRANS32_DEP_1) | instskip(NEXT) | instid1(VALU_DEP_1)
	v_fma_f32 v133, -v128, v132, 1.0
	v_fmac_f32_e32 v132, v133, v132
	s_delay_alu instid0(VALU_DEP_1) | instskip(NEXT) | instid1(VALU_DEP_1)
	v_mul_f32_e32 v133, v139, v132
	v_fma_f32 v140, -v128, v133, v139
	s_delay_alu instid0(VALU_DEP_1) | instskip(NEXT) | instid1(VALU_DEP_1)
	v_fmac_f32_e32 v133, v140, v132
	v_fma_f32 v128, -v128, v133, v139
	s_delay_alu instid0(VALU_DEP_1) | instskip(NEXT) | instid1(VALU_DEP_1)
	v_div_fmas_f32 v128, v128, v132, v133
	v_div_fixup_f32 v129, v128, v129, 1.0
	s_delay_alu instid0(VALU_DEP_1)
	v_mul_f32_e32 v128, v131, v129
	v_xor_b32_e32 v129, 0x80000000, v129
.LBB120_1078:
	s_and_not1_saveexec_b32 s1, s1
	s_cbranch_execz .LBB120_1080
; %bb.1079:
	s_delay_alu instid0(VALU_DEP_1) | instskip(SKIP_1) | instid1(VALU_DEP_2)
	v_div_scale_f32 v131, null, v128, v128, v129
	v_div_scale_f32 v139, vcc_lo, v129, v128, v129
	v_rcp_f32_e32 v132, v131
	v_nop
	s_delay_alu instid0(TRANS32_DEP_1) | instskip(NEXT) | instid1(VALU_DEP_1)
	v_fma_f32 v133, -v131, v132, 1.0
	v_fmac_f32_e32 v132, v133, v132
	s_delay_alu instid0(VALU_DEP_1) | instskip(NEXT) | instid1(VALU_DEP_1)
	v_mul_f32_e32 v133, v139, v132
	v_fma_f32 v140, -v131, v133, v139
	s_delay_alu instid0(VALU_DEP_1) | instskip(NEXT) | instid1(VALU_DEP_1)
	v_fmac_f32_e32 v133, v140, v132
	v_fma_f32 v131, -v131, v133, v139
	s_delay_alu instid0(VALU_DEP_1) | instskip(NEXT) | instid1(VALU_DEP_1)
	v_div_fmas_f32 v131, v131, v132, v133
	v_div_fixup_f32 v131, v131, v128, v129
	s_delay_alu instid0(VALU_DEP_1) | instskip(NEXT) | instid1(VALU_DEP_1)
	v_fmac_f32_e32 v128, v129, v131
	v_div_scale_f32 v129, null, v128, v128, 1.0
	s_delay_alu instid0(VALU_DEP_1) | instskip(SKIP_1) | instid1(TRANS32_DEP_1)
	v_rcp_f32_e32 v132, v129
	v_nop
	v_fma_f32 v133, -v129, v132, 1.0
	s_delay_alu instid0(VALU_DEP_1) | instskip(SKIP_1) | instid1(VALU_DEP_1)
	v_fmac_f32_e32 v132, v133, v132
	v_div_scale_f32 v133, vcc_lo, 1.0, v128, 1.0
	v_mul_f32_e32 v139, v133, v132
	s_delay_alu instid0(VALU_DEP_1) | instskip(NEXT) | instid1(VALU_DEP_1)
	v_fma_f32 v140, -v129, v139, v133
	v_fmac_f32_e32 v139, v140, v132
	s_delay_alu instid0(VALU_DEP_1) | instskip(NEXT) | instid1(VALU_DEP_1)
	v_fma_f32 v129, -v129, v139, v133
	v_div_fmas_f32 v129, v129, v132, v139
	s_delay_alu instid0(VALU_DEP_1) | instskip(NEXT) | instid1(VALU_DEP_1)
	v_div_fixup_f32 v128, v129, v128, 1.0
	v_mul_f32_e64 v129, v131, -v128
.LBB120_1080:
	s_or_b32 exec_lo, exec_lo, s1
.LBB120_1081:
	s_delay_alu instid0(SALU_CYCLE_1) | instskip(NEXT) | instid1(SALU_CYCLE_1)
	s_or_b32 exec_lo, exec_lo, s0
	s_mov_b32 s0, exec_lo
	v_cmpx_ne_u32_e64 v138, v130
	s_xor_b32 s0, exec_lo, s0
	s_cbranch_execz .LBB120_1087
; %bb.1082:
	s_mov_b32 s1, exec_lo
	v_cmpx_eq_u32_e32 51, v138
	s_cbranch_execz .LBB120_1086
; %bb.1083:
	v_cmp_ne_u32_e32 vcc_lo, 51, v130
	s_xor_b32 s12, s16, -1
	s_delay_alu instid0(SALU_CYCLE_1) | instskip(NEXT) | instid1(SALU_CYCLE_1)
	s_and_b32 s13, s12, vcc_lo
	s_and_saveexec_b32 s12, s13
	s_cbranch_execz .LBB120_1085
; %bb.1084:
	v_ashrrev_i32_e32 v131, 31, v130
	s_delay_alu instid0(VALU_DEP_1)
	v_lshl_add_u64 v[132:133], v[130:131], 2, v[4:5]
	s_clause 0x1
	global_load_b32 v131, v[132:133], off
	global_load_b32 v137, v[4:5], off offset:204
	s_wait_loadcnt 0x1
	global_store_b32 v[4:5], v131, off offset:204
	s_wait_loadcnt 0x0
	global_store_b32 v[132:133], v137, off
.LBB120_1085:
	s_wait_xcnt 0x0
	s_or_b32 exec_lo, exec_lo, s12
	v_dual_mov_b32 v138, v130 :: v_dual_mov_b32 v137, v130
.LBB120_1086:
	s_or_b32 exec_lo, exec_lo, s1
.LBB120_1087:
	s_and_not1_saveexec_b32 s0, s0
	s_cbranch_execz .LBB120_1089
; %bb.1088:
	v_dual_mov_b32 v130, v16 :: v_dual_mov_b32 v131, v17
	v_dual_mov_b32 v132, v12 :: v_dual_mov_b32 v133, v13
	;; [unrolled: 1-line block ×8, first 2 shown]
	v_mov_b32_e32 v151, v9
	ds_store_2addr_b64 v135, v[130:131], v[132:133] offset0:52 offset1:53
	ds_store_2addr_b64 v135, v[140:141], v[142:143] offset0:54 offset1:55
	;; [unrolled: 1-line block ×4, first 2 shown]
	ds_store_b64 v135, v[126:127] offset:480
.LBB120_1089:
	s_or_b32 exec_lo, exec_lo, s0
	s_delay_alu instid0(SALU_CYCLE_1)
	s_mov_b32 s0, exec_lo
	s_wait_storecnt_dscnt 0x0
	s_barrier_signal -1
	s_barrier_wait -1
	v_cmpx_lt_i32_e32 51, v138
	s_cbranch_execz .LBB120_1091
; %bb.1090:
	v_pk_mul_f32 v[130:131], v[128:129], v[44:45] op_sel:[1,1] op_sel_hi:[0,1]
	s_delay_alu instid0(VALU_DEP_1)
	v_pk_fma_f32 v[132:133], v[128:129], v[44:45], v[130:131] op_sel_hi:[1,0,1] neg_lo:[0,0,1] neg_hi:[0,0,1]
	v_pk_fma_f32 v[140:141], v[128:129], v[44:45], v[130:131] op_sel_hi:[1,0,1]
	ds_load_2addr_b64 v[128:131], v135 offset0:52 offset1:53
	v_dual_mov_b32 v44, v132 :: v_dual_mov_b32 v45, v141
	s_wait_dscnt 0x0
	v_pk_mul_f32 v[142:143], v[128:129], v[140:141] op_sel:[0,1]
	s_delay_alu instid0(VALU_DEP_1) | instskip(SKIP_1) | instid1(VALU_DEP_1)
	v_pk_fma_f32 v[144:145], v[128:129], v[132:133], v[142:143] op_sel:[0,0,1] op_sel_hi:[1,1,0] neg_lo:[0,0,1] neg_hi:[0,0,1]
	v_pk_fma_f32 v[128:129], v[128:129], v[132:133], v[142:143] op_sel:[0,0,1] op_sel_hi:[1,0,0]
	v_mov_b32_e32 v145, v129
	v_pk_mul_f32 v[128:129], v[130:131], v[140:141] op_sel:[0,1]
	s_delay_alu instid0(VALU_DEP_1) | instskip(SKIP_1) | instid1(VALU_DEP_1)
	v_pk_fma_f32 v[142:143], v[130:131], v[132:133], v[128:129] op_sel:[0,0,1] op_sel_hi:[1,1,0] neg_lo:[0,0,1] neg_hi:[0,0,1]
	v_pk_fma_f32 v[128:129], v[130:131], v[132:133], v[128:129] op_sel:[0,0,1] op_sel_hi:[1,0,0]
	v_mov_b32_e32 v143, v129
	ds_load_2addr_b64 v[128:131], v135 offset0:54 offset1:55
	v_pk_add_f32 v[16:17], v[16:17], v[144:145] neg_lo:[0,1] neg_hi:[0,1]
	v_pk_add_f32 v[12:13], v[12:13], v[142:143] neg_lo:[0,1] neg_hi:[0,1]
	s_wait_dscnt 0x0
	v_pk_mul_f32 v[142:143], v[128:129], v[140:141] op_sel:[0,1]
	s_delay_alu instid0(VALU_DEP_1) | instskip(SKIP_2) | instid1(VALU_DEP_2)
	v_pk_fma_f32 v[144:145], v[128:129], v[132:133], v[142:143] op_sel:[0,0,1] op_sel_hi:[1,1,0] neg_lo:[0,0,1] neg_hi:[0,0,1]
	v_pk_fma_f32 v[128:129], v[128:129], v[132:133], v[142:143] op_sel:[0,0,1] op_sel_hi:[1,0,0]
	v_dual_mul_f32 v142, v131, v141 :: v_dual_mov_b32 v128, v131
	v_dual_mov_b32 v145, v129 :: v_dual_mov_b32 v129, v130
	s_delay_alu instid0(VALU_DEP_2) | instskip(SKIP_1) | instid1(VALU_DEP_3)
	v_pk_fma_f32 v[142:143], v[130:131], v[44:45], v[142:143] op_sel_hi:[1,1,0] neg_lo:[0,0,1] neg_hi:[0,0,1]
	v_mul_f32_e32 v130, v131, v132
	v_pk_add_f32 v[14:15], v[14:15], v[144:145] neg_lo:[0,1] neg_hi:[0,1]
	s_delay_alu instid0(VALU_DEP_2) | instskip(NEXT) | instid1(VALU_DEP_1)
	v_pk_fma_f32 v[128:129], v[128:129], v[44:45], v[130:131] op_sel_hi:[1,1,0]
	v_mov_b32_e32 v143, v129
	ds_load_2addr_b64 v[128:131], v135 offset0:56 offset1:57
	v_pk_add_f32 v[10:11], v[10:11], v[142:143] neg_lo:[0,1] neg_hi:[0,1]
	s_wait_dscnt 0x0
	v_pk_mul_f32 v[142:143], v[128:129], v[140:141] op_sel:[0,1]
	s_delay_alu instid0(VALU_DEP_1) | instskip(SKIP_1) | instid1(VALU_DEP_1)
	v_pk_fma_f32 v[144:145], v[128:129], v[132:133], v[142:143] op_sel:[0,0,1] op_sel_hi:[1,1,0] neg_lo:[0,0,1] neg_hi:[0,0,1]
	v_pk_fma_f32 v[128:129], v[128:129], v[132:133], v[142:143] op_sel:[0,0,1] op_sel_hi:[1,0,0]
	v_mov_b32_e32 v145, v129
	v_pk_mul_f32 v[128:129], v[130:131], v[140:141] op_sel:[0,1]
	s_delay_alu instid0(VALU_DEP_1) | instskip(SKIP_1) | instid1(VALU_DEP_1)
	v_pk_fma_f32 v[142:143], v[130:131], v[132:133], v[128:129] op_sel:[0,0,1] op_sel_hi:[1,1,0] neg_lo:[0,0,1] neg_hi:[0,0,1]
	v_pk_fma_f32 v[128:129], v[130:131], v[132:133], v[128:129] op_sel:[0,0,1] op_sel_hi:[1,0,0]
	v_mov_b32_e32 v143, v129
	ds_load_2addr_b64 v[128:131], v135 offset0:58 offset1:59
	v_pk_add_f32 v[6:7], v[6:7], v[144:145] neg_lo:[0,1] neg_hi:[0,1]
	v_pk_add_f32 v[20:21], v[20:21], v[142:143] neg_lo:[0,1] neg_hi:[0,1]
	s_wait_dscnt 0x0
	v_pk_mul_f32 v[142:143], v[128:129], v[140:141] op_sel:[0,1]
	s_delay_alu instid0(VALU_DEP_1) | instskip(SKIP_1) | instid1(VALU_DEP_1)
	v_pk_fma_f32 v[144:145], v[128:129], v[132:133], v[142:143] op_sel:[0,0,1] op_sel_hi:[1,1,0] neg_lo:[0,0,1] neg_hi:[0,0,1]
	v_pk_fma_f32 v[128:129], v[128:129], v[132:133], v[142:143] op_sel:[0,0,1] op_sel_hi:[1,0,0]
	v_mov_b32_e32 v145, v129
	v_pk_mul_f32 v[128:129], v[130:131], v[140:141] op_sel:[0,1]
	s_delay_alu instid0(VALU_DEP_1) | instskip(SKIP_1) | instid1(VALU_DEP_1)
	v_pk_fma_f32 v[142:143], v[130:131], v[132:133], v[128:129] op_sel:[0,0,1] op_sel_hi:[1,1,0] neg_lo:[0,0,1] neg_hi:[0,0,1]
	v_pk_fma_f32 v[128:129], v[130:131], v[132:133], v[128:129] op_sel:[0,0,1] op_sel_hi:[1,0,0]
	v_mov_b32_e32 v143, v129
	ds_load_b64 v[128:129], v135 offset:480
	v_pk_add_f32 v[18:19], v[18:19], v[144:145] neg_lo:[0,1] neg_hi:[0,1]
	v_pk_add_f32 v[8:9], v[8:9], v[142:143] neg_lo:[0,1] neg_hi:[0,1]
	s_wait_dscnt 0x0
	v_pk_mul_f32 v[130:131], v[128:129], v[140:141] op_sel:[0,1]
	s_delay_alu instid0(VALU_DEP_1) | instskip(SKIP_1) | instid1(VALU_DEP_1)
	v_pk_fma_f32 v[140:141], v[128:129], v[132:133], v[130:131] op_sel:[0,0,1] op_sel_hi:[1,1,0] neg_lo:[0,0,1] neg_hi:[0,0,1]
	v_pk_fma_f32 v[128:129], v[128:129], v[132:133], v[130:131] op_sel:[0,0,1] op_sel_hi:[1,0,0]
	v_mov_b32_e32 v141, v129
	s_delay_alu instid0(VALU_DEP_1)
	v_pk_add_f32 v[126:127], v[126:127], v[140:141] neg_lo:[0,1] neg_hi:[0,1]
.LBB120_1091:
	s_or_b32 exec_lo, exec_lo, s0
	v_lshl_add_u32 v128, v138, 3, v135
	s_barrier_signal -1
	s_barrier_wait -1
	ds_store_b64 v128, v[16:17]
	s_wait_dscnt 0x0
	s_barrier_signal -1
	s_barrier_wait -1
	ds_load_b64 v[128:129], v135 offset:416
	v_mov_b32_e32 v130, 52
	s_cmp_lt_i32 s18, 54
	s_cbranch_scc1 .LBB120_1094
; %bb.1092:
	v_add3_u32 v131, v136, 0, 0x1a8
	v_mov_b32_e32 v130, 52
	s_mov_b32 s0, 53
.LBB120_1093:                           ; =>This Inner Loop Header: Depth=1
	ds_load_b64 v[132:133], v131
	s_wait_dscnt 0x1
	v_cmp_gt_f32_e32 vcc_lo, 0, v128
	v_cndmask_b32_e64 v140, v128, -v128, vcc_lo
	v_cmp_gt_f32_e32 vcc_lo, 0, v129
	v_cndmask_b32_e64 v142, v129, -v129, vcc_lo
	s_wait_dscnt 0x0
	v_cmp_gt_f32_e32 vcc_lo, 0, v132
	v_cndmask_b32_e64 v141, v132, -v132, vcc_lo
	v_cmp_gt_f32_e32 vcc_lo, 0, v133
	v_cndmask_b32_e64 v143, v133, -v133, vcc_lo
	s_delay_alu instid0(VALU_DEP_1) | instskip(NEXT) | instid1(VALU_DEP_1)
	v_pk_add_f32 v[140:141], v[140:141], v[142:143]
	v_cmp_lt_f32_e32 vcc_lo, v140, v141
	v_dual_add_nc_u32 v131, 8, v131 :: v_dual_cndmask_b32 v129, v129, v133, vcc_lo
	v_cndmask_b32_e32 v128, v128, v132, vcc_lo
	v_cndmask_b32_e64 v130, v130, s0, vcc_lo
	s_add_co_i32 s0, s0, 1
	s_delay_alu instid0(SALU_CYCLE_1)
	s_cmp_lg_u32 s18, s0
	s_cbranch_scc1 .LBB120_1093
.LBB120_1094:
	s_wait_dscnt 0x0
	v_cmp_eq_f32_e32 vcc_lo, 0, v128
	v_cmp_eq_f32_e64 s0, 0, v129
	s_and_b32 s0, vcc_lo, s0
	s_delay_alu instid0(SALU_CYCLE_1) | instskip(NEXT) | instid1(SALU_CYCLE_1)
	s_and_saveexec_b32 s1, s0
	s_xor_b32 s0, exec_lo, s1
; %bb.1095:
	v_cmp_ne_u32_e32 vcc_lo, 0, v134
	v_cndmask_b32_e32 v134, 53, v134, vcc_lo
; %bb.1096:
	s_and_not1_saveexec_b32 s0, s0
	s_cbranch_execz .LBB120_1102
; %bb.1097:
	v_cmp_ngt_f32_e64 s1, |v128|, |v129|
	s_and_saveexec_b32 s12, s1
	s_delay_alu instid0(SALU_CYCLE_1)
	s_xor_b32 s1, exec_lo, s12
	s_cbranch_execz .LBB120_1099
; %bb.1098:
	v_div_scale_f32 v131, null, v129, v129, v128
	v_div_scale_f32 v139, vcc_lo, v128, v129, v128
	s_delay_alu instid0(VALU_DEP_2) | instskip(SKIP_1) | instid1(TRANS32_DEP_1)
	v_rcp_f32_e32 v132, v131
	v_nop
	v_fma_f32 v133, -v131, v132, 1.0
	s_delay_alu instid0(VALU_DEP_1) | instskip(NEXT) | instid1(VALU_DEP_1)
	v_fmac_f32_e32 v132, v133, v132
	v_mul_f32_e32 v133, v139, v132
	s_delay_alu instid0(VALU_DEP_1) | instskip(NEXT) | instid1(VALU_DEP_1)
	v_fma_f32 v140, -v131, v133, v139
	v_fmac_f32_e32 v133, v140, v132
	s_delay_alu instid0(VALU_DEP_1) | instskip(NEXT) | instid1(VALU_DEP_1)
	v_fma_f32 v131, -v131, v133, v139
	v_div_fmas_f32 v131, v131, v132, v133
	s_delay_alu instid0(VALU_DEP_1) | instskip(NEXT) | instid1(VALU_DEP_1)
	v_div_fixup_f32 v131, v131, v129, v128
	v_fmac_f32_e32 v129, v128, v131
	s_delay_alu instid0(VALU_DEP_1) | instskip(SKIP_1) | instid1(VALU_DEP_2)
	v_div_scale_f32 v128, null, v129, v129, 1.0
	v_div_scale_f32 v139, vcc_lo, 1.0, v129, 1.0
	v_rcp_f32_e32 v132, v128
	v_nop
	s_delay_alu instid0(TRANS32_DEP_1) | instskip(NEXT) | instid1(VALU_DEP_1)
	v_fma_f32 v133, -v128, v132, 1.0
	v_fmac_f32_e32 v132, v133, v132
	s_delay_alu instid0(VALU_DEP_1) | instskip(NEXT) | instid1(VALU_DEP_1)
	v_mul_f32_e32 v133, v139, v132
	v_fma_f32 v140, -v128, v133, v139
	s_delay_alu instid0(VALU_DEP_1) | instskip(NEXT) | instid1(VALU_DEP_1)
	v_fmac_f32_e32 v133, v140, v132
	v_fma_f32 v128, -v128, v133, v139
	s_delay_alu instid0(VALU_DEP_1) | instskip(NEXT) | instid1(VALU_DEP_1)
	v_div_fmas_f32 v128, v128, v132, v133
	v_div_fixup_f32 v129, v128, v129, 1.0
	s_delay_alu instid0(VALU_DEP_1)
	v_mul_f32_e32 v128, v131, v129
	v_xor_b32_e32 v129, 0x80000000, v129
.LBB120_1099:
	s_and_not1_saveexec_b32 s1, s1
	s_cbranch_execz .LBB120_1101
; %bb.1100:
	s_delay_alu instid0(VALU_DEP_1) | instskip(SKIP_1) | instid1(VALU_DEP_2)
	v_div_scale_f32 v131, null, v128, v128, v129
	v_div_scale_f32 v139, vcc_lo, v129, v128, v129
	v_rcp_f32_e32 v132, v131
	v_nop
	s_delay_alu instid0(TRANS32_DEP_1) | instskip(NEXT) | instid1(VALU_DEP_1)
	v_fma_f32 v133, -v131, v132, 1.0
	v_fmac_f32_e32 v132, v133, v132
	s_delay_alu instid0(VALU_DEP_1) | instskip(NEXT) | instid1(VALU_DEP_1)
	v_mul_f32_e32 v133, v139, v132
	v_fma_f32 v140, -v131, v133, v139
	s_delay_alu instid0(VALU_DEP_1) | instskip(NEXT) | instid1(VALU_DEP_1)
	v_fmac_f32_e32 v133, v140, v132
	v_fma_f32 v131, -v131, v133, v139
	s_delay_alu instid0(VALU_DEP_1) | instskip(NEXT) | instid1(VALU_DEP_1)
	v_div_fmas_f32 v131, v131, v132, v133
	v_div_fixup_f32 v131, v131, v128, v129
	s_delay_alu instid0(VALU_DEP_1) | instskip(NEXT) | instid1(VALU_DEP_1)
	v_fmac_f32_e32 v128, v129, v131
	v_div_scale_f32 v129, null, v128, v128, 1.0
	s_delay_alu instid0(VALU_DEP_1) | instskip(SKIP_1) | instid1(TRANS32_DEP_1)
	v_rcp_f32_e32 v132, v129
	v_nop
	v_fma_f32 v133, -v129, v132, 1.0
	s_delay_alu instid0(VALU_DEP_1) | instskip(SKIP_1) | instid1(VALU_DEP_1)
	v_fmac_f32_e32 v132, v133, v132
	v_div_scale_f32 v133, vcc_lo, 1.0, v128, 1.0
	v_mul_f32_e32 v139, v133, v132
	s_delay_alu instid0(VALU_DEP_1) | instskip(NEXT) | instid1(VALU_DEP_1)
	v_fma_f32 v140, -v129, v139, v133
	v_fmac_f32_e32 v139, v140, v132
	s_delay_alu instid0(VALU_DEP_1) | instskip(NEXT) | instid1(VALU_DEP_1)
	v_fma_f32 v129, -v129, v139, v133
	v_div_fmas_f32 v129, v129, v132, v139
	s_delay_alu instid0(VALU_DEP_1) | instskip(NEXT) | instid1(VALU_DEP_1)
	v_div_fixup_f32 v128, v129, v128, 1.0
	v_mul_f32_e64 v129, v131, -v128
.LBB120_1101:
	s_or_b32 exec_lo, exec_lo, s1
.LBB120_1102:
	s_delay_alu instid0(SALU_CYCLE_1) | instskip(NEXT) | instid1(SALU_CYCLE_1)
	s_or_b32 exec_lo, exec_lo, s0
	s_mov_b32 s0, exec_lo
	v_cmpx_ne_u32_e64 v138, v130
	s_xor_b32 s0, exec_lo, s0
	s_cbranch_execz .LBB120_1108
; %bb.1103:
	s_mov_b32 s1, exec_lo
	v_cmpx_eq_u32_e32 52, v138
	s_cbranch_execz .LBB120_1107
; %bb.1104:
	v_cmp_ne_u32_e32 vcc_lo, 52, v130
	s_xor_b32 s12, s16, -1
	s_delay_alu instid0(SALU_CYCLE_1) | instskip(NEXT) | instid1(SALU_CYCLE_1)
	s_and_b32 s13, s12, vcc_lo
	s_and_saveexec_b32 s12, s13
	s_cbranch_execz .LBB120_1106
; %bb.1105:
	v_ashrrev_i32_e32 v131, 31, v130
	s_delay_alu instid0(VALU_DEP_1)
	v_lshl_add_u64 v[132:133], v[130:131], 2, v[4:5]
	s_clause 0x1
	global_load_b32 v131, v[132:133], off
	global_load_b32 v137, v[4:5], off offset:208
	s_wait_loadcnt 0x1
	global_store_b32 v[4:5], v131, off offset:208
	s_wait_loadcnt 0x0
	global_store_b32 v[132:133], v137, off
.LBB120_1106:
	s_wait_xcnt 0x0
	s_or_b32 exec_lo, exec_lo, s12
	v_dual_mov_b32 v138, v130 :: v_dual_mov_b32 v137, v130
.LBB120_1107:
	s_or_b32 exec_lo, exec_lo, s1
.LBB120_1108:
	s_and_not1_saveexec_b32 s0, s0
	s_cbranch_execz .LBB120_1110
; %bb.1109:
	v_mov_b32_e32 v138, 52
	ds_store_2addr_b64 v135, v[12:13], v[14:15] offset0:53 offset1:54
	ds_store_2addr_b64 v135, v[10:11], v[6:7] offset0:55 offset1:56
	;; [unrolled: 1-line block ×4, first 2 shown]
.LBB120_1110:
	s_or_b32 exec_lo, exec_lo, s0
	s_delay_alu instid0(SALU_CYCLE_1)
	s_mov_b32 s0, exec_lo
	s_wait_storecnt_dscnt 0x0
	s_barrier_signal -1
	s_barrier_wait -1
	v_cmpx_lt_i32_e32 52, v138
	s_cbranch_execz .LBB120_1112
; %bb.1111:
	v_pk_mul_f32 v[130:131], v[128:129], v[16:17] op_sel:[1,1] op_sel_hi:[0,1]
	s_delay_alu instid0(VALU_DEP_1)
	v_pk_fma_f32 v[132:133], v[128:129], v[16:17], v[130:131] op_sel_hi:[1,0,1] neg_lo:[0,0,1] neg_hi:[0,0,1]
	v_pk_fma_f32 v[140:141], v[128:129], v[16:17], v[130:131] op_sel_hi:[1,0,1]
	ds_load_2addr_b64 v[128:131], v135 offset0:53 offset1:54
	v_dual_mov_b32 v16, v132 :: v_dual_mov_b32 v17, v141
	s_wait_dscnt 0x0
	v_pk_mul_f32 v[142:143], v[128:129], v[140:141] op_sel:[0,1]
	s_delay_alu instid0(VALU_DEP_1) | instskip(SKIP_1) | instid1(VALU_DEP_1)
	v_pk_fma_f32 v[144:145], v[128:129], v[132:133], v[142:143] op_sel:[0,0,1] op_sel_hi:[1,1,0] neg_lo:[0,0,1] neg_hi:[0,0,1]
	v_pk_fma_f32 v[128:129], v[128:129], v[132:133], v[142:143] op_sel:[0,0,1] op_sel_hi:[1,0,0]
	v_mov_b32_e32 v145, v129
	v_pk_mul_f32 v[128:129], v[130:131], v[140:141] op_sel:[0,1]
	s_delay_alu instid0(VALU_DEP_1) | instskip(SKIP_1) | instid1(VALU_DEP_1)
	v_pk_fma_f32 v[142:143], v[130:131], v[132:133], v[128:129] op_sel:[0,0,1] op_sel_hi:[1,1,0] neg_lo:[0,0,1] neg_hi:[0,0,1]
	v_pk_fma_f32 v[128:129], v[130:131], v[132:133], v[128:129] op_sel:[0,0,1] op_sel_hi:[1,0,0]
	v_mov_b32_e32 v143, v129
	ds_load_2addr_b64 v[128:131], v135 offset0:55 offset1:56
	v_pk_add_f32 v[12:13], v[12:13], v[144:145] neg_lo:[0,1] neg_hi:[0,1]
	v_pk_add_f32 v[14:15], v[14:15], v[142:143] neg_lo:[0,1] neg_hi:[0,1]
	s_wait_dscnt 0x0
	v_pk_mul_f32 v[142:143], v[128:129], v[140:141] op_sel:[0,1]
	s_delay_alu instid0(VALU_DEP_1) | instskip(SKIP_2) | instid1(VALU_DEP_2)
	v_pk_fma_f32 v[144:145], v[128:129], v[132:133], v[142:143] op_sel:[0,0,1] op_sel_hi:[1,1,0] neg_lo:[0,0,1] neg_hi:[0,0,1]
	v_pk_fma_f32 v[128:129], v[128:129], v[132:133], v[142:143] op_sel:[0,0,1] op_sel_hi:[1,0,0]
	v_dual_mul_f32 v142, v131, v141 :: v_dual_mov_b32 v128, v131
	v_dual_mov_b32 v145, v129 :: v_dual_mov_b32 v129, v130
	s_delay_alu instid0(VALU_DEP_2) | instskip(SKIP_1) | instid1(VALU_DEP_3)
	v_pk_fma_f32 v[142:143], v[130:131], v[16:17], v[142:143] op_sel_hi:[1,1,0] neg_lo:[0,0,1] neg_hi:[0,0,1]
	v_mul_f32_e32 v130, v131, v132
	v_pk_add_f32 v[10:11], v[10:11], v[144:145] neg_lo:[0,1] neg_hi:[0,1]
	s_delay_alu instid0(VALU_DEP_2) | instskip(NEXT) | instid1(VALU_DEP_1)
	v_pk_fma_f32 v[128:129], v[128:129], v[16:17], v[130:131] op_sel_hi:[1,1,0]
	v_mov_b32_e32 v143, v129
	ds_load_2addr_b64 v[128:131], v135 offset0:57 offset1:58
	v_pk_add_f32 v[6:7], v[6:7], v[142:143] neg_lo:[0,1] neg_hi:[0,1]
	s_wait_dscnt 0x0
	v_pk_mul_f32 v[142:143], v[128:129], v[140:141] op_sel:[0,1]
	s_delay_alu instid0(VALU_DEP_1) | instskip(SKIP_1) | instid1(VALU_DEP_1)
	v_pk_fma_f32 v[144:145], v[128:129], v[132:133], v[142:143] op_sel:[0,0,1] op_sel_hi:[1,1,0] neg_lo:[0,0,1] neg_hi:[0,0,1]
	v_pk_fma_f32 v[128:129], v[128:129], v[132:133], v[142:143] op_sel:[0,0,1] op_sel_hi:[1,0,0]
	v_mov_b32_e32 v145, v129
	v_pk_mul_f32 v[128:129], v[130:131], v[140:141] op_sel:[0,1]
	s_delay_alu instid0(VALU_DEP_1) | instskip(SKIP_1) | instid1(VALU_DEP_1)
	v_pk_fma_f32 v[142:143], v[130:131], v[132:133], v[128:129] op_sel:[0,0,1] op_sel_hi:[1,1,0] neg_lo:[0,0,1] neg_hi:[0,0,1]
	v_pk_fma_f32 v[128:129], v[130:131], v[132:133], v[128:129] op_sel:[0,0,1] op_sel_hi:[1,0,0]
	v_mov_b32_e32 v143, v129
	ds_load_2addr_b64 v[128:131], v135 offset0:59 offset1:60
	v_pk_add_f32 v[20:21], v[20:21], v[144:145] neg_lo:[0,1] neg_hi:[0,1]
	v_pk_add_f32 v[18:19], v[18:19], v[142:143] neg_lo:[0,1] neg_hi:[0,1]
	s_wait_dscnt 0x0
	v_pk_mul_f32 v[142:143], v[128:129], v[140:141] op_sel:[0,1]
	s_delay_alu instid0(VALU_DEP_1) | instskip(SKIP_1) | instid1(VALU_DEP_1)
	v_pk_fma_f32 v[144:145], v[128:129], v[132:133], v[142:143] op_sel:[0,0,1] op_sel_hi:[1,1,0] neg_lo:[0,0,1] neg_hi:[0,0,1]
	v_pk_fma_f32 v[128:129], v[128:129], v[132:133], v[142:143] op_sel:[0,0,1] op_sel_hi:[1,0,0]
	v_mov_b32_e32 v145, v129
	v_pk_mul_f32 v[128:129], v[130:131], v[140:141] op_sel:[0,1]
	s_delay_alu instid0(VALU_DEP_1) | instskip(SKIP_1) | instid1(VALU_DEP_1)
	v_pk_fma_f32 v[140:141], v[130:131], v[132:133], v[128:129] op_sel:[0,0,1] op_sel_hi:[1,1,0] neg_lo:[0,0,1] neg_hi:[0,0,1]
	v_pk_fma_f32 v[128:129], v[130:131], v[132:133], v[128:129] op_sel:[0,0,1] op_sel_hi:[1,0,0]
	v_mov_b32_e32 v141, v129
	v_pk_add_f32 v[8:9], v[8:9], v[144:145] neg_lo:[0,1] neg_hi:[0,1]
	s_delay_alu instid0(VALU_DEP_2)
	v_pk_add_f32 v[126:127], v[126:127], v[140:141] neg_lo:[0,1] neg_hi:[0,1]
.LBB120_1112:
	s_or_b32 exec_lo, exec_lo, s0
	v_lshl_add_u32 v128, v138, 3, v135
	s_barrier_signal -1
	s_barrier_wait -1
	ds_store_b64 v128, v[12:13]
	s_wait_dscnt 0x0
	s_barrier_signal -1
	s_barrier_wait -1
	ds_load_b64 v[128:129], v135 offset:424
	v_mov_b32_e32 v130, 53
	s_cmp_lt_i32 s18, 55
	s_cbranch_scc1 .LBB120_1115
; %bb.1113:
	v_add3_u32 v131, v136, 0, 0x1b0
	v_mov_b32_e32 v130, 53
	s_mov_b32 s0, 54
.LBB120_1114:                           ; =>This Inner Loop Header: Depth=1
	ds_load_b64 v[132:133], v131
	s_wait_dscnt 0x1
	v_cmp_gt_f32_e32 vcc_lo, 0, v128
	v_cndmask_b32_e64 v140, v128, -v128, vcc_lo
	v_cmp_gt_f32_e32 vcc_lo, 0, v129
	v_cndmask_b32_e64 v142, v129, -v129, vcc_lo
	s_wait_dscnt 0x0
	v_cmp_gt_f32_e32 vcc_lo, 0, v132
	v_cndmask_b32_e64 v141, v132, -v132, vcc_lo
	v_cmp_gt_f32_e32 vcc_lo, 0, v133
	v_cndmask_b32_e64 v143, v133, -v133, vcc_lo
	s_delay_alu instid0(VALU_DEP_1) | instskip(NEXT) | instid1(VALU_DEP_1)
	v_pk_add_f32 v[140:141], v[140:141], v[142:143]
	v_cmp_lt_f32_e32 vcc_lo, v140, v141
	v_dual_add_nc_u32 v131, 8, v131 :: v_dual_cndmask_b32 v129, v129, v133, vcc_lo
	v_cndmask_b32_e32 v128, v128, v132, vcc_lo
	v_cndmask_b32_e64 v130, v130, s0, vcc_lo
	s_add_co_i32 s0, s0, 1
	s_delay_alu instid0(SALU_CYCLE_1)
	s_cmp_lg_u32 s18, s0
	s_cbranch_scc1 .LBB120_1114
.LBB120_1115:
	s_wait_dscnt 0x0
	v_cmp_eq_f32_e32 vcc_lo, 0, v128
	v_cmp_eq_f32_e64 s0, 0, v129
	s_and_b32 s0, vcc_lo, s0
	s_delay_alu instid0(SALU_CYCLE_1) | instskip(NEXT) | instid1(SALU_CYCLE_1)
	s_and_saveexec_b32 s1, s0
	s_xor_b32 s0, exec_lo, s1
; %bb.1116:
	v_cmp_ne_u32_e32 vcc_lo, 0, v134
	v_cndmask_b32_e32 v134, 54, v134, vcc_lo
; %bb.1117:
	s_and_not1_saveexec_b32 s0, s0
	s_cbranch_execz .LBB120_1123
; %bb.1118:
	v_cmp_ngt_f32_e64 s1, |v128|, |v129|
	s_and_saveexec_b32 s12, s1
	s_delay_alu instid0(SALU_CYCLE_1)
	s_xor_b32 s1, exec_lo, s12
	s_cbranch_execz .LBB120_1120
; %bb.1119:
	v_div_scale_f32 v131, null, v129, v129, v128
	v_div_scale_f32 v139, vcc_lo, v128, v129, v128
	s_delay_alu instid0(VALU_DEP_2) | instskip(SKIP_1) | instid1(TRANS32_DEP_1)
	v_rcp_f32_e32 v132, v131
	v_nop
	v_fma_f32 v133, -v131, v132, 1.0
	s_delay_alu instid0(VALU_DEP_1) | instskip(NEXT) | instid1(VALU_DEP_1)
	v_fmac_f32_e32 v132, v133, v132
	v_mul_f32_e32 v133, v139, v132
	s_delay_alu instid0(VALU_DEP_1) | instskip(NEXT) | instid1(VALU_DEP_1)
	v_fma_f32 v140, -v131, v133, v139
	v_fmac_f32_e32 v133, v140, v132
	s_delay_alu instid0(VALU_DEP_1) | instskip(NEXT) | instid1(VALU_DEP_1)
	v_fma_f32 v131, -v131, v133, v139
	v_div_fmas_f32 v131, v131, v132, v133
	s_delay_alu instid0(VALU_DEP_1) | instskip(NEXT) | instid1(VALU_DEP_1)
	v_div_fixup_f32 v131, v131, v129, v128
	v_fmac_f32_e32 v129, v128, v131
	s_delay_alu instid0(VALU_DEP_1) | instskip(SKIP_1) | instid1(VALU_DEP_2)
	v_div_scale_f32 v128, null, v129, v129, 1.0
	v_div_scale_f32 v139, vcc_lo, 1.0, v129, 1.0
	v_rcp_f32_e32 v132, v128
	v_nop
	s_delay_alu instid0(TRANS32_DEP_1) | instskip(NEXT) | instid1(VALU_DEP_1)
	v_fma_f32 v133, -v128, v132, 1.0
	v_fmac_f32_e32 v132, v133, v132
	s_delay_alu instid0(VALU_DEP_1) | instskip(NEXT) | instid1(VALU_DEP_1)
	v_mul_f32_e32 v133, v139, v132
	v_fma_f32 v140, -v128, v133, v139
	s_delay_alu instid0(VALU_DEP_1) | instskip(NEXT) | instid1(VALU_DEP_1)
	v_fmac_f32_e32 v133, v140, v132
	v_fma_f32 v128, -v128, v133, v139
	s_delay_alu instid0(VALU_DEP_1) | instskip(NEXT) | instid1(VALU_DEP_1)
	v_div_fmas_f32 v128, v128, v132, v133
	v_div_fixup_f32 v129, v128, v129, 1.0
	s_delay_alu instid0(VALU_DEP_1)
	v_mul_f32_e32 v128, v131, v129
	v_xor_b32_e32 v129, 0x80000000, v129
.LBB120_1120:
	s_and_not1_saveexec_b32 s1, s1
	s_cbranch_execz .LBB120_1122
; %bb.1121:
	s_delay_alu instid0(VALU_DEP_1) | instskip(SKIP_1) | instid1(VALU_DEP_2)
	v_div_scale_f32 v131, null, v128, v128, v129
	v_div_scale_f32 v139, vcc_lo, v129, v128, v129
	v_rcp_f32_e32 v132, v131
	v_nop
	s_delay_alu instid0(TRANS32_DEP_1) | instskip(NEXT) | instid1(VALU_DEP_1)
	v_fma_f32 v133, -v131, v132, 1.0
	v_fmac_f32_e32 v132, v133, v132
	s_delay_alu instid0(VALU_DEP_1) | instskip(NEXT) | instid1(VALU_DEP_1)
	v_mul_f32_e32 v133, v139, v132
	v_fma_f32 v140, -v131, v133, v139
	s_delay_alu instid0(VALU_DEP_1) | instskip(NEXT) | instid1(VALU_DEP_1)
	v_fmac_f32_e32 v133, v140, v132
	v_fma_f32 v131, -v131, v133, v139
	s_delay_alu instid0(VALU_DEP_1) | instskip(NEXT) | instid1(VALU_DEP_1)
	v_div_fmas_f32 v131, v131, v132, v133
	v_div_fixup_f32 v131, v131, v128, v129
	s_delay_alu instid0(VALU_DEP_1) | instskip(NEXT) | instid1(VALU_DEP_1)
	v_fmac_f32_e32 v128, v129, v131
	v_div_scale_f32 v129, null, v128, v128, 1.0
	s_delay_alu instid0(VALU_DEP_1) | instskip(SKIP_1) | instid1(TRANS32_DEP_1)
	v_rcp_f32_e32 v132, v129
	v_nop
	v_fma_f32 v133, -v129, v132, 1.0
	s_delay_alu instid0(VALU_DEP_1) | instskip(SKIP_1) | instid1(VALU_DEP_1)
	v_fmac_f32_e32 v132, v133, v132
	v_div_scale_f32 v133, vcc_lo, 1.0, v128, 1.0
	v_mul_f32_e32 v139, v133, v132
	s_delay_alu instid0(VALU_DEP_1) | instskip(NEXT) | instid1(VALU_DEP_1)
	v_fma_f32 v140, -v129, v139, v133
	v_fmac_f32_e32 v139, v140, v132
	s_delay_alu instid0(VALU_DEP_1) | instskip(NEXT) | instid1(VALU_DEP_1)
	v_fma_f32 v129, -v129, v139, v133
	v_div_fmas_f32 v129, v129, v132, v139
	s_delay_alu instid0(VALU_DEP_1) | instskip(NEXT) | instid1(VALU_DEP_1)
	v_div_fixup_f32 v128, v129, v128, 1.0
	v_mul_f32_e64 v129, v131, -v128
.LBB120_1122:
	s_or_b32 exec_lo, exec_lo, s1
.LBB120_1123:
	s_delay_alu instid0(SALU_CYCLE_1) | instskip(NEXT) | instid1(SALU_CYCLE_1)
	s_or_b32 exec_lo, exec_lo, s0
	s_mov_b32 s0, exec_lo
	v_cmpx_ne_u32_e64 v138, v130
	s_xor_b32 s0, exec_lo, s0
	s_cbranch_execz .LBB120_1129
; %bb.1124:
	s_mov_b32 s1, exec_lo
	v_cmpx_eq_u32_e32 53, v138
	s_cbranch_execz .LBB120_1128
; %bb.1125:
	v_cmp_ne_u32_e32 vcc_lo, 53, v130
	s_xor_b32 s12, s16, -1
	s_delay_alu instid0(SALU_CYCLE_1) | instskip(NEXT) | instid1(SALU_CYCLE_1)
	s_and_b32 s13, s12, vcc_lo
	s_and_saveexec_b32 s12, s13
	s_cbranch_execz .LBB120_1127
; %bb.1126:
	v_ashrrev_i32_e32 v131, 31, v130
	s_delay_alu instid0(VALU_DEP_1)
	v_lshl_add_u64 v[132:133], v[130:131], 2, v[4:5]
	s_clause 0x1
	global_load_b32 v131, v[132:133], off
	global_load_b32 v137, v[4:5], off offset:212
	s_wait_loadcnt 0x1
	global_store_b32 v[4:5], v131, off offset:212
	s_wait_loadcnt 0x0
	global_store_b32 v[132:133], v137, off
.LBB120_1127:
	s_wait_xcnt 0x0
	s_or_b32 exec_lo, exec_lo, s12
	v_dual_mov_b32 v138, v130 :: v_dual_mov_b32 v137, v130
.LBB120_1128:
	s_or_b32 exec_lo, exec_lo, s1
.LBB120_1129:
	s_and_not1_saveexec_b32 s0, s0
	s_cbranch_execz .LBB120_1131
; %bb.1130:
	v_dual_mov_b32 v130, v14 :: v_dual_mov_b32 v131, v15
	v_dual_mov_b32 v132, v10 :: v_dual_mov_b32 v133, v11
	;; [unrolled: 1-line block ×6, first 2 shown]
	v_mov_b32_e32 v147, v9
	ds_store_2addr_b64 v135, v[130:131], v[132:133] offset0:54 offset1:55
	ds_store_2addr_b64 v135, v[140:141], v[142:143] offset0:56 offset1:57
	ds_store_2addr_b64 v135, v[144:145], v[146:147] offset0:58 offset1:59
	ds_store_b64 v135, v[126:127] offset:480
.LBB120_1131:
	s_or_b32 exec_lo, exec_lo, s0
	s_delay_alu instid0(SALU_CYCLE_1)
	s_mov_b32 s0, exec_lo
	s_wait_storecnt_dscnt 0x0
	s_barrier_signal -1
	s_barrier_wait -1
	v_cmpx_lt_i32_e32 53, v138
	s_cbranch_execz .LBB120_1133
; %bb.1132:
	v_pk_mul_f32 v[130:131], v[128:129], v[12:13] op_sel:[1,1] op_sel_hi:[0,1]
	s_delay_alu instid0(VALU_DEP_1)
	v_pk_fma_f32 v[132:133], v[128:129], v[12:13], v[130:131] op_sel_hi:[1,0,1] neg_lo:[0,0,1] neg_hi:[0,0,1]
	v_pk_fma_f32 v[140:141], v[128:129], v[12:13], v[130:131] op_sel_hi:[1,0,1]
	ds_load_2addr_b64 v[128:131], v135 offset0:54 offset1:55
	v_dual_mov_b32 v12, v132 :: v_dual_mov_b32 v13, v141
	s_wait_dscnt 0x0
	v_pk_mul_f32 v[142:143], v[128:129], v[140:141] op_sel:[0,1]
	s_delay_alu instid0(VALU_DEP_1) | instskip(SKIP_1) | instid1(VALU_DEP_1)
	v_pk_fma_f32 v[144:145], v[128:129], v[132:133], v[142:143] op_sel:[0,0,1] op_sel_hi:[1,1,0] neg_lo:[0,0,1] neg_hi:[0,0,1]
	v_pk_fma_f32 v[128:129], v[128:129], v[132:133], v[142:143] op_sel:[0,0,1] op_sel_hi:[1,0,0]
	v_mov_b32_e32 v145, v129
	v_pk_mul_f32 v[128:129], v[130:131], v[140:141] op_sel:[0,1]
	s_delay_alu instid0(VALU_DEP_1) | instskip(SKIP_1) | instid1(VALU_DEP_1)
	v_pk_fma_f32 v[142:143], v[130:131], v[132:133], v[128:129] op_sel:[0,0,1] op_sel_hi:[1,1,0] neg_lo:[0,0,1] neg_hi:[0,0,1]
	v_pk_fma_f32 v[128:129], v[130:131], v[132:133], v[128:129] op_sel:[0,0,1] op_sel_hi:[1,0,0]
	v_mov_b32_e32 v143, v129
	ds_load_2addr_b64 v[128:131], v135 offset0:56 offset1:57
	v_pk_add_f32 v[14:15], v[14:15], v[144:145] neg_lo:[0,1] neg_hi:[0,1]
	v_pk_add_f32 v[10:11], v[10:11], v[142:143] neg_lo:[0,1] neg_hi:[0,1]
	s_wait_dscnt 0x0
	v_pk_mul_f32 v[142:143], v[128:129], v[140:141] op_sel:[0,1]
	s_delay_alu instid0(VALU_DEP_1) | instskip(SKIP_2) | instid1(VALU_DEP_2)
	v_pk_fma_f32 v[144:145], v[128:129], v[132:133], v[142:143] op_sel:[0,0,1] op_sel_hi:[1,1,0] neg_lo:[0,0,1] neg_hi:[0,0,1]
	v_pk_fma_f32 v[128:129], v[128:129], v[132:133], v[142:143] op_sel:[0,0,1] op_sel_hi:[1,0,0]
	v_dual_mul_f32 v142, v131, v141 :: v_dual_mov_b32 v128, v131
	v_dual_mov_b32 v145, v129 :: v_dual_mov_b32 v129, v130
	s_delay_alu instid0(VALU_DEP_2) | instskip(SKIP_1) | instid1(VALU_DEP_3)
	v_pk_fma_f32 v[142:143], v[130:131], v[12:13], v[142:143] op_sel_hi:[1,1,0] neg_lo:[0,0,1] neg_hi:[0,0,1]
	v_mul_f32_e32 v130, v131, v132
	v_pk_add_f32 v[6:7], v[6:7], v[144:145] neg_lo:[0,1] neg_hi:[0,1]
	s_delay_alu instid0(VALU_DEP_2) | instskip(NEXT) | instid1(VALU_DEP_1)
	v_pk_fma_f32 v[128:129], v[128:129], v[12:13], v[130:131] op_sel_hi:[1,1,0]
	v_mov_b32_e32 v143, v129
	ds_load_2addr_b64 v[128:131], v135 offset0:58 offset1:59
	v_pk_add_f32 v[20:21], v[20:21], v[142:143] neg_lo:[0,1] neg_hi:[0,1]
	s_wait_dscnt 0x0
	v_pk_mul_f32 v[142:143], v[128:129], v[140:141] op_sel:[0,1]
	s_delay_alu instid0(VALU_DEP_1) | instskip(SKIP_1) | instid1(VALU_DEP_1)
	v_pk_fma_f32 v[144:145], v[128:129], v[132:133], v[142:143] op_sel:[0,0,1] op_sel_hi:[1,1,0] neg_lo:[0,0,1] neg_hi:[0,0,1]
	v_pk_fma_f32 v[128:129], v[128:129], v[132:133], v[142:143] op_sel:[0,0,1] op_sel_hi:[1,0,0]
	v_mov_b32_e32 v145, v129
	v_pk_mul_f32 v[128:129], v[130:131], v[140:141] op_sel:[0,1]
	s_delay_alu instid0(VALU_DEP_1) | instskip(SKIP_1) | instid1(VALU_DEP_1)
	v_pk_fma_f32 v[142:143], v[130:131], v[132:133], v[128:129] op_sel:[0,0,1] op_sel_hi:[1,1,0] neg_lo:[0,0,1] neg_hi:[0,0,1]
	v_pk_fma_f32 v[128:129], v[130:131], v[132:133], v[128:129] op_sel:[0,0,1] op_sel_hi:[1,0,0]
	v_mov_b32_e32 v143, v129
	ds_load_b64 v[128:129], v135 offset:480
	v_pk_add_f32 v[18:19], v[18:19], v[144:145] neg_lo:[0,1] neg_hi:[0,1]
	v_pk_add_f32 v[8:9], v[8:9], v[142:143] neg_lo:[0,1] neg_hi:[0,1]
	s_wait_dscnt 0x0
	v_pk_mul_f32 v[130:131], v[128:129], v[140:141] op_sel:[0,1]
	s_delay_alu instid0(VALU_DEP_1) | instskip(SKIP_1) | instid1(VALU_DEP_1)
	v_pk_fma_f32 v[140:141], v[128:129], v[132:133], v[130:131] op_sel:[0,0,1] op_sel_hi:[1,1,0] neg_lo:[0,0,1] neg_hi:[0,0,1]
	v_pk_fma_f32 v[128:129], v[128:129], v[132:133], v[130:131] op_sel:[0,0,1] op_sel_hi:[1,0,0]
	v_mov_b32_e32 v141, v129
	s_delay_alu instid0(VALU_DEP_1)
	v_pk_add_f32 v[126:127], v[126:127], v[140:141] neg_lo:[0,1] neg_hi:[0,1]
.LBB120_1133:
	s_or_b32 exec_lo, exec_lo, s0
	v_lshl_add_u32 v128, v138, 3, v135
	s_barrier_signal -1
	s_barrier_wait -1
	ds_store_b64 v128, v[14:15]
	s_wait_dscnt 0x0
	s_barrier_signal -1
	s_barrier_wait -1
	ds_load_b64 v[128:129], v135 offset:432
	v_mov_b32_e32 v130, 54
	s_cmp_lt_i32 s18, 56
	s_cbranch_scc1 .LBB120_1136
; %bb.1134:
	v_add3_u32 v131, v136, 0, 0x1b8
	v_mov_b32_e32 v130, 54
	s_mov_b32 s0, 55
.LBB120_1135:                           ; =>This Inner Loop Header: Depth=1
	ds_load_b64 v[132:133], v131
	s_wait_dscnt 0x1
	v_cmp_gt_f32_e32 vcc_lo, 0, v128
	v_cndmask_b32_e64 v140, v128, -v128, vcc_lo
	v_cmp_gt_f32_e32 vcc_lo, 0, v129
	v_cndmask_b32_e64 v142, v129, -v129, vcc_lo
	s_wait_dscnt 0x0
	v_cmp_gt_f32_e32 vcc_lo, 0, v132
	v_cndmask_b32_e64 v141, v132, -v132, vcc_lo
	v_cmp_gt_f32_e32 vcc_lo, 0, v133
	v_cndmask_b32_e64 v143, v133, -v133, vcc_lo
	s_delay_alu instid0(VALU_DEP_1) | instskip(NEXT) | instid1(VALU_DEP_1)
	v_pk_add_f32 v[140:141], v[140:141], v[142:143]
	v_cmp_lt_f32_e32 vcc_lo, v140, v141
	v_dual_add_nc_u32 v131, 8, v131 :: v_dual_cndmask_b32 v129, v129, v133, vcc_lo
	v_cndmask_b32_e32 v128, v128, v132, vcc_lo
	v_cndmask_b32_e64 v130, v130, s0, vcc_lo
	s_add_co_i32 s0, s0, 1
	s_delay_alu instid0(SALU_CYCLE_1)
	s_cmp_lg_u32 s18, s0
	s_cbranch_scc1 .LBB120_1135
.LBB120_1136:
	s_wait_dscnt 0x0
	v_cmp_eq_f32_e32 vcc_lo, 0, v128
	v_cmp_eq_f32_e64 s0, 0, v129
	s_and_b32 s0, vcc_lo, s0
	s_delay_alu instid0(SALU_CYCLE_1) | instskip(NEXT) | instid1(SALU_CYCLE_1)
	s_and_saveexec_b32 s1, s0
	s_xor_b32 s0, exec_lo, s1
; %bb.1137:
	v_cmp_ne_u32_e32 vcc_lo, 0, v134
	v_cndmask_b32_e32 v134, 55, v134, vcc_lo
; %bb.1138:
	s_and_not1_saveexec_b32 s0, s0
	s_cbranch_execz .LBB120_1144
; %bb.1139:
	v_cmp_ngt_f32_e64 s1, |v128|, |v129|
	s_and_saveexec_b32 s12, s1
	s_delay_alu instid0(SALU_CYCLE_1)
	s_xor_b32 s1, exec_lo, s12
	s_cbranch_execz .LBB120_1141
; %bb.1140:
	v_div_scale_f32 v131, null, v129, v129, v128
	v_div_scale_f32 v139, vcc_lo, v128, v129, v128
	s_delay_alu instid0(VALU_DEP_2) | instskip(SKIP_1) | instid1(TRANS32_DEP_1)
	v_rcp_f32_e32 v132, v131
	v_nop
	v_fma_f32 v133, -v131, v132, 1.0
	s_delay_alu instid0(VALU_DEP_1) | instskip(NEXT) | instid1(VALU_DEP_1)
	v_fmac_f32_e32 v132, v133, v132
	v_mul_f32_e32 v133, v139, v132
	s_delay_alu instid0(VALU_DEP_1) | instskip(NEXT) | instid1(VALU_DEP_1)
	v_fma_f32 v140, -v131, v133, v139
	v_fmac_f32_e32 v133, v140, v132
	s_delay_alu instid0(VALU_DEP_1) | instskip(NEXT) | instid1(VALU_DEP_1)
	v_fma_f32 v131, -v131, v133, v139
	v_div_fmas_f32 v131, v131, v132, v133
	s_delay_alu instid0(VALU_DEP_1) | instskip(NEXT) | instid1(VALU_DEP_1)
	v_div_fixup_f32 v131, v131, v129, v128
	v_fmac_f32_e32 v129, v128, v131
	s_delay_alu instid0(VALU_DEP_1) | instskip(SKIP_1) | instid1(VALU_DEP_2)
	v_div_scale_f32 v128, null, v129, v129, 1.0
	v_div_scale_f32 v139, vcc_lo, 1.0, v129, 1.0
	v_rcp_f32_e32 v132, v128
	v_nop
	s_delay_alu instid0(TRANS32_DEP_1) | instskip(NEXT) | instid1(VALU_DEP_1)
	v_fma_f32 v133, -v128, v132, 1.0
	v_fmac_f32_e32 v132, v133, v132
	s_delay_alu instid0(VALU_DEP_1) | instskip(NEXT) | instid1(VALU_DEP_1)
	v_mul_f32_e32 v133, v139, v132
	v_fma_f32 v140, -v128, v133, v139
	s_delay_alu instid0(VALU_DEP_1) | instskip(NEXT) | instid1(VALU_DEP_1)
	v_fmac_f32_e32 v133, v140, v132
	v_fma_f32 v128, -v128, v133, v139
	s_delay_alu instid0(VALU_DEP_1) | instskip(NEXT) | instid1(VALU_DEP_1)
	v_div_fmas_f32 v128, v128, v132, v133
	v_div_fixup_f32 v129, v128, v129, 1.0
	s_delay_alu instid0(VALU_DEP_1)
	v_mul_f32_e32 v128, v131, v129
	v_xor_b32_e32 v129, 0x80000000, v129
.LBB120_1141:
	s_and_not1_saveexec_b32 s1, s1
	s_cbranch_execz .LBB120_1143
; %bb.1142:
	s_delay_alu instid0(VALU_DEP_1) | instskip(SKIP_1) | instid1(VALU_DEP_2)
	v_div_scale_f32 v131, null, v128, v128, v129
	v_div_scale_f32 v139, vcc_lo, v129, v128, v129
	v_rcp_f32_e32 v132, v131
	v_nop
	s_delay_alu instid0(TRANS32_DEP_1) | instskip(NEXT) | instid1(VALU_DEP_1)
	v_fma_f32 v133, -v131, v132, 1.0
	v_fmac_f32_e32 v132, v133, v132
	s_delay_alu instid0(VALU_DEP_1) | instskip(NEXT) | instid1(VALU_DEP_1)
	v_mul_f32_e32 v133, v139, v132
	v_fma_f32 v140, -v131, v133, v139
	s_delay_alu instid0(VALU_DEP_1) | instskip(NEXT) | instid1(VALU_DEP_1)
	v_fmac_f32_e32 v133, v140, v132
	v_fma_f32 v131, -v131, v133, v139
	s_delay_alu instid0(VALU_DEP_1) | instskip(NEXT) | instid1(VALU_DEP_1)
	v_div_fmas_f32 v131, v131, v132, v133
	v_div_fixup_f32 v131, v131, v128, v129
	s_delay_alu instid0(VALU_DEP_1) | instskip(NEXT) | instid1(VALU_DEP_1)
	v_fmac_f32_e32 v128, v129, v131
	v_div_scale_f32 v129, null, v128, v128, 1.0
	s_delay_alu instid0(VALU_DEP_1) | instskip(SKIP_1) | instid1(TRANS32_DEP_1)
	v_rcp_f32_e32 v132, v129
	v_nop
	v_fma_f32 v133, -v129, v132, 1.0
	s_delay_alu instid0(VALU_DEP_1) | instskip(SKIP_1) | instid1(VALU_DEP_1)
	v_fmac_f32_e32 v132, v133, v132
	v_div_scale_f32 v133, vcc_lo, 1.0, v128, 1.0
	v_mul_f32_e32 v139, v133, v132
	s_delay_alu instid0(VALU_DEP_1) | instskip(NEXT) | instid1(VALU_DEP_1)
	v_fma_f32 v140, -v129, v139, v133
	v_fmac_f32_e32 v139, v140, v132
	s_delay_alu instid0(VALU_DEP_1) | instskip(NEXT) | instid1(VALU_DEP_1)
	v_fma_f32 v129, -v129, v139, v133
	v_div_fmas_f32 v129, v129, v132, v139
	s_delay_alu instid0(VALU_DEP_1) | instskip(NEXT) | instid1(VALU_DEP_1)
	v_div_fixup_f32 v128, v129, v128, 1.0
	v_mul_f32_e64 v129, v131, -v128
.LBB120_1143:
	s_or_b32 exec_lo, exec_lo, s1
.LBB120_1144:
	s_delay_alu instid0(SALU_CYCLE_1) | instskip(NEXT) | instid1(SALU_CYCLE_1)
	s_or_b32 exec_lo, exec_lo, s0
	s_mov_b32 s0, exec_lo
	v_cmpx_ne_u32_e64 v138, v130
	s_xor_b32 s0, exec_lo, s0
	s_cbranch_execz .LBB120_1150
; %bb.1145:
	s_mov_b32 s1, exec_lo
	v_cmpx_eq_u32_e32 54, v138
	s_cbranch_execz .LBB120_1149
; %bb.1146:
	v_cmp_ne_u32_e32 vcc_lo, 54, v130
	s_xor_b32 s12, s16, -1
	s_delay_alu instid0(SALU_CYCLE_1) | instskip(NEXT) | instid1(SALU_CYCLE_1)
	s_and_b32 s13, s12, vcc_lo
	s_and_saveexec_b32 s12, s13
	s_cbranch_execz .LBB120_1148
; %bb.1147:
	v_ashrrev_i32_e32 v131, 31, v130
	s_delay_alu instid0(VALU_DEP_1)
	v_lshl_add_u64 v[132:133], v[130:131], 2, v[4:5]
	s_clause 0x1
	global_load_b32 v131, v[132:133], off
	global_load_b32 v137, v[4:5], off offset:216
	s_wait_loadcnt 0x1
	global_store_b32 v[4:5], v131, off offset:216
	s_wait_loadcnt 0x0
	global_store_b32 v[132:133], v137, off
.LBB120_1148:
	s_wait_xcnt 0x0
	s_or_b32 exec_lo, exec_lo, s12
	v_dual_mov_b32 v138, v130 :: v_dual_mov_b32 v137, v130
.LBB120_1149:
	s_or_b32 exec_lo, exec_lo, s1
.LBB120_1150:
	s_and_not1_saveexec_b32 s0, s0
	s_cbranch_execz .LBB120_1152
; %bb.1151:
	v_mov_b32_e32 v138, 54
	ds_store_2addr_b64 v135, v[10:11], v[6:7] offset0:55 offset1:56
	ds_store_2addr_b64 v135, v[20:21], v[18:19] offset0:57 offset1:58
	ds_store_2addr_b64 v135, v[8:9], v[126:127] offset0:59 offset1:60
.LBB120_1152:
	s_or_b32 exec_lo, exec_lo, s0
	s_delay_alu instid0(SALU_CYCLE_1)
	s_mov_b32 s0, exec_lo
	s_wait_storecnt_dscnt 0x0
	s_barrier_signal -1
	s_barrier_wait -1
	v_cmpx_lt_i32_e32 54, v138
	s_cbranch_execz .LBB120_1154
; %bb.1153:
	v_pk_mul_f32 v[130:131], v[128:129], v[14:15] op_sel:[1,1] op_sel_hi:[0,1]
	s_delay_alu instid0(VALU_DEP_1)
	v_pk_fma_f32 v[132:133], v[128:129], v[14:15], v[130:131] op_sel_hi:[1,0,1] neg_lo:[0,0,1] neg_hi:[0,0,1]
	v_pk_fma_f32 v[140:141], v[128:129], v[14:15], v[130:131] op_sel_hi:[1,0,1]
	ds_load_2addr_b64 v[128:131], v135 offset0:55 offset1:56
	v_dual_mov_b32 v14, v132 :: v_dual_mov_b32 v15, v141
	s_wait_dscnt 0x0
	v_pk_mul_f32 v[142:143], v[128:129], v[140:141] op_sel:[0,1]
	s_delay_alu instid0(VALU_DEP_1) | instskip(SKIP_1) | instid1(VALU_DEP_1)
	v_pk_fma_f32 v[144:145], v[128:129], v[132:133], v[142:143] op_sel:[0,0,1] op_sel_hi:[1,1,0] neg_lo:[0,0,1] neg_hi:[0,0,1]
	v_pk_fma_f32 v[128:129], v[128:129], v[132:133], v[142:143] op_sel:[0,0,1] op_sel_hi:[1,0,0]
	v_mov_b32_e32 v145, v129
	v_pk_mul_f32 v[128:129], v[130:131], v[140:141] op_sel:[0,1]
	s_delay_alu instid0(VALU_DEP_1) | instskip(SKIP_1) | instid1(VALU_DEP_1)
	v_pk_fma_f32 v[142:143], v[130:131], v[132:133], v[128:129] op_sel:[0,0,1] op_sel_hi:[1,1,0] neg_lo:[0,0,1] neg_hi:[0,0,1]
	v_pk_fma_f32 v[128:129], v[130:131], v[132:133], v[128:129] op_sel:[0,0,1] op_sel_hi:[1,0,0]
	v_mov_b32_e32 v143, v129
	ds_load_2addr_b64 v[128:131], v135 offset0:57 offset1:58
	v_pk_add_f32 v[10:11], v[10:11], v[144:145] neg_lo:[0,1] neg_hi:[0,1]
	v_pk_add_f32 v[6:7], v[6:7], v[142:143] neg_lo:[0,1] neg_hi:[0,1]
	s_wait_dscnt 0x0
	v_pk_mul_f32 v[142:143], v[128:129], v[140:141] op_sel:[0,1]
	s_delay_alu instid0(VALU_DEP_1) | instskip(SKIP_2) | instid1(VALU_DEP_2)
	v_pk_fma_f32 v[144:145], v[128:129], v[132:133], v[142:143] op_sel:[0,0,1] op_sel_hi:[1,1,0] neg_lo:[0,0,1] neg_hi:[0,0,1]
	v_pk_fma_f32 v[128:129], v[128:129], v[132:133], v[142:143] op_sel:[0,0,1] op_sel_hi:[1,0,0]
	v_dual_mul_f32 v142, v131, v141 :: v_dual_mov_b32 v128, v131
	v_dual_mov_b32 v145, v129 :: v_dual_mov_b32 v129, v130
	s_delay_alu instid0(VALU_DEP_2) | instskip(SKIP_1) | instid1(VALU_DEP_3)
	v_pk_fma_f32 v[142:143], v[130:131], v[14:15], v[142:143] op_sel_hi:[1,1,0] neg_lo:[0,0,1] neg_hi:[0,0,1]
	v_mul_f32_e32 v130, v131, v132
	v_pk_add_f32 v[20:21], v[20:21], v[144:145] neg_lo:[0,1] neg_hi:[0,1]
	s_delay_alu instid0(VALU_DEP_2) | instskip(NEXT) | instid1(VALU_DEP_1)
	v_pk_fma_f32 v[128:129], v[128:129], v[14:15], v[130:131] op_sel_hi:[1,1,0]
	v_mov_b32_e32 v143, v129
	ds_load_2addr_b64 v[128:131], v135 offset0:59 offset1:60
	v_pk_add_f32 v[18:19], v[18:19], v[142:143] neg_lo:[0,1] neg_hi:[0,1]
	s_wait_dscnt 0x0
	v_pk_mul_f32 v[142:143], v[128:129], v[140:141] op_sel:[0,1]
	v_mul_f32_e32 v140, v131, v141
	s_delay_alu instid0(VALU_DEP_2) | instskip(SKIP_2) | instid1(VALU_DEP_4)
	v_pk_fma_f32 v[144:145], v[128:129], v[132:133], v[142:143] op_sel:[0,0,1] op_sel_hi:[1,1,0] neg_lo:[0,0,1] neg_hi:[0,0,1]
	v_pk_fma_f32 v[128:129], v[128:129], v[132:133], v[142:143] op_sel:[0,0,1] op_sel_hi:[1,0,0]
	v_mov_b32_e32 v128, v131
	v_pk_fma_f32 v[140:141], v[130:131], v[14:15], v[140:141] op_sel_hi:[1,1,0] neg_lo:[0,0,1] neg_hi:[0,0,1]
	s_delay_alu instid0(VALU_DEP_3) | instskip(SKIP_1) | instid1(VALU_DEP_2)
	v_dual_mov_b32 v145, v129 :: v_dual_mov_b32 v129, v130
	v_mul_f32_e32 v130, v131, v132
	v_pk_add_f32 v[8:9], v[8:9], v[144:145] neg_lo:[0,1] neg_hi:[0,1]
	s_delay_alu instid0(VALU_DEP_2) | instskip(NEXT) | instid1(VALU_DEP_1)
	v_pk_fma_f32 v[128:129], v[128:129], v[14:15], v[130:131] op_sel_hi:[1,1,0]
	v_mov_b32_e32 v141, v129
	s_delay_alu instid0(VALU_DEP_1)
	v_pk_add_f32 v[126:127], v[126:127], v[140:141] neg_lo:[0,1] neg_hi:[0,1]
.LBB120_1154:
	s_or_b32 exec_lo, exec_lo, s0
	v_lshl_add_u32 v128, v138, 3, v135
	s_barrier_signal -1
	s_barrier_wait -1
	ds_store_b64 v128, v[10:11]
	s_wait_dscnt 0x0
	s_barrier_signal -1
	s_barrier_wait -1
	ds_load_b64 v[128:129], v135 offset:440
	v_mov_b32_e32 v130, 55
	s_cmp_lt_i32 s18, 57
	s_cbranch_scc1 .LBB120_1157
; %bb.1155:
	v_add3_u32 v131, v136, 0, 0x1c0
	v_mov_b32_e32 v130, 55
	s_mov_b32 s0, 56
.LBB120_1156:                           ; =>This Inner Loop Header: Depth=1
	ds_load_b64 v[132:133], v131
	s_wait_dscnt 0x1
	v_cmp_gt_f32_e32 vcc_lo, 0, v128
	v_cndmask_b32_e64 v140, v128, -v128, vcc_lo
	v_cmp_gt_f32_e32 vcc_lo, 0, v129
	v_cndmask_b32_e64 v142, v129, -v129, vcc_lo
	s_wait_dscnt 0x0
	v_cmp_gt_f32_e32 vcc_lo, 0, v132
	v_cndmask_b32_e64 v141, v132, -v132, vcc_lo
	v_cmp_gt_f32_e32 vcc_lo, 0, v133
	v_cndmask_b32_e64 v143, v133, -v133, vcc_lo
	s_delay_alu instid0(VALU_DEP_1) | instskip(NEXT) | instid1(VALU_DEP_1)
	v_pk_add_f32 v[140:141], v[140:141], v[142:143]
	v_cmp_lt_f32_e32 vcc_lo, v140, v141
	v_dual_add_nc_u32 v131, 8, v131 :: v_dual_cndmask_b32 v129, v129, v133, vcc_lo
	v_cndmask_b32_e32 v128, v128, v132, vcc_lo
	v_cndmask_b32_e64 v130, v130, s0, vcc_lo
	s_add_co_i32 s0, s0, 1
	s_delay_alu instid0(SALU_CYCLE_1)
	s_cmp_lg_u32 s18, s0
	s_cbranch_scc1 .LBB120_1156
.LBB120_1157:
	s_wait_dscnt 0x0
	v_cmp_eq_f32_e32 vcc_lo, 0, v128
	v_cmp_eq_f32_e64 s0, 0, v129
	s_and_b32 s0, vcc_lo, s0
	s_delay_alu instid0(SALU_CYCLE_1) | instskip(NEXT) | instid1(SALU_CYCLE_1)
	s_and_saveexec_b32 s1, s0
	s_xor_b32 s0, exec_lo, s1
; %bb.1158:
	v_cmp_ne_u32_e32 vcc_lo, 0, v134
	v_cndmask_b32_e32 v134, 56, v134, vcc_lo
; %bb.1159:
	s_and_not1_saveexec_b32 s0, s0
	s_cbranch_execz .LBB120_1165
; %bb.1160:
	v_cmp_ngt_f32_e64 s1, |v128|, |v129|
	s_and_saveexec_b32 s12, s1
	s_delay_alu instid0(SALU_CYCLE_1)
	s_xor_b32 s1, exec_lo, s12
	s_cbranch_execz .LBB120_1162
; %bb.1161:
	v_div_scale_f32 v131, null, v129, v129, v128
	v_div_scale_f32 v139, vcc_lo, v128, v129, v128
	s_delay_alu instid0(VALU_DEP_2) | instskip(SKIP_1) | instid1(TRANS32_DEP_1)
	v_rcp_f32_e32 v132, v131
	v_nop
	v_fma_f32 v133, -v131, v132, 1.0
	s_delay_alu instid0(VALU_DEP_1) | instskip(NEXT) | instid1(VALU_DEP_1)
	v_fmac_f32_e32 v132, v133, v132
	v_mul_f32_e32 v133, v139, v132
	s_delay_alu instid0(VALU_DEP_1) | instskip(NEXT) | instid1(VALU_DEP_1)
	v_fma_f32 v140, -v131, v133, v139
	v_fmac_f32_e32 v133, v140, v132
	s_delay_alu instid0(VALU_DEP_1) | instskip(NEXT) | instid1(VALU_DEP_1)
	v_fma_f32 v131, -v131, v133, v139
	v_div_fmas_f32 v131, v131, v132, v133
	s_delay_alu instid0(VALU_DEP_1) | instskip(NEXT) | instid1(VALU_DEP_1)
	v_div_fixup_f32 v131, v131, v129, v128
	v_fmac_f32_e32 v129, v128, v131
	s_delay_alu instid0(VALU_DEP_1) | instskip(SKIP_1) | instid1(VALU_DEP_2)
	v_div_scale_f32 v128, null, v129, v129, 1.0
	v_div_scale_f32 v139, vcc_lo, 1.0, v129, 1.0
	v_rcp_f32_e32 v132, v128
	v_nop
	s_delay_alu instid0(TRANS32_DEP_1) | instskip(NEXT) | instid1(VALU_DEP_1)
	v_fma_f32 v133, -v128, v132, 1.0
	v_fmac_f32_e32 v132, v133, v132
	s_delay_alu instid0(VALU_DEP_1) | instskip(NEXT) | instid1(VALU_DEP_1)
	v_mul_f32_e32 v133, v139, v132
	v_fma_f32 v140, -v128, v133, v139
	s_delay_alu instid0(VALU_DEP_1) | instskip(NEXT) | instid1(VALU_DEP_1)
	v_fmac_f32_e32 v133, v140, v132
	v_fma_f32 v128, -v128, v133, v139
	s_delay_alu instid0(VALU_DEP_1) | instskip(NEXT) | instid1(VALU_DEP_1)
	v_div_fmas_f32 v128, v128, v132, v133
	v_div_fixup_f32 v129, v128, v129, 1.0
	s_delay_alu instid0(VALU_DEP_1)
	v_mul_f32_e32 v128, v131, v129
	v_xor_b32_e32 v129, 0x80000000, v129
.LBB120_1162:
	s_and_not1_saveexec_b32 s1, s1
	s_cbranch_execz .LBB120_1164
; %bb.1163:
	s_delay_alu instid0(VALU_DEP_1) | instskip(SKIP_1) | instid1(VALU_DEP_2)
	v_div_scale_f32 v131, null, v128, v128, v129
	v_div_scale_f32 v139, vcc_lo, v129, v128, v129
	v_rcp_f32_e32 v132, v131
	v_nop
	s_delay_alu instid0(TRANS32_DEP_1) | instskip(NEXT) | instid1(VALU_DEP_1)
	v_fma_f32 v133, -v131, v132, 1.0
	v_fmac_f32_e32 v132, v133, v132
	s_delay_alu instid0(VALU_DEP_1) | instskip(NEXT) | instid1(VALU_DEP_1)
	v_mul_f32_e32 v133, v139, v132
	v_fma_f32 v140, -v131, v133, v139
	s_delay_alu instid0(VALU_DEP_1) | instskip(NEXT) | instid1(VALU_DEP_1)
	v_fmac_f32_e32 v133, v140, v132
	v_fma_f32 v131, -v131, v133, v139
	s_delay_alu instid0(VALU_DEP_1) | instskip(NEXT) | instid1(VALU_DEP_1)
	v_div_fmas_f32 v131, v131, v132, v133
	v_div_fixup_f32 v131, v131, v128, v129
	s_delay_alu instid0(VALU_DEP_1) | instskip(NEXT) | instid1(VALU_DEP_1)
	v_fmac_f32_e32 v128, v129, v131
	v_div_scale_f32 v129, null, v128, v128, 1.0
	s_delay_alu instid0(VALU_DEP_1) | instskip(SKIP_1) | instid1(TRANS32_DEP_1)
	v_rcp_f32_e32 v132, v129
	v_nop
	v_fma_f32 v133, -v129, v132, 1.0
	s_delay_alu instid0(VALU_DEP_1) | instskip(SKIP_1) | instid1(VALU_DEP_1)
	v_fmac_f32_e32 v132, v133, v132
	v_div_scale_f32 v133, vcc_lo, 1.0, v128, 1.0
	v_mul_f32_e32 v139, v133, v132
	s_delay_alu instid0(VALU_DEP_1) | instskip(NEXT) | instid1(VALU_DEP_1)
	v_fma_f32 v140, -v129, v139, v133
	v_fmac_f32_e32 v139, v140, v132
	s_delay_alu instid0(VALU_DEP_1) | instskip(NEXT) | instid1(VALU_DEP_1)
	v_fma_f32 v129, -v129, v139, v133
	v_div_fmas_f32 v129, v129, v132, v139
	s_delay_alu instid0(VALU_DEP_1) | instskip(NEXT) | instid1(VALU_DEP_1)
	v_div_fixup_f32 v128, v129, v128, 1.0
	v_mul_f32_e64 v129, v131, -v128
.LBB120_1164:
	s_or_b32 exec_lo, exec_lo, s1
.LBB120_1165:
	s_delay_alu instid0(SALU_CYCLE_1) | instskip(NEXT) | instid1(SALU_CYCLE_1)
	s_or_b32 exec_lo, exec_lo, s0
	s_mov_b32 s0, exec_lo
	v_cmpx_ne_u32_e64 v138, v130
	s_xor_b32 s0, exec_lo, s0
	s_cbranch_execz .LBB120_1171
; %bb.1166:
	s_mov_b32 s1, exec_lo
	v_cmpx_eq_u32_e32 55, v138
	s_cbranch_execz .LBB120_1170
; %bb.1167:
	v_cmp_ne_u32_e32 vcc_lo, 55, v130
	s_xor_b32 s12, s16, -1
	s_delay_alu instid0(SALU_CYCLE_1) | instskip(NEXT) | instid1(SALU_CYCLE_1)
	s_and_b32 s13, s12, vcc_lo
	s_and_saveexec_b32 s12, s13
	s_cbranch_execz .LBB120_1169
; %bb.1168:
	v_ashrrev_i32_e32 v131, 31, v130
	s_delay_alu instid0(VALU_DEP_1)
	v_lshl_add_u64 v[132:133], v[130:131], 2, v[4:5]
	s_clause 0x1
	global_load_b32 v131, v[132:133], off
	global_load_b32 v137, v[4:5], off offset:220
	s_wait_loadcnt 0x1
	global_store_b32 v[4:5], v131, off offset:220
	s_wait_loadcnt 0x0
	global_store_b32 v[132:133], v137, off
.LBB120_1169:
	s_wait_xcnt 0x0
	s_or_b32 exec_lo, exec_lo, s12
	v_dual_mov_b32 v138, v130 :: v_dual_mov_b32 v137, v130
.LBB120_1170:
	s_or_b32 exec_lo, exec_lo, s1
.LBB120_1171:
	s_and_not1_saveexec_b32 s0, s0
	s_cbranch_execz .LBB120_1173
; %bb.1172:
	v_dual_mov_b32 v130, v6 :: v_dual_mov_b32 v131, v7
	v_dual_mov_b32 v132, v20 :: v_dual_mov_b32 v133, v21
	;; [unrolled: 1-line block ×4, first 2 shown]
	v_mov_b32_e32 v143, v9
	ds_store_2addr_b64 v135, v[130:131], v[132:133] offset0:56 offset1:57
	ds_store_2addr_b64 v135, v[140:141], v[142:143] offset0:58 offset1:59
	ds_store_b64 v135, v[126:127] offset:480
.LBB120_1173:
	s_or_b32 exec_lo, exec_lo, s0
	s_delay_alu instid0(SALU_CYCLE_1)
	s_mov_b32 s0, exec_lo
	s_wait_storecnt_dscnt 0x0
	s_barrier_signal -1
	s_barrier_wait -1
	v_cmpx_lt_i32_e32 55, v138
	s_cbranch_execz .LBB120_1175
; %bb.1174:
	ds_load_2addr_b64 v[130:133], v135 offset0:56 offset1:57
	ds_load_2addr_b64 v[140:143], v135 offset0:58 offset1:59
	ds_load_b64 v[144:145], v135 offset:480
	v_pk_mul_f32 v[146:147], v[128:129], v[10:11] op_sel:[1,1] op_sel_hi:[0,1]
	s_delay_alu instid0(VALU_DEP_1) | instskip(SKIP_1) | instid1(VALU_DEP_1)
	v_pk_fma_f32 v[148:149], v[128:129], v[10:11], v[146:147] op_sel_hi:[1,0,1] neg_lo:[0,0,1] neg_hi:[0,0,1]
	v_pk_fma_f32 v[128:129], v[128:129], v[10:11], v[146:147] op_sel_hi:[1,0,1]
	v_dual_mov_b32 v10, v148 :: v_dual_mov_b32 v11, v129
	s_wait_dscnt 0x2
	s_delay_alu instid0(VALU_DEP_2)
	v_pk_mul_f32 v[146:147], v[130:131], v[128:129] op_sel:[0,1]
	v_pk_mul_f32 v[150:151], v[132:133], v[128:129] op_sel:[0,1]
	s_wait_dscnt 0x1
	v_pk_mul_f32 v[152:153], v[140:141], v[128:129] op_sel:[0,1]
	v_dual_mov_b32 v154, v143 :: v_dual_mov_b32 v155, v142
	v_dual_mul_f32 v156, v143, v129 :: v_dual_mul_f32 v158, v143, v148
	s_wait_dscnt 0x0
	v_pk_mul_f32 v[128:129], v[144:145], v[128:129] op_sel:[0,1]
	v_pk_fma_f32 v[160:161], v[130:131], v[148:149], v[146:147] op_sel:[0,0,1] op_sel_hi:[1,1,0] neg_lo:[0,0,1] neg_hi:[0,0,1]
	v_pk_fma_f32 v[130:131], v[130:131], v[148:149], v[146:147] op_sel:[0,0,1] op_sel_hi:[1,0,0]
	v_pk_fma_f32 v[146:147], v[132:133], v[148:149], v[150:151] op_sel:[0,0,1] op_sel_hi:[1,1,0] neg_lo:[0,0,1] neg_hi:[0,0,1]
	v_pk_fma_f32 v[132:133], v[132:133], v[148:149], v[150:151] op_sel:[0,0,1] op_sel_hi:[1,0,0]
	;; [unrolled: 2-line block ×3, first 2 shown]
	v_pk_fma_f32 v[152:153], v[154:155], v[10:11], v[158:159] op_sel_hi:[1,1,0]
	v_pk_fma_f32 v[154:155], v[144:145], v[148:149], v[128:129] op_sel:[0,0,1] op_sel_hi:[1,1,0] neg_lo:[0,0,1] neg_hi:[0,0,1]
	v_pk_fma_f32 v[128:129], v[144:145], v[148:149], v[128:129] op_sel:[0,0,1] op_sel_hi:[1,0,0]
	v_pk_fma_f32 v[142:143], v[142:143], v[10:11], v[156:157] op_sel_hi:[1,1,0] neg_lo:[0,0,1] neg_hi:[0,0,1]
	v_dual_mov_b32 v161, v131 :: v_dual_mov_b32 v147, v133
	v_dual_mov_b32 v151, v141 :: v_dual_mov_b32 v143, v153
	s_delay_alu instid0(VALU_DEP_4) | instskip(NEXT) | instid1(VALU_DEP_3)
	v_mov_b32_e32 v155, v129
	v_pk_add_f32 v[6:7], v[6:7], v[160:161] neg_lo:[0,1] neg_hi:[0,1]
	s_delay_alu instid0(VALU_DEP_4) | instskip(NEXT) | instid1(VALU_DEP_4)
	v_pk_add_f32 v[20:21], v[20:21], v[146:147] neg_lo:[0,1] neg_hi:[0,1]
	v_pk_add_f32 v[18:19], v[18:19], v[150:151] neg_lo:[0,1] neg_hi:[0,1]
	;; [unrolled: 1-line block ×4, first 2 shown]
.LBB120_1175:
	s_or_b32 exec_lo, exec_lo, s0
	v_lshl_add_u32 v128, v138, 3, v135
	s_barrier_signal -1
	s_barrier_wait -1
	ds_store_b64 v128, v[6:7]
	s_wait_dscnt 0x0
	s_barrier_signal -1
	s_barrier_wait -1
	ds_load_b64 v[128:129], v135 offset:448
	v_mov_b32_e32 v130, 56
	s_cmp_lt_i32 s18, 58
	s_cbranch_scc1 .LBB120_1178
; %bb.1176:
	v_add3_u32 v131, v136, 0, 0x1c8
	v_mov_b32_e32 v130, 56
	s_mov_b32 s0, 57
.LBB120_1177:                           ; =>This Inner Loop Header: Depth=1
	ds_load_b64 v[132:133], v131
	s_wait_dscnt 0x1
	v_cmp_gt_f32_e32 vcc_lo, 0, v128
	v_cndmask_b32_e64 v140, v128, -v128, vcc_lo
	v_cmp_gt_f32_e32 vcc_lo, 0, v129
	v_cndmask_b32_e64 v142, v129, -v129, vcc_lo
	s_wait_dscnt 0x0
	v_cmp_gt_f32_e32 vcc_lo, 0, v132
	v_cndmask_b32_e64 v141, v132, -v132, vcc_lo
	v_cmp_gt_f32_e32 vcc_lo, 0, v133
	v_cndmask_b32_e64 v143, v133, -v133, vcc_lo
	s_delay_alu instid0(VALU_DEP_1) | instskip(NEXT) | instid1(VALU_DEP_1)
	v_pk_add_f32 v[140:141], v[140:141], v[142:143]
	v_cmp_lt_f32_e32 vcc_lo, v140, v141
	v_dual_add_nc_u32 v131, 8, v131 :: v_dual_cndmask_b32 v129, v129, v133, vcc_lo
	v_cndmask_b32_e32 v128, v128, v132, vcc_lo
	v_cndmask_b32_e64 v130, v130, s0, vcc_lo
	s_add_co_i32 s0, s0, 1
	s_delay_alu instid0(SALU_CYCLE_1)
	s_cmp_lg_u32 s18, s0
	s_cbranch_scc1 .LBB120_1177
.LBB120_1178:
	s_wait_dscnt 0x0
	v_cmp_eq_f32_e32 vcc_lo, 0, v128
	v_cmp_eq_f32_e64 s0, 0, v129
	s_and_b32 s0, vcc_lo, s0
	s_delay_alu instid0(SALU_CYCLE_1) | instskip(NEXT) | instid1(SALU_CYCLE_1)
	s_and_saveexec_b32 s1, s0
	s_xor_b32 s0, exec_lo, s1
; %bb.1179:
	v_cmp_ne_u32_e32 vcc_lo, 0, v134
	v_cndmask_b32_e32 v134, 57, v134, vcc_lo
; %bb.1180:
	s_and_not1_saveexec_b32 s0, s0
	s_cbranch_execz .LBB120_1186
; %bb.1181:
	v_cmp_ngt_f32_e64 s1, |v128|, |v129|
	s_and_saveexec_b32 s12, s1
	s_delay_alu instid0(SALU_CYCLE_1)
	s_xor_b32 s1, exec_lo, s12
	s_cbranch_execz .LBB120_1183
; %bb.1182:
	v_div_scale_f32 v131, null, v129, v129, v128
	v_div_scale_f32 v139, vcc_lo, v128, v129, v128
	s_delay_alu instid0(VALU_DEP_2) | instskip(SKIP_1) | instid1(TRANS32_DEP_1)
	v_rcp_f32_e32 v132, v131
	v_nop
	v_fma_f32 v133, -v131, v132, 1.0
	s_delay_alu instid0(VALU_DEP_1) | instskip(NEXT) | instid1(VALU_DEP_1)
	v_fmac_f32_e32 v132, v133, v132
	v_mul_f32_e32 v133, v139, v132
	s_delay_alu instid0(VALU_DEP_1) | instskip(NEXT) | instid1(VALU_DEP_1)
	v_fma_f32 v140, -v131, v133, v139
	v_fmac_f32_e32 v133, v140, v132
	s_delay_alu instid0(VALU_DEP_1) | instskip(NEXT) | instid1(VALU_DEP_1)
	v_fma_f32 v131, -v131, v133, v139
	v_div_fmas_f32 v131, v131, v132, v133
	s_delay_alu instid0(VALU_DEP_1) | instskip(NEXT) | instid1(VALU_DEP_1)
	v_div_fixup_f32 v131, v131, v129, v128
	v_fmac_f32_e32 v129, v128, v131
	s_delay_alu instid0(VALU_DEP_1) | instskip(SKIP_1) | instid1(VALU_DEP_2)
	v_div_scale_f32 v128, null, v129, v129, 1.0
	v_div_scale_f32 v139, vcc_lo, 1.0, v129, 1.0
	v_rcp_f32_e32 v132, v128
	v_nop
	s_delay_alu instid0(TRANS32_DEP_1) | instskip(NEXT) | instid1(VALU_DEP_1)
	v_fma_f32 v133, -v128, v132, 1.0
	v_fmac_f32_e32 v132, v133, v132
	s_delay_alu instid0(VALU_DEP_1) | instskip(NEXT) | instid1(VALU_DEP_1)
	v_mul_f32_e32 v133, v139, v132
	v_fma_f32 v140, -v128, v133, v139
	s_delay_alu instid0(VALU_DEP_1) | instskip(NEXT) | instid1(VALU_DEP_1)
	v_fmac_f32_e32 v133, v140, v132
	v_fma_f32 v128, -v128, v133, v139
	s_delay_alu instid0(VALU_DEP_1) | instskip(NEXT) | instid1(VALU_DEP_1)
	v_div_fmas_f32 v128, v128, v132, v133
	v_div_fixup_f32 v129, v128, v129, 1.0
	s_delay_alu instid0(VALU_DEP_1)
	v_mul_f32_e32 v128, v131, v129
	v_xor_b32_e32 v129, 0x80000000, v129
.LBB120_1183:
	s_and_not1_saveexec_b32 s1, s1
	s_cbranch_execz .LBB120_1185
; %bb.1184:
	s_delay_alu instid0(VALU_DEP_1) | instskip(SKIP_1) | instid1(VALU_DEP_2)
	v_div_scale_f32 v131, null, v128, v128, v129
	v_div_scale_f32 v139, vcc_lo, v129, v128, v129
	v_rcp_f32_e32 v132, v131
	v_nop
	s_delay_alu instid0(TRANS32_DEP_1) | instskip(NEXT) | instid1(VALU_DEP_1)
	v_fma_f32 v133, -v131, v132, 1.0
	v_fmac_f32_e32 v132, v133, v132
	s_delay_alu instid0(VALU_DEP_1) | instskip(NEXT) | instid1(VALU_DEP_1)
	v_mul_f32_e32 v133, v139, v132
	v_fma_f32 v140, -v131, v133, v139
	s_delay_alu instid0(VALU_DEP_1) | instskip(NEXT) | instid1(VALU_DEP_1)
	v_fmac_f32_e32 v133, v140, v132
	v_fma_f32 v131, -v131, v133, v139
	s_delay_alu instid0(VALU_DEP_1) | instskip(NEXT) | instid1(VALU_DEP_1)
	v_div_fmas_f32 v131, v131, v132, v133
	v_div_fixup_f32 v131, v131, v128, v129
	s_delay_alu instid0(VALU_DEP_1) | instskip(NEXT) | instid1(VALU_DEP_1)
	v_fmac_f32_e32 v128, v129, v131
	v_div_scale_f32 v129, null, v128, v128, 1.0
	s_delay_alu instid0(VALU_DEP_1) | instskip(SKIP_1) | instid1(TRANS32_DEP_1)
	v_rcp_f32_e32 v132, v129
	v_nop
	v_fma_f32 v133, -v129, v132, 1.0
	s_delay_alu instid0(VALU_DEP_1) | instskip(SKIP_1) | instid1(VALU_DEP_1)
	v_fmac_f32_e32 v132, v133, v132
	v_div_scale_f32 v133, vcc_lo, 1.0, v128, 1.0
	v_mul_f32_e32 v139, v133, v132
	s_delay_alu instid0(VALU_DEP_1) | instskip(NEXT) | instid1(VALU_DEP_1)
	v_fma_f32 v140, -v129, v139, v133
	v_fmac_f32_e32 v139, v140, v132
	s_delay_alu instid0(VALU_DEP_1) | instskip(NEXT) | instid1(VALU_DEP_1)
	v_fma_f32 v129, -v129, v139, v133
	v_div_fmas_f32 v129, v129, v132, v139
	s_delay_alu instid0(VALU_DEP_1) | instskip(NEXT) | instid1(VALU_DEP_1)
	v_div_fixup_f32 v128, v129, v128, 1.0
	v_mul_f32_e64 v129, v131, -v128
.LBB120_1185:
	s_or_b32 exec_lo, exec_lo, s1
.LBB120_1186:
	s_delay_alu instid0(SALU_CYCLE_1) | instskip(NEXT) | instid1(SALU_CYCLE_1)
	s_or_b32 exec_lo, exec_lo, s0
	s_mov_b32 s0, exec_lo
	v_cmpx_ne_u32_e64 v138, v130
	s_xor_b32 s0, exec_lo, s0
	s_cbranch_execz .LBB120_1192
; %bb.1187:
	s_mov_b32 s1, exec_lo
	v_cmpx_eq_u32_e32 56, v138
	s_cbranch_execz .LBB120_1191
; %bb.1188:
	v_cmp_ne_u32_e32 vcc_lo, 56, v130
	s_xor_b32 s12, s16, -1
	s_delay_alu instid0(SALU_CYCLE_1) | instskip(NEXT) | instid1(SALU_CYCLE_1)
	s_and_b32 s13, s12, vcc_lo
	s_and_saveexec_b32 s12, s13
	s_cbranch_execz .LBB120_1190
; %bb.1189:
	v_ashrrev_i32_e32 v131, 31, v130
	s_delay_alu instid0(VALU_DEP_1)
	v_lshl_add_u64 v[132:133], v[130:131], 2, v[4:5]
	s_clause 0x1
	global_load_b32 v131, v[132:133], off
	global_load_b32 v137, v[4:5], off offset:224
	s_wait_loadcnt 0x1
	global_store_b32 v[4:5], v131, off offset:224
	s_wait_loadcnt 0x0
	global_store_b32 v[132:133], v137, off
.LBB120_1190:
	s_wait_xcnt 0x0
	s_or_b32 exec_lo, exec_lo, s12
	v_dual_mov_b32 v138, v130 :: v_dual_mov_b32 v137, v130
.LBB120_1191:
	s_or_b32 exec_lo, exec_lo, s1
.LBB120_1192:
	s_and_not1_saveexec_b32 s0, s0
	s_cbranch_execz .LBB120_1194
; %bb.1193:
	v_mov_b32_e32 v138, 56
	ds_store_2addr_b64 v135, v[20:21], v[18:19] offset0:57 offset1:58
	ds_store_2addr_b64 v135, v[8:9], v[126:127] offset0:59 offset1:60
.LBB120_1194:
	s_or_b32 exec_lo, exec_lo, s0
	s_delay_alu instid0(SALU_CYCLE_1)
	s_mov_b32 s0, exec_lo
	s_wait_storecnt_dscnt 0x0
	s_barrier_signal -1
	s_barrier_wait -1
	v_cmpx_lt_i32_e32 56, v138
	s_cbranch_execz .LBB120_1196
; %bb.1195:
	ds_load_2addr_b64 v[130:133], v135 offset0:57 offset1:58
	ds_load_2addr_b64 v[140:143], v135 offset0:59 offset1:60
	v_pk_mul_f32 v[144:145], v[128:129], v[6:7] op_sel:[1,1] op_sel_hi:[0,1]
	s_delay_alu instid0(VALU_DEP_1) | instskip(SKIP_1) | instid1(VALU_DEP_1)
	v_pk_fma_f32 v[146:147], v[128:129], v[6:7], v[144:145] op_sel_hi:[1,0,1] neg_lo:[0,0,1] neg_hi:[0,0,1]
	v_pk_fma_f32 v[128:129], v[128:129], v[6:7], v[144:145] op_sel_hi:[1,0,1]
	v_dual_mov_b32 v6, v146 :: v_dual_mov_b32 v7, v129
	s_wait_dscnt 0x1
	s_delay_alu instid0(VALU_DEP_2)
	v_pk_mul_f32 v[144:145], v[130:131], v[128:129] op_sel:[0,1]
	s_wait_dscnt 0x0
	v_mov_b32_e32 v148, v143
	v_pk_mul_f32 v[150:151], v[132:133], v[128:129] op_sel:[0,1]
	v_pk_mul_f32 v[152:153], v[140:141], v[128:129] op_sel:[0,1]
	v_pk_fma_f32 v[154:155], v[130:131], v[146:147], v[144:145] op_sel:[0,0,1] op_sel_hi:[1,1,0] neg_lo:[0,0,1] neg_hi:[0,0,1]
	v_pk_fma_f32 v[130:131], v[130:131], v[146:147], v[144:145] op_sel:[0,0,1] op_sel_hi:[1,0,0]
	s_delay_alu instid0(VALU_DEP_1) | instskip(NEXT) | instid1(VALU_DEP_1)
	v_dual_mov_b32 v149, v142 :: v_dual_mov_b32 v155, v131
	v_pk_mul_f32 v[144:145], v[148:149], v[128:129] op_sel:[0,1]
	v_pk_fma_f32 v[148:149], v[132:133], v[146:147], v[150:151] op_sel:[0,0,1] op_sel_hi:[1,0,0]
	v_pk_fma_f32 v[132:133], v[132:133], v[146:147], v[150:151] op_sel:[0,0,1] op_sel_hi:[1,1,0] neg_lo:[0,0,1] neg_hi:[0,0,1]
	v_pk_fma_f32 v[150:151], v[140:141], v[146:147], v[152:153] op_sel:[0,0,1] op_sel_hi:[1,0,0]
	v_pk_fma_f32 v[140:141], v[140:141], v[146:147], v[152:153] op_sel:[0,0,1] op_sel_hi:[1,1,0] neg_lo:[0,0,1] neg_hi:[0,0,1]
	v_pk_fma_f32 v[130:131], v[142:143], v[146:147], v[144:145] op_sel_hi:[1,0,1]
	v_pk_fma_f32 v[142:143], v[142:143], v[146:147], v[144:145] neg_lo:[0,0,1] neg_hi:[0,0,1]
	s_delay_alu instid0(VALU_DEP_4) | instskip(SKIP_1) | instid1(VALU_DEP_4)
	v_dual_mov_b32 v133, v149 :: v_dual_mov_b32 v141, v151
	v_pk_add_f32 v[20:21], v[20:21], v[154:155] neg_lo:[0,1] neg_hi:[0,1]
	v_mov_b32_e32 v143, v131
	s_delay_alu instid0(VALU_DEP_3) | instskip(NEXT) | instid1(VALU_DEP_4)
	v_pk_add_f32 v[18:19], v[18:19], v[132:133] neg_lo:[0,1] neg_hi:[0,1]
	v_pk_add_f32 v[8:9], v[8:9], v[140:141] neg_lo:[0,1] neg_hi:[0,1]
	s_delay_alu instid0(VALU_DEP_3)
	v_pk_add_f32 v[126:127], v[126:127], v[142:143] neg_lo:[0,1] neg_hi:[0,1]
.LBB120_1196:
	s_or_b32 exec_lo, exec_lo, s0
	v_lshl_add_u32 v128, v138, 3, v135
	s_barrier_signal -1
	s_barrier_wait -1
	ds_store_b64 v128, v[20:21]
	s_wait_dscnt 0x0
	s_barrier_signal -1
	s_barrier_wait -1
	ds_load_b64 v[128:129], v135 offset:456
	v_mov_b32_e32 v130, 57
	s_cmp_lt_i32 s18, 59
	s_cbranch_scc1 .LBB120_1199
; %bb.1197:
	v_add3_u32 v131, v136, 0, 0x1d0
	v_mov_b32_e32 v130, 57
	s_mov_b32 s0, 58
.LBB120_1198:                           ; =>This Inner Loop Header: Depth=1
	ds_load_b64 v[132:133], v131
	s_wait_dscnt 0x1
	v_cmp_gt_f32_e32 vcc_lo, 0, v128
	v_cndmask_b32_e64 v140, v128, -v128, vcc_lo
	v_cmp_gt_f32_e32 vcc_lo, 0, v129
	v_cndmask_b32_e64 v142, v129, -v129, vcc_lo
	s_wait_dscnt 0x0
	v_cmp_gt_f32_e32 vcc_lo, 0, v132
	v_cndmask_b32_e64 v141, v132, -v132, vcc_lo
	v_cmp_gt_f32_e32 vcc_lo, 0, v133
	v_cndmask_b32_e64 v143, v133, -v133, vcc_lo
	s_delay_alu instid0(VALU_DEP_1) | instskip(NEXT) | instid1(VALU_DEP_1)
	v_pk_add_f32 v[140:141], v[140:141], v[142:143]
	v_cmp_lt_f32_e32 vcc_lo, v140, v141
	v_dual_add_nc_u32 v131, 8, v131 :: v_dual_cndmask_b32 v129, v129, v133, vcc_lo
	v_cndmask_b32_e32 v128, v128, v132, vcc_lo
	v_cndmask_b32_e64 v130, v130, s0, vcc_lo
	s_add_co_i32 s0, s0, 1
	s_delay_alu instid0(SALU_CYCLE_1)
	s_cmp_lg_u32 s18, s0
	s_cbranch_scc1 .LBB120_1198
.LBB120_1199:
	s_wait_dscnt 0x0
	v_cmp_eq_f32_e32 vcc_lo, 0, v128
	v_cmp_eq_f32_e64 s0, 0, v129
	s_and_b32 s0, vcc_lo, s0
	s_delay_alu instid0(SALU_CYCLE_1) | instskip(NEXT) | instid1(SALU_CYCLE_1)
	s_and_saveexec_b32 s1, s0
	s_xor_b32 s0, exec_lo, s1
; %bb.1200:
	v_cmp_ne_u32_e32 vcc_lo, 0, v134
	v_cndmask_b32_e32 v134, 58, v134, vcc_lo
; %bb.1201:
	s_and_not1_saveexec_b32 s0, s0
	s_cbranch_execz .LBB120_1207
; %bb.1202:
	v_cmp_ngt_f32_e64 s1, |v128|, |v129|
	s_and_saveexec_b32 s12, s1
	s_delay_alu instid0(SALU_CYCLE_1)
	s_xor_b32 s1, exec_lo, s12
	s_cbranch_execz .LBB120_1204
; %bb.1203:
	v_div_scale_f32 v131, null, v129, v129, v128
	v_div_scale_f32 v139, vcc_lo, v128, v129, v128
	s_delay_alu instid0(VALU_DEP_2) | instskip(SKIP_1) | instid1(TRANS32_DEP_1)
	v_rcp_f32_e32 v132, v131
	v_nop
	v_fma_f32 v133, -v131, v132, 1.0
	s_delay_alu instid0(VALU_DEP_1) | instskip(NEXT) | instid1(VALU_DEP_1)
	v_fmac_f32_e32 v132, v133, v132
	v_mul_f32_e32 v133, v139, v132
	s_delay_alu instid0(VALU_DEP_1) | instskip(NEXT) | instid1(VALU_DEP_1)
	v_fma_f32 v140, -v131, v133, v139
	v_fmac_f32_e32 v133, v140, v132
	s_delay_alu instid0(VALU_DEP_1) | instskip(NEXT) | instid1(VALU_DEP_1)
	v_fma_f32 v131, -v131, v133, v139
	v_div_fmas_f32 v131, v131, v132, v133
	s_delay_alu instid0(VALU_DEP_1) | instskip(NEXT) | instid1(VALU_DEP_1)
	v_div_fixup_f32 v131, v131, v129, v128
	v_fmac_f32_e32 v129, v128, v131
	s_delay_alu instid0(VALU_DEP_1) | instskip(SKIP_1) | instid1(VALU_DEP_2)
	v_div_scale_f32 v128, null, v129, v129, 1.0
	v_div_scale_f32 v139, vcc_lo, 1.0, v129, 1.0
	v_rcp_f32_e32 v132, v128
	v_nop
	s_delay_alu instid0(TRANS32_DEP_1) | instskip(NEXT) | instid1(VALU_DEP_1)
	v_fma_f32 v133, -v128, v132, 1.0
	v_fmac_f32_e32 v132, v133, v132
	s_delay_alu instid0(VALU_DEP_1) | instskip(NEXT) | instid1(VALU_DEP_1)
	v_mul_f32_e32 v133, v139, v132
	v_fma_f32 v140, -v128, v133, v139
	s_delay_alu instid0(VALU_DEP_1) | instskip(NEXT) | instid1(VALU_DEP_1)
	v_fmac_f32_e32 v133, v140, v132
	v_fma_f32 v128, -v128, v133, v139
	s_delay_alu instid0(VALU_DEP_1) | instskip(NEXT) | instid1(VALU_DEP_1)
	v_div_fmas_f32 v128, v128, v132, v133
	v_div_fixup_f32 v129, v128, v129, 1.0
	s_delay_alu instid0(VALU_DEP_1)
	v_mul_f32_e32 v128, v131, v129
	v_xor_b32_e32 v129, 0x80000000, v129
.LBB120_1204:
	s_and_not1_saveexec_b32 s1, s1
	s_cbranch_execz .LBB120_1206
; %bb.1205:
	s_delay_alu instid0(VALU_DEP_1) | instskip(SKIP_1) | instid1(VALU_DEP_2)
	v_div_scale_f32 v131, null, v128, v128, v129
	v_div_scale_f32 v139, vcc_lo, v129, v128, v129
	v_rcp_f32_e32 v132, v131
	v_nop
	s_delay_alu instid0(TRANS32_DEP_1) | instskip(NEXT) | instid1(VALU_DEP_1)
	v_fma_f32 v133, -v131, v132, 1.0
	v_fmac_f32_e32 v132, v133, v132
	s_delay_alu instid0(VALU_DEP_1) | instskip(NEXT) | instid1(VALU_DEP_1)
	v_mul_f32_e32 v133, v139, v132
	v_fma_f32 v140, -v131, v133, v139
	s_delay_alu instid0(VALU_DEP_1) | instskip(NEXT) | instid1(VALU_DEP_1)
	v_fmac_f32_e32 v133, v140, v132
	v_fma_f32 v131, -v131, v133, v139
	s_delay_alu instid0(VALU_DEP_1) | instskip(NEXT) | instid1(VALU_DEP_1)
	v_div_fmas_f32 v131, v131, v132, v133
	v_div_fixup_f32 v131, v131, v128, v129
	s_delay_alu instid0(VALU_DEP_1) | instskip(NEXT) | instid1(VALU_DEP_1)
	v_fmac_f32_e32 v128, v129, v131
	v_div_scale_f32 v129, null, v128, v128, 1.0
	s_delay_alu instid0(VALU_DEP_1) | instskip(SKIP_1) | instid1(TRANS32_DEP_1)
	v_rcp_f32_e32 v132, v129
	v_nop
	v_fma_f32 v133, -v129, v132, 1.0
	s_delay_alu instid0(VALU_DEP_1) | instskip(SKIP_1) | instid1(VALU_DEP_1)
	v_fmac_f32_e32 v132, v133, v132
	v_div_scale_f32 v133, vcc_lo, 1.0, v128, 1.0
	v_mul_f32_e32 v139, v133, v132
	s_delay_alu instid0(VALU_DEP_1) | instskip(NEXT) | instid1(VALU_DEP_1)
	v_fma_f32 v140, -v129, v139, v133
	v_fmac_f32_e32 v139, v140, v132
	s_delay_alu instid0(VALU_DEP_1) | instskip(NEXT) | instid1(VALU_DEP_1)
	v_fma_f32 v129, -v129, v139, v133
	v_div_fmas_f32 v129, v129, v132, v139
	s_delay_alu instid0(VALU_DEP_1) | instskip(NEXT) | instid1(VALU_DEP_1)
	v_div_fixup_f32 v128, v129, v128, 1.0
	v_mul_f32_e64 v129, v131, -v128
.LBB120_1206:
	s_or_b32 exec_lo, exec_lo, s1
.LBB120_1207:
	s_delay_alu instid0(SALU_CYCLE_1) | instskip(NEXT) | instid1(SALU_CYCLE_1)
	s_or_b32 exec_lo, exec_lo, s0
	s_mov_b32 s0, exec_lo
	v_cmpx_ne_u32_e64 v138, v130
	s_xor_b32 s0, exec_lo, s0
	s_cbranch_execz .LBB120_1213
; %bb.1208:
	s_mov_b32 s1, exec_lo
	v_cmpx_eq_u32_e32 57, v138
	s_cbranch_execz .LBB120_1212
; %bb.1209:
	v_cmp_ne_u32_e32 vcc_lo, 57, v130
	s_xor_b32 s12, s16, -1
	s_delay_alu instid0(SALU_CYCLE_1) | instskip(NEXT) | instid1(SALU_CYCLE_1)
	s_and_b32 s13, s12, vcc_lo
	s_and_saveexec_b32 s12, s13
	s_cbranch_execz .LBB120_1211
; %bb.1210:
	v_ashrrev_i32_e32 v131, 31, v130
	s_delay_alu instid0(VALU_DEP_1)
	v_lshl_add_u64 v[132:133], v[130:131], 2, v[4:5]
	s_clause 0x1
	global_load_b32 v131, v[132:133], off
	global_load_b32 v137, v[4:5], off offset:228
	s_wait_loadcnt 0x1
	global_store_b32 v[4:5], v131, off offset:228
	s_wait_loadcnt 0x0
	global_store_b32 v[132:133], v137, off
.LBB120_1211:
	s_wait_xcnt 0x0
	s_or_b32 exec_lo, exec_lo, s12
	v_dual_mov_b32 v138, v130 :: v_dual_mov_b32 v137, v130
.LBB120_1212:
	s_or_b32 exec_lo, exec_lo, s1
.LBB120_1213:
	s_and_not1_saveexec_b32 s0, s0
	s_cbranch_execz .LBB120_1215
; %bb.1214:
	v_dual_mov_b32 v130, v18 :: v_dual_mov_b32 v131, v19
	v_dual_mov_b32 v132, v8 :: v_dual_mov_b32 v133, v9
	v_mov_b32_e32 v138, 57
	ds_store_2addr_b64 v135, v[130:131], v[132:133] offset0:58 offset1:59
	ds_store_b64 v135, v[126:127] offset:480
.LBB120_1215:
	s_or_b32 exec_lo, exec_lo, s0
	s_delay_alu instid0(SALU_CYCLE_1)
	s_mov_b32 s0, exec_lo
	s_wait_storecnt_dscnt 0x0
	s_barrier_signal -1
	s_barrier_wait -1
	v_cmpx_lt_i32_e32 57, v138
	s_cbranch_execz .LBB120_1217
; %bb.1216:
	ds_load_2addr_b64 v[130:133], v135 offset0:58 offset1:59
	ds_load_b64 v[140:141], v135 offset:480
	v_pk_mul_f32 v[142:143], v[128:129], v[20:21] op_sel:[1,1] op_sel_hi:[0,1]
	s_delay_alu instid0(VALU_DEP_1) | instskip(SKIP_2) | instid1(VALU_DEP_2)
	v_pk_fma_f32 v[144:145], v[128:129], v[20:21], v[142:143] op_sel_hi:[1,0,1]
	v_pk_fma_f32 v[20:21], v[128:129], v[20:21], v[142:143] op_sel_hi:[1,0,1] neg_lo:[0,0,1] neg_hi:[0,0,1]
	s_wait_dscnt 0x1
	v_pk_mul_f32 v[128:129], v[130:131], v[144:145] op_sel:[0,1]
	v_pk_mul_f32 v[142:143], v[132:133], v[144:145] op_sel:[0,1]
	s_wait_dscnt 0x0
	v_pk_mul_f32 v[146:147], v[140:141], v[144:145] op_sel:[1,1] op_sel_hi:[0,1]
	s_delay_alu instid0(VALU_DEP_3) | instskip(SKIP_2) | instid1(VALU_DEP_4)
	v_pk_fma_f32 v[148:149], v[130:131], v[20:21], v[128:129] op_sel:[0,0,1] op_sel_hi:[1,1,0] neg_lo:[0,0,1] neg_hi:[0,0,1]
	v_pk_fma_f32 v[128:129], v[130:131], v[20:21], v[128:129] op_sel:[0,0,1] op_sel_hi:[1,0,0]
	v_pk_fma_f32 v[130:131], v[132:133], v[20:21], v[142:143] op_sel:[0,0,1] op_sel_hi:[1,0,0]
	v_pk_fma_f32 v[150:151], v[140:141], v[20:21], v[146:147] op_sel_hi:[1,0,1]
	v_pk_fma_f32 v[132:133], v[132:133], v[20:21], v[142:143] op_sel:[0,0,1] op_sel_hi:[1,1,0] neg_lo:[0,0,1] neg_hi:[0,0,1]
	v_pk_fma_f32 v[140:141], v[140:141], v[20:21], v[146:147] neg_lo:[0,0,1] neg_hi:[0,0,1]
	s_delay_alu instid0(VALU_DEP_4) | instskip(NEXT) | instid1(VALU_DEP_4)
	v_dual_mov_b32 v149, v129 :: v_dual_mov_b32 v133, v131
	v_dual_mov_b32 v141, v151 :: v_dual_mov_b32 v21, v145
	s_delay_alu instid0(VALU_DEP_2) | instskip(NEXT) | instid1(VALU_DEP_3)
	v_pk_add_f32 v[18:19], v[18:19], v[148:149] neg_lo:[0,1] neg_hi:[0,1]
	v_pk_add_f32 v[8:9], v[8:9], v[132:133] neg_lo:[0,1] neg_hi:[0,1]
	s_delay_alu instid0(VALU_DEP_3)
	v_pk_add_f32 v[126:127], v[126:127], v[140:141] neg_lo:[0,1] neg_hi:[0,1]
.LBB120_1217:
	s_or_b32 exec_lo, exec_lo, s0
	v_lshl_add_u32 v128, v138, 3, v135
	s_barrier_signal -1
	s_barrier_wait -1
	ds_store_b64 v128, v[18:19]
	s_wait_dscnt 0x0
	s_barrier_signal -1
	s_barrier_wait -1
	ds_load_b64 v[128:129], v135 offset:464
	v_mov_b32_e32 v130, 58
	s_cmp_lt_i32 s18, 60
	s_cbranch_scc1 .LBB120_1220
; %bb.1218:
	v_add3_u32 v131, v136, 0, 0x1d8
	v_mov_b32_e32 v130, 58
	s_mov_b32 s0, 59
.LBB120_1219:                           ; =>This Inner Loop Header: Depth=1
	ds_load_b64 v[132:133], v131
	s_wait_dscnt 0x1
	v_cmp_gt_f32_e32 vcc_lo, 0, v128
	v_cndmask_b32_e64 v140, v128, -v128, vcc_lo
	v_cmp_gt_f32_e32 vcc_lo, 0, v129
	v_cndmask_b32_e64 v142, v129, -v129, vcc_lo
	s_wait_dscnt 0x0
	v_cmp_gt_f32_e32 vcc_lo, 0, v132
	v_cndmask_b32_e64 v141, v132, -v132, vcc_lo
	v_cmp_gt_f32_e32 vcc_lo, 0, v133
	v_cndmask_b32_e64 v143, v133, -v133, vcc_lo
	s_delay_alu instid0(VALU_DEP_1) | instskip(NEXT) | instid1(VALU_DEP_1)
	v_pk_add_f32 v[140:141], v[140:141], v[142:143]
	v_cmp_lt_f32_e32 vcc_lo, v140, v141
	v_dual_add_nc_u32 v131, 8, v131 :: v_dual_cndmask_b32 v129, v129, v133, vcc_lo
	v_cndmask_b32_e32 v128, v128, v132, vcc_lo
	v_cndmask_b32_e64 v130, v130, s0, vcc_lo
	s_add_co_i32 s0, s0, 1
	s_delay_alu instid0(SALU_CYCLE_1)
	s_cmp_lg_u32 s18, s0
	s_cbranch_scc1 .LBB120_1219
.LBB120_1220:
	s_wait_dscnt 0x0
	v_cmp_eq_f32_e32 vcc_lo, 0, v128
	v_cmp_eq_f32_e64 s0, 0, v129
	s_and_b32 s0, vcc_lo, s0
	s_delay_alu instid0(SALU_CYCLE_1) | instskip(NEXT) | instid1(SALU_CYCLE_1)
	s_and_saveexec_b32 s1, s0
	s_xor_b32 s0, exec_lo, s1
; %bb.1221:
	v_cmp_ne_u32_e32 vcc_lo, 0, v134
	v_cndmask_b32_e32 v134, 59, v134, vcc_lo
; %bb.1222:
	s_and_not1_saveexec_b32 s0, s0
	s_cbranch_execz .LBB120_1228
; %bb.1223:
	v_cmp_ngt_f32_e64 s1, |v128|, |v129|
	s_and_saveexec_b32 s12, s1
	s_delay_alu instid0(SALU_CYCLE_1)
	s_xor_b32 s1, exec_lo, s12
	s_cbranch_execz .LBB120_1225
; %bb.1224:
	v_div_scale_f32 v131, null, v129, v129, v128
	v_div_scale_f32 v139, vcc_lo, v128, v129, v128
	s_delay_alu instid0(VALU_DEP_2) | instskip(SKIP_1) | instid1(TRANS32_DEP_1)
	v_rcp_f32_e32 v132, v131
	v_nop
	v_fma_f32 v133, -v131, v132, 1.0
	s_delay_alu instid0(VALU_DEP_1) | instskip(NEXT) | instid1(VALU_DEP_1)
	v_fmac_f32_e32 v132, v133, v132
	v_mul_f32_e32 v133, v139, v132
	s_delay_alu instid0(VALU_DEP_1) | instskip(NEXT) | instid1(VALU_DEP_1)
	v_fma_f32 v140, -v131, v133, v139
	v_fmac_f32_e32 v133, v140, v132
	s_delay_alu instid0(VALU_DEP_1) | instskip(NEXT) | instid1(VALU_DEP_1)
	v_fma_f32 v131, -v131, v133, v139
	v_div_fmas_f32 v131, v131, v132, v133
	s_delay_alu instid0(VALU_DEP_1) | instskip(NEXT) | instid1(VALU_DEP_1)
	v_div_fixup_f32 v131, v131, v129, v128
	v_fmac_f32_e32 v129, v128, v131
	s_delay_alu instid0(VALU_DEP_1) | instskip(SKIP_1) | instid1(VALU_DEP_2)
	v_div_scale_f32 v128, null, v129, v129, 1.0
	v_div_scale_f32 v139, vcc_lo, 1.0, v129, 1.0
	v_rcp_f32_e32 v132, v128
	v_nop
	s_delay_alu instid0(TRANS32_DEP_1) | instskip(NEXT) | instid1(VALU_DEP_1)
	v_fma_f32 v133, -v128, v132, 1.0
	v_fmac_f32_e32 v132, v133, v132
	s_delay_alu instid0(VALU_DEP_1) | instskip(NEXT) | instid1(VALU_DEP_1)
	v_mul_f32_e32 v133, v139, v132
	v_fma_f32 v140, -v128, v133, v139
	s_delay_alu instid0(VALU_DEP_1) | instskip(NEXT) | instid1(VALU_DEP_1)
	v_fmac_f32_e32 v133, v140, v132
	v_fma_f32 v128, -v128, v133, v139
	s_delay_alu instid0(VALU_DEP_1) | instskip(NEXT) | instid1(VALU_DEP_1)
	v_div_fmas_f32 v128, v128, v132, v133
	v_div_fixup_f32 v129, v128, v129, 1.0
	s_delay_alu instid0(VALU_DEP_1)
	v_mul_f32_e32 v128, v131, v129
	v_xor_b32_e32 v129, 0x80000000, v129
.LBB120_1225:
	s_and_not1_saveexec_b32 s1, s1
	s_cbranch_execz .LBB120_1227
; %bb.1226:
	s_delay_alu instid0(VALU_DEP_1) | instskip(SKIP_1) | instid1(VALU_DEP_2)
	v_div_scale_f32 v131, null, v128, v128, v129
	v_div_scale_f32 v139, vcc_lo, v129, v128, v129
	v_rcp_f32_e32 v132, v131
	v_nop
	s_delay_alu instid0(TRANS32_DEP_1) | instskip(NEXT) | instid1(VALU_DEP_1)
	v_fma_f32 v133, -v131, v132, 1.0
	v_fmac_f32_e32 v132, v133, v132
	s_delay_alu instid0(VALU_DEP_1) | instskip(NEXT) | instid1(VALU_DEP_1)
	v_mul_f32_e32 v133, v139, v132
	v_fma_f32 v140, -v131, v133, v139
	s_delay_alu instid0(VALU_DEP_1) | instskip(NEXT) | instid1(VALU_DEP_1)
	v_fmac_f32_e32 v133, v140, v132
	v_fma_f32 v131, -v131, v133, v139
	s_delay_alu instid0(VALU_DEP_1) | instskip(NEXT) | instid1(VALU_DEP_1)
	v_div_fmas_f32 v131, v131, v132, v133
	v_div_fixup_f32 v131, v131, v128, v129
	s_delay_alu instid0(VALU_DEP_1) | instskip(NEXT) | instid1(VALU_DEP_1)
	v_fmac_f32_e32 v128, v129, v131
	v_div_scale_f32 v129, null, v128, v128, 1.0
	s_delay_alu instid0(VALU_DEP_1) | instskip(SKIP_1) | instid1(TRANS32_DEP_1)
	v_rcp_f32_e32 v132, v129
	v_nop
	v_fma_f32 v133, -v129, v132, 1.0
	s_delay_alu instid0(VALU_DEP_1) | instskip(SKIP_1) | instid1(VALU_DEP_1)
	v_fmac_f32_e32 v132, v133, v132
	v_div_scale_f32 v133, vcc_lo, 1.0, v128, 1.0
	v_mul_f32_e32 v139, v133, v132
	s_delay_alu instid0(VALU_DEP_1) | instskip(NEXT) | instid1(VALU_DEP_1)
	v_fma_f32 v140, -v129, v139, v133
	v_fmac_f32_e32 v139, v140, v132
	s_delay_alu instid0(VALU_DEP_1) | instskip(NEXT) | instid1(VALU_DEP_1)
	v_fma_f32 v129, -v129, v139, v133
	v_div_fmas_f32 v129, v129, v132, v139
	s_delay_alu instid0(VALU_DEP_1) | instskip(NEXT) | instid1(VALU_DEP_1)
	v_div_fixup_f32 v128, v129, v128, 1.0
	v_mul_f32_e64 v129, v131, -v128
.LBB120_1227:
	s_or_b32 exec_lo, exec_lo, s1
.LBB120_1228:
	s_delay_alu instid0(SALU_CYCLE_1) | instskip(NEXT) | instid1(SALU_CYCLE_1)
	s_or_b32 exec_lo, exec_lo, s0
	s_mov_b32 s0, exec_lo
	v_cmpx_ne_u32_e64 v138, v130
	s_xor_b32 s0, exec_lo, s0
	s_cbranch_execz .LBB120_1234
; %bb.1229:
	s_mov_b32 s1, exec_lo
	v_cmpx_eq_u32_e32 58, v138
	s_cbranch_execz .LBB120_1233
; %bb.1230:
	v_cmp_ne_u32_e32 vcc_lo, 58, v130
	s_xor_b32 s12, s16, -1
	s_delay_alu instid0(SALU_CYCLE_1) | instskip(NEXT) | instid1(SALU_CYCLE_1)
	s_and_b32 s13, s12, vcc_lo
	s_and_saveexec_b32 s12, s13
	s_cbranch_execz .LBB120_1232
; %bb.1231:
	v_ashrrev_i32_e32 v131, 31, v130
	s_delay_alu instid0(VALU_DEP_1)
	v_lshl_add_u64 v[132:133], v[130:131], 2, v[4:5]
	s_clause 0x1
	global_load_b32 v131, v[132:133], off
	global_load_b32 v137, v[4:5], off offset:232
	s_wait_loadcnt 0x1
	global_store_b32 v[4:5], v131, off offset:232
	s_wait_loadcnt 0x0
	global_store_b32 v[132:133], v137, off
.LBB120_1232:
	s_wait_xcnt 0x0
	s_or_b32 exec_lo, exec_lo, s12
	v_dual_mov_b32 v138, v130 :: v_dual_mov_b32 v137, v130
.LBB120_1233:
	s_or_b32 exec_lo, exec_lo, s1
.LBB120_1234:
	s_and_not1_saveexec_b32 s0, s0
; %bb.1235:
	v_mov_b32_e32 v138, 58
	ds_store_2addr_b64 v135, v[8:9], v[126:127] offset0:59 offset1:60
; %bb.1236:
	s_or_b32 exec_lo, exec_lo, s0
	s_delay_alu instid0(SALU_CYCLE_1)
	s_mov_b32 s0, exec_lo
	s_wait_storecnt_dscnt 0x0
	s_barrier_signal -1
	s_barrier_wait -1
	v_cmpx_lt_i32_e32 58, v138
	s_cbranch_execz .LBB120_1238
; %bb.1237:
	ds_load_2addr_b64 v[130:133], v135 offset0:59 offset1:60
	v_pk_mul_f32 v[140:141], v[128:129], v[18:19] op_sel:[1,1] op_sel_hi:[0,1]
	s_delay_alu instid0(VALU_DEP_1) | instskip(SKIP_3) | instid1(VALU_DEP_3)
	v_pk_fma_f32 v[142:143], v[128:129], v[18:19], v[140:141] op_sel_hi:[1,0,1]
	v_pk_fma_f32 v[18:19], v[128:129], v[18:19], v[140:141] op_sel_hi:[1,0,1] neg_lo:[0,0,1] neg_hi:[0,0,1]
	s_wait_dscnt 0x0
	v_dual_mov_b32 v144, v133 :: v_dual_mov_b32 v145, v132
	v_pk_mul_f32 v[128:129], v[130:131], v[142:143] op_sel:[0,1]
	s_delay_alu instid0(VALU_DEP_2) | instskip(NEXT) | instid1(VALU_DEP_2)
	v_pk_mul_f32 v[140:141], v[144:145], v[142:143] op_sel:[0,1]
	v_pk_fma_f32 v[144:145], v[130:131], v[18:19], v[128:129] op_sel:[0,0,1] op_sel_hi:[1,0,0]
	v_pk_fma_f32 v[128:129], v[130:131], v[18:19], v[128:129] op_sel:[0,0,1] op_sel_hi:[1,1,0] neg_lo:[0,0,1] neg_hi:[0,0,1]
	s_delay_alu instid0(VALU_DEP_3) | instskip(SKIP_1) | instid1(VALU_DEP_4)
	v_pk_fma_f32 v[146:147], v[132:133], v[18:19], v[140:141] op_sel_hi:[1,0,1]
	v_pk_fma_f32 v[130:131], v[132:133], v[18:19], v[140:141] neg_lo:[0,0,1] neg_hi:[0,0,1]
	v_dual_mov_b32 v129, v145 :: v_dual_mov_b32 v19, v143
	s_delay_alu instid0(VALU_DEP_3) | instskip(NEXT) | instid1(VALU_DEP_2)
	v_mov_b32_e32 v131, v147
	v_pk_add_f32 v[8:9], v[8:9], v[128:129] neg_lo:[0,1] neg_hi:[0,1]
	s_delay_alu instid0(VALU_DEP_2)
	v_pk_add_f32 v[126:127], v[126:127], v[130:131] neg_lo:[0,1] neg_hi:[0,1]
.LBB120_1238:
	s_or_b32 exec_lo, exec_lo, s0
	v_lshl_add_u32 v128, v138, 3, v135
	s_barrier_signal -1
	s_barrier_wait -1
	ds_store_b64 v128, v[8:9]
	s_wait_dscnt 0x0
	s_barrier_signal -1
	s_barrier_wait -1
	ds_load_b64 v[128:129], v135 offset:472
	v_mov_b32_e32 v130, 59
	s_cmp_lt_i32 s18, 61
	s_cbranch_scc1 .LBB120_1241
; %bb.1239:
	v_add3_u32 v131, v136, 0, 0x1e0
	v_mov_b32_e32 v130, 59
	s_mov_b32 s0, 60
.LBB120_1240:                           ; =>This Inner Loop Header: Depth=1
	ds_load_b64 v[132:133], v131
	s_wait_dscnt 0x1
	v_cmp_gt_f32_e32 vcc_lo, 0, v128
	v_cndmask_b32_e64 v140, v128, -v128, vcc_lo
	v_cmp_gt_f32_e32 vcc_lo, 0, v129
	v_cndmask_b32_e64 v142, v129, -v129, vcc_lo
	s_wait_dscnt 0x0
	v_cmp_gt_f32_e32 vcc_lo, 0, v132
	v_cndmask_b32_e64 v141, v132, -v132, vcc_lo
	v_cmp_gt_f32_e32 vcc_lo, 0, v133
	v_cndmask_b32_e64 v143, v133, -v133, vcc_lo
	s_delay_alu instid0(VALU_DEP_1) | instskip(NEXT) | instid1(VALU_DEP_1)
	v_pk_add_f32 v[140:141], v[140:141], v[142:143]
	v_cmp_lt_f32_e32 vcc_lo, v140, v141
	v_dual_add_nc_u32 v131, 8, v131 :: v_dual_cndmask_b32 v129, v129, v133, vcc_lo
	v_cndmask_b32_e32 v128, v128, v132, vcc_lo
	v_cndmask_b32_e64 v130, v130, s0, vcc_lo
	s_add_co_i32 s0, s0, 1
	s_delay_alu instid0(SALU_CYCLE_1)
	s_cmp_lg_u32 s18, s0
	s_cbranch_scc1 .LBB120_1240
.LBB120_1241:
	s_wait_dscnt 0x0
	v_cmp_eq_f32_e32 vcc_lo, 0, v128
	v_cmp_eq_f32_e64 s0, 0, v129
	s_and_b32 s0, vcc_lo, s0
	s_delay_alu instid0(SALU_CYCLE_1) | instskip(NEXT) | instid1(SALU_CYCLE_1)
	s_and_saveexec_b32 s1, s0
	s_xor_b32 s0, exec_lo, s1
; %bb.1242:
	v_cmp_ne_u32_e32 vcc_lo, 0, v134
	v_cndmask_b32_e32 v134, 60, v134, vcc_lo
; %bb.1243:
	s_and_not1_saveexec_b32 s0, s0
	s_cbranch_execz .LBB120_1249
; %bb.1244:
	v_cmp_ngt_f32_e64 s1, |v128|, |v129|
	s_and_saveexec_b32 s12, s1
	s_delay_alu instid0(SALU_CYCLE_1)
	s_xor_b32 s1, exec_lo, s12
	s_cbranch_execz .LBB120_1246
; %bb.1245:
	v_div_scale_f32 v131, null, v129, v129, v128
	v_div_scale_f32 v139, vcc_lo, v128, v129, v128
	s_delay_alu instid0(VALU_DEP_2) | instskip(SKIP_1) | instid1(TRANS32_DEP_1)
	v_rcp_f32_e32 v132, v131
	v_nop
	v_fma_f32 v133, -v131, v132, 1.0
	s_delay_alu instid0(VALU_DEP_1) | instskip(NEXT) | instid1(VALU_DEP_1)
	v_fmac_f32_e32 v132, v133, v132
	v_mul_f32_e32 v133, v139, v132
	s_delay_alu instid0(VALU_DEP_1) | instskip(NEXT) | instid1(VALU_DEP_1)
	v_fma_f32 v140, -v131, v133, v139
	v_fmac_f32_e32 v133, v140, v132
	s_delay_alu instid0(VALU_DEP_1) | instskip(NEXT) | instid1(VALU_DEP_1)
	v_fma_f32 v131, -v131, v133, v139
	v_div_fmas_f32 v131, v131, v132, v133
	s_delay_alu instid0(VALU_DEP_1) | instskip(NEXT) | instid1(VALU_DEP_1)
	v_div_fixup_f32 v131, v131, v129, v128
	v_fmac_f32_e32 v129, v128, v131
	s_delay_alu instid0(VALU_DEP_1) | instskip(SKIP_1) | instid1(VALU_DEP_2)
	v_div_scale_f32 v128, null, v129, v129, 1.0
	v_div_scale_f32 v139, vcc_lo, 1.0, v129, 1.0
	v_rcp_f32_e32 v132, v128
	v_nop
	s_delay_alu instid0(TRANS32_DEP_1) | instskip(NEXT) | instid1(VALU_DEP_1)
	v_fma_f32 v133, -v128, v132, 1.0
	v_fmac_f32_e32 v132, v133, v132
	s_delay_alu instid0(VALU_DEP_1) | instskip(NEXT) | instid1(VALU_DEP_1)
	v_mul_f32_e32 v133, v139, v132
	v_fma_f32 v140, -v128, v133, v139
	s_delay_alu instid0(VALU_DEP_1) | instskip(NEXT) | instid1(VALU_DEP_1)
	v_fmac_f32_e32 v133, v140, v132
	v_fma_f32 v128, -v128, v133, v139
	s_delay_alu instid0(VALU_DEP_1) | instskip(NEXT) | instid1(VALU_DEP_1)
	v_div_fmas_f32 v128, v128, v132, v133
	v_div_fixup_f32 v129, v128, v129, 1.0
	s_delay_alu instid0(VALU_DEP_1)
	v_mul_f32_e32 v128, v131, v129
	v_xor_b32_e32 v129, 0x80000000, v129
.LBB120_1246:
	s_and_not1_saveexec_b32 s1, s1
	s_cbranch_execz .LBB120_1248
; %bb.1247:
	s_delay_alu instid0(VALU_DEP_1) | instskip(SKIP_1) | instid1(VALU_DEP_2)
	v_div_scale_f32 v131, null, v128, v128, v129
	v_div_scale_f32 v139, vcc_lo, v129, v128, v129
	v_rcp_f32_e32 v132, v131
	v_nop
	s_delay_alu instid0(TRANS32_DEP_1) | instskip(NEXT) | instid1(VALU_DEP_1)
	v_fma_f32 v133, -v131, v132, 1.0
	v_fmac_f32_e32 v132, v133, v132
	s_delay_alu instid0(VALU_DEP_1) | instskip(NEXT) | instid1(VALU_DEP_1)
	v_mul_f32_e32 v133, v139, v132
	v_fma_f32 v140, -v131, v133, v139
	s_delay_alu instid0(VALU_DEP_1) | instskip(NEXT) | instid1(VALU_DEP_1)
	v_fmac_f32_e32 v133, v140, v132
	v_fma_f32 v131, -v131, v133, v139
	s_delay_alu instid0(VALU_DEP_1) | instskip(NEXT) | instid1(VALU_DEP_1)
	v_div_fmas_f32 v131, v131, v132, v133
	v_div_fixup_f32 v131, v131, v128, v129
	s_delay_alu instid0(VALU_DEP_1) | instskip(NEXT) | instid1(VALU_DEP_1)
	v_fmac_f32_e32 v128, v129, v131
	v_div_scale_f32 v129, null, v128, v128, 1.0
	s_delay_alu instid0(VALU_DEP_1) | instskip(SKIP_1) | instid1(TRANS32_DEP_1)
	v_rcp_f32_e32 v132, v129
	v_nop
	v_fma_f32 v133, -v129, v132, 1.0
	s_delay_alu instid0(VALU_DEP_1) | instskip(SKIP_1) | instid1(VALU_DEP_1)
	v_fmac_f32_e32 v132, v133, v132
	v_div_scale_f32 v133, vcc_lo, 1.0, v128, 1.0
	v_mul_f32_e32 v139, v133, v132
	s_delay_alu instid0(VALU_DEP_1) | instskip(NEXT) | instid1(VALU_DEP_1)
	v_fma_f32 v140, -v129, v139, v133
	v_fmac_f32_e32 v139, v140, v132
	s_delay_alu instid0(VALU_DEP_1) | instskip(NEXT) | instid1(VALU_DEP_1)
	v_fma_f32 v129, -v129, v139, v133
	v_div_fmas_f32 v129, v129, v132, v139
	s_delay_alu instid0(VALU_DEP_1) | instskip(NEXT) | instid1(VALU_DEP_1)
	v_div_fixup_f32 v128, v129, v128, 1.0
	v_mul_f32_e64 v129, v131, -v128
.LBB120_1248:
	s_or_b32 exec_lo, exec_lo, s1
.LBB120_1249:
	s_delay_alu instid0(SALU_CYCLE_1) | instskip(NEXT) | instid1(SALU_CYCLE_1)
	s_or_b32 exec_lo, exec_lo, s0
	s_mov_b32 s0, exec_lo
	v_cmpx_ne_u32_e64 v138, v130
	s_xor_b32 s0, exec_lo, s0
	s_cbranch_execz .LBB120_1255
; %bb.1250:
	s_mov_b32 s1, exec_lo
	v_cmpx_eq_u32_e32 59, v138
	s_cbranch_execz .LBB120_1254
; %bb.1251:
	v_cmp_ne_u32_e32 vcc_lo, 59, v130
	s_xor_b32 s12, s16, -1
	s_delay_alu instid0(SALU_CYCLE_1) | instskip(NEXT) | instid1(SALU_CYCLE_1)
	s_and_b32 s13, s12, vcc_lo
	s_and_saveexec_b32 s12, s13
	s_cbranch_execz .LBB120_1253
; %bb.1252:
	v_ashrrev_i32_e32 v131, 31, v130
	s_delay_alu instid0(VALU_DEP_1)
	v_lshl_add_u64 v[132:133], v[130:131], 2, v[4:5]
	s_clause 0x1
	global_load_b32 v131, v[132:133], off
	global_load_b32 v137, v[4:5], off offset:236
	s_wait_loadcnt 0x1
	global_store_b32 v[4:5], v131, off offset:236
	s_wait_loadcnt 0x0
	global_store_b32 v[132:133], v137, off
.LBB120_1253:
	s_wait_xcnt 0x0
	s_or_b32 exec_lo, exec_lo, s12
	v_dual_mov_b32 v138, v130 :: v_dual_mov_b32 v137, v130
.LBB120_1254:
	s_or_b32 exec_lo, exec_lo, s1
.LBB120_1255:
	s_and_not1_saveexec_b32 s0, s0
; %bb.1256:
	v_mov_b32_e32 v138, 59
	ds_store_b64 v135, v[126:127] offset:480
; %bb.1257:
	s_or_b32 exec_lo, exec_lo, s0
	s_delay_alu instid0(SALU_CYCLE_1)
	s_mov_b32 s0, exec_lo
	s_wait_storecnt_dscnt 0x0
	s_barrier_signal -1
	s_barrier_wait -1
	v_cmpx_lt_i32_e32 59, v138
	s_cbranch_execz .LBB120_1259
; %bb.1258:
	ds_load_b64 v[130:131], v135 offset:480
	v_pk_mul_f32 v[132:133], v[128:129], v[8:9] op_sel:[1,1] op_sel_hi:[0,1]
	s_delay_alu instid0(VALU_DEP_1) | instskip(SKIP_2) | instid1(VALU_DEP_2)
	v_pk_fma_f32 v[140:141], v[128:129], v[8:9], v[132:133] op_sel_hi:[1,0,1]
	v_pk_fma_f32 v[8:9], v[128:129], v[8:9], v[132:133] op_sel_hi:[1,0,1] neg_lo:[0,0,1] neg_hi:[0,0,1]
	s_wait_dscnt 0x0
	v_pk_mul_f32 v[128:129], v[130:131], v[140:141] op_sel:[1,1] op_sel_hi:[0,1]
	s_delay_alu instid0(VALU_DEP_1) | instskip(SKIP_1) | instid1(VALU_DEP_2)
	v_pk_fma_f32 v[132:133], v[130:131], v[8:9], v[128:129] op_sel_hi:[1,0,1]
	v_pk_fma_f32 v[128:129], v[130:131], v[8:9], v[128:129] neg_lo:[0,0,1] neg_hi:[0,0,1]
	v_dual_mov_b32 v9, v141 :: v_dual_mov_b32 v129, v133
	s_delay_alu instid0(VALU_DEP_1)
	v_pk_add_f32 v[126:127], v[126:127], v[128:129] neg_lo:[0,1] neg_hi:[0,1]
.LBB120_1259:
	s_or_b32 exec_lo, exec_lo, s0
	v_lshl_add_u32 v128, v138, 3, v135
	s_barrier_signal -1
	s_barrier_wait -1
	ds_store_b64 v128, v[126:127]
	s_wait_dscnt 0x0
	s_barrier_signal -1
	s_barrier_wait -1
	ds_load_b64 v[128:129], v135 offset:480
	v_mov_b32_e32 v130, 60
	s_cmp_lt_i32 s18, 62
	s_cbranch_scc1 .LBB120_1262
; %bb.1260:
	v_add3_u32 v131, v136, 0, 0x1e8
	v_mov_b32_e32 v130, 60
	s_mov_b32 s0, 61
.LBB120_1261:                           ; =>This Inner Loop Header: Depth=1
	ds_load_b64 v[132:133], v131
	s_wait_dscnt 0x1
	v_cmp_gt_f32_e32 vcc_lo, 0, v128
	v_cndmask_b32_e64 v140, v128, -v128, vcc_lo
	v_cmp_gt_f32_e32 vcc_lo, 0, v129
	v_cndmask_b32_e64 v142, v129, -v129, vcc_lo
	s_wait_dscnt 0x0
	v_cmp_gt_f32_e32 vcc_lo, 0, v132
	v_cndmask_b32_e64 v141, v132, -v132, vcc_lo
	v_cmp_gt_f32_e32 vcc_lo, 0, v133
	v_cndmask_b32_e64 v143, v133, -v133, vcc_lo
	s_delay_alu instid0(VALU_DEP_1) | instskip(NEXT) | instid1(VALU_DEP_1)
	v_pk_add_f32 v[140:141], v[140:141], v[142:143]
	v_cmp_lt_f32_e32 vcc_lo, v140, v141
	v_dual_add_nc_u32 v131, 8, v131 :: v_dual_cndmask_b32 v129, v129, v133, vcc_lo
	v_cndmask_b32_e32 v128, v128, v132, vcc_lo
	v_cndmask_b32_e64 v130, v130, s0, vcc_lo
	s_add_co_i32 s0, s0, 1
	s_delay_alu instid0(SALU_CYCLE_1)
	s_cmp_lg_u32 s18, s0
	s_cbranch_scc1 .LBB120_1261
.LBB120_1262:
	s_wait_dscnt 0x0
	v_cmp_eq_f32_e32 vcc_lo, 0, v128
	v_cmp_eq_f32_e64 s0, 0, v129
	s_and_b32 s0, vcc_lo, s0
	s_delay_alu instid0(SALU_CYCLE_1) | instskip(NEXT) | instid1(SALU_CYCLE_1)
	s_and_saveexec_b32 s1, s0
	s_xor_b32 s0, exec_lo, s1
; %bb.1263:
	v_cmp_ne_u32_e32 vcc_lo, 0, v134
	v_cndmask_b32_e32 v134, 61, v134, vcc_lo
; %bb.1264:
	s_and_not1_saveexec_b32 s0, s0
	s_cbranch_execz .LBB120_1270
; %bb.1265:
	v_cmp_ngt_f32_e64 s1, |v128|, |v129|
	s_and_saveexec_b32 s12, s1
	s_delay_alu instid0(SALU_CYCLE_1)
	s_xor_b32 s1, exec_lo, s12
	s_cbranch_execz .LBB120_1267
; %bb.1266:
	v_div_scale_f32 v131, null, v129, v129, v128
	v_div_scale_f32 v135, vcc_lo, v128, v129, v128
	s_delay_alu instid0(VALU_DEP_2) | instskip(SKIP_1) | instid1(TRANS32_DEP_1)
	v_rcp_f32_e32 v132, v131
	v_nop
	v_fma_f32 v133, -v131, v132, 1.0
	s_delay_alu instid0(VALU_DEP_1) | instskip(NEXT) | instid1(VALU_DEP_1)
	v_fmac_f32_e32 v132, v133, v132
	v_mul_f32_e32 v133, v135, v132
	s_delay_alu instid0(VALU_DEP_1) | instskip(NEXT) | instid1(VALU_DEP_1)
	v_fma_f32 v136, -v131, v133, v135
	v_fmac_f32_e32 v133, v136, v132
	s_delay_alu instid0(VALU_DEP_1) | instskip(NEXT) | instid1(VALU_DEP_1)
	v_fma_f32 v131, -v131, v133, v135
	v_div_fmas_f32 v131, v131, v132, v133
	s_delay_alu instid0(VALU_DEP_1) | instskip(NEXT) | instid1(VALU_DEP_1)
	v_div_fixup_f32 v131, v131, v129, v128
	v_fmac_f32_e32 v129, v128, v131
	s_delay_alu instid0(VALU_DEP_1) | instskip(SKIP_1) | instid1(VALU_DEP_2)
	v_div_scale_f32 v128, null, v129, v129, 1.0
	v_div_scale_f32 v135, vcc_lo, 1.0, v129, 1.0
	v_rcp_f32_e32 v132, v128
	v_nop
	s_delay_alu instid0(TRANS32_DEP_1) | instskip(NEXT) | instid1(VALU_DEP_1)
	v_fma_f32 v133, -v128, v132, 1.0
	v_fmac_f32_e32 v132, v133, v132
	s_delay_alu instid0(VALU_DEP_1) | instskip(NEXT) | instid1(VALU_DEP_1)
	v_mul_f32_e32 v133, v135, v132
	v_fma_f32 v136, -v128, v133, v135
	s_delay_alu instid0(VALU_DEP_1) | instskip(NEXT) | instid1(VALU_DEP_1)
	v_fmac_f32_e32 v133, v136, v132
	v_fma_f32 v128, -v128, v133, v135
	s_delay_alu instid0(VALU_DEP_1) | instskip(NEXT) | instid1(VALU_DEP_1)
	v_div_fmas_f32 v128, v128, v132, v133
	v_div_fixup_f32 v129, v128, v129, 1.0
	s_delay_alu instid0(VALU_DEP_1)
	v_mul_f32_e32 v128, v131, v129
	v_xor_b32_e32 v129, 0x80000000, v129
.LBB120_1267:
	s_and_not1_saveexec_b32 s1, s1
	s_cbranch_execz .LBB120_1269
; %bb.1268:
	s_delay_alu instid0(VALU_DEP_1) | instskip(SKIP_1) | instid1(VALU_DEP_2)
	v_div_scale_f32 v131, null, v128, v128, v129
	v_div_scale_f32 v135, vcc_lo, v129, v128, v129
	v_rcp_f32_e32 v132, v131
	v_nop
	s_delay_alu instid0(TRANS32_DEP_1) | instskip(NEXT) | instid1(VALU_DEP_1)
	v_fma_f32 v133, -v131, v132, 1.0
	v_fmac_f32_e32 v132, v133, v132
	s_delay_alu instid0(VALU_DEP_1) | instskip(NEXT) | instid1(VALU_DEP_1)
	v_mul_f32_e32 v133, v135, v132
	v_fma_f32 v136, -v131, v133, v135
	s_delay_alu instid0(VALU_DEP_1) | instskip(NEXT) | instid1(VALU_DEP_1)
	v_fmac_f32_e32 v133, v136, v132
	v_fma_f32 v131, -v131, v133, v135
	s_delay_alu instid0(VALU_DEP_1) | instskip(NEXT) | instid1(VALU_DEP_1)
	v_div_fmas_f32 v131, v131, v132, v133
	v_div_fixup_f32 v131, v131, v128, v129
	s_delay_alu instid0(VALU_DEP_1) | instskip(NEXT) | instid1(VALU_DEP_1)
	v_fmac_f32_e32 v128, v129, v131
	v_div_scale_f32 v129, null, v128, v128, 1.0
	s_delay_alu instid0(VALU_DEP_1) | instskip(SKIP_1) | instid1(TRANS32_DEP_1)
	v_rcp_f32_e32 v132, v129
	v_nop
	v_fma_f32 v133, -v129, v132, 1.0
	s_delay_alu instid0(VALU_DEP_1) | instskip(SKIP_1) | instid1(VALU_DEP_1)
	v_fmac_f32_e32 v132, v133, v132
	v_div_scale_f32 v133, vcc_lo, 1.0, v128, 1.0
	v_mul_f32_e32 v135, v133, v132
	s_delay_alu instid0(VALU_DEP_1) | instskip(NEXT) | instid1(VALU_DEP_1)
	v_fma_f32 v136, -v129, v135, v133
	v_fmac_f32_e32 v135, v136, v132
	s_delay_alu instid0(VALU_DEP_1) | instskip(NEXT) | instid1(VALU_DEP_1)
	v_fma_f32 v129, -v129, v135, v133
	v_div_fmas_f32 v129, v129, v132, v135
	s_delay_alu instid0(VALU_DEP_1) | instskip(NEXT) | instid1(VALU_DEP_1)
	v_div_fixup_f32 v128, v129, v128, 1.0
	v_mul_f32_e64 v129, v131, -v128
.LBB120_1269:
	s_or_b32 exec_lo, exec_lo, s1
.LBB120_1270:
	s_delay_alu instid0(SALU_CYCLE_1)
	s_or_b32 exec_lo, exec_lo, s0
	v_mov_b32_e32 v132, 60
	s_mov_b32 s0, exec_lo
	v_cmpx_ne_u32_e64 v138, v130
	s_cbranch_execz .LBB120_1276
; %bb.1271:
	s_mov_b32 s1, exec_lo
	v_cmpx_eq_u32_e32 60, v138
	s_cbranch_execz .LBB120_1275
; %bb.1272:
	v_cmp_ne_u32_e32 vcc_lo, 60, v130
	s_xor_b32 s12, s16, -1
	s_delay_alu instid0(SALU_CYCLE_1) | instskip(NEXT) | instid1(SALU_CYCLE_1)
	s_and_b32 s13, s12, vcc_lo
	s_and_saveexec_b32 s12, s13
	s_cbranch_execz .LBB120_1274
; %bb.1273:
	v_ashrrev_i32_e32 v131, 31, v130
	s_delay_alu instid0(VALU_DEP_1)
	v_lshl_add_u64 v[132:133], v[130:131], 2, v[4:5]
	s_clause 0x1
	global_load_b32 v131, v[132:133], off
	global_load_b32 v135, v[4:5], off offset:240
	s_wait_loadcnt 0x1
	global_store_b32 v[4:5], v131, off offset:240
	s_wait_loadcnt 0x0
	global_store_b32 v[132:133], v135, off
.LBB120_1274:
	s_wait_xcnt 0x0
	s_or_b32 exec_lo, exec_lo, s12
	v_dual_mov_b32 v138, v130 :: v_dual_mov_b32 v137, v130
.LBB120_1275:
	s_or_b32 exec_lo, exec_lo, s1
	s_delay_alu instid0(VALU_DEP_1)
	v_mov_b32_e32 v132, v138
.LBB120_1276:
	s_or_b32 exec_lo, exec_lo, s0
	s_delay_alu instid0(VALU_DEP_1)
	v_ashrrev_i32_e32 v133, 31, v132
	s_mov_b32 s0, exec_lo
	s_wait_storecnt 0x0
	s_barrier_signal -1
	s_barrier_wait -1
	s_barrier_signal -1
	s_barrier_wait -1
	v_cmpx_gt_i32_e32 61, v132
	s_cbranch_execz .LBB120_1278
; %bb.1277:
	v_mul_u64_e32 v[4:5], s[10:11], v[2:3]
	v_add3_u32 v130, v137, s17, 1
	s_delay_alu instid0(VALU_DEP_2) | instskip(NEXT) | instid1(VALU_DEP_1)
	v_lshl_add_u64 v[4:5], v[4:5], 2, s[6:7]
	v_lshl_add_u64 v[4:5], s[8:9], 2, v[4:5]
	s_delay_alu instid0(VALU_DEP_1)
	v_lshl_add_u64 v[4:5], v[132:133], 2, v[4:5]
	global_store_b32 v[4:5], v130, off
.LBB120_1278:
	s_wait_xcnt 0x0
	s_or_b32 exec_lo, exec_lo, s0
	s_delay_alu instid0(SALU_CYCLE_1)
	s_mov_b32 s1, exec_lo
	v_cmpx_eq_u32_e32 0, v132
	s_cbranch_execz .LBB120_1281
; %bb.1279:
	s_wait_kmcnt 0x0
	v_lshl_add_u64 v[2:3], v[2:3], 2, s[4:5]
	v_cmp_ne_u32_e64 s0, 0, v134
	global_load_b32 v4, v[2:3], off
	s_wait_loadcnt 0x0
	v_cmp_eq_u32_e32 vcc_lo, 0, v4
	s_and_b32 s0, vcc_lo, s0
	s_wait_xcnt 0x0
	s_and_b32 exec_lo, exec_lo, s0
	s_cbranch_execz .LBB120_1281
; %bb.1280:
	v_add_nc_u32_e32 v4, s17, v134
	global_store_b32 v[2:3], v4, off
.LBB120_1281:
	s_wait_xcnt 0x0
	s_or_b32 exec_lo, exec_lo, s1
	v_add3_u32 v4, s2, s2, v132
	v_pk_mul_f32 v[2:3], v[128:129], v[126:127] op_sel:[1,1] op_sel_hi:[0,1]
	v_cmp_lt_i32_e32 vcc_lo, 60, v132
	v_lshl_add_u64 v[132:133], v[132:133], 3, v[0:1]
	s_delay_alu instid0(VALU_DEP_4) | instskip(NEXT) | instid1(VALU_DEP_4)
	v_add_nc_u32_e32 v130, s2, v4
	v_pk_fma_f32 v[154:155], v[128:129], v[126:127], v[2:3] op_sel_hi:[1,0,1]
	v_pk_fma_f32 v[2:3], v[128:129], v[126:127], v[2:3] neg_lo:[0,0,1] neg_hi:[0,0,1]
	global_store_b64 v[132:133], v[124:125], off
	s_wait_xcnt 0x0
	v_lshl_add_u64 v[124:125], s[2:3], 3, v[132:133]
	v_dual_cndmask_b32 v3, v127, v155 :: v_dual_add_nc_u32 v134, s2, v130
	v_dual_cndmask_b32 v2, v126, v2 :: v_dual_ashrrev_i32 v5, 31, v4
	global_store_b64 v[124:125], v[122:123], off
	v_add_nc_u32_e32 v136, s2, v134
	v_ashrrev_i32_e32 v131, 31, v130
	v_lshl_add_u64 v[4:5], v[4:5], 3, v[0:1]
	s_delay_alu instid0(VALU_DEP_3)
	v_dual_add_nc_u32 v138, s2, v136 :: v_dual_ashrrev_i32 v137, 31, v136
	v_ashrrev_i32_e32 v135, 31, v134
	global_store_b64 v[4:5], v[120:121], off
	s_wait_xcnt 0x0
	v_lshl_add_u64 v[4:5], v[130:131], 3, v[0:1]
	v_dual_add_nc_u32 v140, s2, v138 :: v_dual_ashrrev_i32 v139, 31, v138
	v_lshl_add_u64 v[130:131], v[134:135], 3, v[0:1]
	v_lshl_add_u64 v[134:135], v[136:137], 3, v[0:1]
	global_store_b64 v[4:5], v[118:119], off
	v_add_nc_u32_e32 v142, s2, v140
	v_lshl_add_u64 v[136:137], v[138:139], 3, v[0:1]
	s_delay_alu instid0(VALU_DEP_2) | instskip(NEXT) | instid1(VALU_DEP_1)
	v_add_nc_u32_e32 v144, s2, v142
	v_add_nc_u32_e32 v146, s2, v144
	s_delay_alu instid0(VALU_DEP_1) | instskip(SKIP_1) | instid1(VALU_DEP_2)
	v_add_nc_u32_e32 v148, s2, v146
	v_ashrrev_i32_e32 v143, 31, v142
	v_dual_ashrrev_i32 v147, 31, v146 :: v_dual_add_nc_u32 v150, s2, v148
	s_delay_alu instid0(VALU_DEP_1) | instskip(SKIP_1) | instid1(VALU_DEP_1)
	v_dual_ashrrev_i32 v149, 31, v148 :: v_dual_ashrrev_i32 v151, 31, v150
	v_add_nc_u32_e32 v152, s2, v150
	v_add_nc_u32_e32 v128, s2, v152
	s_delay_alu instid0(VALU_DEP_1) | instskip(NEXT) | instid1(VALU_DEP_1)
	v_add_nc_u32_e32 v126, s2, v128
	v_dual_add_nc_u32 v154, s2, v126 :: v_dual_ashrrev_i32 v129, 31, v128
	s_delay_alu instid0(VALU_DEP_1) | instskip(NEXT) | instid1(VALU_DEP_1)
	v_dual_ashrrev_i32 v155, 31, v154 :: v_dual_add_nc_u32 v132, s2, v154
	v_dual_ashrrev_i32 v127, 31, v126 :: v_dual_add_nc_u32 v122, s2, v132
	s_delay_alu instid0(VALU_DEP_1) | instskip(NEXT) | instid1(VALU_DEP_1)
	v_dual_add_nc_u32 v124, s2, v122 :: v_dual_ashrrev_i32 v123, 31, v122
	v_add_nc_u32_e32 v120, s2, v124
	s_wait_xcnt 0x0
	s_delay_alu instid0(VALU_DEP_1) | instskip(NEXT) | instid1(VALU_DEP_1)
	v_add_nc_u32_e32 v4, s2, v120
	v_add_nc_u32_e32 v118, s2, v4
	s_delay_alu instid0(VALU_DEP_1) | instskip(NEXT) | instid1(VALU_DEP_1)
	v_dual_ashrrev_i32 v141, 31, v140 :: v_dual_ashrrev_i32 v119, 31, v118
	v_lshl_add_u64 v[138:139], v[140:141], 3, v[0:1]
	v_add_nc_u32_e32 v140, s2, v118
	s_clause 0x3
	global_store_b64 v[130:131], v[116:117], off
	global_store_b64 v[134:135], v[112:113], off
	;; [unrolled: 1-line block ×4, first 2 shown]
	s_wait_xcnt 0x1
	v_lshl_add_u64 v[114:115], v[142:143], 3, v[0:1]
	v_lshl_add_u64 v[130:131], v[146:147], 3, v[0:1]
	;; [unrolled: 1-line block ×3, first 2 shown]
	s_wait_xcnt 0x0
	v_add_nc_u32_e32 v110, s2, v140
	v_ashrrev_i32_e32 v145, 31, v144
	s_delay_alu instid0(VALU_DEP_2) | instskip(SKIP_1) | instid1(VALU_DEP_3)
	v_dual_ashrrev_i32 v5, 31, v4 :: v_dual_ashrrev_i32 v111, 31, v110
	v_add_nc_u32_e32 v112, s2, v110
	v_lshl_add_u64 v[116:117], v[144:145], 3, v[0:1]
	s_clause 0x3
	global_store_b64 v[114:115], v[108:109], off
	global_store_b64 v[116:117], v[104:105], off
	;; [unrolled: 1-line block ×4, first 2 shown]
	v_add_nc_u32_e32 v136, s2, v112
	s_wait_xcnt 0x1
	v_lshl_add_u64 v[106:107], v[150:151], 3, v[0:1]
	v_lshl_add_u64 v[116:117], v[126:127], 3, v[0:1]
	;; [unrolled: 1-line block ×4, first 2 shown]
	s_wait_xcnt 0x0
	v_add_nc_u32_e32 v102, s2, v136
	v_ashrrev_i32_e32 v153, 31, v152
	s_delay_alu instid0(VALU_DEP_2) | instskip(NEXT) | instid1(VALU_DEP_2)
	v_dual_ashrrev_i32 v137, 31, v136 :: v_dual_add_nc_u32 v104, s2, v102
	v_lshl_add_u64 v[108:109], v[152:153], 3, v[0:1]
	s_clause 0x3
	global_store_b64 v[106:107], v[100:101], off
	global_store_b64 v[108:109], v[96:97], off
	;; [unrolled: 1-line block ×4, first 2 shown]
	v_add_nc_u32_e32 v126, s2, v104
	s_wait_xcnt 0x1
	v_lshl_add_u64 v[98:99], v[154:155], 3, v[0:1]
	v_lshl_add_u64 v[106:107], v[122:123], 3, v[0:1]
	s_wait_xcnt 0x0
	v_dual_ashrrev_i32 v105, 31, v104 :: v_dual_add_nc_u32 v94, s2, v126
	v_ashrrev_i32_e32 v133, 31, v132
	v_dual_ashrrev_i32 v141, 31, v140 :: v_dual_ashrrev_i32 v103, 31, v102
	s_delay_alu instid0(VALU_DEP_3) | instskip(SKIP_1) | instid1(VALU_DEP_4)
	v_dual_ashrrev_i32 v113, 31, v112 :: v_dual_ashrrev_i32 v95, 31, v94
	v_add_nc_u32_e32 v96, s2, v94
	v_lshl_add_u64 v[100:101], v[132:133], 3, v[0:1]
	s_delay_alu instid0(VALU_DEP_2) | instskip(NEXT) | instid1(VALU_DEP_1)
	v_dual_ashrrev_i32 v127, 31, v126 :: v_dual_add_nc_u32 v114, s2, v96
	v_dual_ashrrev_i32 v125, 31, v124 :: v_dual_ashrrev_i32 v115, 31, v114
	s_delay_alu instid0(VALU_DEP_1)
	v_lshl_add_u64 v[108:109], v[124:125], 3, v[0:1]
	s_clause 0x3
	global_store_b64 v[98:99], v[92:93], off
	global_store_b64 v[100:101], v[88:89], off
	;; [unrolled: 1-line block ×4, first 2 shown]
	s_wait_xcnt 0x0
	v_dual_add_nc_u32 v86, s2, v114 :: v_dual_ashrrev_i32 v121, 31, v120
	v_lshl_add_u64 v[92:93], v[118:119], 3, v[0:1]
	v_lshl_add_u64 v[98:99], v[140:141], 3, v[0:1]
	s_delay_alu instid0(VALU_DEP_3) | instskip(NEXT) | instid1(VALU_DEP_4)
	v_add_nc_u32_e32 v88, s2, v86
	v_lshl_add_u64 v[90:91], v[120:121], 3, v[0:1]
	s_clause 0x3
	global_store_b64 v[90:91], v[84:85], off
	global_store_b64 v[4:5], v[80:81], off
	;; [unrolled: 1-line block ×4, first 2 shown]
	v_add_nc_u32_e32 v100, s2, v88
	s_wait_xcnt 0x2
	v_lshl_add_u64 v[80:81], v[110:111], 3, v[0:1]
	s_wait_xcnt 0x1
	v_lshl_add_u64 v[82:83], v[112:113], 3, v[0:1]
	v_lshl_add_u64 v[84:85], v[136:137], 3, v[0:1]
	;; [unrolled: 1-line block ×3, first 2 shown]
	v_add_nc_u32_e32 v4, s2, v100
	s_clause 0x3
	global_store_b64 v[80:81], v[76:77], off
	global_store_b64 v[82:83], v[72:73], off
	;; [unrolled: 1-line block ×4, first 2 shown]
	s_wait_xcnt 0x1
	v_lshl_add_u64 v[74:75], v[104:105], 3, v[0:1]
	v_ashrrev_i32_e32 v87, 31, v86
	v_lshl_add_u64 v[76:77], v[126:127], 3, v[0:1]
	v_add_nc_u32_e32 v78, s2, v4
	v_ashrrev_i32_e32 v97, 31, v96
	v_lshl_add_u64 v[80:81], v[94:95], 3, v[0:1]
	s_delay_alu instid0(VALU_DEP_3) | instskip(SKIP_1) | instid1(VALU_DEP_4)
	v_dual_ashrrev_i32 v5, 31, v4 :: v_dual_add_nc_u32 v92, s2, v78
	v_ashrrev_i32_e32 v79, 31, v78
	v_lshl_add_u64 v[82:83], v[96:97], 3, v[0:1]
	s_clause 0x3
	global_store_b64 v[74:75], v[68:69], off
	global_store_b64 v[76:77], v[64:65], off
	;; [unrolled: 1-line block ×4, first 2 shown]
	s_wait_xcnt 0x4
	v_add_nc_u32_e32 v70, s2, v92
	v_ashrrev_i32_e32 v101, 31, v100
	s_wait_xcnt 0x1
	v_lshl_add_u64 v[66:67], v[114:115], 3, v[0:1]
	v_lshl_add_u64 v[68:69], v[86:87], 3, v[0:1]
	;; [unrolled: 1-line block ×3, first 2 shown]
	v_dual_add_nc_u32 v72, s2, v70 :: v_dual_ashrrev_i32 v71, 31, v70
	v_lshl_add_u64 v[76:77], v[100:101], 3, v[0:1]
	s_delay_alu instid0(VALU_DEP_2) | instskip(SKIP_1) | instid1(VALU_DEP_1)
	v_dual_add_nc_u32 v84, s2, v72 :: v_dual_ashrrev_i32 v73, 31, v72
	s_wait_xcnt 0x0
	v_add_nc_u32_e32 v62, s2, v84
	s_delay_alu instid0(VALU_DEP_1) | instskip(NEXT) | instid1(VALU_DEP_1)
	v_dual_ashrrev_i32 v89, 31, v88 :: v_dual_add_nc_u32 v64, s2, v62
	v_lshl_add_u64 v[74:75], v[88:89], 3, v[0:1]
	s_clause 0x3
	global_store_b64 v[66:67], v[60:61], off
	global_store_b64 v[68:69], v[56:57], off
	;; [unrolled: 1-line block ×4, first 2 shown]
	v_dual_add_nc_u32 v80, s2, v64 :: v_dual_ashrrev_i32 v65, 31, v64
	s_wait_xcnt 0x1
	v_lshl_add_u64 v[58:59], v[78:79], 3, v[0:1]
	v_lshl_add_u64 v[66:67], v[70:71], 3, v[0:1]
	s_wait_xcnt 0x0
	v_dual_add_nc_u32 v54, s2, v80 :: v_dual_ashrrev_i32 v81, 31, v80
	s_delay_alu instid0(VALU_DEP_1) | instskip(SKIP_1) | instid1(VALU_DEP_2)
	v_dual_ashrrev_i32 v93, 31, v92 :: v_dual_ashrrev_i32 v55, 31, v54
	v_add_nc_u32_e32 v56, s2, v54
	v_lshl_add_u64 v[60:61], v[92:93], 3, v[0:1]
	s_clause 0x3
	global_store_b64 v[4:5], v[52:53], off
	global_store_b64 v[58:59], v[48:49], off
	;; [unrolled: 1-line block ×4, first 2 shown]
	v_dual_add_nc_u32 v68, s2, v56 :: v_dual_ashrrev_i32 v57, 31, v56
	v_ashrrev_i32_e32 v63, 31, v62
	s_wait_xcnt 0x2
	v_lshl_add_u64 v[48:49], v[72:73], 3, v[0:1]
	v_lshl_add_u64 v[58:59], v[64:65], 3, v[0:1]
	v_dual_add_nc_u32 v4, s2, v68 :: v_dual_ashrrev_i32 v69, 31, v68
	v_lshl_add_u64 v[52:53], v[62:63], 3, v[0:1]
	s_wait_xcnt 0x0
	s_delay_alu instid0(VALU_DEP_2) | instskip(NEXT) | instid1(VALU_DEP_1)
	v_add_nc_u32_e32 v46, s2, v4
	v_dual_ashrrev_i32 v85, 31, v84 :: v_dual_ashrrev_i32 v47, 31, v46
	v_add_nc_u32_e32 v60, s2, v46
	s_delay_alu instid0(VALU_DEP_2)
	v_lshl_add_u64 v[50:51], v[84:85], 3, v[0:1]
	s_clause 0x3
	global_store_b64 v[48:49], v[42:43], off
	global_store_b64 v[50:51], v[38:39], off
	global_store_b64 v[52:53], v[40:41], off
	global_store_b64 v[58:59], v[36:37], off
	s_wait_xcnt 0x0
	v_dual_add_nc_u32 v36, s2, v60 :: v_dual_ashrrev_i32 v61, 31, v60
	v_lshl_add_u64 v[40:41], v[80:81], 3, v[0:1]
	v_lshl_add_u64 v[42:43], v[54:55], 3, v[0:1]
	;; [unrolled: 1-line block ×3, first 2 shown]
	s_delay_alu instid0(VALU_DEP_4)
	v_dual_add_nc_u32 v38, s2, v36 :: v_dual_ashrrev_i32 v37, 31, v36
	v_lshl_add_u64 v[50:51], v[68:69], 3, v[0:1]
	s_clause 0x3
	global_store_b64 v[40:41], v[34:35], off
	global_store_b64 v[42:43], v[30:31], off
	;; [unrolled: 1-line block ×4, first 2 shown]
	v_dual_add_nc_u32 v52, s2, v38 :: v_dual_ashrrev_i32 v5, 31, v4
	v_ashrrev_i32_e32 v39, 31, v38
	s_wait_xcnt 0x1
	v_lshl_add_u64 v[32:33], v[46:47], 3, v[0:1]
	v_lshl_add_u64 v[34:35], v[60:61], 3, v[0:1]
	s_wait_xcnt 0x0
	v_add_nc_u32_e32 v28, s2, v52
	v_lshl_add_u64 v[4:5], v[4:5], 3, v[0:1]
	v_lshl_add_u64 v[36:37], v[36:37], 3, v[0:1]
	s_clause 0x3
	global_store_b64 v[4:5], v[26:27], off
	global_store_b64 v[32:33], v[22:23], off
	;; [unrolled: 1-line block ×4, first 2 shown]
	v_add_nc_u32_e32 v30, s2, v28
	s_wait_xcnt 0x1
	v_lshl_add_u64 v[24:25], v[38:39], 3, v[0:1]
	s_delay_alu instid0(VALU_DEP_2) | instskip(NEXT) | instid1(VALU_DEP_1)
	v_dual_add_nc_u32 v40, s2, v30 :: v_dual_ashrrev_i32 v29, 31, v28
	v_dual_ashrrev_i32 v31, 31, v30 :: v_dual_add_nc_u32 v4, s2, v40
	s_delay_alu instid0(VALU_DEP_2) | instskip(NEXT) | instid1(VALU_DEP_2)
	v_lshl_add_u64 v[28:29], v[28:29], 3, v[0:1]
	v_lshl_add_u64 v[30:31], v[30:31], 3, v[0:1]
	s_delay_alu instid0(VALU_DEP_3) | instskip(NEXT) | instid1(VALU_DEP_1)
	v_dual_add_nc_u32 v22, s2, v4 :: v_dual_ashrrev_i32 v5, 31, v4
	v_dual_ashrrev_i32 v53, 31, v52 :: v_dual_add_nc_u32 v32, s2, v22
	v_ashrrev_i32_e32 v23, 31, v22
	s_delay_alu instid0(VALU_DEP_2)
	v_lshl_add_u64 v[26:27], v[52:53], 3, v[0:1]
	s_clause 0x3
	global_store_b64 v[24:25], v[16:17], off
	global_store_b64 v[26:27], v[12:13], off
	;; [unrolled: 1-line block ×4, first 2 shown]
	s_wait_xcnt 0x0
	v_add_nc_u32_e32 v10, s2, v32
	v_ashrrev_i32_e32 v41, 31, v40
	v_ashrrev_i32_e32 v33, 31, v32
	v_lshl_add_u64 v[4:5], v[4:5], 3, v[0:1]
	v_lshl_add_u64 v[14:15], v[22:23], 3, v[0:1]
	v_ashrrev_i32_e32 v11, 31, v10
	v_lshl_add_u64 v[12:13], v[40:41], 3, v[0:1]
	v_lshl_add_u64 v[16:17], v[32:33], 3, v[0:1]
	s_delay_alu instid0(VALU_DEP_3)
	v_lshl_add_u64 v[0:1], v[10:11], 3, v[0:1]
	s_clause 0x4
	global_store_b64 v[12:13], v[6:7], off
	global_store_b64 v[4:5], v[20:21], off
	;; [unrolled: 1-line block ×5, first 2 shown]
.LBB120_1282:
	s_sendmsg sendmsg(MSG_DEALLOC_VGPRS)
	s_endpgm
	.section	.rodata,"a",@progbits
	.p2align	6, 0x0
	.amdhsa_kernel _ZN9rocsolver6v33100L18getf2_small_kernelILi61E19rocblas_complex_numIfEiiPS3_EEvT1_T3_lS5_lPS5_llPT2_S5_S5_S7_l
		.amdhsa_group_segment_fixed_size 0
		.amdhsa_private_segment_fixed_size 0
		.amdhsa_kernarg_size 352
		.amdhsa_user_sgpr_count 2
		.amdhsa_user_sgpr_dispatch_ptr 0
		.amdhsa_user_sgpr_queue_ptr 0
		.amdhsa_user_sgpr_kernarg_segment_ptr 1
		.amdhsa_user_sgpr_dispatch_id 0
		.amdhsa_user_sgpr_kernarg_preload_length 0
		.amdhsa_user_sgpr_kernarg_preload_offset 0
		.amdhsa_user_sgpr_private_segment_size 0
		.amdhsa_wavefront_size32 1
		.amdhsa_uses_dynamic_stack 0
		.amdhsa_enable_private_segment 0
		.amdhsa_system_sgpr_workgroup_id_x 1
		.amdhsa_system_sgpr_workgroup_id_y 1
		.amdhsa_system_sgpr_workgroup_id_z 0
		.amdhsa_system_sgpr_workgroup_info 0
		.amdhsa_system_vgpr_workitem_id 1
		.amdhsa_next_free_vgpr 162
		.amdhsa_next_free_sgpr 19
		.amdhsa_named_barrier_count 0
		.amdhsa_reserve_vcc 1
		.amdhsa_float_round_mode_32 0
		.amdhsa_float_round_mode_16_64 0
		.amdhsa_float_denorm_mode_32 3
		.amdhsa_float_denorm_mode_16_64 3
		.amdhsa_fp16_overflow 0
		.amdhsa_memory_ordered 1
		.amdhsa_forward_progress 1
		.amdhsa_inst_pref_size 255
		.amdhsa_round_robin_scheduling 0
		.amdhsa_exception_fp_ieee_invalid_op 0
		.amdhsa_exception_fp_denorm_src 0
		.amdhsa_exception_fp_ieee_div_zero 0
		.amdhsa_exception_fp_ieee_overflow 0
		.amdhsa_exception_fp_ieee_underflow 0
		.amdhsa_exception_fp_ieee_inexact 0
		.amdhsa_exception_int_div_zero 0
	.end_amdhsa_kernel
	.section	.text._ZN9rocsolver6v33100L18getf2_small_kernelILi61E19rocblas_complex_numIfEiiPS3_EEvT1_T3_lS5_lPS5_llPT2_S5_S5_S7_l,"axG",@progbits,_ZN9rocsolver6v33100L18getf2_small_kernelILi61E19rocblas_complex_numIfEiiPS3_EEvT1_T3_lS5_lPS5_llPT2_S5_S5_S7_l,comdat
.Lfunc_end120:
	.size	_ZN9rocsolver6v33100L18getf2_small_kernelILi61E19rocblas_complex_numIfEiiPS3_EEvT1_T3_lS5_lPS5_llPT2_S5_S5_S7_l, .Lfunc_end120-_ZN9rocsolver6v33100L18getf2_small_kernelILi61E19rocblas_complex_numIfEiiPS3_EEvT1_T3_lS5_lPS5_llPT2_S5_S5_S7_l
                                        ; -- End function
	.set _ZN9rocsolver6v33100L18getf2_small_kernelILi61E19rocblas_complex_numIfEiiPS3_EEvT1_T3_lS5_lPS5_llPT2_S5_S5_S7_l.num_vgpr, 162
	.set _ZN9rocsolver6v33100L18getf2_small_kernelILi61E19rocblas_complex_numIfEiiPS3_EEvT1_T3_lS5_lPS5_llPT2_S5_S5_S7_l.num_agpr, 0
	.set _ZN9rocsolver6v33100L18getf2_small_kernelILi61E19rocblas_complex_numIfEiiPS3_EEvT1_T3_lS5_lPS5_llPT2_S5_S5_S7_l.numbered_sgpr, 19
	.set _ZN9rocsolver6v33100L18getf2_small_kernelILi61E19rocblas_complex_numIfEiiPS3_EEvT1_T3_lS5_lPS5_llPT2_S5_S5_S7_l.num_named_barrier, 0
	.set _ZN9rocsolver6v33100L18getf2_small_kernelILi61E19rocblas_complex_numIfEiiPS3_EEvT1_T3_lS5_lPS5_llPT2_S5_S5_S7_l.private_seg_size, 0
	.set _ZN9rocsolver6v33100L18getf2_small_kernelILi61E19rocblas_complex_numIfEiiPS3_EEvT1_T3_lS5_lPS5_llPT2_S5_S5_S7_l.uses_vcc, 1
	.set _ZN9rocsolver6v33100L18getf2_small_kernelILi61E19rocblas_complex_numIfEiiPS3_EEvT1_T3_lS5_lPS5_llPT2_S5_S5_S7_l.uses_flat_scratch, 0
	.set _ZN9rocsolver6v33100L18getf2_small_kernelILi61E19rocblas_complex_numIfEiiPS3_EEvT1_T3_lS5_lPS5_llPT2_S5_S5_S7_l.has_dyn_sized_stack, 0
	.set _ZN9rocsolver6v33100L18getf2_small_kernelILi61E19rocblas_complex_numIfEiiPS3_EEvT1_T3_lS5_lPS5_llPT2_S5_S5_S7_l.has_recursion, 0
	.set _ZN9rocsolver6v33100L18getf2_small_kernelILi61E19rocblas_complex_numIfEiiPS3_EEvT1_T3_lS5_lPS5_llPT2_S5_S5_S7_l.has_indirect_call, 0
	.section	.AMDGPU.csdata,"",@progbits
; Kernel info:
; codeLenInByte = 168280
; TotalNumSgprs: 21
; NumVgprs: 162
; ScratchSize: 0
; MemoryBound: 0
; FloatMode: 240
; IeeeMode: 1
; LDSByteSize: 0 bytes/workgroup (compile time only)
; SGPRBlocks: 0
; VGPRBlocks: 10
; NumSGPRsForWavesPerEU: 21
; NumVGPRsForWavesPerEU: 162
; NamedBarCnt: 0
; Occupancy: 5
; WaveLimiterHint : 0
; COMPUTE_PGM_RSRC2:SCRATCH_EN: 0
; COMPUTE_PGM_RSRC2:USER_SGPR: 2
; COMPUTE_PGM_RSRC2:TRAP_HANDLER: 0
; COMPUTE_PGM_RSRC2:TGID_X_EN: 1
; COMPUTE_PGM_RSRC2:TGID_Y_EN: 1
; COMPUTE_PGM_RSRC2:TGID_Z_EN: 0
; COMPUTE_PGM_RSRC2:TIDIG_COMP_CNT: 1
	.section	.text._ZN9rocsolver6v33100L23getf2_npvt_small_kernelILi61E19rocblas_complex_numIfEiiPS3_EEvT1_T3_lS5_lPT2_S5_S5_,"axG",@progbits,_ZN9rocsolver6v33100L23getf2_npvt_small_kernelILi61E19rocblas_complex_numIfEiiPS3_EEvT1_T3_lS5_lPT2_S5_S5_,comdat
	.globl	_ZN9rocsolver6v33100L23getf2_npvt_small_kernelILi61E19rocblas_complex_numIfEiiPS3_EEvT1_T3_lS5_lPT2_S5_S5_ ; -- Begin function _ZN9rocsolver6v33100L23getf2_npvt_small_kernelILi61E19rocblas_complex_numIfEiiPS3_EEvT1_T3_lS5_lPT2_S5_S5_
	.p2align	8
	.type	_ZN9rocsolver6v33100L23getf2_npvt_small_kernelILi61E19rocblas_complex_numIfEiiPS3_EEvT1_T3_lS5_lPT2_S5_S5_,@function
_ZN9rocsolver6v33100L23getf2_npvt_small_kernelILi61E19rocblas_complex_numIfEiiPS3_EEvT1_T3_lS5_lPT2_S5_S5_: ; @_ZN9rocsolver6v33100L23getf2_npvt_small_kernelILi61E19rocblas_complex_numIfEiiPS3_EEvT1_T3_lS5_lPT2_S5_S5_
; %bb.0:
	s_clause 0x1
	s_load_u16 s14, s[0:1], 0x46
	s_load_b64 s[2:3], s[0:1], 0x30
	s_bfe_u32 s4, ttmp6, 0x40010
	s_bfe_u32 s5, ttmp6, 0x40004
	s_add_co_i32 s4, s4, 1
	s_getreg_b32 s6, hwreg(HW_REG_IB_STS2, 6, 4)
	s_mul_i32 s4, ttmp7, s4
	v_bfe_u32 v54, v0, 10, 10
	s_add_co_i32 s5, s5, s4
	s_cmp_eq_u32 s6, 0
	s_cselect_b32 s4, ttmp7, s5
	s_wait_kmcnt 0x0
	v_mad_u32 v32, s4, s14, v54
	s_delay_alu instid0(VALU_DEP_1)
	v_cmp_gt_i32_e32 vcc_lo, s2, v32
	s_and_saveexec_b32 s2, vcc_lo
	s_cbranch_execnz .LBB121_1
; %bb.553:
	s_add_pc_i64 .LBB121_552-.Lpost_addpc13
.Lpost_addpc13:
.LBB121_1:
	s_clause 0x1
	s_load_b32 s12, s[0:1], 0x18
	s_load_b128 s[8:11], s[0:1], 0x8
	v_and_b32_e32 v220, 0x3ff, v0
	s_load_b128 s[4:7], s[0:1], 0x20
	s_mulk_i32 s14, 0x1e8
	v_mad_u32_u24 v222, 0x1e8, v54, 0
	v_mov_b32_e32 v37, 0
	s_wait_xcnt 0x0
	v_cmp_ne_u32_e64 s1, 0, v220
	v_cmp_eq_u32_e64 s0, 0, v220
	v_lshlrev_b32_e32 v36, 3, v220
	s_wait_kmcnt 0x0
	v_add3_u32 v28, s12, s12, v220
	s_ashr_i32 s13, s12, 31
	s_delay_alu instid0(VALU_DEP_1) | instskip(NEXT) | instid1(VALU_DEP_1)
	v_add_nc_u32_e32 v20, s12, v28
	v_add_nc_u32_e32 v22, s12, v20
	s_delay_alu instid0(VALU_DEP_1) | instskip(NEXT) | instid1(VALU_DEP_1)
	v_add_nc_u32_e32 v24, s12, v22
	v_add_nc_u32_e32 v26, s12, v24
	s_delay_alu instid0(VALU_DEP_1) | instskip(SKIP_1) | instid1(VALU_DEP_2)
	v_add_nc_u32_e32 v14, s12, v26
	v_dual_ashrrev_i32 v23, 31, v22 :: v_dual_ashrrev_i32 v29, 31, v28
	v_dual_ashrrev_i32 v15, 31, v14 :: v_dual_add_nc_u32 v18, s12, v14
	v_ashrrev_i32_e32 v27, 31, v26
	s_delay_alu instid0(VALU_DEP_2) | instskip(NEXT) | instid1(VALU_DEP_1)
	v_dual_add_nc_u32 v12, s12, v18 :: v_dual_ashrrev_i32 v19, 31, v18
	v_add_nc_u32_e32 v8, s12, v12
	s_delay_alu instid0(VALU_DEP_1) | instskip(SKIP_1) | instid1(VALU_DEP_2)
	v_add_nc_u32_e32 v0, s12, v8
	v_ashrrev_i32_e32 v13, 31, v12
	v_dual_add_nc_u32 v4, s12, v0 :: v_dual_ashrrev_i32 v1, 31, v0
	s_delay_alu instid0(VALU_DEP_1) | instskip(NEXT) | instid1(VALU_DEP_1)
	v_add_nc_u32_e32 v2, s12, v4
	v_add_nc_u32_e32 v6, s12, v2
	s_delay_alu instid0(VALU_DEP_1) | instskip(SKIP_1) | instid1(VALU_DEP_2)
	v_dual_add_nc_u32 v10, s12, v6 :: v_dual_ashrrev_i32 v5, 31, v4
	v_ashrrev_i32_e32 v7, 31, v6
	v_dual_add_nc_u32 v30, s12, v10 :: v_dual_ashrrev_i32 v33, 31, v32
	v_dual_ashrrev_i32 v9, 31, v8 :: v_dual_ashrrev_i32 v3, 31, v2
	v_ashrrev_i32_e32 v11, 31, v10
	s_delay_alu instid0(VALU_DEP_3) | instskip(NEXT) | instid1(VALU_DEP_4)
	v_add_nc_u32_e32 v34, s12, v30
	v_mul_u64_e32 v[16:17], s[4:5], v[32:33]
	v_ashrrev_i32_e32 v31, 31, v30
	s_delay_alu instid0(VALU_DEP_3) | instskip(NEXT) | instid1(VALU_DEP_1)
	v_dual_add_nc_u32 v44, s12, v34 :: v_dual_ashrrev_i32 v35, 31, v34
	v_dual_add_nc_u32 v50, s12, v44 :: v_dual_ashrrev_i32 v45, 31, v44
	s_delay_alu instid0(VALU_DEP_1) | instskip(NEXT) | instid1(VALU_DEP_1)
	v_dual_ashrrev_i32 v51, 31, v50 :: v_dual_add_nc_u32 v52, s12, v50
	v_dual_add_nc_u32 v68, s12, v52 :: v_dual_ashrrev_i32 v53, 31, v52
	s_delay_alu instid0(VALU_DEP_1) | instskip(SKIP_1) | instid1(VALU_DEP_2)
	v_add_nc_u32_e32 v70, s12, v68
	v_ashrrev_i32_e32 v21, 31, v20
	v_dual_ashrrev_i32 v69, 31, v68 :: v_dual_add_nc_u32 v74, s12, v70
	v_ashrrev_i32_e32 v25, 31, v24
	v_lshl_add_u64 v[16:17], v[16:17], 3, s[8:9]
	v_ashrrev_i32_e32 v71, 31, v70
	s_delay_alu instid0(VALU_DEP_2) | instskip(NEXT) | instid1(VALU_DEP_1)
	v_lshl_add_u64 v[72:73], s[10:11], 3, v[16:17]
	v_lshl_add_u64 v[252:253], v[28:29], 3, v[72:73]
	v_add_nc_u32_e32 v28, s12, v74
	v_lshl_add_u64 v[254:255], v[18:19], 3, v[72:73]
	v_lshl_add_u64 v[18:19], v[12:13], 3, v[72:73]
	v_add_nc_u64_e32 v[38:39], v[72:73], v[36:37]
	v_lshl_add_u64 v[16:17], v[14:15], 3, v[72:73]
	v_add_nc_u32_e32 v84, s12, v28
	v_lshl_add_u64 v[36:37], v[20:21], 3, v[72:73]
	v_lshl_add_u64 v[20:21], v[22:23], 3, v[72:73]
	;; [unrolled: 1-line block ×4, first 2 shown]
	v_add_nc_u32_e32 v12, s12, v84
	v_lshl_add_u64 v[42:43], s[12:13], 3, v[38:39]
	v_lshl_add_u64 v[60:61], v[4:5], 3, v[72:73]
	;; [unrolled: 1-line block ×4, first 2 shown]
	v_add_nc_u32_e32 v14, s12, v12
	v_lshl_add_u64 v[250:251], v[26:27], 3, v[72:73]
	scratch_store_b64 off, v[20:21], off offset:8 ; 8-byte Folded Spill
	s_clause 0x3
	global_load_b64 v[26:27], v[20:21], off
	global_load_b64 v[22:23], v[248:249], off
	;; [unrolled: 1-line block ×4, first 2 shown]
	v_add_nc_u32_e32 v8, s12, v14
	s_clause 0x1
	scratch_store_b64 off, v[38:39], off offset:24
	scratch_store_b64 off, v[42:43], off offset:56
	s_clause 0x2
	global_load_b64 v[56:57], v[38:39], off
	global_load_b64 v[58:59], v[42:43], off
	;; [unrolled: 1-line block ×3, first 2 shown]
	s_clause 0x1
	scratch_store_b64 off, v[36:37], off
	scratch_store_b64 off, v[18:19], off offset:16
	s_clause 0x3
	global_load_b64 v[46:47], v[36:37], off
	global_load_b64 v[66:67], v[60:61], off
	;; [unrolled: 1-line block ×4, first 2 shown]
	s_wait_xcnt 0x3
	v_lshl_add_u64 v[36:37], v[0:1], 3, v[72:73]
	v_dual_add_nc_u32 v0, s12, v8 :: v_dual_ashrrev_i32 v75, 31, v74
	v_dual_ashrrev_i32 v13, 31, v12 :: v_dual_ashrrev_i32 v15, 31, v14
	v_lshl_add_u64 v[10:11], v[10:11], 3, v[72:73]
	s_delay_alu instid0(VALU_DEP_3) | instskip(NEXT) | instid1(VALU_DEP_3)
	v_dual_ashrrev_i32 v1, 31, v0 :: v_dual_add_nc_u32 v4, s12, v0
	v_lshl_add_u64 v[12:13], v[12:13], 3, v[72:73]
	s_delay_alu instid0(VALU_DEP_4)
	v_lshl_add_u64 v[14:15], v[14:15], 3, v[72:73]
	v_lshl_add_u64 v[64:65], v[6:7], 3, v[72:73]
	s_clause 0x1
	scratch_store_b64 off, v[60:61], off offset:48
	scratch_store_b64 off, v[44:45], off offset:104
	s_clause 0x2
	global_load_b64 v[60:61], v[10:11], off
	global_load_b64 v[112:113], v[12:13], off
	global_load_b64 v[108:109], v[14:15], off
	scratch_store_b64 off, v[14:15], off offset:176 ; 8-byte Folded Spill
	s_wait_xcnt 0x0
	v_lshl_add_u64 v[14:15], v[0:1], 3, v[72:73]
	global_load_b64 v[38:39], v[18:19], off
	v_lshl_add_u64 v[76:77], v[30:31], 3, v[72:73]
	v_lshl_add_u64 v[34:35], v[34:35], 3, v[72:73]
	scratch_store_b64 off, v[10:11], off offset:80 ; 8-byte Folded Spill
	global_load_b64 v[126:127], v[14:15], off
	s_wait_xcnt 0x2
	v_lshl_add_u64 v[18:19], v[2:3], 3, v[72:73]
	v_add_nc_u32_e32 v2, s12, v4
	v_lshl_add_u64 v[50:51], v[50:51], 3, v[72:73]
	s_clause 0x4
	scratch_store_b64 off, v[40:41], off offset:32
	scratch_store_b64 off, v[36:37], off offset:40
	;; [unrolled: 1-line block ×5, first 2 shown]
	v_dual_add_nc_u32 v6, s12, v2 :: v_dual_ashrrev_i32 v5, 31, v4
	s_clause 0x1
	global_load_b64 v[36:37], v[36:37], off
	global_load_b64 v[62:63], v[18:19], off
	s_clause 0x1
	scratch_store_b64 off, v[64:65], off offset:72
	scratch_store_b64 off, v[76:77], off offset:88
	v_ashrrev_i32_e32 v7, 31, v6
	v_lshl_add_u64 v[4:5], v[4:5], 3, v[72:73]
	s_clause 0x2
	global_load_b64 v[82:83], v[76:77], off
	global_load_b64 v[76:77], v[50:51], off
	;; [unrolled: 1-line block ×3, first 2 shown]
	v_ashrrev_i32_e32 v29, 31, v28
	global_load_b64 v[128:129], v[4:5], off
	v_dual_add_nc_u32 v10, s12, v6 :: v_dual_ashrrev_i32 v85, 31, v84
	s_wait_xcnt 0x2
	v_lshl_add_u64 v[50:51], v[68:69], 3, v[72:73]
	v_lshl_add_u64 v[68:69], v[70:71], 3, v[72:73]
	;; [unrolled: 1-line block ×3, first 2 shown]
	v_add_nc_u32_e32 v18, s12, v10
	v_lshl_add_u64 v[74:75], v[28:29], 3, v[72:73]
	v_ashrrev_i32_e32 v9, 31, v8
	s_clause 0x1
	global_load_b64 v[40:41], v[40:41], off
	global_load_b64 v[94:95], v[50:51], off
	v_add_nc_u32_e32 v30, s12, v18
	s_clause 0x3
	scratch_store_b64 off, v[52:53], off offset:120
	scratch_store_b64 off, v[50:51], off offset:128
	;; [unrolled: 1-line block ×4, first 2 shown]
	s_wait_xcnt 0x7
	v_add_nc_u32_e32 v34, s12, v30
	s_clause 0x3
	global_load_b64 v[42:43], v[254:255], off
	global_load_b64 v[64:65], v[64:65], off
	;; [unrolled: 1-line block ×4, first 2 shown]
	v_add_nc_u32_e32 v44, s12, v34
	s_wait_xcnt 0x1
	v_lshl_add_u64 v[68:69], v[84:85], 3, v[72:73]
	s_wait_xcnt 0x0
	v_lshl_add_u64 v[70:71], v[8:9], 3, v[72:73]
	s_clause 0x1
	scratch_store_b64 off, v[74:75], off offset:152
	scratch_store_b64 off, v[12:13], off offset:168
	v_add_nc_u32_e32 v28, s12, v44
	s_clause 0x1
	scratch_store_b64 off, v[68:69], off offset:160
	scratch_store_b64 off, v[70:71], off offset:184
	v_ashrrev_i32_e32 v3, 31, v2
	s_clause 0x1
	global_load_b64 v[110:111], v[68:69], off
	global_load_b64 v[130:131], v[70:71], off
	v_dual_add_nc_u32 v50, s12, v28 :: v_dual_ashrrev_i32 v11, 31, v10
	s_wait_xcnt 0x1
	v_lshl_add_u64 v[68:69], v[2:3], 3, v[72:73]
	s_clause 0x1
	scratch_store_b64 off, v[14:15], off offset:192
	scratch_store_b64 off, v[4:5], off offset:200
	v_add_nc_u32_e32 v52, s12, v50
	v_ashrrev_i32_e32 v19, 31, v18
	s_clause 0x1
	global_load_b64 v[114:115], v[74:75], off
	global_load_b64 v[124:125], v[68:69], off
	s_wait_xcnt 0x1
	v_lshl_add_u64 v[74:75], v[6:7], 3, v[72:73]
	v_dual_add_nc_u32 v8, s12, v52 :: v_dual_ashrrev_i32 v35, 31, v34
	v_ashrrev_i32_e32 v29, 31, v28
	v_ashrrev_i32_e32 v45, 31, v44
	v_lshl_add_u64 v[18:19], v[18:19], 3, v[72:73]
	s_delay_alu instid0(VALU_DEP_4)
	v_add_nc_u32_e32 v12, s12, v8
	v_lshl_add_u64 v[34:35], v[34:35], 3, v[72:73]
	v_ashrrev_i32_e32 v53, 31, v52
	s_clause 0x1
	global_load_b64 v[146:147], v[74:75], off
	global_load_b64 v[144:145], v[18:19], off
	v_add_nc_u32_e32 v0, s12, v12
	global_load_b64 v[162:163], v[34:35], off
	v_ashrrev_i32_e32 v9, 31, v8
	scratch_store_b64 off, v[34:35], off offset:248 ; 8-byte Folded Spill
	v_lshl_add_u64 v[52:53], v[52:53], 3, v[72:73]
	v_add_nc_u32_e32 v2, s12, v0
	v_ashrrev_i32_e32 v13, 31, v12
	v_ashrrev_i32_e32 v1, 31, v0
	s_wait_xcnt 0x0
	v_lshl_add_u64 v[34:35], v[8:9], 3, v[72:73]
	global_load_b64 v[178:179], v[52:53], off
	v_add_nc_u32_e32 v4, s12, v2
	v_ashrrev_i32_e32 v31, 31, v30
	v_ashrrev_i32_e32 v3, 31, v2
	v_lshl_add_u64 v[12:13], v[12:13], 3, v[72:73]
	global_load_b64 v[174:175], v[34:35], off
	v_add_nc_u32_e32 v6, s12, v4
	v_lshl_add_u64 v[30:31], v[30:31], 3, v[72:73]
	scratch_store_b64 off, v[18:19], off offset:232 ; 8-byte Folded Spill
	global_load_b64 v[176:177], v[12:13], off
	v_lshl_add_u64 v[14:15], v[10:11], 3, v[72:73]
	v_add_nc_u32_e32 v10, s12, v6
	global_load_b64 v[140:141], v[30:31], off
	scratch_store_b64 off, v[30:31], off offset:240 ; 8-byte Folded Spill
	s_wait_xcnt 0x0
	v_lshl_add_u64 v[30:31], v[44:45], 3, v[72:73]
	scratch_store_b64 off, v[14:15], off offset:224 ; 8-byte Folded Spill
	global_load_b64 v[142:143], v[14:15], off
	s_wait_xcnt 0x0
	v_add_nc_u32_e32 v14, s12, v10
	v_lshl_add_u64 v[44:45], v[28:29], 3, v[72:73]
	s_clause 0x1
	scratch_store_b64 off, v[30:31], off offset:256
	scratch_store_b64 off, v[52:53], off offset:280
	global_load_b64 v[158:159], v[30:31], off
	v_dual_add_nc_u32 v18, s12, v14 :: v_dual_ashrrev_i32 v5, 31, v4
	v_ashrrev_i32_e32 v7, 31, v6
	scratch_store_b64 off, v[34:35], off offset:288 ; 8-byte Folded Spill
	global_load_b64 v[160:161], v[44:45], off
	v_add_nc_u32_e32 v28, s12, v18
	v_ashrrev_i32_e32 v51, 31, v50
	s_wait_xcnt 0x1
	v_lshl_add_u64 v[34:35], v[6:7], 3, v[72:73]
	v_ashrrev_i32_e32 v11, 31, v10
	v_dual_ashrrev_i32 v15, 31, v14 :: v_dual_ashrrev_i32 v29, 31, v28
	v_add_nc_u32_e32 v30, s12, v28
	v_lshl_add_u64 v[50:51], v[50:51], 3, v[72:73]
	scratch_store_b64 off, v[44:45], off offset:264 ; 8-byte Folded Spill
	v_lshl_add_u64 v[10:11], v[10:11], 3, v[72:73]
	v_lshl_add_u64 v[14:15], v[14:15], 3, v[72:73]
	v_add_nc_u32_e32 v8, s12, v30
	s_clause 0x1
	global_load_b64 v[156:157], v[50:51], off
	global_load_b64 v[192:193], v[34:35], off
	s_wait_xcnt 0x2
	v_lshl_add_u64 v[44:45], v[0:1], 3, v[72:73]
	scratch_store_b64 off, v[50:51], off offset:272 ; 8-byte Folded Spill
	v_add_nc_u32_e32 v0, s12, v8
	s_wait_xcnt 0x0
	v_lshl_add_u64 v[50:51], v[2:3], 3, v[72:73]
	s_clause 0x1
	scratch_store_b64 off, v[12:13], off offset:296
	scratch_store_b64 off, v[44:45], off offset:304
	global_load_b64 v[188:189], v[10:11], off
	v_add_nc_u32_e32 v2, s12, v0
	s_wait_xcnt 0x2
	v_lshl_add_u64 v[12:13], v[4:5], 3, v[72:73]
	v_dual_ashrrev_i32 v19, 31, v18 :: v_dual_ashrrev_i32 v1, 31, v0
	s_delay_alu instid0(VALU_DEP_3)
	v_dual_ashrrev_i32 v9, 31, v8 :: v_dual_add_nc_u32 v4, s12, v2
	s_clause 0x3
	scratch_store_b64 off, v[12:13], off offset:320
	scratch_store_b64 off, v[34:35], off offset:328
	;; [unrolled: 1-line block ×4, first 2 shown]
	v_dual_add_nc_u32 v6, s12, v4 :: v_dual_ashrrev_i32 v31, 31, v30
	v_ashrrev_i32_e32 v5, 31, v4
	v_lshl_add_u64 v[18:19], v[18:19], 3, v[72:73]
	v_lshl_add_u64 v[28:29], v[28:29], 3, v[72:73]
	s_wait_xcnt 0x1
	v_add_nc_u32_e32 v10, s12, v6
	s_clause 0x3
	global_load_b64 v[190:191], v[12:13], off
	global_load_b64 v[216:217], v[14:15], off
	;; [unrolled: 1-line block ×4, first 2 shown]
	v_lshl_add_u64 v[30:31], v[30:31], 3, v[72:73]
	s_wait_xcnt 0x3
	v_add_nc_u32_e32 v12, s12, v10
	s_wait_xcnt 0x2
	v_lshl_add_u64 v[14:15], v[0:1], 3, v[72:73]
	v_lshl_add_u64 v[4:5], v[4:5], 3, v[72:73]
	s_clause 0x2
	global_load_b64 v[172:173], v[44:45], off
	global_load_b64 v[194:195], v[50:51], off
	;; [unrolled: 1-line block ×3, first 2 shown]
	v_lshl_add_u64 v[34:35], v[8:9], 3, v[72:73]
	v_dual_add_nc_u32 v8, s12, v12 :: v_dual_ashrrev_i32 v7, 31, v6
	s_clause 0x2
	global_load_b64 v[232:233], v[14:15], off
	global_load_b64 v[230:231], v[4:5], off
	;; [unrolled: 1-line block ×3, first 2 shown]
	v_dual_add_nc_u32 v0, s12, v8 :: v_dual_ashrrev_i32 v3, 31, v2
	v_dual_ashrrev_i32 v13, 31, v12 :: v_dual_ashrrev_i32 v11, 31, v10
	v_ashrrev_i32_e32 v9, 31, v8
	s_delay_alu instid0(VALU_DEP_3) | instskip(NEXT) | instid1(VALU_DEP_4)
	v_ashrrev_i32_e32 v1, 31, v0
	v_lshl_add_u64 v[2:3], v[2:3], 3, v[72:73]
	v_lshl_add_u64 v[6:7], v[6:7], 3, v[72:73]
	;; [unrolled: 1-line block ×6, first 2 shown]
	s_clause 0x5
	global_load_b64 v[238:239], v[2:3], off
	global_load_b64 v[236:237], v[6:7], off
	;; [unrolled: 1-line block ×6, first 2 shown]
	s_clause 0x3
	scratch_store_b64 off, v[14:15], off offset:384
	scratch_store_b64 off, v[2:3], off offset:392
	;; [unrolled: 1-line block ×4, first 2 shown]
	s_wait_xcnt 0x0
	v_lshlrev_b32_e32 v0, 3, v54
	s_clause 0x6
	scratch_store_b64 off, v[68:69], off offset:208
	scratch_store_b64 off, v[74:75], off offset:216
	;; [unrolled: 1-line block ×7, first 2 shown]
	v_add3_u32 v221, 0, s14, v0
	s_clause 0x3
	scratch_store_b64 off, v[6:7], off offset:416
	scratch_store_b64 off, v[10:11], off offset:424
	;; [unrolled: 1-line block ×4, first 2 shown]
	s_wait_xcnt 0x0
	s_and_saveexec_b32 s4, s0
	s_cbranch_execz .LBB121_8
; %bb.2:
	s_wait_loadcnt 0x38
	ds_store_b64 v221, v[56:57]
	s_wait_loadcnt 0x36
	ds_store_2addr_b64 v222, v[58:59], v[48:49] offset0:1 offset1:2
	s_wait_loadcnt 0x35
	ds_store_2addr_b64 v222, v[46:47], v[26:27] offset0:3 offset1:4
	ds_store_2addr_b64 v222, v[22:23], v[24:25] offset0:5 offset1:6
	s_wait_loadcnt 0x24
	ds_store_2addr_b64 v222, v[20:21], v[42:43] offset0:7 offset1:8
	ds_store_2addr_b64 v222, v[38:39], v[40:41] offset0:9 offset1:10
	ds_store_2addr_b64 v222, v[36:37], v[66:67] offset0:11 offset1:12
	s_wait_loadcnt 0x23
	ds_store_2addr_b64 v222, v[62:63], v[64:65] offset0:13 offset1:14
	ds_store_2addr_b64 v222, v[60:61], v[82:83] offset0:15 offset1:16
	;; [unrolled: 1-line block ×4, first 2 shown]
	s_wait_loadcnt 0x22
	ds_store_2addr_b64 v222, v[94:95], v[96:97] offset0:21 offset1:22
	s_wait_loadcnt 0x1e
	ds_store_2addr_b64 v222, v[92:93], v[114:115] offset0:23 offset1:24
	ds_store_2addr_b64 v222, v[110:111], v[112:113] offset0:25 offset1:26
	;; [unrolled: 1-line block ×4, first 2 shown]
	s_wait_loadcnt 0x1c
	ds_store_2addr_b64 v222, v[124:125], v[146:147] offset0:31 offset1:32
	s_wait_loadcnt 0x15
	ds_store_2addr_b64 v222, v[142:143], v[144:145] offset0:33 offset1:34
	ds_store_2addr_b64 v222, v[140:141], v[162:163] offset0:35 offset1:36
	s_wait_loadcnt 0x13
	ds_store_2addr_b64 v222, v[158:159], v[160:161] offset0:37 offset1:38
	s_wait_loadcnt 0x12
	ds_store_2addr_b64 v222, v[156:157], v[178:179] offset0:39 offset1:40
	ds_store_2addr_b64 v222, v[174:175], v[176:177] offset0:41 offset1:42
	s_wait_loadcnt 0xa
	ds_store_2addr_b64 v222, v[172:173], v[194:195] offset0:43 offset1:44
	ds_store_2addr_b64 v222, v[190:191], v[192:193] offset0:45 offset1:46
	;; [unrolled: 1-line block ×4, first 2 shown]
	s_wait_loadcnt 0x6
	ds_store_2addr_b64 v222, v[210:211], v[240:241] offset0:51 offset1:52
	s_wait_loadcnt 0x5
	ds_store_2addr_b64 v222, v[232:233], v[238:239] offset0:53 offset1:54
	;; [unrolled: 2-line block ×5, first 2 shown]
	ds_load_b64 v[0:1], v221
	s_wait_dscnt 0x0
	v_cmp_neq_f32_e32 vcc_lo, 0, v0
	v_cmp_neq_f32_e64 s2, 0, v1
	s_or_b32 s2, vcc_lo, s2
	s_delay_alu instid0(SALU_CYCLE_1)
	s_and_b32 exec_lo, exec_lo, s2
	s_cbranch_execz .LBB121_8
; %bb.3:
	v_cmp_ngt_f32_e64 s2, |v0|, |v1|
                                        ; implicit-def: $vgpr2_vgpr3
	s_and_saveexec_b32 s5, s2
	s_delay_alu instid0(SALU_CYCLE_1)
	s_xor_b32 s2, exec_lo, s5
	s_cbranch_execz .LBB121_5
; %bb.4:
	v_div_scale_f32 v2, null, v1, v1, v0
	v_div_scale_f32 v5, vcc_lo, v0, v1, v0
	s_delay_alu instid0(VALU_DEP_2) | instskip(SKIP_1) | instid1(TRANS32_DEP_1)
	v_rcp_f32_e32 v3, v2
	v_nop
	v_fma_f32 v4, -v2, v3, 1.0
	s_delay_alu instid0(VALU_DEP_1) | instskip(NEXT) | instid1(VALU_DEP_1)
	v_fmac_f32_e32 v3, v4, v3
	v_mul_f32_e32 v4, v5, v3
	s_delay_alu instid0(VALU_DEP_1) | instskip(NEXT) | instid1(VALU_DEP_1)
	v_fma_f32 v6, -v2, v4, v5
	v_fmac_f32_e32 v4, v6, v3
	s_delay_alu instid0(VALU_DEP_1) | instskip(NEXT) | instid1(VALU_DEP_1)
	v_fma_f32 v2, -v2, v4, v5
	v_div_fmas_f32 v2, v2, v3, v4
	s_delay_alu instid0(VALU_DEP_1) | instskip(NEXT) | instid1(VALU_DEP_1)
	v_div_fixup_f32 v2, v2, v1, v0
	v_fmac_f32_e32 v1, v0, v2
	s_delay_alu instid0(VALU_DEP_1) | instskip(SKIP_1) | instid1(VALU_DEP_2)
	v_div_scale_f32 v0, null, v1, v1, 1.0
	v_div_scale_f32 v5, vcc_lo, 1.0, v1, 1.0
	v_rcp_f32_e32 v3, v0
	v_nop
	s_delay_alu instid0(TRANS32_DEP_1) | instskip(NEXT) | instid1(VALU_DEP_1)
	v_fma_f32 v4, -v0, v3, 1.0
	v_fmac_f32_e32 v3, v4, v3
	s_delay_alu instid0(VALU_DEP_1) | instskip(NEXT) | instid1(VALU_DEP_1)
	v_mul_f32_e32 v4, v5, v3
	v_fma_f32 v6, -v0, v4, v5
	s_delay_alu instid0(VALU_DEP_1) | instskip(NEXT) | instid1(VALU_DEP_1)
	v_fmac_f32_e32 v4, v6, v3
	v_fma_f32 v0, -v0, v4, v5
	s_delay_alu instid0(VALU_DEP_1) | instskip(NEXT) | instid1(VALU_DEP_1)
	v_div_fmas_f32 v0, v0, v3, v4
	v_div_fixup_f32 v0, v0, v1, 1.0
	s_delay_alu instid0(VALU_DEP_1)
	v_mul_f32_e32 v2, v2, v0
	v_xor_b32_e32 v3, 0x80000000, v0
                                        ; implicit-def: $vgpr0_vgpr1
.LBB121_5:
	s_and_not1_saveexec_b32 s2, s2
	s_cbranch_execz .LBB121_7
; %bb.6:
	v_div_scale_f32 v2, null, v0, v0, v1
	v_div_scale_f32 v5, vcc_lo, v1, v0, v1
	s_delay_alu instid0(VALU_DEP_2) | instskip(SKIP_1) | instid1(TRANS32_DEP_1)
	v_rcp_f32_e32 v3, v2
	v_nop
	v_fma_f32 v4, -v2, v3, 1.0
	s_delay_alu instid0(VALU_DEP_1) | instskip(NEXT) | instid1(VALU_DEP_1)
	v_fmac_f32_e32 v3, v4, v3
	v_mul_f32_e32 v4, v5, v3
	s_delay_alu instid0(VALU_DEP_1) | instskip(NEXT) | instid1(VALU_DEP_1)
	v_fma_f32 v6, -v2, v4, v5
	v_fmac_f32_e32 v4, v6, v3
	s_delay_alu instid0(VALU_DEP_1) | instskip(NEXT) | instid1(VALU_DEP_1)
	v_fma_f32 v2, -v2, v4, v5
	v_div_fmas_f32 v2, v2, v3, v4
	s_delay_alu instid0(VALU_DEP_1) | instskip(NEXT) | instid1(VALU_DEP_1)
	v_div_fixup_f32 v3, v2, v0, v1
	v_fmac_f32_e32 v0, v1, v3
	s_delay_alu instid0(VALU_DEP_1) | instskip(NEXT) | instid1(VALU_DEP_1)
	v_div_scale_f32 v1, null, v0, v0, 1.0
	v_rcp_f32_e32 v2, v1
	v_nop
	s_delay_alu instid0(TRANS32_DEP_1) | instskip(NEXT) | instid1(VALU_DEP_1)
	v_fma_f32 v4, -v1, v2, 1.0
	v_fmac_f32_e32 v2, v4, v2
	v_div_scale_f32 v4, vcc_lo, 1.0, v0, 1.0
	s_delay_alu instid0(VALU_DEP_1) | instskip(NEXT) | instid1(VALU_DEP_1)
	v_mul_f32_e32 v5, v4, v2
	v_fma_f32 v6, -v1, v5, v4
	s_delay_alu instid0(VALU_DEP_1) | instskip(NEXT) | instid1(VALU_DEP_1)
	v_fmac_f32_e32 v5, v6, v2
	v_fma_f32 v1, -v1, v5, v4
	s_delay_alu instid0(VALU_DEP_1) | instskip(NEXT) | instid1(VALU_DEP_1)
	v_div_fmas_f32 v1, v1, v2, v5
	v_div_fixup_f32 v2, v1, v0, 1.0
	s_delay_alu instid0(VALU_DEP_1)
	v_mul_f32_e64 v3, v3, -v2
.LBB121_7:
	s_or_b32 exec_lo, exec_lo, s2
	ds_store_b64 v221, v[2:3]
.LBB121_8:
	s_or_b32 exec_lo, exec_lo, s4
	s_wait_storecnt 0x0
	s_wait_loadcnt_dscnt 0x0
	s_barrier_signal -1
	s_barrier_wait -1
	ds_load_b64 v[0:1], v221
	s_wait_dscnt 0x0
	scratch_store_b64 off, v[0:1], off offset:448 ; 8-byte Folded Spill
	s_wait_xcnt 0x0
	s_and_saveexec_b32 s2, s1
	s_cbranch_execz .LBB121_10
; %bb.9:
	scratch_load_b64 v[4:5], off, off offset:448 ; 8-byte Folded Reload
	s_wait_loadcnt 0x0
	v_pk_mul_f32 v[2:3], v[4:5], v[56:57] op_sel:[1,1] op_sel_hi:[0,1]
	s_delay_alu instid0(VALU_DEP_1)
	v_pk_fma_f32 v[0:1], v[4:5], v[56:57], v[2:3] op_sel_hi:[1,0,1] neg_lo:[0,0,1] neg_hi:[0,0,1]
	v_pk_fma_f32 v[2:3], v[4:5], v[56:57], v[2:3] op_sel_hi:[1,0,1]
	ds_load_2addr_b64 v[4:7], v222 offset0:1 offset1:2
	v_dual_mov_b32 v56, v0 :: v_dual_mov_b32 v57, v3
	s_wait_dscnt 0x0
	v_pk_mul_f32 v[8:9], v[4:5], v[2:3] op_sel:[0,1]
	s_delay_alu instid0(VALU_DEP_1) | instskip(SKIP_1) | instid1(VALU_DEP_1)
	v_pk_fma_f32 v[10:11], v[4:5], v[0:1], v[8:9] op_sel:[0,0,1] op_sel_hi:[1,1,0] neg_lo:[0,0,1] neg_hi:[0,0,1]
	v_pk_fma_f32 v[4:5], v[4:5], v[0:1], v[8:9] op_sel:[0,0,1] op_sel_hi:[1,0,0]
	v_mov_b32_e32 v11, v5
	v_pk_mul_f32 v[4:5], v[6:7], v[2:3] op_sel:[0,1]
	s_delay_alu instid0(VALU_DEP_1) | instskip(SKIP_1) | instid1(VALU_DEP_1)
	v_pk_fma_f32 v[8:9], v[6:7], v[0:1], v[4:5] op_sel:[0,0,1] op_sel_hi:[1,1,0] neg_lo:[0,0,1] neg_hi:[0,0,1]
	v_pk_fma_f32 v[4:5], v[6:7], v[0:1], v[4:5] op_sel:[0,0,1] op_sel_hi:[1,0,0]
	v_mov_b32_e32 v9, v5
	ds_load_2addr_b64 v[4:7], v222 offset0:3 offset1:4
	v_pk_add_f32 v[58:59], v[58:59], v[10:11] neg_lo:[0,1] neg_hi:[0,1]
	v_pk_add_f32 v[48:49], v[48:49], v[8:9] neg_lo:[0,1] neg_hi:[0,1]
	s_wait_dscnt 0x0
	v_pk_mul_f32 v[8:9], v[4:5], v[2:3] op_sel:[0,1]
	s_delay_alu instid0(VALU_DEP_1) | instskip(SKIP_2) | instid1(VALU_DEP_2)
	v_pk_fma_f32 v[10:11], v[4:5], v[0:1], v[8:9] op_sel:[0,0,1] op_sel_hi:[1,1,0] neg_lo:[0,0,1] neg_hi:[0,0,1]
	v_pk_fma_f32 v[4:5], v[4:5], v[0:1], v[8:9] op_sel:[0,0,1] op_sel_hi:[1,0,0]
	v_dual_mul_f32 v8, v7, v3 :: v_dual_mov_b32 v4, v7
	v_dual_mov_b32 v11, v5 :: v_dual_mov_b32 v5, v6
	s_delay_alu instid0(VALU_DEP_2) | instskip(SKIP_1) | instid1(VALU_DEP_3)
	v_pk_fma_f32 v[8:9], v[6:7], v[56:57], v[8:9] op_sel_hi:[1,1,0] neg_lo:[0,0,1] neg_hi:[0,0,1]
	v_mul_f32_e32 v6, v7, v0
	v_pk_add_f32 v[46:47], v[46:47], v[10:11] neg_lo:[0,1] neg_hi:[0,1]
	s_delay_alu instid0(VALU_DEP_2) | instskip(NEXT) | instid1(VALU_DEP_1)
	v_pk_fma_f32 v[4:5], v[4:5], v[56:57], v[6:7] op_sel_hi:[1,1,0]
	v_mov_b32_e32 v9, v5
	ds_load_2addr_b64 v[4:7], v222 offset0:5 offset1:6
	v_pk_add_f32 v[26:27], v[26:27], v[8:9] neg_lo:[0,1] neg_hi:[0,1]
	s_wait_dscnt 0x0
	v_pk_mul_f32 v[8:9], v[4:5], v[2:3] op_sel:[0,1]
	s_delay_alu instid0(VALU_DEP_1) | instskip(SKIP_1) | instid1(VALU_DEP_1)
	v_pk_fma_f32 v[10:11], v[4:5], v[0:1], v[8:9] op_sel:[0,0,1] op_sel_hi:[1,1,0] neg_lo:[0,0,1] neg_hi:[0,0,1]
	v_pk_fma_f32 v[4:5], v[4:5], v[0:1], v[8:9] op_sel:[0,0,1] op_sel_hi:[1,0,0]
	v_mov_b32_e32 v11, v5
	v_pk_mul_f32 v[4:5], v[6:7], v[2:3] op_sel:[0,1]
	s_delay_alu instid0(VALU_DEP_1) | instskip(SKIP_1) | instid1(VALU_DEP_1)
	v_pk_fma_f32 v[8:9], v[6:7], v[0:1], v[4:5] op_sel:[0,0,1] op_sel_hi:[1,1,0] neg_lo:[0,0,1] neg_hi:[0,0,1]
	v_pk_fma_f32 v[4:5], v[6:7], v[0:1], v[4:5] op_sel:[0,0,1] op_sel_hi:[1,0,0]
	v_mov_b32_e32 v9, v5
	ds_load_2addr_b64 v[4:7], v222 offset0:7 offset1:8
	v_pk_add_f32 v[22:23], v[22:23], v[10:11] neg_lo:[0,1] neg_hi:[0,1]
	v_pk_add_f32 v[24:25], v[24:25], v[8:9] neg_lo:[0,1] neg_hi:[0,1]
	s_wait_dscnt 0x0
	v_pk_mul_f32 v[8:9], v[4:5], v[2:3] op_sel:[0,1]
	s_delay_alu instid0(VALU_DEP_1) | instskip(SKIP_1) | instid1(VALU_DEP_1)
	v_pk_fma_f32 v[10:11], v[4:5], v[0:1], v[8:9] op_sel:[0,0,1] op_sel_hi:[1,1,0] neg_lo:[0,0,1] neg_hi:[0,0,1]
	v_pk_fma_f32 v[4:5], v[4:5], v[0:1], v[8:9] op_sel:[0,0,1] op_sel_hi:[1,0,0]
	v_mov_b32_e32 v11, v5
	v_pk_mul_f32 v[4:5], v[6:7], v[2:3] op_sel:[0,1]
	s_delay_alu instid0(VALU_DEP_1) | instskip(SKIP_1) | instid1(VALU_DEP_1)
	v_pk_fma_f32 v[8:9], v[6:7], v[0:1], v[4:5] op_sel:[0,0,1] op_sel_hi:[1,1,0] neg_lo:[0,0,1] neg_hi:[0,0,1]
	v_pk_fma_f32 v[4:5], v[6:7], v[0:1], v[4:5] op_sel:[0,0,1] op_sel_hi:[1,0,0]
	v_mov_b32_e32 v9, v5
	ds_load_2addr_b64 v[4:7], v222 offset0:9 offset1:10
	v_pk_add_f32 v[20:21], v[20:21], v[10:11] neg_lo:[0,1] neg_hi:[0,1]
	v_pk_add_f32 v[42:43], v[42:43], v[8:9] neg_lo:[0,1] neg_hi:[0,1]
	s_wait_dscnt 0x0
	v_dual_mul_f32 v8, v5, v3 :: v_dual_mul_f32 v10, v5, v0
	s_delay_alu instid0(VALU_DEP_1) | instskip(NEXT) | instid1(VALU_DEP_2)
	v_pk_fma_f32 v[8:9], v[4:5], v[56:57], v[8:9] op_sel_hi:[1,1,0] neg_lo:[0,0,1] neg_hi:[0,0,1]
	v_pk_fma_f32 v[4:5], v[4:5], v[56:57], v[10:11] op_sel:[1,0,0] op_sel_hi:[0,1,0]
	s_delay_alu instid0(VALU_DEP_1) | instskip(SKIP_1) | instid1(VALU_DEP_2)
	v_mov_b32_e32 v9, v5
	v_pk_mul_f32 v[4:5], v[6:7], v[2:3] op_sel:[0,1]
	v_pk_add_f32 v[38:39], v[38:39], v[8:9] neg_lo:[0,1] neg_hi:[0,1]
	s_delay_alu instid0(VALU_DEP_2) | instskip(SKIP_1) | instid1(VALU_DEP_1)
	v_pk_fma_f32 v[8:9], v[6:7], v[0:1], v[4:5] op_sel:[0,0,1] op_sel_hi:[1,1,0] neg_lo:[0,0,1] neg_hi:[0,0,1]
	v_pk_fma_f32 v[4:5], v[6:7], v[0:1], v[4:5] op_sel:[0,0,1] op_sel_hi:[1,0,0]
	v_mov_b32_e32 v9, v5
	ds_load_2addr_b64 v[4:7], v222 offset0:11 offset1:12
	v_pk_add_f32 v[40:41], v[40:41], v[8:9] neg_lo:[0,1] neg_hi:[0,1]
	s_wait_dscnt 0x0
	v_pk_mul_f32 v[8:9], v[4:5], v[2:3] op_sel:[0,1]
	s_delay_alu instid0(VALU_DEP_1) | instskip(SKIP_1) | instid1(VALU_DEP_1)
	v_pk_fma_f32 v[10:11], v[4:5], v[0:1], v[8:9] op_sel:[0,0,1] op_sel_hi:[1,1,0] neg_lo:[0,0,1] neg_hi:[0,0,1]
	v_pk_fma_f32 v[4:5], v[4:5], v[0:1], v[8:9] op_sel:[0,0,1] op_sel_hi:[1,0,0]
	v_mov_b32_e32 v11, v5
	v_pk_mul_f32 v[4:5], v[6:7], v[2:3] op_sel:[0,1]
	s_delay_alu instid0(VALU_DEP_2) | instskip(NEXT) | instid1(VALU_DEP_2)
	v_pk_add_f32 v[36:37], v[36:37], v[10:11] neg_lo:[0,1] neg_hi:[0,1]
	v_pk_fma_f32 v[8:9], v[6:7], v[0:1], v[4:5] op_sel:[0,0,1] op_sel_hi:[1,1,0] neg_lo:[0,0,1] neg_hi:[0,0,1]
	v_pk_fma_f32 v[4:5], v[6:7], v[0:1], v[4:5] op_sel:[0,0,1] op_sel_hi:[1,0,0]
	s_delay_alu instid0(VALU_DEP_1) | instskip(SKIP_4) | instid1(VALU_DEP_1)
	v_mov_b32_e32 v9, v5
	ds_load_2addr_b64 v[4:7], v222 offset0:13 offset1:14
	v_pk_add_f32 v[66:67], v[66:67], v[8:9] neg_lo:[0,1] neg_hi:[0,1]
	s_wait_dscnt 0x0
	v_pk_mul_f32 v[8:9], v[4:5], v[2:3] op_sel:[0,1]
	v_pk_fma_f32 v[10:11], v[4:5], v[0:1], v[8:9] op_sel:[0,0,1] op_sel_hi:[1,1,0] neg_lo:[0,0,1] neg_hi:[0,0,1]
	v_pk_fma_f32 v[4:5], v[4:5], v[0:1], v[8:9] op_sel:[0,0,1] op_sel_hi:[1,0,0]
	v_dual_mul_f32 v8, v7, v3 :: v_dual_mov_b32 v4, v7
	s_delay_alu instid0(VALU_DEP_2) | instskip(NEXT) | instid1(VALU_DEP_2)
	v_dual_mov_b32 v11, v5 :: v_dual_mov_b32 v5, v6
	v_pk_fma_f32 v[8:9], v[6:7], v[56:57], v[8:9] op_sel_hi:[1,1,0] neg_lo:[0,0,1] neg_hi:[0,0,1]
	v_mul_f32_e32 v6, v7, v0
	s_delay_alu instid0(VALU_DEP_3) | instskip(NEXT) | instid1(VALU_DEP_2)
	v_pk_add_f32 v[62:63], v[62:63], v[10:11] neg_lo:[0,1] neg_hi:[0,1]
	v_pk_fma_f32 v[4:5], v[4:5], v[56:57], v[6:7] op_sel_hi:[1,1,0]
	s_delay_alu instid0(VALU_DEP_1) | instskip(SKIP_4) | instid1(VALU_DEP_1)
	v_mov_b32_e32 v9, v5
	ds_load_2addr_b64 v[4:7], v222 offset0:15 offset1:16
	v_pk_add_f32 v[64:65], v[64:65], v[8:9] neg_lo:[0,1] neg_hi:[0,1]
	s_wait_dscnt 0x0
	v_pk_mul_f32 v[8:9], v[4:5], v[2:3] op_sel:[0,1]
	v_pk_fma_f32 v[10:11], v[4:5], v[0:1], v[8:9] op_sel:[0,0,1] op_sel_hi:[1,1,0] neg_lo:[0,0,1] neg_hi:[0,0,1]
	v_pk_fma_f32 v[4:5], v[4:5], v[0:1], v[8:9] op_sel:[0,0,1] op_sel_hi:[1,0,0]
	s_delay_alu instid0(VALU_DEP_1) | instskip(SKIP_1) | instid1(VALU_DEP_1)
	v_mov_b32_e32 v11, v5
	v_pk_mul_f32 v[4:5], v[6:7], v[2:3] op_sel:[0,1]
	v_pk_fma_f32 v[8:9], v[6:7], v[0:1], v[4:5] op_sel:[0,0,1] op_sel_hi:[1,1,0] neg_lo:[0,0,1] neg_hi:[0,0,1]
	v_pk_fma_f32 v[4:5], v[6:7], v[0:1], v[4:5] op_sel:[0,0,1] op_sel_hi:[1,0,0]
	s_delay_alu instid0(VALU_DEP_1)
	v_mov_b32_e32 v9, v5
	ds_load_2addr_b64 v[4:7], v222 offset0:17 offset1:18
	v_pk_add_f32 v[60:61], v[60:61], v[10:11] neg_lo:[0,1] neg_hi:[0,1]
	v_pk_add_f32 v[82:83], v[82:83], v[8:9] neg_lo:[0,1] neg_hi:[0,1]
	s_wait_dscnt 0x0
	v_pk_mul_f32 v[8:9], v[4:5], v[2:3] op_sel:[0,1]
	s_delay_alu instid0(VALU_DEP_1) | instskip(SKIP_1) | instid1(VALU_DEP_1)
	v_pk_fma_f32 v[10:11], v[4:5], v[0:1], v[8:9] op_sel:[0,0,1] op_sel_hi:[1,1,0] neg_lo:[0,0,1] neg_hi:[0,0,1]
	v_pk_fma_f32 v[4:5], v[4:5], v[0:1], v[8:9] op_sel:[0,0,1] op_sel_hi:[1,0,0]
	v_mov_b32_e32 v11, v5
	v_pk_mul_f32 v[4:5], v[6:7], v[2:3] op_sel:[0,1]
	s_delay_alu instid0(VALU_DEP_1) | instskip(SKIP_1) | instid1(VALU_DEP_1)
	v_pk_fma_f32 v[8:9], v[6:7], v[0:1], v[4:5] op_sel:[0,0,1] op_sel_hi:[1,1,0] neg_lo:[0,0,1] neg_hi:[0,0,1]
	v_pk_fma_f32 v[4:5], v[6:7], v[0:1], v[4:5] op_sel:[0,0,1] op_sel_hi:[1,0,0]
	v_mov_b32_e32 v9, v5
	ds_load_2addr_b64 v[4:7], v222 offset0:19 offset1:20
	v_pk_add_f32 v[78:79], v[78:79], v[10:11] neg_lo:[0,1] neg_hi:[0,1]
	v_pk_add_f32 v[80:81], v[80:81], v[8:9] neg_lo:[0,1] neg_hi:[0,1]
	s_wait_dscnt 0x0
	v_dual_mul_f32 v8, v5, v3 :: v_dual_mul_f32 v10, v5, v0
	s_delay_alu instid0(VALU_DEP_1) | instskip(NEXT) | instid1(VALU_DEP_2)
	v_pk_fma_f32 v[8:9], v[4:5], v[56:57], v[8:9] op_sel_hi:[1,1,0] neg_lo:[0,0,1] neg_hi:[0,0,1]
	v_pk_fma_f32 v[4:5], v[4:5], v[56:57], v[10:11] op_sel:[1,0,0] op_sel_hi:[0,1,0]
	s_delay_alu instid0(VALU_DEP_1) | instskip(SKIP_1) | instid1(VALU_DEP_2)
	v_mov_b32_e32 v9, v5
	v_pk_mul_f32 v[4:5], v[6:7], v[2:3] op_sel:[0,1]
	v_pk_add_f32 v[76:77], v[76:77], v[8:9] neg_lo:[0,1] neg_hi:[0,1]
	s_delay_alu instid0(VALU_DEP_2) | instskip(SKIP_1) | instid1(VALU_DEP_1)
	v_pk_fma_f32 v[8:9], v[6:7], v[0:1], v[4:5] op_sel:[0,0,1] op_sel_hi:[1,1,0] neg_lo:[0,0,1] neg_hi:[0,0,1]
	v_pk_fma_f32 v[4:5], v[6:7], v[0:1], v[4:5] op_sel:[0,0,1] op_sel_hi:[1,0,0]
	v_mov_b32_e32 v9, v5
	ds_load_2addr_b64 v[4:7], v222 offset0:21 offset1:22
	v_pk_add_f32 v[98:99], v[98:99], v[8:9] neg_lo:[0,1] neg_hi:[0,1]
	s_wait_dscnt 0x0
	v_pk_mul_f32 v[8:9], v[4:5], v[2:3] op_sel:[0,1]
	s_delay_alu instid0(VALU_DEP_1) | instskip(SKIP_1) | instid1(VALU_DEP_1)
	v_pk_fma_f32 v[10:11], v[4:5], v[0:1], v[8:9] op_sel:[0,0,1] op_sel_hi:[1,1,0] neg_lo:[0,0,1] neg_hi:[0,0,1]
	v_pk_fma_f32 v[4:5], v[4:5], v[0:1], v[8:9] op_sel:[0,0,1] op_sel_hi:[1,0,0]
	v_mov_b32_e32 v11, v5
	v_pk_mul_f32 v[4:5], v[6:7], v[2:3] op_sel:[0,1]
	s_delay_alu instid0(VALU_DEP_2) | instskip(NEXT) | instid1(VALU_DEP_2)
	v_pk_add_f32 v[94:95], v[94:95], v[10:11] neg_lo:[0,1] neg_hi:[0,1]
	v_pk_fma_f32 v[8:9], v[6:7], v[0:1], v[4:5] op_sel:[0,0,1] op_sel_hi:[1,1,0] neg_lo:[0,0,1] neg_hi:[0,0,1]
	v_pk_fma_f32 v[4:5], v[6:7], v[0:1], v[4:5] op_sel:[0,0,1] op_sel_hi:[1,0,0]
	s_delay_alu instid0(VALU_DEP_1) | instskip(SKIP_4) | instid1(VALU_DEP_1)
	v_mov_b32_e32 v9, v5
	ds_load_2addr_b64 v[4:7], v222 offset0:23 offset1:24
	v_pk_add_f32 v[96:97], v[96:97], v[8:9] neg_lo:[0,1] neg_hi:[0,1]
	s_wait_dscnt 0x0
	v_pk_mul_f32 v[8:9], v[4:5], v[2:3] op_sel:[0,1]
	v_pk_fma_f32 v[10:11], v[4:5], v[0:1], v[8:9] op_sel:[0,0,1] op_sel_hi:[1,1,0] neg_lo:[0,0,1] neg_hi:[0,0,1]
	v_pk_fma_f32 v[4:5], v[4:5], v[0:1], v[8:9] op_sel:[0,0,1] op_sel_hi:[1,0,0]
	v_dual_mul_f32 v8, v7, v3 :: v_dual_mov_b32 v4, v7
	s_delay_alu instid0(VALU_DEP_2) | instskip(NEXT) | instid1(VALU_DEP_2)
	v_dual_mov_b32 v11, v5 :: v_dual_mov_b32 v5, v6
	v_pk_fma_f32 v[8:9], v[6:7], v[56:57], v[8:9] op_sel_hi:[1,1,0] neg_lo:[0,0,1] neg_hi:[0,0,1]
	v_mul_f32_e32 v6, v7, v0
	s_delay_alu instid0(VALU_DEP_3) | instskip(NEXT) | instid1(VALU_DEP_2)
	v_pk_add_f32 v[92:93], v[92:93], v[10:11] neg_lo:[0,1] neg_hi:[0,1]
	v_pk_fma_f32 v[4:5], v[4:5], v[56:57], v[6:7] op_sel_hi:[1,1,0]
	s_delay_alu instid0(VALU_DEP_1) | instskip(SKIP_4) | instid1(VALU_DEP_1)
	v_mov_b32_e32 v9, v5
	ds_load_2addr_b64 v[4:7], v222 offset0:25 offset1:26
	v_pk_add_f32 v[114:115], v[114:115], v[8:9] neg_lo:[0,1] neg_hi:[0,1]
	s_wait_dscnt 0x0
	v_pk_mul_f32 v[8:9], v[4:5], v[2:3] op_sel:[0,1]
	v_pk_fma_f32 v[10:11], v[4:5], v[0:1], v[8:9] op_sel:[0,0,1] op_sel_hi:[1,1,0] neg_lo:[0,0,1] neg_hi:[0,0,1]
	v_pk_fma_f32 v[4:5], v[4:5], v[0:1], v[8:9] op_sel:[0,0,1] op_sel_hi:[1,0,0]
	s_delay_alu instid0(VALU_DEP_1) | instskip(SKIP_1) | instid1(VALU_DEP_1)
	v_mov_b32_e32 v11, v5
	v_pk_mul_f32 v[4:5], v[6:7], v[2:3] op_sel:[0,1]
	v_pk_fma_f32 v[8:9], v[6:7], v[0:1], v[4:5] op_sel:[0,0,1] op_sel_hi:[1,1,0] neg_lo:[0,0,1] neg_hi:[0,0,1]
	v_pk_fma_f32 v[4:5], v[6:7], v[0:1], v[4:5] op_sel:[0,0,1] op_sel_hi:[1,0,0]
	s_delay_alu instid0(VALU_DEP_1)
	v_mov_b32_e32 v9, v5
	ds_load_2addr_b64 v[4:7], v222 offset0:27 offset1:28
	v_pk_add_f32 v[110:111], v[110:111], v[10:11] neg_lo:[0,1] neg_hi:[0,1]
	v_pk_add_f32 v[112:113], v[112:113], v[8:9] neg_lo:[0,1] neg_hi:[0,1]
	s_wait_dscnt 0x0
	v_pk_mul_f32 v[8:9], v[4:5], v[2:3] op_sel:[0,1]
	s_delay_alu instid0(VALU_DEP_1) | instskip(SKIP_1) | instid1(VALU_DEP_1)
	v_pk_fma_f32 v[10:11], v[4:5], v[0:1], v[8:9] op_sel:[0,0,1] op_sel_hi:[1,1,0] neg_lo:[0,0,1] neg_hi:[0,0,1]
	v_pk_fma_f32 v[4:5], v[4:5], v[0:1], v[8:9] op_sel:[0,0,1] op_sel_hi:[1,0,0]
	v_mov_b32_e32 v11, v5
	v_pk_mul_f32 v[4:5], v[6:7], v[2:3] op_sel:[0,1]
	s_delay_alu instid0(VALU_DEP_1) | instskip(SKIP_1) | instid1(VALU_DEP_1)
	v_pk_fma_f32 v[8:9], v[6:7], v[0:1], v[4:5] op_sel:[0,0,1] op_sel_hi:[1,1,0] neg_lo:[0,0,1] neg_hi:[0,0,1]
	v_pk_fma_f32 v[4:5], v[6:7], v[0:1], v[4:5] op_sel:[0,0,1] op_sel_hi:[1,0,0]
	v_mov_b32_e32 v9, v5
	ds_load_2addr_b64 v[4:7], v222 offset0:29 offset1:30
	v_pk_add_f32 v[108:109], v[108:109], v[10:11] neg_lo:[0,1] neg_hi:[0,1]
	v_pk_add_f32 v[130:131], v[130:131], v[8:9] neg_lo:[0,1] neg_hi:[0,1]
	s_wait_dscnt 0x0
	v_dual_mul_f32 v8, v5, v3 :: v_dual_mul_f32 v10, v5, v0
	s_delay_alu instid0(VALU_DEP_1) | instskip(NEXT) | instid1(VALU_DEP_2)
	v_pk_fma_f32 v[8:9], v[4:5], v[56:57], v[8:9] op_sel_hi:[1,1,0] neg_lo:[0,0,1] neg_hi:[0,0,1]
	v_pk_fma_f32 v[4:5], v[4:5], v[56:57], v[10:11] op_sel:[1,0,0] op_sel_hi:[0,1,0]
	s_delay_alu instid0(VALU_DEP_1) | instskip(SKIP_1) | instid1(VALU_DEP_2)
	v_mov_b32_e32 v9, v5
	v_pk_mul_f32 v[4:5], v[6:7], v[2:3] op_sel:[0,1]
	v_pk_add_f32 v[126:127], v[126:127], v[8:9] neg_lo:[0,1] neg_hi:[0,1]
	s_delay_alu instid0(VALU_DEP_2) | instskip(SKIP_1) | instid1(VALU_DEP_1)
	v_pk_fma_f32 v[8:9], v[6:7], v[0:1], v[4:5] op_sel:[0,0,1] op_sel_hi:[1,1,0] neg_lo:[0,0,1] neg_hi:[0,0,1]
	v_pk_fma_f32 v[4:5], v[6:7], v[0:1], v[4:5] op_sel:[0,0,1] op_sel_hi:[1,0,0]
	v_mov_b32_e32 v9, v5
	ds_load_2addr_b64 v[4:7], v222 offset0:31 offset1:32
	v_pk_add_f32 v[128:129], v[128:129], v[8:9] neg_lo:[0,1] neg_hi:[0,1]
	s_wait_dscnt 0x0
	v_pk_mul_f32 v[8:9], v[4:5], v[2:3] op_sel:[0,1]
	s_delay_alu instid0(VALU_DEP_1) | instskip(SKIP_1) | instid1(VALU_DEP_1)
	v_pk_fma_f32 v[10:11], v[4:5], v[0:1], v[8:9] op_sel:[0,0,1] op_sel_hi:[1,1,0] neg_lo:[0,0,1] neg_hi:[0,0,1]
	v_pk_fma_f32 v[4:5], v[4:5], v[0:1], v[8:9] op_sel:[0,0,1] op_sel_hi:[1,0,0]
	v_mov_b32_e32 v11, v5
	v_pk_mul_f32 v[4:5], v[6:7], v[2:3] op_sel:[0,1]
	s_delay_alu instid0(VALU_DEP_2) | instskip(NEXT) | instid1(VALU_DEP_2)
	v_pk_add_f32 v[124:125], v[124:125], v[10:11] neg_lo:[0,1] neg_hi:[0,1]
	v_pk_fma_f32 v[8:9], v[6:7], v[0:1], v[4:5] op_sel:[0,0,1] op_sel_hi:[1,1,0] neg_lo:[0,0,1] neg_hi:[0,0,1]
	v_pk_fma_f32 v[4:5], v[6:7], v[0:1], v[4:5] op_sel:[0,0,1] op_sel_hi:[1,0,0]
	s_delay_alu instid0(VALU_DEP_1) | instskip(SKIP_4) | instid1(VALU_DEP_1)
	v_mov_b32_e32 v9, v5
	ds_load_2addr_b64 v[4:7], v222 offset0:33 offset1:34
	v_pk_add_f32 v[146:147], v[146:147], v[8:9] neg_lo:[0,1] neg_hi:[0,1]
	s_wait_dscnt 0x0
	v_pk_mul_f32 v[8:9], v[4:5], v[2:3] op_sel:[0,1]
	v_pk_fma_f32 v[10:11], v[4:5], v[0:1], v[8:9] op_sel:[0,0,1] op_sel_hi:[1,1,0] neg_lo:[0,0,1] neg_hi:[0,0,1]
	v_pk_fma_f32 v[4:5], v[4:5], v[0:1], v[8:9] op_sel:[0,0,1] op_sel_hi:[1,0,0]
	v_dual_mul_f32 v8, v7, v3 :: v_dual_mov_b32 v4, v7
	s_delay_alu instid0(VALU_DEP_2) | instskip(NEXT) | instid1(VALU_DEP_2)
	v_dual_mov_b32 v11, v5 :: v_dual_mov_b32 v5, v6
	v_pk_fma_f32 v[8:9], v[6:7], v[56:57], v[8:9] op_sel_hi:[1,1,0] neg_lo:[0,0,1] neg_hi:[0,0,1]
	v_mul_f32_e32 v6, v7, v0
	s_delay_alu instid0(VALU_DEP_3) | instskip(NEXT) | instid1(VALU_DEP_2)
	v_pk_add_f32 v[142:143], v[142:143], v[10:11] neg_lo:[0,1] neg_hi:[0,1]
	v_pk_fma_f32 v[4:5], v[4:5], v[56:57], v[6:7] op_sel_hi:[1,1,0]
	s_delay_alu instid0(VALU_DEP_1) | instskip(SKIP_4) | instid1(VALU_DEP_1)
	v_mov_b32_e32 v9, v5
	ds_load_2addr_b64 v[4:7], v222 offset0:35 offset1:36
	v_pk_add_f32 v[144:145], v[144:145], v[8:9] neg_lo:[0,1] neg_hi:[0,1]
	s_wait_dscnt 0x0
	v_pk_mul_f32 v[8:9], v[4:5], v[2:3] op_sel:[0,1]
	v_pk_fma_f32 v[10:11], v[4:5], v[0:1], v[8:9] op_sel:[0,0,1] op_sel_hi:[1,1,0] neg_lo:[0,0,1] neg_hi:[0,0,1]
	v_pk_fma_f32 v[4:5], v[4:5], v[0:1], v[8:9] op_sel:[0,0,1] op_sel_hi:[1,0,0]
	s_delay_alu instid0(VALU_DEP_1) | instskip(SKIP_1) | instid1(VALU_DEP_1)
	v_mov_b32_e32 v11, v5
	v_pk_mul_f32 v[4:5], v[6:7], v[2:3] op_sel:[0,1]
	v_pk_fma_f32 v[8:9], v[6:7], v[0:1], v[4:5] op_sel:[0,0,1] op_sel_hi:[1,1,0] neg_lo:[0,0,1] neg_hi:[0,0,1]
	v_pk_fma_f32 v[4:5], v[6:7], v[0:1], v[4:5] op_sel:[0,0,1] op_sel_hi:[1,0,0]
	s_delay_alu instid0(VALU_DEP_1)
	v_mov_b32_e32 v9, v5
	ds_load_2addr_b64 v[4:7], v222 offset0:37 offset1:38
	v_pk_add_f32 v[140:141], v[140:141], v[10:11] neg_lo:[0,1] neg_hi:[0,1]
	v_pk_add_f32 v[162:163], v[162:163], v[8:9] neg_lo:[0,1] neg_hi:[0,1]
	s_wait_dscnt 0x0
	v_pk_mul_f32 v[8:9], v[4:5], v[2:3] op_sel:[0,1]
	s_delay_alu instid0(VALU_DEP_1) | instskip(SKIP_1) | instid1(VALU_DEP_1)
	v_pk_fma_f32 v[10:11], v[4:5], v[0:1], v[8:9] op_sel:[0,0,1] op_sel_hi:[1,1,0] neg_lo:[0,0,1] neg_hi:[0,0,1]
	v_pk_fma_f32 v[4:5], v[4:5], v[0:1], v[8:9] op_sel:[0,0,1] op_sel_hi:[1,0,0]
	v_mov_b32_e32 v11, v5
	v_pk_mul_f32 v[4:5], v[6:7], v[2:3] op_sel:[0,1]
	s_delay_alu instid0(VALU_DEP_1) | instskip(SKIP_1) | instid1(VALU_DEP_1)
	v_pk_fma_f32 v[8:9], v[6:7], v[0:1], v[4:5] op_sel:[0,0,1] op_sel_hi:[1,1,0] neg_lo:[0,0,1] neg_hi:[0,0,1]
	v_pk_fma_f32 v[4:5], v[6:7], v[0:1], v[4:5] op_sel:[0,0,1] op_sel_hi:[1,0,0]
	v_mov_b32_e32 v9, v5
	ds_load_2addr_b64 v[4:7], v222 offset0:39 offset1:40
	v_pk_add_f32 v[158:159], v[158:159], v[10:11] neg_lo:[0,1] neg_hi:[0,1]
	v_pk_add_f32 v[160:161], v[160:161], v[8:9] neg_lo:[0,1] neg_hi:[0,1]
	s_wait_dscnt 0x0
	v_dual_mul_f32 v8, v5, v3 :: v_dual_mul_f32 v10, v5, v0
	s_delay_alu instid0(VALU_DEP_1) | instskip(NEXT) | instid1(VALU_DEP_2)
	v_pk_fma_f32 v[8:9], v[4:5], v[56:57], v[8:9] op_sel_hi:[1,1,0] neg_lo:[0,0,1] neg_hi:[0,0,1]
	v_pk_fma_f32 v[4:5], v[4:5], v[56:57], v[10:11] op_sel:[1,0,0] op_sel_hi:[0,1,0]
	s_delay_alu instid0(VALU_DEP_1) | instskip(SKIP_1) | instid1(VALU_DEP_2)
	v_mov_b32_e32 v9, v5
	v_pk_mul_f32 v[4:5], v[6:7], v[2:3] op_sel:[0,1]
	v_pk_add_f32 v[156:157], v[156:157], v[8:9] neg_lo:[0,1] neg_hi:[0,1]
	s_delay_alu instid0(VALU_DEP_2) | instskip(SKIP_1) | instid1(VALU_DEP_1)
	v_pk_fma_f32 v[8:9], v[6:7], v[0:1], v[4:5] op_sel:[0,0,1] op_sel_hi:[1,1,0] neg_lo:[0,0,1] neg_hi:[0,0,1]
	v_pk_fma_f32 v[4:5], v[6:7], v[0:1], v[4:5] op_sel:[0,0,1] op_sel_hi:[1,0,0]
	v_mov_b32_e32 v9, v5
	ds_load_2addr_b64 v[4:7], v222 offset0:41 offset1:42
	v_pk_add_f32 v[178:179], v[178:179], v[8:9] neg_lo:[0,1] neg_hi:[0,1]
	s_wait_dscnt 0x0
	v_pk_mul_f32 v[8:9], v[4:5], v[2:3] op_sel:[0,1]
	s_delay_alu instid0(VALU_DEP_1) | instskip(SKIP_1) | instid1(VALU_DEP_1)
	v_pk_fma_f32 v[10:11], v[4:5], v[0:1], v[8:9] op_sel:[0,0,1] op_sel_hi:[1,1,0] neg_lo:[0,0,1] neg_hi:[0,0,1]
	v_pk_fma_f32 v[4:5], v[4:5], v[0:1], v[8:9] op_sel:[0,0,1] op_sel_hi:[1,0,0]
	v_mov_b32_e32 v11, v5
	v_pk_mul_f32 v[4:5], v[6:7], v[2:3] op_sel:[0,1]
	s_delay_alu instid0(VALU_DEP_2) | instskip(NEXT) | instid1(VALU_DEP_2)
	v_pk_add_f32 v[174:175], v[174:175], v[10:11] neg_lo:[0,1] neg_hi:[0,1]
	v_pk_fma_f32 v[8:9], v[6:7], v[0:1], v[4:5] op_sel:[0,0,1] op_sel_hi:[1,1,0] neg_lo:[0,0,1] neg_hi:[0,0,1]
	v_pk_fma_f32 v[4:5], v[6:7], v[0:1], v[4:5] op_sel:[0,0,1] op_sel_hi:[1,0,0]
	s_delay_alu instid0(VALU_DEP_1) | instskip(SKIP_4) | instid1(VALU_DEP_1)
	v_mov_b32_e32 v9, v5
	ds_load_2addr_b64 v[4:7], v222 offset0:43 offset1:44
	v_pk_add_f32 v[176:177], v[176:177], v[8:9] neg_lo:[0,1] neg_hi:[0,1]
	s_wait_dscnt 0x0
	v_pk_mul_f32 v[8:9], v[4:5], v[2:3] op_sel:[0,1]
	v_pk_fma_f32 v[10:11], v[4:5], v[0:1], v[8:9] op_sel:[0,0,1] op_sel_hi:[1,1,0] neg_lo:[0,0,1] neg_hi:[0,0,1]
	v_pk_fma_f32 v[4:5], v[4:5], v[0:1], v[8:9] op_sel:[0,0,1] op_sel_hi:[1,0,0]
	v_dual_mul_f32 v8, v7, v3 :: v_dual_mov_b32 v4, v7
	s_delay_alu instid0(VALU_DEP_2) | instskip(NEXT) | instid1(VALU_DEP_2)
	v_dual_mov_b32 v11, v5 :: v_dual_mov_b32 v5, v6
	v_pk_fma_f32 v[8:9], v[6:7], v[56:57], v[8:9] op_sel_hi:[1,1,0] neg_lo:[0,0,1] neg_hi:[0,0,1]
	v_mul_f32_e32 v6, v7, v0
	s_delay_alu instid0(VALU_DEP_3) | instskip(NEXT) | instid1(VALU_DEP_2)
	v_pk_add_f32 v[172:173], v[172:173], v[10:11] neg_lo:[0,1] neg_hi:[0,1]
	v_pk_fma_f32 v[4:5], v[4:5], v[56:57], v[6:7] op_sel_hi:[1,1,0]
	s_delay_alu instid0(VALU_DEP_1) | instskip(SKIP_4) | instid1(VALU_DEP_1)
	v_mov_b32_e32 v9, v5
	ds_load_2addr_b64 v[4:7], v222 offset0:45 offset1:46
	v_pk_add_f32 v[194:195], v[194:195], v[8:9] neg_lo:[0,1] neg_hi:[0,1]
	s_wait_dscnt 0x0
	v_pk_mul_f32 v[8:9], v[4:5], v[2:3] op_sel:[0,1]
	v_pk_fma_f32 v[10:11], v[4:5], v[0:1], v[8:9] op_sel:[0,0,1] op_sel_hi:[1,1,0] neg_lo:[0,0,1] neg_hi:[0,0,1]
	v_pk_fma_f32 v[4:5], v[4:5], v[0:1], v[8:9] op_sel:[0,0,1] op_sel_hi:[1,0,0]
	s_delay_alu instid0(VALU_DEP_1) | instskip(SKIP_1) | instid1(VALU_DEP_1)
	v_mov_b32_e32 v11, v5
	v_pk_mul_f32 v[4:5], v[6:7], v[2:3] op_sel:[0,1]
	v_pk_fma_f32 v[8:9], v[6:7], v[0:1], v[4:5] op_sel:[0,0,1] op_sel_hi:[1,1,0] neg_lo:[0,0,1] neg_hi:[0,0,1]
	v_pk_fma_f32 v[4:5], v[6:7], v[0:1], v[4:5] op_sel:[0,0,1] op_sel_hi:[1,0,0]
	s_delay_alu instid0(VALU_DEP_1)
	v_mov_b32_e32 v9, v5
	ds_load_2addr_b64 v[4:7], v222 offset0:47 offset1:48
	v_pk_add_f32 v[190:191], v[190:191], v[10:11] neg_lo:[0,1] neg_hi:[0,1]
	v_pk_add_f32 v[192:193], v[192:193], v[8:9] neg_lo:[0,1] neg_hi:[0,1]
	s_wait_dscnt 0x0
	v_pk_mul_f32 v[8:9], v[4:5], v[2:3] op_sel:[0,1]
	s_delay_alu instid0(VALU_DEP_1) | instskip(SKIP_1) | instid1(VALU_DEP_1)
	v_pk_fma_f32 v[10:11], v[4:5], v[0:1], v[8:9] op_sel:[0,0,1] op_sel_hi:[1,1,0] neg_lo:[0,0,1] neg_hi:[0,0,1]
	v_pk_fma_f32 v[4:5], v[4:5], v[0:1], v[8:9] op_sel:[0,0,1] op_sel_hi:[1,0,0]
	v_mov_b32_e32 v11, v5
	v_pk_mul_f32 v[4:5], v[6:7], v[2:3] op_sel:[0,1]
	s_delay_alu instid0(VALU_DEP_1) | instskip(SKIP_1) | instid1(VALU_DEP_1)
	v_pk_fma_f32 v[8:9], v[6:7], v[0:1], v[4:5] op_sel:[0,0,1] op_sel_hi:[1,1,0] neg_lo:[0,0,1] neg_hi:[0,0,1]
	v_pk_fma_f32 v[4:5], v[6:7], v[0:1], v[4:5] op_sel:[0,0,1] op_sel_hi:[1,0,0]
	v_mov_b32_e32 v9, v5
	ds_load_2addr_b64 v[4:7], v222 offset0:49 offset1:50
	v_pk_add_f32 v[188:189], v[188:189], v[10:11] neg_lo:[0,1] neg_hi:[0,1]
	v_pk_add_f32 v[216:217], v[216:217], v[8:9] neg_lo:[0,1] neg_hi:[0,1]
	s_wait_dscnt 0x0
	v_dual_mul_f32 v8, v5, v3 :: v_dual_mul_f32 v10, v5, v0
	s_delay_alu instid0(VALU_DEP_1) | instskip(NEXT) | instid1(VALU_DEP_2)
	v_pk_fma_f32 v[8:9], v[4:5], v[56:57], v[8:9] op_sel_hi:[1,1,0] neg_lo:[0,0,1] neg_hi:[0,0,1]
	v_pk_fma_f32 v[4:5], v[4:5], v[56:57], v[10:11] op_sel:[1,0,0] op_sel_hi:[0,1,0]
	s_delay_alu instid0(VALU_DEP_1) | instskip(SKIP_1) | instid1(VALU_DEP_2)
	v_mov_b32_e32 v9, v5
	v_pk_mul_f32 v[4:5], v[6:7], v[2:3] op_sel:[0,1]
	v_pk_add_f32 v[212:213], v[212:213], v[8:9] neg_lo:[0,1] neg_hi:[0,1]
	s_delay_alu instid0(VALU_DEP_2) | instskip(SKIP_1) | instid1(VALU_DEP_1)
	v_pk_fma_f32 v[8:9], v[6:7], v[0:1], v[4:5] op_sel:[0,0,1] op_sel_hi:[1,1,0] neg_lo:[0,0,1] neg_hi:[0,0,1]
	v_pk_fma_f32 v[4:5], v[6:7], v[0:1], v[4:5] op_sel:[0,0,1] op_sel_hi:[1,0,0]
	v_mov_b32_e32 v9, v5
	ds_load_2addr_b64 v[4:7], v222 offset0:51 offset1:52
	v_pk_add_f32 v[214:215], v[214:215], v[8:9] neg_lo:[0,1] neg_hi:[0,1]
	s_wait_dscnt 0x0
	v_pk_mul_f32 v[8:9], v[4:5], v[2:3] op_sel:[0,1]
	s_delay_alu instid0(VALU_DEP_1) | instskip(SKIP_1) | instid1(VALU_DEP_1)
	v_pk_fma_f32 v[10:11], v[4:5], v[0:1], v[8:9] op_sel:[0,0,1] op_sel_hi:[1,1,0] neg_lo:[0,0,1] neg_hi:[0,0,1]
	v_pk_fma_f32 v[4:5], v[4:5], v[0:1], v[8:9] op_sel:[0,0,1] op_sel_hi:[1,0,0]
	v_mov_b32_e32 v11, v5
	v_pk_mul_f32 v[4:5], v[6:7], v[2:3] op_sel:[0,1]
	s_delay_alu instid0(VALU_DEP_2) | instskip(NEXT) | instid1(VALU_DEP_2)
	v_pk_add_f32 v[210:211], v[210:211], v[10:11] neg_lo:[0,1] neg_hi:[0,1]
	v_pk_fma_f32 v[8:9], v[6:7], v[0:1], v[4:5] op_sel:[0,0,1] op_sel_hi:[1,1,0] neg_lo:[0,0,1] neg_hi:[0,0,1]
	v_pk_fma_f32 v[4:5], v[6:7], v[0:1], v[4:5] op_sel:[0,0,1] op_sel_hi:[1,0,0]
	s_delay_alu instid0(VALU_DEP_1) | instskip(SKIP_4) | instid1(VALU_DEP_1)
	v_mov_b32_e32 v9, v5
	ds_load_2addr_b64 v[4:7], v222 offset0:53 offset1:54
	v_pk_add_f32 v[240:241], v[240:241], v[8:9] neg_lo:[0,1] neg_hi:[0,1]
	s_wait_dscnt 0x0
	v_pk_mul_f32 v[8:9], v[4:5], v[2:3] op_sel:[0,1]
	v_pk_fma_f32 v[10:11], v[4:5], v[0:1], v[8:9] op_sel:[0,0,1] op_sel_hi:[1,1,0] neg_lo:[0,0,1] neg_hi:[0,0,1]
	v_pk_fma_f32 v[4:5], v[4:5], v[0:1], v[8:9] op_sel:[0,0,1] op_sel_hi:[1,0,0]
	v_dual_mul_f32 v8, v7, v3 :: v_dual_mov_b32 v4, v7
	s_delay_alu instid0(VALU_DEP_2) | instskip(NEXT) | instid1(VALU_DEP_2)
	v_dual_mov_b32 v11, v5 :: v_dual_mov_b32 v5, v6
	v_pk_fma_f32 v[8:9], v[6:7], v[56:57], v[8:9] op_sel_hi:[1,1,0] neg_lo:[0,0,1] neg_hi:[0,0,1]
	v_mul_f32_e32 v6, v7, v0
	s_delay_alu instid0(VALU_DEP_3) | instskip(NEXT) | instid1(VALU_DEP_2)
	v_pk_add_f32 v[232:233], v[232:233], v[10:11] neg_lo:[0,1] neg_hi:[0,1]
	v_pk_fma_f32 v[4:5], v[4:5], v[56:57], v[6:7] op_sel_hi:[1,1,0]
	s_delay_alu instid0(VALU_DEP_1) | instskip(SKIP_4) | instid1(VALU_DEP_1)
	v_mov_b32_e32 v9, v5
	ds_load_2addr_b64 v[4:7], v222 offset0:55 offset1:56
	v_pk_add_f32 v[238:239], v[238:239], v[8:9] neg_lo:[0,1] neg_hi:[0,1]
	s_wait_dscnt 0x0
	v_pk_mul_f32 v[8:9], v[4:5], v[2:3] op_sel:[0,1]
	v_pk_fma_f32 v[10:11], v[4:5], v[0:1], v[8:9] op_sel:[0,0,1] op_sel_hi:[1,1,0] neg_lo:[0,0,1] neg_hi:[0,0,1]
	v_pk_fma_f32 v[4:5], v[4:5], v[0:1], v[8:9] op_sel:[0,0,1] op_sel_hi:[1,0,0]
	s_delay_alu instid0(VALU_DEP_1) | instskip(SKIP_1) | instid1(VALU_DEP_1)
	v_mov_b32_e32 v11, v5
	v_pk_mul_f32 v[4:5], v[6:7], v[2:3] op_sel:[0,1]
	v_pk_fma_f32 v[8:9], v[6:7], v[0:1], v[4:5] op_sel:[0,0,1] op_sel_hi:[1,1,0] neg_lo:[0,0,1] neg_hi:[0,0,1]
	v_pk_fma_f32 v[4:5], v[6:7], v[0:1], v[4:5] op_sel:[0,0,1] op_sel_hi:[1,0,0]
	s_delay_alu instid0(VALU_DEP_1)
	v_mov_b32_e32 v9, v5
	ds_load_2addr_b64 v[4:7], v222 offset0:57 offset1:58
	v_pk_add_f32 v[230:231], v[230:231], v[10:11] neg_lo:[0,1] neg_hi:[0,1]
	v_pk_add_f32 v[236:237], v[236:237], v[8:9] neg_lo:[0,1] neg_hi:[0,1]
	s_wait_dscnt 0x0
	v_pk_mul_f32 v[8:9], v[4:5], v[2:3] op_sel:[0,1]
	s_delay_alu instid0(VALU_DEP_1) | instskip(SKIP_1) | instid1(VALU_DEP_1)
	v_pk_fma_f32 v[10:11], v[4:5], v[0:1], v[8:9] op_sel:[0,0,1] op_sel_hi:[1,1,0] neg_lo:[0,0,1] neg_hi:[0,0,1]
	v_pk_fma_f32 v[4:5], v[4:5], v[0:1], v[8:9] op_sel:[0,0,1] op_sel_hi:[1,0,0]
	v_mov_b32_e32 v11, v5
	v_pk_mul_f32 v[4:5], v[6:7], v[2:3] op_sel:[0,1]
	s_delay_alu instid0(VALU_DEP_1) | instskip(SKIP_1) | instid1(VALU_DEP_1)
	v_pk_fma_f32 v[8:9], v[6:7], v[0:1], v[4:5] op_sel:[0,0,1] op_sel_hi:[1,1,0] neg_lo:[0,0,1] neg_hi:[0,0,1]
	v_pk_fma_f32 v[4:5], v[6:7], v[0:1], v[4:5] op_sel:[0,0,1] op_sel_hi:[1,0,0]
	v_mov_b32_e32 v9, v5
	ds_load_2addr_b64 v[4:7], v222 offset0:59 offset1:60
	v_pk_add_f32 v[228:229], v[228:229], v[10:11] neg_lo:[0,1] neg_hi:[0,1]
	v_pk_add_f32 v[234:235], v[234:235], v[8:9] neg_lo:[0,1] neg_hi:[0,1]
	s_wait_dscnt 0x0
	v_mul_f32_e32 v2, v5, v3
	s_delay_alu instid0(VALU_DEP_1) | instskip(SKIP_1) | instid1(VALU_DEP_1)
	v_pk_fma_f32 v[8:9], v[4:5], v[56:57], v[2:3] op_sel_hi:[1,1,0] neg_lo:[0,0,1] neg_hi:[0,0,1]
	v_dual_mul_f32 v2, v5, v0 :: v_dual_mul_f32 v0, v7, v0
	v_pk_fma_f32 v[4:5], v[4:5], v[56:57], v[2:3] op_sel:[1,0,0] op_sel_hi:[0,1,0]
	v_dual_mov_b32 v4, v7 :: v_dual_mul_f32 v2, v7, v3
	s_delay_alu instid0(VALU_DEP_2) | instskip(NEXT) | instid1(VALU_DEP_2)
	v_dual_mov_b32 v9, v5 :: v_dual_mov_b32 v5, v6
	v_pk_fma_f32 v[2:3], v[6:7], v[56:57], v[2:3] op_sel_hi:[1,1,0] neg_lo:[0,0,1] neg_hi:[0,0,1]
	s_delay_alu instid0(VALU_DEP_2) | instskip(NEXT) | instid1(VALU_DEP_3)
	v_pk_add_f32 v[242:243], v[242:243], v[8:9] neg_lo:[0,1] neg_hi:[0,1]
	v_pk_fma_f32 v[0:1], v[4:5], v[56:57], v[0:1] op_sel_hi:[1,1,0]
	s_delay_alu instid0(VALU_DEP_1) | instskip(NEXT) | instid1(VALU_DEP_1)
	v_mov_b32_e32 v3, v1
	v_pk_add_f32 v[244:245], v[244:245], v[2:3] neg_lo:[0,1] neg_hi:[0,1]
.LBB121_10:
	s_wait_xcnt 0x0
	s_or_b32 exec_lo, exec_lo, s2
	s_delay_alu instid0(SALU_CYCLE_1)
	s_mov_b32 s2, exec_lo
	s_wait_storecnt 0x0
	s_barrier_signal -1
	s_barrier_wait -1
	v_cmpx_eq_u32_e32 1, v220
	s_cbranch_execz .LBB121_17
; %bb.11:
	v_dual_mov_b32 v0, v48 :: v_dual_mov_b32 v1, v49
	v_dual_mov_b32 v2, v46 :: v_dual_mov_b32 v3, v47
	ds_store_b64 v221, v[58:59]
	ds_store_2addr_b64 v222, v[0:1], v[2:3] offset0:2 offset1:3
	v_dual_mov_b32 v0, v26 :: v_dual_mov_b32 v1, v27
	v_dual_mov_b32 v2, v22 :: v_dual_mov_b32 v3, v23
	ds_store_2addr_b64 v222, v[0:1], v[2:3] offset0:4 offset1:5
	v_dual_mov_b32 v0, v24 :: v_dual_mov_b32 v1, v25
	v_dual_mov_b32 v2, v20 :: v_dual_mov_b32 v3, v21
	;; [unrolled: 3-line block ×28, first 2 shown]
	ds_store_2addr_b64 v222, v[0:1], v[2:3] offset0:58 offset1:59
	ds_store_b64 v222, v[244:245] offset:480
	ds_load_b64 v[0:1], v221
	s_wait_dscnt 0x0
	v_cmp_neq_f32_e32 vcc_lo, 0, v0
	v_cmp_neq_f32_e64 s1, 0, v1
	s_or_b32 s1, vcc_lo, s1
	s_delay_alu instid0(SALU_CYCLE_1)
	s_and_b32 exec_lo, exec_lo, s1
	s_cbranch_execz .LBB121_17
; %bb.12:
	v_cmp_ngt_f32_e64 s1, |v0|, |v1|
                                        ; implicit-def: $vgpr2_vgpr3
	s_and_saveexec_b32 s4, s1
	s_delay_alu instid0(SALU_CYCLE_1)
	s_xor_b32 s1, exec_lo, s4
	s_cbranch_execz .LBB121_14
; %bb.13:
	v_div_scale_f32 v2, null, v1, v1, v0
	v_div_scale_f32 v5, vcc_lo, v0, v1, v0
	s_delay_alu instid0(VALU_DEP_2) | instskip(SKIP_1) | instid1(TRANS32_DEP_1)
	v_rcp_f32_e32 v3, v2
	v_nop
	v_fma_f32 v4, -v2, v3, 1.0
	s_delay_alu instid0(VALU_DEP_1) | instskip(NEXT) | instid1(VALU_DEP_1)
	v_fmac_f32_e32 v3, v4, v3
	v_mul_f32_e32 v4, v5, v3
	s_delay_alu instid0(VALU_DEP_1) | instskip(NEXT) | instid1(VALU_DEP_1)
	v_fma_f32 v6, -v2, v4, v5
	v_fmac_f32_e32 v4, v6, v3
	s_delay_alu instid0(VALU_DEP_1) | instskip(NEXT) | instid1(VALU_DEP_1)
	v_fma_f32 v2, -v2, v4, v5
	v_div_fmas_f32 v2, v2, v3, v4
	s_delay_alu instid0(VALU_DEP_1) | instskip(NEXT) | instid1(VALU_DEP_1)
	v_div_fixup_f32 v2, v2, v1, v0
	v_fmac_f32_e32 v1, v0, v2
	s_delay_alu instid0(VALU_DEP_1) | instskip(SKIP_1) | instid1(VALU_DEP_2)
	v_div_scale_f32 v0, null, v1, v1, 1.0
	v_div_scale_f32 v5, vcc_lo, 1.0, v1, 1.0
	v_rcp_f32_e32 v3, v0
	v_nop
	s_delay_alu instid0(TRANS32_DEP_1) | instskip(NEXT) | instid1(VALU_DEP_1)
	v_fma_f32 v4, -v0, v3, 1.0
	v_fmac_f32_e32 v3, v4, v3
	s_delay_alu instid0(VALU_DEP_1) | instskip(NEXT) | instid1(VALU_DEP_1)
	v_mul_f32_e32 v4, v5, v3
	v_fma_f32 v6, -v0, v4, v5
	s_delay_alu instid0(VALU_DEP_1) | instskip(NEXT) | instid1(VALU_DEP_1)
	v_fmac_f32_e32 v4, v6, v3
	v_fma_f32 v0, -v0, v4, v5
	s_delay_alu instid0(VALU_DEP_1) | instskip(NEXT) | instid1(VALU_DEP_1)
	v_div_fmas_f32 v0, v0, v3, v4
	v_div_fixup_f32 v0, v0, v1, 1.0
	s_delay_alu instid0(VALU_DEP_1)
	v_mul_f32_e32 v2, v2, v0
	v_xor_b32_e32 v3, 0x80000000, v0
                                        ; implicit-def: $vgpr0_vgpr1
.LBB121_14:
	s_and_not1_saveexec_b32 s1, s1
	s_cbranch_execz .LBB121_16
; %bb.15:
	v_div_scale_f32 v2, null, v0, v0, v1
	v_div_scale_f32 v5, vcc_lo, v1, v0, v1
	s_delay_alu instid0(VALU_DEP_2) | instskip(SKIP_1) | instid1(TRANS32_DEP_1)
	v_rcp_f32_e32 v3, v2
	v_nop
	v_fma_f32 v4, -v2, v3, 1.0
	s_delay_alu instid0(VALU_DEP_1) | instskip(NEXT) | instid1(VALU_DEP_1)
	v_fmac_f32_e32 v3, v4, v3
	v_mul_f32_e32 v4, v5, v3
	s_delay_alu instid0(VALU_DEP_1) | instskip(NEXT) | instid1(VALU_DEP_1)
	v_fma_f32 v6, -v2, v4, v5
	v_fmac_f32_e32 v4, v6, v3
	s_delay_alu instid0(VALU_DEP_1) | instskip(NEXT) | instid1(VALU_DEP_1)
	v_fma_f32 v2, -v2, v4, v5
	v_div_fmas_f32 v2, v2, v3, v4
	s_delay_alu instid0(VALU_DEP_1) | instskip(NEXT) | instid1(VALU_DEP_1)
	v_div_fixup_f32 v3, v2, v0, v1
	v_fmac_f32_e32 v0, v1, v3
	s_delay_alu instid0(VALU_DEP_1) | instskip(NEXT) | instid1(VALU_DEP_1)
	v_div_scale_f32 v1, null, v0, v0, 1.0
	v_rcp_f32_e32 v2, v1
	v_nop
	s_delay_alu instid0(TRANS32_DEP_1) | instskip(NEXT) | instid1(VALU_DEP_1)
	v_fma_f32 v4, -v1, v2, 1.0
	v_fmac_f32_e32 v2, v4, v2
	v_div_scale_f32 v4, vcc_lo, 1.0, v0, 1.0
	s_delay_alu instid0(VALU_DEP_1) | instskip(NEXT) | instid1(VALU_DEP_1)
	v_mul_f32_e32 v5, v4, v2
	v_fma_f32 v6, -v1, v5, v4
	s_delay_alu instid0(VALU_DEP_1) | instskip(NEXT) | instid1(VALU_DEP_1)
	v_fmac_f32_e32 v5, v6, v2
	v_fma_f32 v1, -v1, v5, v4
	s_delay_alu instid0(VALU_DEP_1) | instskip(NEXT) | instid1(VALU_DEP_1)
	v_div_fmas_f32 v1, v1, v2, v5
	v_div_fixup_f32 v2, v1, v0, 1.0
	s_delay_alu instid0(VALU_DEP_1)
	v_mul_f32_e64 v3, v3, -v2
.LBB121_16:
	s_or_b32 exec_lo, exec_lo, s1
	ds_store_b64 v221, v[2:3]
.LBB121_17:
	s_or_b32 exec_lo, exec_lo, s2
	s_wait_dscnt 0x0
	s_barrier_signal -1
	s_barrier_wait -1
	ds_load_b64 v[0:1], v221
	s_mov_b32 s1, exec_lo
	s_wait_dscnt 0x0
	scratch_store_b64 off, v[0:1], off offset:456 ; 8-byte Folded Spill
	s_wait_xcnt 0x0
	v_cmpx_lt_u32_e32 1, v220
	s_cbranch_execz .LBB121_19
; %bb.18:
	scratch_load_b64 v[4:5], off, off offset:456 ; 8-byte Folded Reload
	s_wait_loadcnt 0x0
	v_pk_mul_f32 v[2:3], v[4:5], v[58:59] op_sel:[1,1] op_sel_hi:[0,1]
	s_delay_alu instid0(VALU_DEP_1)
	v_pk_fma_f32 v[0:1], v[4:5], v[58:59], v[2:3] op_sel_hi:[1,0,1] neg_lo:[0,0,1] neg_hi:[0,0,1]
	v_pk_fma_f32 v[2:3], v[4:5], v[58:59], v[2:3] op_sel_hi:[1,0,1]
	ds_load_2addr_b64 v[4:7], v222 offset0:2 offset1:3
	v_dual_mov_b32 v58, v0 :: v_dual_mov_b32 v59, v3
	s_wait_dscnt 0x0
	v_pk_mul_f32 v[8:9], v[4:5], v[2:3] op_sel:[0,1]
	s_delay_alu instid0(VALU_DEP_1) | instskip(SKIP_1) | instid1(VALU_DEP_1)
	v_pk_fma_f32 v[10:11], v[4:5], v[0:1], v[8:9] op_sel:[0,0,1] op_sel_hi:[1,1,0] neg_lo:[0,0,1] neg_hi:[0,0,1]
	v_pk_fma_f32 v[4:5], v[4:5], v[0:1], v[8:9] op_sel:[0,0,1] op_sel_hi:[1,0,0]
	v_mov_b32_e32 v11, v5
	v_pk_mul_f32 v[4:5], v[6:7], v[2:3] op_sel:[0,1]
	s_delay_alu instid0(VALU_DEP_1) | instskip(SKIP_1) | instid1(VALU_DEP_1)
	v_pk_fma_f32 v[8:9], v[6:7], v[0:1], v[4:5] op_sel:[0,0,1] op_sel_hi:[1,1,0] neg_lo:[0,0,1] neg_hi:[0,0,1]
	v_pk_fma_f32 v[4:5], v[6:7], v[0:1], v[4:5] op_sel:[0,0,1] op_sel_hi:[1,0,0]
	v_mov_b32_e32 v9, v5
	ds_load_2addr_b64 v[4:7], v222 offset0:4 offset1:5
	v_pk_add_f32 v[48:49], v[48:49], v[10:11] neg_lo:[0,1] neg_hi:[0,1]
	v_pk_add_f32 v[46:47], v[46:47], v[8:9] neg_lo:[0,1] neg_hi:[0,1]
	s_wait_dscnt 0x0
	v_pk_mul_f32 v[8:9], v[4:5], v[2:3] op_sel:[0,1]
	s_delay_alu instid0(VALU_DEP_1) | instskip(SKIP_2) | instid1(VALU_DEP_2)
	v_pk_fma_f32 v[10:11], v[4:5], v[0:1], v[8:9] op_sel:[0,0,1] op_sel_hi:[1,1,0] neg_lo:[0,0,1] neg_hi:[0,0,1]
	v_pk_fma_f32 v[4:5], v[4:5], v[0:1], v[8:9] op_sel:[0,0,1] op_sel_hi:[1,0,0]
	v_dual_mul_f32 v8, v7, v3 :: v_dual_mov_b32 v4, v7
	v_dual_mov_b32 v11, v5 :: v_dual_mov_b32 v5, v6
	s_delay_alu instid0(VALU_DEP_2) | instskip(SKIP_1) | instid1(VALU_DEP_3)
	v_pk_fma_f32 v[8:9], v[6:7], v[58:59], v[8:9] op_sel_hi:[1,1,0] neg_lo:[0,0,1] neg_hi:[0,0,1]
	v_mul_f32_e32 v6, v7, v0
	v_pk_add_f32 v[26:27], v[26:27], v[10:11] neg_lo:[0,1] neg_hi:[0,1]
	s_delay_alu instid0(VALU_DEP_2) | instskip(NEXT) | instid1(VALU_DEP_1)
	v_pk_fma_f32 v[4:5], v[4:5], v[58:59], v[6:7] op_sel_hi:[1,1,0]
	v_mov_b32_e32 v9, v5
	ds_load_2addr_b64 v[4:7], v222 offset0:6 offset1:7
	v_pk_add_f32 v[22:23], v[22:23], v[8:9] neg_lo:[0,1] neg_hi:[0,1]
	s_wait_dscnt 0x0
	v_pk_mul_f32 v[8:9], v[4:5], v[2:3] op_sel:[0,1]
	s_delay_alu instid0(VALU_DEP_1) | instskip(SKIP_1) | instid1(VALU_DEP_1)
	v_pk_fma_f32 v[10:11], v[4:5], v[0:1], v[8:9] op_sel:[0,0,1] op_sel_hi:[1,1,0] neg_lo:[0,0,1] neg_hi:[0,0,1]
	v_pk_fma_f32 v[4:5], v[4:5], v[0:1], v[8:9] op_sel:[0,0,1] op_sel_hi:[1,0,0]
	v_mov_b32_e32 v11, v5
	v_pk_mul_f32 v[4:5], v[6:7], v[2:3] op_sel:[0,1]
	s_delay_alu instid0(VALU_DEP_1) | instskip(SKIP_1) | instid1(VALU_DEP_1)
	v_pk_fma_f32 v[8:9], v[6:7], v[0:1], v[4:5] op_sel:[0,0,1] op_sel_hi:[1,1,0] neg_lo:[0,0,1] neg_hi:[0,0,1]
	v_pk_fma_f32 v[4:5], v[6:7], v[0:1], v[4:5] op_sel:[0,0,1] op_sel_hi:[1,0,0]
	v_mov_b32_e32 v9, v5
	ds_load_2addr_b64 v[4:7], v222 offset0:8 offset1:9
	v_pk_add_f32 v[24:25], v[24:25], v[10:11] neg_lo:[0,1] neg_hi:[0,1]
	v_pk_add_f32 v[20:21], v[20:21], v[8:9] neg_lo:[0,1] neg_hi:[0,1]
	s_wait_dscnt 0x0
	v_pk_mul_f32 v[8:9], v[4:5], v[2:3] op_sel:[0,1]
	s_delay_alu instid0(VALU_DEP_1) | instskip(SKIP_1) | instid1(VALU_DEP_1)
	v_pk_fma_f32 v[10:11], v[4:5], v[0:1], v[8:9] op_sel:[0,0,1] op_sel_hi:[1,1,0] neg_lo:[0,0,1] neg_hi:[0,0,1]
	v_pk_fma_f32 v[4:5], v[4:5], v[0:1], v[8:9] op_sel:[0,0,1] op_sel_hi:[1,0,0]
	v_mov_b32_e32 v11, v5
	v_pk_mul_f32 v[4:5], v[6:7], v[2:3] op_sel:[0,1]
	s_delay_alu instid0(VALU_DEP_1) | instskip(SKIP_1) | instid1(VALU_DEP_1)
	v_pk_fma_f32 v[8:9], v[6:7], v[0:1], v[4:5] op_sel:[0,0,1] op_sel_hi:[1,1,0] neg_lo:[0,0,1] neg_hi:[0,0,1]
	v_pk_fma_f32 v[4:5], v[6:7], v[0:1], v[4:5] op_sel:[0,0,1] op_sel_hi:[1,0,0]
	v_mov_b32_e32 v9, v5
	ds_load_2addr_b64 v[4:7], v222 offset0:10 offset1:11
	v_pk_add_f32 v[42:43], v[42:43], v[10:11] neg_lo:[0,1] neg_hi:[0,1]
	v_pk_add_f32 v[38:39], v[38:39], v[8:9] neg_lo:[0,1] neg_hi:[0,1]
	s_wait_dscnt 0x0
	v_dual_mul_f32 v8, v5, v3 :: v_dual_mul_f32 v10, v5, v0
	s_delay_alu instid0(VALU_DEP_1) | instskip(NEXT) | instid1(VALU_DEP_2)
	v_pk_fma_f32 v[8:9], v[4:5], v[58:59], v[8:9] op_sel_hi:[1,1,0] neg_lo:[0,0,1] neg_hi:[0,0,1]
	v_pk_fma_f32 v[4:5], v[4:5], v[58:59], v[10:11] op_sel:[1,0,0] op_sel_hi:[0,1,0]
	s_delay_alu instid0(VALU_DEP_1) | instskip(SKIP_1) | instid1(VALU_DEP_2)
	v_mov_b32_e32 v9, v5
	v_pk_mul_f32 v[4:5], v[6:7], v[2:3] op_sel:[0,1]
	v_pk_add_f32 v[40:41], v[40:41], v[8:9] neg_lo:[0,1] neg_hi:[0,1]
	s_delay_alu instid0(VALU_DEP_2) | instskip(SKIP_1) | instid1(VALU_DEP_1)
	v_pk_fma_f32 v[8:9], v[6:7], v[0:1], v[4:5] op_sel:[0,0,1] op_sel_hi:[1,1,0] neg_lo:[0,0,1] neg_hi:[0,0,1]
	v_pk_fma_f32 v[4:5], v[6:7], v[0:1], v[4:5] op_sel:[0,0,1] op_sel_hi:[1,0,0]
	v_mov_b32_e32 v9, v5
	ds_load_2addr_b64 v[4:7], v222 offset0:12 offset1:13
	v_pk_add_f32 v[36:37], v[36:37], v[8:9] neg_lo:[0,1] neg_hi:[0,1]
	s_wait_dscnt 0x0
	v_pk_mul_f32 v[8:9], v[4:5], v[2:3] op_sel:[0,1]
	s_delay_alu instid0(VALU_DEP_1) | instskip(SKIP_1) | instid1(VALU_DEP_1)
	v_pk_fma_f32 v[10:11], v[4:5], v[0:1], v[8:9] op_sel:[0,0,1] op_sel_hi:[1,1,0] neg_lo:[0,0,1] neg_hi:[0,0,1]
	v_pk_fma_f32 v[4:5], v[4:5], v[0:1], v[8:9] op_sel:[0,0,1] op_sel_hi:[1,0,0]
	v_mov_b32_e32 v11, v5
	v_pk_mul_f32 v[4:5], v[6:7], v[2:3] op_sel:[0,1]
	s_delay_alu instid0(VALU_DEP_2) | instskip(NEXT) | instid1(VALU_DEP_2)
	v_pk_add_f32 v[66:67], v[66:67], v[10:11] neg_lo:[0,1] neg_hi:[0,1]
	v_pk_fma_f32 v[8:9], v[6:7], v[0:1], v[4:5] op_sel:[0,0,1] op_sel_hi:[1,1,0] neg_lo:[0,0,1] neg_hi:[0,0,1]
	v_pk_fma_f32 v[4:5], v[6:7], v[0:1], v[4:5] op_sel:[0,0,1] op_sel_hi:[1,0,0]
	s_delay_alu instid0(VALU_DEP_1) | instskip(SKIP_4) | instid1(VALU_DEP_1)
	v_mov_b32_e32 v9, v5
	ds_load_2addr_b64 v[4:7], v222 offset0:14 offset1:15
	v_pk_add_f32 v[62:63], v[62:63], v[8:9] neg_lo:[0,1] neg_hi:[0,1]
	s_wait_dscnt 0x0
	v_pk_mul_f32 v[8:9], v[4:5], v[2:3] op_sel:[0,1]
	v_pk_fma_f32 v[10:11], v[4:5], v[0:1], v[8:9] op_sel:[0,0,1] op_sel_hi:[1,1,0] neg_lo:[0,0,1] neg_hi:[0,0,1]
	v_pk_fma_f32 v[4:5], v[4:5], v[0:1], v[8:9] op_sel:[0,0,1] op_sel_hi:[1,0,0]
	v_dual_mul_f32 v8, v7, v3 :: v_dual_mov_b32 v4, v7
	s_delay_alu instid0(VALU_DEP_2) | instskip(NEXT) | instid1(VALU_DEP_2)
	v_dual_mov_b32 v11, v5 :: v_dual_mov_b32 v5, v6
	v_pk_fma_f32 v[8:9], v[6:7], v[58:59], v[8:9] op_sel_hi:[1,1,0] neg_lo:[0,0,1] neg_hi:[0,0,1]
	v_mul_f32_e32 v6, v7, v0
	s_delay_alu instid0(VALU_DEP_3) | instskip(NEXT) | instid1(VALU_DEP_2)
	v_pk_add_f32 v[64:65], v[64:65], v[10:11] neg_lo:[0,1] neg_hi:[0,1]
	v_pk_fma_f32 v[4:5], v[4:5], v[58:59], v[6:7] op_sel_hi:[1,1,0]
	s_delay_alu instid0(VALU_DEP_1) | instskip(SKIP_4) | instid1(VALU_DEP_1)
	v_mov_b32_e32 v9, v5
	ds_load_2addr_b64 v[4:7], v222 offset0:16 offset1:17
	v_pk_add_f32 v[60:61], v[60:61], v[8:9] neg_lo:[0,1] neg_hi:[0,1]
	s_wait_dscnt 0x0
	v_pk_mul_f32 v[8:9], v[4:5], v[2:3] op_sel:[0,1]
	v_pk_fma_f32 v[10:11], v[4:5], v[0:1], v[8:9] op_sel:[0,0,1] op_sel_hi:[1,1,0] neg_lo:[0,0,1] neg_hi:[0,0,1]
	v_pk_fma_f32 v[4:5], v[4:5], v[0:1], v[8:9] op_sel:[0,0,1] op_sel_hi:[1,0,0]
	s_delay_alu instid0(VALU_DEP_1) | instskip(SKIP_1) | instid1(VALU_DEP_1)
	v_mov_b32_e32 v11, v5
	v_pk_mul_f32 v[4:5], v[6:7], v[2:3] op_sel:[0,1]
	v_pk_fma_f32 v[8:9], v[6:7], v[0:1], v[4:5] op_sel:[0,0,1] op_sel_hi:[1,1,0] neg_lo:[0,0,1] neg_hi:[0,0,1]
	v_pk_fma_f32 v[4:5], v[6:7], v[0:1], v[4:5] op_sel:[0,0,1] op_sel_hi:[1,0,0]
	s_delay_alu instid0(VALU_DEP_1)
	v_mov_b32_e32 v9, v5
	ds_load_2addr_b64 v[4:7], v222 offset0:18 offset1:19
	v_pk_add_f32 v[82:83], v[82:83], v[10:11] neg_lo:[0,1] neg_hi:[0,1]
	v_pk_add_f32 v[78:79], v[78:79], v[8:9] neg_lo:[0,1] neg_hi:[0,1]
	s_wait_dscnt 0x0
	v_pk_mul_f32 v[8:9], v[4:5], v[2:3] op_sel:[0,1]
	s_delay_alu instid0(VALU_DEP_1) | instskip(SKIP_1) | instid1(VALU_DEP_1)
	v_pk_fma_f32 v[10:11], v[4:5], v[0:1], v[8:9] op_sel:[0,0,1] op_sel_hi:[1,1,0] neg_lo:[0,0,1] neg_hi:[0,0,1]
	v_pk_fma_f32 v[4:5], v[4:5], v[0:1], v[8:9] op_sel:[0,0,1] op_sel_hi:[1,0,0]
	v_mov_b32_e32 v11, v5
	v_pk_mul_f32 v[4:5], v[6:7], v[2:3] op_sel:[0,1]
	s_delay_alu instid0(VALU_DEP_1) | instskip(SKIP_1) | instid1(VALU_DEP_1)
	v_pk_fma_f32 v[8:9], v[6:7], v[0:1], v[4:5] op_sel:[0,0,1] op_sel_hi:[1,1,0] neg_lo:[0,0,1] neg_hi:[0,0,1]
	v_pk_fma_f32 v[4:5], v[6:7], v[0:1], v[4:5] op_sel:[0,0,1] op_sel_hi:[1,0,0]
	v_mov_b32_e32 v9, v5
	ds_load_2addr_b64 v[4:7], v222 offset0:20 offset1:21
	v_pk_add_f32 v[80:81], v[80:81], v[10:11] neg_lo:[0,1] neg_hi:[0,1]
	v_pk_add_f32 v[76:77], v[76:77], v[8:9] neg_lo:[0,1] neg_hi:[0,1]
	s_wait_dscnt 0x0
	v_dual_mul_f32 v8, v5, v3 :: v_dual_mul_f32 v10, v5, v0
	s_delay_alu instid0(VALU_DEP_1) | instskip(NEXT) | instid1(VALU_DEP_2)
	v_pk_fma_f32 v[8:9], v[4:5], v[58:59], v[8:9] op_sel_hi:[1,1,0] neg_lo:[0,0,1] neg_hi:[0,0,1]
	v_pk_fma_f32 v[4:5], v[4:5], v[58:59], v[10:11] op_sel:[1,0,0] op_sel_hi:[0,1,0]
	s_delay_alu instid0(VALU_DEP_1) | instskip(SKIP_1) | instid1(VALU_DEP_2)
	v_mov_b32_e32 v9, v5
	v_pk_mul_f32 v[4:5], v[6:7], v[2:3] op_sel:[0,1]
	v_pk_add_f32 v[98:99], v[98:99], v[8:9] neg_lo:[0,1] neg_hi:[0,1]
	s_delay_alu instid0(VALU_DEP_2) | instskip(SKIP_1) | instid1(VALU_DEP_1)
	v_pk_fma_f32 v[8:9], v[6:7], v[0:1], v[4:5] op_sel:[0,0,1] op_sel_hi:[1,1,0] neg_lo:[0,0,1] neg_hi:[0,0,1]
	v_pk_fma_f32 v[4:5], v[6:7], v[0:1], v[4:5] op_sel:[0,0,1] op_sel_hi:[1,0,0]
	v_mov_b32_e32 v9, v5
	ds_load_2addr_b64 v[4:7], v222 offset0:22 offset1:23
	v_pk_add_f32 v[94:95], v[94:95], v[8:9] neg_lo:[0,1] neg_hi:[0,1]
	s_wait_dscnt 0x0
	v_pk_mul_f32 v[8:9], v[4:5], v[2:3] op_sel:[0,1]
	s_delay_alu instid0(VALU_DEP_1) | instskip(SKIP_1) | instid1(VALU_DEP_1)
	v_pk_fma_f32 v[10:11], v[4:5], v[0:1], v[8:9] op_sel:[0,0,1] op_sel_hi:[1,1,0] neg_lo:[0,0,1] neg_hi:[0,0,1]
	v_pk_fma_f32 v[4:5], v[4:5], v[0:1], v[8:9] op_sel:[0,0,1] op_sel_hi:[1,0,0]
	v_mov_b32_e32 v11, v5
	v_pk_mul_f32 v[4:5], v[6:7], v[2:3] op_sel:[0,1]
	s_delay_alu instid0(VALU_DEP_2) | instskip(NEXT) | instid1(VALU_DEP_2)
	v_pk_add_f32 v[96:97], v[96:97], v[10:11] neg_lo:[0,1] neg_hi:[0,1]
	v_pk_fma_f32 v[8:9], v[6:7], v[0:1], v[4:5] op_sel:[0,0,1] op_sel_hi:[1,1,0] neg_lo:[0,0,1] neg_hi:[0,0,1]
	v_pk_fma_f32 v[4:5], v[6:7], v[0:1], v[4:5] op_sel:[0,0,1] op_sel_hi:[1,0,0]
	s_delay_alu instid0(VALU_DEP_1) | instskip(SKIP_4) | instid1(VALU_DEP_1)
	v_mov_b32_e32 v9, v5
	ds_load_2addr_b64 v[4:7], v222 offset0:24 offset1:25
	v_pk_add_f32 v[92:93], v[92:93], v[8:9] neg_lo:[0,1] neg_hi:[0,1]
	s_wait_dscnt 0x0
	v_pk_mul_f32 v[8:9], v[4:5], v[2:3] op_sel:[0,1]
	v_pk_fma_f32 v[10:11], v[4:5], v[0:1], v[8:9] op_sel:[0,0,1] op_sel_hi:[1,1,0] neg_lo:[0,0,1] neg_hi:[0,0,1]
	v_pk_fma_f32 v[4:5], v[4:5], v[0:1], v[8:9] op_sel:[0,0,1] op_sel_hi:[1,0,0]
	v_dual_mul_f32 v8, v7, v3 :: v_dual_mov_b32 v4, v7
	s_delay_alu instid0(VALU_DEP_2) | instskip(NEXT) | instid1(VALU_DEP_2)
	v_dual_mov_b32 v11, v5 :: v_dual_mov_b32 v5, v6
	v_pk_fma_f32 v[8:9], v[6:7], v[58:59], v[8:9] op_sel_hi:[1,1,0] neg_lo:[0,0,1] neg_hi:[0,0,1]
	v_mul_f32_e32 v6, v7, v0
	s_delay_alu instid0(VALU_DEP_3) | instskip(NEXT) | instid1(VALU_DEP_2)
	v_pk_add_f32 v[114:115], v[114:115], v[10:11] neg_lo:[0,1] neg_hi:[0,1]
	v_pk_fma_f32 v[4:5], v[4:5], v[58:59], v[6:7] op_sel_hi:[1,1,0]
	s_delay_alu instid0(VALU_DEP_1) | instskip(SKIP_4) | instid1(VALU_DEP_1)
	v_mov_b32_e32 v9, v5
	ds_load_2addr_b64 v[4:7], v222 offset0:26 offset1:27
	v_pk_add_f32 v[110:111], v[110:111], v[8:9] neg_lo:[0,1] neg_hi:[0,1]
	s_wait_dscnt 0x0
	v_pk_mul_f32 v[8:9], v[4:5], v[2:3] op_sel:[0,1]
	v_pk_fma_f32 v[10:11], v[4:5], v[0:1], v[8:9] op_sel:[0,0,1] op_sel_hi:[1,1,0] neg_lo:[0,0,1] neg_hi:[0,0,1]
	v_pk_fma_f32 v[4:5], v[4:5], v[0:1], v[8:9] op_sel:[0,0,1] op_sel_hi:[1,0,0]
	s_delay_alu instid0(VALU_DEP_1) | instskip(SKIP_1) | instid1(VALU_DEP_1)
	v_mov_b32_e32 v11, v5
	v_pk_mul_f32 v[4:5], v[6:7], v[2:3] op_sel:[0,1]
	v_pk_fma_f32 v[8:9], v[6:7], v[0:1], v[4:5] op_sel:[0,0,1] op_sel_hi:[1,1,0] neg_lo:[0,0,1] neg_hi:[0,0,1]
	v_pk_fma_f32 v[4:5], v[6:7], v[0:1], v[4:5] op_sel:[0,0,1] op_sel_hi:[1,0,0]
	s_delay_alu instid0(VALU_DEP_1)
	v_mov_b32_e32 v9, v5
	ds_load_2addr_b64 v[4:7], v222 offset0:28 offset1:29
	v_pk_add_f32 v[112:113], v[112:113], v[10:11] neg_lo:[0,1] neg_hi:[0,1]
	v_pk_add_f32 v[108:109], v[108:109], v[8:9] neg_lo:[0,1] neg_hi:[0,1]
	s_wait_dscnt 0x0
	v_pk_mul_f32 v[8:9], v[4:5], v[2:3] op_sel:[0,1]
	s_delay_alu instid0(VALU_DEP_1) | instskip(SKIP_1) | instid1(VALU_DEP_1)
	v_pk_fma_f32 v[10:11], v[4:5], v[0:1], v[8:9] op_sel:[0,0,1] op_sel_hi:[1,1,0] neg_lo:[0,0,1] neg_hi:[0,0,1]
	v_pk_fma_f32 v[4:5], v[4:5], v[0:1], v[8:9] op_sel:[0,0,1] op_sel_hi:[1,0,0]
	v_mov_b32_e32 v11, v5
	v_pk_mul_f32 v[4:5], v[6:7], v[2:3] op_sel:[0,1]
	s_delay_alu instid0(VALU_DEP_1) | instskip(SKIP_1) | instid1(VALU_DEP_1)
	v_pk_fma_f32 v[8:9], v[6:7], v[0:1], v[4:5] op_sel:[0,0,1] op_sel_hi:[1,1,0] neg_lo:[0,0,1] neg_hi:[0,0,1]
	v_pk_fma_f32 v[4:5], v[6:7], v[0:1], v[4:5] op_sel:[0,0,1] op_sel_hi:[1,0,0]
	v_mov_b32_e32 v9, v5
	ds_load_2addr_b64 v[4:7], v222 offset0:30 offset1:31
	v_pk_add_f32 v[130:131], v[130:131], v[10:11] neg_lo:[0,1] neg_hi:[0,1]
	v_pk_add_f32 v[126:127], v[126:127], v[8:9] neg_lo:[0,1] neg_hi:[0,1]
	s_wait_dscnt 0x0
	v_dual_mul_f32 v8, v5, v3 :: v_dual_mul_f32 v10, v5, v0
	s_delay_alu instid0(VALU_DEP_1) | instskip(NEXT) | instid1(VALU_DEP_2)
	v_pk_fma_f32 v[8:9], v[4:5], v[58:59], v[8:9] op_sel_hi:[1,1,0] neg_lo:[0,0,1] neg_hi:[0,0,1]
	v_pk_fma_f32 v[4:5], v[4:5], v[58:59], v[10:11] op_sel:[1,0,0] op_sel_hi:[0,1,0]
	s_delay_alu instid0(VALU_DEP_1) | instskip(SKIP_1) | instid1(VALU_DEP_2)
	v_mov_b32_e32 v9, v5
	v_pk_mul_f32 v[4:5], v[6:7], v[2:3] op_sel:[0,1]
	v_pk_add_f32 v[128:129], v[128:129], v[8:9] neg_lo:[0,1] neg_hi:[0,1]
	s_delay_alu instid0(VALU_DEP_2) | instskip(SKIP_1) | instid1(VALU_DEP_1)
	v_pk_fma_f32 v[8:9], v[6:7], v[0:1], v[4:5] op_sel:[0,0,1] op_sel_hi:[1,1,0] neg_lo:[0,0,1] neg_hi:[0,0,1]
	v_pk_fma_f32 v[4:5], v[6:7], v[0:1], v[4:5] op_sel:[0,0,1] op_sel_hi:[1,0,0]
	v_mov_b32_e32 v9, v5
	ds_load_2addr_b64 v[4:7], v222 offset0:32 offset1:33
	v_pk_add_f32 v[124:125], v[124:125], v[8:9] neg_lo:[0,1] neg_hi:[0,1]
	s_wait_dscnt 0x0
	v_pk_mul_f32 v[8:9], v[4:5], v[2:3] op_sel:[0,1]
	s_delay_alu instid0(VALU_DEP_1) | instskip(SKIP_1) | instid1(VALU_DEP_1)
	v_pk_fma_f32 v[10:11], v[4:5], v[0:1], v[8:9] op_sel:[0,0,1] op_sel_hi:[1,1,0] neg_lo:[0,0,1] neg_hi:[0,0,1]
	v_pk_fma_f32 v[4:5], v[4:5], v[0:1], v[8:9] op_sel:[0,0,1] op_sel_hi:[1,0,0]
	v_mov_b32_e32 v11, v5
	v_pk_mul_f32 v[4:5], v[6:7], v[2:3] op_sel:[0,1]
	s_delay_alu instid0(VALU_DEP_2) | instskip(NEXT) | instid1(VALU_DEP_2)
	v_pk_add_f32 v[146:147], v[146:147], v[10:11] neg_lo:[0,1] neg_hi:[0,1]
	v_pk_fma_f32 v[8:9], v[6:7], v[0:1], v[4:5] op_sel:[0,0,1] op_sel_hi:[1,1,0] neg_lo:[0,0,1] neg_hi:[0,0,1]
	v_pk_fma_f32 v[4:5], v[6:7], v[0:1], v[4:5] op_sel:[0,0,1] op_sel_hi:[1,0,0]
	s_delay_alu instid0(VALU_DEP_1) | instskip(SKIP_4) | instid1(VALU_DEP_1)
	v_mov_b32_e32 v9, v5
	ds_load_2addr_b64 v[4:7], v222 offset0:34 offset1:35
	v_pk_add_f32 v[142:143], v[142:143], v[8:9] neg_lo:[0,1] neg_hi:[0,1]
	s_wait_dscnt 0x0
	v_pk_mul_f32 v[8:9], v[4:5], v[2:3] op_sel:[0,1]
	v_pk_fma_f32 v[10:11], v[4:5], v[0:1], v[8:9] op_sel:[0,0,1] op_sel_hi:[1,1,0] neg_lo:[0,0,1] neg_hi:[0,0,1]
	v_pk_fma_f32 v[4:5], v[4:5], v[0:1], v[8:9] op_sel:[0,0,1] op_sel_hi:[1,0,0]
	v_dual_mul_f32 v8, v7, v3 :: v_dual_mov_b32 v4, v7
	s_delay_alu instid0(VALU_DEP_2) | instskip(NEXT) | instid1(VALU_DEP_2)
	v_dual_mov_b32 v11, v5 :: v_dual_mov_b32 v5, v6
	v_pk_fma_f32 v[8:9], v[6:7], v[58:59], v[8:9] op_sel_hi:[1,1,0] neg_lo:[0,0,1] neg_hi:[0,0,1]
	v_mul_f32_e32 v6, v7, v0
	s_delay_alu instid0(VALU_DEP_3) | instskip(NEXT) | instid1(VALU_DEP_2)
	v_pk_add_f32 v[144:145], v[144:145], v[10:11] neg_lo:[0,1] neg_hi:[0,1]
	v_pk_fma_f32 v[4:5], v[4:5], v[58:59], v[6:7] op_sel_hi:[1,1,0]
	s_delay_alu instid0(VALU_DEP_1) | instskip(SKIP_4) | instid1(VALU_DEP_1)
	v_mov_b32_e32 v9, v5
	ds_load_2addr_b64 v[4:7], v222 offset0:36 offset1:37
	v_pk_add_f32 v[140:141], v[140:141], v[8:9] neg_lo:[0,1] neg_hi:[0,1]
	s_wait_dscnt 0x0
	v_pk_mul_f32 v[8:9], v[4:5], v[2:3] op_sel:[0,1]
	v_pk_fma_f32 v[10:11], v[4:5], v[0:1], v[8:9] op_sel:[0,0,1] op_sel_hi:[1,1,0] neg_lo:[0,0,1] neg_hi:[0,0,1]
	v_pk_fma_f32 v[4:5], v[4:5], v[0:1], v[8:9] op_sel:[0,0,1] op_sel_hi:[1,0,0]
	s_delay_alu instid0(VALU_DEP_1) | instskip(SKIP_1) | instid1(VALU_DEP_1)
	v_mov_b32_e32 v11, v5
	v_pk_mul_f32 v[4:5], v[6:7], v[2:3] op_sel:[0,1]
	v_pk_fma_f32 v[8:9], v[6:7], v[0:1], v[4:5] op_sel:[0,0,1] op_sel_hi:[1,1,0] neg_lo:[0,0,1] neg_hi:[0,0,1]
	v_pk_fma_f32 v[4:5], v[6:7], v[0:1], v[4:5] op_sel:[0,0,1] op_sel_hi:[1,0,0]
	s_delay_alu instid0(VALU_DEP_1)
	v_mov_b32_e32 v9, v5
	ds_load_2addr_b64 v[4:7], v222 offset0:38 offset1:39
	v_pk_add_f32 v[162:163], v[162:163], v[10:11] neg_lo:[0,1] neg_hi:[0,1]
	v_pk_add_f32 v[158:159], v[158:159], v[8:9] neg_lo:[0,1] neg_hi:[0,1]
	s_wait_dscnt 0x0
	v_pk_mul_f32 v[8:9], v[4:5], v[2:3] op_sel:[0,1]
	s_delay_alu instid0(VALU_DEP_1) | instskip(SKIP_1) | instid1(VALU_DEP_1)
	v_pk_fma_f32 v[10:11], v[4:5], v[0:1], v[8:9] op_sel:[0,0,1] op_sel_hi:[1,1,0] neg_lo:[0,0,1] neg_hi:[0,0,1]
	v_pk_fma_f32 v[4:5], v[4:5], v[0:1], v[8:9] op_sel:[0,0,1] op_sel_hi:[1,0,0]
	v_mov_b32_e32 v11, v5
	v_pk_mul_f32 v[4:5], v[6:7], v[2:3] op_sel:[0,1]
	s_delay_alu instid0(VALU_DEP_1) | instskip(SKIP_1) | instid1(VALU_DEP_1)
	v_pk_fma_f32 v[8:9], v[6:7], v[0:1], v[4:5] op_sel:[0,0,1] op_sel_hi:[1,1,0] neg_lo:[0,0,1] neg_hi:[0,0,1]
	v_pk_fma_f32 v[4:5], v[6:7], v[0:1], v[4:5] op_sel:[0,0,1] op_sel_hi:[1,0,0]
	v_mov_b32_e32 v9, v5
	ds_load_2addr_b64 v[4:7], v222 offset0:40 offset1:41
	v_pk_add_f32 v[160:161], v[160:161], v[10:11] neg_lo:[0,1] neg_hi:[0,1]
	v_pk_add_f32 v[156:157], v[156:157], v[8:9] neg_lo:[0,1] neg_hi:[0,1]
	s_wait_dscnt 0x0
	v_dual_mul_f32 v8, v5, v3 :: v_dual_mul_f32 v10, v5, v0
	s_delay_alu instid0(VALU_DEP_1) | instskip(NEXT) | instid1(VALU_DEP_2)
	v_pk_fma_f32 v[8:9], v[4:5], v[58:59], v[8:9] op_sel_hi:[1,1,0] neg_lo:[0,0,1] neg_hi:[0,0,1]
	v_pk_fma_f32 v[4:5], v[4:5], v[58:59], v[10:11] op_sel:[1,0,0] op_sel_hi:[0,1,0]
	s_delay_alu instid0(VALU_DEP_1) | instskip(SKIP_1) | instid1(VALU_DEP_2)
	v_mov_b32_e32 v9, v5
	v_pk_mul_f32 v[4:5], v[6:7], v[2:3] op_sel:[0,1]
	v_pk_add_f32 v[178:179], v[178:179], v[8:9] neg_lo:[0,1] neg_hi:[0,1]
	s_delay_alu instid0(VALU_DEP_2) | instskip(SKIP_1) | instid1(VALU_DEP_1)
	v_pk_fma_f32 v[8:9], v[6:7], v[0:1], v[4:5] op_sel:[0,0,1] op_sel_hi:[1,1,0] neg_lo:[0,0,1] neg_hi:[0,0,1]
	v_pk_fma_f32 v[4:5], v[6:7], v[0:1], v[4:5] op_sel:[0,0,1] op_sel_hi:[1,0,0]
	v_mov_b32_e32 v9, v5
	ds_load_2addr_b64 v[4:7], v222 offset0:42 offset1:43
	v_pk_add_f32 v[174:175], v[174:175], v[8:9] neg_lo:[0,1] neg_hi:[0,1]
	s_wait_dscnt 0x0
	v_pk_mul_f32 v[8:9], v[4:5], v[2:3] op_sel:[0,1]
	s_delay_alu instid0(VALU_DEP_1) | instskip(SKIP_1) | instid1(VALU_DEP_1)
	v_pk_fma_f32 v[10:11], v[4:5], v[0:1], v[8:9] op_sel:[0,0,1] op_sel_hi:[1,1,0] neg_lo:[0,0,1] neg_hi:[0,0,1]
	v_pk_fma_f32 v[4:5], v[4:5], v[0:1], v[8:9] op_sel:[0,0,1] op_sel_hi:[1,0,0]
	v_mov_b32_e32 v11, v5
	v_pk_mul_f32 v[4:5], v[6:7], v[2:3] op_sel:[0,1]
	s_delay_alu instid0(VALU_DEP_2) | instskip(NEXT) | instid1(VALU_DEP_2)
	v_pk_add_f32 v[176:177], v[176:177], v[10:11] neg_lo:[0,1] neg_hi:[0,1]
	v_pk_fma_f32 v[8:9], v[6:7], v[0:1], v[4:5] op_sel:[0,0,1] op_sel_hi:[1,1,0] neg_lo:[0,0,1] neg_hi:[0,0,1]
	v_pk_fma_f32 v[4:5], v[6:7], v[0:1], v[4:5] op_sel:[0,0,1] op_sel_hi:[1,0,0]
	s_delay_alu instid0(VALU_DEP_1) | instskip(SKIP_4) | instid1(VALU_DEP_1)
	v_mov_b32_e32 v9, v5
	ds_load_2addr_b64 v[4:7], v222 offset0:44 offset1:45
	v_pk_add_f32 v[172:173], v[172:173], v[8:9] neg_lo:[0,1] neg_hi:[0,1]
	s_wait_dscnt 0x0
	v_pk_mul_f32 v[8:9], v[4:5], v[2:3] op_sel:[0,1]
	v_pk_fma_f32 v[10:11], v[4:5], v[0:1], v[8:9] op_sel:[0,0,1] op_sel_hi:[1,1,0] neg_lo:[0,0,1] neg_hi:[0,0,1]
	v_pk_fma_f32 v[4:5], v[4:5], v[0:1], v[8:9] op_sel:[0,0,1] op_sel_hi:[1,0,0]
	v_dual_mul_f32 v8, v7, v3 :: v_dual_mov_b32 v4, v7
	s_delay_alu instid0(VALU_DEP_2) | instskip(NEXT) | instid1(VALU_DEP_2)
	v_dual_mov_b32 v11, v5 :: v_dual_mov_b32 v5, v6
	v_pk_fma_f32 v[8:9], v[6:7], v[58:59], v[8:9] op_sel_hi:[1,1,0] neg_lo:[0,0,1] neg_hi:[0,0,1]
	v_mul_f32_e32 v6, v7, v0
	s_delay_alu instid0(VALU_DEP_3) | instskip(NEXT) | instid1(VALU_DEP_2)
	v_pk_add_f32 v[194:195], v[194:195], v[10:11] neg_lo:[0,1] neg_hi:[0,1]
	v_pk_fma_f32 v[4:5], v[4:5], v[58:59], v[6:7] op_sel_hi:[1,1,0]
	s_delay_alu instid0(VALU_DEP_1) | instskip(SKIP_4) | instid1(VALU_DEP_1)
	v_mov_b32_e32 v9, v5
	ds_load_2addr_b64 v[4:7], v222 offset0:46 offset1:47
	v_pk_add_f32 v[190:191], v[190:191], v[8:9] neg_lo:[0,1] neg_hi:[0,1]
	s_wait_dscnt 0x0
	v_pk_mul_f32 v[8:9], v[4:5], v[2:3] op_sel:[0,1]
	v_pk_fma_f32 v[10:11], v[4:5], v[0:1], v[8:9] op_sel:[0,0,1] op_sel_hi:[1,1,0] neg_lo:[0,0,1] neg_hi:[0,0,1]
	v_pk_fma_f32 v[4:5], v[4:5], v[0:1], v[8:9] op_sel:[0,0,1] op_sel_hi:[1,0,0]
	s_delay_alu instid0(VALU_DEP_1) | instskip(SKIP_1) | instid1(VALU_DEP_1)
	v_mov_b32_e32 v11, v5
	v_pk_mul_f32 v[4:5], v[6:7], v[2:3] op_sel:[0,1]
	v_pk_fma_f32 v[8:9], v[6:7], v[0:1], v[4:5] op_sel:[0,0,1] op_sel_hi:[1,1,0] neg_lo:[0,0,1] neg_hi:[0,0,1]
	v_pk_fma_f32 v[4:5], v[6:7], v[0:1], v[4:5] op_sel:[0,0,1] op_sel_hi:[1,0,0]
	s_delay_alu instid0(VALU_DEP_1)
	v_mov_b32_e32 v9, v5
	ds_load_2addr_b64 v[4:7], v222 offset0:48 offset1:49
	v_pk_add_f32 v[192:193], v[192:193], v[10:11] neg_lo:[0,1] neg_hi:[0,1]
	v_pk_add_f32 v[188:189], v[188:189], v[8:9] neg_lo:[0,1] neg_hi:[0,1]
	s_wait_dscnt 0x0
	v_pk_mul_f32 v[8:9], v[4:5], v[2:3] op_sel:[0,1]
	s_delay_alu instid0(VALU_DEP_1) | instskip(SKIP_1) | instid1(VALU_DEP_1)
	v_pk_fma_f32 v[10:11], v[4:5], v[0:1], v[8:9] op_sel:[0,0,1] op_sel_hi:[1,1,0] neg_lo:[0,0,1] neg_hi:[0,0,1]
	v_pk_fma_f32 v[4:5], v[4:5], v[0:1], v[8:9] op_sel:[0,0,1] op_sel_hi:[1,0,0]
	v_mov_b32_e32 v11, v5
	v_pk_mul_f32 v[4:5], v[6:7], v[2:3] op_sel:[0,1]
	s_delay_alu instid0(VALU_DEP_1) | instskip(SKIP_1) | instid1(VALU_DEP_1)
	v_pk_fma_f32 v[8:9], v[6:7], v[0:1], v[4:5] op_sel:[0,0,1] op_sel_hi:[1,1,0] neg_lo:[0,0,1] neg_hi:[0,0,1]
	v_pk_fma_f32 v[4:5], v[6:7], v[0:1], v[4:5] op_sel:[0,0,1] op_sel_hi:[1,0,0]
	v_mov_b32_e32 v9, v5
	ds_load_2addr_b64 v[4:7], v222 offset0:50 offset1:51
	v_pk_add_f32 v[216:217], v[216:217], v[10:11] neg_lo:[0,1] neg_hi:[0,1]
	v_pk_add_f32 v[212:213], v[212:213], v[8:9] neg_lo:[0,1] neg_hi:[0,1]
	s_wait_dscnt 0x0
	v_dual_mul_f32 v8, v5, v3 :: v_dual_mul_f32 v10, v5, v0
	s_delay_alu instid0(VALU_DEP_1) | instskip(NEXT) | instid1(VALU_DEP_2)
	v_pk_fma_f32 v[8:9], v[4:5], v[58:59], v[8:9] op_sel_hi:[1,1,0] neg_lo:[0,0,1] neg_hi:[0,0,1]
	v_pk_fma_f32 v[4:5], v[4:5], v[58:59], v[10:11] op_sel:[1,0,0] op_sel_hi:[0,1,0]
	s_delay_alu instid0(VALU_DEP_1) | instskip(SKIP_1) | instid1(VALU_DEP_2)
	v_mov_b32_e32 v9, v5
	v_pk_mul_f32 v[4:5], v[6:7], v[2:3] op_sel:[0,1]
	v_pk_add_f32 v[214:215], v[214:215], v[8:9] neg_lo:[0,1] neg_hi:[0,1]
	s_delay_alu instid0(VALU_DEP_2) | instskip(SKIP_1) | instid1(VALU_DEP_1)
	v_pk_fma_f32 v[8:9], v[6:7], v[0:1], v[4:5] op_sel:[0,0,1] op_sel_hi:[1,1,0] neg_lo:[0,0,1] neg_hi:[0,0,1]
	v_pk_fma_f32 v[4:5], v[6:7], v[0:1], v[4:5] op_sel:[0,0,1] op_sel_hi:[1,0,0]
	v_mov_b32_e32 v9, v5
	ds_load_2addr_b64 v[4:7], v222 offset0:52 offset1:53
	v_pk_add_f32 v[210:211], v[210:211], v[8:9] neg_lo:[0,1] neg_hi:[0,1]
	s_wait_dscnt 0x0
	v_pk_mul_f32 v[8:9], v[4:5], v[2:3] op_sel:[0,1]
	s_delay_alu instid0(VALU_DEP_1) | instskip(SKIP_1) | instid1(VALU_DEP_1)
	v_pk_fma_f32 v[10:11], v[4:5], v[0:1], v[8:9] op_sel:[0,0,1] op_sel_hi:[1,1,0] neg_lo:[0,0,1] neg_hi:[0,0,1]
	v_pk_fma_f32 v[4:5], v[4:5], v[0:1], v[8:9] op_sel:[0,0,1] op_sel_hi:[1,0,0]
	v_mov_b32_e32 v11, v5
	v_pk_mul_f32 v[4:5], v[6:7], v[2:3] op_sel:[0,1]
	s_delay_alu instid0(VALU_DEP_2) | instskip(NEXT) | instid1(VALU_DEP_2)
	v_pk_add_f32 v[240:241], v[240:241], v[10:11] neg_lo:[0,1] neg_hi:[0,1]
	v_pk_fma_f32 v[8:9], v[6:7], v[0:1], v[4:5] op_sel:[0,0,1] op_sel_hi:[1,1,0] neg_lo:[0,0,1] neg_hi:[0,0,1]
	v_pk_fma_f32 v[4:5], v[6:7], v[0:1], v[4:5] op_sel:[0,0,1] op_sel_hi:[1,0,0]
	s_delay_alu instid0(VALU_DEP_1) | instskip(SKIP_4) | instid1(VALU_DEP_1)
	v_mov_b32_e32 v9, v5
	ds_load_2addr_b64 v[4:7], v222 offset0:54 offset1:55
	v_pk_add_f32 v[232:233], v[232:233], v[8:9] neg_lo:[0,1] neg_hi:[0,1]
	s_wait_dscnt 0x0
	v_pk_mul_f32 v[8:9], v[4:5], v[2:3] op_sel:[0,1]
	v_pk_fma_f32 v[10:11], v[4:5], v[0:1], v[8:9] op_sel:[0,0,1] op_sel_hi:[1,1,0] neg_lo:[0,0,1] neg_hi:[0,0,1]
	v_pk_fma_f32 v[4:5], v[4:5], v[0:1], v[8:9] op_sel:[0,0,1] op_sel_hi:[1,0,0]
	v_dual_mul_f32 v8, v7, v3 :: v_dual_mov_b32 v4, v7
	s_delay_alu instid0(VALU_DEP_2) | instskip(NEXT) | instid1(VALU_DEP_2)
	v_dual_mov_b32 v11, v5 :: v_dual_mov_b32 v5, v6
	v_pk_fma_f32 v[8:9], v[6:7], v[58:59], v[8:9] op_sel_hi:[1,1,0] neg_lo:[0,0,1] neg_hi:[0,0,1]
	v_mul_f32_e32 v6, v7, v0
	s_delay_alu instid0(VALU_DEP_3) | instskip(NEXT) | instid1(VALU_DEP_2)
	v_pk_add_f32 v[238:239], v[238:239], v[10:11] neg_lo:[0,1] neg_hi:[0,1]
	v_pk_fma_f32 v[4:5], v[4:5], v[58:59], v[6:7] op_sel_hi:[1,1,0]
	s_delay_alu instid0(VALU_DEP_1) | instskip(SKIP_4) | instid1(VALU_DEP_1)
	v_mov_b32_e32 v9, v5
	ds_load_2addr_b64 v[4:7], v222 offset0:56 offset1:57
	v_pk_add_f32 v[230:231], v[230:231], v[8:9] neg_lo:[0,1] neg_hi:[0,1]
	s_wait_dscnt 0x0
	v_pk_mul_f32 v[8:9], v[4:5], v[2:3] op_sel:[0,1]
	v_pk_fma_f32 v[10:11], v[4:5], v[0:1], v[8:9] op_sel:[0,0,1] op_sel_hi:[1,1,0] neg_lo:[0,0,1] neg_hi:[0,0,1]
	v_pk_fma_f32 v[4:5], v[4:5], v[0:1], v[8:9] op_sel:[0,0,1] op_sel_hi:[1,0,0]
	s_delay_alu instid0(VALU_DEP_1) | instskip(SKIP_1) | instid1(VALU_DEP_1)
	v_mov_b32_e32 v11, v5
	v_pk_mul_f32 v[4:5], v[6:7], v[2:3] op_sel:[0,1]
	v_pk_fma_f32 v[8:9], v[6:7], v[0:1], v[4:5] op_sel:[0,0,1] op_sel_hi:[1,1,0] neg_lo:[0,0,1] neg_hi:[0,0,1]
	v_pk_fma_f32 v[4:5], v[6:7], v[0:1], v[4:5] op_sel:[0,0,1] op_sel_hi:[1,0,0]
	s_delay_alu instid0(VALU_DEP_1)
	v_mov_b32_e32 v9, v5
	ds_load_2addr_b64 v[4:7], v222 offset0:58 offset1:59
	v_pk_add_f32 v[236:237], v[236:237], v[10:11] neg_lo:[0,1] neg_hi:[0,1]
	v_pk_add_f32 v[228:229], v[228:229], v[8:9] neg_lo:[0,1] neg_hi:[0,1]
	s_wait_dscnt 0x0
	v_pk_mul_f32 v[8:9], v[4:5], v[2:3] op_sel:[0,1]
	s_delay_alu instid0(VALU_DEP_1) | instskip(SKIP_1) | instid1(VALU_DEP_1)
	v_pk_fma_f32 v[10:11], v[4:5], v[0:1], v[8:9] op_sel:[0,0,1] op_sel_hi:[1,1,0] neg_lo:[0,0,1] neg_hi:[0,0,1]
	v_pk_fma_f32 v[4:5], v[4:5], v[0:1], v[8:9] op_sel:[0,0,1] op_sel_hi:[1,0,0]
	v_mov_b32_e32 v11, v5
	v_pk_mul_f32 v[4:5], v[6:7], v[2:3] op_sel:[0,1]
	s_delay_alu instid0(VALU_DEP_1) | instskip(SKIP_1) | instid1(VALU_DEP_1)
	v_pk_fma_f32 v[8:9], v[6:7], v[0:1], v[4:5] op_sel:[0,0,1] op_sel_hi:[1,1,0] neg_lo:[0,0,1] neg_hi:[0,0,1]
	v_pk_fma_f32 v[4:5], v[6:7], v[0:1], v[4:5] op_sel:[0,0,1] op_sel_hi:[1,0,0]
	v_mov_b32_e32 v9, v5
	ds_load_b64 v[4:5], v222 offset:480
	v_pk_add_f32 v[234:235], v[234:235], v[10:11] neg_lo:[0,1] neg_hi:[0,1]
	v_pk_add_f32 v[242:243], v[242:243], v[8:9] neg_lo:[0,1] neg_hi:[0,1]
	s_wait_dscnt 0x0
	v_pk_mul_f32 v[2:3], v[4:5], v[2:3] op_sel:[0,1]
	s_delay_alu instid0(VALU_DEP_1) | instskip(SKIP_1) | instid1(VALU_DEP_1)
	v_pk_fma_f32 v[6:7], v[4:5], v[0:1], v[2:3] op_sel:[0,0,1] op_sel_hi:[1,1,0] neg_lo:[0,0,1] neg_hi:[0,0,1]
	v_pk_fma_f32 v[0:1], v[4:5], v[0:1], v[2:3] op_sel:[0,0,1] op_sel_hi:[1,0,0]
	v_mov_b32_e32 v7, v1
	s_delay_alu instid0(VALU_DEP_1)
	v_pk_add_f32 v[244:245], v[244:245], v[6:7] neg_lo:[0,1] neg_hi:[0,1]
.LBB121_19:
	s_wait_xcnt 0x0
	s_or_b32 exec_lo, exec_lo, s1
	s_delay_alu instid0(SALU_CYCLE_1)
	s_mov_b32 s2, exec_lo
	s_wait_storecnt 0x0
	s_barrier_signal -1
	s_barrier_wait -1
	v_cmpx_eq_u32_e32 2, v220
	s_cbranch_execz .LBB121_26
; %bb.20:
	ds_store_b64 v221, v[48:49]
	ds_store_2addr_b64 v222, v[46:47], v[26:27] offset0:3 offset1:4
	ds_store_2addr_b64 v222, v[22:23], v[24:25] offset0:5 offset1:6
	;; [unrolled: 1-line block ×29, first 2 shown]
	ds_load_b64 v[0:1], v221
	s_wait_dscnt 0x0
	v_cmp_neq_f32_e32 vcc_lo, 0, v0
	v_cmp_neq_f32_e64 s1, 0, v1
	s_or_b32 s1, vcc_lo, s1
	s_delay_alu instid0(SALU_CYCLE_1)
	s_and_b32 exec_lo, exec_lo, s1
	s_cbranch_execz .LBB121_26
; %bb.21:
	v_cmp_ngt_f32_e64 s1, |v0|, |v1|
                                        ; implicit-def: $vgpr2_vgpr3
	s_and_saveexec_b32 s4, s1
	s_delay_alu instid0(SALU_CYCLE_1)
	s_xor_b32 s1, exec_lo, s4
	s_cbranch_execz .LBB121_23
; %bb.22:
	v_div_scale_f32 v2, null, v1, v1, v0
	v_div_scale_f32 v5, vcc_lo, v0, v1, v0
	s_delay_alu instid0(VALU_DEP_2) | instskip(SKIP_1) | instid1(TRANS32_DEP_1)
	v_rcp_f32_e32 v3, v2
	v_nop
	v_fma_f32 v4, -v2, v3, 1.0
	s_delay_alu instid0(VALU_DEP_1) | instskip(NEXT) | instid1(VALU_DEP_1)
	v_fmac_f32_e32 v3, v4, v3
	v_mul_f32_e32 v4, v5, v3
	s_delay_alu instid0(VALU_DEP_1) | instskip(NEXT) | instid1(VALU_DEP_1)
	v_fma_f32 v6, -v2, v4, v5
	v_fmac_f32_e32 v4, v6, v3
	s_delay_alu instid0(VALU_DEP_1) | instskip(NEXT) | instid1(VALU_DEP_1)
	v_fma_f32 v2, -v2, v4, v5
	v_div_fmas_f32 v2, v2, v3, v4
	s_delay_alu instid0(VALU_DEP_1) | instskip(NEXT) | instid1(VALU_DEP_1)
	v_div_fixup_f32 v2, v2, v1, v0
	v_fmac_f32_e32 v1, v0, v2
	s_delay_alu instid0(VALU_DEP_1) | instskip(SKIP_1) | instid1(VALU_DEP_2)
	v_div_scale_f32 v0, null, v1, v1, 1.0
	v_div_scale_f32 v5, vcc_lo, 1.0, v1, 1.0
	v_rcp_f32_e32 v3, v0
	v_nop
	s_delay_alu instid0(TRANS32_DEP_1) | instskip(NEXT) | instid1(VALU_DEP_1)
	v_fma_f32 v4, -v0, v3, 1.0
	v_fmac_f32_e32 v3, v4, v3
	s_delay_alu instid0(VALU_DEP_1) | instskip(NEXT) | instid1(VALU_DEP_1)
	v_mul_f32_e32 v4, v5, v3
	v_fma_f32 v6, -v0, v4, v5
	s_delay_alu instid0(VALU_DEP_1) | instskip(NEXT) | instid1(VALU_DEP_1)
	v_fmac_f32_e32 v4, v6, v3
	v_fma_f32 v0, -v0, v4, v5
	s_delay_alu instid0(VALU_DEP_1) | instskip(NEXT) | instid1(VALU_DEP_1)
	v_div_fmas_f32 v0, v0, v3, v4
	v_div_fixup_f32 v0, v0, v1, 1.0
	s_delay_alu instid0(VALU_DEP_1)
	v_mul_f32_e32 v2, v2, v0
	v_xor_b32_e32 v3, 0x80000000, v0
                                        ; implicit-def: $vgpr0_vgpr1
.LBB121_23:
	s_and_not1_saveexec_b32 s1, s1
	s_cbranch_execz .LBB121_25
; %bb.24:
	v_div_scale_f32 v2, null, v0, v0, v1
	v_div_scale_f32 v5, vcc_lo, v1, v0, v1
	s_delay_alu instid0(VALU_DEP_2) | instskip(SKIP_1) | instid1(TRANS32_DEP_1)
	v_rcp_f32_e32 v3, v2
	v_nop
	v_fma_f32 v4, -v2, v3, 1.0
	s_delay_alu instid0(VALU_DEP_1) | instskip(NEXT) | instid1(VALU_DEP_1)
	v_fmac_f32_e32 v3, v4, v3
	v_mul_f32_e32 v4, v5, v3
	s_delay_alu instid0(VALU_DEP_1) | instskip(NEXT) | instid1(VALU_DEP_1)
	v_fma_f32 v6, -v2, v4, v5
	v_fmac_f32_e32 v4, v6, v3
	s_delay_alu instid0(VALU_DEP_1) | instskip(NEXT) | instid1(VALU_DEP_1)
	v_fma_f32 v2, -v2, v4, v5
	v_div_fmas_f32 v2, v2, v3, v4
	s_delay_alu instid0(VALU_DEP_1) | instskip(NEXT) | instid1(VALU_DEP_1)
	v_div_fixup_f32 v3, v2, v0, v1
	v_fmac_f32_e32 v0, v1, v3
	s_delay_alu instid0(VALU_DEP_1) | instskip(NEXT) | instid1(VALU_DEP_1)
	v_div_scale_f32 v1, null, v0, v0, 1.0
	v_rcp_f32_e32 v2, v1
	v_nop
	s_delay_alu instid0(TRANS32_DEP_1) | instskip(NEXT) | instid1(VALU_DEP_1)
	v_fma_f32 v4, -v1, v2, 1.0
	v_fmac_f32_e32 v2, v4, v2
	v_div_scale_f32 v4, vcc_lo, 1.0, v0, 1.0
	s_delay_alu instid0(VALU_DEP_1) | instskip(NEXT) | instid1(VALU_DEP_1)
	v_mul_f32_e32 v5, v4, v2
	v_fma_f32 v6, -v1, v5, v4
	s_delay_alu instid0(VALU_DEP_1) | instskip(NEXT) | instid1(VALU_DEP_1)
	v_fmac_f32_e32 v5, v6, v2
	v_fma_f32 v1, -v1, v5, v4
	s_delay_alu instid0(VALU_DEP_1) | instskip(NEXT) | instid1(VALU_DEP_1)
	v_div_fmas_f32 v1, v1, v2, v5
	v_div_fixup_f32 v2, v1, v0, 1.0
	s_delay_alu instid0(VALU_DEP_1)
	v_mul_f32_e64 v3, v3, -v2
.LBB121_25:
	s_or_b32 exec_lo, exec_lo, s1
	ds_store_b64 v221, v[2:3]
.LBB121_26:
	s_or_b32 exec_lo, exec_lo, s2
	s_wait_dscnt 0x0
	s_barrier_signal -1
	s_barrier_wait -1
	ds_load_b64 v[0:1], v221
	s_mov_b32 s1, exec_lo
	s_wait_dscnt 0x0
	scratch_store_b64 off, v[0:1], off offset:464 ; 8-byte Folded Spill
	s_wait_xcnt 0x0
	v_cmpx_lt_u32_e32 2, v220
	s_cbranch_execz .LBB121_28
; %bb.27:
	scratch_load_b64 v[4:5], off, off offset:464 ; 8-byte Folded Reload
	s_wait_loadcnt 0x0
	v_pk_mul_f32 v[2:3], v[4:5], v[48:49] op_sel:[1,1] op_sel_hi:[0,1]
	s_delay_alu instid0(VALU_DEP_1)
	v_pk_fma_f32 v[0:1], v[4:5], v[48:49], v[2:3] op_sel_hi:[1,0,1] neg_lo:[0,0,1] neg_hi:[0,0,1]
	v_pk_fma_f32 v[2:3], v[4:5], v[48:49], v[2:3] op_sel_hi:[1,0,1]
	ds_load_2addr_b64 v[4:7], v222 offset0:3 offset1:4
	v_dual_mov_b32 v48, v0 :: v_dual_mov_b32 v49, v3
	s_wait_dscnt 0x0
	v_pk_mul_f32 v[8:9], v[4:5], v[2:3] op_sel:[0,1]
	s_delay_alu instid0(VALU_DEP_1) | instskip(SKIP_1) | instid1(VALU_DEP_1)
	v_pk_fma_f32 v[10:11], v[4:5], v[0:1], v[8:9] op_sel:[0,0,1] op_sel_hi:[1,1,0] neg_lo:[0,0,1] neg_hi:[0,0,1]
	v_pk_fma_f32 v[4:5], v[4:5], v[0:1], v[8:9] op_sel:[0,0,1] op_sel_hi:[1,0,0]
	v_mov_b32_e32 v11, v5
	v_pk_mul_f32 v[4:5], v[6:7], v[2:3] op_sel:[0,1]
	s_delay_alu instid0(VALU_DEP_1) | instskip(SKIP_1) | instid1(VALU_DEP_1)
	v_pk_fma_f32 v[8:9], v[6:7], v[0:1], v[4:5] op_sel:[0,0,1] op_sel_hi:[1,1,0] neg_lo:[0,0,1] neg_hi:[0,0,1]
	v_pk_fma_f32 v[4:5], v[6:7], v[0:1], v[4:5] op_sel:[0,0,1] op_sel_hi:[1,0,0]
	v_mov_b32_e32 v9, v5
	ds_load_2addr_b64 v[4:7], v222 offset0:5 offset1:6
	v_pk_add_f32 v[46:47], v[46:47], v[10:11] neg_lo:[0,1] neg_hi:[0,1]
	v_pk_add_f32 v[26:27], v[26:27], v[8:9] neg_lo:[0,1] neg_hi:[0,1]
	s_wait_dscnt 0x0
	v_pk_mul_f32 v[8:9], v[4:5], v[2:3] op_sel:[0,1]
	s_delay_alu instid0(VALU_DEP_1) | instskip(SKIP_2) | instid1(VALU_DEP_2)
	v_pk_fma_f32 v[10:11], v[4:5], v[0:1], v[8:9] op_sel:[0,0,1] op_sel_hi:[1,1,0] neg_lo:[0,0,1] neg_hi:[0,0,1]
	v_pk_fma_f32 v[4:5], v[4:5], v[0:1], v[8:9] op_sel:[0,0,1] op_sel_hi:[1,0,0]
	v_dual_mul_f32 v8, v7, v3 :: v_dual_mov_b32 v4, v7
	v_dual_mov_b32 v11, v5 :: v_dual_mov_b32 v5, v6
	s_delay_alu instid0(VALU_DEP_2) | instskip(SKIP_1) | instid1(VALU_DEP_3)
	v_pk_fma_f32 v[8:9], v[6:7], v[48:49], v[8:9] op_sel_hi:[1,1,0] neg_lo:[0,0,1] neg_hi:[0,0,1]
	v_mul_f32_e32 v6, v7, v0
	v_pk_add_f32 v[22:23], v[22:23], v[10:11] neg_lo:[0,1] neg_hi:[0,1]
	s_delay_alu instid0(VALU_DEP_2) | instskip(NEXT) | instid1(VALU_DEP_1)
	v_pk_fma_f32 v[4:5], v[4:5], v[48:49], v[6:7] op_sel_hi:[1,1,0]
	v_mov_b32_e32 v9, v5
	ds_load_2addr_b64 v[4:7], v222 offset0:7 offset1:8
	v_pk_add_f32 v[24:25], v[24:25], v[8:9] neg_lo:[0,1] neg_hi:[0,1]
	s_wait_dscnt 0x0
	v_pk_mul_f32 v[8:9], v[4:5], v[2:3] op_sel:[0,1]
	s_delay_alu instid0(VALU_DEP_1) | instskip(SKIP_1) | instid1(VALU_DEP_1)
	v_pk_fma_f32 v[10:11], v[4:5], v[0:1], v[8:9] op_sel:[0,0,1] op_sel_hi:[1,1,0] neg_lo:[0,0,1] neg_hi:[0,0,1]
	v_pk_fma_f32 v[4:5], v[4:5], v[0:1], v[8:9] op_sel:[0,0,1] op_sel_hi:[1,0,0]
	v_mov_b32_e32 v11, v5
	v_pk_mul_f32 v[4:5], v[6:7], v[2:3] op_sel:[0,1]
	s_delay_alu instid0(VALU_DEP_1) | instskip(SKIP_1) | instid1(VALU_DEP_1)
	v_pk_fma_f32 v[8:9], v[6:7], v[0:1], v[4:5] op_sel:[0,0,1] op_sel_hi:[1,1,0] neg_lo:[0,0,1] neg_hi:[0,0,1]
	v_pk_fma_f32 v[4:5], v[6:7], v[0:1], v[4:5] op_sel:[0,0,1] op_sel_hi:[1,0,0]
	v_mov_b32_e32 v9, v5
	ds_load_2addr_b64 v[4:7], v222 offset0:9 offset1:10
	v_pk_add_f32 v[20:21], v[20:21], v[10:11] neg_lo:[0,1] neg_hi:[0,1]
	v_pk_add_f32 v[42:43], v[42:43], v[8:9] neg_lo:[0,1] neg_hi:[0,1]
	s_wait_dscnt 0x0
	v_pk_mul_f32 v[8:9], v[4:5], v[2:3] op_sel:[0,1]
	s_delay_alu instid0(VALU_DEP_1) | instskip(SKIP_1) | instid1(VALU_DEP_1)
	v_pk_fma_f32 v[10:11], v[4:5], v[0:1], v[8:9] op_sel:[0,0,1] op_sel_hi:[1,1,0] neg_lo:[0,0,1] neg_hi:[0,0,1]
	v_pk_fma_f32 v[4:5], v[4:5], v[0:1], v[8:9] op_sel:[0,0,1] op_sel_hi:[1,0,0]
	v_mov_b32_e32 v11, v5
	v_pk_mul_f32 v[4:5], v[6:7], v[2:3] op_sel:[0,1]
	s_delay_alu instid0(VALU_DEP_1) | instskip(SKIP_1) | instid1(VALU_DEP_1)
	v_pk_fma_f32 v[8:9], v[6:7], v[0:1], v[4:5] op_sel:[0,0,1] op_sel_hi:[1,1,0] neg_lo:[0,0,1] neg_hi:[0,0,1]
	v_pk_fma_f32 v[4:5], v[6:7], v[0:1], v[4:5] op_sel:[0,0,1] op_sel_hi:[1,0,0]
	v_mov_b32_e32 v9, v5
	ds_load_2addr_b64 v[4:7], v222 offset0:11 offset1:12
	v_pk_add_f32 v[38:39], v[38:39], v[10:11] neg_lo:[0,1] neg_hi:[0,1]
	v_pk_add_f32 v[40:41], v[40:41], v[8:9] neg_lo:[0,1] neg_hi:[0,1]
	s_wait_dscnt 0x0
	v_dual_mul_f32 v8, v5, v3 :: v_dual_mul_f32 v10, v5, v0
	s_delay_alu instid0(VALU_DEP_1) | instskip(NEXT) | instid1(VALU_DEP_2)
	v_pk_fma_f32 v[8:9], v[4:5], v[48:49], v[8:9] op_sel_hi:[1,1,0] neg_lo:[0,0,1] neg_hi:[0,0,1]
	v_pk_fma_f32 v[4:5], v[4:5], v[48:49], v[10:11] op_sel:[1,0,0] op_sel_hi:[0,1,0]
	s_delay_alu instid0(VALU_DEP_1) | instskip(SKIP_1) | instid1(VALU_DEP_2)
	v_mov_b32_e32 v9, v5
	v_pk_mul_f32 v[4:5], v[6:7], v[2:3] op_sel:[0,1]
	v_pk_add_f32 v[36:37], v[36:37], v[8:9] neg_lo:[0,1] neg_hi:[0,1]
	s_delay_alu instid0(VALU_DEP_2) | instskip(SKIP_1) | instid1(VALU_DEP_1)
	v_pk_fma_f32 v[8:9], v[6:7], v[0:1], v[4:5] op_sel:[0,0,1] op_sel_hi:[1,1,0] neg_lo:[0,0,1] neg_hi:[0,0,1]
	v_pk_fma_f32 v[4:5], v[6:7], v[0:1], v[4:5] op_sel:[0,0,1] op_sel_hi:[1,0,0]
	v_mov_b32_e32 v9, v5
	ds_load_2addr_b64 v[4:7], v222 offset0:13 offset1:14
	v_pk_add_f32 v[66:67], v[66:67], v[8:9] neg_lo:[0,1] neg_hi:[0,1]
	s_wait_dscnt 0x0
	v_pk_mul_f32 v[8:9], v[4:5], v[2:3] op_sel:[0,1]
	s_delay_alu instid0(VALU_DEP_1) | instskip(SKIP_1) | instid1(VALU_DEP_1)
	v_pk_fma_f32 v[10:11], v[4:5], v[0:1], v[8:9] op_sel:[0,0,1] op_sel_hi:[1,1,0] neg_lo:[0,0,1] neg_hi:[0,0,1]
	v_pk_fma_f32 v[4:5], v[4:5], v[0:1], v[8:9] op_sel:[0,0,1] op_sel_hi:[1,0,0]
	v_mov_b32_e32 v11, v5
	v_pk_mul_f32 v[4:5], v[6:7], v[2:3] op_sel:[0,1]
	s_delay_alu instid0(VALU_DEP_2) | instskip(NEXT) | instid1(VALU_DEP_2)
	v_pk_add_f32 v[62:63], v[62:63], v[10:11] neg_lo:[0,1] neg_hi:[0,1]
	v_pk_fma_f32 v[8:9], v[6:7], v[0:1], v[4:5] op_sel:[0,0,1] op_sel_hi:[1,1,0] neg_lo:[0,0,1] neg_hi:[0,0,1]
	v_pk_fma_f32 v[4:5], v[6:7], v[0:1], v[4:5] op_sel:[0,0,1] op_sel_hi:[1,0,0]
	s_delay_alu instid0(VALU_DEP_1) | instskip(SKIP_4) | instid1(VALU_DEP_1)
	v_mov_b32_e32 v9, v5
	ds_load_2addr_b64 v[4:7], v222 offset0:15 offset1:16
	v_pk_add_f32 v[64:65], v[64:65], v[8:9] neg_lo:[0,1] neg_hi:[0,1]
	s_wait_dscnt 0x0
	v_pk_mul_f32 v[8:9], v[4:5], v[2:3] op_sel:[0,1]
	v_pk_fma_f32 v[10:11], v[4:5], v[0:1], v[8:9] op_sel:[0,0,1] op_sel_hi:[1,1,0] neg_lo:[0,0,1] neg_hi:[0,0,1]
	v_pk_fma_f32 v[4:5], v[4:5], v[0:1], v[8:9] op_sel:[0,0,1] op_sel_hi:[1,0,0]
	v_dual_mul_f32 v8, v7, v3 :: v_dual_mov_b32 v4, v7
	s_delay_alu instid0(VALU_DEP_2) | instskip(NEXT) | instid1(VALU_DEP_2)
	v_dual_mov_b32 v11, v5 :: v_dual_mov_b32 v5, v6
	v_pk_fma_f32 v[8:9], v[6:7], v[48:49], v[8:9] op_sel_hi:[1,1,0] neg_lo:[0,0,1] neg_hi:[0,0,1]
	v_mul_f32_e32 v6, v7, v0
	s_delay_alu instid0(VALU_DEP_3) | instskip(NEXT) | instid1(VALU_DEP_2)
	v_pk_add_f32 v[60:61], v[60:61], v[10:11] neg_lo:[0,1] neg_hi:[0,1]
	v_pk_fma_f32 v[4:5], v[4:5], v[48:49], v[6:7] op_sel_hi:[1,1,0]
	s_delay_alu instid0(VALU_DEP_1) | instskip(SKIP_4) | instid1(VALU_DEP_1)
	v_mov_b32_e32 v9, v5
	ds_load_2addr_b64 v[4:7], v222 offset0:17 offset1:18
	v_pk_add_f32 v[82:83], v[82:83], v[8:9] neg_lo:[0,1] neg_hi:[0,1]
	s_wait_dscnt 0x0
	v_pk_mul_f32 v[8:9], v[4:5], v[2:3] op_sel:[0,1]
	v_pk_fma_f32 v[10:11], v[4:5], v[0:1], v[8:9] op_sel:[0,0,1] op_sel_hi:[1,1,0] neg_lo:[0,0,1] neg_hi:[0,0,1]
	v_pk_fma_f32 v[4:5], v[4:5], v[0:1], v[8:9] op_sel:[0,0,1] op_sel_hi:[1,0,0]
	s_delay_alu instid0(VALU_DEP_1) | instskip(SKIP_1) | instid1(VALU_DEP_1)
	v_mov_b32_e32 v11, v5
	v_pk_mul_f32 v[4:5], v[6:7], v[2:3] op_sel:[0,1]
	v_pk_fma_f32 v[8:9], v[6:7], v[0:1], v[4:5] op_sel:[0,0,1] op_sel_hi:[1,1,0] neg_lo:[0,0,1] neg_hi:[0,0,1]
	v_pk_fma_f32 v[4:5], v[6:7], v[0:1], v[4:5] op_sel:[0,0,1] op_sel_hi:[1,0,0]
	s_delay_alu instid0(VALU_DEP_1)
	v_mov_b32_e32 v9, v5
	ds_load_2addr_b64 v[4:7], v222 offset0:19 offset1:20
	v_pk_add_f32 v[78:79], v[78:79], v[10:11] neg_lo:[0,1] neg_hi:[0,1]
	v_pk_add_f32 v[80:81], v[80:81], v[8:9] neg_lo:[0,1] neg_hi:[0,1]
	s_wait_dscnt 0x0
	v_pk_mul_f32 v[8:9], v[4:5], v[2:3] op_sel:[0,1]
	s_delay_alu instid0(VALU_DEP_1) | instskip(SKIP_1) | instid1(VALU_DEP_1)
	v_pk_fma_f32 v[10:11], v[4:5], v[0:1], v[8:9] op_sel:[0,0,1] op_sel_hi:[1,1,0] neg_lo:[0,0,1] neg_hi:[0,0,1]
	v_pk_fma_f32 v[4:5], v[4:5], v[0:1], v[8:9] op_sel:[0,0,1] op_sel_hi:[1,0,0]
	v_mov_b32_e32 v11, v5
	v_pk_mul_f32 v[4:5], v[6:7], v[2:3] op_sel:[0,1]
	s_delay_alu instid0(VALU_DEP_1) | instskip(SKIP_1) | instid1(VALU_DEP_1)
	v_pk_fma_f32 v[8:9], v[6:7], v[0:1], v[4:5] op_sel:[0,0,1] op_sel_hi:[1,1,0] neg_lo:[0,0,1] neg_hi:[0,0,1]
	v_pk_fma_f32 v[4:5], v[6:7], v[0:1], v[4:5] op_sel:[0,0,1] op_sel_hi:[1,0,0]
	v_mov_b32_e32 v9, v5
	ds_load_2addr_b64 v[4:7], v222 offset0:21 offset1:22
	v_pk_add_f32 v[76:77], v[76:77], v[10:11] neg_lo:[0,1] neg_hi:[0,1]
	v_pk_add_f32 v[98:99], v[98:99], v[8:9] neg_lo:[0,1] neg_hi:[0,1]
	s_wait_dscnt 0x0
	v_dual_mul_f32 v8, v5, v3 :: v_dual_mul_f32 v10, v5, v0
	s_delay_alu instid0(VALU_DEP_1) | instskip(NEXT) | instid1(VALU_DEP_2)
	v_pk_fma_f32 v[8:9], v[4:5], v[48:49], v[8:9] op_sel_hi:[1,1,0] neg_lo:[0,0,1] neg_hi:[0,0,1]
	v_pk_fma_f32 v[4:5], v[4:5], v[48:49], v[10:11] op_sel:[1,0,0] op_sel_hi:[0,1,0]
	s_delay_alu instid0(VALU_DEP_1) | instskip(SKIP_1) | instid1(VALU_DEP_2)
	v_mov_b32_e32 v9, v5
	v_pk_mul_f32 v[4:5], v[6:7], v[2:3] op_sel:[0,1]
	v_pk_add_f32 v[94:95], v[94:95], v[8:9] neg_lo:[0,1] neg_hi:[0,1]
	s_delay_alu instid0(VALU_DEP_2) | instskip(SKIP_1) | instid1(VALU_DEP_1)
	v_pk_fma_f32 v[8:9], v[6:7], v[0:1], v[4:5] op_sel:[0,0,1] op_sel_hi:[1,1,0] neg_lo:[0,0,1] neg_hi:[0,0,1]
	v_pk_fma_f32 v[4:5], v[6:7], v[0:1], v[4:5] op_sel:[0,0,1] op_sel_hi:[1,0,0]
	v_mov_b32_e32 v9, v5
	ds_load_2addr_b64 v[4:7], v222 offset0:23 offset1:24
	v_pk_add_f32 v[96:97], v[96:97], v[8:9] neg_lo:[0,1] neg_hi:[0,1]
	s_wait_dscnt 0x0
	v_pk_mul_f32 v[8:9], v[4:5], v[2:3] op_sel:[0,1]
	s_delay_alu instid0(VALU_DEP_1) | instskip(SKIP_1) | instid1(VALU_DEP_1)
	v_pk_fma_f32 v[10:11], v[4:5], v[0:1], v[8:9] op_sel:[0,0,1] op_sel_hi:[1,1,0] neg_lo:[0,0,1] neg_hi:[0,0,1]
	v_pk_fma_f32 v[4:5], v[4:5], v[0:1], v[8:9] op_sel:[0,0,1] op_sel_hi:[1,0,0]
	v_mov_b32_e32 v11, v5
	v_pk_mul_f32 v[4:5], v[6:7], v[2:3] op_sel:[0,1]
	s_delay_alu instid0(VALU_DEP_2) | instskip(NEXT) | instid1(VALU_DEP_2)
	v_pk_add_f32 v[92:93], v[92:93], v[10:11] neg_lo:[0,1] neg_hi:[0,1]
	v_pk_fma_f32 v[8:9], v[6:7], v[0:1], v[4:5] op_sel:[0,0,1] op_sel_hi:[1,1,0] neg_lo:[0,0,1] neg_hi:[0,0,1]
	v_pk_fma_f32 v[4:5], v[6:7], v[0:1], v[4:5] op_sel:[0,0,1] op_sel_hi:[1,0,0]
	s_delay_alu instid0(VALU_DEP_1) | instskip(SKIP_4) | instid1(VALU_DEP_1)
	v_mov_b32_e32 v9, v5
	ds_load_2addr_b64 v[4:7], v222 offset0:25 offset1:26
	v_pk_add_f32 v[114:115], v[114:115], v[8:9] neg_lo:[0,1] neg_hi:[0,1]
	s_wait_dscnt 0x0
	v_pk_mul_f32 v[8:9], v[4:5], v[2:3] op_sel:[0,1]
	v_pk_fma_f32 v[10:11], v[4:5], v[0:1], v[8:9] op_sel:[0,0,1] op_sel_hi:[1,1,0] neg_lo:[0,0,1] neg_hi:[0,0,1]
	v_pk_fma_f32 v[4:5], v[4:5], v[0:1], v[8:9] op_sel:[0,0,1] op_sel_hi:[1,0,0]
	v_dual_mul_f32 v8, v7, v3 :: v_dual_mov_b32 v4, v7
	s_delay_alu instid0(VALU_DEP_2) | instskip(NEXT) | instid1(VALU_DEP_2)
	v_dual_mov_b32 v11, v5 :: v_dual_mov_b32 v5, v6
	v_pk_fma_f32 v[8:9], v[6:7], v[48:49], v[8:9] op_sel_hi:[1,1,0] neg_lo:[0,0,1] neg_hi:[0,0,1]
	v_mul_f32_e32 v6, v7, v0
	s_delay_alu instid0(VALU_DEP_3) | instskip(NEXT) | instid1(VALU_DEP_2)
	v_pk_add_f32 v[110:111], v[110:111], v[10:11] neg_lo:[0,1] neg_hi:[0,1]
	v_pk_fma_f32 v[4:5], v[4:5], v[48:49], v[6:7] op_sel_hi:[1,1,0]
	s_delay_alu instid0(VALU_DEP_1) | instskip(SKIP_4) | instid1(VALU_DEP_1)
	v_mov_b32_e32 v9, v5
	ds_load_2addr_b64 v[4:7], v222 offset0:27 offset1:28
	v_pk_add_f32 v[112:113], v[112:113], v[8:9] neg_lo:[0,1] neg_hi:[0,1]
	s_wait_dscnt 0x0
	v_pk_mul_f32 v[8:9], v[4:5], v[2:3] op_sel:[0,1]
	v_pk_fma_f32 v[10:11], v[4:5], v[0:1], v[8:9] op_sel:[0,0,1] op_sel_hi:[1,1,0] neg_lo:[0,0,1] neg_hi:[0,0,1]
	v_pk_fma_f32 v[4:5], v[4:5], v[0:1], v[8:9] op_sel:[0,0,1] op_sel_hi:[1,0,0]
	s_delay_alu instid0(VALU_DEP_1) | instskip(SKIP_1) | instid1(VALU_DEP_1)
	v_mov_b32_e32 v11, v5
	v_pk_mul_f32 v[4:5], v[6:7], v[2:3] op_sel:[0,1]
	v_pk_fma_f32 v[8:9], v[6:7], v[0:1], v[4:5] op_sel:[0,0,1] op_sel_hi:[1,1,0] neg_lo:[0,0,1] neg_hi:[0,0,1]
	v_pk_fma_f32 v[4:5], v[6:7], v[0:1], v[4:5] op_sel:[0,0,1] op_sel_hi:[1,0,0]
	s_delay_alu instid0(VALU_DEP_1)
	v_mov_b32_e32 v9, v5
	ds_load_2addr_b64 v[4:7], v222 offset0:29 offset1:30
	v_pk_add_f32 v[108:109], v[108:109], v[10:11] neg_lo:[0,1] neg_hi:[0,1]
	v_pk_add_f32 v[130:131], v[130:131], v[8:9] neg_lo:[0,1] neg_hi:[0,1]
	s_wait_dscnt 0x0
	v_pk_mul_f32 v[8:9], v[4:5], v[2:3] op_sel:[0,1]
	s_delay_alu instid0(VALU_DEP_1) | instskip(SKIP_1) | instid1(VALU_DEP_1)
	v_pk_fma_f32 v[10:11], v[4:5], v[0:1], v[8:9] op_sel:[0,0,1] op_sel_hi:[1,1,0] neg_lo:[0,0,1] neg_hi:[0,0,1]
	v_pk_fma_f32 v[4:5], v[4:5], v[0:1], v[8:9] op_sel:[0,0,1] op_sel_hi:[1,0,0]
	v_mov_b32_e32 v11, v5
	v_pk_mul_f32 v[4:5], v[6:7], v[2:3] op_sel:[0,1]
	s_delay_alu instid0(VALU_DEP_1) | instskip(SKIP_1) | instid1(VALU_DEP_1)
	v_pk_fma_f32 v[8:9], v[6:7], v[0:1], v[4:5] op_sel:[0,0,1] op_sel_hi:[1,1,0] neg_lo:[0,0,1] neg_hi:[0,0,1]
	v_pk_fma_f32 v[4:5], v[6:7], v[0:1], v[4:5] op_sel:[0,0,1] op_sel_hi:[1,0,0]
	v_mov_b32_e32 v9, v5
	ds_load_2addr_b64 v[4:7], v222 offset0:31 offset1:32
	v_pk_add_f32 v[126:127], v[126:127], v[10:11] neg_lo:[0,1] neg_hi:[0,1]
	v_pk_add_f32 v[128:129], v[128:129], v[8:9] neg_lo:[0,1] neg_hi:[0,1]
	s_wait_dscnt 0x0
	v_dual_mul_f32 v8, v5, v3 :: v_dual_mul_f32 v10, v5, v0
	s_delay_alu instid0(VALU_DEP_1) | instskip(NEXT) | instid1(VALU_DEP_2)
	v_pk_fma_f32 v[8:9], v[4:5], v[48:49], v[8:9] op_sel_hi:[1,1,0] neg_lo:[0,0,1] neg_hi:[0,0,1]
	v_pk_fma_f32 v[4:5], v[4:5], v[48:49], v[10:11] op_sel:[1,0,0] op_sel_hi:[0,1,0]
	s_delay_alu instid0(VALU_DEP_1) | instskip(SKIP_1) | instid1(VALU_DEP_2)
	v_mov_b32_e32 v9, v5
	v_pk_mul_f32 v[4:5], v[6:7], v[2:3] op_sel:[0,1]
	v_pk_add_f32 v[124:125], v[124:125], v[8:9] neg_lo:[0,1] neg_hi:[0,1]
	s_delay_alu instid0(VALU_DEP_2) | instskip(SKIP_1) | instid1(VALU_DEP_1)
	v_pk_fma_f32 v[8:9], v[6:7], v[0:1], v[4:5] op_sel:[0,0,1] op_sel_hi:[1,1,0] neg_lo:[0,0,1] neg_hi:[0,0,1]
	v_pk_fma_f32 v[4:5], v[6:7], v[0:1], v[4:5] op_sel:[0,0,1] op_sel_hi:[1,0,0]
	v_mov_b32_e32 v9, v5
	ds_load_2addr_b64 v[4:7], v222 offset0:33 offset1:34
	v_pk_add_f32 v[146:147], v[146:147], v[8:9] neg_lo:[0,1] neg_hi:[0,1]
	s_wait_dscnt 0x0
	v_pk_mul_f32 v[8:9], v[4:5], v[2:3] op_sel:[0,1]
	s_delay_alu instid0(VALU_DEP_1) | instskip(SKIP_1) | instid1(VALU_DEP_1)
	v_pk_fma_f32 v[10:11], v[4:5], v[0:1], v[8:9] op_sel:[0,0,1] op_sel_hi:[1,1,0] neg_lo:[0,0,1] neg_hi:[0,0,1]
	v_pk_fma_f32 v[4:5], v[4:5], v[0:1], v[8:9] op_sel:[0,0,1] op_sel_hi:[1,0,0]
	v_mov_b32_e32 v11, v5
	v_pk_mul_f32 v[4:5], v[6:7], v[2:3] op_sel:[0,1]
	s_delay_alu instid0(VALU_DEP_2) | instskip(NEXT) | instid1(VALU_DEP_2)
	v_pk_add_f32 v[142:143], v[142:143], v[10:11] neg_lo:[0,1] neg_hi:[0,1]
	v_pk_fma_f32 v[8:9], v[6:7], v[0:1], v[4:5] op_sel:[0,0,1] op_sel_hi:[1,1,0] neg_lo:[0,0,1] neg_hi:[0,0,1]
	v_pk_fma_f32 v[4:5], v[6:7], v[0:1], v[4:5] op_sel:[0,0,1] op_sel_hi:[1,0,0]
	s_delay_alu instid0(VALU_DEP_1) | instskip(SKIP_4) | instid1(VALU_DEP_1)
	v_mov_b32_e32 v9, v5
	ds_load_2addr_b64 v[4:7], v222 offset0:35 offset1:36
	v_pk_add_f32 v[144:145], v[144:145], v[8:9] neg_lo:[0,1] neg_hi:[0,1]
	s_wait_dscnt 0x0
	v_pk_mul_f32 v[8:9], v[4:5], v[2:3] op_sel:[0,1]
	v_pk_fma_f32 v[10:11], v[4:5], v[0:1], v[8:9] op_sel:[0,0,1] op_sel_hi:[1,1,0] neg_lo:[0,0,1] neg_hi:[0,0,1]
	v_pk_fma_f32 v[4:5], v[4:5], v[0:1], v[8:9] op_sel:[0,0,1] op_sel_hi:[1,0,0]
	v_dual_mul_f32 v8, v7, v3 :: v_dual_mov_b32 v4, v7
	s_delay_alu instid0(VALU_DEP_2) | instskip(NEXT) | instid1(VALU_DEP_2)
	v_dual_mov_b32 v11, v5 :: v_dual_mov_b32 v5, v6
	v_pk_fma_f32 v[8:9], v[6:7], v[48:49], v[8:9] op_sel_hi:[1,1,0] neg_lo:[0,0,1] neg_hi:[0,0,1]
	v_mul_f32_e32 v6, v7, v0
	s_delay_alu instid0(VALU_DEP_3) | instskip(NEXT) | instid1(VALU_DEP_2)
	v_pk_add_f32 v[140:141], v[140:141], v[10:11] neg_lo:[0,1] neg_hi:[0,1]
	v_pk_fma_f32 v[4:5], v[4:5], v[48:49], v[6:7] op_sel_hi:[1,1,0]
	s_delay_alu instid0(VALU_DEP_1) | instskip(SKIP_4) | instid1(VALU_DEP_1)
	v_mov_b32_e32 v9, v5
	ds_load_2addr_b64 v[4:7], v222 offset0:37 offset1:38
	v_pk_add_f32 v[162:163], v[162:163], v[8:9] neg_lo:[0,1] neg_hi:[0,1]
	s_wait_dscnt 0x0
	v_pk_mul_f32 v[8:9], v[4:5], v[2:3] op_sel:[0,1]
	v_pk_fma_f32 v[10:11], v[4:5], v[0:1], v[8:9] op_sel:[0,0,1] op_sel_hi:[1,1,0] neg_lo:[0,0,1] neg_hi:[0,0,1]
	v_pk_fma_f32 v[4:5], v[4:5], v[0:1], v[8:9] op_sel:[0,0,1] op_sel_hi:[1,0,0]
	s_delay_alu instid0(VALU_DEP_1) | instskip(SKIP_1) | instid1(VALU_DEP_1)
	v_mov_b32_e32 v11, v5
	v_pk_mul_f32 v[4:5], v[6:7], v[2:3] op_sel:[0,1]
	v_pk_fma_f32 v[8:9], v[6:7], v[0:1], v[4:5] op_sel:[0,0,1] op_sel_hi:[1,1,0] neg_lo:[0,0,1] neg_hi:[0,0,1]
	v_pk_fma_f32 v[4:5], v[6:7], v[0:1], v[4:5] op_sel:[0,0,1] op_sel_hi:[1,0,0]
	s_delay_alu instid0(VALU_DEP_1)
	v_mov_b32_e32 v9, v5
	ds_load_2addr_b64 v[4:7], v222 offset0:39 offset1:40
	v_pk_add_f32 v[158:159], v[158:159], v[10:11] neg_lo:[0,1] neg_hi:[0,1]
	v_pk_add_f32 v[160:161], v[160:161], v[8:9] neg_lo:[0,1] neg_hi:[0,1]
	s_wait_dscnt 0x0
	v_pk_mul_f32 v[8:9], v[4:5], v[2:3] op_sel:[0,1]
	s_delay_alu instid0(VALU_DEP_1) | instskip(SKIP_1) | instid1(VALU_DEP_1)
	v_pk_fma_f32 v[10:11], v[4:5], v[0:1], v[8:9] op_sel:[0,0,1] op_sel_hi:[1,1,0] neg_lo:[0,0,1] neg_hi:[0,0,1]
	v_pk_fma_f32 v[4:5], v[4:5], v[0:1], v[8:9] op_sel:[0,0,1] op_sel_hi:[1,0,0]
	v_mov_b32_e32 v11, v5
	v_pk_mul_f32 v[4:5], v[6:7], v[2:3] op_sel:[0,1]
	s_delay_alu instid0(VALU_DEP_1) | instskip(SKIP_1) | instid1(VALU_DEP_1)
	v_pk_fma_f32 v[8:9], v[6:7], v[0:1], v[4:5] op_sel:[0,0,1] op_sel_hi:[1,1,0] neg_lo:[0,0,1] neg_hi:[0,0,1]
	v_pk_fma_f32 v[4:5], v[6:7], v[0:1], v[4:5] op_sel:[0,0,1] op_sel_hi:[1,0,0]
	v_mov_b32_e32 v9, v5
	ds_load_2addr_b64 v[4:7], v222 offset0:41 offset1:42
	v_pk_add_f32 v[156:157], v[156:157], v[10:11] neg_lo:[0,1] neg_hi:[0,1]
	v_pk_add_f32 v[178:179], v[178:179], v[8:9] neg_lo:[0,1] neg_hi:[0,1]
	s_wait_dscnt 0x0
	v_dual_mul_f32 v8, v5, v3 :: v_dual_mul_f32 v10, v5, v0
	s_delay_alu instid0(VALU_DEP_1) | instskip(NEXT) | instid1(VALU_DEP_2)
	v_pk_fma_f32 v[8:9], v[4:5], v[48:49], v[8:9] op_sel_hi:[1,1,0] neg_lo:[0,0,1] neg_hi:[0,0,1]
	v_pk_fma_f32 v[4:5], v[4:5], v[48:49], v[10:11] op_sel:[1,0,0] op_sel_hi:[0,1,0]
	s_delay_alu instid0(VALU_DEP_1) | instskip(SKIP_1) | instid1(VALU_DEP_2)
	v_mov_b32_e32 v9, v5
	v_pk_mul_f32 v[4:5], v[6:7], v[2:3] op_sel:[0,1]
	v_pk_add_f32 v[174:175], v[174:175], v[8:9] neg_lo:[0,1] neg_hi:[0,1]
	s_delay_alu instid0(VALU_DEP_2) | instskip(SKIP_1) | instid1(VALU_DEP_1)
	v_pk_fma_f32 v[8:9], v[6:7], v[0:1], v[4:5] op_sel:[0,0,1] op_sel_hi:[1,1,0] neg_lo:[0,0,1] neg_hi:[0,0,1]
	v_pk_fma_f32 v[4:5], v[6:7], v[0:1], v[4:5] op_sel:[0,0,1] op_sel_hi:[1,0,0]
	v_mov_b32_e32 v9, v5
	ds_load_2addr_b64 v[4:7], v222 offset0:43 offset1:44
	v_pk_add_f32 v[176:177], v[176:177], v[8:9] neg_lo:[0,1] neg_hi:[0,1]
	s_wait_dscnt 0x0
	v_pk_mul_f32 v[8:9], v[4:5], v[2:3] op_sel:[0,1]
	s_delay_alu instid0(VALU_DEP_1) | instskip(SKIP_1) | instid1(VALU_DEP_1)
	v_pk_fma_f32 v[10:11], v[4:5], v[0:1], v[8:9] op_sel:[0,0,1] op_sel_hi:[1,1,0] neg_lo:[0,0,1] neg_hi:[0,0,1]
	v_pk_fma_f32 v[4:5], v[4:5], v[0:1], v[8:9] op_sel:[0,0,1] op_sel_hi:[1,0,0]
	v_mov_b32_e32 v11, v5
	v_pk_mul_f32 v[4:5], v[6:7], v[2:3] op_sel:[0,1]
	s_delay_alu instid0(VALU_DEP_2) | instskip(NEXT) | instid1(VALU_DEP_2)
	v_pk_add_f32 v[172:173], v[172:173], v[10:11] neg_lo:[0,1] neg_hi:[0,1]
	v_pk_fma_f32 v[8:9], v[6:7], v[0:1], v[4:5] op_sel:[0,0,1] op_sel_hi:[1,1,0] neg_lo:[0,0,1] neg_hi:[0,0,1]
	v_pk_fma_f32 v[4:5], v[6:7], v[0:1], v[4:5] op_sel:[0,0,1] op_sel_hi:[1,0,0]
	s_delay_alu instid0(VALU_DEP_1) | instskip(SKIP_4) | instid1(VALU_DEP_1)
	v_mov_b32_e32 v9, v5
	ds_load_2addr_b64 v[4:7], v222 offset0:45 offset1:46
	v_pk_add_f32 v[194:195], v[194:195], v[8:9] neg_lo:[0,1] neg_hi:[0,1]
	s_wait_dscnt 0x0
	v_pk_mul_f32 v[8:9], v[4:5], v[2:3] op_sel:[0,1]
	v_pk_fma_f32 v[10:11], v[4:5], v[0:1], v[8:9] op_sel:[0,0,1] op_sel_hi:[1,1,0] neg_lo:[0,0,1] neg_hi:[0,0,1]
	v_pk_fma_f32 v[4:5], v[4:5], v[0:1], v[8:9] op_sel:[0,0,1] op_sel_hi:[1,0,0]
	v_dual_mul_f32 v8, v7, v3 :: v_dual_mov_b32 v4, v7
	s_delay_alu instid0(VALU_DEP_2) | instskip(NEXT) | instid1(VALU_DEP_2)
	v_dual_mov_b32 v11, v5 :: v_dual_mov_b32 v5, v6
	v_pk_fma_f32 v[8:9], v[6:7], v[48:49], v[8:9] op_sel_hi:[1,1,0] neg_lo:[0,0,1] neg_hi:[0,0,1]
	v_mul_f32_e32 v6, v7, v0
	s_delay_alu instid0(VALU_DEP_3) | instskip(NEXT) | instid1(VALU_DEP_2)
	v_pk_add_f32 v[190:191], v[190:191], v[10:11] neg_lo:[0,1] neg_hi:[0,1]
	v_pk_fma_f32 v[4:5], v[4:5], v[48:49], v[6:7] op_sel_hi:[1,1,0]
	s_delay_alu instid0(VALU_DEP_1) | instskip(SKIP_4) | instid1(VALU_DEP_1)
	v_mov_b32_e32 v9, v5
	ds_load_2addr_b64 v[4:7], v222 offset0:47 offset1:48
	v_pk_add_f32 v[192:193], v[192:193], v[8:9] neg_lo:[0,1] neg_hi:[0,1]
	s_wait_dscnt 0x0
	v_pk_mul_f32 v[8:9], v[4:5], v[2:3] op_sel:[0,1]
	v_pk_fma_f32 v[10:11], v[4:5], v[0:1], v[8:9] op_sel:[0,0,1] op_sel_hi:[1,1,0] neg_lo:[0,0,1] neg_hi:[0,0,1]
	v_pk_fma_f32 v[4:5], v[4:5], v[0:1], v[8:9] op_sel:[0,0,1] op_sel_hi:[1,0,0]
	s_delay_alu instid0(VALU_DEP_1) | instskip(SKIP_1) | instid1(VALU_DEP_1)
	v_mov_b32_e32 v11, v5
	v_pk_mul_f32 v[4:5], v[6:7], v[2:3] op_sel:[0,1]
	v_pk_fma_f32 v[8:9], v[6:7], v[0:1], v[4:5] op_sel:[0,0,1] op_sel_hi:[1,1,0] neg_lo:[0,0,1] neg_hi:[0,0,1]
	v_pk_fma_f32 v[4:5], v[6:7], v[0:1], v[4:5] op_sel:[0,0,1] op_sel_hi:[1,0,0]
	s_delay_alu instid0(VALU_DEP_1)
	v_mov_b32_e32 v9, v5
	ds_load_2addr_b64 v[4:7], v222 offset0:49 offset1:50
	v_pk_add_f32 v[188:189], v[188:189], v[10:11] neg_lo:[0,1] neg_hi:[0,1]
	v_pk_add_f32 v[216:217], v[216:217], v[8:9] neg_lo:[0,1] neg_hi:[0,1]
	s_wait_dscnt 0x0
	v_pk_mul_f32 v[8:9], v[4:5], v[2:3] op_sel:[0,1]
	s_delay_alu instid0(VALU_DEP_1) | instskip(SKIP_1) | instid1(VALU_DEP_1)
	v_pk_fma_f32 v[10:11], v[4:5], v[0:1], v[8:9] op_sel:[0,0,1] op_sel_hi:[1,1,0] neg_lo:[0,0,1] neg_hi:[0,0,1]
	v_pk_fma_f32 v[4:5], v[4:5], v[0:1], v[8:9] op_sel:[0,0,1] op_sel_hi:[1,0,0]
	v_mov_b32_e32 v11, v5
	v_pk_mul_f32 v[4:5], v[6:7], v[2:3] op_sel:[0,1]
	s_delay_alu instid0(VALU_DEP_1) | instskip(SKIP_1) | instid1(VALU_DEP_1)
	v_pk_fma_f32 v[8:9], v[6:7], v[0:1], v[4:5] op_sel:[0,0,1] op_sel_hi:[1,1,0] neg_lo:[0,0,1] neg_hi:[0,0,1]
	v_pk_fma_f32 v[4:5], v[6:7], v[0:1], v[4:5] op_sel:[0,0,1] op_sel_hi:[1,0,0]
	v_mov_b32_e32 v9, v5
	ds_load_2addr_b64 v[4:7], v222 offset0:51 offset1:52
	v_pk_add_f32 v[212:213], v[212:213], v[10:11] neg_lo:[0,1] neg_hi:[0,1]
	v_pk_add_f32 v[214:215], v[214:215], v[8:9] neg_lo:[0,1] neg_hi:[0,1]
	s_wait_dscnt 0x0
	v_dual_mul_f32 v8, v5, v3 :: v_dual_mul_f32 v10, v5, v0
	s_delay_alu instid0(VALU_DEP_1) | instskip(NEXT) | instid1(VALU_DEP_2)
	v_pk_fma_f32 v[8:9], v[4:5], v[48:49], v[8:9] op_sel_hi:[1,1,0] neg_lo:[0,0,1] neg_hi:[0,0,1]
	v_pk_fma_f32 v[4:5], v[4:5], v[48:49], v[10:11] op_sel:[1,0,0] op_sel_hi:[0,1,0]
	s_delay_alu instid0(VALU_DEP_1) | instskip(SKIP_1) | instid1(VALU_DEP_2)
	v_mov_b32_e32 v9, v5
	v_pk_mul_f32 v[4:5], v[6:7], v[2:3] op_sel:[0,1]
	v_pk_add_f32 v[210:211], v[210:211], v[8:9] neg_lo:[0,1] neg_hi:[0,1]
	s_delay_alu instid0(VALU_DEP_2) | instskip(SKIP_1) | instid1(VALU_DEP_1)
	v_pk_fma_f32 v[8:9], v[6:7], v[0:1], v[4:5] op_sel:[0,0,1] op_sel_hi:[1,1,0] neg_lo:[0,0,1] neg_hi:[0,0,1]
	v_pk_fma_f32 v[4:5], v[6:7], v[0:1], v[4:5] op_sel:[0,0,1] op_sel_hi:[1,0,0]
	v_mov_b32_e32 v9, v5
	ds_load_2addr_b64 v[4:7], v222 offset0:53 offset1:54
	v_pk_add_f32 v[240:241], v[240:241], v[8:9] neg_lo:[0,1] neg_hi:[0,1]
	s_wait_dscnt 0x0
	v_pk_mul_f32 v[8:9], v[4:5], v[2:3] op_sel:[0,1]
	s_delay_alu instid0(VALU_DEP_1) | instskip(SKIP_1) | instid1(VALU_DEP_1)
	v_pk_fma_f32 v[10:11], v[4:5], v[0:1], v[8:9] op_sel:[0,0,1] op_sel_hi:[1,1,0] neg_lo:[0,0,1] neg_hi:[0,0,1]
	v_pk_fma_f32 v[4:5], v[4:5], v[0:1], v[8:9] op_sel:[0,0,1] op_sel_hi:[1,0,0]
	v_mov_b32_e32 v11, v5
	v_pk_mul_f32 v[4:5], v[6:7], v[2:3] op_sel:[0,1]
	s_delay_alu instid0(VALU_DEP_2) | instskip(NEXT) | instid1(VALU_DEP_2)
	v_pk_add_f32 v[232:233], v[232:233], v[10:11] neg_lo:[0,1] neg_hi:[0,1]
	v_pk_fma_f32 v[8:9], v[6:7], v[0:1], v[4:5] op_sel:[0,0,1] op_sel_hi:[1,1,0] neg_lo:[0,0,1] neg_hi:[0,0,1]
	v_pk_fma_f32 v[4:5], v[6:7], v[0:1], v[4:5] op_sel:[0,0,1] op_sel_hi:[1,0,0]
	s_delay_alu instid0(VALU_DEP_1) | instskip(SKIP_4) | instid1(VALU_DEP_1)
	v_mov_b32_e32 v9, v5
	ds_load_2addr_b64 v[4:7], v222 offset0:55 offset1:56
	v_pk_add_f32 v[238:239], v[238:239], v[8:9] neg_lo:[0,1] neg_hi:[0,1]
	s_wait_dscnt 0x0
	v_pk_mul_f32 v[8:9], v[4:5], v[2:3] op_sel:[0,1]
	v_pk_fma_f32 v[10:11], v[4:5], v[0:1], v[8:9] op_sel:[0,0,1] op_sel_hi:[1,1,0] neg_lo:[0,0,1] neg_hi:[0,0,1]
	v_pk_fma_f32 v[4:5], v[4:5], v[0:1], v[8:9] op_sel:[0,0,1] op_sel_hi:[1,0,0]
	v_dual_mul_f32 v8, v7, v3 :: v_dual_mov_b32 v4, v7
	s_delay_alu instid0(VALU_DEP_2) | instskip(NEXT) | instid1(VALU_DEP_2)
	v_dual_mov_b32 v11, v5 :: v_dual_mov_b32 v5, v6
	v_pk_fma_f32 v[8:9], v[6:7], v[48:49], v[8:9] op_sel_hi:[1,1,0] neg_lo:[0,0,1] neg_hi:[0,0,1]
	v_mul_f32_e32 v6, v7, v0
	s_delay_alu instid0(VALU_DEP_3) | instskip(NEXT) | instid1(VALU_DEP_2)
	v_pk_add_f32 v[230:231], v[230:231], v[10:11] neg_lo:[0,1] neg_hi:[0,1]
	v_pk_fma_f32 v[4:5], v[4:5], v[48:49], v[6:7] op_sel_hi:[1,1,0]
	s_delay_alu instid0(VALU_DEP_1) | instskip(SKIP_4) | instid1(VALU_DEP_1)
	v_mov_b32_e32 v9, v5
	ds_load_2addr_b64 v[4:7], v222 offset0:57 offset1:58
	v_pk_add_f32 v[236:237], v[236:237], v[8:9] neg_lo:[0,1] neg_hi:[0,1]
	s_wait_dscnt 0x0
	v_pk_mul_f32 v[8:9], v[4:5], v[2:3] op_sel:[0,1]
	v_pk_fma_f32 v[10:11], v[4:5], v[0:1], v[8:9] op_sel:[0,0,1] op_sel_hi:[1,1,0] neg_lo:[0,0,1] neg_hi:[0,0,1]
	v_pk_fma_f32 v[4:5], v[4:5], v[0:1], v[8:9] op_sel:[0,0,1] op_sel_hi:[1,0,0]
	s_delay_alu instid0(VALU_DEP_1) | instskip(SKIP_1) | instid1(VALU_DEP_1)
	v_mov_b32_e32 v11, v5
	v_pk_mul_f32 v[4:5], v[6:7], v[2:3] op_sel:[0,1]
	v_pk_fma_f32 v[8:9], v[6:7], v[0:1], v[4:5] op_sel:[0,0,1] op_sel_hi:[1,1,0] neg_lo:[0,0,1] neg_hi:[0,0,1]
	v_pk_fma_f32 v[4:5], v[6:7], v[0:1], v[4:5] op_sel:[0,0,1] op_sel_hi:[1,0,0]
	s_delay_alu instid0(VALU_DEP_1)
	v_mov_b32_e32 v9, v5
	ds_load_2addr_b64 v[4:7], v222 offset0:59 offset1:60
	v_pk_add_f32 v[228:229], v[228:229], v[10:11] neg_lo:[0,1] neg_hi:[0,1]
	v_pk_add_f32 v[234:235], v[234:235], v[8:9] neg_lo:[0,1] neg_hi:[0,1]
	s_wait_dscnt 0x0
	v_pk_mul_f32 v[8:9], v[4:5], v[2:3] op_sel:[0,1]
	v_pk_mul_f32 v[2:3], v[6:7], v[2:3] op_sel:[0,1]
	s_delay_alu instid0(VALU_DEP_2) | instskip(SKIP_1) | instid1(VALU_DEP_1)
	v_pk_fma_f32 v[10:11], v[4:5], v[0:1], v[8:9] op_sel:[0,0,1] op_sel_hi:[1,1,0] neg_lo:[0,0,1] neg_hi:[0,0,1]
	v_pk_fma_f32 v[4:5], v[4:5], v[0:1], v[8:9] op_sel:[0,0,1] op_sel_hi:[1,0,0]
	v_mov_b32_e32 v11, v5
	s_delay_alu instid0(VALU_DEP_4) | instskip(SKIP_1) | instid1(VALU_DEP_1)
	v_pk_fma_f32 v[4:5], v[6:7], v[0:1], v[2:3] op_sel:[0,0,1] op_sel_hi:[1,1,0] neg_lo:[0,0,1] neg_hi:[0,0,1]
	v_pk_fma_f32 v[0:1], v[6:7], v[0:1], v[2:3] op_sel:[0,0,1] op_sel_hi:[1,0,0]
	v_mov_b32_e32 v5, v1
	s_delay_alu instid0(VALU_DEP_4) | instskip(NEXT) | instid1(VALU_DEP_2)
	v_pk_add_f32 v[242:243], v[242:243], v[10:11] neg_lo:[0,1] neg_hi:[0,1]
	v_pk_add_f32 v[244:245], v[244:245], v[4:5] neg_lo:[0,1] neg_hi:[0,1]
.LBB121_28:
	s_wait_xcnt 0x0
	s_or_b32 exec_lo, exec_lo, s1
	s_delay_alu instid0(SALU_CYCLE_1)
	s_mov_b32 s2, exec_lo
	s_wait_storecnt 0x0
	s_barrier_signal -1
	s_barrier_wait -1
	v_cmpx_eq_u32_e32 3, v220
	s_cbranch_execz .LBB121_35
; %bb.29:
	v_dual_mov_b32 v0, v26 :: v_dual_mov_b32 v1, v27
	v_dual_mov_b32 v2, v22 :: v_dual_mov_b32 v3, v23
	ds_store_b64 v221, v[46:47]
	ds_store_2addr_b64 v222, v[0:1], v[2:3] offset0:4 offset1:5
	v_dual_mov_b32 v0, v24 :: v_dual_mov_b32 v1, v25
	v_dual_mov_b32 v2, v20 :: v_dual_mov_b32 v3, v21
	ds_store_2addr_b64 v222, v[0:1], v[2:3] offset0:6 offset1:7
	v_dual_mov_b32 v0, v42 :: v_dual_mov_b32 v1, v43
	v_dual_mov_b32 v2, v38 :: v_dual_mov_b32 v3, v39
	;; [unrolled: 3-line block ×27, first 2 shown]
	ds_store_2addr_b64 v222, v[0:1], v[2:3] offset0:58 offset1:59
	ds_store_b64 v222, v[244:245] offset:480
	ds_load_b64 v[0:1], v221
	s_wait_dscnt 0x0
	v_cmp_neq_f32_e32 vcc_lo, 0, v0
	v_cmp_neq_f32_e64 s1, 0, v1
	s_or_b32 s1, vcc_lo, s1
	s_delay_alu instid0(SALU_CYCLE_1)
	s_and_b32 exec_lo, exec_lo, s1
	s_cbranch_execz .LBB121_35
; %bb.30:
	v_cmp_ngt_f32_e64 s1, |v0|, |v1|
                                        ; implicit-def: $vgpr2_vgpr3
	s_and_saveexec_b32 s4, s1
	s_delay_alu instid0(SALU_CYCLE_1)
	s_xor_b32 s1, exec_lo, s4
	s_cbranch_execz .LBB121_32
; %bb.31:
	v_div_scale_f32 v2, null, v1, v1, v0
	v_div_scale_f32 v5, vcc_lo, v0, v1, v0
	s_delay_alu instid0(VALU_DEP_2) | instskip(SKIP_1) | instid1(TRANS32_DEP_1)
	v_rcp_f32_e32 v3, v2
	v_nop
	v_fma_f32 v4, -v2, v3, 1.0
	s_delay_alu instid0(VALU_DEP_1) | instskip(NEXT) | instid1(VALU_DEP_1)
	v_fmac_f32_e32 v3, v4, v3
	v_mul_f32_e32 v4, v5, v3
	s_delay_alu instid0(VALU_DEP_1) | instskip(NEXT) | instid1(VALU_DEP_1)
	v_fma_f32 v6, -v2, v4, v5
	v_fmac_f32_e32 v4, v6, v3
	s_delay_alu instid0(VALU_DEP_1) | instskip(NEXT) | instid1(VALU_DEP_1)
	v_fma_f32 v2, -v2, v4, v5
	v_div_fmas_f32 v2, v2, v3, v4
	s_delay_alu instid0(VALU_DEP_1) | instskip(NEXT) | instid1(VALU_DEP_1)
	v_div_fixup_f32 v2, v2, v1, v0
	v_fmac_f32_e32 v1, v0, v2
	s_delay_alu instid0(VALU_DEP_1) | instskip(SKIP_1) | instid1(VALU_DEP_2)
	v_div_scale_f32 v0, null, v1, v1, 1.0
	v_div_scale_f32 v5, vcc_lo, 1.0, v1, 1.0
	v_rcp_f32_e32 v3, v0
	v_nop
	s_delay_alu instid0(TRANS32_DEP_1) | instskip(NEXT) | instid1(VALU_DEP_1)
	v_fma_f32 v4, -v0, v3, 1.0
	v_fmac_f32_e32 v3, v4, v3
	s_delay_alu instid0(VALU_DEP_1) | instskip(NEXT) | instid1(VALU_DEP_1)
	v_mul_f32_e32 v4, v5, v3
	v_fma_f32 v6, -v0, v4, v5
	s_delay_alu instid0(VALU_DEP_1) | instskip(NEXT) | instid1(VALU_DEP_1)
	v_fmac_f32_e32 v4, v6, v3
	v_fma_f32 v0, -v0, v4, v5
	s_delay_alu instid0(VALU_DEP_1) | instskip(NEXT) | instid1(VALU_DEP_1)
	v_div_fmas_f32 v0, v0, v3, v4
	v_div_fixup_f32 v0, v0, v1, 1.0
	s_delay_alu instid0(VALU_DEP_1)
	v_mul_f32_e32 v2, v2, v0
	v_xor_b32_e32 v3, 0x80000000, v0
                                        ; implicit-def: $vgpr0_vgpr1
.LBB121_32:
	s_and_not1_saveexec_b32 s1, s1
	s_cbranch_execz .LBB121_34
; %bb.33:
	v_div_scale_f32 v2, null, v0, v0, v1
	v_div_scale_f32 v5, vcc_lo, v1, v0, v1
	s_delay_alu instid0(VALU_DEP_2) | instskip(SKIP_1) | instid1(TRANS32_DEP_1)
	v_rcp_f32_e32 v3, v2
	v_nop
	v_fma_f32 v4, -v2, v3, 1.0
	s_delay_alu instid0(VALU_DEP_1) | instskip(NEXT) | instid1(VALU_DEP_1)
	v_fmac_f32_e32 v3, v4, v3
	v_mul_f32_e32 v4, v5, v3
	s_delay_alu instid0(VALU_DEP_1) | instskip(NEXT) | instid1(VALU_DEP_1)
	v_fma_f32 v6, -v2, v4, v5
	v_fmac_f32_e32 v4, v6, v3
	s_delay_alu instid0(VALU_DEP_1) | instskip(NEXT) | instid1(VALU_DEP_1)
	v_fma_f32 v2, -v2, v4, v5
	v_div_fmas_f32 v2, v2, v3, v4
	s_delay_alu instid0(VALU_DEP_1) | instskip(NEXT) | instid1(VALU_DEP_1)
	v_div_fixup_f32 v3, v2, v0, v1
	v_fmac_f32_e32 v0, v1, v3
	s_delay_alu instid0(VALU_DEP_1) | instskip(NEXT) | instid1(VALU_DEP_1)
	v_div_scale_f32 v1, null, v0, v0, 1.0
	v_rcp_f32_e32 v2, v1
	v_nop
	s_delay_alu instid0(TRANS32_DEP_1) | instskip(NEXT) | instid1(VALU_DEP_1)
	v_fma_f32 v4, -v1, v2, 1.0
	v_fmac_f32_e32 v2, v4, v2
	v_div_scale_f32 v4, vcc_lo, 1.0, v0, 1.0
	s_delay_alu instid0(VALU_DEP_1) | instskip(NEXT) | instid1(VALU_DEP_1)
	v_mul_f32_e32 v5, v4, v2
	v_fma_f32 v6, -v1, v5, v4
	s_delay_alu instid0(VALU_DEP_1) | instskip(NEXT) | instid1(VALU_DEP_1)
	v_fmac_f32_e32 v5, v6, v2
	v_fma_f32 v1, -v1, v5, v4
	s_delay_alu instid0(VALU_DEP_1) | instskip(NEXT) | instid1(VALU_DEP_1)
	v_div_fmas_f32 v1, v1, v2, v5
	v_div_fixup_f32 v2, v1, v0, 1.0
	s_delay_alu instid0(VALU_DEP_1)
	v_mul_f32_e64 v3, v3, -v2
.LBB121_34:
	s_or_b32 exec_lo, exec_lo, s1
	ds_store_b64 v221, v[2:3]
.LBB121_35:
	s_or_b32 exec_lo, exec_lo, s2
	s_wait_dscnt 0x0
	s_barrier_signal -1
	s_barrier_wait -1
	ds_load_b64 v[0:1], v221
	s_mov_b32 s1, exec_lo
	s_wait_dscnt 0x0
	scratch_store_b64 off, v[0:1], off offset:472 ; 8-byte Folded Spill
	s_wait_xcnt 0x0
	v_cmpx_lt_u32_e32 3, v220
	s_cbranch_execz .LBB121_37
; %bb.36:
	scratch_load_b64 v[4:5], off, off offset:472 ; 8-byte Folded Reload
	s_wait_loadcnt 0x0
	v_pk_mul_f32 v[2:3], v[4:5], v[46:47] op_sel:[1,1] op_sel_hi:[0,1]
	s_delay_alu instid0(VALU_DEP_1)
	v_pk_fma_f32 v[0:1], v[4:5], v[46:47], v[2:3] op_sel_hi:[1,0,1] neg_lo:[0,0,1] neg_hi:[0,0,1]
	v_pk_fma_f32 v[2:3], v[4:5], v[46:47], v[2:3] op_sel_hi:[1,0,1]
	ds_load_2addr_b64 v[4:7], v222 offset0:4 offset1:5
	v_dual_mov_b32 v46, v0 :: v_dual_mov_b32 v47, v3
	s_wait_dscnt 0x0
	v_pk_mul_f32 v[8:9], v[4:5], v[2:3] op_sel:[0,1]
	s_delay_alu instid0(VALU_DEP_1) | instskip(SKIP_1) | instid1(VALU_DEP_1)
	v_pk_fma_f32 v[10:11], v[4:5], v[0:1], v[8:9] op_sel:[0,0,1] op_sel_hi:[1,1,0] neg_lo:[0,0,1] neg_hi:[0,0,1]
	v_pk_fma_f32 v[4:5], v[4:5], v[0:1], v[8:9] op_sel:[0,0,1] op_sel_hi:[1,0,0]
	v_mov_b32_e32 v11, v5
	v_pk_mul_f32 v[4:5], v[6:7], v[2:3] op_sel:[0,1]
	s_delay_alu instid0(VALU_DEP_1) | instskip(SKIP_1) | instid1(VALU_DEP_1)
	v_pk_fma_f32 v[8:9], v[6:7], v[0:1], v[4:5] op_sel:[0,0,1] op_sel_hi:[1,1,0] neg_lo:[0,0,1] neg_hi:[0,0,1]
	v_pk_fma_f32 v[4:5], v[6:7], v[0:1], v[4:5] op_sel:[0,0,1] op_sel_hi:[1,0,0]
	v_mov_b32_e32 v9, v5
	ds_load_2addr_b64 v[4:7], v222 offset0:6 offset1:7
	v_pk_add_f32 v[26:27], v[26:27], v[10:11] neg_lo:[0,1] neg_hi:[0,1]
	v_pk_add_f32 v[22:23], v[22:23], v[8:9] neg_lo:[0,1] neg_hi:[0,1]
	s_wait_dscnt 0x0
	v_pk_mul_f32 v[8:9], v[4:5], v[2:3] op_sel:[0,1]
	s_delay_alu instid0(VALU_DEP_1) | instskip(SKIP_2) | instid1(VALU_DEP_2)
	v_pk_fma_f32 v[10:11], v[4:5], v[0:1], v[8:9] op_sel:[0,0,1] op_sel_hi:[1,1,0] neg_lo:[0,0,1] neg_hi:[0,0,1]
	v_pk_fma_f32 v[4:5], v[4:5], v[0:1], v[8:9] op_sel:[0,0,1] op_sel_hi:[1,0,0]
	v_dual_mul_f32 v8, v7, v3 :: v_dual_mov_b32 v4, v7
	v_dual_mov_b32 v11, v5 :: v_dual_mov_b32 v5, v6
	s_delay_alu instid0(VALU_DEP_2) | instskip(SKIP_1) | instid1(VALU_DEP_3)
	v_pk_fma_f32 v[8:9], v[6:7], v[46:47], v[8:9] op_sel_hi:[1,1,0] neg_lo:[0,0,1] neg_hi:[0,0,1]
	v_mul_f32_e32 v6, v7, v0
	v_pk_add_f32 v[24:25], v[24:25], v[10:11] neg_lo:[0,1] neg_hi:[0,1]
	s_delay_alu instid0(VALU_DEP_2) | instskip(NEXT) | instid1(VALU_DEP_1)
	v_pk_fma_f32 v[4:5], v[4:5], v[46:47], v[6:7] op_sel_hi:[1,1,0]
	v_mov_b32_e32 v9, v5
	ds_load_2addr_b64 v[4:7], v222 offset0:8 offset1:9
	v_pk_add_f32 v[20:21], v[20:21], v[8:9] neg_lo:[0,1] neg_hi:[0,1]
	s_wait_dscnt 0x0
	v_pk_mul_f32 v[8:9], v[4:5], v[2:3] op_sel:[0,1]
	s_delay_alu instid0(VALU_DEP_1) | instskip(SKIP_1) | instid1(VALU_DEP_1)
	v_pk_fma_f32 v[10:11], v[4:5], v[0:1], v[8:9] op_sel:[0,0,1] op_sel_hi:[1,1,0] neg_lo:[0,0,1] neg_hi:[0,0,1]
	v_pk_fma_f32 v[4:5], v[4:5], v[0:1], v[8:9] op_sel:[0,0,1] op_sel_hi:[1,0,0]
	v_mov_b32_e32 v11, v5
	v_pk_mul_f32 v[4:5], v[6:7], v[2:3] op_sel:[0,1]
	s_delay_alu instid0(VALU_DEP_1) | instskip(SKIP_1) | instid1(VALU_DEP_1)
	v_pk_fma_f32 v[8:9], v[6:7], v[0:1], v[4:5] op_sel:[0,0,1] op_sel_hi:[1,1,0] neg_lo:[0,0,1] neg_hi:[0,0,1]
	v_pk_fma_f32 v[4:5], v[6:7], v[0:1], v[4:5] op_sel:[0,0,1] op_sel_hi:[1,0,0]
	v_mov_b32_e32 v9, v5
	ds_load_2addr_b64 v[4:7], v222 offset0:10 offset1:11
	v_pk_add_f32 v[42:43], v[42:43], v[10:11] neg_lo:[0,1] neg_hi:[0,1]
	v_pk_add_f32 v[38:39], v[38:39], v[8:9] neg_lo:[0,1] neg_hi:[0,1]
	s_wait_dscnt 0x0
	v_pk_mul_f32 v[8:9], v[4:5], v[2:3] op_sel:[0,1]
	s_delay_alu instid0(VALU_DEP_1) | instskip(SKIP_1) | instid1(VALU_DEP_1)
	v_pk_fma_f32 v[10:11], v[4:5], v[0:1], v[8:9] op_sel:[0,0,1] op_sel_hi:[1,1,0] neg_lo:[0,0,1] neg_hi:[0,0,1]
	v_pk_fma_f32 v[4:5], v[4:5], v[0:1], v[8:9] op_sel:[0,0,1] op_sel_hi:[1,0,0]
	v_mov_b32_e32 v11, v5
	v_pk_mul_f32 v[4:5], v[6:7], v[2:3] op_sel:[0,1]
	s_delay_alu instid0(VALU_DEP_1) | instskip(SKIP_1) | instid1(VALU_DEP_1)
	v_pk_fma_f32 v[8:9], v[6:7], v[0:1], v[4:5] op_sel:[0,0,1] op_sel_hi:[1,1,0] neg_lo:[0,0,1] neg_hi:[0,0,1]
	v_pk_fma_f32 v[4:5], v[6:7], v[0:1], v[4:5] op_sel:[0,0,1] op_sel_hi:[1,0,0]
	v_mov_b32_e32 v9, v5
	ds_load_2addr_b64 v[4:7], v222 offset0:12 offset1:13
	v_pk_add_f32 v[40:41], v[40:41], v[10:11] neg_lo:[0,1] neg_hi:[0,1]
	v_pk_add_f32 v[36:37], v[36:37], v[8:9] neg_lo:[0,1] neg_hi:[0,1]
	s_wait_dscnt 0x0
	v_dual_mul_f32 v8, v5, v3 :: v_dual_mul_f32 v10, v5, v0
	s_delay_alu instid0(VALU_DEP_1) | instskip(NEXT) | instid1(VALU_DEP_2)
	v_pk_fma_f32 v[8:9], v[4:5], v[46:47], v[8:9] op_sel_hi:[1,1,0] neg_lo:[0,0,1] neg_hi:[0,0,1]
	v_pk_fma_f32 v[4:5], v[4:5], v[46:47], v[10:11] op_sel:[1,0,0] op_sel_hi:[0,1,0]
	s_delay_alu instid0(VALU_DEP_1) | instskip(SKIP_1) | instid1(VALU_DEP_2)
	v_mov_b32_e32 v9, v5
	v_pk_mul_f32 v[4:5], v[6:7], v[2:3] op_sel:[0,1]
	v_pk_add_f32 v[66:67], v[66:67], v[8:9] neg_lo:[0,1] neg_hi:[0,1]
	s_delay_alu instid0(VALU_DEP_2) | instskip(SKIP_1) | instid1(VALU_DEP_1)
	v_pk_fma_f32 v[8:9], v[6:7], v[0:1], v[4:5] op_sel:[0,0,1] op_sel_hi:[1,1,0] neg_lo:[0,0,1] neg_hi:[0,0,1]
	v_pk_fma_f32 v[4:5], v[6:7], v[0:1], v[4:5] op_sel:[0,0,1] op_sel_hi:[1,0,0]
	v_mov_b32_e32 v9, v5
	ds_load_2addr_b64 v[4:7], v222 offset0:14 offset1:15
	v_pk_add_f32 v[62:63], v[62:63], v[8:9] neg_lo:[0,1] neg_hi:[0,1]
	s_wait_dscnt 0x0
	v_pk_mul_f32 v[8:9], v[4:5], v[2:3] op_sel:[0,1]
	s_delay_alu instid0(VALU_DEP_1) | instskip(SKIP_1) | instid1(VALU_DEP_1)
	v_pk_fma_f32 v[10:11], v[4:5], v[0:1], v[8:9] op_sel:[0,0,1] op_sel_hi:[1,1,0] neg_lo:[0,0,1] neg_hi:[0,0,1]
	v_pk_fma_f32 v[4:5], v[4:5], v[0:1], v[8:9] op_sel:[0,0,1] op_sel_hi:[1,0,0]
	v_mov_b32_e32 v11, v5
	v_pk_mul_f32 v[4:5], v[6:7], v[2:3] op_sel:[0,1]
	s_delay_alu instid0(VALU_DEP_2) | instskip(NEXT) | instid1(VALU_DEP_2)
	v_pk_add_f32 v[64:65], v[64:65], v[10:11] neg_lo:[0,1] neg_hi:[0,1]
	v_pk_fma_f32 v[8:9], v[6:7], v[0:1], v[4:5] op_sel:[0,0,1] op_sel_hi:[1,1,0] neg_lo:[0,0,1] neg_hi:[0,0,1]
	v_pk_fma_f32 v[4:5], v[6:7], v[0:1], v[4:5] op_sel:[0,0,1] op_sel_hi:[1,0,0]
	s_delay_alu instid0(VALU_DEP_1) | instskip(SKIP_4) | instid1(VALU_DEP_1)
	v_mov_b32_e32 v9, v5
	ds_load_2addr_b64 v[4:7], v222 offset0:16 offset1:17
	v_pk_add_f32 v[60:61], v[60:61], v[8:9] neg_lo:[0,1] neg_hi:[0,1]
	s_wait_dscnt 0x0
	v_pk_mul_f32 v[8:9], v[4:5], v[2:3] op_sel:[0,1]
	v_pk_fma_f32 v[10:11], v[4:5], v[0:1], v[8:9] op_sel:[0,0,1] op_sel_hi:[1,1,0] neg_lo:[0,0,1] neg_hi:[0,0,1]
	v_pk_fma_f32 v[4:5], v[4:5], v[0:1], v[8:9] op_sel:[0,0,1] op_sel_hi:[1,0,0]
	v_dual_mul_f32 v8, v7, v3 :: v_dual_mov_b32 v4, v7
	s_delay_alu instid0(VALU_DEP_2) | instskip(NEXT) | instid1(VALU_DEP_2)
	v_dual_mov_b32 v11, v5 :: v_dual_mov_b32 v5, v6
	v_pk_fma_f32 v[8:9], v[6:7], v[46:47], v[8:9] op_sel_hi:[1,1,0] neg_lo:[0,0,1] neg_hi:[0,0,1]
	v_mul_f32_e32 v6, v7, v0
	s_delay_alu instid0(VALU_DEP_3) | instskip(NEXT) | instid1(VALU_DEP_2)
	v_pk_add_f32 v[82:83], v[82:83], v[10:11] neg_lo:[0,1] neg_hi:[0,1]
	v_pk_fma_f32 v[4:5], v[4:5], v[46:47], v[6:7] op_sel_hi:[1,1,0]
	s_delay_alu instid0(VALU_DEP_1) | instskip(SKIP_4) | instid1(VALU_DEP_1)
	v_mov_b32_e32 v9, v5
	ds_load_2addr_b64 v[4:7], v222 offset0:18 offset1:19
	v_pk_add_f32 v[78:79], v[78:79], v[8:9] neg_lo:[0,1] neg_hi:[0,1]
	s_wait_dscnt 0x0
	v_pk_mul_f32 v[8:9], v[4:5], v[2:3] op_sel:[0,1]
	v_pk_fma_f32 v[10:11], v[4:5], v[0:1], v[8:9] op_sel:[0,0,1] op_sel_hi:[1,1,0] neg_lo:[0,0,1] neg_hi:[0,0,1]
	v_pk_fma_f32 v[4:5], v[4:5], v[0:1], v[8:9] op_sel:[0,0,1] op_sel_hi:[1,0,0]
	s_delay_alu instid0(VALU_DEP_1) | instskip(SKIP_1) | instid1(VALU_DEP_1)
	v_mov_b32_e32 v11, v5
	v_pk_mul_f32 v[4:5], v[6:7], v[2:3] op_sel:[0,1]
	v_pk_fma_f32 v[8:9], v[6:7], v[0:1], v[4:5] op_sel:[0,0,1] op_sel_hi:[1,1,0] neg_lo:[0,0,1] neg_hi:[0,0,1]
	v_pk_fma_f32 v[4:5], v[6:7], v[0:1], v[4:5] op_sel:[0,0,1] op_sel_hi:[1,0,0]
	s_delay_alu instid0(VALU_DEP_1)
	v_mov_b32_e32 v9, v5
	ds_load_2addr_b64 v[4:7], v222 offset0:20 offset1:21
	v_pk_add_f32 v[80:81], v[80:81], v[10:11] neg_lo:[0,1] neg_hi:[0,1]
	v_pk_add_f32 v[76:77], v[76:77], v[8:9] neg_lo:[0,1] neg_hi:[0,1]
	s_wait_dscnt 0x0
	v_pk_mul_f32 v[8:9], v[4:5], v[2:3] op_sel:[0,1]
	s_delay_alu instid0(VALU_DEP_1) | instskip(SKIP_1) | instid1(VALU_DEP_1)
	v_pk_fma_f32 v[10:11], v[4:5], v[0:1], v[8:9] op_sel:[0,0,1] op_sel_hi:[1,1,0] neg_lo:[0,0,1] neg_hi:[0,0,1]
	v_pk_fma_f32 v[4:5], v[4:5], v[0:1], v[8:9] op_sel:[0,0,1] op_sel_hi:[1,0,0]
	v_mov_b32_e32 v11, v5
	v_pk_mul_f32 v[4:5], v[6:7], v[2:3] op_sel:[0,1]
	s_delay_alu instid0(VALU_DEP_1) | instskip(SKIP_1) | instid1(VALU_DEP_1)
	v_pk_fma_f32 v[8:9], v[6:7], v[0:1], v[4:5] op_sel:[0,0,1] op_sel_hi:[1,1,0] neg_lo:[0,0,1] neg_hi:[0,0,1]
	v_pk_fma_f32 v[4:5], v[6:7], v[0:1], v[4:5] op_sel:[0,0,1] op_sel_hi:[1,0,0]
	v_mov_b32_e32 v9, v5
	ds_load_2addr_b64 v[4:7], v222 offset0:22 offset1:23
	v_pk_add_f32 v[98:99], v[98:99], v[10:11] neg_lo:[0,1] neg_hi:[0,1]
	v_pk_add_f32 v[94:95], v[94:95], v[8:9] neg_lo:[0,1] neg_hi:[0,1]
	s_wait_dscnt 0x0
	v_dual_mul_f32 v8, v5, v3 :: v_dual_mul_f32 v10, v5, v0
	s_delay_alu instid0(VALU_DEP_1) | instskip(NEXT) | instid1(VALU_DEP_2)
	v_pk_fma_f32 v[8:9], v[4:5], v[46:47], v[8:9] op_sel_hi:[1,1,0] neg_lo:[0,0,1] neg_hi:[0,0,1]
	v_pk_fma_f32 v[4:5], v[4:5], v[46:47], v[10:11] op_sel:[1,0,0] op_sel_hi:[0,1,0]
	s_delay_alu instid0(VALU_DEP_1) | instskip(SKIP_1) | instid1(VALU_DEP_2)
	v_mov_b32_e32 v9, v5
	v_pk_mul_f32 v[4:5], v[6:7], v[2:3] op_sel:[0,1]
	v_pk_add_f32 v[96:97], v[96:97], v[8:9] neg_lo:[0,1] neg_hi:[0,1]
	s_delay_alu instid0(VALU_DEP_2) | instskip(SKIP_1) | instid1(VALU_DEP_1)
	v_pk_fma_f32 v[8:9], v[6:7], v[0:1], v[4:5] op_sel:[0,0,1] op_sel_hi:[1,1,0] neg_lo:[0,0,1] neg_hi:[0,0,1]
	v_pk_fma_f32 v[4:5], v[6:7], v[0:1], v[4:5] op_sel:[0,0,1] op_sel_hi:[1,0,0]
	v_mov_b32_e32 v9, v5
	ds_load_2addr_b64 v[4:7], v222 offset0:24 offset1:25
	v_pk_add_f32 v[92:93], v[92:93], v[8:9] neg_lo:[0,1] neg_hi:[0,1]
	s_wait_dscnt 0x0
	v_pk_mul_f32 v[8:9], v[4:5], v[2:3] op_sel:[0,1]
	s_delay_alu instid0(VALU_DEP_1) | instskip(SKIP_1) | instid1(VALU_DEP_1)
	v_pk_fma_f32 v[10:11], v[4:5], v[0:1], v[8:9] op_sel:[0,0,1] op_sel_hi:[1,1,0] neg_lo:[0,0,1] neg_hi:[0,0,1]
	v_pk_fma_f32 v[4:5], v[4:5], v[0:1], v[8:9] op_sel:[0,0,1] op_sel_hi:[1,0,0]
	v_mov_b32_e32 v11, v5
	v_pk_mul_f32 v[4:5], v[6:7], v[2:3] op_sel:[0,1]
	s_delay_alu instid0(VALU_DEP_2) | instskip(NEXT) | instid1(VALU_DEP_2)
	v_pk_add_f32 v[114:115], v[114:115], v[10:11] neg_lo:[0,1] neg_hi:[0,1]
	v_pk_fma_f32 v[8:9], v[6:7], v[0:1], v[4:5] op_sel:[0,0,1] op_sel_hi:[1,1,0] neg_lo:[0,0,1] neg_hi:[0,0,1]
	v_pk_fma_f32 v[4:5], v[6:7], v[0:1], v[4:5] op_sel:[0,0,1] op_sel_hi:[1,0,0]
	s_delay_alu instid0(VALU_DEP_1) | instskip(SKIP_4) | instid1(VALU_DEP_1)
	v_mov_b32_e32 v9, v5
	ds_load_2addr_b64 v[4:7], v222 offset0:26 offset1:27
	v_pk_add_f32 v[110:111], v[110:111], v[8:9] neg_lo:[0,1] neg_hi:[0,1]
	s_wait_dscnt 0x0
	v_pk_mul_f32 v[8:9], v[4:5], v[2:3] op_sel:[0,1]
	v_pk_fma_f32 v[10:11], v[4:5], v[0:1], v[8:9] op_sel:[0,0,1] op_sel_hi:[1,1,0] neg_lo:[0,0,1] neg_hi:[0,0,1]
	v_pk_fma_f32 v[4:5], v[4:5], v[0:1], v[8:9] op_sel:[0,0,1] op_sel_hi:[1,0,0]
	v_dual_mul_f32 v8, v7, v3 :: v_dual_mov_b32 v4, v7
	s_delay_alu instid0(VALU_DEP_2) | instskip(NEXT) | instid1(VALU_DEP_2)
	v_dual_mov_b32 v11, v5 :: v_dual_mov_b32 v5, v6
	v_pk_fma_f32 v[8:9], v[6:7], v[46:47], v[8:9] op_sel_hi:[1,1,0] neg_lo:[0,0,1] neg_hi:[0,0,1]
	v_mul_f32_e32 v6, v7, v0
	s_delay_alu instid0(VALU_DEP_3) | instskip(NEXT) | instid1(VALU_DEP_2)
	v_pk_add_f32 v[112:113], v[112:113], v[10:11] neg_lo:[0,1] neg_hi:[0,1]
	v_pk_fma_f32 v[4:5], v[4:5], v[46:47], v[6:7] op_sel_hi:[1,1,0]
	s_delay_alu instid0(VALU_DEP_1) | instskip(SKIP_4) | instid1(VALU_DEP_1)
	v_mov_b32_e32 v9, v5
	ds_load_2addr_b64 v[4:7], v222 offset0:28 offset1:29
	v_pk_add_f32 v[108:109], v[108:109], v[8:9] neg_lo:[0,1] neg_hi:[0,1]
	s_wait_dscnt 0x0
	v_pk_mul_f32 v[8:9], v[4:5], v[2:3] op_sel:[0,1]
	v_pk_fma_f32 v[10:11], v[4:5], v[0:1], v[8:9] op_sel:[0,0,1] op_sel_hi:[1,1,0] neg_lo:[0,0,1] neg_hi:[0,0,1]
	v_pk_fma_f32 v[4:5], v[4:5], v[0:1], v[8:9] op_sel:[0,0,1] op_sel_hi:[1,0,0]
	s_delay_alu instid0(VALU_DEP_1) | instskip(SKIP_1) | instid1(VALU_DEP_1)
	v_mov_b32_e32 v11, v5
	v_pk_mul_f32 v[4:5], v[6:7], v[2:3] op_sel:[0,1]
	v_pk_fma_f32 v[8:9], v[6:7], v[0:1], v[4:5] op_sel:[0,0,1] op_sel_hi:[1,1,0] neg_lo:[0,0,1] neg_hi:[0,0,1]
	v_pk_fma_f32 v[4:5], v[6:7], v[0:1], v[4:5] op_sel:[0,0,1] op_sel_hi:[1,0,0]
	s_delay_alu instid0(VALU_DEP_1)
	v_mov_b32_e32 v9, v5
	ds_load_2addr_b64 v[4:7], v222 offset0:30 offset1:31
	v_pk_add_f32 v[130:131], v[130:131], v[10:11] neg_lo:[0,1] neg_hi:[0,1]
	v_pk_add_f32 v[126:127], v[126:127], v[8:9] neg_lo:[0,1] neg_hi:[0,1]
	s_wait_dscnt 0x0
	v_pk_mul_f32 v[8:9], v[4:5], v[2:3] op_sel:[0,1]
	s_delay_alu instid0(VALU_DEP_1) | instskip(SKIP_1) | instid1(VALU_DEP_1)
	v_pk_fma_f32 v[10:11], v[4:5], v[0:1], v[8:9] op_sel:[0,0,1] op_sel_hi:[1,1,0] neg_lo:[0,0,1] neg_hi:[0,0,1]
	v_pk_fma_f32 v[4:5], v[4:5], v[0:1], v[8:9] op_sel:[0,0,1] op_sel_hi:[1,0,0]
	v_mov_b32_e32 v11, v5
	v_pk_mul_f32 v[4:5], v[6:7], v[2:3] op_sel:[0,1]
	s_delay_alu instid0(VALU_DEP_1) | instskip(SKIP_1) | instid1(VALU_DEP_1)
	v_pk_fma_f32 v[8:9], v[6:7], v[0:1], v[4:5] op_sel:[0,0,1] op_sel_hi:[1,1,0] neg_lo:[0,0,1] neg_hi:[0,0,1]
	v_pk_fma_f32 v[4:5], v[6:7], v[0:1], v[4:5] op_sel:[0,0,1] op_sel_hi:[1,0,0]
	v_mov_b32_e32 v9, v5
	ds_load_2addr_b64 v[4:7], v222 offset0:32 offset1:33
	v_pk_add_f32 v[128:129], v[128:129], v[10:11] neg_lo:[0,1] neg_hi:[0,1]
	v_pk_add_f32 v[124:125], v[124:125], v[8:9] neg_lo:[0,1] neg_hi:[0,1]
	s_wait_dscnt 0x0
	v_dual_mul_f32 v8, v5, v3 :: v_dual_mul_f32 v10, v5, v0
	s_delay_alu instid0(VALU_DEP_1) | instskip(NEXT) | instid1(VALU_DEP_2)
	v_pk_fma_f32 v[8:9], v[4:5], v[46:47], v[8:9] op_sel_hi:[1,1,0] neg_lo:[0,0,1] neg_hi:[0,0,1]
	v_pk_fma_f32 v[4:5], v[4:5], v[46:47], v[10:11] op_sel:[1,0,0] op_sel_hi:[0,1,0]
	s_delay_alu instid0(VALU_DEP_1) | instskip(SKIP_1) | instid1(VALU_DEP_2)
	v_mov_b32_e32 v9, v5
	v_pk_mul_f32 v[4:5], v[6:7], v[2:3] op_sel:[0,1]
	v_pk_add_f32 v[146:147], v[146:147], v[8:9] neg_lo:[0,1] neg_hi:[0,1]
	s_delay_alu instid0(VALU_DEP_2) | instskip(SKIP_1) | instid1(VALU_DEP_1)
	v_pk_fma_f32 v[8:9], v[6:7], v[0:1], v[4:5] op_sel:[0,0,1] op_sel_hi:[1,1,0] neg_lo:[0,0,1] neg_hi:[0,0,1]
	v_pk_fma_f32 v[4:5], v[6:7], v[0:1], v[4:5] op_sel:[0,0,1] op_sel_hi:[1,0,0]
	v_mov_b32_e32 v9, v5
	ds_load_2addr_b64 v[4:7], v222 offset0:34 offset1:35
	v_pk_add_f32 v[142:143], v[142:143], v[8:9] neg_lo:[0,1] neg_hi:[0,1]
	s_wait_dscnt 0x0
	v_pk_mul_f32 v[8:9], v[4:5], v[2:3] op_sel:[0,1]
	s_delay_alu instid0(VALU_DEP_1) | instskip(SKIP_1) | instid1(VALU_DEP_1)
	v_pk_fma_f32 v[10:11], v[4:5], v[0:1], v[8:9] op_sel:[0,0,1] op_sel_hi:[1,1,0] neg_lo:[0,0,1] neg_hi:[0,0,1]
	v_pk_fma_f32 v[4:5], v[4:5], v[0:1], v[8:9] op_sel:[0,0,1] op_sel_hi:[1,0,0]
	v_mov_b32_e32 v11, v5
	v_pk_mul_f32 v[4:5], v[6:7], v[2:3] op_sel:[0,1]
	s_delay_alu instid0(VALU_DEP_2) | instskip(NEXT) | instid1(VALU_DEP_2)
	v_pk_add_f32 v[144:145], v[144:145], v[10:11] neg_lo:[0,1] neg_hi:[0,1]
	v_pk_fma_f32 v[8:9], v[6:7], v[0:1], v[4:5] op_sel:[0,0,1] op_sel_hi:[1,1,0] neg_lo:[0,0,1] neg_hi:[0,0,1]
	v_pk_fma_f32 v[4:5], v[6:7], v[0:1], v[4:5] op_sel:[0,0,1] op_sel_hi:[1,0,0]
	s_delay_alu instid0(VALU_DEP_1) | instskip(SKIP_4) | instid1(VALU_DEP_1)
	v_mov_b32_e32 v9, v5
	ds_load_2addr_b64 v[4:7], v222 offset0:36 offset1:37
	v_pk_add_f32 v[140:141], v[140:141], v[8:9] neg_lo:[0,1] neg_hi:[0,1]
	s_wait_dscnt 0x0
	v_pk_mul_f32 v[8:9], v[4:5], v[2:3] op_sel:[0,1]
	v_pk_fma_f32 v[10:11], v[4:5], v[0:1], v[8:9] op_sel:[0,0,1] op_sel_hi:[1,1,0] neg_lo:[0,0,1] neg_hi:[0,0,1]
	v_pk_fma_f32 v[4:5], v[4:5], v[0:1], v[8:9] op_sel:[0,0,1] op_sel_hi:[1,0,0]
	v_dual_mul_f32 v8, v7, v3 :: v_dual_mov_b32 v4, v7
	s_delay_alu instid0(VALU_DEP_2) | instskip(NEXT) | instid1(VALU_DEP_2)
	v_dual_mov_b32 v11, v5 :: v_dual_mov_b32 v5, v6
	v_pk_fma_f32 v[8:9], v[6:7], v[46:47], v[8:9] op_sel_hi:[1,1,0] neg_lo:[0,0,1] neg_hi:[0,0,1]
	v_mul_f32_e32 v6, v7, v0
	s_delay_alu instid0(VALU_DEP_3) | instskip(NEXT) | instid1(VALU_DEP_2)
	v_pk_add_f32 v[162:163], v[162:163], v[10:11] neg_lo:[0,1] neg_hi:[0,1]
	v_pk_fma_f32 v[4:5], v[4:5], v[46:47], v[6:7] op_sel_hi:[1,1,0]
	s_delay_alu instid0(VALU_DEP_1) | instskip(SKIP_4) | instid1(VALU_DEP_1)
	v_mov_b32_e32 v9, v5
	ds_load_2addr_b64 v[4:7], v222 offset0:38 offset1:39
	v_pk_add_f32 v[158:159], v[158:159], v[8:9] neg_lo:[0,1] neg_hi:[0,1]
	s_wait_dscnt 0x0
	v_pk_mul_f32 v[8:9], v[4:5], v[2:3] op_sel:[0,1]
	v_pk_fma_f32 v[10:11], v[4:5], v[0:1], v[8:9] op_sel:[0,0,1] op_sel_hi:[1,1,0] neg_lo:[0,0,1] neg_hi:[0,0,1]
	v_pk_fma_f32 v[4:5], v[4:5], v[0:1], v[8:9] op_sel:[0,0,1] op_sel_hi:[1,0,0]
	s_delay_alu instid0(VALU_DEP_1) | instskip(SKIP_1) | instid1(VALU_DEP_1)
	v_mov_b32_e32 v11, v5
	v_pk_mul_f32 v[4:5], v[6:7], v[2:3] op_sel:[0,1]
	v_pk_fma_f32 v[8:9], v[6:7], v[0:1], v[4:5] op_sel:[0,0,1] op_sel_hi:[1,1,0] neg_lo:[0,0,1] neg_hi:[0,0,1]
	v_pk_fma_f32 v[4:5], v[6:7], v[0:1], v[4:5] op_sel:[0,0,1] op_sel_hi:[1,0,0]
	s_delay_alu instid0(VALU_DEP_1)
	v_mov_b32_e32 v9, v5
	ds_load_2addr_b64 v[4:7], v222 offset0:40 offset1:41
	v_pk_add_f32 v[160:161], v[160:161], v[10:11] neg_lo:[0,1] neg_hi:[0,1]
	v_pk_add_f32 v[156:157], v[156:157], v[8:9] neg_lo:[0,1] neg_hi:[0,1]
	s_wait_dscnt 0x0
	v_pk_mul_f32 v[8:9], v[4:5], v[2:3] op_sel:[0,1]
	s_delay_alu instid0(VALU_DEP_1) | instskip(SKIP_1) | instid1(VALU_DEP_1)
	v_pk_fma_f32 v[10:11], v[4:5], v[0:1], v[8:9] op_sel:[0,0,1] op_sel_hi:[1,1,0] neg_lo:[0,0,1] neg_hi:[0,0,1]
	v_pk_fma_f32 v[4:5], v[4:5], v[0:1], v[8:9] op_sel:[0,0,1] op_sel_hi:[1,0,0]
	v_mov_b32_e32 v11, v5
	v_pk_mul_f32 v[4:5], v[6:7], v[2:3] op_sel:[0,1]
	s_delay_alu instid0(VALU_DEP_1) | instskip(SKIP_1) | instid1(VALU_DEP_1)
	v_pk_fma_f32 v[8:9], v[6:7], v[0:1], v[4:5] op_sel:[0,0,1] op_sel_hi:[1,1,0] neg_lo:[0,0,1] neg_hi:[0,0,1]
	v_pk_fma_f32 v[4:5], v[6:7], v[0:1], v[4:5] op_sel:[0,0,1] op_sel_hi:[1,0,0]
	v_mov_b32_e32 v9, v5
	ds_load_2addr_b64 v[4:7], v222 offset0:42 offset1:43
	v_pk_add_f32 v[178:179], v[178:179], v[10:11] neg_lo:[0,1] neg_hi:[0,1]
	v_pk_add_f32 v[174:175], v[174:175], v[8:9] neg_lo:[0,1] neg_hi:[0,1]
	s_wait_dscnt 0x0
	v_dual_mul_f32 v8, v5, v3 :: v_dual_mul_f32 v10, v5, v0
	s_delay_alu instid0(VALU_DEP_1) | instskip(NEXT) | instid1(VALU_DEP_2)
	v_pk_fma_f32 v[8:9], v[4:5], v[46:47], v[8:9] op_sel_hi:[1,1,0] neg_lo:[0,0,1] neg_hi:[0,0,1]
	v_pk_fma_f32 v[4:5], v[4:5], v[46:47], v[10:11] op_sel:[1,0,0] op_sel_hi:[0,1,0]
	s_delay_alu instid0(VALU_DEP_1) | instskip(SKIP_1) | instid1(VALU_DEP_2)
	v_mov_b32_e32 v9, v5
	v_pk_mul_f32 v[4:5], v[6:7], v[2:3] op_sel:[0,1]
	v_pk_add_f32 v[176:177], v[176:177], v[8:9] neg_lo:[0,1] neg_hi:[0,1]
	s_delay_alu instid0(VALU_DEP_2) | instskip(SKIP_1) | instid1(VALU_DEP_1)
	v_pk_fma_f32 v[8:9], v[6:7], v[0:1], v[4:5] op_sel:[0,0,1] op_sel_hi:[1,1,0] neg_lo:[0,0,1] neg_hi:[0,0,1]
	v_pk_fma_f32 v[4:5], v[6:7], v[0:1], v[4:5] op_sel:[0,0,1] op_sel_hi:[1,0,0]
	v_mov_b32_e32 v9, v5
	ds_load_2addr_b64 v[4:7], v222 offset0:44 offset1:45
	v_pk_add_f32 v[172:173], v[172:173], v[8:9] neg_lo:[0,1] neg_hi:[0,1]
	s_wait_dscnt 0x0
	v_pk_mul_f32 v[8:9], v[4:5], v[2:3] op_sel:[0,1]
	s_delay_alu instid0(VALU_DEP_1) | instskip(SKIP_1) | instid1(VALU_DEP_1)
	v_pk_fma_f32 v[10:11], v[4:5], v[0:1], v[8:9] op_sel:[0,0,1] op_sel_hi:[1,1,0] neg_lo:[0,0,1] neg_hi:[0,0,1]
	v_pk_fma_f32 v[4:5], v[4:5], v[0:1], v[8:9] op_sel:[0,0,1] op_sel_hi:[1,0,0]
	v_mov_b32_e32 v11, v5
	v_pk_mul_f32 v[4:5], v[6:7], v[2:3] op_sel:[0,1]
	s_delay_alu instid0(VALU_DEP_2) | instskip(NEXT) | instid1(VALU_DEP_2)
	v_pk_add_f32 v[194:195], v[194:195], v[10:11] neg_lo:[0,1] neg_hi:[0,1]
	v_pk_fma_f32 v[8:9], v[6:7], v[0:1], v[4:5] op_sel:[0,0,1] op_sel_hi:[1,1,0] neg_lo:[0,0,1] neg_hi:[0,0,1]
	v_pk_fma_f32 v[4:5], v[6:7], v[0:1], v[4:5] op_sel:[0,0,1] op_sel_hi:[1,0,0]
	s_delay_alu instid0(VALU_DEP_1) | instskip(SKIP_4) | instid1(VALU_DEP_1)
	v_mov_b32_e32 v9, v5
	ds_load_2addr_b64 v[4:7], v222 offset0:46 offset1:47
	v_pk_add_f32 v[190:191], v[190:191], v[8:9] neg_lo:[0,1] neg_hi:[0,1]
	s_wait_dscnt 0x0
	v_pk_mul_f32 v[8:9], v[4:5], v[2:3] op_sel:[0,1]
	v_pk_fma_f32 v[10:11], v[4:5], v[0:1], v[8:9] op_sel:[0,0,1] op_sel_hi:[1,1,0] neg_lo:[0,0,1] neg_hi:[0,0,1]
	v_pk_fma_f32 v[4:5], v[4:5], v[0:1], v[8:9] op_sel:[0,0,1] op_sel_hi:[1,0,0]
	v_dual_mul_f32 v8, v7, v3 :: v_dual_mov_b32 v4, v7
	s_delay_alu instid0(VALU_DEP_2) | instskip(NEXT) | instid1(VALU_DEP_2)
	v_dual_mov_b32 v11, v5 :: v_dual_mov_b32 v5, v6
	v_pk_fma_f32 v[8:9], v[6:7], v[46:47], v[8:9] op_sel_hi:[1,1,0] neg_lo:[0,0,1] neg_hi:[0,0,1]
	v_mul_f32_e32 v6, v7, v0
	s_delay_alu instid0(VALU_DEP_3) | instskip(NEXT) | instid1(VALU_DEP_2)
	v_pk_add_f32 v[192:193], v[192:193], v[10:11] neg_lo:[0,1] neg_hi:[0,1]
	v_pk_fma_f32 v[4:5], v[4:5], v[46:47], v[6:7] op_sel_hi:[1,1,0]
	s_delay_alu instid0(VALU_DEP_1) | instskip(SKIP_4) | instid1(VALU_DEP_1)
	v_mov_b32_e32 v9, v5
	ds_load_2addr_b64 v[4:7], v222 offset0:48 offset1:49
	v_pk_add_f32 v[188:189], v[188:189], v[8:9] neg_lo:[0,1] neg_hi:[0,1]
	s_wait_dscnt 0x0
	v_pk_mul_f32 v[8:9], v[4:5], v[2:3] op_sel:[0,1]
	v_pk_fma_f32 v[10:11], v[4:5], v[0:1], v[8:9] op_sel:[0,0,1] op_sel_hi:[1,1,0] neg_lo:[0,0,1] neg_hi:[0,0,1]
	v_pk_fma_f32 v[4:5], v[4:5], v[0:1], v[8:9] op_sel:[0,0,1] op_sel_hi:[1,0,0]
	s_delay_alu instid0(VALU_DEP_1) | instskip(SKIP_1) | instid1(VALU_DEP_1)
	v_mov_b32_e32 v11, v5
	v_pk_mul_f32 v[4:5], v[6:7], v[2:3] op_sel:[0,1]
	v_pk_fma_f32 v[8:9], v[6:7], v[0:1], v[4:5] op_sel:[0,0,1] op_sel_hi:[1,1,0] neg_lo:[0,0,1] neg_hi:[0,0,1]
	v_pk_fma_f32 v[4:5], v[6:7], v[0:1], v[4:5] op_sel:[0,0,1] op_sel_hi:[1,0,0]
	s_delay_alu instid0(VALU_DEP_1)
	v_mov_b32_e32 v9, v5
	ds_load_2addr_b64 v[4:7], v222 offset0:50 offset1:51
	v_pk_add_f32 v[216:217], v[216:217], v[10:11] neg_lo:[0,1] neg_hi:[0,1]
	v_pk_add_f32 v[212:213], v[212:213], v[8:9] neg_lo:[0,1] neg_hi:[0,1]
	s_wait_dscnt 0x0
	v_pk_mul_f32 v[8:9], v[4:5], v[2:3] op_sel:[0,1]
	s_delay_alu instid0(VALU_DEP_1) | instskip(SKIP_1) | instid1(VALU_DEP_1)
	v_pk_fma_f32 v[10:11], v[4:5], v[0:1], v[8:9] op_sel:[0,0,1] op_sel_hi:[1,1,0] neg_lo:[0,0,1] neg_hi:[0,0,1]
	v_pk_fma_f32 v[4:5], v[4:5], v[0:1], v[8:9] op_sel:[0,0,1] op_sel_hi:[1,0,0]
	v_mov_b32_e32 v11, v5
	v_pk_mul_f32 v[4:5], v[6:7], v[2:3] op_sel:[0,1]
	s_delay_alu instid0(VALU_DEP_1) | instskip(SKIP_1) | instid1(VALU_DEP_1)
	v_pk_fma_f32 v[8:9], v[6:7], v[0:1], v[4:5] op_sel:[0,0,1] op_sel_hi:[1,1,0] neg_lo:[0,0,1] neg_hi:[0,0,1]
	v_pk_fma_f32 v[4:5], v[6:7], v[0:1], v[4:5] op_sel:[0,0,1] op_sel_hi:[1,0,0]
	v_mov_b32_e32 v9, v5
	ds_load_2addr_b64 v[4:7], v222 offset0:52 offset1:53
	v_pk_add_f32 v[214:215], v[214:215], v[10:11] neg_lo:[0,1] neg_hi:[0,1]
	v_pk_add_f32 v[210:211], v[210:211], v[8:9] neg_lo:[0,1] neg_hi:[0,1]
	s_wait_dscnt 0x0
	v_dual_mul_f32 v8, v5, v3 :: v_dual_mul_f32 v10, v5, v0
	s_delay_alu instid0(VALU_DEP_1) | instskip(NEXT) | instid1(VALU_DEP_2)
	v_pk_fma_f32 v[8:9], v[4:5], v[46:47], v[8:9] op_sel_hi:[1,1,0] neg_lo:[0,0,1] neg_hi:[0,0,1]
	v_pk_fma_f32 v[4:5], v[4:5], v[46:47], v[10:11] op_sel:[1,0,0] op_sel_hi:[0,1,0]
	s_delay_alu instid0(VALU_DEP_1) | instskip(SKIP_1) | instid1(VALU_DEP_2)
	v_mov_b32_e32 v9, v5
	v_pk_mul_f32 v[4:5], v[6:7], v[2:3] op_sel:[0,1]
	v_pk_add_f32 v[240:241], v[240:241], v[8:9] neg_lo:[0,1] neg_hi:[0,1]
	s_delay_alu instid0(VALU_DEP_2) | instskip(SKIP_1) | instid1(VALU_DEP_1)
	v_pk_fma_f32 v[8:9], v[6:7], v[0:1], v[4:5] op_sel:[0,0,1] op_sel_hi:[1,1,0] neg_lo:[0,0,1] neg_hi:[0,0,1]
	v_pk_fma_f32 v[4:5], v[6:7], v[0:1], v[4:5] op_sel:[0,0,1] op_sel_hi:[1,0,0]
	v_mov_b32_e32 v9, v5
	ds_load_2addr_b64 v[4:7], v222 offset0:54 offset1:55
	v_pk_add_f32 v[232:233], v[232:233], v[8:9] neg_lo:[0,1] neg_hi:[0,1]
	s_wait_dscnt 0x0
	v_pk_mul_f32 v[8:9], v[4:5], v[2:3] op_sel:[0,1]
	s_delay_alu instid0(VALU_DEP_1) | instskip(SKIP_1) | instid1(VALU_DEP_1)
	v_pk_fma_f32 v[10:11], v[4:5], v[0:1], v[8:9] op_sel:[0,0,1] op_sel_hi:[1,1,0] neg_lo:[0,0,1] neg_hi:[0,0,1]
	v_pk_fma_f32 v[4:5], v[4:5], v[0:1], v[8:9] op_sel:[0,0,1] op_sel_hi:[1,0,0]
	v_mov_b32_e32 v11, v5
	v_pk_mul_f32 v[4:5], v[6:7], v[2:3] op_sel:[0,1]
	s_delay_alu instid0(VALU_DEP_2) | instskip(NEXT) | instid1(VALU_DEP_2)
	v_pk_add_f32 v[238:239], v[238:239], v[10:11] neg_lo:[0,1] neg_hi:[0,1]
	v_pk_fma_f32 v[8:9], v[6:7], v[0:1], v[4:5] op_sel:[0,0,1] op_sel_hi:[1,1,0] neg_lo:[0,0,1] neg_hi:[0,0,1]
	v_pk_fma_f32 v[4:5], v[6:7], v[0:1], v[4:5] op_sel:[0,0,1] op_sel_hi:[1,0,0]
	s_delay_alu instid0(VALU_DEP_1) | instskip(SKIP_4) | instid1(VALU_DEP_1)
	v_mov_b32_e32 v9, v5
	ds_load_2addr_b64 v[4:7], v222 offset0:56 offset1:57
	v_pk_add_f32 v[230:231], v[230:231], v[8:9] neg_lo:[0,1] neg_hi:[0,1]
	s_wait_dscnt 0x0
	v_pk_mul_f32 v[8:9], v[4:5], v[2:3] op_sel:[0,1]
	v_pk_fma_f32 v[10:11], v[4:5], v[0:1], v[8:9] op_sel:[0,0,1] op_sel_hi:[1,1,0] neg_lo:[0,0,1] neg_hi:[0,0,1]
	v_pk_fma_f32 v[4:5], v[4:5], v[0:1], v[8:9] op_sel:[0,0,1] op_sel_hi:[1,0,0]
	v_dual_mul_f32 v8, v7, v3 :: v_dual_mov_b32 v4, v7
	s_delay_alu instid0(VALU_DEP_2) | instskip(NEXT) | instid1(VALU_DEP_2)
	v_dual_mov_b32 v11, v5 :: v_dual_mov_b32 v5, v6
	v_pk_fma_f32 v[8:9], v[6:7], v[46:47], v[8:9] op_sel_hi:[1,1,0] neg_lo:[0,0,1] neg_hi:[0,0,1]
	v_mul_f32_e32 v6, v7, v0
	s_delay_alu instid0(VALU_DEP_3) | instskip(NEXT) | instid1(VALU_DEP_2)
	v_pk_add_f32 v[236:237], v[236:237], v[10:11] neg_lo:[0,1] neg_hi:[0,1]
	v_pk_fma_f32 v[4:5], v[4:5], v[46:47], v[6:7] op_sel_hi:[1,1,0]
	s_delay_alu instid0(VALU_DEP_1) | instskip(SKIP_4) | instid1(VALU_DEP_1)
	v_mov_b32_e32 v9, v5
	ds_load_2addr_b64 v[4:7], v222 offset0:58 offset1:59
	v_pk_add_f32 v[228:229], v[228:229], v[8:9] neg_lo:[0,1] neg_hi:[0,1]
	s_wait_dscnt 0x0
	v_pk_mul_f32 v[8:9], v[4:5], v[2:3] op_sel:[0,1]
	v_pk_fma_f32 v[10:11], v[4:5], v[0:1], v[8:9] op_sel:[0,0,1] op_sel_hi:[1,1,0] neg_lo:[0,0,1] neg_hi:[0,0,1]
	v_pk_fma_f32 v[4:5], v[4:5], v[0:1], v[8:9] op_sel:[0,0,1] op_sel_hi:[1,0,0]
	s_delay_alu instid0(VALU_DEP_1) | instskip(SKIP_1) | instid1(VALU_DEP_1)
	v_mov_b32_e32 v11, v5
	v_pk_mul_f32 v[4:5], v[6:7], v[2:3] op_sel:[0,1]
	v_pk_fma_f32 v[8:9], v[6:7], v[0:1], v[4:5] op_sel:[0,0,1] op_sel_hi:[1,1,0] neg_lo:[0,0,1] neg_hi:[0,0,1]
	v_pk_fma_f32 v[4:5], v[6:7], v[0:1], v[4:5] op_sel:[0,0,1] op_sel_hi:[1,0,0]
	s_delay_alu instid0(VALU_DEP_1)
	v_mov_b32_e32 v9, v5
	ds_load_b64 v[4:5], v222 offset:480
	v_pk_add_f32 v[234:235], v[234:235], v[10:11] neg_lo:[0,1] neg_hi:[0,1]
	v_pk_add_f32 v[242:243], v[242:243], v[8:9] neg_lo:[0,1] neg_hi:[0,1]
	s_wait_dscnt 0x0
	v_pk_mul_f32 v[2:3], v[4:5], v[2:3] op_sel:[0,1]
	s_delay_alu instid0(VALU_DEP_1) | instskip(SKIP_1) | instid1(VALU_DEP_1)
	v_pk_fma_f32 v[6:7], v[4:5], v[0:1], v[2:3] op_sel:[0,0,1] op_sel_hi:[1,1,0] neg_lo:[0,0,1] neg_hi:[0,0,1]
	v_pk_fma_f32 v[0:1], v[4:5], v[0:1], v[2:3] op_sel:[0,0,1] op_sel_hi:[1,0,0]
	v_mov_b32_e32 v7, v1
	s_delay_alu instid0(VALU_DEP_1)
	v_pk_add_f32 v[244:245], v[244:245], v[6:7] neg_lo:[0,1] neg_hi:[0,1]
.LBB121_37:
	s_wait_xcnt 0x0
	s_or_b32 exec_lo, exec_lo, s1
	s_delay_alu instid0(SALU_CYCLE_1)
	s_mov_b32 s2, exec_lo
	s_wait_storecnt 0x0
	s_barrier_signal -1
	s_barrier_wait -1
	v_cmpx_eq_u32_e32 4, v220
	s_cbranch_execz .LBB121_44
; %bb.38:
	ds_store_b64 v221, v[26:27]
	ds_store_2addr_b64 v222, v[22:23], v[24:25] offset0:5 offset1:6
	ds_store_2addr_b64 v222, v[20:21], v[42:43] offset0:7 offset1:8
	;; [unrolled: 1-line block ×28, first 2 shown]
	ds_load_b64 v[0:1], v221
	s_wait_dscnt 0x0
	v_cmp_neq_f32_e32 vcc_lo, 0, v0
	v_cmp_neq_f32_e64 s1, 0, v1
	s_or_b32 s1, vcc_lo, s1
	s_delay_alu instid0(SALU_CYCLE_1)
	s_and_b32 exec_lo, exec_lo, s1
	s_cbranch_execz .LBB121_44
; %bb.39:
	v_cmp_ngt_f32_e64 s1, |v0|, |v1|
                                        ; implicit-def: $vgpr2_vgpr3
	s_and_saveexec_b32 s4, s1
	s_delay_alu instid0(SALU_CYCLE_1)
	s_xor_b32 s1, exec_lo, s4
	s_cbranch_execz .LBB121_41
; %bb.40:
	v_div_scale_f32 v2, null, v1, v1, v0
	v_div_scale_f32 v5, vcc_lo, v0, v1, v0
	s_delay_alu instid0(VALU_DEP_2) | instskip(SKIP_1) | instid1(TRANS32_DEP_1)
	v_rcp_f32_e32 v3, v2
	v_nop
	v_fma_f32 v4, -v2, v3, 1.0
	s_delay_alu instid0(VALU_DEP_1) | instskip(NEXT) | instid1(VALU_DEP_1)
	v_fmac_f32_e32 v3, v4, v3
	v_mul_f32_e32 v4, v5, v3
	s_delay_alu instid0(VALU_DEP_1) | instskip(NEXT) | instid1(VALU_DEP_1)
	v_fma_f32 v6, -v2, v4, v5
	v_fmac_f32_e32 v4, v6, v3
	s_delay_alu instid0(VALU_DEP_1) | instskip(NEXT) | instid1(VALU_DEP_1)
	v_fma_f32 v2, -v2, v4, v5
	v_div_fmas_f32 v2, v2, v3, v4
	s_delay_alu instid0(VALU_DEP_1) | instskip(NEXT) | instid1(VALU_DEP_1)
	v_div_fixup_f32 v2, v2, v1, v0
	v_fmac_f32_e32 v1, v0, v2
	s_delay_alu instid0(VALU_DEP_1) | instskip(SKIP_1) | instid1(VALU_DEP_2)
	v_div_scale_f32 v0, null, v1, v1, 1.0
	v_div_scale_f32 v5, vcc_lo, 1.0, v1, 1.0
	v_rcp_f32_e32 v3, v0
	v_nop
	s_delay_alu instid0(TRANS32_DEP_1) | instskip(NEXT) | instid1(VALU_DEP_1)
	v_fma_f32 v4, -v0, v3, 1.0
	v_fmac_f32_e32 v3, v4, v3
	s_delay_alu instid0(VALU_DEP_1) | instskip(NEXT) | instid1(VALU_DEP_1)
	v_mul_f32_e32 v4, v5, v3
	v_fma_f32 v6, -v0, v4, v5
	s_delay_alu instid0(VALU_DEP_1) | instskip(NEXT) | instid1(VALU_DEP_1)
	v_fmac_f32_e32 v4, v6, v3
	v_fma_f32 v0, -v0, v4, v5
	s_delay_alu instid0(VALU_DEP_1) | instskip(NEXT) | instid1(VALU_DEP_1)
	v_div_fmas_f32 v0, v0, v3, v4
	v_div_fixup_f32 v0, v0, v1, 1.0
	s_delay_alu instid0(VALU_DEP_1)
	v_mul_f32_e32 v2, v2, v0
	v_xor_b32_e32 v3, 0x80000000, v0
                                        ; implicit-def: $vgpr0_vgpr1
.LBB121_41:
	s_and_not1_saveexec_b32 s1, s1
	s_cbranch_execz .LBB121_43
; %bb.42:
	v_div_scale_f32 v2, null, v0, v0, v1
	v_div_scale_f32 v5, vcc_lo, v1, v0, v1
	s_delay_alu instid0(VALU_DEP_2) | instskip(SKIP_1) | instid1(TRANS32_DEP_1)
	v_rcp_f32_e32 v3, v2
	v_nop
	v_fma_f32 v4, -v2, v3, 1.0
	s_delay_alu instid0(VALU_DEP_1) | instskip(NEXT) | instid1(VALU_DEP_1)
	v_fmac_f32_e32 v3, v4, v3
	v_mul_f32_e32 v4, v5, v3
	s_delay_alu instid0(VALU_DEP_1) | instskip(NEXT) | instid1(VALU_DEP_1)
	v_fma_f32 v6, -v2, v4, v5
	v_fmac_f32_e32 v4, v6, v3
	s_delay_alu instid0(VALU_DEP_1) | instskip(NEXT) | instid1(VALU_DEP_1)
	v_fma_f32 v2, -v2, v4, v5
	v_div_fmas_f32 v2, v2, v3, v4
	s_delay_alu instid0(VALU_DEP_1) | instskip(NEXT) | instid1(VALU_DEP_1)
	v_div_fixup_f32 v3, v2, v0, v1
	v_fmac_f32_e32 v0, v1, v3
	s_delay_alu instid0(VALU_DEP_1) | instskip(NEXT) | instid1(VALU_DEP_1)
	v_div_scale_f32 v1, null, v0, v0, 1.0
	v_rcp_f32_e32 v2, v1
	v_nop
	s_delay_alu instid0(TRANS32_DEP_1) | instskip(NEXT) | instid1(VALU_DEP_1)
	v_fma_f32 v4, -v1, v2, 1.0
	v_fmac_f32_e32 v2, v4, v2
	v_div_scale_f32 v4, vcc_lo, 1.0, v0, 1.0
	s_delay_alu instid0(VALU_DEP_1) | instskip(NEXT) | instid1(VALU_DEP_1)
	v_mul_f32_e32 v5, v4, v2
	v_fma_f32 v6, -v1, v5, v4
	s_delay_alu instid0(VALU_DEP_1) | instskip(NEXT) | instid1(VALU_DEP_1)
	v_fmac_f32_e32 v5, v6, v2
	v_fma_f32 v1, -v1, v5, v4
	s_delay_alu instid0(VALU_DEP_1) | instskip(NEXT) | instid1(VALU_DEP_1)
	v_div_fmas_f32 v1, v1, v2, v5
	v_div_fixup_f32 v2, v1, v0, 1.0
	s_delay_alu instid0(VALU_DEP_1)
	v_mul_f32_e64 v3, v3, -v2
.LBB121_43:
	s_or_b32 exec_lo, exec_lo, s1
	ds_store_b64 v221, v[2:3]
.LBB121_44:
	s_or_b32 exec_lo, exec_lo, s2
	s_wait_dscnt 0x0
	s_barrier_signal -1
	s_barrier_wait -1
	ds_load_b64 v[0:1], v221
	s_mov_b32 s1, exec_lo
	s_wait_dscnt 0x0
	scratch_store_b64 off, v[0:1], off offset:480 ; 8-byte Folded Spill
	s_wait_xcnt 0x0
	v_cmpx_lt_u32_e32 4, v220
	s_cbranch_execz .LBB121_46
; %bb.45:
	scratch_load_b64 v[4:5], off, off offset:480 ; 8-byte Folded Reload
	s_wait_loadcnt 0x0
	v_pk_mul_f32 v[2:3], v[4:5], v[26:27] op_sel:[1,1] op_sel_hi:[0,1]
	s_delay_alu instid0(VALU_DEP_1)
	v_pk_fma_f32 v[0:1], v[4:5], v[26:27], v[2:3] op_sel_hi:[1,0,1] neg_lo:[0,0,1] neg_hi:[0,0,1]
	v_pk_fma_f32 v[2:3], v[4:5], v[26:27], v[2:3] op_sel_hi:[1,0,1]
	ds_load_2addr_b64 v[4:7], v222 offset0:5 offset1:6
	v_dual_mov_b32 v26, v0 :: v_dual_mov_b32 v27, v3
	s_wait_dscnt 0x0
	v_pk_mul_f32 v[8:9], v[4:5], v[2:3] op_sel:[0,1]
	s_delay_alu instid0(VALU_DEP_1) | instskip(SKIP_1) | instid1(VALU_DEP_1)
	v_pk_fma_f32 v[10:11], v[4:5], v[0:1], v[8:9] op_sel:[0,0,1] op_sel_hi:[1,1,0] neg_lo:[0,0,1] neg_hi:[0,0,1]
	v_pk_fma_f32 v[4:5], v[4:5], v[0:1], v[8:9] op_sel:[0,0,1] op_sel_hi:[1,0,0]
	v_mov_b32_e32 v11, v5
	v_pk_mul_f32 v[4:5], v[6:7], v[2:3] op_sel:[0,1]
	s_delay_alu instid0(VALU_DEP_1) | instskip(SKIP_1) | instid1(VALU_DEP_1)
	v_pk_fma_f32 v[8:9], v[6:7], v[0:1], v[4:5] op_sel:[0,0,1] op_sel_hi:[1,1,0] neg_lo:[0,0,1] neg_hi:[0,0,1]
	v_pk_fma_f32 v[4:5], v[6:7], v[0:1], v[4:5] op_sel:[0,0,1] op_sel_hi:[1,0,0]
	v_mov_b32_e32 v9, v5
	ds_load_2addr_b64 v[4:7], v222 offset0:7 offset1:8
	v_pk_add_f32 v[22:23], v[22:23], v[10:11] neg_lo:[0,1] neg_hi:[0,1]
	v_pk_add_f32 v[24:25], v[24:25], v[8:9] neg_lo:[0,1] neg_hi:[0,1]
	s_wait_dscnt 0x0
	v_pk_mul_f32 v[8:9], v[4:5], v[2:3] op_sel:[0,1]
	s_delay_alu instid0(VALU_DEP_1) | instskip(SKIP_2) | instid1(VALU_DEP_2)
	v_pk_fma_f32 v[10:11], v[4:5], v[0:1], v[8:9] op_sel:[0,0,1] op_sel_hi:[1,1,0] neg_lo:[0,0,1] neg_hi:[0,0,1]
	v_pk_fma_f32 v[4:5], v[4:5], v[0:1], v[8:9] op_sel:[0,0,1] op_sel_hi:[1,0,0]
	v_dual_mul_f32 v8, v7, v3 :: v_dual_mov_b32 v4, v7
	v_dual_mov_b32 v11, v5 :: v_dual_mov_b32 v5, v6
	s_delay_alu instid0(VALU_DEP_2) | instskip(SKIP_1) | instid1(VALU_DEP_3)
	v_pk_fma_f32 v[8:9], v[6:7], v[26:27], v[8:9] op_sel_hi:[1,1,0] neg_lo:[0,0,1] neg_hi:[0,0,1]
	v_mul_f32_e32 v6, v7, v0
	v_pk_add_f32 v[20:21], v[20:21], v[10:11] neg_lo:[0,1] neg_hi:[0,1]
	s_delay_alu instid0(VALU_DEP_2) | instskip(NEXT) | instid1(VALU_DEP_1)
	v_pk_fma_f32 v[4:5], v[4:5], v[26:27], v[6:7] op_sel_hi:[1,1,0]
	v_mov_b32_e32 v9, v5
	ds_load_2addr_b64 v[4:7], v222 offset0:9 offset1:10
	v_pk_add_f32 v[42:43], v[42:43], v[8:9] neg_lo:[0,1] neg_hi:[0,1]
	s_wait_dscnt 0x0
	v_pk_mul_f32 v[8:9], v[4:5], v[2:3] op_sel:[0,1]
	s_delay_alu instid0(VALU_DEP_1) | instskip(SKIP_1) | instid1(VALU_DEP_1)
	v_pk_fma_f32 v[10:11], v[4:5], v[0:1], v[8:9] op_sel:[0,0,1] op_sel_hi:[1,1,0] neg_lo:[0,0,1] neg_hi:[0,0,1]
	v_pk_fma_f32 v[4:5], v[4:5], v[0:1], v[8:9] op_sel:[0,0,1] op_sel_hi:[1,0,0]
	v_mov_b32_e32 v11, v5
	v_pk_mul_f32 v[4:5], v[6:7], v[2:3] op_sel:[0,1]
	s_delay_alu instid0(VALU_DEP_1) | instskip(SKIP_1) | instid1(VALU_DEP_1)
	v_pk_fma_f32 v[8:9], v[6:7], v[0:1], v[4:5] op_sel:[0,0,1] op_sel_hi:[1,1,0] neg_lo:[0,0,1] neg_hi:[0,0,1]
	v_pk_fma_f32 v[4:5], v[6:7], v[0:1], v[4:5] op_sel:[0,0,1] op_sel_hi:[1,0,0]
	v_mov_b32_e32 v9, v5
	ds_load_2addr_b64 v[4:7], v222 offset0:11 offset1:12
	v_pk_add_f32 v[38:39], v[38:39], v[10:11] neg_lo:[0,1] neg_hi:[0,1]
	v_pk_add_f32 v[40:41], v[40:41], v[8:9] neg_lo:[0,1] neg_hi:[0,1]
	s_wait_dscnt 0x0
	v_pk_mul_f32 v[8:9], v[4:5], v[2:3] op_sel:[0,1]
	s_delay_alu instid0(VALU_DEP_1) | instskip(SKIP_1) | instid1(VALU_DEP_1)
	v_pk_fma_f32 v[10:11], v[4:5], v[0:1], v[8:9] op_sel:[0,0,1] op_sel_hi:[1,1,0] neg_lo:[0,0,1] neg_hi:[0,0,1]
	v_pk_fma_f32 v[4:5], v[4:5], v[0:1], v[8:9] op_sel:[0,0,1] op_sel_hi:[1,0,0]
	v_mov_b32_e32 v11, v5
	v_pk_mul_f32 v[4:5], v[6:7], v[2:3] op_sel:[0,1]
	s_delay_alu instid0(VALU_DEP_1) | instskip(SKIP_1) | instid1(VALU_DEP_1)
	v_pk_fma_f32 v[8:9], v[6:7], v[0:1], v[4:5] op_sel:[0,0,1] op_sel_hi:[1,1,0] neg_lo:[0,0,1] neg_hi:[0,0,1]
	v_pk_fma_f32 v[4:5], v[6:7], v[0:1], v[4:5] op_sel:[0,0,1] op_sel_hi:[1,0,0]
	v_mov_b32_e32 v9, v5
	ds_load_2addr_b64 v[4:7], v222 offset0:13 offset1:14
	v_pk_add_f32 v[36:37], v[36:37], v[10:11] neg_lo:[0,1] neg_hi:[0,1]
	v_pk_add_f32 v[66:67], v[66:67], v[8:9] neg_lo:[0,1] neg_hi:[0,1]
	s_wait_dscnt 0x0
	v_dual_mul_f32 v8, v5, v3 :: v_dual_mul_f32 v10, v5, v0
	s_delay_alu instid0(VALU_DEP_1) | instskip(NEXT) | instid1(VALU_DEP_2)
	v_pk_fma_f32 v[8:9], v[4:5], v[26:27], v[8:9] op_sel_hi:[1,1,0] neg_lo:[0,0,1] neg_hi:[0,0,1]
	v_pk_fma_f32 v[4:5], v[4:5], v[26:27], v[10:11] op_sel:[1,0,0] op_sel_hi:[0,1,0]
	s_delay_alu instid0(VALU_DEP_1) | instskip(SKIP_1) | instid1(VALU_DEP_2)
	v_mov_b32_e32 v9, v5
	v_pk_mul_f32 v[4:5], v[6:7], v[2:3] op_sel:[0,1]
	v_pk_add_f32 v[62:63], v[62:63], v[8:9] neg_lo:[0,1] neg_hi:[0,1]
	s_delay_alu instid0(VALU_DEP_2) | instskip(SKIP_1) | instid1(VALU_DEP_1)
	v_pk_fma_f32 v[8:9], v[6:7], v[0:1], v[4:5] op_sel:[0,0,1] op_sel_hi:[1,1,0] neg_lo:[0,0,1] neg_hi:[0,0,1]
	v_pk_fma_f32 v[4:5], v[6:7], v[0:1], v[4:5] op_sel:[0,0,1] op_sel_hi:[1,0,0]
	v_mov_b32_e32 v9, v5
	ds_load_2addr_b64 v[4:7], v222 offset0:15 offset1:16
	v_pk_add_f32 v[64:65], v[64:65], v[8:9] neg_lo:[0,1] neg_hi:[0,1]
	s_wait_dscnt 0x0
	v_pk_mul_f32 v[8:9], v[4:5], v[2:3] op_sel:[0,1]
	s_delay_alu instid0(VALU_DEP_1) | instskip(SKIP_1) | instid1(VALU_DEP_1)
	v_pk_fma_f32 v[10:11], v[4:5], v[0:1], v[8:9] op_sel:[0,0,1] op_sel_hi:[1,1,0] neg_lo:[0,0,1] neg_hi:[0,0,1]
	v_pk_fma_f32 v[4:5], v[4:5], v[0:1], v[8:9] op_sel:[0,0,1] op_sel_hi:[1,0,0]
	v_mov_b32_e32 v11, v5
	v_pk_mul_f32 v[4:5], v[6:7], v[2:3] op_sel:[0,1]
	s_delay_alu instid0(VALU_DEP_2) | instskip(NEXT) | instid1(VALU_DEP_2)
	v_pk_add_f32 v[60:61], v[60:61], v[10:11] neg_lo:[0,1] neg_hi:[0,1]
	v_pk_fma_f32 v[8:9], v[6:7], v[0:1], v[4:5] op_sel:[0,0,1] op_sel_hi:[1,1,0] neg_lo:[0,0,1] neg_hi:[0,0,1]
	v_pk_fma_f32 v[4:5], v[6:7], v[0:1], v[4:5] op_sel:[0,0,1] op_sel_hi:[1,0,0]
	s_delay_alu instid0(VALU_DEP_1) | instskip(SKIP_4) | instid1(VALU_DEP_1)
	v_mov_b32_e32 v9, v5
	ds_load_2addr_b64 v[4:7], v222 offset0:17 offset1:18
	v_pk_add_f32 v[82:83], v[82:83], v[8:9] neg_lo:[0,1] neg_hi:[0,1]
	s_wait_dscnt 0x0
	v_pk_mul_f32 v[8:9], v[4:5], v[2:3] op_sel:[0,1]
	v_pk_fma_f32 v[10:11], v[4:5], v[0:1], v[8:9] op_sel:[0,0,1] op_sel_hi:[1,1,0] neg_lo:[0,0,1] neg_hi:[0,0,1]
	v_pk_fma_f32 v[4:5], v[4:5], v[0:1], v[8:9] op_sel:[0,0,1] op_sel_hi:[1,0,0]
	v_dual_mul_f32 v8, v7, v3 :: v_dual_mov_b32 v4, v7
	s_delay_alu instid0(VALU_DEP_2) | instskip(NEXT) | instid1(VALU_DEP_2)
	v_dual_mov_b32 v11, v5 :: v_dual_mov_b32 v5, v6
	v_pk_fma_f32 v[8:9], v[6:7], v[26:27], v[8:9] op_sel_hi:[1,1,0] neg_lo:[0,0,1] neg_hi:[0,0,1]
	v_mul_f32_e32 v6, v7, v0
	s_delay_alu instid0(VALU_DEP_3) | instskip(NEXT) | instid1(VALU_DEP_2)
	v_pk_add_f32 v[78:79], v[78:79], v[10:11] neg_lo:[0,1] neg_hi:[0,1]
	v_pk_fma_f32 v[4:5], v[4:5], v[26:27], v[6:7] op_sel_hi:[1,1,0]
	s_delay_alu instid0(VALU_DEP_1) | instskip(SKIP_4) | instid1(VALU_DEP_1)
	v_mov_b32_e32 v9, v5
	ds_load_2addr_b64 v[4:7], v222 offset0:19 offset1:20
	v_pk_add_f32 v[80:81], v[80:81], v[8:9] neg_lo:[0,1] neg_hi:[0,1]
	s_wait_dscnt 0x0
	v_pk_mul_f32 v[8:9], v[4:5], v[2:3] op_sel:[0,1]
	v_pk_fma_f32 v[10:11], v[4:5], v[0:1], v[8:9] op_sel:[0,0,1] op_sel_hi:[1,1,0] neg_lo:[0,0,1] neg_hi:[0,0,1]
	v_pk_fma_f32 v[4:5], v[4:5], v[0:1], v[8:9] op_sel:[0,0,1] op_sel_hi:[1,0,0]
	s_delay_alu instid0(VALU_DEP_1) | instskip(SKIP_1) | instid1(VALU_DEP_1)
	v_mov_b32_e32 v11, v5
	v_pk_mul_f32 v[4:5], v[6:7], v[2:3] op_sel:[0,1]
	v_pk_fma_f32 v[8:9], v[6:7], v[0:1], v[4:5] op_sel:[0,0,1] op_sel_hi:[1,1,0] neg_lo:[0,0,1] neg_hi:[0,0,1]
	v_pk_fma_f32 v[4:5], v[6:7], v[0:1], v[4:5] op_sel:[0,0,1] op_sel_hi:[1,0,0]
	s_delay_alu instid0(VALU_DEP_1)
	v_mov_b32_e32 v9, v5
	ds_load_2addr_b64 v[4:7], v222 offset0:21 offset1:22
	v_pk_add_f32 v[76:77], v[76:77], v[10:11] neg_lo:[0,1] neg_hi:[0,1]
	v_pk_add_f32 v[98:99], v[98:99], v[8:9] neg_lo:[0,1] neg_hi:[0,1]
	s_wait_dscnt 0x0
	v_pk_mul_f32 v[8:9], v[4:5], v[2:3] op_sel:[0,1]
	s_delay_alu instid0(VALU_DEP_1) | instskip(SKIP_1) | instid1(VALU_DEP_1)
	v_pk_fma_f32 v[10:11], v[4:5], v[0:1], v[8:9] op_sel:[0,0,1] op_sel_hi:[1,1,0] neg_lo:[0,0,1] neg_hi:[0,0,1]
	v_pk_fma_f32 v[4:5], v[4:5], v[0:1], v[8:9] op_sel:[0,0,1] op_sel_hi:[1,0,0]
	v_mov_b32_e32 v11, v5
	v_pk_mul_f32 v[4:5], v[6:7], v[2:3] op_sel:[0,1]
	s_delay_alu instid0(VALU_DEP_1) | instskip(SKIP_1) | instid1(VALU_DEP_1)
	v_pk_fma_f32 v[8:9], v[6:7], v[0:1], v[4:5] op_sel:[0,0,1] op_sel_hi:[1,1,0] neg_lo:[0,0,1] neg_hi:[0,0,1]
	v_pk_fma_f32 v[4:5], v[6:7], v[0:1], v[4:5] op_sel:[0,0,1] op_sel_hi:[1,0,0]
	v_mov_b32_e32 v9, v5
	ds_load_2addr_b64 v[4:7], v222 offset0:23 offset1:24
	v_pk_add_f32 v[94:95], v[94:95], v[10:11] neg_lo:[0,1] neg_hi:[0,1]
	v_pk_add_f32 v[96:97], v[96:97], v[8:9] neg_lo:[0,1] neg_hi:[0,1]
	s_wait_dscnt 0x0
	v_dual_mul_f32 v8, v5, v3 :: v_dual_mul_f32 v10, v5, v0
	s_delay_alu instid0(VALU_DEP_1) | instskip(NEXT) | instid1(VALU_DEP_2)
	v_pk_fma_f32 v[8:9], v[4:5], v[26:27], v[8:9] op_sel_hi:[1,1,0] neg_lo:[0,0,1] neg_hi:[0,0,1]
	v_pk_fma_f32 v[4:5], v[4:5], v[26:27], v[10:11] op_sel:[1,0,0] op_sel_hi:[0,1,0]
	s_delay_alu instid0(VALU_DEP_1) | instskip(SKIP_1) | instid1(VALU_DEP_2)
	v_mov_b32_e32 v9, v5
	v_pk_mul_f32 v[4:5], v[6:7], v[2:3] op_sel:[0,1]
	v_pk_add_f32 v[92:93], v[92:93], v[8:9] neg_lo:[0,1] neg_hi:[0,1]
	s_delay_alu instid0(VALU_DEP_2) | instskip(SKIP_1) | instid1(VALU_DEP_1)
	v_pk_fma_f32 v[8:9], v[6:7], v[0:1], v[4:5] op_sel:[0,0,1] op_sel_hi:[1,1,0] neg_lo:[0,0,1] neg_hi:[0,0,1]
	v_pk_fma_f32 v[4:5], v[6:7], v[0:1], v[4:5] op_sel:[0,0,1] op_sel_hi:[1,0,0]
	v_mov_b32_e32 v9, v5
	ds_load_2addr_b64 v[4:7], v222 offset0:25 offset1:26
	v_pk_add_f32 v[114:115], v[114:115], v[8:9] neg_lo:[0,1] neg_hi:[0,1]
	s_wait_dscnt 0x0
	v_pk_mul_f32 v[8:9], v[4:5], v[2:3] op_sel:[0,1]
	s_delay_alu instid0(VALU_DEP_1) | instskip(SKIP_1) | instid1(VALU_DEP_1)
	v_pk_fma_f32 v[10:11], v[4:5], v[0:1], v[8:9] op_sel:[0,0,1] op_sel_hi:[1,1,0] neg_lo:[0,0,1] neg_hi:[0,0,1]
	v_pk_fma_f32 v[4:5], v[4:5], v[0:1], v[8:9] op_sel:[0,0,1] op_sel_hi:[1,0,0]
	v_mov_b32_e32 v11, v5
	v_pk_mul_f32 v[4:5], v[6:7], v[2:3] op_sel:[0,1]
	s_delay_alu instid0(VALU_DEP_2) | instskip(NEXT) | instid1(VALU_DEP_2)
	v_pk_add_f32 v[110:111], v[110:111], v[10:11] neg_lo:[0,1] neg_hi:[0,1]
	v_pk_fma_f32 v[8:9], v[6:7], v[0:1], v[4:5] op_sel:[0,0,1] op_sel_hi:[1,1,0] neg_lo:[0,0,1] neg_hi:[0,0,1]
	v_pk_fma_f32 v[4:5], v[6:7], v[0:1], v[4:5] op_sel:[0,0,1] op_sel_hi:[1,0,0]
	s_delay_alu instid0(VALU_DEP_1) | instskip(SKIP_4) | instid1(VALU_DEP_1)
	v_mov_b32_e32 v9, v5
	ds_load_2addr_b64 v[4:7], v222 offset0:27 offset1:28
	v_pk_add_f32 v[112:113], v[112:113], v[8:9] neg_lo:[0,1] neg_hi:[0,1]
	s_wait_dscnt 0x0
	v_pk_mul_f32 v[8:9], v[4:5], v[2:3] op_sel:[0,1]
	v_pk_fma_f32 v[10:11], v[4:5], v[0:1], v[8:9] op_sel:[0,0,1] op_sel_hi:[1,1,0] neg_lo:[0,0,1] neg_hi:[0,0,1]
	v_pk_fma_f32 v[4:5], v[4:5], v[0:1], v[8:9] op_sel:[0,0,1] op_sel_hi:[1,0,0]
	v_dual_mul_f32 v8, v7, v3 :: v_dual_mov_b32 v4, v7
	s_delay_alu instid0(VALU_DEP_2) | instskip(NEXT) | instid1(VALU_DEP_2)
	v_dual_mov_b32 v11, v5 :: v_dual_mov_b32 v5, v6
	v_pk_fma_f32 v[8:9], v[6:7], v[26:27], v[8:9] op_sel_hi:[1,1,0] neg_lo:[0,0,1] neg_hi:[0,0,1]
	v_mul_f32_e32 v6, v7, v0
	s_delay_alu instid0(VALU_DEP_3) | instskip(NEXT) | instid1(VALU_DEP_2)
	v_pk_add_f32 v[108:109], v[108:109], v[10:11] neg_lo:[0,1] neg_hi:[0,1]
	v_pk_fma_f32 v[4:5], v[4:5], v[26:27], v[6:7] op_sel_hi:[1,1,0]
	s_delay_alu instid0(VALU_DEP_1) | instskip(SKIP_4) | instid1(VALU_DEP_1)
	v_mov_b32_e32 v9, v5
	ds_load_2addr_b64 v[4:7], v222 offset0:29 offset1:30
	v_pk_add_f32 v[130:131], v[130:131], v[8:9] neg_lo:[0,1] neg_hi:[0,1]
	s_wait_dscnt 0x0
	v_pk_mul_f32 v[8:9], v[4:5], v[2:3] op_sel:[0,1]
	v_pk_fma_f32 v[10:11], v[4:5], v[0:1], v[8:9] op_sel:[0,0,1] op_sel_hi:[1,1,0] neg_lo:[0,0,1] neg_hi:[0,0,1]
	v_pk_fma_f32 v[4:5], v[4:5], v[0:1], v[8:9] op_sel:[0,0,1] op_sel_hi:[1,0,0]
	s_delay_alu instid0(VALU_DEP_1) | instskip(SKIP_1) | instid1(VALU_DEP_1)
	v_mov_b32_e32 v11, v5
	v_pk_mul_f32 v[4:5], v[6:7], v[2:3] op_sel:[0,1]
	v_pk_fma_f32 v[8:9], v[6:7], v[0:1], v[4:5] op_sel:[0,0,1] op_sel_hi:[1,1,0] neg_lo:[0,0,1] neg_hi:[0,0,1]
	v_pk_fma_f32 v[4:5], v[6:7], v[0:1], v[4:5] op_sel:[0,0,1] op_sel_hi:[1,0,0]
	s_delay_alu instid0(VALU_DEP_1)
	v_mov_b32_e32 v9, v5
	ds_load_2addr_b64 v[4:7], v222 offset0:31 offset1:32
	v_pk_add_f32 v[126:127], v[126:127], v[10:11] neg_lo:[0,1] neg_hi:[0,1]
	v_pk_add_f32 v[128:129], v[128:129], v[8:9] neg_lo:[0,1] neg_hi:[0,1]
	s_wait_dscnt 0x0
	v_pk_mul_f32 v[8:9], v[4:5], v[2:3] op_sel:[0,1]
	s_delay_alu instid0(VALU_DEP_1) | instskip(SKIP_1) | instid1(VALU_DEP_1)
	v_pk_fma_f32 v[10:11], v[4:5], v[0:1], v[8:9] op_sel:[0,0,1] op_sel_hi:[1,1,0] neg_lo:[0,0,1] neg_hi:[0,0,1]
	v_pk_fma_f32 v[4:5], v[4:5], v[0:1], v[8:9] op_sel:[0,0,1] op_sel_hi:[1,0,0]
	v_mov_b32_e32 v11, v5
	v_pk_mul_f32 v[4:5], v[6:7], v[2:3] op_sel:[0,1]
	s_delay_alu instid0(VALU_DEP_1) | instskip(SKIP_1) | instid1(VALU_DEP_1)
	v_pk_fma_f32 v[8:9], v[6:7], v[0:1], v[4:5] op_sel:[0,0,1] op_sel_hi:[1,1,0] neg_lo:[0,0,1] neg_hi:[0,0,1]
	v_pk_fma_f32 v[4:5], v[6:7], v[0:1], v[4:5] op_sel:[0,0,1] op_sel_hi:[1,0,0]
	v_mov_b32_e32 v9, v5
	ds_load_2addr_b64 v[4:7], v222 offset0:33 offset1:34
	v_pk_add_f32 v[124:125], v[124:125], v[10:11] neg_lo:[0,1] neg_hi:[0,1]
	v_pk_add_f32 v[146:147], v[146:147], v[8:9] neg_lo:[0,1] neg_hi:[0,1]
	s_wait_dscnt 0x0
	v_dual_mul_f32 v8, v5, v3 :: v_dual_mul_f32 v10, v5, v0
	s_delay_alu instid0(VALU_DEP_1) | instskip(NEXT) | instid1(VALU_DEP_2)
	v_pk_fma_f32 v[8:9], v[4:5], v[26:27], v[8:9] op_sel_hi:[1,1,0] neg_lo:[0,0,1] neg_hi:[0,0,1]
	v_pk_fma_f32 v[4:5], v[4:5], v[26:27], v[10:11] op_sel:[1,0,0] op_sel_hi:[0,1,0]
	s_delay_alu instid0(VALU_DEP_1) | instskip(SKIP_1) | instid1(VALU_DEP_2)
	v_mov_b32_e32 v9, v5
	v_pk_mul_f32 v[4:5], v[6:7], v[2:3] op_sel:[0,1]
	v_pk_add_f32 v[142:143], v[142:143], v[8:9] neg_lo:[0,1] neg_hi:[0,1]
	s_delay_alu instid0(VALU_DEP_2) | instskip(SKIP_1) | instid1(VALU_DEP_1)
	v_pk_fma_f32 v[8:9], v[6:7], v[0:1], v[4:5] op_sel:[0,0,1] op_sel_hi:[1,1,0] neg_lo:[0,0,1] neg_hi:[0,0,1]
	v_pk_fma_f32 v[4:5], v[6:7], v[0:1], v[4:5] op_sel:[0,0,1] op_sel_hi:[1,0,0]
	v_mov_b32_e32 v9, v5
	ds_load_2addr_b64 v[4:7], v222 offset0:35 offset1:36
	v_pk_add_f32 v[144:145], v[144:145], v[8:9] neg_lo:[0,1] neg_hi:[0,1]
	s_wait_dscnt 0x0
	v_pk_mul_f32 v[8:9], v[4:5], v[2:3] op_sel:[0,1]
	s_delay_alu instid0(VALU_DEP_1) | instskip(SKIP_1) | instid1(VALU_DEP_1)
	v_pk_fma_f32 v[10:11], v[4:5], v[0:1], v[8:9] op_sel:[0,0,1] op_sel_hi:[1,1,0] neg_lo:[0,0,1] neg_hi:[0,0,1]
	v_pk_fma_f32 v[4:5], v[4:5], v[0:1], v[8:9] op_sel:[0,0,1] op_sel_hi:[1,0,0]
	v_mov_b32_e32 v11, v5
	v_pk_mul_f32 v[4:5], v[6:7], v[2:3] op_sel:[0,1]
	s_delay_alu instid0(VALU_DEP_2) | instskip(NEXT) | instid1(VALU_DEP_2)
	v_pk_add_f32 v[140:141], v[140:141], v[10:11] neg_lo:[0,1] neg_hi:[0,1]
	v_pk_fma_f32 v[8:9], v[6:7], v[0:1], v[4:5] op_sel:[0,0,1] op_sel_hi:[1,1,0] neg_lo:[0,0,1] neg_hi:[0,0,1]
	v_pk_fma_f32 v[4:5], v[6:7], v[0:1], v[4:5] op_sel:[0,0,1] op_sel_hi:[1,0,0]
	s_delay_alu instid0(VALU_DEP_1) | instskip(SKIP_4) | instid1(VALU_DEP_1)
	v_mov_b32_e32 v9, v5
	ds_load_2addr_b64 v[4:7], v222 offset0:37 offset1:38
	v_pk_add_f32 v[162:163], v[162:163], v[8:9] neg_lo:[0,1] neg_hi:[0,1]
	s_wait_dscnt 0x0
	v_pk_mul_f32 v[8:9], v[4:5], v[2:3] op_sel:[0,1]
	v_pk_fma_f32 v[10:11], v[4:5], v[0:1], v[8:9] op_sel:[0,0,1] op_sel_hi:[1,1,0] neg_lo:[0,0,1] neg_hi:[0,0,1]
	v_pk_fma_f32 v[4:5], v[4:5], v[0:1], v[8:9] op_sel:[0,0,1] op_sel_hi:[1,0,0]
	v_dual_mul_f32 v8, v7, v3 :: v_dual_mov_b32 v4, v7
	s_delay_alu instid0(VALU_DEP_2) | instskip(NEXT) | instid1(VALU_DEP_2)
	v_dual_mov_b32 v11, v5 :: v_dual_mov_b32 v5, v6
	v_pk_fma_f32 v[8:9], v[6:7], v[26:27], v[8:9] op_sel_hi:[1,1,0] neg_lo:[0,0,1] neg_hi:[0,0,1]
	v_mul_f32_e32 v6, v7, v0
	s_delay_alu instid0(VALU_DEP_3) | instskip(NEXT) | instid1(VALU_DEP_2)
	v_pk_add_f32 v[158:159], v[158:159], v[10:11] neg_lo:[0,1] neg_hi:[0,1]
	v_pk_fma_f32 v[4:5], v[4:5], v[26:27], v[6:7] op_sel_hi:[1,1,0]
	s_delay_alu instid0(VALU_DEP_1) | instskip(SKIP_4) | instid1(VALU_DEP_1)
	v_mov_b32_e32 v9, v5
	ds_load_2addr_b64 v[4:7], v222 offset0:39 offset1:40
	v_pk_add_f32 v[160:161], v[160:161], v[8:9] neg_lo:[0,1] neg_hi:[0,1]
	s_wait_dscnt 0x0
	v_pk_mul_f32 v[8:9], v[4:5], v[2:3] op_sel:[0,1]
	v_pk_fma_f32 v[10:11], v[4:5], v[0:1], v[8:9] op_sel:[0,0,1] op_sel_hi:[1,1,0] neg_lo:[0,0,1] neg_hi:[0,0,1]
	v_pk_fma_f32 v[4:5], v[4:5], v[0:1], v[8:9] op_sel:[0,0,1] op_sel_hi:[1,0,0]
	s_delay_alu instid0(VALU_DEP_1) | instskip(SKIP_1) | instid1(VALU_DEP_1)
	v_mov_b32_e32 v11, v5
	v_pk_mul_f32 v[4:5], v[6:7], v[2:3] op_sel:[0,1]
	v_pk_fma_f32 v[8:9], v[6:7], v[0:1], v[4:5] op_sel:[0,0,1] op_sel_hi:[1,1,0] neg_lo:[0,0,1] neg_hi:[0,0,1]
	v_pk_fma_f32 v[4:5], v[6:7], v[0:1], v[4:5] op_sel:[0,0,1] op_sel_hi:[1,0,0]
	s_delay_alu instid0(VALU_DEP_1)
	v_mov_b32_e32 v9, v5
	ds_load_2addr_b64 v[4:7], v222 offset0:41 offset1:42
	v_pk_add_f32 v[156:157], v[156:157], v[10:11] neg_lo:[0,1] neg_hi:[0,1]
	v_pk_add_f32 v[178:179], v[178:179], v[8:9] neg_lo:[0,1] neg_hi:[0,1]
	s_wait_dscnt 0x0
	v_pk_mul_f32 v[8:9], v[4:5], v[2:3] op_sel:[0,1]
	s_delay_alu instid0(VALU_DEP_1) | instskip(SKIP_1) | instid1(VALU_DEP_1)
	v_pk_fma_f32 v[10:11], v[4:5], v[0:1], v[8:9] op_sel:[0,0,1] op_sel_hi:[1,1,0] neg_lo:[0,0,1] neg_hi:[0,0,1]
	v_pk_fma_f32 v[4:5], v[4:5], v[0:1], v[8:9] op_sel:[0,0,1] op_sel_hi:[1,0,0]
	v_mov_b32_e32 v11, v5
	v_pk_mul_f32 v[4:5], v[6:7], v[2:3] op_sel:[0,1]
	s_delay_alu instid0(VALU_DEP_1) | instskip(SKIP_1) | instid1(VALU_DEP_1)
	v_pk_fma_f32 v[8:9], v[6:7], v[0:1], v[4:5] op_sel:[0,0,1] op_sel_hi:[1,1,0] neg_lo:[0,0,1] neg_hi:[0,0,1]
	v_pk_fma_f32 v[4:5], v[6:7], v[0:1], v[4:5] op_sel:[0,0,1] op_sel_hi:[1,0,0]
	v_mov_b32_e32 v9, v5
	ds_load_2addr_b64 v[4:7], v222 offset0:43 offset1:44
	v_pk_add_f32 v[174:175], v[174:175], v[10:11] neg_lo:[0,1] neg_hi:[0,1]
	v_pk_add_f32 v[176:177], v[176:177], v[8:9] neg_lo:[0,1] neg_hi:[0,1]
	s_wait_dscnt 0x0
	v_dual_mul_f32 v8, v5, v3 :: v_dual_mul_f32 v10, v5, v0
	s_delay_alu instid0(VALU_DEP_1) | instskip(NEXT) | instid1(VALU_DEP_2)
	v_pk_fma_f32 v[8:9], v[4:5], v[26:27], v[8:9] op_sel_hi:[1,1,0] neg_lo:[0,0,1] neg_hi:[0,0,1]
	v_pk_fma_f32 v[4:5], v[4:5], v[26:27], v[10:11] op_sel:[1,0,0] op_sel_hi:[0,1,0]
	s_delay_alu instid0(VALU_DEP_1) | instskip(SKIP_1) | instid1(VALU_DEP_2)
	v_mov_b32_e32 v9, v5
	v_pk_mul_f32 v[4:5], v[6:7], v[2:3] op_sel:[0,1]
	v_pk_add_f32 v[172:173], v[172:173], v[8:9] neg_lo:[0,1] neg_hi:[0,1]
	s_delay_alu instid0(VALU_DEP_2) | instskip(SKIP_1) | instid1(VALU_DEP_1)
	v_pk_fma_f32 v[8:9], v[6:7], v[0:1], v[4:5] op_sel:[0,0,1] op_sel_hi:[1,1,0] neg_lo:[0,0,1] neg_hi:[0,0,1]
	v_pk_fma_f32 v[4:5], v[6:7], v[0:1], v[4:5] op_sel:[0,0,1] op_sel_hi:[1,0,0]
	v_mov_b32_e32 v9, v5
	ds_load_2addr_b64 v[4:7], v222 offset0:45 offset1:46
	v_pk_add_f32 v[194:195], v[194:195], v[8:9] neg_lo:[0,1] neg_hi:[0,1]
	s_wait_dscnt 0x0
	v_pk_mul_f32 v[8:9], v[4:5], v[2:3] op_sel:[0,1]
	s_delay_alu instid0(VALU_DEP_1) | instskip(SKIP_1) | instid1(VALU_DEP_1)
	v_pk_fma_f32 v[10:11], v[4:5], v[0:1], v[8:9] op_sel:[0,0,1] op_sel_hi:[1,1,0] neg_lo:[0,0,1] neg_hi:[0,0,1]
	v_pk_fma_f32 v[4:5], v[4:5], v[0:1], v[8:9] op_sel:[0,0,1] op_sel_hi:[1,0,0]
	v_mov_b32_e32 v11, v5
	v_pk_mul_f32 v[4:5], v[6:7], v[2:3] op_sel:[0,1]
	s_delay_alu instid0(VALU_DEP_2) | instskip(NEXT) | instid1(VALU_DEP_2)
	v_pk_add_f32 v[190:191], v[190:191], v[10:11] neg_lo:[0,1] neg_hi:[0,1]
	v_pk_fma_f32 v[8:9], v[6:7], v[0:1], v[4:5] op_sel:[0,0,1] op_sel_hi:[1,1,0] neg_lo:[0,0,1] neg_hi:[0,0,1]
	v_pk_fma_f32 v[4:5], v[6:7], v[0:1], v[4:5] op_sel:[0,0,1] op_sel_hi:[1,0,0]
	s_delay_alu instid0(VALU_DEP_1) | instskip(SKIP_4) | instid1(VALU_DEP_1)
	v_mov_b32_e32 v9, v5
	ds_load_2addr_b64 v[4:7], v222 offset0:47 offset1:48
	v_pk_add_f32 v[192:193], v[192:193], v[8:9] neg_lo:[0,1] neg_hi:[0,1]
	s_wait_dscnt 0x0
	v_pk_mul_f32 v[8:9], v[4:5], v[2:3] op_sel:[0,1]
	v_pk_fma_f32 v[10:11], v[4:5], v[0:1], v[8:9] op_sel:[0,0,1] op_sel_hi:[1,1,0] neg_lo:[0,0,1] neg_hi:[0,0,1]
	v_pk_fma_f32 v[4:5], v[4:5], v[0:1], v[8:9] op_sel:[0,0,1] op_sel_hi:[1,0,0]
	v_dual_mul_f32 v8, v7, v3 :: v_dual_mov_b32 v4, v7
	s_delay_alu instid0(VALU_DEP_2) | instskip(NEXT) | instid1(VALU_DEP_2)
	v_dual_mov_b32 v11, v5 :: v_dual_mov_b32 v5, v6
	v_pk_fma_f32 v[8:9], v[6:7], v[26:27], v[8:9] op_sel_hi:[1,1,0] neg_lo:[0,0,1] neg_hi:[0,0,1]
	v_mul_f32_e32 v6, v7, v0
	s_delay_alu instid0(VALU_DEP_3) | instskip(NEXT) | instid1(VALU_DEP_2)
	v_pk_add_f32 v[188:189], v[188:189], v[10:11] neg_lo:[0,1] neg_hi:[0,1]
	v_pk_fma_f32 v[4:5], v[4:5], v[26:27], v[6:7] op_sel_hi:[1,1,0]
	s_delay_alu instid0(VALU_DEP_1) | instskip(SKIP_4) | instid1(VALU_DEP_1)
	v_mov_b32_e32 v9, v5
	ds_load_2addr_b64 v[4:7], v222 offset0:49 offset1:50
	v_pk_add_f32 v[216:217], v[216:217], v[8:9] neg_lo:[0,1] neg_hi:[0,1]
	s_wait_dscnt 0x0
	v_pk_mul_f32 v[8:9], v[4:5], v[2:3] op_sel:[0,1]
	v_pk_fma_f32 v[10:11], v[4:5], v[0:1], v[8:9] op_sel:[0,0,1] op_sel_hi:[1,1,0] neg_lo:[0,0,1] neg_hi:[0,0,1]
	v_pk_fma_f32 v[4:5], v[4:5], v[0:1], v[8:9] op_sel:[0,0,1] op_sel_hi:[1,0,0]
	s_delay_alu instid0(VALU_DEP_1) | instskip(SKIP_1) | instid1(VALU_DEP_1)
	v_mov_b32_e32 v11, v5
	v_pk_mul_f32 v[4:5], v[6:7], v[2:3] op_sel:[0,1]
	v_pk_fma_f32 v[8:9], v[6:7], v[0:1], v[4:5] op_sel:[0,0,1] op_sel_hi:[1,1,0] neg_lo:[0,0,1] neg_hi:[0,0,1]
	v_pk_fma_f32 v[4:5], v[6:7], v[0:1], v[4:5] op_sel:[0,0,1] op_sel_hi:[1,0,0]
	s_delay_alu instid0(VALU_DEP_1)
	v_mov_b32_e32 v9, v5
	ds_load_2addr_b64 v[4:7], v222 offset0:51 offset1:52
	v_pk_add_f32 v[212:213], v[212:213], v[10:11] neg_lo:[0,1] neg_hi:[0,1]
	v_pk_add_f32 v[214:215], v[214:215], v[8:9] neg_lo:[0,1] neg_hi:[0,1]
	s_wait_dscnt 0x0
	v_pk_mul_f32 v[8:9], v[4:5], v[2:3] op_sel:[0,1]
	s_delay_alu instid0(VALU_DEP_1) | instskip(SKIP_1) | instid1(VALU_DEP_1)
	v_pk_fma_f32 v[10:11], v[4:5], v[0:1], v[8:9] op_sel:[0,0,1] op_sel_hi:[1,1,0] neg_lo:[0,0,1] neg_hi:[0,0,1]
	v_pk_fma_f32 v[4:5], v[4:5], v[0:1], v[8:9] op_sel:[0,0,1] op_sel_hi:[1,0,0]
	v_mov_b32_e32 v11, v5
	v_pk_mul_f32 v[4:5], v[6:7], v[2:3] op_sel:[0,1]
	s_delay_alu instid0(VALU_DEP_1) | instskip(SKIP_1) | instid1(VALU_DEP_1)
	v_pk_fma_f32 v[8:9], v[6:7], v[0:1], v[4:5] op_sel:[0,0,1] op_sel_hi:[1,1,0] neg_lo:[0,0,1] neg_hi:[0,0,1]
	v_pk_fma_f32 v[4:5], v[6:7], v[0:1], v[4:5] op_sel:[0,0,1] op_sel_hi:[1,0,0]
	v_mov_b32_e32 v9, v5
	ds_load_2addr_b64 v[4:7], v222 offset0:53 offset1:54
	v_pk_add_f32 v[210:211], v[210:211], v[10:11] neg_lo:[0,1] neg_hi:[0,1]
	v_pk_add_f32 v[240:241], v[240:241], v[8:9] neg_lo:[0,1] neg_hi:[0,1]
	s_wait_dscnt 0x0
	v_dual_mul_f32 v8, v5, v3 :: v_dual_mul_f32 v10, v5, v0
	s_delay_alu instid0(VALU_DEP_1) | instskip(NEXT) | instid1(VALU_DEP_2)
	v_pk_fma_f32 v[8:9], v[4:5], v[26:27], v[8:9] op_sel_hi:[1,1,0] neg_lo:[0,0,1] neg_hi:[0,0,1]
	v_pk_fma_f32 v[4:5], v[4:5], v[26:27], v[10:11] op_sel:[1,0,0] op_sel_hi:[0,1,0]
	s_delay_alu instid0(VALU_DEP_1) | instskip(SKIP_1) | instid1(VALU_DEP_2)
	v_mov_b32_e32 v9, v5
	v_pk_mul_f32 v[4:5], v[6:7], v[2:3] op_sel:[0,1]
	v_pk_add_f32 v[232:233], v[232:233], v[8:9] neg_lo:[0,1] neg_hi:[0,1]
	s_delay_alu instid0(VALU_DEP_2) | instskip(SKIP_1) | instid1(VALU_DEP_1)
	v_pk_fma_f32 v[8:9], v[6:7], v[0:1], v[4:5] op_sel:[0,0,1] op_sel_hi:[1,1,0] neg_lo:[0,0,1] neg_hi:[0,0,1]
	v_pk_fma_f32 v[4:5], v[6:7], v[0:1], v[4:5] op_sel:[0,0,1] op_sel_hi:[1,0,0]
	v_mov_b32_e32 v9, v5
	ds_load_2addr_b64 v[4:7], v222 offset0:55 offset1:56
	v_pk_add_f32 v[238:239], v[238:239], v[8:9] neg_lo:[0,1] neg_hi:[0,1]
	s_wait_dscnt 0x0
	v_pk_mul_f32 v[8:9], v[4:5], v[2:3] op_sel:[0,1]
	s_delay_alu instid0(VALU_DEP_1) | instskip(SKIP_1) | instid1(VALU_DEP_1)
	v_pk_fma_f32 v[10:11], v[4:5], v[0:1], v[8:9] op_sel:[0,0,1] op_sel_hi:[1,1,0] neg_lo:[0,0,1] neg_hi:[0,0,1]
	v_pk_fma_f32 v[4:5], v[4:5], v[0:1], v[8:9] op_sel:[0,0,1] op_sel_hi:[1,0,0]
	v_mov_b32_e32 v11, v5
	v_pk_mul_f32 v[4:5], v[6:7], v[2:3] op_sel:[0,1]
	s_delay_alu instid0(VALU_DEP_2) | instskip(NEXT) | instid1(VALU_DEP_2)
	v_pk_add_f32 v[230:231], v[230:231], v[10:11] neg_lo:[0,1] neg_hi:[0,1]
	v_pk_fma_f32 v[8:9], v[6:7], v[0:1], v[4:5] op_sel:[0,0,1] op_sel_hi:[1,1,0] neg_lo:[0,0,1] neg_hi:[0,0,1]
	v_pk_fma_f32 v[4:5], v[6:7], v[0:1], v[4:5] op_sel:[0,0,1] op_sel_hi:[1,0,0]
	s_delay_alu instid0(VALU_DEP_1) | instskip(SKIP_4) | instid1(VALU_DEP_1)
	v_mov_b32_e32 v9, v5
	ds_load_2addr_b64 v[4:7], v222 offset0:57 offset1:58
	v_pk_add_f32 v[236:237], v[236:237], v[8:9] neg_lo:[0,1] neg_hi:[0,1]
	s_wait_dscnt 0x0
	v_pk_mul_f32 v[8:9], v[4:5], v[2:3] op_sel:[0,1]
	v_pk_fma_f32 v[10:11], v[4:5], v[0:1], v[8:9] op_sel:[0,0,1] op_sel_hi:[1,1,0] neg_lo:[0,0,1] neg_hi:[0,0,1]
	v_pk_fma_f32 v[4:5], v[4:5], v[0:1], v[8:9] op_sel:[0,0,1] op_sel_hi:[1,0,0]
	v_dual_mul_f32 v8, v7, v3 :: v_dual_mov_b32 v4, v7
	s_delay_alu instid0(VALU_DEP_2) | instskip(NEXT) | instid1(VALU_DEP_2)
	v_dual_mov_b32 v11, v5 :: v_dual_mov_b32 v5, v6
	v_pk_fma_f32 v[8:9], v[6:7], v[26:27], v[8:9] op_sel_hi:[1,1,0] neg_lo:[0,0,1] neg_hi:[0,0,1]
	v_mul_f32_e32 v6, v7, v0
	s_delay_alu instid0(VALU_DEP_3) | instskip(NEXT) | instid1(VALU_DEP_2)
	v_pk_add_f32 v[228:229], v[228:229], v[10:11] neg_lo:[0,1] neg_hi:[0,1]
	v_pk_fma_f32 v[4:5], v[4:5], v[26:27], v[6:7] op_sel_hi:[1,1,0]
	s_delay_alu instid0(VALU_DEP_1)
	v_mov_b32_e32 v9, v5
	ds_load_2addr_b64 v[4:7], v222 offset0:59 offset1:60
	v_pk_add_f32 v[234:235], v[234:235], v[8:9] neg_lo:[0,1] neg_hi:[0,1]
	s_wait_dscnt 0x0
	v_pk_mul_f32 v[8:9], v[4:5], v[2:3] op_sel:[0,1]
	v_pk_mul_f32 v[2:3], v[6:7], v[2:3] op_sel:[0,1]
	s_delay_alu instid0(VALU_DEP_2) | instskip(SKIP_1) | instid1(VALU_DEP_1)
	v_pk_fma_f32 v[10:11], v[4:5], v[0:1], v[8:9] op_sel:[0,0,1] op_sel_hi:[1,1,0] neg_lo:[0,0,1] neg_hi:[0,0,1]
	v_pk_fma_f32 v[4:5], v[4:5], v[0:1], v[8:9] op_sel:[0,0,1] op_sel_hi:[1,0,0]
	v_mov_b32_e32 v11, v5
	s_delay_alu instid0(VALU_DEP_4) | instskip(SKIP_1) | instid1(VALU_DEP_1)
	v_pk_fma_f32 v[4:5], v[6:7], v[0:1], v[2:3] op_sel:[0,0,1] op_sel_hi:[1,1,0] neg_lo:[0,0,1] neg_hi:[0,0,1]
	v_pk_fma_f32 v[0:1], v[6:7], v[0:1], v[2:3] op_sel:[0,0,1] op_sel_hi:[1,0,0]
	v_mov_b32_e32 v5, v1
	s_delay_alu instid0(VALU_DEP_4) | instskip(NEXT) | instid1(VALU_DEP_2)
	v_pk_add_f32 v[242:243], v[242:243], v[10:11] neg_lo:[0,1] neg_hi:[0,1]
	v_pk_add_f32 v[244:245], v[244:245], v[4:5] neg_lo:[0,1] neg_hi:[0,1]
.LBB121_46:
	s_wait_xcnt 0x0
	s_or_b32 exec_lo, exec_lo, s1
	s_delay_alu instid0(SALU_CYCLE_1)
	s_mov_b32 s2, exec_lo
	s_wait_storecnt 0x0
	s_barrier_signal -1
	s_barrier_wait -1
	v_cmpx_eq_u32_e32 5, v220
	s_cbranch_execz .LBB121_53
; %bb.47:
	v_dual_mov_b32 v0, v24 :: v_dual_mov_b32 v1, v25
	v_dual_mov_b32 v2, v20 :: v_dual_mov_b32 v3, v21
	ds_store_b64 v221, v[22:23]
	ds_store_2addr_b64 v222, v[0:1], v[2:3] offset0:6 offset1:7
	v_dual_mov_b32 v0, v42 :: v_dual_mov_b32 v1, v43
	v_dual_mov_b32 v2, v38 :: v_dual_mov_b32 v3, v39
	ds_store_2addr_b64 v222, v[0:1], v[2:3] offset0:8 offset1:9
	v_dual_mov_b32 v0, v40 :: v_dual_mov_b32 v1, v41
	v_dual_mov_b32 v2, v36 :: v_dual_mov_b32 v3, v37
	;; [unrolled: 3-line block ×26, first 2 shown]
	ds_store_2addr_b64 v222, v[0:1], v[2:3] offset0:58 offset1:59
	ds_store_b64 v222, v[244:245] offset:480
	ds_load_b64 v[0:1], v221
	s_wait_dscnt 0x0
	v_cmp_neq_f32_e32 vcc_lo, 0, v0
	v_cmp_neq_f32_e64 s1, 0, v1
	s_or_b32 s1, vcc_lo, s1
	s_delay_alu instid0(SALU_CYCLE_1)
	s_and_b32 exec_lo, exec_lo, s1
	s_cbranch_execz .LBB121_53
; %bb.48:
	v_cmp_ngt_f32_e64 s1, |v0|, |v1|
                                        ; implicit-def: $vgpr2_vgpr3
	s_and_saveexec_b32 s4, s1
	s_delay_alu instid0(SALU_CYCLE_1)
	s_xor_b32 s1, exec_lo, s4
	s_cbranch_execz .LBB121_50
; %bb.49:
	v_div_scale_f32 v2, null, v1, v1, v0
	v_div_scale_f32 v5, vcc_lo, v0, v1, v0
	s_delay_alu instid0(VALU_DEP_2) | instskip(SKIP_1) | instid1(TRANS32_DEP_1)
	v_rcp_f32_e32 v3, v2
	v_nop
	v_fma_f32 v4, -v2, v3, 1.0
	s_delay_alu instid0(VALU_DEP_1) | instskip(NEXT) | instid1(VALU_DEP_1)
	v_fmac_f32_e32 v3, v4, v3
	v_mul_f32_e32 v4, v5, v3
	s_delay_alu instid0(VALU_DEP_1) | instskip(NEXT) | instid1(VALU_DEP_1)
	v_fma_f32 v6, -v2, v4, v5
	v_fmac_f32_e32 v4, v6, v3
	s_delay_alu instid0(VALU_DEP_1) | instskip(NEXT) | instid1(VALU_DEP_1)
	v_fma_f32 v2, -v2, v4, v5
	v_div_fmas_f32 v2, v2, v3, v4
	s_delay_alu instid0(VALU_DEP_1) | instskip(NEXT) | instid1(VALU_DEP_1)
	v_div_fixup_f32 v2, v2, v1, v0
	v_fmac_f32_e32 v1, v0, v2
	s_delay_alu instid0(VALU_DEP_1) | instskip(SKIP_1) | instid1(VALU_DEP_2)
	v_div_scale_f32 v0, null, v1, v1, 1.0
	v_div_scale_f32 v5, vcc_lo, 1.0, v1, 1.0
	v_rcp_f32_e32 v3, v0
	v_nop
	s_delay_alu instid0(TRANS32_DEP_1) | instskip(NEXT) | instid1(VALU_DEP_1)
	v_fma_f32 v4, -v0, v3, 1.0
	v_fmac_f32_e32 v3, v4, v3
	s_delay_alu instid0(VALU_DEP_1) | instskip(NEXT) | instid1(VALU_DEP_1)
	v_mul_f32_e32 v4, v5, v3
	v_fma_f32 v6, -v0, v4, v5
	s_delay_alu instid0(VALU_DEP_1) | instskip(NEXT) | instid1(VALU_DEP_1)
	v_fmac_f32_e32 v4, v6, v3
	v_fma_f32 v0, -v0, v4, v5
	s_delay_alu instid0(VALU_DEP_1) | instskip(NEXT) | instid1(VALU_DEP_1)
	v_div_fmas_f32 v0, v0, v3, v4
	v_div_fixup_f32 v0, v0, v1, 1.0
	s_delay_alu instid0(VALU_DEP_1)
	v_mul_f32_e32 v2, v2, v0
	v_xor_b32_e32 v3, 0x80000000, v0
                                        ; implicit-def: $vgpr0_vgpr1
.LBB121_50:
	s_and_not1_saveexec_b32 s1, s1
	s_cbranch_execz .LBB121_52
; %bb.51:
	v_div_scale_f32 v2, null, v0, v0, v1
	v_div_scale_f32 v5, vcc_lo, v1, v0, v1
	s_delay_alu instid0(VALU_DEP_2) | instskip(SKIP_1) | instid1(TRANS32_DEP_1)
	v_rcp_f32_e32 v3, v2
	v_nop
	v_fma_f32 v4, -v2, v3, 1.0
	s_delay_alu instid0(VALU_DEP_1) | instskip(NEXT) | instid1(VALU_DEP_1)
	v_fmac_f32_e32 v3, v4, v3
	v_mul_f32_e32 v4, v5, v3
	s_delay_alu instid0(VALU_DEP_1) | instskip(NEXT) | instid1(VALU_DEP_1)
	v_fma_f32 v6, -v2, v4, v5
	v_fmac_f32_e32 v4, v6, v3
	s_delay_alu instid0(VALU_DEP_1) | instskip(NEXT) | instid1(VALU_DEP_1)
	v_fma_f32 v2, -v2, v4, v5
	v_div_fmas_f32 v2, v2, v3, v4
	s_delay_alu instid0(VALU_DEP_1) | instskip(NEXT) | instid1(VALU_DEP_1)
	v_div_fixup_f32 v3, v2, v0, v1
	v_fmac_f32_e32 v0, v1, v3
	s_delay_alu instid0(VALU_DEP_1) | instskip(NEXT) | instid1(VALU_DEP_1)
	v_div_scale_f32 v1, null, v0, v0, 1.0
	v_rcp_f32_e32 v2, v1
	v_nop
	s_delay_alu instid0(TRANS32_DEP_1) | instskip(NEXT) | instid1(VALU_DEP_1)
	v_fma_f32 v4, -v1, v2, 1.0
	v_fmac_f32_e32 v2, v4, v2
	v_div_scale_f32 v4, vcc_lo, 1.0, v0, 1.0
	s_delay_alu instid0(VALU_DEP_1) | instskip(NEXT) | instid1(VALU_DEP_1)
	v_mul_f32_e32 v5, v4, v2
	v_fma_f32 v6, -v1, v5, v4
	s_delay_alu instid0(VALU_DEP_1) | instskip(NEXT) | instid1(VALU_DEP_1)
	v_fmac_f32_e32 v5, v6, v2
	v_fma_f32 v1, -v1, v5, v4
	s_delay_alu instid0(VALU_DEP_1) | instskip(NEXT) | instid1(VALU_DEP_1)
	v_div_fmas_f32 v1, v1, v2, v5
	v_div_fixup_f32 v2, v1, v0, 1.0
	s_delay_alu instid0(VALU_DEP_1)
	v_mul_f32_e64 v3, v3, -v2
.LBB121_52:
	s_or_b32 exec_lo, exec_lo, s1
	ds_store_b64 v221, v[2:3]
.LBB121_53:
	s_or_b32 exec_lo, exec_lo, s2
	s_wait_dscnt 0x0
	s_barrier_signal -1
	s_barrier_wait -1
	ds_load_b64 v[0:1], v221
	s_mov_b32 s1, exec_lo
	s_wait_dscnt 0x0
	scratch_store_b64 off, v[0:1], off offset:488 ; 8-byte Folded Spill
	s_wait_xcnt 0x0
	v_cmpx_lt_u32_e32 5, v220
	s_cbranch_execz .LBB121_55
; %bb.54:
	scratch_load_b64 v[0:1], off, off offset:488 ; 8-byte Folded Reload
	ds_load_2addr_b64 v[6:9], v222 offset0:6 offset1:7
	s_wait_loadcnt 0x0
	v_pk_mul_f32 v[4:5], v[0:1], v[22:23] op_sel:[1,1] op_sel_hi:[0,1]
	s_delay_alu instid0(VALU_DEP_1) | instskip(SKIP_1) | instid1(VALU_DEP_1)
	v_pk_fma_f32 v[2:3], v[0:1], v[22:23], v[4:5] op_sel_hi:[1,0,1] neg_lo:[0,0,1] neg_hi:[0,0,1]
	v_pk_fma_f32 v[4:5], v[0:1], v[22:23], v[4:5] op_sel_hi:[1,0,1]
	v_dual_mov_b32 v22, v2 :: v_dual_mov_b32 v23, v5
	s_wait_dscnt 0x0
	s_delay_alu instid0(VALU_DEP_2) | instskip(NEXT) | instid1(VALU_DEP_1)
	v_pk_mul_f32 v[10:11], v[6:7], v[4:5] op_sel:[0,1]
	v_pk_fma_f32 v[12:13], v[6:7], v[2:3], v[10:11] op_sel:[0,0,1] op_sel_hi:[1,1,0] neg_lo:[0,0,1] neg_hi:[0,0,1]
	v_pk_fma_f32 v[6:7], v[6:7], v[2:3], v[10:11] op_sel:[0,0,1] op_sel_hi:[1,0,0]
	s_delay_alu instid0(VALU_DEP_1) | instskip(SKIP_1) | instid1(VALU_DEP_1)
	v_mov_b32_e32 v13, v7
	v_pk_mul_f32 v[6:7], v[8:9], v[4:5] op_sel:[0,1]
	v_pk_fma_f32 v[10:11], v[8:9], v[2:3], v[6:7] op_sel:[0,0,1] op_sel_hi:[1,1,0] neg_lo:[0,0,1] neg_hi:[0,0,1]
	v_pk_fma_f32 v[6:7], v[8:9], v[2:3], v[6:7] op_sel:[0,0,1] op_sel_hi:[1,0,0]
	s_delay_alu instid0(VALU_DEP_1)
	v_mov_b32_e32 v11, v7
	ds_load_2addr_b64 v[6:9], v222 offset0:8 offset1:9
	v_pk_add_f32 v[24:25], v[24:25], v[12:13] neg_lo:[0,1] neg_hi:[0,1]
	v_pk_add_f32 v[20:21], v[20:21], v[10:11] neg_lo:[0,1] neg_hi:[0,1]
	s_wait_dscnt 0x0
	v_pk_mul_f32 v[10:11], v[6:7], v[4:5] op_sel:[0,1]
	s_delay_alu instid0(VALU_DEP_1) | instskip(SKIP_2) | instid1(VALU_DEP_2)
	v_pk_fma_f32 v[12:13], v[6:7], v[2:3], v[10:11] op_sel:[0,0,1] op_sel_hi:[1,1,0] neg_lo:[0,0,1] neg_hi:[0,0,1]
	v_pk_fma_f32 v[6:7], v[6:7], v[2:3], v[10:11] op_sel:[0,0,1] op_sel_hi:[1,0,0]
	v_dual_mul_f32 v10, v9, v5 :: v_dual_mov_b32 v6, v9
	v_dual_mov_b32 v13, v7 :: v_dual_mov_b32 v7, v8
	s_delay_alu instid0(VALU_DEP_2) | instskip(SKIP_1) | instid1(VALU_DEP_3)
	v_pk_fma_f32 v[10:11], v[8:9], v[22:23], v[10:11] op_sel_hi:[1,1,0] neg_lo:[0,0,1] neg_hi:[0,0,1]
	v_mul_f32_e32 v8, v9, v2
	v_pk_add_f32 v[42:43], v[42:43], v[12:13] neg_lo:[0,1] neg_hi:[0,1]
	s_delay_alu instid0(VALU_DEP_2) | instskip(NEXT) | instid1(VALU_DEP_1)
	v_pk_fma_f32 v[6:7], v[6:7], v[22:23], v[8:9] op_sel_hi:[1,1,0]
	v_mov_b32_e32 v11, v7
	ds_load_2addr_b64 v[6:9], v222 offset0:10 offset1:11
	v_pk_add_f32 v[38:39], v[38:39], v[10:11] neg_lo:[0,1] neg_hi:[0,1]
	s_wait_dscnt 0x0
	v_pk_mul_f32 v[10:11], v[6:7], v[4:5] op_sel:[0,1]
	s_delay_alu instid0(VALU_DEP_1) | instskip(SKIP_1) | instid1(VALU_DEP_1)
	v_pk_fma_f32 v[12:13], v[6:7], v[2:3], v[10:11] op_sel:[0,0,1] op_sel_hi:[1,1,0] neg_lo:[0,0,1] neg_hi:[0,0,1]
	v_pk_fma_f32 v[6:7], v[6:7], v[2:3], v[10:11] op_sel:[0,0,1] op_sel_hi:[1,0,0]
	v_mov_b32_e32 v13, v7
	v_pk_mul_f32 v[6:7], v[8:9], v[4:5] op_sel:[0,1]
	s_delay_alu instid0(VALU_DEP_1) | instskip(SKIP_1) | instid1(VALU_DEP_1)
	v_pk_fma_f32 v[10:11], v[8:9], v[2:3], v[6:7] op_sel:[0,0,1] op_sel_hi:[1,1,0] neg_lo:[0,0,1] neg_hi:[0,0,1]
	v_pk_fma_f32 v[6:7], v[8:9], v[2:3], v[6:7] op_sel:[0,0,1] op_sel_hi:[1,0,0]
	v_mov_b32_e32 v11, v7
	ds_load_2addr_b64 v[6:9], v222 offset0:12 offset1:13
	v_pk_add_f32 v[40:41], v[40:41], v[12:13] neg_lo:[0,1] neg_hi:[0,1]
	v_pk_add_f32 v[36:37], v[36:37], v[10:11] neg_lo:[0,1] neg_hi:[0,1]
	s_wait_dscnt 0x0
	v_pk_mul_f32 v[10:11], v[6:7], v[4:5] op_sel:[0,1]
	s_delay_alu instid0(VALU_DEP_1) | instskip(SKIP_1) | instid1(VALU_DEP_1)
	v_pk_fma_f32 v[12:13], v[6:7], v[2:3], v[10:11] op_sel:[0,0,1] op_sel_hi:[1,1,0] neg_lo:[0,0,1] neg_hi:[0,0,1]
	v_pk_fma_f32 v[6:7], v[6:7], v[2:3], v[10:11] op_sel:[0,0,1] op_sel_hi:[1,0,0]
	v_mov_b32_e32 v13, v7
	v_pk_mul_f32 v[6:7], v[8:9], v[4:5] op_sel:[0,1]
	s_delay_alu instid0(VALU_DEP_1) | instskip(SKIP_1) | instid1(VALU_DEP_1)
	v_pk_fma_f32 v[10:11], v[8:9], v[2:3], v[6:7] op_sel:[0,0,1] op_sel_hi:[1,1,0] neg_lo:[0,0,1] neg_hi:[0,0,1]
	v_pk_fma_f32 v[6:7], v[8:9], v[2:3], v[6:7] op_sel:[0,0,1] op_sel_hi:[1,0,0]
	v_mov_b32_e32 v11, v7
	ds_load_2addr_b64 v[6:9], v222 offset0:14 offset1:15
	v_pk_add_f32 v[66:67], v[66:67], v[12:13] neg_lo:[0,1] neg_hi:[0,1]
	v_pk_add_f32 v[62:63], v[62:63], v[10:11] neg_lo:[0,1] neg_hi:[0,1]
	s_wait_dscnt 0x0
	v_dual_mul_f32 v10, v7, v5 :: v_dual_mul_f32 v12, v7, v2
	s_delay_alu instid0(VALU_DEP_1) | instskip(NEXT) | instid1(VALU_DEP_2)
	v_pk_fma_f32 v[10:11], v[6:7], v[22:23], v[10:11] op_sel_hi:[1,1,0] neg_lo:[0,0,1] neg_hi:[0,0,1]
	v_pk_fma_f32 v[6:7], v[6:7], v[22:23], v[12:13] op_sel:[1,0,0] op_sel_hi:[0,1,0]
	s_delay_alu instid0(VALU_DEP_1) | instskip(SKIP_1) | instid1(VALU_DEP_2)
	v_mov_b32_e32 v11, v7
	v_pk_mul_f32 v[6:7], v[8:9], v[4:5] op_sel:[0,1]
	v_pk_add_f32 v[64:65], v[64:65], v[10:11] neg_lo:[0,1] neg_hi:[0,1]
	s_delay_alu instid0(VALU_DEP_2) | instskip(SKIP_1) | instid1(VALU_DEP_1)
	v_pk_fma_f32 v[10:11], v[8:9], v[2:3], v[6:7] op_sel:[0,0,1] op_sel_hi:[1,1,0] neg_lo:[0,0,1] neg_hi:[0,0,1]
	v_pk_fma_f32 v[6:7], v[8:9], v[2:3], v[6:7] op_sel:[0,0,1] op_sel_hi:[1,0,0]
	v_mov_b32_e32 v11, v7
	ds_load_2addr_b64 v[6:9], v222 offset0:16 offset1:17
	v_pk_add_f32 v[60:61], v[60:61], v[10:11] neg_lo:[0,1] neg_hi:[0,1]
	s_wait_dscnt 0x0
	v_pk_mul_f32 v[10:11], v[6:7], v[4:5] op_sel:[0,1]
	s_delay_alu instid0(VALU_DEP_1) | instskip(SKIP_1) | instid1(VALU_DEP_1)
	v_pk_fma_f32 v[12:13], v[6:7], v[2:3], v[10:11] op_sel:[0,0,1] op_sel_hi:[1,1,0] neg_lo:[0,0,1] neg_hi:[0,0,1]
	v_pk_fma_f32 v[6:7], v[6:7], v[2:3], v[10:11] op_sel:[0,0,1] op_sel_hi:[1,0,0]
	v_mov_b32_e32 v13, v7
	v_pk_mul_f32 v[6:7], v[8:9], v[4:5] op_sel:[0,1]
	s_delay_alu instid0(VALU_DEP_2) | instskip(NEXT) | instid1(VALU_DEP_2)
	v_pk_add_f32 v[82:83], v[82:83], v[12:13] neg_lo:[0,1] neg_hi:[0,1]
	v_pk_fma_f32 v[10:11], v[8:9], v[2:3], v[6:7] op_sel:[0,0,1] op_sel_hi:[1,1,0] neg_lo:[0,0,1] neg_hi:[0,0,1]
	v_pk_fma_f32 v[6:7], v[8:9], v[2:3], v[6:7] op_sel:[0,0,1] op_sel_hi:[1,0,0]
	s_delay_alu instid0(VALU_DEP_1) | instskip(SKIP_4) | instid1(VALU_DEP_1)
	v_mov_b32_e32 v11, v7
	ds_load_2addr_b64 v[6:9], v222 offset0:18 offset1:19
	v_pk_add_f32 v[78:79], v[78:79], v[10:11] neg_lo:[0,1] neg_hi:[0,1]
	s_wait_dscnt 0x0
	v_pk_mul_f32 v[10:11], v[6:7], v[4:5] op_sel:[0,1]
	v_pk_fma_f32 v[12:13], v[6:7], v[2:3], v[10:11] op_sel:[0,0,1] op_sel_hi:[1,1,0] neg_lo:[0,0,1] neg_hi:[0,0,1]
	v_pk_fma_f32 v[6:7], v[6:7], v[2:3], v[10:11] op_sel:[0,0,1] op_sel_hi:[1,0,0]
	v_dual_mul_f32 v10, v9, v5 :: v_dual_mov_b32 v6, v9
	s_delay_alu instid0(VALU_DEP_2) | instskip(NEXT) | instid1(VALU_DEP_2)
	v_dual_mov_b32 v13, v7 :: v_dual_mov_b32 v7, v8
	v_pk_fma_f32 v[10:11], v[8:9], v[22:23], v[10:11] op_sel_hi:[1,1,0] neg_lo:[0,0,1] neg_hi:[0,0,1]
	v_mul_f32_e32 v8, v9, v2
	s_delay_alu instid0(VALU_DEP_3) | instskip(NEXT) | instid1(VALU_DEP_2)
	v_pk_add_f32 v[80:81], v[80:81], v[12:13] neg_lo:[0,1] neg_hi:[0,1]
	v_pk_fma_f32 v[6:7], v[6:7], v[22:23], v[8:9] op_sel_hi:[1,1,0]
	s_delay_alu instid0(VALU_DEP_1) | instskip(SKIP_4) | instid1(VALU_DEP_1)
	v_mov_b32_e32 v11, v7
	ds_load_2addr_b64 v[6:9], v222 offset0:20 offset1:21
	v_pk_add_f32 v[76:77], v[76:77], v[10:11] neg_lo:[0,1] neg_hi:[0,1]
	s_wait_dscnt 0x0
	v_pk_mul_f32 v[10:11], v[6:7], v[4:5] op_sel:[0,1]
	v_pk_fma_f32 v[12:13], v[6:7], v[2:3], v[10:11] op_sel:[0,0,1] op_sel_hi:[1,1,0] neg_lo:[0,0,1] neg_hi:[0,0,1]
	v_pk_fma_f32 v[6:7], v[6:7], v[2:3], v[10:11] op_sel:[0,0,1] op_sel_hi:[1,0,0]
	s_delay_alu instid0(VALU_DEP_1) | instskip(SKIP_1) | instid1(VALU_DEP_1)
	v_mov_b32_e32 v13, v7
	v_pk_mul_f32 v[6:7], v[8:9], v[4:5] op_sel:[0,1]
	v_pk_fma_f32 v[10:11], v[8:9], v[2:3], v[6:7] op_sel:[0,0,1] op_sel_hi:[1,1,0] neg_lo:[0,0,1] neg_hi:[0,0,1]
	v_pk_fma_f32 v[6:7], v[8:9], v[2:3], v[6:7] op_sel:[0,0,1] op_sel_hi:[1,0,0]
	s_delay_alu instid0(VALU_DEP_1)
	v_mov_b32_e32 v11, v7
	ds_load_2addr_b64 v[6:9], v222 offset0:22 offset1:23
	v_pk_add_f32 v[98:99], v[98:99], v[12:13] neg_lo:[0,1] neg_hi:[0,1]
	v_pk_add_f32 v[94:95], v[94:95], v[10:11] neg_lo:[0,1] neg_hi:[0,1]
	s_wait_dscnt 0x0
	v_pk_mul_f32 v[10:11], v[6:7], v[4:5] op_sel:[0,1]
	s_delay_alu instid0(VALU_DEP_1) | instskip(SKIP_1) | instid1(VALU_DEP_1)
	v_pk_fma_f32 v[12:13], v[6:7], v[2:3], v[10:11] op_sel:[0,0,1] op_sel_hi:[1,1,0] neg_lo:[0,0,1] neg_hi:[0,0,1]
	v_pk_fma_f32 v[6:7], v[6:7], v[2:3], v[10:11] op_sel:[0,0,1] op_sel_hi:[1,0,0]
	v_mov_b32_e32 v13, v7
	v_pk_mul_f32 v[6:7], v[8:9], v[4:5] op_sel:[0,1]
	s_delay_alu instid0(VALU_DEP_1) | instskip(SKIP_1) | instid1(VALU_DEP_1)
	v_pk_fma_f32 v[10:11], v[8:9], v[2:3], v[6:7] op_sel:[0,0,1] op_sel_hi:[1,1,0] neg_lo:[0,0,1] neg_hi:[0,0,1]
	v_pk_fma_f32 v[6:7], v[8:9], v[2:3], v[6:7] op_sel:[0,0,1] op_sel_hi:[1,0,0]
	v_mov_b32_e32 v11, v7
	ds_load_2addr_b64 v[6:9], v222 offset0:24 offset1:25
	v_pk_add_f32 v[96:97], v[96:97], v[12:13] neg_lo:[0,1] neg_hi:[0,1]
	v_pk_add_f32 v[92:93], v[92:93], v[10:11] neg_lo:[0,1] neg_hi:[0,1]
	s_wait_dscnt 0x0
	v_dual_mul_f32 v10, v7, v5 :: v_dual_mul_f32 v12, v7, v2
	s_delay_alu instid0(VALU_DEP_1) | instskip(NEXT) | instid1(VALU_DEP_2)
	v_pk_fma_f32 v[10:11], v[6:7], v[22:23], v[10:11] op_sel_hi:[1,1,0] neg_lo:[0,0,1] neg_hi:[0,0,1]
	v_pk_fma_f32 v[6:7], v[6:7], v[22:23], v[12:13] op_sel:[1,0,0] op_sel_hi:[0,1,0]
	s_delay_alu instid0(VALU_DEP_1) | instskip(SKIP_1) | instid1(VALU_DEP_2)
	v_mov_b32_e32 v11, v7
	v_pk_mul_f32 v[6:7], v[8:9], v[4:5] op_sel:[0,1]
	v_pk_add_f32 v[114:115], v[114:115], v[10:11] neg_lo:[0,1] neg_hi:[0,1]
	s_delay_alu instid0(VALU_DEP_2) | instskip(SKIP_1) | instid1(VALU_DEP_1)
	v_pk_fma_f32 v[10:11], v[8:9], v[2:3], v[6:7] op_sel:[0,0,1] op_sel_hi:[1,1,0] neg_lo:[0,0,1] neg_hi:[0,0,1]
	v_pk_fma_f32 v[6:7], v[8:9], v[2:3], v[6:7] op_sel:[0,0,1] op_sel_hi:[1,0,0]
	v_mov_b32_e32 v11, v7
	ds_load_2addr_b64 v[6:9], v222 offset0:26 offset1:27
	v_pk_add_f32 v[110:111], v[110:111], v[10:11] neg_lo:[0,1] neg_hi:[0,1]
	s_wait_dscnt 0x0
	v_pk_mul_f32 v[10:11], v[6:7], v[4:5] op_sel:[0,1]
	s_delay_alu instid0(VALU_DEP_1) | instskip(SKIP_1) | instid1(VALU_DEP_1)
	v_pk_fma_f32 v[12:13], v[6:7], v[2:3], v[10:11] op_sel:[0,0,1] op_sel_hi:[1,1,0] neg_lo:[0,0,1] neg_hi:[0,0,1]
	v_pk_fma_f32 v[6:7], v[6:7], v[2:3], v[10:11] op_sel:[0,0,1] op_sel_hi:[1,0,0]
	v_mov_b32_e32 v13, v7
	v_pk_mul_f32 v[6:7], v[8:9], v[4:5] op_sel:[0,1]
	s_delay_alu instid0(VALU_DEP_2) | instskip(NEXT) | instid1(VALU_DEP_2)
	v_pk_add_f32 v[112:113], v[112:113], v[12:13] neg_lo:[0,1] neg_hi:[0,1]
	v_pk_fma_f32 v[10:11], v[8:9], v[2:3], v[6:7] op_sel:[0,0,1] op_sel_hi:[1,1,0] neg_lo:[0,0,1] neg_hi:[0,0,1]
	v_pk_fma_f32 v[6:7], v[8:9], v[2:3], v[6:7] op_sel:[0,0,1] op_sel_hi:[1,0,0]
	s_delay_alu instid0(VALU_DEP_1) | instskip(SKIP_4) | instid1(VALU_DEP_1)
	v_mov_b32_e32 v11, v7
	ds_load_2addr_b64 v[6:9], v222 offset0:28 offset1:29
	v_pk_add_f32 v[108:109], v[108:109], v[10:11] neg_lo:[0,1] neg_hi:[0,1]
	s_wait_dscnt 0x0
	v_pk_mul_f32 v[10:11], v[6:7], v[4:5] op_sel:[0,1]
	v_pk_fma_f32 v[12:13], v[6:7], v[2:3], v[10:11] op_sel:[0,0,1] op_sel_hi:[1,1,0] neg_lo:[0,0,1] neg_hi:[0,0,1]
	v_pk_fma_f32 v[6:7], v[6:7], v[2:3], v[10:11] op_sel:[0,0,1] op_sel_hi:[1,0,0]
	v_dual_mul_f32 v10, v9, v5 :: v_dual_mov_b32 v6, v9
	s_delay_alu instid0(VALU_DEP_2) | instskip(NEXT) | instid1(VALU_DEP_2)
	v_dual_mov_b32 v13, v7 :: v_dual_mov_b32 v7, v8
	v_pk_fma_f32 v[10:11], v[8:9], v[22:23], v[10:11] op_sel_hi:[1,1,0] neg_lo:[0,0,1] neg_hi:[0,0,1]
	v_mul_f32_e32 v8, v9, v2
	s_delay_alu instid0(VALU_DEP_3) | instskip(NEXT) | instid1(VALU_DEP_2)
	v_pk_add_f32 v[130:131], v[130:131], v[12:13] neg_lo:[0,1] neg_hi:[0,1]
	v_pk_fma_f32 v[6:7], v[6:7], v[22:23], v[8:9] op_sel_hi:[1,1,0]
	s_delay_alu instid0(VALU_DEP_1) | instskip(SKIP_4) | instid1(VALU_DEP_1)
	v_mov_b32_e32 v11, v7
	ds_load_2addr_b64 v[6:9], v222 offset0:30 offset1:31
	v_pk_add_f32 v[126:127], v[126:127], v[10:11] neg_lo:[0,1] neg_hi:[0,1]
	s_wait_dscnt 0x0
	v_pk_mul_f32 v[10:11], v[6:7], v[4:5] op_sel:[0,1]
	v_pk_fma_f32 v[12:13], v[6:7], v[2:3], v[10:11] op_sel:[0,0,1] op_sel_hi:[1,1,0] neg_lo:[0,0,1] neg_hi:[0,0,1]
	v_pk_fma_f32 v[6:7], v[6:7], v[2:3], v[10:11] op_sel:[0,0,1] op_sel_hi:[1,0,0]
	s_delay_alu instid0(VALU_DEP_1) | instskip(SKIP_1) | instid1(VALU_DEP_1)
	v_mov_b32_e32 v13, v7
	v_pk_mul_f32 v[6:7], v[8:9], v[4:5] op_sel:[0,1]
	v_pk_fma_f32 v[10:11], v[8:9], v[2:3], v[6:7] op_sel:[0,0,1] op_sel_hi:[1,1,0] neg_lo:[0,0,1] neg_hi:[0,0,1]
	v_pk_fma_f32 v[6:7], v[8:9], v[2:3], v[6:7] op_sel:[0,0,1] op_sel_hi:[1,0,0]
	s_delay_alu instid0(VALU_DEP_1)
	v_mov_b32_e32 v11, v7
	ds_load_2addr_b64 v[6:9], v222 offset0:32 offset1:33
	v_pk_add_f32 v[128:129], v[128:129], v[12:13] neg_lo:[0,1] neg_hi:[0,1]
	v_pk_add_f32 v[124:125], v[124:125], v[10:11] neg_lo:[0,1] neg_hi:[0,1]
	s_wait_dscnt 0x0
	v_pk_mul_f32 v[10:11], v[6:7], v[4:5] op_sel:[0,1]
	s_delay_alu instid0(VALU_DEP_1) | instskip(SKIP_1) | instid1(VALU_DEP_1)
	v_pk_fma_f32 v[12:13], v[6:7], v[2:3], v[10:11] op_sel:[0,0,1] op_sel_hi:[1,1,0] neg_lo:[0,0,1] neg_hi:[0,0,1]
	v_pk_fma_f32 v[6:7], v[6:7], v[2:3], v[10:11] op_sel:[0,0,1] op_sel_hi:[1,0,0]
	v_mov_b32_e32 v13, v7
	v_pk_mul_f32 v[6:7], v[8:9], v[4:5] op_sel:[0,1]
	s_delay_alu instid0(VALU_DEP_1) | instskip(SKIP_1) | instid1(VALU_DEP_1)
	v_pk_fma_f32 v[10:11], v[8:9], v[2:3], v[6:7] op_sel:[0,0,1] op_sel_hi:[1,1,0] neg_lo:[0,0,1] neg_hi:[0,0,1]
	v_pk_fma_f32 v[6:7], v[8:9], v[2:3], v[6:7] op_sel:[0,0,1] op_sel_hi:[1,0,0]
	v_mov_b32_e32 v11, v7
	ds_load_2addr_b64 v[6:9], v222 offset0:34 offset1:35
	v_pk_add_f32 v[146:147], v[146:147], v[12:13] neg_lo:[0,1] neg_hi:[0,1]
	v_pk_add_f32 v[142:143], v[142:143], v[10:11] neg_lo:[0,1] neg_hi:[0,1]
	s_wait_dscnt 0x0
	v_dual_mul_f32 v10, v7, v5 :: v_dual_mul_f32 v12, v7, v2
	s_delay_alu instid0(VALU_DEP_1) | instskip(NEXT) | instid1(VALU_DEP_2)
	v_pk_fma_f32 v[10:11], v[6:7], v[22:23], v[10:11] op_sel_hi:[1,1,0] neg_lo:[0,0,1] neg_hi:[0,0,1]
	v_pk_fma_f32 v[6:7], v[6:7], v[22:23], v[12:13] op_sel:[1,0,0] op_sel_hi:[0,1,0]
	s_delay_alu instid0(VALU_DEP_1) | instskip(SKIP_1) | instid1(VALU_DEP_2)
	v_mov_b32_e32 v11, v7
	v_pk_mul_f32 v[6:7], v[8:9], v[4:5] op_sel:[0,1]
	v_pk_add_f32 v[144:145], v[144:145], v[10:11] neg_lo:[0,1] neg_hi:[0,1]
	s_delay_alu instid0(VALU_DEP_2) | instskip(SKIP_1) | instid1(VALU_DEP_1)
	v_pk_fma_f32 v[10:11], v[8:9], v[2:3], v[6:7] op_sel:[0,0,1] op_sel_hi:[1,1,0] neg_lo:[0,0,1] neg_hi:[0,0,1]
	v_pk_fma_f32 v[6:7], v[8:9], v[2:3], v[6:7] op_sel:[0,0,1] op_sel_hi:[1,0,0]
	v_mov_b32_e32 v11, v7
	ds_load_2addr_b64 v[6:9], v222 offset0:36 offset1:37
	v_pk_add_f32 v[140:141], v[140:141], v[10:11] neg_lo:[0,1] neg_hi:[0,1]
	s_wait_dscnt 0x0
	v_pk_mul_f32 v[10:11], v[6:7], v[4:5] op_sel:[0,1]
	s_delay_alu instid0(VALU_DEP_1) | instskip(SKIP_1) | instid1(VALU_DEP_1)
	v_pk_fma_f32 v[12:13], v[6:7], v[2:3], v[10:11] op_sel:[0,0,1] op_sel_hi:[1,1,0] neg_lo:[0,0,1] neg_hi:[0,0,1]
	v_pk_fma_f32 v[6:7], v[6:7], v[2:3], v[10:11] op_sel:[0,0,1] op_sel_hi:[1,0,0]
	v_mov_b32_e32 v13, v7
	v_pk_mul_f32 v[6:7], v[8:9], v[4:5] op_sel:[0,1]
	s_delay_alu instid0(VALU_DEP_2) | instskip(NEXT) | instid1(VALU_DEP_2)
	v_pk_add_f32 v[162:163], v[162:163], v[12:13] neg_lo:[0,1] neg_hi:[0,1]
	v_pk_fma_f32 v[10:11], v[8:9], v[2:3], v[6:7] op_sel:[0,0,1] op_sel_hi:[1,1,0] neg_lo:[0,0,1] neg_hi:[0,0,1]
	v_pk_fma_f32 v[6:7], v[8:9], v[2:3], v[6:7] op_sel:[0,0,1] op_sel_hi:[1,0,0]
	s_delay_alu instid0(VALU_DEP_1) | instskip(SKIP_4) | instid1(VALU_DEP_1)
	v_mov_b32_e32 v11, v7
	ds_load_2addr_b64 v[6:9], v222 offset0:38 offset1:39
	v_pk_add_f32 v[158:159], v[158:159], v[10:11] neg_lo:[0,1] neg_hi:[0,1]
	s_wait_dscnt 0x0
	v_pk_mul_f32 v[10:11], v[6:7], v[4:5] op_sel:[0,1]
	v_pk_fma_f32 v[12:13], v[6:7], v[2:3], v[10:11] op_sel:[0,0,1] op_sel_hi:[1,1,0] neg_lo:[0,0,1] neg_hi:[0,0,1]
	v_pk_fma_f32 v[6:7], v[6:7], v[2:3], v[10:11] op_sel:[0,0,1] op_sel_hi:[1,0,0]
	v_dual_mul_f32 v10, v9, v5 :: v_dual_mov_b32 v6, v9
	s_delay_alu instid0(VALU_DEP_2) | instskip(NEXT) | instid1(VALU_DEP_2)
	v_dual_mov_b32 v13, v7 :: v_dual_mov_b32 v7, v8
	v_pk_fma_f32 v[10:11], v[8:9], v[22:23], v[10:11] op_sel_hi:[1,1,0] neg_lo:[0,0,1] neg_hi:[0,0,1]
	v_mul_f32_e32 v8, v9, v2
	s_delay_alu instid0(VALU_DEP_3) | instskip(NEXT) | instid1(VALU_DEP_2)
	v_pk_add_f32 v[160:161], v[160:161], v[12:13] neg_lo:[0,1] neg_hi:[0,1]
	v_pk_fma_f32 v[6:7], v[6:7], v[22:23], v[8:9] op_sel_hi:[1,1,0]
	s_delay_alu instid0(VALU_DEP_1) | instskip(SKIP_4) | instid1(VALU_DEP_1)
	v_mov_b32_e32 v11, v7
	ds_load_2addr_b64 v[6:9], v222 offset0:40 offset1:41
	v_pk_add_f32 v[156:157], v[156:157], v[10:11] neg_lo:[0,1] neg_hi:[0,1]
	s_wait_dscnt 0x0
	v_pk_mul_f32 v[10:11], v[6:7], v[4:5] op_sel:[0,1]
	v_pk_fma_f32 v[12:13], v[6:7], v[2:3], v[10:11] op_sel:[0,0,1] op_sel_hi:[1,1,0] neg_lo:[0,0,1] neg_hi:[0,0,1]
	v_pk_fma_f32 v[6:7], v[6:7], v[2:3], v[10:11] op_sel:[0,0,1] op_sel_hi:[1,0,0]
	s_delay_alu instid0(VALU_DEP_1) | instskip(SKIP_1) | instid1(VALU_DEP_1)
	v_mov_b32_e32 v13, v7
	v_pk_mul_f32 v[6:7], v[8:9], v[4:5] op_sel:[0,1]
	v_pk_fma_f32 v[10:11], v[8:9], v[2:3], v[6:7] op_sel:[0,0,1] op_sel_hi:[1,1,0] neg_lo:[0,0,1] neg_hi:[0,0,1]
	v_pk_fma_f32 v[6:7], v[8:9], v[2:3], v[6:7] op_sel:[0,0,1] op_sel_hi:[1,0,0]
	s_delay_alu instid0(VALU_DEP_1)
	v_mov_b32_e32 v11, v7
	ds_load_2addr_b64 v[6:9], v222 offset0:42 offset1:43
	v_pk_add_f32 v[178:179], v[178:179], v[12:13] neg_lo:[0,1] neg_hi:[0,1]
	v_pk_add_f32 v[174:175], v[174:175], v[10:11] neg_lo:[0,1] neg_hi:[0,1]
	s_wait_dscnt 0x0
	v_pk_mul_f32 v[10:11], v[6:7], v[4:5] op_sel:[0,1]
	s_delay_alu instid0(VALU_DEP_1) | instskip(SKIP_1) | instid1(VALU_DEP_1)
	v_pk_fma_f32 v[12:13], v[6:7], v[2:3], v[10:11] op_sel:[0,0,1] op_sel_hi:[1,1,0] neg_lo:[0,0,1] neg_hi:[0,0,1]
	v_pk_fma_f32 v[6:7], v[6:7], v[2:3], v[10:11] op_sel:[0,0,1] op_sel_hi:[1,0,0]
	v_mov_b32_e32 v13, v7
	v_pk_mul_f32 v[6:7], v[8:9], v[4:5] op_sel:[0,1]
	s_delay_alu instid0(VALU_DEP_1) | instskip(SKIP_1) | instid1(VALU_DEP_1)
	v_pk_fma_f32 v[10:11], v[8:9], v[2:3], v[6:7] op_sel:[0,0,1] op_sel_hi:[1,1,0] neg_lo:[0,0,1] neg_hi:[0,0,1]
	v_pk_fma_f32 v[6:7], v[8:9], v[2:3], v[6:7] op_sel:[0,0,1] op_sel_hi:[1,0,0]
	v_mov_b32_e32 v11, v7
	ds_load_2addr_b64 v[6:9], v222 offset0:44 offset1:45
	v_pk_add_f32 v[176:177], v[176:177], v[12:13] neg_lo:[0,1] neg_hi:[0,1]
	v_pk_add_f32 v[172:173], v[172:173], v[10:11] neg_lo:[0,1] neg_hi:[0,1]
	s_wait_dscnt 0x0
	v_dual_mul_f32 v10, v7, v5 :: v_dual_mul_f32 v12, v7, v2
	s_delay_alu instid0(VALU_DEP_1) | instskip(NEXT) | instid1(VALU_DEP_2)
	v_pk_fma_f32 v[10:11], v[6:7], v[22:23], v[10:11] op_sel_hi:[1,1,0] neg_lo:[0,0,1] neg_hi:[0,0,1]
	v_pk_fma_f32 v[6:7], v[6:7], v[22:23], v[12:13] op_sel:[1,0,0] op_sel_hi:[0,1,0]
	s_delay_alu instid0(VALU_DEP_1) | instskip(SKIP_1) | instid1(VALU_DEP_2)
	v_mov_b32_e32 v11, v7
	v_pk_mul_f32 v[6:7], v[8:9], v[4:5] op_sel:[0,1]
	v_pk_add_f32 v[194:195], v[194:195], v[10:11] neg_lo:[0,1] neg_hi:[0,1]
	s_delay_alu instid0(VALU_DEP_2) | instskip(SKIP_1) | instid1(VALU_DEP_1)
	v_pk_fma_f32 v[10:11], v[8:9], v[2:3], v[6:7] op_sel:[0,0,1] op_sel_hi:[1,1,0] neg_lo:[0,0,1] neg_hi:[0,0,1]
	v_pk_fma_f32 v[6:7], v[8:9], v[2:3], v[6:7] op_sel:[0,0,1] op_sel_hi:[1,0,0]
	v_mov_b32_e32 v11, v7
	ds_load_2addr_b64 v[6:9], v222 offset0:46 offset1:47
	v_pk_add_f32 v[190:191], v[190:191], v[10:11] neg_lo:[0,1] neg_hi:[0,1]
	s_wait_dscnt 0x0
	v_pk_mul_f32 v[10:11], v[6:7], v[4:5] op_sel:[0,1]
	s_delay_alu instid0(VALU_DEP_1) | instskip(SKIP_1) | instid1(VALU_DEP_1)
	v_pk_fma_f32 v[12:13], v[6:7], v[2:3], v[10:11] op_sel:[0,0,1] op_sel_hi:[1,1,0] neg_lo:[0,0,1] neg_hi:[0,0,1]
	v_pk_fma_f32 v[6:7], v[6:7], v[2:3], v[10:11] op_sel:[0,0,1] op_sel_hi:[1,0,0]
	v_mov_b32_e32 v13, v7
	v_pk_mul_f32 v[6:7], v[8:9], v[4:5] op_sel:[0,1]
	s_delay_alu instid0(VALU_DEP_2) | instskip(NEXT) | instid1(VALU_DEP_2)
	v_pk_add_f32 v[192:193], v[192:193], v[12:13] neg_lo:[0,1] neg_hi:[0,1]
	v_pk_fma_f32 v[10:11], v[8:9], v[2:3], v[6:7] op_sel:[0,0,1] op_sel_hi:[1,1,0] neg_lo:[0,0,1] neg_hi:[0,0,1]
	v_pk_fma_f32 v[6:7], v[8:9], v[2:3], v[6:7] op_sel:[0,0,1] op_sel_hi:[1,0,0]
	s_delay_alu instid0(VALU_DEP_1) | instskip(SKIP_4) | instid1(VALU_DEP_1)
	v_mov_b32_e32 v11, v7
	ds_load_2addr_b64 v[6:9], v222 offset0:48 offset1:49
	v_pk_add_f32 v[188:189], v[188:189], v[10:11] neg_lo:[0,1] neg_hi:[0,1]
	s_wait_dscnt 0x0
	v_pk_mul_f32 v[10:11], v[6:7], v[4:5] op_sel:[0,1]
	v_pk_fma_f32 v[12:13], v[6:7], v[2:3], v[10:11] op_sel:[0,0,1] op_sel_hi:[1,1,0] neg_lo:[0,0,1] neg_hi:[0,0,1]
	v_pk_fma_f32 v[6:7], v[6:7], v[2:3], v[10:11] op_sel:[0,0,1] op_sel_hi:[1,0,0]
	v_dual_mul_f32 v10, v9, v5 :: v_dual_mov_b32 v6, v9
	s_delay_alu instid0(VALU_DEP_2) | instskip(NEXT) | instid1(VALU_DEP_2)
	v_dual_mov_b32 v13, v7 :: v_dual_mov_b32 v7, v8
	v_pk_fma_f32 v[10:11], v[8:9], v[22:23], v[10:11] op_sel_hi:[1,1,0] neg_lo:[0,0,1] neg_hi:[0,0,1]
	v_mul_f32_e32 v8, v9, v2
	s_delay_alu instid0(VALU_DEP_3) | instskip(NEXT) | instid1(VALU_DEP_2)
	v_pk_add_f32 v[216:217], v[216:217], v[12:13] neg_lo:[0,1] neg_hi:[0,1]
	v_pk_fma_f32 v[6:7], v[6:7], v[22:23], v[8:9] op_sel_hi:[1,1,0]
	s_delay_alu instid0(VALU_DEP_1) | instskip(SKIP_4) | instid1(VALU_DEP_1)
	v_mov_b32_e32 v11, v7
	ds_load_2addr_b64 v[6:9], v222 offset0:50 offset1:51
	v_pk_add_f32 v[212:213], v[212:213], v[10:11] neg_lo:[0,1] neg_hi:[0,1]
	s_wait_dscnt 0x0
	v_pk_mul_f32 v[10:11], v[6:7], v[4:5] op_sel:[0,1]
	v_pk_fma_f32 v[12:13], v[6:7], v[2:3], v[10:11] op_sel:[0,0,1] op_sel_hi:[1,1,0] neg_lo:[0,0,1] neg_hi:[0,0,1]
	v_pk_fma_f32 v[6:7], v[6:7], v[2:3], v[10:11] op_sel:[0,0,1] op_sel_hi:[1,0,0]
	s_delay_alu instid0(VALU_DEP_1) | instskip(SKIP_1) | instid1(VALU_DEP_1)
	v_mov_b32_e32 v13, v7
	v_pk_mul_f32 v[6:7], v[8:9], v[4:5] op_sel:[0,1]
	v_pk_fma_f32 v[10:11], v[8:9], v[2:3], v[6:7] op_sel:[0,0,1] op_sel_hi:[1,1,0] neg_lo:[0,0,1] neg_hi:[0,0,1]
	v_pk_fma_f32 v[6:7], v[8:9], v[2:3], v[6:7] op_sel:[0,0,1] op_sel_hi:[1,0,0]
	s_delay_alu instid0(VALU_DEP_1)
	v_mov_b32_e32 v11, v7
	ds_load_2addr_b64 v[6:9], v222 offset0:52 offset1:53
	v_pk_add_f32 v[214:215], v[214:215], v[12:13] neg_lo:[0,1] neg_hi:[0,1]
	v_pk_add_f32 v[210:211], v[210:211], v[10:11] neg_lo:[0,1] neg_hi:[0,1]
	s_wait_dscnt 0x0
	v_pk_mul_f32 v[10:11], v[6:7], v[4:5] op_sel:[0,1]
	s_delay_alu instid0(VALU_DEP_1) | instskip(SKIP_1) | instid1(VALU_DEP_1)
	v_pk_fma_f32 v[12:13], v[6:7], v[2:3], v[10:11] op_sel:[0,0,1] op_sel_hi:[1,1,0] neg_lo:[0,0,1] neg_hi:[0,0,1]
	v_pk_fma_f32 v[6:7], v[6:7], v[2:3], v[10:11] op_sel:[0,0,1] op_sel_hi:[1,0,0]
	v_mov_b32_e32 v13, v7
	v_pk_mul_f32 v[6:7], v[8:9], v[4:5] op_sel:[0,1]
	s_delay_alu instid0(VALU_DEP_1) | instskip(SKIP_1) | instid1(VALU_DEP_1)
	v_pk_fma_f32 v[10:11], v[8:9], v[2:3], v[6:7] op_sel:[0,0,1] op_sel_hi:[1,1,0] neg_lo:[0,0,1] neg_hi:[0,0,1]
	v_pk_fma_f32 v[6:7], v[8:9], v[2:3], v[6:7] op_sel:[0,0,1] op_sel_hi:[1,0,0]
	v_mov_b32_e32 v11, v7
	ds_load_2addr_b64 v[6:9], v222 offset0:54 offset1:55
	v_pk_add_f32 v[240:241], v[240:241], v[12:13] neg_lo:[0,1] neg_hi:[0,1]
	v_pk_add_f32 v[232:233], v[232:233], v[10:11] neg_lo:[0,1] neg_hi:[0,1]
	s_wait_dscnt 0x0
	v_dual_mul_f32 v10, v7, v5 :: v_dual_mul_f32 v12, v7, v2
	s_delay_alu instid0(VALU_DEP_1) | instskip(NEXT) | instid1(VALU_DEP_2)
	v_pk_fma_f32 v[10:11], v[6:7], v[22:23], v[10:11] op_sel_hi:[1,1,0] neg_lo:[0,0,1] neg_hi:[0,0,1]
	v_pk_fma_f32 v[6:7], v[6:7], v[22:23], v[12:13] op_sel:[1,0,0] op_sel_hi:[0,1,0]
	s_delay_alu instid0(VALU_DEP_1) | instskip(SKIP_1) | instid1(VALU_DEP_2)
	v_mov_b32_e32 v11, v7
	v_pk_mul_f32 v[6:7], v[8:9], v[4:5] op_sel:[0,1]
	v_pk_add_f32 v[238:239], v[238:239], v[10:11] neg_lo:[0,1] neg_hi:[0,1]
	s_delay_alu instid0(VALU_DEP_2) | instskip(SKIP_1) | instid1(VALU_DEP_1)
	v_pk_fma_f32 v[10:11], v[8:9], v[2:3], v[6:7] op_sel:[0,0,1] op_sel_hi:[1,1,0] neg_lo:[0,0,1] neg_hi:[0,0,1]
	v_pk_fma_f32 v[6:7], v[8:9], v[2:3], v[6:7] op_sel:[0,0,1] op_sel_hi:[1,0,0]
	v_mov_b32_e32 v11, v7
	ds_load_2addr_b64 v[6:9], v222 offset0:56 offset1:57
	v_pk_add_f32 v[230:231], v[230:231], v[10:11] neg_lo:[0,1] neg_hi:[0,1]
	s_wait_dscnt 0x0
	v_pk_mul_f32 v[10:11], v[6:7], v[4:5] op_sel:[0,1]
	s_delay_alu instid0(VALU_DEP_1) | instskip(SKIP_1) | instid1(VALU_DEP_1)
	v_pk_fma_f32 v[12:13], v[6:7], v[2:3], v[10:11] op_sel:[0,0,1] op_sel_hi:[1,1,0] neg_lo:[0,0,1] neg_hi:[0,0,1]
	v_pk_fma_f32 v[6:7], v[6:7], v[2:3], v[10:11] op_sel:[0,0,1] op_sel_hi:[1,0,0]
	v_mov_b32_e32 v13, v7
	v_pk_mul_f32 v[6:7], v[8:9], v[4:5] op_sel:[0,1]
	s_delay_alu instid0(VALU_DEP_2) | instskip(NEXT) | instid1(VALU_DEP_2)
	v_pk_add_f32 v[236:237], v[236:237], v[12:13] neg_lo:[0,1] neg_hi:[0,1]
	v_pk_fma_f32 v[10:11], v[8:9], v[2:3], v[6:7] op_sel:[0,0,1] op_sel_hi:[1,1,0] neg_lo:[0,0,1] neg_hi:[0,0,1]
	v_pk_fma_f32 v[6:7], v[8:9], v[2:3], v[6:7] op_sel:[0,0,1] op_sel_hi:[1,0,0]
	s_delay_alu instid0(VALU_DEP_1) | instskip(SKIP_4) | instid1(VALU_DEP_1)
	v_mov_b32_e32 v11, v7
	ds_load_2addr_b64 v[6:9], v222 offset0:58 offset1:59
	v_pk_add_f32 v[228:229], v[228:229], v[10:11] neg_lo:[0,1] neg_hi:[0,1]
	s_wait_dscnt 0x0
	v_pk_mul_f32 v[10:11], v[6:7], v[4:5] op_sel:[0,1]
	v_pk_fma_f32 v[12:13], v[6:7], v[2:3], v[10:11] op_sel:[0,0,1] op_sel_hi:[1,1,0] neg_lo:[0,0,1] neg_hi:[0,0,1]
	v_pk_fma_f32 v[6:7], v[6:7], v[2:3], v[10:11] op_sel:[0,0,1] op_sel_hi:[1,0,0]
	v_dual_mul_f32 v10, v9, v5 :: v_dual_mov_b32 v6, v9
	s_delay_alu instid0(VALU_DEP_2) | instskip(NEXT) | instid1(VALU_DEP_2)
	v_dual_mov_b32 v13, v7 :: v_dual_mov_b32 v7, v8
	v_pk_fma_f32 v[10:11], v[8:9], v[22:23], v[10:11] op_sel_hi:[1,1,0] neg_lo:[0,0,1] neg_hi:[0,0,1]
	v_mul_f32_e32 v8, v9, v2
	s_delay_alu instid0(VALU_DEP_3) | instskip(NEXT) | instid1(VALU_DEP_2)
	v_pk_add_f32 v[234:235], v[234:235], v[12:13] neg_lo:[0,1] neg_hi:[0,1]
	v_pk_fma_f32 v[6:7], v[6:7], v[22:23], v[8:9] op_sel_hi:[1,1,0]
	s_delay_alu instid0(VALU_DEP_1) | instskip(SKIP_4) | instid1(VALU_DEP_1)
	v_mov_b32_e32 v11, v7
	ds_load_b64 v[6:7], v222 offset:480
	v_pk_add_f32 v[242:243], v[242:243], v[10:11] neg_lo:[0,1] neg_hi:[0,1]
	s_wait_dscnt 0x0
	v_pk_mul_f32 v[4:5], v[6:7], v[4:5] op_sel:[0,1]
	v_pk_fma_f32 v[8:9], v[6:7], v[2:3], v[4:5] op_sel:[0,0,1] op_sel_hi:[1,1,0] neg_lo:[0,0,1] neg_hi:[0,0,1]
	v_pk_fma_f32 v[2:3], v[6:7], v[2:3], v[4:5] op_sel:[0,0,1] op_sel_hi:[1,0,0]
	s_delay_alu instid0(VALU_DEP_1) | instskip(NEXT) | instid1(VALU_DEP_1)
	v_mov_b32_e32 v9, v3
	v_pk_add_f32 v[244:245], v[244:245], v[8:9] neg_lo:[0,1] neg_hi:[0,1]
.LBB121_55:
	s_wait_xcnt 0x0
	s_or_b32 exec_lo, exec_lo, s1
	s_delay_alu instid0(SALU_CYCLE_1)
	s_mov_b32 s2, exec_lo
	s_wait_storecnt 0x0
	s_barrier_signal -1
	s_barrier_wait -1
	v_cmpx_eq_u32_e32 6, v220
	s_cbranch_execz .LBB121_62
; %bb.56:
	ds_store_b64 v221, v[24:25]
	ds_store_2addr_b64 v222, v[20:21], v[42:43] offset0:7 offset1:8
	ds_store_2addr_b64 v222, v[38:39], v[40:41] offset0:9 offset1:10
	;; [unrolled: 1-line block ×27, first 2 shown]
	ds_load_b64 v[2:3], v221
	s_wait_dscnt 0x0
	v_cmp_neq_f32_e32 vcc_lo, 0, v2
	v_cmp_neq_f32_e64 s1, 0, v3
	s_or_b32 s1, vcc_lo, s1
	s_delay_alu instid0(SALU_CYCLE_1)
	s_and_b32 exec_lo, exec_lo, s1
	s_cbranch_execz .LBB121_62
; %bb.57:
	v_cmp_ngt_f32_e64 s1, |v2|, |v3|
                                        ; implicit-def: $vgpr4_vgpr5
	s_and_saveexec_b32 s4, s1
	s_delay_alu instid0(SALU_CYCLE_1)
	s_xor_b32 s1, exec_lo, s4
	s_cbranch_execz .LBB121_59
; %bb.58:
	v_div_scale_f32 v4, null, v3, v3, v2
	v_div_scale_f32 v7, vcc_lo, v2, v3, v2
	s_delay_alu instid0(VALU_DEP_2) | instskip(SKIP_1) | instid1(TRANS32_DEP_1)
	v_rcp_f32_e32 v5, v4
	v_nop
	v_fma_f32 v6, -v4, v5, 1.0
	s_delay_alu instid0(VALU_DEP_1) | instskip(NEXT) | instid1(VALU_DEP_1)
	v_fmac_f32_e32 v5, v6, v5
	v_mul_f32_e32 v6, v7, v5
	s_delay_alu instid0(VALU_DEP_1) | instskip(NEXT) | instid1(VALU_DEP_1)
	v_fma_f32 v8, -v4, v6, v7
	v_fmac_f32_e32 v6, v8, v5
	s_delay_alu instid0(VALU_DEP_1) | instskip(NEXT) | instid1(VALU_DEP_1)
	v_fma_f32 v4, -v4, v6, v7
	v_div_fmas_f32 v4, v4, v5, v6
	s_delay_alu instid0(VALU_DEP_1) | instskip(NEXT) | instid1(VALU_DEP_1)
	v_div_fixup_f32 v4, v4, v3, v2
	v_fmac_f32_e32 v3, v2, v4
	s_delay_alu instid0(VALU_DEP_1) | instskip(SKIP_1) | instid1(VALU_DEP_2)
	v_div_scale_f32 v2, null, v3, v3, 1.0
	v_div_scale_f32 v7, vcc_lo, 1.0, v3, 1.0
	v_rcp_f32_e32 v5, v2
	v_nop
	s_delay_alu instid0(TRANS32_DEP_1) | instskip(NEXT) | instid1(VALU_DEP_1)
	v_fma_f32 v6, -v2, v5, 1.0
	v_fmac_f32_e32 v5, v6, v5
	s_delay_alu instid0(VALU_DEP_1) | instskip(NEXT) | instid1(VALU_DEP_1)
	v_mul_f32_e32 v6, v7, v5
	v_fma_f32 v8, -v2, v6, v7
	s_delay_alu instid0(VALU_DEP_1) | instskip(NEXT) | instid1(VALU_DEP_1)
	v_fmac_f32_e32 v6, v8, v5
	v_fma_f32 v2, -v2, v6, v7
	s_delay_alu instid0(VALU_DEP_1) | instskip(NEXT) | instid1(VALU_DEP_1)
	v_div_fmas_f32 v2, v2, v5, v6
	v_div_fixup_f32 v2, v2, v3, 1.0
	s_delay_alu instid0(VALU_DEP_1)
	v_mul_f32_e32 v4, v4, v2
	v_xor_b32_e32 v5, 0x80000000, v2
                                        ; implicit-def: $vgpr2_vgpr3
.LBB121_59:
	s_and_not1_saveexec_b32 s1, s1
	s_cbranch_execz .LBB121_61
; %bb.60:
	v_div_scale_f32 v4, null, v2, v2, v3
	v_div_scale_f32 v7, vcc_lo, v3, v2, v3
	s_delay_alu instid0(VALU_DEP_2) | instskip(SKIP_1) | instid1(TRANS32_DEP_1)
	v_rcp_f32_e32 v5, v4
	v_nop
	v_fma_f32 v6, -v4, v5, 1.0
	s_delay_alu instid0(VALU_DEP_1) | instskip(NEXT) | instid1(VALU_DEP_1)
	v_fmac_f32_e32 v5, v6, v5
	v_mul_f32_e32 v6, v7, v5
	s_delay_alu instid0(VALU_DEP_1) | instskip(NEXT) | instid1(VALU_DEP_1)
	v_fma_f32 v8, -v4, v6, v7
	v_fmac_f32_e32 v6, v8, v5
	s_delay_alu instid0(VALU_DEP_1) | instskip(NEXT) | instid1(VALU_DEP_1)
	v_fma_f32 v4, -v4, v6, v7
	v_div_fmas_f32 v4, v4, v5, v6
	s_delay_alu instid0(VALU_DEP_1) | instskip(NEXT) | instid1(VALU_DEP_1)
	v_div_fixup_f32 v5, v4, v2, v3
	v_fmac_f32_e32 v2, v3, v5
	s_delay_alu instid0(VALU_DEP_1) | instskip(NEXT) | instid1(VALU_DEP_1)
	v_div_scale_f32 v3, null, v2, v2, 1.0
	v_rcp_f32_e32 v4, v3
	v_nop
	s_delay_alu instid0(TRANS32_DEP_1) | instskip(NEXT) | instid1(VALU_DEP_1)
	v_fma_f32 v6, -v3, v4, 1.0
	v_fmac_f32_e32 v4, v6, v4
	v_div_scale_f32 v6, vcc_lo, 1.0, v2, 1.0
	s_delay_alu instid0(VALU_DEP_1) | instskip(NEXT) | instid1(VALU_DEP_1)
	v_mul_f32_e32 v7, v6, v4
	v_fma_f32 v8, -v3, v7, v6
	s_delay_alu instid0(VALU_DEP_1) | instskip(NEXT) | instid1(VALU_DEP_1)
	v_fmac_f32_e32 v7, v8, v4
	v_fma_f32 v3, -v3, v7, v6
	s_delay_alu instid0(VALU_DEP_1) | instskip(NEXT) | instid1(VALU_DEP_1)
	v_div_fmas_f32 v3, v3, v4, v7
	v_div_fixup_f32 v4, v3, v2, 1.0
	s_delay_alu instid0(VALU_DEP_1)
	v_mul_f32_e64 v5, v5, -v4
.LBB121_61:
	s_or_b32 exec_lo, exec_lo, s1
	ds_store_b64 v221, v[4:5]
.LBB121_62:
	s_or_b32 exec_lo, exec_lo, s2
	s_wait_dscnt 0x0
	s_barrier_signal -1
	s_barrier_wait -1
	ds_load_b64 v[2:3], v221
	s_mov_b32 s1, exec_lo
	v_cmpx_lt_u32_e32 6, v220
	s_cbranch_execz .LBB121_64
; %bb.63:
	ds_load_2addr_b64 v[8:11], v222 offset0:7 offset1:8
	s_wait_dscnt 0x1
	v_pk_mul_f32 v[6:7], v[2:3], v[24:25] op_sel:[1,1] op_sel_hi:[0,1]
	s_delay_alu instid0(VALU_DEP_1) | instskip(SKIP_1) | instid1(VALU_DEP_1)
	v_pk_fma_f32 v[4:5], v[2:3], v[24:25], v[6:7] op_sel_hi:[1,0,1] neg_lo:[0,0,1] neg_hi:[0,0,1]
	v_pk_fma_f32 v[6:7], v[2:3], v[24:25], v[6:7] op_sel_hi:[1,0,1]
	v_dual_mov_b32 v24, v4 :: v_dual_mov_b32 v25, v7
	s_wait_dscnt 0x0
	s_delay_alu instid0(VALU_DEP_2) | instskip(NEXT) | instid1(VALU_DEP_1)
	v_pk_mul_f32 v[12:13], v[8:9], v[6:7] op_sel:[0,1]
	v_pk_fma_f32 v[14:15], v[8:9], v[4:5], v[12:13] op_sel:[0,0,1] op_sel_hi:[1,1,0] neg_lo:[0,0,1] neg_hi:[0,0,1]
	v_pk_fma_f32 v[8:9], v[8:9], v[4:5], v[12:13] op_sel:[0,0,1] op_sel_hi:[1,0,0]
	s_delay_alu instid0(VALU_DEP_1) | instskip(SKIP_1) | instid1(VALU_DEP_1)
	v_mov_b32_e32 v15, v9
	v_pk_mul_f32 v[8:9], v[10:11], v[6:7] op_sel:[0,1]
	v_pk_fma_f32 v[12:13], v[10:11], v[4:5], v[8:9] op_sel:[0,0,1] op_sel_hi:[1,1,0] neg_lo:[0,0,1] neg_hi:[0,0,1]
	v_pk_fma_f32 v[8:9], v[10:11], v[4:5], v[8:9] op_sel:[0,0,1] op_sel_hi:[1,0,0]
	s_delay_alu instid0(VALU_DEP_1)
	v_mov_b32_e32 v13, v9
	ds_load_2addr_b64 v[8:11], v222 offset0:9 offset1:10
	v_pk_add_f32 v[20:21], v[20:21], v[14:15] neg_lo:[0,1] neg_hi:[0,1]
	v_pk_add_f32 v[42:43], v[42:43], v[12:13] neg_lo:[0,1] neg_hi:[0,1]
	s_wait_dscnt 0x0
	v_pk_mul_f32 v[12:13], v[8:9], v[6:7] op_sel:[0,1]
	s_delay_alu instid0(VALU_DEP_1) | instskip(SKIP_2) | instid1(VALU_DEP_2)
	v_pk_fma_f32 v[14:15], v[8:9], v[4:5], v[12:13] op_sel:[0,0,1] op_sel_hi:[1,1,0] neg_lo:[0,0,1] neg_hi:[0,0,1]
	v_pk_fma_f32 v[8:9], v[8:9], v[4:5], v[12:13] op_sel:[0,0,1] op_sel_hi:[1,0,0]
	v_dual_mul_f32 v12, v11, v7 :: v_dual_mov_b32 v8, v11
	v_dual_mov_b32 v15, v9 :: v_dual_mov_b32 v9, v10
	s_delay_alu instid0(VALU_DEP_2) | instskip(SKIP_1) | instid1(VALU_DEP_3)
	v_pk_fma_f32 v[12:13], v[10:11], v[24:25], v[12:13] op_sel_hi:[1,1,0] neg_lo:[0,0,1] neg_hi:[0,0,1]
	v_mul_f32_e32 v10, v11, v4
	v_pk_add_f32 v[38:39], v[38:39], v[14:15] neg_lo:[0,1] neg_hi:[0,1]
	s_delay_alu instid0(VALU_DEP_2) | instskip(NEXT) | instid1(VALU_DEP_1)
	v_pk_fma_f32 v[8:9], v[8:9], v[24:25], v[10:11] op_sel_hi:[1,1,0]
	v_mov_b32_e32 v13, v9
	ds_load_2addr_b64 v[8:11], v222 offset0:11 offset1:12
	v_pk_add_f32 v[40:41], v[40:41], v[12:13] neg_lo:[0,1] neg_hi:[0,1]
	s_wait_dscnt 0x0
	v_pk_mul_f32 v[12:13], v[8:9], v[6:7] op_sel:[0,1]
	s_delay_alu instid0(VALU_DEP_1) | instskip(SKIP_1) | instid1(VALU_DEP_1)
	v_pk_fma_f32 v[14:15], v[8:9], v[4:5], v[12:13] op_sel:[0,0,1] op_sel_hi:[1,1,0] neg_lo:[0,0,1] neg_hi:[0,0,1]
	v_pk_fma_f32 v[8:9], v[8:9], v[4:5], v[12:13] op_sel:[0,0,1] op_sel_hi:[1,0,0]
	v_mov_b32_e32 v15, v9
	v_pk_mul_f32 v[8:9], v[10:11], v[6:7] op_sel:[0,1]
	s_delay_alu instid0(VALU_DEP_1) | instskip(SKIP_1) | instid1(VALU_DEP_1)
	v_pk_fma_f32 v[12:13], v[10:11], v[4:5], v[8:9] op_sel:[0,0,1] op_sel_hi:[1,1,0] neg_lo:[0,0,1] neg_hi:[0,0,1]
	v_pk_fma_f32 v[8:9], v[10:11], v[4:5], v[8:9] op_sel:[0,0,1] op_sel_hi:[1,0,0]
	v_mov_b32_e32 v13, v9
	ds_load_2addr_b64 v[8:11], v222 offset0:13 offset1:14
	v_pk_add_f32 v[36:37], v[36:37], v[14:15] neg_lo:[0,1] neg_hi:[0,1]
	v_pk_add_f32 v[66:67], v[66:67], v[12:13] neg_lo:[0,1] neg_hi:[0,1]
	s_wait_dscnt 0x0
	v_pk_mul_f32 v[12:13], v[8:9], v[6:7] op_sel:[0,1]
	s_delay_alu instid0(VALU_DEP_1) | instskip(SKIP_1) | instid1(VALU_DEP_1)
	v_pk_fma_f32 v[14:15], v[8:9], v[4:5], v[12:13] op_sel:[0,0,1] op_sel_hi:[1,1,0] neg_lo:[0,0,1] neg_hi:[0,0,1]
	v_pk_fma_f32 v[8:9], v[8:9], v[4:5], v[12:13] op_sel:[0,0,1] op_sel_hi:[1,0,0]
	v_mov_b32_e32 v15, v9
	v_pk_mul_f32 v[8:9], v[10:11], v[6:7] op_sel:[0,1]
	s_delay_alu instid0(VALU_DEP_1) | instskip(SKIP_1) | instid1(VALU_DEP_1)
	v_pk_fma_f32 v[12:13], v[10:11], v[4:5], v[8:9] op_sel:[0,0,1] op_sel_hi:[1,1,0] neg_lo:[0,0,1] neg_hi:[0,0,1]
	v_pk_fma_f32 v[8:9], v[10:11], v[4:5], v[8:9] op_sel:[0,0,1] op_sel_hi:[1,0,0]
	v_mov_b32_e32 v13, v9
	ds_load_2addr_b64 v[8:11], v222 offset0:15 offset1:16
	v_pk_add_f32 v[62:63], v[62:63], v[14:15] neg_lo:[0,1] neg_hi:[0,1]
	v_pk_add_f32 v[64:65], v[64:65], v[12:13] neg_lo:[0,1] neg_hi:[0,1]
	s_wait_dscnt 0x0
	v_dual_mul_f32 v12, v9, v7 :: v_dual_mul_f32 v14, v9, v4
	s_delay_alu instid0(VALU_DEP_1) | instskip(NEXT) | instid1(VALU_DEP_2)
	v_pk_fma_f32 v[12:13], v[8:9], v[24:25], v[12:13] op_sel_hi:[1,1,0] neg_lo:[0,0,1] neg_hi:[0,0,1]
	v_pk_fma_f32 v[8:9], v[8:9], v[24:25], v[14:15] op_sel:[1,0,0] op_sel_hi:[0,1,0]
	s_delay_alu instid0(VALU_DEP_1) | instskip(SKIP_1) | instid1(VALU_DEP_2)
	v_mov_b32_e32 v13, v9
	v_pk_mul_f32 v[8:9], v[10:11], v[6:7] op_sel:[0,1]
	v_pk_add_f32 v[60:61], v[60:61], v[12:13] neg_lo:[0,1] neg_hi:[0,1]
	s_delay_alu instid0(VALU_DEP_2) | instskip(SKIP_1) | instid1(VALU_DEP_1)
	v_pk_fma_f32 v[12:13], v[10:11], v[4:5], v[8:9] op_sel:[0,0,1] op_sel_hi:[1,1,0] neg_lo:[0,0,1] neg_hi:[0,0,1]
	v_pk_fma_f32 v[8:9], v[10:11], v[4:5], v[8:9] op_sel:[0,0,1] op_sel_hi:[1,0,0]
	v_mov_b32_e32 v13, v9
	ds_load_2addr_b64 v[8:11], v222 offset0:17 offset1:18
	v_pk_add_f32 v[82:83], v[82:83], v[12:13] neg_lo:[0,1] neg_hi:[0,1]
	s_wait_dscnt 0x0
	v_pk_mul_f32 v[12:13], v[8:9], v[6:7] op_sel:[0,1]
	s_delay_alu instid0(VALU_DEP_1) | instskip(SKIP_1) | instid1(VALU_DEP_1)
	v_pk_fma_f32 v[14:15], v[8:9], v[4:5], v[12:13] op_sel:[0,0,1] op_sel_hi:[1,1,0] neg_lo:[0,0,1] neg_hi:[0,0,1]
	v_pk_fma_f32 v[8:9], v[8:9], v[4:5], v[12:13] op_sel:[0,0,1] op_sel_hi:[1,0,0]
	v_mov_b32_e32 v15, v9
	v_pk_mul_f32 v[8:9], v[10:11], v[6:7] op_sel:[0,1]
	s_delay_alu instid0(VALU_DEP_2) | instskip(NEXT) | instid1(VALU_DEP_2)
	v_pk_add_f32 v[78:79], v[78:79], v[14:15] neg_lo:[0,1] neg_hi:[0,1]
	v_pk_fma_f32 v[12:13], v[10:11], v[4:5], v[8:9] op_sel:[0,0,1] op_sel_hi:[1,1,0] neg_lo:[0,0,1] neg_hi:[0,0,1]
	v_pk_fma_f32 v[8:9], v[10:11], v[4:5], v[8:9] op_sel:[0,0,1] op_sel_hi:[1,0,0]
	s_delay_alu instid0(VALU_DEP_1) | instskip(SKIP_4) | instid1(VALU_DEP_1)
	v_mov_b32_e32 v13, v9
	ds_load_2addr_b64 v[8:11], v222 offset0:19 offset1:20
	v_pk_add_f32 v[80:81], v[80:81], v[12:13] neg_lo:[0,1] neg_hi:[0,1]
	s_wait_dscnt 0x0
	v_pk_mul_f32 v[12:13], v[8:9], v[6:7] op_sel:[0,1]
	v_pk_fma_f32 v[14:15], v[8:9], v[4:5], v[12:13] op_sel:[0,0,1] op_sel_hi:[1,1,0] neg_lo:[0,0,1] neg_hi:[0,0,1]
	v_pk_fma_f32 v[8:9], v[8:9], v[4:5], v[12:13] op_sel:[0,0,1] op_sel_hi:[1,0,0]
	v_dual_mul_f32 v12, v11, v7 :: v_dual_mov_b32 v8, v11
	s_delay_alu instid0(VALU_DEP_2) | instskip(NEXT) | instid1(VALU_DEP_2)
	v_dual_mov_b32 v15, v9 :: v_dual_mov_b32 v9, v10
	v_pk_fma_f32 v[12:13], v[10:11], v[24:25], v[12:13] op_sel_hi:[1,1,0] neg_lo:[0,0,1] neg_hi:[0,0,1]
	v_mul_f32_e32 v10, v11, v4
	s_delay_alu instid0(VALU_DEP_3) | instskip(NEXT) | instid1(VALU_DEP_2)
	v_pk_add_f32 v[76:77], v[76:77], v[14:15] neg_lo:[0,1] neg_hi:[0,1]
	v_pk_fma_f32 v[8:9], v[8:9], v[24:25], v[10:11] op_sel_hi:[1,1,0]
	s_delay_alu instid0(VALU_DEP_1) | instskip(SKIP_4) | instid1(VALU_DEP_1)
	v_mov_b32_e32 v13, v9
	ds_load_2addr_b64 v[8:11], v222 offset0:21 offset1:22
	v_pk_add_f32 v[98:99], v[98:99], v[12:13] neg_lo:[0,1] neg_hi:[0,1]
	s_wait_dscnt 0x0
	v_pk_mul_f32 v[12:13], v[8:9], v[6:7] op_sel:[0,1]
	v_pk_fma_f32 v[14:15], v[8:9], v[4:5], v[12:13] op_sel:[0,0,1] op_sel_hi:[1,1,0] neg_lo:[0,0,1] neg_hi:[0,0,1]
	v_pk_fma_f32 v[8:9], v[8:9], v[4:5], v[12:13] op_sel:[0,0,1] op_sel_hi:[1,0,0]
	s_delay_alu instid0(VALU_DEP_1) | instskip(SKIP_1) | instid1(VALU_DEP_1)
	v_mov_b32_e32 v15, v9
	v_pk_mul_f32 v[8:9], v[10:11], v[6:7] op_sel:[0,1]
	v_pk_fma_f32 v[12:13], v[10:11], v[4:5], v[8:9] op_sel:[0,0,1] op_sel_hi:[1,1,0] neg_lo:[0,0,1] neg_hi:[0,0,1]
	v_pk_fma_f32 v[8:9], v[10:11], v[4:5], v[8:9] op_sel:[0,0,1] op_sel_hi:[1,0,0]
	s_delay_alu instid0(VALU_DEP_1)
	v_mov_b32_e32 v13, v9
	ds_load_2addr_b64 v[8:11], v222 offset0:23 offset1:24
	v_pk_add_f32 v[94:95], v[94:95], v[14:15] neg_lo:[0,1] neg_hi:[0,1]
	v_pk_add_f32 v[96:97], v[96:97], v[12:13] neg_lo:[0,1] neg_hi:[0,1]
	s_wait_dscnt 0x0
	v_pk_mul_f32 v[12:13], v[8:9], v[6:7] op_sel:[0,1]
	s_delay_alu instid0(VALU_DEP_1) | instskip(SKIP_1) | instid1(VALU_DEP_1)
	v_pk_fma_f32 v[14:15], v[8:9], v[4:5], v[12:13] op_sel:[0,0,1] op_sel_hi:[1,1,0] neg_lo:[0,0,1] neg_hi:[0,0,1]
	v_pk_fma_f32 v[8:9], v[8:9], v[4:5], v[12:13] op_sel:[0,0,1] op_sel_hi:[1,0,0]
	v_mov_b32_e32 v15, v9
	v_pk_mul_f32 v[8:9], v[10:11], v[6:7] op_sel:[0,1]
	s_delay_alu instid0(VALU_DEP_1) | instskip(SKIP_1) | instid1(VALU_DEP_1)
	v_pk_fma_f32 v[12:13], v[10:11], v[4:5], v[8:9] op_sel:[0,0,1] op_sel_hi:[1,1,0] neg_lo:[0,0,1] neg_hi:[0,0,1]
	v_pk_fma_f32 v[8:9], v[10:11], v[4:5], v[8:9] op_sel:[0,0,1] op_sel_hi:[1,0,0]
	v_mov_b32_e32 v13, v9
	ds_load_2addr_b64 v[8:11], v222 offset0:25 offset1:26
	v_pk_add_f32 v[92:93], v[92:93], v[14:15] neg_lo:[0,1] neg_hi:[0,1]
	v_pk_add_f32 v[114:115], v[114:115], v[12:13] neg_lo:[0,1] neg_hi:[0,1]
	s_wait_dscnt 0x0
	v_dual_mul_f32 v12, v9, v7 :: v_dual_mul_f32 v14, v9, v4
	s_delay_alu instid0(VALU_DEP_1) | instskip(NEXT) | instid1(VALU_DEP_2)
	v_pk_fma_f32 v[12:13], v[8:9], v[24:25], v[12:13] op_sel_hi:[1,1,0] neg_lo:[0,0,1] neg_hi:[0,0,1]
	v_pk_fma_f32 v[8:9], v[8:9], v[24:25], v[14:15] op_sel:[1,0,0] op_sel_hi:[0,1,0]
	s_delay_alu instid0(VALU_DEP_1) | instskip(SKIP_1) | instid1(VALU_DEP_2)
	v_mov_b32_e32 v13, v9
	v_pk_mul_f32 v[8:9], v[10:11], v[6:7] op_sel:[0,1]
	v_pk_add_f32 v[110:111], v[110:111], v[12:13] neg_lo:[0,1] neg_hi:[0,1]
	s_delay_alu instid0(VALU_DEP_2) | instskip(SKIP_1) | instid1(VALU_DEP_1)
	v_pk_fma_f32 v[12:13], v[10:11], v[4:5], v[8:9] op_sel:[0,0,1] op_sel_hi:[1,1,0] neg_lo:[0,0,1] neg_hi:[0,0,1]
	v_pk_fma_f32 v[8:9], v[10:11], v[4:5], v[8:9] op_sel:[0,0,1] op_sel_hi:[1,0,0]
	v_mov_b32_e32 v13, v9
	ds_load_2addr_b64 v[8:11], v222 offset0:27 offset1:28
	v_pk_add_f32 v[112:113], v[112:113], v[12:13] neg_lo:[0,1] neg_hi:[0,1]
	s_wait_dscnt 0x0
	v_pk_mul_f32 v[12:13], v[8:9], v[6:7] op_sel:[0,1]
	s_delay_alu instid0(VALU_DEP_1) | instskip(SKIP_1) | instid1(VALU_DEP_1)
	v_pk_fma_f32 v[14:15], v[8:9], v[4:5], v[12:13] op_sel:[0,0,1] op_sel_hi:[1,1,0] neg_lo:[0,0,1] neg_hi:[0,0,1]
	v_pk_fma_f32 v[8:9], v[8:9], v[4:5], v[12:13] op_sel:[0,0,1] op_sel_hi:[1,0,0]
	v_mov_b32_e32 v15, v9
	v_pk_mul_f32 v[8:9], v[10:11], v[6:7] op_sel:[0,1]
	s_delay_alu instid0(VALU_DEP_2) | instskip(NEXT) | instid1(VALU_DEP_2)
	v_pk_add_f32 v[108:109], v[108:109], v[14:15] neg_lo:[0,1] neg_hi:[0,1]
	v_pk_fma_f32 v[12:13], v[10:11], v[4:5], v[8:9] op_sel:[0,0,1] op_sel_hi:[1,1,0] neg_lo:[0,0,1] neg_hi:[0,0,1]
	v_pk_fma_f32 v[8:9], v[10:11], v[4:5], v[8:9] op_sel:[0,0,1] op_sel_hi:[1,0,0]
	s_delay_alu instid0(VALU_DEP_1) | instskip(SKIP_4) | instid1(VALU_DEP_1)
	v_mov_b32_e32 v13, v9
	ds_load_2addr_b64 v[8:11], v222 offset0:29 offset1:30
	v_pk_add_f32 v[130:131], v[130:131], v[12:13] neg_lo:[0,1] neg_hi:[0,1]
	s_wait_dscnt 0x0
	v_pk_mul_f32 v[12:13], v[8:9], v[6:7] op_sel:[0,1]
	v_pk_fma_f32 v[14:15], v[8:9], v[4:5], v[12:13] op_sel:[0,0,1] op_sel_hi:[1,1,0] neg_lo:[0,0,1] neg_hi:[0,0,1]
	v_pk_fma_f32 v[8:9], v[8:9], v[4:5], v[12:13] op_sel:[0,0,1] op_sel_hi:[1,0,0]
	v_dual_mul_f32 v12, v11, v7 :: v_dual_mov_b32 v8, v11
	s_delay_alu instid0(VALU_DEP_2) | instskip(NEXT) | instid1(VALU_DEP_2)
	v_dual_mov_b32 v15, v9 :: v_dual_mov_b32 v9, v10
	v_pk_fma_f32 v[12:13], v[10:11], v[24:25], v[12:13] op_sel_hi:[1,1,0] neg_lo:[0,0,1] neg_hi:[0,0,1]
	v_mul_f32_e32 v10, v11, v4
	s_delay_alu instid0(VALU_DEP_3) | instskip(NEXT) | instid1(VALU_DEP_2)
	v_pk_add_f32 v[126:127], v[126:127], v[14:15] neg_lo:[0,1] neg_hi:[0,1]
	v_pk_fma_f32 v[8:9], v[8:9], v[24:25], v[10:11] op_sel_hi:[1,1,0]
	s_delay_alu instid0(VALU_DEP_1) | instskip(SKIP_4) | instid1(VALU_DEP_1)
	v_mov_b32_e32 v13, v9
	ds_load_2addr_b64 v[8:11], v222 offset0:31 offset1:32
	v_pk_add_f32 v[128:129], v[128:129], v[12:13] neg_lo:[0,1] neg_hi:[0,1]
	s_wait_dscnt 0x0
	v_pk_mul_f32 v[12:13], v[8:9], v[6:7] op_sel:[0,1]
	v_pk_fma_f32 v[14:15], v[8:9], v[4:5], v[12:13] op_sel:[0,0,1] op_sel_hi:[1,1,0] neg_lo:[0,0,1] neg_hi:[0,0,1]
	v_pk_fma_f32 v[8:9], v[8:9], v[4:5], v[12:13] op_sel:[0,0,1] op_sel_hi:[1,0,0]
	s_delay_alu instid0(VALU_DEP_1) | instskip(SKIP_1) | instid1(VALU_DEP_1)
	v_mov_b32_e32 v15, v9
	v_pk_mul_f32 v[8:9], v[10:11], v[6:7] op_sel:[0,1]
	v_pk_fma_f32 v[12:13], v[10:11], v[4:5], v[8:9] op_sel:[0,0,1] op_sel_hi:[1,1,0] neg_lo:[0,0,1] neg_hi:[0,0,1]
	v_pk_fma_f32 v[8:9], v[10:11], v[4:5], v[8:9] op_sel:[0,0,1] op_sel_hi:[1,0,0]
	s_delay_alu instid0(VALU_DEP_1)
	v_mov_b32_e32 v13, v9
	ds_load_2addr_b64 v[8:11], v222 offset0:33 offset1:34
	v_pk_add_f32 v[124:125], v[124:125], v[14:15] neg_lo:[0,1] neg_hi:[0,1]
	v_pk_add_f32 v[146:147], v[146:147], v[12:13] neg_lo:[0,1] neg_hi:[0,1]
	s_wait_dscnt 0x0
	v_pk_mul_f32 v[12:13], v[8:9], v[6:7] op_sel:[0,1]
	s_delay_alu instid0(VALU_DEP_1) | instskip(SKIP_1) | instid1(VALU_DEP_1)
	v_pk_fma_f32 v[14:15], v[8:9], v[4:5], v[12:13] op_sel:[0,0,1] op_sel_hi:[1,1,0] neg_lo:[0,0,1] neg_hi:[0,0,1]
	v_pk_fma_f32 v[8:9], v[8:9], v[4:5], v[12:13] op_sel:[0,0,1] op_sel_hi:[1,0,0]
	v_mov_b32_e32 v15, v9
	v_pk_mul_f32 v[8:9], v[10:11], v[6:7] op_sel:[0,1]
	s_delay_alu instid0(VALU_DEP_1) | instskip(SKIP_1) | instid1(VALU_DEP_1)
	v_pk_fma_f32 v[12:13], v[10:11], v[4:5], v[8:9] op_sel:[0,0,1] op_sel_hi:[1,1,0] neg_lo:[0,0,1] neg_hi:[0,0,1]
	v_pk_fma_f32 v[8:9], v[10:11], v[4:5], v[8:9] op_sel:[0,0,1] op_sel_hi:[1,0,0]
	v_mov_b32_e32 v13, v9
	ds_load_2addr_b64 v[8:11], v222 offset0:35 offset1:36
	v_pk_add_f32 v[142:143], v[142:143], v[14:15] neg_lo:[0,1] neg_hi:[0,1]
	v_pk_add_f32 v[144:145], v[144:145], v[12:13] neg_lo:[0,1] neg_hi:[0,1]
	s_wait_dscnt 0x0
	v_dual_mul_f32 v12, v9, v7 :: v_dual_mul_f32 v14, v9, v4
	s_delay_alu instid0(VALU_DEP_1) | instskip(NEXT) | instid1(VALU_DEP_2)
	v_pk_fma_f32 v[12:13], v[8:9], v[24:25], v[12:13] op_sel_hi:[1,1,0] neg_lo:[0,0,1] neg_hi:[0,0,1]
	v_pk_fma_f32 v[8:9], v[8:9], v[24:25], v[14:15] op_sel:[1,0,0] op_sel_hi:[0,1,0]
	s_delay_alu instid0(VALU_DEP_1) | instskip(SKIP_1) | instid1(VALU_DEP_2)
	v_mov_b32_e32 v13, v9
	v_pk_mul_f32 v[8:9], v[10:11], v[6:7] op_sel:[0,1]
	v_pk_add_f32 v[140:141], v[140:141], v[12:13] neg_lo:[0,1] neg_hi:[0,1]
	s_delay_alu instid0(VALU_DEP_2) | instskip(SKIP_1) | instid1(VALU_DEP_1)
	v_pk_fma_f32 v[12:13], v[10:11], v[4:5], v[8:9] op_sel:[0,0,1] op_sel_hi:[1,1,0] neg_lo:[0,0,1] neg_hi:[0,0,1]
	v_pk_fma_f32 v[8:9], v[10:11], v[4:5], v[8:9] op_sel:[0,0,1] op_sel_hi:[1,0,0]
	v_mov_b32_e32 v13, v9
	ds_load_2addr_b64 v[8:11], v222 offset0:37 offset1:38
	v_pk_add_f32 v[162:163], v[162:163], v[12:13] neg_lo:[0,1] neg_hi:[0,1]
	s_wait_dscnt 0x0
	v_pk_mul_f32 v[12:13], v[8:9], v[6:7] op_sel:[0,1]
	s_delay_alu instid0(VALU_DEP_1) | instskip(SKIP_1) | instid1(VALU_DEP_1)
	v_pk_fma_f32 v[14:15], v[8:9], v[4:5], v[12:13] op_sel:[0,0,1] op_sel_hi:[1,1,0] neg_lo:[0,0,1] neg_hi:[0,0,1]
	v_pk_fma_f32 v[8:9], v[8:9], v[4:5], v[12:13] op_sel:[0,0,1] op_sel_hi:[1,0,0]
	v_mov_b32_e32 v15, v9
	v_pk_mul_f32 v[8:9], v[10:11], v[6:7] op_sel:[0,1]
	s_delay_alu instid0(VALU_DEP_2) | instskip(NEXT) | instid1(VALU_DEP_2)
	v_pk_add_f32 v[158:159], v[158:159], v[14:15] neg_lo:[0,1] neg_hi:[0,1]
	v_pk_fma_f32 v[12:13], v[10:11], v[4:5], v[8:9] op_sel:[0,0,1] op_sel_hi:[1,1,0] neg_lo:[0,0,1] neg_hi:[0,0,1]
	v_pk_fma_f32 v[8:9], v[10:11], v[4:5], v[8:9] op_sel:[0,0,1] op_sel_hi:[1,0,0]
	s_delay_alu instid0(VALU_DEP_1) | instskip(SKIP_4) | instid1(VALU_DEP_1)
	v_mov_b32_e32 v13, v9
	ds_load_2addr_b64 v[8:11], v222 offset0:39 offset1:40
	v_pk_add_f32 v[160:161], v[160:161], v[12:13] neg_lo:[0,1] neg_hi:[0,1]
	s_wait_dscnt 0x0
	v_pk_mul_f32 v[12:13], v[8:9], v[6:7] op_sel:[0,1]
	v_pk_fma_f32 v[14:15], v[8:9], v[4:5], v[12:13] op_sel:[0,0,1] op_sel_hi:[1,1,0] neg_lo:[0,0,1] neg_hi:[0,0,1]
	v_pk_fma_f32 v[8:9], v[8:9], v[4:5], v[12:13] op_sel:[0,0,1] op_sel_hi:[1,0,0]
	v_dual_mul_f32 v12, v11, v7 :: v_dual_mov_b32 v8, v11
	s_delay_alu instid0(VALU_DEP_2) | instskip(NEXT) | instid1(VALU_DEP_2)
	v_dual_mov_b32 v15, v9 :: v_dual_mov_b32 v9, v10
	v_pk_fma_f32 v[12:13], v[10:11], v[24:25], v[12:13] op_sel_hi:[1,1,0] neg_lo:[0,0,1] neg_hi:[0,0,1]
	v_mul_f32_e32 v10, v11, v4
	s_delay_alu instid0(VALU_DEP_3) | instskip(NEXT) | instid1(VALU_DEP_2)
	v_pk_add_f32 v[156:157], v[156:157], v[14:15] neg_lo:[0,1] neg_hi:[0,1]
	v_pk_fma_f32 v[8:9], v[8:9], v[24:25], v[10:11] op_sel_hi:[1,1,0]
	s_delay_alu instid0(VALU_DEP_1) | instskip(SKIP_4) | instid1(VALU_DEP_1)
	v_mov_b32_e32 v13, v9
	ds_load_2addr_b64 v[8:11], v222 offset0:41 offset1:42
	v_pk_add_f32 v[178:179], v[178:179], v[12:13] neg_lo:[0,1] neg_hi:[0,1]
	s_wait_dscnt 0x0
	v_pk_mul_f32 v[12:13], v[8:9], v[6:7] op_sel:[0,1]
	v_pk_fma_f32 v[14:15], v[8:9], v[4:5], v[12:13] op_sel:[0,0,1] op_sel_hi:[1,1,0] neg_lo:[0,0,1] neg_hi:[0,0,1]
	v_pk_fma_f32 v[8:9], v[8:9], v[4:5], v[12:13] op_sel:[0,0,1] op_sel_hi:[1,0,0]
	s_delay_alu instid0(VALU_DEP_1) | instskip(SKIP_1) | instid1(VALU_DEP_1)
	v_mov_b32_e32 v15, v9
	v_pk_mul_f32 v[8:9], v[10:11], v[6:7] op_sel:[0,1]
	v_pk_fma_f32 v[12:13], v[10:11], v[4:5], v[8:9] op_sel:[0,0,1] op_sel_hi:[1,1,0] neg_lo:[0,0,1] neg_hi:[0,0,1]
	v_pk_fma_f32 v[8:9], v[10:11], v[4:5], v[8:9] op_sel:[0,0,1] op_sel_hi:[1,0,0]
	s_delay_alu instid0(VALU_DEP_1)
	v_mov_b32_e32 v13, v9
	ds_load_2addr_b64 v[8:11], v222 offset0:43 offset1:44
	v_pk_add_f32 v[174:175], v[174:175], v[14:15] neg_lo:[0,1] neg_hi:[0,1]
	v_pk_add_f32 v[176:177], v[176:177], v[12:13] neg_lo:[0,1] neg_hi:[0,1]
	s_wait_dscnt 0x0
	v_pk_mul_f32 v[12:13], v[8:9], v[6:7] op_sel:[0,1]
	s_delay_alu instid0(VALU_DEP_1) | instskip(SKIP_1) | instid1(VALU_DEP_1)
	v_pk_fma_f32 v[14:15], v[8:9], v[4:5], v[12:13] op_sel:[0,0,1] op_sel_hi:[1,1,0] neg_lo:[0,0,1] neg_hi:[0,0,1]
	v_pk_fma_f32 v[8:9], v[8:9], v[4:5], v[12:13] op_sel:[0,0,1] op_sel_hi:[1,0,0]
	v_mov_b32_e32 v15, v9
	v_pk_mul_f32 v[8:9], v[10:11], v[6:7] op_sel:[0,1]
	s_delay_alu instid0(VALU_DEP_1) | instskip(SKIP_1) | instid1(VALU_DEP_1)
	v_pk_fma_f32 v[12:13], v[10:11], v[4:5], v[8:9] op_sel:[0,0,1] op_sel_hi:[1,1,0] neg_lo:[0,0,1] neg_hi:[0,0,1]
	v_pk_fma_f32 v[8:9], v[10:11], v[4:5], v[8:9] op_sel:[0,0,1] op_sel_hi:[1,0,0]
	v_mov_b32_e32 v13, v9
	ds_load_2addr_b64 v[8:11], v222 offset0:45 offset1:46
	v_pk_add_f32 v[172:173], v[172:173], v[14:15] neg_lo:[0,1] neg_hi:[0,1]
	v_pk_add_f32 v[194:195], v[194:195], v[12:13] neg_lo:[0,1] neg_hi:[0,1]
	s_wait_dscnt 0x0
	v_dual_mul_f32 v12, v9, v7 :: v_dual_mul_f32 v14, v9, v4
	s_delay_alu instid0(VALU_DEP_1) | instskip(NEXT) | instid1(VALU_DEP_2)
	v_pk_fma_f32 v[12:13], v[8:9], v[24:25], v[12:13] op_sel_hi:[1,1,0] neg_lo:[0,0,1] neg_hi:[0,0,1]
	v_pk_fma_f32 v[8:9], v[8:9], v[24:25], v[14:15] op_sel:[1,0,0] op_sel_hi:[0,1,0]
	s_delay_alu instid0(VALU_DEP_1) | instskip(SKIP_1) | instid1(VALU_DEP_2)
	v_mov_b32_e32 v13, v9
	v_pk_mul_f32 v[8:9], v[10:11], v[6:7] op_sel:[0,1]
	v_pk_add_f32 v[190:191], v[190:191], v[12:13] neg_lo:[0,1] neg_hi:[0,1]
	s_delay_alu instid0(VALU_DEP_2) | instskip(SKIP_1) | instid1(VALU_DEP_1)
	v_pk_fma_f32 v[12:13], v[10:11], v[4:5], v[8:9] op_sel:[0,0,1] op_sel_hi:[1,1,0] neg_lo:[0,0,1] neg_hi:[0,0,1]
	v_pk_fma_f32 v[8:9], v[10:11], v[4:5], v[8:9] op_sel:[0,0,1] op_sel_hi:[1,0,0]
	v_mov_b32_e32 v13, v9
	ds_load_2addr_b64 v[8:11], v222 offset0:47 offset1:48
	v_pk_add_f32 v[192:193], v[192:193], v[12:13] neg_lo:[0,1] neg_hi:[0,1]
	s_wait_dscnt 0x0
	v_pk_mul_f32 v[12:13], v[8:9], v[6:7] op_sel:[0,1]
	s_delay_alu instid0(VALU_DEP_1) | instskip(SKIP_1) | instid1(VALU_DEP_1)
	v_pk_fma_f32 v[14:15], v[8:9], v[4:5], v[12:13] op_sel:[0,0,1] op_sel_hi:[1,1,0] neg_lo:[0,0,1] neg_hi:[0,0,1]
	v_pk_fma_f32 v[8:9], v[8:9], v[4:5], v[12:13] op_sel:[0,0,1] op_sel_hi:[1,0,0]
	v_mov_b32_e32 v15, v9
	v_pk_mul_f32 v[8:9], v[10:11], v[6:7] op_sel:[0,1]
	s_delay_alu instid0(VALU_DEP_2) | instskip(NEXT) | instid1(VALU_DEP_2)
	v_pk_add_f32 v[188:189], v[188:189], v[14:15] neg_lo:[0,1] neg_hi:[0,1]
	v_pk_fma_f32 v[12:13], v[10:11], v[4:5], v[8:9] op_sel:[0,0,1] op_sel_hi:[1,1,0] neg_lo:[0,0,1] neg_hi:[0,0,1]
	v_pk_fma_f32 v[8:9], v[10:11], v[4:5], v[8:9] op_sel:[0,0,1] op_sel_hi:[1,0,0]
	s_delay_alu instid0(VALU_DEP_1) | instskip(SKIP_4) | instid1(VALU_DEP_1)
	v_mov_b32_e32 v13, v9
	ds_load_2addr_b64 v[8:11], v222 offset0:49 offset1:50
	v_pk_add_f32 v[216:217], v[216:217], v[12:13] neg_lo:[0,1] neg_hi:[0,1]
	s_wait_dscnt 0x0
	v_pk_mul_f32 v[12:13], v[8:9], v[6:7] op_sel:[0,1]
	v_pk_fma_f32 v[14:15], v[8:9], v[4:5], v[12:13] op_sel:[0,0,1] op_sel_hi:[1,1,0] neg_lo:[0,0,1] neg_hi:[0,0,1]
	v_pk_fma_f32 v[8:9], v[8:9], v[4:5], v[12:13] op_sel:[0,0,1] op_sel_hi:[1,0,0]
	v_dual_mul_f32 v12, v11, v7 :: v_dual_mov_b32 v8, v11
	s_delay_alu instid0(VALU_DEP_2) | instskip(NEXT) | instid1(VALU_DEP_2)
	v_dual_mov_b32 v15, v9 :: v_dual_mov_b32 v9, v10
	v_pk_fma_f32 v[12:13], v[10:11], v[24:25], v[12:13] op_sel_hi:[1,1,0] neg_lo:[0,0,1] neg_hi:[0,0,1]
	v_mul_f32_e32 v10, v11, v4
	s_delay_alu instid0(VALU_DEP_3) | instskip(NEXT) | instid1(VALU_DEP_2)
	v_pk_add_f32 v[212:213], v[212:213], v[14:15] neg_lo:[0,1] neg_hi:[0,1]
	v_pk_fma_f32 v[8:9], v[8:9], v[24:25], v[10:11] op_sel_hi:[1,1,0]
	s_delay_alu instid0(VALU_DEP_1) | instskip(SKIP_4) | instid1(VALU_DEP_1)
	v_mov_b32_e32 v13, v9
	ds_load_2addr_b64 v[8:11], v222 offset0:51 offset1:52
	v_pk_add_f32 v[214:215], v[214:215], v[12:13] neg_lo:[0,1] neg_hi:[0,1]
	s_wait_dscnt 0x0
	v_pk_mul_f32 v[12:13], v[8:9], v[6:7] op_sel:[0,1]
	v_pk_fma_f32 v[14:15], v[8:9], v[4:5], v[12:13] op_sel:[0,0,1] op_sel_hi:[1,1,0] neg_lo:[0,0,1] neg_hi:[0,0,1]
	v_pk_fma_f32 v[8:9], v[8:9], v[4:5], v[12:13] op_sel:[0,0,1] op_sel_hi:[1,0,0]
	s_delay_alu instid0(VALU_DEP_1) | instskip(SKIP_1) | instid1(VALU_DEP_1)
	v_mov_b32_e32 v15, v9
	v_pk_mul_f32 v[8:9], v[10:11], v[6:7] op_sel:[0,1]
	v_pk_fma_f32 v[12:13], v[10:11], v[4:5], v[8:9] op_sel:[0,0,1] op_sel_hi:[1,1,0] neg_lo:[0,0,1] neg_hi:[0,0,1]
	v_pk_fma_f32 v[8:9], v[10:11], v[4:5], v[8:9] op_sel:[0,0,1] op_sel_hi:[1,0,0]
	s_delay_alu instid0(VALU_DEP_1)
	v_mov_b32_e32 v13, v9
	ds_load_2addr_b64 v[8:11], v222 offset0:53 offset1:54
	v_pk_add_f32 v[210:211], v[210:211], v[14:15] neg_lo:[0,1] neg_hi:[0,1]
	v_pk_add_f32 v[240:241], v[240:241], v[12:13] neg_lo:[0,1] neg_hi:[0,1]
	s_wait_dscnt 0x0
	v_pk_mul_f32 v[12:13], v[8:9], v[6:7] op_sel:[0,1]
	s_delay_alu instid0(VALU_DEP_1) | instskip(SKIP_1) | instid1(VALU_DEP_1)
	v_pk_fma_f32 v[14:15], v[8:9], v[4:5], v[12:13] op_sel:[0,0,1] op_sel_hi:[1,1,0] neg_lo:[0,0,1] neg_hi:[0,0,1]
	v_pk_fma_f32 v[8:9], v[8:9], v[4:5], v[12:13] op_sel:[0,0,1] op_sel_hi:[1,0,0]
	v_mov_b32_e32 v15, v9
	v_pk_mul_f32 v[8:9], v[10:11], v[6:7] op_sel:[0,1]
	s_delay_alu instid0(VALU_DEP_1) | instskip(SKIP_1) | instid1(VALU_DEP_1)
	v_pk_fma_f32 v[12:13], v[10:11], v[4:5], v[8:9] op_sel:[0,0,1] op_sel_hi:[1,1,0] neg_lo:[0,0,1] neg_hi:[0,0,1]
	v_pk_fma_f32 v[8:9], v[10:11], v[4:5], v[8:9] op_sel:[0,0,1] op_sel_hi:[1,0,0]
	v_mov_b32_e32 v13, v9
	ds_load_2addr_b64 v[8:11], v222 offset0:55 offset1:56
	v_pk_add_f32 v[232:233], v[232:233], v[14:15] neg_lo:[0,1] neg_hi:[0,1]
	v_pk_add_f32 v[238:239], v[238:239], v[12:13] neg_lo:[0,1] neg_hi:[0,1]
	s_wait_dscnt 0x0
	v_dual_mul_f32 v12, v9, v7 :: v_dual_mul_f32 v14, v9, v4
	s_delay_alu instid0(VALU_DEP_1) | instskip(NEXT) | instid1(VALU_DEP_2)
	v_pk_fma_f32 v[12:13], v[8:9], v[24:25], v[12:13] op_sel_hi:[1,1,0] neg_lo:[0,0,1] neg_hi:[0,0,1]
	v_pk_fma_f32 v[8:9], v[8:9], v[24:25], v[14:15] op_sel:[1,0,0] op_sel_hi:[0,1,0]
	s_delay_alu instid0(VALU_DEP_1) | instskip(SKIP_1) | instid1(VALU_DEP_2)
	v_mov_b32_e32 v13, v9
	v_pk_mul_f32 v[8:9], v[10:11], v[6:7] op_sel:[0,1]
	v_pk_add_f32 v[230:231], v[230:231], v[12:13] neg_lo:[0,1] neg_hi:[0,1]
	s_delay_alu instid0(VALU_DEP_2) | instskip(SKIP_1) | instid1(VALU_DEP_1)
	v_pk_fma_f32 v[12:13], v[10:11], v[4:5], v[8:9] op_sel:[0,0,1] op_sel_hi:[1,1,0] neg_lo:[0,0,1] neg_hi:[0,0,1]
	v_pk_fma_f32 v[8:9], v[10:11], v[4:5], v[8:9] op_sel:[0,0,1] op_sel_hi:[1,0,0]
	v_mov_b32_e32 v13, v9
	ds_load_2addr_b64 v[8:11], v222 offset0:57 offset1:58
	v_pk_add_f32 v[236:237], v[236:237], v[12:13] neg_lo:[0,1] neg_hi:[0,1]
	s_wait_dscnt 0x0
	v_pk_mul_f32 v[12:13], v[8:9], v[6:7] op_sel:[0,1]
	s_delay_alu instid0(VALU_DEP_1) | instskip(SKIP_1) | instid1(VALU_DEP_1)
	v_pk_fma_f32 v[14:15], v[8:9], v[4:5], v[12:13] op_sel:[0,0,1] op_sel_hi:[1,1,0] neg_lo:[0,0,1] neg_hi:[0,0,1]
	v_pk_fma_f32 v[8:9], v[8:9], v[4:5], v[12:13] op_sel:[0,0,1] op_sel_hi:[1,0,0]
	v_mov_b32_e32 v15, v9
	v_pk_mul_f32 v[8:9], v[10:11], v[6:7] op_sel:[0,1]
	s_delay_alu instid0(VALU_DEP_2) | instskip(NEXT) | instid1(VALU_DEP_2)
	v_pk_add_f32 v[228:229], v[228:229], v[14:15] neg_lo:[0,1] neg_hi:[0,1]
	v_pk_fma_f32 v[12:13], v[10:11], v[4:5], v[8:9] op_sel:[0,0,1] op_sel_hi:[1,1,0] neg_lo:[0,0,1] neg_hi:[0,0,1]
	v_pk_fma_f32 v[8:9], v[10:11], v[4:5], v[8:9] op_sel:[0,0,1] op_sel_hi:[1,0,0]
	s_delay_alu instid0(VALU_DEP_1)
	v_mov_b32_e32 v13, v9
	ds_load_2addr_b64 v[8:11], v222 offset0:59 offset1:60
	v_pk_add_f32 v[234:235], v[234:235], v[12:13] neg_lo:[0,1] neg_hi:[0,1]
	s_wait_dscnt 0x0
	v_pk_mul_f32 v[12:13], v[8:9], v[6:7] op_sel:[0,1]
	v_mul_f32_e32 v6, v11, v7
	s_delay_alu instid0(VALU_DEP_2) | instskip(SKIP_2) | instid1(VALU_DEP_4)
	v_pk_fma_f32 v[14:15], v[8:9], v[4:5], v[12:13] op_sel:[0,0,1] op_sel_hi:[1,1,0] neg_lo:[0,0,1] neg_hi:[0,0,1]
	v_pk_fma_f32 v[8:9], v[8:9], v[4:5], v[12:13] op_sel:[0,0,1] op_sel_hi:[1,0,0]
	v_dual_mov_b32 v8, v11 :: v_dual_mul_f32 v4, v11, v4
	v_pk_fma_f32 v[6:7], v[10:11], v[24:25], v[6:7] op_sel_hi:[1,1,0] neg_lo:[0,0,1] neg_hi:[0,0,1]
	s_delay_alu instid0(VALU_DEP_3) | instskip(NEXT) | instid1(VALU_DEP_1)
	v_dual_mov_b32 v15, v9 :: v_dual_mov_b32 v9, v10
	v_pk_add_f32 v[242:243], v[242:243], v[14:15] neg_lo:[0,1] neg_hi:[0,1]
	s_delay_alu instid0(VALU_DEP_2) | instskip(NEXT) | instid1(VALU_DEP_1)
	v_pk_fma_f32 v[4:5], v[8:9], v[24:25], v[4:5] op_sel_hi:[1,1,0]
	v_mov_b32_e32 v7, v5
	s_delay_alu instid0(VALU_DEP_1)
	v_pk_add_f32 v[244:245], v[244:245], v[6:7] neg_lo:[0,1] neg_hi:[0,1]
.LBB121_64:
	s_or_b32 exec_lo, exec_lo, s1
	s_delay_alu instid0(SALU_CYCLE_1)
	s_mov_b32 s2, exec_lo
	s_wait_dscnt 0x0
	s_barrier_signal -1
	s_barrier_wait -1
	v_cmpx_eq_u32_e32 7, v220
	s_cbranch_execz .LBB121_71
; %bb.65:
	v_dual_mov_b32 v4, v42 :: v_dual_mov_b32 v5, v43
	v_dual_mov_b32 v6, v38 :: v_dual_mov_b32 v7, v39
	ds_store_b64 v221, v[20:21]
	ds_store_2addr_b64 v222, v[4:5], v[6:7] offset0:8 offset1:9
	v_dual_mov_b32 v4, v40 :: v_dual_mov_b32 v5, v41
	v_dual_mov_b32 v6, v36 :: v_dual_mov_b32 v7, v37
	ds_store_2addr_b64 v222, v[4:5], v[6:7] offset0:10 offset1:11
	v_dual_mov_b32 v4, v66 :: v_dual_mov_b32 v5, v67
	v_dual_mov_b32 v6, v62 :: v_dual_mov_b32 v7, v63
	;; [unrolled: 3-line block ×25, first 2 shown]
	ds_store_2addr_b64 v222, v[4:5], v[6:7] offset0:58 offset1:59
	ds_store_b64 v222, v[244:245] offset:480
	ds_load_b64 v[4:5], v221
	s_wait_dscnt 0x0
	v_cmp_neq_f32_e32 vcc_lo, 0, v4
	v_cmp_neq_f32_e64 s1, 0, v5
	s_or_b32 s1, vcc_lo, s1
	s_delay_alu instid0(SALU_CYCLE_1)
	s_and_b32 exec_lo, exec_lo, s1
	s_cbranch_execz .LBB121_71
; %bb.66:
	v_cmp_ngt_f32_e64 s1, |v4|, |v5|
                                        ; implicit-def: $vgpr6_vgpr7
	s_and_saveexec_b32 s4, s1
	s_delay_alu instid0(SALU_CYCLE_1)
	s_xor_b32 s1, exec_lo, s4
	s_cbranch_execz .LBB121_68
; %bb.67:
	v_div_scale_f32 v6, null, v5, v5, v4
	v_div_scale_f32 v9, vcc_lo, v4, v5, v4
	s_delay_alu instid0(VALU_DEP_2) | instskip(SKIP_1) | instid1(TRANS32_DEP_1)
	v_rcp_f32_e32 v7, v6
	v_nop
	v_fma_f32 v8, -v6, v7, 1.0
	s_delay_alu instid0(VALU_DEP_1) | instskip(NEXT) | instid1(VALU_DEP_1)
	v_fmac_f32_e32 v7, v8, v7
	v_mul_f32_e32 v8, v9, v7
	s_delay_alu instid0(VALU_DEP_1) | instskip(NEXT) | instid1(VALU_DEP_1)
	v_fma_f32 v10, -v6, v8, v9
	v_fmac_f32_e32 v8, v10, v7
	s_delay_alu instid0(VALU_DEP_1) | instskip(NEXT) | instid1(VALU_DEP_1)
	v_fma_f32 v6, -v6, v8, v9
	v_div_fmas_f32 v6, v6, v7, v8
	s_delay_alu instid0(VALU_DEP_1) | instskip(NEXT) | instid1(VALU_DEP_1)
	v_div_fixup_f32 v6, v6, v5, v4
	v_fmac_f32_e32 v5, v4, v6
	s_delay_alu instid0(VALU_DEP_1) | instskip(SKIP_1) | instid1(VALU_DEP_2)
	v_div_scale_f32 v4, null, v5, v5, 1.0
	v_div_scale_f32 v9, vcc_lo, 1.0, v5, 1.0
	v_rcp_f32_e32 v7, v4
	v_nop
	s_delay_alu instid0(TRANS32_DEP_1) | instskip(NEXT) | instid1(VALU_DEP_1)
	v_fma_f32 v8, -v4, v7, 1.0
	v_fmac_f32_e32 v7, v8, v7
	s_delay_alu instid0(VALU_DEP_1) | instskip(NEXT) | instid1(VALU_DEP_1)
	v_mul_f32_e32 v8, v9, v7
	v_fma_f32 v10, -v4, v8, v9
	s_delay_alu instid0(VALU_DEP_1) | instskip(NEXT) | instid1(VALU_DEP_1)
	v_fmac_f32_e32 v8, v10, v7
	v_fma_f32 v4, -v4, v8, v9
	s_delay_alu instid0(VALU_DEP_1) | instskip(NEXT) | instid1(VALU_DEP_1)
	v_div_fmas_f32 v4, v4, v7, v8
	v_div_fixup_f32 v4, v4, v5, 1.0
	s_delay_alu instid0(VALU_DEP_1)
	v_mul_f32_e32 v6, v6, v4
	v_xor_b32_e32 v7, 0x80000000, v4
                                        ; implicit-def: $vgpr4_vgpr5
.LBB121_68:
	s_and_not1_saveexec_b32 s1, s1
	s_cbranch_execz .LBB121_70
; %bb.69:
	v_div_scale_f32 v6, null, v4, v4, v5
	v_div_scale_f32 v9, vcc_lo, v5, v4, v5
	s_delay_alu instid0(VALU_DEP_2) | instskip(SKIP_1) | instid1(TRANS32_DEP_1)
	v_rcp_f32_e32 v7, v6
	v_nop
	v_fma_f32 v8, -v6, v7, 1.0
	s_delay_alu instid0(VALU_DEP_1) | instskip(NEXT) | instid1(VALU_DEP_1)
	v_fmac_f32_e32 v7, v8, v7
	v_mul_f32_e32 v8, v9, v7
	s_delay_alu instid0(VALU_DEP_1) | instskip(NEXT) | instid1(VALU_DEP_1)
	v_fma_f32 v10, -v6, v8, v9
	v_fmac_f32_e32 v8, v10, v7
	s_delay_alu instid0(VALU_DEP_1) | instskip(NEXT) | instid1(VALU_DEP_1)
	v_fma_f32 v6, -v6, v8, v9
	v_div_fmas_f32 v6, v6, v7, v8
	s_delay_alu instid0(VALU_DEP_1) | instskip(NEXT) | instid1(VALU_DEP_1)
	v_div_fixup_f32 v7, v6, v4, v5
	v_fmac_f32_e32 v4, v5, v7
	s_delay_alu instid0(VALU_DEP_1) | instskip(NEXT) | instid1(VALU_DEP_1)
	v_div_scale_f32 v5, null, v4, v4, 1.0
	v_rcp_f32_e32 v6, v5
	v_nop
	s_delay_alu instid0(TRANS32_DEP_1) | instskip(NEXT) | instid1(VALU_DEP_1)
	v_fma_f32 v8, -v5, v6, 1.0
	v_fmac_f32_e32 v6, v8, v6
	v_div_scale_f32 v8, vcc_lo, 1.0, v4, 1.0
	s_delay_alu instid0(VALU_DEP_1) | instskip(NEXT) | instid1(VALU_DEP_1)
	v_mul_f32_e32 v9, v8, v6
	v_fma_f32 v10, -v5, v9, v8
	s_delay_alu instid0(VALU_DEP_1) | instskip(NEXT) | instid1(VALU_DEP_1)
	v_fmac_f32_e32 v9, v10, v6
	v_fma_f32 v5, -v5, v9, v8
	s_delay_alu instid0(VALU_DEP_1) | instskip(NEXT) | instid1(VALU_DEP_1)
	v_div_fmas_f32 v5, v5, v6, v9
	v_div_fixup_f32 v6, v5, v4, 1.0
	s_delay_alu instid0(VALU_DEP_1)
	v_mul_f32_e64 v7, v7, -v6
.LBB121_70:
	s_or_b32 exec_lo, exec_lo, s1
	ds_store_b64 v221, v[6:7]
.LBB121_71:
	s_or_b32 exec_lo, exec_lo, s2
	s_wait_dscnt 0x0
	s_barrier_signal -1
	s_barrier_wait -1
	ds_load_b64 v[4:5], v221
	s_mov_b32 s1, exec_lo
	v_cmpx_lt_u32_e32 7, v220
	s_cbranch_execz .LBB121_73
; %bb.72:
	ds_load_2addr_b64 v[10:13], v222 offset0:8 offset1:9
	s_wait_dscnt 0x1
	v_pk_mul_f32 v[8:9], v[4:5], v[20:21] op_sel:[1,1] op_sel_hi:[0,1]
	s_delay_alu instid0(VALU_DEP_1) | instskip(SKIP_1) | instid1(VALU_DEP_1)
	v_pk_fma_f32 v[6:7], v[4:5], v[20:21], v[8:9] op_sel_hi:[1,0,1] neg_lo:[0,0,1] neg_hi:[0,0,1]
	v_pk_fma_f32 v[8:9], v[4:5], v[20:21], v[8:9] op_sel_hi:[1,0,1]
	v_dual_mov_b32 v20, v6 :: v_dual_mov_b32 v21, v9
	s_wait_dscnt 0x0
	s_delay_alu instid0(VALU_DEP_2) | instskip(NEXT) | instid1(VALU_DEP_1)
	v_pk_mul_f32 v[14:15], v[10:11], v[8:9] op_sel:[0,1]
	v_pk_fma_f32 v[18:19], v[10:11], v[6:7], v[14:15] op_sel:[0,0,1] op_sel_hi:[1,1,0] neg_lo:[0,0,1] neg_hi:[0,0,1]
	v_pk_fma_f32 v[10:11], v[10:11], v[6:7], v[14:15] op_sel:[0,0,1] op_sel_hi:[1,0,0]
	s_delay_alu instid0(VALU_DEP_1) | instskip(SKIP_1) | instid1(VALU_DEP_1)
	v_mov_b32_e32 v19, v11
	v_pk_mul_f32 v[10:11], v[12:13], v[8:9] op_sel:[0,1]
	v_pk_fma_f32 v[14:15], v[12:13], v[6:7], v[10:11] op_sel:[0,0,1] op_sel_hi:[1,1,0] neg_lo:[0,0,1] neg_hi:[0,0,1]
	v_pk_fma_f32 v[10:11], v[12:13], v[6:7], v[10:11] op_sel:[0,0,1] op_sel_hi:[1,0,0]
	s_delay_alu instid0(VALU_DEP_1)
	v_mov_b32_e32 v15, v11
	ds_load_2addr_b64 v[10:13], v222 offset0:10 offset1:11
	v_pk_add_f32 v[42:43], v[42:43], v[18:19] neg_lo:[0,1] neg_hi:[0,1]
	v_pk_add_f32 v[38:39], v[38:39], v[14:15] neg_lo:[0,1] neg_hi:[0,1]
	s_wait_dscnt 0x0
	v_pk_mul_f32 v[14:15], v[10:11], v[8:9] op_sel:[0,1]
	s_delay_alu instid0(VALU_DEP_1) | instskip(SKIP_2) | instid1(VALU_DEP_2)
	v_pk_fma_f32 v[18:19], v[10:11], v[6:7], v[14:15] op_sel:[0,0,1] op_sel_hi:[1,1,0] neg_lo:[0,0,1] neg_hi:[0,0,1]
	v_pk_fma_f32 v[10:11], v[10:11], v[6:7], v[14:15] op_sel:[0,0,1] op_sel_hi:[1,0,0]
	v_dual_mul_f32 v14, v13, v9 :: v_dual_mov_b32 v10, v13
	v_dual_mov_b32 v19, v11 :: v_dual_mov_b32 v11, v12
	s_delay_alu instid0(VALU_DEP_2) | instskip(SKIP_1) | instid1(VALU_DEP_3)
	v_pk_fma_f32 v[14:15], v[12:13], v[20:21], v[14:15] op_sel_hi:[1,1,0] neg_lo:[0,0,1] neg_hi:[0,0,1]
	v_mul_f32_e32 v12, v13, v6
	v_pk_add_f32 v[40:41], v[40:41], v[18:19] neg_lo:[0,1] neg_hi:[0,1]
	s_delay_alu instid0(VALU_DEP_2) | instskip(NEXT) | instid1(VALU_DEP_1)
	v_pk_fma_f32 v[10:11], v[10:11], v[20:21], v[12:13] op_sel_hi:[1,1,0]
	v_mov_b32_e32 v15, v11
	ds_load_2addr_b64 v[10:13], v222 offset0:12 offset1:13
	v_pk_add_f32 v[36:37], v[36:37], v[14:15] neg_lo:[0,1] neg_hi:[0,1]
	s_wait_dscnt 0x0
	v_pk_mul_f32 v[14:15], v[10:11], v[8:9] op_sel:[0,1]
	s_delay_alu instid0(VALU_DEP_1) | instskip(SKIP_1) | instid1(VALU_DEP_1)
	v_pk_fma_f32 v[18:19], v[10:11], v[6:7], v[14:15] op_sel:[0,0,1] op_sel_hi:[1,1,0] neg_lo:[0,0,1] neg_hi:[0,0,1]
	v_pk_fma_f32 v[10:11], v[10:11], v[6:7], v[14:15] op_sel:[0,0,1] op_sel_hi:[1,0,0]
	v_mov_b32_e32 v19, v11
	v_pk_mul_f32 v[10:11], v[12:13], v[8:9] op_sel:[0,1]
	s_delay_alu instid0(VALU_DEP_1) | instskip(SKIP_1) | instid1(VALU_DEP_1)
	v_pk_fma_f32 v[14:15], v[12:13], v[6:7], v[10:11] op_sel:[0,0,1] op_sel_hi:[1,1,0] neg_lo:[0,0,1] neg_hi:[0,0,1]
	v_pk_fma_f32 v[10:11], v[12:13], v[6:7], v[10:11] op_sel:[0,0,1] op_sel_hi:[1,0,0]
	v_mov_b32_e32 v15, v11
	ds_load_2addr_b64 v[10:13], v222 offset0:14 offset1:15
	v_pk_add_f32 v[66:67], v[66:67], v[18:19] neg_lo:[0,1] neg_hi:[0,1]
	v_pk_add_f32 v[62:63], v[62:63], v[14:15] neg_lo:[0,1] neg_hi:[0,1]
	s_wait_dscnt 0x0
	v_pk_mul_f32 v[14:15], v[10:11], v[8:9] op_sel:[0,1]
	s_delay_alu instid0(VALU_DEP_1) | instskip(SKIP_1) | instid1(VALU_DEP_1)
	v_pk_fma_f32 v[18:19], v[10:11], v[6:7], v[14:15] op_sel:[0,0,1] op_sel_hi:[1,1,0] neg_lo:[0,0,1] neg_hi:[0,0,1]
	v_pk_fma_f32 v[10:11], v[10:11], v[6:7], v[14:15] op_sel:[0,0,1] op_sel_hi:[1,0,0]
	v_mov_b32_e32 v19, v11
	v_pk_mul_f32 v[10:11], v[12:13], v[8:9] op_sel:[0,1]
	s_delay_alu instid0(VALU_DEP_1) | instskip(SKIP_1) | instid1(VALU_DEP_1)
	v_pk_fma_f32 v[14:15], v[12:13], v[6:7], v[10:11] op_sel:[0,0,1] op_sel_hi:[1,1,0] neg_lo:[0,0,1] neg_hi:[0,0,1]
	v_pk_fma_f32 v[10:11], v[12:13], v[6:7], v[10:11] op_sel:[0,0,1] op_sel_hi:[1,0,0]
	v_mov_b32_e32 v15, v11
	ds_load_2addr_b64 v[10:13], v222 offset0:16 offset1:17
	v_pk_add_f32 v[64:65], v[64:65], v[18:19] neg_lo:[0,1] neg_hi:[0,1]
	v_pk_add_f32 v[60:61], v[60:61], v[14:15] neg_lo:[0,1] neg_hi:[0,1]
	s_wait_dscnt 0x0
	v_dual_mul_f32 v14, v11, v9 :: v_dual_mul_f32 v18, v11, v6
	s_delay_alu instid0(VALU_DEP_1) | instskip(NEXT) | instid1(VALU_DEP_2)
	v_pk_fma_f32 v[14:15], v[10:11], v[20:21], v[14:15] op_sel_hi:[1,1,0] neg_lo:[0,0,1] neg_hi:[0,0,1]
	v_pk_fma_f32 v[10:11], v[10:11], v[20:21], v[18:19] op_sel:[1,0,0] op_sel_hi:[0,1,0]
	s_delay_alu instid0(VALU_DEP_1) | instskip(SKIP_1) | instid1(VALU_DEP_2)
	v_mov_b32_e32 v15, v11
	v_pk_mul_f32 v[10:11], v[12:13], v[8:9] op_sel:[0,1]
	v_pk_add_f32 v[82:83], v[82:83], v[14:15] neg_lo:[0,1] neg_hi:[0,1]
	s_delay_alu instid0(VALU_DEP_2) | instskip(SKIP_1) | instid1(VALU_DEP_1)
	v_pk_fma_f32 v[14:15], v[12:13], v[6:7], v[10:11] op_sel:[0,0,1] op_sel_hi:[1,1,0] neg_lo:[0,0,1] neg_hi:[0,0,1]
	v_pk_fma_f32 v[10:11], v[12:13], v[6:7], v[10:11] op_sel:[0,0,1] op_sel_hi:[1,0,0]
	v_mov_b32_e32 v15, v11
	ds_load_2addr_b64 v[10:13], v222 offset0:18 offset1:19
	v_pk_add_f32 v[78:79], v[78:79], v[14:15] neg_lo:[0,1] neg_hi:[0,1]
	s_wait_dscnt 0x0
	v_pk_mul_f32 v[14:15], v[10:11], v[8:9] op_sel:[0,1]
	s_delay_alu instid0(VALU_DEP_1) | instskip(SKIP_1) | instid1(VALU_DEP_1)
	v_pk_fma_f32 v[18:19], v[10:11], v[6:7], v[14:15] op_sel:[0,0,1] op_sel_hi:[1,1,0] neg_lo:[0,0,1] neg_hi:[0,0,1]
	v_pk_fma_f32 v[10:11], v[10:11], v[6:7], v[14:15] op_sel:[0,0,1] op_sel_hi:[1,0,0]
	v_mov_b32_e32 v19, v11
	v_pk_mul_f32 v[10:11], v[12:13], v[8:9] op_sel:[0,1]
	s_delay_alu instid0(VALU_DEP_2) | instskip(NEXT) | instid1(VALU_DEP_2)
	v_pk_add_f32 v[80:81], v[80:81], v[18:19] neg_lo:[0,1] neg_hi:[0,1]
	v_pk_fma_f32 v[14:15], v[12:13], v[6:7], v[10:11] op_sel:[0,0,1] op_sel_hi:[1,1,0] neg_lo:[0,0,1] neg_hi:[0,0,1]
	v_pk_fma_f32 v[10:11], v[12:13], v[6:7], v[10:11] op_sel:[0,0,1] op_sel_hi:[1,0,0]
	s_delay_alu instid0(VALU_DEP_1) | instskip(SKIP_4) | instid1(VALU_DEP_1)
	v_mov_b32_e32 v15, v11
	ds_load_2addr_b64 v[10:13], v222 offset0:20 offset1:21
	v_pk_add_f32 v[76:77], v[76:77], v[14:15] neg_lo:[0,1] neg_hi:[0,1]
	s_wait_dscnt 0x0
	v_pk_mul_f32 v[14:15], v[10:11], v[8:9] op_sel:[0,1]
	v_pk_fma_f32 v[18:19], v[10:11], v[6:7], v[14:15] op_sel:[0,0,1] op_sel_hi:[1,1,0] neg_lo:[0,0,1] neg_hi:[0,0,1]
	v_pk_fma_f32 v[10:11], v[10:11], v[6:7], v[14:15] op_sel:[0,0,1] op_sel_hi:[1,0,0]
	v_dual_mul_f32 v14, v13, v9 :: v_dual_mov_b32 v10, v13
	s_delay_alu instid0(VALU_DEP_2) | instskip(NEXT) | instid1(VALU_DEP_2)
	v_dual_mov_b32 v19, v11 :: v_dual_mov_b32 v11, v12
	v_pk_fma_f32 v[14:15], v[12:13], v[20:21], v[14:15] op_sel_hi:[1,1,0] neg_lo:[0,0,1] neg_hi:[0,0,1]
	v_mul_f32_e32 v12, v13, v6
	s_delay_alu instid0(VALU_DEP_3) | instskip(NEXT) | instid1(VALU_DEP_2)
	v_pk_add_f32 v[98:99], v[98:99], v[18:19] neg_lo:[0,1] neg_hi:[0,1]
	v_pk_fma_f32 v[10:11], v[10:11], v[20:21], v[12:13] op_sel_hi:[1,1,0]
	s_delay_alu instid0(VALU_DEP_1) | instskip(SKIP_4) | instid1(VALU_DEP_1)
	v_mov_b32_e32 v15, v11
	ds_load_2addr_b64 v[10:13], v222 offset0:22 offset1:23
	v_pk_add_f32 v[94:95], v[94:95], v[14:15] neg_lo:[0,1] neg_hi:[0,1]
	s_wait_dscnt 0x0
	v_pk_mul_f32 v[14:15], v[10:11], v[8:9] op_sel:[0,1]
	v_pk_fma_f32 v[18:19], v[10:11], v[6:7], v[14:15] op_sel:[0,0,1] op_sel_hi:[1,1,0] neg_lo:[0,0,1] neg_hi:[0,0,1]
	v_pk_fma_f32 v[10:11], v[10:11], v[6:7], v[14:15] op_sel:[0,0,1] op_sel_hi:[1,0,0]
	s_delay_alu instid0(VALU_DEP_1) | instskip(SKIP_1) | instid1(VALU_DEP_1)
	v_mov_b32_e32 v19, v11
	v_pk_mul_f32 v[10:11], v[12:13], v[8:9] op_sel:[0,1]
	v_pk_fma_f32 v[14:15], v[12:13], v[6:7], v[10:11] op_sel:[0,0,1] op_sel_hi:[1,1,0] neg_lo:[0,0,1] neg_hi:[0,0,1]
	v_pk_fma_f32 v[10:11], v[12:13], v[6:7], v[10:11] op_sel:[0,0,1] op_sel_hi:[1,0,0]
	s_delay_alu instid0(VALU_DEP_1)
	v_mov_b32_e32 v15, v11
	ds_load_2addr_b64 v[10:13], v222 offset0:24 offset1:25
	v_pk_add_f32 v[96:97], v[96:97], v[18:19] neg_lo:[0,1] neg_hi:[0,1]
	v_pk_add_f32 v[92:93], v[92:93], v[14:15] neg_lo:[0,1] neg_hi:[0,1]
	s_wait_dscnt 0x0
	v_pk_mul_f32 v[14:15], v[10:11], v[8:9] op_sel:[0,1]
	s_delay_alu instid0(VALU_DEP_1) | instskip(SKIP_1) | instid1(VALU_DEP_1)
	v_pk_fma_f32 v[18:19], v[10:11], v[6:7], v[14:15] op_sel:[0,0,1] op_sel_hi:[1,1,0] neg_lo:[0,0,1] neg_hi:[0,0,1]
	v_pk_fma_f32 v[10:11], v[10:11], v[6:7], v[14:15] op_sel:[0,0,1] op_sel_hi:[1,0,0]
	v_mov_b32_e32 v19, v11
	v_pk_mul_f32 v[10:11], v[12:13], v[8:9] op_sel:[0,1]
	s_delay_alu instid0(VALU_DEP_1) | instskip(SKIP_1) | instid1(VALU_DEP_1)
	v_pk_fma_f32 v[14:15], v[12:13], v[6:7], v[10:11] op_sel:[0,0,1] op_sel_hi:[1,1,0] neg_lo:[0,0,1] neg_hi:[0,0,1]
	v_pk_fma_f32 v[10:11], v[12:13], v[6:7], v[10:11] op_sel:[0,0,1] op_sel_hi:[1,0,0]
	v_mov_b32_e32 v15, v11
	ds_load_2addr_b64 v[10:13], v222 offset0:26 offset1:27
	v_pk_add_f32 v[114:115], v[114:115], v[18:19] neg_lo:[0,1] neg_hi:[0,1]
	v_pk_add_f32 v[110:111], v[110:111], v[14:15] neg_lo:[0,1] neg_hi:[0,1]
	s_wait_dscnt 0x0
	v_dual_mul_f32 v14, v11, v9 :: v_dual_mul_f32 v18, v11, v6
	s_delay_alu instid0(VALU_DEP_1) | instskip(NEXT) | instid1(VALU_DEP_2)
	v_pk_fma_f32 v[14:15], v[10:11], v[20:21], v[14:15] op_sel_hi:[1,1,0] neg_lo:[0,0,1] neg_hi:[0,0,1]
	v_pk_fma_f32 v[10:11], v[10:11], v[20:21], v[18:19] op_sel:[1,0,0] op_sel_hi:[0,1,0]
	s_delay_alu instid0(VALU_DEP_1) | instskip(SKIP_1) | instid1(VALU_DEP_2)
	v_mov_b32_e32 v15, v11
	v_pk_mul_f32 v[10:11], v[12:13], v[8:9] op_sel:[0,1]
	v_pk_add_f32 v[112:113], v[112:113], v[14:15] neg_lo:[0,1] neg_hi:[0,1]
	s_delay_alu instid0(VALU_DEP_2) | instskip(SKIP_1) | instid1(VALU_DEP_1)
	v_pk_fma_f32 v[14:15], v[12:13], v[6:7], v[10:11] op_sel:[0,0,1] op_sel_hi:[1,1,0] neg_lo:[0,0,1] neg_hi:[0,0,1]
	v_pk_fma_f32 v[10:11], v[12:13], v[6:7], v[10:11] op_sel:[0,0,1] op_sel_hi:[1,0,0]
	v_mov_b32_e32 v15, v11
	ds_load_2addr_b64 v[10:13], v222 offset0:28 offset1:29
	v_pk_add_f32 v[108:109], v[108:109], v[14:15] neg_lo:[0,1] neg_hi:[0,1]
	s_wait_dscnt 0x0
	v_pk_mul_f32 v[14:15], v[10:11], v[8:9] op_sel:[0,1]
	s_delay_alu instid0(VALU_DEP_1) | instskip(SKIP_1) | instid1(VALU_DEP_1)
	v_pk_fma_f32 v[18:19], v[10:11], v[6:7], v[14:15] op_sel:[0,0,1] op_sel_hi:[1,1,0] neg_lo:[0,0,1] neg_hi:[0,0,1]
	v_pk_fma_f32 v[10:11], v[10:11], v[6:7], v[14:15] op_sel:[0,0,1] op_sel_hi:[1,0,0]
	v_mov_b32_e32 v19, v11
	v_pk_mul_f32 v[10:11], v[12:13], v[8:9] op_sel:[0,1]
	s_delay_alu instid0(VALU_DEP_2) | instskip(NEXT) | instid1(VALU_DEP_2)
	v_pk_add_f32 v[130:131], v[130:131], v[18:19] neg_lo:[0,1] neg_hi:[0,1]
	v_pk_fma_f32 v[14:15], v[12:13], v[6:7], v[10:11] op_sel:[0,0,1] op_sel_hi:[1,1,0] neg_lo:[0,0,1] neg_hi:[0,0,1]
	v_pk_fma_f32 v[10:11], v[12:13], v[6:7], v[10:11] op_sel:[0,0,1] op_sel_hi:[1,0,0]
	s_delay_alu instid0(VALU_DEP_1) | instskip(SKIP_4) | instid1(VALU_DEP_1)
	v_mov_b32_e32 v15, v11
	ds_load_2addr_b64 v[10:13], v222 offset0:30 offset1:31
	v_pk_add_f32 v[126:127], v[126:127], v[14:15] neg_lo:[0,1] neg_hi:[0,1]
	s_wait_dscnt 0x0
	v_pk_mul_f32 v[14:15], v[10:11], v[8:9] op_sel:[0,1]
	v_pk_fma_f32 v[18:19], v[10:11], v[6:7], v[14:15] op_sel:[0,0,1] op_sel_hi:[1,1,0] neg_lo:[0,0,1] neg_hi:[0,0,1]
	v_pk_fma_f32 v[10:11], v[10:11], v[6:7], v[14:15] op_sel:[0,0,1] op_sel_hi:[1,0,0]
	v_dual_mul_f32 v14, v13, v9 :: v_dual_mov_b32 v10, v13
	s_delay_alu instid0(VALU_DEP_2) | instskip(NEXT) | instid1(VALU_DEP_2)
	v_dual_mov_b32 v19, v11 :: v_dual_mov_b32 v11, v12
	v_pk_fma_f32 v[14:15], v[12:13], v[20:21], v[14:15] op_sel_hi:[1,1,0] neg_lo:[0,0,1] neg_hi:[0,0,1]
	v_mul_f32_e32 v12, v13, v6
	s_delay_alu instid0(VALU_DEP_3) | instskip(NEXT) | instid1(VALU_DEP_2)
	v_pk_add_f32 v[128:129], v[128:129], v[18:19] neg_lo:[0,1] neg_hi:[0,1]
	v_pk_fma_f32 v[10:11], v[10:11], v[20:21], v[12:13] op_sel_hi:[1,1,0]
	s_delay_alu instid0(VALU_DEP_1) | instskip(SKIP_4) | instid1(VALU_DEP_1)
	v_mov_b32_e32 v15, v11
	ds_load_2addr_b64 v[10:13], v222 offset0:32 offset1:33
	v_pk_add_f32 v[124:125], v[124:125], v[14:15] neg_lo:[0,1] neg_hi:[0,1]
	s_wait_dscnt 0x0
	v_pk_mul_f32 v[14:15], v[10:11], v[8:9] op_sel:[0,1]
	v_pk_fma_f32 v[18:19], v[10:11], v[6:7], v[14:15] op_sel:[0,0,1] op_sel_hi:[1,1,0] neg_lo:[0,0,1] neg_hi:[0,0,1]
	v_pk_fma_f32 v[10:11], v[10:11], v[6:7], v[14:15] op_sel:[0,0,1] op_sel_hi:[1,0,0]
	s_delay_alu instid0(VALU_DEP_1) | instskip(SKIP_1) | instid1(VALU_DEP_1)
	v_mov_b32_e32 v19, v11
	v_pk_mul_f32 v[10:11], v[12:13], v[8:9] op_sel:[0,1]
	v_pk_fma_f32 v[14:15], v[12:13], v[6:7], v[10:11] op_sel:[0,0,1] op_sel_hi:[1,1,0] neg_lo:[0,0,1] neg_hi:[0,0,1]
	v_pk_fma_f32 v[10:11], v[12:13], v[6:7], v[10:11] op_sel:[0,0,1] op_sel_hi:[1,0,0]
	s_delay_alu instid0(VALU_DEP_1)
	v_mov_b32_e32 v15, v11
	ds_load_2addr_b64 v[10:13], v222 offset0:34 offset1:35
	v_pk_add_f32 v[146:147], v[146:147], v[18:19] neg_lo:[0,1] neg_hi:[0,1]
	v_pk_add_f32 v[142:143], v[142:143], v[14:15] neg_lo:[0,1] neg_hi:[0,1]
	s_wait_dscnt 0x0
	v_pk_mul_f32 v[14:15], v[10:11], v[8:9] op_sel:[0,1]
	s_delay_alu instid0(VALU_DEP_1) | instskip(SKIP_1) | instid1(VALU_DEP_1)
	v_pk_fma_f32 v[18:19], v[10:11], v[6:7], v[14:15] op_sel:[0,0,1] op_sel_hi:[1,1,0] neg_lo:[0,0,1] neg_hi:[0,0,1]
	v_pk_fma_f32 v[10:11], v[10:11], v[6:7], v[14:15] op_sel:[0,0,1] op_sel_hi:[1,0,0]
	v_mov_b32_e32 v19, v11
	v_pk_mul_f32 v[10:11], v[12:13], v[8:9] op_sel:[0,1]
	s_delay_alu instid0(VALU_DEP_1) | instskip(SKIP_1) | instid1(VALU_DEP_1)
	v_pk_fma_f32 v[14:15], v[12:13], v[6:7], v[10:11] op_sel:[0,0,1] op_sel_hi:[1,1,0] neg_lo:[0,0,1] neg_hi:[0,0,1]
	v_pk_fma_f32 v[10:11], v[12:13], v[6:7], v[10:11] op_sel:[0,0,1] op_sel_hi:[1,0,0]
	v_mov_b32_e32 v15, v11
	ds_load_2addr_b64 v[10:13], v222 offset0:36 offset1:37
	v_pk_add_f32 v[144:145], v[144:145], v[18:19] neg_lo:[0,1] neg_hi:[0,1]
	v_pk_add_f32 v[140:141], v[140:141], v[14:15] neg_lo:[0,1] neg_hi:[0,1]
	s_wait_dscnt 0x0
	v_dual_mul_f32 v14, v11, v9 :: v_dual_mul_f32 v18, v11, v6
	s_delay_alu instid0(VALU_DEP_1) | instskip(NEXT) | instid1(VALU_DEP_2)
	v_pk_fma_f32 v[14:15], v[10:11], v[20:21], v[14:15] op_sel_hi:[1,1,0] neg_lo:[0,0,1] neg_hi:[0,0,1]
	v_pk_fma_f32 v[10:11], v[10:11], v[20:21], v[18:19] op_sel:[1,0,0] op_sel_hi:[0,1,0]
	s_delay_alu instid0(VALU_DEP_1) | instskip(SKIP_1) | instid1(VALU_DEP_2)
	v_mov_b32_e32 v15, v11
	v_pk_mul_f32 v[10:11], v[12:13], v[8:9] op_sel:[0,1]
	v_pk_add_f32 v[162:163], v[162:163], v[14:15] neg_lo:[0,1] neg_hi:[0,1]
	s_delay_alu instid0(VALU_DEP_2) | instskip(SKIP_1) | instid1(VALU_DEP_1)
	v_pk_fma_f32 v[14:15], v[12:13], v[6:7], v[10:11] op_sel:[0,0,1] op_sel_hi:[1,1,0] neg_lo:[0,0,1] neg_hi:[0,0,1]
	v_pk_fma_f32 v[10:11], v[12:13], v[6:7], v[10:11] op_sel:[0,0,1] op_sel_hi:[1,0,0]
	v_mov_b32_e32 v15, v11
	ds_load_2addr_b64 v[10:13], v222 offset0:38 offset1:39
	v_pk_add_f32 v[158:159], v[158:159], v[14:15] neg_lo:[0,1] neg_hi:[0,1]
	s_wait_dscnt 0x0
	v_pk_mul_f32 v[14:15], v[10:11], v[8:9] op_sel:[0,1]
	s_delay_alu instid0(VALU_DEP_1) | instskip(SKIP_1) | instid1(VALU_DEP_1)
	v_pk_fma_f32 v[18:19], v[10:11], v[6:7], v[14:15] op_sel:[0,0,1] op_sel_hi:[1,1,0] neg_lo:[0,0,1] neg_hi:[0,0,1]
	v_pk_fma_f32 v[10:11], v[10:11], v[6:7], v[14:15] op_sel:[0,0,1] op_sel_hi:[1,0,0]
	v_mov_b32_e32 v19, v11
	v_pk_mul_f32 v[10:11], v[12:13], v[8:9] op_sel:[0,1]
	s_delay_alu instid0(VALU_DEP_2) | instskip(NEXT) | instid1(VALU_DEP_2)
	v_pk_add_f32 v[160:161], v[160:161], v[18:19] neg_lo:[0,1] neg_hi:[0,1]
	v_pk_fma_f32 v[14:15], v[12:13], v[6:7], v[10:11] op_sel:[0,0,1] op_sel_hi:[1,1,0] neg_lo:[0,0,1] neg_hi:[0,0,1]
	v_pk_fma_f32 v[10:11], v[12:13], v[6:7], v[10:11] op_sel:[0,0,1] op_sel_hi:[1,0,0]
	s_delay_alu instid0(VALU_DEP_1) | instskip(SKIP_4) | instid1(VALU_DEP_1)
	v_mov_b32_e32 v15, v11
	ds_load_2addr_b64 v[10:13], v222 offset0:40 offset1:41
	v_pk_add_f32 v[156:157], v[156:157], v[14:15] neg_lo:[0,1] neg_hi:[0,1]
	s_wait_dscnt 0x0
	v_pk_mul_f32 v[14:15], v[10:11], v[8:9] op_sel:[0,1]
	v_pk_fma_f32 v[18:19], v[10:11], v[6:7], v[14:15] op_sel:[0,0,1] op_sel_hi:[1,1,0] neg_lo:[0,0,1] neg_hi:[0,0,1]
	v_pk_fma_f32 v[10:11], v[10:11], v[6:7], v[14:15] op_sel:[0,0,1] op_sel_hi:[1,0,0]
	v_dual_mul_f32 v14, v13, v9 :: v_dual_mov_b32 v10, v13
	s_delay_alu instid0(VALU_DEP_2) | instskip(NEXT) | instid1(VALU_DEP_2)
	v_dual_mov_b32 v19, v11 :: v_dual_mov_b32 v11, v12
	v_pk_fma_f32 v[14:15], v[12:13], v[20:21], v[14:15] op_sel_hi:[1,1,0] neg_lo:[0,0,1] neg_hi:[0,0,1]
	v_mul_f32_e32 v12, v13, v6
	s_delay_alu instid0(VALU_DEP_3) | instskip(NEXT) | instid1(VALU_DEP_2)
	v_pk_add_f32 v[178:179], v[178:179], v[18:19] neg_lo:[0,1] neg_hi:[0,1]
	v_pk_fma_f32 v[10:11], v[10:11], v[20:21], v[12:13] op_sel_hi:[1,1,0]
	s_delay_alu instid0(VALU_DEP_1) | instskip(SKIP_4) | instid1(VALU_DEP_1)
	v_mov_b32_e32 v15, v11
	ds_load_2addr_b64 v[10:13], v222 offset0:42 offset1:43
	v_pk_add_f32 v[174:175], v[174:175], v[14:15] neg_lo:[0,1] neg_hi:[0,1]
	s_wait_dscnt 0x0
	v_pk_mul_f32 v[14:15], v[10:11], v[8:9] op_sel:[0,1]
	v_pk_fma_f32 v[18:19], v[10:11], v[6:7], v[14:15] op_sel:[0,0,1] op_sel_hi:[1,1,0] neg_lo:[0,0,1] neg_hi:[0,0,1]
	v_pk_fma_f32 v[10:11], v[10:11], v[6:7], v[14:15] op_sel:[0,0,1] op_sel_hi:[1,0,0]
	s_delay_alu instid0(VALU_DEP_1) | instskip(SKIP_1) | instid1(VALU_DEP_1)
	v_mov_b32_e32 v19, v11
	v_pk_mul_f32 v[10:11], v[12:13], v[8:9] op_sel:[0,1]
	v_pk_fma_f32 v[14:15], v[12:13], v[6:7], v[10:11] op_sel:[0,0,1] op_sel_hi:[1,1,0] neg_lo:[0,0,1] neg_hi:[0,0,1]
	v_pk_fma_f32 v[10:11], v[12:13], v[6:7], v[10:11] op_sel:[0,0,1] op_sel_hi:[1,0,0]
	s_delay_alu instid0(VALU_DEP_1)
	v_mov_b32_e32 v15, v11
	ds_load_2addr_b64 v[10:13], v222 offset0:44 offset1:45
	v_pk_add_f32 v[176:177], v[176:177], v[18:19] neg_lo:[0,1] neg_hi:[0,1]
	v_pk_add_f32 v[172:173], v[172:173], v[14:15] neg_lo:[0,1] neg_hi:[0,1]
	s_wait_dscnt 0x0
	v_pk_mul_f32 v[14:15], v[10:11], v[8:9] op_sel:[0,1]
	s_delay_alu instid0(VALU_DEP_1) | instskip(SKIP_1) | instid1(VALU_DEP_1)
	v_pk_fma_f32 v[18:19], v[10:11], v[6:7], v[14:15] op_sel:[0,0,1] op_sel_hi:[1,1,0] neg_lo:[0,0,1] neg_hi:[0,0,1]
	v_pk_fma_f32 v[10:11], v[10:11], v[6:7], v[14:15] op_sel:[0,0,1] op_sel_hi:[1,0,0]
	v_mov_b32_e32 v19, v11
	v_pk_mul_f32 v[10:11], v[12:13], v[8:9] op_sel:[0,1]
	s_delay_alu instid0(VALU_DEP_1) | instskip(SKIP_1) | instid1(VALU_DEP_1)
	v_pk_fma_f32 v[14:15], v[12:13], v[6:7], v[10:11] op_sel:[0,0,1] op_sel_hi:[1,1,0] neg_lo:[0,0,1] neg_hi:[0,0,1]
	v_pk_fma_f32 v[10:11], v[12:13], v[6:7], v[10:11] op_sel:[0,0,1] op_sel_hi:[1,0,0]
	v_mov_b32_e32 v15, v11
	ds_load_2addr_b64 v[10:13], v222 offset0:46 offset1:47
	v_pk_add_f32 v[194:195], v[194:195], v[18:19] neg_lo:[0,1] neg_hi:[0,1]
	v_pk_add_f32 v[190:191], v[190:191], v[14:15] neg_lo:[0,1] neg_hi:[0,1]
	s_wait_dscnt 0x0
	v_dual_mul_f32 v14, v11, v9 :: v_dual_mul_f32 v18, v11, v6
	s_delay_alu instid0(VALU_DEP_1) | instskip(NEXT) | instid1(VALU_DEP_2)
	v_pk_fma_f32 v[14:15], v[10:11], v[20:21], v[14:15] op_sel_hi:[1,1,0] neg_lo:[0,0,1] neg_hi:[0,0,1]
	v_pk_fma_f32 v[10:11], v[10:11], v[20:21], v[18:19] op_sel:[1,0,0] op_sel_hi:[0,1,0]
	s_delay_alu instid0(VALU_DEP_1) | instskip(SKIP_1) | instid1(VALU_DEP_2)
	v_mov_b32_e32 v15, v11
	v_pk_mul_f32 v[10:11], v[12:13], v[8:9] op_sel:[0,1]
	v_pk_add_f32 v[192:193], v[192:193], v[14:15] neg_lo:[0,1] neg_hi:[0,1]
	s_delay_alu instid0(VALU_DEP_2) | instskip(SKIP_1) | instid1(VALU_DEP_1)
	v_pk_fma_f32 v[14:15], v[12:13], v[6:7], v[10:11] op_sel:[0,0,1] op_sel_hi:[1,1,0] neg_lo:[0,0,1] neg_hi:[0,0,1]
	v_pk_fma_f32 v[10:11], v[12:13], v[6:7], v[10:11] op_sel:[0,0,1] op_sel_hi:[1,0,0]
	v_mov_b32_e32 v15, v11
	ds_load_2addr_b64 v[10:13], v222 offset0:48 offset1:49
	v_pk_add_f32 v[188:189], v[188:189], v[14:15] neg_lo:[0,1] neg_hi:[0,1]
	s_wait_dscnt 0x0
	v_pk_mul_f32 v[14:15], v[10:11], v[8:9] op_sel:[0,1]
	s_delay_alu instid0(VALU_DEP_1) | instskip(SKIP_1) | instid1(VALU_DEP_1)
	v_pk_fma_f32 v[18:19], v[10:11], v[6:7], v[14:15] op_sel:[0,0,1] op_sel_hi:[1,1,0] neg_lo:[0,0,1] neg_hi:[0,0,1]
	v_pk_fma_f32 v[10:11], v[10:11], v[6:7], v[14:15] op_sel:[0,0,1] op_sel_hi:[1,0,0]
	v_mov_b32_e32 v19, v11
	v_pk_mul_f32 v[10:11], v[12:13], v[8:9] op_sel:[0,1]
	s_delay_alu instid0(VALU_DEP_2) | instskip(NEXT) | instid1(VALU_DEP_2)
	v_pk_add_f32 v[216:217], v[216:217], v[18:19] neg_lo:[0,1] neg_hi:[0,1]
	v_pk_fma_f32 v[14:15], v[12:13], v[6:7], v[10:11] op_sel:[0,0,1] op_sel_hi:[1,1,0] neg_lo:[0,0,1] neg_hi:[0,0,1]
	v_pk_fma_f32 v[10:11], v[12:13], v[6:7], v[10:11] op_sel:[0,0,1] op_sel_hi:[1,0,0]
	s_delay_alu instid0(VALU_DEP_1) | instskip(SKIP_4) | instid1(VALU_DEP_1)
	v_mov_b32_e32 v15, v11
	ds_load_2addr_b64 v[10:13], v222 offset0:50 offset1:51
	v_pk_add_f32 v[212:213], v[212:213], v[14:15] neg_lo:[0,1] neg_hi:[0,1]
	s_wait_dscnt 0x0
	v_pk_mul_f32 v[14:15], v[10:11], v[8:9] op_sel:[0,1]
	v_pk_fma_f32 v[18:19], v[10:11], v[6:7], v[14:15] op_sel:[0,0,1] op_sel_hi:[1,1,0] neg_lo:[0,0,1] neg_hi:[0,0,1]
	v_pk_fma_f32 v[10:11], v[10:11], v[6:7], v[14:15] op_sel:[0,0,1] op_sel_hi:[1,0,0]
	v_dual_mul_f32 v14, v13, v9 :: v_dual_mov_b32 v10, v13
	s_delay_alu instid0(VALU_DEP_2) | instskip(NEXT) | instid1(VALU_DEP_2)
	v_dual_mov_b32 v19, v11 :: v_dual_mov_b32 v11, v12
	v_pk_fma_f32 v[14:15], v[12:13], v[20:21], v[14:15] op_sel_hi:[1,1,0] neg_lo:[0,0,1] neg_hi:[0,0,1]
	v_mul_f32_e32 v12, v13, v6
	s_delay_alu instid0(VALU_DEP_3) | instskip(NEXT) | instid1(VALU_DEP_2)
	v_pk_add_f32 v[214:215], v[214:215], v[18:19] neg_lo:[0,1] neg_hi:[0,1]
	v_pk_fma_f32 v[10:11], v[10:11], v[20:21], v[12:13] op_sel_hi:[1,1,0]
	s_delay_alu instid0(VALU_DEP_1) | instskip(SKIP_4) | instid1(VALU_DEP_1)
	v_mov_b32_e32 v15, v11
	ds_load_2addr_b64 v[10:13], v222 offset0:52 offset1:53
	v_pk_add_f32 v[210:211], v[210:211], v[14:15] neg_lo:[0,1] neg_hi:[0,1]
	s_wait_dscnt 0x0
	v_pk_mul_f32 v[14:15], v[10:11], v[8:9] op_sel:[0,1]
	v_pk_fma_f32 v[18:19], v[10:11], v[6:7], v[14:15] op_sel:[0,0,1] op_sel_hi:[1,1,0] neg_lo:[0,0,1] neg_hi:[0,0,1]
	v_pk_fma_f32 v[10:11], v[10:11], v[6:7], v[14:15] op_sel:[0,0,1] op_sel_hi:[1,0,0]
	s_delay_alu instid0(VALU_DEP_1) | instskip(SKIP_1) | instid1(VALU_DEP_1)
	v_mov_b32_e32 v19, v11
	v_pk_mul_f32 v[10:11], v[12:13], v[8:9] op_sel:[0,1]
	v_pk_fma_f32 v[14:15], v[12:13], v[6:7], v[10:11] op_sel:[0,0,1] op_sel_hi:[1,1,0] neg_lo:[0,0,1] neg_hi:[0,0,1]
	v_pk_fma_f32 v[10:11], v[12:13], v[6:7], v[10:11] op_sel:[0,0,1] op_sel_hi:[1,0,0]
	s_delay_alu instid0(VALU_DEP_1)
	v_mov_b32_e32 v15, v11
	ds_load_2addr_b64 v[10:13], v222 offset0:54 offset1:55
	v_pk_add_f32 v[240:241], v[240:241], v[18:19] neg_lo:[0,1] neg_hi:[0,1]
	v_pk_add_f32 v[232:233], v[232:233], v[14:15] neg_lo:[0,1] neg_hi:[0,1]
	s_wait_dscnt 0x0
	v_pk_mul_f32 v[14:15], v[10:11], v[8:9] op_sel:[0,1]
	s_delay_alu instid0(VALU_DEP_1) | instskip(SKIP_1) | instid1(VALU_DEP_1)
	v_pk_fma_f32 v[18:19], v[10:11], v[6:7], v[14:15] op_sel:[0,0,1] op_sel_hi:[1,1,0] neg_lo:[0,0,1] neg_hi:[0,0,1]
	v_pk_fma_f32 v[10:11], v[10:11], v[6:7], v[14:15] op_sel:[0,0,1] op_sel_hi:[1,0,0]
	v_mov_b32_e32 v19, v11
	v_pk_mul_f32 v[10:11], v[12:13], v[8:9] op_sel:[0,1]
	s_delay_alu instid0(VALU_DEP_1) | instskip(SKIP_1) | instid1(VALU_DEP_1)
	v_pk_fma_f32 v[14:15], v[12:13], v[6:7], v[10:11] op_sel:[0,0,1] op_sel_hi:[1,1,0] neg_lo:[0,0,1] neg_hi:[0,0,1]
	v_pk_fma_f32 v[10:11], v[12:13], v[6:7], v[10:11] op_sel:[0,0,1] op_sel_hi:[1,0,0]
	v_mov_b32_e32 v15, v11
	ds_load_2addr_b64 v[10:13], v222 offset0:56 offset1:57
	v_pk_add_f32 v[238:239], v[238:239], v[18:19] neg_lo:[0,1] neg_hi:[0,1]
	v_pk_add_f32 v[230:231], v[230:231], v[14:15] neg_lo:[0,1] neg_hi:[0,1]
	s_wait_dscnt 0x0
	v_dual_mul_f32 v14, v11, v9 :: v_dual_mul_f32 v18, v11, v6
	s_delay_alu instid0(VALU_DEP_1) | instskip(NEXT) | instid1(VALU_DEP_2)
	v_pk_fma_f32 v[14:15], v[10:11], v[20:21], v[14:15] op_sel_hi:[1,1,0] neg_lo:[0,0,1] neg_hi:[0,0,1]
	v_pk_fma_f32 v[10:11], v[10:11], v[20:21], v[18:19] op_sel:[1,0,0] op_sel_hi:[0,1,0]
	s_delay_alu instid0(VALU_DEP_1) | instskip(SKIP_1) | instid1(VALU_DEP_2)
	v_mov_b32_e32 v15, v11
	v_pk_mul_f32 v[10:11], v[12:13], v[8:9] op_sel:[0,1]
	v_pk_add_f32 v[236:237], v[236:237], v[14:15] neg_lo:[0,1] neg_hi:[0,1]
	s_delay_alu instid0(VALU_DEP_2) | instskip(SKIP_1) | instid1(VALU_DEP_1)
	v_pk_fma_f32 v[14:15], v[12:13], v[6:7], v[10:11] op_sel:[0,0,1] op_sel_hi:[1,1,0] neg_lo:[0,0,1] neg_hi:[0,0,1]
	v_pk_fma_f32 v[10:11], v[12:13], v[6:7], v[10:11] op_sel:[0,0,1] op_sel_hi:[1,0,0]
	v_mov_b32_e32 v15, v11
	ds_load_2addr_b64 v[10:13], v222 offset0:58 offset1:59
	v_pk_add_f32 v[228:229], v[228:229], v[14:15] neg_lo:[0,1] neg_hi:[0,1]
	s_wait_dscnt 0x0
	v_pk_mul_f32 v[14:15], v[10:11], v[8:9] op_sel:[0,1]
	s_delay_alu instid0(VALU_DEP_1) | instskip(SKIP_1) | instid1(VALU_DEP_1)
	v_pk_fma_f32 v[18:19], v[10:11], v[6:7], v[14:15] op_sel:[0,0,1] op_sel_hi:[1,1,0] neg_lo:[0,0,1] neg_hi:[0,0,1]
	v_pk_fma_f32 v[10:11], v[10:11], v[6:7], v[14:15] op_sel:[0,0,1] op_sel_hi:[1,0,0]
	v_mov_b32_e32 v19, v11
	v_pk_mul_f32 v[10:11], v[12:13], v[8:9] op_sel:[0,1]
	s_delay_alu instid0(VALU_DEP_2) | instskip(NEXT) | instid1(VALU_DEP_2)
	v_pk_add_f32 v[234:235], v[234:235], v[18:19] neg_lo:[0,1] neg_hi:[0,1]
	v_pk_fma_f32 v[14:15], v[12:13], v[6:7], v[10:11] op_sel:[0,0,1] op_sel_hi:[1,1,0] neg_lo:[0,0,1] neg_hi:[0,0,1]
	v_pk_fma_f32 v[10:11], v[12:13], v[6:7], v[10:11] op_sel:[0,0,1] op_sel_hi:[1,0,0]
	s_delay_alu instid0(VALU_DEP_1) | instskip(SKIP_4) | instid1(VALU_DEP_1)
	v_mov_b32_e32 v15, v11
	ds_load_b64 v[10:11], v222 offset:480
	v_pk_add_f32 v[242:243], v[242:243], v[14:15] neg_lo:[0,1] neg_hi:[0,1]
	s_wait_dscnt 0x0
	v_pk_mul_f32 v[8:9], v[10:11], v[8:9] op_sel:[0,1]
	v_pk_fma_f32 v[12:13], v[10:11], v[6:7], v[8:9] op_sel:[0,0,1] op_sel_hi:[1,1,0] neg_lo:[0,0,1] neg_hi:[0,0,1]
	v_pk_fma_f32 v[6:7], v[10:11], v[6:7], v[8:9] op_sel:[0,0,1] op_sel_hi:[1,0,0]
	s_delay_alu instid0(VALU_DEP_1) | instskip(NEXT) | instid1(VALU_DEP_1)
	v_mov_b32_e32 v13, v7
	v_pk_add_f32 v[244:245], v[244:245], v[12:13] neg_lo:[0,1] neg_hi:[0,1]
.LBB121_73:
	s_or_b32 exec_lo, exec_lo, s1
	s_delay_alu instid0(SALU_CYCLE_1)
	s_mov_b32 s2, exec_lo
	s_wait_dscnt 0x0
	s_barrier_signal -1
	s_barrier_wait -1
	v_cmpx_eq_u32_e32 8, v220
	s_cbranch_execz .LBB121_80
; %bb.74:
	ds_store_b64 v221, v[42:43]
	ds_store_2addr_b64 v222, v[38:39], v[40:41] offset0:9 offset1:10
	ds_store_2addr_b64 v222, v[36:37], v[66:67] offset0:11 offset1:12
	;; [unrolled: 1-line block ×26, first 2 shown]
	ds_load_b64 v[6:7], v221
	s_wait_dscnt 0x0
	v_cmp_neq_f32_e32 vcc_lo, 0, v6
	v_cmp_neq_f32_e64 s1, 0, v7
	s_or_b32 s1, vcc_lo, s1
	s_delay_alu instid0(SALU_CYCLE_1)
	s_and_b32 exec_lo, exec_lo, s1
	s_cbranch_execz .LBB121_80
; %bb.75:
	v_cmp_ngt_f32_e64 s1, |v6|, |v7|
                                        ; implicit-def: $vgpr8_vgpr9
	s_and_saveexec_b32 s4, s1
	s_delay_alu instid0(SALU_CYCLE_1)
	s_xor_b32 s1, exec_lo, s4
	s_cbranch_execz .LBB121_77
; %bb.76:
	v_div_scale_f32 v8, null, v7, v7, v6
	v_div_scale_f32 v11, vcc_lo, v6, v7, v6
	s_delay_alu instid0(VALU_DEP_2) | instskip(SKIP_1) | instid1(TRANS32_DEP_1)
	v_rcp_f32_e32 v9, v8
	v_nop
	v_fma_f32 v10, -v8, v9, 1.0
	s_delay_alu instid0(VALU_DEP_1) | instskip(NEXT) | instid1(VALU_DEP_1)
	v_fmac_f32_e32 v9, v10, v9
	v_mul_f32_e32 v10, v11, v9
	s_delay_alu instid0(VALU_DEP_1) | instskip(NEXT) | instid1(VALU_DEP_1)
	v_fma_f32 v12, -v8, v10, v11
	v_fmac_f32_e32 v10, v12, v9
	s_delay_alu instid0(VALU_DEP_1) | instskip(NEXT) | instid1(VALU_DEP_1)
	v_fma_f32 v8, -v8, v10, v11
	v_div_fmas_f32 v8, v8, v9, v10
	s_delay_alu instid0(VALU_DEP_1) | instskip(NEXT) | instid1(VALU_DEP_1)
	v_div_fixup_f32 v8, v8, v7, v6
	v_fmac_f32_e32 v7, v6, v8
	s_delay_alu instid0(VALU_DEP_1) | instskip(SKIP_1) | instid1(VALU_DEP_2)
	v_div_scale_f32 v6, null, v7, v7, 1.0
	v_div_scale_f32 v11, vcc_lo, 1.0, v7, 1.0
	v_rcp_f32_e32 v9, v6
	v_nop
	s_delay_alu instid0(TRANS32_DEP_1) | instskip(NEXT) | instid1(VALU_DEP_1)
	v_fma_f32 v10, -v6, v9, 1.0
	v_fmac_f32_e32 v9, v10, v9
	s_delay_alu instid0(VALU_DEP_1) | instskip(NEXT) | instid1(VALU_DEP_1)
	v_mul_f32_e32 v10, v11, v9
	v_fma_f32 v12, -v6, v10, v11
	s_delay_alu instid0(VALU_DEP_1) | instskip(NEXT) | instid1(VALU_DEP_1)
	v_fmac_f32_e32 v10, v12, v9
	v_fma_f32 v6, -v6, v10, v11
	s_delay_alu instid0(VALU_DEP_1) | instskip(NEXT) | instid1(VALU_DEP_1)
	v_div_fmas_f32 v6, v6, v9, v10
	v_div_fixup_f32 v6, v6, v7, 1.0
	s_delay_alu instid0(VALU_DEP_1)
	v_mul_f32_e32 v8, v8, v6
	v_xor_b32_e32 v9, 0x80000000, v6
                                        ; implicit-def: $vgpr6_vgpr7
.LBB121_77:
	s_and_not1_saveexec_b32 s1, s1
	s_cbranch_execz .LBB121_79
; %bb.78:
	v_div_scale_f32 v8, null, v6, v6, v7
	v_div_scale_f32 v11, vcc_lo, v7, v6, v7
	s_delay_alu instid0(VALU_DEP_2) | instskip(SKIP_1) | instid1(TRANS32_DEP_1)
	v_rcp_f32_e32 v9, v8
	v_nop
	v_fma_f32 v10, -v8, v9, 1.0
	s_delay_alu instid0(VALU_DEP_1) | instskip(NEXT) | instid1(VALU_DEP_1)
	v_fmac_f32_e32 v9, v10, v9
	v_mul_f32_e32 v10, v11, v9
	s_delay_alu instid0(VALU_DEP_1) | instskip(NEXT) | instid1(VALU_DEP_1)
	v_fma_f32 v12, -v8, v10, v11
	v_fmac_f32_e32 v10, v12, v9
	s_delay_alu instid0(VALU_DEP_1) | instskip(NEXT) | instid1(VALU_DEP_1)
	v_fma_f32 v8, -v8, v10, v11
	v_div_fmas_f32 v8, v8, v9, v10
	s_delay_alu instid0(VALU_DEP_1) | instskip(NEXT) | instid1(VALU_DEP_1)
	v_div_fixup_f32 v9, v8, v6, v7
	v_fmac_f32_e32 v6, v7, v9
	s_delay_alu instid0(VALU_DEP_1) | instskip(NEXT) | instid1(VALU_DEP_1)
	v_div_scale_f32 v7, null, v6, v6, 1.0
	v_rcp_f32_e32 v8, v7
	v_nop
	s_delay_alu instid0(TRANS32_DEP_1) | instskip(NEXT) | instid1(VALU_DEP_1)
	v_fma_f32 v10, -v7, v8, 1.0
	v_fmac_f32_e32 v8, v10, v8
	v_div_scale_f32 v10, vcc_lo, 1.0, v6, 1.0
	s_delay_alu instid0(VALU_DEP_1) | instskip(NEXT) | instid1(VALU_DEP_1)
	v_mul_f32_e32 v11, v10, v8
	v_fma_f32 v12, -v7, v11, v10
	s_delay_alu instid0(VALU_DEP_1) | instskip(NEXT) | instid1(VALU_DEP_1)
	v_fmac_f32_e32 v11, v12, v8
	v_fma_f32 v7, -v7, v11, v10
	s_delay_alu instid0(VALU_DEP_1) | instskip(NEXT) | instid1(VALU_DEP_1)
	v_div_fmas_f32 v7, v7, v8, v11
	v_div_fixup_f32 v8, v7, v6, 1.0
	s_delay_alu instid0(VALU_DEP_1)
	v_mul_f32_e64 v9, v9, -v8
.LBB121_79:
	s_or_b32 exec_lo, exec_lo, s1
	ds_store_b64 v221, v[8:9]
.LBB121_80:
	s_or_b32 exec_lo, exec_lo, s2
	s_wait_dscnt 0x0
	s_barrier_signal -1
	s_barrier_wait -1
	ds_load_b64 v[6:7], v221
	s_mov_b32 s1, exec_lo
	v_cmpx_lt_u32_e32 8, v220
	s_cbranch_execz .LBB121_82
; %bb.81:
	ds_load_2addr_b64 v[12:15], v222 offset0:9 offset1:10
	s_wait_dscnt 0x1
	v_pk_mul_f32 v[10:11], v[6:7], v[42:43] op_sel:[1,1] op_sel_hi:[0,1]
	s_delay_alu instid0(VALU_DEP_1) | instskip(SKIP_1) | instid1(VALU_DEP_1)
	v_pk_fma_f32 v[8:9], v[6:7], v[42:43], v[10:11] op_sel_hi:[1,0,1] neg_lo:[0,0,1] neg_hi:[0,0,1]
	v_pk_fma_f32 v[10:11], v[6:7], v[42:43], v[10:11] op_sel_hi:[1,0,1]
	v_dual_mov_b32 v42, v8 :: v_dual_mov_b32 v43, v11
	s_wait_dscnt 0x0
	s_delay_alu instid0(VALU_DEP_2) | instskip(NEXT) | instid1(VALU_DEP_1)
	v_pk_mul_f32 v[18:19], v[12:13], v[10:11] op_sel:[0,1]
	v_pk_fma_f32 v[28:29], v[12:13], v[8:9], v[18:19] op_sel:[0,0,1] op_sel_hi:[1,1,0] neg_lo:[0,0,1] neg_hi:[0,0,1]
	v_pk_fma_f32 v[12:13], v[12:13], v[8:9], v[18:19] op_sel:[0,0,1] op_sel_hi:[1,0,0]
	s_delay_alu instid0(VALU_DEP_1) | instskip(SKIP_1) | instid1(VALU_DEP_1)
	v_mov_b32_e32 v29, v13
	v_pk_mul_f32 v[12:13], v[14:15], v[10:11] op_sel:[0,1]
	v_pk_fma_f32 v[18:19], v[14:15], v[8:9], v[12:13] op_sel:[0,0,1] op_sel_hi:[1,1,0] neg_lo:[0,0,1] neg_hi:[0,0,1]
	v_pk_fma_f32 v[12:13], v[14:15], v[8:9], v[12:13] op_sel:[0,0,1] op_sel_hi:[1,0,0]
	s_delay_alu instid0(VALU_DEP_1)
	v_mov_b32_e32 v19, v13
	ds_load_2addr_b64 v[12:15], v222 offset0:11 offset1:12
	v_pk_add_f32 v[38:39], v[38:39], v[28:29] neg_lo:[0,1] neg_hi:[0,1]
	v_pk_add_f32 v[40:41], v[40:41], v[18:19] neg_lo:[0,1] neg_hi:[0,1]
	s_wait_dscnt 0x0
	v_pk_mul_f32 v[18:19], v[12:13], v[10:11] op_sel:[0,1]
	s_delay_alu instid0(VALU_DEP_1) | instskip(SKIP_2) | instid1(VALU_DEP_2)
	v_pk_fma_f32 v[28:29], v[12:13], v[8:9], v[18:19] op_sel:[0,0,1] op_sel_hi:[1,1,0] neg_lo:[0,0,1] neg_hi:[0,0,1]
	v_pk_fma_f32 v[12:13], v[12:13], v[8:9], v[18:19] op_sel:[0,0,1] op_sel_hi:[1,0,0]
	v_dual_mul_f32 v18, v15, v11 :: v_dual_mov_b32 v12, v15
	v_dual_mov_b32 v29, v13 :: v_dual_mov_b32 v13, v14
	s_delay_alu instid0(VALU_DEP_2) | instskip(SKIP_1) | instid1(VALU_DEP_3)
	v_pk_fma_f32 v[18:19], v[14:15], v[42:43], v[18:19] op_sel_hi:[1,1,0] neg_lo:[0,0,1] neg_hi:[0,0,1]
	v_mul_f32_e32 v14, v15, v8
	v_pk_add_f32 v[36:37], v[36:37], v[28:29] neg_lo:[0,1] neg_hi:[0,1]
	s_delay_alu instid0(VALU_DEP_2) | instskip(NEXT) | instid1(VALU_DEP_1)
	v_pk_fma_f32 v[12:13], v[12:13], v[42:43], v[14:15] op_sel_hi:[1,1,0]
	v_mov_b32_e32 v19, v13
	ds_load_2addr_b64 v[12:15], v222 offset0:13 offset1:14
	v_pk_add_f32 v[66:67], v[66:67], v[18:19] neg_lo:[0,1] neg_hi:[0,1]
	s_wait_dscnt 0x0
	v_pk_mul_f32 v[18:19], v[12:13], v[10:11] op_sel:[0,1]
	s_delay_alu instid0(VALU_DEP_1) | instskip(SKIP_1) | instid1(VALU_DEP_1)
	v_pk_fma_f32 v[28:29], v[12:13], v[8:9], v[18:19] op_sel:[0,0,1] op_sel_hi:[1,1,0] neg_lo:[0,0,1] neg_hi:[0,0,1]
	v_pk_fma_f32 v[12:13], v[12:13], v[8:9], v[18:19] op_sel:[0,0,1] op_sel_hi:[1,0,0]
	v_mov_b32_e32 v29, v13
	v_pk_mul_f32 v[12:13], v[14:15], v[10:11] op_sel:[0,1]
	s_delay_alu instid0(VALU_DEP_1) | instskip(SKIP_1) | instid1(VALU_DEP_1)
	v_pk_fma_f32 v[18:19], v[14:15], v[8:9], v[12:13] op_sel:[0,0,1] op_sel_hi:[1,1,0] neg_lo:[0,0,1] neg_hi:[0,0,1]
	v_pk_fma_f32 v[12:13], v[14:15], v[8:9], v[12:13] op_sel:[0,0,1] op_sel_hi:[1,0,0]
	v_mov_b32_e32 v19, v13
	ds_load_2addr_b64 v[12:15], v222 offset0:15 offset1:16
	v_pk_add_f32 v[62:63], v[62:63], v[28:29] neg_lo:[0,1] neg_hi:[0,1]
	v_pk_add_f32 v[64:65], v[64:65], v[18:19] neg_lo:[0,1] neg_hi:[0,1]
	s_wait_dscnt 0x0
	v_pk_mul_f32 v[18:19], v[12:13], v[10:11] op_sel:[0,1]
	s_delay_alu instid0(VALU_DEP_1) | instskip(SKIP_1) | instid1(VALU_DEP_1)
	v_pk_fma_f32 v[28:29], v[12:13], v[8:9], v[18:19] op_sel:[0,0,1] op_sel_hi:[1,1,0] neg_lo:[0,0,1] neg_hi:[0,0,1]
	v_pk_fma_f32 v[12:13], v[12:13], v[8:9], v[18:19] op_sel:[0,0,1] op_sel_hi:[1,0,0]
	v_mov_b32_e32 v29, v13
	v_pk_mul_f32 v[12:13], v[14:15], v[10:11] op_sel:[0,1]
	s_delay_alu instid0(VALU_DEP_1) | instskip(SKIP_1) | instid1(VALU_DEP_1)
	v_pk_fma_f32 v[18:19], v[14:15], v[8:9], v[12:13] op_sel:[0,0,1] op_sel_hi:[1,1,0] neg_lo:[0,0,1] neg_hi:[0,0,1]
	v_pk_fma_f32 v[12:13], v[14:15], v[8:9], v[12:13] op_sel:[0,0,1] op_sel_hi:[1,0,0]
	v_mov_b32_e32 v19, v13
	ds_load_2addr_b64 v[12:15], v222 offset0:17 offset1:18
	v_pk_add_f32 v[60:61], v[60:61], v[28:29] neg_lo:[0,1] neg_hi:[0,1]
	v_pk_add_f32 v[82:83], v[82:83], v[18:19] neg_lo:[0,1] neg_hi:[0,1]
	s_wait_dscnt 0x0
	v_dual_mul_f32 v18, v13, v11 :: v_dual_mul_f32 v28, v13, v8
	s_delay_alu instid0(VALU_DEP_1) | instskip(NEXT) | instid1(VALU_DEP_2)
	v_pk_fma_f32 v[18:19], v[12:13], v[42:43], v[18:19] op_sel_hi:[1,1,0] neg_lo:[0,0,1] neg_hi:[0,0,1]
	v_pk_fma_f32 v[12:13], v[12:13], v[42:43], v[28:29] op_sel:[1,0,0] op_sel_hi:[0,1,0]
	s_delay_alu instid0(VALU_DEP_1) | instskip(SKIP_1) | instid1(VALU_DEP_2)
	v_mov_b32_e32 v19, v13
	v_pk_mul_f32 v[12:13], v[14:15], v[10:11] op_sel:[0,1]
	v_pk_add_f32 v[78:79], v[78:79], v[18:19] neg_lo:[0,1] neg_hi:[0,1]
	s_delay_alu instid0(VALU_DEP_2) | instskip(SKIP_1) | instid1(VALU_DEP_1)
	v_pk_fma_f32 v[18:19], v[14:15], v[8:9], v[12:13] op_sel:[0,0,1] op_sel_hi:[1,1,0] neg_lo:[0,0,1] neg_hi:[0,0,1]
	v_pk_fma_f32 v[12:13], v[14:15], v[8:9], v[12:13] op_sel:[0,0,1] op_sel_hi:[1,0,0]
	v_mov_b32_e32 v19, v13
	ds_load_2addr_b64 v[12:15], v222 offset0:19 offset1:20
	v_pk_add_f32 v[80:81], v[80:81], v[18:19] neg_lo:[0,1] neg_hi:[0,1]
	s_wait_dscnt 0x0
	v_pk_mul_f32 v[18:19], v[12:13], v[10:11] op_sel:[0,1]
	s_delay_alu instid0(VALU_DEP_1) | instskip(SKIP_1) | instid1(VALU_DEP_1)
	v_pk_fma_f32 v[28:29], v[12:13], v[8:9], v[18:19] op_sel:[0,0,1] op_sel_hi:[1,1,0] neg_lo:[0,0,1] neg_hi:[0,0,1]
	v_pk_fma_f32 v[12:13], v[12:13], v[8:9], v[18:19] op_sel:[0,0,1] op_sel_hi:[1,0,0]
	v_mov_b32_e32 v29, v13
	v_pk_mul_f32 v[12:13], v[14:15], v[10:11] op_sel:[0,1]
	s_delay_alu instid0(VALU_DEP_2) | instskip(NEXT) | instid1(VALU_DEP_2)
	v_pk_add_f32 v[76:77], v[76:77], v[28:29] neg_lo:[0,1] neg_hi:[0,1]
	v_pk_fma_f32 v[18:19], v[14:15], v[8:9], v[12:13] op_sel:[0,0,1] op_sel_hi:[1,1,0] neg_lo:[0,0,1] neg_hi:[0,0,1]
	v_pk_fma_f32 v[12:13], v[14:15], v[8:9], v[12:13] op_sel:[0,0,1] op_sel_hi:[1,0,0]
	s_delay_alu instid0(VALU_DEP_1) | instskip(SKIP_4) | instid1(VALU_DEP_1)
	v_mov_b32_e32 v19, v13
	ds_load_2addr_b64 v[12:15], v222 offset0:21 offset1:22
	v_pk_add_f32 v[98:99], v[98:99], v[18:19] neg_lo:[0,1] neg_hi:[0,1]
	s_wait_dscnt 0x0
	v_pk_mul_f32 v[18:19], v[12:13], v[10:11] op_sel:[0,1]
	v_pk_fma_f32 v[28:29], v[12:13], v[8:9], v[18:19] op_sel:[0,0,1] op_sel_hi:[1,1,0] neg_lo:[0,0,1] neg_hi:[0,0,1]
	v_pk_fma_f32 v[12:13], v[12:13], v[8:9], v[18:19] op_sel:[0,0,1] op_sel_hi:[1,0,0]
	v_dual_mul_f32 v18, v15, v11 :: v_dual_mov_b32 v12, v15
	s_delay_alu instid0(VALU_DEP_2) | instskip(NEXT) | instid1(VALU_DEP_2)
	v_dual_mov_b32 v29, v13 :: v_dual_mov_b32 v13, v14
	v_pk_fma_f32 v[18:19], v[14:15], v[42:43], v[18:19] op_sel_hi:[1,1,0] neg_lo:[0,0,1] neg_hi:[0,0,1]
	v_mul_f32_e32 v14, v15, v8
	s_delay_alu instid0(VALU_DEP_3) | instskip(NEXT) | instid1(VALU_DEP_2)
	v_pk_add_f32 v[94:95], v[94:95], v[28:29] neg_lo:[0,1] neg_hi:[0,1]
	v_pk_fma_f32 v[12:13], v[12:13], v[42:43], v[14:15] op_sel_hi:[1,1,0]
	s_delay_alu instid0(VALU_DEP_1) | instskip(SKIP_4) | instid1(VALU_DEP_1)
	v_mov_b32_e32 v19, v13
	ds_load_2addr_b64 v[12:15], v222 offset0:23 offset1:24
	v_pk_add_f32 v[96:97], v[96:97], v[18:19] neg_lo:[0,1] neg_hi:[0,1]
	s_wait_dscnt 0x0
	v_pk_mul_f32 v[18:19], v[12:13], v[10:11] op_sel:[0,1]
	v_pk_fma_f32 v[28:29], v[12:13], v[8:9], v[18:19] op_sel:[0,0,1] op_sel_hi:[1,1,0] neg_lo:[0,0,1] neg_hi:[0,0,1]
	v_pk_fma_f32 v[12:13], v[12:13], v[8:9], v[18:19] op_sel:[0,0,1] op_sel_hi:[1,0,0]
	s_delay_alu instid0(VALU_DEP_1) | instskip(SKIP_1) | instid1(VALU_DEP_1)
	v_mov_b32_e32 v29, v13
	v_pk_mul_f32 v[12:13], v[14:15], v[10:11] op_sel:[0,1]
	v_pk_fma_f32 v[18:19], v[14:15], v[8:9], v[12:13] op_sel:[0,0,1] op_sel_hi:[1,1,0] neg_lo:[0,0,1] neg_hi:[0,0,1]
	v_pk_fma_f32 v[12:13], v[14:15], v[8:9], v[12:13] op_sel:[0,0,1] op_sel_hi:[1,0,0]
	s_delay_alu instid0(VALU_DEP_1)
	v_mov_b32_e32 v19, v13
	ds_load_2addr_b64 v[12:15], v222 offset0:25 offset1:26
	v_pk_add_f32 v[92:93], v[92:93], v[28:29] neg_lo:[0,1] neg_hi:[0,1]
	v_pk_add_f32 v[114:115], v[114:115], v[18:19] neg_lo:[0,1] neg_hi:[0,1]
	s_wait_dscnt 0x0
	v_pk_mul_f32 v[18:19], v[12:13], v[10:11] op_sel:[0,1]
	s_delay_alu instid0(VALU_DEP_1) | instskip(SKIP_1) | instid1(VALU_DEP_1)
	v_pk_fma_f32 v[28:29], v[12:13], v[8:9], v[18:19] op_sel:[0,0,1] op_sel_hi:[1,1,0] neg_lo:[0,0,1] neg_hi:[0,0,1]
	v_pk_fma_f32 v[12:13], v[12:13], v[8:9], v[18:19] op_sel:[0,0,1] op_sel_hi:[1,0,0]
	v_mov_b32_e32 v29, v13
	v_pk_mul_f32 v[12:13], v[14:15], v[10:11] op_sel:[0,1]
	s_delay_alu instid0(VALU_DEP_1) | instskip(SKIP_1) | instid1(VALU_DEP_1)
	v_pk_fma_f32 v[18:19], v[14:15], v[8:9], v[12:13] op_sel:[0,0,1] op_sel_hi:[1,1,0] neg_lo:[0,0,1] neg_hi:[0,0,1]
	v_pk_fma_f32 v[12:13], v[14:15], v[8:9], v[12:13] op_sel:[0,0,1] op_sel_hi:[1,0,0]
	v_mov_b32_e32 v19, v13
	ds_load_2addr_b64 v[12:15], v222 offset0:27 offset1:28
	v_pk_add_f32 v[110:111], v[110:111], v[28:29] neg_lo:[0,1] neg_hi:[0,1]
	v_pk_add_f32 v[112:113], v[112:113], v[18:19] neg_lo:[0,1] neg_hi:[0,1]
	s_wait_dscnt 0x0
	v_dual_mul_f32 v18, v13, v11 :: v_dual_mul_f32 v28, v13, v8
	s_delay_alu instid0(VALU_DEP_1) | instskip(NEXT) | instid1(VALU_DEP_2)
	v_pk_fma_f32 v[18:19], v[12:13], v[42:43], v[18:19] op_sel_hi:[1,1,0] neg_lo:[0,0,1] neg_hi:[0,0,1]
	v_pk_fma_f32 v[12:13], v[12:13], v[42:43], v[28:29] op_sel:[1,0,0] op_sel_hi:[0,1,0]
	s_delay_alu instid0(VALU_DEP_1) | instskip(SKIP_1) | instid1(VALU_DEP_2)
	v_mov_b32_e32 v19, v13
	v_pk_mul_f32 v[12:13], v[14:15], v[10:11] op_sel:[0,1]
	v_pk_add_f32 v[108:109], v[108:109], v[18:19] neg_lo:[0,1] neg_hi:[0,1]
	s_delay_alu instid0(VALU_DEP_2) | instskip(SKIP_1) | instid1(VALU_DEP_1)
	v_pk_fma_f32 v[18:19], v[14:15], v[8:9], v[12:13] op_sel:[0,0,1] op_sel_hi:[1,1,0] neg_lo:[0,0,1] neg_hi:[0,0,1]
	v_pk_fma_f32 v[12:13], v[14:15], v[8:9], v[12:13] op_sel:[0,0,1] op_sel_hi:[1,0,0]
	v_mov_b32_e32 v19, v13
	ds_load_2addr_b64 v[12:15], v222 offset0:29 offset1:30
	v_pk_add_f32 v[130:131], v[130:131], v[18:19] neg_lo:[0,1] neg_hi:[0,1]
	s_wait_dscnt 0x0
	v_pk_mul_f32 v[18:19], v[12:13], v[10:11] op_sel:[0,1]
	s_delay_alu instid0(VALU_DEP_1) | instskip(SKIP_1) | instid1(VALU_DEP_1)
	v_pk_fma_f32 v[28:29], v[12:13], v[8:9], v[18:19] op_sel:[0,0,1] op_sel_hi:[1,1,0] neg_lo:[0,0,1] neg_hi:[0,0,1]
	v_pk_fma_f32 v[12:13], v[12:13], v[8:9], v[18:19] op_sel:[0,0,1] op_sel_hi:[1,0,0]
	v_mov_b32_e32 v29, v13
	v_pk_mul_f32 v[12:13], v[14:15], v[10:11] op_sel:[0,1]
	s_delay_alu instid0(VALU_DEP_2) | instskip(NEXT) | instid1(VALU_DEP_2)
	v_pk_add_f32 v[126:127], v[126:127], v[28:29] neg_lo:[0,1] neg_hi:[0,1]
	v_pk_fma_f32 v[18:19], v[14:15], v[8:9], v[12:13] op_sel:[0,0,1] op_sel_hi:[1,1,0] neg_lo:[0,0,1] neg_hi:[0,0,1]
	v_pk_fma_f32 v[12:13], v[14:15], v[8:9], v[12:13] op_sel:[0,0,1] op_sel_hi:[1,0,0]
	s_delay_alu instid0(VALU_DEP_1) | instskip(SKIP_4) | instid1(VALU_DEP_1)
	v_mov_b32_e32 v19, v13
	ds_load_2addr_b64 v[12:15], v222 offset0:31 offset1:32
	v_pk_add_f32 v[128:129], v[128:129], v[18:19] neg_lo:[0,1] neg_hi:[0,1]
	s_wait_dscnt 0x0
	v_pk_mul_f32 v[18:19], v[12:13], v[10:11] op_sel:[0,1]
	v_pk_fma_f32 v[28:29], v[12:13], v[8:9], v[18:19] op_sel:[0,0,1] op_sel_hi:[1,1,0] neg_lo:[0,0,1] neg_hi:[0,0,1]
	v_pk_fma_f32 v[12:13], v[12:13], v[8:9], v[18:19] op_sel:[0,0,1] op_sel_hi:[1,0,0]
	v_dual_mul_f32 v18, v15, v11 :: v_dual_mov_b32 v12, v15
	s_delay_alu instid0(VALU_DEP_2) | instskip(NEXT) | instid1(VALU_DEP_2)
	v_dual_mov_b32 v29, v13 :: v_dual_mov_b32 v13, v14
	v_pk_fma_f32 v[18:19], v[14:15], v[42:43], v[18:19] op_sel_hi:[1,1,0] neg_lo:[0,0,1] neg_hi:[0,0,1]
	v_mul_f32_e32 v14, v15, v8
	s_delay_alu instid0(VALU_DEP_3) | instskip(NEXT) | instid1(VALU_DEP_2)
	v_pk_add_f32 v[124:125], v[124:125], v[28:29] neg_lo:[0,1] neg_hi:[0,1]
	v_pk_fma_f32 v[12:13], v[12:13], v[42:43], v[14:15] op_sel_hi:[1,1,0]
	s_delay_alu instid0(VALU_DEP_1) | instskip(SKIP_4) | instid1(VALU_DEP_1)
	v_mov_b32_e32 v19, v13
	ds_load_2addr_b64 v[12:15], v222 offset0:33 offset1:34
	v_pk_add_f32 v[146:147], v[146:147], v[18:19] neg_lo:[0,1] neg_hi:[0,1]
	s_wait_dscnt 0x0
	v_pk_mul_f32 v[18:19], v[12:13], v[10:11] op_sel:[0,1]
	v_pk_fma_f32 v[28:29], v[12:13], v[8:9], v[18:19] op_sel:[0,0,1] op_sel_hi:[1,1,0] neg_lo:[0,0,1] neg_hi:[0,0,1]
	v_pk_fma_f32 v[12:13], v[12:13], v[8:9], v[18:19] op_sel:[0,0,1] op_sel_hi:[1,0,0]
	s_delay_alu instid0(VALU_DEP_1) | instskip(SKIP_1) | instid1(VALU_DEP_1)
	v_mov_b32_e32 v29, v13
	v_pk_mul_f32 v[12:13], v[14:15], v[10:11] op_sel:[0,1]
	v_pk_fma_f32 v[18:19], v[14:15], v[8:9], v[12:13] op_sel:[0,0,1] op_sel_hi:[1,1,0] neg_lo:[0,0,1] neg_hi:[0,0,1]
	v_pk_fma_f32 v[12:13], v[14:15], v[8:9], v[12:13] op_sel:[0,0,1] op_sel_hi:[1,0,0]
	s_delay_alu instid0(VALU_DEP_1)
	v_mov_b32_e32 v19, v13
	ds_load_2addr_b64 v[12:15], v222 offset0:35 offset1:36
	v_pk_add_f32 v[142:143], v[142:143], v[28:29] neg_lo:[0,1] neg_hi:[0,1]
	v_pk_add_f32 v[144:145], v[144:145], v[18:19] neg_lo:[0,1] neg_hi:[0,1]
	s_wait_dscnt 0x0
	v_pk_mul_f32 v[18:19], v[12:13], v[10:11] op_sel:[0,1]
	s_delay_alu instid0(VALU_DEP_1) | instskip(SKIP_1) | instid1(VALU_DEP_1)
	v_pk_fma_f32 v[28:29], v[12:13], v[8:9], v[18:19] op_sel:[0,0,1] op_sel_hi:[1,1,0] neg_lo:[0,0,1] neg_hi:[0,0,1]
	v_pk_fma_f32 v[12:13], v[12:13], v[8:9], v[18:19] op_sel:[0,0,1] op_sel_hi:[1,0,0]
	v_mov_b32_e32 v29, v13
	v_pk_mul_f32 v[12:13], v[14:15], v[10:11] op_sel:[0,1]
	s_delay_alu instid0(VALU_DEP_1) | instskip(SKIP_1) | instid1(VALU_DEP_1)
	v_pk_fma_f32 v[18:19], v[14:15], v[8:9], v[12:13] op_sel:[0,0,1] op_sel_hi:[1,1,0] neg_lo:[0,0,1] neg_hi:[0,0,1]
	v_pk_fma_f32 v[12:13], v[14:15], v[8:9], v[12:13] op_sel:[0,0,1] op_sel_hi:[1,0,0]
	v_mov_b32_e32 v19, v13
	ds_load_2addr_b64 v[12:15], v222 offset0:37 offset1:38
	v_pk_add_f32 v[140:141], v[140:141], v[28:29] neg_lo:[0,1] neg_hi:[0,1]
	v_pk_add_f32 v[162:163], v[162:163], v[18:19] neg_lo:[0,1] neg_hi:[0,1]
	s_wait_dscnt 0x0
	v_dual_mul_f32 v18, v13, v11 :: v_dual_mul_f32 v28, v13, v8
	s_delay_alu instid0(VALU_DEP_1) | instskip(NEXT) | instid1(VALU_DEP_2)
	v_pk_fma_f32 v[18:19], v[12:13], v[42:43], v[18:19] op_sel_hi:[1,1,0] neg_lo:[0,0,1] neg_hi:[0,0,1]
	v_pk_fma_f32 v[12:13], v[12:13], v[42:43], v[28:29] op_sel:[1,0,0] op_sel_hi:[0,1,0]
	s_delay_alu instid0(VALU_DEP_1) | instskip(SKIP_1) | instid1(VALU_DEP_2)
	v_mov_b32_e32 v19, v13
	v_pk_mul_f32 v[12:13], v[14:15], v[10:11] op_sel:[0,1]
	v_pk_add_f32 v[158:159], v[158:159], v[18:19] neg_lo:[0,1] neg_hi:[0,1]
	s_delay_alu instid0(VALU_DEP_2) | instskip(SKIP_1) | instid1(VALU_DEP_1)
	v_pk_fma_f32 v[18:19], v[14:15], v[8:9], v[12:13] op_sel:[0,0,1] op_sel_hi:[1,1,0] neg_lo:[0,0,1] neg_hi:[0,0,1]
	v_pk_fma_f32 v[12:13], v[14:15], v[8:9], v[12:13] op_sel:[0,0,1] op_sel_hi:[1,0,0]
	v_mov_b32_e32 v19, v13
	ds_load_2addr_b64 v[12:15], v222 offset0:39 offset1:40
	v_pk_add_f32 v[160:161], v[160:161], v[18:19] neg_lo:[0,1] neg_hi:[0,1]
	s_wait_dscnt 0x0
	v_pk_mul_f32 v[18:19], v[12:13], v[10:11] op_sel:[0,1]
	s_delay_alu instid0(VALU_DEP_1) | instskip(SKIP_1) | instid1(VALU_DEP_1)
	v_pk_fma_f32 v[28:29], v[12:13], v[8:9], v[18:19] op_sel:[0,0,1] op_sel_hi:[1,1,0] neg_lo:[0,0,1] neg_hi:[0,0,1]
	v_pk_fma_f32 v[12:13], v[12:13], v[8:9], v[18:19] op_sel:[0,0,1] op_sel_hi:[1,0,0]
	v_mov_b32_e32 v29, v13
	v_pk_mul_f32 v[12:13], v[14:15], v[10:11] op_sel:[0,1]
	s_delay_alu instid0(VALU_DEP_2) | instskip(NEXT) | instid1(VALU_DEP_2)
	v_pk_add_f32 v[156:157], v[156:157], v[28:29] neg_lo:[0,1] neg_hi:[0,1]
	v_pk_fma_f32 v[18:19], v[14:15], v[8:9], v[12:13] op_sel:[0,0,1] op_sel_hi:[1,1,0] neg_lo:[0,0,1] neg_hi:[0,0,1]
	v_pk_fma_f32 v[12:13], v[14:15], v[8:9], v[12:13] op_sel:[0,0,1] op_sel_hi:[1,0,0]
	s_delay_alu instid0(VALU_DEP_1) | instskip(SKIP_4) | instid1(VALU_DEP_1)
	v_mov_b32_e32 v19, v13
	ds_load_2addr_b64 v[12:15], v222 offset0:41 offset1:42
	v_pk_add_f32 v[178:179], v[178:179], v[18:19] neg_lo:[0,1] neg_hi:[0,1]
	s_wait_dscnt 0x0
	v_pk_mul_f32 v[18:19], v[12:13], v[10:11] op_sel:[0,1]
	v_pk_fma_f32 v[28:29], v[12:13], v[8:9], v[18:19] op_sel:[0,0,1] op_sel_hi:[1,1,0] neg_lo:[0,0,1] neg_hi:[0,0,1]
	v_pk_fma_f32 v[12:13], v[12:13], v[8:9], v[18:19] op_sel:[0,0,1] op_sel_hi:[1,0,0]
	v_dual_mul_f32 v18, v15, v11 :: v_dual_mov_b32 v12, v15
	s_delay_alu instid0(VALU_DEP_2) | instskip(NEXT) | instid1(VALU_DEP_2)
	v_dual_mov_b32 v29, v13 :: v_dual_mov_b32 v13, v14
	v_pk_fma_f32 v[18:19], v[14:15], v[42:43], v[18:19] op_sel_hi:[1,1,0] neg_lo:[0,0,1] neg_hi:[0,0,1]
	v_mul_f32_e32 v14, v15, v8
	s_delay_alu instid0(VALU_DEP_3) | instskip(NEXT) | instid1(VALU_DEP_2)
	v_pk_add_f32 v[174:175], v[174:175], v[28:29] neg_lo:[0,1] neg_hi:[0,1]
	v_pk_fma_f32 v[12:13], v[12:13], v[42:43], v[14:15] op_sel_hi:[1,1,0]
	s_delay_alu instid0(VALU_DEP_1) | instskip(SKIP_4) | instid1(VALU_DEP_1)
	v_mov_b32_e32 v19, v13
	ds_load_2addr_b64 v[12:15], v222 offset0:43 offset1:44
	v_pk_add_f32 v[176:177], v[176:177], v[18:19] neg_lo:[0,1] neg_hi:[0,1]
	s_wait_dscnt 0x0
	v_pk_mul_f32 v[18:19], v[12:13], v[10:11] op_sel:[0,1]
	v_pk_fma_f32 v[28:29], v[12:13], v[8:9], v[18:19] op_sel:[0,0,1] op_sel_hi:[1,1,0] neg_lo:[0,0,1] neg_hi:[0,0,1]
	v_pk_fma_f32 v[12:13], v[12:13], v[8:9], v[18:19] op_sel:[0,0,1] op_sel_hi:[1,0,0]
	s_delay_alu instid0(VALU_DEP_1) | instskip(SKIP_1) | instid1(VALU_DEP_1)
	v_mov_b32_e32 v29, v13
	v_pk_mul_f32 v[12:13], v[14:15], v[10:11] op_sel:[0,1]
	v_pk_fma_f32 v[18:19], v[14:15], v[8:9], v[12:13] op_sel:[0,0,1] op_sel_hi:[1,1,0] neg_lo:[0,0,1] neg_hi:[0,0,1]
	v_pk_fma_f32 v[12:13], v[14:15], v[8:9], v[12:13] op_sel:[0,0,1] op_sel_hi:[1,0,0]
	s_delay_alu instid0(VALU_DEP_1)
	v_mov_b32_e32 v19, v13
	ds_load_2addr_b64 v[12:15], v222 offset0:45 offset1:46
	v_pk_add_f32 v[172:173], v[172:173], v[28:29] neg_lo:[0,1] neg_hi:[0,1]
	v_pk_add_f32 v[194:195], v[194:195], v[18:19] neg_lo:[0,1] neg_hi:[0,1]
	s_wait_dscnt 0x0
	v_pk_mul_f32 v[18:19], v[12:13], v[10:11] op_sel:[0,1]
	s_delay_alu instid0(VALU_DEP_1) | instskip(SKIP_1) | instid1(VALU_DEP_1)
	v_pk_fma_f32 v[28:29], v[12:13], v[8:9], v[18:19] op_sel:[0,0,1] op_sel_hi:[1,1,0] neg_lo:[0,0,1] neg_hi:[0,0,1]
	v_pk_fma_f32 v[12:13], v[12:13], v[8:9], v[18:19] op_sel:[0,0,1] op_sel_hi:[1,0,0]
	v_mov_b32_e32 v29, v13
	v_pk_mul_f32 v[12:13], v[14:15], v[10:11] op_sel:[0,1]
	s_delay_alu instid0(VALU_DEP_1) | instskip(SKIP_1) | instid1(VALU_DEP_1)
	v_pk_fma_f32 v[18:19], v[14:15], v[8:9], v[12:13] op_sel:[0,0,1] op_sel_hi:[1,1,0] neg_lo:[0,0,1] neg_hi:[0,0,1]
	v_pk_fma_f32 v[12:13], v[14:15], v[8:9], v[12:13] op_sel:[0,0,1] op_sel_hi:[1,0,0]
	v_mov_b32_e32 v19, v13
	ds_load_2addr_b64 v[12:15], v222 offset0:47 offset1:48
	v_pk_add_f32 v[190:191], v[190:191], v[28:29] neg_lo:[0,1] neg_hi:[0,1]
	v_pk_add_f32 v[192:193], v[192:193], v[18:19] neg_lo:[0,1] neg_hi:[0,1]
	s_wait_dscnt 0x0
	v_dual_mul_f32 v18, v13, v11 :: v_dual_mul_f32 v28, v13, v8
	s_delay_alu instid0(VALU_DEP_1) | instskip(NEXT) | instid1(VALU_DEP_2)
	v_pk_fma_f32 v[18:19], v[12:13], v[42:43], v[18:19] op_sel_hi:[1,1,0] neg_lo:[0,0,1] neg_hi:[0,0,1]
	v_pk_fma_f32 v[12:13], v[12:13], v[42:43], v[28:29] op_sel:[1,0,0] op_sel_hi:[0,1,0]
	s_delay_alu instid0(VALU_DEP_1) | instskip(SKIP_1) | instid1(VALU_DEP_2)
	v_mov_b32_e32 v19, v13
	v_pk_mul_f32 v[12:13], v[14:15], v[10:11] op_sel:[0,1]
	v_pk_add_f32 v[188:189], v[188:189], v[18:19] neg_lo:[0,1] neg_hi:[0,1]
	s_delay_alu instid0(VALU_DEP_2) | instskip(SKIP_1) | instid1(VALU_DEP_1)
	v_pk_fma_f32 v[18:19], v[14:15], v[8:9], v[12:13] op_sel:[0,0,1] op_sel_hi:[1,1,0] neg_lo:[0,0,1] neg_hi:[0,0,1]
	v_pk_fma_f32 v[12:13], v[14:15], v[8:9], v[12:13] op_sel:[0,0,1] op_sel_hi:[1,0,0]
	v_mov_b32_e32 v19, v13
	ds_load_2addr_b64 v[12:15], v222 offset0:49 offset1:50
	v_pk_add_f32 v[216:217], v[216:217], v[18:19] neg_lo:[0,1] neg_hi:[0,1]
	s_wait_dscnt 0x0
	v_pk_mul_f32 v[18:19], v[12:13], v[10:11] op_sel:[0,1]
	s_delay_alu instid0(VALU_DEP_1) | instskip(SKIP_1) | instid1(VALU_DEP_1)
	v_pk_fma_f32 v[28:29], v[12:13], v[8:9], v[18:19] op_sel:[0,0,1] op_sel_hi:[1,1,0] neg_lo:[0,0,1] neg_hi:[0,0,1]
	v_pk_fma_f32 v[12:13], v[12:13], v[8:9], v[18:19] op_sel:[0,0,1] op_sel_hi:[1,0,0]
	v_mov_b32_e32 v29, v13
	v_pk_mul_f32 v[12:13], v[14:15], v[10:11] op_sel:[0,1]
	s_delay_alu instid0(VALU_DEP_2) | instskip(NEXT) | instid1(VALU_DEP_2)
	v_pk_add_f32 v[212:213], v[212:213], v[28:29] neg_lo:[0,1] neg_hi:[0,1]
	v_pk_fma_f32 v[18:19], v[14:15], v[8:9], v[12:13] op_sel:[0,0,1] op_sel_hi:[1,1,0] neg_lo:[0,0,1] neg_hi:[0,0,1]
	v_pk_fma_f32 v[12:13], v[14:15], v[8:9], v[12:13] op_sel:[0,0,1] op_sel_hi:[1,0,0]
	s_delay_alu instid0(VALU_DEP_1) | instskip(SKIP_4) | instid1(VALU_DEP_1)
	v_mov_b32_e32 v19, v13
	ds_load_2addr_b64 v[12:15], v222 offset0:51 offset1:52
	v_pk_add_f32 v[214:215], v[214:215], v[18:19] neg_lo:[0,1] neg_hi:[0,1]
	s_wait_dscnt 0x0
	v_pk_mul_f32 v[18:19], v[12:13], v[10:11] op_sel:[0,1]
	v_pk_fma_f32 v[28:29], v[12:13], v[8:9], v[18:19] op_sel:[0,0,1] op_sel_hi:[1,1,0] neg_lo:[0,0,1] neg_hi:[0,0,1]
	v_pk_fma_f32 v[12:13], v[12:13], v[8:9], v[18:19] op_sel:[0,0,1] op_sel_hi:[1,0,0]
	v_dual_mul_f32 v18, v15, v11 :: v_dual_mov_b32 v12, v15
	s_delay_alu instid0(VALU_DEP_2) | instskip(NEXT) | instid1(VALU_DEP_2)
	v_dual_mov_b32 v29, v13 :: v_dual_mov_b32 v13, v14
	v_pk_fma_f32 v[18:19], v[14:15], v[42:43], v[18:19] op_sel_hi:[1,1,0] neg_lo:[0,0,1] neg_hi:[0,0,1]
	v_mul_f32_e32 v14, v15, v8
	s_delay_alu instid0(VALU_DEP_3) | instskip(NEXT) | instid1(VALU_DEP_2)
	v_pk_add_f32 v[210:211], v[210:211], v[28:29] neg_lo:[0,1] neg_hi:[0,1]
	v_pk_fma_f32 v[12:13], v[12:13], v[42:43], v[14:15] op_sel_hi:[1,1,0]
	s_delay_alu instid0(VALU_DEP_1) | instskip(SKIP_4) | instid1(VALU_DEP_1)
	v_mov_b32_e32 v19, v13
	ds_load_2addr_b64 v[12:15], v222 offset0:53 offset1:54
	v_pk_add_f32 v[240:241], v[240:241], v[18:19] neg_lo:[0,1] neg_hi:[0,1]
	s_wait_dscnt 0x0
	v_pk_mul_f32 v[18:19], v[12:13], v[10:11] op_sel:[0,1]
	v_pk_fma_f32 v[28:29], v[12:13], v[8:9], v[18:19] op_sel:[0,0,1] op_sel_hi:[1,1,0] neg_lo:[0,0,1] neg_hi:[0,0,1]
	v_pk_fma_f32 v[12:13], v[12:13], v[8:9], v[18:19] op_sel:[0,0,1] op_sel_hi:[1,0,0]
	s_delay_alu instid0(VALU_DEP_1) | instskip(SKIP_1) | instid1(VALU_DEP_1)
	v_mov_b32_e32 v29, v13
	v_pk_mul_f32 v[12:13], v[14:15], v[10:11] op_sel:[0,1]
	v_pk_fma_f32 v[18:19], v[14:15], v[8:9], v[12:13] op_sel:[0,0,1] op_sel_hi:[1,1,0] neg_lo:[0,0,1] neg_hi:[0,0,1]
	v_pk_fma_f32 v[12:13], v[14:15], v[8:9], v[12:13] op_sel:[0,0,1] op_sel_hi:[1,0,0]
	s_delay_alu instid0(VALU_DEP_1)
	v_mov_b32_e32 v19, v13
	ds_load_2addr_b64 v[12:15], v222 offset0:55 offset1:56
	v_pk_add_f32 v[232:233], v[232:233], v[28:29] neg_lo:[0,1] neg_hi:[0,1]
	v_pk_add_f32 v[238:239], v[238:239], v[18:19] neg_lo:[0,1] neg_hi:[0,1]
	s_wait_dscnt 0x0
	v_pk_mul_f32 v[18:19], v[12:13], v[10:11] op_sel:[0,1]
	s_delay_alu instid0(VALU_DEP_1) | instskip(SKIP_1) | instid1(VALU_DEP_1)
	v_pk_fma_f32 v[28:29], v[12:13], v[8:9], v[18:19] op_sel:[0,0,1] op_sel_hi:[1,1,0] neg_lo:[0,0,1] neg_hi:[0,0,1]
	v_pk_fma_f32 v[12:13], v[12:13], v[8:9], v[18:19] op_sel:[0,0,1] op_sel_hi:[1,0,0]
	v_mov_b32_e32 v29, v13
	v_pk_mul_f32 v[12:13], v[14:15], v[10:11] op_sel:[0,1]
	s_delay_alu instid0(VALU_DEP_1) | instskip(SKIP_1) | instid1(VALU_DEP_1)
	v_pk_fma_f32 v[18:19], v[14:15], v[8:9], v[12:13] op_sel:[0,0,1] op_sel_hi:[1,1,0] neg_lo:[0,0,1] neg_hi:[0,0,1]
	v_pk_fma_f32 v[12:13], v[14:15], v[8:9], v[12:13] op_sel:[0,0,1] op_sel_hi:[1,0,0]
	v_mov_b32_e32 v19, v13
	ds_load_2addr_b64 v[12:15], v222 offset0:57 offset1:58
	v_pk_add_f32 v[230:231], v[230:231], v[28:29] neg_lo:[0,1] neg_hi:[0,1]
	v_pk_add_f32 v[236:237], v[236:237], v[18:19] neg_lo:[0,1] neg_hi:[0,1]
	s_wait_dscnt 0x0
	v_dual_mul_f32 v18, v13, v11 :: v_dual_mul_f32 v28, v13, v8
	s_delay_alu instid0(VALU_DEP_1) | instskip(NEXT) | instid1(VALU_DEP_2)
	v_pk_fma_f32 v[18:19], v[12:13], v[42:43], v[18:19] op_sel_hi:[1,1,0] neg_lo:[0,0,1] neg_hi:[0,0,1]
	v_pk_fma_f32 v[12:13], v[12:13], v[42:43], v[28:29] op_sel:[1,0,0] op_sel_hi:[0,1,0]
	s_delay_alu instid0(VALU_DEP_1) | instskip(SKIP_1) | instid1(VALU_DEP_2)
	v_mov_b32_e32 v19, v13
	v_pk_mul_f32 v[12:13], v[14:15], v[10:11] op_sel:[0,1]
	v_pk_add_f32 v[228:229], v[228:229], v[18:19] neg_lo:[0,1] neg_hi:[0,1]
	s_delay_alu instid0(VALU_DEP_2) | instskip(SKIP_1) | instid1(VALU_DEP_1)
	v_pk_fma_f32 v[18:19], v[14:15], v[8:9], v[12:13] op_sel:[0,0,1] op_sel_hi:[1,1,0] neg_lo:[0,0,1] neg_hi:[0,0,1]
	v_pk_fma_f32 v[12:13], v[14:15], v[8:9], v[12:13] op_sel:[0,0,1] op_sel_hi:[1,0,0]
	v_mov_b32_e32 v19, v13
	ds_load_2addr_b64 v[12:15], v222 offset0:59 offset1:60
	v_pk_add_f32 v[234:235], v[234:235], v[18:19] neg_lo:[0,1] neg_hi:[0,1]
	s_wait_dscnt 0x0
	v_pk_mul_f32 v[18:19], v[12:13], v[10:11] op_sel:[0,1]
	v_pk_mul_f32 v[10:11], v[14:15], v[10:11] op_sel:[0,1]
	s_delay_alu instid0(VALU_DEP_2) | instskip(SKIP_1) | instid1(VALU_DEP_1)
	v_pk_fma_f32 v[28:29], v[12:13], v[8:9], v[18:19] op_sel:[0,0,1] op_sel_hi:[1,1,0] neg_lo:[0,0,1] neg_hi:[0,0,1]
	v_pk_fma_f32 v[12:13], v[12:13], v[8:9], v[18:19] op_sel:[0,0,1] op_sel_hi:[1,0,0]
	v_mov_b32_e32 v29, v13
	s_delay_alu instid0(VALU_DEP_4) | instskip(SKIP_1) | instid1(VALU_DEP_3)
	v_pk_fma_f32 v[12:13], v[14:15], v[8:9], v[10:11] op_sel:[0,0,1] op_sel_hi:[1,1,0] neg_lo:[0,0,1] neg_hi:[0,0,1]
	v_pk_fma_f32 v[8:9], v[14:15], v[8:9], v[10:11] op_sel:[0,0,1] op_sel_hi:[1,0,0]
	v_pk_add_f32 v[242:243], v[242:243], v[28:29] neg_lo:[0,1] neg_hi:[0,1]
	s_delay_alu instid0(VALU_DEP_2) | instskip(NEXT) | instid1(VALU_DEP_1)
	v_mov_b32_e32 v13, v9
	v_pk_add_f32 v[244:245], v[244:245], v[12:13] neg_lo:[0,1] neg_hi:[0,1]
.LBB121_82:
	s_or_b32 exec_lo, exec_lo, s1
	s_delay_alu instid0(SALU_CYCLE_1)
	s_mov_b32 s2, exec_lo
	s_wait_dscnt 0x0
	s_barrier_signal -1
	s_barrier_wait -1
	v_cmpx_eq_u32_e32 9, v220
	s_cbranch_execz .LBB121_89
; %bb.83:
	v_dual_mov_b32 v8, v40 :: v_dual_mov_b32 v9, v41
	v_dual_mov_b32 v10, v36 :: v_dual_mov_b32 v11, v37
	ds_store_b64 v221, v[38:39]
	ds_store_2addr_b64 v222, v[8:9], v[10:11] offset0:10 offset1:11
	v_dual_mov_b32 v8, v66 :: v_dual_mov_b32 v9, v67
	v_dual_mov_b32 v10, v62 :: v_dual_mov_b32 v11, v63
	ds_store_2addr_b64 v222, v[8:9], v[10:11] offset0:12 offset1:13
	v_dual_mov_b32 v8, v64 :: v_dual_mov_b32 v9, v65
	v_dual_mov_b32 v10, v60 :: v_dual_mov_b32 v11, v61
	;; [unrolled: 3-line block ×24, first 2 shown]
	ds_store_2addr_b64 v222, v[8:9], v[10:11] offset0:58 offset1:59
	ds_store_b64 v222, v[244:245] offset:480
	ds_load_b64 v[8:9], v221
	s_wait_dscnt 0x0
	v_cmp_neq_f32_e32 vcc_lo, 0, v8
	v_cmp_neq_f32_e64 s1, 0, v9
	s_or_b32 s1, vcc_lo, s1
	s_delay_alu instid0(SALU_CYCLE_1)
	s_and_b32 exec_lo, exec_lo, s1
	s_cbranch_execz .LBB121_89
; %bb.84:
	v_cmp_ngt_f32_e64 s1, |v8|, |v9|
                                        ; implicit-def: $vgpr10_vgpr11
	s_and_saveexec_b32 s4, s1
	s_delay_alu instid0(SALU_CYCLE_1)
	s_xor_b32 s1, exec_lo, s4
	s_cbranch_execz .LBB121_86
; %bb.85:
	v_div_scale_f32 v10, null, v9, v9, v8
	v_div_scale_f32 v13, vcc_lo, v8, v9, v8
	s_delay_alu instid0(VALU_DEP_2) | instskip(SKIP_1) | instid1(TRANS32_DEP_1)
	v_rcp_f32_e32 v11, v10
	v_nop
	v_fma_f32 v12, -v10, v11, 1.0
	s_delay_alu instid0(VALU_DEP_1) | instskip(NEXT) | instid1(VALU_DEP_1)
	v_fmac_f32_e32 v11, v12, v11
	v_mul_f32_e32 v12, v13, v11
	s_delay_alu instid0(VALU_DEP_1) | instskip(NEXT) | instid1(VALU_DEP_1)
	v_fma_f32 v14, -v10, v12, v13
	v_fmac_f32_e32 v12, v14, v11
	s_delay_alu instid0(VALU_DEP_1) | instskip(NEXT) | instid1(VALU_DEP_1)
	v_fma_f32 v10, -v10, v12, v13
	v_div_fmas_f32 v10, v10, v11, v12
	s_delay_alu instid0(VALU_DEP_1) | instskip(NEXT) | instid1(VALU_DEP_1)
	v_div_fixup_f32 v10, v10, v9, v8
	v_fmac_f32_e32 v9, v8, v10
	s_delay_alu instid0(VALU_DEP_1) | instskip(SKIP_1) | instid1(VALU_DEP_2)
	v_div_scale_f32 v8, null, v9, v9, 1.0
	v_div_scale_f32 v13, vcc_lo, 1.0, v9, 1.0
	v_rcp_f32_e32 v11, v8
	v_nop
	s_delay_alu instid0(TRANS32_DEP_1) | instskip(NEXT) | instid1(VALU_DEP_1)
	v_fma_f32 v12, -v8, v11, 1.0
	v_fmac_f32_e32 v11, v12, v11
	s_delay_alu instid0(VALU_DEP_1) | instskip(NEXT) | instid1(VALU_DEP_1)
	v_mul_f32_e32 v12, v13, v11
	v_fma_f32 v14, -v8, v12, v13
	s_delay_alu instid0(VALU_DEP_1) | instskip(NEXT) | instid1(VALU_DEP_1)
	v_fmac_f32_e32 v12, v14, v11
	v_fma_f32 v8, -v8, v12, v13
	s_delay_alu instid0(VALU_DEP_1) | instskip(NEXT) | instid1(VALU_DEP_1)
	v_div_fmas_f32 v8, v8, v11, v12
	v_div_fixup_f32 v8, v8, v9, 1.0
	s_delay_alu instid0(VALU_DEP_1)
	v_mul_f32_e32 v10, v10, v8
	v_xor_b32_e32 v11, 0x80000000, v8
                                        ; implicit-def: $vgpr8_vgpr9
.LBB121_86:
	s_and_not1_saveexec_b32 s1, s1
	s_cbranch_execz .LBB121_88
; %bb.87:
	v_div_scale_f32 v10, null, v8, v8, v9
	v_div_scale_f32 v13, vcc_lo, v9, v8, v9
	s_delay_alu instid0(VALU_DEP_2) | instskip(SKIP_1) | instid1(TRANS32_DEP_1)
	v_rcp_f32_e32 v11, v10
	v_nop
	v_fma_f32 v12, -v10, v11, 1.0
	s_delay_alu instid0(VALU_DEP_1) | instskip(NEXT) | instid1(VALU_DEP_1)
	v_fmac_f32_e32 v11, v12, v11
	v_mul_f32_e32 v12, v13, v11
	s_delay_alu instid0(VALU_DEP_1) | instskip(NEXT) | instid1(VALU_DEP_1)
	v_fma_f32 v14, -v10, v12, v13
	v_fmac_f32_e32 v12, v14, v11
	s_delay_alu instid0(VALU_DEP_1) | instskip(NEXT) | instid1(VALU_DEP_1)
	v_fma_f32 v10, -v10, v12, v13
	v_div_fmas_f32 v10, v10, v11, v12
	s_delay_alu instid0(VALU_DEP_1) | instskip(NEXT) | instid1(VALU_DEP_1)
	v_div_fixup_f32 v11, v10, v8, v9
	v_fmac_f32_e32 v8, v9, v11
	s_delay_alu instid0(VALU_DEP_1) | instskip(NEXT) | instid1(VALU_DEP_1)
	v_div_scale_f32 v9, null, v8, v8, 1.0
	v_rcp_f32_e32 v10, v9
	v_nop
	s_delay_alu instid0(TRANS32_DEP_1) | instskip(NEXT) | instid1(VALU_DEP_1)
	v_fma_f32 v12, -v9, v10, 1.0
	v_fmac_f32_e32 v10, v12, v10
	v_div_scale_f32 v12, vcc_lo, 1.0, v8, 1.0
	s_delay_alu instid0(VALU_DEP_1) | instskip(NEXT) | instid1(VALU_DEP_1)
	v_mul_f32_e32 v13, v12, v10
	v_fma_f32 v14, -v9, v13, v12
	s_delay_alu instid0(VALU_DEP_1) | instskip(NEXT) | instid1(VALU_DEP_1)
	v_fmac_f32_e32 v13, v14, v10
	v_fma_f32 v9, -v9, v13, v12
	s_delay_alu instid0(VALU_DEP_1) | instskip(NEXT) | instid1(VALU_DEP_1)
	v_div_fmas_f32 v9, v9, v10, v13
	v_div_fixup_f32 v10, v9, v8, 1.0
	s_delay_alu instid0(VALU_DEP_1)
	v_mul_f32_e64 v11, v11, -v10
.LBB121_88:
	s_or_b32 exec_lo, exec_lo, s1
	ds_store_b64 v221, v[10:11]
.LBB121_89:
	s_or_b32 exec_lo, exec_lo, s2
	s_wait_dscnt 0x0
	s_barrier_signal -1
	s_barrier_wait -1
	ds_load_b64 v[8:9], v221
	s_mov_b32 s1, exec_lo
	v_cmpx_lt_u32_e32 9, v220
	s_cbranch_execz .LBB121_91
; %bb.90:
	ds_load_2addr_b64 v[28:31], v222 offset0:10 offset1:11
	s_wait_dscnt 0x1
	v_pk_mul_f32 v[12:13], v[8:9], v[38:39] op_sel:[1,1] op_sel_hi:[0,1]
	s_delay_alu instid0(VALU_DEP_1) | instskip(SKIP_1) | instid1(VALU_DEP_1)
	v_pk_fma_f32 v[10:11], v[8:9], v[38:39], v[12:13] op_sel_hi:[1,0,1] neg_lo:[0,0,1] neg_hi:[0,0,1]
	v_pk_fma_f32 v[12:13], v[8:9], v[38:39], v[12:13] op_sel_hi:[1,0,1]
	v_dual_mov_b32 v38, v10 :: v_dual_mov_b32 v39, v13
	s_wait_dscnt 0x0
	s_delay_alu instid0(VALU_DEP_2) | instskip(NEXT) | instid1(VALU_DEP_1)
	v_pk_mul_f32 v[14:15], v[28:29], v[12:13] op_sel:[0,1]
	v_pk_fma_f32 v[18:19], v[28:29], v[10:11], v[14:15] op_sel:[0,0,1] op_sel_hi:[1,1,0] neg_lo:[0,0,1] neg_hi:[0,0,1]
	v_pk_fma_f32 v[14:15], v[28:29], v[10:11], v[14:15] op_sel:[0,0,1] op_sel_hi:[1,0,0]
	s_delay_alu instid0(VALU_DEP_1) | instskip(SKIP_1) | instid1(VALU_DEP_2)
	v_mov_b32_e32 v19, v15
	v_pk_mul_f32 v[14:15], v[30:31], v[12:13] op_sel:[0,1]
	v_pk_add_f32 v[40:41], v[40:41], v[18:19] neg_lo:[0,1] neg_hi:[0,1]
	s_delay_alu instid0(VALU_DEP_2) | instskip(SKIP_3) | instid1(VALU_DEP_1)
	v_pk_fma_f32 v[18:19], v[30:31], v[10:11], v[14:15] op_sel:[0,0,1] op_sel_hi:[1,1,0] neg_lo:[0,0,1] neg_hi:[0,0,1]
	v_pk_fma_f32 v[14:15], v[30:31], v[10:11], v[14:15] op_sel:[0,0,1] op_sel_hi:[1,0,0]
	ds_load_2addr_b64 v[28:31], v222 offset0:12 offset1:13
	v_mov_b32_e32 v19, v15
	v_pk_add_f32 v[36:37], v[36:37], v[18:19] neg_lo:[0,1] neg_hi:[0,1]
	s_wait_dscnt 0x0
	v_pk_mul_f32 v[14:15], v[28:29], v[12:13] op_sel:[0,1]
	s_delay_alu instid0(VALU_DEP_1) | instskip(SKIP_2) | instid1(VALU_DEP_2)
	v_pk_fma_f32 v[18:19], v[28:29], v[10:11], v[14:15] op_sel:[0,0,1] op_sel_hi:[1,1,0] neg_lo:[0,0,1] neg_hi:[0,0,1]
	v_pk_fma_f32 v[14:15], v[28:29], v[10:11], v[14:15] op_sel:[0,0,1] op_sel_hi:[1,0,0]
	v_dual_mov_b32 v14, v31 :: v_dual_mul_f32 v28, v31, v10
	v_dual_mov_b32 v19, v15 :: v_dual_mov_b32 v15, v30
	s_delay_alu instid0(VALU_DEP_1) | instskip(SKIP_1) | instid1(VALU_DEP_3)
	v_pk_add_f32 v[66:67], v[66:67], v[18:19] neg_lo:[0,1] neg_hi:[0,1]
	v_mul_f32_e32 v18, v31, v13
	v_pk_fma_f32 v[14:15], v[14:15], v[38:39], v[28:29] op_sel_hi:[1,1,0]
	s_delay_alu instid0(VALU_DEP_2) | instskip(SKIP_2) | instid1(VALU_DEP_1)
	v_pk_fma_f32 v[18:19], v[30:31], v[38:39], v[18:19] op_sel_hi:[1,1,0] neg_lo:[0,0,1] neg_hi:[0,0,1]
	ds_load_2addr_b64 v[28:31], v222 offset0:14 offset1:15
	v_mov_b32_e32 v19, v15
	v_pk_add_f32 v[62:63], v[62:63], v[18:19] neg_lo:[0,1] neg_hi:[0,1]
	s_wait_dscnt 0x0
	v_pk_mul_f32 v[14:15], v[28:29], v[12:13] op_sel:[0,1]
	s_delay_alu instid0(VALU_DEP_1) | instskip(SKIP_1) | instid1(VALU_DEP_1)
	v_pk_fma_f32 v[18:19], v[28:29], v[10:11], v[14:15] op_sel:[0,0,1] op_sel_hi:[1,1,0] neg_lo:[0,0,1] neg_hi:[0,0,1]
	v_pk_fma_f32 v[14:15], v[28:29], v[10:11], v[14:15] op_sel:[0,0,1] op_sel_hi:[1,0,0]
	v_mov_b32_e32 v19, v15
	v_pk_mul_f32 v[14:15], v[30:31], v[12:13] op_sel:[0,1]
	s_delay_alu instid0(VALU_DEP_2) | instskip(NEXT) | instid1(VALU_DEP_2)
	v_pk_add_f32 v[64:65], v[64:65], v[18:19] neg_lo:[0,1] neg_hi:[0,1]
	v_pk_fma_f32 v[18:19], v[30:31], v[10:11], v[14:15] op_sel:[0,0,1] op_sel_hi:[1,1,0] neg_lo:[0,0,1] neg_hi:[0,0,1]
	v_pk_fma_f32 v[14:15], v[30:31], v[10:11], v[14:15] op_sel:[0,0,1] op_sel_hi:[1,0,0]
	ds_load_2addr_b64 v[28:31], v222 offset0:16 offset1:17
	v_mov_b32_e32 v19, v15
	s_delay_alu instid0(VALU_DEP_1) | instskip(SKIP_2) | instid1(VALU_DEP_1)
	v_pk_add_f32 v[60:61], v[60:61], v[18:19] neg_lo:[0,1] neg_hi:[0,1]
	s_wait_dscnt 0x0
	v_pk_mul_f32 v[14:15], v[28:29], v[12:13] op_sel:[0,1]
	v_pk_fma_f32 v[18:19], v[28:29], v[10:11], v[14:15] op_sel:[0,0,1] op_sel_hi:[1,1,0] neg_lo:[0,0,1] neg_hi:[0,0,1]
	v_pk_fma_f32 v[14:15], v[28:29], v[10:11], v[14:15] op_sel:[0,0,1] op_sel_hi:[1,0,0]
	s_delay_alu instid0(VALU_DEP_1) | instskip(SKIP_1) | instid1(VALU_DEP_2)
	v_mov_b32_e32 v19, v15
	v_pk_mul_f32 v[14:15], v[30:31], v[12:13] op_sel:[0,1]
	v_pk_add_f32 v[82:83], v[82:83], v[18:19] neg_lo:[0,1] neg_hi:[0,1]
	s_delay_alu instid0(VALU_DEP_2) | instskip(SKIP_3) | instid1(VALU_DEP_1)
	v_pk_fma_f32 v[18:19], v[30:31], v[10:11], v[14:15] op_sel:[0,0,1] op_sel_hi:[1,1,0] neg_lo:[0,0,1] neg_hi:[0,0,1]
	v_pk_fma_f32 v[14:15], v[30:31], v[10:11], v[14:15] op_sel:[0,0,1] op_sel_hi:[1,0,0]
	ds_load_2addr_b64 v[28:31], v222 offset0:18 offset1:19
	v_mov_b32_e32 v19, v15
	v_pk_add_f32 v[78:79], v[78:79], v[18:19] neg_lo:[0,1] neg_hi:[0,1]
	s_wait_dscnt 0x0
	v_dual_mul_f32 v18, v29, v10 :: v_dual_mul_f32 v14, v29, v13
	s_delay_alu instid0(VALU_DEP_1) | instskip(NEXT) | instid1(VALU_DEP_2)
	v_pk_fma_f32 v[18:19], v[28:29], v[38:39], v[18:19] op_sel:[1,0,0] op_sel_hi:[0,1,0]
	v_pk_fma_f32 v[14:15], v[28:29], v[38:39], v[14:15] op_sel_hi:[1,1,0] neg_lo:[0,0,1] neg_hi:[0,0,1]
	s_delay_alu instid0(VALU_DEP_2) | instskip(NEXT) | instid1(VALU_DEP_1)
	v_mov_b32_e32 v15, v19
	v_pk_add_f32 v[80:81], v[80:81], v[14:15] neg_lo:[0,1] neg_hi:[0,1]
	v_pk_mul_f32 v[14:15], v[30:31], v[12:13] op_sel:[0,1]
	s_delay_alu instid0(VALU_DEP_1) | instskip(SKIP_3) | instid1(VALU_DEP_1)
	v_pk_fma_f32 v[18:19], v[30:31], v[10:11], v[14:15] op_sel:[0,0,1] op_sel_hi:[1,1,0] neg_lo:[0,0,1] neg_hi:[0,0,1]
	v_pk_fma_f32 v[14:15], v[30:31], v[10:11], v[14:15] op_sel:[0,0,1] op_sel_hi:[1,0,0]
	ds_load_2addr_b64 v[28:31], v222 offset0:20 offset1:21
	v_mov_b32_e32 v19, v15
	v_pk_add_f32 v[76:77], v[76:77], v[18:19] neg_lo:[0,1] neg_hi:[0,1]
	s_wait_dscnt 0x0
	v_pk_mul_f32 v[14:15], v[28:29], v[12:13] op_sel:[0,1]
	s_delay_alu instid0(VALU_DEP_1) | instskip(SKIP_1) | instid1(VALU_DEP_1)
	v_pk_fma_f32 v[18:19], v[28:29], v[10:11], v[14:15] op_sel:[0,0,1] op_sel_hi:[1,1,0] neg_lo:[0,0,1] neg_hi:[0,0,1]
	v_pk_fma_f32 v[14:15], v[28:29], v[10:11], v[14:15] op_sel:[0,0,1] op_sel_hi:[1,0,0]
	v_mov_b32_e32 v19, v15
	v_pk_mul_f32 v[14:15], v[30:31], v[12:13] op_sel:[0,1]
	s_delay_alu instid0(VALU_DEP_2) | instskip(NEXT) | instid1(VALU_DEP_2)
	v_pk_add_f32 v[98:99], v[98:99], v[18:19] neg_lo:[0,1] neg_hi:[0,1]
	v_pk_fma_f32 v[18:19], v[30:31], v[10:11], v[14:15] op_sel:[0,0,1] op_sel_hi:[1,1,0] neg_lo:[0,0,1] neg_hi:[0,0,1]
	v_pk_fma_f32 v[14:15], v[30:31], v[10:11], v[14:15] op_sel:[0,0,1] op_sel_hi:[1,0,0]
	ds_load_2addr_b64 v[28:31], v222 offset0:22 offset1:23
	v_mov_b32_e32 v19, v15
	s_delay_alu instid0(VALU_DEP_1) | instskip(SKIP_2) | instid1(VALU_DEP_1)
	v_pk_add_f32 v[94:95], v[94:95], v[18:19] neg_lo:[0,1] neg_hi:[0,1]
	s_wait_dscnt 0x0
	v_pk_mul_f32 v[14:15], v[28:29], v[12:13] op_sel:[0,1]
	v_pk_fma_f32 v[18:19], v[28:29], v[10:11], v[14:15] op_sel:[0,0,1] op_sel_hi:[1,1,0] neg_lo:[0,0,1] neg_hi:[0,0,1]
	v_pk_fma_f32 v[14:15], v[28:29], v[10:11], v[14:15] op_sel:[0,0,1] op_sel_hi:[1,0,0]
	v_dual_mov_b32 v14, v31 :: v_dual_mul_f32 v28, v31, v10
	s_delay_alu instid0(VALU_DEP_2) | instskip(NEXT) | instid1(VALU_DEP_1)
	v_dual_mov_b32 v19, v15 :: v_dual_mov_b32 v15, v30
	v_pk_add_f32 v[96:97], v[96:97], v[18:19] neg_lo:[0,1] neg_hi:[0,1]
	v_mul_f32_e32 v18, v31, v13
	s_delay_alu instid0(VALU_DEP_3) | instskip(NEXT) | instid1(VALU_DEP_2)
	v_pk_fma_f32 v[14:15], v[14:15], v[38:39], v[28:29] op_sel_hi:[1,1,0]
	v_pk_fma_f32 v[18:19], v[30:31], v[38:39], v[18:19] op_sel_hi:[1,1,0] neg_lo:[0,0,1] neg_hi:[0,0,1]
	ds_load_2addr_b64 v[28:31], v222 offset0:24 offset1:25
	v_mov_b32_e32 v19, v15
	s_delay_alu instid0(VALU_DEP_1) | instskip(SKIP_2) | instid1(VALU_DEP_1)
	v_pk_add_f32 v[92:93], v[92:93], v[18:19] neg_lo:[0,1] neg_hi:[0,1]
	s_wait_dscnt 0x0
	v_pk_mul_f32 v[14:15], v[28:29], v[12:13] op_sel:[0,1]
	v_pk_fma_f32 v[18:19], v[28:29], v[10:11], v[14:15] op_sel:[0,0,1] op_sel_hi:[1,1,0] neg_lo:[0,0,1] neg_hi:[0,0,1]
	v_pk_fma_f32 v[14:15], v[28:29], v[10:11], v[14:15] op_sel:[0,0,1] op_sel_hi:[1,0,0]
	s_delay_alu instid0(VALU_DEP_1) | instskip(SKIP_1) | instid1(VALU_DEP_2)
	v_mov_b32_e32 v19, v15
	v_pk_mul_f32 v[14:15], v[30:31], v[12:13] op_sel:[0,1]
	v_pk_add_f32 v[114:115], v[114:115], v[18:19] neg_lo:[0,1] neg_hi:[0,1]
	s_delay_alu instid0(VALU_DEP_2) | instskip(SKIP_3) | instid1(VALU_DEP_1)
	v_pk_fma_f32 v[18:19], v[30:31], v[10:11], v[14:15] op_sel:[0,0,1] op_sel_hi:[1,1,0] neg_lo:[0,0,1] neg_hi:[0,0,1]
	v_pk_fma_f32 v[14:15], v[30:31], v[10:11], v[14:15] op_sel:[0,0,1] op_sel_hi:[1,0,0]
	ds_load_2addr_b64 v[28:31], v222 offset0:26 offset1:27
	v_mov_b32_e32 v19, v15
	v_pk_add_f32 v[110:111], v[110:111], v[18:19] neg_lo:[0,1] neg_hi:[0,1]
	s_wait_dscnt 0x0
	v_pk_mul_f32 v[14:15], v[28:29], v[12:13] op_sel:[0,1]
	s_delay_alu instid0(VALU_DEP_1) | instskip(SKIP_1) | instid1(VALU_DEP_1)
	v_pk_fma_f32 v[18:19], v[28:29], v[10:11], v[14:15] op_sel:[0,0,1] op_sel_hi:[1,1,0] neg_lo:[0,0,1] neg_hi:[0,0,1]
	v_pk_fma_f32 v[14:15], v[28:29], v[10:11], v[14:15] op_sel:[0,0,1] op_sel_hi:[1,0,0]
	v_mov_b32_e32 v19, v15
	v_pk_mul_f32 v[14:15], v[30:31], v[12:13] op_sel:[0,1]
	s_delay_alu instid0(VALU_DEP_2) | instskip(NEXT) | instid1(VALU_DEP_2)
	v_pk_add_f32 v[112:113], v[112:113], v[18:19] neg_lo:[0,1] neg_hi:[0,1]
	v_pk_fma_f32 v[18:19], v[30:31], v[10:11], v[14:15] op_sel:[0,0,1] op_sel_hi:[1,1,0] neg_lo:[0,0,1] neg_hi:[0,0,1]
	v_pk_fma_f32 v[14:15], v[30:31], v[10:11], v[14:15] op_sel:[0,0,1] op_sel_hi:[1,0,0]
	ds_load_2addr_b64 v[28:31], v222 offset0:28 offset1:29
	v_mov_b32_e32 v19, v15
	s_delay_alu instid0(VALU_DEP_1) | instskip(SKIP_2) | instid1(VALU_DEP_1)
	v_pk_add_f32 v[108:109], v[108:109], v[18:19] neg_lo:[0,1] neg_hi:[0,1]
	s_wait_dscnt 0x0
	v_dual_mul_f32 v18, v29, v10 :: v_dual_mul_f32 v14, v29, v13
	v_pk_fma_f32 v[18:19], v[28:29], v[38:39], v[18:19] op_sel:[1,0,0] op_sel_hi:[0,1,0]
	s_delay_alu instid0(VALU_DEP_2) | instskip(NEXT) | instid1(VALU_DEP_2)
	v_pk_fma_f32 v[14:15], v[28:29], v[38:39], v[14:15] op_sel_hi:[1,1,0] neg_lo:[0,0,1] neg_hi:[0,0,1]
	v_mov_b32_e32 v15, v19
	s_delay_alu instid0(VALU_DEP_1) | instskip(SKIP_1) | instid1(VALU_DEP_1)
	v_pk_add_f32 v[130:131], v[130:131], v[14:15] neg_lo:[0,1] neg_hi:[0,1]
	v_pk_mul_f32 v[14:15], v[30:31], v[12:13] op_sel:[0,1]
	v_pk_fma_f32 v[18:19], v[30:31], v[10:11], v[14:15] op_sel:[0,0,1] op_sel_hi:[1,1,0] neg_lo:[0,0,1] neg_hi:[0,0,1]
	v_pk_fma_f32 v[14:15], v[30:31], v[10:11], v[14:15] op_sel:[0,0,1] op_sel_hi:[1,0,0]
	ds_load_2addr_b64 v[28:31], v222 offset0:30 offset1:31
	v_mov_b32_e32 v19, v15
	s_delay_alu instid0(VALU_DEP_1) | instskip(SKIP_2) | instid1(VALU_DEP_1)
	v_pk_add_f32 v[126:127], v[126:127], v[18:19] neg_lo:[0,1] neg_hi:[0,1]
	s_wait_dscnt 0x0
	v_pk_mul_f32 v[14:15], v[28:29], v[12:13] op_sel:[0,1]
	v_pk_fma_f32 v[18:19], v[28:29], v[10:11], v[14:15] op_sel:[0,0,1] op_sel_hi:[1,1,0] neg_lo:[0,0,1] neg_hi:[0,0,1]
	v_pk_fma_f32 v[14:15], v[28:29], v[10:11], v[14:15] op_sel:[0,0,1] op_sel_hi:[1,0,0]
	s_delay_alu instid0(VALU_DEP_1) | instskip(SKIP_1) | instid1(VALU_DEP_2)
	v_mov_b32_e32 v19, v15
	v_pk_mul_f32 v[14:15], v[30:31], v[12:13] op_sel:[0,1]
	v_pk_add_f32 v[128:129], v[128:129], v[18:19] neg_lo:[0,1] neg_hi:[0,1]
	s_delay_alu instid0(VALU_DEP_2) | instskip(SKIP_3) | instid1(VALU_DEP_1)
	v_pk_fma_f32 v[18:19], v[30:31], v[10:11], v[14:15] op_sel:[0,0,1] op_sel_hi:[1,1,0] neg_lo:[0,0,1] neg_hi:[0,0,1]
	v_pk_fma_f32 v[14:15], v[30:31], v[10:11], v[14:15] op_sel:[0,0,1] op_sel_hi:[1,0,0]
	ds_load_2addr_b64 v[28:31], v222 offset0:32 offset1:33
	v_mov_b32_e32 v19, v15
	v_pk_add_f32 v[124:125], v[124:125], v[18:19] neg_lo:[0,1] neg_hi:[0,1]
	s_wait_dscnt 0x0
	v_pk_mul_f32 v[14:15], v[28:29], v[12:13] op_sel:[0,1]
	s_delay_alu instid0(VALU_DEP_1) | instskip(SKIP_2) | instid1(VALU_DEP_2)
	v_pk_fma_f32 v[18:19], v[28:29], v[10:11], v[14:15] op_sel:[0,0,1] op_sel_hi:[1,1,0] neg_lo:[0,0,1] neg_hi:[0,0,1]
	v_pk_fma_f32 v[14:15], v[28:29], v[10:11], v[14:15] op_sel:[0,0,1] op_sel_hi:[1,0,0]
	v_dual_mov_b32 v14, v31 :: v_dual_mul_f32 v28, v31, v10
	v_dual_mov_b32 v19, v15 :: v_dual_mov_b32 v15, v30
	s_delay_alu instid0(VALU_DEP_1) | instskip(SKIP_1) | instid1(VALU_DEP_3)
	v_pk_add_f32 v[146:147], v[146:147], v[18:19] neg_lo:[0,1] neg_hi:[0,1]
	v_mul_f32_e32 v18, v31, v13
	v_pk_fma_f32 v[14:15], v[14:15], v[38:39], v[28:29] op_sel_hi:[1,1,0]
	s_delay_alu instid0(VALU_DEP_2) | instskip(SKIP_2) | instid1(VALU_DEP_1)
	v_pk_fma_f32 v[18:19], v[30:31], v[38:39], v[18:19] op_sel_hi:[1,1,0] neg_lo:[0,0,1] neg_hi:[0,0,1]
	ds_load_2addr_b64 v[28:31], v222 offset0:34 offset1:35
	v_mov_b32_e32 v19, v15
	v_pk_add_f32 v[142:143], v[142:143], v[18:19] neg_lo:[0,1] neg_hi:[0,1]
	s_wait_dscnt 0x0
	v_pk_mul_f32 v[14:15], v[28:29], v[12:13] op_sel:[0,1]
	s_delay_alu instid0(VALU_DEP_1) | instskip(SKIP_1) | instid1(VALU_DEP_1)
	v_pk_fma_f32 v[18:19], v[28:29], v[10:11], v[14:15] op_sel:[0,0,1] op_sel_hi:[1,1,0] neg_lo:[0,0,1] neg_hi:[0,0,1]
	v_pk_fma_f32 v[14:15], v[28:29], v[10:11], v[14:15] op_sel:[0,0,1] op_sel_hi:[1,0,0]
	v_mov_b32_e32 v19, v15
	v_pk_mul_f32 v[14:15], v[30:31], v[12:13] op_sel:[0,1]
	s_delay_alu instid0(VALU_DEP_2) | instskip(NEXT) | instid1(VALU_DEP_2)
	v_pk_add_f32 v[144:145], v[144:145], v[18:19] neg_lo:[0,1] neg_hi:[0,1]
	v_pk_fma_f32 v[18:19], v[30:31], v[10:11], v[14:15] op_sel:[0,0,1] op_sel_hi:[1,1,0] neg_lo:[0,0,1] neg_hi:[0,0,1]
	v_pk_fma_f32 v[14:15], v[30:31], v[10:11], v[14:15] op_sel:[0,0,1] op_sel_hi:[1,0,0]
	ds_load_2addr_b64 v[28:31], v222 offset0:36 offset1:37
	v_mov_b32_e32 v19, v15
	s_delay_alu instid0(VALU_DEP_1) | instskip(SKIP_2) | instid1(VALU_DEP_1)
	v_pk_add_f32 v[140:141], v[140:141], v[18:19] neg_lo:[0,1] neg_hi:[0,1]
	s_wait_dscnt 0x0
	v_pk_mul_f32 v[14:15], v[28:29], v[12:13] op_sel:[0,1]
	v_pk_fma_f32 v[18:19], v[28:29], v[10:11], v[14:15] op_sel:[0,0,1] op_sel_hi:[1,1,0] neg_lo:[0,0,1] neg_hi:[0,0,1]
	v_pk_fma_f32 v[14:15], v[28:29], v[10:11], v[14:15] op_sel:[0,0,1] op_sel_hi:[1,0,0]
	s_delay_alu instid0(VALU_DEP_1) | instskip(SKIP_1) | instid1(VALU_DEP_2)
	v_mov_b32_e32 v19, v15
	v_pk_mul_f32 v[14:15], v[30:31], v[12:13] op_sel:[0,1]
	v_pk_add_f32 v[162:163], v[162:163], v[18:19] neg_lo:[0,1] neg_hi:[0,1]
	s_delay_alu instid0(VALU_DEP_2) | instskip(SKIP_3) | instid1(VALU_DEP_1)
	v_pk_fma_f32 v[18:19], v[30:31], v[10:11], v[14:15] op_sel:[0,0,1] op_sel_hi:[1,1,0] neg_lo:[0,0,1] neg_hi:[0,0,1]
	v_pk_fma_f32 v[14:15], v[30:31], v[10:11], v[14:15] op_sel:[0,0,1] op_sel_hi:[1,0,0]
	ds_load_2addr_b64 v[28:31], v222 offset0:38 offset1:39
	v_mov_b32_e32 v19, v15
	v_pk_add_f32 v[158:159], v[158:159], v[18:19] neg_lo:[0,1] neg_hi:[0,1]
	s_wait_dscnt 0x0
	v_dual_mul_f32 v18, v29, v10 :: v_dual_mul_f32 v14, v29, v13
	s_delay_alu instid0(VALU_DEP_1) | instskip(NEXT) | instid1(VALU_DEP_2)
	v_pk_fma_f32 v[18:19], v[28:29], v[38:39], v[18:19] op_sel:[1,0,0] op_sel_hi:[0,1,0]
	v_pk_fma_f32 v[14:15], v[28:29], v[38:39], v[14:15] op_sel_hi:[1,1,0] neg_lo:[0,0,1] neg_hi:[0,0,1]
	s_delay_alu instid0(VALU_DEP_2) | instskip(NEXT) | instid1(VALU_DEP_1)
	v_mov_b32_e32 v15, v19
	v_pk_add_f32 v[160:161], v[160:161], v[14:15] neg_lo:[0,1] neg_hi:[0,1]
	v_pk_mul_f32 v[14:15], v[30:31], v[12:13] op_sel:[0,1]
	s_delay_alu instid0(VALU_DEP_1) | instskip(SKIP_3) | instid1(VALU_DEP_1)
	v_pk_fma_f32 v[18:19], v[30:31], v[10:11], v[14:15] op_sel:[0,0,1] op_sel_hi:[1,1,0] neg_lo:[0,0,1] neg_hi:[0,0,1]
	v_pk_fma_f32 v[14:15], v[30:31], v[10:11], v[14:15] op_sel:[0,0,1] op_sel_hi:[1,0,0]
	ds_load_2addr_b64 v[28:31], v222 offset0:40 offset1:41
	v_mov_b32_e32 v19, v15
	v_pk_add_f32 v[156:157], v[156:157], v[18:19] neg_lo:[0,1] neg_hi:[0,1]
	s_wait_dscnt 0x0
	v_pk_mul_f32 v[14:15], v[28:29], v[12:13] op_sel:[0,1]
	s_delay_alu instid0(VALU_DEP_1) | instskip(SKIP_1) | instid1(VALU_DEP_1)
	v_pk_fma_f32 v[18:19], v[28:29], v[10:11], v[14:15] op_sel:[0,0,1] op_sel_hi:[1,1,0] neg_lo:[0,0,1] neg_hi:[0,0,1]
	v_pk_fma_f32 v[14:15], v[28:29], v[10:11], v[14:15] op_sel:[0,0,1] op_sel_hi:[1,0,0]
	v_mov_b32_e32 v19, v15
	v_pk_mul_f32 v[14:15], v[30:31], v[12:13] op_sel:[0,1]
	s_delay_alu instid0(VALU_DEP_2) | instskip(NEXT) | instid1(VALU_DEP_2)
	v_pk_add_f32 v[178:179], v[178:179], v[18:19] neg_lo:[0,1] neg_hi:[0,1]
	v_pk_fma_f32 v[18:19], v[30:31], v[10:11], v[14:15] op_sel:[0,0,1] op_sel_hi:[1,1,0] neg_lo:[0,0,1] neg_hi:[0,0,1]
	v_pk_fma_f32 v[14:15], v[30:31], v[10:11], v[14:15] op_sel:[0,0,1] op_sel_hi:[1,0,0]
	ds_load_2addr_b64 v[28:31], v222 offset0:42 offset1:43
	v_mov_b32_e32 v19, v15
	s_delay_alu instid0(VALU_DEP_1) | instskip(SKIP_2) | instid1(VALU_DEP_1)
	v_pk_add_f32 v[174:175], v[174:175], v[18:19] neg_lo:[0,1] neg_hi:[0,1]
	s_wait_dscnt 0x0
	v_pk_mul_f32 v[14:15], v[28:29], v[12:13] op_sel:[0,1]
	v_pk_fma_f32 v[18:19], v[28:29], v[10:11], v[14:15] op_sel:[0,0,1] op_sel_hi:[1,1,0] neg_lo:[0,0,1] neg_hi:[0,0,1]
	v_pk_fma_f32 v[14:15], v[28:29], v[10:11], v[14:15] op_sel:[0,0,1] op_sel_hi:[1,0,0]
	v_dual_mov_b32 v14, v31 :: v_dual_mul_f32 v28, v31, v10
	s_delay_alu instid0(VALU_DEP_2) | instskip(NEXT) | instid1(VALU_DEP_1)
	v_dual_mov_b32 v19, v15 :: v_dual_mov_b32 v15, v30
	v_pk_add_f32 v[176:177], v[176:177], v[18:19] neg_lo:[0,1] neg_hi:[0,1]
	v_mul_f32_e32 v18, v31, v13
	s_delay_alu instid0(VALU_DEP_3) | instskip(NEXT) | instid1(VALU_DEP_2)
	v_pk_fma_f32 v[14:15], v[14:15], v[38:39], v[28:29] op_sel_hi:[1,1,0]
	v_pk_fma_f32 v[18:19], v[30:31], v[38:39], v[18:19] op_sel_hi:[1,1,0] neg_lo:[0,0,1] neg_hi:[0,0,1]
	ds_load_2addr_b64 v[28:31], v222 offset0:44 offset1:45
	v_mov_b32_e32 v19, v15
	s_delay_alu instid0(VALU_DEP_1) | instskip(SKIP_2) | instid1(VALU_DEP_1)
	v_pk_add_f32 v[172:173], v[172:173], v[18:19] neg_lo:[0,1] neg_hi:[0,1]
	s_wait_dscnt 0x0
	v_pk_mul_f32 v[14:15], v[28:29], v[12:13] op_sel:[0,1]
	v_pk_fma_f32 v[18:19], v[28:29], v[10:11], v[14:15] op_sel:[0,0,1] op_sel_hi:[1,1,0] neg_lo:[0,0,1] neg_hi:[0,0,1]
	v_pk_fma_f32 v[14:15], v[28:29], v[10:11], v[14:15] op_sel:[0,0,1] op_sel_hi:[1,0,0]
	s_delay_alu instid0(VALU_DEP_1) | instskip(SKIP_1) | instid1(VALU_DEP_2)
	v_mov_b32_e32 v19, v15
	v_pk_mul_f32 v[14:15], v[30:31], v[12:13] op_sel:[0,1]
	v_pk_add_f32 v[194:195], v[194:195], v[18:19] neg_lo:[0,1] neg_hi:[0,1]
	s_delay_alu instid0(VALU_DEP_2) | instskip(SKIP_3) | instid1(VALU_DEP_1)
	v_pk_fma_f32 v[18:19], v[30:31], v[10:11], v[14:15] op_sel:[0,0,1] op_sel_hi:[1,1,0] neg_lo:[0,0,1] neg_hi:[0,0,1]
	v_pk_fma_f32 v[14:15], v[30:31], v[10:11], v[14:15] op_sel:[0,0,1] op_sel_hi:[1,0,0]
	ds_load_2addr_b64 v[28:31], v222 offset0:46 offset1:47
	v_mov_b32_e32 v19, v15
	v_pk_add_f32 v[190:191], v[190:191], v[18:19] neg_lo:[0,1] neg_hi:[0,1]
	s_wait_dscnt 0x0
	v_pk_mul_f32 v[14:15], v[28:29], v[12:13] op_sel:[0,1]
	s_delay_alu instid0(VALU_DEP_1) | instskip(SKIP_1) | instid1(VALU_DEP_1)
	v_pk_fma_f32 v[18:19], v[28:29], v[10:11], v[14:15] op_sel:[0,0,1] op_sel_hi:[1,1,0] neg_lo:[0,0,1] neg_hi:[0,0,1]
	v_pk_fma_f32 v[14:15], v[28:29], v[10:11], v[14:15] op_sel:[0,0,1] op_sel_hi:[1,0,0]
	v_mov_b32_e32 v19, v15
	v_pk_mul_f32 v[14:15], v[30:31], v[12:13] op_sel:[0,1]
	s_delay_alu instid0(VALU_DEP_2) | instskip(NEXT) | instid1(VALU_DEP_2)
	v_pk_add_f32 v[192:193], v[192:193], v[18:19] neg_lo:[0,1] neg_hi:[0,1]
	v_pk_fma_f32 v[18:19], v[30:31], v[10:11], v[14:15] op_sel:[0,0,1] op_sel_hi:[1,1,0] neg_lo:[0,0,1] neg_hi:[0,0,1]
	v_pk_fma_f32 v[14:15], v[30:31], v[10:11], v[14:15] op_sel:[0,0,1] op_sel_hi:[1,0,0]
	ds_load_2addr_b64 v[28:31], v222 offset0:48 offset1:49
	v_mov_b32_e32 v19, v15
	s_delay_alu instid0(VALU_DEP_1) | instskip(SKIP_2) | instid1(VALU_DEP_1)
	v_pk_add_f32 v[188:189], v[188:189], v[18:19] neg_lo:[0,1] neg_hi:[0,1]
	s_wait_dscnt 0x0
	v_dual_mul_f32 v18, v29, v10 :: v_dual_mul_f32 v14, v29, v13
	v_pk_fma_f32 v[18:19], v[28:29], v[38:39], v[18:19] op_sel:[1,0,0] op_sel_hi:[0,1,0]
	s_delay_alu instid0(VALU_DEP_2) | instskip(NEXT) | instid1(VALU_DEP_2)
	v_pk_fma_f32 v[14:15], v[28:29], v[38:39], v[14:15] op_sel_hi:[1,1,0] neg_lo:[0,0,1] neg_hi:[0,0,1]
	v_mov_b32_e32 v15, v19
	s_delay_alu instid0(VALU_DEP_1) | instskip(SKIP_1) | instid1(VALU_DEP_1)
	v_pk_add_f32 v[216:217], v[216:217], v[14:15] neg_lo:[0,1] neg_hi:[0,1]
	v_pk_mul_f32 v[14:15], v[30:31], v[12:13] op_sel:[0,1]
	v_pk_fma_f32 v[18:19], v[30:31], v[10:11], v[14:15] op_sel:[0,0,1] op_sel_hi:[1,1,0] neg_lo:[0,0,1] neg_hi:[0,0,1]
	v_pk_fma_f32 v[14:15], v[30:31], v[10:11], v[14:15] op_sel:[0,0,1] op_sel_hi:[1,0,0]
	ds_load_2addr_b64 v[28:31], v222 offset0:50 offset1:51
	v_mov_b32_e32 v19, v15
	s_delay_alu instid0(VALU_DEP_1) | instskip(SKIP_2) | instid1(VALU_DEP_1)
	v_pk_add_f32 v[212:213], v[212:213], v[18:19] neg_lo:[0,1] neg_hi:[0,1]
	s_wait_dscnt 0x0
	v_pk_mul_f32 v[14:15], v[28:29], v[12:13] op_sel:[0,1]
	v_pk_fma_f32 v[18:19], v[28:29], v[10:11], v[14:15] op_sel:[0,0,1] op_sel_hi:[1,1,0] neg_lo:[0,0,1] neg_hi:[0,0,1]
	v_pk_fma_f32 v[14:15], v[28:29], v[10:11], v[14:15] op_sel:[0,0,1] op_sel_hi:[1,0,0]
	s_delay_alu instid0(VALU_DEP_1) | instskip(SKIP_1) | instid1(VALU_DEP_2)
	v_mov_b32_e32 v19, v15
	v_pk_mul_f32 v[14:15], v[30:31], v[12:13] op_sel:[0,1]
	v_pk_add_f32 v[214:215], v[214:215], v[18:19] neg_lo:[0,1] neg_hi:[0,1]
	s_delay_alu instid0(VALU_DEP_2) | instskip(SKIP_3) | instid1(VALU_DEP_1)
	v_pk_fma_f32 v[18:19], v[30:31], v[10:11], v[14:15] op_sel:[0,0,1] op_sel_hi:[1,1,0] neg_lo:[0,0,1] neg_hi:[0,0,1]
	v_pk_fma_f32 v[14:15], v[30:31], v[10:11], v[14:15] op_sel:[0,0,1] op_sel_hi:[1,0,0]
	ds_load_2addr_b64 v[28:31], v222 offset0:52 offset1:53
	v_mov_b32_e32 v19, v15
	v_pk_add_f32 v[210:211], v[210:211], v[18:19] neg_lo:[0,1] neg_hi:[0,1]
	s_wait_dscnt 0x0
	v_pk_mul_f32 v[14:15], v[28:29], v[12:13] op_sel:[0,1]
	s_delay_alu instid0(VALU_DEP_1) | instskip(SKIP_2) | instid1(VALU_DEP_2)
	v_pk_fma_f32 v[18:19], v[28:29], v[10:11], v[14:15] op_sel:[0,0,1] op_sel_hi:[1,1,0] neg_lo:[0,0,1] neg_hi:[0,0,1]
	v_pk_fma_f32 v[14:15], v[28:29], v[10:11], v[14:15] op_sel:[0,0,1] op_sel_hi:[1,0,0]
	v_dual_mov_b32 v14, v31 :: v_dual_mul_f32 v28, v31, v10
	v_dual_mov_b32 v19, v15 :: v_dual_mov_b32 v15, v30
	s_delay_alu instid0(VALU_DEP_1) | instskip(SKIP_1) | instid1(VALU_DEP_3)
	v_pk_add_f32 v[240:241], v[240:241], v[18:19] neg_lo:[0,1] neg_hi:[0,1]
	v_mul_f32_e32 v18, v31, v13
	v_pk_fma_f32 v[14:15], v[14:15], v[38:39], v[28:29] op_sel_hi:[1,1,0]
	s_delay_alu instid0(VALU_DEP_2) | instskip(SKIP_2) | instid1(VALU_DEP_1)
	v_pk_fma_f32 v[18:19], v[30:31], v[38:39], v[18:19] op_sel_hi:[1,1,0] neg_lo:[0,0,1] neg_hi:[0,0,1]
	ds_load_2addr_b64 v[28:31], v222 offset0:54 offset1:55
	v_mov_b32_e32 v19, v15
	v_pk_add_f32 v[232:233], v[232:233], v[18:19] neg_lo:[0,1] neg_hi:[0,1]
	s_wait_dscnt 0x0
	v_pk_mul_f32 v[14:15], v[28:29], v[12:13] op_sel:[0,1]
	s_delay_alu instid0(VALU_DEP_1) | instskip(SKIP_1) | instid1(VALU_DEP_1)
	v_pk_fma_f32 v[18:19], v[28:29], v[10:11], v[14:15] op_sel:[0,0,1] op_sel_hi:[1,1,0] neg_lo:[0,0,1] neg_hi:[0,0,1]
	v_pk_fma_f32 v[14:15], v[28:29], v[10:11], v[14:15] op_sel:[0,0,1] op_sel_hi:[1,0,0]
	v_mov_b32_e32 v19, v15
	v_pk_mul_f32 v[14:15], v[30:31], v[12:13] op_sel:[0,1]
	s_delay_alu instid0(VALU_DEP_2) | instskip(NEXT) | instid1(VALU_DEP_2)
	v_pk_add_f32 v[238:239], v[238:239], v[18:19] neg_lo:[0,1] neg_hi:[0,1]
	v_pk_fma_f32 v[18:19], v[30:31], v[10:11], v[14:15] op_sel:[0,0,1] op_sel_hi:[1,1,0] neg_lo:[0,0,1] neg_hi:[0,0,1]
	v_pk_fma_f32 v[14:15], v[30:31], v[10:11], v[14:15] op_sel:[0,0,1] op_sel_hi:[1,0,0]
	ds_load_2addr_b64 v[28:31], v222 offset0:56 offset1:57
	v_mov_b32_e32 v19, v15
	s_delay_alu instid0(VALU_DEP_1) | instskip(SKIP_2) | instid1(VALU_DEP_1)
	v_pk_add_f32 v[230:231], v[230:231], v[18:19] neg_lo:[0,1] neg_hi:[0,1]
	s_wait_dscnt 0x0
	v_pk_mul_f32 v[14:15], v[28:29], v[12:13] op_sel:[0,1]
	v_pk_fma_f32 v[18:19], v[28:29], v[10:11], v[14:15] op_sel:[0,0,1] op_sel_hi:[1,1,0] neg_lo:[0,0,1] neg_hi:[0,0,1]
	v_pk_fma_f32 v[14:15], v[28:29], v[10:11], v[14:15] op_sel:[0,0,1] op_sel_hi:[1,0,0]
	s_delay_alu instid0(VALU_DEP_1) | instskip(SKIP_1) | instid1(VALU_DEP_2)
	v_mov_b32_e32 v19, v15
	v_pk_mul_f32 v[14:15], v[30:31], v[12:13] op_sel:[0,1]
	v_pk_add_f32 v[236:237], v[236:237], v[18:19] neg_lo:[0,1] neg_hi:[0,1]
	s_delay_alu instid0(VALU_DEP_2) | instskip(SKIP_3) | instid1(VALU_DEP_1)
	v_pk_fma_f32 v[18:19], v[30:31], v[10:11], v[14:15] op_sel:[0,0,1] op_sel_hi:[1,1,0] neg_lo:[0,0,1] neg_hi:[0,0,1]
	v_pk_fma_f32 v[14:15], v[30:31], v[10:11], v[14:15] op_sel:[0,0,1] op_sel_hi:[1,0,0]
	ds_load_2addr_b64 v[28:31], v222 offset0:58 offset1:59
	v_mov_b32_e32 v19, v15
	v_pk_add_f32 v[228:229], v[228:229], v[18:19] neg_lo:[0,1] neg_hi:[0,1]
	s_wait_dscnt 0x0
	v_dual_mul_f32 v18, v29, v10 :: v_dual_mul_f32 v14, v29, v13
	s_delay_alu instid0(VALU_DEP_1) | instskip(NEXT) | instid1(VALU_DEP_2)
	v_pk_fma_f32 v[18:19], v[28:29], v[38:39], v[18:19] op_sel:[1,0,0] op_sel_hi:[0,1,0]
	v_pk_fma_f32 v[14:15], v[28:29], v[38:39], v[14:15] op_sel_hi:[1,1,0] neg_lo:[0,0,1] neg_hi:[0,0,1]
	s_delay_alu instid0(VALU_DEP_2) | instskip(NEXT) | instid1(VALU_DEP_1)
	v_mov_b32_e32 v15, v19
	v_pk_add_f32 v[234:235], v[234:235], v[14:15] neg_lo:[0,1] neg_hi:[0,1]
	v_pk_mul_f32 v[14:15], v[30:31], v[12:13] op_sel:[0,1]
	s_delay_alu instid0(VALU_DEP_1) | instskip(SKIP_1) | instid1(VALU_DEP_1)
	v_pk_fma_f32 v[18:19], v[30:31], v[10:11], v[14:15] op_sel:[0,0,1] op_sel_hi:[1,1,0] neg_lo:[0,0,1] neg_hi:[0,0,1]
	v_pk_fma_f32 v[14:15], v[30:31], v[10:11], v[14:15] op_sel:[0,0,1] op_sel_hi:[1,0,0]
	v_mov_b32_e32 v19, v15
	ds_load_b64 v[14:15], v222 offset:480
	v_pk_add_f32 v[242:243], v[242:243], v[18:19] neg_lo:[0,1] neg_hi:[0,1]
	s_wait_dscnt 0x0
	v_pk_mul_f32 v[12:13], v[14:15], v[12:13] op_sel:[0,1]
	s_delay_alu instid0(VALU_DEP_1) | instskip(SKIP_1) | instid1(VALU_DEP_1)
	v_pk_fma_f32 v[18:19], v[14:15], v[10:11], v[12:13] op_sel:[0,0,1] op_sel_hi:[1,1,0] neg_lo:[0,0,1] neg_hi:[0,0,1]
	v_pk_fma_f32 v[10:11], v[14:15], v[10:11], v[12:13] op_sel:[0,0,1] op_sel_hi:[1,0,0]
	v_mov_b32_e32 v19, v11
	s_delay_alu instid0(VALU_DEP_1)
	v_pk_add_f32 v[244:245], v[244:245], v[18:19] neg_lo:[0,1] neg_hi:[0,1]
.LBB121_91:
	s_or_b32 exec_lo, exec_lo, s1
	s_delay_alu instid0(SALU_CYCLE_1)
	s_mov_b32 s2, exec_lo
	s_wait_dscnt 0x0
	s_barrier_signal -1
	s_barrier_wait -1
	v_cmpx_eq_u32_e32 10, v220
	s_cbranch_execz .LBB121_98
; %bb.92:
	ds_store_b64 v221, v[40:41]
	ds_store_2addr_b64 v222, v[36:37], v[66:67] offset0:11 offset1:12
	ds_store_2addr_b64 v222, v[62:63], v[64:65] offset0:13 offset1:14
	;; [unrolled: 1-line block ×25, first 2 shown]
	ds_load_b64 v[10:11], v221
	s_wait_dscnt 0x0
	v_cmp_neq_f32_e32 vcc_lo, 0, v10
	v_cmp_neq_f32_e64 s1, 0, v11
	s_or_b32 s1, vcc_lo, s1
	s_delay_alu instid0(SALU_CYCLE_1)
	s_and_b32 exec_lo, exec_lo, s1
	s_cbranch_execz .LBB121_98
; %bb.93:
	v_cmp_ngt_f32_e64 s1, |v10|, |v11|
                                        ; implicit-def: $vgpr12_vgpr13
	s_and_saveexec_b32 s4, s1
	s_delay_alu instid0(SALU_CYCLE_1)
	s_xor_b32 s1, exec_lo, s4
	s_cbranch_execz .LBB121_95
; %bb.94:
	v_div_scale_f32 v12, null, v11, v11, v10
	v_div_scale_f32 v15, vcc_lo, v10, v11, v10
	s_delay_alu instid0(VALU_DEP_2) | instskip(SKIP_1) | instid1(TRANS32_DEP_1)
	v_rcp_f32_e32 v13, v12
	v_nop
	v_fma_f32 v14, -v12, v13, 1.0
	s_delay_alu instid0(VALU_DEP_1) | instskip(NEXT) | instid1(VALU_DEP_1)
	v_fmac_f32_e32 v13, v14, v13
	v_mul_f32_e32 v14, v15, v13
	s_delay_alu instid0(VALU_DEP_1) | instskip(NEXT) | instid1(VALU_DEP_1)
	v_fma_f32 v18, -v12, v14, v15
	v_fmac_f32_e32 v14, v18, v13
	s_delay_alu instid0(VALU_DEP_1) | instskip(NEXT) | instid1(VALU_DEP_1)
	v_fma_f32 v12, -v12, v14, v15
	v_div_fmas_f32 v12, v12, v13, v14
	s_delay_alu instid0(VALU_DEP_1) | instskip(NEXT) | instid1(VALU_DEP_1)
	v_div_fixup_f32 v12, v12, v11, v10
	v_fmac_f32_e32 v11, v10, v12
	s_delay_alu instid0(VALU_DEP_1) | instskip(SKIP_1) | instid1(VALU_DEP_2)
	v_div_scale_f32 v10, null, v11, v11, 1.0
	v_div_scale_f32 v15, vcc_lo, 1.0, v11, 1.0
	v_rcp_f32_e32 v13, v10
	v_nop
	s_delay_alu instid0(TRANS32_DEP_1) | instskip(NEXT) | instid1(VALU_DEP_1)
	v_fma_f32 v14, -v10, v13, 1.0
	v_fmac_f32_e32 v13, v14, v13
	s_delay_alu instid0(VALU_DEP_1) | instskip(NEXT) | instid1(VALU_DEP_1)
	v_mul_f32_e32 v14, v15, v13
	v_fma_f32 v18, -v10, v14, v15
	s_delay_alu instid0(VALU_DEP_1) | instskip(NEXT) | instid1(VALU_DEP_1)
	v_fmac_f32_e32 v14, v18, v13
	v_fma_f32 v10, -v10, v14, v15
	s_delay_alu instid0(VALU_DEP_1) | instskip(NEXT) | instid1(VALU_DEP_1)
	v_div_fmas_f32 v10, v10, v13, v14
	v_div_fixup_f32 v10, v10, v11, 1.0
	s_delay_alu instid0(VALU_DEP_1)
	v_mul_f32_e32 v12, v12, v10
	v_xor_b32_e32 v13, 0x80000000, v10
                                        ; implicit-def: $vgpr10_vgpr11
.LBB121_95:
	s_and_not1_saveexec_b32 s1, s1
	s_cbranch_execz .LBB121_97
; %bb.96:
	v_div_scale_f32 v12, null, v10, v10, v11
	v_div_scale_f32 v15, vcc_lo, v11, v10, v11
	s_delay_alu instid0(VALU_DEP_2) | instskip(SKIP_1) | instid1(TRANS32_DEP_1)
	v_rcp_f32_e32 v13, v12
	v_nop
	v_fma_f32 v14, -v12, v13, 1.0
	s_delay_alu instid0(VALU_DEP_1) | instskip(NEXT) | instid1(VALU_DEP_1)
	v_fmac_f32_e32 v13, v14, v13
	v_mul_f32_e32 v14, v15, v13
	s_delay_alu instid0(VALU_DEP_1) | instskip(NEXT) | instid1(VALU_DEP_1)
	v_fma_f32 v18, -v12, v14, v15
	v_fmac_f32_e32 v14, v18, v13
	s_delay_alu instid0(VALU_DEP_1) | instskip(NEXT) | instid1(VALU_DEP_1)
	v_fma_f32 v12, -v12, v14, v15
	v_div_fmas_f32 v12, v12, v13, v14
	s_delay_alu instid0(VALU_DEP_1) | instskip(NEXT) | instid1(VALU_DEP_1)
	v_div_fixup_f32 v13, v12, v10, v11
	v_fmac_f32_e32 v10, v11, v13
	s_delay_alu instid0(VALU_DEP_1) | instskip(NEXT) | instid1(VALU_DEP_1)
	v_div_scale_f32 v11, null, v10, v10, 1.0
	v_rcp_f32_e32 v12, v11
	v_nop
	s_delay_alu instid0(TRANS32_DEP_1) | instskip(NEXT) | instid1(VALU_DEP_1)
	v_fma_f32 v14, -v11, v12, 1.0
	v_fmac_f32_e32 v12, v14, v12
	v_div_scale_f32 v14, vcc_lo, 1.0, v10, 1.0
	s_delay_alu instid0(VALU_DEP_1) | instskip(NEXT) | instid1(VALU_DEP_1)
	v_mul_f32_e32 v15, v14, v12
	v_fma_f32 v18, -v11, v15, v14
	s_delay_alu instid0(VALU_DEP_1) | instskip(NEXT) | instid1(VALU_DEP_1)
	v_fmac_f32_e32 v15, v18, v12
	v_fma_f32 v11, -v11, v15, v14
	s_delay_alu instid0(VALU_DEP_1) | instskip(NEXT) | instid1(VALU_DEP_1)
	v_div_fmas_f32 v11, v11, v12, v15
	v_div_fixup_f32 v12, v11, v10, 1.0
	s_delay_alu instid0(VALU_DEP_1)
	v_mul_f32_e64 v13, v13, -v12
.LBB121_97:
	s_or_b32 exec_lo, exec_lo, s1
	ds_store_b64 v221, v[12:13]
.LBB121_98:
	s_or_b32 exec_lo, exec_lo, s2
	s_wait_dscnt 0x0
	s_barrier_signal -1
	s_barrier_wait -1
	ds_load_b64 v[10:11], v221
	s_mov_b32 s1, exec_lo
	v_cmpx_lt_u32_e32 10, v220
	s_cbranch_execz .LBB121_100
; %bb.99:
	ds_load_2addr_b64 v[28:31], v222 offset0:11 offset1:12
	s_wait_dscnt 0x1
	v_pk_mul_f32 v[14:15], v[10:11], v[40:41] op_sel:[1,1] op_sel_hi:[0,1]
	s_delay_alu instid0(VALU_DEP_1) | instskip(SKIP_1) | instid1(VALU_DEP_1)
	v_pk_fma_f32 v[12:13], v[10:11], v[40:41], v[14:15] op_sel_hi:[1,0,1] neg_lo:[0,0,1] neg_hi:[0,0,1]
	v_pk_fma_f32 v[14:15], v[10:11], v[40:41], v[14:15] op_sel_hi:[1,0,1]
	v_dual_mov_b32 v40, v12 :: v_dual_mov_b32 v41, v15
	s_wait_dscnt 0x0
	s_delay_alu instid0(VALU_DEP_2) | instskip(NEXT) | instid1(VALU_DEP_1)
	v_pk_mul_f32 v[18:19], v[28:29], v[14:15] op_sel:[0,1]
	v_pk_fma_f32 v[34:35], v[28:29], v[12:13], v[18:19] op_sel:[0,0,1] op_sel_hi:[1,1,0] neg_lo:[0,0,1] neg_hi:[0,0,1]
	v_pk_fma_f32 v[18:19], v[28:29], v[12:13], v[18:19] op_sel:[0,0,1] op_sel_hi:[1,0,0]
	s_delay_alu instid0(VALU_DEP_1) | instskip(SKIP_1) | instid1(VALU_DEP_1)
	v_mov_b32_e32 v35, v19
	v_pk_mul_f32 v[18:19], v[30:31], v[14:15] op_sel:[0,1]
	v_pk_fma_f32 v[28:29], v[30:31], v[12:13], v[18:19] op_sel:[0,0,1] op_sel_hi:[1,1,0] neg_lo:[0,0,1] neg_hi:[0,0,1]
	v_pk_fma_f32 v[18:19], v[30:31], v[12:13], v[18:19] op_sel:[0,0,1] op_sel_hi:[1,0,0]
	s_delay_alu instid0(VALU_DEP_1) | instskip(SKIP_1) | instid1(VALU_DEP_2)
	v_mov_b32_e32 v29, v19
	v_pk_add_f32 v[36:37], v[36:37], v[34:35] neg_lo:[0,1] neg_hi:[0,1]
	v_pk_add_f32 v[66:67], v[66:67], v[28:29] neg_lo:[0,1] neg_hi:[0,1]
	ds_load_2addr_b64 v[28:31], v222 offset0:13 offset1:14
	s_wait_dscnt 0x0
	v_pk_mul_f32 v[18:19], v[28:29], v[14:15] op_sel:[0,1]
	s_delay_alu instid0(VALU_DEP_1) | instskip(SKIP_2) | instid1(VALU_DEP_2)
	v_pk_fma_f32 v[34:35], v[28:29], v[12:13], v[18:19] op_sel:[0,0,1] op_sel_hi:[1,1,0] neg_lo:[0,0,1] neg_hi:[0,0,1]
	v_pk_fma_f32 v[18:19], v[28:29], v[12:13], v[18:19] op_sel:[0,0,1] op_sel_hi:[1,0,0]
	v_dual_mul_f32 v28, v31, v15 :: v_dual_mov_b32 v18, v31
	v_dual_mov_b32 v35, v19 :: v_dual_mov_b32 v19, v30
	s_delay_alu instid0(VALU_DEP_2) | instskip(SKIP_1) | instid1(VALU_DEP_3)
	v_pk_fma_f32 v[28:29], v[30:31], v[40:41], v[28:29] op_sel_hi:[1,1,0] neg_lo:[0,0,1] neg_hi:[0,0,1]
	v_mul_f32_e32 v30, v31, v12
	v_pk_add_f32 v[62:63], v[62:63], v[34:35] neg_lo:[0,1] neg_hi:[0,1]
	s_delay_alu instid0(VALU_DEP_2) | instskip(NEXT) | instid1(VALU_DEP_1)
	v_pk_fma_f32 v[18:19], v[18:19], v[40:41], v[30:31] op_sel_hi:[1,1,0]
	v_mov_b32_e32 v29, v19
	s_delay_alu instid0(VALU_DEP_1) | instskip(SKIP_3) | instid1(VALU_DEP_1)
	v_pk_add_f32 v[64:65], v[64:65], v[28:29] neg_lo:[0,1] neg_hi:[0,1]
	ds_load_2addr_b64 v[28:31], v222 offset0:15 offset1:16
	s_wait_dscnt 0x0
	v_pk_mul_f32 v[18:19], v[28:29], v[14:15] op_sel:[0,1]
	v_pk_fma_f32 v[34:35], v[28:29], v[12:13], v[18:19] op_sel:[0,0,1] op_sel_hi:[1,1,0] neg_lo:[0,0,1] neg_hi:[0,0,1]
	v_pk_fma_f32 v[18:19], v[28:29], v[12:13], v[18:19] op_sel:[0,0,1] op_sel_hi:[1,0,0]
	s_delay_alu instid0(VALU_DEP_1) | instskip(SKIP_1) | instid1(VALU_DEP_2)
	v_mov_b32_e32 v35, v19
	v_pk_mul_f32 v[18:19], v[30:31], v[14:15] op_sel:[0,1]
	v_pk_add_f32 v[60:61], v[60:61], v[34:35] neg_lo:[0,1] neg_hi:[0,1]
	s_delay_alu instid0(VALU_DEP_2) | instskip(SKIP_1) | instid1(VALU_DEP_1)
	v_pk_fma_f32 v[28:29], v[30:31], v[12:13], v[18:19] op_sel:[0,0,1] op_sel_hi:[1,1,0] neg_lo:[0,0,1] neg_hi:[0,0,1]
	v_pk_fma_f32 v[18:19], v[30:31], v[12:13], v[18:19] op_sel:[0,0,1] op_sel_hi:[1,0,0]
	v_mov_b32_e32 v29, v19
	s_delay_alu instid0(VALU_DEP_1) | instskip(SKIP_3) | instid1(VALU_DEP_1)
	v_pk_add_f32 v[82:83], v[82:83], v[28:29] neg_lo:[0,1] neg_hi:[0,1]
	ds_load_2addr_b64 v[28:31], v222 offset0:17 offset1:18
	s_wait_dscnt 0x0
	v_pk_mul_f32 v[18:19], v[28:29], v[14:15] op_sel:[0,1]
	v_pk_fma_f32 v[34:35], v[28:29], v[12:13], v[18:19] op_sel:[0,0,1] op_sel_hi:[1,1,0] neg_lo:[0,0,1] neg_hi:[0,0,1]
	v_pk_fma_f32 v[18:19], v[28:29], v[12:13], v[18:19] op_sel:[0,0,1] op_sel_hi:[1,0,0]
	s_delay_alu instid0(VALU_DEP_1) | instskip(SKIP_1) | instid1(VALU_DEP_2)
	v_mov_b32_e32 v35, v19
	v_pk_mul_f32 v[18:19], v[30:31], v[14:15] op_sel:[0,1]
	v_pk_add_f32 v[78:79], v[78:79], v[34:35] neg_lo:[0,1] neg_hi:[0,1]
	s_delay_alu instid0(VALU_DEP_2) | instskip(SKIP_1) | instid1(VALU_DEP_1)
	v_pk_fma_f32 v[28:29], v[30:31], v[12:13], v[18:19] op_sel:[0,0,1] op_sel_hi:[1,1,0] neg_lo:[0,0,1] neg_hi:[0,0,1]
	v_pk_fma_f32 v[18:19], v[30:31], v[12:13], v[18:19] op_sel:[0,0,1] op_sel_hi:[1,0,0]
	v_mov_b32_e32 v29, v19
	s_delay_alu instid0(VALU_DEP_1) | instskip(SKIP_3) | instid1(VALU_DEP_1)
	v_pk_add_f32 v[80:81], v[80:81], v[28:29] neg_lo:[0,1] neg_hi:[0,1]
	ds_load_2addr_b64 v[28:31], v222 offset0:19 offset1:20
	s_wait_dscnt 0x0
	v_dual_mul_f32 v18, v29, v15 :: v_dual_mul_f32 v34, v29, v12
	v_pk_fma_f32 v[18:19], v[28:29], v[40:41], v[18:19] op_sel_hi:[1,1,0] neg_lo:[0,0,1] neg_hi:[0,0,1]
	s_delay_alu instid0(VALU_DEP_2) | instskip(NEXT) | instid1(VALU_DEP_1)
	v_pk_fma_f32 v[28:29], v[28:29], v[40:41], v[34:35] op_sel:[1,0,0] op_sel_hi:[0,1,0]
	v_mov_b32_e32 v19, v29
	s_delay_alu instid0(VALU_DEP_1) | instskip(SKIP_1) | instid1(VALU_DEP_1)
	v_pk_add_f32 v[76:77], v[76:77], v[18:19] neg_lo:[0,1] neg_hi:[0,1]
	v_pk_mul_f32 v[18:19], v[30:31], v[14:15] op_sel:[0,1]
	v_pk_fma_f32 v[28:29], v[30:31], v[12:13], v[18:19] op_sel:[0,0,1] op_sel_hi:[1,1,0] neg_lo:[0,0,1] neg_hi:[0,0,1]
	v_pk_fma_f32 v[18:19], v[30:31], v[12:13], v[18:19] op_sel:[0,0,1] op_sel_hi:[1,0,0]
	s_delay_alu instid0(VALU_DEP_1) | instskip(NEXT) | instid1(VALU_DEP_1)
	v_mov_b32_e32 v29, v19
	v_pk_add_f32 v[98:99], v[98:99], v[28:29] neg_lo:[0,1] neg_hi:[0,1]
	ds_load_2addr_b64 v[28:31], v222 offset0:21 offset1:22
	s_wait_dscnt 0x0
	v_pk_mul_f32 v[18:19], v[28:29], v[14:15] op_sel:[0,1]
	s_delay_alu instid0(VALU_DEP_1) | instskip(SKIP_1) | instid1(VALU_DEP_1)
	v_pk_fma_f32 v[34:35], v[28:29], v[12:13], v[18:19] op_sel:[0,0,1] op_sel_hi:[1,1,0] neg_lo:[0,0,1] neg_hi:[0,0,1]
	v_pk_fma_f32 v[18:19], v[28:29], v[12:13], v[18:19] op_sel:[0,0,1] op_sel_hi:[1,0,0]
	v_mov_b32_e32 v35, v19
	v_pk_mul_f32 v[18:19], v[30:31], v[14:15] op_sel:[0,1]
	s_delay_alu instid0(VALU_DEP_2) | instskip(NEXT) | instid1(VALU_DEP_2)
	v_pk_add_f32 v[94:95], v[94:95], v[34:35] neg_lo:[0,1] neg_hi:[0,1]
	v_pk_fma_f32 v[28:29], v[30:31], v[12:13], v[18:19] op_sel:[0,0,1] op_sel_hi:[1,1,0] neg_lo:[0,0,1] neg_hi:[0,0,1]
	v_pk_fma_f32 v[18:19], v[30:31], v[12:13], v[18:19] op_sel:[0,0,1] op_sel_hi:[1,0,0]
	s_delay_alu instid0(VALU_DEP_1) | instskip(NEXT) | instid1(VALU_DEP_1)
	v_mov_b32_e32 v29, v19
	v_pk_add_f32 v[96:97], v[96:97], v[28:29] neg_lo:[0,1] neg_hi:[0,1]
	ds_load_2addr_b64 v[28:31], v222 offset0:23 offset1:24
	s_wait_dscnt 0x0
	v_pk_mul_f32 v[18:19], v[28:29], v[14:15] op_sel:[0,1]
	s_delay_alu instid0(VALU_DEP_1) | instskip(SKIP_2) | instid1(VALU_DEP_2)
	v_pk_fma_f32 v[34:35], v[28:29], v[12:13], v[18:19] op_sel:[0,0,1] op_sel_hi:[1,1,0] neg_lo:[0,0,1] neg_hi:[0,0,1]
	v_pk_fma_f32 v[18:19], v[28:29], v[12:13], v[18:19] op_sel:[0,0,1] op_sel_hi:[1,0,0]
	v_dual_mul_f32 v28, v31, v15 :: v_dual_mov_b32 v18, v31
	v_dual_mov_b32 v35, v19 :: v_dual_mov_b32 v19, v30
	s_delay_alu instid0(VALU_DEP_2) | instskip(SKIP_1) | instid1(VALU_DEP_3)
	v_pk_fma_f32 v[28:29], v[30:31], v[40:41], v[28:29] op_sel_hi:[1,1,0] neg_lo:[0,0,1] neg_hi:[0,0,1]
	v_mul_f32_e32 v30, v31, v12
	v_pk_add_f32 v[92:93], v[92:93], v[34:35] neg_lo:[0,1] neg_hi:[0,1]
	s_delay_alu instid0(VALU_DEP_2) | instskip(NEXT) | instid1(VALU_DEP_1)
	v_pk_fma_f32 v[18:19], v[18:19], v[40:41], v[30:31] op_sel_hi:[1,1,0]
	v_mov_b32_e32 v29, v19
	s_delay_alu instid0(VALU_DEP_1) | instskip(SKIP_3) | instid1(VALU_DEP_1)
	v_pk_add_f32 v[114:115], v[114:115], v[28:29] neg_lo:[0,1] neg_hi:[0,1]
	ds_load_2addr_b64 v[28:31], v222 offset0:25 offset1:26
	s_wait_dscnt 0x0
	v_pk_mul_f32 v[18:19], v[28:29], v[14:15] op_sel:[0,1]
	v_pk_fma_f32 v[34:35], v[28:29], v[12:13], v[18:19] op_sel:[0,0,1] op_sel_hi:[1,1,0] neg_lo:[0,0,1] neg_hi:[0,0,1]
	v_pk_fma_f32 v[18:19], v[28:29], v[12:13], v[18:19] op_sel:[0,0,1] op_sel_hi:[1,0,0]
	s_delay_alu instid0(VALU_DEP_1) | instskip(SKIP_1) | instid1(VALU_DEP_2)
	v_mov_b32_e32 v35, v19
	v_pk_mul_f32 v[18:19], v[30:31], v[14:15] op_sel:[0,1]
	v_pk_add_f32 v[110:111], v[110:111], v[34:35] neg_lo:[0,1] neg_hi:[0,1]
	s_delay_alu instid0(VALU_DEP_2) | instskip(SKIP_1) | instid1(VALU_DEP_1)
	v_pk_fma_f32 v[28:29], v[30:31], v[12:13], v[18:19] op_sel:[0,0,1] op_sel_hi:[1,1,0] neg_lo:[0,0,1] neg_hi:[0,0,1]
	v_pk_fma_f32 v[18:19], v[30:31], v[12:13], v[18:19] op_sel:[0,0,1] op_sel_hi:[1,0,0]
	v_mov_b32_e32 v29, v19
	s_delay_alu instid0(VALU_DEP_1) | instskip(SKIP_3) | instid1(VALU_DEP_1)
	v_pk_add_f32 v[112:113], v[112:113], v[28:29] neg_lo:[0,1] neg_hi:[0,1]
	ds_load_2addr_b64 v[28:31], v222 offset0:27 offset1:28
	s_wait_dscnt 0x0
	v_pk_mul_f32 v[18:19], v[28:29], v[14:15] op_sel:[0,1]
	v_pk_fma_f32 v[34:35], v[28:29], v[12:13], v[18:19] op_sel:[0,0,1] op_sel_hi:[1,1,0] neg_lo:[0,0,1] neg_hi:[0,0,1]
	v_pk_fma_f32 v[18:19], v[28:29], v[12:13], v[18:19] op_sel:[0,0,1] op_sel_hi:[1,0,0]
	s_delay_alu instid0(VALU_DEP_1) | instskip(SKIP_1) | instid1(VALU_DEP_2)
	v_mov_b32_e32 v35, v19
	v_pk_mul_f32 v[18:19], v[30:31], v[14:15] op_sel:[0,1]
	v_pk_add_f32 v[108:109], v[108:109], v[34:35] neg_lo:[0,1] neg_hi:[0,1]
	s_delay_alu instid0(VALU_DEP_2) | instskip(SKIP_1) | instid1(VALU_DEP_1)
	v_pk_fma_f32 v[28:29], v[30:31], v[12:13], v[18:19] op_sel:[0,0,1] op_sel_hi:[1,1,0] neg_lo:[0,0,1] neg_hi:[0,0,1]
	v_pk_fma_f32 v[18:19], v[30:31], v[12:13], v[18:19] op_sel:[0,0,1] op_sel_hi:[1,0,0]
	v_mov_b32_e32 v29, v19
	s_delay_alu instid0(VALU_DEP_1) | instskip(SKIP_3) | instid1(VALU_DEP_1)
	v_pk_add_f32 v[130:131], v[130:131], v[28:29] neg_lo:[0,1] neg_hi:[0,1]
	ds_load_2addr_b64 v[28:31], v222 offset0:29 offset1:30
	s_wait_dscnt 0x0
	v_dual_mul_f32 v18, v29, v15 :: v_dual_mul_f32 v34, v29, v12
	v_pk_fma_f32 v[18:19], v[28:29], v[40:41], v[18:19] op_sel_hi:[1,1,0] neg_lo:[0,0,1] neg_hi:[0,0,1]
	s_delay_alu instid0(VALU_DEP_2) | instskip(NEXT) | instid1(VALU_DEP_1)
	v_pk_fma_f32 v[28:29], v[28:29], v[40:41], v[34:35] op_sel:[1,0,0] op_sel_hi:[0,1,0]
	v_mov_b32_e32 v19, v29
	s_delay_alu instid0(VALU_DEP_1) | instskip(SKIP_1) | instid1(VALU_DEP_1)
	v_pk_add_f32 v[126:127], v[126:127], v[18:19] neg_lo:[0,1] neg_hi:[0,1]
	v_pk_mul_f32 v[18:19], v[30:31], v[14:15] op_sel:[0,1]
	v_pk_fma_f32 v[28:29], v[30:31], v[12:13], v[18:19] op_sel:[0,0,1] op_sel_hi:[1,1,0] neg_lo:[0,0,1] neg_hi:[0,0,1]
	v_pk_fma_f32 v[18:19], v[30:31], v[12:13], v[18:19] op_sel:[0,0,1] op_sel_hi:[1,0,0]
	s_delay_alu instid0(VALU_DEP_1) | instskip(NEXT) | instid1(VALU_DEP_1)
	v_mov_b32_e32 v29, v19
	v_pk_add_f32 v[128:129], v[128:129], v[28:29] neg_lo:[0,1] neg_hi:[0,1]
	ds_load_2addr_b64 v[28:31], v222 offset0:31 offset1:32
	s_wait_dscnt 0x0
	v_pk_mul_f32 v[18:19], v[28:29], v[14:15] op_sel:[0,1]
	s_delay_alu instid0(VALU_DEP_1) | instskip(SKIP_1) | instid1(VALU_DEP_1)
	v_pk_fma_f32 v[34:35], v[28:29], v[12:13], v[18:19] op_sel:[0,0,1] op_sel_hi:[1,1,0] neg_lo:[0,0,1] neg_hi:[0,0,1]
	v_pk_fma_f32 v[18:19], v[28:29], v[12:13], v[18:19] op_sel:[0,0,1] op_sel_hi:[1,0,0]
	v_mov_b32_e32 v35, v19
	v_pk_mul_f32 v[18:19], v[30:31], v[14:15] op_sel:[0,1]
	s_delay_alu instid0(VALU_DEP_2) | instskip(NEXT) | instid1(VALU_DEP_2)
	v_pk_add_f32 v[124:125], v[124:125], v[34:35] neg_lo:[0,1] neg_hi:[0,1]
	v_pk_fma_f32 v[28:29], v[30:31], v[12:13], v[18:19] op_sel:[0,0,1] op_sel_hi:[1,1,0] neg_lo:[0,0,1] neg_hi:[0,0,1]
	v_pk_fma_f32 v[18:19], v[30:31], v[12:13], v[18:19] op_sel:[0,0,1] op_sel_hi:[1,0,0]
	s_delay_alu instid0(VALU_DEP_1) | instskip(NEXT) | instid1(VALU_DEP_1)
	v_mov_b32_e32 v29, v19
	v_pk_add_f32 v[146:147], v[146:147], v[28:29] neg_lo:[0,1] neg_hi:[0,1]
	ds_load_2addr_b64 v[28:31], v222 offset0:33 offset1:34
	s_wait_dscnt 0x0
	v_pk_mul_f32 v[18:19], v[28:29], v[14:15] op_sel:[0,1]
	s_delay_alu instid0(VALU_DEP_1) | instskip(SKIP_2) | instid1(VALU_DEP_2)
	v_pk_fma_f32 v[34:35], v[28:29], v[12:13], v[18:19] op_sel:[0,0,1] op_sel_hi:[1,1,0] neg_lo:[0,0,1] neg_hi:[0,0,1]
	v_pk_fma_f32 v[18:19], v[28:29], v[12:13], v[18:19] op_sel:[0,0,1] op_sel_hi:[1,0,0]
	v_dual_mul_f32 v28, v31, v15 :: v_dual_mov_b32 v18, v31
	v_dual_mov_b32 v35, v19 :: v_dual_mov_b32 v19, v30
	s_delay_alu instid0(VALU_DEP_2) | instskip(SKIP_1) | instid1(VALU_DEP_3)
	v_pk_fma_f32 v[28:29], v[30:31], v[40:41], v[28:29] op_sel_hi:[1,1,0] neg_lo:[0,0,1] neg_hi:[0,0,1]
	v_mul_f32_e32 v30, v31, v12
	v_pk_add_f32 v[142:143], v[142:143], v[34:35] neg_lo:[0,1] neg_hi:[0,1]
	s_delay_alu instid0(VALU_DEP_2) | instskip(NEXT) | instid1(VALU_DEP_1)
	v_pk_fma_f32 v[18:19], v[18:19], v[40:41], v[30:31] op_sel_hi:[1,1,0]
	v_mov_b32_e32 v29, v19
	s_delay_alu instid0(VALU_DEP_1) | instskip(SKIP_3) | instid1(VALU_DEP_1)
	v_pk_add_f32 v[144:145], v[144:145], v[28:29] neg_lo:[0,1] neg_hi:[0,1]
	ds_load_2addr_b64 v[28:31], v222 offset0:35 offset1:36
	s_wait_dscnt 0x0
	v_pk_mul_f32 v[18:19], v[28:29], v[14:15] op_sel:[0,1]
	v_pk_fma_f32 v[34:35], v[28:29], v[12:13], v[18:19] op_sel:[0,0,1] op_sel_hi:[1,1,0] neg_lo:[0,0,1] neg_hi:[0,0,1]
	v_pk_fma_f32 v[18:19], v[28:29], v[12:13], v[18:19] op_sel:[0,0,1] op_sel_hi:[1,0,0]
	s_delay_alu instid0(VALU_DEP_1) | instskip(SKIP_1) | instid1(VALU_DEP_2)
	v_mov_b32_e32 v35, v19
	v_pk_mul_f32 v[18:19], v[30:31], v[14:15] op_sel:[0,1]
	v_pk_add_f32 v[140:141], v[140:141], v[34:35] neg_lo:[0,1] neg_hi:[0,1]
	s_delay_alu instid0(VALU_DEP_2) | instskip(SKIP_1) | instid1(VALU_DEP_1)
	v_pk_fma_f32 v[28:29], v[30:31], v[12:13], v[18:19] op_sel:[0,0,1] op_sel_hi:[1,1,0] neg_lo:[0,0,1] neg_hi:[0,0,1]
	v_pk_fma_f32 v[18:19], v[30:31], v[12:13], v[18:19] op_sel:[0,0,1] op_sel_hi:[1,0,0]
	v_mov_b32_e32 v29, v19
	s_delay_alu instid0(VALU_DEP_1) | instskip(SKIP_3) | instid1(VALU_DEP_1)
	v_pk_add_f32 v[162:163], v[162:163], v[28:29] neg_lo:[0,1] neg_hi:[0,1]
	ds_load_2addr_b64 v[28:31], v222 offset0:37 offset1:38
	s_wait_dscnt 0x0
	v_pk_mul_f32 v[18:19], v[28:29], v[14:15] op_sel:[0,1]
	v_pk_fma_f32 v[34:35], v[28:29], v[12:13], v[18:19] op_sel:[0,0,1] op_sel_hi:[1,1,0] neg_lo:[0,0,1] neg_hi:[0,0,1]
	v_pk_fma_f32 v[18:19], v[28:29], v[12:13], v[18:19] op_sel:[0,0,1] op_sel_hi:[1,0,0]
	s_delay_alu instid0(VALU_DEP_1) | instskip(SKIP_1) | instid1(VALU_DEP_2)
	v_mov_b32_e32 v35, v19
	v_pk_mul_f32 v[18:19], v[30:31], v[14:15] op_sel:[0,1]
	v_pk_add_f32 v[158:159], v[158:159], v[34:35] neg_lo:[0,1] neg_hi:[0,1]
	s_delay_alu instid0(VALU_DEP_2) | instskip(SKIP_1) | instid1(VALU_DEP_1)
	v_pk_fma_f32 v[28:29], v[30:31], v[12:13], v[18:19] op_sel:[0,0,1] op_sel_hi:[1,1,0] neg_lo:[0,0,1] neg_hi:[0,0,1]
	v_pk_fma_f32 v[18:19], v[30:31], v[12:13], v[18:19] op_sel:[0,0,1] op_sel_hi:[1,0,0]
	v_mov_b32_e32 v29, v19
	s_delay_alu instid0(VALU_DEP_1) | instskip(SKIP_3) | instid1(VALU_DEP_1)
	v_pk_add_f32 v[160:161], v[160:161], v[28:29] neg_lo:[0,1] neg_hi:[0,1]
	ds_load_2addr_b64 v[28:31], v222 offset0:39 offset1:40
	s_wait_dscnt 0x0
	v_dual_mul_f32 v18, v29, v15 :: v_dual_mul_f32 v34, v29, v12
	v_pk_fma_f32 v[18:19], v[28:29], v[40:41], v[18:19] op_sel_hi:[1,1,0] neg_lo:[0,0,1] neg_hi:[0,0,1]
	s_delay_alu instid0(VALU_DEP_2) | instskip(NEXT) | instid1(VALU_DEP_1)
	v_pk_fma_f32 v[28:29], v[28:29], v[40:41], v[34:35] op_sel:[1,0,0] op_sel_hi:[0,1,0]
	v_mov_b32_e32 v19, v29
	s_delay_alu instid0(VALU_DEP_1) | instskip(SKIP_1) | instid1(VALU_DEP_1)
	v_pk_add_f32 v[156:157], v[156:157], v[18:19] neg_lo:[0,1] neg_hi:[0,1]
	v_pk_mul_f32 v[18:19], v[30:31], v[14:15] op_sel:[0,1]
	v_pk_fma_f32 v[28:29], v[30:31], v[12:13], v[18:19] op_sel:[0,0,1] op_sel_hi:[1,1,0] neg_lo:[0,0,1] neg_hi:[0,0,1]
	v_pk_fma_f32 v[18:19], v[30:31], v[12:13], v[18:19] op_sel:[0,0,1] op_sel_hi:[1,0,0]
	s_delay_alu instid0(VALU_DEP_1) | instskip(NEXT) | instid1(VALU_DEP_1)
	v_mov_b32_e32 v29, v19
	v_pk_add_f32 v[178:179], v[178:179], v[28:29] neg_lo:[0,1] neg_hi:[0,1]
	ds_load_2addr_b64 v[28:31], v222 offset0:41 offset1:42
	s_wait_dscnt 0x0
	v_pk_mul_f32 v[18:19], v[28:29], v[14:15] op_sel:[0,1]
	s_delay_alu instid0(VALU_DEP_1) | instskip(SKIP_1) | instid1(VALU_DEP_1)
	v_pk_fma_f32 v[34:35], v[28:29], v[12:13], v[18:19] op_sel:[0,0,1] op_sel_hi:[1,1,0] neg_lo:[0,0,1] neg_hi:[0,0,1]
	v_pk_fma_f32 v[18:19], v[28:29], v[12:13], v[18:19] op_sel:[0,0,1] op_sel_hi:[1,0,0]
	v_mov_b32_e32 v35, v19
	v_pk_mul_f32 v[18:19], v[30:31], v[14:15] op_sel:[0,1]
	s_delay_alu instid0(VALU_DEP_2) | instskip(NEXT) | instid1(VALU_DEP_2)
	v_pk_add_f32 v[174:175], v[174:175], v[34:35] neg_lo:[0,1] neg_hi:[0,1]
	v_pk_fma_f32 v[28:29], v[30:31], v[12:13], v[18:19] op_sel:[0,0,1] op_sel_hi:[1,1,0] neg_lo:[0,0,1] neg_hi:[0,0,1]
	v_pk_fma_f32 v[18:19], v[30:31], v[12:13], v[18:19] op_sel:[0,0,1] op_sel_hi:[1,0,0]
	s_delay_alu instid0(VALU_DEP_1) | instskip(NEXT) | instid1(VALU_DEP_1)
	v_mov_b32_e32 v29, v19
	v_pk_add_f32 v[176:177], v[176:177], v[28:29] neg_lo:[0,1] neg_hi:[0,1]
	ds_load_2addr_b64 v[28:31], v222 offset0:43 offset1:44
	s_wait_dscnt 0x0
	v_pk_mul_f32 v[18:19], v[28:29], v[14:15] op_sel:[0,1]
	s_delay_alu instid0(VALU_DEP_1) | instskip(SKIP_2) | instid1(VALU_DEP_2)
	v_pk_fma_f32 v[34:35], v[28:29], v[12:13], v[18:19] op_sel:[0,0,1] op_sel_hi:[1,1,0] neg_lo:[0,0,1] neg_hi:[0,0,1]
	v_pk_fma_f32 v[18:19], v[28:29], v[12:13], v[18:19] op_sel:[0,0,1] op_sel_hi:[1,0,0]
	v_dual_mul_f32 v28, v31, v15 :: v_dual_mov_b32 v18, v31
	v_dual_mov_b32 v35, v19 :: v_dual_mov_b32 v19, v30
	s_delay_alu instid0(VALU_DEP_2) | instskip(SKIP_1) | instid1(VALU_DEP_3)
	v_pk_fma_f32 v[28:29], v[30:31], v[40:41], v[28:29] op_sel_hi:[1,1,0] neg_lo:[0,0,1] neg_hi:[0,0,1]
	v_mul_f32_e32 v30, v31, v12
	v_pk_add_f32 v[172:173], v[172:173], v[34:35] neg_lo:[0,1] neg_hi:[0,1]
	s_delay_alu instid0(VALU_DEP_2) | instskip(NEXT) | instid1(VALU_DEP_1)
	v_pk_fma_f32 v[18:19], v[18:19], v[40:41], v[30:31] op_sel_hi:[1,1,0]
	v_mov_b32_e32 v29, v19
	s_delay_alu instid0(VALU_DEP_1) | instskip(SKIP_3) | instid1(VALU_DEP_1)
	v_pk_add_f32 v[194:195], v[194:195], v[28:29] neg_lo:[0,1] neg_hi:[0,1]
	ds_load_2addr_b64 v[28:31], v222 offset0:45 offset1:46
	s_wait_dscnt 0x0
	v_pk_mul_f32 v[18:19], v[28:29], v[14:15] op_sel:[0,1]
	v_pk_fma_f32 v[34:35], v[28:29], v[12:13], v[18:19] op_sel:[0,0,1] op_sel_hi:[1,1,0] neg_lo:[0,0,1] neg_hi:[0,0,1]
	v_pk_fma_f32 v[18:19], v[28:29], v[12:13], v[18:19] op_sel:[0,0,1] op_sel_hi:[1,0,0]
	s_delay_alu instid0(VALU_DEP_1) | instskip(SKIP_1) | instid1(VALU_DEP_2)
	v_mov_b32_e32 v35, v19
	v_pk_mul_f32 v[18:19], v[30:31], v[14:15] op_sel:[0,1]
	v_pk_add_f32 v[190:191], v[190:191], v[34:35] neg_lo:[0,1] neg_hi:[0,1]
	s_delay_alu instid0(VALU_DEP_2) | instskip(SKIP_1) | instid1(VALU_DEP_1)
	v_pk_fma_f32 v[28:29], v[30:31], v[12:13], v[18:19] op_sel:[0,0,1] op_sel_hi:[1,1,0] neg_lo:[0,0,1] neg_hi:[0,0,1]
	v_pk_fma_f32 v[18:19], v[30:31], v[12:13], v[18:19] op_sel:[0,0,1] op_sel_hi:[1,0,0]
	v_mov_b32_e32 v29, v19
	s_delay_alu instid0(VALU_DEP_1) | instskip(SKIP_3) | instid1(VALU_DEP_1)
	v_pk_add_f32 v[192:193], v[192:193], v[28:29] neg_lo:[0,1] neg_hi:[0,1]
	ds_load_2addr_b64 v[28:31], v222 offset0:47 offset1:48
	s_wait_dscnt 0x0
	v_pk_mul_f32 v[18:19], v[28:29], v[14:15] op_sel:[0,1]
	v_pk_fma_f32 v[34:35], v[28:29], v[12:13], v[18:19] op_sel:[0,0,1] op_sel_hi:[1,1,0] neg_lo:[0,0,1] neg_hi:[0,0,1]
	v_pk_fma_f32 v[18:19], v[28:29], v[12:13], v[18:19] op_sel:[0,0,1] op_sel_hi:[1,0,0]
	s_delay_alu instid0(VALU_DEP_1) | instskip(SKIP_1) | instid1(VALU_DEP_2)
	v_mov_b32_e32 v35, v19
	v_pk_mul_f32 v[18:19], v[30:31], v[14:15] op_sel:[0,1]
	v_pk_add_f32 v[188:189], v[188:189], v[34:35] neg_lo:[0,1] neg_hi:[0,1]
	s_delay_alu instid0(VALU_DEP_2) | instskip(SKIP_1) | instid1(VALU_DEP_1)
	v_pk_fma_f32 v[28:29], v[30:31], v[12:13], v[18:19] op_sel:[0,0,1] op_sel_hi:[1,1,0] neg_lo:[0,0,1] neg_hi:[0,0,1]
	v_pk_fma_f32 v[18:19], v[30:31], v[12:13], v[18:19] op_sel:[0,0,1] op_sel_hi:[1,0,0]
	v_mov_b32_e32 v29, v19
	s_delay_alu instid0(VALU_DEP_1) | instskip(SKIP_3) | instid1(VALU_DEP_1)
	v_pk_add_f32 v[216:217], v[216:217], v[28:29] neg_lo:[0,1] neg_hi:[0,1]
	ds_load_2addr_b64 v[28:31], v222 offset0:49 offset1:50
	s_wait_dscnt 0x0
	v_dual_mul_f32 v18, v29, v15 :: v_dual_mul_f32 v34, v29, v12
	v_pk_fma_f32 v[18:19], v[28:29], v[40:41], v[18:19] op_sel_hi:[1,1,0] neg_lo:[0,0,1] neg_hi:[0,0,1]
	s_delay_alu instid0(VALU_DEP_2) | instskip(NEXT) | instid1(VALU_DEP_1)
	v_pk_fma_f32 v[28:29], v[28:29], v[40:41], v[34:35] op_sel:[1,0,0] op_sel_hi:[0,1,0]
	v_mov_b32_e32 v19, v29
	s_delay_alu instid0(VALU_DEP_1) | instskip(SKIP_1) | instid1(VALU_DEP_1)
	v_pk_add_f32 v[212:213], v[212:213], v[18:19] neg_lo:[0,1] neg_hi:[0,1]
	v_pk_mul_f32 v[18:19], v[30:31], v[14:15] op_sel:[0,1]
	v_pk_fma_f32 v[28:29], v[30:31], v[12:13], v[18:19] op_sel:[0,0,1] op_sel_hi:[1,1,0] neg_lo:[0,0,1] neg_hi:[0,0,1]
	v_pk_fma_f32 v[18:19], v[30:31], v[12:13], v[18:19] op_sel:[0,0,1] op_sel_hi:[1,0,0]
	s_delay_alu instid0(VALU_DEP_1) | instskip(NEXT) | instid1(VALU_DEP_1)
	v_mov_b32_e32 v29, v19
	v_pk_add_f32 v[214:215], v[214:215], v[28:29] neg_lo:[0,1] neg_hi:[0,1]
	ds_load_2addr_b64 v[28:31], v222 offset0:51 offset1:52
	s_wait_dscnt 0x0
	v_pk_mul_f32 v[18:19], v[28:29], v[14:15] op_sel:[0,1]
	s_delay_alu instid0(VALU_DEP_1) | instskip(SKIP_1) | instid1(VALU_DEP_1)
	v_pk_fma_f32 v[34:35], v[28:29], v[12:13], v[18:19] op_sel:[0,0,1] op_sel_hi:[1,1,0] neg_lo:[0,0,1] neg_hi:[0,0,1]
	v_pk_fma_f32 v[18:19], v[28:29], v[12:13], v[18:19] op_sel:[0,0,1] op_sel_hi:[1,0,0]
	v_mov_b32_e32 v35, v19
	v_pk_mul_f32 v[18:19], v[30:31], v[14:15] op_sel:[0,1]
	s_delay_alu instid0(VALU_DEP_2) | instskip(NEXT) | instid1(VALU_DEP_2)
	v_pk_add_f32 v[210:211], v[210:211], v[34:35] neg_lo:[0,1] neg_hi:[0,1]
	v_pk_fma_f32 v[28:29], v[30:31], v[12:13], v[18:19] op_sel:[0,0,1] op_sel_hi:[1,1,0] neg_lo:[0,0,1] neg_hi:[0,0,1]
	v_pk_fma_f32 v[18:19], v[30:31], v[12:13], v[18:19] op_sel:[0,0,1] op_sel_hi:[1,0,0]
	s_delay_alu instid0(VALU_DEP_1) | instskip(NEXT) | instid1(VALU_DEP_1)
	v_mov_b32_e32 v29, v19
	v_pk_add_f32 v[240:241], v[240:241], v[28:29] neg_lo:[0,1] neg_hi:[0,1]
	ds_load_2addr_b64 v[28:31], v222 offset0:53 offset1:54
	s_wait_dscnt 0x0
	v_pk_mul_f32 v[18:19], v[28:29], v[14:15] op_sel:[0,1]
	s_delay_alu instid0(VALU_DEP_1) | instskip(SKIP_2) | instid1(VALU_DEP_2)
	v_pk_fma_f32 v[34:35], v[28:29], v[12:13], v[18:19] op_sel:[0,0,1] op_sel_hi:[1,1,0] neg_lo:[0,0,1] neg_hi:[0,0,1]
	v_pk_fma_f32 v[18:19], v[28:29], v[12:13], v[18:19] op_sel:[0,0,1] op_sel_hi:[1,0,0]
	v_dual_mul_f32 v28, v31, v15 :: v_dual_mov_b32 v18, v31
	v_dual_mov_b32 v35, v19 :: v_dual_mov_b32 v19, v30
	s_delay_alu instid0(VALU_DEP_2) | instskip(SKIP_1) | instid1(VALU_DEP_3)
	v_pk_fma_f32 v[28:29], v[30:31], v[40:41], v[28:29] op_sel_hi:[1,1,0] neg_lo:[0,0,1] neg_hi:[0,0,1]
	v_mul_f32_e32 v30, v31, v12
	v_pk_add_f32 v[232:233], v[232:233], v[34:35] neg_lo:[0,1] neg_hi:[0,1]
	s_delay_alu instid0(VALU_DEP_2) | instskip(NEXT) | instid1(VALU_DEP_1)
	v_pk_fma_f32 v[18:19], v[18:19], v[40:41], v[30:31] op_sel_hi:[1,1,0]
	v_mov_b32_e32 v29, v19
	s_delay_alu instid0(VALU_DEP_1) | instskip(SKIP_3) | instid1(VALU_DEP_1)
	v_pk_add_f32 v[238:239], v[238:239], v[28:29] neg_lo:[0,1] neg_hi:[0,1]
	ds_load_2addr_b64 v[28:31], v222 offset0:55 offset1:56
	s_wait_dscnt 0x0
	v_pk_mul_f32 v[18:19], v[28:29], v[14:15] op_sel:[0,1]
	v_pk_fma_f32 v[34:35], v[28:29], v[12:13], v[18:19] op_sel:[0,0,1] op_sel_hi:[1,1,0] neg_lo:[0,0,1] neg_hi:[0,0,1]
	v_pk_fma_f32 v[18:19], v[28:29], v[12:13], v[18:19] op_sel:[0,0,1] op_sel_hi:[1,0,0]
	s_delay_alu instid0(VALU_DEP_1) | instskip(SKIP_1) | instid1(VALU_DEP_2)
	v_mov_b32_e32 v35, v19
	v_pk_mul_f32 v[18:19], v[30:31], v[14:15] op_sel:[0,1]
	v_pk_add_f32 v[230:231], v[230:231], v[34:35] neg_lo:[0,1] neg_hi:[0,1]
	s_delay_alu instid0(VALU_DEP_2) | instskip(SKIP_1) | instid1(VALU_DEP_1)
	v_pk_fma_f32 v[28:29], v[30:31], v[12:13], v[18:19] op_sel:[0,0,1] op_sel_hi:[1,1,0] neg_lo:[0,0,1] neg_hi:[0,0,1]
	v_pk_fma_f32 v[18:19], v[30:31], v[12:13], v[18:19] op_sel:[0,0,1] op_sel_hi:[1,0,0]
	v_mov_b32_e32 v29, v19
	s_delay_alu instid0(VALU_DEP_1) | instskip(SKIP_3) | instid1(VALU_DEP_1)
	v_pk_add_f32 v[236:237], v[236:237], v[28:29] neg_lo:[0,1] neg_hi:[0,1]
	ds_load_2addr_b64 v[28:31], v222 offset0:57 offset1:58
	s_wait_dscnt 0x0
	v_pk_mul_f32 v[18:19], v[28:29], v[14:15] op_sel:[0,1]
	v_pk_fma_f32 v[34:35], v[28:29], v[12:13], v[18:19] op_sel:[0,0,1] op_sel_hi:[1,1,0] neg_lo:[0,0,1] neg_hi:[0,0,1]
	v_pk_fma_f32 v[18:19], v[28:29], v[12:13], v[18:19] op_sel:[0,0,1] op_sel_hi:[1,0,0]
	s_delay_alu instid0(VALU_DEP_1) | instskip(SKIP_1) | instid1(VALU_DEP_2)
	v_mov_b32_e32 v35, v19
	v_pk_mul_f32 v[18:19], v[30:31], v[14:15] op_sel:[0,1]
	v_pk_add_f32 v[228:229], v[228:229], v[34:35] neg_lo:[0,1] neg_hi:[0,1]
	s_delay_alu instid0(VALU_DEP_2) | instskip(SKIP_1) | instid1(VALU_DEP_1)
	v_pk_fma_f32 v[28:29], v[30:31], v[12:13], v[18:19] op_sel:[0,0,1] op_sel_hi:[1,1,0] neg_lo:[0,0,1] neg_hi:[0,0,1]
	v_pk_fma_f32 v[18:19], v[30:31], v[12:13], v[18:19] op_sel:[0,0,1] op_sel_hi:[1,0,0]
	v_mov_b32_e32 v29, v19
	s_delay_alu instid0(VALU_DEP_1) | instskip(SKIP_4) | instid1(VALU_DEP_2)
	v_pk_add_f32 v[234:235], v[234:235], v[28:29] neg_lo:[0,1] neg_hi:[0,1]
	ds_load_2addr_b64 v[28:31], v222 offset0:59 offset1:60
	s_wait_dscnt 0x0
	v_dual_mul_f32 v18, v29, v15 :: v_dual_mul_f32 v34, v29, v12
	v_pk_mul_f32 v[14:15], v[30:31], v[14:15] op_sel:[0,1]
	v_pk_fma_f32 v[18:19], v[28:29], v[40:41], v[18:19] op_sel_hi:[1,1,0] neg_lo:[0,0,1] neg_hi:[0,0,1]
	s_delay_alu instid0(VALU_DEP_3) | instskip(NEXT) | instid1(VALU_DEP_1)
	v_pk_fma_f32 v[28:29], v[28:29], v[40:41], v[34:35] op_sel:[1,0,0] op_sel_hi:[0,1,0]
	v_mov_b32_e32 v19, v29
	s_delay_alu instid0(VALU_DEP_1) | instskip(SKIP_2) | instid1(VALU_DEP_1)
	v_pk_add_f32 v[242:243], v[242:243], v[18:19] neg_lo:[0,1] neg_hi:[0,1]
	v_pk_fma_f32 v[18:19], v[30:31], v[12:13], v[14:15] op_sel:[0,0,1] op_sel_hi:[1,1,0] neg_lo:[0,0,1] neg_hi:[0,0,1]
	v_pk_fma_f32 v[12:13], v[30:31], v[12:13], v[14:15] op_sel:[0,0,1] op_sel_hi:[1,0,0]
	v_mov_b32_e32 v19, v13
	s_delay_alu instid0(VALU_DEP_1)
	v_pk_add_f32 v[244:245], v[244:245], v[18:19] neg_lo:[0,1] neg_hi:[0,1]
.LBB121_100:
	s_or_b32 exec_lo, exec_lo, s1
	s_delay_alu instid0(SALU_CYCLE_1)
	s_mov_b32 s2, exec_lo
	s_wait_dscnt 0x0
	s_barrier_signal -1
	s_barrier_wait -1
	v_cmpx_eq_u32_e32 11, v220
	s_cbranch_execz .LBB121_107
; %bb.101:
	v_dual_mov_b32 v12, v66 :: v_dual_mov_b32 v13, v67
	v_dual_mov_b32 v14, v62 :: v_dual_mov_b32 v15, v63
	ds_store_b64 v221, v[36:37]
	ds_store_2addr_b64 v222, v[12:13], v[14:15] offset0:12 offset1:13
	v_dual_mov_b32 v12, v64 :: v_dual_mov_b32 v13, v65
	v_dual_mov_b32 v14, v60 :: v_dual_mov_b32 v15, v61
	ds_store_2addr_b64 v222, v[12:13], v[14:15] offset0:14 offset1:15
	v_dual_mov_b32 v12, v82 :: v_dual_mov_b32 v13, v83
	v_dual_mov_b32 v14, v78 :: v_dual_mov_b32 v15, v79
	;; [unrolled: 3-line block ×23, first 2 shown]
	ds_store_2addr_b64 v222, v[12:13], v[14:15] offset0:58 offset1:59
	ds_store_b64 v222, v[244:245] offset:480
	ds_load_b64 v[12:13], v221
	s_wait_dscnt 0x0
	v_cmp_neq_f32_e32 vcc_lo, 0, v12
	v_cmp_neq_f32_e64 s1, 0, v13
	s_or_b32 s1, vcc_lo, s1
	s_delay_alu instid0(SALU_CYCLE_1)
	s_and_b32 exec_lo, exec_lo, s1
	s_cbranch_execz .LBB121_107
; %bb.102:
	v_cmp_ngt_f32_e64 s1, |v12|, |v13|
                                        ; implicit-def: $vgpr14_vgpr15
	s_and_saveexec_b32 s4, s1
	s_delay_alu instid0(SALU_CYCLE_1)
	s_xor_b32 s1, exec_lo, s4
	s_cbranch_execz .LBB121_104
; %bb.103:
	v_div_scale_f32 v14, null, v13, v13, v12
	v_div_scale_f32 v19, vcc_lo, v12, v13, v12
	s_delay_alu instid0(VALU_DEP_2) | instskip(SKIP_1) | instid1(TRANS32_DEP_1)
	v_rcp_f32_e32 v15, v14
	v_nop
	v_fma_f32 v18, -v14, v15, 1.0
	s_delay_alu instid0(VALU_DEP_1) | instskip(NEXT) | instid1(VALU_DEP_1)
	v_fmac_f32_e32 v15, v18, v15
	v_mul_f32_e32 v18, v19, v15
	s_delay_alu instid0(VALU_DEP_1) | instskip(NEXT) | instid1(VALU_DEP_1)
	v_fma_f32 v28, -v14, v18, v19
	v_fmac_f32_e32 v18, v28, v15
	s_delay_alu instid0(VALU_DEP_1) | instskip(NEXT) | instid1(VALU_DEP_1)
	v_fma_f32 v14, -v14, v18, v19
	v_div_fmas_f32 v14, v14, v15, v18
	s_delay_alu instid0(VALU_DEP_1) | instskip(NEXT) | instid1(VALU_DEP_1)
	v_div_fixup_f32 v14, v14, v13, v12
	v_fmac_f32_e32 v13, v12, v14
	s_delay_alu instid0(VALU_DEP_1) | instskip(SKIP_1) | instid1(VALU_DEP_2)
	v_div_scale_f32 v12, null, v13, v13, 1.0
	v_div_scale_f32 v19, vcc_lo, 1.0, v13, 1.0
	v_rcp_f32_e32 v15, v12
	v_nop
	s_delay_alu instid0(TRANS32_DEP_1) | instskip(NEXT) | instid1(VALU_DEP_1)
	v_fma_f32 v18, -v12, v15, 1.0
	v_fmac_f32_e32 v15, v18, v15
	s_delay_alu instid0(VALU_DEP_1) | instskip(NEXT) | instid1(VALU_DEP_1)
	v_mul_f32_e32 v18, v19, v15
	v_fma_f32 v28, -v12, v18, v19
	s_delay_alu instid0(VALU_DEP_1) | instskip(NEXT) | instid1(VALU_DEP_1)
	v_fmac_f32_e32 v18, v28, v15
	v_fma_f32 v12, -v12, v18, v19
	s_delay_alu instid0(VALU_DEP_1) | instskip(NEXT) | instid1(VALU_DEP_1)
	v_div_fmas_f32 v12, v12, v15, v18
	v_div_fixup_f32 v12, v12, v13, 1.0
	s_delay_alu instid0(VALU_DEP_1)
	v_mul_f32_e32 v14, v14, v12
	v_xor_b32_e32 v15, 0x80000000, v12
                                        ; implicit-def: $vgpr12_vgpr13
.LBB121_104:
	s_and_not1_saveexec_b32 s1, s1
	s_cbranch_execz .LBB121_106
; %bb.105:
	v_div_scale_f32 v14, null, v12, v12, v13
	v_div_scale_f32 v19, vcc_lo, v13, v12, v13
	s_delay_alu instid0(VALU_DEP_2) | instskip(SKIP_1) | instid1(TRANS32_DEP_1)
	v_rcp_f32_e32 v15, v14
	v_nop
	v_fma_f32 v18, -v14, v15, 1.0
	s_delay_alu instid0(VALU_DEP_1) | instskip(NEXT) | instid1(VALU_DEP_1)
	v_fmac_f32_e32 v15, v18, v15
	v_mul_f32_e32 v18, v19, v15
	s_delay_alu instid0(VALU_DEP_1) | instskip(NEXT) | instid1(VALU_DEP_1)
	v_fma_f32 v28, -v14, v18, v19
	v_fmac_f32_e32 v18, v28, v15
	s_delay_alu instid0(VALU_DEP_1) | instskip(NEXT) | instid1(VALU_DEP_1)
	v_fma_f32 v14, -v14, v18, v19
	v_div_fmas_f32 v14, v14, v15, v18
	s_delay_alu instid0(VALU_DEP_1) | instskip(NEXT) | instid1(VALU_DEP_1)
	v_div_fixup_f32 v15, v14, v12, v13
	v_fmac_f32_e32 v12, v13, v15
	s_delay_alu instid0(VALU_DEP_1) | instskip(NEXT) | instid1(VALU_DEP_1)
	v_div_scale_f32 v13, null, v12, v12, 1.0
	v_rcp_f32_e32 v14, v13
	v_nop
	s_delay_alu instid0(TRANS32_DEP_1) | instskip(NEXT) | instid1(VALU_DEP_1)
	v_fma_f32 v18, -v13, v14, 1.0
	v_fmac_f32_e32 v14, v18, v14
	v_div_scale_f32 v18, vcc_lo, 1.0, v12, 1.0
	s_delay_alu instid0(VALU_DEP_1) | instskip(NEXT) | instid1(VALU_DEP_1)
	v_mul_f32_e32 v19, v18, v14
	v_fma_f32 v28, -v13, v19, v18
	s_delay_alu instid0(VALU_DEP_1) | instskip(NEXT) | instid1(VALU_DEP_1)
	v_fmac_f32_e32 v19, v28, v14
	v_fma_f32 v13, -v13, v19, v18
	s_delay_alu instid0(VALU_DEP_1) | instskip(NEXT) | instid1(VALU_DEP_1)
	v_div_fmas_f32 v13, v13, v14, v19
	v_div_fixup_f32 v14, v13, v12, 1.0
	s_delay_alu instid0(VALU_DEP_1)
	v_mul_f32_e64 v15, v15, -v14
.LBB121_106:
	s_or_b32 exec_lo, exec_lo, s1
	ds_store_b64 v221, v[14:15]
.LBB121_107:
	s_or_b32 exec_lo, exec_lo, s2
	s_wait_dscnt 0x0
	s_barrier_signal -1
	s_barrier_wait -1
	ds_load_b64 v[12:13], v221
	s_mov_b32 s1, exec_lo
	v_cmpx_lt_u32_e32 11, v220
	s_cbranch_execz .LBB121_109
; %bb.108:
	ds_load_2addr_b64 v[28:31], v222 offset0:12 offset1:13
	s_wait_dscnt 0x1
	v_pk_mul_f32 v[18:19], v[12:13], v[36:37] op_sel:[1,1] op_sel_hi:[0,1]
	s_delay_alu instid0(VALU_DEP_1) | instskip(SKIP_1) | instid1(VALU_DEP_1)
	v_pk_fma_f32 v[14:15], v[12:13], v[36:37], v[18:19] op_sel_hi:[1,0,1] neg_lo:[0,0,1] neg_hi:[0,0,1]
	v_pk_fma_f32 v[18:19], v[12:13], v[36:37], v[18:19] op_sel_hi:[1,0,1]
	v_dual_mov_b32 v36, v14 :: v_dual_mov_b32 v37, v19
	s_wait_dscnt 0x0
	s_delay_alu instid0(VALU_DEP_2) | instskip(NEXT) | instid1(VALU_DEP_1)
	v_pk_mul_f32 v[34:35], v[28:29], v[18:19] op_sel:[0,1]
	v_pk_fma_f32 v[44:45], v[28:29], v[14:15], v[34:35] op_sel:[0,0,1] op_sel_hi:[1,1,0] neg_lo:[0,0,1] neg_hi:[0,0,1]
	v_pk_fma_f32 v[28:29], v[28:29], v[14:15], v[34:35] op_sel:[0,0,1] op_sel_hi:[1,0,0]
	s_delay_alu instid0(VALU_DEP_1) | instskip(SKIP_1) | instid1(VALU_DEP_1)
	v_mov_b32_e32 v45, v29
	v_pk_mul_f32 v[28:29], v[30:31], v[18:19] op_sel:[0,1]
	v_pk_fma_f32 v[34:35], v[30:31], v[14:15], v[28:29] op_sel:[0,0,1] op_sel_hi:[1,1,0] neg_lo:[0,0,1] neg_hi:[0,0,1]
	v_pk_fma_f32 v[28:29], v[30:31], v[14:15], v[28:29] op_sel:[0,0,1] op_sel_hi:[1,0,0]
	s_delay_alu instid0(VALU_DEP_1)
	v_mov_b32_e32 v35, v29
	ds_load_2addr_b64 v[28:31], v222 offset0:14 offset1:15
	v_pk_add_f32 v[66:67], v[66:67], v[44:45] neg_lo:[0,1] neg_hi:[0,1]
	v_pk_add_f32 v[62:63], v[62:63], v[34:35] neg_lo:[0,1] neg_hi:[0,1]
	s_wait_dscnt 0x0
	v_pk_mul_f32 v[34:35], v[28:29], v[18:19] op_sel:[0,1]
	s_delay_alu instid0(VALU_DEP_1) | instskip(SKIP_2) | instid1(VALU_DEP_2)
	v_pk_fma_f32 v[44:45], v[28:29], v[14:15], v[34:35] op_sel:[0,0,1] op_sel_hi:[1,1,0] neg_lo:[0,0,1] neg_hi:[0,0,1]
	v_pk_fma_f32 v[28:29], v[28:29], v[14:15], v[34:35] op_sel:[0,0,1] op_sel_hi:[1,0,0]
	v_dual_mul_f32 v34, v31, v19 :: v_dual_mov_b32 v28, v31
	v_dual_mov_b32 v45, v29 :: v_dual_mov_b32 v29, v30
	s_delay_alu instid0(VALU_DEP_2) | instskip(SKIP_1) | instid1(VALU_DEP_3)
	v_pk_fma_f32 v[34:35], v[30:31], v[36:37], v[34:35] op_sel_hi:[1,1,0] neg_lo:[0,0,1] neg_hi:[0,0,1]
	v_mul_f32_e32 v30, v31, v14
	v_pk_add_f32 v[64:65], v[64:65], v[44:45] neg_lo:[0,1] neg_hi:[0,1]
	s_delay_alu instid0(VALU_DEP_2) | instskip(NEXT) | instid1(VALU_DEP_1)
	v_pk_fma_f32 v[28:29], v[28:29], v[36:37], v[30:31] op_sel_hi:[1,1,0]
	v_mov_b32_e32 v35, v29
	ds_load_2addr_b64 v[28:31], v222 offset0:16 offset1:17
	v_pk_add_f32 v[60:61], v[60:61], v[34:35] neg_lo:[0,1] neg_hi:[0,1]
	s_wait_dscnt 0x0
	v_pk_mul_f32 v[34:35], v[28:29], v[18:19] op_sel:[0,1]
	s_delay_alu instid0(VALU_DEP_1) | instskip(SKIP_1) | instid1(VALU_DEP_1)
	v_pk_fma_f32 v[44:45], v[28:29], v[14:15], v[34:35] op_sel:[0,0,1] op_sel_hi:[1,1,0] neg_lo:[0,0,1] neg_hi:[0,0,1]
	v_pk_fma_f32 v[28:29], v[28:29], v[14:15], v[34:35] op_sel:[0,0,1] op_sel_hi:[1,0,0]
	v_mov_b32_e32 v45, v29
	v_pk_mul_f32 v[28:29], v[30:31], v[18:19] op_sel:[0,1]
	s_delay_alu instid0(VALU_DEP_1) | instskip(SKIP_1) | instid1(VALU_DEP_1)
	v_pk_fma_f32 v[34:35], v[30:31], v[14:15], v[28:29] op_sel:[0,0,1] op_sel_hi:[1,1,0] neg_lo:[0,0,1] neg_hi:[0,0,1]
	v_pk_fma_f32 v[28:29], v[30:31], v[14:15], v[28:29] op_sel:[0,0,1] op_sel_hi:[1,0,0]
	v_mov_b32_e32 v35, v29
	ds_load_2addr_b64 v[28:31], v222 offset0:18 offset1:19
	v_pk_add_f32 v[82:83], v[82:83], v[44:45] neg_lo:[0,1] neg_hi:[0,1]
	v_pk_add_f32 v[78:79], v[78:79], v[34:35] neg_lo:[0,1] neg_hi:[0,1]
	s_wait_dscnt 0x0
	v_pk_mul_f32 v[34:35], v[28:29], v[18:19] op_sel:[0,1]
	s_delay_alu instid0(VALU_DEP_1) | instskip(SKIP_1) | instid1(VALU_DEP_1)
	v_pk_fma_f32 v[44:45], v[28:29], v[14:15], v[34:35] op_sel:[0,0,1] op_sel_hi:[1,1,0] neg_lo:[0,0,1] neg_hi:[0,0,1]
	v_pk_fma_f32 v[28:29], v[28:29], v[14:15], v[34:35] op_sel:[0,0,1] op_sel_hi:[1,0,0]
	v_mov_b32_e32 v45, v29
	v_pk_mul_f32 v[28:29], v[30:31], v[18:19] op_sel:[0,1]
	s_delay_alu instid0(VALU_DEP_1) | instskip(SKIP_1) | instid1(VALU_DEP_1)
	v_pk_fma_f32 v[34:35], v[30:31], v[14:15], v[28:29] op_sel:[0,0,1] op_sel_hi:[1,1,0] neg_lo:[0,0,1] neg_hi:[0,0,1]
	v_pk_fma_f32 v[28:29], v[30:31], v[14:15], v[28:29] op_sel:[0,0,1] op_sel_hi:[1,0,0]
	v_mov_b32_e32 v35, v29
	ds_load_2addr_b64 v[28:31], v222 offset0:20 offset1:21
	v_pk_add_f32 v[80:81], v[80:81], v[44:45] neg_lo:[0,1] neg_hi:[0,1]
	v_pk_add_f32 v[76:77], v[76:77], v[34:35] neg_lo:[0,1] neg_hi:[0,1]
	s_wait_dscnt 0x0
	v_dual_mul_f32 v34, v29, v19 :: v_dual_mul_f32 v44, v29, v14
	s_delay_alu instid0(VALU_DEP_1) | instskip(NEXT) | instid1(VALU_DEP_2)
	v_pk_fma_f32 v[34:35], v[28:29], v[36:37], v[34:35] op_sel_hi:[1,1,0] neg_lo:[0,0,1] neg_hi:[0,0,1]
	v_pk_fma_f32 v[28:29], v[28:29], v[36:37], v[44:45] op_sel:[1,0,0] op_sel_hi:[0,1,0]
	s_delay_alu instid0(VALU_DEP_1) | instskip(SKIP_1) | instid1(VALU_DEP_2)
	v_mov_b32_e32 v35, v29
	v_pk_mul_f32 v[28:29], v[30:31], v[18:19] op_sel:[0,1]
	v_pk_add_f32 v[98:99], v[98:99], v[34:35] neg_lo:[0,1] neg_hi:[0,1]
	s_delay_alu instid0(VALU_DEP_2) | instskip(SKIP_1) | instid1(VALU_DEP_1)
	v_pk_fma_f32 v[34:35], v[30:31], v[14:15], v[28:29] op_sel:[0,0,1] op_sel_hi:[1,1,0] neg_lo:[0,0,1] neg_hi:[0,0,1]
	v_pk_fma_f32 v[28:29], v[30:31], v[14:15], v[28:29] op_sel:[0,0,1] op_sel_hi:[1,0,0]
	v_mov_b32_e32 v35, v29
	ds_load_2addr_b64 v[28:31], v222 offset0:22 offset1:23
	v_pk_add_f32 v[94:95], v[94:95], v[34:35] neg_lo:[0,1] neg_hi:[0,1]
	s_wait_dscnt 0x0
	v_pk_mul_f32 v[34:35], v[28:29], v[18:19] op_sel:[0,1]
	s_delay_alu instid0(VALU_DEP_1) | instskip(SKIP_1) | instid1(VALU_DEP_1)
	v_pk_fma_f32 v[44:45], v[28:29], v[14:15], v[34:35] op_sel:[0,0,1] op_sel_hi:[1,1,0] neg_lo:[0,0,1] neg_hi:[0,0,1]
	v_pk_fma_f32 v[28:29], v[28:29], v[14:15], v[34:35] op_sel:[0,0,1] op_sel_hi:[1,0,0]
	v_mov_b32_e32 v45, v29
	v_pk_mul_f32 v[28:29], v[30:31], v[18:19] op_sel:[0,1]
	s_delay_alu instid0(VALU_DEP_2) | instskip(NEXT) | instid1(VALU_DEP_2)
	v_pk_add_f32 v[96:97], v[96:97], v[44:45] neg_lo:[0,1] neg_hi:[0,1]
	v_pk_fma_f32 v[34:35], v[30:31], v[14:15], v[28:29] op_sel:[0,0,1] op_sel_hi:[1,1,0] neg_lo:[0,0,1] neg_hi:[0,0,1]
	v_pk_fma_f32 v[28:29], v[30:31], v[14:15], v[28:29] op_sel:[0,0,1] op_sel_hi:[1,0,0]
	s_delay_alu instid0(VALU_DEP_1) | instskip(SKIP_4) | instid1(VALU_DEP_1)
	v_mov_b32_e32 v35, v29
	ds_load_2addr_b64 v[28:31], v222 offset0:24 offset1:25
	v_pk_add_f32 v[92:93], v[92:93], v[34:35] neg_lo:[0,1] neg_hi:[0,1]
	s_wait_dscnt 0x0
	v_pk_mul_f32 v[34:35], v[28:29], v[18:19] op_sel:[0,1]
	v_pk_fma_f32 v[44:45], v[28:29], v[14:15], v[34:35] op_sel:[0,0,1] op_sel_hi:[1,1,0] neg_lo:[0,0,1] neg_hi:[0,0,1]
	v_pk_fma_f32 v[28:29], v[28:29], v[14:15], v[34:35] op_sel:[0,0,1] op_sel_hi:[1,0,0]
	v_dual_mul_f32 v34, v31, v19 :: v_dual_mov_b32 v28, v31
	s_delay_alu instid0(VALU_DEP_2) | instskip(NEXT) | instid1(VALU_DEP_2)
	v_dual_mov_b32 v45, v29 :: v_dual_mov_b32 v29, v30
	v_pk_fma_f32 v[34:35], v[30:31], v[36:37], v[34:35] op_sel_hi:[1,1,0] neg_lo:[0,0,1] neg_hi:[0,0,1]
	v_mul_f32_e32 v30, v31, v14
	s_delay_alu instid0(VALU_DEP_3) | instskip(NEXT) | instid1(VALU_DEP_2)
	v_pk_add_f32 v[114:115], v[114:115], v[44:45] neg_lo:[0,1] neg_hi:[0,1]
	v_pk_fma_f32 v[28:29], v[28:29], v[36:37], v[30:31] op_sel_hi:[1,1,0]
	s_delay_alu instid0(VALU_DEP_1) | instskip(SKIP_4) | instid1(VALU_DEP_1)
	v_mov_b32_e32 v35, v29
	ds_load_2addr_b64 v[28:31], v222 offset0:26 offset1:27
	v_pk_add_f32 v[110:111], v[110:111], v[34:35] neg_lo:[0,1] neg_hi:[0,1]
	s_wait_dscnt 0x0
	v_pk_mul_f32 v[34:35], v[28:29], v[18:19] op_sel:[0,1]
	v_pk_fma_f32 v[44:45], v[28:29], v[14:15], v[34:35] op_sel:[0,0,1] op_sel_hi:[1,1,0] neg_lo:[0,0,1] neg_hi:[0,0,1]
	v_pk_fma_f32 v[28:29], v[28:29], v[14:15], v[34:35] op_sel:[0,0,1] op_sel_hi:[1,0,0]
	s_delay_alu instid0(VALU_DEP_1) | instskip(SKIP_1) | instid1(VALU_DEP_1)
	v_mov_b32_e32 v45, v29
	v_pk_mul_f32 v[28:29], v[30:31], v[18:19] op_sel:[0,1]
	v_pk_fma_f32 v[34:35], v[30:31], v[14:15], v[28:29] op_sel:[0,0,1] op_sel_hi:[1,1,0] neg_lo:[0,0,1] neg_hi:[0,0,1]
	v_pk_fma_f32 v[28:29], v[30:31], v[14:15], v[28:29] op_sel:[0,0,1] op_sel_hi:[1,0,0]
	s_delay_alu instid0(VALU_DEP_1)
	v_mov_b32_e32 v35, v29
	ds_load_2addr_b64 v[28:31], v222 offset0:28 offset1:29
	v_pk_add_f32 v[112:113], v[112:113], v[44:45] neg_lo:[0,1] neg_hi:[0,1]
	v_pk_add_f32 v[108:109], v[108:109], v[34:35] neg_lo:[0,1] neg_hi:[0,1]
	s_wait_dscnt 0x0
	v_pk_mul_f32 v[34:35], v[28:29], v[18:19] op_sel:[0,1]
	s_delay_alu instid0(VALU_DEP_1) | instskip(SKIP_1) | instid1(VALU_DEP_1)
	v_pk_fma_f32 v[44:45], v[28:29], v[14:15], v[34:35] op_sel:[0,0,1] op_sel_hi:[1,1,0] neg_lo:[0,0,1] neg_hi:[0,0,1]
	v_pk_fma_f32 v[28:29], v[28:29], v[14:15], v[34:35] op_sel:[0,0,1] op_sel_hi:[1,0,0]
	v_mov_b32_e32 v45, v29
	v_pk_mul_f32 v[28:29], v[30:31], v[18:19] op_sel:[0,1]
	s_delay_alu instid0(VALU_DEP_1) | instskip(SKIP_1) | instid1(VALU_DEP_1)
	v_pk_fma_f32 v[34:35], v[30:31], v[14:15], v[28:29] op_sel:[0,0,1] op_sel_hi:[1,1,0] neg_lo:[0,0,1] neg_hi:[0,0,1]
	v_pk_fma_f32 v[28:29], v[30:31], v[14:15], v[28:29] op_sel:[0,0,1] op_sel_hi:[1,0,0]
	v_mov_b32_e32 v35, v29
	ds_load_2addr_b64 v[28:31], v222 offset0:30 offset1:31
	v_pk_add_f32 v[130:131], v[130:131], v[44:45] neg_lo:[0,1] neg_hi:[0,1]
	v_pk_add_f32 v[126:127], v[126:127], v[34:35] neg_lo:[0,1] neg_hi:[0,1]
	s_wait_dscnt 0x0
	v_dual_mul_f32 v34, v29, v19 :: v_dual_mul_f32 v44, v29, v14
	s_delay_alu instid0(VALU_DEP_1) | instskip(NEXT) | instid1(VALU_DEP_2)
	v_pk_fma_f32 v[34:35], v[28:29], v[36:37], v[34:35] op_sel_hi:[1,1,0] neg_lo:[0,0,1] neg_hi:[0,0,1]
	v_pk_fma_f32 v[28:29], v[28:29], v[36:37], v[44:45] op_sel:[1,0,0] op_sel_hi:[0,1,0]
	s_delay_alu instid0(VALU_DEP_1) | instskip(SKIP_1) | instid1(VALU_DEP_2)
	v_mov_b32_e32 v35, v29
	v_pk_mul_f32 v[28:29], v[30:31], v[18:19] op_sel:[0,1]
	v_pk_add_f32 v[128:129], v[128:129], v[34:35] neg_lo:[0,1] neg_hi:[0,1]
	s_delay_alu instid0(VALU_DEP_2) | instskip(SKIP_1) | instid1(VALU_DEP_1)
	v_pk_fma_f32 v[34:35], v[30:31], v[14:15], v[28:29] op_sel:[0,0,1] op_sel_hi:[1,1,0] neg_lo:[0,0,1] neg_hi:[0,0,1]
	v_pk_fma_f32 v[28:29], v[30:31], v[14:15], v[28:29] op_sel:[0,0,1] op_sel_hi:[1,0,0]
	v_mov_b32_e32 v35, v29
	ds_load_2addr_b64 v[28:31], v222 offset0:32 offset1:33
	v_pk_add_f32 v[124:125], v[124:125], v[34:35] neg_lo:[0,1] neg_hi:[0,1]
	s_wait_dscnt 0x0
	v_pk_mul_f32 v[34:35], v[28:29], v[18:19] op_sel:[0,1]
	s_delay_alu instid0(VALU_DEP_1) | instskip(SKIP_1) | instid1(VALU_DEP_1)
	v_pk_fma_f32 v[44:45], v[28:29], v[14:15], v[34:35] op_sel:[0,0,1] op_sel_hi:[1,1,0] neg_lo:[0,0,1] neg_hi:[0,0,1]
	v_pk_fma_f32 v[28:29], v[28:29], v[14:15], v[34:35] op_sel:[0,0,1] op_sel_hi:[1,0,0]
	v_mov_b32_e32 v45, v29
	v_pk_mul_f32 v[28:29], v[30:31], v[18:19] op_sel:[0,1]
	s_delay_alu instid0(VALU_DEP_2) | instskip(NEXT) | instid1(VALU_DEP_2)
	v_pk_add_f32 v[146:147], v[146:147], v[44:45] neg_lo:[0,1] neg_hi:[0,1]
	v_pk_fma_f32 v[34:35], v[30:31], v[14:15], v[28:29] op_sel:[0,0,1] op_sel_hi:[1,1,0] neg_lo:[0,0,1] neg_hi:[0,0,1]
	v_pk_fma_f32 v[28:29], v[30:31], v[14:15], v[28:29] op_sel:[0,0,1] op_sel_hi:[1,0,0]
	s_delay_alu instid0(VALU_DEP_1) | instskip(SKIP_4) | instid1(VALU_DEP_1)
	v_mov_b32_e32 v35, v29
	ds_load_2addr_b64 v[28:31], v222 offset0:34 offset1:35
	v_pk_add_f32 v[142:143], v[142:143], v[34:35] neg_lo:[0,1] neg_hi:[0,1]
	s_wait_dscnt 0x0
	v_pk_mul_f32 v[34:35], v[28:29], v[18:19] op_sel:[0,1]
	v_pk_fma_f32 v[44:45], v[28:29], v[14:15], v[34:35] op_sel:[0,0,1] op_sel_hi:[1,1,0] neg_lo:[0,0,1] neg_hi:[0,0,1]
	v_pk_fma_f32 v[28:29], v[28:29], v[14:15], v[34:35] op_sel:[0,0,1] op_sel_hi:[1,0,0]
	v_dual_mul_f32 v34, v31, v19 :: v_dual_mov_b32 v28, v31
	s_delay_alu instid0(VALU_DEP_2) | instskip(NEXT) | instid1(VALU_DEP_2)
	v_dual_mov_b32 v45, v29 :: v_dual_mov_b32 v29, v30
	v_pk_fma_f32 v[34:35], v[30:31], v[36:37], v[34:35] op_sel_hi:[1,1,0] neg_lo:[0,0,1] neg_hi:[0,0,1]
	v_mul_f32_e32 v30, v31, v14
	s_delay_alu instid0(VALU_DEP_3) | instskip(NEXT) | instid1(VALU_DEP_2)
	v_pk_add_f32 v[144:145], v[144:145], v[44:45] neg_lo:[0,1] neg_hi:[0,1]
	v_pk_fma_f32 v[28:29], v[28:29], v[36:37], v[30:31] op_sel_hi:[1,1,0]
	s_delay_alu instid0(VALU_DEP_1) | instskip(SKIP_4) | instid1(VALU_DEP_1)
	v_mov_b32_e32 v35, v29
	ds_load_2addr_b64 v[28:31], v222 offset0:36 offset1:37
	v_pk_add_f32 v[140:141], v[140:141], v[34:35] neg_lo:[0,1] neg_hi:[0,1]
	s_wait_dscnt 0x0
	v_pk_mul_f32 v[34:35], v[28:29], v[18:19] op_sel:[0,1]
	v_pk_fma_f32 v[44:45], v[28:29], v[14:15], v[34:35] op_sel:[0,0,1] op_sel_hi:[1,1,0] neg_lo:[0,0,1] neg_hi:[0,0,1]
	v_pk_fma_f32 v[28:29], v[28:29], v[14:15], v[34:35] op_sel:[0,0,1] op_sel_hi:[1,0,0]
	s_delay_alu instid0(VALU_DEP_1) | instskip(SKIP_1) | instid1(VALU_DEP_1)
	v_mov_b32_e32 v45, v29
	v_pk_mul_f32 v[28:29], v[30:31], v[18:19] op_sel:[0,1]
	v_pk_fma_f32 v[34:35], v[30:31], v[14:15], v[28:29] op_sel:[0,0,1] op_sel_hi:[1,1,0] neg_lo:[0,0,1] neg_hi:[0,0,1]
	v_pk_fma_f32 v[28:29], v[30:31], v[14:15], v[28:29] op_sel:[0,0,1] op_sel_hi:[1,0,0]
	s_delay_alu instid0(VALU_DEP_1)
	v_mov_b32_e32 v35, v29
	ds_load_2addr_b64 v[28:31], v222 offset0:38 offset1:39
	v_pk_add_f32 v[162:163], v[162:163], v[44:45] neg_lo:[0,1] neg_hi:[0,1]
	v_pk_add_f32 v[158:159], v[158:159], v[34:35] neg_lo:[0,1] neg_hi:[0,1]
	s_wait_dscnt 0x0
	v_pk_mul_f32 v[34:35], v[28:29], v[18:19] op_sel:[0,1]
	s_delay_alu instid0(VALU_DEP_1) | instskip(SKIP_1) | instid1(VALU_DEP_1)
	v_pk_fma_f32 v[44:45], v[28:29], v[14:15], v[34:35] op_sel:[0,0,1] op_sel_hi:[1,1,0] neg_lo:[0,0,1] neg_hi:[0,0,1]
	v_pk_fma_f32 v[28:29], v[28:29], v[14:15], v[34:35] op_sel:[0,0,1] op_sel_hi:[1,0,0]
	v_mov_b32_e32 v45, v29
	v_pk_mul_f32 v[28:29], v[30:31], v[18:19] op_sel:[0,1]
	s_delay_alu instid0(VALU_DEP_1) | instskip(SKIP_1) | instid1(VALU_DEP_1)
	v_pk_fma_f32 v[34:35], v[30:31], v[14:15], v[28:29] op_sel:[0,0,1] op_sel_hi:[1,1,0] neg_lo:[0,0,1] neg_hi:[0,0,1]
	v_pk_fma_f32 v[28:29], v[30:31], v[14:15], v[28:29] op_sel:[0,0,1] op_sel_hi:[1,0,0]
	v_mov_b32_e32 v35, v29
	ds_load_2addr_b64 v[28:31], v222 offset0:40 offset1:41
	v_pk_add_f32 v[160:161], v[160:161], v[44:45] neg_lo:[0,1] neg_hi:[0,1]
	v_pk_add_f32 v[156:157], v[156:157], v[34:35] neg_lo:[0,1] neg_hi:[0,1]
	s_wait_dscnt 0x0
	v_dual_mul_f32 v34, v29, v19 :: v_dual_mul_f32 v44, v29, v14
	s_delay_alu instid0(VALU_DEP_1) | instskip(NEXT) | instid1(VALU_DEP_2)
	v_pk_fma_f32 v[34:35], v[28:29], v[36:37], v[34:35] op_sel_hi:[1,1,0] neg_lo:[0,0,1] neg_hi:[0,0,1]
	v_pk_fma_f32 v[28:29], v[28:29], v[36:37], v[44:45] op_sel:[1,0,0] op_sel_hi:[0,1,0]
	s_delay_alu instid0(VALU_DEP_1) | instskip(SKIP_1) | instid1(VALU_DEP_2)
	v_mov_b32_e32 v35, v29
	v_pk_mul_f32 v[28:29], v[30:31], v[18:19] op_sel:[0,1]
	v_pk_add_f32 v[178:179], v[178:179], v[34:35] neg_lo:[0,1] neg_hi:[0,1]
	s_delay_alu instid0(VALU_DEP_2) | instskip(SKIP_1) | instid1(VALU_DEP_1)
	v_pk_fma_f32 v[34:35], v[30:31], v[14:15], v[28:29] op_sel:[0,0,1] op_sel_hi:[1,1,0] neg_lo:[0,0,1] neg_hi:[0,0,1]
	v_pk_fma_f32 v[28:29], v[30:31], v[14:15], v[28:29] op_sel:[0,0,1] op_sel_hi:[1,0,0]
	v_mov_b32_e32 v35, v29
	ds_load_2addr_b64 v[28:31], v222 offset0:42 offset1:43
	v_pk_add_f32 v[174:175], v[174:175], v[34:35] neg_lo:[0,1] neg_hi:[0,1]
	s_wait_dscnt 0x0
	v_pk_mul_f32 v[34:35], v[28:29], v[18:19] op_sel:[0,1]
	s_delay_alu instid0(VALU_DEP_1) | instskip(SKIP_1) | instid1(VALU_DEP_1)
	v_pk_fma_f32 v[44:45], v[28:29], v[14:15], v[34:35] op_sel:[0,0,1] op_sel_hi:[1,1,0] neg_lo:[0,0,1] neg_hi:[0,0,1]
	v_pk_fma_f32 v[28:29], v[28:29], v[14:15], v[34:35] op_sel:[0,0,1] op_sel_hi:[1,0,0]
	v_mov_b32_e32 v45, v29
	v_pk_mul_f32 v[28:29], v[30:31], v[18:19] op_sel:[0,1]
	s_delay_alu instid0(VALU_DEP_2) | instskip(NEXT) | instid1(VALU_DEP_2)
	v_pk_add_f32 v[176:177], v[176:177], v[44:45] neg_lo:[0,1] neg_hi:[0,1]
	v_pk_fma_f32 v[34:35], v[30:31], v[14:15], v[28:29] op_sel:[0,0,1] op_sel_hi:[1,1,0] neg_lo:[0,0,1] neg_hi:[0,0,1]
	v_pk_fma_f32 v[28:29], v[30:31], v[14:15], v[28:29] op_sel:[0,0,1] op_sel_hi:[1,0,0]
	s_delay_alu instid0(VALU_DEP_1) | instskip(SKIP_4) | instid1(VALU_DEP_1)
	v_mov_b32_e32 v35, v29
	ds_load_2addr_b64 v[28:31], v222 offset0:44 offset1:45
	v_pk_add_f32 v[172:173], v[172:173], v[34:35] neg_lo:[0,1] neg_hi:[0,1]
	s_wait_dscnt 0x0
	v_pk_mul_f32 v[34:35], v[28:29], v[18:19] op_sel:[0,1]
	v_pk_fma_f32 v[44:45], v[28:29], v[14:15], v[34:35] op_sel:[0,0,1] op_sel_hi:[1,1,0] neg_lo:[0,0,1] neg_hi:[0,0,1]
	v_pk_fma_f32 v[28:29], v[28:29], v[14:15], v[34:35] op_sel:[0,0,1] op_sel_hi:[1,0,0]
	v_dual_mul_f32 v34, v31, v19 :: v_dual_mov_b32 v28, v31
	s_delay_alu instid0(VALU_DEP_2) | instskip(NEXT) | instid1(VALU_DEP_2)
	v_dual_mov_b32 v45, v29 :: v_dual_mov_b32 v29, v30
	v_pk_fma_f32 v[34:35], v[30:31], v[36:37], v[34:35] op_sel_hi:[1,1,0] neg_lo:[0,0,1] neg_hi:[0,0,1]
	v_mul_f32_e32 v30, v31, v14
	s_delay_alu instid0(VALU_DEP_3) | instskip(NEXT) | instid1(VALU_DEP_2)
	v_pk_add_f32 v[194:195], v[194:195], v[44:45] neg_lo:[0,1] neg_hi:[0,1]
	v_pk_fma_f32 v[28:29], v[28:29], v[36:37], v[30:31] op_sel_hi:[1,1,0]
	s_delay_alu instid0(VALU_DEP_1) | instskip(SKIP_4) | instid1(VALU_DEP_1)
	v_mov_b32_e32 v35, v29
	ds_load_2addr_b64 v[28:31], v222 offset0:46 offset1:47
	v_pk_add_f32 v[190:191], v[190:191], v[34:35] neg_lo:[0,1] neg_hi:[0,1]
	s_wait_dscnt 0x0
	v_pk_mul_f32 v[34:35], v[28:29], v[18:19] op_sel:[0,1]
	v_pk_fma_f32 v[44:45], v[28:29], v[14:15], v[34:35] op_sel:[0,0,1] op_sel_hi:[1,1,0] neg_lo:[0,0,1] neg_hi:[0,0,1]
	v_pk_fma_f32 v[28:29], v[28:29], v[14:15], v[34:35] op_sel:[0,0,1] op_sel_hi:[1,0,0]
	s_delay_alu instid0(VALU_DEP_1) | instskip(SKIP_1) | instid1(VALU_DEP_1)
	v_mov_b32_e32 v45, v29
	v_pk_mul_f32 v[28:29], v[30:31], v[18:19] op_sel:[0,1]
	v_pk_fma_f32 v[34:35], v[30:31], v[14:15], v[28:29] op_sel:[0,0,1] op_sel_hi:[1,1,0] neg_lo:[0,0,1] neg_hi:[0,0,1]
	v_pk_fma_f32 v[28:29], v[30:31], v[14:15], v[28:29] op_sel:[0,0,1] op_sel_hi:[1,0,0]
	s_delay_alu instid0(VALU_DEP_1)
	v_mov_b32_e32 v35, v29
	ds_load_2addr_b64 v[28:31], v222 offset0:48 offset1:49
	v_pk_add_f32 v[192:193], v[192:193], v[44:45] neg_lo:[0,1] neg_hi:[0,1]
	v_pk_add_f32 v[188:189], v[188:189], v[34:35] neg_lo:[0,1] neg_hi:[0,1]
	s_wait_dscnt 0x0
	v_pk_mul_f32 v[34:35], v[28:29], v[18:19] op_sel:[0,1]
	s_delay_alu instid0(VALU_DEP_1) | instskip(SKIP_1) | instid1(VALU_DEP_1)
	v_pk_fma_f32 v[44:45], v[28:29], v[14:15], v[34:35] op_sel:[0,0,1] op_sel_hi:[1,1,0] neg_lo:[0,0,1] neg_hi:[0,0,1]
	v_pk_fma_f32 v[28:29], v[28:29], v[14:15], v[34:35] op_sel:[0,0,1] op_sel_hi:[1,0,0]
	v_mov_b32_e32 v45, v29
	v_pk_mul_f32 v[28:29], v[30:31], v[18:19] op_sel:[0,1]
	s_delay_alu instid0(VALU_DEP_1) | instskip(SKIP_1) | instid1(VALU_DEP_1)
	v_pk_fma_f32 v[34:35], v[30:31], v[14:15], v[28:29] op_sel:[0,0,1] op_sel_hi:[1,1,0] neg_lo:[0,0,1] neg_hi:[0,0,1]
	v_pk_fma_f32 v[28:29], v[30:31], v[14:15], v[28:29] op_sel:[0,0,1] op_sel_hi:[1,0,0]
	v_mov_b32_e32 v35, v29
	ds_load_2addr_b64 v[28:31], v222 offset0:50 offset1:51
	v_pk_add_f32 v[216:217], v[216:217], v[44:45] neg_lo:[0,1] neg_hi:[0,1]
	v_pk_add_f32 v[212:213], v[212:213], v[34:35] neg_lo:[0,1] neg_hi:[0,1]
	s_wait_dscnt 0x0
	v_dual_mul_f32 v34, v29, v19 :: v_dual_mul_f32 v44, v29, v14
	s_delay_alu instid0(VALU_DEP_1) | instskip(NEXT) | instid1(VALU_DEP_2)
	v_pk_fma_f32 v[34:35], v[28:29], v[36:37], v[34:35] op_sel_hi:[1,1,0] neg_lo:[0,0,1] neg_hi:[0,0,1]
	v_pk_fma_f32 v[28:29], v[28:29], v[36:37], v[44:45] op_sel:[1,0,0] op_sel_hi:[0,1,0]
	s_delay_alu instid0(VALU_DEP_1) | instskip(SKIP_1) | instid1(VALU_DEP_2)
	v_mov_b32_e32 v35, v29
	v_pk_mul_f32 v[28:29], v[30:31], v[18:19] op_sel:[0,1]
	v_pk_add_f32 v[214:215], v[214:215], v[34:35] neg_lo:[0,1] neg_hi:[0,1]
	s_delay_alu instid0(VALU_DEP_2) | instskip(SKIP_1) | instid1(VALU_DEP_1)
	v_pk_fma_f32 v[34:35], v[30:31], v[14:15], v[28:29] op_sel:[0,0,1] op_sel_hi:[1,1,0] neg_lo:[0,0,1] neg_hi:[0,0,1]
	v_pk_fma_f32 v[28:29], v[30:31], v[14:15], v[28:29] op_sel:[0,0,1] op_sel_hi:[1,0,0]
	v_mov_b32_e32 v35, v29
	ds_load_2addr_b64 v[28:31], v222 offset0:52 offset1:53
	v_pk_add_f32 v[210:211], v[210:211], v[34:35] neg_lo:[0,1] neg_hi:[0,1]
	s_wait_dscnt 0x0
	v_pk_mul_f32 v[34:35], v[28:29], v[18:19] op_sel:[0,1]
	s_delay_alu instid0(VALU_DEP_1) | instskip(SKIP_1) | instid1(VALU_DEP_1)
	v_pk_fma_f32 v[44:45], v[28:29], v[14:15], v[34:35] op_sel:[0,0,1] op_sel_hi:[1,1,0] neg_lo:[0,0,1] neg_hi:[0,0,1]
	v_pk_fma_f32 v[28:29], v[28:29], v[14:15], v[34:35] op_sel:[0,0,1] op_sel_hi:[1,0,0]
	v_mov_b32_e32 v45, v29
	v_pk_mul_f32 v[28:29], v[30:31], v[18:19] op_sel:[0,1]
	s_delay_alu instid0(VALU_DEP_2) | instskip(NEXT) | instid1(VALU_DEP_2)
	v_pk_add_f32 v[240:241], v[240:241], v[44:45] neg_lo:[0,1] neg_hi:[0,1]
	v_pk_fma_f32 v[34:35], v[30:31], v[14:15], v[28:29] op_sel:[0,0,1] op_sel_hi:[1,1,0] neg_lo:[0,0,1] neg_hi:[0,0,1]
	v_pk_fma_f32 v[28:29], v[30:31], v[14:15], v[28:29] op_sel:[0,0,1] op_sel_hi:[1,0,0]
	s_delay_alu instid0(VALU_DEP_1) | instskip(SKIP_4) | instid1(VALU_DEP_1)
	v_mov_b32_e32 v35, v29
	ds_load_2addr_b64 v[28:31], v222 offset0:54 offset1:55
	v_pk_add_f32 v[232:233], v[232:233], v[34:35] neg_lo:[0,1] neg_hi:[0,1]
	s_wait_dscnt 0x0
	v_pk_mul_f32 v[34:35], v[28:29], v[18:19] op_sel:[0,1]
	v_pk_fma_f32 v[44:45], v[28:29], v[14:15], v[34:35] op_sel:[0,0,1] op_sel_hi:[1,1,0] neg_lo:[0,0,1] neg_hi:[0,0,1]
	v_pk_fma_f32 v[28:29], v[28:29], v[14:15], v[34:35] op_sel:[0,0,1] op_sel_hi:[1,0,0]
	v_dual_mul_f32 v34, v31, v19 :: v_dual_mov_b32 v28, v31
	s_delay_alu instid0(VALU_DEP_2) | instskip(NEXT) | instid1(VALU_DEP_2)
	v_dual_mov_b32 v45, v29 :: v_dual_mov_b32 v29, v30
	v_pk_fma_f32 v[34:35], v[30:31], v[36:37], v[34:35] op_sel_hi:[1,1,0] neg_lo:[0,0,1] neg_hi:[0,0,1]
	v_mul_f32_e32 v30, v31, v14
	s_delay_alu instid0(VALU_DEP_3) | instskip(NEXT) | instid1(VALU_DEP_2)
	v_pk_add_f32 v[238:239], v[238:239], v[44:45] neg_lo:[0,1] neg_hi:[0,1]
	v_pk_fma_f32 v[28:29], v[28:29], v[36:37], v[30:31] op_sel_hi:[1,1,0]
	s_delay_alu instid0(VALU_DEP_1) | instskip(SKIP_4) | instid1(VALU_DEP_1)
	v_mov_b32_e32 v35, v29
	ds_load_2addr_b64 v[28:31], v222 offset0:56 offset1:57
	v_pk_add_f32 v[230:231], v[230:231], v[34:35] neg_lo:[0,1] neg_hi:[0,1]
	s_wait_dscnt 0x0
	v_pk_mul_f32 v[34:35], v[28:29], v[18:19] op_sel:[0,1]
	v_pk_fma_f32 v[44:45], v[28:29], v[14:15], v[34:35] op_sel:[0,0,1] op_sel_hi:[1,1,0] neg_lo:[0,0,1] neg_hi:[0,0,1]
	v_pk_fma_f32 v[28:29], v[28:29], v[14:15], v[34:35] op_sel:[0,0,1] op_sel_hi:[1,0,0]
	s_delay_alu instid0(VALU_DEP_1) | instskip(SKIP_1) | instid1(VALU_DEP_1)
	v_mov_b32_e32 v45, v29
	v_pk_mul_f32 v[28:29], v[30:31], v[18:19] op_sel:[0,1]
	v_pk_fma_f32 v[34:35], v[30:31], v[14:15], v[28:29] op_sel:[0,0,1] op_sel_hi:[1,1,0] neg_lo:[0,0,1] neg_hi:[0,0,1]
	v_pk_fma_f32 v[28:29], v[30:31], v[14:15], v[28:29] op_sel:[0,0,1] op_sel_hi:[1,0,0]
	s_delay_alu instid0(VALU_DEP_1)
	v_mov_b32_e32 v35, v29
	ds_load_2addr_b64 v[28:31], v222 offset0:58 offset1:59
	v_pk_add_f32 v[236:237], v[236:237], v[44:45] neg_lo:[0,1] neg_hi:[0,1]
	v_pk_add_f32 v[228:229], v[228:229], v[34:35] neg_lo:[0,1] neg_hi:[0,1]
	s_wait_dscnt 0x0
	v_pk_mul_f32 v[34:35], v[28:29], v[18:19] op_sel:[0,1]
	s_delay_alu instid0(VALU_DEP_1) | instskip(SKIP_1) | instid1(VALU_DEP_1)
	v_pk_fma_f32 v[44:45], v[28:29], v[14:15], v[34:35] op_sel:[0,0,1] op_sel_hi:[1,1,0] neg_lo:[0,0,1] neg_hi:[0,0,1]
	v_pk_fma_f32 v[28:29], v[28:29], v[14:15], v[34:35] op_sel:[0,0,1] op_sel_hi:[1,0,0]
	v_mov_b32_e32 v45, v29
	v_pk_mul_f32 v[28:29], v[30:31], v[18:19] op_sel:[0,1]
	s_delay_alu instid0(VALU_DEP_1) | instskip(SKIP_1) | instid1(VALU_DEP_1)
	v_pk_fma_f32 v[34:35], v[30:31], v[14:15], v[28:29] op_sel:[0,0,1] op_sel_hi:[1,1,0] neg_lo:[0,0,1] neg_hi:[0,0,1]
	v_pk_fma_f32 v[28:29], v[30:31], v[14:15], v[28:29] op_sel:[0,0,1] op_sel_hi:[1,0,0]
	v_mov_b32_e32 v35, v29
	ds_load_b64 v[28:29], v222 offset:480
	v_pk_add_f32 v[234:235], v[234:235], v[44:45] neg_lo:[0,1] neg_hi:[0,1]
	v_pk_add_f32 v[242:243], v[242:243], v[34:35] neg_lo:[0,1] neg_hi:[0,1]
	s_wait_dscnt 0x0
	v_pk_mul_f32 v[18:19], v[28:29], v[18:19] op_sel:[0,1]
	s_delay_alu instid0(VALU_DEP_1) | instskip(SKIP_1) | instid1(VALU_DEP_1)
	v_pk_fma_f32 v[30:31], v[28:29], v[14:15], v[18:19] op_sel:[0,0,1] op_sel_hi:[1,1,0] neg_lo:[0,0,1] neg_hi:[0,0,1]
	v_pk_fma_f32 v[14:15], v[28:29], v[14:15], v[18:19] op_sel:[0,0,1] op_sel_hi:[1,0,0]
	v_mov_b32_e32 v31, v15
	s_delay_alu instid0(VALU_DEP_1)
	v_pk_add_f32 v[244:245], v[244:245], v[30:31] neg_lo:[0,1] neg_hi:[0,1]
.LBB121_109:
	s_or_b32 exec_lo, exec_lo, s1
	s_delay_alu instid0(SALU_CYCLE_1)
	s_mov_b32 s2, exec_lo
	s_wait_dscnt 0x0
	s_barrier_signal -1
	s_barrier_wait -1
	v_cmpx_eq_u32_e32 12, v220
	s_cbranch_execz .LBB121_116
; %bb.110:
	ds_store_b64 v221, v[66:67]
	ds_store_2addr_b64 v222, v[62:63], v[64:65] offset0:13 offset1:14
	ds_store_2addr_b64 v222, v[60:61], v[82:83] offset0:15 offset1:16
	;; [unrolled: 1-line block ×24, first 2 shown]
	ds_load_b64 v[14:15], v221
	s_wait_dscnt 0x0
	v_cmp_neq_f32_e32 vcc_lo, 0, v14
	v_cmp_neq_f32_e64 s1, 0, v15
	s_or_b32 s1, vcc_lo, s1
	s_delay_alu instid0(SALU_CYCLE_1)
	s_and_b32 exec_lo, exec_lo, s1
	s_cbranch_execz .LBB121_116
; %bb.111:
	v_cmp_ngt_f32_e64 s1, |v14|, |v15|
                                        ; implicit-def: $vgpr18_vgpr19
	s_and_saveexec_b32 s4, s1
	s_delay_alu instid0(SALU_CYCLE_1)
	s_xor_b32 s1, exec_lo, s4
	s_cbranch_execz .LBB121_113
; %bb.112:
	v_div_scale_f32 v18, null, v15, v15, v14
	v_div_scale_f32 v29, vcc_lo, v14, v15, v14
	s_delay_alu instid0(VALU_DEP_2) | instskip(SKIP_1) | instid1(TRANS32_DEP_1)
	v_rcp_f32_e32 v19, v18
	v_nop
	v_fma_f32 v28, -v18, v19, 1.0
	s_delay_alu instid0(VALU_DEP_1) | instskip(NEXT) | instid1(VALU_DEP_1)
	v_fmac_f32_e32 v19, v28, v19
	v_mul_f32_e32 v28, v29, v19
	s_delay_alu instid0(VALU_DEP_1) | instskip(NEXT) | instid1(VALU_DEP_1)
	v_fma_f32 v30, -v18, v28, v29
	v_fmac_f32_e32 v28, v30, v19
	s_delay_alu instid0(VALU_DEP_1) | instskip(NEXT) | instid1(VALU_DEP_1)
	v_fma_f32 v18, -v18, v28, v29
	v_div_fmas_f32 v18, v18, v19, v28
	s_delay_alu instid0(VALU_DEP_1) | instskip(NEXT) | instid1(VALU_DEP_1)
	v_div_fixup_f32 v18, v18, v15, v14
	v_fmac_f32_e32 v15, v14, v18
	s_delay_alu instid0(VALU_DEP_1) | instskip(SKIP_1) | instid1(VALU_DEP_2)
	v_div_scale_f32 v14, null, v15, v15, 1.0
	v_div_scale_f32 v29, vcc_lo, 1.0, v15, 1.0
	v_rcp_f32_e32 v19, v14
	v_nop
	s_delay_alu instid0(TRANS32_DEP_1) | instskip(NEXT) | instid1(VALU_DEP_1)
	v_fma_f32 v28, -v14, v19, 1.0
	v_fmac_f32_e32 v19, v28, v19
	s_delay_alu instid0(VALU_DEP_1) | instskip(NEXT) | instid1(VALU_DEP_1)
	v_mul_f32_e32 v28, v29, v19
	v_fma_f32 v30, -v14, v28, v29
	s_delay_alu instid0(VALU_DEP_1) | instskip(NEXT) | instid1(VALU_DEP_1)
	v_fmac_f32_e32 v28, v30, v19
	v_fma_f32 v14, -v14, v28, v29
	s_delay_alu instid0(VALU_DEP_1) | instskip(NEXT) | instid1(VALU_DEP_1)
	v_div_fmas_f32 v14, v14, v19, v28
	v_div_fixup_f32 v14, v14, v15, 1.0
	s_delay_alu instid0(VALU_DEP_1)
	v_mul_f32_e32 v18, v18, v14
	v_xor_b32_e32 v19, 0x80000000, v14
                                        ; implicit-def: $vgpr14_vgpr15
.LBB121_113:
	s_and_not1_saveexec_b32 s1, s1
	s_cbranch_execz .LBB121_115
; %bb.114:
	v_div_scale_f32 v18, null, v14, v14, v15
	v_div_scale_f32 v29, vcc_lo, v15, v14, v15
	s_delay_alu instid0(VALU_DEP_2) | instskip(SKIP_1) | instid1(TRANS32_DEP_1)
	v_rcp_f32_e32 v19, v18
	v_nop
	v_fma_f32 v28, -v18, v19, 1.0
	s_delay_alu instid0(VALU_DEP_1) | instskip(NEXT) | instid1(VALU_DEP_1)
	v_fmac_f32_e32 v19, v28, v19
	v_mul_f32_e32 v28, v29, v19
	s_delay_alu instid0(VALU_DEP_1) | instskip(NEXT) | instid1(VALU_DEP_1)
	v_fma_f32 v30, -v18, v28, v29
	v_fmac_f32_e32 v28, v30, v19
	s_delay_alu instid0(VALU_DEP_1) | instskip(NEXT) | instid1(VALU_DEP_1)
	v_fma_f32 v18, -v18, v28, v29
	v_div_fmas_f32 v18, v18, v19, v28
	s_delay_alu instid0(VALU_DEP_1) | instskip(NEXT) | instid1(VALU_DEP_1)
	v_div_fixup_f32 v19, v18, v14, v15
	v_fmac_f32_e32 v14, v15, v19
	s_delay_alu instid0(VALU_DEP_1) | instskip(NEXT) | instid1(VALU_DEP_1)
	v_div_scale_f32 v15, null, v14, v14, 1.0
	v_rcp_f32_e32 v18, v15
	v_nop
	s_delay_alu instid0(TRANS32_DEP_1) | instskip(NEXT) | instid1(VALU_DEP_1)
	v_fma_f32 v28, -v15, v18, 1.0
	v_fmac_f32_e32 v18, v28, v18
	v_div_scale_f32 v28, vcc_lo, 1.0, v14, 1.0
	s_delay_alu instid0(VALU_DEP_1) | instskip(NEXT) | instid1(VALU_DEP_1)
	v_mul_f32_e32 v29, v28, v18
	v_fma_f32 v30, -v15, v29, v28
	s_delay_alu instid0(VALU_DEP_1) | instskip(NEXT) | instid1(VALU_DEP_1)
	v_fmac_f32_e32 v29, v30, v18
	v_fma_f32 v15, -v15, v29, v28
	s_delay_alu instid0(VALU_DEP_1) | instskip(NEXT) | instid1(VALU_DEP_1)
	v_div_fmas_f32 v15, v15, v18, v29
	v_div_fixup_f32 v18, v15, v14, 1.0
	s_delay_alu instid0(VALU_DEP_1)
	v_mul_f32_e64 v19, v19, -v18
.LBB121_115:
	s_or_b32 exec_lo, exec_lo, s1
	ds_store_b64 v221, v[18:19]
.LBB121_116:
	s_or_b32 exec_lo, exec_lo, s2
	s_wait_dscnt 0x0
	s_barrier_signal -1
	s_barrier_wait -1
	ds_load_b64 v[14:15], v221
	s_mov_b32 s1, exec_lo
	v_cmpx_lt_u32_e32 12, v220
	s_cbranch_execz .LBB121_118
; %bb.117:
	ds_load_2addr_b64 v[50:53], v222 offset0:13 offset1:14
	s_wait_dscnt 0x1
	v_pk_mul_f32 v[28:29], v[14:15], v[66:67] op_sel:[1,1] op_sel_hi:[0,1]
	s_delay_alu instid0(VALU_DEP_1) | instskip(SKIP_1) | instid1(VALU_DEP_1)
	v_pk_fma_f32 v[18:19], v[14:15], v[66:67], v[28:29] op_sel_hi:[1,0,1] neg_lo:[0,0,1] neg_hi:[0,0,1]
	v_pk_fma_f32 v[28:29], v[14:15], v[66:67], v[28:29] op_sel_hi:[1,0,1]
	v_dual_mov_b32 v66, v18 :: v_dual_mov_b32 v67, v29
	s_wait_dscnt 0x0
	s_delay_alu instid0(VALU_DEP_2) | instskip(NEXT) | instid1(VALU_DEP_1)
	v_pk_mul_f32 v[30:31], v[50:51], v[28:29] op_sel:[0,1]
	v_pk_fma_f32 v[34:35], v[50:51], v[18:19], v[30:31] op_sel:[0,0,1] op_sel_hi:[1,1,0] neg_lo:[0,0,1] neg_hi:[0,0,1]
	v_pk_fma_f32 v[30:31], v[50:51], v[18:19], v[30:31] op_sel:[0,0,1] op_sel_hi:[1,0,0]
	s_delay_alu instid0(VALU_DEP_1) | instskip(SKIP_1) | instid1(VALU_DEP_2)
	v_mov_b32_e32 v35, v31
	v_pk_mul_f32 v[30:31], v[52:53], v[28:29] op_sel:[0,1]
	v_pk_add_f32 v[62:63], v[62:63], v[34:35] neg_lo:[0,1] neg_hi:[0,1]
	s_delay_alu instid0(VALU_DEP_2) | instskip(SKIP_3) | instid1(VALU_DEP_1)
	v_pk_fma_f32 v[34:35], v[52:53], v[18:19], v[30:31] op_sel:[0,0,1] op_sel_hi:[1,1,0] neg_lo:[0,0,1] neg_hi:[0,0,1]
	v_pk_fma_f32 v[30:31], v[52:53], v[18:19], v[30:31] op_sel:[0,0,1] op_sel_hi:[1,0,0]
	ds_load_2addr_b64 v[50:53], v222 offset0:15 offset1:16
	v_mov_b32_e32 v35, v31
	v_pk_add_f32 v[64:65], v[64:65], v[34:35] neg_lo:[0,1] neg_hi:[0,1]
	s_wait_dscnt 0x0
	v_pk_mul_f32 v[30:31], v[50:51], v[28:29] op_sel:[0,1]
	v_mul_f32_e32 v44, v53, v18
	s_delay_alu instid0(VALU_DEP_2) | instskip(SKIP_1) | instid1(VALU_DEP_1)
	v_pk_fma_f32 v[34:35], v[50:51], v[18:19], v[30:31] op_sel:[0,0,1] op_sel_hi:[1,1,0] neg_lo:[0,0,1] neg_hi:[0,0,1]
	v_pk_fma_f32 v[30:31], v[50:51], v[18:19], v[30:31] op_sel:[0,0,1] op_sel_hi:[1,0,0]
	v_dual_mov_b32 v30, v53 :: v_dual_mov_b32 v35, v31
	v_mov_b32_e32 v31, v52
	s_delay_alu instid0(VALU_DEP_2) | instskip(SKIP_1) | instid1(VALU_DEP_3)
	v_pk_add_f32 v[60:61], v[60:61], v[34:35] neg_lo:[0,1] neg_hi:[0,1]
	v_mul_f32_e32 v34, v53, v29
	v_pk_fma_f32 v[30:31], v[30:31], v[66:67], v[44:45] op_sel_hi:[1,1,0]
	s_delay_alu instid0(VALU_DEP_2) | instskip(SKIP_2) | instid1(VALU_DEP_1)
	v_pk_fma_f32 v[34:35], v[52:53], v[66:67], v[34:35] op_sel_hi:[1,1,0] neg_lo:[0,0,1] neg_hi:[0,0,1]
	ds_load_2addr_b64 v[50:53], v222 offset0:17 offset1:18
	v_mov_b32_e32 v35, v31
	v_pk_add_f32 v[82:83], v[82:83], v[34:35] neg_lo:[0,1] neg_hi:[0,1]
	s_wait_dscnt 0x0
	v_pk_mul_f32 v[30:31], v[50:51], v[28:29] op_sel:[0,1]
	s_delay_alu instid0(VALU_DEP_1) | instskip(SKIP_1) | instid1(VALU_DEP_1)
	v_pk_fma_f32 v[34:35], v[50:51], v[18:19], v[30:31] op_sel:[0,0,1] op_sel_hi:[1,1,0] neg_lo:[0,0,1] neg_hi:[0,0,1]
	v_pk_fma_f32 v[30:31], v[50:51], v[18:19], v[30:31] op_sel:[0,0,1] op_sel_hi:[1,0,0]
	v_mov_b32_e32 v35, v31
	v_pk_mul_f32 v[30:31], v[52:53], v[28:29] op_sel:[0,1]
	s_delay_alu instid0(VALU_DEP_2) | instskip(NEXT) | instid1(VALU_DEP_2)
	v_pk_add_f32 v[78:79], v[78:79], v[34:35] neg_lo:[0,1] neg_hi:[0,1]
	v_pk_fma_f32 v[34:35], v[52:53], v[18:19], v[30:31] op_sel:[0,0,1] op_sel_hi:[1,1,0] neg_lo:[0,0,1] neg_hi:[0,0,1]
	v_pk_fma_f32 v[30:31], v[52:53], v[18:19], v[30:31] op_sel:[0,0,1] op_sel_hi:[1,0,0]
	ds_load_2addr_b64 v[50:53], v222 offset0:19 offset1:20
	v_mov_b32_e32 v35, v31
	s_delay_alu instid0(VALU_DEP_1) | instskip(SKIP_2) | instid1(VALU_DEP_1)
	v_pk_add_f32 v[80:81], v[80:81], v[34:35] neg_lo:[0,1] neg_hi:[0,1]
	s_wait_dscnt 0x0
	v_pk_mul_f32 v[30:31], v[50:51], v[28:29] op_sel:[0,1]
	v_pk_fma_f32 v[34:35], v[50:51], v[18:19], v[30:31] op_sel:[0,0,1] op_sel_hi:[1,1,0] neg_lo:[0,0,1] neg_hi:[0,0,1]
	v_pk_fma_f32 v[30:31], v[50:51], v[18:19], v[30:31] op_sel:[0,0,1] op_sel_hi:[1,0,0]
	s_delay_alu instid0(VALU_DEP_1) | instskip(SKIP_1) | instid1(VALU_DEP_2)
	v_mov_b32_e32 v35, v31
	v_pk_mul_f32 v[30:31], v[52:53], v[28:29] op_sel:[0,1]
	v_pk_add_f32 v[76:77], v[76:77], v[34:35] neg_lo:[0,1] neg_hi:[0,1]
	s_delay_alu instid0(VALU_DEP_2) | instskip(SKIP_3) | instid1(VALU_DEP_1)
	v_pk_fma_f32 v[34:35], v[52:53], v[18:19], v[30:31] op_sel:[0,0,1] op_sel_hi:[1,1,0] neg_lo:[0,0,1] neg_hi:[0,0,1]
	v_pk_fma_f32 v[30:31], v[52:53], v[18:19], v[30:31] op_sel:[0,0,1] op_sel_hi:[1,0,0]
	ds_load_2addr_b64 v[50:53], v222 offset0:21 offset1:22
	v_mov_b32_e32 v35, v31
	v_pk_add_f32 v[98:99], v[98:99], v[34:35] neg_lo:[0,1] neg_hi:[0,1]
	s_wait_dscnt 0x0
	v_dual_mul_f32 v30, v51, v29 :: v_dual_mul_f32 v34, v51, v18
	s_delay_alu instid0(VALU_DEP_1) | instskip(NEXT) | instid1(VALU_DEP_2)
	v_pk_fma_f32 v[30:31], v[50:51], v[66:67], v[30:31] op_sel_hi:[1,1,0] neg_lo:[0,0,1] neg_hi:[0,0,1]
	v_pk_fma_f32 v[34:35], v[50:51], v[66:67], v[34:35] op_sel:[1,0,0] op_sel_hi:[0,1,0]
	s_delay_alu instid0(VALU_DEP_1) | instskip(NEXT) | instid1(VALU_DEP_1)
	v_mov_b32_e32 v31, v35
	v_pk_add_f32 v[94:95], v[94:95], v[30:31] neg_lo:[0,1] neg_hi:[0,1]
	v_pk_mul_f32 v[30:31], v[52:53], v[28:29] op_sel:[0,1]
	s_delay_alu instid0(VALU_DEP_1) | instskip(SKIP_3) | instid1(VALU_DEP_1)
	v_pk_fma_f32 v[34:35], v[52:53], v[18:19], v[30:31] op_sel:[0,0,1] op_sel_hi:[1,1,0] neg_lo:[0,0,1] neg_hi:[0,0,1]
	v_pk_fma_f32 v[30:31], v[52:53], v[18:19], v[30:31] op_sel:[0,0,1] op_sel_hi:[1,0,0]
	ds_load_2addr_b64 v[50:53], v222 offset0:23 offset1:24
	v_mov_b32_e32 v35, v31
	v_pk_add_f32 v[96:97], v[96:97], v[34:35] neg_lo:[0,1] neg_hi:[0,1]
	s_wait_dscnt 0x0
	v_pk_mul_f32 v[30:31], v[50:51], v[28:29] op_sel:[0,1]
	s_delay_alu instid0(VALU_DEP_1) | instskip(SKIP_1) | instid1(VALU_DEP_1)
	v_pk_fma_f32 v[34:35], v[50:51], v[18:19], v[30:31] op_sel:[0,0,1] op_sel_hi:[1,1,0] neg_lo:[0,0,1] neg_hi:[0,0,1]
	v_pk_fma_f32 v[30:31], v[50:51], v[18:19], v[30:31] op_sel:[0,0,1] op_sel_hi:[1,0,0]
	v_mov_b32_e32 v35, v31
	v_pk_mul_f32 v[30:31], v[52:53], v[28:29] op_sel:[0,1]
	s_delay_alu instid0(VALU_DEP_2) | instskip(NEXT) | instid1(VALU_DEP_2)
	v_pk_add_f32 v[92:93], v[92:93], v[34:35] neg_lo:[0,1] neg_hi:[0,1]
	v_pk_fma_f32 v[34:35], v[52:53], v[18:19], v[30:31] op_sel:[0,0,1] op_sel_hi:[1,1,0] neg_lo:[0,0,1] neg_hi:[0,0,1]
	v_pk_fma_f32 v[30:31], v[52:53], v[18:19], v[30:31] op_sel:[0,0,1] op_sel_hi:[1,0,0]
	ds_load_2addr_b64 v[50:53], v222 offset0:25 offset1:26
	v_mov_b32_e32 v35, v31
	s_delay_alu instid0(VALU_DEP_1) | instskip(SKIP_3) | instid1(VALU_DEP_2)
	v_pk_add_f32 v[114:115], v[114:115], v[34:35] neg_lo:[0,1] neg_hi:[0,1]
	s_wait_dscnt 0x0
	v_pk_mul_f32 v[30:31], v[50:51], v[28:29] op_sel:[0,1]
	v_mul_f32_e32 v44, v53, v18
	v_pk_fma_f32 v[34:35], v[50:51], v[18:19], v[30:31] op_sel:[0,0,1] op_sel_hi:[1,1,0] neg_lo:[0,0,1] neg_hi:[0,0,1]
	v_pk_fma_f32 v[30:31], v[50:51], v[18:19], v[30:31] op_sel:[0,0,1] op_sel_hi:[1,0,0]
	s_delay_alu instid0(VALU_DEP_1) | instskip(SKIP_1) | instid1(VALU_DEP_2)
	v_dual_mov_b32 v30, v53 :: v_dual_mov_b32 v35, v31
	v_mov_b32_e32 v31, v52
	v_pk_add_f32 v[110:111], v[110:111], v[34:35] neg_lo:[0,1] neg_hi:[0,1]
	v_mul_f32_e32 v34, v53, v29
	s_delay_alu instid0(VALU_DEP_3) | instskip(NEXT) | instid1(VALU_DEP_2)
	v_pk_fma_f32 v[30:31], v[30:31], v[66:67], v[44:45] op_sel_hi:[1,1,0]
	v_pk_fma_f32 v[34:35], v[52:53], v[66:67], v[34:35] op_sel_hi:[1,1,0] neg_lo:[0,0,1] neg_hi:[0,0,1]
	ds_load_2addr_b64 v[50:53], v222 offset0:27 offset1:28
	v_mov_b32_e32 v35, v31
	s_delay_alu instid0(VALU_DEP_1) | instskip(SKIP_2) | instid1(VALU_DEP_1)
	v_pk_add_f32 v[112:113], v[112:113], v[34:35] neg_lo:[0,1] neg_hi:[0,1]
	s_wait_dscnt 0x0
	v_pk_mul_f32 v[30:31], v[50:51], v[28:29] op_sel:[0,1]
	v_pk_fma_f32 v[34:35], v[50:51], v[18:19], v[30:31] op_sel:[0,0,1] op_sel_hi:[1,1,0] neg_lo:[0,0,1] neg_hi:[0,0,1]
	v_pk_fma_f32 v[30:31], v[50:51], v[18:19], v[30:31] op_sel:[0,0,1] op_sel_hi:[1,0,0]
	s_delay_alu instid0(VALU_DEP_1) | instskip(SKIP_1) | instid1(VALU_DEP_2)
	v_mov_b32_e32 v35, v31
	v_pk_mul_f32 v[30:31], v[52:53], v[28:29] op_sel:[0,1]
	v_pk_add_f32 v[108:109], v[108:109], v[34:35] neg_lo:[0,1] neg_hi:[0,1]
	s_delay_alu instid0(VALU_DEP_2) | instskip(SKIP_3) | instid1(VALU_DEP_1)
	v_pk_fma_f32 v[34:35], v[52:53], v[18:19], v[30:31] op_sel:[0,0,1] op_sel_hi:[1,1,0] neg_lo:[0,0,1] neg_hi:[0,0,1]
	v_pk_fma_f32 v[30:31], v[52:53], v[18:19], v[30:31] op_sel:[0,0,1] op_sel_hi:[1,0,0]
	ds_load_2addr_b64 v[50:53], v222 offset0:29 offset1:30
	v_mov_b32_e32 v35, v31
	v_pk_add_f32 v[130:131], v[130:131], v[34:35] neg_lo:[0,1] neg_hi:[0,1]
	s_wait_dscnt 0x0
	v_pk_mul_f32 v[30:31], v[50:51], v[28:29] op_sel:[0,1]
	s_delay_alu instid0(VALU_DEP_1) | instskip(SKIP_1) | instid1(VALU_DEP_1)
	v_pk_fma_f32 v[34:35], v[50:51], v[18:19], v[30:31] op_sel:[0,0,1] op_sel_hi:[1,1,0] neg_lo:[0,0,1] neg_hi:[0,0,1]
	v_pk_fma_f32 v[30:31], v[50:51], v[18:19], v[30:31] op_sel:[0,0,1] op_sel_hi:[1,0,0]
	v_mov_b32_e32 v35, v31
	v_pk_mul_f32 v[30:31], v[52:53], v[28:29] op_sel:[0,1]
	s_delay_alu instid0(VALU_DEP_2) | instskip(NEXT) | instid1(VALU_DEP_2)
	v_pk_add_f32 v[126:127], v[126:127], v[34:35] neg_lo:[0,1] neg_hi:[0,1]
	v_pk_fma_f32 v[34:35], v[52:53], v[18:19], v[30:31] op_sel:[0,0,1] op_sel_hi:[1,1,0] neg_lo:[0,0,1] neg_hi:[0,0,1]
	v_pk_fma_f32 v[30:31], v[52:53], v[18:19], v[30:31] op_sel:[0,0,1] op_sel_hi:[1,0,0]
	ds_load_2addr_b64 v[50:53], v222 offset0:31 offset1:32
	v_mov_b32_e32 v35, v31
	s_delay_alu instid0(VALU_DEP_1) | instskip(SKIP_2) | instid1(VALU_DEP_1)
	v_pk_add_f32 v[128:129], v[128:129], v[34:35] neg_lo:[0,1] neg_hi:[0,1]
	s_wait_dscnt 0x0
	v_dual_mul_f32 v30, v51, v29 :: v_dual_mul_f32 v34, v51, v18
	v_pk_fma_f32 v[30:31], v[50:51], v[66:67], v[30:31] op_sel_hi:[1,1,0] neg_lo:[0,0,1] neg_hi:[0,0,1]
	s_delay_alu instid0(VALU_DEP_2) | instskip(NEXT) | instid1(VALU_DEP_1)
	v_pk_fma_f32 v[34:35], v[50:51], v[66:67], v[34:35] op_sel:[1,0,0] op_sel_hi:[0,1,0]
	v_mov_b32_e32 v31, v35
	s_delay_alu instid0(VALU_DEP_1) | instskip(SKIP_1) | instid1(VALU_DEP_1)
	v_pk_add_f32 v[124:125], v[124:125], v[30:31] neg_lo:[0,1] neg_hi:[0,1]
	v_pk_mul_f32 v[30:31], v[52:53], v[28:29] op_sel:[0,1]
	v_pk_fma_f32 v[34:35], v[52:53], v[18:19], v[30:31] op_sel:[0,0,1] op_sel_hi:[1,1,0] neg_lo:[0,0,1] neg_hi:[0,0,1]
	v_pk_fma_f32 v[30:31], v[52:53], v[18:19], v[30:31] op_sel:[0,0,1] op_sel_hi:[1,0,0]
	ds_load_2addr_b64 v[50:53], v222 offset0:33 offset1:34
	v_mov_b32_e32 v35, v31
	s_delay_alu instid0(VALU_DEP_1) | instskip(SKIP_2) | instid1(VALU_DEP_1)
	v_pk_add_f32 v[146:147], v[146:147], v[34:35] neg_lo:[0,1] neg_hi:[0,1]
	s_wait_dscnt 0x0
	v_pk_mul_f32 v[30:31], v[50:51], v[28:29] op_sel:[0,1]
	v_pk_fma_f32 v[34:35], v[50:51], v[18:19], v[30:31] op_sel:[0,0,1] op_sel_hi:[1,1,0] neg_lo:[0,0,1] neg_hi:[0,0,1]
	v_pk_fma_f32 v[30:31], v[50:51], v[18:19], v[30:31] op_sel:[0,0,1] op_sel_hi:[1,0,0]
	s_delay_alu instid0(VALU_DEP_1) | instskip(SKIP_1) | instid1(VALU_DEP_2)
	v_mov_b32_e32 v35, v31
	v_pk_mul_f32 v[30:31], v[52:53], v[28:29] op_sel:[0,1]
	v_pk_add_f32 v[142:143], v[142:143], v[34:35] neg_lo:[0,1] neg_hi:[0,1]
	s_delay_alu instid0(VALU_DEP_2) | instskip(SKIP_3) | instid1(VALU_DEP_1)
	v_pk_fma_f32 v[34:35], v[52:53], v[18:19], v[30:31] op_sel:[0,0,1] op_sel_hi:[1,1,0] neg_lo:[0,0,1] neg_hi:[0,0,1]
	v_pk_fma_f32 v[30:31], v[52:53], v[18:19], v[30:31] op_sel:[0,0,1] op_sel_hi:[1,0,0]
	ds_load_2addr_b64 v[50:53], v222 offset0:35 offset1:36
	v_mov_b32_e32 v35, v31
	v_pk_add_f32 v[144:145], v[144:145], v[34:35] neg_lo:[0,1] neg_hi:[0,1]
	s_wait_dscnt 0x0
	v_pk_mul_f32 v[30:31], v[50:51], v[28:29] op_sel:[0,1]
	v_mul_f32_e32 v44, v53, v18
	s_delay_alu instid0(VALU_DEP_2) | instskip(SKIP_1) | instid1(VALU_DEP_1)
	v_pk_fma_f32 v[34:35], v[50:51], v[18:19], v[30:31] op_sel:[0,0,1] op_sel_hi:[1,1,0] neg_lo:[0,0,1] neg_hi:[0,0,1]
	v_pk_fma_f32 v[30:31], v[50:51], v[18:19], v[30:31] op_sel:[0,0,1] op_sel_hi:[1,0,0]
	v_dual_mov_b32 v30, v53 :: v_dual_mov_b32 v35, v31
	v_mov_b32_e32 v31, v52
	s_delay_alu instid0(VALU_DEP_2) | instskip(SKIP_1) | instid1(VALU_DEP_3)
	v_pk_add_f32 v[140:141], v[140:141], v[34:35] neg_lo:[0,1] neg_hi:[0,1]
	v_mul_f32_e32 v34, v53, v29
	v_pk_fma_f32 v[30:31], v[30:31], v[66:67], v[44:45] op_sel_hi:[1,1,0]
	s_delay_alu instid0(VALU_DEP_2) | instskip(SKIP_2) | instid1(VALU_DEP_1)
	v_pk_fma_f32 v[34:35], v[52:53], v[66:67], v[34:35] op_sel_hi:[1,1,0] neg_lo:[0,0,1] neg_hi:[0,0,1]
	ds_load_2addr_b64 v[50:53], v222 offset0:37 offset1:38
	v_mov_b32_e32 v35, v31
	v_pk_add_f32 v[162:163], v[162:163], v[34:35] neg_lo:[0,1] neg_hi:[0,1]
	s_wait_dscnt 0x0
	v_pk_mul_f32 v[30:31], v[50:51], v[28:29] op_sel:[0,1]
	s_delay_alu instid0(VALU_DEP_1) | instskip(SKIP_1) | instid1(VALU_DEP_1)
	v_pk_fma_f32 v[34:35], v[50:51], v[18:19], v[30:31] op_sel:[0,0,1] op_sel_hi:[1,1,0] neg_lo:[0,0,1] neg_hi:[0,0,1]
	v_pk_fma_f32 v[30:31], v[50:51], v[18:19], v[30:31] op_sel:[0,0,1] op_sel_hi:[1,0,0]
	v_mov_b32_e32 v35, v31
	v_pk_mul_f32 v[30:31], v[52:53], v[28:29] op_sel:[0,1]
	s_delay_alu instid0(VALU_DEP_2) | instskip(NEXT) | instid1(VALU_DEP_2)
	v_pk_add_f32 v[158:159], v[158:159], v[34:35] neg_lo:[0,1] neg_hi:[0,1]
	v_pk_fma_f32 v[34:35], v[52:53], v[18:19], v[30:31] op_sel:[0,0,1] op_sel_hi:[1,1,0] neg_lo:[0,0,1] neg_hi:[0,0,1]
	v_pk_fma_f32 v[30:31], v[52:53], v[18:19], v[30:31] op_sel:[0,0,1] op_sel_hi:[1,0,0]
	ds_load_2addr_b64 v[50:53], v222 offset0:39 offset1:40
	v_mov_b32_e32 v35, v31
	s_delay_alu instid0(VALU_DEP_1) | instskip(SKIP_2) | instid1(VALU_DEP_1)
	v_pk_add_f32 v[160:161], v[160:161], v[34:35] neg_lo:[0,1] neg_hi:[0,1]
	s_wait_dscnt 0x0
	v_pk_mul_f32 v[30:31], v[50:51], v[28:29] op_sel:[0,1]
	v_pk_fma_f32 v[34:35], v[50:51], v[18:19], v[30:31] op_sel:[0,0,1] op_sel_hi:[1,1,0] neg_lo:[0,0,1] neg_hi:[0,0,1]
	v_pk_fma_f32 v[30:31], v[50:51], v[18:19], v[30:31] op_sel:[0,0,1] op_sel_hi:[1,0,0]
	s_delay_alu instid0(VALU_DEP_1) | instskip(SKIP_1) | instid1(VALU_DEP_2)
	v_mov_b32_e32 v35, v31
	v_pk_mul_f32 v[30:31], v[52:53], v[28:29] op_sel:[0,1]
	v_pk_add_f32 v[156:157], v[156:157], v[34:35] neg_lo:[0,1] neg_hi:[0,1]
	s_delay_alu instid0(VALU_DEP_2) | instskip(SKIP_3) | instid1(VALU_DEP_1)
	v_pk_fma_f32 v[34:35], v[52:53], v[18:19], v[30:31] op_sel:[0,0,1] op_sel_hi:[1,1,0] neg_lo:[0,0,1] neg_hi:[0,0,1]
	v_pk_fma_f32 v[30:31], v[52:53], v[18:19], v[30:31] op_sel:[0,0,1] op_sel_hi:[1,0,0]
	ds_load_2addr_b64 v[50:53], v222 offset0:41 offset1:42
	v_mov_b32_e32 v35, v31
	v_pk_add_f32 v[178:179], v[178:179], v[34:35] neg_lo:[0,1] neg_hi:[0,1]
	s_wait_dscnt 0x0
	v_dual_mul_f32 v30, v51, v29 :: v_dual_mul_f32 v34, v51, v18
	s_delay_alu instid0(VALU_DEP_1) | instskip(NEXT) | instid1(VALU_DEP_2)
	v_pk_fma_f32 v[30:31], v[50:51], v[66:67], v[30:31] op_sel_hi:[1,1,0] neg_lo:[0,0,1] neg_hi:[0,0,1]
	v_pk_fma_f32 v[34:35], v[50:51], v[66:67], v[34:35] op_sel:[1,0,0] op_sel_hi:[0,1,0]
	s_delay_alu instid0(VALU_DEP_1) | instskip(NEXT) | instid1(VALU_DEP_1)
	v_mov_b32_e32 v31, v35
	v_pk_add_f32 v[174:175], v[174:175], v[30:31] neg_lo:[0,1] neg_hi:[0,1]
	v_pk_mul_f32 v[30:31], v[52:53], v[28:29] op_sel:[0,1]
	s_delay_alu instid0(VALU_DEP_1) | instskip(SKIP_3) | instid1(VALU_DEP_1)
	v_pk_fma_f32 v[34:35], v[52:53], v[18:19], v[30:31] op_sel:[0,0,1] op_sel_hi:[1,1,0] neg_lo:[0,0,1] neg_hi:[0,0,1]
	v_pk_fma_f32 v[30:31], v[52:53], v[18:19], v[30:31] op_sel:[0,0,1] op_sel_hi:[1,0,0]
	ds_load_2addr_b64 v[50:53], v222 offset0:43 offset1:44
	v_mov_b32_e32 v35, v31
	v_pk_add_f32 v[176:177], v[176:177], v[34:35] neg_lo:[0,1] neg_hi:[0,1]
	s_wait_dscnt 0x0
	v_pk_mul_f32 v[30:31], v[50:51], v[28:29] op_sel:[0,1]
	s_delay_alu instid0(VALU_DEP_1) | instskip(SKIP_1) | instid1(VALU_DEP_1)
	v_pk_fma_f32 v[34:35], v[50:51], v[18:19], v[30:31] op_sel:[0,0,1] op_sel_hi:[1,1,0] neg_lo:[0,0,1] neg_hi:[0,0,1]
	v_pk_fma_f32 v[30:31], v[50:51], v[18:19], v[30:31] op_sel:[0,0,1] op_sel_hi:[1,0,0]
	v_mov_b32_e32 v35, v31
	v_pk_mul_f32 v[30:31], v[52:53], v[28:29] op_sel:[0,1]
	s_delay_alu instid0(VALU_DEP_2) | instskip(NEXT) | instid1(VALU_DEP_2)
	v_pk_add_f32 v[172:173], v[172:173], v[34:35] neg_lo:[0,1] neg_hi:[0,1]
	v_pk_fma_f32 v[34:35], v[52:53], v[18:19], v[30:31] op_sel:[0,0,1] op_sel_hi:[1,1,0] neg_lo:[0,0,1] neg_hi:[0,0,1]
	v_pk_fma_f32 v[30:31], v[52:53], v[18:19], v[30:31] op_sel:[0,0,1] op_sel_hi:[1,0,0]
	ds_load_2addr_b64 v[50:53], v222 offset0:45 offset1:46
	v_mov_b32_e32 v35, v31
	s_delay_alu instid0(VALU_DEP_1) | instskip(SKIP_3) | instid1(VALU_DEP_2)
	v_pk_add_f32 v[194:195], v[194:195], v[34:35] neg_lo:[0,1] neg_hi:[0,1]
	s_wait_dscnt 0x0
	v_pk_mul_f32 v[30:31], v[50:51], v[28:29] op_sel:[0,1]
	v_mul_f32_e32 v44, v53, v18
	v_pk_fma_f32 v[34:35], v[50:51], v[18:19], v[30:31] op_sel:[0,0,1] op_sel_hi:[1,1,0] neg_lo:[0,0,1] neg_hi:[0,0,1]
	v_pk_fma_f32 v[30:31], v[50:51], v[18:19], v[30:31] op_sel:[0,0,1] op_sel_hi:[1,0,0]
	s_delay_alu instid0(VALU_DEP_1) | instskip(SKIP_1) | instid1(VALU_DEP_2)
	v_dual_mov_b32 v30, v53 :: v_dual_mov_b32 v35, v31
	v_mov_b32_e32 v31, v52
	v_pk_add_f32 v[190:191], v[190:191], v[34:35] neg_lo:[0,1] neg_hi:[0,1]
	v_mul_f32_e32 v34, v53, v29
	s_delay_alu instid0(VALU_DEP_3) | instskip(NEXT) | instid1(VALU_DEP_2)
	v_pk_fma_f32 v[30:31], v[30:31], v[66:67], v[44:45] op_sel_hi:[1,1,0]
	v_pk_fma_f32 v[34:35], v[52:53], v[66:67], v[34:35] op_sel_hi:[1,1,0] neg_lo:[0,0,1] neg_hi:[0,0,1]
	ds_load_2addr_b64 v[50:53], v222 offset0:47 offset1:48
	v_mov_b32_e32 v35, v31
	s_delay_alu instid0(VALU_DEP_1) | instskip(SKIP_2) | instid1(VALU_DEP_1)
	v_pk_add_f32 v[192:193], v[192:193], v[34:35] neg_lo:[0,1] neg_hi:[0,1]
	s_wait_dscnt 0x0
	v_pk_mul_f32 v[30:31], v[50:51], v[28:29] op_sel:[0,1]
	v_pk_fma_f32 v[34:35], v[50:51], v[18:19], v[30:31] op_sel:[0,0,1] op_sel_hi:[1,1,0] neg_lo:[0,0,1] neg_hi:[0,0,1]
	v_pk_fma_f32 v[30:31], v[50:51], v[18:19], v[30:31] op_sel:[0,0,1] op_sel_hi:[1,0,0]
	s_delay_alu instid0(VALU_DEP_1) | instskip(SKIP_1) | instid1(VALU_DEP_2)
	v_mov_b32_e32 v35, v31
	v_pk_mul_f32 v[30:31], v[52:53], v[28:29] op_sel:[0,1]
	v_pk_add_f32 v[188:189], v[188:189], v[34:35] neg_lo:[0,1] neg_hi:[0,1]
	s_delay_alu instid0(VALU_DEP_2) | instskip(SKIP_3) | instid1(VALU_DEP_1)
	v_pk_fma_f32 v[34:35], v[52:53], v[18:19], v[30:31] op_sel:[0,0,1] op_sel_hi:[1,1,0] neg_lo:[0,0,1] neg_hi:[0,0,1]
	v_pk_fma_f32 v[30:31], v[52:53], v[18:19], v[30:31] op_sel:[0,0,1] op_sel_hi:[1,0,0]
	ds_load_2addr_b64 v[50:53], v222 offset0:49 offset1:50
	v_mov_b32_e32 v35, v31
	v_pk_add_f32 v[216:217], v[216:217], v[34:35] neg_lo:[0,1] neg_hi:[0,1]
	s_wait_dscnt 0x0
	v_pk_mul_f32 v[30:31], v[50:51], v[28:29] op_sel:[0,1]
	s_delay_alu instid0(VALU_DEP_1) | instskip(SKIP_1) | instid1(VALU_DEP_1)
	v_pk_fma_f32 v[34:35], v[50:51], v[18:19], v[30:31] op_sel:[0,0,1] op_sel_hi:[1,1,0] neg_lo:[0,0,1] neg_hi:[0,0,1]
	v_pk_fma_f32 v[30:31], v[50:51], v[18:19], v[30:31] op_sel:[0,0,1] op_sel_hi:[1,0,0]
	v_mov_b32_e32 v35, v31
	v_pk_mul_f32 v[30:31], v[52:53], v[28:29] op_sel:[0,1]
	s_delay_alu instid0(VALU_DEP_2) | instskip(NEXT) | instid1(VALU_DEP_2)
	v_pk_add_f32 v[212:213], v[212:213], v[34:35] neg_lo:[0,1] neg_hi:[0,1]
	v_pk_fma_f32 v[34:35], v[52:53], v[18:19], v[30:31] op_sel:[0,0,1] op_sel_hi:[1,1,0] neg_lo:[0,0,1] neg_hi:[0,0,1]
	v_pk_fma_f32 v[30:31], v[52:53], v[18:19], v[30:31] op_sel:[0,0,1] op_sel_hi:[1,0,0]
	ds_load_2addr_b64 v[50:53], v222 offset0:51 offset1:52
	v_mov_b32_e32 v35, v31
	s_delay_alu instid0(VALU_DEP_1) | instskip(SKIP_2) | instid1(VALU_DEP_1)
	v_pk_add_f32 v[214:215], v[214:215], v[34:35] neg_lo:[0,1] neg_hi:[0,1]
	s_wait_dscnt 0x0
	v_dual_mul_f32 v30, v51, v29 :: v_dual_mul_f32 v34, v51, v18
	v_pk_fma_f32 v[30:31], v[50:51], v[66:67], v[30:31] op_sel_hi:[1,1,0] neg_lo:[0,0,1] neg_hi:[0,0,1]
	s_delay_alu instid0(VALU_DEP_2) | instskip(NEXT) | instid1(VALU_DEP_1)
	v_pk_fma_f32 v[34:35], v[50:51], v[66:67], v[34:35] op_sel:[1,0,0] op_sel_hi:[0,1,0]
	v_mov_b32_e32 v31, v35
	s_delay_alu instid0(VALU_DEP_1) | instskip(SKIP_1) | instid1(VALU_DEP_1)
	v_pk_add_f32 v[210:211], v[210:211], v[30:31] neg_lo:[0,1] neg_hi:[0,1]
	v_pk_mul_f32 v[30:31], v[52:53], v[28:29] op_sel:[0,1]
	v_pk_fma_f32 v[34:35], v[52:53], v[18:19], v[30:31] op_sel:[0,0,1] op_sel_hi:[1,1,0] neg_lo:[0,0,1] neg_hi:[0,0,1]
	v_pk_fma_f32 v[30:31], v[52:53], v[18:19], v[30:31] op_sel:[0,0,1] op_sel_hi:[1,0,0]
	ds_load_2addr_b64 v[50:53], v222 offset0:53 offset1:54
	v_mov_b32_e32 v35, v31
	s_delay_alu instid0(VALU_DEP_1) | instskip(SKIP_2) | instid1(VALU_DEP_1)
	v_pk_add_f32 v[240:241], v[240:241], v[34:35] neg_lo:[0,1] neg_hi:[0,1]
	s_wait_dscnt 0x0
	v_pk_mul_f32 v[30:31], v[50:51], v[28:29] op_sel:[0,1]
	v_pk_fma_f32 v[34:35], v[50:51], v[18:19], v[30:31] op_sel:[0,0,1] op_sel_hi:[1,1,0] neg_lo:[0,0,1] neg_hi:[0,0,1]
	v_pk_fma_f32 v[30:31], v[50:51], v[18:19], v[30:31] op_sel:[0,0,1] op_sel_hi:[1,0,0]
	s_delay_alu instid0(VALU_DEP_1) | instskip(SKIP_1) | instid1(VALU_DEP_2)
	v_mov_b32_e32 v35, v31
	v_pk_mul_f32 v[30:31], v[52:53], v[28:29] op_sel:[0,1]
	v_pk_add_f32 v[232:233], v[232:233], v[34:35] neg_lo:[0,1] neg_hi:[0,1]
	s_delay_alu instid0(VALU_DEP_2) | instskip(SKIP_3) | instid1(VALU_DEP_1)
	v_pk_fma_f32 v[34:35], v[52:53], v[18:19], v[30:31] op_sel:[0,0,1] op_sel_hi:[1,1,0] neg_lo:[0,0,1] neg_hi:[0,0,1]
	v_pk_fma_f32 v[30:31], v[52:53], v[18:19], v[30:31] op_sel:[0,0,1] op_sel_hi:[1,0,0]
	ds_load_2addr_b64 v[50:53], v222 offset0:55 offset1:56
	v_mov_b32_e32 v35, v31
	v_pk_add_f32 v[238:239], v[238:239], v[34:35] neg_lo:[0,1] neg_hi:[0,1]
	s_wait_dscnt 0x0
	v_pk_mul_f32 v[30:31], v[50:51], v[28:29] op_sel:[0,1]
	v_mul_f32_e32 v44, v53, v18
	s_delay_alu instid0(VALU_DEP_2) | instskip(SKIP_1) | instid1(VALU_DEP_1)
	v_pk_fma_f32 v[34:35], v[50:51], v[18:19], v[30:31] op_sel:[0,0,1] op_sel_hi:[1,1,0] neg_lo:[0,0,1] neg_hi:[0,0,1]
	v_pk_fma_f32 v[30:31], v[50:51], v[18:19], v[30:31] op_sel:[0,0,1] op_sel_hi:[1,0,0]
	v_dual_mov_b32 v30, v53 :: v_dual_mov_b32 v35, v31
	v_mov_b32_e32 v31, v52
	s_delay_alu instid0(VALU_DEP_2) | instskip(SKIP_1) | instid1(VALU_DEP_3)
	v_pk_add_f32 v[230:231], v[230:231], v[34:35] neg_lo:[0,1] neg_hi:[0,1]
	v_mul_f32_e32 v34, v53, v29
	v_pk_fma_f32 v[30:31], v[30:31], v[66:67], v[44:45] op_sel_hi:[1,1,0]
	s_delay_alu instid0(VALU_DEP_2) | instskip(SKIP_2) | instid1(VALU_DEP_1)
	v_pk_fma_f32 v[34:35], v[52:53], v[66:67], v[34:35] op_sel_hi:[1,1,0] neg_lo:[0,0,1] neg_hi:[0,0,1]
	ds_load_2addr_b64 v[50:53], v222 offset0:57 offset1:58
	v_mov_b32_e32 v35, v31
	v_pk_add_f32 v[236:237], v[236:237], v[34:35] neg_lo:[0,1] neg_hi:[0,1]
	s_wait_dscnt 0x0
	v_pk_mul_f32 v[30:31], v[50:51], v[28:29] op_sel:[0,1]
	s_delay_alu instid0(VALU_DEP_1) | instskip(SKIP_1) | instid1(VALU_DEP_1)
	v_pk_fma_f32 v[34:35], v[50:51], v[18:19], v[30:31] op_sel:[0,0,1] op_sel_hi:[1,1,0] neg_lo:[0,0,1] neg_hi:[0,0,1]
	v_pk_fma_f32 v[30:31], v[50:51], v[18:19], v[30:31] op_sel:[0,0,1] op_sel_hi:[1,0,0]
	v_mov_b32_e32 v35, v31
	v_pk_mul_f32 v[30:31], v[52:53], v[28:29] op_sel:[0,1]
	s_delay_alu instid0(VALU_DEP_2) | instskip(NEXT) | instid1(VALU_DEP_2)
	v_pk_add_f32 v[228:229], v[228:229], v[34:35] neg_lo:[0,1] neg_hi:[0,1]
	v_pk_fma_f32 v[34:35], v[52:53], v[18:19], v[30:31] op_sel:[0,0,1] op_sel_hi:[1,1,0] neg_lo:[0,0,1] neg_hi:[0,0,1]
	v_pk_fma_f32 v[30:31], v[52:53], v[18:19], v[30:31] op_sel:[0,0,1] op_sel_hi:[1,0,0]
	ds_load_2addr_b64 v[50:53], v222 offset0:59 offset1:60
	v_mov_b32_e32 v35, v31
	s_delay_alu instid0(VALU_DEP_1) | instskip(SKIP_3) | instid1(VALU_DEP_2)
	v_pk_add_f32 v[234:235], v[234:235], v[34:35] neg_lo:[0,1] neg_hi:[0,1]
	s_wait_dscnt 0x0
	v_pk_mul_f32 v[30:31], v[50:51], v[28:29] op_sel:[0,1]
	v_mul_f32_e32 v28, v53, v29
	v_pk_fma_f32 v[34:35], v[50:51], v[18:19], v[30:31] op_sel:[0,0,1] op_sel_hi:[1,1,0] neg_lo:[0,0,1] neg_hi:[0,0,1]
	v_pk_fma_f32 v[30:31], v[50:51], v[18:19], v[30:31] op_sel:[0,0,1] op_sel_hi:[1,0,0]
	v_dual_mov_b32 v30, v53 :: v_dual_mul_f32 v18, v53, v18
	s_delay_alu instid0(VALU_DEP_4) | instskip(NEXT) | instid1(VALU_DEP_3)
	v_pk_fma_f32 v[28:29], v[52:53], v[66:67], v[28:29] op_sel_hi:[1,1,0] neg_lo:[0,0,1] neg_hi:[0,0,1]
	v_dual_mov_b32 v35, v31 :: v_dual_mov_b32 v31, v52
	s_delay_alu instid0(VALU_DEP_1) | instskip(NEXT) | instid1(VALU_DEP_2)
	v_pk_add_f32 v[242:243], v[242:243], v[34:35] neg_lo:[0,1] neg_hi:[0,1]
	v_pk_fma_f32 v[18:19], v[30:31], v[66:67], v[18:19] op_sel_hi:[1,1,0]
	s_delay_alu instid0(VALU_DEP_1) | instskip(NEXT) | instid1(VALU_DEP_1)
	v_mov_b32_e32 v29, v19
	v_pk_add_f32 v[244:245], v[244:245], v[28:29] neg_lo:[0,1] neg_hi:[0,1]
.LBB121_118:
	s_or_b32 exec_lo, exec_lo, s1
	s_delay_alu instid0(SALU_CYCLE_1)
	s_mov_b32 s2, exec_lo
	s_wait_dscnt 0x0
	s_barrier_signal -1
	s_barrier_wait -1
	v_cmpx_eq_u32_e32 13, v220
	s_cbranch_execz .LBB121_125
; %bb.119:
	v_dual_mov_b32 v18, v64 :: v_dual_mov_b32 v19, v65
	v_dual_mov_b32 v28, v60 :: v_dual_mov_b32 v29, v61
	ds_store_b64 v221, v[62:63]
	ds_store_2addr_b64 v222, v[18:19], v[28:29] offset0:14 offset1:15
	v_dual_mov_b32 v18, v82 :: v_dual_mov_b32 v19, v83
	v_dual_mov_b32 v28, v78 :: v_dual_mov_b32 v29, v79
	ds_store_2addr_b64 v222, v[18:19], v[28:29] offset0:16 offset1:17
	v_dual_mov_b32 v18, v80 :: v_dual_mov_b32 v19, v81
	v_dual_mov_b32 v28, v76 :: v_dual_mov_b32 v29, v77
	;; [unrolled: 3-line block ×22, first 2 shown]
	ds_store_2addr_b64 v222, v[18:19], v[28:29] offset0:58 offset1:59
	ds_store_b64 v222, v[244:245] offset:480
	ds_load_b64 v[18:19], v221
	s_wait_dscnt 0x0
	v_cmp_neq_f32_e32 vcc_lo, 0, v18
	v_cmp_neq_f32_e64 s1, 0, v19
	s_or_b32 s1, vcc_lo, s1
	s_delay_alu instid0(SALU_CYCLE_1)
	s_and_b32 exec_lo, exec_lo, s1
	s_cbranch_execz .LBB121_125
; %bb.120:
	v_cmp_ngt_f32_e64 s1, |v18|, |v19|
                                        ; implicit-def: $vgpr28_vgpr29
	s_and_saveexec_b32 s4, s1
	s_delay_alu instid0(SALU_CYCLE_1)
	s_xor_b32 s1, exec_lo, s4
	s_cbranch_execz .LBB121_122
; %bb.121:
	v_div_scale_f32 v28, null, v19, v19, v18
	v_div_scale_f32 v31, vcc_lo, v18, v19, v18
	s_delay_alu instid0(VALU_DEP_2) | instskip(SKIP_1) | instid1(TRANS32_DEP_1)
	v_rcp_f32_e32 v29, v28
	v_nop
	v_fma_f32 v30, -v28, v29, 1.0
	s_delay_alu instid0(VALU_DEP_1) | instskip(NEXT) | instid1(VALU_DEP_1)
	v_fmac_f32_e32 v29, v30, v29
	v_mul_f32_e32 v30, v31, v29
	s_delay_alu instid0(VALU_DEP_1) | instskip(NEXT) | instid1(VALU_DEP_1)
	v_fma_f32 v34, -v28, v30, v31
	v_fmac_f32_e32 v30, v34, v29
	s_delay_alu instid0(VALU_DEP_1) | instskip(NEXT) | instid1(VALU_DEP_1)
	v_fma_f32 v28, -v28, v30, v31
	v_div_fmas_f32 v28, v28, v29, v30
	s_delay_alu instid0(VALU_DEP_1) | instskip(NEXT) | instid1(VALU_DEP_1)
	v_div_fixup_f32 v28, v28, v19, v18
	v_fmac_f32_e32 v19, v18, v28
	s_delay_alu instid0(VALU_DEP_1) | instskip(SKIP_1) | instid1(VALU_DEP_2)
	v_div_scale_f32 v18, null, v19, v19, 1.0
	v_div_scale_f32 v31, vcc_lo, 1.0, v19, 1.0
	v_rcp_f32_e32 v29, v18
	v_nop
	s_delay_alu instid0(TRANS32_DEP_1) | instskip(NEXT) | instid1(VALU_DEP_1)
	v_fma_f32 v30, -v18, v29, 1.0
	v_fmac_f32_e32 v29, v30, v29
	s_delay_alu instid0(VALU_DEP_1) | instskip(NEXT) | instid1(VALU_DEP_1)
	v_mul_f32_e32 v30, v31, v29
	v_fma_f32 v34, -v18, v30, v31
	s_delay_alu instid0(VALU_DEP_1) | instskip(NEXT) | instid1(VALU_DEP_1)
	v_fmac_f32_e32 v30, v34, v29
	v_fma_f32 v18, -v18, v30, v31
	s_delay_alu instid0(VALU_DEP_1) | instskip(NEXT) | instid1(VALU_DEP_1)
	v_div_fmas_f32 v18, v18, v29, v30
	v_div_fixup_f32 v18, v18, v19, 1.0
	s_delay_alu instid0(VALU_DEP_1)
	v_mul_f32_e32 v28, v28, v18
	v_xor_b32_e32 v29, 0x80000000, v18
                                        ; implicit-def: $vgpr18_vgpr19
.LBB121_122:
	s_and_not1_saveexec_b32 s1, s1
	s_cbranch_execz .LBB121_124
; %bb.123:
	v_div_scale_f32 v28, null, v18, v18, v19
	v_div_scale_f32 v31, vcc_lo, v19, v18, v19
	s_delay_alu instid0(VALU_DEP_2) | instskip(SKIP_1) | instid1(TRANS32_DEP_1)
	v_rcp_f32_e32 v29, v28
	v_nop
	v_fma_f32 v30, -v28, v29, 1.0
	s_delay_alu instid0(VALU_DEP_1) | instskip(NEXT) | instid1(VALU_DEP_1)
	v_fmac_f32_e32 v29, v30, v29
	v_mul_f32_e32 v30, v31, v29
	s_delay_alu instid0(VALU_DEP_1) | instskip(NEXT) | instid1(VALU_DEP_1)
	v_fma_f32 v34, -v28, v30, v31
	v_fmac_f32_e32 v30, v34, v29
	s_delay_alu instid0(VALU_DEP_1) | instskip(NEXT) | instid1(VALU_DEP_1)
	v_fma_f32 v28, -v28, v30, v31
	v_div_fmas_f32 v28, v28, v29, v30
	s_delay_alu instid0(VALU_DEP_1) | instskip(NEXT) | instid1(VALU_DEP_1)
	v_div_fixup_f32 v29, v28, v18, v19
	v_fmac_f32_e32 v18, v19, v29
	s_delay_alu instid0(VALU_DEP_1) | instskip(NEXT) | instid1(VALU_DEP_1)
	v_div_scale_f32 v19, null, v18, v18, 1.0
	v_rcp_f32_e32 v28, v19
	v_nop
	s_delay_alu instid0(TRANS32_DEP_1) | instskip(NEXT) | instid1(VALU_DEP_1)
	v_fma_f32 v30, -v19, v28, 1.0
	v_fmac_f32_e32 v28, v30, v28
	v_div_scale_f32 v30, vcc_lo, 1.0, v18, 1.0
	s_delay_alu instid0(VALU_DEP_1) | instskip(NEXT) | instid1(VALU_DEP_1)
	v_mul_f32_e32 v31, v30, v28
	v_fma_f32 v34, -v19, v31, v30
	s_delay_alu instid0(VALU_DEP_1) | instskip(NEXT) | instid1(VALU_DEP_1)
	v_fmac_f32_e32 v31, v34, v28
	v_fma_f32 v19, -v19, v31, v30
	s_delay_alu instid0(VALU_DEP_1) | instskip(NEXT) | instid1(VALU_DEP_1)
	v_div_fmas_f32 v19, v19, v28, v31
	v_div_fixup_f32 v28, v19, v18, 1.0
	s_delay_alu instid0(VALU_DEP_1)
	v_mul_f32_e64 v29, v29, -v28
.LBB121_124:
	s_or_b32 exec_lo, exec_lo, s1
	ds_store_b64 v221, v[28:29]
.LBB121_125:
	s_or_b32 exec_lo, exec_lo, s2
	s_wait_dscnt 0x0
	s_barrier_signal -1
	s_barrier_wait -1
	ds_load_b64 v[18:19], v221
	s_mov_b32 s1, exec_lo
	v_cmpx_lt_u32_e32 13, v220
	s_cbranch_execz .LBB121_127
; %bb.126:
	ds_load_2addr_b64 v[50:53], v222 offset0:14 offset1:15
	s_wait_dscnt 0x1
	v_pk_mul_f32 v[30:31], v[18:19], v[62:63] op_sel:[1,1] op_sel_hi:[0,1]
	s_delay_alu instid0(VALU_DEP_1) | instskip(SKIP_1) | instid1(VALU_DEP_1)
	v_pk_fma_f32 v[28:29], v[18:19], v[62:63], v[30:31] op_sel_hi:[1,0,1] neg_lo:[0,0,1] neg_hi:[0,0,1]
	v_pk_fma_f32 v[30:31], v[18:19], v[62:63], v[30:31] op_sel_hi:[1,0,1]
	v_dual_mov_b32 v62, v28 :: v_dual_mov_b32 v63, v31
	s_wait_dscnt 0x0
	s_delay_alu instid0(VALU_DEP_2) | instskip(NEXT) | instid1(VALU_DEP_1)
	v_pk_mul_f32 v[34:35], v[50:51], v[30:31] op_sel:[0,1]
	v_pk_fma_f32 v[44:45], v[50:51], v[28:29], v[34:35] op_sel:[0,0,1] op_sel_hi:[1,1,0] neg_lo:[0,0,1] neg_hi:[0,0,1]
	v_pk_fma_f32 v[34:35], v[50:51], v[28:29], v[34:35] op_sel:[0,0,1] op_sel_hi:[1,0,0]
	s_delay_alu instid0(VALU_DEP_1) | instskip(SKIP_1) | instid1(VALU_DEP_2)
	v_mov_b32_e32 v45, v35
	v_pk_mul_f32 v[34:35], v[52:53], v[30:31] op_sel:[0,1]
	v_pk_add_f32 v[64:65], v[64:65], v[44:45] neg_lo:[0,1] neg_hi:[0,1]
	s_delay_alu instid0(VALU_DEP_2) | instskip(SKIP_3) | instid1(VALU_DEP_1)
	v_pk_fma_f32 v[44:45], v[52:53], v[28:29], v[34:35] op_sel:[0,0,1] op_sel_hi:[1,1,0] neg_lo:[0,0,1] neg_hi:[0,0,1]
	v_pk_fma_f32 v[34:35], v[52:53], v[28:29], v[34:35] op_sel:[0,0,1] op_sel_hi:[1,0,0]
	ds_load_2addr_b64 v[50:53], v222 offset0:16 offset1:17
	v_mov_b32_e32 v45, v35
	v_pk_add_f32 v[60:61], v[60:61], v[44:45] neg_lo:[0,1] neg_hi:[0,1]
	s_wait_dscnt 0x0
	v_pk_mul_f32 v[34:35], v[50:51], v[30:31] op_sel:[0,1]
	s_delay_alu instid0(VALU_DEP_1) | instskip(SKIP_2) | instid1(VALU_DEP_2)
	v_pk_fma_f32 v[44:45], v[50:51], v[28:29], v[34:35] op_sel:[0,0,1] op_sel_hi:[1,1,0] neg_lo:[0,0,1] neg_hi:[0,0,1]
	v_pk_fma_f32 v[34:35], v[50:51], v[28:29], v[34:35] op_sel:[0,0,1] op_sel_hi:[1,0,0]
	v_dual_mov_b32 v34, v53 :: v_dual_mul_f32 v50, v53, v28
	v_dual_mov_b32 v45, v35 :: v_dual_mov_b32 v35, v52
	s_delay_alu instid0(VALU_DEP_1) | instskip(SKIP_1) | instid1(VALU_DEP_3)
	v_pk_add_f32 v[82:83], v[82:83], v[44:45] neg_lo:[0,1] neg_hi:[0,1]
	v_mul_f32_e32 v44, v53, v31
	v_pk_fma_f32 v[34:35], v[34:35], v[62:63], v[50:51] op_sel_hi:[1,1,0]
	s_delay_alu instid0(VALU_DEP_2) | instskip(SKIP_2) | instid1(VALU_DEP_1)
	v_pk_fma_f32 v[44:45], v[52:53], v[62:63], v[44:45] op_sel_hi:[1,1,0] neg_lo:[0,0,1] neg_hi:[0,0,1]
	ds_load_2addr_b64 v[50:53], v222 offset0:18 offset1:19
	v_mov_b32_e32 v45, v35
	v_pk_add_f32 v[78:79], v[78:79], v[44:45] neg_lo:[0,1] neg_hi:[0,1]
	s_wait_dscnt 0x0
	v_pk_mul_f32 v[34:35], v[50:51], v[30:31] op_sel:[0,1]
	s_delay_alu instid0(VALU_DEP_1) | instskip(SKIP_1) | instid1(VALU_DEP_1)
	v_pk_fma_f32 v[44:45], v[50:51], v[28:29], v[34:35] op_sel:[0,0,1] op_sel_hi:[1,1,0] neg_lo:[0,0,1] neg_hi:[0,0,1]
	v_pk_fma_f32 v[34:35], v[50:51], v[28:29], v[34:35] op_sel:[0,0,1] op_sel_hi:[1,0,0]
	v_mov_b32_e32 v45, v35
	v_pk_mul_f32 v[34:35], v[52:53], v[30:31] op_sel:[0,1]
	s_delay_alu instid0(VALU_DEP_2) | instskip(NEXT) | instid1(VALU_DEP_2)
	v_pk_add_f32 v[80:81], v[80:81], v[44:45] neg_lo:[0,1] neg_hi:[0,1]
	v_pk_fma_f32 v[44:45], v[52:53], v[28:29], v[34:35] op_sel:[0,0,1] op_sel_hi:[1,1,0] neg_lo:[0,0,1] neg_hi:[0,0,1]
	v_pk_fma_f32 v[34:35], v[52:53], v[28:29], v[34:35] op_sel:[0,0,1] op_sel_hi:[1,0,0]
	ds_load_2addr_b64 v[50:53], v222 offset0:20 offset1:21
	v_mov_b32_e32 v45, v35
	s_delay_alu instid0(VALU_DEP_1) | instskip(SKIP_2) | instid1(VALU_DEP_1)
	v_pk_add_f32 v[76:77], v[76:77], v[44:45] neg_lo:[0,1] neg_hi:[0,1]
	s_wait_dscnt 0x0
	v_pk_mul_f32 v[34:35], v[50:51], v[30:31] op_sel:[0,1]
	v_pk_fma_f32 v[44:45], v[50:51], v[28:29], v[34:35] op_sel:[0,0,1] op_sel_hi:[1,1,0] neg_lo:[0,0,1] neg_hi:[0,0,1]
	v_pk_fma_f32 v[34:35], v[50:51], v[28:29], v[34:35] op_sel:[0,0,1] op_sel_hi:[1,0,0]
	s_delay_alu instid0(VALU_DEP_1) | instskip(SKIP_1) | instid1(VALU_DEP_2)
	v_mov_b32_e32 v45, v35
	v_pk_mul_f32 v[34:35], v[52:53], v[30:31] op_sel:[0,1]
	v_pk_add_f32 v[98:99], v[98:99], v[44:45] neg_lo:[0,1] neg_hi:[0,1]
	s_delay_alu instid0(VALU_DEP_2) | instskip(SKIP_3) | instid1(VALU_DEP_1)
	v_pk_fma_f32 v[44:45], v[52:53], v[28:29], v[34:35] op_sel:[0,0,1] op_sel_hi:[1,1,0] neg_lo:[0,0,1] neg_hi:[0,0,1]
	v_pk_fma_f32 v[34:35], v[52:53], v[28:29], v[34:35] op_sel:[0,0,1] op_sel_hi:[1,0,0]
	ds_load_2addr_b64 v[50:53], v222 offset0:22 offset1:23
	v_mov_b32_e32 v45, v35
	v_pk_add_f32 v[94:95], v[94:95], v[44:45] neg_lo:[0,1] neg_hi:[0,1]
	s_wait_dscnt 0x0
	v_dual_mul_f32 v34, v51, v31 :: v_dual_mul_f32 v44, v51, v28
	s_delay_alu instid0(VALU_DEP_1) | instskip(NEXT) | instid1(VALU_DEP_2)
	v_pk_fma_f32 v[34:35], v[50:51], v[62:63], v[34:35] op_sel_hi:[1,1,0] neg_lo:[0,0,1] neg_hi:[0,0,1]
	v_pk_fma_f32 v[44:45], v[50:51], v[62:63], v[44:45] op_sel:[1,0,0] op_sel_hi:[0,1,0]
	s_delay_alu instid0(VALU_DEP_1) | instskip(NEXT) | instid1(VALU_DEP_1)
	v_mov_b32_e32 v35, v45
	v_pk_add_f32 v[96:97], v[96:97], v[34:35] neg_lo:[0,1] neg_hi:[0,1]
	v_pk_mul_f32 v[34:35], v[52:53], v[30:31] op_sel:[0,1]
	s_delay_alu instid0(VALU_DEP_1) | instskip(SKIP_3) | instid1(VALU_DEP_1)
	v_pk_fma_f32 v[44:45], v[52:53], v[28:29], v[34:35] op_sel:[0,0,1] op_sel_hi:[1,1,0] neg_lo:[0,0,1] neg_hi:[0,0,1]
	v_pk_fma_f32 v[34:35], v[52:53], v[28:29], v[34:35] op_sel:[0,0,1] op_sel_hi:[1,0,0]
	ds_load_2addr_b64 v[50:53], v222 offset0:24 offset1:25
	v_mov_b32_e32 v45, v35
	v_pk_add_f32 v[92:93], v[92:93], v[44:45] neg_lo:[0,1] neg_hi:[0,1]
	s_wait_dscnt 0x0
	v_pk_mul_f32 v[34:35], v[50:51], v[30:31] op_sel:[0,1]
	s_delay_alu instid0(VALU_DEP_1) | instskip(SKIP_1) | instid1(VALU_DEP_1)
	v_pk_fma_f32 v[44:45], v[50:51], v[28:29], v[34:35] op_sel:[0,0,1] op_sel_hi:[1,1,0] neg_lo:[0,0,1] neg_hi:[0,0,1]
	v_pk_fma_f32 v[34:35], v[50:51], v[28:29], v[34:35] op_sel:[0,0,1] op_sel_hi:[1,0,0]
	v_mov_b32_e32 v45, v35
	v_pk_mul_f32 v[34:35], v[52:53], v[30:31] op_sel:[0,1]
	s_delay_alu instid0(VALU_DEP_2) | instskip(NEXT) | instid1(VALU_DEP_2)
	v_pk_add_f32 v[114:115], v[114:115], v[44:45] neg_lo:[0,1] neg_hi:[0,1]
	v_pk_fma_f32 v[44:45], v[52:53], v[28:29], v[34:35] op_sel:[0,0,1] op_sel_hi:[1,1,0] neg_lo:[0,0,1] neg_hi:[0,0,1]
	v_pk_fma_f32 v[34:35], v[52:53], v[28:29], v[34:35] op_sel:[0,0,1] op_sel_hi:[1,0,0]
	ds_load_2addr_b64 v[50:53], v222 offset0:26 offset1:27
	v_mov_b32_e32 v45, v35
	s_delay_alu instid0(VALU_DEP_1) | instskip(SKIP_2) | instid1(VALU_DEP_1)
	v_pk_add_f32 v[110:111], v[110:111], v[44:45] neg_lo:[0,1] neg_hi:[0,1]
	s_wait_dscnt 0x0
	v_pk_mul_f32 v[34:35], v[50:51], v[30:31] op_sel:[0,1]
	v_pk_fma_f32 v[44:45], v[50:51], v[28:29], v[34:35] op_sel:[0,0,1] op_sel_hi:[1,1,0] neg_lo:[0,0,1] neg_hi:[0,0,1]
	v_pk_fma_f32 v[34:35], v[50:51], v[28:29], v[34:35] op_sel:[0,0,1] op_sel_hi:[1,0,0]
	v_dual_mov_b32 v34, v53 :: v_dual_mul_f32 v50, v53, v28
	s_delay_alu instid0(VALU_DEP_2) | instskip(NEXT) | instid1(VALU_DEP_1)
	v_dual_mov_b32 v45, v35 :: v_dual_mov_b32 v35, v52
	v_pk_add_f32 v[112:113], v[112:113], v[44:45] neg_lo:[0,1] neg_hi:[0,1]
	v_mul_f32_e32 v44, v53, v31
	s_delay_alu instid0(VALU_DEP_3) | instskip(NEXT) | instid1(VALU_DEP_2)
	v_pk_fma_f32 v[34:35], v[34:35], v[62:63], v[50:51] op_sel_hi:[1,1,0]
	v_pk_fma_f32 v[44:45], v[52:53], v[62:63], v[44:45] op_sel_hi:[1,1,0] neg_lo:[0,0,1] neg_hi:[0,0,1]
	ds_load_2addr_b64 v[50:53], v222 offset0:28 offset1:29
	v_mov_b32_e32 v45, v35
	s_delay_alu instid0(VALU_DEP_1) | instskip(SKIP_2) | instid1(VALU_DEP_1)
	v_pk_add_f32 v[108:109], v[108:109], v[44:45] neg_lo:[0,1] neg_hi:[0,1]
	s_wait_dscnt 0x0
	v_pk_mul_f32 v[34:35], v[50:51], v[30:31] op_sel:[0,1]
	v_pk_fma_f32 v[44:45], v[50:51], v[28:29], v[34:35] op_sel:[0,0,1] op_sel_hi:[1,1,0] neg_lo:[0,0,1] neg_hi:[0,0,1]
	v_pk_fma_f32 v[34:35], v[50:51], v[28:29], v[34:35] op_sel:[0,0,1] op_sel_hi:[1,0,0]
	s_delay_alu instid0(VALU_DEP_1) | instskip(SKIP_1) | instid1(VALU_DEP_2)
	v_mov_b32_e32 v45, v35
	v_pk_mul_f32 v[34:35], v[52:53], v[30:31] op_sel:[0,1]
	v_pk_add_f32 v[130:131], v[130:131], v[44:45] neg_lo:[0,1] neg_hi:[0,1]
	s_delay_alu instid0(VALU_DEP_2) | instskip(SKIP_3) | instid1(VALU_DEP_1)
	v_pk_fma_f32 v[44:45], v[52:53], v[28:29], v[34:35] op_sel:[0,0,1] op_sel_hi:[1,1,0] neg_lo:[0,0,1] neg_hi:[0,0,1]
	v_pk_fma_f32 v[34:35], v[52:53], v[28:29], v[34:35] op_sel:[0,0,1] op_sel_hi:[1,0,0]
	ds_load_2addr_b64 v[50:53], v222 offset0:30 offset1:31
	v_mov_b32_e32 v45, v35
	v_pk_add_f32 v[126:127], v[126:127], v[44:45] neg_lo:[0,1] neg_hi:[0,1]
	s_wait_dscnt 0x0
	v_pk_mul_f32 v[34:35], v[50:51], v[30:31] op_sel:[0,1]
	s_delay_alu instid0(VALU_DEP_1) | instskip(SKIP_1) | instid1(VALU_DEP_1)
	v_pk_fma_f32 v[44:45], v[50:51], v[28:29], v[34:35] op_sel:[0,0,1] op_sel_hi:[1,1,0] neg_lo:[0,0,1] neg_hi:[0,0,1]
	v_pk_fma_f32 v[34:35], v[50:51], v[28:29], v[34:35] op_sel:[0,0,1] op_sel_hi:[1,0,0]
	v_mov_b32_e32 v45, v35
	v_pk_mul_f32 v[34:35], v[52:53], v[30:31] op_sel:[0,1]
	s_delay_alu instid0(VALU_DEP_2) | instskip(NEXT) | instid1(VALU_DEP_2)
	v_pk_add_f32 v[128:129], v[128:129], v[44:45] neg_lo:[0,1] neg_hi:[0,1]
	v_pk_fma_f32 v[44:45], v[52:53], v[28:29], v[34:35] op_sel:[0,0,1] op_sel_hi:[1,1,0] neg_lo:[0,0,1] neg_hi:[0,0,1]
	v_pk_fma_f32 v[34:35], v[52:53], v[28:29], v[34:35] op_sel:[0,0,1] op_sel_hi:[1,0,0]
	ds_load_2addr_b64 v[50:53], v222 offset0:32 offset1:33
	v_mov_b32_e32 v45, v35
	s_delay_alu instid0(VALU_DEP_1) | instskip(SKIP_2) | instid1(VALU_DEP_1)
	v_pk_add_f32 v[124:125], v[124:125], v[44:45] neg_lo:[0,1] neg_hi:[0,1]
	s_wait_dscnt 0x0
	v_dual_mul_f32 v44, v51, v28 :: v_dual_mul_f32 v34, v51, v31
	v_pk_fma_f32 v[44:45], v[50:51], v[62:63], v[44:45] op_sel:[1,0,0] op_sel_hi:[0,1,0]
	s_delay_alu instid0(VALU_DEP_2) | instskip(NEXT) | instid1(VALU_DEP_2)
	v_pk_fma_f32 v[34:35], v[50:51], v[62:63], v[34:35] op_sel_hi:[1,1,0] neg_lo:[0,0,1] neg_hi:[0,0,1]
	v_mov_b32_e32 v35, v45
	s_delay_alu instid0(VALU_DEP_1) | instskip(SKIP_1) | instid1(VALU_DEP_1)
	v_pk_add_f32 v[146:147], v[146:147], v[34:35] neg_lo:[0,1] neg_hi:[0,1]
	v_pk_mul_f32 v[34:35], v[52:53], v[30:31] op_sel:[0,1]
	v_pk_fma_f32 v[44:45], v[52:53], v[28:29], v[34:35] op_sel:[0,0,1] op_sel_hi:[1,1,0] neg_lo:[0,0,1] neg_hi:[0,0,1]
	v_pk_fma_f32 v[34:35], v[52:53], v[28:29], v[34:35] op_sel:[0,0,1] op_sel_hi:[1,0,0]
	ds_load_2addr_b64 v[50:53], v222 offset0:34 offset1:35
	v_mov_b32_e32 v45, v35
	s_delay_alu instid0(VALU_DEP_1) | instskip(SKIP_2) | instid1(VALU_DEP_1)
	v_pk_add_f32 v[142:143], v[142:143], v[44:45] neg_lo:[0,1] neg_hi:[0,1]
	s_wait_dscnt 0x0
	v_pk_mul_f32 v[34:35], v[50:51], v[30:31] op_sel:[0,1]
	v_pk_fma_f32 v[44:45], v[50:51], v[28:29], v[34:35] op_sel:[0,0,1] op_sel_hi:[1,1,0] neg_lo:[0,0,1] neg_hi:[0,0,1]
	v_pk_fma_f32 v[34:35], v[50:51], v[28:29], v[34:35] op_sel:[0,0,1] op_sel_hi:[1,0,0]
	s_delay_alu instid0(VALU_DEP_1) | instskip(SKIP_1) | instid1(VALU_DEP_2)
	v_mov_b32_e32 v45, v35
	v_pk_mul_f32 v[34:35], v[52:53], v[30:31] op_sel:[0,1]
	v_pk_add_f32 v[144:145], v[144:145], v[44:45] neg_lo:[0,1] neg_hi:[0,1]
	s_delay_alu instid0(VALU_DEP_2) | instskip(SKIP_3) | instid1(VALU_DEP_1)
	v_pk_fma_f32 v[44:45], v[52:53], v[28:29], v[34:35] op_sel:[0,0,1] op_sel_hi:[1,1,0] neg_lo:[0,0,1] neg_hi:[0,0,1]
	v_pk_fma_f32 v[34:35], v[52:53], v[28:29], v[34:35] op_sel:[0,0,1] op_sel_hi:[1,0,0]
	ds_load_2addr_b64 v[50:53], v222 offset0:36 offset1:37
	v_mov_b32_e32 v45, v35
	v_pk_add_f32 v[140:141], v[140:141], v[44:45] neg_lo:[0,1] neg_hi:[0,1]
	s_wait_dscnt 0x0
	v_pk_mul_f32 v[34:35], v[50:51], v[30:31] op_sel:[0,1]
	s_delay_alu instid0(VALU_DEP_1) | instskip(SKIP_2) | instid1(VALU_DEP_2)
	v_pk_fma_f32 v[44:45], v[50:51], v[28:29], v[34:35] op_sel:[0,0,1] op_sel_hi:[1,1,0] neg_lo:[0,0,1] neg_hi:[0,0,1]
	v_pk_fma_f32 v[34:35], v[50:51], v[28:29], v[34:35] op_sel:[0,0,1] op_sel_hi:[1,0,0]
	v_dual_mov_b32 v34, v53 :: v_dual_mul_f32 v50, v53, v28
	v_dual_mov_b32 v45, v35 :: v_dual_mov_b32 v35, v52
	s_delay_alu instid0(VALU_DEP_1) | instskip(SKIP_1) | instid1(VALU_DEP_3)
	v_pk_add_f32 v[162:163], v[162:163], v[44:45] neg_lo:[0,1] neg_hi:[0,1]
	v_mul_f32_e32 v44, v53, v31
	v_pk_fma_f32 v[34:35], v[34:35], v[62:63], v[50:51] op_sel_hi:[1,1,0]
	s_delay_alu instid0(VALU_DEP_2) | instskip(SKIP_2) | instid1(VALU_DEP_1)
	v_pk_fma_f32 v[44:45], v[52:53], v[62:63], v[44:45] op_sel_hi:[1,1,0] neg_lo:[0,0,1] neg_hi:[0,0,1]
	ds_load_2addr_b64 v[50:53], v222 offset0:38 offset1:39
	v_mov_b32_e32 v45, v35
	v_pk_add_f32 v[158:159], v[158:159], v[44:45] neg_lo:[0,1] neg_hi:[0,1]
	s_wait_dscnt 0x0
	v_pk_mul_f32 v[34:35], v[50:51], v[30:31] op_sel:[0,1]
	s_delay_alu instid0(VALU_DEP_1) | instskip(SKIP_1) | instid1(VALU_DEP_1)
	v_pk_fma_f32 v[44:45], v[50:51], v[28:29], v[34:35] op_sel:[0,0,1] op_sel_hi:[1,1,0] neg_lo:[0,0,1] neg_hi:[0,0,1]
	v_pk_fma_f32 v[34:35], v[50:51], v[28:29], v[34:35] op_sel:[0,0,1] op_sel_hi:[1,0,0]
	v_mov_b32_e32 v45, v35
	v_pk_mul_f32 v[34:35], v[52:53], v[30:31] op_sel:[0,1]
	s_delay_alu instid0(VALU_DEP_2) | instskip(NEXT) | instid1(VALU_DEP_2)
	v_pk_add_f32 v[160:161], v[160:161], v[44:45] neg_lo:[0,1] neg_hi:[0,1]
	v_pk_fma_f32 v[44:45], v[52:53], v[28:29], v[34:35] op_sel:[0,0,1] op_sel_hi:[1,1,0] neg_lo:[0,0,1] neg_hi:[0,0,1]
	v_pk_fma_f32 v[34:35], v[52:53], v[28:29], v[34:35] op_sel:[0,0,1] op_sel_hi:[1,0,0]
	ds_load_2addr_b64 v[50:53], v222 offset0:40 offset1:41
	v_mov_b32_e32 v45, v35
	s_delay_alu instid0(VALU_DEP_1) | instskip(SKIP_2) | instid1(VALU_DEP_1)
	v_pk_add_f32 v[156:157], v[156:157], v[44:45] neg_lo:[0,1] neg_hi:[0,1]
	s_wait_dscnt 0x0
	v_pk_mul_f32 v[34:35], v[50:51], v[30:31] op_sel:[0,1]
	v_pk_fma_f32 v[44:45], v[50:51], v[28:29], v[34:35] op_sel:[0,0,1] op_sel_hi:[1,1,0] neg_lo:[0,0,1] neg_hi:[0,0,1]
	v_pk_fma_f32 v[34:35], v[50:51], v[28:29], v[34:35] op_sel:[0,0,1] op_sel_hi:[1,0,0]
	s_delay_alu instid0(VALU_DEP_1) | instskip(SKIP_1) | instid1(VALU_DEP_2)
	v_mov_b32_e32 v45, v35
	v_pk_mul_f32 v[34:35], v[52:53], v[30:31] op_sel:[0,1]
	v_pk_add_f32 v[178:179], v[178:179], v[44:45] neg_lo:[0,1] neg_hi:[0,1]
	s_delay_alu instid0(VALU_DEP_2) | instskip(SKIP_3) | instid1(VALU_DEP_1)
	v_pk_fma_f32 v[44:45], v[52:53], v[28:29], v[34:35] op_sel:[0,0,1] op_sel_hi:[1,1,0] neg_lo:[0,0,1] neg_hi:[0,0,1]
	v_pk_fma_f32 v[34:35], v[52:53], v[28:29], v[34:35] op_sel:[0,0,1] op_sel_hi:[1,0,0]
	ds_load_2addr_b64 v[50:53], v222 offset0:42 offset1:43
	v_mov_b32_e32 v45, v35
	v_pk_add_f32 v[174:175], v[174:175], v[44:45] neg_lo:[0,1] neg_hi:[0,1]
	s_wait_dscnt 0x0
	v_dual_mul_f32 v34, v51, v31 :: v_dual_mul_f32 v44, v51, v28
	s_delay_alu instid0(VALU_DEP_1) | instskip(NEXT) | instid1(VALU_DEP_2)
	v_pk_fma_f32 v[34:35], v[50:51], v[62:63], v[34:35] op_sel_hi:[1,1,0] neg_lo:[0,0,1] neg_hi:[0,0,1]
	v_pk_fma_f32 v[44:45], v[50:51], v[62:63], v[44:45] op_sel:[1,0,0] op_sel_hi:[0,1,0]
	s_delay_alu instid0(VALU_DEP_1) | instskip(NEXT) | instid1(VALU_DEP_1)
	v_mov_b32_e32 v35, v45
	v_pk_add_f32 v[176:177], v[176:177], v[34:35] neg_lo:[0,1] neg_hi:[0,1]
	v_pk_mul_f32 v[34:35], v[52:53], v[30:31] op_sel:[0,1]
	s_delay_alu instid0(VALU_DEP_1) | instskip(SKIP_3) | instid1(VALU_DEP_1)
	v_pk_fma_f32 v[44:45], v[52:53], v[28:29], v[34:35] op_sel:[0,0,1] op_sel_hi:[1,1,0] neg_lo:[0,0,1] neg_hi:[0,0,1]
	v_pk_fma_f32 v[34:35], v[52:53], v[28:29], v[34:35] op_sel:[0,0,1] op_sel_hi:[1,0,0]
	ds_load_2addr_b64 v[50:53], v222 offset0:44 offset1:45
	v_mov_b32_e32 v45, v35
	v_pk_add_f32 v[172:173], v[172:173], v[44:45] neg_lo:[0,1] neg_hi:[0,1]
	s_wait_dscnt 0x0
	v_pk_mul_f32 v[34:35], v[50:51], v[30:31] op_sel:[0,1]
	s_delay_alu instid0(VALU_DEP_1) | instskip(SKIP_1) | instid1(VALU_DEP_1)
	v_pk_fma_f32 v[44:45], v[50:51], v[28:29], v[34:35] op_sel:[0,0,1] op_sel_hi:[1,1,0] neg_lo:[0,0,1] neg_hi:[0,0,1]
	v_pk_fma_f32 v[34:35], v[50:51], v[28:29], v[34:35] op_sel:[0,0,1] op_sel_hi:[1,0,0]
	v_mov_b32_e32 v45, v35
	v_pk_mul_f32 v[34:35], v[52:53], v[30:31] op_sel:[0,1]
	s_delay_alu instid0(VALU_DEP_2) | instskip(NEXT) | instid1(VALU_DEP_2)
	v_pk_add_f32 v[194:195], v[194:195], v[44:45] neg_lo:[0,1] neg_hi:[0,1]
	v_pk_fma_f32 v[44:45], v[52:53], v[28:29], v[34:35] op_sel:[0,0,1] op_sel_hi:[1,1,0] neg_lo:[0,0,1] neg_hi:[0,0,1]
	v_pk_fma_f32 v[34:35], v[52:53], v[28:29], v[34:35] op_sel:[0,0,1] op_sel_hi:[1,0,0]
	ds_load_2addr_b64 v[50:53], v222 offset0:46 offset1:47
	v_mov_b32_e32 v45, v35
	s_delay_alu instid0(VALU_DEP_1) | instskip(SKIP_2) | instid1(VALU_DEP_1)
	v_pk_add_f32 v[190:191], v[190:191], v[44:45] neg_lo:[0,1] neg_hi:[0,1]
	s_wait_dscnt 0x0
	v_pk_mul_f32 v[34:35], v[50:51], v[30:31] op_sel:[0,1]
	v_pk_fma_f32 v[44:45], v[50:51], v[28:29], v[34:35] op_sel:[0,0,1] op_sel_hi:[1,1,0] neg_lo:[0,0,1] neg_hi:[0,0,1]
	v_pk_fma_f32 v[34:35], v[50:51], v[28:29], v[34:35] op_sel:[0,0,1] op_sel_hi:[1,0,0]
	v_dual_mov_b32 v34, v53 :: v_dual_mul_f32 v50, v53, v28
	s_delay_alu instid0(VALU_DEP_2) | instskip(NEXT) | instid1(VALU_DEP_1)
	v_dual_mov_b32 v45, v35 :: v_dual_mov_b32 v35, v52
	v_pk_add_f32 v[192:193], v[192:193], v[44:45] neg_lo:[0,1] neg_hi:[0,1]
	v_mul_f32_e32 v44, v53, v31
	s_delay_alu instid0(VALU_DEP_3) | instskip(NEXT) | instid1(VALU_DEP_2)
	v_pk_fma_f32 v[34:35], v[34:35], v[62:63], v[50:51] op_sel_hi:[1,1,0]
	v_pk_fma_f32 v[44:45], v[52:53], v[62:63], v[44:45] op_sel_hi:[1,1,0] neg_lo:[0,0,1] neg_hi:[0,0,1]
	ds_load_2addr_b64 v[50:53], v222 offset0:48 offset1:49
	v_mov_b32_e32 v45, v35
	s_delay_alu instid0(VALU_DEP_1) | instskip(SKIP_2) | instid1(VALU_DEP_1)
	v_pk_add_f32 v[188:189], v[188:189], v[44:45] neg_lo:[0,1] neg_hi:[0,1]
	s_wait_dscnt 0x0
	v_pk_mul_f32 v[34:35], v[50:51], v[30:31] op_sel:[0,1]
	v_pk_fma_f32 v[44:45], v[50:51], v[28:29], v[34:35] op_sel:[0,0,1] op_sel_hi:[1,1,0] neg_lo:[0,0,1] neg_hi:[0,0,1]
	v_pk_fma_f32 v[34:35], v[50:51], v[28:29], v[34:35] op_sel:[0,0,1] op_sel_hi:[1,0,0]
	s_delay_alu instid0(VALU_DEP_1) | instskip(SKIP_1) | instid1(VALU_DEP_2)
	v_mov_b32_e32 v45, v35
	v_pk_mul_f32 v[34:35], v[52:53], v[30:31] op_sel:[0,1]
	v_pk_add_f32 v[216:217], v[216:217], v[44:45] neg_lo:[0,1] neg_hi:[0,1]
	s_delay_alu instid0(VALU_DEP_2) | instskip(SKIP_3) | instid1(VALU_DEP_1)
	v_pk_fma_f32 v[44:45], v[52:53], v[28:29], v[34:35] op_sel:[0,0,1] op_sel_hi:[1,1,0] neg_lo:[0,0,1] neg_hi:[0,0,1]
	v_pk_fma_f32 v[34:35], v[52:53], v[28:29], v[34:35] op_sel:[0,0,1] op_sel_hi:[1,0,0]
	ds_load_2addr_b64 v[50:53], v222 offset0:50 offset1:51
	v_mov_b32_e32 v45, v35
	v_pk_add_f32 v[212:213], v[212:213], v[44:45] neg_lo:[0,1] neg_hi:[0,1]
	s_wait_dscnt 0x0
	v_pk_mul_f32 v[34:35], v[50:51], v[30:31] op_sel:[0,1]
	s_delay_alu instid0(VALU_DEP_1) | instskip(SKIP_1) | instid1(VALU_DEP_1)
	v_pk_fma_f32 v[44:45], v[50:51], v[28:29], v[34:35] op_sel:[0,0,1] op_sel_hi:[1,1,0] neg_lo:[0,0,1] neg_hi:[0,0,1]
	v_pk_fma_f32 v[34:35], v[50:51], v[28:29], v[34:35] op_sel:[0,0,1] op_sel_hi:[1,0,0]
	v_mov_b32_e32 v45, v35
	v_pk_mul_f32 v[34:35], v[52:53], v[30:31] op_sel:[0,1]
	s_delay_alu instid0(VALU_DEP_2) | instskip(NEXT) | instid1(VALU_DEP_2)
	v_pk_add_f32 v[214:215], v[214:215], v[44:45] neg_lo:[0,1] neg_hi:[0,1]
	v_pk_fma_f32 v[44:45], v[52:53], v[28:29], v[34:35] op_sel:[0,0,1] op_sel_hi:[1,1,0] neg_lo:[0,0,1] neg_hi:[0,0,1]
	v_pk_fma_f32 v[34:35], v[52:53], v[28:29], v[34:35] op_sel:[0,0,1] op_sel_hi:[1,0,0]
	ds_load_2addr_b64 v[50:53], v222 offset0:52 offset1:53
	v_mov_b32_e32 v45, v35
	s_delay_alu instid0(VALU_DEP_1) | instskip(SKIP_2) | instid1(VALU_DEP_1)
	v_pk_add_f32 v[210:211], v[210:211], v[44:45] neg_lo:[0,1] neg_hi:[0,1]
	s_wait_dscnt 0x0
	v_dual_mul_f32 v44, v51, v28 :: v_dual_mul_f32 v34, v51, v31
	v_pk_fma_f32 v[44:45], v[50:51], v[62:63], v[44:45] op_sel:[1,0,0] op_sel_hi:[0,1,0]
	s_delay_alu instid0(VALU_DEP_2) | instskip(NEXT) | instid1(VALU_DEP_2)
	v_pk_fma_f32 v[34:35], v[50:51], v[62:63], v[34:35] op_sel_hi:[1,1,0] neg_lo:[0,0,1] neg_hi:[0,0,1]
	v_mov_b32_e32 v35, v45
	s_delay_alu instid0(VALU_DEP_1) | instskip(SKIP_1) | instid1(VALU_DEP_1)
	v_pk_add_f32 v[240:241], v[240:241], v[34:35] neg_lo:[0,1] neg_hi:[0,1]
	v_pk_mul_f32 v[34:35], v[52:53], v[30:31] op_sel:[0,1]
	v_pk_fma_f32 v[44:45], v[52:53], v[28:29], v[34:35] op_sel:[0,0,1] op_sel_hi:[1,1,0] neg_lo:[0,0,1] neg_hi:[0,0,1]
	v_pk_fma_f32 v[34:35], v[52:53], v[28:29], v[34:35] op_sel:[0,0,1] op_sel_hi:[1,0,0]
	ds_load_2addr_b64 v[50:53], v222 offset0:54 offset1:55
	v_mov_b32_e32 v45, v35
	s_delay_alu instid0(VALU_DEP_1) | instskip(SKIP_2) | instid1(VALU_DEP_1)
	v_pk_add_f32 v[232:233], v[232:233], v[44:45] neg_lo:[0,1] neg_hi:[0,1]
	s_wait_dscnt 0x0
	v_pk_mul_f32 v[34:35], v[50:51], v[30:31] op_sel:[0,1]
	v_pk_fma_f32 v[44:45], v[50:51], v[28:29], v[34:35] op_sel:[0,0,1] op_sel_hi:[1,1,0] neg_lo:[0,0,1] neg_hi:[0,0,1]
	v_pk_fma_f32 v[34:35], v[50:51], v[28:29], v[34:35] op_sel:[0,0,1] op_sel_hi:[1,0,0]
	s_delay_alu instid0(VALU_DEP_1) | instskip(SKIP_1) | instid1(VALU_DEP_2)
	v_mov_b32_e32 v45, v35
	v_pk_mul_f32 v[34:35], v[52:53], v[30:31] op_sel:[0,1]
	v_pk_add_f32 v[238:239], v[238:239], v[44:45] neg_lo:[0,1] neg_hi:[0,1]
	s_delay_alu instid0(VALU_DEP_2) | instskip(SKIP_3) | instid1(VALU_DEP_1)
	v_pk_fma_f32 v[44:45], v[52:53], v[28:29], v[34:35] op_sel:[0,0,1] op_sel_hi:[1,1,0] neg_lo:[0,0,1] neg_hi:[0,0,1]
	v_pk_fma_f32 v[34:35], v[52:53], v[28:29], v[34:35] op_sel:[0,0,1] op_sel_hi:[1,0,0]
	ds_load_2addr_b64 v[50:53], v222 offset0:56 offset1:57
	v_mov_b32_e32 v45, v35
	v_pk_add_f32 v[230:231], v[230:231], v[44:45] neg_lo:[0,1] neg_hi:[0,1]
	s_wait_dscnt 0x0
	v_pk_mul_f32 v[34:35], v[50:51], v[30:31] op_sel:[0,1]
	s_delay_alu instid0(VALU_DEP_1) | instskip(SKIP_2) | instid1(VALU_DEP_2)
	v_pk_fma_f32 v[44:45], v[50:51], v[28:29], v[34:35] op_sel:[0,0,1] op_sel_hi:[1,1,0] neg_lo:[0,0,1] neg_hi:[0,0,1]
	v_pk_fma_f32 v[34:35], v[50:51], v[28:29], v[34:35] op_sel:[0,0,1] op_sel_hi:[1,0,0]
	v_dual_mov_b32 v34, v53 :: v_dual_mul_f32 v50, v53, v28
	v_dual_mov_b32 v45, v35 :: v_dual_mov_b32 v35, v52
	s_delay_alu instid0(VALU_DEP_1) | instskip(SKIP_1) | instid1(VALU_DEP_3)
	v_pk_add_f32 v[236:237], v[236:237], v[44:45] neg_lo:[0,1] neg_hi:[0,1]
	v_mul_f32_e32 v44, v53, v31
	v_pk_fma_f32 v[34:35], v[34:35], v[62:63], v[50:51] op_sel_hi:[1,1,0]
	s_delay_alu instid0(VALU_DEP_2) | instskip(SKIP_2) | instid1(VALU_DEP_1)
	v_pk_fma_f32 v[44:45], v[52:53], v[62:63], v[44:45] op_sel_hi:[1,1,0] neg_lo:[0,0,1] neg_hi:[0,0,1]
	ds_load_2addr_b64 v[50:53], v222 offset0:58 offset1:59
	v_mov_b32_e32 v45, v35
	v_pk_add_f32 v[228:229], v[228:229], v[44:45] neg_lo:[0,1] neg_hi:[0,1]
	s_wait_dscnt 0x0
	v_pk_mul_f32 v[34:35], v[50:51], v[30:31] op_sel:[0,1]
	s_delay_alu instid0(VALU_DEP_1) | instskip(SKIP_1) | instid1(VALU_DEP_1)
	v_pk_fma_f32 v[44:45], v[50:51], v[28:29], v[34:35] op_sel:[0,0,1] op_sel_hi:[1,1,0] neg_lo:[0,0,1] neg_hi:[0,0,1]
	v_pk_fma_f32 v[34:35], v[50:51], v[28:29], v[34:35] op_sel:[0,0,1] op_sel_hi:[1,0,0]
	v_mov_b32_e32 v45, v35
	v_pk_mul_f32 v[34:35], v[52:53], v[30:31] op_sel:[0,1]
	s_delay_alu instid0(VALU_DEP_2) | instskip(NEXT) | instid1(VALU_DEP_2)
	v_pk_add_f32 v[234:235], v[234:235], v[44:45] neg_lo:[0,1] neg_hi:[0,1]
	v_pk_fma_f32 v[44:45], v[52:53], v[28:29], v[34:35] op_sel:[0,0,1] op_sel_hi:[1,1,0] neg_lo:[0,0,1] neg_hi:[0,0,1]
	v_pk_fma_f32 v[34:35], v[52:53], v[28:29], v[34:35] op_sel:[0,0,1] op_sel_hi:[1,0,0]
	s_delay_alu instid0(VALU_DEP_1) | instskip(SKIP_4) | instid1(VALU_DEP_1)
	v_mov_b32_e32 v45, v35
	ds_load_b64 v[34:35], v222 offset:480
	v_pk_add_f32 v[242:243], v[242:243], v[44:45] neg_lo:[0,1] neg_hi:[0,1]
	s_wait_dscnt 0x0
	v_pk_mul_f32 v[30:31], v[34:35], v[30:31] op_sel:[0,1]
	v_pk_fma_f32 v[44:45], v[34:35], v[28:29], v[30:31] op_sel:[0,0,1] op_sel_hi:[1,1,0] neg_lo:[0,0,1] neg_hi:[0,0,1]
	v_pk_fma_f32 v[28:29], v[34:35], v[28:29], v[30:31] op_sel:[0,0,1] op_sel_hi:[1,0,0]
	s_delay_alu instid0(VALU_DEP_1) | instskip(NEXT) | instid1(VALU_DEP_1)
	v_mov_b32_e32 v45, v29
	v_pk_add_f32 v[244:245], v[244:245], v[44:45] neg_lo:[0,1] neg_hi:[0,1]
.LBB121_127:
	s_or_b32 exec_lo, exec_lo, s1
	s_delay_alu instid0(SALU_CYCLE_1)
	s_mov_b32 s2, exec_lo
	s_wait_dscnt 0x0
	s_barrier_signal -1
	s_barrier_wait -1
	v_cmpx_eq_u32_e32 14, v220
	s_cbranch_execz .LBB121_134
; %bb.128:
	ds_store_b64 v221, v[64:65]
	ds_store_2addr_b64 v222, v[60:61], v[82:83] offset0:15 offset1:16
	ds_store_2addr_b64 v222, v[78:79], v[80:81] offset0:17 offset1:18
	;; [unrolled: 1-line block ×23, first 2 shown]
	ds_load_b64 v[28:29], v221
	s_wait_dscnt 0x0
	v_cmp_neq_f32_e32 vcc_lo, 0, v28
	v_cmp_neq_f32_e64 s1, 0, v29
	s_or_b32 s1, vcc_lo, s1
	s_delay_alu instid0(SALU_CYCLE_1)
	s_and_b32 exec_lo, exec_lo, s1
	s_cbranch_execz .LBB121_134
; %bb.129:
	v_cmp_ngt_f32_e64 s1, |v28|, |v29|
                                        ; implicit-def: $vgpr30_vgpr31
	s_and_saveexec_b32 s4, s1
	s_delay_alu instid0(SALU_CYCLE_1)
	s_xor_b32 s1, exec_lo, s4
	s_cbranch_execz .LBB121_131
; %bb.130:
	v_div_scale_f32 v30, null, v29, v29, v28
	v_div_scale_f32 v35, vcc_lo, v28, v29, v28
	s_delay_alu instid0(VALU_DEP_2) | instskip(SKIP_1) | instid1(TRANS32_DEP_1)
	v_rcp_f32_e32 v31, v30
	v_nop
	v_fma_f32 v34, -v30, v31, 1.0
	s_delay_alu instid0(VALU_DEP_1) | instskip(NEXT) | instid1(VALU_DEP_1)
	v_fmac_f32_e32 v31, v34, v31
	v_mul_f32_e32 v34, v35, v31
	s_delay_alu instid0(VALU_DEP_1) | instskip(NEXT) | instid1(VALU_DEP_1)
	v_fma_f32 v44, -v30, v34, v35
	v_fmac_f32_e32 v34, v44, v31
	s_delay_alu instid0(VALU_DEP_1) | instskip(NEXT) | instid1(VALU_DEP_1)
	v_fma_f32 v30, -v30, v34, v35
	v_div_fmas_f32 v30, v30, v31, v34
	s_delay_alu instid0(VALU_DEP_1) | instskip(NEXT) | instid1(VALU_DEP_1)
	v_div_fixup_f32 v30, v30, v29, v28
	v_fmac_f32_e32 v29, v28, v30
	s_delay_alu instid0(VALU_DEP_1) | instskip(SKIP_1) | instid1(VALU_DEP_2)
	v_div_scale_f32 v28, null, v29, v29, 1.0
	v_div_scale_f32 v35, vcc_lo, 1.0, v29, 1.0
	v_rcp_f32_e32 v31, v28
	v_nop
	s_delay_alu instid0(TRANS32_DEP_1) | instskip(NEXT) | instid1(VALU_DEP_1)
	v_fma_f32 v34, -v28, v31, 1.0
	v_fmac_f32_e32 v31, v34, v31
	s_delay_alu instid0(VALU_DEP_1) | instskip(NEXT) | instid1(VALU_DEP_1)
	v_mul_f32_e32 v34, v35, v31
	v_fma_f32 v44, -v28, v34, v35
	s_delay_alu instid0(VALU_DEP_1) | instskip(NEXT) | instid1(VALU_DEP_1)
	v_fmac_f32_e32 v34, v44, v31
	v_fma_f32 v28, -v28, v34, v35
	s_delay_alu instid0(VALU_DEP_1) | instskip(NEXT) | instid1(VALU_DEP_1)
	v_div_fmas_f32 v28, v28, v31, v34
	v_div_fixup_f32 v28, v28, v29, 1.0
	s_delay_alu instid0(VALU_DEP_1)
	v_mul_f32_e32 v30, v30, v28
	v_xor_b32_e32 v31, 0x80000000, v28
                                        ; implicit-def: $vgpr28_vgpr29
.LBB121_131:
	s_and_not1_saveexec_b32 s1, s1
	s_cbranch_execz .LBB121_133
; %bb.132:
	v_div_scale_f32 v30, null, v28, v28, v29
	v_div_scale_f32 v35, vcc_lo, v29, v28, v29
	s_delay_alu instid0(VALU_DEP_2) | instskip(SKIP_1) | instid1(TRANS32_DEP_1)
	v_rcp_f32_e32 v31, v30
	v_nop
	v_fma_f32 v34, -v30, v31, 1.0
	s_delay_alu instid0(VALU_DEP_1) | instskip(NEXT) | instid1(VALU_DEP_1)
	v_fmac_f32_e32 v31, v34, v31
	v_mul_f32_e32 v34, v35, v31
	s_delay_alu instid0(VALU_DEP_1) | instskip(NEXT) | instid1(VALU_DEP_1)
	v_fma_f32 v44, -v30, v34, v35
	v_fmac_f32_e32 v34, v44, v31
	s_delay_alu instid0(VALU_DEP_1) | instskip(NEXT) | instid1(VALU_DEP_1)
	v_fma_f32 v30, -v30, v34, v35
	v_div_fmas_f32 v30, v30, v31, v34
	s_delay_alu instid0(VALU_DEP_1) | instskip(NEXT) | instid1(VALU_DEP_1)
	v_div_fixup_f32 v31, v30, v28, v29
	v_fmac_f32_e32 v28, v29, v31
	s_delay_alu instid0(VALU_DEP_1) | instskip(NEXT) | instid1(VALU_DEP_1)
	v_div_scale_f32 v29, null, v28, v28, 1.0
	v_rcp_f32_e32 v30, v29
	v_nop
	s_delay_alu instid0(TRANS32_DEP_1) | instskip(NEXT) | instid1(VALU_DEP_1)
	v_fma_f32 v34, -v29, v30, 1.0
	v_fmac_f32_e32 v30, v34, v30
	v_div_scale_f32 v34, vcc_lo, 1.0, v28, 1.0
	s_delay_alu instid0(VALU_DEP_1) | instskip(NEXT) | instid1(VALU_DEP_1)
	v_mul_f32_e32 v35, v34, v30
	v_fma_f32 v44, -v29, v35, v34
	s_delay_alu instid0(VALU_DEP_1) | instskip(NEXT) | instid1(VALU_DEP_1)
	v_fmac_f32_e32 v35, v44, v30
	v_fma_f32 v29, -v29, v35, v34
	s_delay_alu instid0(VALU_DEP_1) | instskip(NEXT) | instid1(VALU_DEP_1)
	v_div_fmas_f32 v29, v29, v30, v35
	v_div_fixup_f32 v30, v29, v28, 1.0
	s_delay_alu instid0(VALU_DEP_1)
	v_mul_f32_e64 v31, v31, -v30
.LBB121_133:
	s_or_b32 exec_lo, exec_lo, s1
	ds_store_b64 v221, v[30:31]
.LBB121_134:
	s_or_b32 exec_lo, exec_lo, s2
	s_wait_dscnt 0x0
	s_barrier_signal -1
	s_barrier_wait -1
	ds_load_b64 v[28:29], v221
	s_mov_b32 s1, exec_lo
	v_cmpx_lt_u32_e32 14, v220
	s_cbranch_execz .LBB121_136
; %bb.135:
	ds_load_2addr_b64 v[50:53], v222 offset0:15 offset1:16
	s_wait_dscnt 0x1
	v_pk_mul_f32 v[34:35], v[28:29], v[64:65] op_sel:[1,1] op_sel_hi:[0,1]
	s_delay_alu instid0(VALU_DEP_1) | instskip(SKIP_1) | instid1(VALU_DEP_1)
	v_pk_fma_f32 v[30:31], v[28:29], v[64:65], v[34:35] op_sel_hi:[1,0,1] neg_lo:[0,0,1] neg_hi:[0,0,1]
	v_pk_fma_f32 v[34:35], v[28:29], v[64:65], v[34:35] op_sel_hi:[1,0,1]
	v_dual_mov_b32 v64, v30 :: v_dual_mov_b32 v65, v35
	s_wait_dscnt 0x0
	s_delay_alu instid0(VALU_DEP_2) | instskip(NEXT) | instid1(VALU_DEP_1)
	v_pk_mul_f32 v[44:45], v[50:51], v[34:35] op_sel:[0,1]
	v_pk_fma_f32 v[54:55], v[50:51], v[30:31], v[44:45] op_sel:[0,0,1] op_sel_hi:[1,1,0] neg_lo:[0,0,1] neg_hi:[0,0,1]
	v_pk_fma_f32 v[44:45], v[50:51], v[30:31], v[44:45] op_sel:[0,0,1] op_sel_hi:[1,0,0]
	s_delay_alu instid0(VALU_DEP_1) | instskip(SKIP_1) | instid1(VALU_DEP_1)
	v_mov_b32_e32 v55, v45
	v_pk_mul_f32 v[44:45], v[52:53], v[34:35] op_sel:[0,1]
	v_pk_fma_f32 v[50:51], v[52:53], v[30:31], v[44:45] op_sel:[0,0,1] op_sel_hi:[1,1,0] neg_lo:[0,0,1] neg_hi:[0,0,1]
	v_pk_fma_f32 v[44:45], v[52:53], v[30:31], v[44:45] op_sel:[0,0,1] op_sel_hi:[1,0,0]
	s_delay_alu instid0(VALU_DEP_1) | instskip(SKIP_1) | instid1(VALU_DEP_2)
	v_mov_b32_e32 v51, v45
	v_pk_add_f32 v[60:61], v[60:61], v[54:55] neg_lo:[0,1] neg_hi:[0,1]
	v_pk_add_f32 v[82:83], v[82:83], v[50:51] neg_lo:[0,1] neg_hi:[0,1]
	ds_load_2addr_b64 v[50:53], v222 offset0:17 offset1:18
	s_wait_dscnt 0x0
	v_pk_mul_f32 v[44:45], v[50:51], v[34:35] op_sel:[0,1]
	s_delay_alu instid0(VALU_DEP_1) | instskip(SKIP_2) | instid1(VALU_DEP_2)
	v_pk_fma_f32 v[54:55], v[50:51], v[30:31], v[44:45] op_sel:[0,0,1] op_sel_hi:[1,1,0] neg_lo:[0,0,1] neg_hi:[0,0,1]
	v_pk_fma_f32 v[44:45], v[50:51], v[30:31], v[44:45] op_sel:[0,0,1] op_sel_hi:[1,0,0]
	v_dual_mul_f32 v50, v53, v35 :: v_dual_mov_b32 v44, v53
	v_dual_mov_b32 v55, v45 :: v_dual_mov_b32 v45, v52
	s_delay_alu instid0(VALU_DEP_2) | instskip(SKIP_1) | instid1(VALU_DEP_3)
	v_pk_fma_f32 v[50:51], v[52:53], v[64:65], v[50:51] op_sel_hi:[1,1,0] neg_lo:[0,0,1] neg_hi:[0,0,1]
	v_mul_f32_e32 v52, v53, v30
	v_pk_add_f32 v[78:79], v[78:79], v[54:55] neg_lo:[0,1] neg_hi:[0,1]
	s_delay_alu instid0(VALU_DEP_2) | instskip(NEXT) | instid1(VALU_DEP_1)
	v_pk_fma_f32 v[44:45], v[44:45], v[64:65], v[52:53] op_sel_hi:[1,1,0]
	v_mov_b32_e32 v51, v45
	s_delay_alu instid0(VALU_DEP_1) | instskip(SKIP_3) | instid1(VALU_DEP_1)
	v_pk_add_f32 v[80:81], v[80:81], v[50:51] neg_lo:[0,1] neg_hi:[0,1]
	ds_load_2addr_b64 v[50:53], v222 offset0:19 offset1:20
	s_wait_dscnt 0x0
	v_pk_mul_f32 v[44:45], v[50:51], v[34:35] op_sel:[0,1]
	v_pk_fma_f32 v[54:55], v[50:51], v[30:31], v[44:45] op_sel:[0,0,1] op_sel_hi:[1,1,0] neg_lo:[0,0,1] neg_hi:[0,0,1]
	v_pk_fma_f32 v[44:45], v[50:51], v[30:31], v[44:45] op_sel:[0,0,1] op_sel_hi:[1,0,0]
	s_delay_alu instid0(VALU_DEP_1) | instskip(SKIP_1) | instid1(VALU_DEP_2)
	v_mov_b32_e32 v55, v45
	v_pk_mul_f32 v[44:45], v[52:53], v[34:35] op_sel:[0,1]
	v_pk_add_f32 v[76:77], v[76:77], v[54:55] neg_lo:[0,1] neg_hi:[0,1]
	s_delay_alu instid0(VALU_DEP_2) | instskip(SKIP_1) | instid1(VALU_DEP_1)
	v_pk_fma_f32 v[50:51], v[52:53], v[30:31], v[44:45] op_sel:[0,0,1] op_sel_hi:[1,1,0] neg_lo:[0,0,1] neg_hi:[0,0,1]
	v_pk_fma_f32 v[44:45], v[52:53], v[30:31], v[44:45] op_sel:[0,0,1] op_sel_hi:[1,0,0]
	v_mov_b32_e32 v51, v45
	s_delay_alu instid0(VALU_DEP_1) | instskip(SKIP_3) | instid1(VALU_DEP_1)
	v_pk_add_f32 v[98:99], v[98:99], v[50:51] neg_lo:[0,1] neg_hi:[0,1]
	ds_load_2addr_b64 v[50:53], v222 offset0:21 offset1:22
	s_wait_dscnt 0x0
	v_pk_mul_f32 v[44:45], v[50:51], v[34:35] op_sel:[0,1]
	v_pk_fma_f32 v[54:55], v[50:51], v[30:31], v[44:45] op_sel:[0,0,1] op_sel_hi:[1,1,0] neg_lo:[0,0,1] neg_hi:[0,0,1]
	v_pk_fma_f32 v[44:45], v[50:51], v[30:31], v[44:45] op_sel:[0,0,1] op_sel_hi:[1,0,0]
	s_delay_alu instid0(VALU_DEP_1) | instskip(SKIP_1) | instid1(VALU_DEP_2)
	v_mov_b32_e32 v55, v45
	v_pk_mul_f32 v[44:45], v[52:53], v[34:35] op_sel:[0,1]
	v_pk_add_f32 v[94:95], v[94:95], v[54:55] neg_lo:[0,1] neg_hi:[0,1]
	s_delay_alu instid0(VALU_DEP_2) | instskip(SKIP_1) | instid1(VALU_DEP_1)
	v_pk_fma_f32 v[50:51], v[52:53], v[30:31], v[44:45] op_sel:[0,0,1] op_sel_hi:[1,1,0] neg_lo:[0,0,1] neg_hi:[0,0,1]
	v_pk_fma_f32 v[44:45], v[52:53], v[30:31], v[44:45] op_sel:[0,0,1] op_sel_hi:[1,0,0]
	v_mov_b32_e32 v51, v45
	s_delay_alu instid0(VALU_DEP_1) | instskip(SKIP_3) | instid1(VALU_DEP_1)
	v_pk_add_f32 v[96:97], v[96:97], v[50:51] neg_lo:[0,1] neg_hi:[0,1]
	ds_load_2addr_b64 v[50:53], v222 offset0:23 offset1:24
	s_wait_dscnt 0x0
	v_dual_mul_f32 v44, v51, v35 :: v_dual_mul_f32 v54, v51, v30
	v_pk_fma_f32 v[44:45], v[50:51], v[64:65], v[44:45] op_sel_hi:[1,1,0] neg_lo:[0,0,1] neg_hi:[0,0,1]
	s_delay_alu instid0(VALU_DEP_2) | instskip(NEXT) | instid1(VALU_DEP_1)
	v_pk_fma_f32 v[50:51], v[50:51], v[64:65], v[54:55] op_sel:[1,0,0] op_sel_hi:[0,1,0]
	v_mov_b32_e32 v45, v51
	s_delay_alu instid0(VALU_DEP_1) | instskip(SKIP_1) | instid1(VALU_DEP_1)
	v_pk_add_f32 v[92:93], v[92:93], v[44:45] neg_lo:[0,1] neg_hi:[0,1]
	v_pk_mul_f32 v[44:45], v[52:53], v[34:35] op_sel:[0,1]
	v_pk_fma_f32 v[50:51], v[52:53], v[30:31], v[44:45] op_sel:[0,0,1] op_sel_hi:[1,1,0] neg_lo:[0,0,1] neg_hi:[0,0,1]
	v_pk_fma_f32 v[44:45], v[52:53], v[30:31], v[44:45] op_sel:[0,0,1] op_sel_hi:[1,0,0]
	s_delay_alu instid0(VALU_DEP_1) | instskip(NEXT) | instid1(VALU_DEP_1)
	v_mov_b32_e32 v51, v45
	v_pk_add_f32 v[114:115], v[114:115], v[50:51] neg_lo:[0,1] neg_hi:[0,1]
	ds_load_2addr_b64 v[50:53], v222 offset0:25 offset1:26
	s_wait_dscnt 0x0
	v_pk_mul_f32 v[44:45], v[50:51], v[34:35] op_sel:[0,1]
	s_delay_alu instid0(VALU_DEP_1) | instskip(SKIP_1) | instid1(VALU_DEP_1)
	v_pk_fma_f32 v[54:55], v[50:51], v[30:31], v[44:45] op_sel:[0,0,1] op_sel_hi:[1,1,0] neg_lo:[0,0,1] neg_hi:[0,0,1]
	v_pk_fma_f32 v[44:45], v[50:51], v[30:31], v[44:45] op_sel:[0,0,1] op_sel_hi:[1,0,0]
	v_mov_b32_e32 v55, v45
	v_pk_mul_f32 v[44:45], v[52:53], v[34:35] op_sel:[0,1]
	s_delay_alu instid0(VALU_DEP_2) | instskip(NEXT) | instid1(VALU_DEP_2)
	v_pk_add_f32 v[110:111], v[110:111], v[54:55] neg_lo:[0,1] neg_hi:[0,1]
	v_pk_fma_f32 v[50:51], v[52:53], v[30:31], v[44:45] op_sel:[0,0,1] op_sel_hi:[1,1,0] neg_lo:[0,0,1] neg_hi:[0,0,1]
	v_pk_fma_f32 v[44:45], v[52:53], v[30:31], v[44:45] op_sel:[0,0,1] op_sel_hi:[1,0,0]
	s_delay_alu instid0(VALU_DEP_1) | instskip(NEXT) | instid1(VALU_DEP_1)
	v_mov_b32_e32 v51, v45
	v_pk_add_f32 v[112:113], v[112:113], v[50:51] neg_lo:[0,1] neg_hi:[0,1]
	ds_load_2addr_b64 v[50:53], v222 offset0:27 offset1:28
	s_wait_dscnt 0x0
	v_pk_mul_f32 v[44:45], v[50:51], v[34:35] op_sel:[0,1]
	s_delay_alu instid0(VALU_DEP_1) | instskip(SKIP_2) | instid1(VALU_DEP_2)
	v_pk_fma_f32 v[54:55], v[50:51], v[30:31], v[44:45] op_sel:[0,0,1] op_sel_hi:[1,1,0] neg_lo:[0,0,1] neg_hi:[0,0,1]
	v_pk_fma_f32 v[44:45], v[50:51], v[30:31], v[44:45] op_sel:[0,0,1] op_sel_hi:[1,0,0]
	v_dual_mul_f32 v50, v53, v35 :: v_dual_mov_b32 v44, v53
	v_dual_mov_b32 v55, v45 :: v_dual_mov_b32 v45, v52
	s_delay_alu instid0(VALU_DEP_2) | instskip(SKIP_1) | instid1(VALU_DEP_3)
	v_pk_fma_f32 v[50:51], v[52:53], v[64:65], v[50:51] op_sel_hi:[1,1,0] neg_lo:[0,0,1] neg_hi:[0,0,1]
	v_mul_f32_e32 v52, v53, v30
	v_pk_add_f32 v[108:109], v[108:109], v[54:55] neg_lo:[0,1] neg_hi:[0,1]
	s_delay_alu instid0(VALU_DEP_2) | instskip(NEXT) | instid1(VALU_DEP_1)
	v_pk_fma_f32 v[44:45], v[44:45], v[64:65], v[52:53] op_sel_hi:[1,1,0]
	v_mov_b32_e32 v51, v45
	s_delay_alu instid0(VALU_DEP_1) | instskip(SKIP_3) | instid1(VALU_DEP_1)
	v_pk_add_f32 v[130:131], v[130:131], v[50:51] neg_lo:[0,1] neg_hi:[0,1]
	ds_load_2addr_b64 v[50:53], v222 offset0:29 offset1:30
	s_wait_dscnt 0x0
	v_pk_mul_f32 v[44:45], v[50:51], v[34:35] op_sel:[0,1]
	v_pk_fma_f32 v[54:55], v[50:51], v[30:31], v[44:45] op_sel:[0,0,1] op_sel_hi:[1,1,0] neg_lo:[0,0,1] neg_hi:[0,0,1]
	v_pk_fma_f32 v[44:45], v[50:51], v[30:31], v[44:45] op_sel:[0,0,1] op_sel_hi:[1,0,0]
	s_delay_alu instid0(VALU_DEP_1) | instskip(SKIP_1) | instid1(VALU_DEP_2)
	v_mov_b32_e32 v55, v45
	v_pk_mul_f32 v[44:45], v[52:53], v[34:35] op_sel:[0,1]
	v_pk_add_f32 v[126:127], v[126:127], v[54:55] neg_lo:[0,1] neg_hi:[0,1]
	s_delay_alu instid0(VALU_DEP_2) | instskip(SKIP_1) | instid1(VALU_DEP_1)
	v_pk_fma_f32 v[50:51], v[52:53], v[30:31], v[44:45] op_sel:[0,0,1] op_sel_hi:[1,1,0] neg_lo:[0,0,1] neg_hi:[0,0,1]
	v_pk_fma_f32 v[44:45], v[52:53], v[30:31], v[44:45] op_sel:[0,0,1] op_sel_hi:[1,0,0]
	v_mov_b32_e32 v51, v45
	s_delay_alu instid0(VALU_DEP_1) | instskip(SKIP_3) | instid1(VALU_DEP_1)
	v_pk_add_f32 v[128:129], v[128:129], v[50:51] neg_lo:[0,1] neg_hi:[0,1]
	ds_load_2addr_b64 v[50:53], v222 offset0:31 offset1:32
	s_wait_dscnt 0x0
	v_pk_mul_f32 v[44:45], v[50:51], v[34:35] op_sel:[0,1]
	v_pk_fma_f32 v[54:55], v[50:51], v[30:31], v[44:45] op_sel:[0,0,1] op_sel_hi:[1,1,0] neg_lo:[0,0,1] neg_hi:[0,0,1]
	v_pk_fma_f32 v[44:45], v[50:51], v[30:31], v[44:45] op_sel:[0,0,1] op_sel_hi:[1,0,0]
	s_delay_alu instid0(VALU_DEP_1) | instskip(SKIP_1) | instid1(VALU_DEP_2)
	v_mov_b32_e32 v55, v45
	v_pk_mul_f32 v[44:45], v[52:53], v[34:35] op_sel:[0,1]
	v_pk_add_f32 v[124:125], v[124:125], v[54:55] neg_lo:[0,1] neg_hi:[0,1]
	s_delay_alu instid0(VALU_DEP_2) | instskip(SKIP_1) | instid1(VALU_DEP_1)
	v_pk_fma_f32 v[50:51], v[52:53], v[30:31], v[44:45] op_sel:[0,0,1] op_sel_hi:[1,1,0] neg_lo:[0,0,1] neg_hi:[0,0,1]
	v_pk_fma_f32 v[44:45], v[52:53], v[30:31], v[44:45] op_sel:[0,0,1] op_sel_hi:[1,0,0]
	v_mov_b32_e32 v51, v45
	s_delay_alu instid0(VALU_DEP_1) | instskip(SKIP_3) | instid1(VALU_DEP_1)
	v_pk_add_f32 v[146:147], v[146:147], v[50:51] neg_lo:[0,1] neg_hi:[0,1]
	ds_load_2addr_b64 v[50:53], v222 offset0:33 offset1:34
	s_wait_dscnt 0x0
	v_dual_mul_f32 v44, v51, v35 :: v_dual_mul_f32 v54, v51, v30
	v_pk_fma_f32 v[44:45], v[50:51], v[64:65], v[44:45] op_sel_hi:[1,1,0] neg_lo:[0,0,1] neg_hi:[0,0,1]
	s_delay_alu instid0(VALU_DEP_2) | instskip(NEXT) | instid1(VALU_DEP_1)
	v_pk_fma_f32 v[50:51], v[50:51], v[64:65], v[54:55] op_sel:[1,0,0] op_sel_hi:[0,1,0]
	v_mov_b32_e32 v45, v51
	s_delay_alu instid0(VALU_DEP_1) | instskip(SKIP_1) | instid1(VALU_DEP_1)
	v_pk_add_f32 v[142:143], v[142:143], v[44:45] neg_lo:[0,1] neg_hi:[0,1]
	v_pk_mul_f32 v[44:45], v[52:53], v[34:35] op_sel:[0,1]
	v_pk_fma_f32 v[50:51], v[52:53], v[30:31], v[44:45] op_sel:[0,0,1] op_sel_hi:[1,1,0] neg_lo:[0,0,1] neg_hi:[0,0,1]
	v_pk_fma_f32 v[44:45], v[52:53], v[30:31], v[44:45] op_sel:[0,0,1] op_sel_hi:[1,0,0]
	s_delay_alu instid0(VALU_DEP_1) | instskip(NEXT) | instid1(VALU_DEP_1)
	v_mov_b32_e32 v51, v45
	v_pk_add_f32 v[144:145], v[144:145], v[50:51] neg_lo:[0,1] neg_hi:[0,1]
	ds_load_2addr_b64 v[50:53], v222 offset0:35 offset1:36
	s_wait_dscnt 0x0
	v_pk_mul_f32 v[44:45], v[50:51], v[34:35] op_sel:[0,1]
	s_delay_alu instid0(VALU_DEP_1) | instskip(SKIP_1) | instid1(VALU_DEP_1)
	v_pk_fma_f32 v[54:55], v[50:51], v[30:31], v[44:45] op_sel:[0,0,1] op_sel_hi:[1,1,0] neg_lo:[0,0,1] neg_hi:[0,0,1]
	v_pk_fma_f32 v[44:45], v[50:51], v[30:31], v[44:45] op_sel:[0,0,1] op_sel_hi:[1,0,0]
	v_mov_b32_e32 v55, v45
	v_pk_mul_f32 v[44:45], v[52:53], v[34:35] op_sel:[0,1]
	s_delay_alu instid0(VALU_DEP_2) | instskip(NEXT) | instid1(VALU_DEP_2)
	v_pk_add_f32 v[140:141], v[140:141], v[54:55] neg_lo:[0,1] neg_hi:[0,1]
	v_pk_fma_f32 v[50:51], v[52:53], v[30:31], v[44:45] op_sel:[0,0,1] op_sel_hi:[1,1,0] neg_lo:[0,0,1] neg_hi:[0,0,1]
	v_pk_fma_f32 v[44:45], v[52:53], v[30:31], v[44:45] op_sel:[0,0,1] op_sel_hi:[1,0,0]
	s_delay_alu instid0(VALU_DEP_1) | instskip(NEXT) | instid1(VALU_DEP_1)
	v_mov_b32_e32 v51, v45
	v_pk_add_f32 v[162:163], v[162:163], v[50:51] neg_lo:[0,1] neg_hi:[0,1]
	ds_load_2addr_b64 v[50:53], v222 offset0:37 offset1:38
	s_wait_dscnt 0x0
	v_pk_mul_f32 v[44:45], v[50:51], v[34:35] op_sel:[0,1]
	s_delay_alu instid0(VALU_DEP_1) | instskip(SKIP_2) | instid1(VALU_DEP_2)
	v_pk_fma_f32 v[54:55], v[50:51], v[30:31], v[44:45] op_sel:[0,0,1] op_sel_hi:[1,1,0] neg_lo:[0,0,1] neg_hi:[0,0,1]
	v_pk_fma_f32 v[44:45], v[50:51], v[30:31], v[44:45] op_sel:[0,0,1] op_sel_hi:[1,0,0]
	v_dual_mul_f32 v50, v53, v35 :: v_dual_mov_b32 v44, v53
	v_dual_mov_b32 v55, v45 :: v_dual_mov_b32 v45, v52
	s_delay_alu instid0(VALU_DEP_2) | instskip(SKIP_1) | instid1(VALU_DEP_3)
	v_pk_fma_f32 v[50:51], v[52:53], v[64:65], v[50:51] op_sel_hi:[1,1,0] neg_lo:[0,0,1] neg_hi:[0,0,1]
	v_mul_f32_e32 v52, v53, v30
	v_pk_add_f32 v[158:159], v[158:159], v[54:55] neg_lo:[0,1] neg_hi:[0,1]
	s_delay_alu instid0(VALU_DEP_2) | instskip(NEXT) | instid1(VALU_DEP_1)
	v_pk_fma_f32 v[44:45], v[44:45], v[64:65], v[52:53] op_sel_hi:[1,1,0]
	v_mov_b32_e32 v51, v45
	s_delay_alu instid0(VALU_DEP_1) | instskip(SKIP_3) | instid1(VALU_DEP_1)
	v_pk_add_f32 v[160:161], v[160:161], v[50:51] neg_lo:[0,1] neg_hi:[0,1]
	ds_load_2addr_b64 v[50:53], v222 offset0:39 offset1:40
	s_wait_dscnt 0x0
	v_pk_mul_f32 v[44:45], v[50:51], v[34:35] op_sel:[0,1]
	v_pk_fma_f32 v[54:55], v[50:51], v[30:31], v[44:45] op_sel:[0,0,1] op_sel_hi:[1,1,0] neg_lo:[0,0,1] neg_hi:[0,0,1]
	v_pk_fma_f32 v[44:45], v[50:51], v[30:31], v[44:45] op_sel:[0,0,1] op_sel_hi:[1,0,0]
	s_delay_alu instid0(VALU_DEP_1) | instskip(SKIP_1) | instid1(VALU_DEP_2)
	v_mov_b32_e32 v55, v45
	v_pk_mul_f32 v[44:45], v[52:53], v[34:35] op_sel:[0,1]
	v_pk_add_f32 v[156:157], v[156:157], v[54:55] neg_lo:[0,1] neg_hi:[0,1]
	s_delay_alu instid0(VALU_DEP_2) | instskip(SKIP_1) | instid1(VALU_DEP_1)
	v_pk_fma_f32 v[50:51], v[52:53], v[30:31], v[44:45] op_sel:[0,0,1] op_sel_hi:[1,1,0] neg_lo:[0,0,1] neg_hi:[0,0,1]
	v_pk_fma_f32 v[44:45], v[52:53], v[30:31], v[44:45] op_sel:[0,0,1] op_sel_hi:[1,0,0]
	v_mov_b32_e32 v51, v45
	s_delay_alu instid0(VALU_DEP_1) | instskip(SKIP_3) | instid1(VALU_DEP_1)
	v_pk_add_f32 v[178:179], v[178:179], v[50:51] neg_lo:[0,1] neg_hi:[0,1]
	ds_load_2addr_b64 v[50:53], v222 offset0:41 offset1:42
	s_wait_dscnt 0x0
	v_pk_mul_f32 v[44:45], v[50:51], v[34:35] op_sel:[0,1]
	v_pk_fma_f32 v[54:55], v[50:51], v[30:31], v[44:45] op_sel:[0,0,1] op_sel_hi:[1,1,0] neg_lo:[0,0,1] neg_hi:[0,0,1]
	v_pk_fma_f32 v[44:45], v[50:51], v[30:31], v[44:45] op_sel:[0,0,1] op_sel_hi:[1,0,0]
	s_delay_alu instid0(VALU_DEP_1) | instskip(SKIP_1) | instid1(VALU_DEP_2)
	v_mov_b32_e32 v55, v45
	v_pk_mul_f32 v[44:45], v[52:53], v[34:35] op_sel:[0,1]
	v_pk_add_f32 v[174:175], v[174:175], v[54:55] neg_lo:[0,1] neg_hi:[0,1]
	s_delay_alu instid0(VALU_DEP_2) | instskip(SKIP_1) | instid1(VALU_DEP_1)
	v_pk_fma_f32 v[50:51], v[52:53], v[30:31], v[44:45] op_sel:[0,0,1] op_sel_hi:[1,1,0] neg_lo:[0,0,1] neg_hi:[0,0,1]
	v_pk_fma_f32 v[44:45], v[52:53], v[30:31], v[44:45] op_sel:[0,0,1] op_sel_hi:[1,0,0]
	v_mov_b32_e32 v51, v45
	s_delay_alu instid0(VALU_DEP_1) | instskip(SKIP_3) | instid1(VALU_DEP_1)
	v_pk_add_f32 v[176:177], v[176:177], v[50:51] neg_lo:[0,1] neg_hi:[0,1]
	ds_load_2addr_b64 v[50:53], v222 offset0:43 offset1:44
	s_wait_dscnt 0x0
	v_dual_mul_f32 v44, v51, v35 :: v_dual_mul_f32 v54, v51, v30
	v_pk_fma_f32 v[44:45], v[50:51], v[64:65], v[44:45] op_sel_hi:[1,1,0] neg_lo:[0,0,1] neg_hi:[0,0,1]
	s_delay_alu instid0(VALU_DEP_2) | instskip(NEXT) | instid1(VALU_DEP_1)
	v_pk_fma_f32 v[50:51], v[50:51], v[64:65], v[54:55] op_sel:[1,0,0] op_sel_hi:[0,1,0]
	v_mov_b32_e32 v45, v51
	s_delay_alu instid0(VALU_DEP_1) | instskip(SKIP_1) | instid1(VALU_DEP_1)
	v_pk_add_f32 v[172:173], v[172:173], v[44:45] neg_lo:[0,1] neg_hi:[0,1]
	v_pk_mul_f32 v[44:45], v[52:53], v[34:35] op_sel:[0,1]
	v_pk_fma_f32 v[50:51], v[52:53], v[30:31], v[44:45] op_sel:[0,0,1] op_sel_hi:[1,1,0] neg_lo:[0,0,1] neg_hi:[0,0,1]
	v_pk_fma_f32 v[44:45], v[52:53], v[30:31], v[44:45] op_sel:[0,0,1] op_sel_hi:[1,0,0]
	s_delay_alu instid0(VALU_DEP_1) | instskip(NEXT) | instid1(VALU_DEP_1)
	v_mov_b32_e32 v51, v45
	v_pk_add_f32 v[194:195], v[194:195], v[50:51] neg_lo:[0,1] neg_hi:[0,1]
	ds_load_2addr_b64 v[50:53], v222 offset0:45 offset1:46
	s_wait_dscnt 0x0
	v_pk_mul_f32 v[44:45], v[50:51], v[34:35] op_sel:[0,1]
	s_delay_alu instid0(VALU_DEP_1) | instskip(SKIP_1) | instid1(VALU_DEP_1)
	v_pk_fma_f32 v[54:55], v[50:51], v[30:31], v[44:45] op_sel:[0,0,1] op_sel_hi:[1,1,0] neg_lo:[0,0,1] neg_hi:[0,0,1]
	v_pk_fma_f32 v[44:45], v[50:51], v[30:31], v[44:45] op_sel:[0,0,1] op_sel_hi:[1,0,0]
	v_mov_b32_e32 v55, v45
	v_pk_mul_f32 v[44:45], v[52:53], v[34:35] op_sel:[0,1]
	s_delay_alu instid0(VALU_DEP_2) | instskip(NEXT) | instid1(VALU_DEP_2)
	v_pk_add_f32 v[190:191], v[190:191], v[54:55] neg_lo:[0,1] neg_hi:[0,1]
	v_pk_fma_f32 v[50:51], v[52:53], v[30:31], v[44:45] op_sel:[0,0,1] op_sel_hi:[1,1,0] neg_lo:[0,0,1] neg_hi:[0,0,1]
	v_pk_fma_f32 v[44:45], v[52:53], v[30:31], v[44:45] op_sel:[0,0,1] op_sel_hi:[1,0,0]
	s_delay_alu instid0(VALU_DEP_1) | instskip(NEXT) | instid1(VALU_DEP_1)
	v_mov_b32_e32 v51, v45
	v_pk_add_f32 v[192:193], v[192:193], v[50:51] neg_lo:[0,1] neg_hi:[0,1]
	ds_load_2addr_b64 v[50:53], v222 offset0:47 offset1:48
	s_wait_dscnt 0x0
	v_pk_mul_f32 v[44:45], v[50:51], v[34:35] op_sel:[0,1]
	s_delay_alu instid0(VALU_DEP_1) | instskip(SKIP_2) | instid1(VALU_DEP_2)
	v_pk_fma_f32 v[54:55], v[50:51], v[30:31], v[44:45] op_sel:[0,0,1] op_sel_hi:[1,1,0] neg_lo:[0,0,1] neg_hi:[0,0,1]
	v_pk_fma_f32 v[44:45], v[50:51], v[30:31], v[44:45] op_sel:[0,0,1] op_sel_hi:[1,0,0]
	v_dual_mul_f32 v50, v53, v35 :: v_dual_mov_b32 v44, v53
	v_dual_mov_b32 v55, v45 :: v_dual_mov_b32 v45, v52
	s_delay_alu instid0(VALU_DEP_2) | instskip(SKIP_1) | instid1(VALU_DEP_3)
	v_pk_fma_f32 v[50:51], v[52:53], v[64:65], v[50:51] op_sel_hi:[1,1,0] neg_lo:[0,0,1] neg_hi:[0,0,1]
	v_mul_f32_e32 v52, v53, v30
	v_pk_add_f32 v[188:189], v[188:189], v[54:55] neg_lo:[0,1] neg_hi:[0,1]
	s_delay_alu instid0(VALU_DEP_2) | instskip(NEXT) | instid1(VALU_DEP_1)
	v_pk_fma_f32 v[44:45], v[44:45], v[64:65], v[52:53] op_sel_hi:[1,1,0]
	v_mov_b32_e32 v51, v45
	s_delay_alu instid0(VALU_DEP_1) | instskip(SKIP_3) | instid1(VALU_DEP_1)
	v_pk_add_f32 v[216:217], v[216:217], v[50:51] neg_lo:[0,1] neg_hi:[0,1]
	ds_load_2addr_b64 v[50:53], v222 offset0:49 offset1:50
	s_wait_dscnt 0x0
	v_pk_mul_f32 v[44:45], v[50:51], v[34:35] op_sel:[0,1]
	v_pk_fma_f32 v[54:55], v[50:51], v[30:31], v[44:45] op_sel:[0,0,1] op_sel_hi:[1,1,0] neg_lo:[0,0,1] neg_hi:[0,0,1]
	v_pk_fma_f32 v[44:45], v[50:51], v[30:31], v[44:45] op_sel:[0,0,1] op_sel_hi:[1,0,0]
	s_delay_alu instid0(VALU_DEP_1) | instskip(SKIP_1) | instid1(VALU_DEP_2)
	v_mov_b32_e32 v55, v45
	v_pk_mul_f32 v[44:45], v[52:53], v[34:35] op_sel:[0,1]
	v_pk_add_f32 v[212:213], v[212:213], v[54:55] neg_lo:[0,1] neg_hi:[0,1]
	s_delay_alu instid0(VALU_DEP_2) | instskip(SKIP_1) | instid1(VALU_DEP_1)
	v_pk_fma_f32 v[50:51], v[52:53], v[30:31], v[44:45] op_sel:[0,0,1] op_sel_hi:[1,1,0] neg_lo:[0,0,1] neg_hi:[0,0,1]
	v_pk_fma_f32 v[44:45], v[52:53], v[30:31], v[44:45] op_sel:[0,0,1] op_sel_hi:[1,0,0]
	v_mov_b32_e32 v51, v45
	s_delay_alu instid0(VALU_DEP_1) | instskip(SKIP_3) | instid1(VALU_DEP_1)
	v_pk_add_f32 v[214:215], v[214:215], v[50:51] neg_lo:[0,1] neg_hi:[0,1]
	ds_load_2addr_b64 v[50:53], v222 offset0:51 offset1:52
	s_wait_dscnt 0x0
	v_pk_mul_f32 v[44:45], v[50:51], v[34:35] op_sel:[0,1]
	v_pk_fma_f32 v[54:55], v[50:51], v[30:31], v[44:45] op_sel:[0,0,1] op_sel_hi:[1,1,0] neg_lo:[0,0,1] neg_hi:[0,0,1]
	v_pk_fma_f32 v[44:45], v[50:51], v[30:31], v[44:45] op_sel:[0,0,1] op_sel_hi:[1,0,0]
	s_delay_alu instid0(VALU_DEP_1) | instskip(SKIP_1) | instid1(VALU_DEP_2)
	v_mov_b32_e32 v55, v45
	v_pk_mul_f32 v[44:45], v[52:53], v[34:35] op_sel:[0,1]
	v_pk_add_f32 v[210:211], v[210:211], v[54:55] neg_lo:[0,1] neg_hi:[0,1]
	s_delay_alu instid0(VALU_DEP_2) | instskip(SKIP_1) | instid1(VALU_DEP_1)
	v_pk_fma_f32 v[50:51], v[52:53], v[30:31], v[44:45] op_sel:[0,0,1] op_sel_hi:[1,1,0] neg_lo:[0,0,1] neg_hi:[0,0,1]
	v_pk_fma_f32 v[44:45], v[52:53], v[30:31], v[44:45] op_sel:[0,0,1] op_sel_hi:[1,0,0]
	v_mov_b32_e32 v51, v45
	s_delay_alu instid0(VALU_DEP_1) | instskip(SKIP_3) | instid1(VALU_DEP_1)
	v_pk_add_f32 v[240:241], v[240:241], v[50:51] neg_lo:[0,1] neg_hi:[0,1]
	ds_load_2addr_b64 v[50:53], v222 offset0:53 offset1:54
	s_wait_dscnt 0x0
	v_dual_mul_f32 v44, v51, v35 :: v_dual_mul_f32 v54, v51, v30
	v_pk_fma_f32 v[44:45], v[50:51], v[64:65], v[44:45] op_sel_hi:[1,1,0] neg_lo:[0,0,1] neg_hi:[0,0,1]
	s_delay_alu instid0(VALU_DEP_2) | instskip(NEXT) | instid1(VALU_DEP_1)
	v_pk_fma_f32 v[50:51], v[50:51], v[64:65], v[54:55] op_sel:[1,0,0] op_sel_hi:[0,1,0]
	v_mov_b32_e32 v45, v51
	s_delay_alu instid0(VALU_DEP_1) | instskip(SKIP_1) | instid1(VALU_DEP_1)
	v_pk_add_f32 v[232:233], v[232:233], v[44:45] neg_lo:[0,1] neg_hi:[0,1]
	v_pk_mul_f32 v[44:45], v[52:53], v[34:35] op_sel:[0,1]
	v_pk_fma_f32 v[50:51], v[52:53], v[30:31], v[44:45] op_sel:[0,0,1] op_sel_hi:[1,1,0] neg_lo:[0,0,1] neg_hi:[0,0,1]
	v_pk_fma_f32 v[44:45], v[52:53], v[30:31], v[44:45] op_sel:[0,0,1] op_sel_hi:[1,0,0]
	s_delay_alu instid0(VALU_DEP_1) | instskip(NEXT) | instid1(VALU_DEP_1)
	v_mov_b32_e32 v51, v45
	v_pk_add_f32 v[238:239], v[238:239], v[50:51] neg_lo:[0,1] neg_hi:[0,1]
	ds_load_2addr_b64 v[50:53], v222 offset0:55 offset1:56
	s_wait_dscnt 0x0
	v_pk_mul_f32 v[44:45], v[50:51], v[34:35] op_sel:[0,1]
	s_delay_alu instid0(VALU_DEP_1) | instskip(SKIP_1) | instid1(VALU_DEP_1)
	v_pk_fma_f32 v[54:55], v[50:51], v[30:31], v[44:45] op_sel:[0,0,1] op_sel_hi:[1,1,0] neg_lo:[0,0,1] neg_hi:[0,0,1]
	v_pk_fma_f32 v[44:45], v[50:51], v[30:31], v[44:45] op_sel:[0,0,1] op_sel_hi:[1,0,0]
	v_mov_b32_e32 v55, v45
	v_pk_mul_f32 v[44:45], v[52:53], v[34:35] op_sel:[0,1]
	s_delay_alu instid0(VALU_DEP_2) | instskip(NEXT) | instid1(VALU_DEP_2)
	v_pk_add_f32 v[230:231], v[230:231], v[54:55] neg_lo:[0,1] neg_hi:[0,1]
	v_pk_fma_f32 v[50:51], v[52:53], v[30:31], v[44:45] op_sel:[0,0,1] op_sel_hi:[1,1,0] neg_lo:[0,0,1] neg_hi:[0,0,1]
	v_pk_fma_f32 v[44:45], v[52:53], v[30:31], v[44:45] op_sel:[0,0,1] op_sel_hi:[1,0,0]
	s_delay_alu instid0(VALU_DEP_1) | instskip(NEXT) | instid1(VALU_DEP_1)
	v_mov_b32_e32 v51, v45
	v_pk_add_f32 v[236:237], v[236:237], v[50:51] neg_lo:[0,1] neg_hi:[0,1]
	ds_load_2addr_b64 v[50:53], v222 offset0:57 offset1:58
	s_wait_dscnt 0x0
	v_pk_mul_f32 v[44:45], v[50:51], v[34:35] op_sel:[0,1]
	s_delay_alu instid0(VALU_DEP_1) | instskip(SKIP_2) | instid1(VALU_DEP_2)
	v_pk_fma_f32 v[54:55], v[50:51], v[30:31], v[44:45] op_sel:[0,0,1] op_sel_hi:[1,1,0] neg_lo:[0,0,1] neg_hi:[0,0,1]
	v_pk_fma_f32 v[44:45], v[50:51], v[30:31], v[44:45] op_sel:[0,0,1] op_sel_hi:[1,0,0]
	v_dual_mul_f32 v50, v53, v35 :: v_dual_mov_b32 v44, v53
	v_dual_mov_b32 v55, v45 :: v_dual_mov_b32 v45, v52
	s_delay_alu instid0(VALU_DEP_2) | instskip(SKIP_1) | instid1(VALU_DEP_3)
	v_pk_fma_f32 v[50:51], v[52:53], v[64:65], v[50:51] op_sel_hi:[1,1,0] neg_lo:[0,0,1] neg_hi:[0,0,1]
	v_mul_f32_e32 v52, v53, v30
	v_pk_add_f32 v[228:229], v[228:229], v[54:55] neg_lo:[0,1] neg_hi:[0,1]
	s_delay_alu instid0(VALU_DEP_2) | instskip(NEXT) | instid1(VALU_DEP_1)
	v_pk_fma_f32 v[44:45], v[44:45], v[64:65], v[52:53] op_sel_hi:[1,1,0]
	v_mov_b32_e32 v51, v45
	s_delay_alu instid0(VALU_DEP_1) | instskip(SKIP_4) | instid1(VALU_DEP_2)
	v_pk_add_f32 v[234:235], v[234:235], v[50:51] neg_lo:[0,1] neg_hi:[0,1]
	ds_load_2addr_b64 v[50:53], v222 offset0:59 offset1:60
	s_wait_dscnt 0x0
	v_pk_mul_f32 v[44:45], v[50:51], v[34:35] op_sel:[0,1]
	v_pk_mul_f32 v[34:35], v[52:53], v[34:35] op_sel:[0,1]
	v_pk_fma_f32 v[54:55], v[50:51], v[30:31], v[44:45] op_sel:[0,0,1] op_sel_hi:[1,1,0] neg_lo:[0,0,1] neg_hi:[0,0,1]
	v_pk_fma_f32 v[44:45], v[50:51], v[30:31], v[44:45] op_sel:[0,0,1] op_sel_hi:[1,0,0]
	s_delay_alu instid0(VALU_DEP_1) | instskip(NEXT) | instid1(VALU_DEP_4)
	v_mov_b32_e32 v55, v45
	v_pk_fma_f32 v[44:45], v[52:53], v[30:31], v[34:35] op_sel:[0,0,1] op_sel_hi:[1,1,0] neg_lo:[0,0,1] neg_hi:[0,0,1]
	v_pk_fma_f32 v[30:31], v[52:53], v[30:31], v[34:35] op_sel:[0,0,1] op_sel_hi:[1,0,0]
	s_delay_alu instid0(VALU_DEP_3) | instskip(NEXT) | instid1(VALU_DEP_2)
	v_pk_add_f32 v[242:243], v[242:243], v[54:55] neg_lo:[0,1] neg_hi:[0,1]
	v_mov_b32_e32 v45, v31
	s_delay_alu instid0(VALU_DEP_1)
	v_pk_add_f32 v[244:245], v[244:245], v[44:45] neg_lo:[0,1] neg_hi:[0,1]
.LBB121_136:
	s_or_b32 exec_lo, exec_lo, s1
	s_delay_alu instid0(SALU_CYCLE_1)
	s_mov_b32 s2, exec_lo
	s_wait_dscnt 0x0
	s_barrier_signal -1
	s_barrier_wait -1
	v_cmpx_eq_u32_e32 15, v220
	s_cbranch_execz .LBB121_143
; %bb.137:
	v_dual_mov_b32 v30, v82 :: v_dual_mov_b32 v31, v83
	v_dual_mov_b32 v34, v78 :: v_dual_mov_b32 v35, v79
	ds_store_b64 v221, v[60:61]
	ds_store_2addr_b64 v222, v[30:31], v[34:35] offset0:16 offset1:17
	v_dual_mov_b32 v30, v80 :: v_dual_mov_b32 v31, v81
	v_dual_mov_b32 v34, v76 :: v_dual_mov_b32 v35, v77
	ds_store_2addr_b64 v222, v[30:31], v[34:35] offset0:18 offset1:19
	v_dual_mov_b32 v30, v98 :: v_dual_mov_b32 v31, v99
	v_dual_mov_b32 v34, v94 :: v_dual_mov_b32 v35, v95
	;; [unrolled: 3-line block ×21, first 2 shown]
	ds_store_2addr_b64 v222, v[30:31], v[34:35] offset0:58 offset1:59
	ds_store_b64 v222, v[244:245] offset:480
	ds_load_b64 v[30:31], v221
	s_wait_dscnt 0x0
	v_cmp_neq_f32_e32 vcc_lo, 0, v30
	v_cmp_neq_f32_e64 s1, 0, v31
	s_or_b32 s1, vcc_lo, s1
	s_delay_alu instid0(SALU_CYCLE_1)
	s_and_b32 exec_lo, exec_lo, s1
	s_cbranch_execz .LBB121_143
; %bb.138:
	v_cmp_ngt_f32_e64 s1, |v30|, |v31|
                                        ; implicit-def: $vgpr34_vgpr35
	s_and_saveexec_b32 s4, s1
	s_delay_alu instid0(SALU_CYCLE_1)
	s_xor_b32 s1, exec_lo, s4
	s_cbranch_execz .LBB121_140
; %bb.139:
	v_div_scale_f32 v34, null, v31, v31, v30
	v_div_scale_f32 v45, vcc_lo, v30, v31, v30
	s_delay_alu instid0(VALU_DEP_2) | instskip(SKIP_1) | instid1(TRANS32_DEP_1)
	v_rcp_f32_e32 v35, v34
	v_nop
	v_fma_f32 v44, -v34, v35, 1.0
	s_delay_alu instid0(VALU_DEP_1) | instskip(NEXT) | instid1(VALU_DEP_1)
	v_fmac_f32_e32 v35, v44, v35
	v_mul_f32_e32 v44, v45, v35
	s_delay_alu instid0(VALU_DEP_1) | instskip(NEXT) | instid1(VALU_DEP_1)
	v_fma_f32 v50, -v34, v44, v45
	v_fmac_f32_e32 v44, v50, v35
	s_delay_alu instid0(VALU_DEP_1) | instskip(NEXT) | instid1(VALU_DEP_1)
	v_fma_f32 v34, -v34, v44, v45
	v_div_fmas_f32 v34, v34, v35, v44
	s_delay_alu instid0(VALU_DEP_1) | instskip(NEXT) | instid1(VALU_DEP_1)
	v_div_fixup_f32 v34, v34, v31, v30
	v_fmac_f32_e32 v31, v30, v34
	s_delay_alu instid0(VALU_DEP_1) | instskip(SKIP_1) | instid1(VALU_DEP_2)
	v_div_scale_f32 v30, null, v31, v31, 1.0
	v_div_scale_f32 v45, vcc_lo, 1.0, v31, 1.0
	v_rcp_f32_e32 v35, v30
	v_nop
	s_delay_alu instid0(TRANS32_DEP_1) | instskip(NEXT) | instid1(VALU_DEP_1)
	v_fma_f32 v44, -v30, v35, 1.0
	v_fmac_f32_e32 v35, v44, v35
	s_delay_alu instid0(VALU_DEP_1) | instskip(NEXT) | instid1(VALU_DEP_1)
	v_mul_f32_e32 v44, v45, v35
	v_fma_f32 v50, -v30, v44, v45
	s_delay_alu instid0(VALU_DEP_1) | instskip(NEXT) | instid1(VALU_DEP_1)
	v_fmac_f32_e32 v44, v50, v35
	v_fma_f32 v30, -v30, v44, v45
	s_delay_alu instid0(VALU_DEP_1) | instskip(NEXT) | instid1(VALU_DEP_1)
	v_div_fmas_f32 v30, v30, v35, v44
	v_div_fixup_f32 v30, v30, v31, 1.0
	s_delay_alu instid0(VALU_DEP_1)
	v_mul_f32_e32 v34, v34, v30
	v_xor_b32_e32 v35, 0x80000000, v30
                                        ; implicit-def: $vgpr30_vgpr31
.LBB121_140:
	s_and_not1_saveexec_b32 s1, s1
	s_cbranch_execz .LBB121_142
; %bb.141:
	v_div_scale_f32 v34, null, v30, v30, v31
	v_div_scale_f32 v45, vcc_lo, v31, v30, v31
	s_delay_alu instid0(VALU_DEP_2) | instskip(SKIP_1) | instid1(TRANS32_DEP_1)
	v_rcp_f32_e32 v35, v34
	v_nop
	v_fma_f32 v44, -v34, v35, 1.0
	s_delay_alu instid0(VALU_DEP_1) | instskip(NEXT) | instid1(VALU_DEP_1)
	v_fmac_f32_e32 v35, v44, v35
	v_mul_f32_e32 v44, v45, v35
	s_delay_alu instid0(VALU_DEP_1) | instskip(NEXT) | instid1(VALU_DEP_1)
	v_fma_f32 v50, -v34, v44, v45
	v_fmac_f32_e32 v44, v50, v35
	s_delay_alu instid0(VALU_DEP_1) | instskip(NEXT) | instid1(VALU_DEP_1)
	v_fma_f32 v34, -v34, v44, v45
	v_div_fmas_f32 v34, v34, v35, v44
	s_delay_alu instid0(VALU_DEP_1) | instskip(NEXT) | instid1(VALU_DEP_1)
	v_div_fixup_f32 v35, v34, v30, v31
	v_fmac_f32_e32 v30, v31, v35
	s_delay_alu instid0(VALU_DEP_1) | instskip(NEXT) | instid1(VALU_DEP_1)
	v_div_scale_f32 v31, null, v30, v30, 1.0
	v_rcp_f32_e32 v34, v31
	v_nop
	s_delay_alu instid0(TRANS32_DEP_1) | instskip(NEXT) | instid1(VALU_DEP_1)
	v_fma_f32 v44, -v31, v34, 1.0
	v_fmac_f32_e32 v34, v44, v34
	v_div_scale_f32 v44, vcc_lo, 1.0, v30, 1.0
	s_delay_alu instid0(VALU_DEP_1) | instskip(NEXT) | instid1(VALU_DEP_1)
	v_mul_f32_e32 v45, v44, v34
	v_fma_f32 v50, -v31, v45, v44
	s_delay_alu instid0(VALU_DEP_1) | instskip(NEXT) | instid1(VALU_DEP_1)
	v_fmac_f32_e32 v45, v50, v34
	v_fma_f32 v31, -v31, v45, v44
	s_delay_alu instid0(VALU_DEP_1) | instskip(NEXT) | instid1(VALU_DEP_1)
	v_div_fmas_f32 v31, v31, v34, v45
	v_div_fixup_f32 v34, v31, v30, 1.0
	s_delay_alu instid0(VALU_DEP_1)
	v_mul_f32_e64 v35, v35, -v34
.LBB121_142:
	s_or_b32 exec_lo, exec_lo, s1
	ds_store_b64 v221, v[34:35]
.LBB121_143:
	s_or_b32 exec_lo, exec_lo, s2
	s_wait_dscnt 0x0
	s_barrier_signal -1
	s_barrier_wait -1
	ds_load_b64 v[30:31], v221
	s_mov_b32 s1, exec_lo
	v_cmpx_lt_u32_e32 15, v220
	s_cbranch_execz .LBB121_145
; %bb.144:
	ds_load_2addr_b64 v[50:53], v222 offset0:16 offset1:17
	s_wait_dscnt 0x1
	v_pk_mul_f32 v[44:45], v[30:31], v[60:61] op_sel:[1,1] op_sel_hi:[0,1]
	s_delay_alu instid0(VALU_DEP_1) | instskip(SKIP_1) | instid1(VALU_DEP_1)
	v_pk_fma_f32 v[34:35], v[30:31], v[60:61], v[44:45] op_sel_hi:[1,0,1] neg_lo:[0,0,1] neg_hi:[0,0,1]
	v_pk_fma_f32 v[44:45], v[30:31], v[60:61], v[44:45] op_sel_hi:[1,0,1]
	v_dual_mov_b32 v60, v34 :: v_dual_mov_b32 v61, v45
	s_wait_dscnt 0x0
	s_delay_alu instid0(VALU_DEP_2) | instskip(NEXT) | instid1(VALU_DEP_1)
	v_pk_mul_f32 v[54:55], v[50:51], v[44:45] op_sel:[0,1]
	v_pk_fma_f32 v[68:69], v[50:51], v[34:35], v[54:55] op_sel:[0,0,1] op_sel_hi:[1,1,0] neg_lo:[0,0,1] neg_hi:[0,0,1]
	v_pk_fma_f32 v[50:51], v[50:51], v[34:35], v[54:55] op_sel:[0,0,1] op_sel_hi:[1,0,0]
	s_delay_alu instid0(VALU_DEP_1) | instskip(SKIP_1) | instid1(VALU_DEP_1)
	v_mov_b32_e32 v69, v51
	v_pk_mul_f32 v[50:51], v[52:53], v[44:45] op_sel:[0,1]
	v_pk_fma_f32 v[54:55], v[52:53], v[34:35], v[50:51] op_sel:[0,0,1] op_sel_hi:[1,1,0] neg_lo:[0,0,1] neg_hi:[0,0,1]
	v_pk_fma_f32 v[50:51], v[52:53], v[34:35], v[50:51] op_sel:[0,0,1] op_sel_hi:[1,0,0]
	s_delay_alu instid0(VALU_DEP_1)
	v_mov_b32_e32 v55, v51
	ds_load_2addr_b64 v[50:53], v222 offset0:18 offset1:19
	v_pk_add_f32 v[82:83], v[82:83], v[68:69] neg_lo:[0,1] neg_hi:[0,1]
	v_pk_add_f32 v[78:79], v[78:79], v[54:55] neg_lo:[0,1] neg_hi:[0,1]
	s_wait_dscnt 0x0
	v_pk_mul_f32 v[54:55], v[50:51], v[44:45] op_sel:[0,1]
	s_delay_alu instid0(VALU_DEP_1) | instskip(SKIP_2) | instid1(VALU_DEP_2)
	v_pk_fma_f32 v[68:69], v[50:51], v[34:35], v[54:55] op_sel:[0,0,1] op_sel_hi:[1,1,0] neg_lo:[0,0,1] neg_hi:[0,0,1]
	v_pk_fma_f32 v[50:51], v[50:51], v[34:35], v[54:55] op_sel:[0,0,1] op_sel_hi:[1,0,0]
	v_dual_mul_f32 v54, v53, v45 :: v_dual_mov_b32 v50, v53
	v_dual_mov_b32 v69, v51 :: v_dual_mov_b32 v51, v52
	s_delay_alu instid0(VALU_DEP_2) | instskip(SKIP_1) | instid1(VALU_DEP_3)
	v_pk_fma_f32 v[54:55], v[52:53], v[60:61], v[54:55] op_sel_hi:[1,1,0] neg_lo:[0,0,1] neg_hi:[0,0,1]
	v_mul_f32_e32 v52, v53, v34
	v_pk_add_f32 v[80:81], v[80:81], v[68:69] neg_lo:[0,1] neg_hi:[0,1]
	s_delay_alu instid0(VALU_DEP_2) | instskip(NEXT) | instid1(VALU_DEP_1)
	v_pk_fma_f32 v[50:51], v[50:51], v[60:61], v[52:53] op_sel_hi:[1,1,0]
	v_mov_b32_e32 v55, v51
	ds_load_2addr_b64 v[50:53], v222 offset0:20 offset1:21
	v_pk_add_f32 v[76:77], v[76:77], v[54:55] neg_lo:[0,1] neg_hi:[0,1]
	s_wait_dscnt 0x0
	v_pk_mul_f32 v[54:55], v[50:51], v[44:45] op_sel:[0,1]
	s_delay_alu instid0(VALU_DEP_1) | instskip(SKIP_1) | instid1(VALU_DEP_1)
	v_pk_fma_f32 v[68:69], v[50:51], v[34:35], v[54:55] op_sel:[0,0,1] op_sel_hi:[1,1,0] neg_lo:[0,0,1] neg_hi:[0,0,1]
	v_pk_fma_f32 v[50:51], v[50:51], v[34:35], v[54:55] op_sel:[0,0,1] op_sel_hi:[1,0,0]
	v_mov_b32_e32 v69, v51
	v_pk_mul_f32 v[50:51], v[52:53], v[44:45] op_sel:[0,1]
	s_delay_alu instid0(VALU_DEP_1) | instskip(SKIP_1) | instid1(VALU_DEP_1)
	v_pk_fma_f32 v[54:55], v[52:53], v[34:35], v[50:51] op_sel:[0,0,1] op_sel_hi:[1,1,0] neg_lo:[0,0,1] neg_hi:[0,0,1]
	v_pk_fma_f32 v[50:51], v[52:53], v[34:35], v[50:51] op_sel:[0,0,1] op_sel_hi:[1,0,0]
	v_mov_b32_e32 v55, v51
	ds_load_2addr_b64 v[50:53], v222 offset0:22 offset1:23
	v_pk_add_f32 v[98:99], v[98:99], v[68:69] neg_lo:[0,1] neg_hi:[0,1]
	v_pk_add_f32 v[94:95], v[94:95], v[54:55] neg_lo:[0,1] neg_hi:[0,1]
	s_wait_dscnt 0x0
	v_pk_mul_f32 v[54:55], v[50:51], v[44:45] op_sel:[0,1]
	s_delay_alu instid0(VALU_DEP_1) | instskip(SKIP_1) | instid1(VALU_DEP_1)
	v_pk_fma_f32 v[68:69], v[50:51], v[34:35], v[54:55] op_sel:[0,0,1] op_sel_hi:[1,1,0] neg_lo:[0,0,1] neg_hi:[0,0,1]
	v_pk_fma_f32 v[50:51], v[50:51], v[34:35], v[54:55] op_sel:[0,0,1] op_sel_hi:[1,0,0]
	v_mov_b32_e32 v69, v51
	v_pk_mul_f32 v[50:51], v[52:53], v[44:45] op_sel:[0,1]
	s_delay_alu instid0(VALU_DEP_1) | instskip(SKIP_1) | instid1(VALU_DEP_1)
	v_pk_fma_f32 v[54:55], v[52:53], v[34:35], v[50:51] op_sel:[0,0,1] op_sel_hi:[1,1,0] neg_lo:[0,0,1] neg_hi:[0,0,1]
	v_pk_fma_f32 v[50:51], v[52:53], v[34:35], v[50:51] op_sel:[0,0,1] op_sel_hi:[1,0,0]
	v_mov_b32_e32 v55, v51
	ds_load_2addr_b64 v[50:53], v222 offset0:24 offset1:25
	v_pk_add_f32 v[96:97], v[96:97], v[68:69] neg_lo:[0,1] neg_hi:[0,1]
	v_pk_add_f32 v[92:93], v[92:93], v[54:55] neg_lo:[0,1] neg_hi:[0,1]
	s_wait_dscnt 0x0
	v_dual_mul_f32 v54, v51, v45 :: v_dual_mul_f32 v68, v51, v34
	s_delay_alu instid0(VALU_DEP_1) | instskip(NEXT) | instid1(VALU_DEP_2)
	v_pk_fma_f32 v[54:55], v[50:51], v[60:61], v[54:55] op_sel_hi:[1,1,0] neg_lo:[0,0,1] neg_hi:[0,0,1]
	v_pk_fma_f32 v[50:51], v[50:51], v[60:61], v[68:69] op_sel:[1,0,0] op_sel_hi:[0,1,0]
	s_delay_alu instid0(VALU_DEP_1) | instskip(SKIP_1) | instid1(VALU_DEP_2)
	v_mov_b32_e32 v55, v51
	v_pk_mul_f32 v[50:51], v[52:53], v[44:45] op_sel:[0,1]
	v_pk_add_f32 v[114:115], v[114:115], v[54:55] neg_lo:[0,1] neg_hi:[0,1]
	s_delay_alu instid0(VALU_DEP_2) | instskip(SKIP_1) | instid1(VALU_DEP_1)
	v_pk_fma_f32 v[54:55], v[52:53], v[34:35], v[50:51] op_sel:[0,0,1] op_sel_hi:[1,1,0] neg_lo:[0,0,1] neg_hi:[0,0,1]
	v_pk_fma_f32 v[50:51], v[52:53], v[34:35], v[50:51] op_sel:[0,0,1] op_sel_hi:[1,0,0]
	v_mov_b32_e32 v55, v51
	ds_load_2addr_b64 v[50:53], v222 offset0:26 offset1:27
	v_pk_add_f32 v[110:111], v[110:111], v[54:55] neg_lo:[0,1] neg_hi:[0,1]
	s_wait_dscnt 0x0
	v_pk_mul_f32 v[54:55], v[50:51], v[44:45] op_sel:[0,1]
	s_delay_alu instid0(VALU_DEP_1) | instskip(SKIP_1) | instid1(VALU_DEP_1)
	v_pk_fma_f32 v[68:69], v[50:51], v[34:35], v[54:55] op_sel:[0,0,1] op_sel_hi:[1,1,0] neg_lo:[0,0,1] neg_hi:[0,0,1]
	v_pk_fma_f32 v[50:51], v[50:51], v[34:35], v[54:55] op_sel:[0,0,1] op_sel_hi:[1,0,0]
	v_mov_b32_e32 v69, v51
	v_pk_mul_f32 v[50:51], v[52:53], v[44:45] op_sel:[0,1]
	s_delay_alu instid0(VALU_DEP_2) | instskip(NEXT) | instid1(VALU_DEP_2)
	v_pk_add_f32 v[112:113], v[112:113], v[68:69] neg_lo:[0,1] neg_hi:[0,1]
	v_pk_fma_f32 v[54:55], v[52:53], v[34:35], v[50:51] op_sel:[0,0,1] op_sel_hi:[1,1,0] neg_lo:[0,0,1] neg_hi:[0,0,1]
	v_pk_fma_f32 v[50:51], v[52:53], v[34:35], v[50:51] op_sel:[0,0,1] op_sel_hi:[1,0,0]
	s_delay_alu instid0(VALU_DEP_1) | instskip(SKIP_4) | instid1(VALU_DEP_1)
	v_mov_b32_e32 v55, v51
	ds_load_2addr_b64 v[50:53], v222 offset0:28 offset1:29
	v_pk_add_f32 v[108:109], v[108:109], v[54:55] neg_lo:[0,1] neg_hi:[0,1]
	s_wait_dscnt 0x0
	v_pk_mul_f32 v[54:55], v[50:51], v[44:45] op_sel:[0,1]
	v_pk_fma_f32 v[68:69], v[50:51], v[34:35], v[54:55] op_sel:[0,0,1] op_sel_hi:[1,1,0] neg_lo:[0,0,1] neg_hi:[0,0,1]
	v_pk_fma_f32 v[50:51], v[50:51], v[34:35], v[54:55] op_sel:[0,0,1] op_sel_hi:[1,0,0]
	v_dual_mul_f32 v54, v53, v45 :: v_dual_mov_b32 v50, v53
	s_delay_alu instid0(VALU_DEP_2) | instskip(NEXT) | instid1(VALU_DEP_2)
	v_dual_mov_b32 v69, v51 :: v_dual_mov_b32 v51, v52
	v_pk_fma_f32 v[54:55], v[52:53], v[60:61], v[54:55] op_sel_hi:[1,1,0] neg_lo:[0,0,1] neg_hi:[0,0,1]
	v_mul_f32_e32 v52, v53, v34
	s_delay_alu instid0(VALU_DEP_3) | instskip(NEXT) | instid1(VALU_DEP_2)
	v_pk_add_f32 v[130:131], v[130:131], v[68:69] neg_lo:[0,1] neg_hi:[0,1]
	v_pk_fma_f32 v[50:51], v[50:51], v[60:61], v[52:53] op_sel_hi:[1,1,0]
	s_delay_alu instid0(VALU_DEP_1) | instskip(SKIP_4) | instid1(VALU_DEP_1)
	v_mov_b32_e32 v55, v51
	ds_load_2addr_b64 v[50:53], v222 offset0:30 offset1:31
	v_pk_add_f32 v[126:127], v[126:127], v[54:55] neg_lo:[0,1] neg_hi:[0,1]
	s_wait_dscnt 0x0
	v_pk_mul_f32 v[54:55], v[50:51], v[44:45] op_sel:[0,1]
	v_pk_fma_f32 v[68:69], v[50:51], v[34:35], v[54:55] op_sel:[0,0,1] op_sel_hi:[1,1,0] neg_lo:[0,0,1] neg_hi:[0,0,1]
	v_pk_fma_f32 v[50:51], v[50:51], v[34:35], v[54:55] op_sel:[0,0,1] op_sel_hi:[1,0,0]
	s_delay_alu instid0(VALU_DEP_1) | instskip(SKIP_1) | instid1(VALU_DEP_1)
	v_mov_b32_e32 v69, v51
	v_pk_mul_f32 v[50:51], v[52:53], v[44:45] op_sel:[0,1]
	v_pk_fma_f32 v[54:55], v[52:53], v[34:35], v[50:51] op_sel:[0,0,1] op_sel_hi:[1,1,0] neg_lo:[0,0,1] neg_hi:[0,0,1]
	v_pk_fma_f32 v[50:51], v[52:53], v[34:35], v[50:51] op_sel:[0,0,1] op_sel_hi:[1,0,0]
	s_delay_alu instid0(VALU_DEP_1)
	v_mov_b32_e32 v55, v51
	ds_load_2addr_b64 v[50:53], v222 offset0:32 offset1:33
	v_pk_add_f32 v[128:129], v[128:129], v[68:69] neg_lo:[0,1] neg_hi:[0,1]
	v_pk_add_f32 v[124:125], v[124:125], v[54:55] neg_lo:[0,1] neg_hi:[0,1]
	s_wait_dscnt 0x0
	v_pk_mul_f32 v[54:55], v[50:51], v[44:45] op_sel:[0,1]
	s_delay_alu instid0(VALU_DEP_1) | instskip(SKIP_1) | instid1(VALU_DEP_1)
	v_pk_fma_f32 v[68:69], v[50:51], v[34:35], v[54:55] op_sel:[0,0,1] op_sel_hi:[1,1,0] neg_lo:[0,0,1] neg_hi:[0,0,1]
	v_pk_fma_f32 v[50:51], v[50:51], v[34:35], v[54:55] op_sel:[0,0,1] op_sel_hi:[1,0,0]
	v_mov_b32_e32 v69, v51
	v_pk_mul_f32 v[50:51], v[52:53], v[44:45] op_sel:[0,1]
	s_delay_alu instid0(VALU_DEP_1) | instskip(SKIP_1) | instid1(VALU_DEP_1)
	v_pk_fma_f32 v[54:55], v[52:53], v[34:35], v[50:51] op_sel:[0,0,1] op_sel_hi:[1,1,0] neg_lo:[0,0,1] neg_hi:[0,0,1]
	v_pk_fma_f32 v[50:51], v[52:53], v[34:35], v[50:51] op_sel:[0,0,1] op_sel_hi:[1,0,0]
	v_mov_b32_e32 v55, v51
	ds_load_2addr_b64 v[50:53], v222 offset0:34 offset1:35
	v_pk_add_f32 v[146:147], v[146:147], v[68:69] neg_lo:[0,1] neg_hi:[0,1]
	v_pk_add_f32 v[142:143], v[142:143], v[54:55] neg_lo:[0,1] neg_hi:[0,1]
	s_wait_dscnt 0x0
	v_dual_mul_f32 v54, v51, v45 :: v_dual_mul_f32 v68, v51, v34
	s_delay_alu instid0(VALU_DEP_1) | instskip(NEXT) | instid1(VALU_DEP_2)
	v_pk_fma_f32 v[54:55], v[50:51], v[60:61], v[54:55] op_sel_hi:[1,1,0] neg_lo:[0,0,1] neg_hi:[0,0,1]
	v_pk_fma_f32 v[50:51], v[50:51], v[60:61], v[68:69] op_sel:[1,0,0] op_sel_hi:[0,1,0]
	s_delay_alu instid0(VALU_DEP_1) | instskip(SKIP_1) | instid1(VALU_DEP_2)
	v_mov_b32_e32 v55, v51
	v_pk_mul_f32 v[50:51], v[52:53], v[44:45] op_sel:[0,1]
	v_pk_add_f32 v[144:145], v[144:145], v[54:55] neg_lo:[0,1] neg_hi:[0,1]
	s_delay_alu instid0(VALU_DEP_2) | instskip(SKIP_1) | instid1(VALU_DEP_1)
	v_pk_fma_f32 v[54:55], v[52:53], v[34:35], v[50:51] op_sel:[0,0,1] op_sel_hi:[1,1,0] neg_lo:[0,0,1] neg_hi:[0,0,1]
	v_pk_fma_f32 v[50:51], v[52:53], v[34:35], v[50:51] op_sel:[0,0,1] op_sel_hi:[1,0,0]
	v_mov_b32_e32 v55, v51
	ds_load_2addr_b64 v[50:53], v222 offset0:36 offset1:37
	v_pk_add_f32 v[140:141], v[140:141], v[54:55] neg_lo:[0,1] neg_hi:[0,1]
	s_wait_dscnt 0x0
	v_pk_mul_f32 v[54:55], v[50:51], v[44:45] op_sel:[0,1]
	s_delay_alu instid0(VALU_DEP_1) | instskip(SKIP_1) | instid1(VALU_DEP_1)
	v_pk_fma_f32 v[68:69], v[50:51], v[34:35], v[54:55] op_sel:[0,0,1] op_sel_hi:[1,1,0] neg_lo:[0,0,1] neg_hi:[0,0,1]
	v_pk_fma_f32 v[50:51], v[50:51], v[34:35], v[54:55] op_sel:[0,0,1] op_sel_hi:[1,0,0]
	v_mov_b32_e32 v69, v51
	v_pk_mul_f32 v[50:51], v[52:53], v[44:45] op_sel:[0,1]
	s_delay_alu instid0(VALU_DEP_2) | instskip(NEXT) | instid1(VALU_DEP_2)
	v_pk_add_f32 v[162:163], v[162:163], v[68:69] neg_lo:[0,1] neg_hi:[0,1]
	v_pk_fma_f32 v[54:55], v[52:53], v[34:35], v[50:51] op_sel:[0,0,1] op_sel_hi:[1,1,0] neg_lo:[0,0,1] neg_hi:[0,0,1]
	v_pk_fma_f32 v[50:51], v[52:53], v[34:35], v[50:51] op_sel:[0,0,1] op_sel_hi:[1,0,0]
	s_delay_alu instid0(VALU_DEP_1) | instskip(SKIP_4) | instid1(VALU_DEP_1)
	v_mov_b32_e32 v55, v51
	ds_load_2addr_b64 v[50:53], v222 offset0:38 offset1:39
	v_pk_add_f32 v[158:159], v[158:159], v[54:55] neg_lo:[0,1] neg_hi:[0,1]
	s_wait_dscnt 0x0
	v_pk_mul_f32 v[54:55], v[50:51], v[44:45] op_sel:[0,1]
	v_pk_fma_f32 v[68:69], v[50:51], v[34:35], v[54:55] op_sel:[0,0,1] op_sel_hi:[1,1,0] neg_lo:[0,0,1] neg_hi:[0,0,1]
	v_pk_fma_f32 v[50:51], v[50:51], v[34:35], v[54:55] op_sel:[0,0,1] op_sel_hi:[1,0,0]
	v_dual_mul_f32 v54, v53, v45 :: v_dual_mov_b32 v50, v53
	s_delay_alu instid0(VALU_DEP_2) | instskip(NEXT) | instid1(VALU_DEP_2)
	v_dual_mov_b32 v69, v51 :: v_dual_mov_b32 v51, v52
	v_pk_fma_f32 v[54:55], v[52:53], v[60:61], v[54:55] op_sel_hi:[1,1,0] neg_lo:[0,0,1] neg_hi:[0,0,1]
	v_mul_f32_e32 v52, v53, v34
	s_delay_alu instid0(VALU_DEP_3) | instskip(NEXT) | instid1(VALU_DEP_2)
	v_pk_add_f32 v[160:161], v[160:161], v[68:69] neg_lo:[0,1] neg_hi:[0,1]
	v_pk_fma_f32 v[50:51], v[50:51], v[60:61], v[52:53] op_sel_hi:[1,1,0]
	s_delay_alu instid0(VALU_DEP_1) | instskip(SKIP_4) | instid1(VALU_DEP_1)
	v_mov_b32_e32 v55, v51
	ds_load_2addr_b64 v[50:53], v222 offset0:40 offset1:41
	v_pk_add_f32 v[156:157], v[156:157], v[54:55] neg_lo:[0,1] neg_hi:[0,1]
	s_wait_dscnt 0x0
	v_pk_mul_f32 v[54:55], v[50:51], v[44:45] op_sel:[0,1]
	v_pk_fma_f32 v[68:69], v[50:51], v[34:35], v[54:55] op_sel:[0,0,1] op_sel_hi:[1,1,0] neg_lo:[0,0,1] neg_hi:[0,0,1]
	v_pk_fma_f32 v[50:51], v[50:51], v[34:35], v[54:55] op_sel:[0,0,1] op_sel_hi:[1,0,0]
	s_delay_alu instid0(VALU_DEP_1) | instskip(SKIP_1) | instid1(VALU_DEP_1)
	v_mov_b32_e32 v69, v51
	v_pk_mul_f32 v[50:51], v[52:53], v[44:45] op_sel:[0,1]
	v_pk_fma_f32 v[54:55], v[52:53], v[34:35], v[50:51] op_sel:[0,0,1] op_sel_hi:[1,1,0] neg_lo:[0,0,1] neg_hi:[0,0,1]
	v_pk_fma_f32 v[50:51], v[52:53], v[34:35], v[50:51] op_sel:[0,0,1] op_sel_hi:[1,0,0]
	s_delay_alu instid0(VALU_DEP_1)
	v_mov_b32_e32 v55, v51
	ds_load_2addr_b64 v[50:53], v222 offset0:42 offset1:43
	v_pk_add_f32 v[178:179], v[178:179], v[68:69] neg_lo:[0,1] neg_hi:[0,1]
	v_pk_add_f32 v[174:175], v[174:175], v[54:55] neg_lo:[0,1] neg_hi:[0,1]
	s_wait_dscnt 0x0
	v_pk_mul_f32 v[54:55], v[50:51], v[44:45] op_sel:[0,1]
	s_delay_alu instid0(VALU_DEP_1) | instskip(SKIP_1) | instid1(VALU_DEP_1)
	v_pk_fma_f32 v[68:69], v[50:51], v[34:35], v[54:55] op_sel:[0,0,1] op_sel_hi:[1,1,0] neg_lo:[0,0,1] neg_hi:[0,0,1]
	v_pk_fma_f32 v[50:51], v[50:51], v[34:35], v[54:55] op_sel:[0,0,1] op_sel_hi:[1,0,0]
	v_mov_b32_e32 v69, v51
	v_pk_mul_f32 v[50:51], v[52:53], v[44:45] op_sel:[0,1]
	s_delay_alu instid0(VALU_DEP_1) | instskip(SKIP_1) | instid1(VALU_DEP_1)
	v_pk_fma_f32 v[54:55], v[52:53], v[34:35], v[50:51] op_sel:[0,0,1] op_sel_hi:[1,1,0] neg_lo:[0,0,1] neg_hi:[0,0,1]
	v_pk_fma_f32 v[50:51], v[52:53], v[34:35], v[50:51] op_sel:[0,0,1] op_sel_hi:[1,0,0]
	v_mov_b32_e32 v55, v51
	ds_load_2addr_b64 v[50:53], v222 offset0:44 offset1:45
	v_pk_add_f32 v[176:177], v[176:177], v[68:69] neg_lo:[0,1] neg_hi:[0,1]
	v_pk_add_f32 v[172:173], v[172:173], v[54:55] neg_lo:[0,1] neg_hi:[0,1]
	s_wait_dscnt 0x0
	v_dual_mul_f32 v54, v51, v45 :: v_dual_mul_f32 v68, v51, v34
	s_delay_alu instid0(VALU_DEP_1) | instskip(NEXT) | instid1(VALU_DEP_2)
	v_pk_fma_f32 v[54:55], v[50:51], v[60:61], v[54:55] op_sel_hi:[1,1,0] neg_lo:[0,0,1] neg_hi:[0,0,1]
	v_pk_fma_f32 v[50:51], v[50:51], v[60:61], v[68:69] op_sel:[1,0,0] op_sel_hi:[0,1,0]
	s_delay_alu instid0(VALU_DEP_1) | instskip(SKIP_1) | instid1(VALU_DEP_2)
	v_mov_b32_e32 v55, v51
	v_pk_mul_f32 v[50:51], v[52:53], v[44:45] op_sel:[0,1]
	v_pk_add_f32 v[194:195], v[194:195], v[54:55] neg_lo:[0,1] neg_hi:[0,1]
	s_delay_alu instid0(VALU_DEP_2) | instskip(SKIP_1) | instid1(VALU_DEP_1)
	v_pk_fma_f32 v[54:55], v[52:53], v[34:35], v[50:51] op_sel:[0,0,1] op_sel_hi:[1,1,0] neg_lo:[0,0,1] neg_hi:[0,0,1]
	v_pk_fma_f32 v[50:51], v[52:53], v[34:35], v[50:51] op_sel:[0,0,1] op_sel_hi:[1,0,0]
	v_mov_b32_e32 v55, v51
	ds_load_2addr_b64 v[50:53], v222 offset0:46 offset1:47
	v_pk_add_f32 v[190:191], v[190:191], v[54:55] neg_lo:[0,1] neg_hi:[0,1]
	s_wait_dscnt 0x0
	v_pk_mul_f32 v[54:55], v[50:51], v[44:45] op_sel:[0,1]
	s_delay_alu instid0(VALU_DEP_1) | instskip(SKIP_1) | instid1(VALU_DEP_1)
	v_pk_fma_f32 v[68:69], v[50:51], v[34:35], v[54:55] op_sel:[0,0,1] op_sel_hi:[1,1,0] neg_lo:[0,0,1] neg_hi:[0,0,1]
	v_pk_fma_f32 v[50:51], v[50:51], v[34:35], v[54:55] op_sel:[0,0,1] op_sel_hi:[1,0,0]
	v_mov_b32_e32 v69, v51
	v_pk_mul_f32 v[50:51], v[52:53], v[44:45] op_sel:[0,1]
	s_delay_alu instid0(VALU_DEP_2) | instskip(NEXT) | instid1(VALU_DEP_2)
	v_pk_add_f32 v[192:193], v[192:193], v[68:69] neg_lo:[0,1] neg_hi:[0,1]
	v_pk_fma_f32 v[54:55], v[52:53], v[34:35], v[50:51] op_sel:[0,0,1] op_sel_hi:[1,1,0] neg_lo:[0,0,1] neg_hi:[0,0,1]
	v_pk_fma_f32 v[50:51], v[52:53], v[34:35], v[50:51] op_sel:[0,0,1] op_sel_hi:[1,0,0]
	s_delay_alu instid0(VALU_DEP_1) | instskip(SKIP_4) | instid1(VALU_DEP_1)
	v_mov_b32_e32 v55, v51
	ds_load_2addr_b64 v[50:53], v222 offset0:48 offset1:49
	v_pk_add_f32 v[188:189], v[188:189], v[54:55] neg_lo:[0,1] neg_hi:[0,1]
	s_wait_dscnt 0x0
	v_pk_mul_f32 v[54:55], v[50:51], v[44:45] op_sel:[0,1]
	v_pk_fma_f32 v[68:69], v[50:51], v[34:35], v[54:55] op_sel:[0,0,1] op_sel_hi:[1,1,0] neg_lo:[0,0,1] neg_hi:[0,0,1]
	v_pk_fma_f32 v[50:51], v[50:51], v[34:35], v[54:55] op_sel:[0,0,1] op_sel_hi:[1,0,0]
	v_dual_mul_f32 v54, v53, v45 :: v_dual_mov_b32 v50, v53
	s_delay_alu instid0(VALU_DEP_2) | instskip(NEXT) | instid1(VALU_DEP_2)
	v_dual_mov_b32 v69, v51 :: v_dual_mov_b32 v51, v52
	v_pk_fma_f32 v[54:55], v[52:53], v[60:61], v[54:55] op_sel_hi:[1,1,0] neg_lo:[0,0,1] neg_hi:[0,0,1]
	v_mul_f32_e32 v52, v53, v34
	s_delay_alu instid0(VALU_DEP_3) | instskip(NEXT) | instid1(VALU_DEP_2)
	v_pk_add_f32 v[216:217], v[216:217], v[68:69] neg_lo:[0,1] neg_hi:[0,1]
	v_pk_fma_f32 v[50:51], v[50:51], v[60:61], v[52:53] op_sel_hi:[1,1,0]
	s_delay_alu instid0(VALU_DEP_1) | instskip(SKIP_4) | instid1(VALU_DEP_1)
	v_mov_b32_e32 v55, v51
	ds_load_2addr_b64 v[50:53], v222 offset0:50 offset1:51
	v_pk_add_f32 v[212:213], v[212:213], v[54:55] neg_lo:[0,1] neg_hi:[0,1]
	s_wait_dscnt 0x0
	v_pk_mul_f32 v[54:55], v[50:51], v[44:45] op_sel:[0,1]
	v_pk_fma_f32 v[68:69], v[50:51], v[34:35], v[54:55] op_sel:[0,0,1] op_sel_hi:[1,1,0] neg_lo:[0,0,1] neg_hi:[0,0,1]
	v_pk_fma_f32 v[50:51], v[50:51], v[34:35], v[54:55] op_sel:[0,0,1] op_sel_hi:[1,0,0]
	s_delay_alu instid0(VALU_DEP_1) | instskip(SKIP_1) | instid1(VALU_DEP_1)
	v_mov_b32_e32 v69, v51
	v_pk_mul_f32 v[50:51], v[52:53], v[44:45] op_sel:[0,1]
	v_pk_fma_f32 v[54:55], v[52:53], v[34:35], v[50:51] op_sel:[0,0,1] op_sel_hi:[1,1,0] neg_lo:[0,0,1] neg_hi:[0,0,1]
	v_pk_fma_f32 v[50:51], v[52:53], v[34:35], v[50:51] op_sel:[0,0,1] op_sel_hi:[1,0,0]
	s_delay_alu instid0(VALU_DEP_1)
	v_mov_b32_e32 v55, v51
	ds_load_2addr_b64 v[50:53], v222 offset0:52 offset1:53
	v_pk_add_f32 v[214:215], v[214:215], v[68:69] neg_lo:[0,1] neg_hi:[0,1]
	v_pk_add_f32 v[210:211], v[210:211], v[54:55] neg_lo:[0,1] neg_hi:[0,1]
	s_wait_dscnt 0x0
	v_pk_mul_f32 v[54:55], v[50:51], v[44:45] op_sel:[0,1]
	s_delay_alu instid0(VALU_DEP_1) | instskip(SKIP_1) | instid1(VALU_DEP_1)
	v_pk_fma_f32 v[68:69], v[50:51], v[34:35], v[54:55] op_sel:[0,0,1] op_sel_hi:[1,1,0] neg_lo:[0,0,1] neg_hi:[0,0,1]
	v_pk_fma_f32 v[50:51], v[50:51], v[34:35], v[54:55] op_sel:[0,0,1] op_sel_hi:[1,0,0]
	v_mov_b32_e32 v69, v51
	v_pk_mul_f32 v[50:51], v[52:53], v[44:45] op_sel:[0,1]
	s_delay_alu instid0(VALU_DEP_1) | instskip(SKIP_1) | instid1(VALU_DEP_1)
	v_pk_fma_f32 v[54:55], v[52:53], v[34:35], v[50:51] op_sel:[0,0,1] op_sel_hi:[1,1,0] neg_lo:[0,0,1] neg_hi:[0,0,1]
	v_pk_fma_f32 v[50:51], v[52:53], v[34:35], v[50:51] op_sel:[0,0,1] op_sel_hi:[1,0,0]
	v_mov_b32_e32 v55, v51
	ds_load_2addr_b64 v[50:53], v222 offset0:54 offset1:55
	v_pk_add_f32 v[240:241], v[240:241], v[68:69] neg_lo:[0,1] neg_hi:[0,1]
	v_pk_add_f32 v[232:233], v[232:233], v[54:55] neg_lo:[0,1] neg_hi:[0,1]
	s_wait_dscnt 0x0
	v_dual_mul_f32 v54, v51, v45 :: v_dual_mul_f32 v68, v51, v34
	s_delay_alu instid0(VALU_DEP_1) | instskip(NEXT) | instid1(VALU_DEP_2)
	v_pk_fma_f32 v[54:55], v[50:51], v[60:61], v[54:55] op_sel_hi:[1,1,0] neg_lo:[0,0,1] neg_hi:[0,0,1]
	v_pk_fma_f32 v[50:51], v[50:51], v[60:61], v[68:69] op_sel:[1,0,0] op_sel_hi:[0,1,0]
	s_delay_alu instid0(VALU_DEP_1) | instskip(SKIP_1) | instid1(VALU_DEP_2)
	v_mov_b32_e32 v55, v51
	v_pk_mul_f32 v[50:51], v[52:53], v[44:45] op_sel:[0,1]
	v_pk_add_f32 v[238:239], v[238:239], v[54:55] neg_lo:[0,1] neg_hi:[0,1]
	s_delay_alu instid0(VALU_DEP_2) | instskip(SKIP_1) | instid1(VALU_DEP_1)
	v_pk_fma_f32 v[54:55], v[52:53], v[34:35], v[50:51] op_sel:[0,0,1] op_sel_hi:[1,1,0] neg_lo:[0,0,1] neg_hi:[0,0,1]
	v_pk_fma_f32 v[50:51], v[52:53], v[34:35], v[50:51] op_sel:[0,0,1] op_sel_hi:[1,0,0]
	v_mov_b32_e32 v55, v51
	ds_load_2addr_b64 v[50:53], v222 offset0:56 offset1:57
	v_pk_add_f32 v[230:231], v[230:231], v[54:55] neg_lo:[0,1] neg_hi:[0,1]
	s_wait_dscnt 0x0
	v_pk_mul_f32 v[54:55], v[50:51], v[44:45] op_sel:[0,1]
	s_delay_alu instid0(VALU_DEP_1) | instskip(SKIP_1) | instid1(VALU_DEP_1)
	v_pk_fma_f32 v[68:69], v[50:51], v[34:35], v[54:55] op_sel:[0,0,1] op_sel_hi:[1,1,0] neg_lo:[0,0,1] neg_hi:[0,0,1]
	v_pk_fma_f32 v[50:51], v[50:51], v[34:35], v[54:55] op_sel:[0,0,1] op_sel_hi:[1,0,0]
	v_mov_b32_e32 v69, v51
	v_pk_mul_f32 v[50:51], v[52:53], v[44:45] op_sel:[0,1]
	s_delay_alu instid0(VALU_DEP_2) | instskip(NEXT) | instid1(VALU_DEP_2)
	v_pk_add_f32 v[236:237], v[236:237], v[68:69] neg_lo:[0,1] neg_hi:[0,1]
	v_pk_fma_f32 v[54:55], v[52:53], v[34:35], v[50:51] op_sel:[0,0,1] op_sel_hi:[1,1,0] neg_lo:[0,0,1] neg_hi:[0,0,1]
	v_pk_fma_f32 v[50:51], v[52:53], v[34:35], v[50:51] op_sel:[0,0,1] op_sel_hi:[1,0,0]
	s_delay_alu instid0(VALU_DEP_1) | instskip(SKIP_4) | instid1(VALU_DEP_1)
	v_mov_b32_e32 v55, v51
	ds_load_2addr_b64 v[50:53], v222 offset0:58 offset1:59
	v_pk_add_f32 v[228:229], v[228:229], v[54:55] neg_lo:[0,1] neg_hi:[0,1]
	s_wait_dscnt 0x0
	v_pk_mul_f32 v[54:55], v[50:51], v[44:45] op_sel:[0,1]
	v_pk_fma_f32 v[68:69], v[50:51], v[34:35], v[54:55] op_sel:[0,0,1] op_sel_hi:[1,1,0] neg_lo:[0,0,1] neg_hi:[0,0,1]
	v_pk_fma_f32 v[50:51], v[50:51], v[34:35], v[54:55] op_sel:[0,0,1] op_sel_hi:[1,0,0]
	v_dual_mul_f32 v54, v53, v45 :: v_dual_mov_b32 v50, v53
	s_delay_alu instid0(VALU_DEP_2) | instskip(NEXT) | instid1(VALU_DEP_2)
	v_dual_mov_b32 v69, v51 :: v_dual_mov_b32 v51, v52
	v_pk_fma_f32 v[54:55], v[52:53], v[60:61], v[54:55] op_sel_hi:[1,1,0] neg_lo:[0,0,1] neg_hi:[0,0,1]
	v_mul_f32_e32 v52, v53, v34
	s_delay_alu instid0(VALU_DEP_3) | instskip(NEXT) | instid1(VALU_DEP_2)
	v_pk_add_f32 v[234:235], v[234:235], v[68:69] neg_lo:[0,1] neg_hi:[0,1]
	v_pk_fma_f32 v[50:51], v[50:51], v[60:61], v[52:53] op_sel_hi:[1,1,0]
	s_delay_alu instid0(VALU_DEP_1) | instskip(SKIP_4) | instid1(VALU_DEP_1)
	v_mov_b32_e32 v55, v51
	ds_load_b64 v[50:51], v222 offset:480
	v_pk_add_f32 v[242:243], v[242:243], v[54:55] neg_lo:[0,1] neg_hi:[0,1]
	s_wait_dscnt 0x0
	v_pk_mul_f32 v[44:45], v[50:51], v[44:45] op_sel:[0,1]
	v_pk_fma_f32 v[52:53], v[50:51], v[34:35], v[44:45] op_sel:[0,0,1] op_sel_hi:[1,1,0] neg_lo:[0,0,1] neg_hi:[0,0,1]
	v_pk_fma_f32 v[34:35], v[50:51], v[34:35], v[44:45] op_sel:[0,0,1] op_sel_hi:[1,0,0]
	s_delay_alu instid0(VALU_DEP_1) | instskip(NEXT) | instid1(VALU_DEP_1)
	v_mov_b32_e32 v53, v35
	v_pk_add_f32 v[244:245], v[244:245], v[52:53] neg_lo:[0,1] neg_hi:[0,1]
.LBB121_145:
	s_or_b32 exec_lo, exec_lo, s1
	s_delay_alu instid0(SALU_CYCLE_1)
	s_mov_b32 s2, exec_lo
	s_wait_dscnt 0x0
	s_barrier_signal -1
	s_barrier_wait -1
	v_cmpx_eq_u32_e32 16, v220
	s_cbranch_execz .LBB121_152
; %bb.146:
	ds_store_b64 v221, v[82:83]
	ds_store_2addr_b64 v222, v[78:79], v[80:81] offset0:17 offset1:18
	ds_store_2addr_b64 v222, v[76:77], v[98:99] offset0:19 offset1:20
	;; [unrolled: 1-line block ×22, first 2 shown]
	ds_load_b64 v[34:35], v221
	s_wait_dscnt 0x0
	v_cmp_neq_f32_e32 vcc_lo, 0, v34
	v_cmp_neq_f32_e64 s1, 0, v35
	s_or_b32 s1, vcc_lo, s1
	s_delay_alu instid0(SALU_CYCLE_1)
	s_and_b32 exec_lo, exec_lo, s1
	s_cbranch_execz .LBB121_152
; %bb.147:
	v_cmp_ngt_f32_e64 s1, |v34|, |v35|
                                        ; implicit-def: $vgpr44_vgpr45
	s_and_saveexec_b32 s4, s1
	s_delay_alu instid0(SALU_CYCLE_1)
	s_xor_b32 s1, exec_lo, s4
	s_cbranch_execz .LBB121_149
; %bb.148:
	v_div_scale_f32 v44, null, v35, v35, v34
	v_div_scale_f32 v51, vcc_lo, v34, v35, v34
	s_delay_alu instid0(VALU_DEP_2) | instskip(SKIP_1) | instid1(TRANS32_DEP_1)
	v_rcp_f32_e32 v45, v44
	v_nop
	v_fma_f32 v50, -v44, v45, 1.0
	s_delay_alu instid0(VALU_DEP_1) | instskip(NEXT) | instid1(VALU_DEP_1)
	v_fmac_f32_e32 v45, v50, v45
	v_mul_f32_e32 v50, v51, v45
	s_delay_alu instid0(VALU_DEP_1) | instskip(NEXT) | instid1(VALU_DEP_1)
	v_fma_f32 v52, -v44, v50, v51
	v_fmac_f32_e32 v50, v52, v45
	s_delay_alu instid0(VALU_DEP_1) | instskip(NEXT) | instid1(VALU_DEP_1)
	v_fma_f32 v44, -v44, v50, v51
	v_div_fmas_f32 v44, v44, v45, v50
	s_delay_alu instid0(VALU_DEP_1) | instskip(NEXT) | instid1(VALU_DEP_1)
	v_div_fixup_f32 v44, v44, v35, v34
	v_fmac_f32_e32 v35, v34, v44
	s_delay_alu instid0(VALU_DEP_1) | instskip(SKIP_1) | instid1(VALU_DEP_2)
	v_div_scale_f32 v34, null, v35, v35, 1.0
	v_div_scale_f32 v51, vcc_lo, 1.0, v35, 1.0
	v_rcp_f32_e32 v45, v34
	v_nop
	s_delay_alu instid0(TRANS32_DEP_1) | instskip(NEXT) | instid1(VALU_DEP_1)
	v_fma_f32 v50, -v34, v45, 1.0
	v_fmac_f32_e32 v45, v50, v45
	s_delay_alu instid0(VALU_DEP_1) | instskip(NEXT) | instid1(VALU_DEP_1)
	v_mul_f32_e32 v50, v51, v45
	v_fma_f32 v52, -v34, v50, v51
	s_delay_alu instid0(VALU_DEP_1) | instskip(NEXT) | instid1(VALU_DEP_1)
	v_fmac_f32_e32 v50, v52, v45
	v_fma_f32 v34, -v34, v50, v51
	s_delay_alu instid0(VALU_DEP_1) | instskip(NEXT) | instid1(VALU_DEP_1)
	v_div_fmas_f32 v34, v34, v45, v50
	v_div_fixup_f32 v34, v34, v35, 1.0
	s_delay_alu instid0(VALU_DEP_1)
	v_mul_f32_e32 v44, v44, v34
	v_xor_b32_e32 v45, 0x80000000, v34
                                        ; implicit-def: $vgpr34_vgpr35
.LBB121_149:
	s_and_not1_saveexec_b32 s1, s1
	s_cbranch_execz .LBB121_151
; %bb.150:
	v_div_scale_f32 v44, null, v34, v34, v35
	v_div_scale_f32 v51, vcc_lo, v35, v34, v35
	s_delay_alu instid0(VALU_DEP_2) | instskip(SKIP_1) | instid1(TRANS32_DEP_1)
	v_rcp_f32_e32 v45, v44
	v_nop
	v_fma_f32 v50, -v44, v45, 1.0
	s_delay_alu instid0(VALU_DEP_1) | instskip(NEXT) | instid1(VALU_DEP_1)
	v_fmac_f32_e32 v45, v50, v45
	v_mul_f32_e32 v50, v51, v45
	s_delay_alu instid0(VALU_DEP_1) | instskip(NEXT) | instid1(VALU_DEP_1)
	v_fma_f32 v52, -v44, v50, v51
	v_fmac_f32_e32 v50, v52, v45
	s_delay_alu instid0(VALU_DEP_1) | instskip(NEXT) | instid1(VALU_DEP_1)
	v_fma_f32 v44, -v44, v50, v51
	v_div_fmas_f32 v44, v44, v45, v50
	s_delay_alu instid0(VALU_DEP_1) | instskip(NEXT) | instid1(VALU_DEP_1)
	v_div_fixup_f32 v45, v44, v34, v35
	v_fmac_f32_e32 v34, v35, v45
	s_delay_alu instid0(VALU_DEP_1) | instskip(NEXT) | instid1(VALU_DEP_1)
	v_div_scale_f32 v35, null, v34, v34, 1.0
	v_rcp_f32_e32 v44, v35
	v_nop
	s_delay_alu instid0(TRANS32_DEP_1) | instskip(NEXT) | instid1(VALU_DEP_1)
	v_fma_f32 v50, -v35, v44, 1.0
	v_fmac_f32_e32 v44, v50, v44
	v_div_scale_f32 v50, vcc_lo, 1.0, v34, 1.0
	s_delay_alu instid0(VALU_DEP_1) | instskip(NEXT) | instid1(VALU_DEP_1)
	v_mul_f32_e32 v51, v50, v44
	v_fma_f32 v52, -v35, v51, v50
	s_delay_alu instid0(VALU_DEP_1) | instskip(NEXT) | instid1(VALU_DEP_1)
	v_fmac_f32_e32 v51, v52, v44
	v_fma_f32 v35, -v35, v51, v50
	s_delay_alu instid0(VALU_DEP_1) | instskip(NEXT) | instid1(VALU_DEP_1)
	v_div_fmas_f32 v35, v35, v44, v51
	v_div_fixup_f32 v44, v35, v34, 1.0
	s_delay_alu instid0(VALU_DEP_1)
	v_mul_f32_e64 v45, v45, -v44
.LBB121_151:
	s_or_b32 exec_lo, exec_lo, s1
	ds_store_b64 v221, v[44:45]
.LBB121_152:
	s_or_b32 exec_lo, exec_lo, s2
	s_wait_dscnt 0x0
	s_barrier_signal -1
	s_barrier_wait -1
	ds_load_b64 v[34:35], v221
	s_mov_b32 s1, exec_lo
	v_cmpx_lt_u32_e32 16, v220
	s_cbranch_execz .LBB121_154
; %bb.153:
	ds_load_2addr_b64 v[52:55], v222 offset0:17 offset1:18
	s_wait_dscnt 0x1
	v_pk_mul_f32 v[50:51], v[34:35], v[82:83] op_sel:[1,1] op_sel_hi:[0,1]
	s_delay_alu instid0(VALU_DEP_1) | instskip(SKIP_1) | instid1(VALU_DEP_1)
	v_pk_fma_f32 v[44:45], v[34:35], v[82:83], v[50:51] op_sel_hi:[1,0,1] neg_lo:[0,0,1] neg_hi:[0,0,1]
	v_pk_fma_f32 v[50:51], v[34:35], v[82:83], v[50:51] op_sel_hi:[1,0,1]
	v_dual_mov_b32 v82, v44 :: v_dual_mov_b32 v83, v51
	s_wait_dscnt 0x0
	s_delay_alu instid0(VALU_DEP_2) | instskip(NEXT) | instid1(VALU_DEP_1)
	v_pk_mul_f32 v[68:69], v[52:53], v[50:51] op_sel:[0,1]
	v_pk_fma_f32 v[70:71], v[52:53], v[44:45], v[68:69] op_sel:[0,0,1] op_sel_hi:[1,1,0] neg_lo:[0,0,1] neg_hi:[0,0,1]
	v_pk_fma_f32 v[52:53], v[52:53], v[44:45], v[68:69] op_sel:[0,0,1] op_sel_hi:[1,0,0]
	s_delay_alu instid0(VALU_DEP_1) | instskip(SKIP_1) | instid1(VALU_DEP_1)
	v_mov_b32_e32 v71, v53
	v_pk_mul_f32 v[52:53], v[54:55], v[50:51] op_sel:[0,1]
	v_pk_fma_f32 v[68:69], v[54:55], v[44:45], v[52:53] op_sel:[0,0,1] op_sel_hi:[1,1,0] neg_lo:[0,0,1] neg_hi:[0,0,1]
	v_pk_fma_f32 v[52:53], v[54:55], v[44:45], v[52:53] op_sel:[0,0,1] op_sel_hi:[1,0,0]
	s_delay_alu instid0(VALU_DEP_1)
	v_mov_b32_e32 v69, v53
	ds_load_2addr_b64 v[52:55], v222 offset0:19 offset1:20
	v_pk_add_f32 v[78:79], v[78:79], v[70:71] neg_lo:[0,1] neg_hi:[0,1]
	v_pk_add_f32 v[80:81], v[80:81], v[68:69] neg_lo:[0,1] neg_hi:[0,1]
	s_wait_dscnt 0x0
	v_pk_mul_f32 v[68:69], v[52:53], v[50:51] op_sel:[0,1]
	s_delay_alu instid0(VALU_DEP_1) | instskip(SKIP_2) | instid1(VALU_DEP_2)
	v_pk_fma_f32 v[70:71], v[52:53], v[44:45], v[68:69] op_sel:[0,0,1] op_sel_hi:[1,1,0] neg_lo:[0,0,1] neg_hi:[0,0,1]
	v_pk_fma_f32 v[52:53], v[52:53], v[44:45], v[68:69] op_sel:[0,0,1] op_sel_hi:[1,0,0]
	v_dual_mul_f32 v68, v55, v51 :: v_dual_mov_b32 v52, v55
	v_dual_mov_b32 v71, v53 :: v_dual_mov_b32 v53, v54
	s_delay_alu instid0(VALU_DEP_2) | instskip(SKIP_1) | instid1(VALU_DEP_3)
	v_pk_fma_f32 v[68:69], v[54:55], v[82:83], v[68:69] op_sel_hi:[1,1,0] neg_lo:[0,0,1] neg_hi:[0,0,1]
	v_mul_f32_e32 v54, v55, v44
	v_pk_add_f32 v[76:77], v[76:77], v[70:71] neg_lo:[0,1] neg_hi:[0,1]
	s_delay_alu instid0(VALU_DEP_2) | instskip(NEXT) | instid1(VALU_DEP_1)
	v_pk_fma_f32 v[52:53], v[52:53], v[82:83], v[54:55] op_sel_hi:[1,1,0]
	v_mov_b32_e32 v69, v53
	ds_load_2addr_b64 v[52:55], v222 offset0:21 offset1:22
	v_pk_add_f32 v[98:99], v[98:99], v[68:69] neg_lo:[0,1] neg_hi:[0,1]
	s_wait_dscnt 0x0
	v_pk_mul_f32 v[68:69], v[52:53], v[50:51] op_sel:[0,1]
	s_delay_alu instid0(VALU_DEP_1) | instskip(SKIP_1) | instid1(VALU_DEP_1)
	v_pk_fma_f32 v[70:71], v[52:53], v[44:45], v[68:69] op_sel:[0,0,1] op_sel_hi:[1,1,0] neg_lo:[0,0,1] neg_hi:[0,0,1]
	v_pk_fma_f32 v[52:53], v[52:53], v[44:45], v[68:69] op_sel:[0,0,1] op_sel_hi:[1,0,0]
	v_mov_b32_e32 v71, v53
	v_pk_mul_f32 v[52:53], v[54:55], v[50:51] op_sel:[0,1]
	s_delay_alu instid0(VALU_DEP_1) | instskip(SKIP_1) | instid1(VALU_DEP_1)
	v_pk_fma_f32 v[68:69], v[54:55], v[44:45], v[52:53] op_sel:[0,0,1] op_sel_hi:[1,1,0] neg_lo:[0,0,1] neg_hi:[0,0,1]
	v_pk_fma_f32 v[52:53], v[54:55], v[44:45], v[52:53] op_sel:[0,0,1] op_sel_hi:[1,0,0]
	v_mov_b32_e32 v69, v53
	ds_load_2addr_b64 v[52:55], v222 offset0:23 offset1:24
	v_pk_add_f32 v[94:95], v[94:95], v[70:71] neg_lo:[0,1] neg_hi:[0,1]
	v_pk_add_f32 v[96:97], v[96:97], v[68:69] neg_lo:[0,1] neg_hi:[0,1]
	s_wait_dscnt 0x0
	v_pk_mul_f32 v[68:69], v[52:53], v[50:51] op_sel:[0,1]
	s_delay_alu instid0(VALU_DEP_1) | instskip(SKIP_1) | instid1(VALU_DEP_1)
	v_pk_fma_f32 v[70:71], v[52:53], v[44:45], v[68:69] op_sel:[0,0,1] op_sel_hi:[1,1,0] neg_lo:[0,0,1] neg_hi:[0,0,1]
	v_pk_fma_f32 v[52:53], v[52:53], v[44:45], v[68:69] op_sel:[0,0,1] op_sel_hi:[1,0,0]
	v_mov_b32_e32 v71, v53
	v_pk_mul_f32 v[52:53], v[54:55], v[50:51] op_sel:[0,1]
	s_delay_alu instid0(VALU_DEP_1) | instskip(SKIP_1) | instid1(VALU_DEP_1)
	v_pk_fma_f32 v[68:69], v[54:55], v[44:45], v[52:53] op_sel:[0,0,1] op_sel_hi:[1,1,0] neg_lo:[0,0,1] neg_hi:[0,0,1]
	v_pk_fma_f32 v[52:53], v[54:55], v[44:45], v[52:53] op_sel:[0,0,1] op_sel_hi:[1,0,0]
	v_mov_b32_e32 v69, v53
	ds_load_2addr_b64 v[52:55], v222 offset0:25 offset1:26
	v_pk_add_f32 v[92:93], v[92:93], v[70:71] neg_lo:[0,1] neg_hi:[0,1]
	v_pk_add_f32 v[114:115], v[114:115], v[68:69] neg_lo:[0,1] neg_hi:[0,1]
	s_wait_dscnt 0x0
	v_dual_mul_f32 v68, v53, v51 :: v_dual_mul_f32 v70, v53, v44
	s_delay_alu instid0(VALU_DEP_1) | instskip(NEXT) | instid1(VALU_DEP_2)
	v_pk_fma_f32 v[68:69], v[52:53], v[82:83], v[68:69] op_sel_hi:[1,1,0] neg_lo:[0,0,1] neg_hi:[0,0,1]
	v_pk_fma_f32 v[52:53], v[52:53], v[82:83], v[70:71] op_sel:[1,0,0] op_sel_hi:[0,1,0]
	s_delay_alu instid0(VALU_DEP_1) | instskip(SKIP_1) | instid1(VALU_DEP_2)
	v_mov_b32_e32 v69, v53
	v_pk_mul_f32 v[52:53], v[54:55], v[50:51] op_sel:[0,1]
	v_pk_add_f32 v[110:111], v[110:111], v[68:69] neg_lo:[0,1] neg_hi:[0,1]
	s_delay_alu instid0(VALU_DEP_2) | instskip(SKIP_1) | instid1(VALU_DEP_1)
	v_pk_fma_f32 v[68:69], v[54:55], v[44:45], v[52:53] op_sel:[0,0,1] op_sel_hi:[1,1,0] neg_lo:[0,0,1] neg_hi:[0,0,1]
	v_pk_fma_f32 v[52:53], v[54:55], v[44:45], v[52:53] op_sel:[0,0,1] op_sel_hi:[1,0,0]
	v_mov_b32_e32 v69, v53
	ds_load_2addr_b64 v[52:55], v222 offset0:27 offset1:28
	v_pk_add_f32 v[112:113], v[112:113], v[68:69] neg_lo:[0,1] neg_hi:[0,1]
	s_wait_dscnt 0x0
	v_pk_mul_f32 v[68:69], v[52:53], v[50:51] op_sel:[0,1]
	s_delay_alu instid0(VALU_DEP_1) | instskip(SKIP_1) | instid1(VALU_DEP_1)
	v_pk_fma_f32 v[70:71], v[52:53], v[44:45], v[68:69] op_sel:[0,0,1] op_sel_hi:[1,1,0] neg_lo:[0,0,1] neg_hi:[0,0,1]
	v_pk_fma_f32 v[52:53], v[52:53], v[44:45], v[68:69] op_sel:[0,0,1] op_sel_hi:[1,0,0]
	v_mov_b32_e32 v71, v53
	v_pk_mul_f32 v[52:53], v[54:55], v[50:51] op_sel:[0,1]
	s_delay_alu instid0(VALU_DEP_2) | instskip(NEXT) | instid1(VALU_DEP_2)
	v_pk_add_f32 v[108:109], v[108:109], v[70:71] neg_lo:[0,1] neg_hi:[0,1]
	v_pk_fma_f32 v[68:69], v[54:55], v[44:45], v[52:53] op_sel:[0,0,1] op_sel_hi:[1,1,0] neg_lo:[0,0,1] neg_hi:[0,0,1]
	v_pk_fma_f32 v[52:53], v[54:55], v[44:45], v[52:53] op_sel:[0,0,1] op_sel_hi:[1,0,0]
	s_delay_alu instid0(VALU_DEP_1) | instskip(SKIP_4) | instid1(VALU_DEP_1)
	v_mov_b32_e32 v69, v53
	ds_load_2addr_b64 v[52:55], v222 offset0:29 offset1:30
	v_pk_add_f32 v[130:131], v[130:131], v[68:69] neg_lo:[0,1] neg_hi:[0,1]
	s_wait_dscnt 0x0
	v_pk_mul_f32 v[68:69], v[52:53], v[50:51] op_sel:[0,1]
	v_pk_fma_f32 v[70:71], v[52:53], v[44:45], v[68:69] op_sel:[0,0,1] op_sel_hi:[1,1,0] neg_lo:[0,0,1] neg_hi:[0,0,1]
	v_pk_fma_f32 v[52:53], v[52:53], v[44:45], v[68:69] op_sel:[0,0,1] op_sel_hi:[1,0,0]
	v_dual_mul_f32 v68, v55, v51 :: v_dual_mov_b32 v52, v55
	s_delay_alu instid0(VALU_DEP_2) | instskip(NEXT) | instid1(VALU_DEP_2)
	v_dual_mov_b32 v71, v53 :: v_dual_mov_b32 v53, v54
	v_pk_fma_f32 v[68:69], v[54:55], v[82:83], v[68:69] op_sel_hi:[1,1,0] neg_lo:[0,0,1] neg_hi:[0,0,1]
	v_mul_f32_e32 v54, v55, v44
	s_delay_alu instid0(VALU_DEP_3) | instskip(NEXT) | instid1(VALU_DEP_2)
	v_pk_add_f32 v[126:127], v[126:127], v[70:71] neg_lo:[0,1] neg_hi:[0,1]
	v_pk_fma_f32 v[52:53], v[52:53], v[82:83], v[54:55] op_sel_hi:[1,1,0]
	s_delay_alu instid0(VALU_DEP_1) | instskip(SKIP_4) | instid1(VALU_DEP_1)
	v_mov_b32_e32 v69, v53
	ds_load_2addr_b64 v[52:55], v222 offset0:31 offset1:32
	v_pk_add_f32 v[128:129], v[128:129], v[68:69] neg_lo:[0,1] neg_hi:[0,1]
	s_wait_dscnt 0x0
	v_pk_mul_f32 v[68:69], v[52:53], v[50:51] op_sel:[0,1]
	v_pk_fma_f32 v[70:71], v[52:53], v[44:45], v[68:69] op_sel:[0,0,1] op_sel_hi:[1,1,0] neg_lo:[0,0,1] neg_hi:[0,0,1]
	v_pk_fma_f32 v[52:53], v[52:53], v[44:45], v[68:69] op_sel:[0,0,1] op_sel_hi:[1,0,0]
	s_delay_alu instid0(VALU_DEP_1) | instskip(SKIP_1) | instid1(VALU_DEP_1)
	v_mov_b32_e32 v71, v53
	v_pk_mul_f32 v[52:53], v[54:55], v[50:51] op_sel:[0,1]
	v_pk_fma_f32 v[68:69], v[54:55], v[44:45], v[52:53] op_sel:[0,0,1] op_sel_hi:[1,1,0] neg_lo:[0,0,1] neg_hi:[0,0,1]
	v_pk_fma_f32 v[52:53], v[54:55], v[44:45], v[52:53] op_sel:[0,0,1] op_sel_hi:[1,0,0]
	s_delay_alu instid0(VALU_DEP_1)
	v_mov_b32_e32 v69, v53
	ds_load_2addr_b64 v[52:55], v222 offset0:33 offset1:34
	v_pk_add_f32 v[124:125], v[124:125], v[70:71] neg_lo:[0,1] neg_hi:[0,1]
	v_pk_add_f32 v[146:147], v[146:147], v[68:69] neg_lo:[0,1] neg_hi:[0,1]
	s_wait_dscnt 0x0
	v_pk_mul_f32 v[68:69], v[52:53], v[50:51] op_sel:[0,1]
	s_delay_alu instid0(VALU_DEP_1) | instskip(SKIP_1) | instid1(VALU_DEP_1)
	v_pk_fma_f32 v[70:71], v[52:53], v[44:45], v[68:69] op_sel:[0,0,1] op_sel_hi:[1,1,0] neg_lo:[0,0,1] neg_hi:[0,0,1]
	v_pk_fma_f32 v[52:53], v[52:53], v[44:45], v[68:69] op_sel:[0,0,1] op_sel_hi:[1,0,0]
	v_mov_b32_e32 v71, v53
	v_pk_mul_f32 v[52:53], v[54:55], v[50:51] op_sel:[0,1]
	s_delay_alu instid0(VALU_DEP_1) | instskip(SKIP_1) | instid1(VALU_DEP_1)
	v_pk_fma_f32 v[68:69], v[54:55], v[44:45], v[52:53] op_sel:[0,0,1] op_sel_hi:[1,1,0] neg_lo:[0,0,1] neg_hi:[0,0,1]
	v_pk_fma_f32 v[52:53], v[54:55], v[44:45], v[52:53] op_sel:[0,0,1] op_sel_hi:[1,0,0]
	v_mov_b32_e32 v69, v53
	ds_load_2addr_b64 v[52:55], v222 offset0:35 offset1:36
	v_pk_add_f32 v[142:143], v[142:143], v[70:71] neg_lo:[0,1] neg_hi:[0,1]
	v_pk_add_f32 v[144:145], v[144:145], v[68:69] neg_lo:[0,1] neg_hi:[0,1]
	s_wait_dscnt 0x0
	v_dual_mul_f32 v68, v53, v51 :: v_dual_mul_f32 v70, v53, v44
	s_delay_alu instid0(VALU_DEP_1) | instskip(NEXT) | instid1(VALU_DEP_2)
	v_pk_fma_f32 v[68:69], v[52:53], v[82:83], v[68:69] op_sel_hi:[1,1,0] neg_lo:[0,0,1] neg_hi:[0,0,1]
	v_pk_fma_f32 v[52:53], v[52:53], v[82:83], v[70:71] op_sel:[1,0,0] op_sel_hi:[0,1,0]
	s_delay_alu instid0(VALU_DEP_1) | instskip(SKIP_1) | instid1(VALU_DEP_2)
	v_mov_b32_e32 v69, v53
	v_pk_mul_f32 v[52:53], v[54:55], v[50:51] op_sel:[0,1]
	v_pk_add_f32 v[140:141], v[140:141], v[68:69] neg_lo:[0,1] neg_hi:[0,1]
	s_delay_alu instid0(VALU_DEP_2) | instskip(SKIP_1) | instid1(VALU_DEP_1)
	v_pk_fma_f32 v[68:69], v[54:55], v[44:45], v[52:53] op_sel:[0,0,1] op_sel_hi:[1,1,0] neg_lo:[0,0,1] neg_hi:[0,0,1]
	v_pk_fma_f32 v[52:53], v[54:55], v[44:45], v[52:53] op_sel:[0,0,1] op_sel_hi:[1,0,0]
	v_mov_b32_e32 v69, v53
	ds_load_2addr_b64 v[52:55], v222 offset0:37 offset1:38
	v_pk_add_f32 v[162:163], v[162:163], v[68:69] neg_lo:[0,1] neg_hi:[0,1]
	s_wait_dscnt 0x0
	v_pk_mul_f32 v[68:69], v[52:53], v[50:51] op_sel:[0,1]
	s_delay_alu instid0(VALU_DEP_1) | instskip(SKIP_1) | instid1(VALU_DEP_1)
	v_pk_fma_f32 v[70:71], v[52:53], v[44:45], v[68:69] op_sel:[0,0,1] op_sel_hi:[1,1,0] neg_lo:[0,0,1] neg_hi:[0,0,1]
	v_pk_fma_f32 v[52:53], v[52:53], v[44:45], v[68:69] op_sel:[0,0,1] op_sel_hi:[1,0,0]
	v_mov_b32_e32 v71, v53
	v_pk_mul_f32 v[52:53], v[54:55], v[50:51] op_sel:[0,1]
	s_delay_alu instid0(VALU_DEP_2) | instskip(NEXT) | instid1(VALU_DEP_2)
	v_pk_add_f32 v[158:159], v[158:159], v[70:71] neg_lo:[0,1] neg_hi:[0,1]
	v_pk_fma_f32 v[68:69], v[54:55], v[44:45], v[52:53] op_sel:[0,0,1] op_sel_hi:[1,1,0] neg_lo:[0,0,1] neg_hi:[0,0,1]
	v_pk_fma_f32 v[52:53], v[54:55], v[44:45], v[52:53] op_sel:[0,0,1] op_sel_hi:[1,0,0]
	s_delay_alu instid0(VALU_DEP_1) | instskip(SKIP_4) | instid1(VALU_DEP_1)
	v_mov_b32_e32 v69, v53
	ds_load_2addr_b64 v[52:55], v222 offset0:39 offset1:40
	v_pk_add_f32 v[160:161], v[160:161], v[68:69] neg_lo:[0,1] neg_hi:[0,1]
	s_wait_dscnt 0x0
	v_pk_mul_f32 v[68:69], v[52:53], v[50:51] op_sel:[0,1]
	v_pk_fma_f32 v[70:71], v[52:53], v[44:45], v[68:69] op_sel:[0,0,1] op_sel_hi:[1,1,0] neg_lo:[0,0,1] neg_hi:[0,0,1]
	v_pk_fma_f32 v[52:53], v[52:53], v[44:45], v[68:69] op_sel:[0,0,1] op_sel_hi:[1,0,0]
	v_dual_mul_f32 v68, v55, v51 :: v_dual_mov_b32 v52, v55
	s_delay_alu instid0(VALU_DEP_2) | instskip(NEXT) | instid1(VALU_DEP_2)
	v_dual_mov_b32 v71, v53 :: v_dual_mov_b32 v53, v54
	v_pk_fma_f32 v[68:69], v[54:55], v[82:83], v[68:69] op_sel_hi:[1,1,0] neg_lo:[0,0,1] neg_hi:[0,0,1]
	v_mul_f32_e32 v54, v55, v44
	s_delay_alu instid0(VALU_DEP_3) | instskip(NEXT) | instid1(VALU_DEP_2)
	v_pk_add_f32 v[156:157], v[156:157], v[70:71] neg_lo:[0,1] neg_hi:[0,1]
	v_pk_fma_f32 v[52:53], v[52:53], v[82:83], v[54:55] op_sel_hi:[1,1,0]
	s_delay_alu instid0(VALU_DEP_1) | instskip(SKIP_4) | instid1(VALU_DEP_1)
	v_mov_b32_e32 v69, v53
	ds_load_2addr_b64 v[52:55], v222 offset0:41 offset1:42
	v_pk_add_f32 v[178:179], v[178:179], v[68:69] neg_lo:[0,1] neg_hi:[0,1]
	s_wait_dscnt 0x0
	v_pk_mul_f32 v[68:69], v[52:53], v[50:51] op_sel:[0,1]
	v_pk_fma_f32 v[70:71], v[52:53], v[44:45], v[68:69] op_sel:[0,0,1] op_sel_hi:[1,1,0] neg_lo:[0,0,1] neg_hi:[0,0,1]
	v_pk_fma_f32 v[52:53], v[52:53], v[44:45], v[68:69] op_sel:[0,0,1] op_sel_hi:[1,0,0]
	s_delay_alu instid0(VALU_DEP_1) | instskip(SKIP_1) | instid1(VALU_DEP_1)
	v_mov_b32_e32 v71, v53
	v_pk_mul_f32 v[52:53], v[54:55], v[50:51] op_sel:[0,1]
	v_pk_fma_f32 v[68:69], v[54:55], v[44:45], v[52:53] op_sel:[0,0,1] op_sel_hi:[1,1,0] neg_lo:[0,0,1] neg_hi:[0,0,1]
	v_pk_fma_f32 v[52:53], v[54:55], v[44:45], v[52:53] op_sel:[0,0,1] op_sel_hi:[1,0,0]
	s_delay_alu instid0(VALU_DEP_1)
	v_mov_b32_e32 v69, v53
	ds_load_2addr_b64 v[52:55], v222 offset0:43 offset1:44
	v_pk_add_f32 v[174:175], v[174:175], v[70:71] neg_lo:[0,1] neg_hi:[0,1]
	v_pk_add_f32 v[176:177], v[176:177], v[68:69] neg_lo:[0,1] neg_hi:[0,1]
	s_wait_dscnt 0x0
	v_pk_mul_f32 v[68:69], v[52:53], v[50:51] op_sel:[0,1]
	s_delay_alu instid0(VALU_DEP_1) | instskip(SKIP_1) | instid1(VALU_DEP_1)
	v_pk_fma_f32 v[70:71], v[52:53], v[44:45], v[68:69] op_sel:[0,0,1] op_sel_hi:[1,1,0] neg_lo:[0,0,1] neg_hi:[0,0,1]
	v_pk_fma_f32 v[52:53], v[52:53], v[44:45], v[68:69] op_sel:[0,0,1] op_sel_hi:[1,0,0]
	v_mov_b32_e32 v71, v53
	v_pk_mul_f32 v[52:53], v[54:55], v[50:51] op_sel:[0,1]
	s_delay_alu instid0(VALU_DEP_1) | instskip(SKIP_1) | instid1(VALU_DEP_1)
	v_pk_fma_f32 v[68:69], v[54:55], v[44:45], v[52:53] op_sel:[0,0,1] op_sel_hi:[1,1,0] neg_lo:[0,0,1] neg_hi:[0,0,1]
	v_pk_fma_f32 v[52:53], v[54:55], v[44:45], v[52:53] op_sel:[0,0,1] op_sel_hi:[1,0,0]
	v_mov_b32_e32 v69, v53
	ds_load_2addr_b64 v[52:55], v222 offset0:45 offset1:46
	v_pk_add_f32 v[172:173], v[172:173], v[70:71] neg_lo:[0,1] neg_hi:[0,1]
	v_pk_add_f32 v[194:195], v[194:195], v[68:69] neg_lo:[0,1] neg_hi:[0,1]
	s_wait_dscnt 0x0
	v_dual_mul_f32 v68, v53, v51 :: v_dual_mul_f32 v70, v53, v44
	s_delay_alu instid0(VALU_DEP_1) | instskip(NEXT) | instid1(VALU_DEP_2)
	v_pk_fma_f32 v[68:69], v[52:53], v[82:83], v[68:69] op_sel_hi:[1,1,0] neg_lo:[0,0,1] neg_hi:[0,0,1]
	v_pk_fma_f32 v[52:53], v[52:53], v[82:83], v[70:71] op_sel:[1,0,0] op_sel_hi:[0,1,0]
	s_delay_alu instid0(VALU_DEP_1) | instskip(SKIP_1) | instid1(VALU_DEP_2)
	v_mov_b32_e32 v69, v53
	v_pk_mul_f32 v[52:53], v[54:55], v[50:51] op_sel:[0,1]
	v_pk_add_f32 v[190:191], v[190:191], v[68:69] neg_lo:[0,1] neg_hi:[0,1]
	s_delay_alu instid0(VALU_DEP_2) | instskip(SKIP_1) | instid1(VALU_DEP_1)
	v_pk_fma_f32 v[68:69], v[54:55], v[44:45], v[52:53] op_sel:[0,0,1] op_sel_hi:[1,1,0] neg_lo:[0,0,1] neg_hi:[0,0,1]
	v_pk_fma_f32 v[52:53], v[54:55], v[44:45], v[52:53] op_sel:[0,0,1] op_sel_hi:[1,0,0]
	v_mov_b32_e32 v69, v53
	ds_load_2addr_b64 v[52:55], v222 offset0:47 offset1:48
	v_pk_add_f32 v[192:193], v[192:193], v[68:69] neg_lo:[0,1] neg_hi:[0,1]
	s_wait_dscnt 0x0
	v_pk_mul_f32 v[68:69], v[52:53], v[50:51] op_sel:[0,1]
	s_delay_alu instid0(VALU_DEP_1) | instskip(SKIP_1) | instid1(VALU_DEP_1)
	v_pk_fma_f32 v[70:71], v[52:53], v[44:45], v[68:69] op_sel:[0,0,1] op_sel_hi:[1,1,0] neg_lo:[0,0,1] neg_hi:[0,0,1]
	v_pk_fma_f32 v[52:53], v[52:53], v[44:45], v[68:69] op_sel:[0,0,1] op_sel_hi:[1,0,0]
	v_mov_b32_e32 v71, v53
	v_pk_mul_f32 v[52:53], v[54:55], v[50:51] op_sel:[0,1]
	s_delay_alu instid0(VALU_DEP_2) | instskip(NEXT) | instid1(VALU_DEP_2)
	v_pk_add_f32 v[188:189], v[188:189], v[70:71] neg_lo:[0,1] neg_hi:[0,1]
	v_pk_fma_f32 v[68:69], v[54:55], v[44:45], v[52:53] op_sel:[0,0,1] op_sel_hi:[1,1,0] neg_lo:[0,0,1] neg_hi:[0,0,1]
	v_pk_fma_f32 v[52:53], v[54:55], v[44:45], v[52:53] op_sel:[0,0,1] op_sel_hi:[1,0,0]
	s_delay_alu instid0(VALU_DEP_1) | instskip(SKIP_4) | instid1(VALU_DEP_1)
	v_mov_b32_e32 v69, v53
	ds_load_2addr_b64 v[52:55], v222 offset0:49 offset1:50
	v_pk_add_f32 v[216:217], v[216:217], v[68:69] neg_lo:[0,1] neg_hi:[0,1]
	s_wait_dscnt 0x0
	v_pk_mul_f32 v[68:69], v[52:53], v[50:51] op_sel:[0,1]
	v_pk_fma_f32 v[70:71], v[52:53], v[44:45], v[68:69] op_sel:[0,0,1] op_sel_hi:[1,1,0] neg_lo:[0,0,1] neg_hi:[0,0,1]
	v_pk_fma_f32 v[52:53], v[52:53], v[44:45], v[68:69] op_sel:[0,0,1] op_sel_hi:[1,0,0]
	v_dual_mul_f32 v68, v55, v51 :: v_dual_mov_b32 v52, v55
	s_delay_alu instid0(VALU_DEP_2) | instskip(NEXT) | instid1(VALU_DEP_2)
	v_dual_mov_b32 v71, v53 :: v_dual_mov_b32 v53, v54
	v_pk_fma_f32 v[68:69], v[54:55], v[82:83], v[68:69] op_sel_hi:[1,1,0] neg_lo:[0,0,1] neg_hi:[0,0,1]
	v_mul_f32_e32 v54, v55, v44
	s_delay_alu instid0(VALU_DEP_3) | instskip(NEXT) | instid1(VALU_DEP_2)
	v_pk_add_f32 v[212:213], v[212:213], v[70:71] neg_lo:[0,1] neg_hi:[0,1]
	v_pk_fma_f32 v[52:53], v[52:53], v[82:83], v[54:55] op_sel_hi:[1,1,0]
	s_delay_alu instid0(VALU_DEP_1) | instskip(SKIP_4) | instid1(VALU_DEP_1)
	v_mov_b32_e32 v69, v53
	ds_load_2addr_b64 v[52:55], v222 offset0:51 offset1:52
	v_pk_add_f32 v[214:215], v[214:215], v[68:69] neg_lo:[0,1] neg_hi:[0,1]
	s_wait_dscnt 0x0
	v_pk_mul_f32 v[68:69], v[52:53], v[50:51] op_sel:[0,1]
	v_pk_fma_f32 v[70:71], v[52:53], v[44:45], v[68:69] op_sel:[0,0,1] op_sel_hi:[1,1,0] neg_lo:[0,0,1] neg_hi:[0,0,1]
	v_pk_fma_f32 v[52:53], v[52:53], v[44:45], v[68:69] op_sel:[0,0,1] op_sel_hi:[1,0,0]
	s_delay_alu instid0(VALU_DEP_1) | instskip(SKIP_1) | instid1(VALU_DEP_1)
	v_mov_b32_e32 v71, v53
	v_pk_mul_f32 v[52:53], v[54:55], v[50:51] op_sel:[0,1]
	v_pk_fma_f32 v[68:69], v[54:55], v[44:45], v[52:53] op_sel:[0,0,1] op_sel_hi:[1,1,0] neg_lo:[0,0,1] neg_hi:[0,0,1]
	v_pk_fma_f32 v[52:53], v[54:55], v[44:45], v[52:53] op_sel:[0,0,1] op_sel_hi:[1,0,0]
	s_delay_alu instid0(VALU_DEP_1)
	v_mov_b32_e32 v69, v53
	ds_load_2addr_b64 v[52:55], v222 offset0:53 offset1:54
	v_pk_add_f32 v[210:211], v[210:211], v[70:71] neg_lo:[0,1] neg_hi:[0,1]
	v_pk_add_f32 v[240:241], v[240:241], v[68:69] neg_lo:[0,1] neg_hi:[0,1]
	s_wait_dscnt 0x0
	v_pk_mul_f32 v[68:69], v[52:53], v[50:51] op_sel:[0,1]
	s_delay_alu instid0(VALU_DEP_1) | instskip(SKIP_1) | instid1(VALU_DEP_1)
	v_pk_fma_f32 v[70:71], v[52:53], v[44:45], v[68:69] op_sel:[0,0,1] op_sel_hi:[1,1,0] neg_lo:[0,0,1] neg_hi:[0,0,1]
	v_pk_fma_f32 v[52:53], v[52:53], v[44:45], v[68:69] op_sel:[0,0,1] op_sel_hi:[1,0,0]
	v_mov_b32_e32 v71, v53
	v_pk_mul_f32 v[52:53], v[54:55], v[50:51] op_sel:[0,1]
	s_delay_alu instid0(VALU_DEP_1) | instskip(SKIP_1) | instid1(VALU_DEP_1)
	v_pk_fma_f32 v[68:69], v[54:55], v[44:45], v[52:53] op_sel:[0,0,1] op_sel_hi:[1,1,0] neg_lo:[0,0,1] neg_hi:[0,0,1]
	v_pk_fma_f32 v[52:53], v[54:55], v[44:45], v[52:53] op_sel:[0,0,1] op_sel_hi:[1,0,0]
	v_mov_b32_e32 v69, v53
	ds_load_2addr_b64 v[52:55], v222 offset0:55 offset1:56
	v_pk_add_f32 v[232:233], v[232:233], v[70:71] neg_lo:[0,1] neg_hi:[0,1]
	v_pk_add_f32 v[238:239], v[238:239], v[68:69] neg_lo:[0,1] neg_hi:[0,1]
	s_wait_dscnt 0x0
	v_dual_mul_f32 v68, v53, v51 :: v_dual_mul_f32 v70, v53, v44
	s_delay_alu instid0(VALU_DEP_1) | instskip(NEXT) | instid1(VALU_DEP_2)
	v_pk_fma_f32 v[68:69], v[52:53], v[82:83], v[68:69] op_sel_hi:[1,1,0] neg_lo:[0,0,1] neg_hi:[0,0,1]
	v_pk_fma_f32 v[52:53], v[52:53], v[82:83], v[70:71] op_sel:[1,0,0] op_sel_hi:[0,1,0]
	s_delay_alu instid0(VALU_DEP_1) | instskip(SKIP_1) | instid1(VALU_DEP_2)
	v_mov_b32_e32 v69, v53
	v_pk_mul_f32 v[52:53], v[54:55], v[50:51] op_sel:[0,1]
	v_pk_add_f32 v[230:231], v[230:231], v[68:69] neg_lo:[0,1] neg_hi:[0,1]
	s_delay_alu instid0(VALU_DEP_2) | instskip(SKIP_1) | instid1(VALU_DEP_1)
	v_pk_fma_f32 v[68:69], v[54:55], v[44:45], v[52:53] op_sel:[0,0,1] op_sel_hi:[1,1,0] neg_lo:[0,0,1] neg_hi:[0,0,1]
	v_pk_fma_f32 v[52:53], v[54:55], v[44:45], v[52:53] op_sel:[0,0,1] op_sel_hi:[1,0,0]
	v_mov_b32_e32 v69, v53
	ds_load_2addr_b64 v[52:55], v222 offset0:57 offset1:58
	v_pk_add_f32 v[236:237], v[236:237], v[68:69] neg_lo:[0,1] neg_hi:[0,1]
	s_wait_dscnt 0x0
	v_pk_mul_f32 v[68:69], v[52:53], v[50:51] op_sel:[0,1]
	s_delay_alu instid0(VALU_DEP_1) | instskip(SKIP_1) | instid1(VALU_DEP_1)
	v_pk_fma_f32 v[70:71], v[52:53], v[44:45], v[68:69] op_sel:[0,0,1] op_sel_hi:[1,1,0] neg_lo:[0,0,1] neg_hi:[0,0,1]
	v_pk_fma_f32 v[52:53], v[52:53], v[44:45], v[68:69] op_sel:[0,0,1] op_sel_hi:[1,0,0]
	v_mov_b32_e32 v71, v53
	v_pk_mul_f32 v[52:53], v[54:55], v[50:51] op_sel:[0,1]
	s_delay_alu instid0(VALU_DEP_2) | instskip(NEXT) | instid1(VALU_DEP_2)
	v_pk_add_f32 v[228:229], v[228:229], v[70:71] neg_lo:[0,1] neg_hi:[0,1]
	v_pk_fma_f32 v[68:69], v[54:55], v[44:45], v[52:53] op_sel:[0,0,1] op_sel_hi:[1,1,0] neg_lo:[0,0,1] neg_hi:[0,0,1]
	v_pk_fma_f32 v[52:53], v[54:55], v[44:45], v[52:53] op_sel:[0,0,1] op_sel_hi:[1,0,0]
	s_delay_alu instid0(VALU_DEP_1)
	v_mov_b32_e32 v69, v53
	ds_load_2addr_b64 v[52:55], v222 offset0:59 offset1:60
	v_pk_add_f32 v[234:235], v[234:235], v[68:69] neg_lo:[0,1] neg_hi:[0,1]
	s_wait_dscnt 0x0
	v_pk_mul_f32 v[68:69], v[52:53], v[50:51] op_sel:[0,1]
	v_pk_mul_f32 v[50:51], v[54:55], v[50:51] op_sel:[0,1]
	s_delay_alu instid0(VALU_DEP_2) | instskip(SKIP_1) | instid1(VALU_DEP_1)
	v_pk_fma_f32 v[70:71], v[52:53], v[44:45], v[68:69] op_sel:[0,0,1] op_sel_hi:[1,1,0] neg_lo:[0,0,1] neg_hi:[0,0,1]
	v_pk_fma_f32 v[52:53], v[52:53], v[44:45], v[68:69] op_sel:[0,0,1] op_sel_hi:[1,0,0]
	v_mov_b32_e32 v71, v53
	s_delay_alu instid0(VALU_DEP_4) | instskip(SKIP_1) | instid1(VALU_DEP_3)
	v_pk_fma_f32 v[52:53], v[54:55], v[44:45], v[50:51] op_sel:[0,0,1] op_sel_hi:[1,1,0] neg_lo:[0,0,1] neg_hi:[0,0,1]
	v_pk_fma_f32 v[44:45], v[54:55], v[44:45], v[50:51] op_sel:[0,0,1] op_sel_hi:[1,0,0]
	v_pk_add_f32 v[242:243], v[242:243], v[70:71] neg_lo:[0,1] neg_hi:[0,1]
	s_delay_alu instid0(VALU_DEP_2) | instskip(NEXT) | instid1(VALU_DEP_1)
	v_mov_b32_e32 v53, v45
	v_pk_add_f32 v[244:245], v[244:245], v[52:53] neg_lo:[0,1] neg_hi:[0,1]
.LBB121_154:
	s_or_b32 exec_lo, exec_lo, s1
	s_delay_alu instid0(SALU_CYCLE_1)
	s_mov_b32 s2, exec_lo
	s_wait_dscnt 0x0
	s_barrier_signal -1
	s_barrier_wait -1
	v_cmpx_eq_u32_e32 17, v220
	s_cbranch_execz .LBB121_161
; %bb.155:
	v_dual_mov_b32 v44, v80 :: v_dual_mov_b32 v45, v81
	v_dual_mov_b32 v50, v76 :: v_dual_mov_b32 v51, v77
	ds_store_b64 v221, v[78:79]
	ds_store_2addr_b64 v222, v[44:45], v[50:51] offset0:18 offset1:19
	v_dual_mov_b32 v44, v98 :: v_dual_mov_b32 v45, v99
	v_dual_mov_b32 v50, v94 :: v_dual_mov_b32 v51, v95
	ds_store_2addr_b64 v222, v[44:45], v[50:51] offset0:20 offset1:21
	v_dual_mov_b32 v44, v96 :: v_dual_mov_b32 v45, v97
	v_dual_mov_b32 v50, v92 :: v_dual_mov_b32 v51, v93
	;; [unrolled: 3-line block ×20, first 2 shown]
	ds_store_2addr_b64 v222, v[44:45], v[50:51] offset0:58 offset1:59
	ds_store_b64 v222, v[244:245] offset:480
	ds_load_b64 v[44:45], v221
	s_wait_dscnt 0x0
	v_cmp_neq_f32_e32 vcc_lo, 0, v44
	v_cmp_neq_f32_e64 s1, 0, v45
	s_or_b32 s1, vcc_lo, s1
	s_delay_alu instid0(SALU_CYCLE_1)
	s_and_b32 exec_lo, exec_lo, s1
	s_cbranch_execz .LBB121_161
; %bb.156:
	v_cmp_ngt_f32_e64 s1, |v44|, |v45|
                                        ; implicit-def: $vgpr50_vgpr51
	s_and_saveexec_b32 s4, s1
	s_delay_alu instid0(SALU_CYCLE_1)
	s_xor_b32 s1, exec_lo, s4
	s_cbranch_execz .LBB121_158
; %bb.157:
	v_div_scale_f32 v50, null, v45, v45, v44
	v_div_scale_f32 v53, vcc_lo, v44, v45, v44
	s_delay_alu instid0(VALU_DEP_2) | instskip(SKIP_1) | instid1(TRANS32_DEP_1)
	v_rcp_f32_e32 v51, v50
	v_nop
	v_fma_f32 v52, -v50, v51, 1.0
	s_delay_alu instid0(VALU_DEP_1) | instskip(NEXT) | instid1(VALU_DEP_1)
	v_fmac_f32_e32 v51, v52, v51
	v_mul_f32_e32 v52, v53, v51
	s_delay_alu instid0(VALU_DEP_1) | instskip(NEXT) | instid1(VALU_DEP_1)
	v_fma_f32 v54, -v50, v52, v53
	v_fmac_f32_e32 v52, v54, v51
	s_delay_alu instid0(VALU_DEP_1) | instskip(NEXT) | instid1(VALU_DEP_1)
	v_fma_f32 v50, -v50, v52, v53
	v_div_fmas_f32 v50, v50, v51, v52
	s_delay_alu instid0(VALU_DEP_1) | instskip(NEXT) | instid1(VALU_DEP_1)
	v_div_fixup_f32 v50, v50, v45, v44
	v_fmac_f32_e32 v45, v44, v50
	s_delay_alu instid0(VALU_DEP_1) | instskip(SKIP_1) | instid1(VALU_DEP_2)
	v_div_scale_f32 v44, null, v45, v45, 1.0
	v_div_scale_f32 v53, vcc_lo, 1.0, v45, 1.0
	v_rcp_f32_e32 v51, v44
	v_nop
	s_delay_alu instid0(TRANS32_DEP_1) | instskip(NEXT) | instid1(VALU_DEP_1)
	v_fma_f32 v52, -v44, v51, 1.0
	v_fmac_f32_e32 v51, v52, v51
	s_delay_alu instid0(VALU_DEP_1) | instskip(NEXT) | instid1(VALU_DEP_1)
	v_mul_f32_e32 v52, v53, v51
	v_fma_f32 v54, -v44, v52, v53
	s_delay_alu instid0(VALU_DEP_1) | instskip(NEXT) | instid1(VALU_DEP_1)
	v_fmac_f32_e32 v52, v54, v51
	v_fma_f32 v44, -v44, v52, v53
	s_delay_alu instid0(VALU_DEP_1) | instskip(NEXT) | instid1(VALU_DEP_1)
	v_div_fmas_f32 v44, v44, v51, v52
	v_div_fixup_f32 v44, v44, v45, 1.0
	s_delay_alu instid0(VALU_DEP_1)
	v_mul_f32_e32 v50, v50, v44
	v_xor_b32_e32 v51, 0x80000000, v44
                                        ; implicit-def: $vgpr44_vgpr45
.LBB121_158:
	s_and_not1_saveexec_b32 s1, s1
	s_cbranch_execz .LBB121_160
; %bb.159:
	v_div_scale_f32 v50, null, v44, v44, v45
	v_div_scale_f32 v53, vcc_lo, v45, v44, v45
	s_delay_alu instid0(VALU_DEP_2) | instskip(SKIP_1) | instid1(TRANS32_DEP_1)
	v_rcp_f32_e32 v51, v50
	v_nop
	v_fma_f32 v52, -v50, v51, 1.0
	s_delay_alu instid0(VALU_DEP_1) | instskip(NEXT) | instid1(VALU_DEP_1)
	v_fmac_f32_e32 v51, v52, v51
	v_mul_f32_e32 v52, v53, v51
	s_delay_alu instid0(VALU_DEP_1) | instskip(NEXT) | instid1(VALU_DEP_1)
	v_fma_f32 v54, -v50, v52, v53
	v_fmac_f32_e32 v52, v54, v51
	s_delay_alu instid0(VALU_DEP_1) | instskip(NEXT) | instid1(VALU_DEP_1)
	v_fma_f32 v50, -v50, v52, v53
	v_div_fmas_f32 v50, v50, v51, v52
	s_delay_alu instid0(VALU_DEP_1) | instskip(NEXT) | instid1(VALU_DEP_1)
	v_div_fixup_f32 v51, v50, v44, v45
	v_fmac_f32_e32 v44, v45, v51
	s_delay_alu instid0(VALU_DEP_1) | instskip(NEXT) | instid1(VALU_DEP_1)
	v_div_scale_f32 v45, null, v44, v44, 1.0
	v_rcp_f32_e32 v50, v45
	v_nop
	s_delay_alu instid0(TRANS32_DEP_1) | instskip(NEXT) | instid1(VALU_DEP_1)
	v_fma_f32 v52, -v45, v50, 1.0
	v_fmac_f32_e32 v50, v52, v50
	v_div_scale_f32 v52, vcc_lo, 1.0, v44, 1.0
	s_delay_alu instid0(VALU_DEP_1) | instskip(NEXT) | instid1(VALU_DEP_1)
	v_mul_f32_e32 v53, v52, v50
	v_fma_f32 v54, -v45, v53, v52
	s_delay_alu instid0(VALU_DEP_1) | instskip(NEXT) | instid1(VALU_DEP_1)
	v_fmac_f32_e32 v53, v54, v50
	v_fma_f32 v45, -v45, v53, v52
	s_delay_alu instid0(VALU_DEP_1) | instskip(NEXT) | instid1(VALU_DEP_1)
	v_div_fmas_f32 v45, v45, v50, v53
	v_div_fixup_f32 v50, v45, v44, 1.0
	s_delay_alu instid0(VALU_DEP_1)
	v_mul_f32_e64 v51, v51, -v50
.LBB121_160:
	s_or_b32 exec_lo, exec_lo, s1
	ds_store_b64 v221, v[50:51]
.LBB121_161:
	s_or_b32 exec_lo, exec_lo, s2
	s_wait_dscnt 0x0
	s_barrier_signal -1
	s_barrier_wait -1
	ds_load_b64 v[44:45], v221
	s_mov_b32 s1, exec_lo
	v_cmpx_lt_u32_e32 17, v220
	s_cbranch_execz .LBB121_163
; %bb.162:
	ds_load_2addr_b64 v[68:71], v222 offset0:18 offset1:19
	s_wait_dscnt 0x1
	v_pk_mul_f32 v[52:53], v[44:45], v[78:79] op_sel:[1,1] op_sel_hi:[0,1]
	s_delay_alu instid0(VALU_DEP_1) | instskip(SKIP_1) | instid1(VALU_DEP_1)
	v_pk_fma_f32 v[50:51], v[44:45], v[78:79], v[52:53] op_sel_hi:[1,0,1] neg_lo:[0,0,1] neg_hi:[0,0,1]
	v_pk_fma_f32 v[52:53], v[44:45], v[78:79], v[52:53] op_sel_hi:[1,0,1]
	v_dual_mov_b32 v78, v50 :: v_dual_mov_b32 v79, v53
	s_wait_dscnt 0x0
	s_delay_alu instid0(VALU_DEP_2) | instskip(NEXT) | instid1(VALU_DEP_1)
	v_pk_mul_f32 v[54:55], v[68:69], v[52:53] op_sel:[0,1]
	v_pk_fma_f32 v[72:73], v[68:69], v[50:51], v[54:55] op_sel:[0,0,1] op_sel_hi:[1,1,0] neg_lo:[0,0,1] neg_hi:[0,0,1]
	v_pk_fma_f32 v[54:55], v[68:69], v[50:51], v[54:55] op_sel:[0,0,1] op_sel_hi:[1,0,0]
	s_delay_alu instid0(VALU_DEP_1) | instskip(SKIP_1) | instid1(VALU_DEP_1)
	v_mov_b32_e32 v73, v55
	v_pk_mul_f32 v[54:55], v[70:71], v[52:53] op_sel:[0,1]
	v_pk_fma_f32 v[68:69], v[70:71], v[50:51], v[54:55] op_sel:[0,0,1] op_sel_hi:[1,1,0] neg_lo:[0,0,1] neg_hi:[0,0,1]
	v_pk_fma_f32 v[54:55], v[70:71], v[50:51], v[54:55] op_sel:[0,0,1] op_sel_hi:[1,0,0]
	s_delay_alu instid0(VALU_DEP_1) | instskip(SKIP_1) | instid1(VALU_DEP_2)
	v_mov_b32_e32 v69, v55
	v_pk_add_f32 v[80:81], v[80:81], v[72:73] neg_lo:[0,1] neg_hi:[0,1]
	v_pk_add_f32 v[76:77], v[76:77], v[68:69] neg_lo:[0,1] neg_hi:[0,1]
	ds_load_2addr_b64 v[68:71], v222 offset0:20 offset1:21
	s_wait_dscnt 0x0
	v_pk_mul_f32 v[54:55], v[68:69], v[52:53] op_sel:[0,1]
	s_delay_alu instid0(VALU_DEP_1) | instskip(SKIP_2) | instid1(VALU_DEP_2)
	v_pk_fma_f32 v[72:73], v[68:69], v[50:51], v[54:55] op_sel:[0,0,1] op_sel_hi:[1,1,0] neg_lo:[0,0,1] neg_hi:[0,0,1]
	v_pk_fma_f32 v[54:55], v[68:69], v[50:51], v[54:55] op_sel:[0,0,1] op_sel_hi:[1,0,0]
	v_dual_mul_f32 v68, v71, v53 :: v_dual_mov_b32 v54, v71
	v_dual_mov_b32 v73, v55 :: v_dual_mov_b32 v55, v70
	s_delay_alu instid0(VALU_DEP_2) | instskip(SKIP_1) | instid1(VALU_DEP_3)
	v_pk_fma_f32 v[68:69], v[70:71], v[78:79], v[68:69] op_sel_hi:[1,1,0] neg_lo:[0,0,1] neg_hi:[0,0,1]
	v_mul_f32_e32 v70, v71, v50
	v_pk_add_f32 v[98:99], v[98:99], v[72:73] neg_lo:[0,1] neg_hi:[0,1]
	s_delay_alu instid0(VALU_DEP_2) | instskip(NEXT) | instid1(VALU_DEP_1)
	v_pk_fma_f32 v[54:55], v[54:55], v[78:79], v[70:71] op_sel_hi:[1,1,0]
	v_mov_b32_e32 v69, v55
	s_delay_alu instid0(VALU_DEP_1) | instskip(SKIP_3) | instid1(VALU_DEP_1)
	v_pk_add_f32 v[94:95], v[94:95], v[68:69] neg_lo:[0,1] neg_hi:[0,1]
	ds_load_2addr_b64 v[68:71], v222 offset0:22 offset1:23
	s_wait_dscnt 0x0
	v_pk_mul_f32 v[54:55], v[68:69], v[52:53] op_sel:[0,1]
	v_pk_fma_f32 v[72:73], v[68:69], v[50:51], v[54:55] op_sel:[0,0,1] op_sel_hi:[1,1,0] neg_lo:[0,0,1] neg_hi:[0,0,1]
	v_pk_fma_f32 v[54:55], v[68:69], v[50:51], v[54:55] op_sel:[0,0,1] op_sel_hi:[1,0,0]
	s_delay_alu instid0(VALU_DEP_1) | instskip(SKIP_1) | instid1(VALU_DEP_2)
	v_mov_b32_e32 v73, v55
	v_pk_mul_f32 v[54:55], v[70:71], v[52:53] op_sel:[0,1]
	v_pk_add_f32 v[96:97], v[96:97], v[72:73] neg_lo:[0,1] neg_hi:[0,1]
	s_delay_alu instid0(VALU_DEP_2) | instskip(SKIP_1) | instid1(VALU_DEP_1)
	v_pk_fma_f32 v[68:69], v[70:71], v[50:51], v[54:55] op_sel:[0,0,1] op_sel_hi:[1,1,0] neg_lo:[0,0,1] neg_hi:[0,0,1]
	v_pk_fma_f32 v[54:55], v[70:71], v[50:51], v[54:55] op_sel:[0,0,1] op_sel_hi:[1,0,0]
	v_mov_b32_e32 v69, v55
	s_delay_alu instid0(VALU_DEP_1) | instskip(SKIP_3) | instid1(VALU_DEP_1)
	v_pk_add_f32 v[92:93], v[92:93], v[68:69] neg_lo:[0,1] neg_hi:[0,1]
	ds_load_2addr_b64 v[68:71], v222 offset0:24 offset1:25
	s_wait_dscnt 0x0
	v_pk_mul_f32 v[54:55], v[68:69], v[52:53] op_sel:[0,1]
	v_pk_fma_f32 v[72:73], v[68:69], v[50:51], v[54:55] op_sel:[0,0,1] op_sel_hi:[1,1,0] neg_lo:[0,0,1] neg_hi:[0,0,1]
	v_pk_fma_f32 v[54:55], v[68:69], v[50:51], v[54:55] op_sel:[0,0,1] op_sel_hi:[1,0,0]
	s_delay_alu instid0(VALU_DEP_1) | instskip(SKIP_1) | instid1(VALU_DEP_2)
	v_mov_b32_e32 v73, v55
	v_pk_mul_f32 v[54:55], v[70:71], v[52:53] op_sel:[0,1]
	v_pk_add_f32 v[114:115], v[114:115], v[72:73] neg_lo:[0,1] neg_hi:[0,1]
	s_delay_alu instid0(VALU_DEP_2) | instskip(SKIP_1) | instid1(VALU_DEP_1)
	v_pk_fma_f32 v[68:69], v[70:71], v[50:51], v[54:55] op_sel:[0,0,1] op_sel_hi:[1,1,0] neg_lo:[0,0,1] neg_hi:[0,0,1]
	v_pk_fma_f32 v[54:55], v[70:71], v[50:51], v[54:55] op_sel:[0,0,1] op_sel_hi:[1,0,0]
	v_mov_b32_e32 v69, v55
	s_delay_alu instid0(VALU_DEP_1) | instskip(SKIP_3) | instid1(VALU_DEP_1)
	v_pk_add_f32 v[110:111], v[110:111], v[68:69] neg_lo:[0,1] neg_hi:[0,1]
	ds_load_2addr_b64 v[68:71], v222 offset0:26 offset1:27
	s_wait_dscnt 0x0
	v_dual_mul_f32 v54, v69, v53 :: v_dual_mul_f32 v72, v69, v50
	v_pk_fma_f32 v[54:55], v[68:69], v[78:79], v[54:55] op_sel_hi:[1,1,0] neg_lo:[0,0,1] neg_hi:[0,0,1]
	s_delay_alu instid0(VALU_DEP_2) | instskip(NEXT) | instid1(VALU_DEP_1)
	v_pk_fma_f32 v[68:69], v[68:69], v[78:79], v[72:73] op_sel:[1,0,0] op_sel_hi:[0,1,0]
	v_mov_b32_e32 v55, v69
	s_delay_alu instid0(VALU_DEP_1) | instskip(SKIP_1) | instid1(VALU_DEP_1)
	v_pk_add_f32 v[112:113], v[112:113], v[54:55] neg_lo:[0,1] neg_hi:[0,1]
	v_pk_mul_f32 v[54:55], v[70:71], v[52:53] op_sel:[0,1]
	v_pk_fma_f32 v[68:69], v[70:71], v[50:51], v[54:55] op_sel:[0,0,1] op_sel_hi:[1,1,0] neg_lo:[0,0,1] neg_hi:[0,0,1]
	v_pk_fma_f32 v[54:55], v[70:71], v[50:51], v[54:55] op_sel:[0,0,1] op_sel_hi:[1,0,0]
	s_delay_alu instid0(VALU_DEP_1) | instskip(NEXT) | instid1(VALU_DEP_1)
	v_mov_b32_e32 v69, v55
	v_pk_add_f32 v[108:109], v[108:109], v[68:69] neg_lo:[0,1] neg_hi:[0,1]
	ds_load_2addr_b64 v[68:71], v222 offset0:28 offset1:29
	s_wait_dscnt 0x0
	v_pk_mul_f32 v[54:55], v[68:69], v[52:53] op_sel:[0,1]
	s_delay_alu instid0(VALU_DEP_1) | instskip(SKIP_1) | instid1(VALU_DEP_1)
	v_pk_fma_f32 v[72:73], v[68:69], v[50:51], v[54:55] op_sel:[0,0,1] op_sel_hi:[1,1,0] neg_lo:[0,0,1] neg_hi:[0,0,1]
	v_pk_fma_f32 v[54:55], v[68:69], v[50:51], v[54:55] op_sel:[0,0,1] op_sel_hi:[1,0,0]
	v_mov_b32_e32 v73, v55
	v_pk_mul_f32 v[54:55], v[70:71], v[52:53] op_sel:[0,1]
	s_delay_alu instid0(VALU_DEP_2) | instskip(NEXT) | instid1(VALU_DEP_2)
	v_pk_add_f32 v[130:131], v[130:131], v[72:73] neg_lo:[0,1] neg_hi:[0,1]
	v_pk_fma_f32 v[68:69], v[70:71], v[50:51], v[54:55] op_sel:[0,0,1] op_sel_hi:[1,1,0] neg_lo:[0,0,1] neg_hi:[0,0,1]
	v_pk_fma_f32 v[54:55], v[70:71], v[50:51], v[54:55] op_sel:[0,0,1] op_sel_hi:[1,0,0]
	s_delay_alu instid0(VALU_DEP_1) | instskip(NEXT) | instid1(VALU_DEP_1)
	v_mov_b32_e32 v69, v55
	v_pk_add_f32 v[126:127], v[126:127], v[68:69] neg_lo:[0,1] neg_hi:[0,1]
	ds_load_2addr_b64 v[68:71], v222 offset0:30 offset1:31
	s_wait_dscnt 0x0
	v_pk_mul_f32 v[54:55], v[68:69], v[52:53] op_sel:[0,1]
	s_delay_alu instid0(VALU_DEP_1) | instskip(SKIP_2) | instid1(VALU_DEP_2)
	v_pk_fma_f32 v[72:73], v[68:69], v[50:51], v[54:55] op_sel:[0,0,1] op_sel_hi:[1,1,0] neg_lo:[0,0,1] neg_hi:[0,0,1]
	v_pk_fma_f32 v[54:55], v[68:69], v[50:51], v[54:55] op_sel:[0,0,1] op_sel_hi:[1,0,0]
	v_dual_mul_f32 v68, v71, v53 :: v_dual_mov_b32 v54, v71
	v_dual_mov_b32 v73, v55 :: v_dual_mov_b32 v55, v70
	s_delay_alu instid0(VALU_DEP_2) | instskip(SKIP_1) | instid1(VALU_DEP_3)
	v_pk_fma_f32 v[68:69], v[70:71], v[78:79], v[68:69] op_sel_hi:[1,1,0] neg_lo:[0,0,1] neg_hi:[0,0,1]
	v_mul_f32_e32 v70, v71, v50
	v_pk_add_f32 v[128:129], v[128:129], v[72:73] neg_lo:[0,1] neg_hi:[0,1]
	s_delay_alu instid0(VALU_DEP_2) | instskip(NEXT) | instid1(VALU_DEP_1)
	v_pk_fma_f32 v[54:55], v[54:55], v[78:79], v[70:71] op_sel_hi:[1,1,0]
	v_mov_b32_e32 v69, v55
	s_delay_alu instid0(VALU_DEP_1) | instskip(SKIP_3) | instid1(VALU_DEP_1)
	v_pk_add_f32 v[124:125], v[124:125], v[68:69] neg_lo:[0,1] neg_hi:[0,1]
	ds_load_2addr_b64 v[68:71], v222 offset0:32 offset1:33
	s_wait_dscnt 0x0
	v_pk_mul_f32 v[54:55], v[68:69], v[52:53] op_sel:[0,1]
	v_pk_fma_f32 v[72:73], v[68:69], v[50:51], v[54:55] op_sel:[0,0,1] op_sel_hi:[1,1,0] neg_lo:[0,0,1] neg_hi:[0,0,1]
	v_pk_fma_f32 v[54:55], v[68:69], v[50:51], v[54:55] op_sel:[0,0,1] op_sel_hi:[1,0,0]
	s_delay_alu instid0(VALU_DEP_1) | instskip(SKIP_1) | instid1(VALU_DEP_2)
	v_mov_b32_e32 v73, v55
	v_pk_mul_f32 v[54:55], v[70:71], v[52:53] op_sel:[0,1]
	v_pk_add_f32 v[146:147], v[146:147], v[72:73] neg_lo:[0,1] neg_hi:[0,1]
	s_delay_alu instid0(VALU_DEP_2) | instskip(SKIP_1) | instid1(VALU_DEP_1)
	v_pk_fma_f32 v[68:69], v[70:71], v[50:51], v[54:55] op_sel:[0,0,1] op_sel_hi:[1,1,0] neg_lo:[0,0,1] neg_hi:[0,0,1]
	v_pk_fma_f32 v[54:55], v[70:71], v[50:51], v[54:55] op_sel:[0,0,1] op_sel_hi:[1,0,0]
	v_mov_b32_e32 v69, v55
	s_delay_alu instid0(VALU_DEP_1) | instskip(SKIP_3) | instid1(VALU_DEP_1)
	v_pk_add_f32 v[142:143], v[142:143], v[68:69] neg_lo:[0,1] neg_hi:[0,1]
	ds_load_2addr_b64 v[68:71], v222 offset0:34 offset1:35
	s_wait_dscnt 0x0
	v_pk_mul_f32 v[54:55], v[68:69], v[52:53] op_sel:[0,1]
	v_pk_fma_f32 v[72:73], v[68:69], v[50:51], v[54:55] op_sel:[0,0,1] op_sel_hi:[1,1,0] neg_lo:[0,0,1] neg_hi:[0,0,1]
	v_pk_fma_f32 v[54:55], v[68:69], v[50:51], v[54:55] op_sel:[0,0,1] op_sel_hi:[1,0,0]
	s_delay_alu instid0(VALU_DEP_1) | instskip(SKIP_1) | instid1(VALU_DEP_2)
	v_mov_b32_e32 v73, v55
	v_pk_mul_f32 v[54:55], v[70:71], v[52:53] op_sel:[0,1]
	v_pk_add_f32 v[144:145], v[144:145], v[72:73] neg_lo:[0,1] neg_hi:[0,1]
	s_delay_alu instid0(VALU_DEP_2) | instskip(SKIP_1) | instid1(VALU_DEP_1)
	v_pk_fma_f32 v[68:69], v[70:71], v[50:51], v[54:55] op_sel:[0,0,1] op_sel_hi:[1,1,0] neg_lo:[0,0,1] neg_hi:[0,0,1]
	v_pk_fma_f32 v[54:55], v[70:71], v[50:51], v[54:55] op_sel:[0,0,1] op_sel_hi:[1,0,0]
	v_mov_b32_e32 v69, v55
	s_delay_alu instid0(VALU_DEP_1) | instskip(SKIP_3) | instid1(VALU_DEP_1)
	v_pk_add_f32 v[140:141], v[140:141], v[68:69] neg_lo:[0,1] neg_hi:[0,1]
	ds_load_2addr_b64 v[68:71], v222 offset0:36 offset1:37
	s_wait_dscnt 0x0
	v_dual_mul_f32 v54, v69, v53 :: v_dual_mul_f32 v72, v69, v50
	v_pk_fma_f32 v[54:55], v[68:69], v[78:79], v[54:55] op_sel_hi:[1,1,0] neg_lo:[0,0,1] neg_hi:[0,0,1]
	s_delay_alu instid0(VALU_DEP_2) | instskip(NEXT) | instid1(VALU_DEP_1)
	v_pk_fma_f32 v[68:69], v[68:69], v[78:79], v[72:73] op_sel:[1,0,0] op_sel_hi:[0,1,0]
	v_mov_b32_e32 v55, v69
	s_delay_alu instid0(VALU_DEP_1) | instskip(SKIP_1) | instid1(VALU_DEP_1)
	v_pk_add_f32 v[162:163], v[162:163], v[54:55] neg_lo:[0,1] neg_hi:[0,1]
	v_pk_mul_f32 v[54:55], v[70:71], v[52:53] op_sel:[0,1]
	v_pk_fma_f32 v[68:69], v[70:71], v[50:51], v[54:55] op_sel:[0,0,1] op_sel_hi:[1,1,0] neg_lo:[0,0,1] neg_hi:[0,0,1]
	v_pk_fma_f32 v[54:55], v[70:71], v[50:51], v[54:55] op_sel:[0,0,1] op_sel_hi:[1,0,0]
	s_delay_alu instid0(VALU_DEP_1) | instskip(NEXT) | instid1(VALU_DEP_1)
	v_mov_b32_e32 v69, v55
	v_pk_add_f32 v[158:159], v[158:159], v[68:69] neg_lo:[0,1] neg_hi:[0,1]
	ds_load_2addr_b64 v[68:71], v222 offset0:38 offset1:39
	s_wait_dscnt 0x0
	v_pk_mul_f32 v[54:55], v[68:69], v[52:53] op_sel:[0,1]
	s_delay_alu instid0(VALU_DEP_1) | instskip(SKIP_1) | instid1(VALU_DEP_1)
	v_pk_fma_f32 v[72:73], v[68:69], v[50:51], v[54:55] op_sel:[0,0,1] op_sel_hi:[1,1,0] neg_lo:[0,0,1] neg_hi:[0,0,1]
	v_pk_fma_f32 v[54:55], v[68:69], v[50:51], v[54:55] op_sel:[0,0,1] op_sel_hi:[1,0,0]
	v_mov_b32_e32 v73, v55
	v_pk_mul_f32 v[54:55], v[70:71], v[52:53] op_sel:[0,1]
	s_delay_alu instid0(VALU_DEP_2) | instskip(NEXT) | instid1(VALU_DEP_2)
	v_pk_add_f32 v[160:161], v[160:161], v[72:73] neg_lo:[0,1] neg_hi:[0,1]
	v_pk_fma_f32 v[68:69], v[70:71], v[50:51], v[54:55] op_sel:[0,0,1] op_sel_hi:[1,1,0] neg_lo:[0,0,1] neg_hi:[0,0,1]
	v_pk_fma_f32 v[54:55], v[70:71], v[50:51], v[54:55] op_sel:[0,0,1] op_sel_hi:[1,0,0]
	s_delay_alu instid0(VALU_DEP_1) | instskip(NEXT) | instid1(VALU_DEP_1)
	v_mov_b32_e32 v69, v55
	v_pk_add_f32 v[156:157], v[156:157], v[68:69] neg_lo:[0,1] neg_hi:[0,1]
	ds_load_2addr_b64 v[68:71], v222 offset0:40 offset1:41
	s_wait_dscnt 0x0
	v_pk_mul_f32 v[54:55], v[68:69], v[52:53] op_sel:[0,1]
	s_delay_alu instid0(VALU_DEP_1) | instskip(SKIP_2) | instid1(VALU_DEP_2)
	v_pk_fma_f32 v[72:73], v[68:69], v[50:51], v[54:55] op_sel:[0,0,1] op_sel_hi:[1,1,0] neg_lo:[0,0,1] neg_hi:[0,0,1]
	v_pk_fma_f32 v[54:55], v[68:69], v[50:51], v[54:55] op_sel:[0,0,1] op_sel_hi:[1,0,0]
	v_dual_mul_f32 v68, v71, v53 :: v_dual_mov_b32 v54, v71
	v_dual_mov_b32 v73, v55 :: v_dual_mov_b32 v55, v70
	s_delay_alu instid0(VALU_DEP_2) | instskip(SKIP_1) | instid1(VALU_DEP_3)
	v_pk_fma_f32 v[68:69], v[70:71], v[78:79], v[68:69] op_sel_hi:[1,1,0] neg_lo:[0,0,1] neg_hi:[0,0,1]
	v_mul_f32_e32 v70, v71, v50
	v_pk_add_f32 v[178:179], v[178:179], v[72:73] neg_lo:[0,1] neg_hi:[0,1]
	s_delay_alu instid0(VALU_DEP_2) | instskip(NEXT) | instid1(VALU_DEP_1)
	v_pk_fma_f32 v[54:55], v[54:55], v[78:79], v[70:71] op_sel_hi:[1,1,0]
	v_mov_b32_e32 v69, v55
	s_delay_alu instid0(VALU_DEP_1) | instskip(SKIP_3) | instid1(VALU_DEP_1)
	v_pk_add_f32 v[174:175], v[174:175], v[68:69] neg_lo:[0,1] neg_hi:[0,1]
	ds_load_2addr_b64 v[68:71], v222 offset0:42 offset1:43
	s_wait_dscnt 0x0
	v_pk_mul_f32 v[54:55], v[68:69], v[52:53] op_sel:[0,1]
	v_pk_fma_f32 v[72:73], v[68:69], v[50:51], v[54:55] op_sel:[0,0,1] op_sel_hi:[1,1,0] neg_lo:[0,0,1] neg_hi:[0,0,1]
	v_pk_fma_f32 v[54:55], v[68:69], v[50:51], v[54:55] op_sel:[0,0,1] op_sel_hi:[1,0,0]
	s_delay_alu instid0(VALU_DEP_1) | instskip(SKIP_1) | instid1(VALU_DEP_2)
	v_mov_b32_e32 v73, v55
	v_pk_mul_f32 v[54:55], v[70:71], v[52:53] op_sel:[0,1]
	v_pk_add_f32 v[176:177], v[176:177], v[72:73] neg_lo:[0,1] neg_hi:[0,1]
	s_delay_alu instid0(VALU_DEP_2) | instskip(SKIP_1) | instid1(VALU_DEP_1)
	v_pk_fma_f32 v[68:69], v[70:71], v[50:51], v[54:55] op_sel:[0,0,1] op_sel_hi:[1,1,0] neg_lo:[0,0,1] neg_hi:[0,0,1]
	v_pk_fma_f32 v[54:55], v[70:71], v[50:51], v[54:55] op_sel:[0,0,1] op_sel_hi:[1,0,0]
	v_mov_b32_e32 v69, v55
	s_delay_alu instid0(VALU_DEP_1) | instskip(SKIP_3) | instid1(VALU_DEP_1)
	v_pk_add_f32 v[172:173], v[172:173], v[68:69] neg_lo:[0,1] neg_hi:[0,1]
	ds_load_2addr_b64 v[68:71], v222 offset0:44 offset1:45
	s_wait_dscnt 0x0
	v_pk_mul_f32 v[54:55], v[68:69], v[52:53] op_sel:[0,1]
	v_pk_fma_f32 v[72:73], v[68:69], v[50:51], v[54:55] op_sel:[0,0,1] op_sel_hi:[1,1,0] neg_lo:[0,0,1] neg_hi:[0,0,1]
	v_pk_fma_f32 v[54:55], v[68:69], v[50:51], v[54:55] op_sel:[0,0,1] op_sel_hi:[1,0,0]
	s_delay_alu instid0(VALU_DEP_1) | instskip(SKIP_1) | instid1(VALU_DEP_2)
	v_mov_b32_e32 v73, v55
	v_pk_mul_f32 v[54:55], v[70:71], v[52:53] op_sel:[0,1]
	v_pk_add_f32 v[194:195], v[194:195], v[72:73] neg_lo:[0,1] neg_hi:[0,1]
	s_delay_alu instid0(VALU_DEP_2) | instskip(SKIP_1) | instid1(VALU_DEP_1)
	v_pk_fma_f32 v[68:69], v[70:71], v[50:51], v[54:55] op_sel:[0,0,1] op_sel_hi:[1,1,0] neg_lo:[0,0,1] neg_hi:[0,0,1]
	v_pk_fma_f32 v[54:55], v[70:71], v[50:51], v[54:55] op_sel:[0,0,1] op_sel_hi:[1,0,0]
	v_mov_b32_e32 v69, v55
	s_delay_alu instid0(VALU_DEP_1) | instskip(SKIP_3) | instid1(VALU_DEP_1)
	v_pk_add_f32 v[190:191], v[190:191], v[68:69] neg_lo:[0,1] neg_hi:[0,1]
	ds_load_2addr_b64 v[68:71], v222 offset0:46 offset1:47
	s_wait_dscnt 0x0
	v_dual_mul_f32 v54, v69, v53 :: v_dual_mul_f32 v72, v69, v50
	v_pk_fma_f32 v[54:55], v[68:69], v[78:79], v[54:55] op_sel_hi:[1,1,0] neg_lo:[0,0,1] neg_hi:[0,0,1]
	s_delay_alu instid0(VALU_DEP_2) | instskip(NEXT) | instid1(VALU_DEP_1)
	v_pk_fma_f32 v[68:69], v[68:69], v[78:79], v[72:73] op_sel:[1,0,0] op_sel_hi:[0,1,0]
	v_mov_b32_e32 v55, v69
	s_delay_alu instid0(VALU_DEP_1) | instskip(SKIP_1) | instid1(VALU_DEP_1)
	v_pk_add_f32 v[192:193], v[192:193], v[54:55] neg_lo:[0,1] neg_hi:[0,1]
	v_pk_mul_f32 v[54:55], v[70:71], v[52:53] op_sel:[0,1]
	v_pk_fma_f32 v[68:69], v[70:71], v[50:51], v[54:55] op_sel:[0,0,1] op_sel_hi:[1,1,0] neg_lo:[0,0,1] neg_hi:[0,0,1]
	v_pk_fma_f32 v[54:55], v[70:71], v[50:51], v[54:55] op_sel:[0,0,1] op_sel_hi:[1,0,0]
	s_delay_alu instid0(VALU_DEP_1) | instskip(NEXT) | instid1(VALU_DEP_1)
	v_mov_b32_e32 v69, v55
	v_pk_add_f32 v[188:189], v[188:189], v[68:69] neg_lo:[0,1] neg_hi:[0,1]
	ds_load_2addr_b64 v[68:71], v222 offset0:48 offset1:49
	s_wait_dscnt 0x0
	v_pk_mul_f32 v[54:55], v[68:69], v[52:53] op_sel:[0,1]
	s_delay_alu instid0(VALU_DEP_1) | instskip(SKIP_1) | instid1(VALU_DEP_1)
	v_pk_fma_f32 v[72:73], v[68:69], v[50:51], v[54:55] op_sel:[0,0,1] op_sel_hi:[1,1,0] neg_lo:[0,0,1] neg_hi:[0,0,1]
	v_pk_fma_f32 v[54:55], v[68:69], v[50:51], v[54:55] op_sel:[0,0,1] op_sel_hi:[1,0,0]
	v_mov_b32_e32 v73, v55
	v_pk_mul_f32 v[54:55], v[70:71], v[52:53] op_sel:[0,1]
	s_delay_alu instid0(VALU_DEP_2) | instskip(NEXT) | instid1(VALU_DEP_2)
	v_pk_add_f32 v[216:217], v[216:217], v[72:73] neg_lo:[0,1] neg_hi:[0,1]
	v_pk_fma_f32 v[68:69], v[70:71], v[50:51], v[54:55] op_sel:[0,0,1] op_sel_hi:[1,1,0] neg_lo:[0,0,1] neg_hi:[0,0,1]
	v_pk_fma_f32 v[54:55], v[70:71], v[50:51], v[54:55] op_sel:[0,0,1] op_sel_hi:[1,0,0]
	s_delay_alu instid0(VALU_DEP_1) | instskip(NEXT) | instid1(VALU_DEP_1)
	v_mov_b32_e32 v69, v55
	v_pk_add_f32 v[212:213], v[212:213], v[68:69] neg_lo:[0,1] neg_hi:[0,1]
	ds_load_2addr_b64 v[68:71], v222 offset0:50 offset1:51
	s_wait_dscnt 0x0
	v_pk_mul_f32 v[54:55], v[68:69], v[52:53] op_sel:[0,1]
	s_delay_alu instid0(VALU_DEP_1) | instskip(SKIP_2) | instid1(VALU_DEP_2)
	v_pk_fma_f32 v[72:73], v[68:69], v[50:51], v[54:55] op_sel:[0,0,1] op_sel_hi:[1,1,0] neg_lo:[0,0,1] neg_hi:[0,0,1]
	v_pk_fma_f32 v[54:55], v[68:69], v[50:51], v[54:55] op_sel:[0,0,1] op_sel_hi:[1,0,0]
	v_dual_mul_f32 v68, v71, v53 :: v_dual_mov_b32 v54, v71
	v_dual_mov_b32 v73, v55 :: v_dual_mov_b32 v55, v70
	s_delay_alu instid0(VALU_DEP_2) | instskip(SKIP_1) | instid1(VALU_DEP_3)
	v_pk_fma_f32 v[68:69], v[70:71], v[78:79], v[68:69] op_sel_hi:[1,1,0] neg_lo:[0,0,1] neg_hi:[0,0,1]
	v_mul_f32_e32 v70, v71, v50
	v_pk_add_f32 v[214:215], v[214:215], v[72:73] neg_lo:[0,1] neg_hi:[0,1]
	s_delay_alu instid0(VALU_DEP_2) | instskip(NEXT) | instid1(VALU_DEP_1)
	v_pk_fma_f32 v[54:55], v[54:55], v[78:79], v[70:71] op_sel_hi:[1,1,0]
	v_mov_b32_e32 v69, v55
	s_delay_alu instid0(VALU_DEP_1) | instskip(SKIP_3) | instid1(VALU_DEP_1)
	v_pk_add_f32 v[210:211], v[210:211], v[68:69] neg_lo:[0,1] neg_hi:[0,1]
	ds_load_2addr_b64 v[68:71], v222 offset0:52 offset1:53
	s_wait_dscnt 0x0
	v_pk_mul_f32 v[54:55], v[68:69], v[52:53] op_sel:[0,1]
	v_pk_fma_f32 v[72:73], v[68:69], v[50:51], v[54:55] op_sel:[0,0,1] op_sel_hi:[1,1,0] neg_lo:[0,0,1] neg_hi:[0,0,1]
	v_pk_fma_f32 v[54:55], v[68:69], v[50:51], v[54:55] op_sel:[0,0,1] op_sel_hi:[1,0,0]
	s_delay_alu instid0(VALU_DEP_1) | instskip(SKIP_1) | instid1(VALU_DEP_2)
	v_mov_b32_e32 v73, v55
	v_pk_mul_f32 v[54:55], v[70:71], v[52:53] op_sel:[0,1]
	v_pk_add_f32 v[240:241], v[240:241], v[72:73] neg_lo:[0,1] neg_hi:[0,1]
	s_delay_alu instid0(VALU_DEP_2) | instskip(SKIP_1) | instid1(VALU_DEP_1)
	v_pk_fma_f32 v[68:69], v[70:71], v[50:51], v[54:55] op_sel:[0,0,1] op_sel_hi:[1,1,0] neg_lo:[0,0,1] neg_hi:[0,0,1]
	v_pk_fma_f32 v[54:55], v[70:71], v[50:51], v[54:55] op_sel:[0,0,1] op_sel_hi:[1,0,0]
	v_mov_b32_e32 v69, v55
	s_delay_alu instid0(VALU_DEP_1) | instskip(SKIP_3) | instid1(VALU_DEP_1)
	v_pk_add_f32 v[232:233], v[232:233], v[68:69] neg_lo:[0,1] neg_hi:[0,1]
	ds_load_2addr_b64 v[68:71], v222 offset0:54 offset1:55
	s_wait_dscnt 0x0
	v_pk_mul_f32 v[54:55], v[68:69], v[52:53] op_sel:[0,1]
	v_pk_fma_f32 v[72:73], v[68:69], v[50:51], v[54:55] op_sel:[0,0,1] op_sel_hi:[1,1,0] neg_lo:[0,0,1] neg_hi:[0,0,1]
	v_pk_fma_f32 v[54:55], v[68:69], v[50:51], v[54:55] op_sel:[0,0,1] op_sel_hi:[1,0,0]
	s_delay_alu instid0(VALU_DEP_1) | instskip(SKIP_1) | instid1(VALU_DEP_2)
	v_mov_b32_e32 v73, v55
	v_pk_mul_f32 v[54:55], v[70:71], v[52:53] op_sel:[0,1]
	v_pk_add_f32 v[238:239], v[238:239], v[72:73] neg_lo:[0,1] neg_hi:[0,1]
	s_delay_alu instid0(VALU_DEP_2) | instskip(SKIP_1) | instid1(VALU_DEP_1)
	v_pk_fma_f32 v[68:69], v[70:71], v[50:51], v[54:55] op_sel:[0,0,1] op_sel_hi:[1,1,0] neg_lo:[0,0,1] neg_hi:[0,0,1]
	v_pk_fma_f32 v[54:55], v[70:71], v[50:51], v[54:55] op_sel:[0,0,1] op_sel_hi:[1,0,0]
	v_mov_b32_e32 v69, v55
	s_delay_alu instid0(VALU_DEP_1) | instskip(SKIP_3) | instid1(VALU_DEP_1)
	v_pk_add_f32 v[230:231], v[230:231], v[68:69] neg_lo:[0,1] neg_hi:[0,1]
	ds_load_2addr_b64 v[68:71], v222 offset0:56 offset1:57
	s_wait_dscnt 0x0
	v_dual_mul_f32 v54, v69, v53 :: v_dual_mul_f32 v72, v69, v50
	v_pk_fma_f32 v[54:55], v[68:69], v[78:79], v[54:55] op_sel_hi:[1,1,0] neg_lo:[0,0,1] neg_hi:[0,0,1]
	s_delay_alu instid0(VALU_DEP_2) | instskip(NEXT) | instid1(VALU_DEP_1)
	v_pk_fma_f32 v[68:69], v[68:69], v[78:79], v[72:73] op_sel:[1,0,0] op_sel_hi:[0,1,0]
	v_mov_b32_e32 v55, v69
	s_delay_alu instid0(VALU_DEP_1) | instskip(SKIP_1) | instid1(VALU_DEP_1)
	v_pk_add_f32 v[236:237], v[236:237], v[54:55] neg_lo:[0,1] neg_hi:[0,1]
	v_pk_mul_f32 v[54:55], v[70:71], v[52:53] op_sel:[0,1]
	v_pk_fma_f32 v[68:69], v[70:71], v[50:51], v[54:55] op_sel:[0,0,1] op_sel_hi:[1,1,0] neg_lo:[0,0,1] neg_hi:[0,0,1]
	v_pk_fma_f32 v[54:55], v[70:71], v[50:51], v[54:55] op_sel:[0,0,1] op_sel_hi:[1,0,0]
	s_delay_alu instid0(VALU_DEP_1) | instskip(NEXT) | instid1(VALU_DEP_1)
	v_mov_b32_e32 v69, v55
	v_pk_add_f32 v[228:229], v[228:229], v[68:69] neg_lo:[0,1] neg_hi:[0,1]
	ds_load_2addr_b64 v[68:71], v222 offset0:58 offset1:59
	s_wait_dscnt 0x0
	v_pk_mul_f32 v[54:55], v[68:69], v[52:53] op_sel:[0,1]
	s_delay_alu instid0(VALU_DEP_1) | instskip(SKIP_1) | instid1(VALU_DEP_1)
	v_pk_fma_f32 v[72:73], v[68:69], v[50:51], v[54:55] op_sel:[0,0,1] op_sel_hi:[1,1,0] neg_lo:[0,0,1] neg_hi:[0,0,1]
	v_pk_fma_f32 v[54:55], v[68:69], v[50:51], v[54:55] op_sel:[0,0,1] op_sel_hi:[1,0,0]
	v_mov_b32_e32 v73, v55
	v_pk_mul_f32 v[54:55], v[70:71], v[52:53] op_sel:[0,1]
	s_delay_alu instid0(VALU_DEP_2) | instskip(NEXT) | instid1(VALU_DEP_2)
	v_pk_add_f32 v[234:235], v[234:235], v[72:73] neg_lo:[0,1] neg_hi:[0,1]
	v_pk_fma_f32 v[68:69], v[70:71], v[50:51], v[54:55] op_sel:[0,0,1] op_sel_hi:[1,1,0] neg_lo:[0,0,1] neg_hi:[0,0,1]
	v_pk_fma_f32 v[54:55], v[70:71], v[50:51], v[54:55] op_sel:[0,0,1] op_sel_hi:[1,0,0]
	s_delay_alu instid0(VALU_DEP_1) | instskip(SKIP_4) | instid1(VALU_DEP_1)
	v_mov_b32_e32 v69, v55
	ds_load_b64 v[54:55], v222 offset:480
	v_pk_add_f32 v[242:243], v[242:243], v[68:69] neg_lo:[0,1] neg_hi:[0,1]
	s_wait_dscnt 0x0
	v_pk_mul_f32 v[52:53], v[54:55], v[52:53] op_sel:[0,1]
	v_pk_fma_f32 v[68:69], v[54:55], v[50:51], v[52:53] op_sel:[0,0,1] op_sel_hi:[1,1,0] neg_lo:[0,0,1] neg_hi:[0,0,1]
	v_pk_fma_f32 v[50:51], v[54:55], v[50:51], v[52:53] op_sel:[0,0,1] op_sel_hi:[1,0,0]
	s_delay_alu instid0(VALU_DEP_1) | instskip(NEXT) | instid1(VALU_DEP_1)
	v_mov_b32_e32 v69, v51
	v_pk_add_f32 v[244:245], v[244:245], v[68:69] neg_lo:[0,1] neg_hi:[0,1]
.LBB121_163:
	s_or_b32 exec_lo, exec_lo, s1
	s_delay_alu instid0(SALU_CYCLE_1)
	s_mov_b32 s2, exec_lo
	s_wait_dscnt 0x0
	s_barrier_signal -1
	s_barrier_wait -1
	v_cmpx_eq_u32_e32 18, v220
	s_cbranch_execz .LBB121_170
; %bb.164:
	ds_store_b64 v221, v[80:81]
	ds_store_2addr_b64 v222, v[76:77], v[98:99] offset0:19 offset1:20
	ds_store_2addr_b64 v222, v[94:95], v[96:97] offset0:21 offset1:22
	;; [unrolled: 1-line block ×21, first 2 shown]
	ds_load_b64 v[50:51], v221
	s_wait_dscnt 0x0
	v_cmp_neq_f32_e32 vcc_lo, 0, v50
	v_cmp_neq_f32_e64 s1, 0, v51
	s_or_b32 s1, vcc_lo, s1
	s_delay_alu instid0(SALU_CYCLE_1)
	s_and_b32 exec_lo, exec_lo, s1
	s_cbranch_execz .LBB121_170
; %bb.165:
	v_cmp_ngt_f32_e64 s1, |v50|, |v51|
                                        ; implicit-def: $vgpr52_vgpr53
	s_and_saveexec_b32 s4, s1
	s_delay_alu instid0(SALU_CYCLE_1)
	s_xor_b32 s1, exec_lo, s4
	s_cbranch_execz .LBB121_167
; %bb.166:
	v_div_scale_f32 v52, null, v51, v51, v50
	v_div_scale_f32 v55, vcc_lo, v50, v51, v50
	s_delay_alu instid0(VALU_DEP_2) | instskip(SKIP_1) | instid1(TRANS32_DEP_1)
	v_rcp_f32_e32 v53, v52
	v_nop
	v_fma_f32 v54, -v52, v53, 1.0
	s_delay_alu instid0(VALU_DEP_1) | instskip(NEXT) | instid1(VALU_DEP_1)
	v_fmac_f32_e32 v53, v54, v53
	v_mul_f32_e32 v54, v55, v53
	s_delay_alu instid0(VALU_DEP_1) | instskip(NEXT) | instid1(VALU_DEP_1)
	v_fma_f32 v68, -v52, v54, v55
	v_fmac_f32_e32 v54, v68, v53
	s_delay_alu instid0(VALU_DEP_1) | instskip(NEXT) | instid1(VALU_DEP_1)
	v_fma_f32 v52, -v52, v54, v55
	v_div_fmas_f32 v52, v52, v53, v54
	s_delay_alu instid0(VALU_DEP_1) | instskip(NEXT) | instid1(VALU_DEP_1)
	v_div_fixup_f32 v52, v52, v51, v50
	v_fmac_f32_e32 v51, v50, v52
	s_delay_alu instid0(VALU_DEP_1) | instskip(SKIP_1) | instid1(VALU_DEP_2)
	v_div_scale_f32 v50, null, v51, v51, 1.0
	v_div_scale_f32 v55, vcc_lo, 1.0, v51, 1.0
	v_rcp_f32_e32 v53, v50
	v_nop
	s_delay_alu instid0(TRANS32_DEP_1) | instskip(NEXT) | instid1(VALU_DEP_1)
	v_fma_f32 v54, -v50, v53, 1.0
	v_fmac_f32_e32 v53, v54, v53
	s_delay_alu instid0(VALU_DEP_1) | instskip(NEXT) | instid1(VALU_DEP_1)
	v_mul_f32_e32 v54, v55, v53
	v_fma_f32 v68, -v50, v54, v55
	s_delay_alu instid0(VALU_DEP_1) | instskip(NEXT) | instid1(VALU_DEP_1)
	v_fmac_f32_e32 v54, v68, v53
	v_fma_f32 v50, -v50, v54, v55
	s_delay_alu instid0(VALU_DEP_1) | instskip(NEXT) | instid1(VALU_DEP_1)
	v_div_fmas_f32 v50, v50, v53, v54
	v_div_fixup_f32 v50, v50, v51, 1.0
	s_delay_alu instid0(VALU_DEP_1)
	v_mul_f32_e32 v52, v52, v50
	v_xor_b32_e32 v53, 0x80000000, v50
                                        ; implicit-def: $vgpr50_vgpr51
.LBB121_167:
	s_and_not1_saveexec_b32 s1, s1
	s_cbranch_execz .LBB121_169
; %bb.168:
	v_div_scale_f32 v52, null, v50, v50, v51
	v_div_scale_f32 v55, vcc_lo, v51, v50, v51
	s_delay_alu instid0(VALU_DEP_2) | instskip(SKIP_1) | instid1(TRANS32_DEP_1)
	v_rcp_f32_e32 v53, v52
	v_nop
	v_fma_f32 v54, -v52, v53, 1.0
	s_delay_alu instid0(VALU_DEP_1) | instskip(NEXT) | instid1(VALU_DEP_1)
	v_fmac_f32_e32 v53, v54, v53
	v_mul_f32_e32 v54, v55, v53
	s_delay_alu instid0(VALU_DEP_1) | instskip(NEXT) | instid1(VALU_DEP_1)
	v_fma_f32 v68, -v52, v54, v55
	v_fmac_f32_e32 v54, v68, v53
	s_delay_alu instid0(VALU_DEP_1) | instskip(NEXT) | instid1(VALU_DEP_1)
	v_fma_f32 v52, -v52, v54, v55
	v_div_fmas_f32 v52, v52, v53, v54
	s_delay_alu instid0(VALU_DEP_1) | instskip(NEXT) | instid1(VALU_DEP_1)
	v_div_fixup_f32 v53, v52, v50, v51
	v_fmac_f32_e32 v50, v51, v53
	s_delay_alu instid0(VALU_DEP_1) | instskip(NEXT) | instid1(VALU_DEP_1)
	v_div_scale_f32 v51, null, v50, v50, 1.0
	v_rcp_f32_e32 v52, v51
	v_nop
	s_delay_alu instid0(TRANS32_DEP_1) | instskip(NEXT) | instid1(VALU_DEP_1)
	v_fma_f32 v54, -v51, v52, 1.0
	v_fmac_f32_e32 v52, v54, v52
	v_div_scale_f32 v54, vcc_lo, 1.0, v50, 1.0
	s_delay_alu instid0(VALU_DEP_1) | instskip(NEXT) | instid1(VALU_DEP_1)
	v_mul_f32_e32 v55, v54, v52
	v_fma_f32 v68, -v51, v55, v54
	s_delay_alu instid0(VALU_DEP_1) | instskip(NEXT) | instid1(VALU_DEP_1)
	v_fmac_f32_e32 v55, v68, v52
	v_fma_f32 v51, -v51, v55, v54
	s_delay_alu instid0(VALU_DEP_1) | instskip(NEXT) | instid1(VALU_DEP_1)
	v_div_fmas_f32 v51, v51, v52, v55
	v_div_fixup_f32 v52, v51, v50, 1.0
	s_delay_alu instid0(VALU_DEP_1)
	v_mul_f32_e64 v53, v53, -v52
.LBB121_169:
	s_or_b32 exec_lo, exec_lo, s1
	ds_store_b64 v221, v[52:53]
.LBB121_170:
	s_or_b32 exec_lo, exec_lo, s2
	s_wait_dscnt 0x0
	s_barrier_signal -1
	s_barrier_wait -1
	ds_load_b64 v[50:51], v221
	s_mov_b32 s1, exec_lo
	v_cmpx_lt_u32_e32 18, v220
	s_cbranch_execz .LBB121_172
; %bb.171:
	ds_load_2addr_b64 v[68:71], v222 offset0:19 offset1:20
	s_wait_dscnt 0x1
	v_pk_mul_f32 v[54:55], v[50:51], v[80:81] op_sel:[1,1] op_sel_hi:[0,1]
	s_delay_alu instid0(VALU_DEP_1) | instskip(SKIP_1) | instid1(VALU_DEP_1)
	v_pk_fma_f32 v[52:53], v[50:51], v[80:81], v[54:55] op_sel_hi:[1,0,1] neg_lo:[0,0,1] neg_hi:[0,0,1]
	v_pk_fma_f32 v[54:55], v[50:51], v[80:81], v[54:55] op_sel_hi:[1,0,1]
	v_dual_mov_b32 v80, v52 :: v_dual_mov_b32 v81, v55
	s_wait_dscnt 0x0
	s_delay_alu instid0(VALU_DEP_2) | instskip(NEXT) | instid1(VALU_DEP_1)
	v_pk_mul_f32 v[72:73], v[68:69], v[54:55] op_sel:[0,1]
	v_pk_fma_f32 v[74:75], v[68:69], v[52:53], v[72:73] op_sel:[0,0,1] op_sel_hi:[1,1,0] neg_lo:[0,0,1] neg_hi:[0,0,1]
	v_pk_fma_f32 v[68:69], v[68:69], v[52:53], v[72:73] op_sel:[0,0,1] op_sel_hi:[1,0,0]
	s_delay_alu instid0(VALU_DEP_1) | instskip(SKIP_1) | instid1(VALU_DEP_1)
	v_mov_b32_e32 v75, v69
	v_pk_mul_f32 v[68:69], v[70:71], v[54:55] op_sel:[0,1]
	v_pk_fma_f32 v[72:73], v[70:71], v[52:53], v[68:69] op_sel:[0,0,1] op_sel_hi:[1,1,0] neg_lo:[0,0,1] neg_hi:[0,0,1]
	v_pk_fma_f32 v[68:69], v[70:71], v[52:53], v[68:69] op_sel:[0,0,1] op_sel_hi:[1,0,0]
	s_delay_alu instid0(VALU_DEP_1)
	v_mov_b32_e32 v73, v69
	ds_load_2addr_b64 v[68:71], v222 offset0:21 offset1:22
	v_pk_add_f32 v[76:77], v[76:77], v[74:75] neg_lo:[0,1] neg_hi:[0,1]
	v_pk_add_f32 v[98:99], v[98:99], v[72:73] neg_lo:[0,1] neg_hi:[0,1]
	s_wait_dscnt 0x0
	v_pk_mul_f32 v[72:73], v[68:69], v[54:55] op_sel:[0,1]
	s_delay_alu instid0(VALU_DEP_1) | instskip(SKIP_2) | instid1(VALU_DEP_2)
	v_pk_fma_f32 v[74:75], v[68:69], v[52:53], v[72:73] op_sel:[0,0,1] op_sel_hi:[1,1,0] neg_lo:[0,0,1] neg_hi:[0,0,1]
	v_pk_fma_f32 v[68:69], v[68:69], v[52:53], v[72:73] op_sel:[0,0,1] op_sel_hi:[1,0,0]
	v_dual_mul_f32 v72, v71, v55 :: v_dual_mov_b32 v68, v71
	v_dual_mov_b32 v75, v69 :: v_dual_mov_b32 v69, v70
	s_delay_alu instid0(VALU_DEP_2) | instskip(SKIP_1) | instid1(VALU_DEP_3)
	v_pk_fma_f32 v[72:73], v[70:71], v[80:81], v[72:73] op_sel_hi:[1,1,0] neg_lo:[0,0,1] neg_hi:[0,0,1]
	v_mul_f32_e32 v70, v71, v52
	v_pk_add_f32 v[94:95], v[94:95], v[74:75] neg_lo:[0,1] neg_hi:[0,1]
	s_delay_alu instid0(VALU_DEP_2) | instskip(NEXT) | instid1(VALU_DEP_1)
	v_pk_fma_f32 v[68:69], v[68:69], v[80:81], v[70:71] op_sel_hi:[1,1,0]
	v_mov_b32_e32 v73, v69
	ds_load_2addr_b64 v[68:71], v222 offset0:23 offset1:24
	v_pk_add_f32 v[96:97], v[96:97], v[72:73] neg_lo:[0,1] neg_hi:[0,1]
	s_wait_dscnt 0x0
	v_pk_mul_f32 v[72:73], v[68:69], v[54:55] op_sel:[0,1]
	s_delay_alu instid0(VALU_DEP_1) | instskip(SKIP_1) | instid1(VALU_DEP_1)
	v_pk_fma_f32 v[74:75], v[68:69], v[52:53], v[72:73] op_sel:[0,0,1] op_sel_hi:[1,1,0] neg_lo:[0,0,1] neg_hi:[0,0,1]
	v_pk_fma_f32 v[68:69], v[68:69], v[52:53], v[72:73] op_sel:[0,0,1] op_sel_hi:[1,0,0]
	v_mov_b32_e32 v75, v69
	v_pk_mul_f32 v[68:69], v[70:71], v[54:55] op_sel:[0,1]
	s_delay_alu instid0(VALU_DEP_1) | instskip(SKIP_1) | instid1(VALU_DEP_1)
	v_pk_fma_f32 v[72:73], v[70:71], v[52:53], v[68:69] op_sel:[0,0,1] op_sel_hi:[1,1,0] neg_lo:[0,0,1] neg_hi:[0,0,1]
	v_pk_fma_f32 v[68:69], v[70:71], v[52:53], v[68:69] op_sel:[0,0,1] op_sel_hi:[1,0,0]
	v_mov_b32_e32 v73, v69
	ds_load_2addr_b64 v[68:71], v222 offset0:25 offset1:26
	v_pk_add_f32 v[92:93], v[92:93], v[74:75] neg_lo:[0,1] neg_hi:[0,1]
	v_pk_add_f32 v[114:115], v[114:115], v[72:73] neg_lo:[0,1] neg_hi:[0,1]
	s_wait_dscnt 0x0
	v_pk_mul_f32 v[72:73], v[68:69], v[54:55] op_sel:[0,1]
	s_delay_alu instid0(VALU_DEP_1) | instskip(SKIP_1) | instid1(VALU_DEP_1)
	v_pk_fma_f32 v[74:75], v[68:69], v[52:53], v[72:73] op_sel:[0,0,1] op_sel_hi:[1,1,0] neg_lo:[0,0,1] neg_hi:[0,0,1]
	v_pk_fma_f32 v[68:69], v[68:69], v[52:53], v[72:73] op_sel:[0,0,1] op_sel_hi:[1,0,0]
	v_mov_b32_e32 v75, v69
	v_pk_mul_f32 v[68:69], v[70:71], v[54:55] op_sel:[0,1]
	s_delay_alu instid0(VALU_DEP_1) | instskip(SKIP_1) | instid1(VALU_DEP_1)
	v_pk_fma_f32 v[72:73], v[70:71], v[52:53], v[68:69] op_sel:[0,0,1] op_sel_hi:[1,1,0] neg_lo:[0,0,1] neg_hi:[0,0,1]
	v_pk_fma_f32 v[68:69], v[70:71], v[52:53], v[68:69] op_sel:[0,0,1] op_sel_hi:[1,0,0]
	v_mov_b32_e32 v73, v69
	ds_load_2addr_b64 v[68:71], v222 offset0:27 offset1:28
	v_pk_add_f32 v[110:111], v[110:111], v[74:75] neg_lo:[0,1] neg_hi:[0,1]
	v_pk_add_f32 v[112:113], v[112:113], v[72:73] neg_lo:[0,1] neg_hi:[0,1]
	s_wait_dscnt 0x0
	v_dual_mul_f32 v72, v69, v55 :: v_dual_mul_f32 v74, v69, v52
	s_delay_alu instid0(VALU_DEP_1) | instskip(NEXT) | instid1(VALU_DEP_2)
	v_pk_fma_f32 v[72:73], v[68:69], v[80:81], v[72:73] op_sel_hi:[1,1,0] neg_lo:[0,0,1] neg_hi:[0,0,1]
	v_pk_fma_f32 v[68:69], v[68:69], v[80:81], v[74:75] op_sel:[1,0,0] op_sel_hi:[0,1,0]
	s_delay_alu instid0(VALU_DEP_1) | instskip(SKIP_1) | instid1(VALU_DEP_2)
	v_mov_b32_e32 v73, v69
	v_pk_mul_f32 v[68:69], v[70:71], v[54:55] op_sel:[0,1]
	v_pk_add_f32 v[108:109], v[108:109], v[72:73] neg_lo:[0,1] neg_hi:[0,1]
	s_delay_alu instid0(VALU_DEP_2) | instskip(SKIP_1) | instid1(VALU_DEP_1)
	v_pk_fma_f32 v[72:73], v[70:71], v[52:53], v[68:69] op_sel:[0,0,1] op_sel_hi:[1,1,0] neg_lo:[0,0,1] neg_hi:[0,0,1]
	v_pk_fma_f32 v[68:69], v[70:71], v[52:53], v[68:69] op_sel:[0,0,1] op_sel_hi:[1,0,0]
	v_mov_b32_e32 v73, v69
	ds_load_2addr_b64 v[68:71], v222 offset0:29 offset1:30
	v_pk_add_f32 v[130:131], v[130:131], v[72:73] neg_lo:[0,1] neg_hi:[0,1]
	s_wait_dscnt 0x0
	v_pk_mul_f32 v[72:73], v[68:69], v[54:55] op_sel:[0,1]
	s_delay_alu instid0(VALU_DEP_1) | instskip(SKIP_1) | instid1(VALU_DEP_1)
	v_pk_fma_f32 v[74:75], v[68:69], v[52:53], v[72:73] op_sel:[0,0,1] op_sel_hi:[1,1,0] neg_lo:[0,0,1] neg_hi:[0,0,1]
	v_pk_fma_f32 v[68:69], v[68:69], v[52:53], v[72:73] op_sel:[0,0,1] op_sel_hi:[1,0,0]
	v_mov_b32_e32 v75, v69
	v_pk_mul_f32 v[68:69], v[70:71], v[54:55] op_sel:[0,1]
	s_delay_alu instid0(VALU_DEP_2) | instskip(NEXT) | instid1(VALU_DEP_2)
	v_pk_add_f32 v[126:127], v[126:127], v[74:75] neg_lo:[0,1] neg_hi:[0,1]
	v_pk_fma_f32 v[72:73], v[70:71], v[52:53], v[68:69] op_sel:[0,0,1] op_sel_hi:[1,1,0] neg_lo:[0,0,1] neg_hi:[0,0,1]
	v_pk_fma_f32 v[68:69], v[70:71], v[52:53], v[68:69] op_sel:[0,0,1] op_sel_hi:[1,0,0]
	s_delay_alu instid0(VALU_DEP_1) | instskip(SKIP_4) | instid1(VALU_DEP_1)
	v_mov_b32_e32 v73, v69
	ds_load_2addr_b64 v[68:71], v222 offset0:31 offset1:32
	v_pk_add_f32 v[128:129], v[128:129], v[72:73] neg_lo:[0,1] neg_hi:[0,1]
	s_wait_dscnt 0x0
	v_pk_mul_f32 v[72:73], v[68:69], v[54:55] op_sel:[0,1]
	v_pk_fma_f32 v[74:75], v[68:69], v[52:53], v[72:73] op_sel:[0,0,1] op_sel_hi:[1,1,0] neg_lo:[0,0,1] neg_hi:[0,0,1]
	v_pk_fma_f32 v[68:69], v[68:69], v[52:53], v[72:73] op_sel:[0,0,1] op_sel_hi:[1,0,0]
	v_dual_mul_f32 v72, v71, v55 :: v_dual_mov_b32 v68, v71
	s_delay_alu instid0(VALU_DEP_2) | instskip(NEXT) | instid1(VALU_DEP_2)
	v_dual_mov_b32 v75, v69 :: v_dual_mov_b32 v69, v70
	v_pk_fma_f32 v[72:73], v[70:71], v[80:81], v[72:73] op_sel_hi:[1,1,0] neg_lo:[0,0,1] neg_hi:[0,0,1]
	v_mul_f32_e32 v70, v71, v52
	s_delay_alu instid0(VALU_DEP_3) | instskip(NEXT) | instid1(VALU_DEP_2)
	v_pk_add_f32 v[124:125], v[124:125], v[74:75] neg_lo:[0,1] neg_hi:[0,1]
	v_pk_fma_f32 v[68:69], v[68:69], v[80:81], v[70:71] op_sel_hi:[1,1,0]
	s_delay_alu instid0(VALU_DEP_1) | instskip(SKIP_4) | instid1(VALU_DEP_1)
	v_mov_b32_e32 v73, v69
	ds_load_2addr_b64 v[68:71], v222 offset0:33 offset1:34
	v_pk_add_f32 v[146:147], v[146:147], v[72:73] neg_lo:[0,1] neg_hi:[0,1]
	s_wait_dscnt 0x0
	v_pk_mul_f32 v[72:73], v[68:69], v[54:55] op_sel:[0,1]
	v_pk_fma_f32 v[74:75], v[68:69], v[52:53], v[72:73] op_sel:[0,0,1] op_sel_hi:[1,1,0] neg_lo:[0,0,1] neg_hi:[0,0,1]
	v_pk_fma_f32 v[68:69], v[68:69], v[52:53], v[72:73] op_sel:[0,0,1] op_sel_hi:[1,0,0]
	s_delay_alu instid0(VALU_DEP_1) | instskip(SKIP_1) | instid1(VALU_DEP_1)
	v_mov_b32_e32 v75, v69
	v_pk_mul_f32 v[68:69], v[70:71], v[54:55] op_sel:[0,1]
	v_pk_fma_f32 v[72:73], v[70:71], v[52:53], v[68:69] op_sel:[0,0,1] op_sel_hi:[1,1,0] neg_lo:[0,0,1] neg_hi:[0,0,1]
	v_pk_fma_f32 v[68:69], v[70:71], v[52:53], v[68:69] op_sel:[0,0,1] op_sel_hi:[1,0,0]
	s_delay_alu instid0(VALU_DEP_1)
	v_mov_b32_e32 v73, v69
	ds_load_2addr_b64 v[68:71], v222 offset0:35 offset1:36
	v_pk_add_f32 v[142:143], v[142:143], v[74:75] neg_lo:[0,1] neg_hi:[0,1]
	v_pk_add_f32 v[144:145], v[144:145], v[72:73] neg_lo:[0,1] neg_hi:[0,1]
	s_wait_dscnt 0x0
	v_pk_mul_f32 v[72:73], v[68:69], v[54:55] op_sel:[0,1]
	s_delay_alu instid0(VALU_DEP_1) | instskip(SKIP_1) | instid1(VALU_DEP_1)
	v_pk_fma_f32 v[74:75], v[68:69], v[52:53], v[72:73] op_sel:[0,0,1] op_sel_hi:[1,1,0] neg_lo:[0,0,1] neg_hi:[0,0,1]
	v_pk_fma_f32 v[68:69], v[68:69], v[52:53], v[72:73] op_sel:[0,0,1] op_sel_hi:[1,0,0]
	v_mov_b32_e32 v75, v69
	v_pk_mul_f32 v[68:69], v[70:71], v[54:55] op_sel:[0,1]
	s_delay_alu instid0(VALU_DEP_1) | instskip(SKIP_1) | instid1(VALU_DEP_1)
	v_pk_fma_f32 v[72:73], v[70:71], v[52:53], v[68:69] op_sel:[0,0,1] op_sel_hi:[1,1,0] neg_lo:[0,0,1] neg_hi:[0,0,1]
	v_pk_fma_f32 v[68:69], v[70:71], v[52:53], v[68:69] op_sel:[0,0,1] op_sel_hi:[1,0,0]
	v_mov_b32_e32 v73, v69
	ds_load_2addr_b64 v[68:71], v222 offset0:37 offset1:38
	v_pk_add_f32 v[140:141], v[140:141], v[74:75] neg_lo:[0,1] neg_hi:[0,1]
	v_pk_add_f32 v[162:163], v[162:163], v[72:73] neg_lo:[0,1] neg_hi:[0,1]
	s_wait_dscnt 0x0
	v_dual_mul_f32 v72, v69, v55 :: v_dual_mul_f32 v74, v69, v52
	s_delay_alu instid0(VALU_DEP_1) | instskip(NEXT) | instid1(VALU_DEP_2)
	v_pk_fma_f32 v[72:73], v[68:69], v[80:81], v[72:73] op_sel_hi:[1,1,0] neg_lo:[0,0,1] neg_hi:[0,0,1]
	v_pk_fma_f32 v[68:69], v[68:69], v[80:81], v[74:75] op_sel:[1,0,0] op_sel_hi:[0,1,0]
	s_delay_alu instid0(VALU_DEP_1) | instskip(SKIP_1) | instid1(VALU_DEP_2)
	v_mov_b32_e32 v73, v69
	v_pk_mul_f32 v[68:69], v[70:71], v[54:55] op_sel:[0,1]
	v_pk_add_f32 v[158:159], v[158:159], v[72:73] neg_lo:[0,1] neg_hi:[0,1]
	s_delay_alu instid0(VALU_DEP_2) | instskip(SKIP_1) | instid1(VALU_DEP_1)
	v_pk_fma_f32 v[72:73], v[70:71], v[52:53], v[68:69] op_sel:[0,0,1] op_sel_hi:[1,1,0] neg_lo:[0,0,1] neg_hi:[0,0,1]
	v_pk_fma_f32 v[68:69], v[70:71], v[52:53], v[68:69] op_sel:[0,0,1] op_sel_hi:[1,0,0]
	v_mov_b32_e32 v73, v69
	ds_load_2addr_b64 v[68:71], v222 offset0:39 offset1:40
	v_pk_add_f32 v[160:161], v[160:161], v[72:73] neg_lo:[0,1] neg_hi:[0,1]
	s_wait_dscnt 0x0
	v_pk_mul_f32 v[72:73], v[68:69], v[54:55] op_sel:[0,1]
	s_delay_alu instid0(VALU_DEP_1) | instskip(SKIP_1) | instid1(VALU_DEP_1)
	v_pk_fma_f32 v[74:75], v[68:69], v[52:53], v[72:73] op_sel:[0,0,1] op_sel_hi:[1,1,0] neg_lo:[0,0,1] neg_hi:[0,0,1]
	v_pk_fma_f32 v[68:69], v[68:69], v[52:53], v[72:73] op_sel:[0,0,1] op_sel_hi:[1,0,0]
	v_mov_b32_e32 v75, v69
	v_pk_mul_f32 v[68:69], v[70:71], v[54:55] op_sel:[0,1]
	s_delay_alu instid0(VALU_DEP_2) | instskip(NEXT) | instid1(VALU_DEP_2)
	v_pk_add_f32 v[156:157], v[156:157], v[74:75] neg_lo:[0,1] neg_hi:[0,1]
	v_pk_fma_f32 v[72:73], v[70:71], v[52:53], v[68:69] op_sel:[0,0,1] op_sel_hi:[1,1,0] neg_lo:[0,0,1] neg_hi:[0,0,1]
	v_pk_fma_f32 v[68:69], v[70:71], v[52:53], v[68:69] op_sel:[0,0,1] op_sel_hi:[1,0,0]
	s_delay_alu instid0(VALU_DEP_1) | instskip(SKIP_4) | instid1(VALU_DEP_1)
	v_mov_b32_e32 v73, v69
	ds_load_2addr_b64 v[68:71], v222 offset0:41 offset1:42
	v_pk_add_f32 v[178:179], v[178:179], v[72:73] neg_lo:[0,1] neg_hi:[0,1]
	s_wait_dscnt 0x0
	v_pk_mul_f32 v[72:73], v[68:69], v[54:55] op_sel:[0,1]
	v_pk_fma_f32 v[74:75], v[68:69], v[52:53], v[72:73] op_sel:[0,0,1] op_sel_hi:[1,1,0] neg_lo:[0,0,1] neg_hi:[0,0,1]
	v_pk_fma_f32 v[68:69], v[68:69], v[52:53], v[72:73] op_sel:[0,0,1] op_sel_hi:[1,0,0]
	v_dual_mul_f32 v72, v71, v55 :: v_dual_mov_b32 v68, v71
	s_delay_alu instid0(VALU_DEP_2) | instskip(NEXT) | instid1(VALU_DEP_2)
	v_dual_mov_b32 v75, v69 :: v_dual_mov_b32 v69, v70
	v_pk_fma_f32 v[72:73], v[70:71], v[80:81], v[72:73] op_sel_hi:[1,1,0] neg_lo:[0,0,1] neg_hi:[0,0,1]
	v_mul_f32_e32 v70, v71, v52
	s_delay_alu instid0(VALU_DEP_3) | instskip(NEXT) | instid1(VALU_DEP_2)
	v_pk_add_f32 v[174:175], v[174:175], v[74:75] neg_lo:[0,1] neg_hi:[0,1]
	v_pk_fma_f32 v[68:69], v[68:69], v[80:81], v[70:71] op_sel_hi:[1,1,0]
	s_delay_alu instid0(VALU_DEP_1) | instskip(SKIP_4) | instid1(VALU_DEP_1)
	v_mov_b32_e32 v73, v69
	ds_load_2addr_b64 v[68:71], v222 offset0:43 offset1:44
	v_pk_add_f32 v[176:177], v[176:177], v[72:73] neg_lo:[0,1] neg_hi:[0,1]
	s_wait_dscnt 0x0
	v_pk_mul_f32 v[72:73], v[68:69], v[54:55] op_sel:[0,1]
	v_pk_fma_f32 v[74:75], v[68:69], v[52:53], v[72:73] op_sel:[0,0,1] op_sel_hi:[1,1,0] neg_lo:[0,0,1] neg_hi:[0,0,1]
	v_pk_fma_f32 v[68:69], v[68:69], v[52:53], v[72:73] op_sel:[0,0,1] op_sel_hi:[1,0,0]
	s_delay_alu instid0(VALU_DEP_1) | instskip(SKIP_1) | instid1(VALU_DEP_1)
	v_mov_b32_e32 v75, v69
	v_pk_mul_f32 v[68:69], v[70:71], v[54:55] op_sel:[0,1]
	v_pk_fma_f32 v[72:73], v[70:71], v[52:53], v[68:69] op_sel:[0,0,1] op_sel_hi:[1,1,0] neg_lo:[0,0,1] neg_hi:[0,0,1]
	v_pk_fma_f32 v[68:69], v[70:71], v[52:53], v[68:69] op_sel:[0,0,1] op_sel_hi:[1,0,0]
	s_delay_alu instid0(VALU_DEP_1)
	v_mov_b32_e32 v73, v69
	ds_load_2addr_b64 v[68:71], v222 offset0:45 offset1:46
	v_pk_add_f32 v[172:173], v[172:173], v[74:75] neg_lo:[0,1] neg_hi:[0,1]
	v_pk_add_f32 v[194:195], v[194:195], v[72:73] neg_lo:[0,1] neg_hi:[0,1]
	s_wait_dscnt 0x0
	v_pk_mul_f32 v[72:73], v[68:69], v[54:55] op_sel:[0,1]
	s_delay_alu instid0(VALU_DEP_1) | instskip(SKIP_1) | instid1(VALU_DEP_1)
	v_pk_fma_f32 v[74:75], v[68:69], v[52:53], v[72:73] op_sel:[0,0,1] op_sel_hi:[1,1,0] neg_lo:[0,0,1] neg_hi:[0,0,1]
	v_pk_fma_f32 v[68:69], v[68:69], v[52:53], v[72:73] op_sel:[0,0,1] op_sel_hi:[1,0,0]
	v_mov_b32_e32 v75, v69
	v_pk_mul_f32 v[68:69], v[70:71], v[54:55] op_sel:[0,1]
	s_delay_alu instid0(VALU_DEP_1) | instskip(SKIP_1) | instid1(VALU_DEP_1)
	v_pk_fma_f32 v[72:73], v[70:71], v[52:53], v[68:69] op_sel:[0,0,1] op_sel_hi:[1,1,0] neg_lo:[0,0,1] neg_hi:[0,0,1]
	v_pk_fma_f32 v[68:69], v[70:71], v[52:53], v[68:69] op_sel:[0,0,1] op_sel_hi:[1,0,0]
	v_mov_b32_e32 v73, v69
	ds_load_2addr_b64 v[68:71], v222 offset0:47 offset1:48
	v_pk_add_f32 v[190:191], v[190:191], v[74:75] neg_lo:[0,1] neg_hi:[0,1]
	v_pk_add_f32 v[192:193], v[192:193], v[72:73] neg_lo:[0,1] neg_hi:[0,1]
	s_wait_dscnt 0x0
	v_dual_mul_f32 v72, v69, v55 :: v_dual_mul_f32 v74, v69, v52
	s_delay_alu instid0(VALU_DEP_1) | instskip(NEXT) | instid1(VALU_DEP_2)
	v_pk_fma_f32 v[72:73], v[68:69], v[80:81], v[72:73] op_sel_hi:[1,1,0] neg_lo:[0,0,1] neg_hi:[0,0,1]
	v_pk_fma_f32 v[68:69], v[68:69], v[80:81], v[74:75] op_sel:[1,0,0] op_sel_hi:[0,1,0]
	s_delay_alu instid0(VALU_DEP_1) | instskip(SKIP_1) | instid1(VALU_DEP_2)
	v_mov_b32_e32 v73, v69
	v_pk_mul_f32 v[68:69], v[70:71], v[54:55] op_sel:[0,1]
	v_pk_add_f32 v[188:189], v[188:189], v[72:73] neg_lo:[0,1] neg_hi:[0,1]
	s_delay_alu instid0(VALU_DEP_2) | instskip(SKIP_1) | instid1(VALU_DEP_1)
	v_pk_fma_f32 v[72:73], v[70:71], v[52:53], v[68:69] op_sel:[0,0,1] op_sel_hi:[1,1,0] neg_lo:[0,0,1] neg_hi:[0,0,1]
	v_pk_fma_f32 v[68:69], v[70:71], v[52:53], v[68:69] op_sel:[0,0,1] op_sel_hi:[1,0,0]
	v_mov_b32_e32 v73, v69
	ds_load_2addr_b64 v[68:71], v222 offset0:49 offset1:50
	v_pk_add_f32 v[216:217], v[216:217], v[72:73] neg_lo:[0,1] neg_hi:[0,1]
	s_wait_dscnt 0x0
	v_pk_mul_f32 v[72:73], v[68:69], v[54:55] op_sel:[0,1]
	s_delay_alu instid0(VALU_DEP_1) | instskip(SKIP_1) | instid1(VALU_DEP_1)
	v_pk_fma_f32 v[74:75], v[68:69], v[52:53], v[72:73] op_sel:[0,0,1] op_sel_hi:[1,1,0] neg_lo:[0,0,1] neg_hi:[0,0,1]
	v_pk_fma_f32 v[68:69], v[68:69], v[52:53], v[72:73] op_sel:[0,0,1] op_sel_hi:[1,0,0]
	v_mov_b32_e32 v75, v69
	v_pk_mul_f32 v[68:69], v[70:71], v[54:55] op_sel:[0,1]
	s_delay_alu instid0(VALU_DEP_2) | instskip(NEXT) | instid1(VALU_DEP_2)
	v_pk_add_f32 v[212:213], v[212:213], v[74:75] neg_lo:[0,1] neg_hi:[0,1]
	v_pk_fma_f32 v[72:73], v[70:71], v[52:53], v[68:69] op_sel:[0,0,1] op_sel_hi:[1,1,0] neg_lo:[0,0,1] neg_hi:[0,0,1]
	v_pk_fma_f32 v[68:69], v[70:71], v[52:53], v[68:69] op_sel:[0,0,1] op_sel_hi:[1,0,0]
	s_delay_alu instid0(VALU_DEP_1) | instskip(SKIP_4) | instid1(VALU_DEP_1)
	v_mov_b32_e32 v73, v69
	ds_load_2addr_b64 v[68:71], v222 offset0:51 offset1:52
	v_pk_add_f32 v[214:215], v[214:215], v[72:73] neg_lo:[0,1] neg_hi:[0,1]
	s_wait_dscnt 0x0
	v_pk_mul_f32 v[72:73], v[68:69], v[54:55] op_sel:[0,1]
	v_pk_fma_f32 v[74:75], v[68:69], v[52:53], v[72:73] op_sel:[0,0,1] op_sel_hi:[1,1,0] neg_lo:[0,0,1] neg_hi:[0,0,1]
	v_pk_fma_f32 v[68:69], v[68:69], v[52:53], v[72:73] op_sel:[0,0,1] op_sel_hi:[1,0,0]
	v_dual_mul_f32 v72, v71, v55 :: v_dual_mov_b32 v68, v71
	s_delay_alu instid0(VALU_DEP_2) | instskip(NEXT) | instid1(VALU_DEP_2)
	v_dual_mov_b32 v75, v69 :: v_dual_mov_b32 v69, v70
	v_pk_fma_f32 v[72:73], v[70:71], v[80:81], v[72:73] op_sel_hi:[1,1,0] neg_lo:[0,0,1] neg_hi:[0,0,1]
	v_mul_f32_e32 v70, v71, v52
	s_delay_alu instid0(VALU_DEP_3) | instskip(NEXT) | instid1(VALU_DEP_2)
	v_pk_add_f32 v[210:211], v[210:211], v[74:75] neg_lo:[0,1] neg_hi:[0,1]
	v_pk_fma_f32 v[68:69], v[68:69], v[80:81], v[70:71] op_sel_hi:[1,1,0]
	s_delay_alu instid0(VALU_DEP_1) | instskip(SKIP_4) | instid1(VALU_DEP_1)
	v_mov_b32_e32 v73, v69
	ds_load_2addr_b64 v[68:71], v222 offset0:53 offset1:54
	v_pk_add_f32 v[240:241], v[240:241], v[72:73] neg_lo:[0,1] neg_hi:[0,1]
	s_wait_dscnt 0x0
	v_pk_mul_f32 v[72:73], v[68:69], v[54:55] op_sel:[0,1]
	v_pk_fma_f32 v[74:75], v[68:69], v[52:53], v[72:73] op_sel:[0,0,1] op_sel_hi:[1,1,0] neg_lo:[0,0,1] neg_hi:[0,0,1]
	v_pk_fma_f32 v[68:69], v[68:69], v[52:53], v[72:73] op_sel:[0,0,1] op_sel_hi:[1,0,0]
	s_delay_alu instid0(VALU_DEP_1) | instskip(SKIP_1) | instid1(VALU_DEP_1)
	v_mov_b32_e32 v75, v69
	v_pk_mul_f32 v[68:69], v[70:71], v[54:55] op_sel:[0,1]
	v_pk_fma_f32 v[72:73], v[70:71], v[52:53], v[68:69] op_sel:[0,0,1] op_sel_hi:[1,1,0] neg_lo:[0,0,1] neg_hi:[0,0,1]
	v_pk_fma_f32 v[68:69], v[70:71], v[52:53], v[68:69] op_sel:[0,0,1] op_sel_hi:[1,0,0]
	s_delay_alu instid0(VALU_DEP_1)
	v_mov_b32_e32 v73, v69
	ds_load_2addr_b64 v[68:71], v222 offset0:55 offset1:56
	v_pk_add_f32 v[232:233], v[232:233], v[74:75] neg_lo:[0,1] neg_hi:[0,1]
	v_pk_add_f32 v[238:239], v[238:239], v[72:73] neg_lo:[0,1] neg_hi:[0,1]
	s_wait_dscnt 0x0
	v_pk_mul_f32 v[72:73], v[68:69], v[54:55] op_sel:[0,1]
	s_delay_alu instid0(VALU_DEP_1) | instskip(SKIP_1) | instid1(VALU_DEP_1)
	v_pk_fma_f32 v[74:75], v[68:69], v[52:53], v[72:73] op_sel:[0,0,1] op_sel_hi:[1,1,0] neg_lo:[0,0,1] neg_hi:[0,0,1]
	v_pk_fma_f32 v[68:69], v[68:69], v[52:53], v[72:73] op_sel:[0,0,1] op_sel_hi:[1,0,0]
	v_mov_b32_e32 v75, v69
	v_pk_mul_f32 v[68:69], v[70:71], v[54:55] op_sel:[0,1]
	s_delay_alu instid0(VALU_DEP_1) | instskip(SKIP_1) | instid1(VALU_DEP_1)
	v_pk_fma_f32 v[72:73], v[70:71], v[52:53], v[68:69] op_sel:[0,0,1] op_sel_hi:[1,1,0] neg_lo:[0,0,1] neg_hi:[0,0,1]
	v_pk_fma_f32 v[68:69], v[70:71], v[52:53], v[68:69] op_sel:[0,0,1] op_sel_hi:[1,0,0]
	v_mov_b32_e32 v73, v69
	ds_load_2addr_b64 v[68:71], v222 offset0:57 offset1:58
	v_pk_add_f32 v[230:231], v[230:231], v[74:75] neg_lo:[0,1] neg_hi:[0,1]
	v_pk_add_f32 v[236:237], v[236:237], v[72:73] neg_lo:[0,1] neg_hi:[0,1]
	s_wait_dscnt 0x0
	v_dual_mul_f32 v72, v69, v55 :: v_dual_mul_f32 v74, v69, v52
	s_delay_alu instid0(VALU_DEP_1) | instskip(NEXT) | instid1(VALU_DEP_2)
	v_pk_fma_f32 v[72:73], v[68:69], v[80:81], v[72:73] op_sel_hi:[1,1,0] neg_lo:[0,0,1] neg_hi:[0,0,1]
	v_pk_fma_f32 v[68:69], v[68:69], v[80:81], v[74:75] op_sel:[1,0,0] op_sel_hi:[0,1,0]
	s_delay_alu instid0(VALU_DEP_1) | instskip(SKIP_1) | instid1(VALU_DEP_2)
	v_mov_b32_e32 v73, v69
	v_pk_mul_f32 v[68:69], v[70:71], v[54:55] op_sel:[0,1]
	v_pk_add_f32 v[228:229], v[228:229], v[72:73] neg_lo:[0,1] neg_hi:[0,1]
	s_delay_alu instid0(VALU_DEP_2) | instskip(SKIP_1) | instid1(VALU_DEP_1)
	v_pk_fma_f32 v[72:73], v[70:71], v[52:53], v[68:69] op_sel:[0,0,1] op_sel_hi:[1,1,0] neg_lo:[0,0,1] neg_hi:[0,0,1]
	v_pk_fma_f32 v[68:69], v[70:71], v[52:53], v[68:69] op_sel:[0,0,1] op_sel_hi:[1,0,0]
	v_mov_b32_e32 v73, v69
	ds_load_2addr_b64 v[68:71], v222 offset0:59 offset1:60
	v_pk_add_f32 v[234:235], v[234:235], v[72:73] neg_lo:[0,1] neg_hi:[0,1]
	s_wait_dscnt 0x0
	v_pk_mul_f32 v[72:73], v[68:69], v[54:55] op_sel:[0,1]
	v_mul_f32_e32 v54, v71, v55
	s_delay_alu instid0(VALU_DEP_2) | instskip(SKIP_2) | instid1(VALU_DEP_4)
	v_pk_fma_f32 v[74:75], v[68:69], v[52:53], v[72:73] op_sel:[0,0,1] op_sel_hi:[1,1,0] neg_lo:[0,0,1] neg_hi:[0,0,1]
	v_pk_fma_f32 v[68:69], v[68:69], v[52:53], v[72:73] op_sel:[0,0,1] op_sel_hi:[1,0,0]
	v_dual_mov_b32 v68, v71 :: v_dual_mul_f32 v52, v71, v52
	v_pk_fma_f32 v[54:55], v[70:71], v[80:81], v[54:55] op_sel_hi:[1,1,0] neg_lo:[0,0,1] neg_hi:[0,0,1]
	s_delay_alu instid0(VALU_DEP_3) | instskip(NEXT) | instid1(VALU_DEP_1)
	v_dual_mov_b32 v75, v69 :: v_dual_mov_b32 v69, v70
	v_pk_add_f32 v[242:243], v[242:243], v[74:75] neg_lo:[0,1] neg_hi:[0,1]
	s_delay_alu instid0(VALU_DEP_2) | instskip(NEXT) | instid1(VALU_DEP_1)
	v_pk_fma_f32 v[52:53], v[68:69], v[80:81], v[52:53] op_sel_hi:[1,1,0]
	v_mov_b32_e32 v55, v53
	s_delay_alu instid0(VALU_DEP_1)
	v_pk_add_f32 v[244:245], v[244:245], v[54:55] neg_lo:[0,1] neg_hi:[0,1]
.LBB121_172:
	s_or_b32 exec_lo, exec_lo, s1
	s_delay_alu instid0(SALU_CYCLE_1)
	s_mov_b32 s2, exec_lo
	s_wait_dscnt 0x0
	s_barrier_signal -1
	s_barrier_wait -1
	v_cmpx_eq_u32_e32 19, v220
	s_cbranch_execz .LBB121_179
; %bb.173:
	v_dual_mov_b32 v52, v98 :: v_dual_mov_b32 v53, v99
	v_dual_mov_b32 v54, v94 :: v_dual_mov_b32 v55, v95
	ds_store_b64 v221, v[76:77]
	ds_store_2addr_b64 v222, v[52:53], v[54:55] offset0:20 offset1:21
	v_dual_mov_b32 v52, v96 :: v_dual_mov_b32 v53, v97
	v_dual_mov_b32 v54, v92 :: v_dual_mov_b32 v55, v93
	ds_store_2addr_b64 v222, v[52:53], v[54:55] offset0:22 offset1:23
	v_dual_mov_b32 v52, v114 :: v_dual_mov_b32 v53, v115
	v_dual_mov_b32 v54, v110 :: v_dual_mov_b32 v55, v111
	;; [unrolled: 3-line block ×19, first 2 shown]
	ds_store_2addr_b64 v222, v[52:53], v[54:55] offset0:58 offset1:59
	ds_store_b64 v222, v[244:245] offset:480
	ds_load_b64 v[52:53], v221
	s_wait_dscnt 0x0
	v_cmp_neq_f32_e32 vcc_lo, 0, v52
	v_cmp_neq_f32_e64 s1, 0, v53
	s_or_b32 s1, vcc_lo, s1
	s_delay_alu instid0(SALU_CYCLE_1)
	s_and_b32 exec_lo, exec_lo, s1
	s_cbranch_execz .LBB121_179
; %bb.174:
	v_cmp_ngt_f32_e64 s1, |v52|, |v53|
                                        ; implicit-def: $vgpr54_vgpr55
	s_and_saveexec_b32 s4, s1
	s_delay_alu instid0(SALU_CYCLE_1)
	s_xor_b32 s1, exec_lo, s4
	s_cbranch_execz .LBB121_176
; %bb.175:
	v_div_scale_f32 v54, null, v53, v53, v52
	v_div_scale_f32 v69, vcc_lo, v52, v53, v52
	s_delay_alu instid0(VALU_DEP_2) | instskip(SKIP_1) | instid1(TRANS32_DEP_1)
	v_rcp_f32_e32 v55, v54
	v_nop
	v_fma_f32 v68, -v54, v55, 1.0
	s_delay_alu instid0(VALU_DEP_1) | instskip(NEXT) | instid1(VALU_DEP_1)
	v_fmac_f32_e32 v55, v68, v55
	v_mul_f32_e32 v68, v69, v55
	s_delay_alu instid0(VALU_DEP_1) | instskip(NEXT) | instid1(VALU_DEP_1)
	v_fma_f32 v70, -v54, v68, v69
	v_fmac_f32_e32 v68, v70, v55
	s_delay_alu instid0(VALU_DEP_1) | instskip(NEXT) | instid1(VALU_DEP_1)
	v_fma_f32 v54, -v54, v68, v69
	v_div_fmas_f32 v54, v54, v55, v68
	s_delay_alu instid0(VALU_DEP_1) | instskip(NEXT) | instid1(VALU_DEP_1)
	v_div_fixup_f32 v54, v54, v53, v52
	v_fmac_f32_e32 v53, v52, v54
	s_delay_alu instid0(VALU_DEP_1) | instskip(SKIP_1) | instid1(VALU_DEP_2)
	v_div_scale_f32 v52, null, v53, v53, 1.0
	v_div_scale_f32 v69, vcc_lo, 1.0, v53, 1.0
	v_rcp_f32_e32 v55, v52
	v_nop
	s_delay_alu instid0(TRANS32_DEP_1) | instskip(NEXT) | instid1(VALU_DEP_1)
	v_fma_f32 v68, -v52, v55, 1.0
	v_fmac_f32_e32 v55, v68, v55
	s_delay_alu instid0(VALU_DEP_1) | instskip(NEXT) | instid1(VALU_DEP_1)
	v_mul_f32_e32 v68, v69, v55
	v_fma_f32 v70, -v52, v68, v69
	s_delay_alu instid0(VALU_DEP_1) | instskip(NEXT) | instid1(VALU_DEP_1)
	v_fmac_f32_e32 v68, v70, v55
	v_fma_f32 v52, -v52, v68, v69
	s_delay_alu instid0(VALU_DEP_1) | instskip(NEXT) | instid1(VALU_DEP_1)
	v_div_fmas_f32 v52, v52, v55, v68
	v_div_fixup_f32 v52, v52, v53, 1.0
	s_delay_alu instid0(VALU_DEP_1)
	v_mul_f32_e32 v54, v54, v52
	v_xor_b32_e32 v55, 0x80000000, v52
                                        ; implicit-def: $vgpr52_vgpr53
.LBB121_176:
	s_and_not1_saveexec_b32 s1, s1
	s_cbranch_execz .LBB121_178
; %bb.177:
	v_div_scale_f32 v54, null, v52, v52, v53
	v_div_scale_f32 v69, vcc_lo, v53, v52, v53
	s_delay_alu instid0(VALU_DEP_2) | instskip(SKIP_1) | instid1(TRANS32_DEP_1)
	v_rcp_f32_e32 v55, v54
	v_nop
	v_fma_f32 v68, -v54, v55, 1.0
	s_delay_alu instid0(VALU_DEP_1) | instskip(NEXT) | instid1(VALU_DEP_1)
	v_fmac_f32_e32 v55, v68, v55
	v_mul_f32_e32 v68, v69, v55
	s_delay_alu instid0(VALU_DEP_1) | instskip(NEXT) | instid1(VALU_DEP_1)
	v_fma_f32 v70, -v54, v68, v69
	v_fmac_f32_e32 v68, v70, v55
	s_delay_alu instid0(VALU_DEP_1) | instskip(NEXT) | instid1(VALU_DEP_1)
	v_fma_f32 v54, -v54, v68, v69
	v_div_fmas_f32 v54, v54, v55, v68
	s_delay_alu instid0(VALU_DEP_1) | instskip(NEXT) | instid1(VALU_DEP_1)
	v_div_fixup_f32 v55, v54, v52, v53
	v_fmac_f32_e32 v52, v53, v55
	s_delay_alu instid0(VALU_DEP_1) | instskip(NEXT) | instid1(VALU_DEP_1)
	v_div_scale_f32 v53, null, v52, v52, 1.0
	v_rcp_f32_e32 v54, v53
	v_nop
	s_delay_alu instid0(TRANS32_DEP_1) | instskip(NEXT) | instid1(VALU_DEP_1)
	v_fma_f32 v68, -v53, v54, 1.0
	v_fmac_f32_e32 v54, v68, v54
	v_div_scale_f32 v68, vcc_lo, 1.0, v52, 1.0
	s_delay_alu instid0(VALU_DEP_1) | instskip(NEXT) | instid1(VALU_DEP_1)
	v_mul_f32_e32 v69, v68, v54
	v_fma_f32 v70, -v53, v69, v68
	s_delay_alu instid0(VALU_DEP_1) | instskip(NEXT) | instid1(VALU_DEP_1)
	v_fmac_f32_e32 v69, v70, v54
	v_fma_f32 v53, -v53, v69, v68
	s_delay_alu instid0(VALU_DEP_1) | instskip(NEXT) | instid1(VALU_DEP_1)
	v_div_fmas_f32 v53, v53, v54, v69
	v_div_fixup_f32 v54, v53, v52, 1.0
	s_delay_alu instid0(VALU_DEP_1)
	v_mul_f32_e64 v55, v55, -v54
.LBB121_178:
	s_or_b32 exec_lo, exec_lo, s1
	ds_store_b64 v221, v[54:55]
.LBB121_179:
	s_or_b32 exec_lo, exec_lo, s2
	s_wait_dscnt 0x0
	s_barrier_signal -1
	s_barrier_wait -1
	ds_load_b64 v[52:53], v221
	s_mov_b32 s1, exec_lo
	v_cmpx_lt_u32_e32 19, v220
	s_cbranch_execz .LBB121_181
; %bb.180:
	ds_load_2addr_b64 v[70:73], v222 offset0:20 offset1:21
	s_wait_dscnt 0x1
	v_pk_mul_f32 v[68:69], v[52:53], v[76:77] op_sel:[1,1] op_sel_hi:[0,1]
	s_delay_alu instid0(VALU_DEP_1) | instskip(SKIP_1) | instid1(VALU_DEP_1)
	v_pk_fma_f32 v[54:55], v[52:53], v[76:77], v[68:69] op_sel_hi:[1,0,1] neg_lo:[0,0,1] neg_hi:[0,0,1]
	v_pk_fma_f32 v[68:69], v[52:53], v[76:77], v[68:69] op_sel_hi:[1,0,1]
	v_dual_mov_b32 v76, v54 :: v_dual_mov_b32 v77, v69
	s_wait_dscnt 0x0
	s_delay_alu instid0(VALU_DEP_2) | instskip(NEXT) | instid1(VALU_DEP_1)
	v_pk_mul_f32 v[74:75], v[70:71], v[68:69] op_sel:[0,1]
	v_pk_fma_f32 v[84:85], v[70:71], v[54:55], v[74:75] op_sel:[0,0,1] op_sel_hi:[1,1,0] neg_lo:[0,0,1] neg_hi:[0,0,1]
	v_pk_fma_f32 v[70:71], v[70:71], v[54:55], v[74:75] op_sel:[0,0,1] op_sel_hi:[1,0,0]
	s_delay_alu instid0(VALU_DEP_1) | instskip(SKIP_1) | instid1(VALU_DEP_1)
	v_mov_b32_e32 v85, v71
	v_pk_mul_f32 v[70:71], v[72:73], v[68:69] op_sel:[0,1]
	v_pk_fma_f32 v[74:75], v[72:73], v[54:55], v[70:71] op_sel:[0,0,1] op_sel_hi:[1,1,0] neg_lo:[0,0,1] neg_hi:[0,0,1]
	v_pk_fma_f32 v[70:71], v[72:73], v[54:55], v[70:71] op_sel:[0,0,1] op_sel_hi:[1,0,0]
	s_delay_alu instid0(VALU_DEP_1)
	v_mov_b32_e32 v75, v71
	ds_load_2addr_b64 v[70:73], v222 offset0:22 offset1:23
	v_pk_add_f32 v[98:99], v[98:99], v[84:85] neg_lo:[0,1] neg_hi:[0,1]
	v_pk_add_f32 v[94:95], v[94:95], v[74:75] neg_lo:[0,1] neg_hi:[0,1]
	s_wait_dscnt 0x0
	v_pk_mul_f32 v[74:75], v[70:71], v[68:69] op_sel:[0,1]
	s_delay_alu instid0(VALU_DEP_1) | instskip(SKIP_2) | instid1(VALU_DEP_2)
	v_pk_fma_f32 v[84:85], v[70:71], v[54:55], v[74:75] op_sel:[0,0,1] op_sel_hi:[1,1,0] neg_lo:[0,0,1] neg_hi:[0,0,1]
	v_pk_fma_f32 v[70:71], v[70:71], v[54:55], v[74:75] op_sel:[0,0,1] op_sel_hi:[1,0,0]
	v_dual_mul_f32 v74, v73, v69 :: v_dual_mov_b32 v70, v73
	v_dual_mov_b32 v85, v71 :: v_dual_mov_b32 v71, v72
	s_delay_alu instid0(VALU_DEP_2) | instskip(SKIP_1) | instid1(VALU_DEP_3)
	v_pk_fma_f32 v[74:75], v[72:73], v[76:77], v[74:75] op_sel_hi:[1,1,0] neg_lo:[0,0,1] neg_hi:[0,0,1]
	v_mul_f32_e32 v72, v73, v54
	v_pk_add_f32 v[96:97], v[96:97], v[84:85] neg_lo:[0,1] neg_hi:[0,1]
	s_delay_alu instid0(VALU_DEP_2) | instskip(NEXT) | instid1(VALU_DEP_1)
	v_pk_fma_f32 v[70:71], v[70:71], v[76:77], v[72:73] op_sel_hi:[1,1,0]
	v_mov_b32_e32 v75, v71
	ds_load_2addr_b64 v[70:73], v222 offset0:24 offset1:25
	v_pk_add_f32 v[92:93], v[92:93], v[74:75] neg_lo:[0,1] neg_hi:[0,1]
	s_wait_dscnt 0x0
	v_pk_mul_f32 v[74:75], v[70:71], v[68:69] op_sel:[0,1]
	s_delay_alu instid0(VALU_DEP_1) | instskip(SKIP_1) | instid1(VALU_DEP_1)
	v_pk_fma_f32 v[84:85], v[70:71], v[54:55], v[74:75] op_sel:[0,0,1] op_sel_hi:[1,1,0] neg_lo:[0,0,1] neg_hi:[0,0,1]
	v_pk_fma_f32 v[70:71], v[70:71], v[54:55], v[74:75] op_sel:[0,0,1] op_sel_hi:[1,0,0]
	v_mov_b32_e32 v85, v71
	v_pk_mul_f32 v[70:71], v[72:73], v[68:69] op_sel:[0,1]
	s_delay_alu instid0(VALU_DEP_1) | instskip(SKIP_1) | instid1(VALU_DEP_1)
	v_pk_fma_f32 v[74:75], v[72:73], v[54:55], v[70:71] op_sel:[0,0,1] op_sel_hi:[1,1,0] neg_lo:[0,0,1] neg_hi:[0,0,1]
	v_pk_fma_f32 v[70:71], v[72:73], v[54:55], v[70:71] op_sel:[0,0,1] op_sel_hi:[1,0,0]
	v_mov_b32_e32 v75, v71
	ds_load_2addr_b64 v[70:73], v222 offset0:26 offset1:27
	v_pk_add_f32 v[114:115], v[114:115], v[84:85] neg_lo:[0,1] neg_hi:[0,1]
	v_pk_add_f32 v[110:111], v[110:111], v[74:75] neg_lo:[0,1] neg_hi:[0,1]
	s_wait_dscnt 0x0
	v_pk_mul_f32 v[74:75], v[70:71], v[68:69] op_sel:[0,1]
	s_delay_alu instid0(VALU_DEP_1) | instskip(SKIP_1) | instid1(VALU_DEP_1)
	v_pk_fma_f32 v[84:85], v[70:71], v[54:55], v[74:75] op_sel:[0,0,1] op_sel_hi:[1,1,0] neg_lo:[0,0,1] neg_hi:[0,0,1]
	v_pk_fma_f32 v[70:71], v[70:71], v[54:55], v[74:75] op_sel:[0,0,1] op_sel_hi:[1,0,0]
	v_mov_b32_e32 v85, v71
	v_pk_mul_f32 v[70:71], v[72:73], v[68:69] op_sel:[0,1]
	s_delay_alu instid0(VALU_DEP_1) | instskip(SKIP_1) | instid1(VALU_DEP_1)
	v_pk_fma_f32 v[74:75], v[72:73], v[54:55], v[70:71] op_sel:[0,0,1] op_sel_hi:[1,1,0] neg_lo:[0,0,1] neg_hi:[0,0,1]
	v_pk_fma_f32 v[70:71], v[72:73], v[54:55], v[70:71] op_sel:[0,0,1] op_sel_hi:[1,0,0]
	v_mov_b32_e32 v75, v71
	ds_load_2addr_b64 v[70:73], v222 offset0:28 offset1:29
	v_pk_add_f32 v[112:113], v[112:113], v[84:85] neg_lo:[0,1] neg_hi:[0,1]
	v_pk_add_f32 v[108:109], v[108:109], v[74:75] neg_lo:[0,1] neg_hi:[0,1]
	s_wait_dscnt 0x0
	v_dual_mul_f32 v74, v71, v69 :: v_dual_mul_f32 v84, v71, v54
	s_delay_alu instid0(VALU_DEP_1) | instskip(NEXT) | instid1(VALU_DEP_2)
	v_pk_fma_f32 v[74:75], v[70:71], v[76:77], v[74:75] op_sel_hi:[1,1,0] neg_lo:[0,0,1] neg_hi:[0,0,1]
	v_pk_fma_f32 v[70:71], v[70:71], v[76:77], v[84:85] op_sel:[1,0,0] op_sel_hi:[0,1,0]
	s_delay_alu instid0(VALU_DEP_1) | instskip(SKIP_1) | instid1(VALU_DEP_2)
	v_mov_b32_e32 v75, v71
	v_pk_mul_f32 v[70:71], v[72:73], v[68:69] op_sel:[0,1]
	v_pk_add_f32 v[130:131], v[130:131], v[74:75] neg_lo:[0,1] neg_hi:[0,1]
	s_delay_alu instid0(VALU_DEP_2) | instskip(SKIP_1) | instid1(VALU_DEP_1)
	v_pk_fma_f32 v[74:75], v[72:73], v[54:55], v[70:71] op_sel:[0,0,1] op_sel_hi:[1,1,0] neg_lo:[0,0,1] neg_hi:[0,0,1]
	v_pk_fma_f32 v[70:71], v[72:73], v[54:55], v[70:71] op_sel:[0,0,1] op_sel_hi:[1,0,0]
	v_mov_b32_e32 v75, v71
	ds_load_2addr_b64 v[70:73], v222 offset0:30 offset1:31
	v_pk_add_f32 v[126:127], v[126:127], v[74:75] neg_lo:[0,1] neg_hi:[0,1]
	s_wait_dscnt 0x0
	v_pk_mul_f32 v[74:75], v[70:71], v[68:69] op_sel:[0,1]
	s_delay_alu instid0(VALU_DEP_1) | instskip(SKIP_1) | instid1(VALU_DEP_1)
	v_pk_fma_f32 v[84:85], v[70:71], v[54:55], v[74:75] op_sel:[0,0,1] op_sel_hi:[1,1,0] neg_lo:[0,0,1] neg_hi:[0,0,1]
	v_pk_fma_f32 v[70:71], v[70:71], v[54:55], v[74:75] op_sel:[0,0,1] op_sel_hi:[1,0,0]
	v_mov_b32_e32 v85, v71
	v_pk_mul_f32 v[70:71], v[72:73], v[68:69] op_sel:[0,1]
	s_delay_alu instid0(VALU_DEP_2) | instskip(NEXT) | instid1(VALU_DEP_2)
	v_pk_add_f32 v[128:129], v[128:129], v[84:85] neg_lo:[0,1] neg_hi:[0,1]
	v_pk_fma_f32 v[74:75], v[72:73], v[54:55], v[70:71] op_sel:[0,0,1] op_sel_hi:[1,1,0] neg_lo:[0,0,1] neg_hi:[0,0,1]
	v_pk_fma_f32 v[70:71], v[72:73], v[54:55], v[70:71] op_sel:[0,0,1] op_sel_hi:[1,0,0]
	s_delay_alu instid0(VALU_DEP_1) | instskip(SKIP_4) | instid1(VALU_DEP_1)
	v_mov_b32_e32 v75, v71
	ds_load_2addr_b64 v[70:73], v222 offset0:32 offset1:33
	v_pk_add_f32 v[124:125], v[124:125], v[74:75] neg_lo:[0,1] neg_hi:[0,1]
	s_wait_dscnt 0x0
	v_pk_mul_f32 v[74:75], v[70:71], v[68:69] op_sel:[0,1]
	v_pk_fma_f32 v[84:85], v[70:71], v[54:55], v[74:75] op_sel:[0,0,1] op_sel_hi:[1,1,0] neg_lo:[0,0,1] neg_hi:[0,0,1]
	v_pk_fma_f32 v[70:71], v[70:71], v[54:55], v[74:75] op_sel:[0,0,1] op_sel_hi:[1,0,0]
	v_dual_mul_f32 v74, v73, v69 :: v_dual_mov_b32 v70, v73
	s_delay_alu instid0(VALU_DEP_2) | instskip(NEXT) | instid1(VALU_DEP_2)
	v_dual_mov_b32 v85, v71 :: v_dual_mov_b32 v71, v72
	v_pk_fma_f32 v[74:75], v[72:73], v[76:77], v[74:75] op_sel_hi:[1,1,0] neg_lo:[0,0,1] neg_hi:[0,0,1]
	v_mul_f32_e32 v72, v73, v54
	s_delay_alu instid0(VALU_DEP_3) | instskip(NEXT) | instid1(VALU_DEP_2)
	v_pk_add_f32 v[146:147], v[146:147], v[84:85] neg_lo:[0,1] neg_hi:[0,1]
	v_pk_fma_f32 v[70:71], v[70:71], v[76:77], v[72:73] op_sel_hi:[1,1,0]
	s_delay_alu instid0(VALU_DEP_1) | instskip(SKIP_4) | instid1(VALU_DEP_1)
	v_mov_b32_e32 v75, v71
	ds_load_2addr_b64 v[70:73], v222 offset0:34 offset1:35
	v_pk_add_f32 v[142:143], v[142:143], v[74:75] neg_lo:[0,1] neg_hi:[0,1]
	s_wait_dscnt 0x0
	v_pk_mul_f32 v[74:75], v[70:71], v[68:69] op_sel:[0,1]
	v_pk_fma_f32 v[84:85], v[70:71], v[54:55], v[74:75] op_sel:[0,0,1] op_sel_hi:[1,1,0] neg_lo:[0,0,1] neg_hi:[0,0,1]
	v_pk_fma_f32 v[70:71], v[70:71], v[54:55], v[74:75] op_sel:[0,0,1] op_sel_hi:[1,0,0]
	s_delay_alu instid0(VALU_DEP_1) | instskip(SKIP_1) | instid1(VALU_DEP_1)
	v_mov_b32_e32 v85, v71
	v_pk_mul_f32 v[70:71], v[72:73], v[68:69] op_sel:[0,1]
	v_pk_fma_f32 v[74:75], v[72:73], v[54:55], v[70:71] op_sel:[0,0,1] op_sel_hi:[1,1,0] neg_lo:[0,0,1] neg_hi:[0,0,1]
	v_pk_fma_f32 v[70:71], v[72:73], v[54:55], v[70:71] op_sel:[0,0,1] op_sel_hi:[1,0,0]
	s_delay_alu instid0(VALU_DEP_1)
	v_mov_b32_e32 v75, v71
	ds_load_2addr_b64 v[70:73], v222 offset0:36 offset1:37
	v_pk_add_f32 v[144:145], v[144:145], v[84:85] neg_lo:[0,1] neg_hi:[0,1]
	v_pk_add_f32 v[140:141], v[140:141], v[74:75] neg_lo:[0,1] neg_hi:[0,1]
	s_wait_dscnt 0x0
	v_pk_mul_f32 v[74:75], v[70:71], v[68:69] op_sel:[0,1]
	s_delay_alu instid0(VALU_DEP_1) | instskip(SKIP_1) | instid1(VALU_DEP_1)
	v_pk_fma_f32 v[84:85], v[70:71], v[54:55], v[74:75] op_sel:[0,0,1] op_sel_hi:[1,1,0] neg_lo:[0,0,1] neg_hi:[0,0,1]
	v_pk_fma_f32 v[70:71], v[70:71], v[54:55], v[74:75] op_sel:[0,0,1] op_sel_hi:[1,0,0]
	v_mov_b32_e32 v85, v71
	v_pk_mul_f32 v[70:71], v[72:73], v[68:69] op_sel:[0,1]
	s_delay_alu instid0(VALU_DEP_1) | instskip(SKIP_1) | instid1(VALU_DEP_1)
	v_pk_fma_f32 v[74:75], v[72:73], v[54:55], v[70:71] op_sel:[0,0,1] op_sel_hi:[1,1,0] neg_lo:[0,0,1] neg_hi:[0,0,1]
	v_pk_fma_f32 v[70:71], v[72:73], v[54:55], v[70:71] op_sel:[0,0,1] op_sel_hi:[1,0,0]
	v_mov_b32_e32 v75, v71
	ds_load_2addr_b64 v[70:73], v222 offset0:38 offset1:39
	v_pk_add_f32 v[162:163], v[162:163], v[84:85] neg_lo:[0,1] neg_hi:[0,1]
	v_pk_add_f32 v[158:159], v[158:159], v[74:75] neg_lo:[0,1] neg_hi:[0,1]
	s_wait_dscnt 0x0
	v_dual_mul_f32 v74, v71, v69 :: v_dual_mul_f32 v84, v71, v54
	s_delay_alu instid0(VALU_DEP_1) | instskip(NEXT) | instid1(VALU_DEP_2)
	v_pk_fma_f32 v[74:75], v[70:71], v[76:77], v[74:75] op_sel_hi:[1,1,0] neg_lo:[0,0,1] neg_hi:[0,0,1]
	v_pk_fma_f32 v[70:71], v[70:71], v[76:77], v[84:85] op_sel:[1,0,0] op_sel_hi:[0,1,0]
	s_delay_alu instid0(VALU_DEP_1) | instskip(SKIP_1) | instid1(VALU_DEP_2)
	v_mov_b32_e32 v75, v71
	v_pk_mul_f32 v[70:71], v[72:73], v[68:69] op_sel:[0,1]
	v_pk_add_f32 v[160:161], v[160:161], v[74:75] neg_lo:[0,1] neg_hi:[0,1]
	s_delay_alu instid0(VALU_DEP_2) | instskip(SKIP_1) | instid1(VALU_DEP_1)
	v_pk_fma_f32 v[74:75], v[72:73], v[54:55], v[70:71] op_sel:[0,0,1] op_sel_hi:[1,1,0] neg_lo:[0,0,1] neg_hi:[0,0,1]
	v_pk_fma_f32 v[70:71], v[72:73], v[54:55], v[70:71] op_sel:[0,0,1] op_sel_hi:[1,0,0]
	v_mov_b32_e32 v75, v71
	ds_load_2addr_b64 v[70:73], v222 offset0:40 offset1:41
	v_pk_add_f32 v[156:157], v[156:157], v[74:75] neg_lo:[0,1] neg_hi:[0,1]
	s_wait_dscnt 0x0
	v_pk_mul_f32 v[74:75], v[70:71], v[68:69] op_sel:[0,1]
	s_delay_alu instid0(VALU_DEP_1) | instskip(SKIP_1) | instid1(VALU_DEP_1)
	v_pk_fma_f32 v[84:85], v[70:71], v[54:55], v[74:75] op_sel:[0,0,1] op_sel_hi:[1,1,0] neg_lo:[0,0,1] neg_hi:[0,0,1]
	v_pk_fma_f32 v[70:71], v[70:71], v[54:55], v[74:75] op_sel:[0,0,1] op_sel_hi:[1,0,0]
	v_mov_b32_e32 v85, v71
	v_pk_mul_f32 v[70:71], v[72:73], v[68:69] op_sel:[0,1]
	s_delay_alu instid0(VALU_DEP_2) | instskip(NEXT) | instid1(VALU_DEP_2)
	v_pk_add_f32 v[178:179], v[178:179], v[84:85] neg_lo:[0,1] neg_hi:[0,1]
	v_pk_fma_f32 v[74:75], v[72:73], v[54:55], v[70:71] op_sel:[0,0,1] op_sel_hi:[1,1,0] neg_lo:[0,0,1] neg_hi:[0,0,1]
	v_pk_fma_f32 v[70:71], v[72:73], v[54:55], v[70:71] op_sel:[0,0,1] op_sel_hi:[1,0,0]
	s_delay_alu instid0(VALU_DEP_1) | instskip(SKIP_4) | instid1(VALU_DEP_1)
	v_mov_b32_e32 v75, v71
	ds_load_2addr_b64 v[70:73], v222 offset0:42 offset1:43
	v_pk_add_f32 v[174:175], v[174:175], v[74:75] neg_lo:[0,1] neg_hi:[0,1]
	s_wait_dscnt 0x0
	v_pk_mul_f32 v[74:75], v[70:71], v[68:69] op_sel:[0,1]
	v_pk_fma_f32 v[84:85], v[70:71], v[54:55], v[74:75] op_sel:[0,0,1] op_sel_hi:[1,1,0] neg_lo:[0,0,1] neg_hi:[0,0,1]
	v_pk_fma_f32 v[70:71], v[70:71], v[54:55], v[74:75] op_sel:[0,0,1] op_sel_hi:[1,0,0]
	v_dual_mul_f32 v74, v73, v69 :: v_dual_mov_b32 v70, v73
	s_delay_alu instid0(VALU_DEP_2) | instskip(NEXT) | instid1(VALU_DEP_2)
	v_dual_mov_b32 v85, v71 :: v_dual_mov_b32 v71, v72
	v_pk_fma_f32 v[74:75], v[72:73], v[76:77], v[74:75] op_sel_hi:[1,1,0] neg_lo:[0,0,1] neg_hi:[0,0,1]
	v_mul_f32_e32 v72, v73, v54
	s_delay_alu instid0(VALU_DEP_3) | instskip(NEXT) | instid1(VALU_DEP_2)
	v_pk_add_f32 v[176:177], v[176:177], v[84:85] neg_lo:[0,1] neg_hi:[0,1]
	v_pk_fma_f32 v[70:71], v[70:71], v[76:77], v[72:73] op_sel_hi:[1,1,0]
	s_delay_alu instid0(VALU_DEP_1) | instskip(SKIP_4) | instid1(VALU_DEP_1)
	v_mov_b32_e32 v75, v71
	ds_load_2addr_b64 v[70:73], v222 offset0:44 offset1:45
	v_pk_add_f32 v[172:173], v[172:173], v[74:75] neg_lo:[0,1] neg_hi:[0,1]
	s_wait_dscnt 0x0
	v_pk_mul_f32 v[74:75], v[70:71], v[68:69] op_sel:[0,1]
	v_pk_fma_f32 v[84:85], v[70:71], v[54:55], v[74:75] op_sel:[0,0,1] op_sel_hi:[1,1,0] neg_lo:[0,0,1] neg_hi:[0,0,1]
	v_pk_fma_f32 v[70:71], v[70:71], v[54:55], v[74:75] op_sel:[0,0,1] op_sel_hi:[1,0,0]
	s_delay_alu instid0(VALU_DEP_1) | instskip(SKIP_1) | instid1(VALU_DEP_1)
	v_mov_b32_e32 v85, v71
	v_pk_mul_f32 v[70:71], v[72:73], v[68:69] op_sel:[0,1]
	v_pk_fma_f32 v[74:75], v[72:73], v[54:55], v[70:71] op_sel:[0,0,1] op_sel_hi:[1,1,0] neg_lo:[0,0,1] neg_hi:[0,0,1]
	v_pk_fma_f32 v[70:71], v[72:73], v[54:55], v[70:71] op_sel:[0,0,1] op_sel_hi:[1,0,0]
	s_delay_alu instid0(VALU_DEP_1)
	v_mov_b32_e32 v75, v71
	ds_load_2addr_b64 v[70:73], v222 offset0:46 offset1:47
	v_pk_add_f32 v[194:195], v[194:195], v[84:85] neg_lo:[0,1] neg_hi:[0,1]
	v_pk_add_f32 v[190:191], v[190:191], v[74:75] neg_lo:[0,1] neg_hi:[0,1]
	s_wait_dscnt 0x0
	v_pk_mul_f32 v[74:75], v[70:71], v[68:69] op_sel:[0,1]
	s_delay_alu instid0(VALU_DEP_1) | instskip(SKIP_1) | instid1(VALU_DEP_1)
	v_pk_fma_f32 v[84:85], v[70:71], v[54:55], v[74:75] op_sel:[0,0,1] op_sel_hi:[1,1,0] neg_lo:[0,0,1] neg_hi:[0,0,1]
	v_pk_fma_f32 v[70:71], v[70:71], v[54:55], v[74:75] op_sel:[0,0,1] op_sel_hi:[1,0,0]
	v_mov_b32_e32 v85, v71
	v_pk_mul_f32 v[70:71], v[72:73], v[68:69] op_sel:[0,1]
	s_delay_alu instid0(VALU_DEP_1) | instskip(SKIP_1) | instid1(VALU_DEP_1)
	v_pk_fma_f32 v[74:75], v[72:73], v[54:55], v[70:71] op_sel:[0,0,1] op_sel_hi:[1,1,0] neg_lo:[0,0,1] neg_hi:[0,0,1]
	v_pk_fma_f32 v[70:71], v[72:73], v[54:55], v[70:71] op_sel:[0,0,1] op_sel_hi:[1,0,0]
	v_mov_b32_e32 v75, v71
	ds_load_2addr_b64 v[70:73], v222 offset0:48 offset1:49
	v_pk_add_f32 v[192:193], v[192:193], v[84:85] neg_lo:[0,1] neg_hi:[0,1]
	v_pk_add_f32 v[188:189], v[188:189], v[74:75] neg_lo:[0,1] neg_hi:[0,1]
	s_wait_dscnt 0x0
	v_dual_mul_f32 v74, v71, v69 :: v_dual_mul_f32 v84, v71, v54
	s_delay_alu instid0(VALU_DEP_1) | instskip(NEXT) | instid1(VALU_DEP_2)
	v_pk_fma_f32 v[74:75], v[70:71], v[76:77], v[74:75] op_sel_hi:[1,1,0] neg_lo:[0,0,1] neg_hi:[0,0,1]
	v_pk_fma_f32 v[70:71], v[70:71], v[76:77], v[84:85] op_sel:[1,0,0] op_sel_hi:[0,1,0]
	s_delay_alu instid0(VALU_DEP_1) | instskip(SKIP_1) | instid1(VALU_DEP_2)
	v_mov_b32_e32 v75, v71
	v_pk_mul_f32 v[70:71], v[72:73], v[68:69] op_sel:[0,1]
	v_pk_add_f32 v[216:217], v[216:217], v[74:75] neg_lo:[0,1] neg_hi:[0,1]
	s_delay_alu instid0(VALU_DEP_2) | instskip(SKIP_1) | instid1(VALU_DEP_1)
	v_pk_fma_f32 v[74:75], v[72:73], v[54:55], v[70:71] op_sel:[0,0,1] op_sel_hi:[1,1,0] neg_lo:[0,0,1] neg_hi:[0,0,1]
	v_pk_fma_f32 v[70:71], v[72:73], v[54:55], v[70:71] op_sel:[0,0,1] op_sel_hi:[1,0,0]
	v_mov_b32_e32 v75, v71
	ds_load_2addr_b64 v[70:73], v222 offset0:50 offset1:51
	v_pk_add_f32 v[212:213], v[212:213], v[74:75] neg_lo:[0,1] neg_hi:[0,1]
	s_wait_dscnt 0x0
	v_pk_mul_f32 v[74:75], v[70:71], v[68:69] op_sel:[0,1]
	s_delay_alu instid0(VALU_DEP_1) | instskip(SKIP_1) | instid1(VALU_DEP_1)
	v_pk_fma_f32 v[84:85], v[70:71], v[54:55], v[74:75] op_sel:[0,0,1] op_sel_hi:[1,1,0] neg_lo:[0,0,1] neg_hi:[0,0,1]
	v_pk_fma_f32 v[70:71], v[70:71], v[54:55], v[74:75] op_sel:[0,0,1] op_sel_hi:[1,0,0]
	v_mov_b32_e32 v85, v71
	v_pk_mul_f32 v[70:71], v[72:73], v[68:69] op_sel:[0,1]
	s_delay_alu instid0(VALU_DEP_2) | instskip(NEXT) | instid1(VALU_DEP_2)
	v_pk_add_f32 v[214:215], v[214:215], v[84:85] neg_lo:[0,1] neg_hi:[0,1]
	v_pk_fma_f32 v[74:75], v[72:73], v[54:55], v[70:71] op_sel:[0,0,1] op_sel_hi:[1,1,0] neg_lo:[0,0,1] neg_hi:[0,0,1]
	v_pk_fma_f32 v[70:71], v[72:73], v[54:55], v[70:71] op_sel:[0,0,1] op_sel_hi:[1,0,0]
	s_delay_alu instid0(VALU_DEP_1) | instskip(SKIP_4) | instid1(VALU_DEP_1)
	v_mov_b32_e32 v75, v71
	ds_load_2addr_b64 v[70:73], v222 offset0:52 offset1:53
	v_pk_add_f32 v[210:211], v[210:211], v[74:75] neg_lo:[0,1] neg_hi:[0,1]
	s_wait_dscnt 0x0
	v_pk_mul_f32 v[74:75], v[70:71], v[68:69] op_sel:[0,1]
	v_pk_fma_f32 v[84:85], v[70:71], v[54:55], v[74:75] op_sel:[0,0,1] op_sel_hi:[1,1,0] neg_lo:[0,0,1] neg_hi:[0,0,1]
	v_pk_fma_f32 v[70:71], v[70:71], v[54:55], v[74:75] op_sel:[0,0,1] op_sel_hi:[1,0,0]
	v_dual_mul_f32 v74, v73, v69 :: v_dual_mov_b32 v70, v73
	s_delay_alu instid0(VALU_DEP_2) | instskip(NEXT) | instid1(VALU_DEP_2)
	v_dual_mov_b32 v85, v71 :: v_dual_mov_b32 v71, v72
	v_pk_fma_f32 v[74:75], v[72:73], v[76:77], v[74:75] op_sel_hi:[1,1,0] neg_lo:[0,0,1] neg_hi:[0,0,1]
	v_mul_f32_e32 v72, v73, v54
	s_delay_alu instid0(VALU_DEP_3) | instskip(NEXT) | instid1(VALU_DEP_2)
	v_pk_add_f32 v[240:241], v[240:241], v[84:85] neg_lo:[0,1] neg_hi:[0,1]
	v_pk_fma_f32 v[70:71], v[70:71], v[76:77], v[72:73] op_sel_hi:[1,1,0]
	s_delay_alu instid0(VALU_DEP_1) | instskip(SKIP_4) | instid1(VALU_DEP_1)
	v_mov_b32_e32 v75, v71
	ds_load_2addr_b64 v[70:73], v222 offset0:54 offset1:55
	v_pk_add_f32 v[232:233], v[232:233], v[74:75] neg_lo:[0,1] neg_hi:[0,1]
	s_wait_dscnt 0x0
	v_pk_mul_f32 v[74:75], v[70:71], v[68:69] op_sel:[0,1]
	v_pk_fma_f32 v[84:85], v[70:71], v[54:55], v[74:75] op_sel:[0,0,1] op_sel_hi:[1,1,0] neg_lo:[0,0,1] neg_hi:[0,0,1]
	v_pk_fma_f32 v[70:71], v[70:71], v[54:55], v[74:75] op_sel:[0,0,1] op_sel_hi:[1,0,0]
	s_delay_alu instid0(VALU_DEP_1) | instskip(SKIP_1) | instid1(VALU_DEP_1)
	v_mov_b32_e32 v85, v71
	v_pk_mul_f32 v[70:71], v[72:73], v[68:69] op_sel:[0,1]
	v_pk_fma_f32 v[74:75], v[72:73], v[54:55], v[70:71] op_sel:[0,0,1] op_sel_hi:[1,1,0] neg_lo:[0,0,1] neg_hi:[0,0,1]
	v_pk_fma_f32 v[70:71], v[72:73], v[54:55], v[70:71] op_sel:[0,0,1] op_sel_hi:[1,0,0]
	s_delay_alu instid0(VALU_DEP_1)
	v_mov_b32_e32 v75, v71
	ds_load_2addr_b64 v[70:73], v222 offset0:56 offset1:57
	v_pk_add_f32 v[238:239], v[238:239], v[84:85] neg_lo:[0,1] neg_hi:[0,1]
	v_pk_add_f32 v[230:231], v[230:231], v[74:75] neg_lo:[0,1] neg_hi:[0,1]
	s_wait_dscnt 0x0
	v_pk_mul_f32 v[74:75], v[70:71], v[68:69] op_sel:[0,1]
	s_delay_alu instid0(VALU_DEP_1) | instskip(SKIP_1) | instid1(VALU_DEP_1)
	v_pk_fma_f32 v[84:85], v[70:71], v[54:55], v[74:75] op_sel:[0,0,1] op_sel_hi:[1,1,0] neg_lo:[0,0,1] neg_hi:[0,0,1]
	v_pk_fma_f32 v[70:71], v[70:71], v[54:55], v[74:75] op_sel:[0,0,1] op_sel_hi:[1,0,0]
	v_mov_b32_e32 v85, v71
	v_pk_mul_f32 v[70:71], v[72:73], v[68:69] op_sel:[0,1]
	s_delay_alu instid0(VALU_DEP_1) | instskip(SKIP_1) | instid1(VALU_DEP_1)
	v_pk_fma_f32 v[74:75], v[72:73], v[54:55], v[70:71] op_sel:[0,0,1] op_sel_hi:[1,1,0] neg_lo:[0,0,1] neg_hi:[0,0,1]
	v_pk_fma_f32 v[70:71], v[72:73], v[54:55], v[70:71] op_sel:[0,0,1] op_sel_hi:[1,0,0]
	v_mov_b32_e32 v75, v71
	ds_load_2addr_b64 v[70:73], v222 offset0:58 offset1:59
	v_pk_add_f32 v[236:237], v[236:237], v[84:85] neg_lo:[0,1] neg_hi:[0,1]
	v_pk_add_f32 v[228:229], v[228:229], v[74:75] neg_lo:[0,1] neg_hi:[0,1]
	s_wait_dscnt 0x0
	v_dual_mul_f32 v74, v71, v69 :: v_dual_mul_f32 v84, v71, v54
	s_delay_alu instid0(VALU_DEP_1) | instskip(NEXT) | instid1(VALU_DEP_2)
	v_pk_fma_f32 v[74:75], v[70:71], v[76:77], v[74:75] op_sel_hi:[1,1,0] neg_lo:[0,0,1] neg_hi:[0,0,1]
	v_pk_fma_f32 v[70:71], v[70:71], v[76:77], v[84:85] op_sel:[1,0,0] op_sel_hi:[0,1,0]
	s_delay_alu instid0(VALU_DEP_1) | instskip(SKIP_1) | instid1(VALU_DEP_2)
	v_mov_b32_e32 v75, v71
	v_pk_mul_f32 v[70:71], v[72:73], v[68:69] op_sel:[0,1]
	v_pk_add_f32 v[234:235], v[234:235], v[74:75] neg_lo:[0,1] neg_hi:[0,1]
	s_delay_alu instid0(VALU_DEP_2) | instskip(SKIP_1) | instid1(VALU_DEP_1)
	v_pk_fma_f32 v[74:75], v[72:73], v[54:55], v[70:71] op_sel:[0,0,1] op_sel_hi:[1,1,0] neg_lo:[0,0,1] neg_hi:[0,0,1]
	v_pk_fma_f32 v[70:71], v[72:73], v[54:55], v[70:71] op_sel:[0,0,1] op_sel_hi:[1,0,0]
	v_mov_b32_e32 v75, v71
	ds_load_b64 v[70:71], v222 offset:480
	v_pk_add_f32 v[242:243], v[242:243], v[74:75] neg_lo:[0,1] neg_hi:[0,1]
	s_wait_dscnt 0x0
	v_pk_mul_f32 v[68:69], v[70:71], v[68:69] op_sel:[0,1]
	s_delay_alu instid0(VALU_DEP_1) | instskip(SKIP_1) | instid1(VALU_DEP_1)
	v_pk_fma_f32 v[72:73], v[70:71], v[54:55], v[68:69] op_sel:[0,0,1] op_sel_hi:[1,1,0] neg_lo:[0,0,1] neg_hi:[0,0,1]
	v_pk_fma_f32 v[54:55], v[70:71], v[54:55], v[68:69] op_sel:[0,0,1] op_sel_hi:[1,0,0]
	v_mov_b32_e32 v73, v55
	s_delay_alu instid0(VALU_DEP_1)
	v_pk_add_f32 v[244:245], v[244:245], v[72:73] neg_lo:[0,1] neg_hi:[0,1]
.LBB121_181:
	s_or_b32 exec_lo, exec_lo, s1
	s_delay_alu instid0(SALU_CYCLE_1)
	s_mov_b32 s2, exec_lo
	s_wait_dscnt 0x0
	s_barrier_signal -1
	s_barrier_wait -1
	v_cmpx_eq_u32_e32 20, v220
	s_cbranch_execz .LBB121_188
; %bb.182:
	ds_store_b64 v221, v[98:99]
	ds_store_2addr_b64 v222, v[94:95], v[96:97] offset0:21 offset1:22
	ds_store_2addr_b64 v222, v[92:93], v[114:115] offset0:23 offset1:24
	;; [unrolled: 1-line block ×20, first 2 shown]
	ds_load_b64 v[54:55], v221
	s_wait_dscnt 0x0
	v_cmp_neq_f32_e32 vcc_lo, 0, v54
	v_cmp_neq_f32_e64 s1, 0, v55
	s_or_b32 s1, vcc_lo, s1
	s_delay_alu instid0(SALU_CYCLE_1)
	s_and_b32 exec_lo, exec_lo, s1
	s_cbranch_execz .LBB121_188
; %bb.183:
	v_cmp_ngt_f32_e64 s1, |v54|, |v55|
                                        ; implicit-def: $vgpr68_vgpr69
	s_and_saveexec_b32 s4, s1
	s_delay_alu instid0(SALU_CYCLE_1)
	s_xor_b32 s1, exec_lo, s4
	s_cbranch_execz .LBB121_185
; %bb.184:
	v_div_scale_f32 v68, null, v55, v55, v54
	v_div_scale_f32 v71, vcc_lo, v54, v55, v54
	s_delay_alu instid0(VALU_DEP_2) | instskip(SKIP_1) | instid1(TRANS32_DEP_1)
	v_rcp_f32_e32 v69, v68
	v_nop
	v_fma_f32 v70, -v68, v69, 1.0
	s_delay_alu instid0(VALU_DEP_1) | instskip(NEXT) | instid1(VALU_DEP_1)
	v_fmac_f32_e32 v69, v70, v69
	v_mul_f32_e32 v70, v71, v69
	s_delay_alu instid0(VALU_DEP_1) | instskip(NEXT) | instid1(VALU_DEP_1)
	v_fma_f32 v72, -v68, v70, v71
	v_fmac_f32_e32 v70, v72, v69
	s_delay_alu instid0(VALU_DEP_1) | instskip(NEXT) | instid1(VALU_DEP_1)
	v_fma_f32 v68, -v68, v70, v71
	v_div_fmas_f32 v68, v68, v69, v70
	s_delay_alu instid0(VALU_DEP_1) | instskip(NEXT) | instid1(VALU_DEP_1)
	v_div_fixup_f32 v68, v68, v55, v54
	v_fmac_f32_e32 v55, v54, v68
	s_delay_alu instid0(VALU_DEP_1) | instskip(SKIP_1) | instid1(VALU_DEP_2)
	v_div_scale_f32 v54, null, v55, v55, 1.0
	v_div_scale_f32 v71, vcc_lo, 1.0, v55, 1.0
	v_rcp_f32_e32 v69, v54
	v_nop
	s_delay_alu instid0(TRANS32_DEP_1) | instskip(NEXT) | instid1(VALU_DEP_1)
	v_fma_f32 v70, -v54, v69, 1.0
	v_fmac_f32_e32 v69, v70, v69
	s_delay_alu instid0(VALU_DEP_1) | instskip(NEXT) | instid1(VALU_DEP_1)
	v_mul_f32_e32 v70, v71, v69
	v_fma_f32 v72, -v54, v70, v71
	s_delay_alu instid0(VALU_DEP_1) | instskip(NEXT) | instid1(VALU_DEP_1)
	v_fmac_f32_e32 v70, v72, v69
	v_fma_f32 v54, -v54, v70, v71
	s_delay_alu instid0(VALU_DEP_1) | instskip(NEXT) | instid1(VALU_DEP_1)
	v_div_fmas_f32 v54, v54, v69, v70
	v_div_fixup_f32 v54, v54, v55, 1.0
	s_delay_alu instid0(VALU_DEP_1)
	v_mul_f32_e32 v68, v68, v54
	v_xor_b32_e32 v69, 0x80000000, v54
                                        ; implicit-def: $vgpr54_vgpr55
.LBB121_185:
	s_and_not1_saveexec_b32 s1, s1
	s_cbranch_execz .LBB121_187
; %bb.186:
	v_div_scale_f32 v68, null, v54, v54, v55
	v_div_scale_f32 v71, vcc_lo, v55, v54, v55
	s_delay_alu instid0(VALU_DEP_2) | instskip(SKIP_1) | instid1(TRANS32_DEP_1)
	v_rcp_f32_e32 v69, v68
	v_nop
	v_fma_f32 v70, -v68, v69, 1.0
	s_delay_alu instid0(VALU_DEP_1) | instskip(NEXT) | instid1(VALU_DEP_1)
	v_fmac_f32_e32 v69, v70, v69
	v_mul_f32_e32 v70, v71, v69
	s_delay_alu instid0(VALU_DEP_1) | instskip(NEXT) | instid1(VALU_DEP_1)
	v_fma_f32 v72, -v68, v70, v71
	v_fmac_f32_e32 v70, v72, v69
	s_delay_alu instid0(VALU_DEP_1) | instskip(NEXT) | instid1(VALU_DEP_1)
	v_fma_f32 v68, -v68, v70, v71
	v_div_fmas_f32 v68, v68, v69, v70
	s_delay_alu instid0(VALU_DEP_1) | instskip(NEXT) | instid1(VALU_DEP_1)
	v_div_fixup_f32 v69, v68, v54, v55
	v_fmac_f32_e32 v54, v55, v69
	s_delay_alu instid0(VALU_DEP_1) | instskip(NEXT) | instid1(VALU_DEP_1)
	v_div_scale_f32 v55, null, v54, v54, 1.0
	v_rcp_f32_e32 v68, v55
	v_nop
	s_delay_alu instid0(TRANS32_DEP_1) | instskip(NEXT) | instid1(VALU_DEP_1)
	v_fma_f32 v70, -v55, v68, 1.0
	v_fmac_f32_e32 v68, v70, v68
	v_div_scale_f32 v70, vcc_lo, 1.0, v54, 1.0
	s_delay_alu instid0(VALU_DEP_1) | instskip(NEXT) | instid1(VALU_DEP_1)
	v_mul_f32_e32 v71, v70, v68
	v_fma_f32 v72, -v55, v71, v70
	s_delay_alu instid0(VALU_DEP_1) | instskip(NEXT) | instid1(VALU_DEP_1)
	v_fmac_f32_e32 v71, v72, v68
	v_fma_f32 v55, -v55, v71, v70
	s_delay_alu instid0(VALU_DEP_1) | instskip(NEXT) | instid1(VALU_DEP_1)
	v_div_fmas_f32 v55, v55, v68, v71
	v_div_fixup_f32 v68, v55, v54, 1.0
	s_delay_alu instid0(VALU_DEP_1)
	v_mul_f32_e64 v69, v69, -v68
.LBB121_187:
	s_or_b32 exec_lo, exec_lo, s1
	ds_store_b64 v221, v[68:69]
.LBB121_188:
	s_or_b32 exec_lo, exec_lo, s2
	s_wait_dscnt 0x0
	s_barrier_signal -1
	s_barrier_wait -1
	ds_load_b64 v[54:55], v221
	s_mov_b32 s1, exec_lo
	v_cmpx_lt_u32_e32 20, v220
	s_cbranch_execz .LBB121_190
; %bb.189:
	ds_load_2addr_b64 v[72:75], v222 offset0:21 offset1:22
	s_wait_dscnt 0x1
	v_pk_mul_f32 v[70:71], v[54:55], v[98:99] op_sel:[1,1] op_sel_hi:[0,1]
	s_delay_alu instid0(VALU_DEP_1) | instskip(SKIP_1) | instid1(VALU_DEP_1)
	v_pk_fma_f32 v[68:69], v[54:55], v[98:99], v[70:71] op_sel_hi:[1,0,1] neg_lo:[0,0,1] neg_hi:[0,0,1]
	v_pk_fma_f32 v[70:71], v[54:55], v[98:99], v[70:71] op_sel_hi:[1,0,1]
	v_dual_mov_b32 v98, v68 :: v_dual_mov_b32 v99, v71
	s_wait_dscnt 0x0
	s_delay_alu instid0(VALU_DEP_2) | instskip(NEXT) | instid1(VALU_DEP_1)
	v_pk_mul_f32 v[84:85], v[72:73], v[70:71] op_sel:[0,1]
	v_pk_fma_f32 v[86:87], v[72:73], v[68:69], v[84:85] op_sel:[0,0,1] op_sel_hi:[1,1,0] neg_lo:[0,0,1] neg_hi:[0,0,1]
	v_pk_fma_f32 v[72:73], v[72:73], v[68:69], v[84:85] op_sel:[0,0,1] op_sel_hi:[1,0,0]
	s_delay_alu instid0(VALU_DEP_1) | instskip(SKIP_1) | instid1(VALU_DEP_1)
	v_mov_b32_e32 v87, v73
	v_pk_mul_f32 v[72:73], v[74:75], v[70:71] op_sel:[0,1]
	v_pk_fma_f32 v[84:85], v[74:75], v[68:69], v[72:73] op_sel:[0,0,1] op_sel_hi:[1,1,0] neg_lo:[0,0,1] neg_hi:[0,0,1]
	v_pk_fma_f32 v[72:73], v[74:75], v[68:69], v[72:73] op_sel:[0,0,1] op_sel_hi:[1,0,0]
	s_delay_alu instid0(VALU_DEP_1)
	v_mov_b32_e32 v85, v73
	ds_load_2addr_b64 v[72:75], v222 offset0:23 offset1:24
	v_pk_add_f32 v[94:95], v[94:95], v[86:87] neg_lo:[0,1] neg_hi:[0,1]
	v_pk_add_f32 v[96:97], v[96:97], v[84:85] neg_lo:[0,1] neg_hi:[0,1]
	s_wait_dscnt 0x0
	v_pk_mul_f32 v[84:85], v[72:73], v[70:71] op_sel:[0,1]
	s_delay_alu instid0(VALU_DEP_1) | instskip(SKIP_2) | instid1(VALU_DEP_2)
	v_pk_fma_f32 v[86:87], v[72:73], v[68:69], v[84:85] op_sel:[0,0,1] op_sel_hi:[1,1,0] neg_lo:[0,0,1] neg_hi:[0,0,1]
	v_pk_fma_f32 v[72:73], v[72:73], v[68:69], v[84:85] op_sel:[0,0,1] op_sel_hi:[1,0,0]
	v_dual_mul_f32 v84, v75, v71 :: v_dual_mov_b32 v72, v75
	v_dual_mov_b32 v87, v73 :: v_dual_mov_b32 v73, v74
	s_delay_alu instid0(VALU_DEP_2) | instskip(SKIP_1) | instid1(VALU_DEP_3)
	v_pk_fma_f32 v[84:85], v[74:75], v[98:99], v[84:85] op_sel_hi:[1,1,0] neg_lo:[0,0,1] neg_hi:[0,0,1]
	v_mul_f32_e32 v74, v75, v68
	v_pk_add_f32 v[92:93], v[92:93], v[86:87] neg_lo:[0,1] neg_hi:[0,1]
	s_delay_alu instid0(VALU_DEP_2) | instskip(NEXT) | instid1(VALU_DEP_1)
	v_pk_fma_f32 v[72:73], v[72:73], v[98:99], v[74:75] op_sel_hi:[1,1,0]
	v_mov_b32_e32 v85, v73
	ds_load_2addr_b64 v[72:75], v222 offset0:25 offset1:26
	v_pk_add_f32 v[114:115], v[114:115], v[84:85] neg_lo:[0,1] neg_hi:[0,1]
	s_wait_dscnt 0x0
	v_pk_mul_f32 v[84:85], v[72:73], v[70:71] op_sel:[0,1]
	s_delay_alu instid0(VALU_DEP_1) | instskip(SKIP_1) | instid1(VALU_DEP_1)
	v_pk_fma_f32 v[86:87], v[72:73], v[68:69], v[84:85] op_sel:[0,0,1] op_sel_hi:[1,1,0] neg_lo:[0,0,1] neg_hi:[0,0,1]
	v_pk_fma_f32 v[72:73], v[72:73], v[68:69], v[84:85] op_sel:[0,0,1] op_sel_hi:[1,0,0]
	v_mov_b32_e32 v87, v73
	v_pk_mul_f32 v[72:73], v[74:75], v[70:71] op_sel:[0,1]
	s_delay_alu instid0(VALU_DEP_1) | instskip(SKIP_1) | instid1(VALU_DEP_1)
	v_pk_fma_f32 v[84:85], v[74:75], v[68:69], v[72:73] op_sel:[0,0,1] op_sel_hi:[1,1,0] neg_lo:[0,0,1] neg_hi:[0,0,1]
	v_pk_fma_f32 v[72:73], v[74:75], v[68:69], v[72:73] op_sel:[0,0,1] op_sel_hi:[1,0,0]
	v_mov_b32_e32 v85, v73
	ds_load_2addr_b64 v[72:75], v222 offset0:27 offset1:28
	v_pk_add_f32 v[110:111], v[110:111], v[86:87] neg_lo:[0,1] neg_hi:[0,1]
	v_pk_add_f32 v[112:113], v[112:113], v[84:85] neg_lo:[0,1] neg_hi:[0,1]
	s_wait_dscnt 0x0
	v_pk_mul_f32 v[84:85], v[72:73], v[70:71] op_sel:[0,1]
	s_delay_alu instid0(VALU_DEP_1) | instskip(SKIP_1) | instid1(VALU_DEP_1)
	v_pk_fma_f32 v[86:87], v[72:73], v[68:69], v[84:85] op_sel:[0,0,1] op_sel_hi:[1,1,0] neg_lo:[0,0,1] neg_hi:[0,0,1]
	v_pk_fma_f32 v[72:73], v[72:73], v[68:69], v[84:85] op_sel:[0,0,1] op_sel_hi:[1,0,0]
	v_mov_b32_e32 v87, v73
	v_pk_mul_f32 v[72:73], v[74:75], v[70:71] op_sel:[0,1]
	s_delay_alu instid0(VALU_DEP_1) | instskip(SKIP_1) | instid1(VALU_DEP_1)
	v_pk_fma_f32 v[84:85], v[74:75], v[68:69], v[72:73] op_sel:[0,0,1] op_sel_hi:[1,1,0] neg_lo:[0,0,1] neg_hi:[0,0,1]
	v_pk_fma_f32 v[72:73], v[74:75], v[68:69], v[72:73] op_sel:[0,0,1] op_sel_hi:[1,0,0]
	v_mov_b32_e32 v85, v73
	ds_load_2addr_b64 v[72:75], v222 offset0:29 offset1:30
	v_pk_add_f32 v[108:109], v[108:109], v[86:87] neg_lo:[0,1] neg_hi:[0,1]
	v_pk_add_f32 v[130:131], v[130:131], v[84:85] neg_lo:[0,1] neg_hi:[0,1]
	s_wait_dscnt 0x0
	v_dual_mul_f32 v84, v73, v71 :: v_dual_mul_f32 v86, v73, v68
	s_delay_alu instid0(VALU_DEP_1) | instskip(NEXT) | instid1(VALU_DEP_2)
	v_pk_fma_f32 v[84:85], v[72:73], v[98:99], v[84:85] op_sel_hi:[1,1,0] neg_lo:[0,0,1] neg_hi:[0,0,1]
	v_pk_fma_f32 v[72:73], v[72:73], v[98:99], v[86:87] op_sel:[1,0,0] op_sel_hi:[0,1,0]
	s_delay_alu instid0(VALU_DEP_1) | instskip(SKIP_1) | instid1(VALU_DEP_2)
	v_mov_b32_e32 v85, v73
	v_pk_mul_f32 v[72:73], v[74:75], v[70:71] op_sel:[0,1]
	v_pk_add_f32 v[126:127], v[126:127], v[84:85] neg_lo:[0,1] neg_hi:[0,1]
	s_delay_alu instid0(VALU_DEP_2) | instskip(SKIP_1) | instid1(VALU_DEP_1)
	v_pk_fma_f32 v[84:85], v[74:75], v[68:69], v[72:73] op_sel:[0,0,1] op_sel_hi:[1,1,0] neg_lo:[0,0,1] neg_hi:[0,0,1]
	v_pk_fma_f32 v[72:73], v[74:75], v[68:69], v[72:73] op_sel:[0,0,1] op_sel_hi:[1,0,0]
	v_mov_b32_e32 v85, v73
	ds_load_2addr_b64 v[72:75], v222 offset0:31 offset1:32
	v_pk_add_f32 v[128:129], v[128:129], v[84:85] neg_lo:[0,1] neg_hi:[0,1]
	s_wait_dscnt 0x0
	v_pk_mul_f32 v[84:85], v[72:73], v[70:71] op_sel:[0,1]
	s_delay_alu instid0(VALU_DEP_1) | instskip(SKIP_1) | instid1(VALU_DEP_1)
	v_pk_fma_f32 v[86:87], v[72:73], v[68:69], v[84:85] op_sel:[0,0,1] op_sel_hi:[1,1,0] neg_lo:[0,0,1] neg_hi:[0,0,1]
	v_pk_fma_f32 v[72:73], v[72:73], v[68:69], v[84:85] op_sel:[0,0,1] op_sel_hi:[1,0,0]
	v_mov_b32_e32 v87, v73
	v_pk_mul_f32 v[72:73], v[74:75], v[70:71] op_sel:[0,1]
	s_delay_alu instid0(VALU_DEP_2) | instskip(NEXT) | instid1(VALU_DEP_2)
	v_pk_add_f32 v[124:125], v[124:125], v[86:87] neg_lo:[0,1] neg_hi:[0,1]
	v_pk_fma_f32 v[84:85], v[74:75], v[68:69], v[72:73] op_sel:[0,0,1] op_sel_hi:[1,1,0] neg_lo:[0,0,1] neg_hi:[0,0,1]
	v_pk_fma_f32 v[72:73], v[74:75], v[68:69], v[72:73] op_sel:[0,0,1] op_sel_hi:[1,0,0]
	s_delay_alu instid0(VALU_DEP_1) | instskip(SKIP_4) | instid1(VALU_DEP_1)
	v_mov_b32_e32 v85, v73
	ds_load_2addr_b64 v[72:75], v222 offset0:33 offset1:34
	v_pk_add_f32 v[146:147], v[146:147], v[84:85] neg_lo:[0,1] neg_hi:[0,1]
	s_wait_dscnt 0x0
	v_pk_mul_f32 v[84:85], v[72:73], v[70:71] op_sel:[0,1]
	v_pk_fma_f32 v[86:87], v[72:73], v[68:69], v[84:85] op_sel:[0,0,1] op_sel_hi:[1,1,0] neg_lo:[0,0,1] neg_hi:[0,0,1]
	v_pk_fma_f32 v[72:73], v[72:73], v[68:69], v[84:85] op_sel:[0,0,1] op_sel_hi:[1,0,0]
	v_dual_mul_f32 v84, v75, v71 :: v_dual_mov_b32 v72, v75
	s_delay_alu instid0(VALU_DEP_2) | instskip(NEXT) | instid1(VALU_DEP_2)
	v_dual_mov_b32 v87, v73 :: v_dual_mov_b32 v73, v74
	v_pk_fma_f32 v[84:85], v[74:75], v[98:99], v[84:85] op_sel_hi:[1,1,0] neg_lo:[0,0,1] neg_hi:[0,0,1]
	v_mul_f32_e32 v74, v75, v68
	s_delay_alu instid0(VALU_DEP_3) | instskip(NEXT) | instid1(VALU_DEP_2)
	v_pk_add_f32 v[142:143], v[142:143], v[86:87] neg_lo:[0,1] neg_hi:[0,1]
	v_pk_fma_f32 v[72:73], v[72:73], v[98:99], v[74:75] op_sel_hi:[1,1,0]
	s_delay_alu instid0(VALU_DEP_1) | instskip(SKIP_4) | instid1(VALU_DEP_1)
	v_mov_b32_e32 v85, v73
	ds_load_2addr_b64 v[72:75], v222 offset0:35 offset1:36
	v_pk_add_f32 v[144:145], v[144:145], v[84:85] neg_lo:[0,1] neg_hi:[0,1]
	s_wait_dscnt 0x0
	v_pk_mul_f32 v[84:85], v[72:73], v[70:71] op_sel:[0,1]
	v_pk_fma_f32 v[86:87], v[72:73], v[68:69], v[84:85] op_sel:[0,0,1] op_sel_hi:[1,1,0] neg_lo:[0,0,1] neg_hi:[0,0,1]
	v_pk_fma_f32 v[72:73], v[72:73], v[68:69], v[84:85] op_sel:[0,0,1] op_sel_hi:[1,0,0]
	s_delay_alu instid0(VALU_DEP_1) | instskip(SKIP_1) | instid1(VALU_DEP_1)
	v_mov_b32_e32 v87, v73
	v_pk_mul_f32 v[72:73], v[74:75], v[70:71] op_sel:[0,1]
	v_pk_fma_f32 v[84:85], v[74:75], v[68:69], v[72:73] op_sel:[0,0,1] op_sel_hi:[1,1,0] neg_lo:[0,0,1] neg_hi:[0,0,1]
	v_pk_fma_f32 v[72:73], v[74:75], v[68:69], v[72:73] op_sel:[0,0,1] op_sel_hi:[1,0,0]
	s_delay_alu instid0(VALU_DEP_1)
	v_mov_b32_e32 v85, v73
	ds_load_2addr_b64 v[72:75], v222 offset0:37 offset1:38
	v_pk_add_f32 v[140:141], v[140:141], v[86:87] neg_lo:[0,1] neg_hi:[0,1]
	v_pk_add_f32 v[162:163], v[162:163], v[84:85] neg_lo:[0,1] neg_hi:[0,1]
	s_wait_dscnt 0x0
	v_pk_mul_f32 v[84:85], v[72:73], v[70:71] op_sel:[0,1]
	s_delay_alu instid0(VALU_DEP_1) | instskip(SKIP_1) | instid1(VALU_DEP_1)
	v_pk_fma_f32 v[86:87], v[72:73], v[68:69], v[84:85] op_sel:[0,0,1] op_sel_hi:[1,1,0] neg_lo:[0,0,1] neg_hi:[0,0,1]
	v_pk_fma_f32 v[72:73], v[72:73], v[68:69], v[84:85] op_sel:[0,0,1] op_sel_hi:[1,0,0]
	v_mov_b32_e32 v87, v73
	v_pk_mul_f32 v[72:73], v[74:75], v[70:71] op_sel:[0,1]
	s_delay_alu instid0(VALU_DEP_1) | instskip(SKIP_1) | instid1(VALU_DEP_1)
	v_pk_fma_f32 v[84:85], v[74:75], v[68:69], v[72:73] op_sel:[0,0,1] op_sel_hi:[1,1,0] neg_lo:[0,0,1] neg_hi:[0,0,1]
	v_pk_fma_f32 v[72:73], v[74:75], v[68:69], v[72:73] op_sel:[0,0,1] op_sel_hi:[1,0,0]
	v_mov_b32_e32 v85, v73
	ds_load_2addr_b64 v[72:75], v222 offset0:39 offset1:40
	v_pk_add_f32 v[158:159], v[158:159], v[86:87] neg_lo:[0,1] neg_hi:[0,1]
	v_pk_add_f32 v[160:161], v[160:161], v[84:85] neg_lo:[0,1] neg_hi:[0,1]
	s_wait_dscnt 0x0
	v_dual_mul_f32 v84, v73, v71 :: v_dual_mul_f32 v86, v73, v68
	s_delay_alu instid0(VALU_DEP_1) | instskip(NEXT) | instid1(VALU_DEP_2)
	v_pk_fma_f32 v[84:85], v[72:73], v[98:99], v[84:85] op_sel_hi:[1,1,0] neg_lo:[0,0,1] neg_hi:[0,0,1]
	v_pk_fma_f32 v[72:73], v[72:73], v[98:99], v[86:87] op_sel:[1,0,0] op_sel_hi:[0,1,0]
	s_delay_alu instid0(VALU_DEP_1) | instskip(SKIP_1) | instid1(VALU_DEP_2)
	v_mov_b32_e32 v85, v73
	v_pk_mul_f32 v[72:73], v[74:75], v[70:71] op_sel:[0,1]
	v_pk_add_f32 v[156:157], v[156:157], v[84:85] neg_lo:[0,1] neg_hi:[0,1]
	s_delay_alu instid0(VALU_DEP_2) | instskip(SKIP_1) | instid1(VALU_DEP_1)
	v_pk_fma_f32 v[84:85], v[74:75], v[68:69], v[72:73] op_sel:[0,0,1] op_sel_hi:[1,1,0] neg_lo:[0,0,1] neg_hi:[0,0,1]
	v_pk_fma_f32 v[72:73], v[74:75], v[68:69], v[72:73] op_sel:[0,0,1] op_sel_hi:[1,0,0]
	v_mov_b32_e32 v85, v73
	ds_load_2addr_b64 v[72:75], v222 offset0:41 offset1:42
	v_pk_add_f32 v[178:179], v[178:179], v[84:85] neg_lo:[0,1] neg_hi:[0,1]
	s_wait_dscnt 0x0
	v_pk_mul_f32 v[84:85], v[72:73], v[70:71] op_sel:[0,1]
	s_delay_alu instid0(VALU_DEP_1) | instskip(SKIP_1) | instid1(VALU_DEP_1)
	v_pk_fma_f32 v[86:87], v[72:73], v[68:69], v[84:85] op_sel:[0,0,1] op_sel_hi:[1,1,0] neg_lo:[0,0,1] neg_hi:[0,0,1]
	v_pk_fma_f32 v[72:73], v[72:73], v[68:69], v[84:85] op_sel:[0,0,1] op_sel_hi:[1,0,0]
	v_mov_b32_e32 v87, v73
	v_pk_mul_f32 v[72:73], v[74:75], v[70:71] op_sel:[0,1]
	s_delay_alu instid0(VALU_DEP_2) | instskip(NEXT) | instid1(VALU_DEP_2)
	v_pk_add_f32 v[174:175], v[174:175], v[86:87] neg_lo:[0,1] neg_hi:[0,1]
	v_pk_fma_f32 v[84:85], v[74:75], v[68:69], v[72:73] op_sel:[0,0,1] op_sel_hi:[1,1,0] neg_lo:[0,0,1] neg_hi:[0,0,1]
	v_pk_fma_f32 v[72:73], v[74:75], v[68:69], v[72:73] op_sel:[0,0,1] op_sel_hi:[1,0,0]
	s_delay_alu instid0(VALU_DEP_1) | instskip(SKIP_4) | instid1(VALU_DEP_1)
	v_mov_b32_e32 v85, v73
	ds_load_2addr_b64 v[72:75], v222 offset0:43 offset1:44
	v_pk_add_f32 v[176:177], v[176:177], v[84:85] neg_lo:[0,1] neg_hi:[0,1]
	s_wait_dscnt 0x0
	v_pk_mul_f32 v[84:85], v[72:73], v[70:71] op_sel:[0,1]
	v_pk_fma_f32 v[86:87], v[72:73], v[68:69], v[84:85] op_sel:[0,0,1] op_sel_hi:[1,1,0] neg_lo:[0,0,1] neg_hi:[0,0,1]
	v_pk_fma_f32 v[72:73], v[72:73], v[68:69], v[84:85] op_sel:[0,0,1] op_sel_hi:[1,0,0]
	v_dual_mul_f32 v84, v75, v71 :: v_dual_mov_b32 v72, v75
	s_delay_alu instid0(VALU_DEP_2) | instskip(NEXT) | instid1(VALU_DEP_2)
	v_dual_mov_b32 v87, v73 :: v_dual_mov_b32 v73, v74
	v_pk_fma_f32 v[84:85], v[74:75], v[98:99], v[84:85] op_sel_hi:[1,1,0] neg_lo:[0,0,1] neg_hi:[0,0,1]
	v_mul_f32_e32 v74, v75, v68
	s_delay_alu instid0(VALU_DEP_3) | instskip(NEXT) | instid1(VALU_DEP_2)
	v_pk_add_f32 v[172:173], v[172:173], v[86:87] neg_lo:[0,1] neg_hi:[0,1]
	v_pk_fma_f32 v[72:73], v[72:73], v[98:99], v[74:75] op_sel_hi:[1,1,0]
	s_delay_alu instid0(VALU_DEP_1) | instskip(SKIP_4) | instid1(VALU_DEP_1)
	v_mov_b32_e32 v85, v73
	ds_load_2addr_b64 v[72:75], v222 offset0:45 offset1:46
	v_pk_add_f32 v[194:195], v[194:195], v[84:85] neg_lo:[0,1] neg_hi:[0,1]
	s_wait_dscnt 0x0
	v_pk_mul_f32 v[84:85], v[72:73], v[70:71] op_sel:[0,1]
	v_pk_fma_f32 v[86:87], v[72:73], v[68:69], v[84:85] op_sel:[0,0,1] op_sel_hi:[1,1,0] neg_lo:[0,0,1] neg_hi:[0,0,1]
	v_pk_fma_f32 v[72:73], v[72:73], v[68:69], v[84:85] op_sel:[0,0,1] op_sel_hi:[1,0,0]
	s_delay_alu instid0(VALU_DEP_1) | instskip(SKIP_1) | instid1(VALU_DEP_1)
	v_mov_b32_e32 v87, v73
	v_pk_mul_f32 v[72:73], v[74:75], v[70:71] op_sel:[0,1]
	v_pk_fma_f32 v[84:85], v[74:75], v[68:69], v[72:73] op_sel:[0,0,1] op_sel_hi:[1,1,0] neg_lo:[0,0,1] neg_hi:[0,0,1]
	v_pk_fma_f32 v[72:73], v[74:75], v[68:69], v[72:73] op_sel:[0,0,1] op_sel_hi:[1,0,0]
	s_delay_alu instid0(VALU_DEP_1)
	v_mov_b32_e32 v85, v73
	ds_load_2addr_b64 v[72:75], v222 offset0:47 offset1:48
	v_pk_add_f32 v[190:191], v[190:191], v[86:87] neg_lo:[0,1] neg_hi:[0,1]
	v_pk_add_f32 v[192:193], v[192:193], v[84:85] neg_lo:[0,1] neg_hi:[0,1]
	s_wait_dscnt 0x0
	v_pk_mul_f32 v[84:85], v[72:73], v[70:71] op_sel:[0,1]
	s_delay_alu instid0(VALU_DEP_1) | instskip(SKIP_1) | instid1(VALU_DEP_1)
	v_pk_fma_f32 v[86:87], v[72:73], v[68:69], v[84:85] op_sel:[0,0,1] op_sel_hi:[1,1,0] neg_lo:[0,0,1] neg_hi:[0,0,1]
	v_pk_fma_f32 v[72:73], v[72:73], v[68:69], v[84:85] op_sel:[0,0,1] op_sel_hi:[1,0,0]
	v_mov_b32_e32 v87, v73
	v_pk_mul_f32 v[72:73], v[74:75], v[70:71] op_sel:[0,1]
	s_delay_alu instid0(VALU_DEP_1) | instskip(SKIP_1) | instid1(VALU_DEP_1)
	v_pk_fma_f32 v[84:85], v[74:75], v[68:69], v[72:73] op_sel:[0,0,1] op_sel_hi:[1,1,0] neg_lo:[0,0,1] neg_hi:[0,0,1]
	v_pk_fma_f32 v[72:73], v[74:75], v[68:69], v[72:73] op_sel:[0,0,1] op_sel_hi:[1,0,0]
	v_mov_b32_e32 v85, v73
	ds_load_2addr_b64 v[72:75], v222 offset0:49 offset1:50
	v_pk_add_f32 v[188:189], v[188:189], v[86:87] neg_lo:[0,1] neg_hi:[0,1]
	v_pk_add_f32 v[216:217], v[216:217], v[84:85] neg_lo:[0,1] neg_hi:[0,1]
	s_wait_dscnt 0x0
	v_dual_mul_f32 v84, v73, v71 :: v_dual_mul_f32 v86, v73, v68
	s_delay_alu instid0(VALU_DEP_1) | instskip(NEXT) | instid1(VALU_DEP_2)
	v_pk_fma_f32 v[84:85], v[72:73], v[98:99], v[84:85] op_sel_hi:[1,1,0] neg_lo:[0,0,1] neg_hi:[0,0,1]
	v_pk_fma_f32 v[72:73], v[72:73], v[98:99], v[86:87] op_sel:[1,0,0] op_sel_hi:[0,1,0]
	s_delay_alu instid0(VALU_DEP_1) | instskip(SKIP_1) | instid1(VALU_DEP_2)
	v_mov_b32_e32 v85, v73
	v_pk_mul_f32 v[72:73], v[74:75], v[70:71] op_sel:[0,1]
	v_pk_add_f32 v[212:213], v[212:213], v[84:85] neg_lo:[0,1] neg_hi:[0,1]
	s_delay_alu instid0(VALU_DEP_2) | instskip(SKIP_1) | instid1(VALU_DEP_1)
	v_pk_fma_f32 v[84:85], v[74:75], v[68:69], v[72:73] op_sel:[0,0,1] op_sel_hi:[1,1,0] neg_lo:[0,0,1] neg_hi:[0,0,1]
	v_pk_fma_f32 v[72:73], v[74:75], v[68:69], v[72:73] op_sel:[0,0,1] op_sel_hi:[1,0,0]
	v_mov_b32_e32 v85, v73
	ds_load_2addr_b64 v[72:75], v222 offset0:51 offset1:52
	v_pk_add_f32 v[214:215], v[214:215], v[84:85] neg_lo:[0,1] neg_hi:[0,1]
	s_wait_dscnt 0x0
	v_pk_mul_f32 v[84:85], v[72:73], v[70:71] op_sel:[0,1]
	s_delay_alu instid0(VALU_DEP_1) | instskip(SKIP_1) | instid1(VALU_DEP_1)
	v_pk_fma_f32 v[86:87], v[72:73], v[68:69], v[84:85] op_sel:[0,0,1] op_sel_hi:[1,1,0] neg_lo:[0,0,1] neg_hi:[0,0,1]
	v_pk_fma_f32 v[72:73], v[72:73], v[68:69], v[84:85] op_sel:[0,0,1] op_sel_hi:[1,0,0]
	v_mov_b32_e32 v87, v73
	v_pk_mul_f32 v[72:73], v[74:75], v[70:71] op_sel:[0,1]
	s_delay_alu instid0(VALU_DEP_2) | instskip(NEXT) | instid1(VALU_DEP_2)
	v_pk_add_f32 v[210:211], v[210:211], v[86:87] neg_lo:[0,1] neg_hi:[0,1]
	v_pk_fma_f32 v[84:85], v[74:75], v[68:69], v[72:73] op_sel:[0,0,1] op_sel_hi:[1,1,0] neg_lo:[0,0,1] neg_hi:[0,0,1]
	v_pk_fma_f32 v[72:73], v[74:75], v[68:69], v[72:73] op_sel:[0,0,1] op_sel_hi:[1,0,0]
	s_delay_alu instid0(VALU_DEP_1) | instskip(SKIP_4) | instid1(VALU_DEP_1)
	v_mov_b32_e32 v85, v73
	ds_load_2addr_b64 v[72:75], v222 offset0:53 offset1:54
	v_pk_add_f32 v[240:241], v[240:241], v[84:85] neg_lo:[0,1] neg_hi:[0,1]
	s_wait_dscnt 0x0
	v_pk_mul_f32 v[84:85], v[72:73], v[70:71] op_sel:[0,1]
	v_pk_fma_f32 v[86:87], v[72:73], v[68:69], v[84:85] op_sel:[0,0,1] op_sel_hi:[1,1,0] neg_lo:[0,0,1] neg_hi:[0,0,1]
	v_pk_fma_f32 v[72:73], v[72:73], v[68:69], v[84:85] op_sel:[0,0,1] op_sel_hi:[1,0,0]
	v_dual_mul_f32 v84, v75, v71 :: v_dual_mov_b32 v72, v75
	s_delay_alu instid0(VALU_DEP_2) | instskip(NEXT) | instid1(VALU_DEP_2)
	v_dual_mov_b32 v87, v73 :: v_dual_mov_b32 v73, v74
	v_pk_fma_f32 v[84:85], v[74:75], v[98:99], v[84:85] op_sel_hi:[1,1,0] neg_lo:[0,0,1] neg_hi:[0,0,1]
	v_mul_f32_e32 v74, v75, v68
	s_delay_alu instid0(VALU_DEP_3) | instskip(NEXT) | instid1(VALU_DEP_2)
	v_pk_add_f32 v[232:233], v[232:233], v[86:87] neg_lo:[0,1] neg_hi:[0,1]
	v_pk_fma_f32 v[72:73], v[72:73], v[98:99], v[74:75] op_sel_hi:[1,1,0]
	s_delay_alu instid0(VALU_DEP_1) | instskip(SKIP_4) | instid1(VALU_DEP_1)
	v_mov_b32_e32 v85, v73
	ds_load_2addr_b64 v[72:75], v222 offset0:55 offset1:56
	v_pk_add_f32 v[238:239], v[238:239], v[84:85] neg_lo:[0,1] neg_hi:[0,1]
	s_wait_dscnt 0x0
	v_pk_mul_f32 v[84:85], v[72:73], v[70:71] op_sel:[0,1]
	v_pk_fma_f32 v[86:87], v[72:73], v[68:69], v[84:85] op_sel:[0,0,1] op_sel_hi:[1,1,0] neg_lo:[0,0,1] neg_hi:[0,0,1]
	v_pk_fma_f32 v[72:73], v[72:73], v[68:69], v[84:85] op_sel:[0,0,1] op_sel_hi:[1,0,0]
	s_delay_alu instid0(VALU_DEP_1) | instskip(SKIP_1) | instid1(VALU_DEP_1)
	v_mov_b32_e32 v87, v73
	v_pk_mul_f32 v[72:73], v[74:75], v[70:71] op_sel:[0,1]
	v_pk_fma_f32 v[84:85], v[74:75], v[68:69], v[72:73] op_sel:[0,0,1] op_sel_hi:[1,1,0] neg_lo:[0,0,1] neg_hi:[0,0,1]
	v_pk_fma_f32 v[72:73], v[74:75], v[68:69], v[72:73] op_sel:[0,0,1] op_sel_hi:[1,0,0]
	s_delay_alu instid0(VALU_DEP_1)
	v_mov_b32_e32 v85, v73
	ds_load_2addr_b64 v[72:75], v222 offset0:57 offset1:58
	v_pk_add_f32 v[230:231], v[230:231], v[86:87] neg_lo:[0,1] neg_hi:[0,1]
	v_pk_add_f32 v[236:237], v[236:237], v[84:85] neg_lo:[0,1] neg_hi:[0,1]
	s_wait_dscnt 0x0
	v_pk_mul_f32 v[84:85], v[72:73], v[70:71] op_sel:[0,1]
	s_delay_alu instid0(VALU_DEP_1) | instskip(SKIP_1) | instid1(VALU_DEP_1)
	v_pk_fma_f32 v[86:87], v[72:73], v[68:69], v[84:85] op_sel:[0,0,1] op_sel_hi:[1,1,0] neg_lo:[0,0,1] neg_hi:[0,0,1]
	v_pk_fma_f32 v[72:73], v[72:73], v[68:69], v[84:85] op_sel:[0,0,1] op_sel_hi:[1,0,0]
	v_mov_b32_e32 v87, v73
	v_pk_mul_f32 v[72:73], v[74:75], v[70:71] op_sel:[0,1]
	s_delay_alu instid0(VALU_DEP_1) | instskip(SKIP_1) | instid1(VALU_DEP_1)
	v_pk_fma_f32 v[84:85], v[74:75], v[68:69], v[72:73] op_sel:[0,0,1] op_sel_hi:[1,1,0] neg_lo:[0,0,1] neg_hi:[0,0,1]
	v_pk_fma_f32 v[72:73], v[74:75], v[68:69], v[72:73] op_sel:[0,0,1] op_sel_hi:[1,0,0]
	v_mov_b32_e32 v85, v73
	ds_load_2addr_b64 v[72:75], v222 offset0:59 offset1:60
	v_pk_add_f32 v[228:229], v[228:229], v[86:87] neg_lo:[0,1] neg_hi:[0,1]
	v_pk_add_f32 v[234:235], v[234:235], v[84:85] neg_lo:[0,1] neg_hi:[0,1]
	s_wait_dscnt 0x0
	v_dual_mul_f32 v84, v73, v71 :: v_dual_mul_f32 v86, v73, v68
	v_pk_mul_f32 v[70:71], v[74:75], v[70:71] op_sel:[0,1]
	s_delay_alu instid0(VALU_DEP_2) | instskip(NEXT) | instid1(VALU_DEP_3)
	v_pk_fma_f32 v[84:85], v[72:73], v[98:99], v[84:85] op_sel_hi:[1,1,0] neg_lo:[0,0,1] neg_hi:[0,0,1]
	v_pk_fma_f32 v[72:73], v[72:73], v[98:99], v[86:87] op_sel:[1,0,0] op_sel_hi:[0,1,0]
	s_delay_alu instid0(VALU_DEP_1) | instskip(NEXT) | instid1(VALU_DEP_4)
	v_mov_b32_e32 v85, v73
	v_pk_fma_f32 v[72:73], v[74:75], v[68:69], v[70:71] op_sel:[0,0,1] op_sel_hi:[1,1,0] neg_lo:[0,0,1] neg_hi:[0,0,1]
	v_pk_fma_f32 v[68:69], v[74:75], v[68:69], v[70:71] op_sel:[0,0,1] op_sel_hi:[1,0,0]
	s_delay_alu instid0(VALU_DEP_1) | instskip(NEXT) | instid1(VALU_DEP_4)
	v_mov_b32_e32 v73, v69
	v_pk_add_f32 v[242:243], v[242:243], v[84:85] neg_lo:[0,1] neg_hi:[0,1]
	s_delay_alu instid0(VALU_DEP_2)
	v_pk_add_f32 v[244:245], v[244:245], v[72:73] neg_lo:[0,1] neg_hi:[0,1]
.LBB121_190:
	s_or_b32 exec_lo, exec_lo, s1
	s_delay_alu instid0(SALU_CYCLE_1)
	s_mov_b32 s2, exec_lo
	s_wait_dscnt 0x0
	s_barrier_signal -1
	s_barrier_wait -1
	v_cmpx_eq_u32_e32 21, v220
	s_cbranch_execz .LBB121_197
; %bb.191:
	v_dual_mov_b32 v68, v96 :: v_dual_mov_b32 v69, v97
	v_dual_mov_b32 v70, v92 :: v_dual_mov_b32 v71, v93
	ds_store_b64 v221, v[94:95]
	ds_store_2addr_b64 v222, v[68:69], v[70:71] offset0:22 offset1:23
	v_dual_mov_b32 v68, v114 :: v_dual_mov_b32 v69, v115
	v_dual_mov_b32 v70, v110 :: v_dual_mov_b32 v71, v111
	ds_store_2addr_b64 v222, v[68:69], v[70:71] offset0:24 offset1:25
	v_dual_mov_b32 v68, v112 :: v_dual_mov_b32 v69, v113
	v_dual_mov_b32 v70, v108 :: v_dual_mov_b32 v71, v109
	;; [unrolled: 3-line block ×18, first 2 shown]
	ds_store_2addr_b64 v222, v[68:69], v[70:71] offset0:58 offset1:59
	ds_store_b64 v222, v[244:245] offset:480
	ds_load_b64 v[68:69], v221
	s_wait_dscnt 0x0
	v_cmp_neq_f32_e32 vcc_lo, 0, v68
	v_cmp_neq_f32_e64 s1, 0, v69
	s_or_b32 s1, vcc_lo, s1
	s_delay_alu instid0(SALU_CYCLE_1)
	s_and_b32 exec_lo, exec_lo, s1
	s_cbranch_execz .LBB121_197
; %bb.192:
	v_cmp_ngt_f32_e64 s1, |v68|, |v69|
                                        ; implicit-def: $vgpr70_vgpr71
	s_and_saveexec_b32 s4, s1
	s_delay_alu instid0(SALU_CYCLE_1)
	s_xor_b32 s1, exec_lo, s4
	s_cbranch_execz .LBB121_194
; %bb.193:
	v_div_scale_f32 v70, null, v69, v69, v68
	v_div_scale_f32 v73, vcc_lo, v68, v69, v68
	s_delay_alu instid0(VALU_DEP_2) | instskip(SKIP_1) | instid1(TRANS32_DEP_1)
	v_rcp_f32_e32 v71, v70
	v_nop
	v_fma_f32 v72, -v70, v71, 1.0
	s_delay_alu instid0(VALU_DEP_1) | instskip(NEXT) | instid1(VALU_DEP_1)
	v_fmac_f32_e32 v71, v72, v71
	v_mul_f32_e32 v72, v73, v71
	s_delay_alu instid0(VALU_DEP_1) | instskip(NEXT) | instid1(VALU_DEP_1)
	v_fma_f32 v74, -v70, v72, v73
	v_fmac_f32_e32 v72, v74, v71
	s_delay_alu instid0(VALU_DEP_1) | instskip(NEXT) | instid1(VALU_DEP_1)
	v_fma_f32 v70, -v70, v72, v73
	v_div_fmas_f32 v70, v70, v71, v72
	s_delay_alu instid0(VALU_DEP_1) | instskip(NEXT) | instid1(VALU_DEP_1)
	v_div_fixup_f32 v70, v70, v69, v68
	v_fmac_f32_e32 v69, v68, v70
	s_delay_alu instid0(VALU_DEP_1) | instskip(SKIP_1) | instid1(VALU_DEP_2)
	v_div_scale_f32 v68, null, v69, v69, 1.0
	v_div_scale_f32 v73, vcc_lo, 1.0, v69, 1.0
	v_rcp_f32_e32 v71, v68
	v_nop
	s_delay_alu instid0(TRANS32_DEP_1) | instskip(NEXT) | instid1(VALU_DEP_1)
	v_fma_f32 v72, -v68, v71, 1.0
	v_fmac_f32_e32 v71, v72, v71
	s_delay_alu instid0(VALU_DEP_1) | instskip(NEXT) | instid1(VALU_DEP_1)
	v_mul_f32_e32 v72, v73, v71
	v_fma_f32 v74, -v68, v72, v73
	s_delay_alu instid0(VALU_DEP_1) | instskip(NEXT) | instid1(VALU_DEP_1)
	v_fmac_f32_e32 v72, v74, v71
	v_fma_f32 v68, -v68, v72, v73
	s_delay_alu instid0(VALU_DEP_1) | instskip(NEXT) | instid1(VALU_DEP_1)
	v_div_fmas_f32 v68, v68, v71, v72
	v_div_fixup_f32 v68, v68, v69, 1.0
	s_delay_alu instid0(VALU_DEP_1)
	v_mul_f32_e32 v70, v70, v68
	v_xor_b32_e32 v71, 0x80000000, v68
                                        ; implicit-def: $vgpr68_vgpr69
.LBB121_194:
	s_and_not1_saveexec_b32 s1, s1
	s_cbranch_execz .LBB121_196
; %bb.195:
	v_div_scale_f32 v70, null, v68, v68, v69
	v_div_scale_f32 v73, vcc_lo, v69, v68, v69
	s_delay_alu instid0(VALU_DEP_2) | instskip(SKIP_1) | instid1(TRANS32_DEP_1)
	v_rcp_f32_e32 v71, v70
	v_nop
	v_fma_f32 v72, -v70, v71, 1.0
	s_delay_alu instid0(VALU_DEP_1) | instskip(NEXT) | instid1(VALU_DEP_1)
	v_fmac_f32_e32 v71, v72, v71
	v_mul_f32_e32 v72, v73, v71
	s_delay_alu instid0(VALU_DEP_1) | instskip(NEXT) | instid1(VALU_DEP_1)
	v_fma_f32 v74, -v70, v72, v73
	v_fmac_f32_e32 v72, v74, v71
	s_delay_alu instid0(VALU_DEP_1) | instskip(NEXT) | instid1(VALU_DEP_1)
	v_fma_f32 v70, -v70, v72, v73
	v_div_fmas_f32 v70, v70, v71, v72
	s_delay_alu instid0(VALU_DEP_1) | instskip(NEXT) | instid1(VALU_DEP_1)
	v_div_fixup_f32 v71, v70, v68, v69
	v_fmac_f32_e32 v68, v69, v71
	s_delay_alu instid0(VALU_DEP_1) | instskip(NEXT) | instid1(VALU_DEP_1)
	v_div_scale_f32 v69, null, v68, v68, 1.0
	v_rcp_f32_e32 v70, v69
	v_nop
	s_delay_alu instid0(TRANS32_DEP_1) | instskip(NEXT) | instid1(VALU_DEP_1)
	v_fma_f32 v72, -v69, v70, 1.0
	v_fmac_f32_e32 v70, v72, v70
	v_div_scale_f32 v72, vcc_lo, 1.0, v68, 1.0
	s_delay_alu instid0(VALU_DEP_1) | instskip(NEXT) | instid1(VALU_DEP_1)
	v_mul_f32_e32 v73, v72, v70
	v_fma_f32 v74, -v69, v73, v72
	s_delay_alu instid0(VALU_DEP_1) | instskip(NEXT) | instid1(VALU_DEP_1)
	v_fmac_f32_e32 v73, v74, v70
	v_fma_f32 v69, -v69, v73, v72
	s_delay_alu instid0(VALU_DEP_1) | instskip(NEXT) | instid1(VALU_DEP_1)
	v_div_fmas_f32 v69, v69, v70, v73
	v_div_fixup_f32 v70, v69, v68, 1.0
	s_delay_alu instid0(VALU_DEP_1)
	v_mul_f32_e64 v71, v71, -v70
.LBB121_196:
	s_or_b32 exec_lo, exec_lo, s1
	ds_store_b64 v221, v[70:71]
.LBB121_197:
	s_or_b32 exec_lo, exec_lo, s2
	s_wait_dscnt 0x0
	s_barrier_signal -1
	s_barrier_wait -1
	ds_load_b64 v[68:69], v221
	s_mov_b32 s1, exec_lo
	v_cmpx_lt_u32_e32 21, v220
	s_cbranch_execz .LBB121_199
; %bb.198:
	ds_load_2addr_b64 v[84:87], v222 offset0:22 offset1:23
	s_wait_dscnt 0x1
	v_pk_mul_f32 v[72:73], v[68:69], v[94:95] op_sel:[1,1] op_sel_hi:[0,1]
	s_delay_alu instid0(VALU_DEP_1) | instskip(SKIP_1) | instid1(VALU_DEP_1)
	v_pk_fma_f32 v[70:71], v[68:69], v[94:95], v[72:73] op_sel_hi:[1,0,1] neg_lo:[0,0,1] neg_hi:[0,0,1]
	v_pk_fma_f32 v[72:73], v[68:69], v[94:95], v[72:73] op_sel_hi:[1,0,1]
	v_dual_mov_b32 v94, v70 :: v_dual_mov_b32 v95, v73
	s_wait_dscnt 0x0
	s_delay_alu instid0(VALU_DEP_2) | instskip(NEXT) | instid1(VALU_DEP_1)
	v_pk_mul_f32 v[74:75], v[84:85], v[72:73] op_sel:[0,1]
	v_pk_fma_f32 v[88:89], v[84:85], v[70:71], v[74:75] op_sel:[0,0,1] op_sel_hi:[1,1,0] neg_lo:[0,0,1] neg_hi:[0,0,1]
	v_pk_fma_f32 v[74:75], v[84:85], v[70:71], v[74:75] op_sel:[0,0,1] op_sel_hi:[1,0,0]
	s_delay_alu instid0(VALU_DEP_1) | instskip(SKIP_1) | instid1(VALU_DEP_1)
	v_mov_b32_e32 v89, v75
	v_pk_mul_f32 v[74:75], v[86:87], v[72:73] op_sel:[0,1]
	v_pk_fma_f32 v[84:85], v[86:87], v[70:71], v[74:75] op_sel:[0,0,1] op_sel_hi:[1,1,0] neg_lo:[0,0,1] neg_hi:[0,0,1]
	v_pk_fma_f32 v[74:75], v[86:87], v[70:71], v[74:75] op_sel:[0,0,1] op_sel_hi:[1,0,0]
	s_delay_alu instid0(VALU_DEP_1) | instskip(SKIP_1) | instid1(VALU_DEP_2)
	v_mov_b32_e32 v85, v75
	v_pk_add_f32 v[96:97], v[96:97], v[88:89] neg_lo:[0,1] neg_hi:[0,1]
	v_pk_add_f32 v[92:93], v[92:93], v[84:85] neg_lo:[0,1] neg_hi:[0,1]
	ds_load_2addr_b64 v[84:87], v222 offset0:24 offset1:25
	s_wait_dscnt 0x0
	v_pk_mul_f32 v[74:75], v[84:85], v[72:73] op_sel:[0,1]
	s_delay_alu instid0(VALU_DEP_1) | instskip(SKIP_2) | instid1(VALU_DEP_2)
	v_pk_fma_f32 v[88:89], v[84:85], v[70:71], v[74:75] op_sel:[0,0,1] op_sel_hi:[1,1,0] neg_lo:[0,0,1] neg_hi:[0,0,1]
	v_pk_fma_f32 v[74:75], v[84:85], v[70:71], v[74:75] op_sel:[0,0,1] op_sel_hi:[1,0,0]
	v_dual_mul_f32 v84, v87, v73 :: v_dual_mov_b32 v74, v87
	v_dual_mov_b32 v89, v75 :: v_dual_mov_b32 v75, v86
	s_delay_alu instid0(VALU_DEP_2) | instskip(SKIP_1) | instid1(VALU_DEP_3)
	v_pk_fma_f32 v[84:85], v[86:87], v[94:95], v[84:85] op_sel_hi:[1,1,0] neg_lo:[0,0,1] neg_hi:[0,0,1]
	v_mul_f32_e32 v86, v87, v70
	v_pk_add_f32 v[114:115], v[114:115], v[88:89] neg_lo:[0,1] neg_hi:[0,1]
	s_delay_alu instid0(VALU_DEP_2) | instskip(NEXT) | instid1(VALU_DEP_1)
	v_pk_fma_f32 v[74:75], v[74:75], v[94:95], v[86:87] op_sel_hi:[1,1,0]
	v_mov_b32_e32 v85, v75
	s_delay_alu instid0(VALU_DEP_1) | instskip(SKIP_3) | instid1(VALU_DEP_1)
	v_pk_add_f32 v[110:111], v[110:111], v[84:85] neg_lo:[0,1] neg_hi:[0,1]
	ds_load_2addr_b64 v[84:87], v222 offset0:26 offset1:27
	s_wait_dscnt 0x0
	v_pk_mul_f32 v[74:75], v[84:85], v[72:73] op_sel:[0,1]
	v_pk_fma_f32 v[88:89], v[84:85], v[70:71], v[74:75] op_sel:[0,0,1] op_sel_hi:[1,1,0] neg_lo:[0,0,1] neg_hi:[0,0,1]
	v_pk_fma_f32 v[74:75], v[84:85], v[70:71], v[74:75] op_sel:[0,0,1] op_sel_hi:[1,0,0]
	s_delay_alu instid0(VALU_DEP_1) | instskip(SKIP_1) | instid1(VALU_DEP_2)
	v_mov_b32_e32 v89, v75
	v_pk_mul_f32 v[74:75], v[86:87], v[72:73] op_sel:[0,1]
	v_pk_add_f32 v[112:113], v[112:113], v[88:89] neg_lo:[0,1] neg_hi:[0,1]
	s_delay_alu instid0(VALU_DEP_2) | instskip(SKIP_1) | instid1(VALU_DEP_1)
	v_pk_fma_f32 v[84:85], v[86:87], v[70:71], v[74:75] op_sel:[0,0,1] op_sel_hi:[1,1,0] neg_lo:[0,0,1] neg_hi:[0,0,1]
	v_pk_fma_f32 v[74:75], v[86:87], v[70:71], v[74:75] op_sel:[0,0,1] op_sel_hi:[1,0,0]
	v_mov_b32_e32 v85, v75
	s_delay_alu instid0(VALU_DEP_1) | instskip(SKIP_3) | instid1(VALU_DEP_1)
	v_pk_add_f32 v[108:109], v[108:109], v[84:85] neg_lo:[0,1] neg_hi:[0,1]
	ds_load_2addr_b64 v[84:87], v222 offset0:28 offset1:29
	s_wait_dscnt 0x0
	v_pk_mul_f32 v[74:75], v[84:85], v[72:73] op_sel:[0,1]
	v_pk_fma_f32 v[88:89], v[84:85], v[70:71], v[74:75] op_sel:[0,0,1] op_sel_hi:[1,1,0] neg_lo:[0,0,1] neg_hi:[0,0,1]
	v_pk_fma_f32 v[74:75], v[84:85], v[70:71], v[74:75] op_sel:[0,0,1] op_sel_hi:[1,0,0]
	s_delay_alu instid0(VALU_DEP_1) | instskip(SKIP_1) | instid1(VALU_DEP_2)
	v_mov_b32_e32 v89, v75
	v_pk_mul_f32 v[74:75], v[86:87], v[72:73] op_sel:[0,1]
	v_pk_add_f32 v[130:131], v[130:131], v[88:89] neg_lo:[0,1] neg_hi:[0,1]
	s_delay_alu instid0(VALU_DEP_2) | instskip(SKIP_1) | instid1(VALU_DEP_1)
	v_pk_fma_f32 v[84:85], v[86:87], v[70:71], v[74:75] op_sel:[0,0,1] op_sel_hi:[1,1,0] neg_lo:[0,0,1] neg_hi:[0,0,1]
	v_pk_fma_f32 v[74:75], v[86:87], v[70:71], v[74:75] op_sel:[0,0,1] op_sel_hi:[1,0,0]
	v_mov_b32_e32 v85, v75
	s_delay_alu instid0(VALU_DEP_1) | instskip(SKIP_3) | instid1(VALU_DEP_1)
	v_pk_add_f32 v[126:127], v[126:127], v[84:85] neg_lo:[0,1] neg_hi:[0,1]
	ds_load_2addr_b64 v[84:87], v222 offset0:30 offset1:31
	s_wait_dscnt 0x0
	v_dual_mul_f32 v74, v85, v73 :: v_dual_mul_f32 v88, v85, v70
	v_pk_fma_f32 v[74:75], v[84:85], v[94:95], v[74:75] op_sel_hi:[1,1,0] neg_lo:[0,0,1] neg_hi:[0,0,1]
	s_delay_alu instid0(VALU_DEP_2) | instskip(NEXT) | instid1(VALU_DEP_1)
	v_pk_fma_f32 v[84:85], v[84:85], v[94:95], v[88:89] op_sel:[1,0,0] op_sel_hi:[0,1,0]
	v_mov_b32_e32 v75, v85
	s_delay_alu instid0(VALU_DEP_1) | instskip(SKIP_1) | instid1(VALU_DEP_1)
	v_pk_add_f32 v[128:129], v[128:129], v[74:75] neg_lo:[0,1] neg_hi:[0,1]
	v_pk_mul_f32 v[74:75], v[86:87], v[72:73] op_sel:[0,1]
	v_pk_fma_f32 v[84:85], v[86:87], v[70:71], v[74:75] op_sel:[0,0,1] op_sel_hi:[1,1,0] neg_lo:[0,0,1] neg_hi:[0,0,1]
	v_pk_fma_f32 v[74:75], v[86:87], v[70:71], v[74:75] op_sel:[0,0,1] op_sel_hi:[1,0,0]
	s_delay_alu instid0(VALU_DEP_1) | instskip(NEXT) | instid1(VALU_DEP_1)
	v_mov_b32_e32 v85, v75
	v_pk_add_f32 v[124:125], v[124:125], v[84:85] neg_lo:[0,1] neg_hi:[0,1]
	ds_load_2addr_b64 v[84:87], v222 offset0:32 offset1:33
	s_wait_dscnt 0x0
	v_pk_mul_f32 v[74:75], v[84:85], v[72:73] op_sel:[0,1]
	s_delay_alu instid0(VALU_DEP_1) | instskip(SKIP_1) | instid1(VALU_DEP_1)
	v_pk_fma_f32 v[88:89], v[84:85], v[70:71], v[74:75] op_sel:[0,0,1] op_sel_hi:[1,1,0] neg_lo:[0,0,1] neg_hi:[0,0,1]
	v_pk_fma_f32 v[74:75], v[84:85], v[70:71], v[74:75] op_sel:[0,0,1] op_sel_hi:[1,0,0]
	v_mov_b32_e32 v89, v75
	v_pk_mul_f32 v[74:75], v[86:87], v[72:73] op_sel:[0,1]
	s_delay_alu instid0(VALU_DEP_2) | instskip(NEXT) | instid1(VALU_DEP_2)
	v_pk_add_f32 v[146:147], v[146:147], v[88:89] neg_lo:[0,1] neg_hi:[0,1]
	v_pk_fma_f32 v[84:85], v[86:87], v[70:71], v[74:75] op_sel:[0,0,1] op_sel_hi:[1,1,0] neg_lo:[0,0,1] neg_hi:[0,0,1]
	v_pk_fma_f32 v[74:75], v[86:87], v[70:71], v[74:75] op_sel:[0,0,1] op_sel_hi:[1,0,0]
	s_delay_alu instid0(VALU_DEP_1) | instskip(NEXT) | instid1(VALU_DEP_1)
	v_mov_b32_e32 v85, v75
	v_pk_add_f32 v[142:143], v[142:143], v[84:85] neg_lo:[0,1] neg_hi:[0,1]
	ds_load_2addr_b64 v[84:87], v222 offset0:34 offset1:35
	s_wait_dscnt 0x0
	v_pk_mul_f32 v[74:75], v[84:85], v[72:73] op_sel:[0,1]
	s_delay_alu instid0(VALU_DEP_1) | instskip(SKIP_2) | instid1(VALU_DEP_2)
	v_pk_fma_f32 v[88:89], v[84:85], v[70:71], v[74:75] op_sel:[0,0,1] op_sel_hi:[1,1,0] neg_lo:[0,0,1] neg_hi:[0,0,1]
	v_pk_fma_f32 v[74:75], v[84:85], v[70:71], v[74:75] op_sel:[0,0,1] op_sel_hi:[1,0,0]
	v_dual_mul_f32 v84, v87, v73 :: v_dual_mov_b32 v74, v87
	v_dual_mov_b32 v89, v75 :: v_dual_mov_b32 v75, v86
	s_delay_alu instid0(VALU_DEP_2) | instskip(SKIP_1) | instid1(VALU_DEP_3)
	v_pk_fma_f32 v[84:85], v[86:87], v[94:95], v[84:85] op_sel_hi:[1,1,0] neg_lo:[0,0,1] neg_hi:[0,0,1]
	v_mul_f32_e32 v86, v87, v70
	v_pk_add_f32 v[144:145], v[144:145], v[88:89] neg_lo:[0,1] neg_hi:[0,1]
	s_delay_alu instid0(VALU_DEP_2) | instskip(NEXT) | instid1(VALU_DEP_1)
	v_pk_fma_f32 v[74:75], v[74:75], v[94:95], v[86:87] op_sel_hi:[1,1,0]
	v_mov_b32_e32 v85, v75
	s_delay_alu instid0(VALU_DEP_1) | instskip(SKIP_3) | instid1(VALU_DEP_1)
	v_pk_add_f32 v[140:141], v[140:141], v[84:85] neg_lo:[0,1] neg_hi:[0,1]
	ds_load_2addr_b64 v[84:87], v222 offset0:36 offset1:37
	s_wait_dscnt 0x0
	v_pk_mul_f32 v[74:75], v[84:85], v[72:73] op_sel:[0,1]
	v_pk_fma_f32 v[88:89], v[84:85], v[70:71], v[74:75] op_sel:[0,0,1] op_sel_hi:[1,1,0] neg_lo:[0,0,1] neg_hi:[0,0,1]
	v_pk_fma_f32 v[74:75], v[84:85], v[70:71], v[74:75] op_sel:[0,0,1] op_sel_hi:[1,0,0]
	s_delay_alu instid0(VALU_DEP_1) | instskip(SKIP_1) | instid1(VALU_DEP_2)
	v_mov_b32_e32 v89, v75
	v_pk_mul_f32 v[74:75], v[86:87], v[72:73] op_sel:[0,1]
	v_pk_add_f32 v[162:163], v[162:163], v[88:89] neg_lo:[0,1] neg_hi:[0,1]
	s_delay_alu instid0(VALU_DEP_2) | instskip(SKIP_1) | instid1(VALU_DEP_1)
	v_pk_fma_f32 v[84:85], v[86:87], v[70:71], v[74:75] op_sel:[0,0,1] op_sel_hi:[1,1,0] neg_lo:[0,0,1] neg_hi:[0,0,1]
	v_pk_fma_f32 v[74:75], v[86:87], v[70:71], v[74:75] op_sel:[0,0,1] op_sel_hi:[1,0,0]
	v_mov_b32_e32 v85, v75
	s_delay_alu instid0(VALU_DEP_1) | instskip(SKIP_3) | instid1(VALU_DEP_1)
	v_pk_add_f32 v[158:159], v[158:159], v[84:85] neg_lo:[0,1] neg_hi:[0,1]
	ds_load_2addr_b64 v[84:87], v222 offset0:38 offset1:39
	s_wait_dscnt 0x0
	v_pk_mul_f32 v[74:75], v[84:85], v[72:73] op_sel:[0,1]
	v_pk_fma_f32 v[88:89], v[84:85], v[70:71], v[74:75] op_sel:[0,0,1] op_sel_hi:[1,1,0] neg_lo:[0,0,1] neg_hi:[0,0,1]
	v_pk_fma_f32 v[74:75], v[84:85], v[70:71], v[74:75] op_sel:[0,0,1] op_sel_hi:[1,0,0]
	s_delay_alu instid0(VALU_DEP_1) | instskip(SKIP_1) | instid1(VALU_DEP_2)
	v_mov_b32_e32 v89, v75
	v_pk_mul_f32 v[74:75], v[86:87], v[72:73] op_sel:[0,1]
	v_pk_add_f32 v[160:161], v[160:161], v[88:89] neg_lo:[0,1] neg_hi:[0,1]
	s_delay_alu instid0(VALU_DEP_2) | instskip(SKIP_1) | instid1(VALU_DEP_1)
	v_pk_fma_f32 v[84:85], v[86:87], v[70:71], v[74:75] op_sel:[0,0,1] op_sel_hi:[1,1,0] neg_lo:[0,0,1] neg_hi:[0,0,1]
	v_pk_fma_f32 v[74:75], v[86:87], v[70:71], v[74:75] op_sel:[0,0,1] op_sel_hi:[1,0,0]
	v_mov_b32_e32 v85, v75
	s_delay_alu instid0(VALU_DEP_1) | instskip(SKIP_3) | instid1(VALU_DEP_1)
	v_pk_add_f32 v[156:157], v[156:157], v[84:85] neg_lo:[0,1] neg_hi:[0,1]
	ds_load_2addr_b64 v[84:87], v222 offset0:40 offset1:41
	s_wait_dscnt 0x0
	v_dual_mul_f32 v74, v85, v73 :: v_dual_mul_f32 v88, v85, v70
	v_pk_fma_f32 v[74:75], v[84:85], v[94:95], v[74:75] op_sel_hi:[1,1,0] neg_lo:[0,0,1] neg_hi:[0,0,1]
	s_delay_alu instid0(VALU_DEP_2) | instskip(NEXT) | instid1(VALU_DEP_1)
	v_pk_fma_f32 v[84:85], v[84:85], v[94:95], v[88:89] op_sel:[1,0,0] op_sel_hi:[0,1,0]
	v_mov_b32_e32 v75, v85
	s_delay_alu instid0(VALU_DEP_1) | instskip(SKIP_1) | instid1(VALU_DEP_1)
	v_pk_add_f32 v[178:179], v[178:179], v[74:75] neg_lo:[0,1] neg_hi:[0,1]
	v_pk_mul_f32 v[74:75], v[86:87], v[72:73] op_sel:[0,1]
	v_pk_fma_f32 v[84:85], v[86:87], v[70:71], v[74:75] op_sel:[0,0,1] op_sel_hi:[1,1,0] neg_lo:[0,0,1] neg_hi:[0,0,1]
	v_pk_fma_f32 v[74:75], v[86:87], v[70:71], v[74:75] op_sel:[0,0,1] op_sel_hi:[1,0,0]
	s_delay_alu instid0(VALU_DEP_1) | instskip(NEXT) | instid1(VALU_DEP_1)
	v_mov_b32_e32 v85, v75
	v_pk_add_f32 v[174:175], v[174:175], v[84:85] neg_lo:[0,1] neg_hi:[0,1]
	ds_load_2addr_b64 v[84:87], v222 offset0:42 offset1:43
	s_wait_dscnt 0x0
	v_pk_mul_f32 v[74:75], v[84:85], v[72:73] op_sel:[0,1]
	s_delay_alu instid0(VALU_DEP_1) | instskip(SKIP_1) | instid1(VALU_DEP_1)
	v_pk_fma_f32 v[88:89], v[84:85], v[70:71], v[74:75] op_sel:[0,0,1] op_sel_hi:[1,1,0] neg_lo:[0,0,1] neg_hi:[0,0,1]
	v_pk_fma_f32 v[74:75], v[84:85], v[70:71], v[74:75] op_sel:[0,0,1] op_sel_hi:[1,0,0]
	v_mov_b32_e32 v89, v75
	v_pk_mul_f32 v[74:75], v[86:87], v[72:73] op_sel:[0,1]
	s_delay_alu instid0(VALU_DEP_2) | instskip(NEXT) | instid1(VALU_DEP_2)
	v_pk_add_f32 v[176:177], v[176:177], v[88:89] neg_lo:[0,1] neg_hi:[0,1]
	v_pk_fma_f32 v[84:85], v[86:87], v[70:71], v[74:75] op_sel:[0,0,1] op_sel_hi:[1,1,0] neg_lo:[0,0,1] neg_hi:[0,0,1]
	v_pk_fma_f32 v[74:75], v[86:87], v[70:71], v[74:75] op_sel:[0,0,1] op_sel_hi:[1,0,0]
	s_delay_alu instid0(VALU_DEP_1) | instskip(NEXT) | instid1(VALU_DEP_1)
	v_mov_b32_e32 v85, v75
	v_pk_add_f32 v[172:173], v[172:173], v[84:85] neg_lo:[0,1] neg_hi:[0,1]
	ds_load_2addr_b64 v[84:87], v222 offset0:44 offset1:45
	s_wait_dscnt 0x0
	v_pk_mul_f32 v[74:75], v[84:85], v[72:73] op_sel:[0,1]
	s_delay_alu instid0(VALU_DEP_1) | instskip(SKIP_2) | instid1(VALU_DEP_2)
	v_pk_fma_f32 v[88:89], v[84:85], v[70:71], v[74:75] op_sel:[0,0,1] op_sel_hi:[1,1,0] neg_lo:[0,0,1] neg_hi:[0,0,1]
	v_pk_fma_f32 v[74:75], v[84:85], v[70:71], v[74:75] op_sel:[0,0,1] op_sel_hi:[1,0,0]
	v_dual_mul_f32 v84, v87, v73 :: v_dual_mov_b32 v74, v87
	v_dual_mov_b32 v89, v75 :: v_dual_mov_b32 v75, v86
	s_delay_alu instid0(VALU_DEP_2) | instskip(SKIP_1) | instid1(VALU_DEP_3)
	v_pk_fma_f32 v[84:85], v[86:87], v[94:95], v[84:85] op_sel_hi:[1,1,0] neg_lo:[0,0,1] neg_hi:[0,0,1]
	v_mul_f32_e32 v86, v87, v70
	v_pk_add_f32 v[194:195], v[194:195], v[88:89] neg_lo:[0,1] neg_hi:[0,1]
	s_delay_alu instid0(VALU_DEP_2) | instskip(NEXT) | instid1(VALU_DEP_1)
	v_pk_fma_f32 v[74:75], v[74:75], v[94:95], v[86:87] op_sel_hi:[1,1,0]
	v_mov_b32_e32 v85, v75
	s_delay_alu instid0(VALU_DEP_1) | instskip(SKIP_3) | instid1(VALU_DEP_1)
	v_pk_add_f32 v[190:191], v[190:191], v[84:85] neg_lo:[0,1] neg_hi:[0,1]
	ds_load_2addr_b64 v[84:87], v222 offset0:46 offset1:47
	s_wait_dscnt 0x0
	v_pk_mul_f32 v[74:75], v[84:85], v[72:73] op_sel:[0,1]
	v_pk_fma_f32 v[88:89], v[84:85], v[70:71], v[74:75] op_sel:[0,0,1] op_sel_hi:[1,1,0] neg_lo:[0,0,1] neg_hi:[0,0,1]
	v_pk_fma_f32 v[74:75], v[84:85], v[70:71], v[74:75] op_sel:[0,0,1] op_sel_hi:[1,0,0]
	s_delay_alu instid0(VALU_DEP_1) | instskip(SKIP_1) | instid1(VALU_DEP_2)
	v_mov_b32_e32 v89, v75
	v_pk_mul_f32 v[74:75], v[86:87], v[72:73] op_sel:[0,1]
	v_pk_add_f32 v[192:193], v[192:193], v[88:89] neg_lo:[0,1] neg_hi:[0,1]
	s_delay_alu instid0(VALU_DEP_2) | instskip(SKIP_1) | instid1(VALU_DEP_1)
	v_pk_fma_f32 v[84:85], v[86:87], v[70:71], v[74:75] op_sel:[0,0,1] op_sel_hi:[1,1,0] neg_lo:[0,0,1] neg_hi:[0,0,1]
	v_pk_fma_f32 v[74:75], v[86:87], v[70:71], v[74:75] op_sel:[0,0,1] op_sel_hi:[1,0,0]
	v_mov_b32_e32 v85, v75
	s_delay_alu instid0(VALU_DEP_1) | instskip(SKIP_3) | instid1(VALU_DEP_1)
	v_pk_add_f32 v[188:189], v[188:189], v[84:85] neg_lo:[0,1] neg_hi:[0,1]
	ds_load_2addr_b64 v[84:87], v222 offset0:48 offset1:49
	s_wait_dscnt 0x0
	v_pk_mul_f32 v[74:75], v[84:85], v[72:73] op_sel:[0,1]
	v_pk_fma_f32 v[88:89], v[84:85], v[70:71], v[74:75] op_sel:[0,0,1] op_sel_hi:[1,1,0] neg_lo:[0,0,1] neg_hi:[0,0,1]
	v_pk_fma_f32 v[74:75], v[84:85], v[70:71], v[74:75] op_sel:[0,0,1] op_sel_hi:[1,0,0]
	s_delay_alu instid0(VALU_DEP_1) | instskip(SKIP_1) | instid1(VALU_DEP_2)
	v_mov_b32_e32 v89, v75
	v_pk_mul_f32 v[74:75], v[86:87], v[72:73] op_sel:[0,1]
	v_pk_add_f32 v[216:217], v[216:217], v[88:89] neg_lo:[0,1] neg_hi:[0,1]
	s_delay_alu instid0(VALU_DEP_2) | instskip(SKIP_1) | instid1(VALU_DEP_1)
	v_pk_fma_f32 v[84:85], v[86:87], v[70:71], v[74:75] op_sel:[0,0,1] op_sel_hi:[1,1,0] neg_lo:[0,0,1] neg_hi:[0,0,1]
	v_pk_fma_f32 v[74:75], v[86:87], v[70:71], v[74:75] op_sel:[0,0,1] op_sel_hi:[1,0,0]
	v_mov_b32_e32 v85, v75
	s_delay_alu instid0(VALU_DEP_1) | instskip(SKIP_3) | instid1(VALU_DEP_1)
	v_pk_add_f32 v[212:213], v[212:213], v[84:85] neg_lo:[0,1] neg_hi:[0,1]
	ds_load_2addr_b64 v[84:87], v222 offset0:50 offset1:51
	s_wait_dscnt 0x0
	v_dual_mul_f32 v74, v85, v73 :: v_dual_mul_f32 v88, v85, v70
	v_pk_fma_f32 v[74:75], v[84:85], v[94:95], v[74:75] op_sel_hi:[1,1,0] neg_lo:[0,0,1] neg_hi:[0,0,1]
	s_delay_alu instid0(VALU_DEP_2) | instskip(NEXT) | instid1(VALU_DEP_1)
	v_pk_fma_f32 v[84:85], v[84:85], v[94:95], v[88:89] op_sel:[1,0,0] op_sel_hi:[0,1,0]
	v_mov_b32_e32 v75, v85
	s_delay_alu instid0(VALU_DEP_1) | instskip(SKIP_1) | instid1(VALU_DEP_1)
	v_pk_add_f32 v[214:215], v[214:215], v[74:75] neg_lo:[0,1] neg_hi:[0,1]
	v_pk_mul_f32 v[74:75], v[86:87], v[72:73] op_sel:[0,1]
	v_pk_fma_f32 v[84:85], v[86:87], v[70:71], v[74:75] op_sel:[0,0,1] op_sel_hi:[1,1,0] neg_lo:[0,0,1] neg_hi:[0,0,1]
	v_pk_fma_f32 v[74:75], v[86:87], v[70:71], v[74:75] op_sel:[0,0,1] op_sel_hi:[1,0,0]
	s_delay_alu instid0(VALU_DEP_1) | instskip(NEXT) | instid1(VALU_DEP_1)
	v_mov_b32_e32 v85, v75
	v_pk_add_f32 v[210:211], v[210:211], v[84:85] neg_lo:[0,1] neg_hi:[0,1]
	ds_load_2addr_b64 v[84:87], v222 offset0:52 offset1:53
	s_wait_dscnt 0x0
	v_pk_mul_f32 v[74:75], v[84:85], v[72:73] op_sel:[0,1]
	s_delay_alu instid0(VALU_DEP_1) | instskip(SKIP_1) | instid1(VALU_DEP_1)
	v_pk_fma_f32 v[88:89], v[84:85], v[70:71], v[74:75] op_sel:[0,0,1] op_sel_hi:[1,1,0] neg_lo:[0,0,1] neg_hi:[0,0,1]
	v_pk_fma_f32 v[74:75], v[84:85], v[70:71], v[74:75] op_sel:[0,0,1] op_sel_hi:[1,0,0]
	v_mov_b32_e32 v89, v75
	v_pk_mul_f32 v[74:75], v[86:87], v[72:73] op_sel:[0,1]
	s_delay_alu instid0(VALU_DEP_2) | instskip(NEXT) | instid1(VALU_DEP_2)
	v_pk_add_f32 v[240:241], v[240:241], v[88:89] neg_lo:[0,1] neg_hi:[0,1]
	v_pk_fma_f32 v[84:85], v[86:87], v[70:71], v[74:75] op_sel:[0,0,1] op_sel_hi:[1,1,0] neg_lo:[0,0,1] neg_hi:[0,0,1]
	v_pk_fma_f32 v[74:75], v[86:87], v[70:71], v[74:75] op_sel:[0,0,1] op_sel_hi:[1,0,0]
	s_delay_alu instid0(VALU_DEP_1) | instskip(NEXT) | instid1(VALU_DEP_1)
	v_mov_b32_e32 v85, v75
	v_pk_add_f32 v[232:233], v[232:233], v[84:85] neg_lo:[0,1] neg_hi:[0,1]
	ds_load_2addr_b64 v[84:87], v222 offset0:54 offset1:55
	s_wait_dscnt 0x0
	v_pk_mul_f32 v[74:75], v[84:85], v[72:73] op_sel:[0,1]
	s_delay_alu instid0(VALU_DEP_1) | instskip(SKIP_2) | instid1(VALU_DEP_2)
	v_pk_fma_f32 v[88:89], v[84:85], v[70:71], v[74:75] op_sel:[0,0,1] op_sel_hi:[1,1,0] neg_lo:[0,0,1] neg_hi:[0,0,1]
	v_pk_fma_f32 v[74:75], v[84:85], v[70:71], v[74:75] op_sel:[0,0,1] op_sel_hi:[1,0,0]
	v_dual_mul_f32 v84, v87, v73 :: v_dual_mov_b32 v74, v87
	v_dual_mov_b32 v89, v75 :: v_dual_mov_b32 v75, v86
	s_delay_alu instid0(VALU_DEP_2) | instskip(SKIP_1) | instid1(VALU_DEP_3)
	v_pk_fma_f32 v[84:85], v[86:87], v[94:95], v[84:85] op_sel_hi:[1,1,0] neg_lo:[0,0,1] neg_hi:[0,0,1]
	v_mul_f32_e32 v86, v87, v70
	v_pk_add_f32 v[238:239], v[238:239], v[88:89] neg_lo:[0,1] neg_hi:[0,1]
	s_delay_alu instid0(VALU_DEP_2) | instskip(NEXT) | instid1(VALU_DEP_1)
	v_pk_fma_f32 v[74:75], v[74:75], v[94:95], v[86:87] op_sel_hi:[1,1,0]
	v_mov_b32_e32 v85, v75
	s_delay_alu instid0(VALU_DEP_1) | instskip(SKIP_3) | instid1(VALU_DEP_1)
	v_pk_add_f32 v[230:231], v[230:231], v[84:85] neg_lo:[0,1] neg_hi:[0,1]
	ds_load_2addr_b64 v[84:87], v222 offset0:56 offset1:57
	s_wait_dscnt 0x0
	v_pk_mul_f32 v[74:75], v[84:85], v[72:73] op_sel:[0,1]
	v_pk_fma_f32 v[88:89], v[84:85], v[70:71], v[74:75] op_sel:[0,0,1] op_sel_hi:[1,1,0] neg_lo:[0,0,1] neg_hi:[0,0,1]
	v_pk_fma_f32 v[74:75], v[84:85], v[70:71], v[74:75] op_sel:[0,0,1] op_sel_hi:[1,0,0]
	s_delay_alu instid0(VALU_DEP_1) | instskip(SKIP_1) | instid1(VALU_DEP_2)
	v_mov_b32_e32 v89, v75
	v_pk_mul_f32 v[74:75], v[86:87], v[72:73] op_sel:[0,1]
	v_pk_add_f32 v[236:237], v[236:237], v[88:89] neg_lo:[0,1] neg_hi:[0,1]
	s_delay_alu instid0(VALU_DEP_2) | instskip(SKIP_1) | instid1(VALU_DEP_1)
	v_pk_fma_f32 v[84:85], v[86:87], v[70:71], v[74:75] op_sel:[0,0,1] op_sel_hi:[1,1,0] neg_lo:[0,0,1] neg_hi:[0,0,1]
	v_pk_fma_f32 v[74:75], v[86:87], v[70:71], v[74:75] op_sel:[0,0,1] op_sel_hi:[1,0,0]
	v_mov_b32_e32 v85, v75
	s_delay_alu instid0(VALU_DEP_1) | instskip(SKIP_3) | instid1(VALU_DEP_1)
	v_pk_add_f32 v[228:229], v[228:229], v[84:85] neg_lo:[0,1] neg_hi:[0,1]
	ds_load_2addr_b64 v[84:87], v222 offset0:58 offset1:59
	s_wait_dscnt 0x0
	v_pk_mul_f32 v[74:75], v[84:85], v[72:73] op_sel:[0,1]
	v_pk_fma_f32 v[88:89], v[84:85], v[70:71], v[74:75] op_sel:[0,0,1] op_sel_hi:[1,1,0] neg_lo:[0,0,1] neg_hi:[0,0,1]
	v_pk_fma_f32 v[74:75], v[84:85], v[70:71], v[74:75] op_sel:[0,0,1] op_sel_hi:[1,0,0]
	s_delay_alu instid0(VALU_DEP_1) | instskip(SKIP_1) | instid1(VALU_DEP_2)
	v_mov_b32_e32 v89, v75
	v_pk_mul_f32 v[74:75], v[86:87], v[72:73] op_sel:[0,1]
	v_pk_add_f32 v[234:235], v[234:235], v[88:89] neg_lo:[0,1] neg_hi:[0,1]
	s_delay_alu instid0(VALU_DEP_2) | instskip(SKIP_1) | instid1(VALU_DEP_1)
	v_pk_fma_f32 v[84:85], v[86:87], v[70:71], v[74:75] op_sel:[0,0,1] op_sel_hi:[1,1,0] neg_lo:[0,0,1] neg_hi:[0,0,1]
	v_pk_fma_f32 v[74:75], v[86:87], v[70:71], v[74:75] op_sel:[0,0,1] op_sel_hi:[1,0,0]
	v_mov_b32_e32 v85, v75
	ds_load_b64 v[74:75], v222 offset:480
	v_pk_add_f32 v[242:243], v[242:243], v[84:85] neg_lo:[0,1] neg_hi:[0,1]
	s_wait_dscnt 0x0
	v_pk_mul_f32 v[72:73], v[74:75], v[72:73] op_sel:[0,1]
	s_delay_alu instid0(VALU_DEP_1) | instskip(SKIP_1) | instid1(VALU_DEP_1)
	v_pk_fma_f32 v[84:85], v[74:75], v[70:71], v[72:73] op_sel:[0,0,1] op_sel_hi:[1,1,0] neg_lo:[0,0,1] neg_hi:[0,0,1]
	v_pk_fma_f32 v[70:71], v[74:75], v[70:71], v[72:73] op_sel:[0,0,1] op_sel_hi:[1,0,0]
	v_mov_b32_e32 v85, v71
	s_delay_alu instid0(VALU_DEP_1)
	v_pk_add_f32 v[244:245], v[244:245], v[84:85] neg_lo:[0,1] neg_hi:[0,1]
.LBB121_199:
	s_or_b32 exec_lo, exec_lo, s1
	s_delay_alu instid0(SALU_CYCLE_1)
	s_mov_b32 s2, exec_lo
	s_wait_dscnt 0x0
	s_barrier_signal -1
	s_barrier_wait -1
	v_cmpx_eq_u32_e32 22, v220
	s_cbranch_execz .LBB121_206
; %bb.200:
	ds_store_b64 v221, v[96:97]
	ds_store_2addr_b64 v222, v[92:93], v[114:115] offset0:23 offset1:24
	ds_store_2addr_b64 v222, v[110:111], v[112:113] offset0:25 offset1:26
	;; [unrolled: 1-line block ×19, first 2 shown]
	ds_load_b64 v[70:71], v221
	s_wait_dscnt 0x0
	v_cmp_neq_f32_e32 vcc_lo, 0, v70
	v_cmp_neq_f32_e64 s1, 0, v71
	s_or_b32 s1, vcc_lo, s1
	s_delay_alu instid0(SALU_CYCLE_1)
	s_and_b32 exec_lo, exec_lo, s1
	s_cbranch_execz .LBB121_206
; %bb.201:
	v_cmp_ngt_f32_e64 s1, |v70|, |v71|
                                        ; implicit-def: $vgpr72_vgpr73
	s_and_saveexec_b32 s4, s1
	s_delay_alu instid0(SALU_CYCLE_1)
	s_xor_b32 s1, exec_lo, s4
	s_cbranch_execz .LBB121_203
; %bb.202:
	v_div_scale_f32 v72, null, v71, v71, v70
	v_div_scale_f32 v75, vcc_lo, v70, v71, v70
	s_delay_alu instid0(VALU_DEP_2) | instskip(SKIP_1) | instid1(TRANS32_DEP_1)
	v_rcp_f32_e32 v73, v72
	v_nop
	v_fma_f32 v74, -v72, v73, 1.0
	s_delay_alu instid0(VALU_DEP_1) | instskip(NEXT) | instid1(VALU_DEP_1)
	v_fmac_f32_e32 v73, v74, v73
	v_mul_f32_e32 v74, v75, v73
	s_delay_alu instid0(VALU_DEP_1) | instskip(NEXT) | instid1(VALU_DEP_1)
	v_fma_f32 v84, -v72, v74, v75
	v_fmac_f32_e32 v74, v84, v73
	s_delay_alu instid0(VALU_DEP_1) | instskip(NEXT) | instid1(VALU_DEP_1)
	v_fma_f32 v72, -v72, v74, v75
	v_div_fmas_f32 v72, v72, v73, v74
	s_delay_alu instid0(VALU_DEP_1) | instskip(NEXT) | instid1(VALU_DEP_1)
	v_div_fixup_f32 v72, v72, v71, v70
	v_fmac_f32_e32 v71, v70, v72
	s_delay_alu instid0(VALU_DEP_1) | instskip(SKIP_1) | instid1(VALU_DEP_2)
	v_div_scale_f32 v70, null, v71, v71, 1.0
	v_div_scale_f32 v75, vcc_lo, 1.0, v71, 1.0
	v_rcp_f32_e32 v73, v70
	v_nop
	s_delay_alu instid0(TRANS32_DEP_1) | instskip(NEXT) | instid1(VALU_DEP_1)
	v_fma_f32 v74, -v70, v73, 1.0
	v_fmac_f32_e32 v73, v74, v73
	s_delay_alu instid0(VALU_DEP_1) | instskip(NEXT) | instid1(VALU_DEP_1)
	v_mul_f32_e32 v74, v75, v73
	v_fma_f32 v84, -v70, v74, v75
	s_delay_alu instid0(VALU_DEP_1) | instskip(NEXT) | instid1(VALU_DEP_1)
	v_fmac_f32_e32 v74, v84, v73
	v_fma_f32 v70, -v70, v74, v75
	s_delay_alu instid0(VALU_DEP_1) | instskip(NEXT) | instid1(VALU_DEP_1)
	v_div_fmas_f32 v70, v70, v73, v74
	v_div_fixup_f32 v70, v70, v71, 1.0
	s_delay_alu instid0(VALU_DEP_1)
	v_mul_f32_e32 v72, v72, v70
	v_xor_b32_e32 v73, 0x80000000, v70
                                        ; implicit-def: $vgpr70_vgpr71
.LBB121_203:
	s_and_not1_saveexec_b32 s1, s1
	s_cbranch_execz .LBB121_205
; %bb.204:
	v_div_scale_f32 v72, null, v70, v70, v71
	v_div_scale_f32 v75, vcc_lo, v71, v70, v71
	s_delay_alu instid0(VALU_DEP_2) | instskip(SKIP_1) | instid1(TRANS32_DEP_1)
	v_rcp_f32_e32 v73, v72
	v_nop
	v_fma_f32 v74, -v72, v73, 1.0
	s_delay_alu instid0(VALU_DEP_1) | instskip(NEXT) | instid1(VALU_DEP_1)
	v_fmac_f32_e32 v73, v74, v73
	v_mul_f32_e32 v74, v75, v73
	s_delay_alu instid0(VALU_DEP_1) | instskip(NEXT) | instid1(VALU_DEP_1)
	v_fma_f32 v84, -v72, v74, v75
	v_fmac_f32_e32 v74, v84, v73
	s_delay_alu instid0(VALU_DEP_1) | instskip(NEXT) | instid1(VALU_DEP_1)
	v_fma_f32 v72, -v72, v74, v75
	v_div_fmas_f32 v72, v72, v73, v74
	s_delay_alu instid0(VALU_DEP_1) | instskip(NEXT) | instid1(VALU_DEP_1)
	v_div_fixup_f32 v73, v72, v70, v71
	v_fmac_f32_e32 v70, v71, v73
	s_delay_alu instid0(VALU_DEP_1) | instskip(NEXT) | instid1(VALU_DEP_1)
	v_div_scale_f32 v71, null, v70, v70, 1.0
	v_rcp_f32_e32 v72, v71
	v_nop
	s_delay_alu instid0(TRANS32_DEP_1) | instskip(NEXT) | instid1(VALU_DEP_1)
	v_fma_f32 v74, -v71, v72, 1.0
	v_fmac_f32_e32 v72, v74, v72
	v_div_scale_f32 v74, vcc_lo, 1.0, v70, 1.0
	s_delay_alu instid0(VALU_DEP_1) | instskip(NEXT) | instid1(VALU_DEP_1)
	v_mul_f32_e32 v75, v74, v72
	v_fma_f32 v84, -v71, v75, v74
	s_delay_alu instid0(VALU_DEP_1) | instskip(NEXT) | instid1(VALU_DEP_1)
	v_fmac_f32_e32 v75, v84, v72
	v_fma_f32 v71, -v71, v75, v74
	s_delay_alu instid0(VALU_DEP_1) | instskip(NEXT) | instid1(VALU_DEP_1)
	v_div_fmas_f32 v71, v71, v72, v75
	v_div_fixup_f32 v72, v71, v70, 1.0
	s_delay_alu instid0(VALU_DEP_1)
	v_mul_f32_e64 v73, v73, -v72
.LBB121_205:
	s_or_b32 exec_lo, exec_lo, s1
	ds_store_b64 v221, v[72:73]
.LBB121_206:
	s_or_b32 exec_lo, exec_lo, s2
	s_wait_dscnt 0x0
	s_barrier_signal -1
	s_barrier_wait -1
	ds_load_b64 v[70:71], v221
	s_mov_b32 s1, exec_lo
	v_cmpx_lt_u32_e32 22, v220
	s_cbranch_execz .LBB121_208
; %bb.207:
	ds_load_2addr_b64 v[84:87], v222 offset0:23 offset1:24
	s_wait_dscnt 0x1
	v_pk_mul_f32 v[74:75], v[70:71], v[96:97] op_sel:[1,1] op_sel_hi:[0,1]
	s_delay_alu instid0(VALU_DEP_1) | instskip(SKIP_1) | instid1(VALU_DEP_1)
	v_pk_fma_f32 v[72:73], v[70:71], v[96:97], v[74:75] op_sel_hi:[1,0,1] neg_lo:[0,0,1] neg_hi:[0,0,1]
	v_pk_fma_f32 v[74:75], v[70:71], v[96:97], v[74:75] op_sel_hi:[1,0,1]
	v_dual_mov_b32 v96, v72 :: v_dual_mov_b32 v97, v75
	s_wait_dscnt 0x0
	s_delay_alu instid0(VALU_DEP_2) | instskip(NEXT) | instid1(VALU_DEP_1)
	v_pk_mul_f32 v[88:89], v[84:85], v[74:75] op_sel:[0,1]
	v_pk_fma_f32 v[90:91], v[84:85], v[72:73], v[88:89] op_sel:[0,0,1] op_sel_hi:[1,1,0] neg_lo:[0,0,1] neg_hi:[0,0,1]
	v_pk_fma_f32 v[84:85], v[84:85], v[72:73], v[88:89] op_sel:[0,0,1] op_sel_hi:[1,0,0]
	s_delay_alu instid0(VALU_DEP_1) | instskip(SKIP_1) | instid1(VALU_DEP_1)
	v_mov_b32_e32 v91, v85
	v_pk_mul_f32 v[84:85], v[86:87], v[74:75] op_sel:[0,1]
	v_pk_fma_f32 v[88:89], v[86:87], v[72:73], v[84:85] op_sel:[0,0,1] op_sel_hi:[1,1,0] neg_lo:[0,0,1] neg_hi:[0,0,1]
	v_pk_fma_f32 v[84:85], v[86:87], v[72:73], v[84:85] op_sel:[0,0,1] op_sel_hi:[1,0,0]
	s_delay_alu instid0(VALU_DEP_1)
	v_mov_b32_e32 v89, v85
	ds_load_2addr_b64 v[84:87], v222 offset0:25 offset1:26
	v_pk_add_f32 v[92:93], v[92:93], v[90:91] neg_lo:[0,1] neg_hi:[0,1]
	v_pk_add_f32 v[114:115], v[114:115], v[88:89] neg_lo:[0,1] neg_hi:[0,1]
	s_wait_dscnt 0x0
	v_pk_mul_f32 v[88:89], v[84:85], v[74:75] op_sel:[0,1]
	s_delay_alu instid0(VALU_DEP_1) | instskip(SKIP_2) | instid1(VALU_DEP_2)
	v_pk_fma_f32 v[90:91], v[84:85], v[72:73], v[88:89] op_sel:[0,0,1] op_sel_hi:[1,1,0] neg_lo:[0,0,1] neg_hi:[0,0,1]
	v_pk_fma_f32 v[84:85], v[84:85], v[72:73], v[88:89] op_sel:[0,0,1] op_sel_hi:[1,0,0]
	v_dual_mul_f32 v88, v87, v75 :: v_dual_mov_b32 v84, v87
	v_dual_mov_b32 v91, v85 :: v_dual_mov_b32 v85, v86
	s_delay_alu instid0(VALU_DEP_2) | instskip(SKIP_1) | instid1(VALU_DEP_3)
	v_pk_fma_f32 v[88:89], v[86:87], v[96:97], v[88:89] op_sel_hi:[1,1,0] neg_lo:[0,0,1] neg_hi:[0,0,1]
	v_mul_f32_e32 v86, v87, v72
	v_pk_add_f32 v[110:111], v[110:111], v[90:91] neg_lo:[0,1] neg_hi:[0,1]
	s_delay_alu instid0(VALU_DEP_2) | instskip(NEXT) | instid1(VALU_DEP_1)
	v_pk_fma_f32 v[84:85], v[84:85], v[96:97], v[86:87] op_sel_hi:[1,1,0]
	v_mov_b32_e32 v89, v85
	ds_load_2addr_b64 v[84:87], v222 offset0:27 offset1:28
	v_pk_add_f32 v[112:113], v[112:113], v[88:89] neg_lo:[0,1] neg_hi:[0,1]
	s_wait_dscnt 0x0
	v_pk_mul_f32 v[88:89], v[84:85], v[74:75] op_sel:[0,1]
	s_delay_alu instid0(VALU_DEP_1) | instskip(SKIP_1) | instid1(VALU_DEP_1)
	v_pk_fma_f32 v[90:91], v[84:85], v[72:73], v[88:89] op_sel:[0,0,1] op_sel_hi:[1,1,0] neg_lo:[0,0,1] neg_hi:[0,0,1]
	v_pk_fma_f32 v[84:85], v[84:85], v[72:73], v[88:89] op_sel:[0,0,1] op_sel_hi:[1,0,0]
	v_mov_b32_e32 v91, v85
	v_pk_mul_f32 v[84:85], v[86:87], v[74:75] op_sel:[0,1]
	s_delay_alu instid0(VALU_DEP_1) | instskip(SKIP_1) | instid1(VALU_DEP_1)
	v_pk_fma_f32 v[88:89], v[86:87], v[72:73], v[84:85] op_sel:[0,0,1] op_sel_hi:[1,1,0] neg_lo:[0,0,1] neg_hi:[0,0,1]
	v_pk_fma_f32 v[84:85], v[86:87], v[72:73], v[84:85] op_sel:[0,0,1] op_sel_hi:[1,0,0]
	v_mov_b32_e32 v89, v85
	ds_load_2addr_b64 v[84:87], v222 offset0:29 offset1:30
	v_pk_add_f32 v[108:109], v[108:109], v[90:91] neg_lo:[0,1] neg_hi:[0,1]
	v_pk_add_f32 v[130:131], v[130:131], v[88:89] neg_lo:[0,1] neg_hi:[0,1]
	s_wait_dscnt 0x0
	v_pk_mul_f32 v[88:89], v[84:85], v[74:75] op_sel:[0,1]
	s_delay_alu instid0(VALU_DEP_1) | instskip(SKIP_1) | instid1(VALU_DEP_1)
	v_pk_fma_f32 v[90:91], v[84:85], v[72:73], v[88:89] op_sel:[0,0,1] op_sel_hi:[1,1,0] neg_lo:[0,0,1] neg_hi:[0,0,1]
	v_pk_fma_f32 v[84:85], v[84:85], v[72:73], v[88:89] op_sel:[0,0,1] op_sel_hi:[1,0,0]
	v_mov_b32_e32 v91, v85
	v_pk_mul_f32 v[84:85], v[86:87], v[74:75] op_sel:[0,1]
	s_delay_alu instid0(VALU_DEP_1) | instskip(SKIP_1) | instid1(VALU_DEP_1)
	v_pk_fma_f32 v[88:89], v[86:87], v[72:73], v[84:85] op_sel:[0,0,1] op_sel_hi:[1,1,0] neg_lo:[0,0,1] neg_hi:[0,0,1]
	v_pk_fma_f32 v[84:85], v[86:87], v[72:73], v[84:85] op_sel:[0,0,1] op_sel_hi:[1,0,0]
	v_mov_b32_e32 v89, v85
	ds_load_2addr_b64 v[84:87], v222 offset0:31 offset1:32
	v_pk_add_f32 v[126:127], v[126:127], v[90:91] neg_lo:[0,1] neg_hi:[0,1]
	v_pk_add_f32 v[128:129], v[128:129], v[88:89] neg_lo:[0,1] neg_hi:[0,1]
	s_wait_dscnt 0x0
	v_dual_mul_f32 v88, v85, v75 :: v_dual_mul_f32 v90, v85, v72
	s_delay_alu instid0(VALU_DEP_1) | instskip(NEXT) | instid1(VALU_DEP_2)
	v_pk_fma_f32 v[88:89], v[84:85], v[96:97], v[88:89] op_sel_hi:[1,1,0] neg_lo:[0,0,1] neg_hi:[0,0,1]
	v_pk_fma_f32 v[84:85], v[84:85], v[96:97], v[90:91] op_sel:[1,0,0] op_sel_hi:[0,1,0]
	s_delay_alu instid0(VALU_DEP_1) | instskip(SKIP_1) | instid1(VALU_DEP_2)
	v_mov_b32_e32 v89, v85
	v_pk_mul_f32 v[84:85], v[86:87], v[74:75] op_sel:[0,1]
	v_pk_add_f32 v[124:125], v[124:125], v[88:89] neg_lo:[0,1] neg_hi:[0,1]
	s_delay_alu instid0(VALU_DEP_2) | instskip(SKIP_1) | instid1(VALU_DEP_1)
	v_pk_fma_f32 v[88:89], v[86:87], v[72:73], v[84:85] op_sel:[0,0,1] op_sel_hi:[1,1,0] neg_lo:[0,0,1] neg_hi:[0,0,1]
	v_pk_fma_f32 v[84:85], v[86:87], v[72:73], v[84:85] op_sel:[0,0,1] op_sel_hi:[1,0,0]
	v_mov_b32_e32 v89, v85
	ds_load_2addr_b64 v[84:87], v222 offset0:33 offset1:34
	v_pk_add_f32 v[146:147], v[146:147], v[88:89] neg_lo:[0,1] neg_hi:[0,1]
	s_wait_dscnt 0x0
	v_pk_mul_f32 v[88:89], v[84:85], v[74:75] op_sel:[0,1]
	s_delay_alu instid0(VALU_DEP_1) | instskip(SKIP_1) | instid1(VALU_DEP_1)
	v_pk_fma_f32 v[90:91], v[84:85], v[72:73], v[88:89] op_sel:[0,0,1] op_sel_hi:[1,1,0] neg_lo:[0,0,1] neg_hi:[0,0,1]
	v_pk_fma_f32 v[84:85], v[84:85], v[72:73], v[88:89] op_sel:[0,0,1] op_sel_hi:[1,0,0]
	v_mov_b32_e32 v91, v85
	v_pk_mul_f32 v[84:85], v[86:87], v[74:75] op_sel:[0,1]
	s_delay_alu instid0(VALU_DEP_2) | instskip(NEXT) | instid1(VALU_DEP_2)
	v_pk_add_f32 v[142:143], v[142:143], v[90:91] neg_lo:[0,1] neg_hi:[0,1]
	v_pk_fma_f32 v[88:89], v[86:87], v[72:73], v[84:85] op_sel:[0,0,1] op_sel_hi:[1,1,0] neg_lo:[0,0,1] neg_hi:[0,0,1]
	v_pk_fma_f32 v[84:85], v[86:87], v[72:73], v[84:85] op_sel:[0,0,1] op_sel_hi:[1,0,0]
	s_delay_alu instid0(VALU_DEP_1) | instskip(SKIP_4) | instid1(VALU_DEP_1)
	v_mov_b32_e32 v89, v85
	ds_load_2addr_b64 v[84:87], v222 offset0:35 offset1:36
	v_pk_add_f32 v[144:145], v[144:145], v[88:89] neg_lo:[0,1] neg_hi:[0,1]
	s_wait_dscnt 0x0
	v_pk_mul_f32 v[88:89], v[84:85], v[74:75] op_sel:[0,1]
	v_pk_fma_f32 v[90:91], v[84:85], v[72:73], v[88:89] op_sel:[0,0,1] op_sel_hi:[1,1,0] neg_lo:[0,0,1] neg_hi:[0,0,1]
	v_pk_fma_f32 v[84:85], v[84:85], v[72:73], v[88:89] op_sel:[0,0,1] op_sel_hi:[1,0,0]
	v_dual_mul_f32 v88, v87, v75 :: v_dual_mov_b32 v84, v87
	s_delay_alu instid0(VALU_DEP_2) | instskip(NEXT) | instid1(VALU_DEP_2)
	v_dual_mov_b32 v91, v85 :: v_dual_mov_b32 v85, v86
	v_pk_fma_f32 v[88:89], v[86:87], v[96:97], v[88:89] op_sel_hi:[1,1,0] neg_lo:[0,0,1] neg_hi:[0,0,1]
	v_mul_f32_e32 v86, v87, v72
	s_delay_alu instid0(VALU_DEP_3) | instskip(NEXT) | instid1(VALU_DEP_2)
	v_pk_add_f32 v[140:141], v[140:141], v[90:91] neg_lo:[0,1] neg_hi:[0,1]
	v_pk_fma_f32 v[84:85], v[84:85], v[96:97], v[86:87] op_sel_hi:[1,1,0]
	s_delay_alu instid0(VALU_DEP_1) | instskip(SKIP_4) | instid1(VALU_DEP_1)
	v_mov_b32_e32 v89, v85
	ds_load_2addr_b64 v[84:87], v222 offset0:37 offset1:38
	v_pk_add_f32 v[162:163], v[162:163], v[88:89] neg_lo:[0,1] neg_hi:[0,1]
	s_wait_dscnt 0x0
	v_pk_mul_f32 v[88:89], v[84:85], v[74:75] op_sel:[0,1]
	v_pk_fma_f32 v[90:91], v[84:85], v[72:73], v[88:89] op_sel:[0,0,1] op_sel_hi:[1,1,0] neg_lo:[0,0,1] neg_hi:[0,0,1]
	v_pk_fma_f32 v[84:85], v[84:85], v[72:73], v[88:89] op_sel:[0,0,1] op_sel_hi:[1,0,0]
	s_delay_alu instid0(VALU_DEP_1) | instskip(SKIP_1) | instid1(VALU_DEP_1)
	v_mov_b32_e32 v91, v85
	v_pk_mul_f32 v[84:85], v[86:87], v[74:75] op_sel:[0,1]
	v_pk_fma_f32 v[88:89], v[86:87], v[72:73], v[84:85] op_sel:[0,0,1] op_sel_hi:[1,1,0] neg_lo:[0,0,1] neg_hi:[0,0,1]
	v_pk_fma_f32 v[84:85], v[86:87], v[72:73], v[84:85] op_sel:[0,0,1] op_sel_hi:[1,0,0]
	s_delay_alu instid0(VALU_DEP_1)
	v_mov_b32_e32 v89, v85
	ds_load_2addr_b64 v[84:87], v222 offset0:39 offset1:40
	v_pk_add_f32 v[158:159], v[158:159], v[90:91] neg_lo:[0,1] neg_hi:[0,1]
	v_pk_add_f32 v[160:161], v[160:161], v[88:89] neg_lo:[0,1] neg_hi:[0,1]
	s_wait_dscnt 0x0
	v_pk_mul_f32 v[88:89], v[84:85], v[74:75] op_sel:[0,1]
	s_delay_alu instid0(VALU_DEP_1) | instskip(SKIP_1) | instid1(VALU_DEP_1)
	v_pk_fma_f32 v[90:91], v[84:85], v[72:73], v[88:89] op_sel:[0,0,1] op_sel_hi:[1,1,0] neg_lo:[0,0,1] neg_hi:[0,0,1]
	v_pk_fma_f32 v[84:85], v[84:85], v[72:73], v[88:89] op_sel:[0,0,1] op_sel_hi:[1,0,0]
	v_mov_b32_e32 v91, v85
	v_pk_mul_f32 v[84:85], v[86:87], v[74:75] op_sel:[0,1]
	s_delay_alu instid0(VALU_DEP_1) | instskip(SKIP_1) | instid1(VALU_DEP_1)
	v_pk_fma_f32 v[88:89], v[86:87], v[72:73], v[84:85] op_sel:[0,0,1] op_sel_hi:[1,1,0] neg_lo:[0,0,1] neg_hi:[0,0,1]
	v_pk_fma_f32 v[84:85], v[86:87], v[72:73], v[84:85] op_sel:[0,0,1] op_sel_hi:[1,0,0]
	v_mov_b32_e32 v89, v85
	ds_load_2addr_b64 v[84:87], v222 offset0:41 offset1:42
	v_pk_add_f32 v[156:157], v[156:157], v[90:91] neg_lo:[0,1] neg_hi:[0,1]
	v_pk_add_f32 v[178:179], v[178:179], v[88:89] neg_lo:[0,1] neg_hi:[0,1]
	s_wait_dscnt 0x0
	v_dual_mul_f32 v88, v85, v75 :: v_dual_mul_f32 v90, v85, v72
	s_delay_alu instid0(VALU_DEP_1) | instskip(NEXT) | instid1(VALU_DEP_2)
	v_pk_fma_f32 v[88:89], v[84:85], v[96:97], v[88:89] op_sel_hi:[1,1,0] neg_lo:[0,0,1] neg_hi:[0,0,1]
	v_pk_fma_f32 v[84:85], v[84:85], v[96:97], v[90:91] op_sel:[1,0,0] op_sel_hi:[0,1,0]
	s_delay_alu instid0(VALU_DEP_1) | instskip(SKIP_1) | instid1(VALU_DEP_2)
	v_mov_b32_e32 v89, v85
	v_pk_mul_f32 v[84:85], v[86:87], v[74:75] op_sel:[0,1]
	v_pk_add_f32 v[174:175], v[174:175], v[88:89] neg_lo:[0,1] neg_hi:[0,1]
	s_delay_alu instid0(VALU_DEP_2) | instskip(SKIP_1) | instid1(VALU_DEP_1)
	v_pk_fma_f32 v[88:89], v[86:87], v[72:73], v[84:85] op_sel:[0,0,1] op_sel_hi:[1,1,0] neg_lo:[0,0,1] neg_hi:[0,0,1]
	v_pk_fma_f32 v[84:85], v[86:87], v[72:73], v[84:85] op_sel:[0,0,1] op_sel_hi:[1,0,0]
	v_mov_b32_e32 v89, v85
	ds_load_2addr_b64 v[84:87], v222 offset0:43 offset1:44
	v_pk_add_f32 v[176:177], v[176:177], v[88:89] neg_lo:[0,1] neg_hi:[0,1]
	s_wait_dscnt 0x0
	v_pk_mul_f32 v[88:89], v[84:85], v[74:75] op_sel:[0,1]
	s_delay_alu instid0(VALU_DEP_1) | instskip(SKIP_1) | instid1(VALU_DEP_1)
	v_pk_fma_f32 v[90:91], v[84:85], v[72:73], v[88:89] op_sel:[0,0,1] op_sel_hi:[1,1,0] neg_lo:[0,0,1] neg_hi:[0,0,1]
	v_pk_fma_f32 v[84:85], v[84:85], v[72:73], v[88:89] op_sel:[0,0,1] op_sel_hi:[1,0,0]
	v_mov_b32_e32 v91, v85
	v_pk_mul_f32 v[84:85], v[86:87], v[74:75] op_sel:[0,1]
	s_delay_alu instid0(VALU_DEP_2) | instskip(NEXT) | instid1(VALU_DEP_2)
	v_pk_add_f32 v[172:173], v[172:173], v[90:91] neg_lo:[0,1] neg_hi:[0,1]
	v_pk_fma_f32 v[88:89], v[86:87], v[72:73], v[84:85] op_sel:[0,0,1] op_sel_hi:[1,1,0] neg_lo:[0,0,1] neg_hi:[0,0,1]
	v_pk_fma_f32 v[84:85], v[86:87], v[72:73], v[84:85] op_sel:[0,0,1] op_sel_hi:[1,0,0]
	s_delay_alu instid0(VALU_DEP_1) | instskip(SKIP_4) | instid1(VALU_DEP_1)
	v_mov_b32_e32 v89, v85
	ds_load_2addr_b64 v[84:87], v222 offset0:45 offset1:46
	v_pk_add_f32 v[194:195], v[194:195], v[88:89] neg_lo:[0,1] neg_hi:[0,1]
	s_wait_dscnt 0x0
	v_pk_mul_f32 v[88:89], v[84:85], v[74:75] op_sel:[0,1]
	v_pk_fma_f32 v[90:91], v[84:85], v[72:73], v[88:89] op_sel:[0,0,1] op_sel_hi:[1,1,0] neg_lo:[0,0,1] neg_hi:[0,0,1]
	v_pk_fma_f32 v[84:85], v[84:85], v[72:73], v[88:89] op_sel:[0,0,1] op_sel_hi:[1,0,0]
	v_dual_mul_f32 v88, v87, v75 :: v_dual_mov_b32 v84, v87
	s_delay_alu instid0(VALU_DEP_2) | instskip(NEXT) | instid1(VALU_DEP_2)
	v_dual_mov_b32 v91, v85 :: v_dual_mov_b32 v85, v86
	v_pk_fma_f32 v[88:89], v[86:87], v[96:97], v[88:89] op_sel_hi:[1,1,0] neg_lo:[0,0,1] neg_hi:[0,0,1]
	v_mul_f32_e32 v86, v87, v72
	s_delay_alu instid0(VALU_DEP_3) | instskip(NEXT) | instid1(VALU_DEP_2)
	v_pk_add_f32 v[190:191], v[190:191], v[90:91] neg_lo:[0,1] neg_hi:[0,1]
	v_pk_fma_f32 v[84:85], v[84:85], v[96:97], v[86:87] op_sel_hi:[1,1,0]
	s_delay_alu instid0(VALU_DEP_1) | instskip(SKIP_4) | instid1(VALU_DEP_1)
	v_mov_b32_e32 v89, v85
	ds_load_2addr_b64 v[84:87], v222 offset0:47 offset1:48
	v_pk_add_f32 v[192:193], v[192:193], v[88:89] neg_lo:[0,1] neg_hi:[0,1]
	s_wait_dscnt 0x0
	v_pk_mul_f32 v[88:89], v[84:85], v[74:75] op_sel:[0,1]
	v_pk_fma_f32 v[90:91], v[84:85], v[72:73], v[88:89] op_sel:[0,0,1] op_sel_hi:[1,1,0] neg_lo:[0,0,1] neg_hi:[0,0,1]
	v_pk_fma_f32 v[84:85], v[84:85], v[72:73], v[88:89] op_sel:[0,0,1] op_sel_hi:[1,0,0]
	s_delay_alu instid0(VALU_DEP_1) | instskip(SKIP_1) | instid1(VALU_DEP_1)
	v_mov_b32_e32 v91, v85
	v_pk_mul_f32 v[84:85], v[86:87], v[74:75] op_sel:[0,1]
	v_pk_fma_f32 v[88:89], v[86:87], v[72:73], v[84:85] op_sel:[0,0,1] op_sel_hi:[1,1,0] neg_lo:[0,0,1] neg_hi:[0,0,1]
	v_pk_fma_f32 v[84:85], v[86:87], v[72:73], v[84:85] op_sel:[0,0,1] op_sel_hi:[1,0,0]
	s_delay_alu instid0(VALU_DEP_1)
	v_mov_b32_e32 v89, v85
	ds_load_2addr_b64 v[84:87], v222 offset0:49 offset1:50
	v_pk_add_f32 v[188:189], v[188:189], v[90:91] neg_lo:[0,1] neg_hi:[0,1]
	v_pk_add_f32 v[216:217], v[216:217], v[88:89] neg_lo:[0,1] neg_hi:[0,1]
	s_wait_dscnt 0x0
	v_pk_mul_f32 v[88:89], v[84:85], v[74:75] op_sel:[0,1]
	s_delay_alu instid0(VALU_DEP_1) | instskip(SKIP_1) | instid1(VALU_DEP_1)
	v_pk_fma_f32 v[90:91], v[84:85], v[72:73], v[88:89] op_sel:[0,0,1] op_sel_hi:[1,1,0] neg_lo:[0,0,1] neg_hi:[0,0,1]
	v_pk_fma_f32 v[84:85], v[84:85], v[72:73], v[88:89] op_sel:[0,0,1] op_sel_hi:[1,0,0]
	v_mov_b32_e32 v91, v85
	v_pk_mul_f32 v[84:85], v[86:87], v[74:75] op_sel:[0,1]
	s_delay_alu instid0(VALU_DEP_1) | instskip(SKIP_1) | instid1(VALU_DEP_1)
	v_pk_fma_f32 v[88:89], v[86:87], v[72:73], v[84:85] op_sel:[0,0,1] op_sel_hi:[1,1,0] neg_lo:[0,0,1] neg_hi:[0,0,1]
	v_pk_fma_f32 v[84:85], v[86:87], v[72:73], v[84:85] op_sel:[0,0,1] op_sel_hi:[1,0,0]
	v_mov_b32_e32 v89, v85
	ds_load_2addr_b64 v[84:87], v222 offset0:51 offset1:52
	v_pk_add_f32 v[212:213], v[212:213], v[90:91] neg_lo:[0,1] neg_hi:[0,1]
	v_pk_add_f32 v[214:215], v[214:215], v[88:89] neg_lo:[0,1] neg_hi:[0,1]
	s_wait_dscnt 0x0
	v_dual_mul_f32 v88, v85, v75 :: v_dual_mul_f32 v90, v85, v72
	s_delay_alu instid0(VALU_DEP_1) | instskip(NEXT) | instid1(VALU_DEP_2)
	v_pk_fma_f32 v[88:89], v[84:85], v[96:97], v[88:89] op_sel_hi:[1,1,0] neg_lo:[0,0,1] neg_hi:[0,0,1]
	v_pk_fma_f32 v[84:85], v[84:85], v[96:97], v[90:91] op_sel:[1,0,0] op_sel_hi:[0,1,0]
	s_delay_alu instid0(VALU_DEP_1) | instskip(SKIP_1) | instid1(VALU_DEP_2)
	v_mov_b32_e32 v89, v85
	v_pk_mul_f32 v[84:85], v[86:87], v[74:75] op_sel:[0,1]
	v_pk_add_f32 v[210:211], v[210:211], v[88:89] neg_lo:[0,1] neg_hi:[0,1]
	s_delay_alu instid0(VALU_DEP_2) | instskip(SKIP_1) | instid1(VALU_DEP_1)
	v_pk_fma_f32 v[88:89], v[86:87], v[72:73], v[84:85] op_sel:[0,0,1] op_sel_hi:[1,1,0] neg_lo:[0,0,1] neg_hi:[0,0,1]
	v_pk_fma_f32 v[84:85], v[86:87], v[72:73], v[84:85] op_sel:[0,0,1] op_sel_hi:[1,0,0]
	v_mov_b32_e32 v89, v85
	ds_load_2addr_b64 v[84:87], v222 offset0:53 offset1:54
	v_pk_add_f32 v[240:241], v[240:241], v[88:89] neg_lo:[0,1] neg_hi:[0,1]
	s_wait_dscnt 0x0
	v_pk_mul_f32 v[88:89], v[84:85], v[74:75] op_sel:[0,1]
	s_delay_alu instid0(VALU_DEP_1) | instskip(SKIP_1) | instid1(VALU_DEP_1)
	v_pk_fma_f32 v[90:91], v[84:85], v[72:73], v[88:89] op_sel:[0,0,1] op_sel_hi:[1,1,0] neg_lo:[0,0,1] neg_hi:[0,0,1]
	v_pk_fma_f32 v[84:85], v[84:85], v[72:73], v[88:89] op_sel:[0,0,1] op_sel_hi:[1,0,0]
	v_mov_b32_e32 v91, v85
	v_pk_mul_f32 v[84:85], v[86:87], v[74:75] op_sel:[0,1]
	s_delay_alu instid0(VALU_DEP_2) | instskip(NEXT) | instid1(VALU_DEP_2)
	v_pk_add_f32 v[232:233], v[232:233], v[90:91] neg_lo:[0,1] neg_hi:[0,1]
	v_pk_fma_f32 v[88:89], v[86:87], v[72:73], v[84:85] op_sel:[0,0,1] op_sel_hi:[1,1,0] neg_lo:[0,0,1] neg_hi:[0,0,1]
	v_pk_fma_f32 v[84:85], v[86:87], v[72:73], v[84:85] op_sel:[0,0,1] op_sel_hi:[1,0,0]
	s_delay_alu instid0(VALU_DEP_1) | instskip(SKIP_4) | instid1(VALU_DEP_1)
	v_mov_b32_e32 v89, v85
	ds_load_2addr_b64 v[84:87], v222 offset0:55 offset1:56
	v_pk_add_f32 v[238:239], v[238:239], v[88:89] neg_lo:[0,1] neg_hi:[0,1]
	s_wait_dscnt 0x0
	v_pk_mul_f32 v[88:89], v[84:85], v[74:75] op_sel:[0,1]
	v_pk_fma_f32 v[90:91], v[84:85], v[72:73], v[88:89] op_sel:[0,0,1] op_sel_hi:[1,1,0] neg_lo:[0,0,1] neg_hi:[0,0,1]
	v_pk_fma_f32 v[84:85], v[84:85], v[72:73], v[88:89] op_sel:[0,0,1] op_sel_hi:[1,0,0]
	v_dual_mul_f32 v88, v87, v75 :: v_dual_mov_b32 v84, v87
	s_delay_alu instid0(VALU_DEP_2) | instskip(NEXT) | instid1(VALU_DEP_2)
	v_dual_mov_b32 v91, v85 :: v_dual_mov_b32 v85, v86
	v_pk_fma_f32 v[88:89], v[86:87], v[96:97], v[88:89] op_sel_hi:[1,1,0] neg_lo:[0,0,1] neg_hi:[0,0,1]
	v_mul_f32_e32 v86, v87, v72
	s_delay_alu instid0(VALU_DEP_3) | instskip(NEXT) | instid1(VALU_DEP_2)
	v_pk_add_f32 v[230:231], v[230:231], v[90:91] neg_lo:[0,1] neg_hi:[0,1]
	v_pk_fma_f32 v[84:85], v[84:85], v[96:97], v[86:87] op_sel_hi:[1,1,0]
	s_delay_alu instid0(VALU_DEP_1) | instskip(SKIP_4) | instid1(VALU_DEP_1)
	v_mov_b32_e32 v89, v85
	ds_load_2addr_b64 v[84:87], v222 offset0:57 offset1:58
	v_pk_add_f32 v[236:237], v[236:237], v[88:89] neg_lo:[0,1] neg_hi:[0,1]
	s_wait_dscnt 0x0
	v_pk_mul_f32 v[88:89], v[84:85], v[74:75] op_sel:[0,1]
	v_pk_fma_f32 v[90:91], v[84:85], v[72:73], v[88:89] op_sel:[0,0,1] op_sel_hi:[1,1,0] neg_lo:[0,0,1] neg_hi:[0,0,1]
	v_pk_fma_f32 v[84:85], v[84:85], v[72:73], v[88:89] op_sel:[0,0,1] op_sel_hi:[1,0,0]
	s_delay_alu instid0(VALU_DEP_1) | instskip(SKIP_1) | instid1(VALU_DEP_1)
	v_mov_b32_e32 v91, v85
	v_pk_mul_f32 v[84:85], v[86:87], v[74:75] op_sel:[0,1]
	v_pk_fma_f32 v[88:89], v[86:87], v[72:73], v[84:85] op_sel:[0,0,1] op_sel_hi:[1,1,0] neg_lo:[0,0,1] neg_hi:[0,0,1]
	v_pk_fma_f32 v[84:85], v[86:87], v[72:73], v[84:85] op_sel:[0,0,1] op_sel_hi:[1,0,0]
	s_delay_alu instid0(VALU_DEP_1)
	v_mov_b32_e32 v89, v85
	ds_load_2addr_b64 v[84:87], v222 offset0:59 offset1:60
	v_pk_add_f32 v[228:229], v[228:229], v[90:91] neg_lo:[0,1] neg_hi:[0,1]
	v_pk_add_f32 v[234:235], v[234:235], v[88:89] neg_lo:[0,1] neg_hi:[0,1]
	s_wait_dscnt 0x0
	v_pk_mul_f32 v[88:89], v[84:85], v[74:75] op_sel:[0,1]
	v_pk_mul_f32 v[74:75], v[86:87], v[74:75] op_sel:[0,1]
	s_delay_alu instid0(VALU_DEP_2) | instskip(SKIP_1) | instid1(VALU_DEP_1)
	v_pk_fma_f32 v[90:91], v[84:85], v[72:73], v[88:89] op_sel:[0,0,1] op_sel_hi:[1,1,0] neg_lo:[0,0,1] neg_hi:[0,0,1]
	v_pk_fma_f32 v[84:85], v[84:85], v[72:73], v[88:89] op_sel:[0,0,1] op_sel_hi:[1,0,0]
	v_mov_b32_e32 v91, v85
	s_delay_alu instid0(VALU_DEP_4) | instskip(SKIP_1) | instid1(VALU_DEP_1)
	v_pk_fma_f32 v[84:85], v[86:87], v[72:73], v[74:75] op_sel:[0,0,1] op_sel_hi:[1,1,0] neg_lo:[0,0,1] neg_hi:[0,0,1]
	v_pk_fma_f32 v[72:73], v[86:87], v[72:73], v[74:75] op_sel:[0,0,1] op_sel_hi:[1,0,0]
	v_mov_b32_e32 v85, v73
	s_delay_alu instid0(VALU_DEP_4) | instskip(NEXT) | instid1(VALU_DEP_2)
	v_pk_add_f32 v[242:243], v[242:243], v[90:91] neg_lo:[0,1] neg_hi:[0,1]
	v_pk_add_f32 v[244:245], v[244:245], v[84:85] neg_lo:[0,1] neg_hi:[0,1]
.LBB121_208:
	s_or_b32 exec_lo, exec_lo, s1
	s_delay_alu instid0(SALU_CYCLE_1)
	s_mov_b32 s2, exec_lo
	s_wait_dscnt 0x0
	s_barrier_signal -1
	s_barrier_wait -1
	v_cmpx_eq_u32_e32 23, v220
	s_cbranch_execz .LBB121_215
; %bb.209:
	v_dual_mov_b32 v72, v114 :: v_dual_mov_b32 v73, v115
	v_dual_mov_b32 v74, v110 :: v_dual_mov_b32 v75, v111
	ds_store_b64 v221, v[92:93]
	ds_store_2addr_b64 v222, v[72:73], v[74:75] offset0:24 offset1:25
	v_dual_mov_b32 v72, v112 :: v_dual_mov_b32 v73, v113
	v_dual_mov_b32 v74, v108 :: v_dual_mov_b32 v75, v109
	ds_store_2addr_b64 v222, v[72:73], v[74:75] offset0:26 offset1:27
	v_dual_mov_b32 v72, v130 :: v_dual_mov_b32 v73, v131
	v_dual_mov_b32 v74, v126 :: v_dual_mov_b32 v75, v127
	;; [unrolled: 3-line block ×17, first 2 shown]
	ds_store_2addr_b64 v222, v[72:73], v[74:75] offset0:58 offset1:59
	ds_store_b64 v222, v[244:245] offset:480
	ds_load_b64 v[72:73], v221
	s_wait_dscnt 0x0
	v_cmp_neq_f32_e32 vcc_lo, 0, v72
	v_cmp_neq_f32_e64 s1, 0, v73
	s_or_b32 s1, vcc_lo, s1
	s_delay_alu instid0(SALU_CYCLE_1)
	s_and_b32 exec_lo, exec_lo, s1
	s_cbranch_execz .LBB121_215
; %bb.210:
	v_cmp_ngt_f32_e64 s1, |v72|, |v73|
                                        ; implicit-def: $vgpr74_vgpr75
	s_and_saveexec_b32 s4, s1
	s_delay_alu instid0(SALU_CYCLE_1)
	s_xor_b32 s1, exec_lo, s4
	s_cbranch_execz .LBB121_212
; %bb.211:
	v_div_scale_f32 v74, null, v73, v73, v72
	v_div_scale_f32 v85, vcc_lo, v72, v73, v72
	s_delay_alu instid0(VALU_DEP_2) | instskip(SKIP_1) | instid1(TRANS32_DEP_1)
	v_rcp_f32_e32 v75, v74
	v_nop
	v_fma_f32 v84, -v74, v75, 1.0
	s_delay_alu instid0(VALU_DEP_1) | instskip(NEXT) | instid1(VALU_DEP_1)
	v_fmac_f32_e32 v75, v84, v75
	v_mul_f32_e32 v84, v85, v75
	s_delay_alu instid0(VALU_DEP_1) | instskip(NEXT) | instid1(VALU_DEP_1)
	v_fma_f32 v86, -v74, v84, v85
	v_fmac_f32_e32 v84, v86, v75
	s_delay_alu instid0(VALU_DEP_1) | instskip(NEXT) | instid1(VALU_DEP_1)
	v_fma_f32 v74, -v74, v84, v85
	v_div_fmas_f32 v74, v74, v75, v84
	s_delay_alu instid0(VALU_DEP_1) | instskip(NEXT) | instid1(VALU_DEP_1)
	v_div_fixup_f32 v74, v74, v73, v72
	v_fmac_f32_e32 v73, v72, v74
	s_delay_alu instid0(VALU_DEP_1) | instskip(SKIP_1) | instid1(VALU_DEP_2)
	v_div_scale_f32 v72, null, v73, v73, 1.0
	v_div_scale_f32 v85, vcc_lo, 1.0, v73, 1.0
	v_rcp_f32_e32 v75, v72
	v_nop
	s_delay_alu instid0(TRANS32_DEP_1) | instskip(NEXT) | instid1(VALU_DEP_1)
	v_fma_f32 v84, -v72, v75, 1.0
	v_fmac_f32_e32 v75, v84, v75
	s_delay_alu instid0(VALU_DEP_1) | instskip(NEXT) | instid1(VALU_DEP_1)
	v_mul_f32_e32 v84, v85, v75
	v_fma_f32 v86, -v72, v84, v85
	s_delay_alu instid0(VALU_DEP_1) | instskip(NEXT) | instid1(VALU_DEP_1)
	v_fmac_f32_e32 v84, v86, v75
	v_fma_f32 v72, -v72, v84, v85
	s_delay_alu instid0(VALU_DEP_1) | instskip(NEXT) | instid1(VALU_DEP_1)
	v_div_fmas_f32 v72, v72, v75, v84
	v_div_fixup_f32 v72, v72, v73, 1.0
	s_delay_alu instid0(VALU_DEP_1)
	v_mul_f32_e32 v74, v74, v72
	v_xor_b32_e32 v75, 0x80000000, v72
                                        ; implicit-def: $vgpr72_vgpr73
.LBB121_212:
	s_and_not1_saveexec_b32 s1, s1
	s_cbranch_execz .LBB121_214
; %bb.213:
	v_div_scale_f32 v74, null, v72, v72, v73
	v_div_scale_f32 v85, vcc_lo, v73, v72, v73
	s_delay_alu instid0(VALU_DEP_2) | instskip(SKIP_1) | instid1(TRANS32_DEP_1)
	v_rcp_f32_e32 v75, v74
	v_nop
	v_fma_f32 v84, -v74, v75, 1.0
	s_delay_alu instid0(VALU_DEP_1) | instskip(NEXT) | instid1(VALU_DEP_1)
	v_fmac_f32_e32 v75, v84, v75
	v_mul_f32_e32 v84, v85, v75
	s_delay_alu instid0(VALU_DEP_1) | instskip(NEXT) | instid1(VALU_DEP_1)
	v_fma_f32 v86, -v74, v84, v85
	v_fmac_f32_e32 v84, v86, v75
	s_delay_alu instid0(VALU_DEP_1) | instskip(NEXT) | instid1(VALU_DEP_1)
	v_fma_f32 v74, -v74, v84, v85
	v_div_fmas_f32 v74, v74, v75, v84
	s_delay_alu instid0(VALU_DEP_1) | instskip(NEXT) | instid1(VALU_DEP_1)
	v_div_fixup_f32 v75, v74, v72, v73
	v_fmac_f32_e32 v72, v73, v75
	s_delay_alu instid0(VALU_DEP_1) | instskip(NEXT) | instid1(VALU_DEP_1)
	v_div_scale_f32 v73, null, v72, v72, 1.0
	v_rcp_f32_e32 v74, v73
	v_nop
	s_delay_alu instid0(TRANS32_DEP_1) | instskip(NEXT) | instid1(VALU_DEP_1)
	v_fma_f32 v84, -v73, v74, 1.0
	v_fmac_f32_e32 v74, v84, v74
	v_div_scale_f32 v84, vcc_lo, 1.0, v72, 1.0
	s_delay_alu instid0(VALU_DEP_1) | instskip(NEXT) | instid1(VALU_DEP_1)
	v_mul_f32_e32 v85, v84, v74
	v_fma_f32 v86, -v73, v85, v84
	s_delay_alu instid0(VALU_DEP_1) | instskip(NEXT) | instid1(VALU_DEP_1)
	v_fmac_f32_e32 v85, v86, v74
	v_fma_f32 v73, -v73, v85, v84
	s_delay_alu instid0(VALU_DEP_1) | instskip(NEXT) | instid1(VALU_DEP_1)
	v_div_fmas_f32 v73, v73, v74, v85
	v_div_fixup_f32 v74, v73, v72, 1.0
	s_delay_alu instid0(VALU_DEP_1)
	v_mul_f32_e64 v75, v75, -v74
.LBB121_214:
	s_or_b32 exec_lo, exec_lo, s1
	ds_store_b64 v221, v[74:75]
.LBB121_215:
	s_or_b32 exec_lo, exec_lo, s2
	s_wait_dscnt 0x0
	s_barrier_signal -1
	s_barrier_wait -1
	ds_load_b64 v[72:73], v221
	s_mov_b32 s1, exec_lo
	v_cmpx_lt_u32_e32 23, v220
	s_cbranch_execz .LBB121_217
; %bb.216:
	ds_load_2addr_b64 v[86:89], v222 offset0:24 offset1:25
	s_wait_dscnt 0x1
	v_pk_mul_f32 v[84:85], v[72:73], v[92:93] op_sel:[1,1] op_sel_hi:[0,1]
	s_delay_alu instid0(VALU_DEP_1) | instskip(SKIP_1) | instid1(VALU_DEP_1)
	v_pk_fma_f32 v[74:75], v[72:73], v[92:93], v[84:85] op_sel_hi:[1,0,1] neg_lo:[0,0,1] neg_hi:[0,0,1]
	v_pk_fma_f32 v[84:85], v[72:73], v[92:93], v[84:85] op_sel_hi:[1,0,1]
	v_dual_mov_b32 v92, v74 :: v_dual_mov_b32 v93, v85
	s_wait_dscnt 0x0
	s_delay_alu instid0(VALU_DEP_2) | instskip(NEXT) | instid1(VALU_DEP_1)
	v_pk_mul_f32 v[90:91], v[86:87], v[84:85] op_sel:[0,1]
	v_pk_fma_f32 v[100:101], v[86:87], v[74:75], v[90:91] op_sel:[0,0,1] op_sel_hi:[1,1,0] neg_lo:[0,0,1] neg_hi:[0,0,1]
	v_pk_fma_f32 v[86:87], v[86:87], v[74:75], v[90:91] op_sel:[0,0,1] op_sel_hi:[1,0,0]
	s_delay_alu instid0(VALU_DEP_1) | instskip(SKIP_1) | instid1(VALU_DEP_1)
	v_mov_b32_e32 v101, v87
	v_pk_mul_f32 v[86:87], v[88:89], v[84:85] op_sel:[0,1]
	v_pk_fma_f32 v[90:91], v[88:89], v[74:75], v[86:87] op_sel:[0,0,1] op_sel_hi:[1,1,0] neg_lo:[0,0,1] neg_hi:[0,0,1]
	v_pk_fma_f32 v[86:87], v[88:89], v[74:75], v[86:87] op_sel:[0,0,1] op_sel_hi:[1,0,0]
	s_delay_alu instid0(VALU_DEP_1)
	v_mov_b32_e32 v91, v87
	ds_load_2addr_b64 v[86:89], v222 offset0:26 offset1:27
	v_pk_add_f32 v[114:115], v[114:115], v[100:101] neg_lo:[0,1] neg_hi:[0,1]
	v_pk_add_f32 v[110:111], v[110:111], v[90:91] neg_lo:[0,1] neg_hi:[0,1]
	s_wait_dscnt 0x0
	v_pk_mul_f32 v[90:91], v[86:87], v[84:85] op_sel:[0,1]
	s_delay_alu instid0(VALU_DEP_1) | instskip(SKIP_2) | instid1(VALU_DEP_2)
	v_pk_fma_f32 v[100:101], v[86:87], v[74:75], v[90:91] op_sel:[0,0,1] op_sel_hi:[1,1,0] neg_lo:[0,0,1] neg_hi:[0,0,1]
	v_pk_fma_f32 v[86:87], v[86:87], v[74:75], v[90:91] op_sel:[0,0,1] op_sel_hi:[1,0,0]
	v_dual_mul_f32 v90, v89, v85 :: v_dual_mov_b32 v86, v89
	v_dual_mov_b32 v101, v87 :: v_dual_mov_b32 v87, v88
	s_delay_alu instid0(VALU_DEP_2) | instskip(SKIP_1) | instid1(VALU_DEP_3)
	v_pk_fma_f32 v[90:91], v[88:89], v[92:93], v[90:91] op_sel_hi:[1,1,0] neg_lo:[0,0,1] neg_hi:[0,0,1]
	v_mul_f32_e32 v88, v89, v74
	v_pk_add_f32 v[112:113], v[112:113], v[100:101] neg_lo:[0,1] neg_hi:[0,1]
	s_delay_alu instid0(VALU_DEP_2) | instskip(NEXT) | instid1(VALU_DEP_1)
	v_pk_fma_f32 v[86:87], v[86:87], v[92:93], v[88:89] op_sel_hi:[1,1,0]
	v_mov_b32_e32 v91, v87
	ds_load_2addr_b64 v[86:89], v222 offset0:28 offset1:29
	v_pk_add_f32 v[108:109], v[108:109], v[90:91] neg_lo:[0,1] neg_hi:[0,1]
	s_wait_dscnt 0x0
	v_pk_mul_f32 v[90:91], v[86:87], v[84:85] op_sel:[0,1]
	s_delay_alu instid0(VALU_DEP_1) | instskip(SKIP_1) | instid1(VALU_DEP_1)
	v_pk_fma_f32 v[100:101], v[86:87], v[74:75], v[90:91] op_sel:[0,0,1] op_sel_hi:[1,1,0] neg_lo:[0,0,1] neg_hi:[0,0,1]
	v_pk_fma_f32 v[86:87], v[86:87], v[74:75], v[90:91] op_sel:[0,0,1] op_sel_hi:[1,0,0]
	v_mov_b32_e32 v101, v87
	v_pk_mul_f32 v[86:87], v[88:89], v[84:85] op_sel:[0,1]
	s_delay_alu instid0(VALU_DEP_1) | instskip(SKIP_1) | instid1(VALU_DEP_1)
	v_pk_fma_f32 v[90:91], v[88:89], v[74:75], v[86:87] op_sel:[0,0,1] op_sel_hi:[1,1,0] neg_lo:[0,0,1] neg_hi:[0,0,1]
	v_pk_fma_f32 v[86:87], v[88:89], v[74:75], v[86:87] op_sel:[0,0,1] op_sel_hi:[1,0,0]
	v_mov_b32_e32 v91, v87
	ds_load_2addr_b64 v[86:89], v222 offset0:30 offset1:31
	v_pk_add_f32 v[130:131], v[130:131], v[100:101] neg_lo:[0,1] neg_hi:[0,1]
	v_pk_add_f32 v[126:127], v[126:127], v[90:91] neg_lo:[0,1] neg_hi:[0,1]
	s_wait_dscnt 0x0
	v_pk_mul_f32 v[90:91], v[86:87], v[84:85] op_sel:[0,1]
	s_delay_alu instid0(VALU_DEP_1) | instskip(SKIP_1) | instid1(VALU_DEP_1)
	v_pk_fma_f32 v[100:101], v[86:87], v[74:75], v[90:91] op_sel:[0,0,1] op_sel_hi:[1,1,0] neg_lo:[0,0,1] neg_hi:[0,0,1]
	v_pk_fma_f32 v[86:87], v[86:87], v[74:75], v[90:91] op_sel:[0,0,1] op_sel_hi:[1,0,0]
	v_mov_b32_e32 v101, v87
	v_pk_mul_f32 v[86:87], v[88:89], v[84:85] op_sel:[0,1]
	s_delay_alu instid0(VALU_DEP_1) | instskip(SKIP_1) | instid1(VALU_DEP_1)
	v_pk_fma_f32 v[90:91], v[88:89], v[74:75], v[86:87] op_sel:[0,0,1] op_sel_hi:[1,1,0] neg_lo:[0,0,1] neg_hi:[0,0,1]
	v_pk_fma_f32 v[86:87], v[88:89], v[74:75], v[86:87] op_sel:[0,0,1] op_sel_hi:[1,0,0]
	v_mov_b32_e32 v91, v87
	ds_load_2addr_b64 v[86:89], v222 offset0:32 offset1:33
	v_pk_add_f32 v[128:129], v[128:129], v[100:101] neg_lo:[0,1] neg_hi:[0,1]
	v_pk_add_f32 v[124:125], v[124:125], v[90:91] neg_lo:[0,1] neg_hi:[0,1]
	s_wait_dscnt 0x0
	v_dual_mul_f32 v90, v87, v85 :: v_dual_mul_f32 v100, v87, v74
	s_delay_alu instid0(VALU_DEP_1) | instskip(NEXT) | instid1(VALU_DEP_2)
	v_pk_fma_f32 v[90:91], v[86:87], v[92:93], v[90:91] op_sel_hi:[1,1,0] neg_lo:[0,0,1] neg_hi:[0,0,1]
	v_pk_fma_f32 v[86:87], v[86:87], v[92:93], v[100:101] op_sel:[1,0,0] op_sel_hi:[0,1,0]
	s_delay_alu instid0(VALU_DEP_1) | instskip(SKIP_1) | instid1(VALU_DEP_2)
	v_mov_b32_e32 v91, v87
	v_pk_mul_f32 v[86:87], v[88:89], v[84:85] op_sel:[0,1]
	v_pk_add_f32 v[146:147], v[146:147], v[90:91] neg_lo:[0,1] neg_hi:[0,1]
	s_delay_alu instid0(VALU_DEP_2) | instskip(SKIP_1) | instid1(VALU_DEP_1)
	v_pk_fma_f32 v[90:91], v[88:89], v[74:75], v[86:87] op_sel:[0,0,1] op_sel_hi:[1,1,0] neg_lo:[0,0,1] neg_hi:[0,0,1]
	v_pk_fma_f32 v[86:87], v[88:89], v[74:75], v[86:87] op_sel:[0,0,1] op_sel_hi:[1,0,0]
	v_mov_b32_e32 v91, v87
	ds_load_2addr_b64 v[86:89], v222 offset0:34 offset1:35
	v_pk_add_f32 v[142:143], v[142:143], v[90:91] neg_lo:[0,1] neg_hi:[0,1]
	s_wait_dscnt 0x0
	v_pk_mul_f32 v[90:91], v[86:87], v[84:85] op_sel:[0,1]
	s_delay_alu instid0(VALU_DEP_1) | instskip(SKIP_1) | instid1(VALU_DEP_1)
	v_pk_fma_f32 v[100:101], v[86:87], v[74:75], v[90:91] op_sel:[0,0,1] op_sel_hi:[1,1,0] neg_lo:[0,0,1] neg_hi:[0,0,1]
	v_pk_fma_f32 v[86:87], v[86:87], v[74:75], v[90:91] op_sel:[0,0,1] op_sel_hi:[1,0,0]
	v_mov_b32_e32 v101, v87
	v_pk_mul_f32 v[86:87], v[88:89], v[84:85] op_sel:[0,1]
	s_delay_alu instid0(VALU_DEP_2) | instskip(NEXT) | instid1(VALU_DEP_2)
	v_pk_add_f32 v[144:145], v[144:145], v[100:101] neg_lo:[0,1] neg_hi:[0,1]
	v_pk_fma_f32 v[90:91], v[88:89], v[74:75], v[86:87] op_sel:[0,0,1] op_sel_hi:[1,1,0] neg_lo:[0,0,1] neg_hi:[0,0,1]
	v_pk_fma_f32 v[86:87], v[88:89], v[74:75], v[86:87] op_sel:[0,0,1] op_sel_hi:[1,0,0]
	s_delay_alu instid0(VALU_DEP_1) | instskip(SKIP_4) | instid1(VALU_DEP_1)
	v_mov_b32_e32 v91, v87
	ds_load_2addr_b64 v[86:89], v222 offset0:36 offset1:37
	v_pk_add_f32 v[140:141], v[140:141], v[90:91] neg_lo:[0,1] neg_hi:[0,1]
	s_wait_dscnt 0x0
	v_pk_mul_f32 v[90:91], v[86:87], v[84:85] op_sel:[0,1]
	v_pk_fma_f32 v[100:101], v[86:87], v[74:75], v[90:91] op_sel:[0,0,1] op_sel_hi:[1,1,0] neg_lo:[0,0,1] neg_hi:[0,0,1]
	v_pk_fma_f32 v[86:87], v[86:87], v[74:75], v[90:91] op_sel:[0,0,1] op_sel_hi:[1,0,0]
	v_dual_mul_f32 v90, v89, v85 :: v_dual_mov_b32 v86, v89
	s_delay_alu instid0(VALU_DEP_2) | instskip(NEXT) | instid1(VALU_DEP_2)
	v_dual_mov_b32 v101, v87 :: v_dual_mov_b32 v87, v88
	v_pk_fma_f32 v[90:91], v[88:89], v[92:93], v[90:91] op_sel_hi:[1,1,0] neg_lo:[0,0,1] neg_hi:[0,0,1]
	v_mul_f32_e32 v88, v89, v74
	s_delay_alu instid0(VALU_DEP_3) | instskip(NEXT) | instid1(VALU_DEP_2)
	v_pk_add_f32 v[162:163], v[162:163], v[100:101] neg_lo:[0,1] neg_hi:[0,1]
	v_pk_fma_f32 v[86:87], v[86:87], v[92:93], v[88:89] op_sel_hi:[1,1,0]
	s_delay_alu instid0(VALU_DEP_1) | instskip(SKIP_4) | instid1(VALU_DEP_1)
	v_mov_b32_e32 v91, v87
	ds_load_2addr_b64 v[86:89], v222 offset0:38 offset1:39
	v_pk_add_f32 v[158:159], v[158:159], v[90:91] neg_lo:[0,1] neg_hi:[0,1]
	s_wait_dscnt 0x0
	v_pk_mul_f32 v[90:91], v[86:87], v[84:85] op_sel:[0,1]
	v_pk_fma_f32 v[100:101], v[86:87], v[74:75], v[90:91] op_sel:[0,0,1] op_sel_hi:[1,1,0] neg_lo:[0,0,1] neg_hi:[0,0,1]
	v_pk_fma_f32 v[86:87], v[86:87], v[74:75], v[90:91] op_sel:[0,0,1] op_sel_hi:[1,0,0]
	s_delay_alu instid0(VALU_DEP_1) | instskip(SKIP_1) | instid1(VALU_DEP_1)
	v_mov_b32_e32 v101, v87
	v_pk_mul_f32 v[86:87], v[88:89], v[84:85] op_sel:[0,1]
	v_pk_fma_f32 v[90:91], v[88:89], v[74:75], v[86:87] op_sel:[0,0,1] op_sel_hi:[1,1,0] neg_lo:[0,0,1] neg_hi:[0,0,1]
	v_pk_fma_f32 v[86:87], v[88:89], v[74:75], v[86:87] op_sel:[0,0,1] op_sel_hi:[1,0,0]
	s_delay_alu instid0(VALU_DEP_1)
	v_mov_b32_e32 v91, v87
	ds_load_2addr_b64 v[86:89], v222 offset0:40 offset1:41
	v_pk_add_f32 v[160:161], v[160:161], v[100:101] neg_lo:[0,1] neg_hi:[0,1]
	v_pk_add_f32 v[156:157], v[156:157], v[90:91] neg_lo:[0,1] neg_hi:[0,1]
	s_wait_dscnt 0x0
	v_pk_mul_f32 v[90:91], v[86:87], v[84:85] op_sel:[0,1]
	s_delay_alu instid0(VALU_DEP_1) | instskip(SKIP_1) | instid1(VALU_DEP_1)
	v_pk_fma_f32 v[100:101], v[86:87], v[74:75], v[90:91] op_sel:[0,0,1] op_sel_hi:[1,1,0] neg_lo:[0,0,1] neg_hi:[0,0,1]
	v_pk_fma_f32 v[86:87], v[86:87], v[74:75], v[90:91] op_sel:[0,0,1] op_sel_hi:[1,0,0]
	v_mov_b32_e32 v101, v87
	v_pk_mul_f32 v[86:87], v[88:89], v[84:85] op_sel:[0,1]
	s_delay_alu instid0(VALU_DEP_1) | instskip(SKIP_1) | instid1(VALU_DEP_1)
	v_pk_fma_f32 v[90:91], v[88:89], v[74:75], v[86:87] op_sel:[0,0,1] op_sel_hi:[1,1,0] neg_lo:[0,0,1] neg_hi:[0,0,1]
	v_pk_fma_f32 v[86:87], v[88:89], v[74:75], v[86:87] op_sel:[0,0,1] op_sel_hi:[1,0,0]
	v_mov_b32_e32 v91, v87
	ds_load_2addr_b64 v[86:89], v222 offset0:42 offset1:43
	v_pk_add_f32 v[178:179], v[178:179], v[100:101] neg_lo:[0,1] neg_hi:[0,1]
	v_pk_add_f32 v[174:175], v[174:175], v[90:91] neg_lo:[0,1] neg_hi:[0,1]
	s_wait_dscnt 0x0
	v_dual_mul_f32 v90, v87, v85 :: v_dual_mul_f32 v100, v87, v74
	s_delay_alu instid0(VALU_DEP_1) | instskip(NEXT) | instid1(VALU_DEP_2)
	v_pk_fma_f32 v[90:91], v[86:87], v[92:93], v[90:91] op_sel_hi:[1,1,0] neg_lo:[0,0,1] neg_hi:[0,0,1]
	v_pk_fma_f32 v[86:87], v[86:87], v[92:93], v[100:101] op_sel:[1,0,0] op_sel_hi:[0,1,0]
	s_delay_alu instid0(VALU_DEP_1) | instskip(SKIP_1) | instid1(VALU_DEP_2)
	v_mov_b32_e32 v91, v87
	v_pk_mul_f32 v[86:87], v[88:89], v[84:85] op_sel:[0,1]
	v_pk_add_f32 v[176:177], v[176:177], v[90:91] neg_lo:[0,1] neg_hi:[0,1]
	s_delay_alu instid0(VALU_DEP_2) | instskip(SKIP_1) | instid1(VALU_DEP_1)
	v_pk_fma_f32 v[90:91], v[88:89], v[74:75], v[86:87] op_sel:[0,0,1] op_sel_hi:[1,1,0] neg_lo:[0,0,1] neg_hi:[0,0,1]
	v_pk_fma_f32 v[86:87], v[88:89], v[74:75], v[86:87] op_sel:[0,0,1] op_sel_hi:[1,0,0]
	v_mov_b32_e32 v91, v87
	ds_load_2addr_b64 v[86:89], v222 offset0:44 offset1:45
	v_pk_add_f32 v[172:173], v[172:173], v[90:91] neg_lo:[0,1] neg_hi:[0,1]
	s_wait_dscnt 0x0
	v_pk_mul_f32 v[90:91], v[86:87], v[84:85] op_sel:[0,1]
	s_delay_alu instid0(VALU_DEP_1) | instskip(SKIP_1) | instid1(VALU_DEP_1)
	v_pk_fma_f32 v[100:101], v[86:87], v[74:75], v[90:91] op_sel:[0,0,1] op_sel_hi:[1,1,0] neg_lo:[0,0,1] neg_hi:[0,0,1]
	v_pk_fma_f32 v[86:87], v[86:87], v[74:75], v[90:91] op_sel:[0,0,1] op_sel_hi:[1,0,0]
	v_mov_b32_e32 v101, v87
	v_pk_mul_f32 v[86:87], v[88:89], v[84:85] op_sel:[0,1]
	s_delay_alu instid0(VALU_DEP_2) | instskip(NEXT) | instid1(VALU_DEP_2)
	v_pk_add_f32 v[194:195], v[194:195], v[100:101] neg_lo:[0,1] neg_hi:[0,1]
	v_pk_fma_f32 v[90:91], v[88:89], v[74:75], v[86:87] op_sel:[0,0,1] op_sel_hi:[1,1,0] neg_lo:[0,0,1] neg_hi:[0,0,1]
	v_pk_fma_f32 v[86:87], v[88:89], v[74:75], v[86:87] op_sel:[0,0,1] op_sel_hi:[1,0,0]
	s_delay_alu instid0(VALU_DEP_1) | instskip(SKIP_4) | instid1(VALU_DEP_1)
	v_mov_b32_e32 v91, v87
	ds_load_2addr_b64 v[86:89], v222 offset0:46 offset1:47
	v_pk_add_f32 v[190:191], v[190:191], v[90:91] neg_lo:[0,1] neg_hi:[0,1]
	s_wait_dscnt 0x0
	v_pk_mul_f32 v[90:91], v[86:87], v[84:85] op_sel:[0,1]
	v_pk_fma_f32 v[100:101], v[86:87], v[74:75], v[90:91] op_sel:[0,0,1] op_sel_hi:[1,1,0] neg_lo:[0,0,1] neg_hi:[0,0,1]
	v_pk_fma_f32 v[86:87], v[86:87], v[74:75], v[90:91] op_sel:[0,0,1] op_sel_hi:[1,0,0]
	v_dual_mul_f32 v90, v89, v85 :: v_dual_mov_b32 v86, v89
	s_delay_alu instid0(VALU_DEP_2) | instskip(NEXT) | instid1(VALU_DEP_2)
	v_dual_mov_b32 v101, v87 :: v_dual_mov_b32 v87, v88
	v_pk_fma_f32 v[90:91], v[88:89], v[92:93], v[90:91] op_sel_hi:[1,1,0] neg_lo:[0,0,1] neg_hi:[0,0,1]
	v_mul_f32_e32 v88, v89, v74
	s_delay_alu instid0(VALU_DEP_3) | instskip(NEXT) | instid1(VALU_DEP_2)
	v_pk_add_f32 v[192:193], v[192:193], v[100:101] neg_lo:[0,1] neg_hi:[0,1]
	v_pk_fma_f32 v[86:87], v[86:87], v[92:93], v[88:89] op_sel_hi:[1,1,0]
	s_delay_alu instid0(VALU_DEP_1) | instskip(SKIP_4) | instid1(VALU_DEP_1)
	v_mov_b32_e32 v91, v87
	ds_load_2addr_b64 v[86:89], v222 offset0:48 offset1:49
	v_pk_add_f32 v[188:189], v[188:189], v[90:91] neg_lo:[0,1] neg_hi:[0,1]
	s_wait_dscnt 0x0
	v_pk_mul_f32 v[90:91], v[86:87], v[84:85] op_sel:[0,1]
	v_pk_fma_f32 v[100:101], v[86:87], v[74:75], v[90:91] op_sel:[0,0,1] op_sel_hi:[1,1,0] neg_lo:[0,0,1] neg_hi:[0,0,1]
	v_pk_fma_f32 v[86:87], v[86:87], v[74:75], v[90:91] op_sel:[0,0,1] op_sel_hi:[1,0,0]
	s_delay_alu instid0(VALU_DEP_1) | instskip(SKIP_1) | instid1(VALU_DEP_1)
	v_mov_b32_e32 v101, v87
	v_pk_mul_f32 v[86:87], v[88:89], v[84:85] op_sel:[0,1]
	v_pk_fma_f32 v[90:91], v[88:89], v[74:75], v[86:87] op_sel:[0,0,1] op_sel_hi:[1,1,0] neg_lo:[0,0,1] neg_hi:[0,0,1]
	v_pk_fma_f32 v[86:87], v[88:89], v[74:75], v[86:87] op_sel:[0,0,1] op_sel_hi:[1,0,0]
	s_delay_alu instid0(VALU_DEP_1)
	v_mov_b32_e32 v91, v87
	ds_load_2addr_b64 v[86:89], v222 offset0:50 offset1:51
	v_pk_add_f32 v[216:217], v[216:217], v[100:101] neg_lo:[0,1] neg_hi:[0,1]
	v_pk_add_f32 v[212:213], v[212:213], v[90:91] neg_lo:[0,1] neg_hi:[0,1]
	s_wait_dscnt 0x0
	v_pk_mul_f32 v[90:91], v[86:87], v[84:85] op_sel:[0,1]
	s_delay_alu instid0(VALU_DEP_1) | instskip(SKIP_1) | instid1(VALU_DEP_1)
	v_pk_fma_f32 v[100:101], v[86:87], v[74:75], v[90:91] op_sel:[0,0,1] op_sel_hi:[1,1,0] neg_lo:[0,0,1] neg_hi:[0,0,1]
	v_pk_fma_f32 v[86:87], v[86:87], v[74:75], v[90:91] op_sel:[0,0,1] op_sel_hi:[1,0,0]
	v_mov_b32_e32 v101, v87
	v_pk_mul_f32 v[86:87], v[88:89], v[84:85] op_sel:[0,1]
	s_delay_alu instid0(VALU_DEP_1) | instskip(SKIP_1) | instid1(VALU_DEP_1)
	v_pk_fma_f32 v[90:91], v[88:89], v[74:75], v[86:87] op_sel:[0,0,1] op_sel_hi:[1,1,0] neg_lo:[0,0,1] neg_hi:[0,0,1]
	v_pk_fma_f32 v[86:87], v[88:89], v[74:75], v[86:87] op_sel:[0,0,1] op_sel_hi:[1,0,0]
	v_mov_b32_e32 v91, v87
	ds_load_2addr_b64 v[86:89], v222 offset0:52 offset1:53
	v_pk_add_f32 v[214:215], v[214:215], v[100:101] neg_lo:[0,1] neg_hi:[0,1]
	v_pk_add_f32 v[210:211], v[210:211], v[90:91] neg_lo:[0,1] neg_hi:[0,1]
	s_wait_dscnt 0x0
	v_dual_mul_f32 v90, v87, v85 :: v_dual_mul_f32 v100, v87, v74
	s_delay_alu instid0(VALU_DEP_1) | instskip(NEXT) | instid1(VALU_DEP_2)
	v_pk_fma_f32 v[90:91], v[86:87], v[92:93], v[90:91] op_sel_hi:[1,1,0] neg_lo:[0,0,1] neg_hi:[0,0,1]
	v_pk_fma_f32 v[86:87], v[86:87], v[92:93], v[100:101] op_sel:[1,0,0] op_sel_hi:[0,1,0]
	s_delay_alu instid0(VALU_DEP_1) | instskip(SKIP_1) | instid1(VALU_DEP_2)
	v_mov_b32_e32 v91, v87
	v_pk_mul_f32 v[86:87], v[88:89], v[84:85] op_sel:[0,1]
	v_pk_add_f32 v[240:241], v[240:241], v[90:91] neg_lo:[0,1] neg_hi:[0,1]
	s_delay_alu instid0(VALU_DEP_2) | instskip(SKIP_1) | instid1(VALU_DEP_1)
	v_pk_fma_f32 v[90:91], v[88:89], v[74:75], v[86:87] op_sel:[0,0,1] op_sel_hi:[1,1,0] neg_lo:[0,0,1] neg_hi:[0,0,1]
	v_pk_fma_f32 v[86:87], v[88:89], v[74:75], v[86:87] op_sel:[0,0,1] op_sel_hi:[1,0,0]
	v_mov_b32_e32 v91, v87
	ds_load_2addr_b64 v[86:89], v222 offset0:54 offset1:55
	v_pk_add_f32 v[232:233], v[232:233], v[90:91] neg_lo:[0,1] neg_hi:[0,1]
	s_wait_dscnt 0x0
	v_pk_mul_f32 v[90:91], v[86:87], v[84:85] op_sel:[0,1]
	s_delay_alu instid0(VALU_DEP_1) | instskip(SKIP_1) | instid1(VALU_DEP_1)
	v_pk_fma_f32 v[100:101], v[86:87], v[74:75], v[90:91] op_sel:[0,0,1] op_sel_hi:[1,1,0] neg_lo:[0,0,1] neg_hi:[0,0,1]
	v_pk_fma_f32 v[86:87], v[86:87], v[74:75], v[90:91] op_sel:[0,0,1] op_sel_hi:[1,0,0]
	v_mov_b32_e32 v101, v87
	v_pk_mul_f32 v[86:87], v[88:89], v[84:85] op_sel:[0,1]
	s_delay_alu instid0(VALU_DEP_2) | instskip(NEXT) | instid1(VALU_DEP_2)
	v_pk_add_f32 v[238:239], v[238:239], v[100:101] neg_lo:[0,1] neg_hi:[0,1]
	v_pk_fma_f32 v[90:91], v[88:89], v[74:75], v[86:87] op_sel:[0,0,1] op_sel_hi:[1,1,0] neg_lo:[0,0,1] neg_hi:[0,0,1]
	v_pk_fma_f32 v[86:87], v[88:89], v[74:75], v[86:87] op_sel:[0,0,1] op_sel_hi:[1,0,0]
	s_delay_alu instid0(VALU_DEP_1) | instskip(SKIP_4) | instid1(VALU_DEP_1)
	v_mov_b32_e32 v91, v87
	ds_load_2addr_b64 v[86:89], v222 offset0:56 offset1:57
	v_pk_add_f32 v[230:231], v[230:231], v[90:91] neg_lo:[0,1] neg_hi:[0,1]
	s_wait_dscnt 0x0
	v_pk_mul_f32 v[90:91], v[86:87], v[84:85] op_sel:[0,1]
	v_pk_fma_f32 v[100:101], v[86:87], v[74:75], v[90:91] op_sel:[0,0,1] op_sel_hi:[1,1,0] neg_lo:[0,0,1] neg_hi:[0,0,1]
	v_pk_fma_f32 v[86:87], v[86:87], v[74:75], v[90:91] op_sel:[0,0,1] op_sel_hi:[1,0,0]
	v_dual_mul_f32 v90, v89, v85 :: v_dual_mov_b32 v86, v89
	s_delay_alu instid0(VALU_DEP_2) | instskip(NEXT) | instid1(VALU_DEP_2)
	v_dual_mov_b32 v101, v87 :: v_dual_mov_b32 v87, v88
	v_pk_fma_f32 v[90:91], v[88:89], v[92:93], v[90:91] op_sel_hi:[1,1,0] neg_lo:[0,0,1] neg_hi:[0,0,1]
	v_mul_f32_e32 v88, v89, v74
	s_delay_alu instid0(VALU_DEP_3) | instskip(NEXT) | instid1(VALU_DEP_2)
	v_pk_add_f32 v[236:237], v[236:237], v[100:101] neg_lo:[0,1] neg_hi:[0,1]
	v_pk_fma_f32 v[86:87], v[86:87], v[92:93], v[88:89] op_sel_hi:[1,1,0]
	s_delay_alu instid0(VALU_DEP_1) | instskip(SKIP_4) | instid1(VALU_DEP_1)
	v_mov_b32_e32 v91, v87
	ds_load_2addr_b64 v[86:89], v222 offset0:58 offset1:59
	v_pk_add_f32 v[228:229], v[228:229], v[90:91] neg_lo:[0,1] neg_hi:[0,1]
	s_wait_dscnt 0x0
	v_pk_mul_f32 v[90:91], v[86:87], v[84:85] op_sel:[0,1]
	v_pk_fma_f32 v[100:101], v[86:87], v[74:75], v[90:91] op_sel:[0,0,1] op_sel_hi:[1,1,0] neg_lo:[0,0,1] neg_hi:[0,0,1]
	v_pk_fma_f32 v[86:87], v[86:87], v[74:75], v[90:91] op_sel:[0,0,1] op_sel_hi:[1,0,0]
	s_delay_alu instid0(VALU_DEP_1) | instskip(SKIP_1) | instid1(VALU_DEP_1)
	v_mov_b32_e32 v101, v87
	v_pk_mul_f32 v[86:87], v[88:89], v[84:85] op_sel:[0,1]
	v_pk_fma_f32 v[90:91], v[88:89], v[74:75], v[86:87] op_sel:[0,0,1] op_sel_hi:[1,1,0] neg_lo:[0,0,1] neg_hi:[0,0,1]
	v_pk_fma_f32 v[86:87], v[88:89], v[74:75], v[86:87] op_sel:[0,0,1] op_sel_hi:[1,0,0]
	s_delay_alu instid0(VALU_DEP_1)
	v_mov_b32_e32 v91, v87
	ds_load_b64 v[86:87], v222 offset:480
	v_pk_add_f32 v[234:235], v[234:235], v[100:101] neg_lo:[0,1] neg_hi:[0,1]
	v_pk_add_f32 v[242:243], v[242:243], v[90:91] neg_lo:[0,1] neg_hi:[0,1]
	s_wait_dscnt 0x0
	v_pk_mul_f32 v[84:85], v[86:87], v[84:85] op_sel:[0,1]
	s_delay_alu instid0(VALU_DEP_1) | instskip(SKIP_1) | instid1(VALU_DEP_1)
	v_pk_fma_f32 v[88:89], v[86:87], v[74:75], v[84:85] op_sel:[0,0,1] op_sel_hi:[1,1,0] neg_lo:[0,0,1] neg_hi:[0,0,1]
	v_pk_fma_f32 v[74:75], v[86:87], v[74:75], v[84:85] op_sel:[0,0,1] op_sel_hi:[1,0,0]
	v_mov_b32_e32 v89, v75
	s_delay_alu instid0(VALU_DEP_1)
	v_pk_add_f32 v[244:245], v[244:245], v[88:89] neg_lo:[0,1] neg_hi:[0,1]
.LBB121_217:
	s_or_b32 exec_lo, exec_lo, s1
	s_delay_alu instid0(SALU_CYCLE_1)
	s_mov_b32 s2, exec_lo
	s_wait_dscnt 0x0
	s_barrier_signal -1
	s_barrier_wait -1
	v_cmpx_eq_u32_e32 24, v220
	s_cbranch_execz .LBB121_224
; %bb.218:
	ds_store_b64 v221, v[114:115]
	ds_store_2addr_b64 v222, v[110:111], v[112:113] offset0:25 offset1:26
	ds_store_2addr_b64 v222, v[108:109], v[130:131] offset0:27 offset1:28
	;; [unrolled: 1-line block ×18, first 2 shown]
	ds_load_b64 v[74:75], v221
	s_wait_dscnt 0x0
	v_cmp_neq_f32_e32 vcc_lo, 0, v74
	v_cmp_neq_f32_e64 s1, 0, v75
	s_or_b32 s1, vcc_lo, s1
	s_delay_alu instid0(SALU_CYCLE_1)
	s_and_b32 exec_lo, exec_lo, s1
	s_cbranch_execz .LBB121_224
; %bb.219:
	v_cmp_ngt_f32_e64 s1, |v74|, |v75|
                                        ; implicit-def: $vgpr84_vgpr85
	s_and_saveexec_b32 s4, s1
	s_delay_alu instid0(SALU_CYCLE_1)
	s_xor_b32 s1, exec_lo, s4
	s_cbranch_execz .LBB121_221
; %bb.220:
	v_div_scale_f32 v84, null, v75, v75, v74
	v_div_scale_f32 v87, vcc_lo, v74, v75, v74
	s_delay_alu instid0(VALU_DEP_2) | instskip(SKIP_1) | instid1(TRANS32_DEP_1)
	v_rcp_f32_e32 v85, v84
	v_nop
	v_fma_f32 v86, -v84, v85, 1.0
	s_delay_alu instid0(VALU_DEP_1) | instskip(NEXT) | instid1(VALU_DEP_1)
	v_fmac_f32_e32 v85, v86, v85
	v_mul_f32_e32 v86, v87, v85
	s_delay_alu instid0(VALU_DEP_1) | instskip(NEXT) | instid1(VALU_DEP_1)
	v_fma_f32 v88, -v84, v86, v87
	v_fmac_f32_e32 v86, v88, v85
	s_delay_alu instid0(VALU_DEP_1) | instskip(NEXT) | instid1(VALU_DEP_1)
	v_fma_f32 v84, -v84, v86, v87
	v_div_fmas_f32 v84, v84, v85, v86
	s_delay_alu instid0(VALU_DEP_1) | instskip(NEXT) | instid1(VALU_DEP_1)
	v_div_fixup_f32 v84, v84, v75, v74
	v_fmac_f32_e32 v75, v74, v84
	s_delay_alu instid0(VALU_DEP_1) | instskip(SKIP_1) | instid1(VALU_DEP_2)
	v_div_scale_f32 v74, null, v75, v75, 1.0
	v_div_scale_f32 v87, vcc_lo, 1.0, v75, 1.0
	v_rcp_f32_e32 v85, v74
	v_nop
	s_delay_alu instid0(TRANS32_DEP_1) | instskip(NEXT) | instid1(VALU_DEP_1)
	v_fma_f32 v86, -v74, v85, 1.0
	v_fmac_f32_e32 v85, v86, v85
	s_delay_alu instid0(VALU_DEP_1) | instskip(NEXT) | instid1(VALU_DEP_1)
	v_mul_f32_e32 v86, v87, v85
	v_fma_f32 v88, -v74, v86, v87
	s_delay_alu instid0(VALU_DEP_1) | instskip(NEXT) | instid1(VALU_DEP_1)
	v_fmac_f32_e32 v86, v88, v85
	v_fma_f32 v74, -v74, v86, v87
	s_delay_alu instid0(VALU_DEP_1) | instskip(NEXT) | instid1(VALU_DEP_1)
	v_div_fmas_f32 v74, v74, v85, v86
	v_div_fixup_f32 v74, v74, v75, 1.0
	s_delay_alu instid0(VALU_DEP_1)
	v_mul_f32_e32 v84, v84, v74
	v_xor_b32_e32 v85, 0x80000000, v74
                                        ; implicit-def: $vgpr74_vgpr75
.LBB121_221:
	s_and_not1_saveexec_b32 s1, s1
	s_cbranch_execz .LBB121_223
; %bb.222:
	v_div_scale_f32 v84, null, v74, v74, v75
	v_div_scale_f32 v87, vcc_lo, v75, v74, v75
	s_delay_alu instid0(VALU_DEP_2) | instskip(SKIP_1) | instid1(TRANS32_DEP_1)
	v_rcp_f32_e32 v85, v84
	v_nop
	v_fma_f32 v86, -v84, v85, 1.0
	s_delay_alu instid0(VALU_DEP_1) | instskip(NEXT) | instid1(VALU_DEP_1)
	v_fmac_f32_e32 v85, v86, v85
	v_mul_f32_e32 v86, v87, v85
	s_delay_alu instid0(VALU_DEP_1) | instskip(NEXT) | instid1(VALU_DEP_1)
	v_fma_f32 v88, -v84, v86, v87
	v_fmac_f32_e32 v86, v88, v85
	s_delay_alu instid0(VALU_DEP_1) | instskip(NEXT) | instid1(VALU_DEP_1)
	v_fma_f32 v84, -v84, v86, v87
	v_div_fmas_f32 v84, v84, v85, v86
	s_delay_alu instid0(VALU_DEP_1) | instskip(NEXT) | instid1(VALU_DEP_1)
	v_div_fixup_f32 v85, v84, v74, v75
	v_fmac_f32_e32 v74, v75, v85
	s_delay_alu instid0(VALU_DEP_1) | instskip(NEXT) | instid1(VALU_DEP_1)
	v_div_scale_f32 v75, null, v74, v74, 1.0
	v_rcp_f32_e32 v84, v75
	v_nop
	s_delay_alu instid0(TRANS32_DEP_1) | instskip(NEXT) | instid1(VALU_DEP_1)
	v_fma_f32 v86, -v75, v84, 1.0
	v_fmac_f32_e32 v84, v86, v84
	v_div_scale_f32 v86, vcc_lo, 1.0, v74, 1.0
	s_delay_alu instid0(VALU_DEP_1) | instskip(NEXT) | instid1(VALU_DEP_1)
	v_mul_f32_e32 v87, v86, v84
	v_fma_f32 v88, -v75, v87, v86
	s_delay_alu instid0(VALU_DEP_1) | instskip(NEXT) | instid1(VALU_DEP_1)
	v_fmac_f32_e32 v87, v88, v84
	v_fma_f32 v75, -v75, v87, v86
	s_delay_alu instid0(VALU_DEP_1) | instskip(NEXT) | instid1(VALU_DEP_1)
	v_div_fmas_f32 v75, v75, v84, v87
	v_div_fixup_f32 v84, v75, v74, 1.0
	s_delay_alu instid0(VALU_DEP_1)
	v_mul_f32_e64 v85, v85, -v84
.LBB121_223:
	s_or_b32 exec_lo, exec_lo, s1
	ds_store_b64 v221, v[84:85]
.LBB121_224:
	s_or_b32 exec_lo, exec_lo, s2
	s_wait_dscnt 0x0
	s_barrier_signal -1
	s_barrier_wait -1
	ds_load_b64 v[74:75], v221
	s_mov_b32 s1, exec_lo
	v_cmpx_lt_u32_e32 24, v220
	s_cbranch_execz .LBB121_226
; %bb.225:
	ds_load_2addr_b64 v[88:91], v222 offset0:25 offset1:26
	s_wait_dscnt 0x1
	v_pk_mul_f32 v[86:87], v[74:75], v[114:115] op_sel:[1,1] op_sel_hi:[0,1]
	s_delay_alu instid0(VALU_DEP_1) | instskip(SKIP_1) | instid1(VALU_DEP_1)
	v_pk_fma_f32 v[84:85], v[74:75], v[114:115], v[86:87] op_sel_hi:[1,0,1] neg_lo:[0,0,1] neg_hi:[0,0,1]
	v_pk_fma_f32 v[86:87], v[74:75], v[114:115], v[86:87] op_sel_hi:[1,0,1]
	v_dual_mov_b32 v114, v84 :: v_dual_mov_b32 v115, v87
	s_wait_dscnt 0x0
	s_delay_alu instid0(VALU_DEP_2) | instskip(NEXT) | instid1(VALU_DEP_1)
	v_pk_mul_f32 v[100:101], v[88:89], v[86:87] op_sel:[0,1]
	v_pk_fma_f32 v[102:103], v[88:89], v[84:85], v[100:101] op_sel:[0,0,1] op_sel_hi:[1,1,0] neg_lo:[0,0,1] neg_hi:[0,0,1]
	v_pk_fma_f32 v[88:89], v[88:89], v[84:85], v[100:101] op_sel:[0,0,1] op_sel_hi:[1,0,0]
	s_delay_alu instid0(VALU_DEP_1) | instskip(SKIP_1) | instid1(VALU_DEP_1)
	v_mov_b32_e32 v103, v89
	v_pk_mul_f32 v[88:89], v[90:91], v[86:87] op_sel:[0,1]
	v_pk_fma_f32 v[100:101], v[90:91], v[84:85], v[88:89] op_sel:[0,0,1] op_sel_hi:[1,1,0] neg_lo:[0,0,1] neg_hi:[0,0,1]
	v_pk_fma_f32 v[88:89], v[90:91], v[84:85], v[88:89] op_sel:[0,0,1] op_sel_hi:[1,0,0]
	s_delay_alu instid0(VALU_DEP_1)
	v_mov_b32_e32 v101, v89
	ds_load_2addr_b64 v[88:91], v222 offset0:27 offset1:28
	v_pk_add_f32 v[110:111], v[110:111], v[102:103] neg_lo:[0,1] neg_hi:[0,1]
	v_pk_add_f32 v[112:113], v[112:113], v[100:101] neg_lo:[0,1] neg_hi:[0,1]
	s_wait_dscnt 0x0
	v_pk_mul_f32 v[100:101], v[88:89], v[86:87] op_sel:[0,1]
	s_delay_alu instid0(VALU_DEP_1) | instskip(SKIP_2) | instid1(VALU_DEP_2)
	v_pk_fma_f32 v[102:103], v[88:89], v[84:85], v[100:101] op_sel:[0,0,1] op_sel_hi:[1,1,0] neg_lo:[0,0,1] neg_hi:[0,0,1]
	v_pk_fma_f32 v[88:89], v[88:89], v[84:85], v[100:101] op_sel:[0,0,1] op_sel_hi:[1,0,0]
	v_dual_mul_f32 v100, v91, v87 :: v_dual_mov_b32 v88, v91
	v_dual_mov_b32 v103, v89 :: v_dual_mov_b32 v89, v90
	s_delay_alu instid0(VALU_DEP_2) | instskip(SKIP_1) | instid1(VALU_DEP_3)
	v_pk_fma_f32 v[100:101], v[90:91], v[114:115], v[100:101] op_sel_hi:[1,1,0] neg_lo:[0,0,1] neg_hi:[0,0,1]
	v_mul_f32_e32 v90, v91, v84
	v_pk_add_f32 v[108:109], v[108:109], v[102:103] neg_lo:[0,1] neg_hi:[0,1]
	s_delay_alu instid0(VALU_DEP_2) | instskip(NEXT) | instid1(VALU_DEP_1)
	v_pk_fma_f32 v[88:89], v[88:89], v[114:115], v[90:91] op_sel_hi:[1,1,0]
	v_mov_b32_e32 v101, v89
	ds_load_2addr_b64 v[88:91], v222 offset0:29 offset1:30
	v_pk_add_f32 v[130:131], v[130:131], v[100:101] neg_lo:[0,1] neg_hi:[0,1]
	s_wait_dscnt 0x0
	v_pk_mul_f32 v[100:101], v[88:89], v[86:87] op_sel:[0,1]
	s_delay_alu instid0(VALU_DEP_1) | instskip(SKIP_1) | instid1(VALU_DEP_1)
	v_pk_fma_f32 v[102:103], v[88:89], v[84:85], v[100:101] op_sel:[0,0,1] op_sel_hi:[1,1,0] neg_lo:[0,0,1] neg_hi:[0,0,1]
	v_pk_fma_f32 v[88:89], v[88:89], v[84:85], v[100:101] op_sel:[0,0,1] op_sel_hi:[1,0,0]
	v_mov_b32_e32 v103, v89
	v_pk_mul_f32 v[88:89], v[90:91], v[86:87] op_sel:[0,1]
	s_delay_alu instid0(VALU_DEP_1) | instskip(SKIP_1) | instid1(VALU_DEP_1)
	v_pk_fma_f32 v[100:101], v[90:91], v[84:85], v[88:89] op_sel:[0,0,1] op_sel_hi:[1,1,0] neg_lo:[0,0,1] neg_hi:[0,0,1]
	v_pk_fma_f32 v[88:89], v[90:91], v[84:85], v[88:89] op_sel:[0,0,1] op_sel_hi:[1,0,0]
	v_mov_b32_e32 v101, v89
	ds_load_2addr_b64 v[88:91], v222 offset0:31 offset1:32
	v_pk_add_f32 v[126:127], v[126:127], v[102:103] neg_lo:[0,1] neg_hi:[0,1]
	v_pk_add_f32 v[128:129], v[128:129], v[100:101] neg_lo:[0,1] neg_hi:[0,1]
	s_wait_dscnt 0x0
	v_pk_mul_f32 v[100:101], v[88:89], v[86:87] op_sel:[0,1]
	s_delay_alu instid0(VALU_DEP_1) | instskip(SKIP_1) | instid1(VALU_DEP_1)
	v_pk_fma_f32 v[102:103], v[88:89], v[84:85], v[100:101] op_sel:[0,0,1] op_sel_hi:[1,1,0] neg_lo:[0,0,1] neg_hi:[0,0,1]
	v_pk_fma_f32 v[88:89], v[88:89], v[84:85], v[100:101] op_sel:[0,0,1] op_sel_hi:[1,0,0]
	v_mov_b32_e32 v103, v89
	v_pk_mul_f32 v[88:89], v[90:91], v[86:87] op_sel:[0,1]
	s_delay_alu instid0(VALU_DEP_1) | instskip(SKIP_1) | instid1(VALU_DEP_1)
	v_pk_fma_f32 v[100:101], v[90:91], v[84:85], v[88:89] op_sel:[0,0,1] op_sel_hi:[1,1,0] neg_lo:[0,0,1] neg_hi:[0,0,1]
	v_pk_fma_f32 v[88:89], v[90:91], v[84:85], v[88:89] op_sel:[0,0,1] op_sel_hi:[1,0,0]
	v_mov_b32_e32 v101, v89
	ds_load_2addr_b64 v[88:91], v222 offset0:33 offset1:34
	v_pk_add_f32 v[124:125], v[124:125], v[102:103] neg_lo:[0,1] neg_hi:[0,1]
	v_pk_add_f32 v[146:147], v[146:147], v[100:101] neg_lo:[0,1] neg_hi:[0,1]
	s_wait_dscnt 0x0
	v_dual_mul_f32 v100, v89, v87 :: v_dual_mul_f32 v102, v89, v84
	s_delay_alu instid0(VALU_DEP_1) | instskip(NEXT) | instid1(VALU_DEP_2)
	v_pk_fma_f32 v[100:101], v[88:89], v[114:115], v[100:101] op_sel_hi:[1,1,0] neg_lo:[0,0,1] neg_hi:[0,0,1]
	v_pk_fma_f32 v[88:89], v[88:89], v[114:115], v[102:103] op_sel:[1,0,0] op_sel_hi:[0,1,0]
	s_delay_alu instid0(VALU_DEP_1) | instskip(SKIP_1) | instid1(VALU_DEP_2)
	v_mov_b32_e32 v101, v89
	v_pk_mul_f32 v[88:89], v[90:91], v[86:87] op_sel:[0,1]
	v_pk_add_f32 v[142:143], v[142:143], v[100:101] neg_lo:[0,1] neg_hi:[0,1]
	s_delay_alu instid0(VALU_DEP_2) | instskip(SKIP_1) | instid1(VALU_DEP_1)
	v_pk_fma_f32 v[100:101], v[90:91], v[84:85], v[88:89] op_sel:[0,0,1] op_sel_hi:[1,1,0] neg_lo:[0,0,1] neg_hi:[0,0,1]
	v_pk_fma_f32 v[88:89], v[90:91], v[84:85], v[88:89] op_sel:[0,0,1] op_sel_hi:[1,0,0]
	v_mov_b32_e32 v101, v89
	ds_load_2addr_b64 v[88:91], v222 offset0:35 offset1:36
	v_pk_add_f32 v[144:145], v[144:145], v[100:101] neg_lo:[0,1] neg_hi:[0,1]
	s_wait_dscnt 0x0
	v_pk_mul_f32 v[100:101], v[88:89], v[86:87] op_sel:[0,1]
	s_delay_alu instid0(VALU_DEP_1) | instskip(SKIP_1) | instid1(VALU_DEP_1)
	v_pk_fma_f32 v[102:103], v[88:89], v[84:85], v[100:101] op_sel:[0,0,1] op_sel_hi:[1,1,0] neg_lo:[0,0,1] neg_hi:[0,0,1]
	v_pk_fma_f32 v[88:89], v[88:89], v[84:85], v[100:101] op_sel:[0,0,1] op_sel_hi:[1,0,0]
	v_mov_b32_e32 v103, v89
	v_pk_mul_f32 v[88:89], v[90:91], v[86:87] op_sel:[0,1]
	s_delay_alu instid0(VALU_DEP_2) | instskip(NEXT) | instid1(VALU_DEP_2)
	v_pk_add_f32 v[140:141], v[140:141], v[102:103] neg_lo:[0,1] neg_hi:[0,1]
	v_pk_fma_f32 v[100:101], v[90:91], v[84:85], v[88:89] op_sel:[0,0,1] op_sel_hi:[1,1,0] neg_lo:[0,0,1] neg_hi:[0,0,1]
	v_pk_fma_f32 v[88:89], v[90:91], v[84:85], v[88:89] op_sel:[0,0,1] op_sel_hi:[1,0,0]
	s_delay_alu instid0(VALU_DEP_1) | instskip(SKIP_4) | instid1(VALU_DEP_1)
	v_mov_b32_e32 v101, v89
	ds_load_2addr_b64 v[88:91], v222 offset0:37 offset1:38
	v_pk_add_f32 v[162:163], v[162:163], v[100:101] neg_lo:[0,1] neg_hi:[0,1]
	s_wait_dscnt 0x0
	v_pk_mul_f32 v[100:101], v[88:89], v[86:87] op_sel:[0,1]
	v_pk_fma_f32 v[102:103], v[88:89], v[84:85], v[100:101] op_sel:[0,0,1] op_sel_hi:[1,1,0] neg_lo:[0,0,1] neg_hi:[0,0,1]
	v_pk_fma_f32 v[88:89], v[88:89], v[84:85], v[100:101] op_sel:[0,0,1] op_sel_hi:[1,0,0]
	v_dual_mul_f32 v100, v91, v87 :: v_dual_mov_b32 v88, v91
	s_delay_alu instid0(VALU_DEP_2) | instskip(NEXT) | instid1(VALU_DEP_2)
	v_dual_mov_b32 v103, v89 :: v_dual_mov_b32 v89, v90
	v_pk_fma_f32 v[100:101], v[90:91], v[114:115], v[100:101] op_sel_hi:[1,1,0] neg_lo:[0,0,1] neg_hi:[0,0,1]
	v_mul_f32_e32 v90, v91, v84
	s_delay_alu instid0(VALU_DEP_3) | instskip(NEXT) | instid1(VALU_DEP_2)
	v_pk_add_f32 v[158:159], v[158:159], v[102:103] neg_lo:[0,1] neg_hi:[0,1]
	v_pk_fma_f32 v[88:89], v[88:89], v[114:115], v[90:91] op_sel_hi:[1,1,0]
	s_delay_alu instid0(VALU_DEP_1) | instskip(SKIP_4) | instid1(VALU_DEP_1)
	v_mov_b32_e32 v101, v89
	ds_load_2addr_b64 v[88:91], v222 offset0:39 offset1:40
	v_pk_add_f32 v[160:161], v[160:161], v[100:101] neg_lo:[0,1] neg_hi:[0,1]
	s_wait_dscnt 0x0
	v_pk_mul_f32 v[100:101], v[88:89], v[86:87] op_sel:[0,1]
	v_pk_fma_f32 v[102:103], v[88:89], v[84:85], v[100:101] op_sel:[0,0,1] op_sel_hi:[1,1,0] neg_lo:[0,0,1] neg_hi:[0,0,1]
	v_pk_fma_f32 v[88:89], v[88:89], v[84:85], v[100:101] op_sel:[0,0,1] op_sel_hi:[1,0,0]
	s_delay_alu instid0(VALU_DEP_1) | instskip(SKIP_1) | instid1(VALU_DEP_1)
	v_mov_b32_e32 v103, v89
	v_pk_mul_f32 v[88:89], v[90:91], v[86:87] op_sel:[0,1]
	v_pk_fma_f32 v[100:101], v[90:91], v[84:85], v[88:89] op_sel:[0,0,1] op_sel_hi:[1,1,0] neg_lo:[0,0,1] neg_hi:[0,0,1]
	v_pk_fma_f32 v[88:89], v[90:91], v[84:85], v[88:89] op_sel:[0,0,1] op_sel_hi:[1,0,0]
	s_delay_alu instid0(VALU_DEP_1)
	v_mov_b32_e32 v101, v89
	ds_load_2addr_b64 v[88:91], v222 offset0:41 offset1:42
	v_pk_add_f32 v[156:157], v[156:157], v[102:103] neg_lo:[0,1] neg_hi:[0,1]
	v_pk_add_f32 v[178:179], v[178:179], v[100:101] neg_lo:[0,1] neg_hi:[0,1]
	s_wait_dscnt 0x0
	v_pk_mul_f32 v[100:101], v[88:89], v[86:87] op_sel:[0,1]
	s_delay_alu instid0(VALU_DEP_1) | instskip(SKIP_1) | instid1(VALU_DEP_1)
	v_pk_fma_f32 v[102:103], v[88:89], v[84:85], v[100:101] op_sel:[0,0,1] op_sel_hi:[1,1,0] neg_lo:[0,0,1] neg_hi:[0,0,1]
	v_pk_fma_f32 v[88:89], v[88:89], v[84:85], v[100:101] op_sel:[0,0,1] op_sel_hi:[1,0,0]
	v_mov_b32_e32 v103, v89
	v_pk_mul_f32 v[88:89], v[90:91], v[86:87] op_sel:[0,1]
	s_delay_alu instid0(VALU_DEP_1) | instskip(SKIP_1) | instid1(VALU_DEP_1)
	v_pk_fma_f32 v[100:101], v[90:91], v[84:85], v[88:89] op_sel:[0,0,1] op_sel_hi:[1,1,0] neg_lo:[0,0,1] neg_hi:[0,0,1]
	v_pk_fma_f32 v[88:89], v[90:91], v[84:85], v[88:89] op_sel:[0,0,1] op_sel_hi:[1,0,0]
	v_mov_b32_e32 v101, v89
	ds_load_2addr_b64 v[88:91], v222 offset0:43 offset1:44
	v_pk_add_f32 v[174:175], v[174:175], v[102:103] neg_lo:[0,1] neg_hi:[0,1]
	v_pk_add_f32 v[176:177], v[176:177], v[100:101] neg_lo:[0,1] neg_hi:[0,1]
	s_wait_dscnt 0x0
	v_dual_mul_f32 v100, v89, v87 :: v_dual_mul_f32 v102, v89, v84
	s_delay_alu instid0(VALU_DEP_1) | instskip(NEXT) | instid1(VALU_DEP_2)
	v_pk_fma_f32 v[100:101], v[88:89], v[114:115], v[100:101] op_sel_hi:[1,1,0] neg_lo:[0,0,1] neg_hi:[0,0,1]
	v_pk_fma_f32 v[88:89], v[88:89], v[114:115], v[102:103] op_sel:[1,0,0] op_sel_hi:[0,1,0]
	s_delay_alu instid0(VALU_DEP_1) | instskip(SKIP_1) | instid1(VALU_DEP_2)
	v_mov_b32_e32 v101, v89
	v_pk_mul_f32 v[88:89], v[90:91], v[86:87] op_sel:[0,1]
	v_pk_add_f32 v[172:173], v[172:173], v[100:101] neg_lo:[0,1] neg_hi:[0,1]
	s_delay_alu instid0(VALU_DEP_2) | instskip(SKIP_1) | instid1(VALU_DEP_1)
	v_pk_fma_f32 v[100:101], v[90:91], v[84:85], v[88:89] op_sel:[0,0,1] op_sel_hi:[1,1,0] neg_lo:[0,0,1] neg_hi:[0,0,1]
	v_pk_fma_f32 v[88:89], v[90:91], v[84:85], v[88:89] op_sel:[0,0,1] op_sel_hi:[1,0,0]
	v_mov_b32_e32 v101, v89
	ds_load_2addr_b64 v[88:91], v222 offset0:45 offset1:46
	v_pk_add_f32 v[194:195], v[194:195], v[100:101] neg_lo:[0,1] neg_hi:[0,1]
	s_wait_dscnt 0x0
	v_pk_mul_f32 v[100:101], v[88:89], v[86:87] op_sel:[0,1]
	s_delay_alu instid0(VALU_DEP_1) | instskip(SKIP_1) | instid1(VALU_DEP_1)
	v_pk_fma_f32 v[102:103], v[88:89], v[84:85], v[100:101] op_sel:[0,0,1] op_sel_hi:[1,1,0] neg_lo:[0,0,1] neg_hi:[0,0,1]
	v_pk_fma_f32 v[88:89], v[88:89], v[84:85], v[100:101] op_sel:[0,0,1] op_sel_hi:[1,0,0]
	v_mov_b32_e32 v103, v89
	v_pk_mul_f32 v[88:89], v[90:91], v[86:87] op_sel:[0,1]
	s_delay_alu instid0(VALU_DEP_2) | instskip(NEXT) | instid1(VALU_DEP_2)
	v_pk_add_f32 v[190:191], v[190:191], v[102:103] neg_lo:[0,1] neg_hi:[0,1]
	v_pk_fma_f32 v[100:101], v[90:91], v[84:85], v[88:89] op_sel:[0,0,1] op_sel_hi:[1,1,0] neg_lo:[0,0,1] neg_hi:[0,0,1]
	v_pk_fma_f32 v[88:89], v[90:91], v[84:85], v[88:89] op_sel:[0,0,1] op_sel_hi:[1,0,0]
	s_delay_alu instid0(VALU_DEP_1) | instskip(SKIP_4) | instid1(VALU_DEP_1)
	v_mov_b32_e32 v101, v89
	ds_load_2addr_b64 v[88:91], v222 offset0:47 offset1:48
	v_pk_add_f32 v[192:193], v[192:193], v[100:101] neg_lo:[0,1] neg_hi:[0,1]
	s_wait_dscnt 0x0
	v_pk_mul_f32 v[100:101], v[88:89], v[86:87] op_sel:[0,1]
	v_pk_fma_f32 v[102:103], v[88:89], v[84:85], v[100:101] op_sel:[0,0,1] op_sel_hi:[1,1,0] neg_lo:[0,0,1] neg_hi:[0,0,1]
	v_pk_fma_f32 v[88:89], v[88:89], v[84:85], v[100:101] op_sel:[0,0,1] op_sel_hi:[1,0,0]
	v_dual_mul_f32 v100, v91, v87 :: v_dual_mov_b32 v88, v91
	s_delay_alu instid0(VALU_DEP_2) | instskip(NEXT) | instid1(VALU_DEP_2)
	v_dual_mov_b32 v103, v89 :: v_dual_mov_b32 v89, v90
	v_pk_fma_f32 v[100:101], v[90:91], v[114:115], v[100:101] op_sel_hi:[1,1,0] neg_lo:[0,0,1] neg_hi:[0,0,1]
	v_mul_f32_e32 v90, v91, v84
	s_delay_alu instid0(VALU_DEP_3) | instskip(NEXT) | instid1(VALU_DEP_2)
	v_pk_add_f32 v[188:189], v[188:189], v[102:103] neg_lo:[0,1] neg_hi:[0,1]
	v_pk_fma_f32 v[88:89], v[88:89], v[114:115], v[90:91] op_sel_hi:[1,1,0]
	s_delay_alu instid0(VALU_DEP_1) | instskip(SKIP_4) | instid1(VALU_DEP_1)
	v_mov_b32_e32 v101, v89
	ds_load_2addr_b64 v[88:91], v222 offset0:49 offset1:50
	v_pk_add_f32 v[216:217], v[216:217], v[100:101] neg_lo:[0,1] neg_hi:[0,1]
	s_wait_dscnt 0x0
	v_pk_mul_f32 v[100:101], v[88:89], v[86:87] op_sel:[0,1]
	v_pk_fma_f32 v[102:103], v[88:89], v[84:85], v[100:101] op_sel:[0,0,1] op_sel_hi:[1,1,0] neg_lo:[0,0,1] neg_hi:[0,0,1]
	v_pk_fma_f32 v[88:89], v[88:89], v[84:85], v[100:101] op_sel:[0,0,1] op_sel_hi:[1,0,0]
	s_delay_alu instid0(VALU_DEP_1) | instskip(SKIP_1) | instid1(VALU_DEP_1)
	v_mov_b32_e32 v103, v89
	v_pk_mul_f32 v[88:89], v[90:91], v[86:87] op_sel:[0,1]
	v_pk_fma_f32 v[100:101], v[90:91], v[84:85], v[88:89] op_sel:[0,0,1] op_sel_hi:[1,1,0] neg_lo:[0,0,1] neg_hi:[0,0,1]
	v_pk_fma_f32 v[88:89], v[90:91], v[84:85], v[88:89] op_sel:[0,0,1] op_sel_hi:[1,0,0]
	s_delay_alu instid0(VALU_DEP_1)
	v_mov_b32_e32 v101, v89
	ds_load_2addr_b64 v[88:91], v222 offset0:51 offset1:52
	v_pk_add_f32 v[212:213], v[212:213], v[102:103] neg_lo:[0,1] neg_hi:[0,1]
	v_pk_add_f32 v[214:215], v[214:215], v[100:101] neg_lo:[0,1] neg_hi:[0,1]
	s_wait_dscnt 0x0
	v_pk_mul_f32 v[100:101], v[88:89], v[86:87] op_sel:[0,1]
	s_delay_alu instid0(VALU_DEP_1) | instskip(SKIP_1) | instid1(VALU_DEP_1)
	v_pk_fma_f32 v[102:103], v[88:89], v[84:85], v[100:101] op_sel:[0,0,1] op_sel_hi:[1,1,0] neg_lo:[0,0,1] neg_hi:[0,0,1]
	v_pk_fma_f32 v[88:89], v[88:89], v[84:85], v[100:101] op_sel:[0,0,1] op_sel_hi:[1,0,0]
	v_mov_b32_e32 v103, v89
	v_pk_mul_f32 v[88:89], v[90:91], v[86:87] op_sel:[0,1]
	s_delay_alu instid0(VALU_DEP_1) | instskip(SKIP_1) | instid1(VALU_DEP_1)
	v_pk_fma_f32 v[100:101], v[90:91], v[84:85], v[88:89] op_sel:[0,0,1] op_sel_hi:[1,1,0] neg_lo:[0,0,1] neg_hi:[0,0,1]
	v_pk_fma_f32 v[88:89], v[90:91], v[84:85], v[88:89] op_sel:[0,0,1] op_sel_hi:[1,0,0]
	v_mov_b32_e32 v101, v89
	ds_load_2addr_b64 v[88:91], v222 offset0:53 offset1:54
	v_pk_add_f32 v[210:211], v[210:211], v[102:103] neg_lo:[0,1] neg_hi:[0,1]
	v_pk_add_f32 v[240:241], v[240:241], v[100:101] neg_lo:[0,1] neg_hi:[0,1]
	s_wait_dscnt 0x0
	v_dual_mul_f32 v100, v89, v87 :: v_dual_mul_f32 v102, v89, v84
	s_delay_alu instid0(VALU_DEP_1) | instskip(NEXT) | instid1(VALU_DEP_2)
	v_pk_fma_f32 v[100:101], v[88:89], v[114:115], v[100:101] op_sel_hi:[1,1,0] neg_lo:[0,0,1] neg_hi:[0,0,1]
	v_pk_fma_f32 v[88:89], v[88:89], v[114:115], v[102:103] op_sel:[1,0,0] op_sel_hi:[0,1,0]
	s_delay_alu instid0(VALU_DEP_1) | instskip(SKIP_1) | instid1(VALU_DEP_2)
	v_mov_b32_e32 v101, v89
	v_pk_mul_f32 v[88:89], v[90:91], v[86:87] op_sel:[0,1]
	v_pk_add_f32 v[232:233], v[232:233], v[100:101] neg_lo:[0,1] neg_hi:[0,1]
	s_delay_alu instid0(VALU_DEP_2) | instskip(SKIP_1) | instid1(VALU_DEP_1)
	v_pk_fma_f32 v[100:101], v[90:91], v[84:85], v[88:89] op_sel:[0,0,1] op_sel_hi:[1,1,0] neg_lo:[0,0,1] neg_hi:[0,0,1]
	v_pk_fma_f32 v[88:89], v[90:91], v[84:85], v[88:89] op_sel:[0,0,1] op_sel_hi:[1,0,0]
	v_mov_b32_e32 v101, v89
	ds_load_2addr_b64 v[88:91], v222 offset0:55 offset1:56
	v_pk_add_f32 v[238:239], v[238:239], v[100:101] neg_lo:[0,1] neg_hi:[0,1]
	s_wait_dscnt 0x0
	v_pk_mul_f32 v[100:101], v[88:89], v[86:87] op_sel:[0,1]
	s_delay_alu instid0(VALU_DEP_1) | instskip(SKIP_1) | instid1(VALU_DEP_1)
	v_pk_fma_f32 v[102:103], v[88:89], v[84:85], v[100:101] op_sel:[0,0,1] op_sel_hi:[1,1,0] neg_lo:[0,0,1] neg_hi:[0,0,1]
	v_pk_fma_f32 v[88:89], v[88:89], v[84:85], v[100:101] op_sel:[0,0,1] op_sel_hi:[1,0,0]
	v_mov_b32_e32 v103, v89
	v_pk_mul_f32 v[88:89], v[90:91], v[86:87] op_sel:[0,1]
	s_delay_alu instid0(VALU_DEP_2) | instskip(NEXT) | instid1(VALU_DEP_2)
	v_pk_add_f32 v[230:231], v[230:231], v[102:103] neg_lo:[0,1] neg_hi:[0,1]
	v_pk_fma_f32 v[100:101], v[90:91], v[84:85], v[88:89] op_sel:[0,0,1] op_sel_hi:[1,1,0] neg_lo:[0,0,1] neg_hi:[0,0,1]
	v_pk_fma_f32 v[88:89], v[90:91], v[84:85], v[88:89] op_sel:[0,0,1] op_sel_hi:[1,0,0]
	s_delay_alu instid0(VALU_DEP_1) | instskip(SKIP_4) | instid1(VALU_DEP_1)
	v_mov_b32_e32 v101, v89
	ds_load_2addr_b64 v[88:91], v222 offset0:57 offset1:58
	v_pk_add_f32 v[236:237], v[236:237], v[100:101] neg_lo:[0,1] neg_hi:[0,1]
	s_wait_dscnt 0x0
	v_pk_mul_f32 v[100:101], v[88:89], v[86:87] op_sel:[0,1]
	v_pk_fma_f32 v[102:103], v[88:89], v[84:85], v[100:101] op_sel:[0,0,1] op_sel_hi:[1,1,0] neg_lo:[0,0,1] neg_hi:[0,0,1]
	v_pk_fma_f32 v[88:89], v[88:89], v[84:85], v[100:101] op_sel:[0,0,1] op_sel_hi:[1,0,0]
	v_dual_mul_f32 v100, v91, v87 :: v_dual_mov_b32 v88, v91
	s_delay_alu instid0(VALU_DEP_2) | instskip(NEXT) | instid1(VALU_DEP_2)
	v_dual_mov_b32 v103, v89 :: v_dual_mov_b32 v89, v90
	v_pk_fma_f32 v[100:101], v[90:91], v[114:115], v[100:101] op_sel_hi:[1,1,0] neg_lo:[0,0,1] neg_hi:[0,0,1]
	v_mul_f32_e32 v90, v91, v84
	s_delay_alu instid0(VALU_DEP_3) | instskip(NEXT) | instid1(VALU_DEP_2)
	v_pk_add_f32 v[228:229], v[228:229], v[102:103] neg_lo:[0,1] neg_hi:[0,1]
	v_pk_fma_f32 v[88:89], v[88:89], v[114:115], v[90:91] op_sel_hi:[1,1,0]
	s_delay_alu instid0(VALU_DEP_1)
	v_mov_b32_e32 v101, v89
	ds_load_2addr_b64 v[88:91], v222 offset0:59 offset1:60
	v_pk_add_f32 v[234:235], v[234:235], v[100:101] neg_lo:[0,1] neg_hi:[0,1]
	s_wait_dscnt 0x0
	v_pk_mul_f32 v[100:101], v[88:89], v[86:87] op_sel:[0,1]
	v_mul_f32_e32 v86, v91, v87
	s_delay_alu instid0(VALU_DEP_2) | instskip(SKIP_2) | instid1(VALU_DEP_4)
	v_pk_fma_f32 v[102:103], v[88:89], v[84:85], v[100:101] op_sel:[0,0,1] op_sel_hi:[1,1,0] neg_lo:[0,0,1] neg_hi:[0,0,1]
	v_pk_fma_f32 v[88:89], v[88:89], v[84:85], v[100:101] op_sel:[0,0,1] op_sel_hi:[1,0,0]
	v_dual_mov_b32 v88, v91 :: v_dual_mul_f32 v84, v91, v84
	v_pk_fma_f32 v[86:87], v[90:91], v[114:115], v[86:87] op_sel_hi:[1,1,0] neg_lo:[0,0,1] neg_hi:[0,0,1]
	s_delay_alu instid0(VALU_DEP_3) | instskip(NEXT) | instid1(VALU_DEP_1)
	v_dual_mov_b32 v103, v89 :: v_dual_mov_b32 v89, v90
	v_pk_add_f32 v[242:243], v[242:243], v[102:103] neg_lo:[0,1] neg_hi:[0,1]
	s_delay_alu instid0(VALU_DEP_2) | instskip(NEXT) | instid1(VALU_DEP_1)
	v_pk_fma_f32 v[84:85], v[88:89], v[114:115], v[84:85] op_sel_hi:[1,1,0]
	v_mov_b32_e32 v87, v85
	s_delay_alu instid0(VALU_DEP_1)
	v_pk_add_f32 v[244:245], v[244:245], v[86:87] neg_lo:[0,1] neg_hi:[0,1]
.LBB121_226:
	s_or_b32 exec_lo, exec_lo, s1
	s_delay_alu instid0(SALU_CYCLE_1)
	s_mov_b32 s2, exec_lo
	s_wait_dscnt 0x0
	s_barrier_signal -1
	s_barrier_wait -1
	v_cmpx_eq_u32_e32 25, v220
	s_cbranch_execz .LBB121_233
; %bb.227:
	v_dual_mov_b32 v84, v112 :: v_dual_mov_b32 v85, v113
	v_dual_mov_b32 v86, v108 :: v_dual_mov_b32 v87, v109
	ds_store_b64 v221, v[110:111]
	ds_store_2addr_b64 v222, v[84:85], v[86:87] offset0:26 offset1:27
	v_dual_mov_b32 v84, v130 :: v_dual_mov_b32 v85, v131
	v_dual_mov_b32 v86, v126 :: v_dual_mov_b32 v87, v127
	ds_store_2addr_b64 v222, v[84:85], v[86:87] offset0:28 offset1:29
	v_dual_mov_b32 v84, v128 :: v_dual_mov_b32 v85, v129
	v_dual_mov_b32 v86, v124 :: v_dual_mov_b32 v87, v125
	;; [unrolled: 3-line block ×16, first 2 shown]
	ds_store_2addr_b64 v222, v[84:85], v[86:87] offset0:58 offset1:59
	ds_store_b64 v222, v[244:245] offset:480
	ds_load_b64 v[84:85], v221
	s_wait_dscnt 0x0
	v_cmp_neq_f32_e32 vcc_lo, 0, v84
	v_cmp_neq_f32_e64 s1, 0, v85
	s_or_b32 s1, vcc_lo, s1
	s_delay_alu instid0(SALU_CYCLE_1)
	s_and_b32 exec_lo, exec_lo, s1
	s_cbranch_execz .LBB121_233
; %bb.228:
	v_cmp_ngt_f32_e64 s1, |v84|, |v85|
                                        ; implicit-def: $vgpr86_vgpr87
	s_and_saveexec_b32 s4, s1
	s_delay_alu instid0(SALU_CYCLE_1)
	s_xor_b32 s1, exec_lo, s4
	s_cbranch_execz .LBB121_230
; %bb.229:
	v_div_scale_f32 v86, null, v85, v85, v84
	v_div_scale_f32 v89, vcc_lo, v84, v85, v84
	s_delay_alu instid0(VALU_DEP_2) | instskip(SKIP_1) | instid1(TRANS32_DEP_1)
	v_rcp_f32_e32 v87, v86
	v_nop
	v_fma_f32 v88, -v86, v87, 1.0
	s_delay_alu instid0(VALU_DEP_1) | instskip(NEXT) | instid1(VALU_DEP_1)
	v_fmac_f32_e32 v87, v88, v87
	v_mul_f32_e32 v88, v89, v87
	s_delay_alu instid0(VALU_DEP_1) | instskip(NEXT) | instid1(VALU_DEP_1)
	v_fma_f32 v90, -v86, v88, v89
	v_fmac_f32_e32 v88, v90, v87
	s_delay_alu instid0(VALU_DEP_1) | instskip(NEXT) | instid1(VALU_DEP_1)
	v_fma_f32 v86, -v86, v88, v89
	v_div_fmas_f32 v86, v86, v87, v88
	s_delay_alu instid0(VALU_DEP_1) | instskip(NEXT) | instid1(VALU_DEP_1)
	v_div_fixup_f32 v86, v86, v85, v84
	v_fmac_f32_e32 v85, v84, v86
	s_delay_alu instid0(VALU_DEP_1) | instskip(SKIP_1) | instid1(VALU_DEP_2)
	v_div_scale_f32 v84, null, v85, v85, 1.0
	v_div_scale_f32 v89, vcc_lo, 1.0, v85, 1.0
	v_rcp_f32_e32 v87, v84
	v_nop
	s_delay_alu instid0(TRANS32_DEP_1) | instskip(NEXT) | instid1(VALU_DEP_1)
	v_fma_f32 v88, -v84, v87, 1.0
	v_fmac_f32_e32 v87, v88, v87
	s_delay_alu instid0(VALU_DEP_1) | instskip(NEXT) | instid1(VALU_DEP_1)
	v_mul_f32_e32 v88, v89, v87
	v_fma_f32 v90, -v84, v88, v89
	s_delay_alu instid0(VALU_DEP_1) | instskip(NEXT) | instid1(VALU_DEP_1)
	v_fmac_f32_e32 v88, v90, v87
	v_fma_f32 v84, -v84, v88, v89
	s_delay_alu instid0(VALU_DEP_1) | instskip(NEXT) | instid1(VALU_DEP_1)
	v_div_fmas_f32 v84, v84, v87, v88
	v_div_fixup_f32 v84, v84, v85, 1.0
	s_delay_alu instid0(VALU_DEP_1)
	v_mul_f32_e32 v86, v86, v84
	v_xor_b32_e32 v87, 0x80000000, v84
                                        ; implicit-def: $vgpr84_vgpr85
.LBB121_230:
	s_and_not1_saveexec_b32 s1, s1
	s_cbranch_execz .LBB121_232
; %bb.231:
	v_div_scale_f32 v86, null, v84, v84, v85
	v_div_scale_f32 v89, vcc_lo, v85, v84, v85
	s_delay_alu instid0(VALU_DEP_2) | instskip(SKIP_1) | instid1(TRANS32_DEP_1)
	v_rcp_f32_e32 v87, v86
	v_nop
	v_fma_f32 v88, -v86, v87, 1.0
	s_delay_alu instid0(VALU_DEP_1) | instskip(NEXT) | instid1(VALU_DEP_1)
	v_fmac_f32_e32 v87, v88, v87
	v_mul_f32_e32 v88, v89, v87
	s_delay_alu instid0(VALU_DEP_1) | instskip(NEXT) | instid1(VALU_DEP_1)
	v_fma_f32 v90, -v86, v88, v89
	v_fmac_f32_e32 v88, v90, v87
	s_delay_alu instid0(VALU_DEP_1) | instskip(NEXT) | instid1(VALU_DEP_1)
	v_fma_f32 v86, -v86, v88, v89
	v_div_fmas_f32 v86, v86, v87, v88
	s_delay_alu instid0(VALU_DEP_1) | instskip(NEXT) | instid1(VALU_DEP_1)
	v_div_fixup_f32 v87, v86, v84, v85
	v_fmac_f32_e32 v84, v85, v87
	s_delay_alu instid0(VALU_DEP_1) | instskip(NEXT) | instid1(VALU_DEP_1)
	v_div_scale_f32 v85, null, v84, v84, 1.0
	v_rcp_f32_e32 v86, v85
	v_nop
	s_delay_alu instid0(TRANS32_DEP_1) | instskip(NEXT) | instid1(VALU_DEP_1)
	v_fma_f32 v88, -v85, v86, 1.0
	v_fmac_f32_e32 v86, v88, v86
	v_div_scale_f32 v88, vcc_lo, 1.0, v84, 1.0
	s_delay_alu instid0(VALU_DEP_1) | instskip(NEXT) | instid1(VALU_DEP_1)
	v_mul_f32_e32 v89, v88, v86
	v_fma_f32 v90, -v85, v89, v88
	s_delay_alu instid0(VALU_DEP_1) | instskip(NEXT) | instid1(VALU_DEP_1)
	v_fmac_f32_e32 v89, v90, v86
	v_fma_f32 v85, -v85, v89, v88
	s_delay_alu instid0(VALU_DEP_1) | instskip(NEXT) | instid1(VALU_DEP_1)
	v_div_fmas_f32 v85, v85, v86, v89
	v_div_fixup_f32 v86, v85, v84, 1.0
	s_delay_alu instid0(VALU_DEP_1)
	v_mul_f32_e64 v87, v87, -v86
.LBB121_232:
	s_or_b32 exec_lo, exec_lo, s1
	ds_store_b64 v221, v[86:87]
.LBB121_233:
	s_or_b32 exec_lo, exec_lo, s2
	s_wait_dscnt 0x0
	s_barrier_signal -1
	s_barrier_wait -1
	ds_load_b64 v[84:85], v221
	s_mov_b32 s1, exec_lo
	v_cmpx_lt_u32_e32 25, v220
	s_cbranch_execz .LBB121_235
; %bb.234:
	ds_load_2addr_b64 v[100:103], v222 offset0:26 offset1:27
	s_wait_dscnt 0x1
	v_pk_mul_f32 v[88:89], v[84:85], v[110:111] op_sel:[1,1] op_sel_hi:[0,1]
	s_delay_alu instid0(VALU_DEP_1) | instskip(SKIP_1) | instid1(VALU_DEP_1)
	v_pk_fma_f32 v[86:87], v[84:85], v[110:111], v[88:89] op_sel_hi:[1,0,1] neg_lo:[0,0,1] neg_hi:[0,0,1]
	v_pk_fma_f32 v[88:89], v[84:85], v[110:111], v[88:89] op_sel_hi:[1,0,1]
	v_dual_mov_b32 v110, v86 :: v_dual_mov_b32 v111, v89
	s_wait_dscnt 0x0
	s_delay_alu instid0(VALU_DEP_2) | instskip(NEXT) | instid1(VALU_DEP_1)
	v_pk_mul_f32 v[90:91], v[100:101], v[88:89] op_sel:[0,1]
	v_pk_fma_f32 v[104:105], v[100:101], v[86:87], v[90:91] op_sel:[0,0,1] op_sel_hi:[1,1,0] neg_lo:[0,0,1] neg_hi:[0,0,1]
	v_pk_fma_f32 v[90:91], v[100:101], v[86:87], v[90:91] op_sel:[0,0,1] op_sel_hi:[1,0,0]
	s_delay_alu instid0(VALU_DEP_1) | instskip(SKIP_1) | instid1(VALU_DEP_1)
	v_mov_b32_e32 v105, v91
	v_pk_mul_f32 v[90:91], v[102:103], v[88:89] op_sel:[0,1]
	v_pk_fma_f32 v[100:101], v[102:103], v[86:87], v[90:91] op_sel:[0,0,1] op_sel_hi:[1,1,0] neg_lo:[0,0,1] neg_hi:[0,0,1]
	v_pk_fma_f32 v[90:91], v[102:103], v[86:87], v[90:91] op_sel:[0,0,1] op_sel_hi:[1,0,0]
	s_delay_alu instid0(VALU_DEP_1) | instskip(SKIP_1) | instid1(VALU_DEP_2)
	v_mov_b32_e32 v101, v91
	v_pk_add_f32 v[112:113], v[112:113], v[104:105] neg_lo:[0,1] neg_hi:[0,1]
	v_pk_add_f32 v[108:109], v[108:109], v[100:101] neg_lo:[0,1] neg_hi:[0,1]
	ds_load_2addr_b64 v[100:103], v222 offset0:28 offset1:29
	s_wait_dscnt 0x0
	v_pk_mul_f32 v[90:91], v[100:101], v[88:89] op_sel:[0,1]
	s_delay_alu instid0(VALU_DEP_1) | instskip(SKIP_2) | instid1(VALU_DEP_2)
	v_pk_fma_f32 v[104:105], v[100:101], v[86:87], v[90:91] op_sel:[0,0,1] op_sel_hi:[1,1,0] neg_lo:[0,0,1] neg_hi:[0,0,1]
	v_pk_fma_f32 v[90:91], v[100:101], v[86:87], v[90:91] op_sel:[0,0,1] op_sel_hi:[1,0,0]
	v_dual_mul_f32 v100, v103, v89 :: v_dual_mov_b32 v90, v103
	v_dual_mov_b32 v105, v91 :: v_dual_mov_b32 v91, v102
	s_delay_alu instid0(VALU_DEP_2) | instskip(SKIP_1) | instid1(VALU_DEP_3)
	v_pk_fma_f32 v[100:101], v[102:103], v[110:111], v[100:101] op_sel_hi:[1,1,0] neg_lo:[0,0,1] neg_hi:[0,0,1]
	v_mul_f32_e32 v102, v103, v86
	v_pk_add_f32 v[130:131], v[130:131], v[104:105] neg_lo:[0,1] neg_hi:[0,1]
	s_delay_alu instid0(VALU_DEP_2) | instskip(NEXT) | instid1(VALU_DEP_1)
	v_pk_fma_f32 v[90:91], v[90:91], v[110:111], v[102:103] op_sel_hi:[1,1,0]
	v_mov_b32_e32 v101, v91
	s_delay_alu instid0(VALU_DEP_1) | instskip(SKIP_3) | instid1(VALU_DEP_1)
	v_pk_add_f32 v[126:127], v[126:127], v[100:101] neg_lo:[0,1] neg_hi:[0,1]
	ds_load_2addr_b64 v[100:103], v222 offset0:30 offset1:31
	s_wait_dscnt 0x0
	v_pk_mul_f32 v[90:91], v[100:101], v[88:89] op_sel:[0,1]
	v_pk_fma_f32 v[104:105], v[100:101], v[86:87], v[90:91] op_sel:[0,0,1] op_sel_hi:[1,1,0] neg_lo:[0,0,1] neg_hi:[0,0,1]
	v_pk_fma_f32 v[90:91], v[100:101], v[86:87], v[90:91] op_sel:[0,0,1] op_sel_hi:[1,0,0]
	s_delay_alu instid0(VALU_DEP_1) | instskip(SKIP_1) | instid1(VALU_DEP_2)
	v_mov_b32_e32 v105, v91
	v_pk_mul_f32 v[90:91], v[102:103], v[88:89] op_sel:[0,1]
	v_pk_add_f32 v[128:129], v[128:129], v[104:105] neg_lo:[0,1] neg_hi:[0,1]
	s_delay_alu instid0(VALU_DEP_2) | instskip(SKIP_1) | instid1(VALU_DEP_1)
	v_pk_fma_f32 v[100:101], v[102:103], v[86:87], v[90:91] op_sel:[0,0,1] op_sel_hi:[1,1,0] neg_lo:[0,0,1] neg_hi:[0,0,1]
	v_pk_fma_f32 v[90:91], v[102:103], v[86:87], v[90:91] op_sel:[0,0,1] op_sel_hi:[1,0,0]
	v_mov_b32_e32 v101, v91
	s_delay_alu instid0(VALU_DEP_1) | instskip(SKIP_3) | instid1(VALU_DEP_1)
	v_pk_add_f32 v[124:125], v[124:125], v[100:101] neg_lo:[0,1] neg_hi:[0,1]
	ds_load_2addr_b64 v[100:103], v222 offset0:32 offset1:33
	s_wait_dscnt 0x0
	v_pk_mul_f32 v[90:91], v[100:101], v[88:89] op_sel:[0,1]
	v_pk_fma_f32 v[104:105], v[100:101], v[86:87], v[90:91] op_sel:[0,0,1] op_sel_hi:[1,1,0] neg_lo:[0,0,1] neg_hi:[0,0,1]
	v_pk_fma_f32 v[90:91], v[100:101], v[86:87], v[90:91] op_sel:[0,0,1] op_sel_hi:[1,0,0]
	s_delay_alu instid0(VALU_DEP_1) | instskip(SKIP_1) | instid1(VALU_DEP_2)
	v_mov_b32_e32 v105, v91
	v_pk_mul_f32 v[90:91], v[102:103], v[88:89] op_sel:[0,1]
	v_pk_add_f32 v[146:147], v[146:147], v[104:105] neg_lo:[0,1] neg_hi:[0,1]
	s_delay_alu instid0(VALU_DEP_2) | instskip(SKIP_1) | instid1(VALU_DEP_1)
	v_pk_fma_f32 v[100:101], v[102:103], v[86:87], v[90:91] op_sel:[0,0,1] op_sel_hi:[1,1,0] neg_lo:[0,0,1] neg_hi:[0,0,1]
	v_pk_fma_f32 v[90:91], v[102:103], v[86:87], v[90:91] op_sel:[0,0,1] op_sel_hi:[1,0,0]
	v_mov_b32_e32 v101, v91
	s_delay_alu instid0(VALU_DEP_1) | instskip(SKIP_3) | instid1(VALU_DEP_1)
	v_pk_add_f32 v[142:143], v[142:143], v[100:101] neg_lo:[0,1] neg_hi:[0,1]
	ds_load_2addr_b64 v[100:103], v222 offset0:34 offset1:35
	s_wait_dscnt 0x0
	v_dual_mul_f32 v90, v101, v89 :: v_dual_mul_f32 v104, v101, v86
	v_pk_fma_f32 v[90:91], v[100:101], v[110:111], v[90:91] op_sel_hi:[1,1,0] neg_lo:[0,0,1] neg_hi:[0,0,1]
	s_delay_alu instid0(VALU_DEP_2) | instskip(NEXT) | instid1(VALU_DEP_1)
	v_pk_fma_f32 v[100:101], v[100:101], v[110:111], v[104:105] op_sel:[1,0,0] op_sel_hi:[0,1,0]
	v_mov_b32_e32 v91, v101
	s_delay_alu instid0(VALU_DEP_1) | instskip(SKIP_1) | instid1(VALU_DEP_1)
	v_pk_add_f32 v[144:145], v[144:145], v[90:91] neg_lo:[0,1] neg_hi:[0,1]
	v_pk_mul_f32 v[90:91], v[102:103], v[88:89] op_sel:[0,1]
	v_pk_fma_f32 v[100:101], v[102:103], v[86:87], v[90:91] op_sel:[0,0,1] op_sel_hi:[1,1,0] neg_lo:[0,0,1] neg_hi:[0,0,1]
	v_pk_fma_f32 v[90:91], v[102:103], v[86:87], v[90:91] op_sel:[0,0,1] op_sel_hi:[1,0,0]
	s_delay_alu instid0(VALU_DEP_1) | instskip(NEXT) | instid1(VALU_DEP_1)
	v_mov_b32_e32 v101, v91
	v_pk_add_f32 v[140:141], v[140:141], v[100:101] neg_lo:[0,1] neg_hi:[0,1]
	ds_load_2addr_b64 v[100:103], v222 offset0:36 offset1:37
	s_wait_dscnt 0x0
	v_pk_mul_f32 v[90:91], v[100:101], v[88:89] op_sel:[0,1]
	s_delay_alu instid0(VALU_DEP_1) | instskip(SKIP_1) | instid1(VALU_DEP_1)
	v_pk_fma_f32 v[104:105], v[100:101], v[86:87], v[90:91] op_sel:[0,0,1] op_sel_hi:[1,1,0] neg_lo:[0,0,1] neg_hi:[0,0,1]
	v_pk_fma_f32 v[90:91], v[100:101], v[86:87], v[90:91] op_sel:[0,0,1] op_sel_hi:[1,0,0]
	v_mov_b32_e32 v105, v91
	v_pk_mul_f32 v[90:91], v[102:103], v[88:89] op_sel:[0,1]
	s_delay_alu instid0(VALU_DEP_2) | instskip(NEXT) | instid1(VALU_DEP_2)
	v_pk_add_f32 v[162:163], v[162:163], v[104:105] neg_lo:[0,1] neg_hi:[0,1]
	v_pk_fma_f32 v[100:101], v[102:103], v[86:87], v[90:91] op_sel:[0,0,1] op_sel_hi:[1,1,0] neg_lo:[0,0,1] neg_hi:[0,0,1]
	v_pk_fma_f32 v[90:91], v[102:103], v[86:87], v[90:91] op_sel:[0,0,1] op_sel_hi:[1,0,0]
	s_delay_alu instid0(VALU_DEP_1) | instskip(NEXT) | instid1(VALU_DEP_1)
	v_mov_b32_e32 v101, v91
	v_pk_add_f32 v[158:159], v[158:159], v[100:101] neg_lo:[0,1] neg_hi:[0,1]
	ds_load_2addr_b64 v[100:103], v222 offset0:38 offset1:39
	s_wait_dscnt 0x0
	v_pk_mul_f32 v[90:91], v[100:101], v[88:89] op_sel:[0,1]
	s_delay_alu instid0(VALU_DEP_1) | instskip(SKIP_2) | instid1(VALU_DEP_2)
	v_pk_fma_f32 v[104:105], v[100:101], v[86:87], v[90:91] op_sel:[0,0,1] op_sel_hi:[1,1,0] neg_lo:[0,0,1] neg_hi:[0,0,1]
	v_pk_fma_f32 v[90:91], v[100:101], v[86:87], v[90:91] op_sel:[0,0,1] op_sel_hi:[1,0,0]
	v_dual_mul_f32 v100, v103, v89 :: v_dual_mov_b32 v90, v103
	v_dual_mov_b32 v105, v91 :: v_dual_mov_b32 v91, v102
	s_delay_alu instid0(VALU_DEP_2) | instskip(SKIP_1) | instid1(VALU_DEP_3)
	v_pk_fma_f32 v[100:101], v[102:103], v[110:111], v[100:101] op_sel_hi:[1,1,0] neg_lo:[0,0,1] neg_hi:[0,0,1]
	v_mul_f32_e32 v102, v103, v86
	v_pk_add_f32 v[160:161], v[160:161], v[104:105] neg_lo:[0,1] neg_hi:[0,1]
	s_delay_alu instid0(VALU_DEP_2) | instskip(NEXT) | instid1(VALU_DEP_1)
	v_pk_fma_f32 v[90:91], v[90:91], v[110:111], v[102:103] op_sel_hi:[1,1,0]
	v_mov_b32_e32 v101, v91
	s_delay_alu instid0(VALU_DEP_1) | instskip(SKIP_3) | instid1(VALU_DEP_1)
	v_pk_add_f32 v[156:157], v[156:157], v[100:101] neg_lo:[0,1] neg_hi:[0,1]
	ds_load_2addr_b64 v[100:103], v222 offset0:40 offset1:41
	s_wait_dscnt 0x0
	v_pk_mul_f32 v[90:91], v[100:101], v[88:89] op_sel:[0,1]
	v_pk_fma_f32 v[104:105], v[100:101], v[86:87], v[90:91] op_sel:[0,0,1] op_sel_hi:[1,1,0] neg_lo:[0,0,1] neg_hi:[0,0,1]
	v_pk_fma_f32 v[90:91], v[100:101], v[86:87], v[90:91] op_sel:[0,0,1] op_sel_hi:[1,0,0]
	s_delay_alu instid0(VALU_DEP_1) | instskip(SKIP_1) | instid1(VALU_DEP_2)
	v_mov_b32_e32 v105, v91
	v_pk_mul_f32 v[90:91], v[102:103], v[88:89] op_sel:[0,1]
	v_pk_add_f32 v[178:179], v[178:179], v[104:105] neg_lo:[0,1] neg_hi:[0,1]
	s_delay_alu instid0(VALU_DEP_2) | instskip(SKIP_1) | instid1(VALU_DEP_1)
	v_pk_fma_f32 v[100:101], v[102:103], v[86:87], v[90:91] op_sel:[0,0,1] op_sel_hi:[1,1,0] neg_lo:[0,0,1] neg_hi:[0,0,1]
	v_pk_fma_f32 v[90:91], v[102:103], v[86:87], v[90:91] op_sel:[0,0,1] op_sel_hi:[1,0,0]
	v_mov_b32_e32 v101, v91
	s_delay_alu instid0(VALU_DEP_1) | instskip(SKIP_3) | instid1(VALU_DEP_1)
	v_pk_add_f32 v[174:175], v[174:175], v[100:101] neg_lo:[0,1] neg_hi:[0,1]
	ds_load_2addr_b64 v[100:103], v222 offset0:42 offset1:43
	s_wait_dscnt 0x0
	v_pk_mul_f32 v[90:91], v[100:101], v[88:89] op_sel:[0,1]
	v_pk_fma_f32 v[104:105], v[100:101], v[86:87], v[90:91] op_sel:[0,0,1] op_sel_hi:[1,1,0] neg_lo:[0,0,1] neg_hi:[0,0,1]
	v_pk_fma_f32 v[90:91], v[100:101], v[86:87], v[90:91] op_sel:[0,0,1] op_sel_hi:[1,0,0]
	s_delay_alu instid0(VALU_DEP_1) | instskip(SKIP_1) | instid1(VALU_DEP_2)
	v_mov_b32_e32 v105, v91
	v_pk_mul_f32 v[90:91], v[102:103], v[88:89] op_sel:[0,1]
	v_pk_add_f32 v[176:177], v[176:177], v[104:105] neg_lo:[0,1] neg_hi:[0,1]
	s_delay_alu instid0(VALU_DEP_2) | instskip(SKIP_1) | instid1(VALU_DEP_1)
	v_pk_fma_f32 v[100:101], v[102:103], v[86:87], v[90:91] op_sel:[0,0,1] op_sel_hi:[1,1,0] neg_lo:[0,0,1] neg_hi:[0,0,1]
	v_pk_fma_f32 v[90:91], v[102:103], v[86:87], v[90:91] op_sel:[0,0,1] op_sel_hi:[1,0,0]
	v_mov_b32_e32 v101, v91
	s_delay_alu instid0(VALU_DEP_1) | instskip(SKIP_3) | instid1(VALU_DEP_1)
	v_pk_add_f32 v[172:173], v[172:173], v[100:101] neg_lo:[0,1] neg_hi:[0,1]
	ds_load_2addr_b64 v[100:103], v222 offset0:44 offset1:45
	s_wait_dscnt 0x0
	v_dual_mul_f32 v90, v101, v89 :: v_dual_mul_f32 v104, v101, v86
	v_pk_fma_f32 v[90:91], v[100:101], v[110:111], v[90:91] op_sel_hi:[1,1,0] neg_lo:[0,0,1] neg_hi:[0,0,1]
	s_delay_alu instid0(VALU_DEP_2) | instskip(NEXT) | instid1(VALU_DEP_1)
	v_pk_fma_f32 v[100:101], v[100:101], v[110:111], v[104:105] op_sel:[1,0,0] op_sel_hi:[0,1,0]
	v_mov_b32_e32 v91, v101
	s_delay_alu instid0(VALU_DEP_1) | instskip(SKIP_1) | instid1(VALU_DEP_1)
	v_pk_add_f32 v[194:195], v[194:195], v[90:91] neg_lo:[0,1] neg_hi:[0,1]
	v_pk_mul_f32 v[90:91], v[102:103], v[88:89] op_sel:[0,1]
	v_pk_fma_f32 v[100:101], v[102:103], v[86:87], v[90:91] op_sel:[0,0,1] op_sel_hi:[1,1,0] neg_lo:[0,0,1] neg_hi:[0,0,1]
	v_pk_fma_f32 v[90:91], v[102:103], v[86:87], v[90:91] op_sel:[0,0,1] op_sel_hi:[1,0,0]
	s_delay_alu instid0(VALU_DEP_1) | instskip(NEXT) | instid1(VALU_DEP_1)
	v_mov_b32_e32 v101, v91
	v_pk_add_f32 v[190:191], v[190:191], v[100:101] neg_lo:[0,1] neg_hi:[0,1]
	ds_load_2addr_b64 v[100:103], v222 offset0:46 offset1:47
	s_wait_dscnt 0x0
	v_pk_mul_f32 v[90:91], v[100:101], v[88:89] op_sel:[0,1]
	s_delay_alu instid0(VALU_DEP_1) | instskip(SKIP_1) | instid1(VALU_DEP_1)
	v_pk_fma_f32 v[104:105], v[100:101], v[86:87], v[90:91] op_sel:[0,0,1] op_sel_hi:[1,1,0] neg_lo:[0,0,1] neg_hi:[0,0,1]
	v_pk_fma_f32 v[90:91], v[100:101], v[86:87], v[90:91] op_sel:[0,0,1] op_sel_hi:[1,0,0]
	v_mov_b32_e32 v105, v91
	v_pk_mul_f32 v[90:91], v[102:103], v[88:89] op_sel:[0,1]
	s_delay_alu instid0(VALU_DEP_2) | instskip(NEXT) | instid1(VALU_DEP_2)
	v_pk_add_f32 v[192:193], v[192:193], v[104:105] neg_lo:[0,1] neg_hi:[0,1]
	v_pk_fma_f32 v[100:101], v[102:103], v[86:87], v[90:91] op_sel:[0,0,1] op_sel_hi:[1,1,0] neg_lo:[0,0,1] neg_hi:[0,0,1]
	v_pk_fma_f32 v[90:91], v[102:103], v[86:87], v[90:91] op_sel:[0,0,1] op_sel_hi:[1,0,0]
	s_delay_alu instid0(VALU_DEP_1) | instskip(NEXT) | instid1(VALU_DEP_1)
	v_mov_b32_e32 v101, v91
	v_pk_add_f32 v[188:189], v[188:189], v[100:101] neg_lo:[0,1] neg_hi:[0,1]
	ds_load_2addr_b64 v[100:103], v222 offset0:48 offset1:49
	s_wait_dscnt 0x0
	v_pk_mul_f32 v[90:91], v[100:101], v[88:89] op_sel:[0,1]
	s_delay_alu instid0(VALU_DEP_1) | instskip(SKIP_2) | instid1(VALU_DEP_2)
	v_pk_fma_f32 v[104:105], v[100:101], v[86:87], v[90:91] op_sel:[0,0,1] op_sel_hi:[1,1,0] neg_lo:[0,0,1] neg_hi:[0,0,1]
	v_pk_fma_f32 v[90:91], v[100:101], v[86:87], v[90:91] op_sel:[0,0,1] op_sel_hi:[1,0,0]
	v_dual_mul_f32 v100, v103, v89 :: v_dual_mov_b32 v90, v103
	v_dual_mov_b32 v105, v91 :: v_dual_mov_b32 v91, v102
	s_delay_alu instid0(VALU_DEP_2) | instskip(SKIP_1) | instid1(VALU_DEP_3)
	v_pk_fma_f32 v[100:101], v[102:103], v[110:111], v[100:101] op_sel_hi:[1,1,0] neg_lo:[0,0,1] neg_hi:[0,0,1]
	v_mul_f32_e32 v102, v103, v86
	v_pk_add_f32 v[216:217], v[216:217], v[104:105] neg_lo:[0,1] neg_hi:[0,1]
	s_delay_alu instid0(VALU_DEP_2) | instskip(NEXT) | instid1(VALU_DEP_1)
	v_pk_fma_f32 v[90:91], v[90:91], v[110:111], v[102:103] op_sel_hi:[1,1,0]
	v_mov_b32_e32 v101, v91
	s_delay_alu instid0(VALU_DEP_1) | instskip(SKIP_3) | instid1(VALU_DEP_1)
	v_pk_add_f32 v[212:213], v[212:213], v[100:101] neg_lo:[0,1] neg_hi:[0,1]
	ds_load_2addr_b64 v[100:103], v222 offset0:50 offset1:51
	s_wait_dscnt 0x0
	v_pk_mul_f32 v[90:91], v[100:101], v[88:89] op_sel:[0,1]
	v_pk_fma_f32 v[104:105], v[100:101], v[86:87], v[90:91] op_sel:[0,0,1] op_sel_hi:[1,1,0] neg_lo:[0,0,1] neg_hi:[0,0,1]
	v_pk_fma_f32 v[90:91], v[100:101], v[86:87], v[90:91] op_sel:[0,0,1] op_sel_hi:[1,0,0]
	s_delay_alu instid0(VALU_DEP_1) | instskip(SKIP_1) | instid1(VALU_DEP_2)
	v_mov_b32_e32 v105, v91
	v_pk_mul_f32 v[90:91], v[102:103], v[88:89] op_sel:[0,1]
	v_pk_add_f32 v[214:215], v[214:215], v[104:105] neg_lo:[0,1] neg_hi:[0,1]
	s_delay_alu instid0(VALU_DEP_2) | instskip(SKIP_1) | instid1(VALU_DEP_1)
	v_pk_fma_f32 v[100:101], v[102:103], v[86:87], v[90:91] op_sel:[0,0,1] op_sel_hi:[1,1,0] neg_lo:[0,0,1] neg_hi:[0,0,1]
	v_pk_fma_f32 v[90:91], v[102:103], v[86:87], v[90:91] op_sel:[0,0,1] op_sel_hi:[1,0,0]
	v_mov_b32_e32 v101, v91
	s_delay_alu instid0(VALU_DEP_1) | instskip(SKIP_3) | instid1(VALU_DEP_1)
	v_pk_add_f32 v[210:211], v[210:211], v[100:101] neg_lo:[0,1] neg_hi:[0,1]
	ds_load_2addr_b64 v[100:103], v222 offset0:52 offset1:53
	s_wait_dscnt 0x0
	v_pk_mul_f32 v[90:91], v[100:101], v[88:89] op_sel:[0,1]
	v_pk_fma_f32 v[104:105], v[100:101], v[86:87], v[90:91] op_sel:[0,0,1] op_sel_hi:[1,1,0] neg_lo:[0,0,1] neg_hi:[0,0,1]
	v_pk_fma_f32 v[90:91], v[100:101], v[86:87], v[90:91] op_sel:[0,0,1] op_sel_hi:[1,0,0]
	s_delay_alu instid0(VALU_DEP_1) | instskip(SKIP_1) | instid1(VALU_DEP_2)
	v_mov_b32_e32 v105, v91
	v_pk_mul_f32 v[90:91], v[102:103], v[88:89] op_sel:[0,1]
	v_pk_add_f32 v[240:241], v[240:241], v[104:105] neg_lo:[0,1] neg_hi:[0,1]
	s_delay_alu instid0(VALU_DEP_2) | instskip(SKIP_1) | instid1(VALU_DEP_1)
	v_pk_fma_f32 v[100:101], v[102:103], v[86:87], v[90:91] op_sel:[0,0,1] op_sel_hi:[1,1,0] neg_lo:[0,0,1] neg_hi:[0,0,1]
	v_pk_fma_f32 v[90:91], v[102:103], v[86:87], v[90:91] op_sel:[0,0,1] op_sel_hi:[1,0,0]
	v_mov_b32_e32 v101, v91
	s_delay_alu instid0(VALU_DEP_1) | instskip(SKIP_3) | instid1(VALU_DEP_1)
	v_pk_add_f32 v[232:233], v[232:233], v[100:101] neg_lo:[0,1] neg_hi:[0,1]
	ds_load_2addr_b64 v[100:103], v222 offset0:54 offset1:55
	s_wait_dscnt 0x0
	v_dual_mul_f32 v90, v101, v89 :: v_dual_mul_f32 v104, v101, v86
	v_pk_fma_f32 v[90:91], v[100:101], v[110:111], v[90:91] op_sel_hi:[1,1,0] neg_lo:[0,0,1] neg_hi:[0,0,1]
	s_delay_alu instid0(VALU_DEP_2) | instskip(NEXT) | instid1(VALU_DEP_1)
	v_pk_fma_f32 v[100:101], v[100:101], v[110:111], v[104:105] op_sel:[1,0,0] op_sel_hi:[0,1,0]
	v_mov_b32_e32 v91, v101
	s_delay_alu instid0(VALU_DEP_1) | instskip(SKIP_1) | instid1(VALU_DEP_1)
	v_pk_add_f32 v[238:239], v[238:239], v[90:91] neg_lo:[0,1] neg_hi:[0,1]
	v_pk_mul_f32 v[90:91], v[102:103], v[88:89] op_sel:[0,1]
	v_pk_fma_f32 v[100:101], v[102:103], v[86:87], v[90:91] op_sel:[0,0,1] op_sel_hi:[1,1,0] neg_lo:[0,0,1] neg_hi:[0,0,1]
	v_pk_fma_f32 v[90:91], v[102:103], v[86:87], v[90:91] op_sel:[0,0,1] op_sel_hi:[1,0,0]
	s_delay_alu instid0(VALU_DEP_1) | instskip(NEXT) | instid1(VALU_DEP_1)
	v_mov_b32_e32 v101, v91
	v_pk_add_f32 v[230:231], v[230:231], v[100:101] neg_lo:[0,1] neg_hi:[0,1]
	ds_load_2addr_b64 v[100:103], v222 offset0:56 offset1:57
	s_wait_dscnt 0x0
	v_pk_mul_f32 v[90:91], v[100:101], v[88:89] op_sel:[0,1]
	s_delay_alu instid0(VALU_DEP_1) | instskip(SKIP_1) | instid1(VALU_DEP_1)
	v_pk_fma_f32 v[104:105], v[100:101], v[86:87], v[90:91] op_sel:[0,0,1] op_sel_hi:[1,1,0] neg_lo:[0,0,1] neg_hi:[0,0,1]
	v_pk_fma_f32 v[90:91], v[100:101], v[86:87], v[90:91] op_sel:[0,0,1] op_sel_hi:[1,0,0]
	v_mov_b32_e32 v105, v91
	v_pk_mul_f32 v[90:91], v[102:103], v[88:89] op_sel:[0,1]
	s_delay_alu instid0(VALU_DEP_2) | instskip(NEXT) | instid1(VALU_DEP_2)
	v_pk_add_f32 v[236:237], v[236:237], v[104:105] neg_lo:[0,1] neg_hi:[0,1]
	v_pk_fma_f32 v[100:101], v[102:103], v[86:87], v[90:91] op_sel:[0,0,1] op_sel_hi:[1,1,0] neg_lo:[0,0,1] neg_hi:[0,0,1]
	v_pk_fma_f32 v[90:91], v[102:103], v[86:87], v[90:91] op_sel:[0,0,1] op_sel_hi:[1,0,0]
	s_delay_alu instid0(VALU_DEP_1) | instskip(NEXT) | instid1(VALU_DEP_1)
	v_mov_b32_e32 v101, v91
	v_pk_add_f32 v[228:229], v[228:229], v[100:101] neg_lo:[0,1] neg_hi:[0,1]
	ds_load_2addr_b64 v[100:103], v222 offset0:58 offset1:59
	s_wait_dscnt 0x0
	v_pk_mul_f32 v[90:91], v[100:101], v[88:89] op_sel:[0,1]
	s_delay_alu instid0(VALU_DEP_1) | instskip(SKIP_2) | instid1(VALU_DEP_2)
	v_pk_fma_f32 v[104:105], v[100:101], v[86:87], v[90:91] op_sel:[0,0,1] op_sel_hi:[1,1,0] neg_lo:[0,0,1] neg_hi:[0,0,1]
	v_pk_fma_f32 v[90:91], v[100:101], v[86:87], v[90:91] op_sel:[0,0,1] op_sel_hi:[1,0,0]
	v_dual_mul_f32 v100, v103, v89 :: v_dual_mov_b32 v90, v103
	v_dual_mov_b32 v105, v91 :: v_dual_mov_b32 v91, v102
	s_delay_alu instid0(VALU_DEP_2) | instskip(SKIP_1) | instid1(VALU_DEP_3)
	v_pk_fma_f32 v[100:101], v[102:103], v[110:111], v[100:101] op_sel_hi:[1,1,0] neg_lo:[0,0,1] neg_hi:[0,0,1]
	v_mul_f32_e32 v102, v103, v86
	v_pk_add_f32 v[234:235], v[234:235], v[104:105] neg_lo:[0,1] neg_hi:[0,1]
	s_delay_alu instid0(VALU_DEP_2) | instskip(NEXT) | instid1(VALU_DEP_1)
	v_pk_fma_f32 v[90:91], v[90:91], v[110:111], v[102:103] op_sel_hi:[1,1,0]
	v_mov_b32_e32 v101, v91
	ds_load_b64 v[90:91], v222 offset:480
	v_pk_add_f32 v[242:243], v[242:243], v[100:101] neg_lo:[0,1] neg_hi:[0,1]
	s_wait_dscnt 0x0
	v_pk_mul_f32 v[88:89], v[90:91], v[88:89] op_sel:[0,1]
	s_delay_alu instid0(VALU_DEP_1) | instskip(SKIP_1) | instid1(VALU_DEP_1)
	v_pk_fma_f32 v[100:101], v[90:91], v[86:87], v[88:89] op_sel:[0,0,1] op_sel_hi:[1,1,0] neg_lo:[0,0,1] neg_hi:[0,0,1]
	v_pk_fma_f32 v[86:87], v[90:91], v[86:87], v[88:89] op_sel:[0,0,1] op_sel_hi:[1,0,0]
	v_mov_b32_e32 v101, v87
	s_delay_alu instid0(VALU_DEP_1)
	v_pk_add_f32 v[244:245], v[244:245], v[100:101] neg_lo:[0,1] neg_hi:[0,1]
.LBB121_235:
	s_or_b32 exec_lo, exec_lo, s1
	s_delay_alu instid0(SALU_CYCLE_1)
	s_mov_b32 s2, exec_lo
	s_wait_dscnt 0x0
	s_barrier_signal -1
	s_barrier_wait -1
	v_cmpx_eq_u32_e32 26, v220
	s_cbranch_execz .LBB121_242
; %bb.236:
	ds_store_b64 v221, v[112:113]
	ds_store_2addr_b64 v222, v[108:109], v[130:131] offset0:27 offset1:28
	ds_store_2addr_b64 v222, v[126:127], v[128:129] offset0:29 offset1:30
	;; [unrolled: 1-line block ×17, first 2 shown]
	ds_load_b64 v[86:87], v221
	s_wait_dscnt 0x0
	v_cmp_neq_f32_e32 vcc_lo, 0, v86
	v_cmp_neq_f32_e64 s1, 0, v87
	s_or_b32 s1, vcc_lo, s1
	s_delay_alu instid0(SALU_CYCLE_1)
	s_and_b32 exec_lo, exec_lo, s1
	s_cbranch_execz .LBB121_242
; %bb.237:
	v_cmp_ngt_f32_e64 s1, |v86|, |v87|
                                        ; implicit-def: $vgpr88_vgpr89
	s_and_saveexec_b32 s4, s1
	s_delay_alu instid0(SALU_CYCLE_1)
	s_xor_b32 s1, exec_lo, s4
	s_cbranch_execz .LBB121_239
; %bb.238:
	v_div_scale_f32 v88, null, v87, v87, v86
	v_div_scale_f32 v91, vcc_lo, v86, v87, v86
	s_delay_alu instid0(VALU_DEP_2) | instskip(SKIP_1) | instid1(TRANS32_DEP_1)
	v_rcp_f32_e32 v89, v88
	v_nop
	v_fma_f32 v90, -v88, v89, 1.0
	s_delay_alu instid0(VALU_DEP_1) | instskip(NEXT) | instid1(VALU_DEP_1)
	v_fmac_f32_e32 v89, v90, v89
	v_mul_f32_e32 v90, v91, v89
	s_delay_alu instid0(VALU_DEP_1) | instskip(NEXT) | instid1(VALU_DEP_1)
	v_fma_f32 v100, -v88, v90, v91
	v_fmac_f32_e32 v90, v100, v89
	s_delay_alu instid0(VALU_DEP_1) | instskip(NEXT) | instid1(VALU_DEP_1)
	v_fma_f32 v88, -v88, v90, v91
	v_div_fmas_f32 v88, v88, v89, v90
	s_delay_alu instid0(VALU_DEP_1) | instskip(NEXT) | instid1(VALU_DEP_1)
	v_div_fixup_f32 v88, v88, v87, v86
	v_fmac_f32_e32 v87, v86, v88
	s_delay_alu instid0(VALU_DEP_1) | instskip(SKIP_1) | instid1(VALU_DEP_2)
	v_div_scale_f32 v86, null, v87, v87, 1.0
	v_div_scale_f32 v91, vcc_lo, 1.0, v87, 1.0
	v_rcp_f32_e32 v89, v86
	v_nop
	s_delay_alu instid0(TRANS32_DEP_1) | instskip(NEXT) | instid1(VALU_DEP_1)
	v_fma_f32 v90, -v86, v89, 1.0
	v_fmac_f32_e32 v89, v90, v89
	s_delay_alu instid0(VALU_DEP_1) | instskip(NEXT) | instid1(VALU_DEP_1)
	v_mul_f32_e32 v90, v91, v89
	v_fma_f32 v100, -v86, v90, v91
	s_delay_alu instid0(VALU_DEP_1) | instskip(NEXT) | instid1(VALU_DEP_1)
	v_fmac_f32_e32 v90, v100, v89
	v_fma_f32 v86, -v86, v90, v91
	s_delay_alu instid0(VALU_DEP_1) | instskip(NEXT) | instid1(VALU_DEP_1)
	v_div_fmas_f32 v86, v86, v89, v90
	v_div_fixup_f32 v86, v86, v87, 1.0
	s_delay_alu instid0(VALU_DEP_1)
	v_mul_f32_e32 v88, v88, v86
	v_xor_b32_e32 v89, 0x80000000, v86
                                        ; implicit-def: $vgpr86_vgpr87
.LBB121_239:
	s_and_not1_saveexec_b32 s1, s1
	s_cbranch_execz .LBB121_241
; %bb.240:
	v_div_scale_f32 v88, null, v86, v86, v87
	v_div_scale_f32 v91, vcc_lo, v87, v86, v87
	s_delay_alu instid0(VALU_DEP_2) | instskip(SKIP_1) | instid1(TRANS32_DEP_1)
	v_rcp_f32_e32 v89, v88
	v_nop
	v_fma_f32 v90, -v88, v89, 1.0
	s_delay_alu instid0(VALU_DEP_1) | instskip(NEXT) | instid1(VALU_DEP_1)
	v_fmac_f32_e32 v89, v90, v89
	v_mul_f32_e32 v90, v91, v89
	s_delay_alu instid0(VALU_DEP_1) | instskip(NEXT) | instid1(VALU_DEP_1)
	v_fma_f32 v100, -v88, v90, v91
	v_fmac_f32_e32 v90, v100, v89
	s_delay_alu instid0(VALU_DEP_1) | instskip(NEXT) | instid1(VALU_DEP_1)
	v_fma_f32 v88, -v88, v90, v91
	v_div_fmas_f32 v88, v88, v89, v90
	s_delay_alu instid0(VALU_DEP_1) | instskip(NEXT) | instid1(VALU_DEP_1)
	v_div_fixup_f32 v89, v88, v86, v87
	v_fmac_f32_e32 v86, v87, v89
	s_delay_alu instid0(VALU_DEP_1) | instskip(NEXT) | instid1(VALU_DEP_1)
	v_div_scale_f32 v87, null, v86, v86, 1.0
	v_rcp_f32_e32 v88, v87
	v_nop
	s_delay_alu instid0(TRANS32_DEP_1) | instskip(NEXT) | instid1(VALU_DEP_1)
	v_fma_f32 v90, -v87, v88, 1.0
	v_fmac_f32_e32 v88, v90, v88
	v_div_scale_f32 v90, vcc_lo, 1.0, v86, 1.0
	s_delay_alu instid0(VALU_DEP_1) | instskip(NEXT) | instid1(VALU_DEP_1)
	v_mul_f32_e32 v91, v90, v88
	v_fma_f32 v100, -v87, v91, v90
	s_delay_alu instid0(VALU_DEP_1) | instskip(NEXT) | instid1(VALU_DEP_1)
	v_fmac_f32_e32 v91, v100, v88
	v_fma_f32 v87, -v87, v91, v90
	s_delay_alu instid0(VALU_DEP_1) | instskip(NEXT) | instid1(VALU_DEP_1)
	v_div_fmas_f32 v87, v87, v88, v91
	v_div_fixup_f32 v88, v87, v86, 1.0
	s_delay_alu instid0(VALU_DEP_1)
	v_mul_f32_e64 v89, v89, -v88
.LBB121_241:
	s_or_b32 exec_lo, exec_lo, s1
	ds_store_b64 v221, v[88:89]
.LBB121_242:
	s_or_b32 exec_lo, exec_lo, s2
	s_wait_dscnt 0x0
	s_barrier_signal -1
	s_barrier_wait -1
	ds_load_b64 v[86:87], v221
	s_mov_b32 s1, exec_lo
	v_cmpx_lt_u32_e32 26, v220
	s_cbranch_execz .LBB121_244
; %bb.243:
	ds_load_2addr_b64 v[100:103], v222 offset0:27 offset1:28
	s_wait_dscnt 0x1
	v_pk_mul_f32 v[90:91], v[86:87], v[112:113] op_sel:[1,1] op_sel_hi:[0,1]
	s_delay_alu instid0(VALU_DEP_1) | instskip(SKIP_1) | instid1(VALU_DEP_1)
	v_pk_fma_f32 v[88:89], v[86:87], v[112:113], v[90:91] op_sel_hi:[1,0,1] neg_lo:[0,0,1] neg_hi:[0,0,1]
	v_pk_fma_f32 v[90:91], v[86:87], v[112:113], v[90:91] op_sel_hi:[1,0,1]
	v_dual_mov_b32 v112, v88 :: v_dual_mov_b32 v113, v91
	s_wait_dscnt 0x0
	s_delay_alu instid0(VALU_DEP_2) | instskip(NEXT) | instid1(VALU_DEP_1)
	v_pk_mul_f32 v[104:105], v[100:101], v[90:91] op_sel:[0,1]
	v_pk_fma_f32 v[106:107], v[100:101], v[88:89], v[104:105] op_sel:[0,0,1] op_sel_hi:[1,1,0] neg_lo:[0,0,1] neg_hi:[0,0,1]
	v_pk_fma_f32 v[100:101], v[100:101], v[88:89], v[104:105] op_sel:[0,0,1] op_sel_hi:[1,0,0]
	s_delay_alu instid0(VALU_DEP_1) | instskip(SKIP_1) | instid1(VALU_DEP_1)
	v_mov_b32_e32 v107, v101
	v_pk_mul_f32 v[100:101], v[102:103], v[90:91] op_sel:[0,1]
	v_pk_fma_f32 v[104:105], v[102:103], v[88:89], v[100:101] op_sel:[0,0,1] op_sel_hi:[1,1,0] neg_lo:[0,0,1] neg_hi:[0,0,1]
	v_pk_fma_f32 v[100:101], v[102:103], v[88:89], v[100:101] op_sel:[0,0,1] op_sel_hi:[1,0,0]
	s_delay_alu instid0(VALU_DEP_1)
	v_mov_b32_e32 v105, v101
	ds_load_2addr_b64 v[100:103], v222 offset0:29 offset1:30
	v_pk_add_f32 v[108:109], v[108:109], v[106:107] neg_lo:[0,1] neg_hi:[0,1]
	v_pk_add_f32 v[130:131], v[130:131], v[104:105] neg_lo:[0,1] neg_hi:[0,1]
	s_wait_dscnt 0x0
	v_pk_mul_f32 v[104:105], v[100:101], v[90:91] op_sel:[0,1]
	s_delay_alu instid0(VALU_DEP_1) | instskip(SKIP_2) | instid1(VALU_DEP_2)
	v_pk_fma_f32 v[106:107], v[100:101], v[88:89], v[104:105] op_sel:[0,0,1] op_sel_hi:[1,1,0] neg_lo:[0,0,1] neg_hi:[0,0,1]
	v_pk_fma_f32 v[100:101], v[100:101], v[88:89], v[104:105] op_sel:[0,0,1] op_sel_hi:[1,0,0]
	v_dual_mul_f32 v104, v103, v91 :: v_dual_mov_b32 v100, v103
	v_dual_mov_b32 v107, v101 :: v_dual_mov_b32 v101, v102
	s_delay_alu instid0(VALU_DEP_2) | instskip(SKIP_1) | instid1(VALU_DEP_3)
	v_pk_fma_f32 v[104:105], v[102:103], v[112:113], v[104:105] op_sel_hi:[1,1,0] neg_lo:[0,0,1] neg_hi:[0,0,1]
	v_mul_f32_e32 v102, v103, v88
	v_pk_add_f32 v[126:127], v[126:127], v[106:107] neg_lo:[0,1] neg_hi:[0,1]
	s_delay_alu instid0(VALU_DEP_2) | instskip(NEXT) | instid1(VALU_DEP_1)
	v_pk_fma_f32 v[100:101], v[100:101], v[112:113], v[102:103] op_sel_hi:[1,1,0]
	v_mov_b32_e32 v105, v101
	ds_load_2addr_b64 v[100:103], v222 offset0:31 offset1:32
	v_pk_add_f32 v[128:129], v[128:129], v[104:105] neg_lo:[0,1] neg_hi:[0,1]
	s_wait_dscnt 0x0
	v_pk_mul_f32 v[104:105], v[100:101], v[90:91] op_sel:[0,1]
	s_delay_alu instid0(VALU_DEP_1) | instskip(SKIP_1) | instid1(VALU_DEP_1)
	v_pk_fma_f32 v[106:107], v[100:101], v[88:89], v[104:105] op_sel:[0,0,1] op_sel_hi:[1,1,0] neg_lo:[0,0,1] neg_hi:[0,0,1]
	v_pk_fma_f32 v[100:101], v[100:101], v[88:89], v[104:105] op_sel:[0,0,1] op_sel_hi:[1,0,0]
	v_mov_b32_e32 v107, v101
	v_pk_mul_f32 v[100:101], v[102:103], v[90:91] op_sel:[0,1]
	s_delay_alu instid0(VALU_DEP_1) | instskip(SKIP_1) | instid1(VALU_DEP_1)
	v_pk_fma_f32 v[104:105], v[102:103], v[88:89], v[100:101] op_sel:[0,0,1] op_sel_hi:[1,1,0] neg_lo:[0,0,1] neg_hi:[0,0,1]
	v_pk_fma_f32 v[100:101], v[102:103], v[88:89], v[100:101] op_sel:[0,0,1] op_sel_hi:[1,0,0]
	v_mov_b32_e32 v105, v101
	ds_load_2addr_b64 v[100:103], v222 offset0:33 offset1:34
	v_pk_add_f32 v[124:125], v[124:125], v[106:107] neg_lo:[0,1] neg_hi:[0,1]
	v_pk_add_f32 v[146:147], v[146:147], v[104:105] neg_lo:[0,1] neg_hi:[0,1]
	s_wait_dscnt 0x0
	v_pk_mul_f32 v[104:105], v[100:101], v[90:91] op_sel:[0,1]
	s_delay_alu instid0(VALU_DEP_1) | instskip(SKIP_1) | instid1(VALU_DEP_1)
	v_pk_fma_f32 v[106:107], v[100:101], v[88:89], v[104:105] op_sel:[0,0,1] op_sel_hi:[1,1,0] neg_lo:[0,0,1] neg_hi:[0,0,1]
	v_pk_fma_f32 v[100:101], v[100:101], v[88:89], v[104:105] op_sel:[0,0,1] op_sel_hi:[1,0,0]
	v_mov_b32_e32 v107, v101
	v_pk_mul_f32 v[100:101], v[102:103], v[90:91] op_sel:[0,1]
	s_delay_alu instid0(VALU_DEP_1) | instskip(SKIP_1) | instid1(VALU_DEP_1)
	v_pk_fma_f32 v[104:105], v[102:103], v[88:89], v[100:101] op_sel:[0,0,1] op_sel_hi:[1,1,0] neg_lo:[0,0,1] neg_hi:[0,0,1]
	v_pk_fma_f32 v[100:101], v[102:103], v[88:89], v[100:101] op_sel:[0,0,1] op_sel_hi:[1,0,0]
	v_mov_b32_e32 v105, v101
	ds_load_2addr_b64 v[100:103], v222 offset0:35 offset1:36
	v_pk_add_f32 v[142:143], v[142:143], v[106:107] neg_lo:[0,1] neg_hi:[0,1]
	v_pk_add_f32 v[144:145], v[144:145], v[104:105] neg_lo:[0,1] neg_hi:[0,1]
	s_wait_dscnt 0x0
	v_dual_mul_f32 v104, v101, v91 :: v_dual_mul_f32 v106, v101, v88
	s_delay_alu instid0(VALU_DEP_1) | instskip(NEXT) | instid1(VALU_DEP_2)
	v_pk_fma_f32 v[104:105], v[100:101], v[112:113], v[104:105] op_sel_hi:[1,1,0] neg_lo:[0,0,1] neg_hi:[0,0,1]
	v_pk_fma_f32 v[100:101], v[100:101], v[112:113], v[106:107] op_sel:[1,0,0] op_sel_hi:[0,1,0]
	s_delay_alu instid0(VALU_DEP_1) | instskip(SKIP_1) | instid1(VALU_DEP_2)
	v_mov_b32_e32 v105, v101
	v_pk_mul_f32 v[100:101], v[102:103], v[90:91] op_sel:[0,1]
	v_pk_add_f32 v[140:141], v[140:141], v[104:105] neg_lo:[0,1] neg_hi:[0,1]
	s_delay_alu instid0(VALU_DEP_2) | instskip(SKIP_1) | instid1(VALU_DEP_1)
	v_pk_fma_f32 v[104:105], v[102:103], v[88:89], v[100:101] op_sel:[0,0,1] op_sel_hi:[1,1,0] neg_lo:[0,0,1] neg_hi:[0,0,1]
	v_pk_fma_f32 v[100:101], v[102:103], v[88:89], v[100:101] op_sel:[0,0,1] op_sel_hi:[1,0,0]
	v_mov_b32_e32 v105, v101
	ds_load_2addr_b64 v[100:103], v222 offset0:37 offset1:38
	v_pk_add_f32 v[162:163], v[162:163], v[104:105] neg_lo:[0,1] neg_hi:[0,1]
	s_wait_dscnt 0x0
	v_pk_mul_f32 v[104:105], v[100:101], v[90:91] op_sel:[0,1]
	s_delay_alu instid0(VALU_DEP_1) | instskip(SKIP_1) | instid1(VALU_DEP_1)
	v_pk_fma_f32 v[106:107], v[100:101], v[88:89], v[104:105] op_sel:[0,0,1] op_sel_hi:[1,1,0] neg_lo:[0,0,1] neg_hi:[0,0,1]
	v_pk_fma_f32 v[100:101], v[100:101], v[88:89], v[104:105] op_sel:[0,0,1] op_sel_hi:[1,0,0]
	v_mov_b32_e32 v107, v101
	v_pk_mul_f32 v[100:101], v[102:103], v[90:91] op_sel:[0,1]
	s_delay_alu instid0(VALU_DEP_2) | instskip(NEXT) | instid1(VALU_DEP_2)
	v_pk_add_f32 v[158:159], v[158:159], v[106:107] neg_lo:[0,1] neg_hi:[0,1]
	v_pk_fma_f32 v[104:105], v[102:103], v[88:89], v[100:101] op_sel:[0,0,1] op_sel_hi:[1,1,0] neg_lo:[0,0,1] neg_hi:[0,0,1]
	v_pk_fma_f32 v[100:101], v[102:103], v[88:89], v[100:101] op_sel:[0,0,1] op_sel_hi:[1,0,0]
	s_delay_alu instid0(VALU_DEP_1) | instskip(SKIP_4) | instid1(VALU_DEP_1)
	v_mov_b32_e32 v105, v101
	ds_load_2addr_b64 v[100:103], v222 offset0:39 offset1:40
	v_pk_add_f32 v[160:161], v[160:161], v[104:105] neg_lo:[0,1] neg_hi:[0,1]
	s_wait_dscnt 0x0
	v_pk_mul_f32 v[104:105], v[100:101], v[90:91] op_sel:[0,1]
	v_pk_fma_f32 v[106:107], v[100:101], v[88:89], v[104:105] op_sel:[0,0,1] op_sel_hi:[1,1,0] neg_lo:[0,0,1] neg_hi:[0,0,1]
	v_pk_fma_f32 v[100:101], v[100:101], v[88:89], v[104:105] op_sel:[0,0,1] op_sel_hi:[1,0,0]
	v_dual_mul_f32 v104, v103, v91 :: v_dual_mov_b32 v100, v103
	s_delay_alu instid0(VALU_DEP_2) | instskip(NEXT) | instid1(VALU_DEP_2)
	v_dual_mov_b32 v107, v101 :: v_dual_mov_b32 v101, v102
	v_pk_fma_f32 v[104:105], v[102:103], v[112:113], v[104:105] op_sel_hi:[1,1,0] neg_lo:[0,0,1] neg_hi:[0,0,1]
	v_mul_f32_e32 v102, v103, v88
	s_delay_alu instid0(VALU_DEP_3) | instskip(NEXT) | instid1(VALU_DEP_2)
	v_pk_add_f32 v[156:157], v[156:157], v[106:107] neg_lo:[0,1] neg_hi:[0,1]
	v_pk_fma_f32 v[100:101], v[100:101], v[112:113], v[102:103] op_sel_hi:[1,1,0]
	s_delay_alu instid0(VALU_DEP_1) | instskip(SKIP_4) | instid1(VALU_DEP_1)
	v_mov_b32_e32 v105, v101
	ds_load_2addr_b64 v[100:103], v222 offset0:41 offset1:42
	v_pk_add_f32 v[178:179], v[178:179], v[104:105] neg_lo:[0,1] neg_hi:[0,1]
	s_wait_dscnt 0x0
	v_pk_mul_f32 v[104:105], v[100:101], v[90:91] op_sel:[0,1]
	v_pk_fma_f32 v[106:107], v[100:101], v[88:89], v[104:105] op_sel:[0,0,1] op_sel_hi:[1,1,0] neg_lo:[0,0,1] neg_hi:[0,0,1]
	v_pk_fma_f32 v[100:101], v[100:101], v[88:89], v[104:105] op_sel:[0,0,1] op_sel_hi:[1,0,0]
	s_delay_alu instid0(VALU_DEP_1) | instskip(SKIP_1) | instid1(VALU_DEP_1)
	v_mov_b32_e32 v107, v101
	v_pk_mul_f32 v[100:101], v[102:103], v[90:91] op_sel:[0,1]
	v_pk_fma_f32 v[104:105], v[102:103], v[88:89], v[100:101] op_sel:[0,0,1] op_sel_hi:[1,1,0] neg_lo:[0,0,1] neg_hi:[0,0,1]
	v_pk_fma_f32 v[100:101], v[102:103], v[88:89], v[100:101] op_sel:[0,0,1] op_sel_hi:[1,0,0]
	s_delay_alu instid0(VALU_DEP_1)
	v_mov_b32_e32 v105, v101
	ds_load_2addr_b64 v[100:103], v222 offset0:43 offset1:44
	v_pk_add_f32 v[174:175], v[174:175], v[106:107] neg_lo:[0,1] neg_hi:[0,1]
	v_pk_add_f32 v[176:177], v[176:177], v[104:105] neg_lo:[0,1] neg_hi:[0,1]
	s_wait_dscnt 0x0
	v_pk_mul_f32 v[104:105], v[100:101], v[90:91] op_sel:[0,1]
	s_delay_alu instid0(VALU_DEP_1) | instskip(SKIP_1) | instid1(VALU_DEP_1)
	v_pk_fma_f32 v[106:107], v[100:101], v[88:89], v[104:105] op_sel:[0,0,1] op_sel_hi:[1,1,0] neg_lo:[0,0,1] neg_hi:[0,0,1]
	v_pk_fma_f32 v[100:101], v[100:101], v[88:89], v[104:105] op_sel:[0,0,1] op_sel_hi:[1,0,0]
	v_mov_b32_e32 v107, v101
	v_pk_mul_f32 v[100:101], v[102:103], v[90:91] op_sel:[0,1]
	s_delay_alu instid0(VALU_DEP_1) | instskip(SKIP_1) | instid1(VALU_DEP_1)
	v_pk_fma_f32 v[104:105], v[102:103], v[88:89], v[100:101] op_sel:[0,0,1] op_sel_hi:[1,1,0] neg_lo:[0,0,1] neg_hi:[0,0,1]
	v_pk_fma_f32 v[100:101], v[102:103], v[88:89], v[100:101] op_sel:[0,0,1] op_sel_hi:[1,0,0]
	v_mov_b32_e32 v105, v101
	ds_load_2addr_b64 v[100:103], v222 offset0:45 offset1:46
	v_pk_add_f32 v[172:173], v[172:173], v[106:107] neg_lo:[0,1] neg_hi:[0,1]
	v_pk_add_f32 v[194:195], v[194:195], v[104:105] neg_lo:[0,1] neg_hi:[0,1]
	s_wait_dscnt 0x0
	v_dual_mul_f32 v104, v101, v91 :: v_dual_mul_f32 v106, v101, v88
	s_delay_alu instid0(VALU_DEP_1) | instskip(NEXT) | instid1(VALU_DEP_2)
	v_pk_fma_f32 v[104:105], v[100:101], v[112:113], v[104:105] op_sel_hi:[1,1,0] neg_lo:[0,0,1] neg_hi:[0,0,1]
	v_pk_fma_f32 v[100:101], v[100:101], v[112:113], v[106:107] op_sel:[1,0,0] op_sel_hi:[0,1,0]
	s_delay_alu instid0(VALU_DEP_1) | instskip(SKIP_1) | instid1(VALU_DEP_2)
	v_mov_b32_e32 v105, v101
	v_pk_mul_f32 v[100:101], v[102:103], v[90:91] op_sel:[0,1]
	v_pk_add_f32 v[190:191], v[190:191], v[104:105] neg_lo:[0,1] neg_hi:[0,1]
	s_delay_alu instid0(VALU_DEP_2) | instskip(SKIP_1) | instid1(VALU_DEP_1)
	v_pk_fma_f32 v[104:105], v[102:103], v[88:89], v[100:101] op_sel:[0,0,1] op_sel_hi:[1,1,0] neg_lo:[0,0,1] neg_hi:[0,0,1]
	v_pk_fma_f32 v[100:101], v[102:103], v[88:89], v[100:101] op_sel:[0,0,1] op_sel_hi:[1,0,0]
	v_mov_b32_e32 v105, v101
	ds_load_2addr_b64 v[100:103], v222 offset0:47 offset1:48
	v_pk_add_f32 v[192:193], v[192:193], v[104:105] neg_lo:[0,1] neg_hi:[0,1]
	s_wait_dscnt 0x0
	v_pk_mul_f32 v[104:105], v[100:101], v[90:91] op_sel:[0,1]
	s_delay_alu instid0(VALU_DEP_1) | instskip(SKIP_1) | instid1(VALU_DEP_1)
	v_pk_fma_f32 v[106:107], v[100:101], v[88:89], v[104:105] op_sel:[0,0,1] op_sel_hi:[1,1,0] neg_lo:[0,0,1] neg_hi:[0,0,1]
	v_pk_fma_f32 v[100:101], v[100:101], v[88:89], v[104:105] op_sel:[0,0,1] op_sel_hi:[1,0,0]
	v_mov_b32_e32 v107, v101
	v_pk_mul_f32 v[100:101], v[102:103], v[90:91] op_sel:[0,1]
	s_delay_alu instid0(VALU_DEP_2) | instskip(NEXT) | instid1(VALU_DEP_2)
	v_pk_add_f32 v[188:189], v[188:189], v[106:107] neg_lo:[0,1] neg_hi:[0,1]
	v_pk_fma_f32 v[104:105], v[102:103], v[88:89], v[100:101] op_sel:[0,0,1] op_sel_hi:[1,1,0] neg_lo:[0,0,1] neg_hi:[0,0,1]
	v_pk_fma_f32 v[100:101], v[102:103], v[88:89], v[100:101] op_sel:[0,0,1] op_sel_hi:[1,0,0]
	s_delay_alu instid0(VALU_DEP_1) | instskip(SKIP_4) | instid1(VALU_DEP_1)
	v_mov_b32_e32 v105, v101
	ds_load_2addr_b64 v[100:103], v222 offset0:49 offset1:50
	v_pk_add_f32 v[216:217], v[216:217], v[104:105] neg_lo:[0,1] neg_hi:[0,1]
	s_wait_dscnt 0x0
	v_pk_mul_f32 v[104:105], v[100:101], v[90:91] op_sel:[0,1]
	v_pk_fma_f32 v[106:107], v[100:101], v[88:89], v[104:105] op_sel:[0,0,1] op_sel_hi:[1,1,0] neg_lo:[0,0,1] neg_hi:[0,0,1]
	v_pk_fma_f32 v[100:101], v[100:101], v[88:89], v[104:105] op_sel:[0,0,1] op_sel_hi:[1,0,0]
	v_dual_mul_f32 v104, v103, v91 :: v_dual_mov_b32 v100, v103
	s_delay_alu instid0(VALU_DEP_2) | instskip(NEXT) | instid1(VALU_DEP_2)
	v_dual_mov_b32 v107, v101 :: v_dual_mov_b32 v101, v102
	v_pk_fma_f32 v[104:105], v[102:103], v[112:113], v[104:105] op_sel_hi:[1,1,0] neg_lo:[0,0,1] neg_hi:[0,0,1]
	v_mul_f32_e32 v102, v103, v88
	s_delay_alu instid0(VALU_DEP_3) | instskip(NEXT) | instid1(VALU_DEP_2)
	v_pk_add_f32 v[212:213], v[212:213], v[106:107] neg_lo:[0,1] neg_hi:[0,1]
	v_pk_fma_f32 v[100:101], v[100:101], v[112:113], v[102:103] op_sel_hi:[1,1,0]
	s_delay_alu instid0(VALU_DEP_1) | instskip(SKIP_4) | instid1(VALU_DEP_1)
	v_mov_b32_e32 v105, v101
	ds_load_2addr_b64 v[100:103], v222 offset0:51 offset1:52
	v_pk_add_f32 v[214:215], v[214:215], v[104:105] neg_lo:[0,1] neg_hi:[0,1]
	s_wait_dscnt 0x0
	v_pk_mul_f32 v[104:105], v[100:101], v[90:91] op_sel:[0,1]
	v_pk_fma_f32 v[106:107], v[100:101], v[88:89], v[104:105] op_sel:[0,0,1] op_sel_hi:[1,1,0] neg_lo:[0,0,1] neg_hi:[0,0,1]
	v_pk_fma_f32 v[100:101], v[100:101], v[88:89], v[104:105] op_sel:[0,0,1] op_sel_hi:[1,0,0]
	s_delay_alu instid0(VALU_DEP_1) | instskip(SKIP_1) | instid1(VALU_DEP_1)
	v_mov_b32_e32 v107, v101
	v_pk_mul_f32 v[100:101], v[102:103], v[90:91] op_sel:[0,1]
	v_pk_fma_f32 v[104:105], v[102:103], v[88:89], v[100:101] op_sel:[0,0,1] op_sel_hi:[1,1,0] neg_lo:[0,0,1] neg_hi:[0,0,1]
	v_pk_fma_f32 v[100:101], v[102:103], v[88:89], v[100:101] op_sel:[0,0,1] op_sel_hi:[1,0,0]
	s_delay_alu instid0(VALU_DEP_1)
	v_mov_b32_e32 v105, v101
	ds_load_2addr_b64 v[100:103], v222 offset0:53 offset1:54
	v_pk_add_f32 v[210:211], v[210:211], v[106:107] neg_lo:[0,1] neg_hi:[0,1]
	v_pk_add_f32 v[240:241], v[240:241], v[104:105] neg_lo:[0,1] neg_hi:[0,1]
	s_wait_dscnt 0x0
	v_pk_mul_f32 v[104:105], v[100:101], v[90:91] op_sel:[0,1]
	s_delay_alu instid0(VALU_DEP_1) | instskip(SKIP_1) | instid1(VALU_DEP_1)
	v_pk_fma_f32 v[106:107], v[100:101], v[88:89], v[104:105] op_sel:[0,0,1] op_sel_hi:[1,1,0] neg_lo:[0,0,1] neg_hi:[0,0,1]
	v_pk_fma_f32 v[100:101], v[100:101], v[88:89], v[104:105] op_sel:[0,0,1] op_sel_hi:[1,0,0]
	v_mov_b32_e32 v107, v101
	v_pk_mul_f32 v[100:101], v[102:103], v[90:91] op_sel:[0,1]
	s_delay_alu instid0(VALU_DEP_1) | instskip(SKIP_1) | instid1(VALU_DEP_1)
	v_pk_fma_f32 v[104:105], v[102:103], v[88:89], v[100:101] op_sel:[0,0,1] op_sel_hi:[1,1,0] neg_lo:[0,0,1] neg_hi:[0,0,1]
	v_pk_fma_f32 v[100:101], v[102:103], v[88:89], v[100:101] op_sel:[0,0,1] op_sel_hi:[1,0,0]
	v_mov_b32_e32 v105, v101
	ds_load_2addr_b64 v[100:103], v222 offset0:55 offset1:56
	v_pk_add_f32 v[232:233], v[232:233], v[106:107] neg_lo:[0,1] neg_hi:[0,1]
	v_pk_add_f32 v[238:239], v[238:239], v[104:105] neg_lo:[0,1] neg_hi:[0,1]
	s_wait_dscnt 0x0
	v_dual_mul_f32 v104, v101, v91 :: v_dual_mul_f32 v106, v101, v88
	s_delay_alu instid0(VALU_DEP_1) | instskip(NEXT) | instid1(VALU_DEP_2)
	v_pk_fma_f32 v[104:105], v[100:101], v[112:113], v[104:105] op_sel_hi:[1,1,0] neg_lo:[0,0,1] neg_hi:[0,0,1]
	v_pk_fma_f32 v[100:101], v[100:101], v[112:113], v[106:107] op_sel:[1,0,0] op_sel_hi:[0,1,0]
	s_delay_alu instid0(VALU_DEP_1) | instskip(SKIP_1) | instid1(VALU_DEP_2)
	v_mov_b32_e32 v105, v101
	v_pk_mul_f32 v[100:101], v[102:103], v[90:91] op_sel:[0,1]
	v_pk_add_f32 v[230:231], v[230:231], v[104:105] neg_lo:[0,1] neg_hi:[0,1]
	s_delay_alu instid0(VALU_DEP_2) | instskip(SKIP_1) | instid1(VALU_DEP_1)
	v_pk_fma_f32 v[104:105], v[102:103], v[88:89], v[100:101] op_sel:[0,0,1] op_sel_hi:[1,1,0] neg_lo:[0,0,1] neg_hi:[0,0,1]
	v_pk_fma_f32 v[100:101], v[102:103], v[88:89], v[100:101] op_sel:[0,0,1] op_sel_hi:[1,0,0]
	v_mov_b32_e32 v105, v101
	ds_load_2addr_b64 v[100:103], v222 offset0:57 offset1:58
	v_pk_add_f32 v[236:237], v[236:237], v[104:105] neg_lo:[0,1] neg_hi:[0,1]
	s_wait_dscnt 0x0
	v_pk_mul_f32 v[104:105], v[100:101], v[90:91] op_sel:[0,1]
	s_delay_alu instid0(VALU_DEP_1) | instskip(SKIP_1) | instid1(VALU_DEP_1)
	v_pk_fma_f32 v[106:107], v[100:101], v[88:89], v[104:105] op_sel:[0,0,1] op_sel_hi:[1,1,0] neg_lo:[0,0,1] neg_hi:[0,0,1]
	v_pk_fma_f32 v[100:101], v[100:101], v[88:89], v[104:105] op_sel:[0,0,1] op_sel_hi:[1,0,0]
	v_mov_b32_e32 v107, v101
	v_pk_mul_f32 v[100:101], v[102:103], v[90:91] op_sel:[0,1]
	s_delay_alu instid0(VALU_DEP_2) | instskip(NEXT) | instid1(VALU_DEP_2)
	v_pk_add_f32 v[228:229], v[228:229], v[106:107] neg_lo:[0,1] neg_hi:[0,1]
	v_pk_fma_f32 v[104:105], v[102:103], v[88:89], v[100:101] op_sel:[0,0,1] op_sel_hi:[1,1,0] neg_lo:[0,0,1] neg_hi:[0,0,1]
	v_pk_fma_f32 v[100:101], v[102:103], v[88:89], v[100:101] op_sel:[0,0,1] op_sel_hi:[1,0,0]
	s_delay_alu instid0(VALU_DEP_1)
	v_mov_b32_e32 v105, v101
	ds_load_2addr_b64 v[100:103], v222 offset0:59 offset1:60
	v_pk_add_f32 v[234:235], v[234:235], v[104:105] neg_lo:[0,1] neg_hi:[0,1]
	s_wait_dscnt 0x0
	v_pk_mul_f32 v[104:105], v[100:101], v[90:91] op_sel:[0,1]
	v_pk_mul_f32 v[90:91], v[102:103], v[90:91] op_sel:[0,1]
	s_delay_alu instid0(VALU_DEP_2) | instskip(SKIP_1) | instid1(VALU_DEP_1)
	v_pk_fma_f32 v[106:107], v[100:101], v[88:89], v[104:105] op_sel:[0,0,1] op_sel_hi:[1,1,0] neg_lo:[0,0,1] neg_hi:[0,0,1]
	v_pk_fma_f32 v[100:101], v[100:101], v[88:89], v[104:105] op_sel:[0,0,1] op_sel_hi:[1,0,0]
	v_mov_b32_e32 v107, v101
	s_delay_alu instid0(VALU_DEP_4) | instskip(SKIP_1) | instid1(VALU_DEP_3)
	v_pk_fma_f32 v[100:101], v[102:103], v[88:89], v[90:91] op_sel:[0,0,1] op_sel_hi:[1,1,0] neg_lo:[0,0,1] neg_hi:[0,0,1]
	v_pk_fma_f32 v[88:89], v[102:103], v[88:89], v[90:91] op_sel:[0,0,1] op_sel_hi:[1,0,0]
	v_pk_add_f32 v[242:243], v[242:243], v[106:107] neg_lo:[0,1] neg_hi:[0,1]
	s_delay_alu instid0(VALU_DEP_2) | instskip(NEXT) | instid1(VALU_DEP_1)
	v_mov_b32_e32 v101, v89
	v_pk_add_f32 v[244:245], v[244:245], v[100:101] neg_lo:[0,1] neg_hi:[0,1]
.LBB121_244:
	s_or_b32 exec_lo, exec_lo, s1
	s_delay_alu instid0(SALU_CYCLE_1)
	s_mov_b32 s2, exec_lo
	s_wait_dscnt 0x0
	s_barrier_signal -1
	s_barrier_wait -1
	v_cmpx_eq_u32_e32 27, v220
	s_cbranch_execz .LBB121_251
; %bb.245:
	v_dual_mov_b32 v88, v130 :: v_dual_mov_b32 v89, v131
	v_dual_mov_b32 v90, v126 :: v_dual_mov_b32 v91, v127
	ds_store_b64 v221, v[108:109]
	ds_store_2addr_b64 v222, v[88:89], v[90:91] offset0:28 offset1:29
	v_dual_mov_b32 v88, v128 :: v_dual_mov_b32 v89, v129
	v_dual_mov_b32 v90, v124 :: v_dual_mov_b32 v91, v125
	ds_store_2addr_b64 v222, v[88:89], v[90:91] offset0:30 offset1:31
	v_dual_mov_b32 v88, v146 :: v_dual_mov_b32 v89, v147
	v_dual_mov_b32 v90, v142 :: v_dual_mov_b32 v91, v143
	;; [unrolled: 3-line block ×15, first 2 shown]
	ds_store_2addr_b64 v222, v[88:89], v[90:91] offset0:58 offset1:59
	ds_store_b64 v222, v[244:245] offset:480
	ds_load_b64 v[88:89], v221
	s_wait_dscnt 0x0
	v_cmp_neq_f32_e32 vcc_lo, 0, v88
	v_cmp_neq_f32_e64 s1, 0, v89
	s_or_b32 s1, vcc_lo, s1
	s_delay_alu instid0(SALU_CYCLE_1)
	s_and_b32 exec_lo, exec_lo, s1
	s_cbranch_execz .LBB121_251
; %bb.246:
	v_cmp_ngt_f32_e64 s1, |v88|, |v89|
                                        ; implicit-def: $vgpr90_vgpr91
	s_and_saveexec_b32 s4, s1
	s_delay_alu instid0(SALU_CYCLE_1)
	s_xor_b32 s1, exec_lo, s4
	s_cbranch_execz .LBB121_248
; %bb.247:
	v_div_scale_f32 v90, null, v89, v89, v88
	v_div_scale_f32 v101, vcc_lo, v88, v89, v88
	s_delay_alu instid0(VALU_DEP_2) | instskip(SKIP_1) | instid1(TRANS32_DEP_1)
	v_rcp_f32_e32 v91, v90
	v_nop
	v_fma_f32 v100, -v90, v91, 1.0
	s_delay_alu instid0(VALU_DEP_1) | instskip(NEXT) | instid1(VALU_DEP_1)
	v_fmac_f32_e32 v91, v100, v91
	v_mul_f32_e32 v100, v101, v91
	s_delay_alu instid0(VALU_DEP_1) | instskip(NEXT) | instid1(VALU_DEP_1)
	v_fma_f32 v102, -v90, v100, v101
	v_fmac_f32_e32 v100, v102, v91
	s_delay_alu instid0(VALU_DEP_1) | instskip(NEXT) | instid1(VALU_DEP_1)
	v_fma_f32 v90, -v90, v100, v101
	v_div_fmas_f32 v90, v90, v91, v100
	s_delay_alu instid0(VALU_DEP_1) | instskip(NEXT) | instid1(VALU_DEP_1)
	v_div_fixup_f32 v90, v90, v89, v88
	v_fmac_f32_e32 v89, v88, v90
	s_delay_alu instid0(VALU_DEP_1) | instskip(SKIP_1) | instid1(VALU_DEP_2)
	v_div_scale_f32 v88, null, v89, v89, 1.0
	v_div_scale_f32 v101, vcc_lo, 1.0, v89, 1.0
	v_rcp_f32_e32 v91, v88
	v_nop
	s_delay_alu instid0(TRANS32_DEP_1) | instskip(NEXT) | instid1(VALU_DEP_1)
	v_fma_f32 v100, -v88, v91, 1.0
	v_fmac_f32_e32 v91, v100, v91
	s_delay_alu instid0(VALU_DEP_1) | instskip(NEXT) | instid1(VALU_DEP_1)
	v_mul_f32_e32 v100, v101, v91
	v_fma_f32 v102, -v88, v100, v101
	s_delay_alu instid0(VALU_DEP_1) | instskip(NEXT) | instid1(VALU_DEP_1)
	v_fmac_f32_e32 v100, v102, v91
	v_fma_f32 v88, -v88, v100, v101
	s_delay_alu instid0(VALU_DEP_1) | instskip(NEXT) | instid1(VALU_DEP_1)
	v_div_fmas_f32 v88, v88, v91, v100
	v_div_fixup_f32 v88, v88, v89, 1.0
	s_delay_alu instid0(VALU_DEP_1)
	v_mul_f32_e32 v90, v90, v88
	v_xor_b32_e32 v91, 0x80000000, v88
                                        ; implicit-def: $vgpr88_vgpr89
.LBB121_248:
	s_and_not1_saveexec_b32 s1, s1
	s_cbranch_execz .LBB121_250
; %bb.249:
	v_div_scale_f32 v90, null, v88, v88, v89
	v_div_scale_f32 v101, vcc_lo, v89, v88, v89
	s_delay_alu instid0(VALU_DEP_2) | instskip(SKIP_1) | instid1(TRANS32_DEP_1)
	v_rcp_f32_e32 v91, v90
	v_nop
	v_fma_f32 v100, -v90, v91, 1.0
	s_delay_alu instid0(VALU_DEP_1) | instskip(NEXT) | instid1(VALU_DEP_1)
	v_fmac_f32_e32 v91, v100, v91
	v_mul_f32_e32 v100, v101, v91
	s_delay_alu instid0(VALU_DEP_1) | instskip(NEXT) | instid1(VALU_DEP_1)
	v_fma_f32 v102, -v90, v100, v101
	v_fmac_f32_e32 v100, v102, v91
	s_delay_alu instid0(VALU_DEP_1) | instskip(NEXT) | instid1(VALU_DEP_1)
	v_fma_f32 v90, -v90, v100, v101
	v_div_fmas_f32 v90, v90, v91, v100
	s_delay_alu instid0(VALU_DEP_1) | instskip(NEXT) | instid1(VALU_DEP_1)
	v_div_fixup_f32 v91, v90, v88, v89
	v_fmac_f32_e32 v88, v89, v91
	s_delay_alu instid0(VALU_DEP_1) | instskip(NEXT) | instid1(VALU_DEP_1)
	v_div_scale_f32 v89, null, v88, v88, 1.0
	v_rcp_f32_e32 v90, v89
	v_nop
	s_delay_alu instid0(TRANS32_DEP_1) | instskip(NEXT) | instid1(VALU_DEP_1)
	v_fma_f32 v100, -v89, v90, 1.0
	v_fmac_f32_e32 v90, v100, v90
	v_div_scale_f32 v100, vcc_lo, 1.0, v88, 1.0
	s_delay_alu instid0(VALU_DEP_1) | instskip(NEXT) | instid1(VALU_DEP_1)
	v_mul_f32_e32 v101, v100, v90
	v_fma_f32 v102, -v89, v101, v100
	s_delay_alu instid0(VALU_DEP_1) | instskip(NEXT) | instid1(VALU_DEP_1)
	v_fmac_f32_e32 v101, v102, v90
	v_fma_f32 v89, -v89, v101, v100
	s_delay_alu instid0(VALU_DEP_1) | instskip(NEXT) | instid1(VALU_DEP_1)
	v_div_fmas_f32 v89, v89, v90, v101
	v_div_fixup_f32 v90, v89, v88, 1.0
	s_delay_alu instid0(VALU_DEP_1)
	v_mul_f32_e64 v91, v91, -v90
.LBB121_250:
	s_or_b32 exec_lo, exec_lo, s1
	ds_store_b64 v221, v[90:91]
.LBB121_251:
	s_or_b32 exec_lo, exec_lo, s2
	s_wait_dscnt 0x0
	s_barrier_signal -1
	s_barrier_wait -1
	ds_load_b64 v[88:89], v221
	s_mov_b32 s1, exec_lo
	v_cmpx_lt_u32_e32 27, v220
	s_cbranch_execz .LBB121_253
; %bb.252:
	ds_load_2addr_b64 v[102:105], v222 offset0:28 offset1:29
	s_wait_dscnt 0x1
	v_pk_mul_f32 v[100:101], v[88:89], v[108:109] op_sel:[1,1] op_sel_hi:[0,1]
	s_delay_alu instid0(VALU_DEP_1) | instskip(SKIP_1) | instid1(VALU_DEP_1)
	v_pk_fma_f32 v[90:91], v[88:89], v[108:109], v[100:101] op_sel_hi:[1,0,1] neg_lo:[0,0,1] neg_hi:[0,0,1]
	v_pk_fma_f32 v[100:101], v[88:89], v[108:109], v[100:101] op_sel_hi:[1,0,1]
	v_dual_mov_b32 v108, v90 :: v_dual_mov_b32 v109, v101
	s_wait_dscnt 0x0
	s_delay_alu instid0(VALU_DEP_2) | instskip(NEXT) | instid1(VALU_DEP_1)
	v_pk_mul_f32 v[106:107], v[102:103], v[100:101] op_sel:[0,1]
	v_pk_fma_f32 v[116:117], v[102:103], v[90:91], v[106:107] op_sel:[0,0,1] op_sel_hi:[1,1,0] neg_lo:[0,0,1] neg_hi:[0,0,1]
	v_pk_fma_f32 v[102:103], v[102:103], v[90:91], v[106:107] op_sel:[0,0,1] op_sel_hi:[1,0,0]
	s_delay_alu instid0(VALU_DEP_1) | instskip(SKIP_1) | instid1(VALU_DEP_1)
	v_mov_b32_e32 v117, v103
	v_pk_mul_f32 v[102:103], v[104:105], v[100:101] op_sel:[0,1]
	v_pk_fma_f32 v[106:107], v[104:105], v[90:91], v[102:103] op_sel:[0,0,1] op_sel_hi:[1,1,0] neg_lo:[0,0,1] neg_hi:[0,0,1]
	v_pk_fma_f32 v[102:103], v[104:105], v[90:91], v[102:103] op_sel:[0,0,1] op_sel_hi:[1,0,0]
	s_delay_alu instid0(VALU_DEP_1)
	v_mov_b32_e32 v107, v103
	ds_load_2addr_b64 v[102:105], v222 offset0:30 offset1:31
	v_pk_add_f32 v[130:131], v[130:131], v[116:117] neg_lo:[0,1] neg_hi:[0,1]
	v_pk_add_f32 v[126:127], v[126:127], v[106:107] neg_lo:[0,1] neg_hi:[0,1]
	s_wait_dscnt 0x0
	v_pk_mul_f32 v[106:107], v[102:103], v[100:101] op_sel:[0,1]
	s_delay_alu instid0(VALU_DEP_1) | instskip(SKIP_2) | instid1(VALU_DEP_2)
	v_pk_fma_f32 v[116:117], v[102:103], v[90:91], v[106:107] op_sel:[0,0,1] op_sel_hi:[1,1,0] neg_lo:[0,0,1] neg_hi:[0,0,1]
	v_pk_fma_f32 v[102:103], v[102:103], v[90:91], v[106:107] op_sel:[0,0,1] op_sel_hi:[1,0,0]
	v_dual_mul_f32 v106, v105, v101 :: v_dual_mov_b32 v102, v105
	v_dual_mov_b32 v117, v103 :: v_dual_mov_b32 v103, v104
	s_delay_alu instid0(VALU_DEP_2) | instskip(SKIP_1) | instid1(VALU_DEP_3)
	v_pk_fma_f32 v[106:107], v[104:105], v[108:109], v[106:107] op_sel_hi:[1,1,0] neg_lo:[0,0,1] neg_hi:[0,0,1]
	v_mul_f32_e32 v104, v105, v90
	v_pk_add_f32 v[128:129], v[128:129], v[116:117] neg_lo:[0,1] neg_hi:[0,1]
	s_delay_alu instid0(VALU_DEP_2) | instskip(NEXT) | instid1(VALU_DEP_1)
	v_pk_fma_f32 v[102:103], v[102:103], v[108:109], v[104:105] op_sel_hi:[1,1,0]
	v_mov_b32_e32 v107, v103
	ds_load_2addr_b64 v[102:105], v222 offset0:32 offset1:33
	v_pk_add_f32 v[124:125], v[124:125], v[106:107] neg_lo:[0,1] neg_hi:[0,1]
	s_wait_dscnt 0x0
	v_pk_mul_f32 v[106:107], v[102:103], v[100:101] op_sel:[0,1]
	s_delay_alu instid0(VALU_DEP_1) | instskip(SKIP_1) | instid1(VALU_DEP_1)
	v_pk_fma_f32 v[116:117], v[102:103], v[90:91], v[106:107] op_sel:[0,0,1] op_sel_hi:[1,1,0] neg_lo:[0,0,1] neg_hi:[0,0,1]
	v_pk_fma_f32 v[102:103], v[102:103], v[90:91], v[106:107] op_sel:[0,0,1] op_sel_hi:[1,0,0]
	v_mov_b32_e32 v117, v103
	v_pk_mul_f32 v[102:103], v[104:105], v[100:101] op_sel:[0,1]
	s_delay_alu instid0(VALU_DEP_1) | instskip(SKIP_1) | instid1(VALU_DEP_1)
	v_pk_fma_f32 v[106:107], v[104:105], v[90:91], v[102:103] op_sel:[0,0,1] op_sel_hi:[1,1,0] neg_lo:[0,0,1] neg_hi:[0,0,1]
	v_pk_fma_f32 v[102:103], v[104:105], v[90:91], v[102:103] op_sel:[0,0,1] op_sel_hi:[1,0,0]
	v_mov_b32_e32 v107, v103
	ds_load_2addr_b64 v[102:105], v222 offset0:34 offset1:35
	v_pk_add_f32 v[146:147], v[146:147], v[116:117] neg_lo:[0,1] neg_hi:[0,1]
	v_pk_add_f32 v[142:143], v[142:143], v[106:107] neg_lo:[0,1] neg_hi:[0,1]
	s_wait_dscnt 0x0
	v_pk_mul_f32 v[106:107], v[102:103], v[100:101] op_sel:[0,1]
	s_delay_alu instid0(VALU_DEP_1) | instskip(SKIP_1) | instid1(VALU_DEP_1)
	v_pk_fma_f32 v[116:117], v[102:103], v[90:91], v[106:107] op_sel:[0,0,1] op_sel_hi:[1,1,0] neg_lo:[0,0,1] neg_hi:[0,0,1]
	v_pk_fma_f32 v[102:103], v[102:103], v[90:91], v[106:107] op_sel:[0,0,1] op_sel_hi:[1,0,0]
	v_mov_b32_e32 v117, v103
	v_pk_mul_f32 v[102:103], v[104:105], v[100:101] op_sel:[0,1]
	s_delay_alu instid0(VALU_DEP_1) | instskip(SKIP_1) | instid1(VALU_DEP_1)
	v_pk_fma_f32 v[106:107], v[104:105], v[90:91], v[102:103] op_sel:[0,0,1] op_sel_hi:[1,1,0] neg_lo:[0,0,1] neg_hi:[0,0,1]
	v_pk_fma_f32 v[102:103], v[104:105], v[90:91], v[102:103] op_sel:[0,0,1] op_sel_hi:[1,0,0]
	v_mov_b32_e32 v107, v103
	ds_load_2addr_b64 v[102:105], v222 offset0:36 offset1:37
	v_pk_add_f32 v[144:145], v[144:145], v[116:117] neg_lo:[0,1] neg_hi:[0,1]
	v_pk_add_f32 v[140:141], v[140:141], v[106:107] neg_lo:[0,1] neg_hi:[0,1]
	s_wait_dscnt 0x0
	v_dual_mul_f32 v106, v103, v101 :: v_dual_mul_f32 v116, v103, v90
	s_delay_alu instid0(VALU_DEP_1) | instskip(NEXT) | instid1(VALU_DEP_2)
	v_pk_fma_f32 v[106:107], v[102:103], v[108:109], v[106:107] op_sel_hi:[1,1,0] neg_lo:[0,0,1] neg_hi:[0,0,1]
	v_pk_fma_f32 v[102:103], v[102:103], v[108:109], v[116:117] op_sel:[1,0,0] op_sel_hi:[0,1,0]
	s_delay_alu instid0(VALU_DEP_1) | instskip(SKIP_1) | instid1(VALU_DEP_2)
	v_mov_b32_e32 v107, v103
	v_pk_mul_f32 v[102:103], v[104:105], v[100:101] op_sel:[0,1]
	v_pk_add_f32 v[162:163], v[162:163], v[106:107] neg_lo:[0,1] neg_hi:[0,1]
	s_delay_alu instid0(VALU_DEP_2) | instskip(SKIP_1) | instid1(VALU_DEP_1)
	v_pk_fma_f32 v[106:107], v[104:105], v[90:91], v[102:103] op_sel:[0,0,1] op_sel_hi:[1,1,0] neg_lo:[0,0,1] neg_hi:[0,0,1]
	v_pk_fma_f32 v[102:103], v[104:105], v[90:91], v[102:103] op_sel:[0,0,1] op_sel_hi:[1,0,0]
	v_mov_b32_e32 v107, v103
	ds_load_2addr_b64 v[102:105], v222 offset0:38 offset1:39
	v_pk_add_f32 v[158:159], v[158:159], v[106:107] neg_lo:[0,1] neg_hi:[0,1]
	s_wait_dscnt 0x0
	v_pk_mul_f32 v[106:107], v[102:103], v[100:101] op_sel:[0,1]
	s_delay_alu instid0(VALU_DEP_1) | instskip(SKIP_1) | instid1(VALU_DEP_1)
	v_pk_fma_f32 v[116:117], v[102:103], v[90:91], v[106:107] op_sel:[0,0,1] op_sel_hi:[1,1,0] neg_lo:[0,0,1] neg_hi:[0,0,1]
	v_pk_fma_f32 v[102:103], v[102:103], v[90:91], v[106:107] op_sel:[0,0,1] op_sel_hi:[1,0,0]
	v_mov_b32_e32 v117, v103
	v_pk_mul_f32 v[102:103], v[104:105], v[100:101] op_sel:[0,1]
	s_delay_alu instid0(VALU_DEP_2) | instskip(NEXT) | instid1(VALU_DEP_2)
	v_pk_add_f32 v[160:161], v[160:161], v[116:117] neg_lo:[0,1] neg_hi:[0,1]
	v_pk_fma_f32 v[106:107], v[104:105], v[90:91], v[102:103] op_sel:[0,0,1] op_sel_hi:[1,1,0] neg_lo:[0,0,1] neg_hi:[0,0,1]
	v_pk_fma_f32 v[102:103], v[104:105], v[90:91], v[102:103] op_sel:[0,0,1] op_sel_hi:[1,0,0]
	s_delay_alu instid0(VALU_DEP_1) | instskip(SKIP_4) | instid1(VALU_DEP_1)
	v_mov_b32_e32 v107, v103
	ds_load_2addr_b64 v[102:105], v222 offset0:40 offset1:41
	v_pk_add_f32 v[156:157], v[156:157], v[106:107] neg_lo:[0,1] neg_hi:[0,1]
	s_wait_dscnt 0x0
	v_pk_mul_f32 v[106:107], v[102:103], v[100:101] op_sel:[0,1]
	v_pk_fma_f32 v[116:117], v[102:103], v[90:91], v[106:107] op_sel:[0,0,1] op_sel_hi:[1,1,0] neg_lo:[0,0,1] neg_hi:[0,0,1]
	v_pk_fma_f32 v[102:103], v[102:103], v[90:91], v[106:107] op_sel:[0,0,1] op_sel_hi:[1,0,0]
	v_dual_mul_f32 v106, v105, v101 :: v_dual_mov_b32 v102, v105
	s_delay_alu instid0(VALU_DEP_2) | instskip(NEXT) | instid1(VALU_DEP_2)
	v_dual_mov_b32 v117, v103 :: v_dual_mov_b32 v103, v104
	v_pk_fma_f32 v[106:107], v[104:105], v[108:109], v[106:107] op_sel_hi:[1,1,0] neg_lo:[0,0,1] neg_hi:[0,0,1]
	v_mul_f32_e32 v104, v105, v90
	s_delay_alu instid0(VALU_DEP_3) | instskip(NEXT) | instid1(VALU_DEP_2)
	v_pk_add_f32 v[178:179], v[178:179], v[116:117] neg_lo:[0,1] neg_hi:[0,1]
	v_pk_fma_f32 v[102:103], v[102:103], v[108:109], v[104:105] op_sel_hi:[1,1,0]
	s_delay_alu instid0(VALU_DEP_1) | instskip(SKIP_4) | instid1(VALU_DEP_1)
	v_mov_b32_e32 v107, v103
	ds_load_2addr_b64 v[102:105], v222 offset0:42 offset1:43
	v_pk_add_f32 v[174:175], v[174:175], v[106:107] neg_lo:[0,1] neg_hi:[0,1]
	s_wait_dscnt 0x0
	v_pk_mul_f32 v[106:107], v[102:103], v[100:101] op_sel:[0,1]
	v_pk_fma_f32 v[116:117], v[102:103], v[90:91], v[106:107] op_sel:[0,0,1] op_sel_hi:[1,1,0] neg_lo:[0,0,1] neg_hi:[0,0,1]
	v_pk_fma_f32 v[102:103], v[102:103], v[90:91], v[106:107] op_sel:[0,0,1] op_sel_hi:[1,0,0]
	s_delay_alu instid0(VALU_DEP_1) | instskip(SKIP_1) | instid1(VALU_DEP_1)
	v_mov_b32_e32 v117, v103
	v_pk_mul_f32 v[102:103], v[104:105], v[100:101] op_sel:[0,1]
	v_pk_fma_f32 v[106:107], v[104:105], v[90:91], v[102:103] op_sel:[0,0,1] op_sel_hi:[1,1,0] neg_lo:[0,0,1] neg_hi:[0,0,1]
	v_pk_fma_f32 v[102:103], v[104:105], v[90:91], v[102:103] op_sel:[0,0,1] op_sel_hi:[1,0,0]
	s_delay_alu instid0(VALU_DEP_1)
	v_mov_b32_e32 v107, v103
	ds_load_2addr_b64 v[102:105], v222 offset0:44 offset1:45
	v_pk_add_f32 v[176:177], v[176:177], v[116:117] neg_lo:[0,1] neg_hi:[0,1]
	v_pk_add_f32 v[172:173], v[172:173], v[106:107] neg_lo:[0,1] neg_hi:[0,1]
	s_wait_dscnt 0x0
	v_pk_mul_f32 v[106:107], v[102:103], v[100:101] op_sel:[0,1]
	s_delay_alu instid0(VALU_DEP_1) | instskip(SKIP_1) | instid1(VALU_DEP_1)
	v_pk_fma_f32 v[116:117], v[102:103], v[90:91], v[106:107] op_sel:[0,0,1] op_sel_hi:[1,1,0] neg_lo:[0,0,1] neg_hi:[0,0,1]
	v_pk_fma_f32 v[102:103], v[102:103], v[90:91], v[106:107] op_sel:[0,0,1] op_sel_hi:[1,0,0]
	v_mov_b32_e32 v117, v103
	v_pk_mul_f32 v[102:103], v[104:105], v[100:101] op_sel:[0,1]
	s_delay_alu instid0(VALU_DEP_1) | instskip(SKIP_1) | instid1(VALU_DEP_1)
	v_pk_fma_f32 v[106:107], v[104:105], v[90:91], v[102:103] op_sel:[0,0,1] op_sel_hi:[1,1,0] neg_lo:[0,0,1] neg_hi:[0,0,1]
	v_pk_fma_f32 v[102:103], v[104:105], v[90:91], v[102:103] op_sel:[0,0,1] op_sel_hi:[1,0,0]
	v_mov_b32_e32 v107, v103
	ds_load_2addr_b64 v[102:105], v222 offset0:46 offset1:47
	v_pk_add_f32 v[194:195], v[194:195], v[116:117] neg_lo:[0,1] neg_hi:[0,1]
	v_pk_add_f32 v[190:191], v[190:191], v[106:107] neg_lo:[0,1] neg_hi:[0,1]
	s_wait_dscnt 0x0
	v_dual_mul_f32 v106, v103, v101 :: v_dual_mul_f32 v116, v103, v90
	s_delay_alu instid0(VALU_DEP_1) | instskip(NEXT) | instid1(VALU_DEP_2)
	v_pk_fma_f32 v[106:107], v[102:103], v[108:109], v[106:107] op_sel_hi:[1,1,0] neg_lo:[0,0,1] neg_hi:[0,0,1]
	v_pk_fma_f32 v[102:103], v[102:103], v[108:109], v[116:117] op_sel:[1,0,0] op_sel_hi:[0,1,0]
	s_delay_alu instid0(VALU_DEP_1) | instskip(SKIP_1) | instid1(VALU_DEP_2)
	v_mov_b32_e32 v107, v103
	v_pk_mul_f32 v[102:103], v[104:105], v[100:101] op_sel:[0,1]
	v_pk_add_f32 v[192:193], v[192:193], v[106:107] neg_lo:[0,1] neg_hi:[0,1]
	s_delay_alu instid0(VALU_DEP_2) | instskip(SKIP_1) | instid1(VALU_DEP_1)
	v_pk_fma_f32 v[106:107], v[104:105], v[90:91], v[102:103] op_sel:[0,0,1] op_sel_hi:[1,1,0] neg_lo:[0,0,1] neg_hi:[0,0,1]
	v_pk_fma_f32 v[102:103], v[104:105], v[90:91], v[102:103] op_sel:[0,0,1] op_sel_hi:[1,0,0]
	v_mov_b32_e32 v107, v103
	ds_load_2addr_b64 v[102:105], v222 offset0:48 offset1:49
	v_pk_add_f32 v[188:189], v[188:189], v[106:107] neg_lo:[0,1] neg_hi:[0,1]
	s_wait_dscnt 0x0
	v_pk_mul_f32 v[106:107], v[102:103], v[100:101] op_sel:[0,1]
	s_delay_alu instid0(VALU_DEP_1) | instskip(SKIP_1) | instid1(VALU_DEP_1)
	v_pk_fma_f32 v[116:117], v[102:103], v[90:91], v[106:107] op_sel:[0,0,1] op_sel_hi:[1,1,0] neg_lo:[0,0,1] neg_hi:[0,0,1]
	v_pk_fma_f32 v[102:103], v[102:103], v[90:91], v[106:107] op_sel:[0,0,1] op_sel_hi:[1,0,0]
	v_mov_b32_e32 v117, v103
	v_pk_mul_f32 v[102:103], v[104:105], v[100:101] op_sel:[0,1]
	s_delay_alu instid0(VALU_DEP_2) | instskip(NEXT) | instid1(VALU_DEP_2)
	v_pk_add_f32 v[216:217], v[216:217], v[116:117] neg_lo:[0,1] neg_hi:[0,1]
	v_pk_fma_f32 v[106:107], v[104:105], v[90:91], v[102:103] op_sel:[0,0,1] op_sel_hi:[1,1,0] neg_lo:[0,0,1] neg_hi:[0,0,1]
	v_pk_fma_f32 v[102:103], v[104:105], v[90:91], v[102:103] op_sel:[0,0,1] op_sel_hi:[1,0,0]
	s_delay_alu instid0(VALU_DEP_1) | instskip(SKIP_4) | instid1(VALU_DEP_1)
	v_mov_b32_e32 v107, v103
	ds_load_2addr_b64 v[102:105], v222 offset0:50 offset1:51
	v_pk_add_f32 v[212:213], v[212:213], v[106:107] neg_lo:[0,1] neg_hi:[0,1]
	s_wait_dscnt 0x0
	v_pk_mul_f32 v[106:107], v[102:103], v[100:101] op_sel:[0,1]
	v_pk_fma_f32 v[116:117], v[102:103], v[90:91], v[106:107] op_sel:[0,0,1] op_sel_hi:[1,1,0] neg_lo:[0,0,1] neg_hi:[0,0,1]
	v_pk_fma_f32 v[102:103], v[102:103], v[90:91], v[106:107] op_sel:[0,0,1] op_sel_hi:[1,0,0]
	v_dual_mul_f32 v106, v105, v101 :: v_dual_mov_b32 v102, v105
	s_delay_alu instid0(VALU_DEP_2) | instskip(NEXT) | instid1(VALU_DEP_2)
	v_dual_mov_b32 v117, v103 :: v_dual_mov_b32 v103, v104
	v_pk_fma_f32 v[106:107], v[104:105], v[108:109], v[106:107] op_sel_hi:[1,1,0] neg_lo:[0,0,1] neg_hi:[0,0,1]
	v_mul_f32_e32 v104, v105, v90
	s_delay_alu instid0(VALU_DEP_3) | instskip(NEXT) | instid1(VALU_DEP_2)
	v_pk_add_f32 v[214:215], v[214:215], v[116:117] neg_lo:[0,1] neg_hi:[0,1]
	v_pk_fma_f32 v[102:103], v[102:103], v[108:109], v[104:105] op_sel_hi:[1,1,0]
	s_delay_alu instid0(VALU_DEP_1) | instskip(SKIP_4) | instid1(VALU_DEP_1)
	v_mov_b32_e32 v107, v103
	ds_load_2addr_b64 v[102:105], v222 offset0:52 offset1:53
	v_pk_add_f32 v[210:211], v[210:211], v[106:107] neg_lo:[0,1] neg_hi:[0,1]
	s_wait_dscnt 0x0
	v_pk_mul_f32 v[106:107], v[102:103], v[100:101] op_sel:[0,1]
	v_pk_fma_f32 v[116:117], v[102:103], v[90:91], v[106:107] op_sel:[0,0,1] op_sel_hi:[1,1,0] neg_lo:[0,0,1] neg_hi:[0,0,1]
	v_pk_fma_f32 v[102:103], v[102:103], v[90:91], v[106:107] op_sel:[0,0,1] op_sel_hi:[1,0,0]
	s_delay_alu instid0(VALU_DEP_1) | instskip(SKIP_1) | instid1(VALU_DEP_1)
	v_mov_b32_e32 v117, v103
	v_pk_mul_f32 v[102:103], v[104:105], v[100:101] op_sel:[0,1]
	v_pk_fma_f32 v[106:107], v[104:105], v[90:91], v[102:103] op_sel:[0,0,1] op_sel_hi:[1,1,0] neg_lo:[0,0,1] neg_hi:[0,0,1]
	v_pk_fma_f32 v[102:103], v[104:105], v[90:91], v[102:103] op_sel:[0,0,1] op_sel_hi:[1,0,0]
	s_delay_alu instid0(VALU_DEP_1)
	v_mov_b32_e32 v107, v103
	ds_load_2addr_b64 v[102:105], v222 offset0:54 offset1:55
	v_pk_add_f32 v[240:241], v[240:241], v[116:117] neg_lo:[0,1] neg_hi:[0,1]
	v_pk_add_f32 v[232:233], v[232:233], v[106:107] neg_lo:[0,1] neg_hi:[0,1]
	s_wait_dscnt 0x0
	v_pk_mul_f32 v[106:107], v[102:103], v[100:101] op_sel:[0,1]
	s_delay_alu instid0(VALU_DEP_1) | instskip(SKIP_1) | instid1(VALU_DEP_1)
	v_pk_fma_f32 v[116:117], v[102:103], v[90:91], v[106:107] op_sel:[0,0,1] op_sel_hi:[1,1,0] neg_lo:[0,0,1] neg_hi:[0,0,1]
	v_pk_fma_f32 v[102:103], v[102:103], v[90:91], v[106:107] op_sel:[0,0,1] op_sel_hi:[1,0,0]
	v_mov_b32_e32 v117, v103
	v_pk_mul_f32 v[102:103], v[104:105], v[100:101] op_sel:[0,1]
	s_delay_alu instid0(VALU_DEP_1) | instskip(SKIP_1) | instid1(VALU_DEP_1)
	v_pk_fma_f32 v[106:107], v[104:105], v[90:91], v[102:103] op_sel:[0,0,1] op_sel_hi:[1,1,0] neg_lo:[0,0,1] neg_hi:[0,0,1]
	v_pk_fma_f32 v[102:103], v[104:105], v[90:91], v[102:103] op_sel:[0,0,1] op_sel_hi:[1,0,0]
	v_mov_b32_e32 v107, v103
	ds_load_2addr_b64 v[102:105], v222 offset0:56 offset1:57
	v_pk_add_f32 v[238:239], v[238:239], v[116:117] neg_lo:[0,1] neg_hi:[0,1]
	v_pk_add_f32 v[230:231], v[230:231], v[106:107] neg_lo:[0,1] neg_hi:[0,1]
	s_wait_dscnt 0x0
	v_dual_mul_f32 v106, v103, v101 :: v_dual_mul_f32 v116, v103, v90
	s_delay_alu instid0(VALU_DEP_1) | instskip(NEXT) | instid1(VALU_DEP_2)
	v_pk_fma_f32 v[106:107], v[102:103], v[108:109], v[106:107] op_sel_hi:[1,1,0] neg_lo:[0,0,1] neg_hi:[0,0,1]
	v_pk_fma_f32 v[102:103], v[102:103], v[108:109], v[116:117] op_sel:[1,0,0] op_sel_hi:[0,1,0]
	s_delay_alu instid0(VALU_DEP_1) | instskip(SKIP_1) | instid1(VALU_DEP_2)
	v_mov_b32_e32 v107, v103
	v_pk_mul_f32 v[102:103], v[104:105], v[100:101] op_sel:[0,1]
	v_pk_add_f32 v[236:237], v[236:237], v[106:107] neg_lo:[0,1] neg_hi:[0,1]
	s_delay_alu instid0(VALU_DEP_2) | instskip(SKIP_1) | instid1(VALU_DEP_1)
	v_pk_fma_f32 v[106:107], v[104:105], v[90:91], v[102:103] op_sel:[0,0,1] op_sel_hi:[1,1,0] neg_lo:[0,0,1] neg_hi:[0,0,1]
	v_pk_fma_f32 v[102:103], v[104:105], v[90:91], v[102:103] op_sel:[0,0,1] op_sel_hi:[1,0,0]
	v_mov_b32_e32 v107, v103
	ds_load_2addr_b64 v[102:105], v222 offset0:58 offset1:59
	v_pk_add_f32 v[228:229], v[228:229], v[106:107] neg_lo:[0,1] neg_hi:[0,1]
	s_wait_dscnt 0x0
	v_pk_mul_f32 v[106:107], v[102:103], v[100:101] op_sel:[0,1]
	s_delay_alu instid0(VALU_DEP_1) | instskip(SKIP_1) | instid1(VALU_DEP_1)
	v_pk_fma_f32 v[116:117], v[102:103], v[90:91], v[106:107] op_sel:[0,0,1] op_sel_hi:[1,1,0] neg_lo:[0,0,1] neg_hi:[0,0,1]
	v_pk_fma_f32 v[102:103], v[102:103], v[90:91], v[106:107] op_sel:[0,0,1] op_sel_hi:[1,0,0]
	v_mov_b32_e32 v117, v103
	v_pk_mul_f32 v[102:103], v[104:105], v[100:101] op_sel:[0,1]
	s_delay_alu instid0(VALU_DEP_2) | instskip(NEXT) | instid1(VALU_DEP_2)
	v_pk_add_f32 v[234:235], v[234:235], v[116:117] neg_lo:[0,1] neg_hi:[0,1]
	v_pk_fma_f32 v[106:107], v[104:105], v[90:91], v[102:103] op_sel:[0,0,1] op_sel_hi:[1,1,0] neg_lo:[0,0,1] neg_hi:[0,0,1]
	v_pk_fma_f32 v[102:103], v[104:105], v[90:91], v[102:103] op_sel:[0,0,1] op_sel_hi:[1,0,0]
	s_delay_alu instid0(VALU_DEP_1) | instskip(SKIP_4) | instid1(VALU_DEP_1)
	v_mov_b32_e32 v107, v103
	ds_load_b64 v[102:103], v222 offset:480
	v_pk_add_f32 v[242:243], v[242:243], v[106:107] neg_lo:[0,1] neg_hi:[0,1]
	s_wait_dscnt 0x0
	v_pk_mul_f32 v[100:101], v[102:103], v[100:101] op_sel:[0,1]
	v_pk_fma_f32 v[104:105], v[102:103], v[90:91], v[100:101] op_sel:[0,0,1] op_sel_hi:[1,1,0] neg_lo:[0,0,1] neg_hi:[0,0,1]
	v_pk_fma_f32 v[90:91], v[102:103], v[90:91], v[100:101] op_sel:[0,0,1] op_sel_hi:[1,0,0]
	s_delay_alu instid0(VALU_DEP_1) | instskip(NEXT) | instid1(VALU_DEP_1)
	v_mov_b32_e32 v105, v91
	v_pk_add_f32 v[244:245], v[244:245], v[104:105] neg_lo:[0,1] neg_hi:[0,1]
.LBB121_253:
	s_or_b32 exec_lo, exec_lo, s1
	s_delay_alu instid0(SALU_CYCLE_1)
	s_mov_b32 s2, exec_lo
	s_wait_dscnt 0x0
	s_barrier_signal -1
	s_barrier_wait -1
	v_cmpx_eq_u32_e32 28, v220
	s_cbranch_execz .LBB121_260
; %bb.254:
	ds_store_b64 v221, v[130:131]
	ds_store_2addr_b64 v222, v[126:127], v[128:129] offset0:29 offset1:30
	ds_store_2addr_b64 v222, v[124:125], v[146:147] offset0:31 offset1:32
	;; [unrolled: 1-line block ×16, first 2 shown]
	ds_load_b64 v[90:91], v221
	s_wait_dscnt 0x0
	v_cmp_neq_f32_e32 vcc_lo, 0, v90
	v_cmp_neq_f32_e64 s1, 0, v91
	s_or_b32 s1, vcc_lo, s1
	s_delay_alu instid0(SALU_CYCLE_1)
	s_and_b32 exec_lo, exec_lo, s1
	s_cbranch_execz .LBB121_260
; %bb.255:
	v_cmp_ngt_f32_e64 s1, |v90|, |v91|
                                        ; implicit-def: $vgpr100_vgpr101
	s_and_saveexec_b32 s4, s1
	s_delay_alu instid0(SALU_CYCLE_1)
	s_xor_b32 s1, exec_lo, s4
	s_cbranch_execz .LBB121_257
; %bb.256:
	v_div_scale_f32 v100, null, v91, v91, v90
	v_div_scale_f32 v103, vcc_lo, v90, v91, v90
	s_delay_alu instid0(VALU_DEP_2) | instskip(SKIP_1) | instid1(TRANS32_DEP_1)
	v_rcp_f32_e32 v101, v100
	v_nop
	v_fma_f32 v102, -v100, v101, 1.0
	s_delay_alu instid0(VALU_DEP_1) | instskip(NEXT) | instid1(VALU_DEP_1)
	v_fmac_f32_e32 v101, v102, v101
	v_mul_f32_e32 v102, v103, v101
	s_delay_alu instid0(VALU_DEP_1) | instskip(NEXT) | instid1(VALU_DEP_1)
	v_fma_f32 v104, -v100, v102, v103
	v_fmac_f32_e32 v102, v104, v101
	s_delay_alu instid0(VALU_DEP_1) | instskip(NEXT) | instid1(VALU_DEP_1)
	v_fma_f32 v100, -v100, v102, v103
	v_div_fmas_f32 v100, v100, v101, v102
	s_delay_alu instid0(VALU_DEP_1) | instskip(NEXT) | instid1(VALU_DEP_1)
	v_div_fixup_f32 v100, v100, v91, v90
	v_fmac_f32_e32 v91, v90, v100
	s_delay_alu instid0(VALU_DEP_1) | instskip(SKIP_1) | instid1(VALU_DEP_2)
	v_div_scale_f32 v90, null, v91, v91, 1.0
	v_div_scale_f32 v103, vcc_lo, 1.0, v91, 1.0
	v_rcp_f32_e32 v101, v90
	v_nop
	s_delay_alu instid0(TRANS32_DEP_1) | instskip(NEXT) | instid1(VALU_DEP_1)
	v_fma_f32 v102, -v90, v101, 1.0
	v_fmac_f32_e32 v101, v102, v101
	s_delay_alu instid0(VALU_DEP_1) | instskip(NEXT) | instid1(VALU_DEP_1)
	v_mul_f32_e32 v102, v103, v101
	v_fma_f32 v104, -v90, v102, v103
	s_delay_alu instid0(VALU_DEP_1) | instskip(NEXT) | instid1(VALU_DEP_1)
	v_fmac_f32_e32 v102, v104, v101
	v_fma_f32 v90, -v90, v102, v103
	s_delay_alu instid0(VALU_DEP_1) | instskip(NEXT) | instid1(VALU_DEP_1)
	v_div_fmas_f32 v90, v90, v101, v102
	v_div_fixup_f32 v90, v90, v91, 1.0
	s_delay_alu instid0(VALU_DEP_1)
	v_mul_f32_e32 v100, v100, v90
	v_xor_b32_e32 v101, 0x80000000, v90
                                        ; implicit-def: $vgpr90_vgpr91
.LBB121_257:
	s_and_not1_saveexec_b32 s1, s1
	s_cbranch_execz .LBB121_259
; %bb.258:
	v_div_scale_f32 v100, null, v90, v90, v91
	v_div_scale_f32 v103, vcc_lo, v91, v90, v91
	s_delay_alu instid0(VALU_DEP_2) | instskip(SKIP_1) | instid1(TRANS32_DEP_1)
	v_rcp_f32_e32 v101, v100
	v_nop
	v_fma_f32 v102, -v100, v101, 1.0
	s_delay_alu instid0(VALU_DEP_1) | instskip(NEXT) | instid1(VALU_DEP_1)
	v_fmac_f32_e32 v101, v102, v101
	v_mul_f32_e32 v102, v103, v101
	s_delay_alu instid0(VALU_DEP_1) | instskip(NEXT) | instid1(VALU_DEP_1)
	v_fma_f32 v104, -v100, v102, v103
	v_fmac_f32_e32 v102, v104, v101
	s_delay_alu instid0(VALU_DEP_1) | instskip(NEXT) | instid1(VALU_DEP_1)
	v_fma_f32 v100, -v100, v102, v103
	v_div_fmas_f32 v100, v100, v101, v102
	s_delay_alu instid0(VALU_DEP_1) | instskip(NEXT) | instid1(VALU_DEP_1)
	v_div_fixup_f32 v101, v100, v90, v91
	v_fmac_f32_e32 v90, v91, v101
	s_delay_alu instid0(VALU_DEP_1) | instskip(NEXT) | instid1(VALU_DEP_1)
	v_div_scale_f32 v91, null, v90, v90, 1.0
	v_rcp_f32_e32 v100, v91
	v_nop
	s_delay_alu instid0(TRANS32_DEP_1) | instskip(NEXT) | instid1(VALU_DEP_1)
	v_fma_f32 v102, -v91, v100, 1.0
	v_fmac_f32_e32 v100, v102, v100
	v_div_scale_f32 v102, vcc_lo, 1.0, v90, 1.0
	s_delay_alu instid0(VALU_DEP_1) | instskip(NEXT) | instid1(VALU_DEP_1)
	v_mul_f32_e32 v103, v102, v100
	v_fma_f32 v104, -v91, v103, v102
	s_delay_alu instid0(VALU_DEP_1) | instskip(NEXT) | instid1(VALU_DEP_1)
	v_fmac_f32_e32 v103, v104, v100
	v_fma_f32 v91, -v91, v103, v102
	s_delay_alu instid0(VALU_DEP_1) | instskip(NEXT) | instid1(VALU_DEP_1)
	v_div_fmas_f32 v91, v91, v100, v103
	v_div_fixup_f32 v100, v91, v90, 1.0
	s_delay_alu instid0(VALU_DEP_1)
	v_mul_f32_e64 v101, v101, -v100
.LBB121_259:
	s_or_b32 exec_lo, exec_lo, s1
	ds_store_b64 v221, v[100:101]
.LBB121_260:
	s_or_b32 exec_lo, exec_lo, s2
	s_wait_dscnt 0x0
	s_barrier_signal -1
	s_barrier_wait -1
	ds_load_b64 v[90:91], v221
	s_mov_b32 s1, exec_lo
	v_cmpx_lt_u32_e32 28, v220
	s_cbranch_execz .LBB121_262
; %bb.261:
	ds_load_2addr_b64 v[104:107], v222 offset0:29 offset1:30
	s_wait_dscnt 0x1
	v_pk_mul_f32 v[102:103], v[90:91], v[130:131] op_sel:[1,1] op_sel_hi:[0,1]
	s_delay_alu instid0(VALU_DEP_1) | instskip(SKIP_1) | instid1(VALU_DEP_1)
	v_pk_fma_f32 v[100:101], v[90:91], v[130:131], v[102:103] op_sel_hi:[1,0,1] neg_lo:[0,0,1] neg_hi:[0,0,1]
	v_pk_fma_f32 v[102:103], v[90:91], v[130:131], v[102:103] op_sel_hi:[1,0,1]
	v_dual_mov_b32 v130, v100 :: v_dual_mov_b32 v131, v103
	s_wait_dscnt 0x0
	s_delay_alu instid0(VALU_DEP_2) | instskip(NEXT) | instid1(VALU_DEP_1)
	v_pk_mul_f32 v[116:117], v[104:105], v[102:103] op_sel:[0,1]
	v_pk_fma_f32 v[118:119], v[104:105], v[100:101], v[116:117] op_sel:[0,0,1] op_sel_hi:[1,1,0] neg_lo:[0,0,1] neg_hi:[0,0,1]
	v_pk_fma_f32 v[104:105], v[104:105], v[100:101], v[116:117] op_sel:[0,0,1] op_sel_hi:[1,0,0]
	s_delay_alu instid0(VALU_DEP_1) | instskip(SKIP_1) | instid1(VALU_DEP_1)
	v_mov_b32_e32 v119, v105
	v_pk_mul_f32 v[104:105], v[106:107], v[102:103] op_sel:[0,1]
	v_pk_fma_f32 v[116:117], v[106:107], v[100:101], v[104:105] op_sel:[0,0,1] op_sel_hi:[1,1,0] neg_lo:[0,0,1] neg_hi:[0,0,1]
	v_pk_fma_f32 v[104:105], v[106:107], v[100:101], v[104:105] op_sel:[0,0,1] op_sel_hi:[1,0,0]
	s_delay_alu instid0(VALU_DEP_1)
	v_mov_b32_e32 v117, v105
	ds_load_2addr_b64 v[104:107], v222 offset0:31 offset1:32
	v_pk_add_f32 v[126:127], v[126:127], v[118:119] neg_lo:[0,1] neg_hi:[0,1]
	v_pk_add_f32 v[128:129], v[128:129], v[116:117] neg_lo:[0,1] neg_hi:[0,1]
	s_wait_dscnt 0x0
	v_pk_mul_f32 v[116:117], v[104:105], v[102:103] op_sel:[0,1]
	s_delay_alu instid0(VALU_DEP_1) | instskip(SKIP_2) | instid1(VALU_DEP_2)
	v_pk_fma_f32 v[118:119], v[104:105], v[100:101], v[116:117] op_sel:[0,0,1] op_sel_hi:[1,1,0] neg_lo:[0,0,1] neg_hi:[0,0,1]
	v_pk_fma_f32 v[104:105], v[104:105], v[100:101], v[116:117] op_sel:[0,0,1] op_sel_hi:[1,0,0]
	v_dual_mul_f32 v116, v107, v103 :: v_dual_mov_b32 v104, v107
	v_dual_mov_b32 v119, v105 :: v_dual_mov_b32 v105, v106
	s_delay_alu instid0(VALU_DEP_2) | instskip(SKIP_1) | instid1(VALU_DEP_3)
	v_pk_fma_f32 v[116:117], v[106:107], v[130:131], v[116:117] op_sel_hi:[1,1,0] neg_lo:[0,0,1] neg_hi:[0,0,1]
	v_mul_f32_e32 v106, v107, v100
	v_pk_add_f32 v[124:125], v[124:125], v[118:119] neg_lo:[0,1] neg_hi:[0,1]
	s_delay_alu instid0(VALU_DEP_2) | instskip(NEXT) | instid1(VALU_DEP_1)
	v_pk_fma_f32 v[104:105], v[104:105], v[130:131], v[106:107] op_sel_hi:[1,1,0]
	v_mov_b32_e32 v117, v105
	ds_load_2addr_b64 v[104:107], v222 offset0:33 offset1:34
	v_pk_add_f32 v[146:147], v[146:147], v[116:117] neg_lo:[0,1] neg_hi:[0,1]
	s_wait_dscnt 0x0
	v_pk_mul_f32 v[116:117], v[104:105], v[102:103] op_sel:[0,1]
	s_delay_alu instid0(VALU_DEP_1) | instskip(SKIP_1) | instid1(VALU_DEP_1)
	v_pk_fma_f32 v[118:119], v[104:105], v[100:101], v[116:117] op_sel:[0,0,1] op_sel_hi:[1,1,0] neg_lo:[0,0,1] neg_hi:[0,0,1]
	v_pk_fma_f32 v[104:105], v[104:105], v[100:101], v[116:117] op_sel:[0,0,1] op_sel_hi:[1,0,0]
	v_mov_b32_e32 v119, v105
	v_pk_mul_f32 v[104:105], v[106:107], v[102:103] op_sel:[0,1]
	s_delay_alu instid0(VALU_DEP_1) | instskip(SKIP_1) | instid1(VALU_DEP_1)
	v_pk_fma_f32 v[116:117], v[106:107], v[100:101], v[104:105] op_sel:[0,0,1] op_sel_hi:[1,1,0] neg_lo:[0,0,1] neg_hi:[0,0,1]
	v_pk_fma_f32 v[104:105], v[106:107], v[100:101], v[104:105] op_sel:[0,0,1] op_sel_hi:[1,0,0]
	v_mov_b32_e32 v117, v105
	ds_load_2addr_b64 v[104:107], v222 offset0:35 offset1:36
	v_pk_add_f32 v[142:143], v[142:143], v[118:119] neg_lo:[0,1] neg_hi:[0,1]
	v_pk_add_f32 v[144:145], v[144:145], v[116:117] neg_lo:[0,1] neg_hi:[0,1]
	s_wait_dscnt 0x0
	v_pk_mul_f32 v[116:117], v[104:105], v[102:103] op_sel:[0,1]
	s_delay_alu instid0(VALU_DEP_1) | instskip(SKIP_1) | instid1(VALU_DEP_1)
	v_pk_fma_f32 v[118:119], v[104:105], v[100:101], v[116:117] op_sel:[0,0,1] op_sel_hi:[1,1,0] neg_lo:[0,0,1] neg_hi:[0,0,1]
	v_pk_fma_f32 v[104:105], v[104:105], v[100:101], v[116:117] op_sel:[0,0,1] op_sel_hi:[1,0,0]
	v_mov_b32_e32 v119, v105
	v_pk_mul_f32 v[104:105], v[106:107], v[102:103] op_sel:[0,1]
	s_delay_alu instid0(VALU_DEP_1) | instskip(SKIP_1) | instid1(VALU_DEP_1)
	v_pk_fma_f32 v[116:117], v[106:107], v[100:101], v[104:105] op_sel:[0,0,1] op_sel_hi:[1,1,0] neg_lo:[0,0,1] neg_hi:[0,0,1]
	v_pk_fma_f32 v[104:105], v[106:107], v[100:101], v[104:105] op_sel:[0,0,1] op_sel_hi:[1,0,0]
	v_mov_b32_e32 v117, v105
	ds_load_2addr_b64 v[104:107], v222 offset0:37 offset1:38
	v_pk_add_f32 v[140:141], v[140:141], v[118:119] neg_lo:[0,1] neg_hi:[0,1]
	v_pk_add_f32 v[162:163], v[162:163], v[116:117] neg_lo:[0,1] neg_hi:[0,1]
	s_wait_dscnt 0x0
	v_dual_mul_f32 v116, v105, v103 :: v_dual_mul_f32 v118, v105, v100
	s_delay_alu instid0(VALU_DEP_1) | instskip(NEXT) | instid1(VALU_DEP_2)
	v_pk_fma_f32 v[116:117], v[104:105], v[130:131], v[116:117] op_sel_hi:[1,1,0] neg_lo:[0,0,1] neg_hi:[0,0,1]
	v_pk_fma_f32 v[104:105], v[104:105], v[130:131], v[118:119] op_sel:[1,0,0] op_sel_hi:[0,1,0]
	s_delay_alu instid0(VALU_DEP_1) | instskip(SKIP_1) | instid1(VALU_DEP_2)
	v_mov_b32_e32 v117, v105
	v_pk_mul_f32 v[104:105], v[106:107], v[102:103] op_sel:[0,1]
	v_pk_add_f32 v[158:159], v[158:159], v[116:117] neg_lo:[0,1] neg_hi:[0,1]
	s_delay_alu instid0(VALU_DEP_2) | instskip(SKIP_1) | instid1(VALU_DEP_1)
	v_pk_fma_f32 v[116:117], v[106:107], v[100:101], v[104:105] op_sel:[0,0,1] op_sel_hi:[1,1,0] neg_lo:[0,0,1] neg_hi:[0,0,1]
	v_pk_fma_f32 v[104:105], v[106:107], v[100:101], v[104:105] op_sel:[0,0,1] op_sel_hi:[1,0,0]
	v_mov_b32_e32 v117, v105
	ds_load_2addr_b64 v[104:107], v222 offset0:39 offset1:40
	v_pk_add_f32 v[160:161], v[160:161], v[116:117] neg_lo:[0,1] neg_hi:[0,1]
	s_wait_dscnt 0x0
	v_pk_mul_f32 v[116:117], v[104:105], v[102:103] op_sel:[0,1]
	s_delay_alu instid0(VALU_DEP_1) | instskip(SKIP_1) | instid1(VALU_DEP_1)
	v_pk_fma_f32 v[118:119], v[104:105], v[100:101], v[116:117] op_sel:[0,0,1] op_sel_hi:[1,1,0] neg_lo:[0,0,1] neg_hi:[0,0,1]
	v_pk_fma_f32 v[104:105], v[104:105], v[100:101], v[116:117] op_sel:[0,0,1] op_sel_hi:[1,0,0]
	v_mov_b32_e32 v119, v105
	v_pk_mul_f32 v[104:105], v[106:107], v[102:103] op_sel:[0,1]
	s_delay_alu instid0(VALU_DEP_2) | instskip(NEXT) | instid1(VALU_DEP_2)
	v_pk_add_f32 v[156:157], v[156:157], v[118:119] neg_lo:[0,1] neg_hi:[0,1]
	v_pk_fma_f32 v[116:117], v[106:107], v[100:101], v[104:105] op_sel:[0,0,1] op_sel_hi:[1,1,0] neg_lo:[0,0,1] neg_hi:[0,0,1]
	v_pk_fma_f32 v[104:105], v[106:107], v[100:101], v[104:105] op_sel:[0,0,1] op_sel_hi:[1,0,0]
	s_delay_alu instid0(VALU_DEP_1) | instskip(SKIP_4) | instid1(VALU_DEP_1)
	v_mov_b32_e32 v117, v105
	ds_load_2addr_b64 v[104:107], v222 offset0:41 offset1:42
	v_pk_add_f32 v[178:179], v[178:179], v[116:117] neg_lo:[0,1] neg_hi:[0,1]
	s_wait_dscnt 0x0
	v_pk_mul_f32 v[116:117], v[104:105], v[102:103] op_sel:[0,1]
	v_pk_fma_f32 v[118:119], v[104:105], v[100:101], v[116:117] op_sel:[0,0,1] op_sel_hi:[1,1,0] neg_lo:[0,0,1] neg_hi:[0,0,1]
	v_pk_fma_f32 v[104:105], v[104:105], v[100:101], v[116:117] op_sel:[0,0,1] op_sel_hi:[1,0,0]
	v_dual_mul_f32 v116, v107, v103 :: v_dual_mov_b32 v104, v107
	s_delay_alu instid0(VALU_DEP_2) | instskip(NEXT) | instid1(VALU_DEP_2)
	v_dual_mov_b32 v119, v105 :: v_dual_mov_b32 v105, v106
	v_pk_fma_f32 v[116:117], v[106:107], v[130:131], v[116:117] op_sel_hi:[1,1,0] neg_lo:[0,0,1] neg_hi:[0,0,1]
	v_mul_f32_e32 v106, v107, v100
	s_delay_alu instid0(VALU_DEP_3) | instskip(NEXT) | instid1(VALU_DEP_2)
	v_pk_add_f32 v[174:175], v[174:175], v[118:119] neg_lo:[0,1] neg_hi:[0,1]
	v_pk_fma_f32 v[104:105], v[104:105], v[130:131], v[106:107] op_sel_hi:[1,1,0]
	s_delay_alu instid0(VALU_DEP_1) | instskip(SKIP_4) | instid1(VALU_DEP_1)
	v_mov_b32_e32 v117, v105
	ds_load_2addr_b64 v[104:107], v222 offset0:43 offset1:44
	v_pk_add_f32 v[176:177], v[176:177], v[116:117] neg_lo:[0,1] neg_hi:[0,1]
	s_wait_dscnt 0x0
	v_pk_mul_f32 v[116:117], v[104:105], v[102:103] op_sel:[0,1]
	v_pk_fma_f32 v[118:119], v[104:105], v[100:101], v[116:117] op_sel:[0,0,1] op_sel_hi:[1,1,0] neg_lo:[0,0,1] neg_hi:[0,0,1]
	v_pk_fma_f32 v[104:105], v[104:105], v[100:101], v[116:117] op_sel:[0,0,1] op_sel_hi:[1,0,0]
	s_delay_alu instid0(VALU_DEP_1) | instskip(SKIP_1) | instid1(VALU_DEP_1)
	v_mov_b32_e32 v119, v105
	v_pk_mul_f32 v[104:105], v[106:107], v[102:103] op_sel:[0,1]
	v_pk_fma_f32 v[116:117], v[106:107], v[100:101], v[104:105] op_sel:[0,0,1] op_sel_hi:[1,1,0] neg_lo:[0,0,1] neg_hi:[0,0,1]
	v_pk_fma_f32 v[104:105], v[106:107], v[100:101], v[104:105] op_sel:[0,0,1] op_sel_hi:[1,0,0]
	s_delay_alu instid0(VALU_DEP_1)
	v_mov_b32_e32 v117, v105
	ds_load_2addr_b64 v[104:107], v222 offset0:45 offset1:46
	v_pk_add_f32 v[172:173], v[172:173], v[118:119] neg_lo:[0,1] neg_hi:[0,1]
	v_pk_add_f32 v[194:195], v[194:195], v[116:117] neg_lo:[0,1] neg_hi:[0,1]
	s_wait_dscnt 0x0
	v_pk_mul_f32 v[116:117], v[104:105], v[102:103] op_sel:[0,1]
	s_delay_alu instid0(VALU_DEP_1) | instskip(SKIP_1) | instid1(VALU_DEP_1)
	v_pk_fma_f32 v[118:119], v[104:105], v[100:101], v[116:117] op_sel:[0,0,1] op_sel_hi:[1,1,0] neg_lo:[0,0,1] neg_hi:[0,0,1]
	v_pk_fma_f32 v[104:105], v[104:105], v[100:101], v[116:117] op_sel:[0,0,1] op_sel_hi:[1,0,0]
	v_mov_b32_e32 v119, v105
	v_pk_mul_f32 v[104:105], v[106:107], v[102:103] op_sel:[0,1]
	s_delay_alu instid0(VALU_DEP_1) | instskip(SKIP_1) | instid1(VALU_DEP_1)
	v_pk_fma_f32 v[116:117], v[106:107], v[100:101], v[104:105] op_sel:[0,0,1] op_sel_hi:[1,1,0] neg_lo:[0,0,1] neg_hi:[0,0,1]
	v_pk_fma_f32 v[104:105], v[106:107], v[100:101], v[104:105] op_sel:[0,0,1] op_sel_hi:[1,0,0]
	v_mov_b32_e32 v117, v105
	ds_load_2addr_b64 v[104:107], v222 offset0:47 offset1:48
	v_pk_add_f32 v[190:191], v[190:191], v[118:119] neg_lo:[0,1] neg_hi:[0,1]
	v_pk_add_f32 v[192:193], v[192:193], v[116:117] neg_lo:[0,1] neg_hi:[0,1]
	s_wait_dscnt 0x0
	v_dual_mul_f32 v116, v105, v103 :: v_dual_mul_f32 v118, v105, v100
	s_delay_alu instid0(VALU_DEP_1) | instskip(NEXT) | instid1(VALU_DEP_2)
	v_pk_fma_f32 v[116:117], v[104:105], v[130:131], v[116:117] op_sel_hi:[1,1,0] neg_lo:[0,0,1] neg_hi:[0,0,1]
	v_pk_fma_f32 v[104:105], v[104:105], v[130:131], v[118:119] op_sel:[1,0,0] op_sel_hi:[0,1,0]
	s_delay_alu instid0(VALU_DEP_1) | instskip(SKIP_1) | instid1(VALU_DEP_2)
	v_mov_b32_e32 v117, v105
	v_pk_mul_f32 v[104:105], v[106:107], v[102:103] op_sel:[0,1]
	v_pk_add_f32 v[188:189], v[188:189], v[116:117] neg_lo:[0,1] neg_hi:[0,1]
	s_delay_alu instid0(VALU_DEP_2) | instskip(SKIP_1) | instid1(VALU_DEP_1)
	v_pk_fma_f32 v[116:117], v[106:107], v[100:101], v[104:105] op_sel:[0,0,1] op_sel_hi:[1,1,0] neg_lo:[0,0,1] neg_hi:[0,0,1]
	v_pk_fma_f32 v[104:105], v[106:107], v[100:101], v[104:105] op_sel:[0,0,1] op_sel_hi:[1,0,0]
	v_mov_b32_e32 v117, v105
	ds_load_2addr_b64 v[104:107], v222 offset0:49 offset1:50
	v_pk_add_f32 v[216:217], v[216:217], v[116:117] neg_lo:[0,1] neg_hi:[0,1]
	s_wait_dscnt 0x0
	v_pk_mul_f32 v[116:117], v[104:105], v[102:103] op_sel:[0,1]
	s_delay_alu instid0(VALU_DEP_1) | instskip(SKIP_1) | instid1(VALU_DEP_1)
	v_pk_fma_f32 v[118:119], v[104:105], v[100:101], v[116:117] op_sel:[0,0,1] op_sel_hi:[1,1,0] neg_lo:[0,0,1] neg_hi:[0,0,1]
	v_pk_fma_f32 v[104:105], v[104:105], v[100:101], v[116:117] op_sel:[0,0,1] op_sel_hi:[1,0,0]
	v_mov_b32_e32 v119, v105
	v_pk_mul_f32 v[104:105], v[106:107], v[102:103] op_sel:[0,1]
	s_delay_alu instid0(VALU_DEP_2) | instskip(NEXT) | instid1(VALU_DEP_2)
	v_pk_add_f32 v[212:213], v[212:213], v[118:119] neg_lo:[0,1] neg_hi:[0,1]
	v_pk_fma_f32 v[116:117], v[106:107], v[100:101], v[104:105] op_sel:[0,0,1] op_sel_hi:[1,1,0] neg_lo:[0,0,1] neg_hi:[0,0,1]
	v_pk_fma_f32 v[104:105], v[106:107], v[100:101], v[104:105] op_sel:[0,0,1] op_sel_hi:[1,0,0]
	s_delay_alu instid0(VALU_DEP_1) | instskip(SKIP_4) | instid1(VALU_DEP_1)
	v_mov_b32_e32 v117, v105
	ds_load_2addr_b64 v[104:107], v222 offset0:51 offset1:52
	v_pk_add_f32 v[214:215], v[214:215], v[116:117] neg_lo:[0,1] neg_hi:[0,1]
	s_wait_dscnt 0x0
	v_pk_mul_f32 v[116:117], v[104:105], v[102:103] op_sel:[0,1]
	v_pk_fma_f32 v[118:119], v[104:105], v[100:101], v[116:117] op_sel:[0,0,1] op_sel_hi:[1,1,0] neg_lo:[0,0,1] neg_hi:[0,0,1]
	v_pk_fma_f32 v[104:105], v[104:105], v[100:101], v[116:117] op_sel:[0,0,1] op_sel_hi:[1,0,0]
	v_dual_mul_f32 v116, v107, v103 :: v_dual_mov_b32 v104, v107
	s_delay_alu instid0(VALU_DEP_2) | instskip(NEXT) | instid1(VALU_DEP_2)
	v_dual_mov_b32 v119, v105 :: v_dual_mov_b32 v105, v106
	v_pk_fma_f32 v[116:117], v[106:107], v[130:131], v[116:117] op_sel_hi:[1,1,0] neg_lo:[0,0,1] neg_hi:[0,0,1]
	v_mul_f32_e32 v106, v107, v100
	s_delay_alu instid0(VALU_DEP_3) | instskip(NEXT) | instid1(VALU_DEP_2)
	v_pk_add_f32 v[210:211], v[210:211], v[118:119] neg_lo:[0,1] neg_hi:[0,1]
	v_pk_fma_f32 v[104:105], v[104:105], v[130:131], v[106:107] op_sel_hi:[1,1,0]
	s_delay_alu instid0(VALU_DEP_1) | instskip(SKIP_4) | instid1(VALU_DEP_1)
	v_mov_b32_e32 v117, v105
	ds_load_2addr_b64 v[104:107], v222 offset0:53 offset1:54
	v_pk_add_f32 v[240:241], v[240:241], v[116:117] neg_lo:[0,1] neg_hi:[0,1]
	s_wait_dscnt 0x0
	v_pk_mul_f32 v[116:117], v[104:105], v[102:103] op_sel:[0,1]
	v_pk_fma_f32 v[118:119], v[104:105], v[100:101], v[116:117] op_sel:[0,0,1] op_sel_hi:[1,1,0] neg_lo:[0,0,1] neg_hi:[0,0,1]
	v_pk_fma_f32 v[104:105], v[104:105], v[100:101], v[116:117] op_sel:[0,0,1] op_sel_hi:[1,0,0]
	s_delay_alu instid0(VALU_DEP_1) | instskip(SKIP_1) | instid1(VALU_DEP_1)
	v_mov_b32_e32 v119, v105
	v_pk_mul_f32 v[104:105], v[106:107], v[102:103] op_sel:[0,1]
	v_pk_fma_f32 v[116:117], v[106:107], v[100:101], v[104:105] op_sel:[0,0,1] op_sel_hi:[1,1,0] neg_lo:[0,0,1] neg_hi:[0,0,1]
	v_pk_fma_f32 v[104:105], v[106:107], v[100:101], v[104:105] op_sel:[0,0,1] op_sel_hi:[1,0,0]
	s_delay_alu instid0(VALU_DEP_1)
	v_mov_b32_e32 v117, v105
	ds_load_2addr_b64 v[104:107], v222 offset0:55 offset1:56
	v_pk_add_f32 v[232:233], v[232:233], v[118:119] neg_lo:[0,1] neg_hi:[0,1]
	v_pk_add_f32 v[238:239], v[238:239], v[116:117] neg_lo:[0,1] neg_hi:[0,1]
	s_wait_dscnt 0x0
	v_pk_mul_f32 v[116:117], v[104:105], v[102:103] op_sel:[0,1]
	s_delay_alu instid0(VALU_DEP_1) | instskip(SKIP_1) | instid1(VALU_DEP_1)
	v_pk_fma_f32 v[118:119], v[104:105], v[100:101], v[116:117] op_sel:[0,0,1] op_sel_hi:[1,1,0] neg_lo:[0,0,1] neg_hi:[0,0,1]
	v_pk_fma_f32 v[104:105], v[104:105], v[100:101], v[116:117] op_sel:[0,0,1] op_sel_hi:[1,0,0]
	v_mov_b32_e32 v119, v105
	v_pk_mul_f32 v[104:105], v[106:107], v[102:103] op_sel:[0,1]
	s_delay_alu instid0(VALU_DEP_1) | instskip(SKIP_1) | instid1(VALU_DEP_1)
	v_pk_fma_f32 v[116:117], v[106:107], v[100:101], v[104:105] op_sel:[0,0,1] op_sel_hi:[1,1,0] neg_lo:[0,0,1] neg_hi:[0,0,1]
	v_pk_fma_f32 v[104:105], v[106:107], v[100:101], v[104:105] op_sel:[0,0,1] op_sel_hi:[1,0,0]
	v_mov_b32_e32 v117, v105
	ds_load_2addr_b64 v[104:107], v222 offset0:57 offset1:58
	v_pk_add_f32 v[230:231], v[230:231], v[118:119] neg_lo:[0,1] neg_hi:[0,1]
	v_pk_add_f32 v[236:237], v[236:237], v[116:117] neg_lo:[0,1] neg_hi:[0,1]
	s_wait_dscnt 0x0
	v_dual_mul_f32 v116, v105, v103 :: v_dual_mul_f32 v118, v105, v100
	s_delay_alu instid0(VALU_DEP_1) | instskip(NEXT) | instid1(VALU_DEP_2)
	v_pk_fma_f32 v[116:117], v[104:105], v[130:131], v[116:117] op_sel_hi:[1,1,0] neg_lo:[0,0,1] neg_hi:[0,0,1]
	v_pk_fma_f32 v[104:105], v[104:105], v[130:131], v[118:119] op_sel:[1,0,0] op_sel_hi:[0,1,0]
	s_delay_alu instid0(VALU_DEP_1) | instskip(SKIP_1) | instid1(VALU_DEP_2)
	v_mov_b32_e32 v117, v105
	v_pk_mul_f32 v[104:105], v[106:107], v[102:103] op_sel:[0,1]
	v_pk_add_f32 v[228:229], v[228:229], v[116:117] neg_lo:[0,1] neg_hi:[0,1]
	s_delay_alu instid0(VALU_DEP_2) | instskip(SKIP_1) | instid1(VALU_DEP_1)
	v_pk_fma_f32 v[116:117], v[106:107], v[100:101], v[104:105] op_sel:[0,0,1] op_sel_hi:[1,1,0] neg_lo:[0,0,1] neg_hi:[0,0,1]
	v_pk_fma_f32 v[104:105], v[106:107], v[100:101], v[104:105] op_sel:[0,0,1] op_sel_hi:[1,0,0]
	v_mov_b32_e32 v117, v105
	ds_load_2addr_b64 v[104:107], v222 offset0:59 offset1:60
	v_pk_add_f32 v[234:235], v[234:235], v[116:117] neg_lo:[0,1] neg_hi:[0,1]
	s_wait_dscnt 0x0
	v_pk_mul_f32 v[116:117], v[104:105], v[102:103] op_sel:[0,1]
	v_pk_mul_f32 v[102:103], v[106:107], v[102:103] op_sel:[0,1]
	s_delay_alu instid0(VALU_DEP_2) | instskip(SKIP_1) | instid1(VALU_DEP_1)
	v_pk_fma_f32 v[118:119], v[104:105], v[100:101], v[116:117] op_sel:[0,0,1] op_sel_hi:[1,1,0] neg_lo:[0,0,1] neg_hi:[0,0,1]
	v_pk_fma_f32 v[104:105], v[104:105], v[100:101], v[116:117] op_sel:[0,0,1] op_sel_hi:[1,0,0]
	v_mov_b32_e32 v119, v105
	s_delay_alu instid0(VALU_DEP_4) | instskip(SKIP_1) | instid1(VALU_DEP_3)
	v_pk_fma_f32 v[104:105], v[106:107], v[100:101], v[102:103] op_sel:[0,0,1] op_sel_hi:[1,1,0] neg_lo:[0,0,1] neg_hi:[0,0,1]
	v_pk_fma_f32 v[100:101], v[106:107], v[100:101], v[102:103] op_sel:[0,0,1] op_sel_hi:[1,0,0]
	v_pk_add_f32 v[242:243], v[242:243], v[118:119] neg_lo:[0,1] neg_hi:[0,1]
	s_delay_alu instid0(VALU_DEP_2) | instskip(NEXT) | instid1(VALU_DEP_1)
	v_mov_b32_e32 v105, v101
	v_pk_add_f32 v[244:245], v[244:245], v[104:105] neg_lo:[0,1] neg_hi:[0,1]
.LBB121_262:
	s_or_b32 exec_lo, exec_lo, s1
	s_delay_alu instid0(SALU_CYCLE_1)
	s_mov_b32 s2, exec_lo
	s_wait_dscnt 0x0
	s_barrier_signal -1
	s_barrier_wait -1
	v_cmpx_eq_u32_e32 29, v220
	s_cbranch_execz .LBB121_269
; %bb.263:
	v_dual_mov_b32 v100, v128 :: v_dual_mov_b32 v101, v129
	v_dual_mov_b32 v102, v124 :: v_dual_mov_b32 v103, v125
	ds_store_b64 v221, v[126:127]
	ds_store_2addr_b64 v222, v[100:101], v[102:103] offset0:30 offset1:31
	v_dual_mov_b32 v100, v146 :: v_dual_mov_b32 v101, v147
	v_dual_mov_b32 v102, v142 :: v_dual_mov_b32 v103, v143
	ds_store_2addr_b64 v222, v[100:101], v[102:103] offset0:32 offset1:33
	v_dual_mov_b32 v100, v144 :: v_dual_mov_b32 v101, v145
	v_dual_mov_b32 v102, v140 :: v_dual_mov_b32 v103, v141
	;; [unrolled: 3-line block ×14, first 2 shown]
	ds_store_2addr_b64 v222, v[100:101], v[102:103] offset0:58 offset1:59
	ds_store_b64 v222, v[244:245] offset:480
	ds_load_b64 v[100:101], v221
	s_wait_dscnt 0x0
	v_cmp_neq_f32_e32 vcc_lo, 0, v100
	v_cmp_neq_f32_e64 s1, 0, v101
	s_or_b32 s1, vcc_lo, s1
	s_delay_alu instid0(SALU_CYCLE_1)
	s_and_b32 exec_lo, exec_lo, s1
	s_cbranch_execz .LBB121_269
; %bb.264:
	v_cmp_ngt_f32_e64 s1, |v100|, |v101|
                                        ; implicit-def: $vgpr102_vgpr103
	s_and_saveexec_b32 s4, s1
	s_delay_alu instid0(SALU_CYCLE_1)
	s_xor_b32 s1, exec_lo, s4
	s_cbranch_execz .LBB121_266
; %bb.265:
	v_div_scale_f32 v102, null, v101, v101, v100
	v_div_scale_f32 v105, vcc_lo, v100, v101, v100
	s_delay_alu instid0(VALU_DEP_2) | instskip(SKIP_1) | instid1(TRANS32_DEP_1)
	v_rcp_f32_e32 v103, v102
	v_nop
	v_fma_f32 v104, -v102, v103, 1.0
	s_delay_alu instid0(VALU_DEP_1) | instskip(NEXT) | instid1(VALU_DEP_1)
	v_fmac_f32_e32 v103, v104, v103
	v_mul_f32_e32 v104, v105, v103
	s_delay_alu instid0(VALU_DEP_1) | instskip(NEXT) | instid1(VALU_DEP_1)
	v_fma_f32 v106, -v102, v104, v105
	v_fmac_f32_e32 v104, v106, v103
	s_delay_alu instid0(VALU_DEP_1) | instskip(NEXT) | instid1(VALU_DEP_1)
	v_fma_f32 v102, -v102, v104, v105
	v_div_fmas_f32 v102, v102, v103, v104
	s_delay_alu instid0(VALU_DEP_1) | instskip(NEXT) | instid1(VALU_DEP_1)
	v_div_fixup_f32 v102, v102, v101, v100
	v_fmac_f32_e32 v101, v100, v102
	s_delay_alu instid0(VALU_DEP_1) | instskip(SKIP_1) | instid1(VALU_DEP_2)
	v_div_scale_f32 v100, null, v101, v101, 1.0
	v_div_scale_f32 v105, vcc_lo, 1.0, v101, 1.0
	v_rcp_f32_e32 v103, v100
	v_nop
	s_delay_alu instid0(TRANS32_DEP_1) | instskip(NEXT) | instid1(VALU_DEP_1)
	v_fma_f32 v104, -v100, v103, 1.0
	v_fmac_f32_e32 v103, v104, v103
	s_delay_alu instid0(VALU_DEP_1) | instskip(NEXT) | instid1(VALU_DEP_1)
	v_mul_f32_e32 v104, v105, v103
	v_fma_f32 v106, -v100, v104, v105
	s_delay_alu instid0(VALU_DEP_1) | instskip(NEXT) | instid1(VALU_DEP_1)
	v_fmac_f32_e32 v104, v106, v103
	v_fma_f32 v100, -v100, v104, v105
	s_delay_alu instid0(VALU_DEP_1) | instskip(NEXT) | instid1(VALU_DEP_1)
	v_div_fmas_f32 v100, v100, v103, v104
	v_div_fixup_f32 v100, v100, v101, 1.0
	s_delay_alu instid0(VALU_DEP_1)
	v_mul_f32_e32 v102, v102, v100
	v_xor_b32_e32 v103, 0x80000000, v100
                                        ; implicit-def: $vgpr100_vgpr101
.LBB121_266:
	s_and_not1_saveexec_b32 s1, s1
	s_cbranch_execz .LBB121_268
; %bb.267:
	v_div_scale_f32 v102, null, v100, v100, v101
	v_div_scale_f32 v105, vcc_lo, v101, v100, v101
	s_delay_alu instid0(VALU_DEP_2) | instskip(SKIP_1) | instid1(TRANS32_DEP_1)
	v_rcp_f32_e32 v103, v102
	v_nop
	v_fma_f32 v104, -v102, v103, 1.0
	s_delay_alu instid0(VALU_DEP_1) | instskip(NEXT) | instid1(VALU_DEP_1)
	v_fmac_f32_e32 v103, v104, v103
	v_mul_f32_e32 v104, v105, v103
	s_delay_alu instid0(VALU_DEP_1) | instskip(NEXT) | instid1(VALU_DEP_1)
	v_fma_f32 v106, -v102, v104, v105
	v_fmac_f32_e32 v104, v106, v103
	s_delay_alu instid0(VALU_DEP_1) | instskip(NEXT) | instid1(VALU_DEP_1)
	v_fma_f32 v102, -v102, v104, v105
	v_div_fmas_f32 v102, v102, v103, v104
	s_delay_alu instid0(VALU_DEP_1) | instskip(NEXT) | instid1(VALU_DEP_1)
	v_div_fixup_f32 v103, v102, v100, v101
	v_fmac_f32_e32 v100, v101, v103
	s_delay_alu instid0(VALU_DEP_1) | instskip(NEXT) | instid1(VALU_DEP_1)
	v_div_scale_f32 v101, null, v100, v100, 1.0
	v_rcp_f32_e32 v102, v101
	v_nop
	s_delay_alu instid0(TRANS32_DEP_1) | instskip(NEXT) | instid1(VALU_DEP_1)
	v_fma_f32 v104, -v101, v102, 1.0
	v_fmac_f32_e32 v102, v104, v102
	v_div_scale_f32 v104, vcc_lo, 1.0, v100, 1.0
	s_delay_alu instid0(VALU_DEP_1) | instskip(NEXT) | instid1(VALU_DEP_1)
	v_mul_f32_e32 v105, v104, v102
	v_fma_f32 v106, -v101, v105, v104
	s_delay_alu instid0(VALU_DEP_1) | instskip(NEXT) | instid1(VALU_DEP_1)
	v_fmac_f32_e32 v105, v106, v102
	v_fma_f32 v101, -v101, v105, v104
	s_delay_alu instid0(VALU_DEP_1) | instskip(NEXT) | instid1(VALU_DEP_1)
	v_div_fmas_f32 v101, v101, v102, v105
	v_div_fixup_f32 v102, v101, v100, 1.0
	s_delay_alu instid0(VALU_DEP_1)
	v_mul_f32_e64 v103, v103, -v102
.LBB121_268:
	s_or_b32 exec_lo, exec_lo, s1
	ds_store_b64 v221, v[102:103]
.LBB121_269:
	s_or_b32 exec_lo, exec_lo, s2
	s_wait_dscnt 0x0
	s_barrier_signal -1
	s_barrier_wait -1
	ds_load_b64 v[100:101], v221
	s_mov_b32 s1, exec_lo
	v_cmpx_lt_u32_e32 29, v220
	s_cbranch_execz .LBB121_271
; %bb.270:
	ds_load_2addr_b64 v[116:119], v222 offset0:30 offset1:31
	s_wait_dscnt 0x1
	v_pk_mul_f32 v[104:105], v[100:101], v[126:127] op_sel:[1,1] op_sel_hi:[0,1]
	s_delay_alu instid0(VALU_DEP_1) | instskip(SKIP_1) | instid1(VALU_DEP_1)
	v_pk_fma_f32 v[102:103], v[100:101], v[126:127], v[104:105] op_sel_hi:[1,0,1] neg_lo:[0,0,1] neg_hi:[0,0,1]
	v_pk_fma_f32 v[104:105], v[100:101], v[126:127], v[104:105] op_sel_hi:[1,0,1]
	v_dual_mov_b32 v126, v102 :: v_dual_mov_b32 v127, v105
	s_wait_dscnt 0x0
	s_delay_alu instid0(VALU_DEP_2) | instskip(NEXT) | instid1(VALU_DEP_1)
	v_pk_mul_f32 v[106:107], v[116:117], v[104:105] op_sel:[0,1]
	v_pk_fma_f32 v[120:121], v[116:117], v[102:103], v[106:107] op_sel:[0,0,1] op_sel_hi:[1,1,0] neg_lo:[0,0,1] neg_hi:[0,0,1]
	v_pk_fma_f32 v[106:107], v[116:117], v[102:103], v[106:107] op_sel:[0,0,1] op_sel_hi:[1,0,0]
	s_delay_alu instid0(VALU_DEP_1) | instskip(SKIP_1) | instid1(VALU_DEP_1)
	v_mov_b32_e32 v121, v107
	v_pk_mul_f32 v[106:107], v[118:119], v[104:105] op_sel:[0,1]
	v_pk_fma_f32 v[116:117], v[118:119], v[102:103], v[106:107] op_sel:[0,0,1] op_sel_hi:[1,1,0] neg_lo:[0,0,1] neg_hi:[0,0,1]
	v_pk_fma_f32 v[106:107], v[118:119], v[102:103], v[106:107] op_sel:[0,0,1] op_sel_hi:[1,0,0]
	s_delay_alu instid0(VALU_DEP_1) | instskip(SKIP_1) | instid1(VALU_DEP_2)
	v_mov_b32_e32 v117, v107
	v_pk_add_f32 v[128:129], v[128:129], v[120:121] neg_lo:[0,1] neg_hi:[0,1]
	v_pk_add_f32 v[124:125], v[124:125], v[116:117] neg_lo:[0,1] neg_hi:[0,1]
	ds_load_2addr_b64 v[116:119], v222 offset0:32 offset1:33
	s_wait_dscnt 0x0
	v_pk_mul_f32 v[106:107], v[116:117], v[104:105] op_sel:[0,1]
	s_delay_alu instid0(VALU_DEP_1) | instskip(SKIP_2) | instid1(VALU_DEP_2)
	v_pk_fma_f32 v[120:121], v[116:117], v[102:103], v[106:107] op_sel:[0,0,1] op_sel_hi:[1,1,0] neg_lo:[0,0,1] neg_hi:[0,0,1]
	v_pk_fma_f32 v[106:107], v[116:117], v[102:103], v[106:107] op_sel:[0,0,1] op_sel_hi:[1,0,0]
	v_dual_mul_f32 v116, v119, v105 :: v_dual_mov_b32 v106, v119
	v_dual_mov_b32 v121, v107 :: v_dual_mov_b32 v107, v118
	s_delay_alu instid0(VALU_DEP_2) | instskip(SKIP_1) | instid1(VALU_DEP_3)
	v_pk_fma_f32 v[116:117], v[118:119], v[126:127], v[116:117] op_sel_hi:[1,1,0] neg_lo:[0,0,1] neg_hi:[0,0,1]
	v_mul_f32_e32 v118, v119, v102
	v_pk_add_f32 v[146:147], v[146:147], v[120:121] neg_lo:[0,1] neg_hi:[0,1]
	s_delay_alu instid0(VALU_DEP_2) | instskip(NEXT) | instid1(VALU_DEP_1)
	v_pk_fma_f32 v[106:107], v[106:107], v[126:127], v[118:119] op_sel_hi:[1,1,0]
	v_mov_b32_e32 v117, v107
	s_delay_alu instid0(VALU_DEP_1) | instskip(SKIP_3) | instid1(VALU_DEP_1)
	v_pk_add_f32 v[142:143], v[142:143], v[116:117] neg_lo:[0,1] neg_hi:[0,1]
	ds_load_2addr_b64 v[116:119], v222 offset0:34 offset1:35
	s_wait_dscnt 0x0
	v_pk_mul_f32 v[106:107], v[116:117], v[104:105] op_sel:[0,1]
	v_pk_fma_f32 v[120:121], v[116:117], v[102:103], v[106:107] op_sel:[0,0,1] op_sel_hi:[1,1,0] neg_lo:[0,0,1] neg_hi:[0,0,1]
	v_pk_fma_f32 v[106:107], v[116:117], v[102:103], v[106:107] op_sel:[0,0,1] op_sel_hi:[1,0,0]
	s_delay_alu instid0(VALU_DEP_1) | instskip(SKIP_1) | instid1(VALU_DEP_2)
	v_mov_b32_e32 v121, v107
	v_pk_mul_f32 v[106:107], v[118:119], v[104:105] op_sel:[0,1]
	v_pk_add_f32 v[144:145], v[144:145], v[120:121] neg_lo:[0,1] neg_hi:[0,1]
	s_delay_alu instid0(VALU_DEP_2) | instskip(SKIP_1) | instid1(VALU_DEP_1)
	v_pk_fma_f32 v[116:117], v[118:119], v[102:103], v[106:107] op_sel:[0,0,1] op_sel_hi:[1,1,0] neg_lo:[0,0,1] neg_hi:[0,0,1]
	v_pk_fma_f32 v[106:107], v[118:119], v[102:103], v[106:107] op_sel:[0,0,1] op_sel_hi:[1,0,0]
	v_mov_b32_e32 v117, v107
	s_delay_alu instid0(VALU_DEP_1) | instskip(SKIP_3) | instid1(VALU_DEP_1)
	v_pk_add_f32 v[140:141], v[140:141], v[116:117] neg_lo:[0,1] neg_hi:[0,1]
	ds_load_2addr_b64 v[116:119], v222 offset0:36 offset1:37
	s_wait_dscnt 0x0
	v_pk_mul_f32 v[106:107], v[116:117], v[104:105] op_sel:[0,1]
	v_pk_fma_f32 v[120:121], v[116:117], v[102:103], v[106:107] op_sel:[0,0,1] op_sel_hi:[1,1,0] neg_lo:[0,0,1] neg_hi:[0,0,1]
	v_pk_fma_f32 v[106:107], v[116:117], v[102:103], v[106:107] op_sel:[0,0,1] op_sel_hi:[1,0,0]
	s_delay_alu instid0(VALU_DEP_1) | instskip(SKIP_1) | instid1(VALU_DEP_2)
	v_mov_b32_e32 v121, v107
	v_pk_mul_f32 v[106:107], v[118:119], v[104:105] op_sel:[0,1]
	v_pk_add_f32 v[162:163], v[162:163], v[120:121] neg_lo:[0,1] neg_hi:[0,1]
	s_delay_alu instid0(VALU_DEP_2) | instskip(SKIP_1) | instid1(VALU_DEP_1)
	v_pk_fma_f32 v[116:117], v[118:119], v[102:103], v[106:107] op_sel:[0,0,1] op_sel_hi:[1,1,0] neg_lo:[0,0,1] neg_hi:[0,0,1]
	v_pk_fma_f32 v[106:107], v[118:119], v[102:103], v[106:107] op_sel:[0,0,1] op_sel_hi:[1,0,0]
	v_mov_b32_e32 v117, v107
	s_delay_alu instid0(VALU_DEP_1) | instskip(SKIP_3) | instid1(VALU_DEP_1)
	v_pk_add_f32 v[158:159], v[158:159], v[116:117] neg_lo:[0,1] neg_hi:[0,1]
	ds_load_2addr_b64 v[116:119], v222 offset0:38 offset1:39
	s_wait_dscnt 0x0
	v_dual_mul_f32 v106, v117, v105 :: v_dual_mul_f32 v120, v117, v102
	v_pk_fma_f32 v[106:107], v[116:117], v[126:127], v[106:107] op_sel_hi:[1,1,0] neg_lo:[0,0,1] neg_hi:[0,0,1]
	s_delay_alu instid0(VALU_DEP_2) | instskip(NEXT) | instid1(VALU_DEP_1)
	v_pk_fma_f32 v[116:117], v[116:117], v[126:127], v[120:121] op_sel:[1,0,0] op_sel_hi:[0,1,0]
	v_mov_b32_e32 v107, v117
	s_delay_alu instid0(VALU_DEP_1) | instskip(SKIP_1) | instid1(VALU_DEP_1)
	v_pk_add_f32 v[160:161], v[160:161], v[106:107] neg_lo:[0,1] neg_hi:[0,1]
	v_pk_mul_f32 v[106:107], v[118:119], v[104:105] op_sel:[0,1]
	v_pk_fma_f32 v[116:117], v[118:119], v[102:103], v[106:107] op_sel:[0,0,1] op_sel_hi:[1,1,0] neg_lo:[0,0,1] neg_hi:[0,0,1]
	v_pk_fma_f32 v[106:107], v[118:119], v[102:103], v[106:107] op_sel:[0,0,1] op_sel_hi:[1,0,0]
	s_delay_alu instid0(VALU_DEP_1) | instskip(NEXT) | instid1(VALU_DEP_1)
	v_mov_b32_e32 v117, v107
	v_pk_add_f32 v[156:157], v[156:157], v[116:117] neg_lo:[0,1] neg_hi:[0,1]
	ds_load_2addr_b64 v[116:119], v222 offset0:40 offset1:41
	s_wait_dscnt 0x0
	v_pk_mul_f32 v[106:107], v[116:117], v[104:105] op_sel:[0,1]
	s_delay_alu instid0(VALU_DEP_1) | instskip(SKIP_1) | instid1(VALU_DEP_1)
	v_pk_fma_f32 v[120:121], v[116:117], v[102:103], v[106:107] op_sel:[0,0,1] op_sel_hi:[1,1,0] neg_lo:[0,0,1] neg_hi:[0,0,1]
	v_pk_fma_f32 v[106:107], v[116:117], v[102:103], v[106:107] op_sel:[0,0,1] op_sel_hi:[1,0,0]
	v_mov_b32_e32 v121, v107
	v_pk_mul_f32 v[106:107], v[118:119], v[104:105] op_sel:[0,1]
	s_delay_alu instid0(VALU_DEP_2) | instskip(NEXT) | instid1(VALU_DEP_2)
	v_pk_add_f32 v[178:179], v[178:179], v[120:121] neg_lo:[0,1] neg_hi:[0,1]
	v_pk_fma_f32 v[116:117], v[118:119], v[102:103], v[106:107] op_sel:[0,0,1] op_sel_hi:[1,1,0] neg_lo:[0,0,1] neg_hi:[0,0,1]
	v_pk_fma_f32 v[106:107], v[118:119], v[102:103], v[106:107] op_sel:[0,0,1] op_sel_hi:[1,0,0]
	s_delay_alu instid0(VALU_DEP_1) | instskip(NEXT) | instid1(VALU_DEP_1)
	v_mov_b32_e32 v117, v107
	v_pk_add_f32 v[174:175], v[174:175], v[116:117] neg_lo:[0,1] neg_hi:[0,1]
	ds_load_2addr_b64 v[116:119], v222 offset0:42 offset1:43
	s_wait_dscnt 0x0
	v_pk_mul_f32 v[106:107], v[116:117], v[104:105] op_sel:[0,1]
	s_delay_alu instid0(VALU_DEP_1) | instskip(SKIP_2) | instid1(VALU_DEP_2)
	v_pk_fma_f32 v[120:121], v[116:117], v[102:103], v[106:107] op_sel:[0,0,1] op_sel_hi:[1,1,0] neg_lo:[0,0,1] neg_hi:[0,0,1]
	v_pk_fma_f32 v[106:107], v[116:117], v[102:103], v[106:107] op_sel:[0,0,1] op_sel_hi:[1,0,0]
	v_dual_mul_f32 v116, v119, v105 :: v_dual_mov_b32 v106, v119
	v_dual_mov_b32 v121, v107 :: v_dual_mov_b32 v107, v118
	s_delay_alu instid0(VALU_DEP_2) | instskip(SKIP_1) | instid1(VALU_DEP_3)
	v_pk_fma_f32 v[116:117], v[118:119], v[126:127], v[116:117] op_sel_hi:[1,1,0] neg_lo:[0,0,1] neg_hi:[0,0,1]
	v_mul_f32_e32 v118, v119, v102
	v_pk_add_f32 v[176:177], v[176:177], v[120:121] neg_lo:[0,1] neg_hi:[0,1]
	s_delay_alu instid0(VALU_DEP_2) | instskip(NEXT) | instid1(VALU_DEP_1)
	v_pk_fma_f32 v[106:107], v[106:107], v[126:127], v[118:119] op_sel_hi:[1,1,0]
	v_mov_b32_e32 v117, v107
	s_delay_alu instid0(VALU_DEP_1) | instskip(SKIP_3) | instid1(VALU_DEP_1)
	v_pk_add_f32 v[172:173], v[172:173], v[116:117] neg_lo:[0,1] neg_hi:[0,1]
	ds_load_2addr_b64 v[116:119], v222 offset0:44 offset1:45
	s_wait_dscnt 0x0
	v_pk_mul_f32 v[106:107], v[116:117], v[104:105] op_sel:[0,1]
	v_pk_fma_f32 v[120:121], v[116:117], v[102:103], v[106:107] op_sel:[0,0,1] op_sel_hi:[1,1,0] neg_lo:[0,0,1] neg_hi:[0,0,1]
	v_pk_fma_f32 v[106:107], v[116:117], v[102:103], v[106:107] op_sel:[0,0,1] op_sel_hi:[1,0,0]
	s_delay_alu instid0(VALU_DEP_1) | instskip(SKIP_1) | instid1(VALU_DEP_2)
	v_mov_b32_e32 v121, v107
	v_pk_mul_f32 v[106:107], v[118:119], v[104:105] op_sel:[0,1]
	v_pk_add_f32 v[194:195], v[194:195], v[120:121] neg_lo:[0,1] neg_hi:[0,1]
	s_delay_alu instid0(VALU_DEP_2) | instskip(SKIP_1) | instid1(VALU_DEP_1)
	v_pk_fma_f32 v[116:117], v[118:119], v[102:103], v[106:107] op_sel:[0,0,1] op_sel_hi:[1,1,0] neg_lo:[0,0,1] neg_hi:[0,0,1]
	v_pk_fma_f32 v[106:107], v[118:119], v[102:103], v[106:107] op_sel:[0,0,1] op_sel_hi:[1,0,0]
	v_mov_b32_e32 v117, v107
	s_delay_alu instid0(VALU_DEP_1) | instskip(SKIP_3) | instid1(VALU_DEP_1)
	v_pk_add_f32 v[190:191], v[190:191], v[116:117] neg_lo:[0,1] neg_hi:[0,1]
	ds_load_2addr_b64 v[116:119], v222 offset0:46 offset1:47
	s_wait_dscnt 0x0
	v_pk_mul_f32 v[106:107], v[116:117], v[104:105] op_sel:[0,1]
	v_pk_fma_f32 v[120:121], v[116:117], v[102:103], v[106:107] op_sel:[0,0,1] op_sel_hi:[1,1,0] neg_lo:[0,0,1] neg_hi:[0,0,1]
	v_pk_fma_f32 v[106:107], v[116:117], v[102:103], v[106:107] op_sel:[0,0,1] op_sel_hi:[1,0,0]
	s_delay_alu instid0(VALU_DEP_1) | instskip(SKIP_1) | instid1(VALU_DEP_2)
	v_mov_b32_e32 v121, v107
	v_pk_mul_f32 v[106:107], v[118:119], v[104:105] op_sel:[0,1]
	v_pk_add_f32 v[192:193], v[192:193], v[120:121] neg_lo:[0,1] neg_hi:[0,1]
	s_delay_alu instid0(VALU_DEP_2) | instskip(SKIP_1) | instid1(VALU_DEP_1)
	v_pk_fma_f32 v[116:117], v[118:119], v[102:103], v[106:107] op_sel:[0,0,1] op_sel_hi:[1,1,0] neg_lo:[0,0,1] neg_hi:[0,0,1]
	v_pk_fma_f32 v[106:107], v[118:119], v[102:103], v[106:107] op_sel:[0,0,1] op_sel_hi:[1,0,0]
	v_mov_b32_e32 v117, v107
	s_delay_alu instid0(VALU_DEP_1) | instskip(SKIP_3) | instid1(VALU_DEP_1)
	v_pk_add_f32 v[188:189], v[188:189], v[116:117] neg_lo:[0,1] neg_hi:[0,1]
	ds_load_2addr_b64 v[116:119], v222 offset0:48 offset1:49
	s_wait_dscnt 0x0
	v_dual_mul_f32 v106, v117, v105 :: v_dual_mul_f32 v120, v117, v102
	v_pk_fma_f32 v[106:107], v[116:117], v[126:127], v[106:107] op_sel_hi:[1,1,0] neg_lo:[0,0,1] neg_hi:[0,0,1]
	s_delay_alu instid0(VALU_DEP_2) | instskip(NEXT) | instid1(VALU_DEP_1)
	v_pk_fma_f32 v[116:117], v[116:117], v[126:127], v[120:121] op_sel:[1,0,0] op_sel_hi:[0,1,0]
	v_mov_b32_e32 v107, v117
	s_delay_alu instid0(VALU_DEP_1) | instskip(SKIP_1) | instid1(VALU_DEP_1)
	v_pk_add_f32 v[216:217], v[216:217], v[106:107] neg_lo:[0,1] neg_hi:[0,1]
	v_pk_mul_f32 v[106:107], v[118:119], v[104:105] op_sel:[0,1]
	v_pk_fma_f32 v[116:117], v[118:119], v[102:103], v[106:107] op_sel:[0,0,1] op_sel_hi:[1,1,0] neg_lo:[0,0,1] neg_hi:[0,0,1]
	v_pk_fma_f32 v[106:107], v[118:119], v[102:103], v[106:107] op_sel:[0,0,1] op_sel_hi:[1,0,0]
	s_delay_alu instid0(VALU_DEP_1) | instskip(NEXT) | instid1(VALU_DEP_1)
	v_mov_b32_e32 v117, v107
	v_pk_add_f32 v[212:213], v[212:213], v[116:117] neg_lo:[0,1] neg_hi:[0,1]
	ds_load_2addr_b64 v[116:119], v222 offset0:50 offset1:51
	s_wait_dscnt 0x0
	v_pk_mul_f32 v[106:107], v[116:117], v[104:105] op_sel:[0,1]
	s_delay_alu instid0(VALU_DEP_1) | instskip(SKIP_1) | instid1(VALU_DEP_1)
	v_pk_fma_f32 v[120:121], v[116:117], v[102:103], v[106:107] op_sel:[0,0,1] op_sel_hi:[1,1,0] neg_lo:[0,0,1] neg_hi:[0,0,1]
	v_pk_fma_f32 v[106:107], v[116:117], v[102:103], v[106:107] op_sel:[0,0,1] op_sel_hi:[1,0,0]
	v_mov_b32_e32 v121, v107
	v_pk_mul_f32 v[106:107], v[118:119], v[104:105] op_sel:[0,1]
	s_delay_alu instid0(VALU_DEP_2) | instskip(NEXT) | instid1(VALU_DEP_2)
	v_pk_add_f32 v[214:215], v[214:215], v[120:121] neg_lo:[0,1] neg_hi:[0,1]
	v_pk_fma_f32 v[116:117], v[118:119], v[102:103], v[106:107] op_sel:[0,0,1] op_sel_hi:[1,1,0] neg_lo:[0,0,1] neg_hi:[0,0,1]
	v_pk_fma_f32 v[106:107], v[118:119], v[102:103], v[106:107] op_sel:[0,0,1] op_sel_hi:[1,0,0]
	s_delay_alu instid0(VALU_DEP_1) | instskip(NEXT) | instid1(VALU_DEP_1)
	v_mov_b32_e32 v117, v107
	v_pk_add_f32 v[210:211], v[210:211], v[116:117] neg_lo:[0,1] neg_hi:[0,1]
	ds_load_2addr_b64 v[116:119], v222 offset0:52 offset1:53
	s_wait_dscnt 0x0
	v_pk_mul_f32 v[106:107], v[116:117], v[104:105] op_sel:[0,1]
	s_delay_alu instid0(VALU_DEP_1) | instskip(SKIP_2) | instid1(VALU_DEP_2)
	v_pk_fma_f32 v[120:121], v[116:117], v[102:103], v[106:107] op_sel:[0,0,1] op_sel_hi:[1,1,0] neg_lo:[0,0,1] neg_hi:[0,0,1]
	v_pk_fma_f32 v[106:107], v[116:117], v[102:103], v[106:107] op_sel:[0,0,1] op_sel_hi:[1,0,0]
	v_dual_mul_f32 v116, v119, v105 :: v_dual_mov_b32 v106, v119
	v_dual_mov_b32 v121, v107 :: v_dual_mov_b32 v107, v118
	s_delay_alu instid0(VALU_DEP_2) | instskip(SKIP_1) | instid1(VALU_DEP_3)
	v_pk_fma_f32 v[116:117], v[118:119], v[126:127], v[116:117] op_sel_hi:[1,1,0] neg_lo:[0,0,1] neg_hi:[0,0,1]
	v_mul_f32_e32 v118, v119, v102
	v_pk_add_f32 v[240:241], v[240:241], v[120:121] neg_lo:[0,1] neg_hi:[0,1]
	s_delay_alu instid0(VALU_DEP_2) | instskip(NEXT) | instid1(VALU_DEP_1)
	v_pk_fma_f32 v[106:107], v[106:107], v[126:127], v[118:119] op_sel_hi:[1,1,0]
	v_mov_b32_e32 v117, v107
	s_delay_alu instid0(VALU_DEP_1) | instskip(SKIP_3) | instid1(VALU_DEP_1)
	v_pk_add_f32 v[232:233], v[232:233], v[116:117] neg_lo:[0,1] neg_hi:[0,1]
	ds_load_2addr_b64 v[116:119], v222 offset0:54 offset1:55
	s_wait_dscnt 0x0
	v_pk_mul_f32 v[106:107], v[116:117], v[104:105] op_sel:[0,1]
	v_pk_fma_f32 v[120:121], v[116:117], v[102:103], v[106:107] op_sel:[0,0,1] op_sel_hi:[1,1,0] neg_lo:[0,0,1] neg_hi:[0,0,1]
	v_pk_fma_f32 v[106:107], v[116:117], v[102:103], v[106:107] op_sel:[0,0,1] op_sel_hi:[1,0,0]
	s_delay_alu instid0(VALU_DEP_1) | instskip(SKIP_1) | instid1(VALU_DEP_2)
	v_mov_b32_e32 v121, v107
	v_pk_mul_f32 v[106:107], v[118:119], v[104:105] op_sel:[0,1]
	v_pk_add_f32 v[238:239], v[238:239], v[120:121] neg_lo:[0,1] neg_hi:[0,1]
	s_delay_alu instid0(VALU_DEP_2) | instskip(SKIP_1) | instid1(VALU_DEP_1)
	v_pk_fma_f32 v[116:117], v[118:119], v[102:103], v[106:107] op_sel:[0,0,1] op_sel_hi:[1,1,0] neg_lo:[0,0,1] neg_hi:[0,0,1]
	v_pk_fma_f32 v[106:107], v[118:119], v[102:103], v[106:107] op_sel:[0,0,1] op_sel_hi:[1,0,0]
	v_mov_b32_e32 v117, v107
	s_delay_alu instid0(VALU_DEP_1) | instskip(SKIP_3) | instid1(VALU_DEP_1)
	v_pk_add_f32 v[230:231], v[230:231], v[116:117] neg_lo:[0,1] neg_hi:[0,1]
	ds_load_2addr_b64 v[116:119], v222 offset0:56 offset1:57
	s_wait_dscnt 0x0
	v_pk_mul_f32 v[106:107], v[116:117], v[104:105] op_sel:[0,1]
	v_pk_fma_f32 v[120:121], v[116:117], v[102:103], v[106:107] op_sel:[0,0,1] op_sel_hi:[1,1,0] neg_lo:[0,0,1] neg_hi:[0,0,1]
	v_pk_fma_f32 v[106:107], v[116:117], v[102:103], v[106:107] op_sel:[0,0,1] op_sel_hi:[1,0,0]
	s_delay_alu instid0(VALU_DEP_1) | instskip(SKIP_1) | instid1(VALU_DEP_2)
	v_mov_b32_e32 v121, v107
	v_pk_mul_f32 v[106:107], v[118:119], v[104:105] op_sel:[0,1]
	v_pk_add_f32 v[236:237], v[236:237], v[120:121] neg_lo:[0,1] neg_hi:[0,1]
	s_delay_alu instid0(VALU_DEP_2) | instskip(SKIP_1) | instid1(VALU_DEP_1)
	v_pk_fma_f32 v[116:117], v[118:119], v[102:103], v[106:107] op_sel:[0,0,1] op_sel_hi:[1,1,0] neg_lo:[0,0,1] neg_hi:[0,0,1]
	v_pk_fma_f32 v[106:107], v[118:119], v[102:103], v[106:107] op_sel:[0,0,1] op_sel_hi:[1,0,0]
	v_mov_b32_e32 v117, v107
	s_delay_alu instid0(VALU_DEP_1) | instskip(SKIP_3) | instid1(VALU_DEP_1)
	v_pk_add_f32 v[228:229], v[228:229], v[116:117] neg_lo:[0,1] neg_hi:[0,1]
	ds_load_2addr_b64 v[116:119], v222 offset0:58 offset1:59
	s_wait_dscnt 0x0
	v_dual_mul_f32 v106, v117, v105 :: v_dual_mul_f32 v120, v117, v102
	v_pk_fma_f32 v[106:107], v[116:117], v[126:127], v[106:107] op_sel_hi:[1,1,0] neg_lo:[0,0,1] neg_hi:[0,0,1]
	s_delay_alu instid0(VALU_DEP_2) | instskip(NEXT) | instid1(VALU_DEP_1)
	v_pk_fma_f32 v[116:117], v[116:117], v[126:127], v[120:121] op_sel:[1,0,0] op_sel_hi:[0,1,0]
	v_mov_b32_e32 v107, v117
	s_delay_alu instid0(VALU_DEP_1) | instskip(SKIP_1) | instid1(VALU_DEP_1)
	v_pk_add_f32 v[234:235], v[234:235], v[106:107] neg_lo:[0,1] neg_hi:[0,1]
	v_pk_mul_f32 v[106:107], v[118:119], v[104:105] op_sel:[0,1]
	v_pk_fma_f32 v[116:117], v[118:119], v[102:103], v[106:107] op_sel:[0,0,1] op_sel_hi:[1,1,0] neg_lo:[0,0,1] neg_hi:[0,0,1]
	v_pk_fma_f32 v[106:107], v[118:119], v[102:103], v[106:107] op_sel:[0,0,1] op_sel_hi:[1,0,0]
	s_delay_alu instid0(VALU_DEP_1) | instskip(SKIP_4) | instid1(VALU_DEP_1)
	v_mov_b32_e32 v117, v107
	ds_load_b64 v[106:107], v222 offset:480
	v_pk_add_f32 v[242:243], v[242:243], v[116:117] neg_lo:[0,1] neg_hi:[0,1]
	s_wait_dscnt 0x0
	v_pk_mul_f32 v[104:105], v[106:107], v[104:105] op_sel:[0,1]
	v_pk_fma_f32 v[116:117], v[106:107], v[102:103], v[104:105] op_sel:[0,0,1] op_sel_hi:[1,1,0] neg_lo:[0,0,1] neg_hi:[0,0,1]
	v_pk_fma_f32 v[102:103], v[106:107], v[102:103], v[104:105] op_sel:[0,0,1] op_sel_hi:[1,0,0]
	s_delay_alu instid0(VALU_DEP_1) | instskip(NEXT) | instid1(VALU_DEP_1)
	v_mov_b32_e32 v117, v103
	v_pk_add_f32 v[244:245], v[244:245], v[116:117] neg_lo:[0,1] neg_hi:[0,1]
.LBB121_271:
	s_or_b32 exec_lo, exec_lo, s1
	s_delay_alu instid0(SALU_CYCLE_1)
	s_mov_b32 s2, exec_lo
	s_wait_dscnt 0x0
	s_barrier_signal -1
	s_barrier_wait -1
	v_cmpx_eq_u32_e32 30, v220
	s_cbranch_execz .LBB121_278
; %bb.272:
	ds_store_b64 v221, v[128:129]
	ds_store_2addr_b64 v222, v[124:125], v[146:147] offset0:31 offset1:32
	ds_store_2addr_b64 v222, v[142:143], v[144:145] offset0:33 offset1:34
	;; [unrolled: 1-line block ×15, first 2 shown]
	ds_load_b64 v[102:103], v221
	s_wait_dscnt 0x0
	v_cmp_neq_f32_e32 vcc_lo, 0, v102
	v_cmp_neq_f32_e64 s1, 0, v103
	s_or_b32 s1, vcc_lo, s1
	s_delay_alu instid0(SALU_CYCLE_1)
	s_and_b32 exec_lo, exec_lo, s1
	s_cbranch_execz .LBB121_278
; %bb.273:
	v_cmp_ngt_f32_e64 s1, |v102|, |v103|
                                        ; implicit-def: $vgpr104_vgpr105
	s_and_saveexec_b32 s4, s1
	s_delay_alu instid0(SALU_CYCLE_1)
	s_xor_b32 s1, exec_lo, s4
	s_cbranch_execz .LBB121_275
; %bb.274:
	v_div_scale_f32 v104, null, v103, v103, v102
	v_div_scale_f32 v107, vcc_lo, v102, v103, v102
	s_delay_alu instid0(VALU_DEP_2) | instskip(SKIP_1) | instid1(TRANS32_DEP_1)
	v_rcp_f32_e32 v105, v104
	v_nop
	v_fma_f32 v106, -v104, v105, 1.0
	s_delay_alu instid0(VALU_DEP_1) | instskip(NEXT) | instid1(VALU_DEP_1)
	v_fmac_f32_e32 v105, v106, v105
	v_mul_f32_e32 v106, v107, v105
	s_delay_alu instid0(VALU_DEP_1) | instskip(NEXT) | instid1(VALU_DEP_1)
	v_fma_f32 v116, -v104, v106, v107
	v_fmac_f32_e32 v106, v116, v105
	s_delay_alu instid0(VALU_DEP_1) | instskip(NEXT) | instid1(VALU_DEP_1)
	v_fma_f32 v104, -v104, v106, v107
	v_div_fmas_f32 v104, v104, v105, v106
	s_delay_alu instid0(VALU_DEP_1) | instskip(NEXT) | instid1(VALU_DEP_1)
	v_div_fixup_f32 v104, v104, v103, v102
	v_fmac_f32_e32 v103, v102, v104
	s_delay_alu instid0(VALU_DEP_1) | instskip(SKIP_1) | instid1(VALU_DEP_2)
	v_div_scale_f32 v102, null, v103, v103, 1.0
	v_div_scale_f32 v107, vcc_lo, 1.0, v103, 1.0
	v_rcp_f32_e32 v105, v102
	v_nop
	s_delay_alu instid0(TRANS32_DEP_1) | instskip(NEXT) | instid1(VALU_DEP_1)
	v_fma_f32 v106, -v102, v105, 1.0
	v_fmac_f32_e32 v105, v106, v105
	s_delay_alu instid0(VALU_DEP_1) | instskip(NEXT) | instid1(VALU_DEP_1)
	v_mul_f32_e32 v106, v107, v105
	v_fma_f32 v116, -v102, v106, v107
	s_delay_alu instid0(VALU_DEP_1) | instskip(NEXT) | instid1(VALU_DEP_1)
	v_fmac_f32_e32 v106, v116, v105
	v_fma_f32 v102, -v102, v106, v107
	s_delay_alu instid0(VALU_DEP_1) | instskip(NEXT) | instid1(VALU_DEP_1)
	v_div_fmas_f32 v102, v102, v105, v106
	v_div_fixup_f32 v102, v102, v103, 1.0
	s_delay_alu instid0(VALU_DEP_1)
	v_mul_f32_e32 v104, v104, v102
	v_xor_b32_e32 v105, 0x80000000, v102
                                        ; implicit-def: $vgpr102_vgpr103
.LBB121_275:
	s_and_not1_saveexec_b32 s1, s1
	s_cbranch_execz .LBB121_277
; %bb.276:
	v_div_scale_f32 v104, null, v102, v102, v103
	v_div_scale_f32 v107, vcc_lo, v103, v102, v103
	s_delay_alu instid0(VALU_DEP_2) | instskip(SKIP_1) | instid1(TRANS32_DEP_1)
	v_rcp_f32_e32 v105, v104
	v_nop
	v_fma_f32 v106, -v104, v105, 1.0
	s_delay_alu instid0(VALU_DEP_1) | instskip(NEXT) | instid1(VALU_DEP_1)
	v_fmac_f32_e32 v105, v106, v105
	v_mul_f32_e32 v106, v107, v105
	s_delay_alu instid0(VALU_DEP_1) | instskip(NEXT) | instid1(VALU_DEP_1)
	v_fma_f32 v116, -v104, v106, v107
	v_fmac_f32_e32 v106, v116, v105
	s_delay_alu instid0(VALU_DEP_1) | instskip(NEXT) | instid1(VALU_DEP_1)
	v_fma_f32 v104, -v104, v106, v107
	v_div_fmas_f32 v104, v104, v105, v106
	s_delay_alu instid0(VALU_DEP_1) | instskip(NEXT) | instid1(VALU_DEP_1)
	v_div_fixup_f32 v105, v104, v102, v103
	v_fmac_f32_e32 v102, v103, v105
	s_delay_alu instid0(VALU_DEP_1) | instskip(NEXT) | instid1(VALU_DEP_1)
	v_div_scale_f32 v103, null, v102, v102, 1.0
	v_rcp_f32_e32 v104, v103
	v_nop
	s_delay_alu instid0(TRANS32_DEP_1) | instskip(NEXT) | instid1(VALU_DEP_1)
	v_fma_f32 v106, -v103, v104, 1.0
	v_fmac_f32_e32 v104, v106, v104
	v_div_scale_f32 v106, vcc_lo, 1.0, v102, 1.0
	s_delay_alu instid0(VALU_DEP_1) | instskip(NEXT) | instid1(VALU_DEP_1)
	v_mul_f32_e32 v107, v106, v104
	v_fma_f32 v116, -v103, v107, v106
	s_delay_alu instid0(VALU_DEP_1) | instskip(NEXT) | instid1(VALU_DEP_1)
	v_fmac_f32_e32 v107, v116, v104
	v_fma_f32 v103, -v103, v107, v106
	s_delay_alu instid0(VALU_DEP_1) | instskip(NEXT) | instid1(VALU_DEP_1)
	v_div_fmas_f32 v103, v103, v104, v107
	v_div_fixup_f32 v104, v103, v102, 1.0
	s_delay_alu instid0(VALU_DEP_1)
	v_mul_f32_e64 v105, v105, -v104
.LBB121_277:
	s_or_b32 exec_lo, exec_lo, s1
	ds_store_b64 v221, v[104:105]
.LBB121_278:
	s_or_b32 exec_lo, exec_lo, s2
	s_wait_dscnt 0x0
	s_barrier_signal -1
	s_barrier_wait -1
	ds_load_b64 v[102:103], v221
	s_mov_b32 s1, exec_lo
	v_cmpx_lt_u32_e32 30, v220
	s_cbranch_execz .LBB121_280
; %bb.279:
	ds_load_2addr_b64 v[116:119], v222 offset0:31 offset1:32
	s_wait_dscnt 0x1
	v_pk_mul_f32 v[106:107], v[102:103], v[128:129] op_sel:[1,1] op_sel_hi:[0,1]
	s_delay_alu instid0(VALU_DEP_1) | instskip(SKIP_1) | instid1(VALU_DEP_1)
	v_pk_fma_f32 v[104:105], v[102:103], v[128:129], v[106:107] op_sel_hi:[1,0,1] neg_lo:[0,0,1] neg_hi:[0,0,1]
	v_pk_fma_f32 v[106:107], v[102:103], v[128:129], v[106:107] op_sel_hi:[1,0,1]
	v_dual_mov_b32 v128, v104 :: v_dual_mov_b32 v129, v107
	s_wait_dscnt 0x0
	s_delay_alu instid0(VALU_DEP_2) | instskip(NEXT) | instid1(VALU_DEP_1)
	v_pk_mul_f32 v[120:121], v[116:117], v[106:107] op_sel:[0,1]
	v_pk_fma_f32 v[122:123], v[116:117], v[104:105], v[120:121] op_sel:[0,0,1] op_sel_hi:[1,1,0] neg_lo:[0,0,1] neg_hi:[0,0,1]
	v_pk_fma_f32 v[116:117], v[116:117], v[104:105], v[120:121] op_sel:[0,0,1] op_sel_hi:[1,0,0]
	s_delay_alu instid0(VALU_DEP_1) | instskip(SKIP_1) | instid1(VALU_DEP_1)
	v_mov_b32_e32 v123, v117
	v_pk_mul_f32 v[116:117], v[118:119], v[106:107] op_sel:[0,1]
	v_pk_fma_f32 v[120:121], v[118:119], v[104:105], v[116:117] op_sel:[0,0,1] op_sel_hi:[1,1,0] neg_lo:[0,0,1] neg_hi:[0,0,1]
	v_pk_fma_f32 v[116:117], v[118:119], v[104:105], v[116:117] op_sel:[0,0,1] op_sel_hi:[1,0,0]
	s_delay_alu instid0(VALU_DEP_1)
	v_mov_b32_e32 v121, v117
	ds_load_2addr_b64 v[116:119], v222 offset0:33 offset1:34
	v_pk_add_f32 v[124:125], v[124:125], v[122:123] neg_lo:[0,1] neg_hi:[0,1]
	v_pk_add_f32 v[146:147], v[146:147], v[120:121] neg_lo:[0,1] neg_hi:[0,1]
	s_wait_dscnt 0x0
	v_pk_mul_f32 v[120:121], v[116:117], v[106:107] op_sel:[0,1]
	s_delay_alu instid0(VALU_DEP_1) | instskip(SKIP_2) | instid1(VALU_DEP_2)
	v_pk_fma_f32 v[122:123], v[116:117], v[104:105], v[120:121] op_sel:[0,0,1] op_sel_hi:[1,1,0] neg_lo:[0,0,1] neg_hi:[0,0,1]
	v_pk_fma_f32 v[116:117], v[116:117], v[104:105], v[120:121] op_sel:[0,0,1] op_sel_hi:[1,0,0]
	v_dual_mul_f32 v120, v119, v107 :: v_dual_mov_b32 v116, v119
	v_dual_mov_b32 v123, v117 :: v_dual_mov_b32 v117, v118
	s_delay_alu instid0(VALU_DEP_2) | instskip(SKIP_1) | instid1(VALU_DEP_3)
	v_pk_fma_f32 v[120:121], v[118:119], v[128:129], v[120:121] op_sel_hi:[1,1,0] neg_lo:[0,0,1] neg_hi:[0,0,1]
	v_mul_f32_e32 v118, v119, v104
	v_pk_add_f32 v[142:143], v[142:143], v[122:123] neg_lo:[0,1] neg_hi:[0,1]
	s_delay_alu instid0(VALU_DEP_2) | instskip(NEXT) | instid1(VALU_DEP_1)
	v_pk_fma_f32 v[116:117], v[116:117], v[128:129], v[118:119] op_sel_hi:[1,1,0]
	v_mov_b32_e32 v121, v117
	ds_load_2addr_b64 v[116:119], v222 offset0:35 offset1:36
	v_pk_add_f32 v[144:145], v[144:145], v[120:121] neg_lo:[0,1] neg_hi:[0,1]
	s_wait_dscnt 0x0
	v_pk_mul_f32 v[120:121], v[116:117], v[106:107] op_sel:[0,1]
	s_delay_alu instid0(VALU_DEP_1) | instskip(SKIP_1) | instid1(VALU_DEP_1)
	v_pk_fma_f32 v[122:123], v[116:117], v[104:105], v[120:121] op_sel:[0,0,1] op_sel_hi:[1,1,0] neg_lo:[0,0,1] neg_hi:[0,0,1]
	v_pk_fma_f32 v[116:117], v[116:117], v[104:105], v[120:121] op_sel:[0,0,1] op_sel_hi:[1,0,0]
	v_mov_b32_e32 v123, v117
	v_pk_mul_f32 v[116:117], v[118:119], v[106:107] op_sel:[0,1]
	s_delay_alu instid0(VALU_DEP_1) | instskip(SKIP_1) | instid1(VALU_DEP_1)
	v_pk_fma_f32 v[120:121], v[118:119], v[104:105], v[116:117] op_sel:[0,0,1] op_sel_hi:[1,1,0] neg_lo:[0,0,1] neg_hi:[0,0,1]
	v_pk_fma_f32 v[116:117], v[118:119], v[104:105], v[116:117] op_sel:[0,0,1] op_sel_hi:[1,0,0]
	v_mov_b32_e32 v121, v117
	ds_load_2addr_b64 v[116:119], v222 offset0:37 offset1:38
	v_pk_add_f32 v[140:141], v[140:141], v[122:123] neg_lo:[0,1] neg_hi:[0,1]
	v_pk_add_f32 v[162:163], v[162:163], v[120:121] neg_lo:[0,1] neg_hi:[0,1]
	s_wait_dscnt 0x0
	v_pk_mul_f32 v[120:121], v[116:117], v[106:107] op_sel:[0,1]
	s_delay_alu instid0(VALU_DEP_1) | instskip(SKIP_1) | instid1(VALU_DEP_1)
	v_pk_fma_f32 v[122:123], v[116:117], v[104:105], v[120:121] op_sel:[0,0,1] op_sel_hi:[1,1,0] neg_lo:[0,0,1] neg_hi:[0,0,1]
	v_pk_fma_f32 v[116:117], v[116:117], v[104:105], v[120:121] op_sel:[0,0,1] op_sel_hi:[1,0,0]
	v_mov_b32_e32 v123, v117
	v_pk_mul_f32 v[116:117], v[118:119], v[106:107] op_sel:[0,1]
	s_delay_alu instid0(VALU_DEP_1) | instskip(SKIP_1) | instid1(VALU_DEP_1)
	v_pk_fma_f32 v[120:121], v[118:119], v[104:105], v[116:117] op_sel:[0,0,1] op_sel_hi:[1,1,0] neg_lo:[0,0,1] neg_hi:[0,0,1]
	v_pk_fma_f32 v[116:117], v[118:119], v[104:105], v[116:117] op_sel:[0,0,1] op_sel_hi:[1,0,0]
	v_mov_b32_e32 v121, v117
	ds_load_2addr_b64 v[116:119], v222 offset0:39 offset1:40
	v_pk_add_f32 v[158:159], v[158:159], v[122:123] neg_lo:[0,1] neg_hi:[0,1]
	v_pk_add_f32 v[160:161], v[160:161], v[120:121] neg_lo:[0,1] neg_hi:[0,1]
	s_wait_dscnt 0x0
	v_dual_mul_f32 v120, v117, v107 :: v_dual_mul_f32 v122, v117, v104
	s_delay_alu instid0(VALU_DEP_1) | instskip(NEXT) | instid1(VALU_DEP_2)
	v_pk_fma_f32 v[120:121], v[116:117], v[128:129], v[120:121] op_sel_hi:[1,1,0] neg_lo:[0,0,1] neg_hi:[0,0,1]
	v_pk_fma_f32 v[116:117], v[116:117], v[128:129], v[122:123] op_sel:[1,0,0] op_sel_hi:[0,1,0]
	s_delay_alu instid0(VALU_DEP_1) | instskip(SKIP_1) | instid1(VALU_DEP_2)
	v_mov_b32_e32 v121, v117
	v_pk_mul_f32 v[116:117], v[118:119], v[106:107] op_sel:[0,1]
	v_pk_add_f32 v[156:157], v[156:157], v[120:121] neg_lo:[0,1] neg_hi:[0,1]
	s_delay_alu instid0(VALU_DEP_2) | instskip(SKIP_1) | instid1(VALU_DEP_1)
	v_pk_fma_f32 v[120:121], v[118:119], v[104:105], v[116:117] op_sel:[0,0,1] op_sel_hi:[1,1,0] neg_lo:[0,0,1] neg_hi:[0,0,1]
	v_pk_fma_f32 v[116:117], v[118:119], v[104:105], v[116:117] op_sel:[0,0,1] op_sel_hi:[1,0,0]
	v_mov_b32_e32 v121, v117
	ds_load_2addr_b64 v[116:119], v222 offset0:41 offset1:42
	v_pk_add_f32 v[178:179], v[178:179], v[120:121] neg_lo:[0,1] neg_hi:[0,1]
	s_wait_dscnt 0x0
	v_pk_mul_f32 v[120:121], v[116:117], v[106:107] op_sel:[0,1]
	s_delay_alu instid0(VALU_DEP_1) | instskip(SKIP_1) | instid1(VALU_DEP_1)
	v_pk_fma_f32 v[122:123], v[116:117], v[104:105], v[120:121] op_sel:[0,0,1] op_sel_hi:[1,1,0] neg_lo:[0,0,1] neg_hi:[0,0,1]
	v_pk_fma_f32 v[116:117], v[116:117], v[104:105], v[120:121] op_sel:[0,0,1] op_sel_hi:[1,0,0]
	v_mov_b32_e32 v123, v117
	v_pk_mul_f32 v[116:117], v[118:119], v[106:107] op_sel:[0,1]
	s_delay_alu instid0(VALU_DEP_2) | instskip(NEXT) | instid1(VALU_DEP_2)
	v_pk_add_f32 v[174:175], v[174:175], v[122:123] neg_lo:[0,1] neg_hi:[0,1]
	v_pk_fma_f32 v[120:121], v[118:119], v[104:105], v[116:117] op_sel:[0,0,1] op_sel_hi:[1,1,0] neg_lo:[0,0,1] neg_hi:[0,0,1]
	v_pk_fma_f32 v[116:117], v[118:119], v[104:105], v[116:117] op_sel:[0,0,1] op_sel_hi:[1,0,0]
	s_delay_alu instid0(VALU_DEP_1) | instskip(SKIP_4) | instid1(VALU_DEP_1)
	v_mov_b32_e32 v121, v117
	ds_load_2addr_b64 v[116:119], v222 offset0:43 offset1:44
	v_pk_add_f32 v[176:177], v[176:177], v[120:121] neg_lo:[0,1] neg_hi:[0,1]
	s_wait_dscnt 0x0
	v_pk_mul_f32 v[120:121], v[116:117], v[106:107] op_sel:[0,1]
	v_pk_fma_f32 v[122:123], v[116:117], v[104:105], v[120:121] op_sel:[0,0,1] op_sel_hi:[1,1,0] neg_lo:[0,0,1] neg_hi:[0,0,1]
	v_pk_fma_f32 v[116:117], v[116:117], v[104:105], v[120:121] op_sel:[0,0,1] op_sel_hi:[1,0,0]
	v_dual_mul_f32 v120, v119, v107 :: v_dual_mov_b32 v116, v119
	s_delay_alu instid0(VALU_DEP_2) | instskip(NEXT) | instid1(VALU_DEP_2)
	v_dual_mov_b32 v123, v117 :: v_dual_mov_b32 v117, v118
	v_pk_fma_f32 v[120:121], v[118:119], v[128:129], v[120:121] op_sel_hi:[1,1,0] neg_lo:[0,0,1] neg_hi:[0,0,1]
	v_mul_f32_e32 v118, v119, v104
	s_delay_alu instid0(VALU_DEP_3) | instskip(NEXT) | instid1(VALU_DEP_2)
	v_pk_add_f32 v[172:173], v[172:173], v[122:123] neg_lo:[0,1] neg_hi:[0,1]
	v_pk_fma_f32 v[116:117], v[116:117], v[128:129], v[118:119] op_sel_hi:[1,1,0]
	s_delay_alu instid0(VALU_DEP_1) | instskip(SKIP_4) | instid1(VALU_DEP_1)
	v_mov_b32_e32 v121, v117
	ds_load_2addr_b64 v[116:119], v222 offset0:45 offset1:46
	v_pk_add_f32 v[194:195], v[194:195], v[120:121] neg_lo:[0,1] neg_hi:[0,1]
	s_wait_dscnt 0x0
	v_pk_mul_f32 v[120:121], v[116:117], v[106:107] op_sel:[0,1]
	v_pk_fma_f32 v[122:123], v[116:117], v[104:105], v[120:121] op_sel:[0,0,1] op_sel_hi:[1,1,0] neg_lo:[0,0,1] neg_hi:[0,0,1]
	v_pk_fma_f32 v[116:117], v[116:117], v[104:105], v[120:121] op_sel:[0,0,1] op_sel_hi:[1,0,0]
	s_delay_alu instid0(VALU_DEP_1) | instskip(SKIP_1) | instid1(VALU_DEP_1)
	v_mov_b32_e32 v123, v117
	v_pk_mul_f32 v[116:117], v[118:119], v[106:107] op_sel:[0,1]
	v_pk_fma_f32 v[120:121], v[118:119], v[104:105], v[116:117] op_sel:[0,0,1] op_sel_hi:[1,1,0] neg_lo:[0,0,1] neg_hi:[0,0,1]
	v_pk_fma_f32 v[116:117], v[118:119], v[104:105], v[116:117] op_sel:[0,0,1] op_sel_hi:[1,0,0]
	s_delay_alu instid0(VALU_DEP_1)
	v_mov_b32_e32 v121, v117
	ds_load_2addr_b64 v[116:119], v222 offset0:47 offset1:48
	v_pk_add_f32 v[190:191], v[190:191], v[122:123] neg_lo:[0,1] neg_hi:[0,1]
	v_pk_add_f32 v[192:193], v[192:193], v[120:121] neg_lo:[0,1] neg_hi:[0,1]
	s_wait_dscnt 0x0
	v_pk_mul_f32 v[120:121], v[116:117], v[106:107] op_sel:[0,1]
	s_delay_alu instid0(VALU_DEP_1) | instskip(SKIP_1) | instid1(VALU_DEP_1)
	v_pk_fma_f32 v[122:123], v[116:117], v[104:105], v[120:121] op_sel:[0,0,1] op_sel_hi:[1,1,0] neg_lo:[0,0,1] neg_hi:[0,0,1]
	v_pk_fma_f32 v[116:117], v[116:117], v[104:105], v[120:121] op_sel:[0,0,1] op_sel_hi:[1,0,0]
	v_mov_b32_e32 v123, v117
	v_pk_mul_f32 v[116:117], v[118:119], v[106:107] op_sel:[0,1]
	s_delay_alu instid0(VALU_DEP_1) | instskip(SKIP_1) | instid1(VALU_DEP_1)
	v_pk_fma_f32 v[120:121], v[118:119], v[104:105], v[116:117] op_sel:[0,0,1] op_sel_hi:[1,1,0] neg_lo:[0,0,1] neg_hi:[0,0,1]
	v_pk_fma_f32 v[116:117], v[118:119], v[104:105], v[116:117] op_sel:[0,0,1] op_sel_hi:[1,0,0]
	v_mov_b32_e32 v121, v117
	ds_load_2addr_b64 v[116:119], v222 offset0:49 offset1:50
	v_pk_add_f32 v[188:189], v[188:189], v[122:123] neg_lo:[0,1] neg_hi:[0,1]
	v_pk_add_f32 v[216:217], v[216:217], v[120:121] neg_lo:[0,1] neg_hi:[0,1]
	s_wait_dscnt 0x0
	v_dual_mul_f32 v120, v117, v107 :: v_dual_mul_f32 v122, v117, v104
	s_delay_alu instid0(VALU_DEP_1) | instskip(NEXT) | instid1(VALU_DEP_2)
	v_pk_fma_f32 v[120:121], v[116:117], v[128:129], v[120:121] op_sel_hi:[1,1,0] neg_lo:[0,0,1] neg_hi:[0,0,1]
	v_pk_fma_f32 v[116:117], v[116:117], v[128:129], v[122:123] op_sel:[1,0,0] op_sel_hi:[0,1,0]
	s_delay_alu instid0(VALU_DEP_1) | instskip(SKIP_1) | instid1(VALU_DEP_2)
	v_mov_b32_e32 v121, v117
	v_pk_mul_f32 v[116:117], v[118:119], v[106:107] op_sel:[0,1]
	v_pk_add_f32 v[212:213], v[212:213], v[120:121] neg_lo:[0,1] neg_hi:[0,1]
	s_delay_alu instid0(VALU_DEP_2) | instskip(SKIP_1) | instid1(VALU_DEP_1)
	v_pk_fma_f32 v[120:121], v[118:119], v[104:105], v[116:117] op_sel:[0,0,1] op_sel_hi:[1,1,0] neg_lo:[0,0,1] neg_hi:[0,0,1]
	v_pk_fma_f32 v[116:117], v[118:119], v[104:105], v[116:117] op_sel:[0,0,1] op_sel_hi:[1,0,0]
	v_mov_b32_e32 v121, v117
	ds_load_2addr_b64 v[116:119], v222 offset0:51 offset1:52
	v_pk_add_f32 v[214:215], v[214:215], v[120:121] neg_lo:[0,1] neg_hi:[0,1]
	s_wait_dscnt 0x0
	v_pk_mul_f32 v[120:121], v[116:117], v[106:107] op_sel:[0,1]
	s_delay_alu instid0(VALU_DEP_1) | instskip(SKIP_1) | instid1(VALU_DEP_1)
	v_pk_fma_f32 v[122:123], v[116:117], v[104:105], v[120:121] op_sel:[0,0,1] op_sel_hi:[1,1,0] neg_lo:[0,0,1] neg_hi:[0,0,1]
	v_pk_fma_f32 v[116:117], v[116:117], v[104:105], v[120:121] op_sel:[0,0,1] op_sel_hi:[1,0,0]
	v_mov_b32_e32 v123, v117
	v_pk_mul_f32 v[116:117], v[118:119], v[106:107] op_sel:[0,1]
	s_delay_alu instid0(VALU_DEP_2) | instskip(NEXT) | instid1(VALU_DEP_2)
	v_pk_add_f32 v[210:211], v[210:211], v[122:123] neg_lo:[0,1] neg_hi:[0,1]
	v_pk_fma_f32 v[120:121], v[118:119], v[104:105], v[116:117] op_sel:[0,0,1] op_sel_hi:[1,1,0] neg_lo:[0,0,1] neg_hi:[0,0,1]
	v_pk_fma_f32 v[116:117], v[118:119], v[104:105], v[116:117] op_sel:[0,0,1] op_sel_hi:[1,0,0]
	s_delay_alu instid0(VALU_DEP_1) | instskip(SKIP_4) | instid1(VALU_DEP_1)
	v_mov_b32_e32 v121, v117
	ds_load_2addr_b64 v[116:119], v222 offset0:53 offset1:54
	v_pk_add_f32 v[240:241], v[240:241], v[120:121] neg_lo:[0,1] neg_hi:[0,1]
	s_wait_dscnt 0x0
	v_pk_mul_f32 v[120:121], v[116:117], v[106:107] op_sel:[0,1]
	v_pk_fma_f32 v[122:123], v[116:117], v[104:105], v[120:121] op_sel:[0,0,1] op_sel_hi:[1,1,0] neg_lo:[0,0,1] neg_hi:[0,0,1]
	v_pk_fma_f32 v[116:117], v[116:117], v[104:105], v[120:121] op_sel:[0,0,1] op_sel_hi:[1,0,0]
	v_dual_mul_f32 v120, v119, v107 :: v_dual_mov_b32 v116, v119
	s_delay_alu instid0(VALU_DEP_2) | instskip(NEXT) | instid1(VALU_DEP_2)
	v_dual_mov_b32 v123, v117 :: v_dual_mov_b32 v117, v118
	v_pk_fma_f32 v[120:121], v[118:119], v[128:129], v[120:121] op_sel_hi:[1,1,0] neg_lo:[0,0,1] neg_hi:[0,0,1]
	v_mul_f32_e32 v118, v119, v104
	s_delay_alu instid0(VALU_DEP_3) | instskip(NEXT) | instid1(VALU_DEP_2)
	v_pk_add_f32 v[232:233], v[232:233], v[122:123] neg_lo:[0,1] neg_hi:[0,1]
	v_pk_fma_f32 v[116:117], v[116:117], v[128:129], v[118:119] op_sel_hi:[1,1,0]
	s_delay_alu instid0(VALU_DEP_1) | instskip(SKIP_4) | instid1(VALU_DEP_1)
	v_mov_b32_e32 v121, v117
	ds_load_2addr_b64 v[116:119], v222 offset0:55 offset1:56
	v_pk_add_f32 v[238:239], v[238:239], v[120:121] neg_lo:[0,1] neg_hi:[0,1]
	s_wait_dscnt 0x0
	v_pk_mul_f32 v[120:121], v[116:117], v[106:107] op_sel:[0,1]
	v_pk_fma_f32 v[122:123], v[116:117], v[104:105], v[120:121] op_sel:[0,0,1] op_sel_hi:[1,1,0] neg_lo:[0,0,1] neg_hi:[0,0,1]
	v_pk_fma_f32 v[116:117], v[116:117], v[104:105], v[120:121] op_sel:[0,0,1] op_sel_hi:[1,0,0]
	s_delay_alu instid0(VALU_DEP_1) | instskip(SKIP_1) | instid1(VALU_DEP_1)
	v_mov_b32_e32 v123, v117
	v_pk_mul_f32 v[116:117], v[118:119], v[106:107] op_sel:[0,1]
	v_pk_fma_f32 v[120:121], v[118:119], v[104:105], v[116:117] op_sel:[0,0,1] op_sel_hi:[1,1,0] neg_lo:[0,0,1] neg_hi:[0,0,1]
	v_pk_fma_f32 v[116:117], v[118:119], v[104:105], v[116:117] op_sel:[0,0,1] op_sel_hi:[1,0,0]
	s_delay_alu instid0(VALU_DEP_1)
	v_mov_b32_e32 v121, v117
	ds_load_2addr_b64 v[116:119], v222 offset0:57 offset1:58
	v_pk_add_f32 v[230:231], v[230:231], v[122:123] neg_lo:[0,1] neg_hi:[0,1]
	v_pk_add_f32 v[236:237], v[236:237], v[120:121] neg_lo:[0,1] neg_hi:[0,1]
	s_wait_dscnt 0x0
	v_pk_mul_f32 v[120:121], v[116:117], v[106:107] op_sel:[0,1]
	s_delay_alu instid0(VALU_DEP_1) | instskip(SKIP_1) | instid1(VALU_DEP_1)
	v_pk_fma_f32 v[122:123], v[116:117], v[104:105], v[120:121] op_sel:[0,0,1] op_sel_hi:[1,1,0] neg_lo:[0,0,1] neg_hi:[0,0,1]
	v_pk_fma_f32 v[116:117], v[116:117], v[104:105], v[120:121] op_sel:[0,0,1] op_sel_hi:[1,0,0]
	v_mov_b32_e32 v123, v117
	v_pk_mul_f32 v[116:117], v[118:119], v[106:107] op_sel:[0,1]
	s_delay_alu instid0(VALU_DEP_1) | instskip(SKIP_1) | instid1(VALU_DEP_1)
	v_pk_fma_f32 v[120:121], v[118:119], v[104:105], v[116:117] op_sel:[0,0,1] op_sel_hi:[1,1,0] neg_lo:[0,0,1] neg_hi:[0,0,1]
	v_pk_fma_f32 v[116:117], v[118:119], v[104:105], v[116:117] op_sel:[0,0,1] op_sel_hi:[1,0,0]
	v_mov_b32_e32 v121, v117
	ds_load_2addr_b64 v[116:119], v222 offset0:59 offset1:60
	v_pk_add_f32 v[228:229], v[228:229], v[122:123] neg_lo:[0,1] neg_hi:[0,1]
	v_pk_add_f32 v[234:235], v[234:235], v[120:121] neg_lo:[0,1] neg_hi:[0,1]
	s_wait_dscnt 0x0
	v_mul_f32_e32 v106, v117, v107
	s_delay_alu instid0(VALU_DEP_1) | instskip(SKIP_1) | instid1(VALU_DEP_1)
	v_pk_fma_f32 v[120:121], v[116:117], v[128:129], v[106:107] op_sel_hi:[1,1,0] neg_lo:[0,0,1] neg_hi:[0,0,1]
	v_dual_mul_f32 v106, v117, v104 :: v_dual_mul_f32 v104, v119, v104
	v_pk_fma_f32 v[116:117], v[116:117], v[128:129], v[106:107] op_sel:[1,0,0] op_sel_hi:[0,1,0]
	v_dual_mov_b32 v116, v119 :: v_dual_mul_f32 v106, v119, v107
	s_delay_alu instid0(VALU_DEP_2) | instskip(NEXT) | instid1(VALU_DEP_2)
	v_dual_mov_b32 v121, v117 :: v_dual_mov_b32 v117, v118
	v_pk_fma_f32 v[106:107], v[118:119], v[128:129], v[106:107] op_sel_hi:[1,1,0] neg_lo:[0,0,1] neg_hi:[0,0,1]
	s_delay_alu instid0(VALU_DEP_2) | instskip(NEXT) | instid1(VALU_DEP_3)
	v_pk_add_f32 v[242:243], v[242:243], v[120:121] neg_lo:[0,1] neg_hi:[0,1]
	v_pk_fma_f32 v[104:105], v[116:117], v[128:129], v[104:105] op_sel_hi:[1,1,0]
	s_delay_alu instid0(VALU_DEP_1) | instskip(NEXT) | instid1(VALU_DEP_1)
	v_mov_b32_e32 v107, v105
	v_pk_add_f32 v[244:245], v[244:245], v[106:107] neg_lo:[0,1] neg_hi:[0,1]
.LBB121_280:
	s_or_b32 exec_lo, exec_lo, s1
	s_delay_alu instid0(SALU_CYCLE_1)
	s_mov_b32 s2, exec_lo
	s_wait_dscnt 0x0
	s_barrier_signal -1
	s_barrier_wait -1
	v_cmpx_eq_u32_e32 31, v220
	s_cbranch_execz .LBB121_287
; %bb.281:
	v_dual_mov_b32 v104, v146 :: v_dual_mov_b32 v105, v147
	v_dual_mov_b32 v106, v142 :: v_dual_mov_b32 v107, v143
	ds_store_b64 v221, v[124:125]
	ds_store_2addr_b64 v222, v[104:105], v[106:107] offset0:32 offset1:33
	v_dual_mov_b32 v104, v144 :: v_dual_mov_b32 v105, v145
	v_dual_mov_b32 v106, v140 :: v_dual_mov_b32 v107, v141
	ds_store_2addr_b64 v222, v[104:105], v[106:107] offset0:34 offset1:35
	v_dual_mov_b32 v104, v162 :: v_dual_mov_b32 v105, v163
	v_dual_mov_b32 v106, v158 :: v_dual_mov_b32 v107, v159
	ds_store_2addr_b64 v222, v[104:105], v[106:107] offset0:36 offset1:37
	v_dual_mov_b32 v104, v160 :: v_dual_mov_b32 v105, v161
	v_dual_mov_b32 v106, v156 :: v_dual_mov_b32 v107, v157
	ds_store_2addr_b64 v222, v[104:105], v[106:107] offset0:38 offset1:39
	v_dual_mov_b32 v104, v178 :: v_dual_mov_b32 v105, v179
	v_dual_mov_b32 v106, v174 :: v_dual_mov_b32 v107, v175
	ds_store_2addr_b64 v222, v[104:105], v[106:107] offset0:40 offset1:41
	v_dual_mov_b32 v104, v176 :: v_dual_mov_b32 v105, v177
	v_dual_mov_b32 v106, v172 :: v_dual_mov_b32 v107, v173
	ds_store_2addr_b64 v222, v[104:105], v[106:107] offset0:42 offset1:43
	v_dual_mov_b32 v104, v194 :: v_dual_mov_b32 v105, v195
	v_dual_mov_b32 v106, v190 :: v_dual_mov_b32 v107, v191
	ds_store_2addr_b64 v222, v[104:105], v[106:107] offset0:44 offset1:45
	v_dual_mov_b32 v104, v192 :: v_dual_mov_b32 v105, v193
	v_dual_mov_b32 v106, v188 :: v_dual_mov_b32 v107, v189
	ds_store_2addr_b64 v222, v[104:105], v[106:107] offset0:46 offset1:47
	v_dual_mov_b32 v104, v216 :: v_dual_mov_b32 v105, v217
	v_dual_mov_b32 v106, v212 :: v_dual_mov_b32 v107, v213
	ds_store_2addr_b64 v222, v[104:105], v[106:107] offset0:48 offset1:49
	v_dual_mov_b32 v104, v214 :: v_dual_mov_b32 v105, v215
	v_dual_mov_b32 v106, v210 :: v_dual_mov_b32 v107, v211
	ds_store_2addr_b64 v222, v[104:105], v[106:107] offset0:50 offset1:51
	v_dual_mov_b32 v104, v240 :: v_dual_mov_b32 v105, v241
	v_dual_mov_b32 v106, v232 :: v_dual_mov_b32 v107, v233
	ds_store_2addr_b64 v222, v[104:105], v[106:107] offset0:52 offset1:53
	v_dual_mov_b32 v104, v238 :: v_dual_mov_b32 v105, v239
	v_dual_mov_b32 v106, v230 :: v_dual_mov_b32 v107, v231
	ds_store_2addr_b64 v222, v[104:105], v[106:107] offset0:54 offset1:55
	v_dual_mov_b32 v104, v236 :: v_dual_mov_b32 v105, v237
	v_dual_mov_b32 v106, v228 :: v_dual_mov_b32 v107, v229
	ds_store_2addr_b64 v222, v[104:105], v[106:107] offset0:56 offset1:57
	v_dual_mov_b32 v104, v234 :: v_dual_mov_b32 v105, v235
	v_dual_mov_b32 v106, v242 :: v_dual_mov_b32 v107, v243
	ds_store_2addr_b64 v222, v[104:105], v[106:107] offset0:58 offset1:59
	ds_store_b64 v222, v[244:245] offset:480
	ds_load_b64 v[104:105], v221
	s_wait_dscnt 0x0
	v_cmp_neq_f32_e32 vcc_lo, 0, v104
	v_cmp_neq_f32_e64 s1, 0, v105
	s_or_b32 s1, vcc_lo, s1
	s_delay_alu instid0(SALU_CYCLE_1)
	s_and_b32 exec_lo, exec_lo, s1
	s_cbranch_execz .LBB121_287
; %bb.282:
	v_cmp_ngt_f32_e64 s1, |v104|, |v105|
                                        ; implicit-def: $vgpr106_vgpr107
	s_and_saveexec_b32 s4, s1
	s_delay_alu instid0(SALU_CYCLE_1)
	s_xor_b32 s1, exec_lo, s4
	s_cbranch_execz .LBB121_284
; %bb.283:
	v_div_scale_f32 v106, null, v105, v105, v104
	v_div_scale_f32 v117, vcc_lo, v104, v105, v104
	s_delay_alu instid0(VALU_DEP_2) | instskip(SKIP_1) | instid1(TRANS32_DEP_1)
	v_rcp_f32_e32 v107, v106
	v_nop
	v_fma_f32 v116, -v106, v107, 1.0
	s_delay_alu instid0(VALU_DEP_1) | instskip(NEXT) | instid1(VALU_DEP_1)
	v_fmac_f32_e32 v107, v116, v107
	v_mul_f32_e32 v116, v117, v107
	s_delay_alu instid0(VALU_DEP_1) | instskip(NEXT) | instid1(VALU_DEP_1)
	v_fma_f32 v118, -v106, v116, v117
	v_fmac_f32_e32 v116, v118, v107
	s_delay_alu instid0(VALU_DEP_1) | instskip(NEXT) | instid1(VALU_DEP_1)
	v_fma_f32 v106, -v106, v116, v117
	v_div_fmas_f32 v106, v106, v107, v116
	s_delay_alu instid0(VALU_DEP_1) | instskip(NEXT) | instid1(VALU_DEP_1)
	v_div_fixup_f32 v106, v106, v105, v104
	v_fmac_f32_e32 v105, v104, v106
	s_delay_alu instid0(VALU_DEP_1) | instskip(SKIP_1) | instid1(VALU_DEP_2)
	v_div_scale_f32 v104, null, v105, v105, 1.0
	v_div_scale_f32 v117, vcc_lo, 1.0, v105, 1.0
	v_rcp_f32_e32 v107, v104
	v_nop
	s_delay_alu instid0(TRANS32_DEP_1) | instskip(NEXT) | instid1(VALU_DEP_1)
	v_fma_f32 v116, -v104, v107, 1.0
	v_fmac_f32_e32 v107, v116, v107
	s_delay_alu instid0(VALU_DEP_1) | instskip(NEXT) | instid1(VALU_DEP_1)
	v_mul_f32_e32 v116, v117, v107
	v_fma_f32 v118, -v104, v116, v117
	s_delay_alu instid0(VALU_DEP_1) | instskip(NEXT) | instid1(VALU_DEP_1)
	v_fmac_f32_e32 v116, v118, v107
	v_fma_f32 v104, -v104, v116, v117
	s_delay_alu instid0(VALU_DEP_1) | instskip(NEXT) | instid1(VALU_DEP_1)
	v_div_fmas_f32 v104, v104, v107, v116
	v_div_fixup_f32 v104, v104, v105, 1.0
	s_delay_alu instid0(VALU_DEP_1)
	v_mul_f32_e32 v106, v106, v104
	v_xor_b32_e32 v107, 0x80000000, v104
                                        ; implicit-def: $vgpr104_vgpr105
.LBB121_284:
	s_and_not1_saveexec_b32 s1, s1
	s_cbranch_execz .LBB121_286
; %bb.285:
	v_div_scale_f32 v106, null, v104, v104, v105
	v_div_scale_f32 v117, vcc_lo, v105, v104, v105
	s_delay_alu instid0(VALU_DEP_2) | instskip(SKIP_1) | instid1(TRANS32_DEP_1)
	v_rcp_f32_e32 v107, v106
	v_nop
	v_fma_f32 v116, -v106, v107, 1.0
	s_delay_alu instid0(VALU_DEP_1) | instskip(NEXT) | instid1(VALU_DEP_1)
	v_fmac_f32_e32 v107, v116, v107
	v_mul_f32_e32 v116, v117, v107
	s_delay_alu instid0(VALU_DEP_1) | instskip(NEXT) | instid1(VALU_DEP_1)
	v_fma_f32 v118, -v106, v116, v117
	v_fmac_f32_e32 v116, v118, v107
	s_delay_alu instid0(VALU_DEP_1) | instskip(NEXT) | instid1(VALU_DEP_1)
	v_fma_f32 v106, -v106, v116, v117
	v_div_fmas_f32 v106, v106, v107, v116
	s_delay_alu instid0(VALU_DEP_1) | instskip(NEXT) | instid1(VALU_DEP_1)
	v_div_fixup_f32 v107, v106, v104, v105
	v_fmac_f32_e32 v104, v105, v107
	s_delay_alu instid0(VALU_DEP_1) | instskip(NEXT) | instid1(VALU_DEP_1)
	v_div_scale_f32 v105, null, v104, v104, 1.0
	v_rcp_f32_e32 v106, v105
	v_nop
	s_delay_alu instid0(TRANS32_DEP_1) | instskip(NEXT) | instid1(VALU_DEP_1)
	v_fma_f32 v116, -v105, v106, 1.0
	v_fmac_f32_e32 v106, v116, v106
	v_div_scale_f32 v116, vcc_lo, 1.0, v104, 1.0
	s_delay_alu instid0(VALU_DEP_1) | instskip(NEXT) | instid1(VALU_DEP_1)
	v_mul_f32_e32 v117, v116, v106
	v_fma_f32 v118, -v105, v117, v116
	s_delay_alu instid0(VALU_DEP_1) | instskip(NEXT) | instid1(VALU_DEP_1)
	v_fmac_f32_e32 v117, v118, v106
	v_fma_f32 v105, -v105, v117, v116
	s_delay_alu instid0(VALU_DEP_1) | instskip(NEXT) | instid1(VALU_DEP_1)
	v_div_fmas_f32 v105, v105, v106, v117
	v_div_fixup_f32 v106, v105, v104, 1.0
	s_delay_alu instid0(VALU_DEP_1)
	v_mul_f32_e64 v107, v107, -v106
.LBB121_286:
	s_or_b32 exec_lo, exec_lo, s1
	ds_store_b64 v221, v[106:107]
.LBB121_287:
	s_or_b32 exec_lo, exec_lo, s2
	s_wait_dscnt 0x0
	s_barrier_signal -1
	s_barrier_wait -1
	ds_load_b64 v[104:105], v221
	s_mov_b32 s1, exec_lo
	v_cmpx_lt_u32_e32 31, v220
	s_cbranch_execz .LBB121_289
; %bb.288:
	ds_load_2addr_b64 v[118:121], v222 offset0:32 offset1:33
	s_wait_dscnt 0x1
	v_pk_mul_f32 v[116:117], v[104:105], v[124:125] op_sel:[1,1] op_sel_hi:[0,1]
	s_delay_alu instid0(VALU_DEP_1) | instskip(SKIP_1) | instid1(VALU_DEP_1)
	v_pk_fma_f32 v[106:107], v[104:105], v[124:125], v[116:117] op_sel_hi:[1,0,1] neg_lo:[0,0,1] neg_hi:[0,0,1]
	v_pk_fma_f32 v[116:117], v[104:105], v[124:125], v[116:117] op_sel_hi:[1,0,1]
	v_dual_mov_b32 v124, v106 :: v_dual_mov_b32 v125, v117
	s_wait_dscnt 0x0
	s_delay_alu instid0(VALU_DEP_2) | instskip(NEXT) | instid1(VALU_DEP_1)
	v_pk_mul_f32 v[122:123], v[118:119], v[116:117] op_sel:[0,1]
	v_pk_fma_f32 v[132:133], v[118:119], v[106:107], v[122:123] op_sel:[0,0,1] op_sel_hi:[1,1,0] neg_lo:[0,0,1] neg_hi:[0,0,1]
	v_pk_fma_f32 v[118:119], v[118:119], v[106:107], v[122:123] op_sel:[0,0,1] op_sel_hi:[1,0,0]
	s_delay_alu instid0(VALU_DEP_1) | instskip(SKIP_1) | instid1(VALU_DEP_1)
	v_mov_b32_e32 v133, v119
	v_pk_mul_f32 v[118:119], v[120:121], v[116:117] op_sel:[0,1]
	v_pk_fma_f32 v[122:123], v[120:121], v[106:107], v[118:119] op_sel:[0,0,1] op_sel_hi:[1,1,0] neg_lo:[0,0,1] neg_hi:[0,0,1]
	v_pk_fma_f32 v[118:119], v[120:121], v[106:107], v[118:119] op_sel:[0,0,1] op_sel_hi:[1,0,0]
	s_delay_alu instid0(VALU_DEP_1)
	v_mov_b32_e32 v123, v119
	ds_load_2addr_b64 v[118:121], v222 offset0:34 offset1:35
	v_pk_add_f32 v[146:147], v[146:147], v[132:133] neg_lo:[0,1] neg_hi:[0,1]
	v_pk_add_f32 v[142:143], v[142:143], v[122:123] neg_lo:[0,1] neg_hi:[0,1]
	s_wait_dscnt 0x0
	v_pk_mul_f32 v[122:123], v[118:119], v[116:117] op_sel:[0,1]
	s_delay_alu instid0(VALU_DEP_1) | instskip(SKIP_2) | instid1(VALU_DEP_2)
	v_pk_fma_f32 v[132:133], v[118:119], v[106:107], v[122:123] op_sel:[0,0,1] op_sel_hi:[1,1,0] neg_lo:[0,0,1] neg_hi:[0,0,1]
	v_pk_fma_f32 v[118:119], v[118:119], v[106:107], v[122:123] op_sel:[0,0,1] op_sel_hi:[1,0,0]
	v_dual_mul_f32 v122, v121, v117 :: v_dual_mov_b32 v118, v121
	v_dual_mov_b32 v133, v119 :: v_dual_mov_b32 v119, v120
	s_delay_alu instid0(VALU_DEP_2) | instskip(SKIP_1) | instid1(VALU_DEP_3)
	v_pk_fma_f32 v[122:123], v[120:121], v[124:125], v[122:123] op_sel_hi:[1,1,0] neg_lo:[0,0,1] neg_hi:[0,0,1]
	v_mul_f32_e32 v120, v121, v106
	v_pk_add_f32 v[144:145], v[144:145], v[132:133] neg_lo:[0,1] neg_hi:[0,1]
	s_delay_alu instid0(VALU_DEP_2) | instskip(NEXT) | instid1(VALU_DEP_1)
	v_pk_fma_f32 v[118:119], v[118:119], v[124:125], v[120:121] op_sel_hi:[1,1,0]
	v_mov_b32_e32 v123, v119
	ds_load_2addr_b64 v[118:121], v222 offset0:36 offset1:37
	v_pk_add_f32 v[140:141], v[140:141], v[122:123] neg_lo:[0,1] neg_hi:[0,1]
	s_wait_dscnt 0x0
	v_pk_mul_f32 v[122:123], v[118:119], v[116:117] op_sel:[0,1]
	s_delay_alu instid0(VALU_DEP_1) | instskip(SKIP_1) | instid1(VALU_DEP_1)
	v_pk_fma_f32 v[132:133], v[118:119], v[106:107], v[122:123] op_sel:[0,0,1] op_sel_hi:[1,1,0] neg_lo:[0,0,1] neg_hi:[0,0,1]
	v_pk_fma_f32 v[118:119], v[118:119], v[106:107], v[122:123] op_sel:[0,0,1] op_sel_hi:[1,0,0]
	v_mov_b32_e32 v133, v119
	v_pk_mul_f32 v[118:119], v[120:121], v[116:117] op_sel:[0,1]
	s_delay_alu instid0(VALU_DEP_1) | instskip(SKIP_1) | instid1(VALU_DEP_1)
	v_pk_fma_f32 v[122:123], v[120:121], v[106:107], v[118:119] op_sel:[0,0,1] op_sel_hi:[1,1,0] neg_lo:[0,0,1] neg_hi:[0,0,1]
	v_pk_fma_f32 v[118:119], v[120:121], v[106:107], v[118:119] op_sel:[0,0,1] op_sel_hi:[1,0,0]
	v_mov_b32_e32 v123, v119
	ds_load_2addr_b64 v[118:121], v222 offset0:38 offset1:39
	v_pk_add_f32 v[162:163], v[162:163], v[132:133] neg_lo:[0,1] neg_hi:[0,1]
	v_pk_add_f32 v[158:159], v[158:159], v[122:123] neg_lo:[0,1] neg_hi:[0,1]
	s_wait_dscnt 0x0
	v_pk_mul_f32 v[122:123], v[118:119], v[116:117] op_sel:[0,1]
	s_delay_alu instid0(VALU_DEP_1) | instskip(SKIP_1) | instid1(VALU_DEP_1)
	v_pk_fma_f32 v[132:133], v[118:119], v[106:107], v[122:123] op_sel:[0,0,1] op_sel_hi:[1,1,0] neg_lo:[0,0,1] neg_hi:[0,0,1]
	v_pk_fma_f32 v[118:119], v[118:119], v[106:107], v[122:123] op_sel:[0,0,1] op_sel_hi:[1,0,0]
	v_mov_b32_e32 v133, v119
	v_pk_mul_f32 v[118:119], v[120:121], v[116:117] op_sel:[0,1]
	s_delay_alu instid0(VALU_DEP_1) | instskip(SKIP_1) | instid1(VALU_DEP_1)
	v_pk_fma_f32 v[122:123], v[120:121], v[106:107], v[118:119] op_sel:[0,0,1] op_sel_hi:[1,1,0] neg_lo:[0,0,1] neg_hi:[0,0,1]
	v_pk_fma_f32 v[118:119], v[120:121], v[106:107], v[118:119] op_sel:[0,0,1] op_sel_hi:[1,0,0]
	v_mov_b32_e32 v123, v119
	ds_load_2addr_b64 v[118:121], v222 offset0:40 offset1:41
	v_pk_add_f32 v[160:161], v[160:161], v[132:133] neg_lo:[0,1] neg_hi:[0,1]
	v_pk_add_f32 v[156:157], v[156:157], v[122:123] neg_lo:[0,1] neg_hi:[0,1]
	s_wait_dscnt 0x0
	v_dual_mul_f32 v122, v119, v117 :: v_dual_mul_f32 v132, v119, v106
	s_delay_alu instid0(VALU_DEP_1) | instskip(NEXT) | instid1(VALU_DEP_2)
	v_pk_fma_f32 v[122:123], v[118:119], v[124:125], v[122:123] op_sel_hi:[1,1,0] neg_lo:[0,0,1] neg_hi:[0,0,1]
	v_pk_fma_f32 v[118:119], v[118:119], v[124:125], v[132:133] op_sel:[1,0,0] op_sel_hi:[0,1,0]
	s_delay_alu instid0(VALU_DEP_1) | instskip(SKIP_1) | instid1(VALU_DEP_2)
	v_mov_b32_e32 v123, v119
	v_pk_mul_f32 v[118:119], v[120:121], v[116:117] op_sel:[0,1]
	v_pk_add_f32 v[178:179], v[178:179], v[122:123] neg_lo:[0,1] neg_hi:[0,1]
	s_delay_alu instid0(VALU_DEP_2) | instskip(SKIP_1) | instid1(VALU_DEP_1)
	v_pk_fma_f32 v[122:123], v[120:121], v[106:107], v[118:119] op_sel:[0,0,1] op_sel_hi:[1,1,0] neg_lo:[0,0,1] neg_hi:[0,0,1]
	v_pk_fma_f32 v[118:119], v[120:121], v[106:107], v[118:119] op_sel:[0,0,1] op_sel_hi:[1,0,0]
	v_mov_b32_e32 v123, v119
	ds_load_2addr_b64 v[118:121], v222 offset0:42 offset1:43
	v_pk_add_f32 v[174:175], v[174:175], v[122:123] neg_lo:[0,1] neg_hi:[0,1]
	s_wait_dscnt 0x0
	v_pk_mul_f32 v[122:123], v[118:119], v[116:117] op_sel:[0,1]
	s_delay_alu instid0(VALU_DEP_1) | instskip(SKIP_1) | instid1(VALU_DEP_1)
	v_pk_fma_f32 v[132:133], v[118:119], v[106:107], v[122:123] op_sel:[0,0,1] op_sel_hi:[1,1,0] neg_lo:[0,0,1] neg_hi:[0,0,1]
	v_pk_fma_f32 v[118:119], v[118:119], v[106:107], v[122:123] op_sel:[0,0,1] op_sel_hi:[1,0,0]
	v_mov_b32_e32 v133, v119
	v_pk_mul_f32 v[118:119], v[120:121], v[116:117] op_sel:[0,1]
	s_delay_alu instid0(VALU_DEP_2) | instskip(NEXT) | instid1(VALU_DEP_2)
	v_pk_add_f32 v[176:177], v[176:177], v[132:133] neg_lo:[0,1] neg_hi:[0,1]
	v_pk_fma_f32 v[122:123], v[120:121], v[106:107], v[118:119] op_sel:[0,0,1] op_sel_hi:[1,1,0] neg_lo:[0,0,1] neg_hi:[0,0,1]
	v_pk_fma_f32 v[118:119], v[120:121], v[106:107], v[118:119] op_sel:[0,0,1] op_sel_hi:[1,0,0]
	s_delay_alu instid0(VALU_DEP_1) | instskip(SKIP_4) | instid1(VALU_DEP_1)
	v_mov_b32_e32 v123, v119
	ds_load_2addr_b64 v[118:121], v222 offset0:44 offset1:45
	v_pk_add_f32 v[172:173], v[172:173], v[122:123] neg_lo:[0,1] neg_hi:[0,1]
	s_wait_dscnt 0x0
	v_pk_mul_f32 v[122:123], v[118:119], v[116:117] op_sel:[0,1]
	v_pk_fma_f32 v[132:133], v[118:119], v[106:107], v[122:123] op_sel:[0,0,1] op_sel_hi:[1,1,0] neg_lo:[0,0,1] neg_hi:[0,0,1]
	v_pk_fma_f32 v[118:119], v[118:119], v[106:107], v[122:123] op_sel:[0,0,1] op_sel_hi:[1,0,0]
	v_dual_mul_f32 v122, v121, v117 :: v_dual_mov_b32 v118, v121
	s_delay_alu instid0(VALU_DEP_2) | instskip(NEXT) | instid1(VALU_DEP_2)
	v_dual_mov_b32 v133, v119 :: v_dual_mov_b32 v119, v120
	v_pk_fma_f32 v[122:123], v[120:121], v[124:125], v[122:123] op_sel_hi:[1,1,0] neg_lo:[0,0,1] neg_hi:[0,0,1]
	v_mul_f32_e32 v120, v121, v106
	s_delay_alu instid0(VALU_DEP_3) | instskip(NEXT) | instid1(VALU_DEP_2)
	v_pk_add_f32 v[194:195], v[194:195], v[132:133] neg_lo:[0,1] neg_hi:[0,1]
	v_pk_fma_f32 v[118:119], v[118:119], v[124:125], v[120:121] op_sel_hi:[1,1,0]
	s_delay_alu instid0(VALU_DEP_1) | instskip(SKIP_4) | instid1(VALU_DEP_1)
	v_mov_b32_e32 v123, v119
	ds_load_2addr_b64 v[118:121], v222 offset0:46 offset1:47
	v_pk_add_f32 v[190:191], v[190:191], v[122:123] neg_lo:[0,1] neg_hi:[0,1]
	s_wait_dscnt 0x0
	v_pk_mul_f32 v[122:123], v[118:119], v[116:117] op_sel:[0,1]
	v_pk_fma_f32 v[132:133], v[118:119], v[106:107], v[122:123] op_sel:[0,0,1] op_sel_hi:[1,1,0] neg_lo:[0,0,1] neg_hi:[0,0,1]
	v_pk_fma_f32 v[118:119], v[118:119], v[106:107], v[122:123] op_sel:[0,0,1] op_sel_hi:[1,0,0]
	s_delay_alu instid0(VALU_DEP_1) | instskip(SKIP_1) | instid1(VALU_DEP_1)
	v_mov_b32_e32 v133, v119
	v_pk_mul_f32 v[118:119], v[120:121], v[116:117] op_sel:[0,1]
	v_pk_fma_f32 v[122:123], v[120:121], v[106:107], v[118:119] op_sel:[0,0,1] op_sel_hi:[1,1,0] neg_lo:[0,0,1] neg_hi:[0,0,1]
	v_pk_fma_f32 v[118:119], v[120:121], v[106:107], v[118:119] op_sel:[0,0,1] op_sel_hi:[1,0,0]
	s_delay_alu instid0(VALU_DEP_1)
	v_mov_b32_e32 v123, v119
	ds_load_2addr_b64 v[118:121], v222 offset0:48 offset1:49
	v_pk_add_f32 v[192:193], v[192:193], v[132:133] neg_lo:[0,1] neg_hi:[0,1]
	v_pk_add_f32 v[188:189], v[188:189], v[122:123] neg_lo:[0,1] neg_hi:[0,1]
	s_wait_dscnt 0x0
	v_pk_mul_f32 v[122:123], v[118:119], v[116:117] op_sel:[0,1]
	s_delay_alu instid0(VALU_DEP_1) | instskip(SKIP_1) | instid1(VALU_DEP_1)
	v_pk_fma_f32 v[132:133], v[118:119], v[106:107], v[122:123] op_sel:[0,0,1] op_sel_hi:[1,1,0] neg_lo:[0,0,1] neg_hi:[0,0,1]
	v_pk_fma_f32 v[118:119], v[118:119], v[106:107], v[122:123] op_sel:[0,0,1] op_sel_hi:[1,0,0]
	v_mov_b32_e32 v133, v119
	v_pk_mul_f32 v[118:119], v[120:121], v[116:117] op_sel:[0,1]
	s_delay_alu instid0(VALU_DEP_1) | instskip(SKIP_1) | instid1(VALU_DEP_1)
	v_pk_fma_f32 v[122:123], v[120:121], v[106:107], v[118:119] op_sel:[0,0,1] op_sel_hi:[1,1,0] neg_lo:[0,0,1] neg_hi:[0,0,1]
	v_pk_fma_f32 v[118:119], v[120:121], v[106:107], v[118:119] op_sel:[0,0,1] op_sel_hi:[1,0,0]
	v_mov_b32_e32 v123, v119
	ds_load_2addr_b64 v[118:121], v222 offset0:50 offset1:51
	v_pk_add_f32 v[216:217], v[216:217], v[132:133] neg_lo:[0,1] neg_hi:[0,1]
	v_pk_add_f32 v[212:213], v[212:213], v[122:123] neg_lo:[0,1] neg_hi:[0,1]
	s_wait_dscnt 0x0
	v_dual_mul_f32 v122, v119, v117 :: v_dual_mul_f32 v132, v119, v106
	s_delay_alu instid0(VALU_DEP_1) | instskip(NEXT) | instid1(VALU_DEP_2)
	v_pk_fma_f32 v[122:123], v[118:119], v[124:125], v[122:123] op_sel_hi:[1,1,0] neg_lo:[0,0,1] neg_hi:[0,0,1]
	v_pk_fma_f32 v[118:119], v[118:119], v[124:125], v[132:133] op_sel:[1,0,0] op_sel_hi:[0,1,0]
	s_delay_alu instid0(VALU_DEP_1) | instskip(SKIP_1) | instid1(VALU_DEP_2)
	v_mov_b32_e32 v123, v119
	v_pk_mul_f32 v[118:119], v[120:121], v[116:117] op_sel:[0,1]
	v_pk_add_f32 v[214:215], v[214:215], v[122:123] neg_lo:[0,1] neg_hi:[0,1]
	s_delay_alu instid0(VALU_DEP_2) | instskip(SKIP_1) | instid1(VALU_DEP_1)
	v_pk_fma_f32 v[122:123], v[120:121], v[106:107], v[118:119] op_sel:[0,0,1] op_sel_hi:[1,1,0] neg_lo:[0,0,1] neg_hi:[0,0,1]
	v_pk_fma_f32 v[118:119], v[120:121], v[106:107], v[118:119] op_sel:[0,0,1] op_sel_hi:[1,0,0]
	v_mov_b32_e32 v123, v119
	ds_load_2addr_b64 v[118:121], v222 offset0:52 offset1:53
	v_pk_add_f32 v[210:211], v[210:211], v[122:123] neg_lo:[0,1] neg_hi:[0,1]
	s_wait_dscnt 0x0
	v_pk_mul_f32 v[122:123], v[118:119], v[116:117] op_sel:[0,1]
	s_delay_alu instid0(VALU_DEP_1) | instskip(SKIP_1) | instid1(VALU_DEP_1)
	v_pk_fma_f32 v[132:133], v[118:119], v[106:107], v[122:123] op_sel:[0,0,1] op_sel_hi:[1,1,0] neg_lo:[0,0,1] neg_hi:[0,0,1]
	v_pk_fma_f32 v[118:119], v[118:119], v[106:107], v[122:123] op_sel:[0,0,1] op_sel_hi:[1,0,0]
	v_mov_b32_e32 v133, v119
	v_pk_mul_f32 v[118:119], v[120:121], v[116:117] op_sel:[0,1]
	s_delay_alu instid0(VALU_DEP_2) | instskip(NEXT) | instid1(VALU_DEP_2)
	v_pk_add_f32 v[240:241], v[240:241], v[132:133] neg_lo:[0,1] neg_hi:[0,1]
	v_pk_fma_f32 v[122:123], v[120:121], v[106:107], v[118:119] op_sel:[0,0,1] op_sel_hi:[1,1,0] neg_lo:[0,0,1] neg_hi:[0,0,1]
	v_pk_fma_f32 v[118:119], v[120:121], v[106:107], v[118:119] op_sel:[0,0,1] op_sel_hi:[1,0,0]
	s_delay_alu instid0(VALU_DEP_1) | instskip(SKIP_4) | instid1(VALU_DEP_1)
	v_mov_b32_e32 v123, v119
	ds_load_2addr_b64 v[118:121], v222 offset0:54 offset1:55
	v_pk_add_f32 v[232:233], v[232:233], v[122:123] neg_lo:[0,1] neg_hi:[0,1]
	s_wait_dscnt 0x0
	v_pk_mul_f32 v[122:123], v[118:119], v[116:117] op_sel:[0,1]
	v_pk_fma_f32 v[132:133], v[118:119], v[106:107], v[122:123] op_sel:[0,0,1] op_sel_hi:[1,1,0] neg_lo:[0,0,1] neg_hi:[0,0,1]
	v_pk_fma_f32 v[118:119], v[118:119], v[106:107], v[122:123] op_sel:[0,0,1] op_sel_hi:[1,0,0]
	v_dual_mul_f32 v122, v121, v117 :: v_dual_mov_b32 v118, v121
	s_delay_alu instid0(VALU_DEP_2) | instskip(NEXT) | instid1(VALU_DEP_2)
	v_dual_mov_b32 v133, v119 :: v_dual_mov_b32 v119, v120
	v_pk_fma_f32 v[122:123], v[120:121], v[124:125], v[122:123] op_sel_hi:[1,1,0] neg_lo:[0,0,1] neg_hi:[0,0,1]
	v_mul_f32_e32 v120, v121, v106
	s_delay_alu instid0(VALU_DEP_3) | instskip(NEXT) | instid1(VALU_DEP_2)
	v_pk_add_f32 v[238:239], v[238:239], v[132:133] neg_lo:[0,1] neg_hi:[0,1]
	v_pk_fma_f32 v[118:119], v[118:119], v[124:125], v[120:121] op_sel_hi:[1,1,0]
	s_delay_alu instid0(VALU_DEP_1) | instskip(SKIP_4) | instid1(VALU_DEP_1)
	v_mov_b32_e32 v123, v119
	ds_load_2addr_b64 v[118:121], v222 offset0:56 offset1:57
	v_pk_add_f32 v[230:231], v[230:231], v[122:123] neg_lo:[0,1] neg_hi:[0,1]
	s_wait_dscnt 0x0
	v_pk_mul_f32 v[122:123], v[118:119], v[116:117] op_sel:[0,1]
	v_pk_fma_f32 v[132:133], v[118:119], v[106:107], v[122:123] op_sel:[0,0,1] op_sel_hi:[1,1,0] neg_lo:[0,0,1] neg_hi:[0,0,1]
	v_pk_fma_f32 v[118:119], v[118:119], v[106:107], v[122:123] op_sel:[0,0,1] op_sel_hi:[1,0,0]
	s_delay_alu instid0(VALU_DEP_1) | instskip(SKIP_1) | instid1(VALU_DEP_1)
	v_mov_b32_e32 v133, v119
	v_pk_mul_f32 v[118:119], v[120:121], v[116:117] op_sel:[0,1]
	v_pk_fma_f32 v[122:123], v[120:121], v[106:107], v[118:119] op_sel:[0,0,1] op_sel_hi:[1,1,0] neg_lo:[0,0,1] neg_hi:[0,0,1]
	v_pk_fma_f32 v[118:119], v[120:121], v[106:107], v[118:119] op_sel:[0,0,1] op_sel_hi:[1,0,0]
	s_delay_alu instid0(VALU_DEP_1)
	v_mov_b32_e32 v123, v119
	ds_load_2addr_b64 v[118:121], v222 offset0:58 offset1:59
	v_pk_add_f32 v[236:237], v[236:237], v[132:133] neg_lo:[0,1] neg_hi:[0,1]
	v_pk_add_f32 v[228:229], v[228:229], v[122:123] neg_lo:[0,1] neg_hi:[0,1]
	s_wait_dscnt 0x0
	v_pk_mul_f32 v[122:123], v[118:119], v[116:117] op_sel:[0,1]
	s_delay_alu instid0(VALU_DEP_1) | instskip(SKIP_1) | instid1(VALU_DEP_1)
	v_pk_fma_f32 v[132:133], v[118:119], v[106:107], v[122:123] op_sel:[0,0,1] op_sel_hi:[1,1,0] neg_lo:[0,0,1] neg_hi:[0,0,1]
	v_pk_fma_f32 v[118:119], v[118:119], v[106:107], v[122:123] op_sel:[0,0,1] op_sel_hi:[1,0,0]
	v_mov_b32_e32 v133, v119
	v_pk_mul_f32 v[118:119], v[120:121], v[116:117] op_sel:[0,1]
	s_delay_alu instid0(VALU_DEP_1) | instskip(SKIP_1) | instid1(VALU_DEP_1)
	v_pk_fma_f32 v[122:123], v[120:121], v[106:107], v[118:119] op_sel:[0,0,1] op_sel_hi:[1,1,0] neg_lo:[0,0,1] neg_hi:[0,0,1]
	v_pk_fma_f32 v[118:119], v[120:121], v[106:107], v[118:119] op_sel:[0,0,1] op_sel_hi:[1,0,0]
	v_mov_b32_e32 v123, v119
	ds_load_b64 v[118:119], v222 offset:480
	v_pk_add_f32 v[234:235], v[234:235], v[132:133] neg_lo:[0,1] neg_hi:[0,1]
	v_pk_add_f32 v[242:243], v[242:243], v[122:123] neg_lo:[0,1] neg_hi:[0,1]
	s_wait_dscnt 0x0
	v_pk_mul_f32 v[116:117], v[118:119], v[116:117] op_sel:[0,1]
	s_delay_alu instid0(VALU_DEP_1) | instskip(SKIP_1) | instid1(VALU_DEP_1)
	v_pk_fma_f32 v[120:121], v[118:119], v[106:107], v[116:117] op_sel:[0,0,1] op_sel_hi:[1,1,0] neg_lo:[0,0,1] neg_hi:[0,0,1]
	v_pk_fma_f32 v[106:107], v[118:119], v[106:107], v[116:117] op_sel:[0,0,1] op_sel_hi:[1,0,0]
	v_mov_b32_e32 v121, v107
	s_delay_alu instid0(VALU_DEP_1)
	v_pk_add_f32 v[244:245], v[244:245], v[120:121] neg_lo:[0,1] neg_hi:[0,1]
.LBB121_289:
	s_or_b32 exec_lo, exec_lo, s1
	s_delay_alu instid0(SALU_CYCLE_1)
	s_mov_b32 s2, exec_lo
	s_wait_dscnt 0x0
	s_barrier_signal -1
	s_barrier_wait -1
	v_cmpx_eq_u32_e32 32, v220
	s_cbranch_execz .LBB121_296
; %bb.290:
	ds_store_b64 v221, v[146:147]
	ds_store_2addr_b64 v222, v[142:143], v[144:145] offset0:33 offset1:34
	ds_store_2addr_b64 v222, v[140:141], v[162:163] offset0:35 offset1:36
	;; [unrolled: 1-line block ×14, first 2 shown]
	ds_load_b64 v[106:107], v221
	s_wait_dscnt 0x0
	v_cmp_neq_f32_e32 vcc_lo, 0, v106
	v_cmp_neq_f32_e64 s1, 0, v107
	s_or_b32 s1, vcc_lo, s1
	s_delay_alu instid0(SALU_CYCLE_1)
	s_and_b32 exec_lo, exec_lo, s1
	s_cbranch_execz .LBB121_296
; %bb.291:
	v_cmp_ngt_f32_e64 s1, |v106|, |v107|
                                        ; implicit-def: $vgpr116_vgpr117
	s_and_saveexec_b32 s4, s1
	s_delay_alu instid0(SALU_CYCLE_1)
	s_xor_b32 s1, exec_lo, s4
	s_cbranch_execz .LBB121_293
; %bb.292:
	v_div_scale_f32 v116, null, v107, v107, v106
	v_div_scale_f32 v119, vcc_lo, v106, v107, v106
	s_delay_alu instid0(VALU_DEP_2) | instskip(SKIP_1) | instid1(TRANS32_DEP_1)
	v_rcp_f32_e32 v117, v116
	v_nop
	v_fma_f32 v118, -v116, v117, 1.0
	s_delay_alu instid0(VALU_DEP_1) | instskip(NEXT) | instid1(VALU_DEP_1)
	v_fmac_f32_e32 v117, v118, v117
	v_mul_f32_e32 v118, v119, v117
	s_delay_alu instid0(VALU_DEP_1) | instskip(NEXT) | instid1(VALU_DEP_1)
	v_fma_f32 v120, -v116, v118, v119
	v_fmac_f32_e32 v118, v120, v117
	s_delay_alu instid0(VALU_DEP_1) | instskip(NEXT) | instid1(VALU_DEP_1)
	v_fma_f32 v116, -v116, v118, v119
	v_div_fmas_f32 v116, v116, v117, v118
	s_delay_alu instid0(VALU_DEP_1) | instskip(NEXT) | instid1(VALU_DEP_1)
	v_div_fixup_f32 v116, v116, v107, v106
	v_fmac_f32_e32 v107, v106, v116
	s_delay_alu instid0(VALU_DEP_1) | instskip(SKIP_1) | instid1(VALU_DEP_2)
	v_div_scale_f32 v106, null, v107, v107, 1.0
	v_div_scale_f32 v119, vcc_lo, 1.0, v107, 1.0
	v_rcp_f32_e32 v117, v106
	v_nop
	s_delay_alu instid0(TRANS32_DEP_1) | instskip(NEXT) | instid1(VALU_DEP_1)
	v_fma_f32 v118, -v106, v117, 1.0
	v_fmac_f32_e32 v117, v118, v117
	s_delay_alu instid0(VALU_DEP_1) | instskip(NEXT) | instid1(VALU_DEP_1)
	v_mul_f32_e32 v118, v119, v117
	v_fma_f32 v120, -v106, v118, v119
	s_delay_alu instid0(VALU_DEP_1) | instskip(NEXT) | instid1(VALU_DEP_1)
	v_fmac_f32_e32 v118, v120, v117
	v_fma_f32 v106, -v106, v118, v119
	s_delay_alu instid0(VALU_DEP_1) | instskip(NEXT) | instid1(VALU_DEP_1)
	v_div_fmas_f32 v106, v106, v117, v118
	v_div_fixup_f32 v106, v106, v107, 1.0
	s_delay_alu instid0(VALU_DEP_1)
	v_mul_f32_e32 v116, v116, v106
	v_xor_b32_e32 v117, 0x80000000, v106
                                        ; implicit-def: $vgpr106_vgpr107
.LBB121_293:
	s_and_not1_saveexec_b32 s1, s1
	s_cbranch_execz .LBB121_295
; %bb.294:
	v_div_scale_f32 v116, null, v106, v106, v107
	v_div_scale_f32 v119, vcc_lo, v107, v106, v107
	s_delay_alu instid0(VALU_DEP_2) | instskip(SKIP_1) | instid1(TRANS32_DEP_1)
	v_rcp_f32_e32 v117, v116
	v_nop
	v_fma_f32 v118, -v116, v117, 1.0
	s_delay_alu instid0(VALU_DEP_1) | instskip(NEXT) | instid1(VALU_DEP_1)
	v_fmac_f32_e32 v117, v118, v117
	v_mul_f32_e32 v118, v119, v117
	s_delay_alu instid0(VALU_DEP_1) | instskip(NEXT) | instid1(VALU_DEP_1)
	v_fma_f32 v120, -v116, v118, v119
	v_fmac_f32_e32 v118, v120, v117
	s_delay_alu instid0(VALU_DEP_1) | instskip(NEXT) | instid1(VALU_DEP_1)
	v_fma_f32 v116, -v116, v118, v119
	v_div_fmas_f32 v116, v116, v117, v118
	s_delay_alu instid0(VALU_DEP_1) | instskip(NEXT) | instid1(VALU_DEP_1)
	v_div_fixup_f32 v117, v116, v106, v107
	v_fmac_f32_e32 v106, v107, v117
	s_delay_alu instid0(VALU_DEP_1) | instskip(NEXT) | instid1(VALU_DEP_1)
	v_div_scale_f32 v107, null, v106, v106, 1.0
	v_rcp_f32_e32 v116, v107
	v_nop
	s_delay_alu instid0(TRANS32_DEP_1) | instskip(NEXT) | instid1(VALU_DEP_1)
	v_fma_f32 v118, -v107, v116, 1.0
	v_fmac_f32_e32 v116, v118, v116
	v_div_scale_f32 v118, vcc_lo, 1.0, v106, 1.0
	s_delay_alu instid0(VALU_DEP_1) | instskip(NEXT) | instid1(VALU_DEP_1)
	v_mul_f32_e32 v119, v118, v116
	v_fma_f32 v120, -v107, v119, v118
	s_delay_alu instid0(VALU_DEP_1) | instskip(NEXT) | instid1(VALU_DEP_1)
	v_fmac_f32_e32 v119, v120, v116
	v_fma_f32 v107, -v107, v119, v118
	s_delay_alu instid0(VALU_DEP_1) | instskip(NEXT) | instid1(VALU_DEP_1)
	v_div_fmas_f32 v107, v107, v116, v119
	v_div_fixup_f32 v116, v107, v106, 1.0
	s_delay_alu instid0(VALU_DEP_1)
	v_mul_f32_e64 v117, v117, -v116
.LBB121_295:
	s_or_b32 exec_lo, exec_lo, s1
	ds_store_b64 v221, v[116:117]
.LBB121_296:
	s_or_b32 exec_lo, exec_lo, s2
	s_wait_dscnt 0x0
	s_barrier_signal -1
	s_barrier_wait -1
	ds_load_b64 v[106:107], v221
	s_mov_b32 s1, exec_lo
	v_cmpx_lt_u32_e32 32, v220
	s_cbranch_execz .LBB121_298
; %bb.297:
	ds_load_2addr_b64 v[120:123], v222 offset0:33 offset1:34
	s_wait_dscnt 0x1
	v_pk_mul_f32 v[118:119], v[106:107], v[146:147] op_sel:[1,1] op_sel_hi:[0,1]
	s_delay_alu instid0(VALU_DEP_1) | instskip(SKIP_1) | instid1(VALU_DEP_1)
	v_pk_fma_f32 v[116:117], v[106:107], v[146:147], v[118:119] op_sel_hi:[1,0,1] neg_lo:[0,0,1] neg_hi:[0,0,1]
	v_pk_fma_f32 v[118:119], v[106:107], v[146:147], v[118:119] op_sel_hi:[1,0,1]
	v_dual_mov_b32 v146, v116 :: v_dual_mov_b32 v147, v119
	s_wait_dscnt 0x0
	s_delay_alu instid0(VALU_DEP_2) | instskip(NEXT) | instid1(VALU_DEP_1)
	v_pk_mul_f32 v[132:133], v[120:121], v[118:119] op_sel:[0,1]
	v_pk_fma_f32 v[134:135], v[120:121], v[116:117], v[132:133] op_sel:[0,0,1] op_sel_hi:[1,1,0] neg_lo:[0,0,1] neg_hi:[0,0,1]
	v_pk_fma_f32 v[120:121], v[120:121], v[116:117], v[132:133] op_sel:[0,0,1] op_sel_hi:[1,0,0]
	s_delay_alu instid0(VALU_DEP_1) | instskip(SKIP_1) | instid1(VALU_DEP_1)
	v_mov_b32_e32 v135, v121
	v_pk_mul_f32 v[120:121], v[122:123], v[118:119] op_sel:[0,1]
	v_pk_fma_f32 v[132:133], v[122:123], v[116:117], v[120:121] op_sel:[0,0,1] op_sel_hi:[1,1,0] neg_lo:[0,0,1] neg_hi:[0,0,1]
	v_pk_fma_f32 v[120:121], v[122:123], v[116:117], v[120:121] op_sel:[0,0,1] op_sel_hi:[1,0,0]
	s_delay_alu instid0(VALU_DEP_1)
	v_mov_b32_e32 v133, v121
	ds_load_2addr_b64 v[120:123], v222 offset0:35 offset1:36
	v_pk_add_f32 v[142:143], v[142:143], v[134:135] neg_lo:[0,1] neg_hi:[0,1]
	v_pk_add_f32 v[144:145], v[144:145], v[132:133] neg_lo:[0,1] neg_hi:[0,1]
	s_wait_dscnt 0x0
	v_pk_mul_f32 v[132:133], v[120:121], v[118:119] op_sel:[0,1]
	s_delay_alu instid0(VALU_DEP_1) | instskip(SKIP_2) | instid1(VALU_DEP_2)
	v_pk_fma_f32 v[134:135], v[120:121], v[116:117], v[132:133] op_sel:[0,0,1] op_sel_hi:[1,1,0] neg_lo:[0,0,1] neg_hi:[0,0,1]
	v_pk_fma_f32 v[120:121], v[120:121], v[116:117], v[132:133] op_sel:[0,0,1] op_sel_hi:[1,0,0]
	v_dual_mul_f32 v132, v123, v119 :: v_dual_mov_b32 v120, v123
	v_dual_mov_b32 v135, v121 :: v_dual_mov_b32 v121, v122
	s_delay_alu instid0(VALU_DEP_2) | instskip(SKIP_1) | instid1(VALU_DEP_3)
	v_pk_fma_f32 v[132:133], v[122:123], v[146:147], v[132:133] op_sel_hi:[1,1,0] neg_lo:[0,0,1] neg_hi:[0,0,1]
	v_mul_f32_e32 v122, v123, v116
	v_pk_add_f32 v[140:141], v[140:141], v[134:135] neg_lo:[0,1] neg_hi:[0,1]
	s_delay_alu instid0(VALU_DEP_2) | instskip(NEXT) | instid1(VALU_DEP_1)
	v_pk_fma_f32 v[120:121], v[120:121], v[146:147], v[122:123] op_sel_hi:[1,1,0]
	v_mov_b32_e32 v133, v121
	ds_load_2addr_b64 v[120:123], v222 offset0:37 offset1:38
	v_pk_add_f32 v[162:163], v[162:163], v[132:133] neg_lo:[0,1] neg_hi:[0,1]
	s_wait_dscnt 0x0
	v_pk_mul_f32 v[132:133], v[120:121], v[118:119] op_sel:[0,1]
	s_delay_alu instid0(VALU_DEP_1) | instskip(SKIP_1) | instid1(VALU_DEP_1)
	v_pk_fma_f32 v[134:135], v[120:121], v[116:117], v[132:133] op_sel:[0,0,1] op_sel_hi:[1,1,0] neg_lo:[0,0,1] neg_hi:[0,0,1]
	v_pk_fma_f32 v[120:121], v[120:121], v[116:117], v[132:133] op_sel:[0,0,1] op_sel_hi:[1,0,0]
	v_mov_b32_e32 v135, v121
	v_pk_mul_f32 v[120:121], v[122:123], v[118:119] op_sel:[0,1]
	s_delay_alu instid0(VALU_DEP_1) | instskip(SKIP_1) | instid1(VALU_DEP_1)
	v_pk_fma_f32 v[132:133], v[122:123], v[116:117], v[120:121] op_sel:[0,0,1] op_sel_hi:[1,1,0] neg_lo:[0,0,1] neg_hi:[0,0,1]
	v_pk_fma_f32 v[120:121], v[122:123], v[116:117], v[120:121] op_sel:[0,0,1] op_sel_hi:[1,0,0]
	v_mov_b32_e32 v133, v121
	ds_load_2addr_b64 v[120:123], v222 offset0:39 offset1:40
	v_pk_add_f32 v[158:159], v[158:159], v[134:135] neg_lo:[0,1] neg_hi:[0,1]
	v_pk_add_f32 v[160:161], v[160:161], v[132:133] neg_lo:[0,1] neg_hi:[0,1]
	s_wait_dscnt 0x0
	v_pk_mul_f32 v[132:133], v[120:121], v[118:119] op_sel:[0,1]
	s_delay_alu instid0(VALU_DEP_1) | instskip(SKIP_1) | instid1(VALU_DEP_1)
	v_pk_fma_f32 v[134:135], v[120:121], v[116:117], v[132:133] op_sel:[0,0,1] op_sel_hi:[1,1,0] neg_lo:[0,0,1] neg_hi:[0,0,1]
	v_pk_fma_f32 v[120:121], v[120:121], v[116:117], v[132:133] op_sel:[0,0,1] op_sel_hi:[1,0,0]
	v_mov_b32_e32 v135, v121
	v_pk_mul_f32 v[120:121], v[122:123], v[118:119] op_sel:[0,1]
	s_delay_alu instid0(VALU_DEP_1) | instskip(SKIP_1) | instid1(VALU_DEP_1)
	v_pk_fma_f32 v[132:133], v[122:123], v[116:117], v[120:121] op_sel:[0,0,1] op_sel_hi:[1,1,0] neg_lo:[0,0,1] neg_hi:[0,0,1]
	v_pk_fma_f32 v[120:121], v[122:123], v[116:117], v[120:121] op_sel:[0,0,1] op_sel_hi:[1,0,0]
	v_mov_b32_e32 v133, v121
	ds_load_2addr_b64 v[120:123], v222 offset0:41 offset1:42
	v_pk_add_f32 v[156:157], v[156:157], v[134:135] neg_lo:[0,1] neg_hi:[0,1]
	v_pk_add_f32 v[178:179], v[178:179], v[132:133] neg_lo:[0,1] neg_hi:[0,1]
	s_wait_dscnt 0x0
	v_dual_mul_f32 v132, v121, v119 :: v_dual_mul_f32 v134, v121, v116
	s_delay_alu instid0(VALU_DEP_1) | instskip(NEXT) | instid1(VALU_DEP_2)
	v_pk_fma_f32 v[132:133], v[120:121], v[146:147], v[132:133] op_sel_hi:[1,1,0] neg_lo:[0,0,1] neg_hi:[0,0,1]
	v_pk_fma_f32 v[120:121], v[120:121], v[146:147], v[134:135] op_sel:[1,0,0] op_sel_hi:[0,1,0]
	s_delay_alu instid0(VALU_DEP_1) | instskip(SKIP_1) | instid1(VALU_DEP_2)
	v_mov_b32_e32 v133, v121
	v_pk_mul_f32 v[120:121], v[122:123], v[118:119] op_sel:[0,1]
	v_pk_add_f32 v[174:175], v[174:175], v[132:133] neg_lo:[0,1] neg_hi:[0,1]
	s_delay_alu instid0(VALU_DEP_2) | instskip(SKIP_1) | instid1(VALU_DEP_1)
	v_pk_fma_f32 v[132:133], v[122:123], v[116:117], v[120:121] op_sel:[0,0,1] op_sel_hi:[1,1,0] neg_lo:[0,0,1] neg_hi:[0,0,1]
	v_pk_fma_f32 v[120:121], v[122:123], v[116:117], v[120:121] op_sel:[0,0,1] op_sel_hi:[1,0,0]
	v_mov_b32_e32 v133, v121
	ds_load_2addr_b64 v[120:123], v222 offset0:43 offset1:44
	v_pk_add_f32 v[176:177], v[176:177], v[132:133] neg_lo:[0,1] neg_hi:[0,1]
	s_wait_dscnt 0x0
	v_pk_mul_f32 v[132:133], v[120:121], v[118:119] op_sel:[0,1]
	s_delay_alu instid0(VALU_DEP_1) | instskip(SKIP_1) | instid1(VALU_DEP_1)
	v_pk_fma_f32 v[134:135], v[120:121], v[116:117], v[132:133] op_sel:[0,0,1] op_sel_hi:[1,1,0] neg_lo:[0,0,1] neg_hi:[0,0,1]
	v_pk_fma_f32 v[120:121], v[120:121], v[116:117], v[132:133] op_sel:[0,0,1] op_sel_hi:[1,0,0]
	v_mov_b32_e32 v135, v121
	v_pk_mul_f32 v[120:121], v[122:123], v[118:119] op_sel:[0,1]
	s_delay_alu instid0(VALU_DEP_2) | instskip(NEXT) | instid1(VALU_DEP_2)
	v_pk_add_f32 v[172:173], v[172:173], v[134:135] neg_lo:[0,1] neg_hi:[0,1]
	v_pk_fma_f32 v[132:133], v[122:123], v[116:117], v[120:121] op_sel:[0,0,1] op_sel_hi:[1,1,0] neg_lo:[0,0,1] neg_hi:[0,0,1]
	v_pk_fma_f32 v[120:121], v[122:123], v[116:117], v[120:121] op_sel:[0,0,1] op_sel_hi:[1,0,0]
	s_delay_alu instid0(VALU_DEP_1) | instskip(SKIP_4) | instid1(VALU_DEP_1)
	v_mov_b32_e32 v133, v121
	ds_load_2addr_b64 v[120:123], v222 offset0:45 offset1:46
	v_pk_add_f32 v[194:195], v[194:195], v[132:133] neg_lo:[0,1] neg_hi:[0,1]
	s_wait_dscnt 0x0
	v_pk_mul_f32 v[132:133], v[120:121], v[118:119] op_sel:[0,1]
	v_pk_fma_f32 v[134:135], v[120:121], v[116:117], v[132:133] op_sel:[0,0,1] op_sel_hi:[1,1,0] neg_lo:[0,0,1] neg_hi:[0,0,1]
	v_pk_fma_f32 v[120:121], v[120:121], v[116:117], v[132:133] op_sel:[0,0,1] op_sel_hi:[1,0,0]
	v_dual_mul_f32 v132, v123, v119 :: v_dual_mov_b32 v120, v123
	s_delay_alu instid0(VALU_DEP_2) | instskip(NEXT) | instid1(VALU_DEP_2)
	v_dual_mov_b32 v135, v121 :: v_dual_mov_b32 v121, v122
	v_pk_fma_f32 v[132:133], v[122:123], v[146:147], v[132:133] op_sel_hi:[1,1,0] neg_lo:[0,0,1] neg_hi:[0,0,1]
	v_mul_f32_e32 v122, v123, v116
	s_delay_alu instid0(VALU_DEP_3) | instskip(NEXT) | instid1(VALU_DEP_2)
	v_pk_add_f32 v[190:191], v[190:191], v[134:135] neg_lo:[0,1] neg_hi:[0,1]
	v_pk_fma_f32 v[120:121], v[120:121], v[146:147], v[122:123] op_sel_hi:[1,1,0]
	s_delay_alu instid0(VALU_DEP_1) | instskip(SKIP_4) | instid1(VALU_DEP_1)
	v_mov_b32_e32 v133, v121
	ds_load_2addr_b64 v[120:123], v222 offset0:47 offset1:48
	v_pk_add_f32 v[192:193], v[192:193], v[132:133] neg_lo:[0,1] neg_hi:[0,1]
	s_wait_dscnt 0x0
	v_pk_mul_f32 v[132:133], v[120:121], v[118:119] op_sel:[0,1]
	v_pk_fma_f32 v[134:135], v[120:121], v[116:117], v[132:133] op_sel:[0,0,1] op_sel_hi:[1,1,0] neg_lo:[0,0,1] neg_hi:[0,0,1]
	v_pk_fma_f32 v[120:121], v[120:121], v[116:117], v[132:133] op_sel:[0,0,1] op_sel_hi:[1,0,0]
	s_delay_alu instid0(VALU_DEP_1) | instskip(SKIP_1) | instid1(VALU_DEP_1)
	v_mov_b32_e32 v135, v121
	v_pk_mul_f32 v[120:121], v[122:123], v[118:119] op_sel:[0,1]
	v_pk_fma_f32 v[132:133], v[122:123], v[116:117], v[120:121] op_sel:[0,0,1] op_sel_hi:[1,1,0] neg_lo:[0,0,1] neg_hi:[0,0,1]
	v_pk_fma_f32 v[120:121], v[122:123], v[116:117], v[120:121] op_sel:[0,0,1] op_sel_hi:[1,0,0]
	s_delay_alu instid0(VALU_DEP_1)
	v_mov_b32_e32 v133, v121
	ds_load_2addr_b64 v[120:123], v222 offset0:49 offset1:50
	v_pk_add_f32 v[188:189], v[188:189], v[134:135] neg_lo:[0,1] neg_hi:[0,1]
	v_pk_add_f32 v[216:217], v[216:217], v[132:133] neg_lo:[0,1] neg_hi:[0,1]
	s_wait_dscnt 0x0
	v_pk_mul_f32 v[132:133], v[120:121], v[118:119] op_sel:[0,1]
	s_delay_alu instid0(VALU_DEP_1) | instskip(SKIP_1) | instid1(VALU_DEP_1)
	v_pk_fma_f32 v[134:135], v[120:121], v[116:117], v[132:133] op_sel:[0,0,1] op_sel_hi:[1,1,0] neg_lo:[0,0,1] neg_hi:[0,0,1]
	v_pk_fma_f32 v[120:121], v[120:121], v[116:117], v[132:133] op_sel:[0,0,1] op_sel_hi:[1,0,0]
	v_mov_b32_e32 v135, v121
	v_pk_mul_f32 v[120:121], v[122:123], v[118:119] op_sel:[0,1]
	s_delay_alu instid0(VALU_DEP_1) | instskip(SKIP_1) | instid1(VALU_DEP_1)
	v_pk_fma_f32 v[132:133], v[122:123], v[116:117], v[120:121] op_sel:[0,0,1] op_sel_hi:[1,1,0] neg_lo:[0,0,1] neg_hi:[0,0,1]
	v_pk_fma_f32 v[120:121], v[122:123], v[116:117], v[120:121] op_sel:[0,0,1] op_sel_hi:[1,0,0]
	v_mov_b32_e32 v133, v121
	ds_load_2addr_b64 v[120:123], v222 offset0:51 offset1:52
	v_pk_add_f32 v[212:213], v[212:213], v[134:135] neg_lo:[0,1] neg_hi:[0,1]
	v_pk_add_f32 v[214:215], v[214:215], v[132:133] neg_lo:[0,1] neg_hi:[0,1]
	s_wait_dscnt 0x0
	v_dual_mul_f32 v132, v121, v119 :: v_dual_mul_f32 v134, v121, v116
	s_delay_alu instid0(VALU_DEP_1) | instskip(NEXT) | instid1(VALU_DEP_2)
	v_pk_fma_f32 v[132:133], v[120:121], v[146:147], v[132:133] op_sel_hi:[1,1,0] neg_lo:[0,0,1] neg_hi:[0,0,1]
	v_pk_fma_f32 v[120:121], v[120:121], v[146:147], v[134:135] op_sel:[1,0,0] op_sel_hi:[0,1,0]
	s_delay_alu instid0(VALU_DEP_1) | instskip(SKIP_1) | instid1(VALU_DEP_2)
	v_mov_b32_e32 v133, v121
	v_pk_mul_f32 v[120:121], v[122:123], v[118:119] op_sel:[0,1]
	v_pk_add_f32 v[210:211], v[210:211], v[132:133] neg_lo:[0,1] neg_hi:[0,1]
	s_delay_alu instid0(VALU_DEP_2) | instskip(SKIP_1) | instid1(VALU_DEP_1)
	v_pk_fma_f32 v[132:133], v[122:123], v[116:117], v[120:121] op_sel:[0,0,1] op_sel_hi:[1,1,0] neg_lo:[0,0,1] neg_hi:[0,0,1]
	v_pk_fma_f32 v[120:121], v[122:123], v[116:117], v[120:121] op_sel:[0,0,1] op_sel_hi:[1,0,0]
	v_mov_b32_e32 v133, v121
	ds_load_2addr_b64 v[120:123], v222 offset0:53 offset1:54
	v_pk_add_f32 v[240:241], v[240:241], v[132:133] neg_lo:[0,1] neg_hi:[0,1]
	s_wait_dscnt 0x0
	v_pk_mul_f32 v[132:133], v[120:121], v[118:119] op_sel:[0,1]
	s_delay_alu instid0(VALU_DEP_1) | instskip(SKIP_1) | instid1(VALU_DEP_1)
	v_pk_fma_f32 v[134:135], v[120:121], v[116:117], v[132:133] op_sel:[0,0,1] op_sel_hi:[1,1,0] neg_lo:[0,0,1] neg_hi:[0,0,1]
	v_pk_fma_f32 v[120:121], v[120:121], v[116:117], v[132:133] op_sel:[0,0,1] op_sel_hi:[1,0,0]
	v_mov_b32_e32 v135, v121
	v_pk_mul_f32 v[120:121], v[122:123], v[118:119] op_sel:[0,1]
	s_delay_alu instid0(VALU_DEP_2) | instskip(NEXT) | instid1(VALU_DEP_2)
	v_pk_add_f32 v[232:233], v[232:233], v[134:135] neg_lo:[0,1] neg_hi:[0,1]
	v_pk_fma_f32 v[132:133], v[122:123], v[116:117], v[120:121] op_sel:[0,0,1] op_sel_hi:[1,1,0] neg_lo:[0,0,1] neg_hi:[0,0,1]
	v_pk_fma_f32 v[120:121], v[122:123], v[116:117], v[120:121] op_sel:[0,0,1] op_sel_hi:[1,0,0]
	s_delay_alu instid0(VALU_DEP_1) | instskip(SKIP_4) | instid1(VALU_DEP_1)
	v_mov_b32_e32 v133, v121
	ds_load_2addr_b64 v[120:123], v222 offset0:55 offset1:56
	v_pk_add_f32 v[238:239], v[238:239], v[132:133] neg_lo:[0,1] neg_hi:[0,1]
	s_wait_dscnt 0x0
	v_pk_mul_f32 v[132:133], v[120:121], v[118:119] op_sel:[0,1]
	v_pk_fma_f32 v[134:135], v[120:121], v[116:117], v[132:133] op_sel:[0,0,1] op_sel_hi:[1,1,0] neg_lo:[0,0,1] neg_hi:[0,0,1]
	v_pk_fma_f32 v[120:121], v[120:121], v[116:117], v[132:133] op_sel:[0,0,1] op_sel_hi:[1,0,0]
	v_dual_mul_f32 v132, v123, v119 :: v_dual_mov_b32 v120, v123
	s_delay_alu instid0(VALU_DEP_2) | instskip(NEXT) | instid1(VALU_DEP_2)
	v_dual_mov_b32 v135, v121 :: v_dual_mov_b32 v121, v122
	v_pk_fma_f32 v[132:133], v[122:123], v[146:147], v[132:133] op_sel_hi:[1,1,0] neg_lo:[0,0,1] neg_hi:[0,0,1]
	v_mul_f32_e32 v122, v123, v116
	s_delay_alu instid0(VALU_DEP_3) | instskip(NEXT) | instid1(VALU_DEP_2)
	v_pk_add_f32 v[230:231], v[230:231], v[134:135] neg_lo:[0,1] neg_hi:[0,1]
	v_pk_fma_f32 v[120:121], v[120:121], v[146:147], v[122:123] op_sel_hi:[1,1,0]
	s_delay_alu instid0(VALU_DEP_1) | instskip(SKIP_4) | instid1(VALU_DEP_1)
	v_mov_b32_e32 v133, v121
	ds_load_2addr_b64 v[120:123], v222 offset0:57 offset1:58
	v_pk_add_f32 v[236:237], v[236:237], v[132:133] neg_lo:[0,1] neg_hi:[0,1]
	s_wait_dscnt 0x0
	v_pk_mul_f32 v[132:133], v[120:121], v[118:119] op_sel:[0,1]
	v_pk_fma_f32 v[134:135], v[120:121], v[116:117], v[132:133] op_sel:[0,0,1] op_sel_hi:[1,1,0] neg_lo:[0,0,1] neg_hi:[0,0,1]
	v_pk_fma_f32 v[120:121], v[120:121], v[116:117], v[132:133] op_sel:[0,0,1] op_sel_hi:[1,0,0]
	s_delay_alu instid0(VALU_DEP_1) | instskip(SKIP_1) | instid1(VALU_DEP_1)
	v_mov_b32_e32 v135, v121
	v_pk_mul_f32 v[120:121], v[122:123], v[118:119] op_sel:[0,1]
	v_pk_fma_f32 v[132:133], v[122:123], v[116:117], v[120:121] op_sel:[0,0,1] op_sel_hi:[1,1,0] neg_lo:[0,0,1] neg_hi:[0,0,1]
	v_pk_fma_f32 v[120:121], v[122:123], v[116:117], v[120:121] op_sel:[0,0,1] op_sel_hi:[1,0,0]
	s_delay_alu instid0(VALU_DEP_1)
	v_mov_b32_e32 v133, v121
	ds_load_2addr_b64 v[120:123], v222 offset0:59 offset1:60
	v_pk_add_f32 v[228:229], v[228:229], v[134:135] neg_lo:[0,1] neg_hi:[0,1]
	v_pk_add_f32 v[234:235], v[234:235], v[132:133] neg_lo:[0,1] neg_hi:[0,1]
	s_wait_dscnt 0x0
	v_pk_mul_f32 v[132:133], v[120:121], v[118:119] op_sel:[0,1]
	v_pk_mul_f32 v[118:119], v[122:123], v[118:119] op_sel:[0,1]
	s_delay_alu instid0(VALU_DEP_2) | instskip(SKIP_1) | instid1(VALU_DEP_1)
	v_pk_fma_f32 v[134:135], v[120:121], v[116:117], v[132:133] op_sel:[0,0,1] op_sel_hi:[1,1,0] neg_lo:[0,0,1] neg_hi:[0,0,1]
	v_pk_fma_f32 v[120:121], v[120:121], v[116:117], v[132:133] op_sel:[0,0,1] op_sel_hi:[1,0,0]
	v_mov_b32_e32 v135, v121
	s_delay_alu instid0(VALU_DEP_4) | instskip(SKIP_1) | instid1(VALU_DEP_1)
	v_pk_fma_f32 v[120:121], v[122:123], v[116:117], v[118:119] op_sel:[0,0,1] op_sel_hi:[1,1,0] neg_lo:[0,0,1] neg_hi:[0,0,1]
	v_pk_fma_f32 v[116:117], v[122:123], v[116:117], v[118:119] op_sel:[0,0,1] op_sel_hi:[1,0,0]
	v_mov_b32_e32 v121, v117
	s_delay_alu instid0(VALU_DEP_4) | instskip(NEXT) | instid1(VALU_DEP_2)
	v_pk_add_f32 v[242:243], v[242:243], v[134:135] neg_lo:[0,1] neg_hi:[0,1]
	v_pk_add_f32 v[244:245], v[244:245], v[120:121] neg_lo:[0,1] neg_hi:[0,1]
.LBB121_298:
	s_or_b32 exec_lo, exec_lo, s1
	s_delay_alu instid0(SALU_CYCLE_1)
	s_mov_b32 s2, exec_lo
	s_wait_dscnt 0x0
	s_barrier_signal -1
	s_barrier_wait -1
	v_cmpx_eq_u32_e32 33, v220
	s_cbranch_execz .LBB121_305
; %bb.299:
	v_dual_mov_b32 v116, v144 :: v_dual_mov_b32 v117, v145
	v_dual_mov_b32 v118, v140 :: v_dual_mov_b32 v119, v141
	ds_store_b64 v221, v[142:143]
	ds_store_2addr_b64 v222, v[116:117], v[118:119] offset0:34 offset1:35
	v_dual_mov_b32 v116, v162 :: v_dual_mov_b32 v117, v163
	v_dual_mov_b32 v118, v158 :: v_dual_mov_b32 v119, v159
	ds_store_2addr_b64 v222, v[116:117], v[118:119] offset0:36 offset1:37
	v_dual_mov_b32 v116, v160 :: v_dual_mov_b32 v117, v161
	v_dual_mov_b32 v118, v156 :: v_dual_mov_b32 v119, v157
	;; [unrolled: 3-line block ×12, first 2 shown]
	ds_store_2addr_b64 v222, v[116:117], v[118:119] offset0:58 offset1:59
	ds_store_b64 v222, v[244:245] offset:480
	ds_load_b64 v[116:117], v221
	s_wait_dscnt 0x0
	v_cmp_neq_f32_e32 vcc_lo, 0, v116
	v_cmp_neq_f32_e64 s1, 0, v117
	s_or_b32 s1, vcc_lo, s1
	s_delay_alu instid0(SALU_CYCLE_1)
	s_and_b32 exec_lo, exec_lo, s1
	s_cbranch_execz .LBB121_305
; %bb.300:
	v_cmp_ngt_f32_e64 s1, |v116|, |v117|
                                        ; implicit-def: $vgpr118_vgpr119
	s_and_saveexec_b32 s4, s1
	s_delay_alu instid0(SALU_CYCLE_1)
	s_xor_b32 s1, exec_lo, s4
	s_cbranch_execz .LBB121_302
; %bb.301:
	v_div_scale_f32 v118, null, v117, v117, v116
	v_div_scale_f32 v121, vcc_lo, v116, v117, v116
	s_delay_alu instid0(VALU_DEP_2) | instskip(SKIP_1) | instid1(TRANS32_DEP_1)
	v_rcp_f32_e32 v119, v118
	v_nop
	v_fma_f32 v120, -v118, v119, 1.0
	s_delay_alu instid0(VALU_DEP_1) | instskip(NEXT) | instid1(VALU_DEP_1)
	v_fmac_f32_e32 v119, v120, v119
	v_mul_f32_e32 v120, v121, v119
	s_delay_alu instid0(VALU_DEP_1) | instskip(NEXT) | instid1(VALU_DEP_1)
	v_fma_f32 v122, -v118, v120, v121
	v_fmac_f32_e32 v120, v122, v119
	s_delay_alu instid0(VALU_DEP_1) | instskip(NEXT) | instid1(VALU_DEP_1)
	v_fma_f32 v118, -v118, v120, v121
	v_div_fmas_f32 v118, v118, v119, v120
	s_delay_alu instid0(VALU_DEP_1) | instskip(NEXT) | instid1(VALU_DEP_1)
	v_div_fixup_f32 v118, v118, v117, v116
	v_fmac_f32_e32 v117, v116, v118
	s_delay_alu instid0(VALU_DEP_1) | instskip(SKIP_1) | instid1(VALU_DEP_2)
	v_div_scale_f32 v116, null, v117, v117, 1.0
	v_div_scale_f32 v121, vcc_lo, 1.0, v117, 1.0
	v_rcp_f32_e32 v119, v116
	v_nop
	s_delay_alu instid0(TRANS32_DEP_1) | instskip(NEXT) | instid1(VALU_DEP_1)
	v_fma_f32 v120, -v116, v119, 1.0
	v_fmac_f32_e32 v119, v120, v119
	s_delay_alu instid0(VALU_DEP_1) | instskip(NEXT) | instid1(VALU_DEP_1)
	v_mul_f32_e32 v120, v121, v119
	v_fma_f32 v122, -v116, v120, v121
	s_delay_alu instid0(VALU_DEP_1) | instskip(NEXT) | instid1(VALU_DEP_1)
	v_fmac_f32_e32 v120, v122, v119
	v_fma_f32 v116, -v116, v120, v121
	s_delay_alu instid0(VALU_DEP_1) | instskip(NEXT) | instid1(VALU_DEP_1)
	v_div_fmas_f32 v116, v116, v119, v120
	v_div_fixup_f32 v116, v116, v117, 1.0
	s_delay_alu instid0(VALU_DEP_1)
	v_mul_f32_e32 v118, v118, v116
	v_xor_b32_e32 v119, 0x80000000, v116
                                        ; implicit-def: $vgpr116_vgpr117
.LBB121_302:
	s_and_not1_saveexec_b32 s1, s1
	s_cbranch_execz .LBB121_304
; %bb.303:
	v_div_scale_f32 v118, null, v116, v116, v117
	v_div_scale_f32 v121, vcc_lo, v117, v116, v117
	s_delay_alu instid0(VALU_DEP_2) | instskip(SKIP_1) | instid1(TRANS32_DEP_1)
	v_rcp_f32_e32 v119, v118
	v_nop
	v_fma_f32 v120, -v118, v119, 1.0
	s_delay_alu instid0(VALU_DEP_1) | instskip(NEXT) | instid1(VALU_DEP_1)
	v_fmac_f32_e32 v119, v120, v119
	v_mul_f32_e32 v120, v121, v119
	s_delay_alu instid0(VALU_DEP_1) | instskip(NEXT) | instid1(VALU_DEP_1)
	v_fma_f32 v122, -v118, v120, v121
	v_fmac_f32_e32 v120, v122, v119
	s_delay_alu instid0(VALU_DEP_1) | instskip(NEXT) | instid1(VALU_DEP_1)
	v_fma_f32 v118, -v118, v120, v121
	v_div_fmas_f32 v118, v118, v119, v120
	s_delay_alu instid0(VALU_DEP_1) | instskip(NEXT) | instid1(VALU_DEP_1)
	v_div_fixup_f32 v119, v118, v116, v117
	v_fmac_f32_e32 v116, v117, v119
	s_delay_alu instid0(VALU_DEP_1) | instskip(NEXT) | instid1(VALU_DEP_1)
	v_div_scale_f32 v117, null, v116, v116, 1.0
	v_rcp_f32_e32 v118, v117
	v_nop
	s_delay_alu instid0(TRANS32_DEP_1) | instskip(NEXT) | instid1(VALU_DEP_1)
	v_fma_f32 v120, -v117, v118, 1.0
	v_fmac_f32_e32 v118, v120, v118
	v_div_scale_f32 v120, vcc_lo, 1.0, v116, 1.0
	s_delay_alu instid0(VALU_DEP_1) | instskip(NEXT) | instid1(VALU_DEP_1)
	v_mul_f32_e32 v121, v120, v118
	v_fma_f32 v122, -v117, v121, v120
	s_delay_alu instid0(VALU_DEP_1) | instskip(NEXT) | instid1(VALU_DEP_1)
	v_fmac_f32_e32 v121, v122, v118
	v_fma_f32 v117, -v117, v121, v120
	s_delay_alu instid0(VALU_DEP_1) | instskip(NEXT) | instid1(VALU_DEP_1)
	v_div_fmas_f32 v117, v117, v118, v121
	v_div_fixup_f32 v118, v117, v116, 1.0
	s_delay_alu instid0(VALU_DEP_1)
	v_mul_f32_e64 v119, v119, -v118
.LBB121_304:
	s_or_b32 exec_lo, exec_lo, s1
	ds_store_b64 v221, v[118:119]
.LBB121_305:
	s_or_b32 exec_lo, exec_lo, s2
	s_wait_dscnt 0x0
	s_barrier_signal -1
	s_barrier_wait -1
	ds_load_b64 v[116:117], v221
	s_mov_b32 s1, exec_lo
	v_cmpx_lt_u32_e32 33, v220
	s_cbranch_execz .LBB121_307
; %bb.306:
	ds_load_2addr_b64 v[132:135], v222 offset0:34 offset1:35
	s_wait_dscnt 0x1
	v_pk_mul_f32 v[120:121], v[116:117], v[142:143] op_sel:[1,1] op_sel_hi:[0,1]
	s_delay_alu instid0(VALU_DEP_1) | instskip(SKIP_1) | instid1(VALU_DEP_1)
	v_pk_fma_f32 v[118:119], v[116:117], v[142:143], v[120:121] op_sel_hi:[1,0,1] neg_lo:[0,0,1] neg_hi:[0,0,1]
	v_pk_fma_f32 v[120:121], v[116:117], v[142:143], v[120:121] op_sel_hi:[1,0,1]
	v_dual_mov_b32 v142, v118 :: v_dual_mov_b32 v143, v121
	s_wait_dscnt 0x0
	s_delay_alu instid0(VALU_DEP_2) | instskip(NEXT) | instid1(VALU_DEP_1)
	v_pk_mul_f32 v[122:123], v[132:133], v[120:121] op_sel:[0,1]
	v_pk_fma_f32 v[136:137], v[132:133], v[118:119], v[122:123] op_sel:[0,0,1] op_sel_hi:[1,1,0] neg_lo:[0,0,1] neg_hi:[0,0,1]
	v_pk_fma_f32 v[122:123], v[132:133], v[118:119], v[122:123] op_sel:[0,0,1] op_sel_hi:[1,0,0]
	s_delay_alu instid0(VALU_DEP_1) | instskip(SKIP_1) | instid1(VALU_DEP_1)
	v_mov_b32_e32 v137, v123
	v_pk_mul_f32 v[122:123], v[134:135], v[120:121] op_sel:[0,1]
	v_pk_fma_f32 v[132:133], v[134:135], v[118:119], v[122:123] op_sel:[0,0,1] op_sel_hi:[1,1,0] neg_lo:[0,0,1] neg_hi:[0,0,1]
	v_pk_fma_f32 v[122:123], v[134:135], v[118:119], v[122:123] op_sel:[0,0,1] op_sel_hi:[1,0,0]
	s_delay_alu instid0(VALU_DEP_1) | instskip(SKIP_1) | instid1(VALU_DEP_2)
	v_mov_b32_e32 v133, v123
	v_pk_add_f32 v[144:145], v[144:145], v[136:137] neg_lo:[0,1] neg_hi:[0,1]
	v_pk_add_f32 v[140:141], v[140:141], v[132:133] neg_lo:[0,1] neg_hi:[0,1]
	ds_load_2addr_b64 v[132:135], v222 offset0:36 offset1:37
	s_wait_dscnt 0x0
	v_pk_mul_f32 v[122:123], v[132:133], v[120:121] op_sel:[0,1]
	s_delay_alu instid0(VALU_DEP_1) | instskip(SKIP_2) | instid1(VALU_DEP_2)
	v_pk_fma_f32 v[136:137], v[132:133], v[118:119], v[122:123] op_sel:[0,0,1] op_sel_hi:[1,1,0] neg_lo:[0,0,1] neg_hi:[0,0,1]
	v_pk_fma_f32 v[122:123], v[132:133], v[118:119], v[122:123] op_sel:[0,0,1] op_sel_hi:[1,0,0]
	v_dual_mul_f32 v132, v135, v121 :: v_dual_mov_b32 v122, v135
	v_dual_mov_b32 v137, v123 :: v_dual_mov_b32 v123, v134
	s_delay_alu instid0(VALU_DEP_2) | instskip(SKIP_1) | instid1(VALU_DEP_3)
	v_pk_fma_f32 v[132:133], v[134:135], v[142:143], v[132:133] op_sel_hi:[1,1,0] neg_lo:[0,0,1] neg_hi:[0,0,1]
	v_mul_f32_e32 v134, v135, v118
	v_pk_add_f32 v[162:163], v[162:163], v[136:137] neg_lo:[0,1] neg_hi:[0,1]
	s_delay_alu instid0(VALU_DEP_2) | instskip(NEXT) | instid1(VALU_DEP_1)
	v_pk_fma_f32 v[122:123], v[122:123], v[142:143], v[134:135] op_sel_hi:[1,1,0]
	v_mov_b32_e32 v133, v123
	s_delay_alu instid0(VALU_DEP_1) | instskip(SKIP_3) | instid1(VALU_DEP_1)
	v_pk_add_f32 v[158:159], v[158:159], v[132:133] neg_lo:[0,1] neg_hi:[0,1]
	ds_load_2addr_b64 v[132:135], v222 offset0:38 offset1:39
	s_wait_dscnt 0x0
	v_pk_mul_f32 v[122:123], v[132:133], v[120:121] op_sel:[0,1]
	v_pk_fma_f32 v[136:137], v[132:133], v[118:119], v[122:123] op_sel:[0,0,1] op_sel_hi:[1,1,0] neg_lo:[0,0,1] neg_hi:[0,0,1]
	v_pk_fma_f32 v[122:123], v[132:133], v[118:119], v[122:123] op_sel:[0,0,1] op_sel_hi:[1,0,0]
	s_delay_alu instid0(VALU_DEP_1) | instskip(SKIP_1) | instid1(VALU_DEP_2)
	v_mov_b32_e32 v137, v123
	v_pk_mul_f32 v[122:123], v[134:135], v[120:121] op_sel:[0,1]
	v_pk_add_f32 v[160:161], v[160:161], v[136:137] neg_lo:[0,1] neg_hi:[0,1]
	s_delay_alu instid0(VALU_DEP_2) | instskip(SKIP_1) | instid1(VALU_DEP_1)
	v_pk_fma_f32 v[132:133], v[134:135], v[118:119], v[122:123] op_sel:[0,0,1] op_sel_hi:[1,1,0] neg_lo:[0,0,1] neg_hi:[0,0,1]
	v_pk_fma_f32 v[122:123], v[134:135], v[118:119], v[122:123] op_sel:[0,0,1] op_sel_hi:[1,0,0]
	v_mov_b32_e32 v133, v123
	s_delay_alu instid0(VALU_DEP_1) | instskip(SKIP_3) | instid1(VALU_DEP_1)
	v_pk_add_f32 v[156:157], v[156:157], v[132:133] neg_lo:[0,1] neg_hi:[0,1]
	ds_load_2addr_b64 v[132:135], v222 offset0:40 offset1:41
	s_wait_dscnt 0x0
	v_pk_mul_f32 v[122:123], v[132:133], v[120:121] op_sel:[0,1]
	v_pk_fma_f32 v[136:137], v[132:133], v[118:119], v[122:123] op_sel:[0,0,1] op_sel_hi:[1,1,0] neg_lo:[0,0,1] neg_hi:[0,0,1]
	v_pk_fma_f32 v[122:123], v[132:133], v[118:119], v[122:123] op_sel:[0,0,1] op_sel_hi:[1,0,0]
	s_delay_alu instid0(VALU_DEP_1) | instskip(SKIP_1) | instid1(VALU_DEP_2)
	v_mov_b32_e32 v137, v123
	v_pk_mul_f32 v[122:123], v[134:135], v[120:121] op_sel:[0,1]
	v_pk_add_f32 v[178:179], v[178:179], v[136:137] neg_lo:[0,1] neg_hi:[0,1]
	s_delay_alu instid0(VALU_DEP_2) | instskip(SKIP_1) | instid1(VALU_DEP_1)
	v_pk_fma_f32 v[132:133], v[134:135], v[118:119], v[122:123] op_sel:[0,0,1] op_sel_hi:[1,1,0] neg_lo:[0,0,1] neg_hi:[0,0,1]
	v_pk_fma_f32 v[122:123], v[134:135], v[118:119], v[122:123] op_sel:[0,0,1] op_sel_hi:[1,0,0]
	v_mov_b32_e32 v133, v123
	s_delay_alu instid0(VALU_DEP_1) | instskip(SKIP_3) | instid1(VALU_DEP_1)
	v_pk_add_f32 v[174:175], v[174:175], v[132:133] neg_lo:[0,1] neg_hi:[0,1]
	ds_load_2addr_b64 v[132:135], v222 offset0:42 offset1:43
	s_wait_dscnt 0x0
	v_dual_mul_f32 v122, v133, v121 :: v_dual_mul_f32 v136, v133, v118
	v_pk_fma_f32 v[122:123], v[132:133], v[142:143], v[122:123] op_sel_hi:[1,1,0] neg_lo:[0,0,1] neg_hi:[0,0,1]
	s_delay_alu instid0(VALU_DEP_2) | instskip(NEXT) | instid1(VALU_DEP_1)
	v_pk_fma_f32 v[132:133], v[132:133], v[142:143], v[136:137] op_sel:[1,0,0] op_sel_hi:[0,1,0]
	v_mov_b32_e32 v123, v133
	s_delay_alu instid0(VALU_DEP_1) | instskip(SKIP_1) | instid1(VALU_DEP_1)
	v_pk_add_f32 v[176:177], v[176:177], v[122:123] neg_lo:[0,1] neg_hi:[0,1]
	v_pk_mul_f32 v[122:123], v[134:135], v[120:121] op_sel:[0,1]
	v_pk_fma_f32 v[132:133], v[134:135], v[118:119], v[122:123] op_sel:[0,0,1] op_sel_hi:[1,1,0] neg_lo:[0,0,1] neg_hi:[0,0,1]
	v_pk_fma_f32 v[122:123], v[134:135], v[118:119], v[122:123] op_sel:[0,0,1] op_sel_hi:[1,0,0]
	s_delay_alu instid0(VALU_DEP_1) | instskip(NEXT) | instid1(VALU_DEP_1)
	v_mov_b32_e32 v133, v123
	v_pk_add_f32 v[172:173], v[172:173], v[132:133] neg_lo:[0,1] neg_hi:[0,1]
	ds_load_2addr_b64 v[132:135], v222 offset0:44 offset1:45
	s_wait_dscnt 0x0
	v_pk_mul_f32 v[122:123], v[132:133], v[120:121] op_sel:[0,1]
	s_delay_alu instid0(VALU_DEP_1) | instskip(SKIP_1) | instid1(VALU_DEP_1)
	v_pk_fma_f32 v[136:137], v[132:133], v[118:119], v[122:123] op_sel:[0,0,1] op_sel_hi:[1,1,0] neg_lo:[0,0,1] neg_hi:[0,0,1]
	v_pk_fma_f32 v[122:123], v[132:133], v[118:119], v[122:123] op_sel:[0,0,1] op_sel_hi:[1,0,0]
	v_mov_b32_e32 v137, v123
	v_pk_mul_f32 v[122:123], v[134:135], v[120:121] op_sel:[0,1]
	s_delay_alu instid0(VALU_DEP_2) | instskip(NEXT) | instid1(VALU_DEP_2)
	v_pk_add_f32 v[194:195], v[194:195], v[136:137] neg_lo:[0,1] neg_hi:[0,1]
	v_pk_fma_f32 v[132:133], v[134:135], v[118:119], v[122:123] op_sel:[0,0,1] op_sel_hi:[1,1,0] neg_lo:[0,0,1] neg_hi:[0,0,1]
	v_pk_fma_f32 v[122:123], v[134:135], v[118:119], v[122:123] op_sel:[0,0,1] op_sel_hi:[1,0,0]
	s_delay_alu instid0(VALU_DEP_1) | instskip(NEXT) | instid1(VALU_DEP_1)
	v_mov_b32_e32 v133, v123
	v_pk_add_f32 v[190:191], v[190:191], v[132:133] neg_lo:[0,1] neg_hi:[0,1]
	ds_load_2addr_b64 v[132:135], v222 offset0:46 offset1:47
	s_wait_dscnt 0x0
	v_pk_mul_f32 v[122:123], v[132:133], v[120:121] op_sel:[0,1]
	s_delay_alu instid0(VALU_DEP_1) | instskip(SKIP_2) | instid1(VALU_DEP_2)
	v_pk_fma_f32 v[136:137], v[132:133], v[118:119], v[122:123] op_sel:[0,0,1] op_sel_hi:[1,1,0] neg_lo:[0,0,1] neg_hi:[0,0,1]
	v_pk_fma_f32 v[122:123], v[132:133], v[118:119], v[122:123] op_sel:[0,0,1] op_sel_hi:[1,0,0]
	v_dual_mul_f32 v132, v135, v121 :: v_dual_mov_b32 v122, v135
	v_dual_mov_b32 v137, v123 :: v_dual_mov_b32 v123, v134
	s_delay_alu instid0(VALU_DEP_2) | instskip(SKIP_1) | instid1(VALU_DEP_3)
	v_pk_fma_f32 v[132:133], v[134:135], v[142:143], v[132:133] op_sel_hi:[1,1,0] neg_lo:[0,0,1] neg_hi:[0,0,1]
	v_mul_f32_e32 v134, v135, v118
	v_pk_add_f32 v[192:193], v[192:193], v[136:137] neg_lo:[0,1] neg_hi:[0,1]
	s_delay_alu instid0(VALU_DEP_2) | instskip(NEXT) | instid1(VALU_DEP_1)
	v_pk_fma_f32 v[122:123], v[122:123], v[142:143], v[134:135] op_sel_hi:[1,1,0]
	v_mov_b32_e32 v133, v123
	s_delay_alu instid0(VALU_DEP_1) | instskip(SKIP_3) | instid1(VALU_DEP_1)
	v_pk_add_f32 v[188:189], v[188:189], v[132:133] neg_lo:[0,1] neg_hi:[0,1]
	ds_load_2addr_b64 v[132:135], v222 offset0:48 offset1:49
	s_wait_dscnt 0x0
	v_pk_mul_f32 v[122:123], v[132:133], v[120:121] op_sel:[0,1]
	v_pk_fma_f32 v[136:137], v[132:133], v[118:119], v[122:123] op_sel:[0,0,1] op_sel_hi:[1,1,0] neg_lo:[0,0,1] neg_hi:[0,0,1]
	v_pk_fma_f32 v[122:123], v[132:133], v[118:119], v[122:123] op_sel:[0,0,1] op_sel_hi:[1,0,0]
	s_delay_alu instid0(VALU_DEP_1) | instskip(SKIP_1) | instid1(VALU_DEP_2)
	v_mov_b32_e32 v137, v123
	v_pk_mul_f32 v[122:123], v[134:135], v[120:121] op_sel:[0,1]
	v_pk_add_f32 v[216:217], v[216:217], v[136:137] neg_lo:[0,1] neg_hi:[0,1]
	s_delay_alu instid0(VALU_DEP_2) | instskip(SKIP_1) | instid1(VALU_DEP_1)
	v_pk_fma_f32 v[132:133], v[134:135], v[118:119], v[122:123] op_sel:[0,0,1] op_sel_hi:[1,1,0] neg_lo:[0,0,1] neg_hi:[0,0,1]
	v_pk_fma_f32 v[122:123], v[134:135], v[118:119], v[122:123] op_sel:[0,0,1] op_sel_hi:[1,0,0]
	v_mov_b32_e32 v133, v123
	s_delay_alu instid0(VALU_DEP_1) | instskip(SKIP_3) | instid1(VALU_DEP_1)
	v_pk_add_f32 v[212:213], v[212:213], v[132:133] neg_lo:[0,1] neg_hi:[0,1]
	ds_load_2addr_b64 v[132:135], v222 offset0:50 offset1:51
	s_wait_dscnt 0x0
	v_pk_mul_f32 v[122:123], v[132:133], v[120:121] op_sel:[0,1]
	v_pk_fma_f32 v[136:137], v[132:133], v[118:119], v[122:123] op_sel:[0,0,1] op_sel_hi:[1,1,0] neg_lo:[0,0,1] neg_hi:[0,0,1]
	v_pk_fma_f32 v[122:123], v[132:133], v[118:119], v[122:123] op_sel:[0,0,1] op_sel_hi:[1,0,0]
	s_delay_alu instid0(VALU_DEP_1) | instskip(SKIP_1) | instid1(VALU_DEP_2)
	v_mov_b32_e32 v137, v123
	v_pk_mul_f32 v[122:123], v[134:135], v[120:121] op_sel:[0,1]
	v_pk_add_f32 v[214:215], v[214:215], v[136:137] neg_lo:[0,1] neg_hi:[0,1]
	s_delay_alu instid0(VALU_DEP_2) | instskip(SKIP_1) | instid1(VALU_DEP_1)
	v_pk_fma_f32 v[132:133], v[134:135], v[118:119], v[122:123] op_sel:[0,0,1] op_sel_hi:[1,1,0] neg_lo:[0,0,1] neg_hi:[0,0,1]
	v_pk_fma_f32 v[122:123], v[134:135], v[118:119], v[122:123] op_sel:[0,0,1] op_sel_hi:[1,0,0]
	v_mov_b32_e32 v133, v123
	s_delay_alu instid0(VALU_DEP_1) | instskip(SKIP_3) | instid1(VALU_DEP_1)
	v_pk_add_f32 v[210:211], v[210:211], v[132:133] neg_lo:[0,1] neg_hi:[0,1]
	ds_load_2addr_b64 v[132:135], v222 offset0:52 offset1:53
	s_wait_dscnt 0x0
	v_dual_mul_f32 v122, v133, v121 :: v_dual_mul_f32 v136, v133, v118
	v_pk_fma_f32 v[122:123], v[132:133], v[142:143], v[122:123] op_sel_hi:[1,1,0] neg_lo:[0,0,1] neg_hi:[0,0,1]
	s_delay_alu instid0(VALU_DEP_2) | instskip(NEXT) | instid1(VALU_DEP_1)
	v_pk_fma_f32 v[132:133], v[132:133], v[142:143], v[136:137] op_sel:[1,0,0] op_sel_hi:[0,1,0]
	v_mov_b32_e32 v123, v133
	s_delay_alu instid0(VALU_DEP_1) | instskip(SKIP_1) | instid1(VALU_DEP_1)
	v_pk_add_f32 v[240:241], v[240:241], v[122:123] neg_lo:[0,1] neg_hi:[0,1]
	v_pk_mul_f32 v[122:123], v[134:135], v[120:121] op_sel:[0,1]
	v_pk_fma_f32 v[132:133], v[134:135], v[118:119], v[122:123] op_sel:[0,0,1] op_sel_hi:[1,1,0] neg_lo:[0,0,1] neg_hi:[0,0,1]
	v_pk_fma_f32 v[122:123], v[134:135], v[118:119], v[122:123] op_sel:[0,0,1] op_sel_hi:[1,0,0]
	s_delay_alu instid0(VALU_DEP_1) | instskip(NEXT) | instid1(VALU_DEP_1)
	v_mov_b32_e32 v133, v123
	v_pk_add_f32 v[232:233], v[232:233], v[132:133] neg_lo:[0,1] neg_hi:[0,1]
	ds_load_2addr_b64 v[132:135], v222 offset0:54 offset1:55
	s_wait_dscnt 0x0
	v_pk_mul_f32 v[122:123], v[132:133], v[120:121] op_sel:[0,1]
	s_delay_alu instid0(VALU_DEP_1) | instskip(SKIP_1) | instid1(VALU_DEP_1)
	v_pk_fma_f32 v[136:137], v[132:133], v[118:119], v[122:123] op_sel:[0,0,1] op_sel_hi:[1,1,0] neg_lo:[0,0,1] neg_hi:[0,0,1]
	v_pk_fma_f32 v[122:123], v[132:133], v[118:119], v[122:123] op_sel:[0,0,1] op_sel_hi:[1,0,0]
	v_mov_b32_e32 v137, v123
	v_pk_mul_f32 v[122:123], v[134:135], v[120:121] op_sel:[0,1]
	s_delay_alu instid0(VALU_DEP_2) | instskip(NEXT) | instid1(VALU_DEP_2)
	v_pk_add_f32 v[238:239], v[238:239], v[136:137] neg_lo:[0,1] neg_hi:[0,1]
	v_pk_fma_f32 v[132:133], v[134:135], v[118:119], v[122:123] op_sel:[0,0,1] op_sel_hi:[1,1,0] neg_lo:[0,0,1] neg_hi:[0,0,1]
	v_pk_fma_f32 v[122:123], v[134:135], v[118:119], v[122:123] op_sel:[0,0,1] op_sel_hi:[1,0,0]
	s_delay_alu instid0(VALU_DEP_1) | instskip(NEXT) | instid1(VALU_DEP_1)
	v_mov_b32_e32 v133, v123
	v_pk_add_f32 v[230:231], v[230:231], v[132:133] neg_lo:[0,1] neg_hi:[0,1]
	ds_load_2addr_b64 v[132:135], v222 offset0:56 offset1:57
	s_wait_dscnt 0x0
	v_pk_mul_f32 v[122:123], v[132:133], v[120:121] op_sel:[0,1]
	s_delay_alu instid0(VALU_DEP_1) | instskip(SKIP_2) | instid1(VALU_DEP_2)
	v_pk_fma_f32 v[136:137], v[132:133], v[118:119], v[122:123] op_sel:[0,0,1] op_sel_hi:[1,1,0] neg_lo:[0,0,1] neg_hi:[0,0,1]
	v_pk_fma_f32 v[122:123], v[132:133], v[118:119], v[122:123] op_sel:[0,0,1] op_sel_hi:[1,0,0]
	v_dual_mul_f32 v132, v135, v121 :: v_dual_mov_b32 v122, v135
	v_dual_mov_b32 v137, v123 :: v_dual_mov_b32 v123, v134
	s_delay_alu instid0(VALU_DEP_2) | instskip(SKIP_1) | instid1(VALU_DEP_3)
	v_pk_fma_f32 v[132:133], v[134:135], v[142:143], v[132:133] op_sel_hi:[1,1,0] neg_lo:[0,0,1] neg_hi:[0,0,1]
	v_mul_f32_e32 v134, v135, v118
	v_pk_add_f32 v[236:237], v[236:237], v[136:137] neg_lo:[0,1] neg_hi:[0,1]
	s_delay_alu instid0(VALU_DEP_2) | instskip(NEXT) | instid1(VALU_DEP_1)
	v_pk_fma_f32 v[122:123], v[122:123], v[142:143], v[134:135] op_sel_hi:[1,1,0]
	v_mov_b32_e32 v133, v123
	s_delay_alu instid0(VALU_DEP_1) | instskip(SKIP_3) | instid1(VALU_DEP_1)
	v_pk_add_f32 v[228:229], v[228:229], v[132:133] neg_lo:[0,1] neg_hi:[0,1]
	ds_load_2addr_b64 v[132:135], v222 offset0:58 offset1:59
	s_wait_dscnt 0x0
	v_pk_mul_f32 v[122:123], v[132:133], v[120:121] op_sel:[0,1]
	v_pk_fma_f32 v[136:137], v[132:133], v[118:119], v[122:123] op_sel:[0,0,1] op_sel_hi:[1,1,0] neg_lo:[0,0,1] neg_hi:[0,0,1]
	v_pk_fma_f32 v[122:123], v[132:133], v[118:119], v[122:123] op_sel:[0,0,1] op_sel_hi:[1,0,0]
	s_delay_alu instid0(VALU_DEP_1) | instskip(SKIP_1) | instid1(VALU_DEP_2)
	v_mov_b32_e32 v137, v123
	v_pk_mul_f32 v[122:123], v[134:135], v[120:121] op_sel:[0,1]
	v_pk_add_f32 v[234:235], v[234:235], v[136:137] neg_lo:[0,1] neg_hi:[0,1]
	s_delay_alu instid0(VALU_DEP_2) | instskip(SKIP_1) | instid1(VALU_DEP_1)
	v_pk_fma_f32 v[132:133], v[134:135], v[118:119], v[122:123] op_sel:[0,0,1] op_sel_hi:[1,1,0] neg_lo:[0,0,1] neg_hi:[0,0,1]
	v_pk_fma_f32 v[122:123], v[134:135], v[118:119], v[122:123] op_sel:[0,0,1] op_sel_hi:[1,0,0]
	v_mov_b32_e32 v133, v123
	ds_load_b64 v[122:123], v222 offset:480
	v_pk_add_f32 v[242:243], v[242:243], v[132:133] neg_lo:[0,1] neg_hi:[0,1]
	s_wait_dscnt 0x0
	v_pk_mul_f32 v[120:121], v[122:123], v[120:121] op_sel:[0,1]
	s_delay_alu instid0(VALU_DEP_1) | instskip(SKIP_1) | instid1(VALU_DEP_1)
	v_pk_fma_f32 v[132:133], v[122:123], v[118:119], v[120:121] op_sel:[0,0,1] op_sel_hi:[1,1,0] neg_lo:[0,0,1] neg_hi:[0,0,1]
	v_pk_fma_f32 v[118:119], v[122:123], v[118:119], v[120:121] op_sel:[0,0,1] op_sel_hi:[1,0,0]
	v_mov_b32_e32 v133, v119
	s_delay_alu instid0(VALU_DEP_1)
	v_pk_add_f32 v[244:245], v[244:245], v[132:133] neg_lo:[0,1] neg_hi:[0,1]
.LBB121_307:
	s_or_b32 exec_lo, exec_lo, s1
	s_delay_alu instid0(SALU_CYCLE_1)
	s_mov_b32 s2, exec_lo
	s_wait_dscnt 0x0
	s_barrier_signal -1
	s_barrier_wait -1
	v_cmpx_eq_u32_e32 34, v220
	s_cbranch_execz .LBB121_314
; %bb.308:
	ds_store_b64 v221, v[144:145]
	ds_store_2addr_b64 v222, v[140:141], v[162:163] offset0:35 offset1:36
	ds_store_2addr_b64 v222, v[158:159], v[160:161] offset0:37 offset1:38
	;; [unrolled: 1-line block ×13, first 2 shown]
	ds_load_b64 v[118:119], v221
	s_wait_dscnt 0x0
	v_cmp_neq_f32_e32 vcc_lo, 0, v118
	v_cmp_neq_f32_e64 s1, 0, v119
	s_or_b32 s1, vcc_lo, s1
	s_delay_alu instid0(SALU_CYCLE_1)
	s_and_b32 exec_lo, exec_lo, s1
	s_cbranch_execz .LBB121_314
; %bb.309:
	v_cmp_ngt_f32_e64 s1, |v118|, |v119|
                                        ; implicit-def: $vgpr120_vgpr121
	s_and_saveexec_b32 s4, s1
	s_delay_alu instid0(SALU_CYCLE_1)
	s_xor_b32 s1, exec_lo, s4
	s_cbranch_execz .LBB121_311
; %bb.310:
	v_div_scale_f32 v120, null, v119, v119, v118
	v_div_scale_f32 v123, vcc_lo, v118, v119, v118
	s_delay_alu instid0(VALU_DEP_2) | instskip(SKIP_1) | instid1(TRANS32_DEP_1)
	v_rcp_f32_e32 v121, v120
	v_nop
	v_fma_f32 v122, -v120, v121, 1.0
	s_delay_alu instid0(VALU_DEP_1) | instskip(NEXT) | instid1(VALU_DEP_1)
	v_fmac_f32_e32 v121, v122, v121
	v_mul_f32_e32 v122, v123, v121
	s_delay_alu instid0(VALU_DEP_1) | instskip(NEXT) | instid1(VALU_DEP_1)
	v_fma_f32 v132, -v120, v122, v123
	v_fmac_f32_e32 v122, v132, v121
	s_delay_alu instid0(VALU_DEP_1) | instskip(NEXT) | instid1(VALU_DEP_1)
	v_fma_f32 v120, -v120, v122, v123
	v_div_fmas_f32 v120, v120, v121, v122
	s_delay_alu instid0(VALU_DEP_1) | instskip(NEXT) | instid1(VALU_DEP_1)
	v_div_fixup_f32 v120, v120, v119, v118
	v_fmac_f32_e32 v119, v118, v120
	s_delay_alu instid0(VALU_DEP_1) | instskip(SKIP_1) | instid1(VALU_DEP_2)
	v_div_scale_f32 v118, null, v119, v119, 1.0
	v_div_scale_f32 v123, vcc_lo, 1.0, v119, 1.0
	v_rcp_f32_e32 v121, v118
	v_nop
	s_delay_alu instid0(TRANS32_DEP_1) | instskip(NEXT) | instid1(VALU_DEP_1)
	v_fma_f32 v122, -v118, v121, 1.0
	v_fmac_f32_e32 v121, v122, v121
	s_delay_alu instid0(VALU_DEP_1) | instskip(NEXT) | instid1(VALU_DEP_1)
	v_mul_f32_e32 v122, v123, v121
	v_fma_f32 v132, -v118, v122, v123
	s_delay_alu instid0(VALU_DEP_1) | instskip(NEXT) | instid1(VALU_DEP_1)
	v_fmac_f32_e32 v122, v132, v121
	v_fma_f32 v118, -v118, v122, v123
	s_delay_alu instid0(VALU_DEP_1) | instskip(NEXT) | instid1(VALU_DEP_1)
	v_div_fmas_f32 v118, v118, v121, v122
	v_div_fixup_f32 v118, v118, v119, 1.0
	s_delay_alu instid0(VALU_DEP_1)
	v_mul_f32_e32 v120, v120, v118
	v_xor_b32_e32 v121, 0x80000000, v118
                                        ; implicit-def: $vgpr118_vgpr119
.LBB121_311:
	s_and_not1_saveexec_b32 s1, s1
	s_cbranch_execz .LBB121_313
; %bb.312:
	v_div_scale_f32 v120, null, v118, v118, v119
	v_div_scale_f32 v123, vcc_lo, v119, v118, v119
	s_delay_alu instid0(VALU_DEP_2) | instskip(SKIP_1) | instid1(TRANS32_DEP_1)
	v_rcp_f32_e32 v121, v120
	v_nop
	v_fma_f32 v122, -v120, v121, 1.0
	s_delay_alu instid0(VALU_DEP_1) | instskip(NEXT) | instid1(VALU_DEP_1)
	v_fmac_f32_e32 v121, v122, v121
	v_mul_f32_e32 v122, v123, v121
	s_delay_alu instid0(VALU_DEP_1) | instskip(NEXT) | instid1(VALU_DEP_1)
	v_fma_f32 v132, -v120, v122, v123
	v_fmac_f32_e32 v122, v132, v121
	s_delay_alu instid0(VALU_DEP_1) | instskip(NEXT) | instid1(VALU_DEP_1)
	v_fma_f32 v120, -v120, v122, v123
	v_div_fmas_f32 v120, v120, v121, v122
	s_delay_alu instid0(VALU_DEP_1) | instskip(NEXT) | instid1(VALU_DEP_1)
	v_div_fixup_f32 v121, v120, v118, v119
	v_fmac_f32_e32 v118, v119, v121
	s_delay_alu instid0(VALU_DEP_1) | instskip(NEXT) | instid1(VALU_DEP_1)
	v_div_scale_f32 v119, null, v118, v118, 1.0
	v_rcp_f32_e32 v120, v119
	v_nop
	s_delay_alu instid0(TRANS32_DEP_1) | instskip(NEXT) | instid1(VALU_DEP_1)
	v_fma_f32 v122, -v119, v120, 1.0
	v_fmac_f32_e32 v120, v122, v120
	v_div_scale_f32 v122, vcc_lo, 1.0, v118, 1.0
	s_delay_alu instid0(VALU_DEP_1) | instskip(NEXT) | instid1(VALU_DEP_1)
	v_mul_f32_e32 v123, v122, v120
	v_fma_f32 v132, -v119, v123, v122
	s_delay_alu instid0(VALU_DEP_1) | instskip(NEXT) | instid1(VALU_DEP_1)
	v_fmac_f32_e32 v123, v132, v120
	v_fma_f32 v119, -v119, v123, v122
	s_delay_alu instid0(VALU_DEP_1) | instskip(NEXT) | instid1(VALU_DEP_1)
	v_div_fmas_f32 v119, v119, v120, v123
	v_div_fixup_f32 v120, v119, v118, 1.0
	s_delay_alu instid0(VALU_DEP_1)
	v_mul_f32_e64 v121, v121, -v120
.LBB121_313:
	s_or_b32 exec_lo, exec_lo, s1
	ds_store_b64 v221, v[120:121]
.LBB121_314:
	s_or_b32 exec_lo, exec_lo, s2
	s_wait_dscnt 0x0
	s_barrier_signal -1
	s_barrier_wait -1
	ds_load_b64 v[118:119], v221
	s_mov_b32 s1, exec_lo
	v_cmpx_lt_u32_e32 34, v220
	s_cbranch_execz .LBB121_316
; %bb.315:
	ds_load_2addr_b64 v[132:135], v222 offset0:35 offset1:36
	s_wait_dscnt 0x1
	v_pk_mul_f32 v[122:123], v[118:119], v[144:145] op_sel:[1,1] op_sel_hi:[0,1]
	s_delay_alu instid0(VALU_DEP_1) | instskip(SKIP_1) | instid1(VALU_DEP_1)
	v_pk_fma_f32 v[120:121], v[118:119], v[144:145], v[122:123] op_sel_hi:[1,0,1] neg_lo:[0,0,1] neg_hi:[0,0,1]
	v_pk_fma_f32 v[122:123], v[118:119], v[144:145], v[122:123] op_sel_hi:[1,0,1]
	v_dual_mov_b32 v144, v120 :: v_dual_mov_b32 v145, v123
	s_wait_dscnt 0x0
	s_delay_alu instid0(VALU_DEP_2) | instskip(NEXT) | instid1(VALU_DEP_1)
	v_pk_mul_f32 v[136:137], v[132:133], v[122:123] op_sel:[0,1]
	v_pk_fma_f32 v[138:139], v[132:133], v[120:121], v[136:137] op_sel:[0,0,1] op_sel_hi:[1,1,0] neg_lo:[0,0,1] neg_hi:[0,0,1]
	v_pk_fma_f32 v[132:133], v[132:133], v[120:121], v[136:137] op_sel:[0,0,1] op_sel_hi:[1,0,0]
	s_delay_alu instid0(VALU_DEP_1) | instskip(SKIP_1) | instid1(VALU_DEP_1)
	v_mov_b32_e32 v139, v133
	v_pk_mul_f32 v[132:133], v[134:135], v[122:123] op_sel:[0,1]
	v_pk_fma_f32 v[136:137], v[134:135], v[120:121], v[132:133] op_sel:[0,0,1] op_sel_hi:[1,1,0] neg_lo:[0,0,1] neg_hi:[0,0,1]
	v_pk_fma_f32 v[132:133], v[134:135], v[120:121], v[132:133] op_sel:[0,0,1] op_sel_hi:[1,0,0]
	s_delay_alu instid0(VALU_DEP_1)
	v_mov_b32_e32 v137, v133
	ds_load_2addr_b64 v[132:135], v222 offset0:37 offset1:38
	v_pk_add_f32 v[140:141], v[140:141], v[138:139] neg_lo:[0,1] neg_hi:[0,1]
	v_pk_add_f32 v[162:163], v[162:163], v[136:137] neg_lo:[0,1] neg_hi:[0,1]
	s_wait_dscnt 0x0
	v_pk_mul_f32 v[136:137], v[132:133], v[122:123] op_sel:[0,1]
	s_delay_alu instid0(VALU_DEP_1) | instskip(SKIP_2) | instid1(VALU_DEP_2)
	v_pk_fma_f32 v[138:139], v[132:133], v[120:121], v[136:137] op_sel:[0,0,1] op_sel_hi:[1,1,0] neg_lo:[0,0,1] neg_hi:[0,0,1]
	v_pk_fma_f32 v[132:133], v[132:133], v[120:121], v[136:137] op_sel:[0,0,1] op_sel_hi:[1,0,0]
	v_dual_mul_f32 v136, v135, v123 :: v_dual_mov_b32 v132, v135
	v_dual_mov_b32 v139, v133 :: v_dual_mov_b32 v133, v134
	s_delay_alu instid0(VALU_DEP_2) | instskip(SKIP_1) | instid1(VALU_DEP_3)
	v_pk_fma_f32 v[136:137], v[134:135], v[144:145], v[136:137] op_sel_hi:[1,1,0] neg_lo:[0,0,1] neg_hi:[0,0,1]
	v_mul_f32_e32 v134, v135, v120
	v_pk_add_f32 v[158:159], v[158:159], v[138:139] neg_lo:[0,1] neg_hi:[0,1]
	s_delay_alu instid0(VALU_DEP_2) | instskip(NEXT) | instid1(VALU_DEP_1)
	v_pk_fma_f32 v[132:133], v[132:133], v[144:145], v[134:135] op_sel_hi:[1,1,0]
	v_mov_b32_e32 v137, v133
	ds_load_2addr_b64 v[132:135], v222 offset0:39 offset1:40
	v_pk_add_f32 v[160:161], v[160:161], v[136:137] neg_lo:[0,1] neg_hi:[0,1]
	s_wait_dscnt 0x0
	v_pk_mul_f32 v[136:137], v[132:133], v[122:123] op_sel:[0,1]
	s_delay_alu instid0(VALU_DEP_1) | instskip(SKIP_1) | instid1(VALU_DEP_1)
	v_pk_fma_f32 v[138:139], v[132:133], v[120:121], v[136:137] op_sel:[0,0,1] op_sel_hi:[1,1,0] neg_lo:[0,0,1] neg_hi:[0,0,1]
	v_pk_fma_f32 v[132:133], v[132:133], v[120:121], v[136:137] op_sel:[0,0,1] op_sel_hi:[1,0,0]
	v_mov_b32_e32 v139, v133
	v_pk_mul_f32 v[132:133], v[134:135], v[122:123] op_sel:[0,1]
	s_delay_alu instid0(VALU_DEP_1) | instskip(SKIP_1) | instid1(VALU_DEP_1)
	v_pk_fma_f32 v[136:137], v[134:135], v[120:121], v[132:133] op_sel:[0,0,1] op_sel_hi:[1,1,0] neg_lo:[0,0,1] neg_hi:[0,0,1]
	v_pk_fma_f32 v[132:133], v[134:135], v[120:121], v[132:133] op_sel:[0,0,1] op_sel_hi:[1,0,0]
	v_mov_b32_e32 v137, v133
	ds_load_2addr_b64 v[132:135], v222 offset0:41 offset1:42
	v_pk_add_f32 v[156:157], v[156:157], v[138:139] neg_lo:[0,1] neg_hi:[0,1]
	v_pk_add_f32 v[178:179], v[178:179], v[136:137] neg_lo:[0,1] neg_hi:[0,1]
	s_wait_dscnt 0x0
	v_pk_mul_f32 v[136:137], v[132:133], v[122:123] op_sel:[0,1]
	s_delay_alu instid0(VALU_DEP_1) | instskip(SKIP_1) | instid1(VALU_DEP_1)
	v_pk_fma_f32 v[138:139], v[132:133], v[120:121], v[136:137] op_sel:[0,0,1] op_sel_hi:[1,1,0] neg_lo:[0,0,1] neg_hi:[0,0,1]
	v_pk_fma_f32 v[132:133], v[132:133], v[120:121], v[136:137] op_sel:[0,0,1] op_sel_hi:[1,0,0]
	v_mov_b32_e32 v139, v133
	v_pk_mul_f32 v[132:133], v[134:135], v[122:123] op_sel:[0,1]
	s_delay_alu instid0(VALU_DEP_1) | instskip(SKIP_1) | instid1(VALU_DEP_1)
	v_pk_fma_f32 v[136:137], v[134:135], v[120:121], v[132:133] op_sel:[0,0,1] op_sel_hi:[1,1,0] neg_lo:[0,0,1] neg_hi:[0,0,1]
	v_pk_fma_f32 v[132:133], v[134:135], v[120:121], v[132:133] op_sel:[0,0,1] op_sel_hi:[1,0,0]
	v_mov_b32_e32 v137, v133
	ds_load_2addr_b64 v[132:135], v222 offset0:43 offset1:44
	v_pk_add_f32 v[174:175], v[174:175], v[138:139] neg_lo:[0,1] neg_hi:[0,1]
	v_pk_add_f32 v[176:177], v[176:177], v[136:137] neg_lo:[0,1] neg_hi:[0,1]
	s_wait_dscnt 0x0
	v_dual_mul_f32 v136, v133, v123 :: v_dual_mul_f32 v138, v133, v120
	s_delay_alu instid0(VALU_DEP_1) | instskip(NEXT) | instid1(VALU_DEP_2)
	v_pk_fma_f32 v[136:137], v[132:133], v[144:145], v[136:137] op_sel_hi:[1,1,0] neg_lo:[0,0,1] neg_hi:[0,0,1]
	v_pk_fma_f32 v[132:133], v[132:133], v[144:145], v[138:139] op_sel:[1,0,0] op_sel_hi:[0,1,0]
	s_delay_alu instid0(VALU_DEP_1) | instskip(SKIP_1) | instid1(VALU_DEP_2)
	v_mov_b32_e32 v137, v133
	v_pk_mul_f32 v[132:133], v[134:135], v[122:123] op_sel:[0,1]
	v_pk_add_f32 v[172:173], v[172:173], v[136:137] neg_lo:[0,1] neg_hi:[0,1]
	s_delay_alu instid0(VALU_DEP_2) | instskip(SKIP_1) | instid1(VALU_DEP_1)
	v_pk_fma_f32 v[136:137], v[134:135], v[120:121], v[132:133] op_sel:[0,0,1] op_sel_hi:[1,1,0] neg_lo:[0,0,1] neg_hi:[0,0,1]
	v_pk_fma_f32 v[132:133], v[134:135], v[120:121], v[132:133] op_sel:[0,0,1] op_sel_hi:[1,0,0]
	v_mov_b32_e32 v137, v133
	ds_load_2addr_b64 v[132:135], v222 offset0:45 offset1:46
	v_pk_add_f32 v[194:195], v[194:195], v[136:137] neg_lo:[0,1] neg_hi:[0,1]
	s_wait_dscnt 0x0
	v_pk_mul_f32 v[136:137], v[132:133], v[122:123] op_sel:[0,1]
	s_delay_alu instid0(VALU_DEP_1) | instskip(SKIP_1) | instid1(VALU_DEP_1)
	v_pk_fma_f32 v[138:139], v[132:133], v[120:121], v[136:137] op_sel:[0,0,1] op_sel_hi:[1,1,0] neg_lo:[0,0,1] neg_hi:[0,0,1]
	v_pk_fma_f32 v[132:133], v[132:133], v[120:121], v[136:137] op_sel:[0,0,1] op_sel_hi:[1,0,0]
	v_mov_b32_e32 v139, v133
	v_pk_mul_f32 v[132:133], v[134:135], v[122:123] op_sel:[0,1]
	s_delay_alu instid0(VALU_DEP_2) | instskip(NEXT) | instid1(VALU_DEP_2)
	v_pk_add_f32 v[190:191], v[190:191], v[138:139] neg_lo:[0,1] neg_hi:[0,1]
	v_pk_fma_f32 v[136:137], v[134:135], v[120:121], v[132:133] op_sel:[0,0,1] op_sel_hi:[1,1,0] neg_lo:[0,0,1] neg_hi:[0,0,1]
	v_pk_fma_f32 v[132:133], v[134:135], v[120:121], v[132:133] op_sel:[0,0,1] op_sel_hi:[1,0,0]
	s_delay_alu instid0(VALU_DEP_1) | instskip(SKIP_4) | instid1(VALU_DEP_1)
	v_mov_b32_e32 v137, v133
	ds_load_2addr_b64 v[132:135], v222 offset0:47 offset1:48
	v_pk_add_f32 v[192:193], v[192:193], v[136:137] neg_lo:[0,1] neg_hi:[0,1]
	s_wait_dscnt 0x0
	v_pk_mul_f32 v[136:137], v[132:133], v[122:123] op_sel:[0,1]
	v_pk_fma_f32 v[138:139], v[132:133], v[120:121], v[136:137] op_sel:[0,0,1] op_sel_hi:[1,1,0] neg_lo:[0,0,1] neg_hi:[0,0,1]
	v_pk_fma_f32 v[132:133], v[132:133], v[120:121], v[136:137] op_sel:[0,0,1] op_sel_hi:[1,0,0]
	v_dual_mul_f32 v136, v135, v123 :: v_dual_mov_b32 v132, v135
	s_delay_alu instid0(VALU_DEP_2) | instskip(NEXT) | instid1(VALU_DEP_2)
	v_dual_mov_b32 v139, v133 :: v_dual_mov_b32 v133, v134
	v_pk_fma_f32 v[136:137], v[134:135], v[144:145], v[136:137] op_sel_hi:[1,1,0] neg_lo:[0,0,1] neg_hi:[0,0,1]
	v_mul_f32_e32 v134, v135, v120
	s_delay_alu instid0(VALU_DEP_3) | instskip(NEXT) | instid1(VALU_DEP_2)
	v_pk_add_f32 v[188:189], v[188:189], v[138:139] neg_lo:[0,1] neg_hi:[0,1]
	v_pk_fma_f32 v[132:133], v[132:133], v[144:145], v[134:135] op_sel_hi:[1,1,0]
	s_delay_alu instid0(VALU_DEP_1) | instskip(SKIP_4) | instid1(VALU_DEP_1)
	v_mov_b32_e32 v137, v133
	ds_load_2addr_b64 v[132:135], v222 offset0:49 offset1:50
	v_pk_add_f32 v[216:217], v[216:217], v[136:137] neg_lo:[0,1] neg_hi:[0,1]
	s_wait_dscnt 0x0
	v_pk_mul_f32 v[136:137], v[132:133], v[122:123] op_sel:[0,1]
	v_pk_fma_f32 v[138:139], v[132:133], v[120:121], v[136:137] op_sel:[0,0,1] op_sel_hi:[1,1,0] neg_lo:[0,0,1] neg_hi:[0,0,1]
	v_pk_fma_f32 v[132:133], v[132:133], v[120:121], v[136:137] op_sel:[0,0,1] op_sel_hi:[1,0,0]
	s_delay_alu instid0(VALU_DEP_1) | instskip(SKIP_1) | instid1(VALU_DEP_1)
	v_mov_b32_e32 v139, v133
	v_pk_mul_f32 v[132:133], v[134:135], v[122:123] op_sel:[0,1]
	v_pk_fma_f32 v[136:137], v[134:135], v[120:121], v[132:133] op_sel:[0,0,1] op_sel_hi:[1,1,0] neg_lo:[0,0,1] neg_hi:[0,0,1]
	v_pk_fma_f32 v[132:133], v[134:135], v[120:121], v[132:133] op_sel:[0,0,1] op_sel_hi:[1,0,0]
	s_delay_alu instid0(VALU_DEP_1)
	v_mov_b32_e32 v137, v133
	ds_load_2addr_b64 v[132:135], v222 offset0:51 offset1:52
	v_pk_add_f32 v[212:213], v[212:213], v[138:139] neg_lo:[0,1] neg_hi:[0,1]
	v_pk_add_f32 v[214:215], v[214:215], v[136:137] neg_lo:[0,1] neg_hi:[0,1]
	s_wait_dscnt 0x0
	v_pk_mul_f32 v[136:137], v[132:133], v[122:123] op_sel:[0,1]
	s_delay_alu instid0(VALU_DEP_1) | instskip(SKIP_1) | instid1(VALU_DEP_1)
	v_pk_fma_f32 v[138:139], v[132:133], v[120:121], v[136:137] op_sel:[0,0,1] op_sel_hi:[1,1,0] neg_lo:[0,0,1] neg_hi:[0,0,1]
	v_pk_fma_f32 v[132:133], v[132:133], v[120:121], v[136:137] op_sel:[0,0,1] op_sel_hi:[1,0,0]
	v_mov_b32_e32 v139, v133
	v_pk_mul_f32 v[132:133], v[134:135], v[122:123] op_sel:[0,1]
	s_delay_alu instid0(VALU_DEP_1) | instskip(SKIP_1) | instid1(VALU_DEP_1)
	v_pk_fma_f32 v[136:137], v[134:135], v[120:121], v[132:133] op_sel:[0,0,1] op_sel_hi:[1,1,0] neg_lo:[0,0,1] neg_hi:[0,0,1]
	v_pk_fma_f32 v[132:133], v[134:135], v[120:121], v[132:133] op_sel:[0,0,1] op_sel_hi:[1,0,0]
	v_mov_b32_e32 v137, v133
	ds_load_2addr_b64 v[132:135], v222 offset0:53 offset1:54
	v_pk_add_f32 v[210:211], v[210:211], v[138:139] neg_lo:[0,1] neg_hi:[0,1]
	v_pk_add_f32 v[240:241], v[240:241], v[136:137] neg_lo:[0,1] neg_hi:[0,1]
	s_wait_dscnt 0x0
	v_dual_mul_f32 v136, v133, v123 :: v_dual_mul_f32 v138, v133, v120
	s_delay_alu instid0(VALU_DEP_1) | instskip(NEXT) | instid1(VALU_DEP_2)
	v_pk_fma_f32 v[136:137], v[132:133], v[144:145], v[136:137] op_sel_hi:[1,1,0] neg_lo:[0,0,1] neg_hi:[0,0,1]
	v_pk_fma_f32 v[132:133], v[132:133], v[144:145], v[138:139] op_sel:[1,0,0] op_sel_hi:[0,1,0]
	s_delay_alu instid0(VALU_DEP_1) | instskip(SKIP_1) | instid1(VALU_DEP_2)
	v_mov_b32_e32 v137, v133
	v_pk_mul_f32 v[132:133], v[134:135], v[122:123] op_sel:[0,1]
	v_pk_add_f32 v[232:233], v[232:233], v[136:137] neg_lo:[0,1] neg_hi:[0,1]
	s_delay_alu instid0(VALU_DEP_2) | instskip(SKIP_1) | instid1(VALU_DEP_1)
	v_pk_fma_f32 v[136:137], v[134:135], v[120:121], v[132:133] op_sel:[0,0,1] op_sel_hi:[1,1,0] neg_lo:[0,0,1] neg_hi:[0,0,1]
	v_pk_fma_f32 v[132:133], v[134:135], v[120:121], v[132:133] op_sel:[0,0,1] op_sel_hi:[1,0,0]
	v_mov_b32_e32 v137, v133
	ds_load_2addr_b64 v[132:135], v222 offset0:55 offset1:56
	v_pk_add_f32 v[238:239], v[238:239], v[136:137] neg_lo:[0,1] neg_hi:[0,1]
	s_wait_dscnt 0x0
	v_pk_mul_f32 v[136:137], v[132:133], v[122:123] op_sel:[0,1]
	s_delay_alu instid0(VALU_DEP_1) | instskip(SKIP_1) | instid1(VALU_DEP_1)
	v_pk_fma_f32 v[138:139], v[132:133], v[120:121], v[136:137] op_sel:[0,0,1] op_sel_hi:[1,1,0] neg_lo:[0,0,1] neg_hi:[0,0,1]
	v_pk_fma_f32 v[132:133], v[132:133], v[120:121], v[136:137] op_sel:[0,0,1] op_sel_hi:[1,0,0]
	v_mov_b32_e32 v139, v133
	v_pk_mul_f32 v[132:133], v[134:135], v[122:123] op_sel:[0,1]
	s_delay_alu instid0(VALU_DEP_2) | instskip(NEXT) | instid1(VALU_DEP_2)
	v_pk_add_f32 v[230:231], v[230:231], v[138:139] neg_lo:[0,1] neg_hi:[0,1]
	v_pk_fma_f32 v[136:137], v[134:135], v[120:121], v[132:133] op_sel:[0,0,1] op_sel_hi:[1,1,0] neg_lo:[0,0,1] neg_hi:[0,0,1]
	v_pk_fma_f32 v[132:133], v[134:135], v[120:121], v[132:133] op_sel:[0,0,1] op_sel_hi:[1,0,0]
	s_delay_alu instid0(VALU_DEP_1) | instskip(SKIP_4) | instid1(VALU_DEP_1)
	v_mov_b32_e32 v137, v133
	ds_load_2addr_b64 v[132:135], v222 offset0:57 offset1:58
	v_pk_add_f32 v[236:237], v[236:237], v[136:137] neg_lo:[0,1] neg_hi:[0,1]
	s_wait_dscnt 0x0
	v_pk_mul_f32 v[136:137], v[132:133], v[122:123] op_sel:[0,1]
	v_pk_fma_f32 v[138:139], v[132:133], v[120:121], v[136:137] op_sel:[0,0,1] op_sel_hi:[1,1,0] neg_lo:[0,0,1] neg_hi:[0,0,1]
	v_pk_fma_f32 v[132:133], v[132:133], v[120:121], v[136:137] op_sel:[0,0,1] op_sel_hi:[1,0,0]
	v_dual_mul_f32 v136, v135, v123 :: v_dual_mov_b32 v132, v135
	s_delay_alu instid0(VALU_DEP_2) | instskip(NEXT) | instid1(VALU_DEP_2)
	v_dual_mov_b32 v139, v133 :: v_dual_mov_b32 v133, v134
	v_pk_fma_f32 v[136:137], v[134:135], v[144:145], v[136:137] op_sel_hi:[1,1,0] neg_lo:[0,0,1] neg_hi:[0,0,1]
	v_mul_f32_e32 v134, v135, v120
	s_delay_alu instid0(VALU_DEP_3) | instskip(NEXT) | instid1(VALU_DEP_2)
	v_pk_add_f32 v[228:229], v[228:229], v[138:139] neg_lo:[0,1] neg_hi:[0,1]
	v_pk_fma_f32 v[132:133], v[132:133], v[144:145], v[134:135] op_sel_hi:[1,1,0]
	s_delay_alu instid0(VALU_DEP_1)
	v_mov_b32_e32 v137, v133
	ds_load_2addr_b64 v[132:135], v222 offset0:59 offset1:60
	v_pk_add_f32 v[234:235], v[234:235], v[136:137] neg_lo:[0,1] neg_hi:[0,1]
	s_wait_dscnt 0x0
	v_pk_mul_f32 v[136:137], v[132:133], v[122:123] op_sel:[0,1]
	v_pk_mul_f32 v[122:123], v[134:135], v[122:123] op_sel:[0,1]
	s_delay_alu instid0(VALU_DEP_2) | instskip(SKIP_1) | instid1(VALU_DEP_1)
	v_pk_fma_f32 v[138:139], v[132:133], v[120:121], v[136:137] op_sel:[0,0,1] op_sel_hi:[1,1,0] neg_lo:[0,0,1] neg_hi:[0,0,1]
	v_pk_fma_f32 v[132:133], v[132:133], v[120:121], v[136:137] op_sel:[0,0,1] op_sel_hi:[1,0,0]
	v_mov_b32_e32 v139, v133
	s_delay_alu instid0(VALU_DEP_4) | instskip(SKIP_1) | instid1(VALU_DEP_1)
	v_pk_fma_f32 v[132:133], v[134:135], v[120:121], v[122:123] op_sel:[0,0,1] op_sel_hi:[1,1,0] neg_lo:[0,0,1] neg_hi:[0,0,1]
	v_pk_fma_f32 v[120:121], v[134:135], v[120:121], v[122:123] op_sel:[0,0,1] op_sel_hi:[1,0,0]
	v_mov_b32_e32 v133, v121
	s_delay_alu instid0(VALU_DEP_4) | instskip(NEXT) | instid1(VALU_DEP_2)
	v_pk_add_f32 v[242:243], v[242:243], v[138:139] neg_lo:[0,1] neg_hi:[0,1]
	v_pk_add_f32 v[244:245], v[244:245], v[132:133] neg_lo:[0,1] neg_hi:[0,1]
.LBB121_316:
	s_or_b32 exec_lo, exec_lo, s1
	s_delay_alu instid0(SALU_CYCLE_1)
	s_mov_b32 s2, exec_lo
	s_wait_dscnt 0x0
	s_barrier_signal -1
	s_barrier_wait -1
	v_cmpx_eq_u32_e32 35, v220
	s_cbranch_execz .LBB121_323
; %bb.317:
	v_dual_mov_b32 v120, v162 :: v_dual_mov_b32 v121, v163
	v_dual_mov_b32 v122, v158 :: v_dual_mov_b32 v123, v159
	ds_store_b64 v221, v[140:141]
	ds_store_2addr_b64 v222, v[120:121], v[122:123] offset0:36 offset1:37
	v_dual_mov_b32 v120, v160 :: v_dual_mov_b32 v121, v161
	v_dual_mov_b32 v122, v156 :: v_dual_mov_b32 v123, v157
	ds_store_2addr_b64 v222, v[120:121], v[122:123] offset0:38 offset1:39
	v_dual_mov_b32 v120, v178 :: v_dual_mov_b32 v121, v179
	v_dual_mov_b32 v122, v174 :: v_dual_mov_b32 v123, v175
	;; [unrolled: 3-line block ×11, first 2 shown]
	ds_store_2addr_b64 v222, v[120:121], v[122:123] offset0:58 offset1:59
	ds_store_b64 v222, v[244:245] offset:480
	ds_load_b64 v[120:121], v221
	s_wait_dscnt 0x0
	v_cmp_neq_f32_e32 vcc_lo, 0, v120
	v_cmp_neq_f32_e64 s1, 0, v121
	s_or_b32 s1, vcc_lo, s1
	s_delay_alu instid0(SALU_CYCLE_1)
	s_and_b32 exec_lo, exec_lo, s1
	s_cbranch_execz .LBB121_323
; %bb.318:
	v_cmp_ngt_f32_e64 s1, |v120|, |v121|
                                        ; implicit-def: $vgpr122_vgpr123
	s_and_saveexec_b32 s4, s1
	s_delay_alu instid0(SALU_CYCLE_1)
	s_xor_b32 s1, exec_lo, s4
	s_cbranch_execz .LBB121_320
; %bb.319:
	v_div_scale_f32 v122, null, v121, v121, v120
	v_div_scale_f32 v133, vcc_lo, v120, v121, v120
	s_delay_alu instid0(VALU_DEP_2) | instskip(SKIP_1) | instid1(TRANS32_DEP_1)
	v_rcp_f32_e32 v123, v122
	v_nop
	v_fma_f32 v132, -v122, v123, 1.0
	s_delay_alu instid0(VALU_DEP_1) | instskip(NEXT) | instid1(VALU_DEP_1)
	v_fmac_f32_e32 v123, v132, v123
	v_mul_f32_e32 v132, v133, v123
	s_delay_alu instid0(VALU_DEP_1) | instskip(NEXT) | instid1(VALU_DEP_1)
	v_fma_f32 v134, -v122, v132, v133
	v_fmac_f32_e32 v132, v134, v123
	s_delay_alu instid0(VALU_DEP_1) | instskip(NEXT) | instid1(VALU_DEP_1)
	v_fma_f32 v122, -v122, v132, v133
	v_div_fmas_f32 v122, v122, v123, v132
	s_delay_alu instid0(VALU_DEP_1) | instskip(NEXT) | instid1(VALU_DEP_1)
	v_div_fixup_f32 v122, v122, v121, v120
	v_fmac_f32_e32 v121, v120, v122
	s_delay_alu instid0(VALU_DEP_1) | instskip(SKIP_1) | instid1(VALU_DEP_2)
	v_div_scale_f32 v120, null, v121, v121, 1.0
	v_div_scale_f32 v133, vcc_lo, 1.0, v121, 1.0
	v_rcp_f32_e32 v123, v120
	v_nop
	s_delay_alu instid0(TRANS32_DEP_1) | instskip(NEXT) | instid1(VALU_DEP_1)
	v_fma_f32 v132, -v120, v123, 1.0
	v_fmac_f32_e32 v123, v132, v123
	s_delay_alu instid0(VALU_DEP_1) | instskip(NEXT) | instid1(VALU_DEP_1)
	v_mul_f32_e32 v132, v133, v123
	v_fma_f32 v134, -v120, v132, v133
	s_delay_alu instid0(VALU_DEP_1) | instskip(NEXT) | instid1(VALU_DEP_1)
	v_fmac_f32_e32 v132, v134, v123
	v_fma_f32 v120, -v120, v132, v133
	s_delay_alu instid0(VALU_DEP_1) | instskip(NEXT) | instid1(VALU_DEP_1)
	v_div_fmas_f32 v120, v120, v123, v132
	v_div_fixup_f32 v120, v120, v121, 1.0
	s_delay_alu instid0(VALU_DEP_1)
	v_mul_f32_e32 v122, v122, v120
	v_xor_b32_e32 v123, 0x80000000, v120
                                        ; implicit-def: $vgpr120_vgpr121
.LBB121_320:
	s_and_not1_saveexec_b32 s1, s1
	s_cbranch_execz .LBB121_322
; %bb.321:
	v_div_scale_f32 v122, null, v120, v120, v121
	v_div_scale_f32 v133, vcc_lo, v121, v120, v121
	s_delay_alu instid0(VALU_DEP_2) | instskip(SKIP_1) | instid1(TRANS32_DEP_1)
	v_rcp_f32_e32 v123, v122
	v_nop
	v_fma_f32 v132, -v122, v123, 1.0
	s_delay_alu instid0(VALU_DEP_1) | instskip(NEXT) | instid1(VALU_DEP_1)
	v_fmac_f32_e32 v123, v132, v123
	v_mul_f32_e32 v132, v133, v123
	s_delay_alu instid0(VALU_DEP_1) | instskip(NEXT) | instid1(VALU_DEP_1)
	v_fma_f32 v134, -v122, v132, v133
	v_fmac_f32_e32 v132, v134, v123
	s_delay_alu instid0(VALU_DEP_1) | instskip(NEXT) | instid1(VALU_DEP_1)
	v_fma_f32 v122, -v122, v132, v133
	v_div_fmas_f32 v122, v122, v123, v132
	s_delay_alu instid0(VALU_DEP_1) | instskip(NEXT) | instid1(VALU_DEP_1)
	v_div_fixup_f32 v123, v122, v120, v121
	v_fmac_f32_e32 v120, v121, v123
	s_delay_alu instid0(VALU_DEP_1) | instskip(NEXT) | instid1(VALU_DEP_1)
	v_div_scale_f32 v121, null, v120, v120, 1.0
	v_rcp_f32_e32 v122, v121
	v_nop
	s_delay_alu instid0(TRANS32_DEP_1) | instskip(NEXT) | instid1(VALU_DEP_1)
	v_fma_f32 v132, -v121, v122, 1.0
	v_fmac_f32_e32 v122, v132, v122
	v_div_scale_f32 v132, vcc_lo, 1.0, v120, 1.0
	s_delay_alu instid0(VALU_DEP_1) | instskip(NEXT) | instid1(VALU_DEP_1)
	v_mul_f32_e32 v133, v132, v122
	v_fma_f32 v134, -v121, v133, v132
	s_delay_alu instid0(VALU_DEP_1) | instskip(NEXT) | instid1(VALU_DEP_1)
	v_fmac_f32_e32 v133, v134, v122
	v_fma_f32 v121, -v121, v133, v132
	s_delay_alu instid0(VALU_DEP_1) | instskip(NEXT) | instid1(VALU_DEP_1)
	v_div_fmas_f32 v121, v121, v122, v133
	v_div_fixup_f32 v122, v121, v120, 1.0
	s_delay_alu instid0(VALU_DEP_1)
	v_mul_f32_e64 v123, v123, -v122
.LBB121_322:
	s_or_b32 exec_lo, exec_lo, s1
	ds_store_b64 v221, v[122:123]
.LBB121_323:
	s_or_b32 exec_lo, exec_lo, s2
	s_wait_dscnt 0x0
	s_barrier_signal -1
	s_barrier_wait -1
	ds_load_b64 v[120:121], v221
	s_mov_b32 s1, exec_lo
	v_cmpx_lt_u32_e32 35, v220
	s_cbranch_execz .LBB121_325
; %bb.324:
	ds_load_2addr_b64 v[134:137], v222 offset0:36 offset1:37
	s_wait_dscnt 0x1
	v_pk_mul_f32 v[132:133], v[120:121], v[140:141] op_sel:[1,1] op_sel_hi:[0,1]
	s_delay_alu instid0(VALU_DEP_1) | instskip(SKIP_1) | instid1(VALU_DEP_1)
	v_pk_fma_f32 v[122:123], v[120:121], v[140:141], v[132:133] op_sel_hi:[1,0,1] neg_lo:[0,0,1] neg_hi:[0,0,1]
	v_pk_fma_f32 v[132:133], v[120:121], v[140:141], v[132:133] op_sel_hi:[1,0,1]
	v_dual_mov_b32 v140, v122 :: v_dual_mov_b32 v141, v133
	s_wait_dscnt 0x0
	s_delay_alu instid0(VALU_DEP_2) | instskip(NEXT) | instid1(VALU_DEP_1)
	v_pk_mul_f32 v[138:139], v[134:135], v[132:133] op_sel:[0,1]
	v_pk_fma_f32 v[148:149], v[134:135], v[122:123], v[138:139] op_sel:[0,0,1] op_sel_hi:[1,1,0] neg_lo:[0,0,1] neg_hi:[0,0,1]
	v_pk_fma_f32 v[134:135], v[134:135], v[122:123], v[138:139] op_sel:[0,0,1] op_sel_hi:[1,0,0]
	s_delay_alu instid0(VALU_DEP_1) | instskip(SKIP_1) | instid1(VALU_DEP_1)
	v_mov_b32_e32 v149, v135
	v_pk_mul_f32 v[134:135], v[136:137], v[132:133] op_sel:[0,1]
	v_pk_fma_f32 v[138:139], v[136:137], v[122:123], v[134:135] op_sel:[0,0,1] op_sel_hi:[1,1,0] neg_lo:[0,0,1] neg_hi:[0,0,1]
	v_pk_fma_f32 v[134:135], v[136:137], v[122:123], v[134:135] op_sel:[0,0,1] op_sel_hi:[1,0,0]
	s_delay_alu instid0(VALU_DEP_1)
	v_mov_b32_e32 v139, v135
	ds_load_2addr_b64 v[134:137], v222 offset0:38 offset1:39
	v_pk_add_f32 v[162:163], v[162:163], v[148:149] neg_lo:[0,1] neg_hi:[0,1]
	v_pk_add_f32 v[158:159], v[158:159], v[138:139] neg_lo:[0,1] neg_hi:[0,1]
	s_wait_dscnt 0x0
	v_pk_mul_f32 v[138:139], v[134:135], v[132:133] op_sel:[0,1]
	s_delay_alu instid0(VALU_DEP_1) | instskip(SKIP_2) | instid1(VALU_DEP_2)
	v_pk_fma_f32 v[148:149], v[134:135], v[122:123], v[138:139] op_sel:[0,0,1] op_sel_hi:[1,1,0] neg_lo:[0,0,1] neg_hi:[0,0,1]
	v_pk_fma_f32 v[134:135], v[134:135], v[122:123], v[138:139] op_sel:[0,0,1] op_sel_hi:[1,0,0]
	v_dual_mul_f32 v138, v137, v133 :: v_dual_mov_b32 v134, v137
	v_dual_mov_b32 v149, v135 :: v_dual_mov_b32 v135, v136
	s_delay_alu instid0(VALU_DEP_2) | instskip(SKIP_1) | instid1(VALU_DEP_3)
	v_pk_fma_f32 v[138:139], v[136:137], v[140:141], v[138:139] op_sel_hi:[1,1,0] neg_lo:[0,0,1] neg_hi:[0,0,1]
	v_mul_f32_e32 v136, v137, v122
	v_pk_add_f32 v[160:161], v[160:161], v[148:149] neg_lo:[0,1] neg_hi:[0,1]
	s_delay_alu instid0(VALU_DEP_2) | instskip(NEXT) | instid1(VALU_DEP_1)
	v_pk_fma_f32 v[134:135], v[134:135], v[140:141], v[136:137] op_sel_hi:[1,1,0]
	v_mov_b32_e32 v139, v135
	ds_load_2addr_b64 v[134:137], v222 offset0:40 offset1:41
	v_pk_add_f32 v[156:157], v[156:157], v[138:139] neg_lo:[0,1] neg_hi:[0,1]
	s_wait_dscnt 0x0
	v_pk_mul_f32 v[138:139], v[134:135], v[132:133] op_sel:[0,1]
	s_delay_alu instid0(VALU_DEP_1) | instskip(SKIP_1) | instid1(VALU_DEP_1)
	v_pk_fma_f32 v[148:149], v[134:135], v[122:123], v[138:139] op_sel:[0,0,1] op_sel_hi:[1,1,0] neg_lo:[0,0,1] neg_hi:[0,0,1]
	v_pk_fma_f32 v[134:135], v[134:135], v[122:123], v[138:139] op_sel:[0,0,1] op_sel_hi:[1,0,0]
	v_mov_b32_e32 v149, v135
	v_pk_mul_f32 v[134:135], v[136:137], v[132:133] op_sel:[0,1]
	s_delay_alu instid0(VALU_DEP_1) | instskip(SKIP_1) | instid1(VALU_DEP_1)
	v_pk_fma_f32 v[138:139], v[136:137], v[122:123], v[134:135] op_sel:[0,0,1] op_sel_hi:[1,1,0] neg_lo:[0,0,1] neg_hi:[0,0,1]
	v_pk_fma_f32 v[134:135], v[136:137], v[122:123], v[134:135] op_sel:[0,0,1] op_sel_hi:[1,0,0]
	v_mov_b32_e32 v139, v135
	ds_load_2addr_b64 v[134:137], v222 offset0:42 offset1:43
	v_pk_add_f32 v[178:179], v[178:179], v[148:149] neg_lo:[0,1] neg_hi:[0,1]
	v_pk_add_f32 v[174:175], v[174:175], v[138:139] neg_lo:[0,1] neg_hi:[0,1]
	s_wait_dscnt 0x0
	v_pk_mul_f32 v[138:139], v[134:135], v[132:133] op_sel:[0,1]
	s_delay_alu instid0(VALU_DEP_1) | instskip(SKIP_1) | instid1(VALU_DEP_1)
	v_pk_fma_f32 v[148:149], v[134:135], v[122:123], v[138:139] op_sel:[0,0,1] op_sel_hi:[1,1,0] neg_lo:[0,0,1] neg_hi:[0,0,1]
	v_pk_fma_f32 v[134:135], v[134:135], v[122:123], v[138:139] op_sel:[0,0,1] op_sel_hi:[1,0,0]
	v_mov_b32_e32 v149, v135
	v_pk_mul_f32 v[134:135], v[136:137], v[132:133] op_sel:[0,1]
	s_delay_alu instid0(VALU_DEP_1) | instskip(SKIP_1) | instid1(VALU_DEP_1)
	v_pk_fma_f32 v[138:139], v[136:137], v[122:123], v[134:135] op_sel:[0,0,1] op_sel_hi:[1,1,0] neg_lo:[0,0,1] neg_hi:[0,0,1]
	v_pk_fma_f32 v[134:135], v[136:137], v[122:123], v[134:135] op_sel:[0,0,1] op_sel_hi:[1,0,0]
	v_mov_b32_e32 v139, v135
	ds_load_2addr_b64 v[134:137], v222 offset0:44 offset1:45
	v_pk_add_f32 v[176:177], v[176:177], v[148:149] neg_lo:[0,1] neg_hi:[0,1]
	v_pk_add_f32 v[172:173], v[172:173], v[138:139] neg_lo:[0,1] neg_hi:[0,1]
	s_wait_dscnt 0x0
	v_dual_mul_f32 v138, v135, v133 :: v_dual_mul_f32 v148, v135, v122
	s_delay_alu instid0(VALU_DEP_1) | instskip(NEXT) | instid1(VALU_DEP_2)
	v_pk_fma_f32 v[138:139], v[134:135], v[140:141], v[138:139] op_sel_hi:[1,1,0] neg_lo:[0,0,1] neg_hi:[0,0,1]
	v_pk_fma_f32 v[134:135], v[134:135], v[140:141], v[148:149] op_sel:[1,0,0] op_sel_hi:[0,1,0]
	s_delay_alu instid0(VALU_DEP_1) | instskip(SKIP_1) | instid1(VALU_DEP_2)
	v_mov_b32_e32 v139, v135
	v_pk_mul_f32 v[134:135], v[136:137], v[132:133] op_sel:[0,1]
	v_pk_add_f32 v[194:195], v[194:195], v[138:139] neg_lo:[0,1] neg_hi:[0,1]
	s_delay_alu instid0(VALU_DEP_2) | instskip(SKIP_1) | instid1(VALU_DEP_1)
	v_pk_fma_f32 v[138:139], v[136:137], v[122:123], v[134:135] op_sel:[0,0,1] op_sel_hi:[1,1,0] neg_lo:[0,0,1] neg_hi:[0,0,1]
	v_pk_fma_f32 v[134:135], v[136:137], v[122:123], v[134:135] op_sel:[0,0,1] op_sel_hi:[1,0,0]
	v_mov_b32_e32 v139, v135
	ds_load_2addr_b64 v[134:137], v222 offset0:46 offset1:47
	v_pk_add_f32 v[190:191], v[190:191], v[138:139] neg_lo:[0,1] neg_hi:[0,1]
	s_wait_dscnt 0x0
	v_pk_mul_f32 v[138:139], v[134:135], v[132:133] op_sel:[0,1]
	s_delay_alu instid0(VALU_DEP_1) | instskip(SKIP_1) | instid1(VALU_DEP_1)
	v_pk_fma_f32 v[148:149], v[134:135], v[122:123], v[138:139] op_sel:[0,0,1] op_sel_hi:[1,1,0] neg_lo:[0,0,1] neg_hi:[0,0,1]
	v_pk_fma_f32 v[134:135], v[134:135], v[122:123], v[138:139] op_sel:[0,0,1] op_sel_hi:[1,0,0]
	v_mov_b32_e32 v149, v135
	v_pk_mul_f32 v[134:135], v[136:137], v[132:133] op_sel:[0,1]
	s_delay_alu instid0(VALU_DEP_2) | instskip(NEXT) | instid1(VALU_DEP_2)
	v_pk_add_f32 v[192:193], v[192:193], v[148:149] neg_lo:[0,1] neg_hi:[0,1]
	v_pk_fma_f32 v[138:139], v[136:137], v[122:123], v[134:135] op_sel:[0,0,1] op_sel_hi:[1,1,0] neg_lo:[0,0,1] neg_hi:[0,0,1]
	v_pk_fma_f32 v[134:135], v[136:137], v[122:123], v[134:135] op_sel:[0,0,1] op_sel_hi:[1,0,0]
	s_delay_alu instid0(VALU_DEP_1) | instskip(SKIP_4) | instid1(VALU_DEP_1)
	v_mov_b32_e32 v139, v135
	ds_load_2addr_b64 v[134:137], v222 offset0:48 offset1:49
	v_pk_add_f32 v[188:189], v[188:189], v[138:139] neg_lo:[0,1] neg_hi:[0,1]
	s_wait_dscnt 0x0
	v_pk_mul_f32 v[138:139], v[134:135], v[132:133] op_sel:[0,1]
	v_pk_fma_f32 v[148:149], v[134:135], v[122:123], v[138:139] op_sel:[0,0,1] op_sel_hi:[1,1,0] neg_lo:[0,0,1] neg_hi:[0,0,1]
	v_pk_fma_f32 v[134:135], v[134:135], v[122:123], v[138:139] op_sel:[0,0,1] op_sel_hi:[1,0,0]
	v_dual_mul_f32 v138, v137, v133 :: v_dual_mov_b32 v134, v137
	s_delay_alu instid0(VALU_DEP_2) | instskip(NEXT) | instid1(VALU_DEP_2)
	v_dual_mov_b32 v149, v135 :: v_dual_mov_b32 v135, v136
	v_pk_fma_f32 v[138:139], v[136:137], v[140:141], v[138:139] op_sel_hi:[1,1,0] neg_lo:[0,0,1] neg_hi:[0,0,1]
	v_mul_f32_e32 v136, v137, v122
	s_delay_alu instid0(VALU_DEP_3) | instskip(NEXT) | instid1(VALU_DEP_2)
	v_pk_add_f32 v[216:217], v[216:217], v[148:149] neg_lo:[0,1] neg_hi:[0,1]
	v_pk_fma_f32 v[134:135], v[134:135], v[140:141], v[136:137] op_sel_hi:[1,1,0]
	s_delay_alu instid0(VALU_DEP_1) | instskip(SKIP_4) | instid1(VALU_DEP_1)
	v_mov_b32_e32 v139, v135
	ds_load_2addr_b64 v[134:137], v222 offset0:50 offset1:51
	v_pk_add_f32 v[212:213], v[212:213], v[138:139] neg_lo:[0,1] neg_hi:[0,1]
	s_wait_dscnt 0x0
	v_pk_mul_f32 v[138:139], v[134:135], v[132:133] op_sel:[0,1]
	v_pk_fma_f32 v[148:149], v[134:135], v[122:123], v[138:139] op_sel:[0,0,1] op_sel_hi:[1,1,0] neg_lo:[0,0,1] neg_hi:[0,0,1]
	v_pk_fma_f32 v[134:135], v[134:135], v[122:123], v[138:139] op_sel:[0,0,1] op_sel_hi:[1,0,0]
	s_delay_alu instid0(VALU_DEP_1) | instskip(SKIP_1) | instid1(VALU_DEP_1)
	v_mov_b32_e32 v149, v135
	v_pk_mul_f32 v[134:135], v[136:137], v[132:133] op_sel:[0,1]
	v_pk_fma_f32 v[138:139], v[136:137], v[122:123], v[134:135] op_sel:[0,0,1] op_sel_hi:[1,1,0] neg_lo:[0,0,1] neg_hi:[0,0,1]
	v_pk_fma_f32 v[134:135], v[136:137], v[122:123], v[134:135] op_sel:[0,0,1] op_sel_hi:[1,0,0]
	s_delay_alu instid0(VALU_DEP_1)
	v_mov_b32_e32 v139, v135
	ds_load_2addr_b64 v[134:137], v222 offset0:52 offset1:53
	v_pk_add_f32 v[214:215], v[214:215], v[148:149] neg_lo:[0,1] neg_hi:[0,1]
	v_pk_add_f32 v[210:211], v[210:211], v[138:139] neg_lo:[0,1] neg_hi:[0,1]
	s_wait_dscnt 0x0
	v_pk_mul_f32 v[138:139], v[134:135], v[132:133] op_sel:[0,1]
	s_delay_alu instid0(VALU_DEP_1) | instskip(SKIP_1) | instid1(VALU_DEP_1)
	v_pk_fma_f32 v[148:149], v[134:135], v[122:123], v[138:139] op_sel:[0,0,1] op_sel_hi:[1,1,0] neg_lo:[0,0,1] neg_hi:[0,0,1]
	v_pk_fma_f32 v[134:135], v[134:135], v[122:123], v[138:139] op_sel:[0,0,1] op_sel_hi:[1,0,0]
	v_mov_b32_e32 v149, v135
	v_pk_mul_f32 v[134:135], v[136:137], v[132:133] op_sel:[0,1]
	s_delay_alu instid0(VALU_DEP_1) | instskip(SKIP_1) | instid1(VALU_DEP_1)
	v_pk_fma_f32 v[138:139], v[136:137], v[122:123], v[134:135] op_sel:[0,0,1] op_sel_hi:[1,1,0] neg_lo:[0,0,1] neg_hi:[0,0,1]
	v_pk_fma_f32 v[134:135], v[136:137], v[122:123], v[134:135] op_sel:[0,0,1] op_sel_hi:[1,0,0]
	v_mov_b32_e32 v139, v135
	ds_load_2addr_b64 v[134:137], v222 offset0:54 offset1:55
	v_pk_add_f32 v[240:241], v[240:241], v[148:149] neg_lo:[0,1] neg_hi:[0,1]
	v_pk_add_f32 v[232:233], v[232:233], v[138:139] neg_lo:[0,1] neg_hi:[0,1]
	s_wait_dscnt 0x0
	v_dual_mul_f32 v138, v135, v133 :: v_dual_mul_f32 v148, v135, v122
	s_delay_alu instid0(VALU_DEP_1) | instskip(NEXT) | instid1(VALU_DEP_2)
	v_pk_fma_f32 v[138:139], v[134:135], v[140:141], v[138:139] op_sel_hi:[1,1,0] neg_lo:[0,0,1] neg_hi:[0,0,1]
	v_pk_fma_f32 v[134:135], v[134:135], v[140:141], v[148:149] op_sel:[1,0,0] op_sel_hi:[0,1,0]
	s_delay_alu instid0(VALU_DEP_1) | instskip(SKIP_1) | instid1(VALU_DEP_2)
	v_mov_b32_e32 v139, v135
	v_pk_mul_f32 v[134:135], v[136:137], v[132:133] op_sel:[0,1]
	v_pk_add_f32 v[238:239], v[238:239], v[138:139] neg_lo:[0,1] neg_hi:[0,1]
	s_delay_alu instid0(VALU_DEP_2) | instskip(SKIP_1) | instid1(VALU_DEP_1)
	v_pk_fma_f32 v[138:139], v[136:137], v[122:123], v[134:135] op_sel:[0,0,1] op_sel_hi:[1,1,0] neg_lo:[0,0,1] neg_hi:[0,0,1]
	v_pk_fma_f32 v[134:135], v[136:137], v[122:123], v[134:135] op_sel:[0,0,1] op_sel_hi:[1,0,0]
	v_mov_b32_e32 v139, v135
	ds_load_2addr_b64 v[134:137], v222 offset0:56 offset1:57
	v_pk_add_f32 v[230:231], v[230:231], v[138:139] neg_lo:[0,1] neg_hi:[0,1]
	s_wait_dscnt 0x0
	v_pk_mul_f32 v[138:139], v[134:135], v[132:133] op_sel:[0,1]
	s_delay_alu instid0(VALU_DEP_1) | instskip(SKIP_1) | instid1(VALU_DEP_1)
	v_pk_fma_f32 v[148:149], v[134:135], v[122:123], v[138:139] op_sel:[0,0,1] op_sel_hi:[1,1,0] neg_lo:[0,0,1] neg_hi:[0,0,1]
	v_pk_fma_f32 v[134:135], v[134:135], v[122:123], v[138:139] op_sel:[0,0,1] op_sel_hi:[1,0,0]
	v_mov_b32_e32 v149, v135
	v_pk_mul_f32 v[134:135], v[136:137], v[132:133] op_sel:[0,1]
	s_delay_alu instid0(VALU_DEP_2) | instskip(NEXT) | instid1(VALU_DEP_2)
	v_pk_add_f32 v[236:237], v[236:237], v[148:149] neg_lo:[0,1] neg_hi:[0,1]
	v_pk_fma_f32 v[138:139], v[136:137], v[122:123], v[134:135] op_sel:[0,0,1] op_sel_hi:[1,1,0] neg_lo:[0,0,1] neg_hi:[0,0,1]
	v_pk_fma_f32 v[134:135], v[136:137], v[122:123], v[134:135] op_sel:[0,0,1] op_sel_hi:[1,0,0]
	s_delay_alu instid0(VALU_DEP_1) | instskip(SKIP_4) | instid1(VALU_DEP_1)
	v_mov_b32_e32 v139, v135
	ds_load_2addr_b64 v[134:137], v222 offset0:58 offset1:59
	v_pk_add_f32 v[228:229], v[228:229], v[138:139] neg_lo:[0,1] neg_hi:[0,1]
	s_wait_dscnt 0x0
	v_pk_mul_f32 v[138:139], v[134:135], v[132:133] op_sel:[0,1]
	v_pk_fma_f32 v[148:149], v[134:135], v[122:123], v[138:139] op_sel:[0,0,1] op_sel_hi:[1,1,0] neg_lo:[0,0,1] neg_hi:[0,0,1]
	v_pk_fma_f32 v[134:135], v[134:135], v[122:123], v[138:139] op_sel:[0,0,1] op_sel_hi:[1,0,0]
	v_dual_mul_f32 v138, v137, v133 :: v_dual_mov_b32 v134, v137
	s_delay_alu instid0(VALU_DEP_2) | instskip(NEXT) | instid1(VALU_DEP_2)
	v_dual_mov_b32 v149, v135 :: v_dual_mov_b32 v135, v136
	v_pk_fma_f32 v[138:139], v[136:137], v[140:141], v[138:139] op_sel_hi:[1,1,0] neg_lo:[0,0,1] neg_hi:[0,0,1]
	v_mul_f32_e32 v136, v137, v122
	s_delay_alu instid0(VALU_DEP_3) | instskip(NEXT) | instid1(VALU_DEP_2)
	v_pk_add_f32 v[234:235], v[234:235], v[148:149] neg_lo:[0,1] neg_hi:[0,1]
	v_pk_fma_f32 v[134:135], v[134:135], v[140:141], v[136:137] op_sel_hi:[1,1,0]
	s_delay_alu instid0(VALU_DEP_1) | instskip(SKIP_4) | instid1(VALU_DEP_1)
	v_mov_b32_e32 v139, v135
	ds_load_b64 v[134:135], v222 offset:480
	v_pk_add_f32 v[242:243], v[242:243], v[138:139] neg_lo:[0,1] neg_hi:[0,1]
	s_wait_dscnt 0x0
	v_pk_mul_f32 v[132:133], v[134:135], v[132:133] op_sel:[0,1]
	v_pk_fma_f32 v[136:137], v[134:135], v[122:123], v[132:133] op_sel:[0,0,1] op_sel_hi:[1,1,0] neg_lo:[0,0,1] neg_hi:[0,0,1]
	v_pk_fma_f32 v[122:123], v[134:135], v[122:123], v[132:133] op_sel:[0,0,1] op_sel_hi:[1,0,0]
	s_delay_alu instid0(VALU_DEP_1) | instskip(NEXT) | instid1(VALU_DEP_1)
	v_mov_b32_e32 v137, v123
	v_pk_add_f32 v[244:245], v[244:245], v[136:137] neg_lo:[0,1] neg_hi:[0,1]
.LBB121_325:
	s_or_b32 exec_lo, exec_lo, s1
	s_delay_alu instid0(SALU_CYCLE_1)
	s_mov_b32 s2, exec_lo
	s_wait_dscnt 0x0
	s_barrier_signal -1
	s_barrier_wait -1
	v_cmpx_eq_u32_e32 36, v220
	s_cbranch_execz .LBB121_332
; %bb.326:
	ds_store_b64 v221, v[162:163]
	ds_store_2addr_b64 v222, v[158:159], v[160:161] offset0:37 offset1:38
	ds_store_2addr_b64 v222, v[156:157], v[178:179] offset0:39 offset1:40
	;; [unrolled: 1-line block ×12, first 2 shown]
	ds_load_b64 v[122:123], v221
	s_wait_dscnt 0x0
	v_cmp_neq_f32_e32 vcc_lo, 0, v122
	v_cmp_neq_f32_e64 s1, 0, v123
	s_or_b32 s1, vcc_lo, s1
	s_delay_alu instid0(SALU_CYCLE_1)
	s_and_b32 exec_lo, exec_lo, s1
	s_cbranch_execz .LBB121_332
; %bb.327:
	v_cmp_ngt_f32_e64 s1, |v122|, |v123|
                                        ; implicit-def: $vgpr132_vgpr133
	s_and_saveexec_b32 s4, s1
	s_delay_alu instid0(SALU_CYCLE_1)
	s_xor_b32 s1, exec_lo, s4
	s_cbranch_execz .LBB121_329
; %bb.328:
	v_div_scale_f32 v132, null, v123, v123, v122
	v_div_scale_f32 v135, vcc_lo, v122, v123, v122
	s_delay_alu instid0(VALU_DEP_2) | instskip(SKIP_1) | instid1(TRANS32_DEP_1)
	v_rcp_f32_e32 v133, v132
	v_nop
	v_fma_f32 v134, -v132, v133, 1.0
	s_delay_alu instid0(VALU_DEP_1) | instskip(NEXT) | instid1(VALU_DEP_1)
	v_fmac_f32_e32 v133, v134, v133
	v_mul_f32_e32 v134, v135, v133
	s_delay_alu instid0(VALU_DEP_1) | instskip(NEXT) | instid1(VALU_DEP_1)
	v_fma_f32 v136, -v132, v134, v135
	v_fmac_f32_e32 v134, v136, v133
	s_delay_alu instid0(VALU_DEP_1) | instskip(NEXT) | instid1(VALU_DEP_1)
	v_fma_f32 v132, -v132, v134, v135
	v_div_fmas_f32 v132, v132, v133, v134
	s_delay_alu instid0(VALU_DEP_1) | instskip(NEXT) | instid1(VALU_DEP_1)
	v_div_fixup_f32 v132, v132, v123, v122
	v_fmac_f32_e32 v123, v122, v132
	s_delay_alu instid0(VALU_DEP_1) | instskip(SKIP_1) | instid1(VALU_DEP_2)
	v_div_scale_f32 v122, null, v123, v123, 1.0
	v_div_scale_f32 v135, vcc_lo, 1.0, v123, 1.0
	v_rcp_f32_e32 v133, v122
	v_nop
	s_delay_alu instid0(TRANS32_DEP_1) | instskip(NEXT) | instid1(VALU_DEP_1)
	v_fma_f32 v134, -v122, v133, 1.0
	v_fmac_f32_e32 v133, v134, v133
	s_delay_alu instid0(VALU_DEP_1) | instskip(NEXT) | instid1(VALU_DEP_1)
	v_mul_f32_e32 v134, v135, v133
	v_fma_f32 v136, -v122, v134, v135
	s_delay_alu instid0(VALU_DEP_1) | instskip(NEXT) | instid1(VALU_DEP_1)
	v_fmac_f32_e32 v134, v136, v133
	v_fma_f32 v122, -v122, v134, v135
	s_delay_alu instid0(VALU_DEP_1) | instskip(NEXT) | instid1(VALU_DEP_1)
	v_div_fmas_f32 v122, v122, v133, v134
	v_div_fixup_f32 v122, v122, v123, 1.0
	s_delay_alu instid0(VALU_DEP_1)
	v_mul_f32_e32 v132, v132, v122
	v_xor_b32_e32 v133, 0x80000000, v122
                                        ; implicit-def: $vgpr122_vgpr123
.LBB121_329:
	s_and_not1_saveexec_b32 s1, s1
	s_cbranch_execz .LBB121_331
; %bb.330:
	v_div_scale_f32 v132, null, v122, v122, v123
	v_div_scale_f32 v135, vcc_lo, v123, v122, v123
	s_delay_alu instid0(VALU_DEP_2) | instskip(SKIP_1) | instid1(TRANS32_DEP_1)
	v_rcp_f32_e32 v133, v132
	v_nop
	v_fma_f32 v134, -v132, v133, 1.0
	s_delay_alu instid0(VALU_DEP_1) | instskip(NEXT) | instid1(VALU_DEP_1)
	v_fmac_f32_e32 v133, v134, v133
	v_mul_f32_e32 v134, v135, v133
	s_delay_alu instid0(VALU_DEP_1) | instskip(NEXT) | instid1(VALU_DEP_1)
	v_fma_f32 v136, -v132, v134, v135
	v_fmac_f32_e32 v134, v136, v133
	s_delay_alu instid0(VALU_DEP_1) | instskip(NEXT) | instid1(VALU_DEP_1)
	v_fma_f32 v132, -v132, v134, v135
	v_div_fmas_f32 v132, v132, v133, v134
	s_delay_alu instid0(VALU_DEP_1) | instskip(NEXT) | instid1(VALU_DEP_1)
	v_div_fixup_f32 v133, v132, v122, v123
	v_fmac_f32_e32 v122, v123, v133
	s_delay_alu instid0(VALU_DEP_1) | instskip(NEXT) | instid1(VALU_DEP_1)
	v_div_scale_f32 v123, null, v122, v122, 1.0
	v_rcp_f32_e32 v132, v123
	v_nop
	s_delay_alu instid0(TRANS32_DEP_1) | instskip(NEXT) | instid1(VALU_DEP_1)
	v_fma_f32 v134, -v123, v132, 1.0
	v_fmac_f32_e32 v132, v134, v132
	v_div_scale_f32 v134, vcc_lo, 1.0, v122, 1.0
	s_delay_alu instid0(VALU_DEP_1) | instskip(NEXT) | instid1(VALU_DEP_1)
	v_mul_f32_e32 v135, v134, v132
	v_fma_f32 v136, -v123, v135, v134
	s_delay_alu instid0(VALU_DEP_1) | instskip(NEXT) | instid1(VALU_DEP_1)
	v_fmac_f32_e32 v135, v136, v132
	v_fma_f32 v123, -v123, v135, v134
	s_delay_alu instid0(VALU_DEP_1) | instskip(NEXT) | instid1(VALU_DEP_1)
	v_div_fmas_f32 v123, v123, v132, v135
	v_div_fixup_f32 v132, v123, v122, 1.0
	s_delay_alu instid0(VALU_DEP_1)
	v_mul_f32_e64 v133, v133, -v132
.LBB121_331:
	s_or_b32 exec_lo, exec_lo, s1
	ds_store_b64 v221, v[132:133]
.LBB121_332:
	s_or_b32 exec_lo, exec_lo, s2
	s_wait_dscnt 0x0
	s_barrier_signal -1
	s_barrier_wait -1
	ds_load_b64 v[122:123], v221
	s_mov_b32 s1, exec_lo
	v_cmpx_lt_u32_e32 36, v220
	s_cbranch_execz .LBB121_334
; %bb.333:
	ds_load_2addr_b64 v[136:139], v222 offset0:37 offset1:38
	s_wait_dscnt 0x1
	v_pk_mul_f32 v[134:135], v[122:123], v[162:163] op_sel:[1,1] op_sel_hi:[0,1]
	s_delay_alu instid0(VALU_DEP_1) | instskip(SKIP_1) | instid1(VALU_DEP_1)
	v_pk_fma_f32 v[132:133], v[122:123], v[162:163], v[134:135] op_sel_hi:[1,0,1] neg_lo:[0,0,1] neg_hi:[0,0,1]
	v_pk_fma_f32 v[134:135], v[122:123], v[162:163], v[134:135] op_sel_hi:[1,0,1]
	v_dual_mov_b32 v162, v132 :: v_dual_mov_b32 v163, v135
	s_wait_dscnt 0x0
	s_delay_alu instid0(VALU_DEP_2) | instskip(NEXT) | instid1(VALU_DEP_1)
	v_pk_mul_f32 v[148:149], v[136:137], v[134:135] op_sel:[0,1]
	v_pk_fma_f32 v[150:151], v[136:137], v[132:133], v[148:149] op_sel:[0,0,1] op_sel_hi:[1,1,0] neg_lo:[0,0,1] neg_hi:[0,0,1]
	v_pk_fma_f32 v[136:137], v[136:137], v[132:133], v[148:149] op_sel:[0,0,1] op_sel_hi:[1,0,0]
	s_delay_alu instid0(VALU_DEP_1) | instskip(SKIP_1) | instid1(VALU_DEP_1)
	v_mov_b32_e32 v151, v137
	v_pk_mul_f32 v[136:137], v[138:139], v[134:135] op_sel:[0,1]
	v_pk_fma_f32 v[148:149], v[138:139], v[132:133], v[136:137] op_sel:[0,0,1] op_sel_hi:[1,1,0] neg_lo:[0,0,1] neg_hi:[0,0,1]
	v_pk_fma_f32 v[136:137], v[138:139], v[132:133], v[136:137] op_sel:[0,0,1] op_sel_hi:[1,0,0]
	s_delay_alu instid0(VALU_DEP_1)
	v_mov_b32_e32 v149, v137
	ds_load_2addr_b64 v[136:139], v222 offset0:39 offset1:40
	v_pk_add_f32 v[158:159], v[158:159], v[150:151] neg_lo:[0,1] neg_hi:[0,1]
	v_pk_add_f32 v[160:161], v[160:161], v[148:149] neg_lo:[0,1] neg_hi:[0,1]
	s_wait_dscnt 0x0
	v_pk_mul_f32 v[148:149], v[136:137], v[134:135] op_sel:[0,1]
	s_delay_alu instid0(VALU_DEP_1) | instskip(SKIP_2) | instid1(VALU_DEP_2)
	v_pk_fma_f32 v[150:151], v[136:137], v[132:133], v[148:149] op_sel:[0,0,1] op_sel_hi:[1,1,0] neg_lo:[0,0,1] neg_hi:[0,0,1]
	v_pk_fma_f32 v[136:137], v[136:137], v[132:133], v[148:149] op_sel:[0,0,1] op_sel_hi:[1,0,0]
	v_dual_mul_f32 v148, v139, v135 :: v_dual_mov_b32 v136, v139
	v_dual_mov_b32 v151, v137 :: v_dual_mov_b32 v137, v138
	s_delay_alu instid0(VALU_DEP_2) | instskip(SKIP_1) | instid1(VALU_DEP_3)
	v_pk_fma_f32 v[148:149], v[138:139], v[162:163], v[148:149] op_sel_hi:[1,1,0] neg_lo:[0,0,1] neg_hi:[0,0,1]
	v_mul_f32_e32 v138, v139, v132
	v_pk_add_f32 v[156:157], v[156:157], v[150:151] neg_lo:[0,1] neg_hi:[0,1]
	s_delay_alu instid0(VALU_DEP_2) | instskip(NEXT) | instid1(VALU_DEP_1)
	v_pk_fma_f32 v[136:137], v[136:137], v[162:163], v[138:139] op_sel_hi:[1,1,0]
	v_mov_b32_e32 v149, v137
	ds_load_2addr_b64 v[136:139], v222 offset0:41 offset1:42
	v_pk_add_f32 v[178:179], v[178:179], v[148:149] neg_lo:[0,1] neg_hi:[0,1]
	s_wait_dscnt 0x0
	v_pk_mul_f32 v[148:149], v[136:137], v[134:135] op_sel:[0,1]
	s_delay_alu instid0(VALU_DEP_1) | instskip(SKIP_1) | instid1(VALU_DEP_1)
	v_pk_fma_f32 v[150:151], v[136:137], v[132:133], v[148:149] op_sel:[0,0,1] op_sel_hi:[1,1,0] neg_lo:[0,0,1] neg_hi:[0,0,1]
	v_pk_fma_f32 v[136:137], v[136:137], v[132:133], v[148:149] op_sel:[0,0,1] op_sel_hi:[1,0,0]
	v_mov_b32_e32 v151, v137
	v_pk_mul_f32 v[136:137], v[138:139], v[134:135] op_sel:[0,1]
	s_delay_alu instid0(VALU_DEP_1) | instskip(SKIP_1) | instid1(VALU_DEP_1)
	v_pk_fma_f32 v[148:149], v[138:139], v[132:133], v[136:137] op_sel:[0,0,1] op_sel_hi:[1,1,0] neg_lo:[0,0,1] neg_hi:[0,0,1]
	v_pk_fma_f32 v[136:137], v[138:139], v[132:133], v[136:137] op_sel:[0,0,1] op_sel_hi:[1,0,0]
	v_mov_b32_e32 v149, v137
	ds_load_2addr_b64 v[136:139], v222 offset0:43 offset1:44
	v_pk_add_f32 v[174:175], v[174:175], v[150:151] neg_lo:[0,1] neg_hi:[0,1]
	v_pk_add_f32 v[176:177], v[176:177], v[148:149] neg_lo:[0,1] neg_hi:[0,1]
	s_wait_dscnt 0x0
	v_pk_mul_f32 v[148:149], v[136:137], v[134:135] op_sel:[0,1]
	s_delay_alu instid0(VALU_DEP_1) | instskip(SKIP_1) | instid1(VALU_DEP_1)
	v_pk_fma_f32 v[150:151], v[136:137], v[132:133], v[148:149] op_sel:[0,0,1] op_sel_hi:[1,1,0] neg_lo:[0,0,1] neg_hi:[0,0,1]
	v_pk_fma_f32 v[136:137], v[136:137], v[132:133], v[148:149] op_sel:[0,0,1] op_sel_hi:[1,0,0]
	v_mov_b32_e32 v151, v137
	v_pk_mul_f32 v[136:137], v[138:139], v[134:135] op_sel:[0,1]
	s_delay_alu instid0(VALU_DEP_1) | instskip(SKIP_1) | instid1(VALU_DEP_1)
	v_pk_fma_f32 v[148:149], v[138:139], v[132:133], v[136:137] op_sel:[0,0,1] op_sel_hi:[1,1,0] neg_lo:[0,0,1] neg_hi:[0,0,1]
	v_pk_fma_f32 v[136:137], v[138:139], v[132:133], v[136:137] op_sel:[0,0,1] op_sel_hi:[1,0,0]
	v_mov_b32_e32 v149, v137
	ds_load_2addr_b64 v[136:139], v222 offset0:45 offset1:46
	v_pk_add_f32 v[172:173], v[172:173], v[150:151] neg_lo:[0,1] neg_hi:[0,1]
	v_pk_add_f32 v[194:195], v[194:195], v[148:149] neg_lo:[0,1] neg_hi:[0,1]
	s_wait_dscnt 0x0
	v_dual_mul_f32 v148, v137, v135 :: v_dual_mul_f32 v150, v137, v132
	s_delay_alu instid0(VALU_DEP_1) | instskip(NEXT) | instid1(VALU_DEP_2)
	v_pk_fma_f32 v[148:149], v[136:137], v[162:163], v[148:149] op_sel_hi:[1,1,0] neg_lo:[0,0,1] neg_hi:[0,0,1]
	v_pk_fma_f32 v[136:137], v[136:137], v[162:163], v[150:151] op_sel:[1,0,0] op_sel_hi:[0,1,0]
	s_delay_alu instid0(VALU_DEP_1) | instskip(SKIP_1) | instid1(VALU_DEP_2)
	v_mov_b32_e32 v149, v137
	v_pk_mul_f32 v[136:137], v[138:139], v[134:135] op_sel:[0,1]
	v_pk_add_f32 v[190:191], v[190:191], v[148:149] neg_lo:[0,1] neg_hi:[0,1]
	s_delay_alu instid0(VALU_DEP_2) | instskip(SKIP_1) | instid1(VALU_DEP_1)
	v_pk_fma_f32 v[148:149], v[138:139], v[132:133], v[136:137] op_sel:[0,0,1] op_sel_hi:[1,1,0] neg_lo:[0,0,1] neg_hi:[0,0,1]
	v_pk_fma_f32 v[136:137], v[138:139], v[132:133], v[136:137] op_sel:[0,0,1] op_sel_hi:[1,0,0]
	v_mov_b32_e32 v149, v137
	ds_load_2addr_b64 v[136:139], v222 offset0:47 offset1:48
	v_pk_add_f32 v[192:193], v[192:193], v[148:149] neg_lo:[0,1] neg_hi:[0,1]
	s_wait_dscnt 0x0
	v_pk_mul_f32 v[148:149], v[136:137], v[134:135] op_sel:[0,1]
	s_delay_alu instid0(VALU_DEP_1) | instskip(SKIP_1) | instid1(VALU_DEP_1)
	v_pk_fma_f32 v[150:151], v[136:137], v[132:133], v[148:149] op_sel:[0,0,1] op_sel_hi:[1,1,0] neg_lo:[0,0,1] neg_hi:[0,0,1]
	v_pk_fma_f32 v[136:137], v[136:137], v[132:133], v[148:149] op_sel:[0,0,1] op_sel_hi:[1,0,0]
	v_mov_b32_e32 v151, v137
	v_pk_mul_f32 v[136:137], v[138:139], v[134:135] op_sel:[0,1]
	s_delay_alu instid0(VALU_DEP_2) | instskip(NEXT) | instid1(VALU_DEP_2)
	v_pk_add_f32 v[188:189], v[188:189], v[150:151] neg_lo:[0,1] neg_hi:[0,1]
	v_pk_fma_f32 v[148:149], v[138:139], v[132:133], v[136:137] op_sel:[0,0,1] op_sel_hi:[1,1,0] neg_lo:[0,0,1] neg_hi:[0,0,1]
	v_pk_fma_f32 v[136:137], v[138:139], v[132:133], v[136:137] op_sel:[0,0,1] op_sel_hi:[1,0,0]
	s_delay_alu instid0(VALU_DEP_1) | instskip(SKIP_4) | instid1(VALU_DEP_1)
	v_mov_b32_e32 v149, v137
	ds_load_2addr_b64 v[136:139], v222 offset0:49 offset1:50
	v_pk_add_f32 v[216:217], v[216:217], v[148:149] neg_lo:[0,1] neg_hi:[0,1]
	s_wait_dscnt 0x0
	v_pk_mul_f32 v[148:149], v[136:137], v[134:135] op_sel:[0,1]
	v_pk_fma_f32 v[150:151], v[136:137], v[132:133], v[148:149] op_sel:[0,0,1] op_sel_hi:[1,1,0] neg_lo:[0,0,1] neg_hi:[0,0,1]
	v_pk_fma_f32 v[136:137], v[136:137], v[132:133], v[148:149] op_sel:[0,0,1] op_sel_hi:[1,0,0]
	v_dual_mul_f32 v148, v139, v135 :: v_dual_mov_b32 v136, v139
	s_delay_alu instid0(VALU_DEP_2) | instskip(NEXT) | instid1(VALU_DEP_2)
	v_dual_mov_b32 v151, v137 :: v_dual_mov_b32 v137, v138
	v_pk_fma_f32 v[148:149], v[138:139], v[162:163], v[148:149] op_sel_hi:[1,1,0] neg_lo:[0,0,1] neg_hi:[0,0,1]
	v_mul_f32_e32 v138, v139, v132
	s_delay_alu instid0(VALU_DEP_3) | instskip(NEXT) | instid1(VALU_DEP_2)
	v_pk_add_f32 v[212:213], v[212:213], v[150:151] neg_lo:[0,1] neg_hi:[0,1]
	v_pk_fma_f32 v[136:137], v[136:137], v[162:163], v[138:139] op_sel_hi:[1,1,0]
	s_delay_alu instid0(VALU_DEP_1) | instskip(SKIP_4) | instid1(VALU_DEP_1)
	v_mov_b32_e32 v149, v137
	ds_load_2addr_b64 v[136:139], v222 offset0:51 offset1:52
	v_pk_add_f32 v[214:215], v[214:215], v[148:149] neg_lo:[0,1] neg_hi:[0,1]
	s_wait_dscnt 0x0
	v_pk_mul_f32 v[148:149], v[136:137], v[134:135] op_sel:[0,1]
	v_pk_fma_f32 v[150:151], v[136:137], v[132:133], v[148:149] op_sel:[0,0,1] op_sel_hi:[1,1,0] neg_lo:[0,0,1] neg_hi:[0,0,1]
	v_pk_fma_f32 v[136:137], v[136:137], v[132:133], v[148:149] op_sel:[0,0,1] op_sel_hi:[1,0,0]
	s_delay_alu instid0(VALU_DEP_1) | instskip(SKIP_1) | instid1(VALU_DEP_1)
	v_mov_b32_e32 v151, v137
	v_pk_mul_f32 v[136:137], v[138:139], v[134:135] op_sel:[0,1]
	v_pk_fma_f32 v[148:149], v[138:139], v[132:133], v[136:137] op_sel:[0,0,1] op_sel_hi:[1,1,0] neg_lo:[0,0,1] neg_hi:[0,0,1]
	v_pk_fma_f32 v[136:137], v[138:139], v[132:133], v[136:137] op_sel:[0,0,1] op_sel_hi:[1,0,0]
	s_delay_alu instid0(VALU_DEP_1)
	v_mov_b32_e32 v149, v137
	ds_load_2addr_b64 v[136:139], v222 offset0:53 offset1:54
	v_pk_add_f32 v[210:211], v[210:211], v[150:151] neg_lo:[0,1] neg_hi:[0,1]
	v_pk_add_f32 v[240:241], v[240:241], v[148:149] neg_lo:[0,1] neg_hi:[0,1]
	s_wait_dscnt 0x0
	v_pk_mul_f32 v[148:149], v[136:137], v[134:135] op_sel:[0,1]
	s_delay_alu instid0(VALU_DEP_1) | instskip(SKIP_1) | instid1(VALU_DEP_1)
	v_pk_fma_f32 v[150:151], v[136:137], v[132:133], v[148:149] op_sel:[0,0,1] op_sel_hi:[1,1,0] neg_lo:[0,0,1] neg_hi:[0,0,1]
	v_pk_fma_f32 v[136:137], v[136:137], v[132:133], v[148:149] op_sel:[0,0,1] op_sel_hi:[1,0,0]
	v_mov_b32_e32 v151, v137
	v_pk_mul_f32 v[136:137], v[138:139], v[134:135] op_sel:[0,1]
	s_delay_alu instid0(VALU_DEP_1) | instskip(SKIP_1) | instid1(VALU_DEP_1)
	v_pk_fma_f32 v[148:149], v[138:139], v[132:133], v[136:137] op_sel:[0,0,1] op_sel_hi:[1,1,0] neg_lo:[0,0,1] neg_hi:[0,0,1]
	v_pk_fma_f32 v[136:137], v[138:139], v[132:133], v[136:137] op_sel:[0,0,1] op_sel_hi:[1,0,0]
	v_mov_b32_e32 v149, v137
	ds_load_2addr_b64 v[136:139], v222 offset0:55 offset1:56
	v_pk_add_f32 v[232:233], v[232:233], v[150:151] neg_lo:[0,1] neg_hi:[0,1]
	v_pk_add_f32 v[238:239], v[238:239], v[148:149] neg_lo:[0,1] neg_hi:[0,1]
	s_wait_dscnt 0x0
	v_dual_mul_f32 v148, v137, v135 :: v_dual_mul_f32 v150, v137, v132
	s_delay_alu instid0(VALU_DEP_1) | instskip(NEXT) | instid1(VALU_DEP_2)
	v_pk_fma_f32 v[148:149], v[136:137], v[162:163], v[148:149] op_sel_hi:[1,1,0] neg_lo:[0,0,1] neg_hi:[0,0,1]
	v_pk_fma_f32 v[136:137], v[136:137], v[162:163], v[150:151] op_sel:[1,0,0] op_sel_hi:[0,1,0]
	s_delay_alu instid0(VALU_DEP_1) | instskip(SKIP_1) | instid1(VALU_DEP_2)
	v_mov_b32_e32 v149, v137
	v_pk_mul_f32 v[136:137], v[138:139], v[134:135] op_sel:[0,1]
	v_pk_add_f32 v[230:231], v[230:231], v[148:149] neg_lo:[0,1] neg_hi:[0,1]
	s_delay_alu instid0(VALU_DEP_2) | instskip(SKIP_1) | instid1(VALU_DEP_1)
	v_pk_fma_f32 v[148:149], v[138:139], v[132:133], v[136:137] op_sel:[0,0,1] op_sel_hi:[1,1,0] neg_lo:[0,0,1] neg_hi:[0,0,1]
	v_pk_fma_f32 v[136:137], v[138:139], v[132:133], v[136:137] op_sel:[0,0,1] op_sel_hi:[1,0,0]
	v_mov_b32_e32 v149, v137
	ds_load_2addr_b64 v[136:139], v222 offset0:57 offset1:58
	v_pk_add_f32 v[236:237], v[236:237], v[148:149] neg_lo:[0,1] neg_hi:[0,1]
	s_wait_dscnt 0x0
	v_pk_mul_f32 v[148:149], v[136:137], v[134:135] op_sel:[0,1]
	s_delay_alu instid0(VALU_DEP_1) | instskip(SKIP_1) | instid1(VALU_DEP_1)
	v_pk_fma_f32 v[150:151], v[136:137], v[132:133], v[148:149] op_sel:[0,0,1] op_sel_hi:[1,1,0] neg_lo:[0,0,1] neg_hi:[0,0,1]
	v_pk_fma_f32 v[136:137], v[136:137], v[132:133], v[148:149] op_sel:[0,0,1] op_sel_hi:[1,0,0]
	v_mov_b32_e32 v151, v137
	v_pk_mul_f32 v[136:137], v[138:139], v[134:135] op_sel:[0,1]
	s_delay_alu instid0(VALU_DEP_2) | instskip(NEXT) | instid1(VALU_DEP_2)
	v_pk_add_f32 v[228:229], v[228:229], v[150:151] neg_lo:[0,1] neg_hi:[0,1]
	v_pk_fma_f32 v[148:149], v[138:139], v[132:133], v[136:137] op_sel:[0,0,1] op_sel_hi:[1,1,0] neg_lo:[0,0,1] neg_hi:[0,0,1]
	v_pk_fma_f32 v[136:137], v[138:139], v[132:133], v[136:137] op_sel:[0,0,1] op_sel_hi:[1,0,0]
	s_delay_alu instid0(VALU_DEP_1)
	v_mov_b32_e32 v149, v137
	ds_load_2addr_b64 v[136:139], v222 offset0:59 offset1:60
	v_pk_add_f32 v[234:235], v[234:235], v[148:149] neg_lo:[0,1] neg_hi:[0,1]
	s_wait_dscnt 0x0
	v_pk_mul_f32 v[148:149], v[136:137], v[134:135] op_sel:[0,1]
	v_mul_f32_e32 v134, v139, v135
	s_delay_alu instid0(VALU_DEP_2) | instskip(SKIP_2) | instid1(VALU_DEP_4)
	v_pk_fma_f32 v[150:151], v[136:137], v[132:133], v[148:149] op_sel:[0,0,1] op_sel_hi:[1,1,0] neg_lo:[0,0,1] neg_hi:[0,0,1]
	v_pk_fma_f32 v[136:137], v[136:137], v[132:133], v[148:149] op_sel:[0,0,1] op_sel_hi:[1,0,0]
	v_dual_mov_b32 v136, v139 :: v_dual_mul_f32 v132, v139, v132
	v_pk_fma_f32 v[134:135], v[138:139], v[162:163], v[134:135] op_sel_hi:[1,1,0] neg_lo:[0,0,1] neg_hi:[0,0,1]
	s_delay_alu instid0(VALU_DEP_3) | instskip(NEXT) | instid1(VALU_DEP_1)
	v_dual_mov_b32 v151, v137 :: v_dual_mov_b32 v137, v138
	v_pk_add_f32 v[242:243], v[242:243], v[150:151] neg_lo:[0,1] neg_hi:[0,1]
	s_delay_alu instid0(VALU_DEP_2) | instskip(NEXT) | instid1(VALU_DEP_1)
	v_pk_fma_f32 v[132:133], v[136:137], v[162:163], v[132:133] op_sel_hi:[1,1,0]
	v_mov_b32_e32 v135, v133
	s_delay_alu instid0(VALU_DEP_1)
	v_pk_add_f32 v[244:245], v[244:245], v[134:135] neg_lo:[0,1] neg_hi:[0,1]
.LBB121_334:
	s_or_b32 exec_lo, exec_lo, s1
	s_delay_alu instid0(SALU_CYCLE_1)
	s_mov_b32 s2, exec_lo
	s_wait_dscnt 0x0
	s_barrier_signal -1
	s_barrier_wait -1
	v_cmpx_eq_u32_e32 37, v220
	s_cbranch_execz .LBB121_341
; %bb.335:
	v_dual_mov_b32 v132, v160 :: v_dual_mov_b32 v133, v161
	v_dual_mov_b32 v134, v156 :: v_dual_mov_b32 v135, v157
	ds_store_b64 v221, v[158:159]
	ds_store_2addr_b64 v222, v[132:133], v[134:135] offset0:38 offset1:39
	v_dual_mov_b32 v132, v178 :: v_dual_mov_b32 v133, v179
	v_dual_mov_b32 v134, v174 :: v_dual_mov_b32 v135, v175
	ds_store_2addr_b64 v222, v[132:133], v[134:135] offset0:40 offset1:41
	v_dual_mov_b32 v132, v176 :: v_dual_mov_b32 v133, v177
	v_dual_mov_b32 v134, v172 :: v_dual_mov_b32 v135, v173
	;; [unrolled: 3-line block ×10, first 2 shown]
	ds_store_2addr_b64 v222, v[132:133], v[134:135] offset0:58 offset1:59
	ds_store_b64 v222, v[244:245] offset:480
	ds_load_b64 v[132:133], v221
	s_wait_dscnt 0x0
	v_cmp_neq_f32_e32 vcc_lo, 0, v132
	v_cmp_neq_f32_e64 s1, 0, v133
	s_or_b32 s1, vcc_lo, s1
	s_delay_alu instid0(SALU_CYCLE_1)
	s_and_b32 exec_lo, exec_lo, s1
	s_cbranch_execz .LBB121_341
; %bb.336:
	v_cmp_ngt_f32_e64 s1, |v132|, |v133|
                                        ; implicit-def: $vgpr134_vgpr135
	s_and_saveexec_b32 s4, s1
	s_delay_alu instid0(SALU_CYCLE_1)
	s_xor_b32 s1, exec_lo, s4
	s_cbranch_execz .LBB121_338
; %bb.337:
	v_div_scale_f32 v134, null, v133, v133, v132
	v_div_scale_f32 v137, vcc_lo, v132, v133, v132
	s_delay_alu instid0(VALU_DEP_2) | instskip(SKIP_1) | instid1(TRANS32_DEP_1)
	v_rcp_f32_e32 v135, v134
	v_nop
	v_fma_f32 v136, -v134, v135, 1.0
	s_delay_alu instid0(VALU_DEP_1) | instskip(NEXT) | instid1(VALU_DEP_1)
	v_fmac_f32_e32 v135, v136, v135
	v_mul_f32_e32 v136, v137, v135
	s_delay_alu instid0(VALU_DEP_1) | instskip(NEXT) | instid1(VALU_DEP_1)
	v_fma_f32 v138, -v134, v136, v137
	v_fmac_f32_e32 v136, v138, v135
	s_delay_alu instid0(VALU_DEP_1) | instskip(NEXT) | instid1(VALU_DEP_1)
	v_fma_f32 v134, -v134, v136, v137
	v_div_fmas_f32 v134, v134, v135, v136
	s_delay_alu instid0(VALU_DEP_1) | instskip(NEXT) | instid1(VALU_DEP_1)
	v_div_fixup_f32 v134, v134, v133, v132
	v_fmac_f32_e32 v133, v132, v134
	s_delay_alu instid0(VALU_DEP_1) | instskip(SKIP_1) | instid1(VALU_DEP_2)
	v_div_scale_f32 v132, null, v133, v133, 1.0
	v_div_scale_f32 v137, vcc_lo, 1.0, v133, 1.0
	v_rcp_f32_e32 v135, v132
	v_nop
	s_delay_alu instid0(TRANS32_DEP_1) | instskip(NEXT) | instid1(VALU_DEP_1)
	v_fma_f32 v136, -v132, v135, 1.0
	v_fmac_f32_e32 v135, v136, v135
	s_delay_alu instid0(VALU_DEP_1) | instskip(NEXT) | instid1(VALU_DEP_1)
	v_mul_f32_e32 v136, v137, v135
	v_fma_f32 v138, -v132, v136, v137
	s_delay_alu instid0(VALU_DEP_1) | instskip(NEXT) | instid1(VALU_DEP_1)
	v_fmac_f32_e32 v136, v138, v135
	v_fma_f32 v132, -v132, v136, v137
	s_delay_alu instid0(VALU_DEP_1) | instskip(NEXT) | instid1(VALU_DEP_1)
	v_div_fmas_f32 v132, v132, v135, v136
	v_div_fixup_f32 v132, v132, v133, 1.0
	s_delay_alu instid0(VALU_DEP_1)
	v_mul_f32_e32 v134, v134, v132
	v_xor_b32_e32 v135, 0x80000000, v132
                                        ; implicit-def: $vgpr132_vgpr133
.LBB121_338:
	s_and_not1_saveexec_b32 s1, s1
	s_cbranch_execz .LBB121_340
; %bb.339:
	v_div_scale_f32 v134, null, v132, v132, v133
	v_div_scale_f32 v137, vcc_lo, v133, v132, v133
	s_delay_alu instid0(VALU_DEP_2) | instskip(SKIP_1) | instid1(TRANS32_DEP_1)
	v_rcp_f32_e32 v135, v134
	v_nop
	v_fma_f32 v136, -v134, v135, 1.0
	s_delay_alu instid0(VALU_DEP_1) | instskip(NEXT) | instid1(VALU_DEP_1)
	v_fmac_f32_e32 v135, v136, v135
	v_mul_f32_e32 v136, v137, v135
	s_delay_alu instid0(VALU_DEP_1) | instskip(NEXT) | instid1(VALU_DEP_1)
	v_fma_f32 v138, -v134, v136, v137
	v_fmac_f32_e32 v136, v138, v135
	s_delay_alu instid0(VALU_DEP_1) | instskip(NEXT) | instid1(VALU_DEP_1)
	v_fma_f32 v134, -v134, v136, v137
	v_div_fmas_f32 v134, v134, v135, v136
	s_delay_alu instid0(VALU_DEP_1) | instskip(NEXT) | instid1(VALU_DEP_1)
	v_div_fixup_f32 v135, v134, v132, v133
	v_fmac_f32_e32 v132, v133, v135
	s_delay_alu instid0(VALU_DEP_1) | instskip(NEXT) | instid1(VALU_DEP_1)
	v_div_scale_f32 v133, null, v132, v132, 1.0
	v_rcp_f32_e32 v134, v133
	v_nop
	s_delay_alu instid0(TRANS32_DEP_1) | instskip(NEXT) | instid1(VALU_DEP_1)
	v_fma_f32 v136, -v133, v134, 1.0
	v_fmac_f32_e32 v134, v136, v134
	v_div_scale_f32 v136, vcc_lo, 1.0, v132, 1.0
	s_delay_alu instid0(VALU_DEP_1) | instskip(NEXT) | instid1(VALU_DEP_1)
	v_mul_f32_e32 v137, v136, v134
	v_fma_f32 v138, -v133, v137, v136
	s_delay_alu instid0(VALU_DEP_1) | instskip(NEXT) | instid1(VALU_DEP_1)
	v_fmac_f32_e32 v137, v138, v134
	v_fma_f32 v133, -v133, v137, v136
	s_delay_alu instid0(VALU_DEP_1) | instskip(NEXT) | instid1(VALU_DEP_1)
	v_div_fmas_f32 v133, v133, v134, v137
	v_div_fixup_f32 v134, v133, v132, 1.0
	s_delay_alu instid0(VALU_DEP_1)
	v_mul_f32_e64 v135, v135, -v134
.LBB121_340:
	s_or_b32 exec_lo, exec_lo, s1
	ds_store_b64 v221, v[134:135]
.LBB121_341:
	s_or_b32 exec_lo, exec_lo, s2
	s_wait_dscnt 0x0
	s_barrier_signal -1
	s_barrier_wait -1
	ds_load_b64 v[132:133], v221
	s_mov_b32 s1, exec_lo
	v_cmpx_lt_u32_e32 37, v220
	s_cbranch_execz .LBB121_343
; %bb.342:
	ds_load_2addr_b64 v[148:151], v222 offset0:38 offset1:39
	s_wait_dscnt 0x1
	v_pk_mul_f32 v[136:137], v[132:133], v[158:159] op_sel:[1,1] op_sel_hi:[0,1]
	s_delay_alu instid0(VALU_DEP_1) | instskip(SKIP_1) | instid1(VALU_DEP_1)
	v_pk_fma_f32 v[134:135], v[132:133], v[158:159], v[136:137] op_sel_hi:[1,0,1] neg_lo:[0,0,1] neg_hi:[0,0,1]
	v_pk_fma_f32 v[136:137], v[132:133], v[158:159], v[136:137] op_sel_hi:[1,0,1]
	v_dual_mov_b32 v158, v134 :: v_dual_mov_b32 v159, v137
	s_wait_dscnt 0x0
	s_delay_alu instid0(VALU_DEP_2) | instskip(NEXT) | instid1(VALU_DEP_1)
	v_pk_mul_f32 v[138:139], v[148:149], v[136:137] op_sel:[0,1]
	v_pk_fma_f32 v[152:153], v[148:149], v[134:135], v[138:139] op_sel:[0,0,1] op_sel_hi:[1,1,0] neg_lo:[0,0,1] neg_hi:[0,0,1]
	v_pk_fma_f32 v[138:139], v[148:149], v[134:135], v[138:139] op_sel:[0,0,1] op_sel_hi:[1,0,0]
	s_delay_alu instid0(VALU_DEP_1) | instskip(SKIP_1) | instid1(VALU_DEP_1)
	v_mov_b32_e32 v153, v139
	v_pk_mul_f32 v[138:139], v[150:151], v[136:137] op_sel:[0,1]
	v_pk_fma_f32 v[148:149], v[150:151], v[134:135], v[138:139] op_sel:[0,0,1] op_sel_hi:[1,1,0] neg_lo:[0,0,1] neg_hi:[0,0,1]
	v_pk_fma_f32 v[138:139], v[150:151], v[134:135], v[138:139] op_sel:[0,0,1] op_sel_hi:[1,0,0]
	s_delay_alu instid0(VALU_DEP_1) | instskip(SKIP_1) | instid1(VALU_DEP_2)
	v_mov_b32_e32 v149, v139
	v_pk_add_f32 v[160:161], v[160:161], v[152:153] neg_lo:[0,1] neg_hi:[0,1]
	v_pk_add_f32 v[156:157], v[156:157], v[148:149] neg_lo:[0,1] neg_hi:[0,1]
	ds_load_2addr_b64 v[148:151], v222 offset0:40 offset1:41
	s_wait_dscnt 0x0
	v_pk_mul_f32 v[138:139], v[148:149], v[136:137] op_sel:[0,1]
	s_delay_alu instid0(VALU_DEP_1) | instskip(SKIP_2) | instid1(VALU_DEP_2)
	v_pk_fma_f32 v[152:153], v[148:149], v[134:135], v[138:139] op_sel:[0,0,1] op_sel_hi:[1,1,0] neg_lo:[0,0,1] neg_hi:[0,0,1]
	v_pk_fma_f32 v[138:139], v[148:149], v[134:135], v[138:139] op_sel:[0,0,1] op_sel_hi:[1,0,0]
	v_dual_mul_f32 v148, v151, v137 :: v_dual_mov_b32 v138, v151
	v_dual_mov_b32 v153, v139 :: v_dual_mov_b32 v139, v150
	s_delay_alu instid0(VALU_DEP_2) | instskip(SKIP_1) | instid1(VALU_DEP_3)
	v_pk_fma_f32 v[148:149], v[150:151], v[158:159], v[148:149] op_sel_hi:[1,1,0] neg_lo:[0,0,1] neg_hi:[0,0,1]
	v_mul_f32_e32 v150, v151, v134
	v_pk_add_f32 v[178:179], v[178:179], v[152:153] neg_lo:[0,1] neg_hi:[0,1]
	s_delay_alu instid0(VALU_DEP_2) | instskip(NEXT) | instid1(VALU_DEP_1)
	v_pk_fma_f32 v[138:139], v[138:139], v[158:159], v[150:151] op_sel_hi:[1,1,0]
	v_mov_b32_e32 v149, v139
	s_delay_alu instid0(VALU_DEP_1) | instskip(SKIP_3) | instid1(VALU_DEP_1)
	v_pk_add_f32 v[174:175], v[174:175], v[148:149] neg_lo:[0,1] neg_hi:[0,1]
	ds_load_2addr_b64 v[148:151], v222 offset0:42 offset1:43
	s_wait_dscnt 0x0
	v_pk_mul_f32 v[138:139], v[148:149], v[136:137] op_sel:[0,1]
	v_pk_fma_f32 v[152:153], v[148:149], v[134:135], v[138:139] op_sel:[0,0,1] op_sel_hi:[1,1,0] neg_lo:[0,0,1] neg_hi:[0,0,1]
	v_pk_fma_f32 v[138:139], v[148:149], v[134:135], v[138:139] op_sel:[0,0,1] op_sel_hi:[1,0,0]
	s_delay_alu instid0(VALU_DEP_1) | instskip(SKIP_1) | instid1(VALU_DEP_2)
	v_mov_b32_e32 v153, v139
	v_pk_mul_f32 v[138:139], v[150:151], v[136:137] op_sel:[0,1]
	v_pk_add_f32 v[176:177], v[176:177], v[152:153] neg_lo:[0,1] neg_hi:[0,1]
	s_delay_alu instid0(VALU_DEP_2) | instskip(SKIP_1) | instid1(VALU_DEP_1)
	v_pk_fma_f32 v[148:149], v[150:151], v[134:135], v[138:139] op_sel:[0,0,1] op_sel_hi:[1,1,0] neg_lo:[0,0,1] neg_hi:[0,0,1]
	v_pk_fma_f32 v[138:139], v[150:151], v[134:135], v[138:139] op_sel:[0,0,1] op_sel_hi:[1,0,0]
	v_mov_b32_e32 v149, v139
	s_delay_alu instid0(VALU_DEP_1) | instskip(SKIP_3) | instid1(VALU_DEP_1)
	v_pk_add_f32 v[172:173], v[172:173], v[148:149] neg_lo:[0,1] neg_hi:[0,1]
	ds_load_2addr_b64 v[148:151], v222 offset0:44 offset1:45
	s_wait_dscnt 0x0
	v_pk_mul_f32 v[138:139], v[148:149], v[136:137] op_sel:[0,1]
	v_pk_fma_f32 v[152:153], v[148:149], v[134:135], v[138:139] op_sel:[0,0,1] op_sel_hi:[1,1,0] neg_lo:[0,0,1] neg_hi:[0,0,1]
	v_pk_fma_f32 v[138:139], v[148:149], v[134:135], v[138:139] op_sel:[0,0,1] op_sel_hi:[1,0,0]
	s_delay_alu instid0(VALU_DEP_1) | instskip(SKIP_1) | instid1(VALU_DEP_2)
	v_mov_b32_e32 v153, v139
	v_pk_mul_f32 v[138:139], v[150:151], v[136:137] op_sel:[0,1]
	v_pk_add_f32 v[194:195], v[194:195], v[152:153] neg_lo:[0,1] neg_hi:[0,1]
	s_delay_alu instid0(VALU_DEP_2) | instskip(SKIP_1) | instid1(VALU_DEP_1)
	v_pk_fma_f32 v[148:149], v[150:151], v[134:135], v[138:139] op_sel:[0,0,1] op_sel_hi:[1,1,0] neg_lo:[0,0,1] neg_hi:[0,0,1]
	v_pk_fma_f32 v[138:139], v[150:151], v[134:135], v[138:139] op_sel:[0,0,1] op_sel_hi:[1,0,0]
	v_mov_b32_e32 v149, v139
	s_delay_alu instid0(VALU_DEP_1) | instskip(SKIP_3) | instid1(VALU_DEP_1)
	v_pk_add_f32 v[190:191], v[190:191], v[148:149] neg_lo:[0,1] neg_hi:[0,1]
	ds_load_2addr_b64 v[148:151], v222 offset0:46 offset1:47
	s_wait_dscnt 0x0
	v_dual_mul_f32 v138, v149, v137 :: v_dual_mul_f32 v152, v149, v134
	v_pk_fma_f32 v[138:139], v[148:149], v[158:159], v[138:139] op_sel_hi:[1,1,0] neg_lo:[0,0,1] neg_hi:[0,0,1]
	s_delay_alu instid0(VALU_DEP_2) | instskip(NEXT) | instid1(VALU_DEP_1)
	v_pk_fma_f32 v[148:149], v[148:149], v[158:159], v[152:153] op_sel:[1,0,0] op_sel_hi:[0,1,0]
	v_mov_b32_e32 v139, v149
	s_delay_alu instid0(VALU_DEP_1) | instskip(SKIP_1) | instid1(VALU_DEP_1)
	v_pk_add_f32 v[192:193], v[192:193], v[138:139] neg_lo:[0,1] neg_hi:[0,1]
	v_pk_mul_f32 v[138:139], v[150:151], v[136:137] op_sel:[0,1]
	v_pk_fma_f32 v[148:149], v[150:151], v[134:135], v[138:139] op_sel:[0,0,1] op_sel_hi:[1,1,0] neg_lo:[0,0,1] neg_hi:[0,0,1]
	v_pk_fma_f32 v[138:139], v[150:151], v[134:135], v[138:139] op_sel:[0,0,1] op_sel_hi:[1,0,0]
	s_delay_alu instid0(VALU_DEP_1) | instskip(NEXT) | instid1(VALU_DEP_1)
	v_mov_b32_e32 v149, v139
	v_pk_add_f32 v[188:189], v[188:189], v[148:149] neg_lo:[0,1] neg_hi:[0,1]
	ds_load_2addr_b64 v[148:151], v222 offset0:48 offset1:49
	s_wait_dscnt 0x0
	v_pk_mul_f32 v[138:139], v[148:149], v[136:137] op_sel:[0,1]
	s_delay_alu instid0(VALU_DEP_1) | instskip(SKIP_1) | instid1(VALU_DEP_1)
	v_pk_fma_f32 v[152:153], v[148:149], v[134:135], v[138:139] op_sel:[0,0,1] op_sel_hi:[1,1,0] neg_lo:[0,0,1] neg_hi:[0,0,1]
	v_pk_fma_f32 v[138:139], v[148:149], v[134:135], v[138:139] op_sel:[0,0,1] op_sel_hi:[1,0,0]
	v_mov_b32_e32 v153, v139
	v_pk_mul_f32 v[138:139], v[150:151], v[136:137] op_sel:[0,1]
	s_delay_alu instid0(VALU_DEP_2) | instskip(NEXT) | instid1(VALU_DEP_2)
	v_pk_add_f32 v[216:217], v[216:217], v[152:153] neg_lo:[0,1] neg_hi:[0,1]
	v_pk_fma_f32 v[148:149], v[150:151], v[134:135], v[138:139] op_sel:[0,0,1] op_sel_hi:[1,1,0] neg_lo:[0,0,1] neg_hi:[0,0,1]
	v_pk_fma_f32 v[138:139], v[150:151], v[134:135], v[138:139] op_sel:[0,0,1] op_sel_hi:[1,0,0]
	s_delay_alu instid0(VALU_DEP_1) | instskip(NEXT) | instid1(VALU_DEP_1)
	v_mov_b32_e32 v149, v139
	v_pk_add_f32 v[212:213], v[212:213], v[148:149] neg_lo:[0,1] neg_hi:[0,1]
	ds_load_2addr_b64 v[148:151], v222 offset0:50 offset1:51
	s_wait_dscnt 0x0
	v_pk_mul_f32 v[138:139], v[148:149], v[136:137] op_sel:[0,1]
	s_delay_alu instid0(VALU_DEP_1) | instskip(SKIP_2) | instid1(VALU_DEP_2)
	v_pk_fma_f32 v[152:153], v[148:149], v[134:135], v[138:139] op_sel:[0,0,1] op_sel_hi:[1,1,0] neg_lo:[0,0,1] neg_hi:[0,0,1]
	v_pk_fma_f32 v[138:139], v[148:149], v[134:135], v[138:139] op_sel:[0,0,1] op_sel_hi:[1,0,0]
	v_dual_mul_f32 v148, v151, v137 :: v_dual_mov_b32 v138, v151
	v_dual_mov_b32 v153, v139 :: v_dual_mov_b32 v139, v150
	s_delay_alu instid0(VALU_DEP_2) | instskip(SKIP_1) | instid1(VALU_DEP_3)
	v_pk_fma_f32 v[148:149], v[150:151], v[158:159], v[148:149] op_sel_hi:[1,1,0] neg_lo:[0,0,1] neg_hi:[0,0,1]
	v_mul_f32_e32 v150, v151, v134
	v_pk_add_f32 v[214:215], v[214:215], v[152:153] neg_lo:[0,1] neg_hi:[0,1]
	s_delay_alu instid0(VALU_DEP_2) | instskip(NEXT) | instid1(VALU_DEP_1)
	v_pk_fma_f32 v[138:139], v[138:139], v[158:159], v[150:151] op_sel_hi:[1,1,0]
	v_mov_b32_e32 v149, v139
	s_delay_alu instid0(VALU_DEP_1) | instskip(SKIP_3) | instid1(VALU_DEP_1)
	v_pk_add_f32 v[210:211], v[210:211], v[148:149] neg_lo:[0,1] neg_hi:[0,1]
	ds_load_2addr_b64 v[148:151], v222 offset0:52 offset1:53
	s_wait_dscnt 0x0
	v_pk_mul_f32 v[138:139], v[148:149], v[136:137] op_sel:[0,1]
	v_pk_fma_f32 v[152:153], v[148:149], v[134:135], v[138:139] op_sel:[0,0,1] op_sel_hi:[1,1,0] neg_lo:[0,0,1] neg_hi:[0,0,1]
	v_pk_fma_f32 v[138:139], v[148:149], v[134:135], v[138:139] op_sel:[0,0,1] op_sel_hi:[1,0,0]
	s_delay_alu instid0(VALU_DEP_1) | instskip(SKIP_1) | instid1(VALU_DEP_2)
	v_mov_b32_e32 v153, v139
	v_pk_mul_f32 v[138:139], v[150:151], v[136:137] op_sel:[0,1]
	v_pk_add_f32 v[240:241], v[240:241], v[152:153] neg_lo:[0,1] neg_hi:[0,1]
	s_delay_alu instid0(VALU_DEP_2) | instskip(SKIP_1) | instid1(VALU_DEP_1)
	v_pk_fma_f32 v[148:149], v[150:151], v[134:135], v[138:139] op_sel:[0,0,1] op_sel_hi:[1,1,0] neg_lo:[0,0,1] neg_hi:[0,0,1]
	v_pk_fma_f32 v[138:139], v[150:151], v[134:135], v[138:139] op_sel:[0,0,1] op_sel_hi:[1,0,0]
	v_mov_b32_e32 v149, v139
	s_delay_alu instid0(VALU_DEP_1) | instskip(SKIP_3) | instid1(VALU_DEP_1)
	v_pk_add_f32 v[232:233], v[232:233], v[148:149] neg_lo:[0,1] neg_hi:[0,1]
	ds_load_2addr_b64 v[148:151], v222 offset0:54 offset1:55
	s_wait_dscnt 0x0
	v_pk_mul_f32 v[138:139], v[148:149], v[136:137] op_sel:[0,1]
	v_pk_fma_f32 v[152:153], v[148:149], v[134:135], v[138:139] op_sel:[0,0,1] op_sel_hi:[1,1,0] neg_lo:[0,0,1] neg_hi:[0,0,1]
	v_pk_fma_f32 v[138:139], v[148:149], v[134:135], v[138:139] op_sel:[0,0,1] op_sel_hi:[1,0,0]
	s_delay_alu instid0(VALU_DEP_1) | instskip(SKIP_1) | instid1(VALU_DEP_2)
	v_mov_b32_e32 v153, v139
	v_pk_mul_f32 v[138:139], v[150:151], v[136:137] op_sel:[0,1]
	v_pk_add_f32 v[238:239], v[238:239], v[152:153] neg_lo:[0,1] neg_hi:[0,1]
	s_delay_alu instid0(VALU_DEP_2) | instskip(SKIP_1) | instid1(VALU_DEP_1)
	v_pk_fma_f32 v[148:149], v[150:151], v[134:135], v[138:139] op_sel:[0,0,1] op_sel_hi:[1,1,0] neg_lo:[0,0,1] neg_hi:[0,0,1]
	v_pk_fma_f32 v[138:139], v[150:151], v[134:135], v[138:139] op_sel:[0,0,1] op_sel_hi:[1,0,0]
	v_mov_b32_e32 v149, v139
	s_delay_alu instid0(VALU_DEP_1) | instskip(SKIP_3) | instid1(VALU_DEP_1)
	v_pk_add_f32 v[230:231], v[230:231], v[148:149] neg_lo:[0,1] neg_hi:[0,1]
	ds_load_2addr_b64 v[148:151], v222 offset0:56 offset1:57
	s_wait_dscnt 0x0
	v_dual_mul_f32 v138, v149, v137 :: v_dual_mul_f32 v152, v149, v134
	v_pk_fma_f32 v[138:139], v[148:149], v[158:159], v[138:139] op_sel_hi:[1,1,0] neg_lo:[0,0,1] neg_hi:[0,0,1]
	s_delay_alu instid0(VALU_DEP_2) | instskip(NEXT) | instid1(VALU_DEP_1)
	v_pk_fma_f32 v[148:149], v[148:149], v[158:159], v[152:153] op_sel:[1,0,0] op_sel_hi:[0,1,0]
	v_mov_b32_e32 v139, v149
	s_delay_alu instid0(VALU_DEP_1) | instskip(SKIP_1) | instid1(VALU_DEP_1)
	v_pk_add_f32 v[236:237], v[236:237], v[138:139] neg_lo:[0,1] neg_hi:[0,1]
	v_pk_mul_f32 v[138:139], v[150:151], v[136:137] op_sel:[0,1]
	v_pk_fma_f32 v[148:149], v[150:151], v[134:135], v[138:139] op_sel:[0,0,1] op_sel_hi:[1,1,0] neg_lo:[0,0,1] neg_hi:[0,0,1]
	v_pk_fma_f32 v[138:139], v[150:151], v[134:135], v[138:139] op_sel:[0,0,1] op_sel_hi:[1,0,0]
	s_delay_alu instid0(VALU_DEP_1) | instskip(NEXT) | instid1(VALU_DEP_1)
	v_mov_b32_e32 v149, v139
	v_pk_add_f32 v[228:229], v[228:229], v[148:149] neg_lo:[0,1] neg_hi:[0,1]
	ds_load_2addr_b64 v[148:151], v222 offset0:58 offset1:59
	s_wait_dscnt 0x0
	v_pk_mul_f32 v[138:139], v[148:149], v[136:137] op_sel:[0,1]
	s_delay_alu instid0(VALU_DEP_1) | instskip(SKIP_1) | instid1(VALU_DEP_1)
	v_pk_fma_f32 v[152:153], v[148:149], v[134:135], v[138:139] op_sel:[0,0,1] op_sel_hi:[1,1,0] neg_lo:[0,0,1] neg_hi:[0,0,1]
	v_pk_fma_f32 v[138:139], v[148:149], v[134:135], v[138:139] op_sel:[0,0,1] op_sel_hi:[1,0,0]
	v_mov_b32_e32 v153, v139
	v_pk_mul_f32 v[138:139], v[150:151], v[136:137] op_sel:[0,1]
	s_delay_alu instid0(VALU_DEP_2) | instskip(NEXT) | instid1(VALU_DEP_2)
	v_pk_add_f32 v[234:235], v[234:235], v[152:153] neg_lo:[0,1] neg_hi:[0,1]
	v_pk_fma_f32 v[148:149], v[150:151], v[134:135], v[138:139] op_sel:[0,0,1] op_sel_hi:[1,1,0] neg_lo:[0,0,1] neg_hi:[0,0,1]
	v_pk_fma_f32 v[138:139], v[150:151], v[134:135], v[138:139] op_sel:[0,0,1] op_sel_hi:[1,0,0]
	s_delay_alu instid0(VALU_DEP_1) | instskip(SKIP_4) | instid1(VALU_DEP_1)
	v_mov_b32_e32 v149, v139
	ds_load_b64 v[138:139], v222 offset:480
	v_pk_add_f32 v[242:243], v[242:243], v[148:149] neg_lo:[0,1] neg_hi:[0,1]
	s_wait_dscnt 0x0
	v_pk_mul_f32 v[136:137], v[138:139], v[136:137] op_sel:[0,1]
	v_pk_fma_f32 v[148:149], v[138:139], v[134:135], v[136:137] op_sel:[0,0,1] op_sel_hi:[1,1,0] neg_lo:[0,0,1] neg_hi:[0,0,1]
	v_pk_fma_f32 v[134:135], v[138:139], v[134:135], v[136:137] op_sel:[0,0,1] op_sel_hi:[1,0,0]
	s_delay_alu instid0(VALU_DEP_1) | instskip(NEXT) | instid1(VALU_DEP_1)
	v_mov_b32_e32 v149, v135
	v_pk_add_f32 v[244:245], v[244:245], v[148:149] neg_lo:[0,1] neg_hi:[0,1]
.LBB121_343:
	s_or_b32 exec_lo, exec_lo, s1
	s_delay_alu instid0(SALU_CYCLE_1)
	s_mov_b32 s2, exec_lo
	s_wait_dscnt 0x0
	s_barrier_signal -1
	s_barrier_wait -1
	v_cmpx_eq_u32_e32 38, v220
	s_cbranch_execz .LBB121_350
; %bb.344:
	ds_store_b64 v221, v[160:161]
	ds_store_2addr_b64 v222, v[156:157], v[178:179] offset0:39 offset1:40
	ds_store_2addr_b64 v222, v[174:175], v[176:177] offset0:41 offset1:42
	ds_store_2addr_b64 v222, v[172:173], v[194:195] offset0:43 offset1:44
	ds_store_2addr_b64 v222, v[190:191], v[192:193] offset0:45 offset1:46
	ds_store_2addr_b64 v222, v[188:189], v[216:217] offset0:47 offset1:48
	ds_store_2addr_b64 v222, v[212:213], v[214:215] offset0:49 offset1:50
	ds_store_2addr_b64 v222, v[210:211], v[240:241] offset0:51 offset1:52
	ds_store_2addr_b64 v222, v[232:233], v[238:239] offset0:53 offset1:54
	ds_store_2addr_b64 v222, v[230:231], v[236:237] offset0:55 offset1:56
	ds_store_2addr_b64 v222, v[228:229], v[234:235] offset0:57 offset1:58
	ds_store_2addr_b64 v222, v[242:243], v[244:245] offset0:59 offset1:60
	ds_load_b64 v[134:135], v221
	s_wait_dscnt 0x0
	v_cmp_neq_f32_e32 vcc_lo, 0, v134
	v_cmp_neq_f32_e64 s1, 0, v135
	s_or_b32 s1, vcc_lo, s1
	s_delay_alu instid0(SALU_CYCLE_1)
	s_and_b32 exec_lo, exec_lo, s1
	s_cbranch_execz .LBB121_350
; %bb.345:
	v_cmp_ngt_f32_e64 s1, |v134|, |v135|
                                        ; implicit-def: $vgpr136_vgpr137
	s_and_saveexec_b32 s4, s1
	s_delay_alu instid0(SALU_CYCLE_1)
	s_xor_b32 s1, exec_lo, s4
	s_cbranch_execz .LBB121_347
; %bb.346:
	v_div_scale_f32 v136, null, v135, v135, v134
	v_div_scale_f32 v139, vcc_lo, v134, v135, v134
	s_delay_alu instid0(VALU_DEP_2) | instskip(SKIP_1) | instid1(TRANS32_DEP_1)
	v_rcp_f32_e32 v137, v136
	v_nop
	v_fma_f32 v138, -v136, v137, 1.0
	s_delay_alu instid0(VALU_DEP_1) | instskip(NEXT) | instid1(VALU_DEP_1)
	v_fmac_f32_e32 v137, v138, v137
	v_mul_f32_e32 v138, v139, v137
	s_delay_alu instid0(VALU_DEP_1) | instskip(NEXT) | instid1(VALU_DEP_1)
	v_fma_f32 v148, -v136, v138, v139
	v_fmac_f32_e32 v138, v148, v137
	s_delay_alu instid0(VALU_DEP_1) | instskip(NEXT) | instid1(VALU_DEP_1)
	v_fma_f32 v136, -v136, v138, v139
	v_div_fmas_f32 v136, v136, v137, v138
	s_delay_alu instid0(VALU_DEP_1) | instskip(NEXT) | instid1(VALU_DEP_1)
	v_div_fixup_f32 v136, v136, v135, v134
	v_fmac_f32_e32 v135, v134, v136
	s_delay_alu instid0(VALU_DEP_1) | instskip(SKIP_1) | instid1(VALU_DEP_2)
	v_div_scale_f32 v134, null, v135, v135, 1.0
	v_div_scale_f32 v139, vcc_lo, 1.0, v135, 1.0
	v_rcp_f32_e32 v137, v134
	v_nop
	s_delay_alu instid0(TRANS32_DEP_1) | instskip(NEXT) | instid1(VALU_DEP_1)
	v_fma_f32 v138, -v134, v137, 1.0
	v_fmac_f32_e32 v137, v138, v137
	s_delay_alu instid0(VALU_DEP_1) | instskip(NEXT) | instid1(VALU_DEP_1)
	v_mul_f32_e32 v138, v139, v137
	v_fma_f32 v148, -v134, v138, v139
	s_delay_alu instid0(VALU_DEP_1) | instskip(NEXT) | instid1(VALU_DEP_1)
	v_fmac_f32_e32 v138, v148, v137
	v_fma_f32 v134, -v134, v138, v139
	s_delay_alu instid0(VALU_DEP_1) | instskip(NEXT) | instid1(VALU_DEP_1)
	v_div_fmas_f32 v134, v134, v137, v138
	v_div_fixup_f32 v134, v134, v135, 1.0
	s_delay_alu instid0(VALU_DEP_1)
	v_mul_f32_e32 v136, v136, v134
	v_xor_b32_e32 v137, 0x80000000, v134
                                        ; implicit-def: $vgpr134_vgpr135
.LBB121_347:
	s_and_not1_saveexec_b32 s1, s1
	s_cbranch_execz .LBB121_349
; %bb.348:
	v_div_scale_f32 v136, null, v134, v134, v135
	v_div_scale_f32 v139, vcc_lo, v135, v134, v135
	s_delay_alu instid0(VALU_DEP_2) | instskip(SKIP_1) | instid1(TRANS32_DEP_1)
	v_rcp_f32_e32 v137, v136
	v_nop
	v_fma_f32 v138, -v136, v137, 1.0
	s_delay_alu instid0(VALU_DEP_1) | instskip(NEXT) | instid1(VALU_DEP_1)
	v_fmac_f32_e32 v137, v138, v137
	v_mul_f32_e32 v138, v139, v137
	s_delay_alu instid0(VALU_DEP_1) | instskip(NEXT) | instid1(VALU_DEP_1)
	v_fma_f32 v148, -v136, v138, v139
	v_fmac_f32_e32 v138, v148, v137
	s_delay_alu instid0(VALU_DEP_1) | instskip(NEXT) | instid1(VALU_DEP_1)
	v_fma_f32 v136, -v136, v138, v139
	v_div_fmas_f32 v136, v136, v137, v138
	s_delay_alu instid0(VALU_DEP_1) | instskip(NEXT) | instid1(VALU_DEP_1)
	v_div_fixup_f32 v137, v136, v134, v135
	v_fmac_f32_e32 v134, v135, v137
	s_delay_alu instid0(VALU_DEP_1) | instskip(NEXT) | instid1(VALU_DEP_1)
	v_div_scale_f32 v135, null, v134, v134, 1.0
	v_rcp_f32_e32 v136, v135
	v_nop
	s_delay_alu instid0(TRANS32_DEP_1) | instskip(NEXT) | instid1(VALU_DEP_1)
	v_fma_f32 v138, -v135, v136, 1.0
	v_fmac_f32_e32 v136, v138, v136
	v_div_scale_f32 v138, vcc_lo, 1.0, v134, 1.0
	s_delay_alu instid0(VALU_DEP_1) | instskip(NEXT) | instid1(VALU_DEP_1)
	v_mul_f32_e32 v139, v138, v136
	v_fma_f32 v148, -v135, v139, v138
	s_delay_alu instid0(VALU_DEP_1) | instskip(NEXT) | instid1(VALU_DEP_1)
	v_fmac_f32_e32 v139, v148, v136
	v_fma_f32 v135, -v135, v139, v138
	s_delay_alu instid0(VALU_DEP_1) | instskip(NEXT) | instid1(VALU_DEP_1)
	v_div_fmas_f32 v135, v135, v136, v139
	v_div_fixup_f32 v136, v135, v134, 1.0
	s_delay_alu instid0(VALU_DEP_1)
	v_mul_f32_e64 v137, v137, -v136
.LBB121_349:
	s_or_b32 exec_lo, exec_lo, s1
	ds_store_b64 v221, v[136:137]
.LBB121_350:
	s_or_b32 exec_lo, exec_lo, s2
	s_wait_dscnt 0x0
	s_barrier_signal -1
	s_barrier_wait -1
	ds_load_b64 v[134:135], v221
	s_mov_b32 s1, exec_lo
	v_cmpx_lt_u32_e32 38, v220
	s_cbranch_execz .LBB121_352
; %bb.351:
	ds_load_2addr_b64 v[148:151], v222 offset0:39 offset1:40
	s_wait_dscnt 0x1
	v_pk_mul_f32 v[138:139], v[134:135], v[160:161] op_sel:[1,1] op_sel_hi:[0,1]
	s_delay_alu instid0(VALU_DEP_1) | instskip(SKIP_1) | instid1(VALU_DEP_1)
	v_pk_fma_f32 v[136:137], v[134:135], v[160:161], v[138:139] op_sel_hi:[1,0,1] neg_lo:[0,0,1] neg_hi:[0,0,1]
	v_pk_fma_f32 v[138:139], v[134:135], v[160:161], v[138:139] op_sel_hi:[1,0,1]
	v_dual_mov_b32 v160, v136 :: v_dual_mov_b32 v161, v139
	s_wait_dscnt 0x0
	s_delay_alu instid0(VALU_DEP_2) | instskip(NEXT) | instid1(VALU_DEP_1)
	v_pk_mul_f32 v[152:153], v[148:149], v[138:139] op_sel:[0,1]
	v_pk_fma_f32 v[154:155], v[148:149], v[136:137], v[152:153] op_sel:[0,0,1] op_sel_hi:[1,1,0] neg_lo:[0,0,1] neg_hi:[0,0,1]
	v_pk_fma_f32 v[148:149], v[148:149], v[136:137], v[152:153] op_sel:[0,0,1] op_sel_hi:[1,0,0]
	s_delay_alu instid0(VALU_DEP_1) | instskip(SKIP_1) | instid1(VALU_DEP_1)
	v_mov_b32_e32 v155, v149
	v_pk_mul_f32 v[148:149], v[150:151], v[138:139] op_sel:[0,1]
	v_pk_fma_f32 v[152:153], v[150:151], v[136:137], v[148:149] op_sel:[0,0,1] op_sel_hi:[1,1,0] neg_lo:[0,0,1] neg_hi:[0,0,1]
	v_pk_fma_f32 v[148:149], v[150:151], v[136:137], v[148:149] op_sel:[0,0,1] op_sel_hi:[1,0,0]
	s_delay_alu instid0(VALU_DEP_1)
	v_mov_b32_e32 v153, v149
	ds_load_2addr_b64 v[148:151], v222 offset0:41 offset1:42
	v_pk_add_f32 v[156:157], v[156:157], v[154:155] neg_lo:[0,1] neg_hi:[0,1]
	v_pk_add_f32 v[178:179], v[178:179], v[152:153] neg_lo:[0,1] neg_hi:[0,1]
	s_wait_dscnt 0x0
	v_pk_mul_f32 v[152:153], v[148:149], v[138:139] op_sel:[0,1]
	s_delay_alu instid0(VALU_DEP_1) | instskip(SKIP_2) | instid1(VALU_DEP_2)
	v_pk_fma_f32 v[154:155], v[148:149], v[136:137], v[152:153] op_sel:[0,0,1] op_sel_hi:[1,1,0] neg_lo:[0,0,1] neg_hi:[0,0,1]
	v_pk_fma_f32 v[148:149], v[148:149], v[136:137], v[152:153] op_sel:[0,0,1] op_sel_hi:[1,0,0]
	v_dual_mul_f32 v152, v151, v139 :: v_dual_mov_b32 v148, v151
	v_dual_mov_b32 v155, v149 :: v_dual_mov_b32 v149, v150
	s_delay_alu instid0(VALU_DEP_2) | instskip(SKIP_1) | instid1(VALU_DEP_3)
	v_pk_fma_f32 v[152:153], v[150:151], v[160:161], v[152:153] op_sel_hi:[1,1,0] neg_lo:[0,0,1] neg_hi:[0,0,1]
	v_mul_f32_e32 v150, v151, v136
	v_pk_add_f32 v[174:175], v[174:175], v[154:155] neg_lo:[0,1] neg_hi:[0,1]
	s_delay_alu instid0(VALU_DEP_2) | instskip(NEXT) | instid1(VALU_DEP_1)
	v_pk_fma_f32 v[148:149], v[148:149], v[160:161], v[150:151] op_sel_hi:[1,1,0]
	v_mov_b32_e32 v153, v149
	ds_load_2addr_b64 v[148:151], v222 offset0:43 offset1:44
	v_pk_add_f32 v[176:177], v[176:177], v[152:153] neg_lo:[0,1] neg_hi:[0,1]
	s_wait_dscnt 0x0
	v_pk_mul_f32 v[152:153], v[148:149], v[138:139] op_sel:[0,1]
	s_delay_alu instid0(VALU_DEP_1) | instskip(SKIP_1) | instid1(VALU_DEP_1)
	v_pk_fma_f32 v[154:155], v[148:149], v[136:137], v[152:153] op_sel:[0,0,1] op_sel_hi:[1,1,0] neg_lo:[0,0,1] neg_hi:[0,0,1]
	v_pk_fma_f32 v[148:149], v[148:149], v[136:137], v[152:153] op_sel:[0,0,1] op_sel_hi:[1,0,0]
	v_mov_b32_e32 v155, v149
	v_pk_mul_f32 v[148:149], v[150:151], v[138:139] op_sel:[0,1]
	s_delay_alu instid0(VALU_DEP_1) | instskip(SKIP_1) | instid1(VALU_DEP_1)
	v_pk_fma_f32 v[152:153], v[150:151], v[136:137], v[148:149] op_sel:[0,0,1] op_sel_hi:[1,1,0] neg_lo:[0,0,1] neg_hi:[0,0,1]
	v_pk_fma_f32 v[148:149], v[150:151], v[136:137], v[148:149] op_sel:[0,0,1] op_sel_hi:[1,0,0]
	v_mov_b32_e32 v153, v149
	ds_load_2addr_b64 v[148:151], v222 offset0:45 offset1:46
	v_pk_add_f32 v[172:173], v[172:173], v[154:155] neg_lo:[0,1] neg_hi:[0,1]
	v_pk_add_f32 v[194:195], v[194:195], v[152:153] neg_lo:[0,1] neg_hi:[0,1]
	s_wait_dscnt 0x0
	v_pk_mul_f32 v[152:153], v[148:149], v[138:139] op_sel:[0,1]
	s_delay_alu instid0(VALU_DEP_1) | instskip(SKIP_1) | instid1(VALU_DEP_1)
	v_pk_fma_f32 v[154:155], v[148:149], v[136:137], v[152:153] op_sel:[0,0,1] op_sel_hi:[1,1,0] neg_lo:[0,0,1] neg_hi:[0,0,1]
	v_pk_fma_f32 v[148:149], v[148:149], v[136:137], v[152:153] op_sel:[0,0,1] op_sel_hi:[1,0,0]
	v_mov_b32_e32 v155, v149
	v_pk_mul_f32 v[148:149], v[150:151], v[138:139] op_sel:[0,1]
	s_delay_alu instid0(VALU_DEP_1) | instskip(SKIP_1) | instid1(VALU_DEP_1)
	v_pk_fma_f32 v[152:153], v[150:151], v[136:137], v[148:149] op_sel:[0,0,1] op_sel_hi:[1,1,0] neg_lo:[0,0,1] neg_hi:[0,0,1]
	v_pk_fma_f32 v[148:149], v[150:151], v[136:137], v[148:149] op_sel:[0,0,1] op_sel_hi:[1,0,0]
	v_mov_b32_e32 v153, v149
	ds_load_2addr_b64 v[148:151], v222 offset0:47 offset1:48
	v_pk_add_f32 v[190:191], v[190:191], v[154:155] neg_lo:[0,1] neg_hi:[0,1]
	v_pk_add_f32 v[192:193], v[192:193], v[152:153] neg_lo:[0,1] neg_hi:[0,1]
	s_wait_dscnt 0x0
	v_dual_mul_f32 v152, v149, v139 :: v_dual_mul_f32 v154, v149, v136
	s_delay_alu instid0(VALU_DEP_1) | instskip(NEXT) | instid1(VALU_DEP_2)
	v_pk_fma_f32 v[152:153], v[148:149], v[160:161], v[152:153] op_sel_hi:[1,1,0] neg_lo:[0,0,1] neg_hi:[0,0,1]
	v_pk_fma_f32 v[148:149], v[148:149], v[160:161], v[154:155] op_sel:[1,0,0] op_sel_hi:[0,1,0]
	s_delay_alu instid0(VALU_DEP_1) | instskip(SKIP_1) | instid1(VALU_DEP_2)
	v_mov_b32_e32 v153, v149
	v_pk_mul_f32 v[148:149], v[150:151], v[138:139] op_sel:[0,1]
	v_pk_add_f32 v[188:189], v[188:189], v[152:153] neg_lo:[0,1] neg_hi:[0,1]
	s_delay_alu instid0(VALU_DEP_2) | instskip(SKIP_1) | instid1(VALU_DEP_1)
	v_pk_fma_f32 v[152:153], v[150:151], v[136:137], v[148:149] op_sel:[0,0,1] op_sel_hi:[1,1,0] neg_lo:[0,0,1] neg_hi:[0,0,1]
	v_pk_fma_f32 v[148:149], v[150:151], v[136:137], v[148:149] op_sel:[0,0,1] op_sel_hi:[1,0,0]
	v_mov_b32_e32 v153, v149
	ds_load_2addr_b64 v[148:151], v222 offset0:49 offset1:50
	v_pk_add_f32 v[216:217], v[216:217], v[152:153] neg_lo:[0,1] neg_hi:[0,1]
	s_wait_dscnt 0x0
	v_pk_mul_f32 v[152:153], v[148:149], v[138:139] op_sel:[0,1]
	s_delay_alu instid0(VALU_DEP_1) | instskip(SKIP_1) | instid1(VALU_DEP_1)
	v_pk_fma_f32 v[154:155], v[148:149], v[136:137], v[152:153] op_sel:[0,0,1] op_sel_hi:[1,1,0] neg_lo:[0,0,1] neg_hi:[0,0,1]
	v_pk_fma_f32 v[148:149], v[148:149], v[136:137], v[152:153] op_sel:[0,0,1] op_sel_hi:[1,0,0]
	v_mov_b32_e32 v155, v149
	v_pk_mul_f32 v[148:149], v[150:151], v[138:139] op_sel:[0,1]
	s_delay_alu instid0(VALU_DEP_2) | instskip(NEXT) | instid1(VALU_DEP_2)
	v_pk_add_f32 v[212:213], v[212:213], v[154:155] neg_lo:[0,1] neg_hi:[0,1]
	v_pk_fma_f32 v[152:153], v[150:151], v[136:137], v[148:149] op_sel:[0,0,1] op_sel_hi:[1,1,0] neg_lo:[0,0,1] neg_hi:[0,0,1]
	v_pk_fma_f32 v[148:149], v[150:151], v[136:137], v[148:149] op_sel:[0,0,1] op_sel_hi:[1,0,0]
	s_delay_alu instid0(VALU_DEP_1) | instskip(SKIP_4) | instid1(VALU_DEP_1)
	v_mov_b32_e32 v153, v149
	ds_load_2addr_b64 v[148:151], v222 offset0:51 offset1:52
	v_pk_add_f32 v[214:215], v[214:215], v[152:153] neg_lo:[0,1] neg_hi:[0,1]
	s_wait_dscnt 0x0
	v_pk_mul_f32 v[152:153], v[148:149], v[138:139] op_sel:[0,1]
	v_pk_fma_f32 v[154:155], v[148:149], v[136:137], v[152:153] op_sel:[0,0,1] op_sel_hi:[1,1,0] neg_lo:[0,0,1] neg_hi:[0,0,1]
	v_pk_fma_f32 v[148:149], v[148:149], v[136:137], v[152:153] op_sel:[0,0,1] op_sel_hi:[1,0,0]
	v_dual_mul_f32 v152, v151, v139 :: v_dual_mov_b32 v148, v151
	s_delay_alu instid0(VALU_DEP_2) | instskip(NEXT) | instid1(VALU_DEP_2)
	v_dual_mov_b32 v155, v149 :: v_dual_mov_b32 v149, v150
	v_pk_fma_f32 v[152:153], v[150:151], v[160:161], v[152:153] op_sel_hi:[1,1,0] neg_lo:[0,0,1] neg_hi:[0,0,1]
	v_mul_f32_e32 v150, v151, v136
	s_delay_alu instid0(VALU_DEP_3) | instskip(NEXT) | instid1(VALU_DEP_2)
	v_pk_add_f32 v[210:211], v[210:211], v[154:155] neg_lo:[0,1] neg_hi:[0,1]
	v_pk_fma_f32 v[148:149], v[148:149], v[160:161], v[150:151] op_sel_hi:[1,1,0]
	s_delay_alu instid0(VALU_DEP_1) | instskip(SKIP_4) | instid1(VALU_DEP_1)
	v_mov_b32_e32 v153, v149
	ds_load_2addr_b64 v[148:151], v222 offset0:53 offset1:54
	v_pk_add_f32 v[240:241], v[240:241], v[152:153] neg_lo:[0,1] neg_hi:[0,1]
	s_wait_dscnt 0x0
	v_pk_mul_f32 v[152:153], v[148:149], v[138:139] op_sel:[0,1]
	v_pk_fma_f32 v[154:155], v[148:149], v[136:137], v[152:153] op_sel:[0,0,1] op_sel_hi:[1,1,0] neg_lo:[0,0,1] neg_hi:[0,0,1]
	v_pk_fma_f32 v[148:149], v[148:149], v[136:137], v[152:153] op_sel:[0,0,1] op_sel_hi:[1,0,0]
	s_delay_alu instid0(VALU_DEP_1) | instskip(SKIP_1) | instid1(VALU_DEP_1)
	v_mov_b32_e32 v155, v149
	v_pk_mul_f32 v[148:149], v[150:151], v[138:139] op_sel:[0,1]
	v_pk_fma_f32 v[152:153], v[150:151], v[136:137], v[148:149] op_sel:[0,0,1] op_sel_hi:[1,1,0] neg_lo:[0,0,1] neg_hi:[0,0,1]
	v_pk_fma_f32 v[148:149], v[150:151], v[136:137], v[148:149] op_sel:[0,0,1] op_sel_hi:[1,0,0]
	s_delay_alu instid0(VALU_DEP_1)
	v_mov_b32_e32 v153, v149
	ds_load_2addr_b64 v[148:151], v222 offset0:55 offset1:56
	v_pk_add_f32 v[232:233], v[232:233], v[154:155] neg_lo:[0,1] neg_hi:[0,1]
	v_pk_add_f32 v[238:239], v[238:239], v[152:153] neg_lo:[0,1] neg_hi:[0,1]
	s_wait_dscnt 0x0
	v_pk_mul_f32 v[152:153], v[148:149], v[138:139] op_sel:[0,1]
	s_delay_alu instid0(VALU_DEP_1) | instskip(SKIP_1) | instid1(VALU_DEP_1)
	v_pk_fma_f32 v[154:155], v[148:149], v[136:137], v[152:153] op_sel:[0,0,1] op_sel_hi:[1,1,0] neg_lo:[0,0,1] neg_hi:[0,0,1]
	v_pk_fma_f32 v[148:149], v[148:149], v[136:137], v[152:153] op_sel:[0,0,1] op_sel_hi:[1,0,0]
	v_mov_b32_e32 v155, v149
	v_pk_mul_f32 v[148:149], v[150:151], v[138:139] op_sel:[0,1]
	s_delay_alu instid0(VALU_DEP_1) | instskip(SKIP_1) | instid1(VALU_DEP_1)
	v_pk_fma_f32 v[152:153], v[150:151], v[136:137], v[148:149] op_sel:[0,0,1] op_sel_hi:[1,1,0] neg_lo:[0,0,1] neg_hi:[0,0,1]
	v_pk_fma_f32 v[148:149], v[150:151], v[136:137], v[148:149] op_sel:[0,0,1] op_sel_hi:[1,0,0]
	v_mov_b32_e32 v153, v149
	ds_load_2addr_b64 v[148:151], v222 offset0:57 offset1:58
	v_pk_add_f32 v[230:231], v[230:231], v[154:155] neg_lo:[0,1] neg_hi:[0,1]
	v_pk_add_f32 v[236:237], v[236:237], v[152:153] neg_lo:[0,1] neg_hi:[0,1]
	s_wait_dscnt 0x0
	v_dual_mul_f32 v152, v149, v139 :: v_dual_mul_f32 v154, v149, v136
	s_delay_alu instid0(VALU_DEP_1) | instskip(NEXT) | instid1(VALU_DEP_2)
	v_pk_fma_f32 v[152:153], v[148:149], v[160:161], v[152:153] op_sel_hi:[1,1,0] neg_lo:[0,0,1] neg_hi:[0,0,1]
	v_pk_fma_f32 v[148:149], v[148:149], v[160:161], v[154:155] op_sel:[1,0,0] op_sel_hi:[0,1,0]
	s_delay_alu instid0(VALU_DEP_1) | instskip(SKIP_1) | instid1(VALU_DEP_2)
	v_mov_b32_e32 v153, v149
	v_pk_mul_f32 v[148:149], v[150:151], v[138:139] op_sel:[0,1]
	v_pk_add_f32 v[228:229], v[228:229], v[152:153] neg_lo:[0,1] neg_hi:[0,1]
	s_delay_alu instid0(VALU_DEP_2) | instskip(SKIP_1) | instid1(VALU_DEP_1)
	v_pk_fma_f32 v[152:153], v[150:151], v[136:137], v[148:149] op_sel:[0,0,1] op_sel_hi:[1,1,0] neg_lo:[0,0,1] neg_hi:[0,0,1]
	v_pk_fma_f32 v[148:149], v[150:151], v[136:137], v[148:149] op_sel:[0,0,1] op_sel_hi:[1,0,0]
	v_mov_b32_e32 v153, v149
	ds_load_2addr_b64 v[148:151], v222 offset0:59 offset1:60
	v_pk_add_f32 v[234:235], v[234:235], v[152:153] neg_lo:[0,1] neg_hi:[0,1]
	s_wait_dscnt 0x0
	v_pk_mul_f32 v[152:153], v[148:149], v[138:139] op_sel:[0,1]
	v_pk_mul_f32 v[138:139], v[150:151], v[138:139] op_sel:[0,1]
	s_delay_alu instid0(VALU_DEP_2) | instskip(SKIP_1) | instid1(VALU_DEP_1)
	v_pk_fma_f32 v[154:155], v[148:149], v[136:137], v[152:153] op_sel:[0,0,1] op_sel_hi:[1,1,0] neg_lo:[0,0,1] neg_hi:[0,0,1]
	v_pk_fma_f32 v[148:149], v[148:149], v[136:137], v[152:153] op_sel:[0,0,1] op_sel_hi:[1,0,0]
	v_mov_b32_e32 v155, v149
	s_delay_alu instid0(VALU_DEP_4) | instskip(SKIP_1) | instid1(VALU_DEP_3)
	v_pk_fma_f32 v[148:149], v[150:151], v[136:137], v[138:139] op_sel:[0,0,1] op_sel_hi:[1,1,0] neg_lo:[0,0,1] neg_hi:[0,0,1]
	v_pk_fma_f32 v[136:137], v[150:151], v[136:137], v[138:139] op_sel:[0,0,1] op_sel_hi:[1,0,0]
	v_pk_add_f32 v[242:243], v[242:243], v[154:155] neg_lo:[0,1] neg_hi:[0,1]
	s_delay_alu instid0(VALU_DEP_2) | instskip(NEXT) | instid1(VALU_DEP_1)
	v_mov_b32_e32 v149, v137
	v_pk_add_f32 v[244:245], v[244:245], v[148:149] neg_lo:[0,1] neg_hi:[0,1]
.LBB121_352:
	s_or_b32 exec_lo, exec_lo, s1
	s_delay_alu instid0(SALU_CYCLE_1)
	s_mov_b32 s2, exec_lo
	s_wait_dscnt 0x0
	s_barrier_signal -1
	s_barrier_wait -1
	v_cmpx_eq_u32_e32 39, v220
	s_cbranch_execz .LBB121_359
; %bb.353:
	v_dual_mov_b32 v136, v178 :: v_dual_mov_b32 v137, v179
	v_dual_mov_b32 v138, v174 :: v_dual_mov_b32 v139, v175
	ds_store_b64 v221, v[156:157]
	ds_store_2addr_b64 v222, v[136:137], v[138:139] offset0:40 offset1:41
	v_dual_mov_b32 v136, v176 :: v_dual_mov_b32 v137, v177
	v_dual_mov_b32 v138, v172 :: v_dual_mov_b32 v139, v173
	ds_store_2addr_b64 v222, v[136:137], v[138:139] offset0:42 offset1:43
	v_dual_mov_b32 v136, v194 :: v_dual_mov_b32 v137, v195
	v_dual_mov_b32 v138, v190 :: v_dual_mov_b32 v139, v191
	ds_store_2addr_b64 v222, v[136:137], v[138:139] offset0:44 offset1:45
	v_dual_mov_b32 v136, v192 :: v_dual_mov_b32 v137, v193
	v_dual_mov_b32 v138, v188 :: v_dual_mov_b32 v139, v189
	ds_store_2addr_b64 v222, v[136:137], v[138:139] offset0:46 offset1:47
	v_dual_mov_b32 v136, v216 :: v_dual_mov_b32 v137, v217
	v_dual_mov_b32 v138, v212 :: v_dual_mov_b32 v139, v213
	ds_store_2addr_b64 v222, v[136:137], v[138:139] offset0:48 offset1:49
	v_dual_mov_b32 v136, v214 :: v_dual_mov_b32 v137, v215
	v_dual_mov_b32 v138, v210 :: v_dual_mov_b32 v139, v211
	ds_store_2addr_b64 v222, v[136:137], v[138:139] offset0:50 offset1:51
	v_dual_mov_b32 v136, v240 :: v_dual_mov_b32 v137, v241
	v_dual_mov_b32 v138, v232 :: v_dual_mov_b32 v139, v233
	ds_store_2addr_b64 v222, v[136:137], v[138:139] offset0:52 offset1:53
	v_dual_mov_b32 v136, v238 :: v_dual_mov_b32 v137, v239
	v_dual_mov_b32 v138, v230 :: v_dual_mov_b32 v139, v231
	ds_store_2addr_b64 v222, v[136:137], v[138:139] offset0:54 offset1:55
	v_dual_mov_b32 v136, v236 :: v_dual_mov_b32 v137, v237
	v_dual_mov_b32 v138, v228 :: v_dual_mov_b32 v139, v229
	ds_store_2addr_b64 v222, v[136:137], v[138:139] offset0:56 offset1:57
	v_dual_mov_b32 v136, v234 :: v_dual_mov_b32 v137, v235
	v_dual_mov_b32 v138, v242 :: v_dual_mov_b32 v139, v243
	ds_store_2addr_b64 v222, v[136:137], v[138:139] offset0:58 offset1:59
	ds_store_b64 v222, v[244:245] offset:480
	ds_load_b64 v[136:137], v221
	s_wait_dscnt 0x0
	v_cmp_neq_f32_e32 vcc_lo, 0, v136
	v_cmp_neq_f32_e64 s1, 0, v137
	s_or_b32 s1, vcc_lo, s1
	s_delay_alu instid0(SALU_CYCLE_1)
	s_and_b32 exec_lo, exec_lo, s1
	s_cbranch_execz .LBB121_359
; %bb.354:
	v_cmp_ngt_f32_e64 s1, |v136|, |v137|
                                        ; implicit-def: $vgpr138_vgpr139
	s_and_saveexec_b32 s4, s1
	s_delay_alu instid0(SALU_CYCLE_1)
	s_xor_b32 s1, exec_lo, s4
	s_cbranch_execz .LBB121_356
; %bb.355:
	v_div_scale_f32 v138, null, v137, v137, v136
	v_div_scale_f32 v149, vcc_lo, v136, v137, v136
	s_delay_alu instid0(VALU_DEP_2) | instskip(SKIP_1) | instid1(TRANS32_DEP_1)
	v_rcp_f32_e32 v139, v138
	v_nop
	v_fma_f32 v148, -v138, v139, 1.0
	s_delay_alu instid0(VALU_DEP_1) | instskip(NEXT) | instid1(VALU_DEP_1)
	v_fmac_f32_e32 v139, v148, v139
	v_mul_f32_e32 v148, v149, v139
	s_delay_alu instid0(VALU_DEP_1) | instskip(NEXT) | instid1(VALU_DEP_1)
	v_fma_f32 v150, -v138, v148, v149
	v_fmac_f32_e32 v148, v150, v139
	s_delay_alu instid0(VALU_DEP_1) | instskip(NEXT) | instid1(VALU_DEP_1)
	v_fma_f32 v138, -v138, v148, v149
	v_div_fmas_f32 v138, v138, v139, v148
	s_delay_alu instid0(VALU_DEP_1) | instskip(NEXT) | instid1(VALU_DEP_1)
	v_div_fixup_f32 v138, v138, v137, v136
	v_fmac_f32_e32 v137, v136, v138
	s_delay_alu instid0(VALU_DEP_1) | instskip(SKIP_1) | instid1(VALU_DEP_2)
	v_div_scale_f32 v136, null, v137, v137, 1.0
	v_div_scale_f32 v149, vcc_lo, 1.0, v137, 1.0
	v_rcp_f32_e32 v139, v136
	v_nop
	s_delay_alu instid0(TRANS32_DEP_1) | instskip(NEXT) | instid1(VALU_DEP_1)
	v_fma_f32 v148, -v136, v139, 1.0
	v_fmac_f32_e32 v139, v148, v139
	s_delay_alu instid0(VALU_DEP_1) | instskip(NEXT) | instid1(VALU_DEP_1)
	v_mul_f32_e32 v148, v149, v139
	v_fma_f32 v150, -v136, v148, v149
	s_delay_alu instid0(VALU_DEP_1) | instskip(NEXT) | instid1(VALU_DEP_1)
	v_fmac_f32_e32 v148, v150, v139
	v_fma_f32 v136, -v136, v148, v149
	s_delay_alu instid0(VALU_DEP_1) | instskip(NEXT) | instid1(VALU_DEP_1)
	v_div_fmas_f32 v136, v136, v139, v148
	v_div_fixup_f32 v136, v136, v137, 1.0
	s_delay_alu instid0(VALU_DEP_1)
	v_mul_f32_e32 v138, v138, v136
	v_xor_b32_e32 v139, 0x80000000, v136
                                        ; implicit-def: $vgpr136_vgpr137
.LBB121_356:
	s_and_not1_saveexec_b32 s1, s1
	s_cbranch_execz .LBB121_358
; %bb.357:
	v_div_scale_f32 v138, null, v136, v136, v137
	v_div_scale_f32 v149, vcc_lo, v137, v136, v137
	s_delay_alu instid0(VALU_DEP_2) | instskip(SKIP_1) | instid1(TRANS32_DEP_1)
	v_rcp_f32_e32 v139, v138
	v_nop
	v_fma_f32 v148, -v138, v139, 1.0
	s_delay_alu instid0(VALU_DEP_1) | instskip(NEXT) | instid1(VALU_DEP_1)
	v_fmac_f32_e32 v139, v148, v139
	v_mul_f32_e32 v148, v149, v139
	s_delay_alu instid0(VALU_DEP_1) | instskip(NEXT) | instid1(VALU_DEP_1)
	v_fma_f32 v150, -v138, v148, v149
	v_fmac_f32_e32 v148, v150, v139
	s_delay_alu instid0(VALU_DEP_1) | instskip(NEXT) | instid1(VALU_DEP_1)
	v_fma_f32 v138, -v138, v148, v149
	v_div_fmas_f32 v138, v138, v139, v148
	s_delay_alu instid0(VALU_DEP_1) | instskip(NEXT) | instid1(VALU_DEP_1)
	v_div_fixup_f32 v139, v138, v136, v137
	v_fmac_f32_e32 v136, v137, v139
	s_delay_alu instid0(VALU_DEP_1) | instskip(NEXT) | instid1(VALU_DEP_1)
	v_div_scale_f32 v137, null, v136, v136, 1.0
	v_rcp_f32_e32 v138, v137
	v_nop
	s_delay_alu instid0(TRANS32_DEP_1) | instskip(NEXT) | instid1(VALU_DEP_1)
	v_fma_f32 v148, -v137, v138, 1.0
	v_fmac_f32_e32 v138, v148, v138
	v_div_scale_f32 v148, vcc_lo, 1.0, v136, 1.0
	s_delay_alu instid0(VALU_DEP_1) | instskip(NEXT) | instid1(VALU_DEP_1)
	v_mul_f32_e32 v149, v148, v138
	v_fma_f32 v150, -v137, v149, v148
	s_delay_alu instid0(VALU_DEP_1) | instskip(NEXT) | instid1(VALU_DEP_1)
	v_fmac_f32_e32 v149, v150, v138
	v_fma_f32 v137, -v137, v149, v148
	s_delay_alu instid0(VALU_DEP_1) | instskip(NEXT) | instid1(VALU_DEP_1)
	v_div_fmas_f32 v137, v137, v138, v149
	v_div_fixup_f32 v138, v137, v136, 1.0
	s_delay_alu instid0(VALU_DEP_1)
	v_mul_f32_e64 v139, v139, -v138
.LBB121_358:
	s_or_b32 exec_lo, exec_lo, s1
	ds_store_b64 v221, v[138:139]
.LBB121_359:
	s_or_b32 exec_lo, exec_lo, s2
	s_wait_dscnt 0x0
	s_barrier_signal -1
	s_barrier_wait -1
	ds_load_b64 v[136:137], v221
	s_mov_b32 s1, exec_lo
	v_cmpx_lt_u32_e32 39, v220
	s_cbranch_execz .LBB121_361
; %bb.360:
	ds_load_2addr_b64 v[150:153], v222 offset0:40 offset1:41
	s_wait_dscnt 0x1
	v_pk_mul_f32 v[148:149], v[136:137], v[156:157] op_sel:[1,1] op_sel_hi:[0,1]
	s_delay_alu instid0(VALU_DEP_1) | instskip(SKIP_1) | instid1(VALU_DEP_1)
	v_pk_fma_f32 v[138:139], v[136:137], v[156:157], v[148:149] op_sel_hi:[1,0,1] neg_lo:[0,0,1] neg_hi:[0,0,1]
	v_pk_fma_f32 v[148:149], v[136:137], v[156:157], v[148:149] op_sel_hi:[1,0,1]
	v_dual_mov_b32 v156, v138 :: v_dual_mov_b32 v157, v149
	s_wait_dscnt 0x0
	s_delay_alu instid0(VALU_DEP_2) | instskip(NEXT) | instid1(VALU_DEP_1)
	v_pk_mul_f32 v[154:155], v[150:151], v[148:149] op_sel:[0,1]
	v_pk_fma_f32 v[164:165], v[150:151], v[138:139], v[154:155] op_sel:[0,0,1] op_sel_hi:[1,1,0] neg_lo:[0,0,1] neg_hi:[0,0,1]
	v_pk_fma_f32 v[150:151], v[150:151], v[138:139], v[154:155] op_sel:[0,0,1] op_sel_hi:[1,0,0]
	s_delay_alu instid0(VALU_DEP_1) | instskip(SKIP_1) | instid1(VALU_DEP_1)
	v_mov_b32_e32 v165, v151
	v_pk_mul_f32 v[150:151], v[152:153], v[148:149] op_sel:[0,1]
	v_pk_fma_f32 v[154:155], v[152:153], v[138:139], v[150:151] op_sel:[0,0,1] op_sel_hi:[1,1,0] neg_lo:[0,0,1] neg_hi:[0,0,1]
	v_pk_fma_f32 v[150:151], v[152:153], v[138:139], v[150:151] op_sel:[0,0,1] op_sel_hi:[1,0,0]
	s_delay_alu instid0(VALU_DEP_1)
	v_mov_b32_e32 v155, v151
	ds_load_2addr_b64 v[150:153], v222 offset0:42 offset1:43
	v_pk_add_f32 v[178:179], v[178:179], v[164:165] neg_lo:[0,1] neg_hi:[0,1]
	v_pk_add_f32 v[174:175], v[174:175], v[154:155] neg_lo:[0,1] neg_hi:[0,1]
	s_wait_dscnt 0x0
	v_pk_mul_f32 v[154:155], v[150:151], v[148:149] op_sel:[0,1]
	s_delay_alu instid0(VALU_DEP_1) | instskip(SKIP_2) | instid1(VALU_DEP_2)
	v_pk_fma_f32 v[164:165], v[150:151], v[138:139], v[154:155] op_sel:[0,0,1] op_sel_hi:[1,1,0] neg_lo:[0,0,1] neg_hi:[0,0,1]
	v_pk_fma_f32 v[150:151], v[150:151], v[138:139], v[154:155] op_sel:[0,0,1] op_sel_hi:[1,0,0]
	v_dual_mul_f32 v154, v153, v149 :: v_dual_mov_b32 v150, v153
	v_dual_mov_b32 v165, v151 :: v_dual_mov_b32 v151, v152
	s_delay_alu instid0(VALU_DEP_2) | instskip(SKIP_1) | instid1(VALU_DEP_3)
	v_pk_fma_f32 v[154:155], v[152:153], v[156:157], v[154:155] op_sel_hi:[1,1,0] neg_lo:[0,0,1] neg_hi:[0,0,1]
	v_mul_f32_e32 v152, v153, v138
	v_pk_add_f32 v[176:177], v[176:177], v[164:165] neg_lo:[0,1] neg_hi:[0,1]
	s_delay_alu instid0(VALU_DEP_2) | instskip(NEXT) | instid1(VALU_DEP_1)
	v_pk_fma_f32 v[150:151], v[150:151], v[156:157], v[152:153] op_sel_hi:[1,1,0]
	v_mov_b32_e32 v155, v151
	ds_load_2addr_b64 v[150:153], v222 offset0:44 offset1:45
	v_pk_add_f32 v[172:173], v[172:173], v[154:155] neg_lo:[0,1] neg_hi:[0,1]
	s_wait_dscnt 0x0
	v_pk_mul_f32 v[154:155], v[150:151], v[148:149] op_sel:[0,1]
	s_delay_alu instid0(VALU_DEP_1) | instskip(SKIP_1) | instid1(VALU_DEP_1)
	v_pk_fma_f32 v[164:165], v[150:151], v[138:139], v[154:155] op_sel:[0,0,1] op_sel_hi:[1,1,0] neg_lo:[0,0,1] neg_hi:[0,0,1]
	v_pk_fma_f32 v[150:151], v[150:151], v[138:139], v[154:155] op_sel:[0,0,1] op_sel_hi:[1,0,0]
	v_mov_b32_e32 v165, v151
	v_pk_mul_f32 v[150:151], v[152:153], v[148:149] op_sel:[0,1]
	s_delay_alu instid0(VALU_DEP_1) | instskip(SKIP_1) | instid1(VALU_DEP_1)
	v_pk_fma_f32 v[154:155], v[152:153], v[138:139], v[150:151] op_sel:[0,0,1] op_sel_hi:[1,1,0] neg_lo:[0,0,1] neg_hi:[0,0,1]
	v_pk_fma_f32 v[150:151], v[152:153], v[138:139], v[150:151] op_sel:[0,0,1] op_sel_hi:[1,0,0]
	v_mov_b32_e32 v155, v151
	ds_load_2addr_b64 v[150:153], v222 offset0:46 offset1:47
	v_pk_add_f32 v[194:195], v[194:195], v[164:165] neg_lo:[0,1] neg_hi:[0,1]
	v_pk_add_f32 v[190:191], v[190:191], v[154:155] neg_lo:[0,1] neg_hi:[0,1]
	s_wait_dscnt 0x0
	v_pk_mul_f32 v[154:155], v[150:151], v[148:149] op_sel:[0,1]
	s_delay_alu instid0(VALU_DEP_1) | instskip(SKIP_1) | instid1(VALU_DEP_1)
	v_pk_fma_f32 v[164:165], v[150:151], v[138:139], v[154:155] op_sel:[0,0,1] op_sel_hi:[1,1,0] neg_lo:[0,0,1] neg_hi:[0,0,1]
	v_pk_fma_f32 v[150:151], v[150:151], v[138:139], v[154:155] op_sel:[0,0,1] op_sel_hi:[1,0,0]
	v_mov_b32_e32 v165, v151
	v_pk_mul_f32 v[150:151], v[152:153], v[148:149] op_sel:[0,1]
	s_delay_alu instid0(VALU_DEP_1) | instskip(SKIP_1) | instid1(VALU_DEP_1)
	v_pk_fma_f32 v[154:155], v[152:153], v[138:139], v[150:151] op_sel:[0,0,1] op_sel_hi:[1,1,0] neg_lo:[0,0,1] neg_hi:[0,0,1]
	v_pk_fma_f32 v[150:151], v[152:153], v[138:139], v[150:151] op_sel:[0,0,1] op_sel_hi:[1,0,0]
	v_mov_b32_e32 v155, v151
	ds_load_2addr_b64 v[150:153], v222 offset0:48 offset1:49
	v_pk_add_f32 v[192:193], v[192:193], v[164:165] neg_lo:[0,1] neg_hi:[0,1]
	v_pk_add_f32 v[188:189], v[188:189], v[154:155] neg_lo:[0,1] neg_hi:[0,1]
	s_wait_dscnt 0x0
	v_dual_mul_f32 v154, v151, v149 :: v_dual_mul_f32 v164, v151, v138
	s_delay_alu instid0(VALU_DEP_1) | instskip(NEXT) | instid1(VALU_DEP_2)
	v_pk_fma_f32 v[154:155], v[150:151], v[156:157], v[154:155] op_sel_hi:[1,1,0] neg_lo:[0,0,1] neg_hi:[0,0,1]
	v_pk_fma_f32 v[150:151], v[150:151], v[156:157], v[164:165] op_sel:[1,0,0] op_sel_hi:[0,1,0]
	s_delay_alu instid0(VALU_DEP_1) | instskip(SKIP_1) | instid1(VALU_DEP_2)
	v_mov_b32_e32 v155, v151
	v_pk_mul_f32 v[150:151], v[152:153], v[148:149] op_sel:[0,1]
	v_pk_add_f32 v[216:217], v[216:217], v[154:155] neg_lo:[0,1] neg_hi:[0,1]
	s_delay_alu instid0(VALU_DEP_2) | instskip(SKIP_1) | instid1(VALU_DEP_1)
	v_pk_fma_f32 v[154:155], v[152:153], v[138:139], v[150:151] op_sel:[0,0,1] op_sel_hi:[1,1,0] neg_lo:[0,0,1] neg_hi:[0,0,1]
	v_pk_fma_f32 v[150:151], v[152:153], v[138:139], v[150:151] op_sel:[0,0,1] op_sel_hi:[1,0,0]
	v_mov_b32_e32 v155, v151
	ds_load_2addr_b64 v[150:153], v222 offset0:50 offset1:51
	v_pk_add_f32 v[212:213], v[212:213], v[154:155] neg_lo:[0,1] neg_hi:[0,1]
	s_wait_dscnt 0x0
	v_pk_mul_f32 v[154:155], v[150:151], v[148:149] op_sel:[0,1]
	s_delay_alu instid0(VALU_DEP_1) | instskip(SKIP_1) | instid1(VALU_DEP_1)
	v_pk_fma_f32 v[164:165], v[150:151], v[138:139], v[154:155] op_sel:[0,0,1] op_sel_hi:[1,1,0] neg_lo:[0,0,1] neg_hi:[0,0,1]
	v_pk_fma_f32 v[150:151], v[150:151], v[138:139], v[154:155] op_sel:[0,0,1] op_sel_hi:[1,0,0]
	v_mov_b32_e32 v165, v151
	v_pk_mul_f32 v[150:151], v[152:153], v[148:149] op_sel:[0,1]
	s_delay_alu instid0(VALU_DEP_2) | instskip(NEXT) | instid1(VALU_DEP_2)
	v_pk_add_f32 v[214:215], v[214:215], v[164:165] neg_lo:[0,1] neg_hi:[0,1]
	v_pk_fma_f32 v[154:155], v[152:153], v[138:139], v[150:151] op_sel:[0,0,1] op_sel_hi:[1,1,0] neg_lo:[0,0,1] neg_hi:[0,0,1]
	v_pk_fma_f32 v[150:151], v[152:153], v[138:139], v[150:151] op_sel:[0,0,1] op_sel_hi:[1,0,0]
	s_delay_alu instid0(VALU_DEP_1) | instskip(SKIP_4) | instid1(VALU_DEP_1)
	v_mov_b32_e32 v155, v151
	ds_load_2addr_b64 v[150:153], v222 offset0:52 offset1:53
	v_pk_add_f32 v[210:211], v[210:211], v[154:155] neg_lo:[0,1] neg_hi:[0,1]
	s_wait_dscnt 0x0
	v_pk_mul_f32 v[154:155], v[150:151], v[148:149] op_sel:[0,1]
	v_pk_fma_f32 v[164:165], v[150:151], v[138:139], v[154:155] op_sel:[0,0,1] op_sel_hi:[1,1,0] neg_lo:[0,0,1] neg_hi:[0,0,1]
	v_pk_fma_f32 v[150:151], v[150:151], v[138:139], v[154:155] op_sel:[0,0,1] op_sel_hi:[1,0,0]
	v_dual_mul_f32 v154, v153, v149 :: v_dual_mov_b32 v150, v153
	s_delay_alu instid0(VALU_DEP_2) | instskip(NEXT) | instid1(VALU_DEP_2)
	v_dual_mov_b32 v165, v151 :: v_dual_mov_b32 v151, v152
	v_pk_fma_f32 v[154:155], v[152:153], v[156:157], v[154:155] op_sel_hi:[1,1,0] neg_lo:[0,0,1] neg_hi:[0,0,1]
	v_mul_f32_e32 v152, v153, v138
	s_delay_alu instid0(VALU_DEP_3) | instskip(NEXT) | instid1(VALU_DEP_2)
	v_pk_add_f32 v[240:241], v[240:241], v[164:165] neg_lo:[0,1] neg_hi:[0,1]
	v_pk_fma_f32 v[150:151], v[150:151], v[156:157], v[152:153] op_sel_hi:[1,1,0]
	s_delay_alu instid0(VALU_DEP_1) | instskip(SKIP_4) | instid1(VALU_DEP_1)
	v_mov_b32_e32 v155, v151
	ds_load_2addr_b64 v[150:153], v222 offset0:54 offset1:55
	v_pk_add_f32 v[232:233], v[232:233], v[154:155] neg_lo:[0,1] neg_hi:[0,1]
	s_wait_dscnt 0x0
	v_pk_mul_f32 v[154:155], v[150:151], v[148:149] op_sel:[0,1]
	v_pk_fma_f32 v[164:165], v[150:151], v[138:139], v[154:155] op_sel:[0,0,1] op_sel_hi:[1,1,0] neg_lo:[0,0,1] neg_hi:[0,0,1]
	v_pk_fma_f32 v[150:151], v[150:151], v[138:139], v[154:155] op_sel:[0,0,1] op_sel_hi:[1,0,0]
	s_delay_alu instid0(VALU_DEP_1) | instskip(SKIP_1) | instid1(VALU_DEP_1)
	v_mov_b32_e32 v165, v151
	v_pk_mul_f32 v[150:151], v[152:153], v[148:149] op_sel:[0,1]
	v_pk_fma_f32 v[154:155], v[152:153], v[138:139], v[150:151] op_sel:[0,0,1] op_sel_hi:[1,1,0] neg_lo:[0,0,1] neg_hi:[0,0,1]
	v_pk_fma_f32 v[150:151], v[152:153], v[138:139], v[150:151] op_sel:[0,0,1] op_sel_hi:[1,0,0]
	s_delay_alu instid0(VALU_DEP_1)
	v_mov_b32_e32 v155, v151
	ds_load_2addr_b64 v[150:153], v222 offset0:56 offset1:57
	v_pk_add_f32 v[238:239], v[238:239], v[164:165] neg_lo:[0,1] neg_hi:[0,1]
	v_pk_add_f32 v[230:231], v[230:231], v[154:155] neg_lo:[0,1] neg_hi:[0,1]
	s_wait_dscnt 0x0
	v_pk_mul_f32 v[154:155], v[150:151], v[148:149] op_sel:[0,1]
	s_delay_alu instid0(VALU_DEP_1) | instskip(SKIP_1) | instid1(VALU_DEP_1)
	v_pk_fma_f32 v[164:165], v[150:151], v[138:139], v[154:155] op_sel:[0,0,1] op_sel_hi:[1,1,0] neg_lo:[0,0,1] neg_hi:[0,0,1]
	v_pk_fma_f32 v[150:151], v[150:151], v[138:139], v[154:155] op_sel:[0,0,1] op_sel_hi:[1,0,0]
	v_mov_b32_e32 v165, v151
	v_pk_mul_f32 v[150:151], v[152:153], v[148:149] op_sel:[0,1]
	s_delay_alu instid0(VALU_DEP_1) | instskip(SKIP_1) | instid1(VALU_DEP_1)
	v_pk_fma_f32 v[154:155], v[152:153], v[138:139], v[150:151] op_sel:[0,0,1] op_sel_hi:[1,1,0] neg_lo:[0,0,1] neg_hi:[0,0,1]
	v_pk_fma_f32 v[150:151], v[152:153], v[138:139], v[150:151] op_sel:[0,0,1] op_sel_hi:[1,0,0]
	v_mov_b32_e32 v155, v151
	ds_load_2addr_b64 v[150:153], v222 offset0:58 offset1:59
	v_pk_add_f32 v[236:237], v[236:237], v[164:165] neg_lo:[0,1] neg_hi:[0,1]
	v_pk_add_f32 v[228:229], v[228:229], v[154:155] neg_lo:[0,1] neg_hi:[0,1]
	s_wait_dscnt 0x0
	v_dual_mul_f32 v154, v151, v149 :: v_dual_mul_f32 v164, v151, v138
	s_delay_alu instid0(VALU_DEP_1) | instskip(NEXT) | instid1(VALU_DEP_2)
	v_pk_fma_f32 v[154:155], v[150:151], v[156:157], v[154:155] op_sel_hi:[1,1,0] neg_lo:[0,0,1] neg_hi:[0,0,1]
	v_pk_fma_f32 v[150:151], v[150:151], v[156:157], v[164:165] op_sel:[1,0,0] op_sel_hi:[0,1,0]
	s_delay_alu instid0(VALU_DEP_1) | instskip(SKIP_1) | instid1(VALU_DEP_2)
	v_mov_b32_e32 v155, v151
	v_pk_mul_f32 v[150:151], v[152:153], v[148:149] op_sel:[0,1]
	v_pk_add_f32 v[234:235], v[234:235], v[154:155] neg_lo:[0,1] neg_hi:[0,1]
	s_delay_alu instid0(VALU_DEP_2) | instskip(SKIP_1) | instid1(VALU_DEP_1)
	v_pk_fma_f32 v[154:155], v[152:153], v[138:139], v[150:151] op_sel:[0,0,1] op_sel_hi:[1,1,0] neg_lo:[0,0,1] neg_hi:[0,0,1]
	v_pk_fma_f32 v[150:151], v[152:153], v[138:139], v[150:151] op_sel:[0,0,1] op_sel_hi:[1,0,0]
	v_mov_b32_e32 v155, v151
	ds_load_b64 v[150:151], v222 offset:480
	v_pk_add_f32 v[242:243], v[242:243], v[154:155] neg_lo:[0,1] neg_hi:[0,1]
	s_wait_dscnt 0x0
	v_pk_mul_f32 v[148:149], v[150:151], v[148:149] op_sel:[0,1]
	s_delay_alu instid0(VALU_DEP_1) | instskip(SKIP_1) | instid1(VALU_DEP_1)
	v_pk_fma_f32 v[152:153], v[150:151], v[138:139], v[148:149] op_sel:[0,0,1] op_sel_hi:[1,1,0] neg_lo:[0,0,1] neg_hi:[0,0,1]
	v_pk_fma_f32 v[138:139], v[150:151], v[138:139], v[148:149] op_sel:[0,0,1] op_sel_hi:[1,0,0]
	v_mov_b32_e32 v153, v139
	s_delay_alu instid0(VALU_DEP_1)
	v_pk_add_f32 v[244:245], v[244:245], v[152:153] neg_lo:[0,1] neg_hi:[0,1]
.LBB121_361:
	s_or_b32 exec_lo, exec_lo, s1
	s_delay_alu instid0(SALU_CYCLE_1)
	s_mov_b32 s2, exec_lo
	s_wait_dscnt 0x0
	s_barrier_signal -1
	s_barrier_wait -1
	v_cmpx_eq_u32_e32 40, v220
	s_cbranch_execz .LBB121_368
; %bb.362:
	ds_store_b64 v221, v[178:179]
	ds_store_2addr_b64 v222, v[174:175], v[176:177] offset0:41 offset1:42
	ds_store_2addr_b64 v222, v[172:173], v[194:195] offset0:43 offset1:44
	;; [unrolled: 1-line block ×10, first 2 shown]
	ds_load_b64 v[138:139], v221
	s_wait_dscnt 0x0
	v_cmp_neq_f32_e32 vcc_lo, 0, v138
	v_cmp_neq_f32_e64 s1, 0, v139
	s_or_b32 s1, vcc_lo, s1
	s_delay_alu instid0(SALU_CYCLE_1)
	s_and_b32 exec_lo, exec_lo, s1
	s_cbranch_execz .LBB121_368
; %bb.363:
	v_cmp_ngt_f32_e64 s1, |v138|, |v139|
                                        ; implicit-def: $vgpr148_vgpr149
	s_and_saveexec_b32 s4, s1
	s_delay_alu instid0(SALU_CYCLE_1)
	s_xor_b32 s1, exec_lo, s4
	s_cbranch_execz .LBB121_365
; %bb.364:
	v_div_scale_f32 v148, null, v139, v139, v138
	v_div_scale_f32 v151, vcc_lo, v138, v139, v138
	s_delay_alu instid0(VALU_DEP_2) | instskip(SKIP_1) | instid1(TRANS32_DEP_1)
	v_rcp_f32_e32 v149, v148
	v_nop
	v_fma_f32 v150, -v148, v149, 1.0
	s_delay_alu instid0(VALU_DEP_1) | instskip(NEXT) | instid1(VALU_DEP_1)
	v_fmac_f32_e32 v149, v150, v149
	v_mul_f32_e32 v150, v151, v149
	s_delay_alu instid0(VALU_DEP_1) | instskip(NEXT) | instid1(VALU_DEP_1)
	v_fma_f32 v152, -v148, v150, v151
	v_fmac_f32_e32 v150, v152, v149
	s_delay_alu instid0(VALU_DEP_1) | instskip(NEXT) | instid1(VALU_DEP_1)
	v_fma_f32 v148, -v148, v150, v151
	v_div_fmas_f32 v148, v148, v149, v150
	s_delay_alu instid0(VALU_DEP_1) | instskip(NEXT) | instid1(VALU_DEP_1)
	v_div_fixup_f32 v148, v148, v139, v138
	v_fmac_f32_e32 v139, v138, v148
	s_delay_alu instid0(VALU_DEP_1) | instskip(SKIP_1) | instid1(VALU_DEP_2)
	v_div_scale_f32 v138, null, v139, v139, 1.0
	v_div_scale_f32 v151, vcc_lo, 1.0, v139, 1.0
	v_rcp_f32_e32 v149, v138
	v_nop
	s_delay_alu instid0(TRANS32_DEP_1) | instskip(NEXT) | instid1(VALU_DEP_1)
	v_fma_f32 v150, -v138, v149, 1.0
	v_fmac_f32_e32 v149, v150, v149
	s_delay_alu instid0(VALU_DEP_1) | instskip(NEXT) | instid1(VALU_DEP_1)
	v_mul_f32_e32 v150, v151, v149
	v_fma_f32 v152, -v138, v150, v151
	s_delay_alu instid0(VALU_DEP_1) | instskip(NEXT) | instid1(VALU_DEP_1)
	v_fmac_f32_e32 v150, v152, v149
	v_fma_f32 v138, -v138, v150, v151
	s_delay_alu instid0(VALU_DEP_1) | instskip(NEXT) | instid1(VALU_DEP_1)
	v_div_fmas_f32 v138, v138, v149, v150
	v_div_fixup_f32 v138, v138, v139, 1.0
	s_delay_alu instid0(VALU_DEP_1)
	v_mul_f32_e32 v148, v148, v138
	v_xor_b32_e32 v149, 0x80000000, v138
                                        ; implicit-def: $vgpr138_vgpr139
.LBB121_365:
	s_and_not1_saveexec_b32 s1, s1
	s_cbranch_execz .LBB121_367
; %bb.366:
	v_div_scale_f32 v148, null, v138, v138, v139
	v_div_scale_f32 v151, vcc_lo, v139, v138, v139
	s_delay_alu instid0(VALU_DEP_2) | instskip(SKIP_1) | instid1(TRANS32_DEP_1)
	v_rcp_f32_e32 v149, v148
	v_nop
	v_fma_f32 v150, -v148, v149, 1.0
	s_delay_alu instid0(VALU_DEP_1) | instskip(NEXT) | instid1(VALU_DEP_1)
	v_fmac_f32_e32 v149, v150, v149
	v_mul_f32_e32 v150, v151, v149
	s_delay_alu instid0(VALU_DEP_1) | instskip(NEXT) | instid1(VALU_DEP_1)
	v_fma_f32 v152, -v148, v150, v151
	v_fmac_f32_e32 v150, v152, v149
	s_delay_alu instid0(VALU_DEP_1) | instskip(NEXT) | instid1(VALU_DEP_1)
	v_fma_f32 v148, -v148, v150, v151
	v_div_fmas_f32 v148, v148, v149, v150
	s_delay_alu instid0(VALU_DEP_1) | instskip(NEXT) | instid1(VALU_DEP_1)
	v_div_fixup_f32 v149, v148, v138, v139
	v_fmac_f32_e32 v138, v139, v149
	s_delay_alu instid0(VALU_DEP_1) | instskip(NEXT) | instid1(VALU_DEP_1)
	v_div_scale_f32 v139, null, v138, v138, 1.0
	v_rcp_f32_e32 v148, v139
	v_nop
	s_delay_alu instid0(TRANS32_DEP_1) | instskip(NEXT) | instid1(VALU_DEP_1)
	v_fma_f32 v150, -v139, v148, 1.0
	v_fmac_f32_e32 v148, v150, v148
	v_div_scale_f32 v150, vcc_lo, 1.0, v138, 1.0
	s_delay_alu instid0(VALU_DEP_1) | instskip(NEXT) | instid1(VALU_DEP_1)
	v_mul_f32_e32 v151, v150, v148
	v_fma_f32 v152, -v139, v151, v150
	s_delay_alu instid0(VALU_DEP_1) | instskip(NEXT) | instid1(VALU_DEP_1)
	v_fmac_f32_e32 v151, v152, v148
	v_fma_f32 v139, -v139, v151, v150
	s_delay_alu instid0(VALU_DEP_1) | instskip(NEXT) | instid1(VALU_DEP_1)
	v_div_fmas_f32 v139, v139, v148, v151
	v_div_fixup_f32 v148, v139, v138, 1.0
	s_delay_alu instid0(VALU_DEP_1)
	v_mul_f32_e64 v149, v149, -v148
.LBB121_367:
	s_or_b32 exec_lo, exec_lo, s1
	ds_store_b64 v221, v[148:149]
.LBB121_368:
	s_or_b32 exec_lo, exec_lo, s2
	s_wait_dscnt 0x0
	s_barrier_signal -1
	s_barrier_wait -1
	ds_load_b64 v[138:139], v221
	s_mov_b32 s1, exec_lo
	v_cmpx_lt_u32_e32 40, v220
	s_cbranch_execz .LBB121_370
; %bb.369:
	ds_load_2addr_b64 v[152:155], v222 offset0:41 offset1:42
	s_wait_dscnt 0x1
	v_pk_mul_f32 v[150:151], v[138:139], v[178:179] op_sel:[1,1] op_sel_hi:[0,1]
	s_delay_alu instid0(VALU_DEP_1) | instskip(SKIP_1) | instid1(VALU_DEP_1)
	v_pk_fma_f32 v[148:149], v[138:139], v[178:179], v[150:151] op_sel_hi:[1,0,1] neg_lo:[0,0,1] neg_hi:[0,0,1]
	v_pk_fma_f32 v[150:151], v[138:139], v[178:179], v[150:151] op_sel_hi:[1,0,1]
	v_dual_mov_b32 v178, v148 :: v_dual_mov_b32 v179, v151
	s_wait_dscnt 0x0
	s_delay_alu instid0(VALU_DEP_2) | instskip(NEXT) | instid1(VALU_DEP_1)
	v_pk_mul_f32 v[164:165], v[152:153], v[150:151] op_sel:[0,1]
	v_pk_fma_f32 v[166:167], v[152:153], v[148:149], v[164:165] op_sel:[0,0,1] op_sel_hi:[1,1,0] neg_lo:[0,0,1] neg_hi:[0,0,1]
	v_pk_fma_f32 v[152:153], v[152:153], v[148:149], v[164:165] op_sel:[0,0,1] op_sel_hi:[1,0,0]
	s_delay_alu instid0(VALU_DEP_1) | instskip(SKIP_1) | instid1(VALU_DEP_1)
	v_mov_b32_e32 v167, v153
	v_pk_mul_f32 v[152:153], v[154:155], v[150:151] op_sel:[0,1]
	v_pk_fma_f32 v[164:165], v[154:155], v[148:149], v[152:153] op_sel:[0,0,1] op_sel_hi:[1,1,0] neg_lo:[0,0,1] neg_hi:[0,0,1]
	v_pk_fma_f32 v[152:153], v[154:155], v[148:149], v[152:153] op_sel:[0,0,1] op_sel_hi:[1,0,0]
	s_delay_alu instid0(VALU_DEP_1)
	v_mov_b32_e32 v165, v153
	ds_load_2addr_b64 v[152:155], v222 offset0:43 offset1:44
	v_pk_add_f32 v[174:175], v[174:175], v[166:167] neg_lo:[0,1] neg_hi:[0,1]
	v_pk_add_f32 v[176:177], v[176:177], v[164:165] neg_lo:[0,1] neg_hi:[0,1]
	s_wait_dscnt 0x0
	v_pk_mul_f32 v[164:165], v[152:153], v[150:151] op_sel:[0,1]
	s_delay_alu instid0(VALU_DEP_1) | instskip(SKIP_2) | instid1(VALU_DEP_2)
	v_pk_fma_f32 v[166:167], v[152:153], v[148:149], v[164:165] op_sel:[0,0,1] op_sel_hi:[1,1,0] neg_lo:[0,0,1] neg_hi:[0,0,1]
	v_pk_fma_f32 v[152:153], v[152:153], v[148:149], v[164:165] op_sel:[0,0,1] op_sel_hi:[1,0,0]
	v_dual_mul_f32 v164, v155, v151 :: v_dual_mov_b32 v152, v155
	v_dual_mov_b32 v167, v153 :: v_dual_mov_b32 v153, v154
	s_delay_alu instid0(VALU_DEP_2) | instskip(SKIP_1) | instid1(VALU_DEP_3)
	v_pk_fma_f32 v[164:165], v[154:155], v[178:179], v[164:165] op_sel_hi:[1,1,0] neg_lo:[0,0,1] neg_hi:[0,0,1]
	v_mul_f32_e32 v154, v155, v148
	v_pk_add_f32 v[172:173], v[172:173], v[166:167] neg_lo:[0,1] neg_hi:[0,1]
	s_delay_alu instid0(VALU_DEP_2) | instskip(NEXT) | instid1(VALU_DEP_1)
	v_pk_fma_f32 v[152:153], v[152:153], v[178:179], v[154:155] op_sel_hi:[1,1,0]
	v_mov_b32_e32 v165, v153
	ds_load_2addr_b64 v[152:155], v222 offset0:45 offset1:46
	v_pk_add_f32 v[194:195], v[194:195], v[164:165] neg_lo:[0,1] neg_hi:[0,1]
	s_wait_dscnt 0x0
	v_pk_mul_f32 v[164:165], v[152:153], v[150:151] op_sel:[0,1]
	s_delay_alu instid0(VALU_DEP_1) | instskip(SKIP_1) | instid1(VALU_DEP_1)
	v_pk_fma_f32 v[166:167], v[152:153], v[148:149], v[164:165] op_sel:[0,0,1] op_sel_hi:[1,1,0] neg_lo:[0,0,1] neg_hi:[0,0,1]
	v_pk_fma_f32 v[152:153], v[152:153], v[148:149], v[164:165] op_sel:[0,0,1] op_sel_hi:[1,0,0]
	v_mov_b32_e32 v167, v153
	v_pk_mul_f32 v[152:153], v[154:155], v[150:151] op_sel:[0,1]
	s_delay_alu instid0(VALU_DEP_1) | instskip(SKIP_1) | instid1(VALU_DEP_1)
	v_pk_fma_f32 v[164:165], v[154:155], v[148:149], v[152:153] op_sel:[0,0,1] op_sel_hi:[1,1,0] neg_lo:[0,0,1] neg_hi:[0,0,1]
	v_pk_fma_f32 v[152:153], v[154:155], v[148:149], v[152:153] op_sel:[0,0,1] op_sel_hi:[1,0,0]
	v_mov_b32_e32 v165, v153
	ds_load_2addr_b64 v[152:155], v222 offset0:47 offset1:48
	v_pk_add_f32 v[190:191], v[190:191], v[166:167] neg_lo:[0,1] neg_hi:[0,1]
	v_pk_add_f32 v[192:193], v[192:193], v[164:165] neg_lo:[0,1] neg_hi:[0,1]
	s_wait_dscnt 0x0
	v_pk_mul_f32 v[164:165], v[152:153], v[150:151] op_sel:[0,1]
	s_delay_alu instid0(VALU_DEP_1) | instskip(SKIP_1) | instid1(VALU_DEP_1)
	v_pk_fma_f32 v[166:167], v[152:153], v[148:149], v[164:165] op_sel:[0,0,1] op_sel_hi:[1,1,0] neg_lo:[0,0,1] neg_hi:[0,0,1]
	v_pk_fma_f32 v[152:153], v[152:153], v[148:149], v[164:165] op_sel:[0,0,1] op_sel_hi:[1,0,0]
	v_mov_b32_e32 v167, v153
	v_pk_mul_f32 v[152:153], v[154:155], v[150:151] op_sel:[0,1]
	s_delay_alu instid0(VALU_DEP_1) | instskip(SKIP_1) | instid1(VALU_DEP_1)
	v_pk_fma_f32 v[164:165], v[154:155], v[148:149], v[152:153] op_sel:[0,0,1] op_sel_hi:[1,1,0] neg_lo:[0,0,1] neg_hi:[0,0,1]
	v_pk_fma_f32 v[152:153], v[154:155], v[148:149], v[152:153] op_sel:[0,0,1] op_sel_hi:[1,0,0]
	v_mov_b32_e32 v165, v153
	ds_load_2addr_b64 v[152:155], v222 offset0:49 offset1:50
	v_pk_add_f32 v[188:189], v[188:189], v[166:167] neg_lo:[0,1] neg_hi:[0,1]
	v_pk_add_f32 v[216:217], v[216:217], v[164:165] neg_lo:[0,1] neg_hi:[0,1]
	s_wait_dscnt 0x0
	v_dual_mul_f32 v164, v153, v151 :: v_dual_mul_f32 v166, v153, v148
	s_delay_alu instid0(VALU_DEP_1) | instskip(NEXT) | instid1(VALU_DEP_2)
	v_pk_fma_f32 v[164:165], v[152:153], v[178:179], v[164:165] op_sel_hi:[1,1,0] neg_lo:[0,0,1] neg_hi:[0,0,1]
	v_pk_fma_f32 v[152:153], v[152:153], v[178:179], v[166:167] op_sel:[1,0,0] op_sel_hi:[0,1,0]
	s_delay_alu instid0(VALU_DEP_1) | instskip(SKIP_1) | instid1(VALU_DEP_2)
	v_mov_b32_e32 v165, v153
	v_pk_mul_f32 v[152:153], v[154:155], v[150:151] op_sel:[0,1]
	v_pk_add_f32 v[212:213], v[212:213], v[164:165] neg_lo:[0,1] neg_hi:[0,1]
	s_delay_alu instid0(VALU_DEP_2) | instskip(SKIP_1) | instid1(VALU_DEP_1)
	v_pk_fma_f32 v[164:165], v[154:155], v[148:149], v[152:153] op_sel:[0,0,1] op_sel_hi:[1,1,0] neg_lo:[0,0,1] neg_hi:[0,0,1]
	v_pk_fma_f32 v[152:153], v[154:155], v[148:149], v[152:153] op_sel:[0,0,1] op_sel_hi:[1,0,0]
	v_mov_b32_e32 v165, v153
	ds_load_2addr_b64 v[152:155], v222 offset0:51 offset1:52
	v_pk_add_f32 v[214:215], v[214:215], v[164:165] neg_lo:[0,1] neg_hi:[0,1]
	s_wait_dscnt 0x0
	v_pk_mul_f32 v[164:165], v[152:153], v[150:151] op_sel:[0,1]
	s_delay_alu instid0(VALU_DEP_1) | instskip(SKIP_1) | instid1(VALU_DEP_1)
	v_pk_fma_f32 v[166:167], v[152:153], v[148:149], v[164:165] op_sel:[0,0,1] op_sel_hi:[1,1,0] neg_lo:[0,0,1] neg_hi:[0,0,1]
	v_pk_fma_f32 v[152:153], v[152:153], v[148:149], v[164:165] op_sel:[0,0,1] op_sel_hi:[1,0,0]
	v_mov_b32_e32 v167, v153
	v_pk_mul_f32 v[152:153], v[154:155], v[150:151] op_sel:[0,1]
	s_delay_alu instid0(VALU_DEP_2) | instskip(NEXT) | instid1(VALU_DEP_2)
	v_pk_add_f32 v[210:211], v[210:211], v[166:167] neg_lo:[0,1] neg_hi:[0,1]
	v_pk_fma_f32 v[164:165], v[154:155], v[148:149], v[152:153] op_sel:[0,0,1] op_sel_hi:[1,1,0] neg_lo:[0,0,1] neg_hi:[0,0,1]
	v_pk_fma_f32 v[152:153], v[154:155], v[148:149], v[152:153] op_sel:[0,0,1] op_sel_hi:[1,0,0]
	s_delay_alu instid0(VALU_DEP_1) | instskip(SKIP_4) | instid1(VALU_DEP_1)
	v_mov_b32_e32 v165, v153
	ds_load_2addr_b64 v[152:155], v222 offset0:53 offset1:54
	v_pk_add_f32 v[240:241], v[240:241], v[164:165] neg_lo:[0,1] neg_hi:[0,1]
	s_wait_dscnt 0x0
	v_pk_mul_f32 v[164:165], v[152:153], v[150:151] op_sel:[0,1]
	v_pk_fma_f32 v[166:167], v[152:153], v[148:149], v[164:165] op_sel:[0,0,1] op_sel_hi:[1,1,0] neg_lo:[0,0,1] neg_hi:[0,0,1]
	v_pk_fma_f32 v[152:153], v[152:153], v[148:149], v[164:165] op_sel:[0,0,1] op_sel_hi:[1,0,0]
	v_dual_mul_f32 v164, v155, v151 :: v_dual_mov_b32 v152, v155
	s_delay_alu instid0(VALU_DEP_2) | instskip(NEXT) | instid1(VALU_DEP_2)
	v_dual_mov_b32 v167, v153 :: v_dual_mov_b32 v153, v154
	v_pk_fma_f32 v[164:165], v[154:155], v[178:179], v[164:165] op_sel_hi:[1,1,0] neg_lo:[0,0,1] neg_hi:[0,0,1]
	v_mul_f32_e32 v154, v155, v148
	s_delay_alu instid0(VALU_DEP_3) | instskip(NEXT) | instid1(VALU_DEP_2)
	v_pk_add_f32 v[232:233], v[232:233], v[166:167] neg_lo:[0,1] neg_hi:[0,1]
	v_pk_fma_f32 v[152:153], v[152:153], v[178:179], v[154:155] op_sel_hi:[1,1,0]
	s_delay_alu instid0(VALU_DEP_1) | instskip(SKIP_4) | instid1(VALU_DEP_1)
	v_mov_b32_e32 v165, v153
	ds_load_2addr_b64 v[152:155], v222 offset0:55 offset1:56
	v_pk_add_f32 v[238:239], v[238:239], v[164:165] neg_lo:[0,1] neg_hi:[0,1]
	s_wait_dscnt 0x0
	v_pk_mul_f32 v[164:165], v[152:153], v[150:151] op_sel:[0,1]
	v_pk_fma_f32 v[166:167], v[152:153], v[148:149], v[164:165] op_sel:[0,0,1] op_sel_hi:[1,1,0] neg_lo:[0,0,1] neg_hi:[0,0,1]
	v_pk_fma_f32 v[152:153], v[152:153], v[148:149], v[164:165] op_sel:[0,0,1] op_sel_hi:[1,0,0]
	s_delay_alu instid0(VALU_DEP_1) | instskip(SKIP_1) | instid1(VALU_DEP_1)
	v_mov_b32_e32 v167, v153
	v_pk_mul_f32 v[152:153], v[154:155], v[150:151] op_sel:[0,1]
	v_pk_fma_f32 v[164:165], v[154:155], v[148:149], v[152:153] op_sel:[0,0,1] op_sel_hi:[1,1,0] neg_lo:[0,0,1] neg_hi:[0,0,1]
	v_pk_fma_f32 v[152:153], v[154:155], v[148:149], v[152:153] op_sel:[0,0,1] op_sel_hi:[1,0,0]
	s_delay_alu instid0(VALU_DEP_1)
	v_mov_b32_e32 v165, v153
	ds_load_2addr_b64 v[152:155], v222 offset0:57 offset1:58
	v_pk_add_f32 v[230:231], v[230:231], v[166:167] neg_lo:[0,1] neg_hi:[0,1]
	v_pk_add_f32 v[236:237], v[236:237], v[164:165] neg_lo:[0,1] neg_hi:[0,1]
	s_wait_dscnt 0x0
	v_pk_mul_f32 v[164:165], v[152:153], v[150:151] op_sel:[0,1]
	s_delay_alu instid0(VALU_DEP_1) | instskip(SKIP_1) | instid1(VALU_DEP_1)
	v_pk_fma_f32 v[166:167], v[152:153], v[148:149], v[164:165] op_sel:[0,0,1] op_sel_hi:[1,1,0] neg_lo:[0,0,1] neg_hi:[0,0,1]
	v_pk_fma_f32 v[152:153], v[152:153], v[148:149], v[164:165] op_sel:[0,0,1] op_sel_hi:[1,0,0]
	v_mov_b32_e32 v167, v153
	v_pk_mul_f32 v[152:153], v[154:155], v[150:151] op_sel:[0,1]
	s_delay_alu instid0(VALU_DEP_1) | instskip(SKIP_1) | instid1(VALU_DEP_1)
	v_pk_fma_f32 v[164:165], v[154:155], v[148:149], v[152:153] op_sel:[0,0,1] op_sel_hi:[1,1,0] neg_lo:[0,0,1] neg_hi:[0,0,1]
	v_pk_fma_f32 v[152:153], v[154:155], v[148:149], v[152:153] op_sel:[0,0,1] op_sel_hi:[1,0,0]
	v_mov_b32_e32 v165, v153
	ds_load_2addr_b64 v[152:155], v222 offset0:59 offset1:60
	v_pk_add_f32 v[228:229], v[228:229], v[166:167] neg_lo:[0,1] neg_hi:[0,1]
	v_pk_add_f32 v[234:235], v[234:235], v[164:165] neg_lo:[0,1] neg_hi:[0,1]
	s_wait_dscnt 0x0
	v_dual_mul_f32 v164, v153, v151 :: v_dual_mul_f32 v166, v153, v148
	v_pk_mul_f32 v[150:151], v[154:155], v[150:151] op_sel:[0,1]
	s_delay_alu instid0(VALU_DEP_2) | instskip(NEXT) | instid1(VALU_DEP_3)
	v_pk_fma_f32 v[164:165], v[152:153], v[178:179], v[164:165] op_sel_hi:[1,1,0] neg_lo:[0,0,1] neg_hi:[0,0,1]
	v_pk_fma_f32 v[152:153], v[152:153], v[178:179], v[166:167] op_sel:[1,0,0] op_sel_hi:[0,1,0]
	s_delay_alu instid0(VALU_DEP_1) | instskip(NEXT) | instid1(VALU_DEP_4)
	v_mov_b32_e32 v165, v153
	v_pk_fma_f32 v[152:153], v[154:155], v[148:149], v[150:151] op_sel:[0,0,1] op_sel_hi:[1,1,0] neg_lo:[0,0,1] neg_hi:[0,0,1]
	v_pk_fma_f32 v[148:149], v[154:155], v[148:149], v[150:151] op_sel:[0,0,1] op_sel_hi:[1,0,0]
	s_delay_alu instid0(VALU_DEP_1) | instskip(NEXT) | instid1(VALU_DEP_4)
	v_mov_b32_e32 v153, v149
	v_pk_add_f32 v[242:243], v[242:243], v[164:165] neg_lo:[0,1] neg_hi:[0,1]
	s_delay_alu instid0(VALU_DEP_2)
	v_pk_add_f32 v[244:245], v[244:245], v[152:153] neg_lo:[0,1] neg_hi:[0,1]
.LBB121_370:
	s_or_b32 exec_lo, exec_lo, s1
	s_delay_alu instid0(SALU_CYCLE_1)
	s_mov_b32 s2, exec_lo
	s_wait_dscnt 0x0
	s_barrier_signal -1
	s_barrier_wait -1
	v_cmpx_eq_u32_e32 41, v220
	s_cbranch_execz .LBB121_377
; %bb.371:
	v_dual_mov_b32 v148, v176 :: v_dual_mov_b32 v149, v177
	v_dual_mov_b32 v150, v172 :: v_dual_mov_b32 v151, v173
	ds_store_b64 v221, v[174:175]
	ds_store_2addr_b64 v222, v[148:149], v[150:151] offset0:42 offset1:43
	v_dual_mov_b32 v148, v194 :: v_dual_mov_b32 v149, v195
	v_dual_mov_b32 v150, v190 :: v_dual_mov_b32 v151, v191
	ds_store_2addr_b64 v222, v[148:149], v[150:151] offset0:44 offset1:45
	v_dual_mov_b32 v148, v192 :: v_dual_mov_b32 v149, v193
	v_dual_mov_b32 v150, v188 :: v_dual_mov_b32 v151, v189
	;; [unrolled: 3-line block ×8, first 2 shown]
	ds_store_2addr_b64 v222, v[148:149], v[150:151] offset0:58 offset1:59
	ds_store_b64 v222, v[244:245] offset:480
	ds_load_b64 v[148:149], v221
	s_wait_dscnt 0x0
	v_cmp_neq_f32_e32 vcc_lo, 0, v148
	v_cmp_neq_f32_e64 s1, 0, v149
	s_or_b32 s1, vcc_lo, s1
	s_delay_alu instid0(SALU_CYCLE_1)
	s_and_b32 exec_lo, exec_lo, s1
	s_cbranch_execz .LBB121_377
; %bb.372:
	v_cmp_ngt_f32_e64 s1, |v148|, |v149|
                                        ; implicit-def: $vgpr150_vgpr151
	s_and_saveexec_b32 s4, s1
	s_delay_alu instid0(SALU_CYCLE_1)
	s_xor_b32 s1, exec_lo, s4
	s_cbranch_execz .LBB121_374
; %bb.373:
	v_div_scale_f32 v150, null, v149, v149, v148
	v_div_scale_f32 v153, vcc_lo, v148, v149, v148
	s_delay_alu instid0(VALU_DEP_2) | instskip(SKIP_1) | instid1(TRANS32_DEP_1)
	v_rcp_f32_e32 v151, v150
	v_nop
	v_fma_f32 v152, -v150, v151, 1.0
	s_delay_alu instid0(VALU_DEP_1) | instskip(NEXT) | instid1(VALU_DEP_1)
	v_fmac_f32_e32 v151, v152, v151
	v_mul_f32_e32 v152, v153, v151
	s_delay_alu instid0(VALU_DEP_1) | instskip(NEXT) | instid1(VALU_DEP_1)
	v_fma_f32 v154, -v150, v152, v153
	v_fmac_f32_e32 v152, v154, v151
	s_delay_alu instid0(VALU_DEP_1) | instskip(NEXT) | instid1(VALU_DEP_1)
	v_fma_f32 v150, -v150, v152, v153
	v_div_fmas_f32 v150, v150, v151, v152
	s_delay_alu instid0(VALU_DEP_1) | instskip(NEXT) | instid1(VALU_DEP_1)
	v_div_fixup_f32 v150, v150, v149, v148
	v_fmac_f32_e32 v149, v148, v150
	s_delay_alu instid0(VALU_DEP_1) | instskip(SKIP_1) | instid1(VALU_DEP_2)
	v_div_scale_f32 v148, null, v149, v149, 1.0
	v_div_scale_f32 v153, vcc_lo, 1.0, v149, 1.0
	v_rcp_f32_e32 v151, v148
	v_nop
	s_delay_alu instid0(TRANS32_DEP_1) | instskip(NEXT) | instid1(VALU_DEP_1)
	v_fma_f32 v152, -v148, v151, 1.0
	v_fmac_f32_e32 v151, v152, v151
	s_delay_alu instid0(VALU_DEP_1) | instskip(NEXT) | instid1(VALU_DEP_1)
	v_mul_f32_e32 v152, v153, v151
	v_fma_f32 v154, -v148, v152, v153
	s_delay_alu instid0(VALU_DEP_1) | instskip(NEXT) | instid1(VALU_DEP_1)
	v_fmac_f32_e32 v152, v154, v151
	v_fma_f32 v148, -v148, v152, v153
	s_delay_alu instid0(VALU_DEP_1) | instskip(NEXT) | instid1(VALU_DEP_1)
	v_div_fmas_f32 v148, v148, v151, v152
	v_div_fixup_f32 v148, v148, v149, 1.0
	s_delay_alu instid0(VALU_DEP_1)
	v_mul_f32_e32 v150, v150, v148
	v_xor_b32_e32 v151, 0x80000000, v148
                                        ; implicit-def: $vgpr148_vgpr149
.LBB121_374:
	s_and_not1_saveexec_b32 s1, s1
	s_cbranch_execz .LBB121_376
; %bb.375:
	v_div_scale_f32 v150, null, v148, v148, v149
	v_div_scale_f32 v153, vcc_lo, v149, v148, v149
	s_delay_alu instid0(VALU_DEP_2) | instskip(SKIP_1) | instid1(TRANS32_DEP_1)
	v_rcp_f32_e32 v151, v150
	v_nop
	v_fma_f32 v152, -v150, v151, 1.0
	s_delay_alu instid0(VALU_DEP_1) | instskip(NEXT) | instid1(VALU_DEP_1)
	v_fmac_f32_e32 v151, v152, v151
	v_mul_f32_e32 v152, v153, v151
	s_delay_alu instid0(VALU_DEP_1) | instskip(NEXT) | instid1(VALU_DEP_1)
	v_fma_f32 v154, -v150, v152, v153
	v_fmac_f32_e32 v152, v154, v151
	s_delay_alu instid0(VALU_DEP_1) | instskip(NEXT) | instid1(VALU_DEP_1)
	v_fma_f32 v150, -v150, v152, v153
	v_div_fmas_f32 v150, v150, v151, v152
	s_delay_alu instid0(VALU_DEP_1) | instskip(NEXT) | instid1(VALU_DEP_1)
	v_div_fixup_f32 v151, v150, v148, v149
	v_fmac_f32_e32 v148, v149, v151
	s_delay_alu instid0(VALU_DEP_1) | instskip(NEXT) | instid1(VALU_DEP_1)
	v_div_scale_f32 v149, null, v148, v148, 1.0
	v_rcp_f32_e32 v150, v149
	v_nop
	s_delay_alu instid0(TRANS32_DEP_1) | instskip(NEXT) | instid1(VALU_DEP_1)
	v_fma_f32 v152, -v149, v150, 1.0
	v_fmac_f32_e32 v150, v152, v150
	v_div_scale_f32 v152, vcc_lo, 1.0, v148, 1.0
	s_delay_alu instid0(VALU_DEP_1) | instskip(NEXT) | instid1(VALU_DEP_1)
	v_mul_f32_e32 v153, v152, v150
	v_fma_f32 v154, -v149, v153, v152
	s_delay_alu instid0(VALU_DEP_1) | instskip(NEXT) | instid1(VALU_DEP_1)
	v_fmac_f32_e32 v153, v154, v150
	v_fma_f32 v149, -v149, v153, v152
	s_delay_alu instid0(VALU_DEP_1) | instskip(NEXT) | instid1(VALU_DEP_1)
	v_div_fmas_f32 v149, v149, v150, v153
	v_div_fixup_f32 v150, v149, v148, 1.0
	s_delay_alu instid0(VALU_DEP_1)
	v_mul_f32_e64 v151, v151, -v150
.LBB121_376:
	s_or_b32 exec_lo, exec_lo, s1
	ds_store_b64 v221, v[150:151]
.LBB121_377:
	s_or_b32 exec_lo, exec_lo, s2
	s_wait_dscnt 0x0
	s_barrier_signal -1
	s_barrier_wait -1
	ds_load_b64 v[148:149], v221
	s_mov_b32 s1, exec_lo
	v_cmpx_lt_u32_e32 41, v220
	s_cbranch_execz .LBB121_379
; %bb.378:
	ds_load_2addr_b64 v[164:167], v222 offset0:42 offset1:43
	s_wait_dscnt 0x1
	v_pk_mul_f32 v[152:153], v[148:149], v[174:175] op_sel:[1,1] op_sel_hi:[0,1]
	s_delay_alu instid0(VALU_DEP_1) | instskip(SKIP_1) | instid1(VALU_DEP_1)
	v_pk_fma_f32 v[150:151], v[148:149], v[174:175], v[152:153] op_sel_hi:[1,0,1] neg_lo:[0,0,1] neg_hi:[0,0,1]
	v_pk_fma_f32 v[152:153], v[148:149], v[174:175], v[152:153] op_sel_hi:[1,0,1]
	v_dual_mov_b32 v174, v150 :: v_dual_mov_b32 v175, v153
	s_wait_dscnt 0x0
	s_delay_alu instid0(VALU_DEP_2) | instskip(NEXT) | instid1(VALU_DEP_1)
	v_pk_mul_f32 v[154:155], v[164:165], v[152:153] op_sel:[0,1]
	v_pk_fma_f32 v[168:169], v[164:165], v[150:151], v[154:155] op_sel:[0,0,1] op_sel_hi:[1,1,0] neg_lo:[0,0,1] neg_hi:[0,0,1]
	v_pk_fma_f32 v[154:155], v[164:165], v[150:151], v[154:155] op_sel:[0,0,1] op_sel_hi:[1,0,0]
	s_delay_alu instid0(VALU_DEP_1) | instskip(SKIP_1) | instid1(VALU_DEP_1)
	v_mov_b32_e32 v169, v155
	v_pk_mul_f32 v[154:155], v[166:167], v[152:153] op_sel:[0,1]
	v_pk_fma_f32 v[164:165], v[166:167], v[150:151], v[154:155] op_sel:[0,0,1] op_sel_hi:[1,1,0] neg_lo:[0,0,1] neg_hi:[0,0,1]
	v_pk_fma_f32 v[154:155], v[166:167], v[150:151], v[154:155] op_sel:[0,0,1] op_sel_hi:[1,0,0]
	s_delay_alu instid0(VALU_DEP_1) | instskip(SKIP_1) | instid1(VALU_DEP_2)
	v_mov_b32_e32 v165, v155
	v_pk_add_f32 v[176:177], v[176:177], v[168:169] neg_lo:[0,1] neg_hi:[0,1]
	v_pk_add_f32 v[172:173], v[172:173], v[164:165] neg_lo:[0,1] neg_hi:[0,1]
	ds_load_2addr_b64 v[164:167], v222 offset0:44 offset1:45
	s_wait_dscnt 0x0
	v_pk_mul_f32 v[154:155], v[164:165], v[152:153] op_sel:[0,1]
	s_delay_alu instid0(VALU_DEP_1) | instskip(SKIP_2) | instid1(VALU_DEP_2)
	v_pk_fma_f32 v[168:169], v[164:165], v[150:151], v[154:155] op_sel:[0,0,1] op_sel_hi:[1,1,0] neg_lo:[0,0,1] neg_hi:[0,0,1]
	v_pk_fma_f32 v[154:155], v[164:165], v[150:151], v[154:155] op_sel:[0,0,1] op_sel_hi:[1,0,0]
	v_dual_mul_f32 v164, v167, v153 :: v_dual_mov_b32 v154, v167
	v_dual_mov_b32 v169, v155 :: v_dual_mov_b32 v155, v166
	s_delay_alu instid0(VALU_DEP_2) | instskip(SKIP_1) | instid1(VALU_DEP_3)
	v_pk_fma_f32 v[164:165], v[166:167], v[174:175], v[164:165] op_sel_hi:[1,1,0] neg_lo:[0,0,1] neg_hi:[0,0,1]
	v_mul_f32_e32 v166, v167, v150
	v_pk_add_f32 v[194:195], v[194:195], v[168:169] neg_lo:[0,1] neg_hi:[0,1]
	s_delay_alu instid0(VALU_DEP_2) | instskip(NEXT) | instid1(VALU_DEP_1)
	v_pk_fma_f32 v[154:155], v[154:155], v[174:175], v[166:167] op_sel_hi:[1,1,0]
	v_mov_b32_e32 v165, v155
	s_delay_alu instid0(VALU_DEP_1) | instskip(SKIP_3) | instid1(VALU_DEP_1)
	v_pk_add_f32 v[190:191], v[190:191], v[164:165] neg_lo:[0,1] neg_hi:[0,1]
	ds_load_2addr_b64 v[164:167], v222 offset0:46 offset1:47
	s_wait_dscnt 0x0
	v_pk_mul_f32 v[154:155], v[164:165], v[152:153] op_sel:[0,1]
	v_pk_fma_f32 v[168:169], v[164:165], v[150:151], v[154:155] op_sel:[0,0,1] op_sel_hi:[1,1,0] neg_lo:[0,0,1] neg_hi:[0,0,1]
	v_pk_fma_f32 v[154:155], v[164:165], v[150:151], v[154:155] op_sel:[0,0,1] op_sel_hi:[1,0,0]
	s_delay_alu instid0(VALU_DEP_1) | instskip(SKIP_1) | instid1(VALU_DEP_2)
	v_mov_b32_e32 v169, v155
	v_pk_mul_f32 v[154:155], v[166:167], v[152:153] op_sel:[0,1]
	v_pk_add_f32 v[192:193], v[192:193], v[168:169] neg_lo:[0,1] neg_hi:[0,1]
	s_delay_alu instid0(VALU_DEP_2) | instskip(SKIP_1) | instid1(VALU_DEP_1)
	v_pk_fma_f32 v[164:165], v[166:167], v[150:151], v[154:155] op_sel:[0,0,1] op_sel_hi:[1,1,0] neg_lo:[0,0,1] neg_hi:[0,0,1]
	v_pk_fma_f32 v[154:155], v[166:167], v[150:151], v[154:155] op_sel:[0,0,1] op_sel_hi:[1,0,0]
	v_mov_b32_e32 v165, v155
	s_delay_alu instid0(VALU_DEP_1) | instskip(SKIP_3) | instid1(VALU_DEP_1)
	v_pk_add_f32 v[188:189], v[188:189], v[164:165] neg_lo:[0,1] neg_hi:[0,1]
	ds_load_2addr_b64 v[164:167], v222 offset0:48 offset1:49
	s_wait_dscnt 0x0
	v_pk_mul_f32 v[154:155], v[164:165], v[152:153] op_sel:[0,1]
	v_pk_fma_f32 v[168:169], v[164:165], v[150:151], v[154:155] op_sel:[0,0,1] op_sel_hi:[1,1,0] neg_lo:[0,0,1] neg_hi:[0,0,1]
	v_pk_fma_f32 v[154:155], v[164:165], v[150:151], v[154:155] op_sel:[0,0,1] op_sel_hi:[1,0,0]
	s_delay_alu instid0(VALU_DEP_1) | instskip(SKIP_1) | instid1(VALU_DEP_2)
	v_mov_b32_e32 v169, v155
	v_pk_mul_f32 v[154:155], v[166:167], v[152:153] op_sel:[0,1]
	v_pk_add_f32 v[216:217], v[216:217], v[168:169] neg_lo:[0,1] neg_hi:[0,1]
	s_delay_alu instid0(VALU_DEP_2) | instskip(SKIP_1) | instid1(VALU_DEP_1)
	v_pk_fma_f32 v[164:165], v[166:167], v[150:151], v[154:155] op_sel:[0,0,1] op_sel_hi:[1,1,0] neg_lo:[0,0,1] neg_hi:[0,0,1]
	v_pk_fma_f32 v[154:155], v[166:167], v[150:151], v[154:155] op_sel:[0,0,1] op_sel_hi:[1,0,0]
	v_mov_b32_e32 v165, v155
	s_delay_alu instid0(VALU_DEP_1) | instskip(SKIP_3) | instid1(VALU_DEP_1)
	v_pk_add_f32 v[212:213], v[212:213], v[164:165] neg_lo:[0,1] neg_hi:[0,1]
	ds_load_2addr_b64 v[164:167], v222 offset0:50 offset1:51
	s_wait_dscnt 0x0
	v_dual_mul_f32 v154, v165, v153 :: v_dual_mul_f32 v168, v165, v150
	v_pk_fma_f32 v[154:155], v[164:165], v[174:175], v[154:155] op_sel_hi:[1,1,0] neg_lo:[0,0,1] neg_hi:[0,0,1]
	s_delay_alu instid0(VALU_DEP_2) | instskip(NEXT) | instid1(VALU_DEP_1)
	v_pk_fma_f32 v[164:165], v[164:165], v[174:175], v[168:169] op_sel:[1,0,0] op_sel_hi:[0,1,0]
	v_mov_b32_e32 v155, v165
	s_delay_alu instid0(VALU_DEP_1) | instskip(SKIP_1) | instid1(VALU_DEP_1)
	v_pk_add_f32 v[214:215], v[214:215], v[154:155] neg_lo:[0,1] neg_hi:[0,1]
	v_pk_mul_f32 v[154:155], v[166:167], v[152:153] op_sel:[0,1]
	v_pk_fma_f32 v[164:165], v[166:167], v[150:151], v[154:155] op_sel:[0,0,1] op_sel_hi:[1,1,0] neg_lo:[0,0,1] neg_hi:[0,0,1]
	v_pk_fma_f32 v[154:155], v[166:167], v[150:151], v[154:155] op_sel:[0,0,1] op_sel_hi:[1,0,0]
	s_delay_alu instid0(VALU_DEP_1) | instskip(NEXT) | instid1(VALU_DEP_1)
	v_mov_b32_e32 v165, v155
	v_pk_add_f32 v[210:211], v[210:211], v[164:165] neg_lo:[0,1] neg_hi:[0,1]
	ds_load_2addr_b64 v[164:167], v222 offset0:52 offset1:53
	s_wait_dscnt 0x0
	v_pk_mul_f32 v[154:155], v[164:165], v[152:153] op_sel:[0,1]
	s_delay_alu instid0(VALU_DEP_1) | instskip(SKIP_1) | instid1(VALU_DEP_1)
	v_pk_fma_f32 v[168:169], v[164:165], v[150:151], v[154:155] op_sel:[0,0,1] op_sel_hi:[1,1,0] neg_lo:[0,0,1] neg_hi:[0,0,1]
	v_pk_fma_f32 v[154:155], v[164:165], v[150:151], v[154:155] op_sel:[0,0,1] op_sel_hi:[1,0,0]
	v_mov_b32_e32 v169, v155
	v_pk_mul_f32 v[154:155], v[166:167], v[152:153] op_sel:[0,1]
	s_delay_alu instid0(VALU_DEP_2) | instskip(NEXT) | instid1(VALU_DEP_2)
	v_pk_add_f32 v[240:241], v[240:241], v[168:169] neg_lo:[0,1] neg_hi:[0,1]
	v_pk_fma_f32 v[164:165], v[166:167], v[150:151], v[154:155] op_sel:[0,0,1] op_sel_hi:[1,1,0] neg_lo:[0,0,1] neg_hi:[0,0,1]
	v_pk_fma_f32 v[154:155], v[166:167], v[150:151], v[154:155] op_sel:[0,0,1] op_sel_hi:[1,0,0]
	s_delay_alu instid0(VALU_DEP_1) | instskip(NEXT) | instid1(VALU_DEP_1)
	v_mov_b32_e32 v165, v155
	v_pk_add_f32 v[232:233], v[232:233], v[164:165] neg_lo:[0,1] neg_hi:[0,1]
	ds_load_2addr_b64 v[164:167], v222 offset0:54 offset1:55
	s_wait_dscnt 0x0
	v_pk_mul_f32 v[154:155], v[164:165], v[152:153] op_sel:[0,1]
	s_delay_alu instid0(VALU_DEP_1) | instskip(SKIP_2) | instid1(VALU_DEP_2)
	v_pk_fma_f32 v[168:169], v[164:165], v[150:151], v[154:155] op_sel:[0,0,1] op_sel_hi:[1,1,0] neg_lo:[0,0,1] neg_hi:[0,0,1]
	v_pk_fma_f32 v[154:155], v[164:165], v[150:151], v[154:155] op_sel:[0,0,1] op_sel_hi:[1,0,0]
	v_dual_mul_f32 v164, v167, v153 :: v_dual_mov_b32 v154, v167
	v_dual_mov_b32 v169, v155 :: v_dual_mov_b32 v155, v166
	s_delay_alu instid0(VALU_DEP_2) | instskip(SKIP_1) | instid1(VALU_DEP_3)
	v_pk_fma_f32 v[164:165], v[166:167], v[174:175], v[164:165] op_sel_hi:[1,1,0] neg_lo:[0,0,1] neg_hi:[0,0,1]
	v_mul_f32_e32 v166, v167, v150
	v_pk_add_f32 v[238:239], v[238:239], v[168:169] neg_lo:[0,1] neg_hi:[0,1]
	s_delay_alu instid0(VALU_DEP_2) | instskip(NEXT) | instid1(VALU_DEP_1)
	v_pk_fma_f32 v[154:155], v[154:155], v[174:175], v[166:167] op_sel_hi:[1,1,0]
	v_mov_b32_e32 v165, v155
	s_delay_alu instid0(VALU_DEP_1) | instskip(SKIP_3) | instid1(VALU_DEP_1)
	v_pk_add_f32 v[230:231], v[230:231], v[164:165] neg_lo:[0,1] neg_hi:[0,1]
	ds_load_2addr_b64 v[164:167], v222 offset0:56 offset1:57
	s_wait_dscnt 0x0
	v_pk_mul_f32 v[154:155], v[164:165], v[152:153] op_sel:[0,1]
	v_pk_fma_f32 v[168:169], v[164:165], v[150:151], v[154:155] op_sel:[0,0,1] op_sel_hi:[1,1,0] neg_lo:[0,0,1] neg_hi:[0,0,1]
	v_pk_fma_f32 v[154:155], v[164:165], v[150:151], v[154:155] op_sel:[0,0,1] op_sel_hi:[1,0,0]
	s_delay_alu instid0(VALU_DEP_1) | instskip(SKIP_1) | instid1(VALU_DEP_2)
	v_mov_b32_e32 v169, v155
	v_pk_mul_f32 v[154:155], v[166:167], v[152:153] op_sel:[0,1]
	v_pk_add_f32 v[236:237], v[236:237], v[168:169] neg_lo:[0,1] neg_hi:[0,1]
	s_delay_alu instid0(VALU_DEP_2) | instskip(SKIP_1) | instid1(VALU_DEP_1)
	v_pk_fma_f32 v[164:165], v[166:167], v[150:151], v[154:155] op_sel:[0,0,1] op_sel_hi:[1,1,0] neg_lo:[0,0,1] neg_hi:[0,0,1]
	v_pk_fma_f32 v[154:155], v[166:167], v[150:151], v[154:155] op_sel:[0,0,1] op_sel_hi:[1,0,0]
	v_mov_b32_e32 v165, v155
	s_delay_alu instid0(VALU_DEP_1) | instskip(SKIP_3) | instid1(VALU_DEP_1)
	v_pk_add_f32 v[228:229], v[228:229], v[164:165] neg_lo:[0,1] neg_hi:[0,1]
	ds_load_2addr_b64 v[164:167], v222 offset0:58 offset1:59
	s_wait_dscnt 0x0
	v_pk_mul_f32 v[154:155], v[164:165], v[152:153] op_sel:[0,1]
	v_pk_fma_f32 v[168:169], v[164:165], v[150:151], v[154:155] op_sel:[0,0,1] op_sel_hi:[1,1,0] neg_lo:[0,0,1] neg_hi:[0,0,1]
	v_pk_fma_f32 v[154:155], v[164:165], v[150:151], v[154:155] op_sel:[0,0,1] op_sel_hi:[1,0,0]
	s_delay_alu instid0(VALU_DEP_1) | instskip(SKIP_1) | instid1(VALU_DEP_2)
	v_mov_b32_e32 v169, v155
	v_pk_mul_f32 v[154:155], v[166:167], v[152:153] op_sel:[0,1]
	v_pk_add_f32 v[234:235], v[234:235], v[168:169] neg_lo:[0,1] neg_hi:[0,1]
	s_delay_alu instid0(VALU_DEP_2) | instskip(SKIP_1) | instid1(VALU_DEP_1)
	v_pk_fma_f32 v[164:165], v[166:167], v[150:151], v[154:155] op_sel:[0,0,1] op_sel_hi:[1,1,0] neg_lo:[0,0,1] neg_hi:[0,0,1]
	v_pk_fma_f32 v[154:155], v[166:167], v[150:151], v[154:155] op_sel:[0,0,1] op_sel_hi:[1,0,0]
	v_mov_b32_e32 v165, v155
	ds_load_b64 v[154:155], v222 offset:480
	v_pk_add_f32 v[242:243], v[242:243], v[164:165] neg_lo:[0,1] neg_hi:[0,1]
	s_wait_dscnt 0x0
	v_pk_mul_f32 v[152:153], v[154:155], v[152:153] op_sel:[0,1]
	s_delay_alu instid0(VALU_DEP_1) | instskip(SKIP_1) | instid1(VALU_DEP_1)
	v_pk_fma_f32 v[164:165], v[154:155], v[150:151], v[152:153] op_sel:[0,0,1] op_sel_hi:[1,1,0] neg_lo:[0,0,1] neg_hi:[0,0,1]
	v_pk_fma_f32 v[150:151], v[154:155], v[150:151], v[152:153] op_sel:[0,0,1] op_sel_hi:[1,0,0]
	v_mov_b32_e32 v165, v151
	s_delay_alu instid0(VALU_DEP_1)
	v_pk_add_f32 v[244:245], v[244:245], v[164:165] neg_lo:[0,1] neg_hi:[0,1]
.LBB121_379:
	s_or_b32 exec_lo, exec_lo, s1
	s_delay_alu instid0(SALU_CYCLE_1)
	s_mov_b32 s2, exec_lo
	s_wait_dscnt 0x0
	s_barrier_signal -1
	s_barrier_wait -1
	v_cmpx_eq_u32_e32 42, v220
	s_cbranch_execz .LBB121_386
; %bb.380:
	ds_store_b64 v221, v[176:177]
	ds_store_2addr_b64 v222, v[172:173], v[194:195] offset0:43 offset1:44
	ds_store_2addr_b64 v222, v[190:191], v[192:193] offset0:45 offset1:46
	;; [unrolled: 1-line block ×9, first 2 shown]
	ds_load_b64 v[150:151], v221
	s_wait_dscnt 0x0
	v_cmp_neq_f32_e32 vcc_lo, 0, v150
	v_cmp_neq_f32_e64 s1, 0, v151
	s_or_b32 s1, vcc_lo, s1
	s_delay_alu instid0(SALU_CYCLE_1)
	s_and_b32 exec_lo, exec_lo, s1
	s_cbranch_execz .LBB121_386
; %bb.381:
	v_cmp_ngt_f32_e64 s1, |v150|, |v151|
                                        ; implicit-def: $vgpr152_vgpr153
	s_and_saveexec_b32 s4, s1
	s_delay_alu instid0(SALU_CYCLE_1)
	s_xor_b32 s1, exec_lo, s4
	s_cbranch_execz .LBB121_383
; %bb.382:
	v_div_scale_f32 v152, null, v151, v151, v150
	v_div_scale_f32 v155, vcc_lo, v150, v151, v150
	s_delay_alu instid0(VALU_DEP_2) | instskip(SKIP_1) | instid1(TRANS32_DEP_1)
	v_rcp_f32_e32 v153, v152
	v_nop
	v_fma_f32 v154, -v152, v153, 1.0
	s_delay_alu instid0(VALU_DEP_1) | instskip(NEXT) | instid1(VALU_DEP_1)
	v_fmac_f32_e32 v153, v154, v153
	v_mul_f32_e32 v154, v155, v153
	s_delay_alu instid0(VALU_DEP_1) | instskip(NEXT) | instid1(VALU_DEP_1)
	v_fma_f32 v164, -v152, v154, v155
	v_fmac_f32_e32 v154, v164, v153
	s_delay_alu instid0(VALU_DEP_1) | instskip(NEXT) | instid1(VALU_DEP_1)
	v_fma_f32 v152, -v152, v154, v155
	v_div_fmas_f32 v152, v152, v153, v154
	s_delay_alu instid0(VALU_DEP_1) | instskip(NEXT) | instid1(VALU_DEP_1)
	v_div_fixup_f32 v152, v152, v151, v150
	v_fmac_f32_e32 v151, v150, v152
	s_delay_alu instid0(VALU_DEP_1) | instskip(SKIP_1) | instid1(VALU_DEP_2)
	v_div_scale_f32 v150, null, v151, v151, 1.0
	v_div_scale_f32 v155, vcc_lo, 1.0, v151, 1.0
	v_rcp_f32_e32 v153, v150
	v_nop
	s_delay_alu instid0(TRANS32_DEP_1) | instskip(NEXT) | instid1(VALU_DEP_1)
	v_fma_f32 v154, -v150, v153, 1.0
	v_fmac_f32_e32 v153, v154, v153
	s_delay_alu instid0(VALU_DEP_1) | instskip(NEXT) | instid1(VALU_DEP_1)
	v_mul_f32_e32 v154, v155, v153
	v_fma_f32 v164, -v150, v154, v155
	s_delay_alu instid0(VALU_DEP_1) | instskip(NEXT) | instid1(VALU_DEP_1)
	v_fmac_f32_e32 v154, v164, v153
	v_fma_f32 v150, -v150, v154, v155
	s_delay_alu instid0(VALU_DEP_1) | instskip(NEXT) | instid1(VALU_DEP_1)
	v_div_fmas_f32 v150, v150, v153, v154
	v_div_fixup_f32 v150, v150, v151, 1.0
	s_delay_alu instid0(VALU_DEP_1)
	v_mul_f32_e32 v152, v152, v150
	v_xor_b32_e32 v153, 0x80000000, v150
                                        ; implicit-def: $vgpr150_vgpr151
.LBB121_383:
	s_and_not1_saveexec_b32 s1, s1
	s_cbranch_execz .LBB121_385
; %bb.384:
	v_div_scale_f32 v152, null, v150, v150, v151
	v_div_scale_f32 v155, vcc_lo, v151, v150, v151
	s_delay_alu instid0(VALU_DEP_2) | instskip(SKIP_1) | instid1(TRANS32_DEP_1)
	v_rcp_f32_e32 v153, v152
	v_nop
	v_fma_f32 v154, -v152, v153, 1.0
	s_delay_alu instid0(VALU_DEP_1) | instskip(NEXT) | instid1(VALU_DEP_1)
	v_fmac_f32_e32 v153, v154, v153
	v_mul_f32_e32 v154, v155, v153
	s_delay_alu instid0(VALU_DEP_1) | instskip(NEXT) | instid1(VALU_DEP_1)
	v_fma_f32 v164, -v152, v154, v155
	v_fmac_f32_e32 v154, v164, v153
	s_delay_alu instid0(VALU_DEP_1) | instskip(NEXT) | instid1(VALU_DEP_1)
	v_fma_f32 v152, -v152, v154, v155
	v_div_fmas_f32 v152, v152, v153, v154
	s_delay_alu instid0(VALU_DEP_1) | instskip(NEXT) | instid1(VALU_DEP_1)
	v_div_fixup_f32 v153, v152, v150, v151
	v_fmac_f32_e32 v150, v151, v153
	s_delay_alu instid0(VALU_DEP_1) | instskip(NEXT) | instid1(VALU_DEP_1)
	v_div_scale_f32 v151, null, v150, v150, 1.0
	v_rcp_f32_e32 v152, v151
	v_nop
	s_delay_alu instid0(TRANS32_DEP_1) | instskip(NEXT) | instid1(VALU_DEP_1)
	v_fma_f32 v154, -v151, v152, 1.0
	v_fmac_f32_e32 v152, v154, v152
	v_div_scale_f32 v154, vcc_lo, 1.0, v150, 1.0
	s_delay_alu instid0(VALU_DEP_1) | instskip(NEXT) | instid1(VALU_DEP_1)
	v_mul_f32_e32 v155, v154, v152
	v_fma_f32 v164, -v151, v155, v154
	s_delay_alu instid0(VALU_DEP_1) | instskip(NEXT) | instid1(VALU_DEP_1)
	v_fmac_f32_e32 v155, v164, v152
	v_fma_f32 v151, -v151, v155, v154
	s_delay_alu instid0(VALU_DEP_1) | instskip(NEXT) | instid1(VALU_DEP_1)
	v_div_fmas_f32 v151, v151, v152, v155
	v_div_fixup_f32 v152, v151, v150, 1.0
	s_delay_alu instid0(VALU_DEP_1)
	v_mul_f32_e64 v153, v153, -v152
.LBB121_385:
	s_or_b32 exec_lo, exec_lo, s1
	ds_store_b64 v221, v[152:153]
.LBB121_386:
	s_or_b32 exec_lo, exec_lo, s2
	s_wait_dscnt 0x0
	s_barrier_signal -1
	s_barrier_wait -1
	ds_load_b64 v[150:151], v221
	s_mov_b32 s1, exec_lo
	v_cmpx_lt_u32_e32 42, v220
	s_cbranch_execz .LBB121_388
; %bb.387:
	ds_load_2addr_b64 v[164:167], v222 offset0:43 offset1:44
	s_wait_dscnt 0x1
	v_pk_mul_f32 v[154:155], v[150:151], v[176:177] op_sel:[1,1] op_sel_hi:[0,1]
	s_delay_alu instid0(VALU_DEP_1) | instskip(SKIP_1) | instid1(VALU_DEP_1)
	v_pk_fma_f32 v[152:153], v[150:151], v[176:177], v[154:155] op_sel_hi:[1,0,1] neg_lo:[0,0,1] neg_hi:[0,0,1]
	v_pk_fma_f32 v[154:155], v[150:151], v[176:177], v[154:155] op_sel_hi:[1,0,1]
	v_dual_mov_b32 v176, v152 :: v_dual_mov_b32 v177, v155
	s_wait_dscnt 0x0
	s_delay_alu instid0(VALU_DEP_2) | instskip(NEXT) | instid1(VALU_DEP_1)
	v_pk_mul_f32 v[168:169], v[164:165], v[154:155] op_sel:[0,1]
	v_pk_fma_f32 v[170:171], v[164:165], v[152:153], v[168:169] op_sel:[0,0,1] op_sel_hi:[1,1,0] neg_lo:[0,0,1] neg_hi:[0,0,1]
	v_pk_fma_f32 v[164:165], v[164:165], v[152:153], v[168:169] op_sel:[0,0,1] op_sel_hi:[1,0,0]
	s_delay_alu instid0(VALU_DEP_1) | instskip(SKIP_1) | instid1(VALU_DEP_1)
	v_mov_b32_e32 v171, v165
	v_pk_mul_f32 v[164:165], v[166:167], v[154:155] op_sel:[0,1]
	v_pk_fma_f32 v[168:169], v[166:167], v[152:153], v[164:165] op_sel:[0,0,1] op_sel_hi:[1,1,0] neg_lo:[0,0,1] neg_hi:[0,0,1]
	v_pk_fma_f32 v[164:165], v[166:167], v[152:153], v[164:165] op_sel:[0,0,1] op_sel_hi:[1,0,0]
	s_delay_alu instid0(VALU_DEP_1)
	v_mov_b32_e32 v169, v165
	ds_load_2addr_b64 v[164:167], v222 offset0:45 offset1:46
	v_pk_add_f32 v[172:173], v[172:173], v[170:171] neg_lo:[0,1] neg_hi:[0,1]
	v_pk_add_f32 v[194:195], v[194:195], v[168:169] neg_lo:[0,1] neg_hi:[0,1]
	s_wait_dscnt 0x0
	v_pk_mul_f32 v[168:169], v[164:165], v[154:155] op_sel:[0,1]
	s_delay_alu instid0(VALU_DEP_1) | instskip(SKIP_2) | instid1(VALU_DEP_2)
	v_pk_fma_f32 v[170:171], v[164:165], v[152:153], v[168:169] op_sel:[0,0,1] op_sel_hi:[1,1,0] neg_lo:[0,0,1] neg_hi:[0,0,1]
	v_pk_fma_f32 v[164:165], v[164:165], v[152:153], v[168:169] op_sel:[0,0,1] op_sel_hi:[1,0,0]
	v_dual_mul_f32 v168, v167, v155 :: v_dual_mov_b32 v164, v167
	v_dual_mov_b32 v171, v165 :: v_dual_mov_b32 v165, v166
	s_delay_alu instid0(VALU_DEP_2) | instskip(SKIP_1) | instid1(VALU_DEP_3)
	v_pk_fma_f32 v[168:169], v[166:167], v[176:177], v[168:169] op_sel_hi:[1,1,0] neg_lo:[0,0,1] neg_hi:[0,0,1]
	v_mul_f32_e32 v166, v167, v152
	v_pk_add_f32 v[190:191], v[190:191], v[170:171] neg_lo:[0,1] neg_hi:[0,1]
	s_delay_alu instid0(VALU_DEP_2) | instskip(NEXT) | instid1(VALU_DEP_1)
	v_pk_fma_f32 v[164:165], v[164:165], v[176:177], v[166:167] op_sel_hi:[1,1,0]
	v_mov_b32_e32 v169, v165
	ds_load_2addr_b64 v[164:167], v222 offset0:47 offset1:48
	v_pk_add_f32 v[192:193], v[192:193], v[168:169] neg_lo:[0,1] neg_hi:[0,1]
	s_wait_dscnt 0x0
	v_pk_mul_f32 v[168:169], v[164:165], v[154:155] op_sel:[0,1]
	s_delay_alu instid0(VALU_DEP_1) | instskip(SKIP_1) | instid1(VALU_DEP_1)
	v_pk_fma_f32 v[170:171], v[164:165], v[152:153], v[168:169] op_sel:[0,0,1] op_sel_hi:[1,1,0] neg_lo:[0,0,1] neg_hi:[0,0,1]
	v_pk_fma_f32 v[164:165], v[164:165], v[152:153], v[168:169] op_sel:[0,0,1] op_sel_hi:[1,0,0]
	v_mov_b32_e32 v171, v165
	v_pk_mul_f32 v[164:165], v[166:167], v[154:155] op_sel:[0,1]
	s_delay_alu instid0(VALU_DEP_1) | instskip(SKIP_1) | instid1(VALU_DEP_1)
	v_pk_fma_f32 v[168:169], v[166:167], v[152:153], v[164:165] op_sel:[0,0,1] op_sel_hi:[1,1,0] neg_lo:[0,0,1] neg_hi:[0,0,1]
	v_pk_fma_f32 v[164:165], v[166:167], v[152:153], v[164:165] op_sel:[0,0,1] op_sel_hi:[1,0,0]
	v_mov_b32_e32 v169, v165
	ds_load_2addr_b64 v[164:167], v222 offset0:49 offset1:50
	v_pk_add_f32 v[188:189], v[188:189], v[170:171] neg_lo:[0,1] neg_hi:[0,1]
	v_pk_add_f32 v[216:217], v[216:217], v[168:169] neg_lo:[0,1] neg_hi:[0,1]
	s_wait_dscnt 0x0
	v_pk_mul_f32 v[168:169], v[164:165], v[154:155] op_sel:[0,1]
	s_delay_alu instid0(VALU_DEP_1) | instskip(SKIP_1) | instid1(VALU_DEP_1)
	v_pk_fma_f32 v[170:171], v[164:165], v[152:153], v[168:169] op_sel:[0,0,1] op_sel_hi:[1,1,0] neg_lo:[0,0,1] neg_hi:[0,0,1]
	v_pk_fma_f32 v[164:165], v[164:165], v[152:153], v[168:169] op_sel:[0,0,1] op_sel_hi:[1,0,0]
	v_mov_b32_e32 v171, v165
	v_pk_mul_f32 v[164:165], v[166:167], v[154:155] op_sel:[0,1]
	s_delay_alu instid0(VALU_DEP_1) | instskip(SKIP_1) | instid1(VALU_DEP_1)
	v_pk_fma_f32 v[168:169], v[166:167], v[152:153], v[164:165] op_sel:[0,0,1] op_sel_hi:[1,1,0] neg_lo:[0,0,1] neg_hi:[0,0,1]
	v_pk_fma_f32 v[164:165], v[166:167], v[152:153], v[164:165] op_sel:[0,0,1] op_sel_hi:[1,0,0]
	v_mov_b32_e32 v169, v165
	ds_load_2addr_b64 v[164:167], v222 offset0:51 offset1:52
	v_pk_add_f32 v[212:213], v[212:213], v[170:171] neg_lo:[0,1] neg_hi:[0,1]
	v_pk_add_f32 v[214:215], v[214:215], v[168:169] neg_lo:[0,1] neg_hi:[0,1]
	s_wait_dscnt 0x0
	v_dual_mul_f32 v168, v165, v155 :: v_dual_mul_f32 v170, v165, v152
	s_delay_alu instid0(VALU_DEP_1) | instskip(NEXT) | instid1(VALU_DEP_2)
	v_pk_fma_f32 v[168:169], v[164:165], v[176:177], v[168:169] op_sel_hi:[1,1,0] neg_lo:[0,0,1] neg_hi:[0,0,1]
	v_pk_fma_f32 v[164:165], v[164:165], v[176:177], v[170:171] op_sel:[1,0,0] op_sel_hi:[0,1,0]
	s_delay_alu instid0(VALU_DEP_1) | instskip(SKIP_1) | instid1(VALU_DEP_2)
	v_mov_b32_e32 v169, v165
	v_pk_mul_f32 v[164:165], v[166:167], v[154:155] op_sel:[0,1]
	v_pk_add_f32 v[210:211], v[210:211], v[168:169] neg_lo:[0,1] neg_hi:[0,1]
	s_delay_alu instid0(VALU_DEP_2) | instskip(SKIP_1) | instid1(VALU_DEP_1)
	v_pk_fma_f32 v[168:169], v[166:167], v[152:153], v[164:165] op_sel:[0,0,1] op_sel_hi:[1,1,0] neg_lo:[0,0,1] neg_hi:[0,0,1]
	v_pk_fma_f32 v[164:165], v[166:167], v[152:153], v[164:165] op_sel:[0,0,1] op_sel_hi:[1,0,0]
	v_mov_b32_e32 v169, v165
	ds_load_2addr_b64 v[164:167], v222 offset0:53 offset1:54
	v_pk_add_f32 v[240:241], v[240:241], v[168:169] neg_lo:[0,1] neg_hi:[0,1]
	s_wait_dscnt 0x0
	v_pk_mul_f32 v[168:169], v[164:165], v[154:155] op_sel:[0,1]
	s_delay_alu instid0(VALU_DEP_1) | instskip(SKIP_1) | instid1(VALU_DEP_1)
	v_pk_fma_f32 v[170:171], v[164:165], v[152:153], v[168:169] op_sel:[0,0,1] op_sel_hi:[1,1,0] neg_lo:[0,0,1] neg_hi:[0,0,1]
	v_pk_fma_f32 v[164:165], v[164:165], v[152:153], v[168:169] op_sel:[0,0,1] op_sel_hi:[1,0,0]
	v_mov_b32_e32 v171, v165
	v_pk_mul_f32 v[164:165], v[166:167], v[154:155] op_sel:[0,1]
	s_delay_alu instid0(VALU_DEP_2) | instskip(NEXT) | instid1(VALU_DEP_2)
	v_pk_add_f32 v[232:233], v[232:233], v[170:171] neg_lo:[0,1] neg_hi:[0,1]
	v_pk_fma_f32 v[168:169], v[166:167], v[152:153], v[164:165] op_sel:[0,0,1] op_sel_hi:[1,1,0] neg_lo:[0,0,1] neg_hi:[0,0,1]
	v_pk_fma_f32 v[164:165], v[166:167], v[152:153], v[164:165] op_sel:[0,0,1] op_sel_hi:[1,0,0]
	s_delay_alu instid0(VALU_DEP_1) | instskip(SKIP_4) | instid1(VALU_DEP_1)
	v_mov_b32_e32 v169, v165
	ds_load_2addr_b64 v[164:167], v222 offset0:55 offset1:56
	v_pk_add_f32 v[238:239], v[238:239], v[168:169] neg_lo:[0,1] neg_hi:[0,1]
	s_wait_dscnt 0x0
	v_pk_mul_f32 v[168:169], v[164:165], v[154:155] op_sel:[0,1]
	v_pk_fma_f32 v[170:171], v[164:165], v[152:153], v[168:169] op_sel:[0,0,1] op_sel_hi:[1,1,0] neg_lo:[0,0,1] neg_hi:[0,0,1]
	v_pk_fma_f32 v[164:165], v[164:165], v[152:153], v[168:169] op_sel:[0,0,1] op_sel_hi:[1,0,0]
	v_dual_mul_f32 v168, v167, v155 :: v_dual_mov_b32 v164, v167
	s_delay_alu instid0(VALU_DEP_2) | instskip(NEXT) | instid1(VALU_DEP_2)
	v_dual_mov_b32 v171, v165 :: v_dual_mov_b32 v165, v166
	v_pk_fma_f32 v[168:169], v[166:167], v[176:177], v[168:169] op_sel_hi:[1,1,0] neg_lo:[0,0,1] neg_hi:[0,0,1]
	v_mul_f32_e32 v166, v167, v152
	s_delay_alu instid0(VALU_DEP_3) | instskip(NEXT) | instid1(VALU_DEP_2)
	v_pk_add_f32 v[230:231], v[230:231], v[170:171] neg_lo:[0,1] neg_hi:[0,1]
	v_pk_fma_f32 v[164:165], v[164:165], v[176:177], v[166:167] op_sel_hi:[1,1,0]
	s_delay_alu instid0(VALU_DEP_1) | instskip(SKIP_4) | instid1(VALU_DEP_1)
	v_mov_b32_e32 v169, v165
	ds_load_2addr_b64 v[164:167], v222 offset0:57 offset1:58
	v_pk_add_f32 v[236:237], v[236:237], v[168:169] neg_lo:[0,1] neg_hi:[0,1]
	s_wait_dscnt 0x0
	v_pk_mul_f32 v[168:169], v[164:165], v[154:155] op_sel:[0,1]
	v_pk_fma_f32 v[170:171], v[164:165], v[152:153], v[168:169] op_sel:[0,0,1] op_sel_hi:[1,1,0] neg_lo:[0,0,1] neg_hi:[0,0,1]
	v_pk_fma_f32 v[164:165], v[164:165], v[152:153], v[168:169] op_sel:[0,0,1] op_sel_hi:[1,0,0]
	s_delay_alu instid0(VALU_DEP_1) | instskip(SKIP_1) | instid1(VALU_DEP_1)
	v_mov_b32_e32 v171, v165
	v_pk_mul_f32 v[164:165], v[166:167], v[154:155] op_sel:[0,1]
	v_pk_fma_f32 v[168:169], v[166:167], v[152:153], v[164:165] op_sel:[0,0,1] op_sel_hi:[1,1,0] neg_lo:[0,0,1] neg_hi:[0,0,1]
	v_pk_fma_f32 v[164:165], v[166:167], v[152:153], v[164:165] op_sel:[0,0,1] op_sel_hi:[1,0,0]
	s_delay_alu instid0(VALU_DEP_1)
	v_mov_b32_e32 v169, v165
	ds_load_2addr_b64 v[164:167], v222 offset0:59 offset1:60
	v_pk_add_f32 v[228:229], v[228:229], v[170:171] neg_lo:[0,1] neg_hi:[0,1]
	v_pk_add_f32 v[234:235], v[234:235], v[168:169] neg_lo:[0,1] neg_hi:[0,1]
	s_wait_dscnt 0x0
	v_pk_mul_f32 v[168:169], v[164:165], v[154:155] op_sel:[0,1]
	v_mul_f32_e32 v154, v167, v155
	s_delay_alu instid0(VALU_DEP_2) | instskip(SKIP_2) | instid1(VALU_DEP_4)
	v_pk_fma_f32 v[170:171], v[164:165], v[152:153], v[168:169] op_sel:[0,0,1] op_sel_hi:[1,1,0] neg_lo:[0,0,1] neg_hi:[0,0,1]
	v_pk_fma_f32 v[164:165], v[164:165], v[152:153], v[168:169] op_sel:[0,0,1] op_sel_hi:[1,0,0]
	v_dual_mov_b32 v164, v167 :: v_dual_mul_f32 v152, v167, v152
	v_pk_fma_f32 v[154:155], v[166:167], v[176:177], v[154:155] op_sel_hi:[1,1,0] neg_lo:[0,0,1] neg_hi:[0,0,1]
	s_delay_alu instid0(VALU_DEP_3) | instskip(NEXT) | instid1(VALU_DEP_1)
	v_dual_mov_b32 v171, v165 :: v_dual_mov_b32 v165, v166
	v_pk_add_f32 v[242:243], v[242:243], v[170:171] neg_lo:[0,1] neg_hi:[0,1]
	s_delay_alu instid0(VALU_DEP_2) | instskip(NEXT) | instid1(VALU_DEP_1)
	v_pk_fma_f32 v[152:153], v[164:165], v[176:177], v[152:153] op_sel_hi:[1,1,0]
	v_mov_b32_e32 v155, v153
	s_delay_alu instid0(VALU_DEP_1)
	v_pk_add_f32 v[244:245], v[244:245], v[154:155] neg_lo:[0,1] neg_hi:[0,1]
.LBB121_388:
	s_or_b32 exec_lo, exec_lo, s1
	s_delay_alu instid0(SALU_CYCLE_1)
	s_mov_b32 s2, exec_lo
	s_wait_dscnt 0x0
	s_barrier_signal -1
	s_barrier_wait -1
	v_cmpx_eq_u32_e32 43, v220
	s_cbranch_execz .LBB121_395
; %bb.389:
	v_dual_mov_b32 v152, v194 :: v_dual_mov_b32 v153, v195
	v_dual_mov_b32 v154, v190 :: v_dual_mov_b32 v155, v191
	ds_store_b64 v221, v[172:173]
	ds_store_2addr_b64 v222, v[152:153], v[154:155] offset0:44 offset1:45
	v_dual_mov_b32 v152, v192 :: v_dual_mov_b32 v153, v193
	v_dual_mov_b32 v154, v188 :: v_dual_mov_b32 v155, v189
	ds_store_2addr_b64 v222, v[152:153], v[154:155] offset0:46 offset1:47
	v_dual_mov_b32 v152, v216 :: v_dual_mov_b32 v153, v217
	v_dual_mov_b32 v154, v212 :: v_dual_mov_b32 v155, v213
	;; [unrolled: 3-line block ×7, first 2 shown]
	ds_store_2addr_b64 v222, v[152:153], v[154:155] offset0:58 offset1:59
	ds_store_b64 v222, v[244:245] offset:480
	ds_load_b64 v[152:153], v221
	s_wait_dscnt 0x0
	v_cmp_neq_f32_e32 vcc_lo, 0, v152
	v_cmp_neq_f32_e64 s1, 0, v153
	s_or_b32 s1, vcc_lo, s1
	s_delay_alu instid0(SALU_CYCLE_1)
	s_and_b32 exec_lo, exec_lo, s1
	s_cbranch_execz .LBB121_395
; %bb.390:
	v_cmp_ngt_f32_e64 s1, |v152|, |v153|
                                        ; implicit-def: $vgpr154_vgpr155
	s_and_saveexec_b32 s4, s1
	s_delay_alu instid0(SALU_CYCLE_1)
	s_xor_b32 s1, exec_lo, s4
	s_cbranch_execz .LBB121_392
; %bb.391:
	v_div_scale_f32 v154, null, v153, v153, v152
	v_div_scale_f32 v165, vcc_lo, v152, v153, v152
	s_delay_alu instid0(VALU_DEP_2) | instskip(SKIP_1) | instid1(TRANS32_DEP_1)
	v_rcp_f32_e32 v155, v154
	v_nop
	v_fma_f32 v164, -v154, v155, 1.0
	s_delay_alu instid0(VALU_DEP_1) | instskip(NEXT) | instid1(VALU_DEP_1)
	v_fmac_f32_e32 v155, v164, v155
	v_mul_f32_e32 v164, v165, v155
	s_delay_alu instid0(VALU_DEP_1) | instskip(NEXT) | instid1(VALU_DEP_1)
	v_fma_f32 v166, -v154, v164, v165
	v_fmac_f32_e32 v164, v166, v155
	s_delay_alu instid0(VALU_DEP_1) | instskip(NEXT) | instid1(VALU_DEP_1)
	v_fma_f32 v154, -v154, v164, v165
	v_div_fmas_f32 v154, v154, v155, v164
	s_delay_alu instid0(VALU_DEP_1) | instskip(NEXT) | instid1(VALU_DEP_1)
	v_div_fixup_f32 v154, v154, v153, v152
	v_fmac_f32_e32 v153, v152, v154
	s_delay_alu instid0(VALU_DEP_1) | instskip(SKIP_1) | instid1(VALU_DEP_2)
	v_div_scale_f32 v152, null, v153, v153, 1.0
	v_div_scale_f32 v165, vcc_lo, 1.0, v153, 1.0
	v_rcp_f32_e32 v155, v152
	v_nop
	s_delay_alu instid0(TRANS32_DEP_1) | instskip(NEXT) | instid1(VALU_DEP_1)
	v_fma_f32 v164, -v152, v155, 1.0
	v_fmac_f32_e32 v155, v164, v155
	s_delay_alu instid0(VALU_DEP_1) | instskip(NEXT) | instid1(VALU_DEP_1)
	v_mul_f32_e32 v164, v165, v155
	v_fma_f32 v166, -v152, v164, v165
	s_delay_alu instid0(VALU_DEP_1) | instskip(NEXT) | instid1(VALU_DEP_1)
	v_fmac_f32_e32 v164, v166, v155
	v_fma_f32 v152, -v152, v164, v165
	s_delay_alu instid0(VALU_DEP_1) | instskip(NEXT) | instid1(VALU_DEP_1)
	v_div_fmas_f32 v152, v152, v155, v164
	v_div_fixup_f32 v152, v152, v153, 1.0
	s_delay_alu instid0(VALU_DEP_1)
	v_mul_f32_e32 v154, v154, v152
	v_xor_b32_e32 v155, 0x80000000, v152
                                        ; implicit-def: $vgpr152_vgpr153
.LBB121_392:
	s_and_not1_saveexec_b32 s1, s1
	s_cbranch_execz .LBB121_394
; %bb.393:
	v_div_scale_f32 v154, null, v152, v152, v153
	v_div_scale_f32 v165, vcc_lo, v153, v152, v153
	s_delay_alu instid0(VALU_DEP_2) | instskip(SKIP_1) | instid1(TRANS32_DEP_1)
	v_rcp_f32_e32 v155, v154
	v_nop
	v_fma_f32 v164, -v154, v155, 1.0
	s_delay_alu instid0(VALU_DEP_1) | instskip(NEXT) | instid1(VALU_DEP_1)
	v_fmac_f32_e32 v155, v164, v155
	v_mul_f32_e32 v164, v165, v155
	s_delay_alu instid0(VALU_DEP_1) | instskip(NEXT) | instid1(VALU_DEP_1)
	v_fma_f32 v166, -v154, v164, v165
	v_fmac_f32_e32 v164, v166, v155
	s_delay_alu instid0(VALU_DEP_1) | instskip(NEXT) | instid1(VALU_DEP_1)
	v_fma_f32 v154, -v154, v164, v165
	v_div_fmas_f32 v154, v154, v155, v164
	s_delay_alu instid0(VALU_DEP_1) | instskip(NEXT) | instid1(VALU_DEP_1)
	v_div_fixup_f32 v155, v154, v152, v153
	v_fmac_f32_e32 v152, v153, v155
	s_delay_alu instid0(VALU_DEP_1) | instskip(NEXT) | instid1(VALU_DEP_1)
	v_div_scale_f32 v153, null, v152, v152, 1.0
	v_rcp_f32_e32 v154, v153
	v_nop
	s_delay_alu instid0(TRANS32_DEP_1) | instskip(NEXT) | instid1(VALU_DEP_1)
	v_fma_f32 v164, -v153, v154, 1.0
	v_fmac_f32_e32 v154, v164, v154
	v_div_scale_f32 v164, vcc_lo, 1.0, v152, 1.0
	s_delay_alu instid0(VALU_DEP_1) | instskip(NEXT) | instid1(VALU_DEP_1)
	v_mul_f32_e32 v165, v164, v154
	v_fma_f32 v166, -v153, v165, v164
	s_delay_alu instid0(VALU_DEP_1) | instskip(NEXT) | instid1(VALU_DEP_1)
	v_fmac_f32_e32 v165, v166, v154
	v_fma_f32 v153, -v153, v165, v164
	s_delay_alu instid0(VALU_DEP_1) | instskip(NEXT) | instid1(VALU_DEP_1)
	v_div_fmas_f32 v153, v153, v154, v165
	v_div_fixup_f32 v154, v153, v152, 1.0
	s_delay_alu instid0(VALU_DEP_1)
	v_mul_f32_e64 v155, v155, -v154
.LBB121_394:
	s_or_b32 exec_lo, exec_lo, s1
	ds_store_b64 v221, v[154:155]
.LBB121_395:
	s_or_b32 exec_lo, exec_lo, s2
	s_wait_dscnt 0x0
	s_barrier_signal -1
	s_barrier_wait -1
	ds_load_b64 v[152:153], v221
	s_mov_b32 s1, exec_lo
	v_cmpx_lt_u32_e32 43, v220
	s_cbranch_execz .LBB121_397
; %bb.396:
	ds_load_2addr_b64 v[166:169], v222 offset0:44 offset1:45
	s_wait_dscnt 0x1
	v_pk_mul_f32 v[164:165], v[152:153], v[172:173] op_sel:[1,1] op_sel_hi:[0,1]
	s_delay_alu instid0(VALU_DEP_1) | instskip(SKIP_1) | instid1(VALU_DEP_1)
	v_pk_fma_f32 v[154:155], v[152:153], v[172:173], v[164:165] op_sel_hi:[1,0,1] neg_lo:[0,0,1] neg_hi:[0,0,1]
	v_pk_fma_f32 v[164:165], v[152:153], v[172:173], v[164:165] op_sel_hi:[1,0,1]
	v_dual_mov_b32 v172, v154 :: v_dual_mov_b32 v173, v165
	s_wait_dscnt 0x0
	s_delay_alu instid0(VALU_DEP_2) | instskip(NEXT) | instid1(VALU_DEP_1)
	v_pk_mul_f32 v[170:171], v[166:167], v[164:165] op_sel:[0,1]
	v_pk_fma_f32 v[180:181], v[166:167], v[154:155], v[170:171] op_sel:[0,0,1] op_sel_hi:[1,1,0] neg_lo:[0,0,1] neg_hi:[0,0,1]
	v_pk_fma_f32 v[166:167], v[166:167], v[154:155], v[170:171] op_sel:[0,0,1] op_sel_hi:[1,0,0]
	s_delay_alu instid0(VALU_DEP_1) | instskip(SKIP_1) | instid1(VALU_DEP_1)
	v_mov_b32_e32 v181, v167
	v_pk_mul_f32 v[166:167], v[168:169], v[164:165] op_sel:[0,1]
	v_pk_fma_f32 v[170:171], v[168:169], v[154:155], v[166:167] op_sel:[0,0,1] op_sel_hi:[1,1,0] neg_lo:[0,0,1] neg_hi:[0,0,1]
	v_pk_fma_f32 v[166:167], v[168:169], v[154:155], v[166:167] op_sel:[0,0,1] op_sel_hi:[1,0,0]
	s_delay_alu instid0(VALU_DEP_1)
	v_mov_b32_e32 v171, v167
	ds_load_2addr_b64 v[166:169], v222 offset0:46 offset1:47
	v_pk_add_f32 v[194:195], v[194:195], v[180:181] neg_lo:[0,1] neg_hi:[0,1]
	v_pk_add_f32 v[190:191], v[190:191], v[170:171] neg_lo:[0,1] neg_hi:[0,1]
	s_wait_dscnt 0x0
	v_pk_mul_f32 v[170:171], v[166:167], v[164:165] op_sel:[0,1]
	s_delay_alu instid0(VALU_DEP_1) | instskip(SKIP_2) | instid1(VALU_DEP_2)
	v_pk_fma_f32 v[180:181], v[166:167], v[154:155], v[170:171] op_sel:[0,0,1] op_sel_hi:[1,1,0] neg_lo:[0,0,1] neg_hi:[0,0,1]
	v_pk_fma_f32 v[166:167], v[166:167], v[154:155], v[170:171] op_sel:[0,0,1] op_sel_hi:[1,0,0]
	v_dual_mul_f32 v170, v169, v165 :: v_dual_mov_b32 v166, v169
	v_dual_mov_b32 v181, v167 :: v_dual_mov_b32 v167, v168
	s_delay_alu instid0(VALU_DEP_2) | instskip(SKIP_1) | instid1(VALU_DEP_3)
	v_pk_fma_f32 v[170:171], v[168:169], v[172:173], v[170:171] op_sel_hi:[1,1,0] neg_lo:[0,0,1] neg_hi:[0,0,1]
	v_mul_f32_e32 v168, v169, v154
	v_pk_add_f32 v[192:193], v[192:193], v[180:181] neg_lo:[0,1] neg_hi:[0,1]
	s_delay_alu instid0(VALU_DEP_2) | instskip(NEXT) | instid1(VALU_DEP_1)
	v_pk_fma_f32 v[166:167], v[166:167], v[172:173], v[168:169] op_sel_hi:[1,1,0]
	v_mov_b32_e32 v171, v167
	ds_load_2addr_b64 v[166:169], v222 offset0:48 offset1:49
	v_pk_add_f32 v[188:189], v[188:189], v[170:171] neg_lo:[0,1] neg_hi:[0,1]
	s_wait_dscnt 0x0
	v_pk_mul_f32 v[170:171], v[166:167], v[164:165] op_sel:[0,1]
	s_delay_alu instid0(VALU_DEP_1) | instskip(SKIP_1) | instid1(VALU_DEP_1)
	v_pk_fma_f32 v[180:181], v[166:167], v[154:155], v[170:171] op_sel:[0,0,1] op_sel_hi:[1,1,0] neg_lo:[0,0,1] neg_hi:[0,0,1]
	v_pk_fma_f32 v[166:167], v[166:167], v[154:155], v[170:171] op_sel:[0,0,1] op_sel_hi:[1,0,0]
	v_mov_b32_e32 v181, v167
	v_pk_mul_f32 v[166:167], v[168:169], v[164:165] op_sel:[0,1]
	s_delay_alu instid0(VALU_DEP_1) | instskip(SKIP_1) | instid1(VALU_DEP_1)
	v_pk_fma_f32 v[170:171], v[168:169], v[154:155], v[166:167] op_sel:[0,0,1] op_sel_hi:[1,1,0] neg_lo:[0,0,1] neg_hi:[0,0,1]
	v_pk_fma_f32 v[166:167], v[168:169], v[154:155], v[166:167] op_sel:[0,0,1] op_sel_hi:[1,0,0]
	v_mov_b32_e32 v171, v167
	ds_load_2addr_b64 v[166:169], v222 offset0:50 offset1:51
	v_pk_add_f32 v[216:217], v[216:217], v[180:181] neg_lo:[0,1] neg_hi:[0,1]
	v_pk_add_f32 v[212:213], v[212:213], v[170:171] neg_lo:[0,1] neg_hi:[0,1]
	s_wait_dscnt 0x0
	v_pk_mul_f32 v[170:171], v[166:167], v[164:165] op_sel:[0,1]
	s_delay_alu instid0(VALU_DEP_1) | instskip(SKIP_1) | instid1(VALU_DEP_1)
	v_pk_fma_f32 v[180:181], v[166:167], v[154:155], v[170:171] op_sel:[0,0,1] op_sel_hi:[1,1,0] neg_lo:[0,0,1] neg_hi:[0,0,1]
	v_pk_fma_f32 v[166:167], v[166:167], v[154:155], v[170:171] op_sel:[0,0,1] op_sel_hi:[1,0,0]
	v_mov_b32_e32 v181, v167
	v_pk_mul_f32 v[166:167], v[168:169], v[164:165] op_sel:[0,1]
	s_delay_alu instid0(VALU_DEP_1) | instskip(SKIP_1) | instid1(VALU_DEP_1)
	v_pk_fma_f32 v[170:171], v[168:169], v[154:155], v[166:167] op_sel:[0,0,1] op_sel_hi:[1,1,0] neg_lo:[0,0,1] neg_hi:[0,0,1]
	v_pk_fma_f32 v[166:167], v[168:169], v[154:155], v[166:167] op_sel:[0,0,1] op_sel_hi:[1,0,0]
	v_mov_b32_e32 v171, v167
	ds_load_2addr_b64 v[166:169], v222 offset0:52 offset1:53
	v_pk_add_f32 v[214:215], v[214:215], v[180:181] neg_lo:[0,1] neg_hi:[0,1]
	v_pk_add_f32 v[210:211], v[210:211], v[170:171] neg_lo:[0,1] neg_hi:[0,1]
	s_wait_dscnt 0x0
	v_dual_mul_f32 v170, v167, v165 :: v_dual_mul_f32 v180, v167, v154
	s_delay_alu instid0(VALU_DEP_1) | instskip(NEXT) | instid1(VALU_DEP_2)
	v_pk_fma_f32 v[170:171], v[166:167], v[172:173], v[170:171] op_sel_hi:[1,1,0] neg_lo:[0,0,1] neg_hi:[0,0,1]
	v_pk_fma_f32 v[166:167], v[166:167], v[172:173], v[180:181] op_sel:[1,0,0] op_sel_hi:[0,1,0]
	s_delay_alu instid0(VALU_DEP_1) | instskip(SKIP_1) | instid1(VALU_DEP_2)
	v_mov_b32_e32 v171, v167
	v_pk_mul_f32 v[166:167], v[168:169], v[164:165] op_sel:[0,1]
	v_pk_add_f32 v[240:241], v[240:241], v[170:171] neg_lo:[0,1] neg_hi:[0,1]
	s_delay_alu instid0(VALU_DEP_2) | instskip(SKIP_1) | instid1(VALU_DEP_1)
	v_pk_fma_f32 v[170:171], v[168:169], v[154:155], v[166:167] op_sel:[0,0,1] op_sel_hi:[1,1,0] neg_lo:[0,0,1] neg_hi:[0,0,1]
	v_pk_fma_f32 v[166:167], v[168:169], v[154:155], v[166:167] op_sel:[0,0,1] op_sel_hi:[1,0,0]
	v_mov_b32_e32 v171, v167
	ds_load_2addr_b64 v[166:169], v222 offset0:54 offset1:55
	v_pk_add_f32 v[232:233], v[232:233], v[170:171] neg_lo:[0,1] neg_hi:[0,1]
	s_wait_dscnt 0x0
	v_pk_mul_f32 v[170:171], v[166:167], v[164:165] op_sel:[0,1]
	s_delay_alu instid0(VALU_DEP_1) | instskip(SKIP_1) | instid1(VALU_DEP_1)
	v_pk_fma_f32 v[180:181], v[166:167], v[154:155], v[170:171] op_sel:[0,0,1] op_sel_hi:[1,1,0] neg_lo:[0,0,1] neg_hi:[0,0,1]
	v_pk_fma_f32 v[166:167], v[166:167], v[154:155], v[170:171] op_sel:[0,0,1] op_sel_hi:[1,0,0]
	v_mov_b32_e32 v181, v167
	v_pk_mul_f32 v[166:167], v[168:169], v[164:165] op_sel:[0,1]
	s_delay_alu instid0(VALU_DEP_2) | instskip(NEXT) | instid1(VALU_DEP_2)
	v_pk_add_f32 v[238:239], v[238:239], v[180:181] neg_lo:[0,1] neg_hi:[0,1]
	v_pk_fma_f32 v[170:171], v[168:169], v[154:155], v[166:167] op_sel:[0,0,1] op_sel_hi:[1,1,0] neg_lo:[0,0,1] neg_hi:[0,0,1]
	v_pk_fma_f32 v[166:167], v[168:169], v[154:155], v[166:167] op_sel:[0,0,1] op_sel_hi:[1,0,0]
	s_delay_alu instid0(VALU_DEP_1) | instskip(SKIP_4) | instid1(VALU_DEP_1)
	v_mov_b32_e32 v171, v167
	ds_load_2addr_b64 v[166:169], v222 offset0:56 offset1:57
	v_pk_add_f32 v[230:231], v[230:231], v[170:171] neg_lo:[0,1] neg_hi:[0,1]
	s_wait_dscnt 0x0
	v_pk_mul_f32 v[170:171], v[166:167], v[164:165] op_sel:[0,1]
	v_pk_fma_f32 v[180:181], v[166:167], v[154:155], v[170:171] op_sel:[0,0,1] op_sel_hi:[1,1,0] neg_lo:[0,0,1] neg_hi:[0,0,1]
	v_pk_fma_f32 v[166:167], v[166:167], v[154:155], v[170:171] op_sel:[0,0,1] op_sel_hi:[1,0,0]
	v_dual_mul_f32 v170, v169, v165 :: v_dual_mov_b32 v166, v169
	s_delay_alu instid0(VALU_DEP_2) | instskip(NEXT) | instid1(VALU_DEP_2)
	v_dual_mov_b32 v181, v167 :: v_dual_mov_b32 v167, v168
	v_pk_fma_f32 v[170:171], v[168:169], v[172:173], v[170:171] op_sel_hi:[1,1,0] neg_lo:[0,0,1] neg_hi:[0,0,1]
	v_mul_f32_e32 v168, v169, v154
	s_delay_alu instid0(VALU_DEP_3) | instskip(NEXT) | instid1(VALU_DEP_2)
	v_pk_add_f32 v[236:237], v[236:237], v[180:181] neg_lo:[0,1] neg_hi:[0,1]
	v_pk_fma_f32 v[166:167], v[166:167], v[172:173], v[168:169] op_sel_hi:[1,1,0]
	s_delay_alu instid0(VALU_DEP_1) | instskip(SKIP_4) | instid1(VALU_DEP_1)
	v_mov_b32_e32 v171, v167
	ds_load_2addr_b64 v[166:169], v222 offset0:58 offset1:59
	v_pk_add_f32 v[228:229], v[228:229], v[170:171] neg_lo:[0,1] neg_hi:[0,1]
	s_wait_dscnt 0x0
	v_pk_mul_f32 v[170:171], v[166:167], v[164:165] op_sel:[0,1]
	v_pk_fma_f32 v[180:181], v[166:167], v[154:155], v[170:171] op_sel:[0,0,1] op_sel_hi:[1,1,0] neg_lo:[0,0,1] neg_hi:[0,0,1]
	v_pk_fma_f32 v[166:167], v[166:167], v[154:155], v[170:171] op_sel:[0,0,1] op_sel_hi:[1,0,0]
	s_delay_alu instid0(VALU_DEP_1) | instskip(SKIP_1) | instid1(VALU_DEP_1)
	v_mov_b32_e32 v181, v167
	v_pk_mul_f32 v[166:167], v[168:169], v[164:165] op_sel:[0,1]
	v_pk_fma_f32 v[170:171], v[168:169], v[154:155], v[166:167] op_sel:[0,0,1] op_sel_hi:[1,1,0] neg_lo:[0,0,1] neg_hi:[0,0,1]
	v_pk_fma_f32 v[166:167], v[168:169], v[154:155], v[166:167] op_sel:[0,0,1] op_sel_hi:[1,0,0]
	s_delay_alu instid0(VALU_DEP_1)
	v_mov_b32_e32 v171, v167
	ds_load_b64 v[166:167], v222 offset:480
	v_pk_add_f32 v[234:235], v[234:235], v[180:181] neg_lo:[0,1] neg_hi:[0,1]
	v_pk_add_f32 v[242:243], v[242:243], v[170:171] neg_lo:[0,1] neg_hi:[0,1]
	s_wait_dscnt 0x0
	v_pk_mul_f32 v[164:165], v[166:167], v[164:165] op_sel:[0,1]
	s_delay_alu instid0(VALU_DEP_1) | instskip(SKIP_1) | instid1(VALU_DEP_1)
	v_pk_fma_f32 v[168:169], v[166:167], v[154:155], v[164:165] op_sel:[0,0,1] op_sel_hi:[1,1,0] neg_lo:[0,0,1] neg_hi:[0,0,1]
	v_pk_fma_f32 v[154:155], v[166:167], v[154:155], v[164:165] op_sel:[0,0,1] op_sel_hi:[1,0,0]
	v_mov_b32_e32 v169, v155
	s_delay_alu instid0(VALU_DEP_1)
	v_pk_add_f32 v[244:245], v[244:245], v[168:169] neg_lo:[0,1] neg_hi:[0,1]
.LBB121_397:
	s_or_b32 exec_lo, exec_lo, s1
	s_delay_alu instid0(SALU_CYCLE_1)
	s_mov_b32 s2, exec_lo
	s_wait_dscnt 0x0
	s_barrier_signal -1
	s_barrier_wait -1
	v_cmpx_eq_u32_e32 44, v220
	s_cbranch_execz .LBB121_404
; %bb.398:
	ds_store_b64 v221, v[194:195]
	ds_store_2addr_b64 v222, v[190:191], v[192:193] offset0:45 offset1:46
	ds_store_2addr_b64 v222, v[188:189], v[216:217] offset0:47 offset1:48
	;; [unrolled: 1-line block ×8, first 2 shown]
	ds_load_b64 v[154:155], v221
	s_wait_dscnt 0x0
	v_cmp_neq_f32_e32 vcc_lo, 0, v154
	v_cmp_neq_f32_e64 s1, 0, v155
	s_or_b32 s1, vcc_lo, s1
	s_delay_alu instid0(SALU_CYCLE_1)
	s_and_b32 exec_lo, exec_lo, s1
	s_cbranch_execz .LBB121_404
; %bb.399:
	v_cmp_ngt_f32_e64 s1, |v154|, |v155|
                                        ; implicit-def: $vgpr164_vgpr165
	s_and_saveexec_b32 s4, s1
	s_delay_alu instid0(SALU_CYCLE_1)
	s_xor_b32 s1, exec_lo, s4
	s_cbranch_execz .LBB121_401
; %bb.400:
	v_div_scale_f32 v164, null, v155, v155, v154
	v_div_scale_f32 v167, vcc_lo, v154, v155, v154
	s_delay_alu instid0(VALU_DEP_2) | instskip(SKIP_1) | instid1(TRANS32_DEP_1)
	v_rcp_f32_e32 v165, v164
	v_nop
	v_fma_f32 v166, -v164, v165, 1.0
	s_delay_alu instid0(VALU_DEP_1) | instskip(NEXT) | instid1(VALU_DEP_1)
	v_fmac_f32_e32 v165, v166, v165
	v_mul_f32_e32 v166, v167, v165
	s_delay_alu instid0(VALU_DEP_1) | instskip(NEXT) | instid1(VALU_DEP_1)
	v_fma_f32 v168, -v164, v166, v167
	v_fmac_f32_e32 v166, v168, v165
	s_delay_alu instid0(VALU_DEP_1) | instskip(NEXT) | instid1(VALU_DEP_1)
	v_fma_f32 v164, -v164, v166, v167
	v_div_fmas_f32 v164, v164, v165, v166
	s_delay_alu instid0(VALU_DEP_1) | instskip(NEXT) | instid1(VALU_DEP_1)
	v_div_fixup_f32 v164, v164, v155, v154
	v_fmac_f32_e32 v155, v154, v164
	s_delay_alu instid0(VALU_DEP_1) | instskip(SKIP_1) | instid1(VALU_DEP_2)
	v_div_scale_f32 v154, null, v155, v155, 1.0
	v_div_scale_f32 v167, vcc_lo, 1.0, v155, 1.0
	v_rcp_f32_e32 v165, v154
	v_nop
	s_delay_alu instid0(TRANS32_DEP_1) | instskip(NEXT) | instid1(VALU_DEP_1)
	v_fma_f32 v166, -v154, v165, 1.0
	v_fmac_f32_e32 v165, v166, v165
	s_delay_alu instid0(VALU_DEP_1) | instskip(NEXT) | instid1(VALU_DEP_1)
	v_mul_f32_e32 v166, v167, v165
	v_fma_f32 v168, -v154, v166, v167
	s_delay_alu instid0(VALU_DEP_1) | instskip(NEXT) | instid1(VALU_DEP_1)
	v_fmac_f32_e32 v166, v168, v165
	v_fma_f32 v154, -v154, v166, v167
	s_delay_alu instid0(VALU_DEP_1) | instskip(NEXT) | instid1(VALU_DEP_1)
	v_div_fmas_f32 v154, v154, v165, v166
	v_div_fixup_f32 v154, v154, v155, 1.0
	s_delay_alu instid0(VALU_DEP_1)
	v_mul_f32_e32 v164, v164, v154
	v_xor_b32_e32 v165, 0x80000000, v154
                                        ; implicit-def: $vgpr154_vgpr155
.LBB121_401:
	s_and_not1_saveexec_b32 s1, s1
	s_cbranch_execz .LBB121_403
; %bb.402:
	v_div_scale_f32 v164, null, v154, v154, v155
	v_div_scale_f32 v167, vcc_lo, v155, v154, v155
	s_delay_alu instid0(VALU_DEP_2) | instskip(SKIP_1) | instid1(TRANS32_DEP_1)
	v_rcp_f32_e32 v165, v164
	v_nop
	v_fma_f32 v166, -v164, v165, 1.0
	s_delay_alu instid0(VALU_DEP_1) | instskip(NEXT) | instid1(VALU_DEP_1)
	v_fmac_f32_e32 v165, v166, v165
	v_mul_f32_e32 v166, v167, v165
	s_delay_alu instid0(VALU_DEP_1) | instskip(NEXT) | instid1(VALU_DEP_1)
	v_fma_f32 v168, -v164, v166, v167
	v_fmac_f32_e32 v166, v168, v165
	s_delay_alu instid0(VALU_DEP_1) | instskip(NEXT) | instid1(VALU_DEP_1)
	v_fma_f32 v164, -v164, v166, v167
	v_div_fmas_f32 v164, v164, v165, v166
	s_delay_alu instid0(VALU_DEP_1) | instskip(NEXT) | instid1(VALU_DEP_1)
	v_div_fixup_f32 v165, v164, v154, v155
	v_fmac_f32_e32 v154, v155, v165
	s_delay_alu instid0(VALU_DEP_1) | instskip(NEXT) | instid1(VALU_DEP_1)
	v_div_scale_f32 v155, null, v154, v154, 1.0
	v_rcp_f32_e32 v164, v155
	v_nop
	s_delay_alu instid0(TRANS32_DEP_1) | instskip(NEXT) | instid1(VALU_DEP_1)
	v_fma_f32 v166, -v155, v164, 1.0
	v_fmac_f32_e32 v164, v166, v164
	v_div_scale_f32 v166, vcc_lo, 1.0, v154, 1.0
	s_delay_alu instid0(VALU_DEP_1) | instskip(NEXT) | instid1(VALU_DEP_1)
	v_mul_f32_e32 v167, v166, v164
	v_fma_f32 v168, -v155, v167, v166
	s_delay_alu instid0(VALU_DEP_1) | instskip(NEXT) | instid1(VALU_DEP_1)
	v_fmac_f32_e32 v167, v168, v164
	v_fma_f32 v155, -v155, v167, v166
	s_delay_alu instid0(VALU_DEP_1) | instskip(NEXT) | instid1(VALU_DEP_1)
	v_div_fmas_f32 v155, v155, v164, v167
	v_div_fixup_f32 v164, v155, v154, 1.0
	s_delay_alu instid0(VALU_DEP_1)
	v_mul_f32_e64 v165, v165, -v164
.LBB121_403:
	s_or_b32 exec_lo, exec_lo, s1
	ds_store_b64 v221, v[164:165]
.LBB121_404:
	s_or_b32 exec_lo, exec_lo, s2
	s_wait_dscnt 0x0
	s_barrier_signal -1
	s_barrier_wait -1
	ds_load_b64 v[154:155], v221
	s_mov_b32 s1, exec_lo
	v_cmpx_lt_u32_e32 44, v220
	s_cbranch_execz .LBB121_406
; %bb.405:
	ds_load_2addr_b64 v[168:171], v222 offset0:45 offset1:46
	s_wait_dscnt 0x1
	v_pk_mul_f32 v[166:167], v[154:155], v[194:195] op_sel:[1,1] op_sel_hi:[0,1]
	s_delay_alu instid0(VALU_DEP_1) | instskip(SKIP_1) | instid1(VALU_DEP_1)
	v_pk_fma_f32 v[164:165], v[154:155], v[194:195], v[166:167] op_sel_hi:[1,0,1] neg_lo:[0,0,1] neg_hi:[0,0,1]
	v_pk_fma_f32 v[166:167], v[154:155], v[194:195], v[166:167] op_sel_hi:[1,0,1]
	v_dual_mov_b32 v194, v164 :: v_dual_mov_b32 v195, v167
	s_wait_dscnt 0x0
	s_delay_alu instid0(VALU_DEP_2) | instskip(NEXT) | instid1(VALU_DEP_1)
	v_pk_mul_f32 v[180:181], v[168:169], v[166:167] op_sel:[0,1]
	v_pk_fma_f32 v[182:183], v[168:169], v[164:165], v[180:181] op_sel:[0,0,1] op_sel_hi:[1,1,0] neg_lo:[0,0,1] neg_hi:[0,0,1]
	v_pk_fma_f32 v[168:169], v[168:169], v[164:165], v[180:181] op_sel:[0,0,1] op_sel_hi:[1,0,0]
	s_delay_alu instid0(VALU_DEP_1) | instskip(SKIP_1) | instid1(VALU_DEP_1)
	v_mov_b32_e32 v183, v169
	v_pk_mul_f32 v[168:169], v[170:171], v[166:167] op_sel:[0,1]
	v_pk_fma_f32 v[180:181], v[170:171], v[164:165], v[168:169] op_sel:[0,0,1] op_sel_hi:[1,1,0] neg_lo:[0,0,1] neg_hi:[0,0,1]
	v_pk_fma_f32 v[168:169], v[170:171], v[164:165], v[168:169] op_sel:[0,0,1] op_sel_hi:[1,0,0]
	s_delay_alu instid0(VALU_DEP_1)
	v_mov_b32_e32 v181, v169
	ds_load_2addr_b64 v[168:171], v222 offset0:47 offset1:48
	v_pk_add_f32 v[190:191], v[190:191], v[182:183] neg_lo:[0,1] neg_hi:[0,1]
	v_pk_add_f32 v[192:193], v[192:193], v[180:181] neg_lo:[0,1] neg_hi:[0,1]
	s_wait_dscnt 0x0
	v_pk_mul_f32 v[180:181], v[168:169], v[166:167] op_sel:[0,1]
	s_delay_alu instid0(VALU_DEP_1) | instskip(SKIP_2) | instid1(VALU_DEP_2)
	v_pk_fma_f32 v[182:183], v[168:169], v[164:165], v[180:181] op_sel:[0,0,1] op_sel_hi:[1,1,0] neg_lo:[0,0,1] neg_hi:[0,0,1]
	v_pk_fma_f32 v[168:169], v[168:169], v[164:165], v[180:181] op_sel:[0,0,1] op_sel_hi:[1,0,0]
	v_dual_mul_f32 v180, v171, v167 :: v_dual_mov_b32 v168, v171
	v_dual_mov_b32 v183, v169 :: v_dual_mov_b32 v169, v170
	s_delay_alu instid0(VALU_DEP_2) | instskip(SKIP_1) | instid1(VALU_DEP_3)
	v_pk_fma_f32 v[180:181], v[170:171], v[194:195], v[180:181] op_sel_hi:[1,1,0] neg_lo:[0,0,1] neg_hi:[0,0,1]
	v_mul_f32_e32 v170, v171, v164
	v_pk_add_f32 v[188:189], v[188:189], v[182:183] neg_lo:[0,1] neg_hi:[0,1]
	s_delay_alu instid0(VALU_DEP_2) | instskip(NEXT) | instid1(VALU_DEP_1)
	v_pk_fma_f32 v[168:169], v[168:169], v[194:195], v[170:171] op_sel_hi:[1,1,0]
	v_mov_b32_e32 v181, v169
	ds_load_2addr_b64 v[168:171], v222 offset0:49 offset1:50
	v_pk_add_f32 v[216:217], v[216:217], v[180:181] neg_lo:[0,1] neg_hi:[0,1]
	s_wait_dscnt 0x0
	v_pk_mul_f32 v[180:181], v[168:169], v[166:167] op_sel:[0,1]
	s_delay_alu instid0(VALU_DEP_1) | instskip(SKIP_1) | instid1(VALU_DEP_1)
	v_pk_fma_f32 v[182:183], v[168:169], v[164:165], v[180:181] op_sel:[0,0,1] op_sel_hi:[1,1,0] neg_lo:[0,0,1] neg_hi:[0,0,1]
	v_pk_fma_f32 v[168:169], v[168:169], v[164:165], v[180:181] op_sel:[0,0,1] op_sel_hi:[1,0,0]
	v_mov_b32_e32 v183, v169
	v_pk_mul_f32 v[168:169], v[170:171], v[166:167] op_sel:[0,1]
	s_delay_alu instid0(VALU_DEP_1) | instskip(SKIP_1) | instid1(VALU_DEP_1)
	v_pk_fma_f32 v[180:181], v[170:171], v[164:165], v[168:169] op_sel:[0,0,1] op_sel_hi:[1,1,0] neg_lo:[0,0,1] neg_hi:[0,0,1]
	v_pk_fma_f32 v[168:169], v[170:171], v[164:165], v[168:169] op_sel:[0,0,1] op_sel_hi:[1,0,0]
	v_mov_b32_e32 v181, v169
	ds_load_2addr_b64 v[168:171], v222 offset0:51 offset1:52
	v_pk_add_f32 v[212:213], v[212:213], v[182:183] neg_lo:[0,1] neg_hi:[0,1]
	v_pk_add_f32 v[214:215], v[214:215], v[180:181] neg_lo:[0,1] neg_hi:[0,1]
	s_wait_dscnt 0x0
	v_pk_mul_f32 v[180:181], v[168:169], v[166:167] op_sel:[0,1]
	s_delay_alu instid0(VALU_DEP_1) | instskip(SKIP_1) | instid1(VALU_DEP_1)
	v_pk_fma_f32 v[182:183], v[168:169], v[164:165], v[180:181] op_sel:[0,0,1] op_sel_hi:[1,1,0] neg_lo:[0,0,1] neg_hi:[0,0,1]
	v_pk_fma_f32 v[168:169], v[168:169], v[164:165], v[180:181] op_sel:[0,0,1] op_sel_hi:[1,0,0]
	v_mov_b32_e32 v183, v169
	v_pk_mul_f32 v[168:169], v[170:171], v[166:167] op_sel:[0,1]
	s_delay_alu instid0(VALU_DEP_1) | instskip(SKIP_1) | instid1(VALU_DEP_1)
	v_pk_fma_f32 v[180:181], v[170:171], v[164:165], v[168:169] op_sel:[0,0,1] op_sel_hi:[1,1,0] neg_lo:[0,0,1] neg_hi:[0,0,1]
	v_pk_fma_f32 v[168:169], v[170:171], v[164:165], v[168:169] op_sel:[0,0,1] op_sel_hi:[1,0,0]
	v_mov_b32_e32 v181, v169
	ds_load_2addr_b64 v[168:171], v222 offset0:53 offset1:54
	v_pk_add_f32 v[210:211], v[210:211], v[182:183] neg_lo:[0,1] neg_hi:[0,1]
	v_pk_add_f32 v[240:241], v[240:241], v[180:181] neg_lo:[0,1] neg_hi:[0,1]
	s_wait_dscnt 0x0
	v_dual_mul_f32 v180, v169, v167 :: v_dual_mul_f32 v182, v169, v164
	s_delay_alu instid0(VALU_DEP_1) | instskip(NEXT) | instid1(VALU_DEP_2)
	v_pk_fma_f32 v[180:181], v[168:169], v[194:195], v[180:181] op_sel_hi:[1,1,0] neg_lo:[0,0,1] neg_hi:[0,0,1]
	v_pk_fma_f32 v[168:169], v[168:169], v[194:195], v[182:183] op_sel:[1,0,0] op_sel_hi:[0,1,0]
	s_delay_alu instid0(VALU_DEP_1) | instskip(SKIP_1) | instid1(VALU_DEP_2)
	v_mov_b32_e32 v181, v169
	v_pk_mul_f32 v[168:169], v[170:171], v[166:167] op_sel:[0,1]
	v_pk_add_f32 v[232:233], v[232:233], v[180:181] neg_lo:[0,1] neg_hi:[0,1]
	s_delay_alu instid0(VALU_DEP_2) | instskip(SKIP_1) | instid1(VALU_DEP_1)
	v_pk_fma_f32 v[180:181], v[170:171], v[164:165], v[168:169] op_sel:[0,0,1] op_sel_hi:[1,1,0] neg_lo:[0,0,1] neg_hi:[0,0,1]
	v_pk_fma_f32 v[168:169], v[170:171], v[164:165], v[168:169] op_sel:[0,0,1] op_sel_hi:[1,0,0]
	v_mov_b32_e32 v181, v169
	ds_load_2addr_b64 v[168:171], v222 offset0:55 offset1:56
	v_pk_add_f32 v[238:239], v[238:239], v[180:181] neg_lo:[0,1] neg_hi:[0,1]
	s_wait_dscnt 0x0
	v_pk_mul_f32 v[180:181], v[168:169], v[166:167] op_sel:[0,1]
	s_delay_alu instid0(VALU_DEP_1) | instskip(SKIP_1) | instid1(VALU_DEP_1)
	v_pk_fma_f32 v[182:183], v[168:169], v[164:165], v[180:181] op_sel:[0,0,1] op_sel_hi:[1,1,0] neg_lo:[0,0,1] neg_hi:[0,0,1]
	v_pk_fma_f32 v[168:169], v[168:169], v[164:165], v[180:181] op_sel:[0,0,1] op_sel_hi:[1,0,0]
	v_mov_b32_e32 v183, v169
	v_pk_mul_f32 v[168:169], v[170:171], v[166:167] op_sel:[0,1]
	s_delay_alu instid0(VALU_DEP_2) | instskip(NEXT) | instid1(VALU_DEP_2)
	v_pk_add_f32 v[230:231], v[230:231], v[182:183] neg_lo:[0,1] neg_hi:[0,1]
	v_pk_fma_f32 v[180:181], v[170:171], v[164:165], v[168:169] op_sel:[0,0,1] op_sel_hi:[1,1,0] neg_lo:[0,0,1] neg_hi:[0,0,1]
	v_pk_fma_f32 v[168:169], v[170:171], v[164:165], v[168:169] op_sel:[0,0,1] op_sel_hi:[1,0,0]
	s_delay_alu instid0(VALU_DEP_1) | instskip(SKIP_4) | instid1(VALU_DEP_1)
	v_mov_b32_e32 v181, v169
	ds_load_2addr_b64 v[168:171], v222 offset0:57 offset1:58
	v_pk_add_f32 v[236:237], v[236:237], v[180:181] neg_lo:[0,1] neg_hi:[0,1]
	s_wait_dscnt 0x0
	v_pk_mul_f32 v[180:181], v[168:169], v[166:167] op_sel:[0,1]
	v_pk_fma_f32 v[182:183], v[168:169], v[164:165], v[180:181] op_sel:[0,0,1] op_sel_hi:[1,1,0] neg_lo:[0,0,1] neg_hi:[0,0,1]
	v_pk_fma_f32 v[168:169], v[168:169], v[164:165], v[180:181] op_sel:[0,0,1] op_sel_hi:[1,0,0]
	v_dual_mul_f32 v180, v171, v167 :: v_dual_mov_b32 v168, v171
	s_delay_alu instid0(VALU_DEP_2) | instskip(NEXT) | instid1(VALU_DEP_2)
	v_dual_mov_b32 v183, v169 :: v_dual_mov_b32 v169, v170
	v_pk_fma_f32 v[180:181], v[170:171], v[194:195], v[180:181] op_sel_hi:[1,1,0] neg_lo:[0,0,1] neg_hi:[0,0,1]
	v_mul_f32_e32 v170, v171, v164
	s_delay_alu instid0(VALU_DEP_3) | instskip(NEXT) | instid1(VALU_DEP_2)
	v_pk_add_f32 v[228:229], v[228:229], v[182:183] neg_lo:[0,1] neg_hi:[0,1]
	v_pk_fma_f32 v[168:169], v[168:169], v[194:195], v[170:171] op_sel_hi:[1,1,0]
	s_delay_alu instid0(VALU_DEP_1)
	v_mov_b32_e32 v181, v169
	ds_load_2addr_b64 v[168:171], v222 offset0:59 offset1:60
	v_pk_add_f32 v[234:235], v[234:235], v[180:181] neg_lo:[0,1] neg_hi:[0,1]
	s_wait_dscnt 0x0
	v_pk_mul_f32 v[180:181], v[168:169], v[166:167] op_sel:[0,1]
	v_pk_mul_f32 v[166:167], v[170:171], v[166:167] op_sel:[0,1]
	s_delay_alu instid0(VALU_DEP_2) | instskip(SKIP_1) | instid1(VALU_DEP_1)
	v_pk_fma_f32 v[182:183], v[168:169], v[164:165], v[180:181] op_sel:[0,0,1] op_sel_hi:[1,1,0] neg_lo:[0,0,1] neg_hi:[0,0,1]
	v_pk_fma_f32 v[168:169], v[168:169], v[164:165], v[180:181] op_sel:[0,0,1] op_sel_hi:[1,0,0]
	v_mov_b32_e32 v183, v169
	s_delay_alu instid0(VALU_DEP_4) | instskip(SKIP_1) | instid1(VALU_DEP_1)
	v_pk_fma_f32 v[168:169], v[170:171], v[164:165], v[166:167] op_sel:[0,0,1] op_sel_hi:[1,1,0] neg_lo:[0,0,1] neg_hi:[0,0,1]
	v_pk_fma_f32 v[164:165], v[170:171], v[164:165], v[166:167] op_sel:[0,0,1] op_sel_hi:[1,0,0]
	v_mov_b32_e32 v169, v165
	s_delay_alu instid0(VALU_DEP_4) | instskip(NEXT) | instid1(VALU_DEP_2)
	v_pk_add_f32 v[242:243], v[242:243], v[182:183] neg_lo:[0,1] neg_hi:[0,1]
	v_pk_add_f32 v[244:245], v[244:245], v[168:169] neg_lo:[0,1] neg_hi:[0,1]
.LBB121_406:
	s_or_b32 exec_lo, exec_lo, s1
	s_delay_alu instid0(SALU_CYCLE_1)
	s_mov_b32 s2, exec_lo
	s_wait_dscnt 0x0
	s_barrier_signal -1
	s_barrier_wait -1
	v_cmpx_eq_u32_e32 45, v220
	s_cbranch_execz .LBB121_413
; %bb.407:
	v_dual_mov_b32 v164, v192 :: v_dual_mov_b32 v165, v193
	v_dual_mov_b32 v166, v188 :: v_dual_mov_b32 v167, v189
	ds_store_b64 v221, v[190:191]
	ds_store_2addr_b64 v222, v[164:165], v[166:167] offset0:46 offset1:47
	v_dual_mov_b32 v164, v216 :: v_dual_mov_b32 v165, v217
	v_dual_mov_b32 v166, v212 :: v_dual_mov_b32 v167, v213
	ds_store_2addr_b64 v222, v[164:165], v[166:167] offset0:48 offset1:49
	v_dual_mov_b32 v164, v214 :: v_dual_mov_b32 v165, v215
	v_dual_mov_b32 v166, v210 :: v_dual_mov_b32 v167, v211
	ds_store_2addr_b64 v222, v[164:165], v[166:167] offset0:50 offset1:51
	v_dual_mov_b32 v164, v240 :: v_dual_mov_b32 v165, v241
	v_dual_mov_b32 v166, v232 :: v_dual_mov_b32 v167, v233
	ds_store_2addr_b64 v222, v[164:165], v[166:167] offset0:52 offset1:53
	v_dual_mov_b32 v164, v238 :: v_dual_mov_b32 v165, v239
	v_dual_mov_b32 v166, v230 :: v_dual_mov_b32 v167, v231
	ds_store_2addr_b64 v222, v[164:165], v[166:167] offset0:54 offset1:55
	v_dual_mov_b32 v164, v236 :: v_dual_mov_b32 v165, v237
	v_dual_mov_b32 v166, v228 :: v_dual_mov_b32 v167, v229
	ds_store_2addr_b64 v222, v[164:165], v[166:167] offset0:56 offset1:57
	v_dual_mov_b32 v164, v234 :: v_dual_mov_b32 v165, v235
	v_dual_mov_b32 v166, v242 :: v_dual_mov_b32 v167, v243
	ds_store_2addr_b64 v222, v[164:165], v[166:167] offset0:58 offset1:59
	ds_store_b64 v222, v[244:245] offset:480
	ds_load_b64 v[164:165], v221
	s_wait_dscnt 0x0
	v_cmp_neq_f32_e32 vcc_lo, 0, v164
	v_cmp_neq_f32_e64 s1, 0, v165
	s_or_b32 s1, vcc_lo, s1
	s_delay_alu instid0(SALU_CYCLE_1)
	s_and_b32 exec_lo, exec_lo, s1
	s_cbranch_execz .LBB121_413
; %bb.408:
	v_cmp_ngt_f32_e64 s1, |v164|, |v165|
                                        ; implicit-def: $vgpr166_vgpr167
	s_and_saveexec_b32 s4, s1
	s_delay_alu instid0(SALU_CYCLE_1)
	s_xor_b32 s1, exec_lo, s4
	s_cbranch_execz .LBB121_410
; %bb.409:
	v_div_scale_f32 v166, null, v165, v165, v164
	v_div_scale_f32 v169, vcc_lo, v164, v165, v164
	s_delay_alu instid0(VALU_DEP_2) | instskip(SKIP_1) | instid1(TRANS32_DEP_1)
	v_rcp_f32_e32 v167, v166
	v_nop
	v_fma_f32 v168, -v166, v167, 1.0
	s_delay_alu instid0(VALU_DEP_1) | instskip(NEXT) | instid1(VALU_DEP_1)
	v_fmac_f32_e32 v167, v168, v167
	v_mul_f32_e32 v168, v169, v167
	s_delay_alu instid0(VALU_DEP_1) | instskip(NEXT) | instid1(VALU_DEP_1)
	v_fma_f32 v170, -v166, v168, v169
	v_fmac_f32_e32 v168, v170, v167
	s_delay_alu instid0(VALU_DEP_1) | instskip(NEXT) | instid1(VALU_DEP_1)
	v_fma_f32 v166, -v166, v168, v169
	v_div_fmas_f32 v166, v166, v167, v168
	s_delay_alu instid0(VALU_DEP_1) | instskip(NEXT) | instid1(VALU_DEP_1)
	v_div_fixup_f32 v166, v166, v165, v164
	v_fmac_f32_e32 v165, v164, v166
	s_delay_alu instid0(VALU_DEP_1) | instskip(SKIP_1) | instid1(VALU_DEP_2)
	v_div_scale_f32 v164, null, v165, v165, 1.0
	v_div_scale_f32 v169, vcc_lo, 1.0, v165, 1.0
	v_rcp_f32_e32 v167, v164
	v_nop
	s_delay_alu instid0(TRANS32_DEP_1) | instskip(NEXT) | instid1(VALU_DEP_1)
	v_fma_f32 v168, -v164, v167, 1.0
	v_fmac_f32_e32 v167, v168, v167
	s_delay_alu instid0(VALU_DEP_1) | instskip(NEXT) | instid1(VALU_DEP_1)
	v_mul_f32_e32 v168, v169, v167
	v_fma_f32 v170, -v164, v168, v169
	s_delay_alu instid0(VALU_DEP_1) | instskip(NEXT) | instid1(VALU_DEP_1)
	v_fmac_f32_e32 v168, v170, v167
	v_fma_f32 v164, -v164, v168, v169
	s_delay_alu instid0(VALU_DEP_1) | instskip(NEXT) | instid1(VALU_DEP_1)
	v_div_fmas_f32 v164, v164, v167, v168
	v_div_fixup_f32 v164, v164, v165, 1.0
	s_delay_alu instid0(VALU_DEP_1)
	v_mul_f32_e32 v166, v166, v164
	v_xor_b32_e32 v167, 0x80000000, v164
                                        ; implicit-def: $vgpr164_vgpr165
.LBB121_410:
	s_and_not1_saveexec_b32 s1, s1
	s_cbranch_execz .LBB121_412
; %bb.411:
	v_div_scale_f32 v166, null, v164, v164, v165
	v_div_scale_f32 v169, vcc_lo, v165, v164, v165
	s_delay_alu instid0(VALU_DEP_2) | instskip(SKIP_1) | instid1(TRANS32_DEP_1)
	v_rcp_f32_e32 v167, v166
	v_nop
	v_fma_f32 v168, -v166, v167, 1.0
	s_delay_alu instid0(VALU_DEP_1) | instskip(NEXT) | instid1(VALU_DEP_1)
	v_fmac_f32_e32 v167, v168, v167
	v_mul_f32_e32 v168, v169, v167
	s_delay_alu instid0(VALU_DEP_1) | instskip(NEXT) | instid1(VALU_DEP_1)
	v_fma_f32 v170, -v166, v168, v169
	v_fmac_f32_e32 v168, v170, v167
	s_delay_alu instid0(VALU_DEP_1) | instskip(NEXT) | instid1(VALU_DEP_1)
	v_fma_f32 v166, -v166, v168, v169
	v_div_fmas_f32 v166, v166, v167, v168
	s_delay_alu instid0(VALU_DEP_1) | instskip(NEXT) | instid1(VALU_DEP_1)
	v_div_fixup_f32 v167, v166, v164, v165
	v_fmac_f32_e32 v164, v165, v167
	s_delay_alu instid0(VALU_DEP_1) | instskip(NEXT) | instid1(VALU_DEP_1)
	v_div_scale_f32 v165, null, v164, v164, 1.0
	v_rcp_f32_e32 v166, v165
	v_nop
	s_delay_alu instid0(TRANS32_DEP_1) | instskip(NEXT) | instid1(VALU_DEP_1)
	v_fma_f32 v168, -v165, v166, 1.0
	v_fmac_f32_e32 v166, v168, v166
	v_div_scale_f32 v168, vcc_lo, 1.0, v164, 1.0
	s_delay_alu instid0(VALU_DEP_1) | instskip(NEXT) | instid1(VALU_DEP_1)
	v_mul_f32_e32 v169, v168, v166
	v_fma_f32 v170, -v165, v169, v168
	s_delay_alu instid0(VALU_DEP_1) | instskip(NEXT) | instid1(VALU_DEP_1)
	v_fmac_f32_e32 v169, v170, v166
	v_fma_f32 v165, -v165, v169, v168
	s_delay_alu instid0(VALU_DEP_1) | instskip(NEXT) | instid1(VALU_DEP_1)
	v_div_fmas_f32 v165, v165, v166, v169
	v_div_fixup_f32 v166, v165, v164, 1.0
	s_delay_alu instid0(VALU_DEP_1)
	v_mul_f32_e64 v167, v167, -v166
.LBB121_412:
	s_or_b32 exec_lo, exec_lo, s1
	ds_store_b64 v221, v[166:167]
.LBB121_413:
	s_or_b32 exec_lo, exec_lo, s2
	s_wait_dscnt 0x0
	s_barrier_signal -1
	s_barrier_wait -1
	ds_load_b64 v[164:165], v221
	s_mov_b32 s1, exec_lo
	v_cmpx_lt_u32_e32 45, v220
	s_cbranch_execz .LBB121_415
; %bb.414:
	ds_load_2addr_b64 v[180:183], v222 offset0:46 offset1:47
	s_wait_dscnt 0x1
	v_pk_mul_f32 v[168:169], v[164:165], v[190:191] op_sel:[1,1] op_sel_hi:[0,1]
	s_delay_alu instid0(VALU_DEP_1) | instskip(SKIP_1) | instid1(VALU_DEP_1)
	v_pk_fma_f32 v[166:167], v[164:165], v[190:191], v[168:169] op_sel_hi:[1,0,1] neg_lo:[0,0,1] neg_hi:[0,0,1]
	v_pk_fma_f32 v[168:169], v[164:165], v[190:191], v[168:169] op_sel_hi:[1,0,1]
	v_dual_mov_b32 v190, v166 :: v_dual_mov_b32 v191, v169
	s_wait_dscnt 0x0
	s_delay_alu instid0(VALU_DEP_2) | instskip(NEXT) | instid1(VALU_DEP_1)
	v_pk_mul_f32 v[170:171], v[180:181], v[168:169] op_sel:[0,1]
	v_pk_fma_f32 v[184:185], v[180:181], v[166:167], v[170:171] op_sel:[0,0,1] op_sel_hi:[1,1,0] neg_lo:[0,0,1] neg_hi:[0,0,1]
	v_pk_fma_f32 v[170:171], v[180:181], v[166:167], v[170:171] op_sel:[0,0,1] op_sel_hi:[1,0,0]
	s_delay_alu instid0(VALU_DEP_1) | instskip(SKIP_1) | instid1(VALU_DEP_1)
	v_mov_b32_e32 v185, v171
	v_pk_mul_f32 v[170:171], v[182:183], v[168:169] op_sel:[0,1]
	v_pk_fma_f32 v[180:181], v[182:183], v[166:167], v[170:171] op_sel:[0,0,1] op_sel_hi:[1,1,0] neg_lo:[0,0,1] neg_hi:[0,0,1]
	v_pk_fma_f32 v[170:171], v[182:183], v[166:167], v[170:171] op_sel:[0,0,1] op_sel_hi:[1,0,0]
	s_delay_alu instid0(VALU_DEP_1) | instskip(SKIP_1) | instid1(VALU_DEP_2)
	v_mov_b32_e32 v181, v171
	v_pk_add_f32 v[192:193], v[192:193], v[184:185] neg_lo:[0,1] neg_hi:[0,1]
	v_pk_add_f32 v[188:189], v[188:189], v[180:181] neg_lo:[0,1] neg_hi:[0,1]
	ds_load_2addr_b64 v[180:183], v222 offset0:48 offset1:49
	s_wait_dscnt 0x0
	v_pk_mul_f32 v[170:171], v[180:181], v[168:169] op_sel:[0,1]
	s_delay_alu instid0(VALU_DEP_1) | instskip(SKIP_2) | instid1(VALU_DEP_2)
	v_pk_fma_f32 v[184:185], v[180:181], v[166:167], v[170:171] op_sel:[0,0,1] op_sel_hi:[1,1,0] neg_lo:[0,0,1] neg_hi:[0,0,1]
	v_pk_fma_f32 v[170:171], v[180:181], v[166:167], v[170:171] op_sel:[0,0,1] op_sel_hi:[1,0,0]
	v_dual_mul_f32 v180, v183, v169 :: v_dual_mov_b32 v170, v183
	v_dual_mov_b32 v185, v171 :: v_dual_mov_b32 v171, v182
	s_delay_alu instid0(VALU_DEP_2) | instskip(SKIP_1) | instid1(VALU_DEP_3)
	v_pk_fma_f32 v[180:181], v[182:183], v[190:191], v[180:181] op_sel_hi:[1,1,0] neg_lo:[0,0,1] neg_hi:[0,0,1]
	v_mul_f32_e32 v182, v183, v166
	v_pk_add_f32 v[216:217], v[216:217], v[184:185] neg_lo:[0,1] neg_hi:[0,1]
	s_delay_alu instid0(VALU_DEP_2) | instskip(NEXT) | instid1(VALU_DEP_1)
	v_pk_fma_f32 v[170:171], v[170:171], v[190:191], v[182:183] op_sel_hi:[1,1,0]
	v_mov_b32_e32 v181, v171
	s_delay_alu instid0(VALU_DEP_1) | instskip(SKIP_3) | instid1(VALU_DEP_1)
	v_pk_add_f32 v[212:213], v[212:213], v[180:181] neg_lo:[0,1] neg_hi:[0,1]
	ds_load_2addr_b64 v[180:183], v222 offset0:50 offset1:51
	s_wait_dscnt 0x0
	v_pk_mul_f32 v[170:171], v[180:181], v[168:169] op_sel:[0,1]
	v_pk_fma_f32 v[184:185], v[180:181], v[166:167], v[170:171] op_sel:[0,0,1] op_sel_hi:[1,1,0] neg_lo:[0,0,1] neg_hi:[0,0,1]
	v_pk_fma_f32 v[170:171], v[180:181], v[166:167], v[170:171] op_sel:[0,0,1] op_sel_hi:[1,0,0]
	s_delay_alu instid0(VALU_DEP_1) | instskip(SKIP_1) | instid1(VALU_DEP_2)
	v_mov_b32_e32 v185, v171
	v_pk_mul_f32 v[170:171], v[182:183], v[168:169] op_sel:[0,1]
	v_pk_add_f32 v[214:215], v[214:215], v[184:185] neg_lo:[0,1] neg_hi:[0,1]
	s_delay_alu instid0(VALU_DEP_2) | instskip(SKIP_1) | instid1(VALU_DEP_1)
	v_pk_fma_f32 v[180:181], v[182:183], v[166:167], v[170:171] op_sel:[0,0,1] op_sel_hi:[1,1,0] neg_lo:[0,0,1] neg_hi:[0,0,1]
	v_pk_fma_f32 v[170:171], v[182:183], v[166:167], v[170:171] op_sel:[0,0,1] op_sel_hi:[1,0,0]
	v_mov_b32_e32 v181, v171
	s_delay_alu instid0(VALU_DEP_1) | instskip(SKIP_3) | instid1(VALU_DEP_1)
	v_pk_add_f32 v[210:211], v[210:211], v[180:181] neg_lo:[0,1] neg_hi:[0,1]
	ds_load_2addr_b64 v[180:183], v222 offset0:52 offset1:53
	s_wait_dscnt 0x0
	v_pk_mul_f32 v[170:171], v[180:181], v[168:169] op_sel:[0,1]
	v_pk_fma_f32 v[184:185], v[180:181], v[166:167], v[170:171] op_sel:[0,0,1] op_sel_hi:[1,1,0] neg_lo:[0,0,1] neg_hi:[0,0,1]
	v_pk_fma_f32 v[170:171], v[180:181], v[166:167], v[170:171] op_sel:[0,0,1] op_sel_hi:[1,0,0]
	s_delay_alu instid0(VALU_DEP_1) | instskip(SKIP_1) | instid1(VALU_DEP_2)
	v_mov_b32_e32 v185, v171
	v_pk_mul_f32 v[170:171], v[182:183], v[168:169] op_sel:[0,1]
	v_pk_add_f32 v[240:241], v[240:241], v[184:185] neg_lo:[0,1] neg_hi:[0,1]
	s_delay_alu instid0(VALU_DEP_2) | instskip(SKIP_1) | instid1(VALU_DEP_1)
	v_pk_fma_f32 v[180:181], v[182:183], v[166:167], v[170:171] op_sel:[0,0,1] op_sel_hi:[1,1,0] neg_lo:[0,0,1] neg_hi:[0,0,1]
	v_pk_fma_f32 v[170:171], v[182:183], v[166:167], v[170:171] op_sel:[0,0,1] op_sel_hi:[1,0,0]
	v_mov_b32_e32 v181, v171
	s_delay_alu instid0(VALU_DEP_1) | instskip(SKIP_3) | instid1(VALU_DEP_1)
	v_pk_add_f32 v[232:233], v[232:233], v[180:181] neg_lo:[0,1] neg_hi:[0,1]
	ds_load_2addr_b64 v[180:183], v222 offset0:54 offset1:55
	s_wait_dscnt 0x0
	v_dual_mul_f32 v170, v181, v169 :: v_dual_mul_f32 v184, v181, v166
	v_pk_fma_f32 v[170:171], v[180:181], v[190:191], v[170:171] op_sel_hi:[1,1,0] neg_lo:[0,0,1] neg_hi:[0,0,1]
	s_delay_alu instid0(VALU_DEP_2) | instskip(NEXT) | instid1(VALU_DEP_1)
	v_pk_fma_f32 v[180:181], v[180:181], v[190:191], v[184:185] op_sel:[1,0,0] op_sel_hi:[0,1,0]
	v_mov_b32_e32 v171, v181
	s_delay_alu instid0(VALU_DEP_1) | instskip(SKIP_1) | instid1(VALU_DEP_1)
	v_pk_add_f32 v[238:239], v[238:239], v[170:171] neg_lo:[0,1] neg_hi:[0,1]
	v_pk_mul_f32 v[170:171], v[182:183], v[168:169] op_sel:[0,1]
	v_pk_fma_f32 v[180:181], v[182:183], v[166:167], v[170:171] op_sel:[0,0,1] op_sel_hi:[1,1,0] neg_lo:[0,0,1] neg_hi:[0,0,1]
	v_pk_fma_f32 v[170:171], v[182:183], v[166:167], v[170:171] op_sel:[0,0,1] op_sel_hi:[1,0,0]
	s_delay_alu instid0(VALU_DEP_1) | instskip(NEXT) | instid1(VALU_DEP_1)
	v_mov_b32_e32 v181, v171
	v_pk_add_f32 v[230:231], v[230:231], v[180:181] neg_lo:[0,1] neg_hi:[0,1]
	ds_load_2addr_b64 v[180:183], v222 offset0:56 offset1:57
	s_wait_dscnt 0x0
	v_pk_mul_f32 v[170:171], v[180:181], v[168:169] op_sel:[0,1]
	s_delay_alu instid0(VALU_DEP_1) | instskip(SKIP_1) | instid1(VALU_DEP_1)
	v_pk_fma_f32 v[184:185], v[180:181], v[166:167], v[170:171] op_sel:[0,0,1] op_sel_hi:[1,1,0] neg_lo:[0,0,1] neg_hi:[0,0,1]
	v_pk_fma_f32 v[170:171], v[180:181], v[166:167], v[170:171] op_sel:[0,0,1] op_sel_hi:[1,0,0]
	v_mov_b32_e32 v185, v171
	v_pk_mul_f32 v[170:171], v[182:183], v[168:169] op_sel:[0,1]
	s_delay_alu instid0(VALU_DEP_2) | instskip(NEXT) | instid1(VALU_DEP_2)
	v_pk_add_f32 v[236:237], v[236:237], v[184:185] neg_lo:[0,1] neg_hi:[0,1]
	v_pk_fma_f32 v[180:181], v[182:183], v[166:167], v[170:171] op_sel:[0,0,1] op_sel_hi:[1,1,0] neg_lo:[0,0,1] neg_hi:[0,0,1]
	v_pk_fma_f32 v[170:171], v[182:183], v[166:167], v[170:171] op_sel:[0,0,1] op_sel_hi:[1,0,0]
	s_delay_alu instid0(VALU_DEP_1) | instskip(NEXT) | instid1(VALU_DEP_1)
	v_mov_b32_e32 v181, v171
	v_pk_add_f32 v[228:229], v[228:229], v[180:181] neg_lo:[0,1] neg_hi:[0,1]
	ds_load_2addr_b64 v[180:183], v222 offset0:58 offset1:59
	s_wait_dscnt 0x0
	v_pk_mul_f32 v[170:171], v[180:181], v[168:169] op_sel:[0,1]
	s_delay_alu instid0(VALU_DEP_1) | instskip(SKIP_2) | instid1(VALU_DEP_2)
	v_pk_fma_f32 v[184:185], v[180:181], v[166:167], v[170:171] op_sel:[0,0,1] op_sel_hi:[1,1,0] neg_lo:[0,0,1] neg_hi:[0,0,1]
	v_pk_fma_f32 v[170:171], v[180:181], v[166:167], v[170:171] op_sel:[0,0,1] op_sel_hi:[1,0,0]
	v_dual_mul_f32 v180, v183, v169 :: v_dual_mov_b32 v170, v183
	v_dual_mov_b32 v185, v171 :: v_dual_mov_b32 v171, v182
	s_delay_alu instid0(VALU_DEP_2) | instskip(SKIP_1) | instid1(VALU_DEP_3)
	v_pk_fma_f32 v[180:181], v[182:183], v[190:191], v[180:181] op_sel_hi:[1,1,0] neg_lo:[0,0,1] neg_hi:[0,0,1]
	v_mul_f32_e32 v182, v183, v166
	v_pk_add_f32 v[234:235], v[234:235], v[184:185] neg_lo:[0,1] neg_hi:[0,1]
	s_delay_alu instid0(VALU_DEP_2) | instskip(NEXT) | instid1(VALU_DEP_1)
	v_pk_fma_f32 v[170:171], v[170:171], v[190:191], v[182:183] op_sel_hi:[1,1,0]
	v_mov_b32_e32 v181, v171
	ds_load_b64 v[170:171], v222 offset:480
	v_pk_add_f32 v[242:243], v[242:243], v[180:181] neg_lo:[0,1] neg_hi:[0,1]
	s_wait_dscnt 0x0
	v_pk_mul_f32 v[168:169], v[170:171], v[168:169] op_sel:[0,1]
	s_delay_alu instid0(VALU_DEP_1) | instskip(SKIP_1) | instid1(VALU_DEP_1)
	v_pk_fma_f32 v[180:181], v[170:171], v[166:167], v[168:169] op_sel:[0,0,1] op_sel_hi:[1,1,0] neg_lo:[0,0,1] neg_hi:[0,0,1]
	v_pk_fma_f32 v[166:167], v[170:171], v[166:167], v[168:169] op_sel:[0,0,1] op_sel_hi:[1,0,0]
	v_mov_b32_e32 v181, v167
	s_delay_alu instid0(VALU_DEP_1)
	v_pk_add_f32 v[244:245], v[244:245], v[180:181] neg_lo:[0,1] neg_hi:[0,1]
.LBB121_415:
	s_or_b32 exec_lo, exec_lo, s1
	s_delay_alu instid0(SALU_CYCLE_1)
	s_mov_b32 s2, exec_lo
	s_wait_dscnt 0x0
	s_barrier_signal -1
	s_barrier_wait -1
	v_cmpx_eq_u32_e32 46, v220
	s_cbranch_execz .LBB121_422
; %bb.416:
	ds_store_b64 v221, v[192:193]
	ds_store_2addr_b64 v222, v[188:189], v[216:217] offset0:47 offset1:48
	ds_store_2addr_b64 v222, v[212:213], v[214:215] offset0:49 offset1:50
	;; [unrolled: 1-line block ×7, first 2 shown]
	ds_load_b64 v[166:167], v221
	s_wait_dscnt 0x0
	v_cmp_neq_f32_e32 vcc_lo, 0, v166
	v_cmp_neq_f32_e64 s1, 0, v167
	s_or_b32 s1, vcc_lo, s1
	s_delay_alu instid0(SALU_CYCLE_1)
	s_and_b32 exec_lo, exec_lo, s1
	s_cbranch_execz .LBB121_422
; %bb.417:
	v_cmp_ngt_f32_e64 s1, |v166|, |v167|
                                        ; implicit-def: $vgpr168_vgpr169
	s_and_saveexec_b32 s4, s1
	s_delay_alu instid0(SALU_CYCLE_1)
	s_xor_b32 s1, exec_lo, s4
	s_cbranch_execz .LBB121_419
; %bb.418:
	v_div_scale_f32 v168, null, v167, v167, v166
	v_div_scale_f32 v171, vcc_lo, v166, v167, v166
	s_delay_alu instid0(VALU_DEP_2) | instskip(SKIP_1) | instid1(TRANS32_DEP_1)
	v_rcp_f32_e32 v169, v168
	v_nop
	v_fma_f32 v170, -v168, v169, 1.0
	s_delay_alu instid0(VALU_DEP_1) | instskip(NEXT) | instid1(VALU_DEP_1)
	v_fmac_f32_e32 v169, v170, v169
	v_mul_f32_e32 v170, v171, v169
	s_delay_alu instid0(VALU_DEP_1) | instskip(NEXT) | instid1(VALU_DEP_1)
	v_fma_f32 v180, -v168, v170, v171
	v_fmac_f32_e32 v170, v180, v169
	s_delay_alu instid0(VALU_DEP_1) | instskip(NEXT) | instid1(VALU_DEP_1)
	v_fma_f32 v168, -v168, v170, v171
	v_div_fmas_f32 v168, v168, v169, v170
	s_delay_alu instid0(VALU_DEP_1) | instskip(NEXT) | instid1(VALU_DEP_1)
	v_div_fixup_f32 v168, v168, v167, v166
	v_fmac_f32_e32 v167, v166, v168
	s_delay_alu instid0(VALU_DEP_1) | instskip(SKIP_1) | instid1(VALU_DEP_2)
	v_div_scale_f32 v166, null, v167, v167, 1.0
	v_div_scale_f32 v171, vcc_lo, 1.0, v167, 1.0
	v_rcp_f32_e32 v169, v166
	v_nop
	s_delay_alu instid0(TRANS32_DEP_1) | instskip(NEXT) | instid1(VALU_DEP_1)
	v_fma_f32 v170, -v166, v169, 1.0
	v_fmac_f32_e32 v169, v170, v169
	s_delay_alu instid0(VALU_DEP_1) | instskip(NEXT) | instid1(VALU_DEP_1)
	v_mul_f32_e32 v170, v171, v169
	v_fma_f32 v180, -v166, v170, v171
	s_delay_alu instid0(VALU_DEP_1) | instskip(NEXT) | instid1(VALU_DEP_1)
	v_fmac_f32_e32 v170, v180, v169
	v_fma_f32 v166, -v166, v170, v171
	s_delay_alu instid0(VALU_DEP_1) | instskip(NEXT) | instid1(VALU_DEP_1)
	v_div_fmas_f32 v166, v166, v169, v170
	v_div_fixup_f32 v166, v166, v167, 1.0
	s_delay_alu instid0(VALU_DEP_1)
	v_mul_f32_e32 v168, v168, v166
	v_xor_b32_e32 v169, 0x80000000, v166
                                        ; implicit-def: $vgpr166_vgpr167
.LBB121_419:
	s_and_not1_saveexec_b32 s1, s1
	s_cbranch_execz .LBB121_421
; %bb.420:
	v_div_scale_f32 v168, null, v166, v166, v167
	v_div_scale_f32 v171, vcc_lo, v167, v166, v167
	s_delay_alu instid0(VALU_DEP_2) | instskip(SKIP_1) | instid1(TRANS32_DEP_1)
	v_rcp_f32_e32 v169, v168
	v_nop
	v_fma_f32 v170, -v168, v169, 1.0
	s_delay_alu instid0(VALU_DEP_1) | instskip(NEXT) | instid1(VALU_DEP_1)
	v_fmac_f32_e32 v169, v170, v169
	v_mul_f32_e32 v170, v171, v169
	s_delay_alu instid0(VALU_DEP_1) | instskip(NEXT) | instid1(VALU_DEP_1)
	v_fma_f32 v180, -v168, v170, v171
	v_fmac_f32_e32 v170, v180, v169
	s_delay_alu instid0(VALU_DEP_1) | instskip(NEXT) | instid1(VALU_DEP_1)
	v_fma_f32 v168, -v168, v170, v171
	v_div_fmas_f32 v168, v168, v169, v170
	s_delay_alu instid0(VALU_DEP_1) | instskip(NEXT) | instid1(VALU_DEP_1)
	v_div_fixup_f32 v169, v168, v166, v167
	v_fmac_f32_e32 v166, v167, v169
	s_delay_alu instid0(VALU_DEP_1) | instskip(NEXT) | instid1(VALU_DEP_1)
	v_div_scale_f32 v167, null, v166, v166, 1.0
	v_rcp_f32_e32 v168, v167
	v_nop
	s_delay_alu instid0(TRANS32_DEP_1) | instskip(NEXT) | instid1(VALU_DEP_1)
	v_fma_f32 v170, -v167, v168, 1.0
	v_fmac_f32_e32 v168, v170, v168
	v_div_scale_f32 v170, vcc_lo, 1.0, v166, 1.0
	s_delay_alu instid0(VALU_DEP_1) | instskip(NEXT) | instid1(VALU_DEP_1)
	v_mul_f32_e32 v171, v170, v168
	v_fma_f32 v180, -v167, v171, v170
	s_delay_alu instid0(VALU_DEP_1) | instskip(NEXT) | instid1(VALU_DEP_1)
	v_fmac_f32_e32 v171, v180, v168
	v_fma_f32 v167, -v167, v171, v170
	s_delay_alu instid0(VALU_DEP_1) | instskip(NEXT) | instid1(VALU_DEP_1)
	v_div_fmas_f32 v167, v167, v168, v171
	v_div_fixup_f32 v168, v167, v166, 1.0
	s_delay_alu instid0(VALU_DEP_1)
	v_mul_f32_e64 v169, v169, -v168
.LBB121_421:
	s_or_b32 exec_lo, exec_lo, s1
	ds_store_b64 v221, v[168:169]
.LBB121_422:
	s_or_b32 exec_lo, exec_lo, s2
	s_wait_dscnt 0x0
	s_barrier_signal -1
	s_barrier_wait -1
	ds_load_b64 v[166:167], v221
	s_mov_b32 s1, exec_lo
	v_cmpx_lt_u32_e32 46, v220
	s_cbranch_execz .LBB121_424
; %bb.423:
	ds_load_2addr_b64 v[180:183], v222 offset0:47 offset1:48
	s_wait_dscnt 0x1
	v_pk_mul_f32 v[170:171], v[166:167], v[192:193] op_sel:[1,1] op_sel_hi:[0,1]
	s_delay_alu instid0(VALU_DEP_1) | instskip(SKIP_1) | instid1(VALU_DEP_1)
	v_pk_fma_f32 v[168:169], v[166:167], v[192:193], v[170:171] op_sel_hi:[1,0,1] neg_lo:[0,0,1] neg_hi:[0,0,1]
	v_pk_fma_f32 v[170:171], v[166:167], v[192:193], v[170:171] op_sel_hi:[1,0,1]
	v_dual_mov_b32 v192, v168 :: v_dual_mov_b32 v193, v171
	s_wait_dscnt 0x0
	s_delay_alu instid0(VALU_DEP_2) | instskip(NEXT) | instid1(VALU_DEP_1)
	v_pk_mul_f32 v[184:185], v[180:181], v[170:171] op_sel:[0,1]
	v_pk_fma_f32 v[186:187], v[180:181], v[168:169], v[184:185] op_sel:[0,0,1] op_sel_hi:[1,1,0] neg_lo:[0,0,1] neg_hi:[0,0,1]
	v_pk_fma_f32 v[180:181], v[180:181], v[168:169], v[184:185] op_sel:[0,0,1] op_sel_hi:[1,0,0]
	s_delay_alu instid0(VALU_DEP_1) | instskip(SKIP_1) | instid1(VALU_DEP_1)
	v_mov_b32_e32 v187, v181
	v_pk_mul_f32 v[180:181], v[182:183], v[170:171] op_sel:[0,1]
	v_pk_fma_f32 v[184:185], v[182:183], v[168:169], v[180:181] op_sel:[0,0,1] op_sel_hi:[1,1,0] neg_lo:[0,0,1] neg_hi:[0,0,1]
	v_pk_fma_f32 v[180:181], v[182:183], v[168:169], v[180:181] op_sel:[0,0,1] op_sel_hi:[1,0,0]
	s_delay_alu instid0(VALU_DEP_1)
	v_mov_b32_e32 v185, v181
	ds_load_2addr_b64 v[180:183], v222 offset0:49 offset1:50
	v_pk_add_f32 v[188:189], v[188:189], v[186:187] neg_lo:[0,1] neg_hi:[0,1]
	v_pk_add_f32 v[216:217], v[216:217], v[184:185] neg_lo:[0,1] neg_hi:[0,1]
	s_wait_dscnt 0x0
	v_pk_mul_f32 v[184:185], v[180:181], v[170:171] op_sel:[0,1]
	s_delay_alu instid0(VALU_DEP_1) | instskip(SKIP_2) | instid1(VALU_DEP_2)
	v_pk_fma_f32 v[186:187], v[180:181], v[168:169], v[184:185] op_sel:[0,0,1] op_sel_hi:[1,1,0] neg_lo:[0,0,1] neg_hi:[0,0,1]
	v_pk_fma_f32 v[180:181], v[180:181], v[168:169], v[184:185] op_sel:[0,0,1] op_sel_hi:[1,0,0]
	v_dual_mul_f32 v184, v183, v171 :: v_dual_mov_b32 v180, v183
	v_dual_mov_b32 v187, v181 :: v_dual_mov_b32 v181, v182
	s_delay_alu instid0(VALU_DEP_2) | instskip(SKIP_1) | instid1(VALU_DEP_3)
	v_pk_fma_f32 v[184:185], v[182:183], v[192:193], v[184:185] op_sel_hi:[1,1,0] neg_lo:[0,0,1] neg_hi:[0,0,1]
	v_mul_f32_e32 v182, v183, v168
	v_pk_add_f32 v[212:213], v[212:213], v[186:187] neg_lo:[0,1] neg_hi:[0,1]
	s_delay_alu instid0(VALU_DEP_2) | instskip(NEXT) | instid1(VALU_DEP_1)
	v_pk_fma_f32 v[180:181], v[180:181], v[192:193], v[182:183] op_sel_hi:[1,1,0]
	v_mov_b32_e32 v185, v181
	ds_load_2addr_b64 v[180:183], v222 offset0:51 offset1:52
	v_pk_add_f32 v[214:215], v[214:215], v[184:185] neg_lo:[0,1] neg_hi:[0,1]
	s_wait_dscnt 0x0
	v_pk_mul_f32 v[184:185], v[180:181], v[170:171] op_sel:[0,1]
	s_delay_alu instid0(VALU_DEP_1) | instskip(SKIP_1) | instid1(VALU_DEP_1)
	v_pk_fma_f32 v[186:187], v[180:181], v[168:169], v[184:185] op_sel:[0,0,1] op_sel_hi:[1,1,0] neg_lo:[0,0,1] neg_hi:[0,0,1]
	v_pk_fma_f32 v[180:181], v[180:181], v[168:169], v[184:185] op_sel:[0,0,1] op_sel_hi:[1,0,0]
	v_mov_b32_e32 v187, v181
	v_pk_mul_f32 v[180:181], v[182:183], v[170:171] op_sel:[0,1]
	s_delay_alu instid0(VALU_DEP_1) | instskip(SKIP_1) | instid1(VALU_DEP_1)
	v_pk_fma_f32 v[184:185], v[182:183], v[168:169], v[180:181] op_sel:[0,0,1] op_sel_hi:[1,1,0] neg_lo:[0,0,1] neg_hi:[0,0,1]
	v_pk_fma_f32 v[180:181], v[182:183], v[168:169], v[180:181] op_sel:[0,0,1] op_sel_hi:[1,0,0]
	v_mov_b32_e32 v185, v181
	ds_load_2addr_b64 v[180:183], v222 offset0:53 offset1:54
	v_pk_add_f32 v[210:211], v[210:211], v[186:187] neg_lo:[0,1] neg_hi:[0,1]
	v_pk_add_f32 v[240:241], v[240:241], v[184:185] neg_lo:[0,1] neg_hi:[0,1]
	s_wait_dscnt 0x0
	v_pk_mul_f32 v[184:185], v[180:181], v[170:171] op_sel:[0,1]
	s_delay_alu instid0(VALU_DEP_1) | instskip(SKIP_1) | instid1(VALU_DEP_1)
	v_pk_fma_f32 v[186:187], v[180:181], v[168:169], v[184:185] op_sel:[0,0,1] op_sel_hi:[1,1,0] neg_lo:[0,0,1] neg_hi:[0,0,1]
	v_pk_fma_f32 v[180:181], v[180:181], v[168:169], v[184:185] op_sel:[0,0,1] op_sel_hi:[1,0,0]
	v_mov_b32_e32 v187, v181
	v_pk_mul_f32 v[180:181], v[182:183], v[170:171] op_sel:[0,1]
	s_delay_alu instid0(VALU_DEP_1) | instskip(SKIP_1) | instid1(VALU_DEP_1)
	v_pk_fma_f32 v[184:185], v[182:183], v[168:169], v[180:181] op_sel:[0,0,1] op_sel_hi:[1,1,0] neg_lo:[0,0,1] neg_hi:[0,0,1]
	v_pk_fma_f32 v[180:181], v[182:183], v[168:169], v[180:181] op_sel:[0,0,1] op_sel_hi:[1,0,0]
	v_mov_b32_e32 v185, v181
	ds_load_2addr_b64 v[180:183], v222 offset0:55 offset1:56
	v_pk_add_f32 v[232:233], v[232:233], v[186:187] neg_lo:[0,1] neg_hi:[0,1]
	v_pk_add_f32 v[238:239], v[238:239], v[184:185] neg_lo:[0,1] neg_hi:[0,1]
	s_wait_dscnt 0x0
	v_dual_mul_f32 v184, v181, v171 :: v_dual_mul_f32 v186, v181, v168
	s_delay_alu instid0(VALU_DEP_1) | instskip(NEXT) | instid1(VALU_DEP_2)
	v_pk_fma_f32 v[184:185], v[180:181], v[192:193], v[184:185] op_sel_hi:[1,1,0] neg_lo:[0,0,1] neg_hi:[0,0,1]
	v_pk_fma_f32 v[180:181], v[180:181], v[192:193], v[186:187] op_sel:[1,0,0] op_sel_hi:[0,1,0]
	s_delay_alu instid0(VALU_DEP_1) | instskip(SKIP_1) | instid1(VALU_DEP_2)
	v_mov_b32_e32 v185, v181
	v_pk_mul_f32 v[180:181], v[182:183], v[170:171] op_sel:[0,1]
	v_pk_add_f32 v[230:231], v[230:231], v[184:185] neg_lo:[0,1] neg_hi:[0,1]
	s_delay_alu instid0(VALU_DEP_2) | instskip(SKIP_1) | instid1(VALU_DEP_1)
	v_pk_fma_f32 v[184:185], v[182:183], v[168:169], v[180:181] op_sel:[0,0,1] op_sel_hi:[1,1,0] neg_lo:[0,0,1] neg_hi:[0,0,1]
	v_pk_fma_f32 v[180:181], v[182:183], v[168:169], v[180:181] op_sel:[0,0,1] op_sel_hi:[1,0,0]
	v_mov_b32_e32 v185, v181
	ds_load_2addr_b64 v[180:183], v222 offset0:57 offset1:58
	v_pk_add_f32 v[236:237], v[236:237], v[184:185] neg_lo:[0,1] neg_hi:[0,1]
	s_wait_dscnt 0x0
	v_pk_mul_f32 v[184:185], v[180:181], v[170:171] op_sel:[0,1]
	s_delay_alu instid0(VALU_DEP_1) | instskip(SKIP_1) | instid1(VALU_DEP_1)
	v_pk_fma_f32 v[186:187], v[180:181], v[168:169], v[184:185] op_sel:[0,0,1] op_sel_hi:[1,1,0] neg_lo:[0,0,1] neg_hi:[0,0,1]
	v_pk_fma_f32 v[180:181], v[180:181], v[168:169], v[184:185] op_sel:[0,0,1] op_sel_hi:[1,0,0]
	v_mov_b32_e32 v187, v181
	v_pk_mul_f32 v[180:181], v[182:183], v[170:171] op_sel:[0,1]
	s_delay_alu instid0(VALU_DEP_2) | instskip(NEXT) | instid1(VALU_DEP_2)
	v_pk_add_f32 v[228:229], v[228:229], v[186:187] neg_lo:[0,1] neg_hi:[0,1]
	v_pk_fma_f32 v[184:185], v[182:183], v[168:169], v[180:181] op_sel:[0,0,1] op_sel_hi:[1,1,0] neg_lo:[0,0,1] neg_hi:[0,0,1]
	v_pk_fma_f32 v[180:181], v[182:183], v[168:169], v[180:181] op_sel:[0,0,1] op_sel_hi:[1,0,0]
	s_delay_alu instid0(VALU_DEP_1)
	v_mov_b32_e32 v185, v181
	ds_load_2addr_b64 v[180:183], v222 offset0:59 offset1:60
	v_pk_add_f32 v[234:235], v[234:235], v[184:185] neg_lo:[0,1] neg_hi:[0,1]
	s_wait_dscnt 0x0
	v_pk_mul_f32 v[184:185], v[180:181], v[170:171] op_sel:[0,1]
	v_pk_mul_f32 v[170:171], v[182:183], v[170:171] op_sel:[0,1]
	s_delay_alu instid0(VALU_DEP_2) | instskip(SKIP_1) | instid1(VALU_DEP_1)
	v_pk_fma_f32 v[186:187], v[180:181], v[168:169], v[184:185] op_sel:[0,0,1] op_sel_hi:[1,1,0] neg_lo:[0,0,1] neg_hi:[0,0,1]
	v_pk_fma_f32 v[180:181], v[180:181], v[168:169], v[184:185] op_sel:[0,0,1] op_sel_hi:[1,0,0]
	v_mov_b32_e32 v187, v181
	s_delay_alu instid0(VALU_DEP_4) | instskip(SKIP_1) | instid1(VALU_DEP_3)
	v_pk_fma_f32 v[180:181], v[182:183], v[168:169], v[170:171] op_sel:[0,0,1] op_sel_hi:[1,1,0] neg_lo:[0,0,1] neg_hi:[0,0,1]
	v_pk_fma_f32 v[168:169], v[182:183], v[168:169], v[170:171] op_sel:[0,0,1] op_sel_hi:[1,0,0]
	v_pk_add_f32 v[242:243], v[242:243], v[186:187] neg_lo:[0,1] neg_hi:[0,1]
	s_delay_alu instid0(VALU_DEP_2) | instskip(NEXT) | instid1(VALU_DEP_1)
	v_mov_b32_e32 v181, v169
	v_pk_add_f32 v[244:245], v[244:245], v[180:181] neg_lo:[0,1] neg_hi:[0,1]
.LBB121_424:
	s_or_b32 exec_lo, exec_lo, s1
	s_delay_alu instid0(SALU_CYCLE_1)
	s_mov_b32 s2, exec_lo
	s_wait_dscnt 0x0
	s_barrier_signal -1
	s_barrier_wait -1
	v_cmpx_eq_u32_e32 47, v220
	s_cbranch_execz .LBB121_431
; %bb.425:
	v_dual_mov_b32 v168, v216 :: v_dual_mov_b32 v169, v217
	v_dual_mov_b32 v170, v212 :: v_dual_mov_b32 v171, v213
	ds_store_b64 v221, v[188:189]
	ds_store_2addr_b64 v222, v[168:169], v[170:171] offset0:48 offset1:49
	v_dual_mov_b32 v168, v214 :: v_dual_mov_b32 v169, v215
	v_dual_mov_b32 v170, v210 :: v_dual_mov_b32 v171, v211
	ds_store_2addr_b64 v222, v[168:169], v[170:171] offset0:50 offset1:51
	v_dual_mov_b32 v168, v240 :: v_dual_mov_b32 v169, v241
	v_dual_mov_b32 v170, v232 :: v_dual_mov_b32 v171, v233
	;; [unrolled: 3-line block ×5, first 2 shown]
	ds_store_2addr_b64 v222, v[168:169], v[170:171] offset0:58 offset1:59
	ds_store_b64 v222, v[244:245] offset:480
	ds_load_b64 v[168:169], v221
	s_wait_dscnt 0x0
	v_cmp_neq_f32_e32 vcc_lo, 0, v168
	v_cmp_neq_f32_e64 s1, 0, v169
	s_or_b32 s1, vcc_lo, s1
	s_delay_alu instid0(SALU_CYCLE_1)
	s_and_b32 exec_lo, exec_lo, s1
	s_cbranch_execz .LBB121_431
; %bb.426:
	v_cmp_ngt_f32_e64 s1, |v168|, |v169|
                                        ; implicit-def: $vgpr170_vgpr171
	s_and_saveexec_b32 s4, s1
	s_delay_alu instid0(SALU_CYCLE_1)
	s_xor_b32 s1, exec_lo, s4
	s_cbranch_execz .LBB121_428
; %bb.427:
	v_div_scale_f32 v170, null, v169, v169, v168
	v_div_scale_f32 v181, vcc_lo, v168, v169, v168
	s_delay_alu instid0(VALU_DEP_2) | instskip(SKIP_1) | instid1(TRANS32_DEP_1)
	v_rcp_f32_e32 v171, v170
	v_nop
	v_fma_f32 v180, -v170, v171, 1.0
	s_delay_alu instid0(VALU_DEP_1) | instskip(NEXT) | instid1(VALU_DEP_1)
	v_fmac_f32_e32 v171, v180, v171
	v_mul_f32_e32 v180, v181, v171
	s_delay_alu instid0(VALU_DEP_1) | instskip(NEXT) | instid1(VALU_DEP_1)
	v_fma_f32 v182, -v170, v180, v181
	v_fmac_f32_e32 v180, v182, v171
	s_delay_alu instid0(VALU_DEP_1) | instskip(NEXT) | instid1(VALU_DEP_1)
	v_fma_f32 v170, -v170, v180, v181
	v_div_fmas_f32 v170, v170, v171, v180
	s_delay_alu instid0(VALU_DEP_1) | instskip(NEXT) | instid1(VALU_DEP_1)
	v_div_fixup_f32 v170, v170, v169, v168
	v_fmac_f32_e32 v169, v168, v170
	s_delay_alu instid0(VALU_DEP_1) | instskip(SKIP_1) | instid1(VALU_DEP_2)
	v_div_scale_f32 v168, null, v169, v169, 1.0
	v_div_scale_f32 v181, vcc_lo, 1.0, v169, 1.0
	v_rcp_f32_e32 v171, v168
	v_nop
	s_delay_alu instid0(TRANS32_DEP_1) | instskip(NEXT) | instid1(VALU_DEP_1)
	v_fma_f32 v180, -v168, v171, 1.0
	v_fmac_f32_e32 v171, v180, v171
	s_delay_alu instid0(VALU_DEP_1) | instskip(NEXT) | instid1(VALU_DEP_1)
	v_mul_f32_e32 v180, v181, v171
	v_fma_f32 v182, -v168, v180, v181
	s_delay_alu instid0(VALU_DEP_1) | instskip(NEXT) | instid1(VALU_DEP_1)
	v_fmac_f32_e32 v180, v182, v171
	v_fma_f32 v168, -v168, v180, v181
	s_delay_alu instid0(VALU_DEP_1) | instskip(NEXT) | instid1(VALU_DEP_1)
	v_div_fmas_f32 v168, v168, v171, v180
	v_div_fixup_f32 v168, v168, v169, 1.0
	s_delay_alu instid0(VALU_DEP_1)
	v_mul_f32_e32 v170, v170, v168
	v_xor_b32_e32 v171, 0x80000000, v168
                                        ; implicit-def: $vgpr168_vgpr169
.LBB121_428:
	s_and_not1_saveexec_b32 s1, s1
	s_cbranch_execz .LBB121_430
; %bb.429:
	v_div_scale_f32 v170, null, v168, v168, v169
	v_div_scale_f32 v181, vcc_lo, v169, v168, v169
	s_delay_alu instid0(VALU_DEP_2) | instskip(SKIP_1) | instid1(TRANS32_DEP_1)
	v_rcp_f32_e32 v171, v170
	v_nop
	v_fma_f32 v180, -v170, v171, 1.0
	s_delay_alu instid0(VALU_DEP_1) | instskip(NEXT) | instid1(VALU_DEP_1)
	v_fmac_f32_e32 v171, v180, v171
	v_mul_f32_e32 v180, v181, v171
	s_delay_alu instid0(VALU_DEP_1) | instskip(NEXT) | instid1(VALU_DEP_1)
	v_fma_f32 v182, -v170, v180, v181
	v_fmac_f32_e32 v180, v182, v171
	s_delay_alu instid0(VALU_DEP_1) | instskip(NEXT) | instid1(VALU_DEP_1)
	v_fma_f32 v170, -v170, v180, v181
	v_div_fmas_f32 v170, v170, v171, v180
	s_delay_alu instid0(VALU_DEP_1) | instskip(NEXT) | instid1(VALU_DEP_1)
	v_div_fixup_f32 v171, v170, v168, v169
	v_fmac_f32_e32 v168, v169, v171
	s_delay_alu instid0(VALU_DEP_1) | instskip(NEXT) | instid1(VALU_DEP_1)
	v_div_scale_f32 v169, null, v168, v168, 1.0
	v_rcp_f32_e32 v170, v169
	v_nop
	s_delay_alu instid0(TRANS32_DEP_1) | instskip(NEXT) | instid1(VALU_DEP_1)
	v_fma_f32 v180, -v169, v170, 1.0
	v_fmac_f32_e32 v170, v180, v170
	v_div_scale_f32 v180, vcc_lo, 1.0, v168, 1.0
	s_delay_alu instid0(VALU_DEP_1) | instskip(NEXT) | instid1(VALU_DEP_1)
	v_mul_f32_e32 v181, v180, v170
	v_fma_f32 v182, -v169, v181, v180
	s_delay_alu instid0(VALU_DEP_1) | instskip(NEXT) | instid1(VALU_DEP_1)
	v_fmac_f32_e32 v181, v182, v170
	v_fma_f32 v169, -v169, v181, v180
	s_delay_alu instid0(VALU_DEP_1) | instskip(NEXT) | instid1(VALU_DEP_1)
	v_div_fmas_f32 v169, v169, v170, v181
	v_div_fixup_f32 v170, v169, v168, 1.0
	s_delay_alu instid0(VALU_DEP_1)
	v_mul_f32_e64 v171, v171, -v170
.LBB121_430:
	s_or_b32 exec_lo, exec_lo, s1
	ds_store_b64 v221, v[170:171]
.LBB121_431:
	s_or_b32 exec_lo, exec_lo, s2
	s_wait_dscnt 0x0
	s_barrier_signal -1
	s_barrier_wait -1
	ds_load_b64 v[168:169], v221
	s_mov_b32 s1, exec_lo
	v_cmpx_lt_u32_e32 47, v220
	s_cbranch_execz .LBB121_433
; %bb.432:
	ds_load_2addr_b64 v[182:185], v222 offset0:48 offset1:49
	s_wait_dscnt 0x1
	v_pk_mul_f32 v[180:181], v[168:169], v[188:189] op_sel:[1,1] op_sel_hi:[0,1]
	s_delay_alu instid0(VALU_DEP_1) | instskip(SKIP_1) | instid1(VALU_DEP_1)
	v_pk_fma_f32 v[170:171], v[168:169], v[188:189], v[180:181] op_sel_hi:[1,0,1] neg_lo:[0,0,1] neg_hi:[0,0,1]
	v_pk_fma_f32 v[180:181], v[168:169], v[188:189], v[180:181] op_sel_hi:[1,0,1]
	v_dual_mov_b32 v188, v170 :: v_dual_mov_b32 v189, v181
	s_wait_dscnt 0x0
	s_delay_alu instid0(VALU_DEP_2) | instskip(NEXT) | instid1(VALU_DEP_1)
	v_pk_mul_f32 v[186:187], v[182:183], v[180:181] op_sel:[0,1]
	v_pk_fma_f32 v[196:197], v[182:183], v[170:171], v[186:187] op_sel:[0,0,1] op_sel_hi:[1,1,0] neg_lo:[0,0,1] neg_hi:[0,0,1]
	v_pk_fma_f32 v[182:183], v[182:183], v[170:171], v[186:187] op_sel:[0,0,1] op_sel_hi:[1,0,0]
	s_delay_alu instid0(VALU_DEP_1) | instskip(SKIP_1) | instid1(VALU_DEP_1)
	v_mov_b32_e32 v197, v183
	v_pk_mul_f32 v[182:183], v[184:185], v[180:181] op_sel:[0,1]
	v_pk_fma_f32 v[186:187], v[184:185], v[170:171], v[182:183] op_sel:[0,0,1] op_sel_hi:[1,1,0] neg_lo:[0,0,1] neg_hi:[0,0,1]
	v_pk_fma_f32 v[182:183], v[184:185], v[170:171], v[182:183] op_sel:[0,0,1] op_sel_hi:[1,0,0]
	s_delay_alu instid0(VALU_DEP_1)
	v_mov_b32_e32 v187, v183
	ds_load_2addr_b64 v[182:185], v222 offset0:50 offset1:51
	v_pk_add_f32 v[216:217], v[216:217], v[196:197] neg_lo:[0,1] neg_hi:[0,1]
	v_pk_add_f32 v[212:213], v[212:213], v[186:187] neg_lo:[0,1] neg_hi:[0,1]
	s_wait_dscnt 0x0
	v_pk_mul_f32 v[186:187], v[182:183], v[180:181] op_sel:[0,1]
	s_delay_alu instid0(VALU_DEP_1) | instskip(SKIP_2) | instid1(VALU_DEP_2)
	v_pk_fma_f32 v[196:197], v[182:183], v[170:171], v[186:187] op_sel:[0,0,1] op_sel_hi:[1,1,0] neg_lo:[0,0,1] neg_hi:[0,0,1]
	v_pk_fma_f32 v[182:183], v[182:183], v[170:171], v[186:187] op_sel:[0,0,1] op_sel_hi:[1,0,0]
	v_dual_mul_f32 v186, v185, v181 :: v_dual_mov_b32 v182, v185
	v_dual_mov_b32 v197, v183 :: v_dual_mov_b32 v183, v184
	s_delay_alu instid0(VALU_DEP_2) | instskip(SKIP_1) | instid1(VALU_DEP_3)
	v_pk_fma_f32 v[186:187], v[184:185], v[188:189], v[186:187] op_sel_hi:[1,1,0] neg_lo:[0,0,1] neg_hi:[0,0,1]
	v_mul_f32_e32 v184, v185, v170
	v_pk_add_f32 v[214:215], v[214:215], v[196:197] neg_lo:[0,1] neg_hi:[0,1]
	s_delay_alu instid0(VALU_DEP_2) | instskip(NEXT) | instid1(VALU_DEP_1)
	v_pk_fma_f32 v[182:183], v[182:183], v[188:189], v[184:185] op_sel_hi:[1,1,0]
	v_mov_b32_e32 v187, v183
	ds_load_2addr_b64 v[182:185], v222 offset0:52 offset1:53
	v_pk_add_f32 v[210:211], v[210:211], v[186:187] neg_lo:[0,1] neg_hi:[0,1]
	s_wait_dscnt 0x0
	v_pk_mul_f32 v[186:187], v[182:183], v[180:181] op_sel:[0,1]
	s_delay_alu instid0(VALU_DEP_1) | instskip(SKIP_1) | instid1(VALU_DEP_1)
	v_pk_fma_f32 v[196:197], v[182:183], v[170:171], v[186:187] op_sel:[0,0,1] op_sel_hi:[1,1,0] neg_lo:[0,0,1] neg_hi:[0,0,1]
	v_pk_fma_f32 v[182:183], v[182:183], v[170:171], v[186:187] op_sel:[0,0,1] op_sel_hi:[1,0,0]
	v_mov_b32_e32 v197, v183
	v_pk_mul_f32 v[182:183], v[184:185], v[180:181] op_sel:[0,1]
	s_delay_alu instid0(VALU_DEP_1) | instskip(SKIP_1) | instid1(VALU_DEP_1)
	v_pk_fma_f32 v[186:187], v[184:185], v[170:171], v[182:183] op_sel:[0,0,1] op_sel_hi:[1,1,0] neg_lo:[0,0,1] neg_hi:[0,0,1]
	v_pk_fma_f32 v[182:183], v[184:185], v[170:171], v[182:183] op_sel:[0,0,1] op_sel_hi:[1,0,0]
	v_mov_b32_e32 v187, v183
	ds_load_2addr_b64 v[182:185], v222 offset0:54 offset1:55
	v_pk_add_f32 v[240:241], v[240:241], v[196:197] neg_lo:[0,1] neg_hi:[0,1]
	v_pk_add_f32 v[232:233], v[232:233], v[186:187] neg_lo:[0,1] neg_hi:[0,1]
	s_wait_dscnt 0x0
	v_pk_mul_f32 v[186:187], v[182:183], v[180:181] op_sel:[0,1]
	s_delay_alu instid0(VALU_DEP_1) | instskip(SKIP_1) | instid1(VALU_DEP_1)
	v_pk_fma_f32 v[196:197], v[182:183], v[170:171], v[186:187] op_sel:[0,0,1] op_sel_hi:[1,1,0] neg_lo:[0,0,1] neg_hi:[0,0,1]
	v_pk_fma_f32 v[182:183], v[182:183], v[170:171], v[186:187] op_sel:[0,0,1] op_sel_hi:[1,0,0]
	v_mov_b32_e32 v197, v183
	v_pk_mul_f32 v[182:183], v[184:185], v[180:181] op_sel:[0,1]
	s_delay_alu instid0(VALU_DEP_1) | instskip(SKIP_1) | instid1(VALU_DEP_1)
	v_pk_fma_f32 v[186:187], v[184:185], v[170:171], v[182:183] op_sel:[0,0,1] op_sel_hi:[1,1,0] neg_lo:[0,0,1] neg_hi:[0,0,1]
	v_pk_fma_f32 v[182:183], v[184:185], v[170:171], v[182:183] op_sel:[0,0,1] op_sel_hi:[1,0,0]
	v_mov_b32_e32 v187, v183
	ds_load_2addr_b64 v[182:185], v222 offset0:56 offset1:57
	v_pk_add_f32 v[238:239], v[238:239], v[196:197] neg_lo:[0,1] neg_hi:[0,1]
	v_pk_add_f32 v[230:231], v[230:231], v[186:187] neg_lo:[0,1] neg_hi:[0,1]
	s_wait_dscnt 0x0
	v_dual_mul_f32 v186, v183, v181 :: v_dual_mul_f32 v196, v183, v170
	s_delay_alu instid0(VALU_DEP_1) | instskip(NEXT) | instid1(VALU_DEP_2)
	v_pk_fma_f32 v[186:187], v[182:183], v[188:189], v[186:187] op_sel_hi:[1,1,0] neg_lo:[0,0,1] neg_hi:[0,0,1]
	v_pk_fma_f32 v[182:183], v[182:183], v[188:189], v[196:197] op_sel:[1,0,0] op_sel_hi:[0,1,0]
	s_delay_alu instid0(VALU_DEP_1) | instskip(SKIP_1) | instid1(VALU_DEP_2)
	v_mov_b32_e32 v187, v183
	v_pk_mul_f32 v[182:183], v[184:185], v[180:181] op_sel:[0,1]
	v_pk_add_f32 v[236:237], v[236:237], v[186:187] neg_lo:[0,1] neg_hi:[0,1]
	s_delay_alu instid0(VALU_DEP_2) | instskip(SKIP_1) | instid1(VALU_DEP_1)
	v_pk_fma_f32 v[186:187], v[184:185], v[170:171], v[182:183] op_sel:[0,0,1] op_sel_hi:[1,1,0] neg_lo:[0,0,1] neg_hi:[0,0,1]
	v_pk_fma_f32 v[182:183], v[184:185], v[170:171], v[182:183] op_sel:[0,0,1] op_sel_hi:[1,0,0]
	v_mov_b32_e32 v187, v183
	ds_load_2addr_b64 v[182:185], v222 offset0:58 offset1:59
	v_pk_add_f32 v[228:229], v[228:229], v[186:187] neg_lo:[0,1] neg_hi:[0,1]
	s_wait_dscnt 0x0
	v_pk_mul_f32 v[186:187], v[182:183], v[180:181] op_sel:[0,1]
	s_delay_alu instid0(VALU_DEP_1) | instskip(SKIP_1) | instid1(VALU_DEP_1)
	v_pk_fma_f32 v[196:197], v[182:183], v[170:171], v[186:187] op_sel:[0,0,1] op_sel_hi:[1,1,0] neg_lo:[0,0,1] neg_hi:[0,0,1]
	v_pk_fma_f32 v[182:183], v[182:183], v[170:171], v[186:187] op_sel:[0,0,1] op_sel_hi:[1,0,0]
	v_mov_b32_e32 v197, v183
	v_pk_mul_f32 v[182:183], v[184:185], v[180:181] op_sel:[0,1]
	s_delay_alu instid0(VALU_DEP_2) | instskip(NEXT) | instid1(VALU_DEP_2)
	v_pk_add_f32 v[234:235], v[234:235], v[196:197] neg_lo:[0,1] neg_hi:[0,1]
	v_pk_fma_f32 v[186:187], v[184:185], v[170:171], v[182:183] op_sel:[0,0,1] op_sel_hi:[1,1,0] neg_lo:[0,0,1] neg_hi:[0,0,1]
	v_pk_fma_f32 v[182:183], v[184:185], v[170:171], v[182:183] op_sel:[0,0,1] op_sel_hi:[1,0,0]
	s_delay_alu instid0(VALU_DEP_1) | instskip(SKIP_4) | instid1(VALU_DEP_1)
	v_mov_b32_e32 v187, v183
	ds_load_b64 v[182:183], v222 offset:480
	v_pk_add_f32 v[242:243], v[242:243], v[186:187] neg_lo:[0,1] neg_hi:[0,1]
	s_wait_dscnt 0x0
	v_pk_mul_f32 v[180:181], v[182:183], v[180:181] op_sel:[0,1]
	v_pk_fma_f32 v[184:185], v[182:183], v[170:171], v[180:181] op_sel:[0,0,1] op_sel_hi:[1,1,0] neg_lo:[0,0,1] neg_hi:[0,0,1]
	v_pk_fma_f32 v[170:171], v[182:183], v[170:171], v[180:181] op_sel:[0,0,1] op_sel_hi:[1,0,0]
	s_delay_alu instid0(VALU_DEP_1) | instskip(NEXT) | instid1(VALU_DEP_1)
	v_mov_b32_e32 v185, v171
	v_pk_add_f32 v[244:245], v[244:245], v[184:185] neg_lo:[0,1] neg_hi:[0,1]
.LBB121_433:
	s_or_b32 exec_lo, exec_lo, s1
	s_delay_alu instid0(SALU_CYCLE_1)
	s_mov_b32 s2, exec_lo
	s_wait_dscnt 0x0
	s_barrier_signal -1
	s_barrier_wait -1
	v_cmpx_eq_u32_e32 48, v220
	s_cbranch_execz .LBB121_440
; %bb.434:
	ds_store_b64 v221, v[216:217]
	ds_store_2addr_b64 v222, v[212:213], v[214:215] offset0:49 offset1:50
	ds_store_2addr_b64 v222, v[210:211], v[240:241] offset0:51 offset1:52
	;; [unrolled: 1-line block ×6, first 2 shown]
	ds_load_b64 v[170:171], v221
	s_wait_dscnt 0x0
	v_cmp_neq_f32_e32 vcc_lo, 0, v170
	v_cmp_neq_f32_e64 s1, 0, v171
	s_or_b32 s1, vcc_lo, s1
	s_delay_alu instid0(SALU_CYCLE_1)
	s_and_b32 exec_lo, exec_lo, s1
	s_cbranch_execz .LBB121_440
; %bb.435:
	v_cmp_ngt_f32_e64 s1, |v170|, |v171|
                                        ; implicit-def: $vgpr180_vgpr181
	s_and_saveexec_b32 s4, s1
	s_delay_alu instid0(SALU_CYCLE_1)
	s_xor_b32 s1, exec_lo, s4
	s_cbranch_execz .LBB121_437
; %bb.436:
	v_div_scale_f32 v180, null, v171, v171, v170
	v_div_scale_f32 v183, vcc_lo, v170, v171, v170
	s_delay_alu instid0(VALU_DEP_2) | instskip(SKIP_1) | instid1(TRANS32_DEP_1)
	v_rcp_f32_e32 v181, v180
	v_nop
	v_fma_f32 v182, -v180, v181, 1.0
	s_delay_alu instid0(VALU_DEP_1) | instskip(NEXT) | instid1(VALU_DEP_1)
	v_fmac_f32_e32 v181, v182, v181
	v_mul_f32_e32 v182, v183, v181
	s_delay_alu instid0(VALU_DEP_1) | instskip(NEXT) | instid1(VALU_DEP_1)
	v_fma_f32 v184, -v180, v182, v183
	v_fmac_f32_e32 v182, v184, v181
	s_delay_alu instid0(VALU_DEP_1) | instskip(NEXT) | instid1(VALU_DEP_1)
	v_fma_f32 v180, -v180, v182, v183
	v_div_fmas_f32 v180, v180, v181, v182
	s_delay_alu instid0(VALU_DEP_1) | instskip(NEXT) | instid1(VALU_DEP_1)
	v_div_fixup_f32 v180, v180, v171, v170
	v_fmac_f32_e32 v171, v170, v180
	s_delay_alu instid0(VALU_DEP_1) | instskip(SKIP_1) | instid1(VALU_DEP_2)
	v_div_scale_f32 v170, null, v171, v171, 1.0
	v_div_scale_f32 v183, vcc_lo, 1.0, v171, 1.0
	v_rcp_f32_e32 v181, v170
	v_nop
	s_delay_alu instid0(TRANS32_DEP_1) | instskip(NEXT) | instid1(VALU_DEP_1)
	v_fma_f32 v182, -v170, v181, 1.0
	v_fmac_f32_e32 v181, v182, v181
	s_delay_alu instid0(VALU_DEP_1) | instskip(NEXT) | instid1(VALU_DEP_1)
	v_mul_f32_e32 v182, v183, v181
	v_fma_f32 v184, -v170, v182, v183
	s_delay_alu instid0(VALU_DEP_1) | instskip(NEXT) | instid1(VALU_DEP_1)
	v_fmac_f32_e32 v182, v184, v181
	v_fma_f32 v170, -v170, v182, v183
	s_delay_alu instid0(VALU_DEP_1) | instskip(NEXT) | instid1(VALU_DEP_1)
	v_div_fmas_f32 v170, v170, v181, v182
	v_div_fixup_f32 v170, v170, v171, 1.0
	s_delay_alu instid0(VALU_DEP_1)
	v_mul_f32_e32 v180, v180, v170
	v_xor_b32_e32 v181, 0x80000000, v170
                                        ; implicit-def: $vgpr170_vgpr171
.LBB121_437:
	s_and_not1_saveexec_b32 s1, s1
	s_cbranch_execz .LBB121_439
; %bb.438:
	v_div_scale_f32 v180, null, v170, v170, v171
	v_div_scale_f32 v183, vcc_lo, v171, v170, v171
	s_delay_alu instid0(VALU_DEP_2) | instskip(SKIP_1) | instid1(TRANS32_DEP_1)
	v_rcp_f32_e32 v181, v180
	v_nop
	v_fma_f32 v182, -v180, v181, 1.0
	s_delay_alu instid0(VALU_DEP_1) | instskip(NEXT) | instid1(VALU_DEP_1)
	v_fmac_f32_e32 v181, v182, v181
	v_mul_f32_e32 v182, v183, v181
	s_delay_alu instid0(VALU_DEP_1) | instskip(NEXT) | instid1(VALU_DEP_1)
	v_fma_f32 v184, -v180, v182, v183
	v_fmac_f32_e32 v182, v184, v181
	s_delay_alu instid0(VALU_DEP_1) | instskip(NEXT) | instid1(VALU_DEP_1)
	v_fma_f32 v180, -v180, v182, v183
	v_div_fmas_f32 v180, v180, v181, v182
	s_delay_alu instid0(VALU_DEP_1) | instskip(NEXT) | instid1(VALU_DEP_1)
	v_div_fixup_f32 v181, v180, v170, v171
	v_fmac_f32_e32 v170, v171, v181
	s_delay_alu instid0(VALU_DEP_1) | instskip(NEXT) | instid1(VALU_DEP_1)
	v_div_scale_f32 v171, null, v170, v170, 1.0
	v_rcp_f32_e32 v180, v171
	v_nop
	s_delay_alu instid0(TRANS32_DEP_1) | instskip(NEXT) | instid1(VALU_DEP_1)
	v_fma_f32 v182, -v171, v180, 1.0
	v_fmac_f32_e32 v180, v182, v180
	v_div_scale_f32 v182, vcc_lo, 1.0, v170, 1.0
	s_delay_alu instid0(VALU_DEP_1) | instskip(NEXT) | instid1(VALU_DEP_1)
	v_mul_f32_e32 v183, v182, v180
	v_fma_f32 v184, -v171, v183, v182
	s_delay_alu instid0(VALU_DEP_1) | instskip(NEXT) | instid1(VALU_DEP_1)
	v_fmac_f32_e32 v183, v184, v180
	v_fma_f32 v171, -v171, v183, v182
	s_delay_alu instid0(VALU_DEP_1) | instskip(NEXT) | instid1(VALU_DEP_1)
	v_div_fmas_f32 v171, v171, v180, v183
	v_div_fixup_f32 v180, v171, v170, 1.0
	s_delay_alu instid0(VALU_DEP_1)
	v_mul_f32_e64 v181, v181, -v180
.LBB121_439:
	s_or_b32 exec_lo, exec_lo, s1
	ds_store_b64 v221, v[180:181]
.LBB121_440:
	s_or_b32 exec_lo, exec_lo, s2
	s_wait_dscnt 0x0
	s_barrier_signal -1
	s_barrier_wait -1
	ds_load_b64 v[170:171], v221
	s_mov_b32 s1, exec_lo
	v_cmpx_lt_u32_e32 48, v220
	s_cbranch_execz .LBB121_442
; %bb.441:
	ds_load_2addr_b64 v[184:187], v222 offset0:49 offset1:50
	s_wait_dscnt 0x1
	v_pk_mul_f32 v[182:183], v[170:171], v[216:217] op_sel:[1,1] op_sel_hi:[0,1]
	s_delay_alu instid0(VALU_DEP_1) | instskip(SKIP_1) | instid1(VALU_DEP_1)
	v_pk_fma_f32 v[180:181], v[170:171], v[216:217], v[182:183] op_sel_hi:[1,0,1] neg_lo:[0,0,1] neg_hi:[0,0,1]
	v_pk_fma_f32 v[182:183], v[170:171], v[216:217], v[182:183] op_sel_hi:[1,0,1]
	v_dual_mov_b32 v216, v180 :: v_dual_mov_b32 v217, v183
	s_wait_dscnt 0x0
	s_delay_alu instid0(VALU_DEP_2) | instskip(NEXT) | instid1(VALU_DEP_1)
	v_pk_mul_f32 v[196:197], v[184:185], v[182:183] op_sel:[0,1]
	v_pk_fma_f32 v[198:199], v[184:185], v[180:181], v[196:197] op_sel:[0,0,1] op_sel_hi:[1,1,0] neg_lo:[0,0,1] neg_hi:[0,0,1]
	v_pk_fma_f32 v[184:185], v[184:185], v[180:181], v[196:197] op_sel:[0,0,1] op_sel_hi:[1,0,0]
	s_delay_alu instid0(VALU_DEP_1) | instskip(SKIP_1) | instid1(VALU_DEP_1)
	v_mov_b32_e32 v199, v185
	v_pk_mul_f32 v[184:185], v[186:187], v[182:183] op_sel:[0,1]
	v_pk_fma_f32 v[196:197], v[186:187], v[180:181], v[184:185] op_sel:[0,0,1] op_sel_hi:[1,1,0] neg_lo:[0,0,1] neg_hi:[0,0,1]
	v_pk_fma_f32 v[184:185], v[186:187], v[180:181], v[184:185] op_sel:[0,0,1] op_sel_hi:[1,0,0]
	s_delay_alu instid0(VALU_DEP_1)
	v_mov_b32_e32 v197, v185
	ds_load_2addr_b64 v[184:187], v222 offset0:51 offset1:52
	v_pk_add_f32 v[212:213], v[212:213], v[198:199] neg_lo:[0,1] neg_hi:[0,1]
	v_pk_add_f32 v[214:215], v[214:215], v[196:197] neg_lo:[0,1] neg_hi:[0,1]
	s_wait_dscnt 0x0
	v_pk_mul_f32 v[196:197], v[184:185], v[182:183] op_sel:[0,1]
	s_delay_alu instid0(VALU_DEP_1) | instskip(SKIP_2) | instid1(VALU_DEP_2)
	v_pk_fma_f32 v[198:199], v[184:185], v[180:181], v[196:197] op_sel:[0,0,1] op_sel_hi:[1,1,0] neg_lo:[0,0,1] neg_hi:[0,0,1]
	v_pk_fma_f32 v[184:185], v[184:185], v[180:181], v[196:197] op_sel:[0,0,1] op_sel_hi:[1,0,0]
	v_dual_mul_f32 v196, v187, v183 :: v_dual_mov_b32 v184, v187
	v_dual_mov_b32 v199, v185 :: v_dual_mov_b32 v185, v186
	s_delay_alu instid0(VALU_DEP_2) | instskip(SKIP_1) | instid1(VALU_DEP_3)
	v_pk_fma_f32 v[196:197], v[186:187], v[216:217], v[196:197] op_sel_hi:[1,1,0] neg_lo:[0,0,1] neg_hi:[0,0,1]
	v_mul_f32_e32 v186, v187, v180
	v_pk_add_f32 v[210:211], v[210:211], v[198:199] neg_lo:[0,1] neg_hi:[0,1]
	s_delay_alu instid0(VALU_DEP_2) | instskip(NEXT) | instid1(VALU_DEP_1)
	v_pk_fma_f32 v[184:185], v[184:185], v[216:217], v[186:187] op_sel_hi:[1,1,0]
	v_mov_b32_e32 v197, v185
	ds_load_2addr_b64 v[184:187], v222 offset0:53 offset1:54
	v_pk_add_f32 v[240:241], v[240:241], v[196:197] neg_lo:[0,1] neg_hi:[0,1]
	s_wait_dscnt 0x0
	v_pk_mul_f32 v[196:197], v[184:185], v[182:183] op_sel:[0,1]
	s_delay_alu instid0(VALU_DEP_1) | instskip(SKIP_1) | instid1(VALU_DEP_1)
	v_pk_fma_f32 v[198:199], v[184:185], v[180:181], v[196:197] op_sel:[0,0,1] op_sel_hi:[1,1,0] neg_lo:[0,0,1] neg_hi:[0,0,1]
	v_pk_fma_f32 v[184:185], v[184:185], v[180:181], v[196:197] op_sel:[0,0,1] op_sel_hi:[1,0,0]
	v_mov_b32_e32 v199, v185
	v_pk_mul_f32 v[184:185], v[186:187], v[182:183] op_sel:[0,1]
	s_delay_alu instid0(VALU_DEP_1) | instskip(SKIP_1) | instid1(VALU_DEP_1)
	v_pk_fma_f32 v[196:197], v[186:187], v[180:181], v[184:185] op_sel:[0,0,1] op_sel_hi:[1,1,0] neg_lo:[0,0,1] neg_hi:[0,0,1]
	v_pk_fma_f32 v[184:185], v[186:187], v[180:181], v[184:185] op_sel:[0,0,1] op_sel_hi:[1,0,0]
	v_mov_b32_e32 v197, v185
	ds_load_2addr_b64 v[184:187], v222 offset0:55 offset1:56
	v_pk_add_f32 v[232:233], v[232:233], v[198:199] neg_lo:[0,1] neg_hi:[0,1]
	v_pk_add_f32 v[238:239], v[238:239], v[196:197] neg_lo:[0,1] neg_hi:[0,1]
	s_wait_dscnt 0x0
	v_pk_mul_f32 v[196:197], v[184:185], v[182:183] op_sel:[0,1]
	s_delay_alu instid0(VALU_DEP_1) | instskip(SKIP_1) | instid1(VALU_DEP_1)
	v_pk_fma_f32 v[198:199], v[184:185], v[180:181], v[196:197] op_sel:[0,0,1] op_sel_hi:[1,1,0] neg_lo:[0,0,1] neg_hi:[0,0,1]
	v_pk_fma_f32 v[184:185], v[184:185], v[180:181], v[196:197] op_sel:[0,0,1] op_sel_hi:[1,0,0]
	v_mov_b32_e32 v199, v185
	v_pk_mul_f32 v[184:185], v[186:187], v[182:183] op_sel:[0,1]
	s_delay_alu instid0(VALU_DEP_1) | instskip(SKIP_1) | instid1(VALU_DEP_1)
	v_pk_fma_f32 v[196:197], v[186:187], v[180:181], v[184:185] op_sel:[0,0,1] op_sel_hi:[1,1,0] neg_lo:[0,0,1] neg_hi:[0,0,1]
	v_pk_fma_f32 v[184:185], v[186:187], v[180:181], v[184:185] op_sel:[0,0,1] op_sel_hi:[1,0,0]
	v_mov_b32_e32 v197, v185
	ds_load_2addr_b64 v[184:187], v222 offset0:57 offset1:58
	v_pk_add_f32 v[230:231], v[230:231], v[198:199] neg_lo:[0,1] neg_hi:[0,1]
	v_pk_add_f32 v[236:237], v[236:237], v[196:197] neg_lo:[0,1] neg_hi:[0,1]
	s_wait_dscnt 0x0
	v_dual_mul_f32 v196, v185, v183 :: v_dual_mul_f32 v198, v185, v180
	s_delay_alu instid0(VALU_DEP_1) | instskip(NEXT) | instid1(VALU_DEP_2)
	v_pk_fma_f32 v[196:197], v[184:185], v[216:217], v[196:197] op_sel_hi:[1,1,0] neg_lo:[0,0,1] neg_hi:[0,0,1]
	v_pk_fma_f32 v[184:185], v[184:185], v[216:217], v[198:199] op_sel:[1,0,0] op_sel_hi:[0,1,0]
	s_delay_alu instid0(VALU_DEP_1) | instskip(SKIP_1) | instid1(VALU_DEP_2)
	v_mov_b32_e32 v197, v185
	v_pk_mul_f32 v[184:185], v[186:187], v[182:183] op_sel:[0,1]
	v_pk_add_f32 v[228:229], v[228:229], v[196:197] neg_lo:[0,1] neg_hi:[0,1]
	s_delay_alu instid0(VALU_DEP_2) | instskip(SKIP_1) | instid1(VALU_DEP_1)
	v_pk_fma_f32 v[196:197], v[186:187], v[180:181], v[184:185] op_sel:[0,0,1] op_sel_hi:[1,1,0] neg_lo:[0,0,1] neg_hi:[0,0,1]
	v_pk_fma_f32 v[184:185], v[186:187], v[180:181], v[184:185] op_sel:[0,0,1] op_sel_hi:[1,0,0]
	v_mov_b32_e32 v197, v185
	ds_load_2addr_b64 v[184:187], v222 offset0:59 offset1:60
	v_pk_add_f32 v[234:235], v[234:235], v[196:197] neg_lo:[0,1] neg_hi:[0,1]
	s_wait_dscnt 0x0
	v_pk_mul_f32 v[196:197], v[184:185], v[182:183] op_sel:[0,1]
	v_mul_f32_e32 v182, v187, v183
	s_delay_alu instid0(VALU_DEP_2) | instskip(SKIP_2) | instid1(VALU_DEP_4)
	v_pk_fma_f32 v[198:199], v[184:185], v[180:181], v[196:197] op_sel:[0,0,1] op_sel_hi:[1,1,0] neg_lo:[0,0,1] neg_hi:[0,0,1]
	v_pk_fma_f32 v[184:185], v[184:185], v[180:181], v[196:197] op_sel:[0,0,1] op_sel_hi:[1,0,0]
	v_dual_mov_b32 v184, v187 :: v_dual_mul_f32 v180, v187, v180
	v_pk_fma_f32 v[182:183], v[186:187], v[216:217], v[182:183] op_sel_hi:[1,1,0] neg_lo:[0,0,1] neg_hi:[0,0,1]
	s_delay_alu instid0(VALU_DEP_3) | instskip(NEXT) | instid1(VALU_DEP_1)
	v_dual_mov_b32 v199, v185 :: v_dual_mov_b32 v185, v186
	v_pk_add_f32 v[242:243], v[242:243], v[198:199] neg_lo:[0,1] neg_hi:[0,1]
	s_delay_alu instid0(VALU_DEP_2) | instskip(NEXT) | instid1(VALU_DEP_1)
	v_pk_fma_f32 v[180:181], v[184:185], v[216:217], v[180:181] op_sel_hi:[1,1,0]
	v_mov_b32_e32 v183, v181
	s_delay_alu instid0(VALU_DEP_1)
	v_pk_add_f32 v[244:245], v[244:245], v[182:183] neg_lo:[0,1] neg_hi:[0,1]
.LBB121_442:
	s_or_b32 exec_lo, exec_lo, s1
	s_delay_alu instid0(SALU_CYCLE_1)
	s_mov_b32 s2, exec_lo
	s_wait_dscnt 0x0
	s_barrier_signal -1
	s_barrier_wait -1
	v_cmpx_eq_u32_e32 49, v220
	s_cbranch_execz .LBB121_449
; %bb.443:
	v_dual_mov_b32 v180, v214 :: v_dual_mov_b32 v181, v215
	v_dual_mov_b32 v182, v210 :: v_dual_mov_b32 v183, v211
	ds_store_b64 v221, v[212:213]
	ds_store_2addr_b64 v222, v[180:181], v[182:183] offset0:50 offset1:51
	v_dual_mov_b32 v180, v240 :: v_dual_mov_b32 v181, v241
	v_dual_mov_b32 v182, v232 :: v_dual_mov_b32 v183, v233
	ds_store_2addr_b64 v222, v[180:181], v[182:183] offset0:52 offset1:53
	v_dual_mov_b32 v180, v238 :: v_dual_mov_b32 v181, v239
	v_dual_mov_b32 v182, v230 :: v_dual_mov_b32 v183, v231
	ds_store_2addr_b64 v222, v[180:181], v[182:183] offset0:54 offset1:55
	v_dual_mov_b32 v180, v236 :: v_dual_mov_b32 v181, v237
	v_dual_mov_b32 v182, v228 :: v_dual_mov_b32 v183, v229
	ds_store_2addr_b64 v222, v[180:181], v[182:183] offset0:56 offset1:57
	v_dual_mov_b32 v180, v234 :: v_dual_mov_b32 v181, v235
	v_dual_mov_b32 v182, v242 :: v_dual_mov_b32 v183, v243
	ds_store_2addr_b64 v222, v[180:181], v[182:183] offset0:58 offset1:59
	ds_store_b64 v222, v[244:245] offset:480
	ds_load_b64 v[180:181], v221
	s_wait_dscnt 0x0
	v_cmp_neq_f32_e32 vcc_lo, 0, v180
	v_cmp_neq_f32_e64 s1, 0, v181
	s_or_b32 s1, vcc_lo, s1
	s_delay_alu instid0(SALU_CYCLE_1)
	s_and_b32 exec_lo, exec_lo, s1
	s_cbranch_execz .LBB121_449
; %bb.444:
	v_cmp_ngt_f32_e64 s1, |v180|, |v181|
                                        ; implicit-def: $vgpr182_vgpr183
	s_and_saveexec_b32 s4, s1
	s_delay_alu instid0(SALU_CYCLE_1)
	s_xor_b32 s1, exec_lo, s4
	s_cbranch_execz .LBB121_446
; %bb.445:
	v_div_scale_f32 v182, null, v181, v181, v180
	v_div_scale_f32 v185, vcc_lo, v180, v181, v180
	s_delay_alu instid0(VALU_DEP_2) | instskip(SKIP_1) | instid1(TRANS32_DEP_1)
	v_rcp_f32_e32 v183, v182
	v_nop
	v_fma_f32 v184, -v182, v183, 1.0
	s_delay_alu instid0(VALU_DEP_1) | instskip(NEXT) | instid1(VALU_DEP_1)
	v_fmac_f32_e32 v183, v184, v183
	v_mul_f32_e32 v184, v185, v183
	s_delay_alu instid0(VALU_DEP_1) | instskip(NEXT) | instid1(VALU_DEP_1)
	v_fma_f32 v186, -v182, v184, v185
	v_fmac_f32_e32 v184, v186, v183
	s_delay_alu instid0(VALU_DEP_1) | instskip(NEXT) | instid1(VALU_DEP_1)
	v_fma_f32 v182, -v182, v184, v185
	v_div_fmas_f32 v182, v182, v183, v184
	s_delay_alu instid0(VALU_DEP_1) | instskip(NEXT) | instid1(VALU_DEP_1)
	v_div_fixup_f32 v182, v182, v181, v180
	v_fmac_f32_e32 v181, v180, v182
	s_delay_alu instid0(VALU_DEP_1) | instskip(SKIP_1) | instid1(VALU_DEP_2)
	v_div_scale_f32 v180, null, v181, v181, 1.0
	v_div_scale_f32 v185, vcc_lo, 1.0, v181, 1.0
	v_rcp_f32_e32 v183, v180
	v_nop
	s_delay_alu instid0(TRANS32_DEP_1) | instskip(NEXT) | instid1(VALU_DEP_1)
	v_fma_f32 v184, -v180, v183, 1.0
	v_fmac_f32_e32 v183, v184, v183
	s_delay_alu instid0(VALU_DEP_1) | instskip(NEXT) | instid1(VALU_DEP_1)
	v_mul_f32_e32 v184, v185, v183
	v_fma_f32 v186, -v180, v184, v185
	s_delay_alu instid0(VALU_DEP_1) | instskip(NEXT) | instid1(VALU_DEP_1)
	v_fmac_f32_e32 v184, v186, v183
	v_fma_f32 v180, -v180, v184, v185
	s_delay_alu instid0(VALU_DEP_1) | instskip(NEXT) | instid1(VALU_DEP_1)
	v_div_fmas_f32 v180, v180, v183, v184
	v_div_fixup_f32 v180, v180, v181, 1.0
	s_delay_alu instid0(VALU_DEP_1)
	v_mul_f32_e32 v182, v182, v180
	v_xor_b32_e32 v183, 0x80000000, v180
                                        ; implicit-def: $vgpr180_vgpr181
.LBB121_446:
	s_and_not1_saveexec_b32 s1, s1
	s_cbranch_execz .LBB121_448
; %bb.447:
	v_div_scale_f32 v182, null, v180, v180, v181
	v_div_scale_f32 v185, vcc_lo, v181, v180, v181
	s_delay_alu instid0(VALU_DEP_2) | instskip(SKIP_1) | instid1(TRANS32_DEP_1)
	v_rcp_f32_e32 v183, v182
	v_nop
	v_fma_f32 v184, -v182, v183, 1.0
	s_delay_alu instid0(VALU_DEP_1) | instskip(NEXT) | instid1(VALU_DEP_1)
	v_fmac_f32_e32 v183, v184, v183
	v_mul_f32_e32 v184, v185, v183
	s_delay_alu instid0(VALU_DEP_1) | instskip(NEXT) | instid1(VALU_DEP_1)
	v_fma_f32 v186, -v182, v184, v185
	v_fmac_f32_e32 v184, v186, v183
	s_delay_alu instid0(VALU_DEP_1) | instskip(NEXT) | instid1(VALU_DEP_1)
	v_fma_f32 v182, -v182, v184, v185
	v_div_fmas_f32 v182, v182, v183, v184
	s_delay_alu instid0(VALU_DEP_1) | instskip(NEXT) | instid1(VALU_DEP_1)
	v_div_fixup_f32 v183, v182, v180, v181
	v_fmac_f32_e32 v180, v181, v183
	s_delay_alu instid0(VALU_DEP_1) | instskip(NEXT) | instid1(VALU_DEP_1)
	v_div_scale_f32 v181, null, v180, v180, 1.0
	v_rcp_f32_e32 v182, v181
	v_nop
	s_delay_alu instid0(TRANS32_DEP_1) | instskip(NEXT) | instid1(VALU_DEP_1)
	v_fma_f32 v184, -v181, v182, 1.0
	v_fmac_f32_e32 v182, v184, v182
	v_div_scale_f32 v184, vcc_lo, 1.0, v180, 1.0
	s_delay_alu instid0(VALU_DEP_1) | instskip(NEXT) | instid1(VALU_DEP_1)
	v_mul_f32_e32 v185, v184, v182
	v_fma_f32 v186, -v181, v185, v184
	s_delay_alu instid0(VALU_DEP_1) | instskip(NEXT) | instid1(VALU_DEP_1)
	v_fmac_f32_e32 v185, v186, v182
	v_fma_f32 v181, -v181, v185, v184
	s_delay_alu instid0(VALU_DEP_1) | instskip(NEXT) | instid1(VALU_DEP_1)
	v_div_fmas_f32 v181, v181, v182, v185
	v_div_fixup_f32 v182, v181, v180, 1.0
	s_delay_alu instid0(VALU_DEP_1)
	v_mul_f32_e64 v183, v183, -v182
.LBB121_448:
	s_or_b32 exec_lo, exec_lo, s1
	ds_store_b64 v221, v[182:183]
.LBB121_449:
	s_or_b32 exec_lo, exec_lo, s2
	s_wait_dscnt 0x0
	s_barrier_signal -1
	s_barrier_wait -1
	ds_load_b64 v[180:181], v221
	s_mov_b32 s1, exec_lo
	v_cmpx_lt_u32_e32 49, v220
	s_cbranch_execz .LBB121_451
; %bb.450:
	ds_load_2addr_b64 v[196:199], v222 offset0:50 offset1:51
	s_wait_dscnt 0x1
	v_pk_mul_f32 v[184:185], v[180:181], v[212:213] op_sel:[1,1] op_sel_hi:[0,1]
	s_delay_alu instid0(VALU_DEP_1) | instskip(SKIP_1) | instid1(VALU_DEP_1)
	v_pk_fma_f32 v[182:183], v[180:181], v[212:213], v[184:185] op_sel_hi:[1,0,1] neg_lo:[0,0,1] neg_hi:[0,0,1]
	v_pk_fma_f32 v[184:185], v[180:181], v[212:213], v[184:185] op_sel_hi:[1,0,1]
	v_dual_mov_b32 v212, v182 :: v_dual_mov_b32 v213, v185
	s_wait_dscnt 0x0
	s_delay_alu instid0(VALU_DEP_2) | instskip(NEXT) | instid1(VALU_DEP_1)
	v_pk_mul_f32 v[186:187], v[196:197], v[184:185] op_sel:[0,1]
	v_pk_fma_f32 v[200:201], v[196:197], v[182:183], v[186:187] op_sel:[0,0,1] op_sel_hi:[1,1,0] neg_lo:[0,0,1] neg_hi:[0,0,1]
	v_pk_fma_f32 v[186:187], v[196:197], v[182:183], v[186:187] op_sel:[0,0,1] op_sel_hi:[1,0,0]
	s_delay_alu instid0(VALU_DEP_1) | instskip(SKIP_1) | instid1(VALU_DEP_1)
	v_mov_b32_e32 v201, v187
	v_pk_mul_f32 v[186:187], v[198:199], v[184:185] op_sel:[0,1]
	v_pk_fma_f32 v[196:197], v[198:199], v[182:183], v[186:187] op_sel:[0,0,1] op_sel_hi:[1,1,0] neg_lo:[0,0,1] neg_hi:[0,0,1]
	v_pk_fma_f32 v[186:187], v[198:199], v[182:183], v[186:187] op_sel:[0,0,1] op_sel_hi:[1,0,0]
	s_delay_alu instid0(VALU_DEP_1) | instskip(SKIP_1) | instid1(VALU_DEP_2)
	v_mov_b32_e32 v197, v187
	v_pk_add_f32 v[214:215], v[214:215], v[200:201] neg_lo:[0,1] neg_hi:[0,1]
	v_pk_add_f32 v[210:211], v[210:211], v[196:197] neg_lo:[0,1] neg_hi:[0,1]
	ds_load_2addr_b64 v[196:199], v222 offset0:52 offset1:53
	s_wait_dscnt 0x0
	v_pk_mul_f32 v[186:187], v[196:197], v[184:185] op_sel:[0,1]
	s_delay_alu instid0(VALU_DEP_1) | instskip(SKIP_2) | instid1(VALU_DEP_2)
	v_pk_fma_f32 v[200:201], v[196:197], v[182:183], v[186:187] op_sel:[0,0,1] op_sel_hi:[1,1,0] neg_lo:[0,0,1] neg_hi:[0,0,1]
	v_pk_fma_f32 v[186:187], v[196:197], v[182:183], v[186:187] op_sel:[0,0,1] op_sel_hi:[1,0,0]
	v_dual_mul_f32 v196, v199, v185 :: v_dual_mov_b32 v186, v199
	v_dual_mov_b32 v201, v187 :: v_dual_mov_b32 v187, v198
	s_delay_alu instid0(VALU_DEP_2) | instskip(SKIP_1) | instid1(VALU_DEP_3)
	v_pk_fma_f32 v[196:197], v[198:199], v[212:213], v[196:197] op_sel_hi:[1,1,0] neg_lo:[0,0,1] neg_hi:[0,0,1]
	v_mul_f32_e32 v198, v199, v182
	v_pk_add_f32 v[240:241], v[240:241], v[200:201] neg_lo:[0,1] neg_hi:[0,1]
	s_delay_alu instid0(VALU_DEP_2) | instskip(NEXT) | instid1(VALU_DEP_1)
	v_pk_fma_f32 v[186:187], v[186:187], v[212:213], v[198:199] op_sel_hi:[1,1,0]
	v_mov_b32_e32 v197, v187
	s_delay_alu instid0(VALU_DEP_1) | instskip(SKIP_3) | instid1(VALU_DEP_1)
	v_pk_add_f32 v[232:233], v[232:233], v[196:197] neg_lo:[0,1] neg_hi:[0,1]
	ds_load_2addr_b64 v[196:199], v222 offset0:54 offset1:55
	s_wait_dscnt 0x0
	v_pk_mul_f32 v[186:187], v[196:197], v[184:185] op_sel:[0,1]
	v_pk_fma_f32 v[200:201], v[196:197], v[182:183], v[186:187] op_sel:[0,0,1] op_sel_hi:[1,1,0] neg_lo:[0,0,1] neg_hi:[0,0,1]
	v_pk_fma_f32 v[186:187], v[196:197], v[182:183], v[186:187] op_sel:[0,0,1] op_sel_hi:[1,0,0]
	s_delay_alu instid0(VALU_DEP_1) | instskip(SKIP_1) | instid1(VALU_DEP_2)
	v_mov_b32_e32 v201, v187
	v_pk_mul_f32 v[186:187], v[198:199], v[184:185] op_sel:[0,1]
	v_pk_add_f32 v[238:239], v[238:239], v[200:201] neg_lo:[0,1] neg_hi:[0,1]
	s_delay_alu instid0(VALU_DEP_2) | instskip(SKIP_1) | instid1(VALU_DEP_1)
	v_pk_fma_f32 v[196:197], v[198:199], v[182:183], v[186:187] op_sel:[0,0,1] op_sel_hi:[1,1,0] neg_lo:[0,0,1] neg_hi:[0,0,1]
	v_pk_fma_f32 v[186:187], v[198:199], v[182:183], v[186:187] op_sel:[0,0,1] op_sel_hi:[1,0,0]
	v_mov_b32_e32 v197, v187
	s_delay_alu instid0(VALU_DEP_1) | instskip(SKIP_3) | instid1(VALU_DEP_1)
	v_pk_add_f32 v[230:231], v[230:231], v[196:197] neg_lo:[0,1] neg_hi:[0,1]
	ds_load_2addr_b64 v[196:199], v222 offset0:56 offset1:57
	s_wait_dscnt 0x0
	v_pk_mul_f32 v[186:187], v[196:197], v[184:185] op_sel:[0,1]
	v_pk_fma_f32 v[200:201], v[196:197], v[182:183], v[186:187] op_sel:[0,0,1] op_sel_hi:[1,1,0] neg_lo:[0,0,1] neg_hi:[0,0,1]
	v_pk_fma_f32 v[186:187], v[196:197], v[182:183], v[186:187] op_sel:[0,0,1] op_sel_hi:[1,0,0]
	s_delay_alu instid0(VALU_DEP_1) | instskip(SKIP_1) | instid1(VALU_DEP_2)
	v_mov_b32_e32 v201, v187
	v_pk_mul_f32 v[186:187], v[198:199], v[184:185] op_sel:[0,1]
	v_pk_add_f32 v[236:237], v[236:237], v[200:201] neg_lo:[0,1] neg_hi:[0,1]
	s_delay_alu instid0(VALU_DEP_2) | instskip(SKIP_1) | instid1(VALU_DEP_1)
	v_pk_fma_f32 v[196:197], v[198:199], v[182:183], v[186:187] op_sel:[0,0,1] op_sel_hi:[1,1,0] neg_lo:[0,0,1] neg_hi:[0,0,1]
	v_pk_fma_f32 v[186:187], v[198:199], v[182:183], v[186:187] op_sel:[0,0,1] op_sel_hi:[1,0,0]
	v_mov_b32_e32 v197, v187
	s_delay_alu instid0(VALU_DEP_1) | instskip(SKIP_3) | instid1(VALU_DEP_1)
	v_pk_add_f32 v[228:229], v[228:229], v[196:197] neg_lo:[0,1] neg_hi:[0,1]
	ds_load_2addr_b64 v[196:199], v222 offset0:58 offset1:59
	s_wait_dscnt 0x0
	v_dual_mul_f32 v186, v197, v185 :: v_dual_mul_f32 v200, v197, v182
	v_pk_fma_f32 v[186:187], v[196:197], v[212:213], v[186:187] op_sel_hi:[1,1,0] neg_lo:[0,0,1] neg_hi:[0,0,1]
	s_delay_alu instid0(VALU_DEP_2) | instskip(NEXT) | instid1(VALU_DEP_1)
	v_pk_fma_f32 v[196:197], v[196:197], v[212:213], v[200:201] op_sel:[1,0,0] op_sel_hi:[0,1,0]
	v_mov_b32_e32 v187, v197
	s_delay_alu instid0(VALU_DEP_1) | instskip(SKIP_1) | instid1(VALU_DEP_1)
	v_pk_add_f32 v[234:235], v[234:235], v[186:187] neg_lo:[0,1] neg_hi:[0,1]
	v_pk_mul_f32 v[186:187], v[198:199], v[184:185] op_sel:[0,1]
	v_pk_fma_f32 v[196:197], v[198:199], v[182:183], v[186:187] op_sel:[0,0,1] op_sel_hi:[1,1,0] neg_lo:[0,0,1] neg_hi:[0,0,1]
	v_pk_fma_f32 v[186:187], v[198:199], v[182:183], v[186:187] op_sel:[0,0,1] op_sel_hi:[1,0,0]
	s_delay_alu instid0(VALU_DEP_1) | instskip(SKIP_4) | instid1(VALU_DEP_1)
	v_mov_b32_e32 v197, v187
	ds_load_b64 v[186:187], v222 offset:480
	v_pk_add_f32 v[242:243], v[242:243], v[196:197] neg_lo:[0,1] neg_hi:[0,1]
	s_wait_dscnt 0x0
	v_pk_mul_f32 v[184:185], v[186:187], v[184:185] op_sel:[0,1]
	v_pk_fma_f32 v[196:197], v[186:187], v[182:183], v[184:185] op_sel:[0,0,1] op_sel_hi:[1,1,0] neg_lo:[0,0,1] neg_hi:[0,0,1]
	v_pk_fma_f32 v[182:183], v[186:187], v[182:183], v[184:185] op_sel:[0,0,1] op_sel_hi:[1,0,0]
	s_delay_alu instid0(VALU_DEP_1) | instskip(NEXT) | instid1(VALU_DEP_1)
	v_mov_b32_e32 v197, v183
	v_pk_add_f32 v[244:245], v[244:245], v[196:197] neg_lo:[0,1] neg_hi:[0,1]
.LBB121_451:
	s_or_b32 exec_lo, exec_lo, s1
	s_delay_alu instid0(SALU_CYCLE_1)
	s_mov_b32 s2, exec_lo
	s_wait_dscnt 0x0
	s_barrier_signal -1
	s_barrier_wait -1
	v_cmpx_eq_u32_e32 50, v220
	s_cbranch_execz .LBB121_458
; %bb.452:
	ds_store_b64 v221, v[214:215]
	ds_store_2addr_b64 v222, v[210:211], v[240:241] offset0:51 offset1:52
	ds_store_2addr_b64 v222, v[232:233], v[238:239] offset0:53 offset1:54
	;; [unrolled: 1-line block ×5, first 2 shown]
	ds_load_b64 v[182:183], v221
	s_wait_dscnt 0x0
	v_cmp_neq_f32_e32 vcc_lo, 0, v182
	v_cmp_neq_f32_e64 s1, 0, v183
	s_or_b32 s1, vcc_lo, s1
	s_delay_alu instid0(SALU_CYCLE_1)
	s_and_b32 exec_lo, exec_lo, s1
	s_cbranch_execz .LBB121_458
; %bb.453:
	v_cmp_ngt_f32_e64 s1, |v182|, |v183|
                                        ; implicit-def: $vgpr184_vgpr185
	s_and_saveexec_b32 s4, s1
	s_delay_alu instid0(SALU_CYCLE_1)
	s_xor_b32 s1, exec_lo, s4
	s_cbranch_execz .LBB121_455
; %bb.454:
	v_div_scale_f32 v184, null, v183, v183, v182
	v_div_scale_f32 v187, vcc_lo, v182, v183, v182
	s_delay_alu instid0(VALU_DEP_2) | instskip(SKIP_1) | instid1(TRANS32_DEP_1)
	v_rcp_f32_e32 v185, v184
	v_nop
	v_fma_f32 v186, -v184, v185, 1.0
	s_delay_alu instid0(VALU_DEP_1) | instskip(NEXT) | instid1(VALU_DEP_1)
	v_fmac_f32_e32 v185, v186, v185
	v_mul_f32_e32 v186, v187, v185
	s_delay_alu instid0(VALU_DEP_1) | instskip(NEXT) | instid1(VALU_DEP_1)
	v_fma_f32 v196, -v184, v186, v187
	v_fmac_f32_e32 v186, v196, v185
	s_delay_alu instid0(VALU_DEP_1) | instskip(NEXT) | instid1(VALU_DEP_1)
	v_fma_f32 v184, -v184, v186, v187
	v_div_fmas_f32 v184, v184, v185, v186
	s_delay_alu instid0(VALU_DEP_1) | instskip(NEXT) | instid1(VALU_DEP_1)
	v_div_fixup_f32 v184, v184, v183, v182
	v_fmac_f32_e32 v183, v182, v184
	s_delay_alu instid0(VALU_DEP_1) | instskip(SKIP_1) | instid1(VALU_DEP_2)
	v_div_scale_f32 v182, null, v183, v183, 1.0
	v_div_scale_f32 v187, vcc_lo, 1.0, v183, 1.0
	v_rcp_f32_e32 v185, v182
	v_nop
	s_delay_alu instid0(TRANS32_DEP_1) | instskip(NEXT) | instid1(VALU_DEP_1)
	v_fma_f32 v186, -v182, v185, 1.0
	v_fmac_f32_e32 v185, v186, v185
	s_delay_alu instid0(VALU_DEP_1) | instskip(NEXT) | instid1(VALU_DEP_1)
	v_mul_f32_e32 v186, v187, v185
	v_fma_f32 v196, -v182, v186, v187
	s_delay_alu instid0(VALU_DEP_1) | instskip(NEXT) | instid1(VALU_DEP_1)
	v_fmac_f32_e32 v186, v196, v185
	v_fma_f32 v182, -v182, v186, v187
	s_delay_alu instid0(VALU_DEP_1) | instskip(NEXT) | instid1(VALU_DEP_1)
	v_div_fmas_f32 v182, v182, v185, v186
	v_div_fixup_f32 v182, v182, v183, 1.0
	s_delay_alu instid0(VALU_DEP_1)
	v_mul_f32_e32 v184, v184, v182
	v_xor_b32_e32 v185, 0x80000000, v182
                                        ; implicit-def: $vgpr182_vgpr183
.LBB121_455:
	s_and_not1_saveexec_b32 s1, s1
	s_cbranch_execz .LBB121_457
; %bb.456:
	v_div_scale_f32 v184, null, v182, v182, v183
	v_div_scale_f32 v187, vcc_lo, v183, v182, v183
	s_delay_alu instid0(VALU_DEP_2) | instskip(SKIP_1) | instid1(TRANS32_DEP_1)
	v_rcp_f32_e32 v185, v184
	v_nop
	v_fma_f32 v186, -v184, v185, 1.0
	s_delay_alu instid0(VALU_DEP_1) | instskip(NEXT) | instid1(VALU_DEP_1)
	v_fmac_f32_e32 v185, v186, v185
	v_mul_f32_e32 v186, v187, v185
	s_delay_alu instid0(VALU_DEP_1) | instskip(NEXT) | instid1(VALU_DEP_1)
	v_fma_f32 v196, -v184, v186, v187
	v_fmac_f32_e32 v186, v196, v185
	s_delay_alu instid0(VALU_DEP_1) | instskip(NEXT) | instid1(VALU_DEP_1)
	v_fma_f32 v184, -v184, v186, v187
	v_div_fmas_f32 v184, v184, v185, v186
	s_delay_alu instid0(VALU_DEP_1) | instskip(NEXT) | instid1(VALU_DEP_1)
	v_div_fixup_f32 v185, v184, v182, v183
	v_fmac_f32_e32 v182, v183, v185
	s_delay_alu instid0(VALU_DEP_1) | instskip(NEXT) | instid1(VALU_DEP_1)
	v_div_scale_f32 v183, null, v182, v182, 1.0
	v_rcp_f32_e32 v184, v183
	v_nop
	s_delay_alu instid0(TRANS32_DEP_1) | instskip(NEXT) | instid1(VALU_DEP_1)
	v_fma_f32 v186, -v183, v184, 1.0
	v_fmac_f32_e32 v184, v186, v184
	v_div_scale_f32 v186, vcc_lo, 1.0, v182, 1.0
	s_delay_alu instid0(VALU_DEP_1) | instskip(NEXT) | instid1(VALU_DEP_1)
	v_mul_f32_e32 v187, v186, v184
	v_fma_f32 v196, -v183, v187, v186
	s_delay_alu instid0(VALU_DEP_1) | instskip(NEXT) | instid1(VALU_DEP_1)
	v_fmac_f32_e32 v187, v196, v184
	v_fma_f32 v183, -v183, v187, v186
	s_delay_alu instid0(VALU_DEP_1) | instskip(NEXT) | instid1(VALU_DEP_1)
	v_div_fmas_f32 v183, v183, v184, v187
	v_div_fixup_f32 v184, v183, v182, 1.0
	s_delay_alu instid0(VALU_DEP_1)
	v_mul_f32_e64 v185, v185, -v184
.LBB121_457:
	s_or_b32 exec_lo, exec_lo, s1
	ds_store_b64 v221, v[184:185]
.LBB121_458:
	s_or_b32 exec_lo, exec_lo, s2
	s_wait_dscnt 0x0
	s_barrier_signal -1
	s_barrier_wait -1
	ds_load_b64 v[182:183], v221
	s_mov_b32 s1, exec_lo
	v_cmpx_lt_u32_e32 50, v220
	s_cbranch_execz .LBB121_460
; %bb.459:
	ds_load_2addr_b64 v[196:199], v222 offset0:51 offset1:52
	s_wait_dscnt 0x1
	v_pk_mul_f32 v[186:187], v[182:183], v[214:215] op_sel:[1,1] op_sel_hi:[0,1]
	s_delay_alu instid0(VALU_DEP_1) | instskip(SKIP_1) | instid1(VALU_DEP_1)
	v_pk_fma_f32 v[184:185], v[182:183], v[214:215], v[186:187] op_sel_hi:[1,0,1] neg_lo:[0,0,1] neg_hi:[0,0,1]
	v_pk_fma_f32 v[186:187], v[182:183], v[214:215], v[186:187] op_sel_hi:[1,0,1]
	v_dual_mov_b32 v214, v184 :: v_dual_mov_b32 v215, v187
	s_wait_dscnt 0x0
	s_delay_alu instid0(VALU_DEP_2) | instskip(NEXT) | instid1(VALU_DEP_1)
	v_pk_mul_f32 v[200:201], v[196:197], v[186:187] op_sel:[0,1]
	v_pk_fma_f32 v[202:203], v[196:197], v[184:185], v[200:201] op_sel:[0,0,1] op_sel_hi:[1,1,0] neg_lo:[0,0,1] neg_hi:[0,0,1]
	v_pk_fma_f32 v[196:197], v[196:197], v[184:185], v[200:201] op_sel:[0,0,1] op_sel_hi:[1,0,0]
	s_delay_alu instid0(VALU_DEP_1) | instskip(SKIP_1) | instid1(VALU_DEP_1)
	v_mov_b32_e32 v203, v197
	v_pk_mul_f32 v[196:197], v[198:199], v[186:187] op_sel:[0,1]
	v_pk_fma_f32 v[200:201], v[198:199], v[184:185], v[196:197] op_sel:[0,0,1] op_sel_hi:[1,1,0] neg_lo:[0,0,1] neg_hi:[0,0,1]
	v_pk_fma_f32 v[196:197], v[198:199], v[184:185], v[196:197] op_sel:[0,0,1] op_sel_hi:[1,0,0]
	s_delay_alu instid0(VALU_DEP_1)
	v_mov_b32_e32 v201, v197
	ds_load_2addr_b64 v[196:199], v222 offset0:53 offset1:54
	v_pk_add_f32 v[210:211], v[210:211], v[202:203] neg_lo:[0,1] neg_hi:[0,1]
	v_pk_add_f32 v[240:241], v[240:241], v[200:201] neg_lo:[0,1] neg_hi:[0,1]
	s_wait_dscnt 0x0
	v_pk_mul_f32 v[200:201], v[196:197], v[186:187] op_sel:[0,1]
	s_delay_alu instid0(VALU_DEP_1) | instskip(SKIP_2) | instid1(VALU_DEP_2)
	v_pk_fma_f32 v[202:203], v[196:197], v[184:185], v[200:201] op_sel:[0,0,1] op_sel_hi:[1,1,0] neg_lo:[0,0,1] neg_hi:[0,0,1]
	v_pk_fma_f32 v[196:197], v[196:197], v[184:185], v[200:201] op_sel:[0,0,1] op_sel_hi:[1,0,0]
	v_dual_mul_f32 v200, v199, v187 :: v_dual_mov_b32 v196, v199
	v_dual_mov_b32 v203, v197 :: v_dual_mov_b32 v197, v198
	s_delay_alu instid0(VALU_DEP_2) | instskip(SKIP_1) | instid1(VALU_DEP_3)
	v_pk_fma_f32 v[200:201], v[198:199], v[214:215], v[200:201] op_sel_hi:[1,1,0] neg_lo:[0,0,1] neg_hi:[0,0,1]
	v_mul_f32_e32 v198, v199, v184
	v_pk_add_f32 v[232:233], v[232:233], v[202:203] neg_lo:[0,1] neg_hi:[0,1]
	s_delay_alu instid0(VALU_DEP_2) | instskip(NEXT) | instid1(VALU_DEP_1)
	v_pk_fma_f32 v[196:197], v[196:197], v[214:215], v[198:199] op_sel_hi:[1,1,0]
	v_mov_b32_e32 v201, v197
	ds_load_2addr_b64 v[196:199], v222 offset0:55 offset1:56
	v_pk_add_f32 v[238:239], v[238:239], v[200:201] neg_lo:[0,1] neg_hi:[0,1]
	s_wait_dscnt 0x0
	v_pk_mul_f32 v[200:201], v[196:197], v[186:187] op_sel:[0,1]
	s_delay_alu instid0(VALU_DEP_1) | instskip(SKIP_1) | instid1(VALU_DEP_1)
	v_pk_fma_f32 v[202:203], v[196:197], v[184:185], v[200:201] op_sel:[0,0,1] op_sel_hi:[1,1,0] neg_lo:[0,0,1] neg_hi:[0,0,1]
	v_pk_fma_f32 v[196:197], v[196:197], v[184:185], v[200:201] op_sel:[0,0,1] op_sel_hi:[1,0,0]
	v_mov_b32_e32 v203, v197
	v_pk_mul_f32 v[196:197], v[198:199], v[186:187] op_sel:[0,1]
	s_delay_alu instid0(VALU_DEP_1) | instskip(SKIP_1) | instid1(VALU_DEP_1)
	v_pk_fma_f32 v[200:201], v[198:199], v[184:185], v[196:197] op_sel:[0,0,1] op_sel_hi:[1,1,0] neg_lo:[0,0,1] neg_hi:[0,0,1]
	v_pk_fma_f32 v[196:197], v[198:199], v[184:185], v[196:197] op_sel:[0,0,1] op_sel_hi:[1,0,0]
	v_mov_b32_e32 v201, v197
	ds_load_2addr_b64 v[196:199], v222 offset0:57 offset1:58
	v_pk_add_f32 v[230:231], v[230:231], v[202:203] neg_lo:[0,1] neg_hi:[0,1]
	v_pk_add_f32 v[236:237], v[236:237], v[200:201] neg_lo:[0,1] neg_hi:[0,1]
	s_wait_dscnt 0x0
	v_pk_mul_f32 v[200:201], v[196:197], v[186:187] op_sel:[0,1]
	s_delay_alu instid0(VALU_DEP_1) | instskip(SKIP_1) | instid1(VALU_DEP_1)
	v_pk_fma_f32 v[202:203], v[196:197], v[184:185], v[200:201] op_sel:[0,0,1] op_sel_hi:[1,1,0] neg_lo:[0,0,1] neg_hi:[0,0,1]
	v_pk_fma_f32 v[196:197], v[196:197], v[184:185], v[200:201] op_sel:[0,0,1] op_sel_hi:[1,0,0]
	v_mov_b32_e32 v203, v197
	v_pk_mul_f32 v[196:197], v[198:199], v[186:187] op_sel:[0,1]
	s_delay_alu instid0(VALU_DEP_1) | instskip(SKIP_1) | instid1(VALU_DEP_1)
	v_pk_fma_f32 v[200:201], v[198:199], v[184:185], v[196:197] op_sel:[0,0,1] op_sel_hi:[1,1,0] neg_lo:[0,0,1] neg_hi:[0,0,1]
	v_pk_fma_f32 v[196:197], v[198:199], v[184:185], v[196:197] op_sel:[0,0,1] op_sel_hi:[1,0,0]
	v_mov_b32_e32 v201, v197
	ds_load_2addr_b64 v[196:199], v222 offset0:59 offset1:60
	v_pk_add_f32 v[228:229], v[228:229], v[202:203] neg_lo:[0,1] neg_hi:[0,1]
	v_pk_add_f32 v[234:235], v[234:235], v[200:201] neg_lo:[0,1] neg_hi:[0,1]
	s_wait_dscnt 0x0
	v_dual_mul_f32 v200, v197, v187 :: v_dual_mul_f32 v202, v197, v184
	v_pk_mul_f32 v[186:187], v[198:199], v[186:187] op_sel:[0,1]
	s_delay_alu instid0(VALU_DEP_2) | instskip(NEXT) | instid1(VALU_DEP_3)
	v_pk_fma_f32 v[200:201], v[196:197], v[214:215], v[200:201] op_sel_hi:[1,1,0] neg_lo:[0,0,1] neg_hi:[0,0,1]
	v_pk_fma_f32 v[196:197], v[196:197], v[214:215], v[202:203] op_sel:[1,0,0] op_sel_hi:[0,1,0]
	s_delay_alu instid0(VALU_DEP_1) | instskip(NEXT) | instid1(VALU_DEP_4)
	v_mov_b32_e32 v201, v197
	v_pk_fma_f32 v[196:197], v[198:199], v[184:185], v[186:187] op_sel:[0,0,1] op_sel_hi:[1,1,0] neg_lo:[0,0,1] neg_hi:[0,0,1]
	v_pk_fma_f32 v[184:185], v[198:199], v[184:185], v[186:187] op_sel:[0,0,1] op_sel_hi:[1,0,0]
	s_delay_alu instid0(VALU_DEP_1) | instskip(NEXT) | instid1(VALU_DEP_4)
	v_mov_b32_e32 v197, v185
	v_pk_add_f32 v[242:243], v[242:243], v[200:201] neg_lo:[0,1] neg_hi:[0,1]
	s_delay_alu instid0(VALU_DEP_2)
	v_pk_add_f32 v[244:245], v[244:245], v[196:197] neg_lo:[0,1] neg_hi:[0,1]
.LBB121_460:
	s_or_b32 exec_lo, exec_lo, s1
	s_delay_alu instid0(SALU_CYCLE_1)
	s_mov_b32 s2, exec_lo
	s_wait_dscnt 0x0
	s_barrier_signal -1
	s_barrier_wait -1
	v_cmpx_eq_u32_e32 51, v220
	s_cbranch_execz .LBB121_467
; %bb.461:
	v_dual_mov_b32 v184, v240 :: v_dual_mov_b32 v185, v241
	v_dual_mov_b32 v186, v232 :: v_dual_mov_b32 v187, v233
	ds_store_b64 v221, v[210:211]
	ds_store_2addr_b64 v222, v[184:185], v[186:187] offset0:52 offset1:53
	v_dual_mov_b32 v184, v238 :: v_dual_mov_b32 v185, v239
	v_dual_mov_b32 v186, v230 :: v_dual_mov_b32 v187, v231
	ds_store_2addr_b64 v222, v[184:185], v[186:187] offset0:54 offset1:55
	v_dual_mov_b32 v184, v236 :: v_dual_mov_b32 v185, v237
	v_dual_mov_b32 v186, v228 :: v_dual_mov_b32 v187, v229
	;; [unrolled: 3-line block ×3, first 2 shown]
	ds_store_2addr_b64 v222, v[184:185], v[186:187] offset0:58 offset1:59
	ds_store_b64 v222, v[244:245] offset:480
	ds_load_b64 v[184:185], v221
	s_wait_dscnt 0x0
	v_cmp_neq_f32_e32 vcc_lo, 0, v184
	v_cmp_neq_f32_e64 s1, 0, v185
	s_or_b32 s1, vcc_lo, s1
	s_delay_alu instid0(SALU_CYCLE_1)
	s_and_b32 exec_lo, exec_lo, s1
	s_cbranch_execz .LBB121_467
; %bb.462:
	v_cmp_ngt_f32_e64 s1, |v184|, |v185|
                                        ; implicit-def: $vgpr186_vgpr187
	s_and_saveexec_b32 s4, s1
	s_delay_alu instid0(SALU_CYCLE_1)
	s_xor_b32 s1, exec_lo, s4
	s_cbranch_execz .LBB121_464
; %bb.463:
	v_div_scale_f32 v186, null, v185, v185, v184
	v_div_scale_f32 v197, vcc_lo, v184, v185, v184
	s_delay_alu instid0(VALU_DEP_2) | instskip(SKIP_1) | instid1(TRANS32_DEP_1)
	v_rcp_f32_e32 v187, v186
	v_nop
	v_fma_f32 v196, -v186, v187, 1.0
	s_delay_alu instid0(VALU_DEP_1) | instskip(NEXT) | instid1(VALU_DEP_1)
	v_fmac_f32_e32 v187, v196, v187
	v_mul_f32_e32 v196, v197, v187
	s_delay_alu instid0(VALU_DEP_1) | instskip(NEXT) | instid1(VALU_DEP_1)
	v_fma_f32 v198, -v186, v196, v197
	v_fmac_f32_e32 v196, v198, v187
	s_delay_alu instid0(VALU_DEP_1) | instskip(NEXT) | instid1(VALU_DEP_1)
	v_fma_f32 v186, -v186, v196, v197
	v_div_fmas_f32 v186, v186, v187, v196
	s_delay_alu instid0(VALU_DEP_1) | instskip(NEXT) | instid1(VALU_DEP_1)
	v_div_fixup_f32 v186, v186, v185, v184
	v_fmac_f32_e32 v185, v184, v186
	s_delay_alu instid0(VALU_DEP_1) | instskip(SKIP_1) | instid1(VALU_DEP_2)
	v_div_scale_f32 v184, null, v185, v185, 1.0
	v_div_scale_f32 v197, vcc_lo, 1.0, v185, 1.0
	v_rcp_f32_e32 v187, v184
	v_nop
	s_delay_alu instid0(TRANS32_DEP_1) | instskip(NEXT) | instid1(VALU_DEP_1)
	v_fma_f32 v196, -v184, v187, 1.0
	v_fmac_f32_e32 v187, v196, v187
	s_delay_alu instid0(VALU_DEP_1) | instskip(NEXT) | instid1(VALU_DEP_1)
	v_mul_f32_e32 v196, v197, v187
	v_fma_f32 v198, -v184, v196, v197
	s_delay_alu instid0(VALU_DEP_1) | instskip(NEXT) | instid1(VALU_DEP_1)
	v_fmac_f32_e32 v196, v198, v187
	v_fma_f32 v184, -v184, v196, v197
	s_delay_alu instid0(VALU_DEP_1) | instskip(NEXT) | instid1(VALU_DEP_1)
	v_div_fmas_f32 v184, v184, v187, v196
	v_div_fixup_f32 v184, v184, v185, 1.0
	s_delay_alu instid0(VALU_DEP_1)
	v_mul_f32_e32 v186, v186, v184
	v_xor_b32_e32 v187, 0x80000000, v184
                                        ; implicit-def: $vgpr184_vgpr185
.LBB121_464:
	s_and_not1_saveexec_b32 s1, s1
	s_cbranch_execz .LBB121_466
; %bb.465:
	v_div_scale_f32 v186, null, v184, v184, v185
	v_div_scale_f32 v197, vcc_lo, v185, v184, v185
	s_delay_alu instid0(VALU_DEP_2) | instskip(SKIP_1) | instid1(TRANS32_DEP_1)
	v_rcp_f32_e32 v187, v186
	v_nop
	v_fma_f32 v196, -v186, v187, 1.0
	s_delay_alu instid0(VALU_DEP_1) | instskip(NEXT) | instid1(VALU_DEP_1)
	v_fmac_f32_e32 v187, v196, v187
	v_mul_f32_e32 v196, v197, v187
	s_delay_alu instid0(VALU_DEP_1) | instskip(NEXT) | instid1(VALU_DEP_1)
	v_fma_f32 v198, -v186, v196, v197
	v_fmac_f32_e32 v196, v198, v187
	s_delay_alu instid0(VALU_DEP_1) | instskip(NEXT) | instid1(VALU_DEP_1)
	v_fma_f32 v186, -v186, v196, v197
	v_div_fmas_f32 v186, v186, v187, v196
	s_delay_alu instid0(VALU_DEP_1) | instskip(NEXT) | instid1(VALU_DEP_1)
	v_div_fixup_f32 v187, v186, v184, v185
	v_fmac_f32_e32 v184, v185, v187
	s_delay_alu instid0(VALU_DEP_1) | instskip(NEXT) | instid1(VALU_DEP_1)
	v_div_scale_f32 v185, null, v184, v184, 1.0
	v_rcp_f32_e32 v186, v185
	v_nop
	s_delay_alu instid0(TRANS32_DEP_1) | instskip(NEXT) | instid1(VALU_DEP_1)
	v_fma_f32 v196, -v185, v186, 1.0
	v_fmac_f32_e32 v186, v196, v186
	v_div_scale_f32 v196, vcc_lo, 1.0, v184, 1.0
	s_delay_alu instid0(VALU_DEP_1) | instskip(NEXT) | instid1(VALU_DEP_1)
	v_mul_f32_e32 v197, v196, v186
	v_fma_f32 v198, -v185, v197, v196
	s_delay_alu instid0(VALU_DEP_1) | instskip(NEXT) | instid1(VALU_DEP_1)
	v_fmac_f32_e32 v197, v198, v186
	v_fma_f32 v185, -v185, v197, v196
	s_delay_alu instid0(VALU_DEP_1) | instskip(NEXT) | instid1(VALU_DEP_1)
	v_div_fmas_f32 v185, v185, v186, v197
	v_div_fixup_f32 v186, v185, v184, 1.0
	s_delay_alu instid0(VALU_DEP_1)
	v_mul_f32_e64 v187, v187, -v186
.LBB121_466:
	s_or_b32 exec_lo, exec_lo, s1
	ds_store_b64 v221, v[186:187]
.LBB121_467:
	s_or_b32 exec_lo, exec_lo, s2
	s_wait_dscnt 0x0
	s_barrier_signal -1
	s_barrier_wait -1
	ds_load_b64 v[184:185], v221
	s_mov_b32 s1, exec_lo
	v_cmpx_lt_u32_e32 51, v220
	s_cbranch_execz .LBB121_469
; %bb.468:
	ds_load_2addr_b64 v[198:201], v222 offset0:52 offset1:53
	s_wait_dscnt 0x1
	v_pk_mul_f32 v[196:197], v[184:185], v[210:211] op_sel:[1,1] op_sel_hi:[0,1]
	s_delay_alu instid0(VALU_DEP_1) | instskip(SKIP_1) | instid1(VALU_DEP_1)
	v_pk_fma_f32 v[186:187], v[184:185], v[210:211], v[196:197] op_sel_hi:[1,0,1] neg_lo:[0,0,1] neg_hi:[0,0,1]
	v_pk_fma_f32 v[196:197], v[184:185], v[210:211], v[196:197] op_sel_hi:[1,0,1]
	v_dual_mov_b32 v210, v186 :: v_dual_mov_b32 v211, v197
	s_wait_dscnt 0x0
	s_delay_alu instid0(VALU_DEP_2) | instskip(NEXT) | instid1(VALU_DEP_1)
	v_pk_mul_f32 v[202:203], v[198:199], v[196:197] op_sel:[0,1]
	v_pk_fma_f32 v[204:205], v[198:199], v[186:187], v[202:203] op_sel:[0,0,1] op_sel_hi:[1,1,0] neg_lo:[0,0,1] neg_hi:[0,0,1]
	v_pk_fma_f32 v[198:199], v[198:199], v[186:187], v[202:203] op_sel:[0,0,1] op_sel_hi:[1,0,0]
	s_delay_alu instid0(VALU_DEP_1) | instskip(SKIP_1) | instid1(VALU_DEP_1)
	v_mov_b32_e32 v205, v199
	v_pk_mul_f32 v[198:199], v[200:201], v[196:197] op_sel:[0,1]
	v_pk_fma_f32 v[202:203], v[200:201], v[186:187], v[198:199] op_sel:[0,0,1] op_sel_hi:[1,1,0] neg_lo:[0,0,1] neg_hi:[0,0,1]
	v_pk_fma_f32 v[198:199], v[200:201], v[186:187], v[198:199] op_sel:[0,0,1] op_sel_hi:[1,0,0]
	s_delay_alu instid0(VALU_DEP_1)
	v_mov_b32_e32 v203, v199
	ds_load_2addr_b64 v[198:201], v222 offset0:54 offset1:55
	v_pk_add_f32 v[240:241], v[240:241], v[204:205] neg_lo:[0,1] neg_hi:[0,1]
	v_pk_add_f32 v[232:233], v[232:233], v[202:203] neg_lo:[0,1] neg_hi:[0,1]
	s_wait_dscnt 0x0
	v_pk_mul_f32 v[202:203], v[198:199], v[196:197] op_sel:[0,1]
	s_delay_alu instid0(VALU_DEP_1) | instskip(SKIP_2) | instid1(VALU_DEP_2)
	v_pk_fma_f32 v[204:205], v[198:199], v[186:187], v[202:203] op_sel:[0,0,1] op_sel_hi:[1,1,0] neg_lo:[0,0,1] neg_hi:[0,0,1]
	v_pk_fma_f32 v[198:199], v[198:199], v[186:187], v[202:203] op_sel:[0,0,1] op_sel_hi:[1,0,0]
	v_dual_mul_f32 v202, v201, v197 :: v_dual_mov_b32 v198, v201
	v_dual_mov_b32 v205, v199 :: v_dual_mov_b32 v199, v200
	s_delay_alu instid0(VALU_DEP_2) | instskip(SKIP_1) | instid1(VALU_DEP_3)
	v_pk_fma_f32 v[202:203], v[200:201], v[210:211], v[202:203] op_sel_hi:[1,1,0] neg_lo:[0,0,1] neg_hi:[0,0,1]
	v_mul_f32_e32 v200, v201, v186
	v_pk_add_f32 v[238:239], v[238:239], v[204:205] neg_lo:[0,1] neg_hi:[0,1]
	s_delay_alu instid0(VALU_DEP_2) | instskip(NEXT) | instid1(VALU_DEP_1)
	v_pk_fma_f32 v[198:199], v[198:199], v[210:211], v[200:201] op_sel_hi:[1,1,0]
	v_mov_b32_e32 v203, v199
	ds_load_2addr_b64 v[198:201], v222 offset0:56 offset1:57
	v_pk_add_f32 v[230:231], v[230:231], v[202:203] neg_lo:[0,1] neg_hi:[0,1]
	s_wait_dscnt 0x0
	v_pk_mul_f32 v[202:203], v[198:199], v[196:197] op_sel:[0,1]
	s_delay_alu instid0(VALU_DEP_1) | instskip(SKIP_1) | instid1(VALU_DEP_1)
	v_pk_fma_f32 v[204:205], v[198:199], v[186:187], v[202:203] op_sel:[0,0,1] op_sel_hi:[1,1,0] neg_lo:[0,0,1] neg_hi:[0,0,1]
	v_pk_fma_f32 v[198:199], v[198:199], v[186:187], v[202:203] op_sel:[0,0,1] op_sel_hi:[1,0,0]
	v_mov_b32_e32 v205, v199
	v_pk_mul_f32 v[198:199], v[200:201], v[196:197] op_sel:[0,1]
	s_delay_alu instid0(VALU_DEP_1) | instskip(SKIP_1) | instid1(VALU_DEP_1)
	v_pk_fma_f32 v[202:203], v[200:201], v[186:187], v[198:199] op_sel:[0,0,1] op_sel_hi:[1,1,0] neg_lo:[0,0,1] neg_hi:[0,0,1]
	v_pk_fma_f32 v[198:199], v[200:201], v[186:187], v[198:199] op_sel:[0,0,1] op_sel_hi:[1,0,0]
	v_mov_b32_e32 v203, v199
	ds_load_2addr_b64 v[198:201], v222 offset0:58 offset1:59
	v_pk_add_f32 v[236:237], v[236:237], v[204:205] neg_lo:[0,1] neg_hi:[0,1]
	v_pk_add_f32 v[228:229], v[228:229], v[202:203] neg_lo:[0,1] neg_hi:[0,1]
	s_wait_dscnt 0x0
	v_pk_mul_f32 v[202:203], v[198:199], v[196:197] op_sel:[0,1]
	s_delay_alu instid0(VALU_DEP_1) | instskip(SKIP_1) | instid1(VALU_DEP_1)
	v_pk_fma_f32 v[204:205], v[198:199], v[186:187], v[202:203] op_sel:[0,0,1] op_sel_hi:[1,1,0] neg_lo:[0,0,1] neg_hi:[0,0,1]
	v_pk_fma_f32 v[198:199], v[198:199], v[186:187], v[202:203] op_sel:[0,0,1] op_sel_hi:[1,0,0]
	v_mov_b32_e32 v205, v199
	v_pk_mul_f32 v[198:199], v[200:201], v[196:197] op_sel:[0,1]
	s_delay_alu instid0(VALU_DEP_1) | instskip(SKIP_1) | instid1(VALU_DEP_1)
	v_pk_fma_f32 v[202:203], v[200:201], v[186:187], v[198:199] op_sel:[0,0,1] op_sel_hi:[1,1,0] neg_lo:[0,0,1] neg_hi:[0,0,1]
	v_pk_fma_f32 v[198:199], v[200:201], v[186:187], v[198:199] op_sel:[0,0,1] op_sel_hi:[1,0,0]
	v_mov_b32_e32 v203, v199
	ds_load_b64 v[198:199], v222 offset:480
	v_pk_add_f32 v[234:235], v[234:235], v[204:205] neg_lo:[0,1] neg_hi:[0,1]
	v_pk_add_f32 v[242:243], v[242:243], v[202:203] neg_lo:[0,1] neg_hi:[0,1]
	s_wait_dscnt 0x0
	v_pk_mul_f32 v[196:197], v[198:199], v[196:197] op_sel:[0,1]
	s_delay_alu instid0(VALU_DEP_1) | instskip(SKIP_1) | instid1(VALU_DEP_1)
	v_pk_fma_f32 v[200:201], v[198:199], v[186:187], v[196:197] op_sel:[0,0,1] op_sel_hi:[1,1,0] neg_lo:[0,0,1] neg_hi:[0,0,1]
	v_pk_fma_f32 v[186:187], v[198:199], v[186:187], v[196:197] op_sel:[0,0,1] op_sel_hi:[1,0,0]
	v_mov_b32_e32 v201, v187
	s_delay_alu instid0(VALU_DEP_1)
	v_pk_add_f32 v[244:245], v[244:245], v[200:201] neg_lo:[0,1] neg_hi:[0,1]
.LBB121_469:
	s_or_b32 exec_lo, exec_lo, s1
	s_delay_alu instid0(SALU_CYCLE_1)
	s_mov_b32 s2, exec_lo
	s_wait_dscnt 0x0
	s_barrier_signal -1
	s_barrier_wait -1
	v_cmpx_eq_u32_e32 52, v220
	s_cbranch_execz .LBB121_476
; %bb.470:
	ds_store_b64 v221, v[240:241]
	ds_store_2addr_b64 v222, v[232:233], v[238:239] offset0:53 offset1:54
	ds_store_2addr_b64 v222, v[230:231], v[236:237] offset0:55 offset1:56
	;; [unrolled: 1-line block ×4, first 2 shown]
	ds_load_b64 v[186:187], v221
	s_wait_dscnt 0x0
	v_cmp_neq_f32_e32 vcc_lo, 0, v186
	v_cmp_neq_f32_e64 s1, 0, v187
	s_or_b32 s1, vcc_lo, s1
	s_delay_alu instid0(SALU_CYCLE_1)
	s_and_b32 exec_lo, exec_lo, s1
	s_cbranch_execz .LBB121_476
; %bb.471:
	v_cmp_ngt_f32_e64 s1, |v186|, |v187|
                                        ; implicit-def: $vgpr196_vgpr197
	s_and_saveexec_b32 s4, s1
	s_delay_alu instid0(SALU_CYCLE_1)
	s_xor_b32 s1, exec_lo, s4
	s_cbranch_execz .LBB121_473
; %bb.472:
	v_div_scale_f32 v196, null, v187, v187, v186
	v_div_scale_f32 v199, vcc_lo, v186, v187, v186
	s_delay_alu instid0(VALU_DEP_2) | instskip(SKIP_1) | instid1(TRANS32_DEP_1)
	v_rcp_f32_e32 v197, v196
	v_nop
	v_fma_f32 v198, -v196, v197, 1.0
	s_delay_alu instid0(VALU_DEP_1) | instskip(NEXT) | instid1(VALU_DEP_1)
	v_fmac_f32_e32 v197, v198, v197
	v_mul_f32_e32 v198, v199, v197
	s_delay_alu instid0(VALU_DEP_1) | instskip(NEXT) | instid1(VALU_DEP_1)
	v_fma_f32 v200, -v196, v198, v199
	v_fmac_f32_e32 v198, v200, v197
	s_delay_alu instid0(VALU_DEP_1) | instskip(NEXT) | instid1(VALU_DEP_1)
	v_fma_f32 v196, -v196, v198, v199
	v_div_fmas_f32 v196, v196, v197, v198
	s_delay_alu instid0(VALU_DEP_1) | instskip(NEXT) | instid1(VALU_DEP_1)
	v_div_fixup_f32 v196, v196, v187, v186
	v_fmac_f32_e32 v187, v186, v196
	s_delay_alu instid0(VALU_DEP_1) | instskip(SKIP_1) | instid1(VALU_DEP_2)
	v_div_scale_f32 v186, null, v187, v187, 1.0
	v_div_scale_f32 v199, vcc_lo, 1.0, v187, 1.0
	v_rcp_f32_e32 v197, v186
	v_nop
	s_delay_alu instid0(TRANS32_DEP_1) | instskip(NEXT) | instid1(VALU_DEP_1)
	v_fma_f32 v198, -v186, v197, 1.0
	v_fmac_f32_e32 v197, v198, v197
	s_delay_alu instid0(VALU_DEP_1) | instskip(NEXT) | instid1(VALU_DEP_1)
	v_mul_f32_e32 v198, v199, v197
	v_fma_f32 v200, -v186, v198, v199
	s_delay_alu instid0(VALU_DEP_1) | instskip(NEXT) | instid1(VALU_DEP_1)
	v_fmac_f32_e32 v198, v200, v197
	v_fma_f32 v186, -v186, v198, v199
	s_delay_alu instid0(VALU_DEP_1) | instskip(NEXT) | instid1(VALU_DEP_1)
	v_div_fmas_f32 v186, v186, v197, v198
	v_div_fixup_f32 v186, v186, v187, 1.0
	s_delay_alu instid0(VALU_DEP_1)
	v_mul_f32_e32 v196, v196, v186
	v_xor_b32_e32 v197, 0x80000000, v186
                                        ; implicit-def: $vgpr186_vgpr187
.LBB121_473:
	s_and_not1_saveexec_b32 s1, s1
	s_cbranch_execz .LBB121_475
; %bb.474:
	v_div_scale_f32 v196, null, v186, v186, v187
	v_div_scale_f32 v199, vcc_lo, v187, v186, v187
	s_delay_alu instid0(VALU_DEP_2) | instskip(SKIP_1) | instid1(TRANS32_DEP_1)
	v_rcp_f32_e32 v197, v196
	v_nop
	v_fma_f32 v198, -v196, v197, 1.0
	s_delay_alu instid0(VALU_DEP_1) | instskip(NEXT) | instid1(VALU_DEP_1)
	v_fmac_f32_e32 v197, v198, v197
	v_mul_f32_e32 v198, v199, v197
	s_delay_alu instid0(VALU_DEP_1) | instskip(NEXT) | instid1(VALU_DEP_1)
	v_fma_f32 v200, -v196, v198, v199
	v_fmac_f32_e32 v198, v200, v197
	s_delay_alu instid0(VALU_DEP_1) | instskip(NEXT) | instid1(VALU_DEP_1)
	v_fma_f32 v196, -v196, v198, v199
	v_div_fmas_f32 v196, v196, v197, v198
	s_delay_alu instid0(VALU_DEP_1) | instskip(NEXT) | instid1(VALU_DEP_1)
	v_div_fixup_f32 v197, v196, v186, v187
	v_fmac_f32_e32 v186, v187, v197
	s_delay_alu instid0(VALU_DEP_1) | instskip(NEXT) | instid1(VALU_DEP_1)
	v_div_scale_f32 v187, null, v186, v186, 1.0
	v_rcp_f32_e32 v196, v187
	v_nop
	s_delay_alu instid0(TRANS32_DEP_1) | instskip(NEXT) | instid1(VALU_DEP_1)
	v_fma_f32 v198, -v187, v196, 1.0
	v_fmac_f32_e32 v196, v198, v196
	v_div_scale_f32 v198, vcc_lo, 1.0, v186, 1.0
	s_delay_alu instid0(VALU_DEP_1) | instskip(NEXT) | instid1(VALU_DEP_1)
	v_mul_f32_e32 v199, v198, v196
	v_fma_f32 v200, -v187, v199, v198
	s_delay_alu instid0(VALU_DEP_1) | instskip(NEXT) | instid1(VALU_DEP_1)
	v_fmac_f32_e32 v199, v200, v196
	v_fma_f32 v187, -v187, v199, v198
	s_delay_alu instid0(VALU_DEP_1) | instskip(NEXT) | instid1(VALU_DEP_1)
	v_div_fmas_f32 v187, v187, v196, v199
	v_div_fixup_f32 v196, v187, v186, 1.0
	s_delay_alu instid0(VALU_DEP_1)
	v_mul_f32_e64 v197, v197, -v196
.LBB121_475:
	s_or_b32 exec_lo, exec_lo, s1
	ds_store_b64 v221, v[196:197]
.LBB121_476:
	s_or_b32 exec_lo, exec_lo, s2
	s_wait_dscnt 0x0
	s_barrier_signal -1
	s_barrier_wait -1
	ds_load_b64 v[186:187], v221
	s_mov_b32 s1, exec_lo
	v_cmpx_lt_u32_e32 52, v220
	s_cbranch_execz .LBB121_478
; %bb.477:
	ds_load_2addr_b64 v[200:203], v222 offset0:53 offset1:54
	s_wait_dscnt 0x1
	v_pk_mul_f32 v[198:199], v[186:187], v[240:241] op_sel:[1,1] op_sel_hi:[0,1]
	s_delay_alu instid0(VALU_DEP_1) | instskip(SKIP_1) | instid1(VALU_DEP_1)
	v_pk_fma_f32 v[196:197], v[186:187], v[240:241], v[198:199] op_sel_hi:[1,0,1] neg_lo:[0,0,1] neg_hi:[0,0,1]
	v_pk_fma_f32 v[198:199], v[186:187], v[240:241], v[198:199] op_sel_hi:[1,0,1]
	v_dual_mov_b32 v240, v196 :: v_dual_mov_b32 v241, v199
	s_wait_dscnt 0x0
	s_delay_alu instid0(VALU_DEP_2) | instskip(NEXT) | instid1(VALU_DEP_1)
	v_pk_mul_f32 v[204:205], v[200:201], v[198:199] op_sel:[0,1]
	v_pk_fma_f32 v[206:207], v[200:201], v[196:197], v[204:205] op_sel:[0,0,1] op_sel_hi:[1,1,0] neg_lo:[0,0,1] neg_hi:[0,0,1]
	v_pk_fma_f32 v[200:201], v[200:201], v[196:197], v[204:205] op_sel:[0,0,1] op_sel_hi:[1,0,0]
	s_delay_alu instid0(VALU_DEP_1) | instskip(SKIP_1) | instid1(VALU_DEP_1)
	v_mov_b32_e32 v207, v201
	v_pk_mul_f32 v[200:201], v[202:203], v[198:199] op_sel:[0,1]
	v_pk_fma_f32 v[204:205], v[202:203], v[196:197], v[200:201] op_sel:[0,0,1] op_sel_hi:[1,1,0] neg_lo:[0,0,1] neg_hi:[0,0,1]
	v_pk_fma_f32 v[200:201], v[202:203], v[196:197], v[200:201] op_sel:[0,0,1] op_sel_hi:[1,0,0]
	s_delay_alu instid0(VALU_DEP_1)
	v_mov_b32_e32 v205, v201
	ds_load_2addr_b64 v[200:203], v222 offset0:55 offset1:56
	v_pk_add_f32 v[232:233], v[232:233], v[206:207] neg_lo:[0,1] neg_hi:[0,1]
	v_pk_add_f32 v[238:239], v[238:239], v[204:205] neg_lo:[0,1] neg_hi:[0,1]
	s_wait_dscnt 0x0
	v_pk_mul_f32 v[204:205], v[200:201], v[198:199] op_sel:[0,1]
	s_delay_alu instid0(VALU_DEP_1) | instskip(SKIP_2) | instid1(VALU_DEP_2)
	v_pk_fma_f32 v[206:207], v[200:201], v[196:197], v[204:205] op_sel:[0,0,1] op_sel_hi:[1,1,0] neg_lo:[0,0,1] neg_hi:[0,0,1]
	v_pk_fma_f32 v[200:201], v[200:201], v[196:197], v[204:205] op_sel:[0,0,1] op_sel_hi:[1,0,0]
	v_dual_mul_f32 v204, v203, v199 :: v_dual_mov_b32 v200, v203
	v_dual_mov_b32 v207, v201 :: v_dual_mov_b32 v201, v202
	s_delay_alu instid0(VALU_DEP_2) | instskip(SKIP_1) | instid1(VALU_DEP_3)
	v_pk_fma_f32 v[204:205], v[202:203], v[240:241], v[204:205] op_sel_hi:[1,1,0] neg_lo:[0,0,1] neg_hi:[0,0,1]
	v_mul_f32_e32 v202, v203, v196
	v_pk_add_f32 v[230:231], v[230:231], v[206:207] neg_lo:[0,1] neg_hi:[0,1]
	s_delay_alu instid0(VALU_DEP_2) | instskip(NEXT) | instid1(VALU_DEP_1)
	v_pk_fma_f32 v[200:201], v[200:201], v[240:241], v[202:203] op_sel_hi:[1,1,0]
	v_mov_b32_e32 v205, v201
	ds_load_2addr_b64 v[200:203], v222 offset0:57 offset1:58
	v_pk_add_f32 v[236:237], v[236:237], v[204:205] neg_lo:[0,1] neg_hi:[0,1]
	s_wait_dscnt 0x0
	v_pk_mul_f32 v[204:205], v[200:201], v[198:199] op_sel:[0,1]
	s_delay_alu instid0(VALU_DEP_1) | instskip(SKIP_1) | instid1(VALU_DEP_1)
	v_pk_fma_f32 v[206:207], v[200:201], v[196:197], v[204:205] op_sel:[0,0,1] op_sel_hi:[1,1,0] neg_lo:[0,0,1] neg_hi:[0,0,1]
	v_pk_fma_f32 v[200:201], v[200:201], v[196:197], v[204:205] op_sel:[0,0,1] op_sel_hi:[1,0,0]
	v_mov_b32_e32 v207, v201
	v_pk_mul_f32 v[200:201], v[202:203], v[198:199] op_sel:[0,1]
	s_delay_alu instid0(VALU_DEP_1) | instskip(SKIP_1) | instid1(VALU_DEP_1)
	v_pk_fma_f32 v[204:205], v[202:203], v[196:197], v[200:201] op_sel:[0,0,1] op_sel_hi:[1,1,0] neg_lo:[0,0,1] neg_hi:[0,0,1]
	v_pk_fma_f32 v[200:201], v[202:203], v[196:197], v[200:201] op_sel:[0,0,1] op_sel_hi:[1,0,0]
	v_mov_b32_e32 v205, v201
	ds_load_2addr_b64 v[200:203], v222 offset0:59 offset1:60
	v_pk_add_f32 v[228:229], v[228:229], v[206:207] neg_lo:[0,1] neg_hi:[0,1]
	v_pk_add_f32 v[234:235], v[234:235], v[204:205] neg_lo:[0,1] neg_hi:[0,1]
	s_wait_dscnt 0x0
	v_pk_mul_f32 v[204:205], v[200:201], v[198:199] op_sel:[0,1]
	v_pk_mul_f32 v[198:199], v[202:203], v[198:199] op_sel:[0,1]
	s_delay_alu instid0(VALU_DEP_2) | instskip(SKIP_1) | instid1(VALU_DEP_1)
	v_pk_fma_f32 v[206:207], v[200:201], v[196:197], v[204:205] op_sel:[0,0,1] op_sel_hi:[1,1,0] neg_lo:[0,0,1] neg_hi:[0,0,1]
	v_pk_fma_f32 v[200:201], v[200:201], v[196:197], v[204:205] op_sel:[0,0,1] op_sel_hi:[1,0,0]
	v_mov_b32_e32 v207, v201
	s_delay_alu instid0(VALU_DEP_4) | instskip(SKIP_1) | instid1(VALU_DEP_1)
	v_pk_fma_f32 v[200:201], v[202:203], v[196:197], v[198:199] op_sel:[0,0,1] op_sel_hi:[1,1,0] neg_lo:[0,0,1] neg_hi:[0,0,1]
	v_pk_fma_f32 v[196:197], v[202:203], v[196:197], v[198:199] op_sel:[0,0,1] op_sel_hi:[1,0,0]
	v_mov_b32_e32 v201, v197
	s_delay_alu instid0(VALU_DEP_4) | instskip(NEXT) | instid1(VALU_DEP_2)
	v_pk_add_f32 v[242:243], v[242:243], v[206:207] neg_lo:[0,1] neg_hi:[0,1]
	v_pk_add_f32 v[244:245], v[244:245], v[200:201] neg_lo:[0,1] neg_hi:[0,1]
.LBB121_478:
	s_or_b32 exec_lo, exec_lo, s1
	s_delay_alu instid0(SALU_CYCLE_1)
	s_mov_b32 s2, exec_lo
	s_wait_dscnt 0x0
	s_barrier_signal -1
	s_barrier_wait -1
	v_cmpx_eq_u32_e32 53, v220
	s_cbranch_execz .LBB121_485
; %bb.479:
	v_dual_mov_b32 v196, v238 :: v_dual_mov_b32 v197, v239
	v_dual_mov_b32 v198, v230 :: v_dual_mov_b32 v199, v231
	ds_store_b64 v221, v[232:233]
	ds_store_2addr_b64 v222, v[196:197], v[198:199] offset0:54 offset1:55
	v_dual_mov_b32 v196, v236 :: v_dual_mov_b32 v197, v237
	v_dual_mov_b32 v198, v228 :: v_dual_mov_b32 v199, v229
	ds_store_2addr_b64 v222, v[196:197], v[198:199] offset0:56 offset1:57
	v_dual_mov_b32 v196, v234 :: v_dual_mov_b32 v197, v235
	v_dual_mov_b32 v198, v242 :: v_dual_mov_b32 v199, v243
	ds_store_2addr_b64 v222, v[196:197], v[198:199] offset0:58 offset1:59
	ds_store_b64 v222, v[244:245] offset:480
	ds_load_b64 v[196:197], v221
	s_wait_dscnt 0x0
	v_cmp_neq_f32_e32 vcc_lo, 0, v196
	v_cmp_neq_f32_e64 s1, 0, v197
	s_or_b32 s1, vcc_lo, s1
	s_delay_alu instid0(SALU_CYCLE_1)
	s_and_b32 exec_lo, exec_lo, s1
	s_cbranch_execz .LBB121_485
; %bb.480:
	v_cmp_ngt_f32_e64 s1, |v196|, |v197|
                                        ; implicit-def: $vgpr198_vgpr199
	s_and_saveexec_b32 s4, s1
	s_delay_alu instid0(SALU_CYCLE_1)
	s_xor_b32 s1, exec_lo, s4
	s_cbranch_execz .LBB121_482
; %bb.481:
	v_div_scale_f32 v198, null, v197, v197, v196
	v_div_scale_f32 v201, vcc_lo, v196, v197, v196
	s_delay_alu instid0(VALU_DEP_2) | instskip(SKIP_1) | instid1(TRANS32_DEP_1)
	v_rcp_f32_e32 v199, v198
	v_nop
	v_fma_f32 v200, -v198, v199, 1.0
	s_delay_alu instid0(VALU_DEP_1) | instskip(NEXT) | instid1(VALU_DEP_1)
	v_fmac_f32_e32 v199, v200, v199
	v_mul_f32_e32 v200, v201, v199
	s_delay_alu instid0(VALU_DEP_1) | instskip(NEXT) | instid1(VALU_DEP_1)
	v_fma_f32 v202, -v198, v200, v201
	v_fmac_f32_e32 v200, v202, v199
	s_delay_alu instid0(VALU_DEP_1) | instskip(NEXT) | instid1(VALU_DEP_1)
	v_fma_f32 v198, -v198, v200, v201
	v_div_fmas_f32 v198, v198, v199, v200
	s_delay_alu instid0(VALU_DEP_1) | instskip(NEXT) | instid1(VALU_DEP_1)
	v_div_fixup_f32 v198, v198, v197, v196
	v_fmac_f32_e32 v197, v196, v198
	s_delay_alu instid0(VALU_DEP_1) | instskip(SKIP_1) | instid1(VALU_DEP_2)
	v_div_scale_f32 v196, null, v197, v197, 1.0
	v_div_scale_f32 v201, vcc_lo, 1.0, v197, 1.0
	v_rcp_f32_e32 v199, v196
	v_nop
	s_delay_alu instid0(TRANS32_DEP_1) | instskip(NEXT) | instid1(VALU_DEP_1)
	v_fma_f32 v200, -v196, v199, 1.0
	v_fmac_f32_e32 v199, v200, v199
	s_delay_alu instid0(VALU_DEP_1) | instskip(NEXT) | instid1(VALU_DEP_1)
	v_mul_f32_e32 v200, v201, v199
	v_fma_f32 v202, -v196, v200, v201
	s_delay_alu instid0(VALU_DEP_1) | instskip(NEXT) | instid1(VALU_DEP_1)
	v_fmac_f32_e32 v200, v202, v199
	v_fma_f32 v196, -v196, v200, v201
	s_delay_alu instid0(VALU_DEP_1) | instskip(NEXT) | instid1(VALU_DEP_1)
	v_div_fmas_f32 v196, v196, v199, v200
	v_div_fixup_f32 v196, v196, v197, 1.0
	s_delay_alu instid0(VALU_DEP_1)
	v_mul_f32_e32 v198, v198, v196
	v_xor_b32_e32 v199, 0x80000000, v196
                                        ; implicit-def: $vgpr196_vgpr197
.LBB121_482:
	s_and_not1_saveexec_b32 s1, s1
	s_cbranch_execz .LBB121_484
; %bb.483:
	v_div_scale_f32 v198, null, v196, v196, v197
	v_div_scale_f32 v201, vcc_lo, v197, v196, v197
	s_delay_alu instid0(VALU_DEP_2) | instskip(SKIP_1) | instid1(TRANS32_DEP_1)
	v_rcp_f32_e32 v199, v198
	v_nop
	v_fma_f32 v200, -v198, v199, 1.0
	s_delay_alu instid0(VALU_DEP_1) | instskip(NEXT) | instid1(VALU_DEP_1)
	v_fmac_f32_e32 v199, v200, v199
	v_mul_f32_e32 v200, v201, v199
	s_delay_alu instid0(VALU_DEP_1) | instskip(NEXT) | instid1(VALU_DEP_1)
	v_fma_f32 v202, -v198, v200, v201
	v_fmac_f32_e32 v200, v202, v199
	s_delay_alu instid0(VALU_DEP_1) | instskip(NEXT) | instid1(VALU_DEP_1)
	v_fma_f32 v198, -v198, v200, v201
	v_div_fmas_f32 v198, v198, v199, v200
	s_delay_alu instid0(VALU_DEP_1) | instskip(NEXT) | instid1(VALU_DEP_1)
	v_div_fixup_f32 v199, v198, v196, v197
	v_fmac_f32_e32 v196, v197, v199
	s_delay_alu instid0(VALU_DEP_1) | instskip(NEXT) | instid1(VALU_DEP_1)
	v_div_scale_f32 v197, null, v196, v196, 1.0
	v_rcp_f32_e32 v198, v197
	v_nop
	s_delay_alu instid0(TRANS32_DEP_1) | instskip(NEXT) | instid1(VALU_DEP_1)
	v_fma_f32 v200, -v197, v198, 1.0
	v_fmac_f32_e32 v198, v200, v198
	v_div_scale_f32 v200, vcc_lo, 1.0, v196, 1.0
	s_delay_alu instid0(VALU_DEP_1) | instskip(NEXT) | instid1(VALU_DEP_1)
	v_mul_f32_e32 v201, v200, v198
	v_fma_f32 v202, -v197, v201, v200
	s_delay_alu instid0(VALU_DEP_1) | instskip(NEXT) | instid1(VALU_DEP_1)
	v_fmac_f32_e32 v201, v202, v198
	v_fma_f32 v197, -v197, v201, v200
	s_delay_alu instid0(VALU_DEP_1) | instskip(NEXT) | instid1(VALU_DEP_1)
	v_div_fmas_f32 v197, v197, v198, v201
	v_div_fixup_f32 v198, v197, v196, 1.0
	s_delay_alu instid0(VALU_DEP_1)
	v_mul_f32_e64 v199, v199, -v198
.LBB121_484:
	s_or_b32 exec_lo, exec_lo, s1
	ds_store_b64 v221, v[198:199]
.LBB121_485:
	s_or_b32 exec_lo, exec_lo, s2
	s_wait_dscnt 0x0
	s_barrier_signal -1
	s_barrier_wait -1
	ds_load_b64 v[196:197], v221
	s_mov_b32 s1, exec_lo
	v_cmpx_lt_u32_e32 53, v220
	s_cbranch_execz .LBB121_487
; %bb.486:
	s_wait_dscnt 0x0
	v_pk_mul_f32 v[200:201], v[196:197], v[232:233] op_sel:[1,1] op_sel_hi:[0,1]
	s_delay_alu instid0(VALU_DEP_1)
	v_pk_fma_f32 v[198:199], v[196:197], v[232:233], v[200:201] op_sel_hi:[1,0,1] neg_lo:[0,0,1] neg_hi:[0,0,1]
	v_pk_fma_f32 v[204:205], v[196:197], v[232:233], v[200:201] op_sel_hi:[1,0,1]
	ds_load_2addr_b64 v[200:203], v222 offset0:54 offset1:55
	v_dual_mov_b32 v232, v198 :: v_dual_mov_b32 v233, v205
	s_wait_dscnt 0x0
	v_pk_mul_f32 v[206:207], v[200:201], v[204:205] op_sel:[0,1]
	s_delay_alu instid0(VALU_DEP_1) | instskip(SKIP_1) | instid1(VALU_DEP_1)
	v_pk_fma_f32 v[208:209], v[200:201], v[198:199], v[206:207] op_sel:[0,0,1] op_sel_hi:[1,1,0] neg_lo:[0,0,1] neg_hi:[0,0,1]
	v_pk_fma_f32 v[200:201], v[200:201], v[198:199], v[206:207] op_sel:[0,0,1] op_sel_hi:[1,0,0]
	v_mov_b32_e32 v209, v201
	v_pk_mul_f32 v[200:201], v[202:203], v[204:205] op_sel:[0,1]
	s_delay_alu instid0(VALU_DEP_1) | instskip(SKIP_1) | instid1(VALU_DEP_1)
	v_pk_fma_f32 v[206:207], v[202:203], v[198:199], v[200:201] op_sel:[0,0,1] op_sel_hi:[1,1,0] neg_lo:[0,0,1] neg_hi:[0,0,1]
	v_pk_fma_f32 v[200:201], v[202:203], v[198:199], v[200:201] op_sel:[0,0,1] op_sel_hi:[1,0,0]
	v_mov_b32_e32 v207, v201
	ds_load_2addr_b64 v[200:203], v222 offset0:56 offset1:57
	v_pk_add_f32 v[238:239], v[238:239], v[208:209] neg_lo:[0,1] neg_hi:[0,1]
	v_pk_add_f32 v[230:231], v[230:231], v[206:207] neg_lo:[0,1] neg_hi:[0,1]
	s_wait_dscnt 0x0
	v_pk_mul_f32 v[206:207], v[200:201], v[204:205] op_sel:[0,1]
	s_delay_alu instid0(VALU_DEP_1) | instskip(SKIP_2) | instid1(VALU_DEP_2)
	v_pk_fma_f32 v[208:209], v[200:201], v[198:199], v[206:207] op_sel:[0,0,1] op_sel_hi:[1,1,0] neg_lo:[0,0,1] neg_hi:[0,0,1]
	v_pk_fma_f32 v[200:201], v[200:201], v[198:199], v[206:207] op_sel:[0,0,1] op_sel_hi:[1,0,0]
	v_dual_mul_f32 v206, v203, v205 :: v_dual_mov_b32 v200, v203
	v_dual_mov_b32 v209, v201 :: v_dual_mov_b32 v201, v202
	s_delay_alu instid0(VALU_DEP_2) | instskip(SKIP_1) | instid1(VALU_DEP_3)
	v_pk_fma_f32 v[206:207], v[202:203], v[232:233], v[206:207] op_sel_hi:[1,1,0] neg_lo:[0,0,1] neg_hi:[0,0,1]
	v_mul_f32_e32 v202, v203, v198
	v_pk_add_f32 v[236:237], v[236:237], v[208:209] neg_lo:[0,1] neg_hi:[0,1]
	s_delay_alu instid0(VALU_DEP_2) | instskip(NEXT) | instid1(VALU_DEP_1)
	v_pk_fma_f32 v[200:201], v[200:201], v[232:233], v[202:203] op_sel_hi:[1,1,0]
	v_mov_b32_e32 v207, v201
	ds_load_2addr_b64 v[200:203], v222 offset0:58 offset1:59
	v_pk_add_f32 v[228:229], v[228:229], v[206:207] neg_lo:[0,1] neg_hi:[0,1]
	s_wait_dscnt 0x0
	v_pk_mul_f32 v[206:207], v[200:201], v[204:205] op_sel:[0,1]
	s_delay_alu instid0(VALU_DEP_1) | instskip(SKIP_1) | instid1(VALU_DEP_1)
	v_pk_fma_f32 v[208:209], v[200:201], v[198:199], v[206:207] op_sel:[0,0,1] op_sel_hi:[1,1,0] neg_lo:[0,0,1] neg_hi:[0,0,1]
	v_pk_fma_f32 v[200:201], v[200:201], v[198:199], v[206:207] op_sel:[0,0,1] op_sel_hi:[1,0,0]
	v_mov_b32_e32 v209, v201
	v_pk_mul_f32 v[200:201], v[202:203], v[204:205] op_sel:[0,1]
	s_delay_alu instid0(VALU_DEP_1) | instskip(SKIP_1) | instid1(VALU_DEP_1)
	v_pk_fma_f32 v[206:207], v[202:203], v[198:199], v[200:201] op_sel:[0,0,1] op_sel_hi:[1,1,0] neg_lo:[0,0,1] neg_hi:[0,0,1]
	v_pk_fma_f32 v[200:201], v[202:203], v[198:199], v[200:201] op_sel:[0,0,1] op_sel_hi:[1,0,0]
	v_mov_b32_e32 v207, v201
	ds_load_b64 v[200:201], v222 offset:480
	v_pk_add_f32 v[234:235], v[234:235], v[208:209] neg_lo:[0,1] neg_hi:[0,1]
	v_pk_add_f32 v[242:243], v[242:243], v[206:207] neg_lo:[0,1] neg_hi:[0,1]
	s_wait_dscnt 0x0
	v_pk_mul_f32 v[202:203], v[200:201], v[204:205] op_sel:[0,1]
	s_delay_alu instid0(VALU_DEP_1) | instskip(SKIP_1) | instid1(VALU_DEP_1)
	v_pk_fma_f32 v[204:205], v[200:201], v[198:199], v[202:203] op_sel:[0,0,1] op_sel_hi:[1,1,0] neg_lo:[0,0,1] neg_hi:[0,0,1]
	v_pk_fma_f32 v[198:199], v[200:201], v[198:199], v[202:203] op_sel:[0,0,1] op_sel_hi:[1,0,0]
	v_mov_b32_e32 v205, v199
	s_delay_alu instid0(VALU_DEP_1)
	v_pk_add_f32 v[244:245], v[244:245], v[204:205] neg_lo:[0,1] neg_hi:[0,1]
.LBB121_487:
	s_or_b32 exec_lo, exec_lo, s1
	s_delay_alu instid0(SALU_CYCLE_1)
	s_mov_b32 s2, exec_lo
	s_wait_dscnt 0x0
	s_barrier_signal -1
	s_barrier_wait -1
	v_cmpx_eq_u32_e32 54, v220
	s_cbranch_execz .LBB121_494
; %bb.488:
	ds_store_b64 v221, v[238:239]
	ds_store_2addr_b64 v222, v[230:231], v[236:237] offset0:55 offset1:56
	ds_store_2addr_b64 v222, v[228:229], v[234:235] offset0:57 offset1:58
	;; [unrolled: 1-line block ×3, first 2 shown]
	ds_load_b64 v[198:199], v221
	s_wait_dscnt 0x0
	v_cmp_neq_f32_e32 vcc_lo, 0, v198
	v_cmp_neq_f32_e64 s1, 0, v199
	s_or_b32 s1, vcc_lo, s1
	s_delay_alu instid0(SALU_CYCLE_1)
	s_and_b32 exec_lo, exec_lo, s1
	s_cbranch_execz .LBB121_494
; %bb.489:
	v_cmp_ngt_f32_e64 s1, |v198|, |v199|
                                        ; implicit-def: $vgpr200_vgpr201
	s_and_saveexec_b32 s4, s1
	s_delay_alu instid0(SALU_CYCLE_1)
	s_xor_b32 s1, exec_lo, s4
	s_cbranch_execz .LBB121_491
; %bb.490:
	v_div_scale_f32 v200, null, v199, v199, v198
	v_div_scale_f32 v203, vcc_lo, v198, v199, v198
	s_delay_alu instid0(VALU_DEP_2) | instskip(SKIP_1) | instid1(TRANS32_DEP_1)
	v_rcp_f32_e32 v201, v200
	v_nop
	v_fma_f32 v202, -v200, v201, 1.0
	s_delay_alu instid0(VALU_DEP_1) | instskip(NEXT) | instid1(VALU_DEP_1)
	v_fmac_f32_e32 v201, v202, v201
	v_mul_f32_e32 v202, v203, v201
	s_delay_alu instid0(VALU_DEP_1) | instskip(NEXT) | instid1(VALU_DEP_1)
	v_fma_f32 v204, -v200, v202, v203
	v_fmac_f32_e32 v202, v204, v201
	s_delay_alu instid0(VALU_DEP_1) | instskip(NEXT) | instid1(VALU_DEP_1)
	v_fma_f32 v200, -v200, v202, v203
	v_div_fmas_f32 v200, v200, v201, v202
	s_delay_alu instid0(VALU_DEP_1) | instskip(NEXT) | instid1(VALU_DEP_1)
	v_div_fixup_f32 v200, v200, v199, v198
	v_fmac_f32_e32 v199, v198, v200
	s_delay_alu instid0(VALU_DEP_1) | instskip(SKIP_1) | instid1(VALU_DEP_2)
	v_div_scale_f32 v198, null, v199, v199, 1.0
	v_div_scale_f32 v203, vcc_lo, 1.0, v199, 1.0
	v_rcp_f32_e32 v201, v198
	v_nop
	s_delay_alu instid0(TRANS32_DEP_1) | instskip(NEXT) | instid1(VALU_DEP_1)
	v_fma_f32 v202, -v198, v201, 1.0
	v_fmac_f32_e32 v201, v202, v201
	s_delay_alu instid0(VALU_DEP_1) | instskip(NEXT) | instid1(VALU_DEP_1)
	v_mul_f32_e32 v202, v203, v201
	v_fma_f32 v204, -v198, v202, v203
	s_delay_alu instid0(VALU_DEP_1) | instskip(NEXT) | instid1(VALU_DEP_1)
	v_fmac_f32_e32 v202, v204, v201
	v_fma_f32 v198, -v198, v202, v203
	s_delay_alu instid0(VALU_DEP_1) | instskip(NEXT) | instid1(VALU_DEP_1)
	v_div_fmas_f32 v198, v198, v201, v202
	v_div_fixup_f32 v198, v198, v199, 1.0
	s_delay_alu instid0(VALU_DEP_1)
	v_mul_f32_e32 v200, v200, v198
	v_xor_b32_e32 v201, 0x80000000, v198
                                        ; implicit-def: $vgpr198_vgpr199
.LBB121_491:
	s_and_not1_saveexec_b32 s1, s1
	s_cbranch_execz .LBB121_493
; %bb.492:
	v_div_scale_f32 v200, null, v198, v198, v199
	v_div_scale_f32 v203, vcc_lo, v199, v198, v199
	s_delay_alu instid0(VALU_DEP_2) | instskip(SKIP_1) | instid1(TRANS32_DEP_1)
	v_rcp_f32_e32 v201, v200
	v_nop
	v_fma_f32 v202, -v200, v201, 1.0
	s_delay_alu instid0(VALU_DEP_1) | instskip(NEXT) | instid1(VALU_DEP_1)
	v_fmac_f32_e32 v201, v202, v201
	v_mul_f32_e32 v202, v203, v201
	s_delay_alu instid0(VALU_DEP_1) | instskip(NEXT) | instid1(VALU_DEP_1)
	v_fma_f32 v204, -v200, v202, v203
	v_fmac_f32_e32 v202, v204, v201
	s_delay_alu instid0(VALU_DEP_1) | instskip(NEXT) | instid1(VALU_DEP_1)
	v_fma_f32 v200, -v200, v202, v203
	v_div_fmas_f32 v200, v200, v201, v202
	s_delay_alu instid0(VALU_DEP_1) | instskip(NEXT) | instid1(VALU_DEP_1)
	v_div_fixup_f32 v201, v200, v198, v199
	v_fmac_f32_e32 v198, v199, v201
	s_delay_alu instid0(VALU_DEP_1) | instskip(NEXT) | instid1(VALU_DEP_1)
	v_div_scale_f32 v199, null, v198, v198, 1.0
	v_rcp_f32_e32 v200, v199
	v_nop
	s_delay_alu instid0(TRANS32_DEP_1) | instskip(NEXT) | instid1(VALU_DEP_1)
	v_fma_f32 v202, -v199, v200, 1.0
	v_fmac_f32_e32 v200, v202, v200
	v_div_scale_f32 v202, vcc_lo, 1.0, v198, 1.0
	s_delay_alu instid0(VALU_DEP_1) | instskip(NEXT) | instid1(VALU_DEP_1)
	v_mul_f32_e32 v203, v202, v200
	v_fma_f32 v204, -v199, v203, v202
	s_delay_alu instid0(VALU_DEP_1) | instskip(NEXT) | instid1(VALU_DEP_1)
	v_fmac_f32_e32 v203, v204, v200
	v_fma_f32 v199, -v199, v203, v202
	s_delay_alu instid0(VALU_DEP_1) | instskip(NEXT) | instid1(VALU_DEP_1)
	v_div_fmas_f32 v199, v199, v200, v203
	v_div_fixup_f32 v200, v199, v198, 1.0
	s_delay_alu instid0(VALU_DEP_1)
	v_mul_f32_e64 v201, v201, -v200
.LBB121_493:
	s_or_b32 exec_lo, exec_lo, s1
	ds_store_b64 v221, v[200:201]
.LBB121_494:
	s_or_b32 exec_lo, exec_lo, s2
	s_wait_dscnt 0x0
	s_barrier_signal -1
	s_barrier_wait -1
	ds_load_b64 v[198:199], v221
	s_mov_b32 s1, exec_lo
	v_cmpx_lt_u32_e32 54, v220
	s_cbranch_execz .LBB121_496
; %bb.495:
	s_wait_dscnt 0x0
	v_pk_mul_f32 v[200:201], v[198:199], v[238:239] op_sel:[1,1] op_sel_hi:[0,1]
	s_delay_alu instid0(VALU_DEP_1)
	v_pk_fma_f32 v[204:205], v[198:199], v[238:239], v[200:201] op_sel_hi:[1,0,1] neg_lo:[0,0,1] neg_hi:[0,0,1]
	v_pk_fma_f32 v[206:207], v[198:199], v[238:239], v[200:201] op_sel_hi:[1,0,1]
	ds_load_2addr_b64 v[200:203], v222 offset0:55 offset1:56
	v_dual_mov_b32 v238, v204 :: v_dual_mov_b32 v239, v207
	s_wait_dscnt 0x0
	v_pk_mul_f32 v[208:209], v[200:201], v[206:207] op_sel:[0,1]
	s_delay_alu instid0(VALU_DEP_1) | instskip(SKIP_1) | instid1(VALU_DEP_1)
	v_pk_fma_f32 v[218:219], v[200:201], v[204:205], v[208:209] op_sel:[0,0,1] op_sel_hi:[1,1,0] neg_lo:[0,0,1] neg_hi:[0,0,1]
	v_pk_fma_f32 v[200:201], v[200:201], v[204:205], v[208:209] op_sel:[0,0,1] op_sel_hi:[1,0,0]
	v_mov_b32_e32 v219, v201
	v_pk_mul_f32 v[200:201], v[202:203], v[206:207] op_sel:[0,1]
	s_delay_alu instid0(VALU_DEP_1) | instskip(SKIP_1) | instid1(VALU_DEP_1)
	v_pk_fma_f32 v[208:209], v[202:203], v[204:205], v[200:201] op_sel:[0,0,1] op_sel_hi:[1,1,0] neg_lo:[0,0,1] neg_hi:[0,0,1]
	v_pk_fma_f32 v[200:201], v[202:203], v[204:205], v[200:201] op_sel:[0,0,1] op_sel_hi:[1,0,0]
	v_mov_b32_e32 v209, v201
	ds_load_2addr_b64 v[200:203], v222 offset0:57 offset1:58
	v_pk_add_f32 v[230:231], v[230:231], v[218:219] neg_lo:[0,1] neg_hi:[0,1]
	v_pk_add_f32 v[236:237], v[236:237], v[208:209] neg_lo:[0,1] neg_hi:[0,1]
	s_wait_dscnt 0x0
	v_pk_mul_f32 v[208:209], v[200:201], v[206:207] op_sel:[0,1]
	s_delay_alu instid0(VALU_DEP_1) | instskip(SKIP_2) | instid1(VALU_DEP_2)
	v_pk_fma_f32 v[218:219], v[200:201], v[204:205], v[208:209] op_sel:[0,0,1] op_sel_hi:[1,1,0] neg_lo:[0,0,1] neg_hi:[0,0,1]
	v_pk_fma_f32 v[200:201], v[200:201], v[204:205], v[208:209] op_sel:[0,0,1] op_sel_hi:[1,0,0]
	v_dual_mul_f32 v208, v203, v207 :: v_dual_mov_b32 v200, v203
	v_dual_mov_b32 v219, v201 :: v_dual_mov_b32 v201, v202
	s_delay_alu instid0(VALU_DEP_2) | instskip(SKIP_1) | instid1(VALU_DEP_3)
	v_pk_fma_f32 v[208:209], v[202:203], v[238:239], v[208:209] op_sel_hi:[1,1,0] neg_lo:[0,0,1] neg_hi:[0,0,1]
	v_mul_f32_e32 v202, v203, v204
	v_pk_add_f32 v[228:229], v[228:229], v[218:219] neg_lo:[0,1] neg_hi:[0,1]
	s_delay_alu instid0(VALU_DEP_2) | instskip(NEXT) | instid1(VALU_DEP_1)
	v_pk_fma_f32 v[200:201], v[200:201], v[238:239], v[202:203] op_sel_hi:[1,1,0]
	v_mov_b32_e32 v209, v201
	ds_load_2addr_b64 v[200:203], v222 offset0:59 offset1:60
	v_pk_add_f32 v[234:235], v[234:235], v[208:209] neg_lo:[0,1] neg_hi:[0,1]
	s_wait_dscnt 0x0
	v_pk_mul_f32 v[208:209], v[200:201], v[206:207] op_sel:[0,1]
	v_mul_f32_e32 v206, v203, v207
	s_delay_alu instid0(VALU_DEP_2) | instskip(SKIP_2) | instid1(VALU_DEP_4)
	v_pk_fma_f32 v[218:219], v[200:201], v[204:205], v[208:209] op_sel:[0,0,1] op_sel_hi:[1,1,0] neg_lo:[0,0,1] neg_hi:[0,0,1]
	v_pk_fma_f32 v[200:201], v[200:201], v[204:205], v[208:209] op_sel:[0,0,1] op_sel_hi:[1,0,0]
	v_mov_b32_e32 v200, v203
	v_pk_fma_f32 v[206:207], v[202:203], v[238:239], v[206:207] op_sel_hi:[1,1,0] neg_lo:[0,0,1] neg_hi:[0,0,1]
	s_delay_alu instid0(VALU_DEP_3) | instskip(SKIP_1) | instid1(VALU_DEP_2)
	v_dual_mov_b32 v219, v201 :: v_dual_mov_b32 v201, v202
	v_mul_f32_e32 v202, v203, v204
	v_pk_add_f32 v[242:243], v[242:243], v[218:219] neg_lo:[0,1] neg_hi:[0,1]
	s_delay_alu instid0(VALU_DEP_2) | instskip(NEXT) | instid1(VALU_DEP_1)
	v_pk_fma_f32 v[200:201], v[200:201], v[238:239], v[202:203] op_sel_hi:[1,1,0]
	v_mov_b32_e32 v207, v201
	s_delay_alu instid0(VALU_DEP_1)
	v_pk_add_f32 v[244:245], v[244:245], v[206:207] neg_lo:[0,1] neg_hi:[0,1]
.LBB121_496:
	s_or_b32 exec_lo, exec_lo, s1
	s_delay_alu instid0(SALU_CYCLE_1)
	s_mov_b32 s2, exec_lo
	s_wait_dscnt 0x0
	s_barrier_signal -1
	s_barrier_wait -1
	v_cmpx_eq_u32_e32 55, v220
	s_cbranch_execz .LBB121_503
; %bb.497:
	v_dual_mov_b32 v200, v236 :: v_dual_mov_b32 v201, v237
	v_dual_mov_b32 v202, v228 :: v_dual_mov_b32 v203, v229
	ds_store_b64 v221, v[230:231]
	ds_store_2addr_b64 v222, v[200:201], v[202:203] offset0:56 offset1:57
	v_dual_mov_b32 v200, v234 :: v_dual_mov_b32 v201, v235
	v_dual_mov_b32 v202, v242 :: v_dual_mov_b32 v203, v243
	ds_store_2addr_b64 v222, v[200:201], v[202:203] offset0:58 offset1:59
	ds_store_b64 v222, v[244:245] offset:480
	ds_load_b64 v[200:201], v221
	s_wait_dscnt 0x0
	v_cmp_neq_f32_e32 vcc_lo, 0, v200
	v_cmp_neq_f32_e64 s1, 0, v201
	s_or_b32 s1, vcc_lo, s1
	s_delay_alu instid0(SALU_CYCLE_1)
	s_and_b32 exec_lo, exec_lo, s1
	s_cbranch_execz .LBB121_503
; %bb.498:
	v_cmp_ngt_f32_e64 s1, |v200|, |v201|
                                        ; implicit-def: $vgpr202_vgpr203
	s_and_saveexec_b32 s4, s1
	s_delay_alu instid0(SALU_CYCLE_1)
	s_xor_b32 s1, exec_lo, s4
	s_cbranch_execz .LBB121_500
; %bb.499:
	v_div_scale_f32 v202, null, v201, v201, v200
	v_div_scale_f32 v205, vcc_lo, v200, v201, v200
	s_delay_alu instid0(VALU_DEP_2) | instskip(SKIP_1) | instid1(TRANS32_DEP_1)
	v_rcp_f32_e32 v203, v202
	v_nop
	v_fma_f32 v204, -v202, v203, 1.0
	s_delay_alu instid0(VALU_DEP_1) | instskip(NEXT) | instid1(VALU_DEP_1)
	v_fmac_f32_e32 v203, v204, v203
	v_mul_f32_e32 v204, v205, v203
	s_delay_alu instid0(VALU_DEP_1) | instskip(NEXT) | instid1(VALU_DEP_1)
	v_fma_f32 v206, -v202, v204, v205
	v_fmac_f32_e32 v204, v206, v203
	s_delay_alu instid0(VALU_DEP_1) | instskip(NEXT) | instid1(VALU_DEP_1)
	v_fma_f32 v202, -v202, v204, v205
	v_div_fmas_f32 v202, v202, v203, v204
	s_delay_alu instid0(VALU_DEP_1) | instskip(NEXT) | instid1(VALU_DEP_1)
	v_div_fixup_f32 v202, v202, v201, v200
	v_fmac_f32_e32 v201, v200, v202
	s_delay_alu instid0(VALU_DEP_1) | instskip(SKIP_1) | instid1(VALU_DEP_2)
	v_div_scale_f32 v200, null, v201, v201, 1.0
	v_div_scale_f32 v205, vcc_lo, 1.0, v201, 1.0
	v_rcp_f32_e32 v203, v200
	v_nop
	s_delay_alu instid0(TRANS32_DEP_1) | instskip(NEXT) | instid1(VALU_DEP_1)
	v_fma_f32 v204, -v200, v203, 1.0
	v_fmac_f32_e32 v203, v204, v203
	s_delay_alu instid0(VALU_DEP_1) | instskip(NEXT) | instid1(VALU_DEP_1)
	v_mul_f32_e32 v204, v205, v203
	v_fma_f32 v206, -v200, v204, v205
	s_delay_alu instid0(VALU_DEP_1) | instskip(NEXT) | instid1(VALU_DEP_1)
	v_fmac_f32_e32 v204, v206, v203
	v_fma_f32 v200, -v200, v204, v205
	s_delay_alu instid0(VALU_DEP_1) | instskip(NEXT) | instid1(VALU_DEP_1)
	v_div_fmas_f32 v200, v200, v203, v204
	v_div_fixup_f32 v200, v200, v201, 1.0
	s_delay_alu instid0(VALU_DEP_1)
	v_mul_f32_e32 v202, v202, v200
	v_xor_b32_e32 v203, 0x80000000, v200
                                        ; implicit-def: $vgpr200_vgpr201
.LBB121_500:
	s_and_not1_saveexec_b32 s1, s1
	s_cbranch_execz .LBB121_502
; %bb.501:
	v_div_scale_f32 v202, null, v200, v200, v201
	v_div_scale_f32 v205, vcc_lo, v201, v200, v201
	s_delay_alu instid0(VALU_DEP_2) | instskip(SKIP_1) | instid1(TRANS32_DEP_1)
	v_rcp_f32_e32 v203, v202
	v_nop
	v_fma_f32 v204, -v202, v203, 1.0
	s_delay_alu instid0(VALU_DEP_1) | instskip(NEXT) | instid1(VALU_DEP_1)
	v_fmac_f32_e32 v203, v204, v203
	v_mul_f32_e32 v204, v205, v203
	s_delay_alu instid0(VALU_DEP_1) | instskip(NEXT) | instid1(VALU_DEP_1)
	v_fma_f32 v206, -v202, v204, v205
	v_fmac_f32_e32 v204, v206, v203
	s_delay_alu instid0(VALU_DEP_1) | instskip(NEXT) | instid1(VALU_DEP_1)
	v_fma_f32 v202, -v202, v204, v205
	v_div_fmas_f32 v202, v202, v203, v204
	s_delay_alu instid0(VALU_DEP_1) | instskip(NEXT) | instid1(VALU_DEP_1)
	v_div_fixup_f32 v203, v202, v200, v201
	v_fmac_f32_e32 v200, v201, v203
	s_delay_alu instid0(VALU_DEP_1) | instskip(NEXT) | instid1(VALU_DEP_1)
	v_div_scale_f32 v201, null, v200, v200, 1.0
	v_rcp_f32_e32 v202, v201
	v_nop
	s_delay_alu instid0(TRANS32_DEP_1) | instskip(NEXT) | instid1(VALU_DEP_1)
	v_fma_f32 v204, -v201, v202, 1.0
	v_fmac_f32_e32 v202, v204, v202
	v_div_scale_f32 v204, vcc_lo, 1.0, v200, 1.0
	s_delay_alu instid0(VALU_DEP_1) | instskip(NEXT) | instid1(VALU_DEP_1)
	v_mul_f32_e32 v205, v204, v202
	v_fma_f32 v206, -v201, v205, v204
	s_delay_alu instid0(VALU_DEP_1) | instskip(NEXT) | instid1(VALU_DEP_1)
	v_fmac_f32_e32 v205, v206, v202
	v_fma_f32 v201, -v201, v205, v204
	s_delay_alu instid0(VALU_DEP_1) | instskip(NEXT) | instid1(VALU_DEP_1)
	v_div_fmas_f32 v201, v201, v202, v205
	v_div_fixup_f32 v202, v201, v200, 1.0
	s_delay_alu instid0(VALU_DEP_1)
	v_mul_f32_e64 v203, v203, -v202
.LBB121_502:
	s_or_b32 exec_lo, exec_lo, s1
	ds_store_b64 v221, v[202:203]
.LBB121_503:
	s_or_b32 exec_lo, exec_lo, s2
	s_wait_dscnt 0x0
	s_barrier_signal -1
	s_barrier_wait -1
	ds_load_b64 v[200:201], v221
	s_mov_b32 s1, exec_lo
	v_cmpx_lt_u32_e32 55, v220
	s_cbranch_execz .LBB121_505
; %bb.504:
	s_wait_dscnt 0x0
	v_pk_mul_f32 v[202:203], v[200:201], v[230:231] op_sel:[1,1] op_sel_hi:[0,1]
	s_delay_alu instid0(VALU_DEP_1)
	v_pk_fma_f32 v[206:207], v[200:201], v[230:231], v[202:203] op_sel_hi:[1,0,1] neg_lo:[0,0,1] neg_hi:[0,0,1]
	v_pk_fma_f32 v[208:209], v[200:201], v[230:231], v[202:203] op_sel_hi:[1,0,1]
	ds_load_2addr_b64 v[202:205], v222 offset0:56 offset1:57
	v_dual_mov_b32 v230, v206 :: v_dual_mov_b32 v231, v209
	s_wait_dscnt 0x0
	v_pk_mul_f32 v[218:219], v[202:203], v[208:209] op_sel:[0,1]
	s_delay_alu instid0(VALU_DEP_1) | instskip(SKIP_1) | instid1(VALU_DEP_1)
	v_pk_fma_f32 v[224:225], v[202:203], v[206:207], v[218:219] op_sel:[0,0,1] op_sel_hi:[1,1,0] neg_lo:[0,0,1] neg_hi:[0,0,1]
	v_pk_fma_f32 v[202:203], v[202:203], v[206:207], v[218:219] op_sel:[0,0,1] op_sel_hi:[1,0,0]
	v_mov_b32_e32 v225, v203
	v_pk_mul_f32 v[202:203], v[204:205], v[208:209] op_sel:[0,1]
	s_delay_alu instid0(VALU_DEP_1) | instskip(SKIP_1) | instid1(VALU_DEP_1)
	v_pk_fma_f32 v[218:219], v[204:205], v[206:207], v[202:203] op_sel:[0,0,1] op_sel_hi:[1,1,0] neg_lo:[0,0,1] neg_hi:[0,0,1]
	v_pk_fma_f32 v[202:203], v[204:205], v[206:207], v[202:203] op_sel:[0,0,1] op_sel_hi:[1,0,0]
	v_mov_b32_e32 v219, v203
	ds_load_2addr_b64 v[202:205], v222 offset0:58 offset1:59
	v_pk_add_f32 v[236:237], v[236:237], v[224:225] neg_lo:[0,1] neg_hi:[0,1]
	v_pk_add_f32 v[228:229], v[228:229], v[218:219] neg_lo:[0,1] neg_hi:[0,1]
	s_wait_dscnt 0x0
	v_pk_mul_f32 v[218:219], v[202:203], v[208:209] op_sel:[0,1]
	s_delay_alu instid0(VALU_DEP_1) | instskip(SKIP_2) | instid1(VALU_DEP_2)
	v_pk_fma_f32 v[224:225], v[202:203], v[206:207], v[218:219] op_sel:[0,0,1] op_sel_hi:[1,1,0] neg_lo:[0,0,1] neg_hi:[0,0,1]
	v_pk_fma_f32 v[202:203], v[202:203], v[206:207], v[218:219] op_sel:[0,0,1] op_sel_hi:[1,0,0]
	v_dual_mul_f32 v218, v205, v209 :: v_dual_mov_b32 v202, v205
	v_dual_mov_b32 v225, v203 :: v_dual_mov_b32 v203, v204
	s_delay_alu instid0(VALU_DEP_2) | instskip(SKIP_1) | instid1(VALU_DEP_3)
	v_pk_fma_f32 v[218:219], v[204:205], v[230:231], v[218:219] op_sel_hi:[1,1,0] neg_lo:[0,0,1] neg_hi:[0,0,1]
	v_mul_f32_e32 v204, v205, v206
	v_pk_add_f32 v[234:235], v[234:235], v[224:225] neg_lo:[0,1] neg_hi:[0,1]
	s_delay_alu instid0(VALU_DEP_2) | instskip(NEXT) | instid1(VALU_DEP_1)
	v_pk_fma_f32 v[202:203], v[202:203], v[230:231], v[204:205] op_sel_hi:[1,1,0]
	v_mov_b32_e32 v219, v203
	ds_load_b64 v[202:203], v222 offset:480
	v_pk_add_f32 v[242:243], v[242:243], v[218:219] neg_lo:[0,1] neg_hi:[0,1]
	s_wait_dscnt 0x0
	v_pk_mul_f32 v[204:205], v[202:203], v[208:209] op_sel:[0,1]
	s_delay_alu instid0(VALU_DEP_1) | instskip(SKIP_1) | instid1(VALU_DEP_1)
	v_pk_fma_f32 v[208:209], v[202:203], v[206:207], v[204:205] op_sel:[0,0,1] op_sel_hi:[1,1,0] neg_lo:[0,0,1] neg_hi:[0,0,1]
	v_pk_fma_f32 v[202:203], v[202:203], v[206:207], v[204:205] op_sel:[0,0,1] op_sel_hi:[1,0,0]
	v_mov_b32_e32 v209, v203
	s_delay_alu instid0(VALU_DEP_1)
	v_pk_add_f32 v[244:245], v[244:245], v[208:209] neg_lo:[0,1] neg_hi:[0,1]
.LBB121_505:
	s_or_b32 exec_lo, exec_lo, s1
	s_delay_alu instid0(SALU_CYCLE_1)
	s_mov_b32 s2, exec_lo
	s_wait_dscnt 0x0
	s_barrier_signal -1
	s_barrier_wait -1
	v_cmpx_eq_u32_e32 56, v220
	s_cbranch_execz .LBB121_512
; %bb.506:
	ds_store_b64 v221, v[236:237]
	ds_store_2addr_b64 v222, v[228:229], v[234:235] offset0:57 offset1:58
	ds_store_2addr_b64 v222, v[242:243], v[244:245] offset0:59 offset1:60
	ds_load_b64 v[202:203], v221
	s_wait_dscnt 0x0
	v_cmp_neq_f32_e32 vcc_lo, 0, v202
	v_cmp_neq_f32_e64 s1, 0, v203
	s_or_b32 s1, vcc_lo, s1
	s_delay_alu instid0(SALU_CYCLE_1)
	s_and_b32 exec_lo, exec_lo, s1
	s_cbranch_execz .LBB121_512
; %bb.507:
	v_cmp_ngt_f32_e64 s1, |v202|, |v203|
                                        ; implicit-def: $vgpr204_vgpr205
	s_and_saveexec_b32 s4, s1
	s_delay_alu instid0(SALU_CYCLE_1)
	s_xor_b32 s1, exec_lo, s4
	s_cbranch_execz .LBB121_509
; %bb.508:
	v_div_scale_f32 v204, null, v203, v203, v202
	v_div_scale_f32 v207, vcc_lo, v202, v203, v202
	s_delay_alu instid0(VALU_DEP_2) | instskip(SKIP_1) | instid1(TRANS32_DEP_1)
	v_rcp_f32_e32 v205, v204
	v_nop
	v_fma_f32 v206, -v204, v205, 1.0
	s_delay_alu instid0(VALU_DEP_1) | instskip(NEXT) | instid1(VALU_DEP_1)
	v_fmac_f32_e32 v205, v206, v205
	v_mul_f32_e32 v206, v207, v205
	s_delay_alu instid0(VALU_DEP_1) | instskip(NEXT) | instid1(VALU_DEP_1)
	v_fma_f32 v208, -v204, v206, v207
	v_fmac_f32_e32 v206, v208, v205
	s_delay_alu instid0(VALU_DEP_1) | instskip(NEXT) | instid1(VALU_DEP_1)
	v_fma_f32 v204, -v204, v206, v207
	v_div_fmas_f32 v204, v204, v205, v206
	s_delay_alu instid0(VALU_DEP_1) | instskip(NEXT) | instid1(VALU_DEP_1)
	v_div_fixup_f32 v204, v204, v203, v202
	v_fmac_f32_e32 v203, v202, v204
	s_delay_alu instid0(VALU_DEP_1) | instskip(SKIP_1) | instid1(VALU_DEP_2)
	v_div_scale_f32 v202, null, v203, v203, 1.0
	v_div_scale_f32 v207, vcc_lo, 1.0, v203, 1.0
	v_rcp_f32_e32 v205, v202
	v_nop
	s_delay_alu instid0(TRANS32_DEP_1) | instskip(NEXT) | instid1(VALU_DEP_1)
	v_fma_f32 v206, -v202, v205, 1.0
	v_fmac_f32_e32 v205, v206, v205
	s_delay_alu instid0(VALU_DEP_1) | instskip(NEXT) | instid1(VALU_DEP_1)
	v_mul_f32_e32 v206, v207, v205
	v_fma_f32 v208, -v202, v206, v207
	s_delay_alu instid0(VALU_DEP_1) | instskip(NEXT) | instid1(VALU_DEP_1)
	v_fmac_f32_e32 v206, v208, v205
	v_fma_f32 v202, -v202, v206, v207
	s_delay_alu instid0(VALU_DEP_1) | instskip(NEXT) | instid1(VALU_DEP_1)
	v_div_fmas_f32 v202, v202, v205, v206
	v_div_fixup_f32 v202, v202, v203, 1.0
	s_delay_alu instid0(VALU_DEP_1)
	v_mul_f32_e32 v204, v204, v202
	v_xor_b32_e32 v205, 0x80000000, v202
                                        ; implicit-def: $vgpr202_vgpr203
.LBB121_509:
	s_and_not1_saveexec_b32 s1, s1
	s_cbranch_execz .LBB121_511
; %bb.510:
	v_div_scale_f32 v204, null, v202, v202, v203
	v_div_scale_f32 v207, vcc_lo, v203, v202, v203
	s_delay_alu instid0(VALU_DEP_2) | instskip(SKIP_1) | instid1(TRANS32_DEP_1)
	v_rcp_f32_e32 v205, v204
	v_nop
	v_fma_f32 v206, -v204, v205, 1.0
	s_delay_alu instid0(VALU_DEP_1) | instskip(NEXT) | instid1(VALU_DEP_1)
	v_fmac_f32_e32 v205, v206, v205
	v_mul_f32_e32 v206, v207, v205
	s_delay_alu instid0(VALU_DEP_1) | instskip(NEXT) | instid1(VALU_DEP_1)
	v_fma_f32 v208, -v204, v206, v207
	v_fmac_f32_e32 v206, v208, v205
	s_delay_alu instid0(VALU_DEP_1) | instskip(NEXT) | instid1(VALU_DEP_1)
	v_fma_f32 v204, -v204, v206, v207
	v_div_fmas_f32 v204, v204, v205, v206
	s_delay_alu instid0(VALU_DEP_1) | instskip(NEXT) | instid1(VALU_DEP_1)
	v_div_fixup_f32 v205, v204, v202, v203
	v_fmac_f32_e32 v202, v203, v205
	s_delay_alu instid0(VALU_DEP_1) | instskip(NEXT) | instid1(VALU_DEP_1)
	v_div_scale_f32 v203, null, v202, v202, 1.0
	v_rcp_f32_e32 v204, v203
	v_nop
	s_delay_alu instid0(TRANS32_DEP_1) | instskip(NEXT) | instid1(VALU_DEP_1)
	v_fma_f32 v206, -v203, v204, 1.0
	v_fmac_f32_e32 v204, v206, v204
	v_div_scale_f32 v206, vcc_lo, 1.0, v202, 1.0
	s_delay_alu instid0(VALU_DEP_1) | instskip(NEXT) | instid1(VALU_DEP_1)
	v_mul_f32_e32 v207, v206, v204
	v_fma_f32 v208, -v203, v207, v206
	s_delay_alu instid0(VALU_DEP_1) | instskip(NEXT) | instid1(VALU_DEP_1)
	v_fmac_f32_e32 v207, v208, v204
	v_fma_f32 v203, -v203, v207, v206
	s_delay_alu instid0(VALU_DEP_1) | instskip(NEXT) | instid1(VALU_DEP_1)
	v_div_fmas_f32 v203, v203, v204, v207
	v_div_fixup_f32 v204, v203, v202, 1.0
	s_delay_alu instid0(VALU_DEP_1)
	v_mul_f32_e64 v205, v205, -v204
.LBB121_511:
	s_or_b32 exec_lo, exec_lo, s1
	ds_store_b64 v221, v[204:205]
.LBB121_512:
	s_or_b32 exec_lo, exec_lo, s2
	s_wait_dscnt 0x0
	s_barrier_signal -1
	s_barrier_wait -1
	ds_load_b64 v[204:205], v221
	s_mov_b32 s1, exec_lo
	v_cmpx_lt_u32_e32 56, v220
	s_cbranch_execz .LBB121_514
; %bb.513:
	ds_load_2addr_b64 v[206:209], v222 offset0:57 offset1:58
	s_wait_dscnt 0x1
	v_pk_mul_f32 v[202:203], v[204:205], v[236:237] op_sel:[1,1] op_sel_hi:[0,1]
	s_delay_alu instid0(VALU_DEP_1) | instskip(SKIP_1) | instid1(VALU_DEP_1)
	v_pk_fma_f32 v[218:219], v[204:205], v[236:237], v[202:203] op_sel_hi:[1,0,1] neg_lo:[0,0,1] neg_hi:[0,0,1]
	v_pk_fma_f32 v[202:203], v[204:205], v[236:237], v[202:203] op_sel_hi:[1,0,1]
	v_dual_mov_b32 v236, v218 :: v_dual_mov_b32 v237, v203
	s_wait_dscnt 0x0
	s_delay_alu instid0(VALU_DEP_2) | instskip(NEXT) | instid1(VALU_DEP_1)
	v_pk_mul_f32 v[224:225], v[206:207], v[202:203] op_sel:[0,1]
	v_pk_fma_f32 v[226:227], v[206:207], v[218:219], v[224:225] op_sel:[0,0,1] op_sel_hi:[1,1,0] neg_lo:[0,0,1] neg_hi:[0,0,1]
	v_pk_fma_f32 v[206:207], v[206:207], v[218:219], v[224:225] op_sel:[0,0,1] op_sel_hi:[1,0,0]
	s_delay_alu instid0(VALU_DEP_1) | instskip(SKIP_1) | instid1(VALU_DEP_1)
	v_mov_b32_e32 v227, v207
	v_pk_mul_f32 v[206:207], v[208:209], v[202:203] op_sel:[0,1]
	v_pk_fma_f32 v[224:225], v[208:209], v[218:219], v[206:207] op_sel:[0,0,1] op_sel_hi:[1,1,0] neg_lo:[0,0,1] neg_hi:[0,0,1]
	v_pk_fma_f32 v[206:207], v[208:209], v[218:219], v[206:207] op_sel:[0,0,1] op_sel_hi:[1,0,0]
	s_delay_alu instid0(VALU_DEP_1)
	v_mov_b32_e32 v225, v207
	ds_load_2addr_b64 v[206:209], v222 offset0:59 offset1:60
	v_pk_add_f32 v[228:229], v[228:229], v[226:227] neg_lo:[0,1] neg_hi:[0,1]
	v_pk_add_f32 v[234:235], v[234:235], v[224:225] neg_lo:[0,1] neg_hi:[0,1]
	s_wait_dscnt 0x0
	v_pk_mul_f32 v[224:225], v[206:207], v[202:203] op_sel:[0,1]
	s_delay_alu instid0(VALU_DEP_1) | instskip(SKIP_1) | instid1(VALU_DEP_1)
	v_pk_fma_f32 v[226:227], v[206:207], v[218:219], v[224:225] op_sel:[0,0,1] op_sel_hi:[1,1,0] neg_lo:[0,0,1] neg_hi:[0,0,1]
	v_pk_fma_f32 v[206:207], v[206:207], v[218:219], v[224:225] op_sel:[0,0,1] op_sel_hi:[1,0,0]
	v_dual_mov_b32 v206, v209 :: v_dual_mov_b32 v227, v207
	v_mov_b32_e32 v207, v208
	s_delay_alu instid0(VALU_DEP_2) | instskip(NEXT) | instid1(VALU_DEP_2)
	v_pk_add_f32 v[242:243], v[242:243], v[226:227] neg_lo:[0,1] neg_hi:[0,1]
	v_pk_mul_f32 v[202:203], v[206:207], v[202:203] op_sel:[0,1]
	s_delay_alu instid0(VALU_DEP_1) | instskip(SKIP_1) | instid1(VALU_DEP_1)
	v_pk_fma_f32 v[206:207], v[208:209], v[218:219], v[202:203] neg_lo:[0,0,1] neg_hi:[0,0,1]
	v_pk_fma_f32 v[202:203], v[208:209], v[218:219], v[202:203] op_sel_hi:[1,0,1]
	v_mov_b32_e32 v207, v203
	s_delay_alu instid0(VALU_DEP_1)
	v_pk_add_f32 v[244:245], v[244:245], v[206:207] neg_lo:[0,1] neg_hi:[0,1]
.LBB121_514:
	s_or_b32 exec_lo, exec_lo, s1
	s_delay_alu instid0(SALU_CYCLE_1)
	s_mov_b32 s2, exec_lo
	s_wait_dscnt 0x0
	s_barrier_signal -1
	s_barrier_wait -1
	v_cmpx_eq_u32_e32 57, v220
	s_cbranch_execz .LBB121_521
; %bb.515:
	v_dual_mov_b32 v202, v234 :: v_dual_mov_b32 v203, v235
	v_dual_mov_b32 v206, v242 :: v_dual_mov_b32 v207, v243
	ds_store_b64 v221, v[228:229]
	ds_store_2addr_b64 v222, v[202:203], v[206:207] offset0:58 offset1:59
	ds_store_b64 v222, v[244:245] offset:480
	ds_load_b64 v[202:203], v221
	s_wait_dscnt 0x0
	v_cmp_neq_f32_e32 vcc_lo, 0, v202
	v_cmp_neq_f32_e64 s1, 0, v203
	s_or_b32 s1, vcc_lo, s1
	s_delay_alu instid0(SALU_CYCLE_1)
	s_and_b32 exec_lo, exec_lo, s1
	s_cbranch_execz .LBB121_521
; %bb.516:
	v_cmp_ngt_f32_e64 s1, |v202|, |v203|
                                        ; implicit-def: $vgpr206_vgpr207
	s_and_saveexec_b32 s4, s1
	s_delay_alu instid0(SALU_CYCLE_1)
	s_xor_b32 s1, exec_lo, s4
	s_cbranch_execz .LBB121_518
; %bb.517:
	v_div_scale_f32 v206, null, v203, v203, v202
	v_div_scale_f32 v209, vcc_lo, v202, v203, v202
	s_delay_alu instid0(VALU_DEP_2) | instskip(SKIP_1) | instid1(TRANS32_DEP_1)
	v_rcp_f32_e32 v207, v206
	v_nop
	v_fma_f32 v208, -v206, v207, 1.0
	s_delay_alu instid0(VALU_DEP_1) | instskip(NEXT) | instid1(VALU_DEP_1)
	v_fmac_f32_e32 v207, v208, v207
	v_mul_f32_e32 v208, v209, v207
	s_delay_alu instid0(VALU_DEP_1) | instskip(NEXT) | instid1(VALU_DEP_1)
	v_fma_f32 v218, -v206, v208, v209
	v_fmac_f32_e32 v208, v218, v207
	s_delay_alu instid0(VALU_DEP_1) | instskip(NEXT) | instid1(VALU_DEP_1)
	v_fma_f32 v206, -v206, v208, v209
	v_div_fmas_f32 v206, v206, v207, v208
	s_delay_alu instid0(VALU_DEP_1) | instskip(NEXT) | instid1(VALU_DEP_1)
	v_div_fixup_f32 v206, v206, v203, v202
	v_fmac_f32_e32 v203, v202, v206
	s_delay_alu instid0(VALU_DEP_1) | instskip(SKIP_1) | instid1(VALU_DEP_2)
	v_div_scale_f32 v202, null, v203, v203, 1.0
	v_div_scale_f32 v209, vcc_lo, 1.0, v203, 1.0
	v_rcp_f32_e32 v207, v202
	v_nop
	s_delay_alu instid0(TRANS32_DEP_1) | instskip(NEXT) | instid1(VALU_DEP_1)
	v_fma_f32 v208, -v202, v207, 1.0
	v_fmac_f32_e32 v207, v208, v207
	s_delay_alu instid0(VALU_DEP_1) | instskip(NEXT) | instid1(VALU_DEP_1)
	v_mul_f32_e32 v208, v209, v207
	v_fma_f32 v218, -v202, v208, v209
	s_delay_alu instid0(VALU_DEP_1) | instskip(NEXT) | instid1(VALU_DEP_1)
	v_fmac_f32_e32 v208, v218, v207
	v_fma_f32 v202, -v202, v208, v209
	s_delay_alu instid0(VALU_DEP_1) | instskip(NEXT) | instid1(VALU_DEP_1)
	v_div_fmas_f32 v202, v202, v207, v208
	v_div_fixup_f32 v202, v202, v203, 1.0
	s_delay_alu instid0(VALU_DEP_1)
	v_mul_f32_e32 v206, v206, v202
	v_xor_b32_e32 v207, 0x80000000, v202
                                        ; implicit-def: $vgpr202_vgpr203
.LBB121_518:
	s_and_not1_saveexec_b32 s1, s1
	s_cbranch_execz .LBB121_520
; %bb.519:
	v_div_scale_f32 v206, null, v202, v202, v203
	v_div_scale_f32 v209, vcc_lo, v203, v202, v203
	s_delay_alu instid0(VALU_DEP_2) | instskip(SKIP_1) | instid1(TRANS32_DEP_1)
	v_rcp_f32_e32 v207, v206
	v_nop
	v_fma_f32 v208, -v206, v207, 1.0
	s_delay_alu instid0(VALU_DEP_1) | instskip(NEXT) | instid1(VALU_DEP_1)
	v_fmac_f32_e32 v207, v208, v207
	v_mul_f32_e32 v208, v209, v207
	s_delay_alu instid0(VALU_DEP_1) | instskip(NEXT) | instid1(VALU_DEP_1)
	v_fma_f32 v218, -v206, v208, v209
	v_fmac_f32_e32 v208, v218, v207
	s_delay_alu instid0(VALU_DEP_1) | instskip(NEXT) | instid1(VALU_DEP_1)
	v_fma_f32 v206, -v206, v208, v209
	v_div_fmas_f32 v206, v206, v207, v208
	s_delay_alu instid0(VALU_DEP_1) | instskip(NEXT) | instid1(VALU_DEP_1)
	v_div_fixup_f32 v207, v206, v202, v203
	v_fmac_f32_e32 v202, v203, v207
	s_delay_alu instid0(VALU_DEP_1) | instskip(NEXT) | instid1(VALU_DEP_1)
	v_div_scale_f32 v203, null, v202, v202, 1.0
	v_rcp_f32_e32 v206, v203
	v_nop
	s_delay_alu instid0(TRANS32_DEP_1) | instskip(NEXT) | instid1(VALU_DEP_1)
	v_fma_f32 v208, -v203, v206, 1.0
	v_fmac_f32_e32 v206, v208, v206
	v_div_scale_f32 v208, vcc_lo, 1.0, v202, 1.0
	s_delay_alu instid0(VALU_DEP_1) | instskip(NEXT) | instid1(VALU_DEP_1)
	v_mul_f32_e32 v209, v208, v206
	v_fma_f32 v218, -v203, v209, v208
	s_delay_alu instid0(VALU_DEP_1) | instskip(NEXT) | instid1(VALU_DEP_1)
	v_fmac_f32_e32 v209, v218, v206
	v_fma_f32 v203, -v203, v209, v208
	s_delay_alu instid0(VALU_DEP_1) | instskip(NEXT) | instid1(VALU_DEP_1)
	v_div_fmas_f32 v203, v203, v206, v209
	v_div_fixup_f32 v206, v203, v202, 1.0
	s_delay_alu instid0(VALU_DEP_1)
	v_mul_f32_e64 v207, v207, -v206
.LBB121_520:
	s_or_b32 exec_lo, exec_lo, s1
	ds_store_b64 v221, v[206:207]
.LBB121_521:
	s_or_b32 exec_lo, exec_lo, s2
	s_wait_dscnt 0x0
	s_barrier_signal -1
	s_barrier_wait -1
	ds_load_b64 v[206:207], v221
	s_mov_b32 s1, exec_lo
	v_cmpx_lt_u32_e32 57, v220
	s_cbranch_execz .LBB121_523
; %bb.522:
	ds_load_2addr_b64 v[224:227], v222 offset0:58 offset1:59
	s_wait_dscnt 0x1
	v_pk_mul_f32 v[202:203], v[206:207], v[228:229] op_sel:[1,1] op_sel_hi:[0,1]
	s_delay_alu instid0(VALU_DEP_1) | instskip(SKIP_1) | instid1(VALU_DEP_1)
	v_pk_fma_f32 v[208:209], v[206:207], v[228:229], v[202:203] op_sel_hi:[1,0,1] neg_lo:[0,0,1] neg_hi:[0,0,1]
	v_pk_fma_f32 v[202:203], v[206:207], v[228:229], v[202:203] op_sel_hi:[1,0,1]
	v_dual_mov_b32 v228, v208 :: v_dual_mov_b32 v229, v203
	s_wait_dscnt 0x0
	s_delay_alu instid0(VALU_DEP_2) | instskip(NEXT) | instid1(VALU_DEP_1)
	v_pk_mul_f32 v[218:219], v[224:225], v[202:203] op_sel:[0,1]
	v_pk_fma_f32 v[246:247], v[224:225], v[208:209], v[218:219] op_sel:[0,0,1] op_sel_hi:[1,1,0] neg_lo:[0,0,1] neg_hi:[0,0,1]
	v_pk_fma_f32 v[218:219], v[224:225], v[208:209], v[218:219] op_sel:[0,0,1] op_sel_hi:[1,0,0]
	s_delay_alu instid0(VALU_DEP_1) | instskip(SKIP_1) | instid1(VALU_DEP_1)
	v_mov_b32_e32 v247, v219
	v_pk_mul_f32 v[218:219], v[226:227], v[202:203] op_sel:[0,1]
	v_pk_fma_f32 v[224:225], v[226:227], v[208:209], v[218:219] op_sel:[0,0,1] op_sel_hi:[1,1,0] neg_lo:[0,0,1] neg_hi:[0,0,1]
	v_pk_fma_f32 v[218:219], v[226:227], v[208:209], v[218:219] op_sel:[0,0,1] op_sel_hi:[1,0,0]
	s_delay_alu instid0(VALU_DEP_1)
	v_mov_b32_e32 v225, v219
	ds_load_b64 v[218:219], v222 offset:480
	v_pk_add_f32 v[234:235], v[234:235], v[246:247] neg_lo:[0,1] neg_hi:[0,1]
	v_pk_add_f32 v[242:243], v[242:243], v[224:225] neg_lo:[0,1] neg_hi:[0,1]
	s_wait_dscnt 0x0
	v_pk_mul_f32 v[202:203], v[218:219], v[202:203] op_sel:[1,1] op_sel_hi:[0,1]
	s_delay_alu instid0(VALU_DEP_1) | instskip(SKIP_1) | instid1(VALU_DEP_1)
	v_pk_fma_f32 v[224:225], v[218:219], v[208:209], v[202:203] neg_lo:[0,0,1] neg_hi:[0,0,1]
	v_pk_fma_f32 v[202:203], v[218:219], v[208:209], v[202:203] op_sel_hi:[1,0,1]
	v_mov_b32_e32 v225, v203
	s_delay_alu instid0(VALU_DEP_1)
	v_pk_add_f32 v[244:245], v[244:245], v[224:225] neg_lo:[0,1] neg_hi:[0,1]
.LBB121_523:
	s_or_b32 exec_lo, exec_lo, s1
	s_delay_alu instid0(SALU_CYCLE_1)
	s_mov_b32 s2, exec_lo
	s_wait_dscnt 0x0
	s_barrier_signal -1
	s_barrier_wait -1
	v_cmpx_eq_u32_e32 58, v220
	s_cbranch_execz .LBB121_530
; %bb.524:
	ds_store_b64 v221, v[234:235]
	ds_store_2addr_b64 v222, v[242:243], v[244:245] offset0:59 offset1:60
	ds_load_b64 v[202:203], v221
	s_wait_dscnt 0x0
	v_cmp_neq_f32_e32 vcc_lo, 0, v202
	v_cmp_neq_f32_e64 s1, 0, v203
	s_or_b32 s1, vcc_lo, s1
	s_delay_alu instid0(SALU_CYCLE_1)
	s_and_b32 exec_lo, exec_lo, s1
	s_cbranch_execz .LBB121_530
; %bb.525:
	v_cmp_ngt_f32_e64 s1, |v202|, |v203|
                                        ; implicit-def: $vgpr208_vgpr209
	s_and_saveexec_b32 s4, s1
	s_delay_alu instid0(SALU_CYCLE_1)
	s_xor_b32 s1, exec_lo, s4
	s_cbranch_execz .LBB121_527
; %bb.526:
	v_div_scale_f32 v208, null, v203, v203, v202
	v_div_scale_f32 v219, vcc_lo, v202, v203, v202
	s_delay_alu instid0(VALU_DEP_2) | instskip(SKIP_1) | instid1(TRANS32_DEP_1)
	v_rcp_f32_e32 v209, v208
	v_nop
	v_fma_f32 v218, -v208, v209, 1.0
	s_delay_alu instid0(VALU_DEP_1) | instskip(NEXT) | instid1(VALU_DEP_1)
	v_fmac_f32_e32 v209, v218, v209
	v_mul_f32_e32 v218, v219, v209
	s_delay_alu instid0(VALU_DEP_1) | instskip(NEXT) | instid1(VALU_DEP_1)
	v_fma_f32 v223, -v208, v218, v219
	v_fmac_f32_e32 v218, v223, v209
	s_delay_alu instid0(VALU_DEP_1) | instskip(NEXT) | instid1(VALU_DEP_1)
	v_fma_f32 v208, -v208, v218, v219
	v_div_fmas_f32 v208, v208, v209, v218
	s_delay_alu instid0(VALU_DEP_1) | instskip(NEXT) | instid1(VALU_DEP_1)
	v_div_fixup_f32 v208, v208, v203, v202
	v_fmac_f32_e32 v203, v202, v208
	s_delay_alu instid0(VALU_DEP_1) | instskip(SKIP_1) | instid1(VALU_DEP_2)
	v_div_scale_f32 v202, null, v203, v203, 1.0
	v_div_scale_f32 v219, vcc_lo, 1.0, v203, 1.0
	v_rcp_f32_e32 v209, v202
	v_nop
	s_delay_alu instid0(TRANS32_DEP_1) | instskip(NEXT) | instid1(VALU_DEP_1)
	v_fma_f32 v218, -v202, v209, 1.0
	v_fmac_f32_e32 v209, v218, v209
	s_delay_alu instid0(VALU_DEP_1) | instskip(NEXT) | instid1(VALU_DEP_1)
	v_mul_f32_e32 v218, v219, v209
	v_fma_f32 v223, -v202, v218, v219
	s_delay_alu instid0(VALU_DEP_1) | instskip(NEXT) | instid1(VALU_DEP_1)
	v_fmac_f32_e32 v218, v223, v209
	v_fma_f32 v202, -v202, v218, v219
	s_delay_alu instid0(VALU_DEP_1) | instskip(NEXT) | instid1(VALU_DEP_1)
	v_div_fmas_f32 v202, v202, v209, v218
	v_div_fixup_f32 v202, v202, v203, 1.0
	s_delay_alu instid0(VALU_DEP_1)
	v_mul_f32_e32 v208, v208, v202
	v_xor_b32_e32 v209, 0x80000000, v202
                                        ; implicit-def: $vgpr202_vgpr203
.LBB121_527:
	s_and_not1_saveexec_b32 s1, s1
	s_cbranch_execz .LBB121_529
; %bb.528:
	v_div_scale_f32 v208, null, v202, v202, v203
	v_div_scale_f32 v219, vcc_lo, v203, v202, v203
	s_delay_alu instid0(VALU_DEP_2) | instskip(SKIP_1) | instid1(TRANS32_DEP_1)
	v_rcp_f32_e32 v209, v208
	v_nop
	v_fma_f32 v218, -v208, v209, 1.0
	s_delay_alu instid0(VALU_DEP_1) | instskip(NEXT) | instid1(VALU_DEP_1)
	v_fmac_f32_e32 v209, v218, v209
	v_mul_f32_e32 v218, v219, v209
	s_delay_alu instid0(VALU_DEP_1) | instskip(NEXT) | instid1(VALU_DEP_1)
	v_fma_f32 v223, -v208, v218, v219
	v_fmac_f32_e32 v218, v223, v209
	s_delay_alu instid0(VALU_DEP_1) | instskip(NEXT) | instid1(VALU_DEP_1)
	v_fma_f32 v208, -v208, v218, v219
	v_div_fmas_f32 v208, v208, v209, v218
	s_delay_alu instid0(VALU_DEP_1) | instskip(NEXT) | instid1(VALU_DEP_1)
	v_div_fixup_f32 v209, v208, v202, v203
	v_fmac_f32_e32 v202, v203, v209
	s_delay_alu instid0(VALU_DEP_1) | instskip(NEXT) | instid1(VALU_DEP_1)
	v_div_scale_f32 v203, null, v202, v202, 1.0
	v_rcp_f32_e32 v208, v203
	v_nop
	s_delay_alu instid0(TRANS32_DEP_1) | instskip(NEXT) | instid1(VALU_DEP_1)
	v_fma_f32 v218, -v203, v208, 1.0
	v_fmac_f32_e32 v208, v218, v208
	v_div_scale_f32 v218, vcc_lo, 1.0, v202, 1.0
	s_delay_alu instid0(VALU_DEP_1) | instskip(NEXT) | instid1(VALU_DEP_1)
	v_mul_f32_e32 v219, v218, v208
	v_fma_f32 v223, -v203, v219, v218
	s_delay_alu instid0(VALU_DEP_1) | instskip(NEXT) | instid1(VALU_DEP_1)
	v_fmac_f32_e32 v219, v223, v208
	v_fma_f32 v203, -v203, v219, v218
	s_delay_alu instid0(VALU_DEP_1) | instskip(NEXT) | instid1(VALU_DEP_1)
	v_div_fmas_f32 v203, v203, v208, v219
	v_div_fixup_f32 v208, v203, v202, 1.0
	s_delay_alu instid0(VALU_DEP_1)
	v_mul_f32_e64 v209, v209, -v208
.LBB121_529:
	s_or_b32 exec_lo, exec_lo, s1
	ds_store_b64 v221, v[208:209]
.LBB121_530:
	s_or_b32 exec_lo, exec_lo, s2
	s_wait_dscnt 0x0
	s_barrier_signal -1
	s_barrier_wait -1
	ds_load_b64 v[208:209], v221
	s_mov_b32 s1, exec_lo
	v_cmpx_lt_u32_e32 58, v220
	s_cbranch_execz .LBB121_532
; %bb.531:
	ds_load_2addr_b64 v[224:227], v222 offset0:59 offset1:60
	s_wait_dscnt 0x1
	v_pk_mul_f32 v[202:203], v[208:209], v[234:235] op_sel:[1,1] op_sel_hi:[0,1]
	v_mov_b64_e32 v[0:1], v[254:255]
	v_mov_b64_e32 v[254:255], v[16:17]
	;; [unrolled: 1-line block ×4, first 2 shown]
	v_pk_fma_f32 v[218:219], v[208:209], v[234:235], v[202:203] op_sel_hi:[1,0,1] neg_lo:[0,0,1] neg_hi:[0,0,1]
	v_pk_fma_f32 v[202:203], v[208:209], v[234:235], v[202:203] op_sel_hi:[1,0,1]
	v_mov_b64_e32 v[250:251], v[248:249]
	s_delay_alu instid0(VALU_DEP_2) | instskip(SKIP_1) | instid1(VALU_DEP_3)
	v_dual_mov_b32 v234, v218 :: v_dual_mov_b32 v235, v203
	s_wait_dscnt 0x0
	v_pk_mul_f32 v[246:247], v[224:225], v[202:203] op_sel:[0,1]
	s_delay_alu instid0(VALU_DEP_1) | instskip(SKIP_1) | instid1(VALU_DEP_1)
	v_pk_fma_f32 v[248:249], v[224:225], v[218:219], v[246:247] op_sel:[0,0,1] op_sel_hi:[1,1,0] neg_lo:[0,0,1] neg_hi:[0,0,1]
	v_pk_fma_f32 v[224:225], v[224:225], v[218:219], v[246:247] op_sel:[0,0,1] op_sel_hi:[1,0,0]
	v_dual_mov_b32 v224, v227 :: v_dual_mov_b32 v249, v225
	v_mov_b32_e32 v225, v226
	s_delay_alu instid0(VALU_DEP_2) | instskip(NEXT) | instid1(VALU_DEP_2)
	v_pk_add_f32 v[242:243], v[242:243], v[248:249] neg_lo:[0,1] neg_hi:[0,1]
	v_pk_mul_f32 v[202:203], v[224:225], v[202:203] op_sel:[0,1]
	v_mov_b64_e32 v[248:249], v[250:251]
	v_mov_b64_e32 v[250:251], v[252:253]
	;; [unrolled: 1-line block ×4, first 2 shown]
	v_pk_fma_f32 v[224:225], v[226:227], v[218:219], v[202:203] neg_lo:[0,0,1] neg_hi:[0,0,1]
	v_pk_fma_f32 v[202:203], v[226:227], v[218:219], v[202:203] op_sel_hi:[1,0,1]
	v_mov_b64_e32 v[254:255], v[0:1]
	s_delay_alu instid0(VALU_DEP_2) | instskip(NEXT) | instid1(VALU_DEP_1)
	v_mov_b32_e32 v225, v203
	v_pk_add_f32 v[244:245], v[244:245], v[224:225] neg_lo:[0,1] neg_hi:[0,1]
.LBB121_532:
	s_or_b32 exec_lo, exec_lo, s1
	s_delay_alu instid0(SALU_CYCLE_1)
	s_mov_b32 s2, exec_lo
	s_wait_dscnt 0x0
	s_barrier_signal -1
	s_barrier_wait -1
	v_cmpx_eq_u32_e32 59, v220
	s_cbranch_execz .LBB121_539
; %bb.533:
	ds_store_b64 v221, v[242:243]
	ds_store_b64 v222, v[244:245] offset:480
	ds_load_b64 v[202:203], v221
	s_wait_dscnt 0x0
	v_cmp_neq_f32_e32 vcc_lo, 0, v202
	v_cmp_neq_f32_e64 s1, 0, v203
	s_or_b32 s1, vcc_lo, s1
	s_delay_alu instid0(SALU_CYCLE_1)
	s_and_b32 exec_lo, exec_lo, s1
	s_cbranch_execz .LBB121_539
; %bb.534:
	v_cmp_ngt_f32_e64 s1, |v202|, |v203|
                                        ; implicit-def: $vgpr218_vgpr219
	s_and_saveexec_b32 s4, s1
	s_delay_alu instid0(SALU_CYCLE_1)
	s_xor_b32 s1, exec_lo, s4
	s_cbranch_execz .LBB121_536
; %bb.535:
	v_div_scale_f32 v218, null, v203, v203, v202
	v_div_scale_f32 v224, vcc_lo, v202, v203, v202
	s_delay_alu instid0(VALU_DEP_2) | instskip(SKIP_1) | instid1(TRANS32_DEP_1)
	v_rcp_f32_e32 v219, v218
	v_nop
	v_fma_f32 v223, -v218, v219, 1.0
	s_delay_alu instid0(VALU_DEP_1) | instskip(NEXT) | instid1(VALU_DEP_1)
	v_fmac_f32_e32 v219, v223, v219
	v_mul_f32_e32 v223, v224, v219
	s_delay_alu instid0(VALU_DEP_1) | instskip(NEXT) | instid1(VALU_DEP_1)
	v_fma_f32 v225, -v218, v223, v224
	v_fmac_f32_e32 v223, v225, v219
	s_delay_alu instid0(VALU_DEP_1) | instskip(NEXT) | instid1(VALU_DEP_1)
	v_fma_f32 v218, -v218, v223, v224
	v_div_fmas_f32 v218, v218, v219, v223
	s_delay_alu instid0(VALU_DEP_1) | instskip(NEXT) | instid1(VALU_DEP_1)
	v_div_fixup_f32 v218, v218, v203, v202
	v_fmac_f32_e32 v203, v202, v218
	s_delay_alu instid0(VALU_DEP_1) | instskip(SKIP_1) | instid1(VALU_DEP_2)
	v_div_scale_f32 v202, null, v203, v203, 1.0
	v_div_scale_f32 v224, vcc_lo, 1.0, v203, 1.0
	v_rcp_f32_e32 v219, v202
	v_nop
	s_delay_alu instid0(TRANS32_DEP_1) | instskip(NEXT) | instid1(VALU_DEP_1)
	v_fma_f32 v223, -v202, v219, 1.0
	v_fmac_f32_e32 v219, v223, v219
	s_delay_alu instid0(VALU_DEP_1) | instskip(NEXT) | instid1(VALU_DEP_1)
	v_mul_f32_e32 v223, v224, v219
	v_fma_f32 v225, -v202, v223, v224
	s_delay_alu instid0(VALU_DEP_1) | instskip(NEXT) | instid1(VALU_DEP_1)
	v_fmac_f32_e32 v223, v225, v219
	v_fma_f32 v202, -v202, v223, v224
	s_delay_alu instid0(VALU_DEP_1) | instskip(NEXT) | instid1(VALU_DEP_1)
	v_div_fmas_f32 v202, v202, v219, v223
	v_div_fixup_f32 v202, v202, v203, 1.0
	s_delay_alu instid0(VALU_DEP_1)
	v_mul_f32_e32 v218, v218, v202
	v_xor_b32_e32 v219, 0x80000000, v202
                                        ; implicit-def: $vgpr202_vgpr203
.LBB121_536:
	s_and_not1_saveexec_b32 s1, s1
	s_cbranch_execz .LBB121_538
; %bb.537:
	v_div_scale_f32 v218, null, v202, v202, v203
	v_div_scale_f32 v224, vcc_lo, v203, v202, v203
	s_delay_alu instid0(VALU_DEP_2) | instskip(SKIP_1) | instid1(TRANS32_DEP_1)
	v_rcp_f32_e32 v219, v218
	v_nop
	v_fma_f32 v223, -v218, v219, 1.0
	s_delay_alu instid0(VALU_DEP_1) | instskip(NEXT) | instid1(VALU_DEP_1)
	v_fmac_f32_e32 v219, v223, v219
	v_mul_f32_e32 v223, v224, v219
	s_delay_alu instid0(VALU_DEP_1) | instskip(NEXT) | instid1(VALU_DEP_1)
	v_fma_f32 v225, -v218, v223, v224
	v_fmac_f32_e32 v223, v225, v219
	s_delay_alu instid0(VALU_DEP_1) | instskip(NEXT) | instid1(VALU_DEP_1)
	v_fma_f32 v218, -v218, v223, v224
	v_div_fmas_f32 v218, v218, v219, v223
	s_delay_alu instid0(VALU_DEP_1) | instskip(NEXT) | instid1(VALU_DEP_1)
	v_div_fixup_f32 v219, v218, v202, v203
	v_fmac_f32_e32 v202, v203, v219
	s_delay_alu instid0(VALU_DEP_1) | instskip(NEXT) | instid1(VALU_DEP_1)
	v_div_scale_f32 v203, null, v202, v202, 1.0
	v_rcp_f32_e32 v218, v203
	v_nop
	s_delay_alu instid0(TRANS32_DEP_1) | instskip(NEXT) | instid1(VALU_DEP_1)
	v_fma_f32 v223, -v203, v218, 1.0
	v_fmac_f32_e32 v218, v223, v218
	v_div_scale_f32 v223, vcc_lo, 1.0, v202, 1.0
	s_delay_alu instid0(VALU_DEP_1) | instskip(NEXT) | instid1(VALU_DEP_1)
	v_mul_f32_e32 v224, v223, v218
	v_fma_f32 v225, -v203, v224, v223
	s_delay_alu instid0(VALU_DEP_1) | instskip(NEXT) | instid1(VALU_DEP_1)
	v_fmac_f32_e32 v224, v225, v218
	v_fma_f32 v203, -v203, v224, v223
	s_delay_alu instid0(VALU_DEP_1) | instskip(NEXT) | instid1(VALU_DEP_1)
	v_div_fmas_f32 v203, v203, v218, v224
	v_div_fixup_f32 v218, v203, v202, 1.0
	s_delay_alu instid0(VALU_DEP_1)
	v_mul_f32_e64 v219, v219, -v218
.LBB121_538:
	s_or_b32 exec_lo, exec_lo, s1
	ds_store_b64 v221, v[218:219]
.LBB121_539:
	s_or_b32 exec_lo, exec_lo, s2
	s_wait_dscnt 0x0
	s_barrier_signal -1
	s_barrier_wait -1
	ds_load_b64 v[218:219], v221
	s_mov_b32 s1, exec_lo
	v_cmpx_lt_u32_e32 59, v220
	s_cbranch_execz .LBB121_541
; %bb.540:
	ds_load_b64 v[202:203], v222 offset:480
	s_wait_dscnt 0x1
	v_pk_mul_f32 v[222:223], v[218:219], v[242:243] op_sel:[1,1] op_sel_hi:[0,1]
	s_delay_alu instid0(VALU_DEP_1) | instskip(SKIP_2) | instid1(VALU_DEP_2)
	v_pk_fma_f32 v[224:225], v[218:219], v[242:243], v[222:223] op_sel_hi:[1,0,1]
	v_pk_fma_f32 v[242:243], v[218:219], v[242:243], v[222:223] op_sel_hi:[1,0,1] neg_lo:[0,0,1] neg_hi:[0,0,1]
	s_wait_dscnt 0x0
	v_pk_mul_f32 v[222:223], v[202:203], v[224:225] op_sel:[1,1] op_sel_hi:[0,1]
	s_delay_alu instid0(VALU_DEP_1) | instskip(SKIP_1) | instid1(VALU_DEP_2)
	v_pk_fma_f32 v[226:227], v[202:203], v[242:243], v[222:223] op_sel_hi:[1,0,1]
	v_pk_fma_f32 v[202:203], v[202:203], v[242:243], v[222:223] neg_lo:[0,0,1] neg_hi:[0,0,1]
	v_dual_mov_b32 v243, v225 :: v_dual_mov_b32 v203, v227
	s_delay_alu instid0(VALU_DEP_1)
	v_pk_add_f32 v[244:245], v[244:245], v[202:203] neg_lo:[0,1] neg_hi:[0,1]
.LBB121_541:
	s_or_b32 exec_lo, exec_lo, s1
	s_delay_alu instid0(SALU_CYCLE_1)
	s_mov_b32 s2, exec_lo
	s_wait_dscnt 0x0
	s_barrier_signal -1
	s_barrier_wait -1
	v_cmpx_eq_u32_e32 60, v220
	s_cbranch_execz .LBB121_548
; %bb.542:
	v_cmp_neq_f32_e32 vcc_lo, 0, v244
	v_cmp_neq_f32_e64 s1, 0, v245
	ds_store_b64 v221, v[244:245]
	s_or_b32 s1, vcc_lo, s1
	s_delay_alu instid0(SALU_CYCLE_1)
	s_and_b32 exec_lo, exec_lo, s1
	s_cbranch_execz .LBB121_548
; %bb.543:
	v_cmp_ngt_f32_e64 s1, |v244|, |v245|
                                        ; implicit-def: $vgpr202_vgpr203
	s_and_saveexec_b32 s4, s1
	s_delay_alu instid0(SALU_CYCLE_1)
	s_xor_b32 s1, exec_lo, s4
	s_cbranch_execz .LBB121_545
; %bb.544:
	v_div_scale_f32 v202, null, v245, v245, v244
	v_div_scale_f32 v223, vcc_lo, v244, v245, v244
	s_delay_alu instid0(VALU_DEP_2) | instskip(SKIP_1) | instid1(TRANS32_DEP_1)
	v_rcp_f32_e32 v203, v202
	v_nop
	v_fma_f32 v222, -v202, v203, 1.0
	s_delay_alu instid0(VALU_DEP_1) | instskip(NEXT) | instid1(VALU_DEP_1)
	v_fmac_f32_e32 v203, v222, v203
	v_mul_f32_e32 v222, v223, v203
	s_delay_alu instid0(VALU_DEP_1) | instskip(NEXT) | instid1(VALU_DEP_1)
	v_fma_f32 v224, -v202, v222, v223
	v_fmac_f32_e32 v222, v224, v203
	s_delay_alu instid0(VALU_DEP_1) | instskip(NEXT) | instid1(VALU_DEP_1)
	v_fma_f32 v202, -v202, v222, v223
	v_div_fmas_f32 v202, v202, v203, v222
	s_delay_alu instid0(VALU_DEP_1) | instskip(NEXT) | instid1(VALU_DEP_1)
	v_div_fixup_f32 v202, v202, v245, v244
	v_fma_f32 v203, v244, v202, v245
	s_delay_alu instid0(VALU_DEP_1) | instskip(SKIP_1) | instid1(VALU_DEP_2)
	v_div_scale_f32 v222, null, v203, v203, 1.0
	v_div_scale_f32 v225, vcc_lo, 1.0, v203, 1.0
	v_rcp_f32_e32 v223, v222
	v_nop
	s_delay_alu instid0(TRANS32_DEP_1) | instskip(NEXT) | instid1(VALU_DEP_1)
	v_fma_f32 v224, -v222, v223, 1.0
	v_fmac_f32_e32 v223, v224, v223
	s_delay_alu instid0(VALU_DEP_1) | instskip(NEXT) | instid1(VALU_DEP_1)
	v_mul_f32_e32 v224, v225, v223
	v_fma_f32 v226, -v222, v224, v225
	s_delay_alu instid0(VALU_DEP_1) | instskip(NEXT) | instid1(VALU_DEP_1)
	v_fmac_f32_e32 v224, v226, v223
	v_fma_f32 v222, -v222, v224, v225
	s_delay_alu instid0(VALU_DEP_1) | instskip(NEXT) | instid1(VALU_DEP_1)
	v_div_fmas_f32 v222, v222, v223, v224
	v_div_fixup_f32 v203, v222, v203, 1.0
	s_delay_alu instid0(VALU_DEP_1)
	v_mul_f32_e32 v202, v202, v203
	v_xor_b32_e32 v203, 0x80000000, v203
.LBB121_545:
	s_and_not1_saveexec_b32 s1, s1
	s_cbranch_execz .LBB121_547
; %bb.546:
	v_div_scale_f32 v202, null, v244, v244, v245
	v_div_scale_f32 v223, vcc_lo, v245, v244, v245
	s_delay_alu instid0(VALU_DEP_2) | instskip(SKIP_1) | instid1(TRANS32_DEP_1)
	v_rcp_f32_e32 v203, v202
	v_nop
	v_fma_f32 v222, -v202, v203, 1.0
	s_delay_alu instid0(VALU_DEP_1) | instskip(NEXT) | instid1(VALU_DEP_1)
	v_fmac_f32_e32 v203, v222, v203
	v_mul_f32_e32 v222, v223, v203
	s_delay_alu instid0(VALU_DEP_1) | instskip(NEXT) | instid1(VALU_DEP_1)
	v_fma_f32 v224, -v202, v222, v223
	v_fmac_f32_e32 v222, v224, v203
	s_delay_alu instid0(VALU_DEP_1) | instskip(NEXT) | instid1(VALU_DEP_1)
	v_fma_f32 v202, -v202, v222, v223
	v_div_fmas_f32 v202, v202, v203, v222
	s_delay_alu instid0(VALU_DEP_1) | instskip(NEXT) | instid1(VALU_DEP_1)
	v_div_fixup_f32 v203, v202, v244, v245
	v_fma_f32 v202, v245, v203, v244
	s_delay_alu instid0(VALU_DEP_1) | instskip(NEXT) | instid1(VALU_DEP_1)
	v_div_scale_f32 v222, null, v202, v202, 1.0
	v_rcp_f32_e32 v223, v222
	v_nop
	s_delay_alu instid0(TRANS32_DEP_1) | instskip(NEXT) | instid1(VALU_DEP_1)
	v_fma_f32 v224, -v222, v223, 1.0
	v_fmac_f32_e32 v223, v224, v223
	v_div_scale_f32 v224, vcc_lo, 1.0, v202, 1.0
	s_delay_alu instid0(VALU_DEP_1) | instskip(NEXT) | instid1(VALU_DEP_1)
	v_mul_f32_e32 v225, v224, v223
	v_fma_f32 v226, -v222, v225, v224
	s_delay_alu instid0(VALU_DEP_1) | instskip(NEXT) | instid1(VALU_DEP_1)
	v_fmac_f32_e32 v225, v226, v223
	v_fma_f32 v222, -v222, v225, v224
	s_delay_alu instid0(VALU_DEP_1) | instskip(NEXT) | instid1(VALU_DEP_1)
	v_div_fmas_f32 v222, v222, v223, v225
	v_div_fixup_f32 v202, v222, v202, 1.0
	s_delay_alu instid0(VALU_DEP_1)
	v_mul_f32_e64 v203, v203, -v202
.LBB121_547:
	s_or_b32 exec_lo, exec_lo, s1
	ds_store_b64 v221, v[202:203]
.LBB121_548:
	s_or_b32 exec_lo, exec_lo, s2
	s_wait_dscnt 0x0
	s_barrier_signal -1
	s_barrier_wait -1
	ds_load_b64 v[202:203], v221
	s_wait_dscnt 0x0
	s_barrier_signal -1
	s_barrier_wait -1
	s_and_saveexec_b32 s2, s0
	s_cbranch_execz .LBB121_551
; %bb.549:
	scratch_load_b64 v[0:1], off, off offset:448 th:TH_LOAD_LU ; 8-byte Folded Reload
	s_wait_loadcnt 0x0
	v_cmp_eq_f32_e32 vcc_lo, 0, v0
	v_cmp_eq_f32_e64 s0, 0, v1
	scratch_load_b64 v[0:1], off, off offset:456 th:TH_LOAD_LU ; 8-byte Folded Reload
	s_and_b32 s1, vcc_lo, s0
	s_delay_alu instid0(SALU_CYCLE_1)
	v_cndmask_b32_e64 v221, 0, 1, s1
	s_wait_loadcnt 0x0
	v_cmp_neq_f32_e32 vcc_lo, 0, v0
	v_cmp_neq_f32_e64 s0, 0, v1
	scratch_load_b64 v[0:1], off, off offset:464 th:TH_LOAD_LU ; 8-byte Folded Reload
	s_or_b32 s0, vcc_lo, s0
	s_delay_alu instid0(SALU_CYCLE_1)
	s_or_b32 vcc_lo, s0, s1
	v_cmp_eq_f32_e64 s1, 0, v203
	v_cndmask_b32_e32 v221, 2, v221, vcc_lo
	s_wait_loadcnt 0x0
	v_cmp_eq_f32_e32 vcc_lo, 0, v0
	v_cmp_eq_f32_e64 s0, 0, v1
	scratch_load_b64 v[0:1], off, off offset:472 th:TH_LOAD_LU ; 8-byte Folded Reload
	s_and_b32 s0, vcc_lo, s0
	v_cmp_eq_u32_e32 vcc_lo, 0, v221
	s_and_b32 s0, s0, vcc_lo
	s_delay_alu instid0(SALU_CYCLE_1)
	v_cndmask_b32_e64 v221, v221, 3, s0
	s_wait_loadcnt 0x0
	v_cmp_eq_f32_e32 vcc_lo, 0, v0
	v_cmp_eq_f32_e64 s0, 0, v1
	scratch_load_b64 v[0:1], off, off offset:480 th:TH_LOAD_LU ; 8-byte Folded Reload
	s_and_b32 s0, vcc_lo, s0
	v_cmp_eq_u32_e32 vcc_lo, 0, v221
	s_and_b32 s0, s0, vcc_lo
	s_delay_alu instid0(SALU_CYCLE_1)
	v_cndmask_b32_e64 v221, v221, 4, s0
	s_wait_loadcnt 0x0
	v_cmp_eq_f32_e32 vcc_lo, 0, v0
	v_cmp_eq_f32_e64 s0, 0, v1
	scratch_load_b64 v[0:1], off, off offset:488 th:TH_LOAD_LU ; 8-byte Folded Reload
	s_and_b32 s0, vcc_lo, s0
	v_cmp_eq_u32_e32 vcc_lo, 0, v221
	s_and_b32 s0, s0, vcc_lo
	s_delay_alu instid0(SALU_CYCLE_1)
	v_cndmask_b32_e64 v221, v221, 5, s0
	s_wait_loadcnt 0x0
	v_cmp_eq_f32_e32 vcc_lo, 0, v0
	v_cmp_eq_f32_e64 s0, 0, v1
	s_and_b32 s0, vcc_lo, s0
	v_cmp_eq_u32_e32 vcc_lo, 0, v221
	s_and_b32 s0, s0, vcc_lo
	v_cmp_eq_f32_e32 vcc_lo, 0, v2
	v_cndmask_b32_e64 v0, v221, 6, s0
	v_cmp_eq_f32_e64 s0, 0, v3
	s_and_b32 s0, vcc_lo, s0
	v_cmp_eq_u32_e32 vcc_lo, 0, v0
	s_and_b32 s0, s0, vcc_lo
	v_cmp_eq_f32_e32 vcc_lo, 0, v4
	v_cndmask_b32_e64 v0, v0, 7, s0
	;; [unrolled: 6-line block ×54, first 2 shown]
	v_cmp_eq_f32_e64 s0, 0, v219
	s_and_b32 s0, vcc_lo, s0
	v_cmp_eq_u32_e32 vcc_lo, 0, v0
	s_and_b32 s0, s0, vcc_lo
	s_delay_alu instid0(SALU_CYCLE_1) | instskip(SKIP_1) | instid1(VALU_DEP_2)
	v_cndmask_b32_e64 v0, v0, 60, s0
	v_cmp_eq_f32_e64 s0, 0, v202
	v_cmp_eq_u32_e32 vcc_lo, 0, v0
	s_and_b32 s0, s0, s1
	s_delay_alu instid0(SALU_CYCLE_1) | instskip(NEXT) | instid1(SALU_CYCLE_1)
	s_and_b32 s0, s0, vcc_lo
	v_cndmask_b32_e64 v2, v0, 61, s0
	v_lshl_add_u64 v[0:1], v[32:33], 2, s[6:7]
	s_delay_alu instid0(VALU_DEP_2) | instskip(SKIP_4) | instid1(SALU_CYCLE_1)
	v_cmp_ne_u32_e64 s0, 0, v2
	global_load_b32 v3, v[0:1], off
	s_wait_loadcnt 0x0
	v_cmp_eq_u32_e32 vcc_lo, 0, v3
	s_and_b32 s0, vcc_lo, s0
	s_and_b32 exec_lo, exec_lo, s0
	s_cbranch_execz .LBB121_551
; %bb.550:
	v_add_nc_u32_e32 v2, s3, v2
	global_store_b32 v[0:1], v2, off
.LBB121_551:
	s_wait_xcnt 0x0
	s_or_b32 exec_lo, exec_lo, s2
	s_clause 0x1
	scratch_load_b64 v[2:3], off, off offset:24 th:TH_LOAD_LU
	scratch_load_b64 v[4:5], off, off th:TH_LOAD_LU
	v_pk_mul_f32 v[0:1], v[202:203], v[244:245] op_sel:[1,1] op_sel_hi:[0,1]
	v_cmp_lt_u32_e32 vcc_lo, 60, v220
	s_wait_loadcnt 0x1
	global_store_b64 v[2:3], v[56:57], off
	scratch_load_b64 v[2:3], off, off offset:56 th:TH_LOAD_LU ; 8-byte Folded Reload
	s_wait_loadcnt 0x0
	s_clause 0x2
	global_store_b64 v[2:3], v[58:59], off
	global_store_b64 v[252:253], v[48:49], off
	;; [unrolled: 1-line block ×3, first 2 shown]
	scratch_load_b64 v[4:5], off, off offset:8 th:TH_LOAD_LU ; 8-byte Folded Reload
	v_pk_fma_f32 v[2:3], v[202:203], v[244:245], v[0:1] op_sel_hi:[1,0,1]
	v_pk_fma_f32 v[0:1], v[202:203], v[244:245], v[0:1] neg_lo:[0,0,1] neg_hi:[0,0,1]
	s_delay_alu instid0(VALU_DEP_1)
	v_dual_cndmask_b32 v1, v245, v3 :: v_dual_cndmask_b32 v0, v244, v0
	s_wait_loadcnt 0x0
	s_clause 0x4
	global_store_b64 v[4:5], v[26:27], off
	global_store_b64 v[248:249], v[22:23], off
	;; [unrolled: 1-line block ×5, first 2 shown]
	scratch_load_b64 v[2:3], off, off offset:16 th:TH_LOAD_LU ; 8-byte Folded Reload
	s_wait_loadcnt 0x0
	global_store_b64 v[2:3], v[38:39], off
	scratch_load_b64 v[2:3], off, off offset:32 th:TH_LOAD_LU ; 8-byte Folded Reload
	s_wait_loadcnt 0x0
	global_store_b64 v[2:3], v[40:41], off
	;; [unrolled: 3-line block ×52, first 2 shown]
.LBB121_552:
	s_sendmsg sendmsg(MSG_DEALLOC_VGPRS)
	s_endpgm
	.section	.rodata,"a",@progbits
	.p2align	6, 0x0
	.amdhsa_kernel _ZN9rocsolver6v33100L23getf2_npvt_small_kernelILi61E19rocblas_complex_numIfEiiPS3_EEvT1_T3_lS5_lPT2_S5_S5_
		.amdhsa_group_segment_fixed_size 0
		.amdhsa_private_segment_fixed_size 500
		.amdhsa_kernarg_size 312
		.amdhsa_user_sgpr_count 2
		.amdhsa_user_sgpr_dispatch_ptr 0
		.amdhsa_user_sgpr_queue_ptr 0
		.amdhsa_user_sgpr_kernarg_segment_ptr 1
		.amdhsa_user_sgpr_dispatch_id 0
		.amdhsa_user_sgpr_kernarg_preload_length 0
		.amdhsa_user_sgpr_kernarg_preload_offset 0
		.amdhsa_user_sgpr_private_segment_size 0
		.amdhsa_wavefront_size32 1
		.amdhsa_uses_dynamic_stack 0
		.amdhsa_enable_private_segment 1
		.amdhsa_system_sgpr_workgroup_id_x 1
		.amdhsa_system_sgpr_workgroup_id_y 1
		.amdhsa_system_sgpr_workgroup_id_z 0
		.amdhsa_system_sgpr_workgroup_info 0
		.amdhsa_system_vgpr_workitem_id 1
		.amdhsa_next_free_vgpr 256
		.amdhsa_next_free_sgpr 15
		.amdhsa_named_barrier_count 0
		.amdhsa_reserve_vcc 1
		.amdhsa_float_round_mode_32 0
		.amdhsa_float_round_mode_16_64 0
		.amdhsa_float_denorm_mode_32 3
		.amdhsa_float_denorm_mode_16_64 3
		.amdhsa_fp16_overflow 0
		.amdhsa_memory_ordered 1
		.amdhsa_forward_progress 1
		.amdhsa_inst_pref_size 255
		.amdhsa_round_robin_scheduling 0
		.amdhsa_exception_fp_ieee_invalid_op 0
		.amdhsa_exception_fp_denorm_src 0
		.amdhsa_exception_fp_ieee_div_zero 0
		.amdhsa_exception_fp_ieee_overflow 0
		.amdhsa_exception_fp_ieee_underflow 0
		.amdhsa_exception_fp_ieee_inexact 0
		.amdhsa_exception_int_div_zero 0
	.end_amdhsa_kernel
	.section	.text._ZN9rocsolver6v33100L23getf2_npvt_small_kernelILi61E19rocblas_complex_numIfEiiPS3_EEvT1_T3_lS5_lPT2_S5_S5_,"axG",@progbits,_ZN9rocsolver6v33100L23getf2_npvt_small_kernelILi61E19rocblas_complex_numIfEiiPS3_EEvT1_T3_lS5_lPT2_S5_S5_,comdat
.Lfunc_end121:
	.size	_ZN9rocsolver6v33100L23getf2_npvt_small_kernelILi61E19rocblas_complex_numIfEiiPS3_EEvT1_T3_lS5_lPT2_S5_S5_, .Lfunc_end121-_ZN9rocsolver6v33100L23getf2_npvt_small_kernelILi61E19rocblas_complex_numIfEiiPS3_EEvT1_T3_lS5_lPT2_S5_S5_
                                        ; -- End function
	.set _ZN9rocsolver6v33100L23getf2_npvt_small_kernelILi61E19rocblas_complex_numIfEiiPS3_EEvT1_T3_lS5_lPT2_S5_S5_.num_vgpr, 256
	.set _ZN9rocsolver6v33100L23getf2_npvt_small_kernelILi61E19rocblas_complex_numIfEiiPS3_EEvT1_T3_lS5_lPT2_S5_S5_.num_agpr, 0
	.set _ZN9rocsolver6v33100L23getf2_npvt_small_kernelILi61E19rocblas_complex_numIfEiiPS3_EEvT1_T3_lS5_lPT2_S5_S5_.numbered_sgpr, 15
	.set _ZN9rocsolver6v33100L23getf2_npvt_small_kernelILi61E19rocblas_complex_numIfEiiPS3_EEvT1_T3_lS5_lPT2_S5_S5_.num_named_barrier, 0
	.set _ZN9rocsolver6v33100L23getf2_npvt_small_kernelILi61E19rocblas_complex_numIfEiiPS3_EEvT1_T3_lS5_lPT2_S5_S5_.private_seg_size, 500
	.set _ZN9rocsolver6v33100L23getf2_npvt_small_kernelILi61E19rocblas_complex_numIfEiiPS3_EEvT1_T3_lS5_lPT2_S5_S5_.uses_vcc, 1
	.set _ZN9rocsolver6v33100L23getf2_npvt_small_kernelILi61E19rocblas_complex_numIfEiiPS3_EEvT1_T3_lS5_lPT2_S5_S5_.uses_flat_scratch, 1
	.set _ZN9rocsolver6v33100L23getf2_npvt_small_kernelILi61E19rocblas_complex_numIfEiiPS3_EEvT1_T3_lS5_lPT2_S5_S5_.has_dyn_sized_stack, 0
	.set _ZN9rocsolver6v33100L23getf2_npvt_small_kernelILi61E19rocblas_complex_numIfEiiPS3_EEvT1_T3_lS5_lPT2_S5_S5_.has_recursion, 0
	.set _ZN9rocsolver6v33100L23getf2_npvt_small_kernelILi61E19rocblas_complex_numIfEiiPS3_EEvT1_T3_lS5_lPT2_S5_S5_.has_indirect_call, 0
	.section	.AMDGPU.csdata,"",@progbits
; Kernel info:
; codeLenInByte = 150140
; TotalNumSgprs: 17
; NumVgprs: 256
; ScratchSize: 500
; MemoryBound: 0
; FloatMode: 240
; IeeeMode: 1
; LDSByteSize: 0 bytes/workgroup (compile time only)
; SGPRBlocks: 0
; VGPRBlocks: 15
; NumSGPRsForWavesPerEU: 17
; NumVGPRsForWavesPerEU: 256
; NamedBarCnt: 0
; Occupancy: 4
; WaveLimiterHint : 0
; COMPUTE_PGM_RSRC2:SCRATCH_EN: 1
; COMPUTE_PGM_RSRC2:USER_SGPR: 2
; COMPUTE_PGM_RSRC2:TRAP_HANDLER: 0
; COMPUTE_PGM_RSRC2:TGID_X_EN: 1
; COMPUTE_PGM_RSRC2:TGID_Y_EN: 1
; COMPUTE_PGM_RSRC2:TGID_Z_EN: 0
; COMPUTE_PGM_RSRC2:TIDIG_COMP_CNT: 1
	.section	.text._ZN9rocsolver6v33100L18getf2_small_kernelILi62E19rocblas_complex_numIfEiiPS3_EEvT1_T3_lS5_lPS5_llPT2_S5_S5_S7_l,"axG",@progbits,_ZN9rocsolver6v33100L18getf2_small_kernelILi62E19rocblas_complex_numIfEiiPS3_EEvT1_T3_lS5_lPS5_llPT2_S5_S5_S7_l,comdat
	.globl	_ZN9rocsolver6v33100L18getf2_small_kernelILi62E19rocblas_complex_numIfEiiPS3_EEvT1_T3_lS5_lPS5_llPT2_S5_S5_S7_l ; -- Begin function _ZN9rocsolver6v33100L18getf2_small_kernelILi62E19rocblas_complex_numIfEiiPS3_EEvT1_T3_lS5_lPS5_llPT2_S5_S5_S7_l
	.p2align	8
	.type	_ZN9rocsolver6v33100L18getf2_small_kernelILi62E19rocblas_complex_numIfEiiPS3_EEvT1_T3_lS5_lPS5_llPT2_S5_S5_S7_l,@function
_ZN9rocsolver6v33100L18getf2_small_kernelILi62E19rocblas_complex_numIfEiiPS3_EEvT1_T3_lS5_lPS5_llPT2_S5_S5_S7_l: ; @_ZN9rocsolver6v33100L18getf2_small_kernelILi62E19rocblas_complex_numIfEiiPS3_EEvT1_T3_lS5_lPS5_llPT2_S5_S5_S7_l
; %bb.0:
	s_clause 0x1
	s_load_u16 s2, s[0:1], 0x6e
	s_load_b64 s[16:17], s[0:1], 0x48
	s_bfe_u32 s3, ttmp6, 0x40010
	s_bfe_u32 s4, ttmp6, 0x40004
	s_add_co_i32 s3, s3, 1
	s_getreg_b32 s5, hwreg(HW_REG_IB_STS2, 6, 4)
	s_mul_i32 s3, ttmp7, s3
	v_bfe_u32 v132, v0, 10, 10
	s_add_co_i32 s4, s4, s3
	s_cmp_eq_u32 s5, 0
	s_cselect_b32 s3, ttmp7, s4
	s_wait_kmcnt 0x0
	v_mad_u32 v2, s3, s2, v132
	s_mov_b32 s2, exec_lo
	s_delay_alu instid0(VALU_DEP_1)
	v_cmpx_gt_i32_e64 s16, v2
	s_cbranch_execnz .LBB122_1
; %bb.1304:
	s_add_pc_i64 .LBB122_1303-.Lpost_addpc14
.Lpost_addpc14:
.LBB122_1:
	s_load_b128 s[4:7], s[0:1], 0x50
	v_mov_b64_e32 v[4:5], 0
	v_ashrrev_i32_e32 v3, 31, v2
	s_wait_kmcnt 0x0
	s_cmp_eq_u64 s[4:5], 0
	s_cselect_b32 s16, -1, 0
	s_delay_alu instid0(SALU_CYCLE_1)
	s_and_b32 vcc_lo, exec_lo, s16
	s_cbranch_vccnz .LBB122_3
; %bb.2:
	v_mul_u64_e32 v[4:5], s[6:7], v[2:3]
	s_delay_alu instid0(VALU_DEP_1)
	v_lshl_add_u64 v[4:5], v[4:5], 2, s[4:5]
.LBB122_3:
	s_clause 0x2
	s_load_b32 s2, s[0:1], 0x18
	s_load_b128 s[12:15], s[0:1], 0x8
	s_load_b32 s18, s[0:1], 0x0
	v_and_b32_e32 v137, 0x3ff, v0
	s_load_b256 s[4:11], s[0:1], 0x20
	v_mov_b32_e32 v131, 0
	s_wait_kmcnt 0x0
	s_delay_alu instid0(VALU_DEP_2) | instskip(SKIP_2) | instid1(VALU_DEP_2)
	v_add3_u32 v6, s2, s2, v137
	s_ashr_i32 s3, s2, 31
	v_mul_u64_e32 v[0:1], s[4:5], v[2:3]
	v_add_nc_u32_e32 v8, s2, v6
	s_max_i32 s4, s18, 62
	s_cmp_lt_i32 s18, 2
	s_delay_alu instid0(VALU_DEP_1) | instskip(NEXT) | instid1(VALU_DEP_1)
	v_add_nc_u32_e32 v10, s2, v8
	v_add_nc_u32_e32 v12, s2, v10
	s_delay_alu instid0(VALU_DEP_1) | instskip(NEXT) | instid1(VALU_DEP_1)
	v_dual_add_nc_u32 v14, s2, v12 :: v_dual_ashrrev_i32 v7, 31, v6
	v_dual_ashrrev_i32 v9, 31, v8 :: v_dual_add_nc_u32 v16, s2, v14
	s_delay_alu instid0(VALU_DEP_1) | instskip(SKIP_1) | instid1(VALU_DEP_2)
	v_dual_add_nc_u32 v18, s2, v16 :: v_dual_ashrrev_i32 v11, 31, v10
	v_ashrrev_i32_e32 v13, 31, v12
	v_dual_ashrrev_i32 v17, 31, v16 :: v_dual_add_nc_u32 v20, s2, v18
	v_lshl_add_u64 v[0:1], v[0:1], 3, s[12:13]
	s_delay_alu instid0(VALU_DEP_2) | instskip(NEXT) | instid1(VALU_DEP_2)
	v_add_nc_u32_e32 v22, s2, v20
	v_lshl_add_u64 v[0:1], s[14:15], 3, v[0:1]
	s_delay_alu instid0(VALU_DEP_2) | instskip(NEXT) | instid1(VALU_DEP_2)
	v_add_nc_u32_e32 v24, s2, v22
	v_lshl_add_u64 v[10:11], v[10:11], 3, v[0:1]
	v_lshl_add_u64 v[12:13], v[12:13], 3, v[0:1]
	;; [unrolled: 1-line block ×4, first 2 shown]
	v_dual_add_nc_u32 v26, s2, v24 :: v_dual_ashrrev_i32 v19, 31, v18
	v_ashrrev_i32_e32 v21, 31, v20
	v_lshl_add_u64 v[16:17], v[16:17], 3, v[0:1]
	s_delay_alu instid0(VALU_DEP_3) | instskip(NEXT) | instid1(VALU_DEP_4)
	v_add_nc_u32_e32 v28, s2, v26
	v_lshl_add_u64 v[18:19], v[18:19], 3, v[0:1]
	s_delay_alu instid0(VALU_DEP_4) | instskip(NEXT) | instid1(VALU_DEP_3)
	v_lshl_add_u64 v[20:21], v[20:21], 3, v[0:1]
	v_add_nc_u32_e32 v30, s2, v28
	v_ashrrev_i32_e32 v25, 31, v24
	s_delay_alu instid0(VALU_DEP_2) | instskip(NEXT) | instid1(VALU_DEP_1)
	v_dual_ashrrev_i32 v29, 31, v28 :: v_dual_add_nc_u32 v32, s2, v30
	v_add_nc_u32_e32 v34, s2, v32
	s_delay_alu instid0(VALU_DEP_1) | instskip(NEXT) | instid1(VALU_DEP_1)
	v_add_nc_u32_e32 v36, s2, v34
	v_dual_ashrrev_i32 v31, 31, v30 :: v_dual_ashrrev_i32 v37, 31, v36
	v_dual_add_nc_u32 v38, s2, v36 :: v_dual_ashrrev_i32 v27, 31, v26
	s_delay_alu instid0(VALU_DEP_1) | instskip(SKIP_1) | instid1(VALU_DEP_2)
	v_dual_ashrrev_i32 v33, 31, v32 :: v_dual_add_nc_u32 v40, s2, v38
	v_dual_lshlrev_b32 v130, 3, v137 :: v_dual_ashrrev_i32 v39, 31, v38
	v_add_nc_u32_e32 v42, s2, v40
	s_delay_alu instid0(VALU_DEP_2) | instskip(NEXT) | instid1(VALU_DEP_2)
	v_add_nc_u64_e32 v[48:49], v[0:1], v[130:131]
	v_dual_ashrrev_i32 v41, 31, v40 :: v_dual_add_nc_u32 v44, s2, v42
	s_delay_alu instid0(VALU_DEP_1) | instskip(NEXT) | instid1(VALU_DEP_1)
	v_dual_ashrrev_i32 v15, 31, v14 :: v_dual_add_nc_u32 v46, s2, v44
	v_lshl_add_u64 v[14:15], v[14:15], 3, v[0:1]
	s_clause 0x3
	global_load_b64 v[118:119], v[10:11], off
	global_load_b64 v[92:93], v[12:13], off
	;; [unrolled: 1-line block ×4, first 2 shown]
	v_add_nc_u32_e32 v50, s2, v46
	s_wait_xcnt 0x3
	v_lshl_add_u64 v[10:11], s[2:3], 3, v[48:49]
	s_clause 0x3
	global_load_b64 v[122:123], v[6:7], off
	global_load_b64 v[120:121], v[8:9], off
	;; [unrolled: 1-line block ×4, first 2 shown]
	s_wait_xcnt 0x3
	v_lshl_add_u64 v[6:7], v[24:25], 3, v[0:1]
	v_add_nc_u32_e32 v52, s2, v50
	s_wait_xcnt 0x0
	v_lshl_add_u64 v[10:11], v[26:27], 3, v[0:1]
	v_lshl_add_u64 v[16:17], v[28:29], 3, v[0:1]
	;; [unrolled: 1-line block ×3, first 2 shown]
	v_dual_ashrrev_i32 v47, 31, v46 :: v_dual_add_nc_u32 v54, s2, v52
	v_ashrrev_i32_e32 v51, 31, v50
	v_lshl_add_u64 v[26:27], v[40:41], 3, v[0:1]
	v_ashrrev_i32_e32 v45, 31, v44
	s_delay_alu instid0(VALU_DEP_4) | instskip(SKIP_1) | instid1(VALU_DEP_2)
	v_dual_ashrrev_i32 v53, 31, v52 :: v_dual_add_nc_u32 v14, s2, v54
	v_ashrrev_i32_e32 v55, 31, v54
	v_add_nc_u32_e32 v8, s2, v14
	v_ashrrev_i32_e32 v23, 31, v22
	v_ashrrev_i32_e32 v15, 31, v14
	s_delay_alu instid0(VALU_DEP_2)
	v_lshl_add_u64 v[12:13], v[22:23], 3, v[0:1]
	s_clause 0x3
	global_load_b64 v[116:117], v[18:19], off
	global_load_b64 v[84:85], v[20:21], off
	;; [unrolled: 1-line block ×4, first 2 shown]
	s_wait_xcnt 0x0
	v_add_nc_u32_e32 v6, s2, v8
	v_lshl_add_u64 v[18:19], v[30:31], 3, v[0:1]
	v_lshl_add_u64 v[20:21], v[32:33], 3, v[0:1]
	s_clause 0x3
	global_load_b64 v[114:115], v[10:11], off
	global_load_b64 v[78:79], v[16:17], off
	;; [unrolled: 1-line block ×4, first 2 shown]
	v_add_nc_u32_e32 v12, s2, v6
	s_wait_xcnt 0x0
	v_lshl_add_u64 v[20:21], v[36:37], 3, v[0:1]
	v_lshl_add_u64 v[30:31], v[46:47], 3, v[0:1]
	;; [unrolled: 1-line block ×4, first 2 shown]
	v_add_nc_u32_e32 v22, s2, v12
	v_ashrrev_i32_e32 v9, 31, v8
	s_delay_alu instid0(VALU_DEP_2) | instskip(NEXT) | instid1(VALU_DEP_2)
	v_dual_ashrrev_i32 v13, 31, v12 :: v_dual_add_nc_u32 v10, s2, v22
	v_lshl_add_u64 v[8:9], v[8:9], 3, v[0:1]
	s_delay_alu instid0(VALU_DEP_2) | instskip(NEXT) | instid1(VALU_DEP_3)
	v_lshl_add_u64 v[12:13], v[12:13], 3, v[0:1]
	v_dual_add_nc_u32 v18, s2, v10 :: v_dual_ashrrev_i32 v11, 31, v10
	s_delay_alu instid0(VALU_DEP_1) | instskip(SKIP_2) | instid1(VALU_DEP_4)
	v_add_nc_u32_e32 v28, s2, v18
	v_ashrrev_i32_e32 v35, 31, v34
	v_ashrrev_i32_e32 v7, 31, v6
	v_lshl_add_u64 v[10:11], v[10:11], 3, v[0:1]
	s_delay_alu instid0(VALU_DEP_4) | instskip(NEXT) | instid1(VALU_DEP_4)
	v_ashrrev_i32_e32 v29, 31, v28
	v_lshl_add_u64 v[16:17], v[34:35], 3, v[0:1]
	s_clause 0x3
	global_load_b64 v[112:113], v[16:17], off
	global_load_b64 v[72:73], v[20:21], off
	;; [unrolled: 1-line block ×4, first 2 shown]
	s_wait_xcnt 0x3
	v_add_nc_u32_e32 v16, s2, v28
	s_wait_xcnt 0x0
	v_lshl_add_u64 v[26:27], v[44:45], 3, v[0:1]
	v_lshl_add_u64 v[6:7], v[6:7], 3, v[0:1]
	s_delay_alu instid0(VALU_DEP_3) | instskip(SKIP_1) | instid1(VALU_DEP_2)
	v_dual_add_nc_u32 v24, s2, v16 :: v_dual_ashrrev_i32 v43, 31, v42
	v_dual_ashrrev_i32 v23, 31, v22 :: v_dual_ashrrev_i32 v17, 31, v16
	v_add_nc_u32_e32 v34, s2, v24
	s_delay_alu instid0(VALU_DEP_3)
	v_lshl_add_u64 v[20:21], v[42:43], 3, v[0:1]
	s_clause 0x3
	global_load_b64 v[110:111], v[20:21], off
	global_load_b64 v[66:67], v[26:27], off
	;; [unrolled: 1-line block ×4, first 2 shown]
	s_wait_xcnt 0x3
	v_add_nc_u32_e32 v20, s2, v34
	s_wait_xcnt 0x2
	v_lshl_add_u64 v[26:27], v[52:53], 3, v[0:1]
	s_wait_xcnt 0x0
	v_lshl_add_u64 v[32:33], v[54:55], 3, v[0:1]
	s_clause 0x3
	global_load_b64 v[108:109], v[26:27], off
	global_load_b64 v[60:61], v[32:33], off
	;; [unrolled: 1-line block ×4, first 2 shown]
	v_add_nc_u32_e32 v30, s2, v20
	v_ashrrev_i32_e32 v25, 31, v24
	v_lshl_add_u64 v[22:23], v[22:23], 3, v[0:1]
	s_clause 0x3
	global_load_b64 v[106:107], v[6:7], off
	global_load_b64 v[54:55], v[12:13], off
	;; [unrolled: 1-line block ×4, first 2 shown]
	v_add_nc_u32_e32 v36, s2, v30
	s_wait_xcnt 0x1
	v_lshl_add_u64 v[22:23], v[24:25], 3, v[0:1]
	v_lshl_add_u64 v[16:17], v[16:17], 3, v[0:1]
	v_ashrrev_i32_e32 v21, 31, v20
	v_dual_add_nc_u32 v8, s2, v36 :: v_dual_ashrrev_i32 v35, 31, v34
	v_ashrrev_i32_e32 v37, 31, v36
	s_delay_alu instid0(VALU_DEP_3) | instskip(NEXT) | instid1(VALU_DEP_3)
	v_lshl_add_u64 v[20:21], v[20:21], 3, v[0:1]
	v_dual_add_nc_u32 v14, s2, v8 :: v_dual_ashrrev_i32 v9, 31, v8
	s_delay_alu instid0(VALU_DEP_1) | instskip(NEXT) | instid1(VALU_DEP_2)
	v_add_nc_u32_e32 v26, s2, v14
	v_lshl_add_u64 v[8:9], v[8:9], 3, v[0:1]
	s_delay_alu instid0(VALU_DEP_2) | instskip(NEXT) | instid1(VALU_DEP_1)
	v_dual_add_nc_u32 v6, s2, v26 :: v_dual_ashrrev_i32 v27, 31, v26
	v_add_nc_u32_e32 v12, s2, v6
	s_delay_alu instid0(VALU_DEP_1) | instskip(SKIP_1) | instid1(VALU_DEP_2)
	v_dual_add_nc_u32 v24, s2, v12 :: v_dual_ashrrev_i32 v19, 31, v18
	v_dual_ashrrev_i32 v7, 31, v6 :: v_dual_ashrrev_i32 v13, 31, v12
	v_ashrrev_i32_e32 v25, 31, v24
	s_wait_xcnt 0x0
	s_delay_alu instid0(VALU_DEP_3)
	v_lshl_add_u64 v[10:11], v[18:19], 3, v[0:1]
	v_lshl_add_u64 v[18:19], v[28:29], 3, v[0:1]
	s_clause 0x3
	global_load_b64 v[104:105], v[10:11], off
	global_load_b64 v[48:49], v[18:19], off
	;; [unrolled: 1-line block ×4, first 2 shown]
	s_wait_xcnt 0x3
	v_add_nc_u32_e32 v10, s2, v24
	v_lshl_add_u64 v[28:29], v[36:37], 3, v[0:1]
	s_wait_xcnt 0x1
	v_lshl_add_u64 v[16:17], v[34:35], 3, v[0:1]
	v_lshl_add_u64 v[6:7], v[6:7], 3, v[0:1]
	v_add_nc_u32_e32 v18, s2, v10
	s_delay_alu instid0(VALU_DEP_1) | instskip(SKIP_1) | instid1(VALU_DEP_2)
	v_add_nc_u32_e32 v36, s2, v18
	v_ashrrev_i32_e32 v31, 31, v30
	v_dual_ashrrev_i32 v11, 31, v10 :: v_dual_ashrrev_i32 v37, 31, v36
	s_wait_xcnt 0x0
	s_delay_alu instid0(VALU_DEP_2)
	v_lshl_add_u64 v[22:23], v[30:31], 3, v[0:1]
	s_clause 0x3
	global_load_b64 v[102:103], v[16:17], off
	global_load_b64 v[40:41], v[20:21], off
	;; [unrolled: 1-line block ×4, first 2 shown]
	s_wait_xcnt 0x3
	v_add_nc_u32_e32 v16, s2, v36
	s_wait_xcnt 0x1
	v_lshl_add_u64 v[22:23], v[26:27], 3, v[0:1]
	v_lshl_add_u64 v[10:11], v[10:11], 3, v[0:1]
	s_delay_alu instid0(VALU_DEP_3) | instskip(NEXT) | instid1(VALU_DEP_1)
	v_dual_add_nc_u32 v20, s2, v16 :: v_dual_ashrrev_i32 v15, 31, v14
	v_add_nc_u32_e32 v26, s2, v20
	s_delay_alu instid0(VALU_DEP_2)
	v_lshl_add_u64 v[14:15], v[14:15], 3, v[0:1]
	s_clause 0x3
	global_load_b64 v[100:101], v[8:9], off
	global_load_b64 v[32:33], v[14:15], off
	;; [unrolled: 1-line block ×4, first 2 shown]
	s_wait_xcnt 0x0
	v_add_nc_u32_e32 v6, s2, v26
	v_lshl_add_u64 v[8:9], v[12:13], 3, v[0:1]
	v_lshl_add_u64 v[14:15], v[24:25], 3, v[0:1]
	v_dual_ashrrev_i32 v17, 31, v16 :: v_dual_ashrrev_i32 v27, 31, v26
	s_delay_alu instid0(VALU_DEP_4) | instskip(SKIP_2) | instid1(VALU_DEP_4)
	v_add_nc_u32_e32 v12, s2, v6
	v_dual_ashrrev_i32 v19, 31, v18 :: v_dual_ashrrev_i32 v21, 31, v20
	v_ashrrev_i32_e32 v7, 31, v6
	v_lshl_add_u64 v[16:17], v[16:17], 3, v[0:1]
	s_delay_alu instid0(VALU_DEP_4) | instskip(NEXT) | instid1(VALU_DEP_4)
	v_add_nc_u32_e32 v44, s2, v12
	v_lshl_add_u64 v[18:19], v[18:19], 3, v[0:1]
	s_clause 0x3
	global_load_b64 v[98:99], v[8:9], off
	global_load_b64 v[24:25], v[14:15], off
	;; [unrolled: 1-line block ×4, first 2 shown]
	s_wait_xcnt 0x1
	v_lshl_add_u64 v[10:11], v[36:37], 3, v[0:1]
	v_add_nc_u32_e32 v8, s2, v44
	v_lshl_add_u64 v[36:37], v[20:21], 3, v[0:1]
	v_lshl_add_u64 v[26:27], v[26:27], 3, v[0:1]
	s_clause 0x3
	global_load_b64 v[96:97], v[10:11], off
	global_load_b64 v[18:19], v[16:17], off
	;; [unrolled: 1-line block ×3, first 2 shown]
	; meta instruction
	; meta instruction
	;; [unrolled: 1-line block ×3, first 2 shown]
	global_load_b64 v[36:37], v[26:27], off
	v_dual_add_nc_u32 v14, s2, v8 :: v_dual_ashrrev_i32 v9, 31, v8
	v_ashrrev_i32_e32 v13, 31, v12
	v_lshl_add_u64 v[6:7], v[6:7], 3, v[0:1]
	s_delay_alu instid0(VALU_DEP_3) | instskip(NEXT) | instid1(VALU_DEP_3)
	v_dual_add_nc_u32 v128, s2, v14 :: v_dual_ashrrev_i32 v15, 31, v14
	v_lshl_add_u64 v[10:11], v[12:13], 3, v[0:1]
	v_lshl_add_u64 v[8:9], v[8:9], 3, v[0:1]
	s_delay_alu instid0(VALU_DEP_3) | instskip(SKIP_1) | instid1(VALU_DEP_1)
	v_add_nc_u32_e32 v16, s2, v128
	s_wait_xcnt 0x0
	v_dual_add_nc_u32 v26, s2, v16 :: v_dual_ashrrev_i32 v17, 31, v16
	s_delay_alu instid0(VALU_DEP_1) | instskip(NEXT) | instid1(VALU_DEP_2)
	v_dual_ashrrev_i32 v45, 31, v44 :: v_dual_ashrrev_i32 v27, 31, v26
	v_lshl_add_u64 v[16:17], v[16:17], 3, v[0:1]
	s_delay_alu instid0(VALU_DEP_2)
	v_lshl_add_u64 v[12:13], v[44:45], 3, v[0:1]
	v_add_nc_u32_e32 v44, s2, v26
	s_clause 0x3
	global_load_b64 v[86:87], v[6:7], off
	global_load_b64 v[10:11], v[10:11], off
	;; [unrolled: 1-line block ×4, first 2 shown]
	s_wait_xcnt 0x3
	v_lshl_add_u64 v[6:7], v[14:15], 3, v[0:1]
	v_lshl_add_u64 v[134:135], v[26:27], 3, v[0:1]
	v_add_nc_u32_e32 v14, s2, v44
	v_ashrrev_i32_e32 v129, 31, v128
	s_delay_alu instid0(VALU_DEP_2) | instskip(NEXT) | instid1(VALU_DEP_2)
	v_dual_ashrrev_i32 v45, 31, v44 :: v_dual_ashrrev_i32 v15, 31, v14
	v_lshl_add_u64 v[128:129], v[128:129], 3, v[0:1]
	s_delay_alu instid0(VALU_DEP_2) | instskip(NEXT) | instid1(VALU_DEP_3)
	v_lshl_add_u64 v[138:139], v[44:45], 3, v[0:1]
	v_lshl_add_u64 v[140:141], v[14:15], 3, v[0:1]
	s_clause 0x5
	global_load_b64 v[44:45], v[6:7], off
	global_load_b64 v[6:7], v[128:129], off
	;; [unrolled: 1-line block ×6, first 2 shown]
	s_wait_xcnt 0x2
	v_mul_lo_u32 v135, s4, v132
	s_load_b64 s[4:5], s[0:1], 0x40
	s_delay_alu instid0(VALU_DEP_1) | instskip(NEXT) | instid1(VALU_DEP_1)
	v_lshl_add_u32 v134, v135, 3, 0
	v_dual_lshlrev_b32 v135, 3, v135 :: v_dual_add_nc_u32 v130, v134, v130
	s_wait_loadcnt 0x37
	ds_store_b64 v130, v[126:127]
	s_wait_loadcnt_dscnt 0x0
	s_barrier_signal -1
	s_barrier_wait -1
	ds_load_b64 v[132:133], v134
	s_cbranch_scc1 .LBB122_6
; %bb.4:
	v_add3_u32 v130, v135, 0, 8
	v_mov_b32_e32 v131, 0
	s_wait_xcnt 0x0
	s_mov_b32 s1, 1
.LBB122_5:                              ; =>This Inner Loop Header: Depth=1
	ds_load_b64 v[138:139], v130
	s_wait_dscnt 0x1
	v_cmp_gt_f32_e32 vcc_lo, 0, v132
	v_cmp_gt_f32_e64 s0, 0, v133
	s_delay_alu instid0(VALU_DEP_1) | instskip(SKIP_3) | instid1(VALU_DEP_1)
	v_dual_cndmask_b32 v140, v132, -v132, vcc_lo :: v_dual_cndmask_b32 v142, v133, -v133, s0
	s_wait_dscnt 0x0
	v_cmp_gt_f32_e32 vcc_lo, 0, v138
	v_cmp_gt_f32_e64 s0, 0, v139
	v_dual_cndmask_b32 v141, v138, -v138, vcc_lo :: v_dual_cndmask_b32 v143, v139, -v139, s0
	s_delay_alu instid0(VALU_DEP_1) | instskip(NEXT) | instid1(VALU_DEP_1)
	v_pk_add_f32 v[140:141], v[140:141], v[142:143]
	v_cmp_lt_f32_e32 vcc_lo, v140, v141
	v_dual_cndmask_b32 v133, v133, v139 :: v_dual_add_nc_u32 v130, 8, v130
	v_cndmask_b32_e32 v132, v132, v138, vcc_lo
	v_cndmask_b32_e64 v131, v131, s1, vcc_lo
	s_add_co_i32 s1, s1, 1
	s_delay_alu instid0(SALU_CYCLE_1)
	s_cmp_eq_u32 s18, s1
	s_cbranch_scc0 .LBB122_5
.LBB122_6:
	s_wait_dscnt 0x0
	v_cmp_neq_f32_e32 vcc_lo, 0, v132
	s_wait_xcnt 0x0
	v_cmp_neq_f32_e64 s0, 0, v133
	v_dual_mov_b32 v136, 1 :: v_dual_mov_b32 v139, 1
	s_or_b32 s1, vcc_lo, s0
	s_delay_alu instid0(SALU_CYCLE_1)
	s_and_saveexec_b32 s0, s1
	s_cbranch_execz .LBB122_12
; %bb.7:
	v_cmp_ngt_f32_e64 s1, |v132|, |v133|
	s_and_saveexec_b32 s12, s1
	s_delay_alu instid0(SALU_CYCLE_1)
	s_xor_b32 s1, exec_lo, s12
	s_cbranch_execz .LBB122_9
; %bb.8:
	v_div_scale_f32 v130, null, v133, v133, v132
	v_div_scale_f32 v139, vcc_lo, v132, v133, v132
	s_delay_alu instid0(VALU_DEP_2) | instskip(SKIP_1) | instid1(TRANS32_DEP_1)
	v_rcp_f32_e32 v136, v130
	v_nop
	v_fma_f32 v138, -v130, v136, 1.0
	s_delay_alu instid0(VALU_DEP_1) | instskip(NEXT) | instid1(VALU_DEP_1)
	v_fmac_f32_e32 v136, v138, v136
	v_mul_f32_e32 v138, v139, v136
	s_delay_alu instid0(VALU_DEP_1) | instskip(NEXT) | instid1(VALU_DEP_1)
	v_fma_f32 v140, -v130, v138, v139
	v_fmac_f32_e32 v138, v140, v136
	s_delay_alu instid0(VALU_DEP_1) | instskip(NEXT) | instid1(VALU_DEP_1)
	v_fma_f32 v130, -v130, v138, v139
	v_div_fmas_f32 v130, v130, v136, v138
	s_delay_alu instid0(VALU_DEP_1) | instskip(NEXT) | instid1(VALU_DEP_1)
	v_div_fixup_f32 v130, v130, v133, v132
	v_fmac_f32_e32 v133, v132, v130
	s_delay_alu instid0(VALU_DEP_1) | instskip(SKIP_1) | instid1(VALU_DEP_2)
	v_div_scale_f32 v132, null, v133, v133, 1.0
	v_div_scale_f32 v139, vcc_lo, 1.0, v133, 1.0
	v_rcp_f32_e32 v136, v132
	v_nop
	s_delay_alu instid0(TRANS32_DEP_1) | instskip(NEXT) | instid1(VALU_DEP_1)
	v_fma_f32 v138, -v132, v136, 1.0
	v_fmac_f32_e32 v136, v138, v136
	s_delay_alu instid0(VALU_DEP_1) | instskip(NEXT) | instid1(VALU_DEP_1)
	v_mul_f32_e32 v138, v139, v136
	v_fma_f32 v140, -v132, v138, v139
	s_delay_alu instid0(VALU_DEP_1) | instskip(NEXT) | instid1(VALU_DEP_1)
	v_fmac_f32_e32 v138, v140, v136
	v_fma_f32 v132, -v132, v138, v139
	s_delay_alu instid0(VALU_DEP_1) | instskip(NEXT) | instid1(VALU_DEP_1)
	v_div_fmas_f32 v132, v132, v136, v138
	v_div_fixup_f32 v133, v132, v133, 1.0
	s_delay_alu instid0(VALU_DEP_1)
	v_mul_f32_e32 v132, v130, v133
	v_xor_b32_e32 v133, 0x80000000, v133
.LBB122_9:
	s_and_not1_saveexec_b32 s1, s1
	s_cbranch_execz .LBB122_11
; %bb.10:
	s_delay_alu instid0(VALU_DEP_1) | instskip(SKIP_1) | instid1(VALU_DEP_2)
	v_div_scale_f32 v130, null, v132, v132, v133
	v_div_scale_f32 v139, vcc_lo, v133, v132, v133
	v_rcp_f32_e32 v136, v130
	v_nop
	s_delay_alu instid0(TRANS32_DEP_1) | instskip(NEXT) | instid1(VALU_DEP_1)
	v_fma_f32 v138, -v130, v136, 1.0
	v_fmac_f32_e32 v136, v138, v136
	s_delay_alu instid0(VALU_DEP_1) | instskip(NEXT) | instid1(VALU_DEP_1)
	v_mul_f32_e32 v138, v139, v136
	v_fma_f32 v140, -v130, v138, v139
	s_delay_alu instid0(VALU_DEP_1) | instskip(NEXT) | instid1(VALU_DEP_1)
	v_fmac_f32_e32 v138, v140, v136
	v_fma_f32 v130, -v130, v138, v139
	s_delay_alu instid0(VALU_DEP_1) | instskip(NEXT) | instid1(VALU_DEP_1)
	v_div_fmas_f32 v130, v130, v136, v138
	v_div_fixup_f32 v130, v130, v132, v133
	s_delay_alu instid0(VALU_DEP_1) | instskip(NEXT) | instid1(VALU_DEP_1)
	v_fmac_f32_e32 v132, v133, v130
	v_div_scale_f32 v133, null, v132, v132, 1.0
	s_delay_alu instid0(VALU_DEP_1) | instskip(SKIP_1) | instid1(TRANS32_DEP_1)
	v_rcp_f32_e32 v136, v133
	v_nop
	v_fma_f32 v138, -v133, v136, 1.0
	s_delay_alu instid0(VALU_DEP_1) | instskip(SKIP_1) | instid1(VALU_DEP_1)
	v_fmac_f32_e32 v136, v138, v136
	v_div_scale_f32 v138, vcc_lo, 1.0, v132, 1.0
	v_mul_f32_e32 v139, v138, v136
	s_delay_alu instid0(VALU_DEP_1) | instskip(NEXT) | instid1(VALU_DEP_1)
	v_fma_f32 v140, -v133, v139, v138
	v_fmac_f32_e32 v139, v140, v136
	s_delay_alu instid0(VALU_DEP_1) | instskip(NEXT) | instid1(VALU_DEP_1)
	v_fma_f32 v133, -v133, v139, v138
	v_div_fmas_f32 v133, v133, v136, v139
	s_delay_alu instid0(VALU_DEP_1) | instskip(NEXT) | instid1(VALU_DEP_1)
	v_div_fixup_f32 v132, v133, v132, 1.0
	v_mul_f32_e64 v133, v130, -v132
.LBB122_11:
	s_or_b32 exec_lo, exec_lo, s1
	v_dual_mov_b32 v139, 0 :: v_dual_mov_b32 v136, 2
.LBB122_12:
	s_or_b32 exec_lo, exec_lo, s0
	s_delay_alu instid0(SALU_CYCLE_1)
	s_mov_b32 s0, exec_lo
	v_cmpx_ne_u32_e64 v137, v131
	s_xor_b32 s0, exec_lo, s0
	s_cbranch_execz .LBB122_18
; %bb.13:
	s_mov_b32 s1, exec_lo
	v_cmpx_eq_u32_e32 0, v137
	s_cbranch_execz .LBB122_17
; %bb.14:
	v_cmp_ne_u32_e32 vcc_lo, 0, v131
	s_xor_b32 s12, s16, -1
	s_delay_alu instid0(SALU_CYCLE_1) | instskip(NEXT) | instid1(SALU_CYCLE_1)
	s_and_b32 s13, s12, vcc_lo
	s_and_saveexec_b32 s12, s13
	s_cbranch_execz .LBB122_16
; %bb.15:
	v_dual_mov_b32 v140, v131 :: v_dual_ashrrev_i32 v141, 31, v131
	s_delay_alu instid0(VALU_DEP_1)
	v_lshl_add_u64 v[140:141], v[140:141], 2, v[4:5]
	s_clause 0x1
	global_load_b32 v130, v[140:141], off
	global_load_b32 v137, v[4:5], off
	s_wait_loadcnt 0x1
	global_store_b32 v[4:5], v130, off
	s_wait_loadcnt 0x0
	global_store_b32 v[140:141], v137, off
.LBB122_16:
	s_wait_xcnt 0x0
	s_or_b32 exec_lo, exec_lo, s12
	v_mov_b32_e32 v137, v131
.LBB122_17:
	s_or_b32 exec_lo, exec_lo, s1
.LBB122_18:
	s_or_saveexec_b32 s0, s0
	s_delay_alu instid0(VALU_DEP_1)
	v_mov_b32_e32 v138, v137
	s_xor_b32 exec_lo, exec_lo, s0
	s_cbranch_execz .LBB122_20
; %bb.19:
	v_mov_b32_e32 v138, 0
	ds_store_2addr_b64 v134, v[124:125], v[122:123] offset0:1 offset1:2
	ds_store_2addr_b64 v134, v[120:121], v[118:119] offset0:3 offset1:4
	;; [unrolled: 1-line block ×30, first 2 shown]
	ds_store_b64 v134, v[128:129] offset:488
.LBB122_20:
	s_or_b32 exec_lo, exec_lo, s0
	s_delay_alu instid0(SALU_CYCLE_1)
	s_mov_b32 s0, exec_lo
	s_wait_storecnt_dscnt 0x0
	s_barrier_signal -1
	s_barrier_wait -1
	v_cmpx_lt_i32_e32 0, v138
	s_cbranch_execz .LBB122_22
; %bb.21:
	v_pk_mul_f32 v[140:141], v[132:133], v[126:127] op_sel:[1,1] op_sel_hi:[0,1]
	s_delay_alu instid0(VALU_DEP_1)
	v_pk_fma_f32 v[130:131], v[132:133], v[126:127], v[140:141] op_sel_hi:[1,0,1] neg_lo:[0,0,1] neg_hi:[0,0,1]
	v_pk_fma_f32 v[132:133], v[132:133], v[126:127], v[140:141] op_sel_hi:[1,0,1]
	ds_load_2addr_b64 v[140:143], v134 offset0:1 offset1:2
	v_dual_mov_b32 v126, v130 :: v_dual_mov_b32 v127, v133
	s_wait_dscnt 0x0
	v_pk_mul_f32 v[144:145], v[140:141], v[132:133] op_sel:[0,1]
	s_delay_alu instid0(VALU_DEP_1) | instskip(SKIP_1) | instid1(VALU_DEP_1)
	v_pk_fma_f32 v[146:147], v[140:141], v[130:131], v[144:145] op_sel:[0,0,1] op_sel_hi:[1,1,0] neg_lo:[0,0,1] neg_hi:[0,0,1]
	v_pk_fma_f32 v[140:141], v[140:141], v[130:131], v[144:145] op_sel:[0,0,1] op_sel_hi:[1,0,0]
	v_mov_b32_e32 v147, v141
	v_pk_mul_f32 v[140:141], v[142:143], v[132:133] op_sel:[0,1]
	s_delay_alu instid0(VALU_DEP_1) | instskip(SKIP_1) | instid1(VALU_DEP_1)
	v_pk_fma_f32 v[144:145], v[142:143], v[130:131], v[140:141] op_sel:[0,0,1] op_sel_hi:[1,1,0] neg_lo:[0,0,1] neg_hi:[0,0,1]
	v_pk_fma_f32 v[140:141], v[142:143], v[130:131], v[140:141] op_sel:[0,0,1] op_sel_hi:[1,0,0]
	v_mov_b32_e32 v145, v141
	ds_load_2addr_b64 v[140:143], v134 offset0:3 offset1:4
	v_pk_add_f32 v[124:125], v[124:125], v[146:147] neg_lo:[0,1] neg_hi:[0,1]
	v_pk_add_f32 v[122:123], v[122:123], v[144:145] neg_lo:[0,1] neg_hi:[0,1]
	s_wait_dscnt 0x0
	v_pk_mul_f32 v[144:145], v[140:141], v[132:133] op_sel:[0,1]
	s_delay_alu instid0(VALU_DEP_1) | instskip(SKIP_2) | instid1(VALU_DEP_2)
	v_pk_fma_f32 v[146:147], v[140:141], v[130:131], v[144:145] op_sel:[0,0,1] op_sel_hi:[1,1,0] neg_lo:[0,0,1] neg_hi:[0,0,1]
	v_pk_fma_f32 v[140:141], v[140:141], v[130:131], v[144:145] op_sel:[0,0,1] op_sel_hi:[1,0,0]
	v_dual_mul_f32 v144, v143, v133 :: v_dual_mov_b32 v140, v143
	v_dual_mov_b32 v147, v141 :: v_dual_mov_b32 v141, v142
	s_delay_alu instid0(VALU_DEP_2) | instskip(SKIP_1) | instid1(VALU_DEP_3)
	v_pk_fma_f32 v[144:145], v[142:143], v[126:127], v[144:145] op_sel_hi:[1,1,0] neg_lo:[0,0,1] neg_hi:[0,0,1]
	v_mul_f32_e32 v142, v143, v130
	v_pk_add_f32 v[120:121], v[120:121], v[146:147] neg_lo:[0,1] neg_hi:[0,1]
	s_delay_alu instid0(VALU_DEP_2) | instskip(NEXT) | instid1(VALU_DEP_1)
	v_pk_fma_f32 v[140:141], v[140:141], v[126:127], v[142:143] op_sel_hi:[1,1,0]
	v_mov_b32_e32 v145, v141
	ds_load_2addr_b64 v[140:143], v134 offset0:5 offset1:6
	v_pk_add_f32 v[118:119], v[118:119], v[144:145] neg_lo:[0,1] neg_hi:[0,1]
	s_wait_dscnt 0x0
	v_pk_mul_f32 v[144:145], v[140:141], v[132:133] op_sel:[0,1]
	s_delay_alu instid0(VALU_DEP_1) | instskip(SKIP_1) | instid1(VALU_DEP_1)
	v_pk_fma_f32 v[146:147], v[140:141], v[130:131], v[144:145] op_sel:[0,0,1] op_sel_hi:[1,1,0] neg_lo:[0,0,1] neg_hi:[0,0,1]
	v_pk_fma_f32 v[140:141], v[140:141], v[130:131], v[144:145] op_sel:[0,0,1] op_sel_hi:[1,0,0]
	v_mov_b32_e32 v147, v141
	v_pk_mul_f32 v[140:141], v[142:143], v[132:133] op_sel:[0,1]
	s_delay_alu instid0(VALU_DEP_1) | instskip(SKIP_1) | instid1(VALU_DEP_1)
	v_pk_fma_f32 v[144:145], v[142:143], v[130:131], v[140:141] op_sel:[0,0,1] op_sel_hi:[1,1,0] neg_lo:[0,0,1] neg_hi:[0,0,1]
	v_pk_fma_f32 v[140:141], v[142:143], v[130:131], v[140:141] op_sel:[0,0,1] op_sel_hi:[1,0,0]
	v_mov_b32_e32 v145, v141
	ds_load_2addr_b64 v[140:143], v134 offset0:7 offset1:8
	v_pk_add_f32 v[92:93], v[92:93], v[146:147] neg_lo:[0,1] neg_hi:[0,1]
	v_pk_add_f32 v[94:95], v[94:95], v[144:145] neg_lo:[0,1] neg_hi:[0,1]
	s_wait_dscnt 0x0
	v_pk_mul_f32 v[144:145], v[140:141], v[132:133] op_sel:[0,1]
	s_delay_alu instid0(VALU_DEP_1) | instskip(SKIP_1) | instid1(VALU_DEP_1)
	v_pk_fma_f32 v[146:147], v[140:141], v[130:131], v[144:145] op_sel:[0,0,1] op_sel_hi:[1,1,0] neg_lo:[0,0,1] neg_hi:[0,0,1]
	v_pk_fma_f32 v[140:141], v[140:141], v[130:131], v[144:145] op_sel:[0,0,1] op_sel_hi:[1,0,0]
	v_mov_b32_e32 v147, v141
	v_pk_mul_f32 v[140:141], v[142:143], v[132:133] op_sel:[0,1]
	s_delay_alu instid0(VALU_DEP_1) | instskip(SKIP_1) | instid1(VALU_DEP_1)
	v_pk_fma_f32 v[144:145], v[142:143], v[130:131], v[140:141] op_sel:[0,0,1] op_sel_hi:[1,1,0] neg_lo:[0,0,1] neg_hi:[0,0,1]
	v_pk_fma_f32 v[140:141], v[142:143], v[130:131], v[140:141] op_sel:[0,0,1] op_sel_hi:[1,0,0]
	v_mov_b32_e32 v145, v141
	ds_load_2addr_b64 v[140:143], v134 offset0:9 offset1:10
	v_pk_add_f32 v[90:91], v[90:91], v[146:147] neg_lo:[0,1] neg_hi:[0,1]
	v_pk_add_f32 v[116:117], v[116:117], v[144:145] neg_lo:[0,1] neg_hi:[0,1]
	s_wait_dscnt 0x0
	v_dual_mul_f32 v144, v141, v133 :: v_dual_mul_f32 v146, v141, v130
	s_delay_alu instid0(VALU_DEP_1) | instskip(NEXT) | instid1(VALU_DEP_2)
	v_pk_fma_f32 v[144:145], v[140:141], v[126:127], v[144:145] op_sel_hi:[1,1,0] neg_lo:[0,0,1] neg_hi:[0,0,1]
	v_pk_fma_f32 v[140:141], v[140:141], v[126:127], v[146:147] op_sel:[1,0,0] op_sel_hi:[0,1,0]
	s_delay_alu instid0(VALU_DEP_1) | instskip(SKIP_1) | instid1(VALU_DEP_2)
	v_mov_b32_e32 v145, v141
	v_pk_mul_f32 v[140:141], v[142:143], v[132:133] op_sel:[0,1]
	v_pk_add_f32 v[84:85], v[84:85], v[144:145] neg_lo:[0,1] neg_hi:[0,1]
	s_delay_alu instid0(VALU_DEP_2) | instskip(SKIP_1) | instid1(VALU_DEP_1)
	v_pk_fma_f32 v[144:145], v[142:143], v[130:131], v[140:141] op_sel:[0,0,1] op_sel_hi:[1,1,0] neg_lo:[0,0,1] neg_hi:[0,0,1]
	v_pk_fma_f32 v[140:141], v[142:143], v[130:131], v[140:141] op_sel:[0,0,1] op_sel_hi:[1,0,0]
	v_mov_b32_e32 v145, v141
	ds_load_2addr_b64 v[140:143], v134 offset0:11 offset1:12
	v_pk_add_f32 v[88:89], v[88:89], v[144:145] neg_lo:[0,1] neg_hi:[0,1]
	s_wait_dscnt 0x0
	v_pk_mul_f32 v[144:145], v[140:141], v[132:133] op_sel:[0,1]
	s_delay_alu instid0(VALU_DEP_1) | instskip(SKIP_1) | instid1(VALU_DEP_1)
	v_pk_fma_f32 v[146:147], v[140:141], v[130:131], v[144:145] op_sel:[0,0,1] op_sel_hi:[1,1,0] neg_lo:[0,0,1] neg_hi:[0,0,1]
	v_pk_fma_f32 v[140:141], v[140:141], v[130:131], v[144:145] op_sel:[0,0,1] op_sel_hi:[1,0,0]
	v_mov_b32_e32 v147, v141
	v_pk_mul_f32 v[140:141], v[142:143], v[132:133] op_sel:[0,1]
	s_delay_alu instid0(VALU_DEP_2) | instskip(NEXT) | instid1(VALU_DEP_2)
	v_pk_add_f32 v[82:83], v[82:83], v[146:147] neg_lo:[0,1] neg_hi:[0,1]
	v_pk_fma_f32 v[144:145], v[142:143], v[130:131], v[140:141] op_sel:[0,0,1] op_sel_hi:[1,1,0] neg_lo:[0,0,1] neg_hi:[0,0,1]
	v_pk_fma_f32 v[140:141], v[142:143], v[130:131], v[140:141] op_sel:[0,0,1] op_sel_hi:[1,0,0]
	s_delay_alu instid0(VALU_DEP_1) | instskip(SKIP_4) | instid1(VALU_DEP_1)
	v_mov_b32_e32 v145, v141
	ds_load_2addr_b64 v[140:143], v134 offset0:13 offset1:14
	v_pk_add_f32 v[114:115], v[114:115], v[144:145] neg_lo:[0,1] neg_hi:[0,1]
	s_wait_dscnt 0x0
	v_pk_mul_f32 v[144:145], v[140:141], v[132:133] op_sel:[0,1]
	v_pk_fma_f32 v[146:147], v[140:141], v[130:131], v[144:145] op_sel:[0,0,1] op_sel_hi:[1,1,0] neg_lo:[0,0,1] neg_hi:[0,0,1]
	v_pk_fma_f32 v[140:141], v[140:141], v[130:131], v[144:145] op_sel:[0,0,1] op_sel_hi:[1,0,0]
	v_dual_mul_f32 v144, v143, v133 :: v_dual_mov_b32 v140, v143
	s_delay_alu instid0(VALU_DEP_2) | instskip(NEXT) | instid1(VALU_DEP_2)
	v_dual_mov_b32 v147, v141 :: v_dual_mov_b32 v141, v142
	v_pk_fma_f32 v[144:145], v[142:143], v[126:127], v[144:145] op_sel_hi:[1,1,0] neg_lo:[0,0,1] neg_hi:[0,0,1]
	v_mul_f32_e32 v142, v143, v130
	s_delay_alu instid0(VALU_DEP_3) | instskip(NEXT) | instid1(VALU_DEP_2)
	v_pk_add_f32 v[78:79], v[78:79], v[146:147] neg_lo:[0,1] neg_hi:[0,1]
	v_pk_fma_f32 v[140:141], v[140:141], v[126:127], v[142:143] op_sel_hi:[1,1,0]
	s_delay_alu instid0(VALU_DEP_1) | instskip(SKIP_4) | instid1(VALU_DEP_1)
	v_mov_b32_e32 v145, v141
	ds_load_2addr_b64 v[140:143], v134 offset0:15 offset1:16
	v_pk_add_f32 v[80:81], v[80:81], v[144:145] neg_lo:[0,1] neg_hi:[0,1]
	s_wait_dscnt 0x0
	v_pk_mul_f32 v[144:145], v[140:141], v[132:133] op_sel:[0,1]
	v_pk_fma_f32 v[146:147], v[140:141], v[130:131], v[144:145] op_sel:[0,0,1] op_sel_hi:[1,1,0] neg_lo:[0,0,1] neg_hi:[0,0,1]
	v_pk_fma_f32 v[140:141], v[140:141], v[130:131], v[144:145] op_sel:[0,0,1] op_sel_hi:[1,0,0]
	s_delay_alu instid0(VALU_DEP_1) | instskip(SKIP_1) | instid1(VALU_DEP_1)
	v_mov_b32_e32 v147, v141
	v_pk_mul_f32 v[140:141], v[142:143], v[132:133] op_sel:[0,1]
	v_pk_fma_f32 v[144:145], v[142:143], v[130:131], v[140:141] op_sel:[0,0,1] op_sel_hi:[1,1,0] neg_lo:[0,0,1] neg_hi:[0,0,1]
	v_pk_fma_f32 v[140:141], v[142:143], v[130:131], v[140:141] op_sel:[0,0,1] op_sel_hi:[1,0,0]
	s_delay_alu instid0(VALU_DEP_1)
	v_mov_b32_e32 v145, v141
	ds_load_2addr_b64 v[140:143], v134 offset0:17 offset1:18
	v_pk_add_f32 v[76:77], v[76:77], v[146:147] neg_lo:[0,1] neg_hi:[0,1]
	v_pk_add_f32 v[112:113], v[112:113], v[144:145] neg_lo:[0,1] neg_hi:[0,1]
	s_wait_dscnt 0x0
	v_pk_mul_f32 v[144:145], v[140:141], v[132:133] op_sel:[0,1]
	s_delay_alu instid0(VALU_DEP_1) | instskip(SKIP_1) | instid1(VALU_DEP_1)
	v_pk_fma_f32 v[146:147], v[140:141], v[130:131], v[144:145] op_sel:[0,0,1] op_sel_hi:[1,1,0] neg_lo:[0,0,1] neg_hi:[0,0,1]
	v_pk_fma_f32 v[140:141], v[140:141], v[130:131], v[144:145] op_sel:[0,0,1] op_sel_hi:[1,0,0]
	v_mov_b32_e32 v147, v141
	v_pk_mul_f32 v[140:141], v[142:143], v[132:133] op_sel:[0,1]
	s_delay_alu instid0(VALU_DEP_1) | instskip(SKIP_1) | instid1(VALU_DEP_1)
	v_pk_fma_f32 v[144:145], v[142:143], v[130:131], v[140:141] op_sel:[0,0,1] op_sel_hi:[1,1,0] neg_lo:[0,0,1] neg_hi:[0,0,1]
	v_pk_fma_f32 v[140:141], v[142:143], v[130:131], v[140:141] op_sel:[0,0,1] op_sel_hi:[1,0,0]
	v_mov_b32_e32 v145, v141
	ds_load_2addr_b64 v[140:143], v134 offset0:19 offset1:20
	v_pk_add_f32 v[72:73], v[72:73], v[146:147] neg_lo:[0,1] neg_hi:[0,1]
	v_pk_add_f32 v[74:75], v[74:75], v[144:145] neg_lo:[0,1] neg_hi:[0,1]
	s_wait_dscnt 0x0
	v_dual_mul_f32 v144, v141, v133 :: v_dual_mul_f32 v146, v141, v130
	s_delay_alu instid0(VALU_DEP_1) | instskip(NEXT) | instid1(VALU_DEP_2)
	v_pk_fma_f32 v[144:145], v[140:141], v[126:127], v[144:145] op_sel_hi:[1,1,0] neg_lo:[0,0,1] neg_hi:[0,0,1]
	v_pk_fma_f32 v[140:141], v[140:141], v[126:127], v[146:147] op_sel:[1,0,0] op_sel_hi:[0,1,0]
	s_delay_alu instid0(VALU_DEP_1) | instskip(SKIP_1) | instid1(VALU_DEP_2)
	v_mov_b32_e32 v145, v141
	v_pk_mul_f32 v[140:141], v[142:143], v[132:133] op_sel:[0,1]
	v_pk_add_f32 v[70:71], v[70:71], v[144:145] neg_lo:[0,1] neg_hi:[0,1]
	s_delay_alu instid0(VALU_DEP_2) | instskip(SKIP_1) | instid1(VALU_DEP_1)
	v_pk_fma_f32 v[144:145], v[142:143], v[130:131], v[140:141] op_sel:[0,0,1] op_sel_hi:[1,1,0] neg_lo:[0,0,1] neg_hi:[0,0,1]
	v_pk_fma_f32 v[140:141], v[142:143], v[130:131], v[140:141] op_sel:[0,0,1] op_sel_hi:[1,0,0]
	v_mov_b32_e32 v145, v141
	ds_load_2addr_b64 v[140:143], v134 offset0:21 offset1:22
	v_pk_add_f32 v[110:111], v[110:111], v[144:145] neg_lo:[0,1] neg_hi:[0,1]
	s_wait_dscnt 0x0
	v_pk_mul_f32 v[144:145], v[140:141], v[132:133] op_sel:[0,1]
	s_delay_alu instid0(VALU_DEP_1) | instskip(SKIP_1) | instid1(VALU_DEP_1)
	v_pk_fma_f32 v[146:147], v[140:141], v[130:131], v[144:145] op_sel:[0,0,1] op_sel_hi:[1,1,0] neg_lo:[0,0,1] neg_hi:[0,0,1]
	v_pk_fma_f32 v[140:141], v[140:141], v[130:131], v[144:145] op_sel:[0,0,1] op_sel_hi:[1,0,0]
	v_mov_b32_e32 v147, v141
	v_pk_mul_f32 v[140:141], v[142:143], v[132:133] op_sel:[0,1]
	s_delay_alu instid0(VALU_DEP_2) | instskip(NEXT) | instid1(VALU_DEP_2)
	v_pk_add_f32 v[66:67], v[66:67], v[146:147] neg_lo:[0,1] neg_hi:[0,1]
	v_pk_fma_f32 v[144:145], v[142:143], v[130:131], v[140:141] op_sel:[0,0,1] op_sel_hi:[1,1,0] neg_lo:[0,0,1] neg_hi:[0,0,1]
	v_pk_fma_f32 v[140:141], v[142:143], v[130:131], v[140:141] op_sel:[0,0,1] op_sel_hi:[1,0,0]
	s_delay_alu instid0(VALU_DEP_1) | instskip(SKIP_4) | instid1(VALU_DEP_1)
	v_mov_b32_e32 v145, v141
	ds_load_2addr_b64 v[140:143], v134 offset0:23 offset1:24
	v_pk_add_f32 v[68:69], v[68:69], v[144:145] neg_lo:[0,1] neg_hi:[0,1]
	s_wait_dscnt 0x0
	v_pk_mul_f32 v[144:145], v[140:141], v[132:133] op_sel:[0,1]
	v_pk_fma_f32 v[146:147], v[140:141], v[130:131], v[144:145] op_sel:[0,0,1] op_sel_hi:[1,1,0] neg_lo:[0,0,1] neg_hi:[0,0,1]
	v_pk_fma_f32 v[140:141], v[140:141], v[130:131], v[144:145] op_sel:[0,0,1] op_sel_hi:[1,0,0]
	v_dual_mul_f32 v144, v143, v133 :: v_dual_mov_b32 v140, v143
	s_delay_alu instid0(VALU_DEP_2) | instskip(NEXT) | instid1(VALU_DEP_2)
	v_dual_mov_b32 v147, v141 :: v_dual_mov_b32 v141, v142
	v_pk_fma_f32 v[144:145], v[142:143], v[126:127], v[144:145] op_sel_hi:[1,1,0] neg_lo:[0,0,1] neg_hi:[0,0,1]
	v_mul_f32_e32 v142, v143, v130
	s_delay_alu instid0(VALU_DEP_3) | instskip(NEXT) | instid1(VALU_DEP_2)
	v_pk_add_f32 v[64:65], v[64:65], v[146:147] neg_lo:[0,1] neg_hi:[0,1]
	v_pk_fma_f32 v[140:141], v[140:141], v[126:127], v[142:143] op_sel_hi:[1,1,0]
	s_delay_alu instid0(VALU_DEP_1) | instskip(SKIP_4) | instid1(VALU_DEP_1)
	v_mov_b32_e32 v145, v141
	ds_load_2addr_b64 v[140:143], v134 offset0:25 offset1:26
	v_pk_add_f32 v[108:109], v[108:109], v[144:145] neg_lo:[0,1] neg_hi:[0,1]
	s_wait_dscnt 0x0
	v_pk_mul_f32 v[144:145], v[140:141], v[132:133] op_sel:[0,1]
	v_pk_fma_f32 v[146:147], v[140:141], v[130:131], v[144:145] op_sel:[0,0,1] op_sel_hi:[1,1,0] neg_lo:[0,0,1] neg_hi:[0,0,1]
	v_pk_fma_f32 v[140:141], v[140:141], v[130:131], v[144:145] op_sel:[0,0,1] op_sel_hi:[1,0,0]
	s_delay_alu instid0(VALU_DEP_1) | instskip(SKIP_1) | instid1(VALU_DEP_1)
	v_mov_b32_e32 v147, v141
	v_pk_mul_f32 v[140:141], v[142:143], v[132:133] op_sel:[0,1]
	v_pk_fma_f32 v[144:145], v[142:143], v[130:131], v[140:141] op_sel:[0,0,1] op_sel_hi:[1,1,0] neg_lo:[0,0,1] neg_hi:[0,0,1]
	v_pk_fma_f32 v[140:141], v[142:143], v[130:131], v[140:141] op_sel:[0,0,1] op_sel_hi:[1,0,0]
	s_delay_alu instid0(VALU_DEP_1)
	v_mov_b32_e32 v145, v141
	ds_load_2addr_b64 v[140:143], v134 offset0:27 offset1:28
	v_pk_add_f32 v[60:61], v[60:61], v[146:147] neg_lo:[0,1] neg_hi:[0,1]
	v_pk_add_f32 v[62:63], v[62:63], v[144:145] neg_lo:[0,1] neg_hi:[0,1]
	s_wait_dscnt 0x0
	v_pk_mul_f32 v[144:145], v[140:141], v[132:133] op_sel:[0,1]
	s_delay_alu instid0(VALU_DEP_1) | instskip(SKIP_1) | instid1(VALU_DEP_1)
	v_pk_fma_f32 v[146:147], v[140:141], v[130:131], v[144:145] op_sel:[0,0,1] op_sel_hi:[1,1,0] neg_lo:[0,0,1] neg_hi:[0,0,1]
	v_pk_fma_f32 v[140:141], v[140:141], v[130:131], v[144:145] op_sel:[0,0,1] op_sel_hi:[1,0,0]
	v_mov_b32_e32 v147, v141
	v_pk_mul_f32 v[140:141], v[142:143], v[132:133] op_sel:[0,1]
	s_delay_alu instid0(VALU_DEP_1) | instskip(SKIP_1) | instid1(VALU_DEP_1)
	v_pk_fma_f32 v[144:145], v[142:143], v[130:131], v[140:141] op_sel:[0,0,1] op_sel_hi:[1,1,0] neg_lo:[0,0,1] neg_hi:[0,0,1]
	v_pk_fma_f32 v[140:141], v[142:143], v[130:131], v[140:141] op_sel:[0,0,1] op_sel_hi:[1,0,0]
	v_mov_b32_e32 v145, v141
	ds_load_2addr_b64 v[140:143], v134 offset0:29 offset1:30
	v_pk_add_f32 v[58:59], v[58:59], v[146:147] neg_lo:[0,1] neg_hi:[0,1]
	v_pk_add_f32 v[106:107], v[106:107], v[144:145] neg_lo:[0,1] neg_hi:[0,1]
	s_wait_dscnt 0x0
	v_dual_mul_f32 v144, v141, v133 :: v_dual_mul_f32 v146, v141, v130
	s_delay_alu instid0(VALU_DEP_1) | instskip(NEXT) | instid1(VALU_DEP_2)
	v_pk_fma_f32 v[144:145], v[140:141], v[126:127], v[144:145] op_sel_hi:[1,1,0] neg_lo:[0,0,1] neg_hi:[0,0,1]
	v_pk_fma_f32 v[140:141], v[140:141], v[126:127], v[146:147] op_sel:[1,0,0] op_sel_hi:[0,1,0]
	s_delay_alu instid0(VALU_DEP_1) | instskip(SKIP_1) | instid1(VALU_DEP_2)
	v_mov_b32_e32 v145, v141
	v_pk_mul_f32 v[140:141], v[142:143], v[132:133] op_sel:[0,1]
	v_pk_add_f32 v[54:55], v[54:55], v[144:145] neg_lo:[0,1] neg_hi:[0,1]
	s_delay_alu instid0(VALU_DEP_2) | instskip(SKIP_1) | instid1(VALU_DEP_1)
	v_pk_fma_f32 v[144:145], v[142:143], v[130:131], v[140:141] op_sel:[0,0,1] op_sel_hi:[1,1,0] neg_lo:[0,0,1] neg_hi:[0,0,1]
	v_pk_fma_f32 v[140:141], v[142:143], v[130:131], v[140:141] op_sel:[0,0,1] op_sel_hi:[1,0,0]
	v_mov_b32_e32 v145, v141
	ds_load_2addr_b64 v[140:143], v134 offset0:31 offset1:32
	v_pk_add_f32 v[56:57], v[56:57], v[144:145] neg_lo:[0,1] neg_hi:[0,1]
	s_wait_dscnt 0x0
	v_pk_mul_f32 v[144:145], v[140:141], v[132:133] op_sel:[0,1]
	s_delay_alu instid0(VALU_DEP_1) | instskip(SKIP_1) | instid1(VALU_DEP_1)
	v_pk_fma_f32 v[146:147], v[140:141], v[130:131], v[144:145] op_sel:[0,0,1] op_sel_hi:[1,1,0] neg_lo:[0,0,1] neg_hi:[0,0,1]
	v_pk_fma_f32 v[140:141], v[140:141], v[130:131], v[144:145] op_sel:[0,0,1] op_sel_hi:[1,0,0]
	v_mov_b32_e32 v147, v141
	v_pk_mul_f32 v[140:141], v[142:143], v[132:133] op_sel:[0,1]
	s_delay_alu instid0(VALU_DEP_2) | instskip(NEXT) | instid1(VALU_DEP_2)
	v_pk_add_f32 v[52:53], v[52:53], v[146:147] neg_lo:[0,1] neg_hi:[0,1]
	v_pk_fma_f32 v[144:145], v[142:143], v[130:131], v[140:141] op_sel:[0,0,1] op_sel_hi:[1,1,0] neg_lo:[0,0,1] neg_hi:[0,0,1]
	v_pk_fma_f32 v[140:141], v[142:143], v[130:131], v[140:141] op_sel:[0,0,1] op_sel_hi:[1,0,0]
	s_delay_alu instid0(VALU_DEP_1) | instskip(SKIP_4) | instid1(VALU_DEP_1)
	v_mov_b32_e32 v145, v141
	ds_load_2addr_b64 v[140:143], v134 offset0:33 offset1:34
	v_pk_add_f32 v[104:105], v[104:105], v[144:145] neg_lo:[0,1] neg_hi:[0,1]
	s_wait_dscnt 0x0
	v_pk_mul_f32 v[144:145], v[140:141], v[132:133] op_sel:[0,1]
	v_pk_fma_f32 v[146:147], v[140:141], v[130:131], v[144:145] op_sel:[0,0,1] op_sel_hi:[1,1,0] neg_lo:[0,0,1] neg_hi:[0,0,1]
	v_pk_fma_f32 v[140:141], v[140:141], v[130:131], v[144:145] op_sel:[0,0,1] op_sel_hi:[1,0,0]
	v_dual_mul_f32 v144, v143, v133 :: v_dual_mov_b32 v140, v143
	s_delay_alu instid0(VALU_DEP_2) | instskip(NEXT) | instid1(VALU_DEP_2)
	v_dual_mov_b32 v147, v141 :: v_dual_mov_b32 v141, v142
	v_pk_fma_f32 v[144:145], v[142:143], v[126:127], v[144:145] op_sel_hi:[1,1,0] neg_lo:[0,0,1] neg_hi:[0,0,1]
	v_mul_f32_e32 v142, v143, v130
	s_delay_alu instid0(VALU_DEP_3) | instskip(NEXT) | instid1(VALU_DEP_2)
	v_pk_add_f32 v[48:49], v[48:49], v[146:147] neg_lo:[0,1] neg_hi:[0,1]
	v_pk_fma_f32 v[140:141], v[140:141], v[126:127], v[142:143] op_sel_hi:[1,1,0]
	s_delay_alu instid0(VALU_DEP_1) | instskip(SKIP_4) | instid1(VALU_DEP_1)
	v_mov_b32_e32 v145, v141
	ds_load_2addr_b64 v[140:143], v134 offset0:35 offset1:36
	v_pk_add_f32 v[50:51], v[50:51], v[144:145] neg_lo:[0,1] neg_hi:[0,1]
	s_wait_dscnt 0x0
	v_pk_mul_f32 v[144:145], v[140:141], v[132:133] op_sel:[0,1]
	v_pk_fma_f32 v[146:147], v[140:141], v[130:131], v[144:145] op_sel:[0,0,1] op_sel_hi:[1,1,0] neg_lo:[0,0,1] neg_hi:[0,0,1]
	v_pk_fma_f32 v[140:141], v[140:141], v[130:131], v[144:145] op_sel:[0,0,1] op_sel_hi:[1,0,0]
	s_delay_alu instid0(VALU_DEP_1) | instskip(SKIP_1) | instid1(VALU_DEP_1)
	v_mov_b32_e32 v147, v141
	v_pk_mul_f32 v[140:141], v[142:143], v[132:133] op_sel:[0,1]
	v_pk_fma_f32 v[144:145], v[142:143], v[130:131], v[140:141] op_sel:[0,0,1] op_sel_hi:[1,1,0] neg_lo:[0,0,1] neg_hi:[0,0,1]
	v_pk_fma_f32 v[140:141], v[142:143], v[130:131], v[140:141] op_sel:[0,0,1] op_sel_hi:[1,0,0]
	s_delay_alu instid0(VALU_DEP_1)
	v_mov_b32_e32 v145, v141
	ds_load_2addr_b64 v[140:143], v134 offset0:37 offset1:38
	v_pk_add_f32 v[46:47], v[46:47], v[146:147] neg_lo:[0,1] neg_hi:[0,1]
	v_pk_add_f32 v[102:103], v[102:103], v[144:145] neg_lo:[0,1] neg_hi:[0,1]
	s_wait_dscnt 0x0
	v_pk_mul_f32 v[144:145], v[140:141], v[132:133] op_sel:[0,1]
	s_delay_alu instid0(VALU_DEP_1) | instskip(SKIP_1) | instid1(VALU_DEP_1)
	v_pk_fma_f32 v[146:147], v[140:141], v[130:131], v[144:145] op_sel:[0,0,1] op_sel_hi:[1,1,0] neg_lo:[0,0,1] neg_hi:[0,0,1]
	v_pk_fma_f32 v[140:141], v[140:141], v[130:131], v[144:145] op_sel:[0,0,1] op_sel_hi:[1,0,0]
	v_mov_b32_e32 v147, v141
	v_pk_mul_f32 v[140:141], v[142:143], v[132:133] op_sel:[0,1]
	s_delay_alu instid0(VALU_DEP_1) | instskip(SKIP_1) | instid1(VALU_DEP_1)
	v_pk_fma_f32 v[144:145], v[142:143], v[130:131], v[140:141] op_sel:[0,0,1] op_sel_hi:[1,1,0] neg_lo:[0,0,1] neg_hi:[0,0,1]
	v_pk_fma_f32 v[140:141], v[142:143], v[130:131], v[140:141] op_sel:[0,0,1] op_sel_hi:[1,0,0]
	v_mov_b32_e32 v145, v141
	ds_load_2addr_b64 v[140:143], v134 offset0:39 offset1:40
	v_pk_add_f32 v[40:41], v[40:41], v[146:147] neg_lo:[0,1] neg_hi:[0,1]
	v_pk_add_f32 v[42:43], v[42:43], v[144:145] neg_lo:[0,1] neg_hi:[0,1]
	s_wait_dscnt 0x0
	v_dual_mul_f32 v144, v141, v133 :: v_dual_mul_f32 v146, v141, v130
	s_delay_alu instid0(VALU_DEP_1) | instskip(NEXT) | instid1(VALU_DEP_2)
	v_pk_fma_f32 v[144:145], v[140:141], v[126:127], v[144:145] op_sel_hi:[1,1,0] neg_lo:[0,0,1] neg_hi:[0,0,1]
	v_pk_fma_f32 v[140:141], v[140:141], v[126:127], v[146:147] op_sel:[1,0,0] op_sel_hi:[0,1,0]
	s_delay_alu instid0(VALU_DEP_1) | instskip(SKIP_1) | instid1(VALU_DEP_2)
	v_mov_b32_e32 v145, v141
	v_pk_mul_f32 v[140:141], v[142:143], v[132:133] op_sel:[0,1]
	v_pk_add_f32 v[38:39], v[38:39], v[144:145] neg_lo:[0,1] neg_hi:[0,1]
	s_delay_alu instid0(VALU_DEP_2) | instskip(SKIP_1) | instid1(VALU_DEP_1)
	v_pk_fma_f32 v[144:145], v[142:143], v[130:131], v[140:141] op_sel:[0,0,1] op_sel_hi:[1,1,0] neg_lo:[0,0,1] neg_hi:[0,0,1]
	v_pk_fma_f32 v[140:141], v[142:143], v[130:131], v[140:141] op_sel:[0,0,1] op_sel_hi:[1,0,0]
	v_mov_b32_e32 v145, v141
	ds_load_2addr_b64 v[140:143], v134 offset0:41 offset1:42
	v_pk_add_f32 v[100:101], v[100:101], v[144:145] neg_lo:[0,1] neg_hi:[0,1]
	s_wait_dscnt 0x0
	v_pk_mul_f32 v[144:145], v[140:141], v[132:133] op_sel:[0,1]
	s_delay_alu instid0(VALU_DEP_1) | instskip(SKIP_1) | instid1(VALU_DEP_1)
	v_pk_fma_f32 v[146:147], v[140:141], v[130:131], v[144:145] op_sel:[0,0,1] op_sel_hi:[1,1,0] neg_lo:[0,0,1] neg_hi:[0,0,1]
	v_pk_fma_f32 v[140:141], v[140:141], v[130:131], v[144:145] op_sel:[0,0,1] op_sel_hi:[1,0,0]
	v_mov_b32_e32 v147, v141
	v_pk_mul_f32 v[140:141], v[142:143], v[132:133] op_sel:[0,1]
	s_delay_alu instid0(VALU_DEP_2) | instskip(NEXT) | instid1(VALU_DEP_2)
	v_pk_add_f32 v[32:33], v[32:33], v[146:147] neg_lo:[0,1] neg_hi:[0,1]
	v_pk_fma_f32 v[144:145], v[142:143], v[130:131], v[140:141] op_sel:[0,0,1] op_sel_hi:[1,1,0] neg_lo:[0,0,1] neg_hi:[0,0,1]
	v_pk_fma_f32 v[140:141], v[142:143], v[130:131], v[140:141] op_sel:[0,0,1] op_sel_hi:[1,0,0]
	s_delay_alu instid0(VALU_DEP_1) | instskip(SKIP_4) | instid1(VALU_DEP_1)
	v_mov_b32_e32 v145, v141
	ds_load_2addr_b64 v[140:143], v134 offset0:43 offset1:44
	v_pk_add_f32 v[34:35], v[34:35], v[144:145] neg_lo:[0,1] neg_hi:[0,1]
	s_wait_dscnt 0x0
	v_pk_mul_f32 v[144:145], v[140:141], v[132:133] op_sel:[0,1]
	v_pk_fma_f32 v[146:147], v[140:141], v[130:131], v[144:145] op_sel:[0,0,1] op_sel_hi:[1,1,0] neg_lo:[0,0,1] neg_hi:[0,0,1]
	v_pk_fma_f32 v[140:141], v[140:141], v[130:131], v[144:145] op_sel:[0,0,1] op_sel_hi:[1,0,0]
	v_dual_mul_f32 v144, v143, v133 :: v_dual_mov_b32 v140, v143
	s_delay_alu instid0(VALU_DEP_2) | instskip(NEXT) | instid1(VALU_DEP_2)
	v_dual_mov_b32 v147, v141 :: v_dual_mov_b32 v141, v142
	v_pk_fma_f32 v[144:145], v[142:143], v[126:127], v[144:145] op_sel_hi:[1,1,0] neg_lo:[0,0,1] neg_hi:[0,0,1]
	v_mul_f32_e32 v142, v143, v130
	s_delay_alu instid0(VALU_DEP_3) | instskip(NEXT) | instid1(VALU_DEP_2)
	v_pk_add_f32 v[30:31], v[30:31], v[146:147] neg_lo:[0,1] neg_hi:[0,1]
	v_pk_fma_f32 v[140:141], v[140:141], v[126:127], v[142:143] op_sel_hi:[1,1,0]
	s_delay_alu instid0(VALU_DEP_1) | instskip(SKIP_4) | instid1(VALU_DEP_1)
	v_mov_b32_e32 v145, v141
	ds_load_2addr_b64 v[140:143], v134 offset0:45 offset1:46
	v_pk_add_f32 v[98:99], v[98:99], v[144:145] neg_lo:[0,1] neg_hi:[0,1]
	s_wait_dscnt 0x0
	v_pk_mul_f32 v[144:145], v[140:141], v[132:133] op_sel:[0,1]
	v_pk_fma_f32 v[146:147], v[140:141], v[130:131], v[144:145] op_sel:[0,0,1] op_sel_hi:[1,1,0] neg_lo:[0,0,1] neg_hi:[0,0,1]
	v_pk_fma_f32 v[140:141], v[140:141], v[130:131], v[144:145] op_sel:[0,0,1] op_sel_hi:[1,0,0]
	s_delay_alu instid0(VALU_DEP_1) | instskip(SKIP_1) | instid1(VALU_DEP_1)
	v_mov_b32_e32 v147, v141
	v_pk_mul_f32 v[140:141], v[142:143], v[132:133] op_sel:[0,1]
	v_pk_fma_f32 v[144:145], v[142:143], v[130:131], v[140:141] op_sel:[0,0,1] op_sel_hi:[1,1,0] neg_lo:[0,0,1] neg_hi:[0,0,1]
	v_pk_fma_f32 v[140:141], v[142:143], v[130:131], v[140:141] op_sel:[0,0,1] op_sel_hi:[1,0,0]
	s_delay_alu instid0(VALU_DEP_1)
	v_mov_b32_e32 v145, v141
	ds_load_2addr_b64 v[140:143], v134 offset0:47 offset1:48
	v_pk_add_f32 v[24:25], v[24:25], v[146:147] neg_lo:[0,1] neg_hi:[0,1]
	v_pk_add_f32 v[28:29], v[28:29], v[144:145] neg_lo:[0,1] neg_hi:[0,1]
	s_wait_dscnt 0x0
	v_pk_mul_f32 v[144:145], v[140:141], v[132:133] op_sel:[0,1]
	s_delay_alu instid0(VALU_DEP_1) | instskip(SKIP_1) | instid1(VALU_DEP_1)
	v_pk_fma_f32 v[146:147], v[140:141], v[130:131], v[144:145] op_sel:[0,0,1] op_sel_hi:[1,1,0] neg_lo:[0,0,1] neg_hi:[0,0,1]
	v_pk_fma_f32 v[140:141], v[140:141], v[130:131], v[144:145] op_sel:[0,0,1] op_sel_hi:[1,0,0]
	v_mov_b32_e32 v147, v141
	v_pk_mul_f32 v[140:141], v[142:143], v[132:133] op_sel:[0,1]
	s_delay_alu instid0(VALU_DEP_1) | instskip(SKIP_1) | instid1(VALU_DEP_1)
	v_pk_fma_f32 v[144:145], v[142:143], v[130:131], v[140:141] op_sel:[0,0,1] op_sel_hi:[1,1,0] neg_lo:[0,0,1] neg_hi:[0,0,1]
	v_pk_fma_f32 v[140:141], v[142:143], v[130:131], v[140:141] op_sel:[0,0,1] op_sel_hi:[1,0,0]
	v_mov_b32_e32 v145, v141
	ds_load_2addr_b64 v[140:143], v134 offset0:49 offset1:50
	v_pk_add_f32 v[22:23], v[22:23], v[146:147] neg_lo:[0,1] neg_hi:[0,1]
	v_pk_add_f32 v[96:97], v[96:97], v[144:145] neg_lo:[0,1] neg_hi:[0,1]
	s_wait_dscnt 0x0
	v_dual_mul_f32 v144, v141, v133 :: v_dual_mul_f32 v146, v141, v130
	s_delay_alu instid0(VALU_DEP_1) | instskip(NEXT) | instid1(VALU_DEP_2)
	v_pk_fma_f32 v[144:145], v[140:141], v[126:127], v[144:145] op_sel_hi:[1,1,0] neg_lo:[0,0,1] neg_hi:[0,0,1]
	v_pk_fma_f32 v[140:141], v[140:141], v[126:127], v[146:147] op_sel:[1,0,0] op_sel_hi:[0,1,0]
	s_delay_alu instid0(VALU_DEP_1) | instskip(SKIP_1) | instid1(VALU_DEP_2)
	v_mov_b32_e32 v145, v141
	v_pk_mul_f32 v[140:141], v[142:143], v[132:133] op_sel:[0,1]
	v_pk_add_f32 v[18:19], v[18:19], v[144:145] neg_lo:[0,1] neg_hi:[0,1]
	s_delay_alu instid0(VALU_DEP_2) | instskip(SKIP_1) | instid1(VALU_DEP_1)
	v_pk_fma_f32 v[144:145], v[142:143], v[130:131], v[140:141] op_sel:[0,0,1] op_sel_hi:[1,1,0] neg_lo:[0,0,1] neg_hi:[0,0,1]
	v_pk_fma_f32 v[140:141], v[142:143], v[130:131], v[140:141] op_sel:[0,0,1] op_sel_hi:[1,0,0]
	v_mov_b32_e32 v145, v141
	ds_load_2addr_b64 v[140:143], v134 offset0:51 offset1:52
	v_pk_add_f32 v[20:21], v[20:21], v[144:145] neg_lo:[0,1] neg_hi:[0,1]
	s_wait_dscnt 0x0
	v_pk_mul_f32 v[144:145], v[140:141], v[132:133] op_sel:[0,1]
	s_delay_alu instid0(VALU_DEP_1) | instskip(SKIP_1) | instid1(VALU_DEP_1)
	v_pk_fma_f32 v[146:147], v[140:141], v[130:131], v[144:145] op_sel:[0,0,1] op_sel_hi:[1,1,0] neg_lo:[0,0,1] neg_hi:[0,0,1]
	v_pk_fma_f32 v[140:141], v[140:141], v[130:131], v[144:145] op_sel:[0,0,1] op_sel_hi:[1,0,0]
	v_mov_b32_e32 v147, v141
	v_pk_mul_f32 v[140:141], v[142:143], v[132:133] op_sel:[0,1]
	s_delay_alu instid0(VALU_DEP_2) | instskip(NEXT) | instid1(VALU_DEP_2)
	v_pk_add_f32 v[36:37], v[36:37], v[146:147] neg_lo:[0,1] neg_hi:[0,1]
	v_pk_fma_f32 v[144:145], v[142:143], v[130:131], v[140:141] op_sel:[0,0,1] op_sel_hi:[1,1,0] neg_lo:[0,0,1] neg_hi:[0,0,1]
	v_pk_fma_f32 v[140:141], v[142:143], v[130:131], v[140:141] op_sel:[0,0,1] op_sel_hi:[1,0,0]
	s_delay_alu instid0(VALU_DEP_1) | instskip(SKIP_4) | instid1(VALU_DEP_1)
	v_mov_b32_e32 v145, v141
	ds_load_2addr_b64 v[140:143], v134 offset0:53 offset1:54
	v_pk_add_f32 v[86:87], v[86:87], v[144:145] neg_lo:[0,1] neg_hi:[0,1]
	s_wait_dscnt 0x0
	v_pk_mul_f32 v[144:145], v[140:141], v[132:133] op_sel:[0,1]
	v_pk_fma_f32 v[146:147], v[140:141], v[130:131], v[144:145] op_sel:[0,0,1] op_sel_hi:[1,1,0] neg_lo:[0,0,1] neg_hi:[0,0,1]
	v_pk_fma_f32 v[140:141], v[140:141], v[130:131], v[144:145] op_sel:[0,0,1] op_sel_hi:[1,0,0]
	v_dual_mul_f32 v144, v143, v133 :: v_dual_mov_b32 v140, v143
	s_delay_alu instid0(VALU_DEP_2) | instskip(NEXT) | instid1(VALU_DEP_2)
	v_dual_mov_b32 v147, v141 :: v_dual_mov_b32 v141, v142
	v_pk_fma_f32 v[144:145], v[142:143], v[126:127], v[144:145] op_sel_hi:[1,1,0] neg_lo:[0,0,1] neg_hi:[0,0,1]
	v_mul_f32_e32 v142, v143, v130
	s_delay_alu instid0(VALU_DEP_3) | instskip(NEXT) | instid1(VALU_DEP_2)
	v_pk_add_f32 v[10:11], v[10:11], v[146:147] neg_lo:[0,1] neg_hi:[0,1]
	v_pk_fma_f32 v[140:141], v[140:141], v[126:127], v[142:143] op_sel_hi:[1,1,0]
	s_delay_alu instid0(VALU_DEP_1) | instskip(SKIP_4) | instid1(VALU_DEP_1)
	v_mov_b32_e32 v145, v141
	ds_load_2addr_b64 v[140:143], v134 offset0:55 offset1:56
	v_pk_add_f32 v[12:13], v[12:13], v[144:145] neg_lo:[0,1] neg_hi:[0,1]
	s_wait_dscnt 0x0
	v_pk_mul_f32 v[144:145], v[140:141], v[132:133] op_sel:[0,1]
	v_pk_fma_f32 v[146:147], v[140:141], v[130:131], v[144:145] op_sel:[0,0,1] op_sel_hi:[1,1,0] neg_lo:[0,0,1] neg_hi:[0,0,1]
	v_pk_fma_f32 v[140:141], v[140:141], v[130:131], v[144:145] op_sel:[0,0,1] op_sel_hi:[1,0,0]
	s_delay_alu instid0(VALU_DEP_1) | instskip(SKIP_1) | instid1(VALU_DEP_1)
	v_mov_b32_e32 v147, v141
	v_pk_mul_f32 v[140:141], v[142:143], v[132:133] op_sel:[0,1]
	v_pk_fma_f32 v[144:145], v[142:143], v[130:131], v[140:141] op_sel:[0,0,1] op_sel_hi:[1,1,0] neg_lo:[0,0,1] neg_hi:[0,0,1]
	v_pk_fma_f32 v[140:141], v[142:143], v[130:131], v[140:141] op_sel:[0,0,1] op_sel_hi:[1,0,0]
	s_delay_alu instid0(VALU_DEP_1)
	v_mov_b32_e32 v145, v141
	ds_load_2addr_b64 v[140:143], v134 offset0:57 offset1:58
	v_pk_add_f32 v[8:9], v[8:9], v[146:147] neg_lo:[0,1] neg_hi:[0,1]
	v_pk_add_f32 v[44:45], v[44:45], v[144:145] neg_lo:[0,1] neg_hi:[0,1]
	s_wait_dscnt 0x0
	v_pk_mul_f32 v[144:145], v[140:141], v[132:133] op_sel:[0,1]
	s_delay_alu instid0(VALU_DEP_1) | instskip(SKIP_1) | instid1(VALU_DEP_1)
	v_pk_fma_f32 v[146:147], v[140:141], v[130:131], v[144:145] op_sel:[0,0,1] op_sel_hi:[1,1,0] neg_lo:[0,0,1] neg_hi:[0,0,1]
	v_pk_fma_f32 v[140:141], v[140:141], v[130:131], v[144:145] op_sel:[0,0,1] op_sel_hi:[1,0,0]
	v_mov_b32_e32 v147, v141
	v_pk_mul_f32 v[140:141], v[142:143], v[132:133] op_sel:[0,1]
	s_delay_alu instid0(VALU_DEP_1) | instskip(SKIP_1) | instid1(VALU_DEP_1)
	v_pk_fma_f32 v[144:145], v[142:143], v[130:131], v[140:141] op_sel:[0,0,1] op_sel_hi:[1,1,0] neg_lo:[0,0,1] neg_hi:[0,0,1]
	v_pk_fma_f32 v[140:141], v[142:143], v[130:131], v[140:141] op_sel:[0,0,1] op_sel_hi:[1,0,0]
	v_mov_b32_e32 v145, v141
	ds_load_2addr_b64 v[140:143], v134 offset0:59 offset1:60
	v_pk_add_f32 v[6:7], v[6:7], v[146:147] neg_lo:[0,1] neg_hi:[0,1]
	v_pk_add_f32 v[26:27], v[26:27], v[144:145] neg_lo:[0,1] neg_hi:[0,1]
	s_wait_dscnt 0x0
	v_dual_mul_f32 v144, v141, v133 :: v_dual_mul_f32 v146, v141, v130
	s_delay_alu instid0(VALU_DEP_1) | instskip(NEXT) | instid1(VALU_DEP_2)
	v_pk_fma_f32 v[144:145], v[140:141], v[126:127], v[144:145] op_sel_hi:[1,1,0] neg_lo:[0,0,1] neg_hi:[0,0,1]
	v_pk_fma_f32 v[140:141], v[140:141], v[126:127], v[146:147] op_sel:[1,0,0] op_sel_hi:[0,1,0]
	s_delay_alu instid0(VALU_DEP_1) | instskip(SKIP_1) | instid1(VALU_DEP_2)
	v_mov_b32_e32 v145, v141
	v_pk_mul_f32 v[140:141], v[142:143], v[132:133] op_sel:[0,1]
	v_pk_add_f32 v[16:17], v[16:17], v[144:145] neg_lo:[0,1] neg_hi:[0,1]
	s_delay_alu instid0(VALU_DEP_2) | instskip(SKIP_1) | instid1(VALU_DEP_1)
	v_pk_fma_f32 v[144:145], v[142:143], v[130:131], v[140:141] op_sel:[0,0,1] op_sel_hi:[1,1,0] neg_lo:[0,0,1] neg_hi:[0,0,1]
	v_pk_fma_f32 v[140:141], v[142:143], v[130:131], v[140:141] op_sel:[0,0,1] op_sel_hi:[1,0,0]
	v_mov_b32_e32 v145, v141
	ds_load_b64 v[140:141], v134 offset:488
	v_pk_add_f32 v[14:15], v[14:15], v[144:145] neg_lo:[0,1] neg_hi:[0,1]
	s_wait_dscnt 0x0
	v_pk_mul_f32 v[132:133], v[140:141], v[132:133] op_sel:[0,1]
	s_delay_alu instid0(VALU_DEP_1) | instskip(SKIP_1) | instid1(VALU_DEP_1)
	v_pk_fma_f32 v[142:143], v[140:141], v[130:131], v[132:133] op_sel:[0,0,1] op_sel_hi:[1,1,0] neg_lo:[0,0,1] neg_hi:[0,0,1]
	v_pk_fma_f32 v[130:131], v[140:141], v[130:131], v[132:133] op_sel:[0,0,1] op_sel_hi:[1,0,0]
	v_mov_b32_e32 v143, v131
	s_delay_alu instid0(VALU_DEP_1)
	v_pk_add_f32 v[128:129], v[128:129], v[142:143] neg_lo:[0,1] neg_hi:[0,1]
.LBB122_22:
	s_or_b32 exec_lo, exec_lo, s0
	v_lshl_add_u32 v130, v138, 3, v134
	s_barrier_signal -1
	s_barrier_wait -1
	ds_store_b64 v130, v[124:125]
	s_wait_dscnt 0x0
	s_barrier_signal -1
	s_barrier_wait -1
	ds_load_b64 v[132:133], v134 offset:8
	v_mov_b32_e32 v130, 1
	s_cmp_lt_i32 s18, 3
	s_cbranch_scc1 .LBB122_25
; %bb.23:
	v_add3_u32 v131, v135, 0, 16
	v_mov_b32_e32 v130, 1
	s_mov_b32 s0, 2
.LBB122_24:                             ; =>This Inner Loop Header: Depth=1
	ds_load_b64 v[140:141], v131
	s_wait_dscnt 0x1
	v_cmp_gt_f32_e32 vcc_lo, 0, v132
	v_cndmask_b32_e64 v142, v132, -v132, vcc_lo
	v_cmp_gt_f32_e32 vcc_lo, 0, v133
	v_cndmask_b32_e64 v144, v133, -v133, vcc_lo
	s_wait_dscnt 0x0
	v_cmp_gt_f32_e32 vcc_lo, 0, v140
	v_cndmask_b32_e64 v143, v140, -v140, vcc_lo
	v_cmp_gt_f32_e32 vcc_lo, 0, v141
	v_cndmask_b32_e64 v145, v141, -v141, vcc_lo
	s_delay_alu instid0(VALU_DEP_1) | instskip(NEXT) | instid1(VALU_DEP_1)
	v_pk_add_f32 v[142:143], v[142:143], v[144:145]
	v_cmp_lt_f32_e32 vcc_lo, v142, v143
	v_dual_add_nc_u32 v131, 8, v131 :: v_dual_cndmask_b32 v133, v133, v141, vcc_lo
	v_cndmask_b32_e32 v132, v132, v140, vcc_lo
	v_cndmask_b32_e64 v130, v130, s0, vcc_lo
	s_add_co_i32 s0, s0, 1
	s_delay_alu instid0(SALU_CYCLE_1)
	s_cmp_lg_u32 s18, s0
	s_cbranch_scc1 .LBB122_24
.LBB122_25:
	s_wait_dscnt 0x0
	v_cmp_neq_f32_e32 vcc_lo, 0, v132
	v_cmp_neq_f32_e64 s0, 0, v133
	s_or_b32 s1, vcc_lo, s0
	s_delay_alu instid0(SALU_CYCLE_1)
	s_and_saveexec_b32 s0, s1
	s_cbranch_execz .LBB122_31
; %bb.26:
	v_cmp_ngt_f32_e64 s1, |v132|, |v133|
	s_and_saveexec_b32 s12, s1
	s_delay_alu instid0(SALU_CYCLE_1)
	s_xor_b32 s1, exec_lo, s12
	s_cbranch_execz .LBB122_28
; %bb.27:
	v_div_scale_f32 v131, null, v133, v133, v132
	v_div_scale_f32 v141, vcc_lo, v132, v133, v132
	s_delay_alu instid0(VALU_DEP_2) | instskip(SKIP_1) | instid1(TRANS32_DEP_1)
	v_rcp_f32_e32 v136, v131
	v_nop
	v_fma_f32 v140, -v131, v136, 1.0
	s_delay_alu instid0(VALU_DEP_1) | instskip(NEXT) | instid1(VALU_DEP_1)
	v_fmac_f32_e32 v136, v140, v136
	v_mul_f32_e32 v140, v141, v136
	s_delay_alu instid0(VALU_DEP_1) | instskip(NEXT) | instid1(VALU_DEP_1)
	v_fma_f32 v142, -v131, v140, v141
	v_fmac_f32_e32 v140, v142, v136
	s_delay_alu instid0(VALU_DEP_1) | instskip(NEXT) | instid1(VALU_DEP_1)
	v_fma_f32 v131, -v131, v140, v141
	v_div_fmas_f32 v131, v131, v136, v140
	s_delay_alu instid0(VALU_DEP_1) | instskip(NEXT) | instid1(VALU_DEP_1)
	v_div_fixup_f32 v131, v131, v133, v132
	v_fmac_f32_e32 v133, v132, v131
	s_delay_alu instid0(VALU_DEP_1) | instskip(SKIP_1) | instid1(VALU_DEP_2)
	v_div_scale_f32 v132, null, v133, v133, 1.0
	v_div_scale_f32 v141, vcc_lo, 1.0, v133, 1.0
	v_rcp_f32_e32 v136, v132
	v_nop
	s_delay_alu instid0(TRANS32_DEP_1) | instskip(NEXT) | instid1(VALU_DEP_1)
	v_fma_f32 v140, -v132, v136, 1.0
	v_fmac_f32_e32 v136, v140, v136
	s_delay_alu instid0(VALU_DEP_1) | instskip(NEXT) | instid1(VALU_DEP_1)
	v_mul_f32_e32 v140, v141, v136
	v_fma_f32 v142, -v132, v140, v141
	s_delay_alu instid0(VALU_DEP_1) | instskip(NEXT) | instid1(VALU_DEP_1)
	v_fmac_f32_e32 v140, v142, v136
	v_fma_f32 v132, -v132, v140, v141
	s_delay_alu instid0(VALU_DEP_1) | instskip(NEXT) | instid1(VALU_DEP_1)
	v_div_fmas_f32 v132, v132, v136, v140
	v_div_fixup_f32 v133, v132, v133, 1.0
	s_delay_alu instid0(VALU_DEP_1)
	v_mul_f32_e32 v132, v131, v133
	v_xor_b32_e32 v133, 0x80000000, v133
.LBB122_28:
	s_and_not1_saveexec_b32 s1, s1
	s_cbranch_execz .LBB122_30
; %bb.29:
	s_delay_alu instid0(VALU_DEP_1) | instskip(SKIP_1) | instid1(VALU_DEP_2)
	v_div_scale_f32 v131, null, v132, v132, v133
	v_div_scale_f32 v141, vcc_lo, v133, v132, v133
	v_rcp_f32_e32 v136, v131
	v_nop
	s_delay_alu instid0(TRANS32_DEP_1) | instskip(NEXT) | instid1(VALU_DEP_1)
	v_fma_f32 v140, -v131, v136, 1.0
	v_fmac_f32_e32 v136, v140, v136
	s_delay_alu instid0(VALU_DEP_1) | instskip(NEXT) | instid1(VALU_DEP_1)
	v_mul_f32_e32 v140, v141, v136
	v_fma_f32 v142, -v131, v140, v141
	s_delay_alu instid0(VALU_DEP_1) | instskip(NEXT) | instid1(VALU_DEP_1)
	v_fmac_f32_e32 v140, v142, v136
	v_fma_f32 v131, -v131, v140, v141
	s_delay_alu instid0(VALU_DEP_1) | instskip(NEXT) | instid1(VALU_DEP_1)
	v_div_fmas_f32 v131, v131, v136, v140
	v_div_fixup_f32 v131, v131, v132, v133
	s_delay_alu instid0(VALU_DEP_1) | instskip(NEXT) | instid1(VALU_DEP_1)
	v_fmac_f32_e32 v132, v133, v131
	v_div_scale_f32 v133, null, v132, v132, 1.0
	s_delay_alu instid0(VALU_DEP_1) | instskip(SKIP_1) | instid1(TRANS32_DEP_1)
	v_rcp_f32_e32 v136, v133
	v_nop
	v_fma_f32 v140, -v133, v136, 1.0
	s_delay_alu instid0(VALU_DEP_1) | instskip(SKIP_1) | instid1(VALU_DEP_1)
	v_fmac_f32_e32 v136, v140, v136
	v_div_scale_f32 v140, vcc_lo, 1.0, v132, 1.0
	v_mul_f32_e32 v141, v140, v136
	s_delay_alu instid0(VALU_DEP_1) | instskip(NEXT) | instid1(VALU_DEP_1)
	v_fma_f32 v142, -v133, v141, v140
	v_fmac_f32_e32 v141, v142, v136
	s_delay_alu instid0(VALU_DEP_1) | instskip(NEXT) | instid1(VALU_DEP_1)
	v_fma_f32 v133, -v133, v141, v140
	v_div_fmas_f32 v133, v133, v136, v141
	s_delay_alu instid0(VALU_DEP_1) | instskip(NEXT) | instid1(VALU_DEP_1)
	v_div_fixup_f32 v132, v133, v132, 1.0
	v_mul_f32_e64 v133, v131, -v132
.LBB122_30:
	s_or_b32 exec_lo, exec_lo, s1
	v_mov_b32_e32 v136, v139
.LBB122_31:
	s_or_b32 exec_lo, exec_lo, s0
	s_delay_alu instid0(SALU_CYCLE_1)
	s_mov_b32 s0, exec_lo
	v_cmpx_ne_u32_e64 v138, v130
	s_xor_b32 s0, exec_lo, s0
	s_cbranch_execz .LBB122_37
; %bb.32:
	s_mov_b32 s1, exec_lo
	v_cmpx_eq_u32_e32 1, v138
	s_cbranch_execz .LBB122_36
; %bb.33:
	v_cmp_ne_u32_e32 vcc_lo, 1, v130
	s_xor_b32 s12, s16, -1
	s_delay_alu instid0(SALU_CYCLE_1) | instskip(NEXT) | instid1(SALU_CYCLE_1)
	s_and_b32 s13, s12, vcc_lo
	s_and_saveexec_b32 s12, s13
	s_cbranch_execz .LBB122_35
; %bb.34:
	v_ashrrev_i32_e32 v131, 31, v130
	s_delay_alu instid0(VALU_DEP_1)
	v_lshl_add_u64 v[138:139], v[130:131], 2, v[4:5]
	s_clause 0x1
	global_load_b32 v131, v[138:139], off
	global_load_b32 v137, v[4:5], off offset:4
	s_wait_loadcnt 0x1
	global_store_b32 v[4:5], v131, off offset:4
	s_wait_loadcnt 0x0
	global_store_b32 v[138:139], v137, off
.LBB122_35:
	s_wait_xcnt 0x0
	s_or_b32 exec_lo, exec_lo, s12
	v_dual_mov_b32 v138, v130 :: v_dual_mov_b32 v137, v130
.LBB122_36:
	s_or_b32 exec_lo, exec_lo, s1
.LBB122_37:
	s_and_not1_saveexec_b32 s0, s0
	s_cbranch_execz .LBB122_39
; %bb.38:
	v_dual_mov_b32 v130, v122 :: v_dual_mov_b32 v131, v123
	v_dual_mov_b32 v138, v120 :: v_dual_mov_b32 v139, v121
	;; [unrolled: 1-line block ×4, first 2 shown]
	ds_store_2addr_b64 v134, v[130:131], v[138:139] offset0:2 offset1:3
	ds_store_2addr_b64 v134, v[140:141], v[142:143] offset0:4 offset1:5
	v_dual_mov_b32 v130, v94 :: v_dual_mov_b32 v131, v95
	v_dual_mov_b32 v138, v90 :: v_dual_mov_b32 v139, v91
	v_dual_mov_b32 v140, v116 :: v_dual_mov_b32 v141, v117
	v_dual_mov_b32 v142, v84 :: v_dual_mov_b32 v143, v85
	v_dual_mov_b32 v144, v88 :: v_dual_mov_b32 v145, v89
	v_dual_mov_b32 v146, v82 :: v_dual_mov_b32 v147, v83
	v_dual_mov_b32 v148, v114 :: v_dual_mov_b32 v149, v115
	v_dual_mov_b32 v150, v78 :: v_dual_mov_b32 v151, v79
	v_dual_mov_b32 v152, v80 :: v_dual_mov_b32 v153, v81
	v_dual_mov_b32 v154, v76 :: v_dual_mov_b32 v155, v77
	v_dual_mov_b32 v156, v112 :: v_dual_mov_b32 v157, v113
	v_dual_mov_b32 v158, v72 :: v_dual_mov_b32 v159, v73
	ds_store_2addr_b64 v134, v[130:131], v[138:139] offset0:6 offset1:7
	ds_store_2addr_b64 v134, v[140:141], v[142:143] offset0:8 offset1:9
	ds_store_2addr_b64 v134, v[144:145], v[146:147] offset0:10 offset1:11
	ds_store_2addr_b64 v134, v[148:149], v[150:151] offset0:12 offset1:13
	ds_store_2addr_b64 v134, v[152:153], v[154:155] offset0:14 offset1:15
	ds_store_2addr_b64 v134, v[156:157], v[158:159] offset0:16 offset1:17
	v_dual_mov_b32 v130, v74 :: v_dual_mov_b32 v131, v75
	v_dual_mov_b32 v138, v70 :: v_dual_mov_b32 v139, v71
	v_dual_mov_b32 v140, v110 :: v_dual_mov_b32 v141, v111
	v_dual_mov_b32 v142, v66 :: v_dual_mov_b32 v143, v67
	v_dual_mov_b32 v144, v68 :: v_dual_mov_b32 v145, v69
	v_dual_mov_b32 v146, v64 :: v_dual_mov_b32 v147, v65
	v_dual_mov_b32 v148, v108 :: v_dual_mov_b32 v149, v109
	v_dual_mov_b32 v150, v60 :: v_dual_mov_b32 v151, v61
	v_dual_mov_b32 v152, v62 :: v_dual_mov_b32 v153, v63
	v_dual_mov_b32 v154, v58 :: v_dual_mov_b32 v155, v59
	v_dual_mov_b32 v156, v106 :: v_dual_mov_b32 v157, v107
	v_dual_mov_b32 v158, v54 :: v_dual_mov_b32 v159, v55
	ds_store_2addr_b64 v134, v[130:131], v[138:139] offset0:18 offset1:19
	ds_store_2addr_b64 v134, v[140:141], v[142:143] offset0:20 offset1:21
	ds_store_2addr_b64 v134, v[144:145], v[146:147] offset0:22 offset1:23
	ds_store_2addr_b64 v134, v[148:149], v[150:151] offset0:24 offset1:25
	;; [unrolled: 18-line block ×4, first 2 shown]
	ds_store_2addr_b64 v134, v[152:153], v[154:155] offset0:50 offset1:51
	ds_store_2addr_b64 v134, v[156:157], v[158:159] offset0:52 offset1:53
	v_dual_mov_b32 v130, v12 :: v_dual_mov_b32 v131, v13
	v_dual_mov_b32 v140, v8 :: v_dual_mov_b32 v141, v9
	;; [unrolled: 1-line block ×7, first 2 shown]
	v_mov_b32_e32 v151, v15
	ds_store_2addr_b64 v134, v[130:131], v[140:141] offset0:54 offset1:55
	ds_store_2addr_b64 v134, v[142:143], v[144:145] offset0:56 offset1:57
	;; [unrolled: 1-line block ×4, first 2 shown]
.LBB122_39:
	s_or_b32 exec_lo, exec_lo, s0
	s_delay_alu instid0(SALU_CYCLE_1)
	s_mov_b32 s0, exec_lo
	s_wait_storecnt_dscnt 0x0
	s_barrier_signal -1
	s_barrier_wait -1
	v_cmpx_lt_i32_e32 1, v138
	s_cbranch_execz .LBB122_41
; %bb.40:
	v_pk_mul_f32 v[140:141], v[132:133], v[124:125] op_sel:[1,1] op_sel_hi:[0,1]
	s_delay_alu instid0(VALU_DEP_1)
	v_pk_fma_f32 v[130:131], v[132:133], v[124:125], v[140:141] op_sel_hi:[1,0,1] neg_lo:[0,0,1] neg_hi:[0,0,1]
	v_pk_fma_f32 v[132:133], v[132:133], v[124:125], v[140:141] op_sel_hi:[1,0,1]
	ds_load_2addr_b64 v[140:143], v134 offset0:2 offset1:3
	v_dual_mov_b32 v124, v130 :: v_dual_mov_b32 v125, v133
	s_wait_dscnt 0x0
	v_pk_mul_f32 v[144:145], v[140:141], v[132:133] op_sel:[0,1]
	s_delay_alu instid0(VALU_DEP_1) | instskip(SKIP_1) | instid1(VALU_DEP_1)
	v_pk_fma_f32 v[146:147], v[140:141], v[130:131], v[144:145] op_sel:[0,0,1] op_sel_hi:[1,1,0] neg_lo:[0,0,1] neg_hi:[0,0,1]
	v_pk_fma_f32 v[140:141], v[140:141], v[130:131], v[144:145] op_sel:[0,0,1] op_sel_hi:[1,0,0]
	v_mov_b32_e32 v147, v141
	v_pk_mul_f32 v[140:141], v[142:143], v[132:133] op_sel:[0,1]
	s_delay_alu instid0(VALU_DEP_1) | instskip(SKIP_1) | instid1(VALU_DEP_1)
	v_pk_fma_f32 v[144:145], v[142:143], v[130:131], v[140:141] op_sel:[0,0,1] op_sel_hi:[1,1,0] neg_lo:[0,0,1] neg_hi:[0,0,1]
	v_pk_fma_f32 v[140:141], v[142:143], v[130:131], v[140:141] op_sel:[0,0,1] op_sel_hi:[1,0,0]
	v_mov_b32_e32 v145, v141
	ds_load_2addr_b64 v[140:143], v134 offset0:4 offset1:5
	v_pk_add_f32 v[122:123], v[122:123], v[146:147] neg_lo:[0,1] neg_hi:[0,1]
	v_pk_add_f32 v[120:121], v[120:121], v[144:145] neg_lo:[0,1] neg_hi:[0,1]
	s_wait_dscnt 0x0
	v_pk_mul_f32 v[144:145], v[140:141], v[132:133] op_sel:[0,1]
	s_delay_alu instid0(VALU_DEP_1) | instskip(SKIP_2) | instid1(VALU_DEP_2)
	v_pk_fma_f32 v[146:147], v[140:141], v[130:131], v[144:145] op_sel:[0,0,1] op_sel_hi:[1,1,0] neg_lo:[0,0,1] neg_hi:[0,0,1]
	v_pk_fma_f32 v[140:141], v[140:141], v[130:131], v[144:145] op_sel:[0,0,1] op_sel_hi:[1,0,0]
	v_dual_mul_f32 v144, v143, v133 :: v_dual_mov_b32 v140, v143
	v_dual_mov_b32 v147, v141 :: v_dual_mov_b32 v141, v142
	s_delay_alu instid0(VALU_DEP_2) | instskip(SKIP_1) | instid1(VALU_DEP_3)
	v_pk_fma_f32 v[144:145], v[142:143], v[124:125], v[144:145] op_sel_hi:[1,1,0] neg_lo:[0,0,1] neg_hi:[0,0,1]
	v_mul_f32_e32 v142, v143, v130
	v_pk_add_f32 v[118:119], v[118:119], v[146:147] neg_lo:[0,1] neg_hi:[0,1]
	s_delay_alu instid0(VALU_DEP_2) | instskip(NEXT) | instid1(VALU_DEP_1)
	v_pk_fma_f32 v[140:141], v[140:141], v[124:125], v[142:143] op_sel_hi:[1,1,0]
	v_mov_b32_e32 v145, v141
	ds_load_2addr_b64 v[140:143], v134 offset0:6 offset1:7
	v_pk_add_f32 v[92:93], v[92:93], v[144:145] neg_lo:[0,1] neg_hi:[0,1]
	s_wait_dscnt 0x0
	v_pk_mul_f32 v[144:145], v[140:141], v[132:133] op_sel:[0,1]
	s_delay_alu instid0(VALU_DEP_1) | instskip(SKIP_1) | instid1(VALU_DEP_1)
	v_pk_fma_f32 v[146:147], v[140:141], v[130:131], v[144:145] op_sel:[0,0,1] op_sel_hi:[1,1,0] neg_lo:[0,0,1] neg_hi:[0,0,1]
	v_pk_fma_f32 v[140:141], v[140:141], v[130:131], v[144:145] op_sel:[0,0,1] op_sel_hi:[1,0,0]
	v_mov_b32_e32 v147, v141
	v_pk_mul_f32 v[140:141], v[142:143], v[132:133] op_sel:[0,1]
	s_delay_alu instid0(VALU_DEP_1) | instskip(SKIP_1) | instid1(VALU_DEP_1)
	v_pk_fma_f32 v[144:145], v[142:143], v[130:131], v[140:141] op_sel:[0,0,1] op_sel_hi:[1,1,0] neg_lo:[0,0,1] neg_hi:[0,0,1]
	v_pk_fma_f32 v[140:141], v[142:143], v[130:131], v[140:141] op_sel:[0,0,1] op_sel_hi:[1,0,0]
	v_mov_b32_e32 v145, v141
	ds_load_2addr_b64 v[140:143], v134 offset0:8 offset1:9
	v_pk_add_f32 v[94:95], v[94:95], v[146:147] neg_lo:[0,1] neg_hi:[0,1]
	v_pk_add_f32 v[90:91], v[90:91], v[144:145] neg_lo:[0,1] neg_hi:[0,1]
	s_wait_dscnt 0x0
	v_pk_mul_f32 v[144:145], v[140:141], v[132:133] op_sel:[0,1]
	s_delay_alu instid0(VALU_DEP_1) | instskip(SKIP_1) | instid1(VALU_DEP_1)
	v_pk_fma_f32 v[146:147], v[140:141], v[130:131], v[144:145] op_sel:[0,0,1] op_sel_hi:[1,1,0] neg_lo:[0,0,1] neg_hi:[0,0,1]
	v_pk_fma_f32 v[140:141], v[140:141], v[130:131], v[144:145] op_sel:[0,0,1] op_sel_hi:[1,0,0]
	v_mov_b32_e32 v147, v141
	v_pk_mul_f32 v[140:141], v[142:143], v[132:133] op_sel:[0,1]
	s_delay_alu instid0(VALU_DEP_1) | instskip(SKIP_1) | instid1(VALU_DEP_1)
	v_pk_fma_f32 v[144:145], v[142:143], v[130:131], v[140:141] op_sel:[0,0,1] op_sel_hi:[1,1,0] neg_lo:[0,0,1] neg_hi:[0,0,1]
	v_pk_fma_f32 v[140:141], v[142:143], v[130:131], v[140:141] op_sel:[0,0,1] op_sel_hi:[1,0,0]
	v_mov_b32_e32 v145, v141
	ds_load_2addr_b64 v[140:143], v134 offset0:10 offset1:11
	v_pk_add_f32 v[116:117], v[116:117], v[146:147] neg_lo:[0,1] neg_hi:[0,1]
	v_pk_add_f32 v[84:85], v[84:85], v[144:145] neg_lo:[0,1] neg_hi:[0,1]
	s_wait_dscnt 0x0
	v_dual_mul_f32 v144, v141, v133 :: v_dual_mul_f32 v146, v141, v130
	s_delay_alu instid0(VALU_DEP_1) | instskip(NEXT) | instid1(VALU_DEP_2)
	v_pk_fma_f32 v[144:145], v[140:141], v[124:125], v[144:145] op_sel_hi:[1,1,0] neg_lo:[0,0,1] neg_hi:[0,0,1]
	v_pk_fma_f32 v[140:141], v[140:141], v[124:125], v[146:147] op_sel:[1,0,0] op_sel_hi:[0,1,0]
	s_delay_alu instid0(VALU_DEP_1) | instskip(SKIP_1) | instid1(VALU_DEP_2)
	v_mov_b32_e32 v145, v141
	v_pk_mul_f32 v[140:141], v[142:143], v[132:133] op_sel:[0,1]
	v_pk_add_f32 v[88:89], v[88:89], v[144:145] neg_lo:[0,1] neg_hi:[0,1]
	s_delay_alu instid0(VALU_DEP_2) | instskip(SKIP_1) | instid1(VALU_DEP_1)
	v_pk_fma_f32 v[144:145], v[142:143], v[130:131], v[140:141] op_sel:[0,0,1] op_sel_hi:[1,1,0] neg_lo:[0,0,1] neg_hi:[0,0,1]
	v_pk_fma_f32 v[140:141], v[142:143], v[130:131], v[140:141] op_sel:[0,0,1] op_sel_hi:[1,0,0]
	v_mov_b32_e32 v145, v141
	ds_load_2addr_b64 v[140:143], v134 offset0:12 offset1:13
	v_pk_add_f32 v[82:83], v[82:83], v[144:145] neg_lo:[0,1] neg_hi:[0,1]
	s_wait_dscnt 0x0
	v_pk_mul_f32 v[144:145], v[140:141], v[132:133] op_sel:[0,1]
	s_delay_alu instid0(VALU_DEP_1) | instskip(SKIP_1) | instid1(VALU_DEP_1)
	v_pk_fma_f32 v[146:147], v[140:141], v[130:131], v[144:145] op_sel:[0,0,1] op_sel_hi:[1,1,0] neg_lo:[0,0,1] neg_hi:[0,0,1]
	v_pk_fma_f32 v[140:141], v[140:141], v[130:131], v[144:145] op_sel:[0,0,1] op_sel_hi:[1,0,0]
	v_mov_b32_e32 v147, v141
	v_pk_mul_f32 v[140:141], v[142:143], v[132:133] op_sel:[0,1]
	s_delay_alu instid0(VALU_DEP_2) | instskip(NEXT) | instid1(VALU_DEP_2)
	v_pk_add_f32 v[114:115], v[114:115], v[146:147] neg_lo:[0,1] neg_hi:[0,1]
	v_pk_fma_f32 v[144:145], v[142:143], v[130:131], v[140:141] op_sel:[0,0,1] op_sel_hi:[1,1,0] neg_lo:[0,0,1] neg_hi:[0,0,1]
	v_pk_fma_f32 v[140:141], v[142:143], v[130:131], v[140:141] op_sel:[0,0,1] op_sel_hi:[1,0,0]
	s_delay_alu instid0(VALU_DEP_1) | instskip(SKIP_4) | instid1(VALU_DEP_1)
	v_mov_b32_e32 v145, v141
	ds_load_2addr_b64 v[140:143], v134 offset0:14 offset1:15
	v_pk_add_f32 v[78:79], v[78:79], v[144:145] neg_lo:[0,1] neg_hi:[0,1]
	s_wait_dscnt 0x0
	v_pk_mul_f32 v[144:145], v[140:141], v[132:133] op_sel:[0,1]
	v_pk_fma_f32 v[146:147], v[140:141], v[130:131], v[144:145] op_sel:[0,0,1] op_sel_hi:[1,1,0] neg_lo:[0,0,1] neg_hi:[0,0,1]
	v_pk_fma_f32 v[140:141], v[140:141], v[130:131], v[144:145] op_sel:[0,0,1] op_sel_hi:[1,0,0]
	v_dual_mul_f32 v144, v143, v133 :: v_dual_mov_b32 v140, v143
	s_delay_alu instid0(VALU_DEP_2) | instskip(NEXT) | instid1(VALU_DEP_2)
	v_dual_mov_b32 v147, v141 :: v_dual_mov_b32 v141, v142
	v_pk_fma_f32 v[144:145], v[142:143], v[124:125], v[144:145] op_sel_hi:[1,1,0] neg_lo:[0,0,1] neg_hi:[0,0,1]
	v_mul_f32_e32 v142, v143, v130
	s_delay_alu instid0(VALU_DEP_3) | instskip(NEXT) | instid1(VALU_DEP_2)
	v_pk_add_f32 v[80:81], v[80:81], v[146:147] neg_lo:[0,1] neg_hi:[0,1]
	v_pk_fma_f32 v[140:141], v[140:141], v[124:125], v[142:143] op_sel_hi:[1,1,0]
	s_delay_alu instid0(VALU_DEP_1) | instskip(SKIP_4) | instid1(VALU_DEP_1)
	v_mov_b32_e32 v145, v141
	ds_load_2addr_b64 v[140:143], v134 offset0:16 offset1:17
	v_pk_add_f32 v[76:77], v[76:77], v[144:145] neg_lo:[0,1] neg_hi:[0,1]
	s_wait_dscnt 0x0
	v_pk_mul_f32 v[144:145], v[140:141], v[132:133] op_sel:[0,1]
	v_pk_fma_f32 v[146:147], v[140:141], v[130:131], v[144:145] op_sel:[0,0,1] op_sel_hi:[1,1,0] neg_lo:[0,0,1] neg_hi:[0,0,1]
	v_pk_fma_f32 v[140:141], v[140:141], v[130:131], v[144:145] op_sel:[0,0,1] op_sel_hi:[1,0,0]
	s_delay_alu instid0(VALU_DEP_1) | instskip(SKIP_1) | instid1(VALU_DEP_1)
	v_mov_b32_e32 v147, v141
	v_pk_mul_f32 v[140:141], v[142:143], v[132:133] op_sel:[0,1]
	v_pk_fma_f32 v[144:145], v[142:143], v[130:131], v[140:141] op_sel:[0,0,1] op_sel_hi:[1,1,0] neg_lo:[0,0,1] neg_hi:[0,0,1]
	v_pk_fma_f32 v[140:141], v[142:143], v[130:131], v[140:141] op_sel:[0,0,1] op_sel_hi:[1,0,0]
	s_delay_alu instid0(VALU_DEP_1)
	v_mov_b32_e32 v145, v141
	ds_load_2addr_b64 v[140:143], v134 offset0:18 offset1:19
	v_pk_add_f32 v[112:113], v[112:113], v[146:147] neg_lo:[0,1] neg_hi:[0,1]
	v_pk_add_f32 v[72:73], v[72:73], v[144:145] neg_lo:[0,1] neg_hi:[0,1]
	s_wait_dscnt 0x0
	v_pk_mul_f32 v[144:145], v[140:141], v[132:133] op_sel:[0,1]
	s_delay_alu instid0(VALU_DEP_1) | instskip(SKIP_1) | instid1(VALU_DEP_1)
	v_pk_fma_f32 v[146:147], v[140:141], v[130:131], v[144:145] op_sel:[0,0,1] op_sel_hi:[1,1,0] neg_lo:[0,0,1] neg_hi:[0,0,1]
	v_pk_fma_f32 v[140:141], v[140:141], v[130:131], v[144:145] op_sel:[0,0,1] op_sel_hi:[1,0,0]
	v_mov_b32_e32 v147, v141
	v_pk_mul_f32 v[140:141], v[142:143], v[132:133] op_sel:[0,1]
	s_delay_alu instid0(VALU_DEP_1) | instskip(SKIP_1) | instid1(VALU_DEP_1)
	v_pk_fma_f32 v[144:145], v[142:143], v[130:131], v[140:141] op_sel:[0,0,1] op_sel_hi:[1,1,0] neg_lo:[0,0,1] neg_hi:[0,0,1]
	v_pk_fma_f32 v[140:141], v[142:143], v[130:131], v[140:141] op_sel:[0,0,1] op_sel_hi:[1,0,0]
	v_mov_b32_e32 v145, v141
	ds_load_2addr_b64 v[140:143], v134 offset0:20 offset1:21
	v_pk_add_f32 v[74:75], v[74:75], v[146:147] neg_lo:[0,1] neg_hi:[0,1]
	v_pk_add_f32 v[70:71], v[70:71], v[144:145] neg_lo:[0,1] neg_hi:[0,1]
	s_wait_dscnt 0x0
	v_dual_mul_f32 v144, v141, v133 :: v_dual_mul_f32 v146, v141, v130
	s_delay_alu instid0(VALU_DEP_1) | instskip(NEXT) | instid1(VALU_DEP_2)
	v_pk_fma_f32 v[144:145], v[140:141], v[124:125], v[144:145] op_sel_hi:[1,1,0] neg_lo:[0,0,1] neg_hi:[0,0,1]
	v_pk_fma_f32 v[140:141], v[140:141], v[124:125], v[146:147] op_sel:[1,0,0] op_sel_hi:[0,1,0]
	s_delay_alu instid0(VALU_DEP_1) | instskip(SKIP_1) | instid1(VALU_DEP_2)
	v_mov_b32_e32 v145, v141
	v_pk_mul_f32 v[140:141], v[142:143], v[132:133] op_sel:[0,1]
	v_pk_add_f32 v[110:111], v[110:111], v[144:145] neg_lo:[0,1] neg_hi:[0,1]
	s_delay_alu instid0(VALU_DEP_2) | instskip(SKIP_1) | instid1(VALU_DEP_1)
	v_pk_fma_f32 v[144:145], v[142:143], v[130:131], v[140:141] op_sel:[0,0,1] op_sel_hi:[1,1,0] neg_lo:[0,0,1] neg_hi:[0,0,1]
	v_pk_fma_f32 v[140:141], v[142:143], v[130:131], v[140:141] op_sel:[0,0,1] op_sel_hi:[1,0,0]
	v_mov_b32_e32 v145, v141
	ds_load_2addr_b64 v[140:143], v134 offset0:22 offset1:23
	v_pk_add_f32 v[66:67], v[66:67], v[144:145] neg_lo:[0,1] neg_hi:[0,1]
	s_wait_dscnt 0x0
	v_pk_mul_f32 v[144:145], v[140:141], v[132:133] op_sel:[0,1]
	s_delay_alu instid0(VALU_DEP_1) | instskip(SKIP_1) | instid1(VALU_DEP_1)
	v_pk_fma_f32 v[146:147], v[140:141], v[130:131], v[144:145] op_sel:[0,0,1] op_sel_hi:[1,1,0] neg_lo:[0,0,1] neg_hi:[0,0,1]
	v_pk_fma_f32 v[140:141], v[140:141], v[130:131], v[144:145] op_sel:[0,0,1] op_sel_hi:[1,0,0]
	v_mov_b32_e32 v147, v141
	v_pk_mul_f32 v[140:141], v[142:143], v[132:133] op_sel:[0,1]
	s_delay_alu instid0(VALU_DEP_2) | instskip(NEXT) | instid1(VALU_DEP_2)
	v_pk_add_f32 v[68:69], v[68:69], v[146:147] neg_lo:[0,1] neg_hi:[0,1]
	v_pk_fma_f32 v[144:145], v[142:143], v[130:131], v[140:141] op_sel:[0,0,1] op_sel_hi:[1,1,0] neg_lo:[0,0,1] neg_hi:[0,0,1]
	v_pk_fma_f32 v[140:141], v[142:143], v[130:131], v[140:141] op_sel:[0,0,1] op_sel_hi:[1,0,0]
	s_delay_alu instid0(VALU_DEP_1) | instskip(SKIP_4) | instid1(VALU_DEP_1)
	v_mov_b32_e32 v145, v141
	ds_load_2addr_b64 v[140:143], v134 offset0:24 offset1:25
	v_pk_add_f32 v[64:65], v[64:65], v[144:145] neg_lo:[0,1] neg_hi:[0,1]
	s_wait_dscnt 0x0
	v_pk_mul_f32 v[144:145], v[140:141], v[132:133] op_sel:[0,1]
	v_pk_fma_f32 v[146:147], v[140:141], v[130:131], v[144:145] op_sel:[0,0,1] op_sel_hi:[1,1,0] neg_lo:[0,0,1] neg_hi:[0,0,1]
	v_pk_fma_f32 v[140:141], v[140:141], v[130:131], v[144:145] op_sel:[0,0,1] op_sel_hi:[1,0,0]
	v_dual_mul_f32 v144, v143, v133 :: v_dual_mov_b32 v140, v143
	s_delay_alu instid0(VALU_DEP_2) | instskip(NEXT) | instid1(VALU_DEP_2)
	v_dual_mov_b32 v147, v141 :: v_dual_mov_b32 v141, v142
	v_pk_fma_f32 v[144:145], v[142:143], v[124:125], v[144:145] op_sel_hi:[1,1,0] neg_lo:[0,0,1] neg_hi:[0,0,1]
	v_mul_f32_e32 v142, v143, v130
	s_delay_alu instid0(VALU_DEP_3) | instskip(NEXT) | instid1(VALU_DEP_2)
	v_pk_add_f32 v[108:109], v[108:109], v[146:147] neg_lo:[0,1] neg_hi:[0,1]
	v_pk_fma_f32 v[140:141], v[140:141], v[124:125], v[142:143] op_sel_hi:[1,1,0]
	s_delay_alu instid0(VALU_DEP_1) | instskip(SKIP_4) | instid1(VALU_DEP_1)
	v_mov_b32_e32 v145, v141
	ds_load_2addr_b64 v[140:143], v134 offset0:26 offset1:27
	v_pk_add_f32 v[60:61], v[60:61], v[144:145] neg_lo:[0,1] neg_hi:[0,1]
	s_wait_dscnt 0x0
	v_pk_mul_f32 v[144:145], v[140:141], v[132:133] op_sel:[0,1]
	v_pk_fma_f32 v[146:147], v[140:141], v[130:131], v[144:145] op_sel:[0,0,1] op_sel_hi:[1,1,0] neg_lo:[0,0,1] neg_hi:[0,0,1]
	v_pk_fma_f32 v[140:141], v[140:141], v[130:131], v[144:145] op_sel:[0,0,1] op_sel_hi:[1,0,0]
	s_delay_alu instid0(VALU_DEP_1) | instskip(SKIP_1) | instid1(VALU_DEP_1)
	v_mov_b32_e32 v147, v141
	v_pk_mul_f32 v[140:141], v[142:143], v[132:133] op_sel:[0,1]
	v_pk_fma_f32 v[144:145], v[142:143], v[130:131], v[140:141] op_sel:[0,0,1] op_sel_hi:[1,1,0] neg_lo:[0,0,1] neg_hi:[0,0,1]
	v_pk_fma_f32 v[140:141], v[142:143], v[130:131], v[140:141] op_sel:[0,0,1] op_sel_hi:[1,0,0]
	s_delay_alu instid0(VALU_DEP_1)
	v_mov_b32_e32 v145, v141
	ds_load_2addr_b64 v[140:143], v134 offset0:28 offset1:29
	v_pk_add_f32 v[62:63], v[62:63], v[146:147] neg_lo:[0,1] neg_hi:[0,1]
	v_pk_add_f32 v[58:59], v[58:59], v[144:145] neg_lo:[0,1] neg_hi:[0,1]
	s_wait_dscnt 0x0
	v_pk_mul_f32 v[144:145], v[140:141], v[132:133] op_sel:[0,1]
	s_delay_alu instid0(VALU_DEP_1) | instskip(SKIP_1) | instid1(VALU_DEP_1)
	v_pk_fma_f32 v[146:147], v[140:141], v[130:131], v[144:145] op_sel:[0,0,1] op_sel_hi:[1,1,0] neg_lo:[0,0,1] neg_hi:[0,0,1]
	v_pk_fma_f32 v[140:141], v[140:141], v[130:131], v[144:145] op_sel:[0,0,1] op_sel_hi:[1,0,0]
	v_mov_b32_e32 v147, v141
	v_pk_mul_f32 v[140:141], v[142:143], v[132:133] op_sel:[0,1]
	s_delay_alu instid0(VALU_DEP_1) | instskip(SKIP_1) | instid1(VALU_DEP_1)
	v_pk_fma_f32 v[144:145], v[142:143], v[130:131], v[140:141] op_sel:[0,0,1] op_sel_hi:[1,1,0] neg_lo:[0,0,1] neg_hi:[0,0,1]
	v_pk_fma_f32 v[140:141], v[142:143], v[130:131], v[140:141] op_sel:[0,0,1] op_sel_hi:[1,0,0]
	v_mov_b32_e32 v145, v141
	ds_load_2addr_b64 v[140:143], v134 offset0:30 offset1:31
	v_pk_add_f32 v[106:107], v[106:107], v[146:147] neg_lo:[0,1] neg_hi:[0,1]
	v_pk_add_f32 v[54:55], v[54:55], v[144:145] neg_lo:[0,1] neg_hi:[0,1]
	s_wait_dscnt 0x0
	v_dual_mul_f32 v144, v141, v133 :: v_dual_mul_f32 v146, v141, v130
	s_delay_alu instid0(VALU_DEP_1) | instskip(NEXT) | instid1(VALU_DEP_2)
	v_pk_fma_f32 v[144:145], v[140:141], v[124:125], v[144:145] op_sel_hi:[1,1,0] neg_lo:[0,0,1] neg_hi:[0,0,1]
	v_pk_fma_f32 v[140:141], v[140:141], v[124:125], v[146:147] op_sel:[1,0,0] op_sel_hi:[0,1,0]
	s_delay_alu instid0(VALU_DEP_1) | instskip(SKIP_1) | instid1(VALU_DEP_2)
	v_mov_b32_e32 v145, v141
	v_pk_mul_f32 v[140:141], v[142:143], v[132:133] op_sel:[0,1]
	v_pk_add_f32 v[56:57], v[56:57], v[144:145] neg_lo:[0,1] neg_hi:[0,1]
	s_delay_alu instid0(VALU_DEP_2) | instskip(SKIP_1) | instid1(VALU_DEP_1)
	v_pk_fma_f32 v[144:145], v[142:143], v[130:131], v[140:141] op_sel:[0,0,1] op_sel_hi:[1,1,0] neg_lo:[0,0,1] neg_hi:[0,0,1]
	v_pk_fma_f32 v[140:141], v[142:143], v[130:131], v[140:141] op_sel:[0,0,1] op_sel_hi:[1,0,0]
	v_mov_b32_e32 v145, v141
	ds_load_2addr_b64 v[140:143], v134 offset0:32 offset1:33
	v_pk_add_f32 v[52:53], v[52:53], v[144:145] neg_lo:[0,1] neg_hi:[0,1]
	s_wait_dscnt 0x0
	v_pk_mul_f32 v[144:145], v[140:141], v[132:133] op_sel:[0,1]
	s_delay_alu instid0(VALU_DEP_1) | instskip(SKIP_1) | instid1(VALU_DEP_1)
	v_pk_fma_f32 v[146:147], v[140:141], v[130:131], v[144:145] op_sel:[0,0,1] op_sel_hi:[1,1,0] neg_lo:[0,0,1] neg_hi:[0,0,1]
	v_pk_fma_f32 v[140:141], v[140:141], v[130:131], v[144:145] op_sel:[0,0,1] op_sel_hi:[1,0,0]
	v_mov_b32_e32 v147, v141
	v_pk_mul_f32 v[140:141], v[142:143], v[132:133] op_sel:[0,1]
	s_delay_alu instid0(VALU_DEP_2) | instskip(NEXT) | instid1(VALU_DEP_2)
	v_pk_add_f32 v[104:105], v[104:105], v[146:147] neg_lo:[0,1] neg_hi:[0,1]
	v_pk_fma_f32 v[144:145], v[142:143], v[130:131], v[140:141] op_sel:[0,0,1] op_sel_hi:[1,1,0] neg_lo:[0,0,1] neg_hi:[0,0,1]
	v_pk_fma_f32 v[140:141], v[142:143], v[130:131], v[140:141] op_sel:[0,0,1] op_sel_hi:[1,0,0]
	s_delay_alu instid0(VALU_DEP_1) | instskip(SKIP_4) | instid1(VALU_DEP_1)
	v_mov_b32_e32 v145, v141
	ds_load_2addr_b64 v[140:143], v134 offset0:34 offset1:35
	v_pk_add_f32 v[48:49], v[48:49], v[144:145] neg_lo:[0,1] neg_hi:[0,1]
	s_wait_dscnt 0x0
	v_pk_mul_f32 v[144:145], v[140:141], v[132:133] op_sel:[0,1]
	v_pk_fma_f32 v[146:147], v[140:141], v[130:131], v[144:145] op_sel:[0,0,1] op_sel_hi:[1,1,0] neg_lo:[0,0,1] neg_hi:[0,0,1]
	v_pk_fma_f32 v[140:141], v[140:141], v[130:131], v[144:145] op_sel:[0,0,1] op_sel_hi:[1,0,0]
	v_dual_mul_f32 v144, v143, v133 :: v_dual_mov_b32 v140, v143
	s_delay_alu instid0(VALU_DEP_2) | instskip(NEXT) | instid1(VALU_DEP_2)
	v_dual_mov_b32 v147, v141 :: v_dual_mov_b32 v141, v142
	v_pk_fma_f32 v[144:145], v[142:143], v[124:125], v[144:145] op_sel_hi:[1,1,0] neg_lo:[0,0,1] neg_hi:[0,0,1]
	v_mul_f32_e32 v142, v143, v130
	s_delay_alu instid0(VALU_DEP_3) | instskip(NEXT) | instid1(VALU_DEP_2)
	v_pk_add_f32 v[50:51], v[50:51], v[146:147] neg_lo:[0,1] neg_hi:[0,1]
	v_pk_fma_f32 v[140:141], v[140:141], v[124:125], v[142:143] op_sel_hi:[1,1,0]
	s_delay_alu instid0(VALU_DEP_1) | instskip(SKIP_4) | instid1(VALU_DEP_1)
	v_mov_b32_e32 v145, v141
	ds_load_2addr_b64 v[140:143], v134 offset0:36 offset1:37
	v_pk_add_f32 v[46:47], v[46:47], v[144:145] neg_lo:[0,1] neg_hi:[0,1]
	s_wait_dscnt 0x0
	v_pk_mul_f32 v[144:145], v[140:141], v[132:133] op_sel:[0,1]
	v_pk_fma_f32 v[146:147], v[140:141], v[130:131], v[144:145] op_sel:[0,0,1] op_sel_hi:[1,1,0] neg_lo:[0,0,1] neg_hi:[0,0,1]
	v_pk_fma_f32 v[140:141], v[140:141], v[130:131], v[144:145] op_sel:[0,0,1] op_sel_hi:[1,0,0]
	s_delay_alu instid0(VALU_DEP_1) | instskip(SKIP_1) | instid1(VALU_DEP_1)
	v_mov_b32_e32 v147, v141
	v_pk_mul_f32 v[140:141], v[142:143], v[132:133] op_sel:[0,1]
	v_pk_fma_f32 v[144:145], v[142:143], v[130:131], v[140:141] op_sel:[0,0,1] op_sel_hi:[1,1,0] neg_lo:[0,0,1] neg_hi:[0,0,1]
	v_pk_fma_f32 v[140:141], v[142:143], v[130:131], v[140:141] op_sel:[0,0,1] op_sel_hi:[1,0,0]
	s_delay_alu instid0(VALU_DEP_1)
	v_mov_b32_e32 v145, v141
	ds_load_2addr_b64 v[140:143], v134 offset0:38 offset1:39
	v_pk_add_f32 v[102:103], v[102:103], v[146:147] neg_lo:[0,1] neg_hi:[0,1]
	v_pk_add_f32 v[40:41], v[40:41], v[144:145] neg_lo:[0,1] neg_hi:[0,1]
	s_wait_dscnt 0x0
	v_pk_mul_f32 v[144:145], v[140:141], v[132:133] op_sel:[0,1]
	s_delay_alu instid0(VALU_DEP_1) | instskip(SKIP_1) | instid1(VALU_DEP_1)
	v_pk_fma_f32 v[146:147], v[140:141], v[130:131], v[144:145] op_sel:[0,0,1] op_sel_hi:[1,1,0] neg_lo:[0,0,1] neg_hi:[0,0,1]
	v_pk_fma_f32 v[140:141], v[140:141], v[130:131], v[144:145] op_sel:[0,0,1] op_sel_hi:[1,0,0]
	v_mov_b32_e32 v147, v141
	v_pk_mul_f32 v[140:141], v[142:143], v[132:133] op_sel:[0,1]
	s_delay_alu instid0(VALU_DEP_1) | instskip(SKIP_1) | instid1(VALU_DEP_1)
	v_pk_fma_f32 v[144:145], v[142:143], v[130:131], v[140:141] op_sel:[0,0,1] op_sel_hi:[1,1,0] neg_lo:[0,0,1] neg_hi:[0,0,1]
	v_pk_fma_f32 v[140:141], v[142:143], v[130:131], v[140:141] op_sel:[0,0,1] op_sel_hi:[1,0,0]
	v_mov_b32_e32 v145, v141
	ds_load_2addr_b64 v[140:143], v134 offset0:40 offset1:41
	v_pk_add_f32 v[42:43], v[42:43], v[146:147] neg_lo:[0,1] neg_hi:[0,1]
	v_pk_add_f32 v[38:39], v[38:39], v[144:145] neg_lo:[0,1] neg_hi:[0,1]
	s_wait_dscnt 0x0
	v_dual_mul_f32 v144, v141, v133 :: v_dual_mul_f32 v146, v141, v130
	s_delay_alu instid0(VALU_DEP_1) | instskip(NEXT) | instid1(VALU_DEP_2)
	v_pk_fma_f32 v[144:145], v[140:141], v[124:125], v[144:145] op_sel_hi:[1,1,0] neg_lo:[0,0,1] neg_hi:[0,0,1]
	v_pk_fma_f32 v[140:141], v[140:141], v[124:125], v[146:147] op_sel:[1,0,0] op_sel_hi:[0,1,0]
	s_delay_alu instid0(VALU_DEP_1) | instskip(SKIP_1) | instid1(VALU_DEP_2)
	v_mov_b32_e32 v145, v141
	v_pk_mul_f32 v[140:141], v[142:143], v[132:133] op_sel:[0,1]
	v_pk_add_f32 v[100:101], v[100:101], v[144:145] neg_lo:[0,1] neg_hi:[0,1]
	s_delay_alu instid0(VALU_DEP_2) | instskip(SKIP_1) | instid1(VALU_DEP_1)
	v_pk_fma_f32 v[144:145], v[142:143], v[130:131], v[140:141] op_sel:[0,0,1] op_sel_hi:[1,1,0] neg_lo:[0,0,1] neg_hi:[0,0,1]
	v_pk_fma_f32 v[140:141], v[142:143], v[130:131], v[140:141] op_sel:[0,0,1] op_sel_hi:[1,0,0]
	v_mov_b32_e32 v145, v141
	ds_load_2addr_b64 v[140:143], v134 offset0:42 offset1:43
	v_pk_add_f32 v[32:33], v[32:33], v[144:145] neg_lo:[0,1] neg_hi:[0,1]
	s_wait_dscnt 0x0
	v_pk_mul_f32 v[144:145], v[140:141], v[132:133] op_sel:[0,1]
	s_delay_alu instid0(VALU_DEP_1) | instskip(SKIP_1) | instid1(VALU_DEP_1)
	v_pk_fma_f32 v[146:147], v[140:141], v[130:131], v[144:145] op_sel:[0,0,1] op_sel_hi:[1,1,0] neg_lo:[0,0,1] neg_hi:[0,0,1]
	v_pk_fma_f32 v[140:141], v[140:141], v[130:131], v[144:145] op_sel:[0,0,1] op_sel_hi:[1,0,0]
	v_mov_b32_e32 v147, v141
	v_pk_mul_f32 v[140:141], v[142:143], v[132:133] op_sel:[0,1]
	s_delay_alu instid0(VALU_DEP_2) | instskip(NEXT) | instid1(VALU_DEP_2)
	v_pk_add_f32 v[34:35], v[34:35], v[146:147] neg_lo:[0,1] neg_hi:[0,1]
	v_pk_fma_f32 v[144:145], v[142:143], v[130:131], v[140:141] op_sel:[0,0,1] op_sel_hi:[1,1,0] neg_lo:[0,0,1] neg_hi:[0,0,1]
	v_pk_fma_f32 v[140:141], v[142:143], v[130:131], v[140:141] op_sel:[0,0,1] op_sel_hi:[1,0,0]
	s_delay_alu instid0(VALU_DEP_1) | instskip(SKIP_4) | instid1(VALU_DEP_1)
	v_mov_b32_e32 v145, v141
	ds_load_2addr_b64 v[140:143], v134 offset0:44 offset1:45
	v_pk_add_f32 v[30:31], v[30:31], v[144:145] neg_lo:[0,1] neg_hi:[0,1]
	s_wait_dscnt 0x0
	v_pk_mul_f32 v[144:145], v[140:141], v[132:133] op_sel:[0,1]
	v_pk_fma_f32 v[146:147], v[140:141], v[130:131], v[144:145] op_sel:[0,0,1] op_sel_hi:[1,1,0] neg_lo:[0,0,1] neg_hi:[0,0,1]
	v_pk_fma_f32 v[140:141], v[140:141], v[130:131], v[144:145] op_sel:[0,0,1] op_sel_hi:[1,0,0]
	v_dual_mul_f32 v144, v143, v133 :: v_dual_mov_b32 v140, v143
	s_delay_alu instid0(VALU_DEP_2) | instskip(NEXT) | instid1(VALU_DEP_2)
	v_dual_mov_b32 v147, v141 :: v_dual_mov_b32 v141, v142
	v_pk_fma_f32 v[144:145], v[142:143], v[124:125], v[144:145] op_sel_hi:[1,1,0] neg_lo:[0,0,1] neg_hi:[0,0,1]
	v_mul_f32_e32 v142, v143, v130
	s_delay_alu instid0(VALU_DEP_3) | instskip(NEXT) | instid1(VALU_DEP_2)
	v_pk_add_f32 v[98:99], v[98:99], v[146:147] neg_lo:[0,1] neg_hi:[0,1]
	v_pk_fma_f32 v[140:141], v[140:141], v[124:125], v[142:143] op_sel_hi:[1,1,0]
	s_delay_alu instid0(VALU_DEP_1) | instskip(SKIP_4) | instid1(VALU_DEP_1)
	v_mov_b32_e32 v145, v141
	ds_load_2addr_b64 v[140:143], v134 offset0:46 offset1:47
	v_pk_add_f32 v[24:25], v[24:25], v[144:145] neg_lo:[0,1] neg_hi:[0,1]
	s_wait_dscnt 0x0
	v_pk_mul_f32 v[144:145], v[140:141], v[132:133] op_sel:[0,1]
	v_pk_fma_f32 v[146:147], v[140:141], v[130:131], v[144:145] op_sel:[0,0,1] op_sel_hi:[1,1,0] neg_lo:[0,0,1] neg_hi:[0,0,1]
	v_pk_fma_f32 v[140:141], v[140:141], v[130:131], v[144:145] op_sel:[0,0,1] op_sel_hi:[1,0,0]
	s_delay_alu instid0(VALU_DEP_1) | instskip(SKIP_1) | instid1(VALU_DEP_1)
	v_mov_b32_e32 v147, v141
	v_pk_mul_f32 v[140:141], v[142:143], v[132:133] op_sel:[0,1]
	v_pk_fma_f32 v[144:145], v[142:143], v[130:131], v[140:141] op_sel:[0,0,1] op_sel_hi:[1,1,0] neg_lo:[0,0,1] neg_hi:[0,0,1]
	v_pk_fma_f32 v[140:141], v[142:143], v[130:131], v[140:141] op_sel:[0,0,1] op_sel_hi:[1,0,0]
	s_delay_alu instid0(VALU_DEP_1)
	v_mov_b32_e32 v145, v141
	ds_load_2addr_b64 v[140:143], v134 offset0:48 offset1:49
	v_pk_add_f32 v[28:29], v[28:29], v[146:147] neg_lo:[0,1] neg_hi:[0,1]
	v_pk_add_f32 v[22:23], v[22:23], v[144:145] neg_lo:[0,1] neg_hi:[0,1]
	s_wait_dscnt 0x0
	v_pk_mul_f32 v[144:145], v[140:141], v[132:133] op_sel:[0,1]
	s_delay_alu instid0(VALU_DEP_1) | instskip(SKIP_1) | instid1(VALU_DEP_1)
	v_pk_fma_f32 v[146:147], v[140:141], v[130:131], v[144:145] op_sel:[0,0,1] op_sel_hi:[1,1,0] neg_lo:[0,0,1] neg_hi:[0,0,1]
	v_pk_fma_f32 v[140:141], v[140:141], v[130:131], v[144:145] op_sel:[0,0,1] op_sel_hi:[1,0,0]
	v_mov_b32_e32 v147, v141
	v_pk_mul_f32 v[140:141], v[142:143], v[132:133] op_sel:[0,1]
	s_delay_alu instid0(VALU_DEP_1) | instskip(SKIP_1) | instid1(VALU_DEP_1)
	v_pk_fma_f32 v[144:145], v[142:143], v[130:131], v[140:141] op_sel:[0,0,1] op_sel_hi:[1,1,0] neg_lo:[0,0,1] neg_hi:[0,0,1]
	v_pk_fma_f32 v[140:141], v[142:143], v[130:131], v[140:141] op_sel:[0,0,1] op_sel_hi:[1,0,0]
	v_mov_b32_e32 v145, v141
	ds_load_2addr_b64 v[140:143], v134 offset0:50 offset1:51
	v_pk_add_f32 v[96:97], v[96:97], v[146:147] neg_lo:[0,1] neg_hi:[0,1]
	v_pk_add_f32 v[18:19], v[18:19], v[144:145] neg_lo:[0,1] neg_hi:[0,1]
	s_wait_dscnt 0x0
	v_dual_mul_f32 v144, v141, v133 :: v_dual_mul_f32 v146, v141, v130
	s_delay_alu instid0(VALU_DEP_1) | instskip(NEXT) | instid1(VALU_DEP_2)
	v_pk_fma_f32 v[144:145], v[140:141], v[124:125], v[144:145] op_sel_hi:[1,1,0] neg_lo:[0,0,1] neg_hi:[0,0,1]
	v_pk_fma_f32 v[140:141], v[140:141], v[124:125], v[146:147] op_sel:[1,0,0] op_sel_hi:[0,1,0]
	s_delay_alu instid0(VALU_DEP_1) | instskip(SKIP_1) | instid1(VALU_DEP_2)
	v_mov_b32_e32 v145, v141
	v_pk_mul_f32 v[140:141], v[142:143], v[132:133] op_sel:[0,1]
	v_pk_add_f32 v[20:21], v[20:21], v[144:145] neg_lo:[0,1] neg_hi:[0,1]
	s_delay_alu instid0(VALU_DEP_2) | instskip(SKIP_1) | instid1(VALU_DEP_1)
	v_pk_fma_f32 v[144:145], v[142:143], v[130:131], v[140:141] op_sel:[0,0,1] op_sel_hi:[1,1,0] neg_lo:[0,0,1] neg_hi:[0,0,1]
	v_pk_fma_f32 v[140:141], v[142:143], v[130:131], v[140:141] op_sel:[0,0,1] op_sel_hi:[1,0,0]
	v_mov_b32_e32 v145, v141
	ds_load_2addr_b64 v[140:143], v134 offset0:52 offset1:53
	v_pk_add_f32 v[36:37], v[36:37], v[144:145] neg_lo:[0,1] neg_hi:[0,1]
	s_wait_dscnt 0x0
	v_pk_mul_f32 v[144:145], v[140:141], v[132:133] op_sel:[0,1]
	s_delay_alu instid0(VALU_DEP_1) | instskip(SKIP_1) | instid1(VALU_DEP_1)
	v_pk_fma_f32 v[146:147], v[140:141], v[130:131], v[144:145] op_sel:[0,0,1] op_sel_hi:[1,1,0] neg_lo:[0,0,1] neg_hi:[0,0,1]
	v_pk_fma_f32 v[140:141], v[140:141], v[130:131], v[144:145] op_sel:[0,0,1] op_sel_hi:[1,0,0]
	v_mov_b32_e32 v147, v141
	v_pk_mul_f32 v[140:141], v[142:143], v[132:133] op_sel:[0,1]
	s_delay_alu instid0(VALU_DEP_2) | instskip(NEXT) | instid1(VALU_DEP_2)
	v_pk_add_f32 v[86:87], v[86:87], v[146:147] neg_lo:[0,1] neg_hi:[0,1]
	v_pk_fma_f32 v[144:145], v[142:143], v[130:131], v[140:141] op_sel:[0,0,1] op_sel_hi:[1,1,0] neg_lo:[0,0,1] neg_hi:[0,0,1]
	v_pk_fma_f32 v[140:141], v[142:143], v[130:131], v[140:141] op_sel:[0,0,1] op_sel_hi:[1,0,0]
	s_delay_alu instid0(VALU_DEP_1) | instskip(SKIP_4) | instid1(VALU_DEP_1)
	v_mov_b32_e32 v145, v141
	ds_load_2addr_b64 v[140:143], v134 offset0:54 offset1:55
	v_pk_add_f32 v[10:11], v[10:11], v[144:145] neg_lo:[0,1] neg_hi:[0,1]
	s_wait_dscnt 0x0
	v_pk_mul_f32 v[144:145], v[140:141], v[132:133] op_sel:[0,1]
	v_pk_fma_f32 v[146:147], v[140:141], v[130:131], v[144:145] op_sel:[0,0,1] op_sel_hi:[1,1,0] neg_lo:[0,0,1] neg_hi:[0,0,1]
	v_pk_fma_f32 v[140:141], v[140:141], v[130:131], v[144:145] op_sel:[0,0,1] op_sel_hi:[1,0,0]
	v_dual_mul_f32 v144, v143, v133 :: v_dual_mov_b32 v140, v143
	s_delay_alu instid0(VALU_DEP_2) | instskip(NEXT) | instid1(VALU_DEP_2)
	v_dual_mov_b32 v147, v141 :: v_dual_mov_b32 v141, v142
	v_pk_fma_f32 v[144:145], v[142:143], v[124:125], v[144:145] op_sel_hi:[1,1,0] neg_lo:[0,0,1] neg_hi:[0,0,1]
	v_mul_f32_e32 v142, v143, v130
	s_delay_alu instid0(VALU_DEP_3) | instskip(NEXT) | instid1(VALU_DEP_2)
	v_pk_add_f32 v[12:13], v[12:13], v[146:147] neg_lo:[0,1] neg_hi:[0,1]
	v_pk_fma_f32 v[140:141], v[140:141], v[124:125], v[142:143] op_sel_hi:[1,1,0]
	s_delay_alu instid0(VALU_DEP_1) | instskip(SKIP_4) | instid1(VALU_DEP_1)
	v_mov_b32_e32 v145, v141
	ds_load_2addr_b64 v[140:143], v134 offset0:56 offset1:57
	v_pk_add_f32 v[8:9], v[8:9], v[144:145] neg_lo:[0,1] neg_hi:[0,1]
	s_wait_dscnt 0x0
	v_pk_mul_f32 v[144:145], v[140:141], v[132:133] op_sel:[0,1]
	v_pk_fma_f32 v[146:147], v[140:141], v[130:131], v[144:145] op_sel:[0,0,1] op_sel_hi:[1,1,0] neg_lo:[0,0,1] neg_hi:[0,0,1]
	v_pk_fma_f32 v[140:141], v[140:141], v[130:131], v[144:145] op_sel:[0,0,1] op_sel_hi:[1,0,0]
	s_delay_alu instid0(VALU_DEP_1) | instskip(SKIP_1) | instid1(VALU_DEP_1)
	v_mov_b32_e32 v147, v141
	v_pk_mul_f32 v[140:141], v[142:143], v[132:133] op_sel:[0,1]
	v_pk_fma_f32 v[144:145], v[142:143], v[130:131], v[140:141] op_sel:[0,0,1] op_sel_hi:[1,1,0] neg_lo:[0,0,1] neg_hi:[0,0,1]
	v_pk_fma_f32 v[140:141], v[142:143], v[130:131], v[140:141] op_sel:[0,0,1] op_sel_hi:[1,0,0]
	s_delay_alu instid0(VALU_DEP_1)
	v_mov_b32_e32 v145, v141
	ds_load_2addr_b64 v[140:143], v134 offset0:58 offset1:59
	v_pk_add_f32 v[44:45], v[44:45], v[146:147] neg_lo:[0,1] neg_hi:[0,1]
	v_pk_add_f32 v[6:7], v[6:7], v[144:145] neg_lo:[0,1] neg_hi:[0,1]
	s_wait_dscnt 0x0
	v_pk_mul_f32 v[144:145], v[140:141], v[132:133] op_sel:[0,1]
	s_delay_alu instid0(VALU_DEP_1) | instskip(SKIP_1) | instid1(VALU_DEP_1)
	v_pk_fma_f32 v[146:147], v[140:141], v[130:131], v[144:145] op_sel:[0,0,1] op_sel_hi:[1,1,0] neg_lo:[0,0,1] neg_hi:[0,0,1]
	v_pk_fma_f32 v[140:141], v[140:141], v[130:131], v[144:145] op_sel:[0,0,1] op_sel_hi:[1,0,0]
	v_mov_b32_e32 v147, v141
	v_pk_mul_f32 v[140:141], v[142:143], v[132:133] op_sel:[0,1]
	s_delay_alu instid0(VALU_DEP_1) | instskip(SKIP_1) | instid1(VALU_DEP_1)
	v_pk_fma_f32 v[144:145], v[142:143], v[130:131], v[140:141] op_sel:[0,0,1] op_sel_hi:[1,1,0] neg_lo:[0,0,1] neg_hi:[0,0,1]
	v_pk_fma_f32 v[140:141], v[142:143], v[130:131], v[140:141] op_sel:[0,0,1] op_sel_hi:[1,0,0]
	v_mov_b32_e32 v145, v141
	ds_load_2addr_b64 v[140:143], v134 offset0:60 offset1:61
	v_pk_add_f32 v[26:27], v[26:27], v[146:147] neg_lo:[0,1] neg_hi:[0,1]
	v_pk_add_f32 v[16:17], v[16:17], v[144:145] neg_lo:[0,1] neg_hi:[0,1]
	s_wait_dscnt 0x0
	v_mul_f32_e32 v132, v141, v133
	s_delay_alu instid0(VALU_DEP_1) | instskip(SKIP_1) | instid1(VALU_DEP_1)
	v_pk_fma_f32 v[144:145], v[140:141], v[124:125], v[132:133] op_sel_hi:[1,1,0] neg_lo:[0,0,1] neg_hi:[0,0,1]
	v_dual_mul_f32 v132, v141, v130 :: v_dual_mul_f32 v130, v143, v130
	v_pk_fma_f32 v[140:141], v[140:141], v[124:125], v[132:133] op_sel:[1,0,0] op_sel_hi:[0,1,0]
	v_dual_mov_b32 v140, v143 :: v_dual_mul_f32 v132, v143, v133
	s_delay_alu instid0(VALU_DEP_2) | instskip(NEXT) | instid1(VALU_DEP_2)
	v_dual_mov_b32 v145, v141 :: v_dual_mov_b32 v141, v142
	v_pk_fma_f32 v[132:133], v[142:143], v[124:125], v[132:133] op_sel_hi:[1,1,0] neg_lo:[0,0,1] neg_hi:[0,0,1]
	s_delay_alu instid0(VALU_DEP_2) | instskip(NEXT) | instid1(VALU_DEP_3)
	v_pk_add_f32 v[14:15], v[14:15], v[144:145] neg_lo:[0,1] neg_hi:[0,1]
	v_pk_fma_f32 v[130:131], v[140:141], v[124:125], v[130:131] op_sel_hi:[1,1,0]
	s_delay_alu instid0(VALU_DEP_1) | instskip(NEXT) | instid1(VALU_DEP_1)
	v_mov_b32_e32 v133, v131
	v_pk_add_f32 v[128:129], v[128:129], v[132:133] neg_lo:[0,1] neg_hi:[0,1]
.LBB122_41:
	s_or_b32 exec_lo, exec_lo, s0
	v_lshl_add_u32 v130, v138, 3, v134
	s_barrier_signal -1
	s_barrier_wait -1
	ds_store_b64 v130, v[122:123]
	s_wait_dscnt 0x0
	s_barrier_signal -1
	s_barrier_wait -1
	ds_load_b64 v[132:133], v134 offset:16
	v_mov_b32_e32 v130, 2
	s_cmp_lt_i32 s18, 4
	s_mov_b32 s0, 3
	s_cbranch_scc1 .LBB122_44
; %bb.42:
	v_add3_u32 v131, v135, 0, 24
	v_mov_b32_e32 v130, 2
.LBB122_43:                             ; =>This Inner Loop Header: Depth=1
	ds_load_b64 v[140:141], v131
	s_wait_dscnt 0x1
	v_cmp_gt_f32_e32 vcc_lo, 0, v132
	v_cndmask_b32_e64 v142, v132, -v132, vcc_lo
	v_cmp_gt_f32_e32 vcc_lo, 0, v133
	v_cndmask_b32_e64 v144, v133, -v133, vcc_lo
	s_wait_dscnt 0x0
	v_cmp_gt_f32_e32 vcc_lo, 0, v140
	v_cndmask_b32_e64 v143, v140, -v140, vcc_lo
	v_cmp_gt_f32_e32 vcc_lo, 0, v141
	v_cndmask_b32_e64 v145, v141, -v141, vcc_lo
	s_delay_alu instid0(VALU_DEP_1) | instskip(NEXT) | instid1(VALU_DEP_1)
	v_pk_add_f32 v[142:143], v[142:143], v[144:145]
	v_cmp_lt_f32_e32 vcc_lo, v142, v143
	v_dual_add_nc_u32 v131, 8, v131 :: v_dual_cndmask_b32 v133, v133, v141, vcc_lo
	v_cndmask_b32_e32 v132, v132, v140, vcc_lo
	v_cndmask_b32_e64 v130, v130, s0, vcc_lo
	s_add_co_i32 s0, s0, 1
	s_delay_alu instid0(SALU_CYCLE_1)
	s_cmp_lg_u32 s18, s0
	s_cbranch_scc1 .LBB122_43
.LBB122_44:
	s_wait_dscnt 0x0
	v_cmp_eq_f32_e32 vcc_lo, 0, v132
	v_cmp_eq_f32_e64 s0, 0, v133
	s_and_b32 s0, vcc_lo, s0
	s_delay_alu instid0(SALU_CYCLE_1) | instskip(NEXT) | instid1(SALU_CYCLE_1)
	s_and_saveexec_b32 s1, s0
	s_xor_b32 s0, exec_lo, s1
; %bb.45:
	v_cmp_ne_u32_e32 vcc_lo, 0, v136
	v_cndmask_b32_e32 v136, 3, v136, vcc_lo
; %bb.46:
	s_and_not1_saveexec_b32 s0, s0
	s_cbranch_execz .LBB122_52
; %bb.47:
	v_cmp_ngt_f32_e64 s1, |v132|, |v133|
	s_and_saveexec_b32 s12, s1
	s_delay_alu instid0(SALU_CYCLE_1)
	s_xor_b32 s1, exec_lo, s12
	s_cbranch_execz .LBB122_49
; %bb.48:
	v_div_scale_f32 v131, null, v133, v133, v132
	v_div_scale_f32 v141, vcc_lo, v132, v133, v132
	s_delay_alu instid0(VALU_DEP_2) | instskip(SKIP_1) | instid1(TRANS32_DEP_1)
	v_rcp_f32_e32 v139, v131
	v_nop
	v_fma_f32 v140, -v131, v139, 1.0
	s_delay_alu instid0(VALU_DEP_1) | instskip(NEXT) | instid1(VALU_DEP_1)
	v_fmac_f32_e32 v139, v140, v139
	v_mul_f32_e32 v140, v141, v139
	s_delay_alu instid0(VALU_DEP_1) | instskip(NEXT) | instid1(VALU_DEP_1)
	v_fma_f32 v142, -v131, v140, v141
	v_fmac_f32_e32 v140, v142, v139
	s_delay_alu instid0(VALU_DEP_1) | instskip(NEXT) | instid1(VALU_DEP_1)
	v_fma_f32 v131, -v131, v140, v141
	v_div_fmas_f32 v131, v131, v139, v140
	s_delay_alu instid0(VALU_DEP_1) | instskip(NEXT) | instid1(VALU_DEP_1)
	v_div_fixup_f32 v131, v131, v133, v132
	v_fmac_f32_e32 v133, v132, v131
	s_delay_alu instid0(VALU_DEP_1) | instskip(SKIP_1) | instid1(VALU_DEP_2)
	v_div_scale_f32 v132, null, v133, v133, 1.0
	v_div_scale_f32 v141, vcc_lo, 1.0, v133, 1.0
	v_rcp_f32_e32 v139, v132
	v_nop
	s_delay_alu instid0(TRANS32_DEP_1) | instskip(NEXT) | instid1(VALU_DEP_1)
	v_fma_f32 v140, -v132, v139, 1.0
	v_fmac_f32_e32 v139, v140, v139
	s_delay_alu instid0(VALU_DEP_1) | instskip(NEXT) | instid1(VALU_DEP_1)
	v_mul_f32_e32 v140, v141, v139
	v_fma_f32 v142, -v132, v140, v141
	s_delay_alu instid0(VALU_DEP_1) | instskip(NEXT) | instid1(VALU_DEP_1)
	v_fmac_f32_e32 v140, v142, v139
	v_fma_f32 v132, -v132, v140, v141
	s_delay_alu instid0(VALU_DEP_1) | instskip(NEXT) | instid1(VALU_DEP_1)
	v_div_fmas_f32 v132, v132, v139, v140
	v_div_fixup_f32 v133, v132, v133, 1.0
	s_delay_alu instid0(VALU_DEP_1)
	v_mul_f32_e32 v132, v131, v133
	v_xor_b32_e32 v133, 0x80000000, v133
.LBB122_49:
	s_and_not1_saveexec_b32 s1, s1
	s_cbranch_execz .LBB122_51
; %bb.50:
	s_delay_alu instid0(VALU_DEP_1) | instskip(SKIP_1) | instid1(VALU_DEP_2)
	v_div_scale_f32 v131, null, v132, v132, v133
	v_div_scale_f32 v141, vcc_lo, v133, v132, v133
	v_rcp_f32_e32 v139, v131
	v_nop
	s_delay_alu instid0(TRANS32_DEP_1) | instskip(NEXT) | instid1(VALU_DEP_1)
	v_fma_f32 v140, -v131, v139, 1.0
	v_fmac_f32_e32 v139, v140, v139
	s_delay_alu instid0(VALU_DEP_1) | instskip(NEXT) | instid1(VALU_DEP_1)
	v_mul_f32_e32 v140, v141, v139
	v_fma_f32 v142, -v131, v140, v141
	s_delay_alu instid0(VALU_DEP_1) | instskip(NEXT) | instid1(VALU_DEP_1)
	v_fmac_f32_e32 v140, v142, v139
	v_fma_f32 v131, -v131, v140, v141
	s_delay_alu instid0(VALU_DEP_1) | instskip(NEXT) | instid1(VALU_DEP_1)
	v_div_fmas_f32 v131, v131, v139, v140
	v_div_fixup_f32 v131, v131, v132, v133
	s_delay_alu instid0(VALU_DEP_1) | instskip(NEXT) | instid1(VALU_DEP_1)
	v_fmac_f32_e32 v132, v133, v131
	v_div_scale_f32 v133, null, v132, v132, 1.0
	s_delay_alu instid0(VALU_DEP_1) | instskip(SKIP_1) | instid1(TRANS32_DEP_1)
	v_rcp_f32_e32 v139, v133
	v_nop
	v_fma_f32 v140, -v133, v139, 1.0
	s_delay_alu instid0(VALU_DEP_1) | instskip(SKIP_1) | instid1(VALU_DEP_1)
	v_fmac_f32_e32 v139, v140, v139
	v_div_scale_f32 v140, vcc_lo, 1.0, v132, 1.0
	v_mul_f32_e32 v141, v140, v139
	s_delay_alu instid0(VALU_DEP_1) | instskip(NEXT) | instid1(VALU_DEP_1)
	v_fma_f32 v142, -v133, v141, v140
	v_fmac_f32_e32 v141, v142, v139
	s_delay_alu instid0(VALU_DEP_1) | instskip(NEXT) | instid1(VALU_DEP_1)
	v_fma_f32 v133, -v133, v141, v140
	v_div_fmas_f32 v133, v133, v139, v141
	s_delay_alu instid0(VALU_DEP_1) | instskip(NEXT) | instid1(VALU_DEP_1)
	v_div_fixup_f32 v132, v133, v132, 1.0
	v_mul_f32_e64 v133, v131, -v132
.LBB122_51:
	s_or_b32 exec_lo, exec_lo, s1
.LBB122_52:
	s_delay_alu instid0(SALU_CYCLE_1) | instskip(NEXT) | instid1(SALU_CYCLE_1)
	s_or_b32 exec_lo, exec_lo, s0
	s_mov_b32 s0, exec_lo
	v_cmpx_ne_u32_e64 v138, v130
	s_xor_b32 s0, exec_lo, s0
	s_cbranch_execz .LBB122_58
; %bb.53:
	s_mov_b32 s1, exec_lo
	v_cmpx_eq_u32_e32 2, v138
	s_cbranch_execz .LBB122_57
; %bb.54:
	v_cmp_ne_u32_e32 vcc_lo, 2, v130
	s_xor_b32 s12, s16, -1
	s_delay_alu instid0(SALU_CYCLE_1) | instskip(NEXT) | instid1(SALU_CYCLE_1)
	s_and_b32 s13, s12, vcc_lo
	s_and_saveexec_b32 s12, s13
	s_cbranch_execz .LBB122_56
; %bb.55:
	v_ashrrev_i32_e32 v131, 31, v130
	s_delay_alu instid0(VALU_DEP_1)
	v_lshl_add_u64 v[138:139], v[130:131], 2, v[4:5]
	s_clause 0x1
	global_load_b32 v131, v[138:139], off
	global_load_b32 v137, v[4:5], off offset:8
	s_wait_loadcnt 0x1
	global_store_b32 v[4:5], v131, off offset:8
	s_wait_loadcnt 0x0
	global_store_b32 v[138:139], v137, off
.LBB122_56:
	s_wait_xcnt 0x0
	s_or_b32 exec_lo, exec_lo, s12
	v_dual_mov_b32 v138, v130 :: v_dual_mov_b32 v137, v130
.LBB122_57:
	s_or_b32 exec_lo, exec_lo, s1
.LBB122_58:
	s_and_not1_saveexec_b32 s0, s0
	s_cbranch_execz .LBB122_60
; %bb.59:
	v_mov_b32_e32 v138, 2
	ds_store_2addr_b64 v134, v[120:121], v[118:119] offset0:3 offset1:4
	ds_store_2addr_b64 v134, v[92:93], v[94:95] offset0:5 offset1:6
	;; [unrolled: 1-line block ×29, first 2 shown]
	ds_store_b64 v134, v[128:129] offset:488
.LBB122_60:
	s_or_b32 exec_lo, exec_lo, s0
	s_delay_alu instid0(SALU_CYCLE_1)
	s_mov_b32 s0, exec_lo
	s_wait_storecnt_dscnt 0x0
	s_barrier_signal -1
	s_barrier_wait -1
	v_cmpx_lt_i32_e32 2, v138
	s_cbranch_execz .LBB122_62
; %bb.61:
	v_pk_mul_f32 v[140:141], v[132:133], v[122:123] op_sel:[1,1] op_sel_hi:[0,1]
	s_delay_alu instid0(VALU_DEP_1)
	v_pk_fma_f32 v[130:131], v[132:133], v[122:123], v[140:141] op_sel_hi:[1,0,1] neg_lo:[0,0,1] neg_hi:[0,0,1]
	v_pk_fma_f32 v[132:133], v[132:133], v[122:123], v[140:141] op_sel_hi:[1,0,1]
	ds_load_2addr_b64 v[140:143], v134 offset0:3 offset1:4
	v_dual_mov_b32 v122, v130 :: v_dual_mov_b32 v123, v133
	s_wait_dscnt 0x0
	v_pk_mul_f32 v[144:145], v[140:141], v[132:133] op_sel:[0,1]
	s_delay_alu instid0(VALU_DEP_1) | instskip(SKIP_1) | instid1(VALU_DEP_1)
	v_pk_fma_f32 v[146:147], v[140:141], v[130:131], v[144:145] op_sel:[0,0,1] op_sel_hi:[1,1,0] neg_lo:[0,0,1] neg_hi:[0,0,1]
	v_pk_fma_f32 v[140:141], v[140:141], v[130:131], v[144:145] op_sel:[0,0,1] op_sel_hi:[1,0,0]
	v_mov_b32_e32 v147, v141
	v_pk_mul_f32 v[140:141], v[142:143], v[132:133] op_sel:[0,1]
	s_delay_alu instid0(VALU_DEP_1) | instskip(SKIP_1) | instid1(VALU_DEP_1)
	v_pk_fma_f32 v[144:145], v[142:143], v[130:131], v[140:141] op_sel:[0,0,1] op_sel_hi:[1,1,0] neg_lo:[0,0,1] neg_hi:[0,0,1]
	v_pk_fma_f32 v[140:141], v[142:143], v[130:131], v[140:141] op_sel:[0,0,1] op_sel_hi:[1,0,0]
	v_mov_b32_e32 v145, v141
	ds_load_2addr_b64 v[140:143], v134 offset0:5 offset1:6
	v_pk_add_f32 v[120:121], v[120:121], v[146:147] neg_lo:[0,1] neg_hi:[0,1]
	v_pk_add_f32 v[118:119], v[118:119], v[144:145] neg_lo:[0,1] neg_hi:[0,1]
	s_wait_dscnt 0x0
	v_pk_mul_f32 v[144:145], v[140:141], v[132:133] op_sel:[0,1]
	s_delay_alu instid0(VALU_DEP_1) | instskip(SKIP_2) | instid1(VALU_DEP_2)
	v_pk_fma_f32 v[146:147], v[140:141], v[130:131], v[144:145] op_sel:[0,0,1] op_sel_hi:[1,1,0] neg_lo:[0,0,1] neg_hi:[0,0,1]
	v_pk_fma_f32 v[140:141], v[140:141], v[130:131], v[144:145] op_sel:[0,0,1] op_sel_hi:[1,0,0]
	v_dual_mul_f32 v144, v143, v133 :: v_dual_mov_b32 v140, v143
	v_dual_mov_b32 v147, v141 :: v_dual_mov_b32 v141, v142
	s_delay_alu instid0(VALU_DEP_2) | instskip(SKIP_1) | instid1(VALU_DEP_3)
	v_pk_fma_f32 v[144:145], v[142:143], v[122:123], v[144:145] op_sel_hi:[1,1,0] neg_lo:[0,0,1] neg_hi:[0,0,1]
	v_mul_f32_e32 v142, v143, v130
	v_pk_add_f32 v[92:93], v[92:93], v[146:147] neg_lo:[0,1] neg_hi:[0,1]
	s_delay_alu instid0(VALU_DEP_2) | instskip(NEXT) | instid1(VALU_DEP_1)
	v_pk_fma_f32 v[140:141], v[140:141], v[122:123], v[142:143] op_sel_hi:[1,1,0]
	v_mov_b32_e32 v145, v141
	ds_load_2addr_b64 v[140:143], v134 offset0:7 offset1:8
	v_pk_add_f32 v[94:95], v[94:95], v[144:145] neg_lo:[0,1] neg_hi:[0,1]
	s_wait_dscnt 0x0
	v_pk_mul_f32 v[144:145], v[140:141], v[132:133] op_sel:[0,1]
	s_delay_alu instid0(VALU_DEP_1) | instskip(SKIP_1) | instid1(VALU_DEP_1)
	v_pk_fma_f32 v[146:147], v[140:141], v[130:131], v[144:145] op_sel:[0,0,1] op_sel_hi:[1,1,0] neg_lo:[0,0,1] neg_hi:[0,0,1]
	v_pk_fma_f32 v[140:141], v[140:141], v[130:131], v[144:145] op_sel:[0,0,1] op_sel_hi:[1,0,0]
	v_mov_b32_e32 v147, v141
	v_pk_mul_f32 v[140:141], v[142:143], v[132:133] op_sel:[0,1]
	s_delay_alu instid0(VALU_DEP_1) | instskip(SKIP_1) | instid1(VALU_DEP_1)
	v_pk_fma_f32 v[144:145], v[142:143], v[130:131], v[140:141] op_sel:[0,0,1] op_sel_hi:[1,1,0] neg_lo:[0,0,1] neg_hi:[0,0,1]
	v_pk_fma_f32 v[140:141], v[142:143], v[130:131], v[140:141] op_sel:[0,0,1] op_sel_hi:[1,0,0]
	v_mov_b32_e32 v145, v141
	ds_load_2addr_b64 v[140:143], v134 offset0:9 offset1:10
	v_pk_add_f32 v[90:91], v[90:91], v[146:147] neg_lo:[0,1] neg_hi:[0,1]
	v_pk_add_f32 v[116:117], v[116:117], v[144:145] neg_lo:[0,1] neg_hi:[0,1]
	s_wait_dscnt 0x0
	v_pk_mul_f32 v[144:145], v[140:141], v[132:133] op_sel:[0,1]
	s_delay_alu instid0(VALU_DEP_1) | instskip(SKIP_1) | instid1(VALU_DEP_1)
	v_pk_fma_f32 v[146:147], v[140:141], v[130:131], v[144:145] op_sel:[0,0,1] op_sel_hi:[1,1,0] neg_lo:[0,0,1] neg_hi:[0,0,1]
	v_pk_fma_f32 v[140:141], v[140:141], v[130:131], v[144:145] op_sel:[0,0,1] op_sel_hi:[1,0,0]
	v_mov_b32_e32 v147, v141
	v_pk_mul_f32 v[140:141], v[142:143], v[132:133] op_sel:[0,1]
	s_delay_alu instid0(VALU_DEP_1) | instskip(SKIP_1) | instid1(VALU_DEP_1)
	v_pk_fma_f32 v[144:145], v[142:143], v[130:131], v[140:141] op_sel:[0,0,1] op_sel_hi:[1,1,0] neg_lo:[0,0,1] neg_hi:[0,0,1]
	v_pk_fma_f32 v[140:141], v[142:143], v[130:131], v[140:141] op_sel:[0,0,1] op_sel_hi:[1,0,0]
	v_mov_b32_e32 v145, v141
	ds_load_2addr_b64 v[140:143], v134 offset0:11 offset1:12
	v_pk_add_f32 v[84:85], v[84:85], v[146:147] neg_lo:[0,1] neg_hi:[0,1]
	v_pk_add_f32 v[88:89], v[88:89], v[144:145] neg_lo:[0,1] neg_hi:[0,1]
	s_wait_dscnt 0x0
	v_dual_mul_f32 v144, v141, v133 :: v_dual_mul_f32 v146, v141, v130
	s_delay_alu instid0(VALU_DEP_1) | instskip(NEXT) | instid1(VALU_DEP_2)
	v_pk_fma_f32 v[144:145], v[140:141], v[122:123], v[144:145] op_sel_hi:[1,1,0] neg_lo:[0,0,1] neg_hi:[0,0,1]
	v_pk_fma_f32 v[140:141], v[140:141], v[122:123], v[146:147] op_sel:[1,0,0] op_sel_hi:[0,1,0]
	s_delay_alu instid0(VALU_DEP_1) | instskip(SKIP_1) | instid1(VALU_DEP_2)
	v_mov_b32_e32 v145, v141
	v_pk_mul_f32 v[140:141], v[142:143], v[132:133] op_sel:[0,1]
	v_pk_add_f32 v[82:83], v[82:83], v[144:145] neg_lo:[0,1] neg_hi:[0,1]
	s_delay_alu instid0(VALU_DEP_2) | instskip(SKIP_1) | instid1(VALU_DEP_1)
	v_pk_fma_f32 v[144:145], v[142:143], v[130:131], v[140:141] op_sel:[0,0,1] op_sel_hi:[1,1,0] neg_lo:[0,0,1] neg_hi:[0,0,1]
	v_pk_fma_f32 v[140:141], v[142:143], v[130:131], v[140:141] op_sel:[0,0,1] op_sel_hi:[1,0,0]
	v_mov_b32_e32 v145, v141
	ds_load_2addr_b64 v[140:143], v134 offset0:13 offset1:14
	v_pk_add_f32 v[114:115], v[114:115], v[144:145] neg_lo:[0,1] neg_hi:[0,1]
	s_wait_dscnt 0x0
	v_pk_mul_f32 v[144:145], v[140:141], v[132:133] op_sel:[0,1]
	s_delay_alu instid0(VALU_DEP_1) | instskip(SKIP_1) | instid1(VALU_DEP_1)
	v_pk_fma_f32 v[146:147], v[140:141], v[130:131], v[144:145] op_sel:[0,0,1] op_sel_hi:[1,1,0] neg_lo:[0,0,1] neg_hi:[0,0,1]
	v_pk_fma_f32 v[140:141], v[140:141], v[130:131], v[144:145] op_sel:[0,0,1] op_sel_hi:[1,0,0]
	v_mov_b32_e32 v147, v141
	v_pk_mul_f32 v[140:141], v[142:143], v[132:133] op_sel:[0,1]
	s_delay_alu instid0(VALU_DEP_2) | instskip(NEXT) | instid1(VALU_DEP_2)
	v_pk_add_f32 v[78:79], v[78:79], v[146:147] neg_lo:[0,1] neg_hi:[0,1]
	v_pk_fma_f32 v[144:145], v[142:143], v[130:131], v[140:141] op_sel:[0,0,1] op_sel_hi:[1,1,0] neg_lo:[0,0,1] neg_hi:[0,0,1]
	v_pk_fma_f32 v[140:141], v[142:143], v[130:131], v[140:141] op_sel:[0,0,1] op_sel_hi:[1,0,0]
	s_delay_alu instid0(VALU_DEP_1) | instskip(SKIP_4) | instid1(VALU_DEP_1)
	v_mov_b32_e32 v145, v141
	ds_load_2addr_b64 v[140:143], v134 offset0:15 offset1:16
	v_pk_add_f32 v[80:81], v[80:81], v[144:145] neg_lo:[0,1] neg_hi:[0,1]
	s_wait_dscnt 0x0
	v_pk_mul_f32 v[144:145], v[140:141], v[132:133] op_sel:[0,1]
	v_pk_fma_f32 v[146:147], v[140:141], v[130:131], v[144:145] op_sel:[0,0,1] op_sel_hi:[1,1,0] neg_lo:[0,0,1] neg_hi:[0,0,1]
	v_pk_fma_f32 v[140:141], v[140:141], v[130:131], v[144:145] op_sel:[0,0,1] op_sel_hi:[1,0,0]
	v_dual_mul_f32 v144, v143, v133 :: v_dual_mov_b32 v140, v143
	s_delay_alu instid0(VALU_DEP_2) | instskip(NEXT) | instid1(VALU_DEP_2)
	v_dual_mov_b32 v147, v141 :: v_dual_mov_b32 v141, v142
	v_pk_fma_f32 v[144:145], v[142:143], v[122:123], v[144:145] op_sel_hi:[1,1,0] neg_lo:[0,0,1] neg_hi:[0,0,1]
	v_mul_f32_e32 v142, v143, v130
	s_delay_alu instid0(VALU_DEP_3) | instskip(NEXT) | instid1(VALU_DEP_2)
	v_pk_add_f32 v[76:77], v[76:77], v[146:147] neg_lo:[0,1] neg_hi:[0,1]
	v_pk_fma_f32 v[140:141], v[140:141], v[122:123], v[142:143] op_sel_hi:[1,1,0]
	s_delay_alu instid0(VALU_DEP_1) | instskip(SKIP_4) | instid1(VALU_DEP_1)
	v_mov_b32_e32 v145, v141
	ds_load_2addr_b64 v[140:143], v134 offset0:17 offset1:18
	v_pk_add_f32 v[112:113], v[112:113], v[144:145] neg_lo:[0,1] neg_hi:[0,1]
	s_wait_dscnt 0x0
	v_pk_mul_f32 v[144:145], v[140:141], v[132:133] op_sel:[0,1]
	v_pk_fma_f32 v[146:147], v[140:141], v[130:131], v[144:145] op_sel:[0,0,1] op_sel_hi:[1,1,0] neg_lo:[0,0,1] neg_hi:[0,0,1]
	v_pk_fma_f32 v[140:141], v[140:141], v[130:131], v[144:145] op_sel:[0,0,1] op_sel_hi:[1,0,0]
	s_delay_alu instid0(VALU_DEP_1) | instskip(SKIP_1) | instid1(VALU_DEP_1)
	v_mov_b32_e32 v147, v141
	v_pk_mul_f32 v[140:141], v[142:143], v[132:133] op_sel:[0,1]
	v_pk_fma_f32 v[144:145], v[142:143], v[130:131], v[140:141] op_sel:[0,0,1] op_sel_hi:[1,1,0] neg_lo:[0,0,1] neg_hi:[0,0,1]
	v_pk_fma_f32 v[140:141], v[142:143], v[130:131], v[140:141] op_sel:[0,0,1] op_sel_hi:[1,0,0]
	s_delay_alu instid0(VALU_DEP_1)
	v_mov_b32_e32 v145, v141
	ds_load_2addr_b64 v[140:143], v134 offset0:19 offset1:20
	v_pk_add_f32 v[72:73], v[72:73], v[146:147] neg_lo:[0,1] neg_hi:[0,1]
	v_pk_add_f32 v[74:75], v[74:75], v[144:145] neg_lo:[0,1] neg_hi:[0,1]
	s_wait_dscnt 0x0
	v_pk_mul_f32 v[144:145], v[140:141], v[132:133] op_sel:[0,1]
	s_delay_alu instid0(VALU_DEP_1) | instskip(SKIP_1) | instid1(VALU_DEP_1)
	v_pk_fma_f32 v[146:147], v[140:141], v[130:131], v[144:145] op_sel:[0,0,1] op_sel_hi:[1,1,0] neg_lo:[0,0,1] neg_hi:[0,0,1]
	v_pk_fma_f32 v[140:141], v[140:141], v[130:131], v[144:145] op_sel:[0,0,1] op_sel_hi:[1,0,0]
	v_mov_b32_e32 v147, v141
	v_pk_mul_f32 v[140:141], v[142:143], v[132:133] op_sel:[0,1]
	s_delay_alu instid0(VALU_DEP_1) | instskip(SKIP_1) | instid1(VALU_DEP_1)
	v_pk_fma_f32 v[144:145], v[142:143], v[130:131], v[140:141] op_sel:[0,0,1] op_sel_hi:[1,1,0] neg_lo:[0,0,1] neg_hi:[0,0,1]
	v_pk_fma_f32 v[140:141], v[142:143], v[130:131], v[140:141] op_sel:[0,0,1] op_sel_hi:[1,0,0]
	v_mov_b32_e32 v145, v141
	ds_load_2addr_b64 v[140:143], v134 offset0:21 offset1:22
	v_pk_add_f32 v[70:71], v[70:71], v[146:147] neg_lo:[0,1] neg_hi:[0,1]
	v_pk_add_f32 v[110:111], v[110:111], v[144:145] neg_lo:[0,1] neg_hi:[0,1]
	s_wait_dscnt 0x0
	v_dual_mul_f32 v144, v141, v133 :: v_dual_mul_f32 v146, v141, v130
	s_delay_alu instid0(VALU_DEP_1) | instskip(NEXT) | instid1(VALU_DEP_2)
	v_pk_fma_f32 v[144:145], v[140:141], v[122:123], v[144:145] op_sel_hi:[1,1,0] neg_lo:[0,0,1] neg_hi:[0,0,1]
	v_pk_fma_f32 v[140:141], v[140:141], v[122:123], v[146:147] op_sel:[1,0,0] op_sel_hi:[0,1,0]
	s_delay_alu instid0(VALU_DEP_1) | instskip(SKIP_1) | instid1(VALU_DEP_2)
	v_mov_b32_e32 v145, v141
	v_pk_mul_f32 v[140:141], v[142:143], v[132:133] op_sel:[0,1]
	v_pk_add_f32 v[66:67], v[66:67], v[144:145] neg_lo:[0,1] neg_hi:[0,1]
	s_delay_alu instid0(VALU_DEP_2) | instskip(SKIP_1) | instid1(VALU_DEP_1)
	v_pk_fma_f32 v[144:145], v[142:143], v[130:131], v[140:141] op_sel:[0,0,1] op_sel_hi:[1,1,0] neg_lo:[0,0,1] neg_hi:[0,0,1]
	v_pk_fma_f32 v[140:141], v[142:143], v[130:131], v[140:141] op_sel:[0,0,1] op_sel_hi:[1,0,0]
	v_mov_b32_e32 v145, v141
	ds_load_2addr_b64 v[140:143], v134 offset0:23 offset1:24
	v_pk_add_f32 v[68:69], v[68:69], v[144:145] neg_lo:[0,1] neg_hi:[0,1]
	s_wait_dscnt 0x0
	v_pk_mul_f32 v[144:145], v[140:141], v[132:133] op_sel:[0,1]
	s_delay_alu instid0(VALU_DEP_1) | instskip(SKIP_1) | instid1(VALU_DEP_1)
	v_pk_fma_f32 v[146:147], v[140:141], v[130:131], v[144:145] op_sel:[0,0,1] op_sel_hi:[1,1,0] neg_lo:[0,0,1] neg_hi:[0,0,1]
	v_pk_fma_f32 v[140:141], v[140:141], v[130:131], v[144:145] op_sel:[0,0,1] op_sel_hi:[1,0,0]
	v_mov_b32_e32 v147, v141
	v_pk_mul_f32 v[140:141], v[142:143], v[132:133] op_sel:[0,1]
	s_delay_alu instid0(VALU_DEP_2) | instskip(NEXT) | instid1(VALU_DEP_2)
	v_pk_add_f32 v[64:65], v[64:65], v[146:147] neg_lo:[0,1] neg_hi:[0,1]
	v_pk_fma_f32 v[144:145], v[142:143], v[130:131], v[140:141] op_sel:[0,0,1] op_sel_hi:[1,1,0] neg_lo:[0,0,1] neg_hi:[0,0,1]
	v_pk_fma_f32 v[140:141], v[142:143], v[130:131], v[140:141] op_sel:[0,0,1] op_sel_hi:[1,0,0]
	s_delay_alu instid0(VALU_DEP_1) | instskip(SKIP_4) | instid1(VALU_DEP_1)
	v_mov_b32_e32 v145, v141
	ds_load_2addr_b64 v[140:143], v134 offset0:25 offset1:26
	v_pk_add_f32 v[108:109], v[108:109], v[144:145] neg_lo:[0,1] neg_hi:[0,1]
	s_wait_dscnt 0x0
	v_pk_mul_f32 v[144:145], v[140:141], v[132:133] op_sel:[0,1]
	v_pk_fma_f32 v[146:147], v[140:141], v[130:131], v[144:145] op_sel:[0,0,1] op_sel_hi:[1,1,0] neg_lo:[0,0,1] neg_hi:[0,0,1]
	v_pk_fma_f32 v[140:141], v[140:141], v[130:131], v[144:145] op_sel:[0,0,1] op_sel_hi:[1,0,0]
	v_dual_mul_f32 v144, v143, v133 :: v_dual_mov_b32 v140, v143
	s_delay_alu instid0(VALU_DEP_2) | instskip(NEXT) | instid1(VALU_DEP_2)
	v_dual_mov_b32 v147, v141 :: v_dual_mov_b32 v141, v142
	v_pk_fma_f32 v[144:145], v[142:143], v[122:123], v[144:145] op_sel_hi:[1,1,0] neg_lo:[0,0,1] neg_hi:[0,0,1]
	v_mul_f32_e32 v142, v143, v130
	s_delay_alu instid0(VALU_DEP_3) | instskip(NEXT) | instid1(VALU_DEP_2)
	v_pk_add_f32 v[60:61], v[60:61], v[146:147] neg_lo:[0,1] neg_hi:[0,1]
	v_pk_fma_f32 v[140:141], v[140:141], v[122:123], v[142:143] op_sel_hi:[1,1,0]
	s_delay_alu instid0(VALU_DEP_1) | instskip(SKIP_4) | instid1(VALU_DEP_1)
	v_mov_b32_e32 v145, v141
	ds_load_2addr_b64 v[140:143], v134 offset0:27 offset1:28
	v_pk_add_f32 v[62:63], v[62:63], v[144:145] neg_lo:[0,1] neg_hi:[0,1]
	s_wait_dscnt 0x0
	v_pk_mul_f32 v[144:145], v[140:141], v[132:133] op_sel:[0,1]
	v_pk_fma_f32 v[146:147], v[140:141], v[130:131], v[144:145] op_sel:[0,0,1] op_sel_hi:[1,1,0] neg_lo:[0,0,1] neg_hi:[0,0,1]
	v_pk_fma_f32 v[140:141], v[140:141], v[130:131], v[144:145] op_sel:[0,0,1] op_sel_hi:[1,0,0]
	s_delay_alu instid0(VALU_DEP_1) | instskip(SKIP_1) | instid1(VALU_DEP_1)
	v_mov_b32_e32 v147, v141
	v_pk_mul_f32 v[140:141], v[142:143], v[132:133] op_sel:[0,1]
	v_pk_fma_f32 v[144:145], v[142:143], v[130:131], v[140:141] op_sel:[0,0,1] op_sel_hi:[1,1,0] neg_lo:[0,0,1] neg_hi:[0,0,1]
	v_pk_fma_f32 v[140:141], v[142:143], v[130:131], v[140:141] op_sel:[0,0,1] op_sel_hi:[1,0,0]
	s_delay_alu instid0(VALU_DEP_1)
	v_mov_b32_e32 v145, v141
	ds_load_2addr_b64 v[140:143], v134 offset0:29 offset1:30
	v_pk_add_f32 v[58:59], v[58:59], v[146:147] neg_lo:[0,1] neg_hi:[0,1]
	v_pk_add_f32 v[106:107], v[106:107], v[144:145] neg_lo:[0,1] neg_hi:[0,1]
	s_wait_dscnt 0x0
	v_pk_mul_f32 v[144:145], v[140:141], v[132:133] op_sel:[0,1]
	s_delay_alu instid0(VALU_DEP_1) | instskip(SKIP_1) | instid1(VALU_DEP_1)
	v_pk_fma_f32 v[146:147], v[140:141], v[130:131], v[144:145] op_sel:[0,0,1] op_sel_hi:[1,1,0] neg_lo:[0,0,1] neg_hi:[0,0,1]
	v_pk_fma_f32 v[140:141], v[140:141], v[130:131], v[144:145] op_sel:[0,0,1] op_sel_hi:[1,0,0]
	v_mov_b32_e32 v147, v141
	v_pk_mul_f32 v[140:141], v[142:143], v[132:133] op_sel:[0,1]
	s_delay_alu instid0(VALU_DEP_1) | instskip(SKIP_1) | instid1(VALU_DEP_1)
	v_pk_fma_f32 v[144:145], v[142:143], v[130:131], v[140:141] op_sel:[0,0,1] op_sel_hi:[1,1,0] neg_lo:[0,0,1] neg_hi:[0,0,1]
	v_pk_fma_f32 v[140:141], v[142:143], v[130:131], v[140:141] op_sel:[0,0,1] op_sel_hi:[1,0,0]
	v_mov_b32_e32 v145, v141
	ds_load_2addr_b64 v[140:143], v134 offset0:31 offset1:32
	v_pk_add_f32 v[54:55], v[54:55], v[146:147] neg_lo:[0,1] neg_hi:[0,1]
	v_pk_add_f32 v[56:57], v[56:57], v[144:145] neg_lo:[0,1] neg_hi:[0,1]
	s_wait_dscnt 0x0
	v_dual_mul_f32 v144, v141, v133 :: v_dual_mul_f32 v146, v141, v130
	s_delay_alu instid0(VALU_DEP_1) | instskip(NEXT) | instid1(VALU_DEP_2)
	v_pk_fma_f32 v[144:145], v[140:141], v[122:123], v[144:145] op_sel_hi:[1,1,0] neg_lo:[0,0,1] neg_hi:[0,0,1]
	v_pk_fma_f32 v[140:141], v[140:141], v[122:123], v[146:147] op_sel:[1,0,0] op_sel_hi:[0,1,0]
	s_delay_alu instid0(VALU_DEP_1) | instskip(SKIP_1) | instid1(VALU_DEP_2)
	v_mov_b32_e32 v145, v141
	v_pk_mul_f32 v[140:141], v[142:143], v[132:133] op_sel:[0,1]
	v_pk_add_f32 v[52:53], v[52:53], v[144:145] neg_lo:[0,1] neg_hi:[0,1]
	s_delay_alu instid0(VALU_DEP_2) | instskip(SKIP_1) | instid1(VALU_DEP_1)
	v_pk_fma_f32 v[144:145], v[142:143], v[130:131], v[140:141] op_sel:[0,0,1] op_sel_hi:[1,1,0] neg_lo:[0,0,1] neg_hi:[0,0,1]
	v_pk_fma_f32 v[140:141], v[142:143], v[130:131], v[140:141] op_sel:[0,0,1] op_sel_hi:[1,0,0]
	v_mov_b32_e32 v145, v141
	ds_load_2addr_b64 v[140:143], v134 offset0:33 offset1:34
	v_pk_add_f32 v[104:105], v[104:105], v[144:145] neg_lo:[0,1] neg_hi:[0,1]
	s_wait_dscnt 0x0
	v_pk_mul_f32 v[144:145], v[140:141], v[132:133] op_sel:[0,1]
	s_delay_alu instid0(VALU_DEP_1) | instskip(SKIP_1) | instid1(VALU_DEP_1)
	v_pk_fma_f32 v[146:147], v[140:141], v[130:131], v[144:145] op_sel:[0,0,1] op_sel_hi:[1,1,0] neg_lo:[0,0,1] neg_hi:[0,0,1]
	v_pk_fma_f32 v[140:141], v[140:141], v[130:131], v[144:145] op_sel:[0,0,1] op_sel_hi:[1,0,0]
	v_mov_b32_e32 v147, v141
	v_pk_mul_f32 v[140:141], v[142:143], v[132:133] op_sel:[0,1]
	s_delay_alu instid0(VALU_DEP_2) | instskip(NEXT) | instid1(VALU_DEP_2)
	v_pk_add_f32 v[48:49], v[48:49], v[146:147] neg_lo:[0,1] neg_hi:[0,1]
	v_pk_fma_f32 v[144:145], v[142:143], v[130:131], v[140:141] op_sel:[0,0,1] op_sel_hi:[1,1,0] neg_lo:[0,0,1] neg_hi:[0,0,1]
	v_pk_fma_f32 v[140:141], v[142:143], v[130:131], v[140:141] op_sel:[0,0,1] op_sel_hi:[1,0,0]
	s_delay_alu instid0(VALU_DEP_1) | instskip(SKIP_4) | instid1(VALU_DEP_1)
	v_mov_b32_e32 v145, v141
	ds_load_2addr_b64 v[140:143], v134 offset0:35 offset1:36
	v_pk_add_f32 v[50:51], v[50:51], v[144:145] neg_lo:[0,1] neg_hi:[0,1]
	s_wait_dscnt 0x0
	v_pk_mul_f32 v[144:145], v[140:141], v[132:133] op_sel:[0,1]
	v_pk_fma_f32 v[146:147], v[140:141], v[130:131], v[144:145] op_sel:[0,0,1] op_sel_hi:[1,1,0] neg_lo:[0,0,1] neg_hi:[0,0,1]
	v_pk_fma_f32 v[140:141], v[140:141], v[130:131], v[144:145] op_sel:[0,0,1] op_sel_hi:[1,0,0]
	v_dual_mul_f32 v144, v143, v133 :: v_dual_mov_b32 v140, v143
	s_delay_alu instid0(VALU_DEP_2) | instskip(NEXT) | instid1(VALU_DEP_2)
	v_dual_mov_b32 v147, v141 :: v_dual_mov_b32 v141, v142
	v_pk_fma_f32 v[144:145], v[142:143], v[122:123], v[144:145] op_sel_hi:[1,1,0] neg_lo:[0,0,1] neg_hi:[0,0,1]
	v_mul_f32_e32 v142, v143, v130
	s_delay_alu instid0(VALU_DEP_3) | instskip(NEXT) | instid1(VALU_DEP_2)
	v_pk_add_f32 v[46:47], v[46:47], v[146:147] neg_lo:[0,1] neg_hi:[0,1]
	v_pk_fma_f32 v[140:141], v[140:141], v[122:123], v[142:143] op_sel_hi:[1,1,0]
	s_delay_alu instid0(VALU_DEP_1) | instskip(SKIP_4) | instid1(VALU_DEP_1)
	v_mov_b32_e32 v145, v141
	ds_load_2addr_b64 v[140:143], v134 offset0:37 offset1:38
	v_pk_add_f32 v[102:103], v[102:103], v[144:145] neg_lo:[0,1] neg_hi:[0,1]
	s_wait_dscnt 0x0
	v_pk_mul_f32 v[144:145], v[140:141], v[132:133] op_sel:[0,1]
	v_pk_fma_f32 v[146:147], v[140:141], v[130:131], v[144:145] op_sel:[0,0,1] op_sel_hi:[1,1,0] neg_lo:[0,0,1] neg_hi:[0,0,1]
	v_pk_fma_f32 v[140:141], v[140:141], v[130:131], v[144:145] op_sel:[0,0,1] op_sel_hi:[1,0,0]
	s_delay_alu instid0(VALU_DEP_1) | instskip(SKIP_1) | instid1(VALU_DEP_1)
	v_mov_b32_e32 v147, v141
	v_pk_mul_f32 v[140:141], v[142:143], v[132:133] op_sel:[0,1]
	v_pk_fma_f32 v[144:145], v[142:143], v[130:131], v[140:141] op_sel:[0,0,1] op_sel_hi:[1,1,0] neg_lo:[0,0,1] neg_hi:[0,0,1]
	v_pk_fma_f32 v[140:141], v[142:143], v[130:131], v[140:141] op_sel:[0,0,1] op_sel_hi:[1,0,0]
	s_delay_alu instid0(VALU_DEP_1)
	v_mov_b32_e32 v145, v141
	ds_load_2addr_b64 v[140:143], v134 offset0:39 offset1:40
	v_pk_add_f32 v[40:41], v[40:41], v[146:147] neg_lo:[0,1] neg_hi:[0,1]
	v_pk_add_f32 v[42:43], v[42:43], v[144:145] neg_lo:[0,1] neg_hi:[0,1]
	s_wait_dscnt 0x0
	v_pk_mul_f32 v[144:145], v[140:141], v[132:133] op_sel:[0,1]
	s_delay_alu instid0(VALU_DEP_1) | instskip(SKIP_1) | instid1(VALU_DEP_1)
	v_pk_fma_f32 v[146:147], v[140:141], v[130:131], v[144:145] op_sel:[0,0,1] op_sel_hi:[1,1,0] neg_lo:[0,0,1] neg_hi:[0,0,1]
	v_pk_fma_f32 v[140:141], v[140:141], v[130:131], v[144:145] op_sel:[0,0,1] op_sel_hi:[1,0,0]
	v_mov_b32_e32 v147, v141
	v_pk_mul_f32 v[140:141], v[142:143], v[132:133] op_sel:[0,1]
	s_delay_alu instid0(VALU_DEP_1) | instskip(SKIP_1) | instid1(VALU_DEP_1)
	v_pk_fma_f32 v[144:145], v[142:143], v[130:131], v[140:141] op_sel:[0,0,1] op_sel_hi:[1,1,0] neg_lo:[0,0,1] neg_hi:[0,0,1]
	v_pk_fma_f32 v[140:141], v[142:143], v[130:131], v[140:141] op_sel:[0,0,1] op_sel_hi:[1,0,0]
	v_mov_b32_e32 v145, v141
	ds_load_2addr_b64 v[140:143], v134 offset0:41 offset1:42
	v_pk_add_f32 v[38:39], v[38:39], v[146:147] neg_lo:[0,1] neg_hi:[0,1]
	v_pk_add_f32 v[100:101], v[100:101], v[144:145] neg_lo:[0,1] neg_hi:[0,1]
	s_wait_dscnt 0x0
	v_dual_mul_f32 v144, v141, v133 :: v_dual_mul_f32 v146, v141, v130
	s_delay_alu instid0(VALU_DEP_1) | instskip(NEXT) | instid1(VALU_DEP_2)
	v_pk_fma_f32 v[144:145], v[140:141], v[122:123], v[144:145] op_sel_hi:[1,1,0] neg_lo:[0,0,1] neg_hi:[0,0,1]
	v_pk_fma_f32 v[140:141], v[140:141], v[122:123], v[146:147] op_sel:[1,0,0] op_sel_hi:[0,1,0]
	s_delay_alu instid0(VALU_DEP_1) | instskip(SKIP_1) | instid1(VALU_DEP_2)
	v_mov_b32_e32 v145, v141
	v_pk_mul_f32 v[140:141], v[142:143], v[132:133] op_sel:[0,1]
	v_pk_add_f32 v[32:33], v[32:33], v[144:145] neg_lo:[0,1] neg_hi:[0,1]
	s_delay_alu instid0(VALU_DEP_2) | instskip(SKIP_1) | instid1(VALU_DEP_1)
	v_pk_fma_f32 v[144:145], v[142:143], v[130:131], v[140:141] op_sel:[0,0,1] op_sel_hi:[1,1,0] neg_lo:[0,0,1] neg_hi:[0,0,1]
	v_pk_fma_f32 v[140:141], v[142:143], v[130:131], v[140:141] op_sel:[0,0,1] op_sel_hi:[1,0,0]
	v_mov_b32_e32 v145, v141
	ds_load_2addr_b64 v[140:143], v134 offset0:43 offset1:44
	v_pk_add_f32 v[34:35], v[34:35], v[144:145] neg_lo:[0,1] neg_hi:[0,1]
	s_wait_dscnt 0x0
	v_pk_mul_f32 v[144:145], v[140:141], v[132:133] op_sel:[0,1]
	s_delay_alu instid0(VALU_DEP_1) | instskip(SKIP_1) | instid1(VALU_DEP_1)
	v_pk_fma_f32 v[146:147], v[140:141], v[130:131], v[144:145] op_sel:[0,0,1] op_sel_hi:[1,1,0] neg_lo:[0,0,1] neg_hi:[0,0,1]
	v_pk_fma_f32 v[140:141], v[140:141], v[130:131], v[144:145] op_sel:[0,0,1] op_sel_hi:[1,0,0]
	v_mov_b32_e32 v147, v141
	v_pk_mul_f32 v[140:141], v[142:143], v[132:133] op_sel:[0,1]
	s_delay_alu instid0(VALU_DEP_2) | instskip(NEXT) | instid1(VALU_DEP_2)
	v_pk_add_f32 v[30:31], v[30:31], v[146:147] neg_lo:[0,1] neg_hi:[0,1]
	v_pk_fma_f32 v[144:145], v[142:143], v[130:131], v[140:141] op_sel:[0,0,1] op_sel_hi:[1,1,0] neg_lo:[0,0,1] neg_hi:[0,0,1]
	v_pk_fma_f32 v[140:141], v[142:143], v[130:131], v[140:141] op_sel:[0,0,1] op_sel_hi:[1,0,0]
	s_delay_alu instid0(VALU_DEP_1) | instskip(SKIP_4) | instid1(VALU_DEP_1)
	v_mov_b32_e32 v145, v141
	ds_load_2addr_b64 v[140:143], v134 offset0:45 offset1:46
	v_pk_add_f32 v[98:99], v[98:99], v[144:145] neg_lo:[0,1] neg_hi:[0,1]
	s_wait_dscnt 0x0
	v_pk_mul_f32 v[144:145], v[140:141], v[132:133] op_sel:[0,1]
	v_pk_fma_f32 v[146:147], v[140:141], v[130:131], v[144:145] op_sel:[0,0,1] op_sel_hi:[1,1,0] neg_lo:[0,0,1] neg_hi:[0,0,1]
	v_pk_fma_f32 v[140:141], v[140:141], v[130:131], v[144:145] op_sel:[0,0,1] op_sel_hi:[1,0,0]
	v_dual_mul_f32 v144, v143, v133 :: v_dual_mov_b32 v140, v143
	s_delay_alu instid0(VALU_DEP_2) | instskip(NEXT) | instid1(VALU_DEP_2)
	v_dual_mov_b32 v147, v141 :: v_dual_mov_b32 v141, v142
	v_pk_fma_f32 v[144:145], v[142:143], v[122:123], v[144:145] op_sel_hi:[1,1,0] neg_lo:[0,0,1] neg_hi:[0,0,1]
	v_mul_f32_e32 v142, v143, v130
	s_delay_alu instid0(VALU_DEP_3) | instskip(NEXT) | instid1(VALU_DEP_2)
	v_pk_add_f32 v[24:25], v[24:25], v[146:147] neg_lo:[0,1] neg_hi:[0,1]
	v_pk_fma_f32 v[140:141], v[140:141], v[122:123], v[142:143] op_sel_hi:[1,1,0]
	s_delay_alu instid0(VALU_DEP_1) | instskip(SKIP_4) | instid1(VALU_DEP_1)
	v_mov_b32_e32 v145, v141
	ds_load_2addr_b64 v[140:143], v134 offset0:47 offset1:48
	v_pk_add_f32 v[28:29], v[28:29], v[144:145] neg_lo:[0,1] neg_hi:[0,1]
	s_wait_dscnt 0x0
	v_pk_mul_f32 v[144:145], v[140:141], v[132:133] op_sel:[0,1]
	v_pk_fma_f32 v[146:147], v[140:141], v[130:131], v[144:145] op_sel:[0,0,1] op_sel_hi:[1,1,0] neg_lo:[0,0,1] neg_hi:[0,0,1]
	v_pk_fma_f32 v[140:141], v[140:141], v[130:131], v[144:145] op_sel:[0,0,1] op_sel_hi:[1,0,0]
	s_delay_alu instid0(VALU_DEP_1) | instskip(SKIP_1) | instid1(VALU_DEP_1)
	v_mov_b32_e32 v147, v141
	v_pk_mul_f32 v[140:141], v[142:143], v[132:133] op_sel:[0,1]
	v_pk_fma_f32 v[144:145], v[142:143], v[130:131], v[140:141] op_sel:[0,0,1] op_sel_hi:[1,1,0] neg_lo:[0,0,1] neg_hi:[0,0,1]
	v_pk_fma_f32 v[140:141], v[142:143], v[130:131], v[140:141] op_sel:[0,0,1] op_sel_hi:[1,0,0]
	s_delay_alu instid0(VALU_DEP_1)
	v_mov_b32_e32 v145, v141
	ds_load_2addr_b64 v[140:143], v134 offset0:49 offset1:50
	v_pk_add_f32 v[22:23], v[22:23], v[146:147] neg_lo:[0,1] neg_hi:[0,1]
	v_pk_add_f32 v[96:97], v[96:97], v[144:145] neg_lo:[0,1] neg_hi:[0,1]
	s_wait_dscnt 0x0
	v_pk_mul_f32 v[144:145], v[140:141], v[132:133] op_sel:[0,1]
	s_delay_alu instid0(VALU_DEP_1) | instskip(SKIP_1) | instid1(VALU_DEP_1)
	v_pk_fma_f32 v[146:147], v[140:141], v[130:131], v[144:145] op_sel:[0,0,1] op_sel_hi:[1,1,0] neg_lo:[0,0,1] neg_hi:[0,0,1]
	v_pk_fma_f32 v[140:141], v[140:141], v[130:131], v[144:145] op_sel:[0,0,1] op_sel_hi:[1,0,0]
	v_mov_b32_e32 v147, v141
	v_pk_mul_f32 v[140:141], v[142:143], v[132:133] op_sel:[0,1]
	s_delay_alu instid0(VALU_DEP_1) | instskip(SKIP_1) | instid1(VALU_DEP_1)
	v_pk_fma_f32 v[144:145], v[142:143], v[130:131], v[140:141] op_sel:[0,0,1] op_sel_hi:[1,1,0] neg_lo:[0,0,1] neg_hi:[0,0,1]
	v_pk_fma_f32 v[140:141], v[142:143], v[130:131], v[140:141] op_sel:[0,0,1] op_sel_hi:[1,0,0]
	v_mov_b32_e32 v145, v141
	ds_load_2addr_b64 v[140:143], v134 offset0:51 offset1:52
	v_pk_add_f32 v[18:19], v[18:19], v[146:147] neg_lo:[0,1] neg_hi:[0,1]
	v_pk_add_f32 v[20:21], v[20:21], v[144:145] neg_lo:[0,1] neg_hi:[0,1]
	s_wait_dscnt 0x0
	v_dual_mul_f32 v144, v141, v133 :: v_dual_mul_f32 v146, v141, v130
	s_delay_alu instid0(VALU_DEP_1) | instskip(NEXT) | instid1(VALU_DEP_2)
	v_pk_fma_f32 v[144:145], v[140:141], v[122:123], v[144:145] op_sel_hi:[1,1,0] neg_lo:[0,0,1] neg_hi:[0,0,1]
	v_pk_fma_f32 v[140:141], v[140:141], v[122:123], v[146:147] op_sel:[1,0,0] op_sel_hi:[0,1,0]
	s_delay_alu instid0(VALU_DEP_1) | instskip(SKIP_1) | instid1(VALU_DEP_2)
	v_mov_b32_e32 v145, v141
	v_pk_mul_f32 v[140:141], v[142:143], v[132:133] op_sel:[0,1]
	v_pk_add_f32 v[36:37], v[36:37], v[144:145] neg_lo:[0,1] neg_hi:[0,1]
	s_delay_alu instid0(VALU_DEP_2) | instskip(SKIP_1) | instid1(VALU_DEP_1)
	v_pk_fma_f32 v[144:145], v[142:143], v[130:131], v[140:141] op_sel:[0,0,1] op_sel_hi:[1,1,0] neg_lo:[0,0,1] neg_hi:[0,0,1]
	v_pk_fma_f32 v[140:141], v[142:143], v[130:131], v[140:141] op_sel:[0,0,1] op_sel_hi:[1,0,0]
	v_mov_b32_e32 v145, v141
	ds_load_2addr_b64 v[140:143], v134 offset0:53 offset1:54
	v_pk_add_f32 v[86:87], v[86:87], v[144:145] neg_lo:[0,1] neg_hi:[0,1]
	s_wait_dscnt 0x0
	v_pk_mul_f32 v[144:145], v[140:141], v[132:133] op_sel:[0,1]
	s_delay_alu instid0(VALU_DEP_1) | instskip(SKIP_1) | instid1(VALU_DEP_1)
	v_pk_fma_f32 v[146:147], v[140:141], v[130:131], v[144:145] op_sel:[0,0,1] op_sel_hi:[1,1,0] neg_lo:[0,0,1] neg_hi:[0,0,1]
	v_pk_fma_f32 v[140:141], v[140:141], v[130:131], v[144:145] op_sel:[0,0,1] op_sel_hi:[1,0,0]
	v_mov_b32_e32 v147, v141
	v_pk_mul_f32 v[140:141], v[142:143], v[132:133] op_sel:[0,1]
	s_delay_alu instid0(VALU_DEP_2) | instskip(NEXT) | instid1(VALU_DEP_2)
	v_pk_add_f32 v[10:11], v[10:11], v[146:147] neg_lo:[0,1] neg_hi:[0,1]
	v_pk_fma_f32 v[144:145], v[142:143], v[130:131], v[140:141] op_sel:[0,0,1] op_sel_hi:[1,1,0] neg_lo:[0,0,1] neg_hi:[0,0,1]
	v_pk_fma_f32 v[140:141], v[142:143], v[130:131], v[140:141] op_sel:[0,0,1] op_sel_hi:[1,0,0]
	s_delay_alu instid0(VALU_DEP_1) | instskip(SKIP_4) | instid1(VALU_DEP_1)
	v_mov_b32_e32 v145, v141
	ds_load_2addr_b64 v[140:143], v134 offset0:55 offset1:56
	v_pk_add_f32 v[12:13], v[12:13], v[144:145] neg_lo:[0,1] neg_hi:[0,1]
	s_wait_dscnt 0x0
	v_pk_mul_f32 v[144:145], v[140:141], v[132:133] op_sel:[0,1]
	v_pk_fma_f32 v[146:147], v[140:141], v[130:131], v[144:145] op_sel:[0,0,1] op_sel_hi:[1,1,0] neg_lo:[0,0,1] neg_hi:[0,0,1]
	v_pk_fma_f32 v[140:141], v[140:141], v[130:131], v[144:145] op_sel:[0,0,1] op_sel_hi:[1,0,0]
	v_dual_mul_f32 v144, v143, v133 :: v_dual_mov_b32 v140, v143
	s_delay_alu instid0(VALU_DEP_2) | instskip(NEXT) | instid1(VALU_DEP_2)
	v_dual_mov_b32 v147, v141 :: v_dual_mov_b32 v141, v142
	v_pk_fma_f32 v[144:145], v[142:143], v[122:123], v[144:145] op_sel_hi:[1,1,0] neg_lo:[0,0,1] neg_hi:[0,0,1]
	v_mul_f32_e32 v142, v143, v130
	s_delay_alu instid0(VALU_DEP_3) | instskip(NEXT) | instid1(VALU_DEP_2)
	v_pk_add_f32 v[8:9], v[8:9], v[146:147] neg_lo:[0,1] neg_hi:[0,1]
	v_pk_fma_f32 v[140:141], v[140:141], v[122:123], v[142:143] op_sel_hi:[1,1,0]
	s_delay_alu instid0(VALU_DEP_1) | instskip(SKIP_4) | instid1(VALU_DEP_1)
	v_mov_b32_e32 v145, v141
	ds_load_2addr_b64 v[140:143], v134 offset0:57 offset1:58
	v_pk_add_f32 v[44:45], v[44:45], v[144:145] neg_lo:[0,1] neg_hi:[0,1]
	s_wait_dscnt 0x0
	v_pk_mul_f32 v[144:145], v[140:141], v[132:133] op_sel:[0,1]
	v_pk_fma_f32 v[146:147], v[140:141], v[130:131], v[144:145] op_sel:[0,0,1] op_sel_hi:[1,1,0] neg_lo:[0,0,1] neg_hi:[0,0,1]
	v_pk_fma_f32 v[140:141], v[140:141], v[130:131], v[144:145] op_sel:[0,0,1] op_sel_hi:[1,0,0]
	s_delay_alu instid0(VALU_DEP_1) | instskip(SKIP_1) | instid1(VALU_DEP_1)
	v_mov_b32_e32 v147, v141
	v_pk_mul_f32 v[140:141], v[142:143], v[132:133] op_sel:[0,1]
	v_pk_fma_f32 v[144:145], v[142:143], v[130:131], v[140:141] op_sel:[0,0,1] op_sel_hi:[1,1,0] neg_lo:[0,0,1] neg_hi:[0,0,1]
	v_pk_fma_f32 v[140:141], v[142:143], v[130:131], v[140:141] op_sel:[0,0,1] op_sel_hi:[1,0,0]
	s_delay_alu instid0(VALU_DEP_1)
	v_mov_b32_e32 v145, v141
	ds_load_2addr_b64 v[140:143], v134 offset0:59 offset1:60
	v_pk_add_f32 v[6:7], v[6:7], v[146:147] neg_lo:[0,1] neg_hi:[0,1]
	v_pk_add_f32 v[26:27], v[26:27], v[144:145] neg_lo:[0,1] neg_hi:[0,1]
	s_wait_dscnt 0x0
	v_pk_mul_f32 v[144:145], v[140:141], v[132:133] op_sel:[0,1]
	s_delay_alu instid0(VALU_DEP_1) | instskip(SKIP_1) | instid1(VALU_DEP_1)
	v_pk_fma_f32 v[146:147], v[140:141], v[130:131], v[144:145] op_sel:[0,0,1] op_sel_hi:[1,1,0] neg_lo:[0,0,1] neg_hi:[0,0,1]
	v_pk_fma_f32 v[140:141], v[140:141], v[130:131], v[144:145] op_sel:[0,0,1] op_sel_hi:[1,0,0]
	v_mov_b32_e32 v147, v141
	v_pk_mul_f32 v[140:141], v[142:143], v[132:133] op_sel:[0,1]
	s_delay_alu instid0(VALU_DEP_1) | instskip(SKIP_1) | instid1(VALU_DEP_1)
	v_pk_fma_f32 v[144:145], v[142:143], v[130:131], v[140:141] op_sel:[0,0,1] op_sel_hi:[1,1,0] neg_lo:[0,0,1] neg_hi:[0,0,1]
	v_pk_fma_f32 v[140:141], v[142:143], v[130:131], v[140:141] op_sel:[0,0,1] op_sel_hi:[1,0,0]
	v_mov_b32_e32 v145, v141
	ds_load_b64 v[140:141], v134 offset:488
	v_pk_add_f32 v[16:17], v[16:17], v[146:147] neg_lo:[0,1] neg_hi:[0,1]
	v_pk_add_f32 v[14:15], v[14:15], v[144:145] neg_lo:[0,1] neg_hi:[0,1]
	s_wait_dscnt 0x0
	v_pk_mul_f32 v[132:133], v[140:141], v[132:133] op_sel:[0,1]
	s_delay_alu instid0(VALU_DEP_1) | instskip(SKIP_1) | instid1(VALU_DEP_1)
	v_pk_fma_f32 v[142:143], v[140:141], v[130:131], v[132:133] op_sel:[0,0,1] op_sel_hi:[1,1,0] neg_lo:[0,0,1] neg_hi:[0,0,1]
	v_pk_fma_f32 v[130:131], v[140:141], v[130:131], v[132:133] op_sel:[0,0,1] op_sel_hi:[1,0,0]
	v_mov_b32_e32 v143, v131
	s_delay_alu instid0(VALU_DEP_1)
	v_pk_add_f32 v[128:129], v[128:129], v[142:143] neg_lo:[0,1] neg_hi:[0,1]
.LBB122_62:
	s_or_b32 exec_lo, exec_lo, s0
	v_lshl_add_u32 v130, v138, 3, v134
	s_barrier_signal -1
	s_barrier_wait -1
	ds_store_b64 v130, v[120:121]
	s_wait_dscnt 0x0
	s_barrier_signal -1
	s_barrier_wait -1
	ds_load_b64 v[132:133], v134 offset:24
	v_mov_b32_e32 v130, 3
	s_cmp_lt_i32 s18, 5
	s_cbranch_scc1 .LBB122_65
; %bb.63:
	v_mov_b32_e32 v130, 3
	v_add3_u32 v131, v135, 0, 32
	s_mov_b32 s0, 4
.LBB122_64:                             ; =>This Inner Loop Header: Depth=1
	ds_load_b64 v[140:141], v131
	s_wait_dscnt 0x1
	v_cmp_gt_f32_e32 vcc_lo, 0, v132
	v_cndmask_b32_e64 v142, v132, -v132, vcc_lo
	v_cmp_gt_f32_e32 vcc_lo, 0, v133
	v_cndmask_b32_e64 v144, v133, -v133, vcc_lo
	s_wait_dscnt 0x0
	v_cmp_gt_f32_e32 vcc_lo, 0, v140
	v_cndmask_b32_e64 v143, v140, -v140, vcc_lo
	v_cmp_gt_f32_e32 vcc_lo, 0, v141
	v_cndmask_b32_e64 v145, v141, -v141, vcc_lo
	s_delay_alu instid0(VALU_DEP_1) | instskip(NEXT) | instid1(VALU_DEP_1)
	v_pk_add_f32 v[142:143], v[142:143], v[144:145]
	v_cmp_lt_f32_e32 vcc_lo, v142, v143
	v_dual_add_nc_u32 v131, 8, v131 :: v_dual_cndmask_b32 v133, v133, v141, vcc_lo
	v_cndmask_b32_e32 v132, v132, v140, vcc_lo
	v_cndmask_b32_e64 v130, v130, s0, vcc_lo
	s_add_co_i32 s0, s0, 1
	s_delay_alu instid0(SALU_CYCLE_1)
	s_cmp_lg_u32 s18, s0
	s_cbranch_scc1 .LBB122_64
.LBB122_65:
	s_wait_dscnt 0x0
	v_cmp_eq_f32_e32 vcc_lo, 0, v132
	v_cmp_eq_f32_e64 s0, 0, v133
	s_and_b32 s0, vcc_lo, s0
	s_delay_alu instid0(SALU_CYCLE_1) | instskip(NEXT) | instid1(SALU_CYCLE_1)
	s_and_saveexec_b32 s1, s0
	s_xor_b32 s0, exec_lo, s1
; %bb.66:
	v_cmp_ne_u32_e32 vcc_lo, 0, v136
	v_cndmask_b32_e32 v136, 4, v136, vcc_lo
; %bb.67:
	s_and_not1_saveexec_b32 s0, s0
	s_cbranch_execz .LBB122_73
; %bb.68:
	v_cmp_ngt_f32_e64 s1, |v132|, |v133|
	s_and_saveexec_b32 s12, s1
	s_delay_alu instid0(SALU_CYCLE_1)
	s_xor_b32 s1, exec_lo, s12
	s_cbranch_execz .LBB122_70
; %bb.69:
	v_div_scale_f32 v131, null, v133, v133, v132
	v_div_scale_f32 v141, vcc_lo, v132, v133, v132
	s_delay_alu instid0(VALU_DEP_2) | instskip(SKIP_1) | instid1(TRANS32_DEP_1)
	v_rcp_f32_e32 v139, v131
	v_nop
	v_fma_f32 v140, -v131, v139, 1.0
	s_delay_alu instid0(VALU_DEP_1) | instskip(NEXT) | instid1(VALU_DEP_1)
	v_fmac_f32_e32 v139, v140, v139
	v_mul_f32_e32 v140, v141, v139
	s_delay_alu instid0(VALU_DEP_1) | instskip(NEXT) | instid1(VALU_DEP_1)
	v_fma_f32 v142, -v131, v140, v141
	v_fmac_f32_e32 v140, v142, v139
	s_delay_alu instid0(VALU_DEP_1) | instskip(NEXT) | instid1(VALU_DEP_1)
	v_fma_f32 v131, -v131, v140, v141
	v_div_fmas_f32 v131, v131, v139, v140
	s_delay_alu instid0(VALU_DEP_1) | instskip(NEXT) | instid1(VALU_DEP_1)
	v_div_fixup_f32 v131, v131, v133, v132
	v_fmac_f32_e32 v133, v132, v131
	s_delay_alu instid0(VALU_DEP_1) | instskip(SKIP_1) | instid1(VALU_DEP_2)
	v_div_scale_f32 v132, null, v133, v133, 1.0
	v_div_scale_f32 v141, vcc_lo, 1.0, v133, 1.0
	v_rcp_f32_e32 v139, v132
	v_nop
	s_delay_alu instid0(TRANS32_DEP_1) | instskip(NEXT) | instid1(VALU_DEP_1)
	v_fma_f32 v140, -v132, v139, 1.0
	v_fmac_f32_e32 v139, v140, v139
	s_delay_alu instid0(VALU_DEP_1) | instskip(NEXT) | instid1(VALU_DEP_1)
	v_mul_f32_e32 v140, v141, v139
	v_fma_f32 v142, -v132, v140, v141
	s_delay_alu instid0(VALU_DEP_1) | instskip(NEXT) | instid1(VALU_DEP_1)
	v_fmac_f32_e32 v140, v142, v139
	v_fma_f32 v132, -v132, v140, v141
	s_delay_alu instid0(VALU_DEP_1) | instskip(NEXT) | instid1(VALU_DEP_1)
	v_div_fmas_f32 v132, v132, v139, v140
	v_div_fixup_f32 v133, v132, v133, 1.0
	s_delay_alu instid0(VALU_DEP_1)
	v_mul_f32_e32 v132, v131, v133
	v_xor_b32_e32 v133, 0x80000000, v133
.LBB122_70:
	s_and_not1_saveexec_b32 s1, s1
	s_cbranch_execz .LBB122_72
; %bb.71:
	s_delay_alu instid0(VALU_DEP_1) | instskip(SKIP_1) | instid1(VALU_DEP_2)
	v_div_scale_f32 v131, null, v132, v132, v133
	v_div_scale_f32 v141, vcc_lo, v133, v132, v133
	v_rcp_f32_e32 v139, v131
	v_nop
	s_delay_alu instid0(TRANS32_DEP_1) | instskip(NEXT) | instid1(VALU_DEP_1)
	v_fma_f32 v140, -v131, v139, 1.0
	v_fmac_f32_e32 v139, v140, v139
	s_delay_alu instid0(VALU_DEP_1) | instskip(NEXT) | instid1(VALU_DEP_1)
	v_mul_f32_e32 v140, v141, v139
	v_fma_f32 v142, -v131, v140, v141
	s_delay_alu instid0(VALU_DEP_1) | instskip(NEXT) | instid1(VALU_DEP_1)
	v_fmac_f32_e32 v140, v142, v139
	v_fma_f32 v131, -v131, v140, v141
	s_delay_alu instid0(VALU_DEP_1) | instskip(NEXT) | instid1(VALU_DEP_1)
	v_div_fmas_f32 v131, v131, v139, v140
	v_div_fixup_f32 v131, v131, v132, v133
	s_delay_alu instid0(VALU_DEP_1) | instskip(NEXT) | instid1(VALU_DEP_1)
	v_fmac_f32_e32 v132, v133, v131
	v_div_scale_f32 v133, null, v132, v132, 1.0
	s_delay_alu instid0(VALU_DEP_1) | instskip(SKIP_1) | instid1(TRANS32_DEP_1)
	v_rcp_f32_e32 v139, v133
	v_nop
	v_fma_f32 v140, -v133, v139, 1.0
	s_delay_alu instid0(VALU_DEP_1) | instskip(SKIP_1) | instid1(VALU_DEP_1)
	v_fmac_f32_e32 v139, v140, v139
	v_div_scale_f32 v140, vcc_lo, 1.0, v132, 1.0
	v_mul_f32_e32 v141, v140, v139
	s_delay_alu instid0(VALU_DEP_1) | instskip(NEXT) | instid1(VALU_DEP_1)
	v_fma_f32 v142, -v133, v141, v140
	v_fmac_f32_e32 v141, v142, v139
	s_delay_alu instid0(VALU_DEP_1) | instskip(NEXT) | instid1(VALU_DEP_1)
	v_fma_f32 v133, -v133, v141, v140
	v_div_fmas_f32 v133, v133, v139, v141
	s_delay_alu instid0(VALU_DEP_1) | instskip(NEXT) | instid1(VALU_DEP_1)
	v_div_fixup_f32 v132, v133, v132, 1.0
	v_mul_f32_e64 v133, v131, -v132
.LBB122_72:
	s_or_b32 exec_lo, exec_lo, s1
.LBB122_73:
	s_delay_alu instid0(SALU_CYCLE_1) | instskip(NEXT) | instid1(SALU_CYCLE_1)
	s_or_b32 exec_lo, exec_lo, s0
	s_mov_b32 s0, exec_lo
	v_cmpx_ne_u32_e64 v138, v130
	s_xor_b32 s0, exec_lo, s0
	s_cbranch_execz .LBB122_79
; %bb.74:
	s_mov_b32 s1, exec_lo
	v_cmpx_eq_u32_e32 3, v138
	s_cbranch_execz .LBB122_78
; %bb.75:
	v_cmp_ne_u32_e32 vcc_lo, 3, v130
	s_xor_b32 s12, s16, -1
	s_delay_alu instid0(SALU_CYCLE_1) | instskip(NEXT) | instid1(SALU_CYCLE_1)
	s_and_b32 s13, s12, vcc_lo
	s_and_saveexec_b32 s12, s13
	s_cbranch_execz .LBB122_77
; %bb.76:
	v_ashrrev_i32_e32 v131, 31, v130
	s_delay_alu instid0(VALU_DEP_1)
	v_lshl_add_u64 v[138:139], v[130:131], 2, v[4:5]
	s_clause 0x1
	global_load_b32 v131, v[138:139], off
	global_load_b32 v137, v[4:5], off offset:12
	s_wait_loadcnt 0x1
	global_store_b32 v[4:5], v131, off offset:12
	s_wait_loadcnt 0x0
	global_store_b32 v[138:139], v137, off
.LBB122_77:
	s_wait_xcnt 0x0
	s_or_b32 exec_lo, exec_lo, s12
	v_dual_mov_b32 v138, v130 :: v_dual_mov_b32 v137, v130
.LBB122_78:
	s_or_b32 exec_lo, exec_lo, s1
.LBB122_79:
	s_and_not1_saveexec_b32 s0, s0
	s_cbranch_execz .LBB122_81
; %bb.80:
	v_dual_mov_b32 v130, v118 :: v_dual_mov_b32 v131, v119
	v_dual_mov_b32 v138, v92 :: v_dual_mov_b32 v139, v93
	v_dual_mov_b32 v140, v94 :: v_dual_mov_b32 v141, v95
	v_dual_mov_b32 v142, v90 :: v_dual_mov_b32 v143, v91
	v_dual_mov_b32 v144, v116 :: v_dual_mov_b32 v145, v117
	v_dual_mov_b32 v146, v84 :: v_dual_mov_b32 v147, v85
	v_dual_mov_b32 v148, v88 :: v_dual_mov_b32 v149, v89
	v_dual_mov_b32 v150, v82 :: v_dual_mov_b32 v151, v83
	v_dual_mov_b32 v152, v114 :: v_dual_mov_b32 v153, v115
	v_dual_mov_b32 v154, v78 :: v_dual_mov_b32 v155, v79
	v_dual_mov_b32 v156, v80 :: v_dual_mov_b32 v157, v81
	v_dual_mov_b32 v158, v76 :: v_dual_mov_b32 v159, v77
	ds_store_2addr_b64 v134, v[130:131], v[138:139] offset0:4 offset1:5
	ds_store_2addr_b64 v134, v[140:141], v[142:143] offset0:6 offset1:7
	ds_store_2addr_b64 v134, v[144:145], v[146:147] offset0:8 offset1:9
	ds_store_2addr_b64 v134, v[148:149], v[150:151] offset0:10 offset1:11
	ds_store_2addr_b64 v134, v[152:153], v[154:155] offset0:12 offset1:13
	ds_store_2addr_b64 v134, v[156:157], v[158:159] offset0:14 offset1:15
	v_dual_mov_b32 v130, v112 :: v_dual_mov_b32 v131, v113
	v_dual_mov_b32 v138, v72 :: v_dual_mov_b32 v139, v73
	v_dual_mov_b32 v140, v74 :: v_dual_mov_b32 v141, v75
	v_dual_mov_b32 v142, v70 :: v_dual_mov_b32 v143, v71
	v_dual_mov_b32 v144, v110 :: v_dual_mov_b32 v145, v111
	v_dual_mov_b32 v146, v66 :: v_dual_mov_b32 v147, v67
	v_dual_mov_b32 v148, v68 :: v_dual_mov_b32 v149, v69
	v_dual_mov_b32 v150, v64 :: v_dual_mov_b32 v151, v65
	v_dual_mov_b32 v152, v108 :: v_dual_mov_b32 v153, v109
	v_dual_mov_b32 v154, v60 :: v_dual_mov_b32 v155, v61
	v_dual_mov_b32 v156, v62 :: v_dual_mov_b32 v157, v63
	v_dual_mov_b32 v158, v58 :: v_dual_mov_b32 v159, v59
	ds_store_2addr_b64 v134, v[130:131], v[138:139] offset0:16 offset1:17
	ds_store_2addr_b64 v134, v[140:141], v[142:143] offset0:18 offset1:19
	ds_store_2addr_b64 v134, v[144:145], v[146:147] offset0:20 offset1:21
	ds_store_2addr_b64 v134, v[148:149], v[150:151] offset0:22 offset1:23
	ds_store_2addr_b64 v134, v[152:153], v[154:155] offset0:24 offset1:25
	ds_store_2addr_b64 v134, v[156:157], v[158:159] offset0:26 offset1:27
	;; [unrolled: 18-line block ×4, first 2 shown]
	v_dual_mov_b32 v130, v86 :: v_dual_mov_b32 v131, v87
	v_dual_mov_b32 v140, v10 :: v_dual_mov_b32 v141, v11
	;; [unrolled: 1-line block ×9, first 2 shown]
	v_mov_b32_e32 v155, v15
	ds_store_2addr_b64 v134, v[130:131], v[140:141] offset0:52 offset1:53
	ds_store_2addr_b64 v134, v[142:143], v[144:145] offset0:54 offset1:55
	;; [unrolled: 1-line block ×5, first 2 shown]
.LBB122_81:
	s_or_b32 exec_lo, exec_lo, s0
	s_delay_alu instid0(SALU_CYCLE_1)
	s_mov_b32 s0, exec_lo
	s_wait_storecnt_dscnt 0x0
	s_barrier_signal -1
	s_barrier_wait -1
	v_cmpx_lt_i32_e32 3, v138
	s_cbranch_execz .LBB122_83
; %bb.82:
	v_pk_mul_f32 v[140:141], v[132:133], v[120:121] op_sel:[1,1] op_sel_hi:[0,1]
	s_delay_alu instid0(VALU_DEP_1)
	v_pk_fma_f32 v[130:131], v[132:133], v[120:121], v[140:141] op_sel_hi:[1,0,1] neg_lo:[0,0,1] neg_hi:[0,0,1]
	v_pk_fma_f32 v[132:133], v[132:133], v[120:121], v[140:141] op_sel_hi:[1,0,1]
	ds_load_2addr_b64 v[140:143], v134 offset0:4 offset1:5
	v_dual_mov_b32 v120, v130 :: v_dual_mov_b32 v121, v133
	s_wait_dscnt 0x0
	v_pk_mul_f32 v[144:145], v[140:141], v[132:133] op_sel:[0,1]
	s_delay_alu instid0(VALU_DEP_1) | instskip(SKIP_1) | instid1(VALU_DEP_1)
	v_pk_fma_f32 v[146:147], v[140:141], v[130:131], v[144:145] op_sel:[0,0,1] op_sel_hi:[1,1,0] neg_lo:[0,0,1] neg_hi:[0,0,1]
	v_pk_fma_f32 v[140:141], v[140:141], v[130:131], v[144:145] op_sel:[0,0,1] op_sel_hi:[1,0,0]
	v_mov_b32_e32 v147, v141
	v_pk_mul_f32 v[140:141], v[142:143], v[132:133] op_sel:[0,1]
	s_delay_alu instid0(VALU_DEP_1) | instskip(SKIP_1) | instid1(VALU_DEP_1)
	v_pk_fma_f32 v[144:145], v[142:143], v[130:131], v[140:141] op_sel:[0,0,1] op_sel_hi:[1,1,0] neg_lo:[0,0,1] neg_hi:[0,0,1]
	v_pk_fma_f32 v[140:141], v[142:143], v[130:131], v[140:141] op_sel:[0,0,1] op_sel_hi:[1,0,0]
	v_mov_b32_e32 v145, v141
	ds_load_2addr_b64 v[140:143], v134 offset0:6 offset1:7
	v_pk_add_f32 v[118:119], v[118:119], v[146:147] neg_lo:[0,1] neg_hi:[0,1]
	v_pk_add_f32 v[92:93], v[92:93], v[144:145] neg_lo:[0,1] neg_hi:[0,1]
	s_wait_dscnt 0x0
	v_pk_mul_f32 v[144:145], v[140:141], v[132:133] op_sel:[0,1]
	s_delay_alu instid0(VALU_DEP_1) | instskip(SKIP_2) | instid1(VALU_DEP_2)
	v_pk_fma_f32 v[146:147], v[140:141], v[130:131], v[144:145] op_sel:[0,0,1] op_sel_hi:[1,1,0] neg_lo:[0,0,1] neg_hi:[0,0,1]
	v_pk_fma_f32 v[140:141], v[140:141], v[130:131], v[144:145] op_sel:[0,0,1] op_sel_hi:[1,0,0]
	v_dual_mul_f32 v144, v143, v133 :: v_dual_mov_b32 v140, v143
	v_dual_mov_b32 v147, v141 :: v_dual_mov_b32 v141, v142
	s_delay_alu instid0(VALU_DEP_2) | instskip(SKIP_1) | instid1(VALU_DEP_3)
	v_pk_fma_f32 v[144:145], v[142:143], v[120:121], v[144:145] op_sel_hi:[1,1,0] neg_lo:[0,0,1] neg_hi:[0,0,1]
	v_mul_f32_e32 v142, v143, v130
	v_pk_add_f32 v[94:95], v[94:95], v[146:147] neg_lo:[0,1] neg_hi:[0,1]
	s_delay_alu instid0(VALU_DEP_2) | instskip(NEXT) | instid1(VALU_DEP_1)
	v_pk_fma_f32 v[140:141], v[140:141], v[120:121], v[142:143] op_sel_hi:[1,1,0]
	v_mov_b32_e32 v145, v141
	ds_load_2addr_b64 v[140:143], v134 offset0:8 offset1:9
	v_pk_add_f32 v[90:91], v[90:91], v[144:145] neg_lo:[0,1] neg_hi:[0,1]
	s_wait_dscnt 0x0
	v_pk_mul_f32 v[144:145], v[140:141], v[132:133] op_sel:[0,1]
	s_delay_alu instid0(VALU_DEP_1) | instskip(SKIP_1) | instid1(VALU_DEP_1)
	v_pk_fma_f32 v[146:147], v[140:141], v[130:131], v[144:145] op_sel:[0,0,1] op_sel_hi:[1,1,0] neg_lo:[0,0,1] neg_hi:[0,0,1]
	v_pk_fma_f32 v[140:141], v[140:141], v[130:131], v[144:145] op_sel:[0,0,1] op_sel_hi:[1,0,0]
	v_mov_b32_e32 v147, v141
	v_pk_mul_f32 v[140:141], v[142:143], v[132:133] op_sel:[0,1]
	s_delay_alu instid0(VALU_DEP_1) | instskip(SKIP_1) | instid1(VALU_DEP_1)
	v_pk_fma_f32 v[144:145], v[142:143], v[130:131], v[140:141] op_sel:[0,0,1] op_sel_hi:[1,1,0] neg_lo:[0,0,1] neg_hi:[0,0,1]
	v_pk_fma_f32 v[140:141], v[142:143], v[130:131], v[140:141] op_sel:[0,0,1] op_sel_hi:[1,0,0]
	v_mov_b32_e32 v145, v141
	ds_load_2addr_b64 v[140:143], v134 offset0:10 offset1:11
	v_pk_add_f32 v[116:117], v[116:117], v[146:147] neg_lo:[0,1] neg_hi:[0,1]
	v_pk_add_f32 v[84:85], v[84:85], v[144:145] neg_lo:[0,1] neg_hi:[0,1]
	s_wait_dscnt 0x0
	v_pk_mul_f32 v[144:145], v[140:141], v[132:133] op_sel:[0,1]
	s_delay_alu instid0(VALU_DEP_1) | instskip(SKIP_1) | instid1(VALU_DEP_1)
	v_pk_fma_f32 v[146:147], v[140:141], v[130:131], v[144:145] op_sel:[0,0,1] op_sel_hi:[1,1,0] neg_lo:[0,0,1] neg_hi:[0,0,1]
	v_pk_fma_f32 v[140:141], v[140:141], v[130:131], v[144:145] op_sel:[0,0,1] op_sel_hi:[1,0,0]
	v_mov_b32_e32 v147, v141
	v_pk_mul_f32 v[140:141], v[142:143], v[132:133] op_sel:[0,1]
	s_delay_alu instid0(VALU_DEP_1) | instskip(SKIP_1) | instid1(VALU_DEP_1)
	v_pk_fma_f32 v[144:145], v[142:143], v[130:131], v[140:141] op_sel:[0,0,1] op_sel_hi:[1,1,0] neg_lo:[0,0,1] neg_hi:[0,0,1]
	v_pk_fma_f32 v[140:141], v[142:143], v[130:131], v[140:141] op_sel:[0,0,1] op_sel_hi:[1,0,0]
	v_mov_b32_e32 v145, v141
	ds_load_2addr_b64 v[140:143], v134 offset0:12 offset1:13
	v_pk_add_f32 v[88:89], v[88:89], v[146:147] neg_lo:[0,1] neg_hi:[0,1]
	v_pk_add_f32 v[82:83], v[82:83], v[144:145] neg_lo:[0,1] neg_hi:[0,1]
	s_wait_dscnt 0x0
	v_dual_mul_f32 v144, v141, v133 :: v_dual_mul_f32 v146, v141, v130
	s_delay_alu instid0(VALU_DEP_1) | instskip(NEXT) | instid1(VALU_DEP_2)
	v_pk_fma_f32 v[144:145], v[140:141], v[120:121], v[144:145] op_sel_hi:[1,1,0] neg_lo:[0,0,1] neg_hi:[0,0,1]
	v_pk_fma_f32 v[140:141], v[140:141], v[120:121], v[146:147] op_sel:[1,0,0] op_sel_hi:[0,1,0]
	s_delay_alu instid0(VALU_DEP_1) | instskip(SKIP_1) | instid1(VALU_DEP_2)
	v_mov_b32_e32 v145, v141
	v_pk_mul_f32 v[140:141], v[142:143], v[132:133] op_sel:[0,1]
	v_pk_add_f32 v[114:115], v[114:115], v[144:145] neg_lo:[0,1] neg_hi:[0,1]
	s_delay_alu instid0(VALU_DEP_2) | instskip(SKIP_1) | instid1(VALU_DEP_1)
	v_pk_fma_f32 v[144:145], v[142:143], v[130:131], v[140:141] op_sel:[0,0,1] op_sel_hi:[1,1,0] neg_lo:[0,0,1] neg_hi:[0,0,1]
	v_pk_fma_f32 v[140:141], v[142:143], v[130:131], v[140:141] op_sel:[0,0,1] op_sel_hi:[1,0,0]
	v_mov_b32_e32 v145, v141
	ds_load_2addr_b64 v[140:143], v134 offset0:14 offset1:15
	v_pk_add_f32 v[78:79], v[78:79], v[144:145] neg_lo:[0,1] neg_hi:[0,1]
	s_wait_dscnt 0x0
	v_pk_mul_f32 v[144:145], v[140:141], v[132:133] op_sel:[0,1]
	s_delay_alu instid0(VALU_DEP_1) | instskip(SKIP_1) | instid1(VALU_DEP_1)
	v_pk_fma_f32 v[146:147], v[140:141], v[130:131], v[144:145] op_sel:[0,0,1] op_sel_hi:[1,1,0] neg_lo:[0,0,1] neg_hi:[0,0,1]
	v_pk_fma_f32 v[140:141], v[140:141], v[130:131], v[144:145] op_sel:[0,0,1] op_sel_hi:[1,0,0]
	v_mov_b32_e32 v147, v141
	v_pk_mul_f32 v[140:141], v[142:143], v[132:133] op_sel:[0,1]
	s_delay_alu instid0(VALU_DEP_2) | instskip(NEXT) | instid1(VALU_DEP_2)
	v_pk_add_f32 v[80:81], v[80:81], v[146:147] neg_lo:[0,1] neg_hi:[0,1]
	v_pk_fma_f32 v[144:145], v[142:143], v[130:131], v[140:141] op_sel:[0,0,1] op_sel_hi:[1,1,0] neg_lo:[0,0,1] neg_hi:[0,0,1]
	v_pk_fma_f32 v[140:141], v[142:143], v[130:131], v[140:141] op_sel:[0,0,1] op_sel_hi:[1,0,0]
	s_delay_alu instid0(VALU_DEP_1) | instskip(SKIP_4) | instid1(VALU_DEP_1)
	v_mov_b32_e32 v145, v141
	ds_load_2addr_b64 v[140:143], v134 offset0:16 offset1:17
	v_pk_add_f32 v[76:77], v[76:77], v[144:145] neg_lo:[0,1] neg_hi:[0,1]
	s_wait_dscnt 0x0
	v_pk_mul_f32 v[144:145], v[140:141], v[132:133] op_sel:[0,1]
	v_pk_fma_f32 v[146:147], v[140:141], v[130:131], v[144:145] op_sel:[0,0,1] op_sel_hi:[1,1,0] neg_lo:[0,0,1] neg_hi:[0,0,1]
	v_pk_fma_f32 v[140:141], v[140:141], v[130:131], v[144:145] op_sel:[0,0,1] op_sel_hi:[1,0,0]
	v_dual_mul_f32 v144, v143, v133 :: v_dual_mov_b32 v140, v143
	s_delay_alu instid0(VALU_DEP_2) | instskip(NEXT) | instid1(VALU_DEP_2)
	v_dual_mov_b32 v147, v141 :: v_dual_mov_b32 v141, v142
	v_pk_fma_f32 v[144:145], v[142:143], v[120:121], v[144:145] op_sel_hi:[1,1,0] neg_lo:[0,0,1] neg_hi:[0,0,1]
	v_mul_f32_e32 v142, v143, v130
	s_delay_alu instid0(VALU_DEP_3) | instskip(NEXT) | instid1(VALU_DEP_2)
	v_pk_add_f32 v[112:113], v[112:113], v[146:147] neg_lo:[0,1] neg_hi:[0,1]
	v_pk_fma_f32 v[140:141], v[140:141], v[120:121], v[142:143] op_sel_hi:[1,1,0]
	s_delay_alu instid0(VALU_DEP_1) | instskip(SKIP_4) | instid1(VALU_DEP_1)
	v_mov_b32_e32 v145, v141
	ds_load_2addr_b64 v[140:143], v134 offset0:18 offset1:19
	v_pk_add_f32 v[72:73], v[72:73], v[144:145] neg_lo:[0,1] neg_hi:[0,1]
	s_wait_dscnt 0x0
	v_pk_mul_f32 v[144:145], v[140:141], v[132:133] op_sel:[0,1]
	v_pk_fma_f32 v[146:147], v[140:141], v[130:131], v[144:145] op_sel:[0,0,1] op_sel_hi:[1,1,0] neg_lo:[0,0,1] neg_hi:[0,0,1]
	v_pk_fma_f32 v[140:141], v[140:141], v[130:131], v[144:145] op_sel:[0,0,1] op_sel_hi:[1,0,0]
	s_delay_alu instid0(VALU_DEP_1) | instskip(SKIP_1) | instid1(VALU_DEP_1)
	v_mov_b32_e32 v147, v141
	v_pk_mul_f32 v[140:141], v[142:143], v[132:133] op_sel:[0,1]
	v_pk_fma_f32 v[144:145], v[142:143], v[130:131], v[140:141] op_sel:[0,0,1] op_sel_hi:[1,1,0] neg_lo:[0,0,1] neg_hi:[0,0,1]
	v_pk_fma_f32 v[140:141], v[142:143], v[130:131], v[140:141] op_sel:[0,0,1] op_sel_hi:[1,0,0]
	s_delay_alu instid0(VALU_DEP_1)
	v_mov_b32_e32 v145, v141
	ds_load_2addr_b64 v[140:143], v134 offset0:20 offset1:21
	v_pk_add_f32 v[74:75], v[74:75], v[146:147] neg_lo:[0,1] neg_hi:[0,1]
	v_pk_add_f32 v[70:71], v[70:71], v[144:145] neg_lo:[0,1] neg_hi:[0,1]
	s_wait_dscnt 0x0
	v_pk_mul_f32 v[144:145], v[140:141], v[132:133] op_sel:[0,1]
	s_delay_alu instid0(VALU_DEP_1) | instskip(SKIP_1) | instid1(VALU_DEP_1)
	v_pk_fma_f32 v[146:147], v[140:141], v[130:131], v[144:145] op_sel:[0,0,1] op_sel_hi:[1,1,0] neg_lo:[0,0,1] neg_hi:[0,0,1]
	v_pk_fma_f32 v[140:141], v[140:141], v[130:131], v[144:145] op_sel:[0,0,1] op_sel_hi:[1,0,0]
	v_mov_b32_e32 v147, v141
	v_pk_mul_f32 v[140:141], v[142:143], v[132:133] op_sel:[0,1]
	s_delay_alu instid0(VALU_DEP_1) | instskip(SKIP_1) | instid1(VALU_DEP_1)
	v_pk_fma_f32 v[144:145], v[142:143], v[130:131], v[140:141] op_sel:[0,0,1] op_sel_hi:[1,1,0] neg_lo:[0,0,1] neg_hi:[0,0,1]
	v_pk_fma_f32 v[140:141], v[142:143], v[130:131], v[140:141] op_sel:[0,0,1] op_sel_hi:[1,0,0]
	v_mov_b32_e32 v145, v141
	ds_load_2addr_b64 v[140:143], v134 offset0:22 offset1:23
	v_pk_add_f32 v[110:111], v[110:111], v[146:147] neg_lo:[0,1] neg_hi:[0,1]
	v_pk_add_f32 v[66:67], v[66:67], v[144:145] neg_lo:[0,1] neg_hi:[0,1]
	s_wait_dscnt 0x0
	v_dual_mul_f32 v144, v141, v133 :: v_dual_mul_f32 v146, v141, v130
	s_delay_alu instid0(VALU_DEP_1) | instskip(NEXT) | instid1(VALU_DEP_2)
	v_pk_fma_f32 v[144:145], v[140:141], v[120:121], v[144:145] op_sel_hi:[1,1,0] neg_lo:[0,0,1] neg_hi:[0,0,1]
	v_pk_fma_f32 v[140:141], v[140:141], v[120:121], v[146:147] op_sel:[1,0,0] op_sel_hi:[0,1,0]
	s_delay_alu instid0(VALU_DEP_1) | instskip(SKIP_1) | instid1(VALU_DEP_2)
	v_mov_b32_e32 v145, v141
	v_pk_mul_f32 v[140:141], v[142:143], v[132:133] op_sel:[0,1]
	v_pk_add_f32 v[68:69], v[68:69], v[144:145] neg_lo:[0,1] neg_hi:[0,1]
	s_delay_alu instid0(VALU_DEP_2) | instskip(SKIP_1) | instid1(VALU_DEP_1)
	v_pk_fma_f32 v[144:145], v[142:143], v[130:131], v[140:141] op_sel:[0,0,1] op_sel_hi:[1,1,0] neg_lo:[0,0,1] neg_hi:[0,0,1]
	v_pk_fma_f32 v[140:141], v[142:143], v[130:131], v[140:141] op_sel:[0,0,1] op_sel_hi:[1,0,0]
	v_mov_b32_e32 v145, v141
	ds_load_2addr_b64 v[140:143], v134 offset0:24 offset1:25
	v_pk_add_f32 v[64:65], v[64:65], v[144:145] neg_lo:[0,1] neg_hi:[0,1]
	s_wait_dscnt 0x0
	v_pk_mul_f32 v[144:145], v[140:141], v[132:133] op_sel:[0,1]
	s_delay_alu instid0(VALU_DEP_1) | instskip(SKIP_1) | instid1(VALU_DEP_1)
	v_pk_fma_f32 v[146:147], v[140:141], v[130:131], v[144:145] op_sel:[0,0,1] op_sel_hi:[1,1,0] neg_lo:[0,0,1] neg_hi:[0,0,1]
	v_pk_fma_f32 v[140:141], v[140:141], v[130:131], v[144:145] op_sel:[0,0,1] op_sel_hi:[1,0,0]
	v_mov_b32_e32 v147, v141
	v_pk_mul_f32 v[140:141], v[142:143], v[132:133] op_sel:[0,1]
	s_delay_alu instid0(VALU_DEP_2) | instskip(NEXT) | instid1(VALU_DEP_2)
	v_pk_add_f32 v[108:109], v[108:109], v[146:147] neg_lo:[0,1] neg_hi:[0,1]
	v_pk_fma_f32 v[144:145], v[142:143], v[130:131], v[140:141] op_sel:[0,0,1] op_sel_hi:[1,1,0] neg_lo:[0,0,1] neg_hi:[0,0,1]
	v_pk_fma_f32 v[140:141], v[142:143], v[130:131], v[140:141] op_sel:[0,0,1] op_sel_hi:[1,0,0]
	s_delay_alu instid0(VALU_DEP_1) | instskip(SKIP_4) | instid1(VALU_DEP_1)
	v_mov_b32_e32 v145, v141
	ds_load_2addr_b64 v[140:143], v134 offset0:26 offset1:27
	v_pk_add_f32 v[60:61], v[60:61], v[144:145] neg_lo:[0,1] neg_hi:[0,1]
	s_wait_dscnt 0x0
	v_pk_mul_f32 v[144:145], v[140:141], v[132:133] op_sel:[0,1]
	v_pk_fma_f32 v[146:147], v[140:141], v[130:131], v[144:145] op_sel:[0,0,1] op_sel_hi:[1,1,0] neg_lo:[0,0,1] neg_hi:[0,0,1]
	v_pk_fma_f32 v[140:141], v[140:141], v[130:131], v[144:145] op_sel:[0,0,1] op_sel_hi:[1,0,0]
	v_dual_mul_f32 v144, v143, v133 :: v_dual_mov_b32 v140, v143
	s_delay_alu instid0(VALU_DEP_2) | instskip(NEXT) | instid1(VALU_DEP_2)
	v_dual_mov_b32 v147, v141 :: v_dual_mov_b32 v141, v142
	v_pk_fma_f32 v[144:145], v[142:143], v[120:121], v[144:145] op_sel_hi:[1,1,0] neg_lo:[0,0,1] neg_hi:[0,0,1]
	v_mul_f32_e32 v142, v143, v130
	s_delay_alu instid0(VALU_DEP_3) | instskip(NEXT) | instid1(VALU_DEP_2)
	v_pk_add_f32 v[62:63], v[62:63], v[146:147] neg_lo:[0,1] neg_hi:[0,1]
	v_pk_fma_f32 v[140:141], v[140:141], v[120:121], v[142:143] op_sel_hi:[1,1,0]
	s_delay_alu instid0(VALU_DEP_1) | instskip(SKIP_4) | instid1(VALU_DEP_1)
	v_mov_b32_e32 v145, v141
	ds_load_2addr_b64 v[140:143], v134 offset0:28 offset1:29
	v_pk_add_f32 v[58:59], v[58:59], v[144:145] neg_lo:[0,1] neg_hi:[0,1]
	s_wait_dscnt 0x0
	v_pk_mul_f32 v[144:145], v[140:141], v[132:133] op_sel:[0,1]
	v_pk_fma_f32 v[146:147], v[140:141], v[130:131], v[144:145] op_sel:[0,0,1] op_sel_hi:[1,1,0] neg_lo:[0,0,1] neg_hi:[0,0,1]
	v_pk_fma_f32 v[140:141], v[140:141], v[130:131], v[144:145] op_sel:[0,0,1] op_sel_hi:[1,0,0]
	s_delay_alu instid0(VALU_DEP_1) | instskip(SKIP_1) | instid1(VALU_DEP_1)
	v_mov_b32_e32 v147, v141
	v_pk_mul_f32 v[140:141], v[142:143], v[132:133] op_sel:[0,1]
	v_pk_fma_f32 v[144:145], v[142:143], v[130:131], v[140:141] op_sel:[0,0,1] op_sel_hi:[1,1,0] neg_lo:[0,0,1] neg_hi:[0,0,1]
	v_pk_fma_f32 v[140:141], v[142:143], v[130:131], v[140:141] op_sel:[0,0,1] op_sel_hi:[1,0,0]
	s_delay_alu instid0(VALU_DEP_1)
	v_mov_b32_e32 v145, v141
	ds_load_2addr_b64 v[140:143], v134 offset0:30 offset1:31
	v_pk_add_f32 v[106:107], v[106:107], v[146:147] neg_lo:[0,1] neg_hi:[0,1]
	v_pk_add_f32 v[54:55], v[54:55], v[144:145] neg_lo:[0,1] neg_hi:[0,1]
	s_wait_dscnt 0x0
	v_pk_mul_f32 v[144:145], v[140:141], v[132:133] op_sel:[0,1]
	s_delay_alu instid0(VALU_DEP_1) | instskip(SKIP_1) | instid1(VALU_DEP_1)
	v_pk_fma_f32 v[146:147], v[140:141], v[130:131], v[144:145] op_sel:[0,0,1] op_sel_hi:[1,1,0] neg_lo:[0,0,1] neg_hi:[0,0,1]
	v_pk_fma_f32 v[140:141], v[140:141], v[130:131], v[144:145] op_sel:[0,0,1] op_sel_hi:[1,0,0]
	v_mov_b32_e32 v147, v141
	v_pk_mul_f32 v[140:141], v[142:143], v[132:133] op_sel:[0,1]
	s_delay_alu instid0(VALU_DEP_1) | instskip(SKIP_1) | instid1(VALU_DEP_1)
	v_pk_fma_f32 v[144:145], v[142:143], v[130:131], v[140:141] op_sel:[0,0,1] op_sel_hi:[1,1,0] neg_lo:[0,0,1] neg_hi:[0,0,1]
	v_pk_fma_f32 v[140:141], v[142:143], v[130:131], v[140:141] op_sel:[0,0,1] op_sel_hi:[1,0,0]
	v_mov_b32_e32 v145, v141
	ds_load_2addr_b64 v[140:143], v134 offset0:32 offset1:33
	v_pk_add_f32 v[56:57], v[56:57], v[146:147] neg_lo:[0,1] neg_hi:[0,1]
	v_pk_add_f32 v[52:53], v[52:53], v[144:145] neg_lo:[0,1] neg_hi:[0,1]
	s_wait_dscnt 0x0
	v_dual_mul_f32 v144, v141, v133 :: v_dual_mul_f32 v146, v141, v130
	s_delay_alu instid0(VALU_DEP_1) | instskip(NEXT) | instid1(VALU_DEP_2)
	v_pk_fma_f32 v[144:145], v[140:141], v[120:121], v[144:145] op_sel_hi:[1,1,0] neg_lo:[0,0,1] neg_hi:[0,0,1]
	v_pk_fma_f32 v[140:141], v[140:141], v[120:121], v[146:147] op_sel:[1,0,0] op_sel_hi:[0,1,0]
	s_delay_alu instid0(VALU_DEP_1) | instskip(SKIP_1) | instid1(VALU_DEP_2)
	v_mov_b32_e32 v145, v141
	v_pk_mul_f32 v[140:141], v[142:143], v[132:133] op_sel:[0,1]
	v_pk_add_f32 v[104:105], v[104:105], v[144:145] neg_lo:[0,1] neg_hi:[0,1]
	s_delay_alu instid0(VALU_DEP_2) | instskip(SKIP_1) | instid1(VALU_DEP_1)
	v_pk_fma_f32 v[144:145], v[142:143], v[130:131], v[140:141] op_sel:[0,0,1] op_sel_hi:[1,1,0] neg_lo:[0,0,1] neg_hi:[0,0,1]
	v_pk_fma_f32 v[140:141], v[142:143], v[130:131], v[140:141] op_sel:[0,0,1] op_sel_hi:[1,0,0]
	v_mov_b32_e32 v145, v141
	ds_load_2addr_b64 v[140:143], v134 offset0:34 offset1:35
	v_pk_add_f32 v[48:49], v[48:49], v[144:145] neg_lo:[0,1] neg_hi:[0,1]
	s_wait_dscnt 0x0
	v_pk_mul_f32 v[144:145], v[140:141], v[132:133] op_sel:[0,1]
	s_delay_alu instid0(VALU_DEP_1) | instskip(SKIP_1) | instid1(VALU_DEP_1)
	v_pk_fma_f32 v[146:147], v[140:141], v[130:131], v[144:145] op_sel:[0,0,1] op_sel_hi:[1,1,0] neg_lo:[0,0,1] neg_hi:[0,0,1]
	v_pk_fma_f32 v[140:141], v[140:141], v[130:131], v[144:145] op_sel:[0,0,1] op_sel_hi:[1,0,0]
	v_mov_b32_e32 v147, v141
	v_pk_mul_f32 v[140:141], v[142:143], v[132:133] op_sel:[0,1]
	s_delay_alu instid0(VALU_DEP_2) | instskip(NEXT) | instid1(VALU_DEP_2)
	v_pk_add_f32 v[50:51], v[50:51], v[146:147] neg_lo:[0,1] neg_hi:[0,1]
	v_pk_fma_f32 v[144:145], v[142:143], v[130:131], v[140:141] op_sel:[0,0,1] op_sel_hi:[1,1,0] neg_lo:[0,0,1] neg_hi:[0,0,1]
	v_pk_fma_f32 v[140:141], v[142:143], v[130:131], v[140:141] op_sel:[0,0,1] op_sel_hi:[1,0,0]
	s_delay_alu instid0(VALU_DEP_1) | instskip(SKIP_4) | instid1(VALU_DEP_1)
	v_mov_b32_e32 v145, v141
	ds_load_2addr_b64 v[140:143], v134 offset0:36 offset1:37
	v_pk_add_f32 v[46:47], v[46:47], v[144:145] neg_lo:[0,1] neg_hi:[0,1]
	s_wait_dscnt 0x0
	v_pk_mul_f32 v[144:145], v[140:141], v[132:133] op_sel:[0,1]
	v_pk_fma_f32 v[146:147], v[140:141], v[130:131], v[144:145] op_sel:[0,0,1] op_sel_hi:[1,1,0] neg_lo:[0,0,1] neg_hi:[0,0,1]
	v_pk_fma_f32 v[140:141], v[140:141], v[130:131], v[144:145] op_sel:[0,0,1] op_sel_hi:[1,0,0]
	v_dual_mul_f32 v144, v143, v133 :: v_dual_mov_b32 v140, v143
	s_delay_alu instid0(VALU_DEP_2) | instskip(NEXT) | instid1(VALU_DEP_2)
	v_dual_mov_b32 v147, v141 :: v_dual_mov_b32 v141, v142
	v_pk_fma_f32 v[144:145], v[142:143], v[120:121], v[144:145] op_sel_hi:[1,1,0] neg_lo:[0,0,1] neg_hi:[0,0,1]
	v_mul_f32_e32 v142, v143, v130
	s_delay_alu instid0(VALU_DEP_3) | instskip(NEXT) | instid1(VALU_DEP_2)
	v_pk_add_f32 v[102:103], v[102:103], v[146:147] neg_lo:[0,1] neg_hi:[0,1]
	v_pk_fma_f32 v[140:141], v[140:141], v[120:121], v[142:143] op_sel_hi:[1,1,0]
	s_delay_alu instid0(VALU_DEP_1) | instskip(SKIP_4) | instid1(VALU_DEP_1)
	v_mov_b32_e32 v145, v141
	ds_load_2addr_b64 v[140:143], v134 offset0:38 offset1:39
	v_pk_add_f32 v[40:41], v[40:41], v[144:145] neg_lo:[0,1] neg_hi:[0,1]
	s_wait_dscnt 0x0
	v_pk_mul_f32 v[144:145], v[140:141], v[132:133] op_sel:[0,1]
	v_pk_fma_f32 v[146:147], v[140:141], v[130:131], v[144:145] op_sel:[0,0,1] op_sel_hi:[1,1,0] neg_lo:[0,0,1] neg_hi:[0,0,1]
	v_pk_fma_f32 v[140:141], v[140:141], v[130:131], v[144:145] op_sel:[0,0,1] op_sel_hi:[1,0,0]
	s_delay_alu instid0(VALU_DEP_1) | instskip(SKIP_1) | instid1(VALU_DEP_1)
	v_mov_b32_e32 v147, v141
	v_pk_mul_f32 v[140:141], v[142:143], v[132:133] op_sel:[0,1]
	v_pk_fma_f32 v[144:145], v[142:143], v[130:131], v[140:141] op_sel:[0,0,1] op_sel_hi:[1,1,0] neg_lo:[0,0,1] neg_hi:[0,0,1]
	v_pk_fma_f32 v[140:141], v[142:143], v[130:131], v[140:141] op_sel:[0,0,1] op_sel_hi:[1,0,0]
	s_delay_alu instid0(VALU_DEP_1)
	v_mov_b32_e32 v145, v141
	ds_load_2addr_b64 v[140:143], v134 offset0:40 offset1:41
	v_pk_add_f32 v[42:43], v[42:43], v[146:147] neg_lo:[0,1] neg_hi:[0,1]
	v_pk_add_f32 v[38:39], v[38:39], v[144:145] neg_lo:[0,1] neg_hi:[0,1]
	s_wait_dscnt 0x0
	v_pk_mul_f32 v[144:145], v[140:141], v[132:133] op_sel:[0,1]
	s_delay_alu instid0(VALU_DEP_1) | instskip(SKIP_1) | instid1(VALU_DEP_1)
	v_pk_fma_f32 v[146:147], v[140:141], v[130:131], v[144:145] op_sel:[0,0,1] op_sel_hi:[1,1,0] neg_lo:[0,0,1] neg_hi:[0,0,1]
	v_pk_fma_f32 v[140:141], v[140:141], v[130:131], v[144:145] op_sel:[0,0,1] op_sel_hi:[1,0,0]
	v_mov_b32_e32 v147, v141
	v_pk_mul_f32 v[140:141], v[142:143], v[132:133] op_sel:[0,1]
	s_delay_alu instid0(VALU_DEP_1) | instskip(SKIP_1) | instid1(VALU_DEP_1)
	v_pk_fma_f32 v[144:145], v[142:143], v[130:131], v[140:141] op_sel:[0,0,1] op_sel_hi:[1,1,0] neg_lo:[0,0,1] neg_hi:[0,0,1]
	v_pk_fma_f32 v[140:141], v[142:143], v[130:131], v[140:141] op_sel:[0,0,1] op_sel_hi:[1,0,0]
	v_mov_b32_e32 v145, v141
	ds_load_2addr_b64 v[140:143], v134 offset0:42 offset1:43
	v_pk_add_f32 v[100:101], v[100:101], v[146:147] neg_lo:[0,1] neg_hi:[0,1]
	v_pk_add_f32 v[32:33], v[32:33], v[144:145] neg_lo:[0,1] neg_hi:[0,1]
	s_wait_dscnt 0x0
	v_dual_mul_f32 v144, v141, v133 :: v_dual_mul_f32 v146, v141, v130
	s_delay_alu instid0(VALU_DEP_1) | instskip(NEXT) | instid1(VALU_DEP_2)
	v_pk_fma_f32 v[144:145], v[140:141], v[120:121], v[144:145] op_sel_hi:[1,1,0] neg_lo:[0,0,1] neg_hi:[0,0,1]
	v_pk_fma_f32 v[140:141], v[140:141], v[120:121], v[146:147] op_sel:[1,0,0] op_sel_hi:[0,1,0]
	s_delay_alu instid0(VALU_DEP_1) | instskip(SKIP_1) | instid1(VALU_DEP_2)
	v_mov_b32_e32 v145, v141
	v_pk_mul_f32 v[140:141], v[142:143], v[132:133] op_sel:[0,1]
	v_pk_add_f32 v[34:35], v[34:35], v[144:145] neg_lo:[0,1] neg_hi:[0,1]
	s_delay_alu instid0(VALU_DEP_2) | instskip(SKIP_1) | instid1(VALU_DEP_1)
	v_pk_fma_f32 v[144:145], v[142:143], v[130:131], v[140:141] op_sel:[0,0,1] op_sel_hi:[1,1,0] neg_lo:[0,0,1] neg_hi:[0,0,1]
	v_pk_fma_f32 v[140:141], v[142:143], v[130:131], v[140:141] op_sel:[0,0,1] op_sel_hi:[1,0,0]
	v_mov_b32_e32 v145, v141
	ds_load_2addr_b64 v[140:143], v134 offset0:44 offset1:45
	v_pk_add_f32 v[30:31], v[30:31], v[144:145] neg_lo:[0,1] neg_hi:[0,1]
	s_wait_dscnt 0x0
	v_pk_mul_f32 v[144:145], v[140:141], v[132:133] op_sel:[0,1]
	s_delay_alu instid0(VALU_DEP_1) | instskip(SKIP_1) | instid1(VALU_DEP_1)
	v_pk_fma_f32 v[146:147], v[140:141], v[130:131], v[144:145] op_sel:[0,0,1] op_sel_hi:[1,1,0] neg_lo:[0,0,1] neg_hi:[0,0,1]
	v_pk_fma_f32 v[140:141], v[140:141], v[130:131], v[144:145] op_sel:[0,0,1] op_sel_hi:[1,0,0]
	v_mov_b32_e32 v147, v141
	v_pk_mul_f32 v[140:141], v[142:143], v[132:133] op_sel:[0,1]
	s_delay_alu instid0(VALU_DEP_2) | instskip(NEXT) | instid1(VALU_DEP_2)
	v_pk_add_f32 v[98:99], v[98:99], v[146:147] neg_lo:[0,1] neg_hi:[0,1]
	v_pk_fma_f32 v[144:145], v[142:143], v[130:131], v[140:141] op_sel:[0,0,1] op_sel_hi:[1,1,0] neg_lo:[0,0,1] neg_hi:[0,0,1]
	v_pk_fma_f32 v[140:141], v[142:143], v[130:131], v[140:141] op_sel:[0,0,1] op_sel_hi:[1,0,0]
	s_delay_alu instid0(VALU_DEP_1) | instskip(SKIP_4) | instid1(VALU_DEP_1)
	v_mov_b32_e32 v145, v141
	ds_load_2addr_b64 v[140:143], v134 offset0:46 offset1:47
	v_pk_add_f32 v[24:25], v[24:25], v[144:145] neg_lo:[0,1] neg_hi:[0,1]
	s_wait_dscnt 0x0
	v_pk_mul_f32 v[144:145], v[140:141], v[132:133] op_sel:[0,1]
	v_pk_fma_f32 v[146:147], v[140:141], v[130:131], v[144:145] op_sel:[0,0,1] op_sel_hi:[1,1,0] neg_lo:[0,0,1] neg_hi:[0,0,1]
	v_pk_fma_f32 v[140:141], v[140:141], v[130:131], v[144:145] op_sel:[0,0,1] op_sel_hi:[1,0,0]
	v_dual_mul_f32 v144, v143, v133 :: v_dual_mov_b32 v140, v143
	s_delay_alu instid0(VALU_DEP_2) | instskip(NEXT) | instid1(VALU_DEP_2)
	v_dual_mov_b32 v147, v141 :: v_dual_mov_b32 v141, v142
	v_pk_fma_f32 v[144:145], v[142:143], v[120:121], v[144:145] op_sel_hi:[1,1,0] neg_lo:[0,0,1] neg_hi:[0,0,1]
	v_mul_f32_e32 v142, v143, v130
	s_delay_alu instid0(VALU_DEP_3) | instskip(NEXT) | instid1(VALU_DEP_2)
	v_pk_add_f32 v[28:29], v[28:29], v[146:147] neg_lo:[0,1] neg_hi:[0,1]
	v_pk_fma_f32 v[140:141], v[140:141], v[120:121], v[142:143] op_sel_hi:[1,1,0]
	s_delay_alu instid0(VALU_DEP_1) | instskip(SKIP_4) | instid1(VALU_DEP_1)
	v_mov_b32_e32 v145, v141
	ds_load_2addr_b64 v[140:143], v134 offset0:48 offset1:49
	v_pk_add_f32 v[22:23], v[22:23], v[144:145] neg_lo:[0,1] neg_hi:[0,1]
	s_wait_dscnt 0x0
	v_pk_mul_f32 v[144:145], v[140:141], v[132:133] op_sel:[0,1]
	v_pk_fma_f32 v[146:147], v[140:141], v[130:131], v[144:145] op_sel:[0,0,1] op_sel_hi:[1,1,0] neg_lo:[0,0,1] neg_hi:[0,0,1]
	v_pk_fma_f32 v[140:141], v[140:141], v[130:131], v[144:145] op_sel:[0,0,1] op_sel_hi:[1,0,0]
	s_delay_alu instid0(VALU_DEP_1) | instskip(SKIP_1) | instid1(VALU_DEP_1)
	v_mov_b32_e32 v147, v141
	v_pk_mul_f32 v[140:141], v[142:143], v[132:133] op_sel:[0,1]
	v_pk_fma_f32 v[144:145], v[142:143], v[130:131], v[140:141] op_sel:[0,0,1] op_sel_hi:[1,1,0] neg_lo:[0,0,1] neg_hi:[0,0,1]
	v_pk_fma_f32 v[140:141], v[142:143], v[130:131], v[140:141] op_sel:[0,0,1] op_sel_hi:[1,0,0]
	s_delay_alu instid0(VALU_DEP_1)
	v_mov_b32_e32 v145, v141
	ds_load_2addr_b64 v[140:143], v134 offset0:50 offset1:51
	v_pk_add_f32 v[96:97], v[96:97], v[146:147] neg_lo:[0,1] neg_hi:[0,1]
	v_pk_add_f32 v[18:19], v[18:19], v[144:145] neg_lo:[0,1] neg_hi:[0,1]
	s_wait_dscnt 0x0
	v_pk_mul_f32 v[144:145], v[140:141], v[132:133] op_sel:[0,1]
	s_delay_alu instid0(VALU_DEP_1) | instskip(SKIP_1) | instid1(VALU_DEP_1)
	v_pk_fma_f32 v[146:147], v[140:141], v[130:131], v[144:145] op_sel:[0,0,1] op_sel_hi:[1,1,0] neg_lo:[0,0,1] neg_hi:[0,0,1]
	v_pk_fma_f32 v[140:141], v[140:141], v[130:131], v[144:145] op_sel:[0,0,1] op_sel_hi:[1,0,0]
	v_mov_b32_e32 v147, v141
	v_pk_mul_f32 v[140:141], v[142:143], v[132:133] op_sel:[0,1]
	s_delay_alu instid0(VALU_DEP_1) | instskip(SKIP_1) | instid1(VALU_DEP_1)
	v_pk_fma_f32 v[144:145], v[142:143], v[130:131], v[140:141] op_sel:[0,0,1] op_sel_hi:[1,1,0] neg_lo:[0,0,1] neg_hi:[0,0,1]
	v_pk_fma_f32 v[140:141], v[142:143], v[130:131], v[140:141] op_sel:[0,0,1] op_sel_hi:[1,0,0]
	v_mov_b32_e32 v145, v141
	ds_load_2addr_b64 v[140:143], v134 offset0:52 offset1:53
	v_pk_add_f32 v[20:21], v[20:21], v[146:147] neg_lo:[0,1] neg_hi:[0,1]
	v_pk_add_f32 v[36:37], v[36:37], v[144:145] neg_lo:[0,1] neg_hi:[0,1]
	s_wait_dscnt 0x0
	v_dual_mul_f32 v144, v141, v133 :: v_dual_mul_f32 v146, v141, v130
	s_delay_alu instid0(VALU_DEP_1) | instskip(NEXT) | instid1(VALU_DEP_2)
	v_pk_fma_f32 v[144:145], v[140:141], v[120:121], v[144:145] op_sel_hi:[1,1,0] neg_lo:[0,0,1] neg_hi:[0,0,1]
	v_pk_fma_f32 v[140:141], v[140:141], v[120:121], v[146:147] op_sel:[1,0,0] op_sel_hi:[0,1,0]
	s_delay_alu instid0(VALU_DEP_1) | instskip(SKIP_1) | instid1(VALU_DEP_2)
	v_mov_b32_e32 v145, v141
	v_pk_mul_f32 v[140:141], v[142:143], v[132:133] op_sel:[0,1]
	v_pk_add_f32 v[86:87], v[86:87], v[144:145] neg_lo:[0,1] neg_hi:[0,1]
	s_delay_alu instid0(VALU_DEP_2) | instskip(SKIP_1) | instid1(VALU_DEP_1)
	v_pk_fma_f32 v[144:145], v[142:143], v[130:131], v[140:141] op_sel:[0,0,1] op_sel_hi:[1,1,0] neg_lo:[0,0,1] neg_hi:[0,0,1]
	v_pk_fma_f32 v[140:141], v[142:143], v[130:131], v[140:141] op_sel:[0,0,1] op_sel_hi:[1,0,0]
	v_mov_b32_e32 v145, v141
	ds_load_2addr_b64 v[140:143], v134 offset0:54 offset1:55
	v_pk_add_f32 v[10:11], v[10:11], v[144:145] neg_lo:[0,1] neg_hi:[0,1]
	s_wait_dscnt 0x0
	v_pk_mul_f32 v[144:145], v[140:141], v[132:133] op_sel:[0,1]
	s_delay_alu instid0(VALU_DEP_1) | instskip(SKIP_1) | instid1(VALU_DEP_1)
	v_pk_fma_f32 v[146:147], v[140:141], v[130:131], v[144:145] op_sel:[0,0,1] op_sel_hi:[1,1,0] neg_lo:[0,0,1] neg_hi:[0,0,1]
	v_pk_fma_f32 v[140:141], v[140:141], v[130:131], v[144:145] op_sel:[0,0,1] op_sel_hi:[1,0,0]
	v_mov_b32_e32 v147, v141
	v_pk_mul_f32 v[140:141], v[142:143], v[132:133] op_sel:[0,1]
	s_delay_alu instid0(VALU_DEP_2) | instskip(NEXT) | instid1(VALU_DEP_2)
	v_pk_add_f32 v[12:13], v[12:13], v[146:147] neg_lo:[0,1] neg_hi:[0,1]
	v_pk_fma_f32 v[144:145], v[142:143], v[130:131], v[140:141] op_sel:[0,0,1] op_sel_hi:[1,1,0] neg_lo:[0,0,1] neg_hi:[0,0,1]
	v_pk_fma_f32 v[140:141], v[142:143], v[130:131], v[140:141] op_sel:[0,0,1] op_sel_hi:[1,0,0]
	s_delay_alu instid0(VALU_DEP_1) | instskip(SKIP_4) | instid1(VALU_DEP_1)
	v_mov_b32_e32 v145, v141
	ds_load_2addr_b64 v[140:143], v134 offset0:56 offset1:57
	v_pk_add_f32 v[8:9], v[8:9], v[144:145] neg_lo:[0,1] neg_hi:[0,1]
	s_wait_dscnt 0x0
	v_pk_mul_f32 v[144:145], v[140:141], v[132:133] op_sel:[0,1]
	v_pk_fma_f32 v[146:147], v[140:141], v[130:131], v[144:145] op_sel:[0,0,1] op_sel_hi:[1,1,0] neg_lo:[0,0,1] neg_hi:[0,0,1]
	v_pk_fma_f32 v[140:141], v[140:141], v[130:131], v[144:145] op_sel:[0,0,1] op_sel_hi:[1,0,0]
	v_dual_mul_f32 v144, v143, v133 :: v_dual_mov_b32 v140, v143
	s_delay_alu instid0(VALU_DEP_2) | instskip(NEXT) | instid1(VALU_DEP_2)
	v_dual_mov_b32 v147, v141 :: v_dual_mov_b32 v141, v142
	v_pk_fma_f32 v[144:145], v[142:143], v[120:121], v[144:145] op_sel_hi:[1,1,0] neg_lo:[0,0,1] neg_hi:[0,0,1]
	v_mul_f32_e32 v142, v143, v130
	s_delay_alu instid0(VALU_DEP_3) | instskip(NEXT) | instid1(VALU_DEP_2)
	v_pk_add_f32 v[44:45], v[44:45], v[146:147] neg_lo:[0,1] neg_hi:[0,1]
	v_pk_fma_f32 v[140:141], v[140:141], v[120:121], v[142:143] op_sel_hi:[1,1,0]
	s_delay_alu instid0(VALU_DEP_1) | instskip(SKIP_4) | instid1(VALU_DEP_1)
	v_mov_b32_e32 v145, v141
	ds_load_2addr_b64 v[140:143], v134 offset0:58 offset1:59
	v_pk_add_f32 v[6:7], v[6:7], v[144:145] neg_lo:[0,1] neg_hi:[0,1]
	s_wait_dscnt 0x0
	v_pk_mul_f32 v[144:145], v[140:141], v[132:133] op_sel:[0,1]
	v_pk_fma_f32 v[146:147], v[140:141], v[130:131], v[144:145] op_sel:[0,0,1] op_sel_hi:[1,1,0] neg_lo:[0,0,1] neg_hi:[0,0,1]
	v_pk_fma_f32 v[140:141], v[140:141], v[130:131], v[144:145] op_sel:[0,0,1] op_sel_hi:[1,0,0]
	s_delay_alu instid0(VALU_DEP_1) | instskip(SKIP_1) | instid1(VALU_DEP_1)
	v_mov_b32_e32 v147, v141
	v_pk_mul_f32 v[140:141], v[142:143], v[132:133] op_sel:[0,1]
	v_pk_fma_f32 v[144:145], v[142:143], v[130:131], v[140:141] op_sel:[0,0,1] op_sel_hi:[1,1,0] neg_lo:[0,0,1] neg_hi:[0,0,1]
	v_pk_fma_f32 v[140:141], v[142:143], v[130:131], v[140:141] op_sel:[0,0,1] op_sel_hi:[1,0,0]
	s_delay_alu instid0(VALU_DEP_1)
	v_mov_b32_e32 v145, v141
	ds_load_2addr_b64 v[140:143], v134 offset0:60 offset1:61
	v_pk_add_f32 v[26:27], v[26:27], v[146:147] neg_lo:[0,1] neg_hi:[0,1]
	v_pk_add_f32 v[16:17], v[16:17], v[144:145] neg_lo:[0,1] neg_hi:[0,1]
	s_wait_dscnt 0x0
	v_pk_mul_f32 v[144:145], v[140:141], v[132:133] op_sel:[0,1]
	v_pk_mul_f32 v[132:133], v[142:143], v[132:133] op_sel:[0,1]
	s_delay_alu instid0(VALU_DEP_2) | instskip(SKIP_1) | instid1(VALU_DEP_1)
	v_pk_fma_f32 v[146:147], v[140:141], v[130:131], v[144:145] op_sel:[0,0,1] op_sel_hi:[1,1,0] neg_lo:[0,0,1] neg_hi:[0,0,1]
	v_pk_fma_f32 v[140:141], v[140:141], v[130:131], v[144:145] op_sel:[0,0,1] op_sel_hi:[1,0,0]
	v_mov_b32_e32 v147, v141
	s_delay_alu instid0(VALU_DEP_4) | instskip(SKIP_1) | instid1(VALU_DEP_1)
	v_pk_fma_f32 v[140:141], v[142:143], v[130:131], v[132:133] op_sel:[0,0,1] op_sel_hi:[1,1,0] neg_lo:[0,0,1] neg_hi:[0,0,1]
	v_pk_fma_f32 v[130:131], v[142:143], v[130:131], v[132:133] op_sel:[0,0,1] op_sel_hi:[1,0,0]
	v_mov_b32_e32 v141, v131
	s_delay_alu instid0(VALU_DEP_4) | instskip(NEXT) | instid1(VALU_DEP_2)
	v_pk_add_f32 v[14:15], v[14:15], v[146:147] neg_lo:[0,1] neg_hi:[0,1]
	v_pk_add_f32 v[128:129], v[128:129], v[140:141] neg_lo:[0,1] neg_hi:[0,1]
.LBB122_83:
	s_or_b32 exec_lo, exec_lo, s0
	v_lshl_add_u32 v130, v138, 3, v134
	s_barrier_signal -1
	s_barrier_wait -1
	ds_store_b64 v130, v[118:119]
	s_wait_dscnt 0x0
	s_barrier_signal -1
	s_barrier_wait -1
	ds_load_b64 v[132:133], v134 offset:32
	v_mov_b32_e32 v130, 4
	s_cmp_lt_i32 s18, 6
	s_cbranch_scc1 .LBB122_86
; %bb.84:
	v_add3_u32 v131, v135, 0, 40
	v_mov_b32_e32 v130, 4
	s_mov_b32 s0, 5
.LBB122_85:                             ; =>This Inner Loop Header: Depth=1
	ds_load_b64 v[140:141], v131
	s_wait_dscnt 0x1
	v_cmp_gt_f32_e32 vcc_lo, 0, v132
	v_cndmask_b32_e64 v142, v132, -v132, vcc_lo
	v_cmp_gt_f32_e32 vcc_lo, 0, v133
	v_cndmask_b32_e64 v144, v133, -v133, vcc_lo
	s_wait_dscnt 0x0
	v_cmp_gt_f32_e32 vcc_lo, 0, v140
	v_cndmask_b32_e64 v143, v140, -v140, vcc_lo
	v_cmp_gt_f32_e32 vcc_lo, 0, v141
	v_cndmask_b32_e64 v145, v141, -v141, vcc_lo
	s_delay_alu instid0(VALU_DEP_1) | instskip(NEXT) | instid1(VALU_DEP_1)
	v_pk_add_f32 v[142:143], v[142:143], v[144:145]
	v_cmp_lt_f32_e32 vcc_lo, v142, v143
	v_dual_add_nc_u32 v131, 8, v131 :: v_dual_cndmask_b32 v133, v133, v141, vcc_lo
	v_cndmask_b32_e32 v132, v132, v140, vcc_lo
	v_cndmask_b32_e64 v130, v130, s0, vcc_lo
	s_add_co_i32 s0, s0, 1
	s_delay_alu instid0(SALU_CYCLE_1)
	s_cmp_lg_u32 s18, s0
	s_cbranch_scc1 .LBB122_85
.LBB122_86:
	s_wait_dscnt 0x0
	v_cmp_eq_f32_e32 vcc_lo, 0, v132
	v_cmp_eq_f32_e64 s0, 0, v133
	s_and_b32 s0, vcc_lo, s0
	s_delay_alu instid0(SALU_CYCLE_1) | instskip(NEXT) | instid1(SALU_CYCLE_1)
	s_and_saveexec_b32 s1, s0
	s_xor_b32 s0, exec_lo, s1
; %bb.87:
	v_cmp_ne_u32_e32 vcc_lo, 0, v136
	v_cndmask_b32_e32 v136, 5, v136, vcc_lo
; %bb.88:
	s_and_not1_saveexec_b32 s0, s0
	s_cbranch_execz .LBB122_94
; %bb.89:
	v_cmp_ngt_f32_e64 s1, |v132|, |v133|
	s_and_saveexec_b32 s12, s1
	s_delay_alu instid0(SALU_CYCLE_1)
	s_xor_b32 s1, exec_lo, s12
	s_cbranch_execz .LBB122_91
; %bb.90:
	v_div_scale_f32 v131, null, v133, v133, v132
	v_div_scale_f32 v141, vcc_lo, v132, v133, v132
	s_delay_alu instid0(VALU_DEP_2) | instskip(SKIP_1) | instid1(TRANS32_DEP_1)
	v_rcp_f32_e32 v139, v131
	v_nop
	v_fma_f32 v140, -v131, v139, 1.0
	s_delay_alu instid0(VALU_DEP_1) | instskip(NEXT) | instid1(VALU_DEP_1)
	v_fmac_f32_e32 v139, v140, v139
	v_mul_f32_e32 v140, v141, v139
	s_delay_alu instid0(VALU_DEP_1) | instskip(NEXT) | instid1(VALU_DEP_1)
	v_fma_f32 v142, -v131, v140, v141
	v_fmac_f32_e32 v140, v142, v139
	s_delay_alu instid0(VALU_DEP_1) | instskip(NEXT) | instid1(VALU_DEP_1)
	v_fma_f32 v131, -v131, v140, v141
	v_div_fmas_f32 v131, v131, v139, v140
	s_delay_alu instid0(VALU_DEP_1) | instskip(NEXT) | instid1(VALU_DEP_1)
	v_div_fixup_f32 v131, v131, v133, v132
	v_fmac_f32_e32 v133, v132, v131
	s_delay_alu instid0(VALU_DEP_1) | instskip(SKIP_1) | instid1(VALU_DEP_2)
	v_div_scale_f32 v132, null, v133, v133, 1.0
	v_div_scale_f32 v141, vcc_lo, 1.0, v133, 1.0
	v_rcp_f32_e32 v139, v132
	v_nop
	s_delay_alu instid0(TRANS32_DEP_1) | instskip(NEXT) | instid1(VALU_DEP_1)
	v_fma_f32 v140, -v132, v139, 1.0
	v_fmac_f32_e32 v139, v140, v139
	s_delay_alu instid0(VALU_DEP_1) | instskip(NEXT) | instid1(VALU_DEP_1)
	v_mul_f32_e32 v140, v141, v139
	v_fma_f32 v142, -v132, v140, v141
	s_delay_alu instid0(VALU_DEP_1) | instskip(NEXT) | instid1(VALU_DEP_1)
	v_fmac_f32_e32 v140, v142, v139
	v_fma_f32 v132, -v132, v140, v141
	s_delay_alu instid0(VALU_DEP_1) | instskip(NEXT) | instid1(VALU_DEP_1)
	v_div_fmas_f32 v132, v132, v139, v140
	v_div_fixup_f32 v133, v132, v133, 1.0
	s_delay_alu instid0(VALU_DEP_1)
	v_mul_f32_e32 v132, v131, v133
	v_xor_b32_e32 v133, 0x80000000, v133
.LBB122_91:
	s_and_not1_saveexec_b32 s1, s1
	s_cbranch_execz .LBB122_93
; %bb.92:
	s_delay_alu instid0(VALU_DEP_1) | instskip(SKIP_1) | instid1(VALU_DEP_2)
	v_div_scale_f32 v131, null, v132, v132, v133
	v_div_scale_f32 v141, vcc_lo, v133, v132, v133
	v_rcp_f32_e32 v139, v131
	v_nop
	s_delay_alu instid0(TRANS32_DEP_1) | instskip(NEXT) | instid1(VALU_DEP_1)
	v_fma_f32 v140, -v131, v139, 1.0
	v_fmac_f32_e32 v139, v140, v139
	s_delay_alu instid0(VALU_DEP_1) | instskip(NEXT) | instid1(VALU_DEP_1)
	v_mul_f32_e32 v140, v141, v139
	v_fma_f32 v142, -v131, v140, v141
	s_delay_alu instid0(VALU_DEP_1) | instskip(NEXT) | instid1(VALU_DEP_1)
	v_fmac_f32_e32 v140, v142, v139
	v_fma_f32 v131, -v131, v140, v141
	s_delay_alu instid0(VALU_DEP_1) | instskip(NEXT) | instid1(VALU_DEP_1)
	v_div_fmas_f32 v131, v131, v139, v140
	v_div_fixup_f32 v131, v131, v132, v133
	s_delay_alu instid0(VALU_DEP_1) | instskip(NEXT) | instid1(VALU_DEP_1)
	v_fmac_f32_e32 v132, v133, v131
	v_div_scale_f32 v133, null, v132, v132, 1.0
	s_delay_alu instid0(VALU_DEP_1) | instskip(SKIP_1) | instid1(TRANS32_DEP_1)
	v_rcp_f32_e32 v139, v133
	v_nop
	v_fma_f32 v140, -v133, v139, 1.0
	s_delay_alu instid0(VALU_DEP_1) | instskip(SKIP_1) | instid1(VALU_DEP_1)
	v_fmac_f32_e32 v139, v140, v139
	v_div_scale_f32 v140, vcc_lo, 1.0, v132, 1.0
	v_mul_f32_e32 v141, v140, v139
	s_delay_alu instid0(VALU_DEP_1) | instskip(NEXT) | instid1(VALU_DEP_1)
	v_fma_f32 v142, -v133, v141, v140
	v_fmac_f32_e32 v141, v142, v139
	s_delay_alu instid0(VALU_DEP_1) | instskip(NEXT) | instid1(VALU_DEP_1)
	v_fma_f32 v133, -v133, v141, v140
	v_div_fmas_f32 v133, v133, v139, v141
	s_delay_alu instid0(VALU_DEP_1) | instskip(NEXT) | instid1(VALU_DEP_1)
	v_div_fixup_f32 v132, v133, v132, 1.0
	v_mul_f32_e64 v133, v131, -v132
.LBB122_93:
	s_or_b32 exec_lo, exec_lo, s1
.LBB122_94:
	s_delay_alu instid0(SALU_CYCLE_1) | instskip(NEXT) | instid1(SALU_CYCLE_1)
	s_or_b32 exec_lo, exec_lo, s0
	s_mov_b32 s0, exec_lo
	v_cmpx_ne_u32_e64 v138, v130
	s_xor_b32 s0, exec_lo, s0
	s_cbranch_execz .LBB122_100
; %bb.95:
	s_mov_b32 s1, exec_lo
	v_cmpx_eq_u32_e32 4, v138
	s_cbranch_execz .LBB122_99
; %bb.96:
	v_cmp_ne_u32_e32 vcc_lo, 4, v130
	s_xor_b32 s12, s16, -1
	s_delay_alu instid0(SALU_CYCLE_1) | instskip(NEXT) | instid1(SALU_CYCLE_1)
	s_and_b32 s13, s12, vcc_lo
	s_and_saveexec_b32 s12, s13
	s_cbranch_execz .LBB122_98
; %bb.97:
	v_ashrrev_i32_e32 v131, 31, v130
	s_delay_alu instid0(VALU_DEP_1)
	v_lshl_add_u64 v[138:139], v[130:131], 2, v[4:5]
	s_clause 0x1
	global_load_b32 v131, v[138:139], off
	global_load_b32 v137, v[4:5], off offset:16
	s_wait_loadcnt 0x1
	global_store_b32 v[4:5], v131, off offset:16
	s_wait_loadcnt 0x0
	global_store_b32 v[138:139], v137, off
.LBB122_98:
	s_wait_xcnt 0x0
	s_or_b32 exec_lo, exec_lo, s12
	v_dual_mov_b32 v138, v130 :: v_dual_mov_b32 v137, v130
.LBB122_99:
	s_or_b32 exec_lo, exec_lo, s1
.LBB122_100:
	s_and_not1_saveexec_b32 s0, s0
	s_cbranch_execz .LBB122_102
; %bb.101:
	v_mov_b32_e32 v138, 4
	ds_store_2addr_b64 v134, v[92:93], v[94:95] offset0:5 offset1:6
	ds_store_2addr_b64 v134, v[90:91], v[116:117] offset0:7 offset1:8
	;; [unrolled: 1-line block ×28, first 2 shown]
	ds_store_b64 v134, v[128:129] offset:488
.LBB122_102:
	s_or_b32 exec_lo, exec_lo, s0
	s_delay_alu instid0(SALU_CYCLE_1)
	s_mov_b32 s0, exec_lo
	s_wait_storecnt_dscnt 0x0
	s_barrier_signal -1
	s_barrier_wait -1
	v_cmpx_lt_i32_e32 4, v138
	s_cbranch_execz .LBB122_104
; %bb.103:
	v_pk_mul_f32 v[140:141], v[132:133], v[118:119] op_sel:[1,1] op_sel_hi:[0,1]
	s_delay_alu instid0(VALU_DEP_1)
	v_pk_fma_f32 v[130:131], v[132:133], v[118:119], v[140:141] op_sel_hi:[1,0,1] neg_lo:[0,0,1] neg_hi:[0,0,1]
	v_pk_fma_f32 v[132:133], v[132:133], v[118:119], v[140:141] op_sel_hi:[1,0,1]
	ds_load_2addr_b64 v[140:143], v134 offset0:5 offset1:6
	v_dual_mov_b32 v118, v130 :: v_dual_mov_b32 v119, v133
	s_wait_dscnt 0x0
	v_pk_mul_f32 v[144:145], v[140:141], v[132:133] op_sel:[0,1]
	s_delay_alu instid0(VALU_DEP_1) | instskip(SKIP_1) | instid1(VALU_DEP_1)
	v_pk_fma_f32 v[146:147], v[140:141], v[130:131], v[144:145] op_sel:[0,0,1] op_sel_hi:[1,1,0] neg_lo:[0,0,1] neg_hi:[0,0,1]
	v_pk_fma_f32 v[140:141], v[140:141], v[130:131], v[144:145] op_sel:[0,0,1] op_sel_hi:[1,0,0]
	v_mov_b32_e32 v147, v141
	v_pk_mul_f32 v[140:141], v[142:143], v[132:133] op_sel:[0,1]
	s_delay_alu instid0(VALU_DEP_1) | instskip(SKIP_1) | instid1(VALU_DEP_1)
	v_pk_fma_f32 v[144:145], v[142:143], v[130:131], v[140:141] op_sel:[0,0,1] op_sel_hi:[1,1,0] neg_lo:[0,0,1] neg_hi:[0,0,1]
	v_pk_fma_f32 v[140:141], v[142:143], v[130:131], v[140:141] op_sel:[0,0,1] op_sel_hi:[1,0,0]
	v_mov_b32_e32 v145, v141
	ds_load_2addr_b64 v[140:143], v134 offset0:7 offset1:8
	v_pk_add_f32 v[92:93], v[92:93], v[146:147] neg_lo:[0,1] neg_hi:[0,1]
	v_pk_add_f32 v[94:95], v[94:95], v[144:145] neg_lo:[0,1] neg_hi:[0,1]
	s_wait_dscnt 0x0
	v_pk_mul_f32 v[144:145], v[140:141], v[132:133] op_sel:[0,1]
	s_delay_alu instid0(VALU_DEP_1) | instskip(SKIP_2) | instid1(VALU_DEP_2)
	v_pk_fma_f32 v[146:147], v[140:141], v[130:131], v[144:145] op_sel:[0,0,1] op_sel_hi:[1,1,0] neg_lo:[0,0,1] neg_hi:[0,0,1]
	v_pk_fma_f32 v[140:141], v[140:141], v[130:131], v[144:145] op_sel:[0,0,1] op_sel_hi:[1,0,0]
	v_dual_mul_f32 v144, v143, v133 :: v_dual_mov_b32 v140, v143
	v_dual_mov_b32 v147, v141 :: v_dual_mov_b32 v141, v142
	s_delay_alu instid0(VALU_DEP_2) | instskip(SKIP_1) | instid1(VALU_DEP_3)
	v_pk_fma_f32 v[144:145], v[142:143], v[118:119], v[144:145] op_sel_hi:[1,1,0] neg_lo:[0,0,1] neg_hi:[0,0,1]
	v_mul_f32_e32 v142, v143, v130
	v_pk_add_f32 v[90:91], v[90:91], v[146:147] neg_lo:[0,1] neg_hi:[0,1]
	s_delay_alu instid0(VALU_DEP_2) | instskip(NEXT) | instid1(VALU_DEP_1)
	v_pk_fma_f32 v[140:141], v[140:141], v[118:119], v[142:143] op_sel_hi:[1,1,0]
	v_mov_b32_e32 v145, v141
	ds_load_2addr_b64 v[140:143], v134 offset0:9 offset1:10
	v_pk_add_f32 v[116:117], v[116:117], v[144:145] neg_lo:[0,1] neg_hi:[0,1]
	s_wait_dscnt 0x0
	v_pk_mul_f32 v[144:145], v[140:141], v[132:133] op_sel:[0,1]
	s_delay_alu instid0(VALU_DEP_1) | instskip(SKIP_1) | instid1(VALU_DEP_1)
	v_pk_fma_f32 v[146:147], v[140:141], v[130:131], v[144:145] op_sel:[0,0,1] op_sel_hi:[1,1,0] neg_lo:[0,0,1] neg_hi:[0,0,1]
	v_pk_fma_f32 v[140:141], v[140:141], v[130:131], v[144:145] op_sel:[0,0,1] op_sel_hi:[1,0,0]
	v_mov_b32_e32 v147, v141
	v_pk_mul_f32 v[140:141], v[142:143], v[132:133] op_sel:[0,1]
	s_delay_alu instid0(VALU_DEP_1) | instskip(SKIP_1) | instid1(VALU_DEP_1)
	v_pk_fma_f32 v[144:145], v[142:143], v[130:131], v[140:141] op_sel:[0,0,1] op_sel_hi:[1,1,0] neg_lo:[0,0,1] neg_hi:[0,0,1]
	v_pk_fma_f32 v[140:141], v[142:143], v[130:131], v[140:141] op_sel:[0,0,1] op_sel_hi:[1,0,0]
	v_mov_b32_e32 v145, v141
	ds_load_2addr_b64 v[140:143], v134 offset0:11 offset1:12
	v_pk_add_f32 v[84:85], v[84:85], v[146:147] neg_lo:[0,1] neg_hi:[0,1]
	v_pk_add_f32 v[88:89], v[88:89], v[144:145] neg_lo:[0,1] neg_hi:[0,1]
	s_wait_dscnt 0x0
	v_pk_mul_f32 v[144:145], v[140:141], v[132:133] op_sel:[0,1]
	s_delay_alu instid0(VALU_DEP_1) | instskip(SKIP_1) | instid1(VALU_DEP_1)
	v_pk_fma_f32 v[146:147], v[140:141], v[130:131], v[144:145] op_sel:[0,0,1] op_sel_hi:[1,1,0] neg_lo:[0,0,1] neg_hi:[0,0,1]
	v_pk_fma_f32 v[140:141], v[140:141], v[130:131], v[144:145] op_sel:[0,0,1] op_sel_hi:[1,0,0]
	v_mov_b32_e32 v147, v141
	v_pk_mul_f32 v[140:141], v[142:143], v[132:133] op_sel:[0,1]
	s_delay_alu instid0(VALU_DEP_1) | instskip(SKIP_1) | instid1(VALU_DEP_1)
	v_pk_fma_f32 v[144:145], v[142:143], v[130:131], v[140:141] op_sel:[0,0,1] op_sel_hi:[1,1,0] neg_lo:[0,0,1] neg_hi:[0,0,1]
	v_pk_fma_f32 v[140:141], v[142:143], v[130:131], v[140:141] op_sel:[0,0,1] op_sel_hi:[1,0,0]
	v_mov_b32_e32 v145, v141
	ds_load_2addr_b64 v[140:143], v134 offset0:13 offset1:14
	v_pk_add_f32 v[82:83], v[82:83], v[146:147] neg_lo:[0,1] neg_hi:[0,1]
	v_pk_add_f32 v[114:115], v[114:115], v[144:145] neg_lo:[0,1] neg_hi:[0,1]
	s_wait_dscnt 0x0
	v_dual_mul_f32 v144, v141, v133 :: v_dual_mul_f32 v146, v141, v130
	s_delay_alu instid0(VALU_DEP_1) | instskip(NEXT) | instid1(VALU_DEP_2)
	v_pk_fma_f32 v[144:145], v[140:141], v[118:119], v[144:145] op_sel_hi:[1,1,0] neg_lo:[0,0,1] neg_hi:[0,0,1]
	v_pk_fma_f32 v[140:141], v[140:141], v[118:119], v[146:147] op_sel:[1,0,0] op_sel_hi:[0,1,0]
	s_delay_alu instid0(VALU_DEP_1) | instskip(SKIP_1) | instid1(VALU_DEP_2)
	v_mov_b32_e32 v145, v141
	v_pk_mul_f32 v[140:141], v[142:143], v[132:133] op_sel:[0,1]
	v_pk_add_f32 v[78:79], v[78:79], v[144:145] neg_lo:[0,1] neg_hi:[0,1]
	s_delay_alu instid0(VALU_DEP_2) | instskip(SKIP_1) | instid1(VALU_DEP_1)
	v_pk_fma_f32 v[144:145], v[142:143], v[130:131], v[140:141] op_sel:[0,0,1] op_sel_hi:[1,1,0] neg_lo:[0,0,1] neg_hi:[0,0,1]
	v_pk_fma_f32 v[140:141], v[142:143], v[130:131], v[140:141] op_sel:[0,0,1] op_sel_hi:[1,0,0]
	v_mov_b32_e32 v145, v141
	ds_load_2addr_b64 v[140:143], v134 offset0:15 offset1:16
	v_pk_add_f32 v[80:81], v[80:81], v[144:145] neg_lo:[0,1] neg_hi:[0,1]
	s_wait_dscnt 0x0
	v_pk_mul_f32 v[144:145], v[140:141], v[132:133] op_sel:[0,1]
	s_delay_alu instid0(VALU_DEP_1) | instskip(SKIP_1) | instid1(VALU_DEP_1)
	v_pk_fma_f32 v[146:147], v[140:141], v[130:131], v[144:145] op_sel:[0,0,1] op_sel_hi:[1,1,0] neg_lo:[0,0,1] neg_hi:[0,0,1]
	v_pk_fma_f32 v[140:141], v[140:141], v[130:131], v[144:145] op_sel:[0,0,1] op_sel_hi:[1,0,0]
	v_mov_b32_e32 v147, v141
	v_pk_mul_f32 v[140:141], v[142:143], v[132:133] op_sel:[0,1]
	s_delay_alu instid0(VALU_DEP_2) | instskip(NEXT) | instid1(VALU_DEP_2)
	v_pk_add_f32 v[76:77], v[76:77], v[146:147] neg_lo:[0,1] neg_hi:[0,1]
	v_pk_fma_f32 v[144:145], v[142:143], v[130:131], v[140:141] op_sel:[0,0,1] op_sel_hi:[1,1,0] neg_lo:[0,0,1] neg_hi:[0,0,1]
	v_pk_fma_f32 v[140:141], v[142:143], v[130:131], v[140:141] op_sel:[0,0,1] op_sel_hi:[1,0,0]
	s_delay_alu instid0(VALU_DEP_1) | instskip(SKIP_4) | instid1(VALU_DEP_1)
	v_mov_b32_e32 v145, v141
	ds_load_2addr_b64 v[140:143], v134 offset0:17 offset1:18
	v_pk_add_f32 v[112:113], v[112:113], v[144:145] neg_lo:[0,1] neg_hi:[0,1]
	s_wait_dscnt 0x0
	v_pk_mul_f32 v[144:145], v[140:141], v[132:133] op_sel:[0,1]
	v_pk_fma_f32 v[146:147], v[140:141], v[130:131], v[144:145] op_sel:[0,0,1] op_sel_hi:[1,1,0] neg_lo:[0,0,1] neg_hi:[0,0,1]
	v_pk_fma_f32 v[140:141], v[140:141], v[130:131], v[144:145] op_sel:[0,0,1] op_sel_hi:[1,0,0]
	v_dual_mul_f32 v144, v143, v133 :: v_dual_mov_b32 v140, v143
	s_delay_alu instid0(VALU_DEP_2) | instskip(NEXT) | instid1(VALU_DEP_2)
	v_dual_mov_b32 v147, v141 :: v_dual_mov_b32 v141, v142
	v_pk_fma_f32 v[144:145], v[142:143], v[118:119], v[144:145] op_sel_hi:[1,1,0] neg_lo:[0,0,1] neg_hi:[0,0,1]
	v_mul_f32_e32 v142, v143, v130
	s_delay_alu instid0(VALU_DEP_3) | instskip(NEXT) | instid1(VALU_DEP_2)
	v_pk_add_f32 v[72:73], v[72:73], v[146:147] neg_lo:[0,1] neg_hi:[0,1]
	v_pk_fma_f32 v[140:141], v[140:141], v[118:119], v[142:143] op_sel_hi:[1,1,0]
	s_delay_alu instid0(VALU_DEP_1) | instskip(SKIP_4) | instid1(VALU_DEP_1)
	v_mov_b32_e32 v145, v141
	ds_load_2addr_b64 v[140:143], v134 offset0:19 offset1:20
	v_pk_add_f32 v[74:75], v[74:75], v[144:145] neg_lo:[0,1] neg_hi:[0,1]
	s_wait_dscnt 0x0
	v_pk_mul_f32 v[144:145], v[140:141], v[132:133] op_sel:[0,1]
	v_pk_fma_f32 v[146:147], v[140:141], v[130:131], v[144:145] op_sel:[0,0,1] op_sel_hi:[1,1,0] neg_lo:[0,0,1] neg_hi:[0,0,1]
	v_pk_fma_f32 v[140:141], v[140:141], v[130:131], v[144:145] op_sel:[0,0,1] op_sel_hi:[1,0,0]
	s_delay_alu instid0(VALU_DEP_1) | instskip(SKIP_1) | instid1(VALU_DEP_1)
	v_mov_b32_e32 v147, v141
	v_pk_mul_f32 v[140:141], v[142:143], v[132:133] op_sel:[0,1]
	v_pk_fma_f32 v[144:145], v[142:143], v[130:131], v[140:141] op_sel:[0,0,1] op_sel_hi:[1,1,0] neg_lo:[0,0,1] neg_hi:[0,0,1]
	v_pk_fma_f32 v[140:141], v[142:143], v[130:131], v[140:141] op_sel:[0,0,1] op_sel_hi:[1,0,0]
	s_delay_alu instid0(VALU_DEP_1)
	v_mov_b32_e32 v145, v141
	ds_load_2addr_b64 v[140:143], v134 offset0:21 offset1:22
	v_pk_add_f32 v[70:71], v[70:71], v[146:147] neg_lo:[0,1] neg_hi:[0,1]
	v_pk_add_f32 v[110:111], v[110:111], v[144:145] neg_lo:[0,1] neg_hi:[0,1]
	s_wait_dscnt 0x0
	v_pk_mul_f32 v[144:145], v[140:141], v[132:133] op_sel:[0,1]
	s_delay_alu instid0(VALU_DEP_1) | instskip(SKIP_1) | instid1(VALU_DEP_1)
	v_pk_fma_f32 v[146:147], v[140:141], v[130:131], v[144:145] op_sel:[0,0,1] op_sel_hi:[1,1,0] neg_lo:[0,0,1] neg_hi:[0,0,1]
	v_pk_fma_f32 v[140:141], v[140:141], v[130:131], v[144:145] op_sel:[0,0,1] op_sel_hi:[1,0,0]
	v_mov_b32_e32 v147, v141
	v_pk_mul_f32 v[140:141], v[142:143], v[132:133] op_sel:[0,1]
	s_delay_alu instid0(VALU_DEP_1) | instskip(SKIP_1) | instid1(VALU_DEP_1)
	v_pk_fma_f32 v[144:145], v[142:143], v[130:131], v[140:141] op_sel:[0,0,1] op_sel_hi:[1,1,0] neg_lo:[0,0,1] neg_hi:[0,0,1]
	v_pk_fma_f32 v[140:141], v[142:143], v[130:131], v[140:141] op_sel:[0,0,1] op_sel_hi:[1,0,0]
	v_mov_b32_e32 v145, v141
	ds_load_2addr_b64 v[140:143], v134 offset0:23 offset1:24
	v_pk_add_f32 v[66:67], v[66:67], v[146:147] neg_lo:[0,1] neg_hi:[0,1]
	v_pk_add_f32 v[68:69], v[68:69], v[144:145] neg_lo:[0,1] neg_hi:[0,1]
	s_wait_dscnt 0x0
	v_dual_mul_f32 v144, v141, v133 :: v_dual_mul_f32 v146, v141, v130
	s_delay_alu instid0(VALU_DEP_1) | instskip(NEXT) | instid1(VALU_DEP_2)
	v_pk_fma_f32 v[144:145], v[140:141], v[118:119], v[144:145] op_sel_hi:[1,1,0] neg_lo:[0,0,1] neg_hi:[0,0,1]
	v_pk_fma_f32 v[140:141], v[140:141], v[118:119], v[146:147] op_sel:[1,0,0] op_sel_hi:[0,1,0]
	s_delay_alu instid0(VALU_DEP_1) | instskip(SKIP_1) | instid1(VALU_DEP_2)
	v_mov_b32_e32 v145, v141
	v_pk_mul_f32 v[140:141], v[142:143], v[132:133] op_sel:[0,1]
	v_pk_add_f32 v[64:65], v[64:65], v[144:145] neg_lo:[0,1] neg_hi:[0,1]
	s_delay_alu instid0(VALU_DEP_2) | instskip(SKIP_1) | instid1(VALU_DEP_1)
	v_pk_fma_f32 v[144:145], v[142:143], v[130:131], v[140:141] op_sel:[0,0,1] op_sel_hi:[1,1,0] neg_lo:[0,0,1] neg_hi:[0,0,1]
	v_pk_fma_f32 v[140:141], v[142:143], v[130:131], v[140:141] op_sel:[0,0,1] op_sel_hi:[1,0,0]
	v_mov_b32_e32 v145, v141
	ds_load_2addr_b64 v[140:143], v134 offset0:25 offset1:26
	v_pk_add_f32 v[108:109], v[108:109], v[144:145] neg_lo:[0,1] neg_hi:[0,1]
	s_wait_dscnt 0x0
	v_pk_mul_f32 v[144:145], v[140:141], v[132:133] op_sel:[0,1]
	s_delay_alu instid0(VALU_DEP_1) | instskip(SKIP_1) | instid1(VALU_DEP_1)
	v_pk_fma_f32 v[146:147], v[140:141], v[130:131], v[144:145] op_sel:[0,0,1] op_sel_hi:[1,1,0] neg_lo:[0,0,1] neg_hi:[0,0,1]
	v_pk_fma_f32 v[140:141], v[140:141], v[130:131], v[144:145] op_sel:[0,0,1] op_sel_hi:[1,0,0]
	v_mov_b32_e32 v147, v141
	v_pk_mul_f32 v[140:141], v[142:143], v[132:133] op_sel:[0,1]
	s_delay_alu instid0(VALU_DEP_2) | instskip(NEXT) | instid1(VALU_DEP_2)
	v_pk_add_f32 v[60:61], v[60:61], v[146:147] neg_lo:[0,1] neg_hi:[0,1]
	v_pk_fma_f32 v[144:145], v[142:143], v[130:131], v[140:141] op_sel:[0,0,1] op_sel_hi:[1,1,0] neg_lo:[0,0,1] neg_hi:[0,0,1]
	v_pk_fma_f32 v[140:141], v[142:143], v[130:131], v[140:141] op_sel:[0,0,1] op_sel_hi:[1,0,0]
	s_delay_alu instid0(VALU_DEP_1) | instskip(SKIP_4) | instid1(VALU_DEP_1)
	v_mov_b32_e32 v145, v141
	ds_load_2addr_b64 v[140:143], v134 offset0:27 offset1:28
	v_pk_add_f32 v[62:63], v[62:63], v[144:145] neg_lo:[0,1] neg_hi:[0,1]
	s_wait_dscnt 0x0
	v_pk_mul_f32 v[144:145], v[140:141], v[132:133] op_sel:[0,1]
	v_pk_fma_f32 v[146:147], v[140:141], v[130:131], v[144:145] op_sel:[0,0,1] op_sel_hi:[1,1,0] neg_lo:[0,0,1] neg_hi:[0,0,1]
	v_pk_fma_f32 v[140:141], v[140:141], v[130:131], v[144:145] op_sel:[0,0,1] op_sel_hi:[1,0,0]
	v_dual_mul_f32 v144, v143, v133 :: v_dual_mov_b32 v140, v143
	s_delay_alu instid0(VALU_DEP_2) | instskip(NEXT) | instid1(VALU_DEP_2)
	v_dual_mov_b32 v147, v141 :: v_dual_mov_b32 v141, v142
	v_pk_fma_f32 v[144:145], v[142:143], v[118:119], v[144:145] op_sel_hi:[1,1,0] neg_lo:[0,0,1] neg_hi:[0,0,1]
	v_mul_f32_e32 v142, v143, v130
	s_delay_alu instid0(VALU_DEP_3) | instskip(NEXT) | instid1(VALU_DEP_2)
	v_pk_add_f32 v[58:59], v[58:59], v[146:147] neg_lo:[0,1] neg_hi:[0,1]
	v_pk_fma_f32 v[140:141], v[140:141], v[118:119], v[142:143] op_sel_hi:[1,1,0]
	s_delay_alu instid0(VALU_DEP_1) | instskip(SKIP_4) | instid1(VALU_DEP_1)
	v_mov_b32_e32 v145, v141
	ds_load_2addr_b64 v[140:143], v134 offset0:29 offset1:30
	v_pk_add_f32 v[106:107], v[106:107], v[144:145] neg_lo:[0,1] neg_hi:[0,1]
	s_wait_dscnt 0x0
	v_pk_mul_f32 v[144:145], v[140:141], v[132:133] op_sel:[0,1]
	v_pk_fma_f32 v[146:147], v[140:141], v[130:131], v[144:145] op_sel:[0,0,1] op_sel_hi:[1,1,0] neg_lo:[0,0,1] neg_hi:[0,0,1]
	v_pk_fma_f32 v[140:141], v[140:141], v[130:131], v[144:145] op_sel:[0,0,1] op_sel_hi:[1,0,0]
	s_delay_alu instid0(VALU_DEP_1) | instskip(SKIP_1) | instid1(VALU_DEP_1)
	v_mov_b32_e32 v147, v141
	v_pk_mul_f32 v[140:141], v[142:143], v[132:133] op_sel:[0,1]
	v_pk_fma_f32 v[144:145], v[142:143], v[130:131], v[140:141] op_sel:[0,0,1] op_sel_hi:[1,1,0] neg_lo:[0,0,1] neg_hi:[0,0,1]
	v_pk_fma_f32 v[140:141], v[142:143], v[130:131], v[140:141] op_sel:[0,0,1] op_sel_hi:[1,0,0]
	s_delay_alu instid0(VALU_DEP_1)
	v_mov_b32_e32 v145, v141
	ds_load_2addr_b64 v[140:143], v134 offset0:31 offset1:32
	v_pk_add_f32 v[54:55], v[54:55], v[146:147] neg_lo:[0,1] neg_hi:[0,1]
	v_pk_add_f32 v[56:57], v[56:57], v[144:145] neg_lo:[0,1] neg_hi:[0,1]
	s_wait_dscnt 0x0
	v_pk_mul_f32 v[144:145], v[140:141], v[132:133] op_sel:[0,1]
	s_delay_alu instid0(VALU_DEP_1) | instskip(SKIP_1) | instid1(VALU_DEP_1)
	v_pk_fma_f32 v[146:147], v[140:141], v[130:131], v[144:145] op_sel:[0,0,1] op_sel_hi:[1,1,0] neg_lo:[0,0,1] neg_hi:[0,0,1]
	v_pk_fma_f32 v[140:141], v[140:141], v[130:131], v[144:145] op_sel:[0,0,1] op_sel_hi:[1,0,0]
	v_mov_b32_e32 v147, v141
	v_pk_mul_f32 v[140:141], v[142:143], v[132:133] op_sel:[0,1]
	s_delay_alu instid0(VALU_DEP_1) | instskip(SKIP_1) | instid1(VALU_DEP_1)
	v_pk_fma_f32 v[144:145], v[142:143], v[130:131], v[140:141] op_sel:[0,0,1] op_sel_hi:[1,1,0] neg_lo:[0,0,1] neg_hi:[0,0,1]
	v_pk_fma_f32 v[140:141], v[142:143], v[130:131], v[140:141] op_sel:[0,0,1] op_sel_hi:[1,0,0]
	v_mov_b32_e32 v145, v141
	ds_load_2addr_b64 v[140:143], v134 offset0:33 offset1:34
	v_pk_add_f32 v[52:53], v[52:53], v[146:147] neg_lo:[0,1] neg_hi:[0,1]
	v_pk_add_f32 v[104:105], v[104:105], v[144:145] neg_lo:[0,1] neg_hi:[0,1]
	s_wait_dscnt 0x0
	v_dual_mul_f32 v144, v141, v133 :: v_dual_mul_f32 v146, v141, v130
	s_delay_alu instid0(VALU_DEP_1) | instskip(NEXT) | instid1(VALU_DEP_2)
	v_pk_fma_f32 v[144:145], v[140:141], v[118:119], v[144:145] op_sel_hi:[1,1,0] neg_lo:[0,0,1] neg_hi:[0,0,1]
	v_pk_fma_f32 v[140:141], v[140:141], v[118:119], v[146:147] op_sel:[1,0,0] op_sel_hi:[0,1,0]
	s_delay_alu instid0(VALU_DEP_1) | instskip(SKIP_1) | instid1(VALU_DEP_2)
	v_mov_b32_e32 v145, v141
	v_pk_mul_f32 v[140:141], v[142:143], v[132:133] op_sel:[0,1]
	v_pk_add_f32 v[48:49], v[48:49], v[144:145] neg_lo:[0,1] neg_hi:[0,1]
	s_delay_alu instid0(VALU_DEP_2) | instskip(SKIP_1) | instid1(VALU_DEP_1)
	v_pk_fma_f32 v[144:145], v[142:143], v[130:131], v[140:141] op_sel:[0,0,1] op_sel_hi:[1,1,0] neg_lo:[0,0,1] neg_hi:[0,0,1]
	v_pk_fma_f32 v[140:141], v[142:143], v[130:131], v[140:141] op_sel:[0,0,1] op_sel_hi:[1,0,0]
	v_mov_b32_e32 v145, v141
	ds_load_2addr_b64 v[140:143], v134 offset0:35 offset1:36
	v_pk_add_f32 v[50:51], v[50:51], v[144:145] neg_lo:[0,1] neg_hi:[0,1]
	s_wait_dscnt 0x0
	v_pk_mul_f32 v[144:145], v[140:141], v[132:133] op_sel:[0,1]
	s_delay_alu instid0(VALU_DEP_1) | instskip(SKIP_1) | instid1(VALU_DEP_1)
	v_pk_fma_f32 v[146:147], v[140:141], v[130:131], v[144:145] op_sel:[0,0,1] op_sel_hi:[1,1,0] neg_lo:[0,0,1] neg_hi:[0,0,1]
	v_pk_fma_f32 v[140:141], v[140:141], v[130:131], v[144:145] op_sel:[0,0,1] op_sel_hi:[1,0,0]
	v_mov_b32_e32 v147, v141
	v_pk_mul_f32 v[140:141], v[142:143], v[132:133] op_sel:[0,1]
	s_delay_alu instid0(VALU_DEP_2) | instskip(NEXT) | instid1(VALU_DEP_2)
	v_pk_add_f32 v[46:47], v[46:47], v[146:147] neg_lo:[0,1] neg_hi:[0,1]
	v_pk_fma_f32 v[144:145], v[142:143], v[130:131], v[140:141] op_sel:[0,0,1] op_sel_hi:[1,1,0] neg_lo:[0,0,1] neg_hi:[0,0,1]
	v_pk_fma_f32 v[140:141], v[142:143], v[130:131], v[140:141] op_sel:[0,0,1] op_sel_hi:[1,0,0]
	s_delay_alu instid0(VALU_DEP_1) | instskip(SKIP_4) | instid1(VALU_DEP_1)
	v_mov_b32_e32 v145, v141
	ds_load_2addr_b64 v[140:143], v134 offset0:37 offset1:38
	v_pk_add_f32 v[102:103], v[102:103], v[144:145] neg_lo:[0,1] neg_hi:[0,1]
	s_wait_dscnt 0x0
	v_pk_mul_f32 v[144:145], v[140:141], v[132:133] op_sel:[0,1]
	v_pk_fma_f32 v[146:147], v[140:141], v[130:131], v[144:145] op_sel:[0,0,1] op_sel_hi:[1,1,0] neg_lo:[0,0,1] neg_hi:[0,0,1]
	v_pk_fma_f32 v[140:141], v[140:141], v[130:131], v[144:145] op_sel:[0,0,1] op_sel_hi:[1,0,0]
	v_dual_mul_f32 v144, v143, v133 :: v_dual_mov_b32 v140, v143
	s_delay_alu instid0(VALU_DEP_2) | instskip(NEXT) | instid1(VALU_DEP_2)
	v_dual_mov_b32 v147, v141 :: v_dual_mov_b32 v141, v142
	v_pk_fma_f32 v[144:145], v[142:143], v[118:119], v[144:145] op_sel_hi:[1,1,0] neg_lo:[0,0,1] neg_hi:[0,0,1]
	v_mul_f32_e32 v142, v143, v130
	s_delay_alu instid0(VALU_DEP_3) | instskip(NEXT) | instid1(VALU_DEP_2)
	v_pk_add_f32 v[40:41], v[40:41], v[146:147] neg_lo:[0,1] neg_hi:[0,1]
	v_pk_fma_f32 v[140:141], v[140:141], v[118:119], v[142:143] op_sel_hi:[1,1,0]
	s_delay_alu instid0(VALU_DEP_1) | instskip(SKIP_4) | instid1(VALU_DEP_1)
	v_mov_b32_e32 v145, v141
	ds_load_2addr_b64 v[140:143], v134 offset0:39 offset1:40
	v_pk_add_f32 v[42:43], v[42:43], v[144:145] neg_lo:[0,1] neg_hi:[0,1]
	s_wait_dscnt 0x0
	v_pk_mul_f32 v[144:145], v[140:141], v[132:133] op_sel:[0,1]
	v_pk_fma_f32 v[146:147], v[140:141], v[130:131], v[144:145] op_sel:[0,0,1] op_sel_hi:[1,1,0] neg_lo:[0,0,1] neg_hi:[0,0,1]
	v_pk_fma_f32 v[140:141], v[140:141], v[130:131], v[144:145] op_sel:[0,0,1] op_sel_hi:[1,0,0]
	s_delay_alu instid0(VALU_DEP_1) | instskip(SKIP_1) | instid1(VALU_DEP_1)
	v_mov_b32_e32 v147, v141
	v_pk_mul_f32 v[140:141], v[142:143], v[132:133] op_sel:[0,1]
	v_pk_fma_f32 v[144:145], v[142:143], v[130:131], v[140:141] op_sel:[0,0,1] op_sel_hi:[1,1,0] neg_lo:[0,0,1] neg_hi:[0,0,1]
	v_pk_fma_f32 v[140:141], v[142:143], v[130:131], v[140:141] op_sel:[0,0,1] op_sel_hi:[1,0,0]
	s_delay_alu instid0(VALU_DEP_1)
	v_mov_b32_e32 v145, v141
	ds_load_2addr_b64 v[140:143], v134 offset0:41 offset1:42
	v_pk_add_f32 v[38:39], v[38:39], v[146:147] neg_lo:[0,1] neg_hi:[0,1]
	v_pk_add_f32 v[100:101], v[100:101], v[144:145] neg_lo:[0,1] neg_hi:[0,1]
	s_wait_dscnt 0x0
	v_pk_mul_f32 v[144:145], v[140:141], v[132:133] op_sel:[0,1]
	s_delay_alu instid0(VALU_DEP_1) | instskip(SKIP_1) | instid1(VALU_DEP_1)
	v_pk_fma_f32 v[146:147], v[140:141], v[130:131], v[144:145] op_sel:[0,0,1] op_sel_hi:[1,1,0] neg_lo:[0,0,1] neg_hi:[0,0,1]
	v_pk_fma_f32 v[140:141], v[140:141], v[130:131], v[144:145] op_sel:[0,0,1] op_sel_hi:[1,0,0]
	v_mov_b32_e32 v147, v141
	v_pk_mul_f32 v[140:141], v[142:143], v[132:133] op_sel:[0,1]
	s_delay_alu instid0(VALU_DEP_1) | instskip(SKIP_1) | instid1(VALU_DEP_1)
	v_pk_fma_f32 v[144:145], v[142:143], v[130:131], v[140:141] op_sel:[0,0,1] op_sel_hi:[1,1,0] neg_lo:[0,0,1] neg_hi:[0,0,1]
	v_pk_fma_f32 v[140:141], v[142:143], v[130:131], v[140:141] op_sel:[0,0,1] op_sel_hi:[1,0,0]
	v_mov_b32_e32 v145, v141
	ds_load_2addr_b64 v[140:143], v134 offset0:43 offset1:44
	v_pk_add_f32 v[32:33], v[32:33], v[146:147] neg_lo:[0,1] neg_hi:[0,1]
	v_pk_add_f32 v[34:35], v[34:35], v[144:145] neg_lo:[0,1] neg_hi:[0,1]
	s_wait_dscnt 0x0
	v_dual_mul_f32 v144, v141, v133 :: v_dual_mul_f32 v146, v141, v130
	s_delay_alu instid0(VALU_DEP_1) | instskip(NEXT) | instid1(VALU_DEP_2)
	v_pk_fma_f32 v[144:145], v[140:141], v[118:119], v[144:145] op_sel_hi:[1,1,0] neg_lo:[0,0,1] neg_hi:[0,0,1]
	v_pk_fma_f32 v[140:141], v[140:141], v[118:119], v[146:147] op_sel:[1,0,0] op_sel_hi:[0,1,0]
	s_delay_alu instid0(VALU_DEP_1) | instskip(SKIP_1) | instid1(VALU_DEP_2)
	v_mov_b32_e32 v145, v141
	v_pk_mul_f32 v[140:141], v[142:143], v[132:133] op_sel:[0,1]
	v_pk_add_f32 v[30:31], v[30:31], v[144:145] neg_lo:[0,1] neg_hi:[0,1]
	s_delay_alu instid0(VALU_DEP_2) | instskip(SKIP_1) | instid1(VALU_DEP_1)
	v_pk_fma_f32 v[144:145], v[142:143], v[130:131], v[140:141] op_sel:[0,0,1] op_sel_hi:[1,1,0] neg_lo:[0,0,1] neg_hi:[0,0,1]
	v_pk_fma_f32 v[140:141], v[142:143], v[130:131], v[140:141] op_sel:[0,0,1] op_sel_hi:[1,0,0]
	v_mov_b32_e32 v145, v141
	ds_load_2addr_b64 v[140:143], v134 offset0:45 offset1:46
	v_pk_add_f32 v[98:99], v[98:99], v[144:145] neg_lo:[0,1] neg_hi:[0,1]
	s_wait_dscnt 0x0
	v_pk_mul_f32 v[144:145], v[140:141], v[132:133] op_sel:[0,1]
	s_delay_alu instid0(VALU_DEP_1) | instskip(SKIP_1) | instid1(VALU_DEP_1)
	v_pk_fma_f32 v[146:147], v[140:141], v[130:131], v[144:145] op_sel:[0,0,1] op_sel_hi:[1,1,0] neg_lo:[0,0,1] neg_hi:[0,0,1]
	v_pk_fma_f32 v[140:141], v[140:141], v[130:131], v[144:145] op_sel:[0,0,1] op_sel_hi:[1,0,0]
	v_mov_b32_e32 v147, v141
	v_pk_mul_f32 v[140:141], v[142:143], v[132:133] op_sel:[0,1]
	s_delay_alu instid0(VALU_DEP_2) | instskip(NEXT) | instid1(VALU_DEP_2)
	v_pk_add_f32 v[24:25], v[24:25], v[146:147] neg_lo:[0,1] neg_hi:[0,1]
	v_pk_fma_f32 v[144:145], v[142:143], v[130:131], v[140:141] op_sel:[0,0,1] op_sel_hi:[1,1,0] neg_lo:[0,0,1] neg_hi:[0,0,1]
	v_pk_fma_f32 v[140:141], v[142:143], v[130:131], v[140:141] op_sel:[0,0,1] op_sel_hi:[1,0,0]
	s_delay_alu instid0(VALU_DEP_1) | instskip(SKIP_4) | instid1(VALU_DEP_1)
	v_mov_b32_e32 v145, v141
	ds_load_2addr_b64 v[140:143], v134 offset0:47 offset1:48
	v_pk_add_f32 v[28:29], v[28:29], v[144:145] neg_lo:[0,1] neg_hi:[0,1]
	s_wait_dscnt 0x0
	v_pk_mul_f32 v[144:145], v[140:141], v[132:133] op_sel:[0,1]
	v_pk_fma_f32 v[146:147], v[140:141], v[130:131], v[144:145] op_sel:[0,0,1] op_sel_hi:[1,1,0] neg_lo:[0,0,1] neg_hi:[0,0,1]
	v_pk_fma_f32 v[140:141], v[140:141], v[130:131], v[144:145] op_sel:[0,0,1] op_sel_hi:[1,0,0]
	v_dual_mul_f32 v144, v143, v133 :: v_dual_mov_b32 v140, v143
	s_delay_alu instid0(VALU_DEP_2) | instskip(NEXT) | instid1(VALU_DEP_2)
	v_dual_mov_b32 v147, v141 :: v_dual_mov_b32 v141, v142
	v_pk_fma_f32 v[144:145], v[142:143], v[118:119], v[144:145] op_sel_hi:[1,1,0] neg_lo:[0,0,1] neg_hi:[0,0,1]
	v_mul_f32_e32 v142, v143, v130
	s_delay_alu instid0(VALU_DEP_3) | instskip(NEXT) | instid1(VALU_DEP_2)
	v_pk_add_f32 v[22:23], v[22:23], v[146:147] neg_lo:[0,1] neg_hi:[0,1]
	v_pk_fma_f32 v[140:141], v[140:141], v[118:119], v[142:143] op_sel_hi:[1,1,0]
	s_delay_alu instid0(VALU_DEP_1) | instskip(SKIP_4) | instid1(VALU_DEP_1)
	v_mov_b32_e32 v145, v141
	ds_load_2addr_b64 v[140:143], v134 offset0:49 offset1:50
	v_pk_add_f32 v[96:97], v[96:97], v[144:145] neg_lo:[0,1] neg_hi:[0,1]
	s_wait_dscnt 0x0
	v_pk_mul_f32 v[144:145], v[140:141], v[132:133] op_sel:[0,1]
	v_pk_fma_f32 v[146:147], v[140:141], v[130:131], v[144:145] op_sel:[0,0,1] op_sel_hi:[1,1,0] neg_lo:[0,0,1] neg_hi:[0,0,1]
	v_pk_fma_f32 v[140:141], v[140:141], v[130:131], v[144:145] op_sel:[0,0,1] op_sel_hi:[1,0,0]
	s_delay_alu instid0(VALU_DEP_1) | instskip(SKIP_1) | instid1(VALU_DEP_1)
	v_mov_b32_e32 v147, v141
	v_pk_mul_f32 v[140:141], v[142:143], v[132:133] op_sel:[0,1]
	v_pk_fma_f32 v[144:145], v[142:143], v[130:131], v[140:141] op_sel:[0,0,1] op_sel_hi:[1,1,0] neg_lo:[0,0,1] neg_hi:[0,0,1]
	v_pk_fma_f32 v[140:141], v[142:143], v[130:131], v[140:141] op_sel:[0,0,1] op_sel_hi:[1,0,0]
	s_delay_alu instid0(VALU_DEP_1)
	v_mov_b32_e32 v145, v141
	ds_load_2addr_b64 v[140:143], v134 offset0:51 offset1:52
	v_pk_add_f32 v[18:19], v[18:19], v[146:147] neg_lo:[0,1] neg_hi:[0,1]
	v_pk_add_f32 v[20:21], v[20:21], v[144:145] neg_lo:[0,1] neg_hi:[0,1]
	s_wait_dscnt 0x0
	v_pk_mul_f32 v[144:145], v[140:141], v[132:133] op_sel:[0,1]
	s_delay_alu instid0(VALU_DEP_1) | instskip(SKIP_1) | instid1(VALU_DEP_1)
	v_pk_fma_f32 v[146:147], v[140:141], v[130:131], v[144:145] op_sel:[0,0,1] op_sel_hi:[1,1,0] neg_lo:[0,0,1] neg_hi:[0,0,1]
	v_pk_fma_f32 v[140:141], v[140:141], v[130:131], v[144:145] op_sel:[0,0,1] op_sel_hi:[1,0,0]
	v_mov_b32_e32 v147, v141
	v_pk_mul_f32 v[140:141], v[142:143], v[132:133] op_sel:[0,1]
	s_delay_alu instid0(VALU_DEP_1) | instskip(SKIP_1) | instid1(VALU_DEP_1)
	v_pk_fma_f32 v[144:145], v[142:143], v[130:131], v[140:141] op_sel:[0,0,1] op_sel_hi:[1,1,0] neg_lo:[0,0,1] neg_hi:[0,0,1]
	v_pk_fma_f32 v[140:141], v[142:143], v[130:131], v[140:141] op_sel:[0,0,1] op_sel_hi:[1,0,0]
	v_mov_b32_e32 v145, v141
	ds_load_2addr_b64 v[140:143], v134 offset0:53 offset1:54
	v_pk_add_f32 v[36:37], v[36:37], v[146:147] neg_lo:[0,1] neg_hi:[0,1]
	v_pk_add_f32 v[86:87], v[86:87], v[144:145] neg_lo:[0,1] neg_hi:[0,1]
	s_wait_dscnt 0x0
	v_dual_mul_f32 v144, v141, v133 :: v_dual_mul_f32 v146, v141, v130
	s_delay_alu instid0(VALU_DEP_1) | instskip(NEXT) | instid1(VALU_DEP_2)
	v_pk_fma_f32 v[144:145], v[140:141], v[118:119], v[144:145] op_sel_hi:[1,1,0] neg_lo:[0,0,1] neg_hi:[0,0,1]
	v_pk_fma_f32 v[140:141], v[140:141], v[118:119], v[146:147] op_sel:[1,0,0] op_sel_hi:[0,1,0]
	s_delay_alu instid0(VALU_DEP_1) | instskip(SKIP_1) | instid1(VALU_DEP_2)
	v_mov_b32_e32 v145, v141
	v_pk_mul_f32 v[140:141], v[142:143], v[132:133] op_sel:[0,1]
	v_pk_add_f32 v[10:11], v[10:11], v[144:145] neg_lo:[0,1] neg_hi:[0,1]
	s_delay_alu instid0(VALU_DEP_2) | instskip(SKIP_1) | instid1(VALU_DEP_1)
	v_pk_fma_f32 v[144:145], v[142:143], v[130:131], v[140:141] op_sel:[0,0,1] op_sel_hi:[1,1,0] neg_lo:[0,0,1] neg_hi:[0,0,1]
	v_pk_fma_f32 v[140:141], v[142:143], v[130:131], v[140:141] op_sel:[0,0,1] op_sel_hi:[1,0,0]
	v_mov_b32_e32 v145, v141
	ds_load_2addr_b64 v[140:143], v134 offset0:55 offset1:56
	v_pk_add_f32 v[12:13], v[12:13], v[144:145] neg_lo:[0,1] neg_hi:[0,1]
	s_wait_dscnt 0x0
	v_pk_mul_f32 v[144:145], v[140:141], v[132:133] op_sel:[0,1]
	s_delay_alu instid0(VALU_DEP_1) | instskip(SKIP_1) | instid1(VALU_DEP_1)
	v_pk_fma_f32 v[146:147], v[140:141], v[130:131], v[144:145] op_sel:[0,0,1] op_sel_hi:[1,1,0] neg_lo:[0,0,1] neg_hi:[0,0,1]
	v_pk_fma_f32 v[140:141], v[140:141], v[130:131], v[144:145] op_sel:[0,0,1] op_sel_hi:[1,0,0]
	v_mov_b32_e32 v147, v141
	v_pk_mul_f32 v[140:141], v[142:143], v[132:133] op_sel:[0,1]
	s_delay_alu instid0(VALU_DEP_2) | instskip(NEXT) | instid1(VALU_DEP_2)
	v_pk_add_f32 v[8:9], v[8:9], v[146:147] neg_lo:[0,1] neg_hi:[0,1]
	v_pk_fma_f32 v[144:145], v[142:143], v[130:131], v[140:141] op_sel:[0,0,1] op_sel_hi:[1,1,0] neg_lo:[0,0,1] neg_hi:[0,0,1]
	v_pk_fma_f32 v[140:141], v[142:143], v[130:131], v[140:141] op_sel:[0,0,1] op_sel_hi:[1,0,0]
	s_delay_alu instid0(VALU_DEP_1) | instskip(SKIP_4) | instid1(VALU_DEP_1)
	v_mov_b32_e32 v145, v141
	ds_load_2addr_b64 v[140:143], v134 offset0:57 offset1:58
	v_pk_add_f32 v[44:45], v[44:45], v[144:145] neg_lo:[0,1] neg_hi:[0,1]
	s_wait_dscnt 0x0
	v_pk_mul_f32 v[144:145], v[140:141], v[132:133] op_sel:[0,1]
	v_pk_fma_f32 v[146:147], v[140:141], v[130:131], v[144:145] op_sel:[0,0,1] op_sel_hi:[1,1,0] neg_lo:[0,0,1] neg_hi:[0,0,1]
	v_pk_fma_f32 v[140:141], v[140:141], v[130:131], v[144:145] op_sel:[0,0,1] op_sel_hi:[1,0,0]
	v_dual_mul_f32 v144, v143, v133 :: v_dual_mov_b32 v140, v143
	s_delay_alu instid0(VALU_DEP_2) | instskip(NEXT) | instid1(VALU_DEP_2)
	v_dual_mov_b32 v147, v141 :: v_dual_mov_b32 v141, v142
	v_pk_fma_f32 v[144:145], v[142:143], v[118:119], v[144:145] op_sel_hi:[1,1,0] neg_lo:[0,0,1] neg_hi:[0,0,1]
	v_mul_f32_e32 v142, v143, v130
	s_delay_alu instid0(VALU_DEP_3) | instskip(NEXT) | instid1(VALU_DEP_2)
	v_pk_add_f32 v[6:7], v[6:7], v[146:147] neg_lo:[0,1] neg_hi:[0,1]
	v_pk_fma_f32 v[140:141], v[140:141], v[118:119], v[142:143] op_sel_hi:[1,1,0]
	s_delay_alu instid0(VALU_DEP_1) | instskip(SKIP_4) | instid1(VALU_DEP_1)
	v_mov_b32_e32 v145, v141
	ds_load_2addr_b64 v[140:143], v134 offset0:59 offset1:60
	v_pk_add_f32 v[26:27], v[26:27], v[144:145] neg_lo:[0,1] neg_hi:[0,1]
	s_wait_dscnt 0x0
	v_pk_mul_f32 v[144:145], v[140:141], v[132:133] op_sel:[0,1]
	v_pk_fma_f32 v[146:147], v[140:141], v[130:131], v[144:145] op_sel:[0,0,1] op_sel_hi:[1,1,0] neg_lo:[0,0,1] neg_hi:[0,0,1]
	v_pk_fma_f32 v[140:141], v[140:141], v[130:131], v[144:145] op_sel:[0,0,1] op_sel_hi:[1,0,0]
	s_delay_alu instid0(VALU_DEP_1) | instskip(SKIP_1) | instid1(VALU_DEP_1)
	v_mov_b32_e32 v147, v141
	v_pk_mul_f32 v[140:141], v[142:143], v[132:133] op_sel:[0,1]
	v_pk_fma_f32 v[144:145], v[142:143], v[130:131], v[140:141] op_sel:[0,0,1] op_sel_hi:[1,1,0] neg_lo:[0,0,1] neg_hi:[0,0,1]
	v_pk_fma_f32 v[140:141], v[142:143], v[130:131], v[140:141] op_sel:[0,0,1] op_sel_hi:[1,0,0]
	s_delay_alu instid0(VALU_DEP_1)
	v_mov_b32_e32 v145, v141
	ds_load_b64 v[140:141], v134 offset:488
	v_pk_add_f32 v[16:17], v[16:17], v[146:147] neg_lo:[0,1] neg_hi:[0,1]
	v_pk_add_f32 v[14:15], v[14:15], v[144:145] neg_lo:[0,1] neg_hi:[0,1]
	s_wait_dscnt 0x0
	v_pk_mul_f32 v[132:133], v[140:141], v[132:133] op_sel:[0,1]
	s_delay_alu instid0(VALU_DEP_1) | instskip(SKIP_1) | instid1(VALU_DEP_1)
	v_pk_fma_f32 v[142:143], v[140:141], v[130:131], v[132:133] op_sel:[0,0,1] op_sel_hi:[1,1,0] neg_lo:[0,0,1] neg_hi:[0,0,1]
	v_pk_fma_f32 v[130:131], v[140:141], v[130:131], v[132:133] op_sel:[0,0,1] op_sel_hi:[1,0,0]
	v_mov_b32_e32 v143, v131
	s_delay_alu instid0(VALU_DEP_1)
	v_pk_add_f32 v[128:129], v[128:129], v[142:143] neg_lo:[0,1] neg_hi:[0,1]
.LBB122_104:
	s_or_b32 exec_lo, exec_lo, s0
	v_lshl_add_u32 v130, v138, 3, v134
	s_barrier_signal -1
	s_barrier_wait -1
	ds_store_b64 v130, v[92:93]
	s_wait_dscnt 0x0
	s_barrier_signal -1
	s_barrier_wait -1
	ds_load_b64 v[132:133], v134 offset:40
	v_mov_b32_e32 v130, 5
	s_cmp_lt_i32 s18, 7
	s_cbranch_scc1 .LBB122_107
; %bb.105:
	v_add3_u32 v131, v135, 0, 48
	v_mov_b32_e32 v130, 5
	s_mov_b32 s0, 6
.LBB122_106:                            ; =>This Inner Loop Header: Depth=1
	ds_load_b64 v[140:141], v131
	s_wait_dscnt 0x1
	v_cmp_gt_f32_e32 vcc_lo, 0, v132
	v_cndmask_b32_e64 v142, v132, -v132, vcc_lo
	v_cmp_gt_f32_e32 vcc_lo, 0, v133
	v_cndmask_b32_e64 v144, v133, -v133, vcc_lo
	s_wait_dscnt 0x0
	v_cmp_gt_f32_e32 vcc_lo, 0, v140
	v_cndmask_b32_e64 v143, v140, -v140, vcc_lo
	v_cmp_gt_f32_e32 vcc_lo, 0, v141
	v_cndmask_b32_e64 v145, v141, -v141, vcc_lo
	s_delay_alu instid0(VALU_DEP_1) | instskip(NEXT) | instid1(VALU_DEP_1)
	v_pk_add_f32 v[142:143], v[142:143], v[144:145]
	v_cmp_lt_f32_e32 vcc_lo, v142, v143
	v_dual_add_nc_u32 v131, 8, v131 :: v_dual_cndmask_b32 v133, v133, v141, vcc_lo
	v_cndmask_b32_e32 v132, v132, v140, vcc_lo
	v_cndmask_b32_e64 v130, v130, s0, vcc_lo
	s_add_co_i32 s0, s0, 1
	s_delay_alu instid0(SALU_CYCLE_1)
	s_cmp_lg_u32 s18, s0
	s_cbranch_scc1 .LBB122_106
.LBB122_107:
	s_wait_dscnt 0x0
	v_cmp_eq_f32_e32 vcc_lo, 0, v132
	v_cmp_eq_f32_e64 s0, 0, v133
	s_and_b32 s0, vcc_lo, s0
	s_delay_alu instid0(SALU_CYCLE_1) | instskip(NEXT) | instid1(SALU_CYCLE_1)
	s_and_saveexec_b32 s1, s0
	s_xor_b32 s0, exec_lo, s1
; %bb.108:
	v_cmp_ne_u32_e32 vcc_lo, 0, v136
	v_cndmask_b32_e32 v136, 6, v136, vcc_lo
; %bb.109:
	s_and_not1_saveexec_b32 s0, s0
	s_cbranch_execz .LBB122_115
; %bb.110:
	v_cmp_ngt_f32_e64 s1, |v132|, |v133|
	s_and_saveexec_b32 s12, s1
	s_delay_alu instid0(SALU_CYCLE_1)
	s_xor_b32 s1, exec_lo, s12
	s_cbranch_execz .LBB122_112
; %bb.111:
	v_div_scale_f32 v131, null, v133, v133, v132
	v_div_scale_f32 v141, vcc_lo, v132, v133, v132
	s_delay_alu instid0(VALU_DEP_2) | instskip(SKIP_1) | instid1(TRANS32_DEP_1)
	v_rcp_f32_e32 v139, v131
	v_nop
	v_fma_f32 v140, -v131, v139, 1.0
	s_delay_alu instid0(VALU_DEP_1) | instskip(NEXT) | instid1(VALU_DEP_1)
	v_fmac_f32_e32 v139, v140, v139
	v_mul_f32_e32 v140, v141, v139
	s_delay_alu instid0(VALU_DEP_1) | instskip(NEXT) | instid1(VALU_DEP_1)
	v_fma_f32 v142, -v131, v140, v141
	v_fmac_f32_e32 v140, v142, v139
	s_delay_alu instid0(VALU_DEP_1) | instskip(NEXT) | instid1(VALU_DEP_1)
	v_fma_f32 v131, -v131, v140, v141
	v_div_fmas_f32 v131, v131, v139, v140
	s_delay_alu instid0(VALU_DEP_1) | instskip(NEXT) | instid1(VALU_DEP_1)
	v_div_fixup_f32 v131, v131, v133, v132
	v_fmac_f32_e32 v133, v132, v131
	s_delay_alu instid0(VALU_DEP_1) | instskip(SKIP_1) | instid1(VALU_DEP_2)
	v_div_scale_f32 v132, null, v133, v133, 1.0
	v_div_scale_f32 v141, vcc_lo, 1.0, v133, 1.0
	v_rcp_f32_e32 v139, v132
	v_nop
	s_delay_alu instid0(TRANS32_DEP_1) | instskip(NEXT) | instid1(VALU_DEP_1)
	v_fma_f32 v140, -v132, v139, 1.0
	v_fmac_f32_e32 v139, v140, v139
	s_delay_alu instid0(VALU_DEP_1) | instskip(NEXT) | instid1(VALU_DEP_1)
	v_mul_f32_e32 v140, v141, v139
	v_fma_f32 v142, -v132, v140, v141
	s_delay_alu instid0(VALU_DEP_1) | instskip(NEXT) | instid1(VALU_DEP_1)
	v_fmac_f32_e32 v140, v142, v139
	v_fma_f32 v132, -v132, v140, v141
	s_delay_alu instid0(VALU_DEP_1) | instskip(NEXT) | instid1(VALU_DEP_1)
	v_div_fmas_f32 v132, v132, v139, v140
	v_div_fixup_f32 v133, v132, v133, 1.0
	s_delay_alu instid0(VALU_DEP_1)
	v_mul_f32_e32 v132, v131, v133
	v_xor_b32_e32 v133, 0x80000000, v133
.LBB122_112:
	s_and_not1_saveexec_b32 s1, s1
	s_cbranch_execz .LBB122_114
; %bb.113:
	s_delay_alu instid0(VALU_DEP_1) | instskip(SKIP_1) | instid1(VALU_DEP_2)
	v_div_scale_f32 v131, null, v132, v132, v133
	v_div_scale_f32 v141, vcc_lo, v133, v132, v133
	v_rcp_f32_e32 v139, v131
	v_nop
	s_delay_alu instid0(TRANS32_DEP_1) | instskip(NEXT) | instid1(VALU_DEP_1)
	v_fma_f32 v140, -v131, v139, 1.0
	v_fmac_f32_e32 v139, v140, v139
	s_delay_alu instid0(VALU_DEP_1) | instskip(NEXT) | instid1(VALU_DEP_1)
	v_mul_f32_e32 v140, v141, v139
	v_fma_f32 v142, -v131, v140, v141
	s_delay_alu instid0(VALU_DEP_1) | instskip(NEXT) | instid1(VALU_DEP_1)
	v_fmac_f32_e32 v140, v142, v139
	v_fma_f32 v131, -v131, v140, v141
	s_delay_alu instid0(VALU_DEP_1) | instskip(NEXT) | instid1(VALU_DEP_1)
	v_div_fmas_f32 v131, v131, v139, v140
	v_div_fixup_f32 v131, v131, v132, v133
	s_delay_alu instid0(VALU_DEP_1) | instskip(NEXT) | instid1(VALU_DEP_1)
	v_fmac_f32_e32 v132, v133, v131
	v_div_scale_f32 v133, null, v132, v132, 1.0
	s_delay_alu instid0(VALU_DEP_1) | instskip(SKIP_1) | instid1(TRANS32_DEP_1)
	v_rcp_f32_e32 v139, v133
	v_nop
	v_fma_f32 v140, -v133, v139, 1.0
	s_delay_alu instid0(VALU_DEP_1) | instskip(SKIP_1) | instid1(VALU_DEP_1)
	v_fmac_f32_e32 v139, v140, v139
	v_div_scale_f32 v140, vcc_lo, 1.0, v132, 1.0
	v_mul_f32_e32 v141, v140, v139
	s_delay_alu instid0(VALU_DEP_1) | instskip(NEXT) | instid1(VALU_DEP_1)
	v_fma_f32 v142, -v133, v141, v140
	v_fmac_f32_e32 v141, v142, v139
	s_delay_alu instid0(VALU_DEP_1) | instskip(NEXT) | instid1(VALU_DEP_1)
	v_fma_f32 v133, -v133, v141, v140
	v_div_fmas_f32 v133, v133, v139, v141
	s_delay_alu instid0(VALU_DEP_1) | instskip(NEXT) | instid1(VALU_DEP_1)
	v_div_fixup_f32 v132, v133, v132, 1.0
	v_mul_f32_e64 v133, v131, -v132
.LBB122_114:
	s_or_b32 exec_lo, exec_lo, s1
.LBB122_115:
	s_delay_alu instid0(SALU_CYCLE_1) | instskip(NEXT) | instid1(SALU_CYCLE_1)
	s_or_b32 exec_lo, exec_lo, s0
	s_mov_b32 s0, exec_lo
	v_cmpx_ne_u32_e64 v138, v130
	s_xor_b32 s0, exec_lo, s0
	s_cbranch_execz .LBB122_121
; %bb.116:
	s_mov_b32 s1, exec_lo
	v_cmpx_eq_u32_e32 5, v138
	s_cbranch_execz .LBB122_120
; %bb.117:
	v_cmp_ne_u32_e32 vcc_lo, 5, v130
	s_xor_b32 s12, s16, -1
	s_delay_alu instid0(SALU_CYCLE_1) | instskip(NEXT) | instid1(SALU_CYCLE_1)
	s_and_b32 s13, s12, vcc_lo
	s_and_saveexec_b32 s12, s13
	s_cbranch_execz .LBB122_119
; %bb.118:
	v_ashrrev_i32_e32 v131, 31, v130
	s_delay_alu instid0(VALU_DEP_1)
	v_lshl_add_u64 v[138:139], v[130:131], 2, v[4:5]
	s_clause 0x1
	global_load_b32 v131, v[138:139], off
	global_load_b32 v137, v[4:5], off offset:20
	s_wait_loadcnt 0x1
	global_store_b32 v[4:5], v131, off offset:20
	s_wait_loadcnt 0x0
	global_store_b32 v[138:139], v137, off
.LBB122_119:
	s_wait_xcnt 0x0
	s_or_b32 exec_lo, exec_lo, s12
	v_dual_mov_b32 v138, v130 :: v_dual_mov_b32 v137, v130
.LBB122_120:
	s_or_b32 exec_lo, exec_lo, s1
.LBB122_121:
	s_and_not1_saveexec_b32 s0, s0
	s_cbranch_execz .LBB122_123
; %bb.122:
	v_dual_mov_b32 v130, v94 :: v_dual_mov_b32 v131, v95
	v_dual_mov_b32 v138, v90 :: v_dual_mov_b32 v139, v91
	v_dual_mov_b32 v140, v116 :: v_dual_mov_b32 v141, v117
	v_dual_mov_b32 v142, v84 :: v_dual_mov_b32 v143, v85
	v_dual_mov_b32 v144, v88 :: v_dual_mov_b32 v145, v89
	v_dual_mov_b32 v146, v82 :: v_dual_mov_b32 v147, v83
	v_dual_mov_b32 v148, v114 :: v_dual_mov_b32 v149, v115
	v_dual_mov_b32 v150, v78 :: v_dual_mov_b32 v151, v79
	v_dual_mov_b32 v152, v80 :: v_dual_mov_b32 v153, v81
	v_dual_mov_b32 v154, v76 :: v_dual_mov_b32 v155, v77
	v_dual_mov_b32 v156, v112 :: v_dual_mov_b32 v157, v113
	v_dual_mov_b32 v158, v72 :: v_dual_mov_b32 v159, v73
	ds_store_2addr_b64 v134, v[130:131], v[138:139] offset0:6 offset1:7
	ds_store_2addr_b64 v134, v[140:141], v[142:143] offset0:8 offset1:9
	ds_store_2addr_b64 v134, v[144:145], v[146:147] offset0:10 offset1:11
	ds_store_2addr_b64 v134, v[148:149], v[150:151] offset0:12 offset1:13
	ds_store_2addr_b64 v134, v[152:153], v[154:155] offset0:14 offset1:15
	ds_store_2addr_b64 v134, v[156:157], v[158:159] offset0:16 offset1:17
	v_dual_mov_b32 v130, v74 :: v_dual_mov_b32 v131, v75
	v_dual_mov_b32 v138, v70 :: v_dual_mov_b32 v139, v71
	v_dual_mov_b32 v140, v110 :: v_dual_mov_b32 v141, v111
	v_dual_mov_b32 v142, v66 :: v_dual_mov_b32 v143, v67
	v_dual_mov_b32 v144, v68 :: v_dual_mov_b32 v145, v69
	v_dual_mov_b32 v146, v64 :: v_dual_mov_b32 v147, v65
	v_dual_mov_b32 v148, v108 :: v_dual_mov_b32 v149, v109
	v_dual_mov_b32 v150, v60 :: v_dual_mov_b32 v151, v61
	v_dual_mov_b32 v152, v62 :: v_dual_mov_b32 v153, v63
	v_dual_mov_b32 v154, v58 :: v_dual_mov_b32 v155, v59
	v_dual_mov_b32 v156, v106 :: v_dual_mov_b32 v157, v107
	v_dual_mov_b32 v158, v54 :: v_dual_mov_b32 v159, v55
	ds_store_2addr_b64 v134, v[130:131], v[138:139] offset0:18 offset1:19
	ds_store_2addr_b64 v134, v[140:141], v[142:143] offset0:20 offset1:21
	ds_store_2addr_b64 v134, v[144:145], v[146:147] offset0:22 offset1:23
	ds_store_2addr_b64 v134, v[148:149], v[150:151] offset0:24 offset1:25
	ds_store_2addr_b64 v134, v[152:153], v[154:155] offset0:26 offset1:27
	ds_store_2addr_b64 v134, v[156:157], v[158:159] offset0:28 offset1:29
	;; [unrolled: 18-line block ×4, first 2 shown]
	v_dual_mov_b32 v130, v12 :: v_dual_mov_b32 v131, v13
	v_dual_mov_b32 v140, v8 :: v_dual_mov_b32 v141, v9
	;; [unrolled: 1-line block ×7, first 2 shown]
	v_mov_b32_e32 v151, v15
	ds_store_2addr_b64 v134, v[130:131], v[140:141] offset0:54 offset1:55
	ds_store_2addr_b64 v134, v[142:143], v[144:145] offset0:56 offset1:57
	;; [unrolled: 1-line block ×4, first 2 shown]
.LBB122_123:
	s_or_b32 exec_lo, exec_lo, s0
	s_delay_alu instid0(SALU_CYCLE_1)
	s_mov_b32 s0, exec_lo
	s_wait_storecnt_dscnt 0x0
	s_barrier_signal -1
	s_barrier_wait -1
	v_cmpx_lt_i32_e32 5, v138
	s_cbranch_execz .LBB122_125
; %bb.124:
	v_pk_mul_f32 v[140:141], v[132:133], v[92:93] op_sel:[1,1] op_sel_hi:[0,1]
	s_delay_alu instid0(VALU_DEP_1)
	v_pk_fma_f32 v[130:131], v[132:133], v[92:93], v[140:141] op_sel_hi:[1,0,1] neg_lo:[0,0,1] neg_hi:[0,0,1]
	v_pk_fma_f32 v[132:133], v[132:133], v[92:93], v[140:141] op_sel_hi:[1,0,1]
	ds_load_2addr_b64 v[140:143], v134 offset0:6 offset1:7
	v_dual_mov_b32 v92, v130 :: v_dual_mov_b32 v93, v133
	s_wait_dscnt 0x0
	v_pk_mul_f32 v[144:145], v[140:141], v[132:133] op_sel:[0,1]
	s_delay_alu instid0(VALU_DEP_1) | instskip(SKIP_1) | instid1(VALU_DEP_1)
	v_pk_fma_f32 v[146:147], v[140:141], v[130:131], v[144:145] op_sel:[0,0,1] op_sel_hi:[1,1,0] neg_lo:[0,0,1] neg_hi:[0,0,1]
	v_pk_fma_f32 v[140:141], v[140:141], v[130:131], v[144:145] op_sel:[0,0,1] op_sel_hi:[1,0,0]
	v_mov_b32_e32 v147, v141
	v_pk_mul_f32 v[140:141], v[142:143], v[132:133] op_sel:[0,1]
	s_delay_alu instid0(VALU_DEP_1) | instskip(SKIP_1) | instid1(VALU_DEP_1)
	v_pk_fma_f32 v[144:145], v[142:143], v[130:131], v[140:141] op_sel:[0,0,1] op_sel_hi:[1,1,0] neg_lo:[0,0,1] neg_hi:[0,0,1]
	v_pk_fma_f32 v[140:141], v[142:143], v[130:131], v[140:141] op_sel:[0,0,1] op_sel_hi:[1,0,0]
	v_mov_b32_e32 v145, v141
	ds_load_2addr_b64 v[140:143], v134 offset0:8 offset1:9
	v_pk_add_f32 v[94:95], v[94:95], v[146:147] neg_lo:[0,1] neg_hi:[0,1]
	v_pk_add_f32 v[90:91], v[90:91], v[144:145] neg_lo:[0,1] neg_hi:[0,1]
	s_wait_dscnt 0x0
	v_pk_mul_f32 v[144:145], v[140:141], v[132:133] op_sel:[0,1]
	s_delay_alu instid0(VALU_DEP_1) | instskip(SKIP_2) | instid1(VALU_DEP_2)
	v_pk_fma_f32 v[146:147], v[140:141], v[130:131], v[144:145] op_sel:[0,0,1] op_sel_hi:[1,1,0] neg_lo:[0,0,1] neg_hi:[0,0,1]
	v_pk_fma_f32 v[140:141], v[140:141], v[130:131], v[144:145] op_sel:[0,0,1] op_sel_hi:[1,0,0]
	v_dual_mul_f32 v144, v143, v133 :: v_dual_mov_b32 v140, v143
	v_dual_mov_b32 v147, v141 :: v_dual_mov_b32 v141, v142
	s_delay_alu instid0(VALU_DEP_2) | instskip(SKIP_1) | instid1(VALU_DEP_3)
	v_pk_fma_f32 v[144:145], v[142:143], v[92:93], v[144:145] op_sel_hi:[1,1,0] neg_lo:[0,0,1] neg_hi:[0,0,1]
	v_mul_f32_e32 v142, v143, v130
	v_pk_add_f32 v[116:117], v[116:117], v[146:147] neg_lo:[0,1] neg_hi:[0,1]
	s_delay_alu instid0(VALU_DEP_2) | instskip(NEXT) | instid1(VALU_DEP_1)
	v_pk_fma_f32 v[140:141], v[140:141], v[92:93], v[142:143] op_sel_hi:[1,1,0]
	v_mov_b32_e32 v145, v141
	ds_load_2addr_b64 v[140:143], v134 offset0:10 offset1:11
	v_pk_add_f32 v[84:85], v[84:85], v[144:145] neg_lo:[0,1] neg_hi:[0,1]
	s_wait_dscnt 0x0
	v_pk_mul_f32 v[144:145], v[140:141], v[132:133] op_sel:[0,1]
	s_delay_alu instid0(VALU_DEP_1) | instskip(SKIP_1) | instid1(VALU_DEP_1)
	v_pk_fma_f32 v[146:147], v[140:141], v[130:131], v[144:145] op_sel:[0,0,1] op_sel_hi:[1,1,0] neg_lo:[0,0,1] neg_hi:[0,0,1]
	v_pk_fma_f32 v[140:141], v[140:141], v[130:131], v[144:145] op_sel:[0,0,1] op_sel_hi:[1,0,0]
	v_mov_b32_e32 v147, v141
	v_pk_mul_f32 v[140:141], v[142:143], v[132:133] op_sel:[0,1]
	s_delay_alu instid0(VALU_DEP_1) | instskip(SKIP_1) | instid1(VALU_DEP_1)
	v_pk_fma_f32 v[144:145], v[142:143], v[130:131], v[140:141] op_sel:[0,0,1] op_sel_hi:[1,1,0] neg_lo:[0,0,1] neg_hi:[0,0,1]
	v_pk_fma_f32 v[140:141], v[142:143], v[130:131], v[140:141] op_sel:[0,0,1] op_sel_hi:[1,0,0]
	v_mov_b32_e32 v145, v141
	ds_load_2addr_b64 v[140:143], v134 offset0:12 offset1:13
	v_pk_add_f32 v[88:89], v[88:89], v[146:147] neg_lo:[0,1] neg_hi:[0,1]
	v_pk_add_f32 v[82:83], v[82:83], v[144:145] neg_lo:[0,1] neg_hi:[0,1]
	s_wait_dscnt 0x0
	v_pk_mul_f32 v[144:145], v[140:141], v[132:133] op_sel:[0,1]
	s_delay_alu instid0(VALU_DEP_1) | instskip(SKIP_1) | instid1(VALU_DEP_1)
	v_pk_fma_f32 v[146:147], v[140:141], v[130:131], v[144:145] op_sel:[0,0,1] op_sel_hi:[1,1,0] neg_lo:[0,0,1] neg_hi:[0,0,1]
	v_pk_fma_f32 v[140:141], v[140:141], v[130:131], v[144:145] op_sel:[0,0,1] op_sel_hi:[1,0,0]
	v_mov_b32_e32 v147, v141
	v_pk_mul_f32 v[140:141], v[142:143], v[132:133] op_sel:[0,1]
	s_delay_alu instid0(VALU_DEP_1) | instskip(SKIP_1) | instid1(VALU_DEP_1)
	v_pk_fma_f32 v[144:145], v[142:143], v[130:131], v[140:141] op_sel:[0,0,1] op_sel_hi:[1,1,0] neg_lo:[0,0,1] neg_hi:[0,0,1]
	v_pk_fma_f32 v[140:141], v[142:143], v[130:131], v[140:141] op_sel:[0,0,1] op_sel_hi:[1,0,0]
	v_mov_b32_e32 v145, v141
	ds_load_2addr_b64 v[140:143], v134 offset0:14 offset1:15
	v_pk_add_f32 v[114:115], v[114:115], v[146:147] neg_lo:[0,1] neg_hi:[0,1]
	v_pk_add_f32 v[78:79], v[78:79], v[144:145] neg_lo:[0,1] neg_hi:[0,1]
	s_wait_dscnt 0x0
	v_dual_mul_f32 v144, v141, v133 :: v_dual_mul_f32 v146, v141, v130
	s_delay_alu instid0(VALU_DEP_1) | instskip(NEXT) | instid1(VALU_DEP_2)
	v_pk_fma_f32 v[144:145], v[140:141], v[92:93], v[144:145] op_sel_hi:[1,1,0] neg_lo:[0,0,1] neg_hi:[0,0,1]
	v_pk_fma_f32 v[140:141], v[140:141], v[92:93], v[146:147] op_sel:[1,0,0] op_sel_hi:[0,1,0]
	s_delay_alu instid0(VALU_DEP_1) | instskip(SKIP_1) | instid1(VALU_DEP_2)
	v_mov_b32_e32 v145, v141
	v_pk_mul_f32 v[140:141], v[142:143], v[132:133] op_sel:[0,1]
	v_pk_add_f32 v[80:81], v[80:81], v[144:145] neg_lo:[0,1] neg_hi:[0,1]
	s_delay_alu instid0(VALU_DEP_2) | instskip(SKIP_1) | instid1(VALU_DEP_1)
	v_pk_fma_f32 v[144:145], v[142:143], v[130:131], v[140:141] op_sel:[0,0,1] op_sel_hi:[1,1,0] neg_lo:[0,0,1] neg_hi:[0,0,1]
	v_pk_fma_f32 v[140:141], v[142:143], v[130:131], v[140:141] op_sel:[0,0,1] op_sel_hi:[1,0,0]
	v_mov_b32_e32 v145, v141
	ds_load_2addr_b64 v[140:143], v134 offset0:16 offset1:17
	v_pk_add_f32 v[76:77], v[76:77], v[144:145] neg_lo:[0,1] neg_hi:[0,1]
	s_wait_dscnt 0x0
	v_pk_mul_f32 v[144:145], v[140:141], v[132:133] op_sel:[0,1]
	s_delay_alu instid0(VALU_DEP_1) | instskip(SKIP_1) | instid1(VALU_DEP_1)
	v_pk_fma_f32 v[146:147], v[140:141], v[130:131], v[144:145] op_sel:[0,0,1] op_sel_hi:[1,1,0] neg_lo:[0,0,1] neg_hi:[0,0,1]
	v_pk_fma_f32 v[140:141], v[140:141], v[130:131], v[144:145] op_sel:[0,0,1] op_sel_hi:[1,0,0]
	v_mov_b32_e32 v147, v141
	v_pk_mul_f32 v[140:141], v[142:143], v[132:133] op_sel:[0,1]
	s_delay_alu instid0(VALU_DEP_2) | instskip(NEXT) | instid1(VALU_DEP_2)
	v_pk_add_f32 v[112:113], v[112:113], v[146:147] neg_lo:[0,1] neg_hi:[0,1]
	v_pk_fma_f32 v[144:145], v[142:143], v[130:131], v[140:141] op_sel:[0,0,1] op_sel_hi:[1,1,0] neg_lo:[0,0,1] neg_hi:[0,0,1]
	v_pk_fma_f32 v[140:141], v[142:143], v[130:131], v[140:141] op_sel:[0,0,1] op_sel_hi:[1,0,0]
	s_delay_alu instid0(VALU_DEP_1) | instskip(SKIP_4) | instid1(VALU_DEP_1)
	v_mov_b32_e32 v145, v141
	ds_load_2addr_b64 v[140:143], v134 offset0:18 offset1:19
	v_pk_add_f32 v[72:73], v[72:73], v[144:145] neg_lo:[0,1] neg_hi:[0,1]
	s_wait_dscnt 0x0
	v_pk_mul_f32 v[144:145], v[140:141], v[132:133] op_sel:[0,1]
	v_pk_fma_f32 v[146:147], v[140:141], v[130:131], v[144:145] op_sel:[0,0,1] op_sel_hi:[1,1,0] neg_lo:[0,0,1] neg_hi:[0,0,1]
	v_pk_fma_f32 v[140:141], v[140:141], v[130:131], v[144:145] op_sel:[0,0,1] op_sel_hi:[1,0,0]
	v_dual_mul_f32 v144, v143, v133 :: v_dual_mov_b32 v140, v143
	s_delay_alu instid0(VALU_DEP_2) | instskip(NEXT) | instid1(VALU_DEP_2)
	v_dual_mov_b32 v147, v141 :: v_dual_mov_b32 v141, v142
	v_pk_fma_f32 v[144:145], v[142:143], v[92:93], v[144:145] op_sel_hi:[1,1,0] neg_lo:[0,0,1] neg_hi:[0,0,1]
	v_mul_f32_e32 v142, v143, v130
	s_delay_alu instid0(VALU_DEP_3) | instskip(NEXT) | instid1(VALU_DEP_2)
	v_pk_add_f32 v[74:75], v[74:75], v[146:147] neg_lo:[0,1] neg_hi:[0,1]
	v_pk_fma_f32 v[140:141], v[140:141], v[92:93], v[142:143] op_sel_hi:[1,1,0]
	s_delay_alu instid0(VALU_DEP_1) | instskip(SKIP_4) | instid1(VALU_DEP_1)
	v_mov_b32_e32 v145, v141
	ds_load_2addr_b64 v[140:143], v134 offset0:20 offset1:21
	v_pk_add_f32 v[70:71], v[70:71], v[144:145] neg_lo:[0,1] neg_hi:[0,1]
	s_wait_dscnt 0x0
	v_pk_mul_f32 v[144:145], v[140:141], v[132:133] op_sel:[0,1]
	v_pk_fma_f32 v[146:147], v[140:141], v[130:131], v[144:145] op_sel:[0,0,1] op_sel_hi:[1,1,0] neg_lo:[0,0,1] neg_hi:[0,0,1]
	v_pk_fma_f32 v[140:141], v[140:141], v[130:131], v[144:145] op_sel:[0,0,1] op_sel_hi:[1,0,0]
	s_delay_alu instid0(VALU_DEP_1) | instskip(SKIP_1) | instid1(VALU_DEP_1)
	v_mov_b32_e32 v147, v141
	v_pk_mul_f32 v[140:141], v[142:143], v[132:133] op_sel:[0,1]
	v_pk_fma_f32 v[144:145], v[142:143], v[130:131], v[140:141] op_sel:[0,0,1] op_sel_hi:[1,1,0] neg_lo:[0,0,1] neg_hi:[0,0,1]
	v_pk_fma_f32 v[140:141], v[142:143], v[130:131], v[140:141] op_sel:[0,0,1] op_sel_hi:[1,0,0]
	s_delay_alu instid0(VALU_DEP_1)
	v_mov_b32_e32 v145, v141
	ds_load_2addr_b64 v[140:143], v134 offset0:22 offset1:23
	v_pk_add_f32 v[110:111], v[110:111], v[146:147] neg_lo:[0,1] neg_hi:[0,1]
	v_pk_add_f32 v[66:67], v[66:67], v[144:145] neg_lo:[0,1] neg_hi:[0,1]
	s_wait_dscnt 0x0
	v_pk_mul_f32 v[144:145], v[140:141], v[132:133] op_sel:[0,1]
	s_delay_alu instid0(VALU_DEP_1) | instskip(SKIP_1) | instid1(VALU_DEP_1)
	v_pk_fma_f32 v[146:147], v[140:141], v[130:131], v[144:145] op_sel:[0,0,1] op_sel_hi:[1,1,0] neg_lo:[0,0,1] neg_hi:[0,0,1]
	v_pk_fma_f32 v[140:141], v[140:141], v[130:131], v[144:145] op_sel:[0,0,1] op_sel_hi:[1,0,0]
	v_mov_b32_e32 v147, v141
	v_pk_mul_f32 v[140:141], v[142:143], v[132:133] op_sel:[0,1]
	s_delay_alu instid0(VALU_DEP_1) | instskip(SKIP_1) | instid1(VALU_DEP_1)
	v_pk_fma_f32 v[144:145], v[142:143], v[130:131], v[140:141] op_sel:[0,0,1] op_sel_hi:[1,1,0] neg_lo:[0,0,1] neg_hi:[0,0,1]
	v_pk_fma_f32 v[140:141], v[142:143], v[130:131], v[140:141] op_sel:[0,0,1] op_sel_hi:[1,0,0]
	v_mov_b32_e32 v145, v141
	ds_load_2addr_b64 v[140:143], v134 offset0:24 offset1:25
	v_pk_add_f32 v[68:69], v[68:69], v[146:147] neg_lo:[0,1] neg_hi:[0,1]
	v_pk_add_f32 v[64:65], v[64:65], v[144:145] neg_lo:[0,1] neg_hi:[0,1]
	s_wait_dscnt 0x0
	v_dual_mul_f32 v144, v141, v133 :: v_dual_mul_f32 v146, v141, v130
	s_delay_alu instid0(VALU_DEP_1) | instskip(NEXT) | instid1(VALU_DEP_2)
	v_pk_fma_f32 v[144:145], v[140:141], v[92:93], v[144:145] op_sel_hi:[1,1,0] neg_lo:[0,0,1] neg_hi:[0,0,1]
	v_pk_fma_f32 v[140:141], v[140:141], v[92:93], v[146:147] op_sel:[1,0,0] op_sel_hi:[0,1,0]
	s_delay_alu instid0(VALU_DEP_1) | instskip(SKIP_1) | instid1(VALU_DEP_2)
	v_mov_b32_e32 v145, v141
	v_pk_mul_f32 v[140:141], v[142:143], v[132:133] op_sel:[0,1]
	v_pk_add_f32 v[108:109], v[108:109], v[144:145] neg_lo:[0,1] neg_hi:[0,1]
	s_delay_alu instid0(VALU_DEP_2) | instskip(SKIP_1) | instid1(VALU_DEP_1)
	v_pk_fma_f32 v[144:145], v[142:143], v[130:131], v[140:141] op_sel:[0,0,1] op_sel_hi:[1,1,0] neg_lo:[0,0,1] neg_hi:[0,0,1]
	v_pk_fma_f32 v[140:141], v[142:143], v[130:131], v[140:141] op_sel:[0,0,1] op_sel_hi:[1,0,0]
	v_mov_b32_e32 v145, v141
	ds_load_2addr_b64 v[140:143], v134 offset0:26 offset1:27
	v_pk_add_f32 v[60:61], v[60:61], v[144:145] neg_lo:[0,1] neg_hi:[0,1]
	s_wait_dscnt 0x0
	v_pk_mul_f32 v[144:145], v[140:141], v[132:133] op_sel:[0,1]
	s_delay_alu instid0(VALU_DEP_1) | instskip(SKIP_1) | instid1(VALU_DEP_1)
	v_pk_fma_f32 v[146:147], v[140:141], v[130:131], v[144:145] op_sel:[0,0,1] op_sel_hi:[1,1,0] neg_lo:[0,0,1] neg_hi:[0,0,1]
	v_pk_fma_f32 v[140:141], v[140:141], v[130:131], v[144:145] op_sel:[0,0,1] op_sel_hi:[1,0,0]
	v_mov_b32_e32 v147, v141
	v_pk_mul_f32 v[140:141], v[142:143], v[132:133] op_sel:[0,1]
	s_delay_alu instid0(VALU_DEP_2) | instskip(NEXT) | instid1(VALU_DEP_2)
	v_pk_add_f32 v[62:63], v[62:63], v[146:147] neg_lo:[0,1] neg_hi:[0,1]
	v_pk_fma_f32 v[144:145], v[142:143], v[130:131], v[140:141] op_sel:[0,0,1] op_sel_hi:[1,1,0] neg_lo:[0,0,1] neg_hi:[0,0,1]
	v_pk_fma_f32 v[140:141], v[142:143], v[130:131], v[140:141] op_sel:[0,0,1] op_sel_hi:[1,0,0]
	s_delay_alu instid0(VALU_DEP_1) | instskip(SKIP_4) | instid1(VALU_DEP_1)
	v_mov_b32_e32 v145, v141
	ds_load_2addr_b64 v[140:143], v134 offset0:28 offset1:29
	v_pk_add_f32 v[58:59], v[58:59], v[144:145] neg_lo:[0,1] neg_hi:[0,1]
	s_wait_dscnt 0x0
	v_pk_mul_f32 v[144:145], v[140:141], v[132:133] op_sel:[0,1]
	v_pk_fma_f32 v[146:147], v[140:141], v[130:131], v[144:145] op_sel:[0,0,1] op_sel_hi:[1,1,0] neg_lo:[0,0,1] neg_hi:[0,0,1]
	v_pk_fma_f32 v[140:141], v[140:141], v[130:131], v[144:145] op_sel:[0,0,1] op_sel_hi:[1,0,0]
	v_dual_mul_f32 v144, v143, v133 :: v_dual_mov_b32 v140, v143
	s_delay_alu instid0(VALU_DEP_2) | instskip(NEXT) | instid1(VALU_DEP_2)
	v_dual_mov_b32 v147, v141 :: v_dual_mov_b32 v141, v142
	v_pk_fma_f32 v[144:145], v[142:143], v[92:93], v[144:145] op_sel_hi:[1,1,0] neg_lo:[0,0,1] neg_hi:[0,0,1]
	v_mul_f32_e32 v142, v143, v130
	s_delay_alu instid0(VALU_DEP_3) | instskip(NEXT) | instid1(VALU_DEP_2)
	v_pk_add_f32 v[106:107], v[106:107], v[146:147] neg_lo:[0,1] neg_hi:[0,1]
	v_pk_fma_f32 v[140:141], v[140:141], v[92:93], v[142:143] op_sel_hi:[1,1,0]
	s_delay_alu instid0(VALU_DEP_1) | instskip(SKIP_4) | instid1(VALU_DEP_1)
	v_mov_b32_e32 v145, v141
	ds_load_2addr_b64 v[140:143], v134 offset0:30 offset1:31
	v_pk_add_f32 v[54:55], v[54:55], v[144:145] neg_lo:[0,1] neg_hi:[0,1]
	s_wait_dscnt 0x0
	v_pk_mul_f32 v[144:145], v[140:141], v[132:133] op_sel:[0,1]
	v_pk_fma_f32 v[146:147], v[140:141], v[130:131], v[144:145] op_sel:[0,0,1] op_sel_hi:[1,1,0] neg_lo:[0,0,1] neg_hi:[0,0,1]
	v_pk_fma_f32 v[140:141], v[140:141], v[130:131], v[144:145] op_sel:[0,0,1] op_sel_hi:[1,0,0]
	s_delay_alu instid0(VALU_DEP_1) | instskip(SKIP_1) | instid1(VALU_DEP_1)
	v_mov_b32_e32 v147, v141
	v_pk_mul_f32 v[140:141], v[142:143], v[132:133] op_sel:[0,1]
	v_pk_fma_f32 v[144:145], v[142:143], v[130:131], v[140:141] op_sel:[0,0,1] op_sel_hi:[1,1,0] neg_lo:[0,0,1] neg_hi:[0,0,1]
	v_pk_fma_f32 v[140:141], v[142:143], v[130:131], v[140:141] op_sel:[0,0,1] op_sel_hi:[1,0,0]
	s_delay_alu instid0(VALU_DEP_1)
	v_mov_b32_e32 v145, v141
	ds_load_2addr_b64 v[140:143], v134 offset0:32 offset1:33
	v_pk_add_f32 v[56:57], v[56:57], v[146:147] neg_lo:[0,1] neg_hi:[0,1]
	v_pk_add_f32 v[52:53], v[52:53], v[144:145] neg_lo:[0,1] neg_hi:[0,1]
	s_wait_dscnt 0x0
	v_pk_mul_f32 v[144:145], v[140:141], v[132:133] op_sel:[0,1]
	s_delay_alu instid0(VALU_DEP_1) | instskip(SKIP_1) | instid1(VALU_DEP_1)
	v_pk_fma_f32 v[146:147], v[140:141], v[130:131], v[144:145] op_sel:[0,0,1] op_sel_hi:[1,1,0] neg_lo:[0,0,1] neg_hi:[0,0,1]
	v_pk_fma_f32 v[140:141], v[140:141], v[130:131], v[144:145] op_sel:[0,0,1] op_sel_hi:[1,0,0]
	v_mov_b32_e32 v147, v141
	v_pk_mul_f32 v[140:141], v[142:143], v[132:133] op_sel:[0,1]
	s_delay_alu instid0(VALU_DEP_1) | instskip(SKIP_1) | instid1(VALU_DEP_1)
	v_pk_fma_f32 v[144:145], v[142:143], v[130:131], v[140:141] op_sel:[0,0,1] op_sel_hi:[1,1,0] neg_lo:[0,0,1] neg_hi:[0,0,1]
	v_pk_fma_f32 v[140:141], v[142:143], v[130:131], v[140:141] op_sel:[0,0,1] op_sel_hi:[1,0,0]
	v_mov_b32_e32 v145, v141
	ds_load_2addr_b64 v[140:143], v134 offset0:34 offset1:35
	v_pk_add_f32 v[104:105], v[104:105], v[146:147] neg_lo:[0,1] neg_hi:[0,1]
	v_pk_add_f32 v[48:49], v[48:49], v[144:145] neg_lo:[0,1] neg_hi:[0,1]
	s_wait_dscnt 0x0
	v_dual_mul_f32 v144, v141, v133 :: v_dual_mul_f32 v146, v141, v130
	s_delay_alu instid0(VALU_DEP_1) | instskip(NEXT) | instid1(VALU_DEP_2)
	v_pk_fma_f32 v[144:145], v[140:141], v[92:93], v[144:145] op_sel_hi:[1,1,0] neg_lo:[0,0,1] neg_hi:[0,0,1]
	v_pk_fma_f32 v[140:141], v[140:141], v[92:93], v[146:147] op_sel:[1,0,0] op_sel_hi:[0,1,0]
	s_delay_alu instid0(VALU_DEP_1) | instskip(SKIP_1) | instid1(VALU_DEP_2)
	v_mov_b32_e32 v145, v141
	v_pk_mul_f32 v[140:141], v[142:143], v[132:133] op_sel:[0,1]
	v_pk_add_f32 v[50:51], v[50:51], v[144:145] neg_lo:[0,1] neg_hi:[0,1]
	s_delay_alu instid0(VALU_DEP_2) | instskip(SKIP_1) | instid1(VALU_DEP_1)
	v_pk_fma_f32 v[144:145], v[142:143], v[130:131], v[140:141] op_sel:[0,0,1] op_sel_hi:[1,1,0] neg_lo:[0,0,1] neg_hi:[0,0,1]
	v_pk_fma_f32 v[140:141], v[142:143], v[130:131], v[140:141] op_sel:[0,0,1] op_sel_hi:[1,0,0]
	v_mov_b32_e32 v145, v141
	ds_load_2addr_b64 v[140:143], v134 offset0:36 offset1:37
	v_pk_add_f32 v[46:47], v[46:47], v[144:145] neg_lo:[0,1] neg_hi:[0,1]
	s_wait_dscnt 0x0
	v_pk_mul_f32 v[144:145], v[140:141], v[132:133] op_sel:[0,1]
	s_delay_alu instid0(VALU_DEP_1) | instskip(SKIP_1) | instid1(VALU_DEP_1)
	v_pk_fma_f32 v[146:147], v[140:141], v[130:131], v[144:145] op_sel:[0,0,1] op_sel_hi:[1,1,0] neg_lo:[0,0,1] neg_hi:[0,0,1]
	v_pk_fma_f32 v[140:141], v[140:141], v[130:131], v[144:145] op_sel:[0,0,1] op_sel_hi:[1,0,0]
	v_mov_b32_e32 v147, v141
	v_pk_mul_f32 v[140:141], v[142:143], v[132:133] op_sel:[0,1]
	s_delay_alu instid0(VALU_DEP_2) | instskip(NEXT) | instid1(VALU_DEP_2)
	v_pk_add_f32 v[102:103], v[102:103], v[146:147] neg_lo:[0,1] neg_hi:[0,1]
	v_pk_fma_f32 v[144:145], v[142:143], v[130:131], v[140:141] op_sel:[0,0,1] op_sel_hi:[1,1,0] neg_lo:[0,0,1] neg_hi:[0,0,1]
	v_pk_fma_f32 v[140:141], v[142:143], v[130:131], v[140:141] op_sel:[0,0,1] op_sel_hi:[1,0,0]
	s_delay_alu instid0(VALU_DEP_1) | instskip(SKIP_4) | instid1(VALU_DEP_1)
	v_mov_b32_e32 v145, v141
	ds_load_2addr_b64 v[140:143], v134 offset0:38 offset1:39
	v_pk_add_f32 v[40:41], v[40:41], v[144:145] neg_lo:[0,1] neg_hi:[0,1]
	s_wait_dscnt 0x0
	v_pk_mul_f32 v[144:145], v[140:141], v[132:133] op_sel:[0,1]
	v_pk_fma_f32 v[146:147], v[140:141], v[130:131], v[144:145] op_sel:[0,0,1] op_sel_hi:[1,1,0] neg_lo:[0,0,1] neg_hi:[0,0,1]
	v_pk_fma_f32 v[140:141], v[140:141], v[130:131], v[144:145] op_sel:[0,0,1] op_sel_hi:[1,0,0]
	v_dual_mul_f32 v144, v143, v133 :: v_dual_mov_b32 v140, v143
	s_delay_alu instid0(VALU_DEP_2) | instskip(NEXT) | instid1(VALU_DEP_2)
	v_dual_mov_b32 v147, v141 :: v_dual_mov_b32 v141, v142
	v_pk_fma_f32 v[144:145], v[142:143], v[92:93], v[144:145] op_sel_hi:[1,1,0] neg_lo:[0,0,1] neg_hi:[0,0,1]
	v_mul_f32_e32 v142, v143, v130
	s_delay_alu instid0(VALU_DEP_3) | instskip(NEXT) | instid1(VALU_DEP_2)
	v_pk_add_f32 v[42:43], v[42:43], v[146:147] neg_lo:[0,1] neg_hi:[0,1]
	v_pk_fma_f32 v[140:141], v[140:141], v[92:93], v[142:143] op_sel_hi:[1,1,0]
	s_delay_alu instid0(VALU_DEP_1) | instskip(SKIP_4) | instid1(VALU_DEP_1)
	v_mov_b32_e32 v145, v141
	ds_load_2addr_b64 v[140:143], v134 offset0:40 offset1:41
	v_pk_add_f32 v[38:39], v[38:39], v[144:145] neg_lo:[0,1] neg_hi:[0,1]
	s_wait_dscnt 0x0
	v_pk_mul_f32 v[144:145], v[140:141], v[132:133] op_sel:[0,1]
	v_pk_fma_f32 v[146:147], v[140:141], v[130:131], v[144:145] op_sel:[0,0,1] op_sel_hi:[1,1,0] neg_lo:[0,0,1] neg_hi:[0,0,1]
	v_pk_fma_f32 v[140:141], v[140:141], v[130:131], v[144:145] op_sel:[0,0,1] op_sel_hi:[1,0,0]
	s_delay_alu instid0(VALU_DEP_1) | instskip(SKIP_1) | instid1(VALU_DEP_1)
	v_mov_b32_e32 v147, v141
	v_pk_mul_f32 v[140:141], v[142:143], v[132:133] op_sel:[0,1]
	v_pk_fma_f32 v[144:145], v[142:143], v[130:131], v[140:141] op_sel:[0,0,1] op_sel_hi:[1,1,0] neg_lo:[0,0,1] neg_hi:[0,0,1]
	v_pk_fma_f32 v[140:141], v[142:143], v[130:131], v[140:141] op_sel:[0,0,1] op_sel_hi:[1,0,0]
	s_delay_alu instid0(VALU_DEP_1)
	v_mov_b32_e32 v145, v141
	ds_load_2addr_b64 v[140:143], v134 offset0:42 offset1:43
	v_pk_add_f32 v[100:101], v[100:101], v[146:147] neg_lo:[0,1] neg_hi:[0,1]
	v_pk_add_f32 v[32:33], v[32:33], v[144:145] neg_lo:[0,1] neg_hi:[0,1]
	s_wait_dscnt 0x0
	v_pk_mul_f32 v[144:145], v[140:141], v[132:133] op_sel:[0,1]
	s_delay_alu instid0(VALU_DEP_1) | instskip(SKIP_1) | instid1(VALU_DEP_1)
	v_pk_fma_f32 v[146:147], v[140:141], v[130:131], v[144:145] op_sel:[0,0,1] op_sel_hi:[1,1,0] neg_lo:[0,0,1] neg_hi:[0,0,1]
	v_pk_fma_f32 v[140:141], v[140:141], v[130:131], v[144:145] op_sel:[0,0,1] op_sel_hi:[1,0,0]
	v_mov_b32_e32 v147, v141
	v_pk_mul_f32 v[140:141], v[142:143], v[132:133] op_sel:[0,1]
	s_delay_alu instid0(VALU_DEP_1) | instskip(SKIP_1) | instid1(VALU_DEP_1)
	v_pk_fma_f32 v[144:145], v[142:143], v[130:131], v[140:141] op_sel:[0,0,1] op_sel_hi:[1,1,0] neg_lo:[0,0,1] neg_hi:[0,0,1]
	v_pk_fma_f32 v[140:141], v[142:143], v[130:131], v[140:141] op_sel:[0,0,1] op_sel_hi:[1,0,0]
	v_mov_b32_e32 v145, v141
	ds_load_2addr_b64 v[140:143], v134 offset0:44 offset1:45
	v_pk_add_f32 v[34:35], v[34:35], v[146:147] neg_lo:[0,1] neg_hi:[0,1]
	v_pk_add_f32 v[30:31], v[30:31], v[144:145] neg_lo:[0,1] neg_hi:[0,1]
	s_wait_dscnt 0x0
	v_dual_mul_f32 v144, v141, v133 :: v_dual_mul_f32 v146, v141, v130
	s_delay_alu instid0(VALU_DEP_1) | instskip(NEXT) | instid1(VALU_DEP_2)
	v_pk_fma_f32 v[144:145], v[140:141], v[92:93], v[144:145] op_sel_hi:[1,1,0] neg_lo:[0,0,1] neg_hi:[0,0,1]
	v_pk_fma_f32 v[140:141], v[140:141], v[92:93], v[146:147] op_sel:[1,0,0] op_sel_hi:[0,1,0]
	s_delay_alu instid0(VALU_DEP_1) | instskip(SKIP_1) | instid1(VALU_DEP_2)
	v_mov_b32_e32 v145, v141
	v_pk_mul_f32 v[140:141], v[142:143], v[132:133] op_sel:[0,1]
	v_pk_add_f32 v[98:99], v[98:99], v[144:145] neg_lo:[0,1] neg_hi:[0,1]
	s_delay_alu instid0(VALU_DEP_2) | instskip(SKIP_1) | instid1(VALU_DEP_1)
	v_pk_fma_f32 v[144:145], v[142:143], v[130:131], v[140:141] op_sel:[0,0,1] op_sel_hi:[1,1,0] neg_lo:[0,0,1] neg_hi:[0,0,1]
	v_pk_fma_f32 v[140:141], v[142:143], v[130:131], v[140:141] op_sel:[0,0,1] op_sel_hi:[1,0,0]
	v_mov_b32_e32 v145, v141
	ds_load_2addr_b64 v[140:143], v134 offset0:46 offset1:47
	v_pk_add_f32 v[24:25], v[24:25], v[144:145] neg_lo:[0,1] neg_hi:[0,1]
	s_wait_dscnt 0x0
	v_pk_mul_f32 v[144:145], v[140:141], v[132:133] op_sel:[0,1]
	s_delay_alu instid0(VALU_DEP_1) | instskip(SKIP_1) | instid1(VALU_DEP_1)
	v_pk_fma_f32 v[146:147], v[140:141], v[130:131], v[144:145] op_sel:[0,0,1] op_sel_hi:[1,1,0] neg_lo:[0,0,1] neg_hi:[0,0,1]
	v_pk_fma_f32 v[140:141], v[140:141], v[130:131], v[144:145] op_sel:[0,0,1] op_sel_hi:[1,0,0]
	v_mov_b32_e32 v147, v141
	v_pk_mul_f32 v[140:141], v[142:143], v[132:133] op_sel:[0,1]
	s_delay_alu instid0(VALU_DEP_2) | instskip(NEXT) | instid1(VALU_DEP_2)
	v_pk_add_f32 v[28:29], v[28:29], v[146:147] neg_lo:[0,1] neg_hi:[0,1]
	v_pk_fma_f32 v[144:145], v[142:143], v[130:131], v[140:141] op_sel:[0,0,1] op_sel_hi:[1,1,0] neg_lo:[0,0,1] neg_hi:[0,0,1]
	v_pk_fma_f32 v[140:141], v[142:143], v[130:131], v[140:141] op_sel:[0,0,1] op_sel_hi:[1,0,0]
	s_delay_alu instid0(VALU_DEP_1) | instskip(SKIP_4) | instid1(VALU_DEP_1)
	v_mov_b32_e32 v145, v141
	ds_load_2addr_b64 v[140:143], v134 offset0:48 offset1:49
	v_pk_add_f32 v[22:23], v[22:23], v[144:145] neg_lo:[0,1] neg_hi:[0,1]
	s_wait_dscnt 0x0
	v_pk_mul_f32 v[144:145], v[140:141], v[132:133] op_sel:[0,1]
	v_pk_fma_f32 v[146:147], v[140:141], v[130:131], v[144:145] op_sel:[0,0,1] op_sel_hi:[1,1,0] neg_lo:[0,0,1] neg_hi:[0,0,1]
	v_pk_fma_f32 v[140:141], v[140:141], v[130:131], v[144:145] op_sel:[0,0,1] op_sel_hi:[1,0,0]
	v_dual_mul_f32 v144, v143, v133 :: v_dual_mov_b32 v140, v143
	s_delay_alu instid0(VALU_DEP_2) | instskip(NEXT) | instid1(VALU_DEP_2)
	v_dual_mov_b32 v147, v141 :: v_dual_mov_b32 v141, v142
	v_pk_fma_f32 v[144:145], v[142:143], v[92:93], v[144:145] op_sel_hi:[1,1,0] neg_lo:[0,0,1] neg_hi:[0,0,1]
	v_mul_f32_e32 v142, v143, v130
	s_delay_alu instid0(VALU_DEP_3) | instskip(NEXT) | instid1(VALU_DEP_2)
	v_pk_add_f32 v[96:97], v[96:97], v[146:147] neg_lo:[0,1] neg_hi:[0,1]
	v_pk_fma_f32 v[140:141], v[140:141], v[92:93], v[142:143] op_sel_hi:[1,1,0]
	s_delay_alu instid0(VALU_DEP_1) | instskip(SKIP_4) | instid1(VALU_DEP_1)
	v_mov_b32_e32 v145, v141
	ds_load_2addr_b64 v[140:143], v134 offset0:50 offset1:51
	v_pk_add_f32 v[18:19], v[18:19], v[144:145] neg_lo:[0,1] neg_hi:[0,1]
	s_wait_dscnt 0x0
	v_pk_mul_f32 v[144:145], v[140:141], v[132:133] op_sel:[0,1]
	v_pk_fma_f32 v[146:147], v[140:141], v[130:131], v[144:145] op_sel:[0,0,1] op_sel_hi:[1,1,0] neg_lo:[0,0,1] neg_hi:[0,0,1]
	v_pk_fma_f32 v[140:141], v[140:141], v[130:131], v[144:145] op_sel:[0,0,1] op_sel_hi:[1,0,0]
	s_delay_alu instid0(VALU_DEP_1) | instskip(SKIP_1) | instid1(VALU_DEP_1)
	v_mov_b32_e32 v147, v141
	v_pk_mul_f32 v[140:141], v[142:143], v[132:133] op_sel:[0,1]
	v_pk_fma_f32 v[144:145], v[142:143], v[130:131], v[140:141] op_sel:[0,0,1] op_sel_hi:[1,1,0] neg_lo:[0,0,1] neg_hi:[0,0,1]
	v_pk_fma_f32 v[140:141], v[142:143], v[130:131], v[140:141] op_sel:[0,0,1] op_sel_hi:[1,0,0]
	s_delay_alu instid0(VALU_DEP_1)
	v_mov_b32_e32 v145, v141
	ds_load_2addr_b64 v[140:143], v134 offset0:52 offset1:53
	v_pk_add_f32 v[20:21], v[20:21], v[146:147] neg_lo:[0,1] neg_hi:[0,1]
	v_pk_add_f32 v[36:37], v[36:37], v[144:145] neg_lo:[0,1] neg_hi:[0,1]
	s_wait_dscnt 0x0
	v_pk_mul_f32 v[144:145], v[140:141], v[132:133] op_sel:[0,1]
	s_delay_alu instid0(VALU_DEP_1) | instskip(SKIP_1) | instid1(VALU_DEP_1)
	v_pk_fma_f32 v[146:147], v[140:141], v[130:131], v[144:145] op_sel:[0,0,1] op_sel_hi:[1,1,0] neg_lo:[0,0,1] neg_hi:[0,0,1]
	v_pk_fma_f32 v[140:141], v[140:141], v[130:131], v[144:145] op_sel:[0,0,1] op_sel_hi:[1,0,0]
	v_mov_b32_e32 v147, v141
	v_pk_mul_f32 v[140:141], v[142:143], v[132:133] op_sel:[0,1]
	s_delay_alu instid0(VALU_DEP_1) | instskip(SKIP_1) | instid1(VALU_DEP_1)
	v_pk_fma_f32 v[144:145], v[142:143], v[130:131], v[140:141] op_sel:[0,0,1] op_sel_hi:[1,1,0] neg_lo:[0,0,1] neg_hi:[0,0,1]
	v_pk_fma_f32 v[140:141], v[142:143], v[130:131], v[140:141] op_sel:[0,0,1] op_sel_hi:[1,0,0]
	v_mov_b32_e32 v145, v141
	ds_load_2addr_b64 v[140:143], v134 offset0:54 offset1:55
	v_pk_add_f32 v[86:87], v[86:87], v[146:147] neg_lo:[0,1] neg_hi:[0,1]
	v_pk_add_f32 v[10:11], v[10:11], v[144:145] neg_lo:[0,1] neg_hi:[0,1]
	s_wait_dscnt 0x0
	v_dual_mul_f32 v144, v141, v133 :: v_dual_mul_f32 v146, v141, v130
	s_delay_alu instid0(VALU_DEP_1) | instskip(NEXT) | instid1(VALU_DEP_2)
	v_pk_fma_f32 v[144:145], v[140:141], v[92:93], v[144:145] op_sel_hi:[1,1,0] neg_lo:[0,0,1] neg_hi:[0,0,1]
	v_pk_fma_f32 v[140:141], v[140:141], v[92:93], v[146:147] op_sel:[1,0,0] op_sel_hi:[0,1,0]
	s_delay_alu instid0(VALU_DEP_1) | instskip(SKIP_1) | instid1(VALU_DEP_2)
	v_mov_b32_e32 v145, v141
	v_pk_mul_f32 v[140:141], v[142:143], v[132:133] op_sel:[0,1]
	v_pk_add_f32 v[12:13], v[12:13], v[144:145] neg_lo:[0,1] neg_hi:[0,1]
	s_delay_alu instid0(VALU_DEP_2) | instskip(SKIP_1) | instid1(VALU_DEP_1)
	v_pk_fma_f32 v[144:145], v[142:143], v[130:131], v[140:141] op_sel:[0,0,1] op_sel_hi:[1,1,0] neg_lo:[0,0,1] neg_hi:[0,0,1]
	v_pk_fma_f32 v[140:141], v[142:143], v[130:131], v[140:141] op_sel:[0,0,1] op_sel_hi:[1,0,0]
	v_mov_b32_e32 v145, v141
	ds_load_2addr_b64 v[140:143], v134 offset0:56 offset1:57
	v_pk_add_f32 v[8:9], v[8:9], v[144:145] neg_lo:[0,1] neg_hi:[0,1]
	s_wait_dscnt 0x0
	v_pk_mul_f32 v[144:145], v[140:141], v[132:133] op_sel:[0,1]
	s_delay_alu instid0(VALU_DEP_1) | instskip(SKIP_1) | instid1(VALU_DEP_1)
	v_pk_fma_f32 v[146:147], v[140:141], v[130:131], v[144:145] op_sel:[0,0,1] op_sel_hi:[1,1,0] neg_lo:[0,0,1] neg_hi:[0,0,1]
	v_pk_fma_f32 v[140:141], v[140:141], v[130:131], v[144:145] op_sel:[0,0,1] op_sel_hi:[1,0,0]
	v_mov_b32_e32 v147, v141
	v_pk_mul_f32 v[140:141], v[142:143], v[132:133] op_sel:[0,1]
	s_delay_alu instid0(VALU_DEP_2) | instskip(NEXT) | instid1(VALU_DEP_2)
	v_pk_add_f32 v[44:45], v[44:45], v[146:147] neg_lo:[0,1] neg_hi:[0,1]
	v_pk_fma_f32 v[144:145], v[142:143], v[130:131], v[140:141] op_sel:[0,0,1] op_sel_hi:[1,1,0] neg_lo:[0,0,1] neg_hi:[0,0,1]
	v_pk_fma_f32 v[140:141], v[142:143], v[130:131], v[140:141] op_sel:[0,0,1] op_sel_hi:[1,0,0]
	s_delay_alu instid0(VALU_DEP_1) | instskip(SKIP_4) | instid1(VALU_DEP_1)
	v_mov_b32_e32 v145, v141
	ds_load_2addr_b64 v[140:143], v134 offset0:58 offset1:59
	v_pk_add_f32 v[6:7], v[6:7], v[144:145] neg_lo:[0,1] neg_hi:[0,1]
	s_wait_dscnt 0x0
	v_pk_mul_f32 v[144:145], v[140:141], v[132:133] op_sel:[0,1]
	v_pk_fma_f32 v[146:147], v[140:141], v[130:131], v[144:145] op_sel:[0,0,1] op_sel_hi:[1,1,0] neg_lo:[0,0,1] neg_hi:[0,0,1]
	v_pk_fma_f32 v[140:141], v[140:141], v[130:131], v[144:145] op_sel:[0,0,1] op_sel_hi:[1,0,0]
	v_dual_mul_f32 v144, v143, v133 :: v_dual_mov_b32 v140, v143
	s_delay_alu instid0(VALU_DEP_2) | instskip(NEXT) | instid1(VALU_DEP_2)
	v_dual_mov_b32 v147, v141 :: v_dual_mov_b32 v141, v142
	v_pk_fma_f32 v[144:145], v[142:143], v[92:93], v[144:145] op_sel_hi:[1,1,0] neg_lo:[0,0,1] neg_hi:[0,0,1]
	v_mul_f32_e32 v142, v143, v130
	s_delay_alu instid0(VALU_DEP_3) | instskip(NEXT) | instid1(VALU_DEP_2)
	v_pk_add_f32 v[26:27], v[26:27], v[146:147] neg_lo:[0,1] neg_hi:[0,1]
	v_pk_fma_f32 v[140:141], v[140:141], v[92:93], v[142:143] op_sel_hi:[1,1,0]
	s_delay_alu instid0(VALU_DEP_1)
	v_mov_b32_e32 v145, v141
	ds_load_2addr_b64 v[140:143], v134 offset0:60 offset1:61
	v_pk_add_f32 v[16:17], v[16:17], v[144:145] neg_lo:[0,1] neg_hi:[0,1]
	s_wait_dscnt 0x0
	v_pk_mul_f32 v[144:145], v[140:141], v[132:133] op_sel:[0,1]
	v_pk_mul_f32 v[132:133], v[142:143], v[132:133] op_sel:[0,1]
	s_delay_alu instid0(VALU_DEP_2) | instskip(SKIP_1) | instid1(VALU_DEP_1)
	v_pk_fma_f32 v[146:147], v[140:141], v[130:131], v[144:145] op_sel:[0,0,1] op_sel_hi:[1,1,0] neg_lo:[0,0,1] neg_hi:[0,0,1]
	v_pk_fma_f32 v[140:141], v[140:141], v[130:131], v[144:145] op_sel:[0,0,1] op_sel_hi:[1,0,0]
	v_mov_b32_e32 v147, v141
	s_delay_alu instid0(VALU_DEP_4) | instskip(SKIP_1) | instid1(VALU_DEP_1)
	v_pk_fma_f32 v[140:141], v[142:143], v[130:131], v[132:133] op_sel:[0,0,1] op_sel_hi:[1,1,0] neg_lo:[0,0,1] neg_hi:[0,0,1]
	v_pk_fma_f32 v[130:131], v[142:143], v[130:131], v[132:133] op_sel:[0,0,1] op_sel_hi:[1,0,0]
	v_mov_b32_e32 v141, v131
	s_delay_alu instid0(VALU_DEP_4) | instskip(NEXT) | instid1(VALU_DEP_2)
	v_pk_add_f32 v[14:15], v[14:15], v[146:147] neg_lo:[0,1] neg_hi:[0,1]
	v_pk_add_f32 v[128:129], v[128:129], v[140:141] neg_lo:[0,1] neg_hi:[0,1]
.LBB122_125:
	s_or_b32 exec_lo, exec_lo, s0
	v_lshl_add_u32 v130, v138, 3, v134
	s_barrier_signal -1
	s_barrier_wait -1
	ds_store_b64 v130, v[94:95]
	s_wait_dscnt 0x0
	s_barrier_signal -1
	s_barrier_wait -1
	ds_load_b64 v[132:133], v134 offset:48
	v_mov_b32_e32 v130, 6
	s_cmp_lt_i32 s18, 8
	s_cbranch_scc1 .LBB122_128
; %bb.126:
	v_add3_u32 v131, v135, 0, 56
	v_mov_b32_e32 v130, 6
	s_mov_b32 s0, 7
.LBB122_127:                            ; =>This Inner Loop Header: Depth=1
	ds_load_b64 v[140:141], v131
	s_wait_dscnt 0x1
	v_cmp_gt_f32_e32 vcc_lo, 0, v132
	v_cndmask_b32_e64 v142, v132, -v132, vcc_lo
	v_cmp_gt_f32_e32 vcc_lo, 0, v133
	v_cndmask_b32_e64 v144, v133, -v133, vcc_lo
	s_wait_dscnt 0x0
	v_cmp_gt_f32_e32 vcc_lo, 0, v140
	v_cndmask_b32_e64 v143, v140, -v140, vcc_lo
	v_cmp_gt_f32_e32 vcc_lo, 0, v141
	v_cndmask_b32_e64 v145, v141, -v141, vcc_lo
	s_delay_alu instid0(VALU_DEP_1) | instskip(NEXT) | instid1(VALU_DEP_1)
	v_pk_add_f32 v[142:143], v[142:143], v[144:145]
	v_cmp_lt_f32_e32 vcc_lo, v142, v143
	v_dual_add_nc_u32 v131, 8, v131 :: v_dual_cndmask_b32 v133, v133, v141, vcc_lo
	v_cndmask_b32_e32 v132, v132, v140, vcc_lo
	v_cndmask_b32_e64 v130, v130, s0, vcc_lo
	s_add_co_i32 s0, s0, 1
	s_delay_alu instid0(SALU_CYCLE_1)
	s_cmp_lg_u32 s18, s0
	s_cbranch_scc1 .LBB122_127
.LBB122_128:
	s_wait_dscnt 0x0
	v_cmp_eq_f32_e32 vcc_lo, 0, v132
	v_cmp_eq_f32_e64 s0, 0, v133
	s_and_b32 s0, vcc_lo, s0
	s_delay_alu instid0(SALU_CYCLE_1) | instskip(NEXT) | instid1(SALU_CYCLE_1)
	s_and_saveexec_b32 s1, s0
	s_xor_b32 s0, exec_lo, s1
; %bb.129:
	v_cmp_ne_u32_e32 vcc_lo, 0, v136
	v_cndmask_b32_e32 v136, 7, v136, vcc_lo
; %bb.130:
	s_and_not1_saveexec_b32 s0, s0
	s_cbranch_execz .LBB122_136
; %bb.131:
	v_cmp_ngt_f32_e64 s1, |v132|, |v133|
	s_and_saveexec_b32 s12, s1
	s_delay_alu instid0(SALU_CYCLE_1)
	s_xor_b32 s1, exec_lo, s12
	s_cbranch_execz .LBB122_133
; %bb.132:
	v_div_scale_f32 v131, null, v133, v133, v132
	v_div_scale_f32 v141, vcc_lo, v132, v133, v132
	s_delay_alu instid0(VALU_DEP_2) | instskip(SKIP_1) | instid1(TRANS32_DEP_1)
	v_rcp_f32_e32 v139, v131
	v_nop
	v_fma_f32 v140, -v131, v139, 1.0
	s_delay_alu instid0(VALU_DEP_1) | instskip(NEXT) | instid1(VALU_DEP_1)
	v_fmac_f32_e32 v139, v140, v139
	v_mul_f32_e32 v140, v141, v139
	s_delay_alu instid0(VALU_DEP_1) | instskip(NEXT) | instid1(VALU_DEP_1)
	v_fma_f32 v142, -v131, v140, v141
	v_fmac_f32_e32 v140, v142, v139
	s_delay_alu instid0(VALU_DEP_1) | instskip(NEXT) | instid1(VALU_DEP_1)
	v_fma_f32 v131, -v131, v140, v141
	v_div_fmas_f32 v131, v131, v139, v140
	s_delay_alu instid0(VALU_DEP_1) | instskip(NEXT) | instid1(VALU_DEP_1)
	v_div_fixup_f32 v131, v131, v133, v132
	v_fmac_f32_e32 v133, v132, v131
	s_delay_alu instid0(VALU_DEP_1) | instskip(SKIP_1) | instid1(VALU_DEP_2)
	v_div_scale_f32 v132, null, v133, v133, 1.0
	v_div_scale_f32 v141, vcc_lo, 1.0, v133, 1.0
	v_rcp_f32_e32 v139, v132
	v_nop
	s_delay_alu instid0(TRANS32_DEP_1) | instskip(NEXT) | instid1(VALU_DEP_1)
	v_fma_f32 v140, -v132, v139, 1.0
	v_fmac_f32_e32 v139, v140, v139
	s_delay_alu instid0(VALU_DEP_1) | instskip(NEXT) | instid1(VALU_DEP_1)
	v_mul_f32_e32 v140, v141, v139
	v_fma_f32 v142, -v132, v140, v141
	s_delay_alu instid0(VALU_DEP_1) | instskip(NEXT) | instid1(VALU_DEP_1)
	v_fmac_f32_e32 v140, v142, v139
	v_fma_f32 v132, -v132, v140, v141
	s_delay_alu instid0(VALU_DEP_1) | instskip(NEXT) | instid1(VALU_DEP_1)
	v_div_fmas_f32 v132, v132, v139, v140
	v_div_fixup_f32 v133, v132, v133, 1.0
	s_delay_alu instid0(VALU_DEP_1)
	v_mul_f32_e32 v132, v131, v133
	v_xor_b32_e32 v133, 0x80000000, v133
.LBB122_133:
	s_and_not1_saveexec_b32 s1, s1
	s_cbranch_execz .LBB122_135
; %bb.134:
	s_delay_alu instid0(VALU_DEP_1) | instskip(SKIP_1) | instid1(VALU_DEP_2)
	v_div_scale_f32 v131, null, v132, v132, v133
	v_div_scale_f32 v141, vcc_lo, v133, v132, v133
	v_rcp_f32_e32 v139, v131
	v_nop
	s_delay_alu instid0(TRANS32_DEP_1) | instskip(NEXT) | instid1(VALU_DEP_1)
	v_fma_f32 v140, -v131, v139, 1.0
	v_fmac_f32_e32 v139, v140, v139
	s_delay_alu instid0(VALU_DEP_1) | instskip(NEXT) | instid1(VALU_DEP_1)
	v_mul_f32_e32 v140, v141, v139
	v_fma_f32 v142, -v131, v140, v141
	s_delay_alu instid0(VALU_DEP_1) | instskip(NEXT) | instid1(VALU_DEP_1)
	v_fmac_f32_e32 v140, v142, v139
	v_fma_f32 v131, -v131, v140, v141
	s_delay_alu instid0(VALU_DEP_1) | instskip(NEXT) | instid1(VALU_DEP_1)
	v_div_fmas_f32 v131, v131, v139, v140
	v_div_fixup_f32 v131, v131, v132, v133
	s_delay_alu instid0(VALU_DEP_1) | instskip(NEXT) | instid1(VALU_DEP_1)
	v_fmac_f32_e32 v132, v133, v131
	v_div_scale_f32 v133, null, v132, v132, 1.0
	s_delay_alu instid0(VALU_DEP_1) | instskip(SKIP_1) | instid1(TRANS32_DEP_1)
	v_rcp_f32_e32 v139, v133
	v_nop
	v_fma_f32 v140, -v133, v139, 1.0
	s_delay_alu instid0(VALU_DEP_1) | instskip(SKIP_1) | instid1(VALU_DEP_1)
	v_fmac_f32_e32 v139, v140, v139
	v_div_scale_f32 v140, vcc_lo, 1.0, v132, 1.0
	v_mul_f32_e32 v141, v140, v139
	s_delay_alu instid0(VALU_DEP_1) | instskip(NEXT) | instid1(VALU_DEP_1)
	v_fma_f32 v142, -v133, v141, v140
	v_fmac_f32_e32 v141, v142, v139
	s_delay_alu instid0(VALU_DEP_1) | instskip(NEXT) | instid1(VALU_DEP_1)
	v_fma_f32 v133, -v133, v141, v140
	v_div_fmas_f32 v133, v133, v139, v141
	s_delay_alu instid0(VALU_DEP_1) | instskip(NEXT) | instid1(VALU_DEP_1)
	v_div_fixup_f32 v132, v133, v132, 1.0
	v_mul_f32_e64 v133, v131, -v132
.LBB122_135:
	s_or_b32 exec_lo, exec_lo, s1
.LBB122_136:
	s_delay_alu instid0(SALU_CYCLE_1) | instskip(NEXT) | instid1(SALU_CYCLE_1)
	s_or_b32 exec_lo, exec_lo, s0
	s_mov_b32 s0, exec_lo
	v_cmpx_ne_u32_e64 v138, v130
	s_xor_b32 s0, exec_lo, s0
	s_cbranch_execz .LBB122_142
; %bb.137:
	s_mov_b32 s1, exec_lo
	v_cmpx_eq_u32_e32 6, v138
	s_cbranch_execz .LBB122_141
; %bb.138:
	v_cmp_ne_u32_e32 vcc_lo, 6, v130
	s_xor_b32 s12, s16, -1
	s_delay_alu instid0(SALU_CYCLE_1) | instskip(NEXT) | instid1(SALU_CYCLE_1)
	s_and_b32 s13, s12, vcc_lo
	s_and_saveexec_b32 s12, s13
	s_cbranch_execz .LBB122_140
; %bb.139:
	v_ashrrev_i32_e32 v131, 31, v130
	s_delay_alu instid0(VALU_DEP_1)
	v_lshl_add_u64 v[138:139], v[130:131], 2, v[4:5]
	s_clause 0x1
	global_load_b32 v131, v[138:139], off
	global_load_b32 v137, v[4:5], off offset:24
	s_wait_loadcnt 0x1
	global_store_b32 v[4:5], v131, off offset:24
	s_wait_loadcnt 0x0
	global_store_b32 v[138:139], v137, off
.LBB122_140:
	s_wait_xcnt 0x0
	s_or_b32 exec_lo, exec_lo, s12
	v_dual_mov_b32 v138, v130 :: v_dual_mov_b32 v137, v130
.LBB122_141:
	s_or_b32 exec_lo, exec_lo, s1
.LBB122_142:
	s_and_not1_saveexec_b32 s0, s0
	s_cbranch_execz .LBB122_144
; %bb.143:
	v_mov_b32_e32 v138, 6
	ds_store_2addr_b64 v134, v[90:91], v[116:117] offset0:7 offset1:8
	ds_store_2addr_b64 v134, v[84:85], v[88:89] offset0:9 offset1:10
	;; [unrolled: 1-line block ×27, first 2 shown]
	ds_store_b64 v134, v[128:129] offset:488
.LBB122_144:
	s_or_b32 exec_lo, exec_lo, s0
	s_delay_alu instid0(SALU_CYCLE_1)
	s_mov_b32 s0, exec_lo
	s_wait_storecnt_dscnt 0x0
	s_barrier_signal -1
	s_barrier_wait -1
	v_cmpx_lt_i32_e32 6, v138
	s_cbranch_execz .LBB122_146
; %bb.145:
	v_pk_mul_f32 v[140:141], v[132:133], v[94:95] op_sel:[1,1] op_sel_hi:[0,1]
	s_delay_alu instid0(VALU_DEP_1)
	v_pk_fma_f32 v[130:131], v[132:133], v[94:95], v[140:141] op_sel_hi:[1,0,1] neg_lo:[0,0,1] neg_hi:[0,0,1]
	v_pk_fma_f32 v[132:133], v[132:133], v[94:95], v[140:141] op_sel_hi:[1,0,1]
	ds_load_2addr_b64 v[140:143], v134 offset0:7 offset1:8
	v_dual_mov_b32 v94, v130 :: v_dual_mov_b32 v95, v133
	s_wait_dscnt 0x0
	v_pk_mul_f32 v[144:145], v[140:141], v[132:133] op_sel:[0,1]
	s_delay_alu instid0(VALU_DEP_1) | instskip(SKIP_1) | instid1(VALU_DEP_1)
	v_pk_fma_f32 v[146:147], v[140:141], v[130:131], v[144:145] op_sel:[0,0,1] op_sel_hi:[1,1,0] neg_lo:[0,0,1] neg_hi:[0,0,1]
	v_pk_fma_f32 v[140:141], v[140:141], v[130:131], v[144:145] op_sel:[0,0,1] op_sel_hi:[1,0,0]
	v_mov_b32_e32 v147, v141
	v_pk_mul_f32 v[140:141], v[142:143], v[132:133] op_sel:[0,1]
	s_delay_alu instid0(VALU_DEP_1) | instskip(SKIP_1) | instid1(VALU_DEP_1)
	v_pk_fma_f32 v[144:145], v[142:143], v[130:131], v[140:141] op_sel:[0,0,1] op_sel_hi:[1,1,0] neg_lo:[0,0,1] neg_hi:[0,0,1]
	v_pk_fma_f32 v[140:141], v[142:143], v[130:131], v[140:141] op_sel:[0,0,1] op_sel_hi:[1,0,0]
	v_mov_b32_e32 v145, v141
	ds_load_2addr_b64 v[140:143], v134 offset0:9 offset1:10
	v_pk_add_f32 v[90:91], v[90:91], v[146:147] neg_lo:[0,1] neg_hi:[0,1]
	v_pk_add_f32 v[116:117], v[116:117], v[144:145] neg_lo:[0,1] neg_hi:[0,1]
	s_wait_dscnt 0x0
	v_pk_mul_f32 v[144:145], v[140:141], v[132:133] op_sel:[0,1]
	s_delay_alu instid0(VALU_DEP_1) | instskip(SKIP_2) | instid1(VALU_DEP_2)
	v_pk_fma_f32 v[146:147], v[140:141], v[130:131], v[144:145] op_sel:[0,0,1] op_sel_hi:[1,1,0] neg_lo:[0,0,1] neg_hi:[0,0,1]
	v_pk_fma_f32 v[140:141], v[140:141], v[130:131], v[144:145] op_sel:[0,0,1] op_sel_hi:[1,0,0]
	v_dual_mul_f32 v144, v143, v133 :: v_dual_mov_b32 v140, v143
	v_dual_mov_b32 v147, v141 :: v_dual_mov_b32 v141, v142
	s_delay_alu instid0(VALU_DEP_2) | instskip(SKIP_1) | instid1(VALU_DEP_3)
	v_pk_fma_f32 v[144:145], v[142:143], v[94:95], v[144:145] op_sel_hi:[1,1,0] neg_lo:[0,0,1] neg_hi:[0,0,1]
	v_mul_f32_e32 v142, v143, v130
	v_pk_add_f32 v[84:85], v[84:85], v[146:147] neg_lo:[0,1] neg_hi:[0,1]
	s_delay_alu instid0(VALU_DEP_2) | instskip(NEXT) | instid1(VALU_DEP_1)
	v_pk_fma_f32 v[140:141], v[140:141], v[94:95], v[142:143] op_sel_hi:[1,1,0]
	v_mov_b32_e32 v145, v141
	ds_load_2addr_b64 v[140:143], v134 offset0:11 offset1:12
	v_pk_add_f32 v[88:89], v[88:89], v[144:145] neg_lo:[0,1] neg_hi:[0,1]
	s_wait_dscnt 0x0
	v_pk_mul_f32 v[144:145], v[140:141], v[132:133] op_sel:[0,1]
	s_delay_alu instid0(VALU_DEP_1) | instskip(SKIP_1) | instid1(VALU_DEP_1)
	v_pk_fma_f32 v[146:147], v[140:141], v[130:131], v[144:145] op_sel:[0,0,1] op_sel_hi:[1,1,0] neg_lo:[0,0,1] neg_hi:[0,0,1]
	v_pk_fma_f32 v[140:141], v[140:141], v[130:131], v[144:145] op_sel:[0,0,1] op_sel_hi:[1,0,0]
	v_mov_b32_e32 v147, v141
	v_pk_mul_f32 v[140:141], v[142:143], v[132:133] op_sel:[0,1]
	s_delay_alu instid0(VALU_DEP_1) | instskip(SKIP_1) | instid1(VALU_DEP_1)
	v_pk_fma_f32 v[144:145], v[142:143], v[130:131], v[140:141] op_sel:[0,0,1] op_sel_hi:[1,1,0] neg_lo:[0,0,1] neg_hi:[0,0,1]
	v_pk_fma_f32 v[140:141], v[142:143], v[130:131], v[140:141] op_sel:[0,0,1] op_sel_hi:[1,0,0]
	v_mov_b32_e32 v145, v141
	ds_load_2addr_b64 v[140:143], v134 offset0:13 offset1:14
	v_pk_add_f32 v[82:83], v[82:83], v[146:147] neg_lo:[0,1] neg_hi:[0,1]
	v_pk_add_f32 v[114:115], v[114:115], v[144:145] neg_lo:[0,1] neg_hi:[0,1]
	s_wait_dscnt 0x0
	v_pk_mul_f32 v[144:145], v[140:141], v[132:133] op_sel:[0,1]
	s_delay_alu instid0(VALU_DEP_1) | instskip(SKIP_1) | instid1(VALU_DEP_1)
	v_pk_fma_f32 v[146:147], v[140:141], v[130:131], v[144:145] op_sel:[0,0,1] op_sel_hi:[1,1,0] neg_lo:[0,0,1] neg_hi:[0,0,1]
	v_pk_fma_f32 v[140:141], v[140:141], v[130:131], v[144:145] op_sel:[0,0,1] op_sel_hi:[1,0,0]
	v_mov_b32_e32 v147, v141
	v_pk_mul_f32 v[140:141], v[142:143], v[132:133] op_sel:[0,1]
	s_delay_alu instid0(VALU_DEP_1) | instskip(SKIP_1) | instid1(VALU_DEP_1)
	v_pk_fma_f32 v[144:145], v[142:143], v[130:131], v[140:141] op_sel:[0,0,1] op_sel_hi:[1,1,0] neg_lo:[0,0,1] neg_hi:[0,0,1]
	v_pk_fma_f32 v[140:141], v[142:143], v[130:131], v[140:141] op_sel:[0,0,1] op_sel_hi:[1,0,0]
	v_mov_b32_e32 v145, v141
	ds_load_2addr_b64 v[140:143], v134 offset0:15 offset1:16
	v_pk_add_f32 v[78:79], v[78:79], v[146:147] neg_lo:[0,1] neg_hi:[0,1]
	v_pk_add_f32 v[80:81], v[80:81], v[144:145] neg_lo:[0,1] neg_hi:[0,1]
	s_wait_dscnt 0x0
	v_dual_mul_f32 v144, v141, v133 :: v_dual_mul_f32 v146, v141, v130
	s_delay_alu instid0(VALU_DEP_1) | instskip(NEXT) | instid1(VALU_DEP_2)
	v_pk_fma_f32 v[144:145], v[140:141], v[94:95], v[144:145] op_sel_hi:[1,1,0] neg_lo:[0,0,1] neg_hi:[0,0,1]
	v_pk_fma_f32 v[140:141], v[140:141], v[94:95], v[146:147] op_sel:[1,0,0] op_sel_hi:[0,1,0]
	s_delay_alu instid0(VALU_DEP_1) | instskip(SKIP_1) | instid1(VALU_DEP_2)
	v_mov_b32_e32 v145, v141
	v_pk_mul_f32 v[140:141], v[142:143], v[132:133] op_sel:[0,1]
	v_pk_add_f32 v[76:77], v[76:77], v[144:145] neg_lo:[0,1] neg_hi:[0,1]
	s_delay_alu instid0(VALU_DEP_2) | instskip(SKIP_1) | instid1(VALU_DEP_1)
	v_pk_fma_f32 v[144:145], v[142:143], v[130:131], v[140:141] op_sel:[0,0,1] op_sel_hi:[1,1,0] neg_lo:[0,0,1] neg_hi:[0,0,1]
	v_pk_fma_f32 v[140:141], v[142:143], v[130:131], v[140:141] op_sel:[0,0,1] op_sel_hi:[1,0,0]
	v_mov_b32_e32 v145, v141
	ds_load_2addr_b64 v[140:143], v134 offset0:17 offset1:18
	v_pk_add_f32 v[112:113], v[112:113], v[144:145] neg_lo:[0,1] neg_hi:[0,1]
	s_wait_dscnt 0x0
	v_pk_mul_f32 v[144:145], v[140:141], v[132:133] op_sel:[0,1]
	s_delay_alu instid0(VALU_DEP_1) | instskip(SKIP_1) | instid1(VALU_DEP_1)
	v_pk_fma_f32 v[146:147], v[140:141], v[130:131], v[144:145] op_sel:[0,0,1] op_sel_hi:[1,1,0] neg_lo:[0,0,1] neg_hi:[0,0,1]
	v_pk_fma_f32 v[140:141], v[140:141], v[130:131], v[144:145] op_sel:[0,0,1] op_sel_hi:[1,0,0]
	v_mov_b32_e32 v147, v141
	v_pk_mul_f32 v[140:141], v[142:143], v[132:133] op_sel:[0,1]
	s_delay_alu instid0(VALU_DEP_2) | instskip(NEXT) | instid1(VALU_DEP_2)
	v_pk_add_f32 v[72:73], v[72:73], v[146:147] neg_lo:[0,1] neg_hi:[0,1]
	v_pk_fma_f32 v[144:145], v[142:143], v[130:131], v[140:141] op_sel:[0,0,1] op_sel_hi:[1,1,0] neg_lo:[0,0,1] neg_hi:[0,0,1]
	v_pk_fma_f32 v[140:141], v[142:143], v[130:131], v[140:141] op_sel:[0,0,1] op_sel_hi:[1,0,0]
	s_delay_alu instid0(VALU_DEP_1) | instskip(SKIP_4) | instid1(VALU_DEP_1)
	v_mov_b32_e32 v145, v141
	ds_load_2addr_b64 v[140:143], v134 offset0:19 offset1:20
	v_pk_add_f32 v[74:75], v[74:75], v[144:145] neg_lo:[0,1] neg_hi:[0,1]
	s_wait_dscnt 0x0
	v_pk_mul_f32 v[144:145], v[140:141], v[132:133] op_sel:[0,1]
	v_pk_fma_f32 v[146:147], v[140:141], v[130:131], v[144:145] op_sel:[0,0,1] op_sel_hi:[1,1,0] neg_lo:[0,0,1] neg_hi:[0,0,1]
	v_pk_fma_f32 v[140:141], v[140:141], v[130:131], v[144:145] op_sel:[0,0,1] op_sel_hi:[1,0,0]
	v_dual_mul_f32 v144, v143, v133 :: v_dual_mov_b32 v140, v143
	s_delay_alu instid0(VALU_DEP_2) | instskip(NEXT) | instid1(VALU_DEP_2)
	v_dual_mov_b32 v147, v141 :: v_dual_mov_b32 v141, v142
	v_pk_fma_f32 v[144:145], v[142:143], v[94:95], v[144:145] op_sel_hi:[1,1,0] neg_lo:[0,0,1] neg_hi:[0,0,1]
	v_mul_f32_e32 v142, v143, v130
	s_delay_alu instid0(VALU_DEP_3) | instskip(NEXT) | instid1(VALU_DEP_2)
	v_pk_add_f32 v[70:71], v[70:71], v[146:147] neg_lo:[0,1] neg_hi:[0,1]
	v_pk_fma_f32 v[140:141], v[140:141], v[94:95], v[142:143] op_sel_hi:[1,1,0]
	s_delay_alu instid0(VALU_DEP_1) | instskip(SKIP_4) | instid1(VALU_DEP_1)
	v_mov_b32_e32 v145, v141
	ds_load_2addr_b64 v[140:143], v134 offset0:21 offset1:22
	v_pk_add_f32 v[110:111], v[110:111], v[144:145] neg_lo:[0,1] neg_hi:[0,1]
	s_wait_dscnt 0x0
	v_pk_mul_f32 v[144:145], v[140:141], v[132:133] op_sel:[0,1]
	v_pk_fma_f32 v[146:147], v[140:141], v[130:131], v[144:145] op_sel:[0,0,1] op_sel_hi:[1,1,0] neg_lo:[0,0,1] neg_hi:[0,0,1]
	v_pk_fma_f32 v[140:141], v[140:141], v[130:131], v[144:145] op_sel:[0,0,1] op_sel_hi:[1,0,0]
	s_delay_alu instid0(VALU_DEP_1) | instskip(SKIP_1) | instid1(VALU_DEP_1)
	v_mov_b32_e32 v147, v141
	v_pk_mul_f32 v[140:141], v[142:143], v[132:133] op_sel:[0,1]
	v_pk_fma_f32 v[144:145], v[142:143], v[130:131], v[140:141] op_sel:[0,0,1] op_sel_hi:[1,1,0] neg_lo:[0,0,1] neg_hi:[0,0,1]
	v_pk_fma_f32 v[140:141], v[142:143], v[130:131], v[140:141] op_sel:[0,0,1] op_sel_hi:[1,0,0]
	s_delay_alu instid0(VALU_DEP_1)
	v_mov_b32_e32 v145, v141
	ds_load_2addr_b64 v[140:143], v134 offset0:23 offset1:24
	v_pk_add_f32 v[66:67], v[66:67], v[146:147] neg_lo:[0,1] neg_hi:[0,1]
	v_pk_add_f32 v[68:69], v[68:69], v[144:145] neg_lo:[0,1] neg_hi:[0,1]
	s_wait_dscnt 0x0
	v_pk_mul_f32 v[144:145], v[140:141], v[132:133] op_sel:[0,1]
	s_delay_alu instid0(VALU_DEP_1) | instskip(SKIP_1) | instid1(VALU_DEP_1)
	v_pk_fma_f32 v[146:147], v[140:141], v[130:131], v[144:145] op_sel:[0,0,1] op_sel_hi:[1,1,0] neg_lo:[0,0,1] neg_hi:[0,0,1]
	v_pk_fma_f32 v[140:141], v[140:141], v[130:131], v[144:145] op_sel:[0,0,1] op_sel_hi:[1,0,0]
	v_mov_b32_e32 v147, v141
	v_pk_mul_f32 v[140:141], v[142:143], v[132:133] op_sel:[0,1]
	s_delay_alu instid0(VALU_DEP_1) | instskip(SKIP_1) | instid1(VALU_DEP_1)
	v_pk_fma_f32 v[144:145], v[142:143], v[130:131], v[140:141] op_sel:[0,0,1] op_sel_hi:[1,1,0] neg_lo:[0,0,1] neg_hi:[0,0,1]
	v_pk_fma_f32 v[140:141], v[142:143], v[130:131], v[140:141] op_sel:[0,0,1] op_sel_hi:[1,0,0]
	v_mov_b32_e32 v145, v141
	ds_load_2addr_b64 v[140:143], v134 offset0:25 offset1:26
	v_pk_add_f32 v[64:65], v[64:65], v[146:147] neg_lo:[0,1] neg_hi:[0,1]
	v_pk_add_f32 v[108:109], v[108:109], v[144:145] neg_lo:[0,1] neg_hi:[0,1]
	s_wait_dscnt 0x0
	v_dual_mul_f32 v144, v141, v133 :: v_dual_mul_f32 v146, v141, v130
	s_delay_alu instid0(VALU_DEP_1) | instskip(NEXT) | instid1(VALU_DEP_2)
	v_pk_fma_f32 v[144:145], v[140:141], v[94:95], v[144:145] op_sel_hi:[1,1,0] neg_lo:[0,0,1] neg_hi:[0,0,1]
	v_pk_fma_f32 v[140:141], v[140:141], v[94:95], v[146:147] op_sel:[1,0,0] op_sel_hi:[0,1,0]
	s_delay_alu instid0(VALU_DEP_1) | instskip(SKIP_1) | instid1(VALU_DEP_2)
	v_mov_b32_e32 v145, v141
	v_pk_mul_f32 v[140:141], v[142:143], v[132:133] op_sel:[0,1]
	v_pk_add_f32 v[60:61], v[60:61], v[144:145] neg_lo:[0,1] neg_hi:[0,1]
	s_delay_alu instid0(VALU_DEP_2) | instskip(SKIP_1) | instid1(VALU_DEP_1)
	v_pk_fma_f32 v[144:145], v[142:143], v[130:131], v[140:141] op_sel:[0,0,1] op_sel_hi:[1,1,0] neg_lo:[0,0,1] neg_hi:[0,0,1]
	v_pk_fma_f32 v[140:141], v[142:143], v[130:131], v[140:141] op_sel:[0,0,1] op_sel_hi:[1,0,0]
	v_mov_b32_e32 v145, v141
	ds_load_2addr_b64 v[140:143], v134 offset0:27 offset1:28
	v_pk_add_f32 v[62:63], v[62:63], v[144:145] neg_lo:[0,1] neg_hi:[0,1]
	s_wait_dscnt 0x0
	v_pk_mul_f32 v[144:145], v[140:141], v[132:133] op_sel:[0,1]
	s_delay_alu instid0(VALU_DEP_1) | instskip(SKIP_1) | instid1(VALU_DEP_1)
	v_pk_fma_f32 v[146:147], v[140:141], v[130:131], v[144:145] op_sel:[0,0,1] op_sel_hi:[1,1,0] neg_lo:[0,0,1] neg_hi:[0,0,1]
	v_pk_fma_f32 v[140:141], v[140:141], v[130:131], v[144:145] op_sel:[0,0,1] op_sel_hi:[1,0,0]
	v_mov_b32_e32 v147, v141
	v_pk_mul_f32 v[140:141], v[142:143], v[132:133] op_sel:[0,1]
	s_delay_alu instid0(VALU_DEP_2) | instskip(NEXT) | instid1(VALU_DEP_2)
	v_pk_add_f32 v[58:59], v[58:59], v[146:147] neg_lo:[0,1] neg_hi:[0,1]
	v_pk_fma_f32 v[144:145], v[142:143], v[130:131], v[140:141] op_sel:[0,0,1] op_sel_hi:[1,1,0] neg_lo:[0,0,1] neg_hi:[0,0,1]
	v_pk_fma_f32 v[140:141], v[142:143], v[130:131], v[140:141] op_sel:[0,0,1] op_sel_hi:[1,0,0]
	s_delay_alu instid0(VALU_DEP_1) | instskip(SKIP_4) | instid1(VALU_DEP_1)
	v_mov_b32_e32 v145, v141
	ds_load_2addr_b64 v[140:143], v134 offset0:29 offset1:30
	v_pk_add_f32 v[106:107], v[106:107], v[144:145] neg_lo:[0,1] neg_hi:[0,1]
	s_wait_dscnt 0x0
	v_pk_mul_f32 v[144:145], v[140:141], v[132:133] op_sel:[0,1]
	v_pk_fma_f32 v[146:147], v[140:141], v[130:131], v[144:145] op_sel:[0,0,1] op_sel_hi:[1,1,0] neg_lo:[0,0,1] neg_hi:[0,0,1]
	v_pk_fma_f32 v[140:141], v[140:141], v[130:131], v[144:145] op_sel:[0,0,1] op_sel_hi:[1,0,0]
	v_dual_mul_f32 v144, v143, v133 :: v_dual_mov_b32 v140, v143
	s_delay_alu instid0(VALU_DEP_2) | instskip(NEXT) | instid1(VALU_DEP_2)
	v_dual_mov_b32 v147, v141 :: v_dual_mov_b32 v141, v142
	v_pk_fma_f32 v[144:145], v[142:143], v[94:95], v[144:145] op_sel_hi:[1,1,0] neg_lo:[0,0,1] neg_hi:[0,0,1]
	v_mul_f32_e32 v142, v143, v130
	s_delay_alu instid0(VALU_DEP_3) | instskip(NEXT) | instid1(VALU_DEP_2)
	v_pk_add_f32 v[54:55], v[54:55], v[146:147] neg_lo:[0,1] neg_hi:[0,1]
	v_pk_fma_f32 v[140:141], v[140:141], v[94:95], v[142:143] op_sel_hi:[1,1,0]
	s_delay_alu instid0(VALU_DEP_1) | instskip(SKIP_4) | instid1(VALU_DEP_1)
	v_mov_b32_e32 v145, v141
	ds_load_2addr_b64 v[140:143], v134 offset0:31 offset1:32
	v_pk_add_f32 v[56:57], v[56:57], v[144:145] neg_lo:[0,1] neg_hi:[0,1]
	s_wait_dscnt 0x0
	v_pk_mul_f32 v[144:145], v[140:141], v[132:133] op_sel:[0,1]
	v_pk_fma_f32 v[146:147], v[140:141], v[130:131], v[144:145] op_sel:[0,0,1] op_sel_hi:[1,1,0] neg_lo:[0,0,1] neg_hi:[0,0,1]
	v_pk_fma_f32 v[140:141], v[140:141], v[130:131], v[144:145] op_sel:[0,0,1] op_sel_hi:[1,0,0]
	s_delay_alu instid0(VALU_DEP_1) | instskip(SKIP_1) | instid1(VALU_DEP_1)
	v_mov_b32_e32 v147, v141
	v_pk_mul_f32 v[140:141], v[142:143], v[132:133] op_sel:[0,1]
	v_pk_fma_f32 v[144:145], v[142:143], v[130:131], v[140:141] op_sel:[0,0,1] op_sel_hi:[1,1,0] neg_lo:[0,0,1] neg_hi:[0,0,1]
	v_pk_fma_f32 v[140:141], v[142:143], v[130:131], v[140:141] op_sel:[0,0,1] op_sel_hi:[1,0,0]
	s_delay_alu instid0(VALU_DEP_1)
	v_mov_b32_e32 v145, v141
	ds_load_2addr_b64 v[140:143], v134 offset0:33 offset1:34
	v_pk_add_f32 v[52:53], v[52:53], v[146:147] neg_lo:[0,1] neg_hi:[0,1]
	v_pk_add_f32 v[104:105], v[104:105], v[144:145] neg_lo:[0,1] neg_hi:[0,1]
	s_wait_dscnt 0x0
	v_pk_mul_f32 v[144:145], v[140:141], v[132:133] op_sel:[0,1]
	s_delay_alu instid0(VALU_DEP_1) | instskip(SKIP_1) | instid1(VALU_DEP_1)
	v_pk_fma_f32 v[146:147], v[140:141], v[130:131], v[144:145] op_sel:[0,0,1] op_sel_hi:[1,1,0] neg_lo:[0,0,1] neg_hi:[0,0,1]
	v_pk_fma_f32 v[140:141], v[140:141], v[130:131], v[144:145] op_sel:[0,0,1] op_sel_hi:[1,0,0]
	v_mov_b32_e32 v147, v141
	v_pk_mul_f32 v[140:141], v[142:143], v[132:133] op_sel:[0,1]
	s_delay_alu instid0(VALU_DEP_1) | instskip(SKIP_1) | instid1(VALU_DEP_1)
	v_pk_fma_f32 v[144:145], v[142:143], v[130:131], v[140:141] op_sel:[0,0,1] op_sel_hi:[1,1,0] neg_lo:[0,0,1] neg_hi:[0,0,1]
	v_pk_fma_f32 v[140:141], v[142:143], v[130:131], v[140:141] op_sel:[0,0,1] op_sel_hi:[1,0,0]
	v_mov_b32_e32 v145, v141
	ds_load_2addr_b64 v[140:143], v134 offset0:35 offset1:36
	v_pk_add_f32 v[48:49], v[48:49], v[146:147] neg_lo:[0,1] neg_hi:[0,1]
	v_pk_add_f32 v[50:51], v[50:51], v[144:145] neg_lo:[0,1] neg_hi:[0,1]
	s_wait_dscnt 0x0
	v_dual_mul_f32 v144, v141, v133 :: v_dual_mul_f32 v146, v141, v130
	s_delay_alu instid0(VALU_DEP_1) | instskip(NEXT) | instid1(VALU_DEP_2)
	v_pk_fma_f32 v[144:145], v[140:141], v[94:95], v[144:145] op_sel_hi:[1,1,0] neg_lo:[0,0,1] neg_hi:[0,0,1]
	v_pk_fma_f32 v[140:141], v[140:141], v[94:95], v[146:147] op_sel:[1,0,0] op_sel_hi:[0,1,0]
	s_delay_alu instid0(VALU_DEP_1) | instskip(SKIP_1) | instid1(VALU_DEP_2)
	v_mov_b32_e32 v145, v141
	v_pk_mul_f32 v[140:141], v[142:143], v[132:133] op_sel:[0,1]
	v_pk_add_f32 v[46:47], v[46:47], v[144:145] neg_lo:[0,1] neg_hi:[0,1]
	s_delay_alu instid0(VALU_DEP_2) | instskip(SKIP_1) | instid1(VALU_DEP_1)
	v_pk_fma_f32 v[144:145], v[142:143], v[130:131], v[140:141] op_sel:[0,0,1] op_sel_hi:[1,1,0] neg_lo:[0,0,1] neg_hi:[0,0,1]
	v_pk_fma_f32 v[140:141], v[142:143], v[130:131], v[140:141] op_sel:[0,0,1] op_sel_hi:[1,0,0]
	v_mov_b32_e32 v145, v141
	ds_load_2addr_b64 v[140:143], v134 offset0:37 offset1:38
	v_pk_add_f32 v[102:103], v[102:103], v[144:145] neg_lo:[0,1] neg_hi:[0,1]
	s_wait_dscnt 0x0
	v_pk_mul_f32 v[144:145], v[140:141], v[132:133] op_sel:[0,1]
	s_delay_alu instid0(VALU_DEP_1) | instskip(SKIP_1) | instid1(VALU_DEP_1)
	v_pk_fma_f32 v[146:147], v[140:141], v[130:131], v[144:145] op_sel:[0,0,1] op_sel_hi:[1,1,0] neg_lo:[0,0,1] neg_hi:[0,0,1]
	v_pk_fma_f32 v[140:141], v[140:141], v[130:131], v[144:145] op_sel:[0,0,1] op_sel_hi:[1,0,0]
	v_mov_b32_e32 v147, v141
	v_pk_mul_f32 v[140:141], v[142:143], v[132:133] op_sel:[0,1]
	s_delay_alu instid0(VALU_DEP_2) | instskip(NEXT) | instid1(VALU_DEP_2)
	v_pk_add_f32 v[40:41], v[40:41], v[146:147] neg_lo:[0,1] neg_hi:[0,1]
	v_pk_fma_f32 v[144:145], v[142:143], v[130:131], v[140:141] op_sel:[0,0,1] op_sel_hi:[1,1,0] neg_lo:[0,0,1] neg_hi:[0,0,1]
	v_pk_fma_f32 v[140:141], v[142:143], v[130:131], v[140:141] op_sel:[0,0,1] op_sel_hi:[1,0,0]
	s_delay_alu instid0(VALU_DEP_1) | instskip(SKIP_4) | instid1(VALU_DEP_1)
	v_mov_b32_e32 v145, v141
	ds_load_2addr_b64 v[140:143], v134 offset0:39 offset1:40
	v_pk_add_f32 v[42:43], v[42:43], v[144:145] neg_lo:[0,1] neg_hi:[0,1]
	s_wait_dscnt 0x0
	v_pk_mul_f32 v[144:145], v[140:141], v[132:133] op_sel:[0,1]
	v_pk_fma_f32 v[146:147], v[140:141], v[130:131], v[144:145] op_sel:[0,0,1] op_sel_hi:[1,1,0] neg_lo:[0,0,1] neg_hi:[0,0,1]
	v_pk_fma_f32 v[140:141], v[140:141], v[130:131], v[144:145] op_sel:[0,0,1] op_sel_hi:[1,0,0]
	v_dual_mul_f32 v144, v143, v133 :: v_dual_mov_b32 v140, v143
	s_delay_alu instid0(VALU_DEP_2) | instskip(NEXT) | instid1(VALU_DEP_2)
	v_dual_mov_b32 v147, v141 :: v_dual_mov_b32 v141, v142
	v_pk_fma_f32 v[144:145], v[142:143], v[94:95], v[144:145] op_sel_hi:[1,1,0] neg_lo:[0,0,1] neg_hi:[0,0,1]
	v_mul_f32_e32 v142, v143, v130
	s_delay_alu instid0(VALU_DEP_3) | instskip(NEXT) | instid1(VALU_DEP_2)
	v_pk_add_f32 v[38:39], v[38:39], v[146:147] neg_lo:[0,1] neg_hi:[0,1]
	v_pk_fma_f32 v[140:141], v[140:141], v[94:95], v[142:143] op_sel_hi:[1,1,0]
	s_delay_alu instid0(VALU_DEP_1) | instskip(SKIP_4) | instid1(VALU_DEP_1)
	v_mov_b32_e32 v145, v141
	ds_load_2addr_b64 v[140:143], v134 offset0:41 offset1:42
	v_pk_add_f32 v[100:101], v[100:101], v[144:145] neg_lo:[0,1] neg_hi:[0,1]
	s_wait_dscnt 0x0
	v_pk_mul_f32 v[144:145], v[140:141], v[132:133] op_sel:[0,1]
	v_pk_fma_f32 v[146:147], v[140:141], v[130:131], v[144:145] op_sel:[0,0,1] op_sel_hi:[1,1,0] neg_lo:[0,0,1] neg_hi:[0,0,1]
	v_pk_fma_f32 v[140:141], v[140:141], v[130:131], v[144:145] op_sel:[0,0,1] op_sel_hi:[1,0,0]
	s_delay_alu instid0(VALU_DEP_1) | instskip(SKIP_1) | instid1(VALU_DEP_1)
	v_mov_b32_e32 v147, v141
	v_pk_mul_f32 v[140:141], v[142:143], v[132:133] op_sel:[0,1]
	v_pk_fma_f32 v[144:145], v[142:143], v[130:131], v[140:141] op_sel:[0,0,1] op_sel_hi:[1,1,0] neg_lo:[0,0,1] neg_hi:[0,0,1]
	v_pk_fma_f32 v[140:141], v[142:143], v[130:131], v[140:141] op_sel:[0,0,1] op_sel_hi:[1,0,0]
	s_delay_alu instid0(VALU_DEP_1)
	v_mov_b32_e32 v145, v141
	ds_load_2addr_b64 v[140:143], v134 offset0:43 offset1:44
	v_pk_add_f32 v[32:33], v[32:33], v[146:147] neg_lo:[0,1] neg_hi:[0,1]
	v_pk_add_f32 v[34:35], v[34:35], v[144:145] neg_lo:[0,1] neg_hi:[0,1]
	s_wait_dscnt 0x0
	v_pk_mul_f32 v[144:145], v[140:141], v[132:133] op_sel:[0,1]
	s_delay_alu instid0(VALU_DEP_1) | instskip(SKIP_1) | instid1(VALU_DEP_1)
	v_pk_fma_f32 v[146:147], v[140:141], v[130:131], v[144:145] op_sel:[0,0,1] op_sel_hi:[1,1,0] neg_lo:[0,0,1] neg_hi:[0,0,1]
	v_pk_fma_f32 v[140:141], v[140:141], v[130:131], v[144:145] op_sel:[0,0,1] op_sel_hi:[1,0,0]
	v_mov_b32_e32 v147, v141
	v_pk_mul_f32 v[140:141], v[142:143], v[132:133] op_sel:[0,1]
	s_delay_alu instid0(VALU_DEP_1) | instskip(SKIP_1) | instid1(VALU_DEP_1)
	v_pk_fma_f32 v[144:145], v[142:143], v[130:131], v[140:141] op_sel:[0,0,1] op_sel_hi:[1,1,0] neg_lo:[0,0,1] neg_hi:[0,0,1]
	v_pk_fma_f32 v[140:141], v[142:143], v[130:131], v[140:141] op_sel:[0,0,1] op_sel_hi:[1,0,0]
	v_mov_b32_e32 v145, v141
	ds_load_2addr_b64 v[140:143], v134 offset0:45 offset1:46
	v_pk_add_f32 v[30:31], v[30:31], v[146:147] neg_lo:[0,1] neg_hi:[0,1]
	v_pk_add_f32 v[98:99], v[98:99], v[144:145] neg_lo:[0,1] neg_hi:[0,1]
	s_wait_dscnt 0x0
	v_dual_mul_f32 v144, v141, v133 :: v_dual_mul_f32 v146, v141, v130
	s_delay_alu instid0(VALU_DEP_1) | instskip(NEXT) | instid1(VALU_DEP_2)
	v_pk_fma_f32 v[144:145], v[140:141], v[94:95], v[144:145] op_sel_hi:[1,1,0] neg_lo:[0,0,1] neg_hi:[0,0,1]
	v_pk_fma_f32 v[140:141], v[140:141], v[94:95], v[146:147] op_sel:[1,0,0] op_sel_hi:[0,1,0]
	s_delay_alu instid0(VALU_DEP_1) | instskip(SKIP_1) | instid1(VALU_DEP_2)
	v_mov_b32_e32 v145, v141
	v_pk_mul_f32 v[140:141], v[142:143], v[132:133] op_sel:[0,1]
	v_pk_add_f32 v[24:25], v[24:25], v[144:145] neg_lo:[0,1] neg_hi:[0,1]
	s_delay_alu instid0(VALU_DEP_2) | instskip(SKIP_1) | instid1(VALU_DEP_1)
	v_pk_fma_f32 v[144:145], v[142:143], v[130:131], v[140:141] op_sel:[0,0,1] op_sel_hi:[1,1,0] neg_lo:[0,0,1] neg_hi:[0,0,1]
	v_pk_fma_f32 v[140:141], v[142:143], v[130:131], v[140:141] op_sel:[0,0,1] op_sel_hi:[1,0,0]
	v_mov_b32_e32 v145, v141
	ds_load_2addr_b64 v[140:143], v134 offset0:47 offset1:48
	v_pk_add_f32 v[28:29], v[28:29], v[144:145] neg_lo:[0,1] neg_hi:[0,1]
	s_wait_dscnt 0x0
	v_pk_mul_f32 v[144:145], v[140:141], v[132:133] op_sel:[0,1]
	s_delay_alu instid0(VALU_DEP_1) | instskip(SKIP_1) | instid1(VALU_DEP_1)
	v_pk_fma_f32 v[146:147], v[140:141], v[130:131], v[144:145] op_sel:[0,0,1] op_sel_hi:[1,1,0] neg_lo:[0,0,1] neg_hi:[0,0,1]
	v_pk_fma_f32 v[140:141], v[140:141], v[130:131], v[144:145] op_sel:[0,0,1] op_sel_hi:[1,0,0]
	v_mov_b32_e32 v147, v141
	v_pk_mul_f32 v[140:141], v[142:143], v[132:133] op_sel:[0,1]
	s_delay_alu instid0(VALU_DEP_2) | instskip(NEXT) | instid1(VALU_DEP_2)
	v_pk_add_f32 v[22:23], v[22:23], v[146:147] neg_lo:[0,1] neg_hi:[0,1]
	v_pk_fma_f32 v[144:145], v[142:143], v[130:131], v[140:141] op_sel:[0,0,1] op_sel_hi:[1,1,0] neg_lo:[0,0,1] neg_hi:[0,0,1]
	v_pk_fma_f32 v[140:141], v[142:143], v[130:131], v[140:141] op_sel:[0,0,1] op_sel_hi:[1,0,0]
	s_delay_alu instid0(VALU_DEP_1) | instskip(SKIP_4) | instid1(VALU_DEP_1)
	v_mov_b32_e32 v145, v141
	ds_load_2addr_b64 v[140:143], v134 offset0:49 offset1:50
	v_pk_add_f32 v[96:97], v[96:97], v[144:145] neg_lo:[0,1] neg_hi:[0,1]
	s_wait_dscnt 0x0
	v_pk_mul_f32 v[144:145], v[140:141], v[132:133] op_sel:[0,1]
	v_pk_fma_f32 v[146:147], v[140:141], v[130:131], v[144:145] op_sel:[0,0,1] op_sel_hi:[1,1,0] neg_lo:[0,0,1] neg_hi:[0,0,1]
	v_pk_fma_f32 v[140:141], v[140:141], v[130:131], v[144:145] op_sel:[0,0,1] op_sel_hi:[1,0,0]
	v_dual_mul_f32 v144, v143, v133 :: v_dual_mov_b32 v140, v143
	s_delay_alu instid0(VALU_DEP_2) | instskip(NEXT) | instid1(VALU_DEP_2)
	v_dual_mov_b32 v147, v141 :: v_dual_mov_b32 v141, v142
	v_pk_fma_f32 v[144:145], v[142:143], v[94:95], v[144:145] op_sel_hi:[1,1,0] neg_lo:[0,0,1] neg_hi:[0,0,1]
	v_mul_f32_e32 v142, v143, v130
	s_delay_alu instid0(VALU_DEP_3) | instskip(NEXT) | instid1(VALU_DEP_2)
	v_pk_add_f32 v[18:19], v[18:19], v[146:147] neg_lo:[0,1] neg_hi:[0,1]
	v_pk_fma_f32 v[140:141], v[140:141], v[94:95], v[142:143] op_sel_hi:[1,1,0]
	s_delay_alu instid0(VALU_DEP_1) | instskip(SKIP_4) | instid1(VALU_DEP_1)
	v_mov_b32_e32 v145, v141
	ds_load_2addr_b64 v[140:143], v134 offset0:51 offset1:52
	v_pk_add_f32 v[20:21], v[20:21], v[144:145] neg_lo:[0,1] neg_hi:[0,1]
	s_wait_dscnt 0x0
	v_pk_mul_f32 v[144:145], v[140:141], v[132:133] op_sel:[0,1]
	v_pk_fma_f32 v[146:147], v[140:141], v[130:131], v[144:145] op_sel:[0,0,1] op_sel_hi:[1,1,0] neg_lo:[0,0,1] neg_hi:[0,0,1]
	v_pk_fma_f32 v[140:141], v[140:141], v[130:131], v[144:145] op_sel:[0,0,1] op_sel_hi:[1,0,0]
	s_delay_alu instid0(VALU_DEP_1) | instskip(SKIP_1) | instid1(VALU_DEP_1)
	v_mov_b32_e32 v147, v141
	v_pk_mul_f32 v[140:141], v[142:143], v[132:133] op_sel:[0,1]
	v_pk_fma_f32 v[144:145], v[142:143], v[130:131], v[140:141] op_sel:[0,0,1] op_sel_hi:[1,1,0] neg_lo:[0,0,1] neg_hi:[0,0,1]
	v_pk_fma_f32 v[140:141], v[142:143], v[130:131], v[140:141] op_sel:[0,0,1] op_sel_hi:[1,0,0]
	s_delay_alu instid0(VALU_DEP_1)
	v_mov_b32_e32 v145, v141
	ds_load_2addr_b64 v[140:143], v134 offset0:53 offset1:54
	v_pk_add_f32 v[36:37], v[36:37], v[146:147] neg_lo:[0,1] neg_hi:[0,1]
	v_pk_add_f32 v[86:87], v[86:87], v[144:145] neg_lo:[0,1] neg_hi:[0,1]
	s_wait_dscnt 0x0
	v_pk_mul_f32 v[144:145], v[140:141], v[132:133] op_sel:[0,1]
	s_delay_alu instid0(VALU_DEP_1) | instskip(SKIP_1) | instid1(VALU_DEP_1)
	v_pk_fma_f32 v[146:147], v[140:141], v[130:131], v[144:145] op_sel:[0,0,1] op_sel_hi:[1,1,0] neg_lo:[0,0,1] neg_hi:[0,0,1]
	v_pk_fma_f32 v[140:141], v[140:141], v[130:131], v[144:145] op_sel:[0,0,1] op_sel_hi:[1,0,0]
	v_mov_b32_e32 v147, v141
	v_pk_mul_f32 v[140:141], v[142:143], v[132:133] op_sel:[0,1]
	s_delay_alu instid0(VALU_DEP_1) | instskip(SKIP_1) | instid1(VALU_DEP_1)
	v_pk_fma_f32 v[144:145], v[142:143], v[130:131], v[140:141] op_sel:[0,0,1] op_sel_hi:[1,1,0] neg_lo:[0,0,1] neg_hi:[0,0,1]
	v_pk_fma_f32 v[140:141], v[142:143], v[130:131], v[140:141] op_sel:[0,0,1] op_sel_hi:[1,0,0]
	v_mov_b32_e32 v145, v141
	ds_load_2addr_b64 v[140:143], v134 offset0:55 offset1:56
	v_pk_add_f32 v[10:11], v[10:11], v[146:147] neg_lo:[0,1] neg_hi:[0,1]
	v_pk_add_f32 v[12:13], v[12:13], v[144:145] neg_lo:[0,1] neg_hi:[0,1]
	s_wait_dscnt 0x0
	v_dual_mul_f32 v144, v141, v133 :: v_dual_mul_f32 v146, v141, v130
	s_delay_alu instid0(VALU_DEP_1) | instskip(NEXT) | instid1(VALU_DEP_2)
	v_pk_fma_f32 v[144:145], v[140:141], v[94:95], v[144:145] op_sel_hi:[1,1,0] neg_lo:[0,0,1] neg_hi:[0,0,1]
	v_pk_fma_f32 v[140:141], v[140:141], v[94:95], v[146:147] op_sel:[1,0,0] op_sel_hi:[0,1,0]
	s_delay_alu instid0(VALU_DEP_1) | instskip(SKIP_1) | instid1(VALU_DEP_2)
	v_mov_b32_e32 v145, v141
	v_pk_mul_f32 v[140:141], v[142:143], v[132:133] op_sel:[0,1]
	v_pk_add_f32 v[8:9], v[8:9], v[144:145] neg_lo:[0,1] neg_hi:[0,1]
	s_delay_alu instid0(VALU_DEP_2) | instskip(SKIP_1) | instid1(VALU_DEP_1)
	v_pk_fma_f32 v[144:145], v[142:143], v[130:131], v[140:141] op_sel:[0,0,1] op_sel_hi:[1,1,0] neg_lo:[0,0,1] neg_hi:[0,0,1]
	v_pk_fma_f32 v[140:141], v[142:143], v[130:131], v[140:141] op_sel:[0,0,1] op_sel_hi:[1,0,0]
	v_mov_b32_e32 v145, v141
	ds_load_2addr_b64 v[140:143], v134 offset0:57 offset1:58
	v_pk_add_f32 v[44:45], v[44:45], v[144:145] neg_lo:[0,1] neg_hi:[0,1]
	s_wait_dscnt 0x0
	v_pk_mul_f32 v[144:145], v[140:141], v[132:133] op_sel:[0,1]
	s_delay_alu instid0(VALU_DEP_1) | instskip(SKIP_1) | instid1(VALU_DEP_1)
	v_pk_fma_f32 v[146:147], v[140:141], v[130:131], v[144:145] op_sel:[0,0,1] op_sel_hi:[1,1,0] neg_lo:[0,0,1] neg_hi:[0,0,1]
	v_pk_fma_f32 v[140:141], v[140:141], v[130:131], v[144:145] op_sel:[0,0,1] op_sel_hi:[1,0,0]
	v_mov_b32_e32 v147, v141
	v_pk_mul_f32 v[140:141], v[142:143], v[132:133] op_sel:[0,1]
	s_delay_alu instid0(VALU_DEP_2) | instskip(NEXT) | instid1(VALU_DEP_2)
	v_pk_add_f32 v[6:7], v[6:7], v[146:147] neg_lo:[0,1] neg_hi:[0,1]
	v_pk_fma_f32 v[144:145], v[142:143], v[130:131], v[140:141] op_sel:[0,0,1] op_sel_hi:[1,1,0] neg_lo:[0,0,1] neg_hi:[0,0,1]
	v_pk_fma_f32 v[140:141], v[142:143], v[130:131], v[140:141] op_sel:[0,0,1] op_sel_hi:[1,0,0]
	s_delay_alu instid0(VALU_DEP_1) | instskip(SKIP_4) | instid1(VALU_DEP_1)
	v_mov_b32_e32 v145, v141
	ds_load_2addr_b64 v[140:143], v134 offset0:59 offset1:60
	v_pk_add_f32 v[26:27], v[26:27], v[144:145] neg_lo:[0,1] neg_hi:[0,1]
	s_wait_dscnt 0x0
	v_pk_mul_f32 v[144:145], v[140:141], v[132:133] op_sel:[0,1]
	v_pk_fma_f32 v[146:147], v[140:141], v[130:131], v[144:145] op_sel:[0,0,1] op_sel_hi:[1,1,0] neg_lo:[0,0,1] neg_hi:[0,0,1]
	v_pk_fma_f32 v[140:141], v[140:141], v[130:131], v[144:145] op_sel:[0,0,1] op_sel_hi:[1,0,0]
	v_dual_mul_f32 v144, v143, v133 :: v_dual_mov_b32 v140, v143
	s_delay_alu instid0(VALU_DEP_2) | instskip(NEXT) | instid1(VALU_DEP_2)
	v_dual_mov_b32 v147, v141 :: v_dual_mov_b32 v141, v142
	v_pk_fma_f32 v[144:145], v[142:143], v[94:95], v[144:145] op_sel_hi:[1,1,0] neg_lo:[0,0,1] neg_hi:[0,0,1]
	v_mul_f32_e32 v142, v143, v130
	s_delay_alu instid0(VALU_DEP_3) | instskip(NEXT) | instid1(VALU_DEP_2)
	v_pk_add_f32 v[16:17], v[16:17], v[146:147] neg_lo:[0,1] neg_hi:[0,1]
	v_pk_fma_f32 v[140:141], v[140:141], v[94:95], v[142:143] op_sel_hi:[1,1,0]
	s_delay_alu instid0(VALU_DEP_1) | instskip(SKIP_4) | instid1(VALU_DEP_1)
	v_mov_b32_e32 v145, v141
	ds_load_b64 v[140:141], v134 offset:488
	v_pk_add_f32 v[14:15], v[14:15], v[144:145] neg_lo:[0,1] neg_hi:[0,1]
	s_wait_dscnt 0x0
	v_pk_mul_f32 v[132:133], v[140:141], v[132:133] op_sel:[0,1]
	v_pk_fma_f32 v[142:143], v[140:141], v[130:131], v[132:133] op_sel:[0,0,1] op_sel_hi:[1,1,0] neg_lo:[0,0,1] neg_hi:[0,0,1]
	v_pk_fma_f32 v[130:131], v[140:141], v[130:131], v[132:133] op_sel:[0,0,1] op_sel_hi:[1,0,0]
	s_delay_alu instid0(VALU_DEP_1) | instskip(NEXT) | instid1(VALU_DEP_1)
	v_mov_b32_e32 v143, v131
	v_pk_add_f32 v[128:129], v[128:129], v[142:143] neg_lo:[0,1] neg_hi:[0,1]
.LBB122_146:
	s_or_b32 exec_lo, exec_lo, s0
	v_lshl_add_u32 v130, v138, 3, v134
	s_barrier_signal -1
	s_barrier_wait -1
	ds_store_b64 v130, v[90:91]
	s_wait_dscnt 0x0
	s_barrier_signal -1
	s_barrier_wait -1
	ds_load_b64 v[132:133], v134 offset:56
	v_mov_b32_e32 v130, 7
	s_cmp_lt_i32 s18, 9
	s_cbranch_scc1 .LBB122_149
; %bb.147:
	v_add3_u32 v131, v135, 0, 64
	v_mov_b32_e32 v130, 7
	s_mov_b32 s0, 8
.LBB122_148:                            ; =>This Inner Loop Header: Depth=1
	ds_load_b64 v[140:141], v131
	s_wait_dscnt 0x1
	v_cmp_gt_f32_e32 vcc_lo, 0, v132
	v_cndmask_b32_e64 v142, v132, -v132, vcc_lo
	v_cmp_gt_f32_e32 vcc_lo, 0, v133
	v_cndmask_b32_e64 v144, v133, -v133, vcc_lo
	s_wait_dscnt 0x0
	v_cmp_gt_f32_e32 vcc_lo, 0, v140
	v_cndmask_b32_e64 v143, v140, -v140, vcc_lo
	v_cmp_gt_f32_e32 vcc_lo, 0, v141
	v_cndmask_b32_e64 v145, v141, -v141, vcc_lo
	s_delay_alu instid0(VALU_DEP_1) | instskip(NEXT) | instid1(VALU_DEP_1)
	v_pk_add_f32 v[142:143], v[142:143], v[144:145]
	v_cmp_lt_f32_e32 vcc_lo, v142, v143
	v_dual_add_nc_u32 v131, 8, v131 :: v_dual_cndmask_b32 v133, v133, v141, vcc_lo
	v_cndmask_b32_e32 v132, v132, v140, vcc_lo
	v_cndmask_b32_e64 v130, v130, s0, vcc_lo
	s_add_co_i32 s0, s0, 1
	s_delay_alu instid0(SALU_CYCLE_1)
	s_cmp_lg_u32 s18, s0
	s_cbranch_scc1 .LBB122_148
.LBB122_149:
	s_wait_dscnt 0x0
	v_cmp_eq_f32_e32 vcc_lo, 0, v132
	v_cmp_eq_f32_e64 s0, 0, v133
	s_and_b32 s0, vcc_lo, s0
	s_delay_alu instid0(SALU_CYCLE_1) | instskip(NEXT) | instid1(SALU_CYCLE_1)
	s_and_saveexec_b32 s1, s0
	s_xor_b32 s0, exec_lo, s1
; %bb.150:
	v_cmp_ne_u32_e32 vcc_lo, 0, v136
	v_cndmask_b32_e32 v136, 8, v136, vcc_lo
; %bb.151:
	s_and_not1_saveexec_b32 s0, s0
	s_cbranch_execz .LBB122_157
; %bb.152:
	v_cmp_ngt_f32_e64 s1, |v132|, |v133|
	s_and_saveexec_b32 s12, s1
	s_delay_alu instid0(SALU_CYCLE_1)
	s_xor_b32 s1, exec_lo, s12
	s_cbranch_execz .LBB122_154
; %bb.153:
	v_div_scale_f32 v131, null, v133, v133, v132
	v_div_scale_f32 v141, vcc_lo, v132, v133, v132
	s_delay_alu instid0(VALU_DEP_2) | instskip(SKIP_1) | instid1(TRANS32_DEP_1)
	v_rcp_f32_e32 v139, v131
	v_nop
	v_fma_f32 v140, -v131, v139, 1.0
	s_delay_alu instid0(VALU_DEP_1) | instskip(NEXT) | instid1(VALU_DEP_1)
	v_fmac_f32_e32 v139, v140, v139
	v_mul_f32_e32 v140, v141, v139
	s_delay_alu instid0(VALU_DEP_1) | instskip(NEXT) | instid1(VALU_DEP_1)
	v_fma_f32 v142, -v131, v140, v141
	v_fmac_f32_e32 v140, v142, v139
	s_delay_alu instid0(VALU_DEP_1) | instskip(NEXT) | instid1(VALU_DEP_1)
	v_fma_f32 v131, -v131, v140, v141
	v_div_fmas_f32 v131, v131, v139, v140
	s_delay_alu instid0(VALU_DEP_1) | instskip(NEXT) | instid1(VALU_DEP_1)
	v_div_fixup_f32 v131, v131, v133, v132
	v_fmac_f32_e32 v133, v132, v131
	s_delay_alu instid0(VALU_DEP_1) | instskip(SKIP_1) | instid1(VALU_DEP_2)
	v_div_scale_f32 v132, null, v133, v133, 1.0
	v_div_scale_f32 v141, vcc_lo, 1.0, v133, 1.0
	v_rcp_f32_e32 v139, v132
	v_nop
	s_delay_alu instid0(TRANS32_DEP_1) | instskip(NEXT) | instid1(VALU_DEP_1)
	v_fma_f32 v140, -v132, v139, 1.0
	v_fmac_f32_e32 v139, v140, v139
	s_delay_alu instid0(VALU_DEP_1) | instskip(NEXT) | instid1(VALU_DEP_1)
	v_mul_f32_e32 v140, v141, v139
	v_fma_f32 v142, -v132, v140, v141
	s_delay_alu instid0(VALU_DEP_1) | instskip(NEXT) | instid1(VALU_DEP_1)
	v_fmac_f32_e32 v140, v142, v139
	v_fma_f32 v132, -v132, v140, v141
	s_delay_alu instid0(VALU_DEP_1) | instskip(NEXT) | instid1(VALU_DEP_1)
	v_div_fmas_f32 v132, v132, v139, v140
	v_div_fixup_f32 v133, v132, v133, 1.0
	s_delay_alu instid0(VALU_DEP_1)
	v_mul_f32_e32 v132, v131, v133
	v_xor_b32_e32 v133, 0x80000000, v133
.LBB122_154:
	s_and_not1_saveexec_b32 s1, s1
	s_cbranch_execz .LBB122_156
; %bb.155:
	s_delay_alu instid0(VALU_DEP_1) | instskip(SKIP_1) | instid1(VALU_DEP_2)
	v_div_scale_f32 v131, null, v132, v132, v133
	v_div_scale_f32 v141, vcc_lo, v133, v132, v133
	v_rcp_f32_e32 v139, v131
	v_nop
	s_delay_alu instid0(TRANS32_DEP_1) | instskip(NEXT) | instid1(VALU_DEP_1)
	v_fma_f32 v140, -v131, v139, 1.0
	v_fmac_f32_e32 v139, v140, v139
	s_delay_alu instid0(VALU_DEP_1) | instskip(NEXT) | instid1(VALU_DEP_1)
	v_mul_f32_e32 v140, v141, v139
	v_fma_f32 v142, -v131, v140, v141
	s_delay_alu instid0(VALU_DEP_1) | instskip(NEXT) | instid1(VALU_DEP_1)
	v_fmac_f32_e32 v140, v142, v139
	v_fma_f32 v131, -v131, v140, v141
	s_delay_alu instid0(VALU_DEP_1) | instskip(NEXT) | instid1(VALU_DEP_1)
	v_div_fmas_f32 v131, v131, v139, v140
	v_div_fixup_f32 v131, v131, v132, v133
	s_delay_alu instid0(VALU_DEP_1) | instskip(NEXT) | instid1(VALU_DEP_1)
	v_fmac_f32_e32 v132, v133, v131
	v_div_scale_f32 v133, null, v132, v132, 1.0
	s_delay_alu instid0(VALU_DEP_1) | instskip(SKIP_1) | instid1(TRANS32_DEP_1)
	v_rcp_f32_e32 v139, v133
	v_nop
	v_fma_f32 v140, -v133, v139, 1.0
	s_delay_alu instid0(VALU_DEP_1) | instskip(SKIP_1) | instid1(VALU_DEP_1)
	v_fmac_f32_e32 v139, v140, v139
	v_div_scale_f32 v140, vcc_lo, 1.0, v132, 1.0
	v_mul_f32_e32 v141, v140, v139
	s_delay_alu instid0(VALU_DEP_1) | instskip(NEXT) | instid1(VALU_DEP_1)
	v_fma_f32 v142, -v133, v141, v140
	v_fmac_f32_e32 v141, v142, v139
	s_delay_alu instid0(VALU_DEP_1) | instskip(NEXT) | instid1(VALU_DEP_1)
	v_fma_f32 v133, -v133, v141, v140
	v_div_fmas_f32 v133, v133, v139, v141
	s_delay_alu instid0(VALU_DEP_1) | instskip(NEXT) | instid1(VALU_DEP_1)
	v_div_fixup_f32 v132, v133, v132, 1.0
	v_mul_f32_e64 v133, v131, -v132
.LBB122_156:
	s_or_b32 exec_lo, exec_lo, s1
.LBB122_157:
	s_delay_alu instid0(SALU_CYCLE_1) | instskip(NEXT) | instid1(SALU_CYCLE_1)
	s_or_b32 exec_lo, exec_lo, s0
	s_mov_b32 s0, exec_lo
	v_cmpx_ne_u32_e64 v138, v130
	s_xor_b32 s0, exec_lo, s0
	s_cbranch_execz .LBB122_163
; %bb.158:
	s_mov_b32 s1, exec_lo
	v_cmpx_eq_u32_e32 7, v138
	s_cbranch_execz .LBB122_162
; %bb.159:
	v_cmp_ne_u32_e32 vcc_lo, 7, v130
	s_xor_b32 s12, s16, -1
	s_delay_alu instid0(SALU_CYCLE_1) | instskip(NEXT) | instid1(SALU_CYCLE_1)
	s_and_b32 s13, s12, vcc_lo
	s_and_saveexec_b32 s12, s13
	s_cbranch_execz .LBB122_161
; %bb.160:
	v_ashrrev_i32_e32 v131, 31, v130
	s_delay_alu instid0(VALU_DEP_1)
	v_lshl_add_u64 v[138:139], v[130:131], 2, v[4:5]
	s_clause 0x1
	global_load_b32 v131, v[138:139], off
	global_load_b32 v137, v[4:5], off offset:28
	s_wait_loadcnt 0x1
	global_store_b32 v[4:5], v131, off offset:28
	s_wait_loadcnt 0x0
	global_store_b32 v[138:139], v137, off
.LBB122_161:
	s_wait_xcnt 0x0
	s_or_b32 exec_lo, exec_lo, s12
	v_dual_mov_b32 v138, v130 :: v_dual_mov_b32 v137, v130
.LBB122_162:
	s_or_b32 exec_lo, exec_lo, s1
.LBB122_163:
	s_and_not1_saveexec_b32 s0, s0
	s_cbranch_execz .LBB122_165
; %bb.164:
	v_dual_mov_b32 v130, v116 :: v_dual_mov_b32 v131, v117
	v_dual_mov_b32 v138, v84 :: v_dual_mov_b32 v139, v85
	;; [unrolled: 1-line block ×8, first 2 shown]
	ds_store_2addr_b64 v134, v[130:131], v[138:139] offset0:8 offset1:9
	ds_store_2addr_b64 v134, v[140:141], v[142:143] offset0:10 offset1:11
	ds_store_2addr_b64 v134, v[144:145], v[146:147] offset0:12 offset1:13
	ds_store_2addr_b64 v134, v[148:149], v[150:151] offset0:14 offset1:15
	v_dual_mov_b32 v130, v112 :: v_dual_mov_b32 v131, v113
	v_dual_mov_b32 v138, v72 :: v_dual_mov_b32 v139, v73
	v_dual_mov_b32 v140, v74 :: v_dual_mov_b32 v141, v75
	v_dual_mov_b32 v142, v70 :: v_dual_mov_b32 v143, v71
	v_dual_mov_b32 v144, v110 :: v_dual_mov_b32 v145, v111
	v_dual_mov_b32 v146, v66 :: v_dual_mov_b32 v147, v67
	v_dual_mov_b32 v148, v68 :: v_dual_mov_b32 v149, v69
	v_dual_mov_b32 v150, v64 :: v_dual_mov_b32 v151, v65
	v_dual_mov_b32 v152, v108 :: v_dual_mov_b32 v153, v109
	v_dual_mov_b32 v154, v60 :: v_dual_mov_b32 v155, v61
	v_dual_mov_b32 v156, v62 :: v_dual_mov_b32 v157, v63
	v_dual_mov_b32 v158, v58 :: v_dual_mov_b32 v159, v59
	ds_store_2addr_b64 v134, v[130:131], v[138:139] offset0:16 offset1:17
	ds_store_2addr_b64 v134, v[140:141], v[142:143] offset0:18 offset1:19
	ds_store_2addr_b64 v134, v[144:145], v[146:147] offset0:20 offset1:21
	ds_store_2addr_b64 v134, v[148:149], v[150:151] offset0:22 offset1:23
	ds_store_2addr_b64 v134, v[152:153], v[154:155] offset0:24 offset1:25
	ds_store_2addr_b64 v134, v[156:157], v[158:159] offset0:26 offset1:27
	v_dual_mov_b32 v130, v106 :: v_dual_mov_b32 v131, v107
	v_dual_mov_b32 v138, v54 :: v_dual_mov_b32 v139, v55
	v_dual_mov_b32 v140, v56 :: v_dual_mov_b32 v141, v57
	v_dual_mov_b32 v142, v52 :: v_dual_mov_b32 v143, v53
	v_dual_mov_b32 v144, v104 :: v_dual_mov_b32 v145, v105
	v_dual_mov_b32 v146, v48 :: v_dual_mov_b32 v147, v49
	v_dual_mov_b32 v148, v50 :: v_dual_mov_b32 v149, v51
	v_dual_mov_b32 v150, v46 :: v_dual_mov_b32 v151, v47
	v_dual_mov_b32 v152, v102 :: v_dual_mov_b32 v153, v103
	v_dual_mov_b32 v154, v40 :: v_dual_mov_b32 v155, v41
	v_dual_mov_b32 v156, v42 :: v_dual_mov_b32 v157, v43
	v_dual_mov_b32 v158, v38 :: v_dual_mov_b32 v159, v39
	ds_store_2addr_b64 v134, v[130:131], v[138:139] offset0:28 offset1:29
	ds_store_2addr_b64 v134, v[140:141], v[142:143] offset0:30 offset1:31
	ds_store_2addr_b64 v134, v[144:145], v[146:147] offset0:32 offset1:33
	ds_store_2addr_b64 v134, v[148:149], v[150:151] offset0:34 offset1:35
	ds_store_2addr_b64 v134, v[152:153], v[154:155] offset0:36 offset1:37
	ds_store_2addr_b64 v134, v[156:157], v[158:159] offset0:38 offset1:39
	v_dual_mov_b32 v130, v100 :: v_dual_mov_b32 v131, v101
	v_dual_mov_b32 v138, v32 :: v_dual_mov_b32 v139, v33
	v_dual_mov_b32 v140, v34 :: v_dual_mov_b32 v141, v35
	v_dual_mov_b32 v142, v30 :: v_dual_mov_b32 v143, v31
	v_dual_mov_b32 v144, v98 :: v_dual_mov_b32 v145, v99
	v_dual_mov_b32 v146, v24 :: v_dual_mov_b32 v147, v25
	v_dual_mov_b32 v148, v28 :: v_dual_mov_b32 v149, v29
	v_dual_mov_b32 v150, v22 :: v_dual_mov_b32 v151, v23
	v_dual_mov_b32 v152, v96 :: v_dual_mov_b32 v153, v97
	v_dual_mov_b32 v154, v18 :: v_dual_mov_b32 v155, v19
	v_dual_mov_b32 v156, v20 :: v_dual_mov_b32 v157, v21
	v_dual_mov_b32 v158, v36 :: v_dual_mov_b32 v159, v37
	ds_store_2addr_b64 v134, v[130:131], v[138:139] offset0:40 offset1:41
	ds_store_2addr_b64 v134, v[140:141], v[142:143] offset0:42 offset1:43
	ds_store_2addr_b64 v134, v[144:145], v[146:147] offset0:44 offset1:45
	ds_store_2addr_b64 v134, v[148:149], v[150:151] offset0:46 offset1:47
	;; [unrolled: 1-line block ×4, first 2 shown]
	v_dual_mov_b32 v130, v86 :: v_dual_mov_b32 v131, v87
	v_dual_mov_b32 v140, v10 :: v_dual_mov_b32 v141, v11
	;; [unrolled: 1-line block ×9, first 2 shown]
	v_mov_b32_e32 v155, v15
	ds_store_2addr_b64 v134, v[130:131], v[140:141] offset0:52 offset1:53
	ds_store_2addr_b64 v134, v[142:143], v[144:145] offset0:54 offset1:55
	;; [unrolled: 1-line block ×5, first 2 shown]
.LBB122_165:
	s_or_b32 exec_lo, exec_lo, s0
	s_delay_alu instid0(SALU_CYCLE_1)
	s_mov_b32 s0, exec_lo
	s_wait_storecnt_dscnt 0x0
	s_barrier_signal -1
	s_barrier_wait -1
	v_cmpx_lt_i32_e32 7, v138
	s_cbranch_execz .LBB122_167
; %bb.166:
	v_pk_mul_f32 v[140:141], v[132:133], v[90:91] op_sel:[1,1] op_sel_hi:[0,1]
	s_delay_alu instid0(VALU_DEP_1)
	v_pk_fma_f32 v[130:131], v[132:133], v[90:91], v[140:141] op_sel_hi:[1,0,1] neg_lo:[0,0,1] neg_hi:[0,0,1]
	v_pk_fma_f32 v[132:133], v[132:133], v[90:91], v[140:141] op_sel_hi:[1,0,1]
	ds_load_2addr_b64 v[140:143], v134 offset0:8 offset1:9
	v_dual_mov_b32 v90, v130 :: v_dual_mov_b32 v91, v133
	s_wait_dscnt 0x0
	v_pk_mul_f32 v[144:145], v[140:141], v[132:133] op_sel:[0,1]
	s_delay_alu instid0(VALU_DEP_1) | instskip(SKIP_1) | instid1(VALU_DEP_1)
	v_pk_fma_f32 v[146:147], v[140:141], v[130:131], v[144:145] op_sel:[0,0,1] op_sel_hi:[1,1,0] neg_lo:[0,0,1] neg_hi:[0,0,1]
	v_pk_fma_f32 v[140:141], v[140:141], v[130:131], v[144:145] op_sel:[0,0,1] op_sel_hi:[1,0,0]
	v_mov_b32_e32 v147, v141
	v_pk_mul_f32 v[140:141], v[142:143], v[132:133] op_sel:[0,1]
	s_delay_alu instid0(VALU_DEP_1) | instskip(SKIP_1) | instid1(VALU_DEP_1)
	v_pk_fma_f32 v[144:145], v[142:143], v[130:131], v[140:141] op_sel:[0,0,1] op_sel_hi:[1,1,0] neg_lo:[0,0,1] neg_hi:[0,0,1]
	v_pk_fma_f32 v[140:141], v[142:143], v[130:131], v[140:141] op_sel:[0,0,1] op_sel_hi:[1,0,0]
	v_mov_b32_e32 v145, v141
	ds_load_2addr_b64 v[140:143], v134 offset0:10 offset1:11
	v_pk_add_f32 v[116:117], v[116:117], v[146:147] neg_lo:[0,1] neg_hi:[0,1]
	v_pk_add_f32 v[84:85], v[84:85], v[144:145] neg_lo:[0,1] neg_hi:[0,1]
	s_wait_dscnt 0x0
	v_pk_mul_f32 v[144:145], v[140:141], v[132:133] op_sel:[0,1]
	s_delay_alu instid0(VALU_DEP_1) | instskip(SKIP_2) | instid1(VALU_DEP_2)
	v_pk_fma_f32 v[146:147], v[140:141], v[130:131], v[144:145] op_sel:[0,0,1] op_sel_hi:[1,1,0] neg_lo:[0,0,1] neg_hi:[0,0,1]
	v_pk_fma_f32 v[140:141], v[140:141], v[130:131], v[144:145] op_sel:[0,0,1] op_sel_hi:[1,0,0]
	v_dual_mul_f32 v144, v143, v133 :: v_dual_mov_b32 v140, v143
	v_dual_mov_b32 v147, v141 :: v_dual_mov_b32 v141, v142
	s_delay_alu instid0(VALU_DEP_2) | instskip(SKIP_1) | instid1(VALU_DEP_3)
	v_pk_fma_f32 v[144:145], v[142:143], v[90:91], v[144:145] op_sel_hi:[1,1,0] neg_lo:[0,0,1] neg_hi:[0,0,1]
	v_mul_f32_e32 v142, v143, v130
	v_pk_add_f32 v[88:89], v[88:89], v[146:147] neg_lo:[0,1] neg_hi:[0,1]
	s_delay_alu instid0(VALU_DEP_2) | instskip(NEXT) | instid1(VALU_DEP_1)
	v_pk_fma_f32 v[140:141], v[140:141], v[90:91], v[142:143] op_sel_hi:[1,1,0]
	v_mov_b32_e32 v145, v141
	ds_load_2addr_b64 v[140:143], v134 offset0:12 offset1:13
	v_pk_add_f32 v[82:83], v[82:83], v[144:145] neg_lo:[0,1] neg_hi:[0,1]
	s_wait_dscnt 0x0
	v_pk_mul_f32 v[144:145], v[140:141], v[132:133] op_sel:[0,1]
	s_delay_alu instid0(VALU_DEP_1) | instskip(SKIP_1) | instid1(VALU_DEP_1)
	v_pk_fma_f32 v[146:147], v[140:141], v[130:131], v[144:145] op_sel:[0,0,1] op_sel_hi:[1,1,0] neg_lo:[0,0,1] neg_hi:[0,0,1]
	v_pk_fma_f32 v[140:141], v[140:141], v[130:131], v[144:145] op_sel:[0,0,1] op_sel_hi:[1,0,0]
	v_mov_b32_e32 v147, v141
	v_pk_mul_f32 v[140:141], v[142:143], v[132:133] op_sel:[0,1]
	s_delay_alu instid0(VALU_DEP_1) | instskip(SKIP_1) | instid1(VALU_DEP_1)
	v_pk_fma_f32 v[144:145], v[142:143], v[130:131], v[140:141] op_sel:[0,0,1] op_sel_hi:[1,1,0] neg_lo:[0,0,1] neg_hi:[0,0,1]
	v_pk_fma_f32 v[140:141], v[142:143], v[130:131], v[140:141] op_sel:[0,0,1] op_sel_hi:[1,0,0]
	v_mov_b32_e32 v145, v141
	ds_load_2addr_b64 v[140:143], v134 offset0:14 offset1:15
	v_pk_add_f32 v[114:115], v[114:115], v[146:147] neg_lo:[0,1] neg_hi:[0,1]
	v_pk_add_f32 v[78:79], v[78:79], v[144:145] neg_lo:[0,1] neg_hi:[0,1]
	s_wait_dscnt 0x0
	v_pk_mul_f32 v[144:145], v[140:141], v[132:133] op_sel:[0,1]
	s_delay_alu instid0(VALU_DEP_1) | instskip(SKIP_1) | instid1(VALU_DEP_1)
	v_pk_fma_f32 v[146:147], v[140:141], v[130:131], v[144:145] op_sel:[0,0,1] op_sel_hi:[1,1,0] neg_lo:[0,0,1] neg_hi:[0,0,1]
	v_pk_fma_f32 v[140:141], v[140:141], v[130:131], v[144:145] op_sel:[0,0,1] op_sel_hi:[1,0,0]
	v_mov_b32_e32 v147, v141
	v_pk_mul_f32 v[140:141], v[142:143], v[132:133] op_sel:[0,1]
	s_delay_alu instid0(VALU_DEP_1) | instskip(SKIP_1) | instid1(VALU_DEP_1)
	v_pk_fma_f32 v[144:145], v[142:143], v[130:131], v[140:141] op_sel:[0,0,1] op_sel_hi:[1,1,0] neg_lo:[0,0,1] neg_hi:[0,0,1]
	v_pk_fma_f32 v[140:141], v[142:143], v[130:131], v[140:141] op_sel:[0,0,1] op_sel_hi:[1,0,0]
	v_mov_b32_e32 v145, v141
	ds_load_2addr_b64 v[140:143], v134 offset0:16 offset1:17
	v_pk_add_f32 v[80:81], v[80:81], v[146:147] neg_lo:[0,1] neg_hi:[0,1]
	v_pk_add_f32 v[76:77], v[76:77], v[144:145] neg_lo:[0,1] neg_hi:[0,1]
	s_wait_dscnt 0x0
	v_dual_mul_f32 v144, v141, v133 :: v_dual_mul_f32 v146, v141, v130
	s_delay_alu instid0(VALU_DEP_1) | instskip(NEXT) | instid1(VALU_DEP_2)
	v_pk_fma_f32 v[144:145], v[140:141], v[90:91], v[144:145] op_sel_hi:[1,1,0] neg_lo:[0,0,1] neg_hi:[0,0,1]
	v_pk_fma_f32 v[140:141], v[140:141], v[90:91], v[146:147] op_sel:[1,0,0] op_sel_hi:[0,1,0]
	s_delay_alu instid0(VALU_DEP_1) | instskip(SKIP_1) | instid1(VALU_DEP_2)
	v_mov_b32_e32 v145, v141
	v_pk_mul_f32 v[140:141], v[142:143], v[132:133] op_sel:[0,1]
	v_pk_add_f32 v[112:113], v[112:113], v[144:145] neg_lo:[0,1] neg_hi:[0,1]
	s_delay_alu instid0(VALU_DEP_2) | instskip(SKIP_1) | instid1(VALU_DEP_1)
	v_pk_fma_f32 v[144:145], v[142:143], v[130:131], v[140:141] op_sel:[0,0,1] op_sel_hi:[1,1,0] neg_lo:[0,0,1] neg_hi:[0,0,1]
	v_pk_fma_f32 v[140:141], v[142:143], v[130:131], v[140:141] op_sel:[0,0,1] op_sel_hi:[1,0,0]
	v_mov_b32_e32 v145, v141
	ds_load_2addr_b64 v[140:143], v134 offset0:18 offset1:19
	v_pk_add_f32 v[72:73], v[72:73], v[144:145] neg_lo:[0,1] neg_hi:[0,1]
	s_wait_dscnt 0x0
	v_pk_mul_f32 v[144:145], v[140:141], v[132:133] op_sel:[0,1]
	s_delay_alu instid0(VALU_DEP_1) | instskip(SKIP_1) | instid1(VALU_DEP_1)
	v_pk_fma_f32 v[146:147], v[140:141], v[130:131], v[144:145] op_sel:[0,0,1] op_sel_hi:[1,1,0] neg_lo:[0,0,1] neg_hi:[0,0,1]
	v_pk_fma_f32 v[140:141], v[140:141], v[130:131], v[144:145] op_sel:[0,0,1] op_sel_hi:[1,0,0]
	v_mov_b32_e32 v147, v141
	v_pk_mul_f32 v[140:141], v[142:143], v[132:133] op_sel:[0,1]
	s_delay_alu instid0(VALU_DEP_2) | instskip(NEXT) | instid1(VALU_DEP_2)
	v_pk_add_f32 v[74:75], v[74:75], v[146:147] neg_lo:[0,1] neg_hi:[0,1]
	v_pk_fma_f32 v[144:145], v[142:143], v[130:131], v[140:141] op_sel:[0,0,1] op_sel_hi:[1,1,0] neg_lo:[0,0,1] neg_hi:[0,0,1]
	v_pk_fma_f32 v[140:141], v[142:143], v[130:131], v[140:141] op_sel:[0,0,1] op_sel_hi:[1,0,0]
	s_delay_alu instid0(VALU_DEP_1) | instskip(SKIP_4) | instid1(VALU_DEP_1)
	v_mov_b32_e32 v145, v141
	ds_load_2addr_b64 v[140:143], v134 offset0:20 offset1:21
	v_pk_add_f32 v[70:71], v[70:71], v[144:145] neg_lo:[0,1] neg_hi:[0,1]
	s_wait_dscnt 0x0
	v_pk_mul_f32 v[144:145], v[140:141], v[132:133] op_sel:[0,1]
	v_pk_fma_f32 v[146:147], v[140:141], v[130:131], v[144:145] op_sel:[0,0,1] op_sel_hi:[1,1,0] neg_lo:[0,0,1] neg_hi:[0,0,1]
	v_pk_fma_f32 v[140:141], v[140:141], v[130:131], v[144:145] op_sel:[0,0,1] op_sel_hi:[1,0,0]
	v_dual_mul_f32 v144, v143, v133 :: v_dual_mov_b32 v140, v143
	s_delay_alu instid0(VALU_DEP_2) | instskip(NEXT) | instid1(VALU_DEP_2)
	v_dual_mov_b32 v147, v141 :: v_dual_mov_b32 v141, v142
	v_pk_fma_f32 v[144:145], v[142:143], v[90:91], v[144:145] op_sel_hi:[1,1,0] neg_lo:[0,0,1] neg_hi:[0,0,1]
	v_mul_f32_e32 v142, v143, v130
	s_delay_alu instid0(VALU_DEP_3) | instskip(NEXT) | instid1(VALU_DEP_2)
	v_pk_add_f32 v[110:111], v[110:111], v[146:147] neg_lo:[0,1] neg_hi:[0,1]
	v_pk_fma_f32 v[140:141], v[140:141], v[90:91], v[142:143] op_sel_hi:[1,1,0]
	s_delay_alu instid0(VALU_DEP_1) | instskip(SKIP_4) | instid1(VALU_DEP_1)
	v_mov_b32_e32 v145, v141
	ds_load_2addr_b64 v[140:143], v134 offset0:22 offset1:23
	v_pk_add_f32 v[66:67], v[66:67], v[144:145] neg_lo:[0,1] neg_hi:[0,1]
	s_wait_dscnt 0x0
	v_pk_mul_f32 v[144:145], v[140:141], v[132:133] op_sel:[0,1]
	v_pk_fma_f32 v[146:147], v[140:141], v[130:131], v[144:145] op_sel:[0,0,1] op_sel_hi:[1,1,0] neg_lo:[0,0,1] neg_hi:[0,0,1]
	v_pk_fma_f32 v[140:141], v[140:141], v[130:131], v[144:145] op_sel:[0,0,1] op_sel_hi:[1,0,0]
	s_delay_alu instid0(VALU_DEP_1) | instskip(SKIP_1) | instid1(VALU_DEP_1)
	v_mov_b32_e32 v147, v141
	v_pk_mul_f32 v[140:141], v[142:143], v[132:133] op_sel:[0,1]
	v_pk_fma_f32 v[144:145], v[142:143], v[130:131], v[140:141] op_sel:[0,0,1] op_sel_hi:[1,1,0] neg_lo:[0,0,1] neg_hi:[0,0,1]
	v_pk_fma_f32 v[140:141], v[142:143], v[130:131], v[140:141] op_sel:[0,0,1] op_sel_hi:[1,0,0]
	s_delay_alu instid0(VALU_DEP_1)
	v_mov_b32_e32 v145, v141
	ds_load_2addr_b64 v[140:143], v134 offset0:24 offset1:25
	v_pk_add_f32 v[68:69], v[68:69], v[146:147] neg_lo:[0,1] neg_hi:[0,1]
	v_pk_add_f32 v[64:65], v[64:65], v[144:145] neg_lo:[0,1] neg_hi:[0,1]
	s_wait_dscnt 0x0
	v_pk_mul_f32 v[144:145], v[140:141], v[132:133] op_sel:[0,1]
	s_delay_alu instid0(VALU_DEP_1) | instskip(SKIP_1) | instid1(VALU_DEP_1)
	v_pk_fma_f32 v[146:147], v[140:141], v[130:131], v[144:145] op_sel:[0,0,1] op_sel_hi:[1,1,0] neg_lo:[0,0,1] neg_hi:[0,0,1]
	v_pk_fma_f32 v[140:141], v[140:141], v[130:131], v[144:145] op_sel:[0,0,1] op_sel_hi:[1,0,0]
	v_mov_b32_e32 v147, v141
	v_pk_mul_f32 v[140:141], v[142:143], v[132:133] op_sel:[0,1]
	s_delay_alu instid0(VALU_DEP_1) | instskip(SKIP_1) | instid1(VALU_DEP_1)
	v_pk_fma_f32 v[144:145], v[142:143], v[130:131], v[140:141] op_sel:[0,0,1] op_sel_hi:[1,1,0] neg_lo:[0,0,1] neg_hi:[0,0,1]
	v_pk_fma_f32 v[140:141], v[142:143], v[130:131], v[140:141] op_sel:[0,0,1] op_sel_hi:[1,0,0]
	v_mov_b32_e32 v145, v141
	ds_load_2addr_b64 v[140:143], v134 offset0:26 offset1:27
	v_pk_add_f32 v[108:109], v[108:109], v[146:147] neg_lo:[0,1] neg_hi:[0,1]
	v_pk_add_f32 v[60:61], v[60:61], v[144:145] neg_lo:[0,1] neg_hi:[0,1]
	s_wait_dscnt 0x0
	v_dual_mul_f32 v144, v141, v133 :: v_dual_mul_f32 v146, v141, v130
	s_delay_alu instid0(VALU_DEP_1) | instskip(NEXT) | instid1(VALU_DEP_2)
	v_pk_fma_f32 v[144:145], v[140:141], v[90:91], v[144:145] op_sel_hi:[1,1,0] neg_lo:[0,0,1] neg_hi:[0,0,1]
	v_pk_fma_f32 v[140:141], v[140:141], v[90:91], v[146:147] op_sel:[1,0,0] op_sel_hi:[0,1,0]
	s_delay_alu instid0(VALU_DEP_1) | instskip(SKIP_1) | instid1(VALU_DEP_2)
	v_mov_b32_e32 v145, v141
	v_pk_mul_f32 v[140:141], v[142:143], v[132:133] op_sel:[0,1]
	v_pk_add_f32 v[62:63], v[62:63], v[144:145] neg_lo:[0,1] neg_hi:[0,1]
	s_delay_alu instid0(VALU_DEP_2) | instskip(SKIP_1) | instid1(VALU_DEP_1)
	v_pk_fma_f32 v[144:145], v[142:143], v[130:131], v[140:141] op_sel:[0,0,1] op_sel_hi:[1,1,0] neg_lo:[0,0,1] neg_hi:[0,0,1]
	v_pk_fma_f32 v[140:141], v[142:143], v[130:131], v[140:141] op_sel:[0,0,1] op_sel_hi:[1,0,0]
	v_mov_b32_e32 v145, v141
	ds_load_2addr_b64 v[140:143], v134 offset0:28 offset1:29
	v_pk_add_f32 v[58:59], v[58:59], v[144:145] neg_lo:[0,1] neg_hi:[0,1]
	s_wait_dscnt 0x0
	v_pk_mul_f32 v[144:145], v[140:141], v[132:133] op_sel:[0,1]
	s_delay_alu instid0(VALU_DEP_1) | instskip(SKIP_1) | instid1(VALU_DEP_1)
	v_pk_fma_f32 v[146:147], v[140:141], v[130:131], v[144:145] op_sel:[0,0,1] op_sel_hi:[1,1,0] neg_lo:[0,0,1] neg_hi:[0,0,1]
	v_pk_fma_f32 v[140:141], v[140:141], v[130:131], v[144:145] op_sel:[0,0,1] op_sel_hi:[1,0,0]
	v_mov_b32_e32 v147, v141
	v_pk_mul_f32 v[140:141], v[142:143], v[132:133] op_sel:[0,1]
	s_delay_alu instid0(VALU_DEP_2) | instskip(NEXT) | instid1(VALU_DEP_2)
	v_pk_add_f32 v[106:107], v[106:107], v[146:147] neg_lo:[0,1] neg_hi:[0,1]
	v_pk_fma_f32 v[144:145], v[142:143], v[130:131], v[140:141] op_sel:[0,0,1] op_sel_hi:[1,1,0] neg_lo:[0,0,1] neg_hi:[0,0,1]
	v_pk_fma_f32 v[140:141], v[142:143], v[130:131], v[140:141] op_sel:[0,0,1] op_sel_hi:[1,0,0]
	s_delay_alu instid0(VALU_DEP_1) | instskip(SKIP_4) | instid1(VALU_DEP_1)
	v_mov_b32_e32 v145, v141
	ds_load_2addr_b64 v[140:143], v134 offset0:30 offset1:31
	v_pk_add_f32 v[54:55], v[54:55], v[144:145] neg_lo:[0,1] neg_hi:[0,1]
	s_wait_dscnt 0x0
	v_pk_mul_f32 v[144:145], v[140:141], v[132:133] op_sel:[0,1]
	v_pk_fma_f32 v[146:147], v[140:141], v[130:131], v[144:145] op_sel:[0,0,1] op_sel_hi:[1,1,0] neg_lo:[0,0,1] neg_hi:[0,0,1]
	v_pk_fma_f32 v[140:141], v[140:141], v[130:131], v[144:145] op_sel:[0,0,1] op_sel_hi:[1,0,0]
	v_dual_mul_f32 v144, v143, v133 :: v_dual_mov_b32 v140, v143
	s_delay_alu instid0(VALU_DEP_2) | instskip(NEXT) | instid1(VALU_DEP_2)
	v_dual_mov_b32 v147, v141 :: v_dual_mov_b32 v141, v142
	v_pk_fma_f32 v[144:145], v[142:143], v[90:91], v[144:145] op_sel_hi:[1,1,0] neg_lo:[0,0,1] neg_hi:[0,0,1]
	v_mul_f32_e32 v142, v143, v130
	s_delay_alu instid0(VALU_DEP_3) | instskip(NEXT) | instid1(VALU_DEP_2)
	v_pk_add_f32 v[56:57], v[56:57], v[146:147] neg_lo:[0,1] neg_hi:[0,1]
	v_pk_fma_f32 v[140:141], v[140:141], v[90:91], v[142:143] op_sel_hi:[1,1,0]
	s_delay_alu instid0(VALU_DEP_1) | instskip(SKIP_4) | instid1(VALU_DEP_1)
	v_mov_b32_e32 v145, v141
	ds_load_2addr_b64 v[140:143], v134 offset0:32 offset1:33
	v_pk_add_f32 v[52:53], v[52:53], v[144:145] neg_lo:[0,1] neg_hi:[0,1]
	s_wait_dscnt 0x0
	v_pk_mul_f32 v[144:145], v[140:141], v[132:133] op_sel:[0,1]
	v_pk_fma_f32 v[146:147], v[140:141], v[130:131], v[144:145] op_sel:[0,0,1] op_sel_hi:[1,1,0] neg_lo:[0,0,1] neg_hi:[0,0,1]
	v_pk_fma_f32 v[140:141], v[140:141], v[130:131], v[144:145] op_sel:[0,0,1] op_sel_hi:[1,0,0]
	s_delay_alu instid0(VALU_DEP_1) | instskip(SKIP_1) | instid1(VALU_DEP_1)
	v_mov_b32_e32 v147, v141
	v_pk_mul_f32 v[140:141], v[142:143], v[132:133] op_sel:[0,1]
	v_pk_fma_f32 v[144:145], v[142:143], v[130:131], v[140:141] op_sel:[0,0,1] op_sel_hi:[1,1,0] neg_lo:[0,0,1] neg_hi:[0,0,1]
	v_pk_fma_f32 v[140:141], v[142:143], v[130:131], v[140:141] op_sel:[0,0,1] op_sel_hi:[1,0,0]
	s_delay_alu instid0(VALU_DEP_1)
	v_mov_b32_e32 v145, v141
	ds_load_2addr_b64 v[140:143], v134 offset0:34 offset1:35
	v_pk_add_f32 v[104:105], v[104:105], v[146:147] neg_lo:[0,1] neg_hi:[0,1]
	v_pk_add_f32 v[48:49], v[48:49], v[144:145] neg_lo:[0,1] neg_hi:[0,1]
	s_wait_dscnt 0x0
	v_pk_mul_f32 v[144:145], v[140:141], v[132:133] op_sel:[0,1]
	s_delay_alu instid0(VALU_DEP_1) | instskip(SKIP_1) | instid1(VALU_DEP_1)
	v_pk_fma_f32 v[146:147], v[140:141], v[130:131], v[144:145] op_sel:[0,0,1] op_sel_hi:[1,1,0] neg_lo:[0,0,1] neg_hi:[0,0,1]
	v_pk_fma_f32 v[140:141], v[140:141], v[130:131], v[144:145] op_sel:[0,0,1] op_sel_hi:[1,0,0]
	v_mov_b32_e32 v147, v141
	v_pk_mul_f32 v[140:141], v[142:143], v[132:133] op_sel:[0,1]
	s_delay_alu instid0(VALU_DEP_1) | instskip(SKIP_1) | instid1(VALU_DEP_1)
	v_pk_fma_f32 v[144:145], v[142:143], v[130:131], v[140:141] op_sel:[0,0,1] op_sel_hi:[1,1,0] neg_lo:[0,0,1] neg_hi:[0,0,1]
	v_pk_fma_f32 v[140:141], v[142:143], v[130:131], v[140:141] op_sel:[0,0,1] op_sel_hi:[1,0,0]
	v_mov_b32_e32 v145, v141
	ds_load_2addr_b64 v[140:143], v134 offset0:36 offset1:37
	v_pk_add_f32 v[50:51], v[50:51], v[146:147] neg_lo:[0,1] neg_hi:[0,1]
	v_pk_add_f32 v[46:47], v[46:47], v[144:145] neg_lo:[0,1] neg_hi:[0,1]
	s_wait_dscnt 0x0
	v_dual_mul_f32 v144, v141, v133 :: v_dual_mul_f32 v146, v141, v130
	s_delay_alu instid0(VALU_DEP_1) | instskip(NEXT) | instid1(VALU_DEP_2)
	v_pk_fma_f32 v[144:145], v[140:141], v[90:91], v[144:145] op_sel_hi:[1,1,0] neg_lo:[0,0,1] neg_hi:[0,0,1]
	v_pk_fma_f32 v[140:141], v[140:141], v[90:91], v[146:147] op_sel:[1,0,0] op_sel_hi:[0,1,0]
	s_delay_alu instid0(VALU_DEP_1) | instskip(SKIP_1) | instid1(VALU_DEP_2)
	v_mov_b32_e32 v145, v141
	v_pk_mul_f32 v[140:141], v[142:143], v[132:133] op_sel:[0,1]
	v_pk_add_f32 v[102:103], v[102:103], v[144:145] neg_lo:[0,1] neg_hi:[0,1]
	s_delay_alu instid0(VALU_DEP_2) | instskip(SKIP_1) | instid1(VALU_DEP_1)
	v_pk_fma_f32 v[144:145], v[142:143], v[130:131], v[140:141] op_sel:[0,0,1] op_sel_hi:[1,1,0] neg_lo:[0,0,1] neg_hi:[0,0,1]
	v_pk_fma_f32 v[140:141], v[142:143], v[130:131], v[140:141] op_sel:[0,0,1] op_sel_hi:[1,0,0]
	v_mov_b32_e32 v145, v141
	ds_load_2addr_b64 v[140:143], v134 offset0:38 offset1:39
	v_pk_add_f32 v[40:41], v[40:41], v[144:145] neg_lo:[0,1] neg_hi:[0,1]
	s_wait_dscnt 0x0
	v_pk_mul_f32 v[144:145], v[140:141], v[132:133] op_sel:[0,1]
	s_delay_alu instid0(VALU_DEP_1) | instskip(SKIP_1) | instid1(VALU_DEP_1)
	v_pk_fma_f32 v[146:147], v[140:141], v[130:131], v[144:145] op_sel:[0,0,1] op_sel_hi:[1,1,0] neg_lo:[0,0,1] neg_hi:[0,0,1]
	v_pk_fma_f32 v[140:141], v[140:141], v[130:131], v[144:145] op_sel:[0,0,1] op_sel_hi:[1,0,0]
	v_mov_b32_e32 v147, v141
	v_pk_mul_f32 v[140:141], v[142:143], v[132:133] op_sel:[0,1]
	s_delay_alu instid0(VALU_DEP_2) | instskip(NEXT) | instid1(VALU_DEP_2)
	v_pk_add_f32 v[42:43], v[42:43], v[146:147] neg_lo:[0,1] neg_hi:[0,1]
	v_pk_fma_f32 v[144:145], v[142:143], v[130:131], v[140:141] op_sel:[0,0,1] op_sel_hi:[1,1,0] neg_lo:[0,0,1] neg_hi:[0,0,1]
	v_pk_fma_f32 v[140:141], v[142:143], v[130:131], v[140:141] op_sel:[0,0,1] op_sel_hi:[1,0,0]
	s_delay_alu instid0(VALU_DEP_1) | instskip(SKIP_4) | instid1(VALU_DEP_1)
	v_mov_b32_e32 v145, v141
	ds_load_2addr_b64 v[140:143], v134 offset0:40 offset1:41
	v_pk_add_f32 v[38:39], v[38:39], v[144:145] neg_lo:[0,1] neg_hi:[0,1]
	s_wait_dscnt 0x0
	v_pk_mul_f32 v[144:145], v[140:141], v[132:133] op_sel:[0,1]
	v_pk_fma_f32 v[146:147], v[140:141], v[130:131], v[144:145] op_sel:[0,0,1] op_sel_hi:[1,1,0] neg_lo:[0,0,1] neg_hi:[0,0,1]
	v_pk_fma_f32 v[140:141], v[140:141], v[130:131], v[144:145] op_sel:[0,0,1] op_sel_hi:[1,0,0]
	v_dual_mul_f32 v144, v143, v133 :: v_dual_mov_b32 v140, v143
	s_delay_alu instid0(VALU_DEP_2) | instskip(NEXT) | instid1(VALU_DEP_2)
	v_dual_mov_b32 v147, v141 :: v_dual_mov_b32 v141, v142
	v_pk_fma_f32 v[144:145], v[142:143], v[90:91], v[144:145] op_sel_hi:[1,1,0] neg_lo:[0,0,1] neg_hi:[0,0,1]
	v_mul_f32_e32 v142, v143, v130
	s_delay_alu instid0(VALU_DEP_3) | instskip(NEXT) | instid1(VALU_DEP_2)
	v_pk_add_f32 v[100:101], v[100:101], v[146:147] neg_lo:[0,1] neg_hi:[0,1]
	v_pk_fma_f32 v[140:141], v[140:141], v[90:91], v[142:143] op_sel_hi:[1,1,0]
	s_delay_alu instid0(VALU_DEP_1) | instskip(SKIP_4) | instid1(VALU_DEP_1)
	v_mov_b32_e32 v145, v141
	ds_load_2addr_b64 v[140:143], v134 offset0:42 offset1:43
	v_pk_add_f32 v[32:33], v[32:33], v[144:145] neg_lo:[0,1] neg_hi:[0,1]
	s_wait_dscnt 0x0
	v_pk_mul_f32 v[144:145], v[140:141], v[132:133] op_sel:[0,1]
	v_pk_fma_f32 v[146:147], v[140:141], v[130:131], v[144:145] op_sel:[0,0,1] op_sel_hi:[1,1,0] neg_lo:[0,0,1] neg_hi:[0,0,1]
	v_pk_fma_f32 v[140:141], v[140:141], v[130:131], v[144:145] op_sel:[0,0,1] op_sel_hi:[1,0,0]
	s_delay_alu instid0(VALU_DEP_1) | instskip(SKIP_1) | instid1(VALU_DEP_1)
	v_mov_b32_e32 v147, v141
	v_pk_mul_f32 v[140:141], v[142:143], v[132:133] op_sel:[0,1]
	v_pk_fma_f32 v[144:145], v[142:143], v[130:131], v[140:141] op_sel:[0,0,1] op_sel_hi:[1,1,0] neg_lo:[0,0,1] neg_hi:[0,0,1]
	v_pk_fma_f32 v[140:141], v[142:143], v[130:131], v[140:141] op_sel:[0,0,1] op_sel_hi:[1,0,0]
	s_delay_alu instid0(VALU_DEP_1)
	v_mov_b32_e32 v145, v141
	ds_load_2addr_b64 v[140:143], v134 offset0:44 offset1:45
	v_pk_add_f32 v[34:35], v[34:35], v[146:147] neg_lo:[0,1] neg_hi:[0,1]
	v_pk_add_f32 v[30:31], v[30:31], v[144:145] neg_lo:[0,1] neg_hi:[0,1]
	s_wait_dscnt 0x0
	v_pk_mul_f32 v[144:145], v[140:141], v[132:133] op_sel:[0,1]
	s_delay_alu instid0(VALU_DEP_1) | instskip(SKIP_1) | instid1(VALU_DEP_1)
	v_pk_fma_f32 v[146:147], v[140:141], v[130:131], v[144:145] op_sel:[0,0,1] op_sel_hi:[1,1,0] neg_lo:[0,0,1] neg_hi:[0,0,1]
	v_pk_fma_f32 v[140:141], v[140:141], v[130:131], v[144:145] op_sel:[0,0,1] op_sel_hi:[1,0,0]
	v_mov_b32_e32 v147, v141
	v_pk_mul_f32 v[140:141], v[142:143], v[132:133] op_sel:[0,1]
	s_delay_alu instid0(VALU_DEP_1) | instskip(SKIP_1) | instid1(VALU_DEP_1)
	v_pk_fma_f32 v[144:145], v[142:143], v[130:131], v[140:141] op_sel:[0,0,1] op_sel_hi:[1,1,0] neg_lo:[0,0,1] neg_hi:[0,0,1]
	v_pk_fma_f32 v[140:141], v[142:143], v[130:131], v[140:141] op_sel:[0,0,1] op_sel_hi:[1,0,0]
	v_mov_b32_e32 v145, v141
	ds_load_2addr_b64 v[140:143], v134 offset0:46 offset1:47
	v_pk_add_f32 v[98:99], v[98:99], v[146:147] neg_lo:[0,1] neg_hi:[0,1]
	v_pk_add_f32 v[24:25], v[24:25], v[144:145] neg_lo:[0,1] neg_hi:[0,1]
	s_wait_dscnt 0x0
	v_dual_mul_f32 v144, v141, v133 :: v_dual_mul_f32 v146, v141, v130
	s_delay_alu instid0(VALU_DEP_1) | instskip(NEXT) | instid1(VALU_DEP_2)
	v_pk_fma_f32 v[144:145], v[140:141], v[90:91], v[144:145] op_sel_hi:[1,1,0] neg_lo:[0,0,1] neg_hi:[0,0,1]
	v_pk_fma_f32 v[140:141], v[140:141], v[90:91], v[146:147] op_sel:[1,0,0] op_sel_hi:[0,1,0]
	s_delay_alu instid0(VALU_DEP_1) | instskip(SKIP_1) | instid1(VALU_DEP_2)
	v_mov_b32_e32 v145, v141
	v_pk_mul_f32 v[140:141], v[142:143], v[132:133] op_sel:[0,1]
	v_pk_add_f32 v[28:29], v[28:29], v[144:145] neg_lo:[0,1] neg_hi:[0,1]
	s_delay_alu instid0(VALU_DEP_2) | instskip(SKIP_1) | instid1(VALU_DEP_1)
	v_pk_fma_f32 v[144:145], v[142:143], v[130:131], v[140:141] op_sel:[0,0,1] op_sel_hi:[1,1,0] neg_lo:[0,0,1] neg_hi:[0,0,1]
	v_pk_fma_f32 v[140:141], v[142:143], v[130:131], v[140:141] op_sel:[0,0,1] op_sel_hi:[1,0,0]
	v_mov_b32_e32 v145, v141
	ds_load_2addr_b64 v[140:143], v134 offset0:48 offset1:49
	v_pk_add_f32 v[22:23], v[22:23], v[144:145] neg_lo:[0,1] neg_hi:[0,1]
	s_wait_dscnt 0x0
	v_pk_mul_f32 v[144:145], v[140:141], v[132:133] op_sel:[0,1]
	s_delay_alu instid0(VALU_DEP_1) | instskip(SKIP_1) | instid1(VALU_DEP_1)
	v_pk_fma_f32 v[146:147], v[140:141], v[130:131], v[144:145] op_sel:[0,0,1] op_sel_hi:[1,1,0] neg_lo:[0,0,1] neg_hi:[0,0,1]
	v_pk_fma_f32 v[140:141], v[140:141], v[130:131], v[144:145] op_sel:[0,0,1] op_sel_hi:[1,0,0]
	v_mov_b32_e32 v147, v141
	v_pk_mul_f32 v[140:141], v[142:143], v[132:133] op_sel:[0,1]
	s_delay_alu instid0(VALU_DEP_2) | instskip(NEXT) | instid1(VALU_DEP_2)
	v_pk_add_f32 v[96:97], v[96:97], v[146:147] neg_lo:[0,1] neg_hi:[0,1]
	v_pk_fma_f32 v[144:145], v[142:143], v[130:131], v[140:141] op_sel:[0,0,1] op_sel_hi:[1,1,0] neg_lo:[0,0,1] neg_hi:[0,0,1]
	v_pk_fma_f32 v[140:141], v[142:143], v[130:131], v[140:141] op_sel:[0,0,1] op_sel_hi:[1,0,0]
	s_delay_alu instid0(VALU_DEP_1) | instskip(SKIP_4) | instid1(VALU_DEP_1)
	v_mov_b32_e32 v145, v141
	ds_load_2addr_b64 v[140:143], v134 offset0:50 offset1:51
	v_pk_add_f32 v[18:19], v[18:19], v[144:145] neg_lo:[0,1] neg_hi:[0,1]
	s_wait_dscnt 0x0
	v_pk_mul_f32 v[144:145], v[140:141], v[132:133] op_sel:[0,1]
	v_pk_fma_f32 v[146:147], v[140:141], v[130:131], v[144:145] op_sel:[0,0,1] op_sel_hi:[1,1,0] neg_lo:[0,0,1] neg_hi:[0,0,1]
	v_pk_fma_f32 v[140:141], v[140:141], v[130:131], v[144:145] op_sel:[0,0,1] op_sel_hi:[1,0,0]
	v_dual_mul_f32 v144, v143, v133 :: v_dual_mov_b32 v140, v143
	s_delay_alu instid0(VALU_DEP_2) | instskip(NEXT) | instid1(VALU_DEP_2)
	v_dual_mov_b32 v147, v141 :: v_dual_mov_b32 v141, v142
	v_pk_fma_f32 v[144:145], v[142:143], v[90:91], v[144:145] op_sel_hi:[1,1,0] neg_lo:[0,0,1] neg_hi:[0,0,1]
	v_mul_f32_e32 v142, v143, v130
	s_delay_alu instid0(VALU_DEP_3) | instskip(NEXT) | instid1(VALU_DEP_2)
	v_pk_add_f32 v[20:21], v[20:21], v[146:147] neg_lo:[0,1] neg_hi:[0,1]
	v_pk_fma_f32 v[140:141], v[140:141], v[90:91], v[142:143] op_sel_hi:[1,1,0]
	s_delay_alu instid0(VALU_DEP_1) | instskip(SKIP_4) | instid1(VALU_DEP_1)
	v_mov_b32_e32 v145, v141
	ds_load_2addr_b64 v[140:143], v134 offset0:52 offset1:53
	v_pk_add_f32 v[36:37], v[36:37], v[144:145] neg_lo:[0,1] neg_hi:[0,1]
	s_wait_dscnt 0x0
	v_pk_mul_f32 v[144:145], v[140:141], v[132:133] op_sel:[0,1]
	v_pk_fma_f32 v[146:147], v[140:141], v[130:131], v[144:145] op_sel:[0,0,1] op_sel_hi:[1,1,0] neg_lo:[0,0,1] neg_hi:[0,0,1]
	v_pk_fma_f32 v[140:141], v[140:141], v[130:131], v[144:145] op_sel:[0,0,1] op_sel_hi:[1,0,0]
	s_delay_alu instid0(VALU_DEP_1) | instskip(SKIP_1) | instid1(VALU_DEP_1)
	v_mov_b32_e32 v147, v141
	v_pk_mul_f32 v[140:141], v[142:143], v[132:133] op_sel:[0,1]
	v_pk_fma_f32 v[144:145], v[142:143], v[130:131], v[140:141] op_sel:[0,0,1] op_sel_hi:[1,1,0] neg_lo:[0,0,1] neg_hi:[0,0,1]
	v_pk_fma_f32 v[140:141], v[142:143], v[130:131], v[140:141] op_sel:[0,0,1] op_sel_hi:[1,0,0]
	s_delay_alu instid0(VALU_DEP_1)
	v_mov_b32_e32 v145, v141
	ds_load_2addr_b64 v[140:143], v134 offset0:54 offset1:55
	v_pk_add_f32 v[86:87], v[86:87], v[146:147] neg_lo:[0,1] neg_hi:[0,1]
	v_pk_add_f32 v[10:11], v[10:11], v[144:145] neg_lo:[0,1] neg_hi:[0,1]
	s_wait_dscnt 0x0
	v_pk_mul_f32 v[144:145], v[140:141], v[132:133] op_sel:[0,1]
	s_delay_alu instid0(VALU_DEP_1) | instskip(SKIP_1) | instid1(VALU_DEP_1)
	v_pk_fma_f32 v[146:147], v[140:141], v[130:131], v[144:145] op_sel:[0,0,1] op_sel_hi:[1,1,0] neg_lo:[0,0,1] neg_hi:[0,0,1]
	v_pk_fma_f32 v[140:141], v[140:141], v[130:131], v[144:145] op_sel:[0,0,1] op_sel_hi:[1,0,0]
	v_mov_b32_e32 v147, v141
	v_pk_mul_f32 v[140:141], v[142:143], v[132:133] op_sel:[0,1]
	s_delay_alu instid0(VALU_DEP_1) | instskip(SKIP_1) | instid1(VALU_DEP_1)
	v_pk_fma_f32 v[144:145], v[142:143], v[130:131], v[140:141] op_sel:[0,0,1] op_sel_hi:[1,1,0] neg_lo:[0,0,1] neg_hi:[0,0,1]
	v_pk_fma_f32 v[140:141], v[142:143], v[130:131], v[140:141] op_sel:[0,0,1] op_sel_hi:[1,0,0]
	v_mov_b32_e32 v145, v141
	ds_load_2addr_b64 v[140:143], v134 offset0:56 offset1:57
	v_pk_add_f32 v[12:13], v[12:13], v[146:147] neg_lo:[0,1] neg_hi:[0,1]
	v_pk_add_f32 v[8:9], v[8:9], v[144:145] neg_lo:[0,1] neg_hi:[0,1]
	s_wait_dscnt 0x0
	v_dual_mul_f32 v144, v141, v133 :: v_dual_mul_f32 v146, v141, v130
	s_delay_alu instid0(VALU_DEP_1) | instskip(NEXT) | instid1(VALU_DEP_2)
	v_pk_fma_f32 v[144:145], v[140:141], v[90:91], v[144:145] op_sel_hi:[1,1,0] neg_lo:[0,0,1] neg_hi:[0,0,1]
	v_pk_fma_f32 v[140:141], v[140:141], v[90:91], v[146:147] op_sel:[1,0,0] op_sel_hi:[0,1,0]
	s_delay_alu instid0(VALU_DEP_1) | instskip(SKIP_1) | instid1(VALU_DEP_2)
	v_mov_b32_e32 v145, v141
	v_pk_mul_f32 v[140:141], v[142:143], v[132:133] op_sel:[0,1]
	v_pk_add_f32 v[44:45], v[44:45], v[144:145] neg_lo:[0,1] neg_hi:[0,1]
	s_delay_alu instid0(VALU_DEP_2) | instskip(SKIP_1) | instid1(VALU_DEP_1)
	v_pk_fma_f32 v[144:145], v[142:143], v[130:131], v[140:141] op_sel:[0,0,1] op_sel_hi:[1,1,0] neg_lo:[0,0,1] neg_hi:[0,0,1]
	v_pk_fma_f32 v[140:141], v[142:143], v[130:131], v[140:141] op_sel:[0,0,1] op_sel_hi:[1,0,0]
	v_mov_b32_e32 v145, v141
	ds_load_2addr_b64 v[140:143], v134 offset0:58 offset1:59
	v_pk_add_f32 v[6:7], v[6:7], v[144:145] neg_lo:[0,1] neg_hi:[0,1]
	s_wait_dscnt 0x0
	v_pk_mul_f32 v[144:145], v[140:141], v[132:133] op_sel:[0,1]
	s_delay_alu instid0(VALU_DEP_1) | instskip(SKIP_1) | instid1(VALU_DEP_1)
	v_pk_fma_f32 v[146:147], v[140:141], v[130:131], v[144:145] op_sel:[0,0,1] op_sel_hi:[1,1,0] neg_lo:[0,0,1] neg_hi:[0,0,1]
	v_pk_fma_f32 v[140:141], v[140:141], v[130:131], v[144:145] op_sel:[0,0,1] op_sel_hi:[1,0,0]
	v_mov_b32_e32 v147, v141
	v_pk_mul_f32 v[140:141], v[142:143], v[132:133] op_sel:[0,1]
	s_delay_alu instid0(VALU_DEP_2) | instskip(NEXT) | instid1(VALU_DEP_2)
	v_pk_add_f32 v[26:27], v[26:27], v[146:147] neg_lo:[0,1] neg_hi:[0,1]
	v_pk_fma_f32 v[144:145], v[142:143], v[130:131], v[140:141] op_sel:[0,0,1] op_sel_hi:[1,1,0] neg_lo:[0,0,1] neg_hi:[0,0,1]
	v_pk_fma_f32 v[140:141], v[142:143], v[130:131], v[140:141] op_sel:[0,0,1] op_sel_hi:[1,0,0]
	s_delay_alu instid0(VALU_DEP_1)
	v_mov_b32_e32 v145, v141
	ds_load_2addr_b64 v[140:143], v134 offset0:60 offset1:61
	v_pk_add_f32 v[16:17], v[16:17], v[144:145] neg_lo:[0,1] neg_hi:[0,1]
	s_wait_dscnt 0x0
	v_pk_mul_f32 v[144:145], v[140:141], v[132:133] op_sel:[0,1]
	v_mul_f32_e32 v132, v143, v133
	s_delay_alu instid0(VALU_DEP_2) | instskip(SKIP_2) | instid1(VALU_DEP_4)
	v_pk_fma_f32 v[146:147], v[140:141], v[130:131], v[144:145] op_sel:[0,0,1] op_sel_hi:[1,1,0] neg_lo:[0,0,1] neg_hi:[0,0,1]
	v_pk_fma_f32 v[140:141], v[140:141], v[130:131], v[144:145] op_sel:[0,0,1] op_sel_hi:[1,0,0]
	v_dual_mov_b32 v140, v143 :: v_dual_mul_f32 v130, v143, v130
	v_pk_fma_f32 v[132:133], v[142:143], v[90:91], v[132:133] op_sel_hi:[1,1,0] neg_lo:[0,0,1] neg_hi:[0,0,1]
	s_delay_alu instid0(VALU_DEP_3) | instskip(NEXT) | instid1(VALU_DEP_1)
	v_dual_mov_b32 v147, v141 :: v_dual_mov_b32 v141, v142
	v_pk_add_f32 v[14:15], v[14:15], v[146:147] neg_lo:[0,1] neg_hi:[0,1]
	s_delay_alu instid0(VALU_DEP_2) | instskip(NEXT) | instid1(VALU_DEP_1)
	v_pk_fma_f32 v[130:131], v[140:141], v[90:91], v[130:131] op_sel_hi:[1,1,0]
	v_mov_b32_e32 v133, v131
	s_delay_alu instid0(VALU_DEP_1)
	v_pk_add_f32 v[128:129], v[128:129], v[132:133] neg_lo:[0,1] neg_hi:[0,1]
.LBB122_167:
	s_or_b32 exec_lo, exec_lo, s0
	v_lshl_add_u32 v130, v138, 3, v134
	s_barrier_signal -1
	s_barrier_wait -1
	ds_store_b64 v130, v[116:117]
	s_wait_dscnt 0x0
	s_barrier_signal -1
	s_barrier_wait -1
	ds_load_b64 v[132:133], v134 offset:64
	v_mov_b32_e32 v130, 8
	s_cmp_lt_i32 s18, 10
	s_cbranch_scc1 .LBB122_170
; %bb.168:
	v_add3_u32 v131, v135, 0, 0x48
	v_mov_b32_e32 v130, 8
	s_mov_b32 s0, 9
.LBB122_169:                            ; =>This Inner Loop Header: Depth=1
	ds_load_b64 v[140:141], v131
	s_wait_dscnt 0x1
	v_cmp_gt_f32_e32 vcc_lo, 0, v132
	v_cndmask_b32_e64 v142, v132, -v132, vcc_lo
	v_cmp_gt_f32_e32 vcc_lo, 0, v133
	v_cndmask_b32_e64 v144, v133, -v133, vcc_lo
	s_wait_dscnt 0x0
	v_cmp_gt_f32_e32 vcc_lo, 0, v140
	v_cndmask_b32_e64 v143, v140, -v140, vcc_lo
	v_cmp_gt_f32_e32 vcc_lo, 0, v141
	v_cndmask_b32_e64 v145, v141, -v141, vcc_lo
	s_delay_alu instid0(VALU_DEP_1) | instskip(NEXT) | instid1(VALU_DEP_1)
	v_pk_add_f32 v[142:143], v[142:143], v[144:145]
	v_cmp_lt_f32_e32 vcc_lo, v142, v143
	v_dual_add_nc_u32 v131, 8, v131 :: v_dual_cndmask_b32 v133, v133, v141, vcc_lo
	v_cndmask_b32_e32 v132, v132, v140, vcc_lo
	v_cndmask_b32_e64 v130, v130, s0, vcc_lo
	s_add_co_i32 s0, s0, 1
	s_delay_alu instid0(SALU_CYCLE_1)
	s_cmp_lg_u32 s18, s0
	s_cbranch_scc1 .LBB122_169
.LBB122_170:
	s_wait_dscnt 0x0
	v_cmp_eq_f32_e32 vcc_lo, 0, v132
	v_cmp_eq_f32_e64 s0, 0, v133
	s_and_b32 s0, vcc_lo, s0
	s_delay_alu instid0(SALU_CYCLE_1) | instskip(NEXT) | instid1(SALU_CYCLE_1)
	s_and_saveexec_b32 s1, s0
	s_xor_b32 s0, exec_lo, s1
; %bb.171:
	v_cmp_ne_u32_e32 vcc_lo, 0, v136
	v_cndmask_b32_e32 v136, 9, v136, vcc_lo
; %bb.172:
	s_and_not1_saveexec_b32 s0, s0
	s_cbranch_execz .LBB122_178
; %bb.173:
	v_cmp_ngt_f32_e64 s1, |v132|, |v133|
	s_and_saveexec_b32 s12, s1
	s_delay_alu instid0(SALU_CYCLE_1)
	s_xor_b32 s1, exec_lo, s12
	s_cbranch_execz .LBB122_175
; %bb.174:
	v_div_scale_f32 v131, null, v133, v133, v132
	v_div_scale_f32 v141, vcc_lo, v132, v133, v132
	s_delay_alu instid0(VALU_DEP_2) | instskip(SKIP_1) | instid1(TRANS32_DEP_1)
	v_rcp_f32_e32 v139, v131
	v_nop
	v_fma_f32 v140, -v131, v139, 1.0
	s_delay_alu instid0(VALU_DEP_1) | instskip(NEXT) | instid1(VALU_DEP_1)
	v_fmac_f32_e32 v139, v140, v139
	v_mul_f32_e32 v140, v141, v139
	s_delay_alu instid0(VALU_DEP_1) | instskip(NEXT) | instid1(VALU_DEP_1)
	v_fma_f32 v142, -v131, v140, v141
	v_fmac_f32_e32 v140, v142, v139
	s_delay_alu instid0(VALU_DEP_1) | instskip(NEXT) | instid1(VALU_DEP_1)
	v_fma_f32 v131, -v131, v140, v141
	v_div_fmas_f32 v131, v131, v139, v140
	s_delay_alu instid0(VALU_DEP_1) | instskip(NEXT) | instid1(VALU_DEP_1)
	v_div_fixup_f32 v131, v131, v133, v132
	v_fmac_f32_e32 v133, v132, v131
	s_delay_alu instid0(VALU_DEP_1) | instskip(SKIP_1) | instid1(VALU_DEP_2)
	v_div_scale_f32 v132, null, v133, v133, 1.0
	v_div_scale_f32 v141, vcc_lo, 1.0, v133, 1.0
	v_rcp_f32_e32 v139, v132
	v_nop
	s_delay_alu instid0(TRANS32_DEP_1) | instskip(NEXT) | instid1(VALU_DEP_1)
	v_fma_f32 v140, -v132, v139, 1.0
	v_fmac_f32_e32 v139, v140, v139
	s_delay_alu instid0(VALU_DEP_1) | instskip(NEXT) | instid1(VALU_DEP_1)
	v_mul_f32_e32 v140, v141, v139
	v_fma_f32 v142, -v132, v140, v141
	s_delay_alu instid0(VALU_DEP_1) | instskip(NEXT) | instid1(VALU_DEP_1)
	v_fmac_f32_e32 v140, v142, v139
	v_fma_f32 v132, -v132, v140, v141
	s_delay_alu instid0(VALU_DEP_1) | instskip(NEXT) | instid1(VALU_DEP_1)
	v_div_fmas_f32 v132, v132, v139, v140
	v_div_fixup_f32 v133, v132, v133, 1.0
	s_delay_alu instid0(VALU_DEP_1)
	v_mul_f32_e32 v132, v131, v133
	v_xor_b32_e32 v133, 0x80000000, v133
.LBB122_175:
	s_and_not1_saveexec_b32 s1, s1
	s_cbranch_execz .LBB122_177
; %bb.176:
	s_delay_alu instid0(VALU_DEP_1) | instskip(SKIP_1) | instid1(VALU_DEP_2)
	v_div_scale_f32 v131, null, v132, v132, v133
	v_div_scale_f32 v141, vcc_lo, v133, v132, v133
	v_rcp_f32_e32 v139, v131
	v_nop
	s_delay_alu instid0(TRANS32_DEP_1) | instskip(NEXT) | instid1(VALU_DEP_1)
	v_fma_f32 v140, -v131, v139, 1.0
	v_fmac_f32_e32 v139, v140, v139
	s_delay_alu instid0(VALU_DEP_1) | instskip(NEXT) | instid1(VALU_DEP_1)
	v_mul_f32_e32 v140, v141, v139
	v_fma_f32 v142, -v131, v140, v141
	s_delay_alu instid0(VALU_DEP_1) | instskip(NEXT) | instid1(VALU_DEP_1)
	v_fmac_f32_e32 v140, v142, v139
	v_fma_f32 v131, -v131, v140, v141
	s_delay_alu instid0(VALU_DEP_1) | instskip(NEXT) | instid1(VALU_DEP_1)
	v_div_fmas_f32 v131, v131, v139, v140
	v_div_fixup_f32 v131, v131, v132, v133
	s_delay_alu instid0(VALU_DEP_1) | instskip(NEXT) | instid1(VALU_DEP_1)
	v_fmac_f32_e32 v132, v133, v131
	v_div_scale_f32 v133, null, v132, v132, 1.0
	s_delay_alu instid0(VALU_DEP_1) | instskip(SKIP_1) | instid1(TRANS32_DEP_1)
	v_rcp_f32_e32 v139, v133
	v_nop
	v_fma_f32 v140, -v133, v139, 1.0
	s_delay_alu instid0(VALU_DEP_1) | instskip(SKIP_1) | instid1(VALU_DEP_1)
	v_fmac_f32_e32 v139, v140, v139
	v_div_scale_f32 v140, vcc_lo, 1.0, v132, 1.0
	v_mul_f32_e32 v141, v140, v139
	s_delay_alu instid0(VALU_DEP_1) | instskip(NEXT) | instid1(VALU_DEP_1)
	v_fma_f32 v142, -v133, v141, v140
	v_fmac_f32_e32 v141, v142, v139
	s_delay_alu instid0(VALU_DEP_1) | instskip(NEXT) | instid1(VALU_DEP_1)
	v_fma_f32 v133, -v133, v141, v140
	v_div_fmas_f32 v133, v133, v139, v141
	s_delay_alu instid0(VALU_DEP_1) | instskip(NEXT) | instid1(VALU_DEP_1)
	v_div_fixup_f32 v132, v133, v132, 1.0
	v_mul_f32_e64 v133, v131, -v132
.LBB122_177:
	s_or_b32 exec_lo, exec_lo, s1
.LBB122_178:
	s_delay_alu instid0(SALU_CYCLE_1) | instskip(NEXT) | instid1(SALU_CYCLE_1)
	s_or_b32 exec_lo, exec_lo, s0
	s_mov_b32 s0, exec_lo
	v_cmpx_ne_u32_e64 v138, v130
	s_xor_b32 s0, exec_lo, s0
	s_cbranch_execz .LBB122_184
; %bb.179:
	s_mov_b32 s1, exec_lo
	v_cmpx_eq_u32_e32 8, v138
	s_cbranch_execz .LBB122_183
; %bb.180:
	v_cmp_ne_u32_e32 vcc_lo, 8, v130
	s_xor_b32 s12, s16, -1
	s_delay_alu instid0(SALU_CYCLE_1) | instskip(NEXT) | instid1(SALU_CYCLE_1)
	s_and_b32 s13, s12, vcc_lo
	s_and_saveexec_b32 s12, s13
	s_cbranch_execz .LBB122_182
; %bb.181:
	v_ashrrev_i32_e32 v131, 31, v130
	s_delay_alu instid0(VALU_DEP_1)
	v_lshl_add_u64 v[138:139], v[130:131], 2, v[4:5]
	s_clause 0x1
	global_load_b32 v131, v[138:139], off
	global_load_b32 v137, v[4:5], off offset:32
	s_wait_loadcnt 0x1
	global_store_b32 v[4:5], v131, off offset:32
	s_wait_loadcnt 0x0
	global_store_b32 v[138:139], v137, off
.LBB122_182:
	s_wait_xcnt 0x0
	s_or_b32 exec_lo, exec_lo, s12
	v_dual_mov_b32 v138, v130 :: v_dual_mov_b32 v137, v130
.LBB122_183:
	s_or_b32 exec_lo, exec_lo, s1
.LBB122_184:
	s_and_not1_saveexec_b32 s0, s0
	s_cbranch_execz .LBB122_186
; %bb.185:
	v_mov_b32_e32 v138, 8
	ds_store_2addr_b64 v134, v[84:85], v[88:89] offset0:9 offset1:10
	ds_store_2addr_b64 v134, v[82:83], v[114:115] offset0:11 offset1:12
	ds_store_2addr_b64 v134, v[78:79], v[80:81] offset0:13 offset1:14
	ds_store_2addr_b64 v134, v[76:77], v[112:113] offset0:15 offset1:16
	ds_store_2addr_b64 v134, v[72:73], v[74:75] offset0:17 offset1:18
	ds_store_2addr_b64 v134, v[70:71], v[110:111] offset0:19 offset1:20
	ds_store_2addr_b64 v134, v[66:67], v[68:69] offset0:21 offset1:22
	ds_store_2addr_b64 v134, v[64:65], v[108:109] offset0:23 offset1:24
	ds_store_2addr_b64 v134, v[60:61], v[62:63] offset0:25 offset1:26
	ds_store_2addr_b64 v134, v[58:59], v[106:107] offset0:27 offset1:28
	ds_store_2addr_b64 v134, v[54:55], v[56:57] offset0:29 offset1:30
	ds_store_2addr_b64 v134, v[52:53], v[104:105] offset0:31 offset1:32
	ds_store_2addr_b64 v134, v[48:49], v[50:51] offset0:33 offset1:34
	ds_store_2addr_b64 v134, v[46:47], v[102:103] offset0:35 offset1:36
	ds_store_2addr_b64 v134, v[40:41], v[42:43] offset0:37 offset1:38
	ds_store_2addr_b64 v134, v[38:39], v[100:101] offset0:39 offset1:40
	ds_store_2addr_b64 v134, v[32:33], v[34:35] offset0:41 offset1:42
	ds_store_2addr_b64 v134, v[30:31], v[98:99] offset0:43 offset1:44
	ds_store_2addr_b64 v134, v[24:25], v[28:29] offset0:45 offset1:46
	ds_store_2addr_b64 v134, v[22:23], v[96:97] offset0:47 offset1:48
	ds_store_2addr_b64 v134, v[18:19], v[20:21] offset0:49 offset1:50
	ds_store_2addr_b64 v134, v[36:37], v[86:87] offset0:51 offset1:52
	ds_store_2addr_b64 v134, v[10:11], v[12:13] offset0:53 offset1:54
	ds_store_2addr_b64 v134, v[8:9], v[44:45] offset0:55 offset1:56
	ds_store_2addr_b64 v134, v[6:7], v[26:27] offset0:57 offset1:58
	ds_store_2addr_b64 v134, v[16:17], v[14:15] offset0:59 offset1:60
	ds_store_b64 v134, v[128:129] offset:488
.LBB122_186:
	s_or_b32 exec_lo, exec_lo, s0
	s_delay_alu instid0(SALU_CYCLE_1)
	s_mov_b32 s0, exec_lo
	s_wait_storecnt_dscnt 0x0
	s_barrier_signal -1
	s_barrier_wait -1
	v_cmpx_lt_i32_e32 8, v138
	s_cbranch_execz .LBB122_188
; %bb.187:
	v_pk_mul_f32 v[140:141], v[132:133], v[116:117] op_sel:[1,1] op_sel_hi:[0,1]
	s_delay_alu instid0(VALU_DEP_1)
	v_pk_fma_f32 v[130:131], v[132:133], v[116:117], v[140:141] op_sel_hi:[1,0,1] neg_lo:[0,0,1] neg_hi:[0,0,1]
	v_pk_fma_f32 v[132:133], v[132:133], v[116:117], v[140:141] op_sel_hi:[1,0,1]
	ds_load_2addr_b64 v[140:143], v134 offset0:9 offset1:10
	v_dual_mov_b32 v116, v130 :: v_dual_mov_b32 v117, v133
	s_wait_dscnt 0x0
	v_pk_mul_f32 v[144:145], v[140:141], v[132:133] op_sel:[0,1]
	s_delay_alu instid0(VALU_DEP_1) | instskip(SKIP_1) | instid1(VALU_DEP_1)
	v_pk_fma_f32 v[146:147], v[140:141], v[130:131], v[144:145] op_sel:[0,0,1] op_sel_hi:[1,1,0] neg_lo:[0,0,1] neg_hi:[0,0,1]
	v_pk_fma_f32 v[140:141], v[140:141], v[130:131], v[144:145] op_sel:[0,0,1] op_sel_hi:[1,0,0]
	v_mov_b32_e32 v147, v141
	v_pk_mul_f32 v[140:141], v[142:143], v[132:133] op_sel:[0,1]
	s_delay_alu instid0(VALU_DEP_1) | instskip(SKIP_1) | instid1(VALU_DEP_1)
	v_pk_fma_f32 v[144:145], v[142:143], v[130:131], v[140:141] op_sel:[0,0,1] op_sel_hi:[1,1,0] neg_lo:[0,0,1] neg_hi:[0,0,1]
	v_pk_fma_f32 v[140:141], v[142:143], v[130:131], v[140:141] op_sel:[0,0,1] op_sel_hi:[1,0,0]
	v_mov_b32_e32 v145, v141
	ds_load_2addr_b64 v[140:143], v134 offset0:11 offset1:12
	v_pk_add_f32 v[84:85], v[84:85], v[146:147] neg_lo:[0,1] neg_hi:[0,1]
	v_pk_add_f32 v[88:89], v[88:89], v[144:145] neg_lo:[0,1] neg_hi:[0,1]
	s_wait_dscnt 0x0
	v_pk_mul_f32 v[144:145], v[140:141], v[132:133] op_sel:[0,1]
	s_delay_alu instid0(VALU_DEP_1) | instskip(SKIP_2) | instid1(VALU_DEP_2)
	v_pk_fma_f32 v[146:147], v[140:141], v[130:131], v[144:145] op_sel:[0,0,1] op_sel_hi:[1,1,0] neg_lo:[0,0,1] neg_hi:[0,0,1]
	v_pk_fma_f32 v[140:141], v[140:141], v[130:131], v[144:145] op_sel:[0,0,1] op_sel_hi:[1,0,0]
	v_dual_mul_f32 v144, v143, v133 :: v_dual_mov_b32 v140, v143
	v_dual_mov_b32 v147, v141 :: v_dual_mov_b32 v141, v142
	s_delay_alu instid0(VALU_DEP_2) | instskip(SKIP_1) | instid1(VALU_DEP_3)
	v_pk_fma_f32 v[144:145], v[142:143], v[116:117], v[144:145] op_sel_hi:[1,1,0] neg_lo:[0,0,1] neg_hi:[0,0,1]
	v_mul_f32_e32 v142, v143, v130
	v_pk_add_f32 v[82:83], v[82:83], v[146:147] neg_lo:[0,1] neg_hi:[0,1]
	s_delay_alu instid0(VALU_DEP_2) | instskip(NEXT) | instid1(VALU_DEP_1)
	v_pk_fma_f32 v[140:141], v[140:141], v[116:117], v[142:143] op_sel_hi:[1,1,0]
	v_mov_b32_e32 v145, v141
	ds_load_2addr_b64 v[140:143], v134 offset0:13 offset1:14
	v_pk_add_f32 v[114:115], v[114:115], v[144:145] neg_lo:[0,1] neg_hi:[0,1]
	s_wait_dscnt 0x0
	v_pk_mul_f32 v[144:145], v[140:141], v[132:133] op_sel:[0,1]
	s_delay_alu instid0(VALU_DEP_1) | instskip(SKIP_1) | instid1(VALU_DEP_1)
	v_pk_fma_f32 v[146:147], v[140:141], v[130:131], v[144:145] op_sel:[0,0,1] op_sel_hi:[1,1,0] neg_lo:[0,0,1] neg_hi:[0,0,1]
	v_pk_fma_f32 v[140:141], v[140:141], v[130:131], v[144:145] op_sel:[0,0,1] op_sel_hi:[1,0,0]
	v_mov_b32_e32 v147, v141
	v_pk_mul_f32 v[140:141], v[142:143], v[132:133] op_sel:[0,1]
	s_delay_alu instid0(VALU_DEP_1) | instskip(SKIP_1) | instid1(VALU_DEP_1)
	v_pk_fma_f32 v[144:145], v[142:143], v[130:131], v[140:141] op_sel:[0,0,1] op_sel_hi:[1,1,0] neg_lo:[0,0,1] neg_hi:[0,0,1]
	v_pk_fma_f32 v[140:141], v[142:143], v[130:131], v[140:141] op_sel:[0,0,1] op_sel_hi:[1,0,0]
	v_mov_b32_e32 v145, v141
	ds_load_2addr_b64 v[140:143], v134 offset0:15 offset1:16
	v_pk_add_f32 v[78:79], v[78:79], v[146:147] neg_lo:[0,1] neg_hi:[0,1]
	v_pk_add_f32 v[80:81], v[80:81], v[144:145] neg_lo:[0,1] neg_hi:[0,1]
	s_wait_dscnt 0x0
	v_pk_mul_f32 v[144:145], v[140:141], v[132:133] op_sel:[0,1]
	s_delay_alu instid0(VALU_DEP_1) | instskip(SKIP_1) | instid1(VALU_DEP_1)
	v_pk_fma_f32 v[146:147], v[140:141], v[130:131], v[144:145] op_sel:[0,0,1] op_sel_hi:[1,1,0] neg_lo:[0,0,1] neg_hi:[0,0,1]
	v_pk_fma_f32 v[140:141], v[140:141], v[130:131], v[144:145] op_sel:[0,0,1] op_sel_hi:[1,0,0]
	v_mov_b32_e32 v147, v141
	v_pk_mul_f32 v[140:141], v[142:143], v[132:133] op_sel:[0,1]
	s_delay_alu instid0(VALU_DEP_1) | instskip(SKIP_1) | instid1(VALU_DEP_1)
	v_pk_fma_f32 v[144:145], v[142:143], v[130:131], v[140:141] op_sel:[0,0,1] op_sel_hi:[1,1,0] neg_lo:[0,0,1] neg_hi:[0,0,1]
	v_pk_fma_f32 v[140:141], v[142:143], v[130:131], v[140:141] op_sel:[0,0,1] op_sel_hi:[1,0,0]
	v_mov_b32_e32 v145, v141
	ds_load_2addr_b64 v[140:143], v134 offset0:17 offset1:18
	v_pk_add_f32 v[76:77], v[76:77], v[146:147] neg_lo:[0,1] neg_hi:[0,1]
	v_pk_add_f32 v[112:113], v[112:113], v[144:145] neg_lo:[0,1] neg_hi:[0,1]
	s_wait_dscnt 0x0
	v_dual_mul_f32 v144, v141, v133 :: v_dual_mul_f32 v146, v141, v130
	s_delay_alu instid0(VALU_DEP_1) | instskip(NEXT) | instid1(VALU_DEP_2)
	v_pk_fma_f32 v[144:145], v[140:141], v[116:117], v[144:145] op_sel_hi:[1,1,0] neg_lo:[0,0,1] neg_hi:[0,0,1]
	v_pk_fma_f32 v[140:141], v[140:141], v[116:117], v[146:147] op_sel:[1,0,0] op_sel_hi:[0,1,0]
	s_delay_alu instid0(VALU_DEP_1) | instskip(SKIP_1) | instid1(VALU_DEP_2)
	v_mov_b32_e32 v145, v141
	v_pk_mul_f32 v[140:141], v[142:143], v[132:133] op_sel:[0,1]
	v_pk_add_f32 v[72:73], v[72:73], v[144:145] neg_lo:[0,1] neg_hi:[0,1]
	s_delay_alu instid0(VALU_DEP_2) | instskip(SKIP_1) | instid1(VALU_DEP_1)
	v_pk_fma_f32 v[144:145], v[142:143], v[130:131], v[140:141] op_sel:[0,0,1] op_sel_hi:[1,1,0] neg_lo:[0,0,1] neg_hi:[0,0,1]
	v_pk_fma_f32 v[140:141], v[142:143], v[130:131], v[140:141] op_sel:[0,0,1] op_sel_hi:[1,0,0]
	v_mov_b32_e32 v145, v141
	ds_load_2addr_b64 v[140:143], v134 offset0:19 offset1:20
	v_pk_add_f32 v[74:75], v[74:75], v[144:145] neg_lo:[0,1] neg_hi:[0,1]
	s_wait_dscnt 0x0
	v_pk_mul_f32 v[144:145], v[140:141], v[132:133] op_sel:[0,1]
	s_delay_alu instid0(VALU_DEP_1) | instskip(SKIP_1) | instid1(VALU_DEP_1)
	v_pk_fma_f32 v[146:147], v[140:141], v[130:131], v[144:145] op_sel:[0,0,1] op_sel_hi:[1,1,0] neg_lo:[0,0,1] neg_hi:[0,0,1]
	v_pk_fma_f32 v[140:141], v[140:141], v[130:131], v[144:145] op_sel:[0,0,1] op_sel_hi:[1,0,0]
	v_mov_b32_e32 v147, v141
	v_pk_mul_f32 v[140:141], v[142:143], v[132:133] op_sel:[0,1]
	s_delay_alu instid0(VALU_DEP_2) | instskip(NEXT) | instid1(VALU_DEP_2)
	v_pk_add_f32 v[70:71], v[70:71], v[146:147] neg_lo:[0,1] neg_hi:[0,1]
	v_pk_fma_f32 v[144:145], v[142:143], v[130:131], v[140:141] op_sel:[0,0,1] op_sel_hi:[1,1,0] neg_lo:[0,0,1] neg_hi:[0,0,1]
	v_pk_fma_f32 v[140:141], v[142:143], v[130:131], v[140:141] op_sel:[0,0,1] op_sel_hi:[1,0,0]
	s_delay_alu instid0(VALU_DEP_1) | instskip(SKIP_4) | instid1(VALU_DEP_1)
	v_mov_b32_e32 v145, v141
	ds_load_2addr_b64 v[140:143], v134 offset0:21 offset1:22
	v_pk_add_f32 v[110:111], v[110:111], v[144:145] neg_lo:[0,1] neg_hi:[0,1]
	s_wait_dscnt 0x0
	v_pk_mul_f32 v[144:145], v[140:141], v[132:133] op_sel:[0,1]
	v_pk_fma_f32 v[146:147], v[140:141], v[130:131], v[144:145] op_sel:[0,0,1] op_sel_hi:[1,1,0] neg_lo:[0,0,1] neg_hi:[0,0,1]
	v_pk_fma_f32 v[140:141], v[140:141], v[130:131], v[144:145] op_sel:[0,0,1] op_sel_hi:[1,0,0]
	v_dual_mul_f32 v144, v143, v133 :: v_dual_mov_b32 v140, v143
	s_delay_alu instid0(VALU_DEP_2) | instskip(NEXT) | instid1(VALU_DEP_2)
	v_dual_mov_b32 v147, v141 :: v_dual_mov_b32 v141, v142
	v_pk_fma_f32 v[144:145], v[142:143], v[116:117], v[144:145] op_sel_hi:[1,1,0] neg_lo:[0,0,1] neg_hi:[0,0,1]
	v_mul_f32_e32 v142, v143, v130
	s_delay_alu instid0(VALU_DEP_3) | instskip(NEXT) | instid1(VALU_DEP_2)
	v_pk_add_f32 v[66:67], v[66:67], v[146:147] neg_lo:[0,1] neg_hi:[0,1]
	v_pk_fma_f32 v[140:141], v[140:141], v[116:117], v[142:143] op_sel_hi:[1,1,0]
	s_delay_alu instid0(VALU_DEP_1) | instskip(SKIP_4) | instid1(VALU_DEP_1)
	v_mov_b32_e32 v145, v141
	ds_load_2addr_b64 v[140:143], v134 offset0:23 offset1:24
	v_pk_add_f32 v[68:69], v[68:69], v[144:145] neg_lo:[0,1] neg_hi:[0,1]
	s_wait_dscnt 0x0
	v_pk_mul_f32 v[144:145], v[140:141], v[132:133] op_sel:[0,1]
	v_pk_fma_f32 v[146:147], v[140:141], v[130:131], v[144:145] op_sel:[0,0,1] op_sel_hi:[1,1,0] neg_lo:[0,0,1] neg_hi:[0,0,1]
	v_pk_fma_f32 v[140:141], v[140:141], v[130:131], v[144:145] op_sel:[0,0,1] op_sel_hi:[1,0,0]
	s_delay_alu instid0(VALU_DEP_1) | instskip(SKIP_1) | instid1(VALU_DEP_1)
	v_mov_b32_e32 v147, v141
	v_pk_mul_f32 v[140:141], v[142:143], v[132:133] op_sel:[0,1]
	v_pk_fma_f32 v[144:145], v[142:143], v[130:131], v[140:141] op_sel:[0,0,1] op_sel_hi:[1,1,0] neg_lo:[0,0,1] neg_hi:[0,0,1]
	v_pk_fma_f32 v[140:141], v[142:143], v[130:131], v[140:141] op_sel:[0,0,1] op_sel_hi:[1,0,0]
	s_delay_alu instid0(VALU_DEP_1)
	v_mov_b32_e32 v145, v141
	ds_load_2addr_b64 v[140:143], v134 offset0:25 offset1:26
	v_pk_add_f32 v[64:65], v[64:65], v[146:147] neg_lo:[0,1] neg_hi:[0,1]
	v_pk_add_f32 v[108:109], v[108:109], v[144:145] neg_lo:[0,1] neg_hi:[0,1]
	s_wait_dscnt 0x0
	v_pk_mul_f32 v[144:145], v[140:141], v[132:133] op_sel:[0,1]
	s_delay_alu instid0(VALU_DEP_1) | instskip(SKIP_1) | instid1(VALU_DEP_1)
	v_pk_fma_f32 v[146:147], v[140:141], v[130:131], v[144:145] op_sel:[0,0,1] op_sel_hi:[1,1,0] neg_lo:[0,0,1] neg_hi:[0,0,1]
	v_pk_fma_f32 v[140:141], v[140:141], v[130:131], v[144:145] op_sel:[0,0,1] op_sel_hi:[1,0,0]
	v_mov_b32_e32 v147, v141
	v_pk_mul_f32 v[140:141], v[142:143], v[132:133] op_sel:[0,1]
	s_delay_alu instid0(VALU_DEP_1) | instskip(SKIP_1) | instid1(VALU_DEP_1)
	v_pk_fma_f32 v[144:145], v[142:143], v[130:131], v[140:141] op_sel:[0,0,1] op_sel_hi:[1,1,0] neg_lo:[0,0,1] neg_hi:[0,0,1]
	v_pk_fma_f32 v[140:141], v[142:143], v[130:131], v[140:141] op_sel:[0,0,1] op_sel_hi:[1,0,0]
	v_mov_b32_e32 v145, v141
	ds_load_2addr_b64 v[140:143], v134 offset0:27 offset1:28
	v_pk_add_f32 v[60:61], v[60:61], v[146:147] neg_lo:[0,1] neg_hi:[0,1]
	v_pk_add_f32 v[62:63], v[62:63], v[144:145] neg_lo:[0,1] neg_hi:[0,1]
	s_wait_dscnt 0x0
	v_dual_mul_f32 v144, v141, v133 :: v_dual_mul_f32 v146, v141, v130
	s_delay_alu instid0(VALU_DEP_1) | instskip(NEXT) | instid1(VALU_DEP_2)
	v_pk_fma_f32 v[144:145], v[140:141], v[116:117], v[144:145] op_sel_hi:[1,1,0] neg_lo:[0,0,1] neg_hi:[0,0,1]
	v_pk_fma_f32 v[140:141], v[140:141], v[116:117], v[146:147] op_sel:[1,0,0] op_sel_hi:[0,1,0]
	s_delay_alu instid0(VALU_DEP_1) | instskip(SKIP_1) | instid1(VALU_DEP_2)
	v_mov_b32_e32 v145, v141
	v_pk_mul_f32 v[140:141], v[142:143], v[132:133] op_sel:[0,1]
	v_pk_add_f32 v[58:59], v[58:59], v[144:145] neg_lo:[0,1] neg_hi:[0,1]
	s_delay_alu instid0(VALU_DEP_2) | instskip(SKIP_1) | instid1(VALU_DEP_1)
	v_pk_fma_f32 v[144:145], v[142:143], v[130:131], v[140:141] op_sel:[0,0,1] op_sel_hi:[1,1,0] neg_lo:[0,0,1] neg_hi:[0,0,1]
	v_pk_fma_f32 v[140:141], v[142:143], v[130:131], v[140:141] op_sel:[0,0,1] op_sel_hi:[1,0,0]
	v_mov_b32_e32 v145, v141
	ds_load_2addr_b64 v[140:143], v134 offset0:29 offset1:30
	v_pk_add_f32 v[106:107], v[106:107], v[144:145] neg_lo:[0,1] neg_hi:[0,1]
	s_wait_dscnt 0x0
	v_pk_mul_f32 v[144:145], v[140:141], v[132:133] op_sel:[0,1]
	s_delay_alu instid0(VALU_DEP_1) | instskip(SKIP_1) | instid1(VALU_DEP_1)
	v_pk_fma_f32 v[146:147], v[140:141], v[130:131], v[144:145] op_sel:[0,0,1] op_sel_hi:[1,1,0] neg_lo:[0,0,1] neg_hi:[0,0,1]
	v_pk_fma_f32 v[140:141], v[140:141], v[130:131], v[144:145] op_sel:[0,0,1] op_sel_hi:[1,0,0]
	v_mov_b32_e32 v147, v141
	v_pk_mul_f32 v[140:141], v[142:143], v[132:133] op_sel:[0,1]
	s_delay_alu instid0(VALU_DEP_2) | instskip(NEXT) | instid1(VALU_DEP_2)
	v_pk_add_f32 v[54:55], v[54:55], v[146:147] neg_lo:[0,1] neg_hi:[0,1]
	v_pk_fma_f32 v[144:145], v[142:143], v[130:131], v[140:141] op_sel:[0,0,1] op_sel_hi:[1,1,0] neg_lo:[0,0,1] neg_hi:[0,0,1]
	v_pk_fma_f32 v[140:141], v[142:143], v[130:131], v[140:141] op_sel:[0,0,1] op_sel_hi:[1,0,0]
	s_delay_alu instid0(VALU_DEP_1) | instskip(SKIP_4) | instid1(VALU_DEP_1)
	v_mov_b32_e32 v145, v141
	ds_load_2addr_b64 v[140:143], v134 offset0:31 offset1:32
	v_pk_add_f32 v[56:57], v[56:57], v[144:145] neg_lo:[0,1] neg_hi:[0,1]
	s_wait_dscnt 0x0
	v_pk_mul_f32 v[144:145], v[140:141], v[132:133] op_sel:[0,1]
	v_pk_fma_f32 v[146:147], v[140:141], v[130:131], v[144:145] op_sel:[0,0,1] op_sel_hi:[1,1,0] neg_lo:[0,0,1] neg_hi:[0,0,1]
	v_pk_fma_f32 v[140:141], v[140:141], v[130:131], v[144:145] op_sel:[0,0,1] op_sel_hi:[1,0,0]
	v_dual_mul_f32 v144, v143, v133 :: v_dual_mov_b32 v140, v143
	s_delay_alu instid0(VALU_DEP_2) | instskip(NEXT) | instid1(VALU_DEP_2)
	v_dual_mov_b32 v147, v141 :: v_dual_mov_b32 v141, v142
	v_pk_fma_f32 v[144:145], v[142:143], v[116:117], v[144:145] op_sel_hi:[1,1,0] neg_lo:[0,0,1] neg_hi:[0,0,1]
	v_mul_f32_e32 v142, v143, v130
	s_delay_alu instid0(VALU_DEP_3) | instskip(NEXT) | instid1(VALU_DEP_2)
	v_pk_add_f32 v[52:53], v[52:53], v[146:147] neg_lo:[0,1] neg_hi:[0,1]
	v_pk_fma_f32 v[140:141], v[140:141], v[116:117], v[142:143] op_sel_hi:[1,1,0]
	s_delay_alu instid0(VALU_DEP_1) | instskip(SKIP_4) | instid1(VALU_DEP_1)
	v_mov_b32_e32 v145, v141
	ds_load_2addr_b64 v[140:143], v134 offset0:33 offset1:34
	v_pk_add_f32 v[104:105], v[104:105], v[144:145] neg_lo:[0,1] neg_hi:[0,1]
	s_wait_dscnt 0x0
	v_pk_mul_f32 v[144:145], v[140:141], v[132:133] op_sel:[0,1]
	v_pk_fma_f32 v[146:147], v[140:141], v[130:131], v[144:145] op_sel:[0,0,1] op_sel_hi:[1,1,0] neg_lo:[0,0,1] neg_hi:[0,0,1]
	v_pk_fma_f32 v[140:141], v[140:141], v[130:131], v[144:145] op_sel:[0,0,1] op_sel_hi:[1,0,0]
	s_delay_alu instid0(VALU_DEP_1) | instskip(SKIP_1) | instid1(VALU_DEP_1)
	v_mov_b32_e32 v147, v141
	v_pk_mul_f32 v[140:141], v[142:143], v[132:133] op_sel:[0,1]
	v_pk_fma_f32 v[144:145], v[142:143], v[130:131], v[140:141] op_sel:[0,0,1] op_sel_hi:[1,1,0] neg_lo:[0,0,1] neg_hi:[0,0,1]
	v_pk_fma_f32 v[140:141], v[142:143], v[130:131], v[140:141] op_sel:[0,0,1] op_sel_hi:[1,0,0]
	s_delay_alu instid0(VALU_DEP_1)
	v_mov_b32_e32 v145, v141
	ds_load_2addr_b64 v[140:143], v134 offset0:35 offset1:36
	v_pk_add_f32 v[48:49], v[48:49], v[146:147] neg_lo:[0,1] neg_hi:[0,1]
	v_pk_add_f32 v[50:51], v[50:51], v[144:145] neg_lo:[0,1] neg_hi:[0,1]
	s_wait_dscnt 0x0
	v_pk_mul_f32 v[144:145], v[140:141], v[132:133] op_sel:[0,1]
	s_delay_alu instid0(VALU_DEP_1) | instskip(SKIP_1) | instid1(VALU_DEP_1)
	v_pk_fma_f32 v[146:147], v[140:141], v[130:131], v[144:145] op_sel:[0,0,1] op_sel_hi:[1,1,0] neg_lo:[0,0,1] neg_hi:[0,0,1]
	v_pk_fma_f32 v[140:141], v[140:141], v[130:131], v[144:145] op_sel:[0,0,1] op_sel_hi:[1,0,0]
	v_mov_b32_e32 v147, v141
	v_pk_mul_f32 v[140:141], v[142:143], v[132:133] op_sel:[0,1]
	s_delay_alu instid0(VALU_DEP_1) | instskip(SKIP_1) | instid1(VALU_DEP_1)
	v_pk_fma_f32 v[144:145], v[142:143], v[130:131], v[140:141] op_sel:[0,0,1] op_sel_hi:[1,1,0] neg_lo:[0,0,1] neg_hi:[0,0,1]
	v_pk_fma_f32 v[140:141], v[142:143], v[130:131], v[140:141] op_sel:[0,0,1] op_sel_hi:[1,0,0]
	v_mov_b32_e32 v145, v141
	ds_load_2addr_b64 v[140:143], v134 offset0:37 offset1:38
	v_pk_add_f32 v[46:47], v[46:47], v[146:147] neg_lo:[0,1] neg_hi:[0,1]
	v_pk_add_f32 v[102:103], v[102:103], v[144:145] neg_lo:[0,1] neg_hi:[0,1]
	s_wait_dscnt 0x0
	v_dual_mul_f32 v144, v141, v133 :: v_dual_mul_f32 v146, v141, v130
	s_delay_alu instid0(VALU_DEP_1) | instskip(NEXT) | instid1(VALU_DEP_2)
	v_pk_fma_f32 v[144:145], v[140:141], v[116:117], v[144:145] op_sel_hi:[1,1,0] neg_lo:[0,0,1] neg_hi:[0,0,1]
	v_pk_fma_f32 v[140:141], v[140:141], v[116:117], v[146:147] op_sel:[1,0,0] op_sel_hi:[0,1,0]
	s_delay_alu instid0(VALU_DEP_1) | instskip(SKIP_1) | instid1(VALU_DEP_2)
	v_mov_b32_e32 v145, v141
	v_pk_mul_f32 v[140:141], v[142:143], v[132:133] op_sel:[0,1]
	v_pk_add_f32 v[40:41], v[40:41], v[144:145] neg_lo:[0,1] neg_hi:[0,1]
	s_delay_alu instid0(VALU_DEP_2) | instskip(SKIP_1) | instid1(VALU_DEP_1)
	v_pk_fma_f32 v[144:145], v[142:143], v[130:131], v[140:141] op_sel:[0,0,1] op_sel_hi:[1,1,0] neg_lo:[0,0,1] neg_hi:[0,0,1]
	v_pk_fma_f32 v[140:141], v[142:143], v[130:131], v[140:141] op_sel:[0,0,1] op_sel_hi:[1,0,0]
	v_mov_b32_e32 v145, v141
	ds_load_2addr_b64 v[140:143], v134 offset0:39 offset1:40
	v_pk_add_f32 v[42:43], v[42:43], v[144:145] neg_lo:[0,1] neg_hi:[0,1]
	s_wait_dscnt 0x0
	v_pk_mul_f32 v[144:145], v[140:141], v[132:133] op_sel:[0,1]
	s_delay_alu instid0(VALU_DEP_1) | instskip(SKIP_1) | instid1(VALU_DEP_1)
	v_pk_fma_f32 v[146:147], v[140:141], v[130:131], v[144:145] op_sel:[0,0,1] op_sel_hi:[1,1,0] neg_lo:[0,0,1] neg_hi:[0,0,1]
	v_pk_fma_f32 v[140:141], v[140:141], v[130:131], v[144:145] op_sel:[0,0,1] op_sel_hi:[1,0,0]
	v_mov_b32_e32 v147, v141
	v_pk_mul_f32 v[140:141], v[142:143], v[132:133] op_sel:[0,1]
	s_delay_alu instid0(VALU_DEP_2) | instskip(NEXT) | instid1(VALU_DEP_2)
	v_pk_add_f32 v[38:39], v[38:39], v[146:147] neg_lo:[0,1] neg_hi:[0,1]
	v_pk_fma_f32 v[144:145], v[142:143], v[130:131], v[140:141] op_sel:[0,0,1] op_sel_hi:[1,1,0] neg_lo:[0,0,1] neg_hi:[0,0,1]
	v_pk_fma_f32 v[140:141], v[142:143], v[130:131], v[140:141] op_sel:[0,0,1] op_sel_hi:[1,0,0]
	s_delay_alu instid0(VALU_DEP_1) | instskip(SKIP_4) | instid1(VALU_DEP_1)
	v_mov_b32_e32 v145, v141
	ds_load_2addr_b64 v[140:143], v134 offset0:41 offset1:42
	v_pk_add_f32 v[100:101], v[100:101], v[144:145] neg_lo:[0,1] neg_hi:[0,1]
	s_wait_dscnt 0x0
	v_pk_mul_f32 v[144:145], v[140:141], v[132:133] op_sel:[0,1]
	v_pk_fma_f32 v[146:147], v[140:141], v[130:131], v[144:145] op_sel:[0,0,1] op_sel_hi:[1,1,0] neg_lo:[0,0,1] neg_hi:[0,0,1]
	v_pk_fma_f32 v[140:141], v[140:141], v[130:131], v[144:145] op_sel:[0,0,1] op_sel_hi:[1,0,0]
	v_dual_mul_f32 v144, v143, v133 :: v_dual_mov_b32 v140, v143
	s_delay_alu instid0(VALU_DEP_2) | instskip(NEXT) | instid1(VALU_DEP_2)
	v_dual_mov_b32 v147, v141 :: v_dual_mov_b32 v141, v142
	v_pk_fma_f32 v[144:145], v[142:143], v[116:117], v[144:145] op_sel_hi:[1,1,0] neg_lo:[0,0,1] neg_hi:[0,0,1]
	v_mul_f32_e32 v142, v143, v130
	s_delay_alu instid0(VALU_DEP_3) | instskip(NEXT) | instid1(VALU_DEP_2)
	v_pk_add_f32 v[32:33], v[32:33], v[146:147] neg_lo:[0,1] neg_hi:[0,1]
	v_pk_fma_f32 v[140:141], v[140:141], v[116:117], v[142:143] op_sel_hi:[1,1,0]
	s_delay_alu instid0(VALU_DEP_1) | instskip(SKIP_4) | instid1(VALU_DEP_1)
	v_mov_b32_e32 v145, v141
	ds_load_2addr_b64 v[140:143], v134 offset0:43 offset1:44
	v_pk_add_f32 v[34:35], v[34:35], v[144:145] neg_lo:[0,1] neg_hi:[0,1]
	s_wait_dscnt 0x0
	v_pk_mul_f32 v[144:145], v[140:141], v[132:133] op_sel:[0,1]
	v_pk_fma_f32 v[146:147], v[140:141], v[130:131], v[144:145] op_sel:[0,0,1] op_sel_hi:[1,1,0] neg_lo:[0,0,1] neg_hi:[0,0,1]
	v_pk_fma_f32 v[140:141], v[140:141], v[130:131], v[144:145] op_sel:[0,0,1] op_sel_hi:[1,0,0]
	s_delay_alu instid0(VALU_DEP_1) | instskip(SKIP_1) | instid1(VALU_DEP_1)
	v_mov_b32_e32 v147, v141
	v_pk_mul_f32 v[140:141], v[142:143], v[132:133] op_sel:[0,1]
	v_pk_fma_f32 v[144:145], v[142:143], v[130:131], v[140:141] op_sel:[0,0,1] op_sel_hi:[1,1,0] neg_lo:[0,0,1] neg_hi:[0,0,1]
	v_pk_fma_f32 v[140:141], v[142:143], v[130:131], v[140:141] op_sel:[0,0,1] op_sel_hi:[1,0,0]
	s_delay_alu instid0(VALU_DEP_1)
	v_mov_b32_e32 v145, v141
	ds_load_2addr_b64 v[140:143], v134 offset0:45 offset1:46
	v_pk_add_f32 v[30:31], v[30:31], v[146:147] neg_lo:[0,1] neg_hi:[0,1]
	v_pk_add_f32 v[98:99], v[98:99], v[144:145] neg_lo:[0,1] neg_hi:[0,1]
	s_wait_dscnt 0x0
	v_pk_mul_f32 v[144:145], v[140:141], v[132:133] op_sel:[0,1]
	s_delay_alu instid0(VALU_DEP_1) | instskip(SKIP_1) | instid1(VALU_DEP_1)
	v_pk_fma_f32 v[146:147], v[140:141], v[130:131], v[144:145] op_sel:[0,0,1] op_sel_hi:[1,1,0] neg_lo:[0,0,1] neg_hi:[0,0,1]
	v_pk_fma_f32 v[140:141], v[140:141], v[130:131], v[144:145] op_sel:[0,0,1] op_sel_hi:[1,0,0]
	v_mov_b32_e32 v147, v141
	v_pk_mul_f32 v[140:141], v[142:143], v[132:133] op_sel:[0,1]
	s_delay_alu instid0(VALU_DEP_1) | instskip(SKIP_1) | instid1(VALU_DEP_1)
	v_pk_fma_f32 v[144:145], v[142:143], v[130:131], v[140:141] op_sel:[0,0,1] op_sel_hi:[1,1,0] neg_lo:[0,0,1] neg_hi:[0,0,1]
	v_pk_fma_f32 v[140:141], v[142:143], v[130:131], v[140:141] op_sel:[0,0,1] op_sel_hi:[1,0,0]
	v_mov_b32_e32 v145, v141
	ds_load_2addr_b64 v[140:143], v134 offset0:47 offset1:48
	v_pk_add_f32 v[24:25], v[24:25], v[146:147] neg_lo:[0,1] neg_hi:[0,1]
	v_pk_add_f32 v[28:29], v[28:29], v[144:145] neg_lo:[0,1] neg_hi:[0,1]
	s_wait_dscnt 0x0
	v_dual_mul_f32 v144, v141, v133 :: v_dual_mul_f32 v146, v141, v130
	s_delay_alu instid0(VALU_DEP_1) | instskip(NEXT) | instid1(VALU_DEP_2)
	v_pk_fma_f32 v[144:145], v[140:141], v[116:117], v[144:145] op_sel_hi:[1,1,0] neg_lo:[0,0,1] neg_hi:[0,0,1]
	v_pk_fma_f32 v[140:141], v[140:141], v[116:117], v[146:147] op_sel:[1,0,0] op_sel_hi:[0,1,0]
	s_delay_alu instid0(VALU_DEP_1) | instskip(SKIP_1) | instid1(VALU_DEP_2)
	v_mov_b32_e32 v145, v141
	v_pk_mul_f32 v[140:141], v[142:143], v[132:133] op_sel:[0,1]
	v_pk_add_f32 v[22:23], v[22:23], v[144:145] neg_lo:[0,1] neg_hi:[0,1]
	s_delay_alu instid0(VALU_DEP_2) | instskip(SKIP_1) | instid1(VALU_DEP_1)
	v_pk_fma_f32 v[144:145], v[142:143], v[130:131], v[140:141] op_sel:[0,0,1] op_sel_hi:[1,1,0] neg_lo:[0,0,1] neg_hi:[0,0,1]
	v_pk_fma_f32 v[140:141], v[142:143], v[130:131], v[140:141] op_sel:[0,0,1] op_sel_hi:[1,0,0]
	v_mov_b32_e32 v145, v141
	ds_load_2addr_b64 v[140:143], v134 offset0:49 offset1:50
	v_pk_add_f32 v[96:97], v[96:97], v[144:145] neg_lo:[0,1] neg_hi:[0,1]
	s_wait_dscnt 0x0
	v_pk_mul_f32 v[144:145], v[140:141], v[132:133] op_sel:[0,1]
	s_delay_alu instid0(VALU_DEP_1) | instskip(SKIP_1) | instid1(VALU_DEP_1)
	v_pk_fma_f32 v[146:147], v[140:141], v[130:131], v[144:145] op_sel:[0,0,1] op_sel_hi:[1,1,0] neg_lo:[0,0,1] neg_hi:[0,0,1]
	v_pk_fma_f32 v[140:141], v[140:141], v[130:131], v[144:145] op_sel:[0,0,1] op_sel_hi:[1,0,0]
	v_mov_b32_e32 v147, v141
	v_pk_mul_f32 v[140:141], v[142:143], v[132:133] op_sel:[0,1]
	s_delay_alu instid0(VALU_DEP_2) | instskip(NEXT) | instid1(VALU_DEP_2)
	v_pk_add_f32 v[18:19], v[18:19], v[146:147] neg_lo:[0,1] neg_hi:[0,1]
	v_pk_fma_f32 v[144:145], v[142:143], v[130:131], v[140:141] op_sel:[0,0,1] op_sel_hi:[1,1,0] neg_lo:[0,0,1] neg_hi:[0,0,1]
	v_pk_fma_f32 v[140:141], v[142:143], v[130:131], v[140:141] op_sel:[0,0,1] op_sel_hi:[1,0,0]
	s_delay_alu instid0(VALU_DEP_1) | instskip(SKIP_4) | instid1(VALU_DEP_1)
	v_mov_b32_e32 v145, v141
	ds_load_2addr_b64 v[140:143], v134 offset0:51 offset1:52
	v_pk_add_f32 v[20:21], v[20:21], v[144:145] neg_lo:[0,1] neg_hi:[0,1]
	s_wait_dscnt 0x0
	v_pk_mul_f32 v[144:145], v[140:141], v[132:133] op_sel:[0,1]
	v_pk_fma_f32 v[146:147], v[140:141], v[130:131], v[144:145] op_sel:[0,0,1] op_sel_hi:[1,1,0] neg_lo:[0,0,1] neg_hi:[0,0,1]
	v_pk_fma_f32 v[140:141], v[140:141], v[130:131], v[144:145] op_sel:[0,0,1] op_sel_hi:[1,0,0]
	v_dual_mul_f32 v144, v143, v133 :: v_dual_mov_b32 v140, v143
	s_delay_alu instid0(VALU_DEP_2) | instskip(NEXT) | instid1(VALU_DEP_2)
	v_dual_mov_b32 v147, v141 :: v_dual_mov_b32 v141, v142
	v_pk_fma_f32 v[144:145], v[142:143], v[116:117], v[144:145] op_sel_hi:[1,1,0] neg_lo:[0,0,1] neg_hi:[0,0,1]
	v_mul_f32_e32 v142, v143, v130
	s_delay_alu instid0(VALU_DEP_3) | instskip(NEXT) | instid1(VALU_DEP_2)
	v_pk_add_f32 v[36:37], v[36:37], v[146:147] neg_lo:[0,1] neg_hi:[0,1]
	v_pk_fma_f32 v[140:141], v[140:141], v[116:117], v[142:143] op_sel_hi:[1,1,0]
	s_delay_alu instid0(VALU_DEP_1) | instskip(SKIP_4) | instid1(VALU_DEP_1)
	v_mov_b32_e32 v145, v141
	ds_load_2addr_b64 v[140:143], v134 offset0:53 offset1:54
	v_pk_add_f32 v[86:87], v[86:87], v[144:145] neg_lo:[0,1] neg_hi:[0,1]
	s_wait_dscnt 0x0
	v_pk_mul_f32 v[144:145], v[140:141], v[132:133] op_sel:[0,1]
	v_pk_fma_f32 v[146:147], v[140:141], v[130:131], v[144:145] op_sel:[0,0,1] op_sel_hi:[1,1,0] neg_lo:[0,0,1] neg_hi:[0,0,1]
	v_pk_fma_f32 v[140:141], v[140:141], v[130:131], v[144:145] op_sel:[0,0,1] op_sel_hi:[1,0,0]
	s_delay_alu instid0(VALU_DEP_1) | instskip(SKIP_1) | instid1(VALU_DEP_1)
	v_mov_b32_e32 v147, v141
	v_pk_mul_f32 v[140:141], v[142:143], v[132:133] op_sel:[0,1]
	v_pk_fma_f32 v[144:145], v[142:143], v[130:131], v[140:141] op_sel:[0,0,1] op_sel_hi:[1,1,0] neg_lo:[0,0,1] neg_hi:[0,0,1]
	v_pk_fma_f32 v[140:141], v[142:143], v[130:131], v[140:141] op_sel:[0,0,1] op_sel_hi:[1,0,0]
	s_delay_alu instid0(VALU_DEP_1)
	v_mov_b32_e32 v145, v141
	ds_load_2addr_b64 v[140:143], v134 offset0:55 offset1:56
	v_pk_add_f32 v[10:11], v[10:11], v[146:147] neg_lo:[0,1] neg_hi:[0,1]
	v_pk_add_f32 v[12:13], v[12:13], v[144:145] neg_lo:[0,1] neg_hi:[0,1]
	s_wait_dscnt 0x0
	v_pk_mul_f32 v[144:145], v[140:141], v[132:133] op_sel:[0,1]
	s_delay_alu instid0(VALU_DEP_1) | instskip(SKIP_1) | instid1(VALU_DEP_1)
	v_pk_fma_f32 v[146:147], v[140:141], v[130:131], v[144:145] op_sel:[0,0,1] op_sel_hi:[1,1,0] neg_lo:[0,0,1] neg_hi:[0,0,1]
	v_pk_fma_f32 v[140:141], v[140:141], v[130:131], v[144:145] op_sel:[0,0,1] op_sel_hi:[1,0,0]
	v_mov_b32_e32 v147, v141
	v_pk_mul_f32 v[140:141], v[142:143], v[132:133] op_sel:[0,1]
	s_delay_alu instid0(VALU_DEP_1) | instskip(SKIP_1) | instid1(VALU_DEP_1)
	v_pk_fma_f32 v[144:145], v[142:143], v[130:131], v[140:141] op_sel:[0,0,1] op_sel_hi:[1,1,0] neg_lo:[0,0,1] neg_hi:[0,0,1]
	v_pk_fma_f32 v[140:141], v[142:143], v[130:131], v[140:141] op_sel:[0,0,1] op_sel_hi:[1,0,0]
	v_mov_b32_e32 v145, v141
	ds_load_2addr_b64 v[140:143], v134 offset0:57 offset1:58
	v_pk_add_f32 v[8:9], v[8:9], v[146:147] neg_lo:[0,1] neg_hi:[0,1]
	v_pk_add_f32 v[44:45], v[44:45], v[144:145] neg_lo:[0,1] neg_hi:[0,1]
	s_wait_dscnt 0x0
	v_dual_mul_f32 v144, v141, v133 :: v_dual_mul_f32 v146, v141, v130
	s_delay_alu instid0(VALU_DEP_1) | instskip(NEXT) | instid1(VALU_DEP_2)
	v_pk_fma_f32 v[144:145], v[140:141], v[116:117], v[144:145] op_sel_hi:[1,1,0] neg_lo:[0,0,1] neg_hi:[0,0,1]
	v_pk_fma_f32 v[140:141], v[140:141], v[116:117], v[146:147] op_sel:[1,0,0] op_sel_hi:[0,1,0]
	s_delay_alu instid0(VALU_DEP_1) | instskip(SKIP_1) | instid1(VALU_DEP_2)
	v_mov_b32_e32 v145, v141
	v_pk_mul_f32 v[140:141], v[142:143], v[132:133] op_sel:[0,1]
	v_pk_add_f32 v[6:7], v[6:7], v[144:145] neg_lo:[0,1] neg_hi:[0,1]
	s_delay_alu instid0(VALU_DEP_2) | instskip(SKIP_1) | instid1(VALU_DEP_1)
	v_pk_fma_f32 v[144:145], v[142:143], v[130:131], v[140:141] op_sel:[0,0,1] op_sel_hi:[1,1,0] neg_lo:[0,0,1] neg_hi:[0,0,1]
	v_pk_fma_f32 v[140:141], v[142:143], v[130:131], v[140:141] op_sel:[0,0,1] op_sel_hi:[1,0,0]
	v_mov_b32_e32 v145, v141
	ds_load_2addr_b64 v[140:143], v134 offset0:59 offset1:60
	v_pk_add_f32 v[26:27], v[26:27], v[144:145] neg_lo:[0,1] neg_hi:[0,1]
	s_wait_dscnt 0x0
	v_pk_mul_f32 v[144:145], v[140:141], v[132:133] op_sel:[0,1]
	s_delay_alu instid0(VALU_DEP_1) | instskip(SKIP_1) | instid1(VALU_DEP_1)
	v_pk_fma_f32 v[146:147], v[140:141], v[130:131], v[144:145] op_sel:[0,0,1] op_sel_hi:[1,1,0] neg_lo:[0,0,1] neg_hi:[0,0,1]
	v_pk_fma_f32 v[140:141], v[140:141], v[130:131], v[144:145] op_sel:[0,0,1] op_sel_hi:[1,0,0]
	v_mov_b32_e32 v147, v141
	v_pk_mul_f32 v[140:141], v[142:143], v[132:133] op_sel:[0,1]
	s_delay_alu instid0(VALU_DEP_2) | instskip(NEXT) | instid1(VALU_DEP_2)
	v_pk_add_f32 v[16:17], v[16:17], v[146:147] neg_lo:[0,1] neg_hi:[0,1]
	v_pk_fma_f32 v[144:145], v[142:143], v[130:131], v[140:141] op_sel:[0,0,1] op_sel_hi:[1,1,0] neg_lo:[0,0,1] neg_hi:[0,0,1]
	v_pk_fma_f32 v[140:141], v[142:143], v[130:131], v[140:141] op_sel:[0,0,1] op_sel_hi:[1,0,0]
	s_delay_alu instid0(VALU_DEP_1) | instskip(SKIP_4) | instid1(VALU_DEP_1)
	v_mov_b32_e32 v145, v141
	ds_load_b64 v[140:141], v134 offset:488
	v_pk_add_f32 v[14:15], v[14:15], v[144:145] neg_lo:[0,1] neg_hi:[0,1]
	s_wait_dscnt 0x0
	v_pk_mul_f32 v[132:133], v[140:141], v[132:133] op_sel:[0,1]
	v_pk_fma_f32 v[142:143], v[140:141], v[130:131], v[132:133] op_sel:[0,0,1] op_sel_hi:[1,1,0] neg_lo:[0,0,1] neg_hi:[0,0,1]
	v_pk_fma_f32 v[130:131], v[140:141], v[130:131], v[132:133] op_sel:[0,0,1] op_sel_hi:[1,0,0]
	s_delay_alu instid0(VALU_DEP_1) | instskip(NEXT) | instid1(VALU_DEP_1)
	v_mov_b32_e32 v143, v131
	v_pk_add_f32 v[128:129], v[128:129], v[142:143] neg_lo:[0,1] neg_hi:[0,1]
.LBB122_188:
	s_or_b32 exec_lo, exec_lo, s0
	v_lshl_add_u32 v130, v138, 3, v134
	s_barrier_signal -1
	s_barrier_wait -1
	ds_store_b64 v130, v[84:85]
	s_wait_dscnt 0x0
	s_barrier_signal -1
	s_barrier_wait -1
	ds_load_b64 v[132:133], v134 offset:72
	v_mov_b32_e32 v130, 9
	s_cmp_lt_i32 s18, 11
	s_cbranch_scc1 .LBB122_191
; %bb.189:
	v_add3_u32 v131, v135, 0, 0x50
	v_mov_b32_e32 v130, 9
	s_mov_b32 s0, 10
.LBB122_190:                            ; =>This Inner Loop Header: Depth=1
	ds_load_b64 v[140:141], v131
	s_wait_dscnt 0x1
	v_cmp_gt_f32_e32 vcc_lo, 0, v132
	v_cndmask_b32_e64 v142, v132, -v132, vcc_lo
	v_cmp_gt_f32_e32 vcc_lo, 0, v133
	v_cndmask_b32_e64 v144, v133, -v133, vcc_lo
	s_wait_dscnt 0x0
	v_cmp_gt_f32_e32 vcc_lo, 0, v140
	v_cndmask_b32_e64 v143, v140, -v140, vcc_lo
	v_cmp_gt_f32_e32 vcc_lo, 0, v141
	v_cndmask_b32_e64 v145, v141, -v141, vcc_lo
	s_delay_alu instid0(VALU_DEP_1) | instskip(NEXT) | instid1(VALU_DEP_1)
	v_pk_add_f32 v[142:143], v[142:143], v[144:145]
	v_cmp_lt_f32_e32 vcc_lo, v142, v143
	v_dual_add_nc_u32 v131, 8, v131 :: v_dual_cndmask_b32 v133, v133, v141, vcc_lo
	v_cndmask_b32_e32 v132, v132, v140, vcc_lo
	v_cndmask_b32_e64 v130, v130, s0, vcc_lo
	s_add_co_i32 s0, s0, 1
	s_delay_alu instid0(SALU_CYCLE_1)
	s_cmp_lg_u32 s18, s0
	s_cbranch_scc1 .LBB122_190
.LBB122_191:
	s_wait_dscnt 0x0
	v_cmp_eq_f32_e32 vcc_lo, 0, v132
	v_cmp_eq_f32_e64 s0, 0, v133
	s_and_b32 s0, vcc_lo, s0
	s_delay_alu instid0(SALU_CYCLE_1) | instskip(NEXT) | instid1(SALU_CYCLE_1)
	s_and_saveexec_b32 s1, s0
	s_xor_b32 s0, exec_lo, s1
; %bb.192:
	v_cmp_ne_u32_e32 vcc_lo, 0, v136
	v_cndmask_b32_e32 v136, 10, v136, vcc_lo
; %bb.193:
	s_and_not1_saveexec_b32 s0, s0
	s_cbranch_execz .LBB122_199
; %bb.194:
	v_cmp_ngt_f32_e64 s1, |v132|, |v133|
	s_and_saveexec_b32 s12, s1
	s_delay_alu instid0(SALU_CYCLE_1)
	s_xor_b32 s1, exec_lo, s12
	s_cbranch_execz .LBB122_196
; %bb.195:
	v_div_scale_f32 v131, null, v133, v133, v132
	v_div_scale_f32 v141, vcc_lo, v132, v133, v132
	s_delay_alu instid0(VALU_DEP_2) | instskip(SKIP_1) | instid1(TRANS32_DEP_1)
	v_rcp_f32_e32 v139, v131
	v_nop
	v_fma_f32 v140, -v131, v139, 1.0
	s_delay_alu instid0(VALU_DEP_1) | instskip(NEXT) | instid1(VALU_DEP_1)
	v_fmac_f32_e32 v139, v140, v139
	v_mul_f32_e32 v140, v141, v139
	s_delay_alu instid0(VALU_DEP_1) | instskip(NEXT) | instid1(VALU_DEP_1)
	v_fma_f32 v142, -v131, v140, v141
	v_fmac_f32_e32 v140, v142, v139
	s_delay_alu instid0(VALU_DEP_1) | instskip(NEXT) | instid1(VALU_DEP_1)
	v_fma_f32 v131, -v131, v140, v141
	v_div_fmas_f32 v131, v131, v139, v140
	s_delay_alu instid0(VALU_DEP_1) | instskip(NEXT) | instid1(VALU_DEP_1)
	v_div_fixup_f32 v131, v131, v133, v132
	v_fmac_f32_e32 v133, v132, v131
	s_delay_alu instid0(VALU_DEP_1) | instskip(SKIP_1) | instid1(VALU_DEP_2)
	v_div_scale_f32 v132, null, v133, v133, 1.0
	v_div_scale_f32 v141, vcc_lo, 1.0, v133, 1.0
	v_rcp_f32_e32 v139, v132
	v_nop
	s_delay_alu instid0(TRANS32_DEP_1) | instskip(NEXT) | instid1(VALU_DEP_1)
	v_fma_f32 v140, -v132, v139, 1.0
	v_fmac_f32_e32 v139, v140, v139
	s_delay_alu instid0(VALU_DEP_1) | instskip(NEXT) | instid1(VALU_DEP_1)
	v_mul_f32_e32 v140, v141, v139
	v_fma_f32 v142, -v132, v140, v141
	s_delay_alu instid0(VALU_DEP_1) | instskip(NEXT) | instid1(VALU_DEP_1)
	v_fmac_f32_e32 v140, v142, v139
	v_fma_f32 v132, -v132, v140, v141
	s_delay_alu instid0(VALU_DEP_1) | instskip(NEXT) | instid1(VALU_DEP_1)
	v_div_fmas_f32 v132, v132, v139, v140
	v_div_fixup_f32 v133, v132, v133, 1.0
	s_delay_alu instid0(VALU_DEP_1)
	v_mul_f32_e32 v132, v131, v133
	v_xor_b32_e32 v133, 0x80000000, v133
.LBB122_196:
	s_and_not1_saveexec_b32 s1, s1
	s_cbranch_execz .LBB122_198
; %bb.197:
	s_delay_alu instid0(VALU_DEP_1) | instskip(SKIP_1) | instid1(VALU_DEP_2)
	v_div_scale_f32 v131, null, v132, v132, v133
	v_div_scale_f32 v141, vcc_lo, v133, v132, v133
	v_rcp_f32_e32 v139, v131
	v_nop
	s_delay_alu instid0(TRANS32_DEP_1) | instskip(NEXT) | instid1(VALU_DEP_1)
	v_fma_f32 v140, -v131, v139, 1.0
	v_fmac_f32_e32 v139, v140, v139
	s_delay_alu instid0(VALU_DEP_1) | instskip(NEXT) | instid1(VALU_DEP_1)
	v_mul_f32_e32 v140, v141, v139
	v_fma_f32 v142, -v131, v140, v141
	s_delay_alu instid0(VALU_DEP_1) | instskip(NEXT) | instid1(VALU_DEP_1)
	v_fmac_f32_e32 v140, v142, v139
	v_fma_f32 v131, -v131, v140, v141
	s_delay_alu instid0(VALU_DEP_1) | instskip(NEXT) | instid1(VALU_DEP_1)
	v_div_fmas_f32 v131, v131, v139, v140
	v_div_fixup_f32 v131, v131, v132, v133
	s_delay_alu instid0(VALU_DEP_1) | instskip(NEXT) | instid1(VALU_DEP_1)
	v_fmac_f32_e32 v132, v133, v131
	v_div_scale_f32 v133, null, v132, v132, 1.0
	s_delay_alu instid0(VALU_DEP_1) | instskip(SKIP_1) | instid1(TRANS32_DEP_1)
	v_rcp_f32_e32 v139, v133
	v_nop
	v_fma_f32 v140, -v133, v139, 1.0
	s_delay_alu instid0(VALU_DEP_1) | instskip(SKIP_1) | instid1(VALU_DEP_1)
	v_fmac_f32_e32 v139, v140, v139
	v_div_scale_f32 v140, vcc_lo, 1.0, v132, 1.0
	v_mul_f32_e32 v141, v140, v139
	s_delay_alu instid0(VALU_DEP_1) | instskip(NEXT) | instid1(VALU_DEP_1)
	v_fma_f32 v142, -v133, v141, v140
	v_fmac_f32_e32 v141, v142, v139
	s_delay_alu instid0(VALU_DEP_1) | instskip(NEXT) | instid1(VALU_DEP_1)
	v_fma_f32 v133, -v133, v141, v140
	v_div_fmas_f32 v133, v133, v139, v141
	s_delay_alu instid0(VALU_DEP_1) | instskip(NEXT) | instid1(VALU_DEP_1)
	v_div_fixup_f32 v132, v133, v132, 1.0
	v_mul_f32_e64 v133, v131, -v132
.LBB122_198:
	s_or_b32 exec_lo, exec_lo, s1
.LBB122_199:
	s_delay_alu instid0(SALU_CYCLE_1) | instskip(NEXT) | instid1(SALU_CYCLE_1)
	s_or_b32 exec_lo, exec_lo, s0
	s_mov_b32 s0, exec_lo
	v_cmpx_ne_u32_e64 v138, v130
	s_xor_b32 s0, exec_lo, s0
	s_cbranch_execz .LBB122_205
; %bb.200:
	s_mov_b32 s1, exec_lo
	v_cmpx_eq_u32_e32 9, v138
	s_cbranch_execz .LBB122_204
; %bb.201:
	v_cmp_ne_u32_e32 vcc_lo, 9, v130
	s_xor_b32 s12, s16, -1
	s_delay_alu instid0(SALU_CYCLE_1) | instskip(NEXT) | instid1(SALU_CYCLE_1)
	s_and_b32 s13, s12, vcc_lo
	s_and_saveexec_b32 s12, s13
	s_cbranch_execz .LBB122_203
; %bb.202:
	v_ashrrev_i32_e32 v131, 31, v130
	s_delay_alu instid0(VALU_DEP_1)
	v_lshl_add_u64 v[138:139], v[130:131], 2, v[4:5]
	s_clause 0x1
	global_load_b32 v131, v[138:139], off
	global_load_b32 v137, v[4:5], off offset:36
	s_wait_loadcnt 0x1
	global_store_b32 v[4:5], v131, off offset:36
	s_wait_loadcnt 0x0
	global_store_b32 v[138:139], v137, off
.LBB122_203:
	s_wait_xcnt 0x0
	s_or_b32 exec_lo, exec_lo, s12
	v_dual_mov_b32 v138, v130 :: v_dual_mov_b32 v137, v130
.LBB122_204:
	s_or_b32 exec_lo, exec_lo, s1
.LBB122_205:
	s_and_not1_saveexec_b32 s0, s0
	s_cbranch_execz .LBB122_207
; %bb.206:
	v_dual_mov_b32 v130, v88 :: v_dual_mov_b32 v131, v89
	v_dual_mov_b32 v138, v82 :: v_dual_mov_b32 v139, v83
	;; [unrolled: 1-line block ×8, first 2 shown]
	ds_store_2addr_b64 v134, v[130:131], v[138:139] offset0:10 offset1:11
	ds_store_2addr_b64 v134, v[140:141], v[142:143] offset0:12 offset1:13
	ds_store_2addr_b64 v134, v[144:145], v[146:147] offset0:14 offset1:15
	ds_store_2addr_b64 v134, v[148:149], v[150:151] offset0:16 offset1:17
	v_dual_mov_b32 v130, v74 :: v_dual_mov_b32 v131, v75
	v_dual_mov_b32 v138, v70 :: v_dual_mov_b32 v139, v71
	v_dual_mov_b32 v140, v110 :: v_dual_mov_b32 v141, v111
	v_dual_mov_b32 v142, v66 :: v_dual_mov_b32 v143, v67
	v_dual_mov_b32 v144, v68 :: v_dual_mov_b32 v145, v69
	v_dual_mov_b32 v146, v64 :: v_dual_mov_b32 v147, v65
	v_dual_mov_b32 v148, v108 :: v_dual_mov_b32 v149, v109
	v_dual_mov_b32 v150, v60 :: v_dual_mov_b32 v151, v61
	v_dual_mov_b32 v152, v62 :: v_dual_mov_b32 v153, v63
	v_dual_mov_b32 v154, v58 :: v_dual_mov_b32 v155, v59
	v_dual_mov_b32 v156, v106 :: v_dual_mov_b32 v157, v107
	v_dual_mov_b32 v158, v54 :: v_dual_mov_b32 v159, v55
	ds_store_2addr_b64 v134, v[130:131], v[138:139] offset0:18 offset1:19
	ds_store_2addr_b64 v134, v[140:141], v[142:143] offset0:20 offset1:21
	ds_store_2addr_b64 v134, v[144:145], v[146:147] offset0:22 offset1:23
	ds_store_2addr_b64 v134, v[148:149], v[150:151] offset0:24 offset1:25
	ds_store_2addr_b64 v134, v[152:153], v[154:155] offset0:26 offset1:27
	ds_store_2addr_b64 v134, v[156:157], v[158:159] offset0:28 offset1:29
	v_dual_mov_b32 v130, v56 :: v_dual_mov_b32 v131, v57
	v_dual_mov_b32 v138, v52 :: v_dual_mov_b32 v139, v53
	v_dual_mov_b32 v140, v104 :: v_dual_mov_b32 v141, v105
	v_dual_mov_b32 v142, v48 :: v_dual_mov_b32 v143, v49
	v_dual_mov_b32 v144, v50 :: v_dual_mov_b32 v145, v51
	v_dual_mov_b32 v146, v46 :: v_dual_mov_b32 v147, v47
	v_dual_mov_b32 v148, v102 :: v_dual_mov_b32 v149, v103
	v_dual_mov_b32 v150, v40 :: v_dual_mov_b32 v151, v41
	v_dual_mov_b32 v152, v42 :: v_dual_mov_b32 v153, v43
	v_dual_mov_b32 v154, v38 :: v_dual_mov_b32 v155, v39
	v_dual_mov_b32 v156, v100 :: v_dual_mov_b32 v157, v101
	v_dual_mov_b32 v158, v32 :: v_dual_mov_b32 v159, v33
	ds_store_2addr_b64 v134, v[130:131], v[138:139] offset0:30 offset1:31
	ds_store_2addr_b64 v134, v[140:141], v[142:143] offset0:32 offset1:33
	;; [unrolled: 18-line block ×3, first 2 shown]
	ds_store_2addr_b64 v134, v[144:145], v[146:147] offset0:46 offset1:47
	ds_store_2addr_b64 v134, v[148:149], v[150:151] offset0:48 offset1:49
	;; [unrolled: 1-line block ×4, first 2 shown]
	v_dual_mov_b32 v130, v12 :: v_dual_mov_b32 v131, v13
	v_dual_mov_b32 v140, v8 :: v_dual_mov_b32 v141, v9
	;; [unrolled: 1-line block ×7, first 2 shown]
	v_mov_b32_e32 v151, v15
	ds_store_2addr_b64 v134, v[130:131], v[140:141] offset0:54 offset1:55
	ds_store_2addr_b64 v134, v[142:143], v[144:145] offset0:56 offset1:57
	;; [unrolled: 1-line block ×4, first 2 shown]
.LBB122_207:
	s_or_b32 exec_lo, exec_lo, s0
	s_delay_alu instid0(SALU_CYCLE_1)
	s_mov_b32 s0, exec_lo
	s_wait_storecnt_dscnt 0x0
	s_barrier_signal -1
	s_barrier_wait -1
	v_cmpx_lt_i32_e32 9, v138
	s_cbranch_execz .LBB122_209
; %bb.208:
	v_pk_mul_f32 v[140:141], v[132:133], v[84:85] op_sel:[1,1] op_sel_hi:[0,1]
	s_delay_alu instid0(VALU_DEP_1)
	v_pk_fma_f32 v[130:131], v[132:133], v[84:85], v[140:141] op_sel_hi:[1,0,1] neg_lo:[0,0,1] neg_hi:[0,0,1]
	v_pk_fma_f32 v[132:133], v[132:133], v[84:85], v[140:141] op_sel_hi:[1,0,1]
	ds_load_2addr_b64 v[140:143], v134 offset0:10 offset1:11
	v_dual_mov_b32 v84, v130 :: v_dual_mov_b32 v85, v133
	s_wait_dscnt 0x0
	v_pk_mul_f32 v[144:145], v[140:141], v[132:133] op_sel:[0,1]
	s_delay_alu instid0(VALU_DEP_1) | instskip(SKIP_1) | instid1(VALU_DEP_1)
	v_pk_fma_f32 v[146:147], v[140:141], v[130:131], v[144:145] op_sel:[0,0,1] op_sel_hi:[1,1,0] neg_lo:[0,0,1] neg_hi:[0,0,1]
	v_pk_fma_f32 v[140:141], v[140:141], v[130:131], v[144:145] op_sel:[0,0,1] op_sel_hi:[1,0,0]
	v_mov_b32_e32 v147, v141
	v_pk_mul_f32 v[140:141], v[142:143], v[132:133] op_sel:[0,1]
	s_delay_alu instid0(VALU_DEP_1) | instskip(SKIP_1) | instid1(VALU_DEP_1)
	v_pk_fma_f32 v[144:145], v[142:143], v[130:131], v[140:141] op_sel:[0,0,1] op_sel_hi:[1,1,0] neg_lo:[0,0,1] neg_hi:[0,0,1]
	v_pk_fma_f32 v[140:141], v[142:143], v[130:131], v[140:141] op_sel:[0,0,1] op_sel_hi:[1,0,0]
	v_mov_b32_e32 v145, v141
	ds_load_2addr_b64 v[140:143], v134 offset0:12 offset1:13
	v_pk_add_f32 v[88:89], v[88:89], v[146:147] neg_lo:[0,1] neg_hi:[0,1]
	v_pk_add_f32 v[82:83], v[82:83], v[144:145] neg_lo:[0,1] neg_hi:[0,1]
	s_wait_dscnt 0x0
	v_pk_mul_f32 v[144:145], v[140:141], v[132:133] op_sel:[0,1]
	s_delay_alu instid0(VALU_DEP_1) | instskip(SKIP_2) | instid1(VALU_DEP_2)
	v_pk_fma_f32 v[146:147], v[140:141], v[130:131], v[144:145] op_sel:[0,0,1] op_sel_hi:[1,1,0] neg_lo:[0,0,1] neg_hi:[0,0,1]
	v_pk_fma_f32 v[140:141], v[140:141], v[130:131], v[144:145] op_sel:[0,0,1] op_sel_hi:[1,0,0]
	v_dual_mul_f32 v144, v143, v133 :: v_dual_mov_b32 v140, v143
	v_dual_mov_b32 v147, v141 :: v_dual_mov_b32 v141, v142
	s_delay_alu instid0(VALU_DEP_2) | instskip(SKIP_1) | instid1(VALU_DEP_3)
	v_pk_fma_f32 v[144:145], v[142:143], v[84:85], v[144:145] op_sel_hi:[1,1,0] neg_lo:[0,0,1] neg_hi:[0,0,1]
	v_mul_f32_e32 v142, v143, v130
	v_pk_add_f32 v[114:115], v[114:115], v[146:147] neg_lo:[0,1] neg_hi:[0,1]
	s_delay_alu instid0(VALU_DEP_2) | instskip(NEXT) | instid1(VALU_DEP_1)
	v_pk_fma_f32 v[140:141], v[140:141], v[84:85], v[142:143] op_sel_hi:[1,1,0]
	v_mov_b32_e32 v145, v141
	ds_load_2addr_b64 v[140:143], v134 offset0:14 offset1:15
	v_pk_add_f32 v[78:79], v[78:79], v[144:145] neg_lo:[0,1] neg_hi:[0,1]
	s_wait_dscnt 0x0
	v_pk_mul_f32 v[144:145], v[140:141], v[132:133] op_sel:[0,1]
	s_delay_alu instid0(VALU_DEP_1) | instskip(SKIP_1) | instid1(VALU_DEP_1)
	v_pk_fma_f32 v[146:147], v[140:141], v[130:131], v[144:145] op_sel:[0,0,1] op_sel_hi:[1,1,0] neg_lo:[0,0,1] neg_hi:[0,0,1]
	v_pk_fma_f32 v[140:141], v[140:141], v[130:131], v[144:145] op_sel:[0,0,1] op_sel_hi:[1,0,0]
	v_mov_b32_e32 v147, v141
	v_pk_mul_f32 v[140:141], v[142:143], v[132:133] op_sel:[0,1]
	s_delay_alu instid0(VALU_DEP_1) | instskip(SKIP_1) | instid1(VALU_DEP_1)
	v_pk_fma_f32 v[144:145], v[142:143], v[130:131], v[140:141] op_sel:[0,0,1] op_sel_hi:[1,1,0] neg_lo:[0,0,1] neg_hi:[0,0,1]
	v_pk_fma_f32 v[140:141], v[142:143], v[130:131], v[140:141] op_sel:[0,0,1] op_sel_hi:[1,0,0]
	v_mov_b32_e32 v145, v141
	ds_load_2addr_b64 v[140:143], v134 offset0:16 offset1:17
	v_pk_add_f32 v[80:81], v[80:81], v[146:147] neg_lo:[0,1] neg_hi:[0,1]
	v_pk_add_f32 v[76:77], v[76:77], v[144:145] neg_lo:[0,1] neg_hi:[0,1]
	s_wait_dscnt 0x0
	v_pk_mul_f32 v[144:145], v[140:141], v[132:133] op_sel:[0,1]
	s_delay_alu instid0(VALU_DEP_1) | instskip(SKIP_1) | instid1(VALU_DEP_1)
	v_pk_fma_f32 v[146:147], v[140:141], v[130:131], v[144:145] op_sel:[0,0,1] op_sel_hi:[1,1,0] neg_lo:[0,0,1] neg_hi:[0,0,1]
	v_pk_fma_f32 v[140:141], v[140:141], v[130:131], v[144:145] op_sel:[0,0,1] op_sel_hi:[1,0,0]
	v_mov_b32_e32 v147, v141
	v_pk_mul_f32 v[140:141], v[142:143], v[132:133] op_sel:[0,1]
	s_delay_alu instid0(VALU_DEP_1) | instskip(SKIP_1) | instid1(VALU_DEP_1)
	v_pk_fma_f32 v[144:145], v[142:143], v[130:131], v[140:141] op_sel:[0,0,1] op_sel_hi:[1,1,0] neg_lo:[0,0,1] neg_hi:[0,0,1]
	v_pk_fma_f32 v[140:141], v[142:143], v[130:131], v[140:141] op_sel:[0,0,1] op_sel_hi:[1,0,0]
	v_mov_b32_e32 v145, v141
	ds_load_2addr_b64 v[140:143], v134 offset0:18 offset1:19
	v_pk_add_f32 v[112:113], v[112:113], v[146:147] neg_lo:[0,1] neg_hi:[0,1]
	v_pk_add_f32 v[72:73], v[72:73], v[144:145] neg_lo:[0,1] neg_hi:[0,1]
	s_wait_dscnt 0x0
	v_dual_mul_f32 v144, v141, v133 :: v_dual_mul_f32 v146, v141, v130
	s_delay_alu instid0(VALU_DEP_1) | instskip(NEXT) | instid1(VALU_DEP_2)
	v_pk_fma_f32 v[144:145], v[140:141], v[84:85], v[144:145] op_sel_hi:[1,1,0] neg_lo:[0,0,1] neg_hi:[0,0,1]
	v_pk_fma_f32 v[140:141], v[140:141], v[84:85], v[146:147] op_sel:[1,0,0] op_sel_hi:[0,1,0]
	s_delay_alu instid0(VALU_DEP_1) | instskip(SKIP_1) | instid1(VALU_DEP_2)
	v_mov_b32_e32 v145, v141
	v_pk_mul_f32 v[140:141], v[142:143], v[132:133] op_sel:[0,1]
	v_pk_add_f32 v[74:75], v[74:75], v[144:145] neg_lo:[0,1] neg_hi:[0,1]
	s_delay_alu instid0(VALU_DEP_2) | instskip(SKIP_1) | instid1(VALU_DEP_1)
	v_pk_fma_f32 v[144:145], v[142:143], v[130:131], v[140:141] op_sel:[0,0,1] op_sel_hi:[1,1,0] neg_lo:[0,0,1] neg_hi:[0,0,1]
	v_pk_fma_f32 v[140:141], v[142:143], v[130:131], v[140:141] op_sel:[0,0,1] op_sel_hi:[1,0,0]
	v_mov_b32_e32 v145, v141
	ds_load_2addr_b64 v[140:143], v134 offset0:20 offset1:21
	v_pk_add_f32 v[70:71], v[70:71], v[144:145] neg_lo:[0,1] neg_hi:[0,1]
	s_wait_dscnt 0x0
	v_pk_mul_f32 v[144:145], v[140:141], v[132:133] op_sel:[0,1]
	s_delay_alu instid0(VALU_DEP_1) | instskip(SKIP_1) | instid1(VALU_DEP_1)
	v_pk_fma_f32 v[146:147], v[140:141], v[130:131], v[144:145] op_sel:[0,0,1] op_sel_hi:[1,1,0] neg_lo:[0,0,1] neg_hi:[0,0,1]
	v_pk_fma_f32 v[140:141], v[140:141], v[130:131], v[144:145] op_sel:[0,0,1] op_sel_hi:[1,0,0]
	v_mov_b32_e32 v147, v141
	v_pk_mul_f32 v[140:141], v[142:143], v[132:133] op_sel:[0,1]
	s_delay_alu instid0(VALU_DEP_2) | instskip(NEXT) | instid1(VALU_DEP_2)
	v_pk_add_f32 v[110:111], v[110:111], v[146:147] neg_lo:[0,1] neg_hi:[0,1]
	v_pk_fma_f32 v[144:145], v[142:143], v[130:131], v[140:141] op_sel:[0,0,1] op_sel_hi:[1,1,0] neg_lo:[0,0,1] neg_hi:[0,0,1]
	v_pk_fma_f32 v[140:141], v[142:143], v[130:131], v[140:141] op_sel:[0,0,1] op_sel_hi:[1,0,0]
	s_delay_alu instid0(VALU_DEP_1) | instskip(SKIP_4) | instid1(VALU_DEP_1)
	v_mov_b32_e32 v145, v141
	ds_load_2addr_b64 v[140:143], v134 offset0:22 offset1:23
	v_pk_add_f32 v[66:67], v[66:67], v[144:145] neg_lo:[0,1] neg_hi:[0,1]
	s_wait_dscnt 0x0
	v_pk_mul_f32 v[144:145], v[140:141], v[132:133] op_sel:[0,1]
	v_pk_fma_f32 v[146:147], v[140:141], v[130:131], v[144:145] op_sel:[0,0,1] op_sel_hi:[1,1,0] neg_lo:[0,0,1] neg_hi:[0,0,1]
	v_pk_fma_f32 v[140:141], v[140:141], v[130:131], v[144:145] op_sel:[0,0,1] op_sel_hi:[1,0,0]
	v_dual_mul_f32 v144, v143, v133 :: v_dual_mov_b32 v140, v143
	s_delay_alu instid0(VALU_DEP_2) | instskip(NEXT) | instid1(VALU_DEP_2)
	v_dual_mov_b32 v147, v141 :: v_dual_mov_b32 v141, v142
	v_pk_fma_f32 v[144:145], v[142:143], v[84:85], v[144:145] op_sel_hi:[1,1,0] neg_lo:[0,0,1] neg_hi:[0,0,1]
	v_mul_f32_e32 v142, v143, v130
	s_delay_alu instid0(VALU_DEP_3) | instskip(NEXT) | instid1(VALU_DEP_2)
	v_pk_add_f32 v[68:69], v[68:69], v[146:147] neg_lo:[0,1] neg_hi:[0,1]
	v_pk_fma_f32 v[140:141], v[140:141], v[84:85], v[142:143] op_sel_hi:[1,1,0]
	s_delay_alu instid0(VALU_DEP_1) | instskip(SKIP_4) | instid1(VALU_DEP_1)
	v_mov_b32_e32 v145, v141
	ds_load_2addr_b64 v[140:143], v134 offset0:24 offset1:25
	v_pk_add_f32 v[64:65], v[64:65], v[144:145] neg_lo:[0,1] neg_hi:[0,1]
	s_wait_dscnt 0x0
	v_pk_mul_f32 v[144:145], v[140:141], v[132:133] op_sel:[0,1]
	v_pk_fma_f32 v[146:147], v[140:141], v[130:131], v[144:145] op_sel:[0,0,1] op_sel_hi:[1,1,0] neg_lo:[0,0,1] neg_hi:[0,0,1]
	v_pk_fma_f32 v[140:141], v[140:141], v[130:131], v[144:145] op_sel:[0,0,1] op_sel_hi:[1,0,0]
	s_delay_alu instid0(VALU_DEP_1) | instskip(SKIP_1) | instid1(VALU_DEP_1)
	v_mov_b32_e32 v147, v141
	v_pk_mul_f32 v[140:141], v[142:143], v[132:133] op_sel:[0,1]
	v_pk_fma_f32 v[144:145], v[142:143], v[130:131], v[140:141] op_sel:[0,0,1] op_sel_hi:[1,1,0] neg_lo:[0,0,1] neg_hi:[0,0,1]
	v_pk_fma_f32 v[140:141], v[142:143], v[130:131], v[140:141] op_sel:[0,0,1] op_sel_hi:[1,0,0]
	s_delay_alu instid0(VALU_DEP_1)
	v_mov_b32_e32 v145, v141
	ds_load_2addr_b64 v[140:143], v134 offset0:26 offset1:27
	v_pk_add_f32 v[108:109], v[108:109], v[146:147] neg_lo:[0,1] neg_hi:[0,1]
	v_pk_add_f32 v[60:61], v[60:61], v[144:145] neg_lo:[0,1] neg_hi:[0,1]
	s_wait_dscnt 0x0
	v_pk_mul_f32 v[144:145], v[140:141], v[132:133] op_sel:[0,1]
	s_delay_alu instid0(VALU_DEP_1) | instskip(SKIP_1) | instid1(VALU_DEP_1)
	v_pk_fma_f32 v[146:147], v[140:141], v[130:131], v[144:145] op_sel:[0,0,1] op_sel_hi:[1,1,0] neg_lo:[0,0,1] neg_hi:[0,0,1]
	v_pk_fma_f32 v[140:141], v[140:141], v[130:131], v[144:145] op_sel:[0,0,1] op_sel_hi:[1,0,0]
	v_mov_b32_e32 v147, v141
	v_pk_mul_f32 v[140:141], v[142:143], v[132:133] op_sel:[0,1]
	s_delay_alu instid0(VALU_DEP_1) | instskip(SKIP_1) | instid1(VALU_DEP_1)
	v_pk_fma_f32 v[144:145], v[142:143], v[130:131], v[140:141] op_sel:[0,0,1] op_sel_hi:[1,1,0] neg_lo:[0,0,1] neg_hi:[0,0,1]
	v_pk_fma_f32 v[140:141], v[142:143], v[130:131], v[140:141] op_sel:[0,0,1] op_sel_hi:[1,0,0]
	v_mov_b32_e32 v145, v141
	ds_load_2addr_b64 v[140:143], v134 offset0:28 offset1:29
	v_pk_add_f32 v[62:63], v[62:63], v[146:147] neg_lo:[0,1] neg_hi:[0,1]
	v_pk_add_f32 v[58:59], v[58:59], v[144:145] neg_lo:[0,1] neg_hi:[0,1]
	s_wait_dscnt 0x0
	v_dual_mul_f32 v144, v141, v133 :: v_dual_mul_f32 v146, v141, v130
	s_delay_alu instid0(VALU_DEP_1) | instskip(NEXT) | instid1(VALU_DEP_2)
	v_pk_fma_f32 v[144:145], v[140:141], v[84:85], v[144:145] op_sel_hi:[1,1,0] neg_lo:[0,0,1] neg_hi:[0,0,1]
	v_pk_fma_f32 v[140:141], v[140:141], v[84:85], v[146:147] op_sel:[1,0,0] op_sel_hi:[0,1,0]
	s_delay_alu instid0(VALU_DEP_1) | instskip(SKIP_1) | instid1(VALU_DEP_2)
	v_mov_b32_e32 v145, v141
	v_pk_mul_f32 v[140:141], v[142:143], v[132:133] op_sel:[0,1]
	v_pk_add_f32 v[106:107], v[106:107], v[144:145] neg_lo:[0,1] neg_hi:[0,1]
	s_delay_alu instid0(VALU_DEP_2) | instskip(SKIP_1) | instid1(VALU_DEP_1)
	v_pk_fma_f32 v[144:145], v[142:143], v[130:131], v[140:141] op_sel:[0,0,1] op_sel_hi:[1,1,0] neg_lo:[0,0,1] neg_hi:[0,0,1]
	v_pk_fma_f32 v[140:141], v[142:143], v[130:131], v[140:141] op_sel:[0,0,1] op_sel_hi:[1,0,0]
	v_mov_b32_e32 v145, v141
	ds_load_2addr_b64 v[140:143], v134 offset0:30 offset1:31
	v_pk_add_f32 v[54:55], v[54:55], v[144:145] neg_lo:[0,1] neg_hi:[0,1]
	s_wait_dscnt 0x0
	v_pk_mul_f32 v[144:145], v[140:141], v[132:133] op_sel:[0,1]
	s_delay_alu instid0(VALU_DEP_1) | instskip(SKIP_1) | instid1(VALU_DEP_1)
	v_pk_fma_f32 v[146:147], v[140:141], v[130:131], v[144:145] op_sel:[0,0,1] op_sel_hi:[1,1,0] neg_lo:[0,0,1] neg_hi:[0,0,1]
	v_pk_fma_f32 v[140:141], v[140:141], v[130:131], v[144:145] op_sel:[0,0,1] op_sel_hi:[1,0,0]
	v_mov_b32_e32 v147, v141
	v_pk_mul_f32 v[140:141], v[142:143], v[132:133] op_sel:[0,1]
	s_delay_alu instid0(VALU_DEP_2) | instskip(NEXT) | instid1(VALU_DEP_2)
	v_pk_add_f32 v[56:57], v[56:57], v[146:147] neg_lo:[0,1] neg_hi:[0,1]
	v_pk_fma_f32 v[144:145], v[142:143], v[130:131], v[140:141] op_sel:[0,0,1] op_sel_hi:[1,1,0] neg_lo:[0,0,1] neg_hi:[0,0,1]
	v_pk_fma_f32 v[140:141], v[142:143], v[130:131], v[140:141] op_sel:[0,0,1] op_sel_hi:[1,0,0]
	s_delay_alu instid0(VALU_DEP_1) | instskip(SKIP_4) | instid1(VALU_DEP_1)
	v_mov_b32_e32 v145, v141
	ds_load_2addr_b64 v[140:143], v134 offset0:32 offset1:33
	v_pk_add_f32 v[52:53], v[52:53], v[144:145] neg_lo:[0,1] neg_hi:[0,1]
	s_wait_dscnt 0x0
	v_pk_mul_f32 v[144:145], v[140:141], v[132:133] op_sel:[0,1]
	v_pk_fma_f32 v[146:147], v[140:141], v[130:131], v[144:145] op_sel:[0,0,1] op_sel_hi:[1,1,0] neg_lo:[0,0,1] neg_hi:[0,0,1]
	v_pk_fma_f32 v[140:141], v[140:141], v[130:131], v[144:145] op_sel:[0,0,1] op_sel_hi:[1,0,0]
	v_dual_mul_f32 v144, v143, v133 :: v_dual_mov_b32 v140, v143
	s_delay_alu instid0(VALU_DEP_2) | instskip(NEXT) | instid1(VALU_DEP_2)
	v_dual_mov_b32 v147, v141 :: v_dual_mov_b32 v141, v142
	v_pk_fma_f32 v[144:145], v[142:143], v[84:85], v[144:145] op_sel_hi:[1,1,0] neg_lo:[0,0,1] neg_hi:[0,0,1]
	v_mul_f32_e32 v142, v143, v130
	s_delay_alu instid0(VALU_DEP_3) | instskip(NEXT) | instid1(VALU_DEP_2)
	v_pk_add_f32 v[104:105], v[104:105], v[146:147] neg_lo:[0,1] neg_hi:[0,1]
	v_pk_fma_f32 v[140:141], v[140:141], v[84:85], v[142:143] op_sel_hi:[1,1,0]
	s_delay_alu instid0(VALU_DEP_1) | instskip(SKIP_4) | instid1(VALU_DEP_1)
	v_mov_b32_e32 v145, v141
	ds_load_2addr_b64 v[140:143], v134 offset0:34 offset1:35
	v_pk_add_f32 v[48:49], v[48:49], v[144:145] neg_lo:[0,1] neg_hi:[0,1]
	s_wait_dscnt 0x0
	v_pk_mul_f32 v[144:145], v[140:141], v[132:133] op_sel:[0,1]
	v_pk_fma_f32 v[146:147], v[140:141], v[130:131], v[144:145] op_sel:[0,0,1] op_sel_hi:[1,1,0] neg_lo:[0,0,1] neg_hi:[0,0,1]
	v_pk_fma_f32 v[140:141], v[140:141], v[130:131], v[144:145] op_sel:[0,0,1] op_sel_hi:[1,0,0]
	s_delay_alu instid0(VALU_DEP_1) | instskip(SKIP_1) | instid1(VALU_DEP_1)
	v_mov_b32_e32 v147, v141
	v_pk_mul_f32 v[140:141], v[142:143], v[132:133] op_sel:[0,1]
	v_pk_fma_f32 v[144:145], v[142:143], v[130:131], v[140:141] op_sel:[0,0,1] op_sel_hi:[1,1,0] neg_lo:[0,0,1] neg_hi:[0,0,1]
	v_pk_fma_f32 v[140:141], v[142:143], v[130:131], v[140:141] op_sel:[0,0,1] op_sel_hi:[1,0,0]
	s_delay_alu instid0(VALU_DEP_1)
	v_mov_b32_e32 v145, v141
	ds_load_2addr_b64 v[140:143], v134 offset0:36 offset1:37
	v_pk_add_f32 v[50:51], v[50:51], v[146:147] neg_lo:[0,1] neg_hi:[0,1]
	v_pk_add_f32 v[46:47], v[46:47], v[144:145] neg_lo:[0,1] neg_hi:[0,1]
	s_wait_dscnt 0x0
	v_pk_mul_f32 v[144:145], v[140:141], v[132:133] op_sel:[0,1]
	s_delay_alu instid0(VALU_DEP_1) | instskip(SKIP_1) | instid1(VALU_DEP_1)
	v_pk_fma_f32 v[146:147], v[140:141], v[130:131], v[144:145] op_sel:[0,0,1] op_sel_hi:[1,1,0] neg_lo:[0,0,1] neg_hi:[0,0,1]
	v_pk_fma_f32 v[140:141], v[140:141], v[130:131], v[144:145] op_sel:[0,0,1] op_sel_hi:[1,0,0]
	v_mov_b32_e32 v147, v141
	v_pk_mul_f32 v[140:141], v[142:143], v[132:133] op_sel:[0,1]
	s_delay_alu instid0(VALU_DEP_1) | instskip(SKIP_1) | instid1(VALU_DEP_1)
	v_pk_fma_f32 v[144:145], v[142:143], v[130:131], v[140:141] op_sel:[0,0,1] op_sel_hi:[1,1,0] neg_lo:[0,0,1] neg_hi:[0,0,1]
	v_pk_fma_f32 v[140:141], v[142:143], v[130:131], v[140:141] op_sel:[0,0,1] op_sel_hi:[1,0,0]
	v_mov_b32_e32 v145, v141
	ds_load_2addr_b64 v[140:143], v134 offset0:38 offset1:39
	v_pk_add_f32 v[102:103], v[102:103], v[146:147] neg_lo:[0,1] neg_hi:[0,1]
	v_pk_add_f32 v[40:41], v[40:41], v[144:145] neg_lo:[0,1] neg_hi:[0,1]
	s_wait_dscnt 0x0
	v_dual_mul_f32 v144, v141, v133 :: v_dual_mul_f32 v146, v141, v130
	s_delay_alu instid0(VALU_DEP_1) | instskip(NEXT) | instid1(VALU_DEP_2)
	v_pk_fma_f32 v[144:145], v[140:141], v[84:85], v[144:145] op_sel_hi:[1,1,0] neg_lo:[0,0,1] neg_hi:[0,0,1]
	v_pk_fma_f32 v[140:141], v[140:141], v[84:85], v[146:147] op_sel:[1,0,0] op_sel_hi:[0,1,0]
	s_delay_alu instid0(VALU_DEP_1) | instskip(SKIP_1) | instid1(VALU_DEP_2)
	v_mov_b32_e32 v145, v141
	v_pk_mul_f32 v[140:141], v[142:143], v[132:133] op_sel:[0,1]
	v_pk_add_f32 v[42:43], v[42:43], v[144:145] neg_lo:[0,1] neg_hi:[0,1]
	s_delay_alu instid0(VALU_DEP_2) | instskip(SKIP_1) | instid1(VALU_DEP_1)
	v_pk_fma_f32 v[144:145], v[142:143], v[130:131], v[140:141] op_sel:[0,0,1] op_sel_hi:[1,1,0] neg_lo:[0,0,1] neg_hi:[0,0,1]
	v_pk_fma_f32 v[140:141], v[142:143], v[130:131], v[140:141] op_sel:[0,0,1] op_sel_hi:[1,0,0]
	v_mov_b32_e32 v145, v141
	ds_load_2addr_b64 v[140:143], v134 offset0:40 offset1:41
	v_pk_add_f32 v[38:39], v[38:39], v[144:145] neg_lo:[0,1] neg_hi:[0,1]
	s_wait_dscnt 0x0
	v_pk_mul_f32 v[144:145], v[140:141], v[132:133] op_sel:[0,1]
	s_delay_alu instid0(VALU_DEP_1) | instskip(SKIP_1) | instid1(VALU_DEP_1)
	v_pk_fma_f32 v[146:147], v[140:141], v[130:131], v[144:145] op_sel:[0,0,1] op_sel_hi:[1,1,0] neg_lo:[0,0,1] neg_hi:[0,0,1]
	v_pk_fma_f32 v[140:141], v[140:141], v[130:131], v[144:145] op_sel:[0,0,1] op_sel_hi:[1,0,0]
	v_mov_b32_e32 v147, v141
	v_pk_mul_f32 v[140:141], v[142:143], v[132:133] op_sel:[0,1]
	s_delay_alu instid0(VALU_DEP_2) | instskip(NEXT) | instid1(VALU_DEP_2)
	v_pk_add_f32 v[100:101], v[100:101], v[146:147] neg_lo:[0,1] neg_hi:[0,1]
	v_pk_fma_f32 v[144:145], v[142:143], v[130:131], v[140:141] op_sel:[0,0,1] op_sel_hi:[1,1,0] neg_lo:[0,0,1] neg_hi:[0,0,1]
	v_pk_fma_f32 v[140:141], v[142:143], v[130:131], v[140:141] op_sel:[0,0,1] op_sel_hi:[1,0,0]
	s_delay_alu instid0(VALU_DEP_1) | instskip(SKIP_4) | instid1(VALU_DEP_1)
	v_mov_b32_e32 v145, v141
	ds_load_2addr_b64 v[140:143], v134 offset0:42 offset1:43
	v_pk_add_f32 v[32:33], v[32:33], v[144:145] neg_lo:[0,1] neg_hi:[0,1]
	s_wait_dscnt 0x0
	v_pk_mul_f32 v[144:145], v[140:141], v[132:133] op_sel:[0,1]
	v_pk_fma_f32 v[146:147], v[140:141], v[130:131], v[144:145] op_sel:[0,0,1] op_sel_hi:[1,1,0] neg_lo:[0,0,1] neg_hi:[0,0,1]
	v_pk_fma_f32 v[140:141], v[140:141], v[130:131], v[144:145] op_sel:[0,0,1] op_sel_hi:[1,0,0]
	v_dual_mul_f32 v144, v143, v133 :: v_dual_mov_b32 v140, v143
	s_delay_alu instid0(VALU_DEP_2) | instskip(NEXT) | instid1(VALU_DEP_2)
	v_dual_mov_b32 v147, v141 :: v_dual_mov_b32 v141, v142
	v_pk_fma_f32 v[144:145], v[142:143], v[84:85], v[144:145] op_sel_hi:[1,1,0] neg_lo:[0,0,1] neg_hi:[0,0,1]
	v_mul_f32_e32 v142, v143, v130
	s_delay_alu instid0(VALU_DEP_3) | instskip(NEXT) | instid1(VALU_DEP_2)
	v_pk_add_f32 v[34:35], v[34:35], v[146:147] neg_lo:[0,1] neg_hi:[0,1]
	v_pk_fma_f32 v[140:141], v[140:141], v[84:85], v[142:143] op_sel_hi:[1,1,0]
	s_delay_alu instid0(VALU_DEP_1) | instskip(SKIP_4) | instid1(VALU_DEP_1)
	v_mov_b32_e32 v145, v141
	ds_load_2addr_b64 v[140:143], v134 offset0:44 offset1:45
	v_pk_add_f32 v[30:31], v[30:31], v[144:145] neg_lo:[0,1] neg_hi:[0,1]
	s_wait_dscnt 0x0
	v_pk_mul_f32 v[144:145], v[140:141], v[132:133] op_sel:[0,1]
	v_pk_fma_f32 v[146:147], v[140:141], v[130:131], v[144:145] op_sel:[0,0,1] op_sel_hi:[1,1,0] neg_lo:[0,0,1] neg_hi:[0,0,1]
	v_pk_fma_f32 v[140:141], v[140:141], v[130:131], v[144:145] op_sel:[0,0,1] op_sel_hi:[1,0,0]
	s_delay_alu instid0(VALU_DEP_1) | instskip(SKIP_1) | instid1(VALU_DEP_1)
	v_mov_b32_e32 v147, v141
	v_pk_mul_f32 v[140:141], v[142:143], v[132:133] op_sel:[0,1]
	v_pk_fma_f32 v[144:145], v[142:143], v[130:131], v[140:141] op_sel:[0,0,1] op_sel_hi:[1,1,0] neg_lo:[0,0,1] neg_hi:[0,0,1]
	v_pk_fma_f32 v[140:141], v[142:143], v[130:131], v[140:141] op_sel:[0,0,1] op_sel_hi:[1,0,0]
	s_delay_alu instid0(VALU_DEP_1)
	v_mov_b32_e32 v145, v141
	ds_load_2addr_b64 v[140:143], v134 offset0:46 offset1:47
	v_pk_add_f32 v[98:99], v[98:99], v[146:147] neg_lo:[0,1] neg_hi:[0,1]
	v_pk_add_f32 v[24:25], v[24:25], v[144:145] neg_lo:[0,1] neg_hi:[0,1]
	s_wait_dscnt 0x0
	v_pk_mul_f32 v[144:145], v[140:141], v[132:133] op_sel:[0,1]
	s_delay_alu instid0(VALU_DEP_1) | instskip(SKIP_1) | instid1(VALU_DEP_1)
	v_pk_fma_f32 v[146:147], v[140:141], v[130:131], v[144:145] op_sel:[0,0,1] op_sel_hi:[1,1,0] neg_lo:[0,0,1] neg_hi:[0,0,1]
	v_pk_fma_f32 v[140:141], v[140:141], v[130:131], v[144:145] op_sel:[0,0,1] op_sel_hi:[1,0,0]
	v_mov_b32_e32 v147, v141
	v_pk_mul_f32 v[140:141], v[142:143], v[132:133] op_sel:[0,1]
	s_delay_alu instid0(VALU_DEP_1) | instskip(SKIP_1) | instid1(VALU_DEP_1)
	v_pk_fma_f32 v[144:145], v[142:143], v[130:131], v[140:141] op_sel:[0,0,1] op_sel_hi:[1,1,0] neg_lo:[0,0,1] neg_hi:[0,0,1]
	v_pk_fma_f32 v[140:141], v[142:143], v[130:131], v[140:141] op_sel:[0,0,1] op_sel_hi:[1,0,0]
	v_mov_b32_e32 v145, v141
	ds_load_2addr_b64 v[140:143], v134 offset0:48 offset1:49
	v_pk_add_f32 v[28:29], v[28:29], v[146:147] neg_lo:[0,1] neg_hi:[0,1]
	v_pk_add_f32 v[22:23], v[22:23], v[144:145] neg_lo:[0,1] neg_hi:[0,1]
	s_wait_dscnt 0x0
	v_dual_mul_f32 v144, v141, v133 :: v_dual_mul_f32 v146, v141, v130
	s_delay_alu instid0(VALU_DEP_1) | instskip(NEXT) | instid1(VALU_DEP_2)
	v_pk_fma_f32 v[144:145], v[140:141], v[84:85], v[144:145] op_sel_hi:[1,1,0] neg_lo:[0,0,1] neg_hi:[0,0,1]
	v_pk_fma_f32 v[140:141], v[140:141], v[84:85], v[146:147] op_sel:[1,0,0] op_sel_hi:[0,1,0]
	s_delay_alu instid0(VALU_DEP_1) | instskip(SKIP_1) | instid1(VALU_DEP_2)
	v_mov_b32_e32 v145, v141
	v_pk_mul_f32 v[140:141], v[142:143], v[132:133] op_sel:[0,1]
	v_pk_add_f32 v[96:97], v[96:97], v[144:145] neg_lo:[0,1] neg_hi:[0,1]
	s_delay_alu instid0(VALU_DEP_2) | instskip(SKIP_1) | instid1(VALU_DEP_1)
	v_pk_fma_f32 v[144:145], v[142:143], v[130:131], v[140:141] op_sel:[0,0,1] op_sel_hi:[1,1,0] neg_lo:[0,0,1] neg_hi:[0,0,1]
	v_pk_fma_f32 v[140:141], v[142:143], v[130:131], v[140:141] op_sel:[0,0,1] op_sel_hi:[1,0,0]
	v_mov_b32_e32 v145, v141
	ds_load_2addr_b64 v[140:143], v134 offset0:50 offset1:51
	v_pk_add_f32 v[18:19], v[18:19], v[144:145] neg_lo:[0,1] neg_hi:[0,1]
	s_wait_dscnt 0x0
	v_pk_mul_f32 v[144:145], v[140:141], v[132:133] op_sel:[0,1]
	s_delay_alu instid0(VALU_DEP_1) | instskip(SKIP_1) | instid1(VALU_DEP_1)
	v_pk_fma_f32 v[146:147], v[140:141], v[130:131], v[144:145] op_sel:[0,0,1] op_sel_hi:[1,1,0] neg_lo:[0,0,1] neg_hi:[0,0,1]
	v_pk_fma_f32 v[140:141], v[140:141], v[130:131], v[144:145] op_sel:[0,0,1] op_sel_hi:[1,0,0]
	v_mov_b32_e32 v147, v141
	v_pk_mul_f32 v[140:141], v[142:143], v[132:133] op_sel:[0,1]
	s_delay_alu instid0(VALU_DEP_2) | instskip(NEXT) | instid1(VALU_DEP_2)
	v_pk_add_f32 v[20:21], v[20:21], v[146:147] neg_lo:[0,1] neg_hi:[0,1]
	v_pk_fma_f32 v[144:145], v[142:143], v[130:131], v[140:141] op_sel:[0,0,1] op_sel_hi:[1,1,0] neg_lo:[0,0,1] neg_hi:[0,0,1]
	v_pk_fma_f32 v[140:141], v[142:143], v[130:131], v[140:141] op_sel:[0,0,1] op_sel_hi:[1,0,0]
	s_delay_alu instid0(VALU_DEP_1) | instskip(SKIP_4) | instid1(VALU_DEP_1)
	v_mov_b32_e32 v145, v141
	ds_load_2addr_b64 v[140:143], v134 offset0:52 offset1:53
	v_pk_add_f32 v[36:37], v[36:37], v[144:145] neg_lo:[0,1] neg_hi:[0,1]
	s_wait_dscnt 0x0
	v_pk_mul_f32 v[144:145], v[140:141], v[132:133] op_sel:[0,1]
	v_pk_fma_f32 v[146:147], v[140:141], v[130:131], v[144:145] op_sel:[0,0,1] op_sel_hi:[1,1,0] neg_lo:[0,0,1] neg_hi:[0,0,1]
	v_pk_fma_f32 v[140:141], v[140:141], v[130:131], v[144:145] op_sel:[0,0,1] op_sel_hi:[1,0,0]
	v_dual_mul_f32 v144, v143, v133 :: v_dual_mov_b32 v140, v143
	s_delay_alu instid0(VALU_DEP_2) | instskip(NEXT) | instid1(VALU_DEP_2)
	v_dual_mov_b32 v147, v141 :: v_dual_mov_b32 v141, v142
	v_pk_fma_f32 v[144:145], v[142:143], v[84:85], v[144:145] op_sel_hi:[1,1,0] neg_lo:[0,0,1] neg_hi:[0,0,1]
	v_mul_f32_e32 v142, v143, v130
	s_delay_alu instid0(VALU_DEP_3) | instskip(NEXT) | instid1(VALU_DEP_2)
	v_pk_add_f32 v[86:87], v[86:87], v[146:147] neg_lo:[0,1] neg_hi:[0,1]
	v_pk_fma_f32 v[140:141], v[140:141], v[84:85], v[142:143] op_sel_hi:[1,1,0]
	s_delay_alu instid0(VALU_DEP_1) | instskip(SKIP_4) | instid1(VALU_DEP_1)
	v_mov_b32_e32 v145, v141
	ds_load_2addr_b64 v[140:143], v134 offset0:54 offset1:55
	v_pk_add_f32 v[10:11], v[10:11], v[144:145] neg_lo:[0,1] neg_hi:[0,1]
	s_wait_dscnt 0x0
	v_pk_mul_f32 v[144:145], v[140:141], v[132:133] op_sel:[0,1]
	v_pk_fma_f32 v[146:147], v[140:141], v[130:131], v[144:145] op_sel:[0,0,1] op_sel_hi:[1,1,0] neg_lo:[0,0,1] neg_hi:[0,0,1]
	v_pk_fma_f32 v[140:141], v[140:141], v[130:131], v[144:145] op_sel:[0,0,1] op_sel_hi:[1,0,0]
	s_delay_alu instid0(VALU_DEP_1) | instskip(SKIP_1) | instid1(VALU_DEP_1)
	v_mov_b32_e32 v147, v141
	v_pk_mul_f32 v[140:141], v[142:143], v[132:133] op_sel:[0,1]
	v_pk_fma_f32 v[144:145], v[142:143], v[130:131], v[140:141] op_sel:[0,0,1] op_sel_hi:[1,1,0] neg_lo:[0,0,1] neg_hi:[0,0,1]
	v_pk_fma_f32 v[140:141], v[142:143], v[130:131], v[140:141] op_sel:[0,0,1] op_sel_hi:[1,0,0]
	s_delay_alu instid0(VALU_DEP_1)
	v_mov_b32_e32 v145, v141
	ds_load_2addr_b64 v[140:143], v134 offset0:56 offset1:57
	v_pk_add_f32 v[12:13], v[12:13], v[146:147] neg_lo:[0,1] neg_hi:[0,1]
	v_pk_add_f32 v[8:9], v[8:9], v[144:145] neg_lo:[0,1] neg_hi:[0,1]
	s_wait_dscnt 0x0
	v_pk_mul_f32 v[144:145], v[140:141], v[132:133] op_sel:[0,1]
	s_delay_alu instid0(VALU_DEP_1) | instskip(SKIP_1) | instid1(VALU_DEP_1)
	v_pk_fma_f32 v[146:147], v[140:141], v[130:131], v[144:145] op_sel:[0,0,1] op_sel_hi:[1,1,0] neg_lo:[0,0,1] neg_hi:[0,0,1]
	v_pk_fma_f32 v[140:141], v[140:141], v[130:131], v[144:145] op_sel:[0,0,1] op_sel_hi:[1,0,0]
	v_mov_b32_e32 v147, v141
	v_pk_mul_f32 v[140:141], v[142:143], v[132:133] op_sel:[0,1]
	s_delay_alu instid0(VALU_DEP_1) | instskip(SKIP_1) | instid1(VALU_DEP_1)
	v_pk_fma_f32 v[144:145], v[142:143], v[130:131], v[140:141] op_sel:[0,0,1] op_sel_hi:[1,1,0] neg_lo:[0,0,1] neg_hi:[0,0,1]
	v_pk_fma_f32 v[140:141], v[142:143], v[130:131], v[140:141] op_sel:[0,0,1] op_sel_hi:[1,0,0]
	v_mov_b32_e32 v145, v141
	ds_load_2addr_b64 v[140:143], v134 offset0:58 offset1:59
	v_pk_add_f32 v[44:45], v[44:45], v[146:147] neg_lo:[0,1] neg_hi:[0,1]
	v_pk_add_f32 v[6:7], v[6:7], v[144:145] neg_lo:[0,1] neg_hi:[0,1]
	s_wait_dscnt 0x0
	v_dual_mul_f32 v144, v141, v133 :: v_dual_mul_f32 v146, v141, v130
	s_delay_alu instid0(VALU_DEP_1) | instskip(NEXT) | instid1(VALU_DEP_2)
	v_pk_fma_f32 v[144:145], v[140:141], v[84:85], v[144:145] op_sel_hi:[1,1,0] neg_lo:[0,0,1] neg_hi:[0,0,1]
	v_pk_fma_f32 v[140:141], v[140:141], v[84:85], v[146:147] op_sel:[1,0,0] op_sel_hi:[0,1,0]
	s_delay_alu instid0(VALU_DEP_1) | instskip(SKIP_1) | instid1(VALU_DEP_2)
	v_mov_b32_e32 v145, v141
	v_pk_mul_f32 v[140:141], v[142:143], v[132:133] op_sel:[0,1]
	v_pk_add_f32 v[26:27], v[26:27], v[144:145] neg_lo:[0,1] neg_hi:[0,1]
	s_delay_alu instid0(VALU_DEP_2) | instskip(SKIP_1) | instid1(VALU_DEP_1)
	v_pk_fma_f32 v[144:145], v[142:143], v[130:131], v[140:141] op_sel:[0,0,1] op_sel_hi:[1,1,0] neg_lo:[0,0,1] neg_hi:[0,0,1]
	v_pk_fma_f32 v[140:141], v[142:143], v[130:131], v[140:141] op_sel:[0,0,1] op_sel_hi:[1,0,0]
	v_mov_b32_e32 v145, v141
	ds_load_2addr_b64 v[140:143], v134 offset0:60 offset1:61
	v_pk_add_f32 v[16:17], v[16:17], v[144:145] neg_lo:[0,1] neg_hi:[0,1]
	s_wait_dscnt 0x0
	v_pk_mul_f32 v[144:145], v[140:141], v[132:133] op_sel:[0,1]
	v_pk_mul_f32 v[132:133], v[142:143], v[132:133] op_sel:[0,1]
	s_delay_alu instid0(VALU_DEP_2) | instskip(SKIP_1) | instid1(VALU_DEP_1)
	v_pk_fma_f32 v[146:147], v[140:141], v[130:131], v[144:145] op_sel:[0,0,1] op_sel_hi:[1,1,0] neg_lo:[0,0,1] neg_hi:[0,0,1]
	v_pk_fma_f32 v[140:141], v[140:141], v[130:131], v[144:145] op_sel:[0,0,1] op_sel_hi:[1,0,0]
	v_mov_b32_e32 v147, v141
	s_delay_alu instid0(VALU_DEP_4) | instskip(SKIP_1) | instid1(VALU_DEP_3)
	v_pk_fma_f32 v[140:141], v[142:143], v[130:131], v[132:133] op_sel:[0,0,1] op_sel_hi:[1,1,0] neg_lo:[0,0,1] neg_hi:[0,0,1]
	v_pk_fma_f32 v[130:131], v[142:143], v[130:131], v[132:133] op_sel:[0,0,1] op_sel_hi:[1,0,0]
	v_pk_add_f32 v[14:15], v[14:15], v[146:147] neg_lo:[0,1] neg_hi:[0,1]
	s_delay_alu instid0(VALU_DEP_2) | instskip(NEXT) | instid1(VALU_DEP_1)
	v_mov_b32_e32 v141, v131
	v_pk_add_f32 v[128:129], v[128:129], v[140:141] neg_lo:[0,1] neg_hi:[0,1]
.LBB122_209:
	s_or_b32 exec_lo, exec_lo, s0
	v_lshl_add_u32 v130, v138, 3, v134
	s_barrier_signal -1
	s_barrier_wait -1
	ds_store_b64 v130, v[88:89]
	s_wait_dscnt 0x0
	s_barrier_signal -1
	s_barrier_wait -1
	ds_load_b64 v[132:133], v134 offset:80
	v_mov_b32_e32 v130, 10
	s_cmp_lt_i32 s18, 12
	s_cbranch_scc1 .LBB122_212
; %bb.210:
	v_add3_u32 v131, v135, 0, 0x58
	v_mov_b32_e32 v130, 10
	s_mov_b32 s0, 11
.LBB122_211:                            ; =>This Inner Loop Header: Depth=1
	ds_load_b64 v[140:141], v131
	s_wait_dscnt 0x1
	v_cmp_gt_f32_e32 vcc_lo, 0, v132
	v_cndmask_b32_e64 v142, v132, -v132, vcc_lo
	v_cmp_gt_f32_e32 vcc_lo, 0, v133
	v_cndmask_b32_e64 v144, v133, -v133, vcc_lo
	s_wait_dscnt 0x0
	v_cmp_gt_f32_e32 vcc_lo, 0, v140
	v_cndmask_b32_e64 v143, v140, -v140, vcc_lo
	v_cmp_gt_f32_e32 vcc_lo, 0, v141
	v_cndmask_b32_e64 v145, v141, -v141, vcc_lo
	s_delay_alu instid0(VALU_DEP_1) | instskip(NEXT) | instid1(VALU_DEP_1)
	v_pk_add_f32 v[142:143], v[142:143], v[144:145]
	v_cmp_lt_f32_e32 vcc_lo, v142, v143
	v_dual_add_nc_u32 v131, 8, v131 :: v_dual_cndmask_b32 v133, v133, v141, vcc_lo
	v_cndmask_b32_e32 v132, v132, v140, vcc_lo
	v_cndmask_b32_e64 v130, v130, s0, vcc_lo
	s_add_co_i32 s0, s0, 1
	s_delay_alu instid0(SALU_CYCLE_1)
	s_cmp_lg_u32 s18, s0
	s_cbranch_scc1 .LBB122_211
.LBB122_212:
	s_wait_dscnt 0x0
	v_cmp_eq_f32_e32 vcc_lo, 0, v132
	v_cmp_eq_f32_e64 s0, 0, v133
	s_and_b32 s0, vcc_lo, s0
	s_delay_alu instid0(SALU_CYCLE_1) | instskip(NEXT) | instid1(SALU_CYCLE_1)
	s_and_saveexec_b32 s1, s0
	s_xor_b32 s0, exec_lo, s1
; %bb.213:
	v_cmp_ne_u32_e32 vcc_lo, 0, v136
	v_cndmask_b32_e32 v136, 11, v136, vcc_lo
; %bb.214:
	s_and_not1_saveexec_b32 s0, s0
	s_cbranch_execz .LBB122_220
; %bb.215:
	v_cmp_ngt_f32_e64 s1, |v132|, |v133|
	s_and_saveexec_b32 s12, s1
	s_delay_alu instid0(SALU_CYCLE_1)
	s_xor_b32 s1, exec_lo, s12
	s_cbranch_execz .LBB122_217
; %bb.216:
	v_div_scale_f32 v131, null, v133, v133, v132
	v_div_scale_f32 v141, vcc_lo, v132, v133, v132
	s_delay_alu instid0(VALU_DEP_2) | instskip(SKIP_1) | instid1(TRANS32_DEP_1)
	v_rcp_f32_e32 v139, v131
	v_nop
	v_fma_f32 v140, -v131, v139, 1.0
	s_delay_alu instid0(VALU_DEP_1) | instskip(NEXT) | instid1(VALU_DEP_1)
	v_fmac_f32_e32 v139, v140, v139
	v_mul_f32_e32 v140, v141, v139
	s_delay_alu instid0(VALU_DEP_1) | instskip(NEXT) | instid1(VALU_DEP_1)
	v_fma_f32 v142, -v131, v140, v141
	v_fmac_f32_e32 v140, v142, v139
	s_delay_alu instid0(VALU_DEP_1) | instskip(NEXT) | instid1(VALU_DEP_1)
	v_fma_f32 v131, -v131, v140, v141
	v_div_fmas_f32 v131, v131, v139, v140
	s_delay_alu instid0(VALU_DEP_1) | instskip(NEXT) | instid1(VALU_DEP_1)
	v_div_fixup_f32 v131, v131, v133, v132
	v_fmac_f32_e32 v133, v132, v131
	s_delay_alu instid0(VALU_DEP_1) | instskip(SKIP_1) | instid1(VALU_DEP_2)
	v_div_scale_f32 v132, null, v133, v133, 1.0
	v_div_scale_f32 v141, vcc_lo, 1.0, v133, 1.0
	v_rcp_f32_e32 v139, v132
	v_nop
	s_delay_alu instid0(TRANS32_DEP_1) | instskip(NEXT) | instid1(VALU_DEP_1)
	v_fma_f32 v140, -v132, v139, 1.0
	v_fmac_f32_e32 v139, v140, v139
	s_delay_alu instid0(VALU_DEP_1) | instskip(NEXT) | instid1(VALU_DEP_1)
	v_mul_f32_e32 v140, v141, v139
	v_fma_f32 v142, -v132, v140, v141
	s_delay_alu instid0(VALU_DEP_1) | instskip(NEXT) | instid1(VALU_DEP_1)
	v_fmac_f32_e32 v140, v142, v139
	v_fma_f32 v132, -v132, v140, v141
	s_delay_alu instid0(VALU_DEP_1) | instskip(NEXT) | instid1(VALU_DEP_1)
	v_div_fmas_f32 v132, v132, v139, v140
	v_div_fixup_f32 v133, v132, v133, 1.0
	s_delay_alu instid0(VALU_DEP_1)
	v_mul_f32_e32 v132, v131, v133
	v_xor_b32_e32 v133, 0x80000000, v133
.LBB122_217:
	s_and_not1_saveexec_b32 s1, s1
	s_cbranch_execz .LBB122_219
; %bb.218:
	s_delay_alu instid0(VALU_DEP_1) | instskip(SKIP_1) | instid1(VALU_DEP_2)
	v_div_scale_f32 v131, null, v132, v132, v133
	v_div_scale_f32 v141, vcc_lo, v133, v132, v133
	v_rcp_f32_e32 v139, v131
	v_nop
	s_delay_alu instid0(TRANS32_DEP_1) | instskip(NEXT) | instid1(VALU_DEP_1)
	v_fma_f32 v140, -v131, v139, 1.0
	v_fmac_f32_e32 v139, v140, v139
	s_delay_alu instid0(VALU_DEP_1) | instskip(NEXT) | instid1(VALU_DEP_1)
	v_mul_f32_e32 v140, v141, v139
	v_fma_f32 v142, -v131, v140, v141
	s_delay_alu instid0(VALU_DEP_1) | instskip(NEXT) | instid1(VALU_DEP_1)
	v_fmac_f32_e32 v140, v142, v139
	v_fma_f32 v131, -v131, v140, v141
	s_delay_alu instid0(VALU_DEP_1) | instskip(NEXT) | instid1(VALU_DEP_1)
	v_div_fmas_f32 v131, v131, v139, v140
	v_div_fixup_f32 v131, v131, v132, v133
	s_delay_alu instid0(VALU_DEP_1) | instskip(NEXT) | instid1(VALU_DEP_1)
	v_fmac_f32_e32 v132, v133, v131
	v_div_scale_f32 v133, null, v132, v132, 1.0
	s_delay_alu instid0(VALU_DEP_1) | instskip(SKIP_1) | instid1(TRANS32_DEP_1)
	v_rcp_f32_e32 v139, v133
	v_nop
	v_fma_f32 v140, -v133, v139, 1.0
	s_delay_alu instid0(VALU_DEP_1) | instskip(SKIP_1) | instid1(VALU_DEP_1)
	v_fmac_f32_e32 v139, v140, v139
	v_div_scale_f32 v140, vcc_lo, 1.0, v132, 1.0
	v_mul_f32_e32 v141, v140, v139
	s_delay_alu instid0(VALU_DEP_1) | instskip(NEXT) | instid1(VALU_DEP_1)
	v_fma_f32 v142, -v133, v141, v140
	v_fmac_f32_e32 v141, v142, v139
	s_delay_alu instid0(VALU_DEP_1) | instskip(NEXT) | instid1(VALU_DEP_1)
	v_fma_f32 v133, -v133, v141, v140
	v_div_fmas_f32 v133, v133, v139, v141
	s_delay_alu instid0(VALU_DEP_1) | instskip(NEXT) | instid1(VALU_DEP_1)
	v_div_fixup_f32 v132, v133, v132, 1.0
	v_mul_f32_e64 v133, v131, -v132
.LBB122_219:
	s_or_b32 exec_lo, exec_lo, s1
.LBB122_220:
	s_delay_alu instid0(SALU_CYCLE_1) | instskip(NEXT) | instid1(SALU_CYCLE_1)
	s_or_b32 exec_lo, exec_lo, s0
	s_mov_b32 s0, exec_lo
	v_cmpx_ne_u32_e64 v138, v130
	s_xor_b32 s0, exec_lo, s0
	s_cbranch_execz .LBB122_226
; %bb.221:
	s_mov_b32 s1, exec_lo
	v_cmpx_eq_u32_e32 10, v138
	s_cbranch_execz .LBB122_225
; %bb.222:
	v_cmp_ne_u32_e32 vcc_lo, 10, v130
	s_xor_b32 s12, s16, -1
	s_delay_alu instid0(SALU_CYCLE_1) | instskip(NEXT) | instid1(SALU_CYCLE_1)
	s_and_b32 s13, s12, vcc_lo
	s_and_saveexec_b32 s12, s13
	s_cbranch_execz .LBB122_224
; %bb.223:
	v_ashrrev_i32_e32 v131, 31, v130
	s_delay_alu instid0(VALU_DEP_1)
	v_lshl_add_u64 v[138:139], v[130:131], 2, v[4:5]
	s_clause 0x1
	global_load_b32 v131, v[138:139], off
	global_load_b32 v137, v[4:5], off offset:40
	s_wait_loadcnt 0x1
	global_store_b32 v[4:5], v131, off offset:40
	s_wait_loadcnt 0x0
	global_store_b32 v[138:139], v137, off
.LBB122_224:
	s_wait_xcnt 0x0
	s_or_b32 exec_lo, exec_lo, s12
	v_dual_mov_b32 v138, v130 :: v_dual_mov_b32 v137, v130
.LBB122_225:
	s_or_b32 exec_lo, exec_lo, s1
.LBB122_226:
	s_and_not1_saveexec_b32 s0, s0
	s_cbranch_execz .LBB122_228
; %bb.227:
	v_mov_b32_e32 v138, 10
	ds_store_2addr_b64 v134, v[82:83], v[114:115] offset0:11 offset1:12
	ds_store_2addr_b64 v134, v[78:79], v[80:81] offset0:13 offset1:14
	;; [unrolled: 1-line block ×25, first 2 shown]
	ds_store_b64 v134, v[128:129] offset:488
.LBB122_228:
	s_or_b32 exec_lo, exec_lo, s0
	s_delay_alu instid0(SALU_CYCLE_1)
	s_mov_b32 s0, exec_lo
	s_wait_storecnt_dscnt 0x0
	s_barrier_signal -1
	s_barrier_wait -1
	v_cmpx_lt_i32_e32 10, v138
	s_cbranch_execz .LBB122_230
; %bb.229:
	v_pk_mul_f32 v[140:141], v[132:133], v[88:89] op_sel:[1,1] op_sel_hi:[0,1]
	s_delay_alu instid0(VALU_DEP_1)
	v_pk_fma_f32 v[130:131], v[132:133], v[88:89], v[140:141] op_sel_hi:[1,0,1] neg_lo:[0,0,1] neg_hi:[0,0,1]
	v_pk_fma_f32 v[132:133], v[132:133], v[88:89], v[140:141] op_sel_hi:[1,0,1]
	ds_load_2addr_b64 v[140:143], v134 offset0:11 offset1:12
	v_dual_mov_b32 v88, v130 :: v_dual_mov_b32 v89, v133
	s_wait_dscnt 0x0
	v_pk_mul_f32 v[144:145], v[140:141], v[132:133] op_sel:[0,1]
	s_delay_alu instid0(VALU_DEP_1) | instskip(SKIP_1) | instid1(VALU_DEP_1)
	v_pk_fma_f32 v[146:147], v[140:141], v[130:131], v[144:145] op_sel:[0,0,1] op_sel_hi:[1,1,0] neg_lo:[0,0,1] neg_hi:[0,0,1]
	v_pk_fma_f32 v[140:141], v[140:141], v[130:131], v[144:145] op_sel:[0,0,1] op_sel_hi:[1,0,0]
	v_mov_b32_e32 v147, v141
	v_pk_mul_f32 v[140:141], v[142:143], v[132:133] op_sel:[0,1]
	s_delay_alu instid0(VALU_DEP_1) | instskip(SKIP_1) | instid1(VALU_DEP_1)
	v_pk_fma_f32 v[144:145], v[142:143], v[130:131], v[140:141] op_sel:[0,0,1] op_sel_hi:[1,1,0] neg_lo:[0,0,1] neg_hi:[0,0,1]
	v_pk_fma_f32 v[140:141], v[142:143], v[130:131], v[140:141] op_sel:[0,0,1] op_sel_hi:[1,0,0]
	v_mov_b32_e32 v145, v141
	ds_load_2addr_b64 v[140:143], v134 offset0:13 offset1:14
	v_pk_add_f32 v[82:83], v[82:83], v[146:147] neg_lo:[0,1] neg_hi:[0,1]
	v_pk_add_f32 v[114:115], v[114:115], v[144:145] neg_lo:[0,1] neg_hi:[0,1]
	s_wait_dscnt 0x0
	v_pk_mul_f32 v[144:145], v[140:141], v[132:133] op_sel:[0,1]
	s_delay_alu instid0(VALU_DEP_1) | instskip(SKIP_2) | instid1(VALU_DEP_2)
	v_pk_fma_f32 v[146:147], v[140:141], v[130:131], v[144:145] op_sel:[0,0,1] op_sel_hi:[1,1,0] neg_lo:[0,0,1] neg_hi:[0,0,1]
	v_pk_fma_f32 v[140:141], v[140:141], v[130:131], v[144:145] op_sel:[0,0,1] op_sel_hi:[1,0,0]
	v_dual_mul_f32 v144, v143, v133 :: v_dual_mov_b32 v140, v143
	v_dual_mov_b32 v147, v141 :: v_dual_mov_b32 v141, v142
	s_delay_alu instid0(VALU_DEP_2) | instskip(SKIP_1) | instid1(VALU_DEP_3)
	v_pk_fma_f32 v[144:145], v[142:143], v[88:89], v[144:145] op_sel_hi:[1,1,0] neg_lo:[0,0,1] neg_hi:[0,0,1]
	v_mul_f32_e32 v142, v143, v130
	v_pk_add_f32 v[78:79], v[78:79], v[146:147] neg_lo:[0,1] neg_hi:[0,1]
	s_delay_alu instid0(VALU_DEP_2) | instskip(NEXT) | instid1(VALU_DEP_1)
	v_pk_fma_f32 v[140:141], v[140:141], v[88:89], v[142:143] op_sel_hi:[1,1,0]
	v_mov_b32_e32 v145, v141
	ds_load_2addr_b64 v[140:143], v134 offset0:15 offset1:16
	v_pk_add_f32 v[80:81], v[80:81], v[144:145] neg_lo:[0,1] neg_hi:[0,1]
	s_wait_dscnt 0x0
	v_pk_mul_f32 v[144:145], v[140:141], v[132:133] op_sel:[0,1]
	s_delay_alu instid0(VALU_DEP_1) | instskip(SKIP_1) | instid1(VALU_DEP_1)
	v_pk_fma_f32 v[146:147], v[140:141], v[130:131], v[144:145] op_sel:[0,0,1] op_sel_hi:[1,1,0] neg_lo:[0,0,1] neg_hi:[0,0,1]
	v_pk_fma_f32 v[140:141], v[140:141], v[130:131], v[144:145] op_sel:[0,0,1] op_sel_hi:[1,0,0]
	v_mov_b32_e32 v147, v141
	v_pk_mul_f32 v[140:141], v[142:143], v[132:133] op_sel:[0,1]
	s_delay_alu instid0(VALU_DEP_1) | instskip(SKIP_1) | instid1(VALU_DEP_1)
	v_pk_fma_f32 v[144:145], v[142:143], v[130:131], v[140:141] op_sel:[0,0,1] op_sel_hi:[1,1,0] neg_lo:[0,0,1] neg_hi:[0,0,1]
	v_pk_fma_f32 v[140:141], v[142:143], v[130:131], v[140:141] op_sel:[0,0,1] op_sel_hi:[1,0,0]
	v_mov_b32_e32 v145, v141
	ds_load_2addr_b64 v[140:143], v134 offset0:17 offset1:18
	v_pk_add_f32 v[76:77], v[76:77], v[146:147] neg_lo:[0,1] neg_hi:[0,1]
	v_pk_add_f32 v[112:113], v[112:113], v[144:145] neg_lo:[0,1] neg_hi:[0,1]
	s_wait_dscnt 0x0
	v_pk_mul_f32 v[144:145], v[140:141], v[132:133] op_sel:[0,1]
	s_delay_alu instid0(VALU_DEP_1) | instskip(SKIP_1) | instid1(VALU_DEP_1)
	v_pk_fma_f32 v[146:147], v[140:141], v[130:131], v[144:145] op_sel:[0,0,1] op_sel_hi:[1,1,0] neg_lo:[0,0,1] neg_hi:[0,0,1]
	v_pk_fma_f32 v[140:141], v[140:141], v[130:131], v[144:145] op_sel:[0,0,1] op_sel_hi:[1,0,0]
	v_mov_b32_e32 v147, v141
	v_pk_mul_f32 v[140:141], v[142:143], v[132:133] op_sel:[0,1]
	s_delay_alu instid0(VALU_DEP_1) | instskip(SKIP_1) | instid1(VALU_DEP_1)
	v_pk_fma_f32 v[144:145], v[142:143], v[130:131], v[140:141] op_sel:[0,0,1] op_sel_hi:[1,1,0] neg_lo:[0,0,1] neg_hi:[0,0,1]
	v_pk_fma_f32 v[140:141], v[142:143], v[130:131], v[140:141] op_sel:[0,0,1] op_sel_hi:[1,0,0]
	v_mov_b32_e32 v145, v141
	ds_load_2addr_b64 v[140:143], v134 offset0:19 offset1:20
	v_pk_add_f32 v[72:73], v[72:73], v[146:147] neg_lo:[0,1] neg_hi:[0,1]
	v_pk_add_f32 v[74:75], v[74:75], v[144:145] neg_lo:[0,1] neg_hi:[0,1]
	s_wait_dscnt 0x0
	v_dual_mul_f32 v144, v141, v133 :: v_dual_mul_f32 v146, v141, v130
	s_delay_alu instid0(VALU_DEP_1) | instskip(NEXT) | instid1(VALU_DEP_2)
	v_pk_fma_f32 v[144:145], v[140:141], v[88:89], v[144:145] op_sel_hi:[1,1,0] neg_lo:[0,0,1] neg_hi:[0,0,1]
	v_pk_fma_f32 v[140:141], v[140:141], v[88:89], v[146:147] op_sel:[1,0,0] op_sel_hi:[0,1,0]
	s_delay_alu instid0(VALU_DEP_1) | instskip(SKIP_1) | instid1(VALU_DEP_2)
	v_mov_b32_e32 v145, v141
	v_pk_mul_f32 v[140:141], v[142:143], v[132:133] op_sel:[0,1]
	v_pk_add_f32 v[70:71], v[70:71], v[144:145] neg_lo:[0,1] neg_hi:[0,1]
	s_delay_alu instid0(VALU_DEP_2) | instskip(SKIP_1) | instid1(VALU_DEP_1)
	v_pk_fma_f32 v[144:145], v[142:143], v[130:131], v[140:141] op_sel:[0,0,1] op_sel_hi:[1,1,0] neg_lo:[0,0,1] neg_hi:[0,0,1]
	v_pk_fma_f32 v[140:141], v[142:143], v[130:131], v[140:141] op_sel:[0,0,1] op_sel_hi:[1,0,0]
	v_mov_b32_e32 v145, v141
	ds_load_2addr_b64 v[140:143], v134 offset0:21 offset1:22
	v_pk_add_f32 v[110:111], v[110:111], v[144:145] neg_lo:[0,1] neg_hi:[0,1]
	s_wait_dscnt 0x0
	v_pk_mul_f32 v[144:145], v[140:141], v[132:133] op_sel:[0,1]
	s_delay_alu instid0(VALU_DEP_1) | instskip(SKIP_1) | instid1(VALU_DEP_1)
	v_pk_fma_f32 v[146:147], v[140:141], v[130:131], v[144:145] op_sel:[0,0,1] op_sel_hi:[1,1,0] neg_lo:[0,0,1] neg_hi:[0,0,1]
	v_pk_fma_f32 v[140:141], v[140:141], v[130:131], v[144:145] op_sel:[0,0,1] op_sel_hi:[1,0,0]
	v_mov_b32_e32 v147, v141
	v_pk_mul_f32 v[140:141], v[142:143], v[132:133] op_sel:[0,1]
	s_delay_alu instid0(VALU_DEP_2) | instskip(NEXT) | instid1(VALU_DEP_2)
	v_pk_add_f32 v[66:67], v[66:67], v[146:147] neg_lo:[0,1] neg_hi:[0,1]
	v_pk_fma_f32 v[144:145], v[142:143], v[130:131], v[140:141] op_sel:[0,0,1] op_sel_hi:[1,1,0] neg_lo:[0,0,1] neg_hi:[0,0,1]
	v_pk_fma_f32 v[140:141], v[142:143], v[130:131], v[140:141] op_sel:[0,0,1] op_sel_hi:[1,0,0]
	s_delay_alu instid0(VALU_DEP_1) | instskip(SKIP_4) | instid1(VALU_DEP_1)
	v_mov_b32_e32 v145, v141
	ds_load_2addr_b64 v[140:143], v134 offset0:23 offset1:24
	v_pk_add_f32 v[68:69], v[68:69], v[144:145] neg_lo:[0,1] neg_hi:[0,1]
	s_wait_dscnt 0x0
	v_pk_mul_f32 v[144:145], v[140:141], v[132:133] op_sel:[0,1]
	v_pk_fma_f32 v[146:147], v[140:141], v[130:131], v[144:145] op_sel:[0,0,1] op_sel_hi:[1,1,0] neg_lo:[0,0,1] neg_hi:[0,0,1]
	v_pk_fma_f32 v[140:141], v[140:141], v[130:131], v[144:145] op_sel:[0,0,1] op_sel_hi:[1,0,0]
	v_dual_mul_f32 v144, v143, v133 :: v_dual_mov_b32 v140, v143
	s_delay_alu instid0(VALU_DEP_2) | instskip(NEXT) | instid1(VALU_DEP_2)
	v_dual_mov_b32 v147, v141 :: v_dual_mov_b32 v141, v142
	v_pk_fma_f32 v[144:145], v[142:143], v[88:89], v[144:145] op_sel_hi:[1,1,0] neg_lo:[0,0,1] neg_hi:[0,0,1]
	v_mul_f32_e32 v142, v143, v130
	s_delay_alu instid0(VALU_DEP_3) | instskip(NEXT) | instid1(VALU_DEP_2)
	v_pk_add_f32 v[64:65], v[64:65], v[146:147] neg_lo:[0,1] neg_hi:[0,1]
	v_pk_fma_f32 v[140:141], v[140:141], v[88:89], v[142:143] op_sel_hi:[1,1,0]
	s_delay_alu instid0(VALU_DEP_1) | instskip(SKIP_4) | instid1(VALU_DEP_1)
	v_mov_b32_e32 v145, v141
	ds_load_2addr_b64 v[140:143], v134 offset0:25 offset1:26
	v_pk_add_f32 v[108:109], v[108:109], v[144:145] neg_lo:[0,1] neg_hi:[0,1]
	s_wait_dscnt 0x0
	v_pk_mul_f32 v[144:145], v[140:141], v[132:133] op_sel:[0,1]
	v_pk_fma_f32 v[146:147], v[140:141], v[130:131], v[144:145] op_sel:[0,0,1] op_sel_hi:[1,1,0] neg_lo:[0,0,1] neg_hi:[0,0,1]
	v_pk_fma_f32 v[140:141], v[140:141], v[130:131], v[144:145] op_sel:[0,0,1] op_sel_hi:[1,0,0]
	s_delay_alu instid0(VALU_DEP_1) | instskip(SKIP_1) | instid1(VALU_DEP_1)
	v_mov_b32_e32 v147, v141
	v_pk_mul_f32 v[140:141], v[142:143], v[132:133] op_sel:[0,1]
	v_pk_fma_f32 v[144:145], v[142:143], v[130:131], v[140:141] op_sel:[0,0,1] op_sel_hi:[1,1,0] neg_lo:[0,0,1] neg_hi:[0,0,1]
	v_pk_fma_f32 v[140:141], v[142:143], v[130:131], v[140:141] op_sel:[0,0,1] op_sel_hi:[1,0,0]
	s_delay_alu instid0(VALU_DEP_1)
	v_mov_b32_e32 v145, v141
	ds_load_2addr_b64 v[140:143], v134 offset0:27 offset1:28
	v_pk_add_f32 v[60:61], v[60:61], v[146:147] neg_lo:[0,1] neg_hi:[0,1]
	v_pk_add_f32 v[62:63], v[62:63], v[144:145] neg_lo:[0,1] neg_hi:[0,1]
	s_wait_dscnt 0x0
	v_pk_mul_f32 v[144:145], v[140:141], v[132:133] op_sel:[0,1]
	s_delay_alu instid0(VALU_DEP_1) | instskip(SKIP_1) | instid1(VALU_DEP_1)
	v_pk_fma_f32 v[146:147], v[140:141], v[130:131], v[144:145] op_sel:[0,0,1] op_sel_hi:[1,1,0] neg_lo:[0,0,1] neg_hi:[0,0,1]
	v_pk_fma_f32 v[140:141], v[140:141], v[130:131], v[144:145] op_sel:[0,0,1] op_sel_hi:[1,0,0]
	v_mov_b32_e32 v147, v141
	v_pk_mul_f32 v[140:141], v[142:143], v[132:133] op_sel:[0,1]
	s_delay_alu instid0(VALU_DEP_1) | instskip(SKIP_1) | instid1(VALU_DEP_1)
	v_pk_fma_f32 v[144:145], v[142:143], v[130:131], v[140:141] op_sel:[0,0,1] op_sel_hi:[1,1,0] neg_lo:[0,0,1] neg_hi:[0,0,1]
	v_pk_fma_f32 v[140:141], v[142:143], v[130:131], v[140:141] op_sel:[0,0,1] op_sel_hi:[1,0,0]
	v_mov_b32_e32 v145, v141
	ds_load_2addr_b64 v[140:143], v134 offset0:29 offset1:30
	v_pk_add_f32 v[58:59], v[58:59], v[146:147] neg_lo:[0,1] neg_hi:[0,1]
	v_pk_add_f32 v[106:107], v[106:107], v[144:145] neg_lo:[0,1] neg_hi:[0,1]
	s_wait_dscnt 0x0
	v_dual_mul_f32 v144, v141, v133 :: v_dual_mul_f32 v146, v141, v130
	s_delay_alu instid0(VALU_DEP_1) | instskip(NEXT) | instid1(VALU_DEP_2)
	v_pk_fma_f32 v[144:145], v[140:141], v[88:89], v[144:145] op_sel_hi:[1,1,0] neg_lo:[0,0,1] neg_hi:[0,0,1]
	v_pk_fma_f32 v[140:141], v[140:141], v[88:89], v[146:147] op_sel:[1,0,0] op_sel_hi:[0,1,0]
	s_delay_alu instid0(VALU_DEP_1) | instskip(SKIP_1) | instid1(VALU_DEP_2)
	v_mov_b32_e32 v145, v141
	v_pk_mul_f32 v[140:141], v[142:143], v[132:133] op_sel:[0,1]
	v_pk_add_f32 v[54:55], v[54:55], v[144:145] neg_lo:[0,1] neg_hi:[0,1]
	s_delay_alu instid0(VALU_DEP_2) | instskip(SKIP_1) | instid1(VALU_DEP_1)
	v_pk_fma_f32 v[144:145], v[142:143], v[130:131], v[140:141] op_sel:[0,0,1] op_sel_hi:[1,1,0] neg_lo:[0,0,1] neg_hi:[0,0,1]
	v_pk_fma_f32 v[140:141], v[142:143], v[130:131], v[140:141] op_sel:[0,0,1] op_sel_hi:[1,0,0]
	v_mov_b32_e32 v145, v141
	ds_load_2addr_b64 v[140:143], v134 offset0:31 offset1:32
	v_pk_add_f32 v[56:57], v[56:57], v[144:145] neg_lo:[0,1] neg_hi:[0,1]
	s_wait_dscnt 0x0
	v_pk_mul_f32 v[144:145], v[140:141], v[132:133] op_sel:[0,1]
	s_delay_alu instid0(VALU_DEP_1) | instskip(SKIP_1) | instid1(VALU_DEP_1)
	v_pk_fma_f32 v[146:147], v[140:141], v[130:131], v[144:145] op_sel:[0,0,1] op_sel_hi:[1,1,0] neg_lo:[0,0,1] neg_hi:[0,0,1]
	v_pk_fma_f32 v[140:141], v[140:141], v[130:131], v[144:145] op_sel:[0,0,1] op_sel_hi:[1,0,0]
	v_mov_b32_e32 v147, v141
	v_pk_mul_f32 v[140:141], v[142:143], v[132:133] op_sel:[0,1]
	s_delay_alu instid0(VALU_DEP_2) | instskip(NEXT) | instid1(VALU_DEP_2)
	v_pk_add_f32 v[52:53], v[52:53], v[146:147] neg_lo:[0,1] neg_hi:[0,1]
	v_pk_fma_f32 v[144:145], v[142:143], v[130:131], v[140:141] op_sel:[0,0,1] op_sel_hi:[1,1,0] neg_lo:[0,0,1] neg_hi:[0,0,1]
	v_pk_fma_f32 v[140:141], v[142:143], v[130:131], v[140:141] op_sel:[0,0,1] op_sel_hi:[1,0,0]
	s_delay_alu instid0(VALU_DEP_1) | instskip(SKIP_4) | instid1(VALU_DEP_1)
	v_mov_b32_e32 v145, v141
	ds_load_2addr_b64 v[140:143], v134 offset0:33 offset1:34
	v_pk_add_f32 v[104:105], v[104:105], v[144:145] neg_lo:[0,1] neg_hi:[0,1]
	s_wait_dscnt 0x0
	v_pk_mul_f32 v[144:145], v[140:141], v[132:133] op_sel:[0,1]
	v_pk_fma_f32 v[146:147], v[140:141], v[130:131], v[144:145] op_sel:[0,0,1] op_sel_hi:[1,1,0] neg_lo:[0,0,1] neg_hi:[0,0,1]
	v_pk_fma_f32 v[140:141], v[140:141], v[130:131], v[144:145] op_sel:[0,0,1] op_sel_hi:[1,0,0]
	v_dual_mul_f32 v144, v143, v133 :: v_dual_mov_b32 v140, v143
	s_delay_alu instid0(VALU_DEP_2) | instskip(NEXT) | instid1(VALU_DEP_2)
	v_dual_mov_b32 v147, v141 :: v_dual_mov_b32 v141, v142
	v_pk_fma_f32 v[144:145], v[142:143], v[88:89], v[144:145] op_sel_hi:[1,1,0] neg_lo:[0,0,1] neg_hi:[0,0,1]
	v_mul_f32_e32 v142, v143, v130
	s_delay_alu instid0(VALU_DEP_3) | instskip(NEXT) | instid1(VALU_DEP_2)
	v_pk_add_f32 v[48:49], v[48:49], v[146:147] neg_lo:[0,1] neg_hi:[0,1]
	v_pk_fma_f32 v[140:141], v[140:141], v[88:89], v[142:143] op_sel_hi:[1,1,0]
	s_delay_alu instid0(VALU_DEP_1) | instskip(SKIP_4) | instid1(VALU_DEP_1)
	v_mov_b32_e32 v145, v141
	ds_load_2addr_b64 v[140:143], v134 offset0:35 offset1:36
	v_pk_add_f32 v[50:51], v[50:51], v[144:145] neg_lo:[0,1] neg_hi:[0,1]
	s_wait_dscnt 0x0
	v_pk_mul_f32 v[144:145], v[140:141], v[132:133] op_sel:[0,1]
	v_pk_fma_f32 v[146:147], v[140:141], v[130:131], v[144:145] op_sel:[0,0,1] op_sel_hi:[1,1,0] neg_lo:[0,0,1] neg_hi:[0,0,1]
	v_pk_fma_f32 v[140:141], v[140:141], v[130:131], v[144:145] op_sel:[0,0,1] op_sel_hi:[1,0,0]
	s_delay_alu instid0(VALU_DEP_1) | instskip(SKIP_1) | instid1(VALU_DEP_1)
	v_mov_b32_e32 v147, v141
	v_pk_mul_f32 v[140:141], v[142:143], v[132:133] op_sel:[0,1]
	v_pk_fma_f32 v[144:145], v[142:143], v[130:131], v[140:141] op_sel:[0,0,1] op_sel_hi:[1,1,0] neg_lo:[0,0,1] neg_hi:[0,0,1]
	v_pk_fma_f32 v[140:141], v[142:143], v[130:131], v[140:141] op_sel:[0,0,1] op_sel_hi:[1,0,0]
	s_delay_alu instid0(VALU_DEP_1)
	v_mov_b32_e32 v145, v141
	ds_load_2addr_b64 v[140:143], v134 offset0:37 offset1:38
	v_pk_add_f32 v[46:47], v[46:47], v[146:147] neg_lo:[0,1] neg_hi:[0,1]
	v_pk_add_f32 v[102:103], v[102:103], v[144:145] neg_lo:[0,1] neg_hi:[0,1]
	s_wait_dscnt 0x0
	v_pk_mul_f32 v[144:145], v[140:141], v[132:133] op_sel:[0,1]
	s_delay_alu instid0(VALU_DEP_1) | instskip(SKIP_1) | instid1(VALU_DEP_1)
	v_pk_fma_f32 v[146:147], v[140:141], v[130:131], v[144:145] op_sel:[0,0,1] op_sel_hi:[1,1,0] neg_lo:[0,0,1] neg_hi:[0,0,1]
	v_pk_fma_f32 v[140:141], v[140:141], v[130:131], v[144:145] op_sel:[0,0,1] op_sel_hi:[1,0,0]
	v_mov_b32_e32 v147, v141
	v_pk_mul_f32 v[140:141], v[142:143], v[132:133] op_sel:[0,1]
	s_delay_alu instid0(VALU_DEP_1) | instskip(SKIP_1) | instid1(VALU_DEP_1)
	v_pk_fma_f32 v[144:145], v[142:143], v[130:131], v[140:141] op_sel:[0,0,1] op_sel_hi:[1,1,0] neg_lo:[0,0,1] neg_hi:[0,0,1]
	v_pk_fma_f32 v[140:141], v[142:143], v[130:131], v[140:141] op_sel:[0,0,1] op_sel_hi:[1,0,0]
	v_mov_b32_e32 v145, v141
	ds_load_2addr_b64 v[140:143], v134 offset0:39 offset1:40
	v_pk_add_f32 v[40:41], v[40:41], v[146:147] neg_lo:[0,1] neg_hi:[0,1]
	v_pk_add_f32 v[42:43], v[42:43], v[144:145] neg_lo:[0,1] neg_hi:[0,1]
	s_wait_dscnt 0x0
	v_dual_mul_f32 v144, v141, v133 :: v_dual_mul_f32 v146, v141, v130
	s_delay_alu instid0(VALU_DEP_1) | instskip(NEXT) | instid1(VALU_DEP_2)
	v_pk_fma_f32 v[144:145], v[140:141], v[88:89], v[144:145] op_sel_hi:[1,1,0] neg_lo:[0,0,1] neg_hi:[0,0,1]
	v_pk_fma_f32 v[140:141], v[140:141], v[88:89], v[146:147] op_sel:[1,0,0] op_sel_hi:[0,1,0]
	s_delay_alu instid0(VALU_DEP_1) | instskip(SKIP_1) | instid1(VALU_DEP_2)
	v_mov_b32_e32 v145, v141
	v_pk_mul_f32 v[140:141], v[142:143], v[132:133] op_sel:[0,1]
	v_pk_add_f32 v[38:39], v[38:39], v[144:145] neg_lo:[0,1] neg_hi:[0,1]
	s_delay_alu instid0(VALU_DEP_2) | instskip(SKIP_1) | instid1(VALU_DEP_1)
	v_pk_fma_f32 v[144:145], v[142:143], v[130:131], v[140:141] op_sel:[0,0,1] op_sel_hi:[1,1,0] neg_lo:[0,0,1] neg_hi:[0,0,1]
	v_pk_fma_f32 v[140:141], v[142:143], v[130:131], v[140:141] op_sel:[0,0,1] op_sel_hi:[1,0,0]
	v_mov_b32_e32 v145, v141
	ds_load_2addr_b64 v[140:143], v134 offset0:41 offset1:42
	v_pk_add_f32 v[100:101], v[100:101], v[144:145] neg_lo:[0,1] neg_hi:[0,1]
	s_wait_dscnt 0x0
	v_pk_mul_f32 v[144:145], v[140:141], v[132:133] op_sel:[0,1]
	s_delay_alu instid0(VALU_DEP_1) | instskip(SKIP_1) | instid1(VALU_DEP_1)
	v_pk_fma_f32 v[146:147], v[140:141], v[130:131], v[144:145] op_sel:[0,0,1] op_sel_hi:[1,1,0] neg_lo:[0,0,1] neg_hi:[0,0,1]
	v_pk_fma_f32 v[140:141], v[140:141], v[130:131], v[144:145] op_sel:[0,0,1] op_sel_hi:[1,0,0]
	v_mov_b32_e32 v147, v141
	v_pk_mul_f32 v[140:141], v[142:143], v[132:133] op_sel:[0,1]
	s_delay_alu instid0(VALU_DEP_2) | instskip(NEXT) | instid1(VALU_DEP_2)
	v_pk_add_f32 v[32:33], v[32:33], v[146:147] neg_lo:[0,1] neg_hi:[0,1]
	v_pk_fma_f32 v[144:145], v[142:143], v[130:131], v[140:141] op_sel:[0,0,1] op_sel_hi:[1,1,0] neg_lo:[0,0,1] neg_hi:[0,0,1]
	v_pk_fma_f32 v[140:141], v[142:143], v[130:131], v[140:141] op_sel:[0,0,1] op_sel_hi:[1,0,0]
	s_delay_alu instid0(VALU_DEP_1) | instskip(SKIP_4) | instid1(VALU_DEP_1)
	v_mov_b32_e32 v145, v141
	ds_load_2addr_b64 v[140:143], v134 offset0:43 offset1:44
	v_pk_add_f32 v[34:35], v[34:35], v[144:145] neg_lo:[0,1] neg_hi:[0,1]
	s_wait_dscnt 0x0
	v_pk_mul_f32 v[144:145], v[140:141], v[132:133] op_sel:[0,1]
	v_pk_fma_f32 v[146:147], v[140:141], v[130:131], v[144:145] op_sel:[0,0,1] op_sel_hi:[1,1,0] neg_lo:[0,0,1] neg_hi:[0,0,1]
	v_pk_fma_f32 v[140:141], v[140:141], v[130:131], v[144:145] op_sel:[0,0,1] op_sel_hi:[1,0,0]
	v_dual_mul_f32 v144, v143, v133 :: v_dual_mov_b32 v140, v143
	s_delay_alu instid0(VALU_DEP_2) | instskip(NEXT) | instid1(VALU_DEP_2)
	v_dual_mov_b32 v147, v141 :: v_dual_mov_b32 v141, v142
	v_pk_fma_f32 v[144:145], v[142:143], v[88:89], v[144:145] op_sel_hi:[1,1,0] neg_lo:[0,0,1] neg_hi:[0,0,1]
	v_mul_f32_e32 v142, v143, v130
	s_delay_alu instid0(VALU_DEP_3) | instskip(NEXT) | instid1(VALU_DEP_2)
	v_pk_add_f32 v[30:31], v[30:31], v[146:147] neg_lo:[0,1] neg_hi:[0,1]
	v_pk_fma_f32 v[140:141], v[140:141], v[88:89], v[142:143] op_sel_hi:[1,1,0]
	s_delay_alu instid0(VALU_DEP_1) | instskip(SKIP_4) | instid1(VALU_DEP_1)
	v_mov_b32_e32 v145, v141
	ds_load_2addr_b64 v[140:143], v134 offset0:45 offset1:46
	v_pk_add_f32 v[98:99], v[98:99], v[144:145] neg_lo:[0,1] neg_hi:[0,1]
	s_wait_dscnt 0x0
	v_pk_mul_f32 v[144:145], v[140:141], v[132:133] op_sel:[0,1]
	v_pk_fma_f32 v[146:147], v[140:141], v[130:131], v[144:145] op_sel:[0,0,1] op_sel_hi:[1,1,0] neg_lo:[0,0,1] neg_hi:[0,0,1]
	v_pk_fma_f32 v[140:141], v[140:141], v[130:131], v[144:145] op_sel:[0,0,1] op_sel_hi:[1,0,0]
	s_delay_alu instid0(VALU_DEP_1) | instskip(SKIP_1) | instid1(VALU_DEP_1)
	v_mov_b32_e32 v147, v141
	v_pk_mul_f32 v[140:141], v[142:143], v[132:133] op_sel:[0,1]
	v_pk_fma_f32 v[144:145], v[142:143], v[130:131], v[140:141] op_sel:[0,0,1] op_sel_hi:[1,1,0] neg_lo:[0,0,1] neg_hi:[0,0,1]
	v_pk_fma_f32 v[140:141], v[142:143], v[130:131], v[140:141] op_sel:[0,0,1] op_sel_hi:[1,0,0]
	s_delay_alu instid0(VALU_DEP_1)
	v_mov_b32_e32 v145, v141
	ds_load_2addr_b64 v[140:143], v134 offset0:47 offset1:48
	v_pk_add_f32 v[24:25], v[24:25], v[146:147] neg_lo:[0,1] neg_hi:[0,1]
	v_pk_add_f32 v[28:29], v[28:29], v[144:145] neg_lo:[0,1] neg_hi:[0,1]
	s_wait_dscnt 0x0
	v_pk_mul_f32 v[144:145], v[140:141], v[132:133] op_sel:[0,1]
	s_delay_alu instid0(VALU_DEP_1) | instskip(SKIP_1) | instid1(VALU_DEP_1)
	v_pk_fma_f32 v[146:147], v[140:141], v[130:131], v[144:145] op_sel:[0,0,1] op_sel_hi:[1,1,0] neg_lo:[0,0,1] neg_hi:[0,0,1]
	v_pk_fma_f32 v[140:141], v[140:141], v[130:131], v[144:145] op_sel:[0,0,1] op_sel_hi:[1,0,0]
	v_mov_b32_e32 v147, v141
	v_pk_mul_f32 v[140:141], v[142:143], v[132:133] op_sel:[0,1]
	s_delay_alu instid0(VALU_DEP_1) | instskip(SKIP_1) | instid1(VALU_DEP_1)
	v_pk_fma_f32 v[144:145], v[142:143], v[130:131], v[140:141] op_sel:[0,0,1] op_sel_hi:[1,1,0] neg_lo:[0,0,1] neg_hi:[0,0,1]
	v_pk_fma_f32 v[140:141], v[142:143], v[130:131], v[140:141] op_sel:[0,0,1] op_sel_hi:[1,0,0]
	v_mov_b32_e32 v145, v141
	ds_load_2addr_b64 v[140:143], v134 offset0:49 offset1:50
	v_pk_add_f32 v[22:23], v[22:23], v[146:147] neg_lo:[0,1] neg_hi:[0,1]
	v_pk_add_f32 v[96:97], v[96:97], v[144:145] neg_lo:[0,1] neg_hi:[0,1]
	s_wait_dscnt 0x0
	v_dual_mul_f32 v144, v141, v133 :: v_dual_mul_f32 v146, v141, v130
	s_delay_alu instid0(VALU_DEP_1) | instskip(NEXT) | instid1(VALU_DEP_2)
	v_pk_fma_f32 v[144:145], v[140:141], v[88:89], v[144:145] op_sel_hi:[1,1,0] neg_lo:[0,0,1] neg_hi:[0,0,1]
	v_pk_fma_f32 v[140:141], v[140:141], v[88:89], v[146:147] op_sel:[1,0,0] op_sel_hi:[0,1,0]
	s_delay_alu instid0(VALU_DEP_1) | instskip(SKIP_1) | instid1(VALU_DEP_2)
	v_mov_b32_e32 v145, v141
	v_pk_mul_f32 v[140:141], v[142:143], v[132:133] op_sel:[0,1]
	v_pk_add_f32 v[18:19], v[18:19], v[144:145] neg_lo:[0,1] neg_hi:[0,1]
	s_delay_alu instid0(VALU_DEP_2) | instskip(SKIP_1) | instid1(VALU_DEP_1)
	v_pk_fma_f32 v[144:145], v[142:143], v[130:131], v[140:141] op_sel:[0,0,1] op_sel_hi:[1,1,0] neg_lo:[0,0,1] neg_hi:[0,0,1]
	v_pk_fma_f32 v[140:141], v[142:143], v[130:131], v[140:141] op_sel:[0,0,1] op_sel_hi:[1,0,0]
	v_mov_b32_e32 v145, v141
	ds_load_2addr_b64 v[140:143], v134 offset0:51 offset1:52
	v_pk_add_f32 v[20:21], v[20:21], v[144:145] neg_lo:[0,1] neg_hi:[0,1]
	s_wait_dscnt 0x0
	v_pk_mul_f32 v[144:145], v[140:141], v[132:133] op_sel:[0,1]
	s_delay_alu instid0(VALU_DEP_1) | instskip(SKIP_1) | instid1(VALU_DEP_1)
	v_pk_fma_f32 v[146:147], v[140:141], v[130:131], v[144:145] op_sel:[0,0,1] op_sel_hi:[1,1,0] neg_lo:[0,0,1] neg_hi:[0,0,1]
	v_pk_fma_f32 v[140:141], v[140:141], v[130:131], v[144:145] op_sel:[0,0,1] op_sel_hi:[1,0,0]
	v_mov_b32_e32 v147, v141
	v_pk_mul_f32 v[140:141], v[142:143], v[132:133] op_sel:[0,1]
	s_delay_alu instid0(VALU_DEP_2) | instskip(NEXT) | instid1(VALU_DEP_2)
	v_pk_add_f32 v[36:37], v[36:37], v[146:147] neg_lo:[0,1] neg_hi:[0,1]
	v_pk_fma_f32 v[144:145], v[142:143], v[130:131], v[140:141] op_sel:[0,0,1] op_sel_hi:[1,1,0] neg_lo:[0,0,1] neg_hi:[0,0,1]
	v_pk_fma_f32 v[140:141], v[142:143], v[130:131], v[140:141] op_sel:[0,0,1] op_sel_hi:[1,0,0]
	s_delay_alu instid0(VALU_DEP_1) | instskip(SKIP_4) | instid1(VALU_DEP_1)
	v_mov_b32_e32 v145, v141
	ds_load_2addr_b64 v[140:143], v134 offset0:53 offset1:54
	v_pk_add_f32 v[86:87], v[86:87], v[144:145] neg_lo:[0,1] neg_hi:[0,1]
	s_wait_dscnt 0x0
	v_pk_mul_f32 v[144:145], v[140:141], v[132:133] op_sel:[0,1]
	v_pk_fma_f32 v[146:147], v[140:141], v[130:131], v[144:145] op_sel:[0,0,1] op_sel_hi:[1,1,0] neg_lo:[0,0,1] neg_hi:[0,0,1]
	v_pk_fma_f32 v[140:141], v[140:141], v[130:131], v[144:145] op_sel:[0,0,1] op_sel_hi:[1,0,0]
	v_dual_mul_f32 v144, v143, v133 :: v_dual_mov_b32 v140, v143
	s_delay_alu instid0(VALU_DEP_2) | instskip(NEXT) | instid1(VALU_DEP_2)
	v_dual_mov_b32 v147, v141 :: v_dual_mov_b32 v141, v142
	v_pk_fma_f32 v[144:145], v[142:143], v[88:89], v[144:145] op_sel_hi:[1,1,0] neg_lo:[0,0,1] neg_hi:[0,0,1]
	v_mul_f32_e32 v142, v143, v130
	s_delay_alu instid0(VALU_DEP_3) | instskip(NEXT) | instid1(VALU_DEP_2)
	v_pk_add_f32 v[10:11], v[10:11], v[146:147] neg_lo:[0,1] neg_hi:[0,1]
	v_pk_fma_f32 v[140:141], v[140:141], v[88:89], v[142:143] op_sel_hi:[1,1,0]
	s_delay_alu instid0(VALU_DEP_1) | instskip(SKIP_4) | instid1(VALU_DEP_1)
	v_mov_b32_e32 v145, v141
	ds_load_2addr_b64 v[140:143], v134 offset0:55 offset1:56
	v_pk_add_f32 v[12:13], v[12:13], v[144:145] neg_lo:[0,1] neg_hi:[0,1]
	s_wait_dscnt 0x0
	v_pk_mul_f32 v[144:145], v[140:141], v[132:133] op_sel:[0,1]
	v_pk_fma_f32 v[146:147], v[140:141], v[130:131], v[144:145] op_sel:[0,0,1] op_sel_hi:[1,1,0] neg_lo:[0,0,1] neg_hi:[0,0,1]
	v_pk_fma_f32 v[140:141], v[140:141], v[130:131], v[144:145] op_sel:[0,0,1] op_sel_hi:[1,0,0]
	s_delay_alu instid0(VALU_DEP_1) | instskip(SKIP_1) | instid1(VALU_DEP_1)
	v_mov_b32_e32 v147, v141
	v_pk_mul_f32 v[140:141], v[142:143], v[132:133] op_sel:[0,1]
	v_pk_fma_f32 v[144:145], v[142:143], v[130:131], v[140:141] op_sel:[0,0,1] op_sel_hi:[1,1,0] neg_lo:[0,0,1] neg_hi:[0,0,1]
	v_pk_fma_f32 v[140:141], v[142:143], v[130:131], v[140:141] op_sel:[0,0,1] op_sel_hi:[1,0,0]
	s_delay_alu instid0(VALU_DEP_1)
	v_mov_b32_e32 v145, v141
	ds_load_2addr_b64 v[140:143], v134 offset0:57 offset1:58
	v_pk_add_f32 v[8:9], v[8:9], v[146:147] neg_lo:[0,1] neg_hi:[0,1]
	v_pk_add_f32 v[44:45], v[44:45], v[144:145] neg_lo:[0,1] neg_hi:[0,1]
	s_wait_dscnt 0x0
	v_pk_mul_f32 v[144:145], v[140:141], v[132:133] op_sel:[0,1]
	s_delay_alu instid0(VALU_DEP_1) | instskip(SKIP_1) | instid1(VALU_DEP_1)
	v_pk_fma_f32 v[146:147], v[140:141], v[130:131], v[144:145] op_sel:[0,0,1] op_sel_hi:[1,1,0] neg_lo:[0,0,1] neg_hi:[0,0,1]
	v_pk_fma_f32 v[140:141], v[140:141], v[130:131], v[144:145] op_sel:[0,0,1] op_sel_hi:[1,0,0]
	v_mov_b32_e32 v147, v141
	v_pk_mul_f32 v[140:141], v[142:143], v[132:133] op_sel:[0,1]
	s_delay_alu instid0(VALU_DEP_1) | instskip(SKIP_1) | instid1(VALU_DEP_1)
	v_pk_fma_f32 v[144:145], v[142:143], v[130:131], v[140:141] op_sel:[0,0,1] op_sel_hi:[1,1,0] neg_lo:[0,0,1] neg_hi:[0,0,1]
	v_pk_fma_f32 v[140:141], v[142:143], v[130:131], v[140:141] op_sel:[0,0,1] op_sel_hi:[1,0,0]
	v_mov_b32_e32 v145, v141
	ds_load_2addr_b64 v[140:143], v134 offset0:59 offset1:60
	v_pk_add_f32 v[6:7], v[6:7], v[146:147] neg_lo:[0,1] neg_hi:[0,1]
	v_pk_add_f32 v[26:27], v[26:27], v[144:145] neg_lo:[0,1] neg_hi:[0,1]
	s_wait_dscnt 0x0
	v_dual_mul_f32 v144, v141, v133 :: v_dual_mul_f32 v146, v141, v130
	s_delay_alu instid0(VALU_DEP_1) | instskip(NEXT) | instid1(VALU_DEP_2)
	v_pk_fma_f32 v[144:145], v[140:141], v[88:89], v[144:145] op_sel_hi:[1,1,0] neg_lo:[0,0,1] neg_hi:[0,0,1]
	v_pk_fma_f32 v[140:141], v[140:141], v[88:89], v[146:147] op_sel:[1,0,0] op_sel_hi:[0,1,0]
	s_delay_alu instid0(VALU_DEP_1) | instskip(SKIP_1) | instid1(VALU_DEP_2)
	v_mov_b32_e32 v145, v141
	v_pk_mul_f32 v[140:141], v[142:143], v[132:133] op_sel:[0,1]
	v_pk_add_f32 v[16:17], v[16:17], v[144:145] neg_lo:[0,1] neg_hi:[0,1]
	s_delay_alu instid0(VALU_DEP_2) | instskip(SKIP_1) | instid1(VALU_DEP_1)
	v_pk_fma_f32 v[144:145], v[142:143], v[130:131], v[140:141] op_sel:[0,0,1] op_sel_hi:[1,1,0] neg_lo:[0,0,1] neg_hi:[0,0,1]
	v_pk_fma_f32 v[140:141], v[142:143], v[130:131], v[140:141] op_sel:[0,0,1] op_sel_hi:[1,0,0]
	v_mov_b32_e32 v145, v141
	ds_load_b64 v[140:141], v134 offset:488
	v_pk_add_f32 v[14:15], v[14:15], v[144:145] neg_lo:[0,1] neg_hi:[0,1]
	s_wait_dscnt 0x0
	v_pk_mul_f32 v[132:133], v[140:141], v[132:133] op_sel:[0,1]
	s_delay_alu instid0(VALU_DEP_1) | instskip(SKIP_1) | instid1(VALU_DEP_1)
	v_pk_fma_f32 v[142:143], v[140:141], v[130:131], v[132:133] op_sel:[0,0,1] op_sel_hi:[1,1,0] neg_lo:[0,0,1] neg_hi:[0,0,1]
	v_pk_fma_f32 v[130:131], v[140:141], v[130:131], v[132:133] op_sel:[0,0,1] op_sel_hi:[1,0,0]
	v_mov_b32_e32 v143, v131
	s_delay_alu instid0(VALU_DEP_1)
	v_pk_add_f32 v[128:129], v[128:129], v[142:143] neg_lo:[0,1] neg_hi:[0,1]
.LBB122_230:
	s_or_b32 exec_lo, exec_lo, s0
	v_lshl_add_u32 v130, v138, 3, v134
	s_barrier_signal -1
	s_barrier_wait -1
	ds_store_b64 v130, v[82:83]
	s_wait_dscnt 0x0
	s_barrier_signal -1
	s_barrier_wait -1
	ds_load_b64 v[132:133], v134 offset:88
	v_mov_b32_e32 v130, 11
	s_cmp_lt_i32 s18, 13
	s_cbranch_scc1 .LBB122_233
; %bb.231:
	v_add3_u32 v131, v135, 0, 0x60
	v_mov_b32_e32 v130, 11
	s_mov_b32 s0, 12
.LBB122_232:                            ; =>This Inner Loop Header: Depth=1
	ds_load_b64 v[140:141], v131
	s_wait_dscnt 0x1
	v_cmp_gt_f32_e32 vcc_lo, 0, v132
	v_cndmask_b32_e64 v142, v132, -v132, vcc_lo
	v_cmp_gt_f32_e32 vcc_lo, 0, v133
	v_cndmask_b32_e64 v144, v133, -v133, vcc_lo
	s_wait_dscnt 0x0
	v_cmp_gt_f32_e32 vcc_lo, 0, v140
	v_cndmask_b32_e64 v143, v140, -v140, vcc_lo
	v_cmp_gt_f32_e32 vcc_lo, 0, v141
	v_cndmask_b32_e64 v145, v141, -v141, vcc_lo
	s_delay_alu instid0(VALU_DEP_1) | instskip(NEXT) | instid1(VALU_DEP_1)
	v_pk_add_f32 v[142:143], v[142:143], v[144:145]
	v_cmp_lt_f32_e32 vcc_lo, v142, v143
	v_dual_add_nc_u32 v131, 8, v131 :: v_dual_cndmask_b32 v133, v133, v141, vcc_lo
	v_cndmask_b32_e32 v132, v132, v140, vcc_lo
	v_cndmask_b32_e64 v130, v130, s0, vcc_lo
	s_add_co_i32 s0, s0, 1
	s_delay_alu instid0(SALU_CYCLE_1)
	s_cmp_lg_u32 s18, s0
	s_cbranch_scc1 .LBB122_232
.LBB122_233:
	s_wait_dscnt 0x0
	v_cmp_eq_f32_e32 vcc_lo, 0, v132
	v_cmp_eq_f32_e64 s0, 0, v133
	s_and_b32 s0, vcc_lo, s0
	s_delay_alu instid0(SALU_CYCLE_1) | instskip(NEXT) | instid1(SALU_CYCLE_1)
	s_and_saveexec_b32 s1, s0
	s_xor_b32 s0, exec_lo, s1
; %bb.234:
	v_cmp_ne_u32_e32 vcc_lo, 0, v136
	v_cndmask_b32_e32 v136, 12, v136, vcc_lo
; %bb.235:
	s_and_not1_saveexec_b32 s0, s0
	s_cbranch_execz .LBB122_241
; %bb.236:
	v_cmp_ngt_f32_e64 s1, |v132|, |v133|
	s_and_saveexec_b32 s12, s1
	s_delay_alu instid0(SALU_CYCLE_1)
	s_xor_b32 s1, exec_lo, s12
	s_cbranch_execz .LBB122_238
; %bb.237:
	v_div_scale_f32 v131, null, v133, v133, v132
	v_div_scale_f32 v141, vcc_lo, v132, v133, v132
	s_delay_alu instid0(VALU_DEP_2) | instskip(SKIP_1) | instid1(TRANS32_DEP_1)
	v_rcp_f32_e32 v139, v131
	v_nop
	v_fma_f32 v140, -v131, v139, 1.0
	s_delay_alu instid0(VALU_DEP_1) | instskip(NEXT) | instid1(VALU_DEP_1)
	v_fmac_f32_e32 v139, v140, v139
	v_mul_f32_e32 v140, v141, v139
	s_delay_alu instid0(VALU_DEP_1) | instskip(NEXT) | instid1(VALU_DEP_1)
	v_fma_f32 v142, -v131, v140, v141
	v_fmac_f32_e32 v140, v142, v139
	s_delay_alu instid0(VALU_DEP_1) | instskip(NEXT) | instid1(VALU_DEP_1)
	v_fma_f32 v131, -v131, v140, v141
	v_div_fmas_f32 v131, v131, v139, v140
	s_delay_alu instid0(VALU_DEP_1) | instskip(NEXT) | instid1(VALU_DEP_1)
	v_div_fixup_f32 v131, v131, v133, v132
	v_fmac_f32_e32 v133, v132, v131
	s_delay_alu instid0(VALU_DEP_1) | instskip(SKIP_1) | instid1(VALU_DEP_2)
	v_div_scale_f32 v132, null, v133, v133, 1.0
	v_div_scale_f32 v141, vcc_lo, 1.0, v133, 1.0
	v_rcp_f32_e32 v139, v132
	v_nop
	s_delay_alu instid0(TRANS32_DEP_1) | instskip(NEXT) | instid1(VALU_DEP_1)
	v_fma_f32 v140, -v132, v139, 1.0
	v_fmac_f32_e32 v139, v140, v139
	s_delay_alu instid0(VALU_DEP_1) | instskip(NEXT) | instid1(VALU_DEP_1)
	v_mul_f32_e32 v140, v141, v139
	v_fma_f32 v142, -v132, v140, v141
	s_delay_alu instid0(VALU_DEP_1) | instskip(NEXT) | instid1(VALU_DEP_1)
	v_fmac_f32_e32 v140, v142, v139
	v_fma_f32 v132, -v132, v140, v141
	s_delay_alu instid0(VALU_DEP_1) | instskip(NEXT) | instid1(VALU_DEP_1)
	v_div_fmas_f32 v132, v132, v139, v140
	v_div_fixup_f32 v133, v132, v133, 1.0
	s_delay_alu instid0(VALU_DEP_1)
	v_mul_f32_e32 v132, v131, v133
	v_xor_b32_e32 v133, 0x80000000, v133
.LBB122_238:
	s_and_not1_saveexec_b32 s1, s1
	s_cbranch_execz .LBB122_240
; %bb.239:
	s_delay_alu instid0(VALU_DEP_1) | instskip(SKIP_1) | instid1(VALU_DEP_2)
	v_div_scale_f32 v131, null, v132, v132, v133
	v_div_scale_f32 v141, vcc_lo, v133, v132, v133
	v_rcp_f32_e32 v139, v131
	v_nop
	s_delay_alu instid0(TRANS32_DEP_1) | instskip(NEXT) | instid1(VALU_DEP_1)
	v_fma_f32 v140, -v131, v139, 1.0
	v_fmac_f32_e32 v139, v140, v139
	s_delay_alu instid0(VALU_DEP_1) | instskip(NEXT) | instid1(VALU_DEP_1)
	v_mul_f32_e32 v140, v141, v139
	v_fma_f32 v142, -v131, v140, v141
	s_delay_alu instid0(VALU_DEP_1) | instskip(NEXT) | instid1(VALU_DEP_1)
	v_fmac_f32_e32 v140, v142, v139
	v_fma_f32 v131, -v131, v140, v141
	s_delay_alu instid0(VALU_DEP_1) | instskip(NEXT) | instid1(VALU_DEP_1)
	v_div_fmas_f32 v131, v131, v139, v140
	v_div_fixup_f32 v131, v131, v132, v133
	s_delay_alu instid0(VALU_DEP_1) | instskip(NEXT) | instid1(VALU_DEP_1)
	v_fmac_f32_e32 v132, v133, v131
	v_div_scale_f32 v133, null, v132, v132, 1.0
	s_delay_alu instid0(VALU_DEP_1) | instskip(SKIP_1) | instid1(TRANS32_DEP_1)
	v_rcp_f32_e32 v139, v133
	v_nop
	v_fma_f32 v140, -v133, v139, 1.0
	s_delay_alu instid0(VALU_DEP_1) | instskip(SKIP_1) | instid1(VALU_DEP_1)
	v_fmac_f32_e32 v139, v140, v139
	v_div_scale_f32 v140, vcc_lo, 1.0, v132, 1.0
	v_mul_f32_e32 v141, v140, v139
	s_delay_alu instid0(VALU_DEP_1) | instskip(NEXT) | instid1(VALU_DEP_1)
	v_fma_f32 v142, -v133, v141, v140
	v_fmac_f32_e32 v141, v142, v139
	s_delay_alu instid0(VALU_DEP_1) | instskip(NEXT) | instid1(VALU_DEP_1)
	v_fma_f32 v133, -v133, v141, v140
	v_div_fmas_f32 v133, v133, v139, v141
	s_delay_alu instid0(VALU_DEP_1) | instskip(NEXT) | instid1(VALU_DEP_1)
	v_div_fixup_f32 v132, v133, v132, 1.0
	v_mul_f32_e64 v133, v131, -v132
.LBB122_240:
	s_or_b32 exec_lo, exec_lo, s1
.LBB122_241:
	s_delay_alu instid0(SALU_CYCLE_1) | instskip(NEXT) | instid1(SALU_CYCLE_1)
	s_or_b32 exec_lo, exec_lo, s0
	s_mov_b32 s0, exec_lo
	v_cmpx_ne_u32_e64 v138, v130
	s_xor_b32 s0, exec_lo, s0
	s_cbranch_execz .LBB122_247
; %bb.242:
	s_mov_b32 s1, exec_lo
	v_cmpx_eq_u32_e32 11, v138
	s_cbranch_execz .LBB122_246
; %bb.243:
	v_cmp_ne_u32_e32 vcc_lo, 11, v130
	s_xor_b32 s12, s16, -1
	s_delay_alu instid0(SALU_CYCLE_1) | instskip(NEXT) | instid1(SALU_CYCLE_1)
	s_and_b32 s13, s12, vcc_lo
	s_and_saveexec_b32 s12, s13
	s_cbranch_execz .LBB122_245
; %bb.244:
	v_ashrrev_i32_e32 v131, 31, v130
	s_delay_alu instid0(VALU_DEP_1)
	v_lshl_add_u64 v[138:139], v[130:131], 2, v[4:5]
	s_clause 0x1
	global_load_b32 v131, v[138:139], off
	global_load_b32 v137, v[4:5], off offset:44
	s_wait_loadcnt 0x1
	global_store_b32 v[4:5], v131, off offset:44
	s_wait_loadcnt 0x0
	global_store_b32 v[138:139], v137, off
.LBB122_245:
	s_wait_xcnt 0x0
	s_or_b32 exec_lo, exec_lo, s12
	v_dual_mov_b32 v138, v130 :: v_dual_mov_b32 v137, v130
.LBB122_246:
	s_or_b32 exec_lo, exec_lo, s1
.LBB122_247:
	s_and_not1_saveexec_b32 s0, s0
	s_cbranch_execz .LBB122_249
; %bb.248:
	v_dual_mov_b32 v130, v114 :: v_dual_mov_b32 v131, v115
	v_dual_mov_b32 v138, v78 :: v_dual_mov_b32 v139, v79
	;; [unrolled: 1-line block ×4, first 2 shown]
	ds_store_2addr_b64 v134, v[130:131], v[138:139] offset0:12 offset1:13
	ds_store_2addr_b64 v134, v[140:141], v[142:143] offset0:14 offset1:15
	v_dual_mov_b32 v130, v112 :: v_dual_mov_b32 v131, v113
	v_dual_mov_b32 v138, v72 :: v_dual_mov_b32 v139, v73
	v_dual_mov_b32 v140, v74 :: v_dual_mov_b32 v141, v75
	v_dual_mov_b32 v142, v70 :: v_dual_mov_b32 v143, v71
	v_dual_mov_b32 v144, v110 :: v_dual_mov_b32 v145, v111
	v_dual_mov_b32 v146, v66 :: v_dual_mov_b32 v147, v67
	v_dual_mov_b32 v148, v68 :: v_dual_mov_b32 v149, v69
	v_dual_mov_b32 v150, v64 :: v_dual_mov_b32 v151, v65
	v_dual_mov_b32 v152, v108 :: v_dual_mov_b32 v153, v109
	v_dual_mov_b32 v154, v60 :: v_dual_mov_b32 v155, v61
	v_dual_mov_b32 v156, v62 :: v_dual_mov_b32 v157, v63
	v_dual_mov_b32 v158, v58 :: v_dual_mov_b32 v159, v59
	ds_store_2addr_b64 v134, v[130:131], v[138:139] offset0:16 offset1:17
	ds_store_2addr_b64 v134, v[140:141], v[142:143] offset0:18 offset1:19
	ds_store_2addr_b64 v134, v[144:145], v[146:147] offset0:20 offset1:21
	ds_store_2addr_b64 v134, v[148:149], v[150:151] offset0:22 offset1:23
	ds_store_2addr_b64 v134, v[152:153], v[154:155] offset0:24 offset1:25
	ds_store_2addr_b64 v134, v[156:157], v[158:159] offset0:26 offset1:27
	v_dual_mov_b32 v130, v106 :: v_dual_mov_b32 v131, v107
	v_dual_mov_b32 v138, v54 :: v_dual_mov_b32 v139, v55
	v_dual_mov_b32 v140, v56 :: v_dual_mov_b32 v141, v57
	v_dual_mov_b32 v142, v52 :: v_dual_mov_b32 v143, v53
	v_dual_mov_b32 v144, v104 :: v_dual_mov_b32 v145, v105
	v_dual_mov_b32 v146, v48 :: v_dual_mov_b32 v147, v49
	v_dual_mov_b32 v148, v50 :: v_dual_mov_b32 v149, v51
	v_dual_mov_b32 v150, v46 :: v_dual_mov_b32 v151, v47
	v_dual_mov_b32 v152, v102 :: v_dual_mov_b32 v153, v103
	v_dual_mov_b32 v154, v40 :: v_dual_mov_b32 v155, v41
	v_dual_mov_b32 v156, v42 :: v_dual_mov_b32 v157, v43
	v_dual_mov_b32 v158, v38 :: v_dual_mov_b32 v159, v39
	ds_store_2addr_b64 v134, v[130:131], v[138:139] offset0:28 offset1:29
	ds_store_2addr_b64 v134, v[140:141], v[142:143] offset0:30 offset1:31
	ds_store_2addr_b64 v134, v[144:145], v[146:147] offset0:32 offset1:33
	ds_store_2addr_b64 v134, v[148:149], v[150:151] offset0:34 offset1:35
	;; [unrolled: 18-line block ×3, first 2 shown]
	ds_store_2addr_b64 v134, v[152:153], v[154:155] offset0:48 offset1:49
	ds_store_2addr_b64 v134, v[156:157], v[158:159] offset0:50 offset1:51
	v_dual_mov_b32 v130, v86 :: v_dual_mov_b32 v131, v87
	v_dual_mov_b32 v140, v10 :: v_dual_mov_b32 v141, v11
	;; [unrolled: 1-line block ×9, first 2 shown]
	v_mov_b32_e32 v155, v15
	ds_store_2addr_b64 v134, v[130:131], v[140:141] offset0:52 offset1:53
	ds_store_2addr_b64 v134, v[142:143], v[144:145] offset0:54 offset1:55
	;; [unrolled: 1-line block ×5, first 2 shown]
.LBB122_249:
	s_or_b32 exec_lo, exec_lo, s0
	s_delay_alu instid0(SALU_CYCLE_1)
	s_mov_b32 s0, exec_lo
	s_wait_storecnt_dscnt 0x0
	s_barrier_signal -1
	s_barrier_wait -1
	v_cmpx_lt_i32_e32 11, v138
	s_cbranch_execz .LBB122_251
; %bb.250:
	v_pk_mul_f32 v[140:141], v[132:133], v[82:83] op_sel:[1,1] op_sel_hi:[0,1]
	s_delay_alu instid0(VALU_DEP_1)
	v_pk_fma_f32 v[130:131], v[132:133], v[82:83], v[140:141] op_sel_hi:[1,0,1] neg_lo:[0,0,1] neg_hi:[0,0,1]
	v_pk_fma_f32 v[132:133], v[132:133], v[82:83], v[140:141] op_sel_hi:[1,0,1]
	ds_load_2addr_b64 v[140:143], v134 offset0:12 offset1:13
	v_dual_mov_b32 v82, v130 :: v_dual_mov_b32 v83, v133
	s_wait_dscnt 0x0
	v_pk_mul_f32 v[144:145], v[140:141], v[132:133] op_sel:[0,1]
	s_delay_alu instid0(VALU_DEP_1) | instskip(SKIP_1) | instid1(VALU_DEP_1)
	v_pk_fma_f32 v[146:147], v[140:141], v[130:131], v[144:145] op_sel:[0,0,1] op_sel_hi:[1,1,0] neg_lo:[0,0,1] neg_hi:[0,0,1]
	v_pk_fma_f32 v[140:141], v[140:141], v[130:131], v[144:145] op_sel:[0,0,1] op_sel_hi:[1,0,0]
	v_mov_b32_e32 v147, v141
	v_pk_mul_f32 v[140:141], v[142:143], v[132:133] op_sel:[0,1]
	s_delay_alu instid0(VALU_DEP_1) | instskip(SKIP_1) | instid1(VALU_DEP_1)
	v_pk_fma_f32 v[144:145], v[142:143], v[130:131], v[140:141] op_sel:[0,0,1] op_sel_hi:[1,1,0] neg_lo:[0,0,1] neg_hi:[0,0,1]
	v_pk_fma_f32 v[140:141], v[142:143], v[130:131], v[140:141] op_sel:[0,0,1] op_sel_hi:[1,0,0]
	v_mov_b32_e32 v145, v141
	ds_load_2addr_b64 v[140:143], v134 offset0:14 offset1:15
	v_pk_add_f32 v[114:115], v[114:115], v[146:147] neg_lo:[0,1] neg_hi:[0,1]
	v_pk_add_f32 v[78:79], v[78:79], v[144:145] neg_lo:[0,1] neg_hi:[0,1]
	s_wait_dscnt 0x0
	v_pk_mul_f32 v[144:145], v[140:141], v[132:133] op_sel:[0,1]
	s_delay_alu instid0(VALU_DEP_1) | instskip(SKIP_2) | instid1(VALU_DEP_2)
	v_pk_fma_f32 v[146:147], v[140:141], v[130:131], v[144:145] op_sel:[0,0,1] op_sel_hi:[1,1,0] neg_lo:[0,0,1] neg_hi:[0,0,1]
	v_pk_fma_f32 v[140:141], v[140:141], v[130:131], v[144:145] op_sel:[0,0,1] op_sel_hi:[1,0,0]
	v_dual_mul_f32 v144, v143, v133 :: v_dual_mov_b32 v140, v143
	v_dual_mov_b32 v147, v141 :: v_dual_mov_b32 v141, v142
	s_delay_alu instid0(VALU_DEP_2) | instskip(SKIP_1) | instid1(VALU_DEP_3)
	v_pk_fma_f32 v[144:145], v[142:143], v[82:83], v[144:145] op_sel_hi:[1,1,0] neg_lo:[0,0,1] neg_hi:[0,0,1]
	v_mul_f32_e32 v142, v143, v130
	v_pk_add_f32 v[80:81], v[80:81], v[146:147] neg_lo:[0,1] neg_hi:[0,1]
	s_delay_alu instid0(VALU_DEP_2) | instskip(NEXT) | instid1(VALU_DEP_1)
	v_pk_fma_f32 v[140:141], v[140:141], v[82:83], v[142:143] op_sel_hi:[1,1,0]
	v_mov_b32_e32 v145, v141
	ds_load_2addr_b64 v[140:143], v134 offset0:16 offset1:17
	v_pk_add_f32 v[76:77], v[76:77], v[144:145] neg_lo:[0,1] neg_hi:[0,1]
	s_wait_dscnt 0x0
	v_pk_mul_f32 v[144:145], v[140:141], v[132:133] op_sel:[0,1]
	s_delay_alu instid0(VALU_DEP_1) | instskip(SKIP_1) | instid1(VALU_DEP_1)
	v_pk_fma_f32 v[146:147], v[140:141], v[130:131], v[144:145] op_sel:[0,0,1] op_sel_hi:[1,1,0] neg_lo:[0,0,1] neg_hi:[0,0,1]
	v_pk_fma_f32 v[140:141], v[140:141], v[130:131], v[144:145] op_sel:[0,0,1] op_sel_hi:[1,0,0]
	v_mov_b32_e32 v147, v141
	v_pk_mul_f32 v[140:141], v[142:143], v[132:133] op_sel:[0,1]
	s_delay_alu instid0(VALU_DEP_1) | instskip(SKIP_1) | instid1(VALU_DEP_1)
	v_pk_fma_f32 v[144:145], v[142:143], v[130:131], v[140:141] op_sel:[0,0,1] op_sel_hi:[1,1,0] neg_lo:[0,0,1] neg_hi:[0,0,1]
	v_pk_fma_f32 v[140:141], v[142:143], v[130:131], v[140:141] op_sel:[0,0,1] op_sel_hi:[1,0,0]
	v_mov_b32_e32 v145, v141
	ds_load_2addr_b64 v[140:143], v134 offset0:18 offset1:19
	v_pk_add_f32 v[112:113], v[112:113], v[146:147] neg_lo:[0,1] neg_hi:[0,1]
	v_pk_add_f32 v[72:73], v[72:73], v[144:145] neg_lo:[0,1] neg_hi:[0,1]
	s_wait_dscnt 0x0
	v_pk_mul_f32 v[144:145], v[140:141], v[132:133] op_sel:[0,1]
	s_delay_alu instid0(VALU_DEP_1) | instskip(SKIP_1) | instid1(VALU_DEP_1)
	v_pk_fma_f32 v[146:147], v[140:141], v[130:131], v[144:145] op_sel:[0,0,1] op_sel_hi:[1,1,0] neg_lo:[0,0,1] neg_hi:[0,0,1]
	v_pk_fma_f32 v[140:141], v[140:141], v[130:131], v[144:145] op_sel:[0,0,1] op_sel_hi:[1,0,0]
	v_mov_b32_e32 v147, v141
	v_pk_mul_f32 v[140:141], v[142:143], v[132:133] op_sel:[0,1]
	s_delay_alu instid0(VALU_DEP_1) | instskip(SKIP_1) | instid1(VALU_DEP_1)
	v_pk_fma_f32 v[144:145], v[142:143], v[130:131], v[140:141] op_sel:[0,0,1] op_sel_hi:[1,1,0] neg_lo:[0,0,1] neg_hi:[0,0,1]
	v_pk_fma_f32 v[140:141], v[142:143], v[130:131], v[140:141] op_sel:[0,0,1] op_sel_hi:[1,0,0]
	v_mov_b32_e32 v145, v141
	ds_load_2addr_b64 v[140:143], v134 offset0:20 offset1:21
	v_pk_add_f32 v[74:75], v[74:75], v[146:147] neg_lo:[0,1] neg_hi:[0,1]
	v_pk_add_f32 v[70:71], v[70:71], v[144:145] neg_lo:[0,1] neg_hi:[0,1]
	s_wait_dscnt 0x0
	v_dual_mul_f32 v144, v141, v133 :: v_dual_mul_f32 v146, v141, v130
	s_delay_alu instid0(VALU_DEP_1) | instskip(NEXT) | instid1(VALU_DEP_2)
	v_pk_fma_f32 v[144:145], v[140:141], v[82:83], v[144:145] op_sel_hi:[1,1,0] neg_lo:[0,0,1] neg_hi:[0,0,1]
	v_pk_fma_f32 v[140:141], v[140:141], v[82:83], v[146:147] op_sel:[1,0,0] op_sel_hi:[0,1,0]
	s_delay_alu instid0(VALU_DEP_1) | instskip(SKIP_1) | instid1(VALU_DEP_2)
	v_mov_b32_e32 v145, v141
	v_pk_mul_f32 v[140:141], v[142:143], v[132:133] op_sel:[0,1]
	v_pk_add_f32 v[110:111], v[110:111], v[144:145] neg_lo:[0,1] neg_hi:[0,1]
	s_delay_alu instid0(VALU_DEP_2) | instskip(SKIP_1) | instid1(VALU_DEP_1)
	v_pk_fma_f32 v[144:145], v[142:143], v[130:131], v[140:141] op_sel:[0,0,1] op_sel_hi:[1,1,0] neg_lo:[0,0,1] neg_hi:[0,0,1]
	v_pk_fma_f32 v[140:141], v[142:143], v[130:131], v[140:141] op_sel:[0,0,1] op_sel_hi:[1,0,0]
	v_mov_b32_e32 v145, v141
	ds_load_2addr_b64 v[140:143], v134 offset0:22 offset1:23
	v_pk_add_f32 v[66:67], v[66:67], v[144:145] neg_lo:[0,1] neg_hi:[0,1]
	s_wait_dscnt 0x0
	v_pk_mul_f32 v[144:145], v[140:141], v[132:133] op_sel:[0,1]
	s_delay_alu instid0(VALU_DEP_1) | instskip(SKIP_1) | instid1(VALU_DEP_1)
	v_pk_fma_f32 v[146:147], v[140:141], v[130:131], v[144:145] op_sel:[0,0,1] op_sel_hi:[1,1,0] neg_lo:[0,0,1] neg_hi:[0,0,1]
	v_pk_fma_f32 v[140:141], v[140:141], v[130:131], v[144:145] op_sel:[0,0,1] op_sel_hi:[1,0,0]
	v_mov_b32_e32 v147, v141
	v_pk_mul_f32 v[140:141], v[142:143], v[132:133] op_sel:[0,1]
	s_delay_alu instid0(VALU_DEP_2) | instskip(NEXT) | instid1(VALU_DEP_2)
	v_pk_add_f32 v[68:69], v[68:69], v[146:147] neg_lo:[0,1] neg_hi:[0,1]
	v_pk_fma_f32 v[144:145], v[142:143], v[130:131], v[140:141] op_sel:[0,0,1] op_sel_hi:[1,1,0] neg_lo:[0,0,1] neg_hi:[0,0,1]
	v_pk_fma_f32 v[140:141], v[142:143], v[130:131], v[140:141] op_sel:[0,0,1] op_sel_hi:[1,0,0]
	s_delay_alu instid0(VALU_DEP_1) | instskip(SKIP_4) | instid1(VALU_DEP_1)
	v_mov_b32_e32 v145, v141
	ds_load_2addr_b64 v[140:143], v134 offset0:24 offset1:25
	v_pk_add_f32 v[64:65], v[64:65], v[144:145] neg_lo:[0,1] neg_hi:[0,1]
	s_wait_dscnt 0x0
	v_pk_mul_f32 v[144:145], v[140:141], v[132:133] op_sel:[0,1]
	v_pk_fma_f32 v[146:147], v[140:141], v[130:131], v[144:145] op_sel:[0,0,1] op_sel_hi:[1,1,0] neg_lo:[0,0,1] neg_hi:[0,0,1]
	v_pk_fma_f32 v[140:141], v[140:141], v[130:131], v[144:145] op_sel:[0,0,1] op_sel_hi:[1,0,0]
	v_dual_mul_f32 v144, v143, v133 :: v_dual_mov_b32 v140, v143
	s_delay_alu instid0(VALU_DEP_2) | instskip(NEXT) | instid1(VALU_DEP_2)
	v_dual_mov_b32 v147, v141 :: v_dual_mov_b32 v141, v142
	v_pk_fma_f32 v[144:145], v[142:143], v[82:83], v[144:145] op_sel_hi:[1,1,0] neg_lo:[0,0,1] neg_hi:[0,0,1]
	v_mul_f32_e32 v142, v143, v130
	s_delay_alu instid0(VALU_DEP_3) | instskip(NEXT) | instid1(VALU_DEP_2)
	v_pk_add_f32 v[108:109], v[108:109], v[146:147] neg_lo:[0,1] neg_hi:[0,1]
	v_pk_fma_f32 v[140:141], v[140:141], v[82:83], v[142:143] op_sel_hi:[1,1,0]
	s_delay_alu instid0(VALU_DEP_1) | instskip(SKIP_4) | instid1(VALU_DEP_1)
	v_mov_b32_e32 v145, v141
	ds_load_2addr_b64 v[140:143], v134 offset0:26 offset1:27
	v_pk_add_f32 v[60:61], v[60:61], v[144:145] neg_lo:[0,1] neg_hi:[0,1]
	s_wait_dscnt 0x0
	v_pk_mul_f32 v[144:145], v[140:141], v[132:133] op_sel:[0,1]
	v_pk_fma_f32 v[146:147], v[140:141], v[130:131], v[144:145] op_sel:[0,0,1] op_sel_hi:[1,1,0] neg_lo:[0,0,1] neg_hi:[0,0,1]
	v_pk_fma_f32 v[140:141], v[140:141], v[130:131], v[144:145] op_sel:[0,0,1] op_sel_hi:[1,0,0]
	s_delay_alu instid0(VALU_DEP_1) | instskip(SKIP_1) | instid1(VALU_DEP_1)
	v_mov_b32_e32 v147, v141
	v_pk_mul_f32 v[140:141], v[142:143], v[132:133] op_sel:[0,1]
	v_pk_fma_f32 v[144:145], v[142:143], v[130:131], v[140:141] op_sel:[0,0,1] op_sel_hi:[1,1,0] neg_lo:[0,0,1] neg_hi:[0,0,1]
	v_pk_fma_f32 v[140:141], v[142:143], v[130:131], v[140:141] op_sel:[0,0,1] op_sel_hi:[1,0,0]
	s_delay_alu instid0(VALU_DEP_1)
	v_mov_b32_e32 v145, v141
	ds_load_2addr_b64 v[140:143], v134 offset0:28 offset1:29
	v_pk_add_f32 v[62:63], v[62:63], v[146:147] neg_lo:[0,1] neg_hi:[0,1]
	v_pk_add_f32 v[58:59], v[58:59], v[144:145] neg_lo:[0,1] neg_hi:[0,1]
	s_wait_dscnt 0x0
	v_pk_mul_f32 v[144:145], v[140:141], v[132:133] op_sel:[0,1]
	s_delay_alu instid0(VALU_DEP_1) | instskip(SKIP_1) | instid1(VALU_DEP_1)
	v_pk_fma_f32 v[146:147], v[140:141], v[130:131], v[144:145] op_sel:[0,0,1] op_sel_hi:[1,1,0] neg_lo:[0,0,1] neg_hi:[0,0,1]
	v_pk_fma_f32 v[140:141], v[140:141], v[130:131], v[144:145] op_sel:[0,0,1] op_sel_hi:[1,0,0]
	v_mov_b32_e32 v147, v141
	v_pk_mul_f32 v[140:141], v[142:143], v[132:133] op_sel:[0,1]
	s_delay_alu instid0(VALU_DEP_1) | instskip(SKIP_1) | instid1(VALU_DEP_1)
	v_pk_fma_f32 v[144:145], v[142:143], v[130:131], v[140:141] op_sel:[0,0,1] op_sel_hi:[1,1,0] neg_lo:[0,0,1] neg_hi:[0,0,1]
	v_pk_fma_f32 v[140:141], v[142:143], v[130:131], v[140:141] op_sel:[0,0,1] op_sel_hi:[1,0,0]
	v_mov_b32_e32 v145, v141
	ds_load_2addr_b64 v[140:143], v134 offset0:30 offset1:31
	v_pk_add_f32 v[106:107], v[106:107], v[146:147] neg_lo:[0,1] neg_hi:[0,1]
	v_pk_add_f32 v[54:55], v[54:55], v[144:145] neg_lo:[0,1] neg_hi:[0,1]
	s_wait_dscnt 0x0
	v_dual_mul_f32 v144, v141, v133 :: v_dual_mul_f32 v146, v141, v130
	s_delay_alu instid0(VALU_DEP_1) | instskip(NEXT) | instid1(VALU_DEP_2)
	v_pk_fma_f32 v[144:145], v[140:141], v[82:83], v[144:145] op_sel_hi:[1,1,0] neg_lo:[0,0,1] neg_hi:[0,0,1]
	v_pk_fma_f32 v[140:141], v[140:141], v[82:83], v[146:147] op_sel:[1,0,0] op_sel_hi:[0,1,0]
	s_delay_alu instid0(VALU_DEP_1) | instskip(SKIP_1) | instid1(VALU_DEP_2)
	v_mov_b32_e32 v145, v141
	v_pk_mul_f32 v[140:141], v[142:143], v[132:133] op_sel:[0,1]
	v_pk_add_f32 v[56:57], v[56:57], v[144:145] neg_lo:[0,1] neg_hi:[0,1]
	s_delay_alu instid0(VALU_DEP_2) | instskip(SKIP_1) | instid1(VALU_DEP_1)
	v_pk_fma_f32 v[144:145], v[142:143], v[130:131], v[140:141] op_sel:[0,0,1] op_sel_hi:[1,1,0] neg_lo:[0,0,1] neg_hi:[0,0,1]
	v_pk_fma_f32 v[140:141], v[142:143], v[130:131], v[140:141] op_sel:[0,0,1] op_sel_hi:[1,0,0]
	v_mov_b32_e32 v145, v141
	ds_load_2addr_b64 v[140:143], v134 offset0:32 offset1:33
	v_pk_add_f32 v[52:53], v[52:53], v[144:145] neg_lo:[0,1] neg_hi:[0,1]
	s_wait_dscnt 0x0
	v_pk_mul_f32 v[144:145], v[140:141], v[132:133] op_sel:[0,1]
	s_delay_alu instid0(VALU_DEP_1) | instskip(SKIP_1) | instid1(VALU_DEP_1)
	v_pk_fma_f32 v[146:147], v[140:141], v[130:131], v[144:145] op_sel:[0,0,1] op_sel_hi:[1,1,0] neg_lo:[0,0,1] neg_hi:[0,0,1]
	v_pk_fma_f32 v[140:141], v[140:141], v[130:131], v[144:145] op_sel:[0,0,1] op_sel_hi:[1,0,0]
	v_mov_b32_e32 v147, v141
	v_pk_mul_f32 v[140:141], v[142:143], v[132:133] op_sel:[0,1]
	s_delay_alu instid0(VALU_DEP_2) | instskip(NEXT) | instid1(VALU_DEP_2)
	v_pk_add_f32 v[104:105], v[104:105], v[146:147] neg_lo:[0,1] neg_hi:[0,1]
	v_pk_fma_f32 v[144:145], v[142:143], v[130:131], v[140:141] op_sel:[0,0,1] op_sel_hi:[1,1,0] neg_lo:[0,0,1] neg_hi:[0,0,1]
	v_pk_fma_f32 v[140:141], v[142:143], v[130:131], v[140:141] op_sel:[0,0,1] op_sel_hi:[1,0,0]
	s_delay_alu instid0(VALU_DEP_1) | instskip(SKIP_4) | instid1(VALU_DEP_1)
	v_mov_b32_e32 v145, v141
	ds_load_2addr_b64 v[140:143], v134 offset0:34 offset1:35
	v_pk_add_f32 v[48:49], v[48:49], v[144:145] neg_lo:[0,1] neg_hi:[0,1]
	s_wait_dscnt 0x0
	v_pk_mul_f32 v[144:145], v[140:141], v[132:133] op_sel:[0,1]
	v_pk_fma_f32 v[146:147], v[140:141], v[130:131], v[144:145] op_sel:[0,0,1] op_sel_hi:[1,1,0] neg_lo:[0,0,1] neg_hi:[0,0,1]
	v_pk_fma_f32 v[140:141], v[140:141], v[130:131], v[144:145] op_sel:[0,0,1] op_sel_hi:[1,0,0]
	v_dual_mul_f32 v144, v143, v133 :: v_dual_mov_b32 v140, v143
	s_delay_alu instid0(VALU_DEP_2) | instskip(NEXT) | instid1(VALU_DEP_2)
	v_dual_mov_b32 v147, v141 :: v_dual_mov_b32 v141, v142
	v_pk_fma_f32 v[144:145], v[142:143], v[82:83], v[144:145] op_sel_hi:[1,1,0] neg_lo:[0,0,1] neg_hi:[0,0,1]
	v_mul_f32_e32 v142, v143, v130
	s_delay_alu instid0(VALU_DEP_3) | instskip(NEXT) | instid1(VALU_DEP_2)
	v_pk_add_f32 v[50:51], v[50:51], v[146:147] neg_lo:[0,1] neg_hi:[0,1]
	v_pk_fma_f32 v[140:141], v[140:141], v[82:83], v[142:143] op_sel_hi:[1,1,0]
	s_delay_alu instid0(VALU_DEP_1) | instskip(SKIP_4) | instid1(VALU_DEP_1)
	v_mov_b32_e32 v145, v141
	ds_load_2addr_b64 v[140:143], v134 offset0:36 offset1:37
	v_pk_add_f32 v[46:47], v[46:47], v[144:145] neg_lo:[0,1] neg_hi:[0,1]
	s_wait_dscnt 0x0
	v_pk_mul_f32 v[144:145], v[140:141], v[132:133] op_sel:[0,1]
	v_pk_fma_f32 v[146:147], v[140:141], v[130:131], v[144:145] op_sel:[0,0,1] op_sel_hi:[1,1,0] neg_lo:[0,0,1] neg_hi:[0,0,1]
	v_pk_fma_f32 v[140:141], v[140:141], v[130:131], v[144:145] op_sel:[0,0,1] op_sel_hi:[1,0,0]
	s_delay_alu instid0(VALU_DEP_1) | instskip(SKIP_1) | instid1(VALU_DEP_1)
	v_mov_b32_e32 v147, v141
	v_pk_mul_f32 v[140:141], v[142:143], v[132:133] op_sel:[0,1]
	v_pk_fma_f32 v[144:145], v[142:143], v[130:131], v[140:141] op_sel:[0,0,1] op_sel_hi:[1,1,0] neg_lo:[0,0,1] neg_hi:[0,0,1]
	v_pk_fma_f32 v[140:141], v[142:143], v[130:131], v[140:141] op_sel:[0,0,1] op_sel_hi:[1,0,0]
	s_delay_alu instid0(VALU_DEP_1)
	v_mov_b32_e32 v145, v141
	ds_load_2addr_b64 v[140:143], v134 offset0:38 offset1:39
	v_pk_add_f32 v[102:103], v[102:103], v[146:147] neg_lo:[0,1] neg_hi:[0,1]
	v_pk_add_f32 v[40:41], v[40:41], v[144:145] neg_lo:[0,1] neg_hi:[0,1]
	s_wait_dscnt 0x0
	v_pk_mul_f32 v[144:145], v[140:141], v[132:133] op_sel:[0,1]
	s_delay_alu instid0(VALU_DEP_1) | instskip(SKIP_1) | instid1(VALU_DEP_1)
	v_pk_fma_f32 v[146:147], v[140:141], v[130:131], v[144:145] op_sel:[0,0,1] op_sel_hi:[1,1,0] neg_lo:[0,0,1] neg_hi:[0,0,1]
	v_pk_fma_f32 v[140:141], v[140:141], v[130:131], v[144:145] op_sel:[0,0,1] op_sel_hi:[1,0,0]
	v_mov_b32_e32 v147, v141
	v_pk_mul_f32 v[140:141], v[142:143], v[132:133] op_sel:[0,1]
	s_delay_alu instid0(VALU_DEP_1) | instskip(SKIP_1) | instid1(VALU_DEP_1)
	v_pk_fma_f32 v[144:145], v[142:143], v[130:131], v[140:141] op_sel:[0,0,1] op_sel_hi:[1,1,0] neg_lo:[0,0,1] neg_hi:[0,0,1]
	v_pk_fma_f32 v[140:141], v[142:143], v[130:131], v[140:141] op_sel:[0,0,1] op_sel_hi:[1,0,0]
	v_mov_b32_e32 v145, v141
	ds_load_2addr_b64 v[140:143], v134 offset0:40 offset1:41
	v_pk_add_f32 v[42:43], v[42:43], v[146:147] neg_lo:[0,1] neg_hi:[0,1]
	v_pk_add_f32 v[38:39], v[38:39], v[144:145] neg_lo:[0,1] neg_hi:[0,1]
	s_wait_dscnt 0x0
	v_dual_mul_f32 v144, v141, v133 :: v_dual_mul_f32 v146, v141, v130
	s_delay_alu instid0(VALU_DEP_1) | instskip(NEXT) | instid1(VALU_DEP_2)
	v_pk_fma_f32 v[144:145], v[140:141], v[82:83], v[144:145] op_sel_hi:[1,1,0] neg_lo:[0,0,1] neg_hi:[0,0,1]
	v_pk_fma_f32 v[140:141], v[140:141], v[82:83], v[146:147] op_sel:[1,0,0] op_sel_hi:[0,1,0]
	s_delay_alu instid0(VALU_DEP_1) | instskip(SKIP_1) | instid1(VALU_DEP_2)
	v_mov_b32_e32 v145, v141
	v_pk_mul_f32 v[140:141], v[142:143], v[132:133] op_sel:[0,1]
	v_pk_add_f32 v[100:101], v[100:101], v[144:145] neg_lo:[0,1] neg_hi:[0,1]
	s_delay_alu instid0(VALU_DEP_2) | instskip(SKIP_1) | instid1(VALU_DEP_1)
	v_pk_fma_f32 v[144:145], v[142:143], v[130:131], v[140:141] op_sel:[0,0,1] op_sel_hi:[1,1,0] neg_lo:[0,0,1] neg_hi:[0,0,1]
	v_pk_fma_f32 v[140:141], v[142:143], v[130:131], v[140:141] op_sel:[0,0,1] op_sel_hi:[1,0,0]
	v_mov_b32_e32 v145, v141
	ds_load_2addr_b64 v[140:143], v134 offset0:42 offset1:43
	v_pk_add_f32 v[32:33], v[32:33], v[144:145] neg_lo:[0,1] neg_hi:[0,1]
	s_wait_dscnt 0x0
	v_pk_mul_f32 v[144:145], v[140:141], v[132:133] op_sel:[0,1]
	s_delay_alu instid0(VALU_DEP_1) | instskip(SKIP_1) | instid1(VALU_DEP_1)
	v_pk_fma_f32 v[146:147], v[140:141], v[130:131], v[144:145] op_sel:[0,0,1] op_sel_hi:[1,1,0] neg_lo:[0,0,1] neg_hi:[0,0,1]
	v_pk_fma_f32 v[140:141], v[140:141], v[130:131], v[144:145] op_sel:[0,0,1] op_sel_hi:[1,0,0]
	v_mov_b32_e32 v147, v141
	v_pk_mul_f32 v[140:141], v[142:143], v[132:133] op_sel:[0,1]
	s_delay_alu instid0(VALU_DEP_2) | instskip(NEXT) | instid1(VALU_DEP_2)
	v_pk_add_f32 v[34:35], v[34:35], v[146:147] neg_lo:[0,1] neg_hi:[0,1]
	v_pk_fma_f32 v[144:145], v[142:143], v[130:131], v[140:141] op_sel:[0,0,1] op_sel_hi:[1,1,0] neg_lo:[0,0,1] neg_hi:[0,0,1]
	v_pk_fma_f32 v[140:141], v[142:143], v[130:131], v[140:141] op_sel:[0,0,1] op_sel_hi:[1,0,0]
	s_delay_alu instid0(VALU_DEP_1) | instskip(SKIP_4) | instid1(VALU_DEP_1)
	v_mov_b32_e32 v145, v141
	ds_load_2addr_b64 v[140:143], v134 offset0:44 offset1:45
	v_pk_add_f32 v[30:31], v[30:31], v[144:145] neg_lo:[0,1] neg_hi:[0,1]
	s_wait_dscnt 0x0
	v_pk_mul_f32 v[144:145], v[140:141], v[132:133] op_sel:[0,1]
	v_pk_fma_f32 v[146:147], v[140:141], v[130:131], v[144:145] op_sel:[0,0,1] op_sel_hi:[1,1,0] neg_lo:[0,0,1] neg_hi:[0,0,1]
	v_pk_fma_f32 v[140:141], v[140:141], v[130:131], v[144:145] op_sel:[0,0,1] op_sel_hi:[1,0,0]
	v_dual_mul_f32 v144, v143, v133 :: v_dual_mov_b32 v140, v143
	s_delay_alu instid0(VALU_DEP_2) | instskip(NEXT) | instid1(VALU_DEP_2)
	v_dual_mov_b32 v147, v141 :: v_dual_mov_b32 v141, v142
	v_pk_fma_f32 v[144:145], v[142:143], v[82:83], v[144:145] op_sel_hi:[1,1,0] neg_lo:[0,0,1] neg_hi:[0,0,1]
	v_mul_f32_e32 v142, v143, v130
	s_delay_alu instid0(VALU_DEP_3) | instskip(NEXT) | instid1(VALU_DEP_2)
	v_pk_add_f32 v[98:99], v[98:99], v[146:147] neg_lo:[0,1] neg_hi:[0,1]
	v_pk_fma_f32 v[140:141], v[140:141], v[82:83], v[142:143] op_sel_hi:[1,1,0]
	s_delay_alu instid0(VALU_DEP_1) | instskip(SKIP_4) | instid1(VALU_DEP_1)
	v_mov_b32_e32 v145, v141
	ds_load_2addr_b64 v[140:143], v134 offset0:46 offset1:47
	v_pk_add_f32 v[24:25], v[24:25], v[144:145] neg_lo:[0,1] neg_hi:[0,1]
	s_wait_dscnt 0x0
	v_pk_mul_f32 v[144:145], v[140:141], v[132:133] op_sel:[0,1]
	v_pk_fma_f32 v[146:147], v[140:141], v[130:131], v[144:145] op_sel:[0,0,1] op_sel_hi:[1,1,0] neg_lo:[0,0,1] neg_hi:[0,0,1]
	v_pk_fma_f32 v[140:141], v[140:141], v[130:131], v[144:145] op_sel:[0,0,1] op_sel_hi:[1,0,0]
	s_delay_alu instid0(VALU_DEP_1) | instskip(SKIP_1) | instid1(VALU_DEP_1)
	v_mov_b32_e32 v147, v141
	v_pk_mul_f32 v[140:141], v[142:143], v[132:133] op_sel:[0,1]
	v_pk_fma_f32 v[144:145], v[142:143], v[130:131], v[140:141] op_sel:[0,0,1] op_sel_hi:[1,1,0] neg_lo:[0,0,1] neg_hi:[0,0,1]
	v_pk_fma_f32 v[140:141], v[142:143], v[130:131], v[140:141] op_sel:[0,0,1] op_sel_hi:[1,0,0]
	s_delay_alu instid0(VALU_DEP_1)
	v_mov_b32_e32 v145, v141
	ds_load_2addr_b64 v[140:143], v134 offset0:48 offset1:49
	v_pk_add_f32 v[28:29], v[28:29], v[146:147] neg_lo:[0,1] neg_hi:[0,1]
	v_pk_add_f32 v[22:23], v[22:23], v[144:145] neg_lo:[0,1] neg_hi:[0,1]
	s_wait_dscnt 0x0
	v_pk_mul_f32 v[144:145], v[140:141], v[132:133] op_sel:[0,1]
	s_delay_alu instid0(VALU_DEP_1) | instskip(SKIP_1) | instid1(VALU_DEP_1)
	v_pk_fma_f32 v[146:147], v[140:141], v[130:131], v[144:145] op_sel:[0,0,1] op_sel_hi:[1,1,0] neg_lo:[0,0,1] neg_hi:[0,0,1]
	v_pk_fma_f32 v[140:141], v[140:141], v[130:131], v[144:145] op_sel:[0,0,1] op_sel_hi:[1,0,0]
	v_mov_b32_e32 v147, v141
	v_pk_mul_f32 v[140:141], v[142:143], v[132:133] op_sel:[0,1]
	s_delay_alu instid0(VALU_DEP_1) | instskip(SKIP_1) | instid1(VALU_DEP_1)
	v_pk_fma_f32 v[144:145], v[142:143], v[130:131], v[140:141] op_sel:[0,0,1] op_sel_hi:[1,1,0] neg_lo:[0,0,1] neg_hi:[0,0,1]
	v_pk_fma_f32 v[140:141], v[142:143], v[130:131], v[140:141] op_sel:[0,0,1] op_sel_hi:[1,0,0]
	v_mov_b32_e32 v145, v141
	ds_load_2addr_b64 v[140:143], v134 offset0:50 offset1:51
	v_pk_add_f32 v[96:97], v[96:97], v[146:147] neg_lo:[0,1] neg_hi:[0,1]
	v_pk_add_f32 v[18:19], v[18:19], v[144:145] neg_lo:[0,1] neg_hi:[0,1]
	s_wait_dscnt 0x0
	v_dual_mul_f32 v144, v141, v133 :: v_dual_mul_f32 v146, v141, v130
	s_delay_alu instid0(VALU_DEP_1) | instskip(NEXT) | instid1(VALU_DEP_2)
	v_pk_fma_f32 v[144:145], v[140:141], v[82:83], v[144:145] op_sel_hi:[1,1,0] neg_lo:[0,0,1] neg_hi:[0,0,1]
	v_pk_fma_f32 v[140:141], v[140:141], v[82:83], v[146:147] op_sel:[1,0,0] op_sel_hi:[0,1,0]
	s_delay_alu instid0(VALU_DEP_1) | instskip(SKIP_1) | instid1(VALU_DEP_2)
	v_mov_b32_e32 v145, v141
	v_pk_mul_f32 v[140:141], v[142:143], v[132:133] op_sel:[0,1]
	v_pk_add_f32 v[20:21], v[20:21], v[144:145] neg_lo:[0,1] neg_hi:[0,1]
	s_delay_alu instid0(VALU_DEP_2) | instskip(SKIP_1) | instid1(VALU_DEP_1)
	v_pk_fma_f32 v[144:145], v[142:143], v[130:131], v[140:141] op_sel:[0,0,1] op_sel_hi:[1,1,0] neg_lo:[0,0,1] neg_hi:[0,0,1]
	v_pk_fma_f32 v[140:141], v[142:143], v[130:131], v[140:141] op_sel:[0,0,1] op_sel_hi:[1,0,0]
	v_mov_b32_e32 v145, v141
	ds_load_2addr_b64 v[140:143], v134 offset0:52 offset1:53
	v_pk_add_f32 v[36:37], v[36:37], v[144:145] neg_lo:[0,1] neg_hi:[0,1]
	s_wait_dscnt 0x0
	v_pk_mul_f32 v[144:145], v[140:141], v[132:133] op_sel:[0,1]
	s_delay_alu instid0(VALU_DEP_1) | instskip(SKIP_1) | instid1(VALU_DEP_1)
	v_pk_fma_f32 v[146:147], v[140:141], v[130:131], v[144:145] op_sel:[0,0,1] op_sel_hi:[1,1,0] neg_lo:[0,0,1] neg_hi:[0,0,1]
	v_pk_fma_f32 v[140:141], v[140:141], v[130:131], v[144:145] op_sel:[0,0,1] op_sel_hi:[1,0,0]
	v_mov_b32_e32 v147, v141
	v_pk_mul_f32 v[140:141], v[142:143], v[132:133] op_sel:[0,1]
	s_delay_alu instid0(VALU_DEP_2) | instskip(NEXT) | instid1(VALU_DEP_2)
	v_pk_add_f32 v[86:87], v[86:87], v[146:147] neg_lo:[0,1] neg_hi:[0,1]
	v_pk_fma_f32 v[144:145], v[142:143], v[130:131], v[140:141] op_sel:[0,0,1] op_sel_hi:[1,1,0] neg_lo:[0,0,1] neg_hi:[0,0,1]
	v_pk_fma_f32 v[140:141], v[142:143], v[130:131], v[140:141] op_sel:[0,0,1] op_sel_hi:[1,0,0]
	s_delay_alu instid0(VALU_DEP_1) | instskip(SKIP_4) | instid1(VALU_DEP_1)
	v_mov_b32_e32 v145, v141
	ds_load_2addr_b64 v[140:143], v134 offset0:54 offset1:55
	v_pk_add_f32 v[10:11], v[10:11], v[144:145] neg_lo:[0,1] neg_hi:[0,1]
	s_wait_dscnt 0x0
	v_pk_mul_f32 v[144:145], v[140:141], v[132:133] op_sel:[0,1]
	v_pk_fma_f32 v[146:147], v[140:141], v[130:131], v[144:145] op_sel:[0,0,1] op_sel_hi:[1,1,0] neg_lo:[0,0,1] neg_hi:[0,0,1]
	v_pk_fma_f32 v[140:141], v[140:141], v[130:131], v[144:145] op_sel:[0,0,1] op_sel_hi:[1,0,0]
	v_dual_mul_f32 v144, v143, v133 :: v_dual_mov_b32 v140, v143
	s_delay_alu instid0(VALU_DEP_2) | instskip(NEXT) | instid1(VALU_DEP_2)
	v_dual_mov_b32 v147, v141 :: v_dual_mov_b32 v141, v142
	v_pk_fma_f32 v[144:145], v[142:143], v[82:83], v[144:145] op_sel_hi:[1,1,0] neg_lo:[0,0,1] neg_hi:[0,0,1]
	v_mul_f32_e32 v142, v143, v130
	s_delay_alu instid0(VALU_DEP_3) | instskip(NEXT) | instid1(VALU_DEP_2)
	v_pk_add_f32 v[12:13], v[12:13], v[146:147] neg_lo:[0,1] neg_hi:[0,1]
	v_pk_fma_f32 v[140:141], v[140:141], v[82:83], v[142:143] op_sel_hi:[1,1,0]
	s_delay_alu instid0(VALU_DEP_1) | instskip(SKIP_4) | instid1(VALU_DEP_1)
	v_mov_b32_e32 v145, v141
	ds_load_2addr_b64 v[140:143], v134 offset0:56 offset1:57
	v_pk_add_f32 v[8:9], v[8:9], v[144:145] neg_lo:[0,1] neg_hi:[0,1]
	s_wait_dscnt 0x0
	v_pk_mul_f32 v[144:145], v[140:141], v[132:133] op_sel:[0,1]
	v_pk_fma_f32 v[146:147], v[140:141], v[130:131], v[144:145] op_sel:[0,0,1] op_sel_hi:[1,1,0] neg_lo:[0,0,1] neg_hi:[0,0,1]
	v_pk_fma_f32 v[140:141], v[140:141], v[130:131], v[144:145] op_sel:[0,0,1] op_sel_hi:[1,0,0]
	s_delay_alu instid0(VALU_DEP_1) | instskip(SKIP_1) | instid1(VALU_DEP_1)
	v_mov_b32_e32 v147, v141
	v_pk_mul_f32 v[140:141], v[142:143], v[132:133] op_sel:[0,1]
	v_pk_fma_f32 v[144:145], v[142:143], v[130:131], v[140:141] op_sel:[0,0,1] op_sel_hi:[1,1,0] neg_lo:[0,0,1] neg_hi:[0,0,1]
	v_pk_fma_f32 v[140:141], v[142:143], v[130:131], v[140:141] op_sel:[0,0,1] op_sel_hi:[1,0,0]
	s_delay_alu instid0(VALU_DEP_1)
	v_mov_b32_e32 v145, v141
	ds_load_2addr_b64 v[140:143], v134 offset0:58 offset1:59
	v_pk_add_f32 v[44:45], v[44:45], v[146:147] neg_lo:[0,1] neg_hi:[0,1]
	v_pk_add_f32 v[6:7], v[6:7], v[144:145] neg_lo:[0,1] neg_hi:[0,1]
	s_wait_dscnt 0x0
	v_pk_mul_f32 v[144:145], v[140:141], v[132:133] op_sel:[0,1]
	s_delay_alu instid0(VALU_DEP_1) | instskip(SKIP_1) | instid1(VALU_DEP_1)
	v_pk_fma_f32 v[146:147], v[140:141], v[130:131], v[144:145] op_sel:[0,0,1] op_sel_hi:[1,1,0] neg_lo:[0,0,1] neg_hi:[0,0,1]
	v_pk_fma_f32 v[140:141], v[140:141], v[130:131], v[144:145] op_sel:[0,0,1] op_sel_hi:[1,0,0]
	v_mov_b32_e32 v147, v141
	v_pk_mul_f32 v[140:141], v[142:143], v[132:133] op_sel:[0,1]
	s_delay_alu instid0(VALU_DEP_1) | instskip(SKIP_1) | instid1(VALU_DEP_1)
	v_pk_fma_f32 v[144:145], v[142:143], v[130:131], v[140:141] op_sel:[0,0,1] op_sel_hi:[1,1,0] neg_lo:[0,0,1] neg_hi:[0,0,1]
	v_pk_fma_f32 v[140:141], v[142:143], v[130:131], v[140:141] op_sel:[0,0,1] op_sel_hi:[1,0,0]
	v_mov_b32_e32 v145, v141
	ds_load_2addr_b64 v[140:143], v134 offset0:60 offset1:61
	v_pk_add_f32 v[26:27], v[26:27], v[146:147] neg_lo:[0,1] neg_hi:[0,1]
	v_pk_add_f32 v[16:17], v[16:17], v[144:145] neg_lo:[0,1] neg_hi:[0,1]
	s_wait_dscnt 0x0
	v_dual_mul_f32 v144, v141, v133 :: v_dual_mul_f32 v146, v141, v130
	v_pk_mul_f32 v[132:133], v[142:143], v[132:133] op_sel:[0,1]
	s_delay_alu instid0(VALU_DEP_2) | instskip(NEXT) | instid1(VALU_DEP_3)
	v_pk_fma_f32 v[144:145], v[140:141], v[82:83], v[144:145] op_sel_hi:[1,1,0] neg_lo:[0,0,1] neg_hi:[0,0,1]
	v_pk_fma_f32 v[140:141], v[140:141], v[82:83], v[146:147] op_sel:[1,0,0] op_sel_hi:[0,1,0]
	s_delay_alu instid0(VALU_DEP_1) | instskip(NEXT) | instid1(VALU_DEP_4)
	v_mov_b32_e32 v145, v141
	v_pk_fma_f32 v[140:141], v[142:143], v[130:131], v[132:133] op_sel:[0,0,1] op_sel_hi:[1,1,0] neg_lo:[0,0,1] neg_hi:[0,0,1]
	v_pk_fma_f32 v[130:131], v[142:143], v[130:131], v[132:133] op_sel:[0,0,1] op_sel_hi:[1,0,0]
	s_delay_alu instid0(VALU_DEP_1) | instskip(NEXT) | instid1(VALU_DEP_4)
	v_mov_b32_e32 v141, v131
	v_pk_add_f32 v[14:15], v[14:15], v[144:145] neg_lo:[0,1] neg_hi:[0,1]
	s_delay_alu instid0(VALU_DEP_2)
	v_pk_add_f32 v[128:129], v[128:129], v[140:141] neg_lo:[0,1] neg_hi:[0,1]
.LBB122_251:
	s_or_b32 exec_lo, exec_lo, s0
	v_lshl_add_u32 v130, v138, 3, v134
	s_barrier_signal -1
	s_barrier_wait -1
	ds_store_b64 v130, v[114:115]
	s_wait_dscnt 0x0
	s_barrier_signal -1
	s_barrier_wait -1
	ds_load_b64 v[132:133], v134 offset:96
	v_mov_b32_e32 v130, 12
	s_cmp_lt_i32 s18, 14
	s_cbranch_scc1 .LBB122_254
; %bb.252:
	v_add3_u32 v131, v135, 0, 0x68
	v_mov_b32_e32 v130, 12
	s_mov_b32 s0, 13
.LBB122_253:                            ; =>This Inner Loop Header: Depth=1
	ds_load_b64 v[140:141], v131
	s_wait_dscnt 0x1
	v_cmp_gt_f32_e32 vcc_lo, 0, v132
	v_cndmask_b32_e64 v142, v132, -v132, vcc_lo
	v_cmp_gt_f32_e32 vcc_lo, 0, v133
	v_cndmask_b32_e64 v144, v133, -v133, vcc_lo
	s_wait_dscnt 0x0
	v_cmp_gt_f32_e32 vcc_lo, 0, v140
	v_cndmask_b32_e64 v143, v140, -v140, vcc_lo
	v_cmp_gt_f32_e32 vcc_lo, 0, v141
	v_cndmask_b32_e64 v145, v141, -v141, vcc_lo
	s_delay_alu instid0(VALU_DEP_1) | instskip(NEXT) | instid1(VALU_DEP_1)
	v_pk_add_f32 v[142:143], v[142:143], v[144:145]
	v_cmp_lt_f32_e32 vcc_lo, v142, v143
	v_dual_add_nc_u32 v131, 8, v131 :: v_dual_cndmask_b32 v133, v133, v141, vcc_lo
	v_cndmask_b32_e32 v132, v132, v140, vcc_lo
	v_cndmask_b32_e64 v130, v130, s0, vcc_lo
	s_add_co_i32 s0, s0, 1
	s_delay_alu instid0(SALU_CYCLE_1)
	s_cmp_lg_u32 s18, s0
	s_cbranch_scc1 .LBB122_253
.LBB122_254:
	s_wait_dscnt 0x0
	v_cmp_eq_f32_e32 vcc_lo, 0, v132
	v_cmp_eq_f32_e64 s0, 0, v133
	s_and_b32 s0, vcc_lo, s0
	s_delay_alu instid0(SALU_CYCLE_1) | instskip(NEXT) | instid1(SALU_CYCLE_1)
	s_and_saveexec_b32 s1, s0
	s_xor_b32 s0, exec_lo, s1
; %bb.255:
	v_cmp_ne_u32_e32 vcc_lo, 0, v136
	v_cndmask_b32_e32 v136, 13, v136, vcc_lo
; %bb.256:
	s_and_not1_saveexec_b32 s0, s0
	s_cbranch_execz .LBB122_262
; %bb.257:
	v_cmp_ngt_f32_e64 s1, |v132|, |v133|
	s_and_saveexec_b32 s12, s1
	s_delay_alu instid0(SALU_CYCLE_1)
	s_xor_b32 s1, exec_lo, s12
	s_cbranch_execz .LBB122_259
; %bb.258:
	v_div_scale_f32 v131, null, v133, v133, v132
	v_div_scale_f32 v141, vcc_lo, v132, v133, v132
	s_delay_alu instid0(VALU_DEP_2) | instskip(SKIP_1) | instid1(TRANS32_DEP_1)
	v_rcp_f32_e32 v139, v131
	v_nop
	v_fma_f32 v140, -v131, v139, 1.0
	s_delay_alu instid0(VALU_DEP_1) | instskip(NEXT) | instid1(VALU_DEP_1)
	v_fmac_f32_e32 v139, v140, v139
	v_mul_f32_e32 v140, v141, v139
	s_delay_alu instid0(VALU_DEP_1) | instskip(NEXT) | instid1(VALU_DEP_1)
	v_fma_f32 v142, -v131, v140, v141
	v_fmac_f32_e32 v140, v142, v139
	s_delay_alu instid0(VALU_DEP_1) | instskip(NEXT) | instid1(VALU_DEP_1)
	v_fma_f32 v131, -v131, v140, v141
	v_div_fmas_f32 v131, v131, v139, v140
	s_delay_alu instid0(VALU_DEP_1) | instskip(NEXT) | instid1(VALU_DEP_1)
	v_div_fixup_f32 v131, v131, v133, v132
	v_fmac_f32_e32 v133, v132, v131
	s_delay_alu instid0(VALU_DEP_1) | instskip(SKIP_1) | instid1(VALU_DEP_2)
	v_div_scale_f32 v132, null, v133, v133, 1.0
	v_div_scale_f32 v141, vcc_lo, 1.0, v133, 1.0
	v_rcp_f32_e32 v139, v132
	v_nop
	s_delay_alu instid0(TRANS32_DEP_1) | instskip(NEXT) | instid1(VALU_DEP_1)
	v_fma_f32 v140, -v132, v139, 1.0
	v_fmac_f32_e32 v139, v140, v139
	s_delay_alu instid0(VALU_DEP_1) | instskip(NEXT) | instid1(VALU_DEP_1)
	v_mul_f32_e32 v140, v141, v139
	v_fma_f32 v142, -v132, v140, v141
	s_delay_alu instid0(VALU_DEP_1) | instskip(NEXT) | instid1(VALU_DEP_1)
	v_fmac_f32_e32 v140, v142, v139
	v_fma_f32 v132, -v132, v140, v141
	s_delay_alu instid0(VALU_DEP_1) | instskip(NEXT) | instid1(VALU_DEP_1)
	v_div_fmas_f32 v132, v132, v139, v140
	v_div_fixup_f32 v133, v132, v133, 1.0
	s_delay_alu instid0(VALU_DEP_1)
	v_mul_f32_e32 v132, v131, v133
	v_xor_b32_e32 v133, 0x80000000, v133
.LBB122_259:
	s_and_not1_saveexec_b32 s1, s1
	s_cbranch_execz .LBB122_261
; %bb.260:
	s_delay_alu instid0(VALU_DEP_1) | instskip(SKIP_1) | instid1(VALU_DEP_2)
	v_div_scale_f32 v131, null, v132, v132, v133
	v_div_scale_f32 v141, vcc_lo, v133, v132, v133
	v_rcp_f32_e32 v139, v131
	v_nop
	s_delay_alu instid0(TRANS32_DEP_1) | instskip(NEXT) | instid1(VALU_DEP_1)
	v_fma_f32 v140, -v131, v139, 1.0
	v_fmac_f32_e32 v139, v140, v139
	s_delay_alu instid0(VALU_DEP_1) | instskip(NEXT) | instid1(VALU_DEP_1)
	v_mul_f32_e32 v140, v141, v139
	v_fma_f32 v142, -v131, v140, v141
	s_delay_alu instid0(VALU_DEP_1) | instskip(NEXT) | instid1(VALU_DEP_1)
	v_fmac_f32_e32 v140, v142, v139
	v_fma_f32 v131, -v131, v140, v141
	s_delay_alu instid0(VALU_DEP_1) | instskip(NEXT) | instid1(VALU_DEP_1)
	v_div_fmas_f32 v131, v131, v139, v140
	v_div_fixup_f32 v131, v131, v132, v133
	s_delay_alu instid0(VALU_DEP_1) | instskip(NEXT) | instid1(VALU_DEP_1)
	v_fmac_f32_e32 v132, v133, v131
	v_div_scale_f32 v133, null, v132, v132, 1.0
	s_delay_alu instid0(VALU_DEP_1) | instskip(SKIP_1) | instid1(TRANS32_DEP_1)
	v_rcp_f32_e32 v139, v133
	v_nop
	v_fma_f32 v140, -v133, v139, 1.0
	s_delay_alu instid0(VALU_DEP_1) | instskip(SKIP_1) | instid1(VALU_DEP_1)
	v_fmac_f32_e32 v139, v140, v139
	v_div_scale_f32 v140, vcc_lo, 1.0, v132, 1.0
	v_mul_f32_e32 v141, v140, v139
	s_delay_alu instid0(VALU_DEP_1) | instskip(NEXT) | instid1(VALU_DEP_1)
	v_fma_f32 v142, -v133, v141, v140
	v_fmac_f32_e32 v141, v142, v139
	s_delay_alu instid0(VALU_DEP_1) | instskip(NEXT) | instid1(VALU_DEP_1)
	v_fma_f32 v133, -v133, v141, v140
	v_div_fmas_f32 v133, v133, v139, v141
	s_delay_alu instid0(VALU_DEP_1) | instskip(NEXT) | instid1(VALU_DEP_1)
	v_div_fixup_f32 v132, v133, v132, 1.0
	v_mul_f32_e64 v133, v131, -v132
.LBB122_261:
	s_or_b32 exec_lo, exec_lo, s1
.LBB122_262:
	s_delay_alu instid0(SALU_CYCLE_1) | instskip(NEXT) | instid1(SALU_CYCLE_1)
	s_or_b32 exec_lo, exec_lo, s0
	s_mov_b32 s0, exec_lo
	v_cmpx_ne_u32_e64 v138, v130
	s_xor_b32 s0, exec_lo, s0
	s_cbranch_execz .LBB122_268
; %bb.263:
	s_mov_b32 s1, exec_lo
	v_cmpx_eq_u32_e32 12, v138
	s_cbranch_execz .LBB122_267
; %bb.264:
	v_cmp_ne_u32_e32 vcc_lo, 12, v130
	s_xor_b32 s12, s16, -1
	s_delay_alu instid0(SALU_CYCLE_1) | instskip(NEXT) | instid1(SALU_CYCLE_1)
	s_and_b32 s13, s12, vcc_lo
	s_and_saveexec_b32 s12, s13
	s_cbranch_execz .LBB122_266
; %bb.265:
	v_ashrrev_i32_e32 v131, 31, v130
	s_delay_alu instid0(VALU_DEP_1)
	v_lshl_add_u64 v[138:139], v[130:131], 2, v[4:5]
	s_clause 0x1
	global_load_b32 v131, v[138:139], off
	global_load_b32 v137, v[4:5], off offset:48
	s_wait_loadcnt 0x1
	global_store_b32 v[4:5], v131, off offset:48
	s_wait_loadcnt 0x0
	global_store_b32 v[138:139], v137, off
.LBB122_266:
	s_wait_xcnt 0x0
	s_or_b32 exec_lo, exec_lo, s12
	v_dual_mov_b32 v138, v130 :: v_dual_mov_b32 v137, v130
.LBB122_267:
	s_or_b32 exec_lo, exec_lo, s1
.LBB122_268:
	s_and_not1_saveexec_b32 s0, s0
	s_cbranch_execz .LBB122_270
; %bb.269:
	v_mov_b32_e32 v138, 12
	ds_store_2addr_b64 v134, v[78:79], v[80:81] offset0:13 offset1:14
	ds_store_2addr_b64 v134, v[76:77], v[112:113] offset0:15 offset1:16
	;; [unrolled: 1-line block ×24, first 2 shown]
	ds_store_b64 v134, v[128:129] offset:488
.LBB122_270:
	s_or_b32 exec_lo, exec_lo, s0
	s_delay_alu instid0(SALU_CYCLE_1)
	s_mov_b32 s0, exec_lo
	s_wait_storecnt_dscnt 0x0
	s_barrier_signal -1
	s_barrier_wait -1
	v_cmpx_lt_i32_e32 12, v138
	s_cbranch_execz .LBB122_272
; %bb.271:
	v_pk_mul_f32 v[140:141], v[132:133], v[114:115] op_sel:[1,1] op_sel_hi:[0,1]
	s_delay_alu instid0(VALU_DEP_1)
	v_pk_fma_f32 v[130:131], v[132:133], v[114:115], v[140:141] op_sel_hi:[1,0,1] neg_lo:[0,0,1] neg_hi:[0,0,1]
	v_pk_fma_f32 v[132:133], v[132:133], v[114:115], v[140:141] op_sel_hi:[1,0,1]
	ds_load_2addr_b64 v[140:143], v134 offset0:13 offset1:14
	v_dual_mov_b32 v114, v130 :: v_dual_mov_b32 v115, v133
	s_wait_dscnt 0x0
	v_pk_mul_f32 v[144:145], v[140:141], v[132:133] op_sel:[0,1]
	s_delay_alu instid0(VALU_DEP_1) | instskip(SKIP_1) | instid1(VALU_DEP_1)
	v_pk_fma_f32 v[146:147], v[140:141], v[130:131], v[144:145] op_sel:[0,0,1] op_sel_hi:[1,1,0] neg_lo:[0,0,1] neg_hi:[0,0,1]
	v_pk_fma_f32 v[140:141], v[140:141], v[130:131], v[144:145] op_sel:[0,0,1] op_sel_hi:[1,0,0]
	v_mov_b32_e32 v147, v141
	v_pk_mul_f32 v[140:141], v[142:143], v[132:133] op_sel:[0,1]
	s_delay_alu instid0(VALU_DEP_1) | instskip(SKIP_1) | instid1(VALU_DEP_1)
	v_pk_fma_f32 v[144:145], v[142:143], v[130:131], v[140:141] op_sel:[0,0,1] op_sel_hi:[1,1,0] neg_lo:[0,0,1] neg_hi:[0,0,1]
	v_pk_fma_f32 v[140:141], v[142:143], v[130:131], v[140:141] op_sel:[0,0,1] op_sel_hi:[1,0,0]
	v_mov_b32_e32 v145, v141
	ds_load_2addr_b64 v[140:143], v134 offset0:15 offset1:16
	v_pk_add_f32 v[78:79], v[78:79], v[146:147] neg_lo:[0,1] neg_hi:[0,1]
	v_pk_add_f32 v[80:81], v[80:81], v[144:145] neg_lo:[0,1] neg_hi:[0,1]
	s_wait_dscnt 0x0
	v_pk_mul_f32 v[144:145], v[140:141], v[132:133] op_sel:[0,1]
	s_delay_alu instid0(VALU_DEP_1) | instskip(SKIP_2) | instid1(VALU_DEP_2)
	v_pk_fma_f32 v[146:147], v[140:141], v[130:131], v[144:145] op_sel:[0,0,1] op_sel_hi:[1,1,0] neg_lo:[0,0,1] neg_hi:[0,0,1]
	v_pk_fma_f32 v[140:141], v[140:141], v[130:131], v[144:145] op_sel:[0,0,1] op_sel_hi:[1,0,0]
	v_dual_mul_f32 v144, v143, v133 :: v_dual_mov_b32 v140, v143
	v_dual_mov_b32 v147, v141 :: v_dual_mov_b32 v141, v142
	s_delay_alu instid0(VALU_DEP_2) | instskip(SKIP_1) | instid1(VALU_DEP_3)
	v_pk_fma_f32 v[144:145], v[142:143], v[114:115], v[144:145] op_sel_hi:[1,1,0] neg_lo:[0,0,1] neg_hi:[0,0,1]
	v_mul_f32_e32 v142, v143, v130
	v_pk_add_f32 v[76:77], v[76:77], v[146:147] neg_lo:[0,1] neg_hi:[0,1]
	s_delay_alu instid0(VALU_DEP_2) | instskip(NEXT) | instid1(VALU_DEP_1)
	v_pk_fma_f32 v[140:141], v[140:141], v[114:115], v[142:143] op_sel_hi:[1,1,0]
	v_mov_b32_e32 v145, v141
	ds_load_2addr_b64 v[140:143], v134 offset0:17 offset1:18
	v_pk_add_f32 v[112:113], v[112:113], v[144:145] neg_lo:[0,1] neg_hi:[0,1]
	s_wait_dscnt 0x0
	v_pk_mul_f32 v[144:145], v[140:141], v[132:133] op_sel:[0,1]
	s_delay_alu instid0(VALU_DEP_1) | instskip(SKIP_1) | instid1(VALU_DEP_1)
	v_pk_fma_f32 v[146:147], v[140:141], v[130:131], v[144:145] op_sel:[0,0,1] op_sel_hi:[1,1,0] neg_lo:[0,0,1] neg_hi:[0,0,1]
	v_pk_fma_f32 v[140:141], v[140:141], v[130:131], v[144:145] op_sel:[0,0,1] op_sel_hi:[1,0,0]
	v_mov_b32_e32 v147, v141
	v_pk_mul_f32 v[140:141], v[142:143], v[132:133] op_sel:[0,1]
	s_delay_alu instid0(VALU_DEP_1) | instskip(SKIP_1) | instid1(VALU_DEP_1)
	v_pk_fma_f32 v[144:145], v[142:143], v[130:131], v[140:141] op_sel:[0,0,1] op_sel_hi:[1,1,0] neg_lo:[0,0,1] neg_hi:[0,0,1]
	v_pk_fma_f32 v[140:141], v[142:143], v[130:131], v[140:141] op_sel:[0,0,1] op_sel_hi:[1,0,0]
	v_mov_b32_e32 v145, v141
	ds_load_2addr_b64 v[140:143], v134 offset0:19 offset1:20
	v_pk_add_f32 v[72:73], v[72:73], v[146:147] neg_lo:[0,1] neg_hi:[0,1]
	v_pk_add_f32 v[74:75], v[74:75], v[144:145] neg_lo:[0,1] neg_hi:[0,1]
	s_wait_dscnt 0x0
	v_pk_mul_f32 v[144:145], v[140:141], v[132:133] op_sel:[0,1]
	s_delay_alu instid0(VALU_DEP_1) | instskip(SKIP_1) | instid1(VALU_DEP_1)
	v_pk_fma_f32 v[146:147], v[140:141], v[130:131], v[144:145] op_sel:[0,0,1] op_sel_hi:[1,1,0] neg_lo:[0,0,1] neg_hi:[0,0,1]
	v_pk_fma_f32 v[140:141], v[140:141], v[130:131], v[144:145] op_sel:[0,0,1] op_sel_hi:[1,0,0]
	v_mov_b32_e32 v147, v141
	v_pk_mul_f32 v[140:141], v[142:143], v[132:133] op_sel:[0,1]
	s_delay_alu instid0(VALU_DEP_1) | instskip(SKIP_1) | instid1(VALU_DEP_1)
	v_pk_fma_f32 v[144:145], v[142:143], v[130:131], v[140:141] op_sel:[0,0,1] op_sel_hi:[1,1,0] neg_lo:[0,0,1] neg_hi:[0,0,1]
	v_pk_fma_f32 v[140:141], v[142:143], v[130:131], v[140:141] op_sel:[0,0,1] op_sel_hi:[1,0,0]
	v_mov_b32_e32 v145, v141
	ds_load_2addr_b64 v[140:143], v134 offset0:21 offset1:22
	v_pk_add_f32 v[70:71], v[70:71], v[146:147] neg_lo:[0,1] neg_hi:[0,1]
	v_pk_add_f32 v[110:111], v[110:111], v[144:145] neg_lo:[0,1] neg_hi:[0,1]
	s_wait_dscnt 0x0
	v_dual_mul_f32 v144, v141, v133 :: v_dual_mul_f32 v146, v141, v130
	s_delay_alu instid0(VALU_DEP_1) | instskip(NEXT) | instid1(VALU_DEP_2)
	v_pk_fma_f32 v[144:145], v[140:141], v[114:115], v[144:145] op_sel_hi:[1,1,0] neg_lo:[0,0,1] neg_hi:[0,0,1]
	v_pk_fma_f32 v[140:141], v[140:141], v[114:115], v[146:147] op_sel:[1,0,0] op_sel_hi:[0,1,0]
	s_delay_alu instid0(VALU_DEP_1) | instskip(SKIP_1) | instid1(VALU_DEP_2)
	v_mov_b32_e32 v145, v141
	v_pk_mul_f32 v[140:141], v[142:143], v[132:133] op_sel:[0,1]
	v_pk_add_f32 v[66:67], v[66:67], v[144:145] neg_lo:[0,1] neg_hi:[0,1]
	s_delay_alu instid0(VALU_DEP_2) | instskip(SKIP_1) | instid1(VALU_DEP_1)
	v_pk_fma_f32 v[144:145], v[142:143], v[130:131], v[140:141] op_sel:[0,0,1] op_sel_hi:[1,1,0] neg_lo:[0,0,1] neg_hi:[0,0,1]
	v_pk_fma_f32 v[140:141], v[142:143], v[130:131], v[140:141] op_sel:[0,0,1] op_sel_hi:[1,0,0]
	v_mov_b32_e32 v145, v141
	ds_load_2addr_b64 v[140:143], v134 offset0:23 offset1:24
	v_pk_add_f32 v[68:69], v[68:69], v[144:145] neg_lo:[0,1] neg_hi:[0,1]
	s_wait_dscnt 0x0
	v_pk_mul_f32 v[144:145], v[140:141], v[132:133] op_sel:[0,1]
	s_delay_alu instid0(VALU_DEP_1) | instskip(SKIP_1) | instid1(VALU_DEP_1)
	v_pk_fma_f32 v[146:147], v[140:141], v[130:131], v[144:145] op_sel:[0,0,1] op_sel_hi:[1,1,0] neg_lo:[0,0,1] neg_hi:[0,0,1]
	v_pk_fma_f32 v[140:141], v[140:141], v[130:131], v[144:145] op_sel:[0,0,1] op_sel_hi:[1,0,0]
	v_mov_b32_e32 v147, v141
	v_pk_mul_f32 v[140:141], v[142:143], v[132:133] op_sel:[0,1]
	s_delay_alu instid0(VALU_DEP_2) | instskip(NEXT) | instid1(VALU_DEP_2)
	v_pk_add_f32 v[64:65], v[64:65], v[146:147] neg_lo:[0,1] neg_hi:[0,1]
	v_pk_fma_f32 v[144:145], v[142:143], v[130:131], v[140:141] op_sel:[0,0,1] op_sel_hi:[1,1,0] neg_lo:[0,0,1] neg_hi:[0,0,1]
	v_pk_fma_f32 v[140:141], v[142:143], v[130:131], v[140:141] op_sel:[0,0,1] op_sel_hi:[1,0,0]
	s_delay_alu instid0(VALU_DEP_1) | instskip(SKIP_4) | instid1(VALU_DEP_1)
	v_mov_b32_e32 v145, v141
	ds_load_2addr_b64 v[140:143], v134 offset0:25 offset1:26
	v_pk_add_f32 v[108:109], v[108:109], v[144:145] neg_lo:[0,1] neg_hi:[0,1]
	s_wait_dscnt 0x0
	v_pk_mul_f32 v[144:145], v[140:141], v[132:133] op_sel:[0,1]
	v_pk_fma_f32 v[146:147], v[140:141], v[130:131], v[144:145] op_sel:[0,0,1] op_sel_hi:[1,1,0] neg_lo:[0,0,1] neg_hi:[0,0,1]
	v_pk_fma_f32 v[140:141], v[140:141], v[130:131], v[144:145] op_sel:[0,0,1] op_sel_hi:[1,0,0]
	v_dual_mul_f32 v144, v143, v133 :: v_dual_mov_b32 v140, v143
	s_delay_alu instid0(VALU_DEP_2) | instskip(NEXT) | instid1(VALU_DEP_2)
	v_dual_mov_b32 v147, v141 :: v_dual_mov_b32 v141, v142
	v_pk_fma_f32 v[144:145], v[142:143], v[114:115], v[144:145] op_sel_hi:[1,1,0] neg_lo:[0,0,1] neg_hi:[0,0,1]
	v_mul_f32_e32 v142, v143, v130
	s_delay_alu instid0(VALU_DEP_3) | instskip(NEXT) | instid1(VALU_DEP_2)
	v_pk_add_f32 v[60:61], v[60:61], v[146:147] neg_lo:[0,1] neg_hi:[0,1]
	v_pk_fma_f32 v[140:141], v[140:141], v[114:115], v[142:143] op_sel_hi:[1,1,0]
	s_delay_alu instid0(VALU_DEP_1) | instskip(SKIP_4) | instid1(VALU_DEP_1)
	v_mov_b32_e32 v145, v141
	ds_load_2addr_b64 v[140:143], v134 offset0:27 offset1:28
	v_pk_add_f32 v[62:63], v[62:63], v[144:145] neg_lo:[0,1] neg_hi:[0,1]
	s_wait_dscnt 0x0
	v_pk_mul_f32 v[144:145], v[140:141], v[132:133] op_sel:[0,1]
	v_pk_fma_f32 v[146:147], v[140:141], v[130:131], v[144:145] op_sel:[0,0,1] op_sel_hi:[1,1,0] neg_lo:[0,0,1] neg_hi:[0,0,1]
	v_pk_fma_f32 v[140:141], v[140:141], v[130:131], v[144:145] op_sel:[0,0,1] op_sel_hi:[1,0,0]
	s_delay_alu instid0(VALU_DEP_1) | instskip(SKIP_1) | instid1(VALU_DEP_1)
	v_mov_b32_e32 v147, v141
	v_pk_mul_f32 v[140:141], v[142:143], v[132:133] op_sel:[0,1]
	v_pk_fma_f32 v[144:145], v[142:143], v[130:131], v[140:141] op_sel:[0,0,1] op_sel_hi:[1,1,0] neg_lo:[0,0,1] neg_hi:[0,0,1]
	v_pk_fma_f32 v[140:141], v[142:143], v[130:131], v[140:141] op_sel:[0,0,1] op_sel_hi:[1,0,0]
	s_delay_alu instid0(VALU_DEP_1)
	v_mov_b32_e32 v145, v141
	ds_load_2addr_b64 v[140:143], v134 offset0:29 offset1:30
	v_pk_add_f32 v[58:59], v[58:59], v[146:147] neg_lo:[0,1] neg_hi:[0,1]
	v_pk_add_f32 v[106:107], v[106:107], v[144:145] neg_lo:[0,1] neg_hi:[0,1]
	s_wait_dscnt 0x0
	v_pk_mul_f32 v[144:145], v[140:141], v[132:133] op_sel:[0,1]
	s_delay_alu instid0(VALU_DEP_1) | instskip(SKIP_1) | instid1(VALU_DEP_1)
	v_pk_fma_f32 v[146:147], v[140:141], v[130:131], v[144:145] op_sel:[0,0,1] op_sel_hi:[1,1,0] neg_lo:[0,0,1] neg_hi:[0,0,1]
	v_pk_fma_f32 v[140:141], v[140:141], v[130:131], v[144:145] op_sel:[0,0,1] op_sel_hi:[1,0,0]
	v_mov_b32_e32 v147, v141
	v_pk_mul_f32 v[140:141], v[142:143], v[132:133] op_sel:[0,1]
	s_delay_alu instid0(VALU_DEP_1) | instskip(SKIP_1) | instid1(VALU_DEP_1)
	v_pk_fma_f32 v[144:145], v[142:143], v[130:131], v[140:141] op_sel:[0,0,1] op_sel_hi:[1,1,0] neg_lo:[0,0,1] neg_hi:[0,0,1]
	v_pk_fma_f32 v[140:141], v[142:143], v[130:131], v[140:141] op_sel:[0,0,1] op_sel_hi:[1,0,0]
	v_mov_b32_e32 v145, v141
	ds_load_2addr_b64 v[140:143], v134 offset0:31 offset1:32
	v_pk_add_f32 v[54:55], v[54:55], v[146:147] neg_lo:[0,1] neg_hi:[0,1]
	v_pk_add_f32 v[56:57], v[56:57], v[144:145] neg_lo:[0,1] neg_hi:[0,1]
	s_wait_dscnt 0x0
	v_dual_mul_f32 v144, v141, v133 :: v_dual_mul_f32 v146, v141, v130
	s_delay_alu instid0(VALU_DEP_1) | instskip(NEXT) | instid1(VALU_DEP_2)
	v_pk_fma_f32 v[144:145], v[140:141], v[114:115], v[144:145] op_sel_hi:[1,1,0] neg_lo:[0,0,1] neg_hi:[0,0,1]
	v_pk_fma_f32 v[140:141], v[140:141], v[114:115], v[146:147] op_sel:[1,0,0] op_sel_hi:[0,1,0]
	s_delay_alu instid0(VALU_DEP_1) | instskip(SKIP_1) | instid1(VALU_DEP_2)
	v_mov_b32_e32 v145, v141
	v_pk_mul_f32 v[140:141], v[142:143], v[132:133] op_sel:[0,1]
	v_pk_add_f32 v[52:53], v[52:53], v[144:145] neg_lo:[0,1] neg_hi:[0,1]
	s_delay_alu instid0(VALU_DEP_2) | instskip(SKIP_1) | instid1(VALU_DEP_1)
	v_pk_fma_f32 v[144:145], v[142:143], v[130:131], v[140:141] op_sel:[0,0,1] op_sel_hi:[1,1,0] neg_lo:[0,0,1] neg_hi:[0,0,1]
	v_pk_fma_f32 v[140:141], v[142:143], v[130:131], v[140:141] op_sel:[0,0,1] op_sel_hi:[1,0,0]
	v_mov_b32_e32 v145, v141
	ds_load_2addr_b64 v[140:143], v134 offset0:33 offset1:34
	v_pk_add_f32 v[104:105], v[104:105], v[144:145] neg_lo:[0,1] neg_hi:[0,1]
	s_wait_dscnt 0x0
	v_pk_mul_f32 v[144:145], v[140:141], v[132:133] op_sel:[0,1]
	s_delay_alu instid0(VALU_DEP_1) | instskip(SKIP_1) | instid1(VALU_DEP_1)
	v_pk_fma_f32 v[146:147], v[140:141], v[130:131], v[144:145] op_sel:[0,0,1] op_sel_hi:[1,1,0] neg_lo:[0,0,1] neg_hi:[0,0,1]
	v_pk_fma_f32 v[140:141], v[140:141], v[130:131], v[144:145] op_sel:[0,0,1] op_sel_hi:[1,0,0]
	v_mov_b32_e32 v147, v141
	v_pk_mul_f32 v[140:141], v[142:143], v[132:133] op_sel:[0,1]
	s_delay_alu instid0(VALU_DEP_2) | instskip(NEXT) | instid1(VALU_DEP_2)
	v_pk_add_f32 v[48:49], v[48:49], v[146:147] neg_lo:[0,1] neg_hi:[0,1]
	v_pk_fma_f32 v[144:145], v[142:143], v[130:131], v[140:141] op_sel:[0,0,1] op_sel_hi:[1,1,0] neg_lo:[0,0,1] neg_hi:[0,0,1]
	v_pk_fma_f32 v[140:141], v[142:143], v[130:131], v[140:141] op_sel:[0,0,1] op_sel_hi:[1,0,0]
	s_delay_alu instid0(VALU_DEP_1) | instskip(SKIP_4) | instid1(VALU_DEP_1)
	v_mov_b32_e32 v145, v141
	ds_load_2addr_b64 v[140:143], v134 offset0:35 offset1:36
	v_pk_add_f32 v[50:51], v[50:51], v[144:145] neg_lo:[0,1] neg_hi:[0,1]
	s_wait_dscnt 0x0
	v_pk_mul_f32 v[144:145], v[140:141], v[132:133] op_sel:[0,1]
	v_pk_fma_f32 v[146:147], v[140:141], v[130:131], v[144:145] op_sel:[0,0,1] op_sel_hi:[1,1,0] neg_lo:[0,0,1] neg_hi:[0,0,1]
	v_pk_fma_f32 v[140:141], v[140:141], v[130:131], v[144:145] op_sel:[0,0,1] op_sel_hi:[1,0,0]
	v_dual_mul_f32 v144, v143, v133 :: v_dual_mov_b32 v140, v143
	s_delay_alu instid0(VALU_DEP_2) | instskip(NEXT) | instid1(VALU_DEP_2)
	v_dual_mov_b32 v147, v141 :: v_dual_mov_b32 v141, v142
	v_pk_fma_f32 v[144:145], v[142:143], v[114:115], v[144:145] op_sel_hi:[1,1,0] neg_lo:[0,0,1] neg_hi:[0,0,1]
	v_mul_f32_e32 v142, v143, v130
	s_delay_alu instid0(VALU_DEP_3) | instskip(NEXT) | instid1(VALU_DEP_2)
	v_pk_add_f32 v[46:47], v[46:47], v[146:147] neg_lo:[0,1] neg_hi:[0,1]
	v_pk_fma_f32 v[140:141], v[140:141], v[114:115], v[142:143] op_sel_hi:[1,1,0]
	s_delay_alu instid0(VALU_DEP_1) | instskip(SKIP_4) | instid1(VALU_DEP_1)
	v_mov_b32_e32 v145, v141
	ds_load_2addr_b64 v[140:143], v134 offset0:37 offset1:38
	v_pk_add_f32 v[102:103], v[102:103], v[144:145] neg_lo:[0,1] neg_hi:[0,1]
	s_wait_dscnt 0x0
	v_pk_mul_f32 v[144:145], v[140:141], v[132:133] op_sel:[0,1]
	v_pk_fma_f32 v[146:147], v[140:141], v[130:131], v[144:145] op_sel:[0,0,1] op_sel_hi:[1,1,0] neg_lo:[0,0,1] neg_hi:[0,0,1]
	v_pk_fma_f32 v[140:141], v[140:141], v[130:131], v[144:145] op_sel:[0,0,1] op_sel_hi:[1,0,0]
	s_delay_alu instid0(VALU_DEP_1) | instskip(SKIP_1) | instid1(VALU_DEP_1)
	v_mov_b32_e32 v147, v141
	v_pk_mul_f32 v[140:141], v[142:143], v[132:133] op_sel:[0,1]
	v_pk_fma_f32 v[144:145], v[142:143], v[130:131], v[140:141] op_sel:[0,0,1] op_sel_hi:[1,1,0] neg_lo:[0,0,1] neg_hi:[0,0,1]
	v_pk_fma_f32 v[140:141], v[142:143], v[130:131], v[140:141] op_sel:[0,0,1] op_sel_hi:[1,0,0]
	s_delay_alu instid0(VALU_DEP_1)
	v_mov_b32_e32 v145, v141
	ds_load_2addr_b64 v[140:143], v134 offset0:39 offset1:40
	v_pk_add_f32 v[40:41], v[40:41], v[146:147] neg_lo:[0,1] neg_hi:[0,1]
	v_pk_add_f32 v[42:43], v[42:43], v[144:145] neg_lo:[0,1] neg_hi:[0,1]
	s_wait_dscnt 0x0
	v_pk_mul_f32 v[144:145], v[140:141], v[132:133] op_sel:[0,1]
	s_delay_alu instid0(VALU_DEP_1) | instskip(SKIP_1) | instid1(VALU_DEP_1)
	v_pk_fma_f32 v[146:147], v[140:141], v[130:131], v[144:145] op_sel:[0,0,1] op_sel_hi:[1,1,0] neg_lo:[0,0,1] neg_hi:[0,0,1]
	v_pk_fma_f32 v[140:141], v[140:141], v[130:131], v[144:145] op_sel:[0,0,1] op_sel_hi:[1,0,0]
	v_mov_b32_e32 v147, v141
	v_pk_mul_f32 v[140:141], v[142:143], v[132:133] op_sel:[0,1]
	s_delay_alu instid0(VALU_DEP_1) | instskip(SKIP_1) | instid1(VALU_DEP_1)
	v_pk_fma_f32 v[144:145], v[142:143], v[130:131], v[140:141] op_sel:[0,0,1] op_sel_hi:[1,1,0] neg_lo:[0,0,1] neg_hi:[0,0,1]
	v_pk_fma_f32 v[140:141], v[142:143], v[130:131], v[140:141] op_sel:[0,0,1] op_sel_hi:[1,0,0]
	v_mov_b32_e32 v145, v141
	ds_load_2addr_b64 v[140:143], v134 offset0:41 offset1:42
	v_pk_add_f32 v[38:39], v[38:39], v[146:147] neg_lo:[0,1] neg_hi:[0,1]
	v_pk_add_f32 v[100:101], v[100:101], v[144:145] neg_lo:[0,1] neg_hi:[0,1]
	s_wait_dscnt 0x0
	v_dual_mul_f32 v144, v141, v133 :: v_dual_mul_f32 v146, v141, v130
	s_delay_alu instid0(VALU_DEP_1) | instskip(NEXT) | instid1(VALU_DEP_2)
	v_pk_fma_f32 v[144:145], v[140:141], v[114:115], v[144:145] op_sel_hi:[1,1,0] neg_lo:[0,0,1] neg_hi:[0,0,1]
	v_pk_fma_f32 v[140:141], v[140:141], v[114:115], v[146:147] op_sel:[1,0,0] op_sel_hi:[0,1,0]
	s_delay_alu instid0(VALU_DEP_1) | instskip(SKIP_1) | instid1(VALU_DEP_2)
	v_mov_b32_e32 v145, v141
	v_pk_mul_f32 v[140:141], v[142:143], v[132:133] op_sel:[0,1]
	v_pk_add_f32 v[32:33], v[32:33], v[144:145] neg_lo:[0,1] neg_hi:[0,1]
	s_delay_alu instid0(VALU_DEP_2) | instskip(SKIP_1) | instid1(VALU_DEP_1)
	v_pk_fma_f32 v[144:145], v[142:143], v[130:131], v[140:141] op_sel:[0,0,1] op_sel_hi:[1,1,0] neg_lo:[0,0,1] neg_hi:[0,0,1]
	v_pk_fma_f32 v[140:141], v[142:143], v[130:131], v[140:141] op_sel:[0,0,1] op_sel_hi:[1,0,0]
	v_mov_b32_e32 v145, v141
	ds_load_2addr_b64 v[140:143], v134 offset0:43 offset1:44
	v_pk_add_f32 v[34:35], v[34:35], v[144:145] neg_lo:[0,1] neg_hi:[0,1]
	s_wait_dscnt 0x0
	v_pk_mul_f32 v[144:145], v[140:141], v[132:133] op_sel:[0,1]
	s_delay_alu instid0(VALU_DEP_1) | instskip(SKIP_1) | instid1(VALU_DEP_1)
	v_pk_fma_f32 v[146:147], v[140:141], v[130:131], v[144:145] op_sel:[0,0,1] op_sel_hi:[1,1,0] neg_lo:[0,0,1] neg_hi:[0,0,1]
	v_pk_fma_f32 v[140:141], v[140:141], v[130:131], v[144:145] op_sel:[0,0,1] op_sel_hi:[1,0,0]
	v_mov_b32_e32 v147, v141
	v_pk_mul_f32 v[140:141], v[142:143], v[132:133] op_sel:[0,1]
	s_delay_alu instid0(VALU_DEP_2) | instskip(NEXT) | instid1(VALU_DEP_2)
	v_pk_add_f32 v[30:31], v[30:31], v[146:147] neg_lo:[0,1] neg_hi:[0,1]
	v_pk_fma_f32 v[144:145], v[142:143], v[130:131], v[140:141] op_sel:[0,0,1] op_sel_hi:[1,1,0] neg_lo:[0,0,1] neg_hi:[0,0,1]
	v_pk_fma_f32 v[140:141], v[142:143], v[130:131], v[140:141] op_sel:[0,0,1] op_sel_hi:[1,0,0]
	s_delay_alu instid0(VALU_DEP_1) | instskip(SKIP_4) | instid1(VALU_DEP_1)
	v_mov_b32_e32 v145, v141
	ds_load_2addr_b64 v[140:143], v134 offset0:45 offset1:46
	v_pk_add_f32 v[98:99], v[98:99], v[144:145] neg_lo:[0,1] neg_hi:[0,1]
	s_wait_dscnt 0x0
	v_pk_mul_f32 v[144:145], v[140:141], v[132:133] op_sel:[0,1]
	v_pk_fma_f32 v[146:147], v[140:141], v[130:131], v[144:145] op_sel:[0,0,1] op_sel_hi:[1,1,0] neg_lo:[0,0,1] neg_hi:[0,0,1]
	v_pk_fma_f32 v[140:141], v[140:141], v[130:131], v[144:145] op_sel:[0,0,1] op_sel_hi:[1,0,0]
	v_dual_mul_f32 v144, v143, v133 :: v_dual_mov_b32 v140, v143
	s_delay_alu instid0(VALU_DEP_2) | instskip(NEXT) | instid1(VALU_DEP_2)
	v_dual_mov_b32 v147, v141 :: v_dual_mov_b32 v141, v142
	v_pk_fma_f32 v[144:145], v[142:143], v[114:115], v[144:145] op_sel_hi:[1,1,0] neg_lo:[0,0,1] neg_hi:[0,0,1]
	v_mul_f32_e32 v142, v143, v130
	s_delay_alu instid0(VALU_DEP_3) | instskip(NEXT) | instid1(VALU_DEP_2)
	v_pk_add_f32 v[24:25], v[24:25], v[146:147] neg_lo:[0,1] neg_hi:[0,1]
	v_pk_fma_f32 v[140:141], v[140:141], v[114:115], v[142:143] op_sel_hi:[1,1,0]
	s_delay_alu instid0(VALU_DEP_1) | instskip(SKIP_4) | instid1(VALU_DEP_1)
	v_mov_b32_e32 v145, v141
	ds_load_2addr_b64 v[140:143], v134 offset0:47 offset1:48
	v_pk_add_f32 v[28:29], v[28:29], v[144:145] neg_lo:[0,1] neg_hi:[0,1]
	s_wait_dscnt 0x0
	v_pk_mul_f32 v[144:145], v[140:141], v[132:133] op_sel:[0,1]
	v_pk_fma_f32 v[146:147], v[140:141], v[130:131], v[144:145] op_sel:[0,0,1] op_sel_hi:[1,1,0] neg_lo:[0,0,1] neg_hi:[0,0,1]
	v_pk_fma_f32 v[140:141], v[140:141], v[130:131], v[144:145] op_sel:[0,0,1] op_sel_hi:[1,0,0]
	s_delay_alu instid0(VALU_DEP_1) | instskip(SKIP_1) | instid1(VALU_DEP_1)
	v_mov_b32_e32 v147, v141
	v_pk_mul_f32 v[140:141], v[142:143], v[132:133] op_sel:[0,1]
	v_pk_fma_f32 v[144:145], v[142:143], v[130:131], v[140:141] op_sel:[0,0,1] op_sel_hi:[1,1,0] neg_lo:[0,0,1] neg_hi:[0,0,1]
	v_pk_fma_f32 v[140:141], v[142:143], v[130:131], v[140:141] op_sel:[0,0,1] op_sel_hi:[1,0,0]
	s_delay_alu instid0(VALU_DEP_1)
	v_mov_b32_e32 v145, v141
	ds_load_2addr_b64 v[140:143], v134 offset0:49 offset1:50
	v_pk_add_f32 v[22:23], v[22:23], v[146:147] neg_lo:[0,1] neg_hi:[0,1]
	v_pk_add_f32 v[96:97], v[96:97], v[144:145] neg_lo:[0,1] neg_hi:[0,1]
	s_wait_dscnt 0x0
	v_pk_mul_f32 v[144:145], v[140:141], v[132:133] op_sel:[0,1]
	s_delay_alu instid0(VALU_DEP_1) | instskip(SKIP_1) | instid1(VALU_DEP_1)
	v_pk_fma_f32 v[146:147], v[140:141], v[130:131], v[144:145] op_sel:[0,0,1] op_sel_hi:[1,1,0] neg_lo:[0,0,1] neg_hi:[0,0,1]
	v_pk_fma_f32 v[140:141], v[140:141], v[130:131], v[144:145] op_sel:[0,0,1] op_sel_hi:[1,0,0]
	v_mov_b32_e32 v147, v141
	v_pk_mul_f32 v[140:141], v[142:143], v[132:133] op_sel:[0,1]
	s_delay_alu instid0(VALU_DEP_1) | instskip(SKIP_1) | instid1(VALU_DEP_1)
	v_pk_fma_f32 v[144:145], v[142:143], v[130:131], v[140:141] op_sel:[0,0,1] op_sel_hi:[1,1,0] neg_lo:[0,0,1] neg_hi:[0,0,1]
	v_pk_fma_f32 v[140:141], v[142:143], v[130:131], v[140:141] op_sel:[0,0,1] op_sel_hi:[1,0,0]
	v_mov_b32_e32 v145, v141
	ds_load_2addr_b64 v[140:143], v134 offset0:51 offset1:52
	v_pk_add_f32 v[18:19], v[18:19], v[146:147] neg_lo:[0,1] neg_hi:[0,1]
	v_pk_add_f32 v[20:21], v[20:21], v[144:145] neg_lo:[0,1] neg_hi:[0,1]
	s_wait_dscnt 0x0
	v_dual_mul_f32 v144, v141, v133 :: v_dual_mul_f32 v146, v141, v130
	s_delay_alu instid0(VALU_DEP_1) | instskip(NEXT) | instid1(VALU_DEP_2)
	v_pk_fma_f32 v[144:145], v[140:141], v[114:115], v[144:145] op_sel_hi:[1,1,0] neg_lo:[0,0,1] neg_hi:[0,0,1]
	v_pk_fma_f32 v[140:141], v[140:141], v[114:115], v[146:147] op_sel:[1,0,0] op_sel_hi:[0,1,0]
	s_delay_alu instid0(VALU_DEP_1) | instskip(SKIP_1) | instid1(VALU_DEP_2)
	v_mov_b32_e32 v145, v141
	v_pk_mul_f32 v[140:141], v[142:143], v[132:133] op_sel:[0,1]
	v_pk_add_f32 v[36:37], v[36:37], v[144:145] neg_lo:[0,1] neg_hi:[0,1]
	s_delay_alu instid0(VALU_DEP_2) | instskip(SKIP_1) | instid1(VALU_DEP_1)
	v_pk_fma_f32 v[144:145], v[142:143], v[130:131], v[140:141] op_sel:[0,0,1] op_sel_hi:[1,1,0] neg_lo:[0,0,1] neg_hi:[0,0,1]
	v_pk_fma_f32 v[140:141], v[142:143], v[130:131], v[140:141] op_sel:[0,0,1] op_sel_hi:[1,0,0]
	v_mov_b32_e32 v145, v141
	ds_load_2addr_b64 v[140:143], v134 offset0:53 offset1:54
	v_pk_add_f32 v[86:87], v[86:87], v[144:145] neg_lo:[0,1] neg_hi:[0,1]
	s_wait_dscnt 0x0
	v_pk_mul_f32 v[144:145], v[140:141], v[132:133] op_sel:[0,1]
	s_delay_alu instid0(VALU_DEP_1) | instskip(SKIP_1) | instid1(VALU_DEP_1)
	v_pk_fma_f32 v[146:147], v[140:141], v[130:131], v[144:145] op_sel:[0,0,1] op_sel_hi:[1,1,0] neg_lo:[0,0,1] neg_hi:[0,0,1]
	v_pk_fma_f32 v[140:141], v[140:141], v[130:131], v[144:145] op_sel:[0,0,1] op_sel_hi:[1,0,0]
	v_mov_b32_e32 v147, v141
	v_pk_mul_f32 v[140:141], v[142:143], v[132:133] op_sel:[0,1]
	s_delay_alu instid0(VALU_DEP_2) | instskip(NEXT) | instid1(VALU_DEP_2)
	v_pk_add_f32 v[10:11], v[10:11], v[146:147] neg_lo:[0,1] neg_hi:[0,1]
	v_pk_fma_f32 v[144:145], v[142:143], v[130:131], v[140:141] op_sel:[0,0,1] op_sel_hi:[1,1,0] neg_lo:[0,0,1] neg_hi:[0,0,1]
	v_pk_fma_f32 v[140:141], v[142:143], v[130:131], v[140:141] op_sel:[0,0,1] op_sel_hi:[1,0,0]
	s_delay_alu instid0(VALU_DEP_1) | instskip(SKIP_4) | instid1(VALU_DEP_1)
	v_mov_b32_e32 v145, v141
	ds_load_2addr_b64 v[140:143], v134 offset0:55 offset1:56
	v_pk_add_f32 v[12:13], v[12:13], v[144:145] neg_lo:[0,1] neg_hi:[0,1]
	s_wait_dscnt 0x0
	v_pk_mul_f32 v[144:145], v[140:141], v[132:133] op_sel:[0,1]
	v_pk_fma_f32 v[146:147], v[140:141], v[130:131], v[144:145] op_sel:[0,0,1] op_sel_hi:[1,1,0] neg_lo:[0,0,1] neg_hi:[0,0,1]
	v_pk_fma_f32 v[140:141], v[140:141], v[130:131], v[144:145] op_sel:[0,0,1] op_sel_hi:[1,0,0]
	v_dual_mul_f32 v144, v143, v133 :: v_dual_mov_b32 v140, v143
	s_delay_alu instid0(VALU_DEP_2) | instskip(NEXT) | instid1(VALU_DEP_2)
	v_dual_mov_b32 v147, v141 :: v_dual_mov_b32 v141, v142
	v_pk_fma_f32 v[144:145], v[142:143], v[114:115], v[144:145] op_sel_hi:[1,1,0] neg_lo:[0,0,1] neg_hi:[0,0,1]
	v_mul_f32_e32 v142, v143, v130
	s_delay_alu instid0(VALU_DEP_3) | instskip(NEXT) | instid1(VALU_DEP_2)
	v_pk_add_f32 v[8:9], v[8:9], v[146:147] neg_lo:[0,1] neg_hi:[0,1]
	v_pk_fma_f32 v[140:141], v[140:141], v[114:115], v[142:143] op_sel_hi:[1,1,0]
	s_delay_alu instid0(VALU_DEP_1) | instskip(SKIP_4) | instid1(VALU_DEP_1)
	v_mov_b32_e32 v145, v141
	ds_load_2addr_b64 v[140:143], v134 offset0:57 offset1:58
	v_pk_add_f32 v[44:45], v[44:45], v[144:145] neg_lo:[0,1] neg_hi:[0,1]
	s_wait_dscnt 0x0
	v_pk_mul_f32 v[144:145], v[140:141], v[132:133] op_sel:[0,1]
	v_pk_fma_f32 v[146:147], v[140:141], v[130:131], v[144:145] op_sel:[0,0,1] op_sel_hi:[1,1,0] neg_lo:[0,0,1] neg_hi:[0,0,1]
	v_pk_fma_f32 v[140:141], v[140:141], v[130:131], v[144:145] op_sel:[0,0,1] op_sel_hi:[1,0,0]
	s_delay_alu instid0(VALU_DEP_1) | instskip(SKIP_1) | instid1(VALU_DEP_1)
	v_mov_b32_e32 v147, v141
	v_pk_mul_f32 v[140:141], v[142:143], v[132:133] op_sel:[0,1]
	v_pk_fma_f32 v[144:145], v[142:143], v[130:131], v[140:141] op_sel:[0,0,1] op_sel_hi:[1,1,0] neg_lo:[0,0,1] neg_hi:[0,0,1]
	v_pk_fma_f32 v[140:141], v[142:143], v[130:131], v[140:141] op_sel:[0,0,1] op_sel_hi:[1,0,0]
	s_delay_alu instid0(VALU_DEP_1)
	v_mov_b32_e32 v145, v141
	ds_load_2addr_b64 v[140:143], v134 offset0:59 offset1:60
	v_pk_add_f32 v[6:7], v[6:7], v[146:147] neg_lo:[0,1] neg_hi:[0,1]
	v_pk_add_f32 v[26:27], v[26:27], v[144:145] neg_lo:[0,1] neg_hi:[0,1]
	s_wait_dscnt 0x0
	v_pk_mul_f32 v[144:145], v[140:141], v[132:133] op_sel:[0,1]
	s_delay_alu instid0(VALU_DEP_1) | instskip(SKIP_1) | instid1(VALU_DEP_1)
	v_pk_fma_f32 v[146:147], v[140:141], v[130:131], v[144:145] op_sel:[0,0,1] op_sel_hi:[1,1,0] neg_lo:[0,0,1] neg_hi:[0,0,1]
	v_pk_fma_f32 v[140:141], v[140:141], v[130:131], v[144:145] op_sel:[0,0,1] op_sel_hi:[1,0,0]
	v_mov_b32_e32 v147, v141
	v_pk_mul_f32 v[140:141], v[142:143], v[132:133] op_sel:[0,1]
	s_delay_alu instid0(VALU_DEP_1) | instskip(SKIP_1) | instid1(VALU_DEP_1)
	v_pk_fma_f32 v[144:145], v[142:143], v[130:131], v[140:141] op_sel:[0,0,1] op_sel_hi:[1,1,0] neg_lo:[0,0,1] neg_hi:[0,0,1]
	v_pk_fma_f32 v[140:141], v[142:143], v[130:131], v[140:141] op_sel:[0,0,1] op_sel_hi:[1,0,0]
	v_mov_b32_e32 v145, v141
	ds_load_b64 v[140:141], v134 offset:488
	v_pk_add_f32 v[16:17], v[16:17], v[146:147] neg_lo:[0,1] neg_hi:[0,1]
	v_pk_add_f32 v[14:15], v[14:15], v[144:145] neg_lo:[0,1] neg_hi:[0,1]
	s_wait_dscnt 0x0
	v_pk_mul_f32 v[132:133], v[140:141], v[132:133] op_sel:[0,1]
	s_delay_alu instid0(VALU_DEP_1) | instskip(SKIP_1) | instid1(VALU_DEP_1)
	v_pk_fma_f32 v[142:143], v[140:141], v[130:131], v[132:133] op_sel:[0,0,1] op_sel_hi:[1,1,0] neg_lo:[0,0,1] neg_hi:[0,0,1]
	v_pk_fma_f32 v[130:131], v[140:141], v[130:131], v[132:133] op_sel:[0,0,1] op_sel_hi:[1,0,0]
	v_mov_b32_e32 v143, v131
	s_delay_alu instid0(VALU_DEP_1)
	v_pk_add_f32 v[128:129], v[128:129], v[142:143] neg_lo:[0,1] neg_hi:[0,1]
.LBB122_272:
	s_or_b32 exec_lo, exec_lo, s0
	v_lshl_add_u32 v130, v138, 3, v134
	s_barrier_signal -1
	s_barrier_wait -1
	ds_store_b64 v130, v[78:79]
	s_wait_dscnt 0x0
	s_barrier_signal -1
	s_barrier_wait -1
	ds_load_b64 v[132:133], v134 offset:104
	v_mov_b32_e32 v130, 13
	s_cmp_lt_i32 s18, 15
	s_cbranch_scc1 .LBB122_275
; %bb.273:
	v_add3_u32 v131, v135, 0, 0x70
	v_mov_b32_e32 v130, 13
	s_mov_b32 s0, 14
.LBB122_274:                            ; =>This Inner Loop Header: Depth=1
	ds_load_b64 v[140:141], v131
	s_wait_dscnt 0x1
	v_cmp_gt_f32_e32 vcc_lo, 0, v132
	v_cndmask_b32_e64 v142, v132, -v132, vcc_lo
	v_cmp_gt_f32_e32 vcc_lo, 0, v133
	v_cndmask_b32_e64 v144, v133, -v133, vcc_lo
	s_wait_dscnt 0x0
	v_cmp_gt_f32_e32 vcc_lo, 0, v140
	v_cndmask_b32_e64 v143, v140, -v140, vcc_lo
	v_cmp_gt_f32_e32 vcc_lo, 0, v141
	v_cndmask_b32_e64 v145, v141, -v141, vcc_lo
	s_delay_alu instid0(VALU_DEP_1) | instskip(NEXT) | instid1(VALU_DEP_1)
	v_pk_add_f32 v[142:143], v[142:143], v[144:145]
	v_cmp_lt_f32_e32 vcc_lo, v142, v143
	v_dual_add_nc_u32 v131, 8, v131 :: v_dual_cndmask_b32 v133, v133, v141, vcc_lo
	v_cndmask_b32_e32 v132, v132, v140, vcc_lo
	v_cndmask_b32_e64 v130, v130, s0, vcc_lo
	s_add_co_i32 s0, s0, 1
	s_delay_alu instid0(SALU_CYCLE_1)
	s_cmp_lg_u32 s18, s0
	s_cbranch_scc1 .LBB122_274
.LBB122_275:
	s_wait_dscnt 0x0
	v_cmp_eq_f32_e32 vcc_lo, 0, v132
	v_cmp_eq_f32_e64 s0, 0, v133
	s_and_b32 s0, vcc_lo, s0
	s_delay_alu instid0(SALU_CYCLE_1) | instskip(NEXT) | instid1(SALU_CYCLE_1)
	s_and_saveexec_b32 s1, s0
	s_xor_b32 s0, exec_lo, s1
; %bb.276:
	v_cmp_ne_u32_e32 vcc_lo, 0, v136
	v_cndmask_b32_e32 v136, 14, v136, vcc_lo
; %bb.277:
	s_and_not1_saveexec_b32 s0, s0
	s_cbranch_execz .LBB122_283
; %bb.278:
	v_cmp_ngt_f32_e64 s1, |v132|, |v133|
	s_and_saveexec_b32 s12, s1
	s_delay_alu instid0(SALU_CYCLE_1)
	s_xor_b32 s1, exec_lo, s12
	s_cbranch_execz .LBB122_280
; %bb.279:
	v_div_scale_f32 v131, null, v133, v133, v132
	v_div_scale_f32 v141, vcc_lo, v132, v133, v132
	s_delay_alu instid0(VALU_DEP_2) | instskip(SKIP_1) | instid1(TRANS32_DEP_1)
	v_rcp_f32_e32 v139, v131
	v_nop
	v_fma_f32 v140, -v131, v139, 1.0
	s_delay_alu instid0(VALU_DEP_1) | instskip(NEXT) | instid1(VALU_DEP_1)
	v_fmac_f32_e32 v139, v140, v139
	v_mul_f32_e32 v140, v141, v139
	s_delay_alu instid0(VALU_DEP_1) | instskip(NEXT) | instid1(VALU_DEP_1)
	v_fma_f32 v142, -v131, v140, v141
	v_fmac_f32_e32 v140, v142, v139
	s_delay_alu instid0(VALU_DEP_1) | instskip(NEXT) | instid1(VALU_DEP_1)
	v_fma_f32 v131, -v131, v140, v141
	v_div_fmas_f32 v131, v131, v139, v140
	s_delay_alu instid0(VALU_DEP_1) | instskip(NEXT) | instid1(VALU_DEP_1)
	v_div_fixup_f32 v131, v131, v133, v132
	v_fmac_f32_e32 v133, v132, v131
	s_delay_alu instid0(VALU_DEP_1) | instskip(SKIP_1) | instid1(VALU_DEP_2)
	v_div_scale_f32 v132, null, v133, v133, 1.0
	v_div_scale_f32 v141, vcc_lo, 1.0, v133, 1.0
	v_rcp_f32_e32 v139, v132
	v_nop
	s_delay_alu instid0(TRANS32_DEP_1) | instskip(NEXT) | instid1(VALU_DEP_1)
	v_fma_f32 v140, -v132, v139, 1.0
	v_fmac_f32_e32 v139, v140, v139
	s_delay_alu instid0(VALU_DEP_1) | instskip(NEXT) | instid1(VALU_DEP_1)
	v_mul_f32_e32 v140, v141, v139
	v_fma_f32 v142, -v132, v140, v141
	s_delay_alu instid0(VALU_DEP_1) | instskip(NEXT) | instid1(VALU_DEP_1)
	v_fmac_f32_e32 v140, v142, v139
	v_fma_f32 v132, -v132, v140, v141
	s_delay_alu instid0(VALU_DEP_1) | instskip(NEXT) | instid1(VALU_DEP_1)
	v_div_fmas_f32 v132, v132, v139, v140
	v_div_fixup_f32 v133, v132, v133, 1.0
	s_delay_alu instid0(VALU_DEP_1)
	v_mul_f32_e32 v132, v131, v133
	v_xor_b32_e32 v133, 0x80000000, v133
.LBB122_280:
	s_and_not1_saveexec_b32 s1, s1
	s_cbranch_execz .LBB122_282
; %bb.281:
	s_delay_alu instid0(VALU_DEP_1) | instskip(SKIP_1) | instid1(VALU_DEP_2)
	v_div_scale_f32 v131, null, v132, v132, v133
	v_div_scale_f32 v141, vcc_lo, v133, v132, v133
	v_rcp_f32_e32 v139, v131
	v_nop
	s_delay_alu instid0(TRANS32_DEP_1) | instskip(NEXT) | instid1(VALU_DEP_1)
	v_fma_f32 v140, -v131, v139, 1.0
	v_fmac_f32_e32 v139, v140, v139
	s_delay_alu instid0(VALU_DEP_1) | instskip(NEXT) | instid1(VALU_DEP_1)
	v_mul_f32_e32 v140, v141, v139
	v_fma_f32 v142, -v131, v140, v141
	s_delay_alu instid0(VALU_DEP_1) | instskip(NEXT) | instid1(VALU_DEP_1)
	v_fmac_f32_e32 v140, v142, v139
	v_fma_f32 v131, -v131, v140, v141
	s_delay_alu instid0(VALU_DEP_1) | instskip(NEXT) | instid1(VALU_DEP_1)
	v_div_fmas_f32 v131, v131, v139, v140
	v_div_fixup_f32 v131, v131, v132, v133
	s_delay_alu instid0(VALU_DEP_1) | instskip(NEXT) | instid1(VALU_DEP_1)
	v_fmac_f32_e32 v132, v133, v131
	v_div_scale_f32 v133, null, v132, v132, 1.0
	s_delay_alu instid0(VALU_DEP_1) | instskip(SKIP_1) | instid1(TRANS32_DEP_1)
	v_rcp_f32_e32 v139, v133
	v_nop
	v_fma_f32 v140, -v133, v139, 1.0
	s_delay_alu instid0(VALU_DEP_1) | instskip(SKIP_1) | instid1(VALU_DEP_1)
	v_fmac_f32_e32 v139, v140, v139
	v_div_scale_f32 v140, vcc_lo, 1.0, v132, 1.0
	v_mul_f32_e32 v141, v140, v139
	s_delay_alu instid0(VALU_DEP_1) | instskip(NEXT) | instid1(VALU_DEP_1)
	v_fma_f32 v142, -v133, v141, v140
	v_fmac_f32_e32 v141, v142, v139
	s_delay_alu instid0(VALU_DEP_1) | instskip(NEXT) | instid1(VALU_DEP_1)
	v_fma_f32 v133, -v133, v141, v140
	v_div_fmas_f32 v133, v133, v139, v141
	s_delay_alu instid0(VALU_DEP_1) | instskip(NEXT) | instid1(VALU_DEP_1)
	v_div_fixup_f32 v132, v133, v132, 1.0
	v_mul_f32_e64 v133, v131, -v132
.LBB122_282:
	s_or_b32 exec_lo, exec_lo, s1
.LBB122_283:
	s_delay_alu instid0(SALU_CYCLE_1) | instskip(NEXT) | instid1(SALU_CYCLE_1)
	s_or_b32 exec_lo, exec_lo, s0
	s_mov_b32 s0, exec_lo
	v_cmpx_ne_u32_e64 v138, v130
	s_xor_b32 s0, exec_lo, s0
	s_cbranch_execz .LBB122_289
; %bb.284:
	s_mov_b32 s1, exec_lo
	v_cmpx_eq_u32_e32 13, v138
	s_cbranch_execz .LBB122_288
; %bb.285:
	v_cmp_ne_u32_e32 vcc_lo, 13, v130
	s_xor_b32 s12, s16, -1
	s_delay_alu instid0(SALU_CYCLE_1) | instskip(NEXT) | instid1(SALU_CYCLE_1)
	s_and_b32 s13, s12, vcc_lo
	s_and_saveexec_b32 s12, s13
	s_cbranch_execz .LBB122_287
; %bb.286:
	v_ashrrev_i32_e32 v131, 31, v130
	s_delay_alu instid0(VALU_DEP_1)
	v_lshl_add_u64 v[138:139], v[130:131], 2, v[4:5]
	s_clause 0x1
	global_load_b32 v131, v[138:139], off
	global_load_b32 v137, v[4:5], off offset:52
	s_wait_loadcnt 0x1
	global_store_b32 v[4:5], v131, off offset:52
	s_wait_loadcnt 0x0
	global_store_b32 v[138:139], v137, off
.LBB122_287:
	s_wait_xcnt 0x0
	s_or_b32 exec_lo, exec_lo, s12
	v_dual_mov_b32 v138, v130 :: v_dual_mov_b32 v137, v130
.LBB122_288:
	s_or_b32 exec_lo, exec_lo, s1
.LBB122_289:
	s_and_not1_saveexec_b32 s0, s0
	s_cbranch_execz .LBB122_291
; %bb.290:
	v_dual_mov_b32 v130, v80 :: v_dual_mov_b32 v131, v81
	v_dual_mov_b32 v138, v76 :: v_dual_mov_b32 v139, v77
	;; [unrolled: 1-line block ×4, first 2 shown]
	ds_store_2addr_b64 v134, v[130:131], v[138:139] offset0:14 offset1:15
	ds_store_2addr_b64 v134, v[140:141], v[142:143] offset0:16 offset1:17
	v_dual_mov_b32 v130, v74 :: v_dual_mov_b32 v131, v75
	v_dual_mov_b32 v138, v70 :: v_dual_mov_b32 v139, v71
	v_dual_mov_b32 v140, v110 :: v_dual_mov_b32 v141, v111
	v_dual_mov_b32 v142, v66 :: v_dual_mov_b32 v143, v67
	v_dual_mov_b32 v144, v68 :: v_dual_mov_b32 v145, v69
	v_dual_mov_b32 v146, v64 :: v_dual_mov_b32 v147, v65
	v_dual_mov_b32 v148, v108 :: v_dual_mov_b32 v149, v109
	v_dual_mov_b32 v150, v60 :: v_dual_mov_b32 v151, v61
	v_dual_mov_b32 v152, v62 :: v_dual_mov_b32 v153, v63
	v_dual_mov_b32 v154, v58 :: v_dual_mov_b32 v155, v59
	v_dual_mov_b32 v156, v106 :: v_dual_mov_b32 v157, v107
	v_dual_mov_b32 v158, v54 :: v_dual_mov_b32 v159, v55
	ds_store_2addr_b64 v134, v[130:131], v[138:139] offset0:18 offset1:19
	ds_store_2addr_b64 v134, v[140:141], v[142:143] offset0:20 offset1:21
	ds_store_2addr_b64 v134, v[144:145], v[146:147] offset0:22 offset1:23
	ds_store_2addr_b64 v134, v[148:149], v[150:151] offset0:24 offset1:25
	ds_store_2addr_b64 v134, v[152:153], v[154:155] offset0:26 offset1:27
	ds_store_2addr_b64 v134, v[156:157], v[158:159] offset0:28 offset1:29
	v_dual_mov_b32 v130, v56 :: v_dual_mov_b32 v131, v57
	v_dual_mov_b32 v138, v52 :: v_dual_mov_b32 v139, v53
	v_dual_mov_b32 v140, v104 :: v_dual_mov_b32 v141, v105
	v_dual_mov_b32 v142, v48 :: v_dual_mov_b32 v143, v49
	v_dual_mov_b32 v144, v50 :: v_dual_mov_b32 v145, v51
	v_dual_mov_b32 v146, v46 :: v_dual_mov_b32 v147, v47
	v_dual_mov_b32 v148, v102 :: v_dual_mov_b32 v149, v103
	v_dual_mov_b32 v150, v40 :: v_dual_mov_b32 v151, v41
	v_dual_mov_b32 v152, v42 :: v_dual_mov_b32 v153, v43
	v_dual_mov_b32 v154, v38 :: v_dual_mov_b32 v155, v39
	v_dual_mov_b32 v156, v100 :: v_dual_mov_b32 v157, v101
	v_dual_mov_b32 v158, v32 :: v_dual_mov_b32 v159, v33
	ds_store_2addr_b64 v134, v[130:131], v[138:139] offset0:30 offset1:31
	ds_store_2addr_b64 v134, v[140:141], v[142:143] offset0:32 offset1:33
	ds_store_2addr_b64 v134, v[144:145], v[146:147] offset0:34 offset1:35
	ds_store_2addr_b64 v134, v[148:149], v[150:151] offset0:36 offset1:37
	;; [unrolled: 18-line block ×3, first 2 shown]
	ds_store_2addr_b64 v134, v[152:153], v[154:155] offset0:50 offset1:51
	ds_store_2addr_b64 v134, v[156:157], v[158:159] offset0:52 offset1:53
	v_dual_mov_b32 v130, v12 :: v_dual_mov_b32 v131, v13
	v_dual_mov_b32 v140, v8 :: v_dual_mov_b32 v141, v9
	;; [unrolled: 1-line block ×7, first 2 shown]
	v_mov_b32_e32 v151, v15
	ds_store_2addr_b64 v134, v[130:131], v[140:141] offset0:54 offset1:55
	ds_store_2addr_b64 v134, v[142:143], v[144:145] offset0:56 offset1:57
	;; [unrolled: 1-line block ×4, first 2 shown]
.LBB122_291:
	s_or_b32 exec_lo, exec_lo, s0
	s_delay_alu instid0(SALU_CYCLE_1)
	s_mov_b32 s0, exec_lo
	s_wait_storecnt_dscnt 0x0
	s_barrier_signal -1
	s_barrier_wait -1
	v_cmpx_lt_i32_e32 13, v138
	s_cbranch_execz .LBB122_293
; %bb.292:
	v_pk_mul_f32 v[140:141], v[132:133], v[78:79] op_sel:[1,1] op_sel_hi:[0,1]
	s_delay_alu instid0(VALU_DEP_1)
	v_pk_fma_f32 v[130:131], v[132:133], v[78:79], v[140:141] op_sel_hi:[1,0,1] neg_lo:[0,0,1] neg_hi:[0,0,1]
	v_pk_fma_f32 v[132:133], v[132:133], v[78:79], v[140:141] op_sel_hi:[1,0,1]
	ds_load_2addr_b64 v[140:143], v134 offset0:14 offset1:15
	v_dual_mov_b32 v78, v130 :: v_dual_mov_b32 v79, v133
	s_wait_dscnt 0x0
	v_pk_mul_f32 v[144:145], v[140:141], v[132:133] op_sel:[0,1]
	s_delay_alu instid0(VALU_DEP_1) | instskip(SKIP_1) | instid1(VALU_DEP_1)
	v_pk_fma_f32 v[146:147], v[140:141], v[130:131], v[144:145] op_sel:[0,0,1] op_sel_hi:[1,1,0] neg_lo:[0,0,1] neg_hi:[0,0,1]
	v_pk_fma_f32 v[140:141], v[140:141], v[130:131], v[144:145] op_sel:[0,0,1] op_sel_hi:[1,0,0]
	v_mov_b32_e32 v147, v141
	v_pk_mul_f32 v[140:141], v[142:143], v[132:133] op_sel:[0,1]
	s_delay_alu instid0(VALU_DEP_1) | instskip(SKIP_1) | instid1(VALU_DEP_1)
	v_pk_fma_f32 v[144:145], v[142:143], v[130:131], v[140:141] op_sel:[0,0,1] op_sel_hi:[1,1,0] neg_lo:[0,0,1] neg_hi:[0,0,1]
	v_pk_fma_f32 v[140:141], v[142:143], v[130:131], v[140:141] op_sel:[0,0,1] op_sel_hi:[1,0,0]
	v_mov_b32_e32 v145, v141
	ds_load_2addr_b64 v[140:143], v134 offset0:16 offset1:17
	v_pk_add_f32 v[80:81], v[80:81], v[146:147] neg_lo:[0,1] neg_hi:[0,1]
	v_pk_add_f32 v[76:77], v[76:77], v[144:145] neg_lo:[0,1] neg_hi:[0,1]
	s_wait_dscnt 0x0
	v_pk_mul_f32 v[144:145], v[140:141], v[132:133] op_sel:[0,1]
	s_delay_alu instid0(VALU_DEP_1) | instskip(SKIP_2) | instid1(VALU_DEP_2)
	v_pk_fma_f32 v[146:147], v[140:141], v[130:131], v[144:145] op_sel:[0,0,1] op_sel_hi:[1,1,0] neg_lo:[0,0,1] neg_hi:[0,0,1]
	v_pk_fma_f32 v[140:141], v[140:141], v[130:131], v[144:145] op_sel:[0,0,1] op_sel_hi:[1,0,0]
	v_dual_mul_f32 v144, v143, v133 :: v_dual_mov_b32 v140, v143
	v_dual_mov_b32 v147, v141 :: v_dual_mov_b32 v141, v142
	s_delay_alu instid0(VALU_DEP_2) | instskip(SKIP_1) | instid1(VALU_DEP_3)
	v_pk_fma_f32 v[144:145], v[142:143], v[78:79], v[144:145] op_sel_hi:[1,1,0] neg_lo:[0,0,1] neg_hi:[0,0,1]
	v_mul_f32_e32 v142, v143, v130
	v_pk_add_f32 v[112:113], v[112:113], v[146:147] neg_lo:[0,1] neg_hi:[0,1]
	s_delay_alu instid0(VALU_DEP_2) | instskip(NEXT) | instid1(VALU_DEP_1)
	v_pk_fma_f32 v[140:141], v[140:141], v[78:79], v[142:143] op_sel_hi:[1,1,0]
	v_mov_b32_e32 v145, v141
	ds_load_2addr_b64 v[140:143], v134 offset0:18 offset1:19
	v_pk_add_f32 v[72:73], v[72:73], v[144:145] neg_lo:[0,1] neg_hi:[0,1]
	s_wait_dscnt 0x0
	v_pk_mul_f32 v[144:145], v[140:141], v[132:133] op_sel:[0,1]
	s_delay_alu instid0(VALU_DEP_1) | instskip(SKIP_1) | instid1(VALU_DEP_1)
	v_pk_fma_f32 v[146:147], v[140:141], v[130:131], v[144:145] op_sel:[0,0,1] op_sel_hi:[1,1,0] neg_lo:[0,0,1] neg_hi:[0,0,1]
	v_pk_fma_f32 v[140:141], v[140:141], v[130:131], v[144:145] op_sel:[0,0,1] op_sel_hi:[1,0,0]
	v_mov_b32_e32 v147, v141
	v_pk_mul_f32 v[140:141], v[142:143], v[132:133] op_sel:[0,1]
	s_delay_alu instid0(VALU_DEP_1) | instskip(SKIP_1) | instid1(VALU_DEP_1)
	v_pk_fma_f32 v[144:145], v[142:143], v[130:131], v[140:141] op_sel:[0,0,1] op_sel_hi:[1,1,0] neg_lo:[0,0,1] neg_hi:[0,0,1]
	v_pk_fma_f32 v[140:141], v[142:143], v[130:131], v[140:141] op_sel:[0,0,1] op_sel_hi:[1,0,0]
	v_mov_b32_e32 v145, v141
	ds_load_2addr_b64 v[140:143], v134 offset0:20 offset1:21
	v_pk_add_f32 v[74:75], v[74:75], v[146:147] neg_lo:[0,1] neg_hi:[0,1]
	v_pk_add_f32 v[70:71], v[70:71], v[144:145] neg_lo:[0,1] neg_hi:[0,1]
	s_wait_dscnt 0x0
	v_pk_mul_f32 v[144:145], v[140:141], v[132:133] op_sel:[0,1]
	s_delay_alu instid0(VALU_DEP_1) | instskip(SKIP_1) | instid1(VALU_DEP_1)
	v_pk_fma_f32 v[146:147], v[140:141], v[130:131], v[144:145] op_sel:[0,0,1] op_sel_hi:[1,1,0] neg_lo:[0,0,1] neg_hi:[0,0,1]
	v_pk_fma_f32 v[140:141], v[140:141], v[130:131], v[144:145] op_sel:[0,0,1] op_sel_hi:[1,0,0]
	v_mov_b32_e32 v147, v141
	v_pk_mul_f32 v[140:141], v[142:143], v[132:133] op_sel:[0,1]
	s_delay_alu instid0(VALU_DEP_1) | instskip(SKIP_1) | instid1(VALU_DEP_1)
	v_pk_fma_f32 v[144:145], v[142:143], v[130:131], v[140:141] op_sel:[0,0,1] op_sel_hi:[1,1,0] neg_lo:[0,0,1] neg_hi:[0,0,1]
	v_pk_fma_f32 v[140:141], v[142:143], v[130:131], v[140:141] op_sel:[0,0,1] op_sel_hi:[1,0,0]
	v_mov_b32_e32 v145, v141
	ds_load_2addr_b64 v[140:143], v134 offset0:22 offset1:23
	v_pk_add_f32 v[110:111], v[110:111], v[146:147] neg_lo:[0,1] neg_hi:[0,1]
	v_pk_add_f32 v[66:67], v[66:67], v[144:145] neg_lo:[0,1] neg_hi:[0,1]
	s_wait_dscnt 0x0
	v_dual_mul_f32 v144, v141, v133 :: v_dual_mul_f32 v146, v141, v130
	s_delay_alu instid0(VALU_DEP_1) | instskip(NEXT) | instid1(VALU_DEP_2)
	v_pk_fma_f32 v[144:145], v[140:141], v[78:79], v[144:145] op_sel_hi:[1,1,0] neg_lo:[0,0,1] neg_hi:[0,0,1]
	v_pk_fma_f32 v[140:141], v[140:141], v[78:79], v[146:147] op_sel:[1,0,0] op_sel_hi:[0,1,0]
	s_delay_alu instid0(VALU_DEP_1) | instskip(SKIP_1) | instid1(VALU_DEP_2)
	v_mov_b32_e32 v145, v141
	v_pk_mul_f32 v[140:141], v[142:143], v[132:133] op_sel:[0,1]
	v_pk_add_f32 v[68:69], v[68:69], v[144:145] neg_lo:[0,1] neg_hi:[0,1]
	s_delay_alu instid0(VALU_DEP_2) | instskip(SKIP_1) | instid1(VALU_DEP_1)
	v_pk_fma_f32 v[144:145], v[142:143], v[130:131], v[140:141] op_sel:[0,0,1] op_sel_hi:[1,1,0] neg_lo:[0,0,1] neg_hi:[0,0,1]
	v_pk_fma_f32 v[140:141], v[142:143], v[130:131], v[140:141] op_sel:[0,0,1] op_sel_hi:[1,0,0]
	v_mov_b32_e32 v145, v141
	ds_load_2addr_b64 v[140:143], v134 offset0:24 offset1:25
	v_pk_add_f32 v[64:65], v[64:65], v[144:145] neg_lo:[0,1] neg_hi:[0,1]
	s_wait_dscnt 0x0
	v_pk_mul_f32 v[144:145], v[140:141], v[132:133] op_sel:[0,1]
	s_delay_alu instid0(VALU_DEP_1) | instskip(SKIP_1) | instid1(VALU_DEP_1)
	v_pk_fma_f32 v[146:147], v[140:141], v[130:131], v[144:145] op_sel:[0,0,1] op_sel_hi:[1,1,0] neg_lo:[0,0,1] neg_hi:[0,0,1]
	v_pk_fma_f32 v[140:141], v[140:141], v[130:131], v[144:145] op_sel:[0,0,1] op_sel_hi:[1,0,0]
	v_mov_b32_e32 v147, v141
	v_pk_mul_f32 v[140:141], v[142:143], v[132:133] op_sel:[0,1]
	s_delay_alu instid0(VALU_DEP_2) | instskip(NEXT) | instid1(VALU_DEP_2)
	v_pk_add_f32 v[108:109], v[108:109], v[146:147] neg_lo:[0,1] neg_hi:[0,1]
	v_pk_fma_f32 v[144:145], v[142:143], v[130:131], v[140:141] op_sel:[0,0,1] op_sel_hi:[1,1,0] neg_lo:[0,0,1] neg_hi:[0,0,1]
	v_pk_fma_f32 v[140:141], v[142:143], v[130:131], v[140:141] op_sel:[0,0,1] op_sel_hi:[1,0,0]
	s_delay_alu instid0(VALU_DEP_1) | instskip(SKIP_4) | instid1(VALU_DEP_1)
	v_mov_b32_e32 v145, v141
	ds_load_2addr_b64 v[140:143], v134 offset0:26 offset1:27
	v_pk_add_f32 v[60:61], v[60:61], v[144:145] neg_lo:[0,1] neg_hi:[0,1]
	s_wait_dscnt 0x0
	v_pk_mul_f32 v[144:145], v[140:141], v[132:133] op_sel:[0,1]
	v_pk_fma_f32 v[146:147], v[140:141], v[130:131], v[144:145] op_sel:[0,0,1] op_sel_hi:[1,1,0] neg_lo:[0,0,1] neg_hi:[0,0,1]
	v_pk_fma_f32 v[140:141], v[140:141], v[130:131], v[144:145] op_sel:[0,0,1] op_sel_hi:[1,0,0]
	v_dual_mul_f32 v144, v143, v133 :: v_dual_mov_b32 v140, v143
	s_delay_alu instid0(VALU_DEP_2) | instskip(NEXT) | instid1(VALU_DEP_2)
	v_dual_mov_b32 v147, v141 :: v_dual_mov_b32 v141, v142
	v_pk_fma_f32 v[144:145], v[142:143], v[78:79], v[144:145] op_sel_hi:[1,1,0] neg_lo:[0,0,1] neg_hi:[0,0,1]
	v_mul_f32_e32 v142, v143, v130
	s_delay_alu instid0(VALU_DEP_3) | instskip(NEXT) | instid1(VALU_DEP_2)
	v_pk_add_f32 v[62:63], v[62:63], v[146:147] neg_lo:[0,1] neg_hi:[0,1]
	v_pk_fma_f32 v[140:141], v[140:141], v[78:79], v[142:143] op_sel_hi:[1,1,0]
	s_delay_alu instid0(VALU_DEP_1) | instskip(SKIP_4) | instid1(VALU_DEP_1)
	v_mov_b32_e32 v145, v141
	ds_load_2addr_b64 v[140:143], v134 offset0:28 offset1:29
	v_pk_add_f32 v[58:59], v[58:59], v[144:145] neg_lo:[0,1] neg_hi:[0,1]
	s_wait_dscnt 0x0
	v_pk_mul_f32 v[144:145], v[140:141], v[132:133] op_sel:[0,1]
	v_pk_fma_f32 v[146:147], v[140:141], v[130:131], v[144:145] op_sel:[0,0,1] op_sel_hi:[1,1,0] neg_lo:[0,0,1] neg_hi:[0,0,1]
	v_pk_fma_f32 v[140:141], v[140:141], v[130:131], v[144:145] op_sel:[0,0,1] op_sel_hi:[1,0,0]
	s_delay_alu instid0(VALU_DEP_1) | instskip(SKIP_1) | instid1(VALU_DEP_1)
	v_mov_b32_e32 v147, v141
	v_pk_mul_f32 v[140:141], v[142:143], v[132:133] op_sel:[0,1]
	v_pk_fma_f32 v[144:145], v[142:143], v[130:131], v[140:141] op_sel:[0,0,1] op_sel_hi:[1,1,0] neg_lo:[0,0,1] neg_hi:[0,0,1]
	v_pk_fma_f32 v[140:141], v[142:143], v[130:131], v[140:141] op_sel:[0,0,1] op_sel_hi:[1,0,0]
	s_delay_alu instid0(VALU_DEP_1)
	v_mov_b32_e32 v145, v141
	ds_load_2addr_b64 v[140:143], v134 offset0:30 offset1:31
	v_pk_add_f32 v[106:107], v[106:107], v[146:147] neg_lo:[0,1] neg_hi:[0,1]
	v_pk_add_f32 v[54:55], v[54:55], v[144:145] neg_lo:[0,1] neg_hi:[0,1]
	s_wait_dscnt 0x0
	v_pk_mul_f32 v[144:145], v[140:141], v[132:133] op_sel:[0,1]
	s_delay_alu instid0(VALU_DEP_1) | instskip(SKIP_1) | instid1(VALU_DEP_1)
	v_pk_fma_f32 v[146:147], v[140:141], v[130:131], v[144:145] op_sel:[0,0,1] op_sel_hi:[1,1,0] neg_lo:[0,0,1] neg_hi:[0,0,1]
	v_pk_fma_f32 v[140:141], v[140:141], v[130:131], v[144:145] op_sel:[0,0,1] op_sel_hi:[1,0,0]
	v_mov_b32_e32 v147, v141
	v_pk_mul_f32 v[140:141], v[142:143], v[132:133] op_sel:[0,1]
	s_delay_alu instid0(VALU_DEP_1) | instskip(SKIP_1) | instid1(VALU_DEP_1)
	v_pk_fma_f32 v[144:145], v[142:143], v[130:131], v[140:141] op_sel:[0,0,1] op_sel_hi:[1,1,0] neg_lo:[0,0,1] neg_hi:[0,0,1]
	v_pk_fma_f32 v[140:141], v[142:143], v[130:131], v[140:141] op_sel:[0,0,1] op_sel_hi:[1,0,0]
	v_mov_b32_e32 v145, v141
	ds_load_2addr_b64 v[140:143], v134 offset0:32 offset1:33
	v_pk_add_f32 v[56:57], v[56:57], v[146:147] neg_lo:[0,1] neg_hi:[0,1]
	v_pk_add_f32 v[52:53], v[52:53], v[144:145] neg_lo:[0,1] neg_hi:[0,1]
	s_wait_dscnt 0x0
	v_dual_mul_f32 v144, v141, v133 :: v_dual_mul_f32 v146, v141, v130
	s_delay_alu instid0(VALU_DEP_1) | instskip(NEXT) | instid1(VALU_DEP_2)
	v_pk_fma_f32 v[144:145], v[140:141], v[78:79], v[144:145] op_sel_hi:[1,1,0] neg_lo:[0,0,1] neg_hi:[0,0,1]
	v_pk_fma_f32 v[140:141], v[140:141], v[78:79], v[146:147] op_sel:[1,0,0] op_sel_hi:[0,1,0]
	s_delay_alu instid0(VALU_DEP_1) | instskip(SKIP_1) | instid1(VALU_DEP_2)
	v_mov_b32_e32 v145, v141
	v_pk_mul_f32 v[140:141], v[142:143], v[132:133] op_sel:[0,1]
	v_pk_add_f32 v[104:105], v[104:105], v[144:145] neg_lo:[0,1] neg_hi:[0,1]
	s_delay_alu instid0(VALU_DEP_2) | instskip(SKIP_1) | instid1(VALU_DEP_1)
	v_pk_fma_f32 v[144:145], v[142:143], v[130:131], v[140:141] op_sel:[0,0,1] op_sel_hi:[1,1,0] neg_lo:[0,0,1] neg_hi:[0,0,1]
	v_pk_fma_f32 v[140:141], v[142:143], v[130:131], v[140:141] op_sel:[0,0,1] op_sel_hi:[1,0,0]
	v_mov_b32_e32 v145, v141
	ds_load_2addr_b64 v[140:143], v134 offset0:34 offset1:35
	v_pk_add_f32 v[48:49], v[48:49], v[144:145] neg_lo:[0,1] neg_hi:[0,1]
	s_wait_dscnt 0x0
	v_pk_mul_f32 v[144:145], v[140:141], v[132:133] op_sel:[0,1]
	s_delay_alu instid0(VALU_DEP_1) | instskip(SKIP_1) | instid1(VALU_DEP_1)
	v_pk_fma_f32 v[146:147], v[140:141], v[130:131], v[144:145] op_sel:[0,0,1] op_sel_hi:[1,1,0] neg_lo:[0,0,1] neg_hi:[0,0,1]
	v_pk_fma_f32 v[140:141], v[140:141], v[130:131], v[144:145] op_sel:[0,0,1] op_sel_hi:[1,0,0]
	v_mov_b32_e32 v147, v141
	v_pk_mul_f32 v[140:141], v[142:143], v[132:133] op_sel:[0,1]
	s_delay_alu instid0(VALU_DEP_2) | instskip(NEXT) | instid1(VALU_DEP_2)
	v_pk_add_f32 v[50:51], v[50:51], v[146:147] neg_lo:[0,1] neg_hi:[0,1]
	v_pk_fma_f32 v[144:145], v[142:143], v[130:131], v[140:141] op_sel:[0,0,1] op_sel_hi:[1,1,0] neg_lo:[0,0,1] neg_hi:[0,0,1]
	v_pk_fma_f32 v[140:141], v[142:143], v[130:131], v[140:141] op_sel:[0,0,1] op_sel_hi:[1,0,0]
	s_delay_alu instid0(VALU_DEP_1) | instskip(SKIP_4) | instid1(VALU_DEP_1)
	v_mov_b32_e32 v145, v141
	ds_load_2addr_b64 v[140:143], v134 offset0:36 offset1:37
	v_pk_add_f32 v[46:47], v[46:47], v[144:145] neg_lo:[0,1] neg_hi:[0,1]
	s_wait_dscnt 0x0
	v_pk_mul_f32 v[144:145], v[140:141], v[132:133] op_sel:[0,1]
	v_pk_fma_f32 v[146:147], v[140:141], v[130:131], v[144:145] op_sel:[0,0,1] op_sel_hi:[1,1,0] neg_lo:[0,0,1] neg_hi:[0,0,1]
	v_pk_fma_f32 v[140:141], v[140:141], v[130:131], v[144:145] op_sel:[0,0,1] op_sel_hi:[1,0,0]
	v_dual_mul_f32 v144, v143, v133 :: v_dual_mov_b32 v140, v143
	s_delay_alu instid0(VALU_DEP_2) | instskip(NEXT) | instid1(VALU_DEP_2)
	v_dual_mov_b32 v147, v141 :: v_dual_mov_b32 v141, v142
	v_pk_fma_f32 v[144:145], v[142:143], v[78:79], v[144:145] op_sel_hi:[1,1,0] neg_lo:[0,0,1] neg_hi:[0,0,1]
	v_mul_f32_e32 v142, v143, v130
	s_delay_alu instid0(VALU_DEP_3) | instskip(NEXT) | instid1(VALU_DEP_2)
	v_pk_add_f32 v[102:103], v[102:103], v[146:147] neg_lo:[0,1] neg_hi:[0,1]
	v_pk_fma_f32 v[140:141], v[140:141], v[78:79], v[142:143] op_sel_hi:[1,1,0]
	s_delay_alu instid0(VALU_DEP_1) | instskip(SKIP_4) | instid1(VALU_DEP_1)
	v_mov_b32_e32 v145, v141
	ds_load_2addr_b64 v[140:143], v134 offset0:38 offset1:39
	v_pk_add_f32 v[40:41], v[40:41], v[144:145] neg_lo:[0,1] neg_hi:[0,1]
	s_wait_dscnt 0x0
	v_pk_mul_f32 v[144:145], v[140:141], v[132:133] op_sel:[0,1]
	v_pk_fma_f32 v[146:147], v[140:141], v[130:131], v[144:145] op_sel:[0,0,1] op_sel_hi:[1,1,0] neg_lo:[0,0,1] neg_hi:[0,0,1]
	v_pk_fma_f32 v[140:141], v[140:141], v[130:131], v[144:145] op_sel:[0,0,1] op_sel_hi:[1,0,0]
	s_delay_alu instid0(VALU_DEP_1) | instskip(SKIP_1) | instid1(VALU_DEP_1)
	v_mov_b32_e32 v147, v141
	v_pk_mul_f32 v[140:141], v[142:143], v[132:133] op_sel:[0,1]
	v_pk_fma_f32 v[144:145], v[142:143], v[130:131], v[140:141] op_sel:[0,0,1] op_sel_hi:[1,1,0] neg_lo:[0,0,1] neg_hi:[0,0,1]
	v_pk_fma_f32 v[140:141], v[142:143], v[130:131], v[140:141] op_sel:[0,0,1] op_sel_hi:[1,0,0]
	s_delay_alu instid0(VALU_DEP_1)
	v_mov_b32_e32 v145, v141
	ds_load_2addr_b64 v[140:143], v134 offset0:40 offset1:41
	v_pk_add_f32 v[42:43], v[42:43], v[146:147] neg_lo:[0,1] neg_hi:[0,1]
	v_pk_add_f32 v[38:39], v[38:39], v[144:145] neg_lo:[0,1] neg_hi:[0,1]
	s_wait_dscnt 0x0
	v_pk_mul_f32 v[144:145], v[140:141], v[132:133] op_sel:[0,1]
	s_delay_alu instid0(VALU_DEP_1) | instskip(SKIP_1) | instid1(VALU_DEP_1)
	v_pk_fma_f32 v[146:147], v[140:141], v[130:131], v[144:145] op_sel:[0,0,1] op_sel_hi:[1,1,0] neg_lo:[0,0,1] neg_hi:[0,0,1]
	v_pk_fma_f32 v[140:141], v[140:141], v[130:131], v[144:145] op_sel:[0,0,1] op_sel_hi:[1,0,0]
	v_mov_b32_e32 v147, v141
	v_pk_mul_f32 v[140:141], v[142:143], v[132:133] op_sel:[0,1]
	s_delay_alu instid0(VALU_DEP_1) | instskip(SKIP_1) | instid1(VALU_DEP_1)
	v_pk_fma_f32 v[144:145], v[142:143], v[130:131], v[140:141] op_sel:[0,0,1] op_sel_hi:[1,1,0] neg_lo:[0,0,1] neg_hi:[0,0,1]
	v_pk_fma_f32 v[140:141], v[142:143], v[130:131], v[140:141] op_sel:[0,0,1] op_sel_hi:[1,0,0]
	v_mov_b32_e32 v145, v141
	ds_load_2addr_b64 v[140:143], v134 offset0:42 offset1:43
	v_pk_add_f32 v[100:101], v[100:101], v[146:147] neg_lo:[0,1] neg_hi:[0,1]
	v_pk_add_f32 v[32:33], v[32:33], v[144:145] neg_lo:[0,1] neg_hi:[0,1]
	s_wait_dscnt 0x0
	v_dual_mul_f32 v144, v141, v133 :: v_dual_mul_f32 v146, v141, v130
	s_delay_alu instid0(VALU_DEP_1) | instskip(NEXT) | instid1(VALU_DEP_2)
	v_pk_fma_f32 v[144:145], v[140:141], v[78:79], v[144:145] op_sel_hi:[1,1,0] neg_lo:[0,0,1] neg_hi:[0,0,1]
	v_pk_fma_f32 v[140:141], v[140:141], v[78:79], v[146:147] op_sel:[1,0,0] op_sel_hi:[0,1,0]
	s_delay_alu instid0(VALU_DEP_1) | instskip(SKIP_1) | instid1(VALU_DEP_2)
	v_mov_b32_e32 v145, v141
	v_pk_mul_f32 v[140:141], v[142:143], v[132:133] op_sel:[0,1]
	v_pk_add_f32 v[34:35], v[34:35], v[144:145] neg_lo:[0,1] neg_hi:[0,1]
	s_delay_alu instid0(VALU_DEP_2) | instskip(SKIP_1) | instid1(VALU_DEP_1)
	v_pk_fma_f32 v[144:145], v[142:143], v[130:131], v[140:141] op_sel:[0,0,1] op_sel_hi:[1,1,0] neg_lo:[0,0,1] neg_hi:[0,0,1]
	v_pk_fma_f32 v[140:141], v[142:143], v[130:131], v[140:141] op_sel:[0,0,1] op_sel_hi:[1,0,0]
	v_mov_b32_e32 v145, v141
	ds_load_2addr_b64 v[140:143], v134 offset0:44 offset1:45
	v_pk_add_f32 v[30:31], v[30:31], v[144:145] neg_lo:[0,1] neg_hi:[0,1]
	s_wait_dscnt 0x0
	v_pk_mul_f32 v[144:145], v[140:141], v[132:133] op_sel:[0,1]
	s_delay_alu instid0(VALU_DEP_1) | instskip(SKIP_1) | instid1(VALU_DEP_1)
	v_pk_fma_f32 v[146:147], v[140:141], v[130:131], v[144:145] op_sel:[0,0,1] op_sel_hi:[1,1,0] neg_lo:[0,0,1] neg_hi:[0,0,1]
	v_pk_fma_f32 v[140:141], v[140:141], v[130:131], v[144:145] op_sel:[0,0,1] op_sel_hi:[1,0,0]
	v_mov_b32_e32 v147, v141
	v_pk_mul_f32 v[140:141], v[142:143], v[132:133] op_sel:[0,1]
	s_delay_alu instid0(VALU_DEP_2) | instskip(NEXT) | instid1(VALU_DEP_2)
	v_pk_add_f32 v[98:99], v[98:99], v[146:147] neg_lo:[0,1] neg_hi:[0,1]
	v_pk_fma_f32 v[144:145], v[142:143], v[130:131], v[140:141] op_sel:[0,0,1] op_sel_hi:[1,1,0] neg_lo:[0,0,1] neg_hi:[0,0,1]
	v_pk_fma_f32 v[140:141], v[142:143], v[130:131], v[140:141] op_sel:[0,0,1] op_sel_hi:[1,0,0]
	s_delay_alu instid0(VALU_DEP_1) | instskip(SKIP_4) | instid1(VALU_DEP_1)
	v_mov_b32_e32 v145, v141
	ds_load_2addr_b64 v[140:143], v134 offset0:46 offset1:47
	v_pk_add_f32 v[24:25], v[24:25], v[144:145] neg_lo:[0,1] neg_hi:[0,1]
	s_wait_dscnt 0x0
	v_pk_mul_f32 v[144:145], v[140:141], v[132:133] op_sel:[0,1]
	v_pk_fma_f32 v[146:147], v[140:141], v[130:131], v[144:145] op_sel:[0,0,1] op_sel_hi:[1,1,0] neg_lo:[0,0,1] neg_hi:[0,0,1]
	v_pk_fma_f32 v[140:141], v[140:141], v[130:131], v[144:145] op_sel:[0,0,1] op_sel_hi:[1,0,0]
	v_dual_mul_f32 v144, v143, v133 :: v_dual_mov_b32 v140, v143
	s_delay_alu instid0(VALU_DEP_2) | instskip(NEXT) | instid1(VALU_DEP_2)
	v_dual_mov_b32 v147, v141 :: v_dual_mov_b32 v141, v142
	v_pk_fma_f32 v[144:145], v[142:143], v[78:79], v[144:145] op_sel_hi:[1,1,0] neg_lo:[0,0,1] neg_hi:[0,0,1]
	v_mul_f32_e32 v142, v143, v130
	s_delay_alu instid0(VALU_DEP_3) | instskip(NEXT) | instid1(VALU_DEP_2)
	v_pk_add_f32 v[28:29], v[28:29], v[146:147] neg_lo:[0,1] neg_hi:[0,1]
	v_pk_fma_f32 v[140:141], v[140:141], v[78:79], v[142:143] op_sel_hi:[1,1,0]
	s_delay_alu instid0(VALU_DEP_1) | instskip(SKIP_4) | instid1(VALU_DEP_1)
	v_mov_b32_e32 v145, v141
	ds_load_2addr_b64 v[140:143], v134 offset0:48 offset1:49
	v_pk_add_f32 v[22:23], v[22:23], v[144:145] neg_lo:[0,1] neg_hi:[0,1]
	s_wait_dscnt 0x0
	v_pk_mul_f32 v[144:145], v[140:141], v[132:133] op_sel:[0,1]
	v_pk_fma_f32 v[146:147], v[140:141], v[130:131], v[144:145] op_sel:[0,0,1] op_sel_hi:[1,1,0] neg_lo:[0,0,1] neg_hi:[0,0,1]
	v_pk_fma_f32 v[140:141], v[140:141], v[130:131], v[144:145] op_sel:[0,0,1] op_sel_hi:[1,0,0]
	s_delay_alu instid0(VALU_DEP_1) | instskip(SKIP_1) | instid1(VALU_DEP_1)
	v_mov_b32_e32 v147, v141
	v_pk_mul_f32 v[140:141], v[142:143], v[132:133] op_sel:[0,1]
	v_pk_fma_f32 v[144:145], v[142:143], v[130:131], v[140:141] op_sel:[0,0,1] op_sel_hi:[1,1,0] neg_lo:[0,0,1] neg_hi:[0,0,1]
	v_pk_fma_f32 v[140:141], v[142:143], v[130:131], v[140:141] op_sel:[0,0,1] op_sel_hi:[1,0,0]
	s_delay_alu instid0(VALU_DEP_1)
	v_mov_b32_e32 v145, v141
	ds_load_2addr_b64 v[140:143], v134 offset0:50 offset1:51
	v_pk_add_f32 v[96:97], v[96:97], v[146:147] neg_lo:[0,1] neg_hi:[0,1]
	v_pk_add_f32 v[18:19], v[18:19], v[144:145] neg_lo:[0,1] neg_hi:[0,1]
	s_wait_dscnt 0x0
	v_pk_mul_f32 v[144:145], v[140:141], v[132:133] op_sel:[0,1]
	s_delay_alu instid0(VALU_DEP_1) | instskip(SKIP_1) | instid1(VALU_DEP_1)
	v_pk_fma_f32 v[146:147], v[140:141], v[130:131], v[144:145] op_sel:[0,0,1] op_sel_hi:[1,1,0] neg_lo:[0,0,1] neg_hi:[0,0,1]
	v_pk_fma_f32 v[140:141], v[140:141], v[130:131], v[144:145] op_sel:[0,0,1] op_sel_hi:[1,0,0]
	v_mov_b32_e32 v147, v141
	v_pk_mul_f32 v[140:141], v[142:143], v[132:133] op_sel:[0,1]
	s_delay_alu instid0(VALU_DEP_1) | instskip(SKIP_1) | instid1(VALU_DEP_1)
	v_pk_fma_f32 v[144:145], v[142:143], v[130:131], v[140:141] op_sel:[0,0,1] op_sel_hi:[1,1,0] neg_lo:[0,0,1] neg_hi:[0,0,1]
	v_pk_fma_f32 v[140:141], v[142:143], v[130:131], v[140:141] op_sel:[0,0,1] op_sel_hi:[1,0,0]
	v_mov_b32_e32 v145, v141
	ds_load_2addr_b64 v[140:143], v134 offset0:52 offset1:53
	v_pk_add_f32 v[20:21], v[20:21], v[146:147] neg_lo:[0,1] neg_hi:[0,1]
	v_pk_add_f32 v[36:37], v[36:37], v[144:145] neg_lo:[0,1] neg_hi:[0,1]
	s_wait_dscnt 0x0
	v_dual_mul_f32 v144, v141, v133 :: v_dual_mul_f32 v146, v141, v130
	s_delay_alu instid0(VALU_DEP_1) | instskip(NEXT) | instid1(VALU_DEP_2)
	v_pk_fma_f32 v[144:145], v[140:141], v[78:79], v[144:145] op_sel_hi:[1,1,0] neg_lo:[0,0,1] neg_hi:[0,0,1]
	v_pk_fma_f32 v[140:141], v[140:141], v[78:79], v[146:147] op_sel:[1,0,0] op_sel_hi:[0,1,0]
	s_delay_alu instid0(VALU_DEP_1) | instskip(SKIP_1) | instid1(VALU_DEP_2)
	v_mov_b32_e32 v145, v141
	v_pk_mul_f32 v[140:141], v[142:143], v[132:133] op_sel:[0,1]
	v_pk_add_f32 v[86:87], v[86:87], v[144:145] neg_lo:[0,1] neg_hi:[0,1]
	s_delay_alu instid0(VALU_DEP_2) | instskip(SKIP_1) | instid1(VALU_DEP_1)
	v_pk_fma_f32 v[144:145], v[142:143], v[130:131], v[140:141] op_sel:[0,0,1] op_sel_hi:[1,1,0] neg_lo:[0,0,1] neg_hi:[0,0,1]
	v_pk_fma_f32 v[140:141], v[142:143], v[130:131], v[140:141] op_sel:[0,0,1] op_sel_hi:[1,0,0]
	v_mov_b32_e32 v145, v141
	ds_load_2addr_b64 v[140:143], v134 offset0:54 offset1:55
	v_pk_add_f32 v[10:11], v[10:11], v[144:145] neg_lo:[0,1] neg_hi:[0,1]
	s_wait_dscnt 0x0
	v_pk_mul_f32 v[144:145], v[140:141], v[132:133] op_sel:[0,1]
	s_delay_alu instid0(VALU_DEP_1) | instskip(SKIP_1) | instid1(VALU_DEP_1)
	v_pk_fma_f32 v[146:147], v[140:141], v[130:131], v[144:145] op_sel:[0,0,1] op_sel_hi:[1,1,0] neg_lo:[0,0,1] neg_hi:[0,0,1]
	v_pk_fma_f32 v[140:141], v[140:141], v[130:131], v[144:145] op_sel:[0,0,1] op_sel_hi:[1,0,0]
	v_mov_b32_e32 v147, v141
	v_pk_mul_f32 v[140:141], v[142:143], v[132:133] op_sel:[0,1]
	s_delay_alu instid0(VALU_DEP_2) | instskip(NEXT) | instid1(VALU_DEP_2)
	v_pk_add_f32 v[12:13], v[12:13], v[146:147] neg_lo:[0,1] neg_hi:[0,1]
	v_pk_fma_f32 v[144:145], v[142:143], v[130:131], v[140:141] op_sel:[0,0,1] op_sel_hi:[1,1,0] neg_lo:[0,0,1] neg_hi:[0,0,1]
	v_pk_fma_f32 v[140:141], v[142:143], v[130:131], v[140:141] op_sel:[0,0,1] op_sel_hi:[1,0,0]
	s_delay_alu instid0(VALU_DEP_1) | instskip(SKIP_4) | instid1(VALU_DEP_1)
	v_mov_b32_e32 v145, v141
	ds_load_2addr_b64 v[140:143], v134 offset0:56 offset1:57
	v_pk_add_f32 v[8:9], v[8:9], v[144:145] neg_lo:[0,1] neg_hi:[0,1]
	s_wait_dscnt 0x0
	v_pk_mul_f32 v[144:145], v[140:141], v[132:133] op_sel:[0,1]
	v_pk_fma_f32 v[146:147], v[140:141], v[130:131], v[144:145] op_sel:[0,0,1] op_sel_hi:[1,1,0] neg_lo:[0,0,1] neg_hi:[0,0,1]
	v_pk_fma_f32 v[140:141], v[140:141], v[130:131], v[144:145] op_sel:[0,0,1] op_sel_hi:[1,0,0]
	v_dual_mul_f32 v144, v143, v133 :: v_dual_mov_b32 v140, v143
	s_delay_alu instid0(VALU_DEP_2) | instskip(NEXT) | instid1(VALU_DEP_2)
	v_dual_mov_b32 v147, v141 :: v_dual_mov_b32 v141, v142
	v_pk_fma_f32 v[144:145], v[142:143], v[78:79], v[144:145] op_sel_hi:[1,1,0] neg_lo:[0,0,1] neg_hi:[0,0,1]
	v_mul_f32_e32 v142, v143, v130
	s_delay_alu instid0(VALU_DEP_3) | instskip(NEXT) | instid1(VALU_DEP_2)
	v_pk_add_f32 v[44:45], v[44:45], v[146:147] neg_lo:[0,1] neg_hi:[0,1]
	v_pk_fma_f32 v[140:141], v[140:141], v[78:79], v[142:143] op_sel_hi:[1,1,0]
	s_delay_alu instid0(VALU_DEP_1) | instskip(SKIP_4) | instid1(VALU_DEP_1)
	v_mov_b32_e32 v145, v141
	ds_load_2addr_b64 v[140:143], v134 offset0:58 offset1:59
	v_pk_add_f32 v[6:7], v[6:7], v[144:145] neg_lo:[0,1] neg_hi:[0,1]
	s_wait_dscnt 0x0
	v_pk_mul_f32 v[144:145], v[140:141], v[132:133] op_sel:[0,1]
	v_pk_fma_f32 v[146:147], v[140:141], v[130:131], v[144:145] op_sel:[0,0,1] op_sel_hi:[1,1,0] neg_lo:[0,0,1] neg_hi:[0,0,1]
	v_pk_fma_f32 v[140:141], v[140:141], v[130:131], v[144:145] op_sel:[0,0,1] op_sel_hi:[1,0,0]
	s_delay_alu instid0(VALU_DEP_1) | instskip(SKIP_1) | instid1(VALU_DEP_1)
	v_mov_b32_e32 v147, v141
	v_pk_mul_f32 v[140:141], v[142:143], v[132:133] op_sel:[0,1]
	v_pk_fma_f32 v[144:145], v[142:143], v[130:131], v[140:141] op_sel:[0,0,1] op_sel_hi:[1,1,0] neg_lo:[0,0,1] neg_hi:[0,0,1]
	v_pk_fma_f32 v[140:141], v[142:143], v[130:131], v[140:141] op_sel:[0,0,1] op_sel_hi:[1,0,0]
	s_delay_alu instid0(VALU_DEP_1)
	v_mov_b32_e32 v145, v141
	ds_load_2addr_b64 v[140:143], v134 offset0:60 offset1:61
	v_pk_add_f32 v[26:27], v[26:27], v[146:147] neg_lo:[0,1] neg_hi:[0,1]
	v_pk_add_f32 v[16:17], v[16:17], v[144:145] neg_lo:[0,1] neg_hi:[0,1]
	s_wait_dscnt 0x0
	v_pk_mul_f32 v[144:145], v[140:141], v[132:133] op_sel:[0,1]
	v_mul_f32_e32 v132, v143, v133
	s_delay_alu instid0(VALU_DEP_2) | instskip(SKIP_2) | instid1(VALU_DEP_4)
	v_pk_fma_f32 v[146:147], v[140:141], v[130:131], v[144:145] op_sel:[0,0,1] op_sel_hi:[1,1,0] neg_lo:[0,0,1] neg_hi:[0,0,1]
	v_pk_fma_f32 v[140:141], v[140:141], v[130:131], v[144:145] op_sel:[0,0,1] op_sel_hi:[1,0,0]
	v_dual_mov_b32 v140, v143 :: v_dual_mul_f32 v130, v143, v130
	v_pk_fma_f32 v[132:133], v[142:143], v[78:79], v[132:133] op_sel_hi:[1,1,0] neg_lo:[0,0,1] neg_hi:[0,0,1]
	s_delay_alu instid0(VALU_DEP_3) | instskip(NEXT) | instid1(VALU_DEP_1)
	v_dual_mov_b32 v147, v141 :: v_dual_mov_b32 v141, v142
	v_pk_add_f32 v[14:15], v[14:15], v[146:147] neg_lo:[0,1] neg_hi:[0,1]
	s_delay_alu instid0(VALU_DEP_2) | instskip(NEXT) | instid1(VALU_DEP_1)
	v_pk_fma_f32 v[130:131], v[140:141], v[78:79], v[130:131] op_sel_hi:[1,1,0]
	v_mov_b32_e32 v133, v131
	s_delay_alu instid0(VALU_DEP_1)
	v_pk_add_f32 v[128:129], v[128:129], v[132:133] neg_lo:[0,1] neg_hi:[0,1]
.LBB122_293:
	s_or_b32 exec_lo, exec_lo, s0
	v_lshl_add_u32 v130, v138, 3, v134
	s_barrier_signal -1
	s_barrier_wait -1
	ds_store_b64 v130, v[80:81]
	s_wait_dscnt 0x0
	s_barrier_signal -1
	s_barrier_wait -1
	ds_load_b64 v[132:133], v134 offset:112
	v_mov_b32_e32 v130, 14
	s_cmp_lt_i32 s18, 16
	s_cbranch_scc1 .LBB122_296
; %bb.294:
	v_add3_u32 v131, v135, 0, 0x78
	v_mov_b32_e32 v130, 14
	s_mov_b32 s0, 15
.LBB122_295:                            ; =>This Inner Loop Header: Depth=1
	ds_load_b64 v[140:141], v131
	s_wait_dscnt 0x1
	v_cmp_gt_f32_e32 vcc_lo, 0, v132
	v_cndmask_b32_e64 v142, v132, -v132, vcc_lo
	v_cmp_gt_f32_e32 vcc_lo, 0, v133
	v_cndmask_b32_e64 v144, v133, -v133, vcc_lo
	s_wait_dscnt 0x0
	v_cmp_gt_f32_e32 vcc_lo, 0, v140
	v_cndmask_b32_e64 v143, v140, -v140, vcc_lo
	v_cmp_gt_f32_e32 vcc_lo, 0, v141
	v_cndmask_b32_e64 v145, v141, -v141, vcc_lo
	s_delay_alu instid0(VALU_DEP_1) | instskip(NEXT) | instid1(VALU_DEP_1)
	v_pk_add_f32 v[142:143], v[142:143], v[144:145]
	v_cmp_lt_f32_e32 vcc_lo, v142, v143
	v_dual_add_nc_u32 v131, 8, v131 :: v_dual_cndmask_b32 v133, v133, v141, vcc_lo
	v_cndmask_b32_e32 v132, v132, v140, vcc_lo
	v_cndmask_b32_e64 v130, v130, s0, vcc_lo
	s_add_co_i32 s0, s0, 1
	s_delay_alu instid0(SALU_CYCLE_1)
	s_cmp_lg_u32 s18, s0
	s_cbranch_scc1 .LBB122_295
.LBB122_296:
	s_wait_dscnt 0x0
	v_cmp_eq_f32_e32 vcc_lo, 0, v132
	v_cmp_eq_f32_e64 s0, 0, v133
	s_and_b32 s0, vcc_lo, s0
	s_delay_alu instid0(SALU_CYCLE_1) | instskip(NEXT) | instid1(SALU_CYCLE_1)
	s_and_saveexec_b32 s1, s0
	s_xor_b32 s0, exec_lo, s1
; %bb.297:
	v_cmp_ne_u32_e32 vcc_lo, 0, v136
	v_cndmask_b32_e32 v136, 15, v136, vcc_lo
; %bb.298:
	s_and_not1_saveexec_b32 s0, s0
	s_cbranch_execz .LBB122_304
; %bb.299:
	v_cmp_ngt_f32_e64 s1, |v132|, |v133|
	s_and_saveexec_b32 s12, s1
	s_delay_alu instid0(SALU_CYCLE_1)
	s_xor_b32 s1, exec_lo, s12
	s_cbranch_execz .LBB122_301
; %bb.300:
	v_div_scale_f32 v131, null, v133, v133, v132
	v_div_scale_f32 v141, vcc_lo, v132, v133, v132
	s_delay_alu instid0(VALU_DEP_2) | instskip(SKIP_1) | instid1(TRANS32_DEP_1)
	v_rcp_f32_e32 v139, v131
	v_nop
	v_fma_f32 v140, -v131, v139, 1.0
	s_delay_alu instid0(VALU_DEP_1) | instskip(NEXT) | instid1(VALU_DEP_1)
	v_fmac_f32_e32 v139, v140, v139
	v_mul_f32_e32 v140, v141, v139
	s_delay_alu instid0(VALU_DEP_1) | instskip(NEXT) | instid1(VALU_DEP_1)
	v_fma_f32 v142, -v131, v140, v141
	v_fmac_f32_e32 v140, v142, v139
	s_delay_alu instid0(VALU_DEP_1) | instskip(NEXT) | instid1(VALU_DEP_1)
	v_fma_f32 v131, -v131, v140, v141
	v_div_fmas_f32 v131, v131, v139, v140
	s_delay_alu instid0(VALU_DEP_1) | instskip(NEXT) | instid1(VALU_DEP_1)
	v_div_fixup_f32 v131, v131, v133, v132
	v_fmac_f32_e32 v133, v132, v131
	s_delay_alu instid0(VALU_DEP_1) | instskip(SKIP_1) | instid1(VALU_DEP_2)
	v_div_scale_f32 v132, null, v133, v133, 1.0
	v_div_scale_f32 v141, vcc_lo, 1.0, v133, 1.0
	v_rcp_f32_e32 v139, v132
	v_nop
	s_delay_alu instid0(TRANS32_DEP_1) | instskip(NEXT) | instid1(VALU_DEP_1)
	v_fma_f32 v140, -v132, v139, 1.0
	v_fmac_f32_e32 v139, v140, v139
	s_delay_alu instid0(VALU_DEP_1) | instskip(NEXT) | instid1(VALU_DEP_1)
	v_mul_f32_e32 v140, v141, v139
	v_fma_f32 v142, -v132, v140, v141
	s_delay_alu instid0(VALU_DEP_1) | instskip(NEXT) | instid1(VALU_DEP_1)
	v_fmac_f32_e32 v140, v142, v139
	v_fma_f32 v132, -v132, v140, v141
	s_delay_alu instid0(VALU_DEP_1) | instskip(NEXT) | instid1(VALU_DEP_1)
	v_div_fmas_f32 v132, v132, v139, v140
	v_div_fixup_f32 v133, v132, v133, 1.0
	s_delay_alu instid0(VALU_DEP_1)
	v_mul_f32_e32 v132, v131, v133
	v_xor_b32_e32 v133, 0x80000000, v133
.LBB122_301:
	s_and_not1_saveexec_b32 s1, s1
	s_cbranch_execz .LBB122_303
; %bb.302:
	s_delay_alu instid0(VALU_DEP_1) | instskip(SKIP_1) | instid1(VALU_DEP_2)
	v_div_scale_f32 v131, null, v132, v132, v133
	v_div_scale_f32 v141, vcc_lo, v133, v132, v133
	v_rcp_f32_e32 v139, v131
	v_nop
	s_delay_alu instid0(TRANS32_DEP_1) | instskip(NEXT) | instid1(VALU_DEP_1)
	v_fma_f32 v140, -v131, v139, 1.0
	v_fmac_f32_e32 v139, v140, v139
	s_delay_alu instid0(VALU_DEP_1) | instskip(NEXT) | instid1(VALU_DEP_1)
	v_mul_f32_e32 v140, v141, v139
	v_fma_f32 v142, -v131, v140, v141
	s_delay_alu instid0(VALU_DEP_1) | instskip(NEXT) | instid1(VALU_DEP_1)
	v_fmac_f32_e32 v140, v142, v139
	v_fma_f32 v131, -v131, v140, v141
	s_delay_alu instid0(VALU_DEP_1) | instskip(NEXT) | instid1(VALU_DEP_1)
	v_div_fmas_f32 v131, v131, v139, v140
	v_div_fixup_f32 v131, v131, v132, v133
	s_delay_alu instid0(VALU_DEP_1) | instskip(NEXT) | instid1(VALU_DEP_1)
	v_fmac_f32_e32 v132, v133, v131
	v_div_scale_f32 v133, null, v132, v132, 1.0
	s_delay_alu instid0(VALU_DEP_1) | instskip(SKIP_1) | instid1(TRANS32_DEP_1)
	v_rcp_f32_e32 v139, v133
	v_nop
	v_fma_f32 v140, -v133, v139, 1.0
	s_delay_alu instid0(VALU_DEP_1) | instskip(SKIP_1) | instid1(VALU_DEP_1)
	v_fmac_f32_e32 v139, v140, v139
	v_div_scale_f32 v140, vcc_lo, 1.0, v132, 1.0
	v_mul_f32_e32 v141, v140, v139
	s_delay_alu instid0(VALU_DEP_1) | instskip(NEXT) | instid1(VALU_DEP_1)
	v_fma_f32 v142, -v133, v141, v140
	v_fmac_f32_e32 v141, v142, v139
	s_delay_alu instid0(VALU_DEP_1) | instskip(NEXT) | instid1(VALU_DEP_1)
	v_fma_f32 v133, -v133, v141, v140
	v_div_fmas_f32 v133, v133, v139, v141
	s_delay_alu instid0(VALU_DEP_1) | instskip(NEXT) | instid1(VALU_DEP_1)
	v_div_fixup_f32 v132, v133, v132, 1.0
	v_mul_f32_e64 v133, v131, -v132
.LBB122_303:
	s_or_b32 exec_lo, exec_lo, s1
.LBB122_304:
	s_delay_alu instid0(SALU_CYCLE_1) | instskip(NEXT) | instid1(SALU_CYCLE_1)
	s_or_b32 exec_lo, exec_lo, s0
	s_mov_b32 s0, exec_lo
	v_cmpx_ne_u32_e64 v138, v130
	s_xor_b32 s0, exec_lo, s0
	s_cbranch_execz .LBB122_310
; %bb.305:
	s_mov_b32 s1, exec_lo
	v_cmpx_eq_u32_e32 14, v138
	s_cbranch_execz .LBB122_309
; %bb.306:
	v_cmp_ne_u32_e32 vcc_lo, 14, v130
	s_xor_b32 s12, s16, -1
	s_delay_alu instid0(SALU_CYCLE_1) | instskip(NEXT) | instid1(SALU_CYCLE_1)
	s_and_b32 s13, s12, vcc_lo
	s_and_saveexec_b32 s12, s13
	s_cbranch_execz .LBB122_308
; %bb.307:
	v_ashrrev_i32_e32 v131, 31, v130
	s_delay_alu instid0(VALU_DEP_1)
	v_lshl_add_u64 v[138:139], v[130:131], 2, v[4:5]
	s_clause 0x1
	global_load_b32 v131, v[138:139], off
	global_load_b32 v137, v[4:5], off offset:56
	s_wait_loadcnt 0x1
	global_store_b32 v[4:5], v131, off offset:56
	s_wait_loadcnt 0x0
	global_store_b32 v[138:139], v137, off
.LBB122_308:
	s_wait_xcnt 0x0
	s_or_b32 exec_lo, exec_lo, s12
	v_dual_mov_b32 v138, v130 :: v_dual_mov_b32 v137, v130
.LBB122_309:
	s_or_b32 exec_lo, exec_lo, s1
.LBB122_310:
	s_and_not1_saveexec_b32 s0, s0
	s_cbranch_execz .LBB122_312
; %bb.311:
	v_mov_b32_e32 v138, 14
	ds_store_2addr_b64 v134, v[76:77], v[112:113] offset0:15 offset1:16
	ds_store_2addr_b64 v134, v[72:73], v[74:75] offset0:17 offset1:18
	;; [unrolled: 1-line block ×23, first 2 shown]
	ds_store_b64 v134, v[128:129] offset:488
.LBB122_312:
	s_or_b32 exec_lo, exec_lo, s0
	s_delay_alu instid0(SALU_CYCLE_1)
	s_mov_b32 s0, exec_lo
	s_wait_storecnt_dscnt 0x0
	s_barrier_signal -1
	s_barrier_wait -1
	v_cmpx_lt_i32_e32 14, v138
	s_cbranch_execz .LBB122_314
; %bb.313:
	v_pk_mul_f32 v[140:141], v[132:133], v[80:81] op_sel:[1,1] op_sel_hi:[0,1]
	s_delay_alu instid0(VALU_DEP_1)
	v_pk_fma_f32 v[130:131], v[132:133], v[80:81], v[140:141] op_sel_hi:[1,0,1] neg_lo:[0,0,1] neg_hi:[0,0,1]
	v_pk_fma_f32 v[132:133], v[132:133], v[80:81], v[140:141] op_sel_hi:[1,0,1]
	ds_load_2addr_b64 v[140:143], v134 offset0:15 offset1:16
	v_dual_mov_b32 v80, v130 :: v_dual_mov_b32 v81, v133
	s_wait_dscnt 0x0
	v_pk_mul_f32 v[144:145], v[140:141], v[132:133] op_sel:[0,1]
	s_delay_alu instid0(VALU_DEP_1) | instskip(SKIP_1) | instid1(VALU_DEP_1)
	v_pk_fma_f32 v[146:147], v[140:141], v[130:131], v[144:145] op_sel:[0,0,1] op_sel_hi:[1,1,0] neg_lo:[0,0,1] neg_hi:[0,0,1]
	v_pk_fma_f32 v[140:141], v[140:141], v[130:131], v[144:145] op_sel:[0,0,1] op_sel_hi:[1,0,0]
	v_mov_b32_e32 v147, v141
	v_pk_mul_f32 v[140:141], v[142:143], v[132:133] op_sel:[0,1]
	s_delay_alu instid0(VALU_DEP_1) | instskip(SKIP_1) | instid1(VALU_DEP_1)
	v_pk_fma_f32 v[144:145], v[142:143], v[130:131], v[140:141] op_sel:[0,0,1] op_sel_hi:[1,1,0] neg_lo:[0,0,1] neg_hi:[0,0,1]
	v_pk_fma_f32 v[140:141], v[142:143], v[130:131], v[140:141] op_sel:[0,0,1] op_sel_hi:[1,0,0]
	v_mov_b32_e32 v145, v141
	ds_load_2addr_b64 v[140:143], v134 offset0:17 offset1:18
	v_pk_add_f32 v[76:77], v[76:77], v[146:147] neg_lo:[0,1] neg_hi:[0,1]
	v_pk_add_f32 v[112:113], v[112:113], v[144:145] neg_lo:[0,1] neg_hi:[0,1]
	s_wait_dscnt 0x0
	v_pk_mul_f32 v[144:145], v[140:141], v[132:133] op_sel:[0,1]
	s_delay_alu instid0(VALU_DEP_1) | instskip(SKIP_2) | instid1(VALU_DEP_2)
	v_pk_fma_f32 v[146:147], v[140:141], v[130:131], v[144:145] op_sel:[0,0,1] op_sel_hi:[1,1,0] neg_lo:[0,0,1] neg_hi:[0,0,1]
	v_pk_fma_f32 v[140:141], v[140:141], v[130:131], v[144:145] op_sel:[0,0,1] op_sel_hi:[1,0,0]
	v_dual_mul_f32 v144, v143, v133 :: v_dual_mov_b32 v140, v143
	v_dual_mov_b32 v147, v141 :: v_dual_mov_b32 v141, v142
	s_delay_alu instid0(VALU_DEP_2) | instskip(SKIP_1) | instid1(VALU_DEP_3)
	v_pk_fma_f32 v[144:145], v[142:143], v[80:81], v[144:145] op_sel_hi:[1,1,0] neg_lo:[0,0,1] neg_hi:[0,0,1]
	v_mul_f32_e32 v142, v143, v130
	v_pk_add_f32 v[72:73], v[72:73], v[146:147] neg_lo:[0,1] neg_hi:[0,1]
	s_delay_alu instid0(VALU_DEP_2) | instskip(NEXT) | instid1(VALU_DEP_1)
	v_pk_fma_f32 v[140:141], v[140:141], v[80:81], v[142:143] op_sel_hi:[1,1,0]
	v_mov_b32_e32 v145, v141
	ds_load_2addr_b64 v[140:143], v134 offset0:19 offset1:20
	v_pk_add_f32 v[74:75], v[74:75], v[144:145] neg_lo:[0,1] neg_hi:[0,1]
	s_wait_dscnt 0x0
	v_pk_mul_f32 v[144:145], v[140:141], v[132:133] op_sel:[0,1]
	s_delay_alu instid0(VALU_DEP_1) | instskip(SKIP_1) | instid1(VALU_DEP_1)
	v_pk_fma_f32 v[146:147], v[140:141], v[130:131], v[144:145] op_sel:[0,0,1] op_sel_hi:[1,1,0] neg_lo:[0,0,1] neg_hi:[0,0,1]
	v_pk_fma_f32 v[140:141], v[140:141], v[130:131], v[144:145] op_sel:[0,0,1] op_sel_hi:[1,0,0]
	v_mov_b32_e32 v147, v141
	v_pk_mul_f32 v[140:141], v[142:143], v[132:133] op_sel:[0,1]
	s_delay_alu instid0(VALU_DEP_1) | instskip(SKIP_1) | instid1(VALU_DEP_1)
	v_pk_fma_f32 v[144:145], v[142:143], v[130:131], v[140:141] op_sel:[0,0,1] op_sel_hi:[1,1,0] neg_lo:[0,0,1] neg_hi:[0,0,1]
	v_pk_fma_f32 v[140:141], v[142:143], v[130:131], v[140:141] op_sel:[0,0,1] op_sel_hi:[1,0,0]
	v_mov_b32_e32 v145, v141
	ds_load_2addr_b64 v[140:143], v134 offset0:21 offset1:22
	v_pk_add_f32 v[70:71], v[70:71], v[146:147] neg_lo:[0,1] neg_hi:[0,1]
	v_pk_add_f32 v[110:111], v[110:111], v[144:145] neg_lo:[0,1] neg_hi:[0,1]
	s_wait_dscnt 0x0
	v_pk_mul_f32 v[144:145], v[140:141], v[132:133] op_sel:[0,1]
	s_delay_alu instid0(VALU_DEP_1) | instskip(SKIP_1) | instid1(VALU_DEP_1)
	v_pk_fma_f32 v[146:147], v[140:141], v[130:131], v[144:145] op_sel:[0,0,1] op_sel_hi:[1,1,0] neg_lo:[0,0,1] neg_hi:[0,0,1]
	v_pk_fma_f32 v[140:141], v[140:141], v[130:131], v[144:145] op_sel:[0,0,1] op_sel_hi:[1,0,0]
	v_mov_b32_e32 v147, v141
	v_pk_mul_f32 v[140:141], v[142:143], v[132:133] op_sel:[0,1]
	s_delay_alu instid0(VALU_DEP_1) | instskip(SKIP_1) | instid1(VALU_DEP_1)
	v_pk_fma_f32 v[144:145], v[142:143], v[130:131], v[140:141] op_sel:[0,0,1] op_sel_hi:[1,1,0] neg_lo:[0,0,1] neg_hi:[0,0,1]
	v_pk_fma_f32 v[140:141], v[142:143], v[130:131], v[140:141] op_sel:[0,0,1] op_sel_hi:[1,0,0]
	v_mov_b32_e32 v145, v141
	ds_load_2addr_b64 v[140:143], v134 offset0:23 offset1:24
	v_pk_add_f32 v[66:67], v[66:67], v[146:147] neg_lo:[0,1] neg_hi:[0,1]
	v_pk_add_f32 v[68:69], v[68:69], v[144:145] neg_lo:[0,1] neg_hi:[0,1]
	s_wait_dscnt 0x0
	v_dual_mul_f32 v144, v141, v133 :: v_dual_mul_f32 v146, v141, v130
	s_delay_alu instid0(VALU_DEP_1) | instskip(NEXT) | instid1(VALU_DEP_2)
	v_pk_fma_f32 v[144:145], v[140:141], v[80:81], v[144:145] op_sel_hi:[1,1,0] neg_lo:[0,0,1] neg_hi:[0,0,1]
	v_pk_fma_f32 v[140:141], v[140:141], v[80:81], v[146:147] op_sel:[1,0,0] op_sel_hi:[0,1,0]
	s_delay_alu instid0(VALU_DEP_1) | instskip(SKIP_1) | instid1(VALU_DEP_2)
	v_mov_b32_e32 v145, v141
	v_pk_mul_f32 v[140:141], v[142:143], v[132:133] op_sel:[0,1]
	v_pk_add_f32 v[64:65], v[64:65], v[144:145] neg_lo:[0,1] neg_hi:[0,1]
	s_delay_alu instid0(VALU_DEP_2) | instskip(SKIP_1) | instid1(VALU_DEP_1)
	v_pk_fma_f32 v[144:145], v[142:143], v[130:131], v[140:141] op_sel:[0,0,1] op_sel_hi:[1,1,0] neg_lo:[0,0,1] neg_hi:[0,0,1]
	v_pk_fma_f32 v[140:141], v[142:143], v[130:131], v[140:141] op_sel:[0,0,1] op_sel_hi:[1,0,0]
	v_mov_b32_e32 v145, v141
	ds_load_2addr_b64 v[140:143], v134 offset0:25 offset1:26
	v_pk_add_f32 v[108:109], v[108:109], v[144:145] neg_lo:[0,1] neg_hi:[0,1]
	s_wait_dscnt 0x0
	v_pk_mul_f32 v[144:145], v[140:141], v[132:133] op_sel:[0,1]
	s_delay_alu instid0(VALU_DEP_1) | instskip(SKIP_1) | instid1(VALU_DEP_1)
	v_pk_fma_f32 v[146:147], v[140:141], v[130:131], v[144:145] op_sel:[0,0,1] op_sel_hi:[1,1,0] neg_lo:[0,0,1] neg_hi:[0,0,1]
	v_pk_fma_f32 v[140:141], v[140:141], v[130:131], v[144:145] op_sel:[0,0,1] op_sel_hi:[1,0,0]
	v_mov_b32_e32 v147, v141
	v_pk_mul_f32 v[140:141], v[142:143], v[132:133] op_sel:[0,1]
	s_delay_alu instid0(VALU_DEP_2) | instskip(NEXT) | instid1(VALU_DEP_2)
	v_pk_add_f32 v[60:61], v[60:61], v[146:147] neg_lo:[0,1] neg_hi:[0,1]
	v_pk_fma_f32 v[144:145], v[142:143], v[130:131], v[140:141] op_sel:[0,0,1] op_sel_hi:[1,1,0] neg_lo:[0,0,1] neg_hi:[0,0,1]
	v_pk_fma_f32 v[140:141], v[142:143], v[130:131], v[140:141] op_sel:[0,0,1] op_sel_hi:[1,0,0]
	s_delay_alu instid0(VALU_DEP_1) | instskip(SKIP_4) | instid1(VALU_DEP_1)
	v_mov_b32_e32 v145, v141
	ds_load_2addr_b64 v[140:143], v134 offset0:27 offset1:28
	v_pk_add_f32 v[62:63], v[62:63], v[144:145] neg_lo:[0,1] neg_hi:[0,1]
	s_wait_dscnt 0x0
	v_pk_mul_f32 v[144:145], v[140:141], v[132:133] op_sel:[0,1]
	v_pk_fma_f32 v[146:147], v[140:141], v[130:131], v[144:145] op_sel:[0,0,1] op_sel_hi:[1,1,0] neg_lo:[0,0,1] neg_hi:[0,0,1]
	v_pk_fma_f32 v[140:141], v[140:141], v[130:131], v[144:145] op_sel:[0,0,1] op_sel_hi:[1,0,0]
	v_dual_mul_f32 v144, v143, v133 :: v_dual_mov_b32 v140, v143
	s_delay_alu instid0(VALU_DEP_2) | instskip(NEXT) | instid1(VALU_DEP_2)
	v_dual_mov_b32 v147, v141 :: v_dual_mov_b32 v141, v142
	v_pk_fma_f32 v[144:145], v[142:143], v[80:81], v[144:145] op_sel_hi:[1,1,0] neg_lo:[0,0,1] neg_hi:[0,0,1]
	v_mul_f32_e32 v142, v143, v130
	s_delay_alu instid0(VALU_DEP_3) | instskip(NEXT) | instid1(VALU_DEP_2)
	v_pk_add_f32 v[58:59], v[58:59], v[146:147] neg_lo:[0,1] neg_hi:[0,1]
	v_pk_fma_f32 v[140:141], v[140:141], v[80:81], v[142:143] op_sel_hi:[1,1,0]
	s_delay_alu instid0(VALU_DEP_1) | instskip(SKIP_4) | instid1(VALU_DEP_1)
	v_mov_b32_e32 v145, v141
	ds_load_2addr_b64 v[140:143], v134 offset0:29 offset1:30
	v_pk_add_f32 v[106:107], v[106:107], v[144:145] neg_lo:[0,1] neg_hi:[0,1]
	s_wait_dscnt 0x0
	v_pk_mul_f32 v[144:145], v[140:141], v[132:133] op_sel:[0,1]
	v_pk_fma_f32 v[146:147], v[140:141], v[130:131], v[144:145] op_sel:[0,0,1] op_sel_hi:[1,1,0] neg_lo:[0,0,1] neg_hi:[0,0,1]
	v_pk_fma_f32 v[140:141], v[140:141], v[130:131], v[144:145] op_sel:[0,0,1] op_sel_hi:[1,0,0]
	s_delay_alu instid0(VALU_DEP_1) | instskip(SKIP_1) | instid1(VALU_DEP_1)
	v_mov_b32_e32 v147, v141
	v_pk_mul_f32 v[140:141], v[142:143], v[132:133] op_sel:[0,1]
	v_pk_fma_f32 v[144:145], v[142:143], v[130:131], v[140:141] op_sel:[0,0,1] op_sel_hi:[1,1,0] neg_lo:[0,0,1] neg_hi:[0,0,1]
	v_pk_fma_f32 v[140:141], v[142:143], v[130:131], v[140:141] op_sel:[0,0,1] op_sel_hi:[1,0,0]
	s_delay_alu instid0(VALU_DEP_1)
	v_mov_b32_e32 v145, v141
	ds_load_2addr_b64 v[140:143], v134 offset0:31 offset1:32
	v_pk_add_f32 v[54:55], v[54:55], v[146:147] neg_lo:[0,1] neg_hi:[0,1]
	v_pk_add_f32 v[56:57], v[56:57], v[144:145] neg_lo:[0,1] neg_hi:[0,1]
	s_wait_dscnt 0x0
	v_pk_mul_f32 v[144:145], v[140:141], v[132:133] op_sel:[0,1]
	s_delay_alu instid0(VALU_DEP_1) | instskip(SKIP_1) | instid1(VALU_DEP_1)
	v_pk_fma_f32 v[146:147], v[140:141], v[130:131], v[144:145] op_sel:[0,0,1] op_sel_hi:[1,1,0] neg_lo:[0,0,1] neg_hi:[0,0,1]
	v_pk_fma_f32 v[140:141], v[140:141], v[130:131], v[144:145] op_sel:[0,0,1] op_sel_hi:[1,0,0]
	v_mov_b32_e32 v147, v141
	v_pk_mul_f32 v[140:141], v[142:143], v[132:133] op_sel:[0,1]
	s_delay_alu instid0(VALU_DEP_1) | instskip(SKIP_1) | instid1(VALU_DEP_1)
	v_pk_fma_f32 v[144:145], v[142:143], v[130:131], v[140:141] op_sel:[0,0,1] op_sel_hi:[1,1,0] neg_lo:[0,0,1] neg_hi:[0,0,1]
	v_pk_fma_f32 v[140:141], v[142:143], v[130:131], v[140:141] op_sel:[0,0,1] op_sel_hi:[1,0,0]
	v_mov_b32_e32 v145, v141
	ds_load_2addr_b64 v[140:143], v134 offset0:33 offset1:34
	v_pk_add_f32 v[52:53], v[52:53], v[146:147] neg_lo:[0,1] neg_hi:[0,1]
	v_pk_add_f32 v[104:105], v[104:105], v[144:145] neg_lo:[0,1] neg_hi:[0,1]
	s_wait_dscnt 0x0
	v_dual_mul_f32 v144, v141, v133 :: v_dual_mul_f32 v146, v141, v130
	s_delay_alu instid0(VALU_DEP_1) | instskip(NEXT) | instid1(VALU_DEP_2)
	v_pk_fma_f32 v[144:145], v[140:141], v[80:81], v[144:145] op_sel_hi:[1,1,0] neg_lo:[0,0,1] neg_hi:[0,0,1]
	v_pk_fma_f32 v[140:141], v[140:141], v[80:81], v[146:147] op_sel:[1,0,0] op_sel_hi:[0,1,0]
	s_delay_alu instid0(VALU_DEP_1) | instskip(SKIP_1) | instid1(VALU_DEP_2)
	v_mov_b32_e32 v145, v141
	v_pk_mul_f32 v[140:141], v[142:143], v[132:133] op_sel:[0,1]
	v_pk_add_f32 v[48:49], v[48:49], v[144:145] neg_lo:[0,1] neg_hi:[0,1]
	s_delay_alu instid0(VALU_DEP_2) | instskip(SKIP_1) | instid1(VALU_DEP_1)
	v_pk_fma_f32 v[144:145], v[142:143], v[130:131], v[140:141] op_sel:[0,0,1] op_sel_hi:[1,1,0] neg_lo:[0,0,1] neg_hi:[0,0,1]
	v_pk_fma_f32 v[140:141], v[142:143], v[130:131], v[140:141] op_sel:[0,0,1] op_sel_hi:[1,0,0]
	v_mov_b32_e32 v145, v141
	ds_load_2addr_b64 v[140:143], v134 offset0:35 offset1:36
	v_pk_add_f32 v[50:51], v[50:51], v[144:145] neg_lo:[0,1] neg_hi:[0,1]
	s_wait_dscnt 0x0
	v_pk_mul_f32 v[144:145], v[140:141], v[132:133] op_sel:[0,1]
	s_delay_alu instid0(VALU_DEP_1) | instskip(SKIP_1) | instid1(VALU_DEP_1)
	v_pk_fma_f32 v[146:147], v[140:141], v[130:131], v[144:145] op_sel:[0,0,1] op_sel_hi:[1,1,0] neg_lo:[0,0,1] neg_hi:[0,0,1]
	v_pk_fma_f32 v[140:141], v[140:141], v[130:131], v[144:145] op_sel:[0,0,1] op_sel_hi:[1,0,0]
	v_mov_b32_e32 v147, v141
	v_pk_mul_f32 v[140:141], v[142:143], v[132:133] op_sel:[0,1]
	s_delay_alu instid0(VALU_DEP_2) | instskip(NEXT) | instid1(VALU_DEP_2)
	v_pk_add_f32 v[46:47], v[46:47], v[146:147] neg_lo:[0,1] neg_hi:[0,1]
	v_pk_fma_f32 v[144:145], v[142:143], v[130:131], v[140:141] op_sel:[0,0,1] op_sel_hi:[1,1,0] neg_lo:[0,0,1] neg_hi:[0,0,1]
	v_pk_fma_f32 v[140:141], v[142:143], v[130:131], v[140:141] op_sel:[0,0,1] op_sel_hi:[1,0,0]
	s_delay_alu instid0(VALU_DEP_1) | instskip(SKIP_4) | instid1(VALU_DEP_1)
	v_mov_b32_e32 v145, v141
	ds_load_2addr_b64 v[140:143], v134 offset0:37 offset1:38
	v_pk_add_f32 v[102:103], v[102:103], v[144:145] neg_lo:[0,1] neg_hi:[0,1]
	s_wait_dscnt 0x0
	v_pk_mul_f32 v[144:145], v[140:141], v[132:133] op_sel:[0,1]
	v_pk_fma_f32 v[146:147], v[140:141], v[130:131], v[144:145] op_sel:[0,0,1] op_sel_hi:[1,1,0] neg_lo:[0,0,1] neg_hi:[0,0,1]
	v_pk_fma_f32 v[140:141], v[140:141], v[130:131], v[144:145] op_sel:[0,0,1] op_sel_hi:[1,0,0]
	v_dual_mul_f32 v144, v143, v133 :: v_dual_mov_b32 v140, v143
	s_delay_alu instid0(VALU_DEP_2) | instskip(NEXT) | instid1(VALU_DEP_2)
	v_dual_mov_b32 v147, v141 :: v_dual_mov_b32 v141, v142
	v_pk_fma_f32 v[144:145], v[142:143], v[80:81], v[144:145] op_sel_hi:[1,1,0] neg_lo:[0,0,1] neg_hi:[0,0,1]
	v_mul_f32_e32 v142, v143, v130
	s_delay_alu instid0(VALU_DEP_3) | instskip(NEXT) | instid1(VALU_DEP_2)
	v_pk_add_f32 v[40:41], v[40:41], v[146:147] neg_lo:[0,1] neg_hi:[0,1]
	v_pk_fma_f32 v[140:141], v[140:141], v[80:81], v[142:143] op_sel_hi:[1,1,0]
	s_delay_alu instid0(VALU_DEP_1) | instskip(SKIP_4) | instid1(VALU_DEP_1)
	v_mov_b32_e32 v145, v141
	ds_load_2addr_b64 v[140:143], v134 offset0:39 offset1:40
	v_pk_add_f32 v[42:43], v[42:43], v[144:145] neg_lo:[0,1] neg_hi:[0,1]
	s_wait_dscnt 0x0
	v_pk_mul_f32 v[144:145], v[140:141], v[132:133] op_sel:[0,1]
	v_pk_fma_f32 v[146:147], v[140:141], v[130:131], v[144:145] op_sel:[0,0,1] op_sel_hi:[1,1,0] neg_lo:[0,0,1] neg_hi:[0,0,1]
	v_pk_fma_f32 v[140:141], v[140:141], v[130:131], v[144:145] op_sel:[0,0,1] op_sel_hi:[1,0,0]
	s_delay_alu instid0(VALU_DEP_1) | instskip(SKIP_1) | instid1(VALU_DEP_1)
	v_mov_b32_e32 v147, v141
	v_pk_mul_f32 v[140:141], v[142:143], v[132:133] op_sel:[0,1]
	v_pk_fma_f32 v[144:145], v[142:143], v[130:131], v[140:141] op_sel:[0,0,1] op_sel_hi:[1,1,0] neg_lo:[0,0,1] neg_hi:[0,0,1]
	v_pk_fma_f32 v[140:141], v[142:143], v[130:131], v[140:141] op_sel:[0,0,1] op_sel_hi:[1,0,0]
	s_delay_alu instid0(VALU_DEP_1)
	v_mov_b32_e32 v145, v141
	ds_load_2addr_b64 v[140:143], v134 offset0:41 offset1:42
	v_pk_add_f32 v[38:39], v[38:39], v[146:147] neg_lo:[0,1] neg_hi:[0,1]
	v_pk_add_f32 v[100:101], v[100:101], v[144:145] neg_lo:[0,1] neg_hi:[0,1]
	s_wait_dscnt 0x0
	v_pk_mul_f32 v[144:145], v[140:141], v[132:133] op_sel:[0,1]
	s_delay_alu instid0(VALU_DEP_1) | instskip(SKIP_1) | instid1(VALU_DEP_1)
	v_pk_fma_f32 v[146:147], v[140:141], v[130:131], v[144:145] op_sel:[0,0,1] op_sel_hi:[1,1,0] neg_lo:[0,0,1] neg_hi:[0,0,1]
	v_pk_fma_f32 v[140:141], v[140:141], v[130:131], v[144:145] op_sel:[0,0,1] op_sel_hi:[1,0,0]
	v_mov_b32_e32 v147, v141
	v_pk_mul_f32 v[140:141], v[142:143], v[132:133] op_sel:[0,1]
	s_delay_alu instid0(VALU_DEP_1) | instskip(SKIP_1) | instid1(VALU_DEP_1)
	v_pk_fma_f32 v[144:145], v[142:143], v[130:131], v[140:141] op_sel:[0,0,1] op_sel_hi:[1,1,0] neg_lo:[0,0,1] neg_hi:[0,0,1]
	v_pk_fma_f32 v[140:141], v[142:143], v[130:131], v[140:141] op_sel:[0,0,1] op_sel_hi:[1,0,0]
	v_mov_b32_e32 v145, v141
	ds_load_2addr_b64 v[140:143], v134 offset0:43 offset1:44
	v_pk_add_f32 v[32:33], v[32:33], v[146:147] neg_lo:[0,1] neg_hi:[0,1]
	v_pk_add_f32 v[34:35], v[34:35], v[144:145] neg_lo:[0,1] neg_hi:[0,1]
	s_wait_dscnt 0x0
	v_dual_mul_f32 v144, v141, v133 :: v_dual_mul_f32 v146, v141, v130
	s_delay_alu instid0(VALU_DEP_1) | instskip(NEXT) | instid1(VALU_DEP_2)
	v_pk_fma_f32 v[144:145], v[140:141], v[80:81], v[144:145] op_sel_hi:[1,1,0] neg_lo:[0,0,1] neg_hi:[0,0,1]
	v_pk_fma_f32 v[140:141], v[140:141], v[80:81], v[146:147] op_sel:[1,0,0] op_sel_hi:[0,1,0]
	s_delay_alu instid0(VALU_DEP_1) | instskip(SKIP_1) | instid1(VALU_DEP_2)
	v_mov_b32_e32 v145, v141
	v_pk_mul_f32 v[140:141], v[142:143], v[132:133] op_sel:[0,1]
	v_pk_add_f32 v[30:31], v[30:31], v[144:145] neg_lo:[0,1] neg_hi:[0,1]
	s_delay_alu instid0(VALU_DEP_2) | instskip(SKIP_1) | instid1(VALU_DEP_1)
	v_pk_fma_f32 v[144:145], v[142:143], v[130:131], v[140:141] op_sel:[0,0,1] op_sel_hi:[1,1,0] neg_lo:[0,0,1] neg_hi:[0,0,1]
	v_pk_fma_f32 v[140:141], v[142:143], v[130:131], v[140:141] op_sel:[0,0,1] op_sel_hi:[1,0,0]
	v_mov_b32_e32 v145, v141
	ds_load_2addr_b64 v[140:143], v134 offset0:45 offset1:46
	v_pk_add_f32 v[98:99], v[98:99], v[144:145] neg_lo:[0,1] neg_hi:[0,1]
	s_wait_dscnt 0x0
	v_pk_mul_f32 v[144:145], v[140:141], v[132:133] op_sel:[0,1]
	s_delay_alu instid0(VALU_DEP_1) | instskip(SKIP_1) | instid1(VALU_DEP_1)
	v_pk_fma_f32 v[146:147], v[140:141], v[130:131], v[144:145] op_sel:[0,0,1] op_sel_hi:[1,1,0] neg_lo:[0,0,1] neg_hi:[0,0,1]
	v_pk_fma_f32 v[140:141], v[140:141], v[130:131], v[144:145] op_sel:[0,0,1] op_sel_hi:[1,0,0]
	v_mov_b32_e32 v147, v141
	v_pk_mul_f32 v[140:141], v[142:143], v[132:133] op_sel:[0,1]
	s_delay_alu instid0(VALU_DEP_2) | instskip(NEXT) | instid1(VALU_DEP_2)
	v_pk_add_f32 v[24:25], v[24:25], v[146:147] neg_lo:[0,1] neg_hi:[0,1]
	v_pk_fma_f32 v[144:145], v[142:143], v[130:131], v[140:141] op_sel:[0,0,1] op_sel_hi:[1,1,0] neg_lo:[0,0,1] neg_hi:[0,0,1]
	v_pk_fma_f32 v[140:141], v[142:143], v[130:131], v[140:141] op_sel:[0,0,1] op_sel_hi:[1,0,0]
	s_delay_alu instid0(VALU_DEP_1) | instskip(SKIP_4) | instid1(VALU_DEP_1)
	v_mov_b32_e32 v145, v141
	ds_load_2addr_b64 v[140:143], v134 offset0:47 offset1:48
	v_pk_add_f32 v[28:29], v[28:29], v[144:145] neg_lo:[0,1] neg_hi:[0,1]
	s_wait_dscnt 0x0
	v_pk_mul_f32 v[144:145], v[140:141], v[132:133] op_sel:[0,1]
	v_pk_fma_f32 v[146:147], v[140:141], v[130:131], v[144:145] op_sel:[0,0,1] op_sel_hi:[1,1,0] neg_lo:[0,0,1] neg_hi:[0,0,1]
	v_pk_fma_f32 v[140:141], v[140:141], v[130:131], v[144:145] op_sel:[0,0,1] op_sel_hi:[1,0,0]
	v_dual_mul_f32 v144, v143, v133 :: v_dual_mov_b32 v140, v143
	s_delay_alu instid0(VALU_DEP_2) | instskip(NEXT) | instid1(VALU_DEP_2)
	v_dual_mov_b32 v147, v141 :: v_dual_mov_b32 v141, v142
	v_pk_fma_f32 v[144:145], v[142:143], v[80:81], v[144:145] op_sel_hi:[1,1,0] neg_lo:[0,0,1] neg_hi:[0,0,1]
	v_mul_f32_e32 v142, v143, v130
	s_delay_alu instid0(VALU_DEP_3) | instskip(NEXT) | instid1(VALU_DEP_2)
	v_pk_add_f32 v[22:23], v[22:23], v[146:147] neg_lo:[0,1] neg_hi:[0,1]
	v_pk_fma_f32 v[140:141], v[140:141], v[80:81], v[142:143] op_sel_hi:[1,1,0]
	s_delay_alu instid0(VALU_DEP_1) | instskip(SKIP_4) | instid1(VALU_DEP_1)
	v_mov_b32_e32 v145, v141
	ds_load_2addr_b64 v[140:143], v134 offset0:49 offset1:50
	v_pk_add_f32 v[96:97], v[96:97], v[144:145] neg_lo:[0,1] neg_hi:[0,1]
	s_wait_dscnt 0x0
	v_pk_mul_f32 v[144:145], v[140:141], v[132:133] op_sel:[0,1]
	v_pk_fma_f32 v[146:147], v[140:141], v[130:131], v[144:145] op_sel:[0,0,1] op_sel_hi:[1,1,0] neg_lo:[0,0,1] neg_hi:[0,0,1]
	v_pk_fma_f32 v[140:141], v[140:141], v[130:131], v[144:145] op_sel:[0,0,1] op_sel_hi:[1,0,0]
	s_delay_alu instid0(VALU_DEP_1) | instskip(SKIP_1) | instid1(VALU_DEP_1)
	v_mov_b32_e32 v147, v141
	v_pk_mul_f32 v[140:141], v[142:143], v[132:133] op_sel:[0,1]
	v_pk_fma_f32 v[144:145], v[142:143], v[130:131], v[140:141] op_sel:[0,0,1] op_sel_hi:[1,1,0] neg_lo:[0,0,1] neg_hi:[0,0,1]
	v_pk_fma_f32 v[140:141], v[142:143], v[130:131], v[140:141] op_sel:[0,0,1] op_sel_hi:[1,0,0]
	s_delay_alu instid0(VALU_DEP_1)
	v_mov_b32_e32 v145, v141
	ds_load_2addr_b64 v[140:143], v134 offset0:51 offset1:52
	v_pk_add_f32 v[18:19], v[18:19], v[146:147] neg_lo:[0,1] neg_hi:[0,1]
	v_pk_add_f32 v[20:21], v[20:21], v[144:145] neg_lo:[0,1] neg_hi:[0,1]
	s_wait_dscnt 0x0
	v_pk_mul_f32 v[144:145], v[140:141], v[132:133] op_sel:[0,1]
	s_delay_alu instid0(VALU_DEP_1) | instskip(SKIP_1) | instid1(VALU_DEP_1)
	v_pk_fma_f32 v[146:147], v[140:141], v[130:131], v[144:145] op_sel:[0,0,1] op_sel_hi:[1,1,0] neg_lo:[0,0,1] neg_hi:[0,0,1]
	v_pk_fma_f32 v[140:141], v[140:141], v[130:131], v[144:145] op_sel:[0,0,1] op_sel_hi:[1,0,0]
	v_mov_b32_e32 v147, v141
	v_pk_mul_f32 v[140:141], v[142:143], v[132:133] op_sel:[0,1]
	s_delay_alu instid0(VALU_DEP_1) | instskip(SKIP_1) | instid1(VALU_DEP_1)
	v_pk_fma_f32 v[144:145], v[142:143], v[130:131], v[140:141] op_sel:[0,0,1] op_sel_hi:[1,1,0] neg_lo:[0,0,1] neg_hi:[0,0,1]
	v_pk_fma_f32 v[140:141], v[142:143], v[130:131], v[140:141] op_sel:[0,0,1] op_sel_hi:[1,0,0]
	v_mov_b32_e32 v145, v141
	ds_load_2addr_b64 v[140:143], v134 offset0:53 offset1:54
	v_pk_add_f32 v[36:37], v[36:37], v[146:147] neg_lo:[0,1] neg_hi:[0,1]
	v_pk_add_f32 v[86:87], v[86:87], v[144:145] neg_lo:[0,1] neg_hi:[0,1]
	s_wait_dscnt 0x0
	v_dual_mul_f32 v144, v141, v133 :: v_dual_mul_f32 v146, v141, v130
	s_delay_alu instid0(VALU_DEP_1) | instskip(NEXT) | instid1(VALU_DEP_2)
	v_pk_fma_f32 v[144:145], v[140:141], v[80:81], v[144:145] op_sel_hi:[1,1,0] neg_lo:[0,0,1] neg_hi:[0,0,1]
	v_pk_fma_f32 v[140:141], v[140:141], v[80:81], v[146:147] op_sel:[1,0,0] op_sel_hi:[0,1,0]
	s_delay_alu instid0(VALU_DEP_1) | instskip(SKIP_1) | instid1(VALU_DEP_2)
	v_mov_b32_e32 v145, v141
	v_pk_mul_f32 v[140:141], v[142:143], v[132:133] op_sel:[0,1]
	v_pk_add_f32 v[10:11], v[10:11], v[144:145] neg_lo:[0,1] neg_hi:[0,1]
	s_delay_alu instid0(VALU_DEP_2) | instskip(SKIP_1) | instid1(VALU_DEP_1)
	v_pk_fma_f32 v[144:145], v[142:143], v[130:131], v[140:141] op_sel:[0,0,1] op_sel_hi:[1,1,0] neg_lo:[0,0,1] neg_hi:[0,0,1]
	v_pk_fma_f32 v[140:141], v[142:143], v[130:131], v[140:141] op_sel:[0,0,1] op_sel_hi:[1,0,0]
	v_mov_b32_e32 v145, v141
	ds_load_2addr_b64 v[140:143], v134 offset0:55 offset1:56
	v_pk_add_f32 v[12:13], v[12:13], v[144:145] neg_lo:[0,1] neg_hi:[0,1]
	s_wait_dscnt 0x0
	v_pk_mul_f32 v[144:145], v[140:141], v[132:133] op_sel:[0,1]
	s_delay_alu instid0(VALU_DEP_1) | instskip(SKIP_1) | instid1(VALU_DEP_1)
	v_pk_fma_f32 v[146:147], v[140:141], v[130:131], v[144:145] op_sel:[0,0,1] op_sel_hi:[1,1,0] neg_lo:[0,0,1] neg_hi:[0,0,1]
	v_pk_fma_f32 v[140:141], v[140:141], v[130:131], v[144:145] op_sel:[0,0,1] op_sel_hi:[1,0,0]
	v_mov_b32_e32 v147, v141
	v_pk_mul_f32 v[140:141], v[142:143], v[132:133] op_sel:[0,1]
	s_delay_alu instid0(VALU_DEP_2) | instskip(NEXT) | instid1(VALU_DEP_2)
	v_pk_add_f32 v[8:9], v[8:9], v[146:147] neg_lo:[0,1] neg_hi:[0,1]
	v_pk_fma_f32 v[144:145], v[142:143], v[130:131], v[140:141] op_sel:[0,0,1] op_sel_hi:[1,1,0] neg_lo:[0,0,1] neg_hi:[0,0,1]
	v_pk_fma_f32 v[140:141], v[142:143], v[130:131], v[140:141] op_sel:[0,0,1] op_sel_hi:[1,0,0]
	s_delay_alu instid0(VALU_DEP_1) | instskip(SKIP_4) | instid1(VALU_DEP_1)
	v_mov_b32_e32 v145, v141
	ds_load_2addr_b64 v[140:143], v134 offset0:57 offset1:58
	v_pk_add_f32 v[44:45], v[44:45], v[144:145] neg_lo:[0,1] neg_hi:[0,1]
	s_wait_dscnt 0x0
	v_pk_mul_f32 v[144:145], v[140:141], v[132:133] op_sel:[0,1]
	v_pk_fma_f32 v[146:147], v[140:141], v[130:131], v[144:145] op_sel:[0,0,1] op_sel_hi:[1,1,0] neg_lo:[0,0,1] neg_hi:[0,0,1]
	v_pk_fma_f32 v[140:141], v[140:141], v[130:131], v[144:145] op_sel:[0,0,1] op_sel_hi:[1,0,0]
	v_dual_mul_f32 v144, v143, v133 :: v_dual_mov_b32 v140, v143
	s_delay_alu instid0(VALU_DEP_2) | instskip(NEXT) | instid1(VALU_DEP_2)
	v_dual_mov_b32 v147, v141 :: v_dual_mov_b32 v141, v142
	v_pk_fma_f32 v[144:145], v[142:143], v[80:81], v[144:145] op_sel_hi:[1,1,0] neg_lo:[0,0,1] neg_hi:[0,0,1]
	v_mul_f32_e32 v142, v143, v130
	s_delay_alu instid0(VALU_DEP_3) | instskip(NEXT) | instid1(VALU_DEP_2)
	v_pk_add_f32 v[6:7], v[6:7], v[146:147] neg_lo:[0,1] neg_hi:[0,1]
	v_pk_fma_f32 v[140:141], v[140:141], v[80:81], v[142:143] op_sel_hi:[1,1,0]
	s_delay_alu instid0(VALU_DEP_1) | instskip(SKIP_4) | instid1(VALU_DEP_1)
	v_mov_b32_e32 v145, v141
	ds_load_2addr_b64 v[140:143], v134 offset0:59 offset1:60
	v_pk_add_f32 v[26:27], v[26:27], v[144:145] neg_lo:[0,1] neg_hi:[0,1]
	s_wait_dscnt 0x0
	v_pk_mul_f32 v[144:145], v[140:141], v[132:133] op_sel:[0,1]
	v_pk_fma_f32 v[146:147], v[140:141], v[130:131], v[144:145] op_sel:[0,0,1] op_sel_hi:[1,1,0] neg_lo:[0,0,1] neg_hi:[0,0,1]
	v_pk_fma_f32 v[140:141], v[140:141], v[130:131], v[144:145] op_sel:[0,0,1] op_sel_hi:[1,0,0]
	s_delay_alu instid0(VALU_DEP_1) | instskip(SKIP_1) | instid1(VALU_DEP_1)
	v_mov_b32_e32 v147, v141
	v_pk_mul_f32 v[140:141], v[142:143], v[132:133] op_sel:[0,1]
	v_pk_fma_f32 v[144:145], v[142:143], v[130:131], v[140:141] op_sel:[0,0,1] op_sel_hi:[1,1,0] neg_lo:[0,0,1] neg_hi:[0,0,1]
	v_pk_fma_f32 v[140:141], v[142:143], v[130:131], v[140:141] op_sel:[0,0,1] op_sel_hi:[1,0,0]
	s_delay_alu instid0(VALU_DEP_1)
	v_mov_b32_e32 v145, v141
	ds_load_b64 v[140:141], v134 offset:488
	v_pk_add_f32 v[16:17], v[16:17], v[146:147] neg_lo:[0,1] neg_hi:[0,1]
	v_pk_add_f32 v[14:15], v[14:15], v[144:145] neg_lo:[0,1] neg_hi:[0,1]
	s_wait_dscnt 0x0
	v_pk_mul_f32 v[132:133], v[140:141], v[132:133] op_sel:[0,1]
	s_delay_alu instid0(VALU_DEP_1) | instskip(SKIP_1) | instid1(VALU_DEP_1)
	v_pk_fma_f32 v[142:143], v[140:141], v[130:131], v[132:133] op_sel:[0,0,1] op_sel_hi:[1,1,0] neg_lo:[0,0,1] neg_hi:[0,0,1]
	v_pk_fma_f32 v[130:131], v[140:141], v[130:131], v[132:133] op_sel:[0,0,1] op_sel_hi:[1,0,0]
	v_mov_b32_e32 v143, v131
	s_delay_alu instid0(VALU_DEP_1)
	v_pk_add_f32 v[128:129], v[128:129], v[142:143] neg_lo:[0,1] neg_hi:[0,1]
.LBB122_314:
	s_or_b32 exec_lo, exec_lo, s0
	v_lshl_add_u32 v130, v138, 3, v134
	s_barrier_signal -1
	s_barrier_wait -1
	ds_store_b64 v130, v[76:77]
	s_wait_dscnt 0x0
	s_barrier_signal -1
	s_barrier_wait -1
	ds_load_b64 v[132:133], v134 offset:120
	v_mov_b32_e32 v130, 15
	s_cmp_lt_i32 s18, 17
	s_cbranch_scc1 .LBB122_317
; %bb.315:
	v_add3_u32 v131, v135, 0, 0x80
	v_mov_b32_e32 v130, 15
	s_mov_b32 s0, 16
.LBB122_316:                            ; =>This Inner Loop Header: Depth=1
	ds_load_b64 v[140:141], v131
	s_wait_dscnt 0x1
	v_cmp_gt_f32_e32 vcc_lo, 0, v132
	v_cndmask_b32_e64 v142, v132, -v132, vcc_lo
	v_cmp_gt_f32_e32 vcc_lo, 0, v133
	v_cndmask_b32_e64 v144, v133, -v133, vcc_lo
	s_wait_dscnt 0x0
	v_cmp_gt_f32_e32 vcc_lo, 0, v140
	v_cndmask_b32_e64 v143, v140, -v140, vcc_lo
	v_cmp_gt_f32_e32 vcc_lo, 0, v141
	v_cndmask_b32_e64 v145, v141, -v141, vcc_lo
	s_delay_alu instid0(VALU_DEP_1) | instskip(NEXT) | instid1(VALU_DEP_1)
	v_pk_add_f32 v[142:143], v[142:143], v[144:145]
	v_cmp_lt_f32_e32 vcc_lo, v142, v143
	v_dual_add_nc_u32 v131, 8, v131 :: v_dual_cndmask_b32 v133, v133, v141, vcc_lo
	v_cndmask_b32_e32 v132, v132, v140, vcc_lo
	v_cndmask_b32_e64 v130, v130, s0, vcc_lo
	s_add_co_i32 s0, s0, 1
	s_delay_alu instid0(SALU_CYCLE_1)
	s_cmp_lg_u32 s18, s0
	s_cbranch_scc1 .LBB122_316
.LBB122_317:
	s_wait_dscnt 0x0
	v_cmp_eq_f32_e32 vcc_lo, 0, v132
	v_cmp_eq_f32_e64 s0, 0, v133
	s_and_b32 s0, vcc_lo, s0
	s_delay_alu instid0(SALU_CYCLE_1) | instskip(NEXT) | instid1(SALU_CYCLE_1)
	s_and_saveexec_b32 s1, s0
	s_xor_b32 s0, exec_lo, s1
; %bb.318:
	v_cmp_ne_u32_e32 vcc_lo, 0, v136
	v_cndmask_b32_e32 v136, 16, v136, vcc_lo
; %bb.319:
	s_and_not1_saveexec_b32 s0, s0
	s_cbranch_execz .LBB122_325
; %bb.320:
	v_cmp_ngt_f32_e64 s1, |v132|, |v133|
	s_and_saveexec_b32 s12, s1
	s_delay_alu instid0(SALU_CYCLE_1)
	s_xor_b32 s1, exec_lo, s12
	s_cbranch_execz .LBB122_322
; %bb.321:
	v_div_scale_f32 v131, null, v133, v133, v132
	v_div_scale_f32 v141, vcc_lo, v132, v133, v132
	s_delay_alu instid0(VALU_DEP_2) | instskip(SKIP_1) | instid1(TRANS32_DEP_1)
	v_rcp_f32_e32 v139, v131
	v_nop
	v_fma_f32 v140, -v131, v139, 1.0
	s_delay_alu instid0(VALU_DEP_1) | instskip(NEXT) | instid1(VALU_DEP_1)
	v_fmac_f32_e32 v139, v140, v139
	v_mul_f32_e32 v140, v141, v139
	s_delay_alu instid0(VALU_DEP_1) | instskip(NEXT) | instid1(VALU_DEP_1)
	v_fma_f32 v142, -v131, v140, v141
	v_fmac_f32_e32 v140, v142, v139
	s_delay_alu instid0(VALU_DEP_1) | instskip(NEXT) | instid1(VALU_DEP_1)
	v_fma_f32 v131, -v131, v140, v141
	v_div_fmas_f32 v131, v131, v139, v140
	s_delay_alu instid0(VALU_DEP_1) | instskip(NEXT) | instid1(VALU_DEP_1)
	v_div_fixup_f32 v131, v131, v133, v132
	v_fmac_f32_e32 v133, v132, v131
	s_delay_alu instid0(VALU_DEP_1) | instskip(SKIP_1) | instid1(VALU_DEP_2)
	v_div_scale_f32 v132, null, v133, v133, 1.0
	v_div_scale_f32 v141, vcc_lo, 1.0, v133, 1.0
	v_rcp_f32_e32 v139, v132
	v_nop
	s_delay_alu instid0(TRANS32_DEP_1) | instskip(NEXT) | instid1(VALU_DEP_1)
	v_fma_f32 v140, -v132, v139, 1.0
	v_fmac_f32_e32 v139, v140, v139
	s_delay_alu instid0(VALU_DEP_1) | instskip(NEXT) | instid1(VALU_DEP_1)
	v_mul_f32_e32 v140, v141, v139
	v_fma_f32 v142, -v132, v140, v141
	s_delay_alu instid0(VALU_DEP_1) | instskip(NEXT) | instid1(VALU_DEP_1)
	v_fmac_f32_e32 v140, v142, v139
	v_fma_f32 v132, -v132, v140, v141
	s_delay_alu instid0(VALU_DEP_1) | instskip(NEXT) | instid1(VALU_DEP_1)
	v_div_fmas_f32 v132, v132, v139, v140
	v_div_fixup_f32 v133, v132, v133, 1.0
	s_delay_alu instid0(VALU_DEP_1)
	v_mul_f32_e32 v132, v131, v133
	v_xor_b32_e32 v133, 0x80000000, v133
.LBB122_322:
	s_and_not1_saveexec_b32 s1, s1
	s_cbranch_execz .LBB122_324
; %bb.323:
	s_delay_alu instid0(VALU_DEP_1) | instskip(SKIP_1) | instid1(VALU_DEP_2)
	v_div_scale_f32 v131, null, v132, v132, v133
	v_div_scale_f32 v141, vcc_lo, v133, v132, v133
	v_rcp_f32_e32 v139, v131
	v_nop
	s_delay_alu instid0(TRANS32_DEP_1) | instskip(NEXT) | instid1(VALU_DEP_1)
	v_fma_f32 v140, -v131, v139, 1.0
	v_fmac_f32_e32 v139, v140, v139
	s_delay_alu instid0(VALU_DEP_1) | instskip(NEXT) | instid1(VALU_DEP_1)
	v_mul_f32_e32 v140, v141, v139
	v_fma_f32 v142, -v131, v140, v141
	s_delay_alu instid0(VALU_DEP_1) | instskip(NEXT) | instid1(VALU_DEP_1)
	v_fmac_f32_e32 v140, v142, v139
	v_fma_f32 v131, -v131, v140, v141
	s_delay_alu instid0(VALU_DEP_1) | instskip(NEXT) | instid1(VALU_DEP_1)
	v_div_fmas_f32 v131, v131, v139, v140
	v_div_fixup_f32 v131, v131, v132, v133
	s_delay_alu instid0(VALU_DEP_1) | instskip(NEXT) | instid1(VALU_DEP_1)
	v_fmac_f32_e32 v132, v133, v131
	v_div_scale_f32 v133, null, v132, v132, 1.0
	s_delay_alu instid0(VALU_DEP_1) | instskip(SKIP_1) | instid1(TRANS32_DEP_1)
	v_rcp_f32_e32 v139, v133
	v_nop
	v_fma_f32 v140, -v133, v139, 1.0
	s_delay_alu instid0(VALU_DEP_1) | instskip(SKIP_1) | instid1(VALU_DEP_1)
	v_fmac_f32_e32 v139, v140, v139
	v_div_scale_f32 v140, vcc_lo, 1.0, v132, 1.0
	v_mul_f32_e32 v141, v140, v139
	s_delay_alu instid0(VALU_DEP_1) | instskip(NEXT) | instid1(VALU_DEP_1)
	v_fma_f32 v142, -v133, v141, v140
	v_fmac_f32_e32 v141, v142, v139
	s_delay_alu instid0(VALU_DEP_1) | instskip(NEXT) | instid1(VALU_DEP_1)
	v_fma_f32 v133, -v133, v141, v140
	v_div_fmas_f32 v133, v133, v139, v141
	s_delay_alu instid0(VALU_DEP_1) | instskip(NEXT) | instid1(VALU_DEP_1)
	v_div_fixup_f32 v132, v133, v132, 1.0
	v_mul_f32_e64 v133, v131, -v132
.LBB122_324:
	s_or_b32 exec_lo, exec_lo, s1
.LBB122_325:
	s_delay_alu instid0(SALU_CYCLE_1) | instskip(NEXT) | instid1(SALU_CYCLE_1)
	s_or_b32 exec_lo, exec_lo, s0
	s_mov_b32 s0, exec_lo
	v_cmpx_ne_u32_e64 v138, v130
	s_xor_b32 s0, exec_lo, s0
	s_cbranch_execz .LBB122_331
; %bb.326:
	s_mov_b32 s1, exec_lo
	v_cmpx_eq_u32_e32 15, v138
	s_cbranch_execz .LBB122_330
; %bb.327:
	v_cmp_ne_u32_e32 vcc_lo, 15, v130
	s_xor_b32 s12, s16, -1
	s_delay_alu instid0(SALU_CYCLE_1) | instskip(NEXT) | instid1(SALU_CYCLE_1)
	s_and_b32 s13, s12, vcc_lo
	s_and_saveexec_b32 s12, s13
	s_cbranch_execz .LBB122_329
; %bb.328:
	v_ashrrev_i32_e32 v131, 31, v130
	s_delay_alu instid0(VALU_DEP_1)
	v_lshl_add_u64 v[138:139], v[130:131], 2, v[4:5]
	s_clause 0x1
	global_load_b32 v131, v[138:139], off
	global_load_b32 v137, v[4:5], off offset:60
	s_wait_loadcnt 0x1
	global_store_b32 v[4:5], v131, off offset:60
	s_wait_loadcnt 0x0
	global_store_b32 v[138:139], v137, off
.LBB122_329:
	s_wait_xcnt 0x0
	s_or_b32 exec_lo, exec_lo, s12
	v_dual_mov_b32 v138, v130 :: v_dual_mov_b32 v137, v130
.LBB122_330:
	s_or_b32 exec_lo, exec_lo, s1
.LBB122_331:
	s_and_not1_saveexec_b32 s0, s0
	s_cbranch_execz .LBB122_333
; %bb.332:
	v_dual_mov_b32 v130, v112 :: v_dual_mov_b32 v131, v113
	v_dual_mov_b32 v138, v72 :: v_dual_mov_b32 v139, v73
	v_dual_mov_b32 v140, v74 :: v_dual_mov_b32 v141, v75
	v_dual_mov_b32 v142, v70 :: v_dual_mov_b32 v143, v71
	v_dual_mov_b32 v144, v110 :: v_dual_mov_b32 v145, v111
	v_dual_mov_b32 v146, v66 :: v_dual_mov_b32 v147, v67
	v_dual_mov_b32 v148, v68 :: v_dual_mov_b32 v149, v69
	v_dual_mov_b32 v150, v64 :: v_dual_mov_b32 v151, v65
	v_dual_mov_b32 v152, v108 :: v_dual_mov_b32 v153, v109
	v_dual_mov_b32 v154, v60 :: v_dual_mov_b32 v155, v61
	v_dual_mov_b32 v156, v62 :: v_dual_mov_b32 v157, v63
	v_dual_mov_b32 v158, v58 :: v_dual_mov_b32 v159, v59
	ds_store_2addr_b64 v134, v[130:131], v[138:139] offset0:16 offset1:17
	ds_store_2addr_b64 v134, v[140:141], v[142:143] offset0:18 offset1:19
	ds_store_2addr_b64 v134, v[144:145], v[146:147] offset0:20 offset1:21
	ds_store_2addr_b64 v134, v[148:149], v[150:151] offset0:22 offset1:23
	ds_store_2addr_b64 v134, v[152:153], v[154:155] offset0:24 offset1:25
	ds_store_2addr_b64 v134, v[156:157], v[158:159] offset0:26 offset1:27
	v_dual_mov_b32 v130, v106 :: v_dual_mov_b32 v131, v107
	v_dual_mov_b32 v138, v54 :: v_dual_mov_b32 v139, v55
	v_dual_mov_b32 v140, v56 :: v_dual_mov_b32 v141, v57
	v_dual_mov_b32 v142, v52 :: v_dual_mov_b32 v143, v53
	v_dual_mov_b32 v144, v104 :: v_dual_mov_b32 v145, v105
	v_dual_mov_b32 v146, v48 :: v_dual_mov_b32 v147, v49
	v_dual_mov_b32 v148, v50 :: v_dual_mov_b32 v149, v51
	v_dual_mov_b32 v150, v46 :: v_dual_mov_b32 v151, v47
	v_dual_mov_b32 v152, v102 :: v_dual_mov_b32 v153, v103
	v_dual_mov_b32 v154, v40 :: v_dual_mov_b32 v155, v41
	v_dual_mov_b32 v156, v42 :: v_dual_mov_b32 v157, v43
	v_dual_mov_b32 v158, v38 :: v_dual_mov_b32 v159, v39
	ds_store_2addr_b64 v134, v[130:131], v[138:139] offset0:28 offset1:29
	ds_store_2addr_b64 v134, v[140:141], v[142:143] offset0:30 offset1:31
	ds_store_2addr_b64 v134, v[144:145], v[146:147] offset0:32 offset1:33
	ds_store_2addr_b64 v134, v[148:149], v[150:151] offset0:34 offset1:35
	ds_store_2addr_b64 v134, v[152:153], v[154:155] offset0:36 offset1:37
	ds_store_2addr_b64 v134, v[156:157], v[158:159] offset0:38 offset1:39
	;; [unrolled: 18-line block ×3, first 2 shown]
	v_dual_mov_b32 v130, v86 :: v_dual_mov_b32 v131, v87
	v_dual_mov_b32 v140, v10 :: v_dual_mov_b32 v141, v11
	;; [unrolled: 1-line block ×9, first 2 shown]
	v_mov_b32_e32 v155, v15
	ds_store_2addr_b64 v134, v[130:131], v[140:141] offset0:52 offset1:53
	ds_store_2addr_b64 v134, v[142:143], v[144:145] offset0:54 offset1:55
	;; [unrolled: 1-line block ×5, first 2 shown]
.LBB122_333:
	s_or_b32 exec_lo, exec_lo, s0
	s_delay_alu instid0(SALU_CYCLE_1)
	s_mov_b32 s0, exec_lo
	s_wait_storecnt_dscnt 0x0
	s_barrier_signal -1
	s_barrier_wait -1
	v_cmpx_lt_i32_e32 15, v138
	s_cbranch_execz .LBB122_335
; %bb.334:
	v_pk_mul_f32 v[140:141], v[132:133], v[76:77] op_sel:[1,1] op_sel_hi:[0,1]
	s_delay_alu instid0(VALU_DEP_1)
	v_pk_fma_f32 v[130:131], v[132:133], v[76:77], v[140:141] op_sel_hi:[1,0,1] neg_lo:[0,0,1] neg_hi:[0,0,1]
	v_pk_fma_f32 v[132:133], v[132:133], v[76:77], v[140:141] op_sel_hi:[1,0,1]
	ds_load_2addr_b64 v[140:143], v134 offset0:16 offset1:17
	v_dual_mov_b32 v76, v130 :: v_dual_mov_b32 v77, v133
	s_wait_dscnt 0x0
	v_pk_mul_f32 v[144:145], v[140:141], v[132:133] op_sel:[0,1]
	s_delay_alu instid0(VALU_DEP_1) | instskip(SKIP_1) | instid1(VALU_DEP_1)
	v_pk_fma_f32 v[146:147], v[140:141], v[130:131], v[144:145] op_sel:[0,0,1] op_sel_hi:[1,1,0] neg_lo:[0,0,1] neg_hi:[0,0,1]
	v_pk_fma_f32 v[140:141], v[140:141], v[130:131], v[144:145] op_sel:[0,0,1] op_sel_hi:[1,0,0]
	v_mov_b32_e32 v147, v141
	v_pk_mul_f32 v[140:141], v[142:143], v[132:133] op_sel:[0,1]
	s_delay_alu instid0(VALU_DEP_1) | instskip(SKIP_1) | instid1(VALU_DEP_1)
	v_pk_fma_f32 v[144:145], v[142:143], v[130:131], v[140:141] op_sel:[0,0,1] op_sel_hi:[1,1,0] neg_lo:[0,0,1] neg_hi:[0,0,1]
	v_pk_fma_f32 v[140:141], v[142:143], v[130:131], v[140:141] op_sel:[0,0,1] op_sel_hi:[1,0,0]
	v_mov_b32_e32 v145, v141
	ds_load_2addr_b64 v[140:143], v134 offset0:18 offset1:19
	v_pk_add_f32 v[112:113], v[112:113], v[146:147] neg_lo:[0,1] neg_hi:[0,1]
	v_pk_add_f32 v[72:73], v[72:73], v[144:145] neg_lo:[0,1] neg_hi:[0,1]
	s_wait_dscnt 0x0
	v_pk_mul_f32 v[144:145], v[140:141], v[132:133] op_sel:[0,1]
	s_delay_alu instid0(VALU_DEP_1) | instskip(SKIP_2) | instid1(VALU_DEP_2)
	v_pk_fma_f32 v[146:147], v[140:141], v[130:131], v[144:145] op_sel:[0,0,1] op_sel_hi:[1,1,0] neg_lo:[0,0,1] neg_hi:[0,0,1]
	v_pk_fma_f32 v[140:141], v[140:141], v[130:131], v[144:145] op_sel:[0,0,1] op_sel_hi:[1,0,0]
	v_dual_mul_f32 v144, v143, v133 :: v_dual_mov_b32 v140, v143
	v_dual_mov_b32 v147, v141 :: v_dual_mov_b32 v141, v142
	s_delay_alu instid0(VALU_DEP_2) | instskip(SKIP_1) | instid1(VALU_DEP_3)
	v_pk_fma_f32 v[144:145], v[142:143], v[76:77], v[144:145] op_sel_hi:[1,1,0] neg_lo:[0,0,1] neg_hi:[0,0,1]
	v_mul_f32_e32 v142, v143, v130
	v_pk_add_f32 v[74:75], v[74:75], v[146:147] neg_lo:[0,1] neg_hi:[0,1]
	s_delay_alu instid0(VALU_DEP_2) | instskip(NEXT) | instid1(VALU_DEP_1)
	v_pk_fma_f32 v[140:141], v[140:141], v[76:77], v[142:143] op_sel_hi:[1,1,0]
	v_mov_b32_e32 v145, v141
	ds_load_2addr_b64 v[140:143], v134 offset0:20 offset1:21
	v_pk_add_f32 v[70:71], v[70:71], v[144:145] neg_lo:[0,1] neg_hi:[0,1]
	s_wait_dscnt 0x0
	v_pk_mul_f32 v[144:145], v[140:141], v[132:133] op_sel:[0,1]
	s_delay_alu instid0(VALU_DEP_1) | instskip(SKIP_1) | instid1(VALU_DEP_1)
	v_pk_fma_f32 v[146:147], v[140:141], v[130:131], v[144:145] op_sel:[0,0,1] op_sel_hi:[1,1,0] neg_lo:[0,0,1] neg_hi:[0,0,1]
	v_pk_fma_f32 v[140:141], v[140:141], v[130:131], v[144:145] op_sel:[0,0,1] op_sel_hi:[1,0,0]
	v_mov_b32_e32 v147, v141
	v_pk_mul_f32 v[140:141], v[142:143], v[132:133] op_sel:[0,1]
	s_delay_alu instid0(VALU_DEP_1) | instskip(SKIP_1) | instid1(VALU_DEP_1)
	v_pk_fma_f32 v[144:145], v[142:143], v[130:131], v[140:141] op_sel:[0,0,1] op_sel_hi:[1,1,0] neg_lo:[0,0,1] neg_hi:[0,0,1]
	v_pk_fma_f32 v[140:141], v[142:143], v[130:131], v[140:141] op_sel:[0,0,1] op_sel_hi:[1,0,0]
	v_mov_b32_e32 v145, v141
	ds_load_2addr_b64 v[140:143], v134 offset0:22 offset1:23
	v_pk_add_f32 v[110:111], v[110:111], v[146:147] neg_lo:[0,1] neg_hi:[0,1]
	v_pk_add_f32 v[66:67], v[66:67], v[144:145] neg_lo:[0,1] neg_hi:[0,1]
	s_wait_dscnt 0x0
	v_pk_mul_f32 v[144:145], v[140:141], v[132:133] op_sel:[0,1]
	s_delay_alu instid0(VALU_DEP_1) | instskip(SKIP_1) | instid1(VALU_DEP_1)
	v_pk_fma_f32 v[146:147], v[140:141], v[130:131], v[144:145] op_sel:[0,0,1] op_sel_hi:[1,1,0] neg_lo:[0,0,1] neg_hi:[0,0,1]
	v_pk_fma_f32 v[140:141], v[140:141], v[130:131], v[144:145] op_sel:[0,0,1] op_sel_hi:[1,0,0]
	v_mov_b32_e32 v147, v141
	v_pk_mul_f32 v[140:141], v[142:143], v[132:133] op_sel:[0,1]
	s_delay_alu instid0(VALU_DEP_1) | instskip(SKIP_1) | instid1(VALU_DEP_1)
	v_pk_fma_f32 v[144:145], v[142:143], v[130:131], v[140:141] op_sel:[0,0,1] op_sel_hi:[1,1,0] neg_lo:[0,0,1] neg_hi:[0,0,1]
	v_pk_fma_f32 v[140:141], v[142:143], v[130:131], v[140:141] op_sel:[0,0,1] op_sel_hi:[1,0,0]
	v_mov_b32_e32 v145, v141
	ds_load_2addr_b64 v[140:143], v134 offset0:24 offset1:25
	v_pk_add_f32 v[68:69], v[68:69], v[146:147] neg_lo:[0,1] neg_hi:[0,1]
	v_pk_add_f32 v[64:65], v[64:65], v[144:145] neg_lo:[0,1] neg_hi:[0,1]
	s_wait_dscnt 0x0
	v_dual_mul_f32 v144, v141, v133 :: v_dual_mul_f32 v146, v141, v130
	s_delay_alu instid0(VALU_DEP_1) | instskip(NEXT) | instid1(VALU_DEP_2)
	v_pk_fma_f32 v[144:145], v[140:141], v[76:77], v[144:145] op_sel_hi:[1,1,0] neg_lo:[0,0,1] neg_hi:[0,0,1]
	v_pk_fma_f32 v[140:141], v[140:141], v[76:77], v[146:147] op_sel:[1,0,0] op_sel_hi:[0,1,0]
	s_delay_alu instid0(VALU_DEP_1) | instskip(SKIP_1) | instid1(VALU_DEP_2)
	v_mov_b32_e32 v145, v141
	v_pk_mul_f32 v[140:141], v[142:143], v[132:133] op_sel:[0,1]
	v_pk_add_f32 v[108:109], v[108:109], v[144:145] neg_lo:[0,1] neg_hi:[0,1]
	s_delay_alu instid0(VALU_DEP_2) | instskip(SKIP_1) | instid1(VALU_DEP_1)
	v_pk_fma_f32 v[144:145], v[142:143], v[130:131], v[140:141] op_sel:[0,0,1] op_sel_hi:[1,1,0] neg_lo:[0,0,1] neg_hi:[0,0,1]
	v_pk_fma_f32 v[140:141], v[142:143], v[130:131], v[140:141] op_sel:[0,0,1] op_sel_hi:[1,0,0]
	v_mov_b32_e32 v145, v141
	ds_load_2addr_b64 v[140:143], v134 offset0:26 offset1:27
	v_pk_add_f32 v[60:61], v[60:61], v[144:145] neg_lo:[0,1] neg_hi:[0,1]
	s_wait_dscnt 0x0
	v_pk_mul_f32 v[144:145], v[140:141], v[132:133] op_sel:[0,1]
	s_delay_alu instid0(VALU_DEP_1) | instskip(SKIP_1) | instid1(VALU_DEP_1)
	v_pk_fma_f32 v[146:147], v[140:141], v[130:131], v[144:145] op_sel:[0,0,1] op_sel_hi:[1,1,0] neg_lo:[0,0,1] neg_hi:[0,0,1]
	v_pk_fma_f32 v[140:141], v[140:141], v[130:131], v[144:145] op_sel:[0,0,1] op_sel_hi:[1,0,0]
	v_mov_b32_e32 v147, v141
	v_pk_mul_f32 v[140:141], v[142:143], v[132:133] op_sel:[0,1]
	s_delay_alu instid0(VALU_DEP_2) | instskip(NEXT) | instid1(VALU_DEP_2)
	v_pk_add_f32 v[62:63], v[62:63], v[146:147] neg_lo:[0,1] neg_hi:[0,1]
	v_pk_fma_f32 v[144:145], v[142:143], v[130:131], v[140:141] op_sel:[0,0,1] op_sel_hi:[1,1,0] neg_lo:[0,0,1] neg_hi:[0,0,1]
	v_pk_fma_f32 v[140:141], v[142:143], v[130:131], v[140:141] op_sel:[0,0,1] op_sel_hi:[1,0,0]
	s_delay_alu instid0(VALU_DEP_1) | instskip(SKIP_4) | instid1(VALU_DEP_1)
	v_mov_b32_e32 v145, v141
	ds_load_2addr_b64 v[140:143], v134 offset0:28 offset1:29
	v_pk_add_f32 v[58:59], v[58:59], v[144:145] neg_lo:[0,1] neg_hi:[0,1]
	s_wait_dscnt 0x0
	v_pk_mul_f32 v[144:145], v[140:141], v[132:133] op_sel:[0,1]
	v_pk_fma_f32 v[146:147], v[140:141], v[130:131], v[144:145] op_sel:[0,0,1] op_sel_hi:[1,1,0] neg_lo:[0,0,1] neg_hi:[0,0,1]
	v_pk_fma_f32 v[140:141], v[140:141], v[130:131], v[144:145] op_sel:[0,0,1] op_sel_hi:[1,0,0]
	v_dual_mul_f32 v144, v143, v133 :: v_dual_mov_b32 v140, v143
	s_delay_alu instid0(VALU_DEP_2) | instskip(NEXT) | instid1(VALU_DEP_2)
	v_dual_mov_b32 v147, v141 :: v_dual_mov_b32 v141, v142
	v_pk_fma_f32 v[144:145], v[142:143], v[76:77], v[144:145] op_sel_hi:[1,1,0] neg_lo:[0,0,1] neg_hi:[0,0,1]
	v_mul_f32_e32 v142, v143, v130
	s_delay_alu instid0(VALU_DEP_3) | instskip(NEXT) | instid1(VALU_DEP_2)
	v_pk_add_f32 v[106:107], v[106:107], v[146:147] neg_lo:[0,1] neg_hi:[0,1]
	v_pk_fma_f32 v[140:141], v[140:141], v[76:77], v[142:143] op_sel_hi:[1,1,0]
	s_delay_alu instid0(VALU_DEP_1) | instskip(SKIP_4) | instid1(VALU_DEP_1)
	v_mov_b32_e32 v145, v141
	ds_load_2addr_b64 v[140:143], v134 offset0:30 offset1:31
	v_pk_add_f32 v[54:55], v[54:55], v[144:145] neg_lo:[0,1] neg_hi:[0,1]
	s_wait_dscnt 0x0
	v_pk_mul_f32 v[144:145], v[140:141], v[132:133] op_sel:[0,1]
	v_pk_fma_f32 v[146:147], v[140:141], v[130:131], v[144:145] op_sel:[0,0,1] op_sel_hi:[1,1,0] neg_lo:[0,0,1] neg_hi:[0,0,1]
	v_pk_fma_f32 v[140:141], v[140:141], v[130:131], v[144:145] op_sel:[0,0,1] op_sel_hi:[1,0,0]
	s_delay_alu instid0(VALU_DEP_1) | instskip(SKIP_1) | instid1(VALU_DEP_1)
	v_mov_b32_e32 v147, v141
	v_pk_mul_f32 v[140:141], v[142:143], v[132:133] op_sel:[0,1]
	v_pk_fma_f32 v[144:145], v[142:143], v[130:131], v[140:141] op_sel:[0,0,1] op_sel_hi:[1,1,0] neg_lo:[0,0,1] neg_hi:[0,0,1]
	v_pk_fma_f32 v[140:141], v[142:143], v[130:131], v[140:141] op_sel:[0,0,1] op_sel_hi:[1,0,0]
	s_delay_alu instid0(VALU_DEP_1)
	v_mov_b32_e32 v145, v141
	ds_load_2addr_b64 v[140:143], v134 offset0:32 offset1:33
	v_pk_add_f32 v[56:57], v[56:57], v[146:147] neg_lo:[0,1] neg_hi:[0,1]
	v_pk_add_f32 v[52:53], v[52:53], v[144:145] neg_lo:[0,1] neg_hi:[0,1]
	s_wait_dscnt 0x0
	v_pk_mul_f32 v[144:145], v[140:141], v[132:133] op_sel:[0,1]
	s_delay_alu instid0(VALU_DEP_1) | instskip(SKIP_1) | instid1(VALU_DEP_1)
	v_pk_fma_f32 v[146:147], v[140:141], v[130:131], v[144:145] op_sel:[0,0,1] op_sel_hi:[1,1,0] neg_lo:[0,0,1] neg_hi:[0,0,1]
	v_pk_fma_f32 v[140:141], v[140:141], v[130:131], v[144:145] op_sel:[0,0,1] op_sel_hi:[1,0,0]
	v_mov_b32_e32 v147, v141
	v_pk_mul_f32 v[140:141], v[142:143], v[132:133] op_sel:[0,1]
	s_delay_alu instid0(VALU_DEP_1) | instskip(SKIP_1) | instid1(VALU_DEP_1)
	v_pk_fma_f32 v[144:145], v[142:143], v[130:131], v[140:141] op_sel:[0,0,1] op_sel_hi:[1,1,0] neg_lo:[0,0,1] neg_hi:[0,0,1]
	v_pk_fma_f32 v[140:141], v[142:143], v[130:131], v[140:141] op_sel:[0,0,1] op_sel_hi:[1,0,0]
	v_mov_b32_e32 v145, v141
	ds_load_2addr_b64 v[140:143], v134 offset0:34 offset1:35
	v_pk_add_f32 v[104:105], v[104:105], v[146:147] neg_lo:[0,1] neg_hi:[0,1]
	v_pk_add_f32 v[48:49], v[48:49], v[144:145] neg_lo:[0,1] neg_hi:[0,1]
	s_wait_dscnt 0x0
	v_dual_mul_f32 v144, v141, v133 :: v_dual_mul_f32 v146, v141, v130
	s_delay_alu instid0(VALU_DEP_1) | instskip(NEXT) | instid1(VALU_DEP_2)
	v_pk_fma_f32 v[144:145], v[140:141], v[76:77], v[144:145] op_sel_hi:[1,1,0] neg_lo:[0,0,1] neg_hi:[0,0,1]
	v_pk_fma_f32 v[140:141], v[140:141], v[76:77], v[146:147] op_sel:[1,0,0] op_sel_hi:[0,1,0]
	s_delay_alu instid0(VALU_DEP_1) | instskip(SKIP_1) | instid1(VALU_DEP_2)
	v_mov_b32_e32 v145, v141
	v_pk_mul_f32 v[140:141], v[142:143], v[132:133] op_sel:[0,1]
	v_pk_add_f32 v[50:51], v[50:51], v[144:145] neg_lo:[0,1] neg_hi:[0,1]
	s_delay_alu instid0(VALU_DEP_2) | instskip(SKIP_1) | instid1(VALU_DEP_1)
	v_pk_fma_f32 v[144:145], v[142:143], v[130:131], v[140:141] op_sel:[0,0,1] op_sel_hi:[1,1,0] neg_lo:[0,0,1] neg_hi:[0,0,1]
	v_pk_fma_f32 v[140:141], v[142:143], v[130:131], v[140:141] op_sel:[0,0,1] op_sel_hi:[1,0,0]
	v_mov_b32_e32 v145, v141
	ds_load_2addr_b64 v[140:143], v134 offset0:36 offset1:37
	v_pk_add_f32 v[46:47], v[46:47], v[144:145] neg_lo:[0,1] neg_hi:[0,1]
	s_wait_dscnt 0x0
	v_pk_mul_f32 v[144:145], v[140:141], v[132:133] op_sel:[0,1]
	s_delay_alu instid0(VALU_DEP_1) | instskip(SKIP_1) | instid1(VALU_DEP_1)
	v_pk_fma_f32 v[146:147], v[140:141], v[130:131], v[144:145] op_sel:[0,0,1] op_sel_hi:[1,1,0] neg_lo:[0,0,1] neg_hi:[0,0,1]
	v_pk_fma_f32 v[140:141], v[140:141], v[130:131], v[144:145] op_sel:[0,0,1] op_sel_hi:[1,0,0]
	v_mov_b32_e32 v147, v141
	v_pk_mul_f32 v[140:141], v[142:143], v[132:133] op_sel:[0,1]
	s_delay_alu instid0(VALU_DEP_2) | instskip(NEXT) | instid1(VALU_DEP_2)
	v_pk_add_f32 v[102:103], v[102:103], v[146:147] neg_lo:[0,1] neg_hi:[0,1]
	v_pk_fma_f32 v[144:145], v[142:143], v[130:131], v[140:141] op_sel:[0,0,1] op_sel_hi:[1,1,0] neg_lo:[0,0,1] neg_hi:[0,0,1]
	v_pk_fma_f32 v[140:141], v[142:143], v[130:131], v[140:141] op_sel:[0,0,1] op_sel_hi:[1,0,0]
	s_delay_alu instid0(VALU_DEP_1) | instskip(SKIP_4) | instid1(VALU_DEP_1)
	v_mov_b32_e32 v145, v141
	ds_load_2addr_b64 v[140:143], v134 offset0:38 offset1:39
	v_pk_add_f32 v[40:41], v[40:41], v[144:145] neg_lo:[0,1] neg_hi:[0,1]
	s_wait_dscnt 0x0
	v_pk_mul_f32 v[144:145], v[140:141], v[132:133] op_sel:[0,1]
	v_pk_fma_f32 v[146:147], v[140:141], v[130:131], v[144:145] op_sel:[0,0,1] op_sel_hi:[1,1,0] neg_lo:[0,0,1] neg_hi:[0,0,1]
	v_pk_fma_f32 v[140:141], v[140:141], v[130:131], v[144:145] op_sel:[0,0,1] op_sel_hi:[1,0,0]
	v_dual_mul_f32 v144, v143, v133 :: v_dual_mov_b32 v140, v143
	s_delay_alu instid0(VALU_DEP_2) | instskip(NEXT) | instid1(VALU_DEP_2)
	v_dual_mov_b32 v147, v141 :: v_dual_mov_b32 v141, v142
	v_pk_fma_f32 v[144:145], v[142:143], v[76:77], v[144:145] op_sel_hi:[1,1,0] neg_lo:[0,0,1] neg_hi:[0,0,1]
	v_mul_f32_e32 v142, v143, v130
	s_delay_alu instid0(VALU_DEP_3) | instskip(NEXT) | instid1(VALU_DEP_2)
	v_pk_add_f32 v[42:43], v[42:43], v[146:147] neg_lo:[0,1] neg_hi:[0,1]
	v_pk_fma_f32 v[140:141], v[140:141], v[76:77], v[142:143] op_sel_hi:[1,1,0]
	s_delay_alu instid0(VALU_DEP_1) | instskip(SKIP_4) | instid1(VALU_DEP_1)
	v_mov_b32_e32 v145, v141
	ds_load_2addr_b64 v[140:143], v134 offset0:40 offset1:41
	v_pk_add_f32 v[38:39], v[38:39], v[144:145] neg_lo:[0,1] neg_hi:[0,1]
	s_wait_dscnt 0x0
	v_pk_mul_f32 v[144:145], v[140:141], v[132:133] op_sel:[0,1]
	v_pk_fma_f32 v[146:147], v[140:141], v[130:131], v[144:145] op_sel:[0,0,1] op_sel_hi:[1,1,0] neg_lo:[0,0,1] neg_hi:[0,0,1]
	v_pk_fma_f32 v[140:141], v[140:141], v[130:131], v[144:145] op_sel:[0,0,1] op_sel_hi:[1,0,0]
	s_delay_alu instid0(VALU_DEP_1) | instskip(SKIP_1) | instid1(VALU_DEP_1)
	v_mov_b32_e32 v147, v141
	v_pk_mul_f32 v[140:141], v[142:143], v[132:133] op_sel:[0,1]
	v_pk_fma_f32 v[144:145], v[142:143], v[130:131], v[140:141] op_sel:[0,0,1] op_sel_hi:[1,1,0] neg_lo:[0,0,1] neg_hi:[0,0,1]
	v_pk_fma_f32 v[140:141], v[142:143], v[130:131], v[140:141] op_sel:[0,0,1] op_sel_hi:[1,0,0]
	s_delay_alu instid0(VALU_DEP_1)
	v_mov_b32_e32 v145, v141
	ds_load_2addr_b64 v[140:143], v134 offset0:42 offset1:43
	v_pk_add_f32 v[100:101], v[100:101], v[146:147] neg_lo:[0,1] neg_hi:[0,1]
	v_pk_add_f32 v[32:33], v[32:33], v[144:145] neg_lo:[0,1] neg_hi:[0,1]
	s_wait_dscnt 0x0
	v_pk_mul_f32 v[144:145], v[140:141], v[132:133] op_sel:[0,1]
	s_delay_alu instid0(VALU_DEP_1) | instskip(SKIP_1) | instid1(VALU_DEP_1)
	v_pk_fma_f32 v[146:147], v[140:141], v[130:131], v[144:145] op_sel:[0,0,1] op_sel_hi:[1,1,0] neg_lo:[0,0,1] neg_hi:[0,0,1]
	v_pk_fma_f32 v[140:141], v[140:141], v[130:131], v[144:145] op_sel:[0,0,1] op_sel_hi:[1,0,0]
	v_mov_b32_e32 v147, v141
	v_pk_mul_f32 v[140:141], v[142:143], v[132:133] op_sel:[0,1]
	s_delay_alu instid0(VALU_DEP_1) | instskip(SKIP_1) | instid1(VALU_DEP_1)
	v_pk_fma_f32 v[144:145], v[142:143], v[130:131], v[140:141] op_sel:[0,0,1] op_sel_hi:[1,1,0] neg_lo:[0,0,1] neg_hi:[0,0,1]
	v_pk_fma_f32 v[140:141], v[142:143], v[130:131], v[140:141] op_sel:[0,0,1] op_sel_hi:[1,0,0]
	v_mov_b32_e32 v145, v141
	ds_load_2addr_b64 v[140:143], v134 offset0:44 offset1:45
	v_pk_add_f32 v[34:35], v[34:35], v[146:147] neg_lo:[0,1] neg_hi:[0,1]
	v_pk_add_f32 v[30:31], v[30:31], v[144:145] neg_lo:[0,1] neg_hi:[0,1]
	s_wait_dscnt 0x0
	v_dual_mul_f32 v144, v141, v133 :: v_dual_mul_f32 v146, v141, v130
	s_delay_alu instid0(VALU_DEP_1) | instskip(NEXT) | instid1(VALU_DEP_2)
	v_pk_fma_f32 v[144:145], v[140:141], v[76:77], v[144:145] op_sel_hi:[1,1,0] neg_lo:[0,0,1] neg_hi:[0,0,1]
	v_pk_fma_f32 v[140:141], v[140:141], v[76:77], v[146:147] op_sel:[1,0,0] op_sel_hi:[0,1,0]
	s_delay_alu instid0(VALU_DEP_1) | instskip(SKIP_1) | instid1(VALU_DEP_2)
	v_mov_b32_e32 v145, v141
	v_pk_mul_f32 v[140:141], v[142:143], v[132:133] op_sel:[0,1]
	v_pk_add_f32 v[98:99], v[98:99], v[144:145] neg_lo:[0,1] neg_hi:[0,1]
	s_delay_alu instid0(VALU_DEP_2) | instskip(SKIP_1) | instid1(VALU_DEP_1)
	v_pk_fma_f32 v[144:145], v[142:143], v[130:131], v[140:141] op_sel:[0,0,1] op_sel_hi:[1,1,0] neg_lo:[0,0,1] neg_hi:[0,0,1]
	v_pk_fma_f32 v[140:141], v[142:143], v[130:131], v[140:141] op_sel:[0,0,1] op_sel_hi:[1,0,0]
	v_mov_b32_e32 v145, v141
	ds_load_2addr_b64 v[140:143], v134 offset0:46 offset1:47
	v_pk_add_f32 v[24:25], v[24:25], v[144:145] neg_lo:[0,1] neg_hi:[0,1]
	s_wait_dscnt 0x0
	v_pk_mul_f32 v[144:145], v[140:141], v[132:133] op_sel:[0,1]
	s_delay_alu instid0(VALU_DEP_1) | instskip(SKIP_1) | instid1(VALU_DEP_1)
	v_pk_fma_f32 v[146:147], v[140:141], v[130:131], v[144:145] op_sel:[0,0,1] op_sel_hi:[1,1,0] neg_lo:[0,0,1] neg_hi:[0,0,1]
	v_pk_fma_f32 v[140:141], v[140:141], v[130:131], v[144:145] op_sel:[0,0,1] op_sel_hi:[1,0,0]
	v_mov_b32_e32 v147, v141
	v_pk_mul_f32 v[140:141], v[142:143], v[132:133] op_sel:[0,1]
	s_delay_alu instid0(VALU_DEP_2) | instskip(NEXT) | instid1(VALU_DEP_2)
	v_pk_add_f32 v[28:29], v[28:29], v[146:147] neg_lo:[0,1] neg_hi:[0,1]
	v_pk_fma_f32 v[144:145], v[142:143], v[130:131], v[140:141] op_sel:[0,0,1] op_sel_hi:[1,1,0] neg_lo:[0,0,1] neg_hi:[0,0,1]
	v_pk_fma_f32 v[140:141], v[142:143], v[130:131], v[140:141] op_sel:[0,0,1] op_sel_hi:[1,0,0]
	s_delay_alu instid0(VALU_DEP_1) | instskip(SKIP_4) | instid1(VALU_DEP_1)
	v_mov_b32_e32 v145, v141
	ds_load_2addr_b64 v[140:143], v134 offset0:48 offset1:49
	v_pk_add_f32 v[22:23], v[22:23], v[144:145] neg_lo:[0,1] neg_hi:[0,1]
	s_wait_dscnt 0x0
	v_pk_mul_f32 v[144:145], v[140:141], v[132:133] op_sel:[0,1]
	v_pk_fma_f32 v[146:147], v[140:141], v[130:131], v[144:145] op_sel:[0,0,1] op_sel_hi:[1,1,0] neg_lo:[0,0,1] neg_hi:[0,0,1]
	v_pk_fma_f32 v[140:141], v[140:141], v[130:131], v[144:145] op_sel:[0,0,1] op_sel_hi:[1,0,0]
	v_dual_mul_f32 v144, v143, v133 :: v_dual_mov_b32 v140, v143
	s_delay_alu instid0(VALU_DEP_2) | instskip(NEXT) | instid1(VALU_DEP_2)
	v_dual_mov_b32 v147, v141 :: v_dual_mov_b32 v141, v142
	v_pk_fma_f32 v[144:145], v[142:143], v[76:77], v[144:145] op_sel_hi:[1,1,0] neg_lo:[0,0,1] neg_hi:[0,0,1]
	v_mul_f32_e32 v142, v143, v130
	s_delay_alu instid0(VALU_DEP_3) | instskip(NEXT) | instid1(VALU_DEP_2)
	v_pk_add_f32 v[96:97], v[96:97], v[146:147] neg_lo:[0,1] neg_hi:[0,1]
	v_pk_fma_f32 v[140:141], v[140:141], v[76:77], v[142:143] op_sel_hi:[1,1,0]
	s_delay_alu instid0(VALU_DEP_1) | instskip(SKIP_4) | instid1(VALU_DEP_1)
	v_mov_b32_e32 v145, v141
	ds_load_2addr_b64 v[140:143], v134 offset0:50 offset1:51
	v_pk_add_f32 v[18:19], v[18:19], v[144:145] neg_lo:[0,1] neg_hi:[0,1]
	s_wait_dscnt 0x0
	v_pk_mul_f32 v[144:145], v[140:141], v[132:133] op_sel:[0,1]
	v_pk_fma_f32 v[146:147], v[140:141], v[130:131], v[144:145] op_sel:[0,0,1] op_sel_hi:[1,1,0] neg_lo:[0,0,1] neg_hi:[0,0,1]
	v_pk_fma_f32 v[140:141], v[140:141], v[130:131], v[144:145] op_sel:[0,0,1] op_sel_hi:[1,0,0]
	s_delay_alu instid0(VALU_DEP_1) | instskip(SKIP_1) | instid1(VALU_DEP_1)
	v_mov_b32_e32 v147, v141
	v_pk_mul_f32 v[140:141], v[142:143], v[132:133] op_sel:[0,1]
	v_pk_fma_f32 v[144:145], v[142:143], v[130:131], v[140:141] op_sel:[0,0,1] op_sel_hi:[1,1,0] neg_lo:[0,0,1] neg_hi:[0,0,1]
	v_pk_fma_f32 v[140:141], v[142:143], v[130:131], v[140:141] op_sel:[0,0,1] op_sel_hi:[1,0,0]
	s_delay_alu instid0(VALU_DEP_1)
	v_mov_b32_e32 v145, v141
	ds_load_2addr_b64 v[140:143], v134 offset0:52 offset1:53
	v_pk_add_f32 v[20:21], v[20:21], v[146:147] neg_lo:[0,1] neg_hi:[0,1]
	v_pk_add_f32 v[36:37], v[36:37], v[144:145] neg_lo:[0,1] neg_hi:[0,1]
	s_wait_dscnt 0x0
	v_pk_mul_f32 v[144:145], v[140:141], v[132:133] op_sel:[0,1]
	s_delay_alu instid0(VALU_DEP_1) | instskip(SKIP_1) | instid1(VALU_DEP_1)
	v_pk_fma_f32 v[146:147], v[140:141], v[130:131], v[144:145] op_sel:[0,0,1] op_sel_hi:[1,1,0] neg_lo:[0,0,1] neg_hi:[0,0,1]
	v_pk_fma_f32 v[140:141], v[140:141], v[130:131], v[144:145] op_sel:[0,0,1] op_sel_hi:[1,0,0]
	v_mov_b32_e32 v147, v141
	v_pk_mul_f32 v[140:141], v[142:143], v[132:133] op_sel:[0,1]
	s_delay_alu instid0(VALU_DEP_1) | instskip(SKIP_1) | instid1(VALU_DEP_1)
	v_pk_fma_f32 v[144:145], v[142:143], v[130:131], v[140:141] op_sel:[0,0,1] op_sel_hi:[1,1,0] neg_lo:[0,0,1] neg_hi:[0,0,1]
	v_pk_fma_f32 v[140:141], v[142:143], v[130:131], v[140:141] op_sel:[0,0,1] op_sel_hi:[1,0,0]
	v_mov_b32_e32 v145, v141
	ds_load_2addr_b64 v[140:143], v134 offset0:54 offset1:55
	v_pk_add_f32 v[86:87], v[86:87], v[146:147] neg_lo:[0,1] neg_hi:[0,1]
	v_pk_add_f32 v[10:11], v[10:11], v[144:145] neg_lo:[0,1] neg_hi:[0,1]
	s_wait_dscnt 0x0
	v_dual_mul_f32 v144, v141, v133 :: v_dual_mul_f32 v146, v141, v130
	s_delay_alu instid0(VALU_DEP_1) | instskip(NEXT) | instid1(VALU_DEP_2)
	v_pk_fma_f32 v[144:145], v[140:141], v[76:77], v[144:145] op_sel_hi:[1,1,0] neg_lo:[0,0,1] neg_hi:[0,0,1]
	v_pk_fma_f32 v[140:141], v[140:141], v[76:77], v[146:147] op_sel:[1,0,0] op_sel_hi:[0,1,0]
	s_delay_alu instid0(VALU_DEP_1) | instskip(SKIP_1) | instid1(VALU_DEP_2)
	v_mov_b32_e32 v145, v141
	v_pk_mul_f32 v[140:141], v[142:143], v[132:133] op_sel:[0,1]
	v_pk_add_f32 v[12:13], v[12:13], v[144:145] neg_lo:[0,1] neg_hi:[0,1]
	s_delay_alu instid0(VALU_DEP_2) | instskip(SKIP_1) | instid1(VALU_DEP_1)
	v_pk_fma_f32 v[144:145], v[142:143], v[130:131], v[140:141] op_sel:[0,0,1] op_sel_hi:[1,1,0] neg_lo:[0,0,1] neg_hi:[0,0,1]
	v_pk_fma_f32 v[140:141], v[142:143], v[130:131], v[140:141] op_sel:[0,0,1] op_sel_hi:[1,0,0]
	v_mov_b32_e32 v145, v141
	ds_load_2addr_b64 v[140:143], v134 offset0:56 offset1:57
	v_pk_add_f32 v[8:9], v[8:9], v[144:145] neg_lo:[0,1] neg_hi:[0,1]
	s_wait_dscnt 0x0
	v_pk_mul_f32 v[144:145], v[140:141], v[132:133] op_sel:[0,1]
	s_delay_alu instid0(VALU_DEP_1) | instskip(SKIP_1) | instid1(VALU_DEP_1)
	v_pk_fma_f32 v[146:147], v[140:141], v[130:131], v[144:145] op_sel:[0,0,1] op_sel_hi:[1,1,0] neg_lo:[0,0,1] neg_hi:[0,0,1]
	v_pk_fma_f32 v[140:141], v[140:141], v[130:131], v[144:145] op_sel:[0,0,1] op_sel_hi:[1,0,0]
	v_mov_b32_e32 v147, v141
	v_pk_mul_f32 v[140:141], v[142:143], v[132:133] op_sel:[0,1]
	s_delay_alu instid0(VALU_DEP_2) | instskip(NEXT) | instid1(VALU_DEP_2)
	v_pk_add_f32 v[44:45], v[44:45], v[146:147] neg_lo:[0,1] neg_hi:[0,1]
	v_pk_fma_f32 v[144:145], v[142:143], v[130:131], v[140:141] op_sel:[0,0,1] op_sel_hi:[1,1,0] neg_lo:[0,0,1] neg_hi:[0,0,1]
	v_pk_fma_f32 v[140:141], v[142:143], v[130:131], v[140:141] op_sel:[0,0,1] op_sel_hi:[1,0,0]
	s_delay_alu instid0(VALU_DEP_1) | instskip(SKIP_4) | instid1(VALU_DEP_1)
	v_mov_b32_e32 v145, v141
	ds_load_2addr_b64 v[140:143], v134 offset0:58 offset1:59
	v_pk_add_f32 v[6:7], v[6:7], v[144:145] neg_lo:[0,1] neg_hi:[0,1]
	s_wait_dscnt 0x0
	v_pk_mul_f32 v[144:145], v[140:141], v[132:133] op_sel:[0,1]
	v_pk_fma_f32 v[146:147], v[140:141], v[130:131], v[144:145] op_sel:[0,0,1] op_sel_hi:[1,1,0] neg_lo:[0,0,1] neg_hi:[0,0,1]
	v_pk_fma_f32 v[140:141], v[140:141], v[130:131], v[144:145] op_sel:[0,0,1] op_sel_hi:[1,0,0]
	v_dual_mul_f32 v144, v143, v133 :: v_dual_mov_b32 v140, v143
	s_delay_alu instid0(VALU_DEP_2) | instskip(NEXT) | instid1(VALU_DEP_2)
	v_dual_mov_b32 v147, v141 :: v_dual_mov_b32 v141, v142
	v_pk_fma_f32 v[144:145], v[142:143], v[76:77], v[144:145] op_sel_hi:[1,1,0] neg_lo:[0,0,1] neg_hi:[0,0,1]
	v_mul_f32_e32 v142, v143, v130
	s_delay_alu instid0(VALU_DEP_3) | instskip(NEXT) | instid1(VALU_DEP_2)
	v_pk_add_f32 v[26:27], v[26:27], v[146:147] neg_lo:[0,1] neg_hi:[0,1]
	v_pk_fma_f32 v[140:141], v[140:141], v[76:77], v[142:143] op_sel_hi:[1,1,0]
	s_delay_alu instid0(VALU_DEP_1)
	v_mov_b32_e32 v145, v141
	ds_load_2addr_b64 v[140:143], v134 offset0:60 offset1:61
	v_pk_add_f32 v[16:17], v[16:17], v[144:145] neg_lo:[0,1] neg_hi:[0,1]
	s_wait_dscnt 0x0
	v_pk_mul_f32 v[144:145], v[140:141], v[132:133] op_sel:[0,1]
	v_pk_mul_f32 v[132:133], v[142:143], v[132:133] op_sel:[0,1]
	s_delay_alu instid0(VALU_DEP_2) | instskip(SKIP_1) | instid1(VALU_DEP_1)
	v_pk_fma_f32 v[146:147], v[140:141], v[130:131], v[144:145] op_sel:[0,0,1] op_sel_hi:[1,1,0] neg_lo:[0,0,1] neg_hi:[0,0,1]
	v_pk_fma_f32 v[140:141], v[140:141], v[130:131], v[144:145] op_sel:[0,0,1] op_sel_hi:[1,0,0]
	v_mov_b32_e32 v147, v141
	s_delay_alu instid0(VALU_DEP_4) | instskip(SKIP_1) | instid1(VALU_DEP_1)
	v_pk_fma_f32 v[140:141], v[142:143], v[130:131], v[132:133] op_sel:[0,0,1] op_sel_hi:[1,1,0] neg_lo:[0,0,1] neg_hi:[0,0,1]
	v_pk_fma_f32 v[130:131], v[142:143], v[130:131], v[132:133] op_sel:[0,0,1] op_sel_hi:[1,0,0]
	v_mov_b32_e32 v141, v131
	s_delay_alu instid0(VALU_DEP_4) | instskip(NEXT) | instid1(VALU_DEP_2)
	v_pk_add_f32 v[14:15], v[14:15], v[146:147] neg_lo:[0,1] neg_hi:[0,1]
	v_pk_add_f32 v[128:129], v[128:129], v[140:141] neg_lo:[0,1] neg_hi:[0,1]
.LBB122_335:
	s_or_b32 exec_lo, exec_lo, s0
	v_lshl_add_u32 v130, v138, 3, v134
	s_barrier_signal -1
	s_barrier_wait -1
	ds_store_b64 v130, v[112:113]
	s_wait_dscnt 0x0
	s_barrier_signal -1
	s_barrier_wait -1
	ds_load_b64 v[132:133], v134 offset:128
	v_mov_b32_e32 v130, 16
	s_cmp_lt_i32 s18, 18
	s_cbranch_scc1 .LBB122_338
; %bb.336:
	v_add3_u32 v131, v135, 0, 0x88
	v_mov_b32_e32 v130, 16
	s_mov_b32 s0, 17
.LBB122_337:                            ; =>This Inner Loop Header: Depth=1
	ds_load_b64 v[140:141], v131
	s_wait_dscnt 0x1
	v_cmp_gt_f32_e32 vcc_lo, 0, v132
	v_cndmask_b32_e64 v142, v132, -v132, vcc_lo
	v_cmp_gt_f32_e32 vcc_lo, 0, v133
	v_cndmask_b32_e64 v144, v133, -v133, vcc_lo
	s_wait_dscnt 0x0
	v_cmp_gt_f32_e32 vcc_lo, 0, v140
	v_cndmask_b32_e64 v143, v140, -v140, vcc_lo
	v_cmp_gt_f32_e32 vcc_lo, 0, v141
	v_cndmask_b32_e64 v145, v141, -v141, vcc_lo
	s_delay_alu instid0(VALU_DEP_1) | instskip(NEXT) | instid1(VALU_DEP_1)
	v_pk_add_f32 v[142:143], v[142:143], v[144:145]
	v_cmp_lt_f32_e32 vcc_lo, v142, v143
	v_dual_add_nc_u32 v131, 8, v131 :: v_dual_cndmask_b32 v133, v133, v141, vcc_lo
	v_cndmask_b32_e32 v132, v132, v140, vcc_lo
	v_cndmask_b32_e64 v130, v130, s0, vcc_lo
	s_add_co_i32 s0, s0, 1
	s_delay_alu instid0(SALU_CYCLE_1)
	s_cmp_lg_u32 s18, s0
	s_cbranch_scc1 .LBB122_337
.LBB122_338:
	s_wait_dscnt 0x0
	v_cmp_eq_f32_e32 vcc_lo, 0, v132
	v_cmp_eq_f32_e64 s0, 0, v133
	s_and_b32 s0, vcc_lo, s0
	s_delay_alu instid0(SALU_CYCLE_1) | instskip(NEXT) | instid1(SALU_CYCLE_1)
	s_and_saveexec_b32 s1, s0
	s_xor_b32 s0, exec_lo, s1
; %bb.339:
	v_cmp_ne_u32_e32 vcc_lo, 0, v136
	v_cndmask_b32_e32 v136, 17, v136, vcc_lo
; %bb.340:
	s_and_not1_saveexec_b32 s0, s0
	s_cbranch_execz .LBB122_346
; %bb.341:
	v_cmp_ngt_f32_e64 s1, |v132|, |v133|
	s_and_saveexec_b32 s12, s1
	s_delay_alu instid0(SALU_CYCLE_1)
	s_xor_b32 s1, exec_lo, s12
	s_cbranch_execz .LBB122_343
; %bb.342:
	v_div_scale_f32 v131, null, v133, v133, v132
	v_div_scale_f32 v141, vcc_lo, v132, v133, v132
	s_delay_alu instid0(VALU_DEP_2) | instskip(SKIP_1) | instid1(TRANS32_DEP_1)
	v_rcp_f32_e32 v139, v131
	v_nop
	v_fma_f32 v140, -v131, v139, 1.0
	s_delay_alu instid0(VALU_DEP_1) | instskip(NEXT) | instid1(VALU_DEP_1)
	v_fmac_f32_e32 v139, v140, v139
	v_mul_f32_e32 v140, v141, v139
	s_delay_alu instid0(VALU_DEP_1) | instskip(NEXT) | instid1(VALU_DEP_1)
	v_fma_f32 v142, -v131, v140, v141
	v_fmac_f32_e32 v140, v142, v139
	s_delay_alu instid0(VALU_DEP_1) | instskip(NEXT) | instid1(VALU_DEP_1)
	v_fma_f32 v131, -v131, v140, v141
	v_div_fmas_f32 v131, v131, v139, v140
	s_delay_alu instid0(VALU_DEP_1) | instskip(NEXT) | instid1(VALU_DEP_1)
	v_div_fixup_f32 v131, v131, v133, v132
	v_fmac_f32_e32 v133, v132, v131
	s_delay_alu instid0(VALU_DEP_1) | instskip(SKIP_1) | instid1(VALU_DEP_2)
	v_div_scale_f32 v132, null, v133, v133, 1.0
	v_div_scale_f32 v141, vcc_lo, 1.0, v133, 1.0
	v_rcp_f32_e32 v139, v132
	v_nop
	s_delay_alu instid0(TRANS32_DEP_1) | instskip(NEXT) | instid1(VALU_DEP_1)
	v_fma_f32 v140, -v132, v139, 1.0
	v_fmac_f32_e32 v139, v140, v139
	s_delay_alu instid0(VALU_DEP_1) | instskip(NEXT) | instid1(VALU_DEP_1)
	v_mul_f32_e32 v140, v141, v139
	v_fma_f32 v142, -v132, v140, v141
	s_delay_alu instid0(VALU_DEP_1) | instskip(NEXT) | instid1(VALU_DEP_1)
	v_fmac_f32_e32 v140, v142, v139
	v_fma_f32 v132, -v132, v140, v141
	s_delay_alu instid0(VALU_DEP_1) | instskip(NEXT) | instid1(VALU_DEP_1)
	v_div_fmas_f32 v132, v132, v139, v140
	v_div_fixup_f32 v133, v132, v133, 1.0
	s_delay_alu instid0(VALU_DEP_1)
	v_mul_f32_e32 v132, v131, v133
	v_xor_b32_e32 v133, 0x80000000, v133
.LBB122_343:
	s_and_not1_saveexec_b32 s1, s1
	s_cbranch_execz .LBB122_345
; %bb.344:
	s_delay_alu instid0(VALU_DEP_1) | instskip(SKIP_1) | instid1(VALU_DEP_2)
	v_div_scale_f32 v131, null, v132, v132, v133
	v_div_scale_f32 v141, vcc_lo, v133, v132, v133
	v_rcp_f32_e32 v139, v131
	v_nop
	s_delay_alu instid0(TRANS32_DEP_1) | instskip(NEXT) | instid1(VALU_DEP_1)
	v_fma_f32 v140, -v131, v139, 1.0
	v_fmac_f32_e32 v139, v140, v139
	s_delay_alu instid0(VALU_DEP_1) | instskip(NEXT) | instid1(VALU_DEP_1)
	v_mul_f32_e32 v140, v141, v139
	v_fma_f32 v142, -v131, v140, v141
	s_delay_alu instid0(VALU_DEP_1) | instskip(NEXT) | instid1(VALU_DEP_1)
	v_fmac_f32_e32 v140, v142, v139
	v_fma_f32 v131, -v131, v140, v141
	s_delay_alu instid0(VALU_DEP_1) | instskip(NEXT) | instid1(VALU_DEP_1)
	v_div_fmas_f32 v131, v131, v139, v140
	v_div_fixup_f32 v131, v131, v132, v133
	s_delay_alu instid0(VALU_DEP_1) | instskip(NEXT) | instid1(VALU_DEP_1)
	v_fmac_f32_e32 v132, v133, v131
	v_div_scale_f32 v133, null, v132, v132, 1.0
	s_delay_alu instid0(VALU_DEP_1) | instskip(SKIP_1) | instid1(TRANS32_DEP_1)
	v_rcp_f32_e32 v139, v133
	v_nop
	v_fma_f32 v140, -v133, v139, 1.0
	s_delay_alu instid0(VALU_DEP_1) | instskip(SKIP_1) | instid1(VALU_DEP_1)
	v_fmac_f32_e32 v139, v140, v139
	v_div_scale_f32 v140, vcc_lo, 1.0, v132, 1.0
	v_mul_f32_e32 v141, v140, v139
	s_delay_alu instid0(VALU_DEP_1) | instskip(NEXT) | instid1(VALU_DEP_1)
	v_fma_f32 v142, -v133, v141, v140
	v_fmac_f32_e32 v141, v142, v139
	s_delay_alu instid0(VALU_DEP_1) | instskip(NEXT) | instid1(VALU_DEP_1)
	v_fma_f32 v133, -v133, v141, v140
	v_div_fmas_f32 v133, v133, v139, v141
	s_delay_alu instid0(VALU_DEP_1) | instskip(NEXT) | instid1(VALU_DEP_1)
	v_div_fixup_f32 v132, v133, v132, 1.0
	v_mul_f32_e64 v133, v131, -v132
.LBB122_345:
	s_or_b32 exec_lo, exec_lo, s1
.LBB122_346:
	s_delay_alu instid0(SALU_CYCLE_1) | instskip(NEXT) | instid1(SALU_CYCLE_1)
	s_or_b32 exec_lo, exec_lo, s0
	s_mov_b32 s0, exec_lo
	v_cmpx_ne_u32_e64 v138, v130
	s_xor_b32 s0, exec_lo, s0
	s_cbranch_execz .LBB122_352
; %bb.347:
	s_mov_b32 s1, exec_lo
	v_cmpx_eq_u32_e32 16, v138
	s_cbranch_execz .LBB122_351
; %bb.348:
	v_cmp_ne_u32_e32 vcc_lo, 16, v130
	s_xor_b32 s12, s16, -1
	s_delay_alu instid0(SALU_CYCLE_1) | instskip(NEXT) | instid1(SALU_CYCLE_1)
	s_and_b32 s13, s12, vcc_lo
	s_and_saveexec_b32 s12, s13
	s_cbranch_execz .LBB122_350
; %bb.349:
	v_ashrrev_i32_e32 v131, 31, v130
	s_delay_alu instid0(VALU_DEP_1)
	v_lshl_add_u64 v[138:139], v[130:131], 2, v[4:5]
	s_clause 0x1
	global_load_b32 v131, v[138:139], off
	global_load_b32 v137, v[4:5], off offset:64
	s_wait_loadcnt 0x1
	global_store_b32 v[4:5], v131, off offset:64
	s_wait_loadcnt 0x0
	global_store_b32 v[138:139], v137, off
.LBB122_350:
	s_wait_xcnt 0x0
	s_or_b32 exec_lo, exec_lo, s12
	v_dual_mov_b32 v138, v130 :: v_dual_mov_b32 v137, v130
.LBB122_351:
	s_or_b32 exec_lo, exec_lo, s1
.LBB122_352:
	s_and_not1_saveexec_b32 s0, s0
	s_cbranch_execz .LBB122_354
; %bb.353:
	v_mov_b32_e32 v138, 16
	ds_store_2addr_b64 v134, v[72:73], v[74:75] offset0:17 offset1:18
	ds_store_2addr_b64 v134, v[70:71], v[110:111] offset0:19 offset1:20
	ds_store_2addr_b64 v134, v[66:67], v[68:69] offset0:21 offset1:22
	ds_store_2addr_b64 v134, v[64:65], v[108:109] offset0:23 offset1:24
	ds_store_2addr_b64 v134, v[60:61], v[62:63] offset0:25 offset1:26
	ds_store_2addr_b64 v134, v[58:59], v[106:107] offset0:27 offset1:28
	ds_store_2addr_b64 v134, v[54:55], v[56:57] offset0:29 offset1:30
	ds_store_2addr_b64 v134, v[52:53], v[104:105] offset0:31 offset1:32
	ds_store_2addr_b64 v134, v[48:49], v[50:51] offset0:33 offset1:34
	ds_store_2addr_b64 v134, v[46:47], v[102:103] offset0:35 offset1:36
	ds_store_2addr_b64 v134, v[40:41], v[42:43] offset0:37 offset1:38
	ds_store_2addr_b64 v134, v[38:39], v[100:101] offset0:39 offset1:40
	ds_store_2addr_b64 v134, v[32:33], v[34:35] offset0:41 offset1:42
	ds_store_2addr_b64 v134, v[30:31], v[98:99] offset0:43 offset1:44
	ds_store_2addr_b64 v134, v[24:25], v[28:29] offset0:45 offset1:46
	ds_store_2addr_b64 v134, v[22:23], v[96:97] offset0:47 offset1:48
	ds_store_2addr_b64 v134, v[18:19], v[20:21] offset0:49 offset1:50
	ds_store_2addr_b64 v134, v[36:37], v[86:87] offset0:51 offset1:52
	ds_store_2addr_b64 v134, v[10:11], v[12:13] offset0:53 offset1:54
	ds_store_2addr_b64 v134, v[8:9], v[44:45] offset0:55 offset1:56
	ds_store_2addr_b64 v134, v[6:7], v[26:27] offset0:57 offset1:58
	ds_store_2addr_b64 v134, v[16:17], v[14:15] offset0:59 offset1:60
	ds_store_b64 v134, v[128:129] offset:488
.LBB122_354:
	s_or_b32 exec_lo, exec_lo, s0
	s_delay_alu instid0(SALU_CYCLE_1)
	s_mov_b32 s0, exec_lo
	s_wait_storecnt_dscnt 0x0
	s_barrier_signal -1
	s_barrier_wait -1
	v_cmpx_lt_i32_e32 16, v138
	s_cbranch_execz .LBB122_356
; %bb.355:
	v_pk_mul_f32 v[140:141], v[132:133], v[112:113] op_sel:[1,1] op_sel_hi:[0,1]
	s_delay_alu instid0(VALU_DEP_1)
	v_pk_fma_f32 v[130:131], v[132:133], v[112:113], v[140:141] op_sel_hi:[1,0,1] neg_lo:[0,0,1] neg_hi:[0,0,1]
	v_pk_fma_f32 v[132:133], v[132:133], v[112:113], v[140:141] op_sel_hi:[1,0,1]
	ds_load_2addr_b64 v[140:143], v134 offset0:17 offset1:18
	v_dual_mov_b32 v112, v130 :: v_dual_mov_b32 v113, v133
	s_wait_dscnt 0x0
	v_pk_mul_f32 v[144:145], v[140:141], v[132:133] op_sel:[0,1]
	s_delay_alu instid0(VALU_DEP_1) | instskip(SKIP_1) | instid1(VALU_DEP_1)
	v_pk_fma_f32 v[146:147], v[140:141], v[130:131], v[144:145] op_sel:[0,0,1] op_sel_hi:[1,1,0] neg_lo:[0,0,1] neg_hi:[0,0,1]
	v_pk_fma_f32 v[140:141], v[140:141], v[130:131], v[144:145] op_sel:[0,0,1] op_sel_hi:[1,0,0]
	v_mov_b32_e32 v147, v141
	v_pk_mul_f32 v[140:141], v[142:143], v[132:133] op_sel:[0,1]
	s_delay_alu instid0(VALU_DEP_1) | instskip(SKIP_1) | instid1(VALU_DEP_1)
	v_pk_fma_f32 v[144:145], v[142:143], v[130:131], v[140:141] op_sel:[0,0,1] op_sel_hi:[1,1,0] neg_lo:[0,0,1] neg_hi:[0,0,1]
	v_pk_fma_f32 v[140:141], v[142:143], v[130:131], v[140:141] op_sel:[0,0,1] op_sel_hi:[1,0,0]
	v_mov_b32_e32 v145, v141
	ds_load_2addr_b64 v[140:143], v134 offset0:19 offset1:20
	v_pk_add_f32 v[72:73], v[72:73], v[146:147] neg_lo:[0,1] neg_hi:[0,1]
	v_pk_add_f32 v[74:75], v[74:75], v[144:145] neg_lo:[0,1] neg_hi:[0,1]
	s_wait_dscnt 0x0
	v_pk_mul_f32 v[144:145], v[140:141], v[132:133] op_sel:[0,1]
	s_delay_alu instid0(VALU_DEP_1) | instskip(SKIP_2) | instid1(VALU_DEP_2)
	v_pk_fma_f32 v[146:147], v[140:141], v[130:131], v[144:145] op_sel:[0,0,1] op_sel_hi:[1,1,0] neg_lo:[0,0,1] neg_hi:[0,0,1]
	v_pk_fma_f32 v[140:141], v[140:141], v[130:131], v[144:145] op_sel:[0,0,1] op_sel_hi:[1,0,0]
	v_dual_mul_f32 v144, v143, v133 :: v_dual_mov_b32 v140, v143
	v_dual_mov_b32 v147, v141 :: v_dual_mov_b32 v141, v142
	s_delay_alu instid0(VALU_DEP_2) | instskip(SKIP_1) | instid1(VALU_DEP_3)
	v_pk_fma_f32 v[144:145], v[142:143], v[112:113], v[144:145] op_sel_hi:[1,1,0] neg_lo:[0,0,1] neg_hi:[0,0,1]
	v_mul_f32_e32 v142, v143, v130
	v_pk_add_f32 v[70:71], v[70:71], v[146:147] neg_lo:[0,1] neg_hi:[0,1]
	s_delay_alu instid0(VALU_DEP_2) | instskip(NEXT) | instid1(VALU_DEP_1)
	v_pk_fma_f32 v[140:141], v[140:141], v[112:113], v[142:143] op_sel_hi:[1,1,0]
	v_mov_b32_e32 v145, v141
	ds_load_2addr_b64 v[140:143], v134 offset0:21 offset1:22
	v_pk_add_f32 v[110:111], v[110:111], v[144:145] neg_lo:[0,1] neg_hi:[0,1]
	s_wait_dscnt 0x0
	v_pk_mul_f32 v[144:145], v[140:141], v[132:133] op_sel:[0,1]
	s_delay_alu instid0(VALU_DEP_1) | instskip(SKIP_1) | instid1(VALU_DEP_1)
	v_pk_fma_f32 v[146:147], v[140:141], v[130:131], v[144:145] op_sel:[0,0,1] op_sel_hi:[1,1,0] neg_lo:[0,0,1] neg_hi:[0,0,1]
	v_pk_fma_f32 v[140:141], v[140:141], v[130:131], v[144:145] op_sel:[0,0,1] op_sel_hi:[1,0,0]
	v_mov_b32_e32 v147, v141
	v_pk_mul_f32 v[140:141], v[142:143], v[132:133] op_sel:[0,1]
	s_delay_alu instid0(VALU_DEP_1) | instskip(SKIP_1) | instid1(VALU_DEP_1)
	v_pk_fma_f32 v[144:145], v[142:143], v[130:131], v[140:141] op_sel:[0,0,1] op_sel_hi:[1,1,0] neg_lo:[0,0,1] neg_hi:[0,0,1]
	v_pk_fma_f32 v[140:141], v[142:143], v[130:131], v[140:141] op_sel:[0,0,1] op_sel_hi:[1,0,0]
	v_mov_b32_e32 v145, v141
	ds_load_2addr_b64 v[140:143], v134 offset0:23 offset1:24
	v_pk_add_f32 v[66:67], v[66:67], v[146:147] neg_lo:[0,1] neg_hi:[0,1]
	v_pk_add_f32 v[68:69], v[68:69], v[144:145] neg_lo:[0,1] neg_hi:[0,1]
	s_wait_dscnt 0x0
	v_pk_mul_f32 v[144:145], v[140:141], v[132:133] op_sel:[0,1]
	s_delay_alu instid0(VALU_DEP_1) | instskip(SKIP_1) | instid1(VALU_DEP_1)
	v_pk_fma_f32 v[146:147], v[140:141], v[130:131], v[144:145] op_sel:[0,0,1] op_sel_hi:[1,1,0] neg_lo:[0,0,1] neg_hi:[0,0,1]
	v_pk_fma_f32 v[140:141], v[140:141], v[130:131], v[144:145] op_sel:[0,0,1] op_sel_hi:[1,0,0]
	v_mov_b32_e32 v147, v141
	v_pk_mul_f32 v[140:141], v[142:143], v[132:133] op_sel:[0,1]
	s_delay_alu instid0(VALU_DEP_1) | instskip(SKIP_1) | instid1(VALU_DEP_1)
	v_pk_fma_f32 v[144:145], v[142:143], v[130:131], v[140:141] op_sel:[0,0,1] op_sel_hi:[1,1,0] neg_lo:[0,0,1] neg_hi:[0,0,1]
	v_pk_fma_f32 v[140:141], v[142:143], v[130:131], v[140:141] op_sel:[0,0,1] op_sel_hi:[1,0,0]
	v_mov_b32_e32 v145, v141
	ds_load_2addr_b64 v[140:143], v134 offset0:25 offset1:26
	v_pk_add_f32 v[64:65], v[64:65], v[146:147] neg_lo:[0,1] neg_hi:[0,1]
	v_pk_add_f32 v[108:109], v[108:109], v[144:145] neg_lo:[0,1] neg_hi:[0,1]
	s_wait_dscnt 0x0
	v_dual_mul_f32 v144, v141, v133 :: v_dual_mul_f32 v146, v141, v130
	s_delay_alu instid0(VALU_DEP_1) | instskip(NEXT) | instid1(VALU_DEP_2)
	v_pk_fma_f32 v[144:145], v[140:141], v[112:113], v[144:145] op_sel_hi:[1,1,0] neg_lo:[0,0,1] neg_hi:[0,0,1]
	v_pk_fma_f32 v[140:141], v[140:141], v[112:113], v[146:147] op_sel:[1,0,0] op_sel_hi:[0,1,0]
	s_delay_alu instid0(VALU_DEP_1) | instskip(SKIP_1) | instid1(VALU_DEP_2)
	v_mov_b32_e32 v145, v141
	v_pk_mul_f32 v[140:141], v[142:143], v[132:133] op_sel:[0,1]
	v_pk_add_f32 v[60:61], v[60:61], v[144:145] neg_lo:[0,1] neg_hi:[0,1]
	s_delay_alu instid0(VALU_DEP_2) | instskip(SKIP_1) | instid1(VALU_DEP_1)
	v_pk_fma_f32 v[144:145], v[142:143], v[130:131], v[140:141] op_sel:[0,0,1] op_sel_hi:[1,1,0] neg_lo:[0,0,1] neg_hi:[0,0,1]
	v_pk_fma_f32 v[140:141], v[142:143], v[130:131], v[140:141] op_sel:[0,0,1] op_sel_hi:[1,0,0]
	v_mov_b32_e32 v145, v141
	ds_load_2addr_b64 v[140:143], v134 offset0:27 offset1:28
	v_pk_add_f32 v[62:63], v[62:63], v[144:145] neg_lo:[0,1] neg_hi:[0,1]
	s_wait_dscnt 0x0
	v_pk_mul_f32 v[144:145], v[140:141], v[132:133] op_sel:[0,1]
	s_delay_alu instid0(VALU_DEP_1) | instskip(SKIP_1) | instid1(VALU_DEP_1)
	v_pk_fma_f32 v[146:147], v[140:141], v[130:131], v[144:145] op_sel:[0,0,1] op_sel_hi:[1,1,0] neg_lo:[0,0,1] neg_hi:[0,0,1]
	v_pk_fma_f32 v[140:141], v[140:141], v[130:131], v[144:145] op_sel:[0,0,1] op_sel_hi:[1,0,0]
	v_mov_b32_e32 v147, v141
	v_pk_mul_f32 v[140:141], v[142:143], v[132:133] op_sel:[0,1]
	s_delay_alu instid0(VALU_DEP_2) | instskip(NEXT) | instid1(VALU_DEP_2)
	v_pk_add_f32 v[58:59], v[58:59], v[146:147] neg_lo:[0,1] neg_hi:[0,1]
	v_pk_fma_f32 v[144:145], v[142:143], v[130:131], v[140:141] op_sel:[0,0,1] op_sel_hi:[1,1,0] neg_lo:[0,0,1] neg_hi:[0,0,1]
	v_pk_fma_f32 v[140:141], v[142:143], v[130:131], v[140:141] op_sel:[0,0,1] op_sel_hi:[1,0,0]
	s_delay_alu instid0(VALU_DEP_1) | instskip(SKIP_4) | instid1(VALU_DEP_1)
	v_mov_b32_e32 v145, v141
	ds_load_2addr_b64 v[140:143], v134 offset0:29 offset1:30
	v_pk_add_f32 v[106:107], v[106:107], v[144:145] neg_lo:[0,1] neg_hi:[0,1]
	s_wait_dscnt 0x0
	v_pk_mul_f32 v[144:145], v[140:141], v[132:133] op_sel:[0,1]
	v_pk_fma_f32 v[146:147], v[140:141], v[130:131], v[144:145] op_sel:[0,0,1] op_sel_hi:[1,1,0] neg_lo:[0,0,1] neg_hi:[0,0,1]
	v_pk_fma_f32 v[140:141], v[140:141], v[130:131], v[144:145] op_sel:[0,0,1] op_sel_hi:[1,0,0]
	v_dual_mul_f32 v144, v143, v133 :: v_dual_mov_b32 v140, v143
	s_delay_alu instid0(VALU_DEP_2) | instskip(NEXT) | instid1(VALU_DEP_2)
	v_dual_mov_b32 v147, v141 :: v_dual_mov_b32 v141, v142
	v_pk_fma_f32 v[144:145], v[142:143], v[112:113], v[144:145] op_sel_hi:[1,1,0] neg_lo:[0,0,1] neg_hi:[0,0,1]
	v_mul_f32_e32 v142, v143, v130
	s_delay_alu instid0(VALU_DEP_3) | instskip(NEXT) | instid1(VALU_DEP_2)
	v_pk_add_f32 v[54:55], v[54:55], v[146:147] neg_lo:[0,1] neg_hi:[0,1]
	v_pk_fma_f32 v[140:141], v[140:141], v[112:113], v[142:143] op_sel_hi:[1,1,0]
	s_delay_alu instid0(VALU_DEP_1) | instskip(SKIP_4) | instid1(VALU_DEP_1)
	v_mov_b32_e32 v145, v141
	ds_load_2addr_b64 v[140:143], v134 offset0:31 offset1:32
	v_pk_add_f32 v[56:57], v[56:57], v[144:145] neg_lo:[0,1] neg_hi:[0,1]
	s_wait_dscnt 0x0
	v_pk_mul_f32 v[144:145], v[140:141], v[132:133] op_sel:[0,1]
	v_pk_fma_f32 v[146:147], v[140:141], v[130:131], v[144:145] op_sel:[0,0,1] op_sel_hi:[1,1,0] neg_lo:[0,0,1] neg_hi:[0,0,1]
	v_pk_fma_f32 v[140:141], v[140:141], v[130:131], v[144:145] op_sel:[0,0,1] op_sel_hi:[1,0,0]
	s_delay_alu instid0(VALU_DEP_1) | instskip(SKIP_1) | instid1(VALU_DEP_1)
	v_mov_b32_e32 v147, v141
	v_pk_mul_f32 v[140:141], v[142:143], v[132:133] op_sel:[0,1]
	v_pk_fma_f32 v[144:145], v[142:143], v[130:131], v[140:141] op_sel:[0,0,1] op_sel_hi:[1,1,0] neg_lo:[0,0,1] neg_hi:[0,0,1]
	v_pk_fma_f32 v[140:141], v[142:143], v[130:131], v[140:141] op_sel:[0,0,1] op_sel_hi:[1,0,0]
	s_delay_alu instid0(VALU_DEP_1)
	v_mov_b32_e32 v145, v141
	ds_load_2addr_b64 v[140:143], v134 offset0:33 offset1:34
	v_pk_add_f32 v[52:53], v[52:53], v[146:147] neg_lo:[0,1] neg_hi:[0,1]
	v_pk_add_f32 v[104:105], v[104:105], v[144:145] neg_lo:[0,1] neg_hi:[0,1]
	s_wait_dscnt 0x0
	v_pk_mul_f32 v[144:145], v[140:141], v[132:133] op_sel:[0,1]
	s_delay_alu instid0(VALU_DEP_1) | instskip(SKIP_1) | instid1(VALU_DEP_1)
	v_pk_fma_f32 v[146:147], v[140:141], v[130:131], v[144:145] op_sel:[0,0,1] op_sel_hi:[1,1,0] neg_lo:[0,0,1] neg_hi:[0,0,1]
	v_pk_fma_f32 v[140:141], v[140:141], v[130:131], v[144:145] op_sel:[0,0,1] op_sel_hi:[1,0,0]
	v_mov_b32_e32 v147, v141
	v_pk_mul_f32 v[140:141], v[142:143], v[132:133] op_sel:[0,1]
	s_delay_alu instid0(VALU_DEP_1) | instskip(SKIP_1) | instid1(VALU_DEP_1)
	v_pk_fma_f32 v[144:145], v[142:143], v[130:131], v[140:141] op_sel:[0,0,1] op_sel_hi:[1,1,0] neg_lo:[0,0,1] neg_hi:[0,0,1]
	v_pk_fma_f32 v[140:141], v[142:143], v[130:131], v[140:141] op_sel:[0,0,1] op_sel_hi:[1,0,0]
	v_mov_b32_e32 v145, v141
	ds_load_2addr_b64 v[140:143], v134 offset0:35 offset1:36
	v_pk_add_f32 v[48:49], v[48:49], v[146:147] neg_lo:[0,1] neg_hi:[0,1]
	v_pk_add_f32 v[50:51], v[50:51], v[144:145] neg_lo:[0,1] neg_hi:[0,1]
	s_wait_dscnt 0x0
	v_dual_mul_f32 v144, v141, v133 :: v_dual_mul_f32 v146, v141, v130
	s_delay_alu instid0(VALU_DEP_1) | instskip(NEXT) | instid1(VALU_DEP_2)
	v_pk_fma_f32 v[144:145], v[140:141], v[112:113], v[144:145] op_sel_hi:[1,1,0] neg_lo:[0,0,1] neg_hi:[0,0,1]
	v_pk_fma_f32 v[140:141], v[140:141], v[112:113], v[146:147] op_sel:[1,0,0] op_sel_hi:[0,1,0]
	s_delay_alu instid0(VALU_DEP_1) | instskip(SKIP_1) | instid1(VALU_DEP_2)
	v_mov_b32_e32 v145, v141
	v_pk_mul_f32 v[140:141], v[142:143], v[132:133] op_sel:[0,1]
	v_pk_add_f32 v[46:47], v[46:47], v[144:145] neg_lo:[0,1] neg_hi:[0,1]
	s_delay_alu instid0(VALU_DEP_2) | instskip(SKIP_1) | instid1(VALU_DEP_1)
	v_pk_fma_f32 v[144:145], v[142:143], v[130:131], v[140:141] op_sel:[0,0,1] op_sel_hi:[1,1,0] neg_lo:[0,0,1] neg_hi:[0,0,1]
	v_pk_fma_f32 v[140:141], v[142:143], v[130:131], v[140:141] op_sel:[0,0,1] op_sel_hi:[1,0,0]
	v_mov_b32_e32 v145, v141
	ds_load_2addr_b64 v[140:143], v134 offset0:37 offset1:38
	v_pk_add_f32 v[102:103], v[102:103], v[144:145] neg_lo:[0,1] neg_hi:[0,1]
	s_wait_dscnt 0x0
	v_pk_mul_f32 v[144:145], v[140:141], v[132:133] op_sel:[0,1]
	s_delay_alu instid0(VALU_DEP_1) | instskip(SKIP_1) | instid1(VALU_DEP_1)
	v_pk_fma_f32 v[146:147], v[140:141], v[130:131], v[144:145] op_sel:[0,0,1] op_sel_hi:[1,1,0] neg_lo:[0,0,1] neg_hi:[0,0,1]
	v_pk_fma_f32 v[140:141], v[140:141], v[130:131], v[144:145] op_sel:[0,0,1] op_sel_hi:[1,0,0]
	v_mov_b32_e32 v147, v141
	v_pk_mul_f32 v[140:141], v[142:143], v[132:133] op_sel:[0,1]
	s_delay_alu instid0(VALU_DEP_2) | instskip(NEXT) | instid1(VALU_DEP_2)
	v_pk_add_f32 v[40:41], v[40:41], v[146:147] neg_lo:[0,1] neg_hi:[0,1]
	v_pk_fma_f32 v[144:145], v[142:143], v[130:131], v[140:141] op_sel:[0,0,1] op_sel_hi:[1,1,0] neg_lo:[0,0,1] neg_hi:[0,0,1]
	v_pk_fma_f32 v[140:141], v[142:143], v[130:131], v[140:141] op_sel:[0,0,1] op_sel_hi:[1,0,0]
	s_delay_alu instid0(VALU_DEP_1) | instskip(SKIP_4) | instid1(VALU_DEP_1)
	v_mov_b32_e32 v145, v141
	ds_load_2addr_b64 v[140:143], v134 offset0:39 offset1:40
	v_pk_add_f32 v[42:43], v[42:43], v[144:145] neg_lo:[0,1] neg_hi:[0,1]
	s_wait_dscnt 0x0
	v_pk_mul_f32 v[144:145], v[140:141], v[132:133] op_sel:[0,1]
	v_pk_fma_f32 v[146:147], v[140:141], v[130:131], v[144:145] op_sel:[0,0,1] op_sel_hi:[1,1,0] neg_lo:[0,0,1] neg_hi:[0,0,1]
	v_pk_fma_f32 v[140:141], v[140:141], v[130:131], v[144:145] op_sel:[0,0,1] op_sel_hi:[1,0,0]
	v_dual_mul_f32 v144, v143, v133 :: v_dual_mov_b32 v140, v143
	s_delay_alu instid0(VALU_DEP_2) | instskip(NEXT) | instid1(VALU_DEP_2)
	v_dual_mov_b32 v147, v141 :: v_dual_mov_b32 v141, v142
	v_pk_fma_f32 v[144:145], v[142:143], v[112:113], v[144:145] op_sel_hi:[1,1,0] neg_lo:[0,0,1] neg_hi:[0,0,1]
	v_mul_f32_e32 v142, v143, v130
	s_delay_alu instid0(VALU_DEP_3) | instskip(NEXT) | instid1(VALU_DEP_2)
	v_pk_add_f32 v[38:39], v[38:39], v[146:147] neg_lo:[0,1] neg_hi:[0,1]
	v_pk_fma_f32 v[140:141], v[140:141], v[112:113], v[142:143] op_sel_hi:[1,1,0]
	s_delay_alu instid0(VALU_DEP_1) | instskip(SKIP_4) | instid1(VALU_DEP_1)
	v_mov_b32_e32 v145, v141
	ds_load_2addr_b64 v[140:143], v134 offset0:41 offset1:42
	v_pk_add_f32 v[100:101], v[100:101], v[144:145] neg_lo:[0,1] neg_hi:[0,1]
	s_wait_dscnt 0x0
	v_pk_mul_f32 v[144:145], v[140:141], v[132:133] op_sel:[0,1]
	v_pk_fma_f32 v[146:147], v[140:141], v[130:131], v[144:145] op_sel:[0,0,1] op_sel_hi:[1,1,0] neg_lo:[0,0,1] neg_hi:[0,0,1]
	v_pk_fma_f32 v[140:141], v[140:141], v[130:131], v[144:145] op_sel:[0,0,1] op_sel_hi:[1,0,0]
	s_delay_alu instid0(VALU_DEP_1) | instskip(SKIP_1) | instid1(VALU_DEP_1)
	v_mov_b32_e32 v147, v141
	v_pk_mul_f32 v[140:141], v[142:143], v[132:133] op_sel:[0,1]
	v_pk_fma_f32 v[144:145], v[142:143], v[130:131], v[140:141] op_sel:[0,0,1] op_sel_hi:[1,1,0] neg_lo:[0,0,1] neg_hi:[0,0,1]
	v_pk_fma_f32 v[140:141], v[142:143], v[130:131], v[140:141] op_sel:[0,0,1] op_sel_hi:[1,0,0]
	s_delay_alu instid0(VALU_DEP_1)
	v_mov_b32_e32 v145, v141
	ds_load_2addr_b64 v[140:143], v134 offset0:43 offset1:44
	v_pk_add_f32 v[32:33], v[32:33], v[146:147] neg_lo:[0,1] neg_hi:[0,1]
	v_pk_add_f32 v[34:35], v[34:35], v[144:145] neg_lo:[0,1] neg_hi:[0,1]
	s_wait_dscnt 0x0
	v_pk_mul_f32 v[144:145], v[140:141], v[132:133] op_sel:[0,1]
	s_delay_alu instid0(VALU_DEP_1) | instskip(SKIP_1) | instid1(VALU_DEP_1)
	v_pk_fma_f32 v[146:147], v[140:141], v[130:131], v[144:145] op_sel:[0,0,1] op_sel_hi:[1,1,0] neg_lo:[0,0,1] neg_hi:[0,0,1]
	v_pk_fma_f32 v[140:141], v[140:141], v[130:131], v[144:145] op_sel:[0,0,1] op_sel_hi:[1,0,0]
	v_mov_b32_e32 v147, v141
	v_pk_mul_f32 v[140:141], v[142:143], v[132:133] op_sel:[0,1]
	s_delay_alu instid0(VALU_DEP_1) | instskip(SKIP_1) | instid1(VALU_DEP_1)
	v_pk_fma_f32 v[144:145], v[142:143], v[130:131], v[140:141] op_sel:[0,0,1] op_sel_hi:[1,1,0] neg_lo:[0,0,1] neg_hi:[0,0,1]
	v_pk_fma_f32 v[140:141], v[142:143], v[130:131], v[140:141] op_sel:[0,0,1] op_sel_hi:[1,0,0]
	v_mov_b32_e32 v145, v141
	ds_load_2addr_b64 v[140:143], v134 offset0:45 offset1:46
	v_pk_add_f32 v[30:31], v[30:31], v[146:147] neg_lo:[0,1] neg_hi:[0,1]
	v_pk_add_f32 v[98:99], v[98:99], v[144:145] neg_lo:[0,1] neg_hi:[0,1]
	s_wait_dscnt 0x0
	v_dual_mul_f32 v144, v141, v133 :: v_dual_mul_f32 v146, v141, v130
	s_delay_alu instid0(VALU_DEP_1) | instskip(NEXT) | instid1(VALU_DEP_2)
	v_pk_fma_f32 v[144:145], v[140:141], v[112:113], v[144:145] op_sel_hi:[1,1,0] neg_lo:[0,0,1] neg_hi:[0,0,1]
	v_pk_fma_f32 v[140:141], v[140:141], v[112:113], v[146:147] op_sel:[1,0,0] op_sel_hi:[0,1,0]
	s_delay_alu instid0(VALU_DEP_1) | instskip(SKIP_1) | instid1(VALU_DEP_2)
	v_mov_b32_e32 v145, v141
	v_pk_mul_f32 v[140:141], v[142:143], v[132:133] op_sel:[0,1]
	v_pk_add_f32 v[24:25], v[24:25], v[144:145] neg_lo:[0,1] neg_hi:[0,1]
	s_delay_alu instid0(VALU_DEP_2) | instskip(SKIP_1) | instid1(VALU_DEP_1)
	v_pk_fma_f32 v[144:145], v[142:143], v[130:131], v[140:141] op_sel:[0,0,1] op_sel_hi:[1,1,0] neg_lo:[0,0,1] neg_hi:[0,0,1]
	v_pk_fma_f32 v[140:141], v[142:143], v[130:131], v[140:141] op_sel:[0,0,1] op_sel_hi:[1,0,0]
	v_mov_b32_e32 v145, v141
	ds_load_2addr_b64 v[140:143], v134 offset0:47 offset1:48
	v_pk_add_f32 v[28:29], v[28:29], v[144:145] neg_lo:[0,1] neg_hi:[0,1]
	s_wait_dscnt 0x0
	v_pk_mul_f32 v[144:145], v[140:141], v[132:133] op_sel:[0,1]
	s_delay_alu instid0(VALU_DEP_1) | instskip(SKIP_1) | instid1(VALU_DEP_1)
	v_pk_fma_f32 v[146:147], v[140:141], v[130:131], v[144:145] op_sel:[0,0,1] op_sel_hi:[1,1,0] neg_lo:[0,0,1] neg_hi:[0,0,1]
	v_pk_fma_f32 v[140:141], v[140:141], v[130:131], v[144:145] op_sel:[0,0,1] op_sel_hi:[1,0,0]
	v_mov_b32_e32 v147, v141
	v_pk_mul_f32 v[140:141], v[142:143], v[132:133] op_sel:[0,1]
	s_delay_alu instid0(VALU_DEP_2) | instskip(NEXT) | instid1(VALU_DEP_2)
	v_pk_add_f32 v[22:23], v[22:23], v[146:147] neg_lo:[0,1] neg_hi:[0,1]
	v_pk_fma_f32 v[144:145], v[142:143], v[130:131], v[140:141] op_sel:[0,0,1] op_sel_hi:[1,1,0] neg_lo:[0,0,1] neg_hi:[0,0,1]
	v_pk_fma_f32 v[140:141], v[142:143], v[130:131], v[140:141] op_sel:[0,0,1] op_sel_hi:[1,0,0]
	s_delay_alu instid0(VALU_DEP_1) | instskip(SKIP_4) | instid1(VALU_DEP_1)
	v_mov_b32_e32 v145, v141
	ds_load_2addr_b64 v[140:143], v134 offset0:49 offset1:50
	v_pk_add_f32 v[96:97], v[96:97], v[144:145] neg_lo:[0,1] neg_hi:[0,1]
	s_wait_dscnt 0x0
	v_pk_mul_f32 v[144:145], v[140:141], v[132:133] op_sel:[0,1]
	v_pk_fma_f32 v[146:147], v[140:141], v[130:131], v[144:145] op_sel:[0,0,1] op_sel_hi:[1,1,0] neg_lo:[0,0,1] neg_hi:[0,0,1]
	v_pk_fma_f32 v[140:141], v[140:141], v[130:131], v[144:145] op_sel:[0,0,1] op_sel_hi:[1,0,0]
	v_dual_mul_f32 v144, v143, v133 :: v_dual_mov_b32 v140, v143
	s_delay_alu instid0(VALU_DEP_2) | instskip(NEXT) | instid1(VALU_DEP_2)
	v_dual_mov_b32 v147, v141 :: v_dual_mov_b32 v141, v142
	v_pk_fma_f32 v[144:145], v[142:143], v[112:113], v[144:145] op_sel_hi:[1,1,0] neg_lo:[0,0,1] neg_hi:[0,0,1]
	v_mul_f32_e32 v142, v143, v130
	s_delay_alu instid0(VALU_DEP_3) | instskip(NEXT) | instid1(VALU_DEP_2)
	v_pk_add_f32 v[18:19], v[18:19], v[146:147] neg_lo:[0,1] neg_hi:[0,1]
	v_pk_fma_f32 v[140:141], v[140:141], v[112:113], v[142:143] op_sel_hi:[1,1,0]
	s_delay_alu instid0(VALU_DEP_1) | instskip(SKIP_4) | instid1(VALU_DEP_1)
	v_mov_b32_e32 v145, v141
	ds_load_2addr_b64 v[140:143], v134 offset0:51 offset1:52
	v_pk_add_f32 v[20:21], v[20:21], v[144:145] neg_lo:[0,1] neg_hi:[0,1]
	s_wait_dscnt 0x0
	v_pk_mul_f32 v[144:145], v[140:141], v[132:133] op_sel:[0,1]
	v_pk_fma_f32 v[146:147], v[140:141], v[130:131], v[144:145] op_sel:[0,0,1] op_sel_hi:[1,1,0] neg_lo:[0,0,1] neg_hi:[0,0,1]
	v_pk_fma_f32 v[140:141], v[140:141], v[130:131], v[144:145] op_sel:[0,0,1] op_sel_hi:[1,0,0]
	s_delay_alu instid0(VALU_DEP_1) | instskip(SKIP_1) | instid1(VALU_DEP_1)
	v_mov_b32_e32 v147, v141
	v_pk_mul_f32 v[140:141], v[142:143], v[132:133] op_sel:[0,1]
	v_pk_fma_f32 v[144:145], v[142:143], v[130:131], v[140:141] op_sel:[0,0,1] op_sel_hi:[1,1,0] neg_lo:[0,0,1] neg_hi:[0,0,1]
	v_pk_fma_f32 v[140:141], v[142:143], v[130:131], v[140:141] op_sel:[0,0,1] op_sel_hi:[1,0,0]
	s_delay_alu instid0(VALU_DEP_1)
	v_mov_b32_e32 v145, v141
	ds_load_2addr_b64 v[140:143], v134 offset0:53 offset1:54
	v_pk_add_f32 v[36:37], v[36:37], v[146:147] neg_lo:[0,1] neg_hi:[0,1]
	v_pk_add_f32 v[86:87], v[86:87], v[144:145] neg_lo:[0,1] neg_hi:[0,1]
	s_wait_dscnt 0x0
	v_pk_mul_f32 v[144:145], v[140:141], v[132:133] op_sel:[0,1]
	s_delay_alu instid0(VALU_DEP_1) | instskip(SKIP_1) | instid1(VALU_DEP_1)
	v_pk_fma_f32 v[146:147], v[140:141], v[130:131], v[144:145] op_sel:[0,0,1] op_sel_hi:[1,1,0] neg_lo:[0,0,1] neg_hi:[0,0,1]
	v_pk_fma_f32 v[140:141], v[140:141], v[130:131], v[144:145] op_sel:[0,0,1] op_sel_hi:[1,0,0]
	v_mov_b32_e32 v147, v141
	v_pk_mul_f32 v[140:141], v[142:143], v[132:133] op_sel:[0,1]
	s_delay_alu instid0(VALU_DEP_1) | instskip(SKIP_1) | instid1(VALU_DEP_1)
	v_pk_fma_f32 v[144:145], v[142:143], v[130:131], v[140:141] op_sel:[0,0,1] op_sel_hi:[1,1,0] neg_lo:[0,0,1] neg_hi:[0,0,1]
	v_pk_fma_f32 v[140:141], v[142:143], v[130:131], v[140:141] op_sel:[0,0,1] op_sel_hi:[1,0,0]
	v_mov_b32_e32 v145, v141
	ds_load_2addr_b64 v[140:143], v134 offset0:55 offset1:56
	v_pk_add_f32 v[10:11], v[10:11], v[146:147] neg_lo:[0,1] neg_hi:[0,1]
	v_pk_add_f32 v[12:13], v[12:13], v[144:145] neg_lo:[0,1] neg_hi:[0,1]
	s_wait_dscnt 0x0
	v_dual_mul_f32 v144, v141, v133 :: v_dual_mul_f32 v146, v141, v130
	s_delay_alu instid0(VALU_DEP_1) | instskip(NEXT) | instid1(VALU_DEP_2)
	v_pk_fma_f32 v[144:145], v[140:141], v[112:113], v[144:145] op_sel_hi:[1,1,0] neg_lo:[0,0,1] neg_hi:[0,0,1]
	v_pk_fma_f32 v[140:141], v[140:141], v[112:113], v[146:147] op_sel:[1,0,0] op_sel_hi:[0,1,0]
	s_delay_alu instid0(VALU_DEP_1) | instskip(SKIP_1) | instid1(VALU_DEP_2)
	v_mov_b32_e32 v145, v141
	v_pk_mul_f32 v[140:141], v[142:143], v[132:133] op_sel:[0,1]
	v_pk_add_f32 v[8:9], v[8:9], v[144:145] neg_lo:[0,1] neg_hi:[0,1]
	s_delay_alu instid0(VALU_DEP_2) | instskip(SKIP_1) | instid1(VALU_DEP_1)
	v_pk_fma_f32 v[144:145], v[142:143], v[130:131], v[140:141] op_sel:[0,0,1] op_sel_hi:[1,1,0] neg_lo:[0,0,1] neg_hi:[0,0,1]
	v_pk_fma_f32 v[140:141], v[142:143], v[130:131], v[140:141] op_sel:[0,0,1] op_sel_hi:[1,0,0]
	v_mov_b32_e32 v145, v141
	ds_load_2addr_b64 v[140:143], v134 offset0:57 offset1:58
	v_pk_add_f32 v[44:45], v[44:45], v[144:145] neg_lo:[0,1] neg_hi:[0,1]
	s_wait_dscnt 0x0
	v_pk_mul_f32 v[144:145], v[140:141], v[132:133] op_sel:[0,1]
	s_delay_alu instid0(VALU_DEP_1) | instskip(SKIP_1) | instid1(VALU_DEP_1)
	v_pk_fma_f32 v[146:147], v[140:141], v[130:131], v[144:145] op_sel:[0,0,1] op_sel_hi:[1,1,0] neg_lo:[0,0,1] neg_hi:[0,0,1]
	v_pk_fma_f32 v[140:141], v[140:141], v[130:131], v[144:145] op_sel:[0,0,1] op_sel_hi:[1,0,0]
	v_mov_b32_e32 v147, v141
	v_pk_mul_f32 v[140:141], v[142:143], v[132:133] op_sel:[0,1]
	s_delay_alu instid0(VALU_DEP_2) | instskip(NEXT) | instid1(VALU_DEP_2)
	v_pk_add_f32 v[6:7], v[6:7], v[146:147] neg_lo:[0,1] neg_hi:[0,1]
	v_pk_fma_f32 v[144:145], v[142:143], v[130:131], v[140:141] op_sel:[0,0,1] op_sel_hi:[1,1,0] neg_lo:[0,0,1] neg_hi:[0,0,1]
	v_pk_fma_f32 v[140:141], v[142:143], v[130:131], v[140:141] op_sel:[0,0,1] op_sel_hi:[1,0,0]
	s_delay_alu instid0(VALU_DEP_1) | instskip(SKIP_4) | instid1(VALU_DEP_1)
	v_mov_b32_e32 v145, v141
	ds_load_2addr_b64 v[140:143], v134 offset0:59 offset1:60
	v_pk_add_f32 v[26:27], v[26:27], v[144:145] neg_lo:[0,1] neg_hi:[0,1]
	s_wait_dscnt 0x0
	v_pk_mul_f32 v[144:145], v[140:141], v[132:133] op_sel:[0,1]
	v_pk_fma_f32 v[146:147], v[140:141], v[130:131], v[144:145] op_sel:[0,0,1] op_sel_hi:[1,1,0] neg_lo:[0,0,1] neg_hi:[0,0,1]
	v_pk_fma_f32 v[140:141], v[140:141], v[130:131], v[144:145] op_sel:[0,0,1] op_sel_hi:[1,0,0]
	v_dual_mul_f32 v144, v143, v133 :: v_dual_mov_b32 v140, v143
	s_delay_alu instid0(VALU_DEP_2) | instskip(NEXT) | instid1(VALU_DEP_2)
	v_dual_mov_b32 v147, v141 :: v_dual_mov_b32 v141, v142
	v_pk_fma_f32 v[144:145], v[142:143], v[112:113], v[144:145] op_sel_hi:[1,1,0] neg_lo:[0,0,1] neg_hi:[0,0,1]
	v_mul_f32_e32 v142, v143, v130
	s_delay_alu instid0(VALU_DEP_3) | instskip(NEXT) | instid1(VALU_DEP_2)
	v_pk_add_f32 v[16:17], v[16:17], v[146:147] neg_lo:[0,1] neg_hi:[0,1]
	v_pk_fma_f32 v[140:141], v[140:141], v[112:113], v[142:143] op_sel_hi:[1,1,0]
	s_delay_alu instid0(VALU_DEP_1) | instskip(SKIP_4) | instid1(VALU_DEP_1)
	v_mov_b32_e32 v145, v141
	ds_load_b64 v[140:141], v134 offset:488
	v_pk_add_f32 v[14:15], v[14:15], v[144:145] neg_lo:[0,1] neg_hi:[0,1]
	s_wait_dscnt 0x0
	v_pk_mul_f32 v[132:133], v[140:141], v[132:133] op_sel:[0,1]
	v_pk_fma_f32 v[142:143], v[140:141], v[130:131], v[132:133] op_sel:[0,0,1] op_sel_hi:[1,1,0] neg_lo:[0,0,1] neg_hi:[0,0,1]
	v_pk_fma_f32 v[130:131], v[140:141], v[130:131], v[132:133] op_sel:[0,0,1] op_sel_hi:[1,0,0]
	s_delay_alu instid0(VALU_DEP_1) | instskip(NEXT) | instid1(VALU_DEP_1)
	v_mov_b32_e32 v143, v131
	v_pk_add_f32 v[128:129], v[128:129], v[142:143] neg_lo:[0,1] neg_hi:[0,1]
.LBB122_356:
	s_or_b32 exec_lo, exec_lo, s0
	v_lshl_add_u32 v130, v138, 3, v134
	s_barrier_signal -1
	s_barrier_wait -1
	ds_store_b64 v130, v[72:73]
	s_wait_dscnt 0x0
	s_barrier_signal -1
	s_barrier_wait -1
	ds_load_b64 v[132:133], v134 offset:136
	v_mov_b32_e32 v130, 17
	s_cmp_lt_i32 s18, 19
	s_cbranch_scc1 .LBB122_359
; %bb.357:
	v_add3_u32 v131, v135, 0, 0x90
	v_mov_b32_e32 v130, 17
	s_mov_b32 s0, 18
.LBB122_358:                            ; =>This Inner Loop Header: Depth=1
	ds_load_b64 v[140:141], v131
	s_wait_dscnt 0x1
	v_cmp_gt_f32_e32 vcc_lo, 0, v132
	v_cndmask_b32_e64 v142, v132, -v132, vcc_lo
	v_cmp_gt_f32_e32 vcc_lo, 0, v133
	v_cndmask_b32_e64 v144, v133, -v133, vcc_lo
	s_wait_dscnt 0x0
	v_cmp_gt_f32_e32 vcc_lo, 0, v140
	v_cndmask_b32_e64 v143, v140, -v140, vcc_lo
	v_cmp_gt_f32_e32 vcc_lo, 0, v141
	v_cndmask_b32_e64 v145, v141, -v141, vcc_lo
	s_delay_alu instid0(VALU_DEP_1) | instskip(NEXT) | instid1(VALU_DEP_1)
	v_pk_add_f32 v[142:143], v[142:143], v[144:145]
	v_cmp_lt_f32_e32 vcc_lo, v142, v143
	v_dual_add_nc_u32 v131, 8, v131 :: v_dual_cndmask_b32 v133, v133, v141, vcc_lo
	v_cndmask_b32_e32 v132, v132, v140, vcc_lo
	v_cndmask_b32_e64 v130, v130, s0, vcc_lo
	s_add_co_i32 s0, s0, 1
	s_delay_alu instid0(SALU_CYCLE_1)
	s_cmp_lg_u32 s18, s0
	s_cbranch_scc1 .LBB122_358
.LBB122_359:
	s_wait_dscnt 0x0
	v_cmp_eq_f32_e32 vcc_lo, 0, v132
	v_cmp_eq_f32_e64 s0, 0, v133
	s_and_b32 s0, vcc_lo, s0
	s_delay_alu instid0(SALU_CYCLE_1) | instskip(NEXT) | instid1(SALU_CYCLE_1)
	s_and_saveexec_b32 s1, s0
	s_xor_b32 s0, exec_lo, s1
; %bb.360:
	v_cmp_ne_u32_e32 vcc_lo, 0, v136
	v_cndmask_b32_e32 v136, 18, v136, vcc_lo
; %bb.361:
	s_and_not1_saveexec_b32 s0, s0
	s_cbranch_execz .LBB122_367
; %bb.362:
	v_cmp_ngt_f32_e64 s1, |v132|, |v133|
	s_and_saveexec_b32 s12, s1
	s_delay_alu instid0(SALU_CYCLE_1)
	s_xor_b32 s1, exec_lo, s12
	s_cbranch_execz .LBB122_364
; %bb.363:
	v_div_scale_f32 v131, null, v133, v133, v132
	v_div_scale_f32 v141, vcc_lo, v132, v133, v132
	s_delay_alu instid0(VALU_DEP_2) | instskip(SKIP_1) | instid1(TRANS32_DEP_1)
	v_rcp_f32_e32 v139, v131
	v_nop
	v_fma_f32 v140, -v131, v139, 1.0
	s_delay_alu instid0(VALU_DEP_1) | instskip(NEXT) | instid1(VALU_DEP_1)
	v_fmac_f32_e32 v139, v140, v139
	v_mul_f32_e32 v140, v141, v139
	s_delay_alu instid0(VALU_DEP_1) | instskip(NEXT) | instid1(VALU_DEP_1)
	v_fma_f32 v142, -v131, v140, v141
	v_fmac_f32_e32 v140, v142, v139
	s_delay_alu instid0(VALU_DEP_1) | instskip(NEXT) | instid1(VALU_DEP_1)
	v_fma_f32 v131, -v131, v140, v141
	v_div_fmas_f32 v131, v131, v139, v140
	s_delay_alu instid0(VALU_DEP_1) | instskip(NEXT) | instid1(VALU_DEP_1)
	v_div_fixup_f32 v131, v131, v133, v132
	v_fmac_f32_e32 v133, v132, v131
	s_delay_alu instid0(VALU_DEP_1) | instskip(SKIP_1) | instid1(VALU_DEP_2)
	v_div_scale_f32 v132, null, v133, v133, 1.0
	v_div_scale_f32 v141, vcc_lo, 1.0, v133, 1.0
	v_rcp_f32_e32 v139, v132
	v_nop
	s_delay_alu instid0(TRANS32_DEP_1) | instskip(NEXT) | instid1(VALU_DEP_1)
	v_fma_f32 v140, -v132, v139, 1.0
	v_fmac_f32_e32 v139, v140, v139
	s_delay_alu instid0(VALU_DEP_1) | instskip(NEXT) | instid1(VALU_DEP_1)
	v_mul_f32_e32 v140, v141, v139
	v_fma_f32 v142, -v132, v140, v141
	s_delay_alu instid0(VALU_DEP_1) | instskip(NEXT) | instid1(VALU_DEP_1)
	v_fmac_f32_e32 v140, v142, v139
	v_fma_f32 v132, -v132, v140, v141
	s_delay_alu instid0(VALU_DEP_1) | instskip(NEXT) | instid1(VALU_DEP_1)
	v_div_fmas_f32 v132, v132, v139, v140
	v_div_fixup_f32 v133, v132, v133, 1.0
	s_delay_alu instid0(VALU_DEP_1)
	v_mul_f32_e32 v132, v131, v133
	v_xor_b32_e32 v133, 0x80000000, v133
.LBB122_364:
	s_and_not1_saveexec_b32 s1, s1
	s_cbranch_execz .LBB122_366
; %bb.365:
	s_delay_alu instid0(VALU_DEP_1) | instskip(SKIP_1) | instid1(VALU_DEP_2)
	v_div_scale_f32 v131, null, v132, v132, v133
	v_div_scale_f32 v141, vcc_lo, v133, v132, v133
	v_rcp_f32_e32 v139, v131
	v_nop
	s_delay_alu instid0(TRANS32_DEP_1) | instskip(NEXT) | instid1(VALU_DEP_1)
	v_fma_f32 v140, -v131, v139, 1.0
	v_fmac_f32_e32 v139, v140, v139
	s_delay_alu instid0(VALU_DEP_1) | instskip(NEXT) | instid1(VALU_DEP_1)
	v_mul_f32_e32 v140, v141, v139
	v_fma_f32 v142, -v131, v140, v141
	s_delay_alu instid0(VALU_DEP_1) | instskip(NEXT) | instid1(VALU_DEP_1)
	v_fmac_f32_e32 v140, v142, v139
	v_fma_f32 v131, -v131, v140, v141
	s_delay_alu instid0(VALU_DEP_1) | instskip(NEXT) | instid1(VALU_DEP_1)
	v_div_fmas_f32 v131, v131, v139, v140
	v_div_fixup_f32 v131, v131, v132, v133
	s_delay_alu instid0(VALU_DEP_1) | instskip(NEXT) | instid1(VALU_DEP_1)
	v_fmac_f32_e32 v132, v133, v131
	v_div_scale_f32 v133, null, v132, v132, 1.0
	s_delay_alu instid0(VALU_DEP_1) | instskip(SKIP_1) | instid1(TRANS32_DEP_1)
	v_rcp_f32_e32 v139, v133
	v_nop
	v_fma_f32 v140, -v133, v139, 1.0
	s_delay_alu instid0(VALU_DEP_1) | instskip(SKIP_1) | instid1(VALU_DEP_1)
	v_fmac_f32_e32 v139, v140, v139
	v_div_scale_f32 v140, vcc_lo, 1.0, v132, 1.0
	v_mul_f32_e32 v141, v140, v139
	s_delay_alu instid0(VALU_DEP_1) | instskip(NEXT) | instid1(VALU_DEP_1)
	v_fma_f32 v142, -v133, v141, v140
	v_fmac_f32_e32 v141, v142, v139
	s_delay_alu instid0(VALU_DEP_1) | instskip(NEXT) | instid1(VALU_DEP_1)
	v_fma_f32 v133, -v133, v141, v140
	v_div_fmas_f32 v133, v133, v139, v141
	s_delay_alu instid0(VALU_DEP_1) | instskip(NEXT) | instid1(VALU_DEP_1)
	v_div_fixup_f32 v132, v133, v132, 1.0
	v_mul_f32_e64 v133, v131, -v132
.LBB122_366:
	s_or_b32 exec_lo, exec_lo, s1
.LBB122_367:
	s_delay_alu instid0(SALU_CYCLE_1) | instskip(NEXT) | instid1(SALU_CYCLE_1)
	s_or_b32 exec_lo, exec_lo, s0
	s_mov_b32 s0, exec_lo
	v_cmpx_ne_u32_e64 v138, v130
	s_xor_b32 s0, exec_lo, s0
	s_cbranch_execz .LBB122_373
; %bb.368:
	s_mov_b32 s1, exec_lo
	v_cmpx_eq_u32_e32 17, v138
	s_cbranch_execz .LBB122_372
; %bb.369:
	v_cmp_ne_u32_e32 vcc_lo, 17, v130
	s_xor_b32 s12, s16, -1
	s_delay_alu instid0(SALU_CYCLE_1) | instskip(NEXT) | instid1(SALU_CYCLE_1)
	s_and_b32 s13, s12, vcc_lo
	s_and_saveexec_b32 s12, s13
	s_cbranch_execz .LBB122_371
; %bb.370:
	v_ashrrev_i32_e32 v131, 31, v130
	s_delay_alu instid0(VALU_DEP_1)
	v_lshl_add_u64 v[138:139], v[130:131], 2, v[4:5]
	s_clause 0x1
	global_load_b32 v131, v[138:139], off
	global_load_b32 v137, v[4:5], off offset:68
	s_wait_loadcnt 0x1
	global_store_b32 v[4:5], v131, off offset:68
	s_wait_loadcnt 0x0
	global_store_b32 v[138:139], v137, off
.LBB122_371:
	s_wait_xcnt 0x0
	s_or_b32 exec_lo, exec_lo, s12
	v_dual_mov_b32 v138, v130 :: v_dual_mov_b32 v137, v130
.LBB122_372:
	s_or_b32 exec_lo, exec_lo, s1
.LBB122_373:
	s_and_not1_saveexec_b32 s0, s0
	s_cbranch_execz .LBB122_375
; %bb.374:
	v_dual_mov_b32 v130, v74 :: v_dual_mov_b32 v131, v75
	v_dual_mov_b32 v138, v70 :: v_dual_mov_b32 v139, v71
	v_dual_mov_b32 v140, v110 :: v_dual_mov_b32 v141, v111
	v_dual_mov_b32 v142, v66 :: v_dual_mov_b32 v143, v67
	v_dual_mov_b32 v144, v68 :: v_dual_mov_b32 v145, v69
	v_dual_mov_b32 v146, v64 :: v_dual_mov_b32 v147, v65
	v_dual_mov_b32 v148, v108 :: v_dual_mov_b32 v149, v109
	v_dual_mov_b32 v150, v60 :: v_dual_mov_b32 v151, v61
	v_dual_mov_b32 v152, v62 :: v_dual_mov_b32 v153, v63
	v_dual_mov_b32 v154, v58 :: v_dual_mov_b32 v155, v59
	v_dual_mov_b32 v156, v106 :: v_dual_mov_b32 v157, v107
	v_dual_mov_b32 v158, v54 :: v_dual_mov_b32 v159, v55
	ds_store_2addr_b64 v134, v[130:131], v[138:139] offset0:18 offset1:19
	ds_store_2addr_b64 v134, v[140:141], v[142:143] offset0:20 offset1:21
	ds_store_2addr_b64 v134, v[144:145], v[146:147] offset0:22 offset1:23
	ds_store_2addr_b64 v134, v[148:149], v[150:151] offset0:24 offset1:25
	ds_store_2addr_b64 v134, v[152:153], v[154:155] offset0:26 offset1:27
	ds_store_2addr_b64 v134, v[156:157], v[158:159] offset0:28 offset1:29
	v_dual_mov_b32 v130, v56 :: v_dual_mov_b32 v131, v57
	v_dual_mov_b32 v138, v52 :: v_dual_mov_b32 v139, v53
	v_dual_mov_b32 v140, v104 :: v_dual_mov_b32 v141, v105
	v_dual_mov_b32 v142, v48 :: v_dual_mov_b32 v143, v49
	v_dual_mov_b32 v144, v50 :: v_dual_mov_b32 v145, v51
	v_dual_mov_b32 v146, v46 :: v_dual_mov_b32 v147, v47
	v_dual_mov_b32 v148, v102 :: v_dual_mov_b32 v149, v103
	v_dual_mov_b32 v150, v40 :: v_dual_mov_b32 v151, v41
	v_dual_mov_b32 v152, v42 :: v_dual_mov_b32 v153, v43
	v_dual_mov_b32 v154, v38 :: v_dual_mov_b32 v155, v39
	v_dual_mov_b32 v156, v100 :: v_dual_mov_b32 v157, v101
	v_dual_mov_b32 v158, v32 :: v_dual_mov_b32 v159, v33
	ds_store_2addr_b64 v134, v[130:131], v[138:139] offset0:30 offset1:31
	ds_store_2addr_b64 v134, v[140:141], v[142:143] offset0:32 offset1:33
	ds_store_2addr_b64 v134, v[144:145], v[146:147] offset0:34 offset1:35
	ds_store_2addr_b64 v134, v[148:149], v[150:151] offset0:36 offset1:37
	ds_store_2addr_b64 v134, v[152:153], v[154:155] offset0:38 offset1:39
	ds_store_2addr_b64 v134, v[156:157], v[158:159] offset0:40 offset1:41
	;; [unrolled: 18-line block ×3, first 2 shown]
	v_dual_mov_b32 v130, v12 :: v_dual_mov_b32 v131, v13
	v_dual_mov_b32 v140, v8 :: v_dual_mov_b32 v141, v9
	;; [unrolled: 1-line block ×7, first 2 shown]
	v_mov_b32_e32 v151, v15
	ds_store_2addr_b64 v134, v[130:131], v[140:141] offset0:54 offset1:55
	ds_store_2addr_b64 v134, v[142:143], v[144:145] offset0:56 offset1:57
	;; [unrolled: 1-line block ×4, first 2 shown]
.LBB122_375:
	s_or_b32 exec_lo, exec_lo, s0
	s_delay_alu instid0(SALU_CYCLE_1)
	s_mov_b32 s0, exec_lo
	s_wait_storecnt_dscnt 0x0
	s_barrier_signal -1
	s_barrier_wait -1
	v_cmpx_lt_i32_e32 17, v138
	s_cbranch_execz .LBB122_377
; %bb.376:
	v_pk_mul_f32 v[140:141], v[132:133], v[72:73] op_sel:[1,1] op_sel_hi:[0,1]
	s_delay_alu instid0(VALU_DEP_1)
	v_pk_fma_f32 v[130:131], v[132:133], v[72:73], v[140:141] op_sel_hi:[1,0,1] neg_lo:[0,0,1] neg_hi:[0,0,1]
	v_pk_fma_f32 v[132:133], v[132:133], v[72:73], v[140:141] op_sel_hi:[1,0,1]
	ds_load_2addr_b64 v[140:143], v134 offset0:18 offset1:19
	v_dual_mov_b32 v72, v130 :: v_dual_mov_b32 v73, v133
	s_wait_dscnt 0x0
	v_pk_mul_f32 v[144:145], v[140:141], v[132:133] op_sel:[0,1]
	s_delay_alu instid0(VALU_DEP_1) | instskip(SKIP_1) | instid1(VALU_DEP_1)
	v_pk_fma_f32 v[146:147], v[140:141], v[130:131], v[144:145] op_sel:[0,0,1] op_sel_hi:[1,1,0] neg_lo:[0,0,1] neg_hi:[0,0,1]
	v_pk_fma_f32 v[140:141], v[140:141], v[130:131], v[144:145] op_sel:[0,0,1] op_sel_hi:[1,0,0]
	v_mov_b32_e32 v147, v141
	v_pk_mul_f32 v[140:141], v[142:143], v[132:133] op_sel:[0,1]
	s_delay_alu instid0(VALU_DEP_1) | instskip(SKIP_1) | instid1(VALU_DEP_1)
	v_pk_fma_f32 v[144:145], v[142:143], v[130:131], v[140:141] op_sel:[0,0,1] op_sel_hi:[1,1,0] neg_lo:[0,0,1] neg_hi:[0,0,1]
	v_pk_fma_f32 v[140:141], v[142:143], v[130:131], v[140:141] op_sel:[0,0,1] op_sel_hi:[1,0,0]
	v_mov_b32_e32 v145, v141
	ds_load_2addr_b64 v[140:143], v134 offset0:20 offset1:21
	v_pk_add_f32 v[74:75], v[74:75], v[146:147] neg_lo:[0,1] neg_hi:[0,1]
	v_pk_add_f32 v[70:71], v[70:71], v[144:145] neg_lo:[0,1] neg_hi:[0,1]
	s_wait_dscnt 0x0
	v_pk_mul_f32 v[144:145], v[140:141], v[132:133] op_sel:[0,1]
	s_delay_alu instid0(VALU_DEP_1) | instskip(SKIP_2) | instid1(VALU_DEP_2)
	v_pk_fma_f32 v[146:147], v[140:141], v[130:131], v[144:145] op_sel:[0,0,1] op_sel_hi:[1,1,0] neg_lo:[0,0,1] neg_hi:[0,0,1]
	v_pk_fma_f32 v[140:141], v[140:141], v[130:131], v[144:145] op_sel:[0,0,1] op_sel_hi:[1,0,0]
	v_dual_mul_f32 v144, v143, v133 :: v_dual_mov_b32 v140, v143
	v_dual_mov_b32 v147, v141 :: v_dual_mov_b32 v141, v142
	s_delay_alu instid0(VALU_DEP_2) | instskip(SKIP_1) | instid1(VALU_DEP_3)
	v_pk_fma_f32 v[144:145], v[142:143], v[72:73], v[144:145] op_sel_hi:[1,1,0] neg_lo:[0,0,1] neg_hi:[0,0,1]
	v_mul_f32_e32 v142, v143, v130
	v_pk_add_f32 v[110:111], v[110:111], v[146:147] neg_lo:[0,1] neg_hi:[0,1]
	s_delay_alu instid0(VALU_DEP_2) | instskip(NEXT) | instid1(VALU_DEP_1)
	v_pk_fma_f32 v[140:141], v[140:141], v[72:73], v[142:143] op_sel_hi:[1,1,0]
	v_mov_b32_e32 v145, v141
	ds_load_2addr_b64 v[140:143], v134 offset0:22 offset1:23
	v_pk_add_f32 v[66:67], v[66:67], v[144:145] neg_lo:[0,1] neg_hi:[0,1]
	s_wait_dscnt 0x0
	v_pk_mul_f32 v[144:145], v[140:141], v[132:133] op_sel:[0,1]
	s_delay_alu instid0(VALU_DEP_1) | instskip(SKIP_1) | instid1(VALU_DEP_1)
	v_pk_fma_f32 v[146:147], v[140:141], v[130:131], v[144:145] op_sel:[0,0,1] op_sel_hi:[1,1,0] neg_lo:[0,0,1] neg_hi:[0,0,1]
	v_pk_fma_f32 v[140:141], v[140:141], v[130:131], v[144:145] op_sel:[0,0,1] op_sel_hi:[1,0,0]
	v_mov_b32_e32 v147, v141
	v_pk_mul_f32 v[140:141], v[142:143], v[132:133] op_sel:[0,1]
	s_delay_alu instid0(VALU_DEP_1) | instskip(SKIP_1) | instid1(VALU_DEP_1)
	v_pk_fma_f32 v[144:145], v[142:143], v[130:131], v[140:141] op_sel:[0,0,1] op_sel_hi:[1,1,0] neg_lo:[0,0,1] neg_hi:[0,0,1]
	v_pk_fma_f32 v[140:141], v[142:143], v[130:131], v[140:141] op_sel:[0,0,1] op_sel_hi:[1,0,0]
	v_mov_b32_e32 v145, v141
	ds_load_2addr_b64 v[140:143], v134 offset0:24 offset1:25
	v_pk_add_f32 v[68:69], v[68:69], v[146:147] neg_lo:[0,1] neg_hi:[0,1]
	v_pk_add_f32 v[64:65], v[64:65], v[144:145] neg_lo:[0,1] neg_hi:[0,1]
	s_wait_dscnt 0x0
	v_pk_mul_f32 v[144:145], v[140:141], v[132:133] op_sel:[0,1]
	s_delay_alu instid0(VALU_DEP_1) | instskip(SKIP_1) | instid1(VALU_DEP_1)
	v_pk_fma_f32 v[146:147], v[140:141], v[130:131], v[144:145] op_sel:[0,0,1] op_sel_hi:[1,1,0] neg_lo:[0,0,1] neg_hi:[0,0,1]
	v_pk_fma_f32 v[140:141], v[140:141], v[130:131], v[144:145] op_sel:[0,0,1] op_sel_hi:[1,0,0]
	v_mov_b32_e32 v147, v141
	v_pk_mul_f32 v[140:141], v[142:143], v[132:133] op_sel:[0,1]
	s_delay_alu instid0(VALU_DEP_1) | instskip(SKIP_1) | instid1(VALU_DEP_1)
	v_pk_fma_f32 v[144:145], v[142:143], v[130:131], v[140:141] op_sel:[0,0,1] op_sel_hi:[1,1,0] neg_lo:[0,0,1] neg_hi:[0,0,1]
	v_pk_fma_f32 v[140:141], v[142:143], v[130:131], v[140:141] op_sel:[0,0,1] op_sel_hi:[1,0,0]
	v_mov_b32_e32 v145, v141
	ds_load_2addr_b64 v[140:143], v134 offset0:26 offset1:27
	v_pk_add_f32 v[108:109], v[108:109], v[146:147] neg_lo:[0,1] neg_hi:[0,1]
	v_pk_add_f32 v[60:61], v[60:61], v[144:145] neg_lo:[0,1] neg_hi:[0,1]
	s_wait_dscnt 0x0
	v_dual_mul_f32 v144, v141, v133 :: v_dual_mul_f32 v146, v141, v130
	s_delay_alu instid0(VALU_DEP_1) | instskip(NEXT) | instid1(VALU_DEP_2)
	v_pk_fma_f32 v[144:145], v[140:141], v[72:73], v[144:145] op_sel_hi:[1,1,0] neg_lo:[0,0,1] neg_hi:[0,0,1]
	v_pk_fma_f32 v[140:141], v[140:141], v[72:73], v[146:147] op_sel:[1,0,0] op_sel_hi:[0,1,0]
	s_delay_alu instid0(VALU_DEP_1) | instskip(SKIP_1) | instid1(VALU_DEP_2)
	v_mov_b32_e32 v145, v141
	v_pk_mul_f32 v[140:141], v[142:143], v[132:133] op_sel:[0,1]
	v_pk_add_f32 v[62:63], v[62:63], v[144:145] neg_lo:[0,1] neg_hi:[0,1]
	s_delay_alu instid0(VALU_DEP_2) | instskip(SKIP_1) | instid1(VALU_DEP_1)
	v_pk_fma_f32 v[144:145], v[142:143], v[130:131], v[140:141] op_sel:[0,0,1] op_sel_hi:[1,1,0] neg_lo:[0,0,1] neg_hi:[0,0,1]
	v_pk_fma_f32 v[140:141], v[142:143], v[130:131], v[140:141] op_sel:[0,0,1] op_sel_hi:[1,0,0]
	v_mov_b32_e32 v145, v141
	ds_load_2addr_b64 v[140:143], v134 offset0:28 offset1:29
	v_pk_add_f32 v[58:59], v[58:59], v[144:145] neg_lo:[0,1] neg_hi:[0,1]
	s_wait_dscnt 0x0
	v_pk_mul_f32 v[144:145], v[140:141], v[132:133] op_sel:[0,1]
	s_delay_alu instid0(VALU_DEP_1) | instskip(SKIP_1) | instid1(VALU_DEP_1)
	v_pk_fma_f32 v[146:147], v[140:141], v[130:131], v[144:145] op_sel:[0,0,1] op_sel_hi:[1,1,0] neg_lo:[0,0,1] neg_hi:[0,0,1]
	v_pk_fma_f32 v[140:141], v[140:141], v[130:131], v[144:145] op_sel:[0,0,1] op_sel_hi:[1,0,0]
	v_mov_b32_e32 v147, v141
	v_pk_mul_f32 v[140:141], v[142:143], v[132:133] op_sel:[0,1]
	s_delay_alu instid0(VALU_DEP_2) | instskip(NEXT) | instid1(VALU_DEP_2)
	v_pk_add_f32 v[106:107], v[106:107], v[146:147] neg_lo:[0,1] neg_hi:[0,1]
	v_pk_fma_f32 v[144:145], v[142:143], v[130:131], v[140:141] op_sel:[0,0,1] op_sel_hi:[1,1,0] neg_lo:[0,0,1] neg_hi:[0,0,1]
	v_pk_fma_f32 v[140:141], v[142:143], v[130:131], v[140:141] op_sel:[0,0,1] op_sel_hi:[1,0,0]
	s_delay_alu instid0(VALU_DEP_1) | instskip(SKIP_4) | instid1(VALU_DEP_1)
	v_mov_b32_e32 v145, v141
	ds_load_2addr_b64 v[140:143], v134 offset0:30 offset1:31
	v_pk_add_f32 v[54:55], v[54:55], v[144:145] neg_lo:[0,1] neg_hi:[0,1]
	s_wait_dscnt 0x0
	v_pk_mul_f32 v[144:145], v[140:141], v[132:133] op_sel:[0,1]
	v_pk_fma_f32 v[146:147], v[140:141], v[130:131], v[144:145] op_sel:[0,0,1] op_sel_hi:[1,1,0] neg_lo:[0,0,1] neg_hi:[0,0,1]
	v_pk_fma_f32 v[140:141], v[140:141], v[130:131], v[144:145] op_sel:[0,0,1] op_sel_hi:[1,0,0]
	v_dual_mul_f32 v144, v143, v133 :: v_dual_mov_b32 v140, v143
	s_delay_alu instid0(VALU_DEP_2) | instskip(NEXT) | instid1(VALU_DEP_2)
	v_dual_mov_b32 v147, v141 :: v_dual_mov_b32 v141, v142
	v_pk_fma_f32 v[144:145], v[142:143], v[72:73], v[144:145] op_sel_hi:[1,1,0] neg_lo:[0,0,1] neg_hi:[0,0,1]
	v_mul_f32_e32 v142, v143, v130
	s_delay_alu instid0(VALU_DEP_3) | instskip(NEXT) | instid1(VALU_DEP_2)
	v_pk_add_f32 v[56:57], v[56:57], v[146:147] neg_lo:[0,1] neg_hi:[0,1]
	v_pk_fma_f32 v[140:141], v[140:141], v[72:73], v[142:143] op_sel_hi:[1,1,0]
	s_delay_alu instid0(VALU_DEP_1) | instskip(SKIP_4) | instid1(VALU_DEP_1)
	v_mov_b32_e32 v145, v141
	ds_load_2addr_b64 v[140:143], v134 offset0:32 offset1:33
	v_pk_add_f32 v[52:53], v[52:53], v[144:145] neg_lo:[0,1] neg_hi:[0,1]
	s_wait_dscnt 0x0
	v_pk_mul_f32 v[144:145], v[140:141], v[132:133] op_sel:[0,1]
	v_pk_fma_f32 v[146:147], v[140:141], v[130:131], v[144:145] op_sel:[0,0,1] op_sel_hi:[1,1,0] neg_lo:[0,0,1] neg_hi:[0,0,1]
	v_pk_fma_f32 v[140:141], v[140:141], v[130:131], v[144:145] op_sel:[0,0,1] op_sel_hi:[1,0,0]
	s_delay_alu instid0(VALU_DEP_1) | instskip(SKIP_1) | instid1(VALU_DEP_1)
	v_mov_b32_e32 v147, v141
	v_pk_mul_f32 v[140:141], v[142:143], v[132:133] op_sel:[0,1]
	v_pk_fma_f32 v[144:145], v[142:143], v[130:131], v[140:141] op_sel:[0,0,1] op_sel_hi:[1,1,0] neg_lo:[0,0,1] neg_hi:[0,0,1]
	v_pk_fma_f32 v[140:141], v[142:143], v[130:131], v[140:141] op_sel:[0,0,1] op_sel_hi:[1,0,0]
	s_delay_alu instid0(VALU_DEP_1)
	v_mov_b32_e32 v145, v141
	ds_load_2addr_b64 v[140:143], v134 offset0:34 offset1:35
	v_pk_add_f32 v[104:105], v[104:105], v[146:147] neg_lo:[0,1] neg_hi:[0,1]
	v_pk_add_f32 v[48:49], v[48:49], v[144:145] neg_lo:[0,1] neg_hi:[0,1]
	s_wait_dscnt 0x0
	v_pk_mul_f32 v[144:145], v[140:141], v[132:133] op_sel:[0,1]
	s_delay_alu instid0(VALU_DEP_1) | instskip(SKIP_1) | instid1(VALU_DEP_1)
	v_pk_fma_f32 v[146:147], v[140:141], v[130:131], v[144:145] op_sel:[0,0,1] op_sel_hi:[1,1,0] neg_lo:[0,0,1] neg_hi:[0,0,1]
	v_pk_fma_f32 v[140:141], v[140:141], v[130:131], v[144:145] op_sel:[0,0,1] op_sel_hi:[1,0,0]
	v_mov_b32_e32 v147, v141
	v_pk_mul_f32 v[140:141], v[142:143], v[132:133] op_sel:[0,1]
	s_delay_alu instid0(VALU_DEP_1) | instskip(SKIP_1) | instid1(VALU_DEP_1)
	v_pk_fma_f32 v[144:145], v[142:143], v[130:131], v[140:141] op_sel:[0,0,1] op_sel_hi:[1,1,0] neg_lo:[0,0,1] neg_hi:[0,0,1]
	v_pk_fma_f32 v[140:141], v[142:143], v[130:131], v[140:141] op_sel:[0,0,1] op_sel_hi:[1,0,0]
	v_mov_b32_e32 v145, v141
	ds_load_2addr_b64 v[140:143], v134 offset0:36 offset1:37
	v_pk_add_f32 v[50:51], v[50:51], v[146:147] neg_lo:[0,1] neg_hi:[0,1]
	v_pk_add_f32 v[46:47], v[46:47], v[144:145] neg_lo:[0,1] neg_hi:[0,1]
	s_wait_dscnt 0x0
	v_dual_mul_f32 v144, v141, v133 :: v_dual_mul_f32 v146, v141, v130
	s_delay_alu instid0(VALU_DEP_1) | instskip(NEXT) | instid1(VALU_DEP_2)
	v_pk_fma_f32 v[144:145], v[140:141], v[72:73], v[144:145] op_sel_hi:[1,1,0] neg_lo:[0,0,1] neg_hi:[0,0,1]
	v_pk_fma_f32 v[140:141], v[140:141], v[72:73], v[146:147] op_sel:[1,0,0] op_sel_hi:[0,1,0]
	s_delay_alu instid0(VALU_DEP_1) | instskip(SKIP_1) | instid1(VALU_DEP_2)
	v_mov_b32_e32 v145, v141
	v_pk_mul_f32 v[140:141], v[142:143], v[132:133] op_sel:[0,1]
	v_pk_add_f32 v[102:103], v[102:103], v[144:145] neg_lo:[0,1] neg_hi:[0,1]
	s_delay_alu instid0(VALU_DEP_2) | instskip(SKIP_1) | instid1(VALU_DEP_1)
	v_pk_fma_f32 v[144:145], v[142:143], v[130:131], v[140:141] op_sel:[0,0,1] op_sel_hi:[1,1,0] neg_lo:[0,0,1] neg_hi:[0,0,1]
	v_pk_fma_f32 v[140:141], v[142:143], v[130:131], v[140:141] op_sel:[0,0,1] op_sel_hi:[1,0,0]
	v_mov_b32_e32 v145, v141
	ds_load_2addr_b64 v[140:143], v134 offset0:38 offset1:39
	v_pk_add_f32 v[40:41], v[40:41], v[144:145] neg_lo:[0,1] neg_hi:[0,1]
	s_wait_dscnt 0x0
	v_pk_mul_f32 v[144:145], v[140:141], v[132:133] op_sel:[0,1]
	s_delay_alu instid0(VALU_DEP_1) | instskip(SKIP_1) | instid1(VALU_DEP_1)
	v_pk_fma_f32 v[146:147], v[140:141], v[130:131], v[144:145] op_sel:[0,0,1] op_sel_hi:[1,1,0] neg_lo:[0,0,1] neg_hi:[0,0,1]
	v_pk_fma_f32 v[140:141], v[140:141], v[130:131], v[144:145] op_sel:[0,0,1] op_sel_hi:[1,0,0]
	v_mov_b32_e32 v147, v141
	v_pk_mul_f32 v[140:141], v[142:143], v[132:133] op_sel:[0,1]
	s_delay_alu instid0(VALU_DEP_2) | instskip(NEXT) | instid1(VALU_DEP_2)
	v_pk_add_f32 v[42:43], v[42:43], v[146:147] neg_lo:[0,1] neg_hi:[0,1]
	v_pk_fma_f32 v[144:145], v[142:143], v[130:131], v[140:141] op_sel:[0,0,1] op_sel_hi:[1,1,0] neg_lo:[0,0,1] neg_hi:[0,0,1]
	v_pk_fma_f32 v[140:141], v[142:143], v[130:131], v[140:141] op_sel:[0,0,1] op_sel_hi:[1,0,0]
	s_delay_alu instid0(VALU_DEP_1) | instskip(SKIP_4) | instid1(VALU_DEP_1)
	v_mov_b32_e32 v145, v141
	ds_load_2addr_b64 v[140:143], v134 offset0:40 offset1:41
	v_pk_add_f32 v[38:39], v[38:39], v[144:145] neg_lo:[0,1] neg_hi:[0,1]
	s_wait_dscnt 0x0
	v_pk_mul_f32 v[144:145], v[140:141], v[132:133] op_sel:[0,1]
	v_pk_fma_f32 v[146:147], v[140:141], v[130:131], v[144:145] op_sel:[0,0,1] op_sel_hi:[1,1,0] neg_lo:[0,0,1] neg_hi:[0,0,1]
	v_pk_fma_f32 v[140:141], v[140:141], v[130:131], v[144:145] op_sel:[0,0,1] op_sel_hi:[1,0,0]
	v_dual_mul_f32 v144, v143, v133 :: v_dual_mov_b32 v140, v143
	s_delay_alu instid0(VALU_DEP_2) | instskip(NEXT) | instid1(VALU_DEP_2)
	v_dual_mov_b32 v147, v141 :: v_dual_mov_b32 v141, v142
	v_pk_fma_f32 v[144:145], v[142:143], v[72:73], v[144:145] op_sel_hi:[1,1,0] neg_lo:[0,0,1] neg_hi:[0,0,1]
	v_mul_f32_e32 v142, v143, v130
	s_delay_alu instid0(VALU_DEP_3) | instskip(NEXT) | instid1(VALU_DEP_2)
	v_pk_add_f32 v[100:101], v[100:101], v[146:147] neg_lo:[0,1] neg_hi:[0,1]
	v_pk_fma_f32 v[140:141], v[140:141], v[72:73], v[142:143] op_sel_hi:[1,1,0]
	s_delay_alu instid0(VALU_DEP_1) | instskip(SKIP_4) | instid1(VALU_DEP_1)
	v_mov_b32_e32 v145, v141
	ds_load_2addr_b64 v[140:143], v134 offset0:42 offset1:43
	v_pk_add_f32 v[32:33], v[32:33], v[144:145] neg_lo:[0,1] neg_hi:[0,1]
	s_wait_dscnt 0x0
	v_pk_mul_f32 v[144:145], v[140:141], v[132:133] op_sel:[0,1]
	v_pk_fma_f32 v[146:147], v[140:141], v[130:131], v[144:145] op_sel:[0,0,1] op_sel_hi:[1,1,0] neg_lo:[0,0,1] neg_hi:[0,0,1]
	v_pk_fma_f32 v[140:141], v[140:141], v[130:131], v[144:145] op_sel:[0,0,1] op_sel_hi:[1,0,0]
	s_delay_alu instid0(VALU_DEP_1) | instskip(SKIP_1) | instid1(VALU_DEP_1)
	v_mov_b32_e32 v147, v141
	v_pk_mul_f32 v[140:141], v[142:143], v[132:133] op_sel:[0,1]
	v_pk_fma_f32 v[144:145], v[142:143], v[130:131], v[140:141] op_sel:[0,0,1] op_sel_hi:[1,1,0] neg_lo:[0,0,1] neg_hi:[0,0,1]
	v_pk_fma_f32 v[140:141], v[142:143], v[130:131], v[140:141] op_sel:[0,0,1] op_sel_hi:[1,0,0]
	s_delay_alu instid0(VALU_DEP_1)
	v_mov_b32_e32 v145, v141
	ds_load_2addr_b64 v[140:143], v134 offset0:44 offset1:45
	v_pk_add_f32 v[34:35], v[34:35], v[146:147] neg_lo:[0,1] neg_hi:[0,1]
	v_pk_add_f32 v[30:31], v[30:31], v[144:145] neg_lo:[0,1] neg_hi:[0,1]
	s_wait_dscnt 0x0
	v_pk_mul_f32 v[144:145], v[140:141], v[132:133] op_sel:[0,1]
	s_delay_alu instid0(VALU_DEP_1) | instskip(SKIP_1) | instid1(VALU_DEP_1)
	v_pk_fma_f32 v[146:147], v[140:141], v[130:131], v[144:145] op_sel:[0,0,1] op_sel_hi:[1,1,0] neg_lo:[0,0,1] neg_hi:[0,0,1]
	v_pk_fma_f32 v[140:141], v[140:141], v[130:131], v[144:145] op_sel:[0,0,1] op_sel_hi:[1,0,0]
	v_mov_b32_e32 v147, v141
	v_pk_mul_f32 v[140:141], v[142:143], v[132:133] op_sel:[0,1]
	s_delay_alu instid0(VALU_DEP_1) | instskip(SKIP_1) | instid1(VALU_DEP_1)
	v_pk_fma_f32 v[144:145], v[142:143], v[130:131], v[140:141] op_sel:[0,0,1] op_sel_hi:[1,1,0] neg_lo:[0,0,1] neg_hi:[0,0,1]
	v_pk_fma_f32 v[140:141], v[142:143], v[130:131], v[140:141] op_sel:[0,0,1] op_sel_hi:[1,0,0]
	v_mov_b32_e32 v145, v141
	ds_load_2addr_b64 v[140:143], v134 offset0:46 offset1:47
	v_pk_add_f32 v[98:99], v[98:99], v[146:147] neg_lo:[0,1] neg_hi:[0,1]
	v_pk_add_f32 v[24:25], v[24:25], v[144:145] neg_lo:[0,1] neg_hi:[0,1]
	s_wait_dscnt 0x0
	v_dual_mul_f32 v144, v141, v133 :: v_dual_mul_f32 v146, v141, v130
	s_delay_alu instid0(VALU_DEP_1) | instskip(NEXT) | instid1(VALU_DEP_2)
	v_pk_fma_f32 v[144:145], v[140:141], v[72:73], v[144:145] op_sel_hi:[1,1,0] neg_lo:[0,0,1] neg_hi:[0,0,1]
	v_pk_fma_f32 v[140:141], v[140:141], v[72:73], v[146:147] op_sel:[1,0,0] op_sel_hi:[0,1,0]
	s_delay_alu instid0(VALU_DEP_1) | instskip(SKIP_1) | instid1(VALU_DEP_2)
	v_mov_b32_e32 v145, v141
	v_pk_mul_f32 v[140:141], v[142:143], v[132:133] op_sel:[0,1]
	v_pk_add_f32 v[28:29], v[28:29], v[144:145] neg_lo:[0,1] neg_hi:[0,1]
	s_delay_alu instid0(VALU_DEP_2) | instskip(SKIP_1) | instid1(VALU_DEP_1)
	v_pk_fma_f32 v[144:145], v[142:143], v[130:131], v[140:141] op_sel:[0,0,1] op_sel_hi:[1,1,0] neg_lo:[0,0,1] neg_hi:[0,0,1]
	v_pk_fma_f32 v[140:141], v[142:143], v[130:131], v[140:141] op_sel:[0,0,1] op_sel_hi:[1,0,0]
	v_mov_b32_e32 v145, v141
	ds_load_2addr_b64 v[140:143], v134 offset0:48 offset1:49
	v_pk_add_f32 v[22:23], v[22:23], v[144:145] neg_lo:[0,1] neg_hi:[0,1]
	s_wait_dscnt 0x0
	v_pk_mul_f32 v[144:145], v[140:141], v[132:133] op_sel:[0,1]
	s_delay_alu instid0(VALU_DEP_1) | instskip(SKIP_1) | instid1(VALU_DEP_1)
	v_pk_fma_f32 v[146:147], v[140:141], v[130:131], v[144:145] op_sel:[0,0,1] op_sel_hi:[1,1,0] neg_lo:[0,0,1] neg_hi:[0,0,1]
	v_pk_fma_f32 v[140:141], v[140:141], v[130:131], v[144:145] op_sel:[0,0,1] op_sel_hi:[1,0,0]
	v_mov_b32_e32 v147, v141
	v_pk_mul_f32 v[140:141], v[142:143], v[132:133] op_sel:[0,1]
	s_delay_alu instid0(VALU_DEP_2) | instskip(NEXT) | instid1(VALU_DEP_2)
	v_pk_add_f32 v[96:97], v[96:97], v[146:147] neg_lo:[0,1] neg_hi:[0,1]
	v_pk_fma_f32 v[144:145], v[142:143], v[130:131], v[140:141] op_sel:[0,0,1] op_sel_hi:[1,1,0] neg_lo:[0,0,1] neg_hi:[0,0,1]
	v_pk_fma_f32 v[140:141], v[142:143], v[130:131], v[140:141] op_sel:[0,0,1] op_sel_hi:[1,0,0]
	s_delay_alu instid0(VALU_DEP_1) | instskip(SKIP_4) | instid1(VALU_DEP_1)
	v_mov_b32_e32 v145, v141
	ds_load_2addr_b64 v[140:143], v134 offset0:50 offset1:51
	v_pk_add_f32 v[18:19], v[18:19], v[144:145] neg_lo:[0,1] neg_hi:[0,1]
	s_wait_dscnt 0x0
	v_pk_mul_f32 v[144:145], v[140:141], v[132:133] op_sel:[0,1]
	v_pk_fma_f32 v[146:147], v[140:141], v[130:131], v[144:145] op_sel:[0,0,1] op_sel_hi:[1,1,0] neg_lo:[0,0,1] neg_hi:[0,0,1]
	v_pk_fma_f32 v[140:141], v[140:141], v[130:131], v[144:145] op_sel:[0,0,1] op_sel_hi:[1,0,0]
	v_dual_mul_f32 v144, v143, v133 :: v_dual_mov_b32 v140, v143
	s_delay_alu instid0(VALU_DEP_2) | instskip(NEXT) | instid1(VALU_DEP_2)
	v_dual_mov_b32 v147, v141 :: v_dual_mov_b32 v141, v142
	v_pk_fma_f32 v[144:145], v[142:143], v[72:73], v[144:145] op_sel_hi:[1,1,0] neg_lo:[0,0,1] neg_hi:[0,0,1]
	v_mul_f32_e32 v142, v143, v130
	s_delay_alu instid0(VALU_DEP_3) | instskip(NEXT) | instid1(VALU_DEP_2)
	v_pk_add_f32 v[20:21], v[20:21], v[146:147] neg_lo:[0,1] neg_hi:[0,1]
	v_pk_fma_f32 v[140:141], v[140:141], v[72:73], v[142:143] op_sel_hi:[1,1,0]
	s_delay_alu instid0(VALU_DEP_1) | instskip(SKIP_4) | instid1(VALU_DEP_1)
	v_mov_b32_e32 v145, v141
	ds_load_2addr_b64 v[140:143], v134 offset0:52 offset1:53
	v_pk_add_f32 v[36:37], v[36:37], v[144:145] neg_lo:[0,1] neg_hi:[0,1]
	s_wait_dscnt 0x0
	v_pk_mul_f32 v[144:145], v[140:141], v[132:133] op_sel:[0,1]
	v_pk_fma_f32 v[146:147], v[140:141], v[130:131], v[144:145] op_sel:[0,0,1] op_sel_hi:[1,1,0] neg_lo:[0,0,1] neg_hi:[0,0,1]
	v_pk_fma_f32 v[140:141], v[140:141], v[130:131], v[144:145] op_sel:[0,0,1] op_sel_hi:[1,0,0]
	s_delay_alu instid0(VALU_DEP_1) | instskip(SKIP_1) | instid1(VALU_DEP_1)
	v_mov_b32_e32 v147, v141
	v_pk_mul_f32 v[140:141], v[142:143], v[132:133] op_sel:[0,1]
	v_pk_fma_f32 v[144:145], v[142:143], v[130:131], v[140:141] op_sel:[0,0,1] op_sel_hi:[1,1,0] neg_lo:[0,0,1] neg_hi:[0,0,1]
	v_pk_fma_f32 v[140:141], v[142:143], v[130:131], v[140:141] op_sel:[0,0,1] op_sel_hi:[1,0,0]
	s_delay_alu instid0(VALU_DEP_1)
	v_mov_b32_e32 v145, v141
	ds_load_2addr_b64 v[140:143], v134 offset0:54 offset1:55
	v_pk_add_f32 v[86:87], v[86:87], v[146:147] neg_lo:[0,1] neg_hi:[0,1]
	v_pk_add_f32 v[10:11], v[10:11], v[144:145] neg_lo:[0,1] neg_hi:[0,1]
	s_wait_dscnt 0x0
	v_pk_mul_f32 v[144:145], v[140:141], v[132:133] op_sel:[0,1]
	s_delay_alu instid0(VALU_DEP_1) | instskip(SKIP_1) | instid1(VALU_DEP_1)
	v_pk_fma_f32 v[146:147], v[140:141], v[130:131], v[144:145] op_sel:[0,0,1] op_sel_hi:[1,1,0] neg_lo:[0,0,1] neg_hi:[0,0,1]
	v_pk_fma_f32 v[140:141], v[140:141], v[130:131], v[144:145] op_sel:[0,0,1] op_sel_hi:[1,0,0]
	v_mov_b32_e32 v147, v141
	v_pk_mul_f32 v[140:141], v[142:143], v[132:133] op_sel:[0,1]
	s_delay_alu instid0(VALU_DEP_1) | instskip(SKIP_1) | instid1(VALU_DEP_1)
	v_pk_fma_f32 v[144:145], v[142:143], v[130:131], v[140:141] op_sel:[0,0,1] op_sel_hi:[1,1,0] neg_lo:[0,0,1] neg_hi:[0,0,1]
	v_pk_fma_f32 v[140:141], v[142:143], v[130:131], v[140:141] op_sel:[0,0,1] op_sel_hi:[1,0,0]
	v_mov_b32_e32 v145, v141
	ds_load_2addr_b64 v[140:143], v134 offset0:56 offset1:57
	v_pk_add_f32 v[12:13], v[12:13], v[146:147] neg_lo:[0,1] neg_hi:[0,1]
	v_pk_add_f32 v[8:9], v[8:9], v[144:145] neg_lo:[0,1] neg_hi:[0,1]
	s_wait_dscnt 0x0
	v_dual_mul_f32 v144, v141, v133 :: v_dual_mul_f32 v146, v141, v130
	s_delay_alu instid0(VALU_DEP_1) | instskip(NEXT) | instid1(VALU_DEP_2)
	v_pk_fma_f32 v[144:145], v[140:141], v[72:73], v[144:145] op_sel_hi:[1,1,0] neg_lo:[0,0,1] neg_hi:[0,0,1]
	v_pk_fma_f32 v[140:141], v[140:141], v[72:73], v[146:147] op_sel:[1,0,0] op_sel_hi:[0,1,0]
	s_delay_alu instid0(VALU_DEP_1) | instskip(SKIP_1) | instid1(VALU_DEP_2)
	v_mov_b32_e32 v145, v141
	v_pk_mul_f32 v[140:141], v[142:143], v[132:133] op_sel:[0,1]
	v_pk_add_f32 v[44:45], v[44:45], v[144:145] neg_lo:[0,1] neg_hi:[0,1]
	s_delay_alu instid0(VALU_DEP_2) | instskip(SKIP_1) | instid1(VALU_DEP_1)
	v_pk_fma_f32 v[144:145], v[142:143], v[130:131], v[140:141] op_sel:[0,0,1] op_sel_hi:[1,1,0] neg_lo:[0,0,1] neg_hi:[0,0,1]
	v_pk_fma_f32 v[140:141], v[142:143], v[130:131], v[140:141] op_sel:[0,0,1] op_sel_hi:[1,0,0]
	v_mov_b32_e32 v145, v141
	ds_load_2addr_b64 v[140:143], v134 offset0:58 offset1:59
	v_pk_add_f32 v[6:7], v[6:7], v[144:145] neg_lo:[0,1] neg_hi:[0,1]
	s_wait_dscnt 0x0
	v_pk_mul_f32 v[144:145], v[140:141], v[132:133] op_sel:[0,1]
	s_delay_alu instid0(VALU_DEP_1) | instskip(SKIP_1) | instid1(VALU_DEP_1)
	v_pk_fma_f32 v[146:147], v[140:141], v[130:131], v[144:145] op_sel:[0,0,1] op_sel_hi:[1,1,0] neg_lo:[0,0,1] neg_hi:[0,0,1]
	v_pk_fma_f32 v[140:141], v[140:141], v[130:131], v[144:145] op_sel:[0,0,1] op_sel_hi:[1,0,0]
	v_mov_b32_e32 v147, v141
	v_pk_mul_f32 v[140:141], v[142:143], v[132:133] op_sel:[0,1]
	s_delay_alu instid0(VALU_DEP_2) | instskip(NEXT) | instid1(VALU_DEP_2)
	v_pk_add_f32 v[26:27], v[26:27], v[146:147] neg_lo:[0,1] neg_hi:[0,1]
	v_pk_fma_f32 v[144:145], v[142:143], v[130:131], v[140:141] op_sel:[0,0,1] op_sel_hi:[1,1,0] neg_lo:[0,0,1] neg_hi:[0,0,1]
	v_pk_fma_f32 v[140:141], v[142:143], v[130:131], v[140:141] op_sel:[0,0,1] op_sel_hi:[1,0,0]
	s_delay_alu instid0(VALU_DEP_1)
	v_mov_b32_e32 v145, v141
	ds_load_2addr_b64 v[140:143], v134 offset0:60 offset1:61
	v_pk_add_f32 v[16:17], v[16:17], v[144:145] neg_lo:[0,1] neg_hi:[0,1]
	s_wait_dscnt 0x0
	v_pk_mul_f32 v[144:145], v[140:141], v[132:133] op_sel:[0,1]
	v_pk_mul_f32 v[132:133], v[142:143], v[132:133] op_sel:[0,1]
	s_delay_alu instid0(VALU_DEP_2) | instskip(SKIP_1) | instid1(VALU_DEP_1)
	v_pk_fma_f32 v[146:147], v[140:141], v[130:131], v[144:145] op_sel:[0,0,1] op_sel_hi:[1,1,0] neg_lo:[0,0,1] neg_hi:[0,0,1]
	v_pk_fma_f32 v[140:141], v[140:141], v[130:131], v[144:145] op_sel:[0,0,1] op_sel_hi:[1,0,0]
	v_mov_b32_e32 v147, v141
	s_delay_alu instid0(VALU_DEP_4) | instskip(SKIP_1) | instid1(VALU_DEP_3)
	v_pk_fma_f32 v[140:141], v[142:143], v[130:131], v[132:133] op_sel:[0,0,1] op_sel_hi:[1,1,0] neg_lo:[0,0,1] neg_hi:[0,0,1]
	v_pk_fma_f32 v[130:131], v[142:143], v[130:131], v[132:133] op_sel:[0,0,1] op_sel_hi:[1,0,0]
	v_pk_add_f32 v[14:15], v[14:15], v[146:147] neg_lo:[0,1] neg_hi:[0,1]
	s_delay_alu instid0(VALU_DEP_2) | instskip(NEXT) | instid1(VALU_DEP_1)
	v_mov_b32_e32 v141, v131
	v_pk_add_f32 v[128:129], v[128:129], v[140:141] neg_lo:[0,1] neg_hi:[0,1]
.LBB122_377:
	s_or_b32 exec_lo, exec_lo, s0
	v_lshl_add_u32 v130, v138, 3, v134
	s_barrier_signal -1
	s_barrier_wait -1
	ds_store_b64 v130, v[74:75]
	s_wait_dscnt 0x0
	s_barrier_signal -1
	s_barrier_wait -1
	ds_load_b64 v[132:133], v134 offset:144
	v_mov_b32_e32 v130, 18
	s_cmp_lt_i32 s18, 20
	s_cbranch_scc1 .LBB122_380
; %bb.378:
	v_add3_u32 v131, v135, 0, 0x98
	v_mov_b32_e32 v130, 18
	s_mov_b32 s0, 19
.LBB122_379:                            ; =>This Inner Loop Header: Depth=1
	ds_load_b64 v[140:141], v131
	s_wait_dscnt 0x1
	v_cmp_gt_f32_e32 vcc_lo, 0, v132
	v_cndmask_b32_e64 v142, v132, -v132, vcc_lo
	v_cmp_gt_f32_e32 vcc_lo, 0, v133
	v_cndmask_b32_e64 v144, v133, -v133, vcc_lo
	s_wait_dscnt 0x0
	v_cmp_gt_f32_e32 vcc_lo, 0, v140
	v_cndmask_b32_e64 v143, v140, -v140, vcc_lo
	v_cmp_gt_f32_e32 vcc_lo, 0, v141
	v_cndmask_b32_e64 v145, v141, -v141, vcc_lo
	s_delay_alu instid0(VALU_DEP_1) | instskip(NEXT) | instid1(VALU_DEP_1)
	v_pk_add_f32 v[142:143], v[142:143], v[144:145]
	v_cmp_lt_f32_e32 vcc_lo, v142, v143
	v_dual_add_nc_u32 v131, 8, v131 :: v_dual_cndmask_b32 v133, v133, v141, vcc_lo
	v_cndmask_b32_e32 v132, v132, v140, vcc_lo
	v_cndmask_b32_e64 v130, v130, s0, vcc_lo
	s_add_co_i32 s0, s0, 1
	s_delay_alu instid0(SALU_CYCLE_1)
	s_cmp_lg_u32 s18, s0
	s_cbranch_scc1 .LBB122_379
.LBB122_380:
	s_wait_dscnt 0x0
	v_cmp_eq_f32_e32 vcc_lo, 0, v132
	v_cmp_eq_f32_e64 s0, 0, v133
	s_and_b32 s0, vcc_lo, s0
	s_delay_alu instid0(SALU_CYCLE_1) | instskip(NEXT) | instid1(SALU_CYCLE_1)
	s_and_saveexec_b32 s1, s0
	s_xor_b32 s0, exec_lo, s1
; %bb.381:
	v_cmp_ne_u32_e32 vcc_lo, 0, v136
	v_cndmask_b32_e32 v136, 19, v136, vcc_lo
; %bb.382:
	s_and_not1_saveexec_b32 s0, s0
	s_cbranch_execz .LBB122_388
; %bb.383:
	v_cmp_ngt_f32_e64 s1, |v132|, |v133|
	s_and_saveexec_b32 s12, s1
	s_delay_alu instid0(SALU_CYCLE_1)
	s_xor_b32 s1, exec_lo, s12
	s_cbranch_execz .LBB122_385
; %bb.384:
	v_div_scale_f32 v131, null, v133, v133, v132
	v_div_scale_f32 v141, vcc_lo, v132, v133, v132
	s_delay_alu instid0(VALU_DEP_2) | instskip(SKIP_1) | instid1(TRANS32_DEP_1)
	v_rcp_f32_e32 v139, v131
	v_nop
	v_fma_f32 v140, -v131, v139, 1.0
	s_delay_alu instid0(VALU_DEP_1) | instskip(NEXT) | instid1(VALU_DEP_1)
	v_fmac_f32_e32 v139, v140, v139
	v_mul_f32_e32 v140, v141, v139
	s_delay_alu instid0(VALU_DEP_1) | instskip(NEXT) | instid1(VALU_DEP_1)
	v_fma_f32 v142, -v131, v140, v141
	v_fmac_f32_e32 v140, v142, v139
	s_delay_alu instid0(VALU_DEP_1) | instskip(NEXT) | instid1(VALU_DEP_1)
	v_fma_f32 v131, -v131, v140, v141
	v_div_fmas_f32 v131, v131, v139, v140
	s_delay_alu instid0(VALU_DEP_1) | instskip(NEXT) | instid1(VALU_DEP_1)
	v_div_fixup_f32 v131, v131, v133, v132
	v_fmac_f32_e32 v133, v132, v131
	s_delay_alu instid0(VALU_DEP_1) | instskip(SKIP_1) | instid1(VALU_DEP_2)
	v_div_scale_f32 v132, null, v133, v133, 1.0
	v_div_scale_f32 v141, vcc_lo, 1.0, v133, 1.0
	v_rcp_f32_e32 v139, v132
	v_nop
	s_delay_alu instid0(TRANS32_DEP_1) | instskip(NEXT) | instid1(VALU_DEP_1)
	v_fma_f32 v140, -v132, v139, 1.0
	v_fmac_f32_e32 v139, v140, v139
	s_delay_alu instid0(VALU_DEP_1) | instskip(NEXT) | instid1(VALU_DEP_1)
	v_mul_f32_e32 v140, v141, v139
	v_fma_f32 v142, -v132, v140, v141
	s_delay_alu instid0(VALU_DEP_1) | instskip(NEXT) | instid1(VALU_DEP_1)
	v_fmac_f32_e32 v140, v142, v139
	v_fma_f32 v132, -v132, v140, v141
	s_delay_alu instid0(VALU_DEP_1) | instskip(NEXT) | instid1(VALU_DEP_1)
	v_div_fmas_f32 v132, v132, v139, v140
	v_div_fixup_f32 v133, v132, v133, 1.0
	s_delay_alu instid0(VALU_DEP_1)
	v_mul_f32_e32 v132, v131, v133
	v_xor_b32_e32 v133, 0x80000000, v133
.LBB122_385:
	s_and_not1_saveexec_b32 s1, s1
	s_cbranch_execz .LBB122_387
; %bb.386:
	s_delay_alu instid0(VALU_DEP_1) | instskip(SKIP_1) | instid1(VALU_DEP_2)
	v_div_scale_f32 v131, null, v132, v132, v133
	v_div_scale_f32 v141, vcc_lo, v133, v132, v133
	v_rcp_f32_e32 v139, v131
	v_nop
	s_delay_alu instid0(TRANS32_DEP_1) | instskip(NEXT) | instid1(VALU_DEP_1)
	v_fma_f32 v140, -v131, v139, 1.0
	v_fmac_f32_e32 v139, v140, v139
	s_delay_alu instid0(VALU_DEP_1) | instskip(NEXT) | instid1(VALU_DEP_1)
	v_mul_f32_e32 v140, v141, v139
	v_fma_f32 v142, -v131, v140, v141
	s_delay_alu instid0(VALU_DEP_1) | instskip(NEXT) | instid1(VALU_DEP_1)
	v_fmac_f32_e32 v140, v142, v139
	v_fma_f32 v131, -v131, v140, v141
	s_delay_alu instid0(VALU_DEP_1) | instskip(NEXT) | instid1(VALU_DEP_1)
	v_div_fmas_f32 v131, v131, v139, v140
	v_div_fixup_f32 v131, v131, v132, v133
	s_delay_alu instid0(VALU_DEP_1) | instskip(NEXT) | instid1(VALU_DEP_1)
	v_fmac_f32_e32 v132, v133, v131
	v_div_scale_f32 v133, null, v132, v132, 1.0
	s_delay_alu instid0(VALU_DEP_1) | instskip(SKIP_1) | instid1(TRANS32_DEP_1)
	v_rcp_f32_e32 v139, v133
	v_nop
	v_fma_f32 v140, -v133, v139, 1.0
	s_delay_alu instid0(VALU_DEP_1) | instskip(SKIP_1) | instid1(VALU_DEP_1)
	v_fmac_f32_e32 v139, v140, v139
	v_div_scale_f32 v140, vcc_lo, 1.0, v132, 1.0
	v_mul_f32_e32 v141, v140, v139
	s_delay_alu instid0(VALU_DEP_1) | instskip(NEXT) | instid1(VALU_DEP_1)
	v_fma_f32 v142, -v133, v141, v140
	v_fmac_f32_e32 v141, v142, v139
	s_delay_alu instid0(VALU_DEP_1) | instskip(NEXT) | instid1(VALU_DEP_1)
	v_fma_f32 v133, -v133, v141, v140
	v_div_fmas_f32 v133, v133, v139, v141
	s_delay_alu instid0(VALU_DEP_1) | instskip(NEXT) | instid1(VALU_DEP_1)
	v_div_fixup_f32 v132, v133, v132, 1.0
	v_mul_f32_e64 v133, v131, -v132
.LBB122_387:
	s_or_b32 exec_lo, exec_lo, s1
.LBB122_388:
	s_delay_alu instid0(SALU_CYCLE_1) | instskip(NEXT) | instid1(SALU_CYCLE_1)
	s_or_b32 exec_lo, exec_lo, s0
	s_mov_b32 s0, exec_lo
	v_cmpx_ne_u32_e64 v138, v130
	s_xor_b32 s0, exec_lo, s0
	s_cbranch_execz .LBB122_394
; %bb.389:
	s_mov_b32 s1, exec_lo
	v_cmpx_eq_u32_e32 18, v138
	s_cbranch_execz .LBB122_393
; %bb.390:
	v_cmp_ne_u32_e32 vcc_lo, 18, v130
	s_xor_b32 s12, s16, -1
	s_delay_alu instid0(SALU_CYCLE_1) | instskip(NEXT) | instid1(SALU_CYCLE_1)
	s_and_b32 s13, s12, vcc_lo
	s_and_saveexec_b32 s12, s13
	s_cbranch_execz .LBB122_392
; %bb.391:
	v_ashrrev_i32_e32 v131, 31, v130
	s_delay_alu instid0(VALU_DEP_1)
	v_lshl_add_u64 v[138:139], v[130:131], 2, v[4:5]
	s_clause 0x1
	global_load_b32 v131, v[138:139], off
	global_load_b32 v137, v[4:5], off offset:72
	s_wait_loadcnt 0x1
	global_store_b32 v[4:5], v131, off offset:72
	s_wait_loadcnt 0x0
	global_store_b32 v[138:139], v137, off
.LBB122_392:
	s_wait_xcnt 0x0
	s_or_b32 exec_lo, exec_lo, s12
	v_dual_mov_b32 v138, v130 :: v_dual_mov_b32 v137, v130
.LBB122_393:
	s_or_b32 exec_lo, exec_lo, s1
.LBB122_394:
	s_and_not1_saveexec_b32 s0, s0
	s_cbranch_execz .LBB122_396
; %bb.395:
	v_mov_b32_e32 v138, 18
	ds_store_2addr_b64 v134, v[70:71], v[110:111] offset0:19 offset1:20
	ds_store_2addr_b64 v134, v[66:67], v[68:69] offset0:21 offset1:22
	;; [unrolled: 1-line block ×21, first 2 shown]
	ds_store_b64 v134, v[128:129] offset:488
.LBB122_396:
	s_or_b32 exec_lo, exec_lo, s0
	s_delay_alu instid0(SALU_CYCLE_1)
	s_mov_b32 s0, exec_lo
	s_wait_storecnt_dscnt 0x0
	s_barrier_signal -1
	s_barrier_wait -1
	v_cmpx_lt_i32_e32 18, v138
	s_cbranch_execz .LBB122_398
; %bb.397:
	v_pk_mul_f32 v[140:141], v[132:133], v[74:75] op_sel:[1,1] op_sel_hi:[0,1]
	s_delay_alu instid0(VALU_DEP_1)
	v_pk_fma_f32 v[130:131], v[132:133], v[74:75], v[140:141] op_sel_hi:[1,0,1] neg_lo:[0,0,1] neg_hi:[0,0,1]
	v_pk_fma_f32 v[132:133], v[132:133], v[74:75], v[140:141] op_sel_hi:[1,0,1]
	ds_load_2addr_b64 v[140:143], v134 offset0:19 offset1:20
	v_dual_mov_b32 v74, v130 :: v_dual_mov_b32 v75, v133
	s_wait_dscnt 0x0
	v_pk_mul_f32 v[144:145], v[140:141], v[132:133] op_sel:[0,1]
	s_delay_alu instid0(VALU_DEP_1) | instskip(SKIP_1) | instid1(VALU_DEP_1)
	v_pk_fma_f32 v[146:147], v[140:141], v[130:131], v[144:145] op_sel:[0,0,1] op_sel_hi:[1,1,0] neg_lo:[0,0,1] neg_hi:[0,0,1]
	v_pk_fma_f32 v[140:141], v[140:141], v[130:131], v[144:145] op_sel:[0,0,1] op_sel_hi:[1,0,0]
	v_mov_b32_e32 v147, v141
	v_pk_mul_f32 v[140:141], v[142:143], v[132:133] op_sel:[0,1]
	s_delay_alu instid0(VALU_DEP_1) | instskip(SKIP_1) | instid1(VALU_DEP_1)
	v_pk_fma_f32 v[144:145], v[142:143], v[130:131], v[140:141] op_sel:[0,0,1] op_sel_hi:[1,1,0] neg_lo:[0,0,1] neg_hi:[0,0,1]
	v_pk_fma_f32 v[140:141], v[142:143], v[130:131], v[140:141] op_sel:[0,0,1] op_sel_hi:[1,0,0]
	v_mov_b32_e32 v145, v141
	ds_load_2addr_b64 v[140:143], v134 offset0:21 offset1:22
	v_pk_add_f32 v[70:71], v[70:71], v[146:147] neg_lo:[0,1] neg_hi:[0,1]
	v_pk_add_f32 v[110:111], v[110:111], v[144:145] neg_lo:[0,1] neg_hi:[0,1]
	s_wait_dscnt 0x0
	v_pk_mul_f32 v[144:145], v[140:141], v[132:133] op_sel:[0,1]
	s_delay_alu instid0(VALU_DEP_1) | instskip(SKIP_2) | instid1(VALU_DEP_2)
	v_pk_fma_f32 v[146:147], v[140:141], v[130:131], v[144:145] op_sel:[0,0,1] op_sel_hi:[1,1,0] neg_lo:[0,0,1] neg_hi:[0,0,1]
	v_pk_fma_f32 v[140:141], v[140:141], v[130:131], v[144:145] op_sel:[0,0,1] op_sel_hi:[1,0,0]
	v_dual_mul_f32 v144, v143, v133 :: v_dual_mov_b32 v140, v143
	v_dual_mov_b32 v147, v141 :: v_dual_mov_b32 v141, v142
	s_delay_alu instid0(VALU_DEP_2) | instskip(SKIP_1) | instid1(VALU_DEP_3)
	v_pk_fma_f32 v[144:145], v[142:143], v[74:75], v[144:145] op_sel_hi:[1,1,0] neg_lo:[0,0,1] neg_hi:[0,0,1]
	v_mul_f32_e32 v142, v143, v130
	v_pk_add_f32 v[66:67], v[66:67], v[146:147] neg_lo:[0,1] neg_hi:[0,1]
	s_delay_alu instid0(VALU_DEP_2) | instskip(NEXT) | instid1(VALU_DEP_1)
	v_pk_fma_f32 v[140:141], v[140:141], v[74:75], v[142:143] op_sel_hi:[1,1,0]
	v_mov_b32_e32 v145, v141
	ds_load_2addr_b64 v[140:143], v134 offset0:23 offset1:24
	v_pk_add_f32 v[68:69], v[68:69], v[144:145] neg_lo:[0,1] neg_hi:[0,1]
	s_wait_dscnt 0x0
	v_pk_mul_f32 v[144:145], v[140:141], v[132:133] op_sel:[0,1]
	s_delay_alu instid0(VALU_DEP_1) | instskip(SKIP_1) | instid1(VALU_DEP_1)
	v_pk_fma_f32 v[146:147], v[140:141], v[130:131], v[144:145] op_sel:[0,0,1] op_sel_hi:[1,1,0] neg_lo:[0,0,1] neg_hi:[0,0,1]
	v_pk_fma_f32 v[140:141], v[140:141], v[130:131], v[144:145] op_sel:[0,0,1] op_sel_hi:[1,0,0]
	v_mov_b32_e32 v147, v141
	v_pk_mul_f32 v[140:141], v[142:143], v[132:133] op_sel:[0,1]
	s_delay_alu instid0(VALU_DEP_1) | instskip(SKIP_1) | instid1(VALU_DEP_1)
	v_pk_fma_f32 v[144:145], v[142:143], v[130:131], v[140:141] op_sel:[0,0,1] op_sel_hi:[1,1,0] neg_lo:[0,0,1] neg_hi:[0,0,1]
	v_pk_fma_f32 v[140:141], v[142:143], v[130:131], v[140:141] op_sel:[0,0,1] op_sel_hi:[1,0,0]
	v_mov_b32_e32 v145, v141
	ds_load_2addr_b64 v[140:143], v134 offset0:25 offset1:26
	v_pk_add_f32 v[64:65], v[64:65], v[146:147] neg_lo:[0,1] neg_hi:[0,1]
	v_pk_add_f32 v[108:109], v[108:109], v[144:145] neg_lo:[0,1] neg_hi:[0,1]
	s_wait_dscnt 0x0
	v_pk_mul_f32 v[144:145], v[140:141], v[132:133] op_sel:[0,1]
	s_delay_alu instid0(VALU_DEP_1) | instskip(SKIP_1) | instid1(VALU_DEP_1)
	v_pk_fma_f32 v[146:147], v[140:141], v[130:131], v[144:145] op_sel:[0,0,1] op_sel_hi:[1,1,0] neg_lo:[0,0,1] neg_hi:[0,0,1]
	v_pk_fma_f32 v[140:141], v[140:141], v[130:131], v[144:145] op_sel:[0,0,1] op_sel_hi:[1,0,0]
	v_mov_b32_e32 v147, v141
	v_pk_mul_f32 v[140:141], v[142:143], v[132:133] op_sel:[0,1]
	s_delay_alu instid0(VALU_DEP_1) | instskip(SKIP_1) | instid1(VALU_DEP_1)
	v_pk_fma_f32 v[144:145], v[142:143], v[130:131], v[140:141] op_sel:[0,0,1] op_sel_hi:[1,1,0] neg_lo:[0,0,1] neg_hi:[0,0,1]
	v_pk_fma_f32 v[140:141], v[142:143], v[130:131], v[140:141] op_sel:[0,0,1] op_sel_hi:[1,0,0]
	v_mov_b32_e32 v145, v141
	ds_load_2addr_b64 v[140:143], v134 offset0:27 offset1:28
	v_pk_add_f32 v[60:61], v[60:61], v[146:147] neg_lo:[0,1] neg_hi:[0,1]
	v_pk_add_f32 v[62:63], v[62:63], v[144:145] neg_lo:[0,1] neg_hi:[0,1]
	s_wait_dscnt 0x0
	v_dual_mul_f32 v144, v141, v133 :: v_dual_mul_f32 v146, v141, v130
	s_delay_alu instid0(VALU_DEP_1) | instskip(NEXT) | instid1(VALU_DEP_2)
	v_pk_fma_f32 v[144:145], v[140:141], v[74:75], v[144:145] op_sel_hi:[1,1,0] neg_lo:[0,0,1] neg_hi:[0,0,1]
	v_pk_fma_f32 v[140:141], v[140:141], v[74:75], v[146:147] op_sel:[1,0,0] op_sel_hi:[0,1,0]
	s_delay_alu instid0(VALU_DEP_1) | instskip(SKIP_1) | instid1(VALU_DEP_2)
	v_mov_b32_e32 v145, v141
	v_pk_mul_f32 v[140:141], v[142:143], v[132:133] op_sel:[0,1]
	v_pk_add_f32 v[58:59], v[58:59], v[144:145] neg_lo:[0,1] neg_hi:[0,1]
	s_delay_alu instid0(VALU_DEP_2) | instskip(SKIP_1) | instid1(VALU_DEP_1)
	v_pk_fma_f32 v[144:145], v[142:143], v[130:131], v[140:141] op_sel:[0,0,1] op_sel_hi:[1,1,0] neg_lo:[0,0,1] neg_hi:[0,0,1]
	v_pk_fma_f32 v[140:141], v[142:143], v[130:131], v[140:141] op_sel:[0,0,1] op_sel_hi:[1,0,0]
	v_mov_b32_e32 v145, v141
	ds_load_2addr_b64 v[140:143], v134 offset0:29 offset1:30
	v_pk_add_f32 v[106:107], v[106:107], v[144:145] neg_lo:[0,1] neg_hi:[0,1]
	s_wait_dscnt 0x0
	v_pk_mul_f32 v[144:145], v[140:141], v[132:133] op_sel:[0,1]
	s_delay_alu instid0(VALU_DEP_1) | instskip(SKIP_1) | instid1(VALU_DEP_1)
	v_pk_fma_f32 v[146:147], v[140:141], v[130:131], v[144:145] op_sel:[0,0,1] op_sel_hi:[1,1,0] neg_lo:[0,0,1] neg_hi:[0,0,1]
	v_pk_fma_f32 v[140:141], v[140:141], v[130:131], v[144:145] op_sel:[0,0,1] op_sel_hi:[1,0,0]
	v_mov_b32_e32 v147, v141
	v_pk_mul_f32 v[140:141], v[142:143], v[132:133] op_sel:[0,1]
	s_delay_alu instid0(VALU_DEP_2) | instskip(NEXT) | instid1(VALU_DEP_2)
	v_pk_add_f32 v[54:55], v[54:55], v[146:147] neg_lo:[0,1] neg_hi:[0,1]
	v_pk_fma_f32 v[144:145], v[142:143], v[130:131], v[140:141] op_sel:[0,0,1] op_sel_hi:[1,1,0] neg_lo:[0,0,1] neg_hi:[0,0,1]
	v_pk_fma_f32 v[140:141], v[142:143], v[130:131], v[140:141] op_sel:[0,0,1] op_sel_hi:[1,0,0]
	s_delay_alu instid0(VALU_DEP_1) | instskip(SKIP_4) | instid1(VALU_DEP_1)
	v_mov_b32_e32 v145, v141
	ds_load_2addr_b64 v[140:143], v134 offset0:31 offset1:32
	v_pk_add_f32 v[56:57], v[56:57], v[144:145] neg_lo:[0,1] neg_hi:[0,1]
	s_wait_dscnt 0x0
	v_pk_mul_f32 v[144:145], v[140:141], v[132:133] op_sel:[0,1]
	v_pk_fma_f32 v[146:147], v[140:141], v[130:131], v[144:145] op_sel:[0,0,1] op_sel_hi:[1,1,0] neg_lo:[0,0,1] neg_hi:[0,0,1]
	v_pk_fma_f32 v[140:141], v[140:141], v[130:131], v[144:145] op_sel:[0,0,1] op_sel_hi:[1,0,0]
	v_dual_mul_f32 v144, v143, v133 :: v_dual_mov_b32 v140, v143
	s_delay_alu instid0(VALU_DEP_2) | instskip(NEXT) | instid1(VALU_DEP_2)
	v_dual_mov_b32 v147, v141 :: v_dual_mov_b32 v141, v142
	v_pk_fma_f32 v[144:145], v[142:143], v[74:75], v[144:145] op_sel_hi:[1,1,0] neg_lo:[0,0,1] neg_hi:[0,0,1]
	v_mul_f32_e32 v142, v143, v130
	s_delay_alu instid0(VALU_DEP_3) | instskip(NEXT) | instid1(VALU_DEP_2)
	v_pk_add_f32 v[52:53], v[52:53], v[146:147] neg_lo:[0,1] neg_hi:[0,1]
	v_pk_fma_f32 v[140:141], v[140:141], v[74:75], v[142:143] op_sel_hi:[1,1,0]
	s_delay_alu instid0(VALU_DEP_1) | instskip(SKIP_4) | instid1(VALU_DEP_1)
	v_mov_b32_e32 v145, v141
	ds_load_2addr_b64 v[140:143], v134 offset0:33 offset1:34
	v_pk_add_f32 v[104:105], v[104:105], v[144:145] neg_lo:[0,1] neg_hi:[0,1]
	s_wait_dscnt 0x0
	v_pk_mul_f32 v[144:145], v[140:141], v[132:133] op_sel:[0,1]
	v_pk_fma_f32 v[146:147], v[140:141], v[130:131], v[144:145] op_sel:[0,0,1] op_sel_hi:[1,1,0] neg_lo:[0,0,1] neg_hi:[0,0,1]
	v_pk_fma_f32 v[140:141], v[140:141], v[130:131], v[144:145] op_sel:[0,0,1] op_sel_hi:[1,0,0]
	s_delay_alu instid0(VALU_DEP_1) | instskip(SKIP_1) | instid1(VALU_DEP_1)
	v_mov_b32_e32 v147, v141
	v_pk_mul_f32 v[140:141], v[142:143], v[132:133] op_sel:[0,1]
	v_pk_fma_f32 v[144:145], v[142:143], v[130:131], v[140:141] op_sel:[0,0,1] op_sel_hi:[1,1,0] neg_lo:[0,0,1] neg_hi:[0,0,1]
	v_pk_fma_f32 v[140:141], v[142:143], v[130:131], v[140:141] op_sel:[0,0,1] op_sel_hi:[1,0,0]
	s_delay_alu instid0(VALU_DEP_1)
	v_mov_b32_e32 v145, v141
	ds_load_2addr_b64 v[140:143], v134 offset0:35 offset1:36
	v_pk_add_f32 v[48:49], v[48:49], v[146:147] neg_lo:[0,1] neg_hi:[0,1]
	v_pk_add_f32 v[50:51], v[50:51], v[144:145] neg_lo:[0,1] neg_hi:[0,1]
	s_wait_dscnt 0x0
	v_pk_mul_f32 v[144:145], v[140:141], v[132:133] op_sel:[0,1]
	s_delay_alu instid0(VALU_DEP_1) | instskip(SKIP_1) | instid1(VALU_DEP_1)
	v_pk_fma_f32 v[146:147], v[140:141], v[130:131], v[144:145] op_sel:[0,0,1] op_sel_hi:[1,1,0] neg_lo:[0,0,1] neg_hi:[0,0,1]
	v_pk_fma_f32 v[140:141], v[140:141], v[130:131], v[144:145] op_sel:[0,0,1] op_sel_hi:[1,0,0]
	v_mov_b32_e32 v147, v141
	v_pk_mul_f32 v[140:141], v[142:143], v[132:133] op_sel:[0,1]
	s_delay_alu instid0(VALU_DEP_1) | instskip(SKIP_1) | instid1(VALU_DEP_1)
	v_pk_fma_f32 v[144:145], v[142:143], v[130:131], v[140:141] op_sel:[0,0,1] op_sel_hi:[1,1,0] neg_lo:[0,0,1] neg_hi:[0,0,1]
	v_pk_fma_f32 v[140:141], v[142:143], v[130:131], v[140:141] op_sel:[0,0,1] op_sel_hi:[1,0,0]
	v_mov_b32_e32 v145, v141
	ds_load_2addr_b64 v[140:143], v134 offset0:37 offset1:38
	v_pk_add_f32 v[46:47], v[46:47], v[146:147] neg_lo:[0,1] neg_hi:[0,1]
	v_pk_add_f32 v[102:103], v[102:103], v[144:145] neg_lo:[0,1] neg_hi:[0,1]
	s_wait_dscnt 0x0
	v_dual_mul_f32 v144, v141, v133 :: v_dual_mul_f32 v146, v141, v130
	s_delay_alu instid0(VALU_DEP_1) | instskip(NEXT) | instid1(VALU_DEP_2)
	v_pk_fma_f32 v[144:145], v[140:141], v[74:75], v[144:145] op_sel_hi:[1,1,0] neg_lo:[0,0,1] neg_hi:[0,0,1]
	v_pk_fma_f32 v[140:141], v[140:141], v[74:75], v[146:147] op_sel:[1,0,0] op_sel_hi:[0,1,0]
	s_delay_alu instid0(VALU_DEP_1) | instskip(SKIP_1) | instid1(VALU_DEP_2)
	v_mov_b32_e32 v145, v141
	v_pk_mul_f32 v[140:141], v[142:143], v[132:133] op_sel:[0,1]
	v_pk_add_f32 v[40:41], v[40:41], v[144:145] neg_lo:[0,1] neg_hi:[0,1]
	s_delay_alu instid0(VALU_DEP_2) | instskip(SKIP_1) | instid1(VALU_DEP_1)
	v_pk_fma_f32 v[144:145], v[142:143], v[130:131], v[140:141] op_sel:[0,0,1] op_sel_hi:[1,1,0] neg_lo:[0,0,1] neg_hi:[0,0,1]
	v_pk_fma_f32 v[140:141], v[142:143], v[130:131], v[140:141] op_sel:[0,0,1] op_sel_hi:[1,0,0]
	v_mov_b32_e32 v145, v141
	ds_load_2addr_b64 v[140:143], v134 offset0:39 offset1:40
	v_pk_add_f32 v[42:43], v[42:43], v[144:145] neg_lo:[0,1] neg_hi:[0,1]
	s_wait_dscnt 0x0
	v_pk_mul_f32 v[144:145], v[140:141], v[132:133] op_sel:[0,1]
	s_delay_alu instid0(VALU_DEP_1) | instskip(SKIP_1) | instid1(VALU_DEP_1)
	v_pk_fma_f32 v[146:147], v[140:141], v[130:131], v[144:145] op_sel:[0,0,1] op_sel_hi:[1,1,0] neg_lo:[0,0,1] neg_hi:[0,0,1]
	v_pk_fma_f32 v[140:141], v[140:141], v[130:131], v[144:145] op_sel:[0,0,1] op_sel_hi:[1,0,0]
	v_mov_b32_e32 v147, v141
	v_pk_mul_f32 v[140:141], v[142:143], v[132:133] op_sel:[0,1]
	s_delay_alu instid0(VALU_DEP_2) | instskip(NEXT) | instid1(VALU_DEP_2)
	v_pk_add_f32 v[38:39], v[38:39], v[146:147] neg_lo:[0,1] neg_hi:[0,1]
	v_pk_fma_f32 v[144:145], v[142:143], v[130:131], v[140:141] op_sel:[0,0,1] op_sel_hi:[1,1,0] neg_lo:[0,0,1] neg_hi:[0,0,1]
	v_pk_fma_f32 v[140:141], v[142:143], v[130:131], v[140:141] op_sel:[0,0,1] op_sel_hi:[1,0,0]
	s_delay_alu instid0(VALU_DEP_1) | instskip(SKIP_4) | instid1(VALU_DEP_1)
	v_mov_b32_e32 v145, v141
	ds_load_2addr_b64 v[140:143], v134 offset0:41 offset1:42
	v_pk_add_f32 v[100:101], v[100:101], v[144:145] neg_lo:[0,1] neg_hi:[0,1]
	s_wait_dscnt 0x0
	v_pk_mul_f32 v[144:145], v[140:141], v[132:133] op_sel:[0,1]
	v_pk_fma_f32 v[146:147], v[140:141], v[130:131], v[144:145] op_sel:[0,0,1] op_sel_hi:[1,1,0] neg_lo:[0,0,1] neg_hi:[0,0,1]
	v_pk_fma_f32 v[140:141], v[140:141], v[130:131], v[144:145] op_sel:[0,0,1] op_sel_hi:[1,0,0]
	v_dual_mul_f32 v144, v143, v133 :: v_dual_mov_b32 v140, v143
	s_delay_alu instid0(VALU_DEP_2) | instskip(NEXT) | instid1(VALU_DEP_2)
	v_dual_mov_b32 v147, v141 :: v_dual_mov_b32 v141, v142
	v_pk_fma_f32 v[144:145], v[142:143], v[74:75], v[144:145] op_sel_hi:[1,1,0] neg_lo:[0,0,1] neg_hi:[0,0,1]
	v_mul_f32_e32 v142, v143, v130
	s_delay_alu instid0(VALU_DEP_3) | instskip(NEXT) | instid1(VALU_DEP_2)
	v_pk_add_f32 v[32:33], v[32:33], v[146:147] neg_lo:[0,1] neg_hi:[0,1]
	v_pk_fma_f32 v[140:141], v[140:141], v[74:75], v[142:143] op_sel_hi:[1,1,0]
	s_delay_alu instid0(VALU_DEP_1) | instskip(SKIP_4) | instid1(VALU_DEP_1)
	v_mov_b32_e32 v145, v141
	ds_load_2addr_b64 v[140:143], v134 offset0:43 offset1:44
	v_pk_add_f32 v[34:35], v[34:35], v[144:145] neg_lo:[0,1] neg_hi:[0,1]
	s_wait_dscnt 0x0
	v_pk_mul_f32 v[144:145], v[140:141], v[132:133] op_sel:[0,1]
	v_pk_fma_f32 v[146:147], v[140:141], v[130:131], v[144:145] op_sel:[0,0,1] op_sel_hi:[1,1,0] neg_lo:[0,0,1] neg_hi:[0,0,1]
	v_pk_fma_f32 v[140:141], v[140:141], v[130:131], v[144:145] op_sel:[0,0,1] op_sel_hi:[1,0,0]
	s_delay_alu instid0(VALU_DEP_1) | instskip(SKIP_1) | instid1(VALU_DEP_1)
	v_mov_b32_e32 v147, v141
	v_pk_mul_f32 v[140:141], v[142:143], v[132:133] op_sel:[0,1]
	v_pk_fma_f32 v[144:145], v[142:143], v[130:131], v[140:141] op_sel:[0,0,1] op_sel_hi:[1,1,0] neg_lo:[0,0,1] neg_hi:[0,0,1]
	v_pk_fma_f32 v[140:141], v[142:143], v[130:131], v[140:141] op_sel:[0,0,1] op_sel_hi:[1,0,0]
	s_delay_alu instid0(VALU_DEP_1)
	v_mov_b32_e32 v145, v141
	ds_load_2addr_b64 v[140:143], v134 offset0:45 offset1:46
	v_pk_add_f32 v[30:31], v[30:31], v[146:147] neg_lo:[0,1] neg_hi:[0,1]
	v_pk_add_f32 v[98:99], v[98:99], v[144:145] neg_lo:[0,1] neg_hi:[0,1]
	s_wait_dscnt 0x0
	v_pk_mul_f32 v[144:145], v[140:141], v[132:133] op_sel:[0,1]
	s_delay_alu instid0(VALU_DEP_1) | instskip(SKIP_1) | instid1(VALU_DEP_1)
	v_pk_fma_f32 v[146:147], v[140:141], v[130:131], v[144:145] op_sel:[0,0,1] op_sel_hi:[1,1,0] neg_lo:[0,0,1] neg_hi:[0,0,1]
	v_pk_fma_f32 v[140:141], v[140:141], v[130:131], v[144:145] op_sel:[0,0,1] op_sel_hi:[1,0,0]
	v_mov_b32_e32 v147, v141
	v_pk_mul_f32 v[140:141], v[142:143], v[132:133] op_sel:[0,1]
	s_delay_alu instid0(VALU_DEP_1) | instskip(SKIP_1) | instid1(VALU_DEP_1)
	v_pk_fma_f32 v[144:145], v[142:143], v[130:131], v[140:141] op_sel:[0,0,1] op_sel_hi:[1,1,0] neg_lo:[0,0,1] neg_hi:[0,0,1]
	v_pk_fma_f32 v[140:141], v[142:143], v[130:131], v[140:141] op_sel:[0,0,1] op_sel_hi:[1,0,0]
	v_mov_b32_e32 v145, v141
	ds_load_2addr_b64 v[140:143], v134 offset0:47 offset1:48
	v_pk_add_f32 v[24:25], v[24:25], v[146:147] neg_lo:[0,1] neg_hi:[0,1]
	v_pk_add_f32 v[28:29], v[28:29], v[144:145] neg_lo:[0,1] neg_hi:[0,1]
	s_wait_dscnt 0x0
	v_dual_mul_f32 v144, v141, v133 :: v_dual_mul_f32 v146, v141, v130
	s_delay_alu instid0(VALU_DEP_1) | instskip(NEXT) | instid1(VALU_DEP_2)
	v_pk_fma_f32 v[144:145], v[140:141], v[74:75], v[144:145] op_sel_hi:[1,1,0] neg_lo:[0,0,1] neg_hi:[0,0,1]
	v_pk_fma_f32 v[140:141], v[140:141], v[74:75], v[146:147] op_sel:[1,0,0] op_sel_hi:[0,1,0]
	s_delay_alu instid0(VALU_DEP_1) | instskip(SKIP_1) | instid1(VALU_DEP_2)
	v_mov_b32_e32 v145, v141
	v_pk_mul_f32 v[140:141], v[142:143], v[132:133] op_sel:[0,1]
	v_pk_add_f32 v[22:23], v[22:23], v[144:145] neg_lo:[0,1] neg_hi:[0,1]
	s_delay_alu instid0(VALU_DEP_2) | instskip(SKIP_1) | instid1(VALU_DEP_1)
	v_pk_fma_f32 v[144:145], v[142:143], v[130:131], v[140:141] op_sel:[0,0,1] op_sel_hi:[1,1,0] neg_lo:[0,0,1] neg_hi:[0,0,1]
	v_pk_fma_f32 v[140:141], v[142:143], v[130:131], v[140:141] op_sel:[0,0,1] op_sel_hi:[1,0,0]
	v_mov_b32_e32 v145, v141
	ds_load_2addr_b64 v[140:143], v134 offset0:49 offset1:50
	v_pk_add_f32 v[96:97], v[96:97], v[144:145] neg_lo:[0,1] neg_hi:[0,1]
	s_wait_dscnt 0x0
	v_pk_mul_f32 v[144:145], v[140:141], v[132:133] op_sel:[0,1]
	s_delay_alu instid0(VALU_DEP_1) | instskip(SKIP_1) | instid1(VALU_DEP_1)
	v_pk_fma_f32 v[146:147], v[140:141], v[130:131], v[144:145] op_sel:[0,0,1] op_sel_hi:[1,1,0] neg_lo:[0,0,1] neg_hi:[0,0,1]
	v_pk_fma_f32 v[140:141], v[140:141], v[130:131], v[144:145] op_sel:[0,0,1] op_sel_hi:[1,0,0]
	v_mov_b32_e32 v147, v141
	v_pk_mul_f32 v[140:141], v[142:143], v[132:133] op_sel:[0,1]
	s_delay_alu instid0(VALU_DEP_2) | instskip(NEXT) | instid1(VALU_DEP_2)
	v_pk_add_f32 v[18:19], v[18:19], v[146:147] neg_lo:[0,1] neg_hi:[0,1]
	v_pk_fma_f32 v[144:145], v[142:143], v[130:131], v[140:141] op_sel:[0,0,1] op_sel_hi:[1,1,0] neg_lo:[0,0,1] neg_hi:[0,0,1]
	v_pk_fma_f32 v[140:141], v[142:143], v[130:131], v[140:141] op_sel:[0,0,1] op_sel_hi:[1,0,0]
	s_delay_alu instid0(VALU_DEP_1) | instskip(SKIP_4) | instid1(VALU_DEP_1)
	v_mov_b32_e32 v145, v141
	ds_load_2addr_b64 v[140:143], v134 offset0:51 offset1:52
	v_pk_add_f32 v[20:21], v[20:21], v[144:145] neg_lo:[0,1] neg_hi:[0,1]
	s_wait_dscnt 0x0
	v_pk_mul_f32 v[144:145], v[140:141], v[132:133] op_sel:[0,1]
	v_pk_fma_f32 v[146:147], v[140:141], v[130:131], v[144:145] op_sel:[0,0,1] op_sel_hi:[1,1,0] neg_lo:[0,0,1] neg_hi:[0,0,1]
	v_pk_fma_f32 v[140:141], v[140:141], v[130:131], v[144:145] op_sel:[0,0,1] op_sel_hi:[1,0,0]
	v_dual_mul_f32 v144, v143, v133 :: v_dual_mov_b32 v140, v143
	s_delay_alu instid0(VALU_DEP_2) | instskip(NEXT) | instid1(VALU_DEP_2)
	v_dual_mov_b32 v147, v141 :: v_dual_mov_b32 v141, v142
	v_pk_fma_f32 v[144:145], v[142:143], v[74:75], v[144:145] op_sel_hi:[1,1,0] neg_lo:[0,0,1] neg_hi:[0,0,1]
	v_mul_f32_e32 v142, v143, v130
	s_delay_alu instid0(VALU_DEP_3) | instskip(NEXT) | instid1(VALU_DEP_2)
	v_pk_add_f32 v[36:37], v[36:37], v[146:147] neg_lo:[0,1] neg_hi:[0,1]
	v_pk_fma_f32 v[140:141], v[140:141], v[74:75], v[142:143] op_sel_hi:[1,1,0]
	s_delay_alu instid0(VALU_DEP_1) | instskip(SKIP_4) | instid1(VALU_DEP_1)
	v_mov_b32_e32 v145, v141
	ds_load_2addr_b64 v[140:143], v134 offset0:53 offset1:54
	v_pk_add_f32 v[86:87], v[86:87], v[144:145] neg_lo:[0,1] neg_hi:[0,1]
	s_wait_dscnt 0x0
	v_pk_mul_f32 v[144:145], v[140:141], v[132:133] op_sel:[0,1]
	v_pk_fma_f32 v[146:147], v[140:141], v[130:131], v[144:145] op_sel:[0,0,1] op_sel_hi:[1,1,0] neg_lo:[0,0,1] neg_hi:[0,0,1]
	v_pk_fma_f32 v[140:141], v[140:141], v[130:131], v[144:145] op_sel:[0,0,1] op_sel_hi:[1,0,0]
	s_delay_alu instid0(VALU_DEP_1) | instskip(SKIP_1) | instid1(VALU_DEP_1)
	v_mov_b32_e32 v147, v141
	v_pk_mul_f32 v[140:141], v[142:143], v[132:133] op_sel:[0,1]
	v_pk_fma_f32 v[144:145], v[142:143], v[130:131], v[140:141] op_sel:[0,0,1] op_sel_hi:[1,1,0] neg_lo:[0,0,1] neg_hi:[0,0,1]
	v_pk_fma_f32 v[140:141], v[142:143], v[130:131], v[140:141] op_sel:[0,0,1] op_sel_hi:[1,0,0]
	s_delay_alu instid0(VALU_DEP_1)
	v_mov_b32_e32 v145, v141
	ds_load_2addr_b64 v[140:143], v134 offset0:55 offset1:56
	v_pk_add_f32 v[10:11], v[10:11], v[146:147] neg_lo:[0,1] neg_hi:[0,1]
	v_pk_add_f32 v[12:13], v[12:13], v[144:145] neg_lo:[0,1] neg_hi:[0,1]
	s_wait_dscnt 0x0
	v_pk_mul_f32 v[144:145], v[140:141], v[132:133] op_sel:[0,1]
	s_delay_alu instid0(VALU_DEP_1) | instskip(SKIP_1) | instid1(VALU_DEP_1)
	v_pk_fma_f32 v[146:147], v[140:141], v[130:131], v[144:145] op_sel:[0,0,1] op_sel_hi:[1,1,0] neg_lo:[0,0,1] neg_hi:[0,0,1]
	v_pk_fma_f32 v[140:141], v[140:141], v[130:131], v[144:145] op_sel:[0,0,1] op_sel_hi:[1,0,0]
	v_mov_b32_e32 v147, v141
	v_pk_mul_f32 v[140:141], v[142:143], v[132:133] op_sel:[0,1]
	s_delay_alu instid0(VALU_DEP_1) | instskip(SKIP_1) | instid1(VALU_DEP_1)
	v_pk_fma_f32 v[144:145], v[142:143], v[130:131], v[140:141] op_sel:[0,0,1] op_sel_hi:[1,1,0] neg_lo:[0,0,1] neg_hi:[0,0,1]
	v_pk_fma_f32 v[140:141], v[142:143], v[130:131], v[140:141] op_sel:[0,0,1] op_sel_hi:[1,0,0]
	v_mov_b32_e32 v145, v141
	ds_load_2addr_b64 v[140:143], v134 offset0:57 offset1:58
	v_pk_add_f32 v[8:9], v[8:9], v[146:147] neg_lo:[0,1] neg_hi:[0,1]
	v_pk_add_f32 v[44:45], v[44:45], v[144:145] neg_lo:[0,1] neg_hi:[0,1]
	s_wait_dscnt 0x0
	v_dual_mul_f32 v144, v141, v133 :: v_dual_mul_f32 v146, v141, v130
	s_delay_alu instid0(VALU_DEP_1) | instskip(NEXT) | instid1(VALU_DEP_2)
	v_pk_fma_f32 v[144:145], v[140:141], v[74:75], v[144:145] op_sel_hi:[1,1,0] neg_lo:[0,0,1] neg_hi:[0,0,1]
	v_pk_fma_f32 v[140:141], v[140:141], v[74:75], v[146:147] op_sel:[1,0,0] op_sel_hi:[0,1,0]
	s_delay_alu instid0(VALU_DEP_1) | instskip(SKIP_1) | instid1(VALU_DEP_2)
	v_mov_b32_e32 v145, v141
	v_pk_mul_f32 v[140:141], v[142:143], v[132:133] op_sel:[0,1]
	v_pk_add_f32 v[6:7], v[6:7], v[144:145] neg_lo:[0,1] neg_hi:[0,1]
	s_delay_alu instid0(VALU_DEP_2) | instskip(SKIP_1) | instid1(VALU_DEP_1)
	v_pk_fma_f32 v[144:145], v[142:143], v[130:131], v[140:141] op_sel:[0,0,1] op_sel_hi:[1,1,0] neg_lo:[0,0,1] neg_hi:[0,0,1]
	v_pk_fma_f32 v[140:141], v[142:143], v[130:131], v[140:141] op_sel:[0,0,1] op_sel_hi:[1,0,0]
	v_mov_b32_e32 v145, v141
	ds_load_2addr_b64 v[140:143], v134 offset0:59 offset1:60
	v_pk_add_f32 v[26:27], v[26:27], v[144:145] neg_lo:[0,1] neg_hi:[0,1]
	s_wait_dscnt 0x0
	v_pk_mul_f32 v[144:145], v[140:141], v[132:133] op_sel:[0,1]
	s_delay_alu instid0(VALU_DEP_1) | instskip(SKIP_1) | instid1(VALU_DEP_1)
	v_pk_fma_f32 v[146:147], v[140:141], v[130:131], v[144:145] op_sel:[0,0,1] op_sel_hi:[1,1,0] neg_lo:[0,0,1] neg_hi:[0,0,1]
	v_pk_fma_f32 v[140:141], v[140:141], v[130:131], v[144:145] op_sel:[0,0,1] op_sel_hi:[1,0,0]
	v_mov_b32_e32 v147, v141
	v_pk_mul_f32 v[140:141], v[142:143], v[132:133] op_sel:[0,1]
	s_delay_alu instid0(VALU_DEP_2) | instskip(NEXT) | instid1(VALU_DEP_2)
	v_pk_add_f32 v[16:17], v[16:17], v[146:147] neg_lo:[0,1] neg_hi:[0,1]
	v_pk_fma_f32 v[144:145], v[142:143], v[130:131], v[140:141] op_sel:[0,0,1] op_sel_hi:[1,1,0] neg_lo:[0,0,1] neg_hi:[0,0,1]
	v_pk_fma_f32 v[140:141], v[142:143], v[130:131], v[140:141] op_sel:[0,0,1] op_sel_hi:[1,0,0]
	s_delay_alu instid0(VALU_DEP_1) | instskip(SKIP_4) | instid1(VALU_DEP_1)
	v_mov_b32_e32 v145, v141
	ds_load_b64 v[140:141], v134 offset:488
	v_pk_add_f32 v[14:15], v[14:15], v[144:145] neg_lo:[0,1] neg_hi:[0,1]
	s_wait_dscnt 0x0
	v_pk_mul_f32 v[132:133], v[140:141], v[132:133] op_sel:[0,1]
	v_pk_fma_f32 v[142:143], v[140:141], v[130:131], v[132:133] op_sel:[0,0,1] op_sel_hi:[1,1,0] neg_lo:[0,0,1] neg_hi:[0,0,1]
	v_pk_fma_f32 v[130:131], v[140:141], v[130:131], v[132:133] op_sel:[0,0,1] op_sel_hi:[1,0,0]
	s_delay_alu instid0(VALU_DEP_1) | instskip(NEXT) | instid1(VALU_DEP_1)
	v_mov_b32_e32 v143, v131
	v_pk_add_f32 v[128:129], v[128:129], v[142:143] neg_lo:[0,1] neg_hi:[0,1]
.LBB122_398:
	s_or_b32 exec_lo, exec_lo, s0
	v_lshl_add_u32 v130, v138, 3, v134
	s_barrier_signal -1
	s_barrier_wait -1
	ds_store_b64 v130, v[70:71]
	s_wait_dscnt 0x0
	s_barrier_signal -1
	s_barrier_wait -1
	ds_load_b64 v[132:133], v134 offset:152
	v_mov_b32_e32 v130, 19
	s_cmp_lt_i32 s18, 21
	s_cbranch_scc1 .LBB122_401
; %bb.399:
	v_add3_u32 v131, v135, 0, 0xa0
	v_mov_b32_e32 v130, 19
	s_mov_b32 s0, 20
.LBB122_400:                            ; =>This Inner Loop Header: Depth=1
	ds_load_b64 v[140:141], v131
	s_wait_dscnt 0x1
	v_cmp_gt_f32_e32 vcc_lo, 0, v132
	v_cndmask_b32_e64 v142, v132, -v132, vcc_lo
	v_cmp_gt_f32_e32 vcc_lo, 0, v133
	v_cndmask_b32_e64 v144, v133, -v133, vcc_lo
	s_wait_dscnt 0x0
	v_cmp_gt_f32_e32 vcc_lo, 0, v140
	v_cndmask_b32_e64 v143, v140, -v140, vcc_lo
	v_cmp_gt_f32_e32 vcc_lo, 0, v141
	v_cndmask_b32_e64 v145, v141, -v141, vcc_lo
	s_delay_alu instid0(VALU_DEP_1) | instskip(NEXT) | instid1(VALU_DEP_1)
	v_pk_add_f32 v[142:143], v[142:143], v[144:145]
	v_cmp_lt_f32_e32 vcc_lo, v142, v143
	v_dual_add_nc_u32 v131, 8, v131 :: v_dual_cndmask_b32 v133, v133, v141, vcc_lo
	v_cndmask_b32_e32 v132, v132, v140, vcc_lo
	v_cndmask_b32_e64 v130, v130, s0, vcc_lo
	s_add_co_i32 s0, s0, 1
	s_delay_alu instid0(SALU_CYCLE_1)
	s_cmp_lg_u32 s18, s0
	s_cbranch_scc1 .LBB122_400
.LBB122_401:
	s_wait_dscnt 0x0
	v_cmp_eq_f32_e32 vcc_lo, 0, v132
	v_cmp_eq_f32_e64 s0, 0, v133
	s_and_b32 s0, vcc_lo, s0
	s_delay_alu instid0(SALU_CYCLE_1) | instskip(NEXT) | instid1(SALU_CYCLE_1)
	s_and_saveexec_b32 s1, s0
	s_xor_b32 s0, exec_lo, s1
; %bb.402:
	v_cmp_ne_u32_e32 vcc_lo, 0, v136
	v_cndmask_b32_e32 v136, 20, v136, vcc_lo
; %bb.403:
	s_and_not1_saveexec_b32 s0, s0
	s_cbranch_execz .LBB122_409
; %bb.404:
	v_cmp_ngt_f32_e64 s1, |v132|, |v133|
	s_and_saveexec_b32 s12, s1
	s_delay_alu instid0(SALU_CYCLE_1)
	s_xor_b32 s1, exec_lo, s12
	s_cbranch_execz .LBB122_406
; %bb.405:
	v_div_scale_f32 v131, null, v133, v133, v132
	v_div_scale_f32 v141, vcc_lo, v132, v133, v132
	s_delay_alu instid0(VALU_DEP_2) | instskip(SKIP_1) | instid1(TRANS32_DEP_1)
	v_rcp_f32_e32 v139, v131
	v_nop
	v_fma_f32 v140, -v131, v139, 1.0
	s_delay_alu instid0(VALU_DEP_1) | instskip(NEXT) | instid1(VALU_DEP_1)
	v_fmac_f32_e32 v139, v140, v139
	v_mul_f32_e32 v140, v141, v139
	s_delay_alu instid0(VALU_DEP_1) | instskip(NEXT) | instid1(VALU_DEP_1)
	v_fma_f32 v142, -v131, v140, v141
	v_fmac_f32_e32 v140, v142, v139
	s_delay_alu instid0(VALU_DEP_1) | instskip(NEXT) | instid1(VALU_DEP_1)
	v_fma_f32 v131, -v131, v140, v141
	v_div_fmas_f32 v131, v131, v139, v140
	s_delay_alu instid0(VALU_DEP_1) | instskip(NEXT) | instid1(VALU_DEP_1)
	v_div_fixup_f32 v131, v131, v133, v132
	v_fmac_f32_e32 v133, v132, v131
	s_delay_alu instid0(VALU_DEP_1) | instskip(SKIP_1) | instid1(VALU_DEP_2)
	v_div_scale_f32 v132, null, v133, v133, 1.0
	v_div_scale_f32 v141, vcc_lo, 1.0, v133, 1.0
	v_rcp_f32_e32 v139, v132
	v_nop
	s_delay_alu instid0(TRANS32_DEP_1) | instskip(NEXT) | instid1(VALU_DEP_1)
	v_fma_f32 v140, -v132, v139, 1.0
	v_fmac_f32_e32 v139, v140, v139
	s_delay_alu instid0(VALU_DEP_1) | instskip(NEXT) | instid1(VALU_DEP_1)
	v_mul_f32_e32 v140, v141, v139
	v_fma_f32 v142, -v132, v140, v141
	s_delay_alu instid0(VALU_DEP_1) | instskip(NEXT) | instid1(VALU_DEP_1)
	v_fmac_f32_e32 v140, v142, v139
	v_fma_f32 v132, -v132, v140, v141
	s_delay_alu instid0(VALU_DEP_1) | instskip(NEXT) | instid1(VALU_DEP_1)
	v_div_fmas_f32 v132, v132, v139, v140
	v_div_fixup_f32 v133, v132, v133, 1.0
	s_delay_alu instid0(VALU_DEP_1)
	v_mul_f32_e32 v132, v131, v133
	v_xor_b32_e32 v133, 0x80000000, v133
.LBB122_406:
	s_and_not1_saveexec_b32 s1, s1
	s_cbranch_execz .LBB122_408
; %bb.407:
	s_delay_alu instid0(VALU_DEP_1) | instskip(SKIP_1) | instid1(VALU_DEP_2)
	v_div_scale_f32 v131, null, v132, v132, v133
	v_div_scale_f32 v141, vcc_lo, v133, v132, v133
	v_rcp_f32_e32 v139, v131
	v_nop
	s_delay_alu instid0(TRANS32_DEP_1) | instskip(NEXT) | instid1(VALU_DEP_1)
	v_fma_f32 v140, -v131, v139, 1.0
	v_fmac_f32_e32 v139, v140, v139
	s_delay_alu instid0(VALU_DEP_1) | instskip(NEXT) | instid1(VALU_DEP_1)
	v_mul_f32_e32 v140, v141, v139
	v_fma_f32 v142, -v131, v140, v141
	s_delay_alu instid0(VALU_DEP_1) | instskip(NEXT) | instid1(VALU_DEP_1)
	v_fmac_f32_e32 v140, v142, v139
	v_fma_f32 v131, -v131, v140, v141
	s_delay_alu instid0(VALU_DEP_1) | instskip(NEXT) | instid1(VALU_DEP_1)
	v_div_fmas_f32 v131, v131, v139, v140
	v_div_fixup_f32 v131, v131, v132, v133
	s_delay_alu instid0(VALU_DEP_1) | instskip(NEXT) | instid1(VALU_DEP_1)
	v_fmac_f32_e32 v132, v133, v131
	v_div_scale_f32 v133, null, v132, v132, 1.0
	s_delay_alu instid0(VALU_DEP_1) | instskip(SKIP_1) | instid1(TRANS32_DEP_1)
	v_rcp_f32_e32 v139, v133
	v_nop
	v_fma_f32 v140, -v133, v139, 1.0
	s_delay_alu instid0(VALU_DEP_1) | instskip(SKIP_1) | instid1(VALU_DEP_1)
	v_fmac_f32_e32 v139, v140, v139
	v_div_scale_f32 v140, vcc_lo, 1.0, v132, 1.0
	v_mul_f32_e32 v141, v140, v139
	s_delay_alu instid0(VALU_DEP_1) | instskip(NEXT) | instid1(VALU_DEP_1)
	v_fma_f32 v142, -v133, v141, v140
	v_fmac_f32_e32 v141, v142, v139
	s_delay_alu instid0(VALU_DEP_1) | instskip(NEXT) | instid1(VALU_DEP_1)
	v_fma_f32 v133, -v133, v141, v140
	v_div_fmas_f32 v133, v133, v139, v141
	s_delay_alu instid0(VALU_DEP_1) | instskip(NEXT) | instid1(VALU_DEP_1)
	v_div_fixup_f32 v132, v133, v132, 1.0
	v_mul_f32_e64 v133, v131, -v132
.LBB122_408:
	s_or_b32 exec_lo, exec_lo, s1
.LBB122_409:
	s_delay_alu instid0(SALU_CYCLE_1) | instskip(NEXT) | instid1(SALU_CYCLE_1)
	s_or_b32 exec_lo, exec_lo, s0
	s_mov_b32 s0, exec_lo
	v_cmpx_ne_u32_e64 v138, v130
	s_xor_b32 s0, exec_lo, s0
	s_cbranch_execz .LBB122_415
; %bb.410:
	s_mov_b32 s1, exec_lo
	v_cmpx_eq_u32_e32 19, v138
	s_cbranch_execz .LBB122_414
; %bb.411:
	v_cmp_ne_u32_e32 vcc_lo, 19, v130
	s_xor_b32 s12, s16, -1
	s_delay_alu instid0(SALU_CYCLE_1) | instskip(NEXT) | instid1(SALU_CYCLE_1)
	s_and_b32 s13, s12, vcc_lo
	s_and_saveexec_b32 s12, s13
	s_cbranch_execz .LBB122_413
; %bb.412:
	v_ashrrev_i32_e32 v131, 31, v130
	s_delay_alu instid0(VALU_DEP_1)
	v_lshl_add_u64 v[138:139], v[130:131], 2, v[4:5]
	s_clause 0x1
	global_load_b32 v131, v[138:139], off
	global_load_b32 v137, v[4:5], off offset:76
	s_wait_loadcnt 0x1
	global_store_b32 v[4:5], v131, off offset:76
	s_wait_loadcnt 0x0
	global_store_b32 v[138:139], v137, off
.LBB122_413:
	s_wait_xcnt 0x0
	s_or_b32 exec_lo, exec_lo, s12
	v_dual_mov_b32 v138, v130 :: v_dual_mov_b32 v137, v130
.LBB122_414:
	s_or_b32 exec_lo, exec_lo, s1
.LBB122_415:
	s_and_not1_saveexec_b32 s0, s0
	s_cbranch_execz .LBB122_417
; %bb.416:
	v_dual_mov_b32 v130, v110 :: v_dual_mov_b32 v131, v111
	v_dual_mov_b32 v138, v66 :: v_dual_mov_b32 v139, v67
	;; [unrolled: 1-line block ×8, first 2 shown]
	ds_store_2addr_b64 v134, v[130:131], v[138:139] offset0:20 offset1:21
	ds_store_2addr_b64 v134, v[140:141], v[142:143] offset0:22 offset1:23
	;; [unrolled: 1-line block ×4, first 2 shown]
	v_dual_mov_b32 v130, v106 :: v_dual_mov_b32 v131, v107
	v_dual_mov_b32 v138, v54 :: v_dual_mov_b32 v139, v55
	;; [unrolled: 1-line block ×12, first 2 shown]
	ds_store_2addr_b64 v134, v[130:131], v[138:139] offset0:28 offset1:29
	ds_store_2addr_b64 v134, v[140:141], v[142:143] offset0:30 offset1:31
	;; [unrolled: 1-line block ×6, first 2 shown]
	v_dual_mov_b32 v130, v100 :: v_dual_mov_b32 v131, v101
	v_dual_mov_b32 v138, v32 :: v_dual_mov_b32 v139, v33
	;; [unrolled: 1-line block ×12, first 2 shown]
	ds_store_2addr_b64 v134, v[130:131], v[138:139] offset0:40 offset1:41
	ds_store_2addr_b64 v134, v[140:141], v[142:143] offset0:42 offset1:43
	;; [unrolled: 1-line block ×6, first 2 shown]
	v_dual_mov_b32 v130, v86 :: v_dual_mov_b32 v131, v87
	v_dual_mov_b32 v140, v10 :: v_dual_mov_b32 v141, v11
	;; [unrolled: 1-line block ×9, first 2 shown]
	v_mov_b32_e32 v155, v15
	ds_store_2addr_b64 v134, v[130:131], v[140:141] offset0:52 offset1:53
	ds_store_2addr_b64 v134, v[142:143], v[144:145] offset0:54 offset1:55
	;; [unrolled: 1-line block ×5, first 2 shown]
.LBB122_417:
	s_or_b32 exec_lo, exec_lo, s0
	s_delay_alu instid0(SALU_CYCLE_1)
	s_mov_b32 s0, exec_lo
	s_wait_storecnt_dscnt 0x0
	s_barrier_signal -1
	s_barrier_wait -1
	v_cmpx_lt_i32_e32 19, v138
	s_cbranch_execz .LBB122_419
; %bb.418:
	v_pk_mul_f32 v[140:141], v[132:133], v[70:71] op_sel:[1,1] op_sel_hi:[0,1]
	s_delay_alu instid0(VALU_DEP_1)
	v_pk_fma_f32 v[130:131], v[132:133], v[70:71], v[140:141] op_sel_hi:[1,0,1] neg_lo:[0,0,1] neg_hi:[0,0,1]
	v_pk_fma_f32 v[132:133], v[132:133], v[70:71], v[140:141] op_sel_hi:[1,0,1]
	ds_load_2addr_b64 v[140:143], v134 offset0:20 offset1:21
	v_dual_mov_b32 v70, v130 :: v_dual_mov_b32 v71, v133
	s_wait_dscnt 0x0
	v_pk_mul_f32 v[144:145], v[140:141], v[132:133] op_sel:[0,1]
	s_delay_alu instid0(VALU_DEP_1) | instskip(SKIP_1) | instid1(VALU_DEP_1)
	v_pk_fma_f32 v[146:147], v[140:141], v[130:131], v[144:145] op_sel:[0,0,1] op_sel_hi:[1,1,0] neg_lo:[0,0,1] neg_hi:[0,0,1]
	v_pk_fma_f32 v[140:141], v[140:141], v[130:131], v[144:145] op_sel:[0,0,1] op_sel_hi:[1,0,0]
	v_mov_b32_e32 v147, v141
	v_pk_mul_f32 v[140:141], v[142:143], v[132:133] op_sel:[0,1]
	s_delay_alu instid0(VALU_DEP_1) | instskip(SKIP_1) | instid1(VALU_DEP_1)
	v_pk_fma_f32 v[144:145], v[142:143], v[130:131], v[140:141] op_sel:[0,0,1] op_sel_hi:[1,1,0] neg_lo:[0,0,1] neg_hi:[0,0,1]
	v_pk_fma_f32 v[140:141], v[142:143], v[130:131], v[140:141] op_sel:[0,0,1] op_sel_hi:[1,0,0]
	v_mov_b32_e32 v145, v141
	ds_load_2addr_b64 v[140:143], v134 offset0:22 offset1:23
	v_pk_add_f32 v[110:111], v[110:111], v[146:147] neg_lo:[0,1] neg_hi:[0,1]
	v_pk_add_f32 v[66:67], v[66:67], v[144:145] neg_lo:[0,1] neg_hi:[0,1]
	s_wait_dscnt 0x0
	v_pk_mul_f32 v[144:145], v[140:141], v[132:133] op_sel:[0,1]
	s_delay_alu instid0(VALU_DEP_1) | instskip(SKIP_2) | instid1(VALU_DEP_2)
	v_pk_fma_f32 v[146:147], v[140:141], v[130:131], v[144:145] op_sel:[0,0,1] op_sel_hi:[1,1,0] neg_lo:[0,0,1] neg_hi:[0,0,1]
	v_pk_fma_f32 v[140:141], v[140:141], v[130:131], v[144:145] op_sel:[0,0,1] op_sel_hi:[1,0,0]
	v_dual_mul_f32 v144, v143, v133 :: v_dual_mov_b32 v140, v143
	v_dual_mov_b32 v147, v141 :: v_dual_mov_b32 v141, v142
	s_delay_alu instid0(VALU_DEP_2) | instskip(SKIP_1) | instid1(VALU_DEP_3)
	v_pk_fma_f32 v[144:145], v[142:143], v[70:71], v[144:145] op_sel_hi:[1,1,0] neg_lo:[0,0,1] neg_hi:[0,0,1]
	v_mul_f32_e32 v142, v143, v130
	v_pk_add_f32 v[68:69], v[68:69], v[146:147] neg_lo:[0,1] neg_hi:[0,1]
	s_delay_alu instid0(VALU_DEP_2) | instskip(NEXT) | instid1(VALU_DEP_1)
	v_pk_fma_f32 v[140:141], v[140:141], v[70:71], v[142:143] op_sel_hi:[1,1,0]
	v_mov_b32_e32 v145, v141
	ds_load_2addr_b64 v[140:143], v134 offset0:24 offset1:25
	v_pk_add_f32 v[64:65], v[64:65], v[144:145] neg_lo:[0,1] neg_hi:[0,1]
	s_wait_dscnt 0x0
	v_pk_mul_f32 v[144:145], v[140:141], v[132:133] op_sel:[0,1]
	s_delay_alu instid0(VALU_DEP_1) | instskip(SKIP_1) | instid1(VALU_DEP_1)
	v_pk_fma_f32 v[146:147], v[140:141], v[130:131], v[144:145] op_sel:[0,0,1] op_sel_hi:[1,1,0] neg_lo:[0,0,1] neg_hi:[0,0,1]
	v_pk_fma_f32 v[140:141], v[140:141], v[130:131], v[144:145] op_sel:[0,0,1] op_sel_hi:[1,0,0]
	v_mov_b32_e32 v147, v141
	v_pk_mul_f32 v[140:141], v[142:143], v[132:133] op_sel:[0,1]
	s_delay_alu instid0(VALU_DEP_1) | instskip(SKIP_1) | instid1(VALU_DEP_1)
	v_pk_fma_f32 v[144:145], v[142:143], v[130:131], v[140:141] op_sel:[0,0,1] op_sel_hi:[1,1,0] neg_lo:[0,0,1] neg_hi:[0,0,1]
	v_pk_fma_f32 v[140:141], v[142:143], v[130:131], v[140:141] op_sel:[0,0,1] op_sel_hi:[1,0,0]
	v_mov_b32_e32 v145, v141
	ds_load_2addr_b64 v[140:143], v134 offset0:26 offset1:27
	v_pk_add_f32 v[108:109], v[108:109], v[146:147] neg_lo:[0,1] neg_hi:[0,1]
	v_pk_add_f32 v[60:61], v[60:61], v[144:145] neg_lo:[0,1] neg_hi:[0,1]
	s_wait_dscnt 0x0
	v_pk_mul_f32 v[144:145], v[140:141], v[132:133] op_sel:[0,1]
	s_delay_alu instid0(VALU_DEP_1) | instskip(SKIP_1) | instid1(VALU_DEP_1)
	v_pk_fma_f32 v[146:147], v[140:141], v[130:131], v[144:145] op_sel:[0,0,1] op_sel_hi:[1,1,0] neg_lo:[0,0,1] neg_hi:[0,0,1]
	v_pk_fma_f32 v[140:141], v[140:141], v[130:131], v[144:145] op_sel:[0,0,1] op_sel_hi:[1,0,0]
	v_mov_b32_e32 v147, v141
	v_pk_mul_f32 v[140:141], v[142:143], v[132:133] op_sel:[0,1]
	s_delay_alu instid0(VALU_DEP_1) | instskip(SKIP_1) | instid1(VALU_DEP_1)
	v_pk_fma_f32 v[144:145], v[142:143], v[130:131], v[140:141] op_sel:[0,0,1] op_sel_hi:[1,1,0] neg_lo:[0,0,1] neg_hi:[0,0,1]
	v_pk_fma_f32 v[140:141], v[142:143], v[130:131], v[140:141] op_sel:[0,0,1] op_sel_hi:[1,0,0]
	v_mov_b32_e32 v145, v141
	ds_load_2addr_b64 v[140:143], v134 offset0:28 offset1:29
	v_pk_add_f32 v[62:63], v[62:63], v[146:147] neg_lo:[0,1] neg_hi:[0,1]
	v_pk_add_f32 v[58:59], v[58:59], v[144:145] neg_lo:[0,1] neg_hi:[0,1]
	s_wait_dscnt 0x0
	v_dual_mul_f32 v144, v141, v133 :: v_dual_mul_f32 v146, v141, v130
	s_delay_alu instid0(VALU_DEP_1) | instskip(NEXT) | instid1(VALU_DEP_2)
	v_pk_fma_f32 v[144:145], v[140:141], v[70:71], v[144:145] op_sel_hi:[1,1,0] neg_lo:[0,0,1] neg_hi:[0,0,1]
	v_pk_fma_f32 v[140:141], v[140:141], v[70:71], v[146:147] op_sel:[1,0,0] op_sel_hi:[0,1,0]
	s_delay_alu instid0(VALU_DEP_1) | instskip(SKIP_1) | instid1(VALU_DEP_2)
	v_mov_b32_e32 v145, v141
	v_pk_mul_f32 v[140:141], v[142:143], v[132:133] op_sel:[0,1]
	v_pk_add_f32 v[106:107], v[106:107], v[144:145] neg_lo:[0,1] neg_hi:[0,1]
	s_delay_alu instid0(VALU_DEP_2) | instskip(SKIP_1) | instid1(VALU_DEP_1)
	v_pk_fma_f32 v[144:145], v[142:143], v[130:131], v[140:141] op_sel:[0,0,1] op_sel_hi:[1,1,0] neg_lo:[0,0,1] neg_hi:[0,0,1]
	v_pk_fma_f32 v[140:141], v[142:143], v[130:131], v[140:141] op_sel:[0,0,1] op_sel_hi:[1,0,0]
	v_mov_b32_e32 v145, v141
	ds_load_2addr_b64 v[140:143], v134 offset0:30 offset1:31
	v_pk_add_f32 v[54:55], v[54:55], v[144:145] neg_lo:[0,1] neg_hi:[0,1]
	s_wait_dscnt 0x0
	v_pk_mul_f32 v[144:145], v[140:141], v[132:133] op_sel:[0,1]
	s_delay_alu instid0(VALU_DEP_1) | instskip(SKIP_1) | instid1(VALU_DEP_1)
	v_pk_fma_f32 v[146:147], v[140:141], v[130:131], v[144:145] op_sel:[0,0,1] op_sel_hi:[1,1,0] neg_lo:[0,0,1] neg_hi:[0,0,1]
	v_pk_fma_f32 v[140:141], v[140:141], v[130:131], v[144:145] op_sel:[0,0,1] op_sel_hi:[1,0,0]
	v_mov_b32_e32 v147, v141
	v_pk_mul_f32 v[140:141], v[142:143], v[132:133] op_sel:[0,1]
	s_delay_alu instid0(VALU_DEP_2) | instskip(NEXT) | instid1(VALU_DEP_2)
	v_pk_add_f32 v[56:57], v[56:57], v[146:147] neg_lo:[0,1] neg_hi:[0,1]
	v_pk_fma_f32 v[144:145], v[142:143], v[130:131], v[140:141] op_sel:[0,0,1] op_sel_hi:[1,1,0] neg_lo:[0,0,1] neg_hi:[0,0,1]
	v_pk_fma_f32 v[140:141], v[142:143], v[130:131], v[140:141] op_sel:[0,0,1] op_sel_hi:[1,0,0]
	s_delay_alu instid0(VALU_DEP_1) | instskip(SKIP_4) | instid1(VALU_DEP_1)
	v_mov_b32_e32 v145, v141
	ds_load_2addr_b64 v[140:143], v134 offset0:32 offset1:33
	v_pk_add_f32 v[52:53], v[52:53], v[144:145] neg_lo:[0,1] neg_hi:[0,1]
	s_wait_dscnt 0x0
	v_pk_mul_f32 v[144:145], v[140:141], v[132:133] op_sel:[0,1]
	v_pk_fma_f32 v[146:147], v[140:141], v[130:131], v[144:145] op_sel:[0,0,1] op_sel_hi:[1,1,0] neg_lo:[0,0,1] neg_hi:[0,0,1]
	v_pk_fma_f32 v[140:141], v[140:141], v[130:131], v[144:145] op_sel:[0,0,1] op_sel_hi:[1,0,0]
	v_dual_mul_f32 v144, v143, v133 :: v_dual_mov_b32 v140, v143
	s_delay_alu instid0(VALU_DEP_2) | instskip(NEXT) | instid1(VALU_DEP_2)
	v_dual_mov_b32 v147, v141 :: v_dual_mov_b32 v141, v142
	v_pk_fma_f32 v[144:145], v[142:143], v[70:71], v[144:145] op_sel_hi:[1,1,0] neg_lo:[0,0,1] neg_hi:[0,0,1]
	v_mul_f32_e32 v142, v143, v130
	s_delay_alu instid0(VALU_DEP_3) | instskip(NEXT) | instid1(VALU_DEP_2)
	v_pk_add_f32 v[104:105], v[104:105], v[146:147] neg_lo:[0,1] neg_hi:[0,1]
	v_pk_fma_f32 v[140:141], v[140:141], v[70:71], v[142:143] op_sel_hi:[1,1,0]
	s_delay_alu instid0(VALU_DEP_1) | instskip(SKIP_4) | instid1(VALU_DEP_1)
	v_mov_b32_e32 v145, v141
	ds_load_2addr_b64 v[140:143], v134 offset0:34 offset1:35
	v_pk_add_f32 v[48:49], v[48:49], v[144:145] neg_lo:[0,1] neg_hi:[0,1]
	s_wait_dscnt 0x0
	v_pk_mul_f32 v[144:145], v[140:141], v[132:133] op_sel:[0,1]
	v_pk_fma_f32 v[146:147], v[140:141], v[130:131], v[144:145] op_sel:[0,0,1] op_sel_hi:[1,1,0] neg_lo:[0,0,1] neg_hi:[0,0,1]
	v_pk_fma_f32 v[140:141], v[140:141], v[130:131], v[144:145] op_sel:[0,0,1] op_sel_hi:[1,0,0]
	s_delay_alu instid0(VALU_DEP_1) | instskip(SKIP_1) | instid1(VALU_DEP_1)
	v_mov_b32_e32 v147, v141
	v_pk_mul_f32 v[140:141], v[142:143], v[132:133] op_sel:[0,1]
	v_pk_fma_f32 v[144:145], v[142:143], v[130:131], v[140:141] op_sel:[0,0,1] op_sel_hi:[1,1,0] neg_lo:[0,0,1] neg_hi:[0,0,1]
	v_pk_fma_f32 v[140:141], v[142:143], v[130:131], v[140:141] op_sel:[0,0,1] op_sel_hi:[1,0,0]
	s_delay_alu instid0(VALU_DEP_1)
	v_mov_b32_e32 v145, v141
	ds_load_2addr_b64 v[140:143], v134 offset0:36 offset1:37
	v_pk_add_f32 v[50:51], v[50:51], v[146:147] neg_lo:[0,1] neg_hi:[0,1]
	v_pk_add_f32 v[46:47], v[46:47], v[144:145] neg_lo:[0,1] neg_hi:[0,1]
	s_wait_dscnt 0x0
	v_pk_mul_f32 v[144:145], v[140:141], v[132:133] op_sel:[0,1]
	s_delay_alu instid0(VALU_DEP_1) | instskip(SKIP_1) | instid1(VALU_DEP_1)
	v_pk_fma_f32 v[146:147], v[140:141], v[130:131], v[144:145] op_sel:[0,0,1] op_sel_hi:[1,1,0] neg_lo:[0,0,1] neg_hi:[0,0,1]
	v_pk_fma_f32 v[140:141], v[140:141], v[130:131], v[144:145] op_sel:[0,0,1] op_sel_hi:[1,0,0]
	v_mov_b32_e32 v147, v141
	v_pk_mul_f32 v[140:141], v[142:143], v[132:133] op_sel:[0,1]
	s_delay_alu instid0(VALU_DEP_1) | instskip(SKIP_1) | instid1(VALU_DEP_1)
	v_pk_fma_f32 v[144:145], v[142:143], v[130:131], v[140:141] op_sel:[0,0,1] op_sel_hi:[1,1,0] neg_lo:[0,0,1] neg_hi:[0,0,1]
	v_pk_fma_f32 v[140:141], v[142:143], v[130:131], v[140:141] op_sel:[0,0,1] op_sel_hi:[1,0,0]
	v_mov_b32_e32 v145, v141
	ds_load_2addr_b64 v[140:143], v134 offset0:38 offset1:39
	v_pk_add_f32 v[102:103], v[102:103], v[146:147] neg_lo:[0,1] neg_hi:[0,1]
	v_pk_add_f32 v[40:41], v[40:41], v[144:145] neg_lo:[0,1] neg_hi:[0,1]
	s_wait_dscnt 0x0
	v_dual_mul_f32 v144, v141, v133 :: v_dual_mul_f32 v146, v141, v130
	s_delay_alu instid0(VALU_DEP_1) | instskip(NEXT) | instid1(VALU_DEP_2)
	v_pk_fma_f32 v[144:145], v[140:141], v[70:71], v[144:145] op_sel_hi:[1,1,0] neg_lo:[0,0,1] neg_hi:[0,0,1]
	v_pk_fma_f32 v[140:141], v[140:141], v[70:71], v[146:147] op_sel:[1,0,0] op_sel_hi:[0,1,0]
	s_delay_alu instid0(VALU_DEP_1) | instskip(SKIP_1) | instid1(VALU_DEP_2)
	v_mov_b32_e32 v145, v141
	v_pk_mul_f32 v[140:141], v[142:143], v[132:133] op_sel:[0,1]
	v_pk_add_f32 v[42:43], v[42:43], v[144:145] neg_lo:[0,1] neg_hi:[0,1]
	s_delay_alu instid0(VALU_DEP_2) | instskip(SKIP_1) | instid1(VALU_DEP_1)
	v_pk_fma_f32 v[144:145], v[142:143], v[130:131], v[140:141] op_sel:[0,0,1] op_sel_hi:[1,1,0] neg_lo:[0,0,1] neg_hi:[0,0,1]
	v_pk_fma_f32 v[140:141], v[142:143], v[130:131], v[140:141] op_sel:[0,0,1] op_sel_hi:[1,0,0]
	v_mov_b32_e32 v145, v141
	ds_load_2addr_b64 v[140:143], v134 offset0:40 offset1:41
	v_pk_add_f32 v[38:39], v[38:39], v[144:145] neg_lo:[0,1] neg_hi:[0,1]
	s_wait_dscnt 0x0
	v_pk_mul_f32 v[144:145], v[140:141], v[132:133] op_sel:[0,1]
	s_delay_alu instid0(VALU_DEP_1) | instskip(SKIP_1) | instid1(VALU_DEP_1)
	v_pk_fma_f32 v[146:147], v[140:141], v[130:131], v[144:145] op_sel:[0,0,1] op_sel_hi:[1,1,0] neg_lo:[0,0,1] neg_hi:[0,0,1]
	v_pk_fma_f32 v[140:141], v[140:141], v[130:131], v[144:145] op_sel:[0,0,1] op_sel_hi:[1,0,0]
	v_mov_b32_e32 v147, v141
	v_pk_mul_f32 v[140:141], v[142:143], v[132:133] op_sel:[0,1]
	s_delay_alu instid0(VALU_DEP_2) | instskip(NEXT) | instid1(VALU_DEP_2)
	v_pk_add_f32 v[100:101], v[100:101], v[146:147] neg_lo:[0,1] neg_hi:[0,1]
	v_pk_fma_f32 v[144:145], v[142:143], v[130:131], v[140:141] op_sel:[0,0,1] op_sel_hi:[1,1,0] neg_lo:[0,0,1] neg_hi:[0,0,1]
	v_pk_fma_f32 v[140:141], v[142:143], v[130:131], v[140:141] op_sel:[0,0,1] op_sel_hi:[1,0,0]
	s_delay_alu instid0(VALU_DEP_1) | instskip(SKIP_4) | instid1(VALU_DEP_1)
	v_mov_b32_e32 v145, v141
	ds_load_2addr_b64 v[140:143], v134 offset0:42 offset1:43
	v_pk_add_f32 v[32:33], v[32:33], v[144:145] neg_lo:[0,1] neg_hi:[0,1]
	s_wait_dscnt 0x0
	v_pk_mul_f32 v[144:145], v[140:141], v[132:133] op_sel:[0,1]
	v_pk_fma_f32 v[146:147], v[140:141], v[130:131], v[144:145] op_sel:[0,0,1] op_sel_hi:[1,1,0] neg_lo:[0,0,1] neg_hi:[0,0,1]
	v_pk_fma_f32 v[140:141], v[140:141], v[130:131], v[144:145] op_sel:[0,0,1] op_sel_hi:[1,0,0]
	v_dual_mul_f32 v144, v143, v133 :: v_dual_mov_b32 v140, v143
	s_delay_alu instid0(VALU_DEP_2) | instskip(NEXT) | instid1(VALU_DEP_2)
	v_dual_mov_b32 v147, v141 :: v_dual_mov_b32 v141, v142
	v_pk_fma_f32 v[144:145], v[142:143], v[70:71], v[144:145] op_sel_hi:[1,1,0] neg_lo:[0,0,1] neg_hi:[0,0,1]
	v_mul_f32_e32 v142, v143, v130
	s_delay_alu instid0(VALU_DEP_3) | instskip(NEXT) | instid1(VALU_DEP_2)
	v_pk_add_f32 v[34:35], v[34:35], v[146:147] neg_lo:[0,1] neg_hi:[0,1]
	v_pk_fma_f32 v[140:141], v[140:141], v[70:71], v[142:143] op_sel_hi:[1,1,0]
	s_delay_alu instid0(VALU_DEP_1) | instskip(SKIP_4) | instid1(VALU_DEP_1)
	v_mov_b32_e32 v145, v141
	ds_load_2addr_b64 v[140:143], v134 offset0:44 offset1:45
	v_pk_add_f32 v[30:31], v[30:31], v[144:145] neg_lo:[0,1] neg_hi:[0,1]
	s_wait_dscnt 0x0
	v_pk_mul_f32 v[144:145], v[140:141], v[132:133] op_sel:[0,1]
	v_pk_fma_f32 v[146:147], v[140:141], v[130:131], v[144:145] op_sel:[0,0,1] op_sel_hi:[1,1,0] neg_lo:[0,0,1] neg_hi:[0,0,1]
	v_pk_fma_f32 v[140:141], v[140:141], v[130:131], v[144:145] op_sel:[0,0,1] op_sel_hi:[1,0,0]
	s_delay_alu instid0(VALU_DEP_1) | instskip(SKIP_1) | instid1(VALU_DEP_1)
	v_mov_b32_e32 v147, v141
	v_pk_mul_f32 v[140:141], v[142:143], v[132:133] op_sel:[0,1]
	v_pk_fma_f32 v[144:145], v[142:143], v[130:131], v[140:141] op_sel:[0,0,1] op_sel_hi:[1,1,0] neg_lo:[0,0,1] neg_hi:[0,0,1]
	v_pk_fma_f32 v[140:141], v[142:143], v[130:131], v[140:141] op_sel:[0,0,1] op_sel_hi:[1,0,0]
	s_delay_alu instid0(VALU_DEP_1)
	v_mov_b32_e32 v145, v141
	ds_load_2addr_b64 v[140:143], v134 offset0:46 offset1:47
	v_pk_add_f32 v[98:99], v[98:99], v[146:147] neg_lo:[0,1] neg_hi:[0,1]
	v_pk_add_f32 v[24:25], v[24:25], v[144:145] neg_lo:[0,1] neg_hi:[0,1]
	s_wait_dscnt 0x0
	v_pk_mul_f32 v[144:145], v[140:141], v[132:133] op_sel:[0,1]
	s_delay_alu instid0(VALU_DEP_1) | instskip(SKIP_1) | instid1(VALU_DEP_1)
	v_pk_fma_f32 v[146:147], v[140:141], v[130:131], v[144:145] op_sel:[0,0,1] op_sel_hi:[1,1,0] neg_lo:[0,0,1] neg_hi:[0,0,1]
	v_pk_fma_f32 v[140:141], v[140:141], v[130:131], v[144:145] op_sel:[0,0,1] op_sel_hi:[1,0,0]
	v_mov_b32_e32 v147, v141
	v_pk_mul_f32 v[140:141], v[142:143], v[132:133] op_sel:[0,1]
	s_delay_alu instid0(VALU_DEP_1) | instskip(SKIP_1) | instid1(VALU_DEP_1)
	v_pk_fma_f32 v[144:145], v[142:143], v[130:131], v[140:141] op_sel:[0,0,1] op_sel_hi:[1,1,0] neg_lo:[0,0,1] neg_hi:[0,0,1]
	v_pk_fma_f32 v[140:141], v[142:143], v[130:131], v[140:141] op_sel:[0,0,1] op_sel_hi:[1,0,0]
	v_mov_b32_e32 v145, v141
	ds_load_2addr_b64 v[140:143], v134 offset0:48 offset1:49
	v_pk_add_f32 v[28:29], v[28:29], v[146:147] neg_lo:[0,1] neg_hi:[0,1]
	v_pk_add_f32 v[22:23], v[22:23], v[144:145] neg_lo:[0,1] neg_hi:[0,1]
	s_wait_dscnt 0x0
	v_dual_mul_f32 v144, v141, v133 :: v_dual_mul_f32 v146, v141, v130
	s_delay_alu instid0(VALU_DEP_1) | instskip(NEXT) | instid1(VALU_DEP_2)
	v_pk_fma_f32 v[144:145], v[140:141], v[70:71], v[144:145] op_sel_hi:[1,1,0] neg_lo:[0,0,1] neg_hi:[0,0,1]
	v_pk_fma_f32 v[140:141], v[140:141], v[70:71], v[146:147] op_sel:[1,0,0] op_sel_hi:[0,1,0]
	s_delay_alu instid0(VALU_DEP_1) | instskip(SKIP_1) | instid1(VALU_DEP_2)
	v_mov_b32_e32 v145, v141
	v_pk_mul_f32 v[140:141], v[142:143], v[132:133] op_sel:[0,1]
	v_pk_add_f32 v[96:97], v[96:97], v[144:145] neg_lo:[0,1] neg_hi:[0,1]
	s_delay_alu instid0(VALU_DEP_2) | instskip(SKIP_1) | instid1(VALU_DEP_1)
	v_pk_fma_f32 v[144:145], v[142:143], v[130:131], v[140:141] op_sel:[0,0,1] op_sel_hi:[1,1,0] neg_lo:[0,0,1] neg_hi:[0,0,1]
	v_pk_fma_f32 v[140:141], v[142:143], v[130:131], v[140:141] op_sel:[0,0,1] op_sel_hi:[1,0,0]
	v_mov_b32_e32 v145, v141
	ds_load_2addr_b64 v[140:143], v134 offset0:50 offset1:51
	v_pk_add_f32 v[18:19], v[18:19], v[144:145] neg_lo:[0,1] neg_hi:[0,1]
	s_wait_dscnt 0x0
	v_pk_mul_f32 v[144:145], v[140:141], v[132:133] op_sel:[0,1]
	s_delay_alu instid0(VALU_DEP_1) | instskip(SKIP_1) | instid1(VALU_DEP_1)
	v_pk_fma_f32 v[146:147], v[140:141], v[130:131], v[144:145] op_sel:[0,0,1] op_sel_hi:[1,1,0] neg_lo:[0,0,1] neg_hi:[0,0,1]
	v_pk_fma_f32 v[140:141], v[140:141], v[130:131], v[144:145] op_sel:[0,0,1] op_sel_hi:[1,0,0]
	v_mov_b32_e32 v147, v141
	v_pk_mul_f32 v[140:141], v[142:143], v[132:133] op_sel:[0,1]
	s_delay_alu instid0(VALU_DEP_2) | instskip(NEXT) | instid1(VALU_DEP_2)
	v_pk_add_f32 v[20:21], v[20:21], v[146:147] neg_lo:[0,1] neg_hi:[0,1]
	v_pk_fma_f32 v[144:145], v[142:143], v[130:131], v[140:141] op_sel:[0,0,1] op_sel_hi:[1,1,0] neg_lo:[0,0,1] neg_hi:[0,0,1]
	v_pk_fma_f32 v[140:141], v[142:143], v[130:131], v[140:141] op_sel:[0,0,1] op_sel_hi:[1,0,0]
	s_delay_alu instid0(VALU_DEP_1) | instskip(SKIP_4) | instid1(VALU_DEP_1)
	v_mov_b32_e32 v145, v141
	ds_load_2addr_b64 v[140:143], v134 offset0:52 offset1:53
	v_pk_add_f32 v[36:37], v[36:37], v[144:145] neg_lo:[0,1] neg_hi:[0,1]
	s_wait_dscnt 0x0
	v_pk_mul_f32 v[144:145], v[140:141], v[132:133] op_sel:[0,1]
	v_pk_fma_f32 v[146:147], v[140:141], v[130:131], v[144:145] op_sel:[0,0,1] op_sel_hi:[1,1,0] neg_lo:[0,0,1] neg_hi:[0,0,1]
	v_pk_fma_f32 v[140:141], v[140:141], v[130:131], v[144:145] op_sel:[0,0,1] op_sel_hi:[1,0,0]
	v_dual_mul_f32 v144, v143, v133 :: v_dual_mov_b32 v140, v143
	s_delay_alu instid0(VALU_DEP_2) | instskip(NEXT) | instid1(VALU_DEP_2)
	v_dual_mov_b32 v147, v141 :: v_dual_mov_b32 v141, v142
	v_pk_fma_f32 v[144:145], v[142:143], v[70:71], v[144:145] op_sel_hi:[1,1,0] neg_lo:[0,0,1] neg_hi:[0,0,1]
	v_mul_f32_e32 v142, v143, v130
	s_delay_alu instid0(VALU_DEP_3) | instskip(NEXT) | instid1(VALU_DEP_2)
	v_pk_add_f32 v[86:87], v[86:87], v[146:147] neg_lo:[0,1] neg_hi:[0,1]
	v_pk_fma_f32 v[140:141], v[140:141], v[70:71], v[142:143] op_sel_hi:[1,1,0]
	s_delay_alu instid0(VALU_DEP_1) | instskip(SKIP_4) | instid1(VALU_DEP_1)
	v_mov_b32_e32 v145, v141
	ds_load_2addr_b64 v[140:143], v134 offset0:54 offset1:55
	v_pk_add_f32 v[10:11], v[10:11], v[144:145] neg_lo:[0,1] neg_hi:[0,1]
	s_wait_dscnt 0x0
	v_pk_mul_f32 v[144:145], v[140:141], v[132:133] op_sel:[0,1]
	v_pk_fma_f32 v[146:147], v[140:141], v[130:131], v[144:145] op_sel:[0,0,1] op_sel_hi:[1,1,0] neg_lo:[0,0,1] neg_hi:[0,0,1]
	v_pk_fma_f32 v[140:141], v[140:141], v[130:131], v[144:145] op_sel:[0,0,1] op_sel_hi:[1,0,0]
	s_delay_alu instid0(VALU_DEP_1) | instskip(SKIP_1) | instid1(VALU_DEP_1)
	v_mov_b32_e32 v147, v141
	v_pk_mul_f32 v[140:141], v[142:143], v[132:133] op_sel:[0,1]
	v_pk_fma_f32 v[144:145], v[142:143], v[130:131], v[140:141] op_sel:[0,0,1] op_sel_hi:[1,1,0] neg_lo:[0,0,1] neg_hi:[0,0,1]
	v_pk_fma_f32 v[140:141], v[142:143], v[130:131], v[140:141] op_sel:[0,0,1] op_sel_hi:[1,0,0]
	s_delay_alu instid0(VALU_DEP_1)
	v_mov_b32_e32 v145, v141
	ds_load_2addr_b64 v[140:143], v134 offset0:56 offset1:57
	v_pk_add_f32 v[12:13], v[12:13], v[146:147] neg_lo:[0,1] neg_hi:[0,1]
	v_pk_add_f32 v[8:9], v[8:9], v[144:145] neg_lo:[0,1] neg_hi:[0,1]
	s_wait_dscnt 0x0
	v_pk_mul_f32 v[144:145], v[140:141], v[132:133] op_sel:[0,1]
	s_delay_alu instid0(VALU_DEP_1) | instskip(SKIP_1) | instid1(VALU_DEP_1)
	v_pk_fma_f32 v[146:147], v[140:141], v[130:131], v[144:145] op_sel:[0,0,1] op_sel_hi:[1,1,0] neg_lo:[0,0,1] neg_hi:[0,0,1]
	v_pk_fma_f32 v[140:141], v[140:141], v[130:131], v[144:145] op_sel:[0,0,1] op_sel_hi:[1,0,0]
	v_mov_b32_e32 v147, v141
	v_pk_mul_f32 v[140:141], v[142:143], v[132:133] op_sel:[0,1]
	s_delay_alu instid0(VALU_DEP_1) | instskip(SKIP_1) | instid1(VALU_DEP_1)
	v_pk_fma_f32 v[144:145], v[142:143], v[130:131], v[140:141] op_sel:[0,0,1] op_sel_hi:[1,1,0] neg_lo:[0,0,1] neg_hi:[0,0,1]
	v_pk_fma_f32 v[140:141], v[142:143], v[130:131], v[140:141] op_sel:[0,0,1] op_sel_hi:[1,0,0]
	v_mov_b32_e32 v145, v141
	ds_load_2addr_b64 v[140:143], v134 offset0:58 offset1:59
	v_pk_add_f32 v[44:45], v[44:45], v[146:147] neg_lo:[0,1] neg_hi:[0,1]
	v_pk_add_f32 v[6:7], v[6:7], v[144:145] neg_lo:[0,1] neg_hi:[0,1]
	s_wait_dscnt 0x0
	v_dual_mul_f32 v144, v141, v133 :: v_dual_mul_f32 v146, v141, v130
	s_delay_alu instid0(VALU_DEP_1) | instskip(NEXT) | instid1(VALU_DEP_2)
	v_pk_fma_f32 v[144:145], v[140:141], v[70:71], v[144:145] op_sel_hi:[1,1,0] neg_lo:[0,0,1] neg_hi:[0,0,1]
	v_pk_fma_f32 v[140:141], v[140:141], v[70:71], v[146:147] op_sel:[1,0,0] op_sel_hi:[0,1,0]
	s_delay_alu instid0(VALU_DEP_1) | instskip(SKIP_1) | instid1(VALU_DEP_2)
	v_mov_b32_e32 v145, v141
	v_pk_mul_f32 v[140:141], v[142:143], v[132:133] op_sel:[0,1]
	v_pk_add_f32 v[26:27], v[26:27], v[144:145] neg_lo:[0,1] neg_hi:[0,1]
	s_delay_alu instid0(VALU_DEP_2) | instskip(SKIP_1) | instid1(VALU_DEP_1)
	v_pk_fma_f32 v[144:145], v[142:143], v[130:131], v[140:141] op_sel:[0,0,1] op_sel_hi:[1,1,0] neg_lo:[0,0,1] neg_hi:[0,0,1]
	v_pk_fma_f32 v[140:141], v[142:143], v[130:131], v[140:141] op_sel:[0,0,1] op_sel_hi:[1,0,0]
	v_mov_b32_e32 v145, v141
	ds_load_2addr_b64 v[140:143], v134 offset0:60 offset1:61
	v_pk_add_f32 v[16:17], v[16:17], v[144:145] neg_lo:[0,1] neg_hi:[0,1]
	s_wait_dscnt 0x0
	v_pk_mul_f32 v[144:145], v[140:141], v[132:133] op_sel:[0,1]
	v_mul_f32_e32 v132, v143, v133
	s_delay_alu instid0(VALU_DEP_2) | instskip(SKIP_2) | instid1(VALU_DEP_4)
	v_pk_fma_f32 v[146:147], v[140:141], v[130:131], v[144:145] op_sel:[0,0,1] op_sel_hi:[1,1,0] neg_lo:[0,0,1] neg_hi:[0,0,1]
	v_pk_fma_f32 v[140:141], v[140:141], v[130:131], v[144:145] op_sel:[0,0,1] op_sel_hi:[1,0,0]
	v_dual_mov_b32 v140, v143 :: v_dual_mul_f32 v130, v143, v130
	v_pk_fma_f32 v[132:133], v[142:143], v[70:71], v[132:133] op_sel_hi:[1,1,0] neg_lo:[0,0,1] neg_hi:[0,0,1]
	s_delay_alu instid0(VALU_DEP_3) | instskip(NEXT) | instid1(VALU_DEP_1)
	v_dual_mov_b32 v147, v141 :: v_dual_mov_b32 v141, v142
	v_pk_add_f32 v[14:15], v[14:15], v[146:147] neg_lo:[0,1] neg_hi:[0,1]
	s_delay_alu instid0(VALU_DEP_2) | instskip(NEXT) | instid1(VALU_DEP_1)
	v_pk_fma_f32 v[130:131], v[140:141], v[70:71], v[130:131] op_sel_hi:[1,1,0]
	v_mov_b32_e32 v133, v131
	s_delay_alu instid0(VALU_DEP_1)
	v_pk_add_f32 v[128:129], v[128:129], v[132:133] neg_lo:[0,1] neg_hi:[0,1]
.LBB122_419:
	s_or_b32 exec_lo, exec_lo, s0
	v_lshl_add_u32 v130, v138, 3, v134
	s_barrier_signal -1
	s_barrier_wait -1
	ds_store_b64 v130, v[110:111]
	s_wait_dscnt 0x0
	s_barrier_signal -1
	s_barrier_wait -1
	ds_load_b64 v[132:133], v134 offset:160
	v_mov_b32_e32 v130, 20
	s_cmp_lt_i32 s18, 22
	s_cbranch_scc1 .LBB122_422
; %bb.420:
	v_add3_u32 v131, v135, 0, 0xa8
	v_mov_b32_e32 v130, 20
	s_mov_b32 s0, 21
.LBB122_421:                            ; =>This Inner Loop Header: Depth=1
	ds_load_b64 v[140:141], v131
	s_wait_dscnt 0x1
	v_cmp_gt_f32_e32 vcc_lo, 0, v132
	v_cndmask_b32_e64 v142, v132, -v132, vcc_lo
	v_cmp_gt_f32_e32 vcc_lo, 0, v133
	v_cndmask_b32_e64 v144, v133, -v133, vcc_lo
	s_wait_dscnt 0x0
	v_cmp_gt_f32_e32 vcc_lo, 0, v140
	v_cndmask_b32_e64 v143, v140, -v140, vcc_lo
	v_cmp_gt_f32_e32 vcc_lo, 0, v141
	v_cndmask_b32_e64 v145, v141, -v141, vcc_lo
	s_delay_alu instid0(VALU_DEP_1) | instskip(NEXT) | instid1(VALU_DEP_1)
	v_pk_add_f32 v[142:143], v[142:143], v[144:145]
	v_cmp_lt_f32_e32 vcc_lo, v142, v143
	v_dual_add_nc_u32 v131, 8, v131 :: v_dual_cndmask_b32 v133, v133, v141, vcc_lo
	v_cndmask_b32_e32 v132, v132, v140, vcc_lo
	v_cndmask_b32_e64 v130, v130, s0, vcc_lo
	s_add_co_i32 s0, s0, 1
	s_delay_alu instid0(SALU_CYCLE_1)
	s_cmp_lg_u32 s18, s0
	s_cbranch_scc1 .LBB122_421
.LBB122_422:
	s_wait_dscnt 0x0
	v_cmp_eq_f32_e32 vcc_lo, 0, v132
	v_cmp_eq_f32_e64 s0, 0, v133
	s_and_b32 s0, vcc_lo, s0
	s_delay_alu instid0(SALU_CYCLE_1) | instskip(NEXT) | instid1(SALU_CYCLE_1)
	s_and_saveexec_b32 s1, s0
	s_xor_b32 s0, exec_lo, s1
; %bb.423:
	v_cmp_ne_u32_e32 vcc_lo, 0, v136
	v_cndmask_b32_e32 v136, 21, v136, vcc_lo
; %bb.424:
	s_and_not1_saveexec_b32 s0, s0
	s_cbranch_execz .LBB122_430
; %bb.425:
	v_cmp_ngt_f32_e64 s1, |v132|, |v133|
	s_and_saveexec_b32 s12, s1
	s_delay_alu instid0(SALU_CYCLE_1)
	s_xor_b32 s1, exec_lo, s12
	s_cbranch_execz .LBB122_427
; %bb.426:
	v_div_scale_f32 v131, null, v133, v133, v132
	v_div_scale_f32 v141, vcc_lo, v132, v133, v132
	s_delay_alu instid0(VALU_DEP_2) | instskip(SKIP_1) | instid1(TRANS32_DEP_1)
	v_rcp_f32_e32 v139, v131
	v_nop
	v_fma_f32 v140, -v131, v139, 1.0
	s_delay_alu instid0(VALU_DEP_1) | instskip(NEXT) | instid1(VALU_DEP_1)
	v_fmac_f32_e32 v139, v140, v139
	v_mul_f32_e32 v140, v141, v139
	s_delay_alu instid0(VALU_DEP_1) | instskip(NEXT) | instid1(VALU_DEP_1)
	v_fma_f32 v142, -v131, v140, v141
	v_fmac_f32_e32 v140, v142, v139
	s_delay_alu instid0(VALU_DEP_1) | instskip(NEXT) | instid1(VALU_DEP_1)
	v_fma_f32 v131, -v131, v140, v141
	v_div_fmas_f32 v131, v131, v139, v140
	s_delay_alu instid0(VALU_DEP_1) | instskip(NEXT) | instid1(VALU_DEP_1)
	v_div_fixup_f32 v131, v131, v133, v132
	v_fmac_f32_e32 v133, v132, v131
	s_delay_alu instid0(VALU_DEP_1) | instskip(SKIP_1) | instid1(VALU_DEP_2)
	v_div_scale_f32 v132, null, v133, v133, 1.0
	v_div_scale_f32 v141, vcc_lo, 1.0, v133, 1.0
	v_rcp_f32_e32 v139, v132
	v_nop
	s_delay_alu instid0(TRANS32_DEP_1) | instskip(NEXT) | instid1(VALU_DEP_1)
	v_fma_f32 v140, -v132, v139, 1.0
	v_fmac_f32_e32 v139, v140, v139
	s_delay_alu instid0(VALU_DEP_1) | instskip(NEXT) | instid1(VALU_DEP_1)
	v_mul_f32_e32 v140, v141, v139
	v_fma_f32 v142, -v132, v140, v141
	s_delay_alu instid0(VALU_DEP_1) | instskip(NEXT) | instid1(VALU_DEP_1)
	v_fmac_f32_e32 v140, v142, v139
	v_fma_f32 v132, -v132, v140, v141
	s_delay_alu instid0(VALU_DEP_1) | instskip(NEXT) | instid1(VALU_DEP_1)
	v_div_fmas_f32 v132, v132, v139, v140
	v_div_fixup_f32 v133, v132, v133, 1.0
	s_delay_alu instid0(VALU_DEP_1)
	v_mul_f32_e32 v132, v131, v133
	v_xor_b32_e32 v133, 0x80000000, v133
.LBB122_427:
	s_and_not1_saveexec_b32 s1, s1
	s_cbranch_execz .LBB122_429
; %bb.428:
	s_delay_alu instid0(VALU_DEP_1) | instskip(SKIP_1) | instid1(VALU_DEP_2)
	v_div_scale_f32 v131, null, v132, v132, v133
	v_div_scale_f32 v141, vcc_lo, v133, v132, v133
	v_rcp_f32_e32 v139, v131
	v_nop
	s_delay_alu instid0(TRANS32_DEP_1) | instskip(NEXT) | instid1(VALU_DEP_1)
	v_fma_f32 v140, -v131, v139, 1.0
	v_fmac_f32_e32 v139, v140, v139
	s_delay_alu instid0(VALU_DEP_1) | instskip(NEXT) | instid1(VALU_DEP_1)
	v_mul_f32_e32 v140, v141, v139
	v_fma_f32 v142, -v131, v140, v141
	s_delay_alu instid0(VALU_DEP_1) | instskip(NEXT) | instid1(VALU_DEP_1)
	v_fmac_f32_e32 v140, v142, v139
	v_fma_f32 v131, -v131, v140, v141
	s_delay_alu instid0(VALU_DEP_1) | instskip(NEXT) | instid1(VALU_DEP_1)
	v_div_fmas_f32 v131, v131, v139, v140
	v_div_fixup_f32 v131, v131, v132, v133
	s_delay_alu instid0(VALU_DEP_1) | instskip(NEXT) | instid1(VALU_DEP_1)
	v_fmac_f32_e32 v132, v133, v131
	v_div_scale_f32 v133, null, v132, v132, 1.0
	s_delay_alu instid0(VALU_DEP_1) | instskip(SKIP_1) | instid1(TRANS32_DEP_1)
	v_rcp_f32_e32 v139, v133
	v_nop
	v_fma_f32 v140, -v133, v139, 1.0
	s_delay_alu instid0(VALU_DEP_1) | instskip(SKIP_1) | instid1(VALU_DEP_1)
	v_fmac_f32_e32 v139, v140, v139
	v_div_scale_f32 v140, vcc_lo, 1.0, v132, 1.0
	v_mul_f32_e32 v141, v140, v139
	s_delay_alu instid0(VALU_DEP_1) | instskip(NEXT) | instid1(VALU_DEP_1)
	v_fma_f32 v142, -v133, v141, v140
	v_fmac_f32_e32 v141, v142, v139
	s_delay_alu instid0(VALU_DEP_1) | instskip(NEXT) | instid1(VALU_DEP_1)
	v_fma_f32 v133, -v133, v141, v140
	v_div_fmas_f32 v133, v133, v139, v141
	s_delay_alu instid0(VALU_DEP_1) | instskip(NEXT) | instid1(VALU_DEP_1)
	v_div_fixup_f32 v132, v133, v132, 1.0
	v_mul_f32_e64 v133, v131, -v132
.LBB122_429:
	s_or_b32 exec_lo, exec_lo, s1
.LBB122_430:
	s_delay_alu instid0(SALU_CYCLE_1) | instskip(NEXT) | instid1(SALU_CYCLE_1)
	s_or_b32 exec_lo, exec_lo, s0
	s_mov_b32 s0, exec_lo
	v_cmpx_ne_u32_e64 v138, v130
	s_xor_b32 s0, exec_lo, s0
	s_cbranch_execz .LBB122_436
; %bb.431:
	s_mov_b32 s1, exec_lo
	v_cmpx_eq_u32_e32 20, v138
	s_cbranch_execz .LBB122_435
; %bb.432:
	v_cmp_ne_u32_e32 vcc_lo, 20, v130
	s_xor_b32 s12, s16, -1
	s_delay_alu instid0(SALU_CYCLE_1) | instskip(NEXT) | instid1(SALU_CYCLE_1)
	s_and_b32 s13, s12, vcc_lo
	s_and_saveexec_b32 s12, s13
	s_cbranch_execz .LBB122_434
; %bb.433:
	v_ashrrev_i32_e32 v131, 31, v130
	s_delay_alu instid0(VALU_DEP_1)
	v_lshl_add_u64 v[138:139], v[130:131], 2, v[4:5]
	s_clause 0x1
	global_load_b32 v131, v[138:139], off
	global_load_b32 v137, v[4:5], off offset:80
	s_wait_loadcnt 0x1
	global_store_b32 v[4:5], v131, off offset:80
	s_wait_loadcnt 0x0
	global_store_b32 v[138:139], v137, off
.LBB122_434:
	s_wait_xcnt 0x0
	s_or_b32 exec_lo, exec_lo, s12
	v_dual_mov_b32 v138, v130 :: v_dual_mov_b32 v137, v130
.LBB122_435:
	s_or_b32 exec_lo, exec_lo, s1
.LBB122_436:
	s_and_not1_saveexec_b32 s0, s0
	s_cbranch_execz .LBB122_438
; %bb.437:
	v_mov_b32_e32 v138, 20
	ds_store_2addr_b64 v134, v[66:67], v[68:69] offset0:21 offset1:22
	ds_store_2addr_b64 v134, v[64:65], v[108:109] offset0:23 offset1:24
	;; [unrolled: 1-line block ×20, first 2 shown]
	ds_store_b64 v134, v[128:129] offset:488
.LBB122_438:
	s_or_b32 exec_lo, exec_lo, s0
	s_delay_alu instid0(SALU_CYCLE_1)
	s_mov_b32 s0, exec_lo
	s_wait_storecnt_dscnt 0x0
	s_barrier_signal -1
	s_barrier_wait -1
	v_cmpx_lt_i32_e32 20, v138
	s_cbranch_execz .LBB122_440
; %bb.439:
	v_pk_mul_f32 v[140:141], v[132:133], v[110:111] op_sel:[1,1] op_sel_hi:[0,1]
	s_delay_alu instid0(VALU_DEP_1)
	v_pk_fma_f32 v[130:131], v[132:133], v[110:111], v[140:141] op_sel_hi:[1,0,1] neg_lo:[0,0,1] neg_hi:[0,0,1]
	v_pk_fma_f32 v[132:133], v[132:133], v[110:111], v[140:141] op_sel_hi:[1,0,1]
	ds_load_2addr_b64 v[140:143], v134 offset0:21 offset1:22
	v_dual_mov_b32 v110, v130 :: v_dual_mov_b32 v111, v133
	s_wait_dscnt 0x0
	v_pk_mul_f32 v[144:145], v[140:141], v[132:133] op_sel:[0,1]
	s_delay_alu instid0(VALU_DEP_1) | instskip(SKIP_1) | instid1(VALU_DEP_1)
	v_pk_fma_f32 v[146:147], v[140:141], v[130:131], v[144:145] op_sel:[0,0,1] op_sel_hi:[1,1,0] neg_lo:[0,0,1] neg_hi:[0,0,1]
	v_pk_fma_f32 v[140:141], v[140:141], v[130:131], v[144:145] op_sel:[0,0,1] op_sel_hi:[1,0,0]
	v_mov_b32_e32 v147, v141
	v_pk_mul_f32 v[140:141], v[142:143], v[132:133] op_sel:[0,1]
	s_delay_alu instid0(VALU_DEP_1) | instskip(SKIP_1) | instid1(VALU_DEP_1)
	v_pk_fma_f32 v[144:145], v[142:143], v[130:131], v[140:141] op_sel:[0,0,1] op_sel_hi:[1,1,0] neg_lo:[0,0,1] neg_hi:[0,0,1]
	v_pk_fma_f32 v[140:141], v[142:143], v[130:131], v[140:141] op_sel:[0,0,1] op_sel_hi:[1,0,0]
	v_mov_b32_e32 v145, v141
	ds_load_2addr_b64 v[140:143], v134 offset0:23 offset1:24
	v_pk_add_f32 v[66:67], v[66:67], v[146:147] neg_lo:[0,1] neg_hi:[0,1]
	v_pk_add_f32 v[68:69], v[68:69], v[144:145] neg_lo:[0,1] neg_hi:[0,1]
	s_wait_dscnt 0x0
	v_pk_mul_f32 v[144:145], v[140:141], v[132:133] op_sel:[0,1]
	s_delay_alu instid0(VALU_DEP_1) | instskip(SKIP_2) | instid1(VALU_DEP_2)
	v_pk_fma_f32 v[146:147], v[140:141], v[130:131], v[144:145] op_sel:[0,0,1] op_sel_hi:[1,1,0] neg_lo:[0,0,1] neg_hi:[0,0,1]
	v_pk_fma_f32 v[140:141], v[140:141], v[130:131], v[144:145] op_sel:[0,0,1] op_sel_hi:[1,0,0]
	v_dual_mul_f32 v144, v143, v133 :: v_dual_mov_b32 v140, v143
	v_dual_mov_b32 v147, v141 :: v_dual_mov_b32 v141, v142
	s_delay_alu instid0(VALU_DEP_2) | instskip(SKIP_1) | instid1(VALU_DEP_3)
	v_pk_fma_f32 v[144:145], v[142:143], v[110:111], v[144:145] op_sel_hi:[1,1,0] neg_lo:[0,0,1] neg_hi:[0,0,1]
	v_mul_f32_e32 v142, v143, v130
	v_pk_add_f32 v[64:65], v[64:65], v[146:147] neg_lo:[0,1] neg_hi:[0,1]
	s_delay_alu instid0(VALU_DEP_2) | instskip(NEXT) | instid1(VALU_DEP_1)
	v_pk_fma_f32 v[140:141], v[140:141], v[110:111], v[142:143] op_sel_hi:[1,1,0]
	v_mov_b32_e32 v145, v141
	ds_load_2addr_b64 v[140:143], v134 offset0:25 offset1:26
	v_pk_add_f32 v[108:109], v[108:109], v[144:145] neg_lo:[0,1] neg_hi:[0,1]
	s_wait_dscnt 0x0
	v_pk_mul_f32 v[144:145], v[140:141], v[132:133] op_sel:[0,1]
	s_delay_alu instid0(VALU_DEP_1) | instskip(SKIP_1) | instid1(VALU_DEP_1)
	v_pk_fma_f32 v[146:147], v[140:141], v[130:131], v[144:145] op_sel:[0,0,1] op_sel_hi:[1,1,0] neg_lo:[0,0,1] neg_hi:[0,0,1]
	v_pk_fma_f32 v[140:141], v[140:141], v[130:131], v[144:145] op_sel:[0,0,1] op_sel_hi:[1,0,0]
	v_mov_b32_e32 v147, v141
	v_pk_mul_f32 v[140:141], v[142:143], v[132:133] op_sel:[0,1]
	s_delay_alu instid0(VALU_DEP_1) | instskip(SKIP_1) | instid1(VALU_DEP_1)
	v_pk_fma_f32 v[144:145], v[142:143], v[130:131], v[140:141] op_sel:[0,0,1] op_sel_hi:[1,1,0] neg_lo:[0,0,1] neg_hi:[0,0,1]
	v_pk_fma_f32 v[140:141], v[142:143], v[130:131], v[140:141] op_sel:[0,0,1] op_sel_hi:[1,0,0]
	v_mov_b32_e32 v145, v141
	ds_load_2addr_b64 v[140:143], v134 offset0:27 offset1:28
	v_pk_add_f32 v[60:61], v[60:61], v[146:147] neg_lo:[0,1] neg_hi:[0,1]
	v_pk_add_f32 v[62:63], v[62:63], v[144:145] neg_lo:[0,1] neg_hi:[0,1]
	s_wait_dscnt 0x0
	v_pk_mul_f32 v[144:145], v[140:141], v[132:133] op_sel:[0,1]
	s_delay_alu instid0(VALU_DEP_1) | instskip(SKIP_1) | instid1(VALU_DEP_1)
	v_pk_fma_f32 v[146:147], v[140:141], v[130:131], v[144:145] op_sel:[0,0,1] op_sel_hi:[1,1,0] neg_lo:[0,0,1] neg_hi:[0,0,1]
	v_pk_fma_f32 v[140:141], v[140:141], v[130:131], v[144:145] op_sel:[0,0,1] op_sel_hi:[1,0,0]
	v_mov_b32_e32 v147, v141
	v_pk_mul_f32 v[140:141], v[142:143], v[132:133] op_sel:[0,1]
	s_delay_alu instid0(VALU_DEP_1) | instskip(SKIP_1) | instid1(VALU_DEP_1)
	v_pk_fma_f32 v[144:145], v[142:143], v[130:131], v[140:141] op_sel:[0,0,1] op_sel_hi:[1,1,0] neg_lo:[0,0,1] neg_hi:[0,0,1]
	v_pk_fma_f32 v[140:141], v[142:143], v[130:131], v[140:141] op_sel:[0,0,1] op_sel_hi:[1,0,0]
	v_mov_b32_e32 v145, v141
	ds_load_2addr_b64 v[140:143], v134 offset0:29 offset1:30
	v_pk_add_f32 v[58:59], v[58:59], v[146:147] neg_lo:[0,1] neg_hi:[0,1]
	v_pk_add_f32 v[106:107], v[106:107], v[144:145] neg_lo:[0,1] neg_hi:[0,1]
	s_wait_dscnt 0x0
	v_dual_mul_f32 v144, v141, v133 :: v_dual_mul_f32 v146, v141, v130
	s_delay_alu instid0(VALU_DEP_1) | instskip(NEXT) | instid1(VALU_DEP_2)
	v_pk_fma_f32 v[144:145], v[140:141], v[110:111], v[144:145] op_sel_hi:[1,1,0] neg_lo:[0,0,1] neg_hi:[0,0,1]
	v_pk_fma_f32 v[140:141], v[140:141], v[110:111], v[146:147] op_sel:[1,0,0] op_sel_hi:[0,1,0]
	s_delay_alu instid0(VALU_DEP_1) | instskip(SKIP_1) | instid1(VALU_DEP_2)
	v_mov_b32_e32 v145, v141
	v_pk_mul_f32 v[140:141], v[142:143], v[132:133] op_sel:[0,1]
	v_pk_add_f32 v[54:55], v[54:55], v[144:145] neg_lo:[0,1] neg_hi:[0,1]
	s_delay_alu instid0(VALU_DEP_2) | instskip(SKIP_1) | instid1(VALU_DEP_1)
	v_pk_fma_f32 v[144:145], v[142:143], v[130:131], v[140:141] op_sel:[0,0,1] op_sel_hi:[1,1,0] neg_lo:[0,0,1] neg_hi:[0,0,1]
	v_pk_fma_f32 v[140:141], v[142:143], v[130:131], v[140:141] op_sel:[0,0,1] op_sel_hi:[1,0,0]
	v_mov_b32_e32 v145, v141
	ds_load_2addr_b64 v[140:143], v134 offset0:31 offset1:32
	v_pk_add_f32 v[56:57], v[56:57], v[144:145] neg_lo:[0,1] neg_hi:[0,1]
	s_wait_dscnt 0x0
	v_pk_mul_f32 v[144:145], v[140:141], v[132:133] op_sel:[0,1]
	s_delay_alu instid0(VALU_DEP_1) | instskip(SKIP_1) | instid1(VALU_DEP_1)
	v_pk_fma_f32 v[146:147], v[140:141], v[130:131], v[144:145] op_sel:[0,0,1] op_sel_hi:[1,1,0] neg_lo:[0,0,1] neg_hi:[0,0,1]
	v_pk_fma_f32 v[140:141], v[140:141], v[130:131], v[144:145] op_sel:[0,0,1] op_sel_hi:[1,0,0]
	v_mov_b32_e32 v147, v141
	v_pk_mul_f32 v[140:141], v[142:143], v[132:133] op_sel:[0,1]
	s_delay_alu instid0(VALU_DEP_2) | instskip(NEXT) | instid1(VALU_DEP_2)
	v_pk_add_f32 v[52:53], v[52:53], v[146:147] neg_lo:[0,1] neg_hi:[0,1]
	v_pk_fma_f32 v[144:145], v[142:143], v[130:131], v[140:141] op_sel:[0,0,1] op_sel_hi:[1,1,0] neg_lo:[0,0,1] neg_hi:[0,0,1]
	v_pk_fma_f32 v[140:141], v[142:143], v[130:131], v[140:141] op_sel:[0,0,1] op_sel_hi:[1,0,0]
	s_delay_alu instid0(VALU_DEP_1) | instskip(SKIP_4) | instid1(VALU_DEP_1)
	v_mov_b32_e32 v145, v141
	ds_load_2addr_b64 v[140:143], v134 offset0:33 offset1:34
	v_pk_add_f32 v[104:105], v[104:105], v[144:145] neg_lo:[0,1] neg_hi:[0,1]
	s_wait_dscnt 0x0
	v_pk_mul_f32 v[144:145], v[140:141], v[132:133] op_sel:[0,1]
	v_pk_fma_f32 v[146:147], v[140:141], v[130:131], v[144:145] op_sel:[0,0,1] op_sel_hi:[1,1,0] neg_lo:[0,0,1] neg_hi:[0,0,1]
	v_pk_fma_f32 v[140:141], v[140:141], v[130:131], v[144:145] op_sel:[0,0,1] op_sel_hi:[1,0,0]
	v_dual_mul_f32 v144, v143, v133 :: v_dual_mov_b32 v140, v143
	s_delay_alu instid0(VALU_DEP_2) | instskip(NEXT) | instid1(VALU_DEP_2)
	v_dual_mov_b32 v147, v141 :: v_dual_mov_b32 v141, v142
	v_pk_fma_f32 v[144:145], v[142:143], v[110:111], v[144:145] op_sel_hi:[1,1,0] neg_lo:[0,0,1] neg_hi:[0,0,1]
	v_mul_f32_e32 v142, v143, v130
	s_delay_alu instid0(VALU_DEP_3) | instskip(NEXT) | instid1(VALU_DEP_2)
	v_pk_add_f32 v[48:49], v[48:49], v[146:147] neg_lo:[0,1] neg_hi:[0,1]
	v_pk_fma_f32 v[140:141], v[140:141], v[110:111], v[142:143] op_sel_hi:[1,1,0]
	s_delay_alu instid0(VALU_DEP_1) | instskip(SKIP_4) | instid1(VALU_DEP_1)
	v_mov_b32_e32 v145, v141
	ds_load_2addr_b64 v[140:143], v134 offset0:35 offset1:36
	v_pk_add_f32 v[50:51], v[50:51], v[144:145] neg_lo:[0,1] neg_hi:[0,1]
	s_wait_dscnt 0x0
	v_pk_mul_f32 v[144:145], v[140:141], v[132:133] op_sel:[0,1]
	v_pk_fma_f32 v[146:147], v[140:141], v[130:131], v[144:145] op_sel:[0,0,1] op_sel_hi:[1,1,0] neg_lo:[0,0,1] neg_hi:[0,0,1]
	v_pk_fma_f32 v[140:141], v[140:141], v[130:131], v[144:145] op_sel:[0,0,1] op_sel_hi:[1,0,0]
	s_delay_alu instid0(VALU_DEP_1) | instskip(SKIP_1) | instid1(VALU_DEP_1)
	v_mov_b32_e32 v147, v141
	v_pk_mul_f32 v[140:141], v[142:143], v[132:133] op_sel:[0,1]
	v_pk_fma_f32 v[144:145], v[142:143], v[130:131], v[140:141] op_sel:[0,0,1] op_sel_hi:[1,1,0] neg_lo:[0,0,1] neg_hi:[0,0,1]
	v_pk_fma_f32 v[140:141], v[142:143], v[130:131], v[140:141] op_sel:[0,0,1] op_sel_hi:[1,0,0]
	s_delay_alu instid0(VALU_DEP_1)
	v_mov_b32_e32 v145, v141
	ds_load_2addr_b64 v[140:143], v134 offset0:37 offset1:38
	v_pk_add_f32 v[46:47], v[46:47], v[146:147] neg_lo:[0,1] neg_hi:[0,1]
	v_pk_add_f32 v[102:103], v[102:103], v[144:145] neg_lo:[0,1] neg_hi:[0,1]
	s_wait_dscnt 0x0
	v_pk_mul_f32 v[144:145], v[140:141], v[132:133] op_sel:[0,1]
	s_delay_alu instid0(VALU_DEP_1) | instskip(SKIP_1) | instid1(VALU_DEP_1)
	v_pk_fma_f32 v[146:147], v[140:141], v[130:131], v[144:145] op_sel:[0,0,1] op_sel_hi:[1,1,0] neg_lo:[0,0,1] neg_hi:[0,0,1]
	v_pk_fma_f32 v[140:141], v[140:141], v[130:131], v[144:145] op_sel:[0,0,1] op_sel_hi:[1,0,0]
	v_mov_b32_e32 v147, v141
	v_pk_mul_f32 v[140:141], v[142:143], v[132:133] op_sel:[0,1]
	s_delay_alu instid0(VALU_DEP_1) | instskip(SKIP_1) | instid1(VALU_DEP_1)
	v_pk_fma_f32 v[144:145], v[142:143], v[130:131], v[140:141] op_sel:[0,0,1] op_sel_hi:[1,1,0] neg_lo:[0,0,1] neg_hi:[0,0,1]
	v_pk_fma_f32 v[140:141], v[142:143], v[130:131], v[140:141] op_sel:[0,0,1] op_sel_hi:[1,0,0]
	v_mov_b32_e32 v145, v141
	ds_load_2addr_b64 v[140:143], v134 offset0:39 offset1:40
	v_pk_add_f32 v[40:41], v[40:41], v[146:147] neg_lo:[0,1] neg_hi:[0,1]
	v_pk_add_f32 v[42:43], v[42:43], v[144:145] neg_lo:[0,1] neg_hi:[0,1]
	s_wait_dscnt 0x0
	v_dual_mul_f32 v144, v141, v133 :: v_dual_mul_f32 v146, v141, v130
	s_delay_alu instid0(VALU_DEP_1) | instskip(NEXT) | instid1(VALU_DEP_2)
	v_pk_fma_f32 v[144:145], v[140:141], v[110:111], v[144:145] op_sel_hi:[1,1,0] neg_lo:[0,0,1] neg_hi:[0,0,1]
	v_pk_fma_f32 v[140:141], v[140:141], v[110:111], v[146:147] op_sel:[1,0,0] op_sel_hi:[0,1,0]
	s_delay_alu instid0(VALU_DEP_1) | instskip(SKIP_1) | instid1(VALU_DEP_2)
	v_mov_b32_e32 v145, v141
	v_pk_mul_f32 v[140:141], v[142:143], v[132:133] op_sel:[0,1]
	v_pk_add_f32 v[38:39], v[38:39], v[144:145] neg_lo:[0,1] neg_hi:[0,1]
	s_delay_alu instid0(VALU_DEP_2) | instskip(SKIP_1) | instid1(VALU_DEP_1)
	v_pk_fma_f32 v[144:145], v[142:143], v[130:131], v[140:141] op_sel:[0,0,1] op_sel_hi:[1,1,0] neg_lo:[0,0,1] neg_hi:[0,0,1]
	v_pk_fma_f32 v[140:141], v[142:143], v[130:131], v[140:141] op_sel:[0,0,1] op_sel_hi:[1,0,0]
	v_mov_b32_e32 v145, v141
	ds_load_2addr_b64 v[140:143], v134 offset0:41 offset1:42
	v_pk_add_f32 v[100:101], v[100:101], v[144:145] neg_lo:[0,1] neg_hi:[0,1]
	s_wait_dscnt 0x0
	v_pk_mul_f32 v[144:145], v[140:141], v[132:133] op_sel:[0,1]
	s_delay_alu instid0(VALU_DEP_1) | instskip(SKIP_1) | instid1(VALU_DEP_1)
	v_pk_fma_f32 v[146:147], v[140:141], v[130:131], v[144:145] op_sel:[0,0,1] op_sel_hi:[1,1,0] neg_lo:[0,0,1] neg_hi:[0,0,1]
	v_pk_fma_f32 v[140:141], v[140:141], v[130:131], v[144:145] op_sel:[0,0,1] op_sel_hi:[1,0,0]
	v_mov_b32_e32 v147, v141
	v_pk_mul_f32 v[140:141], v[142:143], v[132:133] op_sel:[0,1]
	s_delay_alu instid0(VALU_DEP_2) | instskip(NEXT) | instid1(VALU_DEP_2)
	v_pk_add_f32 v[32:33], v[32:33], v[146:147] neg_lo:[0,1] neg_hi:[0,1]
	v_pk_fma_f32 v[144:145], v[142:143], v[130:131], v[140:141] op_sel:[0,0,1] op_sel_hi:[1,1,0] neg_lo:[0,0,1] neg_hi:[0,0,1]
	v_pk_fma_f32 v[140:141], v[142:143], v[130:131], v[140:141] op_sel:[0,0,1] op_sel_hi:[1,0,0]
	s_delay_alu instid0(VALU_DEP_1) | instskip(SKIP_4) | instid1(VALU_DEP_1)
	v_mov_b32_e32 v145, v141
	ds_load_2addr_b64 v[140:143], v134 offset0:43 offset1:44
	v_pk_add_f32 v[34:35], v[34:35], v[144:145] neg_lo:[0,1] neg_hi:[0,1]
	s_wait_dscnt 0x0
	v_pk_mul_f32 v[144:145], v[140:141], v[132:133] op_sel:[0,1]
	v_pk_fma_f32 v[146:147], v[140:141], v[130:131], v[144:145] op_sel:[0,0,1] op_sel_hi:[1,1,0] neg_lo:[0,0,1] neg_hi:[0,0,1]
	v_pk_fma_f32 v[140:141], v[140:141], v[130:131], v[144:145] op_sel:[0,0,1] op_sel_hi:[1,0,0]
	v_dual_mul_f32 v144, v143, v133 :: v_dual_mov_b32 v140, v143
	s_delay_alu instid0(VALU_DEP_2) | instskip(NEXT) | instid1(VALU_DEP_2)
	v_dual_mov_b32 v147, v141 :: v_dual_mov_b32 v141, v142
	v_pk_fma_f32 v[144:145], v[142:143], v[110:111], v[144:145] op_sel_hi:[1,1,0] neg_lo:[0,0,1] neg_hi:[0,0,1]
	v_mul_f32_e32 v142, v143, v130
	s_delay_alu instid0(VALU_DEP_3) | instskip(NEXT) | instid1(VALU_DEP_2)
	v_pk_add_f32 v[30:31], v[30:31], v[146:147] neg_lo:[0,1] neg_hi:[0,1]
	v_pk_fma_f32 v[140:141], v[140:141], v[110:111], v[142:143] op_sel_hi:[1,1,0]
	s_delay_alu instid0(VALU_DEP_1) | instskip(SKIP_4) | instid1(VALU_DEP_1)
	v_mov_b32_e32 v145, v141
	ds_load_2addr_b64 v[140:143], v134 offset0:45 offset1:46
	v_pk_add_f32 v[98:99], v[98:99], v[144:145] neg_lo:[0,1] neg_hi:[0,1]
	s_wait_dscnt 0x0
	v_pk_mul_f32 v[144:145], v[140:141], v[132:133] op_sel:[0,1]
	v_pk_fma_f32 v[146:147], v[140:141], v[130:131], v[144:145] op_sel:[0,0,1] op_sel_hi:[1,1,0] neg_lo:[0,0,1] neg_hi:[0,0,1]
	v_pk_fma_f32 v[140:141], v[140:141], v[130:131], v[144:145] op_sel:[0,0,1] op_sel_hi:[1,0,0]
	s_delay_alu instid0(VALU_DEP_1) | instskip(SKIP_1) | instid1(VALU_DEP_1)
	v_mov_b32_e32 v147, v141
	v_pk_mul_f32 v[140:141], v[142:143], v[132:133] op_sel:[0,1]
	v_pk_fma_f32 v[144:145], v[142:143], v[130:131], v[140:141] op_sel:[0,0,1] op_sel_hi:[1,1,0] neg_lo:[0,0,1] neg_hi:[0,0,1]
	v_pk_fma_f32 v[140:141], v[142:143], v[130:131], v[140:141] op_sel:[0,0,1] op_sel_hi:[1,0,0]
	s_delay_alu instid0(VALU_DEP_1)
	v_mov_b32_e32 v145, v141
	ds_load_2addr_b64 v[140:143], v134 offset0:47 offset1:48
	v_pk_add_f32 v[24:25], v[24:25], v[146:147] neg_lo:[0,1] neg_hi:[0,1]
	v_pk_add_f32 v[28:29], v[28:29], v[144:145] neg_lo:[0,1] neg_hi:[0,1]
	s_wait_dscnt 0x0
	v_pk_mul_f32 v[144:145], v[140:141], v[132:133] op_sel:[0,1]
	s_delay_alu instid0(VALU_DEP_1) | instskip(SKIP_1) | instid1(VALU_DEP_1)
	v_pk_fma_f32 v[146:147], v[140:141], v[130:131], v[144:145] op_sel:[0,0,1] op_sel_hi:[1,1,0] neg_lo:[0,0,1] neg_hi:[0,0,1]
	v_pk_fma_f32 v[140:141], v[140:141], v[130:131], v[144:145] op_sel:[0,0,1] op_sel_hi:[1,0,0]
	v_mov_b32_e32 v147, v141
	v_pk_mul_f32 v[140:141], v[142:143], v[132:133] op_sel:[0,1]
	s_delay_alu instid0(VALU_DEP_1) | instskip(SKIP_1) | instid1(VALU_DEP_1)
	v_pk_fma_f32 v[144:145], v[142:143], v[130:131], v[140:141] op_sel:[0,0,1] op_sel_hi:[1,1,0] neg_lo:[0,0,1] neg_hi:[0,0,1]
	v_pk_fma_f32 v[140:141], v[142:143], v[130:131], v[140:141] op_sel:[0,0,1] op_sel_hi:[1,0,0]
	v_mov_b32_e32 v145, v141
	ds_load_2addr_b64 v[140:143], v134 offset0:49 offset1:50
	v_pk_add_f32 v[22:23], v[22:23], v[146:147] neg_lo:[0,1] neg_hi:[0,1]
	v_pk_add_f32 v[96:97], v[96:97], v[144:145] neg_lo:[0,1] neg_hi:[0,1]
	s_wait_dscnt 0x0
	v_dual_mul_f32 v144, v141, v133 :: v_dual_mul_f32 v146, v141, v130
	s_delay_alu instid0(VALU_DEP_1) | instskip(NEXT) | instid1(VALU_DEP_2)
	v_pk_fma_f32 v[144:145], v[140:141], v[110:111], v[144:145] op_sel_hi:[1,1,0] neg_lo:[0,0,1] neg_hi:[0,0,1]
	v_pk_fma_f32 v[140:141], v[140:141], v[110:111], v[146:147] op_sel:[1,0,0] op_sel_hi:[0,1,0]
	s_delay_alu instid0(VALU_DEP_1) | instskip(SKIP_1) | instid1(VALU_DEP_2)
	v_mov_b32_e32 v145, v141
	v_pk_mul_f32 v[140:141], v[142:143], v[132:133] op_sel:[0,1]
	v_pk_add_f32 v[18:19], v[18:19], v[144:145] neg_lo:[0,1] neg_hi:[0,1]
	s_delay_alu instid0(VALU_DEP_2) | instskip(SKIP_1) | instid1(VALU_DEP_1)
	v_pk_fma_f32 v[144:145], v[142:143], v[130:131], v[140:141] op_sel:[0,0,1] op_sel_hi:[1,1,0] neg_lo:[0,0,1] neg_hi:[0,0,1]
	v_pk_fma_f32 v[140:141], v[142:143], v[130:131], v[140:141] op_sel:[0,0,1] op_sel_hi:[1,0,0]
	v_mov_b32_e32 v145, v141
	ds_load_2addr_b64 v[140:143], v134 offset0:51 offset1:52
	v_pk_add_f32 v[20:21], v[20:21], v[144:145] neg_lo:[0,1] neg_hi:[0,1]
	s_wait_dscnt 0x0
	v_pk_mul_f32 v[144:145], v[140:141], v[132:133] op_sel:[0,1]
	s_delay_alu instid0(VALU_DEP_1) | instskip(SKIP_1) | instid1(VALU_DEP_1)
	v_pk_fma_f32 v[146:147], v[140:141], v[130:131], v[144:145] op_sel:[0,0,1] op_sel_hi:[1,1,0] neg_lo:[0,0,1] neg_hi:[0,0,1]
	v_pk_fma_f32 v[140:141], v[140:141], v[130:131], v[144:145] op_sel:[0,0,1] op_sel_hi:[1,0,0]
	v_mov_b32_e32 v147, v141
	v_pk_mul_f32 v[140:141], v[142:143], v[132:133] op_sel:[0,1]
	s_delay_alu instid0(VALU_DEP_2) | instskip(NEXT) | instid1(VALU_DEP_2)
	v_pk_add_f32 v[36:37], v[36:37], v[146:147] neg_lo:[0,1] neg_hi:[0,1]
	v_pk_fma_f32 v[144:145], v[142:143], v[130:131], v[140:141] op_sel:[0,0,1] op_sel_hi:[1,1,0] neg_lo:[0,0,1] neg_hi:[0,0,1]
	v_pk_fma_f32 v[140:141], v[142:143], v[130:131], v[140:141] op_sel:[0,0,1] op_sel_hi:[1,0,0]
	s_delay_alu instid0(VALU_DEP_1) | instskip(SKIP_4) | instid1(VALU_DEP_1)
	v_mov_b32_e32 v145, v141
	ds_load_2addr_b64 v[140:143], v134 offset0:53 offset1:54
	v_pk_add_f32 v[86:87], v[86:87], v[144:145] neg_lo:[0,1] neg_hi:[0,1]
	s_wait_dscnt 0x0
	v_pk_mul_f32 v[144:145], v[140:141], v[132:133] op_sel:[0,1]
	v_pk_fma_f32 v[146:147], v[140:141], v[130:131], v[144:145] op_sel:[0,0,1] op_sel_hi:[1,1,0] neg_lo:[0,0,1] neg_hi:[0,0,1]
	v_pk_fma_f32 v[140:141], v[140:141], v[130:131], v[144:145] op_sel:[0,0,1] op_sel_hi:[1,0,0]
	v_dual_mul_f32 v144, v143, v133 :: v_dual_mov_b32 v140, v143
	s_delay_alu instid0(VALU_DEP_2) | instskip(NEXT) | instid1(VALU_DEP_2)
	v_dual_mov_b32 v147, v141 :: v_dual_mov_b32 v141, v142
	v_pk_fma_f32 v[144:145], v[142:143], v[110:111], v[144:145] op_sel_hi:[1,1,0] neg_lo:[0,0,1] neg_hi:[0,0,1]
	v_mul_f32_e32 v142, v143, v130
	s_delay_alu instid0(VALU_DEP_3) | instskip(NEXT) | instid1(VALU_DEP_2)
	v_pk_add_f32 v[10:11], v[10:11], v[146:147] neg_lo:[0,1] neg_hi:[0,1]
	v_pk_fma_f32 v[140:141], v[140:141], v[110:111], v[142:143] op_sel_hi:[1,1,0]
	s_delay_alu instid0(VALU_DEP_1) | instskip(SKIP_4) | instid1(VALU_DEP_1)
	v_mov_b32_e32 v145, v141
	ds_load_2addr_b64 v[140:143], v134 offset0:55 offset1:56
	v_pk_add_f32 v[12:13], v[12:13], v[144:145] neg_lo:[0,1] neg_hi:[0,1]
	s_wait_dscnt 0x0
	v_pk_mul_f32 v[144:145], v[140:141], v[132:133] op_sel:[0,1]
	v_pk_fma_f32 v[146:147], v[140:141], v[130:131], v[144:145] op_sel:[0,0,1] op_sel_hi:[1,1,0] neg_lo:[0,0,1] neg_hi:[0,0,1]
	v_pk_fma_f32 v[140:141], v[140:141], v[130:131], v[144:145] op_sel:[0,0,1] op_sel_hi:[1,0,0]
	s_delay_alu instid0(VALU_DEP_1) | instskip(SKIP_1) | instid1(VALU_DEP_1)
	v_mov_b32_e32 v147, v141
	v_pk_mul_f32 v[140:141], v[142:143], v[132:133] op_sel:[0,1]
	v_pk_fma_f32 v[144:145], v[142:143], v[130:131], v[140:141] op_sel:[0,0,1] op_sel_hi:[1,1,0] neg_lo:[0,0,1] neg_hi:[0,0,1]
	v_pk_fma_f32 v[140:141], v[142:143], v[130:131], v[140:141] op_sel:[0,0,1] op_sel_hi:[1,0,0]
	s_delay_alu instid0(VALU_DEP_1)
	v_mov_b32_e32 v145, v141
	ds_load_2addr_b64 v[140:143], v134 offset0:57 offset1:58
	v_pk_add_f32 v[8:9], v[8:9], v[146:147] neg_lo:[0,1] neg_hi:[0,1]
	v_pk_add_f32 v[44:45], v[44:45], v[144:145] neg_lo:[0,1] neg_hi:[0,1]
	s_wait_dscnt 0x0
	v_pk_mul_f32 v[144:145], v[140:141], v[132:133] op_sel:[0,1]
	s_delay_alu instid0(VALU_DEP_1) | instskip(SKIP_1) | instid1(VALU_DEP_1)
	v_pk_fma_f32 v[146:147], v[140:141], v[130:131], v[144:145] op_sel:[0,0,1] op_sel_hi:[1,1,0] neg_lo:[0,0,1] neg_hi:[0,0,1]
	v_pk_fma_f32 v[140:141], v[140:141], v[130:131], v[144:145] op_sel:[0,0,1] op_sel_hi:[1,0,0]
	v_mov_b32_e32 v147, v141
	v_pk_mul_f32 v[140:141], v[142:143], v[132:133] op_sel:[0,1]
	s_delay_alu instid0(VALU_DEP_1) | instskip(SKIP_1) | instid1(VALU_DEP_1)
	v_pk_fma_f32 v[144:145], v[142:143], v[130:131], v[140:141] op_sel:[0,0,1] op_sel_hi:[1,1,0] neg_lo:[0,0,1] neg_hi:[0,0,1]
	v_pk_fma_f32 v[140:141], v[142:143], v[130:131], v[140:141] op_sel:[0,0,1] op_sel_hi:[1,0,0]
	v_mov_b32_e32 v145, v141
	ds_load_2addr_b64 v[140:143], v134 offset0:59 offset1:60
	v_pk_add_f32 v[6:7], v[6:7], v[146:147] neg_lo:[0,1] neg_hi:[0,1]
	v_pk_add_f32 v[26:27], v[26:27], v[144:145] neg_lo:[0,1] neg_hi:[0,1]
	s_wait_dscnt 0x0
	v_dual_mul_f32 v144, v141, v133 :: v_dual_mul_f32 v146, v141, v130
	s_delay_alu instid0(VALU_DEP_1) | instskip(NEXT) | instid1(VALU_DEP_2)
	v_pk_fma_f32 v[144:145], v[140:141], v[110:111], v[144:145] op_sel_hi:[1,1,0] neg_lo:[0,0,1] neg_hi:[0,0,1]
	v_pk_fma_f32 v[140:141], v[140:141], v[110:111], v[146:147] op_sel:[1,0,0] op_sel_hi:[0,1,0]
	s_delay_alu instid0(VALU_DEP_1) | instskip(SKIP_1) | instid1(VALU_DEP_2)
	v_mov_b32_e32 v145, v141
	v_pk_mul_f32 v[140:141], v[142:143], v[132:133] op_sel:[0,1]
	v_pk_add_f32 v[16:17], v[16:17], v[144:145] neg_lo:[0,1] neg_hi:[0,1]
	s_delay_alu instid0(VALU_DEP_2) | instskip(SKIP_1) | instid1(VALU_DEP_1)
	v_pk_fma_f32 v[144:145], v[142:143], v[130:131], v[140:141] op_sel:[0,0,1] op_sel_hi:[1,1,0] neg_lo:[0,0,1] neg_hi:[0,0,1]
	v_pk_fma_f32 v[140:141], v[142:143], v[130:131], v[140:141] op_sel:[0,0,1] op_sel_hi:[1,0,0]
	v_mov_b32_e32 v145, v141
	ds_load_b64 v[140:141], v134 offset:488
	v_pk_add_f32 v[14:15], v[14:15], v[144:145] neg_lo:[0,1] neg_hi:[0,1]
	s_wait_dscnt 0x0
	v_pk_mul_f32 v[132:133], v[140:141], v[132:133] op_sel:[0,1]
	s_delay_alu instid0(VALU_DEP_1) | instskip(SKIP_1) | instid1(VALU_DEP_1)
	v_pk_fma_f32 v[142:143], v[140:141], v[130:131], v[132:133] op_sel:[0,0,1] op_sel_hi:[1,1,0] neg_lo:[0,0,1] neg_hi:[0,0,1]
	v_pk_fma_f32 v[130:131], v[140:141], v[130:131], v[132:133] op_sel:[0,0,1] op_sel_hi:[1,0,0]
	v_mov_b32_e32 v143, v131
	s_delay_alu instid0(VALU_DEP_1)
	v_pk_add_f32 v[128:129], v[128:129], v[142:143] neg_lo:[0,1] neg_hi:[0,1]
.LBB122_440:
	s_or_b32 exec_lo, exec_lo, s0
	v_lshl_add_u32 v130, v138, 3, v134
	s_barrier_signal -1
	s_barrier_wait -1
	ds_store_b64 v130, v[66:67]
	s_wait_dscnt 0x0
	s_barrier_signal -1
	s_barrier_wait -1
	ds_load_b64 v[132:133], v134 offset:168
	v_mov_b32_e32 v130, 21
	s_cmp_lt_i32 s18, 23
	s_cbranch_scc1 .LBB122_443
; %bb.441:
	v_add3_u32 v131, v135, 0, 0xb0
	v_mov_b32_e32 v130, 21
	s_mov_b32 s0, 22
.LBB122_442:                            ; =>This Inner Loop Header: Depth=1
	ds_load_b64 v[140:141], v131
	s_wait_dscnt 0x1
	v_cmp_gt_f32_e32 vcc_lo, 0, v132
	v_cndmask_b32_e64 v142, v132, -v132, vcc_lo
	v_cmp_gt_f32_e32 vcc_lo, 0, v133
	v_cndmask_b32_e64 v144, v133, -v133, vcc_lo
	s_wait_dscnt 0x0
	v_cmp_gt_f32_e32 vcc_lo, 0, v140
	v_cndmask_b32_e64 v143, v140, -v140, vcc_lo
	v_cmp_gt_f32_e32 vcc_lo, 0, v141
	v_cndmask_b32_e64 v145, v141, -v141, vcc_lo
	s_delay_alu instid0(VALU_DEP_1) | instskip(NEXT) | instid1(VALU_DEP_1)
	v_pk_add_f32 v[142:143], v[142:143], v[144:145]
	v_cmp_lt_f32_e32 vcc_lo, v142, v143
	v_dual_add_nc_u32 v131, 8, v131 :: v_dual_cndmask_b32 v133, v133, v141, vcc_lo
	v_cndmask_b32_e32 v132, v132, v140, vcc_lo
	v_cndmask_b32_e64 v130, v130, s0, vcc_lo
	s_add_co_i32 s0, s0, 1
	s_delay_alu instid0(SALU_CYCLE_1)
	s_cmp_lg_u32 s18, s0
	s_cbranch_scc1 .LBB122_442
.LBB122_443:
	s_wait_dscnt 0x0
	v_cmp_eq_f32_e32 vcc_lo, 0, v132
	v_cmp_eq_f32_e64 s0, 0, v133
	s_and_b32 s0, vcc_lo, s0
	s_delay_alu instid0(SALU_CYCLE_1) | instskip(NEXT) | instid1(SALU_CYCLE_1)
	s_and_saveexec_b32 s1, s0
	s_xor_b32 s0, exec_lo, s1
; %bb.444:
	v_cmp_ne_u32_e32 vcc_lo, 0, v136
	v_cndmask_b32_e32 v136, 22, v136, vcc_lo
; %bb.445:
	s_and_not1_saveexec_b32 s0, s0
	s_cbranch_execz .LBB122_451
; %bb.446:
	v_cmp_ngt_f32_e64 s1, |v132|, |v133|
	s_and_saveexec_b32 s12, s1
	s_delay_alu instid0(SALU_CYCLE_1)
	s_xor_b32 s1, exec_lo, s12
	s_cbranch_execz .LBB122_448
; %bb.447:
	v_div_scale_f32 v131, null, v133, v133, v132
	v_div_scale_f32 v141, vcc_lo, v132, v133, v132
	s_delay_alu instid0(VALU_DEP_2) | instskip(SKIP_1) | instid1(TRANS32_DEP_1)
	v_rcp_f32_e32 v139, v131
	v_nop
	v_fma_f32 v140, -v131, v139, 1.0
	s_delay_alu instid0(VALU_DEP_1) | instskip(NEXT) | instid1(VALU_DEP_1)
	v_fmac_f32_e32 v139, v140, v139
	v_mul_f32_e32 v140, v141, v139
	s_delay_alu instid0(VALU_DEP_1) | instskip(NEXT) | instid1(VALU_DEP_1)
	v_fma_f32 v142, -v131, v140, v141
	v_fmac_f32_e32 v140, v142, v139
	s_delay_alu instid0(VALU_DEP_1) | instskip(NEXT) | instid1(VALU_DEP_1)
	v_fma_f32 v131, -v131, v140, v141
	v_div_fmas_f32 v131, v131, v139, v140
	s_delay_alu instid0(VALU_DEP_1) | instskip(NEXT) | instid1(VALU_DEP_1)
	v_div_fixup_f32 v131, v131, v133, v132
	v_fmac_f32_e32 v133, v132, v131
	s_delay_alu instid0(VALU_DEP_1) | instskip(SKIP_1) | instid1(VALU_DEP_2)
	v_div_scale_f32 v132, null, v133, v133, 1.0
	v_div_scale_f32 v141, vcc_lo, 1.0, v133, 1.0
	v_rcp_f32_e32 v139, v132
	v_nop
	s_delay_alu instid0(TRANS32_DEP_1) | instskip(NEXT) | instid1(VALU_DEP_1)
	v_fma_f32 v140, -v132, v139, 1.0
	v_fmac_f32_e32 v139, v140, v139
	s_delay_alu instid0(VALU_DEP_1) | instskip(NEXT) | instid1(VALU_DEP_1)
	v_mul_f32_e32 v140, v141, v139
	v_fma_f32 v142, -v132, v140, v141
	s_delay_alu instid0(VALU_DEP_1) | instskip(NEXT) | instid1(VALU_DEP_1)
	v_fmac_f32_e32 v140, v142, v139
	v_fma_f32 v132, -v132, v140, v141
	s_delay_alu instid0(VALU_DEP_1) | instskip(NEXT) | instid1(VALU_DEP_1)
	v_div_fmas_f32 v132, v132, v139, v140
	v_div_fixup_f32 v133, v132, v133, 1.0
	s_delay_alu instid0(VALU_DEP_1)
	v_mul_f32_e32 v132, v131, v133
	v_xor_b32_e32 v133, 0x80000000, v133
.LBB122_448:
	s_and_not1_saveexec_b32 s1, s1
	s_cbranch_execz .LBB122_450
; %bb.449:
	s_delay_alu instid0(VALU_DEP_1) | instskip(SKIP_1) | instid1(VALU_DEP_2)
	v_div_scale_f32 v131, null, v132, v132, v133
	v_div_scale_f32 v141, vcc_lo, v133, v132, v133
	v_rcp_f32_e32 v139, v131
	v_nop
	s_delay_alu instid0(TRANS32_DEP_1) | instskip(NEXT) | instid1(VALU_DEP_1)
	v_fma_f32 v140, -v131, v139, 1.0
	v_fmac_f32_e32 v139, v140, v139
	s_delay_alu instid0(VALU_DEP_1) | instskip(NEXT) | instid1(VALU_DEP_1)
	v_mul_f32_e32 v140, v141, v139
	v_fma_f32 v142, -v131, v140, v141
	s_delay_alu instid0(VALU_DEP_1) | instskip(NEXT) | instid1(VALU_DEP_1)
	v_fmac_f32_e32 v140, v142, v139
	v_fma_f32 v131, -v131, v140, v141
	s_delay_alu instid0(VALU_DEP_1) | instskip(NEXT) | instid1(VALU_DEP_1)
	v_div_fmas_f32 v131, v131, v139, v140
	v_div_fixup_f32 v131, v131, v132, v133
	s_delay_alu instid0(VALU_DEP_1) | instskip(NEXT) | instid1(VALU_DEP_1)
	v_fmac_f32_e32 v132, v133, v131
	v_div_scale_f32 v133, null, v132, v132, 1.0
	s_delay_alu instid0(VALU_DEP_1) | instskip(SKIP_1) | instid1(TRANS32_DEP_1)
	v_rcp_f32_e32 v139, v133
	v_nop
	v_fma_f32 v140, -v133, v139, 1.0
	s_delay_alu instid0(VALU_DEP_1) | instskip(SKIP_1) | instid1(VALU_DEP_1)
	v_fmac_f32_e32 v139, v140, v139
	v_div_scale_f32 v140, vcc_lo, 1.0, v132, 1.0
	v_mul_f32_e32 v141, v140, v139
	s_delay_alu instid0(VALU_DEP_1) | instskip(NEXT) | instid1(VALU_DEP_1)
	v_fma_f32 v142, -v133, v141, v140
	v_fmac_f32_e32 v141, v142, v139
	s_delay_alu instid0(VALU_DEP_1) | instskip(NEXT) | instid1(VALU_DEP_1)
	v_fma_f32 v133, -v133, v141, v140
	v_div_fmas_f32 v133, v133, v139, v141
	s_delay_alu instid0(VALU_DEP_1) | instskip(NEXT) | instid1(VALU_DEP_1)
	v_div_fixup_f32 v132, v133, v132, 1.0
	v_mul_f32_e64 v133, v131, -v132
.LBB122_450:
	s_or_b32 exec_lo, exec_lo, s1
.LBB122_451:
	s_delay_alu instid0(SALU_CYCLE_1) | instskip(NEXT) | instid1(SALU_CYCLE_1)
	s_or_b32 exec_lo, exec_lo, s0
	s_mov_b32 s0, exec_lo
	v_cmpx_ne_u32_e64 v138, v130
	s_xor_b32 s0, exec_lo, s0
	s_cbranch_execz .LBB122_457
; %bb.452:
	s_mov_b32 s1, exec_lo
	v_cmpx_eq_u32_e32 21, v138
	s_cbranch_execz .LBB122_456
; %bb.453:
	v_cmp_ne_u32_e32 vcc_lo, 21, v130
	s_xor_b32 s12, s16, -1
	s_delay_alu instid0(SALU_CYCLE_1) | instskip(NEXT) | instid1(SALU_CYCLE_1)
	s_and_b32 s13, s12, vcc_lo
	s_and_saveexec_b32 s12, s13
	s_cbranch_execz .LBB122_455
; %bb.454:
	v_ashrrev_i32_e32 v131, 31, v130
	s_delay_alu instid0(VALU_DEP_1)
	v_lshl_add_u64 v[138:139], v[130:131], 2, v[4:5]
	s_clause 0x1
	global_load_b32 v131, v[138:139], off
	global_load_b32 v137, v[4:5], off offset:84
	s_wait_loadcnt 0x1
	global_store_b32 v[4:5], v131, off offset:84
	s_wait_loadcnt 0x0
	global_store_b32 v[138:139], v137, off
.LBB122_455:
	s_wait_xcnt 0x0
	s_or_b32 exec_lo, exec_lo, s12
	v_dual_mov_b32 v138, v130 :: v_dual_mov_b32 v137, v130
.LBB122_456:
	s_or_b32 exec_lo, exec_lo, s1
.LBB122_457:
	s_and_not1_saveexec_b32 s0, s0
	s_cbranch_execz .LBB122_459
; %bb.458:
	v_dual_mov_b32 v130, v68 :: v_dual_mov_b32 v131, v69
	v_dual_mov_b32 v138, v64 :: v_dual_mov_b32 v139, v65
	;; [unrolled: 1-line block ×8, first 2 shown]
	ds_store_2addr_b64 v134, v[130:131], v[138:139] offset0:22 offset1:23
	ds_store_2addr_b64 v134, v[140:141], v[142:143] offset0:24 offset1:25
	;; [unrolled: 1-line block ×4, first 2 shown]
	v_dual_mov_b32 v130, v56 :: v_dual_mov_b32 v131, v57
	v_dual_mov_b32 v138, v52 :: v_dual_mov_b32 v139, v53
	;; [unrolled: 1-line block ×12, first 2 shown]
	ds_store_2addr_b64 v134, v[130:131], v[138:139] offset0:30 offset1:31
	ds_store_2addr_b64 v134, v[140:141], v[142:143] offset0:32 offset1:33
	;; [unrolled: 1-line block ×6, first 2 shown]
	v_dual_mov_b32 v130, v34 :: v_dual_mov_b32 v131, v35
	v_dual_mov_b32 v138, v30 :: v_dual_mov_b32 v139, v31
	;; [unrolled: 1-line block ×12, first 2 shown]
	ds_store_2addr_b64 v134, v[130:131], v[138:139] offset0:42 offset1:43
	ds_store_2addr_b64 v134, v[140:141], v[142:143] offset0:44 offset1:45
	;; [unrolled: 1-line block ×6, first 2 shown]
	v_dual_mov_b32 v130, v12 :: v_dual_mov_b32 v131, v13
	v_dual_mov_b32 v140, v8 :: v_dual_mov_b32 v141, v9
	;; [unrolled: 1-line block ×7, first 2 shown]
	v_mov_b32_e32 v151, v15
	ds_store_2addr_b64 v134, v[130:131], v[140:141] offset0:54 offset1:55
	ds_store_2addr_b64 v134, v[142:143], v[144:145] offset0:56 offset1:57
	;; [unrolled: 1-line block ×4, first 2 shown]
.LBB122_459:
	s_or_b32 exec_lo, exec_lo, s0
	s_delay_alu instid0(SALU_CYCLE_1)
	s_mov_b32 s0, exec_lo
	s_wait_storecnt_dscnt 0x0
	s_barrier_signal -1
	s_barrier_wait -1
	v_cmpx_lt_i32_e32 21, v138
	s_cbranch_execz .LBB122_461
; %bb.460:
	v_pk_mul_f32 v[140:141], v[132:133], v[66:67] op_sel:[1,1] op_sel_hi:[0,1]
	s_delay_alu instid0(VALU_DEP_1)
	v_pk_fma_f32 v[130:131], v[132:133], v[66:67], v[140:141] op_sel_hi:[1,0,1] neg_lo:[0,0,1] neg_hi:[0,0,1]
	v_pk_fma_f32 v[132:133], v[132:133], v[66:67], v[140:141] op_sel_hi:[1,0,1]
	ds_load_2addr_b64 v[140:143], v134 offset0:22 offset1:23
	v_dual_mov_b32 v66, v130 :: v_dual_mov_b32 v67, v133
	s_wait_dscnt 0x0
	v_pk_mul_f32 v[144:145], v[140:141], v[132:133] op_sel:[0,1]
	s_delay_alu instid0(VALU_DEP_1) | instskip(SKIP_1) | instid1(VALU_DEP_1)
	v_pk_fma_f32 v[146:147], v[140:141], v[130:131], v[144:145] op_sel:[0,0,1] op_sel_hi:[1,1,0] neg_lo:[0,0,1] neg_hi:[0,0,1]
	v_pk_fma_f32 v[140:141], v[140:141], v[130:131], v[144:145] op_sel:[0,0,1] op_sel_hi:[1,0,0]
	v_mov_b32_e32 v147, v141
	v_pk_mul_f32 v[140:141], v[142:143], v[132:133] op_sel:[0,1]
	s_delay_alu instid0(VALU_DEP_1) | instskip(SKIP_1) | instid1(VALU_DEP_1)
	v_pk_fma_f32 v[144:145], v[142:143], v[130:131], v[140:141] op_sel:[0,0,1] op_sel_hi:[1,1,0] neg_lo:[0,0,1] neg_hi:[0,0,1]
	v_pk_fma_f32 v[140:141], v[142:143], v[130:131], v[140:141] op_sel:[0,0,1] op_sel_hi:[1,0,0]
	v_mov_b32_e32 v145, v141
	ds_load_2addr_b64 v[140:143], v134 offset0:24 offset1:25
	v_pk_add_f32 v[68:69], v[68:69], v[146:147] neg_lo:[0,1] neg_hi:[0,1]
	v_pk_add_f32 v[64:65], v[64:65], v[144:145] neg_lo:[0,1] neg_hi:[0,1]
	s_wait_dscnt 0x0
	v_pk_mul_f32 v[144:145], v[140:141], v[132:133] op_sel:[0,1]
	s_delay_alu instid0(VALU_DEP_1) | instskip(SKIP_2) | instid1(VALU_DEP_2)
	v_pk_fma_f32 v[146:147], v[140:141], v[130:131], v[144:145] op_sel:[0,0,1] op_sel_hi:[1,1,0] neg_lo:[0,0,1] neg_hi:[0,0,1]
	v_pk_fma_f32 v[140:141], v[140:141], v[130:131], v[144:145] op_sel:[0,0,1] op_sel_hi:[1,0,0]
	v_dual_mul_f32 v144, v143, v133 :: v_dual_mov_b32 v140, v143
	v_dual_mov_b32 v147, v141 :: v_dual_mov_b32 v141, v142
	s_delay_alu instid0(VALU_DEP_2) | instskip(SKIP_1) | instid1(VALU_DEP_3)
	v_pk_fma_f32 v[144:145], v[142:143], v[66:67], v[144:145] op_sel_hi:[1,1,0] neg_lo:[0,0,1] neg_hi:[0,0,1]
	v_mul_f32_e32 v142, v143, v130
	v_pk_add_f32 v[108:109], v[108:109], v[146:147] neg_lo:[0,1] neg_hi:[0,1]
	s_delay_alu instid0(VALU_DEP_2) | instskip(NEXT) | instid1(VALU_DEP_1)
	v_pk_fma_f32 v[140:141], v[140:141], v[66:67], v[142:143] op_sel_hi:[1,1,0]
	v_mov_b32_e32 v145, v141
	ds_load_2addr_b64 v[140:143], v134 offset0:26 offset1:27
	v_pk_add_f32 v[60:61], v[60:61], v[144:145] neg_lo:[0,1] neg_hi:[0,1]
	s_wait_dscnt 0x0
	v_pk_mul_f32 v[144:145], v[140:141], v[132:133] op_sel:[0,1]
	s_delay_alu instid0(VALU_DEP_1) | instskip(SKIP_1) | instid1(VALU_DEP_1)
	v_pk_fma_f32 v[146:147], v[140:141], v[130:131], v[144:145] op_sel:[0,0,1] op_sel_hi:[1,1,0] neg_lo:[0,0,1] neg_hi:[0,0,1]
	v_pk_fma_f32 v[140:141], v[140:141], v[130:131], v[144:145] op_sel:[0,0,1] op_sel_hi:[1,0,0]
	v_mov_b32_e32 v147, v141
	v_pk_mul_f32 v[140:141], v[142:143], v[132:133] op_sel:[0,1]
	s_delay_alu instid0(VALU_DEP_1) | instskip(SKIP_1) | instid1(VALU_DEP_1)
	v_pk_fma_f32 v[144:145], v[142:143], v[130:131], v[140:141] op_sel:[0,0,1] op_sel_hi:[1,1,0] neg_lo:[0,0,1] neg_hi:[0,0,1]
	v_pk_fma_f32 v[140:141], v[142:143], v[130:131], v[140:141] op_sel:[0,0,1] op_sel_hi:[1,0,0]
	v_mov_b32_e32 v145, v141
	ds_load_2addr_b64 v[140:143], v134 offset0:28 offset1:29
	v_pk_add_f32 v[62:63], v[62:63], v[146:147] neg_lo:[0,1] neg_hi:[0,1]
	v_pk_add_f32 v[58:59], v[58:59], v[144:145] neg_lo:[0,1] neg_hi:[0,1]
	s_wait_dscnt 0x0
	v_pk_mul_f32 v[144:145], v[140:141], v[132:133] op_sel:[0,1]
	s_delay_alu instid0(VALU_DEP_1) | instskip(SKIP_1) | instid1(VALU_DEP_1)
	v_pk_fma_f32 v[146:147], v[140:141], v[130:131], v[144:145] op_sel:[0,0,1] op_sel_hi:[1,1,0] neg_lo:[0,0,1] neg_hi:[0,0,1]
	v_pk_fma_f32 v[140:141], v[140:141], v[130:131], v[144:145] op_sel:[0,0,1] op_sel_hi:[1,0,0]
	v_mov_b32_e32 v147, v141
	v_pk_mul_f32 v[140:141], v[142:143], v[132:133] op_sel:[0,1]
	s_delay_alu instid0(VALU_DEP_1) | instskip(SKIP_1) | instid1(VALU_DEP_1)
	v_pk_fma_f32 v[144:145], v[142:143], v[130:131], v[140:141] op_sel:[0,0,1] op_sel_hi:[1,1,0] neg_lo:[0,0,1] neg_hi:[0,0,1]
	v_pk_fma_f32 v[140:141], v[142:143], v[130:131], v[140:141] op_sel:[0,0,1] op_sel_hi:[1,0,0]
	v_mov_b32_e32 v145, v141
	ds_load_2addr_b64 v[140:143], v134 offset0:30 offset1:31
	v_pk_add_f32 v[106:107], v[106:107], v[146:147] neg_lo:[0,1] neg_hi:[0,1]
	v_pk_add_f32 v[54:55], v[54:55], v[144:145] neg_lo:[0,1] neg_hi:[0,1]
	s_wait_dscnt 0x0
	v_dual_mul_f32 v144, v141, v133 :: v_dual_mul_f32 v146, v141, v130
	s_delay_alu instid0(VALU_DEP_1) | instskip(NEXT) | instid1(VALU_DEP_2)
	v_pk_fma_f32 v[144:145], v[140:141], v[66:67], v[144:145] op_sel_hi:[1,1,0] neg_lo:[0,0,1] neg_hi:[0,0,1]
	v_pk_fma_f32 v[140:141], v[140:141], v[66:67], v[146:147] op_sel:[1,0,0] op_sel_hi:[0,1,0]
	s_delay_alu instid0(VALU_DEP_1) | instskip(SKIP_1) | instid1(VALU_DEP_2)
	v_mov_b32_e32 v145, v141
	v_pk_mul_f32 v[140:141], v[142:143], v[132:133] op_sel:[0,1]
	v_pk_add_f32 v[56:57], v[56:57], v[144:145] neg_lo:[0,1] neg_hi:[0,1]
	s_delay_alu instid0(VALU_DEP_2) | instskip(SKIP_1) | instid1(VALU_DEP_1)
	v_pk_fma_f32 v[144:145], v[142:143], v[130:131], v[140:141] op_sel:[0,0,1] op_sel_hi:[1,1,0] neg_lo:[0,0,1] neg_hi:[0,0,1]
	v_pk_fma_f32 v[140:141], v[142:143], v[130:131], v[140:141] op_sel:[0,0,1] op_sel_hi:[1,0,0]
	v_mov_b32_e32 v145, v141
	ds_load_2addr_b64 v[140:143], v134 offset0:32 offset1:33
	v_pk_add_f32 v[52:53], v[52:53], v[144:145] neg_lo:[0,1] neg_hi:[0,1]
	s_wait_dscnt 0x0
	v_pk_mul_f32 v[144:145], v[140:141], v[132:133] op_sel:[0,1]
	s_delay_alu instid0(VALU_DEP_1) | instskip(SKIP_1) | instid1(VALU_DEP_1)
	v_pk_fma_f32 v[146:147], v[140:141], v[130:131], v[144:145] op_sel:[0,0,1] op_sel_hi:[1,1,0] neg_lo:[0,0,1] neg_hi:[0,0,1]
	v_pk_fma_f32 v[140:141], v[140:141], v[130:131], v[144:145] op_sel:[0,0,1] op_sel_hi:[1,0,0]
	v_mov_b32_e32 v147, v141
	v_pk_mul_f32 v[140:141], v[142:143], v[132:133] op_sel:[0,1]
	s_delay_alu instid0(VALU_DEP_2) | instskip(NEXT) | instid1(VALU_DEP_2)
	v_pk_add_f32 v[104:105], v[104:105], v[146:147] neg_lo:[0,1] neg_hi:[0,1]
	v_pk_fma_f32 v[144:145], v[142:143], v[130:131], v[140:141] op_sel:[0,0,1] op_sel_hi:[1,1,0] neg_lo:[0,0,1] neg_hi:[0,0,1]
	v_pk_fma_f32 v[140:141], v[142:143], v[130:131], v[140:141] op_sel:[0,0,1] op_sel_hi:[1,0,0]
	s_delay_alu instid0(VALU_DEP_1) | instskip(SKIP_4) | instid1(VALU_DEP_1)
	v_mov_b32_e32 v145, v141
	ds_load_2addr_b64 v[140:143], v134 offset0:34 offset1:35
	v_pk_add_f32 v[48:49], v[48:49], v[144:145] neg_lo:[0,1] neg_hi:[0,1]
	s_wait_dscnt 0x0
	v_pk_mul_f32 v[144:145], v[140:141], v[132:133] op_sel:[0,1]
	v_pk_fma_f32 v[146:147], v[140:141], v[130:131], v[144:145] op_sel:[0,0,1] op_sel_hi:[1,1,0] neg_lo:[0,0,1] neg_hi:[0,0,1]
	v_pk_fma_f32 v[140:141], v[140:141], v[130:131], v[144:145] op_sel:[0,0,1] op_sel_hi:[1,0,0]
	v_dual_mul_f32 v144, v143, v133 :: v_dual_mov_b32 v140, v143
	s_delay_alu instid0(VALU_DEP_2) | instskip(NEXT) | instid1(VALU_DEP_2)
	v_dual_mov_b32 v147, v141 :: v_dual_mov_b32 v141, v142
	v_pk_fma_f32 v[144:145], v[142:143], v[66:67], v[144:145] op_sel_hi:[1,1,0] neg_lo:[0,0,1] neg_hi:[0,0,1]
	v_mul_f32_e32 v142, v143, v130
	s_delay_alu instid0(VALU_DEP_3) | instskip(NEXT) | instid1(VALU_DEP_2)
	v_pk_add_f32 v[50:51], v[50:51], v[146:147] neg_lo:[0,1] neg_hi:[0,1]
	v_pk_fma_f32 v[140:141], v[140:141], v[66:67], v[142:143] op_sel_hi:[1,1,0]
	s_delay_alu instid0(VALU_DEP_1) | instskip(SKIP_4) | instid1(VALU_DEP_1)
	v_mov_b32_e32 v145, v141
	ds_load_2addr_b64 v[140:143], v134 offset0:36 offset1:37
	v_pk_add_f32 v[46:47], v[46:47], v[144:145] neg_lo:[0,1] neg_hi:[0,1]
	s_wait_dscnt 0x0
	v_pk_mul_f32 v[144:145], v[140:141], v[132:133] op_sel:[0,1]
	v_pk_fma_f32 v[146:147], v[140:141], v[130:131], v[144:145] op_sel:[0,0,1] op_sel_hi:[1,1,0] neg_lo:[0,0,1] neg_hi:[0,0,1]
	v_pk_fma_f32 v[140:141], v[140:141], v[130:131], v[144:145] op_sel:[0,0,1] op_sel_hi:[1,0,0]
	s_delay_alu instid0(VALU_DEP_1) | instskip(SKIP_1) | instid1(VALU_DEP_1)
	v_mov_b32_e32 v147, v141
	v_pk_mul_f32 v[140:141], v[142:143], v[132:133] op_sel:[0,1]
	v_pk_fma_f32 v[144:145], v[142:143], v[130:131], v[140:141] op_sel:[0,0,1] op_sel_hi:[1,1,0] neg_lo:[0,0,1] neg_hi:[0,0,1]
	v_pk_fma_f32 v[140:141], v[142:143], v[130:131], v[140:141] op_sel:[0,0,1] op_sel_hi:[1,0,0]
	s_delay_alu instid0(VALU_DEP_1)
	v_mov_b32_e32 v145, v141
	ds_load_2addr_b64 v[140:143], v134 offset0:38 offset1:39
	v_pk_add_f32 v[102:103], v[102:103], v[146:147] neg_lo:[0,1] neg_hi:[0,1]
	v_pk_add_f32 v[40:41], v[40:41], v[144:145] neg_lo:[0,1] neg_hi:[0,1]
	s_wait_dscnt 0x0
	v_pk_mul_f32 v[144:145], v[140:141], v[132:133] op_sel:[0,1]
	s_delay_alu instid0(VALU_DEP_1) | instskip(SKIP_1) | instid1(VALU_DEP_1)
	v_pk_fma_f32 v[146:147], v[140:141], v[130:131], v[144:145] op_sel:[0,0,1] op_sel_hi:[1,1,0] neg_lo:[0,0,1] neg_hi:[0,0,1]
	v_pk_fma_f32 v[140:141], v[140:141], v[130:131], v[144:145] op_sel:[0,0,1] op_sel_hi:[1,0,0]
	v_mov_b32_e32 v147, v141
	v_pk_mul_f32 v[140:141], v[142:143], v[132:133] op_sel:[0,1]
	s_delay_alu instid0(VALU_DEP_1) | instskip(SKIP_1) | instid1(VALU_DEP_1)
	v_pk_fma_f32 v[144:145], v[142:143], v[130:131], v[140:141] op_sel:[0,0,1] op_sel_hi:[1,1,0] neg_lo:[0,0,1] neg_hi:[0,0,1]
	v_pk_fma_f32 v[140:141], v[142:143], v[130:131], v[140:141] op_sel:[0,0,1] op_sel_hi:[1,0,0]
	v_mov_b32_e32 v145, v141
	ds_load_2addr_b64 v[140:143], v134 offset0:40 offset1:41
	v_pk_add_f32 v[42:43], v[42:43], v[146:147] neg_lo:[0,1] neg_hi:[0,1]
	v_pk_add_f32 v[38:39], v[38:39], v[144:145] neg_lo:[0,1] neg_hi:[0,1]
	s_wait_dscnt 0x0
	v_dual_mul_f32 v144, v141, v133 :: v_dual_mul_f32 v146, v141, v130
	s_delay_alu instid0(VALU_DEP_1) | instskip(NEXT) | instid1(VALU_DEP_2)
	v_pk_fma_f32 v[144:145], v[140:141], v[66:67], v[144:145] op_sel_hi:[1,1,0] neg_lo:[0,0,1] neg_hi:[0,0,1]
	v_pk_fma_f32 v[140:141], v[140:141], v[66:67], v[146:147] op_sel:[1,0,0] op_sel_hi:[0,1,0]
	s_delay_alu instid0(VALU_DEP_1) | instskip(SKIP_1) | instid1(VALU_DEP_2)
	v_mov_b32_e32 v145, v141
	v_pk_mul_f32 v[140:141], v[142:143], v[132:133] op_sel:[0,1]
	v_pk_add_f32 v[100:101], v[100:101], v[144:145] neg_lo:[0,1] neg_hi:[0,1]
	s_delay_alu instid0(VALU_DEP_2) | instskip(SKIP_1) | instid1(VALU_DEP_1)
	v_pk_fma_f32 v[144:145], v[142:143], v[130:131], v[140:141] op_sel:[0,0,1] op_sel_hi:[1,1,0] neg_lo:[0,0,1] neg_hi:[0,0,1]
	v_pk_fma_f32 v[140:141], v[142:143], v[130:131], v[140:141] op_sel:[0,0,1] op_sel_hi:[1,0,0]
	v_mov_b32_e32 v145, v141
	ds_load_2addr_b64 v[140:143], v134 offset0:42 offset1:43
	v_pk_add_f32 v[32:33], v[32:33], v[144:145] neg_lo:[0,1] neg_hi:[0,1]
	s_wait_dscnt 0x0
	v_pk_mul_f32 v[144:145], v[140:141], v[132:133] op_sel:[0,1]
	s_delay_alu instid0(VALU_DEP_1) | instskip(SKIP_1) | instid1(VALU_DEP_1)
	v_pk_fma_f32 v[146:147], v[140:141], v[130:131], v[144:145] op_sel:[0,0,1] op_sel_hi:[1,1,0] neg_lo:[0,0,1] neg_hi:[0,0,1]
	v_pk_fma_f32 v[140:141], v[140:141], v[130:131], v[144:145] op_sel:[0,0,1] op_sel_hi:[1,0,0]
	v_mov_b32_e32 v147, v141
	v_pk_mul_f32 v[140:141], v[142:143], v[132:133] op_sel:[0,1]
	s_delay_alu instid0(VALU_DEP_2) | instskip(NEXT) | instid1(VALU_DEP_2)
	v_pk_add_f32 v[34:35], v[34:35], v[146:147] neg_lo:[0,1] neg_hi:[0,1]
	v_pk_fma_f32 v[144:145], v[142:143], v[130:131], v[140:141] op_sel:[0,0,1] op_sel_hi:[1,1,0] neg_lo:[0,0,1] neg_hi:[0,0,1]
	v_pk_fma_f32 v[140:141], v[142:143], v[130:131], v[140:141] op_sel:[0,0,1] op_sel_hi:[1,0,0]
	s_delay_alu instid0(VALU_DEP_1) | instskip(SKIP_4) | instid1(VALU_DEP_1)
	v_mov_b32_e32 v145, v141
	ds_load_2addr_b64 v[140:143], v134 offset0:44 offset1:45
	v_pk_add_f32 v[30:31], v[30:31], v[144:145] neg_lo:[0,1] neg_hi:[0,1]
	s_wait_dscnt 0x0
	v_pk_mul_f32 v[144:145], v[140:141], v[132:133] op_sel:[0,1]
	v_pk_fma_f32 v[146:147], v[140:141], v[130:131], v[144:145] op_sel:[0,0,1] op_sel_hi:[1,1,0] neg_lo:[0,0,1] neg_hi:[0,0,1]
	v_pk_fma_f32 v[140:141], v[140:141], v[130:131], v[144:145] op_sel:[0,0,1] op_sel_hi:[1,0,0]
	v_dual_mul_f32 v144, v143, v133 :: v_dual_mov_b32 v140, v143
	s_delay_alu instid0(VALU_DEP_2) | instskip(NEXT) | instid1(VALU_DEP_2)
	v_dual_mov_b32 v147, v141 :: v_dual_mov_b32 v141, v142
	v_pk_fma_f32 v[144:145], v[142:143], v[66:67], v[144:145] op_sel_hi:[1,1,0] neg_lo:[0,0,1] neg_hi:[0,0,1]
	v_mul_f32_e32 v142, v143, v130
	s_delay_alu instid0(VALU_DEP_3) | instskip(NEXT) | instid1(VALU_DEP_2)
	v_pk_add_f32 v[98:99], v[98:99], v[146:147] neg_lo:[0,1] neg_hi:[0,1]
	v_pk_fma_f32 v[140:141], v[140:141], v[66:67], v[142:143] op_sel_hi:[1,1,0]
	s_delay_alu instid0(VALU_DEP_1) | instskip(SKIP_4) | instid1(VALU_DEP_1)
	v_mov_b32_e32 v145, v141
	ds_load_2addr_b64 v[140:143], v134 offset0:46 offset1:47
	v_pk_add_f32 v[24:25], v[24:25], v[144:145] neg_lo:[0,1] neg_hi:[0,1]
	s_wait_dscnt 0x0
	v_pk_mul_f32 v[144:145], v[140:141], v[132:133] op_sel:[0,1]
	v_pk_fma_f32 v[146:147], v[140:141], v[130:131], v[144:145] op_sel:[0,0,1] op_sel_hi:[1,1,0] neg_lo:[0,0,1] neg_hi:[0,0,1]
	v_pk_fma_f32 v[140:141], v[140:141], v[130:131], v[144:145] op_sel:[0,0,1] op_sel_hi:[1,0,0]
	s_delay_alu instid0(VALU_DEP_1) | instskip(SKIP_1) | instid1(VALU_DEP_1)
	v_mov_b32_e32 v147, v141
	v_pk_mul_f32 v[140:141], v[142:143], v[132:133] op_sel:[0,1]
	v_pk_fma_f32 v[144:145], v[142:143], v[130:131], v[140:141] op_sel:[0,0,1] op_sel_hi:[1,1,0] neg_lo:[0,0,1] neg_hi:[0,0,1]
	v_pk_fma_f32 v[140:141], v[142:143], v[130:131], v[140:141] op_sel:[0,0,1] op_sel_hi:[1,0,0]
	s_delay_alu instid0(VALU_DEP_1)
	v_mov_b32_e32 v145, v141
	ds_load_2addr_b64 v[140:143], v134 offset0:48 offset1:49
	v_pk_add_f32 v[28:29], v[28:29], v[146:147] neg_lo:[0,1] neg_hi:[0,1]
	v_pk_add_f32 v[22:23], v[22:23], v[144:145] neg_lo:[0,1] neg_hi:[0,1]
	s_wait_dscnt 0x0
	v_pk_mul_f32 v[144:145], v[140:141], v[132:133] op_sel:[0,1]
	s_delay_alu instid0(VALU_DEP_1) | instskip(SKIP_1) | instid1(VALU_DEP_1)
	v_pk_fma_f32 v[146:147], v[140:141], v[130:131], v[144:145] op_sel:[0,0,1] op_sel_hi:[1,1,0] neg_lo:[0,0,1] neg_hi:[0,0,1]
	v_pk_fma_f32 v[140:141], v[140:141], v[130:131], v[144:145] op_sel:[0,0,1] op_sel_hi:[1,0,0]
	v_mov_b32_e32 v147, v141
	v_pk_mul_f32 v[140:141], v[142:143], v[132:133] op_sel:[0,1]
	s_delay_alu instid0(VALU_DEP_1) | instskip(SKIP_1) | instid1(VALU_DEP_1)
	v_pk_fma_f32 v[144:145], v[142:143], v[130:131], v[140:141] op_sel:[0,0,1] op_sel_hi:[1,1,0] neg_lo:[0,0,1] neg_hi:[0,0,1]
	v_pk_fma_f32 v[140:141], v[142:143], v[130:131], v[140:141] op_sel:[0,0,1] op_sel_hi:[1,0,0]
	v_mov_b32_e32 v145, v141
	ds_load_2addr_b64 v[140:143], v134 offset0:50 offset1:51
	v_pk_add_f32 v[96:97], v[96:97], v[146:147] neg_lo:[0,1] neg_hi:[0,1]
	v_pk_add_f32 v[18:19], v[18:19], v[144:145] neg_lo:[0,1] neg_hi:[0,1]
	s_wait_dscnt 0x0
	v_dual_mul_f32 v144, v141, v133 :: v_dual_mul_f32 v146, v141, v130
	s_delay_alu instid0(VALU_DEP_1) | instskip(NEXT) | instid1(VALU_DEP_2)
	v_pk_fma_f32 v[144:145], v[140:141], v[66:67], v[144:145] op_sel_hi:[1,1,0] neg_lo:[0,0,1] neg_hi:[0,0,1]
	v_pk_fma_f32 v[140:141], v[140:141], v[66:67], v[146:147] op_sel:[1,0,0] op_sel_hi:[0,1,0]
	s_delay_alu instid0(VALU_DEP_1) | instskip(SKIP_1) | instid1(VALU_DEP_2)
	v_mov_b32_e32 v145, v141
	v_pk_mul_f32 v[140:141], v[142:143], v[132:133] op_sel:[0,1]
	v_pk_add_f32 v[20:21], v[20:21], v[144:145] neg_lo:[0,1] neg_hi:[0,1]
	s_delay_alu instid0(VALU_DEP_2) | instskip(SKIP_1) | instid1(VALU_DEP_1)
	v_pk_fma_f32 v[144:145], v[142:143], v[130:131], v[140:141] op_sel:[0,0,1] op_sel_hi:[1,1,0] neg_lo:[0,0,1] neg_hi:[0,0,1]
	v_pk_fma_f32 v[140:141], v[142:143], v[130:131], v[140:141] op_sel:[0,0,1] op_sel_hi:[1,0,0]
	v_mov_b32_e32 v145, v141
	ds_load_2addr_b64 v[140:143], v134 offset0:52 offset1:53
	v_pk_add_f32 v[36:37], v[36:37], v[144:145] neg_lo:[0,1] neg_hi:[0,1]
	s_wait_dscnt 0x0
	v_pk_mul_f32 v[144:145], v[140:141], v[132:133] op_sel:[0,1]
	s_delay_alu instid0(VALU_DEP_1) | instskip(SKIP_1) | instid1(VALU_DEP_1)
	v_pk_fma_f32 v[146:147], v[140:141], v[130:131], v[144:145] op_sel:[0,0,1] op_sel_hi:[1,1,0] neg_lo:[0,0,1] neg_hi:[0,0,1]
	v_pk_fma_f32 v[140:141], v[140:141], v[130:131], v[144:145] op_sel:[0,0,1] op_sel_hi:[1,0,0]
	v_mov_b32_e32 v147, v141
	v_pk_mul_f32 v[140:141], v[142:143], v[132:133] op_sel:[0,1]
	s_delay_alu instid0(VALU_DEP_2) | instskip(NEXT) | instid1(VALU_DEP_2)
	v_pk_add_f32 v[86:87], v[86:87], v[146:147] neg_lo:[0,1] neg_hi:[0,1]
	v_pk_fma_f32 v[144:145], v[142:143], v[130:131], v[140:141] op_sel:[0,0,1] op_sel_hi:[1,1,0] neg_lo:[0,0,1] neg_hi:[0,0,1]
	v_pk_fma_f32 v[140:141], v[142:143], v[130:131], v[140:141] op_sel:[0,0,1] op_sel_hi:[1,0,0]
	s_delay_alu instid0(VALU_DEP_1) | instskip(SKIP_4) | instid1(VALU_DEP_1)
	v_mov_b32_e32 v145, v141
	ds_load_2addr_b64 v[140:143], v134 offset0:54 offset1:55
	v_pk_add_f32 v[10:11], v[10:11], v[144:145] neg_lo:[0,1] neg_hi:[0,1]
	s_wait_dscnt 0x0
	v_pk_mul_f32 v[144:145], v[140:141], v[132:133] op_sel:[0,1]
	v_pk_fma_f32 v[146:147], v[140:141], v[130:131], v[144:145] op_sel:[0,0,1] op_sel_hi:[1,1,0] neg_lo:[0,0,1] neg_hi:[0,0,1]
	v_pk_fma_f32 v[140:141], v[140:141], v[130:131], v[144:145] op_sel:[0,0,1] op_sel_hi:[1,0,0]
	v_dual_mul_f32 v144, v143, v133 :: v_dual_mov_b32 v140, v143
	s_delay_alu instid0(VALU_DEP_2) | instskip(NEXT) | instid1(VALU_DEP_2)
	v_dual_mov_b32 v147, v141 :: v_dual_mov_b32 v141, v142
	v_pk_fma_f32 v[144:145], v[142:143], v[66:67], v[144:145] op_sel_hi:[1,1,0] neg_lo:[0,0,1] neg_hi:[0,0,1]
	v_mul_f32_e32 v142, v143, v130
	s_delay_alu instid0(VALU_DEP_3) | instskip(NEXT) | instid1(VALU_DEP_2)
	v_pk_add_f32 v[12:13], v[12:13], v[146:147] neg_lo:[0,1] neg_hi:[0,1]
	v_pk_fma_f32 v[140:141], v[140:141], v[66:67], v[142:143] op_sel_hi:[1,1,0]
	s_delay_alu instid0(VALU_DEP_1) | instskip(SKIP_4) | instid1(VALU_DEP_1)
	v_mov_b32_e32 v145, v141
	ds_load_2addr_b64 v[140:143], v134 offset0:56 offset1:57
	v_pk_add_f32 v[8:9], v[8:9], v[144:145] neg_lo:[0,1] neg_hi:[0,1]
	s_wait_dscnt 0x0
	v_pk_mul_f32 v[144:145], v[140:141], v[132:133] op_sel:[0,1]
	v_pk_fma_f32 v[146:147], v[140:141], v[130:131], v[144:145] op_sel:[0,0,1] op_sel_hi:[1,1,0] neg_lo:[0,0,1] neg_hi:[0,0,1]
	v_pk_fma_f32 v[140:141], v[140:141], v[130:131], v[144:145] op_sel:[0,0,1] op_sel_hi:[1,0,0]
	s_delay_alu instid0(VALU_DEP_1) | instskip(SKIP_1) | instid1(VALU_DEP_1)
	v_mov_b32_e32 v147, v141
	v_pk_mul_f32 v[140:141], v[142:143], v[132:133] op_sel:[0,1]
	v_pk_fma_f32 v[144:145], v[142:143], v[130:131], v[140:141] op_sel:[0,0,1] op_sel_hi:[1,1,0] neg_lo:[0,0,1] neg_hi:[0,0,1]
	v_pk_fma_f32 v[140:141], v[142:143], v[130:131], v[140:141] op_sel:[0,0,1] op_sel_hi:[1,0,0]
	s_delay_alu instid0(VALU_DEP_1)
	v_mov_b32_e32 v145, v141
	ds_load_2addr_b64 v[140:143], v134 offset0:58 offset1:59
	v_pk_add_f32 v[44:45], v[44:45], v[146:147] neg_lo:[0,1] neg_hi:[0,1]
	v_pk_add_f32 v[6:7], v[6:7], v[144:145] neg_lo:[0,1] neg_hi:[0,1]
	s_wait_dscnt 0x0
	v_pk_mul_f32 v[144:145], v[140:141], v[132:133] op_sel:[0,1]
	s_delay_alu instid0(VALU_DEP_1) | instskip(SKIP_1) | instid1(VALU_DEP_1)
	v_pk_fma_f32 v[146:147], v[140:141], v[130:131], v[144:145] op_sel:[0,0,1] op_sel_hi:[1,1,0] neg_lo:[0,0,1] neg_hi:[0,0,1]
	v_pk_fma_f32 v[140:141], v[140:141], v[130:131], v[144:145] op_sel:[0,0,1] op_sel_hi:[1,0,0]
	v_mov_b32_e32 v147, v141
	v_pk_mul_f32 v[140:141], v[142:143], v[132:133] op_sel:[0,1]
	s_delay_alu instid0(VALU_DEP_1) | instskip(SKIP_1) | instid1(VALU_DEP_1)
	v_pk_fma_f32 v[144:145], v[142:143], v[130:131], v[140:141] op_sel:[0,0,1] op_sel_hi:[1,1,0] neg_lo:[0,0,1] neg_hi:[0,0,1]
	v_pk_fma_f32 v[140:141], v[142:143], v[130:131], v[140:141] op_sel:[0,0,1] op_sel_hi:[1,0,0]
	v_mov_b32_e32 v145, v141
	ds_load_2addr_b64 v[140:143], v134 offset0:60 offset1:61
	v_pk_add_f32 v[26:27], v[26:27], v[146:147] neg_lo:[0,1] neg_hi:[0,1]
	v_pk_add_f32 v[16:17], v[16:17], v[144:145] neg_lo:[0,1] neg_hi:[0,1]
	s_wait_dscnt 0x0
	v_dual_mul_f32 v144, v141, v133 :: v_dual_mul_f32 v146, v141, v130
	v_pk_mul_f32 v[132:133], v[142:143], v[132:133] op_sel:[0,1]
	s_delay_alu instid0(VALU_DEP_2) | instskip(NEXT) | instid1(VALU_DEP_3)
	v_pk_fma_f32 v[144:145], v[140:141], v[66:67], v[144:145] op_sel_hi:[1,1,0] neg_lo:[0,0,1] neg_hi:[0,0,1]
	v_pk_fma_f32 v[140:141], v[140:141], v[66:67], v[146:147] op_sel:[1,0,0] op_sel_hi:[0,1,0]
	s_delay_alu instid0(VALU_DEP_1) | instskip(NEXT) | instid1(VALU_DEP_4)
	v_mov_b32_e32 v145, v141
	v_pk_fma_f32 v[140:141], v[142:143], v[130:131], v[132:133] op_sel:[0,0,1] op_sel_hi:[1,1,0] neg_lo:[0,0,1] neg_hi:[0,0,1]
	v_pk_fma_f32 v[130:131], v[142:143], v[130:131], v[132:133] op_sel:[0,0,1] op_sel_hi:[1,0,0]
	s_delay_alu instid0(VALU_DEP_1) | instskip(NEXT) | instid1(VALU_DEP_4)
	v_mov_b32_e32 v141, v131
	v_pk_add_f32 v[14:15], v[14:15], v[144:145] neg_lo:[0,1] neg_hi:[0,1]
	s_delay_alu instid0(VALU_DEP_2)
	v_pk_add_f32 v[128:129], v[128:129], v[140:141] neg_lo:[0,1] neg_hi:[0,1]
.LBB122_461:
	s_or_b32 exec_lo, exec_lo, s0
	v_lshl_add_u32 v130, v138, 3, v134
	s_barrier_signal -1
	s_barrier_wait -1
	ds_store_b64 v130, v[68:69]
	s_wait_dscnt 0x0
	s_barrier_signal -1
	s_barrier_wait -1
	ds_load_b64 v[132:133], v134 offset:176
	v_mov_b32_e32 v130, 22
	s_cmp_lt_i32 s18, 24
	s_cbranch_scc1 .LBB122_464
; %bb.462:
	v_add3_u32 v131, v135, 0, 0xb8
	v_mov_b32_e32 v130, 22
	s_mov_b32 s0, 23
.LBB122_463:                            ; =>This Inner Loop Header: Depth=1
	ds_load_b64 v[140:141], v131
	s_wait_dscnt 0x1
	v_cmp_gt_f32_e32 vcc_lo, 0, v132
	v_cndmask_b32_e64 v142, v132, -v132, vcc_lo
	v_cmp_gt_f32_e32 vcc_lo, 0, v133
	v_cndmask_b32_e64 v144, v133, -v133, vcc_lo
	s_wait_dscnt 0x0
	v_cmp_gt_f32_e32 vcc_lo, 0, v140
	v_cndmask_b32_e64 v143, v140, -v140, vcc_lo
	v_cmp_gt_f32_e32 vcc_lo, 0, v141
	v_cndmask_b32_e64 v145, v141, -v141, vcc_lo
	s_delay_alu instid0(VALU_DEP_1) | instskip(NEXT) | instid1(VALU_DEP_1)
	v_pk_add_f32 v[142:143], v[142:143], v[144:145]
	v_cmp_lt_f32_e32 vcc_lo, v142, v143
	v_dual_add_nc_u32 v131, 8, v131 :: v_dual_cndmask_b32 v133, v133, v141, vcc_lo
	v_cndmask_b32_e32 v132, v132, v140, vcc_lo
	v_cndmask_b32_e64 v130, v130, s0, vcc_lo
	s_add_co_i32 s0, s0, 1
	s_delay_alu instid0(SALU_CYCLE_1)
	s_cmp_lg_u32 s18, s0
	s_cbranch_scc1 .LBB122_463
.LBB122_464:
	s_wait_dscnt 0x0
	v_cmp_eq_f32_e32 vcc_lo, 0, v132
	v_cmp_eq_f32_e64 s0, 0, v133
	s_and_b32 s0, vcc_lo, s0
	s_delay_alu instid0(SALU_CYCLE_1) | instskip(NEXT) | instid1(SALU_CYCLE_1)
	s_and_saveexec_b32 s1, s0
	s_xor_b32 s0, exec_lo, s1
; %bb.465:
	v_cmp_ne_u32_e32 vcc_lo, 0, v136
	v_cndmask_b32_e32 v136, 23, v136, vcc_lo
; %bb.466:
	s_and_not1_saveexec_b32 s0, s0
	s_cbranch_execz .LBB122_472
; %bb.467:
	v_cmp_ngt_f32_e64 s1, |v132|, |v133|
	s_and_saveexec_b32 s12, s1
	s_delay_alu instid0(SALU_CYCLE_1)
	s_xor_b32 s1, exec_lo, s12
	s_cbranch_execz .LBB122_469
; %bb.468:
	v_div_scale_f32 v131, null, v133, v133, v132
	v_div_scale_f32 v141, vcc_lo, v132, v133, v132
	s_delay_alu instid0(VALU_DEP_2) | instskip(SKIP_1) | instid1(TRANS32_DEP_1)
	v_rcp_f32_e32 v139, v131
	v_nop
	v_fma_f32 v140, -v131, v139, 1.0
	s_delay_alu instid0(VALU_DEP_1) | instskip(NEXT) | instid1(VALU_DEP_1)
	v_fmac_f32_e32 v139, v140, v139
	v_mul_f32_e32 v140, v141, v139
	s_delay_alu instid0(VALU_DEP_1) | instskip(NEXT) | instid1(VALU_DEP_1)
	v_fma_f32 v142, -v131, v140, v141
	v_fmac_f32_e32 v140, v142, v139
	s_delay_alu instid0(VALU_DEP_1) | instskip(NEXT) | instid1(VALU_DEP_1)
	v_fma_f32 v131, -v131, v140, v141
	v_div_fmas_f32 v131, v131, v139, v140
	s_delay_alu instid0(VALU_DEP_1) | instskip(NEXT) | instid1(VALU_DEP_1)
	v_div_fixup_f32 v131, v131, v133, v132
	v_fmac_f32_e32 v133, v132, v131
	s_delay_alu instid0(VALU_DEP_1) | instskip(SKIP_1) | instid1(VALU_DEP_2)
	v_div_scale_f32 v132, null, v133, v133, 1.0
	v_div_scale_f32 v141, vcc_lo, 1.0, v133, 1.0
	v_rcp_f32_e32 v139, v132
	v_nop
	s_delay_alu instid0(TRANS32_DEP_1) | instskip(NEXT) | instid1(VALU_DEP_1)
	v_fma_f32 v140, -v132, v139, 1.0
	v_fmac_f32_e32 v139, v140, v139
	s_delay_alu instid0(VALU_DEP_1) | instskip(NEXT) | instid1(VALU_DEP_1)
	v_mul_f32_e32 v140, v141, v139
	v_fma_f32 v142, -v132, v140, v141
	s_delay_alu instid0(VALU_DEP_1) | instskip(NEXT) | instid1(VALU_DEP_1)
	v_fmac_f32_e32 v140, v142, v139
	v_fma_f32 v132, -v132, v140, v141
	s_delay_alu instid0(VALU_DEP_1) | instskip(NEXT) | instid1(VALU_DEP_1)
	v_div_fmas_f32 v132, v132, v139, v140
	v_div_fixup_f32 v133, v132, v133, 1.0
	s_delay_alu instid0(VALU_DEP_1)
	v_mul_f32_e32 v132, v131, v133
	v_xor_b32_e32 v133, 0x80000000, v133
.LBB122_469:
	s_and_not1_saveexec_b32 s1, s1
	s_cbranch_execz .LBB122_471
; %bb.470:
	s_delay_alu instid0(VALU_DEP_1) | instskip(SKIP_1) | instid1(VALU_DEP_2)
	v_div_scale_f32 v131, null, v132, v132, v133
	v_div_scale_f32 v141, vcc_lo, v133, v132, v133
	v_rcp_f32_e32 v139, v131
	v_nop
	s_delay_alu instid0(TRANS32_DEP_1) | instskip(NEXT) | instid1(VALU_DEP_1)
	v_fma_f32 v140, -v131, v139, 1.0
	v_fmac_f32_e32 v139, v140, v139
	s_delay_alu instid0(VALU_DEP_1) | instskip(NEXT) | instid1(VALU_DEP_1)
	v_mul_f32_e32 v140, v141, v139
	v_fma_f32 v142, -v131, v140, v141
	s_delay_alu instid0(VALU_DEP_1) | instskip(NEXT) | instid1(VALU_DEP_1)
	v_fmac_f32_e32 v140, v142, v139
	v_fma_f32 v131, -v131, v140, v141
	s_delay_alu instid0(VALU_DEP_1) | instskip(NEXT) | instid1(VALU_DEP_1)
	v_div_fmas_f32 v131, v131, v139, v140
	v_div_fixup_f32 v131, v131, v132, v133
	s_delay_alu instid0(VALU_DEP_1) | instskip(NEXT) | instid1(VALU_DEP_1)
	v_fmac_f32_e32 v132, v133, v131
	v_div_scale_f32 v133, null, v132, v132, 1.0
	s_delay_alu instid0(VALU_DEP_1) | instskip(SKIP_1) | instid1(TRANS32_DEP_1)
	v_rcp_f32_e32 v139, v133
	v_nop
	v_fma_f32 v140, -v133, v139, 1.0
	s_delay_alu instid0(VALU_DEP_1) | instskip(SKIP_1) | instid1(VALU_DEP_1)
	v_fmac_f32_e32 v139, v140, v139
	v_div_scale_f32 v140, vcc_lo, 1.0, v132, 1.0
	v_mul_f32_e32 v141, v140, v139
	s_delay_alu instid0(VALU_DEP_1) | instskip(NEXT) | instid1(VALU_DEP_1)
	v_fma_f32 v142, -v133, v141, v140
	v_fmac_f32_e32 v141, v142, v139
	s_delay_alu instid0(VALU_DEP_1) | instskip(NEXT) | instid1(VALU_DEP_1)
	v_fma_f32 v133, -v133, v141, v140
	v_div_fmas_f32 v133, v133, v139, v141
	s_delay_alu instid0(VALU_DEP_1) | instskip(NEXT) | instid1(VALU_DEP_1)
	v_div_fixup_f32 v132, v133, v132, 1.0
	v_mul_f32_e64 v133, v131, -v132
.LBB122_471:
	s_or_b32 exec_lo, exec_lo, s1
.LBB122_472:
	s_delay_alu instid0(SALU_CYCLE_1) | instskip(NEXT) | instid1(SALU_CYCLE_1)
	s_or_b32 exec_lo, exec_lo, s0
	s_mov_b32 s0, exec_lo
	v_cmpx_ne_u32_e64 v138, v130
	s_xor_b32 s0, exec_lo, s0
	s_cbranch_execz .LBB122_478
; %bb.473:
	s_mov_b32 s1, exec_lo
	v_cmpx_eq_u32_e32 22, v138
	s_cbranch_execz .LBB122_477
; %bb.474:
	v_cmp_ne_u32_e32 vcc_lo, 22, v130
	s_xor_b32 s12, s16, -1
	s_delay_alu instid0(SALU_CYCLE_1) | instskip(NEXT) | instid1(SALU_CYCLE_1)
	s_and_b32 s13, s12, vcc_lo
	s_and_saveexec_b32 s12, s13
	s_cbranch_execz .LBB122_476
; %bb.475:
	v_ashrrev_i32_e32 v131, 31, v130
	s_delay_alu instid0(VALU_DEP_1)
	v_lshl_add_u64 v[138:139], v[130:131], 2, v[4:5]
	s_clause 0x1
	global_load_b32 v131, v[138:139], off
	global_load_b32 v137, v[4:5], off offset:88
	s_wait_loadcnt 0x1
	global_store_b32 v[4:5], v131, off offset:88
	s_wait_loadcnt 0x0
	global_store_b32 v[138:139], v137, off
.LBB122_476:
	s_wait_xcnt 0x0
	s_or_b32 exec_lo, exec_lo, s12
	v_dual_mov_b32 v138, v130 :: v_dual_mov_b32 v137, v130
.LBB122_477:
	s_or_b32 exec_lo, exec_lo, s1
.LBB122_478:
	s_and_not1_saveexec_b32 s0, s0
	s_cbranch_execz .LBB122_480
; %bb.479:
	v_mov_b32_e32 v138, 22
	ds_store_2addr_b64 v134, v[64:65], v[108:109] offset0:23 offset1:24
	ds_store_2addr_b64 v134, v[60:61], v[62:63] offset0:25 offset1:26
	;; [unrolled: 1-line block ×19, first 2 shown]
	ds_store_b64 v134, v[128:129] offset:488
.LBB122_480:
	s_or_b32 exec_lo, exec_lo, s0
	s_delay_alu instid0(SALU_CYCLE_1)
	s_mov_b32 s0, exec_lo
	s_wait_storecnt_dscnt 0x0
	s_barrier_signal -1
	s_barrier_wait -1
	v_cmpx_lt_i32_e32 22, v138
	s_cbranch_execz .LBB122_482
; %bb.481:
	v_pk_mul_f32 v[140:141], v[132:133], v[68:69] op_sel:[1,1] op_sel_hi:[0,1]
	s_delay_alu instid0(VALU_DEP_1)
	v_pk_fma_f32 v[130:131], v[132:133], v[68:69], v[140:141] op_sel_hi:[1,0,1] neg_lo:[0,0,1] neg_hi:[0,0,1]
	v_pk_fma_f32 v[132:133], v[132:133], v[68:69], v[140:141] op_sel_hi:[1,0,1]
	ds_load_2addr_b64 v[140:143], v134 offset0:23 offset1:24
	v_dual_mov_b32 v68, v130 :: v_dual_mov_b32 v69, v133
	s_wait_dscnt 0x0
	v_pk_mul_f32 v[144:145], v[140:141], v[132:133] op_sel:[0,1]
	s_delay_alu instid0(VALU_DEP_1) | instskip(SKIP_1) | instid1(VALU_DEP_1)
	v_pk_fma_f32 v[146:147], v[140:141], v[130:131], v[144:145] op_sel:[0,0,1] op_sel_hi:[1,1,0] neg_lo:[0,0,1] neg_hi:[0,0,1]
	v_pk_fma_f32 v[140:141], v[140:141], v[130:131], v[144:145] op_sel:[0,0,1] op_sel_hi:[1,0,0]
	v_mov_b32_e32 v147, v141
	v_pk_mul_f32 v[140:141], v[142:143], v[132:133] op_sel:[0,1]
	s_delay_alu instid0(VALU_DEP_1) | instskip(SKIP_1) | instid1(VALU_DEP_1)
	v_pk_fma_f32 v[144:145], v[142:143], v[130:131], v[140:141] op_sel:[0,0,1] op_sel_hi:[1,1,0] neg_lo:[0,0,1] neg_hi:[0,0,1]
	v_pk_fma_f32 v[140:141], v[142:143], v[130:131], v[140:141] op_sel:[0,0,1] op_sel_hi:[1,0,0]
	v_mov_b32_e32 v145, v141
	ds_load_2addr_b64 v[140:143], v134 offset0:25 offset1:26
	v_pk_add_f32 v[64:65], v[64:65], v[146:147] neg_lo:[0,1] neg_hi:[0,1]
	v_pk_add_f32 v[108:109], v[108:109], v[144:145] neg_lo:[0,1] neg_hi:[0,1]
	s_wait_dscnt 0x0
	v_pk_mul_f32 v[144:145], v[140:141], v[132:133] op_sel:[0,1]
	s_delay_alu instid0(VALU_DEP_1) | instskip(SKIP_2) | instid1(VALU_DEP_2)
	v_pk_fma_f32 v[146:147], v[140:141], v[130:131], v[144:145] op_sel:[0,0,1] op_sel_hi:[1,1,0] neg_lo:[0,0,1] neg_hi:[0,0,1]
	v_pk_fma_f32 v[140:141], v[140:141], v[130:131], v[144:145] op_sel:[0,0,1] op_sel_hi:[1,0,0]
	v_dual_mul_f32 v144, v143, v133 :: v_dual_mov_b32 v140, v143
	v_dual_mov_b32 v147, v141 :: v_dual_mov_b32 v141, v142
	s_delay_alu instid0(VALU_DEP_2) | instskip(SKIP_1) | instid1(VALU_DEP_3)
	v_pk_fma_f32 v[144:145], v[142:143], v[68:69], v[144:145] op_sel_hi:[1,1,0] neg_lo:[0,0,1] neg_hi:[0,0,1]
	v_mul_f32_e32 v142, v143, v130
	v_pk_add_f32 v[60:61], v[60:61], v[146:147] neg_lo:[0,1] neg_hi:[0,1]
	s_delay_alu instid0(VALU_DEP_2) | instskip(NEXT) | instid1(VALU_DEP_1)
	v_pk_fma_f32 v[140:141], v[140:141], v[68:69], v[142:143] op_sel_hi:[1,1,0]
	v_mov_b32_e32 v145, v141
	ds_load_2addr_b64 v[140:143], v134 offset0:27 offset1:28
	v_pk_add_f32 v[62:63], v[62:63], v[144:145] neg_lo:[0,1] neg_hi:[0,1]
	s_wait_dscnt 0x0
	v_pk_mul_f32 v[144:145], v[140:141], v[132:133] op_sel:[0,1]
	s_delay_alu instid0(VALU_DEP_1) | instskip(SKIP_1) | instid1(VALU_DEP_1)
	v_pk_fma_f32 v[146:147], v[140:141], v[130:131], v[144:145] op_sel:[0,0,1] op_sel_hi:[1,1,0] neg_lo:[0,0,1] neg_hi:[0,0,1]
	v_pk_fma_f32 v[140:141], v[140:141], v[130:131], v[144:145] op_sel:[0,0,1] op_sel_hi:[1,0,0]
	v_mov_b32_e32 v147, v141
	v_pk_mul_f32 v[140:141], v[142:143], v[132:133] op_sel:[0,1]
	s_delay_alu instid0(VALU_DEP_1) | instskip(SKIP_1) | instid1(VALU_DEP_1)
	v_pk_fma_f32 v[144:145], v[142:143], v[130:131], v[140:141] op_sel:[0,0,1] op_sel_hi:[1,1,0] neg_lo:[0,0,1] neg_hi:[0,0,1]
	v_pk_fma_f32 v[140:141], v[142:143], v[130:131], v[140:141] op_sel:[0,0,1] op_sel_hi:[1,0,0]
	v_mov_b32_e32 v145, v141
	ds_load_2addr_b64 v[140:143], v134 offset0:29 offset1:30
	v_pk_add_f32 v[58:59], v[58:59], v[146:147] neg_lo:[0,1] neg_hi:[0,1]
	v_pk_add_f32 v[106:107], v[106:107], v[144:145] neg_lo:[0,1] neg_hi:[0,1]
	s_wait_dscnt 0x0
	v_pk_mul_f32 v[144:145], v[140:141], v[132:133] op_sel:[0,1]
	s_delay_alu instid0(VALU_DEP_1) | instskip(SKIP_1) | instid1(VALU_DEP_1)
	v_pk_fma_f32 v[146:147], v[140:141], v[130:131], v[144:145] op_sel:[0,0,1] op_sel_hi:[1,1,0] neg_lo:[0,0,1] neg_hi:[0,0,1]
	v_pk_fma_f32 v[140:141], v[140:141], v[130:131], v[144:145] op_sel:[0,0,1] op_sel_hi:[1,0,0]
	v_mov_b32_e32 v147, v141
	v_pk_mul_f32 v[140:141], v[142:143], v[132:133] op_sel:[0,1]
	s_delay_alu instid0(VALU_DEP_1) | instskip(SKIP_1) | instid1(VALU_DEP_1)
	v_pk_fma_f32 v[144:145], v[142:143], v[130:131], v[140:141] op_sel:[0,0,1] op_sel_hi:[1,1,0] neg_lo:[0,0,1] neg_hi:[0,0,1]
	v_pk_fma_f32 v[140:141], v[142:143], v[130:131], v[140:141] op_sel:[0,0,1] op_sel_hi:[1,0,0]
	v_mov_b32_e32 v145, v141
	ds_load_2addr_b64 v[140:143], v134 offset0:31 offset1:32
	v_pk_add_f32 v[54:55], v[54:55], v[146:147] neg_lo:[0,1] neg_hi:[0,1]
	v_pk_add_f32 v[56:57], v[56:57], v[144:145] neg_lo:[0,1] neg_hi:[0,1]
	s_wait_dscnt 0x0
	v_dual_mul_f32 v144, v141, v133 :: v_dual_mul_f32 v146, v141, v130
	s_delay_alu instid0(VALU_DEP_1) | instskip(NEXT) | instid1(VALU_DEP_2)
	v_pk_fma_f32 v[144:145], v[140:141], v[68:69], v[144:145] op_sel_hi:[1,1,0] neg_lo:[0,0,1] neg_hi:[0,0,1]
	v_pk_fma_f32 v[140:141], v[140:141], v[68:69], v[146:147] op_sel:[1,0,0] op_sel_hi:[0,1,0]
	s_delay_alu instid0(VALU_DEP_1) | instskip(SKIP_1) | instid1(VALU_DEP_2)
	v_mov_b32_e32 v145, v141
	v_pk_mul_f32 v[140:141], v[142:143], v[132:133] op_sel:[0,1]
	v_pk_add_f32 v[52:53], v[52:53], v[144:145] neg_lo:[0,1] neg_hi:[0,1]
	s_delay_alu instid0(VALU_DEP_2) | instskip(SKIP_1) | instid1(VALU_DEP_1)
	v_pk_fma_f32 v[144:145], v[142:143], v[130:131], v[140:141] op_sel:[0,0,1] op_sel_hi:[1,1,0] neg_lo:[0,0,1] neg_hi:[0,0,1]
	v_pk_fma_f32 v[140:141], v[142:143], v[130:131], v[140:141] op_sel:[0,0,1] op_sel_hi:[1,0,0]
	v_mov_b32_e32 v145, v141
	ds_load_2addr_b64 v[140:143], v134 offset0:33 offset1:34
	v_pk_add_f32 v[104:105], v[104:105], v[144:145] neg_lo:[0,1] neg_hi:[0,1]
	s_wait_dscnt 0x0
	v_pk_mul_f32 v[144:145], v[140:141], v[132:133] op_sel:[0,1]
	s_delay_alu instid0(VALU_DEP_1) | instskip(SKIP_1) | instid1(VALU_DEP_1)
	v_pk_fma_f32 v[146:147], v[140:141], v[130:131], v[144:145] op_sel:[0,0,1] op_sel_hi:[1,1,0] neg_lo:[0,0,1] neg_hi:[0,0,1]
	v_pk_fma_f32 v[140:141], v[140:141], v[130:131], v[144:145] op_sel:[0,0,1] op_sel_hi:[1,0,0]
	v_mov_b32_e32 v147, v141
	v_pk_mul_f32 v[140:141], v[142:143], v[132:133] op_sel:[0,1]
	s_delay_alu instid0(VALU_DEP_2) | instskip(NEXT) | instid1(VALU_DEP_2)
	v_pk_add_f32 v[48:49], v[48:49], v[146:147] neg_lo:[0,1] neg_hi:[0,1]
	v_pk_fma_f32 v[144:145], v[142:143], v[130:131], v[140:141] op_sel:[0,0,1] op_sel_hi:[1,1,0] neg_lo:[0,0,1] neg_hi:[0,0,1]
	v_pk_fma_f32 v[140:141], v[142:143], v[130:131], v[140:141] op_sel:[0,0,1] op_sel_hi:[1,0,0]
	s_delay_alu instid0(VALU_DEP_1) | instskip(SKIP_4) | instid1(VALU_DEP_1)
	v_mov_b32_e32 v145, v141
	ds_load_2addr_b64 v[140:143], v134 offset0:35 offset1:36
	v_pk_add_f32 v[50:51], v[50:51], v[144:145] neg_lo:[0,1] neg_hi:[0,1]
	s_wait_dscnt 0x0
	v_pk_mul_f32 v[144:145], v[140:141], v[132:133] op_sel:[0,1]
	v_pk_fma_f32 v[146:147], v[140:141], v[130:131], v[144:145] op_sel:[0,0,1] op_sel_hi:[1,1,0] neg_lo:[0,0,1] neg_hi:[0,0,1]
	v_pk_fma_f32 v[140:141], v[140:141], v[130:131], v[144:145] op_sel:[0,0,1] op_sel_hi:[1,0,0]
	v_dual_mul_f32 v144, v143, v133 :: v_dual_mov_b32 v140, v143
	s_delay_alu instid0(VALU_DEP_2) | instskip(NEXT) | instid1(VALU_DEP_2)
	v_dual_mov_b32 v147, v141 :: v_dual_mov_b32 v141, v142
	v_pk_fma_f32 v[144:145], v[142:143], v[68:69], v[144:145] op_sel_hi:[1,1,0] neg_lo:[0,0,1] neg_hi:[0,0,1]
	v_mul_f32_e32 v142, v143, v130
	s_delay_alu instid0(VALU_DEP_3) | instskip(NEXT) | instid1(VALU_DEP_2)
	v_pk_add_f32 v[46:47], v[46:47], v[146:147] neg_lo:[0,1] neg_hi:[0,1]
	v_pk_fma_f32 v[140:141], v[140:141], v[68:69], v[142:143] op_sel_hi:[1,1,0]
	s_delay_alu instid0(VALU_DEP_1) | instskip(SKIP_4) | instid1(VALU_DEP_1)
	v_mov_b32_e32 v145, v141
	ds_load_2addr_b64 v[140:143], v134 offset0:37 offset1:38
	v_pk_add_f32 v[102:103], v[102:103], v[144:145] neg_lo:[0,1] neg_hi:[0,1]
	s_wait_dscnt 0x0
	v_pk_mul_f32 v[144:145], v[140:141], v[132:133] op_sel:[0,1]
	v_pk_fma_f32 v[146:147], v[140:141], v[130:131], v[144:145] op_sel:[0,0,1] op_sel_hi:[1,1,0] neg_lo:[0,0,1] neg_hi:[0,0,1]
	v_pk_fma_f32 v[140:141], v[140:141], v[130:131], v[144:145] op_sel:[0,0,1] op_sel_hi:[1,0,0]
	s_delay_alu instid0(VALU_DEP_1) | instskip(SKIP_1) | instid1(VALU_DEP_1)
	v_mov_b32_e32 v147, v141
	v_pk_mul_f32 v[140:141], v[142:143], v[132:133] op_sel:[0,1]
	v_pk_fma_f32 v[144:145], v[142:143], v[130:131], v[140:141] op_sel:[0,0,1] op_sel_hi:[1,1,0] neg_lo:[0,0,1] neg_hi:[0,0,1]
	v_pk_fma_f32 v[140:141], v[142:143], v[130:131], v[140:141] op_sel:[0,0,1] op_sel_hi:[1,0,0]
	s_delay_alu instid0(VALU_DEP_1)
	v_mov_b32_e32 v145, v141
	ds_load_2addr_b64 v[140:143], v134 offset0:39 offset1:40
	v_pk_add_f32 v[40:41], v[40:41], v[146:147] neg_lo:[0,1] neg_hi:[0,1]
	v_pk_add_f32 v[42:43], v[42:43], v[144:145] neg_lo:[0,1] neg_hi:[0,1]
	s_wait_dscnt 0x0
	v_pk_mul_f32 v[144:145], v[140:141], v[132:133] op_sel:[0,1]
	s_delay_alu instid0(VALU_DEP_1) | instskip(SKIP_1) | instid1(VALU_DEP_1)
	v_pk_fma_f32 v[146:147], v[140:141], v[130:131], v[144:145] op_sel:[0,0,1] op_sel_hi:[1,1,0] neg_lo:[0,0,1] neg_hi:[0,0,1]
	v_pk_fma_f32 v[140:141], v[140:141], v[130:131], v[144:145] op_sel:[0,0,1] op_sel_hi:[1,0,0]
	v_mov_b32_e32 v147, v141
	v_pk_mul_f32 v[140:141], v[142:143], v[132:133] op_sel:[0,1]
	s_delay_alu instid0(VALU_DEP_1) | instskip(SKIP_1) | instid1(VALU_DEP_1)
	v_pk_fma_f32 v[144:145], v[142:143], v[130:131], v[140:141] op_sel:[0,0,1] op_sel_hi:[1,1,0] neg_lo:[0,0,1] neg_hi:[0,0,1]
	v_pk_fma_f32 v[140:141], v[142:143], v[130:131], v[140:141] op_sel:[0,0,1] op_sel_hi:[1,0,0]
	v_mov_b32_e32 v145, v141
	ds_load_2addr_b64 v[140:143], v134 offset0:41 offset1:42
	v_pk_add_f32 v[38:39], v[38:39], v[146:147] neg_lo:[0,1] neg_hi:[0,1]
	v_pk_add_f32 v[100:101], v[100:101], v[144:145] neg_lo:[0,1] neg_hi:[0,1]
	s_wait_dscnt 0x0
	v_dual_mul_f32 v144, v141, v133 :: v_dual_mul_f32 v146, v141, v130
	s_delay_alu instid0(VALU_DEP_1) | instskip(NEXT) | instid1(VALU_DEP_2)
	v_pk_fma_f32 v[144:145], v[140:141], v[68:69], v[144:145] op_sel_hi:[1,1,0] neg_lo:[0,0,1] neg_hi:[0,0,1]
	v_pk_fma_f32 v[140:141], v[140:141], v[68:69], v[146:147] op_sel:[1,0,0] op_sel_hi:[0,1,0]
	s_delay_alu instid0(VALU_DEP_1) | instskip(SKIP_1) | instid1(VALU_DEP_2)
	v_mov_b32_e32 v145, v141
	v_pk_mul_f32 v[140:141], v[142:143], v[132:133] op_sel:[0,1]
	v_pk_add_f32 v[32:33], v[32:33], v[144:145] neg_lo:[0,1] neg_hi:[0,1]
	s_delay_alu instid0(VALU_DEP_2) | instskip(SKIP_1) | instid1(VALU_DEP_1)
	v_pk_fma_f32 v[144:145], v[142:143], v[130:131], v[140:141] op_sel:[0,0,1] op_sel_hi:[1,1,0] neg_lo:[0,0,1] neg_hi:[0,0,1]
	v_pk_fma_f32 v[140:141], v[142:143], v[130:131], v[140:141] op_sel:[0,0,1] op_sel_hi:[1,0,0]
	v_mov_b32_e32 v145, v141
	ds_load_2addr_b64 v[140:143], v134 offset0:43 offset1:44
	v_pk_add_f32 v[34:35], v[34:35], v[144:145] neg_lo:[0,1] neg_hi:[0,1]
	s_wait_dscnt 0x0
	v_pk_mul_f32 v[144:145], v[140:141], v[132:133] op_sel:[0,1]
	s_delay_alu instid0(VALU_DEP_1) | instskip(SKIP_1) | instid1(VALU_DEP_1)
	v_pk_fma_f32 v[146:147], v[140:141], v[130:131], v[144:145] op_sel:[0,0,1] op_sel_hi:[1,1,0] neg_lo:[0,0,1] neg_hi:[0,0,1]
	v_pk_fma_f32 v[140:141], v[140:141], v[130:131], v[144:145] op_sel:[0,0,1] op_sel_hi:[1,0,0]
	v_mov_b32_e32 v147, v141
	v_pk_mul_f32 v[140:141], v[142:143], v[132:133] op_sel:[0,1]
	s_delay_alu instid0(VALU_DEP_2) | instskip(NEXT) | instid1(VALU_DEP_2)
	v_pk_add_f32 v[30:31], v[30:31], v[146:147] neg_lo:[0,1] neg_hi:[0,1]
	v_pk_fma_f32 v[144:145], v[142:143], v[130:131], v[140:141] op_sel:[0,0,1] op_sel_hi:[1,1,0] neg_lo:[0,0,1] neg_hi:[0,0,1]
	v_pk_fma_f32 v[140:141], v[142:143], v[130:131], v[140:141] op_sel:[0,0,1] op_sel_hi:[1,0,0]
	s_delay_alu instid0(VALU_DEP_1) | instskip(SKIP_4) | instid1(VALU_DEP_1)
	v_mov_b32_e32 v145, v141
	ds_load_2addr_b64 v[140:143], v134 offset0:45 offset1:46
	v_pk_add_f32 v[98:99], v[98:99], v[144:145] neg_lo:[0,1] neg_hi:[0,1]
	s_wait_dscnt 0x0
	v_pk_mul_f32 v[144:145], v[140:141], v[132:133] op_sel:[0,1]
	v_pk_fma_f32 v[146:147], v[140:141], v[130:131], v[144:145] op_sel:[0,0,1] op_sel_hi:[1,1,0] neg_lo:[0,0,1] neg_hi:[0,0,1]
	v_pk_fma_f32 v[140:141], v[140:141], v[130:131], v[144:145] op_sel:[0,0,1] op_sel_hi:[1,0,0]
	v_dual_mul_f32 v144, v143, v133 :: v_dual_mov_b32 v140, v143
	s_delay_alu instid0(VALU_DEP_2) | instskip(NEXT) | instid1(VALU_DEP_2)
	v_dual_mov_b32 v147, v141 :: v_dual_mov_b32 v141, v142
	v_pk_fma_f32 v[144:145], v[142:143], v[68:69], v[144:145] op_sel_hi:[1,1,0] neg_lo:[0,0,1] neg_hi:[0,0,1]
	v_mul_f32_e32 v142, v143, v130
	s_delay_alu instid0(VALU_DEP_3) | instskip(NEXT) | instid1(VALU_DEP_2)
	v_pk_add_f32 v[24:25], v[24:25], v[146:147] neg_lo:[0,1] neg_hi:[0,1]
	v_pk_fma_f32 v[140:141], v[140:141], v[68:69], v[142:143] op_sel_hi:[1,1,0]
	s_delay_alu instid0(VALU_DEP_1) | instskip(SKIP_4) | instid1(VALU_DEP_1)
	v_mov_b32_e32 v145, v141
	ds_load_2addr_b64 v[140:143], v134 offset0:47 offset1:48
	v_pk_add_f32 v[28:29], v[28:29], v[144:145] neg_lo:[0,1] neg_hi:[0,1]
	s_wait_dscnt 0x0
	v_pk_mul_f32 v[144:145], v[140:141], v[132:133] op_sel:[0,1]
	v_pk_fma_f32 v[146:147], v[140:141], v[130:131], v[144:145] op_sel:[0,0,1] op_sel_hi:[1,1,0] neg_lo:[0,0,1] neg_hi:[0,0,1]
	v_pk_fma_f32 v[140:141], v[140:141], v[130:131], v[144:145] op_sel:[0,0,1] op_sel_hi:[1,0,0]
	s_delay_alu instid0(VALU_DEP_1) | instskip(SKIP_1) | instid1(VALU_DEP_1)
	v_mov_b32_e32 v147, v141
	v_pk_mul_f32 v[140:141], v[142:143], v[132:133] op_sel:[0,1]
	v_pk_fma_f32 v[144:145], v[142:143], v[130:131], v[140:141] op_sel:[0,0,1] op_sel_hi:[1,1,0] neg_lo:[0,0,1] neg_hi:[0,0,1]
	v_pk_fma_f32 v[140:141], v[142:143], v[130:131], v[140:141] op_sel:[0,0,1] op_sel_hi:[1,0,0]
	s_delay_alu instid0(VALU_DEP_1)
	v_mov_b32_e32 v145, v141
	ds_load_2addr_b64 v[140:143], v134 offset0:49 offset1:50
	v_pk_add_f32 v[22:23], v[22:23], v[146:147] neg_lo:[0,1] neg_hi:[0,1]
	v_pk_add_f32 v[96:97], v[96:97], v[144:145] neg_lo:[0,1] neg_hi:[0,1]
	s_wait_dscnt 0x0
	v_pk_mul_f32 v[144:145], v[140:141], v[132:133] op_sel:[0,1]
	s_delay_alu instid0(VALU_DEP_1) | instskip(SKIP_1) | instid1(VALU_DEP_1)
	v_pk_fma_f32 v[146:147], v[140:141], v[130:131], v[144:145] op_sel:[0,0,1] op_sel_hi:[1,1,0] neg_lo:[0,0,1] neg_hi:[0,0,1]
	v_pk_fma_f32 v[140:141], v[140:141], v[130:131], v[144:145] op_sel:[0,0,1] op_sel_hi:[1,0,0]
	v_mov_b32_e32 v147, v141
	v_pk_mul_f32 v[140:141], v[142:143], v[132:133] op_sel:[0,1]
	s_delay_alu instid0(VALU_DEP_1) | instskip(SKIP_1) | instid1(VALU_DEP_1)
	v_pk_fma_f32 v[144:145], v[142:143], v[130:131], v[140:141] op_sel:[0,0,1] op_sel_hi:[1,1,0] neg_lo:[0,0,1] neg_hi:[0,0,1]
	v_pk_fma_f32 v[140:141], v[142:143], v[130:131], v[140:141] op_sel:[0,0,1] op_sel_hi:[1,0,0]
	v_mov_b32_e32 v145, v141
	ds_load_2addr_b64 v[140:143], v134 offset0:51 offset1:52
	v_pk_add_f32 v[18:19], v[18:19], v[146:147] neg_lo:[0,1] neg_hi:[0,1]
	v_pk_add_f32 v[20:21], v[20:21], v[144:145] neg_lo:[0,1] neg_hi:[0,1]
	s_wait_dscnt 0x0
	v_dual_mul_f32 v144, v141, v133 :: v_dual_mul_f32 v146, v141, v130
	s_delay_alu instid0(VALU_DEP_1) | instskip(NEXT) | instid1(VALU_DEP_2)
	v_pk_fma_f32 v[144:145], v[140:141], v[68:69], v[144:145] op_sel_hi:[1,1,0] neg_lo:[0,0,1] neg_hi:[0,0,1]
	v_pk_fma_f32 v[140:141], v[140:141], v[68:69], v[146:147] op_sel:[1,0,0] op_sel_hi:[0,1,0]
	s_delay_alu instid0(VALU_DEP_1) | instskip(SKIP_1) | instid1(VALU_DEP_2)
	v_mov_b32_e32 v145, v141
	v_pk_mul_f32 v[140:141], v[142:143], v[132:133] op_sel:[0,1]
	v_pk_add_f32 v[36:37], v[36:37], v[144:145] neg_lo:[0,1] neg_hi:[0,1]
	s_delay_alu instid0(VALU_DEP_2) | instskip(SKIP_1) | instid1(VALU_DEP_1)
	v_pk_fma_f32 v[144:145], v[142:143], v[130:131], v[140:141] op_sel:[0,0,1] op_sel_hi:[1,1,0] neg_lo:[0,0,1] neg_hi:[0,0,1]
	v_pk_fma_f32 v[140:141], v[142:143], v[130:131], v[140:141] op_sel:[0,0,1] op_sel_hi:[1,0,0]
	v_mov_b32_e32 v145, v141
	ds_load_2addr_b64 v[140:143], v134 offset0:53 offset1:54
	v_pk_add_f32 v[86:87], v[86:87], v[144:145] neg_lo:[0,1] neg_hi:[0,1]
	s_wait_dscnt 0x0
	v_pk_mul_f32 v[144:145], v[140:141], v[132:133] op_sel:[0,1]
	s_delay_alu instid0(VALU_DEP_1) | instskip(SKIP_1) | instid1(VALU_DEP_1)
	v_pk_fma_f32 v[146:147], v[140:141], v[130:131], v[144:145] op_sel:[0,0,1] op_sel_hi:[1,1,0] neg_lo:[0,0,1] neg_hi:[0,0,1]
	v_pk_fma_f32 v[140:141], v[140:141], v[130:131], v[144:145] op_sel:[0,0,1] op_sel_hi:[1,0,0]
	v_mov_b32_e32 v147, v141
	v_pk_mul_f32 v[140:141], v[142:143], v[132:133] op_sel:[0,1]
	s_delay_alu instid0(VALU_DEP_2) | instskip(NEXT) | instid1(VALU_DEP_2)
	v_pk_add_f32 v[10:11], v[10:11], v[146:147] neg_lo:[0,1] neg_hi:[0,1]
	v_pk_fma_f32 v[144:145], v[142:143], v[130:131], v[140:141] op_sel:[0,0,1] op_sel_hi:[1,1,0] neg_lo:[0,0,1] neg_hi:[0,0,1]
	v_pk_fma_f32 v[140:141], v[142:143], v[130:131], v[140:141] op_sel:[0,0,1] op_sel_hi:[1,0,0]
	s_delay_alu instid0(VALU_DEP_1) | instskip(SKIP_4) | instid1(VALU_DEP_1)
	v_mov_b32_e32 v145, v141
	ds_load_2addr_b64 v[140:143], v134 offset0:55 offset1:56
	v_pk_add_f32 v[12:13], v[12:13], v[144:145] neg_lo:[0,1] neg_hi:[0,1]
	s_wait_dscnt 0x0
	v_pk_mul_f32 v[144:145], v[140:141], v[132:133] op_sel:[0,1]
	v_pk_fma_f32 v[146:147], v[140:141], v[130:131], v[144:145] op_sel:[0,0,1] op_sel_hi:[1,1,0] neg_lo:[0,0,1] neg_hi:[0,0,1]
	v_pk_fma_f32 v[140:141], v[140:141], v[130:131], v[144:145] op_sel:[0,0,1] op_sel_hi:[1,0,0]
	v_dual_mul_f32 v144, v143, v133 :: v_dual_mov_b32 v140, v143
	s_delay_alu instid0(VALU_DEP_2) | instskip(NEXT) | instid1(VALU_DEP_2)
	v_dual_mov_b32 v147, v141 :: v_dual_mov_b32 v141, v142
	v_pk_fma_f32 v[144:145], v[142:143], v[68:69], v[144:145] op_sel_hi:[1,1,0] neg_lo:[0,0,1] neg_hi:[0,0,1]
	v_mul_f32_e32 v142, v143, v130
	s_delay_alu instid0(VALU_DEP_3) | instskip(NEXT) | instid1(VALU_DEP_2)
	v_pk_add_f32 v[8:9], v[8:9], v[146:147] neg_lo:[0,1] neg_hi:[0,1]
	v_pk_fma_f32 v[140:141], v[140:141], v[68:69], v[142:143] op_sel_hi:[1,1,0]
	s_delay_alu instid0(VALU_DEP_1) | instskip(SKIP_4) | instid1(VALU_DEP_1)
	v_mov_b32_e32 v145, v141
	ds_load_2addr_b64 v[140:143], v134 offset0:57 offset1:58
	v_pk_add_f32 v[44:45], v[44:45], v[144:145] neg_lo:[0,1] neg_hi:[0,1]
	s_wait_dscnt 0x0
	v_pk_mul_f32 v[144:145], v[140:141], v[132:133] op_sel:[0,1]
	v_pk_fma_f32 v[146:147], v[140:141], v[130:131], v[144:145] op_sel:[0,0,1] op_sel_hi:[1,1,0] neg_lo:[0,0,1] neg_hi:[0,0,1]
	v_pk_fma_f32 v[140:141], v[140:141], v[130:131], v[144:145] op_sel:[0,0,1] op_sel_hi:[1,0,0]
	s_delay_alu instid0(VALU_DEP_1) | instskip(SKIP_1) | instid1(VALU_DEP_1)
	v_mov_b32_e32 v147, v141
	v_pk_mul_f32 v[140:141], v[142:143], v[132:133] op_sel:[0,1]
	v_pk_fma_f32 v[144:145], v[142:143], v[130:131], v[140:141] op_sel:[0,0,1] op_sel_hi:[1,1,0] neg_lo:[0,0,1] neg_hi:[0,0,1]
	v_pk_fma_f32 v[140:141], v[142:143], v[130:131], v[140:141] op_sel:[0,0,1] op_sel_hi:[1,0,0]
	s_delay_alu instid0(VALU_DEP_1)
	v_mov_b32_e32 v145, v141
	ds_load_2addr_b64 v[140:143], v134 offset0:59 offset1:60
	v_pk_add_f32 v[6:7], v[6:7], v[146:147] neg_lo:[0,1] neg_hi:[0,1]
	v_pk_add_f32 v[26:27], v[26:27], v[144:145] neg_lo:[0,1] neg_hi:[0,1]
	s_wait_dscnt 0x0
	v_pk_mul_f32 v[144:145], v[140:141], v[132:133] op_sel:[0,1]
	s_delay_alu instid0(VALU_DEP_1) | instskip(SKIP_1) | instid1(VALU_DEP_1)
	v_pk_fma_f32 v[146:147], v[140:141], v[130:131], v[144:145] op_sel:[0,0,1] op_sel_hi:[1,1,0] neg_lo:[0,0,1] neg_hi:[0,0,1]
	v_pk_fma_f32 v[140:141], v[140:141], v[130:131], v[144:145] op_sel:[0,0,1] op_sel_hi:[1,0,0]
	v_mov_b32_e32 v147, v141
	v_pk_mul_f32 v[140:141], v[142:143], v[132:133] op_sel:[0,1]
	s_delay_alu instid0(VALU_DEP_1) | instskip(SKIP_1) | instid1(VALU_DEP_1)
	v_pk_fma_f32 v[144:145], v[142:143], v[130:131], v[140:141] op_sel:[0,0,1] op_sel_hi:[1,1,0] neg_lo:[0,0,1] neg_hi:[0,0,1]
	v_pk_fma_f32 v[140:141], v[142:143], v[130:131], v[140:141] op_sel:[0,0,1] op_sel_hi:[1,0,0]
	v_mov_b32_e32 v145, v141
	ds_load_b64 v[140:141], v134 offset:488
	v_pk_add_f32 v[16:17], v[16:17], v[146:147] neg_lo:[0,1] neg_hi:[0,1]
	v_pk_add_f32 v[14:15], v[14:15], v[144:145] neg_lo:[0,1] neg_hi:[0,1]
	s_wait_dscnt 0x0
	v_pk_mul_f32 v[132:133], v[140:141], v[132:133] op_sel:[0,1]
	s_delay_alu instid0(VALU_DEP_1) | instskip(SKIP_1) | instid1(VALU_DEP_1)
	v_pk_fma_f32 v[142:143], v[140:141], v[130:131], v[132:133] op_sel:[0,0,1] op_sel_hi:[1,1,0] neg_lo:[0,0,1] neg_hi:[0,0,1]
	v_pk_fma_f32 v[130:131], v[140:141], v[130:131], v[132:133] op_sel:[0,0,1] op_sel_hi:[1,0,0]
	v_mov_b32_e32 v143, v131
	s_delay_alu instid0(VALU_DEP_1)
	v_pk_add_f32 v[128:129], v[128:129], v[142:143] neg_lo:[0,1] neg_hi:[0,1]
.LBB122_482:
	s_or_b32 exec_lo, exec_lo, s0
	v_lshl_add_u32 v130, v138, 3, v134
	s_barrier_signal -1
	s_barrier_wait -1
	ds_store_b64 v130, v[64:65]
	s_wait_dscnt 0x0
	s_barrier_signal -1
	s_barrier_wait -1
	ds_load_b64 v[132:133], v134 offset:184
	v_mov_b32_e32 v130, 23
	s_cmp_lt_i32 s18, 25
	s_cbranch_scc1 .LBB122_485
; %bb.483:
	v_add3_u32 v131, v135, 0, 0xc0
	v_mov_b32_e32 v130, 23
	s_mov_b32 s0, 24
.LBB122_484:                            ; =>This Inner Loop Header: Depth=1
	ds_load_b64 v[140:141], v131
	s_wait_dscnt 0x1
	v_cmp_gt_f32_e32 vcc_lo, 0, v132
	v_cndmask_b32_e64 v142, v132, -v132, vcc_lo
	v_cmp_gt_f32_e32 vcc_lo, 0, v133
	v_cndmask_b32_e64 v144, v133, -v133, vcc_lo
	s_wait_dscnt 0x0
	v_cmp_gt_f32_e32 vcc_lo, 0, v140
	v_cndmask_b32_e64 v143, v140, -v140, vcc_lo
	v_cmp_gt_f32_e32 vcc_lo, 0, v141
	v_cndmask_b32_e64 v145, v141, -v141, vcc_lo
	s_delay_alu instid0(VALU_DEP_1) | instskip(NEXT) | instid1(VALU_DEP_1)
	v_pk_add_f32 v[142:143], v[142:143], v[144:145]
	v_cmp_lt_f32_e32 vcc_lo, v142, v143
	v_dual_add_nc_u32 v131, 8, v131 :: v_dual_cndmask_b32 v133, v133, v141, vcc_lo
	v_cndmask_b32_e32 v132, v132, v140, vcc_lo
	v_cndmask_b32_e64 v130, v130, s0, vcc_lo
	s_add_co_i32 s0, s0, 1
	s_delay_alu instid0(SALU_CYCLE_1)
	s_cmp_lg_u32 s18, s0
	s_cbranch_scc1 .LBB122_484
.LBB122_485:
	s_wait_dscnt 0x0
	v_cmp_eq_f32_e32 vcc_lo, 0, v132
	v_cmp_eq_f32_e64 s0, 0, v133
	s_and_b32 s0, vcc_lo, s0
	s_delay_alu instid0(SALU_CYCLE_1) | instskip(NEXT) | instid1(SALU_CYCLE_1)
	s_and_saveexec_b32 s1, s0
	s_xor_b32 s0, exec_lo, s1
; %bb.486:
	v_cmp_ne_u32_e32 vcc_lo, 0, v136
	v_cndmask_b32_e32 v136, 24, v136, vcc_lo
; %bb.487:
	s_and_not1_saveexec_b32 s0, s0
	s_cbranch_execz .LBB122_493
; %bb.488:
	v_cmp_ngt_f32_e64 s1, |v132|, |v133|
	s_and_saveexec_b32 s12, s1
	s_delay_alu instid0(SALU_CYCLE_1)
	s_xor_b32 s1, exec_lo, s12
	s_cbranch_execz .LBB122_490
; %bb.489:
	v_div_scale_f32 v131, null, v133, v133, v132
	v_div_scale_f32 v141, vcc_lo, v132, v133, v132
	s_delay_alu instid0(VALU_DEP_2) | instskip(SKIP_1) | instid1(TRANS32_DEP_1)
	v_rcp_f32_e32 v139, v131
	v_nop
	v_fma_f32 v140, -v131, v139, 1.0
	s_delay_alu instid0(VALU_DEP_1) | instskip(NEXT) | instid1(VALU_DEP_1)
	v_fmac_f32_e32 v139, v140, v139
	v_mul_f32_e32 v140, v141, v139
	s_delay_alu instid0(VALU_DEP_1) | instskip(NEXT) | instid1(VALU_DEP_1)
	v_fma_f32 v142, -v131, v140, v141
	v_fmac_f32_e32 v140, v142, v139
	s_delay_alu instid0(VALU_DEP_1) | instskip(NEXT) | instid1(VALU_DEP_1)
	v_fma_f32 v131, -v131, v140, v141
	v_div_fmas_f32 v131, v131, v139, v140
	s_delay_alu instid0(VALU_DEP_1) | instskip(NEXT) | instid1(VALU_DEP_1)
	v_div_fixup_f32 v131, v131, v133, v132
	v_fmac_f32_e32 v133, v132, v131
	s_delay_alu instid0(VALU_DEP_1) | instskip(SKIP_1) | instid1(VALU_DEP_2)
	v_div_scale_f32 v132, null, v133, v133, 1.0
	v_div_scale_f32 v141, vcc_lo, 1.0, v133, 1.0
	v_rcp_f32_e32 v139, v132
	v_nop
	s_delay_alu instid0(TRANS32_DEP_1) | instskip(NEXT) | instid1(VALU_DEP_1)
	v_fma_f32 v140, -v132, v139, 1.0
	v_fmac_f32_e32 v139, v140, v139
	s_delay_alu instid0(VALU_DEP_1) | instskip(NEXT) | instid1(VALU_DEP_1)
	v_mul_f32_e32 v140, v141, v139
	v_fma_f32 v142, -v132, v140, v141
	s_delay_alu instid0(VALU_DEP_1) | instskip(NEXT) | instid1(VALU_DEP_1)
	v_fmac_f32_e32 v140, v142, v139
	v_fma_f32 v132, -v132, v140, v141
	s_delay_alu instid0(VALU_DEP_1) | instskip(NEXT) | instid1(VALU_DEP_1)
	v_div_fmas_f32 v132, v132, v139, v140
	v_div_fixup_f32 v133, v132, v133, 1.0
	s_delay_alu instid0(VALU_DEP_1)
	v_mul_f32_e32 v132, v131, v133
	v_xor_b32_e32 v133, 0x80000000, v133
.LBB122_490:
	s_and_not1_saveexec_b32 s1, s1
	s_cbranch_execz .LBB122_492
; %bb.491:
	s_delay_alu instid0(VALU_DEP_1) | instskip(SKIP_1) | instid1(VALU_DEP_2)
	v_div_scale_f32 v131, null, v132, v132, v133
	v_div_scale_f32 v141, vcc_lo, v133, v132, v133
	v_rcp_f32_e32 v139, v131
	v_nop
	s_delay_alu instid0(TRANS32_DEP_1) | instskip(NEXT) | instid1(VALU_DEP_1)
	v_fma_f32 v140, -v131, v139, 1.0
	v_fmac_f32_e32 v139, v140, v139
	s_delay_alu instid0(VALU_DEP_1) | instskip(NEXT) | instid1(VALU_DEP_1)
	v_mul_f32_e32 v140, v141, v139
	v_fma_f32 v142, -v131, v140, v141
	s_delay_alu instid0(VALU_DEP_1) | instskip(NEXT) | instid1(VALU_DEP_1)
	v_fmac_f32_e32 v140, v142, v139
	v_fma_f32 v131, -v131, v140, v141
	s_delay_alu instid0(VALU_DEP_1) | instskip(NEXT) | instid1(VALU_DEP_1)
	v_div_fmas_f32 v131, v131, v139, v140
	v_div_fixup_f32 v131, v131, v132, v133
	s_delay_alu instid0(VALU_DEP_1) | instskip(NEXT) | instid1(VALU_DEP_1)
	v_fmac_f32_e32 v132, v133, v131
	v_div_scale_f32 v133, null, v132, v132, 1.0
	s_delay_alu instid0(VALU_DEP_1) | instskip(SKIP_1) | instid1(TRANS32_DEP_1)
	v_rcp_f32_e32 v139, v133
	v_nop
	v_fma_f32 v140, -v133, v139, 1.0
	s_delay_alu instid0(VALU_DEP_1) | instskip(SKIP_1) | instid1(VALU_DEP_1)
	v_fmac_f32_e32 v139, v140, v139
	v_div_scale_f32 v140, vcc_lo, 1.0, v132, 1.0
	v_mul_f32_e32 v141, v140, v139
	s_delay_alu instid0(VALU_DEP_1) | instskip(NEXT) | instid1(VALU_DEP_1)
	v_fma_f32 v142, -v133, v141, v140
	v_fmac_f32_e32 v141, v142, v139
	s_delay_alu instid0(VALU_DEP_1) | instskip(NEXT) | instid1(VALU_DEP_1)
	v_fma_f32 v133, -v133, v141, v140
	v_div_fmas_f32 v133, v133, v139, v141
	s_delay_alu instid0(VALU_DEP_1) | instskip(NEXT) | instid1(VALU_DEP_1)
	v_div_fixup_f32 v132, v133, v132, 1.0
	v_mul_f32_e64 v133, v131, -v132
.LBB122_492:
	s_or_b32 exec_lo, exec_lo, s1
.LBB122_493:
	s_delay_alu instid0(SALU_CYCLE_1) | instskip(NEXT) | instid1(SALU_CYCLE_1)
	s_or_b32 exec_lo, exec_lo, s0
	s_mov_b32 s0, exec_lo
	v_cmpx_ne_u32_e64 v138, v130
	s_xor_b32 s0, exec_lo, s0
	s_cbranch_execz .LBB122_499
; %bb.494:
	s_mov_b32 s1, exec_lo
	v_cmpx_eq_u32_e32 23, v138
	s_cbranch_execz .LBB122_498
; %bb.495:
	v_cmp_ne_u32_e32 vcc_lo, 23, v130
	s_xor_b32 s12, s16, -1
	s_delay_alu instid0(SALU_CYCLE_1) | instskip(NEXT) | instid1(SALU_CYCLE_1)
	s_and_b32 s13, s12, vcc_lo
	s_and_saveexec_b32 s12, s13
	s_cbranch_execz .LBB122_497
; %bb.496:
	v_ashrrev_i32_e32 v131, 31, v130
	s_delay_alu instid0(VALU_DEP_1)
	v_lshl_add_u64 v[138:139], v[130:131], 2, v[4:5]
	s_clause 0x1
	global_load_b32 v131, v[138:139], off
	global_load_b32 v137, v[4:5], off offset:92
	s_wait_loadcnt 0x1
	global_store_b32 v[4:5], v131, off offset:92
	s_wait_loadcnt 0x0
	global_store_b32 v[138:139], v137, off
.LBB122_497:
	s_wait_xcnt 0x0
	s_or_b32 exec_lo, exec_lo, s12
	v_dual_mov_b32 v138, v130 :: v_dual_mov_b32 v137, v130
.LBB122_498:
	s_or_b32 exec_lo, exec_lo, s1
.LBB122_499:
	s_and_not1_saveexec_b32 s0, s0
	s_cbranch_execz .LBB122_501
; %bb.500:
	v_dual_mov_b32 v130, v108 :: v_dual_mov_b32 v131, v109
	v_dual_mov_b32 v138, v60 :: v_dual_mov_b32 v139, v61
	;; [unrolled: 1-line block ×4, first 2 shown]
	ds_store_2addr_b64 v134, v[130:131], v[138:139] offset0:24 offset1:25
	ds_store_2addr_b64 v134, v[140:141], v[142:143] offset0:26 offset1:27
	v_dual_mov_b32 v130, v106 :: v_dual_mov_b32 v131, v107
	v_dual_mov_b32 v138, v54 :: v_dual_mov_b32 v139, v55
	;; [unrolled: 1-line block ×12, first 2 shown]
	ds_store_2addr_b64 v134, v[130:131], v[138:139] offset0:28 offset1:29
	ds_store_2addr_b64 v134, v[140:141], v[142:143] offset0:30 offset1:31
	ds_store_2addr_b64 v134, v[144:145], v[146:147] offset0:32 offset1:33
	ds_store_2addr_b64 v134, v[148:149], v[150:151] offset0:34 offset1:35
	ds_store_2addr_b64 v134, v[152:153], v[154:155] offset0:36 offset1:37
	ds_store_2addr_b64 v134, v[156:157], v[158:159] offset0:38 offset1:39
	v_dual_mov_b32 v130, v100 :: v_dual_mov_b32 v131, v101
	v_dual_mov_b32 v138, v32 :: v_dual_mov_b32 v139, v33
	;; [unrolled: 1-line block ×12, first 2 shown]
	ds_store_2addr_b64 v134, v[130:131], v[138:139] offset0:40 offset1:41
	ds_store_2addr_b64 v134, v[140:141], v[142:143] offset0:42 offset1:43
	;; [unrolled: 1-line block ×6, first 2 shown]
	v_dual_mov_b32 v130, v86 :: v_dual_mov_b32 v131, v87
	v_dual_mov_b32 v140, v10 :: v_dual_mov_b32 v141, v11
	;; [unrolled: 1-line block ×9, first 2 shown]
	v_mov_b32_e32 v155, v15
	ds_store_2addr_b64 v134, v[130:131], v[140:141] offset0:52 offset1:53
	ds_store_2addr_b64 v134, v[142:143], v[144:145] offset0:54 offset1:55
	;; [unrolled: 1-line block ×5, first 2 shown]
.LBB122_501:
	s_or_b32 exec_lo, exec_lo, s0
	s_delay_alu instid0(SALU_CYCLE_1)
	s_mov_b32 s0, exec_lo
	s_wait_storecnt_dscnt 0x0
	s_barrier_signal -1
	s_barrier_wait -1
	v_cmpx_lt_i32_e32 23, v138
	s_cbranch_execz .LBB122_503
; %bb.502:
	v_pk_mul_f32 v[140:141], v[132:133], v[64:65] op_sel:[1,1] op_sel_hi:[0,1]
	s_delay_alu instid0(VALU_DEP_1)
	v_pk_fma_f32 v[130:131], v[132:133], v[64:65], v[140:141] op_sel_hi:[1,0,1] neg_lo:[0,0,1] neg_hi:[0,0,1]
	v_pk_fma_f32 v[132:133], v[132:133], v[64:65], v[140:141] op_sel_hi:[1,0,1]
	ds_load_2addr_b64 v[140:143], v134 offset0:24 offset1:25
	v_dual_mov_b32 v64, v130 :: v_dual_mov_b32 v65, v133
	s_wait_dscnt 0x0
	v_pk_mul_f32 v[144:145], v[140:141], v[132:133] op_sel:[0,1]
	s_delay_alu instid0(VALU_DEP_1) | instskip(SKIP_1) | instid1(VALU_DEP_1)
	v_pk_fma_f32 v[146:147], v[140:141], v[130:131], v[144:145] op_sel:[0,0,1] op_sel_hi:[1,1,0] neg_lo:[0,0,1] neg_hi:[0,0,1]
	v_pk_fma_f32 v[140:141], v[140:141], v[130:131], v[144:145] op_sel:[0,0,1] op_sel_hi:[1,0,0]
	v_mov_b32_e32 v147, v141
	v_pk_mul_f32 v[140:141], v[142:143], v[132:133] op_sel:[0,1]
	s_delay_alu instid0(VALU_DEP_1) | instskip(SKIP_1) | instid1(VALU_DEP_1)
	v_pk_fma_f32 v[144:145], v[142:143], v[130:131], v[140:141] op_sel:[0,0,1] op_sel_hi:[1,1,0] neg_lo:[0,0,1] neg_hi:[0,0,1]
	v_pk_fma_f32 v[140:141], v[142:143], v[130:131], v[140:141] op_sel:[0,0,1] op_sel_hi:[1,0,0]
	v_mov_b32_e32 v145, v141
	ds_load_2addr_b64 v[140:143], v134 offset0:26 offset1:27
	v_pk_add_f32 v[108:109], v[108:109], v[146:147] neg_lo:[0,1] neg_hi:[0,1]
	v_pk_add_f32 v[60:61], v[60:61], v[144:145] neg_lo:[0,1] neg_hi:[0,1]
	s_wait_dscnt 0x0
	v_pk_mul_f32 v[144:145], v[140:141], v[132:133] op_sel:[0,1]
	s_delay_alu instid0(VALU_DEP_1) | instskip(SKIP_2) | instid1(VALU_DEP_2)
	v_pk_fma_f32 v[146:147], v[140:141], v[130:131], v[144:145] op_sel:[0,0,1] op_sel_hi:[1,1,0] neg_lo:[0,0,1] neg_hi:[0,0,1]
	v_pk_fma_f32 v[140:141], v[140:141], v[130:131], v[144:145] op_sel:[0,0,1] op_sel_hi:[1,0,0]
	v_dual_mul_f32 v144, v143, v133 :: v_dual_mov_b32 v140, v143
	v_dual_mov_b32 v147, v141 :: v_dual_mov_b32 v141, v142
	s_delay_alu instid0(VALU_DEP_2) | instskip(SKIP_1) | instid1(VALU_DEP_3)
	v_pk_fma_f32 v[144:145], v[142:143], v[64:65], v[144:145] op_sel_hi:[1,1,0] neg_lo:[0,0,1] neg_hi:[0,0,1]
	v_mul_f32_e32 v142, v143, v130
	v_pk_add_f32 v[62:63], v[62:63], v[146:147] neg_lo:[0,1] neg_hi:[0,1]
	s_delay_alu instid0(VALU_DEP_2) | instskip(NEXT) | instid1(VALU_DEP_1)
	v_pk_fma_f32 v[140:141], v[140:141], v[64:65], v[142:143] op_sel_hi:[1,1,0]
	v_mov_b32_e32 v145, v141
	ds_load_2addr_b64 v[140:143], v134 offset0:28 offset1:29
	v_pk_add_f32 v[58:59], v[58:59], v[144:145] neg_lo:[0,1] neg_hi:[0,1]
	s_wait_dscnt 0x0
	v_pk_mul_f32 v[144:145], v[140:141], v[132:133] op_sel:[0,1]
	s_delay_alu instid0(VALU_DEP_1) | instskip(SKIP_1) | instid1(VALU_DEP_1)
	v_pk_fma_f32 v[146:147], v[140:141], v[130:131], v[144:145] op_sel:[0,0,1] op_sel_hi:[1,1,0] neg_lo:[0,0,1] neg_hi:[0,0,1]
	v_pk_fma_f32 v[140:141], v[140:141], v[130:131], v[144:145] op_sel:[0,0,1] op_sel_hi:[1,0,0]
	v_mov_b32_e32 v147, v141
	v_pk_mul_f32 v[140:141], v[142:143], v[132:133] op_sel:[0,1]
	s_delay_alu instid0(VALU_DEP_1) | instskip(SKIP_1) | instid1(VALU_DEP_1)
	v_pk_fma_f32 v[144:145], v[142:143], v[130:131], v[140:141] op_sel:[0,0,1] op_sel_hi:[1,1,0] neg_lo:[0,0,1] neg_hi:[0,0,1]
	v_pk_fma_f32 v[140:141], v[142:143], v[130:131], v[140:141] op_sel:[0,0,1] op_sel_hi:[1,0,0]
	v_mov_b32_e32 v145, v141
	ds_load_2addr_b64 v[140:143], v134 offset0:30 offset1:31
	v_pk_add_f32 v[106:107], v[106:107], v[146:147] neg_lo:[0,1] neg_hi:[0,1]
	v_pk_add_f32 v[54:55], v[54:55], v[144:145] neg_lo:[0,1] neg_hi:[0,1]
	s_wait_dscnt 0x0
	v_pk_mul_f32 v[144:145], v[140:141], v[132:133] op_sel:[0,1]
	s_delay_alu instid0(VALU_DEP_1) | instskip(SKIP_1) | instid1(VALU_DEP_1)
	v_pk_fma_f32 v[146:147], v[140:141], v[130:131], v[144:145] op_sel:[0,0,1] op_sel_hi:[1,1,0] neg_lo:[0,0,1] neg_hi:[0,0,1]
	v_pk_fma_f32 v[140:141], v[140:141], v[130:131], v[144:145] op_sel:[0,0,1] op_sel_hi:[1,0,0]
	v_mov_b32_e32 v147, v141
	v_pk_mul_f32 v[140:141], v[142:143], v[132:133] op_sel:[0,1]
	s_delay_alu instid0(VALU_DEP_1) | instskip(SKIP_1) | instid1(VALU_DEP_1)
	v_pk_fma_f32 v[144:145], v[142:143], v[130:131], v[140:141] op_sel:[0,0,1] op_sel_hi:[1,1,0] neg_lo:[0,0,1] neg_hi:[0,0,1]
	v_pk_fma_f32 v[140:141], v[142:143], v[130:131], v[140:141] op_sel:[0,0,1] op_sel_hi:[1,0,0]
	v_mov_b32_e32 v145, v141
	ds_load_2addr_b64 v[140:143], v134 offset0:32 offset1:33
	v_pk_add_f32 v[56:57], v[56:57], v[146:147] neg_lo:[0,1] neg_hi:[0,1]
	v_pk_add_f32 v[52:53], v[52:53], v[144:145] neg_lo:[0,1] neg_hi:[0,1]
	s_wait_dscnt 0x0
	v_dual_mul_f32 v144, v141, v133 :: v_dual_mul_f32 v146, v141, v130
	s_delay_alu instid0(VALU_DEP_1) | instskip(NEXT) | instid1(VALU_DEP_2)
	v_pk_fma_f32 v[144:145], v[140:141], v[64:65], v[144:145] op_sel_hi:[1,1,0] neg_lo:[0,0,1] neg_hi:[0,0,1]
	v_pk_fma_f32 v[140:141], v[140:141], v[64:65], v[146:147] op_sel:[1,0,0] op_sel_hi:[0,1,0]
	s_delay_alu instid0(VALU_DEP_1) | instskip(SKIP_1) | instid1(VALU_DEP_2)
	v_mov_b32_e32 v145, v141
	v_pk_mul_f32 v[140:141], v[142:143], v[132:133] op_sel:[0,1]
	v_pk_add_f32 v[104:105], v[104:105], v[144:145] neg_lo:[0,1] neg_hi:[0,1]
	s_delay_alu instid0(VALU_DEP_2) | instskip(SKIP_1) | instid1(VALU_DEP_1)
	v_pk_fma_f32 v[144:145], v[142:143], v[130:131], v[140:141] op_sel:[0,0,1] op_sel_hi:[1,1,0] neg_lo:[0,0,1] neg_hi:[0,0,1]
	v_pk_fma_f32 v[140:141], v[142:143], v[130:131], v[140:141] op_sel:[0,0,1] op_sel_hi:[1,0,0]
	v_mov_b32_e32 v145, v141
	ds_load_2addr_b64 v[140:143], v134 offset0:34 offset1:35
	v_pk_add_f32 v[48:49], v[48:49], v[144:145] neg_lo:[0,1] neg_hi:[0,1]
	s_wait_dscnt 0x0
	v_pk_mul_f32 v[144:145], v[140:141], v[132:133] op_sel:[0,1]
	s_delay_alu instid0(VALU_DEP_1) | instskip(SKIP_1) | instid1(VALU_DEP_1)
	v_pk_fma_f32 v[146:147], v[140:141], v[130:131], v[144:145] op_sel:[0,0,1] op_sel_hi:[1,1,0] neg_lo:[0,0,1] neg_hi:[0,0,1]
	v_pk_fma_f32 v[140:141], v[140:141], v[130:131], v[144:145] op_sel:[0,0,1] op_sel_hi:[1,0,0]
	v_mov_b32_e32 v147, v141
	v_pk_mul_f32 v[140:141], v[142:143], v[132:133] op_sel:[0,1]
	s_delay_alu instid0(VALU_DEP_2) | instskip(NEXT) | instid1(VALU_DEP_2)
	v_pk_add_f32 v[50:51], v[50:51], v[146:147] neg_lo:[0,1] neg_hi:[0,1]
	v_pk_fma_f32 v[144:145], v[142:143], v[130:131], v[140:141] op_sel:[0,0,1] op_sel_hi:[1,1,0] neg_lo:[0,0,1] neg_hi:[0,0,1]
	v_pk_fma_f32 v[140:141], v[142:143], v[130:131], v[140:141] op_sel:[0,0,1] op_sel_hi:[1,0,0]
	s_delay_alu instid0(VALU_DEP_1) | instskip(SKIP_4) | instid1(VALU_DEP_1)
	v_mov_b32_e32 v145, v141
	ds_load_2addr_b64 v[140:143], v134 offset0:36 offset1:37
	v_pk_add_f32 v[46:47], v[46:47], v[144:145] neg_lo:[0,1] neg_hi:[0,1]
	s_wait_dscnt 0x0
	v_pk_mul_f32 v[144:145], v[140:141], v[132:133] op_sel:[0,1]
	v_pk_fma_f32 v[146:147], v[140:141], v[130:131], v[144:145] op_sel:[0,0,1] op_sel_hi:[1,1,0] neg_lo:[0,0,1] neg_hi:[0,0,1]
	v_pk_fma_f32 v[140:141], v[140:141], v[130:131], v[144:145] op_sel:[0,0,1] op_sel_hi:[1,0,0]
	v_dual_mul_f32 v144, v143, v133 :: v_dual_mov_b32 v140, v143
	s_delay_alu instid0(VALU_DEP_2) | instskip(NEXT) | instid1(VALU_DEP_2)
	v_dual_mov_b32 v147, v141 :: v_dual_mov_b32 v141, v142
	v_pk_fma_f32 v[144:145], v[142:143], v[64:65], v[144:145] op_sel_hi:[1,1,0] neg_lo:[0,0,1] neg_hi:[0,0,1]
	v_mul_f32_e32 v142, v143, v130
	s_delay_alu instid0(VALU_DEP_3) | instskip(NEXT) | instid1(VALU_DEP_2)
	v_pk_add_f32 v[102:103], v[102:103], v[146:147] neg_lo:[0,1] neg_hi:[0,1]
	v_pk_fma_f32 v[140:141], v[140:141], v[64:65], v[142:143] op_sel_hi:[1,1,0]
	s_delay_alu instid0(VALU_DEP_1) | instskip(SKIP_4) | instid1(VALU_DEP_1)
	v_mov_b32_e32 v145, v141
	ds_load_2addr_b64 v[140:143], v134 offset0:38 offset1:39
	v_pk_add_f32 v[40:41], v[40:41], v[144:145] neg_lo:[0,1] neg_hi:[0,1]
	s_wait_dscnt 0x0
	v_pk_mul_f32 v[144:145], v[140:141], v[132:133] op_sel:[0,1]
	v_pk_fma_f32 v[146:147], v[140:141], v[130:131], v[144:145] op_sel:[0,0,1] op_sel_hi:[1,1,0] neg_lo:[0,0,1] neg_hi:[0,0,1]
	v_pk_fma_f32 v[140:141], v[140:141], v[130:131], v[144:145] op_sel:[0,0,1] op_sel_hi:[1,0,0]
	s_delay_alu instid0(VALU_DEP_1) | instskip(SKIP_1) | instid1(VALU_DEP_1)
	v_mov_b32_e32 v147, v141
	v_pk_mul_f32 v[140:141], v[142:143], v[132:133] op_sel:[0,1]
	v_pk_fma_f32 v[144:145], v[142:143], v[130:131], v[140:141] op_sel:[0,0,1] op_sel_hi:[1,1,0] neg_lo:[0,0,1] neg_hi:[0,0,1]
	v_pk_fma_f32 v[140:141], v[142:143], v[130:131], v[140:141] op_sel:[0,0,1] op_sel_hi:[1,0,0]
	s_delay_alu instid0(VALU_DEP_1)
	v_mov_b32_e32 v145, v141
	ds_load_2addr_b64 v[140:143], v134 offset0:40 offset1:41
	v_pk_add_f32 v[42:43], v[42:43], v[146:147] neg_lo:[0,1] neg_hi:[0,1]
	v_pk_add_f32 v[38:39], v[38:39], v[144:145] neg_lo:[0,1] neg_hi:[0,1]
	s_wait_dscnt 0x0
	v_pk_mul_f32 v[144:145], v[140:141], v[132:133] op_sel:[0,1]
	s_delay_alu instid0(VALU_DEP_1) | instskip(SKIP_1) | instid1(VALU_DEP_1)
	v_pk_fma_f32 v[146:147], v[140:141], v[130:131], v[144:145] op_sel:[0,0,1] op_sel_hi:[1,1,0] neg_lo:[0,0,1] neg_hi:[0,0,1]
	v_pk_fma_f32 v[140:141], v[140:141], v[130:131], v[144:145] op_sel:[0,0,1] op_sel_hi:[1,0,0]
	v_mov_b32_e32 v147, v141
	v_pk_mul_f32 v[140:141], v[142:143], v[132:133] op_sel:[0,1]
	s_delay_alu instid0(VALU_DEP_1) | instskip(SKIP_1) | instid1(VALU_DEP_1)
	v_pk_fma_f32 v[144:145], v[142:143], v[130:131], v[140:141] op_sel:[0,0,1] op_sel_hi:[1,1,0] neg_lo:[0,0,1] neg_hi:[0,0,1]
	v_pk_fma_f32 v[140:141], v[142:143], v[130:131], v[140:141] op_sel:[0,0,1] op_sel_hi:[1,0,0]
	v_mov_b32_e32 v145, v141
	ds_load_2addr_b64 v[140:143], v134 offset0:42 offset1:43
	v_pk_add_f32 v[100:101], v[100:101], v[146:147] neg_lo:[0,1] neg_hi:[0,1]
	v_pk_add_f32 v[32:33], v[32:33], v[144:145] neg_lo:[0,1] neg_hi:[0,1]
	s_wait_dscnt 0x0
	v_dual_mul_f32 v144, v141, v133 :: v_dual_mul_f32 v146, v141, v130
	s_delay_alu instid0(VALU_DEP_1) | instskip(NEXT) | instid1(VALU_DEP_2)
	v_pk_fma_f32 v[144:145], v[140:141], v[64:65], v[144:145] op_sel_hi:[1,1,0] neg_lo:[0,0,1] neg_hi:[0,0,1]
	v_pk_fma_f32 v[140:141], v[140:141], v[64:65], v[146:147] op_sel:[1,0,0] op_sel_hi:[0,1,0]
	s_delay_alu instid0(VALU_DEP_1) | instskip(SKIP_1) | instid1(VALU_DEP_2)
	v_mov_b32_e32 v145, v141
	v_pk_mul_f32 v[140:141], v[142:143], v[132:133] op_sel:[0,1]
	v_pk_add_f32 v[34:35], v[34:35], v[144:145] neg_lo:[0,1] neg_hi:[0,1]
	s_delay_alu instid0(VALU_DEP_2) | instskip(SKIP_1) | instid1(VALU_DEP_1)
	v_pk_fma_f32 v[144:145], v[142:143], v[130:131], v[140:141] op_sel:[0,0,1] op_sel_hi:[1,1,0] neg_lo:[0,0,1] neg_hi:[0,0,1]
	v_pk_fma_f32 v[140:141], v[142:143], v[130:131], v[140:141] op_sel:[0,0,1] op_sel_hi:[1,0,0]
	v_mov_b32_e32 v145, v141
	ds_load_2addr_b64 v[140:143], v134 offset0:44 offset1:45
	v_pk_add_f32 v[30:31], v[30:31], v[144:145] neg_lo:[0,1] neg_hi:[0,1]
	s_wait_dscnt 0x0
	v_pk_mul_f32 v[144:145], v[140:141], v[132:133] op_sel:[0,1]
	s_delay_alu instid0(VALU_DEP_1) | instskip(SKIP_1) | instid1(VALU_DEP_1)
	v_pk_fma_f32 v[146:147], v[140:141], v[130:131], v[144:145] op_sel:[0,0,1] op_sel_hi:[1,1,0] neg_lo:[0,0,1] neg_hi:[0,0,1]
	v_pk_fma_f32 v[140:141], v[140:141], v[130:131], v[144:145] op_sel:[0,0,1] op_sel_hi:[1,0,0]
	v_mov_b32_e32 v147, v141
	v_pk_mul_f32 v[140:141], v[142:143], v[132:133] op_sel:[0,1]
	s_delay_alu instid0(VALU_DEP_2) | instskip(NEXT) | instid1(VALU_DEP_2)
	v_pk_add_f32 v[98:99], v[98:99], v[146:147] neg_lo:[0,1] neg_hi:[0,1]
	v_pk_fma_f32 v[144:145], v[142:143], v[130:131], v[140:141] op_sel:[0,0,1] op_sel_hi:[1,1,0] neg_lo:[0,0,1] neg_hi:[0,0,1]
	v_pk_fma_f32 v[140:141], v[142:143], v[130:131], v[140:141] op_sel:[0,0,1] op_sel_hi:[1,0,0]
	s_delay_alu instid0(VALU_DEP_1) | instskip(SKIP_4) | instid1(VALU_DEP_1)
	v_mov_b32_e32 v145, v141
	ds_load_2addr_b64 v[140:143], v134 offset0:46 offset1:47
	v_pk_add_f32 v[24:25], v[24:25], v[144:145] neg_lo:[0,1] neg_hi:[0,1]
	s_wait_dscnt 0x0
	v_pk_mul_f32 v[144:145], v[140:141], v[132:133] op_sel:[0,1]
	v_pk_fma_f32 v[146:147], v[140:141], v[130:131], v[144:145] op_sel:[0,0,1] op_sel_hi:[1,1,0] neg_lo:[0,0,1] neg_hi:[0,0,1]
	v_pk_fma_f32 v[140:141], v[140:141], v[130:131], v[144:145] op_sel:[0,0,1] op_sel_hi:[1,0,0]
	v_dual_mul_f32 v144, v143, v133 :: v_dual_mov_b32 v140, v143
	s_delay_alu instid0(VALU_DEP_2) | instskip(NEXT) | instid1(VALU_DEP_2)
	v_dual_mov_b32 v147, v141 :: v_dual_mov_b32 v141, v142
	v_pk_fma_f32 v[144:145], v[142:143], v[64:65], v[144:145] op_sel_hi:[1,1,0] neg_lo:[0,0,1] neg_hi:[0,0,1]
	v_mul_f32_e32 v142, v143, v130
	s_delay_alu instid0(VALU_DEP_3) | instskip(NEXT) | instid1(VALU_DEP_2)
	v_pk_add_f32 v[28:29], v[28:29], v[146:147] neg_lo:[0,1] neg_hi:[0,1]
	v_pk_fma_f32 v[140:141], v[140:141], v[64:65], v[142:143] op_sel_hi:[1,1,0]
	s_delay_alu instid0(VALU_DEP_1) | instskip(SKIP_4) | instid1(VALU_DEP_1)
	v_mov_b32_e32 v145, v141
	ds_load_2addr_b64 v[140:143], v134 offset0:48 offset1:49
	v_pk_add_f32 v[22:23], v[22:23], v[144:145] neg_lo:[0,1] neg_hi:[0,1]
	s_wait_dscnt 0x0
	v_pk_mul_f32 v[144:145], v[140:141], v[132:133] op_sel:[0,1]
	v_pk_fma_f32 v[146:147], v[140:141], v[130:131], v[144:145] op_sel:[0,0,1] op_sel_hi:[1,1,0] neg_lo:[0,0,1] neg_hi:[0,0,1]
	v_pk_fma_f32 v[140:141], v[140:141], v[130:131], v[144:145] op_sel:[0,0,1] op_sel_hi:[1,0,0]
	s_delay_alu instid0(VALU_DEP_1) | instskip(SKIP_1) | instid1(VALU_DEP_1)
	v_mov_b32_e32 v147, v141
	v_pk_mul_f32 v[140:141], v[142:143], v[132:133] op_sel:[0,1]
	v_pk_fma_f32 v[144:145], v[142:143], v[130:131], v[140:141] op_sel:[0,0,1] op_sel_hi:[1,1,0] neg_lo:[0,0,1] neg_hi:[0,0,1]
	v_pk_fma_f32 v[140:141], v[142:143], v[130:131], v[140:141] op_sel:[0,0,1] op_sel_hi:[1,0,0]
	s_delay_alu instid0(VALU_DEP_1)
	v_mov_b32_e32 v145, v141
	ds_load_2addr_b64 v[140:143], v134 offset0:50 offset1:51
	v_pk_add_f32 v[96:97], v[96:97], v[146:147] neg_lo:[0,1] neg_hi:[0,1]
	v_pk_add_f32 v[18:19], v[18:19], v[144:145] neg_lo:[0,1] neg_hi:[0,1]
	s_wait_dscnt 0x0
	v_pk_mul_f32 v[144:145], v[140:141], v[132:133] op_sel:[0,1]
	s_delay_alu instid0(VALU_DEP_1) | instskip(SKIP_1) | instid1(VALU_DEP_1)
	v_pk_fma_f32 v[146:147], v[140:141], v[130:131], v[144:145] op_sel:[0,0,1] op_sel_hi:[1,1,0] neg_lo:[0,0,1] neg_hi:[0,0,1]
	v_pk_fma_f32 v[140:141], v[140:141], v[130:131], v[144:145] op_sel:[0,0,1] op_sel_hi:[1,0,0]
	v_mov_b32_e32 v147, v141
	v_pk_mul_f32 v[140:141], v[142:143], v[132:133] op_sel:[0,1]
	s_delay_alu instid0(VALU_DEP_1) | instskip(SKIP_1) | instid1(VALU_DEP_1)
	v_pk_fma_f32 v[144:145], v[142:143], v[130:131], v[140:141] op_sel:[0,0,1] op_sel_hi:[1,1,0] neg_lo:[0,0,1] neg_hi:[0,0,1]
	v_pk_fma_f32 v[140:141], v[142:143], v[130:131], v[140:141] op_sel:[0,0,1] op_sel_hi:[1,0,0]
	v_mov_b32_e32 v145, v141
	ds_load_2addr_b64 v[140:143], v134 offset0:52 offset1:53
	v_pk_add_f32 v[20:21], v[20:21], v[146:147] neg_lo:[0,1] neg_hi:[0,1]
	v_pk_add_f32 v[36:37], v[36:37], v[144:145] neg_lo:[0,1] neg_hi:[0,1]
	s_wait_dscnt 0x0
	v_dual_mul_f32 v144, v141, v133 :: v_dual_mul_f32 v146, v141, v130
	s_delay_alu instid0(VALU_DEP_1) | instskip(NEXT) | instid1(VALU_DEP_2)
	v_pk_fma_f32 v[144:145], v[140:141], v[64:65], v[144:145] op_sel_hi:[1,1,0] neg_lo:[0,0,1] neg_hi:[0,0,1]
	v_pk_fma_f32 v[140:141], v[140:141], v[64:65], v[146:147] op_sel:[1,0,0] op_sel_hi:[0,1,0]
	s_delay_alu instid0(VALU_DEP_1) | instskip(SKIP_1) | instid1(VALU_DEP_2)
	v_mov_b32_e32 v145, v141
	v_pk_mul_f32 v[140:141], v[142:143], v[132:133] op_sel:[0,1]
	v_pk_add_f32 v[86:87], v[86:87], v[144:145] neg_lo:[0,1] neg_hi:[0,1]
	s_delay_alu instid0(VALU_DEP_2) | instskip(SKIP_1) | instid1(VALU_DEP_1)
	v_pk_fma_f32 v[144:145], v[142:143], v[130:131], v[140:141] op_sel:[0,0,1] op_sel_hi:[1,1,0] neg_lo:[0,0,1] neg_hi:[0,0,1]
	v_pk_fma_f32 v[140:141], v[142:143], v[130:131], v[140:141] op_sel:[0,0,1] op_sel_hi:[1,0,0]
	v_mov_b32_e32 v145, v141
	ds_load_2addr_b64 v[140:143], v134 offset0:54 offset1:55
	v_pk_add_f32 v[10:11], v[10:11], v[144:145] neg_lo:[0,1] neg_hi:[0,1]
	s_wait_dscnt 0x0
	v_pk_mul_f32 v[144:145], v[140:141], v[132:133] op_sel:[0,1]
	s_delay_alu instid0(VALU_DEP_1) | instskip(SKIP_1) | instid1(VALU_DEP_1)
	v_pk_fma_f32 v[146:147], v[140:141], v[130:131], v[144:145] op_sel:[0,0,1] op_sel_hi:[1,1,0] neg_lo:[0,0,1] neg_hi:[0,0,1]
	v_pk_fma_f32 v[140:141], v[140:141], v[130:131], v[144:145] op_sel:[0,0,1] op_sel_hi:[1,0,0]
	v_mov_b32_e32 v147, v141
	v_pk_mul_f32 v[140:141], v[142:143], v[132:133] op_sel:[0,1]
	s_delay_alu instid0(VALU_DEP_2) | instskip(NEXT) | instid1(VALU_DEP_2)
	v_pk_add_f32 v[12:13], v[12:13], v[146:147] neg_lo:[0,1] neg_hi:[0,1]
	v_pk_fma_f32 v[144:145], v[142:143], v[130:131], v[140:141] op_sel:[0,0,1] op_sel_hi:[1,1,0] neg_lo:[0,0,1] neg_hi:[0,0,1]
	v_pk_fma_f32 v[140:141], v[142:143], v[130:131], v[140:141] op_sel:[0,0,1] op_sel_hi:[1,0,0]
	s_delay_alu instid0(VALU_DEP_1) | instskip(SKIP_4) | instid1(VALU_DEP_1)
	v_mov_b32_e32 v145, v141
	ds_load_2addr_b64 v[140:143], v134 offset0:56 offset1:57
	v_pk_add_f32 v[8:9], v[8:9], v[144:145] neg_lo:[0,1] neg_hi:[0,1]
	s_wait_dscnt 0x0
	v_pk_mul_f32 v[144:145], v[140:141], v[132:133] op_sel:[0,1]
	v_pk_fma_f32 v[146:147], v[140:141], v[130:131], v[144:145] op_sel:[0,0,1] op_sel_hi:[1,1,0] neg_lo:[0,0,1] neg_hi:[0,0,1]
	v_pk_fma_f32 v[140:141], v[140:141], v[130:131], v[144:145] op_sel:[0,0,1] op_sel_hi:[1,0,0]
	v_dual_mul_f32 v144, v143, v133 :: v_dual_mov_b32 v140, v143
	s_delay_alu instid0(VALU_DEP_2) | instskip(NEXT) | instid1(VALU_DEP_2)
	v_dual_mov_b32 v147, v141 :: v_dual_mov_b32 v141, v142
	v_pk_fma_f32 v[144:145], v[142:143], v[64:65], v[144:145] op_sel_hi:[1,1,0] neg_lo:[0,0,1] neg_hi:[0,0,1]
	v_mul_f32_e32 v142, v143, v130
	s_delay_alu instid0(VALU_DEP_3) | instskip(NEXT) | instid1(VALU_DEP_2)
	v_pk_add_f32 v[44:45], v[44:45], v[146:147] neg_lo:[0,1] neg_hi:[0,1]
	v_pk_fma_f32 v[140:141], v[140:141], v[64:65], v[142:143] op_sel_hi:[1,1,0]
	s_delay_alu instid0(VALU_DEP_1) | instskip(SKIP_4) | instid1(VALU_DEP_1)
	v_mov_b32_e32 v145, v141
	ds_load_2addr_b64 v[140:143], v134 offset0:58 offset1:59
	v_pk_add_f32 v[6:7], v[6:7], v[144:145] neg_lo:[0,1] neg_hi:[0,1]
	s_wait_dscnt 0x0
	v_pk_mul_f32 v[144:145], v[140:141], v[132:133] op_sel:[0,1]
	v_pk_fma_f32 v[146:147], v[140:141], v[130:131], v[144:145] op_sel:[0,0,1] op_sel_hi:[1,1,0] neg_lo:[0,0,1] neg_hi:[0,0,1]
	v_pk_fma_f32 v[140:141], v[140:141], v[130:131], v[144:145] op_sel:[0,0,1] op_sel_hi:[1,0,0]
	s_delay_alu instid0(VALU_DEP_1) | instskip(SKIP_1) | instid1(VALU_DEP_1)
	v_mov_b32_e32 v147, v141
	v_pk_mul_f32 v[140:141], v[142:143], v[132:133] op_sel:[0,1]
	v_pk_fma_f32 v[144:145], v[142:143], v[130:131], v[140:141] op_sel:[0,0,1] op_sel_hi:[1,1,0] neg_lo:[0,0,1] neg_hi:[0,0,1]
	v_pk_fma_f32 v[140:141], v[142:143], v[130:131], v[140:141] op_sel:[0,0,1] op_sel_hi:[1,0,0]
	s_delay_alu instid0(VALU_DEP_1)
	v_mov_b32_e32 v145, v141
	ds_load_2addr_b64 v[140:143], v134 offset0:60 offset1:61
	v_pk_add_f32 v[26:27], v[26:27], v[146:147] neg_lo:[0,1] neg_hi:[0,1]
	v_pk_add_f32 v[16:17], v[16:17], v[144:145] neg_lo:[0,1] neg_hi:[0,1]
	s_wait_dscnt 0x0
	v_pk_mul_f32 v[144:145], v[140:141], v[132:133] op_sel:[0,1]
	v_pk_mul_f32 v[132:133], v[142:143], v[132:133] op_sel:[0,1]
	s_delay_alu instid0(VALU_DEP_2) | instskip(SKIP_1) | instid1(VALU_DEP_1)
	v_pk_fma_f32 v[146:147], v[140:141], v[130:131], v[144:145] op_sel:[0,0,1] op_sel_hi:[1,1,0] neg_lo:[0,0,1] neg_hi:[0,0,1]
	v_pk_fma_f32 v[140:141], v[140:141], v[130:131], v[144:145] op_sel:[0,0,1] op_sel_hi:[1,0,0]
	v_mov_b32_e32 v147, v141
	s_delay_alu instid0(VALU_DEP_4) | instskip(SKIP_1) | instid1(VALU_DEP_1)
	v_pk_fma_f32 v[140:141], v[142:143], v[130:131], v[132:133] op_sel:[0,0,1] op_sel_hi:[1,1,0] neg_lo:[0,0,1] neg_hi:[0,0,1]
	v_pk_fma_f32 v[130:131], v[142:143], v[130:131], v[132:133] op_sel:[0,0,1] op_sel_hi:[1,0,0]
	v_mov_b32_e32 v141, v131
	s_delay_alu instid0(VALU_DEP_4) | instskip(NEXT) | instid1(VALU_DEP_2)
	v_pk_add_f32 v[14:15], v[14:15], v[146:147] neg_lo:[0,1] neg_hi:[0,1]
	v_pk_add_f32 v[128:129], v[128:129], v[140:141] neg_lo:[0,1] neg_hi:[0,1]
.LBB122_503:
	s_or_b32 exec_lo, exec_lo, s0
	v_lshl_add_u32 v130, v138, 3, v134
	s_barrier_signal -1
	s_barrier_wait -1
	ds_store_b64 v130, v[108:109]
	s_wait_dscnt 0x0
	s_barrier_signal -1
	s_barrier_wait -1
	ds_load_b64 v[132:133], v134 offset:192
	v_mov_b32_e32 v130, 24
	s_cmp_lt_i32 s18, 26
	s_cbranch_scc1 .LBB122_506
; %bb.504:
	v_add3_u32 v131, v135, 0, 0xc8
	v_mov_b32_e32 v130, 24
	s_mov_b32 s0, 25
.LBB122_505:                            ; =>This Inner Loop Header: Depth=1
	ds_load_b64 v[140:141], v131
	s_wait_dscnt 0x1
	v_cmp_gt_f32_e32 vcc_lo, 0, v132
	v_cndmask_b32_e64 v142, v132, -v132, vcc_lo
	v_cmp_gt_f32_e32 vcc_lo, 0, v133
	v_cndmask_b32_e64 v144, v133, -v133, vcc_lo
	s_wait_dscnt 0x0
	v_cmp_gt_f32_e32 vcc_lo, 0, v140
	v_cndmask_b32_e64 v143, v140, -v140, vcc_lo
	v_cmp_gt_f32_e32 vcc_lo, 0, v141
	v_cndmask_b32_e64 v145, v141, -v141, vcc_lo
	s_delay_alu instid0(VALU_DEP_1) | instskip(NEXT) | instid1(VALU_DEP_1)
	v_pk_add_f32 v[142:143], v[142:143], v[144:145]
	v_cmp_lt_f32_e32 vcc_lo, v142, v143
	v_dual_add_nc_u32 v131, 8, v131 :: v_dual_cndmask_b32 v133, v133, v141, vcc_lo
	v_cndmask_b32_e32 v132, v132, v140, vcc_lo
	v_cndmask_b32_e64 v130, v130, s0, vcc_lo
	s_add_co_i32 s0, s0, 1
	s_delay_alu instid0(SALU_CYCLE_1)
	s_cmp_lg_u32 s18, s0
	s_cbranch_scc1 .LBB122_505
.LBB122_506:
	s_wait_dscnt 0x0
	v_cmp_eq_f32_e32 vcc_lo, 0, v132
	v_cmp_eq_f32_e64 s0, 0, v133
	s_and_b32 s0, vcc_lo, s0
	s_delay_alu instid0(SALU_CYCLE_1) | instskip(NEXT) | instid1(SALU_CYCLE_1)
	s_and_saveexec_b32 s1, s0
	s_xor_b32 s0, exec_lo, s1
; %bb.507:
	v_cmp_ne_u32_e32 vcc_lo, 0, v136
	v_cndmask_b32_e32 v136, 25, v136, vcc_lo
; %bb.508:
	s_and_not1_saveexec_b32 s0, s0
	s_cbranch_execz .LBB122_514
; %bb.509:
	v_cmp_ngt_f32_e64 s1, |v132|, |v133|
	s_and_saveexec_b32 s12, s1
	s_delay_alu instid0(SALU_CYCLE_1)
	s_xor_b32 s1, exec_lo, s12
	s_cbranch_execz .LBB122_511
; %bb.510:
	v_div_scale_f32 v131, null, v133, v133, v132
	v_div_scale_f32 v141, vcc_lo, v132, v133, v132
	s_delay_alu instid0(VALU_DEP_2) | instskip(SKIP_1) | instid1(TRANS32_DEP_1)
	v_rcp_f32_e32 v139, v131
	v_nop
	v_fma_f32 v140, -v131, v139, 1.0
	s_delay_alu instid0(VALU_DEP_1) | instskip(NEXT) | instid1(VALU_DEP_1)
	v_fmac_f32_e32 v139, v140, v139
	v_mul_f32_e32 v140, v141, v139
	s_delay_alu instid0(VALU_DEP_1) | instskip(NEXT) | instid1(VALU_DEP_1)
	v_fma_f32 v142, -v131, v140, v141
	v_fmac_f32_e32 v140, v142, v139
	s_delay_alu instid0(VALU_DEP_1) | instskip(NEXT) | instid1(VALU_DEP_1)
	v_fma_f32 v131, -v131, v140, v141
	v_div_fmas_f32 v131, v131, v139, v140
	s_delay_alu instid0(VALU_DEP_1) | instskip(NEXT) | instid1(VALU_DEP_1)
	v_div_fixup_f32 v131, v131, v133, v132
	v_fmac_f32_e32 v133, v132, v131
	s_delay_alu instid0(VALU_DEP_1) | instskip(SKIP_1) | instid1(VALU_DEP_2)
	v_div_scale_f32 v132, null, v133, v133, 1.0
	v_div_scale_f32 v141, vcc_lo, 1.0, v133, 1.0
	v_rcp_f32_e32 v139, v132
	v_nop
	s_delay_alu instid0(TRANS32_DEP_1) | instskip(NEXT) | instid1(VALU_DEP_1)
	v_fma_f32 v140, -v132, v139, 1.0
	v_fmac_f32_e32 v139, v140, v139
	s_delay_alu instid0(VALU_DEP_1) | instskip(NEXT) | instid1(VALU_DEP_1)
	v_mul_f32_e32 v140, v141, v139
	v_fma_f32 v142, -v132, v140, v141
	s_delay_alu instid0(VALU_DEP_1) | instskip(NEXT) | instid1(VALU_DEP_1)
	v_fmac_f32_e32 v140, v142, v139
	v_fma_f32 v132, -v132, v140, v141
	s_delay_alu instid0(VALU_DEP_1) | instskip(NEXT) | instid1(VALU_DEP_1)
	v_div_fmas_f32 v132, v132, v139, v140
	v_div_fixup_f32 v133, v132, v133, 1.0
	s_delay_alu instid0(VALU_DEP_1)
	v_mul_f32_e32 v132, v131, v133
	v_xor_b32_e32 v133, 0x80000000, v133
.LBB122_511:
	s_and_not1_saveexec_b32 s1, s1
	s_cbranch_execz .LBB122_513
; %bb.512:
	s_delay_alu instid0(VALU_DEP_1) | instskip(SKIP_1) | instid1(VALU_DEP_2)
	v_div_scale_f32 v131, null, v132, v132, v133
	v_div_scale_f32 v141, vcc_lo, v133, v132, v133
	v_rcp_f32_e32 v139, v131
	v_nop
	s_delay_alu instid0(TRANS32_DEP_1) | instskip(NEXT) | instid1(VALU_DEP_1)
	v_fma_f32 v140, -v131, v139, 1.0
	v_fmac_f32_e32 v139, v140, v139
	s_delay_alu instid0(VALU_DEP_1) | instskip(NEXT) | instid1(VALU_DEP_1)
	v_mul_f32_e32 v140, v141, v139
	v_fma_f32 v142, -v131, v140, v141
	s_delay_alu instid0(VALU_DEP_1) | instskip(NEXT) | instid1(VALU_DEP_1)
	v_fmac_f32_e32 v140, v142, v139
	v_fma_f32 v131, -v131, v140, v141
	s_delay_alu instid0(VALU_DEP_1) | instskip(NEXT) | instid1(VALU_DEP_1)
	v_div_fmas_f32 v131, v131, v139, v140
	v_div_fixup_f32 v131, v131, v132, v133
	s_delay_alu instid0(VALU_DEP_1) | instskip(NEXT) | instid1(VALU_DEP_1)
	v_fmac_f32_e32 v132, v133, v131
	v_div_scale_f32 v133, null, v132, v132, 1.0
	s_delay_alu instid0(VALU_DEP_1) | instskip(SKIP_1) | instid1(TRANS32_DEP_1)
	v_rcp_f32_e32 v139, v133
	v_nop
	v_fma_f32 v140, -v133, v139, 1.0
	s_delay_alu instid0(VALU_DEP_1) | instskip(SKIP_1) | instid1(VALU_DEP_1)
	v_fmac_f32_e32 v139, v140, v139
	v_div_scale_f32 v140, vcc_lo, 1.0, v132, 1.0
	v_mul_f32_e32 v141, v140, v139
	s_delay_alu instid0(VALU_DEP_1) | instskip(NEXT) | instid1(VALU_DEP_1)
	v_fma_f32 v142, -v133, v141, v140
	v_fmac_f32_e32 v141, v142, v139
	s_delay_alu instid0(VALU_DEP_1) | instskip(NEXT) | instid1(VALU_DEP_1)
	v_fma_f32 v133, -v133, v141, v140
	v_div_fmas_f32 v133, v133, v139, v141
	s_delay_alu instid0(VALU_DEP_1) | instskip(NEXT) | instid1(VALU_DEP_1)
	v_div_fixup_f32 v132, v133, v132, 1.0
	v_mul_f32_e64 v133, v131, -v132
.LBB122_513:
	s_or_b32 exec_lo, exec_lo, s1
.LBB122_514:
	s_delay_alu instid0(SALU_CYCLE_1) | instskip(NEXT) | instid1(SALU_CYCLE_1)
	s_or_b32 exec_lo, exec_lo, s0
	s_mov_b32 s0, exec_lo
	v_cmpx_ne_u32_e64 v138, v130
	s_xor_b32 s0, exec_lo, s0
	s_cbranch_execz .LBB122_520
; %bb.515:
	s_mov_b32 s1, exec_lo
	v_cmpx_eq_u32_e32 24, v138
	s_cbranch_execz .LBB122_519
; %bb.516:
	v_cmp_ne_u32_e32 vcc_lo, 24, v130
	s_xor_b32 s12, s16, -1
	s_delay_alu instid0(SALU_CYCLE_1) | instskip(NEXT) | instid1(SALU_CYCLE_1)
	s_and_b32 s13, s12, vcc_lo
	s_and_saveexec_b32 s12, s13
	s_cbranch_execz .LBB122_518
; %bb.517:
	v_ashrrev_i32_e32 v131, 31, v130
	s_delay_alu instid0(VALU_DEP_1)
	v_lshl_add_u64 v[138:139], v[130:131], 2, v[4:5]
	s_clause 0x1
	global_load_b32 v131, v[138:139], off
	global_load_b32 v137, v[4:5], off offset:96
	s_wait_loadcnt 0x1
	global_store_b32 v[4:5], v131, off offset:96
	s_wait_loadcnt 0x0
	global_store_b32 v[138:139], v137, off
.LBB122_518:
	s_wait_xcnt 0x0
	s_or_b32 exec_lo, exec_lo, s12
	v_dual_mov_b32 v138, v130 :: v_dual_mov_b32 v137, v130
.LBB122_519:
	s_or_b32 exec_lo, exec_lo, s1
.LBB122_520:
	s_and_not1_saveexec_b32 s0, s0
	s_cbranch_execz .LBB122_522
; %bb.521:
	v_mov_b32_e32 v138, 24
	ds_store_2addr_b64 v134, v[60:61], v[62:63] offset0:25 offset1:26
	ds_store_2addr_b64 v134, v[58:59], v[106:107] offset0:27 offset1:28
	;; [unrolled: 1-line block ×18, first 2 shown]
	ds_store_b64 v134, v[128:129] offset:488
.LBB122_522:
	s_or_b32 exec_lo, exec_lo, s0
	s_delay_alu instid0(SALU_CYCLE_1)
	s_mov_b32 s0, exec_lo
	s_wait_storecnt_dscnt 0x0
	s_barrier_signal -1
	s_barrier_wait -1
	v_cmpx_lt_i32_e32 24, v138
	s_cbranch_execz .LBB122_524
; %bb.523:
	v_pk_mul_f32 v[140:141], v[132:133], v[108:109] op_sel:[1,1] op_sel_hi:[0,1]
	s_delay_alu instid0(VALU_DEP_1)
	v_pk_fma_f32 v[130:131], v[132:133], v[108:109], v[140:141] op_sel_hi:[1,0,1] neg_lo:[0,0,1] neg_hi:[0,0,1]
	v_pk_fma_f32 v[132:133], v[132:133], v[108:109], v[140:141] op_sel_hi:[1,0,1]
	ds_load_2addr_b64 v[140:143], v134 offset0:25 offset1:26
	v_dual_mov_b32 v108, v130 :: v_dual_mov_b32 v109, v133
	s_wait_dscnt 0x0
	v_pk_mul_f32 v[144:145], v[140:141], v[132:133] op_sel:[0,1]
	s_delay_alu instid0(VALU_DEP_1) | instskip(SKIP_1) | instid1(VALU_DEP_1)
	v_pk_fma_f32 v[146:147], v[140:141], v[130:131], v[144:145] op_sel:[0,0,1] op_sel_hi:[1,1,0] neg_lo:[0,0,1] neg_hi:[0,0,1]
	v_pk_fma_f32 v[140:141], v[140:141], v[130:131], v[144:145] op_sel:[0,0,1] op_sel_hi:[1,0,0]
	v_mov_b32_e32 v147, v141
	v_pk_mul_f32 v[140:141], v[142:143], v[132:133] op_sel:[0,1]
	s_delay_alu instid0(VALU_DEP_1) | instskip(SKIP_1) | instid1(VALU_DEP_1)
	v_pk_fma_f32 v[144:145], v[142:143], v[130:131], v[140:141] op_sel:[0,0,1] op_sel_hi:[1,1,0] neg_lo:[0,0,1] neg_hi:[0,0,1]
	v_pk_fma_f32 v[140:141], v[142:143], v[130:131], v[140:141] op_sel:[0,0,1] op_sel_hi:[1,0,0]
	v_mov_b32_e32 v145, v141
	ds_load_2addr_b64 v[140:143], v134 offset0:27 offset1:28
	v_pk_add_f32 v[60:61], v[60:61], v[146:147] neg_lo:[0,1] neg_hi:[0,1]
	v_pk_add_f32 v[62:63], v[62:63], v[144:145] neg_lo:[0,1] neg_hi:[0,1]
	s_wait_dscnt 0x0
	v_pk_mul_f32 v[144:145], v[140:141], v[132:133] op_sel:[0,1]
	s_delay_alu instid0(VALU_DEP_1) | instskip(SKIP_2) | instid1(VALU_DEP_2)
	v_pk_fma_f32 v[146:147], v[140:141], v[130:131], v[144:145] op_sel:[0,0,1] op_sel_hi:[1,1,0] neg_lo:[0,0,1] neg_hi:[0,0,1]
	v_pk_fma_f32 v[140:141], v[140:141], v[130:131], v[144:145] op_sel:[0,0,1] op_sel_hi:[1,0,0]
	v_dual_mul_f32 v144, v143, v133 :: v_dual_mov_b32 v140, v143
	v_dual_mov_b32 v147, v141 :: v_dual_mov_b32 v141, v142
	s_delay_alu instid0(VALU_DEP_2) | instskip(SKIP_1) | instid1(VALU_DEP_3)
	v_pk_fma_f32 v[144:145], v[142:143], v[108:109], v[144:145] op_sel_hi:[1,1,0] neg_lo:[0,0,1] neg_hi:[0,0,1]
	v_mul_f32_e32 v142, v143, v130
	v_pk_add_f32 v[58:59], v[58:59], v[146:147] neg_lo:[0,1] neg_hi:[0,1]
	s_delay_alu instid0(VALU_DEP_2) | instskip(NEXT) | instid1(VALU_DEP_1)
	v_pk_fma_f32 v[140:141], v[140:141], v[108:109], v[142:143] op_sel_hi:[1,1,0]
	v_mov_b32_e32 v145, v141
	ds_load_2addr_b64 v[140:143], v134 offset0:29 offset1:30
	v_pk_add_f32 v[106:107], v[106:107], v[144:145] neg_lo:[0,1] neg_hi:[0,1]
	s_wait_dscnt 0x0
	v_pk_mul_f32 v[144:145], v[140:141], v[132:133] op_sel:[0,1]
	s_delay_alu instid0(VALU_DEP_1) | instskip(SKIP_1) | instid1(VALU_DEP_1)
	v_pk_fma_f32 v[146:147], v[140:141], v[130:131], v[144:145] op_sel:[0,0,1] op_sel_hi:[1,1,0] neg_lo:[0,0,1] neg_hi:[0,0,1]
	v_pk_fma_f32 v[140:141], v[140:141], v[130:131], v[144:145] op_sel:[0,0,1] op_sel_hi:[1,0,0]
	v_mov_b32_e32 v147, v141
	v_pk_mul_f32 v[140:141], v[142:143], v[132:133] op_sel:[0,1]
	s_delay_alu instid0(VALU_DEP_1) | instskip(SKIP_1) | instid1(VALU_DEP_1)
	v_pk_fma_f32 v[144:145], v[142:143], v[130:131], v[140:141] op_sel:[0,0,1] op_sel_hi:[1,1,0] neg_lo:[0,0,1] neg_hi:[0,0,1]
	v_pk_fma_f32 v[140:141], v[142:143], v[130:131], v[140:141] op_sel:[0,0,1] op_sel_hi:[1,0,0]
	v_mov_b32_e32 v145, v141
	ds_load_2addr_b64 v[140:143], v134 offset0:31 offset1:32
	v_pk_add_f32 v[54:55], v[54:55], v[146:147] neg_lo:[0,1] neg_hi:[0,1]
	v_pk_add_f32 v[56:57], v[56:57], v[144:145] neg_lo:[0,1] neg_hi:[0,1]
	s_wait_dscnt 0x0
	v_pk_mul_f32 v[144:145], v[140:141], v[132:133] op_sel:[0,1]
	s_delay_alu instid0(VALU_DEP_1) | instskip(SKIP_1) | instid1(VALU_DEP_1)
	v_pk_fma_f32 v[146:147], v[140:141], v[130:131], v[144:145] op_sel:[0,0,1] op_sel_hi:[1,1,0] neg_lo:[0,0,1] neg_hi:[0,0,1]
	v_pk_fma_f32 v[140:141], v[140:141], v[130:131], v[144:145] op_sel:[0,0,1] op_sel_hi:[1,0,0]
	v_mov_b32_e32 v147, v141
	v_pk_mul_f32 v[140:141], v[142:143], v[132:133] op_sel:[0,1]
	s_delay_alu instid0(VALU_DEP_1) | instskip(SKIP_1) | instid1(VALU_DEP_1)
	v_pk_fma_f32 v[144:145], v[142:143], v[130:131], v[140:141] op_sel:[0,0,1] op_sel_hi:[1,1,0] neg_lo:[0,0,1] neg_hi:[0,0,1]
	v_pk_fma_f32 v[140:141], v[142:143], v[130:131], v[140:141] op_sel:[0,0,1] op_sel_hi:[1,0,0]
	v_mov_b32_e32 v145, v141
	ds_load_2addr_b64 v[140:143], v134 offset0:33 offset1:34
	v_pk_add_f32 v[52:53], v[52:53], v[146:147] neg_lo:[0,1] neg_hi:[0,1]
	v_pk_add_f32 v[104:105], v[104:105], v[144:145] neg_lo:[0,1] neg_hi:[0,1]
	s_wait_dscnt 0x0
	v_dual_mul_f32 v144, v141, v133 :: v_dual_mul_f32 v146, v141, v130
	s_delay_alu instid0(VALU_DEP_1) | instskip(NEXT) | instid1(VALU_DEP_2)
	v_pk_fma_f32 v[144:145], v[140:141], v[108:109], v[144:145] op_sel_hi:[1,1,0] neg_lo:[0,0,1] neg_hi:[0,0,1]
	v_pk_fma_f32 v[140:141], v[140:141], v[108:109], v[146:147] op_sel:[1,0,0] op_sel_hi:[0,1,0]
	s_delay_alu instid0(VALU_DEP_1) | instskip(SKIP_1) | instid1(VALU_DEP_2)
	v_mov_b32_e32 v145, v141
	v_pk_mul_f32 v[140:141], v[142:143], v[132:133] op_sel:[0,1]
	v_pk_add_f32 v[48:49], v[48:49], v[144:145] neg_lo:[0,1] neg_hi:[0,1]
	s_delay_alu instid0(VALU_DEP_2) | instskip(SKIP_1) | instid1(VALU_DEP_1)
	v_pk_fma_f32 v[144:145], v[142:143], v[130:131], v[140:141] op_sel:[0,0,1] op_sel_hi:[1,1,0] neg_lo:[0,0,1] neg_hi:[0,0,1]
	v_pk_fma_f32 v[140:141], v[142:143], v[130:131], v[140:141] op_sel:[0,0,1] op_sel_hi:[1,0,0]
	v_mov_b32_e32 v145, v141
	ds_load_2addr_b64 v[140:143], v134 offset0:35 offset1:36
	v_pk_add_f32 v[50:51], v[50:51], v[144:145] neg_lo:[0,1] neg_hi:[0,1]
	s_wait_dscnt 0x0
	v_pk_mul_f32 v[144:145], v[140:141], v[132:133] op_sel:[0,1]
	s_delay_alu instid0(VALU_DEP_1) | instskip(SKIP_1) | instid1(VALU_DEP_1)
	v_pk_fma_f32 v[146:147], v[140:141], v[130:131], v[144:145] op_sel:[0,0,1] op_sel_hi:[1,1,0] neg_lo:[0,0,1] neg_hi:[0,0,1]
	v_pk_fma_f32 v[140:141], v[140:141], v[130:131], v[144:145] op_sel:[0,0,1] op_sel_hi:[1,0,0]
	v_mov_b32_e32 v147, v141
	v_pk_mul_f32 v[140:141], v[142:143], v[132:133] op_sel:[0,1]
	s_delay_alu instid0(VALU_DEP_2) | instskip(NEXT) | instid1(VALU_DEP_2)
	v_pk_add_f32 v[46:47], v[46:47], v[146:147] neg_lo:[0,1] neg_hi:[0,1]
	v_pk_fma_f32 v[144:145], v[142:143], v[130:131], v[140:141] op_sel:[0,0,1] op_sel_hi:[1,1,0] neg_lo:[0,0,1] neg_hi:[0,0,1]
	v_pk_fma_f32 v[140:141], v[142:143], v[130:131], v[140:141] op_sel:[0,0,1] op_sel_hi:[1,0,0]
	s_delay_alu instid0(VALU_DEP_1) | instskip(SKIP_4) | instid1(VALU_DEP_1)
	v_mov_b32_e32 v145, v141
	ds_load_2addr_b64 v[140:143], v134 offset0:37 offset1:38
	v_pk_add_f32 v[102:103], v[102:103], v[144:145] neg_lo:[0,1] neg_hi:[0,1]
	s_wait_dscnt 0x0
	v_pk_mul_f32 v[144:145], v[140:141], v[132:133] op_sel:[0,1]
	v_pk_fma_f32 v[146:147], v[140:141], v[130:131], v[144:145] op_sel:[0,0,1] op_sel_hi:[1,1,0] neg_lo:[0,0,1] neg_hi:[0,0,1]
	v_pk_fma_f32 v[140:141], v[140:141], v[130:131], v[144:145] op_sel:[0,0,1] op_sel_hi:[1,0,0]
	v_dual_mul_f32 v144, v143, v133 :: v_dual_mov_b32 v140, v143
	s_delay_alu instid0(VALU_DEP_2) | instskip(NEXT) | instid1(VALU_DEP_2)
	v_dual_mov_b32 v147, v141 :: v_dual_mov_b32 v141, v142
	v_pk_fma_f32 v[144:145], v[142:143], v[108:109], v[144:145] op_sel_hi:[1,1,0] neg_lo:[0,0,1] neg_hi:[0,0,1]
	v_mul_f32_e32 v142, v143, v130
	s_delay_alu instid0(VALU_DEP_3) | instskip(NEXT) | instid1(VALU_DEP_2)
	v_pk_add_f32 v[40:41], v[40:41], v[146:147] neg_lo:[0,1] neg_hi:[0,1]
	v_pk_fma_f32 v[140:141], v[140:141], v[108:109], v[142:143] op_sel_hi:[1,1,0]
	s_delay_alu instid0(VALU_DEP_1) | instskip(SKIP_4) | instid1(VALU_DEP_1)
	v_mov_b32_e32 v145, v141
	ds_load_2addr_b64 v[140:143], v134 offset0:39 offset1:40
	v_pk_add_f32 v[42:43], v[42:43], v[144:145] neg_lo:[0,1] neg_hi:[0,1]
	s_wait_dscnt 0x0
	v_pk_mul_f32 v[144:145], v[140:141], v[132:133] op_sel:[0,1]
	v_pk_fma_f32 v[146:147], v[140:141], v[130:131], v[144:145] op_sel:[0,0,1] op_sel_hi:[1,1,0] neg_lo:[0,0,1] neg_hi:[0,0,1]
	v_pk_fma_f32 v[140:141], v[140:141], v[130:131], v[144:145] op_sel:[0,0,1] op_sel_hi:[1,0,0]
	s_delay_alu instid0(VALU_DEP_1) | instskip(SKIP_1) | instid1(VALU_DEP_1)
	v_mov_b32_e32 v147, v141
	v_pk_mul_f32 v[140:141], v[142:143], v[132:133] op_sel:[0,1]
	v_pk_fma_f32 v[144:145], v[142:143], v[130:131], v[140:141] op_sel:[0,0,1] op_sel_hi:[1,1,0] neg_lo:[0,0,1] neg_hi:[0,0,1]
	v_pk_fma_f32 v[140:141], v[142:143], v[130:131], v[140:141] op_sel:[0,0,1] op_sel_hi:[1,0,0]
	s_delay_alu instid0(VALU_DEP_1)
	v_mov_b32_e32 v145, v141
	ds_load_2addr_b64 v[140:143], v134 offset0:41 offset1:42
	v_pk_add_f32 v[38:39], v[38:39], v[146:147] neg_lo:[0,1] neg_hi:[0,1]
	v_pk_add_f32 v[100:101], v[100:101], v[144:145] neg_lo:[0,1] neg_hi:[0,1]
	s_wait_dscnt 0x0
	v_pk_mul_f32 v[144:145], v[140:141], v[132:133] op_sel:[0,1]
	s_delay_alu instid0(VALU_DEP_1) | instskip(SKIP_1) | instid1(VALU_DEP_1)
	v_pk_fma_f32 v[146:147], v[140:141], v[130:131], v[144:145] op_sel:[0,0,1] op_sel_hi:[1,1,0] neg_lo:[0,0,1] neg_hi:[0,0,1]
	v_pk_fma_f32 v[140:141], v[140:141], v[130:131], v[144:145] op_sel:[0,0,1] op_sel_hi:[1,0,0]
	v_mov_b32_e32 v147, v141
	v_pk_mul_f32 v[140:141], v[142:143], v[132:133] op_sel:[0,1]
	s_delay_alu instid0(VALU_DEP_1) | instskip(SKIP_1) | instid1(VALU_DEP_1)
	v_pk_fma_f32 v[144:145], v[142:143], v[130:131], v[140:141] op_sel:[0,0,1] op_sel_hi:[1,1,0] neg_lo:[0,0,1] neg_hi:[0,0,1]
	v_pk_fma_f32 v[140:141], v[142:143], v[130:131], v[140:141] op_sel:[0,0,1] op_sel_hi:[1,0,0]
	v_mov_b32_e32 v145, v141
	ds_load_2addr_b64 v[140:143], v134 offset0:43 offset1:44
	v_pk_add_f32 v[32:33], v[32:33], v[146:147] neg_lo:[0,1] neg_hi:[0,1]
	v_pk_add_f32 v[34:35], v[34:35], v[144:145] neg_lo:[0,1] neg_hi:[0,1]
	s_wait_dscnt 0x0
	v_dual_mul_f32 v144, v141, v133 :: v_dual_mul_f32 v146, v141, v130
	s_delay_alu instid0(VALU_DEP_1) | instskip(NEXT) | instid1(VALU_DEP_2)
	v_pk_fma_f32 v[144:145], v[140:141], v[108:109], v[144:145] op_sel_hi:[1,1,0] neg_lo:[0,0,1] neg_hi:[0,0,1]
	v_pk_fma_f32 v[140:141], v[140:141], v[108:109], v[146:147] op_sel:[1,0,0] op_sel_hi:[0,1,0]
	s_delay_alu instid0(VALU_DEP_1) | instskip(SKIP_1) | instid1(VALU_DEP_2)
	v_mov_b32_e32 v145, v141
	v_pk_mul_f32 v[140:141], v[142:143], v[132:133] op_sel:[0,1]
	v_pk_add_f32 v[30:31], v[30:31], v[144:145] neg_lo:[0,1] neg_hi:[0,1]
	s_delay_alu instid0(VALU_DEP_2) | instskip(SKIP_1) | instid1(VALU_DEP_1)
	v_pk_fma_f32 v[144:145], v[142:143], v[130:131], v[140:141] op_sel:[0,0,1] op_sel_hi:[1,1,0] neg_lo:[0,0,1] neg_hi:[0,0,1]
	v_pk_fma_f32 v[140:141], v[142:143], v[130:131], v[140:141] op_sel:[0,0,1] op_sel_hi:[1,0,0]
	v_mov_b32_e32 v145, v141
	ds_load_2addr_b64 v[140:143], v134 offset0:45 offset1:46
	v_pk_add_f32 v[98:99], v[98:99], v[144:145] neg_lo:[0,1] neg_hi:[0,1]
	s_wait_dscnt 0x0
	v_pk_mul_f32 v[144:145], v[140:141], v[132:133] op_sel:[0,1]
	s_delay_alu instid0(VALU_DEP_1) | instskip(SKIP_1) | instid1(VALU_DEP_1)
	v_pk_fma_f32 v[146:147], v[140:141], v[130:131], v[144:145] op_sel:[0,0,1] op_sel_hi:[1,1,0] neg_lo:[0,0,1] neg_hi:[0,0,1]
	v_pk_fma_f32 v[140:141], v[140:141], v[130:131], v[144:145] op_sel:[0,0,1] op_sel_hi:[1,0,0]
	v_mov_b32_e32 v147, v141
	v_pk_mul_f32 v[140:141], v[142:143], v[132:133] op_sel:[0,1]
	s_delay_alu instid0(VALU_DEP_2) | instskip(NEXT) | instid1(VALU_DEP_2)
	v_pk_add_f32 v[24:25], v[24:25], v[146:147] neg_lo:[0,1] neg_hi:[0,1]
	v_pk_fma_f32 v[144:145], v[142:143], v[130:131], v[140:141] op_sel:[0,0,1] op_sel_hi:[1,1,0] neg_lo:[0,0,1] neg_hi:[0,0,1]
	v_pk_fma_f32 v[140:141], v[142:143], v[130:131], v[140:141] op_sel:[0,0,1] op_sel_hi:[1,0,0]
	s_delay_alu instid0(VALU_DEP_1) | instskip(SKIP_4) | instid1(VALU_DEP_1)
	v_mov_b32_e32 v145, v141
	ds_load_2addr_b64 v[140:143], v134 offset0:47 offset1:48
	v_pk_add_f32 v[28:29], v[28:29], v[144:145] neg_lo:[0,1] neg_hi:[0,1]
	s_wait_dscnt 0x0
	v_pk_mul_f32 v[144:145], v[140:141], v[132:133] op_sel:[0,1]
	v_pk_fma_f32 v[146:147], v[140:141], v[130:131], v[144:145] op_sel:[0,0,1] op_sel_hi:[1,1,0] neg_lo:[0,0,1] neg_hi:[0,0,1]
	v_pk_fma_f32 v[140:141], v[140:141], v[130:131], v[144:145] op_sel:[0,0,1] op_sel_hi:[1,0,0]
	v_dual_mul_f32 v144, v143, v133 :: v_dual_mov_b32 v140, v143
	s_delay_alu instid0(VALU_DEP_2) | instskip(NEXT) | instid1(VALU_DEP_2)
	v_dual_mov_b32 v147, v141 :: v_dual_mov_b32 v141, v142
	v_pk_fma_f32 v[144:145], v[142:143], v[108:109], v[144:145] op_sel_hi:[1,1,0] neg_lo:[0,0,1] neg_hi:[0,0,1]
	v_mul_f32_e32 v142, v143, v130
	s_delay_alu instid0(VALU_DEP_3) | instskip(NEXT) | instid1(VALU_DEP_2)
	v_pk_add_f32 v[22:23], v[22:23], v[146:147] neg_lo:[0,1] neg_hi:[0,1]
	v_pk_fma_f32 v[140:141], v[140:141], v[108:109], v[142:143] op_sel_hi:[1,1,0]
	s_delay_alu instid0(VALU_DEP_1) | instskip(SKIP_4) | instid1(VALU_DEP_1)
	v_mov_b32_e32 v145, v141
	ds_load_2addr_b64 v[140:143], v134 offset0:49 offset1:50
	v_pk_add_f32 v[96:97], v[96:97], v[144:145] neg_lo:[0,1] neg_hi:[0,1]
	s_wait_dscnt 0x0
	v_pk_mul_f32 v[144:145], v[140:141], v[132:133] op_sel:[0,1]
	v_pk_fma_f32 v[146:147], v[140:141], v[130:131], v[144:145] op_sel:[0,0,1] op_sel_hi:[1,1,0] neg_lo:[0,0,1] neg_hi:[0,0,1]
	v_pk_fma_f32 v[140:141], v[140:141], v[130:131], v[144:145] op_sel:[0,0,1] op_sel_hi:[1,0,0]
	s_delay_alu instid0(VALU_DEP_1) | instskip(SKIP_1) | instid1(VALU_DEP_1)
	v_mov_b32_e32 v147, v141
	v_pk_mul_f32 v[140:141], v[142:143], v[132:133] op_sel:[0,1]
	v_pk_fma_f32 v[144:145], v[142:143], v[130:131], v[140:141] op_sel:[0,0,1] op_sel_hi:[1,1,0] neg_lo:[0,0,1] neg_hi:[0,0,1]
	v_pk_fma_f32 v[140:141], v[142:143], v[130:131], v[140:141] op_sel:[0,0,1] op_sel_hi:[1,0,0]
	s_delay_alu instid0(VALU_DEP_1)
	v_mov_b32_e32 v145, v141
	ds_load_2addr_b64 v[140:143], v134 offset0:51 offset1:52
	v_pk_add_f32 v[18:19], v[18:19], v[146:147] neg_lo:[0,1] neg_hi:[0,1]
	v_pk_add_f32 v[20:21], v[20:21], v[144:145] neg_lo:[0,1] neg_hi:[0,1]
	s_wait_dscnt 0x0
	v_pk_mul_f32 v[144:145], v[140:141], v[132:133] op_sel:[0,1]
	s_delay_alu instid0(VALU_DEP_1) | instskip(SKIP_1) | instid1(VALU_DEP_1)
	v_pk_fma_f32 v[146:147], v[140:141], v[130:131], v[144:145] op_sel:[0,0,1] op_sel_hi:[1,1,0] neg_lo:[0,0,1] neg_hi:[0,0,1]
	v_pk_fma_f32 v[140:141], v[140:141], v[130:131], v[144:145] op_sel:[0,0,1] op_sel_hi:[1,0,0]
	v_mov_b32_e32 v147, v141
	v_pk_mul_f32 v[140:141], v[142:143], v[132:133] op_sel:[0,1]
	s_delay_alu instid0(VALU_DEP_1) | instskip(SKIP_1) | instid1(VALU_DEP_1)
	v_pk_fma_f32 v[144:145], v[142:143], v[130:131], v[140:141] op_sel:[0,0,1] op_sel_hi:[1,1,0] neg_lo:[0,0,1] neg_hi:[0,0,1]
	v_pk_fma_f32 v[140:141], v[142:143], v[130:131], v[140:141] op_sel:[0,0,1] op_sel_hi:[1,0,0]
	v_mov_b32_e32 v145, v141
	ds_load_2addr_b64 v[140:143], v134 offset0:53 offset1:54
	v_pk_add_f32 v[36:37], v[36:37], v[146:147] neg_lo:[0,1] neg_hi:[0,1]
	v_pk_add_f32 v[86:87], v[86:87], v[144:145] neg_lo:[0,1] neg_hi:[0,1]
	s_wait_dscnt 0x0
	v_dual_mul_f32 v144, v141, v133 :: v_dual_mul_f32 v146, v141, v130
	s_delay_alu instid0(VALU_DEP_1) | instskip(NEXT) | instid1(VALU_DEP_2)
	v_pk_fma_f32 v[144:145], v[140:141], v[108:109], v[144:145] op_sel_hi:[1,1,0] neg_lo:[0,0,1] neg_hi:[0,0,1]
	v_pk_fma_f32 v[140:141], v[140:141], v[108:109], v[146:147] op_sel:[1,0,0] op_sel_hi:[0,1,0]
	s_delay_alu instid0(VALU_DEP_1) | instskip(SKIP_1) | instid1(VALU_DEP_2)
	v_mov_b32_e32 v145, v141
	v_pk_mul_f32 v[140:141], v[142:143], v[132:133] op_sel:[0,1]
	v_pk_add_f32 v[10:11], v[10:11], v[144:145] neg_lo:[0,1] neg_hi:[0,1]
	s_delay_alu instid0(VALU_DEP_2) | instskip(SKIP_1) | instid1(VALU_DEP_1)
	v_pk_fma_f32 v[144:145], v[142:143], v[130:131], v[140:141] op_sel:[0,0,1] op_sel_hi:[1,1,0] neg_lo:[0,0,1] neg_hi:[0,0,1]
	v_pk_fma_f32 v[140:141], v[142:143], v[130:131], v[140:141] op_sel:[0,0,1] op_sel_hi:[1,0,0]
	v_mov_b32_e32 v145, v141
	ds_load_2addr_b64 v[140:143], v134 offset0:55 offset1:56
	v_pk_add_f32 v[12:13], v[12:13], v[144:145] neg_lo:[0,1] neg_hi:[0,1]
	s_wait_dscnt 0x0
	v_pk_mul_f32 v[144:145], v[140:141], v[132:133] op_sel:[0,1]
	s_delay_alu instid0(VALU_DEP_1) | instskip(SKIP_1) | instid1(VALU_DEP_1)
	v_pk_fma_f32 v[146:147], v[140:141], v[130:131], v[144:145] op_sel:[0,0,1] op_sel_hi:[1,1,0] neg_lo:[0,0,1] neg_hi:[0,0,1]
	v_pk_fma_f32 v[140:141], v[140:141], v[130:131], v[144:145] op_sel:[0,0,1] op_sel_hi:[1,0,0]
	v_mov_b32_e32 v147, v141
	v_pk_mul_f32 v[140:141], v[142:143], v[132:133] op_sel:[0,1]
	s_delay_alu instid0(VALU_DEP_2) | instskip(NEXT) | instid1(VALU_DEP_2)
	v_pk_add_f32 v[8:9], v[8:9], v[146:147] neg_lo:[0,1] neg_hi:[0,1]
	v_pk_fma_f32 v[144:145], v[142:143], v[130:131], v[140:141] op_sel:[0,0,1] op_sel_hi:[1,1,0] neg_lo:[0,0,1] neg_hi:[0,0,1]
	v_pk_fma_f32 v[140:141], v[142:143], v[130:131], v[140:141] op_sel:[0,0,1] op_sel_hi:[1,0,0]
	s_delay_alu instid0(VALU_DEP_1) | instskip(SKIP_4) | instid1(VALU_DEP_1)
	v_mov_b32_e32 v145, v141
	ds_load_2addr_b64 v[140:143], v134 offset0:57 offset1:58
	v_pk_add_f32 v[44:45], v[44:45], v[144:145] neg_lo:[0,1] neg_hi:[0,1]
	s_wait_dscnt 0x0
	v_pk_mul_f32 v[144:145], v[140:141], v[132:133] op_sel:[0,1]
	v_pk_fma_f32 v[146:147], v[140:141], v[130:131], v[144:145] op_sel:[0,0,1] op_sel_hi:[1,1,0] neg_lo:[0,0,1] neg_hi:[0,0,1]
	v_pk_fma_f32 v[140:141], v[140:141], v[130:131], v[144:145] op_sel:[0,0,1] op_sel_hi:[1,0,0]
	v_dual_mul_f32 v144, v143, v133 :: v_dual_mov_b32 v140, v143
	s_delay_alu instid0(VALU_DEP_2) | instskip(NEXT) | instid1(VALU_DEP_2)
	v_dual_mov_b32 v147, v141 :: v_dual_mov_b32 v141, v142
	v_pk_fma_f32 v[144:145], v[142:143], v[108:109], v[144:145] op_sel_hi:[1,1,0] neg_lo:[0,0,1] neg_hi:[0,0,1]
	v_mul_f32_e32 v142, v143, v130
	s_delay_alu instid0(VALU_DEP_3) | instskip(NEXT) | instid1(VALU_DEP_2)
	v_pk_add_f32 v[6:7], v[6:7], v[146:147] neg_lo:[0,1] neg_hi:[0,1]
	v_pk_fma_f32 v[140:141], v[140:141], v[108:109], v[142:143] op_sel_hi:[1,1,0]
	s_delay_alu instid0(VALU_DEP_1) | instskip(SKIP_4) | instid1(VALU_DEP_1)
	v_mov_b32_e32 v145, v141
	ds_load_2addr_b64 v[140:143], v134 offset0:59 offset1:60
	v_pk_add_f32 v[26:27], v[26:27], v[144:145] neg_lo:[0,1] neg_hi:[0,1]
	s_wait_dscnt 0x0
	v_pk_mul_f32 v[144:145], v[140:141], v[132:133] op_sel:[0,1]
	v_pk_fma_f32 v[146:147], v[140:141], v[130:131], v[144:145] op_sel:[0,0,1] op_sel_hi:[1,1,0] neg_lo:[0,0,1] neg_hi:[0,0,1]
	v_pk_fma_f32 v[140:141], v[140:141], v[130:131], v[144:145] op_sel:[0,0,1] op_sel_hi:[1,0,0]
	s_delay_alu instid0(VALU_DEP_1) | instskip(SKIP_1) | instid1(VALU_DEP_1)
	v_mov_b32_e32 v147, v141
	v_pk_mul_f32 v[140:141], v[142:143], v[132:133] op_sel:[0,1]
	v_pk_fma_f32 v[144:145], v[142:143], v[130:131], v[140:141] op_sel:[0,0,1] op_sel_hi:[1,1,0] neg_lo:[0,0,1] neg_hi:[0,0,1]
	v_pk_fma_f32 v[140:141], v[142:143], v[130:131], v[140:141] op_sel:[0,0,1] op_sel_hi:[1,0,0]
	s_delay_alu instid0(VALU_DEP_1)
	v_mov_b32_e32 v145, v141
	ds_load_b64 v[140:141], v134 offset:488
	v_pk_add_f32 v[16:17], v[16:17], v[146:147] neg_lo:[0,1] neg_hi:[0,1]
	v_pk_add_f32 v[14:15], v[14:15], v[144:145] neg_lo:[0,1] neg_hi:[0,1]
	s_wait_dscnt 0x0
	v_pk_mul_f32 v[132:133], v[140:141], v[132:133] op_sel:[0,1]
	s_delay_alu instid0(VALU_DEP_1) | instskip(SKIP_1) | instid1(VALU_DEP_1)
	v_pk_fma_f32 v[142:143], v[140:141], v[130:131], v[132:133] op_sel:[0,0,1] op_sel_hi:[1,1,0] neg_lo:[0,0,1] neg_hi:[0,0,1]
	v_pk_fma_f32 v[130:131], v[140:141], v[130:131], v[132:133] op_sel:[0,0,1] op_sel_hi:[1,0,0]
	v_mov_b32_e32 v143, v131
	s_delay_alu instid0(VALU_DEP_1)
	v_pk_add_f32 v[128:129], v[128:129], v[142:143] neg_lo:[0,1] neg_hi:[0,1]
.LBB122_524:
	s_or_b32 exec_lo, exec_lo, s0
	v_lshl_add_u32 v130, v138, 3, v134
	s_barrier_signal -1
	s_barrier_wait -1
	ds_store_b64 v130, v[60:61]
	s_wait_dscnt 0x0
	s_barrier_signal -1
	s_barrier_wait -1
	ds_load_b64 v[132:133], v134 offset:200
	v_mov_b32_e32 v130, 25
	s_cmp_lt_i32 s18, 27
	s_cbranch_scc1 .LBB122_527
; %bb.525:
	v_add3_u32 v131, v135, 0, 0xd0
	v_mov_b32_e32 v130, 25
	s_mov_b32 s0, 26
.LBB122_526:                            ; =>This Inner Loop Header: Depth=1
	ds_load_b64 v[140:141], v131
	s_wait_dscnt 0x1
	v_cmp_gt_f32_e32 vcc_lo, 0, v132
	v_cndmask_b32_e64 v142, v132, -v132, vcc_lo
	v_cmp_gt_f32_e32 vcc_lo, 0, v133
	v_cndmask_b32_e64 v144, v133, -v133, vcc_lo
	s_wait_dscnt 0x0
	v_cmp_gt_f32_e32 vcc_lo, 0, v140
	v_cndmask_b32_e64 v143, v140, -v140, vcc_lo
	v_cmp_gt_f32_e32 vcc_lo, 0, v141
	v_cndmask_b32_e64 v145, v141, -v141, vcc_lo
	s_delay_alu instid0(VALU_DEP_1) | instskip(NEXT) | instid1(VALU_DEP_1)
	v_pk_add_f32 v[142:143], v[142:143], v[144:145]
	v_cmp_lt_f32_e32 vcc_lo, v142, v143
	v_dual_add_nc_u32 v131, 8, v131 :: v_dual_cndmask_b32 v133, v133, v141, vcc_lo
	v_cndmask_b32_e32 v132, v132, v140, vcc_lo
	v_cndmask_b32_e64 v130, v130, s0, vcc_lo
	s_add_co_i32 s0, s0, 1
	s_delay_alu instid0(SALU_CYCLE_1)
	s_cmp_lg_u32 s18, s0
	s_cbranch_scc1 .LBB122_526
.LBB122_527:
	s_wait_dscnt 0x0
	v_cmp_eq_f32_e32 vcc_lo, 0, v132
	v_cmp_eq_f32_e64 s0, 0, v133
	s_and_b32 s0, vcc_lo, s0
	s_delay_alu instid0(SALU_CYCLE_1) | instskip(NEXT) | instid1(SALU_CYCLE_1)
	s_and_saveexec_b32 s1, s0
	s_xor_b32 s0, exec_lo, s1
; %bb.528:
	v_cmp_ne_u32_e32 vcc_lo, 0, v136
	v_cndmask_b32_e32 v136, 26, v136, vcc_lo
; %bb.529:
	s_and_not1_saveexec_b32 s0, s0
	s_cbranch_execz .LBB122_535
; %bb.530:
	v_cmp_ngt_f32_e64 s1, |v132|, |v133|
	s_and_saveexec_b32 s12, s1
	s_delay_alu instid0(SALU_CYCLE_1)
	s_xor_b32 s1, exec_lo, s12
	s_cbranch_execz .LBB122_532
; %bb.531:
	v_div_scale_f32 v131, null, v133, v133, v132
	v_div_scale_f32 v141, vcc_lo, v132, v133, v132
	s_delay_alu instid0(VALU_DEP_2) | instskip(SKIP_1) | instid1(TRANS32_DEP_1)
	v_rcp_f32_e32 v139, v131
	v_nop
	v_fma_f32 v140, -v131, v139, 1.0
	s_delay_alu instid0(VALU_DEP_1) | instskip(NEXT) | instid1(VALU_DEP_1)
	v_fmac_f32_e32 v139, v140, v139
	v_mul_f32_e32 v140, v141, v139
	s_delay_alu instid0(VALU_DEP_1) | instskip(NEXT) | instid1(VALU_DEP_1)
	v_fma_f32 v142, -v131, v140, v141
	v_fmac_f32_e32 v140, v142, v139
	s_delay_alu instid0(VALU_DEP_1) | instskip(NEXT) | instid1(VALU_DEP_1)
	v_fma_f32 v131, -v131, v140, v141
	v_div_fmas_f32 v131, v131, v139, v140
	s_delay_alu instid0(VALU_DEP_1) | instskip(NEXT) | instid1(VALU_DEP_1)
	v_div_fixup_f32 v131, v131, v133, v132
	v_fmac_f32_e32 v133, v132, v131
	s_delay_alu instid0(VALU_DEP_1) | instskip(SKIP_1) | instid1(VALU_DEP_2)
	v_div_scale_f32 v132, null, v133, v133, 1.0
	v_div_scale_f32 v141, vcc_lo, 1.0, v133, 1.0
	v_rcp_f32_e32 v139, v132
	v_nop
	s_delay_alu instid0(TRANS32_DEP_1) | instskip(NEXT) | instid1(VALU_DEP_1)
	v_fma_f32 v140, -v132, v139, 1.0
	v_fmac_f32_e32 v139, v140, v139
	s_delay_alu instid0(VALU_DEP_1) | instskip(NEXT) | instid1(VALU_DEP_1)
	v_mul_f32_e32 v140, v141, v139
	v_fma_f32 v142, -v132, v140, v141
	s_delay_alu instid0(VALU_DEP_1) | instskip(NEXT) | instid1(VALU_DEP_1)
	v_fmac_f32_e32 v140, v142, v139
	v_fma_f32 v132, -v132, v140, v141
	s_delay_alu instid0(VALU_DEP_1) | instskip(NEXT) | instid1(VALU_DEP_1)
	v_div_fmas_f32 v132, v132, v139, v140
	v_div_fixup_f32 v133, v132, v133, 1.0
	s_delay_alu instid0(VALU_DEP_1)
	v_mul_f32_e32 v132, v131, v133
	v_xor_b32_e32 v133, 0x80000000, v133
.LBB122_532:
	s_and_not1_saveexec_b32 s1, s1
	s_cbranch_execz .LBB122_534
; %bb.533:
	s_delay_alu instid0(VALU_DEP_1) | instskip(SKIP_1) | instid1(VALU_DEP_2)
	v_div_scale_f32 v131, null, v132, v132, v133
	v_div_scale_f32 v141, vcc_lo, v133, v132, v133
	v_rcp_f32_e32 v139, v131
	v_nop
	s_delay_alu instid0(TRANS32_DEP_1) | instskip(NEXT) | instid1(VALU_DEP_1)
	v_fma_f32 v140, -v131, v139, 1.0
	v_fmac_f32_e32 v139, v140, v139
	s_delay_alu instid0(VALU_DEP_1) | instskip(NEXT) | instid1(VALU_DEP_1)
	v_mul_f32_e32 v140, v141, v139
	v_fma_f32 v142, -v131, v140, v141
	s_delay_alu instid0(VALU_DEP_1) | instskip(NEXT) | instid1(VALU_DEP_1)
	v_fmac_f32_e32 v140, v142, v139
	v_fma_f32 v131, -v131, v140, v141
	s_delay_alu instid0(VALU_DEP_1) | instskip(NEXT) | instid1(VALU_DEP_1)
	v_div_fmas_f32 v131, v131, v139, v140
	v_div_fixup_f32 v131, v131, v132, v133
	s_delay_alu instid0(VALU_DEP_1) | instskip(NEXT) | instid1(VALU_DEP_1)
	v_fmac_f32_e32 v132, v133, v131
	v_div_scale_f32 v133, null, v132, v132, 1.0
	s_delay_alu instid0(VALU_DEP_1) | instskip(SKIP_1) | instid1(TRANS32_DEP_1)
	v_rcp_f32_e32 v139, v133
	v_nop
	v_fma_f32 v140, -v133, v139, 1.0
	s_delay_alu instid0(VALU_DEP_1) | instskip(SKIP_1) | instid1(VALU_DEP_1)
	v_fmac_f32_e32 v139, v140, v139
	v_div_scale_f32 v140, vcc_lo, 1.0, v132, 1.0
	v_mul_f32_e32 v141, v140, v139
	s_delay_alu instid0(VALU_DEP_1) | instskip(NEXT) | instid1(VALU_DEP_1)
	v_fma_f32 v142, -v133, v141, v140
	v_fmac_f32_e32 v141, v142, v139
	s_delay_alu instid0(VALU_DEP_1) | instskip(NEXT) | instid1(VALU_DEP_1)
	v_fma_f32 v133, -v133, v141, v140
	v_div_fmas_f32 v133, v133, v139, v141
	s_delay_alu instid0(VALU_DEP_1) | instskip(NEXT) | instid1(VALU_DEP_1)
	v_div_fixup_f32 v132, v133, v132, 1.0
	v_mul_f32_e64 v133, v131, -v132
.LBB122_534:
	s_or_b32 exec_lo, exec_lo, s1
.LBB122_535:
	s_delay_alu instid0(SALU_CYCLE_1) | instskip(NEXT) | instid1(SALU_CYCLE_1)
	s_or_b32 exec_lo, exec_lo, s0
	s_mov_b32 s0, exec_lo
	v_cmpx_ne_u32_e64 v138, v130
	s_xor_b32 s0, exec_lo, s0
	s_cbranch_execz .LBB122_541
; %bb.536:
	s_mov_b32 s1, exec_lo
	v_cmpx_eq_u32_e32 25, v138
	s_cbranch_execz .LBB122_540
; %bb.537:
	v_cmp_ne_u32_e32 vcc_lo, 25, v130
	s_xor_b32 s12, s16, -1
	s_delay_alu instid0(SALU_CYCLE_1) | instskip(NEXT) | instid1(SALU_CYCLE_1)
	s_and_b32 s13, s12, vcc_lo
	s_and_saveexec_b32 s12, s13
	s_cbranch_execz .LBB122_539
; %bb.538:
	v_ashrrev_i32_e32 v131, 31, v130
	s_delay_alu instid0(VALU_DEP_1)
	v_lshl_add_u64 v[138:139], v[130:131], 2, v[4:5]
	s_clause 0x1
	global_load_b32 v131, v[138:139], off
	global_load_b32 v137, v[4:5], off offset:100
	s_wait_loadcnt 0x1
	global_store_b32 v[4:5], v131, off offset:100
	s_wait_loadcnt 0x0
	global_store_b32 v[138:139], v137, off
.LBB122_539:
	s_wait_xcnt 0x0
	s_or_b32 exec_lo, exec_lo, s12
	v_dual_mov_b32 v138, v130 :: v_dual_mov_b32 v137, v130
.LBB122_540:
	s_or_b32 exec_lo, exec_lo, s1
.LBB122_541:
	s_and_not1_saveexec_b32 s0, s0
	s_cbranch_execz .LBB122_543
; %bb.542:
	v_dual_mov_b32 v130, v62 :: v_dual_mov_b32 v131, v63
	v_dual_mov_b32 v138, v58 :: v_dual_mov_b32 v139, v59
	;; [unrolled: 1-line block ×4, first 2 shown]
	ds_store_2addr_b64 v134, v[130:131], v[138:139] offset0:26 offset1:27
	ds_store_2addr_b64 v134, v[140:141], v[142:143] offset0:28 offset1:29
	v_dual_mov_b32 v130, v56 :: v_dual_mov_b32 v131, v57
	v_dual_mov_b32 v138, v52 :: v_dual_mov_b32 v139, v53
	;; [unrolled: 1-line block ×12, first 2 shown]
	ds_store_2addr_b64 v134, v[130:131], v[138:139] offset0:30 offset1:31
	ds_store_2addr_b64 v134, v[140:141], v[142:143] offset0:32 offset1:33
	;; [unrolled: 1-line block ×6, first 2 shown]
	v_dual_mov_b32 v130, v34 :: v_dual_mov_b32 v131, v35
	v_dual_mov_b32 v138, v30 :: v_dual_mov_b32 v139, v31
	;; [unrolled: 1-line block ×12, first 2 shown]
	ds_store_2addr_b64 v134, v[130:131], v[138:139] offset0:42 offset1:43
	ds_store_2addr_b64 v134, v[140:141], v[142:143] offset0:44 offset1:45
	;; [unrolled: 1-line block ×6, first 2 shown]
	v_dual_mov_b32 v130, v12 :: v_dual_mov_b32 v131, v13
	v_dual_mov_b32 v140, v8 :: v_dual_mov_b32 v141, v9
	;; [unrolled: 1-line block ×7, first 2 shown]
	v_mov_b32_e32 v151, v15
	ds_store_2addr_b64 v134, v[130:131], v[140:141] offset0:54 offset1:55
	ds_store_2addr_b64 v134, v[142:143], v[144:145] offset0:56 offset1:57
	ds_store_2addr_b64 v134, v[146:147], v[148:149] offset0:58 offset1:59
	ds_store_2addr_b64 v134, v[150:151], v[128:129] offset0:60 offset1:61
.LBB122_543:
	s_or_b32 exec_lo, exec_lo, s0
	s_delay_alu instid0(SALU_CYCLE_1)
	s_mov_b32 s0, exec_lo
	s_wait_storecnt_dscnt 0x0
	s_barrier_signal -1
	s_barrier_wait -1
	v_cmpx_lt_i32_e32 25, v138
	s_cbranch_execz .LBB122_545
; %bb.544:
	v_pk_mul_f32 v[140:141], v[132:133], v[60:61] op_sel:[1,1] op_sel_hi:[0,1]
	s_delay_alu instid0(VALU_DEP_1)
	v_pk_fma_f32 v[130:131], v[132:133], v[60:61], v[140:141] op_sel_hi:[1,0,1] neg_lo:[0,0,1] neg_hi:[0,0,1]
	v_pk_fma_f32 v[132:133], v[132:133], v[60:61], v[140:141] op_sel_hi:[1,0,1]
	ds_load_2addr_b64 v[140:143], v134 offset0:26 offset1:27
	v_dual_mov_b32 v60, v130 :: v_dual_mov_b32 v61, v133
	s_wait_dscnt 0x0
	v_pk_mul_f32 v[144:145], v[140:141], v[132:133] op_sel:[0,1]
	s_delay_alu instid0(VALU_DEP_1) | instskip(SKIP_1) | instid1(VALU_DEP_1)
	v_pk_fma_f32 v[146:147], v[140:141], v[130:131], v[144:145] op_sel:[0,0,1] op_sel_hi:[1,1,0] neg_lo:[0,0,1] neg_hi:[0,0,1]
	v_pk_fma_f32 v[140:141], v[140:141], v[130:131], v[144:145] op_sel:[0,0,1] op_sel_hi:[1,0,0]
	v_mov_b32_e32 v147, v141
	v_pk_mul_f32 v[140:141], v[142:143], v[132:133] op_sel:[0,1]
	s_delay_alu instid0(VALU_DEP_1) | instskip(SKIP_1) | instid1(VALU_DEP_1)
	v_pk_fma_f32 v[144:145], v[142:143], v[130:131], v[140:141] op_sel:[0,0,1] op_sel_hi:[1,1,0] neg_lo:[0,0,1] neg_hi:[0,0,1]
	v_pk_fma_f32 v[140:141], v[142:143], v[130:131], v[140:141] op_sel:[0,0,1] op_sel_hi:[1,0,0]
	v_mov_b32_e32 v145, v141
	ds_load_2addr_b64 v[140:143], v134 offset0:28 offset1:29
	v_pk_add_f32 v[62:63], v[62:63], v[146:147] neg_lo:[0,1] neg_hi:[0,1]
	v_pk_add_f32 v[58:59], v[58:59], v[144:145] neg_lo:[0,1] neg_hi:[0,1]
	s_wait_dscnt 0x0
	v_pk_mul_f32 v[144:145], v[140:141], v[132:133] op_sel:[0,1]
	s_delay_alu instid0(VALU_DEP_1) | instskip(SKIP_2) | instid1(VALU_DEP_2)
	v_pk_fma_f32 v[146:147], v[140:141], v[130:131], v[144:145] op_sel:[0,0,1] op_sel_hi:[1,1,0] neg_lo:[0,0,1] neg_hi:[0,0,1]
	v_pk_fma_f32 v[140:141], v[140:141], v[130:131], v[144:145] op_sel:[0,0,1] op_sel_hi:[1,0,0]
	v_dual_mul_f32 v144, v143, v133 :: v_dual_mov_b32 v140, v143
	v_dual_mov_b32 v147, v141 :: v_dual_mov_b32 v141, v142
	s_delay_alu instid0(VALU_DEP_2) | instskip(SKIP_1) | instid1(VALU_DEP_3)
	v_pk_fma_f32 v[144:145], v[142:143], v[60:61], v[144:145] op_sel_hi:[1,1,0] neg_lo:[0,0,1] neg_hi:[0,0,1]
	v_mul_f32_e32 v142, v143, v130
	v_pk_add_f32 v[106:107], v[106:107], v[146:147] neg_lo:[0,1] neg_hi:[0,1]
	s_delay_alu instid0(VALU_DEP_2) | instskip(NEXT) | instid1(VALU_DEP_1)
	v_pk_fma_f32 v[140:141], v[140:141], v[60:61], v[142:143] op_sel_hi:[1,1,0]
	v_mov_b32_e32 v145, v141
	ds_load_2addr_b64 v[140:143], v134 offset0:30 offset1:31
	v_pk_add_f32 v[54:55], v[54:55], v[144:145] neg_lo:[0,1] neg_hi:[0,1]
	s_wait_dscnt 0x0
	v_pk_mul_f32 v[144:145], v[140:141], v[132:133] op_sel:[0,1]
	s_delay_alu instid0(VALU_DEP_1) | instskip(SKIP_1) | instid1(VALU_DEP_1)
	v_pk_fma_f32 v[146:147], v[140:141], v[130:131], v[144:145] op_sel:[0,0,1] op_sel_hi:[1,1,0] neg_lo:[0,0,1] neg_hi:[0,0,1]
	v_pk_fma_f32 v[140:141], v[140:141], v[130:131], v[144:145] op_sel:[0,0,1] op_sel_hi:[1,0,0]
	v_mov_b32_e32 v147, v141
	v_pk_mul_f32 v[140:141], v[142:143], v[132:133] op_sel:[0,1]
	s_delay_alu instid0(VALU_DEP_1) | instskip(SKIP_1) | instid1(VALU_DEP_1)
	v_pk_fma_f32 v[144:145], v[142:143], v[130:131], v[140:141] op_sel:[0,0,1] op_sel_hi:[1,1,0] neg_lo:[0,0,1] neg_hi:[0,0,1]
	v_pk_fma_f32 v[140:141], v[142:143], v[130:131], v[140:141] op_sel:[0,0,1] op_sel_hi:[1,0,0]
	v_mov_b32_e32 v145, v141
	ds_load_2addr_b64 v[140:143], v134 offset0:32 offset1:33
	v_pk_add_f32 v[56:57], v[56:57], v[146:147] neg_lo:[0,1] neg_hi:[0,1]
	v_pk_add_f32 v[52:53], v[52:53], v[144:145] neg_lo:[0,1] neg_hi:[0,1]
	s_wait_dscnt 0x0
	v_pk_mul_f32 v[144:145], v[140:141], v[132:133] op_sel:[0,1]
	s_delay_alu instid0(VALU_DEP_1) | instskip(SKIP_1) | instid1(VALU_DEP_1)
	v_pk_fma_f32 v[146:147], v[140:141], v[130:131], v[144:145] op_sel:[0,0,1] op_sel_hi:[1,1,0] neg_lo:[0,0,1] neg_hi:[0,0,1]
	v_pk_fma_f32 v[140:141], v[140:141], v[130:131], v[144:145] op_sel:[0,0,1] op_sel_hi:[1,0,0]
	v_mov_b32_e32 v147, v141
	v_pk_mul_f32 v[140:141], v[142:143], v[132:133] op_sel:[0,1]
	s_delay_alu instid0(VALU_DEP_1) | instskip(SKIP_1) | instid1(VALU_DEP_1)
	v_pk_fma_f32 v[144:145], v[142:143], v[130:131], v[140:141] op_sel:[0,0,1] op_sel_hi:[1,1,0] neg_lo:[0,0,1] neg_hi:[0,0,1]
	v_pk_fma_f32 v[140:141], v[142:143], v[130:131], v[140:141] op_sel:[0,0,1] op_sel_hi:[1,0,0]
	v_mov_b32_e32 v145, v141
	ds_load_2addr_b64 v[140:143], v134 offset0:34 offset1:35
	v_pk_add_f32 v[104:105], v[104:105], v[146:147] neg_lo:[0,1] neg_hi:[0,1]
	v_pk_add_f32 v[48:49], v[48:49], v[144:145] neg_lo:[0,1] neg_hi:[0,1]
	s_wait_dscnt 0x0
	v_dual_mul_f32 v144, v141, v133 :: v_dual_mul_f32 v146, v141, v130
	s_delay_alu instid0(VALU_DEP_1) | instskip(NEXT) | instid1(VALU_DEP_2)
	v_pk_fma_f32 v[144:145], v[140:141], v[60:61], v[144:145] op_sel_hi:[1,1,0] neg_lo:[0,0,1] neg_hi:[0,0,1]
	v_pk_fma_f32 v[140:141], v[140:141], v[60:61], v[146:147] op_sel:[1,0,0] op_sel_hi:[0,1,0]
	s_delay_alu instid0(VALU_DEP_1) | instskip(SKIP_1) | instid1(VALU_DEP_2)
	v_mov_b32_e32 v145, v141
	v_pk_mul_f32 v[140:141], v[142:143], v[132:133] op_sel:[0,1]
	v_pk_add_f32 v[50:51], v[50:51], v[144:145] neg_lo:[0,1] neg_hi:[0,1]
	s_delay_alu instid0(VALU_DEP_2) | instskip(SKIP_1) | instid1(VALU_DEP_1)
	v_pk_fma_f32 v[144:145], v[142:143], v[130:131], v[140:141] op_sel:[0,0,1] op_sel_hi:[1,1,0] neg_lo:[0,0,1] neg_hi:[0,0,1]
	v_pk_fma_f32 v[140:141], v[142:143], v[130:131], v[140:141] op_sel:[0,0,1] op_sel_hi:[1,0,0]
	v_mov_b32_e32 v145, v141
	ds_load_2addr_b64 v[140:143], v134 offset0:36 offset1:37
	v_pk_add_f32 v[46:47], v[46:47], v[144:145] neg_lo:[0,1] neg_hi:[0,1]
	s_wait_dscnt 0x0
	v_pk_mul_f32 v[144:145], v[140:141], v[132:133] op_sel:[0,1]
	s_delay_alu instid0(VALU_DEP_1) | instskip(SKIP_1) | instid1(VALU_DEP_1)
	v_pk_fma_f32 v[146:147], v[140:141], v[130:131], v[144:145] op_sel:[0,0,1] op_sel_hi:[1,1,0] neg_lo:[0,0,1] neg_hi:[0,0,1]
	v_pk_fma_f32 v[140:141], v[140:141], v[130:131], v[144:145] op_sel:[0,0,1] op_sel_hi:[1,0,0]
	v_mov_b32_e32 v147, v141
	v_pk_mul_f32 v[140:141], v[142:143], v[132:133] op_sel:[0,1]
	s_delay_alu instid0(VALU_DEP_2) | instskip(NEXT) | instid1(VALU_DEP_2)
	v_pk_add_f32 v[102:103], v[102:103], v[146:147] neg_lo:[0,1] neg_hi:[0,1]
	v_pk_fma_f32 v[144:145], v[142:143], v[130:131], v[140:141] op_sel:[0,0,1] op_sel_hi:[1,1,0] neg_lo:[0,0,1] neg_hi:[0,0,1]
	v_pk_fma_f32 v[140:141], v[142:143], v[130:131], v[140:141] op_sel:[0,0,1] op_sel_hi:[1,0,0]
	s_delay_alu instid0(VALU_DEP_1) | instskip(SKIP_4) | instid1(VALU_DEP_1)
	v_mov_b32_e32 v145, v141
	ds_load_2addr_b64 v[140:143], v134 offset0:38 offset1:39
	v_pk_add_f32 v[40:41], v[40:41], v[144:145] neg_lo:[0,1] neg_hi:[0,1]
	s_wait_dscnt 0x0
	v_pk_mul_f32 v[144:145], v[140:141], v[132:133] op_sel:[0,1]
	v_pk_fma_f32 v[146:147], v[140:141], v[130:131], v[144:145] op_sel:[0,0,1] op_sel_hi:[1,1,0] neg_lo:[0,0,1] neg_hi:[0,0,1]
	v_pk_fma_f32 v[140:141], v[140:141], v[130:131], v[144:145] op_sel:[0,0,1] op_sel_hi:[1,0,0]
	v_dual_mul_f32 v144, v143, v133 :: v_dual_mov_b32 v140, v143
	s_delay_alu instid0(VALU_DEP_2) | instskip(NEXT) | instid1(VALU_DEP_2)
	v_dual_mov_b32 v147, v141 :: v_dual_mov_b32 v141, v142
	v_pk_fma_f32 v[144:145], v[142:143], v[60:61], v[144:145] op_sel_hi:[1,1,0] neg_lo:[0,0,1] neg_hi:[0,0,1]
	v_mul_f32_e32 v142, v143, v130
	s_delay_alu instid0(VALU_DEP_3) | instskip(NEXT) | instid1(VALU_DEP_2)
	v_pk_add_f32 v[42:43], v[42:43], v[146:147] neg_lo:[0,1] neg_hi:[0,1]
	v_pk_fma_f32 v[140:141], v[140:141], v[60:61], v[142:143] op_sel_hi:[1,1,0]
	s_delay_alu instid0(VALU_DEP_1) | instskip(SKIP_4) | instid1(VALU_DEP_1)
	v_mov_b32_e32 v145, v141
	ds_load_2addr_b64 v[140:143], v134 offset0:40 offset1:41
	v_pk_add_f32 v[38:39], v[38:39], v[144:145] neg_lo:[0,1] neg_hi:[0,1]
	s_wait_dscnt 0x0
	v_pk_mul_f32 v[144:145], v[140:141], v[132:133] op_sel:[0,1]
	v_pk_fma_f32 v[146:147], v[140:141], v[130:131], v[144:145] op_sel:[0,0,1] op_sel_hi:[1,1,0] neg_lo:[0,0,1] neg_hi:[0,0,1]
	v_pk_fma_f32 v[140:141], v[140:141], v[130:131], v[144:145] op_sel:[0,0,1] op_sel_hi:[1,0,0]
	s_delay_alu instid0(VALU_DEP_1) | instskip(SKIP_1) | instid1(VALU_DEP_1)
	v_mov_b32_e32 v147, v141
	v_pk_mul_f32 v[140:141], v[142:143], v[132:133] op_sel:[0,1]
	v_pk_fma_f32 v[144:145], v[142:143], v[130:131], v[140:141] op_sel:[0,0,1] op_sel_hi:[1,1,0] neg_lo:[0,0,1] neg_hi:[0,0,1]
	v_pk_fma_f32 v[140:141], v[142:143], v[130:131], v[140:141] op_sel:[0,0,1] op_sel_hi:[1,0,0]
	s_delay_alu instid0(VALU_DEP_1)
	v_mov_b32_e32 v145, v141
	ds_load_2addr_b64 v[140:143], v134 offset0:42 offset1:43
	v_pk_add_f32 v[100:101], v[100:101], v[146:147] neg_lo:[0,1] neg_hi:[0,1]
	v_pk_add_f32 v[32:33], v[32:33], v[144:145] neg_lo:[0,1] neg_hi:[0,1]
	s_wait_dscnt 0x0
	v_pk_mul_f32 v[144:145], v[140:141], v[132:133] op_sel:[0,1]
	s_delay_alu instid0(VALU_DEP_1) | instskip(SKIP_1) | instid1(VALU_DEP_1)
	v_pk_fma_f32 v[146:147], v[140:141], v[130:131], v[144:145] op_sel:[0,0,1] op_sel_hi:[1,1,0] neg_lo:[0,0,1] neg_hi:[0,0,1]
	v_pk_fma_f32 v[140:141], v[140:141], v[130:131], v[144:145] op_sel:[0,0,1] op_sel_hi:[1,0,0]
	v_mov_b32_e32 v147, v141
	v_pk_mul_f32 v[140:141], v[142:143], v[132:133] op_sel:[0,1]
	s_delay_alu instid0(VALU_DEP_1) | instskip(SKIP_1) | instid1(VALU_DEP_1)
	v_pk_fma_f32 v[144:145], v[142:143], v[130:131], v[140:141] op_sel:[0,0,1] op_sel_hi:[1,1,0] neg_lo:[0,0,1] neg_hi:[0,0,1]
	v_pk_fma_f32 v[140:141], v[142:143], v[130:131], v[140:141] op_sel:[0,0,1] op_sel_hi:[1,0,0]
	v_mov_b32_e32 v145, v141
	ds_load_2addr_b64 v[140:143], v134 offset0:44 offset1:45
	v_pk_add_f32 v[34:35], v[34:35], v[146:147] neg_lo:[0,1] neg_hi:[0,1]
	v_pk_add_f32 v[30:31], v[30:31], v[144:145] neg_lo:[0,1] neg_hi:[0,1]
	s_wait_dscnt 0x0
	v_dual_mul_f32 v144, v141, v133 :: v_dual_mul_f32 v146, v141, v130
	s_delay_alu instid0(VALU_DEP_1) | instskip(NEXT) | instid1(VALU_DEP_2)
	v_pk_fma_f32 v[144:145], v[140:141], v[60:61], v[144:145] op_sel_hi:[1,1,0] neg_lo:[0,0,1] neg_hi:[0,0,1]
	v_pk_fma_f32 v[140:141], v[140:141], v[60:61], v[146:147] op_sel:[1,0,0] op_sel_hi:[0,1,0]
	s_delay_alu instid0(VALU_DEP_1) | instskip(SKIP_1) | instid1(VALU_DEP_2)
	v_mov_b32_e32 v145, v141
	v_pk_mul_f32 v[140:141], v[142:143], v[132:133] op_sel:[0,1]
	v_pk_add_f32 v[98:99], v[98:99], v[144:145] neg_lo:[0,1] neg_hi:[0,1]
	s_delay_alu instid0(VALU_DEP_2) | instskip(SKIP_1) | instid1(VALU_DEP_1)
	v_pk_fma_f32 v[144:145], v[142:143], v[130:131], v[140:141] op_sel:[0,0,1] op_sel_hi:[1,1,0] neg_lo:[0,0,1] neg_hi:[0,0,1]
	v_pk_fma_f32 v[140:141], v[142:143], v[130:131], v[140:141] op_sel:[0,0,1] op_sel_hi:[1,0,0]
	v_mov_b32_e32 v145, v141
	ds_load_2addr_b64 v[140:143], v134 offset0:46 offset1:47
	v_pk_add_f32 v[24:25], v[24:25], v[144:145] neg_lo:[0,1] neg_hi:[0,1]
	s_wait_dscnt 0x0
	v_pk_mul_f32 v[144:145], v[140:141], v[132:133] op_sel:[0,1]
	s_delay_alu instid0(VALU_DEP_1) | instskip(SKIP_1) | instid1(VALU_DEP_1)
	v_pk_fma_f32 v[146:147], v[140:141], v[130:131], v[144:145] op_sel:[0,0,1] op_sel_hi:[1,1,0] neg_lo:[0,0,1] neg_hi:[0,0,1]
	v_pk_fma_f32 v[140:141], v[140:141], v[130:131], v[144:145] op_sel:[0,0,1] op_sel_hi:[1,0,0]
	v_mov_b32_e32 v147, v141
	v_pk_mul_f32 v[140:141], v[142:143], v[132:133] op_sel:[0,1]
	s_delay_alu instid0(VALU_DEP_2) | instskip(NEXT) | instid1(VALU_DEP_2)
	v_pk_add_f32 v[28:29], v[28:29], v[146:147] neg_lo:[0,1] neg_hi:[0,1]
	v_pk_fma_f32 v[144:145], v[142:143], v[130:131], v[140:141] op_sel:[0,0,1] op_sel_hi:[1,1,0] neg_lo:[0,0,1] neg_hi:[0,0,1]
	v_pk_fma_f32 v[140:141], v[142:143], v[130:131], v[140:141] op_sel:[0,0,1] op_sel_hi:[1,0,0]
	s_delay_alu instid0(VALU_DEP_1) | instskip(SKIP_4) | instid1(VALU_DEP_1)
	v_mov_b32_e32 v145, v141
	ds_load_2addr_b64 v[140:143], v134 offset0:48 offset1:49
	v_pk_add_f32 v[22:23], v[22:23], v[144:145] neg_lo:[0,1] neg_hi:[0,1]
	s_wait_dscnt 0x0
	v_pk_mul_f32 v[144:145], v[140:141], v[132:133] op_sel:[0,1]
	v_pk_fma_f32 v[146:147], v[140:141], v[130:131], v[144:145] op_sel:[0,0,1] op_sel_hi:[1,1,0] neg_lo:[0,0,1] neg_hi:[0,0,1]
	v_pk_fma_f32 v[140:141], v[140:141], v[130:131], v[144:145] op_sel:[0,0,1] op_sel_hi:[1,0,0]
	v_dual_mul_f32 v144, v143, v133 :: v_dual_mov_b32 v140, v143
	s_delay_alu instid0(VALU_DEP_2) | instskip(NEXT) | instid1(VALU_DEP_2)
	v_dual_mov_b32 v147, v141 :: v_dual_mov_b32 v141, v142
	v_pk_fma_f32 v[144:145], v[142:143], v[60:61], v[144:145] op_sel_hi:[1,1,0] neg_lo:[0,0,1] neg_hi:[0,0,1]
	v_mul_f32_e32 v142, v143, v130
	s_delay_alu instid0(VALU_DEP_3) | instskip(NEXT) | instid1(VALU_DEP_2)
	v_pk_add_f32 v[96:97], v[96:97], v[146:147] neg_lo:[0,1] neg_hi:[0,1]
	v_pk_fma_f32 v[140:141], v[140:141], v[60:61], v[142:143] op_sel_hi:[1,1,0]
	s_delay_alu instid0(VALU_DEP_1) | instskip(SKIP_4) | instid1(VALU_DEP_1)
	v_mov_b32_e32 v145, v141
	ds_load_2addr_b64 v[140:143], v134 offset0:50 offset1:51
	v_pk_add_f32 v[18:19], v[18:19], v[144:145] neg_lo:[0,1] neg_hi:[0,1]
	s_wait_dscnt 0x0
	v_pk_mul_f32 v[144:145], v[140:141], v[132:133] op_sel:[0,1]
	v_pk_fma_f32 v[146:147], v[140:141], v[130:131], v[144:145] op_sel:[0,0,1] op_sel_hi:[1,1,0] neg_lo:[0,0,1] neg_hi:[0,0,1]
	v_pk_fma_f32 v[140:141], v[140:141], v[130:131], v[144:145] op_sel:[0,0,1] op_sel_hi:[1,0,0]
	s_delay_alu instid0(VALU_DEP_1) | instskip(SKIP_1) | instid1(VALU_DEP_1)
	v_mov_b32_e32 v147, v141
	v_pk_mul_f32 v[140:141], v[142:143], v[132:133] op_sel:[0,1]
	v_pk_fma_f32 v[144:145], v[142:143], v[130:131], v[140:141] op_sel:[0,0,1] op_sel_hi:[1,1,0] neg_lo:[0,0,1] neg_hi:[0,0,1]
	v_pk_fma_f32 v[140:141], v[142:143], v[130:131], v[140:141] op_sel:[0,0,1] op_sel_hi:[1,0,0]
	s_delay_alu instid0(VALU_DEP_1)
	v_mov_b32_e32 v145, v141
	ds_load_2addr_b64 v[140:143], v134 offset0:52 offset1:53
	v_pk_add_f32 v[20:21], v[20:21], v[146:147] neg_lo:[0,1] neg_hi:[0,1]
	v_pk_add_f32 v[36:37], v[36:37], v[144:145] neg_lo:[0,1] neg_hi:[0,1]
	s_wait_dscnt 0x0
	v_pk_mul_f32 v[144:145], v[140:141], v[132:133] op_sel:[0,1]
	s_delay_alu instid0(VALU_DEP_1) | instskip(SKIP_1) | instid1(VALU_DEP_1)
	v_pk_fma_f32 v[146:147], v[140:141], v[130:131], v[144:145] op_sel:[0,0,1] op_sel_hi:[1,1,0] neg_lo:[0,0,1] neg_hi:[0,0,1]
	v_pk_fma_f32 v[140:141], v[140:141], v[130:131], v[144:145] op_sel:[0,0,1] op_sel_hi:[1,0,0]
	v_mov_b32_e32 v147, v141
	v_pk_mul_f32 v[140:141], v[142:143], v[132:133] op_sel:[0,1]
	s_delay_alu instid0(VALU_DEP_1) | instskip(SKIP_1) | instid1(VALU_DEP_1)
	v_pk_fma_f32 v[144:145], v[142:143], v[130:131], v[140:141] op_sel:[0,0,1] op_sel_hi:[1,1,0] neg_lo:[0,0,1] neg_hi:[0,0,1]
	v_pk_fma_f32 v[140:141], v[142:143], v[130:131], v[140:141] op_sel:[0,0,1] op_sel_hi:[1,0,0]
	v_mov_b32_e32 v145, v141
	ds_load_2addr_b64 v[140:143], v134 offset0:54 offset1:55
	v_pk_add_f32 v[86:87], v[86:87], v[146:147] neg_lo:[0,1] neg_hi:[0,1]
	v_pk_add_f32 v[10:11], v[10:11], v[144:145] neg_lo:[0,1] neg_hi:[0,1]
	s_wait_dscnt 0x0
	v_dual_mul_f32 v144, v141, v133 :: v_dual_mul_f32 v146, v141, v130
	s_delay_alu instid0(VALU_DEP_1) | instskip(NEXT) | instid1(VALU_DEP_2)
	v_pk_fma_f32 v[144:145], v[140:141], v[60:61], v[144:145] op_sel_hi:[1,1,0] neg_lo:[0,0,1] neg_hi:[0,0,1]
	v_pk_fma_f32 v[140:141], v[140:141], v[60:61], v[146:147] op_sel:[1,0,0] op_sel_hi:[0,1,0]
	s_delay_alu instid0(VALU_DEP_1) | instskip(SKIP_1) | instid1(VALU_DEP_2)
	v_mov_b32_e32 v145, v141
	v_pk_mul_f32 v[140:141], v[142:143], v[132:133] op_sel:[0,1]
	v_pk_add_f32 v[12:13], v[12:13], v[144:145] neg_lo:[0,1] neg_hi:[0,1]
	s_delay_alu instid0(VALU_DEP_2) | instskip(SKIP_1) | instid1(VALU_DEP_1)
	v_pk_fma_f32 v[144:145], v[142:143], v[130:131], v[140:141] op_sel:[0,0,1] op_sel_hi:[1,1,0] neg_lo:[0,0,1] neg_hi:[0,0,1]
	v_pk_fma_f32 v[140:141], v[142:143], v[130:131], v[140:141] op_sel:[0,0,1] op_sel_hi:[1,0,0]
	v_mov_b32_e32 v145, v141
	ds_load_2addr_b64 v[140:143], v134 offset0:56 offset1:57
	v_pk_add_f32 v[8:9], v[8:9], v[144:145] neg_lo:[0,1] neg_hi:[0,1]
	s_wait_dscnt 0x0
	v_pk_mul_f32 v[144:145], v[140:141], v[132:133] op_sel:[0,1]
	s_delay_alu instid0(VALU_DEP_1) | instskip(SKIP_1) | instid1(VALU_DEP_1)
	v_pk_fma_f32 v[146:147], v[140:141], v[130:131], v[144:145] op_sel:[0,0,1] op_sel_hi:[1,1,0] neg_lo:[0,0,1] neg_hi:[0,0,1]
	v_pk_fma_f32 v[140:141], v[140:141], v[130:131], v[144:145] op_sel:[0,0,1] op_sel_hi:[1,0,0]
	v_mov_b32_e32 v147, v141
	v_pk_mul_f32 v[140:141], v[142:143], v[132:133] op_sel:[0,1]
	s_delay_alu instid0(VALU_DEP_2) | instskip(NEXT) | instid1(VALU_DEP_2)
	v_pk_add_f32 v[44:45], v[44:45], v[146:147] neg_lo:[0,1] neg_hi:[0,1]
	v_pk_fma_f32 v[144:145], v[142:143], v[130:131], v[140:141] op_sel:[0,0,1] op_sel_hi:[1,1,0] neg_lo:[0,0,1] neg_hi:[0,0,1]
	v_pk_fma_f32 v[140:141], v[142:143], v[130:131], v[140:141] op_sel:[0,0,1] op_sel_hi:[1,0,0]
	s_delay_alu instid0(VALU_DEP_1) | instskip(SKIP_4) | instid1(VALU_DEP_1)
	v_mov_b32_e32 v145, v141
	ds_load_2addr_b64 v[140:143], v134 offset0:58 offset1:59
	v_pk_add_f32 v[6:7], v[6:7], v[144:145] neg_lo:[0,1] neg_hi:[0,1]
	s_wait_dscnt 0x0
	v_pk_mul_f32 v[144:145], v[140:141], v[132:133] op_sel:[0,1]
	v_pk_fma_f32 v[146:147], v[140:141], v[130:131], v[144:145] op_sel:[0,0,1] op_sel_hi:[1,1,0] neg_lo:[0,0,1] neg_hi:[0,0,1]
	v_pk_fma_f32 v[140:141], v[140:141], v[130:131], v[144:145] op_sel:[0,0,1] op_sel_hi:[1,0,0]
	v_dual_mul_f32 v144, v143, v133 :: v_dual_mov_b32 v140, v143
	s_delay_alu instid0(VALU_DEP_2) | instskip(NEXT) | instid1(VALU_DEP_2)
	v_dual_mov_b32 v147, v141 :: v_dual_mov_b32 v141, v142
	v_pk_fma_f32 v[144:145], v[142:143], v[60:61], v[144:145] op_sel_hi:[1,1,0] neg_lo:[0,0,1] neg_hi:[0,0,1]
	v_mul_f32_e32 v142, v143, v130
	s_delay_alu instid0(VALU_DEP_3) | instskip(NEXT) | instid1(VALU_DEP_2)
	v_pk_add_f32 v[26:27], v[26:27], v[146:147] neg_lo:[0,1] neg_hi:[0,1]
	v_pk_fma_f32 v[140:141], v[140:141], v[60:61], v[142:143] op_sel_hi:[1,1,0]
	s_delay_alu instid0(VALU_DEP_1)
	v_mov_b32_e32 v145, v141
	ds_load_2addr_b64 v[140:143], v134 offset0:60 offset1:61
	v_pk_add_f32 v[16:17], v[16:17], v[144:145] neg_lo:[0,1] neg_hi:[0,1]
	s_wait_dscnt 0x0
	v_pk_mul_f32 v[144:145], v[140:141], v[132:133] op_sel:[0,1]
	v_mul_f32_e32 v132, v143, v133
	s_delay_alu instid0(VALU_DEP_2) | instskip(SKIP_2) | instid1(VALU_DEP_4)
	v_pk_fma_f32 v[146:147], v[140:141], v[130:131], v[144:145] op_sel:[0,0,1] op_sel_hi:[1,1,0] neg_lo:[0,0,1] neg_hi:[0,0,1]
	v_pk_fma_f32 v[140:141], v[140:141], v[130:131], v[144:145] op_sel:[0,0,1] op_sel_hi:[1,0,0]
	v_dual_mov_b32 v140, v143 :: v_dual_mul_f32 v130, v143, v130
	v_pk_fma_f32 v[132:133], v[142:143], v[60:61], v[132:133] op_sel_hi:[1,1,0] neg_lo:[0,0,1] neg_hi:[0,0,1]
	s_delay_alu instid0(VALU_DEP_3) | instskip(NEXT) | instid1(VALU_DEP_1)
	v_dual_mov_b32 v147, v141 :: v_dual_mov_b32 v141, v142
	v_pk_add_f32 v[14:15], v[14:15], v[146:147] neg_lo:[0,1] neg_hi:[0,1]
	s_delay_alu instid0(VALU_DEP_2) | instskip(NEXT) | instid1(VALU_DEP_1)
	v_pk_fma_f32 v[130:131], v[140:141], v[60:61], v[130:131] op_sel_hi:[1,1,0]
	v_mov_b32_e32 v133, v131
	s_delay_alu instid0(VALU_DEP_1)
	v_pk_add_f32 v[128:129], v[128:129], v[132:133] neg_lo:[0,1] neg_hi:[0,1]
.LBB122_545:
	s_or_b32 exec_lo, exec_lo, s0
	v_lshl_add_u32 v130, v138, 3, v134
	s_barrier_signal -1
	s_barrier_wait -1
	ds_store_b64 v130, v[62:63]
	s_wait_dscnt 0x0
	s_barrier_signal -1
	s_barrier_wait -1
	ds_load_b64 v[132:133], v134 offset:208
	v_mov_b32_e32 v130, 26
	s_cmp_lt_i32 s18, 28
	s_cbranch_scc1 .LBB122_548
; %bb.546:
	v_add3_u32 v131, v135, 0, 0xd8
	v_mov_b32_e32 v130, 26
	s_mov_b32 s0, 27
.LBB122_547:                            ; =>This Inner Loop Header: Depth=1
	ds_load_b64 v[140:141], v131
	s_wait_dscnt 0x1
	v_cmp_gt_f32_e32 vcc_lo, 0, v132
	v_cndmask_b32_e64 v142, v132, -v132, vcc_lo
	v_cmp_gt_f32_e32 vcc_lo, 0, v133
	v_cndmask_b32_e64 v144, v133, -v133, vcc_lo
	s_wait_dscnt 0x0
	v_cmp_gt_f32_e32 vcc_lo, 0, v140
	v_cndmask_b32_e64 v143, v140, -v140, vcc_lo
	v_cmp_gt_f32_e32 vcc_lo, 0, v141
	v_cndmask_b32_e64 v145, v141, -v141, vcc_lo
	s_delay_alu instid0(VALU_DEP_1) | instskip(NEXT) | instid1(VALU_DEP_1)
	v_pk_add_f32 v[142:143], v[142:143], v[144:145]
	v_cmp_lt_f32_e32 vcc_lo, v142, v143
	v_dual_add_nc_u32 v131, 8, v131 :: v_dual_cndmask_b32 v133, v133, v141, vcc_lo
	v_cndmask_b32_e32 v132, v132, v140, vcc_lo
	v_cndmask_b32_e64 v130, v130, s0, vcc_lo
	s_add_co_i32 s0, s0, 1
	s_delay_alu instid0(SALU_CYCLE_1)
	s_cmp_lg_u32 s18, s0
	s_cbranch_scc1 .LBB122_547
.LBB122_548:
	s_wait_dscnt 0x0
	v_cmp_eq_f32_e32 vcc_lo, 0, v132
	v_cmp_eq_f32_e64 s0, 0, v133
	s_and_b32 s0, vcc_lo, s0
	s_delay_alu instid0(SALU_CYCLE_1) | instskip(NEXT) | instid1(SALU_CYCLE_1)
	s_and_saveexec_b32 s1, s0
	s_xor_b32 s0, exec_lo, s1
; %bb.549:
	v_cmp_ne_u32_e32 vcc_lo, 0, v136
	v_cndmask_b32_e32 v136, 27, v136, vcc_lo
; %bb.550:
	s_and_not1_saveexec_b32 s0, s0
	s_cbranch_execz .LBB122_556
; %bb.551:
	v_cmp_ngt_f32_e64 s1, |v132|, |v133|
	s_and_saveexec_b32 s12, s1
	s_delay_alu instid0(SALU_CYCLE_1)
	s_xor_b32 s1, exec_lo, s12
	s_cbranch_execz .LBB122_553
; %bb.552:
	v_div_scale_f32 v131, null, v133, v133, v132
	v_div_scale_f32 v141, vcc_lo, v132, v133, v132
	s_delay_alu instid0(VALU_DEP_2) | instskip(SKIP_1) | instid1(TRANS32_DEP_1)
	v_rcp_f32_e32 v139, v131
	v_nop
	v_fma_f32 v140, -v131, v139, 1.0
	s_delay_alu instid0(VALU_DEP_1) | instskip(NEXT) | instid1(VALU_DEP_1)
	v_fmac_f32_e32 v139, v140, v139
	v_mul_f32_e32 v140, v141, v139
	s_delay_alu instid0(VALU_DEP_1) | instskip(NEXT) | instid1(VALU_DEP_1)
	v_fma_f32 v142, -v131, v140, v141
	v_fmac_f32_e32 v140, v142, v139
	s_delay_alu instid0(VALU_DEP_1) | instskip(NEXT) | instid1(VALU_DEP_1)
	v_fma_f32 v131, -v131, v140, v141
	v_div_fmas_f32 v131, v131, v139, v140
	s_delay_alu instid0(VALU_DEP_1) | instskip(NEXT) | instid1(VALU_DEP_1)
	v_div_fixup_f32 v131, v131, v133, v132
	v_fmac_f32_e32 v133, v132, v131
	s_delay_alu instid0(VALU_DEP_1) | instskip(SKIP_1) | instid1(VALU_DEP_2)
	v_div_scale_f32 v132, null, v133, v133, 1.0
	v_div_scale_f32 v141, vcc_lo, 1.0, v133, 1.0
	v_rcp_f32_e32 v139, v132
	v_nop
	s_delay_alu instid0(TRANS32_DEP_1) | instskip(NEXT) | instid1(VALU_DEP_1)
	v_fma_f32 v140, -v132, v139, 1.0
	v_fmac_f32_e32 v139, v140, v139
	s_delay_alu instid0(VALU_DEP_1) | instskip(NEXT) | instid1(VALU_DEP_1)
	v_mul_f32_e32 v140, v141, v139
	v_fma_f32 v142, -v132, v140, v141
	s_delay_alu instid0(VALU_DEP_1) | instskip(NEXT) | instid1(VALU_DEP_1)
	v_fmac_f32_e32 v140, v142, v139
	v_fma_f32 v132, -v132, v140, v141
	s_delay_alu instid0(VALU_DEP_1) | instskip(NEXT) | instid1(VALU_DEP_1)
	v_div_fmas_f32 v132, v132, v139, v140
	v_div_fixup_f32 v133, v132, v133, 1.0
	s_delay_alu instid0(VALU_DEP_1)
	v_mul_f32_e32 v132, v131, v133
	v_xor_b32_e32 v133, 0x80000000, v133
.LBB122_553:
	s_and_not1_saveexec_b32 s1, s1
	s_cbranch_execz .LBB122_555
; %bb.554:
	s_delay_alu instid0(VALU_DEP_1) | instskip(SKIP_1) | instid1(VALU_DEP_2)
	v_div_scale_f32 v131, null, v132, v132, v133
	v_div_scale_f32 v141, vcc_lo, v133, v132, v133
	v_rcp_f32_e32 v139, v131
	v_nop
	s_delay_alu instid0(TRANS32_DEP_1) | instskip(NEXT) | instid1(VALU_DEP_1)
	v_fma_f32 v140, -v131, v139, 1.0
	v_fmac_f32_e32 v139, v140, v139
	s_delay_alu instid0(VALU_DEP_1) | instskip(NEXT) | instid1(VALU_DEP_1)
	v_mul_f32_e32 v140, v141, v139
	v_fma_f32 v142, -v131, v140, v141
	s_delay_alu instid0(VALU_DEP_1) | instskip(NEXT) | instid1(VALU_DEP_1)
	v_fmac_f32_e32 v140, v142, v139
	v_fma_f32 v131, -v131, v140, v141
	s_delay_alu instid0(VALU_DEP_1) | instskip(NEXT) | instid1(VALU_DEP_1)
	v_div_fmas_f32 v131, v131, v139, v140
	v_div_fixup_f32 v131, v131, v132, v133
	s_delay_alu instid0(VALU_DEP_1) | instskip(NEXT) | instid1(VALU_DEP_1)
	v_fmac_f32_e32 v132, v133, v131
	v_div_scale_f32 v133, null, v132, v132, 1.0
	s_delay_alu instid0(VALU_DEP_1) | instskip(SKIP_1) | instid1(TRANS32_DEP_1)
	v_rcp_f32_e32 v139, v133
	v_nop
	v_fma_f32 v140, -v133, v139, 1.0
	s_delay_alu instid0(VALU_DEP_1) | instskip(SKIP_1) | instid1(VALU_DEP_1)
	v_fmac_f32_e32 v139, v140, v139
	v_div_scale_f32 v140, vcc_lo, 1.0, v132, 1.0
	v_mul_f32_e32 v141, v140, v139
	s_delay_alu instid0(VALU_DEP_1) | instskip(NEXT) | instid1(VALU_DEP_1)
	v_fma_f32 v142, -v133, v141, v140
	v_fmac_f32_e32 v141, v142, v139
	s_delay_alu instid0(VALU_DEP_1) | instskip(NEXT) | instid1(VALU_DEP_1)
	v_fma_f32 v133, -v133, v141, v140
	v_div_fmas_f32 v133, v133, v139, v141
	s_delay_alu instid0(VALU_DEP_1) | instskip(NEXT) | instid1(VALU_DEP_1)
	v_div_fixup_f32 v132, v133, v132, 1.0
	v_mul_f32_e64 v133, v131, -v132
.LBB122_555:
	s_or_b32 exec_lo, exec_lo, s1
.LBB122_556:
	s_delay_alu instid0(SALU_CYCLE_1) | instskip(NEXT) | instid1(SALU_CYCLE_1)
	s_or_b32 exec_lo, exec_lo, s0
	s_mov_b32 s0, exec_lo
	v_cmpx_ne_u32_e64 v138, v130
	s_xor_b32 s0, exec_lo, s0
	s_cbranch_execz .LBB122_562
; %bb.557:
	s_mov_b32 s1, exec_lo
	v_cmpx_eq_u32_e32 26, v138
	s_cbranch_execz .LBB122_561
; %bb.558:
	v_cmp_ne_u32_e32 vcc_lo, 26, v130
	s_xor_b32 s12, s16, -1
	s_delay_alu instid0(SALU_CYCLE_1) | instskip(NEXT) | instid1(SALU_CYCLE_1)
	s_and_b32 s13, s12, vcc_lo
	s_and_saveexec_b32 s12, s13
	s_cbranch_execz .LBB122_560
; %bb.559:
	v_ashrrev_i32_e32 v131, 31, v130
	s_delay_alu instid0(VALU_DEP_1)
	v_lshl_add_u64 v[138:139], v[130:131], 2, v[4:5]
	s_clause 0x1
	global_load_b32 v131, v[138:139], off
	global_load_b32 v137, v[4:5], off offset:104
	s_wait_loadcnt 0x1
	global_store_b32 v[4:5], v131, off offset:104
	s_wait_loadcnt 0x0
	global_store_b32 v[138:139], v137, off
.LBB122_560:
	s_wait_xcnt 0x0
	s_or_b32 exec_lo, exec_lo, s12
	v_dual_mov_b32 v138, v130 :: v_dual_mov_b32 v137, v130
.LBB122_561:
	s_or_b32 exec_lo, exec_lo, s1
.LBB122_562:
	s_and_not1_saveexec_b32 s0, s0
	s_cbranch_execz .LBB122_564
; %bb.563:
	v_mov_b32_e32 v138, 26
	ds_store_2addr_b64 v134, v[58:59], v[106:107] offset0:27 offset1:28
	ds_store_2addr_b64 v134, v[54:55], v[56:57] offset0:29 offset1:30
	;; [unrolled: 1-line block ×17, first 2 shown]
	ds_store_b64 v134, v[128:129] offset:488
.LBB122_564:
	s_or_b32 exec_lo, exec_lo, s0
	s_delay_alu instid0(SALU_CYCLE_1)
	s_mov_b32 s0, exec_lo
	s_wait_storecnt_dscnt 0x0
	s_barrier_signal -1
	s_barrier_wait -1
	v_cmpx_lt_i32_e32 26, v138
	s_cbranch_execz .LBB122_566
; %bb.565:
	v_pk_mul_f32 v[140:141], v[132:133], v[62:63] op_sel:[1,1] op_sel_hi:[0,1]
	s_delay_alu instid0(VALU_DEP_1)
	v_pk_fma_f32 v[130:131], v[132:133], v[62:63], v[140:141] op_sel_hi:[1,0,1] neg_lo:[0,0,1] neg_hi:[0,0,1]
	v_pk_fma_f32 v[132:133], v[132:133], v[62:63], v[140:141] op_sel_hi:[1,0,1]
	ds_load_2addr_b64 v[140:143], v134 offset0:27 offset1:28
	v_dual_mov_b32 v62, v130 :: v_dual_mov_b32 v63, v133
	s_wait_dscnt 0x0
	v_pk_mul_f32 v[144:145], v[140:141], v[132:133] op_sel:[0,1]
	s_delay_alu instid0(VALU_DEP_1) | instskip(SKIP_1) | instid1(VALU_DEP_1)
	v_pk_fma_f32 v[146:147], v[140:141], v[130:131], v[144:145] op_sel:[0,0,1] op_sel_hi:[1,1,0] neg_lo:[0,0,1] neg_hi:[0,0,1]
	v_pk_fma_f32 v[140:141], v[140:141], v[130:131], v[144:145] op_sel:[0,0,1] op_sel_hi:[1,0,0]
	v_mov_b32_e32 v147, v141
	v_pk_mul_f32 v[140:141], v[142:143], v[132:133] op_sel:[0,1]
	s_delay_alu instid0(VALU_DEP_1) | instskip(SKIP_1) | instid1(VALU_DEP_1)
	v_pk_fma_f32 v[144:145], v[142:143], v[130:131], v[140:141] op_sel:[0,0,1] op_sel_hi:[1,1,0] neg_lo:[0,0,1] neg_hi:[0,0,1]
	v_pk_fma_f32 v[140:141], v[142:143], v[130:131], v[140:141] op_sel:[0,0,1] op_sel_hi:[1,0,0]
	v_mov_b32_e32 v145, v141
	ds_load_2addr_b64 v[140:143], v134 offset0:29 offset1:30
	v_pk_add_f32 v[58:59], v[58:59], v[146:147] neg_lo:[0,1] neg_hi:[0,1]
	v_pk_add_f32 v[106:107], v[106:107], v[144:145] neg_lo:[0,1] neg_hi:[0,1]
	s_wait_dscnt 0x0
	v_pk_mul_f32 v[144:145], v[140:141], v[132:133] op_sel:[0,1]
	s_delay_alu instid0(VALU_DEP_1) | instskip(SKIP_2) | instid1(VALU_DEP_2)
	v_pk_fma_f32 v[146:147], v[140:141], v[130:131], v[144:145] op_sel:[0,0,1] op_sel_hi:[1,1,0] neg_lo:[0,0,1] neg_hi:[0,0,1]
	v_pk_fma_f32 v[140:141], v[140:141], v[130:131], v[144:145] op_sel:[0,0,1] op_sel_hi:[1,0,0]
	v_dual_mul_f32 v144, v143, v133 :: v_dual_mov_b32 v140, v143
	v_dual_mov_b32 v147, v141 :: v_dual_mov_b32 v141, v142
	s_delay_alu instid0(VALU_DEP_2) | instskip(SKIP_1) | instid1(VALU_DEP_3)
	v_pk_fma_f32 v[144:145], v[142:143], v[62:63], v[144:145] op_sel_hi:[1,1,0] neg_lo:[0,0,1] neg_hi:[0,0,1]
	v_mul_f32_e32 v142, v143, v130
	v_pk_add_f32 v[54:55], v[54:55], v[146:147] neg_lo:[0,1] neg_hi:[0,1]
	s_delay_alu instid0(VALU_DEP_2) | instskip(NEXT) | instid1(VALU_DEP_1)
	v_pk_fma_f32 v[140:141], v[140:141], v[62:63], v[142:143] op_sel_hi:[1,1,0]
	v_mov_b32_e32 v145, v141
	ds_load_2addr_b64 v[140:143], v134 offset0:31 offset1:32
	v_pk_add_f32 v[56:57], v[56:57], v[144:145] neg_lo:[0,1] neg_hi:[0,1]
	s_wait_dscnt 0x0
	v_pk_mul_f32 v[144:145], v[140:141], v[132:133] op_sel:[0,1]
	s_delay_alu instid0(VALU_DEP_1) | instskip(SKIP_1) | instid1(VALU_DEP_1)
	v_pk_fma_f32 v[146:147], v[140:141], v[130:131], v[144:145] op_sel:[0,0,1] op_sel_hi:[1,1,0] neg_lo:[0,0,1] neg_hi:[0,0,1]
	v_pk_fma_f32 v[140:141], v[140:141], v[130:131], v[144:145] op_sel:[0,0,1] op_sel_hi:[1,0,0]
	v_mov_b32_e32 v147, v141
	v_pk_mul_f32 v[140:141], v[142:143], v[132:133] op_sel:[0,1]
	s_delay_alu instid0(VALU_DEP_1) | instskip(SKIP_1) | instid1(VALU_DEP_1)
	v_pk_fma_f32 v[144:145], v[142:143], v[130:131], v[140:141] op_sel:[0,0,1] op_sel_hi:[1,1,0] neg_lo:[0,0,1] neg_hi:[0,0,1]
	v_pk_fma_f32 v[140:141], v[142:143], v[130:131], v[140:141] op_sel:[0,0,1] op_sel_hi:[1,0,0]
	v_mov_b32_e32 v145, v141
	ds_load_2addr_b64 v[140:143], v134 offset0:33 offset1:34
	v_pk_add_f32 v[52:53], v[52:53], v[146:147] neg_lo:[0,1] neg_hi:[0,1]
	v_pk_add_f32 v[104:105], v[104:105], v[144:145] neg_lo:[0,1] neg_hi:[0,1]
	s_wait_dscnt 0x0
	v_pk_mul_f32 v[144:145], v[140:141], v[132:133] op_sel:[0,1]
	s_delay_alu instid0(VALU_DEP_1) | instskip(SKIP_1) | instid1(VALU_DEP_1)
	v_pk_fma_f32 v[146:147], v[140:141], v[130:131], v[144:145] op_sel:[0,0,1] op_sel_hi:[1,1,0] neg_lo:[0,0,1] neg_hi:[0,0,1]
	v_pk_fma_f32 v[140:141], v[140:141], v[130:131], v[144:145] op_sel:[0,0,1] op_sel_hi:[1,0,0]
	v_mov_b32_e32 v147, v141
	v_pk_mul_f32 v[140:141], v[142:143], v[132:133] op_sel:[0,1]
	s_delay_alu instid0(VALU_DEP_1) | instskip(SKIP_1) | instid1(VALU_DEP_1)
	v_pk_fma_f32 v[144:145], v[142:143], v[130:131], v[140:141] op_sel:[0,0,1] op_sel_hi:[1,1,0] neg_lo:[0,0,1] neg_hi:[0,0,1]
	v_pk_fma_f32 v[140:141], v[142:143], v[130:131], v[140:141] op_sel:[0,0,1] op_sel_hi:[1,0,0]
	v_mov_b32_e32 v145, v141
	ds_load_2addr_b64 v[140:143], v134 offset0:35 offset1:36
	v_pk_add_f32 v[48:49], v[48:49], v[146:147] neg_lo:[0,1] neg_hi:[0,1]
	v_pk_add_f32 v[50:51], v[50:51], v[144:145] neg_lo:[0,1] neg_hi:[0,1]
	s_wait_dscnt 0x0
	v_dual_mul_f32 v144, v141, v133 :: v_dual_mul_f32 v146, v141, v130
	s_delay_alu instid0(VALU_DEP_1) | instskip(NEXT) | instid1(VALU_DEP_2)
	v_pk_fma_f32 v[144:145], v[140:141], v[62:63], v[144:145] op_sel_hi:[1,1,0] neg_lo:[0,0,1] neg_hi:[0,0,1]
	v_pk_fma_f32 v[140:141], v[140:141], v[62:63], v[146:147] op_sel:[1,0,0] op_sel_hi:[0,1,0]
	s_delay_alu instid0(VALU_DEP_1) | instskip(SKIP_1) | instid1(VALU_DEP_2)
	v_mov_b32_e32 v145, v141
	v_pk_mul_f32 v[140:141], v[142:143], v[132:133] op_sel:[0,1]
	v_pk_add_f32 v[46:47], v[46:47], v[144:145] neg_lo:[0,1] neg_hi:[0,1]
	s_delay_alu instid0(VALU_DEP_2) | instskip(SKIP_1) | instid1(VALU_DEP_1)
	v_pk_fma_f32 v[144:145], v[142:143], v[130:131], v[140:141] op_sel:[0,0,1] op_sel_hi:[1,1,0] neg_lo:[0,0,1] neg_hi:[0,0,1]
	v_pk_fma_f32 v[140:141], v[142:143], v[130:131], v[140:141] op_sel:[0,0,1] op_sel_hi:[1,0,0]
	v_mov_b32_e32 v145, v141
	ds_load_2addr_b64 v[140:143], v134 offset0:37 offset1:38
	v_pk_add_f32 v[102:103], v[102:103], v[144:145] neg_lo:[0,1] neg_hi:[0,1]
	s_wait_dscnt 0x0
	v_pk_mul_f32 v[144:145], v[140:141], v[132:133] op_sel:[0,1]
	s_delay_alu instid0(VALU_DEP_1) | instskip(SKIP_1) | instid1(VALU_DEP_1)
	v_pk_fma_f32 v[146:147], v[140:141], v[130:131], v[144:145] op_sel:[0,0,1] op_sel_hi:[1,1,0] neg_lo:[0,0,1] neg_hi:[0,0,1]
	v_pk_fma_f32 v[140:141], v[140:141], v[130:131], v[144:145] op_sel:[0,0,1] op_sel_hi:[1,0,0]
	v_mov_b32_e32 v147, v141
	v_pk_mul_f32 v[140:141], v[142:143], v[132:133] op_sel:[0,1]
	s_delay_alu instid0(VALU_DEP_2) | instskip(NEXT) | instid1(VALU_DEP_2)
	v_pk_add_f32 v[40:41], v[40:41], v[146:147] neg_lo:[0,1] neg_hi:[0,1]
	v_pk_fma_f32 v[144:145], v[142:143], v[130:131], v[140:141] op_sel:[0,0,1] op_sel_hi:[1,1,0] neg_lo:[0,0,1] neg_hi:[0,0,1]
	v_pk_fma_f32 v[140:141], v[142:143], v[130:131], v[140:141] op_sel:[0,0,1] op_sel_hi:[1,0,0]
	s_delay_alu instid0(VALU_DEP_1) | instskip(SKIP_4) | instid1(VALU_DEP_1)
	v_mov_b32_e32 v145, v141
	ds_load_2addr_b64 v[140:143], v134 offset0:39 offset1:40
	v_pk_add_f32 v[42:43], v[42:43], v[144:145] neg_lo:[0,1] neg_hi:[0,1]
	s_wait_dscnt 0x0
	v_pk_mul_f32 v[144:145], v[140:141], v[132:133] op_sel:[0,1]
	v_pk_fma_f32 v[146:147], v[140:141], v[130:131], v[144:145] op_sel:[0,0,1] op_sel_hi:[1,1,0] neg_lo:[0,0,1] neg_hi:[0,0,1]
	v_pk_fma_f32 v[140:141], v[140:141], v[130:131], v[144:145] op_sel:[0,0,1] op_sel_hi:[1,0,0]
	v_dual_mul_f32 v144, v143, v133 :: v_dual_mov_b32 v140, v143
	s_delay_alu instid0(VALU_DEP_2) | instskip(NEXT) | instid1(VALU_DEP_2)
	v_dual_mov_b32 v147, v141 :: v_dual_mov_b32 v141, v142
	v_pk_fma_f32 v[144:145], v[142:143], v[62:63], v[144:145] op_sel_hi:[1,1,0] neg_lo:[0,0,1] neg_hi:[0,0,1]
	v_mul_f32_e32 v142, v143, v130
	s_delay_alu instid0(VALU_DEP_3) | instskip(NEXT) | instid1(VALU_DEP_2)
	v_pk_add_f32 v[38:39], v[38:39], v[146:147] neg_lo:[0,1] neg_hi:[0,1]
	v_pk_fma_f32 v[140:141], v[140:141], v[62:63], v[142:143] op_sel_hi:[1,1,0]
	s_delay_alu instid0(VALU_DEP_1) | instskip(SKIP_4) | instid1(VALU_DEP_1)
	v_mov_b32_e32 v145, v141
	ds_load_2addr_b64 v[140:143], v134 offset0:41 offset1:42
	v_pk_add_f32 v[100:101], v[100:101], v[144:145] neg_lo:[0,1] neg_hi:[0,1]
	s_wait_dscnt 0x0
	v_pk_mul_f32 v[144:145], v[140:141], v[132:133] op_sel:[0,1]
	v_pk_fma_f32 v[146:147], v[140:141], v[130:131], v[144:145] op_sel:[0,0,1] op_sel_hi:[1,1,0] neg_lo:[0,0,1] neg_hi:[0,0,1]
	v_pk_fma_f32 v[140:141], v[140:141], v[130:131], v[144:145] op_sel:[0,0,1] op_sel_hi:[1,0,0]
	s_delay_alu instid0(VALU_DEP_1) | instskip(SKIP_1) | instid1(VALU_DEP_1)
	v_mov_b32_e32 v147, v141
	v_pk_mul_f32 v[140:141], v[142:143], v[132:133] op_sel:[0,1]
	v_pk_fma_f32 v[144:145], v[142:143], v[130:131], v[140:141] op_sel:[0,0,1] op_sel_hi:[1,1,0] neg_lo:[0,0,1] neg_hi:[0,0,1]
	v_pk_fma_f32 v[140:141], v[142:143], v[130:131], v[140:141] op_sel:[0,0,1] op_sel_hi:[1,0,0]
	s_delay_alu instid0(VALU_DEP_1)
	v_mov_b32_e32 v145, v141
	ds_load_2addr_b64 v[140:143], v134 offset0:43 offset1:44
	v_pk_add_f32 v[32:33], v[32:33], v[146:147] neg_lo:[0,1] neg_hi:[0,1]
	v_pk_add_f32 v[34:35], v[34:35], v[144:145] neg_lo:[0,1] neg_hi:[0,1]
	s_wait_dscnt 0x0
	v_pk_mul_f32 v[144:145], v[140:141], v[132:133] op_sel:[0,1]
	s_delay_alu instid0(VALU_DEP_1) | instskip(SKIP_1) | instid1(VALU_DEP_1)
	v_pk_fma_f32 v[146:147], v[140:141], v[130:131], v[144:145] op_sel:[0,0,1] op_sel_hi:[1,1,0] neg_lo:[0,0,1] neg_hi:[0,0,1]
	v_pk_fma_f32 v[140:141], v[140:141], v[130:131], v[144:145] op_sel:[0,0,1] op_sel_hi:[1,0,0]
	v_mov_b32_e32 v147, v141
	v_pk_mul_f32 v[140:141], v[142:143], v[132:133] op_sel:[0,1]
	s_delay_alu instid0(VALU_DEP_1) | instskip(SKIP_1) | instid1(VALU_DEP_1)
	v_pk_fma_f32 v[144:145], v[142:143], v[130:131], v[140:141] op_sel:[0,0,1] op_sel_hi:[1,1,0] neg_lo:[0,0,1] neg_hi:[0,0,1]
	v_pk_fma_f32 v[140:141], v[142:143], v[130:131], v[140:141] op_sel:[0,0,1] op_sel_hi:[1,0,0]
	v_mov_b32_e32 v145, v141
	ds_load_2addr_b64 v[140:143], v134 offset0:45 offset1:46
	v_pk_add_f32 v[30:31], v[30:31], v[146:147] neg_lo:[0,1] neg_hi:[0,1]
	v_pk_add_f32 v[98:99], v[98:99], v[144:145] neg_lo:[0,1] neg_hi:[0,1]
	s_wait_dscnt 0x0
	v_dual_mul_f32 v144, v141, v133 :: v_dual_mul_f32 v146, v141, v130
	s_delay_alu instid0(VALU_DEP_1) | instskip(NEXT) | instid1(VALU_DEP_2)
	v_pk_fma_f32 v[144:145], v[140:141], v[62:63], v[144:145] op_sel_hi:[1,1,0] neg_lo:[0,0,1] neg_hi:[0,0,1]
	v_pk_fma_f32 v[140:141], v[140:141], v[62:63], v[146:147] op_sel:[1,0,0] op_sel_hi:[0,1,0]
	s_delay_alu instid0(VALU_DEP_1) | instskip(SKIP_1) | instid1(VALU_DEP_2)
	v_mov_b32_e32 v145, v141
	v_pk_mul_f32 v[140:141], v[142:143], v[132:133] op_sel:[0,1]
	v_pk_add_f32 v[24:25], v[24:25], v[144:145] neg_lo:[0,1] neg_hi:[0,1]
	s_delay_alu instid0(VALU_DEP_2) | instskip(SKIP_1) | instid1(VALU_DEP_1)
	v_pk_fma_f32 v[144:145], v[142:143], v[130:131], v[140:141] op_sel:[0,0,1] op_sel_hi:[1,1,0] neg_lo:[0,0,1] neg_hi:[0,0,1]
	v_pk_fma_f32 v[140:141], v[142:143], v[130:131], v[140:141] op_sel:[0,0,1] op_sel_hi:[1,0,0]
	v_mov_b32_e32 v145, v141
	ds_load_2addr_b64 v[140:143], v134 offset0:47 offset1:48
	v_pk_add_f32 v[28:29], v[28:29], v[144:145] neg_lo:[0,1] neg_hi:[0,1]
	s_wait_dscnt 0x0
	v_pk_mul_f32 v[144:145], v[140:141], v[132:133] op_sel:[0,1]
	s_delay_alu instid0(VALU_DEP_1) | instskip(SKIP_1) | instid1(VALU_DEP_1)
	v_pk_fma_f32 v[146:147], v[140:141], v[130:131], v[144:145] op_sel:[0,0,1] op_sel_hi:[1,1,0] neg_lo:[0,0,1] neg_hi:[0,0,1]
	v_pk_fma_f32 v[140:141], v[140:141], v[130:131], v[144:145] op_sel:[0,0,1] op_sel_hi:[1,0,0]
	v_mov_b32_e32 v147, v141
	v_pk_mul_f32 v[140:141], v[142:143], v[132:133] op_sel:[0,1]
	s_delay_alu instid0(VALU_DEP_2) | instskip(NEXT) | instid1(VALU_DEP_2)
	v_pk_add_f32 v[22:23], v[22:23], v[146:147] neg_lo:[0,1] neg_hi:[0,1]
	v_pk_fma_f32 v[144:145], v[142:143], v[130:131], v[140:141] op_sel:[0,0,1] op_sel_hi:[1,1,0] neg_lo:[0,0,1] neg_hi:[0,0,1]
	v_pk_fma_f32 v[140:141], v[142:143], v[130:131], v[140:141] op_sel:[0,0,1] op_sel_hi:[1,0,0]
	s_delay_alu instid0(VALU_DEP_1) | instskip(SKIP_4) | instid1(VALU_DEP_1)
	v_mov_b32_e32 v145, v141
	ds_load_2addr_b64 v[140:143], v134 offset0:49 offset1:50
	v_pk_add_f32 v[96:97], v[96:97], v[144:145] neg_lo:[0,1] neg_hi:[0,1]
	s_wait_dscnt 0x0
	v_pk_mul_f32 v[144:145], v[140:141], v[132:133] op_sel:[0,1]
	v_pk_fma_f32 v[146:147], v[140:141], v[130:131], v[144:145] op_sel:[0,0,1] op_sel_hi:[1,1,0] neg_lo:[0,0,1] neg_hi:[0,0,1]
	v_pk_fma_f32 v[140:141], v[140:141], v[130:131], v[144:145] op_sel:[0,0,1] op_sel_hi:[1,0,0]
	v_dual_mul_f32 v144, v143, v133 :: v_dual_mov_b32 v140, v143
	s_delay_alu instid0(VALU_DEP_2) | instskip(NEXT) | instid1(VALU_DEP_2)
	v_dual_mov_b32 v147, v141 :: v_dual_mov_b32 v141, v142
	v_pk_fma_f32 v[144:145], v[142:143], v[62:63], v[144:145] op_sel_hi:[1,1,0] neg_lo:[0,0,1] neg_hi:[0,0,1]
	v_mul_f32_e32 v142, v143, v130
	s_delay_alu instid0(VALU_DEP_3) | instskip(NEXT) | instid1(VALU_DEP_2)
	v_pk_add_f32 v[18:19], v[18:19], v[146:147] neg_lo:[0,1] neg_hi:[0,1]
	v_pk_fma_f32 v[140:141], v[140:141], v[62:63], v[142:143] op_sel_hi:[1,1,0]
	s_delay_alu instid0(VALU_DEP_1) | instskip(SKIP_4) | instid1(VALU_DEP_1)
	v_mov_b32_e32 v145, v141
	ds_load_2addr_b64 v[140:143], v134 offset0:51 offset1:52
	v_pk_add_f32 v[20:21], v[20:21], v[144:145] neg_lo:[0,1] neg_hi:[0,1]
	s_wait_dscnt 0x0
	v_pk_mul_f32 v[144:145], v[140:141], v[132:133] op_sel:[0,1]
	v_pk_fma_f32 v[146:147], v[140:141], v[130:131], v[144:145] op_sel:[0,0,1] op_sel_hi:[1,1,0] neg_lo:[0,0,1] neg_hi:[0,0,1]
	v_pk_fma_f32 v[140:141], v[140:141], v[130:131], v[144:145] op_sel:[0,0,1] op_sel_hi:[1,0,0]
	s_delay_alu instid0(VALU_DEP_1) | instskip(SKIP_1) | instid1(VALU_DEP_1)
	v_mov_b32_e32 v147, v141
	v_pk_mul_f32 v[140:141], v[142:143], v[132:133] op_sel:[0,1]
	v_pk_fma_f32 v[144:145], v[142:143], v[130:131], v[140:141] op_sel:[0,0,1] op_sel_hi:[1,1,0] neg_lo:[0,0,1] neg_hi:[0,0,1]
	v_pk_fma_f32 v[140:141], v[142:143], v[130:131], v[140:141] op_sel:[0,0,1] op_sel_hi:[1,0,0]
	s_delay_alu instid0(VALU_DEP_1)
	v_mov_b32_e32 v145, v141
	ds_load_2addr_b64 v[140:143], v134 offset0:53 offset1:54
	v_pk_add_f32 v[36:37], v[36:37], v[146:147] neg_lo:[0,1] neg_hi:[0,1]
	v_pk_add_f32 v[86:87], v[86:87], v[144:145] neg_lo:[0,1] neg_hi:[0,1]
	s_wait_dscnt 0x0
	v_pk_mul_f32 v[144:145], v[140:141], v[132:133] op_sel:[0,1]
	s_delay_alu instid0(VALU_DEP_1) | instskip(SKIP_1) | instid1(VALU_DEP_1)
	v_pk_fma_f32 v[146:147], v[140:141], v[130:131], v[144:145] op_sel:[0,0,1] op_sel_hi:[1,1,0] neg_lo:[0,0,1] neg_hi:[0,0,1]
	v_pk_fma_f32 v[140:141], v[140:141], v[130:131], v[144:145] op_sel:[0,0,1] op_sel_hi:[1,0,0]
	v_mov_b32_e32 v147, v141
	v_pk_mul_f32 v[140:141], v[142:143], v[132:133] op_sel:[0,1]
	s_delay_alu instid0(VALU_DEP_1) | instskip(SKIP_1) | instid1(VALU_DEP_1)
	v_pk_fma_f32 v[144:145], v[142:143], v[130:131], v[140:141] op_sel:[0,0,1] op_sel_hi:[1,1,0] neg_lo:[0,0,1] neg_hi:[0,0,1]
	v_pk_fma_f32 v[140:141], v[142:143], v[130:131], v[140:141] op_sel:[0,0,1] op_sel_hi:[1,0,0]
	v_mov_b32_e32 v145, v141
	ds_load_2addr_b64 v[140:143], v134 offset0:55 offset1:56
	v_pk_add_f32 v[10:11], v[10:11], v[146:147] neg_lo:[0,1] neg_hi:[0,1]
	v_pk_add_f32 v[12:13], v[12:13], v[144:145] neg_lo:[0,1] neg_hi:[0,1]
	s_wait_dscnt 0x0
	v_dual_mul_f32 v144, v141, v133 :: v_dual_mul_f32 v146, v141, v130
	s_delay_alu instid0(VALU_DEP_1) | instskip(NEXT) | instid1(VALU_DEP_2)
	v_pk_fma_f32 v[144:145], v[140:141], v[62:63], v[144:145] op_sel_hi:[1,1,0] neg_lo:[0,0,1] neg_hi:[0,0,1]
	v_pk_fma_f32 v[140:141], v[140:141], v[62:63], v[146:147] op_sel:[1,0,0] op_sel_hi:[0,1,0]
	s_delay_alu instid0(VALU_DEP_1) | instskip(SKIP_1) | instid1(VALU_DEP_2)
	v_mov_b32_e32 v145, v141
	v_pk_mul_f32 v[140:141], v[142:143], v[132:133] op_sel:[0,1]
	v_pk_add_f32 v[8:9], v[8:9], v[144:145] neg_lo:[0,1] neg_hi:[0,1]
	s_delay_alu instid0(VALU_DEP_2) | instskip(SKIP_1) | instid1(VALU_DEP_1)
	v_pk_fma_f32 v[144:145], v[142:143], v[130:131], v[140:141] op_sel:[0,0,1] op_sel_hi:[1,1,0] neg_lo:[0,0,1] neg_hi:[0,0,1]
	v_pk_fma_f32 v[140:141], v[142:143], v[130:131], v[140:141] op_sel:[0,0,1] op_sel_hi:[1,0,0]
	v_mov_b32_e32 v145, v141
	ds_load_2addr_b64 v[140:143], v134 offset0:57 offset1:58
	v_pk_add_f32 v[44:45], v[44:45], v[144:145] neg_lo:[0,1] neg_hi:[0,1]
	s_wait_dscnt 0x0
	v_pk_mul_f32 v[144:145], v[140:141], v[132:133] op_sel:[0,1]
	s_delay_alu instid0(VALU_DEP_1) | instskip(SKIP_1) | instid1(VALU_DEP_1)
	v_pk_fma_f32 v[146:147], v[140:141], v[130:131], v[144:145] op_sel:[0,0,1] op_sel_hi:[1,1,0] neg_lo:[0,0,1] neg_hi:[0,0,1]
	v_pk_fma_f32 v[140:141], v[140:141], v[130:131], v[144:145] op_sel:[0,0,1] op_sel_hi:[1,0,0]
	v_mov_b32_e32 v147, v141
	v_pk_mul_f32 v[140:141], v[142:143], v[132:133] op_sel:[0,1]
	s_delay_alu instid0(VALU_DEP_2) | instskip(NEXT) | instid1(VALU_DEP_2)
	v_pk_add_f32 v[6:7], v[6:7], v[146:147] neg_lo:[0,1] neg_hi:[0,1]
	v_pk_fma_f32 v[144:145], v[142:143], v[130:131], v[140:141] op_sel:[0,0,1] op_sel_hi:[1,1,0] neg_lo:[0,0,1] neg_hi:[0,0,1]
	v_pk_fma_f32 v[140:141], v[142:143], v[130:131], v[140:141] op_sel:[0,0,1] op_sel_hi:[1,0,0]
	s_delay_alu instid0(VALU_DEP_1) | instskip(SKIP_4) | instid1(VALU_DEP_1)
	v_mov_b32_e32 v145, v141
	ds_load_2addr_b64 v[140:143], v134 offset0:59 offset1:60
	v_pk_add_f32 v[26:27], v[26:27], v[144:145] neg_lo:[0,1] neg_hi:[0,1]
	s_wait_dscnt 0x0
	v_pk_mul_f32 v[144:145], v[140:141], v[132:133] op_sel:[0,1]
	v_pk_fma_f32 v[146:147], v[140:141], v[130:131], v[144:145] op_sel:[0,0,1] op_sel_hi:[1,1,0] neg_lo:[0,0,1] neg_hi:[0,0,1]
	v_pk_fma_f32 v[140:141], v[140:141], v[130:131], v[144:145] op_sel:[0,0,1] op_sel_hi:[1,0,0]
	v_dual_mul_f32 v144, v143, v133 :: v_dual_mov_b32 v140, v143
	s_delay_alu instid0(VALU_DEP_2) | instskip(NEXT) | instid1(VALU_DEP_2)
	v_dual_mov_b32 v147, v141 :: v_dual_mov_b32 v141, v142
	v_pk_fma_f32 v[144:145], v[142:143], v[62:63], v[144:145] op_sel_hi:[1,1,0] neg_lo:[0,0,1] neg_hi:[0,0,1]
	v_mul_f32_e32 v142, v143, v130
	s_delay_alu instid0(VALU_DEP_3) | instskip(NEXT) | instid1(VALU_DEP_2)
	v_pk_add_f32 v[16:17], v[16:17], v[146:147] neg_lo:[0,1] neg_hi:[0,1]
	v_pk_fma_f32 v[140:141], v[140:141], v[62:63], v[142:143] op_sel_hi:[1,1,0]
	s_delay_alu instid0(VALU_DEP_1) | instskip(SKIP_4) | instid1(VALU_DEP_1)
	v_mov_b32_e32 v145, v141
	ds_load_b64 v[140:141], v134 offset:488
	v_pk_add_f32 v[14:15], v[14:15], v[144:145] neg_lo:[0,1] neg_hi:[0,1]
	s_wait_dscnt 0x0
	v_pk_mul_f32 v[132:133], v[140:141], v[132:133] op_sel:[0,1]
	v_pk_fma_f32 v[142:143], v[140:141], v[130:131], v[132:133] op_sel:[0,0,1] op_sel_hi:[1,1,0] neg_lo:[0,0,1] neg_hi:[0,0,1]
	v_pk_fma_f32 v[130:131], v[140:141], v[130:131], v[132:133] op_sel:[0,0,1] op_sel_hi:[1,0,0]
	s_delay_alu instid0(VALU_DEP_1) | instskip(NEXT) | instid1(VALU_DEP_1)
	v_mov_b32_e32 v143, v131
	v_pk_add_f32 v[128:129], v[128:129], v[142:143] neg_lo:[0,1] neg_hi:[0,1]
.LBB122_566:
	s_or_b32 exec_lo, exec_lo, s0
	v_lshl_add_u32 v130, v138, 3, v134
	s_barrier_signal -1
	s_barrier_wait -1
	ds_store_b64 v130, v[58:59]
	s_wait_dscnt 0x0
	s_barrier_signal -1
	s_barrier_wait -1
	ds_load_b64 v[132:133], v134 offset:216
	v_mov_b32_e32 v130, 27
	s_cmp_lt_i32 s18, 29
	s_cbranch_scc1 .LBB122_569
; %bb.567:
	v_add3_u32 v131, v135, 0, 0xe0
	v_mov_b32_e32 v130, 27
	s_mov_b32 s0, 28
.LBB122_568:                            ; =>This Inner Loop Header: Depth=1
	ds_load_b64 v[140:141], v131
	s_wait_dscnt 0x1
	v_cmp_gt_f32_e32 vcc_lo, 0, v132
	v_cndmask_b32_e64 v142, v132, -v132, vcc_lo
	v_cmp_gt_f32_e32 vcc_lo, 0, v133
	v_cndmask_b32_e64 v144, v133, -v133, vcc_lo
	s_wait_dscnt 0x0
	v_cmp_gt_f32_e32 vcc_lo, 0, v140
	v_cndmask_b32_e64 v143, v140, -v140, vcc_lo
	v_cmp_gt_f32_e32 vcc_lo, 0, v141
	v_cndmask_b32_e64 v145, v141, -v141, vcc_lo
	s_delay_alu instid0(VALU_DEP_1) | instskip(NEXT) | instid1(VALU_DEP_1)
	v_pk_add_f32 v[142:143], v[142:143], v[144:145]
	v_cmp_lt_f32_e32 vcc_lo, v142, v143
	v_dual_add_nc_u32 v131, 8, v131 :: v_dual_cndmask_b32 v133, v133, v141, vcc_lo
	v_cndmask_b32_e32 v132, v132, v140, vcc_lo
	v_cndmask_b32_e64 v130, v130, s0, vcc_lo
	s_add_co_i32 s0, s0, 1
	s_delay_alu instid0(SALU_CYCLE_1)
	s_cmp_lg_u32 s18, s0
	s_cbranch_scc1 .LBB122_568
.LBB122_569:
	s_wait_dscnt 0x0
	v_cmp_eq_f32_e32 vcc_lo, 0, v132
	v_cmp_eq_f32_e64 s0, 0, v133
	s_and_b32 s0, vcc_lo, s0
	s_delay_alu instid0(SALU_CYCLE_1) | instskip(NEXT) | instid1(SALU_CYCLE_1)
	s_and_saveexec_b32 s1, s0
	s_xor_b32 s0, exec_lo, s1
; %bb.570:
	v_cmp_ne_u32_e32 vcc_lo, 0, v136
	v_cndmask_b32_e32 v136, 28, v136, vcc_lo
; %bb.571:
	s_and_not1_saveexec_b32 s0, s0
	s_cbranch_execz .LBB122_577
; %bb.572:
	v_cmp_ngt_f32_e64 s1, |v132|, |v133|
	s_and_saveexec_b32 s12, s1
	s_delay_alu instid0(SALU_CYCLE_1)
	s_xor_b32 s1, exec_lo, s12
	s_cbranch_execz .LBB122_574
; %bb.573:
	v_div_scale_f32 v131, null, v133, v133, v132
	v_div_scale_f32 v141, vcc_lo, v132, v133, v132
	s_delay_alu instid0(VALU_DEP_2) | instskip(SKIP_1) | instid1(TRANS32_DEP_1)
	v_rcp_f32_e32 v139, v131
	v_nop
	v_fma_f32 v140, -v131, v139, 1.0
	s_delay_alu instid0(VALU_DEP_1) | instskip(NEXT) | instid1(VALU_DEP_1)
	v_fmac_f32_e32 v139, v140, v139
	v_mul_f32_e32 v140, v141, v139
	s_delay_alu instid0(VALU_DEP_1) | instskip(NEXT) | instid1(VALU_DEP_1)
	v_fma_f32 v142, -v131, v140, v141
	v_fmac_f32_e32 v140, v142, v139
	s_delay_alu instid0(VALU_DEP_1) | instskip(NEXT) | instid1(VALU_DEP_1)
	v_fma_f32 v131, -v131, v140, v141
	v_div_fmas_f32 v131, v131, v139, v140
	s_delay_alu instid0(VALU_DEP_1) | instskip(NEXT) | instid1(VALU_DEP_1)
	v_div_fixup_f32 v131, v131, v133, v132
	v_fmac_f32_e32 v133, v132, v131
	s_delay_alu instid0(VALU_DEP_1) | instskip(SKIP_1) | instid1(VALU_DEP_2)
	v_div_scale_f32 v132, null, v133, v133, 1.0
	v_div_scale_f32 v141, vcc_lo, 1.0, v133, 1.0
	v_rcp_f32_e32 v139, v132
	v_nop
	s_delay_alu instid0(TRANS32_DEP_1) | instskip(NEXT) | instid1(VALU_DEP_1)
	v_fma_f32 v140, -v132, v139, 1.0
	v_fmac_f32_e32 v139, v140, v139
	s_delay_alu instid0(VALU_DEP_1) | instskip(NEXT) | instid1(VALU_DEP_1)
	v_mul_f32_e32 v140, v141, v139
	v_fma_f32 v142, -v132, v140, v141
	s_delay_alu instid0(VALU_DEP_1) | instskip(NEXT) | instid1(VALU_DEP_1)
	v_fmac_f32_e32 v140, v142, v139
	v_fma_f32 v132, -v132, v140, v141
	s_delay_alu instid0(VALU_DEP_1) | instskip(NEXT) | instid1(VALU_DEP_1)
	v_div_fmas_f32 v132, v132, v139, v140
	v_div_fixup_f32 v133, v132, v133, 1.0
	s_delay_alu instid0(VALU_DEP_1)
	v_mul_f32_e32 v132, v131, v133
	v_xor_b32_e32 v133, 0x80000000, v133
.LBB122_574:
	s_and_not1_saveexec_b32 s1, s1
	s_cbranch_execz .LBB122_576
; %bb.575:
	s_delay_alu instid0(VALU_DEP_1) | instskip(SKIP_1) | instid1(VALU_DEP_2)
	v_div_scale_f32 v131, null, v132, v132, v133
	v_div_scale_f32 v141, vcc_lo, v133, v132, v133
	v_rcp_f32_e32 v139, v131
	v_nop
	s_delay_alu instid0(TRANS32_DEP_1) | instskip(NEXT) | instid1(VALU_DEP_1)
	v_fma_f32 v140, -v131, v139, 1.0
	v_fmac_f32_e32 v139, v140, v139
	s_delay_alu instid0(VALU_DEP_1) | instskip(NEXT) | instid1(VALU_DEP_1)
	v_mul_f32_e32 v140, v141, v139
	v_fma_f32 v142, -v131, v140, v141
	s_delay_alu instid0(VALU_DEP_1) | instskip(NEXT) | instid1(VALU_DEP_1)
	v_fmac_f32_e32 v140, v142, v139
	v_fma_f32 v131, -v131, v140, v141
	s_delay_alu instid0(VALU_DEP_1) | instskip(NEXT) | instid1(VALU_DEP_1)
	v_div_fmas_f32 v131, v131, v139, v140
	v_div_fixup_f32 v131, v131, v132, v133
	s_delay_alu instid0(VALU_DEP_1) | instskip(NEXT) | instid1(VALU_DEP_1)
	v_fmac_f32_e32 v132, v133, v131
	v_div_scale_f32 v133, null, v132, v132, 1.0
	s_delay_alu instid0(VALU_DEP_1) | instskip(SKIP_1) | instid1(TRANS32_DEP_1)
	v_rcp_f32_e32 v139, v133
	v_nop
	v_fma_f32 v140, -v133, v139, 1.0
	s_delay_alu instid0(VALU_DEP_1) | instskip(SKIP_1) | instid1(VALU_DEP_1)
	v_fmac_f32_e32 v139, v140, v139
	v_div_scale_f32 v140, vcc_lo, 1.0, v132, 1.0
	v_mul_f32_e32 v141, v140, v139
	s_delay_alu instid0(VALU_DEP_1) | instskip(NEXT) | instid1(VALU_DEP_1)
	v_fma_f32 v142, -v133, v141, v140
	v_fmac_f32_e32 v141, v142, v139
	s_delay_alu instid0(VALU_DEP_1) | instskip(NEXT) | instid1(VALU_DEP_1)
	v_fma_f32 v133, -v133, v141, v140
	v_div_fmas_f32 v133, v133, v139, v141
	s_delay_alu instid0(VALU_DEP_1) | instskip(NEXT) | instid1(VALU_DEP_1)
	v_div_fixup_f32 v132, v133, v132, 1.0
	v_mul_f32_e64 v133, v131, -v132
.LBB122_576:
	s_or_b32 exec_lo, exec_lo, s1
.LBB122_577:
	s_delay_alu instid0(SALU_CYCLE_1) | instskip(NEXT) | instid1(SALU_CYCLE_1)
	s_or_b32 exec_lo, exec_lo, s0
	s_mov_b32 s0, exec_lo
	v_cmpx_ne_u32_e64 v138, v130
	s_xor_b32 s0, exec_lo, s0
	s_cbranch_execz .LBB122_583
; %bb.578:
	s_mov_b32 s1, exec_lo
	v_cmpx_eq_u32_e32 27, v138
	s_cbranch_execz .LBB122_582
; %bb.579:
	v_cmp_ne_u32_e32 vcc_lo, 27, v130
	s_xor_b32 s12, s16, -1
	s_delay_alu instid0(SALU_CYCLE_1) | instskip(NEXT) | instid1(SALU_CYCLE_1)
	s_and_b32 s13, s12, vcc_lo
	s_and_saveexec_b32 s12, s13
	s_cbranch_execz .LBB122_581
; %bb.580:
	v_ashrrev_i32_e32 v131, 31, v130
	s_delay_alu instid0(VALU_DEP_1)
	v_lshl_add_u64 v[138:139], v[130:131], 2, v[4:5]
	s_clause 0x1
	global_load_b32 v131, v[138:139], off
	global_load_b32 v137, v[4:5], off offset:108
	s_wait_loadcnt 0x1
	global_store_b32 v[4:5], v131, off offset:108
	s_wait_loadcnt 0x0
	global_store_b32 v[138:139], v137, off
.LBB122_581:
	s_wait_xcnt 0x0
	s_or_b32 exec_lo, exec_lo, s12
	v_dual_mov_b32 v138, v130 :: v_dual_mov_b32 v137, v130
.LBB122_582:
	s_or_b32 exec_lo, exec_lo, s1
.LBB122_583:
	s_and_not1_saveexec_b32 s0, s0
	s_cbranch_execz .LBB122_585
; %bb.584:
	v_dual_mov_b32 v130, v106 :: v_dual_mov_b32 v131, v107
	v_dual_mov_b32 v138, v54 :: v_dual_mov_b32 v139, v55
	;; [unrolled: 1-line block ×12, first 2 shown]
	ds_store_2addr_b64 v134, v[130:131], v[138:139] offset0:28 offset1:29
	ds_store_2addr_b64 v134, v[140:141], v[142:143] offset0:30 offset1:31
	;; [unrolled: 1-line block ×6, first 2 shown]
	v_dual_mov_b32 v130, v100 :: v_dual_mov_b32 v131, v101
	v_dual_mov_b32 v138, v32 :: v_dual_mov_b32 v139, v33
	;; [unrolled: 1-line block ×12, first 2 shown]
	ds_store_2addr_b64 v134, v[130:131], v[138:139] offset0:40 offset1:41
	ds_store_2addr_b64 v134, v[140:141], v[142:143] offset0:42 offset1:43
	ds_store_2addr_b64 v134, v[144:145], v[146:147] offset0:44 offset1:45
	ds_store_2addr_b64 v134, v[148:149], v[150:151] offset0:46 offset1:47
	ds_store_2addr_b64 v134, v[152:153], v[154:155] offset0:48 offset1:49
	ds_store_2addr_b64 v134, v[156:157], v[158:159] offset0:50 offset1:51
	v_dual_mov_b32 v130, v86 :: v_dual_mov_b32 v131, v87
	v_dual_mov_b32 v140, v10 :: v_dual_mov_b32 v141, v11
	;; [unrolled: 1-line block ×9, first 2 shown]
	v_mov_b32_e32 v155, v15
	ds_store_2addr_b64 v134, v[130:131], v[140:141] offset0:52 offset1:53
	ds_store_2addr_b64 v134, v[142:143], v[144:145] offset0:54 offset1:55
	;; [unrolled: 1-line block ×5, first 2 shown]
.LBB122_585:
	s_or_b32 exec_lo, exec_lo, s0
	s_delay_alu instid0(SALU_CYCLE_1)
	s_mov_b32 s0, exec_lo
	s_wait_storecnt_dscnt 0x0
	s_barrier_signal -1
	s_barrier_wait -1
	v_cmpx_lt_i32_e32 27, v138
	s_cbranch_execz .LBB122_587
; %bb.586:
	v_pk_mul_f32 v[140:141], v[132:133], v[58:59] op_sel:[1,1] op_sel_hi:[0,1]
	s_delay_alu instid0(VALU_DEP_1)
	v_pk_fma_f32 v[130:131], v[132:133], v[58:59], v[140:141] op_sel_hi:[1,0,1] neg_lo:[0,0,1] neg_hi:[0,0,1]
	v_pk_fma_f32 v[132:133], v[132:133], v[58:59], v[140:141] op_sel_hi:[1,0,1]
	ds_load_2addr_b64 v[140:143], v134 offset0:28 offset1:29
	v_dual_mov_b32 v58, v130 :: v_dual_mov_b32 v59, v133
	s_wait_dscnt 0x0
	v_pk_mul_f32 v[144:145], v[140:141], v[132:133] op_sel:[0,1]
	s_delay_alu instid0(VALU_DEP_1) | instskip(SKIP_1) | instid1(VALU_DEP_1)
	v_pk_fma_f32 v[146:147], v[140:141], v[130:131], v[144:145] op_sel:[0,0,1] op_sel_hi:[1,1,0] neg_lo:[0,0,1] neg_hi:[0,0,1]
	v_pk_fma_f32 v[140:141], v[140:141], v[130:131], v[144:145] op_sel:[0,0,1] op_sel_hi:[1,0,0]
	v_mov_b32_e32 v147, v141
	v_pk_mul_f32 v[140:141], v[142:143], v[132:133] op_sel:[0,1]
	s_delay_alu instid0(VALU_DEP_1) | instskip(SKIP_1) | instid1(VALU_DEP_1)
	v_pk_fma_f32 v[144:145], v[142:143], v[130:131], v[140:141] op_sel:[0,0,1] op_sel_hi:[1,1,0] neg_lo:[0,0,1] neg_hi:[0,0,1]
	v_pk_fma_f32 v[140:141], v[142:143], v[130:131], v[140:141] op_sel:[0,0,1] op_sel_hi:[1,0,0]
	v_mov_b32_e32 v145, v141
	ds_load_2addr_b64 v[140:143], v134 offset0:30 offset1:31
	v_pk_add_f32 v[106:107], v[106:107], v[146:147] neg_lo:[0,1] neg_hi:[0,1]
	v_pk_add_f32 v[54:55], v[54:55], v[144:145] neg_lo:[0,1] neg_hi:[0,1]
	s_wait_dscnt 0x0
	v_pk_mul_f32 v[144:145], v[140:141], v[132:133] op_sel:[0,1]
	s_delay_alu instid0(VALU_DEP_1) | instskip(SKIP_2) | instid1(VALU_DEP_2)
	v_pk_fma_f32 v[146:147], v[140:141], v[130:131], v[144:145] op_sel:[0,0,1] op_sel_hi:[1,1,0] neg_lo:[0,0,1] neg_hi:[0,0,1]
	v_pk_fma_f32 v[140:141], v[140:141], v[130:131], v[144:145] op_sel:[0,0,1] op_sel_hi:[1,0,0]
	v_dual_mul_f32 v144, v143, v133 :: v_dual_mov_b32 v140, v143
	v_dual_mov_b32 v147, v141 :: v_dual_mov_b32 v141, v142
	s_delay_alu instid0(VALU_DEP_2) | instskip(SKIP_1) | instid1(VALU_DEP_3)
	v_pk_fma_f32 v[144:145], v[142:143], v[58:59], v[144:145] op_sel_hi:[1,1,0] neg_lo:[0,0,1] neg_hi:[0,0,1]
	v_mul_f32_e32 v142, v143, v130
	v_pk_add_f32 v[56:57], v[56:57], v[146:147] neg_lo:[0,1] neg_hi:[0,1]
	s_delay_alu instid0(VALU_DEP_2) | instskip(NEXT) | instid1(VALU_DEP_1)
	v_pk_fma_f32 v[140:141], v[140:141], v[58:59], v[142:143] op_sel_hi:[1,1,0]
	v_mov_b32_e32 v145, v141
	ds_load_2addr_b64 v[140:143], v134 offset0:32 offset1:33
	v_pk_add_f32 v[52:53], v[52:53], v[144:145] neg_lo:[0,1] neg_hi:[0,1]
	s_wait_dscnt 0x0
	v_pk_mul_f32 v[144:145], v[140:141], v[132:133] op_sel:[0,1]
	s_delay_alu instid0(VALU_DEP_1) | instskip(SKIP_1) | instid1(VALU_DEP_1)
	v_pk_fma_f32 v[146:147], v[140:141], v[130:131], v[144:145] op_sel:[0,0,1] op_sel_hi:[1,1,0] neg_lo:[0,0,1] neg_hi:[0,0,1]
	v_pk_fma_f32 v[140:141], v[140:141], v[130:131], v[144:145] op_sel:[0,0,1] op_sel_hi:[1,0,0]
	v_mov_b32_e32 v147, v141
	v_pk_mul_f32 v[140:141], v[142:143], v[132:133] op_sel:[0,1]
	s_delay_alu instid0(VALU_DEP_1) | instskip(SKIP_1) | instid1(VALU_DEP_1)
	v_pk_fma_f32 v[144:145], v[142:143], v[130:131], v[140:141] op_sel:[0,0,1] op_sel_hi:[1,1,0] neg_lo:[0,0,1] neg_hi:[0,0,1]
	v_pk_fma_f32 v[140:141], v[142:143], v[130:131], v[140:141] op_sel:[0,0,1] op_sel_hi:[1,0,0]
	v_mov_b32_e32 v145, v141
	ds_load_2addr_b64 v[140:143], v134 offset0:34 offset1:35
	v_pk_add_f32 v[104:105], v[104:105], v[146:147] neg_lo:[0,1] neg_hi:[0,1]
	v_pk_add_f32 v[48:49], v[48:49], v[144:145] neg_lo:[0,1] neg_hi:[0,1]
	s_wait_dscnt 0x0
	v_pk_mul_f32 v[144:145], v[140:141], v[132:133] op_sel:[0,1]
	s_delay_alu instid0(VALU_DEP_1) | instskip(SKIP_1) | instid1(VALU_DEP_1)
	v_pk_fma_f32 v[146:147], v[140:141], v[130:131], v[144:145] op_sel:[0,0,1] op_sel_hi:[1,1,0] neg_lo:[0,0,1] neg_hi:[0,0,1]
	v_pk_fma_f32 v[140:141], v[140:141], v[130:131], v[144:145] op_sel:[0,0,1] op_sel_hi:[1,0,0]
	v_mov_b32_e32 v147, v141
	v_pk_mul_f32 v[140:141], v[142:143], v[132:133] op_sel:[0,1]
	s_delay_alu instid0(VALU_DEP_1) | instskip(SKIP_1) | instid1(VALU_DEP_1)
	v_pk_fma_f32 v[144:145], v[142:143], v[130:131], v[140:141] op_sel:[0,0,1] op_sel_hi:[1,1,0] neg_lo:[0,0,1] neg_hi:[0,0,1]
	v_pk_fma_f32 v[140:141], v[142:143], v[130:131], v[140:141] op_sel:[0,0,1] op_sel_hi:[1,0,0]
	v_mov_b32_e32 v145, v141
	ds_load_2addr_b64 v[140:143], v134 offset0:36 offset1:37
	v_pk_add_f32 v[50:51], v[50:51], v[146:147] neg_lo:[0,1] neg_hi:[0,1]
	v_pk_add_f32 v[46:47], v[46:47], v[144:145] neg_lo:[0,1] neg_hi:[0,1]
	s_wait_dscnt 0x0
	v_dual_mul_f32 v144, v141, v133 :: v_dual_mul_f32 v146, v141, v130
	s_delay_alu instid0(VALU_DEP_1) | instskip(NEXT) | instid1(VALU_DEP_2)
	v_pk_fma_f32 v[144:145], v[140:141], v[58:59], v[144:145] op_sel_hi:[1,1,0] neg_lo:[0,0,1] neg_hi:[0,0,1]
	v_pk_fma_f32 v[140:141], v[140:141], v[58:59], v[146:147] op_sel:[1,0,0] op_sel_hi:[0,1,0]
	s_delay_alu instid0(VALU_DEP_1) | instskip(SKIP_1) | instid1(VALU_DEP_2)
	v_mov_b32_e32 v145, v141
	v_pk_mul_f32 v[140:141], v[142:143], v[132:133] op_sel:[0,1]
	v_pk_add_f32 v[102:103], v[102:103], v[144:145] neg_lo:[0,1] neg_hi:[0,1]
	s_delay_alu instid0(VALU_DEP_2) | instskip(SKIP_1) | instid1(VALU_DEP_1)
	v_pk_fma_f32 v[144:145], v[142:143], v[130:131], v[140:141] op_sel:[0,0,1] op_sel_hi:[1,1,0] neg_lo:[0,0,1] neg_hi:[0,0,1]
	v_pk_fma_f32 v[140:141], v[142:143], v[130:131], v[140:141] op_sel:[0,0,1] op_sel_hi:[1,0,0]
	v_mov_b32_e32 v145, v141
	ds_load_2addr_b64 v[140:143], v134 offset0:38 offset1:39
	v_pk_add_f32 v[40:41], v[40:41], v[144:145] neg_lo:[0,1] neg_hi:[0,1]
	s_wait_dscnt 0x0
	v_pk_mul_f32 v[144:145], v[140:141], v[132:133] op_sel:[0,1]
	s_delay_alu instid0(VALU_DEP_1) | instskip(SKIP_1) | instid1(VALU_DEP_1)
	v_pk_fma_f32 v[146:147], v[140:141], v[130:131], v[144:145] op_sel:[0,0,1] op_sel_hi:[1,1,0] neg_lo:[0,0,1] neg_hi:[0,0,1]
	v_pk_fma_f32 v[140:141], v[140:141], v[130:131], v[144:145] op_sel:[0,0,1] op_sel_hi:[1,0,0]
	v_mov_b32_e32 v147, v141
	v_pk_mul_f32 v[140:141], v[142:143], v[132:133] op_sel:[0,1]
	s_delay_alu instid0(VALU_DEP_2) | instskip(NEXT) | instid1(VALU_DEP_2)
	v_pk_add_f32 v[42:43], v[42:43], v[146:147] neg_lo:[0,1] neg_hi:[0,1]
	v_pk_fma_f32 v[144:145], v[142:143], v[130:131], v[140:141] op_sel:[0,0,1] op_sel_hi:[1,1,0] neg_lo:[0,0,1] neg_hi:[0,0,1]
	v_pk_fma_f32 v[140:141], v[142:143], v[130:131], v[140:141] op_sel:[0,0,1] op_sel_hi:[1,0,0]
	s_delay_alu instid0(VALU_DEP_1) | instskip(SKIP_4) | instid1(VALU_DEP_1)
	v_mov_b32_e32 v145, v141
	ds_load_2addr_b64 v[140:143], v134 offset0:40 offset1:41
	v_pk_add_f32 v[38:39], v[38:39], v[144:145] neg_lo:[0,1] neg_hi:[0,1]
	s_wait_dscnt 0x0
	v_pk_mul_f32 v[144:145], v[140:141], v[132:133] op_sel:[0,1]
	v_pk_fma_f32 v[146:147], v[140:141], v[130:131], v[144:145] op_sel:[0,0,1] op_sel_hi:[1,1,0] neg_lo:[0,0,1] neg_hi:[0,0,1]
	v_pk_fma_f32 v[140:141], v[140:141], v[130:131], v[144:145] op_sel:[0,0,1] op_sel_hi:[1,0,0]
	v_dual_mul_f32 v144, v143, v133 :: v_dual_mov_b32 v140, v143
	s_delay_alu instid0(VALU_DEP_2) | instskip(NEXT) | instid1(VALU_DEP_2)
	v_dual_mov_b32 v147, v141 :: v_dual_mov_b32 v141, v142
	v_pk_fma_f32 v[144:145], v[142:143], v[58:59], v[144:145] op_sel_hi:[1,1,0] neg_lo:[0,0,1] neg_hi:[0,0,1]
	v_mul_f32_e32 v142, v143, v130
	s_delay_alu instid0(VALU_DEP_3) | instskip(NEXT) | instid1(VALU_DEP_2)
	v_pk_add_f32 v[100:101], v[100:101], v[146:147] neg_lo:[0,1] neg_hi:[0,1]
	v_pk_fma_f32 v[140:141], v[140:141], v[58:59], v[142:143] op_sel_hi:[1,1,0]
	s_delay_alu instid0(VALU_DEP_1) | instskip(SKIP_4) | instid1(VALU_DEP_1)
	v_mov_b32_e32 v145, v141
	ds_load_2addr_b64 v[140:143], v134 offset0:42 offset1:43
	v_pk_add_f32 v[32:33], v[32:33], v[144:145] neg_lo:[0,1] neg_hi:[0,1]
	s_wait_dscnt 0x0
	v_pk_mul_f32 v[144:145], v[140:141], v[132:133] op_sel:[0,1]
	v_pk_fma_f32 v[146:147], v[140:141], v[130:131], v[144:145] op_sel:[0,0,1] op_sel_hi:[1,1,0] neg_lo:[0,0,1] neg_hi:[0,0,1]
	v_pk_fma_f32 v[140:141], v[140:141], v[130:131], v[144:145] op_sel:[0,0,1] op_sel_hi:[1,0,0]
	s_delay_alu instid0(VALU_DEP_1) | instskip(SKIP_1) | instid1(VALU_DEP_1)
	v_mov_b32_e32 v147, v141
	v_pk_mul_f32 v[140:141], v[142:143], v[132:133] op_sel:[0,1]
	v_pk_fma_f32 v[144:145], v[142:143], v[130:131], v[140:141] op_sel:[0,0,1] op_sel_hi:[1,1,0] neg_lo:[0,0,1] neg_hi:[0,0,1]
	v_pk_fma_f32 v[140:141], v[142:143], v[130:131], v[140:141] op_sel:[0,0,1] op_sel_hi:[1,0,0]
	s_delay_alu instid0(VALU_DEP_1)
	v_mov_b32_e32 v145, v141
	ds_load_2addr_b64 v[140:143], v134 offset0:44 offset1:45
	v_pk_add_f32 v[34:35], v[34:35], v[146:147] neg_lo:[0,1] neg_hi:[0,1]
	v_pk_add_f32 v[30:31], v[30:31], v[144:145] neg_lo:[0,1] neg_hi:[0,1]
	s_wait_dscnt 0x0
	v_pk_mul_f32 v[144:145], v[140:141], v[132:133] op_sel:[0,1]
	s_delay_alu instid0(VALU_DEP_1) | instskip(SKIP_1) | instid1(VALU_DEP_1)
	v_pk_fma_f32 v[146:147], v[140:141], v[130:131], v[144:145] op_sel:[0,0,1] op_sel_hi:[1,1,0] neg_lo:[0,0,1] neg_hi:[0,0,1]
	v_pk_fma_f32 v[140:141], v[140:141], v[130:131], v[144:145] op_sel:[0,0,1] op_sel_hi:[1,0,0]
	v_mov_b32_e32 v147, v141
	v_pk_mul_f32 v[140:141], v[142:143], v[132:133] op_sel:[0,1]
	s_delay_alu instid0(VALU_DEP_1) | instskip(SKIP_1) | instid1(VALU_DEP_1)
	v_pk_fma_f32 v[144:145], v[142:143], v[130:131], v[140:141] op_sel:[0,0,1] op_sel_hi:[1,1,0] neg_lo:[0,0,1] neg_hi:[0,0,1]
	v_pk_fma_f32 v[140:141], v[142:143], v[130:131], v[140:141] op_sel:[0,0,1] op_sel_hi:[1,0,0]
	v_mov_b32_e32 v145, v141
	ds_load_2addr_b64 v[140:143], v134 offset0:46 offset1:47
	v_pk_add_f32 v[98:99], v[98:99], v[146:147] neg_lo:[0,1] neg_hi:[0,1]
	v_pk_add_f32 v[24:25], v[24:25], v[144:145] neg_lo:[0,1] neg_hi:[0,1]
	s_wait_dscnt 0x0
	v_dual_mul_f32 v144, v141, v133 :: v_dual_mul_f32 v146, v141, v130
	s_delay_alu instid0(VALU_DEP_1) | instskip(NEXT) | instid1(VALU_DEP_2)
	v_pk_fma_f32 v[144:145], v[140:141], v[58:59], v[144:145] op_sel_hi:[1,1,0] neg_lo:[0,0,1] neg_hi:[0,0,1]
	v_pk_fma_f32 v[140:141], v[140:141], v[58:59], v[146:147] op_sel:[1,0,0] op_sel_hi:[0,1,0]
	s_delay_alu instid0(VALU_DEP_1) | instskip(SKIP_1) | instid1(VALU_DEP_2)
	v_mov_b32_e32 v145, v141
	v_pk_mul_f32 v[140:141], v[142:143], v[132:133] op_sel:[0,1]
	v_pk_add_f32 v[28:29], v[28:29], v[144:145] neg_lo:[0,1] neg_hi:[0,1]
	s_delay_alu instid0(VALU_DEP_2) | instskip(SKIP_1) | instid1(VALU_DEP_1)
	v_pk_fma_f32 v[144:145], v[142:143], v[130:131], v[140:141] op_sel:[0,0,1] op_sel_hi:[1,1,0] neg_lo:[0,0,1] neg_hi:[0,0,1]
	v_pk_fma_f32 v[140:141], v[142:143], v[130:131], v[140:141] op_sel:[0,0,1] op_sel_hi:[1,0,0]
	v_mov_b32_e32 v145, v141
	ds_load_2addr_b64 v[140:143], v134 offset0:48 offset1:49
	v_pk_add_f32 v[22:23], v[22:23], v[144:145] neg_lo:[0,1] neg_hi:[0,1]
	s_wait_dscnt 0x0
	v_pk_mul_f32 v[144:145], v[140:141], v[132:133] op_sel:[0,1]
	s_delay_alu instid0(VALU_DEP_1) | instskip(SKIP_1) | instid1(VALU_DEP_1)
	v_pk_fma_f32 v[146:147], v[140:141], v[130:131], v[144:145] op_sel:[0,0,1] op_sel_hi:[1,1,0] neg_lo:[0,0,1] neg_hi:[0,0,1]
	v_pk_fma_f32 v[140:141], v[140:141], v[130:131], v[144:145] op_sel:[0,0,1] op_sel_hi:[1,0,0]
	v_mov_b32_e32 v147, v141
	v_pk_mul_f32 v[140:141], v[142:143], v[132:133] op_sel:[0,1]
	s_delay_alu instid0(VALU_DEP_2) | instskip(NEXT) | instid1(VALU_DEP_2)
	v_pk_add_f32 v[96:97], v[96:97], v[146:147] neg_lo:[0,1] neg_hi:[0,1]
	v_pk_fma_f32 v[144:145], v[142:143], v[130:131], v[140:141] op_sel:[0,0,1] op_sel_hi:[1,1,0] neg_lo:[0,0,1] neg_hi:[0,0,1]
	v_pk_fma_f32 v[140:141], v[142:143], v[130:131], v[140:141] op_sel:[0,0,1] op_sel_hi:[1,0,0]
	s_delay_alu instid0(VALU_DEP_1) | instskip(SKIP_4) | instid1(VALU_DEP_1)
	v_mov_b32_e32 v145, v141
	ds_load_2addr_b64 v[140:143], v134 offset0:50 offset1:51
	v_pk_add_f32 v[18:19], v[18:19], v[144:145] neg_lo:[0,1] neg_hi:[0,1]
	s_wait_dscnt 0x0
	v_pk_mul_f32 v[144:145], v[140:141], v[132:133] op_sel:[0,1]
	v_pk_fma_f32 v[146:147], v[140:141], v[130:131], v[144:145] op_sel:[0,0,1] op_sel_hi:[1,1,0] neg_lo:[0,0,1] neg_hi:[0,0,1]
	v_pk_fma_f32 v[140:141], v[140:141], v[130:131], v[144:145] op_sel:[0,0,1] op_sel_hi:[1,0,0]
	v_dual_mul_f32 v144, v143, v133 :: v_dual_mov_b32 v140, v143
	s_delay_alu instid0(VALU_DEP_2) | instskip(NEXT) | instid1(VALU_DEP_2)
	v_dual_mov_b32 v147, v141 :: v_dual_mov_b32 v141, v142
	v_pk_fma_f32 v[144:145], v[142:143], v[58:59], v[144:145] op_sel_hi:[1,1,0] neg_lo:[0,0,1] neg_hi:[0,0,1]
	v_mul_f32_e32 v142, v143, v130
	s_delay_alu instid0(VALU_DEP_3) | instskip(NEXT) | instid1(VALU_DEP_2)
	v_pk_add_f32 v[20:21], v[20:21], v[146:147] neg_lo:[0,1] neg_hi:[0,1]
	v_pk_fma_f32 v[140:141], v[140:141], v[58:59], v[142:143] op_sel_hi:[1,1,0]
	s_delay_alu instid0(VALU_DEP_1) | instskip(SKIP_4) | instid1(VALU_DEP_1)
	v_mov_b32_e32 v145, v141
	ds_load_2addr_b64 v[140:143], v134 offset0:52 offset1:53
	v_pk_add_f32 v[36:37], v[36:37], v[144:145] neg_lo:[0,1] neg_hi:[0,1]
	s_wait_dscnt 0x0
	v_pk_mul_f32 v[144:145], v[140:141], v[132:133] op_sel:[0,1]
	v_pk_fma_f32 v[146:147], v[140:141], v[130:131], v[144:145] op_sel:[0,0,1] op_sel_hi:[1,1,0] neg_lo:[0,0,1] neg_hi:[0,0,1]
	v_pk_fma_f32 v[140:141], v[140:141], v[130:131], v[144:145] op_sel:[0,0,1] op_sel_hi:[1,0,0]
	s_delay_alu instid0(VALU_DEP_1) | instskip(SKIP_1) | instid1(VALU_DEP_1)
	v_mov_b32_e32 v147, v141
	v_pk_mul_f32 v[140:141], v[142:143], v[132:133] op_sel:[0,1]
	v_pk_fma_f32 v[144:145], v[142:143], v[130:131], v[140:141] op_sel:[0,0,1] op_sel_hi:[1,1,0] neg_lo:[0,0,1] neg_hi:[0,0,1]
	v_pk_fma_f32 v[140:141], v[142:143], v[130:131], v[140:141] op_sel:[0,0,1] op_sel_hi:[1,0,0]
	s_delay_alu instid0(VALU_DEP_1)
	v_mov_b32_e32 v145, v141
	ds_load_2addr_b64 v[140:143], v134 offset0:54 offset1:55
	v_pk_add_f32 v[86:87], v[86:87], v[146:147] neg_lo:[0,1] neg_hi:[0,1]
	v_pk_add_f32 v[10:11], v[10:11], v[144:145] neg_lo:[0,1] neg_hi:[0,1]
	s_wait_dscnt 0x0
	v_pk_mul_f32 v[144:145], v[140:141], v[132:133] op_sel:[0,1]
	s_delay_alu instid0(VALU_DEP_1) | instskip(SKIP_1) | instid1(VALU_DEP_1)
	v_pk_fma_f32 v[146:147], v[140:141], v[130:131], v[144:145] op_sel:[0,0,1] op_sel_hi:[1,1,0] neg_lo:[0,0,1] neg_hi:[0,0,1]
	v_pk_fma_f32 v[140:141], v[140:141], v[130:131], v[144:145] op_sel:[0,0,1] op_sel_hi:[1,0,0]
	v_mov_b32_e32 v147, v141
	v_pk_mul_f32 v[140:141], v[142:143], v[132:133] op_sel:[0,1]
	s_delay_alu instid0(VALU_DEP_1) | instskip(SKIP_1) | instid1(VALU_DEP_1)
	v_pk_fma_f32 v[144:145], v[142:143], v[130:131], v[140:141] op_sel:[0,0,1] op_sel_hi:[1,1,0] neg_lo:[0,0,1] neg_hi:[0,0,1]
	v_pk_fma_f32 v[140:141], v[142:143], v[130:131], v[140:141] op_sel:[0,0,1] op_sel_hi:[1,0,0]
	v_mov_b32_e32 v145, v141
	ds_load_2addr_b64 v[140:143], v134 offset0:56 offset1:57
	v_pk_add_f32 v[12:13], v[12:13], v[146:147] neg_lo:[0,1] neg_hi:[0,1]
	v_pk_add_f32 v[8:9], v[8:9], v[144:145] neg_lo:[0,1] neg_hi:[0,1]
	s_wait_dscnt 0x0
	v_dual_mul_f32 v144, v141, v133 :: v_dual_mul_f32 v146, v141, v130
	s_delay_alu instid0(VALU_DEP_1) | instskip(NEXT) | instid1(VALU_DEP_2)
	v_pk_fma_f32 v[144:145], v[140:141], v[58:59], v[144:145] op_sel_hi:[1,1,0] neg_lo:[0,0,1] neg_hi:[0,0,1]
	v_pk_fma_f32 v[140:141], v[140:141], v[58:59], v[146:147] op_sel:[1,0,0] op_sel_hi:[0,1,0]
	s_delay_alu instid0(VALU_DEP_1) | instskip(SKIP_1) | instid1(VALU_DEP_2)
	v_mov_b32_e32 v145, v141
	v_pk_mul_f32 v[140:141], v[142:143], v[132:133] op_sel:[0,1]
	v_pk_add_f32 v[44:45], v[44:45], v[144:145] neg_lo:[0,1] neg_hi:[0,1]
	s_delay_alu instid0(VALU_DEP_2) | instskip(SKIP_1) | instid1(VALU_DEP_1)
	v_pk_fma_f32 v[144:145], v[142:143], v[130:131], v[140:141] op_sel:[0,0,1] op_sel_hi:[1,1,0] neg_lo:[0,0,1] neg_hi:[0,0,1]
	v_pk_fma_f32 v[140:141], v[142:143], v[130:131], v[140:141] op_sel:[0,0,1] op_sel_hi:[1,0,0]
	v_mov_b32_e32 v145, v141
	ds_load_2addr_b64 v[140:143], v134 offset0:58 offset1:59
	v_pk_add_f32 v[6:7], v[6:7], v[144:145] neg_lo:[0,1] neg_hi:[0,1]
	s_wait_dscnt 0x0
	v_pk_mul_f32 v[144:145], v[140:141], v[132:133] op_sel:[0,1]
	s_delay_alu instid0(VALU_DEP_1) | instskip(SKIP_1) | instid1(VALU_DEP_1)
	v_pk_fma_f32 v[146:147], v[140:141], v[130:131], v[144:145] op_sel:[0,0,1] op_sel_hi:[1,1,0] neg_lo:[0,0,1] neg_hi:[0,0,1]
	v_pk_fma_f32 v[140:141], v[140:141], v[130:131], v[144:145] op_sel:[0,0,1] op_sel_hi:[1,0,0]
	v_mov_b32_e32 v147, v141
	v_pk_mul_f32 v[140:141], v[142:143], v[132:133] op_sel:[0,1]
	s_delay_alu instid0(VALU_DEP_2) | instskip(NEXT) | instid1(VALU_DEP_2)
	v_pk_add_f32 v[26:27], v[26:27], v[146:147] neg_lo:[0,1] neg_hi:[0,1]
	v_pk_fma_f32 v[144:145], v[142:143], v[130:131], v[140:141] op_sel:[0,0,1] op_sel_hi:[1,1,0] neg_lo:[0,0,1] neg_hi:[0,0,1]
	v_pk_fma_f32 v[140:141], v[142:143], v[130:131], v[140:141] op_sel:[0,0,1] op_sel_hi:[1,0,0]
	s_delay_alu instid0(VALU_DEP_1)
	v_mov_b32_e32 v145, v141
	ds_load_2addr_b64 v[140:143], v134 offset0:60 offset1:61
	v_pk_add_f32 v[16:17], v[16:17], v[144:145] neg_lo:[0,1] neg_hi:[0,1]
	s_wait_dscnt 0x0
	v_pk_mul_f32 v[144:145], v[140:141], v[132:133] op_sel:[0,1]
	v_pk_mul_f32 v[132:133], v[142:143], v[132:133] op_sel:[0,1]
	s_delay_alu instid0(VALU_DEP_2) | instskip(SKIP_1) | instid1(VALU_DEP_1)
	v_pk_fma_f32 v[146:147], v[140:141], v[130:131], v[144:145] op_sel:[0,0,1] op_sel_hi:[1,1,0] neg_lo:[0,0,1] neg_hi:[0,0,1]
	v_pk_fma_f32 v[140:141], v[140:141], v[130:131], v[144:145] op_sel:[0,0,1] op_sel_hi:[1,0,0]
	v_mov_b32_e32 v147, v141
	s_delay_alu instid0(VALU_DEP_4) | instskip(SKIP_1) | instid1(VALU_DEP_3)
	v_pk_fma_f32 v[140:141], v[142:143], v[130:131], v[132:133] op_sel:[0,0,1] op_sel_hi:[1,1,0] neg_lo:[0,0,1] neg_hi:[0,0,1]
	v_pk_fma_f32 v[130:131], v[142:143], v[130:131], v[132:133] op_sel:[0,0,1] op_sel_hi:[1,0,0]
	v_pk_add_f32 v[14:15], v[14:15], v[146:147] neg_lo:[0,1] neg_hi:[0,1]
	s_delay_alu instid0(VALU_DEP_2) | instskip(NEXT) | instid1(VALU_DEP_1)
	v_mov_b32_e32 v141, v131
	v_pk_add_f32 v[128:129], v[128:129], v[140:141] neg_lo:[0,1] neg_hi:[0,1]
.LBB122_587:
	s_or_b32 exec_lo, exec_lo, s0
	v_lshl_add_u32 v130, v138, 3, v134
	s_barrier_signal -1
	s_barrier_wait -1
	ds_store_b64 v130, v[106:107]
	s_wait_dscnt 0x0
	s_barrier_signal -1
	s_barrier_wait -1
	ds_load_b64 v[132:133], v134 offset:224
	v_mov_b32_e32 v130, 28
	s_cmp_lt_i32 s18, 30
	s_cbranch_scc1 .LBB122_590
; %bb.588:
	v_add3_u32 v131, v135, 0, 0xe8
	v_mov_b32_e32 v130, 28
	s_mov_b32 s0, 29
.LBB122_589:                            ; =>This Inner Loop Header: Depth=1
	ds_load_b64 v[140:141], v131
	s_wait_dscnt 0x1
	v_cmp_gt_f32_e32 vcc_lo, 0, v132
	v_cndmask_b32_e64 v142, v132, -v132, vcc_lo
	v_cmp_gt_f32_e32 vcc_lo, 0, v133
	v_cndmask_b32_e64 v144, v133, -v133, vcc_lo
	s_wait_dscnt 0x0
	v_cmp_gt_f32_e32 vcc_lo, 0, v140
	v_cndmask_b32_e64 v143, v140, -v140, vcc_lo
	v_cmp_gt_f32_e32 vcc_lo, 0, v141
	v_cndmask_b32_e64 v145, v141, -v141, vcc_lo
	s_delay_alu instid0(VALU_DEP_1) | instskip(NEXT) | instid1(VALU_DEP_1)
	v_pk_add_f32 v[142:143], v[142:143], v[144:145]
	v_cmp_lt_f32_e32 vcc_lo, v142, v143
	v_dual_add_nc_u32 v131, 8, v131 :: v_dual_cndmask_b32 v133, v133, v141, vcc_lo
	v_cndmask_b32_e32 v132, v132, v140, vcc_lo
	v_cndmask_b32_e64 v130, v130, s0, vcc_lo
	s_add_co_i32 s0, s0, 1
	s_delay_alu instid0(SALU_CYCLE_1)
	s_cmp_lg_u32 s18, s0
	s_cbranch_scc1 .LBB122_589
.LBB122_590:
	s_wait_dscnt 0x0
	v_cmp_eq_f32_e32 vcc_lo, 0, v132
	v_cmp_eq_f32_e64 s0, 0, v133
	s_and_b32 s0, vcc_lo, s0
	s_delay_alu instid0(SALU_CYCLE_1) | instskip(NEXT) | instid1(SALU_CYCLE_1)
	s_and_saveexec_b32 s1, s0
	s_xor_b32 s0, exec_lo, s1
; %bb.591:
	v_cmp_ne_u32_e32 vcc_lo, 0, v136
	v_cndmask_b32_e32 v136, 29, v136, vcc_lo
; %bb.592:
	s_and_not1_saveexec_b32 s0, s0
	s_cbranch_execz .LBB122_598
; %bb.593:
	v_cmp_ngt_f32_e64 s1, |v132|, |v133|
	s_and_saveexec_b32 s12, s1
	s_delay_alu instid0(SALU_CYCLE_1)
	s_xor_b32 s1, exec_lo, s12
	s_cbranch_execz .LBB122_595
; %bb.594:
	v_div_scale_f32 v131, null, v133, v133, v132
	v_div_scale_f32 v141, vcc_lo, v132, v133, v132
	s_delay_alu instid0(VALU_DEP_2) | instskip(SKIP_1) | instid1(TRANS32_DEP_1)
	v_rcp_f32_e32 v139, v131
	v_nop
	v_fma_f32 v140, -v131, v139, 1.0
	s_delay_alu instid0(VALU_DEP_1) | instskip(NEXT) | instid1(VALU_DEP_1)
	v_fmac_f32_e32 v139, v140, v139
	v_mul_f32_e32 v140, v141, v139
	s_delay_alu instid0(VALU_DEP_1) | instskip(NEXT) | instid1(VALU_DEP_1)
	v_fma_f32 v142, -v131, v140, v141
	v_fmac_f32_e32 v140, v142, v139
	s_delay_alu instid0(VALU_DEP_1) | instskip(NEXT) | instid1(VALU_DEP_1)
	v_fma_f32 v131, -v131, v140, v141
	v_div_fmas_f32 v131, v131, v139, v140
	s_delay_alu instid0(VALU_DEP_1) | instskip(NEXT) | instid1(VALU_DEP_1)
	v_div_fixup_f32 v131, v131, v133, v132
	v_fmac_f32_e32 v133, v132, v131
	s_delay_alu instid0(VALU_DEP_1) | instskip(SKIP_1) | instid1(VALU_DEP_2)
	v_div_scale_f32 v132, null, v133, v133, 1.0
	v_div_scale_f32 v141, vcc_lo, 1.0, v133, 1.0
	v_rcp_f32_e32 v139, v132
	v_nop
	s_delay_alu instid0(TRANS32_DEP_1) | instskip(NEXT) | instid1(VALU_DEP_1)
	v_fma_f32 v140, -v132, v139, 1.0
	v_fmac_f32_e32 v139, v140, v139
	s_delay_alu instid0(VALU_DEP_1) | instskip(NEXT) | instid1(VALU_DEP_1)
	v_mul_f32_e32 v140, v141, v139
	v_fma_f32 v142, -v132, v140, v141
	s_delay_alu instid0(VALU_DEP_1) | instskip(NEXT) | instid1(VALU_DEP_1)
	v_fmac_f32_e32 v140, v142, v139
	v_fma_f32 v132, -v132, v140, v141
	s_delay_alu instid0(VALU_DEP_1) | instskip(NEXT) | instid1(VALU_DEP_1)
	v_div_fmas_f32 v132, v132, v139, v140
	v_div_fixup_f32 v133, v132, v133, 1.0
	s_delay_alu instid0(VALU_DEP_1)
	v_mul_f32_e32 v132, v131, v133
	v_xor_b32_e32 v133, 0x80000000, v133
.LBB122_595:
	s_and_not1_saveexec_b32 s1, s1
	s_cbranch_execz .LBB122_597
; %bb.596:
	s_delay_alu instid0(VALU_DEP_1) | instskip(SKIP_1) | instid1(VALU_DEP_2)
	v_div_scale_f32 v131, null, v132, v132, v133
	v_div_scale_f32 v141, vcc_lo, v133, v132, v133
	v_rcp_f32_e32 v139, v131
	v_nop
	s_delay_alu instid0(TRANS32_DEP_1) | instskip(NEXT) | instid1(VALU_DEP_1)
	v_fma_f32 v140, -v131, v139, 1.0
	v_fmac_f32_e32 v139, v140, v139
	s_delay_alu instid0(VALU_DEP_1) | instskip(NEXT) | instid1(VALU_DEP_1)
	v_mul_f32_e32 v140, v141, v139
	v_fma_f32 v142, -v131, v140, v141
	s_delay_alu instid0(VALU_DEP_1) | instskip(NEXT) | instid1(VALU_DEP_1)
	v_fmac_f32_e32 v140, v142, v139
	v_fma_f32 v131, -v131, v140, v141
	s_delay_alu instid0(VALU_DEP_1) | instskip(NEXT) | instid1(VALU_DEP_1)
	v_div_fmas_f32 v131, v131, v139, v140
	v_div_fixup_f32 v131, v131, v132, v133
	s_delay_alu instid0(VALU_DEP_1) | instskip(NEXT) | instid1(VALU_DEP_1)
	v_fmac_f32_e32 v132, v133, v131
	v_div_scale_f32 v133, null, v132, v132, 1.0
	s_delay_alu instid0(VALU_DEP_1) | instskip(SKIP_1) | instid1(TRANS32_DEP_1)
	v_rcp_f32_e32 v139, v133
	v_nop
	v_fma_f32 v140, -v133, v139, 1.0
	s_delay_alu instid0(VALU_DEP_1) | instskip(SKIP_1) | instid1(VALU_DEP_1)
	v_fmac_f32_e32 v139, v140, v139
	v_div_scale_f32 v140, vcc_lo, 1.0, v132, 1.0
	v_mul_f32_e32 v141, v140, v139
	s_delay_alu instid0(VALU_DEP_1) | instskip(NEXT) | instid1(VALU_DEP_1)
	v_fma_f32 v142, -v133, v141, v140
	v_fmac_f32_e32 v141, v142, v139
	s_delay_alu instid0(VALU_DEP_1) | instskip(NEXT) | instid1(VALU_DEP_1)
	v_fma_f32 v133, -v133, v141, v140
	v_div_fmas_f32 v133, v133, v139, v141
	s_delay_alu instid0(VALU_DEP_1) | instskip(NEXT) | instid1(VALU_DEP_1)
	v_div_fixup_f32 v132, v133, v132, 1.0
	v_mul_f32_e64 v133, v131, -v132
.LBB122_597:
	s_or_b32 exec_lo, exec_lo, s1
.LBB122_598:
	s_delay_alu instid0(SALU_CYCLE_1) | instskip(NEXT) | instid1(SALU_CYCLE_1)
	s_or_b32 exec_lo, exec_lo, s0
	s_mov_b32 s0, exec_lo
	v_cmpx_ne_u32_e64 v138, v130
	s_xor_b32 s0, exec_lo, s0
	s_cbranch_execz .LBB122_604
; %bb.599:
	s_mov_b32 s1, exec_lo
	v_cmpx_eq_u32_e32 28, v138
	s_cbranch_execz .LBB122_603
; %bb.600:
	v_cmp_ne_u32_e32 vcc_lo, 28, v130
	s_xor_b32 s12, s16, -1
	s_delay_alu instid0(SALU_CYCLE_1) | instskip(NEXT) | instid1(SALU_CYCLE_1)
	s_and_b32 s13, s12, vcc_lo
	s_and_saveexec_b32 s12, s13
	s_cbranch_execz .LBB122_602
; %bb.601:
	v_ashrrev_i32_e32 v131, 31, v130
	s_delay_alu instid0(VALU_DEP_1)
	v_lshl_add_u64 v[138:139], v[130:131], 2, v[4:5]
	s_clause 0x1
	global_load_b32 v131, v[138:139], off
	global_load_b32 v137, v[4:5], off offset:112
	s_wait_loadcnt 0x1
	global_store_b32 v[4:5], v131, off offset:112
	s_wait_loadcnt 0x0
	global_store_b32 v[138:139], v137, off
.LBB122_602:
	s_wait_xcnt 0x0
	s_or_b32 exec_lo, exec_lo, s12
	v_dual_mov_b32 v138, v130 :: v_dual_mov_b32 v137, v130
.LBB122_603:
	s_or_b32 exec_lo, exec_lo, s1
.LBB122_604:
	s_and_not1_saveexec_b32 s0, s0
	s_cbranch_execz .LBB122_606
; %bb.605:
	v_mov_b32_e32 v138, 28
	ds_store_2addr_b64 v134, v[54:55], v[56:57] offset0:29 offset1:30
	ds_store_2addr_b64 v134, v[52:53], v[104:105] offset0:31 offset1:32
	;; [unrolled: 1-line block ×16, first 2 shown]
	ds_store_b64 v134, v[128:129] offset:488
.LBB122_606:
	s_or_b32 exec_lo, exec_lo, s0
	s_delay_alu instid0(SALU_CYCLE_1)
	s_mov_b32 s0, exec_lo
	s_wait_storecnt_dscnt 0x0
	s_barrier_signal -1
	s_barrier_wait -1
	v_cmpx_lt_i32_e32 28, v138
	s_cbranch_execz .LBB122_608
; %bb.607:
	v_pk_mul_f32 v[140:141], v[132:133], v[106:107] op_sel:[1,1] op_sel_hi:[0,1]
	s_delay_alu instid0(VALU_DEP_1)
	v_pk_fma_f32 v[130:131], v[132:133], v[106:107], v[140:141] op_sel_hi:[1,0,1] neg_lo:[0,0,1] neg_hi:[0,0,1]
	v_pk_fma_f32 v[132:133], v[132:133], v[106:107], v[140:141] op_sel_hi:[1,0,1]
	ds_load_2addr_b64 v[140:143], v134 offset0:29 offset1:30
	v_dual_mov_b32 v106, v130 :: v_dual_mov_b32 v107, v133
	s_wait_dscnt 0x0
	v_pk_mul_f32 v[144:145], v[140:141], v[132:133] op_sel:[0,1]
	s_delay_alu instid0(VALU_DEP_1) | instskip(SKIP_1) | instid1(VALU_DEP_1)
	v_pk_fma_f32 v[146:147], v[140:141], v[130:131], v[144:145] op_sel:[0,0,1] op_sel_hi:[1,1,0] neg_lo:[0,0,1] neg_hi:[0,0,1]
	v_pk_fma_f32 v[140:141], v[140:141], v[130:131], v[144:145] op_sel:[0,0,1] op_sel_hi:[1,0,0]
	v_mov_b32_e32 v147, v141
	v_pk_mul_f32 v[140:141], v[142:143], v[132:133] op_sel:[0,1]
	s_delay_alu instid0(VALU_DEP_1) | instskip(SKIP_1) | instid1(VALU_DEP_1)
	v_pk_fma_f32 v[144:145], v[142:143], v[130:131], v[140:141] op_sel:[0,0,1] op_sel_hi:[1,1,0] neg_lo:[0,0,1] neg_hi:[0,0,1]
	v_pk_fma_f32 v[140:141], v[142:143], v[130:131], v[140:141] op_sel:[0,0,1] op_sel_hi:[1,0,0]
	v_mov_b32_e32 v145, v141
	ds_load_2addr_b64 v[140:143], v134 offset0:31 offset1:32
	v_pk_add_f32 v[54:55], v[54:55], v[146:147] neg_lo:[0,1] neg_hi:[0,1]
	v_pk_add_f32 v[56:57], v[56:57], v[144:145] neg_lo:[0,1] neg_hi:[0,1]
	s_wait_dscnt 0x0
	v_pk_mul_f32 v[144:145], v[140:141], v[132:133] op_sel:[0,1]
	s_delay_alu instid0(VALU_DEP_1) | instskip(SKIP_2) | instid1(VALU_DEP_2)
	v_pk_fma_f32 v[146:147], v[140:141], v[130:131], v[144:145] op_sel:[0,0,1] op_sel_hi:[1,1,0] neg_lo:[0,0,1] neg_hi:[0,0,1]
	v_pk_fma_f32 v[140:141], v[140:141], v[130:131], v[144:145] op_sel:[0,0,1] op_sel_hi:[1,0,0]
	v_dual_mul_f32 v144, v143, v133 :: v_dual_mov_b32 v140, v143
	v_dual_mov_b32 v147, v141 :: v_dual_mov_b32 v141, v142
	s_delay_alu instid0(VALU_DEP_2) | instskip(SKIP_1) | instid1(VALU_DEP_3)
	v_pk_fma_f32 v[144:145], v[142:143], v[106:107], v[144:145] op_sel_hi:[1,1,0] neg_lo:[0,0,1] neg_hi:[0,0,1]
	v_mul_f32_e32 v142, v143, v130
	v_pk_add_f32 v[52:53], v[52:53], v[146:147] neg_lo:[0,1] neg_hi:[0,1]
	s_delay_alu instid0(VALU_DEP_2) | instskip(NEXT) | instid1(VALU_DEP_1)
	v_pk_fma_f32 v[140:141], v[140:141], v[106:107], v[142:143] op_sel_hi:[1,1,0]
	v_mov_b32_e32 v145, v141
	ds_load_2addr_b64 v[140:143], v134 offset0:33 offset1:34
	v_pk_add_f32 v[104:105], v[104:105], v[144:145] neg_lo:[0,1] neg_hi:[0,1]
	s_wait_dscnt 0x0
	v_pk_mul_f32 v[144:145], v[140:141], v[132:133] op_sel:[0,1]
	s_delay_alu instid0(VALU_DEP_1) | instskip(SKIP_1) | instid1(VALU_DEP_1)
	v_pk_fma_f32 v[146:147], v[140:141], v[130:131], v[144:145] op_sel:[0,0,1] op_sel_hi:[1,1,0] neg_lo:[0,0,1] neg_hi:[0,0,1]
	v_pk_fma_f32 v[140:141], v[140:141], v[130:131], v[144:145] op_sel:[0,0,1] op_sel_hi:[1,0,0]
	v_mov_b32_e32 v147, v141
	v_pk_mul_f32 v[140:141], v[142:143], v[132:133] op_sel:[0,1]
	s_delay_alu instid0(VALU_DEP_1) | instskip(SKIP_1) | instid1(VALU_DEP_1)
	v_pk_fma_f32 v[144:145], v[142:143], v[130:131], v[140:141] op_sel:[0,0,1] op_sel_hi:[1,1,0] neg_lo:[0,0,1] neg_hi:[0,0,1]
	v_pk_fma_f32 v[140:141], v[142:143], v[130:131], v[140:141] op_sel:[0,0,1] op_sel_hi:[1,0,0]
	v_mov_b32_e32 v145, v141
	ds_load_2addr_b64 v[140:143], v134 offset0:35 offset1:36
	v_pk_add_f32 v[48:49], v[48:49], v[146:147] neg_lo:[0,1] neg_hi:[0,1]
	v_pk_add_f32 v[50:51], v[50:51], v[144:145] neg_lo:[0,1] neg_hi:[0,1]
	s_wait_dscnt 0x0
	v_pk_mul_f32 v[144:145], v[140:141], v[132:133] op_sel:[0,1]
	s_delay_alu instid0(VALU_DEP_1) | instskip(SKIP_1) | instid1(VALU_DEP_1)
	v_pk_fma_f32 v[146:147], v[140:141], v[130:131], v[144:145] op_sel:[0,0,1] op_sel_hi:[1,1,0] neg_lo:[0,0,1] neg_hi:[0,0,1]
	v_pk_fma_f32 v[140:141], v[140:141], v[130:131], v[144:145] op_sel:[0,0,1] op_sel_hi:[1,0,0]
	v_mov_b32_e32 v147, v141
	v_pk_mul_f32 v[140:141], v[142:143], v[132:133] op_sel:[0,1]
	s_delay_alu instid0(VALU_DEP_1) | instskip(SKIP_1) | instid1(VALU_DEP_1)
	v_pk_fma_f32 v[144:145], v[142:143], v[130:131], v[140:141] op_sel:[0,0,1] op_sel_hi:[1,1,0] neg_lo:[0,0,1] neg_hi:[0,0,1]
	v_pk_fma_f32 v[140:141], v[142:143], v[130:131], v[140:141] op_sel:[0,0,1] op_sel_hi:[1,0,0]
	v_mov_b32_e32 v145, v141
	ds_load_2addr_b64 v[140:143], v134 offset0:37 offset1:38
	v_pk_add_f32 v[46:47], v[46:47], v[146:147] neg_lo:[0,1] neg_hi:[0,1]
	v_pk_add_f32 v[102:103], v[102:103], v[144:145] neg_lo:[0,1] neg_hi:[0,1]
	s_wait_dscnt 0x0
	v_dual_mul_f32 v144, v141, v133 :: v_dual_mul_f32 v146, v141, v130
	s_delay_alu instid0(VALU_DEP_1) | instskip(NEXT) | instid1(VALU_DEP_2)
	v_pk_fma_f32 v[144:145], v[140:141], v[106:107], v[144:145] op_sel_hi:[1,1,0] neg_lo:[0,0,1] neg_hi:[0,0,1]
	v_pk_fma_f32 v[140:141], v[140:141], v[106:107], v[146:147] op_sel:[1,0,0] op_sel_hi:[0,1,0]
	s_delay_alu instid0(VALU_DEP_1) | instskip(SKIP_1) | instid1(VALU_DEP_2)
	v_mov_b32_e32 v145, v141
	v_pk_mul_f32 v[140:141], v[142:143], v[132:133] op_sel:[0,1]
	v_pk_add_f32 v[40:41], v[40:41], v[144:145] neg_lo:[0,1] neg_hi:[0,1]
	s_delay_alu instid0(VALU_DEP_2) | instskip(SKIP_1) | instid1(VALU_DEP_1)
	v_pk_fma_f32 v[144:145], v[142:143], v[130:131], v[140:141] op_sel:[0,0,1] op_sel_hi:[1,1,0] neg_lo:[0,0,1] neg_hi:[0,0,1]
	v_pk_fma_f32 v[140:141], v[142:143], v[130:131], v[140:141] op_sel:[0,0,1] op_sel_hi:[1,0,0]
	v_mov_b32_e32 v145, v141
	ds_load_2addr_b64 v[140:143], v134 offset0:39 offset1:40
	v_pk_add_f32 v[42:43], v[42:43], v[144:145] neg_lo:[0,1] neg_hi:[0,1]
	s_wait_dscnt 0x0
	v_pk_mul_f32 v[144:145], v[140:141], v[132:133] op_sel:[0,1]
	s_delay_alu instid0(VALU_DEP_1) | instskip(SKIP_1) | instid1(VALU_DEP_1)
	v_pk_fma_f32 v[146:147], v[140:141], v[130:131], v[144:145] op_sel:[0,0,1] op_sel_hi:[1,1,0] neg_lo:[0,0,1] neg_hi:[0,0,1]
	v_pk_fma_f32 v[140:141], v[140:141], v[130:131], v[144:145] op_sel:[0,0,1] op_sel_hi:[1,0,0]
	v_mov_b32_e32 v147, v141
	v_pk_mul_f32 v[140:141], v[142:143], v[132:133] op_sel:[0,1]
	s_delay_alu instid0(VALU_DEP_2) | instskip(NEXT) | instid1(VALU_DEP_2)
	v_pk_add_f32 v[38:39], v[38:39], v[146:147] neg_lo:[0,1] neg_hi:[0,1]
	v_pk_fma_f32 v[144:145], v[142:143], v[130:131], v[140:141] op_sel:[0,0,1] op_sel_hi:[1,1,0] neg_lo:[0,0,1] neg_hi:[0,0,1]
	v_pk_fma_f32 v[140:141], v[142:143], v[130:131], v[140:141] op_sel:[0,0,1] op_sel_hi:[1,0,0]
	s_delay_alu instid0(VALU_DEP_1) | instskip(SKIP_4) | instid1(VALU_DEP_1)
	v_mov_b32_e32 v145, v141
	ds_load_2addr_b64 v[140:143], v134 offset0:41 offset1:42
	v_pk_add_f32 v[100:101], v[100:101], v[144:145] neg_lo:[0,1] neg_hi:[0,1]
	s_wait_dscnt 0x0
	v_pk_mul_f32 v[144:145], v[140:141], v[132:133] op_sel:[0,1]
	v_pk_fma_f32 v[146:147], v[140:141], v[130:131], v[144:145] op_sel:[0,0,1] op_sel_hi:[1,1,0] neg_lo:[0,0,1] neg_hi:[0,0,1]
	v_pk_fma_f32 v[140:141], v[140:141], v[130:131], v[144:145] op_sel:[0,0,1] op_sel_hi:[1,0,0]
	v_dual_mul_f32 v144, v143, v133 :: v_dual_mov_b32 v140, v143
	s_delay_alu instid0(VALU_DEP_2) | instskip(NEXT) | instid1(VALU_DEP_2)
	v_dual_mov_b32 v147, v141 :: v_dual_mov_b32 v141, v142
	v_pk_fma_f32 v[144:145], v[142:143], v[106:107], v[144:145] op_sel_hi:[1,1,0] neg_lo:[0,0,1] neg_hi:[0,0,1]
	v_mul_f32_e32 v142, v143, v130
	s_delay_alu instid0(VALU_DEP_3) | instskip(NEXT) | instid1(VALU_DEP_2)
	v_pk_add_f32 v[32:33], v[32:33], v[146:147] neg_lo:[0,1] neg_hi:[0,1]
	v_pk_fma_f32 v[140:141], v[140:141], v[106:107], v[142:143] op_sel_hi:[1,1,0]
	s_delay_alu instid0(VALU_DEP_1) | instskip(SKIP_4) | instid1(VALU_DEP_1)
	v_mov_b32_e32 v145, v141
	ds_load_2addr_b64 v[140:143], v134 offset0:43 offset1:44
	v_pk_add_f32 v[34:35], v[34:35], v[144:145] neg_lo:[0,1] neg_hi:[0,1]
	s_wait_dscnt 0x0
	v_pk_mul_f32 v[144:145], v[140:141], v[132:133] op_sel:[0,1]
	v_pk_fma_f32 v[146:147], v[140:141], v[130:131], v[144:145] op_sel:[0,0,1] op_sel_hi:[1,1,0] neg_lo:[0,0,1] neg_hi:[0,0,1]
	v_pk_fma_f32 v[140:141], v[140:141], v[130:131], v[144:145] op_sel:[0,0,1] op_sel_hi:[1,0,0]
	s_delay_alu instid0(VALU_DEP_1) | instskip(SKIP_1) | instid1(VALU_DEP_1)
	v_mov_b32_e32 v147, v141
	v_pk_mul_f32 v[140:141], v[142:143], v[132:133] op_sel:[0,1]
	v_pk_fma_f32 v[144:145], v[142:143], v[130:131], v[140:141] op_sel:[0,0,1] op_sel_hi:[1,1,0] neg_lo:[0,0,1] neg_hi:[0,0,1]
	v_pk_fma_f32 v[140:141], v[142:143], v[130:131], v[140:141] op_sel:[0,0,1] op_sel_hi:[1,0,0]
	s_delay_alu instid0(VALU_DEP_1)
	v_mov_b32_e32 v145, v141
	ds_load_2addr_b64 v[140:143], v134 offset0:45 offset1:46
	v_pk_add_f32 v[30:31], v[30:31], v[146:147] neg_lo:[0,1] neg_hi:[0,1]
	v_pk_add_f32 v[98:99], v[98:99], v[144:145] neg_lo:[0,1] neg_hi:[0,1]
	s_wait_dscnt 0x0
	v_pk_mul_f32 v[144:145], v[140:141], v[132:133] op_sel:[0,1]
	s_delay_alu instid0(VALU_DEP_1) | instskip(SKIP_1) | instid1(VALU_DEP_1)
	v_pk_fma_f32 v[146:147], v[140:141], v[130:131], v[144:145] op_sel:[0,0,1] op_sel_hi:[1,1,0] neg_lo:[0,0,1] neg_hi:[0,0,1]
	v_pk_fma_f32 v[140:141], v[140:141], v[130:131], v[144:145] op_sel:[0,0,1] op_sel_hi:[1,0,0]
	v_mov_b32_e32 v147, v141
	v_pk_mul_f32 v[140:141], v[142:143], v[132:133] op_sel:[0,1]
	s_delay_alu instid0(VALU_DEP_1) | instskip(SKIP_1) | instid1(VALU_DEP_1)
	v_pk_fma_f32 v[144:145], v[142:143], v[130:131], v[140:141] op_sel:[0,0,1] op_sel_hi:[1,1,0] neg_lo:[0,0,1] neg_hi:[0,0,1]
	v_pk_fma_f32 v[140:141], v[142:143], v[130:131], v[140:141] op_sel:[0,0,1] op_sel_hi:[1,0,0]
	v_mov_b32_e32 v145, v141
	ds_load_2addr_b64 v[140:143], v134 offset0:47 offset1:48
	v_pk_add_f32 v[24:25], v[24:25], v[146:147] neg_lo:[0,1] neg_hi:[0,1]
	v_pk_add_f32 v[28:29], v[28:29], v[144:145] neg_lo:[0,1] neg_hi:[0,1]
	s_wait_dscnt 0x0
	v_dual_mul_f32 v144, v141, v133 :: v_dual_mul_f32 v146, v141, v130
	s_delay_alu instid0(VALU_DEP_1) | instskip(NEXT) | instid1(VALU_DEP_2)
	v_pk_fma_f32 v[144:145], v[140:141], v[106:107], v[144:145] op_sel_hi:[1,1,0] neg_lo:[0,0,1] neg_hi:[0,0,1]
	v_pk_fma_f32 v[140:141], v[140:141], v[106:107], v[146:147] op_sel:[1,0,0] op_sel_hi:[0,1,0]
	s_delay_alu instid0(VALU_DEP_1) | instskip(SKIP_1) | instid1(VALU_DEP_2)
	v_mov_b32_e32 v145, v141
	v_pk_mul_f32 v[140:141], v[142:143], v[132:133] op_sel:[0,1]
	v_pk_add_f32 v[22:23], v[22:23], v[144:145] neg_lo:[0,1] neg_hi:[0,1]
	s_delay_alu instid0(VALU_DEP_2) | instskip(SKIP_1) | instid1(VALU_DEP_1)
	v_pk_fma_f32 v[144:145], v[142:143], v[130:131], v[140:141] op_sel:[0,0,1] op_sel_hi:[1,1,0] neg_lo:[0,0,1] neg_hi:[0,0,1]
	v_pk_fma_f32 v[140:141], v[142:143], v[130:131], v[140:141] op_sel:[0,0,1] op_sel_hi:[1,0,0]
	v_mov_b32_e32 v145, v141
	ds_load_2addr_b64 v[140:143], v134 offset0:49 offset1:50
	v_pk_add_f32 v[96:97], v[96:97], v[144:145] neg_lo:[0,1] neg_hi:[0,1]
	s_wait_dscnt 0x0
	v_pk_mul_f32 v[144:145], v[140:141], v[132:133] op_sel:[0,1]
	s_delay_alu instid0(VALU_DEP_1) | instskip(SKIP_1) | instid1(VALU_DEP_1)
	v_pk_fma_f32 v[146:147], v[140:141], v[130:131], v[144:145] op_sel:[0,0,1] op_sel_hi:[1,1,0] neg_lo:[0,0,1] neg_hi:[0,0,1]
	v_pk_fma_f32 v[140:141], v[140:141], v[130:131], v[144:145] op_sel:[0,0,1] op_sel_hi:[1,0,0]
	v_mov_b32_e32 v147, v141
	v_pk_mul_f32 v[140:141], v[142:143], v[132:133] op_sel:[0,1]
	s_delay_alu instid0(VALU_DEP_2) | instskip(NEXT) | instid1(VALU_DEP_2)
	v_pk_add_f32 v[18:19], v[18:19], v[146:147] neg_lo:[0,1] neg_hi:[0,1]
	v_pk_fma_f32 v[144:145], v[142:143], v[130:131], v[140:141] op_sel:[0,0,1] op_sel_hi:[1,1,0] neg_lo:[0,0,1] neg_hi:[0,0,1]
	v_pk_fma_f32 v[140:141], v[142:143], v[130:131], v[140:141] op_sel:[0,0,1] op_sel_hi:[1,0,0]
	s_delay_alu instid0(VALU_DEP_1) | instskip(SKIP_4) | instid1(VALU_DEP_1)
	v_mov_b32_e32 v145, v141
	ds_load_2addr_b64 v[140:143], v134 offset0:51 offset1:52
	v_pk_add_f32 v[20:21], v[20:21], v[144:145] neg_lo:[0,1] neg_hi:[0,1]
	s_wait_dscnt 0x0
	v_pk_mul_f32 v[144:145], v[140:141], v[132:133] op_sel:[0,1]
	v_pk_fma_f32 v[146:147], v[140:141], v[130:131], v[144:145] op_sel:[0,0,1] op_sel_hi:[1,1,0] neg_lo:[0,0,1] neg_hi:[0,0,1]
	v_pk_fma_f32 v[140:141], v[140:141], v[130:131], v[144:145] op_sel:[0,0,1] op_sel_hi:[1,0,0]
	v_dual_mul_f32 v144, v143, v133 :: v_dual_mov_b32 v140, v143
	s_delay_alu instid0(VALU_DEP_2) | instskip(NEXT) | instid1(VALU_DEP_2)
	v_dual_mov_b32 v147, v141 :: v_dual_mov_b32 v141, v142
	v_pk_fma_f32 v[144:145], v[142:143], v[106:107], v[144:145] op_sel_hi:[1,1,0] neg_lo:[0,0,1] neg_hi:[0,0,1]
	v_mul_f32_e32 v142, v143, v130
	s_delay_alu instid0(VALU_DEP_3) | instskip(NEXT) | instid1(VALU_DEP_2)
	v_pk_add_f32 v[36:37], v[36:37], v[146:147] neg_lo:[0,1] neg_hi:[0,1]
	v_pk_fma_f32 v[140:141], v[140:141], v[106:107], v[142:143] op_sel_hi:[1,1,0]
	s_delay_alu instid0(VALU_DEP_1) | instskip(SKIP_4) | instid1(VALU_DEP_1)
	v_mov_b32_e32 v145, v141
	ds_load_2addr_b64 v[140:143], v134 offset0:53 offset1:54
	v_pk_add_f32 v[86:87], v[86:87], v[144:145] neg_lo:[0,1] neg_hi:[0,1]
	s_wait_dscnt 0x0
	v_pk_mul_f32 v[144:145], v[140:141], v[132:133] op_sel:[0,1]
	v_pk_fma_f32 v[146:147], v[140:141], v[130:131], v[144:145] op_sel:[0,0,1] op_sel_hi:[1,1,0] neg_lo:[0,0,1] neg_hi:[0,0,1]
	v_pk_fma_f32 v[140:141], v[140:141], v[130:131], v[144:145] op_sel:[0,0,1] op_sel_hi:[1,0,0]
	s_delay_alu instid0(VALU_DEP_1) | instskip(SKIP_1) | instid1(VALU_DEP_1)
	v_mov_b32_e32 v147, v141
	v_pk_mul_f32 v[140:141], v[142:143], v[132:133] op_sel:[0,1]
	v_pk_fma_f32 v[144:145], v[142:143], v[130:131], v[140:141] op_sel:[0,0,1] op_sel_hi:[1,1,0] neg_lo:[0,0,1] neg_hi:[0,0,1]
	v_pk_fma_f32 v[140:141], v[142:143], v[130:131], v[140:141] op_sel:[0,0,1] op_sel_hi:[1,0,0]
	s_delay_alu instid0(VALU_DEP_1)
	v_mov_b32_e32 v145, v141
	ds_load_2addr_b64 v[140:143], v134 offset0:55 offset1:56
	v_pk_add_f32 v[10:11], v[10:11], v[146:147] neg_lo:[0,1] neg_hi:[0,1]
	v_pk_add_f32 v[12:13], v[12:13], v[144:145] neg_lo:[0,1] neg_hi:[0,1]
	s_wait_dscnt 0x0
	v_pk_mul_f32 v[144:145], v[140:141], v[132:133] op_sel:[0,1]
	s_delay_alu instid0(VALU_DEP_1) | instskip(SKIP_1) | instid1(VALU_DEP_1)
	v_pk_fma_f32 v[146:147], v[140:141], v[130:131], v[144:145] op_sel:[0,0,1] op_sel_hi:[1,1,0] neg_lo:[0,0,1] neg_hi:[0,0,1]
	v_pk_fma_f32 v[140:141], v[140:141], v[130:131], v[144:145] op_sel:[0,0,1] op_sel_hi:[1,0,0]
	v_mov_b32_e32 v147, v141
	v_pk_mul_f32 v[140:141], v[142:143], v[132:133] op_sel:[0,1]
	s_delay_alu instid0(VALU_DEP_1) | instskip(SKIP_1) | instid1(VALU_DEP_1)
	v_pk_fma_f32 v[144:145], v[142:143], v[130:131], v[140:141] op_sel:[0,0,1] op_sel_hi:[1,1,0] neg_lo:[0,0,1] neg_hi:[0,0,1]
	v_pk_fma_f32 v[140:141], v[142:143], v[130:131], v[140:141] op_sel:[0,0,1] op_sel_hi:[1,0,0]
	v_mov_b32_e32 v145, v141
	ds_load_2addr_b64 v[140:143], v134 offset0:57 offset1:58
	v_pk_add_f32 v[8:9], v[8:9], v[146:147] neg_lo:[0,1] neg_hi:[0,1]
	v_pk_add_f32 v[44:45], v[44:45], v[144:145] neg_lo:[0,1] neg_hi:[0,1]
	s_wait_dscnt 0x0
	v_dual_mul_f32 v144, v141, v133 :: v_dual_mul_f32 v146, v141, v130
	s_delay_alu instid0(VALU_DEP_1) | instskip(NEXT) | instid1(VALU_DEP_2)
	v_pk_fma_f32 v[144:145], v[140:141], v[106:107], v[144:145] op_sel_hi:[1,1,0] neg_lo:[0,0,1] neg_hi:[0,0,1]
	v_pk_fma_f32 v[140:141], v[140:141], v[106:107], v[146:147] op_sel:[1,0,0] op_sel_hi:[0,1,0]
	s_delay_alu instid0(VALU_DEP_1) | instskip(SKIP_1) | instid1(VALU_DEP_2)
	v_mov_b32_e32 v145, v141
	v_pk_mul_f32 v[140:141], v[142:143], v[132:133] op_sel:[0,1]
	v_pk_add_f32 v[6:7], v[6:7], v[144:145] neg_lo:[0,1] neg_hi:[0,1]
	s_delay_alu instid0(VALU_DEP_2) | instskip(SKIP_1) | instid1(VALU_DEP_1)
	v_pk_fma_f32 v[144:145], v[142:143], v[130:131], v[140:141] op_sel:[0,0,1] op_sel_hi:[1,1,0] neg_lo:[0,0,1] neg_hi:[0,0,1]
	v_pk_fma_f32 v[140:141], v[142:143], v[130:131], v[140:141] op_sel:[0,0,1] op_sel_hi:[1,0,0]
	v_mov_b32_e32 v145, v141
	ds_load_2addr_b64 v[140:143], v134 offset0:59 offset1:60
	v_pk_add_f32 v[26:27], v[26:27], v[144:145] neg_lo:[0,1] neg_hi:[0,1]
	s_wait_dscnt 0x0
	v_pk_mul_f32 v[144:145], v[140:141], v[132:133] op_sel:[0,1]
	s_delay_alu instid0(VALU_DEP_1) | instskip(SKIP_1) | instid1(VALU_DEP_1)
	v_pk_fma_f32 v[146:147], v[140:141], v[130:131], v[144:145] op_sel:[0,0,1] op_sel_hi:[1,1,0] neg_lo:[0,0,1] neg_hi:[0,0,1]
	v_pk_fma_f32 v[140:141], v[140:141], v[130:131], v[144:145] op_sel:[0,0,1] op_sel_hi:[1,0,0]
	v_mov_b32_e32 v147, v141
	v_pk_mul_f32 v[140:141], v[142:143], v[132:133] op_sel:[0,1]
	s_delay_alu instid0(VALU_DEP_2) | instskip(NEXT) | instid1(VALU_DEP_2)
	v_pk_add_f32 v[16:17], v[16:17], v[146:147] neg_lo:[0,1] neg_hi:[0,1]
	v_pk_fma_f32 v[144:145], v[142:143], v[130:131], v[140:141] op_sel:[0,0,1] op_sel_hi:[1,1,0] neg_lo:[0,0,1] neg_hi:[0,0,1]
	v_pk_fma_f32 v[140:141], v[142:143], v[130:131], v[140:141] op_sel:[0,0,1] op_sel_hi:[1,0,0]
	s_delay_alu instid0(VALU_DEP_1) | instskip(SKIP_4) | instid1(VALU_DEP_1)
	v_mov_b32_e32 v145, v141
	ds_load_b64 v[140:141], v134 offset:488
	v_pk_add_f32 v[14:15], v[14:15], v[144:145] neg_lo:[0,1] neg_hi:[0,1]
	s_wait_dscnt 0x0
	v_pk_mul_f32 v[132:133], v[140:141], v[132:133] op_sel:[0,1]
	v_pk_fma_f32 v[142:143], v[140:141], v[130:131], v[132:133] op_sel:[0,0,1] op_sel_hi:[1,1,0] neg_lo:[0,0,1] neg_hi:[0,0,1]
	v_pk_fma_f32 v[130:131], v[140:141], v[130:131], v[132:133] op_sel:[0,0,1] op_sel_hi:[1,0,0]
	s_delay_alu instid0(VALU_DEP_1) | instskip(NEXT) | instid1(VALU_DEP_1)
	v_mov_b32_e32 v143, v131
	v_pk_add_f32 v[128:129], v[128:129], v[142:143] neg_lo:[0,1] neg_hi:[0,1]
.LBB122_608:
	s_or_b32 exec_lo, exec_lo, s0
	v_lshl_add_u32 v130, v138, 3, v134
	s_barrier_signal -1
	s_barrier_wait -1
	ds_store_b64 v130, v[54:55]
	s_wait_dscnt 0x0
	s_barrier_signal -1
	s_barrier_wait -1
	ds_load_b64 v[132:133], v134 offset:232
	v_mov_b32_e32 v130, 29
	s_cmp_lt_i32 s18, 31
	s_cbranch_scc1 .LBB122_611
; %bb.609:
	v_add3_u32 v131, v135, 0, 0xf0
	v_mov_b32_e32 v130, 29
	s_mov_b32 s0, 30
.LBB122_610:                            ; =>This Inner Loop Header: Depth=1
	ds_load_b64 v[140:141], v131
	s_wait_dscnt 0x1
	v_cmp_gt_f32_e32 vcc_lo, 0, v132
	v_cndmask_b32_e64 v142, v132, -v132, vcc_lo
	v_cmp_gt_f32_e32 vcc_lo, 0, v133
	v_cndmask_b32_e64 v144, v133, -v133, vcc_lo
	s_wait_dscnt 0x0
	v_cmp_gt_f32_e32 vcc_lo, 0, v140
	v_cndmask_b32_e64 v143, v140, -v140, vcc_lo
	v_cmp_gt_f32_e32 vcc_lo, 0, v141
	v_cndmask_b32_e64 v145, v141, -v141, vcc_lo
	s_delay_alu instid0(VALU_DEP_1) | instskip(NEXT) | instid1(VALU_DEP_1)
	v_pk_add_f32 v[142:143], v[142:143], v[144:145]
	v_cmp_lt_f32_e32 vcc_lo, v142, v143
	v_dual_add_nc_u32 v131, 8, v131 :: v_dual_cndmask_b32 v133, v133, v141, vcc_lo
	v_cndmask_b32_e32 v132, v132, v140, vcc_lo
	v_cndmask_b32_e64 v130, v130, s0, vcc_lo
	s_add_co_i32 s0, s0, 1
	s_delay_alu instid0(SALU_CYCLE_1)
	s_cmp_lg_u32 s18, s0
	s_cbranch_scc1 .LBB122_610
.LBB122_611:
	s_wait_dscnt 0x0
	v_cmp_eq_f32_e32 vcc_lo, 0, v132
	v_cmp_eq_f32_e64 s0, 0, v133
	s_and_b32 s0, vcc_lo, s0
	s_delay_alu instid0(SALU_CYCLE_1) | instskip(NEXT) | instid1(SALU_CYCLE_1)
	s_and_saveexec_b32 s1, s0
	s_xor_b32 s0, exec_lo, s1
; %bb.612:
	v_cmp_ne_u32_e32 vcc_lo, 0, v136
	v_cndmask_b32_e32 v136, 30, v136, vcc_lo
; %bb.613:
	s_and_not1_saveexec_b32 s0, s0
	s_cbranch_execz .LBB122_619
; %bb.614:
	v_cmp_ngt_f32_e64 s1, |v132|, |v133|
	s_and_saveexec_b32 s12, s1
	s_delay_alu instid0(SALU_CYCLE_1)
	s_xor_b32 s1, exec_lo, s12
	s_cbranch_execz .LBB122_616
; %bb.615:
	v_div_scale_f32 v131, null, v133, v133, v132
	v_div_scale_f32 v141, vcc_lo, v132, v133, v132
	s_delay_alu instid0(VALU_DEP_2) | instskip(SKIP_1) | instid1(TRANS32_DEP_1)
	v_rcp_f32_e32 v139, v131
	v_nop
	v_fma_f32 v140, -v131, v139, 1.0
	s_delay_alu instid0(VALU_DEP_1) | instskip(NEXT) | instid1(VALU_DEP_1)
	v_fmac_f32_e32 v139, v140, v139
	v_mul_f32_e32 v140, v141, v139
	s_delay_alu instid0(VALU_DEP_1) | instskip(NEXT) | instid1(VALU_DEP_1)
	v_fma_f32 v142, -v131, v140, v141
	v_fmac_f32_e32 v140, v142, v139
	s_delay_alu instid0(VALU_DEP_1) | instskip(NEXT) | instid1(VALU_DEP_1)
	v_fma_f32 v131, -v131, v140, v141
	v_div_fmas_f32 v131, v131, v139, v140
	s_delay_alu instid0(VALU_DEP_1) | instskip(NEXT) | instid1(VALU_DEP_1)
	v_div_fixup_f32 v131, v131, v133, v132
	v_fmac_f32_e32 v133, v132, v131
	s_delay_alu instid0(VALU_DEP_1) | instskip(SKIP_1) | instid1(VALU_DEP_2)
	v_div_scale_f32 v132, null, v133, v133, 1.0
	v_div_scale_f32 v141, vcc_lo, 1.0, v133, 1.0
	v_rcp_f32_e32 v139, v132
	v_nop
	s_delay_alu instid0(TRANS32_DEP_1) | instskip(NEXT) | instid1(VALU_DEP_1)
	v_fma_f32 v140, -v132, v139, 1.0
	v_fmac_f32_e32 v139, v140, v139
	s_delay_alu instid0(VALU_DEP_1) | instskip(NEXT) | instid1(VALU_DEP_1)
	v_mul_f32_e32 v140, v141, v139
	v_fma_f32 v142, -v132, v140, v141
	s_delay_alu instid0(VALU_DEP_1) | instskip(NEXT) | instid1(VALU_DEP_1)
	v_fmac_f32_e32 v140, v142, v139
	v_fma_f32 v132, -v132, v140, v141
	s_delay_alu instid0(VALU_DEP_1) | instskip(NEXT) | instid1(VALU_DEP_1)
	v_div_fmas_f32 v132, v132, v139, v140
	v_div_fixup_f32 v133, v132, v133, 1.0
	s_delay_alu instid0(VALU_DEP_1)
	v_mul_f32_e32 v132, v131, v133
	v_xor_b32_e32 v133, 0x80000000, v133
.LBB122_616:
	s_and_not1_saveexec_b32 s1, s1
	s_cbranch_execz .LBB122_618
; %bb.617:
	s_delay_alu instid0(VALU_DEP_1) | instskip(SKIP_1) | instid1(VALU_DEP_2)
	v_div_scale_f32 v131, null, v132, v132, v133
	v_div_scale_f32 v141, vcc_lo, v133, v132, v133
	v_rcp_f32_e32 v139, v131
	v_nop
	s_delay_alu instid0(TRANS32_DEP_1) | instskip(NEXT) | instid1(VALU_DEP_1)
	v_fma_f32 v140, -v131, v139, 1.0
	v_fmac_f32_e32 v139, v140, v139
	s_delay_alu instid0(VALU_DEP_1) | instskip(NEXT) | instid1(VALU_DEP_1)
	v_mul_f32_e32 v140, v141, v139
	v_fma_f32 v142, -v131, v140, v141
	s_delay_alu instid0(VALU_DEP_1) | instskip(NEXT) | instid1(VALU_DEP_1)
	v_fmac_f32_e32 v140, v142, v139
	v_fma_f32 v131, -v131, v140, v141
	s_delay_alu instid0(VALU_DEP_1) | instskip(NEXT) | instid1(VALU_DEP_1)
	v_div_fmas_f32 v131, v131, v139, v140
	v_div_fixup_f32 v131, v131, v132, v133
	s_delay_alu instid0(VALU_DEP_1) | instskip(NEXT) | instid1(VALU_DEP_1)
	v_fmac_f32_e32 v132, v133, v131
	v_div_scale_f32 v133, null, v132, v132, 1.0
	s_delay_alu instid0(VALU_DEP_1) | instskip(SKIP_1) | instid1(TRANS32_DEP_1)
	v_rcp_f32_e32 v139, v133
	v_nop
	v_fma_f32 v140, -v133, v139, 1.0
	s_delay_alu instid0(VALU_DEP_1) | instskip(SKIP_1) | instid1(VALU_DEP_1)
	v_fmac_f32_e32 v139, v140, v139
	v_div_scale_f32 v140, vcc_lo, 1.0, v132, 1.0
	v_mul_f32_e32 v141, v140, v139
	s_delay_alu instid0(VALU_DEP_1) | instskip(NEXT) | instid1(VALU_DEP_1)
	v_fma_f32 v142, -v133, v141, v140
	v_fmac_f32_e32 v141, v142, v139
	s_delay_alu instid0(VALU_DEP_1) | instskip(NEXT) | instid1(VALU_DEP_1)
	v_fma_f32 v133, -v133, v141, v140
	v_div_fmas_f32 v133, v133, v139, v141
	s_delay_alu instid0(VALU_DEP_1) | instskip(NEXT) | instid1(VALU_DEP_1)
	v_div_fixup_f32 v132, v133, v132, 1.0
	v_mul_f32_e64 v133, v131, -v132
.LBB122_618:
	s_or_b32 exec_lo, exec_lo, s1
.LBB122_619:
	s_delay_alu instid0(SALU_CYCLE_1) | instskip(NEXT) | instid1(SALU_CYCLE_1)
	s_or_b32 exec_lo, exec_lo, s0
	s_mov_b32 s0, exec_lo
	v_cmpx_ne_u32_e64 v138, v130
	s_xor_b32 s0, exec_lo, s0
	s_cbranch_execz .LBB122_625
; %bb.620:
	s_mov_b32 s1, exec_lo
	v_cmpx_eq_u32_e32 29, v138
	s_cbranch_execz .LBB122_624
; %bb.621:
	v_cmp_ne_u32_e32 vcc_lo, 29, v130
	s_xor_b32 s12, s16, -1
	s_delay_alu instid0(SALU_CYCLE_1) | instskip(NEXT) | instid1(SALU_CYCLE_1)
	s_and_b32 s13, s12, vcc_lo
	s_and_saveexec_b32 s12, s13
	s_cbranch_execz .LBB122_623
; %bb.622:
	v_ashrrev_i32_e32 v131, 31, v130
	s_delay_alu instid0(VALU_DEP_1)
	v_lshl_add_u64 v[138:139], v[130:131], 2, v[4:5]
	s_clause 0x1
	global_load_b32 v131, v[138:139], off
	global_load_b32 v137, v[4:5], off offset:116
	s_wait_loadcnt 0x1
	global_store_b32 v[4:5], v131, off offset:116
	s_wait_loadcnt 0x0
	global_store_b32 v[138:139], v137, off
.LBB122_623:
	s_wait_xcnt 0x0
	s_or_b32 exec_lo, exec_lo, s12
	v_dual_mov_b32 v138, v130 :: v_dual_mov_b32 v137, v130
.LBB122_624:
	s_or_b32 exec_lo, exec_lo, s1
.LBB122_625:
	s_and_not1_saveexec_b32 s0, s0
	s_cbranch_execz .LBB122_627
; %bb.626:
	v_dual_mov_b32 v130, v56 :: v_dual_mov_b32 v131, v57
	v_dual_mov_b32 v138, v52 :: v_dual_mov_b32 v139, v53
	;; [unrolled: 1-line block ×12, first 2 shown]
	ds_store_2addr_b64 v134, v[130:131], v[138:139] offset0:30 offset1:31
	ds_store_2addr_b64 v134, v[140:141], v[142:143] offset0:32 offset1:33
	;; [unrolled: 1-line block ×6, first 2 shown]
	v_dual_mov_b32 v130, v34 :: v_dual_mov_b32 v131, v35
	v_dual_mov_b32 v138, v30 :: v_dual_mov_b32 v139, v31
	;; [unrolled: 1-line block ×12, first 2 shown]
	ds_store_2addr_b64 v134, v[130:131], v[138:139] offset0:42 offset1:43
	ds_store_2addr_b64 v134, v[140:141], v[142:143] offset0:44 offset1:45
	;; [unrolled: 1-line block ×6, first 2 shown]
	v_dual_mov_b32 v130, v12 :: v_dual_mov_b32 v131, v13
	v_dual_mov_b32 v140, v8 :: v_dual_mov_b32 v141, v9
	;; [unrolled: 1-line block ×7, first 2 shown]
	v_mov_b32_e32 v151, v15
	ds_store_2addr_b64 v134, v[130:131], v[140:141] offset0:54 offset1:55
	ds_store_2addr_b64 v134, v[142:143], v[144:145] offset0:56 offset1:57
	;; [unrolled: 1-line block ×4, first 2 shown]
.LBB122_627:
	s_or_b32 exec_lo, exec_lo, s0
	s_delay_alu instid0(SALU_CYCLE_1)
	s_mov_b32 s0, exec_lo
	s_wait_storecnt_dscnt 0x0
	s_barrier_signal -1
	s_barrier_wait -1
	v_cmpx_lt_i32_e32 29, v138
	s_cbranch_execz .LBB122_629
; %bb.628:
	v_pk_mul_f32 v[140:141], v[132:133], v[54:55] op_sel:[1,1] op_sel_hi:[0,1]
	s_delay_alu instid0(VALU_DEP_1)
	v_pk_fma_f32 v[130:131], v[132:133], v[54:55], v[140:141] op_sel_hi:[1,0,1] neg_lo:[0,0,1] neg_hi:[0,0,1]
	v_pk_fma_f32 v[132:133], v[132:133], v[54:55], v[140:141] op_sel_hi:[1,0,1]
	ds_load_2addr_b64 v[140:143], v134 offset0:30 offset1:31
	v_dual_mov_b32 v54, v130 :: v_dual_mov_b32 v55, v133
	s_wait_dscnt 0x0
	v_pk_mul_f32 v[144:145], v[140:141], v[132:133] op_sel:[0,1]
	s_delay_alu instid0(VALU_DEP_1) | instskip(SKIP_1) | instid1(VALU_DEP_1)
	v_pk_fma_f32 v[146:147], v[140:141], v[130:131], v[144:145] op_sel:[0,0,1] op_sel_hi:[1,1,0] neg_lo:[0,0,1] neg_hi:[0,0,1]
	v_pk_fma_f32 v[140:141], v[140:141], v[130:131], v[144:145] op_sel:[0,0,1] op_sel_hi:[1,0,0]
	v_mov_b32_e32 v147, v141
	v_pk_mul_f32 v[140:141], v[142:143], v[132:133] op_sel:[0,1]
	s_delay_alu instid0(VALU_DEP_1) | instskip(SKIP_1) | instid1(VALU_DEP_1)
	v_pk_fma_f32 v[144:145], v[142:143], v[130:131], v[140:141] op_sel:[0,0,1] op_sel_hi:[1,1,0] neg_lo:[0,0,1] neg_hi:[0,0,1]
	v_pk_fma_f32 v[140:141], v[142:143], v[130:131], v[140:141] op_sel:[0,0,1] op_sel_hi:[1,0,0]
	v_mov_b32_e32 v145, v141
	ds_load_2addr_b64 v[140:143], v134 offset0:32 offset1:33
	v_pk_add_f32 v[56:57], v[56:57], v[146:147] neg_lo:[0,1] neg_hi:[0,1]
	v_pk_add_f32 v[52:53], v[52:53], v[144:145] neg_lo:[0,1] neg_hi:[0,1]
	s_wait_dscnt 0x0
	v_pk_mul_f32 v[144:145], v[140:141], v[132:133] op_sel:[0,1]
	s_delay_alu instid0(VALU_DEP_1) | instskip(SKIP_2) | instid1(VALU_DEP_2)
	v_pk_fma_f32 v[146:147], v[140:141], v[130:131], v[144:145] op_sel:[0,0,1] op_sel_hi:[1,1,0] neg_lo:[0,0,1] neg_hi:[0,0,1]
	v_pk_fma_f32 v[140:141], v[140:141], v[130:131], v[144:145] op_sel:[0,0,1] op_sel_hi:[1,0,0]
	v_dual_mul_f32 v144, v143, v133 :: v_dual_mov_b32 v140, v143
	v_dual_mov_b32 v147, v141 :: v_dual_mov_b32 v141, v142
	s_delay_alu instid0(VALU_DEP_2) | instskip(SKIP_1) | instid1(VALU_DEP_3)
	v_pk_fma_f32 v[144:145], v[142:143], v[54:55], v[144:145] op_sel_hi:[1,1,0] neg_lo:[0,0,1] neg_hi:[0,0,1]
	v_mul_f32_e32 v142, v143, v130
	v_pk_add_f32 v[104:105], v[104:105], v[146:147] neg_lo:[0,1] neg_hi:[0,1]
	s_delay_alu instid0(VALU_DEP_2) | instskip(NEXT) | instid1(VALU_DEP_1)
	v_pk_fma_f32 v[140:141], v[140:141], v[54:55], v[142:143] op_sel_hi:[1,1,0]
	v_mov_b32_e32 v145, v141
	ds_load_2addr_b64 v[140:143], v134 offset0:34 offset1:35
	v_pk_add_f32 v[48:49], v[48:49], v[144:145] neg_lo:[0,1] neg_hi:[0,1]
	s_wait_dscnt 0x0
	v_pk_mul_f32 v[144:145], v[140:141], v[132:133] op_sel:[0,1]
	s_delay_alu instid0(VALU_DEP_1) | instskip(SKIP_1) | instid1(VALU_DEP_1)
	v_pk_fma_f32 v[146:147], v[140:141], v[130:131], v[144:145] op_sel:[0,0,1] op_sel_hi:[1,1,0] neg_lo:[0,0,1] neg_hi:[0,0,1]
	v_pk_fma_f32 v[140:141], v[140:141], v[130:131], v[144:145] op_sel:[0,0,1] op_sel_hi:[1,0,0]
	v_mov_b32_e32 v147, v141
	v_pk_mul_f32 v[140:141], v[142:143], v[132:133] op_sel:[0,1]
	s_delay_alu instid0(VALU_DEP_1) | instskip(SKIP_1) | instid1(VALU_DEP_1)
	v_pk_fma_f32 v[144:145], v[142:143], v[130:131], v[140:141] op_sel:[0,0,1] op_sel_hi:[1,1,0] neg_lo:[0,0,1] neg_hi:[0,0,1]
	v_pk_fma_f32 v[140:141], v[142:143], v[130:131], v[140:141] op_sel:[0,0,1] op_sel_hi:[1,0,0]
	v_mov_b32_e32 v145, v141
	ds_load_2addr_b64 v[140:143], v134 offset0:36 offset1:37
	v_pk_add_f32 v[50:51], v[50:51], v[146:147] neg_lo:[0,1] neg_hi:[0,1]
	v_pk_add_f32 v[46:47], v[46:47], v[144:145] neg_lo:[0,1] neg_hi:[0,1]
	s_wait_dscnt 0x0
	v_pk_mul_f32 v[144:145], v[140:141], v[132:133] op_sel:[0,1]
	s_delay_alu instid0(VALU_DEP_1) | instskip(SKIP_1) | instid1(VALU_DEP_1)
	v_pk_fma_f32 v[146:147], v[140:141], v[130:131], v[144:145] op_sel:[0,0,1] op_sel_hi:[1,1,0] neg_lo:[0,0,1] neg_hi:[0,0,1]
	v_pk_fma_f32 v[140:141], v[140:141], v[130:131], v[144:145] op_sel:[0,0,1] op_sel_hi:[1,0,0]
	v_mov_b32_e32 v147, v141
	v_pk_mul_f32 v[140:141], v[142:143], v[132:133] op_sel:[0,1]
	s_delay_alu instid0(VALU_DEP_1) | instskip(SKIP_1) | instid1(VALU_DEP_1)
	v_pk_fma_f32 v[144:145], v[142:143], v[130:131], v[140:141] op_sel:[0,0,1] op_sel_hi:[1,1,0] neg_lo:[0,0,1] neg_hi:[0,0,1]
	v_pk_fma_f32 v[140:141], v[142:143], v[130:131], v[140:141] op_sel:[0,0,1] op_sel_hi:[1,0,0]
	v_mov_b32_e32 v145, v141
	ds_load_2addr_b64 v[140:143], v134 offset0:38 offset1:39
	v_pk_add_f32 v[102:103], v[102:103], v[146:147] neg_lo:[0,1] neg_hi:[0,1]
	v_pk_add_f32 v[40:41], v[40:41], v[144:145] neg_lo:[0,1] neg_hi:[0,1]
	s_wait_dscnt 0x0
	v_dual_mul_f32 v144, v141, v133 :: v_dual_mul_f32 v146, v141, v130
	s_delay_alu instid0(VALU_DEP_1) | instskip(NEXT) | instid1(VALU_DEP_2)
	v_pk_fma_f32 v[144:145], v[140:141], v[54:55], v[144:145] op_sel_hi:[1,1,0] neg_lo:[0,0,1] neg_hi:[0,0,1]
	v_pk_fma_f32 v[140:141], v[140:141], v[54:55], v[146:147] op_sel:[1,0,0] op_sel_hi:[0,1,0]
	s_delay_alu instid0(VALU_DEP_1) | instskip(SKIP_1) | instid1(VALU_DEP_2)
	v_mov_b32_e32 v145, v141
	v_pk_mul_f32 v[140:141], v[142:143], v[132:133] op_sel:[0,1]
	v_pk_add_f32 v[42:43], v[42:43], v[144:145] neg_lo:[0,1] neg_hi:[0,1]
	s_delay_alu instid0(VALU_DEP_2) | instskip(SKIP_1) | instid1(VALU_DEP_1)
	v_pk_fma_f32 v[144:145], v[142:143], v[130:131], v[140:141] op_sel:[0,0,1] op_sel_hi:[1,1,0] neg_lo:[0,0,1] neg_hi:[0,0,1]
	v_pk_fma_f32 v[140:141], v[142:143], v[130:131], v[140:141] op_sel:[0,0,1] op_sel_hi:[1,0,0]
	v_mov_b32_e32 v145, v141
	ds_load_2addr_b64 v[140:143], v134 offset0:40 offset1:41
	v_pk_add_f32 v[38:39], v[38:39], v[144:145] neg_lo:[0,1] neg_hi:[0,1]
	s_wait_dscnt 0x0
	v_pk_mul_f32 v[144:145], v[140:141], v[132:133] op_sel:[0,1]
	s_delay_alu instid0(VALU_DEP_1) | instskip(SKIP_1) | instid1(VALU_DEP_1)
	v_pk_fma_f32 v[146:147], v[140:141], v[130:131], v[144:145] op_sel:[0,0,1] op_sel_hi:[1,1,0] neg_lo:[0,0,1] neg_hi:[0,0,1]
	v_pk_fma_f32 v[140:141], v[140:141], v[130:131], v[144:145] op_sel:[0,0,1] op_sel_hi:[1,0,0]
	v_mov_b32_e32 v147, v141
	v_pk_mul_f32 v[140:141], v[142:143], v[132:133] op_sel:[0,1]
	s_delay_alu instid0(VALU_DEP_2) | instskip(NEXT) | instid1(VALU_DEP_2)
	v_pk_add_f32 v[100:101], v[100:101], v[146:147] neg_lo:[0,1] neg_hi:[0,1]
	v_pk_fma_f32 v[144:145], v[142:143], v[130:131], v[140:141] op_sel:[0,0,1] op_sel_hi:[1,1,0] neg_lo:[0,0,1] neg_hi:[0,0,1]
	v_pk_fma_f32 v[140:141], v[142:143], v[130:131], v[140:141] op_sel:[0,0,1] op_sel_hi:[1,0,0]
	s_delay_alu instid0(VALU_DEP_1) | instskip(SKIP_4) | instid1(VALU_DEP_1)
	v_mov_b32_e32 v145, v141
	ds_load_2addr_b64 v[140:143], v134 offset0:42 offset1:43
	v_pk_add_f32 v[32:33], v[32:33], v[144:145] neg_lo:[0,1] neg_hi:[0,1]
	s_wait_dscnt 0x0
	v_pk_mul_f32 v[144:145], v[140:141], v[132:133] op_sel:[0,1]
	v_pk_fma_f32 v[146:147], v[140:141], v[130:131], v[144:145] op_sel:[0,0,1] op_sel_hi:[1,1,0] neg_lo:[0,0,1] neg_hi:[0,0,1]
	v_pk_fma_f32 v[140:141], v[140:141], v[130:131], v[144:145] op_sel:[0,0,1] op_sel_hi:[1,0,0]
	v_dual_mul_f32 v144, v143, v133 :: v_dual_mov_b32 v140, v143
	s_delay_alu instid0(VALU_DEP_2) | instskip(NEXT) | instid1(VALU_DEP_2)
	v_dual_mov_b32 v147, v141 :: v_dual_mov_b32 v141, v142
	v_pk_fma_f32 v[144:145], v[142:143], v[54:55], v[144:145] op_sel_hi:[1,1,0] neg_lo:[0,0,1] neg_hi:[0,0,1]
	v_mul_f32_e32 v142, v143, v130
	s_delay_alu instid0(VALU_DEP_3) | instskip(NEXT) | instid1(VALU_DEP_2)
	v_pk_add_f32 v[34:35], v[34:35], v[146:147] neg_lo:[0,1] neg_hi:[0,1]
	v_pk_fma_f32 v[140:141], v[140:141], v[54:55], v[142:143] op_sel_hi:[1,1,0]
	s_delay_alu instid0(VALU_DEP_1) | instskip(SKIP_4) | instid1(VALU_DEP_1)
	v_mov_b32_e32 v145, v141
	ds_load_2addr_b64 v[140:143], v134 offset0:44 offset1:45
	v_pk_add_f32 v[30:31], v[30:31], v[144:145] neg_lo:[0,1] neg_hi:[0,1]
	s_wait_dscnt 0x0
	v_pk_mul_f32 v[144:145], v[140:141], v[132:133] op_sel:[0,1]
	v_pk_fma_f32 v[146:147], v[140:141], v[130:131], v[144:145] op_sel:[0,0,1] op_sel_hi:[1,1,0] neg_lo:[0,0,1] neg_hi:[0,0,1]
	v_pk_fma_f32 v[140:141], v[140:141], v[130:131], v[144:145] op_sel:[0,0,1] op_sel_hi:[1,0,0]
	s_delay_alu instid0(VALU_DEP_1) | instskip(SKIP_1) | instid1(VALU_DEP_1)
	v_mov_b32_e32 v147, v141
	v_pk_mul_f32 v[140:141], v[142:143], v[132:133] op_sel:[0,1]
	v_pk_fma_f32 v[144:145], v[142:143], v[130:131], v[140:141] op_sel:[0,0,1] op_sel_hi:[1,1,0] neg_lo:[0,0,1] neg_hi:[0,0,1]
	v_pk_fma_f32 v[140:141], v[142:143], v[130:131], v[140:141] op_sel:[0,0,1] op_sel_hi:[1,0,0]
	s_delay_alu instid0(VALU_DEP_1)
	v_mov_b32_e32 v145, v141
	ds_load_2addr_b64 v[140:143], v134 offset0:46 offset1:47
	v_pk_add_f32 v[98:99], v[98:99], v[146:147] neg_lo:[0,1] neg_hi:[0,1]
	v_pk_add_f32 v[24:25], v[24:25], v[144:145] neg_lo:[0,1] neg_hi:[0,1]
	s_wait_dscnt 0x0
	v_pk_mul_f32 v[144:145], v[140:141], v[132:133] op_sel:[0,1]
	s_delay_alu instid0(VALU_DEP_1) | instskip(SKIP_1) | instid1(VALU_DEP_1)
	v_pk_fma_f32 v[146:147], v[140:141], v[130:131], v[144:145] op_sel:[0,0,1] op_sel_hi:[1,1,0] neg_lo:[0,0,1] neg_hi:[0,0,1]
	v_pk_fma_f32 v[140:141], v[140:141], v[130:131], v[144:145] op_sel:[0,0,1] op_sel_hi:[1,0,0]
	v_mov_b32_e32 v147, v141
	v_pk_mul_f32 v[140:141], v[142:143], v[132:133] op_sel:[0,1]
	s_delay_alu instid0(VALU_DEP_1) | instskip(SKIP_1) | instid1(VALU_DEP_1)
	v_pk_fma_f32 v[144:145], v[142:143], v[130:131], v[140:141] op_sel:[0,0,1] op_sel_hi:[1,1,0] neg_lo:[0,0,1] neg_hi:[0,0,1]
	v_pk_fma_f32 v[140:141], v[142:143], v[130:131], v[140:141] op_sel:[0,0,1] op_sel_hi:[1,0,0]
	v_mov_b32_e32 v145, v141
	ds_load_2addr_b64 v[140:143], v134 offset0:48 offset1:49
	v_pk_add_f32 v[28:29], v[28:29], v[146:147] neg_lo:[0,1] neg_hi:[0,1]
	v_pk_add_f32 v[22:23], v[22:23], v[144:145] neg_lo:[0,1] neg_hi:[0,1]
	s_wait_dscnt 0x0
	v_dual_mul_f32 v144, v141, v133 :: v_dual_mul_f32 v146, v141, v130
	s_delay_alu instid0(VALU_DEP_1) | instskip(NEXT) | instid1(VALU_DEP_2)
	v_pk_fma_f32 v[144:145], v[140:141], v[54:55], v[144:145] op_sel_hi:[1,1,0] neg_lo:[0,0,1] neg_hi:[0,0,1]
	v_pk_fma_f32 v[140:141], v[140:141], v[54:55], v[146:147] op_sel:[1,0,0] op_sel_hi:[0,1,0]
	s_delay_alu instid0(VALU_DEP_1) | instskip(SKIP_1) | instid1(VALU_DEP_2)
	v_mov_b32_e32 v145, v141
	v_pk_mul_f32 v[140:141], v[142:143], v[132:133] op_sel:[0,1]
	v_pk_add_f32 v[96:97], v[96:97], v[144:145] neg_lo:[0,1] neg_hi:[0,1]
	s_delay_alu instid0(VALU_DEP_2) | instskip(SKIP_1) | instid1(VALU_DEP_1)
	v_pk_fma_f32 v[144:145], v[142:143], v[130:131], v[140:141] op_sel:[0,0,1] op_sel_hi:[1,1,0] neg_lo:[0,0,1] neg_hi:[0,0,1]
	v_pk_fma_f32 v[140:141], v[142:143], v[130:131], v[140:141] op_sel:[0,0,1] op_sel_hi:[1,0,0]
	v_mov_b32_e32 v145, v141
	ds_load_2addr_b64 v[140:143], v134 offset0:50 offset1:51
	v_pk_add_f32 v[18:19], v[18:19], v[144:145] neg_lo:[0,1] neg_hi:[0,1]
	s_wait_dscnt 0x0
	v_pk_mul_f32 v[144:145], v[140:141], v[132:133] op_sel:[0,1]
	s_delay_alu instid0(VALU_DEP_1) | instskip(SKIP_1) | instid1(VALU_DEP_1)
	v_pk_fma_f32 v[146:147], v[140:141], v[130:131], v[144:145] op_sel:[0,0,1] op_sel_hi:[1,1,0] neg_lo:[0,0,1] neg_hi:[0,0,1]
	v_pk_fma_f32 v[140:141], v[140:141], v[130:131], v[144:145] op_sel:[0,0,1] op_sel_hi:[1,0,0]
	v_mov_b32_e32 v147, v141
	v_pk_mul_f32 v[140:141], v[142:143], v[132:133] op_sel:[0,1]
	s_delay_alu instid0(VALU_DEP_2) | instskip(NEXT) | instid1(VALU_DEP_2)
	v_pk_add_f32 v[20:21], v[20:21], v[146:147] neg_lo:[0,1] neg_hi:[0,1]
	v_pk_fma_f32 v[144:145], v[142:143], v[130:131], v[140:141] op_sel:[0,0,1] op_sel_hi:[1,1,0] neg_lo:[0,0,1] neg_hi:[0,0,1]
	v_pk_fma_f32 v[140:141], v[142:143], v[130:131], v[140:141] op_sel:[0,0,1] op_sel_hi:[1,0,0]
	s_delay_alu instid0(VALU_DEP_1) | instskip(SKIP_4) | instid1(VALU_DEP_1)
	v_mov_b32_e32 v145, v141
	ds_load_2addr_b64 v[140:143], v134 offset0:52 offset1:53
	v_pk_add_f32 v[36:37], v[36:37], v[144:145] neg_lo:[0,1] neg_hi:[0,1]
	s_wait_dscnt 0x0
	v_pk_mul_f32 v[144:145], v[140:141], v[132:133] op_sel:[0,1]
	v_pk_fma_f32 v[146:147], v[140:141], v[130:131], v[144:145] op_sel:[0,0,1] op_sel_hi:[1,1,0] neg_lo:[0,0,1] neg_hi:[0,0,1]
	v_pk_fma_f32 v[140:141], v[140:141], v[130:131], v[144:145] op_sel:[0,0,1] op_sel_hi:[1,0,0]
	v_dual_mul_f32 v144, v143, v133 :: v_dual_mov_b32 v140, v143
	s_delay_alu instid0(VALU_DEP_2) | instskip(NEXT) | instid1(VALU_DEP_2)
	v_dual_mov_b32 v147, v141 :: v_dual_mov_b32 v141, v142
	v_pk_fma_f32 v[144:145], v[142:143], v[54:55], v[144:145] op_sel_hi:[1,1,0] neg_lo:[0,0,1] neg_hi:[0,0,1]
	v_mul_f32_e32 v142, v143, v130
	s_delay_alu instid0(VALU_DEP_3) | instskip(NEXT) | instid1(VALU_DEP_2)
	v_pk_add_f32 v[86:87], v[86:87], v[146:147] neg_lo:[0,1] neg_hi:[0,1]
	v_pk_fma_f32 v[140:141], v[140:141], v[54:55], v[142:143] op_sel_hi:[1,1,0]
	s_delay_alu instid0(VALU_DEP_1) | instskip(SKIP_4) | instid1(VALU_DEP_1)
	v_mov_b32_e32 v145, v141
	ds_load_2addr_b64 v[140:143], v134 offset0:54 offset1:55
	v_pk_add_f32 v[10:11], v[10:11], v[144:145] neg_lo:[0,1] neg_hi:[0,1]
	s_wait_dscnt 0x0
	v_pk_mul_f32 v[144:145], v[140:141], v[132:133] op_sel:[0,1]
	v_pk_fma_f32 v[146:147], v[140:141], v[130:131], v[144:145] op_sel:[0,0,1] op_sel_hi:[1,1,0] neg_lo:[0,0,1] neg_hi:[0,0,1]
	v_pk_fma_f32 v[140:141], v[140:141], v[130:131], v[144:145] op_sel:[0,0,1] op_sel_hi:[1,0,0]
	s_delay_alu instid0(VALU_DEP_1) | instskip(SKIP_1) | instid1(VALU_DEP_1)
	v_mov_b32_e32 v147, v141
	v_pk_mul_f32 v[140:141], v[142:143], v[132:133] op_sel:[0,1]
	v_pk_fma_f32 v[144:145], v[142:143], v[130:131], v[140:141] op_sel:[0,0,1] op_sel_hi:[1,1,0] neg_lo:[0,0,1] neg_hi:[0,0,1]
	v_pk_fma_f32 v[140:141], v[142:143], v[130:131], v[140:141] op_sel:[0,0,1] op_sel_hi:[1,0,0]
	s_delay_alu instid0(VALU_DEP_1)
	v_mov_b32_e32 v145, v141
	ds_load_2addr_b64 v[140:143], v134 offset0:56 offset1:57
	v_pk_add_f32 v[12:13], v[12:13], v[146:147] neg_lo:[0,1] neg_hi:[0,1]
	v_pk_add_f32 v[8:9], v[8:9], v[144:145] neg_lo:[0,1] neg_hi:[0,1]
	s_wait_dscnt 0x0
	v_pk_mul_f32 v[144:145], v[140:141], v[132:133] op_sel:[0,1]
	s_delay_alu instid0(VALU_DEP_1) | instskip(SKIP_1) | instid1(VALU_DEP_1)
	v_pk_fma_f32 v[146:147], v[140:141], v[130:131], v[144:145] op_sel:[0,0,1] op_sel_hi:[1,1,0] neg_lo:[0,0,1] neg_hi:[0,0,1]
	v_pk_fma_f32 v[140:141], v[140:141], v[130:131], v[144:145] op_sel:[0,0,1] op_sel_hi:[1,0,0]
	v_mov_b32_e32 v147, v141
	v_pk_mul_f32 v[140:141], v[142:143], v[132:133] op_sel:[0,1]
	s_delay_alu instid0(VALU_DEP_1) | instskip(SKIP_1) | instid1(VALU_DEP_1)
	v_pk_fma_f32 v[144:145], v[142:143], v[130:131], v[140:141] op_sel:[0,0,1] op_sel_hi:[1,1,0] neg_lo:[0,0,1] neg_hi:[0,0,1]
	v_pk_fma_f32 v[140:141], v[142:143], v[130:131], v[140:141] op_sel:[0,0,1] op_sel_hi:[1,0,0]
	v_mov_b32_e32 v145, v141
	ds_load_2addr_b64 v[140:143], v134 offset0:58 offset1:59
	v_pk_add_f32 v[44:45], v[44:45], v[146:147] neg_lo:[0,1] neg_hi:[0,1]
	v_pk_add_f32 v[6:7], v[6:7], v[144:145] neg_lo:[0,1] neg_hi:[0,1]
	s_wait_dscnt 0x0
	v_dual_mul_f32 v144, v141, v133 :: v_dual_mul_f32 v146, v141, v130
	s_delay_alu instid0(VALU_DEP_1) | instskip(NEXT) | instid1(VALU_DEP_2)
	v_pk_fma_f32 v[144:145], v[140:141], v[54:55], v[144:145] op_sel_hi:[1,1,0] neg_lo:[0,0,1] neg_hi:[0,0,1]
	v_pk_fma_f32 v[140:141], v[140:141], v[54:55], v[146:147] op_sel:[1,0,0] op_sel_hi:[0,1,0]
	s_delay_alu instid0(VALU_DEP_1) | instskip(SKIP_1) | instid1(VALU_DEP_2)
	v_mov_b32_e32 v145, v141
	v_pk_mul_f32 v[140:141], v[142:143], v[132:133] op_sel:[0,1]
	v_pk_add_f32 v[26:27], v[26:27], v[144:145] neg_lo:[0,1] neg_hi:[0,1]
	s_delay_alu instid0(VALU_DEP_2) | instskip(SKIP_1) | instid1(VALU_DEP_1)
	v_pk_fma_f32 v[144:145], v[142:143], v[130:131], v[140:141] op_sel:[0,0,1] op_sel_hi:[1,1,0] neg_lo:[0,0,1] neg_hi:[0,0,1]
	v_pk_fma_f32 v[140:141], v[142:143], v[130:131], v[140:141] op_sel:[0,0,1] op_sel_hi:[1,0,0]
	v_mov_b32_e32 v145, v141
	ds_load_2addr_b64 v[140:143], v134 offset0:60 offset1:61
	v_pk_add_f32 v[16:17], v[16:17], v[144:145] neg_lo:[0,1] neg_hi:[0,1]
	s_wait_dscnt 0x0
	v_pk_mul_f32 v[144:145], v[140:141], v[132:133] op_sel:[0,1]
	v_pk_mul_f32 v[132:133], v[142:143], v[132:133] op_sel:[0,1]
	s_delay_alu instid0(VALU_DEP_2) | instskip(SKIP_1) | instid1(VALU_DEP_1)
	v_pk_fma_f32 v[146:147], v[140:141], v[130:131], v[144:145] op_sel:[0,0,1] op_sel_hi:[1,1,0] neg_lo:[0,0,1] neg_hi:[0,0,1]
	v_pk_fma_f32 v[140:141], v[140:141], v[130:131], v[144:145] op_sel:[0,0,1] op_sel_hi:[1,0,0]
	v_mov_b32_e32 v147, v141
	s_delay_alu instid0(VALU_DEP_4) | instskip(SKIP_1) | instid1(VALU_DEP_3)
	v_pk_fma_f32 v[140:141], v[142:143], v[130:131], v[132:133] op_sel:[0,0,1] op_sel_hi:[1,1,0] neg_lo:[0,0,1] neg_hi:[0,0,1]
	v_pk_fma_f32 v[130:131], v[142:143], v[130:131], v[132:133] op_sel:[0,0,1] op_sel_hi:[1,0,0]
	v_pk_add_f32 v[14:15], v[14:15], v[146:147] neg_lo:[0,1] neg_hi:[0,1]
	s_delay_alu instid0(VALU_DEP_2) | instskip(NEXT) | instid1(VALU_DEP_1)
	v_mov_b32_e32 v141, v131
	v_pk_add_f32 v[128:129], v[128:129], v[140:141] neg_lo:[0,1] neg_hi:[0,1]
.LBB122_629:
	s_or_b32 exec_lo, exec_lo, s0
	v_lshl_add_u32 v130, v138, 3, v134
	s_barrier_signal -1
	s_barrier_wait -1
	ds_store_b64 v130, v[56:57]
	s_wait_dscnt 0x0
	s_barrier_signal -1
	s_barrier_wait -1
	ds_load_b64 v[132:133], v134 offset:240
	v_mov_b32_e32 v130, 30
	s_cmp_lt_i32 s18, 32
	s_cbranch_scc1 .LBB122_632
; %bb.630:
	v_add3_u32 v131, v135, 0, 0xf8
	v_mov_b32_e32 v130, 30
	s_mov_b32 s0, 31
.LBB122_631:                            ; =>This Inner Loop Header: Depth=1
	ds_load_b64 v[140:141], v131
	s_wait_dscnt 0x1
	v_cmp_gt_f32_e32 vcc_lo, 0, v132
	v_cndmask_b32_e64 v142, v132, -v132, vcc_lo
	v_cmp_gt_f32_e32 vcc_lo, 0, v133
	v_cndmask_b32_e64 v144, v133, -v133, vcc_lo
	s_wait_dscnt 0x0
	v_cmp_gt_f32_e32 vcc_lo, 0, v140
	v_cndmask_b32_e64 v143, v140, -v140, vcc_lo
	v_cmp_gt_f32_e32 vcc_lo, 0, v141
	v_cndmask_b32_e64 v145, v141, -v141, vcc_lo
	s_delay_alu instid0(VALU_DEP_1) | instskip(NEXT) | instid1(VALU_DEP_1)
	v_pk_add_f32 v[142:143], v[142:143], v[144:145]
	v_cmp_lt_f32_e32 vcc_lo, v142, v143
	v_dual_add_nc_u32 v131, 8, v131 :: v_dual_cndmask_b32 v133, v133, v141, vcc_lo
	v_cndmask_b32_e32 v132, v132, v140, vcc_lo
	v_cndmask_b32_e64 v130, v130, s0, vcc_lo
	s_add_co_i32 s0, s0, 1
	s_delay_alu instid0(SALU_CYCLE_1)
	s_cmp_lg_u32 s18, s0
	s_cbranch_scc1 .LBB122_631
.LBB122_632:
	s_wait_dscnt 0x0
	v_cmp_eq_f32_e32 vcc_lo, 0, v132
	v_cmp_eq_f32_e64 s0, 0, v133
	s_and_b32 s0, vcc_lo, s0
	s_delay_alu instid0(SALU_CYCLE_1) | instskip(NEXT) | instid1(SALU_CYCLE_1)
	s_and_saveexec_b32 s1, s0
	s_xor_b32 s0, exec_lo, s1
; %bb.633:
	v_cmp_ne_u32_e32 vcc_lo, 0, v136
	v_cndmask_b32_e32 v136, 31, v136, vcc_lo
; %bb.634:
	s_and_not1_saveexec_b32 s0, s0
	s_cbranch_execz .LBB122_640
; %bb.635:
	v_cmp_ngt_f32_e64 s1, |v132|, |v133|
	s_and_saveexec_b32 s12, s1
	s_delay_alu instid0(SALU_CYCLE_1)
	s_xor_b32 s1, exec_lo, s12
	s_cbranch_execz .LBB122_637
; %bb.636:
	v_div_scale_f32 v131, null, v133, v133, v132
	v_div_scale_f32 v141, vcc_lo, v132, v133, v132
	s_delay_alu instid0(VALU_DEP_2) | instskip(SKIP_1) | instid1(TRANS32_DEP_1)
	v_rcp_f32_e32 v139, v131
	v_nop
	v_fma_f32 v140, -v131, v139, 1.0
	s_delay_alu instid0(VALU_DEP_1) | instskip(NEXT) | instid1(VALU_DEP_1)
	v_fmac_f32_e32 v139, v140, v139
	v_mul_f32_e32 v140, v141, v139
	s_delay_alu instid0(VALU_DEP_1) | instskip(NEXT) | instid1(VALU_DEP_1)
	v_fma_f32 v142, -v131, v140, v141
	v_fmac_f32_e32 v140, v142, v139
	s_delay_alu instid0(VALU_DEP_1) | instskip(NEXT) | instid1(VALU_DEP_1)
	v_fma_f32 v131, -v131, v140, v141
	v_div_fmas_f32 v131, v131, v139, v140
	s_delay_alu instid0(VALU_DEP_1) | instskip(NEXT) | instid1(VALU_DEP_1)
	v_div_fixup_f32 v131, v131, v133, v132
	v_fmac_f32_e32 v133, v132, v131
	s_delay_alu instid0(VALU_DEP_1) | instskip(SKIP_1) | instid1(VALU_DEP_2)
	v_div_scale_f32 v132, null, v133, v133, 1.0
	v_div_scale_f32 v141, vcc_lo, 1.0, v133, 1.0
	v_rcp_f32_e32 v139, v132
	v_nop
	s_delay_alu instid0(TRANS32_DEP_1) | instskip(NEXT) | instid1(VALU_DEP_1)
	v_fma_f32 v140, -v132, v139, 1.0
	v_fmac_f32_e32 v139, v140, v139
	s_delay_alu instid0(VALU_DEP_1) | instskip(NEXT) | instid1(VALU_DEP_1)
	v_mul_f32_e32 v140, v141, v139
	v_fma_f32 v142, -v132, v140, v141
	s_delay_alu instid0(VALU_DEP_1) | instskip(NEXT) | instid1(VALU_DEP_1)
	v_fmac_f32_e32 v140, v142, v139
	v_fma_f32 v132, -v132, v140, v141
	s_delay_alu instid0(VALU_DEP_1) | instskip(NEXT) | instid1(VALU_DEP_1)
	v_div_fmas_f32 v132, v132, v139, v140
	v_div_fixup_f32 v133, v132, v133, 1.0
	s_delay_alu instid0(VALU_DEP_1)
	v_mul_f32_e32 v132, v131, v133
	v_xor_b32_e32 v133, 0x80000000, v133
.LBB122_637:
	s_and_not1_saveexec_b32 s1, s1
	s_cbranch_execz .LBB122_639
; %bb.638:
	s_delay_alu instid0(VALU_DEP_1) | instskip(SKIP_1) | instid1(VALU_DEP_2)
	v_div_scale_f32 v131, null, v132, v132, v133
	v_div_scale_f32 v141, vcc_lo, v133, v132, v133
	v_rcp_f32_e32 v139, v131
	v_nop
	s_delay_alu instid0(TRANS32_DEP_1) | instskip(NEXT) | instid1(VALU_DEP_1)
	v_fma_f32 v140, -v131, v139, 1.0
	v_fmac_f32_e32 v139, v140, v139
	s_delay_alu instid0(VALU_DEP_1) | instskip(NEXT) | instid1(VALU_DEP_1)
	v_mul_f32_e32 v140, v141, v139
	v_fma_f32 v142, -v131, v140, v141
	s_delay_alu instid0(VALU_DEP_1) | instskip(NEXT) | instid1(VALU_DEP_1)
	v_fmac_f32_e32 v140, v142, v139
	v_fma_f32 v131, -v131, v140, v141
	s_delay_alu instid0(VALU_DEP_1) | instskip(NEXT) | instid1(VALU_DEP_1)
	v_div_fmas_f32 v131, v131, v139, v140
	v_div_fixup_f32 v131, v131, v132, v133
	s_delay_alu instid0(VALU_DEP_1) | instskip(NEXT) | instid1(VALU_DEP_1)
	v_fmac_f32_e32 v132, v133, v131
	v_div_scale_f32 v133, null, v132, v132, 1.0
	s_delay_alu instid0(VALU_DEP_1) | instskip(SKIP_1) | instid1(TRANS32_DEP_1)
	v_rcp_f32_e32 v139, v133
	v_nop
	v_fma_f32 v140, -v133, v139, 1.0
	s_delay_alu instid0(VALU_DEP_1) | instskip(SKIP_1) | instid1(VALU_DEP_1)
	v_fmac_f32_e32 v139, v140, v139
	v_div_scale_f32 v140, vcc_lo, 1.0, v132, 1.0
	v_mul_f32_e32 v141, v140, v139
	s_delay_alu instid0(VALU_DEP_1) | instskip(NEXT) | instid1(VALU_DEP_1)
	v_fma_f32 v142, -v133, v141, v140
	v_fmac_f32_e32 v141, v142, v139
	s_delay_alu instid0(VALU_DEP_1) | instskip(NEXT) | instid1(VALU_DEP_1)
	v_fma_f32 v133, -v133, v141, v140
	v_div_fmas_f32 v133, v133, v139, v141
	s_delay_alu instid0(VALU_DEP_1) | instskip(NEXT) | instid1(VALU_DEP_1)
	v_div_fixup_f32 v132, v133, v132, 1.0
	v_mul_f32_e64 v133, v131, -v132
.LBB122_639:
	s_or_b32 exec_lo, exec_lo, s1
.LBB122_640:
	s_delay_alu instid0(SALU_CYCLE_1) | instskip(NEXT) | instid1(SALU_CYCLE_1)
	s_or_b32 exec_lo, exec_lo, s0
	s_mov_b32 s0, exec_lo
	v_cmpx_ne_u32_e64 v138, v130
	s_xor_b32 s0, exec_lo, s0
	s_cbranch_execz .LBB122_646
; %bb.641:
	s_mov_b32 s1, exec_lo
	v_cmpx_eq_u32_e32 30, v138
	s_cbranch_execz .LBB122_645
; %bb.642:
	v_cmp_ne_u32_e32 vcc_lo, 30, v130
	s_xor_b32 s12, s16, -1
	s_delay_alu instid0(SALU_CYCLE_1) | instskip(NEXT) | instid1(SALU_CYCLE_1)
	s_and_b32 s13, s12, vcc_lo
	s_and_saveexec_b32 s12, s13
	s_cbranch_execz .LBB122_644
; %bb.643:
	v_ashrrev_i32_e32 v131, 31, v130
	s_delay_alu instid0(VALU_DEP_1)
	v_lshl_add_u64 v[138:139], v[130:131], 2, v[4:5]
	s_clause 0x1
	global_load_b32 v131, v[138:139], off
	global_load_b32 v137, v[4:5], off offset:120
	s_wait_loadcnt 0x1
	global_store_b32 v[4:5], v131, off offset:120
	s_wait_loadcnt 0x0
	global_store_b32 v[138:139], v137, off
.LBB122_644:
	s_wait_xcnt 0x0
	s_or_b32 exec_lo, exec_lo, s12
	v_dual_mov_b32 v138, v130 :: v_dual_mov_b32 v137, v130
.LBB122_645:
	s_or_b32 exec_lo, exec_lo, s1
.LBB122_646:
	s_and_not1_saveexec_b32 s0, s0
	s_cbranch_execz .LBB122_648
; %bb.647:
	v_mov_b32_e32 v138, 30
	ds_store_2addr_b64 v134, v[52:53], v[104:105] offset0:31 offset1:32
	ds_store_2addr_b64 v134, v[48:49], v[50:51] offset0:33 offset1:34
	;; [unrolled: 1-line block ×15, first 2 shown]
	ds_store_b64 v134, v[128:129] offset:488
.LBB122_648:
	s_or_b32 exec_lo, exec_lo, s0
	s_delay_alu instid0(SALU_CYCLE_1)
	s_mov_b32 s0, exec_lo
	s_wait_storecnt_dscnt 0x0
	s_barrier_signal -1
	s_barrier_wait -1
	v_cmpx_lt_i32_e32 30, v138
	s_cbranch_execz .LBB122_650
; %bb.649:
	v_pk_mul_f32 v[140:141], v[132:133], v[56:57] op_sel:[1,1] op_sel_hi:[0,1]
	s_delay_alu instid0(VALU_DEP_1)
	v_pk_fma_f32 v[130:131], v[132:133], v[56:57], v[140:141] op_sel_hi:[1,0,1] neg_lo:[0,0,1] neg_hi:[0,0,1]
	v_pk_fma_f32 v[132:133], v[132:133], v[56:57], v[140:141] op_sel_hi:[1,0,1]
	ds_load_2addr_b64 v[140:143], v134 offset0:31 offset1:32
	v_dual_mov_b32 v56, v130 :: v_dual_mov_b32 v57, v133
	s_wait_dscnt 0x0
	v_pk_mul_f32 v[144:145], v[140:141], v[132:133] op_sel:[0,1]
	s_delay_alu instid0(VALU_DEP_1) | instskip(SKIP_1) | instid1(VALU_DEP_1)
	v_pk_fma_f32 v[146:147], v[140:141], v[130:131], v[144:145] op_sel:[0,0,1] op_sel_hi:[1,1,0] neg_lo:[0,0,1] neg_hi:[0,0,1]
	v_pk_fma_f32 v[140:141], v[140:141], v[130:131], v[144:145] op_sel:[0,0,1] op_sel_hi:[1,0,0]
	v_mov_b32_e32 v147, v141
	v_pk_mul_f32 v[140:141], v[142:143], v[132:133] op_sel:[0,1]
	s_delay_alu instid0(VALU_DEP_1) | instskip(SKIP_1) | instid1(VALU_DEP_1)
	v_pk_fma_f32 v[144:145], v[142:143], v[130:131], v[140:141] op_sel:[0,0,1] op_sel_hi:[1,1,0] neg_lo:[0,0,1] neg_hi:[0,0,1]
	v_pk_fma_f32 v[140:141], v[142:143], v[130:131], v[140:141] op_sel:[0,0,1] op_sel_hi:[1,0,0]
	v_mov_b32_e32 v145, v141
	ds_load_2addr_b64 v[140:143], v134 offset0:33 offset1:34
	v_pk_add_f32 v[52:53], v[52:53], v[146:147] neg_lo:[0,1] neg_hi:[0,1]
	v_pk_add_f32 v[104:105], v[104:105], v[144:145] neg_lo:[0,1] neg_hi:[0,1]
	s_wait_dscnt 0x0
	v_pk_mul_f32 v[144:145], v[140:141], v[132:133] op_sel:[0,1]
	s_delay_alu instid0(VALU_DEP_1) | instskip(SKIP_2) | instid1(VALU_DEP_2)
	v_pk_fma_f32 v[146:147], v[140:141], v[130:131], v[144:145] op_sel:[0,0,1] op_sel_hi:[1,1,0] neg_lo:[0,0,1] neg_hi:[0,0,1]
	v_pk_fma_f32 v[140:141], v[140:141], v[130:131], v[144:145] op_sel:[0,0,1] op_sel_hi:[1,0,0]
	v_dual_mul_f32 v144, v143, v133 :: v_dual_mov_b32 v140, v143
	v_dual_mov_b32 v147, v141 :: v_dual_mov_b32 v141, v142
	s_delay_alu instid0(VALU_DEP_2) | instskip(SKIP_1) | instid1(VALU_DEP_3)
	v_pk_fma_f32 v[144:145], v[142:143], v[56:57], v[144:145] op_sel_hi:[1,1,0] neg_lo:[0,0,1] neg_hi:[0,0,1]
	v_mul_f32_e32 v142, v143, v130
	v_pk_add_f32 v[48:49], v[48:49], v[146:147] neg_lo:[0,1] neg_hi:[0,1]
	s_delay_alu instid0(VALU_DEP_2) | instskip(NEXT) | instid1(VALU_DEP_1)
	v_pk_fma_f32 v[140:141], v[140:141], v[56:57], v[142:143] op_sel_hi:[1,1,0]
	v_mov_b32_e32 v145, v141
	ds_load_2addr_b64 v[140:143], v134 offset0:35 offset1:36
	v_pk_add_f32 v[50:51], v[50:51], v[144:145] neg_lo:[0,1] neg_hi:[0,1]
	s_wait_dscnt 0x0
	v_pk_mul_f32 v[144:145], v[140:141], v[132:133] op_sel:[0,1]
	s_delay_alu instid0(VALU_DEP_1) | instskip(SKIP_1) | instid1(VALU_DEP_1)
	v_pk_fma_f32 v[146:147], v[140:141], v[130:131], v[144:145] op_sel:[0,0,1] op_sel_hi:[1,1,0] neg_lo:[0,0,1] neg_hi:[0,0,1]
	v_pk_fma_f32 v[140:141], v[140:141], v[130:131], v[144:145] op_sel:[0,0,1] op_sel_hi:[1,0,0]
	v_mov_b32_e32 v147, v141
	v_pk_mul_f32 v[140:141], v[142:143], v[132:133] op_sel:[0,1]
	s_delay_alu instid0(VALU_DEP_1) | instskip(SKIP_1) | instid1(VALU_DEP_1)
	v_pk_fma_f32 v[144:145], v[142:143], v[130:131], v[140:141] op_sel:[0,0,1] op_sel_hi:[1,1,0] neg_lo:[0,0,1] neg_hi:[0,0,1]
	v_pk_fma_f32 v[140:141], v[142:143], v[130:131], v[140:141] op_sel:[0,0,1] op_sel_hi:[1,0,0]
	v_mov_b32_e32 v145, v141
	ds_load_2addr_b64 v[140:143], v134 offset0:37 offset1:38
	v_pk_add_f32 v[46:47], v[46:47], v[146:147] neg_lo:[0,1] neg_hi:[0,1]
	v_pk_add_f32 v[102:103], v[102:103], v[144:145] neg_lo:[0,1] neg_hi:[0,1]
	s_wait_dscnt 0x0
	v_pk_mul_f32 v[144:145], v[140:141], v[132:133] op_sel:[0,1]
	s_delay_alu instid0(VALU_DEP_1) | instskip(SKIP_1) | instid1(VALU_DEP_1)
	v_pk_fma_f32 v[146:147], v[140:141], v[130:131], v[144:145] op_sel:[0,0,1] op_sel_hi:[1,1,0] neg_lo:[0,0,1] neg_hi:[0,0,1]
	v_pk_fma_f32 v[140:141], v[140:141], v[130:131], v[144:145] op_sel:[0,0,1] op_sel_hi:[1,0,0]
	v_mov_b32_e32 v147, v141
	v_pk_mul_f32 v[140:141], v[142:143], v[132:133] op_sel:[0,1]
	s_delay_alu instid0(VALU_DEP_1) | instskip(SKIP_1) | instid1(VALU_DEP_1)
	v_pk_fma_f32 v[144:145], v[142:143], v[130:131], v[140:141] op_sel:[0,0,1] op_sel_hi:[1,1,0] neg_lo:[0,0,1] neg_hi:[0,0,1]
	v_pk_fma_f32 v[140:141], v[142:143], v[130:131], v[140:141] op_sel:[0,0,1] op_sel_hi:[1,0,0]
	v_mov_b32_e32 v145, v141
	ds_load_2addr_b64 v[140:143], v134 offset0:39 offset1:40
	v_pk_add_f32 v[40:41], v[40:41], v[146:147] neg_lo:[0,1] neg_hi:[0,1]
	v_pk_add_f32 v[42:43], v[42:43], v[144:145] neg_lo:[0,1] neg_hi:[0,1]
	s_wait_dscnt 0x0
	v_dual_mul_f32 v144, v141, v133 :: v_dual_mul_f32 v146, v141, v130
	s_delay_alu instid0(VALU_DEP_1) | instskip(NEXT) | instid1(VALU_DEP_2)
	v_pk_fma_f32 v[144:145], v[140:141], v[56:57], v[144:145] op_sel_hi:[1,1,0] neg_lo:[0,0,1] neg_hi:[0,0,1]
	v_pk_fma_f32 v[140:141], v[140:141], v[56:57], v[146:147] op_sel:[1,0,0] op_sel_hi:[0,1,0]
	s_delay_alu instid0(VALU_DEP_1) | instskip(SKIP_1) | instid1(VALU_DEP_2)
	v_mov_b32_e32 v145, v141
	v_pk_mul_f32 v[140:141], v[142:143], v[132:133] op_sel:[0,1]
	v_pk_add_f32 v[38:39], v[38:39], v[144:145] neg_lo:[0,1] neg_hi:[0,1]
	s_delay_alu instid0(VALU_DEP_2) | instskip(SKIP_1) | instid1(VALU_DEP_1)
	v_pk_fma_f32 v[144:145], v[142:143], v[130:131], v[140:141] op_sel:[0,0,1] op_sel_hi:[1,1,0] neg_lo:[0,0,1] neg_hi:[0,0,1]
	v_pk_fma_f32 v[140:141], v[142:143], v[130:131], v[140:141] op_sel:[0,0,1] op_sel_hi:[1,0,0]
	v_mov_b32_e32 v145, v141
	ds_load_2addr_b64 v[140:143], v134 offset0:41 offset1:42
	v_pk_add_f32 v[100:101], v[100:101], v[144:145] neg_lo:[0,1] neg_hi:[0,1]
	s_wait_dscnt 0x0
	v_pk_mul_f32 v[144:145], v[140:141], v[132:133] op_sel:[0,1]
	s_delay_alu instid0(VALU_DEP_1) | instskip(SKIP_1) | instid1(VALU_DEP_1)
	v_pk_fma_f32 v[146:147], v[140:141], v[130:131], v[144:145] op_sel:[0,0,1] op_sel_hi:[1,1,0] neg_lo:[0,0,1] neg_hi:[0,0,1]
	v_pk_fma_f32 v[140:141], v[140:141], v[130:131], v[144:145] op_sel:[0,0,1] op_sel_hi:[1,0,0]
	v_mov_b32_e32 v147, v141
	v_pk_mul_f32 v[140:141], v[142:143], v[132:133] op_sel:[0,1]
	s_delay_alu instid0(VALU_DEP_2) | instskip(NEXT) | instid1(VALU_DEP_2)
	v_pk_add_f32 v[32:33], v[32:33], v[146:147] neg_lo:[0,1] neg_hi:[0,1]
	v_pk_fma_f32 v[144:145], v[142:143], v[130:131], v[140:141] op_sel:[0,0,1] op_sel_hi:[1,1,0] neg_lo:[0,0,1] neg_hi:[0,0,1]
	v_pk_fma_f32 v[140:141], v[142:143], v[130:131], v[140:141] op_sel:[0,0,1] op_sel_hi:[1,0,0]
	s_delay_alu instid0(VALU_DEP_1) | instskip(SKIP_4) | instid1(VALU_DEP_1)
	v_mov_b32_e32 v145, v141
	ds_load_2addr_b64 v[140:143], v134 offset0:43 offset1:44
	v_pk_add_f32 v[34:35], v[34:35], v[144:145] neg_lo:[0,1] neg_hi:[0,1]
	s_wait_dscnt 0x0
	v_pk_mul_f32 v[144:145], v[140:141], v[132:133] op_sel:[0,1]
	v_pk_fma_f32 v[146:147], v[140:141], v[130:131], v[144:145] op_sel:[0,0,1] op_sel_hi:[1,1,0] neg_lo:[0,0,1] neg_hi:[0,0,1]
	v_pk_fma_f32 v[140:141], v[140:141], v[130:131], v[144:145] op_sel:[0,0,1] op_sel_hi:[1,0,0]
	v_dual_mul_f32 v144, v143, v133 :: v_dual_mov_b32 v140, v143
	s_delay_alu instid0(VALU_DEP_2) | instskip(NEXT) | instid1(VALU_DEP_2)
	v_dual_mov_b32 v147, v141 :: v_dual_mov_b32 v141, v142
	v_pk_fma_f32 v[144:145], v[142:143], v[56:57], v[144:145] op_sel_hi:[1,1,0] neg_lo:[0,0,1] neg_hi:[0,0,1]
	v_mul_f32_e32 v142, v143, v130
	s_delay_alu instid0(VALU_DEP_3) | instskip(NEXT) | instid1(VALU_DEP_2)
	v_pk_add_f32 v[30:31], v[30:31], v[146:147] neg_lo:[0,1] neg_hi:[0,1]
	v_pk_fma_f32 v[140:141], v[140:141], v[56:57], v[142:143] op_sel_hi:[1,1,0]
	s_delay_alu instid0(VALU_DEP_1) | instskip(SKIP_4) | instid1(VALU_DEP_1)
	v_mov_b32_e32 v145, v141
	ds_load_2addr_b64 v[140:143], v134 offset0:45 offset1:46
	v_pk_add_f32 v[98:99], v[98:99], v[144:145] neg_lo:[0,1] neg_hi:[0,1]
	s_wait_dscnt 0x0
	v_pk_mul_f32 v[144:145], v[140:141], v[132:133] op_sel:[0,1]
	v_pk_fma_f32 v[146:147], v[140:141], v[130:131], v[144:145] op_sel:[0,0,1] op_sel_hi:[1,1,0] neg_lo:[0,0,1] neg_hi:[0,0,1]
	v_pk_fma_f32 v[140:141], v[140:141], v[130:131], v[144:145] op_sel:[0,0,1] op_sel_hi:[1,0,0]
	s_delay_alu instid0(VALU_DEP_1) | instskip(SKIP_1) | instid1(VALU_DEP_1)
	v_mov_b32_e32 v147, v141
	v_pk_mul_f32 v[140:141], v[142:143], v[132:133] op_sel:[0,1]
	v_pk_fma_f32 v[144:145], v[142:143], v[130:131], v[140:141] op_sel:[0,0,1] op_sel_hi:[1,1,0] neg_lo:[0,0,1] neg_hi:[0,0,1]
	v_pk_fma_f32 v[140:141], v[142:143], v[130:131], v[140:141] op_sel:[0,0,1] op_sel_hi:[1,0,0]
	s_delay_alu instid0(VALU_DEP_1)
	v_mov_b32_e32 v145, v141
	ds_load_2addr_b64 v[140:143], v134 offset0:47 offset1:48
	v_pk_add_f32 v[24:25], v[24:25], v[146:147] neg_lo:[0,1] neg_hi:[0,1]
	v_pk_add_f32 v[28:29], v[28:29], v[144:145] neg_lo:[0,1] neg_hi:[0,1]
	s_wait_dscnt 0x0
	v_pk_mul_f32 v[144:145], v[140:141], v[132:133] op_sel:[0,1]
	s_delay_alu instid0(VALU_DEP_1) | instskip(SKIP_1) | instid1(VALU_DEP_1)
	v_pk_fma_f32 v[146:147], v[140:141], v[130:131], v[144:145] op_sel:[0,0,1] op_sel_hi:[1,1,0] neg_lo:[0,0,1] neg_hi:[0,0,1]
	v_pk_fma_f32 v[140:141], v[140:141], v[130:131], v[144:145] op_sel:[0,0,1] op_sel_hi:[1,0,0]
	v_mov_b32_e32 v147, v141
	v_pk_mul_f32 v[140:141], v[142:143], v[132:133] op_sel:[0,1]
	s_delay_alu instid0(VALU_DEP_1) | instskip(SKIP_1) | instid1(VALU_DEP_1)
	v_pk_fma_f32 v[144:145], v[142:143], v[130:131], v[140:141] op_sel:[0,0,1] op_sel_hi:[1,1,0] neg_lo:[0,0,1] neg_hi:[0,0,1]
	v_pk_fma_f32 v[140:141], v[142:143], v[130:131], v[140:141] op_sel:[0,0,1] op_sel_hi:[1,0,0]
	v_mov_b32_e32 v145, v141
	ds_load_2addr_b64 v[140:143], v134 offset0:49 offset1:50
	v_pk_add_f32 v[22:23], v[22:23], v[146:147] neg_lo:[0,1] neg_hi:[0,1]
	v_pk_add_f32 v[96:97], v[96:97], v[144:145] neg_lo:[0,1] neg_hi:[0,1]
	s_wait_dscnt 0x0
	v_dual_mul_f32 v144, v141, v133 :: v_dual_mul_f32 v146, v141, v130
	s_delay_alu instid0(VALU_DEP_1) | instskip(NEXT) | instid1(VALU_DEP_2)
	v_pk_fma_f32 v[144:145], v[140:141], v[56:57], v[144:145] op_sel_hi:[1,1,0] neg_lo:[0,0,1] neg_hi:[0,0,1]
	v_pk_fma_f32 v[140:141], v[140:141], v[56:57], v[146:147] op_sel:[1,0,0] op_sel_hi:[0,1,0]
	s_delay_alu instid0(VALU_DEP_1) | instskip(SKIP_1) | instid1(VALU_DEP_2)
	v_mov_b32_e32 v145, v141
	v_pk_mul_f32 v[140:141], v[142:143], v[132:133] op_sel:[0,1]
	v_pk_add_f32 v[18:19], v[18:19], v[144:145] neg_lo:[0,1] neg_hi:[0,1]
	s_delay_alu instid0(VALU_DEP_2) | instskip(SKIP_1) | instid1(VALU_DEP_1)
	v_pk_fma_f32 v[144:145], v[142:143], v[130:131], v[140:141] op_sel:[0,0,1] op_sel_hi:[1,1,0] neg_lo:[0,0,1] neg_hi:[0,0,1]
	v_pk_fma_f32 v[140:141], v[142:143], v[130:131], v[140:141] op_sel:[0,0,1] op_sel_hi:[1,0,0]
	v_mov_b32_e32 v145, v141
	ds_load_2addr_b64 v[140:143], v134 offset0:51 offset1:52
	v_pk_add_f32 v[20:21], v[20:21], v[144:145] neg_lo:[0,1] neg_hi:[0,1]
	s_wait_dscnt 0x0
	v_pk_mul_f32 v[144:145], v[140:141], v[132:133] op_sel:[0,1]
	s_delay_alu instid0(VALU_DEP_1) | instskip(SKIP_1) | instid1(VALU_DEP_1)
	v_pk_fma_f32 v[146:147], v[140:141], v[130:131], v[144:145] op_sel:[0,0,1] op_sel_hi:[1,1,0] neg_lo:[0,0,1] neg_hi:[0,0,1]
	v_pk_fma_f32 v[140:141], v[140:141], v[130:131], v[144:145] op_sel:[0,0,1] op_sel_hi:[1,0,0]
	v_mov_b32_e32 v147, v141
	v_pk_mul_f32 v[140:141], v[142:143], v[132:133] op_sel:[0,1]
	s_delay_alu instid0(VALU_DEP_2) | instskip(NEXT) | instid1(VALU_DEP_2)
	v_pk_add_f32 v[36:37], v[36:37], v[146:147] neg_lo:[0,1] neg_hi:[0,1]
	v_pk_fma_f32 v[144:145], v[142:143], v[130:131], v[140:141] op_sel:[0,0,1] op_sel_hi:[1,1,0] neg_lo:[0,0,1] neg_hi:[0,0,1]
	v_pk_fma_f32 v[140:141], v[142:143], v[130:131], v[140:141] op_sel:[0,0,1] op_sel_hi:[1,0,0]
	s_delay_alu instid0(VALU_DEP_1) | instskip(SKIP_4) | instid1(VALU_DEP_1)
	v_mov_b32_e32 v145, v141
	ds_load_2addr_b64 v[140:143], v134 offset0:53 offset1:54
	v_pk_add_f32 v[86:87], v[86:87], v[144:145] neg_lo:[0,1] neg_hi:[0,1]
	s_wait_dscnt 0x0
	v_pk_mul_f32 v[144:145], v[140:141], v[132:133] op_sel:[0,1]
	v_pk_fma_f32 v[146:147], v[140:141], v[130:131], v[144:145] op_sel:[0,0,1] op_sel_hi:[1,1,0] neg_lo:[0,0,1] neg_hi:[0,0,1]
	v_pk_fma_f32 v[140:141], v[140:141], v[130:131], v[144:145] op_sel:[0,0,1] op_sel_hi:[1,0,0]
	v_dual_mul_f32 v144, v143, v133 :: v_dual_mov_b32 v140, v143
	s_delay_alu instid0(VALU_DEP_2) | instskip(NEXT) | instid1(VALU_DEP_2)
	v_dual_mov_b32 v147, v141 :: v_dual_mov_b32 v141, v142
	v_pk_fma_f32 v[144:145], v[142:143], v[56:57], v[144:145] op_sel_hi:[1,1,0] neg_lo:[0,0,1] neg_hi:[0,0,1]
	v_mul_f32_e32 v142, v143, v130
	s_delay_alu instid0(VALU_DEP_3) | instskip(NEXT) | instid1(VALU_DEP_2)
	v_pk_add_f32 v[10:11], v[10:11], v[146:147] neg_lo:[0,1] neg_hi:[0,1]
	v_pk_fma_f32 v[140:141], v[140:141], v[56:57], v[142:143] op_sel_hi:[1,1,0]
	s_delay_alu instid0(VALU_DEP_1) | instskip(SKIP_4) | instid1(VALU_DEP_1)
	v_mov_b32_e32 v145, v141
	ds_load_2addr_b64 v[140:143], v134 offset0:55 offset1:56
	v_pk_add_f32 v[12:13], v[12:13], v[144:145] neg_lo:[0,1] neg_hi:[0,1]
	s_wait_dscnt 0x0
	v_pk_mul_f32 v[144:145], v[140:141], v[132:133] op_sel:[0,1]
	v_pk_fma_f32 v[146:147], v[140:141], v[130:131], v[144:145] op_sel:[0,0,1] op_sel_hi:[1,1,0] neg_lo:[0,0,1] neg_hi:[0,0,1]
	v_pk_fma_f32 v[140:141], v[140:141], v[130:131], v[144:145] op_sel:[0,0,1] op_sel_hi:[1,0,0]
	s_delay_alu instid0(VALU_DEP_1) | instskip(SKIP_1) | instid1(VALU_DEP_1)
	v_mov_b32_e32 v147, v141
	v_pk_mul_f32 v[140:141], v[142:143], v[132:133] op_sel:[0,1]
	v_pk_fma_f32 v[144:145], v[142:143], v[130:131], v[140:141] op_sel:[0,0,1] op_sel_hi:[1,1,0] neg_lo:[0,0,1] neg_hi:[0,0,1]
	v_pk_fma_f32 v[140:141], v[142:143], v[130:131], v[140:141] op_sel:[0,0,1] op_sel_hi:[1,0,0]
	s_delay_alu instid0(VALU_DEP_1)
	v_mov_b32_e32 v145, v141
	ds_load_2addr_b64 v[140:143], v134 offset0:57 offset1:58
	v_pk_add_f32 v[8:9], v[8:9], v[146:147] neg_lo:[0,1] neg_hi:[0,1]
	v_pk_add_f32 v[44:45], v[44:45], v[144:145] neg_lo:[0,1] neg_hi:[0,1]
	s_wait_dscnt 0x0
	v_pk_mul_f32 v[144:145], v[140:141], v[132:133] op_sel:[0,1]
	s_delay_alu instid0(VALU_DEP_1) | instskip(SKIP_1) | instid1(VALU_DEP_1)
	v_pk_fma_f32 v[146:147], v[140:141], v[130:131], v[144:145] op_sel:[0,0,1] op_sel_hi:[1,1,0] neg_lo:[0,0,1] neg_hi:[0,0,1]
	v_pk_fma_f32 v[140:141], v[140:141], v[130:131], v[144:145] op_sel:[0,0,1] op_sel_hi:[1,0,0]
	v_mov_b32_e32 v147, v141
	v_pk_mul_f32 v[140:141], v[142:143], v[132:133] op_sel:[0,1]
	s_delay_alu instid0(VALU_DEP_1) | instskip(SKIP_1) | instid1(VALU_DEP_1)
	v_pk_fma_f32 v[144:145], v[142:143], v[130:131], v[140:141] op_sel:[0,0,1] op_sel_hi:[1,1,0] neg_lo:[0,0,1] neg_hi:[0,0,1]
	v_pk_fma_f32 v[140:141], v[142:143], v[130:131], v[140:141] op_sel:[0,0,1] op_sel_hi:[1,0,0]
	v_mov_b32_e32 v145, v141
	ds_load_2addr_b64 v[140:143], v134 offset0:59 offset1:60
	v_pk_add_f32 v[6:7], v[6:7], v[146:147] neg_lo:[0,1] neg_hi:[0,1]
	v_pk_add_f32 v[26:27], v[26:27], v[144:145] neg_lo:[0,1] neg_hi:[0,1]
	s_wait_dscnt 0x0
	v_dual_mul_f32 v144, v141, v133 :: v_dual_mul_f32 v146, v141, v130
	s_delay_alu instid0(VALU_DEP_1) | instskip(NEXT) | instid1(VALU_DEP_2)
	v_pk_fma_f32 v[144:145], v[140:141], v[56:57], v[144:145] op_sel_hi:[1,1,0] neg_lo:[0,0,1] neg_hi:[0,0,1]
	v_pk_fma_f32 v[140:141], v[140:141], v[56:57], v[146:147] op_sel:[1,0,0] op_sel_hi:[0,1,0]
	s_delay_alu instid0(VALU_DEP_1) | instskip(SKIP_1) | instid1(VALU_DEP_2)
	v_mov_b32_e32 v145, v141
	v_pk_mul_f32 v[140:141], v[142:143], v[132:133] op_sel:[0,1]
	v_pk_add_f32 v[16:17], v[16:17], v[144:145] neg_lo:[0,1] neg_hi:[0,1]
	s_delay_alu instid0(VALU_DEP_2) | instskip(SKIP_1) | instid1(VALU_DEP_1)
	v_pk_fma_f32 v[144:145], v[142:143], v[130:131], v[140:141] op_sel:[0,0,1] op_sel_hi:[1,1,0] neg_lo:[0,0,1] neg_hi:[0,0,1]
	v_pk_fma_f32 v[140:141], v[142:143], v[130:131], v[140:141] op_sel:[0,0,1] op_sel_hi:[1,0,0]
	v_mov_b32_e32 v145, v141
	ds_load_b64 v[140:141], v134 offset:488
	v_pk_add_f32 v[14:15], v[14:15], v[144:145] neg_lo:[0,1] neg_hi:[0,1]
	s_wait_dscnt 0x0
	v_pk_mul_f32 v[132:133], v[140:141], v[132:133] op_sel:[0,1]
	s_delay_alu instid0(VALU_DEP_1) | instskip(SKIP_1) | instid1(VALU_DEP_1)
	v_pk_fma_f32 v[142:143], v[140:141], v[130:131], v[132:133] op_sel:[0,0,1] op_sel_hi:[1,1,0] neg_lo:[0,0,1] neg_hi:[0,0,1]
	v_pk_fma_f32 v[130:131], v[140:141], v[130:131], v[132:133] op_sel:[0,0,1] op_sel_hi:[1,0,0]
	v_mov_b32_e32 v143, v131
	s_delay_alu instid0(VALU_DEP_1)
	v_pk_add_f32 v[128:129], v[128:129], v[142:143] neg_lo:[0,1] neg_hi:[0,1]
.LBB122_650:
	s_or_b32 exec_lo, exec_lo, s0
	v_lshl_add_u32 v130, v138, 3, v134
	s_barrier_signal -1
	s_barrier_wait -1
	ds_store_b64 v130, v[52:53]
	s_wait_dscnt 0x0
	s_barrier_signal -1
	s_barrier_wait -1
	ds_load_b64 v[132:133], v134 offset:248
	v_mov_b32_e32 v130, 31
	s_cmp_lt_i32 s18, 33
	s_cbranch_scc1 .LBB122_653
; %bb.651:
	v_add3_u32 v131, v135, 0, 0x100
	v_mov_b32_e32 v130, 31
	s_mov_b32 s0, 32
.LBB122_652:                            ; =>This Inner Loop Header: Depth=1
	ds_load_b64 v[140:141], v131
	s_wait_dscnt 0x1
	v_cmp_gt_f32_e32 vcc_lo, 0, v132
	v_cndmask_b32_e64 v142, v132, -v132, vcc_lo
	v_cmp_gt_f32_e32 vcc_lo, 0, v133
	v_cndmask_b32_e64 v144, v133, -v133, vcc_lo
	s_wait_dscnt 0x0
	v_cmp_gt_f32_e32 vcc_lo, 0, v140
	v_cndmask_b32_e64 v143, v140, -v140, vcc_lo
	v_cmp_gt_f32_e32 vcc_lo, 0, v141
	v_cndmask_b32_e64 v145, v141, -v141, vcc_lo
	s_delay_alu instid0(VALU_DEP_1) | instskip(NEXT) | instid1(VALU_DEP_1)
	v_pk_add_f32 v[142:143], v[142:143], v[144:145]
	v_cmp_lt_f32_e32 vcc_lo, v142, v143
	v_dual_add_nc_u32 v131, 8, v131 :: v_dual_cndmask_b32 v133, v133, v141, vcc_lo
	v_cndmask_b32_e32 v132, v132, v140, vcc_lo
	v_cndmask_b32_e64 v130, v130, s0, vcc_lo
	s_add_co_i32 s0, s0, 1
	s_delay_alu instid0(SALU_CYCLE_1)
	s_cmp_lg_u32 s18, s0
	s_cbranch_scc1 .LBB122_652
.LBB122_653:
	s_wait_dscnt 0x0
	v_cmp_eq_f32_e32 vcc_lo, 0, v132
	v_cmp_eq_f32_e64 s0, 0, v133
	s_and_b32 s0, vcc_lo, s0
	s_delay_alu instid0(SALU_CYCLE_1) | instskip(NEXT) | instid1(SALU_CYCLE_1)
	s_and_saveexec_b32 s1, s0
	s_xor_b32 s0, exec_lo, s1
; %bb.654:
	v_cmp_ne_u32_e32 vcc_lo, 0, v136
	v_cndmask_b32_e32 v136, 32, v136, vcc_lo
; %bb.655:
	s_and_not1_saveexec_b32 s0, s0
	s_cbranch_execz .LBB122_661
; %bb.656:
	v_cmp_ngt_f32_e64 s1, |v132|, |v133|
	s_and_saveexec_b32 s12, s1
	s_delay_alu instid0(SALU_CYCLE_1)
	s_xor_b32 s1, exec_lo, s12
	s_cbranch_execz .LBB122_658
; %bb.657:
	v_div_scale_f32 v131, null, v133, v133, v132
	v_div_scale_f32 v141, vcc_lo, v132, v133, v132
	s_delay_alu instid0(VALU_DEP_2) | instskip(SKIP_1) | instid1(TRANS32_DEP_1)
	v_rcp_f32_e32 v139, v131
	v_nop
	v_fma_f32 v140, -v131, v139, 1.0
	s_delay_alu instid0(VALU_DEP_1) | instskip(NEXT) | instid1(VALU_DEP_1)
	v_fmac_f32_e32 v139, v140, v139
	v_mul_f32_e32 v140, v141, v139
	s_delay_alu instid0(VALU_DEP_1) | instskip(NEXT) | instid1(VALU_DEP_1)
	v_fma_f32 v142, -v131, v140, v141
	v_fmac_f32_e32 v140, v142, v139
	s_delay_alu instid0(VALU_DEP_1) | instskip(NEXT) | instid1(VALU_DEP_1)
	v_fma_f32 v131, -v131, v140, v141
	v_div_fmas_f32 v131, v131, v139, v140
	s_delay_alu instid0(VALU_DEP_1) | instskip(NEXT) | instid1(VALU_DEP_1)
	v_div_fixup_f32 v131, v131, v133, v132
	v_fmac_f32_e32 v133, v132, v131
	s_delay_alu instid0(VALU_DEP_1) | instskip(SKIP_1) | instid1(VALU_DEP_2)
	v_div_scale_f32 v132, null, v133, v133, 1.0
	v_div_scale_f32 v141, vcc_lo, 1.0, v133, 1.0
	v_rcp_f32_e32 v139, v132
	v_nop
	s_delay_alu instid0(TRANS32_DEP_1) | instskip(NEXT) | instid1(VALU_DEP_1)
	v_fma_f32 v140, -v132, v139, 1.0
	v_fmac_f32_e32 v139, v140, v139
	s_delay_alu instid0(VALU_DEP_1) | instskip(NEXT) | instid1(VALU_DEP_1)
	v_mul_f32_e32 v140, v141, v139
	v_fma_f32 v142, -v132, v140, v141
	s_delay_alu instid0(VALU_DEP_1) | instskip(NEXT) | instid1(VALU_DEP_1)
	v_fmac_f32_e32 v140, v142, v139
	v_fma_f32 v132, -v132, v140, v141
	s_delay_alu instid0(VALU_DEP_1) | instskip(NEXT) | instid1(VALU_DEP_1)
	v_div_fmas_f32 v132, v132, v139, v140
	v_div_fixup_f32 v133, v132, v133, 1.0
	s_delay_alu instid0(VALU_DEP_1)
	v_mul_f32_e32 v132, v131, v133
	v_xor_b32_e32 v133, 0x80000000, v133
.LBB122_658:
	s_and_not1_saveexec_b32 s1, s1
	s_cbranch_execz .LBB122_660
; %bb.659:
	s_delay_alu instid0(VALU_DEP_1) | instskip(SKIP_1) | instid1(VALU_DEP_2)
	v_div_scale_f32 v131, null, v132, v132, v133
	v_div_scale_f32 v141, vcc_lo, v133, v132, v133
	v_rcp_f32_e32 v139, v131
	v_nop
	s_delay_alu instid0(TRANS32_DEP_1) | instskip(NEXT) | instid1(VALU_DEP_1)
	v_fma_f32 v140, -v131, v139, 1.0
	v_fmac_f32_e32 v139, v140, v139
	s_delay_alu instid0(VALU_DEP_1) | instskip(NEXT) | instid1(VALU_DEP_1)
	v_mul_f32_e32 v140, v141, v139
	v_fma_f32 v142, -v131, v140, v141
	s_delay_alu instid0(VALU_DEP_1) | instskip(NEXT) | instid1(VALU_DEP_1)
	v_fmac_f32_e32 v140, v142, v139
	v_fma_f32 v131, -v131, v140, v141
	s_delay_alu instid0(VALU_DEP_1) | instskip(NEXT) | instid1(VALU_DEP_1)
	v_div_fmas_f32 v131, v131, v139, v140
	v_div_fixup_f32 v131, v131, v132, v133
	s_delay_alu instid0(VALU_DEP_1) | instskip(NEXT) | instid1(VALU_DEP_1)
	v_fmac_f32_e32 v132, v133, v131
	v_div_scale_f32 v133, null, v132, v132, 1.0
	s_delay_alu instid0(VALU_DEP_1) | instskip(SKIP_1) | instid1(TRANS32_DEP_1)
	v_rcp_f32_e32 v139, v133
	v_nop
	v_fma_f32 v140, -v133, v139, 1.0
	s_delay_alu instid0(VALU_DEP_1) | instskip(SKIP_1) | instid1(VALU_DEP_1)
	v_fmac_f32_e32 v139, v140, v139
	v_div_scale_f32 v140, vcc_lo, 1.0, v132, 1.0
	v_mul_f32_e32 v141, v140, v139
	s_delay_alu instid0(VALU_DEP_1) | instskip(NEXT) | instid1(VALU_DEP_1)
	v_fma_f32 v142, -v133, v141, v140
	v_fmac_f32_e32 v141, v142, v139
	s_delay_alu instid0(VALU_DEP_1) | instskip(NEXT) | instid1(VALU_DEP_1)
	v_fma_f32 v133, -v133, v141, v140
	v_div_fmas_f32 v133, v133, v139, v141
	s_delay_alu instid0(VALU_DEP_1) | instskip(NEXT) | instid1(VALU_DEP_1)
	v_div_fixup_f32 v132, v133, v132, 1.0
	v_mul_f32_e64 v133, v131, -v132
.LBB122_660:
	s_or_b32 exec_lo, exec_lo, s1
.LBB122_661:
	s_delay_alu instid0(SALU_CYCLE_1) | instskip(NEXT) | instid1(SALU_CYCLE_1)
	s_or_b32 exec_lo, exec_lo, s0
	s_mov_b32 s0, exec_lo
	v_cmpx_ne_u32_e64 v138, v130
	s_xor_b32 s0, exec_lo, s0
	s_cbranch_execz .LBB122_667
; %bb.662:
	s_mov_b32 s1, exec_lo
	v_cmpx_eq_u32_e32 31, v138
	s_cbranch_execz .LBB122_666
; %bb.663:
	v_cmp_ne_u32_e32 vcc_lo, 31, v130
	s_xor_b32 s12, s16, -1
	s_delay_alu instid0(SALU_CYCLE_1) | instskip(NEXT) | instid1(SALU_CYCLE_1)
	s_and_b32 s13, s12, vcc_lo
	s_and_saveexec_b32 s12, s13
	s_cbranch_execz .LBB122_665
; %bb.664:
	v_ashrrev_i32_e32 v131, 31, v130
	s_delay_alu instid0(VALU_DEP_1)
	v_lshl_add_u64 v[138:139], v[130:131], 2, v[4:5]
	s_clause 0x1
	global_load_b32 v131, v[138:139], off
	global_load_b32 v137, v[4:5], off offset:124
	s_wait_loadcnt 0x1
	global_store_b32 v[4:5], v131, off offset:124
	s_wait_loadcnt 0x0
	global_store_b32 v[138:139], v137, off
.LBB122_665:
	s_wait_xcnt 0x0
	s_or_b32 exec_lo, exec_lo, s12
	v_dual_mov_b32 v138, v130 :: v_dual_mov_b32 v137, v130
.LBB122_666:
	s_or_b32 exec_lo, exec_lo, s1
.LBB122_667:
	s_and_not1_saveexec_b32 s0, s0
	s_cbranch_execz .LBB122_669
; %bb.668:
	v_dual_mov_b32 v130, v104 :: v_dual_mov_b32 v131, v105
	v_dual_mov_b32 v138, v48 :: v_dual_mov_b32 v139, v49
	;; [unrolled: 1-line block ×8, first 2 shown]
	ds_store_2addr_b64 v134, v[130:131], v[138:139] offset0:32 offset1:33
	ds_store_2addr_b64 v134, v[140:141], v[142:143] offset0:34 offset1:35
	;; [unrolled: 1-line block ×4, first 2 shown]
	v_dual_mov_b32 v130, v100 :: v_dual_mov_b32 v131, v101
	v_dual_mov_b32 v138, v32 :: v_dual_mov_b32 v139, v33
	;; [unrolled: 1-line block ×12, first 2 shown]
	ds_store_2addr_b64 v134, v[130:131], v[138:139] offset0:40 offset1:41
	ds_store_2addr_b64 v134, v[140:141], v[142:143] offset0:42 offset1:43
	;; [unrolled: 1-line block ×6, first 2 shown]
	v_dual_mov_b32 v130, v86 :: v_dual_mov_b32 v131, v87
	v_dual_mov_b32 v140, v10 :: v_dual_mov_b32 v141, v11
	;; [unrolled: 1-line block ×9, first 2 shown]
	v_mov_b32_e32 v155, v15
	ds_store_2addr_b64 v134, v[130:131], v[140:141] offset0:52 offset1:53
	ds_store_2addr_b64 v134, v[142:143], v[144:145] offset0:54 offset1:55
	;; [unrolled: 1-line block ×5, first 2 shown]
.LBB122_669:
	s_or_b32 exec_lo, exec_lo, s0
	s_delay_alu instid0(SALU_CYCLE_1)
	s_mov_b32 s0, exec_lo
	s_wait_storecnt_dscnt 0x0
	s_barrier_signal -1
	s_barrier_wait -1
	v_cmpx_lt_i32_e32 31, v138
	s_cbranch_execz .LBB122_671
; %bb.670:
	v_pk_mul_f32 v[140:141], v[132:133], v[52:53] op_sel:[1,1] op_sel_hi:[0,1]
	s_delay_alu instid0(VALU_DEP_1)
	v_pk_fma_f32 v[130:131], v[132:133], v[52:53], v[140:141] op_sel_hi:[1,0,1] neg_lo:[0,0,1] neg_hi:[0,0,1]
	v_pk_fma_f32 v[132:133], v[132:133], v[52:53], v[140:141] op_sel_hi:[1,0,1]
	ds_load_2addr_b64 v[140:143], v134 offset0:32 offset1:33
	v_dual_mov_b32 v52, v130 :: v_dual_mov_b32 v53, v133
	s_wait_dscnt 0x0
	v_pk_mul_f32 v[144:145], v[140:141], v[132:133] op_sel:[0,1]
	s_delay_alu instid0(VALU_DEP_1) | instskip(SKIP_1) | instid1(VALU_DEP_1)
	v_pk_fma_f32 v[146:147], v[140:141], v[130:131], v[144:145] op_sel:[0,0,1] op_sel_hi:[1,1,0] neg_lo:[0,0,1] neg_hi:[0,0,1]
	v_pk_fma_f32 v[140:141], v[140:141], v[130:131], v[144:145] op_sel:[0,0,1] op_sel_hi:[1,0,0]
	v_mov_b32_e32 v147, v141
	v_pk_mul_f32 v[140:141], v[142:143], v[132:133] op_sel:[0,1]
	s_delay_alu instid0(VALU_DEP_1) | instskip(SKIP_1) | instid1(VALU_DEP_1)
	v_pk_fma_f32 v[144:145], v[142:143], v[130:131], v[140:141] op_sel:[0,0,1] op_sel_hi:[1,1,0] neg_lo:[0,0,1] neg_hi:[0,0,1]
	v_pk_fma_f32 v[140:141], v[142:143], v[130:131], v[140:141] op_sel:[0,0,1] op_sel_hi:[1,0,0]
	v_mov_b32_e32 v145, v141
	ds_load_2addr_b64 v[140:143], v134 offset0:34 offset1:35
	v_pk_add_f32 v[104:105], v[104:105], v[146:147] neg_lo:[0,1] neg_hi:[0,1]
	v_pk_add_f32 v[48:49], v[48:49], v[144:145] neg_lo:[0,1] neg_hi:[0,1]
	s_wait_dscnt 0x0
	v_pk_mul_f32 v[144:145], v[140:141], v[132:133] op_sel:[0,1]
	s_delay_alu instid0(VALU_DEP_1) | instskip(SKIP_2) | instid1(VALU_DEP_2)
	v_pk_fma_f32 v[146:147], v[140:141], v[130:131], v[144:145] op_sel:[0,0,1] op_sel_hi:[1,1,0] neg_lo:[0,0,1] neg_hi:[0,0,1]
	v_pk_fma_f32 v[140:141], v[140:141], v[130:131], v[144:145] op_sel:[0,0,1] op_sel_hi:[1,0,0]
	v_dual_mul_f32 v144, v143, v133 :: v_dual_mov_b32 v140, v143
	v_dual_mov_b32 v147, v141 :: v_dual_mov_b32 v141, v142
	s_delay_alu instid0(VALU_DEP_2) | instskip(SKIP_1) | instid1(VALU_DEP_3)
	v_pk_fma_f32 v[144:145], v[142:143], v[52:53], v[144:145] op_sel_hi:[1,1,0] neg_lo:[0,0,1] neg_hi:[0,0,1]
	v_mul_f32_e32 v142, v143, v130
	v_pk_add_f32 v[50:51], v[50:51], v[146:147] neg_lo:[0,1] neg_hi:[0,1]
	s_delay_alu instid0(VALU_DEP_2) | instskip(NEXT) | instid1(VALU_DEP_1)
	v_pk_fma_f32 v[140:141], v[140:141], v[52:53], v[142:143] op_sel_hi:[1,1,0]
	v_mov_b32_e32 v145, v141
	ds_load_2addr_b64 v[140:143], v134 offset0:36 offset1:37
	v_pk_add_f32 v[46:47], v[46:47], v[144:145] neg_lo:[0,1] neg_hi:[0,1]
	s_wait_dscnt 0x0
	v_pk_mul_f32 v[144:145], v[140:141], v[132:133] op_sel:[0,1]
	s_delay_alu instid0(VALU_DEP_1) | instskip(SKIP_1) | instid1(VALU_DEP_1)
	v_pk_fma_f32 v[146:147], v[140:141], v[130:131], v[144:145] op_sel:[0,0,1] op_sel_hi:[1,1,0] neg_lo:[0,0,1] neg_hi:[0,0,1]
	v_pk_fma_f32 v[140:141], v[140:141], v[130:131], v[144:145] op_sel:[0,0,1] op_sel_hi:[1,0,0]
	v_mov_b32_e32 v147, v141
	v_pk_mul_f32 v[140:141], v[142:143], v[132:133] op_sel:[0,1]
	s_delay_alu instid0(VALU_DEP_1) | instskip(SKIP_1) | instid1(VALU_DEP_1)
	v_pk_fma_f32 v[144:145], v[142:143], v[130:131], v[140:141] op_sel:[0,0,1] op_sel_hi:[1,1,0] neg_lo:[0,0,1] neg_hi:[0,0,1]
	v_pk_fma_f32 v[140:141], v[142:143], v[130:131], v[140:141] op_sel:[0,0,1] op_sel_hi:[1,0,0]
	v_mov_b32_e32 v145, v141
	ds_load_2addr_b64 v[140:143], v134 offset0:38 offset1:39
	v_pk_add_f32 v[102:103], v[102:103], v[146:147] neg_lo:[0,1] neg_hi:[0,1]
	v_pk_add_f32 v[40:41], v[40:41], v[144:145] neg_lo:[0,1] neg_hi:[0,1]
	s_wait_dscnt 0x0
	v_pk_mul_f32 v[144:145], v[140:141], v[132:133] op_sel:[0,1]
	s_delay_alu instid0(VALU_DEP_1) | instskip(SKIP_1) | instid1(VALU_DEP_1)
	v_pk_fma_f32 v[146:147], v[140:141], v[130:131], v[144:145] op_sel:[0,0,1] op_sel_hi:[1,1,0] neg_lo:[0,0,1] neg_hi:[0,0,1]
	v_pk_fma_f32 v[140:141], v[140:141], v[130:131], v[144:145] op_sel:[0,0,1] op_sel_hi:[1,0,0]
	v_mov_b32_e32 v147, v141
	v_pk_mul_f32 v[140:141], v[142:143], v[132:133] op_sel:[0,1]
	s_delay_alu instid0(VALU_DEP_1) | instskip(SKIP_1) | instid1(VALU_DEP_1)
	v_pk_fma_f32 v[144:145], v[142:143], v[130:131], v[140:141] op_sel:[0,0,1] op_sel_hi:[1,1,0] neg_lo:[0,0,1] neg_hi:[0,0,1]
	v_pk_fma_f32 v[140:141], v[142:143], v[130:131], v[140:141] op_sel:[0,0,1] op_sel_hi:[1,0,0]
	v_mov_b32_e32 v145, v141
	ds_load_2addr_b64 v[140:143], v134 offset0:40 offset1:41
	v_pk_add_f32 v[42:43], v[42:43], v[146:147] neg_lo:[0,1] neg_hi:[0,1]
	v_pk_add_f32 v[38:39], v[38:39], v[144:145] neg_lo:[0,1] neg_hi:[0,1]
	s_wait_dscnt 0x0
	v_dual_mul_f32 v144, v141, v133 :: v_dual_mul_f32 v146, v141, v130
	s_delay_alu instid0(VALU_DEP_1) | instskip(NEXT) | instid1(VALU_DEP_2)
	v_pk_fma_f32 v[144:145], v[140:141], v[52:53], v[144:145] op_sel_hi:[1,1,0] neg_lo:[0,0,1] neg_hi:[0,0,1]
	v_pk_fma_f32 v[140:141], v[140:141], v[52:53], v[146:147] op_sel:[1,0,0] op_sel_hi:[0,1,0]
	s_delay_alu instid0(VALU_DEP_1) | instskip(SKIP_1) | instid1(VALU_DEP_2)
	v_mov_b32_e32 v145, v141
	v_pk_mul_f32 v[140:141], v[142:143], v[132:133] op_sel:[0,1]
	v_pk_add_f32 v[100:101], v[100:101], v[144:145] neg_lo:[0,1] neg_hi:[0,1]
	s_delay_alu instid0(VALU_DEP_2) | instskip(SKIP_1) | instid1(VALU_DEP_1)
	v_pk_fma_f32 v[144:145], v[142:143], v[130:131], v[140:141] op_sel:[0,0,1] op_sel_hi:[1,1,0] neg_lo:[0,0,1] neg_hi:[0,0,1]
	v_pk_fma_f32 v[140:141], v[142:143], v[130:131], v[140:141] op_sel:[0,0,1] op_sel_hi:[1,0,0]
	v_mov_b32_e32 v145, v141
	ds_load_2addr_b64 v[140:143], v134 offset0:42 offset1:43
	v_pk_add_f32 v[32:33], v[32:33], v[144:145] neg_lo:[0,1] neg_hi:[0,1]
	s_wait_dscnt 0x0
	v_pk_mul_f32 v[144:145], v[140:141], v[132:133] op_sel:[0,1]
	s_delay_alu instid0(VALU_DEP_1) | instskip(SKIP_1) | instid1(VALU_DEP_1)
	v_pk_fma_f32 v[146:147], v[140:141], v[130:131], v[144:145] op_sel:[0,0,1] op_sel_hi:[1,1,0] neg_lo:[0,0,1] neg_hi:[0,0,1]
	v_pk_fma_f32 v[140:141], v[140:141], v[130:131], v[144:145] op_sel:[0,0,1] op_sel_hi:[1,0,0]
	v_mov_b32_e32 v147, v141
	v_pk_mul_f32 v[140:141], v[142:143], v[132:133] op_sel:[0,1]
	s_delay_alu instid0(VALU_DEP_2) | instskip(NEXT) | instid1(VALU_DEP_2)
	v_pk_add_f32 v[34:35], v[34:35], v[146:147] neg_lo:[0,1] neg_hi:[0,1]
	v_pk_fma_f32 v[144:145], v[142:143], v[130:131], v[140:141] op_sel:[0,0,1] op_sel_hi:[1,1,0] neg_lo:[0,0,1] neg_hi:[0,0,1]
	v_pk_fma_f32 v[140:141], v[142:143], v[130:131], v[140:141] op_sel:[0,0,1] op_sel_hi:[1,0,0]
	s_delay_alu instid0(VALU_DEP_1) | instskip(SKIP_4) | instid1(VALU_DEP_1)
	v_mov_b32_e32 v145, v141
	ds_load_2addr_b64 v[140:143], v134 offset0:44 offset1:45
	v_pk_add_f32 v[30:31], v[30:31], v[144:145] neg_lo:[0,1] neg_hi:[0,1]
	s_wait_dscnt 0x0
	v_pk_mul_f32 v[144:145], v[140:141], v[132:133] op_sel:[0,1]
	v_pk_fma_f32 v[146:147], v[140:141], v[130:131], v[144:145] op_sel:[0,0,1] op_sel_hi:[1,1,0] neg_lo:[0,0,1] neg_hi:[0,0,1]
	v_pk_fma_f32 v[140:141], v[140:141], v[130:131], v[144:145] op_sel:[0,0,1] op_sel_hi:[1,0,0]
	v_dual_mul_f32 v144, v143, v133 :: v_dual_mov_b32 v140, v143
	s_delay_alu instid0(VALU_DEP_2) | instskip(NEXT) | instid1(VALU_DEP_2)
	v_dual_mov_b32 v147, v141 :: v_dual_mov_b32 v141, v142
	v_pk_fma_f32 v[144:145], v[142:143], v[52:53], v[144:145] op_sel_hi:[1,1,0] neg_lo:[0,0,1] neg_hi:[0,0,1]
	v_mul_f32_e32 v142, v143, v130
	s_delay_alu instid0(VALU_DEP_3) | instskip(NEXT) | instid1(VALU_DEP_2)
	v_pk_add_f32 v[98:99], v[98:99], v[146:147] neg_lo:[0,1] neg_hi:[0,1]
	v_pk_fma_f32 v[140:141], v[140:141], v[52:53], v[142:143] op_sel_hi:[1,1,0]
	s_delay_alu instid0(VALU_DEP_1) | instskip(SKIP_4) | instid1(VALU_DEP_1)
	v_mov_b32_e32 v145, v141
	ds_load_2addr_b64 v[140:143], v134 offset0:46 offset1:47
	v_pk_add_f32 v[24:25], v[24:25], v[144:145] neg_lo:[0,1] neg_hi:[0,1]
	s_wait_dscnt 0x0
	v_pk_mul_f32 v[144:145], v[140:141], v[132:133] op_sel:[0,1]
	v_pk_fma_f32 v[146:147], v[140:141], v[130:131], v[144:145] op_sel:[0,0,1] op_sel_hi:[1,1,0] neg_lo:[0,0,1] neg_hi:[0,0,1]
	v_pk_fma_f32 v[140:141], v[140:141], v[130:131], v[144:145] op_sel:[0,0,1] op_sel_hi:[1,0,0]
	s_delay_alu instid0(VALU_DEP_1) | instskip(SKIP_1) | instid1(VALU_DEP_1)
	v_mov_b32_e32 v147, v141
	v_pk_mul_f32 v[140:141], v[142:143], v[132:133] op_sel:[0,1]
	v_pk_fma_f32 v[144:145], v[142:143], v[130:131], v[140:141] op_sel:[0,0,1] op_sel_hi:[1,1,0] neg_lo:[0,0,1] neg_hi:[0,0,1]
	v_pk_fma_f32 v[140:141], v[142:143], v[130:131], v[140:141] op_sel:[0,0,1] op_sel_hi:[1,0,0]
	s_delay_alu instid0(VALU_DEP_1)
	v_mov_b32_e32 v145, v141
	ds_load_2addr_b64 v[140:143], v134 offset0:48 offset1:49
	v_pk_add_f32 v[28:29], v[28:29], v[146:147] neg_lo:[0,1] neg_hi:[0,1]
	v_pk_add_f32 v[22:23], v[22:23], v[144:145] neg_lo:[0,1] neg_hi:[0,1]
	s_wait_dscnt 0x0
	v_pk_mul_f32 v[144:145], v[140:141], v[132:133] op_sel:[0,1]
	s_delay_alu instid0(VALU_DEP_1) | instskip(SKIP_1) | instid1(VALU_DEP_1)
	v_pk_fma_f32 v[146:147], v[140:141], v[130:131], v[144:145] op_sel:[0,0,1] op_sel_hi:[1,1,0] neg_lo:[0,0,1] neg_hi:[0,0,1]
	v_pk_fma_f32 v[140:141], v[140:141], v[130:131], v[144:145] op_sel:[0,0,1] op_sel_hi:[1,0,0]
	v_mov_b32_e32 v147, v141
	v_pk_mul_f32 v[140:141], v[142:143], v[132:133] op_sel:[0,1]
	s_delay_alu instid0(VALU_DEP_1) | instskip(SKIP_1) | instid1(VALU_DEP_1)
	v_pk_fma_f32 v[144:145], v[142:143], v[130:131], v[140:141] op_sel:[0,0,1] op_sel_hi:[1,1,0] neg_lo:[0,0,1] neg_hi:[0,0,1]
	v_pk_fma_f32 v[140:141], v[142:143], v[130:131], v[140:141] op_sel:[0,0,1] op_sel_hi:[1,0,0]
	v_mov_b32_e32 v145, v141
	ds_load_2addr_b64 v[140:143], v134 offset0:50 offset1:51
	v_pk_add_f32 v[96:97], v[96:97], v[146:147] neg_lo:[0,1] neg_hi:[0,1]
	v_pk_add_f32 v[18:19], v[18:19], v[144:145] neg_lo:[0,1] neg_hi:[0,1]
	s_wait_dscnt 0x0
	v_dual_mul_f32 v144, v141, v133 :: v_dual_mul_f32 v146, v141, v130
	s_delay_alu instid0(VALU_DEP_1) | instskip(NEXT) | instid1(VALU_DEP_2)
	v_pk_fma_f32 v[144:145], v[140:141], v[52:53], v[144:145] op_sel_hi:[1,1,0] neg_lo:[0,0,1] neg_hi:[0,0,1]
	v_pk_fma_f32 v[140:141], v[140:141], v[52:53], v[146:147] op_sel:[1,0,0] op_sel_hi:[0,1,0]
	s_delay_alu instid0(VALU_DEP_1) | instskip(SKIP_1) | instid1(VALU_DEP_2)
	v_mov_b32_e32 v145, v141
	v_pk_mul_f32 v[140:141], v[142:143], v[132:133] op_sel:[0,1]
	v_pk_add_f32 v[20:21], v[20:21], v[144:145] neg_lo:[0,1] neg_hi:[0,1]
	s_delay_alu instid0(VALU_DEP_2) | instskip(SKIP_1) | instid1(VALU_DEP_1)
	v_pk_fma_f32 v[144:145], v[142:143], v[130:131], v[140:141] op_sel:[0,0,1] op_sel_hi:[1,1,0] neg_lo:[0,0,1] neg_hi:[0,0,1]
	v_pk_fma_f32 v[140:141], v[142:143], v[130:131], v[140:141] op_sel:[0,0,1] op_sel_hi:[1,0,0]
	v_mov_b32_e32 v145, v141
	ds_load_2addr_b64 v[140:143], v134 offset0:52 offset1:53
	v_pk_add_f32 v[36:37], v[36:37], v[144:145] neg_lo:[0,1] neg_hi:[0,1]
	s_wait_dscnt 0x0
	v_pk_mul_f32 v[144:145], v[140:141], v[132:133] op_sel:[0,1]
	s_delay_alu instid0(VALU_DEP_1) | instskip(SKIP_1) | instid1(VALU_DEP_1)
	v_pk_fma_f32 v[146:147], v[140:141], v[130:131], v[144:145] op_sel:[0,0,1] op_sel_hi:[1,1,0] neg_lo:[0,0,1] neg_hi:[0,0,1]
	v_pk_fma_f32 v[140:141], v[140:141], v[130:131], v[144:145] op_sel:[0,0,1] op_sel_hi:[1,0,0]
	v_mov_b32_e32 v147, v141
	v_pk_mul_f32 v[140:141], v[142:143], v[132:133] op_sel:[0,1]
	s_delay_alu instid0(VALU_DEP_2) | instskip(NEXT) | instid1(VALU_DEP_2)
	v_pk_add_f32 v[86:87], v[86:87], v[146:147] neg_lo:[0,1] neg_hi:[0,1]
	v_pk_fma_f32 v[144:145], v[142:143], v[130:131], v[140:141] op_sel:[0,0,1] op_sel_hi:[1,1,0] neg_lo:[0,0,1] neg_hi:[0,0,1]
	v_pk_fma_f32 v[140:141], v[142:143], v[130:131], v[140:141] op_sel:[0,0,1] op_sel_hi:[1,0,0]
	s_delay_alu instid0(VALU_DEP_1) | instskip(SKIP_4) | instid1(VALU_DEP_1)
	v_mov_b32_e32 v145, v141
	ds_load_2addr_b64 v[140:143], v134 offset0:54 offset1:55
	v_pk_add_f32 v[10:11], v[10:11], v[144:145] neg_lo:[0,1] neg_hi:[0,1]
	s_wait_dscnt 0x0
	v_pk_mul_f32 v[144:145], v[140:141], v[132:133] op_sel:[0,1]
	v_pk_fma_f32 v[146:147], v[140:141], v[130:131], v[144:145] op_sel:[0,0,1] op_sel_hi:[1,1,0] neg_lo:[0,0,1] neg_hi:[0,0,1]
	v_pk_fma_f32 v[140:141], v[140:141], v[130:131], v[144:145] op_sel:[0,0,1] op_sel_hi:[1,0,0]
	v_dual_mul_f32 v144, v143, v133 :: v_dual_mov_b32 v140, v143
	s_delay_alu instid0(VALU_DEP_2) | instskip(NEXT) | instid1(VALU_DEP_2)
	v_dual_mov_b32 v147, v141 :: v_dual_mov_b32 v141, v142
	v_pk_fma_f32 v[144:145], v[142:143], v[52:53], v[144:145] op_sel_hi:[1,1,0] neg_lo:[0,0,1] neg_hi:[0,0,1]
	v_mul_f32_e32 v142, v143, v130
	s_delay_alu instid0(VALU_DEP_3) | instskip(NEXT) | instid1(VALU_DEP_2)
	v_pk_add_f32 v[12:13], v[12:13], v[146:147] neg_lo:[0,1] neg_hi:[0,1]
	v_pk_fma_f32 v[140:141], v[140:141], v[52:53], v[142:143] op_sel_hi:[1,1,0]
	s_delay_alu instid0(VALU_DEP_1) | instskip(SKIP_4) | instid1(VALU_DEP_1)
	v_mov_b32_e32 v145, v141
	ds_load_2addr_b64 v[140:143], v134 offset0:56 offset1:57
	v_pk_add_f32 v[8:9], v[8:9], v[144:145] neg_lo:[0,1] neg_hi:[0,1]
	s_wait_dscnt 0x0
	v_pk_mul_f32 v[144:145], v[140:141], v[132:133] op_sel:[0,1]
	v_pk_fma_f32 v[146:147], v[140:141], v[130:131], v[144:145] op_sel:[0,0,1] op_sel_hi:[1,1,0] neg_lo:[0,0,1] neg_hi:[0,0,1]
	v_pk_fma_f32 v[140:141], v[140:141], v[130:131], v[144:145] op_sel:[0,0,1] op_sel_hi:[1,0,0]
	s_delay_alu instid0(VALU_DEP_1) | instskip(SKIP_1) | instid1(VALU_DEP_1)
	v_mov_b32_e32 v147, v141
	v_pk_mul_f32 v[140:141], v[142:143], v[132:133] op_sel:[0,1]
	v_pk_fma_f32 v[144:145], v[142:143], v[130:131], v[140:141] op_sel:[0,0,1] op_sel_hi:[1,1,0] neg_lo:[0,0,1] neg_hi:[0,0,1]
	v_pk_fma_f32 v[140:141], v[142:143], v[130:131], v[140:141] op_sel:[0,0,1] op_sel_hi:[1,0,0]
	s_delay_alu instid0(VALU_DEP_1)
	v_mov_b32_e32 v145, v141
	ds_load_2addr_b64 v[140:143], v134 offset0:58 offset1:59
	v_pk_add_f32 v[44:45], v[44:45], v[146:147] neg_lo:[0,1] neg_hi:[0,1]
	v_pk_add_f32 v[6:7], v[6:7], v[144:145] neg_lo:[0,1] neg_hi:[0,1]
	s_wait_dscnt 0x0
	v_pk_mul_f32 v[144:145], v[140:141], v[132:133] op_sel:[0,1]
	s_delay_alu instid0(VALU_DEP_1) | instskip(SKIP_1) | instid1(VALU_DEP_1)
	v_pk_fma_f32 v[146:147], v[140:141], v[130:131], v[144:145] op_sel:[0,0,1] op_sel_hi:[1,1,0] neg_lo:[0,0,1] neg_hi:[0,0,1]
	v_pk_fma_f32 v[140:141], v[140:141], v[130:131], v[144:145] op_sel:[0,0,1] op_sel_hi:[1,0,0]
	v_mov_b32_e32 v147, v141
	v_pk_mul_f32 v[140:141], v[142:143], v[132:133] op_sel:[0,1]
	s_delay_alu instid0(VALU_DEP_1) | instskip(SKIP_1) | instid1(VALU_DEP_1)
	v_pk_fma_f32 v[144:145], v[142:143], v[130:131], v[140:141] op_sel:[0,0,1] op_sel_hi:[1,1,0] neg_lo:[0,0,1] neg_hi:[0,0,1]
	v_pk_fma_f32 v[140:141], v[142:143], v[130:131], v[140:141] op_sel:[0,0,1] op_sel_hi:[1,0,0]
	v_mov_b32_e32 v145, v141
	ds_load_2addr_b64 v[140:143], v134 offset0:60 offset1:61
	v_pk_add_f32 v[26:27], v[26:27], v[146:147] neg_lo:[0,1] neg_hi:[0,1]
	v_pk_add_f32 v[16:17], v[16:17], v[144:145] neg_lo:[0,1] neg_hi:[0,1]
	s_wait_dscnt 0x0
	v_mul_f32_e32 v132, v141, v133
	s_delay_alu instid0(VALU_DEP_1) | instskip(SKIP_1) | instid1(VALU_DEP_1)
	v_pk_fma_f32 v[144:145], v[140:141], v[52:53], v[132:133] op_sel_hi:[1,1,0] neg_lo:[0,0,1] neg_hi:[0,0,1]
	v_dual_mul_f32 v132, v141, v130 :: v_dual_mul_f32 v130, v143, v130
	v_pk_fma_f32 v[140:141], v[140:141], v[52:53], v[132:133] op_sel:[1,0,0] op_sel_hi:[0,1,0]
	v_dual_mov_b32 v140, v143 :: v_dual_mul_f32 v132, v143, v133
	s_delay_alu instid0(VALU_DEP_2) | instskip(NEXT) | instid1(VALU_DEP_2)
	v_dual_mov_b32 v145, v141 :: v_dual_mov_b32 v141, v142
	v_pk_fma_f32 v[132:133], v[142:143], v[52:53], v[132:133] op_sel_hi:[1,1,0] neg_lo:[0,0,1] neg_hi:[0,0,1]
	s_delay_alu instid0(VALU_DEP_2) | instskip(NEXT) | instid1(VALU_DEP_3)
	v_pk_add_f32 v[14:15], v[14:15], v[144:145] neg_lo:[0,1] neg_hi:[0,1]
	v_pk_fma_f32 v[130:131], v[140:141], v[52:53], v[130:131] op_sel_hi:[1,1,0]
	s_delay_alu instid0(VALU_DEP_1) | instskip(NEXT) | instid1(VALU_DEP_1)
	v_mov_b32_e32 v133, v131
	v_pk_add_f32 v[128:129], v[128:129], v[132:133] neg_lo:[0,1] neg_hi:[0,1]
.LBB122_671:
	s_or_b32 exec_lo, exec_lo, s0
	v_lshl_add_u32 v130, v138, 3, v134
	s_barrier_signal -1
	s_barrier_wait -1
	ds_store_b64 v130, v[104:105]
	s_wait_dscnt 0x0
	s_barrier_signal -1
	s_barrier_wait -1
	ds_load_b64 v[132:133], v134 offset:256
	v_mov_b32_e32 v130, 32
	s_cmp_lt_i32 s18, 34
	s_cbranch_scc1 .LBB122_674
; %bb.672:
	v_add3_u32 v131, v135, 0, 0x108
	v_mov_b32_e32 v130, 32
	s_mov_b32 s0, 33
.LBB122_673:                            ; =>This Inner Loop Header: Depth=1
	ds_load_b64 v[140:141], v131
	s_wait_dscnt 0x1
	v_cmp_gt_f32_e32 vcc_lo, 0, v132
	v_cndmask_b32_e64 v142, v132, -v132, vcc_lo
	v_cmp_gt_f32_e32 vcc_lo, 0, v133
	v_cndmask_b32_e64 v144, v133, -v133, vcc_lo
	s_wait_dscnt 0x0
	v_cmp_gt_f32_e32 vcc_lo, 0, v140
	v_cndmask_b32_e64 v143, v140, -v140, vcc_lo
	v_cmp_gt_f32_e32 vcc_lo, 0, v141
	v_cndmask_b32_e64 v145, v141, -v141, vcc_lo
	s_delay_alu instid0(VALU_DEP_1) | instskip(NEXT) | instid1(VALU_DEP_1)
	v_pk_add_f32 v[142:143], v[142:143], v[144:145]
	v_cmp_lt_f32_e32 vcc_lo, v142, v143
	v_dual_add_nc_u32 v131, 8, v131 :: v_dual_cndmask_b32 v133, v133, v141, vcc_lo
	v_cndmask_b32_e32 v132, v132, v140, vcc_lo
	v_cndmask_b32_e64 v130, v130, s0, vcc_lo
	s_add_co_i32 s0, s0, 1
	s_delay_alu instid0(SALU_CYCLE_1)
	s_cmp_lg_u32 s18, s0
	s_cbranch_scc1 .LBB122_673
.LBB122_674:
	s_wait_dscnt 0x0
	v_cmp_eq_f32_e32 vcc_lo, 0, v132
	v_cmp_eq_f32_e64 s0, 0, v133
	s_and_b32 s0, vcc_lo, s0
	s_delay_alu instid0(SALU_CYCLE_1) | instskip(NEXT) | instid1(SALU_CYCLE_1)
	s_and_saveexec_b32 s1, s0
	s_xor_b32 s0, exec_lo, s1
; %bb.675:
	v_cmp_ne_u32_e32 vcc_lo, 0, v136
	v_cndmask_b32_e32 v136, 33, v136, vcc_lo
; %bb.676:
	s_and_not1_saveexec_b32 s0, s0
	s_cbranch_execz .LBB122_682
; %bb.677:
	v_cmp_ngt_f32_e64 s1, |v132|, |v133|
	s_and_saveexec_b32 s12, s1
	s_delay_alu instid0(SALU_CYCLE_1)
	s_xor_b32 s1, exec_lo, s12
	s_cbranch_execz .LBB122_679
; %bb.678:
	v_div_scale_f32 v131, null, v133, v133, v132
	v_div_scale_f32 v141, vcc_lo, v132, v133, v132
	s_delay_alu instid0(VALU_DEP_2) | instskip(SKIP_1) | instid1(TRANS32_DEP_1)
	v_rcp_f32_e32 v139, v131
	v_nop
	v_fma_f32 v140, -v131, v139, 1.0
	s_delay_alu instid0(VALU_DEP_1) | instskip(NEXT) | instid1(VALU_DEP_1)
	v_fmac_f32_e32 v139, v140, v139
	v_mul_f32_e32 v140, v141, v139
	s_delay_alu instid0(VALU_DEP_1) | instskip(NEXT) | instid1(VALU_DEP_1)
	v_fma_f32 v142, -v131, v140, v141
	v_fmac_f32_e32 v140, v142, v139
	s_delay_alu instid0(VALU_DEP_1) | instskip(NEXT) | instid1(VALU_DEP_1)
	v_fma_f32 v131, -v131, v140, v141
	v_div_fmas_f32 v131, v131, v139, v140
	s_delay_alu instid0(VALU_DEP_1) | instskip(NEXT) | instid1(VALU_DEP_1)
	v_div_fixup_f32 v131, v131, v133, v132
	v_fmac_f32_e32 v133, v132, v131
	s_delay_alu instid0(VALU_DEP_1) | instskip(SKIP_1) | instid1(VALU_DEP_2)
	v_div_scale_f32 v132, null, v133, v133, 1.0
	v_div_scale_f32 v141, vcc_lo, 1.0, v133, 1.0
	v_rcp_f32_e32 v139, v132
	v_nop
	s_delay_alu instid0(TRANS32_DEP_1) | instskip(NEXT) | instid1(VALU_DEP_1)
	v_fma_f32 v140, -v132, v139, 1.0
	v_fmac_f32_e32 v139, v140, v139
	s_delay_alu instid0(VALU_DEP_1) | instskip(NEXT) | instid1(VALU_DEP_1)
	v_mul_f32_e32 v140, v141, v139
	v_fma_f32 v142, -v132, v140, v141
	s_delay_alu instid0(VALU_DEP_1) | instskip(NEXT) | instid1(VALU_DEP_1)
	v_fmac_f32_e32 v140, v142, v139
	v_fma_f32 v132, -v132, v140, v141
	s_delay_alu instid0(VALU_DEP_1) | instskip(NEXT) | instid1(VALU_DEP_1)
	v_div_fmas_f32 v132, v132, v139, v140
	v_div_fixup_f32 v133, v132, v133, 1.0
	s_delay_alu instid0(VALU_DEP_1)
	v_mul_f32_e32 v132, v131, v133
	v_xor_b32_e32 v133, 0x80000000, v133
.LBB122_679:
	s_and_not1_saveexec_b32 s1, s1
	s_cbranch_execz .LBB122_681
; %bb.680:
	s_delay_alu instid0(VALU_DEP_1) | instskip(SKIP_1) | instid1(VALU_DEP_2)
	v_div_scale_f32 v131, null, v132, v132, v133
	v_div_scale_f32 v141, vcc_lo, v133, v132, v133
	v_rcp_f32_e32 v139, v131
	v_nop
	s_delay_alu instid0(TRANS32_DEP_1) | instskip(NEXT) | instid1(VALU_DEP_1)
	v_fma_f32 v140, -v131, v139, 1.0
	v_fmac_f32_e32 v139, v140, v139
	s_delay_alu instid0(VALU_DEP_1) | instskip(NEXT) | instid1(VALU_DEP_1)
	v_mul_f32_e32 v140, v141, v139
	v_fma_f32 v142, -v131, v140, v141
	s_delay_alu instid0(VALU_DEP_1) | instskip(NEXT) | instid1(VALU_DEP_1)
	v_fmac_f32_e32 v140, v142, v139
	v_fma_f32 v131, -v131, v140, v141
	s_delay_alu instid0(VALU_DEP_1) | instskip(NEXT) | instid1(VALU_DEP_1)
	v_div_fmas_f32 v131, v131, v139, v140
	v_div_fixup_f32 v131, v131, v132, v133
	s_delay_alu instid0(VALU_DEP_1) | instskip(NEXT) | instid1(VALU_DEP_1)
	v_fmac_f32_e32 v132, v133, v131
	v_div_scale_f32 v133, null, v132, v132, 1.0
	s_delay_alu instid0(VALU_DEP_1) | instskip(SKIP_1) | instid1(TRANS32_DEP_1)
	v_rcp_f32_e32 v139, v133
	v_nop
	v_fma_f32 v140, -v133, v139, 1.0
	s_delay_alu instid0(VALU_DEP_1) | instskip(SKIP_1) | instid1(VALU_DEP_1)
	v_fmac_f32_e32 v139, v140, v139
	v_div_scale_f32 v140, vcc_lo, 1.0, v132, 1.0
	v_mul_f32_e32 v141, v140, v139
	s_delay_alu instid0(VALU_DEP_1) | instskip(NEXT) | instid1(VALU_DEP_1)
	v_fma_f32 v142, -v133, v141, v140
	v_fmac_f32_e32 v141, v142, v139
	s_delay_alu instid0(VALU_DEP_1) | instskip(NEXT) | instid1(VALU_DEP_1)
	v_fma_f32 v133, -v133, v141, v140
	v_div_fmas_f32 v133, v133, v139, v141
	s_delay_alu instid0(VALU_DEP_1) | instskip(NEXT) | instid1(VALU_DEP_1)
	v_div_fixup_f32 v132, v133, v132, 1.0
	v_mul_f32_e64 v133, v131, -v132
.LBB122_681:
	s_or_b32 exec_lo, exec_lo, s1
.LBB122_682:
	s_delay_alu instid0(SALU_CYCLE_1) | instskip(NEXT) | instid1(SALU_CYCLE_1)
	s_or_b32 exec_lo, exec_lo, s0
	s_mov_b32 s0, exec_lo
	v_cmpx_ne_u32_e64 v138, v130
	s_xor_b32 s0, exec_lo, s0
	s_cbranch_execz .LBB122_688
; %bb.683:
	s_mov_b32 s1, exec_lo
	v_cmpx_eq_u32_e32 32, v138
	s_cbranch_execz .LBB122_687
; %bb.684:
	v_cmp_ne_u32_e32 vcc_lo, 32, v130
	s_xor_b32 s12, s16, -1
	s_delay_alu instid0(SALU_CYCLE_1) | instskip(NEXT) | instid1(SALU_CYCLE_1)
	s_and_b32 s13, s12, vcc_lo
	s_and_saveexec_b32 s12, s13
	s_cbranch_execz .LBB122_686
; %bb.685:
	v_ashrrev_i32_e32 v131, 31, v130
	s_delay_alu instid0(VALU_DEP_1)
	v_lshl_add_u64 v[138:139], v[130:131], 2, v[4:5]
	s_clause 0x1
	global_load_b32 v131, v[138:139], off
	global_load_b32 v137, v[4:5], off offset:128
	s_wait_loadcnt 0x1
	global_store_b32 v[4:5], v131, off offset:128
	s_wait_loadcnt 0x0
	global_store_b32 v[138:139], v137, off
.LBB122_686:
	s_wait_xcnt 0x0
	s_or_b32 exec_lo, exec_lo, s12
	v_dual_mov_b32 v138, v130 :: v_dual_mov_b32 v137, v130
.LBB122_687:
	s_or_b32 exec_lo, exec_lo, s1
.LBB122_688:
	s_and_not1_saveexec_b32 s0, s0
	s_cbranch_execz .LBB122_690
; %bb.689:
	v_mov_b32_e32 v138, 32
	ds_store_2addr_b64 v134, v[48:49], v[50:51] offset0:33 offset1:34
	ds_store_2addr_b64 v134, v[46:47], v[102:103] offset0:35 offset1:36
	;; [unrolled: 1-line block ×14, first 2 shown]
	ds_store_b64 v134, v[128:129] offset:488
.LBB122_690:
	s_or_b32 exec_lo, exec_lo, s0
	s_delay_alu instid0(SALU_CYCLE_1)
	s_mov_b32 s0, exec_lo
	s_wait_storecnt_dscnt 0x0
	s_barrier_signal -1
	s_barrier_wait -1
	v_cmpx_lt_i32_e32 32, v138
	s_cbranch_execz .LBB122_692
; %bb.691:
	v_pk_mul_f32 v[140:141], v[132:133], v[104:105] op_sel:[1,1] op_sel_hi:[0,1]
	s_delay_alu instid0(VALU_DEP_1)
	v_pk_fma_f32 v[130:131], v[132:133], v[104:105], v[140:141] op_sel_hi:[1,0,1] neg_lo:[0,0,1] neg_hi:[0,0,1]
	v_pk_fma_f32 v[132:133], v[132:133], v[104:105], v[140:141] op_sel_hi:[1,0,1]
	ds_load_2addr_b64 v[140:143], v134 offset0:33 offset1:34
	v_dual_mov_b32 v104, v130 :: v_dual_mov_b32 v105, v133
	s_wait_dscnt 0x0
	v_pk_mul_f32 v[144:145], v[140:141], v[132:133] op_sel:[0,1]
	s_delay_alu instid0(VALU_DEP_1) | instskip(SKIP_1) | instid1(VALU_DEP_1)
	v_pk_fma_f32 v[146:147], v[140:141], v[130:131], v[144:145] op_sel:[0,0,1] op_sel_hi:[1,1,0] neg_lo:[0,0,1] neg_hi:[0,0,1]
	v_pk_fma_f32 v[140:141], v[140:141], v[130:131], v[144:145] op_sel:[0,0,1] op_sel_hi:[1,0,0]
	v_mov_b32_e32 v147, v141
	v_pk_mul_f32 v[140:141], v[142:143], v[132:133] op_sel:[0,1]
	s_delay_alu instid0(VALU_DEP_1) | instskip(SKIP_1) | instid1(VALU_DEP_1)
	v_pk_fma_f32 v[144:145], v[142:143], v[130:131], v[140:141] op_sel:[0,0,1] op_sel_hi:[1,1,0] neg_lo:[0,0,1] neg_hi:[0,0,1]
	v_pk_fma_f32 v[140:141], v[142:143], v[130:131], v[140:141] op_sel:[0,0,1] op_sel_hi:[1,0,0]
	v_mov_b32_e32 v145, v141
	ds_load_2addr_b64 v[140:143], v134 offset0:35 offset1:36
	v_pk_add_f32 v[48:49], v[48:49], v[146:147] neg_lo:[0,1] neg_hi:[0,1]
	v_pk_add_f32 v[50:51], v[50:51], v[144:145] neg_lo:[0,1] neg_hi:[0,1]
	s_wait_dscnt 0x0
	v_pk_mul_f32 v[144:145], v[140:141], v[132:133] op_sel:[0,1]
	s_delay_alu instid0(VALU_DEP_1) | instskip(SKIP_2) | instid1(VALU_DEP_2)
	v_pk_fma_f32 v[146:147], v[140:141], v[130:131], v[144:145] op_sel:[0,0,1] op_sel_hi:[1,1,0] neg_lo:[0,0,1] neg_hi:[0,0,1]
	v_pk_fma_f32 v[140:141], v[140:141], v[130:131], v[144:145] op_sel:[0,0,1] op_sel_hi:[1,0,0]
	v_dual_mul_f32 v144, v143, v133 :: v_dual_mov_b32 v140, v143
	v_dual_mov_b32 v147, v141 :: v_dual_mov_b32 v141, v142
	s_delay_alu instid0(VALU_DEP_2) | instskip(SKIP_1) | instid1(VALU_DEP_3)
	v_pk_fma_f32 v[144:145], v[142:143], v[104:105], v[144:145] op_sel_hi:[1,1,0] neg_lo:[0,0,1] neg_hi:[0,0,1]
	v_mul_f32_e32 v142, v143, v130
	v_pk_add_f32 v[46:47], v[46:47], v[146:147] neg_lo:[0,1] neg_hi:[0,1]
	s_delay_alu instid0(VALU_DEP_2) | instskip(NEXT) | instid1(VALU_DEP_1)
	v_pk_fma_f32 v[140:141], v[140:141], v[104:105], v[142:143] op_sel_hi:[1,1,0]
	v_mov_b32_e32 v145, v141
	ds_load_2addr_b64 v[140:143], v134 offset0:37 offset1:38
	v_pk_add_f32 v[102:103], v[102:103], v[144:145] neg_lo:[0,1] neg_hi:[0,1]
	s_wait_dscnt 0x0
	v_pk_mul_f32 v[144:145], v[140:141], v[132:133] op_sel:[0,1]
	s_delay_alu instid0(VALU_DEP_1) | instskip(SKIP_1) | instid1(VALU_DEP_1)
	v_pk_fma_f32 v[146:147], v[140:141], v[130:131], v[144:145] op_sel:[0,0,1] op_sel_hi:[1,1,0] neg_lo:[0,0,1] neg_hi:[0,0,1]
	v_pk_fma_f32 v[140:141], v[140:141], v[130:131], v[144:145] op_sel:[0,0,1] op_sel_hi:[1,0,0]
	v_mov_b32_e32 v147, v141
	v_pk_mul_f32 v[140:141], v[142:143], v[132:133] op_sel:[0,1]
	s_delay_alu instid0(VALU_DEP_1) | instskip(SKIP_1) | instid1(VALU_DEP_1)
	v_pk_fma_f32 v[144:145], v[142:143], v[130:131], v[140:141] op_sel:[0,0,1] op_sel_hi:[1,1,0] neg_lo:[0,0,1] neg_hi:[0,0,1]
	v_pk_fma_f32 v[140:141], v[142:143], v[130:131], v[140:141] op_sel:[0,0,1] op_sel_hi:[1,0,0]
	v_mov_b32_e32 v145, v141
	ds_load_2addr_b64 v[140:143], v134 offset0:39 offset1:40
	v_pk_add_f32 v[40:41], v[40:41], v[146:147] neg_lo:[0,1] neg_hi:[0,1]
	v_pk_add_f32 v[42:43], v[42:43], v[144:145] neg_lo:[0,1] neg_hi:[0,1]
	s_wait_dscnt 0x0
	v_pk_mul_f32 v[144:145], v[140:141], v[132:133] op_sel:[0,1]
	s_delay_alu instid0(VALU_DEP_1) | instskip(SKIP_1) | instid1(VALU_DEP_1)
	v_pk_fma_f32 v[146:147], v[140:141], v[130:131], v[144:145] op_sel:[0,0,1] op_sel_hi:[1,1,0] neg_lo:[0,0,1] neg_hi:[0,0,1]
	v_pk_fma_f32 v[140:141], v[140:141], v[130:131], v[144:145] op_sel:[0,0,1] op_sel_hi:[1,0,0]
	v_mov_b32_e32 v147, v141
	v_pk_mul_f32 v[140:141], v[142:143], v[132:133] op_sel:[0,1]
	s_delay_alu instid0(VALU_DEP_1) | instskip(SKIP_1) | instid1(VALU_DEP_1)
	v_pk_fma_f32 v[144:145], v[142:143], v[130:131], v[140:141] op_sel:[0,0,1] op_sel_hi:[1,1,0] neg_lo:[0,0,1] neg_hi:[0,0,1]
	v_pk_fma_f32 v[140:141], v[142:143], v[130:131], v[140:141] op_sel:[0,0,1] op_sel_hi:[1,0,0]
	v_mov_b32_e32 v145, v141
	ds_load_2addr_b64 v[140:143], v134 offset0:41 offset1:42
	v_pk_add_f32 v[38:39], v[38:39], v[146:147] neg_lo:[0,1] neg_hi:[0,1]
	v_pk_add_f32 v[100:101], v[100:101], v[144:145] neg_lo:[0,1] neg_hi:[0,1]
	s_wait_dscnt 0x0
	v_dual_mul_f32 v144, v141, v133 :: v_dual_mul_f32 v146, v141, v130
	s_delay_alu instid0(VALU_DEP_1) | instskip(NEXT) | instid1(VALU_DEP_2)
	v_pk_fma_f32 v[144:145], v[140:141], v[104:105], v[144:145] op_sel_hi:[1,1,0] neg_lo:[0,0,1] neg_hi:[0,0,1]
	v_pk_fma_f32 v[140:141], v[140:141], v[104:105], v[146:147] op_sel:[1,0,0] op_sel_hi:[0,1,0]
	s_delay_alu instid0(VALU_DEP_1) | instskip(SKIP_1) | instid1(VALU_DEP_2)
	v_mov_b32_e32 v145, v141
	v_pk_mul_f32 v[140:141], v[142:143], v[132:133] op_sel:[0,1]
	v_pk_add_f32 v[32:33], v[32:33], v[144:145] neg_lo:[0,1] neg_hi:[0,1]
	s_delay_alu instid0(VALU_DEP_2) | instskip(SKIP_1) | instid1(VALU_DEP_1)
	v_pk_fma_f32 v[144:145], v[142:143], v[130:131], v[140:141] op_sel:[0,0,1] op_sel_hi:[1,1,0] neg_lo:[0,0,1] neg_hi:[0,0,1]
	v_pk_fma_f32 v[140:141], v[142:143], v[130:131], v[140:141] op_sel:[0,0,1] op_sel_hi:[1,0,0]
	v_mov_b32_e32 v145, v141
	ds_load_2addr_b64 v[140:143], v134 offset0:43 offset1:44
	v_pk_add_f32 v[34:35], v[34:35], v[144:145] neg_lo:[0,1] neg_hi:[0,1]
	s_wait_dscnt 0x0
	v_pk_mul_f32 v[144:145], v[140:141], v[132:133] op_sel:[0,1]
	s_delay_alu instid0(VALU_DEP_1) | instskip(SKIP_1) | instid1(VALU_DEP_1)
	v_pk_fma_f32 v[146:147], v[140:141], v[130:131], v[144:145] op_sel:[0,0,1] op_sel_hi:[1,1,0] neg_lo:[0,0,1] neg_hi:[0,0,1]
	v_pk_fma_f32 v[140:141], v[140:141], v[130:131], v[144:145] op_sel:[0,0,1] op_sel_hi:[1,0,0]
	v_mov_b32_e32 v147, v141
	v_pk_mul_f32 v[140:141], v[142:143], v[132:133] op_sel:[0,1]
	s_delay_alu instid0(VALU_DEP_2) | instskip(NEXT) | instid1(VALU_DEP_2)
	v_pk_add_f32 v[30:31], v[30:31], v[146:147] neg_lo:[0,1] neg_hi:[0,1]
	v_pk_fma_f32 v[144:145], v[142:143], v[130:131], v[140:141] op_sel:[0,0,1] op_sel_hi:[1,1,0] neg_lo:[0,0,1] neg_hi:[0,0,1]
	v_pk_fma_f32 v[140:141], v[142:143], v[130:131], v[140:141] op_sel:[0,0,1] op_sel_hi:[1,0,0]
	s_delay_alu instid0(VALU_DEP_1) | instskip(SKIP_4) | instid1(VALU_DEP_1)
	v_mov_b32_e32 v145, v141
	ds_load_2addr_b64 v[140:143], v134 offset0:45 offset1:46
	v_pk_add_f32 v[98:99], v[98:99], v[144:145] neg_lo:[0,1] neg_hi:[0,1]
	s_wait_dscnt 0x0
	v_pk_mul_f32 v[144:145], v[140:141], v[132:133] op_sel:[0,1]
	v_pk_fma_f32 v[146:147], v[140:141], v[130:131], v[144:145] op_sel:[0,0,1] op_sel_hi:[1,1,0] neg_lo:[0,0,1] neg_hi:[0,0,1]
	v_pk_fma_f32 v[140:141], v[140:141], v[130:131], v[144:145] op_sel:[0,0,1] op_sel_hi:[1,0,0]
	v_dual_mul_f32 v144, v143, v133 :: v_dual_mov_b32 v140, v143
	s_delay_alu instid0(VALU_DEP_2) | instskip(NEXT) | instid1(VALU_DEP_2)
	v_dual_mov_b32 v147, v141 :: v_dual_mov_b32 v141, v142
	v_pk_fma_f32 v[144:145], v[142:143], v[104:105], v[144:145] op_sel_hi:[1,1,0] neg_lo:[0,0,1] neg_hi:[0,0,1]
	v_mul_f32_e32 v142, v143, v130
	s_delay_alu instid0(VALU_DEP_3) | instskip(NEXT) | instid1(VALU_DEP_2)
	v_pk_add_f32 v[24:25], v[24:25], v[146:147] neg_lo:[0,1] neg_hi:[0,1]
	v_pk_fma_f32 v[140:141], v[140:141], v[104:105], v[142:143] op_sel_hi:[1,1,0]
	s_delay_alu instid0(VALU_DEP_1) | instskip(SKIP_4) | instid1(VALU_DEP_1)
	v_mov_b32_e32 v145, v141
	ds_load_2addr_b64 v[140:143], v134 offset0:47 offset1:48
	v_pk_add_f32 v[28:29], v[28:29], v[144:145] neg_lo:[0,1] neg_hi:[0,1]
	s_wait_dscnt 0x0
	v_pk_mul_f32 v[144:145], v[140:141], v[132:133] op_sel:[0,1]
	v_pk_fma_f32 v[146:147], v[140:141], v[130:131], v[144:145] op_sel:[0,0,1] op_sel_hi:[1,1,0] neg_lo:[0,0,1] neg_hi:[0,0,1]
	v_pk_fma_f32 v[140:141], v[140:141], v[130:131], v[144:145] op_sel:[0,0,1] op_sel_hi:[1,0,0]
	s_delay_alu instid0(VALU_DEP_1) | instskip(SKIP_1) | instid1(VALU_DEP_1)
	v_mov_b32_e32 v147, v141
	v_pk_mul_f32 v[140:141], v[142:143], v[132:133] op_sel:[0,1]
	v_pk_fma_f32 v[144:145], v[142:143], v[130:131], v[140:141] op_sel:[0,0,1] op_sel_hi:[1,1,0] neg_lo:[0,0,1] neg_hi:[0,0,1]
	v_pk_fma_f32 v[140:141], v[142:143], v[130:131], v[140:141] op_sel:[0,0,1] op_sel_hi:[1,0,0]
	s_delay_alu instid0(VALU_DEP_1)
	v_mov_b32_e32 v145, v141
	ds_load_2addr_b64 v[140:143], v134 offset0:49 offset1:50
	v_pk_add_f32 v[22:23], v[22:23], v[146:147] neg_lo:[0,1] neg_hi:[0,1]
	v_pk_add_f32 v[96:97], v[96:97], v[144:145] neg_lo:[0,1] neg_hi:[0,1]
	s_wait_dscnt 0x0
	v_pk_mul_f32 v[144:145], v[140:141], v[132:133] op_sel:[0,1]
	s_delay_alu instid0(VALU_DEP_1) | instskip(SKIP_1) | instid1(VALU_DEP_1)
	v_pk_fma_f32 v[146:147], v[140:141], v[130:131], v[144:145] op_sel:[0,0,1] op_sel_hi:[1,1,0] neg_lo:[0,0,1] neg_hi:[0,0,1]
	v_pk_fma_f32 v[140:141], v[140:141], v[130:131], v[144:145] op_sel:[0,0,1] op_sel_hi:[1,0,0]
	v_mov_b32_e32 v147, v141
	v_pk_mul_f32 v[140:141], v[142:143], v[132:133] op_sel:[0,1]
	s_delay_alu instid0(VALU_DEP_1) | instskip(SKIP_1) | instid1(VALU_DEP_1)
	v_pk_fma_f32 v[144:145], v[142:143], v[130:131], v[140:141] op_sel:[0,0,1] op_sel_hi:[1,1,0] neg_lo:[0,0,1] neg_hi:[0,0,1]
	v_pk_fma_f32 v[140:141], v[142:143], v[130:131], v[140:141] op_sel:[0,0,1] op_sel_hi:[1,0,0]
	v_mov_b32_e32 v145, v141
	ds_load_2addr_b64 v[140:143], v134 offset0:51 offset1:52
	v_pk_add_f32 v[18:19], v[18:19], v[146:147] neg_lo:[0,1] neg_hi:[0,1]
	v_pk_add_f32 v[20:21], v[20:21], v[144:145] neg_lo:[0,1] neg_hi:[0,1]
	s_wait_dscnt 0x0
	v_dual_mul_f32 v144, v141, v133 :: v_dual_mul_f32 v146, v141, v130
	s_delay_alu instid0(VALU_DEP_1) | instskip(NEXT) | instid1(VALU_DEP_2)
	v_pk_fma_f32 v[144:145], v[140:141], v[104:105], v[144:145] op_sel_hi:[1,1,0] neg_lo:[0,0,1] neg_hi:[0,0,1]
	v_pk_fma_f32 v[140:141], v[140:141], v[104:105], v[146:147] op_sel:[1,0,0] op_sel_hi:[0,1,0]
	s_delay_alu instid0(VALU_DEP_1) | instskip(SKIP_1) | instid1(VALU_DEP_2)
	v_mov_b32_e32 v145, v141
	v_pk_mul_f32 v[140:141], v[142:143], v[132:133] op_sel:[0,1]
	v_pk_add_f32 v[36:37], v[36:37], v[144:145] neg_lo:[0,1] neg_hi:[0,1]
	s_delay_alu instid0(VALU_DEP_2) | instskip(SKIP_1) | instid1(VALU_DEP_1)
	v_pk_fma_f32 v[144:145], v[142:143], v[130:131], v[140:141] op_sel:[0,0,1] op_sel_hi:[1,1,0] neg_lo:[0,0,1] neg_hi:[0,0,1]
	v_pk_fma_f32 v[140:141], v[142:143], v[130:131], v[140:141] op_sel:[0,0,1] op_sel_hi:[1,0,0]
	v_mov_b32_e32 v145, v141
	ds_load_2addr_b64 v[140:143], v134 offset0:53 offset1:54
	v_pk_add_f32 v[86:87], v[86:87], v[144:145] neg_lo:[0,1] neg_hi:[0,1]
	s_wait_dscnt 0x0
	v_pk_mul_f32 v[144:145], v[140:141], v[132:133] op_sel:[0,1]
	s_delay_alu instid0(VALU_DEP_1) | instskip(SKIP_1) | instid1(VALU_DEP_1)
	v_pk_fma_f32 v[146:147], v[140:141], v[130:131], v[144:145] op_sel:[0,0,1] op_sel_hi:[1,1,0] neg_lo:[0,0,1] neg_hi:[0,0,1]
	v_pk_fma_f32 v[140:141], v[140:141], v[130:131], v[144:145] op_sel:[0,0,1] op_sel_hi:[1,0,0]
	v_mov_b32_e32 v147, v141
	v_pk_mul_f32 v[140:141], v[142:143], v[132:133] op_sel:[0,1]
	s_delay_alu instid0(VALU_DEP_2) | instskip(NEXT) | instid1(VALU_DEP_2)
	v_pk_add_f32 v[10:11], v[10:11], v[146:147] neg_lo:[0,1] neg_hi:[0,1]
	v_pk_fma_f32 v[144:145], v[142:143], v[130:131], v[140:141] op_sel:[0,0,1] op_sel_hi:[1,1,0] neg_lo:[0,0,1] neg_hi:[0,0,1]
	v_pk_fma_f32 v[140:141], v[142:143], v[130:131], v[140:141] op_sel:[0,0,1] op_sel_hi:[1,0,0]
	s_delay_alu instid0(VALU_DEP_1) | instskip(SKIP_4) | instid1(VALU_DEP_1)
	v_mov_b32_e32 v145, v141
	ds_load_2addr_b64 v[140:143], v134 offset0:55 offset1:56
	v_pk_add_f32 v[12:13], v[12:13], v[144:145] neg_lo:[0,1] neg_hi:[0,1]
	s_wait_dscnt 0x0
	v_pk_mul_f32 v[144:145], v[140:141], v[132:133] op_sel:[0,1]
	v_pk_fma_f32 v[146:147], v[140:141], v[130:131], v[144:145] op_sel:[0,0,1] op_sel_hi:[1,1,0] neg_lo:[0,0,1] neg_hi:[0,0,1]
	v_pk_fma_f32 v[140:141], v[140:141], v[130:131], v[144:145] op_sel:[0,0,1] op_sel_hi:[1,0,0]
	v_dual_mul_f32 v144, v143, v133 :: v_dual_mov_b32 v140, v143
	s_delay_alu instid0(VALU_DEP_2) | instskip(NEXT) | instid1(VALU_DEP_2)
	v_dual_mov_b32 v147, v141 :: v_dual_mov_b32 v141, v142
	v_pk_fma_f32 v[144:145], v[142:143], v[104:105], v[144:145] op_sel_hi:[1,1,0] neg_lo:[0,0,1] neg_hi:[0,0,1]
	v_mul_f32_e32 v142, v143, v130
	s_delay_alu instid0(VALU_DEP_3) | instskip(NEXT) | instid1(VALU_DEP_2)
	v_pk_add_f32 v[8:9], v[8:9], v[146:147] neg_lo:[0,1] neg_hi:[0,1]
	v_pk_fma_f32 v[140:141], v[140:141], v[104:105], v[142:143] op_sel_hi:[1,1,0]
	s_delay_alu instid0(VALU_DEP_1) | instskip(SKIP_4) | instid1(VALU_DEP_1)
	v_mov_b32_e32 v145, v141
	ds_load_2addr_b64 v[140:143], v134 offset0:57 offset1:58
	v_pk_add_f32 v[44:45], v[44:45], v[144:145] neg_lo:[0,1] neg_hi:[0,1]
	s_wait_dscnt 0x0
	v_pk_mul_f32 v[144:145], v[140:141], v[132:133] op_sel:[0,1]
	v_pk_fma_f32 v[146:147], v[140:141], v[130:131], v[144:145] op_sel:[0,0,1] op_sel_hi:[1,1,0] neg_lo:[0,0,1] neg_hi:[0,0,1]
	v_pk_fma_f32 v[140:141], v[140:141], v[130:131], v[144:145] op_sel:[0,0,1] op_sel_hi:[1,0,0]
	s_delay_alu instid0(VALU_DEP_1) | instskip(SKIP_1) | instid1(VALU_DEP_1)
	v_mov_b32_e32 v147, v141
	v_pk_mul_f32 v[140:141], v[142:143], v[132:133] op_sel:[0,1]
	v_pk_fma_f32 v[144:145], v[142:143], v[130:131], v[140:141] op_sel:[0,0,1] op_sel_hi:[1,1,0] neg_lo:[0,0,1] neg_hi:[0,0,1]
	v_pk_fma_f32 v[140:141], v[142:143], v[130:131], v[140:141] op_sel:[0,0,1] op_sel_hi:[1,0,0]
	s_delay_alu instid0(VALU_DEP_1)
	v_mov_b32_e32 v145, v141
	ds_load_2addr_b64 v[140:143], v134 offset0:59 offset1:60
	v_pk_add_f32 v[6:7], v[6:7], v[146:147] neg_lo:[0,1] neg_hi:[0,1]
	v_pk_add_f32 v[26:27], v[26:27], v[144:145] neg_lo:[0,1] neg_hi:[0,1]
	s_wait_dscnt 0x0
	v_pk_mul_f32 v[144:145], v[140:141], v[132:133] op_sel:[0,1]
	s_delay_alu instid0(VALU_DEP_1) | instskip(SKIP_1) | instid1(VALU_DEP_1)
	v_pk_fma_f32 v[146:147], v[140:141], v[130:131], v[144:145] op_sel:[0,0,1] op_sel_hi:[1,1,0] neg_lo:[0,0,1] neg_hi:[0,0,1]
	v_pk_fma_f32 v[140:141], v[140:141], v[130:131], v[144:145] op_sel:[0,0,1] op_sel_hi:[1,0,0]
	v_mov_b32_e32 v147, v141
	v_pk_mul_f32 v[140:141], v[142:143], v[132:133] op_sel:[0,1]
	s_delay_alu instid0(VALU_DEP_1) | instskip(SKIP_1) | instid1(VALU_DEP_1)
	v_pk_fma_f32 v[144:145], v[142:143], v[130:131], v[140:141] op_sel:[0,0,1] op_sel_hi:[1,1,0] neg_lo:[0,0,1] neg_hi:[0,0,1]
	v_pk_fma_f32 v[140:141], v[142:143], v[130:131], v[140:141] op_sel:[0,0,1] op_sel_hi:[1,0,0]
	v_mov_b32_e32 v145, v141
	ds_load_b64 v[140:141], v134 offset:488
	v_pk_add_f32 v[16:17], v[16:17], v[146:147] neg_lo:[0,1] neg_hi:[0,1]
	v_pk_add_f32 v[14:15], v[14:15], v[144:145] neg_lo:[0,1] neg_hi:[0,1]
	s_wait_dscnt 0x0
	v_pk_mul_f32 v[132:133], v[140:141], v[132:133] op_sel:[0,1]
	s_delay_alu instid0(VALU_DEP_1) | instskip(SKIP_1) | instid1(VALU_DEP_1)
	v_pk_fma_f32 v[142:143], v[140:141], v[130:131], v[132:133] op_sel:[0,0,1] op_sel_hi:[1,1,0] neg_lo:[0,0,1] neg_hi:[0,0,1]
	v_pk_fma_f32 v[130:131], v[140:141], v[130:131], v[132:133] op_sel:[0,0,1] op_sel_hi:[1,0,0]
	v_mov_b32_e32 v143, v131
	s_delay_alu instid0(VALU_DEP_1)
	v_pk_add_f32 v[128:129], v[128:129], v[142:143] neg_lo:[0,1] neg_hi:[0,1]
.LBB122_692:
	s_or_b32 exec_lo, exec_lo, s0
	v_lshl_add_u32 v130, v138, 3, v134
	s_barrier_signal -1
	s_barrier_wait -1
	ds_store_b64 v130, v[48:49]
	s_wait_dscnt 0x0
	s_barrier_signal -1
	s_barrier_wait -1
	ds_load_b64 v[132:133], v134 offset:264
	v_mov_b32_e32 v130, 33
	s_cmp_lt_i32 s18, 35
	s_cbranch_scc1 .LBB122_695
; %bb.693:
	v_add3_u32 v131, v135, 0, 0x110
	v_mov_b32_e32 v130, 33
	s_mov_b32 s0, 34
.LBB122_694:                            ; =>This Inner Loop Header: Depth=1
	ds_load_b64 v[140:141], v131
	s_wait_dscnt 0x1
	v_cmp_gt_f32_e32 vcc_lo, 0, v132
	v_cndmask_b32_e64 v142, v132, -v132, vcc_lo
	v_cmp_gt_f32_e32 vcc_lo, 0, v133
	v_cndmask_b32_e64 v144, v133, -v133, vcc_lo
	s_wait_dscnt 0x0
	v_cmp_gt_f32_e32 vcc_lo, 0, v140
	v_cndmask_b32_e64 v143, v140, -v140, vcc_lo
	v_cmp_gt_f32_e32 vcc_lo, 0, v141
	v_cndmask_b32_e64 v145, v141, -v141, vcc_lo
	s_delay_alu instid0(VALU_DEP_1) | instskip(NEXT) | instid1(VALU_DEP_1)
	v_pk_add_f32 v[142:143], v[142:143], v[144:145]
	v_cmp_lt_f32_e32 vcc_lo, v142, v143
	v_dual_add_nc_u32 v131, 8, v131 :: v_dual_cndmask_b32 v133, v133, v141, vcc_lo
	v_cndmask_b32_e32 v132, v132, v140, vcc_lo
	v_cndmask_b32_e64 v130, v130, s0, vcc_lo
	s_add_co_i32 s0, s0, 1
	s_delay_alu instid0(SALU_CYCLE_1)
	s_cmp_lg_u32 s18, s0
	s_cbranch_scc1 .LBB122_694
.LBB122_695:
	s_wait_dscnt 0x0
	v_cmp_eq_f32_e32 vcc_lo, 0, v132
	v_cmp_eq_f32_e64 s0, 0, v133
	s_and_b32 s0, vcc_lo, s0
	s_delay_alu instid0(SALU_CYCLE_1) | instskip(NEXT) | instid1(SALU_CYCLE_1)
	s_and_saveexec_b32 s1, s0
	s_xor_b32 s0, exec_lo, s1
; %bb.696:
	v_cmp_ne_u32_e32 vcc_lo, 0, v136
	v_cndmask_b32_e32 v136, 34, v136, vcc_lo
; %bb.697:
	s_and_not1_saveexec_b32 s0, s0
	s_cbranch_execz .LBB122_703
; %bb.698:
	v_cmp_ngt_f32_e64 s1, |v132|, |v133|
	s_and_saveexec_b32 s12, s1
	s_delay_alu instid0(SALU_CYCLE_1)
	s_xor_b32 s1, exec_lo, s12
	s_cbranch_execz .LBB122_700
; %bb.699:
	v_div_scale_f32 v131, null, v133, v133, v132
	v_div_scale_f32 v141, vcc_lo, v132, v133, v132
	s_delay_alu instid0(VALU_DEP_2) | instskip(SKIP_1) | instid1(TRANS32_DEP_1)
	v_rcp_f32_e32 v139, v131
	v_nop
	v_fma_f32 v140, -v131, v139, 1.0
	s_delay_alu instid0(VALU_DEP_1) | instskip(NEXT) | instid1(VALU_DEP_1)
	v_fmac_f32_e32 v139, v140, v139
	v_mul_f32_e32 v140, v141, v139
	s_delay_alu instid0(VALU_DEP_1) | instskip(NEXT) | instid1(VALU_DEP_1)
	v_fma_f32 v142, -v131, v140, v141
	v_fmac_f32_e32 v140, v142, v139
	s_delay_alu instid0(VALU_DEP_1) | instskip(NEXT) | instid1(VALU_DEP_1)
	v_fma_f32 v131, -v131, v140, v141
	v_div_fmas_f32 v131, v131, v139, v140
	s_delay_alu instid0(VALU_DEP_1) | instskip(NEXT) | instid1(VALU_DEP_1)
	v_div_fixup_f32 v131, v131, v133, v132
	v_fmac_f32_e32 v133, v132, v131
	s_delay_alu instid0(VALU_DEP_1) | instskip(SKIP_1) | instid1(VALU_DEP_2)
	v_div_scale_f32 v132, null, v133, v133, 1.0
	v_div_scale_f32 v141, vcc_lo, 1.0, v133, 1.0
	v_rcp_f32_e32 v139, v132
	v_nop
	s_delay_alu instid0(TRANS32_DEP_1) | instskip(NEXT) | instid1(VALU_DEP_1)
	v_fma_f32 v140, -v132, v139, 1.0
	v_fmac_f32_e32 v139, v140, v139
	s_delay_alu instid0(VALU_DEP_1) | instskip(NEXT) | instid1(VALU_DEP_1)
	v_mul_f32_e32 v140, v141, v139
	v_fma_f32 v142, -v132, v140, v141
	s_delay_alu instid0(VALU_DEP_1) | instskip(NEXT) | instid1(VALU_DEP_1)
	v_fmac_f32_e32 v140, v142, v139
	v_fma_f32 v132, -v132, v140, v141
	s_delay_alu instid0(VALU_DEP_1) | instskip(NEXT) | instid1(VALU_DEP_1)
	v_div_fmas_f32 v132, v132, v139, v140
	v_div_fixup_f32 v133, v132, v133, 1.0
	s_delay_alu instid0(VALU_DEP_1)
	v_mul_f32_e32 v132, v131, v133
	v_xor_b32_e32 v133, 0x80000000, v133
.LBB122_700:
	s_and_not1_saveexec_b32 s1, s1
	s_cbranch_execz .LBB122_702
; %bb.701:
	s_delay_alu instid0(VALU_DEP_1) | instskip(SKIP_1) | instid1(VALU_DEP_2)
	v_div_scale_f32 v131, null, v132, v132, v133
	v_div_scale_f32 v141, vcc_lo, v133, v132, v133
	v_rcp_f32_e32 v139, v131
	v_nop
	s_delay_alu instid0(TRANS32_DEP_1) | instskip(NEXT) | instid1(VALU_DEP_1)
	v_fma_f32 v140, -v131, v139, 1.0
	v_fmac_f32_e32 v139, v140, v139
	s_delay_alu instid0(VALU_DEP_1) | instskip(NEXT) | instid1(VALU_DEP_1)
	v_mul_f32_e32 v140, v141, v139
	v_fma_f32 v142, -v131, v140, v141
	s_delay_alu instid0(VALU_DEP_1) | instskip(NEXT) | instid1(VALU_DEP_1)
	v_fmac_f32_e32 v140, v142, v139
	v_fma_f32 v131, -v131, v140, v141
	s_delay_alu instid0(VALU_DEP_1) | instskip(NEXT) | instid1(VALU_DEP_1)
	v_div_fmas_f32 v131, v131, v139, v140
	v_div_fixup_f32 v131, v131, v132, v133
	s_delay_alu instid0(VALU_DEP_1) | instskip(NEXT) | instid1(VALU_DEP_1)
	v_fmac_f32_e32 v132, v133, v131
	v_div_scale_f32 v133, null, v132, v132, 1.0
	s_delay_alu instid0(VALU_DEP_1) | instskip(SKIP_1) | instid1(TRANS32_DEP_1)
	v_rcp_f32_e32 v139, v133
	v_nop
	v_fma_f32 v140, -v133, v139, 1.0
	s_delay_alu instid0(VALU_DEP_1) | instskip(SKIP_1) | instid1(VALU_DEP_1)
	v_fmac_f32_e32 v139, v140, v139
	v_div_scale_f32 v140, vcc_lo, 1.0, v132, 1.0
	v_mul_f32_e32 v141, v140, v139
	s_delay_alu instid0(VALU_DEP_1) | instskip(NEXT) | instid1(VALU_DEP_1)
	v_fma_f32 v142, -v133, v141, v140
	v_fmac_f32_e32 v141, v142, v139
	s_delay_alu instid0(VALU_DEP_1) | instskip(NEXT) | instid1(VALU_DEP_1)
	v_fma_f32 v133, -v133, v141, v140
	v_div_fmas_f32 v133, v133, v139, v141
	s_delay_alu instid0(VALU_DEP_1) | instskip(NEXT) | instid1(VALU_DEP_1)
	v_div_fixup_f32 v132, v133, v132, 1.0
	v_mul_f32_e64 v133, v131, -v132
.LBB122_702:
	s_or_b32 exec_lo, exec_lo, s1
.LBB122_703:
	s_delay_alu instid0(SALU_CYCLE_1) | instskip(NEXT) | instid1(SALU_CYCLE_1)
	s_or_b32 exec_lo, exec_lo, s0
	s_mov_b32 s0, exec_lo
	v_cmpx_ne_u32_e64 v138, v130
	s_xor_b32 s0, exec_lo, s0
	s_cbranch_execz .LBB122_709
; %bb.704:
	s_mov_b32 s1, exec_lo
	v_cmpx_eq_u32_e32 33, v138
	s_cbranch_execz .LBB122_708
; %bb.705:
	v_cmp_ne_u32_e32 vcc_lo, 33, v130
	s_xor_b32 s12, s16, -1
	s_delay_alu instid0(SALU_CYCLE_1) | instskip(NEXT) | instid1(SALU_CYCLE_1)
	s_and_b32 s13, s12, vcc_lo
	s_and_saveexec_b32 s12, s13
	s_cbranch_execz .LBB122_707
; %bb.706:
	v_ashrrev_i32_e32 v131, 31, v130
	s_delay_alu instid0(VALU_DEP_1)
	v_lshl_add_u64 v[138:139], v[130:131], 2, v[4:5]
	s_clause 0x1
	global_load_b32 v131, v[138:139], off
	global_load_b32 v137, v[4:5], off offset:132
	s_wait_loadcnt 0x1
	global_store_b32 v[4:5], v131, off offset:132
	s_wait_loadcnt 0x0
	global_store_b32 v[138:139], v137, off
.LBB122_707:
	s_wait_xcnt 0x0
	s_or_b32 exec_lo, exec_lo, s12
	v_dual_mov_b32 v138, v130 :: v_dual_mov_b32 v137, v130
.LBB122_708:
	s_or_b32 exec_lo, exec_lo, s1
.LBB122_709:
	s_and_not1_saveexec_b32 s0, s0
	s_cbranch_execz .LBB122_711
; %bb.710:
	v_dual_mov_b32 v130, v50 :: v_dual_mov_b32 v131, v51
	v_dual_mov_b32 v138, v46 :: v_dual_mov_b32 v139, v47
	;; [unrolled: 1-line block ×8, first 2 shown]
	ds_store_2addr_b64 v134, v[130:131], v[138:139] offset0:34 offset1:35
	ds_store_2addr_b64 v134, v[140:141], v[142:143] offset0:36 offset1:37
	ds_store_2addr_b64 v134, v[144:145], v[146:147] offset0:38 offset1:39
	ds_store_2addr_b64 v134, v[148:149], v[150:151] offset0:40 offset1:41
	v_dual_mov_b32 v130, v34 :: v_dual_mov_b32 v131, v35
	v_dual_mov_b32 v138, v30 :: v_dual_mov_b32 v139, v31
	;; [unrolled: 1-line block ×12, first 2 shown]
	ds_store_2addr_b64 v134, v[130:131], v[138:139] offset0:42 offset1:43
	ds_store_2addr_b64 v134, v[140:141], v[142:143] offset0:44 offset1:45
	ds_store_2addr_b64 v134, v[144:145], v[146:147] offset0:46 offset1:47
	ds_store_2addr_b64 v134, v[148:149], v[150:151] offset0:48 offset1:49
	ds_store_2addr_b64 v134, v[152:153], v[154:155] offset0:50 offset1:51
	ds_store_2addr_b64 v134, v[156:157], v[158:159] offset0:52 offset1:53
	v_dual_mov_b32 v130, v12 :: v_dual_mov_b32 v131, v13
	v_dual_mov_b32 v140, v8 :: v_dual_mov_b32 v141, v9
	;; [unrolled: 1-line block ×7, first 2 shown]
	v_mov_b32_e32 v151, v15
	ds_store_2addr_b64 v134, v[130:131], v[140:141] offset0:54 offset1:55
	ds_store_2addr_b64 v134, v[142:143], v[144:145] offset0:56 offset1:57
	;; [unrolled: 1-line block ×4, first 2 shown]
.LBB122_711:
	s_or_b32 exec_lo, exec_lo, s0
	s_delay_alu instid0(SALU_CYCLE_1)
	s_mov_b32 s0, exec_lo
	s_wait_storecnt_dscnt 0x0
	s_barrier_signal -1
	s_barrier_wait -1
	v_cmpx_lt_i32_e32 33, v138
	s_cbranch_execz .LBB122_713
; %bb.712:
	v_pk_mul_f32 v[140:141], v[132:133], v[48:49] op_sel:[1,1] op_sel_hi:[0,1]
	s_delay_alu instid0(VALU_DEP_1)
	v_pk_fma_f32 v[130:131], v[132:133], v[48:49], v[140:141] op_sel_hi:[1,0,1] neg_lo:[0,0,1] neg_hi:[0,0,1]
	v_pk_fma_f32 v[132:133], v[132:133], v[48:49], v[140:141] op_sel_hi:[1,0,1]
	ds_load_2addr_b64 v[140:143], v134 offset0:34 offset1:35
	v_dual_mov_b32 v48, v130 :: v_dual_mov_b32 v49, v133
	s_wait_dscnt 0x0
	v_pk_mul_f32 v[144:145], v[140:141], v[132:133] op_sel:[0,1]
	s_delay_alu instid0(VALU_DEP_1) | instskip(SKIP_1) | instid1(VALU_DEP_1)
	v_pk_fma_f32 v[146:147], v[140:141], v[130:131], v[144:145] op_sel:[0,0,1] op_sel_hi:[1,1,0] neg_lo:[0,0,1] neg_hi:[0,0,1]
	v_pk_fma_f32 v[140:141], v[140:141], v[130:131], v[144:145] op_sel:[0,0,1] op_sel_hi:[1,0,0]
	v_mov_b32_e32 v147, v141
	v_pk_mul_f32 v[140:141], v[142:143], v[132:133] op_sel:[0,1]
	s_delay_alu instid0(VALU_DEP_1) | instskip(SKIP_1) | instid1(VALU_DEP_1)
	v_pk_fma_f32 v[144:145], v[142:143], v[130:131], v[140:141] op_sel:[0,0,1] op_sel_hi:[1,1,0] neg_lo:[0,0,1] neg_hi:[0,0,1]
	v_pk_fma_f32 v[140:141], v[142:143], v[130:131], v[140:141] op_sel:[0,0,1] op_sel_hi:[1,0,0]
	v_mov_b32_e32 v145, v141
	ds_load_2addr_b64 v[140:143], v134 offset0:36 offset1:37
	v_pk_add_f32 v[50:51], v[50:51], v[146:147] neg_lo:[0,1] neg_hi:[0,1]
	v_pk_add_f32 v[46:47], v[46:47], v[144:145] neg_lo:[0,1] neg_hi:[0,1]
	s_wait_dscnt 0x0
	v_pk_mul_f32 v[144:145], v[140:141], v[132:133] op_sel:[0,1]
	s_delay_alu instid0(VALU_DEP_1) | instskip(SKIP_2) | instid1(VALU_DEP_2)
	v_pk_fma_f32 v[146:147], v[140:141], v[130:131], v[144:145] op_sel:[0,0,1] op_sel_hi:[1,1,0] neg_lo:[0,0,1] neg_hi:[0,0,1]
	v_pk_fma_f32 v[140:141], v[140:141], v[130:131], v[144:145] op_sel:[0,0,1] op_sel_hi:[1,0,0]
	v_dual_mul_f32 v144, v143, v133 :: v_dual_mov_b32 v140, v143
	v_dual_mov_b32 v147, v141 :: v_dual_mov_b32 v141, v142
	s_delay_alu instid0(VALU_DEP_2) | instskip(SKIP_1) | instid1(VALU_DEP_3)
	v_pk_fma_f32 v[144:145], v[142:143], v[48:49], v[144:145] op_sel_hi:[1,1,0] neg_lo:[0,0,1] neg_hi:[0,0,1]
	v_mul_f32_e32 v142, v143, v130
	v_pk_add_f32 v[102:103], v[102:103], v[146:147] neg_lo:[0,1] neg_hi:[0,1]
	s_delay_alu instid0(VALU_DEP_2) | instskip(NEXT) | instid1(VALU_DEP_1)
	v_pk_fma_f32 v[140:141], v[140:141], v[48:49], v[142:143] op_sel_hi:[1,1,0]
	v_mov_b32_e32 v145, v141
	ds_load_2addr_b64 v[140:143], v134 offset0:38 offset1:39
	v_pk_add_f32 v[40:41], v[40:41], v[144:145] neg_lo:[0,1] neg_hi:[0,1]
	s_wait_dscnt 0x0
	v_pk_mul_f32 v[144:145], v[140:141], v[132:133] op_sel:[0,1]
	s_delay_alu instid0(VALU_DEP_1) | instskip(SKIP_1) | instid1(VALU_DEP_1)
	v_pk_fma_f32 v[146:147], v[140:141], v[130:131], v[144:145] op_sel:[0,0,1] op_sel_hi:[1,1,0] neg_lo:[0,0,1] neg_hi:[0,0,1]
	v_pk_fma_f32 v[140:141], v[140:141], v[130:131], v[144:145] op_sel:[0,0,1] op_sel_hi:[1,0,0]
	v_mov_b32_e32 v147, v141
	v_pk_mul_f32 v[140:141], v[142:143], v[132:133] op_sel:[0,1]
	s_delay_alu instid0(VALU_DEP_1) | instskip(SKIP_1) | instid1(VALU_DEP_1)
	v_pk_fma_f32 v[144:145], v[142:143], v[130:131], v[140:141] op_sel:[0,0,1] op_sel_hi:[1,1,0] neg_lo:[0,0,1] neg_hi:[0,0,1]
	v_pk_fma_f32 v[140:141], v[142:143], v[130:131], v[140:141] op_sel:[0,0,1] op_sel_hi:[1,0,0]
	v_mov_b32_e32 v145, v141
	ds_load_2addr_b64 v[140:143], v134 offset0:40 offset1:41
	v_pk_add_f32 v[42:43], v[42:43], v[146:147] neg_lo:[0,1] neg_hi:[0,1]
	v_pk_add_f32 v[38:39], v[38:39], v[144:145] neg_lo:[0,1] neg_hi:[0,1]
	s_wait_dscnt 0x0
	v_pk_mul_f32 v[144:145], v[140:141], v[132:133] op_sel:[0,1]
	s_delay_alu instid0(VALU_DEP_1) | instskip(SKIP_1) | instid1(VALU_DEP_1)
	v_pk_fma_f32 v[146:147], v[140:141], v[130:131], v[144:145] op_sel:[0,0,1] op_sel_hi:[1,1,0] neg_lo:[0,0,1] neg_hi:[0,0,1]
	v_pk_fma_f32 v[140:141], v[140:141], v[130:131], v[144:145] op_sel:[0,0,1] op_sel_hi:[1,0,0]
	v_mov_b32_e32 v147, v141
	v_pk_mul_f32 v[140:141], v[142:143], v[132:133] op_sel:[0,1]
	s_delay_alu instid0(VALU_DEP_1) | instskip(SKIP_1) | instid1(VALU_DEP_1)
	v_pk_fma_f32 v[144:145], v[142:143], v[130:131], v[140:141] op_sel:[0,0,1] op_sel_hi:[1,1,0] neg_lo:[0,0,1] neg_hi:[0,0,1]
	v_pk_fma_f32 v[140:141], v[142:143], v[130:131], v[140:141] op_sel:[0,0,1] op_sel_hi:[1,0,0]
	v_mov_b32_e32 v145, v141
	ds_load_2addr_b64 v[140:143], v134 offset0:42 offset1:43
	v_pk_add_f32 v[100:101], v[100:101], v[146:147] neg_lo:[0,1] neg_hi:[0,1]
	v_pk_add_f32 v[32:33], v[32:33], v[144:145] neg_lo:[0,1] neg_hi:[0,1]
	s_wait_dscnt 0x0
	v_dual_mul_f32 v144, v141, v133 :: v_dual_mul_f32 v146, v141, v130
	s_delay_alu instid0(VALU_DEP_1) | instskip(NEXT) | instid1(VALU_DEP_2)
	v_pk_fma_f32 v[144:145], v[140:141], v[48:49], v[144:145] op_sel_hi:[1,1,0] neg_lo:[0,0,1] neg_hi:[0,0,1]
	v_pk_fma_f32 v[140:141], v[140:141], v[48:49], v[146:147] op_sel:[1,0,0] op_sel_hi:[0,1,0]
	s_delay_alu instid0(VALU_DEP_1) | instskip(SKIP_1) | instid1(VALU_DEP_2)
	v_mov_b32_e32 v145, v141
	v_pk_mul_f32 v[140:141], v[142:143], v[132:133] op_sel:[0,1]
	v_pk_add_f32 v[34:35], v[34:35], v[144:145] neg_lo:[0,1] neg_hi:[0,1]
	s_delay_alu instid0(VALU_DEP_2) | instskip(SKIP_1) | instid1(VALU_DEP_1)
	v_pk_fma_f32 v[144:145], v[142:143], v[130:131], v[140:141] op_sel:[0,0,1] op_sel_hi:[1,1,0] neg_lo:[0,0,1] neg_hi:[0,0,1]
	v_pk_fma_f32 v[140:141], v[142:143], v[130:131], v[140:141] op_sel:[0,0,1] op_sel_hi:[1,0,0]
	v_mov_b32_e32 v145, v141
	ds_load_2addr_b64 v[140:143], v134 offset0:44 offset1:45
	v_pk_add_f32 v[30:31], v[30:31], v[144:145] neg_lo:[0,1] neg_hi:[0,1]
	s_wait_dscnt 0x0
	v_pk_mul_f32 v[144:145], v[140:141], v[132:133] op_sel:[0,1]
	s_delay_alu instid0(VALU_DEP_1) | instskip(SKIP_1) | instid1(VALU_DEP_1)
	v_pk_fma_f32 v[146:147], v[140:141], v[130:131], v[144:145] op_sel:[0,0,1] op_sel_hi:[1,1,0] neg_lo:[0,0,1] neg_hi:[0,0,1]
	v_pk_fma_f32 v[140:141], v[140:141], v[130:131], v[144:145] op_sel:[0,0,1] op_sel_hi:[1,0,0]
	v_mov_b32_e32 v147, v141
	v_pk_mul_f32 v[140:141], v[142:143], v[132:133] op_sel:[0,1]
	s_delay_alu instid0(VALU_DEP_2) | instskip(NEXT) | instid1(VALU_DEP_2)
	v_pk_add_f32 v[98:99], v[98:99], v[146:147] neg_lo:[0,1] neg_hi:[0,1]
	v_pk_fma_f32 v[144:145], v[142:143], v[130:131], v[140:141] op_sel:[0,0,1] op_sel_hi:[1,1,0] neg_lo:[0,0,1] neg_hi:[0,0,1]
	v_pk_fma_f32 v[140:141], v[142:143], v[130:131], v[140:141] op_sel:[0,0,1] op_sel_hi:[1,0,0]
	s_delay_alu instid0(VALU_DEP_1) | instskip(SKIP_4) | instid1(VALU_DEP_1)
	v_mov_b32_e32 v145, v141
	ds_load_2addr_b64 v[140:143], v134 offset0:46 offset1:47
	v_pk_add_f32 v[24:25], v[24:25], v[144:145] neg_lo:[0,1] neg_hi:[0,1]
	s_wait_dscnt 0x0
	v_pk_mul_f32 v[144:145], v[140:141], v[132:133] op_sel:[0,1]
	v_pk_fma_f32 v[146:147], v[140:141], v[130:131], v[144:145] op_sel:[0,0,1] op_sel_hi:[1,1,0] neg_lo:[0,0,1] neg_hi:[0,0,1]
	v_pk_fma_f32 v[140:141], v[140:141], v[130:131], v[144:145] op_sel:[0,0,1] op_sel_hi:[1,0,0]
	v_dual_mul_f32 v144, v143, v133 :: v_dual_mov_b32 v140, v143
	s_delay_alu instid0(VALU_DEP_2) | instskip(NEXT) | instid1(VALU_DEP_2)
	v_dual_mov_b32 v147, v141 :: v_dual_mov_b32 v141, v142
	v_pk_fma_f32 v[144:145], v[142:143], v[48:49], v[144:145] op_sel_hi:[1,1,0] neg_lo:[0,0,1] neg_hi:[0,0,1]
	v_mul_f32_e32 v142, v143, v130
	s_delay_alu instid0(VALU_DEP_3) | instskip(NEXT) | instid1(VALU_DEP_2)
	v_pk_add_f32 v[28:29], v[28:29], v[146:147] neg_lo:[0,1] neg_hi:[0,1]
	v_pk_fma_f32 v[140:141], v[140:141], v[48:49], v[142:143] op_sel_hi:[1,1,0]
	s_delay_alu instid0(VALU_DEP_1) | instskip(SKIP_4) | instid1(VALU_DEP_1)
	v_mov_b32_e32 v145, v141
	ds_load_2addr_b64 v[140:143], v134 offset0:48 offset1:49
	v_pk_add_f32 v[22:23], v[22:23], v[144:145] neg_lo:[0,1] neg_hi:[0,1]
	s_wait_dscnt 0x0
	v_pk_mul_f32 v[144:145], v[140:141], v[132:133] op_sel:[0,1]
	v_pk_fma_f32 v[146:147], v[140:141], v[130:131], v[144:145] op_sel:[0,0,1] op_sel_hi:[1,1,0] neg_lo:[0,0,1] neg_hi:[0,0,1]
	v_pk_fma_f32 v[140:141], v[140:141], v[130:131], v[144:145] op_sel:[0,0,1] op_sel_hi:[1,0,0]
	s_delay_alu instid0(VALU_DEP_1) | instskip(SKIP_1) | instid1(VALU_DEP_1)
	v_mov_b32_e32 v147, v141
	v_pk_mul_f32 v[140:141], v[142:143], v[132:133] op_sel:[0,1]
	v_pk_fma_f32 v[144:145], v[142:143], v[130:131], v[140:141] op_sel:[0,0,1] op_sel_hi:[1,1,0] neg_lo:[0,0,1] neg_hi:[0,0,1]
	v_pk_fma_f32 v[140:141], v[142:143], v[130:131], v[140:141] op_sel:[0,0,1] op_sel_hi:[1,0,0]
	s_delay_alu instid0(VALU_DEP_1)
	v_mov_b32_e32 v145, v141
	ds_load_2addr_b64 v[140:143], v134 offset0:50 offset1:51
	v_pk_add_f32 v[96:97], v[96:97], v[146:147] neg_lo:[0,1] neg_hi:[0,1]
	v_pk_add_f32 v[18:19], v[18:19], v[144:145] neg_lo:[0,1] neg_hi:[0,1]
	s_wait_dscnt 0x0
	v_pk_mul_f32 v[144:145], v[140:141], v[132:133] op_sel:[0,1]
	s_delay_alu instid0(VALU_DEP_1) | instskip(SKIP_1) | instid1(VALU_DEP_1)
	v_pk_fma_f32 v[146:147], v[140:141], v[130:131], v[144:145] op_sel:[0,0,1] op_sel_hi:[1,1,0] neg_lo:[0,0,1] neg_hi:[0,0,1]
	v_pk_fma_f32 v[140:141], v[140:141], v[130:131], v[144:145] op_sel:[0,0,1] op_sel_hi:[1,0,0]
	v_mov_b32_e32 v147, v141
	v_pk_mul_f32 v[140:141], v[142:143], v[132:133] op_sel:[0,1]
	s_delay_alu instid0(VALU_DEP_1) | instskip(SKIP_1) | instid1(VALU_DEP_1)
	v_pk_fma_f32 v[144:145], v[142:143], v[130:131], v[140:141] op_sel:[0,0,1] op_sel_hi:[1,1,0] neg_lo:[0,0,1] neg_hi:[0,0,1]
	v_pk_fma_f32 v[140:141], v[142:143], v[130:131], v[140:141] op_sel:[0,0,1] op_sel_hi:[1,0,0]
	v_mov_b32_e32 v145, v141
	ds_load_2addr_b64 v[140:143], v134 offset0:52 offset1:53
	v_pk_add_f32 v[20:21], v[20:21], v[146:147] neg_lo:[0,1] neg_hi:[0,1]
	v_pk_add_f32 v[36:37], v[36:37], v[144:145] neg_lo:[0,1] neg_hi:[0,1]
	s_wait_dscnt 0x0
	v_dual_mul_f32 v144, v141, v133 :: v_dual_mul_f32 v146, v141, v130
	s_delay_alu instid0(VALU_DEP_1) | instskip(NEXT) | instid1(VALU_DEP_2)
	v_pk_fma_f32 v[144:145], v[140:141], v[48:49], v[144:145] op_sel_hi:[1,1,0] neg_lo:[0,0,1] neg_hi:[0,0,1]
	v_pk_fma_f32 v[140:141], v[140:141], v[48:49], v[146:147] op_sel:[1,0,0] op_sel_hi:[0,1,0]
	s_delay_alu instid0(VALU_DEP_1) | instskip(SKIP_1) | instid1(VALU_DEP_2)
	v_mov_b32_e32 v145, v141
	v_pk_mul_f32 v[140:141], v[142:143], v[132:133] op_sel:[0,1]
	v_pk_add_f32 v[86:87], v[86:87], v[144:145] neg_lo:[0,1] neg_hi:[0,1]
	s_delay_alu instid0(VALU_DEP_2) | instskip(SKIP_1) | instid1(VALU_DEP_1)
	v_pk_fma_f32 v[144:145], v[142:143], v[130:131], v[140:141] op_sel:[0,0,1] op_sel_hi:[1,1,0] neg_lo:[0,0,1] neg_hi:[0,0,1]
	v_pk_fma_f32 v[140:141], v[142:143], v[130:131], v[140:141] op_sel:[0,0,1] op_sel_hi:[1,0,0]
	v_mov_b32_e32 v145, v141
	ds_load_2addr_b64 v[140:143], v134 offset0:54 offset1:55
	v_pk_add_f32 v[10:11], v[10:11], v[144:145] neg_lo:[0,1] neg_hi:[0,1]
	s_wait_dscnt 0x0
	v_pk_mul_f32 v[144:145], v[140:141], v[132:133] op_sel:[0,1]
	s_delay_alu instid0(VALU_DEP_1) | instskip(SKIP_1) | instid1(VALU_DEP_1)
	v_pk_fma_f32 v[146:147], v[140:141], v[130:131], v[144:145] op_sel:[0,0,1] op_sel_hi:[1,1,0] neg_lo:[0,0,1] neg_hi:[0,0,1]
	v_pk_fma_f32 v[140:141], v[140:141], v[130:131], v[144:145] op_sel:[0,0,1] op_sel_hi:[1,0,0]
	v_mov_b32_e32 v147, v141
	v_pk_mul_f32 v[140:141], v[142:143], v[132:133] op_sel:[0,1]
	s_delay_alu instid0(VALU_DEP_2) | instskip(NEXT) | instid1(VALU_DEP_2)
	v_pk_add_f32 v[12:13], v[12:13], v[146:147] neg_lo:[0,1] neg_hi:[0,1]
	v_pk_fma_f32 v[144:145], v[142:143], v[130:131], v[140:141] op_sel:[0,0,1] op_sel_hi:[1,1,0] neg_lo:[0,0,1] neg_hi:[0,0,1]
	v_pk_fma_f32 v[140:141], v[142:143], v[130:131], v[140:141] op_sel:[0,0,1] op_sel_hi:[1,0,0]
	s_delay_alu instid0(VALU_DEP_1) | instskip(SKIP_4) | instid1(VALU_DEP_1)
	v_mov_b32_e32 v145, v141
	ds_load_2addr_b64 v[140:143], v134 offset0:56 offset1:57
	v_pk_add_f32 v[8:9], v[8:9], v[144:145] neg_lo:[0,1] neg_hi:[0,1]
	s_wait_dscnt 0x0
	v_pk_mul_f32 v[144:145], v[140:141], v[132:133] op_sel:[0,1]
	v_pk_fma_f32 v[146:147], v[140:141], v[130:131], v[144:145] op_sel:[0,0,1] op_sel_hi:[1,1,0] neg_lo:[0,0,1] neg_hi:[0,0,1]
	v_pk_fma_f32 v[140:141], v[140:141], v[130:131], v[144:145] op_sel:[0,0,1] op_sel_hi:[1,0,0]
	v_dual_mul_f32 v144, v143, v133 :: v_dual_mov_b32 v140, v143
	s_delay_alu instid0(VALU_DEP_2) | instskip(NEXT) | instid1(VALU_DEP_2)
	v_dual_mov_b32 v147, v141 :: v_dual_mov_b32 v141, v142
	v_pk_fma_f32 v[144:145], v[142:143], v[48:49], v[144:145] op_sel_hi:[1,1,0] neg_lo:[0,0,1] neg_hi:[0,0,1]
	v_mul_f32_e32 v142, v143, v130
	s_delay_alu instid0(VALU_DEP_3) | instskip(NEXT) | instid1(VALU_DEP_2)
	v_pk_add_f32 v[44:45], v[44:45], v[146:147] neg_lo:[0,1] neg_hi:[0,1]
	v_pk_fma_f32 v[140:141], v[140:141], v[48:49], v[142:143] op_sel_hi:[1,1,0]
	s_delay_alu instid0(VALU_DEP_1) | instskip(SKIP_4) | instid1(VALU_DEP_1)
	v_mov_b32_e32 v145, v141
	ds_load_2addr_b64 v[140:143], v134 offset0:58 offset1:59
	v_pk_add_f32 v[6:7], v[6:7], v[144:145] neg_lo:[0,1] neg_hi:[0,1]
	s_wait_dscnt 0x0
	v_pk_mul_f32 v[144:145], v[140:141], v[132:133] op_sel:[0,1]
	v_pk_fma_f32 v[146:147], v[140:141], v[130:131], v[144:145] op_sel:[0,0,1] op_sel_hi:[1,1,0] neg_lo:[0,0,1] neg_hi:[0,0,1]
	v_pk_fma_f32 v[140:141], v[140:141], v[130:131], v[144:145] op_sel:[0,0,1] op_sel_hi:[1,0,0]
	s_delay_alu instid0(VALU_DEP_1) | instskip(SKIP_1) | instid1(VALU_DEP_1)
	v_mov_b32_e32 v147, v141
	v_pk_mul_f32 v[140:141], v[142:143], v[132:133] op_sel:[0,1]
	v_pk_fma_f32 v[144:145], v[142:143], v[130:131], v[140:141] op_sel:[0,0,1] op_sel_hi:[1,1,0] neg_lo:[0,0,1] neg_hi:[0,0,1]
	v_pk_fma_f32 v[140:141], v[142:143], v[130:131], v[140:141] op_sel:[0,0,1] op_sel_hi:[1,0,0]
	s_delay_alu instid0(VALU_DEP_1)
	v_mov_b32_e32 v145, v141
	ds_load_2addr_b64 v[140:143], v134 offset0:60 offset1:61
	v_pk_add_f32 v[26:27], v[26:27], v[146:147] neg_lo:[0,1] neg_hi:[0,1]
	v_pk_add_f32 v[16:17], v[16:17], v[144:145] neg_lo:[0,1] neg_hi:[0,1]
	s_wait_dscnt 0x0
	v_pk_mul_f32 v[144:145], v[140:141], v[132:133] op_sel:[0,1]
	v_pk_mul_f32 v[132:133], v[142:143], v[132:133] op_sel:[0,1]
	s_delay_alu instid0(VALU_DEP_2) | instskip(SKIP_1) | instid1(VALU_DEP_1)
	v_pk_fma_f32 v[146:147], v[140:141], v[130:131], v[144:145] op_sel:[0,0,1] op_sel_hi:[1,1,0] neg_lo:[0,0,1] neg_hi:[0,0,1]
	v_pk_fma_f32 v[140:141], v[140:141], v[130:131], v[144:145] op_sel:[0,0,1] op_sel_hi:[1,0,0]
	v_mov_b32_e32 v147, v141
	s_delay_alu instid0(VALU_DEP_4) | instskip(SKIP_1) | instid1(VALU_DEP_1)
	v_pk_fma_f32 v[140:141], v[142:143], v[130:131], v[132:133] op_sel:[0,0,1] op_sel_hi:[1,1,0] neg_lo:[0,0,1] neg_hi:[0,0,1]
	v_pk_fma_f32 v[130:131], v[142:143], v[130:131], v[132:133] op_sel:[0,0,1] op_sel_hi:[1,0,0]
	v_mov_b32_e32 v141, v131
	s_delay_alu instid0(VALU_DEP_4) | instskip(NEXT) | instid1(VALU_DEP_2)
	v_pk_add_f32 v[14:15], v[14:15], v[146:147] neg_lo:[0,1] neg_hi:[0,1]
	v_pk_add_f32 v[128:129], v[128:129], v[140:141] neg_lo:[0,1] neg_hi:[0,1]
.LBB122_713:
	s_or_b32 exec_lo, exec_lo, s0
	v_lshl_add_u32 v130, v138, 3, v134
	s_barrier_signal -1
	s_barrier_wait -1
	ds_store_b64 v130, v[50:51]
	s_wait_dscnt 0x0
	s_barrier_signal -1
	s_barrier_wait -1
	ds_load_b64 v[132:133], v134 offset:272
	v_mov_b32_e32 v130, 34
	s_cmp_lt_i32 s18, 36
	s_cbranch_scc1 .LBB122_716
; %bb.714:
	v_add3_u32 v131, v135, 0, 0x118
	v_mov_b32_e32 v130, 34
	s_mov_b32 s0, 35
.LBB122_715:                            ; =>This Inner Loop Header: Depth=1
	ds_load_b64 v[140:141], v131
	s_wait_dscnt 0x1
	v_cmp_gt_f32_e32 vcc_lo, 0, v132
	v_cndmask_b32_e64 v142, v132, -v132, vcc_lo
	v_cmp_gt_f32_e32 vcc_lo, 0, v133
	v_cndmask_b32_e64 v144, v133, -v133, vcc_lo
	s_wait_dscnt 0x0
	v_cmp_gt_f32_e32 vcc_lo, 0, v140
	v_cndmask_b32_e64 v143, v140, -v140, vcc_lo
	v_cmp_gt_f32_e32 vcc_lo, 0, v141
	v_cndmask_b32_e64 v145, v141, -v141, vcc_lo
	s_delay_alu instid0(VALU_DEP_1) | instskip(NEXT) | instid1(VALU_DEP_1)
	v_pk_add_f32 v[142:143], v[142:143], v[144:145]
	v_cmp_lt_f32_e32 vcc_lo, v142, v143
	v_dual_add_nc_u32 v131, 8, v131 :: v_dual_cndmask_b32 v133, v133, v141, vcc_lo
	v_cndmask_b32_e32 v132, v132, v140, vcc_lo
	v_cndmask_b32_e64 v130, v130, s0, vcc_lo
	s_add_co_i32 s0, s0, 1
	s_delay_alu instid0(SALU_CYCLE_1)
	s_cmp_lg_u32 s18, s0
	s_cbranch_scc1 .LBB122_715
.LBB122_716:
	s_wait_dscnt 0x0
	v_cmp_eq_f32_e32 vcc_lo, 0, v132
	v_cmp_eq_f32_e64 s0, 0, v133
	s_and_b32 s0, vcc_lo, s0
	s_delay_alu instid0(SALU_CYCLE_1) | instskip(NEXT) | instid1(SALU_CYCLE_1)
	s_and_saveexec_b32 s1, s0
	s_xor_b32 s0, exec_lo, s1
; %bb.717:
	v_cmp_ne_u32_e32 vcc_lo, 0, v136
	v_cndmask_b32_e32 v136, 35, v136, vcc_lo
; %bb.718:
	s_and_not1_saveexec_b32 s0, s0
	s_cbranch_execz .LBB122_724
; %bb.719:
	v_cmp_ngt_f32_e64 s1, |v132|, |v133|
	s_and_saveexec_b32 s12, s1
	s_delay_alu instid0(SALU_CYCLE_1)
	s_xor_b32 s1, exec_lo, s12
	s_cbranch_execz .LBB122_721
; %bb.720:
	v_div_scale_f32 v131, null, v133, v133, v132
	v_div_scale_f32 v141, vcc_lo, v132, v133, v132
	s_delay_alu instid0(VALU_DEP_2) | instskip(SKIP_1) | instid1(TRANS32_DEP_1)
	v_rcp_f32_e32 v139, v131
	v_nop
	v_fma_f32 v140, -v131, v139, 1.0
	s_delay_alu instid0(VALU_DEP_1) | instskip(NEXT) | instid1(VALU_DEP_1)
	v_fmac_f32_e32 v139, v140, v139
	v_mul_f32_e32 v140, v141, v139
	s_delay_alu instid0(VALU_DEP_1) | instskip(NEXT) | instid1(VALU_DEP_1)
	v_fma_f32 v142, -v131, v140, v141
	v_fmac_f32_e32 v140, v142, v139
	s_delay_alu instid0(VALU_DEP_1) | instskip(NEXT) | instid1(VALU_DEP_1)
	v_fma_f32 v131, -v131, v140, v141
	v_div_fmas_f32 v131, v131, v139, v140
	s_delay_alu instid0(VALU_DEP_1) | instskip(NEXT) | instid1(VALU_DEP_1)
	v_div_fixup_f32 v131, v131, v133, v132
	v_fmac_f32_e32 v133, v132, v131
	s_delay_alu instid0(VALU_DEP_1) | instskip(SKIP_1) | instid1(VALU_DEP_2)
	v_div_scale_f32 v132, null, v133, v133, 1.0
	v_div_scale_f32 v141, vcc_lo, 1.0, v133, 1.0
	v_rcp_f32_e32 v139, v132
	v_nop
	s_delay_alu instid0(TRANS32_DEP_1) | instskip(NEXT) | instid1(VALU_DEP_1)
	v_fma_f32 v140, -v132, v139, 1.0
	v_fmac_f32_e32 v139, v140, v139
	s_delay_alu instid0(VALU_DEP_1) | instskip(NEXT) | instid1(VALU_DEP_1)
	v_mul_f32_e32 v140, v141, v139
	v_fma_f32 v142, -v132, v140, v141
	s_delay_alu instid0(VALU_DEP_1) | instskip(NEXT) | instid1(VALU_DEP_1)
	v_fmac_f32_e32 v140, v142, v139
	v_fma_f32 v132, -v132, v140, v141
	s_delay_alu instid0(VALU_DEP_1) | instskip(NEXT) | instid1(VALU_DEP_1)
	v_div_fmas_f32 v132, v132, v139, v140
	v_div_fixup_f32 v133, v132, v133, 1.0
	s_delay_alu instid0(VALU_DEP_1)
	v_mul_f32_e32 v132, v131, v133
	v_xor_b32_e32 v133, 0x80000000, v133
.LBB122_721:
	s_and_not1_saveexec_b32 s1, s1
	s_cbranch_execz .LBB122_723
; %bb.722:
	s_delay_alu instid0(VALU_DEP_1) | instskip(SKIP_1) | instid1(VALU_DEP_2)
	v_div_scale_f32 v131, null, v132, v132, v133
	v_div_scale_f32 v141, vcc_lo, v133, v132, v133
	v_rcp_f32_e32 v139, v131
	v_nop
	s_delay_alu instid0(TRANS32_DEP_1) | instskip(NEXT) | instid1(VALU_DEP_1)
	v_fma_f32 v140, -v131, v139, 1.0
	v_fmac_f32_e32 v139, v140, v139
	s_delay_alu instid0(VALU_DEP_1) | instskip(NEXT) | instid1(VALU_DEP_1)
	v_mul_f32_e32 v140, v141, v139
	v_fma_f32 v142, -v131, v140, v141
	s_delay_alu instid0(VALU_DEP_1) | instskip(NEXT) | instid1(VALU_DEP_1)
	v_fmac_f32_e32 v140, v142, v139
	v_fma_f32 v131, -v131, v140, v141
	s_delay_alu instid0(VALU_DEP_1) | instskip(NEXT) | instid1(VALU_DEP_1)
	v_div_fmas_f32 v131, v131, v139, v140
	v_div_fixup_f32 v131, v131, v132, v133
	s_delay_alu instid0(VALU_DEP_1) | instskip(NEXT) | instid1(VALU_DEP_1)
	v_fmac_f32_e32 v132, v133, v131
	v_div_scale_f32 v133, null, v132, v132, 1.0
	s_delay_alu instid0(VALU_DEP_1) | instskip(SKIP_1) | instid1(TRANS32_DEP_1)
	v_rcp_f32_e32 v139, v133
	v_nop
	v_fma_f32 v140, -v133, v139, 1.0
	s_delay_alu instid0(VALU_DEP_1) | instskip(SKIP_1) | instid1(VALU_DEP_1)
	v_fmac_f32_e32 v139, v140, v139
	v_div_scale_f32 v140, vcc_lo, 1.0, v132, 1.0
	v_mul_f32_e32 v141, v140, v139
	s_delay_alu instid0(VALU_DEP_1) | instskip(NEXT) | instid1(VALU_DEP_1)
	v_fma_f32 v142, -v133, v141, v140
	v_fmac_f32_e32 v141, v142, v139
	s_delay_alu instid0(VALU_DEP_1) | instskip(NEXT) | instid1(VALU_DEP_1)
	v_fma_f32 v133, -v133, v141, v140
	v_div_fmas_f32 v133, v133, v139, v141
	s_delay_alu instid0(VALU_DEP_1) | instskip(NEXT) | instid1(VALU_DEP_1)
	v_div_fixup_f32 v132, v133, v132, 1.0
	v_mul_f32_e64 v133, v131, -v132
.LBB122_723:
	s_or_b32 exec_lo, exec_lo, s1
.LBB122_724:
	s_delay_alu instid0(SALU_CYCLE_1) | instskip(NEXT) | instid1(SALU_CYCLE_1)
	s_or_b32 exec_lo, exec_lo, s0
	s_mov_b32 s0, exec_lo
	v_cmpx_ne_u32_e64 v138, v130
	s_xor_b32 s0, exec_lo, s0
	s_cbranch_execz .LBB122_730
; %bb.725:
	s_mov_b32 s1, exec_lo
	v_cmpx_eq_u32_e32 34, v138
	s_cbranch_execz .LBB122_729
; %bb.726:
	v_cmp_ne_u32_e32 vcc_lo, 34, v130
	s_xor_b32 s12, s16, -1
	s_delay_alu instid0(SALU_CYCLE_1) | instskip(NEXT) | instid1(SALU_CYCLE_1)
	s_and_b32 s13, s12, vcc_lo
	s_and_saveexec_b32 s12, s13
	s_cbranch_execz .LBB122_728
; %bb.727:
	v_ashrrev_i32_e32 v131, 31, v130
	s_delay_alu instid0(VALU_DEP_1)
	v_lshl_add_u64 v[138:139], v[130:131], 2, v[4:5]
	s_clause 0x1
	global_load_b32 v131, v[138:139], off
	global_load_b32 v137, v[4:5], off offset:136
	s_wait_loadcnt 0x1
	global_store_b32 v[4:5], v131, off offset:136
	s_wait_loadcnt 0x0
	global_store_b32 v[138:139], v137, off
.LBB122_728:
	s_wait_xcnt 0x0
	s_or_b32 exec_lo, exec_lo, s12
	v_dual_mov_b32 v138, v130 :: v_dual_mov_b32 v137, v130
.LBB122_729:
	s_or_b32 exec_lo, exec_lo, s1
.LBB122_730:
	s_and_not1_saveexec_b32 s0, s0
	s_cbranch_execz .LBB122_732
; %bb.731:
	v_mov_b32_e32 v138, 34
	ds_store_2addr_b64 v134, v[46:47], v[102:103] offset0:35 offset1:36
	ds_store_2addr_b64 v134, v[40:41], v[42:43] offset0:37 offset1:38
	;; [unrolled: 1-line block ×13, first 2 shown]
	ds_store_b64 v134, v[128:129] offset:488
.LBB122_732:
	s_or_b32 exec_lo, exec_lo, s0
	s_delay_alu instid0(SALU_CYCLE_1)
	s_mov_b32 s0, exec_lo
	s_wait_storecnt_dscnt 0x0
	s_barrier_signal -1
	s_barrier_wait -1
	v_cmpx_lt_i32_e32 34, v138
	s_cbranch_execz .LBB122_734
; %bb.733:
	v_pk_mul_f32 v[140:141], v[132:133], v[50:51] op_sel:[1,1] op_sel_hi:[0,1]
	s_delay_alu instid0(VALU_DEP_1)
	v_pk_fma_f32 v[130:131], v[132:133], v[50:51], v[140:141] op_sel_hi:[1,0,1] neg_lo:[0,0,1] neg_hi:[0,0,1]
	v_pk_fma_f32 v[132:133], v[132:133], v[50:51], v[140:141] op_sel_hi:[1,0,1]
	ds_load_2addr_b64 v[140:143], v134 offset0:35 offset1:36
	v_dual_mov_b32 v50, v130 :: v_dual_mov_b32 v51, v133
	s_wait_dscnt 0x0
	v_pk_mul_f32 v[144:145], v[140:141], v[132:133] op_sel:[0,1]
	s_delay_alu instid0(VALU_DEP_1) | instskip(SKIP_1) | instid1(VALU_DEP_1)
	v_pk_fma_f32 v[146:147], v[140:141], v[130:131], v[144:145] op_sel:[0,0,1] op_sel_hi:[1,1,0] neg_lo:[0,0,1] neg_hi:[0,0,1]
	v_pk_fma_f32 v[140:141], v[140:141], v[130:131], v[144:145] op_sel:[0,0,1] op_sel_hi:[1,0,0]
	v_mov_b32_e32 v147, v141
	v_pk_mul_f32 v[140:141], v[142:143], v[132:133] op_sel:[0,1]
	s_delay_alu instid0(VALU_DEP_1) | instskip(SKIP_1) | instid1(VALU_DEP_1)
	v_pk_fma_f32 v[144:145], v[142:143], v[130:131], v[140:141] op_sel:[0,0,1] op_sel_hi:[1,1,0] neg_lo:[0,0,1] neg_hi:[0,0,1]
	v_pk_fma_f32 v[140:141], v[142:143], v[130:131], v[140:141] op_sel:[0,0,1] op_sel_hi:[1,0,0]
	v_mov_b32_e32 v145, v141
	ds_load_2addr_b64 v[140:143], v134 offset0:37 offset1:38
	v_pk_add_f32 v[46:47], v[46:47], v[146:147] neg_lo:[0,1] neg_hi:[0,1]
	v_pk_add_f32 v[102:103], v[102:103], v[144:145] neg_lo:[0,1] neg_hi:[0,1]
	s_wait_dscnt 0x0
	v_pk_mul_f32 v[144:145], v[140:141], v[132:133] op_sel:[0,1]
	s_delay_alu instid0(VALU_DEP_1) | instskip(SKIP_2) | instid1(VALU_DEP_2)
	v_pk_fma_f32 v[146:147], v[140:141], v[130:131], v[144:145] op_sel:[0,0,1] op_sel_hi:[1,1,0] neg_lo:[0,0,1] neg_hi:[0,0,1]
	v_pk_fma_f32 v[140:141], v[140:141], v[130:131], v[144:145] op_sel:[0,0,1] op_sel_hi:[1,0,0]
	v_dual_mul_f32 v144, v143, v133 :: v_dual_mov_b32 v140, v143
	v_dual_mov_b32 v147, v141 :: v_dual_mov_b32 v141, v142
	s_delay_alu instid0(VALU_DEP_2) | instskip(SKIP_1) | instid1(VALU_DEP_3)
	v_pk_fma_f32 v[144:145], v[142:143], v[50:51], v[144:145] op_sel_hi:[1,1,0] neg_lo:[0,0,1] neg_hi:[0,0,1]
	v_mul_f32_e32 v142, v143, v130
	v_pk_add_f32 v[40:41], v[40:41], v[146:147] neg_lo:[0,1] neg_hi:[0,1]
	s_delay_alu instid0(VALU_DEP_2) | instskip(NEXT) | instid1(VALU_DEP_1)
	v_pk_fma_f32 v[140:141], v[140:141], v[50:51], v[142:143] op_sel_hi:[1,1,0]
	v_mov_b32_e32 v145, v141
	ds_load_2addr_b64 v[140:143], v134 offset0:39 offset1:40
	v_pk_add_f32 v[42:43], v[42:43], v[144:145] neg_lo:[0,1] neg_hi:[0,1]
	s_wait_dscnt 0x0
	v_pk_mul_f32 v[144:145], v[140:141], v[132:133] op_sel:[0,1]
	s_delay_alu instid0(VALU_DEP_1) | instskip(SKIP_1) | instid1(VALU_DEP_1)
	v_pk_fma_f32 v[146:147], v[140:141], v[130:131], v[144:145] op_sel:[0,0,1] op_sel_hi:[1,1,0] neg_lo:[0,0,1] neg_hi:[0,0,1]
	v_pk_fma_f32 v[140:141], v[140:141], v[130:131], v[144:145] op_sel:[0,0,1] op_sel_hi:[1,0,0]
	v_mov_b32_e32 v147, v141
	v_pk_mul_f32 v[140:141], v[142:143], v[132:133] op_sel:[0,1]
	s_delay_alu instid0(VALU_DEP_1) | instskip(SKIP_1) | instid1(VALU_DEP_1)
	v_pk_fma_f32 v[144:145], v[142:143], v[130:131], v[140:141] op_sel:[0,0,1] op_sel_hi:[1,1,0] neg_lo:[0,0,1] neg_hi:[0,0,1]
	v_pk_fma_f32 v[140:141], v[142:143], v[130:131], v[140:141] op_sel:[0,0,1] op_sel_hi:[1,0,0]
	v_mov_b32_e32 v145, v141
	ds_load_2addr_b64 v[140:143], v134 offset0:41 offset1:42
	v_pk_add_f32 v[38:39], v[38:39], v[146:147] neg_lo:[0,1] neg_hi:[0,1]
	v_pk_add_f32 v[100:101], v[100:101], v[144:145] neg_lo:[0,1] neg_hi:[0,1]
	s_wait_dscnt 0x0
	v_pk_mul_f32 v[144:145], v[140:141], v[132:133] op_sel:[0,1]
	s_delay_alu instid0(VALU_DEP_1) | instskip(SKIP_1) | instid1(VALU_DEP_1)
	v_pk_fma_f32 v[146:147], v[140:141], v[130:131], v[144:145] op_sel:[0,0,1] op_sel_hi:[1,1,0] neg_lo:[0,0,1] neg_hi:[0,0,1]
	v_pk_fma_f32 v[140:141], v[140:141], v[130:131], v[144:145] op_sel:[0,0,1] op_sel_hi:[1,0,0]
	v_mov_b32_e32 v147, v141
	v_pk_mul_f32 v[140:141], v[142:143], v[132:133] op_sel:[0,1]
	s_delay_alu instid0(VALU_DEP_1) | instskip(SKIP_1) | instid1(VALU_DEP_1)
	v_pk_fma_f32 v[144:145], v[142:143], v[130:131], v[140:141] op_sel:[0,0,1] op_sel_hi:[1,1,0] neg_lo:[0,0,1] neg_hi:[0,0,1]
	v_pk_fma_f32 v[140:141], v[142:143], v[130:131], v[140:141] op_sel:[0,0,1] op_sel_hi:[1,0,0]
	v_mov_b32_e32 v145, v141
	ds_load_2addr_b64 v[140:143], v134 offset0:43 offset1:44
	v_pk_add_f32 v[32:33], v[32:33], v[146:147] neg_lo:[0,1] neg_hi:[0,1]
	v_pk_add_f32 v[34:35], v[34:35], v[144:145] neg_lo:[0,1] neg_hi:[0,1]
	s_wait_dscnt 0x0
	v_dual_mul_f32 v144, v141, v133 :: v_dual_mul_f32 v146, v141, v130
	s_delay_alu instid0(VALU_DEP_1) | instskip(NEXT) | instid1(VALU_DEP_2)
	v_pk_fma_f32 v[144:145], v[140:141], v[50:51], v[144:145] op_sel_hi:[1,1,0] neg_lo:[0,0,1] neg_hi:[0,0,1]
	v_pk_fma_f32 v[140:141], v[140:141], v[50:51], v[146:147] op_sel:[1,0,0] op_sel_hi:[0,1,0]
	s_delay_alu instid0(VALU_DEP_1) | instskip(SKIP_1) | instid1(VALU_DEP_2)
	v_mov_b32_e32 v145, v141
	v_pk_mul_f32 v[140:141], v[142:143], v[132:133] op_sel:[0,1]
	v_pk_add_f32 v[30:31], v[30:31], v[144:145] neg_lo:[0,1] neg_hi:[0,1]
	s_delay_alu instid0(VALU_DEP_2) | instskip(SKIP_1) | instid1(VALU_DEP_1)
	v_pk_fma_f32 v[144:145], v[142:143], v[130:131], v[140:141] op_sel:[0,0,1] op_sel_hi:[1,1,0] neg_lo:[0,0,1] neg_hi:[0,0,1]
	v_pk_fma_f32 v[140:141], v[142:143], v[130:131], v[140:141] op_sel:[0,0,1] op_sel_hi:[1,0,0]
	v_mov_b32_e32 v145, v141
	ds_load_2addr_b64 v[140:143], v134 offset0:45 offset1:46
	v_pk_add_f32 v[98:99], v[98:99], v[144:145] neg_lo:[0,1] neg_hi:[0,1]
	s_wait_dscnt 0x0
	v_pk_mul_f32 v[144:145], v[140:141], v[132:133] op_sel:[0,1]
	s_delay_alu instid0(VALU_DEP_1) | instskip(SKIP_1) | instid1(VALU_DEP_1)
	v_pk_fma_f32 v[146:147], v[140:141], v[130:131], v[144:145] op_sel:[0,0,1] op_sel_hi:[1,1,0] neg_lo:[0,0,1] neg_hi:[0,0,1]
	v_pk_fma_f32 v[140:141], v[140:141], v[130:131], v[144:145] op_sel:[0,0,1] op_sel_hi:[1,0,0]
	v_mov_b32_e32 v147, v141
	v_pk_mul_f32 v[140:141], v[142:143], v[132:133] op_sel:[0,1]
	s_delay_alu instid0(VALU_DEP_2) | instskip(NEXT) | instid1(VALU_DEP_2)
	v_pk_add_f32 v[24:25], v[24:25], v[146:147] neg_lo:[0,1] neg_hi:[0,1]
	v_pk_fma_f32 v[144:145], v[142:143], v[130:131], v[140:141] op_sel:[0,0,1] op_sel_hi:[1,1,0] neg_lo:[0,0,1] neg_hi:[0,0,1]
	v_pk_fma_f32 v[140:141], v[142:143], v[130:131], v[140:141] op_sel:[0,0,1] op_sel_hi:[1,0,0]
	s_delay_alu instid0(VALU_DEP_1) | instskip(SKIP_4) | instid1(VALU_DEP_1)
	v_mov_b32_e32 v145, v141
	ds_load_2addr_b64 v[140:143], v134 offset0:47 offset1:48
	v_pk_add_f32 v[28:29], v[28:29], v[144:145] neg_lo:[0,1] neg_hi:[0,1]
	s_wait_dscnt 0x0
	v_pk_mul_f32 v[144:145], v[140:141], v[132:133] op_sel:[0,1]
	v_pk_fma_f32 v[146:147], v[140:141], v[130:131], v[144:145] op_sel:[0,0,1] op_sel_hi:[1,1,0] neg_lo:[0,0,1] neg_hi:[0,0,1]
	v_pk_fma_f32 v[140:141], v[140:141], v[130:131], v[144:145] op_sel:[0,0,1] op_sel_hi:[1,0,0]
	v_dual_mul_f32 v144, v143, v133 :: v_dual_mov_b32 v140, v143
	s_delay_alu instid0(VALU_DEP_2) | instskip(NEXT) | instid1(VALU_DEP_2)
	v_dual_mov_b32 v147, v141 :: v_dual_mov_b32 v141, v142
	v_pk_fma_f32 v[144:145], v[142:143], v[50:51], v[144:145] op_sel_hi:[1,1,0] neg_lo:[0,0,1] neg_hi:[0,0,1]
	v_mul_f32_e32 v142, v143, v130
	s_delay_alu instid0(VALU_DEP_3) | instskip(NEXT) | instid1(VALU_DEP_2)
	v_pk_add_f32 v[22:23], v[22:23], v[146:147] neg_lo:[0,1] neg_hi:[0,1]
	v_pk_fma_f32 v[140:141], v[140:141], v[50:51], v[142:143] op_sel_hi:[1,1,0]
	s_delay_alu instid0(VALU_DEP_1) | instskip(SKIP_4) | instid1(VALU_DEP_1)
	v_mov_b32_e32 v145, v141
	ds_load_2addr_b64 v[140:143], v134 offset0:49 offset1:50
	v_pk_add_f32 v[96:97], v[96:97], v[144:145] neg_lo:[0,1] neg_hi:[0,1]
	s_wait_dscnt 0x0
	v_pk_mul_f32 v[144:145], v[140:141], v[132:133] op_sel:[0,1]
	v_pk_fma_f32 v[146:147], v[140:141], v[130:131], v[144:145] op_sel:[0,0,1] op_sel_hi:[1,1,0] neg_lo:[0,0,1] neg_hi:[0,0,1]
	v_pk_fma_f32 v[140:141], v[140:141], v[130:131], v[144:145] op_sel:[0,0,1] op_sel_hi:[1,0,0]
	s_delay_alu instid0(VALU_DEP_1) | instskip(SKIP_1) | instid1(VALU_DEP_1)
	v_mov_b32_e32 v147, v141
	v_pk_mul_f32 v[140:141], v[142:143], v[132:133] op_sel:[0,1]
	v_pk_fma_f32 v[144:145], v[142:143], v[130:131], v[140:141] op_sel:[0,0,1] op_sel_hi:[1,1,0] neg_lo:[0,0,1] neg_hi:[0,0,1]
	v_pk_fma_f32 v[140:141], v[142:143], v[130:131], v[140:141] op_sel:[0,0,1] op_sel_hi:[1,0,0]
	s_delay_alu instid0(VALU_DEP_1)
	v_mov_b32_e32 v145, v141
	ds_load_2addr_b64 v[140:143], v134 offset0:51 offset1:52
	v_pk_add_f32 v[18:19], v[18:19], v[146:147] neg_lo:[0,1] neg_hi:[0,1]
	v_pk_add_f32 v[20:21], v[20:21], v[144:145] neg_lo:[0,1] neg_hi:[0,1]
	s_wait_dscnt 0x0
	v_pk_mul_f32 v[144:145], v[140:141], v[132:133] op_sel:[0,1]
	s_delay_alu instid0(VALU_DEP_1) | instskip(SKIP_1) | instid1(VALU_DEP_1)
	v_pk_fma_f32 v[146:147], v[140:141], v[130:131], v[144:145] op_sel:[0,0,1] op_sel_hi:[1,1,0] neg_lo:[0,0,1] neg_hi:[0,0,1]
	v_pk_fma_f32 v[140:141], v[140:141], v[130:131], v[144:145] op_sel:[0,0,1] op_sel_hi:[1,0,0]
	v_mov_b32_e32 v147, v141
	v_pk_mul_f32 v[140:141], v[142:143], v[132:133] op_sel:[0,1]
	s_delay_alu instid0(VALU_DEP_1) | instskip(SKIP_1) | instid1(VALU_DEP_1)
	v_pk_fma_f32 v[144:145], v[142:143], v[130:131], v[140:141] op_sel:[0,0,1] op_sel_hi:[1,1,0] neg_lo:[0,0,1] neg_hi:[0,0,1]
	v_pk_fma_f32 v[140:141], v[142:143], v[130:131], v[140:141] op_sel:[0,0,1] op_sel_hi:[1,0,0]
	v_mov_b32_e32 v145, v141
	ds_load_2addr_b64 v[140:143], v134 offset0:53 offset1:54
	v_pk_add_f32 v[36:37], v[36:37], v[146:147] neg_lo:[0,1] neg_hi:[0,1]
	v_pk_add_f32 v[86:87], v[86:87], v[144:145] neg_lo:[0,1] neg_hi:[0,1]
	s_wait_dscnt 0x0
	v_dual_mul_f32 v144, v141, v133 :: v_dual_mul_f32 v146, v141, v130
	s_delay_alu instid0(VALU_DEP_1) | instskip(NEXT) | instid1(VALU_DEP_2)
	v_pk_fma_f32 v[144:145], v[140:141], v[50:51], v[144:145] op_sel_hi:[1,1,0] neg_lo:[0,0,1] neg_hi:[0,0,1]
	v_pk_fma_f32 v[140:141], v[140:141], v[50:51], v[146:147] op_sel:[1,0,0] op_sel_hi:[0,1,0]
	s_delay_alu instid0(VALU_DEP_1) | instskip(SKIP_1) | instid1(VALU_DEP_2)
	v_mov_b32_e32 v145, v141
	v_pk_mul_f32 v[140:141], v[142:143], v[132:133] op_sel:[0,1]
	v_pk_add_f32 v[10:11], v[10:11], v[144:145] neg_lo:[0,1] neg_hi:[0,1]
	s_delay_alu instid0(VALU_DEP_2) | instskip(SKIP_1) | instid1(VALU_DEP_1)
	v_pk_fma_f32 v[144:145], v[142:143], v[130:131], v[140:141] op_sel:[0,0,1] op_sel_hi:[1,1,0] neg_lo:[0,0,1] neg_hi:[0,0,1]
	v_pk_fma_f32 v[140:141], v[142:143], v[130:131], v[140:141] op_sel:[0,0,1] op_sel_hi:[1,0,0]
	v_mov_b32_e32 v145, v141
	ds_load_2addr_b64 v[140:143], v134 offset0:55 offset1:56
	v_pk_add_f32 v[12:13], v[12:13], v[144:145] neg_lo:[0,1] neg_hi:[0,1]
	s_wait_dscnt 0x0
	v_pk_mul_f32 v[144:145], v[140:141], v[132:133] op_sel:[0,1]
	s_delay_alu instid0(VALU_DEP_1) | instskip(SKIP_1) | instid1(VALU_DEP_1)
	v_pk_fma_f32 v[146:147], v[140:141], v[130:131], v[144:145] op_sel:[0,0,1] op_sel_hi:[1,1,0] neg_lo:[0,0,1] neg_hi:[0,0,1]
	v_pk_fma_f32 v[140:141], v[140:141], v[130:131], v[144:145] op_sel:[0,0,1] op_sel_hi:[1,0,0]
	v_mov_b32_e32 v147, v141
	v_pk_mul_f32 v[140:141], v[142:143], v[132:133] op_sel:[0,1]
	s_delay_alu instid0(VALU_DEP_2) | instskip(NEXT) | instid1(VALU_DEP_2)
	v_pk_add_f32 v[8:9], v[8:9], v[146:147] neg_lo:[0,1] neg_hi:[0,1]
	v_pk_fma_f32 v[144:145], v[142:143], v[130:131], v[140:141] op_sel:[0,0,1] op_sel_hi:[1,1,0] neg_lo:[0,0,1] neg_hi:[0,0,1]
	v_pk_fma_f32 v[140:141], v[142:143], v[130:131], v[140:141] op_sel:[0,0,1] op_sel_hi:[1,0,0]
	s_delay_alu instid0(VALU_DEP_1) | instskip(SKIP_4) | instid1(VALU_DEP_1)
	v_mov_b32_e32 v145, v141
	ds_load_2addr_b64 v[140:143], v134 offset0:57 offset1:58
	v_pk_add_f32 v[44:45], v[44:45], v[144:145] neg_lo:[0,1] neg_hi:[0,1]
	s_wait_dscnt 0x0
	v_pk_mul_f32 v[144:145], v[140:141], v[132:133] op_sel:[0,1]
	v_pk_fma_f32 v[146:147], v[140:141], v[130:131], v[144:145] op_sel:[0,0,1] op_sel_hi:[1,1,0] neg_lo:[0,0,1] neg_hi:[0,0,1]
	v_pk_fma_f32 v[140:141], v[140:141], v[130:131], v[144:145] op_sel:[0,0,1] op_sel_hi:[1,0,0]
	v_dual_mul_f32 v144, v143, v133 :: v_dual_mov_b32 v140, v143
	s_delay_alu instid0(VALU_DEP_2) | instskip(NEXT) | instid1(VALU_DEP_2)
	v_dual_mov_b32 v147, v141 :: v_dual_mov_b32 v141, v142
	v_pk_fma_f32 v[144:145], v[142:143], v[50:51], v[144:145] op_sel_hi:[1,1,0] neg_lo:[0,0,1] neg_hi:[0,0,1]
	v_mul_f32_e32 v142, v143, v130
	s_delay_alu instid0(VALU_DEP_3) | instskip(NEXT) | instid1(VALU_DEP_2)
	v_pk_add_f32 v[6:7], v[6:7], v[146:147] neg_lo:[0,1] neg_hi:[0,1]
	v_pk_fma_f32 v[140:141], v[140:141], v[50:51], v[142:143] op_sel_hi:[1,1,0]
	s_delay_alu instid0(VALU_DEP_1) | instskip(SKIP_4) | instid1(VALU_DEP_1)
	v_mov_b32_e32 v145, v141
	ds_load_2addr_b64 v[140:143], v134 offset0:59 offset1:60
	v_pk_add_f32 v[26:27], v[26:27], v[144:145] neg_lo:[0,1] neg_hi:[0,1]
	s_wait_dscnt 0x0
	v_pk_mul_f32 v[144:145], v[140:141], v[132:133] op_sel:[0,1]
	v_pk_fma_f32 v[146:147], v[140:141], v[130:131], v[144:145] op_sel:[0,0,1] op_sel_hi:[1,1,0] neg_lo:[0,0,1] neg_hi:[0,0,1]
	v_pk_fma_f32 v[140:141], v[140:141], v[130:131], v[144:145] op_sel:[0,0,1] op_sel_hi:[1,0,0]
	s_delay_alu instid0(VALU_DEP_1) | instskip(SKIP_1) | instid1(VALU_DEP_1)
	v_mov_b32_e32 v147, v141
	v_pk_mul_f32 v[140:141], v[142:143], v[132:133] op_sel:[0,1]
	v_pk_fma_f32 v[144:145], v[142:143], v[130:131], v[140:141] op_sel:[0,0,1] op_sel_hi:[1,1,0] neg_lo:[0,0,1] neg_hi:[0,0,1]
	v_pk_fma_f32 v[140:141], v[142:143], v[130:131], v[140:141] op_sel:[0,0,1] op_sel_hi:[1,0,0]
	s_delay_alu instid0(VALU_DEP_1)
	v_mov_b32_e32 v145, v141
	ds_load_b64 v[140:141], v134 offset:488
	v_pk_add_f32 v[16:17], v[16:17], v[146:147] neg_lo:[0,1] neg_hi:[0,1]
	v_pk_add_f32 v[14:15], v[14:15], v[144:145] neg_lo:[0,1] neg_hi:[0,1]
	s_wait_dscnt 0x0
	v_pk_mul_f32 v[132:133], v[140:141], v[132:133] op_sel:[0,1]
	s_delay_alu instid0(VALU_DEP_1) | instskip(SKIP_1) | instid1(VALU_DEP_1)
	v_pk_fma_f32 v[142:143], v[140:141], v[130:131], v[132:133] op_sel:[0,0,1] op_sel_hi:[1,1,0] neg_lo:[0,0,1] neg_hi:[0,0,1]
	v_pk_fma_f32 v[130:131], v[140:141], v[130:131], v[132:133] op_sel:[0,0,1] op_sel_hi:[1,0,0]
	v_mov_b32_e32 v143, v131
	s_delay_alu instid0(VALU_DEP_1)
	v_pk_add_f32 v[128:129], v[128:129], v[142:143] neg_lo:[0,1] neg_hi:[0,1]
.LBB122_734:
	s_or_b32 exec_lo, exec_lo, s0
	v_lshl_add_u32 v130, v138, 3, v134
	s_barrier_signal -1
	s_barrier_wait -1
	ds_store_b64 v130, v[46:47]
	s_wait_dscnt 0x0
	s_barrier_signal -1
	s_barrier_wait -1
	ds_load_b64 v[132:133], v134 offset:280
	v_mov_b32_e32 v130, 35
	s_cmp_lt_i32 s18, 37
	s_cbranch_scc1 .LBB122_737
; %bb.735:
	v_add3_u32 v131, v135, 0, 0x120
	v_mov_b32_e32 v130, 35
	s_mov_b32 s0, 36
.LBB122_736:                            ; =>This Inner Loop Header: Depth=1
	ds_load_b64 v[140:141], v131
	s_wait_dscnt 0x1
	v_cmp_gt_f32_e32 vcc_lo, 0, v132
	v_cndmask_b32_e64 v142, v132, -v132, vcc_lo
	v_cmp_gt_f32_e32 vcc_lo, 0, v133
	v_cndmask_b32_e64 v144, v133, -v133, vcc_lo
	s_wait_dscnt 0x0
	v_cmp_gt_f32_e32 vcc_lo, 0, v140
	v_cndmask_b32_e64 v143, v140, -v140, vcc_lo
	v_cmp_gt_f32_e32 vcc_lo, 0, v141
	v_cndmask_b32_e64 v145, v141, -v141, vcc_lo
	s_delay_alu instid0(VALU_DEP_1) | instskip(NEXT) | instid1(VALU_DEP_1)
	v_pk_add_f32 v[142:143], v[142:143], v[144:145]
	v_cmp_lt_f32_e32 vcc_lo, v142, v143
	v_dual_add_nc_u32 v131, 8, v131 :: v_dual_cndmask_b32 v133, v133, v141, vcc_lo
	v_cndmask_b32_e32 v132, v132, v140, vcc_lo
	v_cndmask_b32_e64 v130, v130, s0, vcc_lo
	s_add_co_i32 s0, s0, 1
	s_delay_alu instid0(SALU_CYCLE_1)
	s_cmp_lg_u32 s18, s0
	s_cbranch_scc1 .LBB122_736
.LBB122_737:
	s_wait_dscnt 0x0
	v_cmp_eq_f32_e32 vcc_lo, 0, v132
	v_cmp_eq_f32_e64 s0, 0, v133
	s_and_b32 s0, vcc_lo, s0
	s_delay_alu instid0(SALU_CYCLE_1) | instskip(NEXT) | instid1(SALU_CYCLE_1)
	s_and_saveexec_b32 s1, s0
	s_xor_b32 s0, exec_lo, s1
; %bb.738:
	v_cmp_ne_u32_e32 vcc_lo, 0, v136
	v_cndmask_b32_e32 v136, 36, v136, vcc_lo
; %bb.739:
	s_and_not1_saveexec_b32 s0, s0
	s_cbranch_execz .LBB122_745
; %bb.740:
	v_cmp_ngt_f32_e64 s1, |v132|, |v133|
	s_and_saveexec_b32 s12, s1
	s_delay_alu instid0(SALU_CYCLE_1)
	s_xor_b32 s1, exec_lo, s12
	s_cbranch_execz .LBB122_742
; %bb.741:
	v_div_scale_f32 v131, null, v133, v133, v132
	v_div_scale_f32 v141, vcc_lo, v132, v133, v132
	s_delay_alu instid0(VALU_DEP_2) | instskip(SKIP_1) | instid1(TRANS32_DEP_1)
	v_rcp_f32_e32 v139, v131
	v_nop
	v_fma_f32 v140, -v131, v139, 1.0
	s_delay_alu instid0(VALU_DEP_1) | instskip(NEXT) | instid1(VALU_DEP_1)
	v_fmac_f32_e32 v139, v140, v139
	v_mul_f32_e32 v140, v141, v139
	s_delay_alu instid0(VALU_DEP_1) | instskip(NEXT) | instid1(VALU_DEP_1)
	v_fma_f32 v142, -v131, v140, v141
	v_fmac_f32_e32 v140, v142, v139
	s_delay_alu instid0(VALU_DEP_1) | instskip(NEXT) | instid1(VALU_DEP_1)
	v_fma_f32 v131, -v131, v140, v141
	v_div_fmas_f32 v131, v131, v139, v140
	s_delay_alu instid0(VALU_DEP_1) | instskip(NEXT) | instid1(VALU_DEP_1)
	v_div_fixup_f32 v131, v131, v133, v132
	v_fmac_f32_e32 v133, v132, v131
	s_delay_alu instid0(VALU_DEP_1) | instskip(SKIP_1) | instid1(VALU_DEP_2)
	v_div_scale_f32 v132, null, v133, v133, 1.0
	v_div_scale_f32 v141, vcc_lo, 1.0, v133, 1.0
	v_rcp_f32_e32 v139, v132
	v_nop
	s_delay_alu instid0(TRANS32_DEP_1) | instskip(NEXT) | instid1(VALU_DEP_1)
	v_fma_f32 v140, -v132, v139, 1.0
	v_fmac_f32_e32 v139, v140, v139
	s_delay_alu instid0(VALU_DEP_1) | instskip(NEXT) | instid1(VALU_DEP_1)
	v_mul_f32_e32 v140, v141, v139
	v_fma_f32 v142, -v132, v140, v141
	s_delay_alu instid0(VALU_DEP_1) | instskip(NEXT) | instid1(VALU_DEP_1)
	v_fmac_f32_e32 v140, v142, v139
	v_fma_f32 v132, -v132, v140, v141
	s_delay_alu instid0(VALU_DEP_1) | instskip(NEXT) | instid1(VALU_DEP_1)
	v_div_fmas_f32 v132, v132, v139, v140
	v_div_fixup_f32 v133, v132, v133, 1.0
	s_delay_alu instid0(VALU_DEP_1)
	v_mul_f32_e32 v132, v131, v133
	v_xor_b32_e32 v133, 0x80000000, v133
.LBB122_742:
	s_and_not1_saveexec_b32 s1, s1
	s_cbranch_execz .LBB122_744
; %bb.743:
	s_delay_alu instid0(VALU_DEP_1) | instskip(SKIP_1) | instid1(VALU_DEP_2)
	v_div_scale_f32 v131, null, v132, v132, v133
	v_div_scale_f32 v141, vcc_lo, v133, v132, v133
	v_rcp_f32_e32 v139, v131
	v_nop
	s_delay_alu instid0(TRANS32_DEP_1) | instskip(NEXT) | instid1(VALU_DEP_1)
	v_fma_f32 v140, -v131, v139, 1.0
	v_fmac_f32_e32 v139, v140, v139
	s_delay_alu instid0(VALU_DEP_1) | instskip(NEXT) | instid1(VALU_DEP_1)
	v_mul_f32_e32 v140, v141, v139
	v_fma_f32 v142, -v131, v140, v141
	s_delay_alu instid0(VALU_DEP_1) | instskip(NEXT) | instid1(VALU_DEP_1)
	v_fmac_f32_e32 v140, v142, v139
	v_fma_f32 v131, -v131, v140, v141
	s_delay_alu instid0(VALU_DEP_1) | instskip(NEXT) | instid1(VALU_DEP_1)
	v_div_fmas_f32 v131, v131, v139, v140
	v_div_fixup_f32 v131, v131, v132, v133
	s_delay_alu instid0(VALU_DEP_1) | instskip(NEXT) | instid1(VALU_DEP_1)
	v_fmac_f32_e32 v132, v133, v131
	v_div_scale_f32 v133, null, v132, v132, 1.0
	s_delay_alu instid0(VALU_DEP_1) | instskip(SKIP_1) | instid1(TRANS32_DEP_1)
	v_rcp_f32_e32 v139, v133
	v_nop
	v_fma_f32 v140, -v133, v139, 1.0
	s_delay_alu instid0(VALU_DEP_1) | instskip(SKIP_1) | instid1(VALU_DEP_1)
	v_fmac_f32_e32 v139, v140, v139
	v_div_scale_f32 v140, vcc_lo, 1.0, v132, 1.0
	v_mul_f32_e32 v141, v140, v139
	s_delay_alu instid0(VALU_DEP_1) | instskip(NEXT) | instid1(VALU_DEP_1)
	v_fma_f32 v142, -v133, v141, v140
	v_fmac_f32_e32 v141, v142, v139
	s_delay_alu instid0(VALU_DEP_1) | instskip(NEXT) | instid1(VALU_DEP_1)
	v_fma_f32 v133, -v133, v141, v140
	v_div_fmas_f32 v133, v133, v139, v141
	s_delay_alu instid0(VALU_DEP_1) | instskip(NEXT) | instid1(VALU_DEP_1)
	v_div_fixup_f32 v132, v133, v132, 1.0
	v_mul_f32_e64 v133, v131, -v132
.LBB122_744:
	s_or_b32 exec_lo, exec_lo, s1
.LBB122_745:
	s_delay_alu instid0(SALU_CYCLE_1) | instskip(NEXT) | instid1(SALU_CYCLE_1)
	s_or_b32 exec_lo, exec_lo, s0
	s_mov_b32 s0, exec_lo
	v_cmpx_ne_u32_e64 v138, v130
	s_xor_b32 s0, exec_lo, s0
	s_cbranch_execz .LBB122_751
; %bb.746:
	s_mov_b32 s1, exec_lo
	v_cmpx_eq_u32_e32 35, v138
	s_cbranch_execz .LBB122_750
; %bb.747:
	v_cmp_ne_u32_e32 vcc_lo, 35, v130
	s_xor_b32 s12, s16, -1
	s_delay_alu instid0(SALU_CYCLE_1) | instskip(NEXT) | instid1(SALU_CYCLE_1)
	s_and_b32 s13, s12, vcc_lo
	s_and_saveexec_b32 s12, s13
	s_cbranch_execz .LBB122_749
; %bb.748:
	v_ashrrev_i32_e32 v131, 31, v130
	s_delay_alu instid0(VALU_DEP_1)
	v_lshl_add_u64 v[138:139], v[130:131], 2, v[4:5]
	s_clause 0x1
	global_load_b32 v131, v[138:139], off
	global_load_b32 v137, v[4:5], off offset:140
	s_wait_loadcnt 0x1
	global_store_b32 v[4:5], v131, off offset:140
	s_wait_loadcnt 0x0
	global_store_b32 v[138:139], v137, off
.LBB122_749:
	s_wait_xcnt 0x0
	s_or_b32 exec_lo, exec_lo, s12
	v_dual_mov_b32 v138, v130 :: v_dual_mov_b32 v137, v130
.LBB122_750:
	s_or_b32 exec_lo, exec_lo, s1
.LBB122_751:
	s_and_not1_saveexec_b32 s0, s0
	s_cbranch_execz .LBB122_753
; %bb.752:
	v_dual_mov_b32 v130, v102 :: v_dual_mov_b32 v131, v103
	v_dual_mov_b32 v138, v40 :: v_dual_mov_b32 v139, v41
	;; [unrolled: 1-line block ×4, first 2 shown]
	ds_store_2addr_b64 v134, v[130:131], v[138:139] offset0:36 offset1:37
	ds_store_2addr_b64 v134, v[140:141], v[142:143] offset0:38 offset1:39
	v_dual_mov_b32 v130, v100 :: v_dual_mov_b32 v131, v101
	v_dual_mov_b32 v138, v32 :: v_dual_mov_b32 v139, v33
	;; [unrolled: 1-line block ×12, first 2 shown]
	ds_store_2addr_b64 v134, v[130:131], v[138:139] offset0:40 offset1:41
	ds_store_2addr_b64 v134, v[140:141], v[142:143] offset0:42 offset1:43
	;; [unrolled: 1-line block ×6, first 2 shown]
	v_dual_mov_b32 v130, v86 :: v_dual_mov_b32 v131, v87
	v_dual_mov_b32 v140, v10 :: v_dual_mov_b32 v141, v11
	;; [unrolled: 1-line block ×9, first 2 shown]
	v_mov_b32_e32 v155, v15
	ds_store_2addr_b64 v134, v[130:131], v[140:141] offset0:52 offset1:53
	ds_store_2addr_b64 v134, v[142:143], v[144:145] offset0:54 offset1:55
	;; [unrolled: 1-line block ×5, first 2 shown]
.LBB122_753:
	s_or_b32 exec_lo, exec_lo, s0
	s_delay_alu instid0(SALU_CYCLE_1)
	s_mov_b32 s0, exec_lo
	s_wait_storecnt_dscnt 0x0
	s_barrier_signal -1
	s_barrier_wait -1
	v_cmpx_lt_i32_e32 35, v138
	s_cbranch_execz .LBB122_755
; %bb.754:
	v_pk_mul_f32 v[140:141], v[132:133], v[46:47] op_sel:[1,1] op_sel_hi:[0,1]
	s_delay_alu instid0(VALU_DEP_1)
	v_pk_fma_f32 v[130:131], v[132:133], v[46:47], v[140:141] op_sel_hi:[1,0,1] neg_lo:[0,0,1] neg_hi:[0,0,1]
	v_pk_fma_f32 v[132:133], v[132:133], v[46:47], v[140:141] op_sel_hi:[1,0,1]
	ds_load_2addr_b64 v[140:143], v134 offset0:36 offset1:37
	v_dual_mov_b32 v46, v130 :: v_dual_mov_b32 v47, v133
	s_wait_dscnt 0x0
	v_pk_mul_f32 v[144:145], v[140:141], v[132:133] op_sel:[0,1]
	s_delay_alu instid0(VALU_DEP_1) | instskip(SKIP_1) | instid1(VALU_DEP_1)
	v_pk_fma_f32 v[146:147], v[140:141], v[130:131], v[144:145] op_sel:[0,0,1] op_sel_hi:[1,1,0] neg_lo:[0,0,1] neg_hi:[0,0,1]
	v_pk_fma_f32 v[140:141], v[140:141], v[130:131], v[144:145] op_sel:[0,0,1] op_sel_hi:[1,0,0]
	v_mov_b32_e32 v147, v141
	v_pk_mul_f32 v[140:141], v[142:143], v[132:133] op_sel:[0,1]
	s_delay_alu instid0(VALU_DEP_1) | instskip(SKIP_1) | instid1(VALU_DEP_1)
	v_pk_fma_f32 v[144:145], v[142:143], v[130:131], v[140:141] op_sel:[0,0,1] op_sel_hi:[1,1,0] neg_lo:[0,0,1] neg_hi:[0,0,1]
	v_pk_fma_f32 v[140:141], v[142:143], v[130:131], v[140:141] op_sel:[0,0,1] op_sel_hi:[1,0,0]
	v_mov_b32_e32 v145, v141
	ds_load_2addr_b64 v[140:143], v134 offset0:38 offset1:39
	v_pk_add_f32 v[102:103], v[102:103], v[146:147] neg_lo:[0,1] neg_hi:[0,1]
	v_pk_add_f32 v[40:41], v[40:41], v[144:145] neg_lo:[0,1] neg_hi:[0,1]
	s_wait_dscnt 0x0
	v_pk_mul_f32 v[144:145], v[140:141], v[132:133] op_sel:[0,1]
	s_delay_alu instid0(VALU_DEP_1) | instskip(SKIP_2) | instid1(VALU_DEP_2)
	v_pk_fma_f32 v[146:147], v[140:141], v[130:131], v[144:145] op_sel:[0,0,1] op_sel_hi:[1,1,0] neg_lo:[0,0,1] neg_hi:[0,0,1]
	v_pk_fma_f32 v[140:141], v[140:141], v[130:131], v[144:145] op_sel:[0,0,1] op_sel_hi:[1,0,0]
	v_dual_mul_f32 v144, v143, v133 :: v_dual_mov_b32 v140, v143
	v_dual_mov_b32 v147, v141 :: v_dual_mov_b32 v141, v142
	s_delay_alu instid0(VALU_DEP_2) | instskip(SKIP_1) | instid1(VALU_DEP_3)
	v_pk_fma_f32 v[144:145], v[142:143], v[46:47], v[144:145] op_sel_hi:[1,1,0] neg_lo:[0,0,1] neg_hi:[0,0,1]
	v_mul_f32_e32 v142, v143, v130
	v_pk_add_f32 v[42:43], v[42:43], v[146:147] neg_lo:[0,1] neg_hi:[0,1]
	s_delay_alu instid0(VALU_DEP_2) | instskip(NEXT) | instid1(VALU_DEP_1)
	v_pk_fma_f32 v[140:141], v[140:141], v[46:47], v[142:143] op_sel_hi:[1,1,0]
	v_mov_b32_e32 v145, v141
	ds_load_2addr_b64 v[140:143], v134 offset0:40 offset1:41
	v_pk_add_f32 v[38:39], v[38:39], v[144:145] neg_lo:[0,1] neg_hi:[0,1]
	s_wait_dscnt 0x0
	v_pk_mul_f32 v[144:145], v[140:141], v[132:133] op_sel:[0,1]
	s_delay_alu instid0(VALU_DEP_1) | instskip(SKIP_1) | instid1(VALU_DEP_1)
	v_pk_fma_f32 v[146:147], v[140:141], v[130:131], v[144:145] op_sel:[0,0,1] op_sel_hi:[1,1,0] neg_lo:[0,0,1] neg_hi:[0,0,1]
	v_pk_fma_f32 v[140:141], v[140:141], v[130:131], v[144:145] op_sel:[0,0,1] op_sel_hi:[1,0,0]
	v_mov_b32_e32 v147, v141
	v_pk_mul_f32 v[140:141], v[142:143], v[132:133] op_sel:[0,1]
	s_delay_alu instid0(VALU_DEP_1) | instskip(SKIP_1) | instid1(VALU_DEP_1)
	v_pk_fma_f32 v[144:145], v[142:143], v[130:131], v[140:141] op_sel:[0,0,1] op_sel_hi:[1,1,0] neg_lo:[0,0,1] neg_hi:[0,0,1]
	v_pk_fma_f32 v[140:141], v[142:143], v[130:131], v[140:141] op_sel:[0,0,1] op_sel_hi:[1,0,0]
	v_mov_b32_e32 v145, v141
	ds_load_2addr_b64 v[140:143], v134 offset0:42 offset1:43
	v_pk_add_f32 v[100:101], v[100:101], v[146:147] neg_lo:[0,1] neg_hi:[0,1]
	v_pk_add_f32 v[32:33], v[32:33], v[144:145] neg_lo:[0,1] neg_hi:[0,1]
	s_wait_dscnt 0x0
	v_pk_mul_f32 v[144:145], v[140:141], v[132:133] op_sel:[0,1]
	s_delay_alu instid0(VALU_DEP_1) | instskip(SKIP_1) | instid1(VALU_DEP_1)
	v_pk_fma_f32 v[146:147], v[140:141], v[130:131], v[144:145] op_sel:[0,0,1] op_sel_hi:[1,1,0] neg_lo:[0,0,1] neg_hi:[0,0,1]
	v_pk_fma_f32 v[140:141], v[140:141], v[130:131], v[144:145] op_sel:[0,0,1] op_sel_hi:[1,0,0]
	v_mov_b32_e32 v147, v141
	v_pk_mul_f32 v[140:141], v[142:143], v[132:133] op_sel:[0,1]
	s_delay_alu instid0(VALU_DEP_1) | instskip(SKIP_1) | instid1(VALU_DEP_1)
	v_pk_fma_f32 v[144:145], v[142:143], v[130:131], v[140:141] op_sel:[0,0,1] op_sel_hi:[1,1,0] neg_lo:[0,0,1] neg_hi:[0,0,1]
	v_pk_fma_f32 v[140:141], v[142:143], v[130:131], v[140:141] op_sel:[0,0,1] op_sel_hi:[1,0,0]
	v_mov_b32_e32 v145, v141
	ds_load_2addr_b64 v[140:143], v134 offset0:44 offset1:45
	v_pk_add_f32 v[34:35], v[34:35], v[146:147] neg_lo:[0,1] neg_hi:[0,1]
	v_pk_add_f32 v[30:31], v[30:31], v[144:145] neg_lo:[0,1] neg_hi:[0,1]
	s_wait_dscnt 0x0
	v_dual_mul_f32 v144, v141, v133 :: v_dual_mul_f32 v146, v141, v130
	s_delay_alu instid0(VALU_DEP_1) | instskip(NEXT) | instid1(VALU_DEP_2)
	v_pk_fma_f32 v[144:145], v[140:141], v[46:47], v[144:145] op_sel_hi:[1,1,0] neg_lo:[0,0,1] neg_hi:[0,0,1]
	v_pk_fma_f32 v[140:141], v[140:141], v[46:47], v[146:147] op_sel:[1,0,0] op_sel_hi:[0,1,0]
	s_delay_alu instid0(VALU_DEP_1) | instskip(SKIP_1) | instid1(VALU_DEP_2)
	v_mov_b32_e32 v145, v141
	v_pk_mul_f32 v[140:141], v[142:143], v[132:133] op_sel:[0,1]
	v_pk_add_f32 v[98:99], v[98:99], v[144:145] neg_lo:[0,1] neg_hi:[0,1]
	s_delay_alu instid0(VALU_DEP_2) | instskip(SKIP_1) | instid1(VALU_DEP_1)
	v_pk_fma_f32 v[144:145], v[142:143], v[130:131], v[140:141] op_sel:[0,0,1] op_sel_hi:[1,1,0] neg_lo:[0,0,1] neg_hi:[0,0,1]
	v_pk_fma_f32 v[140:141], v[142:143], v[130:131], v[140:141] op_sel:[0,0,1] op_sel_hi:[1,0,0]
	v_mov_b32_e32 v145, v141
	ds_load_2addr_b64 v[140:143], v134 offset0:46 offset1:47
	v_pk_add_f32 v[24:25], v[24:25], v[144:145] neg_lo:[0,1] neg_hi:[0,1]
	s_wait_dscnt 0x0
	v_pk_mul_f32 v[144:145], v[140:141], v[132:133] op_sel:[0,1]
	s_delay_alu instid0(VALU_DEP_1) | instskip(SKIP_1) | instid1(VALU_DEP_1)
	v_pk_fma_f32 v[146:147], v[140:141], v[130:131], v[144:145] op_sel:[0,0,1] op_sel_hi:[1,1,0] neg_lo:[0,0,1] neg_hi:[0,0,1]
	v_pk_fma_f32 v[140:141], v[140:141], v[130:131], v[144:145] op_sel:[0,0,1] op_sel_hi:[1,0,0]
	v_mov_b32_e32 v147, v141
	v_pk_mul_f32 v[140:141], v[142:143], v[132:133] op_sel:[0,1]
	s_delay_alu instid0(VALU_DEP_2) | instskip(NEXT) | instid1(VALU_DEP_2)
	v_pk_add_f32 v[28:29], v[28:29], v[146:147] neg_lo:[0,1] neg_hi:[0,1]
	v_pk_fma_f32 v[144:145], v[142:143], v[130:131], v[140:141] op_sel:[0,0,1] op_sel_hi:[1,1,0] neg_lo:[0,0,1] neg_hi:[0,0,1]
	v_pk_fma_f32 v[140:141], v[142:143], v[130:131], v[140:141] op_sel:[0,0,1] op_sel_hi:[1,0,0]
	s_delay_alu instid0(VALU_DEP_1) | instskip(SKIP_4) | instid1(VALU_DEP_1)
	v_mov_b32_e32 v145, v141
	ds_load_2addr_b64 v[140:143], v134 offset0:48 offset1:49
	v_pk_add_f32 v[22:23], v[22:23], v[144:145] neg_lo:[0,1] neg_hi:[0,1]
	s_wait_dscnt 0x0
	v_pk_mul_f32 v[144:145], v[140:141], v[132:133] op_sel:[0,1]
	v_pk_fma_f32 v[146:147], v[140:141], v[130:131], v[144:145] op_sel:[0,0,1] op_sel_hi:[1,1,0] neg_lo:[0,0,1] neg_hi:[0,0,1]
	v_pk_fma_f32 v[140:141], v[140:141], v[130:131], v[144:145] op_sel:[0,0,1] op_sel_hi:[1,0,0]
	v_dual_mul_f32 v144, v143, v133 :: v_dual_mov_b32 v140, v143
	s_delay_alu instid0(VALU_DEP_2) | instskip(NEXT) | instid1(VALU_DEP_2)
	v_dual_mov_b32 v147, v141 :: v_dual_mov_b32 v141, v142
	v_pk_fma_f32 v[144:145], v[142:143], v[46:47], v[144:145] op_sel_hi:[1,1,0] neg_lo:[0,0,1] neg_hi:[0,0,1]
	v_mul_f32_e32 v142, v143, v130
	s_delay_alu instid0(VALU_DEP_3) | instskip(NEXT) | instid1(VALU_DEP_2)
	v_pk_add_f32 v[96:97], v[96:97], v[146:147] neg_lo:[0,1] neg_hi:[0,1]
	v_pk_fma_f32 v[140:141], v[140:141], v[46:47], v[142:143] op_sel_hi:[1,1,0]
	s_delay_alu instid0(VALU_DEP_1) | instskip(SKIP_4) | instid1(VALU_DEP_1)
	v_mov_b32_e32 v145, v141
	ds_load_2addr_b64 v[140:143], v134 offset0:50 offset1:51
	v_pk_add_f32 v[18:19], v[18:19], v[144:145] neg_lo:[0,1] neg_hi:[0,1]
	s_wait_dscnt 0x0
	v_pk_mul_f32 v[144:145], v[140:141], v[132:133] op_sel:[0,1]
	v_pk_fma_f32 v[146:147], v[140:141], v[130:131], v[144:145] op_sel:[0,0,1] op_sel_hi:[1,1,0] neg_lo:[0,0,1] neg_hi:[0,0,1]
	v_pk_fma_f32 v[140:141], v[140:141], v[130:131], v[144:145] op_sel:[0,0,1] op_sel_hi:[1,0,0]
	s_delay_alu instid0(VALU_DEP_1) | instskip(SKIP_1) | instid1(VALU_DEP_1)
	v_mov_b32_e32 v147, v141
	v_pk_mul_f32 v[140:141], v[142:143], v[132:133] op_sel:[0,1]
	v_pk_fma_f32 v[144:145], v[142:143], v[130:131], v[140:141] op_sel:[0,0,1] op_sel_hi:[1,1,0] neg_lo:[0,0,1] neg_hi:[0,0,1]
	v_pk_fma_f32 v[140:141], v[142:143], v[130:131], v[140:141] op_sel:[0,0,1] op_sel_hi:[1,0,0]
	s_delay_alu instid0(VALU_DEP_1)
	v_mov_b32_e32 v145, v141
	ds_load_2addr_b64 v[140:143], v134 offset0:52 offset1:53
	v_pk_add_f32 v[20:21], v[20:21], v[146:147] neg_lo:[0,1] neg_hi:[0,1]
	v_pk_add_f32 v[36:37], v[36:37], v[144:145] neg_lo:[0,1] neg_hi:[0,1]
	s_wait_dscnt 0x0
	v_pk_mul_f32 v[144:145], v[140:141], v[132:133] op_sel:[0,1]
	s_delay_alu instid0(VALU_DEP_1) | instskip(SKIP_1) | instid1(VALU_DEP_1)
	v_pk_fma_f32 v[146:147], v[140:141], v[130:131], v[144:145] op_sel:[0,0,1] op_sel_hi:[1,1,0] neg_lo:[0,0,1] neg_hi:[0,0,1]
	v_pk_fma_f32 v[140:141], v[140:141], v[130:131], v[144:145] op_sel:[0,0,1] op_sel_hi:[1,0,0]
	v_mov_b32_e32 v147, v141
	v_pk_mul_f32 v[140:141], v[142:143], v[132:133] op_sel:[0,1]
	s_delay_alu instid0(VALU_DEP_1) | instskip(SKIP_1) | instid1(VALU_DEP_1)
	v_pk_fma_f32 v[144:145], v[142:143], v[130:131], v[140:141] op_sel:[0,0,1] op_sel_hi:[1,1,0] neg_lo:[0,0,1] neg_hi:[0,0,1]
	v_pk_fma_f32 v[140:141], v[142:143], v[130:131], v[140:141] op_sel:[0,0,1] op_sel_hi:[1,0,0]
	v_mov_b32_e32 v145, v141
	ds_load_2addr_b64 v[140:143], v134 offset0:54 offset1:55
	v_pk_add_f32 v[86:87], v[86:87], v[146:147] neg_lo:[0,1] neg_hi:[0,1]
	v_pk_add_f32 v[10:11], v[10:11], v[144:145] neg_lo:[0,1] neg_hi:[0,1]
	s_wait_dscnt 0x0
	v_dual_mul_f32 v144, v141, v133 :: v_dual_mul_f32 v146, v141, v130
	s_delay_alu instid0(VALU_DEP_1) | instskip(NEXT) | instid1(VALU_DEP_2)
	v_pk_fma_f32 v[144:145], v[140:141], v[46:47], v[144:145] op_sel_hi:[1,1,0] neg_lo:[0,0,1] neg_hi:[0,0,1]
	v_pk_fma_f32 v[140:141], v[140:141], v[46:47], v[146:147] op_sel:[1,0,0] op_sel_hi:[0,1,0]
	s_delay_alu instid0(VALU_DEP_1) | instskip(SKIP_1) | instid1(VALU_DEP_2)
	v_mov_b32_e32 v145, v141
	v_pk_mul_f32 v[140:141], v[142:143], v[132:133] op_sel:[0,1]
	v_pk_add_f32 v[12:13], v[12:13], v[144:145] neg_lo:[0,1] neg_hi:[0,1]
	s_delay_alu instid0(VALU_DEP_2) | instskip(SKIP_1) | instid1(VALU_DEP_1)
	v_pk_fma_f32 v[144:145], v[142:143], v[130:131], v[140:141] op_sel:[0,0,1] op_sel_hi:[1,1,0] neg_lo:[0,0,1] neg_hi:[0,0,1]
	v_pk_fma_f32 v[140:141], v[142:143], v[130:131], v[140:141] op_sel:[0,0,1] op_sel_hi:[1,0,0]
	v_mov_b32_e32 v145, v141
	ds_load_2addr_b64 v[140:143], v134 offset0:56 offset1:57
	v_pk_add_f32 v[8:9], v[8:9], v[144:145] neg_lo:[0,1] neg_hi:[0,1]
	s_wait_dscnt 0x0
	v_pk_mul_f32 v[144:145], v[140:141], v[132:133] op_sel:[0,1]
	s_delay_alu instid0(VALU_DEP_1) | instskip(SKIP_1) | instid1(VALU_DEP_1)
	v_pk_fma_f32 v[146:147], v[140:141], v[130:131], v[144:145] op_sel:[0,0,1] op_sel_hi:[1,1,0] neg_lo:[0,0,1] neg_hi:[0,0,1]
	v_pk_fma_f32 v[140:141], v[140:141], v[130:131], v[144:145] op_sel:[0,0,1] op_sel_hi:[1,0,0]
	v_mov_b32_e32 v147, v141
	v_pk_mul_f32 v[140:141], v[142:143], v[132:133] op_sel:[0,1]
	s_delay_alu instid0(VALU_DEP_2) | instskip(NEXT) | instid1(VALU_DEP_2)
	v_pk_add_f32 v[44:45], v[44:45], v[146:147] neg_lo:[0,1] neg_hi:[0,1]
	v_pk_fma_f32 v[144:145], v[142:143], v[130:131], v[140:141] op_sel:[0,0,1] op_sel_hi:[1,1,0] neg_lo:[0,0,1] neg_hi:[0,0,1]
	v_pk_fma_f32 v[140:141], v[142:143], v[130:131], v[140:141] op_sel:[0,0,1] op_sel_hi:[1,0,0]
	s_delay_alu instid0(VALU_DEP_1) | instskip(SKIP_4) | instid1(VALU_DEP_1)
	v_mov_b32_e32 v145, v141
	ds_load_2addr_b64 v[140:143], v134 offset0:58 offset1:59
	v_pk_add_f32 v[6:7], v[6:7], v[144:145] neg_lo:[0,1] neg_hi:[0,1]
	s_wait_dscnt 0x0
	v_pk_mul_f32 v[144:145], v[140:141], v[132:133] op_sel:[0,1]
	v_pk_fma_f32 v[146:147], v[140:141], v[130:131], v[144:145] op_sel:[0,0,1] op_sel_hi:[1,1,0] neg_lo:[0,0,1] neg_hi:[0,0,1]
	v_pk_fma_f32 v[140:141], v[140:141], v[130:131], v[144:145] op_sel:[0,0,1] op_sel_hi:[1,0,0]
	v_dual_mul_f32 v144, v143, v133 :: v_dual_mov_b32 v140, v143
	s_delay_alu instid0(VALU_DEP_2) | instskip(NEXT) | instid1(VALU_DEP_2)
	v_dual_mov_b32 v147, v141 :: v_dual_mov_b32 v141, v142
	v_pk_fma_f32 v[144:145], v[142:143], v[46:47], v[144:145] op_sel_hi:[1,1,0] neg_lo:[0,0,1] neg_hi:[0,0,1]
	v_mul_f32_e32 v142, v143, v130
	s_delay_alu instid0(VALU_DEP_3) | instskip(NEXT) | instid1(VALU_DEP_2)
	v_pk_add_f32 v[26:27], v[26:27], v[146:147] neg_lo:[0,1] neg_hi:[0,1]
	v_pk_fma_f32 v[140:141], v[140:141], v[46:47], v[142:143] op_sel_hi:[1,1,0]
	s_delay_alu instid0(VALU_DEP_1)
	v_mov_b32_e32 v145, v141
	ds_load_2addr_b64 v[140:143], v134 offset0:60 offset1:61
	v_pk_add_f32 v[16:17], v[16:17], v[144:145] neg_lo:[0,1] neg_hi:[0,1]
	s_wait_dscnt 0x0
	v_pk_mul_f32 v[144:145], v[140:141], v[132:133] op_sel:[0,1]
	v_pk_mul_f32 v[132:133], v[142:143], v[132:133] op_sel:[0,1]
	s_delay_alu instid0(VALU_DEP_2) | instskip(SKIP_1) | instid1(VALU_DEP_1)
	v_pk_fma_f32 v[146:147], v[140:141], v[130:131], v[144:145] op_sel:[0,0,1] op_sel_hi:[1,1,0] neg_lo:[0,0,1] neg_hi:[0,0,1]
	v_pk_fma_f32 v[140:141], v[140:141], v[130:131], v[144:145] op_sel:[0,0,1] op_sel_hi:[1,0,0]
	v_mov_b32_e32 v147, v141
	s_delay_alu instid0(VALU_DEP_4) | instskip(SKIP_1) | instid1(VALU_DEP_1)
	v_pk_fma_f32 v[140:141], v[142:143], v[130:131], v[132:133] op_sel:[0,0,1] op_sel_hi:[1,1,0] neg_lo:[0,0,1] neg_hi:[0,0,1]
	v_pk_fma_f32 v[130:131], v[142:143], v[130:131], v[132:133] op_sel:[0,0,1] op_sel_hi:[1,0,0]
	v_mov_b32_e32 v141, v131
	s_delay_alu instid0(VALU_DEP_4) | instskip(NEXT) | instid1(VALU_DEP_2)
	v_pk_add_f32 v[14:15], v[14:15], v[146:147] neg_lo:[0,1] neg_hi:[0,1]
	v_pk_add_f32 v[128:129], v[128:129], v[140:141] neg_lo:[0,1] neg_hi:[0,1]
.LBB122_755:
	s_or_b32 exec_lo, exec_lo, s0
	v_lshl_add_u32 v130, v138, 3, v134
	s_barrier_signal -1
	s_barrier_wait -1
	ds_store_b64 v130, v[102:103]
	s_wait_dscnt 0x0
	s_barrier_signal -1
	s_barrier_wait -1
	ds_load_b64 v[132:133], v134 offset:288
	v_mov_b32_e32 v130, 36
	s_cmp_lt_i32 s18, 38
	s_cbranch_scc1 .LBB122_758
; %bb.756:
	v_add3_u32 v131, v135, 0, 0x128
	v_mov_b32_e32 v130, 36
	s_mov_b32 s0, 37
.LBB122_757:                            ; =>This Inner Loop Header: Depth=1
	ds_load_b64 v[140:141], v131
	s_wait_dscnt 0x1
	v_cmp_gt_f32_e32 vcc_lo, 0, v132
	v_cndmask_b32_e64 v142, v132, -v132, vcc_lo
	v_cmp_gt_f32_e32 vcc_lo, 0, v133
	v_cndmask_b32_e64 v144, v133, -v133, vcc_lo
	s_wait_dscnt 0x0
	v_cmp_gt_f32_e32 vcc_lo, 0, v140
	v_cndmask_b32_e64 v143, v140, -v140, vcc_lo
	v_cmp_gt_f32_e32 vcc_lo, 0, v141
	v_cndmask_b32_e64 v145, v141, -v141, vcc_lo
	s_delay_alu instid0(VALU_DEP_1) | instskip(NEXT) | instid1(VALU_DEP_1)
	v_pk_add_f32 v[142:143], v[142:143], v[144:145]
	v_cmp_lt_f32_e32 vcc_lo, v142, v143
	v_dual_add_nc_u32 v131, 8, v131 :: v_dual_cndmask_b32 v133, v133, v141, vcc_lo
	v_cndmask_b32_e32 v132, v132, v140, vcc_lo
	v_cndmask_b32_e64 v130, v130, s0, vcc_lo
	s_add_co_i32 s0, s0, 1
	s_delay_alu instid0(SALU_CYCLE_1)
	s_cmp_lg_u32 s18, s0
	s_cbranch_scc1 .LBB122_757
.LBB122_758:
	s_wait_dscnt 0x0
	v_cmp_eq_f32_e32 vcc_lo, 0, v132
	v_cmp_eq_f32_e64 s0, 0, v133
	s_and_b32 s0, vcc_lo, s0
	s_delay_alu instid0(SALU_CYCLE_1) | instskip(NEXT) | instid1(SALU_CYCLE_1)
	s_and_saveexec_b32 s1, s0
	s_xor_b32 s0, exec_lo, s1
; %bb.759:
	v_cmp_ne_u32_e32 vcc_lo, 0, v136
	v_cndmask_b32_e32 v136, 37, v136, vcc_lo
; %bb.760:
	s_and_not1_saveexec_b32 s0, s0
	s_cbranch_execz .LBB122_766
; %bb.761:
	v_cmp_ngt_f32_e64 s1, |v132|, |v133|
	s_and_saveexec_b32 s12, s1
	s_delay_alu instid0(SALU_CYCLE_1)
	s_xor_b32 s1, exec_lo, s12
	s_cbranch_execz .LBB122_763
; %bb.762:
	v_div_scale_f32 v131, null, v133, v133, v132
	v_div_scale_f32 v141, vcc_lo, v132, v133, v132
	s_delay_alu instid0(VALU_DEP_2) | instskip(SKIP_1) | instid1(TRANS32_DEP_1)
	v_rcp_f32_e32 v139, v131
	v_nop
	v_fma_f32 v140, -v131, v139, 1.0
	s_delay_alu instid0(VALU_DEP_1) | instskip(NEXT) | instid1(VALU_DEP_1)
	v_fmac_f32_e32 v139, v140, v139
	v_mul_f32_e32 v140, v141, v139
	s_delay_alu instid0(VALU_DEP_1) | instskip(NEXT) | instid1(VALU_DEP_1)
	v_fma_f32 v142, -v131, v140, v141
	v_fmac_f32_e32 v140, v142, v139
	s_delay_alu instid0(VALU_DEP_1) | instskip(NEXT) | instid1(VALU_DEP_1)
	v_fma_f32 v131, -v131, v140, v141
	v_div_fmas_f32 v131, v131, v139, v140
	s_delay_alu instid0(VALU_DEP_1) | instskip(NEXT) | instid1(VALU_DEP_1)
	v_div_fixup_f32 v131, v131, v133, v132
	v_fmac_f32_e32 v133, v132, v131
	s_delay_alu instid0(VALU_DEP_1) | instskip(SKIP_1) | instid1(VALU_DEP_2)
	v_div_scale_f32 v132, null, v133, v133, 1.0
	v_div_scale_f32 v141, vcc_lo, 1.0, v133, 1.0
	v_rcp_f32_e32 v139, v132
	v_nop
	s_delay_alu instid0(TRANS32_DEP_1) | instskip(NEXT) | instid1(VALU_DEP_1)
	v_fma_f32 v140, -v132, v139, 1.0
	v_fmac_f32_e32 v139, v140, v139
	s_delay_alu instid0(VALU_DEP_1) | instskip(NEXT) | instid1(VALU_DEP_1)
	v_mul_f32_e32 v140, v141, v139
	v_fma_f32 v142, -v132, v140, v141
	s_delay_alu instid0(VALU_DEP_1) | instskip(NEXT) | instid1(VALU_DEP_1)
	v_fmac_f32_e32 v140, v142, v139
	v_fma_f32 v132, -v132, v140, v141
	s_delay_alu instid0(VALU_DEP_1) | instskip(NEXT) | instid1(VALU_DEP_1)
	v_div_fmas_f32 v132, v132, v139, v140
	v_div_fixup_f32 v133, v132, v133, 1.0
	s_delay_alu instid0(VALU_DEP_1)
	v_mul_f32_e32 v132, v131, v133
	v_xor_b32_e32 v133, 0x80000000, v133
.LBB122_763:
	s_and_not1_saveexec_b32 s1, s1
	s_cbranch_execz .LBB122_765
; %bb.764:
	s_delay_alu instid0(VALU_DEP_1) | instskip(SKIP_1) | instid1(VALU_DEP_2)
	v_div_scale_f32 v131, null, v132, v132, v133
	v_div_scale_f32 v141, vcc_lo, v133, v132, v133
	v_rcp_f32_e32 v139, v131
	v_nop
	s_delay_alu instid0(TRANS32_DEP_1) | instskip(NEXT) | instid1(VALU_DEP_1)
	v_fma_f32 v140, -v131, v139, 1.0
	v_fmac_f32_e32 v139, v140, v139
	s_delay_alu instid0(VALU_DEP_1) | instskip(NEXT) | instid1(VALU_DEP_1)
	v_mul_f32_e32 v140, v141, v139
	v_fma_f32 v142, -v131, v140, v141
	s_delay_alu instid0(VALU_DEP_1) | instskip(NEXT) | instid1(VALU_DEP_1)
	v_fmac_f32_e32 v140, v142, v139
	v_fma_f32 v131, -v131, v140, v141
	s_delay_alu instid0(VALU_DEP_1) | instskip(NEXT) | instid1(VALU_DEP_1)
	v_div_fmas_f32 v131, v131, v139, v140
	v_div_fixup_f32 v131, v131, v132, v133
	s_delay_alu instid0(VALU_DEP_1) | instskip(NEXT) | instid1(VALU_DEP_1)
	v_fmac_f32_e32 v132, v133, v131
	v_div_scale_f32 v133, null, v132, v132, 1.0
	s_delay_alu instid0(VALU_DEP_1) | instskip(SKIP_1) | instid1(TRANS32_DEP_1)
	v_rcp_f32_e32 v139, v133
	v_nop
	v_fma_f32 v140, -v133, v139, 1.0
	s_delay_alu instid0(VALU_DEP_1) | instskip(SKIP_1) | instid1(VALU_DEP_1)
	v_fmac_f32_e32 v139, v140, v139
	v_div_scale_f32 v140, vcc_lo, 1.0, v132, 1.0
	v_mul_f32_e32 v141, v140, v139
	s_delay_alu instid0(VALU_DEP_1) | instskip(NEXT) | instid1(VALU_DEP_1)
	v_fma_f32 v142, -v133, v141, v140
	v_fmac_f32_e32 v141, v142, v139
	s_delay_alu instid0(VALU_DEP_1) | instskip(NEXT) | instid1(VALU_DEP_1)
	v_fma_f32 v133, -v133, v141, v140
	v_div_fmas_f32 v133, v133, v139, v141
	s_delay_alu instid0(VALU_DEP_1) | instskip(NEXT) | instid1(VALU_DEP_1)
	v_div_fixup_f32 v132, v133, v132, 1.0
	v_mul_f32_e64 v133, v131, -v132
.LBB122_765:
	s_or_b32 exec_lo, exec_lo, s1
.LBB122_766:
	s_delay_alu instid0(SALU_CYCLE_1) | instskip(NEXT) | instid1(SALU_CYCLE_1)
	s_or_b32 exec_lo, exec_lo, s0
	s_mov_b32 s0, exec_lo
	v_cmpx_ne_u32_e64 v138, v130
	s_xor_b32 s0, exec_lo, s0
	s_cbranch_execz .LBB122_772
; %bb.767:
	s_mov_b32 s1, exec_lo
	v_cmpx_eq_u32_e32 36, v138
	s_cbranch_execz .LBB122_771
; %bb.768:
	v_cmp_ne_u32_e32 vcc_lo, 36, v130
	s_xor_b32 s12, s16, -1
	s_delay_alu instid0(SALU_CYCLE_1) | instskip(NEXT) | instid1(SALU_CYCLE_1)
	s_and_b32 s13, s12, vcc_lo
	s_and_saveexec_b32 s12, s13
	s_cbranch_execz .LBB122_770
; %bb.769:
	v_ashrrev_i32_e32 v131, 31, v130
	s_delay_alu instid0(VALU_DEP_1)
	v_lshl_add_u64 v[138:139], v[130:131], 2, v[4:5]
	s_clause 0x1
	global_load_b32 v131, v[138:139], off
	global_load_b32 v137, v[4:5], off offset:144
	s_wait_loadcnt 0x1
	global_store_b32 v[4:5], v131, off offset:144
	s_wait_loadcnt 0x0
	global_store_b32 v[138:139], v137, off
.LBB122_770:
	s_wait_xcnt 0x0
	s_or_b32 exec_lo, exec_lo, s12
	v_dual_mov_b32 v138, v130 :: v_dual_mov_b32 v137, v130
.LBB122_771:
	s_or_b32 exec_lo, exec_lo, s1
.LBB122_772:
	s_and_not1_saveexec_b32 s0, s0
	s_cbranch_execz .LBB122_774
; %bb.773:
	v_mov_b32_e32 v138, 36
	ds_store_2addr_b64 v134, v[40:41], v[42:43] offset0:37 offset1:38
	ds_store_2addr_b64 v134, v[38:39], v[100:101] offset0:39 offset1:40
	;; [unrolled: 1-line block ×12, first 2 shown]
	ds_store_b64 v134, v[128:129] offset:488
.LBB122_774:
	s_or_b32 exec_lo, exec_lo, s0
	s_delay_alu instid0(SALU_CYCLE_1)
	s_mov_b32 s0, exec_lo
	s_wait_storecnt_dscnt 0x0
	s_barrier_signal -1
	s_barrier_wait -1
	v_cmpx_lt_i32_e32 36, v138
	s_cbranch_execz .LBB122_776
; %bb.775:
	v_pk_mul_f32 v[140:141], v[132:133], v[102:103] op_sel:[1,1] op_sel_hi:[0,1]
	s_delay_alu instid0(VALU_DEP_1)
	v_pk_fma_f32 v[130:131], v[132:133], v[102:103], v[140:141] op_sel_hi:[1,0,1] neg_lo:[0,0,1] neg_hi:[0,0,1]
	v_pk_fma_f32 v[132:133], v[132:133], v[102:103], v[140:141] op_sel_hi:[1,0,1]
	ds_load_2addr_b64 v[140:143], v134 offset0:37 offset1:38
	v_dual_mov_b32 v102, v130 :: v_dual_mov_b32 v103, v133
	s_wait_dscnt 0x0
	v_pk_mul_f32 v[144:145], v[140:141], v[132:133] op_sel:[0,1]
	s_delay_alu instid0(VALU_DEP_1) | instskip(SKIP_1) | instid1(VALU_DEP_1)
	v_pk_fma_f32 v[146:147], v[140:141], v[130:131], v[144:145] op_sel:[0,0,1] op_sel_hi:[1,1,0] neg_lo:[0,0,1] neg_hi:[0,0,1]
	v_pk_fma_f32 v[140:141], v[140:141], v[130:131], v[144:145] op_sel:[0,0,1] op_sel_hi:[1,0,0]
	v_mov_b32_e32 v147, v141
	v_pk_mul_f32 v[140:141], v[142:143], v[132:133] op_sel:[0,1]
	s_delay_alu instid0(VALU_DEP_1) | instskip(SKIP_1) | instid1(VALU_DEP_1)
	v_pk_fma_f32 v[144:145], v[142:143], v[130:131], v[140:141] op_sel:[0,0,1] op_sel_hi:[1,1,0] neg_lo:[0,0,1] neg_hi:[0,0,1]
	v_pk_fma_f32 v[140:141], v[142:143], v[130:131], v[140:141] op_sel:[0,0,1] op_sel_hi:[1,0,0]
	v_mov_b32_e32 v145, v141
	ds_load_2addr_b64 v[140:143], v134 offset0:39 offset1:40
	v_pk_add_f32 v[40:41], v[40:41], v[146:147] neg_lo:[0,1] neg_hi:[0,1]
	v_pk_add_f32 v[42:43], v[42:43], v[144:145] neg_lo:[0,1] neg_hi:[0,1]
	s_wait_dscnt 0x0
	v_pk_mul_f32 v[144:145], v[140:141], v[132:133] op_sel:[0,1]
	s_delay_alu instid0(VALU_DEP_1) | instskip(SKIP_2) | instid1(VALU_DEP_2)
	v_pk_fma_f32 v[146:147], v[140:141], v[130:131], v[144:145] op_sel:[0,0,1] op_sel_hi:[1,1,0] neg_lo:[0,0,1] neg_hi:[0,0,1]
	v_pk_fma_f32 v[140:141], v[140:141], v[130:131], v[144:145] op_sel:[0,0,1] op_sel_hi:[1,0,0]
	v_dual_mul_f32 v144, v143, v133 :: v_dual_mov_b32 v140, v143
	v_dual_mov_b32 v147, v141 :: v_dual_mov_b32 v141, v142
	s_delay_alu instid0(VALU_DEP_2) | instskip(SKIP_1) | instid1(VALU_DEP_3)
	v_pk_fma_f32 v[144:145], v[142:143], v[102:103], v[144:145] op_sel_hi:[1,1,0] neg_lo:[0,0,1] neg_hi:[0,0,1]
	v_mul_f32_e32 v142, v143, v130
	v_pk_add_f32 v[38:39], v[38:39], v[146:147] neg_lo:[0,1] neg_hi:[0,1]
	s_delay_alu instid0(VALU_DEP_2) | instskip(NEXT) | instid1(VALU_DEP_1)
	v_pk_fma_f32 v[140:141], v[140:141], v[102:103], v[142:143] op_sel_hi:[1,1,0]
	v_mov_b32_e32 v145, v141
	ds_load_2addr_b64 v[140:143], v134 offset0:41 offset1:42
	v_pk_add_f32 v[100:101], v[100:101], v[144:145] neg_lo:[0,1] neg_hi:[0,1]
	s_wait_dscnt 0x0
	v_pk_mul_f32 v[144:145], v[140:141], v[132:133] op_sel:[0,1]
	s_delay_alu instid0(VALU_DEP_1) | instskip(SKIP_1) | instid1(VALU_DEP_1)
	v_pk_fma_f32 v[146:147], v[140:141], v[130:131], v[144:145] op_sel:[0,0,1] op_sel_hi:[1,1,0] neg_lo:[0,0,1] neg_hi:[0,0,1]
	v_pk_fma_f32 v[140:141], v[140:141], v[130:131], v[144:145] op_sel:[0,0,1] op_sel_hi:[1,0,0]
	v_mov_b32_e32 v147, v141
	v_pk_mul_f32 v[140:141], v[142:143], v[132:133] op_sel:[0,1]
	s_delay_alu instid0(VALU_DEP_1) | instskip(SKIP_1) | instid1(VALU_DEP_1)
	v_pk_fma_f32 v[144:145], v[142:143], v[130:131], v[140:141] op_sel:[0,0,1] op_sel_hi:[1,1,0] neg_lo:[0,0,1] neg_hi:[0,0,1]
	v_pk_fma_f32 v[140:141], v[142:143], v[130:131], v[140:141] op_sel:[0,0,1] op_sel_hi:[1,0,0]
	v_mov_b32_e32 v145, v141
	ds_load_2addr_b64 v[140:143], v134 offset0:43 offset1:44
	v_pk_add_f32 v[32:33], v[32:33], v[146:147] neg_lo:[0,1] neg_hi:[0,1]
	v_pk_add_f32 v[34:35], v[34:35], v[144:145] neg_lo:[0,1] neg_hi:[0,1]
	s_wait_dscnt 0x0
	v_pk_mul_f32 v[144:145], v[140:141], v[132:133] op_sel:[0,1]
	s_delay_alu instid0(VALU_DEP_1) | instskip(SKIP_1) | instid1(VALU_DEP_1)
	v_pk_fma_f32 v[146:147], v[140:141], v[130:131], v[144:145] op_sel:[0,0,1] op_sel_hi:[1,1,0] neg_lo:[0,0,1] neg_hi:[0,0,1]
	v_pk_fma_f32 v[140:141], v[140:141], v[130:131], v[144:145] op_sel:[0,0,1] op_sel_hi:[1,0,0]
	v_mov_b32_e32 v147, v141
	v_pk_mul_f32 v[140:141], v[142:143], v[132:133] op_sel:[0,1]
	s_delay_alu instid0(VALU_DEP_1) | instskip(SKIP_1) | instid1(VALU_DEP_1)
	v_pk_fma_f32 v[144:145], v[142:143], v[130:131], v[140:141] op_sel:[0,0,1] op_sel_hi:[1,1,0] neg_lo:[0,0,1] neg_hi:[0,0,1]
	v_pk_fma_f32 v[140:141], v[142:143], v[130:131], v[140:141] op_sel:[0,0,1] op_sel_hi:[1,0,0]
	v_mov_b32_e32 v145, v141
	ds_load_2addr_b64 v[140:143], v134 offset0:45 offset1:46
	v_pk_add_f32 v[30:31], v[30:31], v[146:147] neg_lo:[0,1] neg_hi:[0,1]
	v_pk_add_f32 v[98:99], v[98:99], v[144:145] neg_lo:[0,1] neg_hi:[0,1]
	s_wait_dscnt 0x0
	v_dual_mul_f32 v144, v141, v133 :: v_dual_mul_f32 v146, v141, v130
	s_delay_alu instid0(VALU_DEP_1) | instskip(NEXT) | instid1(VALU_DEP_2)
	v_pk_fma_f32 v[144:145], v[140:141], v[102:103], v[144:145] op_sel_hi:[1,1,0] neg_lo:[0,0,1] neg_hi:[0,0,1]
	v_pk_fma_f32 v[140:141], v[140:141], v[102:103], v[146:147] op_sel:[1,0,0] op_sel_hi:[0,1,0]
	s_delay_alu instid0(VALU_DEP_1) | instskip(SKIP_1) | instid1(VALU_DEP_2)
	v_mov_b32_e32 v145, v141
	v_pk_mul_f32 v[140:141], v[142:143], v[132:133] op_sel:[0,1]
	v_pk_add_f32 v[24:25], v[24:25], v[144:145] neg_lo:[0,1] neg_hi:[0,1]
	s_delay_alu instid0(VALU_DEP_2) | instskip(SKIP_1) | instid1(VALU_DEP_1)
	v_pk_fma_f32 v[144:145], v[142:143], v[130:131], v[140:141] op_sel:[0,0,1] op_sel_hi:[1,1,0] neg_lo:[0,0,1] neg_hi:[0,0,1]
	v_pk_fma_f32 v[140:141], v[142:143], v[130:131], v[140:141] op_sel:[0,0,1] op_sel_hi:[1,0,0]
	v_mov_b32_e32 v145, v141
	ds_load_2addr_b64 v[140:143], v134 offset0:47 offset1:48
	v_pk_add_f32 v[28:29], v[28:29], v[144:145] neg_lo:[0,1] neg_hi:[0,1]
	s_wait_dscnt 0x0
	v_pk_mul_f32 v[144:145], v[140:141], v[132:133] op_sel:[0,1]
	s_delay_alu instid0(VALU_DEP_1) | instskip(SKIP_1) | instid1(VALU_DEP_1)
	v_pk_fma_f32 v[146:147], v[140:141], v[130:131], v[144:145] op_sel:[0,0,1] op_sel_hi:[1,1,0] neg_lo:[0,0,1] neg_hi:[0,0,1]
	v_pk_fma_f32 v[140:141], v[140:141], v[130:131], v[144:145] op_sel:[0,0,1] op_sel_hi:[1,0,0]
	v_mov_b32_e32 v147, v141
	v_pk_mul_f32 v[140:141], v[142:143], v[132:133] op_sel:[0,1]
	s_delay_alu instid0(VALU_DEP_2) | instskip(NEXT) | instid1(VALU_DEP_2)
	v_pk_add_f32 v[22:23], v[22:23], v[146:147] neg_lo:[0,1] neg_hi:[0,1]
	v_pk_fma_f32 v[144:145], v[142:143], v[130:131], v[140:141] op_sel:[0,0,1] op_sel_hi:[1,1,0] neg_lo:[0,0,1] neg_hi:[0,0,1]
	v_pk_fma_f32 v[140:141], v[142:143], v[130:131], v[140:141] op_sel:[0,0,1] op_sel_hi:[1,0,0]
	s_delay_alu instid0(VALU_DEP_1) | instskip(SKIP_4) | instid1(VALU_DEP_1)
	v_mov_b32_e32 v145, v141
	ds_load_2addr_b64 v[140:143], v134 offset0:49 offset1:50
	v_pk_add_f32 v[96:97], v[96:97], v[144:145] neg_lo:[0,1] neg_hi:[0,1]
	s_wait_dscnt 0x0
	v_pk_mul_f32 v[144:145], v[140:141], v[132:133] op_sel:[0,1]
	v_pk_fma_f32 v[146:147], v[140:141], v[130:131], v[144:145] op_sel:[0,0,1] op_sel_hi:[1,1,0] neg_lo:[0,0,1] neg_hi:[0,0,1]
	v_pk_fma_f32 v[140:141], v[140:141], v[130:131], v[144:145] op_sel:[0,0,1] op_sel_hi:[1,0,0]
	v_dual_mul_f32 v144, v143, v133 :: v_dual_mov_b32 v140, v143
	s_delay_alu instid0(VALU_DEP_2) | instskip(NEXT) | instid1(VALU_DEP_2)
	v_dual_mov_b32 v147, v141 :: v_dual_mov_b32 v141, v142
	v_pk_fma_f32 v[144:145], v[142:143], v[102:103], v[144:145] op_sel_hi:[1,1,0] neg_lo:[0,0,1] neg_hi:[0,0,1]
	v_mul_f32_e32 v142, v143, v130
	s_delay_alu instid0(VALU_DEP_3) | instskip(NEXT) | instid1(VALU_DEP_2)
	v_pk_add_f32 v[18:19], v[18:19], v[146:147] neg_lo:[0,1] neg_hi:[0,1]
	v_pk_fma_f32 v[140:141], v[140:141], v[102:103], v[142:143] op_sel_hi:[1,1,0]
	s_delay_alu instid0(VALU_DEP_1) | instskip(SKIP_4) | instid1(VALU_DEP_1)
	v_mov_b32_e32 v145, v141
	ds_load_2addr_b64 v[140:143], v134 offset0:51 offset1:52
	v_pk_add_f32 v[20:21], v[20:21], v[144:145] neg_lo:[0,1] neg_hi:[0,1]
	s_wait_dscnt 0x0
	v_pk_mul_f32 v[144:145], v[140:141], v[132:133] op_sel:[0,1]
	v_pk_fma_f32 v[146:147], v[140:141], v[130:131], v[144:145] op_sel:[0,0,1] op_sel_hi:[1,1,0] neg_lo:[0,0,1] neg_hi:[0,0,1]
	v_pk_fma_f32 v[140:141], v[140:141], v[130:131], v[144:145] op_sel:[0,0,1] op_sel_hi:[1,0,0]
	s_delay_alu instid0(VALU_DEP_1) | instskip(SKIP_1) | instid1(VALU_DEP_1)
	v_mov_b32_e32 v147, v141
	v_pk_mul_f32 v[140:141], v[142:143], v[132:133] op_sel:[0,1]
	v_pk_fma_f32 v[144:145], v[142:143], v[130:131], v[140:141] op_sel:[0,0,1] op_sel_hi:[1,1,0] neg_lo:[0,0,1] neg_hi:[0,0,1]
	v_pk_fma_f32 v[140:141], v[142:143], v[130:131], v[140:141] op_sel:[0,0,1] op_sel_hi:[1,0,0]
	s_delay_alu instid0(VALU_DEP_1)
	v_mov_b32_e32 v145, v141
	ds_load_2addr_b64 v[140:143], v134 offset0:53 offset1:54
	v_pk_add_f32 v[36:37], v[36:37], v[146:147] neg_lo:[0,1] neg_hi:[0,1]
	v_pk_add_f32 v[86:87], v[86:87], v[144:145] neg_lo:[0,1] neg_hi:[0,1]
	s_wait_dscnt 0x0
	v_pk_mul_f32 v[144:145], v[140:141], v[132:133] op_sel:[0,1]
	s_delay_alu instid0(VALU_DEP_1) | instskip(SKIP_1) | instid1(VALU_DEP_1)
	v_pk_fma_f32 v[146:147], v[140:141], v[130:131], v[144:145] op_sel:[0,0,1] op_sel_hi:[1,1,0] neg_lo:[0,0,1] neg_hi:[0,0,1]
	v_pk_fma_f32 v[140:141], v[140:141], v[130:131], v[144:145] op_sel:[0,0,1] op_sel_hi:[1,0,0]
	v_mov_b32_e32 v147, v141
	v_pk_mul_f32 v[140:141], v[142:143], v[132:133] op_sel:[0,1]
	s_delay_alu instid0(VALU_DEP_1) | instskip(SKIP_1) | instid1(VALU_DEP_1)
	v_pk_fma_f32 v[144:145], v[142:143], v[130:131], v[140:141] op_sel:[0,0,1] op_sel_hi:[1,1,0] neg_lo:[0,0,1] neg_hi:[0,0,1]
	v_pk_fma_f32 v[140:141], v[142:143], v[130:131], v[140:141] op_sel:[0,0,1] op_sel_hi:[1,0,0]
	v_mov_b32_e32 v145, v141
	ds_load_2addr_b64 v[140:143], v134 offset0:55 offset1:56
	v_pk_add_f32 v[10:11], v[10:11], v[146:147] neg_lo:[0,1] neg_hi:[0,1]
	v_pk_add_f32 v[12:13], v[12:13], v[144:145] neg_lo:[0,1] neg_hi:[0,1]
	s_wait_dscnt 0x0
	v_dual_mul_f32 v144, v141, v133 :: v_dual_mul_f32 v146, v141, v130
	s_delay_alu instid0(VALU_DEP_1) | instskip(NEXT) | instid1(VALU_DEP_2)
	v_pk_fma_f32 v[144:145], v[140:141], v[102:103], v[144:145] op_sel_hi:[1,1,0] neg_lo:[0,0,1] neg_hi:[0,0,1]
	v_pk_fma_f32 v[140:141], v[140:141], v[102:103], v[146:147] op_sel:[1,0,0] op_sel_hi:[0,1,0]
	s_delay_alu instid0(VALU_DEP_1) | instskip(SKIP_1) | instid1(VALU_DEP_2)
	v_mov_b32_e32 v145, v141
	v_pk_mul_f32 v[140:141], v[142:143], v[132:133] op_sel:[0,1]
	v_pk_add_f32 v[8:9], v[8:9], v[144:145] neg_lo:[0,1] neg_hi:[0,1]
	s_delay_alu instid0(VALU_DEP_2) | instskip(SKIP_1) | instid1(VALU_DEP_1)
	v_pk_fma_f32 v[144:145], v[142:143], v[130:131], v[140:141] op_sel:[0,0,1] op_sel_hi:[1,1,0] neg_lo:[0,0,1] neg_hi:[0,0,1]
	v_pk_fma_f32 v[140:141], v[142:143], v[130:131], v[140:141] op_sel:[0,0,1] op_sel_hi:[1,0,0]
	v_mov_b32_e32 v145, v141
	ds_load_2addr_b64 v[140:143], v134 offset0:57 offset1:58
	v_pk_add_f32 v[44:45], v[44:45], v[144:145] neg_lo:[0,1] neg_hi:[0,1]
	s_wait_dscnt 0x0
	v_pk_mul_f32 v[144:145], v[140:141], v[132:133] op_sel:[0,1]
	s_delay_alu instid0(VALU_DEP_1) | instskip(SKIP_1) | instid1(VALU_DEP_1)
	v_pk_fma_f32 v[146:147], v[140:141], v[130:131], v[144:145] op_sel:[0,0,1] op_sel_hi:[1,1,0] neg_lo:[0,0,1] neg_hi:[0,0,1]
	v_pk_fma_f32 v[140:141], v[140:141], v[130:131], v[144:145] op_sel:[0,0,1] op_sel_hi:[1,0,0]
	v_mov_b32_e32 v147, v141
	v_pk_mul_f32 v[140:141], v[142:143], v[132:133] op_sel:[0,1]
	s_delay_alu instid0(VALU_DEP_2) | instskip(NEXT) | instid1(VALU_DEP_2)
	v_pk_add_f32 v[6:7], v[6:7], v[146:147] neg_lo:[0,1] neg_hi:[0,1]
	v_pk_fma_f32 v[144:145], v[142:143], v[130:131], v[140:141] op_sel:[0,0,1] op_sel_hi:[1,1,0] neg_lo:[0,0,1] neg_hi:[0,0,1]
	v_pk_fma_f32 v[140:141], v[142:143], v[130:131], v[140:141] op_sel:[0,0,1] op_sel_hi:[1,0,0]
	s_delay_alu instid0(VALU_DEP_1) | instskip(SKIP_4) | instid1(VALU_DEP_1)
	v_mov_b32_e32 v145, v141
	ds_load_2addr_b64 v[140:143], v134 offset0:59 offset1:60
	v_pk_add_f32 v[26:27], v[26:27], v[144:145] neg_lo:[0,1] neg_hi:[0,1]
	s_wait_dscnt 0x0
	v_pk_mul_f32 v[144:145], v[140:141], v[132:133] op_sel:[0,1]
	v_pk_fma_f32 v[146:147], v[140:141], v[130:131], v[144:145] op_sel:[0,0,1] op_sel_hi:[1,1,0] neg_lo:[0,0,1] neg_hi:[0,0,1]
	v_pk_fma_f32 v[140:141], v[140:141], v[130:131], v[144:145] op_sel:[0,0,1] op_sel_hi:[1,0,0]
	v_dual_mul_f32 v144, v143, v133 :: v_dual_mov_b32 v140, v143
	s_delay_alu instid0(VALU_DEP_2) | instskip(NEXT) | instid1(VALU_DEP_2)
	v_dual_mov_b32 v147, v141 :: v_dual_mov_b32 v141, v142
	v_pk_fma_f32 v[144:145], v[142:143], v[102:103], v[144:145] op_sel_hi:[1,1,0] neg_lo:[0,0,1] neg_hi:[0,0,1]
	v_mul_f32_e32 v142, v143, v130
	s_delay_alu instid0(VALU_DEP_3) | instskip(NEXT) | instid1(VALU_DEP_2)
	v_pk_add_f32 v[16:17], v[16:17], v[146:147] neg_lo:[0,1] neg_hi:[0,1]
	v_pk_fma_f32 v[140:141], v[140:141], v[102:103], v[142:143] op_sel_hi:[1,1,0]
	s_delay_alu instid0(VALU_DEP_1) | instskip(SKIP_4) | instid1(VALU_DEP_1)
	v_mov_b32_e32 v145, v141
	ds_load_b64 v[140:141], v134 offset:488
	v_pk_add_f32 v[14:15], v[14:15], v[144:145] neg_lo:[0,1] neg_hi:[0,1]
	s_wait_dscnt 0x0
	v_pk_mul_f32 v[132:133], v[140:141], v[132:133] op_sel:[0,1]
	v_pk_fma_f32 v[142:143], v[140:141], v[130:131], v[132:133] op_sel:[0,0,1] op_sel_hi:[1,1,0] neg_lo:[0,0,1] neg_hi:[0,0,1]
	v_pk_fma_f32 v[130:131], v[140:141], v[130:131], v[132:133] op_sel:[0,0,1] op_sel_hi:[1,0,0]
	s_delay_alu instid0(VALU_DEP_1) | instskip(NEXT) | instid1(VALU_DEP_1)
	v_mov_b32_e32 v143, v131
	v_pk_add_f32 v[128:129], v[128:129], v[142:143] neg_lo:[0,1] neg_hi:[0,1]
.LBB122_776:
	s_or_b32 exec_lo, exec_lo, s0
	v_lshl_add_u32 v130, v138, 3, v134
	s_barrier_signal -1
	s_barrier_wait -1
	ds_store_b64 v130, v[40:41]
	s_wait_dscnt 0x0
	s_barrier_signal -1
	s_barrier_wait -1
	ds_load_b64 v[132:133], v134 offset:296
	v_mov_b32_e32 v130, 37
	s_cmp_lt_i32 s18, 39
	s_cbranch_scc1 .LBB122_779
; %bb.777:
	v_add3_u32 v131, v135, 0, 0x130
	v_mov_b32_e32 v130, 37
	s_mov_b32 s0, 38
.LBB122_778:                            ; =>This Inner Loop Header: Depth=1
	ds_load_b64 v[140:141], v131
	s_wait_dscnt 0x1
	v_cmp_gt_f32_e32 vcc_lo, 0, v132
	v_cndmask_b32_e64 v142, v132, -v132, vcc_lo
	v_cmp_gt_f32_e32 vcc_lo, 0, v133
	v_cndmask_b32_e64 v144, v133, -v133, vcc_lo
	s_wait_dscnt 0x0
	v_cmp_gt_f32_e32 vcc_lo, 0, v140
	v_cndmask_b32_e64 v143, v140, -v140, vcc_lo
	v_cmp_gt_f32_e32 vcc_lo, 0, v141
	v_cndmask_b32_e64 v145, v141, -v141, vcc_lo
	s_delay_alu instid0(VALU_DEP_1) | instskip(NEXT) | instid1(VALU_DEP_1)
	v_pk_add_f32 v[142:143], v[142:143], v[144:145]
	v_cmp_lt_f32_e32 vcc_lo, v142, v143
	v_dual_add_nc_u32 v131, 8, v131 :: v_dual_cndmask_b32 v133, v133, v141, vcc_lo
	v_cndmask_b32_e32 v132, v132, v140, vcc_lo
	v_cndmask_b32_e64 v130, v130, s0, vcc_lo
	s_add_co_i32 s0, s0, 1
	s_delay_alu instid0(SALU_CYCLE_1)
	s_cmp_lg_u32 s18, s0
	s_cbranch_scc1 .LBB122_778
.LBB122_779:
	s_wait_dscnt 0x0
	v_cmp_eq_f32_e32 vcc_lo, 0, v132
	v_cmp_eq_f32_e64 s0, 0, v133
	s_and_b32 s0, vcc_lo, s0
	s_delay_alu instid0(SALU_CYCLE_1) | instskip(NEXT) | instid1(SALU_CYCLE_1)
	s_and_saveexec_b32 s1, s0
	s_xor_b32 s0, exec_lo, s1
; %bb.780:
	v_cmp_ne_u32_e32 vcc_lo, 0, v136
	v_cndmask_b32_e32 v136, 38, v136, vcc_lo
; %bb.781:
	s_and_not1_saveexec_b32 s0, s0
	s_cbranch_execz .LBB122_787
; %bb.782:
	v_cmp_ngt_f32_e64 s1, |v132|, |v133|
	s_and_saveexec_b32 s12, s1
	s_delay_alu instid0(SALU_CYCLE_1)
	s_xor_b32 s1, exec_lo, s12
	s_cbranch_execz .LBB122_784
; %bb.783:
	v_div_scale_f32 v131, null, v133, v133, v132
	v_div_scale_f32 v141, vcc_lo, v132, v133, v132
	s_delay_alu instid0(VALU_DEP_2) | instskip(SKIP_1) | instid1(TRANS32_DEP_1)
	v_rcp_f32_e32 v139, v131
	v_nop
	v_fma_f32 v140, -v131, v139, 1.0
	s_delay_alu instid0(VALU_DEP_1) | instskip(NEXT) | instid1(VALU_DEP_1)
	v_fmac_f32_e32 v139, v140, v139
	v_mul_f32_e32 v140, v141, v139
	s_delay_alu instid0(VALU_DEP_1) | instskip(NEXT) | instid1(VALU_DEP_1)
	v_fma_f32 v142, -v131, v140, v141
	v_fmac_f32_e32 v140, v142, v139
	s_delay_alu instid0(VALU_DEP_1) | instskip(NEXT) | instid1(VALU_DEP_1)
	v_fma_f32 v131, -v131, v140, v141
	v_div_fmas_f32 v131, v131, v139, v140
	s_delay_alu instid0(VALU_DEP_1) | instskip(NEXT) | instid1(VALU_DEP_1)
	v_div_fixup_f32 v131, v131, v133, v132
	v_fmac_f32_e32 v133, v132, v131
	s_delay_alu instid0(VALU_DEP_1) | instskip(SKIP_1) | instid1(VALU_DEP_2)
	v_div_scale_f32 v132, null, v133, v133, 1.0
	v_div_scale_f32 v141, vcc_lo, 1.0, v133, 1.0
	v_rcp_f32_e32 v139, v132
	v_nop
	s_delay_alu instid0(TRANS32_DEP_1) | instskip(NEXT) | instid1(VALU_DEP_1)
	v_fma_f32 v140, -v132, v139, 1.0
	v_fmac_f32_e32 v139, v140, v139
	s_delay_alu instid0(VALU_DEP_1) | instskip(NEXT) | instid1(VALU_DEP_1)
	v_mul_f32_e32 v140, v141, v139
	v_fma_f32 v142, -v132, v140, v141
	s_delay_alu instid0(VALU_DEP_1) | instskip(NEXT) | instid1(VALU_DEP_1)
	v_fmac_f32_e32 v140, v142, v139
	v_fma_f32 v132, -v132, v140, v141
	s_delay_alu instid0(VALU_DEP_1) | instskip(NEXT) | instid1(VALU_DEP_1)
	v_div_fmas_f32 v132, v132, v139, v140
	v_div_fixup_f32 v133, v132, v133, 1.0
	s_delay_alu instid0(VALU_DEP_1)
	v_mul_f32_e32 v132, v131, v133
	v_xor_b32_e32 v133, 0x80000000, v133
.LBB122_784:
	s_and_not1_saveexec_b32 s1, s1
	s_cbranch_execz .LBB122_786
; %bb.785:
	s_delay_alu instid0(VALU_DEP_1) | instskip(SKIP_1) | instid1(VALU_DEP_2)
	v_div_scale_f32 v131, null, v132, v132, v133
	v_div_scale_f32 v141, vcc_lo, v133, v132, v133
	v_rcp_f32_e32 v139, v131
	v_nop
	s_delay_alu instid0(TRANS32_DEP_1) | instskip(NEXT) | instid1(VALU_DEP_1)
	v_fma_f32 v140, -v131, v139, 1.0
	v_fmac_f32_e32 v139, v140, v139
	s_delay_alu instid0(VALU_DEP_1) | instskip(NEXT) | instid1(VALU_DEP_1)
	v_mul_f32_e32 v140, v141, v139
	v_fma_f32 v142, -v131, v140, v141
	s_delay_alu instid0(VALU_DEP_1) | instskip(NEXT) | instid1(VALU_DEP_1)
	v_fmac_f32_e32 v140, v142, v139
	v_fma_f32 v131, -v131, v140, v141
	s_delay_alu instid0(VALU_DEP_1) | instskip(NEXT) | instid1(VALU_DEP_1)
	v_div_fmas_f32 v131, v131, v139, v140
	v_div_fixup_f32 v131, v131, v132, v133
	s_delay_alu instid0(VALU_DEP_1) | instskip(NEXT) | instid1(VALU_DEP_1)
	v_fmac_f32_e32 v132, v133, v131
	v_div_scale_f32 v133, null, v132, v132, 1.0
	s_delay_alu instid0(VALU_DEP_1) | instskip(SKIP_1) | instid1(TRANS32_DEP_1)
	v_rcp_f32_e32 v139, v133
	v_nop
	v_fma_f32 v140, -v133, v139, 1.0
	s_delay_alu instid0(VALU_DEP_1) | instskip(SKIP_1) | instid1(VALU_DEP_1)
	v_fmac_f32_e32 v139, v140, v139
	v_div_scale_f32 v140, vcc_lo, 1.0, v132, 1.0
	v_mul_f32_e32 v141, v140, v139
	s_delay_alu instid0(VALU_DEP_1) | instskip(NEXT) | instid1(VALU_DEP_1)
	v_fma_f32 v142, -v133, v141, v140
	v_fmac_f32_e32 v141, v142, v139
	s_delay_alu instid0(VALU_DEP_1) | instskip(NEXT) | instid1(VALU_DEP_1)
	v_fma_f32 v133, -v133, v141, v140
	v_div_fmas_f32 v133, v133, v139, v141
	s_delay_alu instid0(VALU_DEP_1) | instskip(NEXT) | instid1(VALU_DEP_1)
	v_div_fixup_f32 v132, v133, v132, 1.0
	v_mul_f32_e64 v133, v131, -v132
.LBB122_786:
	s_or_b32 exec_lo, exec_lo, s1
.LBB122_787:
	s_delay_alu instid0(SALU_CYCLE_1) | instskip(NEXT) | instid1(SALU_CYCLE_1)
	s_or_b32 exec_lo, exec_lo, s0
	s_mov_b32 s0, exec_lo
	v_cmpx_ne_u32_e64 v138, v130
	s_xor_b32 s0, exec_lo, s0
	s_cbranch_execz .LBB122_793
; %bb.788:
	s_mov_b32 s1, exec_lo
	v_cmpx_eq_u32_e32 37, v138
	s_cbranch_execz .LBB122_792
; %bb.789:
	v_cmp_ne_u32_e32 vcc_lo, 37, v130
	s_xor_b32 s12, s16, -1
	s_delay_alu instid0(SALU_CYCLE_1) | instskip(NEXT) | instid1(SALU_CYCLE_1)
	s_and_b32 s13, s12, vcc_lo
	s_and_saveexec_b32 s12, s13
	s_cbranch_execz .LBB122_791
; %bb.790:
	v_ashrrev_i32_e32 v131, 31, v130
	s_delay_alu instid0(VALU_DEP_1)
	v_lshl_add_u64 v[138:139], v[130:131], 2, v[4:5]
	s_clause 0x1
	global_load_b32 v131, v[138:139], off
	global_load_b32 v137, v[4:5], off offset:148
	s_wait_loadcnt 0x1
	global_store_b32 v[4:5], v131, off offset:148
	s_wait_loadcnt 0x0
	global_store_b32 v[138:139], v137, off
.LBB122_791:
	s_wait_xcnt 0x0
	s_or_b32 exec_lo, exec_lo, s12
	v_dual_mov_b32 v138, v130 :: v_dual_mov_b32 v137, v130
.LBB122_792:
	s_or_b32 exec_lo, exec_lo, s1
.LBB122_793:
	s_and_not1_saveexec_b32 s0, s0
	s_cbranch_execz .LBB122_795
; %bb.794:
	v_dual_mov_b32 v130, v42 :: v_dual_mov_b32 v131, v43
	v_dual_mov_b32 v138, v38 :: v_dual_mov_b32 v139, v39
	v_dual_mov_b32 v140, v100 :: v_dual_mov_b32 v141, v101
	v_dual_mov_b32 v142, v32 :: v_dual_mov_b32 v143, v33
	ds_store_2addr_b64 v134, v[130:131], v[138:139] offset0:38 offset1:39
	ds_store_2addr_b64 v134, v[140:141], v[142:143] offset0:40 offset1:41
	v_dual_mov_b32 v130, v34 :: v_dual_mov_b32 v131, v35
	v_dual_mov_b32 v138, v30 :: v_dual_mov_b32 v139, v31
	;; [unrolled: 1-line block ×12, first 2 shown]
	ds_store_2addr_b64 v134, v[130:131], v[138:139] offset0:42 offset1:43
	ds_store_2addr_b64 v134, v[140:141], v[142:143] offset0:44 offset1:45
	;; [unrolled: 1-line block ×6, first 2 shown]
	v_dual_mov_b32 v130, v12 :: v_dual_mov_b32 v131, v13
	v_dual_mov_b32 v140, v8 :: v_dual_mov_b32 v141, v9
	;; [unrolled: 1-line block ×7, first 2 shown]
	v_mov_b32_e32 v151, v15
	ds_store_2addr_b64 v134, v[130:131], v[140:141] offset0:54 offset1:55
	ds_store_2addr_b64 v134, v[142:143], v[144:145] offset0:56 offset1:57
	;; [unrolled: 1-line block ×4, first 2 shown]
.LBB122_795:
	s_or_b32 exec_lo, exec_lo, s0
	s_delay_alu instid0(SALU_CYCLE_1)
	s_mov_b32 s0, exec_lo
	s_wait_storecnt_dscnt 0x0
	s_barrier_signal -1
	s_barrier_wait -1
	v_cmpx_lt_i32_e32 37, v138
	s_cbranch_execz .LBB122_797
; %bb.796:
	v_pk_mul_f32 v[140:141], v[132:133], v[40:41] op_sel:[1,1] op_sel_hi:[0,1]
	s_delay_alu instid0(VALU_DEP_1)
	v_pk_fma_f32 v[130:131], v[132:133], v[40:41], v[140:141] op_sel_hi:[1,0,1] neg_lo:[0,0,1] neg_hi:[0,0,1]
	v_pk_fma_f32 v[132:133], v[132:133], v[40:41], v[140:141] op_sel_hi:[1,0,1]
	ds_load_2addr_b64 v[140:143], v134 offset0:38 offset1:39
	v_dual_mov_b32 v40, v130 :: v_dual_mov_b32 v41, v133
	s_wait_dscnt 0x0
	v_pk_mul_f32 v[144:145], v[140:141], v[132:133] op_sel:[0,1]
	s_delay_alu instid0(VALU_DEP_1) | instskip(SKIP_1) | instid1(VALU_DEP_1)
	v_pk_fma_f32 v[146:147], v[140:141], v[130:131], v[144:145] op_sel:[0,0,1] op_sel_hi:[1,1,0] neg_lo:[0,0,1] neg_hi:[0,0,1]
	v_pk_fma_f32 v[140:141], v[140:141], v[130:131], v[144:145] op_sel:[0,0,1] op_sel_hi:[1,0,0]
	v_mov_b32_e32 v147, v141
	v_pk_mul_f32 v[140:141], v[142:143], v[132:133] op_sel:[0,1]
	s_delay_alu instid0(VALU_DEP_1) | instskip(SKIP_1) | instid1(VALU_DEP_1)
	v_pk_fma_f32 v[144:145], v[142:143], v[130:131], v[140:141] op_sel:[0,0,1] op_sel_hi:[1,1,0] neg_lo:[0,0,1] neg_hi:[0,0,1]
	v_pk_fma_f32 v[140:141], v[142:143], v[130:131], v[140:141] op_sel:[0,0,1] op_sel_hi:[1,0,0]
	v_mov_b32_e32 v145, v141
	ds_load_2addr_b64 v[140:143], v134 offset0:40 offset1:41
	v_pk_add_f32 v[42:43], v[42:43], v[146:147] neg_lo:[0,1] neg_hi:[0,1]
	v_pk_add_f32 v[38:39], v[38:39], v[144:145] neg_lo:[0,1] neg_hi:[0,1]
	s_wait_dscnt 0x0
	v_pk_mul_f32 v[144:145], v[140:141], v[132:133] op_sel:[0,1]
	s_delay_alu instid0(VALU_DEP_1) | instskip(SKIP_2) | instid1(VALU_DEP_2)
	v_pk_fma_f32 v[146:147], v[140:141], v[130:131], v[144:145] op_sel:[0,0,1] op_sel_hi:[1,1,0] neg_lo:[0,0,1] neg_hi:[0,0,1]
	v_pk_fma_f32 v[140:141], v[140:141], v[130:131], v[144:145] op_sel:[0,0,1] op_sel_hi:[1,0,0]
	v_dual_mul_f32 v144, v143, v133 :: v_dual_mov_b32 v140, v143
	v_dual_mov_b32 v147, v141 :: v_dual_mov_b32 v141, v142
	s_delay_alu instid0(VALU_DEP_2) | instskip(SKIP_1) | instid1(VALU_DEP_3)
	v_pk_fma_f32 v[144:145], v[142:143], v[40:41], v[144:145] op_sel_hi:[1,1,0] neg_lo:[0,0,1] neg_hi:[0,0,1]
	v_mul_f32_e32 v142, v143, v130
	v_pk_add_f32 v[100:101], v[100:101], v[146:147] neg_lo:[0,1] neg_hi:[0,1]
	s_delay_alu instid0(VALU_DEP_2) | instskip(NEXT) | instid1(VALU_DEP_1)
	v_pk_fma_f32 v[140:141], v[140:141], v[40:41], v[142:143] op_sel_hi:[1,1,0]
	v_mov_b32_e32 v145, v141
	ds_load_2addr_b64 v[140:143], v134 offset0:42 offset1:43
	v_pk_add_f32 v[32:33], v[32:33], v[144:145] neg_lo:[0,1] neg_hi:[0,1]
	s_wait_dscnt 0x0
	v_pk_mul_f32 v[144:145], v[140:141], v[132:133] op_sel:[0,1]
	s_delay_alu instid0(VALU_DEP_1) | instskip(SKIP_1) | instid1(VALU_DEP_1)
	v_pk_fma_f32 v[146:147], v[140:141], v[130:131], v[144:145] op_sel:[0,0,1] op_sel_hi:[1,1,0] neg_lo:[0,0,1] neg_hi:[0,0,1]
	v_pk_fma_f32 v[140:141], v[140:141], v[130:131], v[144:145] op_sel:[0,0,1] op_sel_hi:[1,0,0]
	v_mov_b32_e32 v147, v141
	v_pk_mul_f32 v[140:141], v[142:143], v[132:133] op_sel:[0,1]
	s_delay_alu instid0(VALU_DEP_1) | instskip(SKIP_1) | instid1(VALU_DEP_1)
	v_pk_fma_f32 v[144:145], v[142:143], v[130:131], v[140:141] op_sel:[0,0,1] op_sel_hi:[1,1,0] neg_lo:[0,0,1] neg_hi:[0,0,1]
	v_pk_fma_f32 v[140:141], v[142:143], v[130:131], v[140:141] op_sel:[0,0,1] op_sel_hi:[1,0,0]
	v_mov_b32_e32 v145, v141
	ds_load_2addr_b64 v[140:143], v134 offset0:44 offset1:45
	v_pk_add_f32 v[34:35], v[34:35], v[146:147] neg_lo:[0,1] neg_hi:[0,1]
	v_pk_add_f32 v[30:31], v[30:31], v[144:145] neg_lo:[0,1] neg_hi:[0,1]
	s_wait_dscnt 0x0
	v_pk_mul_f32 v[144:145], v[140:141], v[132:133] op_sel:[0,1]
	s_delay_alu instid0(VALU_DEP_1) | instskip(SKIP_1) | instid1(VALU_DEP_1)
	v_pk_fma_f32 v[146:147], v[140:141], v[130:131], v[144:145] op_sel:[0,0,1] op_sel_hi:[1,1,0] neg_lo:[0,0,1] neg_hi:[0,0,1]
	v_pk_fma_f32 v[140:141], v[140:141], v[130:131], v[144:145] op_sel:[0,0,1] op_sel_hi:[1,0,0]
	v_mov_b32_e32 v147, v141
	v_pk_mul_f32 v[140:141], v[142:143], v[132:133] op_sel:[0,1]
	s_delay_alu instid0(VALU_DEP_1) | instskip(SKIP_1) | instid1(VALU_DEP_1)
	v_pk_fma_f32 v[144:145], v[142:143], v[130:131], v[140:141] op_sel:[0,0,1] op_sel_hi:[1,1,0] neg_lo:[0,0,1] neg_hi:[0,0,1]
	v_pk_fma_f32 v[140:141], v[142:143], v[130:131], v[140:141] op_sel:[0,0,1] op_sel_hi:[1,0,0]
	v_mov_b32_e32 v145, v141
	ds_load_2addr_b64 v[140:143], v134 offset0:46 offset1:47
	v_pk_add_f32 v[98:99], v[98:99], v[146:147] neg_lo:[0,1] neg_hi:[0,1]
	v_pk_add_f32 v[24:25], v[24:25], v[144:145] neg_lo:[0,1] neg_hi:[0,1]
	s_wait_dscnt 0x0
	v_dual_mul_f32 v144, v141, v133 :: v_dual_mul_f32 v146, v141, v130
	s_delay_alu instid0(VALU_DEP_1) | instskip(NEXT) | instid1(VALU_DEP_2)
	v_pk_fma_f32 v[144:145], v[140:141], v[40:41], v[144:145] op_sel_hi:[1,1,0] neg_lo:[0,0,1] neg_hi:[0,0,1]
	v_pk_fma_f32 v[140:141], v[140:141], v[40:41], v[146:147] op_sel:[1,0,0] op_sel_hi:[0,1,0]
	s_delay_alu instid0(VALU_DEP_1) | instskip(SKIP_1) | instid1(VALU_DEP_2)
	v_mov_b32_e32 v145, v141
	v_pk_mul_f32 v[140:141], v[142:143], v[132:133] op_sel:[0,1]
	v_pk_add_f32 v[28:29], v[28:29], v[144:145] neg_lo:[0,1] neg_hi:[0,1]
	s_delay_alu instid0(VALU_DEP_2) | instskip(SKIP_1) | instid1(VALU_DEP_1)
	v_pk_fma_f32 v[144:145], v[142:143], v[130:131], v[140:141] op_sel:[0,0,1] op_sel_hi:[1,1,0] neg_lo:[0,0,1] neg_hi:[0,0,1]
	v_pk_fma_f32 v[140:141], v[142:143], v[130:131], v[140:141] op_sel:[0,0,1] op_sel_hi:[1,0,0]
	v_mov_b32_e32 v145, v141
	ds_load_2addr_b64 v[140:143], v134 offset0:48 offset1:49
	v_pk_add_f32 v[22:23], v[22:23], v[144:145] neg_lo:[0,1] neg_hi:[0,1]
	s_wait_dscnt 0x0
	v_pk_mul_f32 v[144:145], v[140:141], v[132:133] op_sel:[0,1]
	s_delay_alu instid0(VALU_DEP_1) | instskip(SKIP_1) | instid1(VALU_DEP_1)
	v_pk_fma_f32 v[146:147], v[140:141], v[130:131], v[144:145] op_sel:[0,0,1] op_sel_hi:[1,1,0] neg_lo:[0,0,1] neg_hi:[0,0,1]
	v_pk_fma_f32 v[140:141], v[140:141], v[130:131], v[144:145] op_sel:[0,0,1] op_sel_hi:[1,0,0]
	v_mov_b32_e32 v147, v141
	v_pk_mul_f32 v[140:141], v[142:143], v[132:133] op_sel:[0,1]
	s_delay_alu instid0(VALU_DEP_2) | instskip(NEXT) | instid1(VALU_DEP_2)
	v_pk_add_f32 v[96:97], v[96:97], v[146:147] neg_lo:[0,1] neg_hi:[0,1]
	v_pk_fma_f32 v[144:145], v[142:143], v[130:131], v[140:141] op_sel:[0,0,1] op_sel_hi:[1,1,0] neg_lo:[0,0,1] neg_hi:[0,0,1]
	v_pk_fma_f32 v[140:141], v[142:143], v[130:131], v[140:141] op_sel:[0,0,1] op_sel_hi:[1,0,0]
	s_delay_alu instid0(VALU_DEP_1) | instskip(SKIP_4) | instid1(VALU_DEP_1)
	v_mov_b32_e32 v145, v141
	ds_load_2addr_b64 v[140:143], v134 offset0:50 offset1:51
	v_pk_add_f32 v[18:19], v[18:19], v[144:145] neg_lo:[0,1] neg_hi:[0,1]
	s_wait_dscnt 0x0
	v_pk_mul_f32 v[144:145], v[140:141], v[132:133] op_sel:[0,1]
	v_pk_fma_f32 v[146:147], v[140:141], v[130:131], v[144:145] op_sel:[0,0,1] op_sel_hi:[1,1,0] neg_lo:[0,0,1] neg_hi:[0,0,1]
	v_pk_fma_f32 v[140:141], v[140:141], v[130:131], v[144:145] op_sel:[0,0,1] op_sel_hi:[1,0,0]
	v_dual_mul_f32 v144, v143, v133 :: v_dual_mov_b32 v140, v143
	s_delay_alu instid0(VALU_DEP_2) | instskip(NEXT) | instid1(VALU_DEP_2)
	v_dual_mov_b32 v147, v141 :: v_dual_mov_b32 v141, v142
	v_pk_fma_f32 v[144:145], v[142:143], v[40:41], v[144:145] op_sel_hi:[1,1,0] neg_lo:[0,0,1] neg_hi:[0,0,1]
	v_mul_f32_e32 v142, v143, v130
	s_delay_alu instid0(VALU_DEP_3) | instskip(NEXT) | instid1(VALU_DEP_2)
	v_pk_add_f32 v[20:21], v[20:21], v[146:147] neg_lo:[0,1] neg_hi:[0,1]
	v_pk_fma_f32 v[140:141], v[140:141], v[40:41], v[142:143] op_sel_hi:[1,1,0]
	s_delay_alu instid0(VALU_DEP_1) | instskip(SKIP_4) | instid1(VALU_DEP_1)
	v_mov_b32_e32 v145, v141
	ds_load_2addr_b64 v[140:143], v134 offset0:52 offset1:53
	v_pk_add_f32 v[36:37], v[36:37], v[144:145] neg_lo:[0,1] neg_hi:[0,1]
	s_wait_dscnt 0x0
	v_pk_mul_f32 v[144:145], v[140:141], v[132:133] op_sel:[0,1]
	v_pk_fma_f32 v[146:147], v[140:141], v[130:131], v[144:145] op_sel:[0,0,1] op_sel_hi:[1,1,0] neg_lo:[0,0,1] neg_hi:[0,0,1]
	v_pk_fma_f32 v[140:141], v[140:141], v[130:131], v[144:145] op_sel:[0,0,1] op_sel_hi:[1,0,0]
	s_delay_alu instid0(VALU_DEP_1) | instskip(SKIP_1) | instid1(VALU_DEP_1)
	v_mov_b32_e32 v147, v141
	v_pk_mul_f32 v[140:141], v[142:143], v[132:133] op_sel:[0,1]
	v_pk_fma_f32 v[144:145], v[142:143], v[130:131], v[140:141] op_sel:[0,0,1] op_sel_hi:[1,1,0] neg_lo:[0,0,1] neg_hi:[0,0,1]
	v_pk_fma_f32 v[140:141], v[142:143], v[130:131], v[140:141] op_sel:[0,0,1] op_sel_hi:[1,0,0]
	s_delay_alu instid0(VALU_DEP_1)
	v_mov_b32_e32 v145, v141
	ds_load_2addr_b64 v[140:143], v134 offset0:54 offset1:55
	v_pk_add_f32 v[86:87], v[86:87], v[146:147] neg_lo:[0,1] neg_hi:[0,1]
	v_pk_add_f32 v[10:11], v[10:11], v[144:145] neg_lo:[0,1] neg_hi:[0,1]
	s_wait_dscnt 0x0
	v_pk_mul_f32 v[144:145], v[140:141], v[132:133] op_sel:[0,1]
	s_delay_alu instid0(VALU_DEP_1) | instskip(SKIP_1) | instid1(VALU_DEP_1)
	v_pk_fma_f32 v[146:147], v[140:141], v[130:131], v[144:145] op_sel:[0,0,1] op_sel_hi:[1,1,0] neg_lo:[0,0,1] neg_hi:[0,0,1]
	v_pk_fma_f32 v[140:141], v[140:141], v[130:131], v[144:145] op_sel:[0,0,1] op_sel_hi:[1,0,0]
	v_mov_b32_e32 v147, v141
	v_pk_mul_f32 v[140:141], v[142:143], v[132:133] op_sel:[0,1]
	s_delay_alu instid0(VALU_DEP_1) | instskip(SKIP_1) | instid1(VALU_DEP_1)
	v_pk_fma_f32 v[144:145], v[142:143], v[130:131], v[140:141] op_sel:[0,0,1] op_sel_hi:[1,1,0] neg_lo:[0,0,1] neg_hi:[0,0,1]
	v_pk_fma_f32 v[140:141], v[142:143], v[130:131], v[140:141] op_sel:[0,0,1] op_sel_hi:[1,0,0]
	v_mov_b32_e32 v145, v141
	ds_load_2addr_b64 v[140:143], v134 offset0:56 offset1:57
	v_pk_add_f32 v[12:13], v[12:13], v[146:147] neg_lo:[0,1] neg_hi:[0,1]
	v_pk_add_f32 v[8:9], v[8:9], v[144:145] neg_lo:[0,1] neg_hi:[0,1]
	s_wait_dscnt 0x0
	v_dual_mul_f32 v144, v141, v133 :: v_dual_mul_f32 v146, v141, v130
	s_delay_alu instid0(VALU_DEP_1) | instskip(NEXT) | instid1(VALU_DEP_2)
	v_pk_fma_f32 v[144:145], v[140:141], v[40:41], v[144:145] op_sel_hi:[1,1,0] neg_lo:[0,0,1] neg_hi:[0,0,1]
	v_pk_fma_f32 v[140:141], v[140:141], v[40:41], v[146:147] op_sel:[1,0,0] op_sel_hi:[0,1,0]
	s_delay_alu instid0(VALU_DEP_1) | instskip(SKIP_1) | instid1(VALU_DEP_2)
	v_mov_b32_e32 v145, v141
	v_pk_mul_f32 v[140:141], v[142:143], v[132:133] op_sel:[0,1]
	v_pk_add_f32 v[44:45], v[44:45], v[144:145] neg_lo:[0,1] neg_hi:[0,1]
	s_delay_alu instid0(VALU_DEP_2) | instskip(SKIP_1) | instid1(VALU_DEP_1)
	v_pk_fma_f32 v[144:145], v[142:143], v[130:131], v[140:141] op_sel:[0,0,1] op_sel_hi:[1,1,0] neg_lo:[0,0,1] neg_hi:[0,0,1]
	v_pk_fma_f32 v[140:141], v[142:143], v[130:131], v[140:141] op_sel:[0,0,1] op_sel_hi:[1,0,0]
	v_mov_b32_e32 v145, v141
	ds_load_2addr_b64 v[140:143], v134 offset0:58 offset1:59
	v_pk_add_f32 v[6:7], v[6:7], v[144:145] neg_lo:[0,1] neg_hi:[0,1]
	s_wait_dscnt 0x0
	v_pk_mul_f32 v[144:145], v[140:141], v[132:133] op_sel:[0,1]
	s_delay_alu instid0(VALU_DEP_1) | instskip(SKIP_1) | instid1(VALU_DEP_1)
	v_pk_fma_f32 v[146:147], v[140:141], v[130:131], v[144:145] op_sel:[0,0,1] op_sel_hi:[1,1,0] neg_lo:[0,0,1] neg_hi:[0,0,1]
	v_pk_fma_f32 v[140:141], v[140:141], v[130:131], v[144:145] op_sel:[0,0,1] op_sel_hi:[1,0,0]
	v_mov_b32_e32 v147, v141
	v_pk_mul_f32 v[140:141], v[142:143], v[132:133] op_sel:[0,1]
	s_delay_alu instid0(VALU_DEP_2) | instskip(NEXT) | instid1(VALU_DEP_2)
	v_pk_add_f32 v[26:27], v[26:27], v[146:147] neg_lo:[0,1] neg_hi:[0,1]
	v_pk_fma_f32 v[144:145], v[142:143], v[130:131], v[140:141] op_sel:[0,0,1] op_sel_hi:[1,1,0] neg_lo:[0,0,1] neg_hi:[0,0,1]
	v_pk_fma_f32 v[140:141], v[142:143], v[130:131], v[140:141] op_sel:[0,0,1] op_sel_hi:[1,0,0]
	s_delay_alu instid0(VALU_DEP_1)
	v_mov_b32_e32 v145, v141
	ds_load_2addr_b64 v[140:143], v134 offset0:60 offset1:61
	v_pk_add_f32 v[16:17], v[16:17], v[144:145] neg_lo:[0,1] neg_hi:[0,1]
	s_wait_dscnt 0x0
	v_pk_mul_f32 v[144:145], v[140:141], v[132:133] op_sel:[0,1]
	v_mul_f32_e32 v132, v143, v133
	s_delay_alu instid0(VALU_DEP_2) | instskip(SKIP_2) | instid1(VALU_DEP_4)
	v_pk_fma_f32 v[146:147], v[140:141], v[130:131], v[144:145] op_sel:[0,0,1] op_sel_hi:[1,1,0] neg_lo:[0,0,1] neg_hi:[0,0,1]
	v_pk_fma_f32 v[140:141], v[140:141], v[130:131], v[144:145] op_sel:[0,0,1] op_sel_hi:[1,0,0]
	v_dual_mov_b32 v140, v143 :: v_dual_mul_f32 v130, v143, v130
	v_pk_fma_f32 v[132:133], v[142:143], v[40:41], v[132:133] op_sel_hi:[1,1,0] neg_lo:[0,0,1] neg_hi:[0,0,1]
	s_delay_alu instid0(VALU_DEP_3) | instskip(NEXT) | instid1(VALU_DEP_1)
	v_dual_mov_b32 v147, v141 :: v_dual_mov_b32 v141, v142
	v_pk_add_f32 v[14:15], v[14:15], v[146:147] neg_lo:[0,1] neg_hi:[0,1]
	s_delay_alu instid0(VALU_DEP_2) | instskip(NEXT) | instid1(VALU_DEP_1)
	v_pk_fma_f32 v[130:131], v[140:141], v[40:41], v[130:131] op_sel_hi:[1,1,0]
	v_mov_b32_e32 v133, v131
	s_delay_alu instid0(VALU_DEP_1)
	v_pk_add_f32 v[128:129], v[128:129], v[132:133] neg_lo:[0,1] neg_hi:[0,1]
.LBB122_797:
	s_or_b32 exec_lo, exec_lo, s0
	v_lshl_add_u32 v130, v138, 3, v134
	s_barrier_signal -1
	s_barrier_wait -1
	ds_store_b64 v130, v[42:43]
	s_wait_dscnt 0x0
	s_barrier_signal -1
	s_barrier_wait -1
	ds_load_b64 v[132:133], v134 offset:304
	v_mov_b32_e32 v130, 38
	s_cmp_lt_i32 s18, 40
	s_cbranch_scc1 .LBB122_800
; %bb.798:
	v_add3_u32 v131, v135, 0, 0x138
	v_mov_b32_e32 v130, 38
	s_mov_b32 s0, 39
.LBB122_799:                            ; =>This Inner Loop Header: Depth=1
	ds_load_b64 v[140:141], v131
	s_wait_dscnt 0x1
	v_cmp_gt_f32_e32 vcc_lo, 0, v132
	v_cndmask_b32_e64 v142, v132, -v132, vcc_lo
	v_cmp_gt_f32_e32 vcc_lo, 0, v133
	v_cndmask_b32_e64 v144, v133, -v133, vcc_lo
	s_wait_dscnt 0x0
	v_cmp_gt_f32_e32 vcc_lo, 0, v140
	v_cndmask_b32_e64 v143, v140, -v140, vcc_lo
	v_cmp_gt_f32_e32 vcc_lo, 0, v141
	v_cndmask_b32_e64 v145, v141, -v141, vcc_lo
	s_delay_alu instid0(VALU_DEP_1) | instskip(NEXT) | instid1(VALU_DEP_1)
	v_pk_add_f32 v[142:143], v[142:143], v[144:145]
	v_cmp_lt_f32_e32 vcc_lo, v142, v143
	v_dual_add_nc_u32 v131, 8, v131 :: v_dual_cndmask_b32 v133, v133, v141, vcc_lo
	v_cndmask_b32_e32 v132, v132, v140, vcc_lo
	v_cndmask_b32_e64 v130, v130, s0, vcc_lo
	s_add_co_i32 s0, s0, 1
	s_delay_alu instid0(SALU_CYCLE_1)
	s_cmp_lg_u32 s18, s0
	s_cbranch_scc1 .LBB122_799
.LBB122_800:
	s_wait_dscnt 0x0
	v_cmp_eq_f32_e32 vcc_lo, 0, v132
	v_cmp_eq_f32_e64 s0, 0, v133
	s_and_b32 s0, vcc_lo, s0
	s_delay_alu instid0(SALU_CYCLE_1) | instskip(NEXT) | instid1(SALU_CYCLE_1)
	s_and_saveexec_b32 s1, s0
	s_xor_b32 s0, exec_lo, s1
; %bb.801:
	v_cmp_ne_u32_e32 vcc_lo, 0, v136
	v_cndmask_b32_e32 v136, 39, v136, vcc_lo
; %bb.802:
	s_and_not1_saveexec_b32 s0, s0
	s_cbranch_execz .LBB122_808
; %bb.803:
	v_cmp_ngt_f32_e64 s1, |v132|, |v133|
	s_and_saveexec_b32 s12, s1
	s_delay_alu instid0(SALU_CYCLE_1)
	s_xor_b32 s1, exec_lo, s12
	s_cbranch_execz .LBB122_805
; %bb.804:
	v_div_scale_f32 v131, null, v133, v133, v132
	v_div_scale_f32 v141, vcc_lo, v132, v133, v132
	s_delay_alu instid0(VALU_DEP_2) | instskip(SKIP_1) | instid1(TRANS32_DEP_1)
	v_rcp_f32_e32 v139, v131
	v_nop
	v_fma_f32 v140, -v131, v139, 1.0
	s_delay_alu instid0(VALU_DEP_1) | instskip(NEXT) | instid1(VALU_DEP_1)
	v_fmac_f32_e32 v139, v140, v139
	v_mul_f32_e32 v140, v141, v139
	s_delay_alu instid0(VALU_DEP_1) | instskip(NEXT) | instid1(VALU_DEP_1)
	v_fma_f32 v142, -v131, v140, v141
	v_fmac_f32_e32 v140, v142, v139
	s_delay_alu instid0(VALU_DEP_1) | instskip(NEXT) | instid1(VALU_DEP_1)
	v_fma_f32 v131, -v131, v140, v141
	v_div_fmas_f32 v131, v131, v139, v140
	s_delay_alu instid0(VALU_DEP_1) | instskip(NEXT) | instid1(VALU_DEP_1)
	v_div_fixup_f32 v131, v131, v133, v132
	v_fmac_f32_e32 v133, v132, v131
	s_delay_alu instid0(VALU_DEP_1) | instskip(SKIP_1) | instid1(VALU_DEP_2)
	v_div_scale_f32 v132, null, v133, v133, 1.0
	v_div_scale_f32 v141, vcc_lo, 1.0, v133, 1.0
	v_rcp_f32_e32 v139, v132
	v_nop
	s_delay_alu instid0(TRANS32_DEP_1) | instskip(NEXT) | instid1(VALU_DEP_1)
	v_fma_f32 v140, -v132, v139, 1.0
	v_fmac_f32_e32 v139, v140, v139
	s_delay_alu instid0(VALU_DEP_1) | instskip(NEXT) | instid1(VALU_DEP_1)
	v_mul_f32_e32 v140, v141, v139
	v_fma_f32 v142, -v132, v140, v141
	s_delay_alu instid0(VALU_DEP_1) | instskip(NEXT) | instid1(VALU_DEP_1)
	v_fmac_f32_e32 v140, v142, v139
	v_fma_f32 v132, -v132, v140, v141
	s_delay_alu instid0(VALU_DEP_1) | instskip(NEXT) | instid1(VALU_DEP_1)
	v_div_fmas_f32 v132, v132, v139, v140
	v_div_fixup_f32 v133, v132, v133, 1.0
	s_delay_alu instid0(VALU_DEP_1)
	v_mul_f32_e32 v132, v131, v133
	v_xor_b32_e32 v133, 0x80000000, v133
.LBB122_805:
	s_and_not1_saveexec_b32 s1, s1
	s_cbranch_execz .LBB122_807
; %bb.806:
	s_delay_alu instid0(VALU_DEP_1) | instskip(SKIP_1) | instid1(VALU_DEP_2)
	v_div_scale_f32 v131, null, v132, v132, v133
	v_div_scale_f32 v141, vcc_lo, v133, v132, v133
	v_rcp_f32_e32 v139, v131
	v_nop
	s_delay_alu instid0(TRANS32_DEP_1) | instskip(NEXT) | instid1(VALU_DEP_1)
	v_fma_f32 v140, -v131, v139, 1.0
	v_fmac_f32_e32 v139, v140, v139
	s_delay_alu instid0(VALU_DEP_1) | instskip(NEXT) | instid1(VALU_DEP_1)
	v_mul_f32_e32 v140, v141, v139
	v_fma_f32 v142, -v131, v140, v141
	s_delay_alu instid0(VALU_DEP_1) | instskip(NEXT) | instid1(VALU_DEP_1)
	v_fmac_f32_e32 v140, v142, v139
	v_fma_f32 v131, -v131, v140, v141
	s_delay_alu instid0(VALU_DEP_1) | instskip(NEXT) | instid1(VALU_DEP_1)
	v_div_fmas_f32 v131, v131, v139, v140
	v_div_fixup_f32 v131, v131, v132, v133
	s_delay_alu instid0(VALU_DEP_1) | instskip(NEXT) | instid1(VALU_DEP_1)
	v_fmac_f32_e32 v132, v133, v131
	v_div_scale_f32 v133, null, v132, v132, 1.0
	s_delay_alu instid0(VALU_DEP_1) | instskip(SKIP_1) | instid1(TRANS32_DEP_1)
	v_rcp_f32_e32 v139, v133
	v_nop
	v_fma_f32 v140, -v133, v139, 1.0
	s_delay_alu instid0(VALU_DEP_1) | instskip(SKIP_1) | instid1(VALU_DEP_1)
	v_fmac_f32_e32 v139, v140, v139
	v_div_scale_f32 v140, vcc_lo, 1.0, v132, 1.0
	v_mul_f32_e32 v141, v140, v139
	s_delay_alu instid0(VALU_DEP_1) | instskip(NEXT) | instid1(VALU_DEP_1)
	v_fma_f32 v142, -v133, v141, v140
	v_fmac_f32_e32 v141, v142, v139
	s_delay_alu instid0(VALU_DEP_1) | instskip(NEXT) | instid1(VALU_DEP_1)
	v_fma_f32 v133, -v133, v141, v140
	v_div_fmas_f32 v133, v133, v139, v141
	s_delay_alu instid0(VALU_DEP_1) | instskip(NEXT) | instid1(VALU_DEP_1)
	v_div_fixup_f32 v132, v133, v132, 1.0
	v_mul_f32_e64 v133, v131, -v132
.LBB122_807:
	s_or_b32 exec_lo, exec_lo, s1
.LBB122_808:
	s_delay_alu instid0(SALU_CYCLE_1) | instskip(NEXT) | instid1(SALU_CYCLE_1)
	s_or_b32 exec_lo, exec_lo, s0
	s_mov_b32 s0, exec_lo
	v_cmpx_ne_u32_e64 v138, v130
	s_xor_b32 s0, exec_lo, s0
	s_cbranch_execz .LBB122_814
; %bb.809:
	s_mov_b32 s1, exec_lo
	v_cmpx_eq_u32_e32 38, v138
	s_cbranch_execz .LBB122_813
; %bb.810:
	v_cmp_ne_u32_e32 vcc_lo, 38, v130
	s_xor_b32 s12, s16, -1
	s_delay_alu instid0(SALU_CYCLE_1) | instskip(NEXT) | instid1(SALU_CYCLE_1)
	s_and_b32 s13, s12, vcc_lo
	s_and_saveexec_b32 s12, s13
	s_cbranch_execz .LBB122_812
; %bb.811:
	v_ashrrev_i32_e32 v131, 31, v130
	s_delay_alu instid0(VALU_DEP_1)
	v_lshl_add_u64 v[138:139], v[130:131], 2, v[4:5]
	s_clause 0x1
	global_load_b32 v131, v[138:139], off
	global_load_b32 v137, v[4:5], off offset:152
	s_wait_loadcnt 0x1
	global_store_b32 v[4:5], v131, off offset:152
	s_wait_loadcnt 0x0
	global_store_b32 v[138:139], v137, off
.LBB122_812:
	s_wait_xcnt 0x0
	s_or_b32 exec_lo, exec_lo, s12
	v_dual_mov_b32 v138, v130 :: v_dual_mov_b32 v137, v130
.LBB122_813:
	s_or_b32 exec_lo, exec_lo, s1
.LBB122_814:
	s_and_not1_saveexec_b32 s0, s0
	s_cbranch_execz .LBB122_816
; %bb.815:
	v_mov_b32_e32 v138, 38
	ds_store_2addr_b64 v134, v[38:39], v[100:101] offset0:39 offset1:40
	ds_store_2addr_b64 v134, v[32:33], v[34:35] offset0:41 offset1:42
	;; [unrolled: 1-line block ×11, first 2 shown]
	ds_store_b64 v134, v[128:129] offset:488
.LBB122_816:
	s_or_b32 exec_lo, exec_lo, s0
	s_delay_alu instid0(SALU_CYCLE_1)
	s_mov_b32 s0, exec_lo
	s_wait_storecnt_dscnt 0x0
	s_barrier_signal -1
	s_barrier_wait -1
	v_cmpx_lt_i32_e32 38, v138
	s_cbranch_execz .LBB122_818
; %bb.817:
	v_pk_mul_f32 v[140:141], v[132:133], v[42:43] op_sel:[1,1] op_sel_hi:[0,1]
	s_delay_alu instid0(VALU_DEP_1)
	v_pk_fma_f32 v[130:131], v[132:133], v[42:43], v[140:141] op_sel_hi:[1,0,1] neg_lo:[0,0,1] neg_hi:[0,0,1]
	v_pk_fma_f32 v[132:133], v[132:133], v[42:43], v[140:141] op_sel_hi:[1,0,1]
	ds_load_2addr_b64 v[140:143], v134 offset0:39 offset1:40
	v_dual_mov_b32 v42, v130 :: v_dual_mov_b32 v43, v133
	s_wait_dscnt 0x0
	v_pk_mul_f32 v[144:145], v[140:141], v[132:133] op_sel:[0,1]
	s_delay_alu instid0(VALU_DEP_1) | instskip(SKIP_1) | instid1(VALU_DEP_1)
	v_pk_fma_f32 v[146:147], v[140:141], v[130:131], v[144:145] op_sel:[0,0,1] op_sel_hi:[1,1,0] neg_lo:[0,0,1] neg_hi:[0,0,1]
	v_pk_fma_f32 v[140:141], v[140:141], v[130:131], v[144:145] op_sel:[0,0,1] op_sel_hi:[1,0,0]
	v_mov_b32_e32 v147, v141
	v_pk_mul_f32 v[140:141], v[142:143], v[132:133] op_sel:[0,1]
	s_delay_alu instid0(VALU_DEP_1) | instskip(SKIP_1) | instid1(VALU_DEP_1)
	v_pk_fma_f32 v[144:145], v[142:143], v[130:131], v[140:141] op_sel:[0,0,1] op_sel_hi:[1,1,0] neg_lo:[0,0,1] neg_hi:[0,0,1]
	v_pk_fma_f32 v[140:141], v[142:143], v[130:131], v[140:141] op_sel:[0,0,1] op_sel_hi:[1,0,0]
	v_mov_b32_e32 v145, v141
	ds_load_2addr_b64 v[140:143], v134 offset0:41 offset1:42
	v_pk_add_f32 v[38:39], v[38:39], v[146:147] neg_lo:[0,1] neg_hi:[0,1]
	v_pk_add_f32 v[100:101], v[100:101], v[144:145] neg_lo:[0,1] neg_hi:[0,1]
	s_wait_dscnt 0x0
	v_pk_mul_f32 v[144:145], v[140:141], v[132:133] op_sel:[0,1]
	s_delay_alu instid0(VALU_DEP_1) | instskip(SKIP_2) | instid1(VALU_DEP_2)
	v_pk_fma_f32 v[146:147], v[140:141], v[130:131], v[144:145] op_sel:[0,0,1] op_sel_hi:[1,1,0] neg_lo:[0,0,1] neg_hi:[0,0,1]
	v_pk_fma_f32 v[140:141], v[140:141], v[130:131], v[144:145] op_sel:[0,0,1] op_sel_hi:[1,0,0]
	v_dual_mul_f32 v144, v143, v133 :: v_dual_mov_b32 v140, v143
	v_dual_mov_b32 v147, v141 :: v_dual_mov_b32 v141, v142
	s_delay_alu instid0(VALU_DEP_2) | instskip(SKIP_1) | instid1(VALU_DEP_3)
	v_pk_fma_f32 v[144:145], v[142:143], v[42:43], v[144:145] op_sel_hi:[1,1,0] neg_lo:[0,0,1] neg_hi:[0,0,1]
	v_mul_f32_e32 v142, v143, v130
	v_pk_add_f32 v[32:33], v[32:33], v[146:147] neg_lo:[0,1] neg_hi:[0,1]
	s_delay_alu instid0(VALU_DEP_2) | instskip(NEXT) | instid1(VALU_DEP_1)
	v_pk_fma_f32 v[140:141], v[140:141], v[42:43], v[142:143] op_sel_hi:[1,1,0]
	v_mov_b32_e32 v145, v141
	ds_load_2addr_b64 v[140:143], v134 offset0:43 offset1:44
	v_pk_add_f32 v[34:35], v[34:35], v[144:145] neg_lo:[0,1] neg_hi:[0,1]
	s_wait_dscnt 0x0
	v_pk_mul_f32 v[144:145], v[140:141], v[132:133] op_sel:[0,1]
	s_delay_alu instid0(VALU_DEP_1) | instskip(SKIP_1) | instid1(VALU_DEP_1)
	v_pk_fma_f32 v[146:147], v[140:141], v[130:131], v[144:145] op_sel:[0,0,1] op_sel_hi:[1,1,0] neg_lo:[0,0,1] neg_hi:[0,0,1]
	v_pk_fma_f32 v[140:141], v[140:141], v[130:131], v[144:145] op_sel:[0,0,1] op_sel_hi:[1,0,0]
	v_mov_b32_e32 v147, v141
	v_pk_mul_f32 v[140:141], v[142:143], v[132:133] op_sel:[0,1]
	s_delay_alu instid0(VALU_DEP_1) | instskip(SKIP_1) | instid1(VALU_DEP_1)
	v_pk_fma_f32 v[144:145], v[142:143], v[130:131], v[140:141] op_sel:[0,0,1] op_sel_hi:[1,1,0] neg_lo:[0,0,1] neg_hi:[0,0,1]
	v_pk_fma_f32 v[140:141], v[142:143], v[130:131], v[140:141] op_sel:[0,0,1] op_sel_hi:[1,0,0]
	v_mov_b32_e32 v145, v141
	ds_load_2addr_b64 v[140:143], v134 offset0:45 offset1:46
	v_pk_add_f32 v[30:31], v[30:31], v[146:147] neg_lo:[0,1] neg_hi:[0,1]
	v_pk_add_f32 v[98:99], v[98:99], v[144:145] neg_lo:[0,1] neg_hi:[0,1]
	s_wait_dscnt 0x0
	v_pk_mul_f32 v[144:145], v[140:141], v[132:133] op_sel:[0,1]
	s_delay_alu instid0(VALU_DEP_1) | instskip(SKIP_1) | instid1(VALU_DEP_1)
	v_pk_fma_f32 v[146:147], v[140:141], v[130:131], v[144:145] op_sel:[0,0,1] op_sel_hi:[1,1,0] neg_lo:[0,0,1] neg_hi:[0,0,1]
	v_pk_fma_f32 v[140:141], v[140:141], v[130:131], v[144:145] op_sel:[0,0,1] op_sel_hi:[1,0,0]
	v_mov_b32_e32 v147, v141
	v_pk_mul_f32 v[140:141], v[142:143], v[132:133] op_sel:[0,1]
	s_delay_alu instid0(VALU_DEP_1) | instskip(SKIP_1) | instid1(VALU_DEP_1)
	v_pk_fma_f32 v[144:145], v[142:143], v[130:131], v[140:141] op_sel:[0,0,1] op_sel_hi:[1,1,0] neg_lo:[0,0,1] neg_hi:[0,0,1]
	v_pk_fma_f32 v[140:141], v[142:143], v[130:131], v[140:141] op_sel:[0,0,1] op_sel_hi:[1,0,0]
	v_mov_b32_e32 v145, v141
	ds_load_2addr_b64 v[140:143], v134 offset0:47 offset1:48
	v_pk_add_f32 v[24:25], v[24:25], v[146:147] neg_lo:[0,1] neg_hi:[0,1]
	v_pk_add_f32 v[28:29], v[28:29], v[144:145] neg_lo:[0,1] neg_hi:[0,1]
	s_wait_dscnt 0x0
	v_dual_mul_f32 v144, v141, v133 :: v_dual_mul_f32 v146, v141, v130
	s_delay_alu instid0(VALU_DEP_1) | instskip(NEXT) | instid1(VALU_DEP_2)
	v_pk_fma_f32 v[144:145], v[140:141], v[42:43], v[144:145] op_sel_hi:[1,1,0] neg_lo:[0,0,1] neg_hi:[0,0,1]
	v_pk_fma_f32 v[140:141], v[140:141], v[42:43], v[146:147] op_sel:[1,0,0] op_sel_hi:[0,1,0]
	s_delay_alu instid0(VALU_DEP_1) | instskip(SKIP_1) | instid1(VALU_DEP_2)
	v_mov_b32_e32 v145, v141
	v_pk_mul_f32 v[140:141], v[142:143], v[132:133] op_sel:[0,1]
	v_pk_add_f32 v[22:23], v[22:23], v[144:145] neg_lo:[0,1] neg_hi:[0,1]
	s_delay_alu instid0(VALU_DEP_2) | instskip(SKIP_1) | instid1(VALU_DEP_1)
	v_pk_fma_f32 v[144:145], v[142:143], v[130:131], v[140:141] op_sel:[0,0,1] op_sel_hi:[1,1,0] neg_lo:[0,0,1] neg_hi:[0,0,1]
	v_pk_fma_f32 v[140:141], v[142:143], v[130:131], v[140:141] op_sel:[0,0,1] op_sel_hi:[1,0,0]
	v_mov_b32_e32 v145, v141
	ds_load_2addr_b64 v[140:143], v134 offset0:49 offset1:50
	v_pk_add_f32 v[96:97], v[96:97], v[144:145] neg_lo:[0,1] neg_hi:[0,1]
	s_wait_dscnt 0x0
	v_pk_mul_f32 v[144:145], v[140:141], v[132:133] op_sel:[0,1]
	s_delay_alu instid0(VALU_DEP_1) | instskip(SKIP_1) | instid1(VALU_DEP_1)
	v_pk_fma_f32 v[146:147], v[140:141], v[130:131], v[144:145] op_sel:[0,0,1] op_sel_hi:[1,1,0] neg_lo:[0,0,1] neg_hi:[0,0,1]
	v_pk_fma_f32 v[140:141], v[140:141], v[130:131], v[144:145] op_sel:[0,0,1] op_sel_hi:[1,0,0]
	v_mov_b32_e32 v147, v141
	v_pk_mul_f32 v[140:141], v[142:143], v[132:133] op_sel:[0,1]
	s_delay_alu instid0(VALU_DEP_2) | instskip(NEXT) | instid1(VALU_DEP_2)
	v_pk_add_f32 v[18:19], v[18:19], v[146:147] neg_lo:[0,1] neg_hi:[0,1]
	v_pk_fma_f32 v[144:145], v[142:143], v[130:131], v[140:141] op_sel:[0,0,1] op_sel_hi:[1,1,0] neg_lo:[0,0,1] neg_hi:[0,0,1]
	v_pk_fma_f32 v[140:141], v[142:143], v[130:131], v[140:141] op_sel:[0,0,1] op_sel_hi:[1,0,0]
	s_delay_alu instid0(VALU_DEP_1) | instskip(SKIP_4) | instid1(VALU_DEP_1)
	v_mov_b32_e32 v145, v141
	ds_load_2addr_b64 v[140:143], v134 offset0:51 offset1:52
	v_pk_add_f32 v[20:21], v[20:21], v[144:145] neg_lo:[0,1] neg_hi:[0,1]
	s_wait_dscnt 0x0
	v_pk_mul_f32 v[144:145], v[140:141], v[132:133] op_sel:[0,1]
	v_pk_fma_f32 v[146:147], v[140:141], v[130:131], v[144:145] op_sel:[0,0,1] op_sel_hi:[1,1,0] neg_lo:[0,0,1] neg_hi:[0,0,1]
	v_pk_fma_f32 v[140:141], v[140:141], v[130:131], v[144:145] op_sel:[0,0,1] op_sel_hi:[1,0,0]
	v_dual_mul_f32 v144, v143, v133 :: v_dual_mov_b32 v140, v143
	s_delay_alu instid0(VALU_DEP_2) | instskip(NEXT) | instid1(VALU_DEP_2)
	v_dual_mov_b32 v147, v141 :: v_dual_mov_b32 v141, v142
	v_pk_fma_f32 v[144:145], v[142:143], v[42:43], v[144:145] op_sel_hi:[1,1,0] neg_lo:[0,0,1] neg_hi:[0,0,1]
	v_mul_f32_e32 v142, v143, v130
	s_delay_alu instid0(VALU_DEP_3) | instskip(NEXT) | instid1(VALU_DEP_2)
	v_pk_add_f32 v[36:37], v[36:37], v[146:147] neg_lo:[0,1] neg_hi:[0,1]
	v_pk_fma_f32 v[140:141], v[140:141], v[42:43], v[142:143] op_sel_hi:[1,1,0]
	s_delay_alu instid0(VALU_DEP_1) | instskip(SKIP_4) | instid1(VALU_DEP_1)
	v_mov_b32_e32 v145, v141
	ds_load_2addr_b64 v[140:143], v134 offset0:53 offset1:54
	v_pk_add_f32 v[86:87], v[86:87], v[144:145] neg_lo:[0,1] neg_hi:[0,1]
	s_wait_dscnt 0x0
	v_pk_mul_f32 v[144:145], v[140:141], v[132:133] op_sel:[0,1]
	v_pk_fma_f32 v[146:147], v[140:141], v[130:131], v[144:145] op_sel:[0,0,1] op_sel_hi:[1,1,0] neg_lo:[0,0,1] neg_hi:[0,0,1]
	v_pk_fma_f32 v[140:141], v[140:141], v[130:131], v[144:145] op_sel:[0,0,1] op_sel_hi:[1,0,0]
	s_delay_alu instid0(VALU_DEP_1) | instskip(SKIP_1) | instid1(VALU_DEP_1)
	v_mov_b32_e32 v147, v141
	v_pk_mul_f32 v[140:141], v[142:143], v[132:133] op_sel:[0,1]
	v_pk_fma_f32 v[144:145], v[142:143], v[130:131], v[140:141] op_sel:[0,0,1] op_sel_hi:[1,1,0] neg_lo:[0,0,1] neg_hi:[0,0,1]
	v_pk_fma_f32 v[140:141], v[142:143], v[130:131], v[140:141] op_sel:[0,0,1] op_sel_hi:[1,0,0]
	s_delay_alu instid0(VALU_DEP_1)
	v_mov_b32_e32 v145, v141
	ds_load_2addr_b64 v[140:143], v134 offset0:55 offset1:56
	v_pk_add_f32 v[10:11], v[10:11], v[146:147] neg_lo:[0,1] neg_hi:[0,1]
	v_pk_add_f32 v[12:13], v[12:13], v[144:145] neg_lo:[0,1] neg_hi:[0,1]
	s_wait_dscnt 0x0
	v_pk_mul_f32 v[144:145], v[140:141], v[132:133] op_sel:[0,1]
	s_delay_alu instid0(VALU_DEP_1) | instskip(SKIP_1) | instid1(VALU_DEP_1)
	v_pk_fma_f32 v[146:147], v[140:141], v[130:131], v[144:145] op_sel:[0,0,1] op_sel_hi:[1,1,0] neg_lo:[0,0,1] neg_hi:[0,0,1]
	v_pk_fma_f32 v[140:141], v[140:141], v[130:131], v[144:145] op_sel:[0,0,1] op_sel_hi:[1,0,0]
	v_mov_b32_e32 v147, v141
	v_pk_mul_f32 v[140:141], v[142:143], v[132:133] op_sel:[0,1]
	s_delay_alu instid0(VALU_DEP_1) | instskip(SKIP_1) | instid1(VALU_DEP_1)
	v_pk_fma_f32 v[144:145], v[142:143], v[130:131], v[140:141] op_sel:[0,0,1] op_sel_hi:[1,1,0] neg_lo:[0,0,1] neg_hi:[0,0,1]
	v_pk_fma_f32 v[140:141], v[142:143], v[130:131], v[140:141] op_sel:[0,0,1] op_sel_hi:[1,0,0]
	v_mov_b32_e32 v145, v141
	ds_load_2addr_b64 v[140:143], v134 offset0:57 offset1:58
	v_pk_add_f32 v[8:9], v[8:9], v[146:147] neg_lo:[0,1] neg_hi:[0,1]
	v_pk_add_f32 v[44:45], v[44:45], v[144:145] neg_lo:[0,1] neg_hi:[0,1]
	s_wait_dscnt 0x0
	v_dual_mul_f32 v144, v141, v133 :: v_dual_mul_f32 v146, v141, v130
	s_delay_alu instid0(VALU_DEP_1) | instskip(NEXT) | instid1(VALU_DEP_2)
	v_pk_fma_f32 v[144:145], v[140:141], v[42:43], v[144:145] op_sel_hi:[1,1,0] neg_lo:[0,0,1] neg_hi:[0,0,1]
	v_pk_fma_f32 v[140:141], v[140:141], v[42:43], v[146:147] op_sel:[1,0,0] op_sel_hi:[0,1,0]
	s_delay_alu instid0(VALU_DEP_1) | instskip(SKIP_1) | instid1(VALU_DEP_2)
	v_mov_b32_e32 v145, v141
	v_pk_mul_f32 v[140:141], v[142:143], v[132:133] op_sel:[0,1]
	v_pk_add_f32 v[6:7], v[6:7], v[144:145] neg_lo:[0,1] neg_hi:[0,1]
	s_delay_alu instid0(VALU_DEP_2) | instskip(SKIP_1) | instid1(VALU_DEP_1)
	v_pk_fma_f32 v[144:145], v[142:143], v[130:131], v[140:141] op_sel:[0,0,1] op_sel_hi:[1,1,0] neg_lo:[0,0,1] neg_hi:[0,0,1]
	v_pk_fma_f32 v[140:141], v[142:143], v[130:131], v[140:141] op_sel:[0,0,1] op_sel_hi:[1,0,0]
	v_mov_b32_e32 v145, v141
	ds_load_2addr_b64 v[140:143], v134 offset0:59 offset1:60
	v_pk_add_f32 v[26:27], v[26:27], v[144:145] neg_lo:[0,1] neg_hi:[0,1]
	s_wait_dscnt 0x0
	v_pk_mul_f32 v[144:145], v[140:141], v[132:133] op_sel:[0,1]
	s_delay_alu instid0(VALU_DEP_1) | instskip(SKIP_1) | instid1(VALU_DEP_1)
	v_pk_fma_f32 v[146:147], v[140:141], v[130:131], v[144:145] op_sel:[0,0,1] op_sel_hi:[1,1,0] neg_lo:[0,0,1] neg_hi:[0,0,1]
	v_pk_fma_f32 v[140:141], v[140:141], v[130:131], v[144:145] op_sel:[0,0,1] op_sel_hi:[1,0,0]
	v_mov_b32_e32 v147, v141
	v_pk_mul_f32 v[140:141], v[142:143], v[132:133] op_sel:[0,1]
	s_delay_alu instid0(VALU_DEP_2) | instskip(NEXT) | instid1(VALU_DEP_2)
	v_pk_add_f32 v[16:17], v[16:17], v[146:147] neg_lo:[0,1] neg_hi:[0,1]
	v_pk_fma_f32 v[144:145], v[142:143], v[130:131], v[140:141] op_sel:[0,0,1] op_sel_hi:[1,1,0] neg_lo:[0,0,1] neg_hi:[0,0,1]
	v_pk_fma_f32 v[140:141], v[142:143], v[130:131], v[140:141] op_sel:[0,0,1] op_sel_hi:[1,0,0]
	s_delay_alu instid0(VALU_DEP_1) | instskip(SKIP_4) | instid1(VALU_DEP_1)
	v_mov_b32_e32 v145, v141
	ds_load_b64 v[140:141], v134 offset:488
	v_pk_add_f32 v[14:15], v[14:15], v[144:145] neg_lo:[0,1] neg_hi:[0,1]
	s_wait_dscnt 0x0
	v_pk_mul_f32 v[132:133], v[140:141], v[132:133] op_sel:[0,1]
	v_pk_fma_f32 v[142:143], v[140:141], v[130:131], v[132:133] op_sel:[0,0,1] op_sel_hi:[1,1,0] neg_lo:[0,0,1] neg_hi:[0,0,1]
	v_pk_fma_f32 v[130:131], v[140:141], v[130:131], v[132:133] op_sel:[0,0,1] op_sel_hi:[1,0,0]
	s_delay_alu instid0(VALU_DEP_1) | instskip(NEXT) | instid1(VALU_DEP_1)
	v_mov_b32_e32 v143, v131
	v_pk_add_f32 v[128:129], v[128:129], v[142:143] neg_lo:[0,1] neg_hi:[0,1]
.LBB122_818:
	s_or_b32 exec_lo, exec_lo, s0
	v_lshl_add_u32 v130, v138, 3, v134
	s_barrier_signal -1
	s_barrier_wait -1
	ds_store_b64 v130, v[38:39]
	s_wait_dscnt 0x0
	s_barrier_signal -1
	s_barrier_wait -1
	ds_load_b64 v[132:133], v134 offset:312
	v_mov_b32_e32 v130, 39
	s_cmp_lt_i32 s18, 41
	s_cbranch_scc1 .LBB122_821
; %bb.819:
	v_add3_u32 v131, v135, 0, 0x140
	v_mov_b32_e32 v130, 39
	s_mov_b32 s0, 40
.LBB122_820:                            ; =>This Inner Loop Header: Depth=1
	ds_load_b64 v[140:141], v131
	s_wait_dscnt 0x1
	v_cmp_gt_f32_e32 vcc_lo, 0, v132
	v_cndmask_b32_e64 v142, v132, -v132, vcc_lo
	v_cmp_gt_f32_e32 vcc_lo, 0, v133
	v_cndmask_b32_e64 v144, v133, -v133, vcc_lo
	s_wait_dscnt 0x0
	v_cmp_gt_f32_e32 vcc_lo, 0, v140
	v_cndmask_b32_e64 v143, v140, -v140, vcc_lo
	v_cmp_gt_f32_e32 vcc_lo, 0, v141
	v_cndmask_b32_e64 v145, v141, -v141, vcc_lo
	s_delay_alu instid0(VALU_DEP_1) | instskip(NEXT) | instid1(VALU_DEP_1)
	v_pk_add_f32 v[142:143], v[142:143], v[144:145]
	v_cmp_lt_f32_e32 vcc_lo, v142, v143
	v_dual_add_nc_u32 v131, 8, v131 :: v_dual_cndmask_b32 v133, v133, v141, vcc_lo
	v_cndmask_b32_e32 v132, v132, v140, vcc_lo
	v_cndmask_b32_e64 v130, v130, s0, vcc_lo
	s_add_co_i32 s0, s0, 1
	s_delay_alu instid0(SALU_CYCLE_1)
	s_cmp_lg_u32 s18, s0
	s_cbranch_scc1 .LBB122_820
.LBB122_821:
	s_wait_dscnt 0x0
	v_cmp_eq_f32_e32 vcc_lo, 0, v132
	v_cmp_eq_f32_e64 s0, 0, v133
	s_and_b32 s0, vcc_lo, s0
	s_delay_alu instid0(SALU_CYCLE_1) | instskip(NEXT) | instid1(SALU_CYCLE_1)
	s_and_saveexec_b32 s1, s0
	s_xor_b32 s0, exec_lo, s1
; %bb.822:
	v_cmp_ne_u32_e32 vcc_lo, 0, v136
	v_cndmask_b32_e32 v136, 40, v136, vcc_lo
; %bb.823:
	s_and_not1_saveexec_b32 s0, s0
	s_cbranch_execz .LBB122_829
; %bb.824:
	v_cmp_ngt_f32_e64 s1, |v132|, |v133|
	s_and_saveexec_b32 s12, s1
	s_delay_alu instid0(SALU_CYCLE_1)
	s_xor_b32 s1, exec_lo, s12
	s_cbranch_execz .LBB122_826
; %bb.825:
	v_div_scale_f32 v131, null, v133, v133, v132
	v_div_scale_f32 v141, vcc_lo, v132, v133, v132
	s_delay_alu instid0(VALU_DEP_2) | instskip(SKIP_1) | instid1(TRANS32_DEP_1)
	v_rcp_f32_e32 v139, v131
	v_nop
	v_fma_f32 v140, -v131, v139, 1.0
	s_delay_alu instid0(VALU_DEP_1) | instskip(NEXT) | instid1(VALU_DEP_1)
	v_fmac_f32_e32 v139, v140, v139
	v_mul_f32_e32 v140, v141, v139
	s_delay_alu instid0(VALU_DEP_1) | instskip(NEXT) | instid1(VALU_DEP_1)
	v_fma_f32 v142, -v131, v140, v141
	v_fmac_f32_e32 v140, v142, v139
	s_delay_alu instid0(VALU_DEP_1) | instskip(NEXT) | instid1(VALU_DEP_1)
	v_fma_f32 v131, -v131, v140, v141
	v_div_fmas_f32 v131, v131, v139, v140
	s_delay_alu instid0(VALU_DEP_1) | instskip(NEXT) | instid1(VALU_DEP_1)
	v_div_fixup_f32 v131, v131, v133, v132
	v_fmac_f32_e32 v133, v132, v131
	s_delay_alu instid0(VALU_DEP_1) | instskip(SKIP_1) | instid1(VALU_DEP_2)
	v_div_scale_f32 v132, null, v133, v133, 1.0
	v_div_scale_f32 v141, vcc_lo, 1.0, v133, 1.0
	v_rcp_f32_e32 v139, v132
	v_nop
	s_delay_alu instid0(TRANS32_DEP_1) | instskip(NEXT) | instid1(VALU_DEP_1)
	v_fma_f32 v140, -v132, v139, 1.0
	v_fmac_f32_e32 v139, v140, v139
	s_delay_alu instid0(VALU_DEP_1) | instskip(NEXT) | instid1(VALU_DEP_1)
	v_mul_f32_e32 v140, v141, v139
	v_fma_f32 v142, -v132, v140, v141
	s_delay_alu instid0(VALU_DEP_1) | instskip(NEXT) | instid1(VALU_DEP_1)
	v_fmac_f32_e32 v140, v142, v139
	v_fma_f32 v132, -v132, v140, v141
	s_delay_alu instid0(VALU_DEP_1) | instskip(NEXT) | instid1(VALU_DEP_1)
	v_div_fmas_f32 v132, v132, v139, v140
	v_div_fixup_f32 v133, v132, v133, 1.0
	s_delay_alu instid0(VALU_DEP_1)
	v_mul_f32_e32 v132, v131, v133
	v_xor_b32_e32 v133, 0x80000000, v133
.LBB122_826:
	s_and_not1_saveexec_b32 s1, s1
	s_cbranch_execz .LBB122_828
; %bb.827:
	s_delay_alu instid0(VALU_DEP_1) | instskip(SKIP_1) | instid1(VALU_DEP_2)
	v_div_scale_f32 v131, null, v132, v132, v133
	v_div_scale_f32 v141, vcc_lo, v133, v132, v133
	v_rcp_f32_e32 v139, v131
	v_nop
	s_delay_alu instid0(TRANS32_DEP_1) | instskip(NEXT) | instid1(VALU_DEP_1)
	v_fma_f32 v140, -v131, v139, 1.0
	v_fmac_f32_e32 v139, v140, v139
	s_delay_alu instid0(VALU_DEP_1) | instskip(NEXT) | instid1(VALU_DEP_1)
	v_mul_f32_e32 v140, v141, v139
	v_fma_f32 v142, -v131, v140, v141
	s_delay_alu instid0(VALU_DEP_1) | instskip(NEXT) | instid1(VALU_DEP_1)
	v_fmac_f32_e32 v140, v142, v139
	v_fma_f32 v131, -v131, v140, v141
	s_delay_alu instid0(VALU_DEP_1) | instskip(NEXT) | instid1(VALU_DEP_1)
	v_div_fmas_f32 v131, v131, v139, v140
	v_div_fixup_f32 v131, v131, v132, v133
	s_delay_alu instid0(VALU_DEP_1) | instskip(NEXT) | instid1(VALU_DEP_1)
	v_fmac_f32_e32 v132, v133, v131
	v_div_scale_f32 v133, null, v132, v132, 1.0
	s_delay_alu instid0(VALU_DEP_1) | instskip(SKIP_1) | instid1(TRANS32_DEP_1)
	v_rcp_f32_e32 v139, v133
	v_nop
	v_fma_f32 v140, -v133, v139, 1.0
	s_delay_alu instid0(VALU_DEP_1) | instskip(SKIP_1) | instid1(VALU_DEP_1)
	v_fmac_f32_e32 v139, v140, v139
	v_div_scale_f32 v140, vcc_lo, 1.0, v132, 1.0
	v_mul_f32_e32 v141, v140, v139
	s_delay_alu instid0(VALU_DEP_1) | instskip(NEXT) | instid1(VALU_DEP_1)
	v_fma_f32 v142, -v133, v141, v140
	v_fmac_f32_e32 v141, v142, v139
	s_delay_alu instid0(VALU_DEP_1) | instskip(NEXT) | instid1(VALU_DEP_1)
	v_fma_f32 v133, -v133, v141, v140
	v_div_fmas_f32 v133, v133, v139, v141
	s_delay_alu instid0(VALU_DEP_1) | instskip(NEXT) | instid1(VALU_DEP_1)
	v_div_fixup_f32 v132, v133, v132, 1.0
	v_mul_f32_e64 v133, v131, -v132
.LBB122_828:
	s_or_b32 exec_lo, exec_lo, s1
.LBB122_829:
	s_delay_alu instid0(SALU_CYCLE_1) | instskip(NEXT) | instid1(SALU_CYCLE_1)
	s_or_b32 exec_lo, exec_lo, s0
	s_mov_b32 s0, exec_lo
	v_cmpx_ne_u32_e64 v138, v130
	s_xor_b32 s0, exec_lo, s0
	s_cbranch_execz .LBB122_835
; %bb.830:
	s_mov_b32 s1, exec_lo
	v_cmpx_eq_u32_e32 39, v138
	s_cbranch_execz .LBB122_834
; %bb.831:
	v_cmp_ne_u32_e32 vcc_lo, 39, v130
	s_xor_b32 s12, s16, -1
	s_delay_alu instid0(SALU_CYCLE_1) | instskip(NEXT) | instid1(SALU_CYCLE_1)
	s_and_b32 s13, s12, vcc_lo
	s_and_saveexec_b32 s12, s13
	s_cbranch_execz .LBB122_833
; %bb.832:
	v_ashrrev_i32_e32 v131, 31, v130
	s_delay_alu instid0(VALU_DEP_1)
	v_lshl_add_u64 v[138:139], v[130:131], 2, v[4:5]
	s_clause 0x1
	global_load_b32 v131, v[138:139], off
	global_load_b32 v137, v[4:5], off offset:156
	s_wait_loadcnt 0x1
	global_store_b32 v[4:5], v131, off offset:156
	s_wait_loadcnt 0x0
	global_store_b32 v[138:139], v137, off
.LBB122_833:
	s_wait_xcnt 0x0
	s_or_b32 exec_lo, exec_lo, s12
	v_dual_mov_b32 v138, v130 :: v_dual_mov_b32 v137, v130
.LBB122_834:
	s_or_b32 exec_lo, exec_lo, s1
.LBB122_835:
	s_and_not1_saveexec_b32 s0, s0
	s_cbranch_execz .LBB122_837
; %bb.836:
	v_dual_mov_b32 v130, v100 :: v_dual_mov_b32 v131, v101
	v_dual_mov_b32 v138, v32 :: v_dual_mov_b32 v139, v33
	;; [unrolled: 1-line block ×12, first 2 shown]
	ds_store_2addr_b64 v134, v[130:131], v[138:139] offset0:40 offset1:41
	ds_store_2addr_b64 v134, v[140:141], v[142:143] offset0:42 offset1:43
	;; [unrolled: 1-line block ×6, first 2 shown]
	v_dual_mov_b32 v130, v86 :: v_dual_mov_b32 v131, v87
	v_dual_mov_b32 v140, v10 :: v_dual_mov_b32 v141, v11
	;; [unrolled: 1-line block ×9, first 2 shown]
	v_mov_b32_e32 v155, v15
	ds_store_2addr_b64 v134, v[130:131], v[140:141] offset0:52 offset1:53
	ds_store_2addr_b64 v134, v[142:143], v[144:145] offset0:54 offset1:55
	;; [unrolled: 1-line block ×5, first 2 shown]
.LBB122_837:
	s_or_b32 exec_lo, exec_lo, s0
	s_delay_alu instid0(SALU_CYCLE_1)
	s_mov_b32 s0, exec_lo
	s_wait_storecnt_dscnt 0x0
	s_barrier_signal -1
	s_barrier_wait -1
	v_cmpx_lt_i32_e32 39, v138
	s_cbranch_execz .LBB122_839
; %bb.838:
	v_pk_mul_f32 v[140:141], v[132:133], v[38:39] op_sel:[1,1] op_sel_hi:[0,1]
	s_delay_alu instid0(VALU_DEP_1)
	v_pk_fma_f32 v[130:131], v[132:133], v[38:39], v[140:141] op_sel_hi:[1,0,1] neg_lo:[0,0,1] neg_hi:[0,0,1]
	v_pk_fma_f32 v[132:133], v[132:133], v[38:39], v[140:141] op_sel_hi:[1,0,1]
	ds_load_2addr_b64 v[140:143], v134 offset0:40 offset1:41
	v_dual_mov_b32 v38, v130 :: v_dual_mov_b32 v39, v133
	s_wait_dscnt 0x0
	v_pk_mul_f32 v[144:145], v[140:141], v[132:133] op_sel:[0,1]
	s_delay_alu instid0(VALU_DEP_1) | instskip(SKIP_1) | instid1(VALU_DEP_1)
	v_pk_fma_f32 v[146:147], v[140:141], v[130:131], v[144:145] op_sel:[0,0,1] op_sel_hi:[1,1,0] neg_lo:[0,0,1] neg_hi:[0,0,1]
	v_pk_fma_f32 v[140:141], v[140:141], v[130:131], v[144:145] op_sel:[0,0,1] op_sel_hi:[1,0,0]
	v_mov_b32_e32 v147, v141
	v_pk_mul_f32 v[140:141], v[142:143], v[132:133] op_sel:[0,1]
	s_delay_alu instid0(VALU_DEP_1) | instskip(SKIP_1) | instid1(VALU_DEP_1)
	v_pk_fma_f32 v[144:145], v[142:143], v[130:131], v[140:141] op_sel:[0,0,1] op_sel_hi:[1,1,0] neg_lo:[0,0,1] neg_hi:[0,0,1]
	v_pk_fma_f32 v[140:141], v[142:143], v[130:131], v[140:141] op_sel:[0,0,1] op_sel_hi:[1,0,0]
	v_mov_b32_e32 v145, v141
	ds_load_2addr_b64 v[140:143], v134 offset0:42 offset1:43
	v_pk_add_f32 v[100:101], v[100:101], v[146:147] neg_lo:[0,1] neg_hi:[0,1]
	v_pk_add_f32 v[32:33], v[32:33], v[144:145] neg_lo:[0,1] neg_hi:[0,1]
	s_wait_dscnt 0x0
	v_pk_mul_f32 v[144:145], v[140:141], v[132:133] op_sel:[0,1]
	s_delay_alu instid0(VALU_DEP_1) | instskip(SKIP_2) | instid1(VALU_DEP_2)
	v_pk_fma_f32 v[146:147], v[140:141], v[130:131], v[144:145] op_sel:[0,0,1] op_sel_hi:[1,1,0] neg_lo:[0,0,1] neg_hi:[0,0,1]
	v_pk_fma_f32 v[140:141], v[140:141], v[130:131], v[144:145] op_sel:[0,0,1] op_sel_hi:[1,0,0]
	v_dual_mul_f32 v144, v143, v133 :: v_dual_mov_b32 v140, v143
	v_dual_mov_b32 v147, v141 :: v_dual_mov_b32 v141, v142
	s_delay_alu instid0(VALU_DEP_2) | instskip(SKIP_1) | instid1(VALU_DEP_3)
	v_pk_fma_f32 v[144:145], v[142:143], v[38:39], v[144:145] op_sel_hi:[1,1,0] neg_lo:[0,0,1] neg_hi:[0,0,1]
	v_mul_f32_e32 v142, v143, v130
	v_pk_add_f32 v[34:35], v[34:35], v[146:147] neg_lo:[0,1] neg_hi:[0,1]
	s_delay_alu instid0(VALU_DEP_2) | instskip(NEXT) | instid1(VALU_DEP_1)
	v_pk_fma_f32 v[140:141], v[140:141], v[38:39], v[142:143] op_sel_hi:[1,1,0]
	v_mov_b32_e32 v145, v141
	ds_load_2addr_b64 v[140:143], v134 offset0:44 offset1:45
	v_pk_add_f32 v[30:31], v[30:31], v[144:145] neg_lo:[0,1] neg_hi:[0,1]
	s_wait_dscnt 0x0
	v_pk_mul_f32 v[144:145], v[140:141], v[132:133] op_sel:[0,1]
	s_delay_alu instid0(VALU_DEP_1) | instskip(SKIP_1) | instid1(VALU_DEP_1)
	v_pk_fma_f32 v[146:147], v[140:141], v[130:131], v[144:145] op_sel:[0,0,1] op_sel_hi:[1,1,0] neg_lo:[0,0,1] neg_hi:[0,0,1]
	v_pk_fma_f32 v[140:141], v[140:141], v[130:131], v[144:145] op_sel:[0,0,1] op_sel_hi:[1,0,0]
	v_mov_b32_e32 v147, v141
	v_pk_mul_f32 v[140:141], v[142:143], v[132:133] op_sel:[0,1]
	s_delay_alu instid0(VALU_DEP_1) | instskip(SKIP_1) | instid1(VALU_DEP_1)
	v_pk_fma_f32 v[144:145], v[142:143], v[130:131], v[140:141] op_sel:[0,0,1] op_sel_hi:[1,1,0] neg_lo:[0,0,1] neg_hi:[0,0,1]
	v_pk_fma_f32 v[140:141], v[142:143], v[130:131], v[140:141] op_sel:[0,0,1] op_sel_hi:[1,0,0]
	v_mov_b32_e32 v145, v141
	ds_load_2addr_b64 v[140:143], v134 offset0:46 offset1:47
	v_pk_add_f32 v[98:99], v[98:99], v[146:147] neg_lo:[0,1] neg_hi:[0,1]
	v_pk_add_f32 v[24:25], v[24:25], v[144:145] neg_lo:[0,1] neg_hi:[0,1]
	s_wait_dscnt 0x0
	v_pk_mul_f32 v[144:145], v[140:141], v[132:133] op_sel:[0,1]
	s_delay_alu instid0(VALU_DEP_1) | instskip(SKIP_1) | instid1(VALU_DEP_1)
	v_pk_fma_f32 v[146:147], v[140:141], v[130:131], v[144:145] op_sel:[0,0,1] op_sel_hi:[1,1,0] neg_lo:[0,0,1] neg_hi:[0,0,1]
	v_pk_fma_f32 v[140:141], v[140:141], v[130:131], v[144:145] op_sel:[0,0,1] op_sel_hi:[1,0,0]
	v_mov_b32_e32 v147, v141
	v_pk_mul_f32 v[140:141], v[142:143], v[132:133] op_sel:[0,1]
	s_delay_alu instid0(VALU_DEP_1) | instskip(SKIP_1) | instid1(VALU_DEP_1)
	v_pk_fma_f32 v[144:145], v[142:143], v[130:131], v[140:141] op_sel:[0,0,1] op_sel_hi:[1,1,0] neg_lo:[0,0,1] neg_hi:[0,0,1]
	v_pk_fma_f32 v[140:141], v[142:143], v[130:131], v[140:141] op_sel:[0,0,1] op_sel_hi:[1,0,0]
	v_mov_b32_e32 v145, v141
	ds_load_2addr_b64 v[140:143], v134 offset0:48 offset1:49
	v_pk_add_f32 v[28:29], v[28:29], v[146:147] neg_lo:[0,1] neg_hi:[0,1]
	v_pk_add_f32 v[22:23], v[22:23], v[144:145] neg_lo:[0,1] neg_hi:[0,1]
	s_wait_dscnt 0x0
	v_dual_mul_f32 v144, v141, v133 :: v_dual_mul_f32 v146, v141, v130
	s_delay_alu instid0(VALU_DEP_1) | instskip(NEXT) | instid1(VALU_DEP_2)
	v_pk_fma_f32 v[144:145], v[140:141], v[38:39], v[144:145] op_sel_hi:[1,1,0] neg_lo:[0,0,1] neg_hi:[0,0,1]
	v_pk_fma_f32 v[140:141], v[140:141], v[38:39], v[146:147] op_sel:[1,0,0] op_sel_hi:[0,1,0]
	s_delay_alu instid0(VALU_DEP_1) | instskip(SKIP_1) | instid1(VALU_DEP_2)
	v_mov_b32_e32 v145, v141
	v_pk_mul_f32 v[140:141], v[142:143], v[132:133] op_sel:[0,1]
	v_pk_add_f32 v[96:97], v[96:97], v[144:145] neg_lo:[0,1] neg_hi:[0,1]
	s_delay_alu instid0(VALU_DEP_2) | instskip(SKIP_1) | instid1(VALU_DEP_1)
	v_pk_fma_f32 v[144:145], v[142:143], v[130:131], v[140:141] op_sel:[0,0,1] op_sel_hi:[1,1,0] neg_lo:[0,0,1] neg_hi:[0,0,1]
	v_pk_fma_f32 v[140:141], v[142:143], v[130:131], v[140:141] op_sel:[0,0,1] op_sel_hi:[1,0,0]
	v_mov_b32_e32 v145, v141
	ds_load_2addr_b64 v[140:143], v134 offset0:50 offset1:51
	v_pk_add_f32 v[18:19], v[18:19], v[144:145] neg_lo:[0,1] neg_hi:[0,1]
	s_wait_dscnt 0x0
	v_pk_mul_f32 v[144:145], v[140:141], v[132:133] op_sel:[0,1]
	s_delay_alu instid0(VALU_DEP_1) | instskip(SKIP_1) | instid1(VALU_DEP_1)
	v_pk_fma_f32 v[146:147], v[140:141], v[130:131], v[144:145] op_sel:[0,0,1] op_sel_hi:[1,1,0] neg_lo:[0,0,1] neg_hi:[0,0,1]
	v_pk_fma_f32 v[140:141], v[140:141], v[130:131], v[144:145] op_sel:[0,0,1] op_sel_hi:[1,0,0]
	v_mov_b32_e32 v147, v141
	v_pk_mul_f32 v[140:141], v[142:143], v[132:133] op_sel:[0,1]
	s_delay_alu instid0(VALU_DEP_2) | instskip(NEXT) | instid1(VALU_DEP_2)
	v_pk_add_f32 v[20:21], v[20:21], v[146:147] neg_lo:[0,1] neg_hi:[0,1]
	v_pk_fma_f32 v[144:145], v[142:143], v[130:131], v[140:141] op_sel:[0,0,1] op_sel_hi:[1,1,0] neg_lo:[0,0,1] neg_hi:[0,0,1]
	v_pk_fma_f32 v[140:141], v[142:143], v[130:131], v[140:141] op_sel:[0,0,1] op_sel_hi:[1,0,0]
	s_delay_alu instid0(VALU_DEP_1) | instskip(SKIP_4) | instid1(VALU_DEP_1)
	v_mov_b32_e32 v145, v141
	ds_load_2addr_b64 v[140:143], v134 offset0:52 offset1:53
	v_pk_add_f32 v[36:37], v[36:37], v[144:145] neg_lo:[0,1] neg_hi:[0,1]
	s_wait_dscnt 0x0
	v_pk_mul_f32 v[144:145], v[140:141], v[132:133] op_sel:[0,1]
	v_pk_fma_f32 v[146:147], v[140:141], v[130:131], v[144:145] op_sel:[0,0,1] op_sel_hi:[1,1,0] neg_lo:[0,0,1] neg_hi:[0,0,1]
	v_pk_fma_f32 v[140:141], v[140:141], v[130:131], v[144:145] op_sel:[0,0,1] op_sel_hi:[1,0,0]
	v_dual_mul_f32 v144, v143, v133 :: v_dual_mov_b32 v140, v143
	s_delay_alu instid0(VALU_DEP_2) | instskip(NEXT) | instid1(VALU_DEP_2)
	v_dual_mov_b32 v147, v141 :: v_dual_mov_b32 v141, v142
	v_pk_fma_f32 v[144:145], v[142:143], v[38:39], v[144:145] op_sel_hi:[1,1,0] neg_lo:[0,0,1] neg_hi:[0,0,1]
	v_mul_f32_e32 v142, v143, v130
	s_delay_alu instid0(VALU_DEP_3) | instskip(NEXT) | instid1(VALU_DEP_2)
	v_pk_add_f32 v[86:87], v[86:87], v[146:147] neg_lo:[0,1] neg_hi:[0,1]
	v_pk_fma_f32 v[140:141], v[140:141], v[38:39], v[142:143] op_sel_hi:[1,1,0]
	s_delay_alu instid0(VALU_DEP_1) | instskip(SKIP_4) | instid1(VALU_DEP_1)
	v_mov_b32_e32 v145, v141
	ds_load_2addr_b64 v[140:143], v134 offset0:54 offset1:55
	v_pk_add_f32 v[10:11], v[10:11], v[144:145] neg_lo:[0,1] neg_hi:[0,1]
	s_wait_dscnt 0x0
	v_pk_mul_f32 v[144:145], v[140:141], v[132:133] op_sel:[0,1]
	v_pk_fma_f32 v[146:147], v[140:141], v[130:131], v[144:145] op_sel:[0,0,1] op_sel_hi:[1,1,0] neg_lo:[0,0,1] neg_hi:[0,0,1]
	v_pk_fma_f32 v[140:141], v[140:141], v[130:131], v[144:145] op_sel:[0,0,1] op_sel_hi:[1,0,0]
	s_delay_alu instid0(VALU_DEP_1) | instskip(SKIP_1) | instid1(VALU_DEP_1)
	v_mov_b32_e32 v147, v141
	v_pk_mul_f32 v[140:141], v[142:143], v[132:133] op_sel:[0,1]
	v_pk_fma_f32 v[144:145], v[142:143], v[130:131], v[140:141] op_sel:[0,0,1] op_sel_hi:[1,1,0] neg_lo:[0,0,1] neg_hi:[0,0,1]
	v_pk_fma_f32 v[140:141], v[142:143], v[130:131], v[140:141] op_sel:[0,0,1] op_sel_hi:[1,0,0]
	s_delay_alu instid0(VALU_DEP_1)
	v_mov_b32_e32 v145, v141
	ds_load_2addr_b64 v[140:143], v134 offset0:56 offset1:57
	v_pk_add_f32 v[12:13], v[12:13], v[146:147] neg_lo:[0,1] neg_hi:[0,1]
	v_pk_add_f32 v[8:9], v[8:9], v[144:145] neg_lo:[0,1] neg_hi:[0,1]
	s_wait_dscnt 0x0
	v_pk_mul_f32 v[144:145], v[140:141], v[132:133] op_sel:[0,1]
	s_delay_alu instid0(VALU_DEP_1) | instskip(SKIP_1) | instid1(VALU_DEP_1)
	v_pk_fma_f32 v[146:147], v[140:141], v[130:131], v[144:145] op_sel:[0,0,1] op_sel_hi:[1,1,0] neg_lo:[0,0,1] neg_hi:[0,0,1]
	v_pk_fma_f32 v[140:141], v[140:141], v[130:131], v[144:145] op_sel:[0,0,1] op_sel_hi:[1,0,0]
	v_mov_b32_e32 v147, v141
	v_pk_mul_f32 v[140:141], v[142:143], v[132:133] op_sel:[0,1]
	s_delay_alu instid0(VALU_DEP_1) | instskip(SKIP_1) | instid1(VALU_DEP_1)
	v_pk_fma_f32 v[144:145], v[142:143], v[130:131], v[140:141] op_sel:[0,0,1] op_sel_hi:[1,1,0] neg_lo:[0,0,1] neg_hi:[0,0,1]
	v_pk_fma_f32 v[140:141], v[142:143], v[130:131], v[140:141] op_sel:[0,0,1] op_sel_hi:[1,0,0]
	v_mov_b32_e32 v145, v141
	ds_load_2addr_b64 v[140:143], v134 offset0:58 offset1:59
	v_pk_add_f32 v[44:45], v[44:45], v[146:147] neg_lo:[0,1] neg_hi:[0,1]
	v_pk_add_f32 v[6:7], v[6:7], v[144:145] neg_lo:[0,1] neg_hi:[0,1]
	s_wait_dscnt 0x0
	v_dual_mul_f32 v144, v141, v133 :: v_dual_mul_f32 v146, v141, v130
	s_delay_alu instid0(VALU_DEP_1) | instskip(NEXT) | instid1(VALU_DEP_2)
	v_pk_fma_f32 v[144:145], v[140:141], v[38:39], v[144:145] op_sel_hi:[1,1,0] neg_lo:[0,0,1] neg_hi:[0,0,1]
	v_pk_fma_f32 v[140:141], v[140:141], v[38:39], v[146:147] op_sel:[1,0,0] op_sel_hi:[0,1,0]
	s_delay_alu instid0(VALU_DEP_1) | instskip(SKIP_1) | instid1(VALU_DEP_2)
	v_mov_b32_e32 v145, v141
	v_pk_mul_f32 v[140:141], v[142:143], v[132:133] op_sel:[0,1]
	v_pk_add_f32 v[26:27], v[26:27], v[144:145] neg_lo:[0,1] neg_hi:[0,1]
	s_delay_alu instid0(VALU_DEP_2) | instskip(SKIP_1) | instid1(VALU_DEP_1)
	v_pk_fma_f32 v[144:145], v[142:143], v[130:131], v[140:141] op_sel:[0,0,1] op_sel_hi:[1,1,0] neg_lo:[0,0,1] neg_hi:[0,0,1]
	v_pk_fma_f32 v[140:141], v[142:143], v[130:131], v[140:141] op_sel:[0,0,1] op_sel_hi:[1,0,0]
	v_mov_b32_e32 v145, v141
	ds_load_2addr_b64 v[140:143], v134 offset0:60 offset1:61
	v_pk_add_f32 v[16:17], v[16:17], v[144:145] neg_lo:[0,1] neg_hi:[0,1]
	s_wait_dscnt 0x0
	v_pk_mul_f32 v[144:145], v[140:141], v[132:133] op_sel:[0,1]
	v_pk_mul_f32 v[132:133], v[142:143], v[132:133] op_sel:[0,1]
	s_delay_alu instid0(VALU_DEP_2) | instskip(SKIP_1) | instid1(VALU_DEP_1)
	v_pk_fma_f32 v[146:147], v[140:141], v[130:131], v[144:145] op_sel:[0,0,1] op_sel_hi:[1,1,0] neg_lo:[0,0,1] neg_hi:[0,0,1]
	v_pk_fma_f32 v[140:141], v[140:141], v[130:131], v[144:145] op_sel:[0,0,1] op_sel_hi:[1,0,0]
	v_mov_b32_e32 v147, v141
	s_delay_alu instid0(VALU_DEP_4) | instskip(SKIP_1) | instid1(VALU_DEP_3)
	v_pk_fma_f32 v[140:141], v[142:143], v[130:131], v[132:133] op_sel:[0,0,1] op_sel_hi:[1,1,0] neg_lo:[0,0,1] neg_hi:[0,0,1]
	v_pk_fma_f32 v[130:131], v[142:143], v[130:131], v[132:133] op_sel:[0,0,1] op_sel_hi:[1,0,0]
	v_pk_add_f32 v[14:15], v[14:15], v[146:147] neg_lo:[0,1] neg_hi:[0,1]
	s_delay_alu instid0(VALU_DEP_2) | instskip(NEXT) | instid1(VALU_DEP_1)
	v_mov_b32_e32 v141, v131
	v_pk_add_f32 v[128:129], v[128:129], v[140:141] neg_lo:[0,1] neg_hi:[0,1]
.LBB122_839:
	s_or_b32 exec_lo, exec_lo, s0
	v_lshl_add_u32 v130, v138, 3, v134
	s_barrier_signal -1
	s_barrier_wait -1
	ds_store_b64 v130, v[100:101]
	s_wait_dscnt 0x0
	s_barrier_signal -1
	s_barrier_wait -1
	ds_load_b64 v[132:133], v134 offset:320
	v_mov_b32_e32 v130, 40
	s_cmp_lt_i32 s18, 42
	s_cbranch_scc1 .LBB122_842
; %bb.840:
	v_add3_u32 v131, v135, 0, 0x148
	v_mov_b32_e32 v130, 40
	s_mov_b32 s0, 41
.LBB122_841:                            ; =>This Inner Loop Header: Depth=1
	ds_load_b64 v[140:141], v131
	s_wait_dscnt 0x1
	v_cmp_gt_f32_e32 vcc_lo, 0, v132
	v_cndmask_b32_e64 v142, v132, -v132, vcc_lo
	v_cmp_gt_f32_e32 vcc_lo, 0, v133
	v_cndmask_b32_e64 v144, v133, -v133, vcc_lo
	s_wait_dscnt 0x0
	v_cmp_gt_f32_e32 vcc_lo, 0, v140
	v_cndmask_b32_e64 v143, v140, -v140, vcc_lo
	v_cmp_gt_f32_e32 vcc_lo, 0, v141
	v_cndmask_b32_e64 v145, v141, -v141, vcc_lo
	s_delay_alu instid0(VALU_DEP_1) | instskip(NEXT) | instid1(VALU_DEP_1)
	v_pk_add_f32 v[142:143], v[142:143], v[144:145]
	v_cmp_lt_f32_e32 vcc_lo, v142, v143
	v_dual_add_nc_u32 v131, 8, v131 :: v_dual_cndmask_b32 v133, v133, v141, vcc_lo
	v_cndmask_b32_e32 v132, v132, v140, vcc_lo
	v_cndmask_b32_e64 v130, v130, s0, vcc_lo
	s_add_co_i32 s0, s0, 1
	s_delay_alu instid0(SALU_CYCLE_1)
	s_cmp_lg_u32 s18, s0
	s_cbranch_scc1 .LBB122_841
.LBB122_842:
	s_wait_dscnt 0x0
	v_cmp_eq_f32_e32 vcc_lo, 0, v132
	v_cmp_eq_f32_e64 s0, 0, v133
	s_and_b32 s0, vcc_lo, s0
	s_delay_alu instid0(SALU_CYCLE_1) | instskip(NEXT) | instid1(SALU_CYCLE_1)
	s_and_saveexec_b32 s1, s0
	s_xor_b32 s0, exec_lo, s1
; %bb.843:
	v_cmp_ne_u32_e32 vcc_lo, 0, v136
	v_cndmask_b32_e32 v136, 41, v136, vcc_lo
; %bb.844:
	s_and_not1_saveexec_b32 s0, s0
	s_cbranch_execz .LBB122_850
; %bb.845:
	v_cmp_ngt_f32_e64 s1, |v132|, |v133|
	s_and_saveexec_b32 s12, s1
	s_delay_alu instid0(SALU_CYCLE_1)
	s_xor_b32 s1, exec_lo, s12
	s_cbranch_execz .LBB122_847
; %bb.846:
	v_div_scale_f32 v131, null, v133, v133, v132
	v_div_scale_f32 v141, vcc_lo, v132, v133, v132
	s_delay_alu instid0(VALU_DEP_2) | instskip(SKIP_1) | instid1(TRANS32_DEP_1)
	v_rcp_f32_e32 v139, v131
	v_nop
	v_fma_f32 v140, -v131, v139, 1.0
	s_delay_alu instid0(VALU_DEP_1) | instskip(NEXT) | instid1(VALU_DEP_1)
	v_fmac_f32_e32 v139, v140, v139
	v_mul_f32_e32 v140, v141, v139
	s_delay_alu instid0(VALU_DEP_1) | instskip(NEXT) | instid1(VALU_DEP_1)
	v_fma_f32 v142, -v131, v140, v141
	v_fmac_f32_e32 v140, v142, v139
	s_delay_alu instid0(VALU_DEP_1) | instskip(NEXT) | instid1(VALU_DEP_1)
	v_fma_f32 v131, -v131, v140, v141
	v_div_fmas_f32 v131, v131, v139, v140
	s_delay_alu instid0(VALU_DEP_1) | instskip(NEXT) | instid1(VALU_DEP_1)
	v_div_fixup_f32 v131, v131, v133, v132
	v_fmac_f32_e32 v133, v132, v131
	s_delay_alu instid0(VALU_DEP_1) | instskip(SKIP_1) | instid1(VALU_DEP_2)
	v_div_scale_f32 v132, null, v133, v133, 1.0
	v_div_scale_f32 v141, vcc_lo, 1.0, v133, 1.0
	v_rcp_f32_e32 v139, v132
	v_nop
	s_delay_alu instid0(TRANS32_DEP_1) | instskip(NEXT) | instid1(VALU_DEP_1)
	v_fma_f32 v140, -v132, v139, 1.0
	v_fmac_f32_e32 v139, v140, v139
	s_delay_alu instid0(VALU_DEP_1) | instskip(NEXT) | instid1(VALU_DEP_1)
	v_mul_f32_e32 v140, v141, v139
	v_fma_f32 v142, -v132, v140, v141
	s_delay_alu instid0(VALU_DEP_1) | instskip(NEXT) | instid1(VALU_DEP_1)
	v_fmac_f32_e32 v140, v142, v139
	v_fma_f32 v132, -v132, v140, v141
	s_delay_alu instid0(VALU_DEP_1) | instskip(NEXT) | instid1(VALU_DEP_1)
	v_div_fmas_f32 v132, v132, v139, v140
	v_div_fixup_f32 v133, v132, v133, 1.0
	s_delay_alu instid0(VALU_DEP_1)
	v_mul_f32_e32 v132, v131, v133
	v_xor_b32_e32 v133, 0x80000000, v133
.LBB122_847:
	s_and_not1_saveexec_b32 s1, s1
	s_cbranch_execz .LBB122_849
; %bb.848:
	s_delay_alu instid0(VALU_DEP_1) | instskip(SKIP_1) | instid1(VALU_DEP_2)
	v_div_scale_f32 v131, null, v132, v132, v133
	v_div_scale_f32 v141, vcc_lo, v133, v132, v133
	v_rcp_f32_e32 v139, v131
	v_nop
	s_delay_alu instid0(TRANS32_DEP_1) | instskip(NEXT) | instid1(VALU_DEP_1)
	v_fma_f32 v140, -v131, v139, 1.0
	v_fmac_f32_e32 v139, v140, v139
	s_delay_alu instid0(VALU_DEP_1) | instskip(NEXT) | instid1(VALU_DEP_1)
	v_mul_f32_e32 v140, v141, v139
	v_fma_f32 v142, -v131, v140, v141
	s_delay_alu instid0(VALU_DEP_1) | instskip(NEXT) | instid1(VALU_DEP_1)
	v_fmac_f32_e32 v140, v142, v139
	v_fma_f32 v131, -v131, v140, v141
	s_delay_alu instid0(VALU_DEP_1) | instskip(NEXT) | instid1(VALU_DEP_1)
	v_div_fmas_f32 v131, v131, v139, v140
	v_div_fixup_f32 v131, v131, v132, v133
	s_delay_alu instid0(VALU_DEP_1) | instskip(NEXT) | instid1(VALU_DEP_1)
	v_fmac_f32_e32 v132, v133, v131
	v_div_scale_f32 v133, null, v132, v132, 1.0
	s_delay_alu instid0(VALU_DEP_1) | instskip(SKIP_1) | instid1(TRANS32_DEP_1)
	v_rcp_f32_e32 v139, v133
	v_nop
	v_fma_f32 v140, -v133, v139, 1.0
	s_delay_alu instid0(VALU_DEP_1) | instskip(SKIP_1) | instid1(VALU_DEP_1)
	v_fmac_f32_e32 v139, v140, v139
	v_div_scale_f32 v140, vcc_lo, 1.0, v132, 1.0
	v_mul_f32_e32 v141, v140, v139
	s_delay_alu instid0(VALU_DEP_1) | instskip(NEXT) | instid1(VALU_DEP_1)
	v_fma_f32 v142, -v133, v141, v140
	v_fmac_f32_e32 v141, v142, v139
	s_delay_alu instid0(VALU_DEP_1) | instskip(NEXT) | instid1(VALU_DEP_1)
	v_fma_f32 v133, -v133, v141, v140
	v_div_fmas_f32 v133, v133, v139, v141
	s_delay_alu instid0(VALU_DEP_1) | instskip(NEXT) | instid1(VALU_DEP_1)
	v_div_fixup_f32 v132, v133, v132, 1.0
	v_mul_f32_e64 v133, v131, -v132
.LBB122_849:
	s_or_b32 exec_lo, exec_lo, s1
.LBB122_850:
	s_delay_alu instid0(SALU_CYCLE_1) | instskip(NEXT) | instid1(SALU_CYCLE_1)
	s_or_b32 exec_lo, exec_lo, s0
	s_mov_b32 s0, exec_lo
	v_cmpx_ne_u32_e64 v138, v130
	s_xor_b32 s0, exec_lo, s0
	s_cbranch_execz .LBB122_856
; %bb.851:
	s_mov_b32 s1, exec_lo
	v_cmpx_eq_u32_e32 40, v138
	s_cbranch_execz .LBB122_855
; %bb.852:
	v_cmp_ne_u32_e32 vcc_lo, 40, v130
	s_xor_b32 s12, s16, -1
	s_delay_alu instid0(SALU_CYCLE_1) | instskip(NEXT) | instid1(SALU_CYCLE_1)
	s_and_b32 s13, s12, vcc_lo
	s_and_saveexec_b32 s12, s13
	s_cbranch_execz .LBB122_854
; %bb.853:
	v_ashrrev_i32_e32 v131, 31, v130
	s_delay_alu instid0(VALU_DEP_1)
	v_lshl_add_u64 v[138:139], v[130:131], 2, v[4:5]
	s_clause 0x1
	global_load_b32 v131, v[138:139], off
	global_load_b32 v137, v[4:5], off offset:160
	s_wait_loadcnt 0x1
	global_store_b32 v[4:5], v131, off offset:160
	s_wait_loadcnt 0x0
	global_store_b32 v[138:139], v137, off
.LBB122_854:
	s_wait_xcnt 0x0
	s_or_b32 exec_lo, exec_lo, s12
	v_dual_mov_b32 v138, v130 :: v_dual_mov_b32 v137, v130
.LBB122_855:
	s_or_b32 exec_lo, exec_lo, s1
.LBB122_856:
	s_and_not1_saveexec_b32 s0, s0
	s_cbranch_execz .LBB122_858
; %bb.857:
	v_mov_b32_e32 v138, 40
	ds_store_2addr_b64 v134, v[32:33], v[34:35] offset0:41 offset1:42
	ds_store_2addr_b64 v134, v[30:31], v[98:99] offset0:43 offset1:44
	;; [unrolled: 1-line block ×10, first 2 shown]
	ds_store_b64 v134, v[128:129] offset:488
.LBB122_858:
	s_or_b32 exec_lo, exec_lo, s0
	s_delay_alu instid0(SALU_CYCLE_1)
	s_mov_b32 s0, exec_lo
	s_wait_storecnt_dscnt 0x0
	s_barrier_signal -1
	s_barrier_wait -1
	v_cmpx_lt_i32_e32 40, v138
	s_cbranch_execz .LBB122_860
; %bb.859:
	v_pk_mul_f32 v[140:141], v[132:133], v[100:101] op_sel:[1,1] op_sel_hi:[0,1]
	s_delay_alu instid0(VALU_DEP_1)
	v_pk_fma_f32 v[130:131], v[132:133], v[100:101], v[140:141] op_sel_hi:[1,0,1] neg_lo:[0,0,1] neg_hi:[0,0,1]
	v_pk_fma_f32 v[132:133], v[132:133], v[100:101], v[140:141] op_sel_hi:[1,0,1]
	ds_load_2addr_b64 v[140:143], v134 offset0:41 offset1:42
	v_dual_mov_b32 v100, v130 :: v_dual_mov_b32 v101, v133
	s_wait_dscnt 0x0
	v_pk_mul_f32 v[144:145], v[140:141], v[132:133] op_sel:[0,1]
	s_delay_alu instid0(VALU_DEP_1) | instskip(SKIP_1) | instid1(VALU_DEP_1)
	v_pk_fma_f32 v[146:147], v[140:141], v[130:131], v[144:145] op_sel:[0,0,1] op_sel_hi:[1,1,0] neg_lo:[0,0,1] neg_hi:[0,0,1]
	v_pk_fma_f32 v[140:141], v[140:141], v[130:131], v[144:145] op_sel:[0,0,1] op_sel_hi:[1,0,0]
	v_mov_b32_e32 v147, v141
	v_pk_mul_f32 v[140:141], v[142:143], v[132:133] op_sel:[0,1]
	s_delay_alu instid0(VALU_DEP_1) | instskip(SKIP_1) | instid1(VALU_DEP_1)
	v_pk_fma_f32 v[144:145], v[142:143], v[130:131], v[140:141] op_sel:[0,0,1] op_sel_hi:[1,1,0] neg_lo:[0,0,1] neg_hi:[0,0,1]
	v_pk_fma_f32 v[140:141], v[142:143], v[130:131], v[140:141] op_sel:[0,0,1] op_sel_hi:[1,0,0]
	v_mov_b32_e32 v145, v141
	ds_load_2addr_b64 v[140:143], v134 offset0:43 offset1:44
	v_pk_add_f32 v[32:33], v[32:33], v[146:147] neg_lo:[0,1] neg_hi:[0,1]
	v_pk_add_f32 v[34:35], v[34:35], v[144:145] neg_lo:[0,1] neg_hi:[0,1]
	s_wait_dscnt 0x0
	v_pk_mul_f32 v[144:145], v[140:141], v[132:133] op_sel:[0,1]
	s_delay_alu instid0(VALU_DEP_1) | instskip(SKIP_2) | instid1(VALU_DEP_2)
	v_pk_fma_f32 v[146:147], v[140:141], v[130:131], v[144:145] op_sel:[0,0,1] op_sel_hi:[1,1,0] neg_lo:[0,0,1] neg_hi:[0,0,1]
	v_pk_fma_f32 v[140:141], v[140:141], v[130:131], v[144:145] op_sel:[0,0,1] op_sel_hi:[1,0,0]
	v_dual_mul_f32 v144, v143, v133 :: v_dual_mov_b32 v140, v143
	v_dual_mov_b32 v147, v141 :: v_dual_mov_b32 v141, v142
	s_delay_alu instid0(VALU_DEP_2) | instskip(SKIP_1) | instid1(VALU_DEP_3)
	v_pk_fma_f32 v[144:145], v[142:143], v[100:101], v[144:145] op_sel_hi:[1,1,0] neg_lo:[0,0,1] neg_hi:[0,0,1]
	v_mul_f32_e32 v142, v143, v130
	v_pk_add_f32 v[30:31], v[30:31], v[146:147] neg_lo:[0,1] neg_hi:[0,1]
	s_delay_alu instid0(VALU_DEP_2) | instskip(NEXT) | instid1(VALU_DEP_1)
	v_pk_fma_f32 v[140:141], v[140:141], v[100:101], v[142:143] op_sel_hi:[1,1,0]
	v_mov_b32_e32 v145, v141
	ds_load_2addr_b64 v[140:143], v134 offset0:45 offset1:46
	v_pk_add_f32 v[98:99], v[98:99], v[144:145] neg_lo:[0,1] neg_hi:[0,1]
	s_wait_dscnt 0x0
	v_pk_mul_f32 v[144:145], v[140:141], v[132:133] op_sel:[0,1]
	s_delay_alu instid0(VALU_DEP_1) | instskip(SKIP_1) | instid1(VALU_DEP_1)
	v_pk_fma_f32 v[146:147], v[140:141], v[130:131], v[144:145] op_sel:[0,0,1] op_sel_hi:[1,1,0] neg_lo:[0,0,1] neg_hi:[0,0,1]
	v_pk_fma_f32 v[140:141], v[140:141], v[130:131], v[144:145] op_sel:[0,0,1] op_sel_hi:[1,0,0]
	v_mov_b32_e32 v147, v141
	v_pk_mul_f32 v[140:141], v[142:143], v[132:133] op_sel:[0,1]
	s_delay_alu instid0(VALU_DEP_1) | instskip(SKIP_1) | instid1(VALU_DEP_1)
	v_pk_fma_f32 v[144:145], v[142:143], v[130:131], v[140:141] op_sel:[0,0,1] op_sel_hi:[1,1,0] neg_lo:[0,0,1] neg_hi:[0,0,1]
	v_pk_fma_f32 v[140:141], v[142:143], v[130:131], v[140:141] op_sel:[0,0,1] op_sel_hi:[1,0,0]
	v_mov_b32_e32 v145, v141
	ds_load_2addr_b64 v[140:143], v134 offset0:47 offset1:48
	v_pk_add_f32 v[24:25], v[24:25], v[146:147] neg_lo:[0,1] neg_hi:[0,1]
	v_pk_add_f32 v[28:29], v[28:29], v[144:145] neg_lo:[0,1] neg_hi:[0,1]
	s_wait_dscnt 0x0
	v_pk_mul_f32 v[144:145], v[140:141], v[132:133] op_sel:[0,1]
	s_delay_alu instid0(VALU_DEP_1) | instskip(SKIP_1) | instid1(VALU_DEP_1)
	v_pk_fma_f32 v[146:147], v[140:141], v[130:131], v[144:145] op_sel:[0,0,1] op_sel_hi:[1,1,0] neg_lo:[0,0,1] neg_hi:[0,0,1]
	v_pk_fma_f32 v[140:141], v[140:141], v[130:131], v[144:145] op_sel:[0,0,1] op_sel_hi:[1,0,0]
	v_mov_b32_e32 v147, v141
	v_pk_mul_f32 v[140:141], v[142:143], v[132:133] op_sel:[0,1]
	s_delay_alu instid0(VALU_DEP_1) | instskip(SKIP_1) | instid1(VALU_DEP_1)
	v_pk_fma_f32 v[144:145], v[142:143], v[130:131], v[140:141] op_sel:[0,0,1] op_sel_hi:[1,1,0] neg_lo:[0,0,1] neg_hi:[0,0,1]
	v_pk_fma_f32 v[140:141], v[142:143], v[130:131], v[140:141] op_sel:[0,0,1] op_sel_hi:[1,0,0]
	v_mov_b32_e32 v145, v141
	ds_load_2addr_b64 v[140:143], v134 offset0:49 offset1:50
	v_pk_add_f32 v[22:23], v[22:23], v[146:147] neg_lo:[0,1] neg_hi:[0,1]
	v_pk_add_f32 v[96:97], v[96:97], v[144:145] neg_lo:[0,1] neg_hi:[0,1]
	s_wait_dscnt 0x0
	v_dual_mul_f32 v144, v141, v133 :: v_dual_mul_f32 v146, v141, v130
	s_delay_alu instid0(VALU_DEP_1) | instskip(NEXT) | instid1(VALU_DEP_2)
	v_pk_fma_f32 v[144:145], v[140:141], v[100:101], v[144:145] op_sel_hi:[1,1,0] neg_lo:[0,0,1] neg_hi:[0,0,1]
	v_pk_fma_f32 v[140:141], v[140:141], v[100:101], v[146:147] op_sel:[1,0,0] op_sel_hi:[0,1,0]
	s_delay_alu instid0(VALU_DEP_1) | instskip(SKIP_1) | instid1(VALU_DEP_2)
	v_mov_b32_e32 v145, v141
	v_pk_mul_f32 v[140:141], v[142:143], v[132:133] op_sel:[0,1]
	v_pk_add_f32 v[18:19], v[18:19], v[144:145] neg_lo:[0,1] neg_hi:[0,1]
	s_delay_alu instid0(VALU_DEP_2) | instskip(SKIP_1) | instid1(VALU_DEP_1)
	v_pk_fma_f32 v[144:145], v[142:143], v[130:131], v[140:141] op_sel:[0,0,1] op_sel_hi:[1,1,0] neg_lo:[0,0,1] neg_hi:[0,0,1]
	v_pk_fma_f32 v[140:141], v[142:143], v[130:131], v[140:141] op_sel:[0,0,1] op_sel_hi:[1,0,0]
	v_mov_b32_e32 v145, v141
	ds_load_2addr_b64 v[140:143], v134 offset0:51 offset1:52
	v_pk_add_f32 v[20:21], v[20:21], v[144:145] neg_lo:[0,1] neg_hi:[0,1]
	s_wait_dscnt 0x0
	v_pk_mul_f32 v[144:145], v[140:141], v[132:133] op_sel:[0,1]
	s_delay_alu instid0(VALU_DEP_1) | instskip(SKIP_1) | instid1(VALU_DEP_1)
	v_pk_fma_f32 v[146:147], v[140:141], v[130:131], v[144:145] op_sel:[0,0,1] op_sel_hi:[1,1,0] neg_lo:[0,0,1] neg_hi:[0,0,1]
	v_pk_fma_f32 v[140:141], v[140:141], v[130:131], v[144:145] op_sel:[0,0,1] op_sel_hi:[1,0,0]
	v_mov_b32_e32 v147, v141
	v_pk_mul_f32 v[140:141], v[142:143], v[132:133] op_sel:[0,1]
	s_delay_alu instid0(VALU_DEP_2) | instskip(NEXT) | instid1(VALU_DEP_2)
	v_pk_add_f32 v[36:37], v[36:37], v[146:147] neg_lo:[0,1] neg_hi:[0,1]
	v_pk_fma_f32 v[144:145], v[142:143], v[130:131], v[140:141] op_sel:[0,0,1] op_sel_hi:[1,1,0] neg_lo:[0,0,1] neg_hi:[0,0,1]
	v_pk_fma_f32 v[140:141], v[142:143], v[130:131], v[140:141] op_sel:[0,0,1] op_sel_hi:[1,0,0]
	s_delay_alu instid0(VALU_DEP_1) | instskip(SKIP_4) | instid1(VALU_DEP_1)
	v_mov_b32_e32 v145, v141
	ds_load_2addr_b64 v[140:143], v134 offset0:53 offset1:54
	v_pk_add_f32 v[86:87], v[86:87], v[144:145] neg_lo:[0,1] neg_hi:[0,1]
	s_wait_dscnt 0x0
	v_pk_mul_f32 v[144:145], v[140:141], v[132:133] op_sel:[0,1]
	v_pk_fma_f32 v[146:147], v[140:141], v[130:131], v[144:145] op_sel:[0,0,1] op_sel_hi:[1,1,0] neg_lo:[0,0,1] neg_hi:[0,0,1]
	v_pk_fma_f32 v[140:141], v[140:141], v[130:131], v[144:145] op_sel:[0,0,1] op_sel_hi:[1,0,0]
	v_dual_mul_f32 v144, v143, v133 :: v_dual_mov_b32 v140, v143
	s_delay_alu instid0(VALU_DEP_2) | instskip(NEXT) | instid1(VALU_DEP_2)
	v_dual_mov_b32 v147, v141 :: v_dual_mov_b32 v141, v142
	v_pk_fma_f32 v[144:145], v[142:143], v[100:101], v[144:145] op_sel_hi:[1,1,0] neg_lo:[0,0,1] neg_hi:[0,0,1]
	v_mul_f32_e32 v142, v143, v130
	s_delay_alu instid0(VALU_DEP_3) | instskip(NEXT) | instid1(VALU_DEP_2)
	v_pk_add_f32 v[10:11], v[10:11], v[146:147] neg_lo:[0,1] neg_hi:[0,1]
	v_pk_fma_f32 v[140:141], v[140:141], v[100:101], v[142:143] op_sel_hi:[1,1,0]
	s_delay_alu instid0(VALU_DEP_1) | instskip(SKIP_4) | instid1(VALU_DEP_1)
	v_mov_b32_e32 v145, v141
	ds_load_2addr_b64 v[140:143], v134 offset0:55 offset1:56
	v_pk_add_f32 v[12:13], v[12:13], v[144:145] neg_lo:[0,1] neg_hi:[0,1]
	s_wait_dscnt 0x0
	v_pk_mul_f32 v[144:145], v[140:141], v[132:133] op_sel:[0,1]
	v_pk_fma_f32 v[146:147], v[140:141], v[130:131], v[144:145] op_sel:[0,0,1] op_sel_hi:[1,1,0] neg_lo:[0,0,1] neg_hi:[0,0,1]
	v_pk_fma_f32 v[140:141], v[140:141], v[130:131], v[144:145] op_sel:[0,0,1] op_sel_hi:[1,0,0]
	s_delay_alu instid0(VALU_DEP_1) | instskip(SKIP_1) | instid1(VALU_DEP_1)
	v_mov_b32_e32 v147, v141
	v_pk_mul_f32 v[140:141], v[142:143], v[132:133] op_sel:[0,1]
	v_pk_fma_f32 v[144:145], v[142:143], v[130:131], v[140:141] op_sel:[0,0,1] op_sel_hi:[1,1,0] neg_lo:[0,0,1] neg_hi:[0,0,1]
	v_pk_fma_f32 v[140:141], v[142:143], v[130:131], v[140:141] op_sel:[0,0,1] op_sel_hi:[1,0,0]
	s_delay_alu instid0(VALU_DEP_1)
	v_mov_b32_e32 v145, v141
	ds_load_2addr_b64 v[140:143], v134 offset0:57 offset1:58
	v_pk_add_f32 v[8:9], v[8:9], v[146:147] neg_lo:[0,1] neg_hi:[0,1]
	v_pk_add_f32 v[44:45], v[44:45], v[144:145] neg_lo:[0,1] neg_hi:[0,1]
	s_wait_dscnt 0x0
	v_pk_mul_f32 v[144:145], v[140:141], v[132:133] op_sel:[0,1]
	s_delay_alu instid0(VALU_DEP_1) | instskip(SKIP_1) | instid1(VALU_DEP_1)
	v_pk_fma_f32 v[146:147], v[140:141], v[130:131], v[144:145] op_sel:[0,0,1] op_sel_hi:[1,1,0] neg_lo:[0,0,1] neg_hi:[0,0,1]
	v_pk_fma_f32 v[140:141], v[140:141], v[130:131], v[144:145] op_sel:[0,0,1] op_sel_hi:[1,0,0]
	v_mov_b32_e32 v147, v141
	v_pk_mul_f32 v[140:141], v[142:143], v[132:133] op_sel:[0,1]
	s_delay_alu instid0(VALU_DEP_1) | instskip(SKIP_1) | instid1(VALU_DEP_1)
	v_pk_fma_f32 v[144:145], v[142:143], v[130:131], v[140:141] op_sel:[0,0,1] op_sel_hi:[1,1,0] neg_lo:[0,0,1] neg_hi:[0,0,1]
	v_pk_fma_f32 v[140:141], v[142:143], v[130:131], v[140:141] op_sel:[0,0,1] op_sel_hi:[1,0,0]
	v_mov_b32_e32 v145, v141
	ds_load_2addr_b64 v[140:143], v134 offset0:59 offset1:60
	v_pk_add_f32 v[6:7], v[6:7], v[146:147] neg_lo:[0,1] neg_hi:[0,1]
	v_pk_add_f32 v[26:27], v[26:27], v[144:145] neg_lo:[0,1] neg_hi:[0,1]
	s_wait_dscnt 0x0
	v_dual_mul_f32 v144, v141, v133 :: v_dual_mul_f32 v146, v141, v130
	s_delay_alu instid0(VALU_DEP_1) | instskip(NEXT) | instid1(VALU_DEP_2)
	v_pk_fma_f32 v[144:145], v[140:141], v[100:101], v[144:145] op_sel_hi:[1,1,0] neg_lo:[0,0,1] neg_hi:[0,0,1]
	v_pk_fma_f32 v[140:141], v[140:141], v[100:101], v[146:147] op_sel:[1,0,0] op_sel_hi:[0,1,0]
	s_delay_alu instid0(VALU_DEP_1) | instskip(SKIP_1) | instid1(VALU_DEP_2)
	v_mov_b32_e32 v145, v141
	v_pk_mul_f32 v[140:141], v[142:143], v[132:133] op_sel:[0,1]
	v_pk_add_f32 v[16:17], v[16:17], v[144:145] neg_lo:[0,1] neg_hi:[0,1]
	s_delay_alu instid0(VALU_DEP_2) | instskip(SKIP_1) | instid1(VALU_DEP_1)
	v_pk_fma_f32 v[144:145], v[142:143], v[130:131], v[140:141] op_sel:[0,0,1] op_sel_hi:[1,1,0] neg_lo:[0,0,1] neg_hi:[0,0,1]
	v_pk_fma_f32 v[140:141], v[142:143], v[130:131], v[140:141] op_sel:[0,0,1] op_sel_hi:[1,0,0]
	v_mov_b32_e32 v145, v141
	ds_load_b64 v[140:141], v134 offset:488
	v_pk_add_f32 v[14:15], v[14:15], v[144:145] neg_lo:[0,1] neg_hi:[0,1]
	s_wait_dscnt 0x0
	v_pk_mul_f32 v[132:133], v[140:141], v[132:133] op_sel:[0,1]
	s_delay_alu instid0(VALU_DEP_1) | instskip(SKIP_1) | instid1(VALU_DEP_1)
	v_pk_fma_f32 v[142:143], v[140:141], v[130:131], v[132:133] op_sel:[0,0,1] op_sel_hi:[1,1,0] neg_lo:[0,0,1] neg_hi:[0,0,1]
	v_pk_fma_f32 v[130:131], v[140:141], v[130:131], v[132:133] op_sel:[0,0,1] op_sel_hi:[1,0,0]
	v_mov_b32_e32 v143, v131
	s_delay_alu instid0(VALU_DEP_1)
	v_pk_add_f32 v[128:129], v[128:129], v[142:143] neg_lo:[0,1] neg_hi:[0,1]
.LBB122_860:
	s_or_b32 exec_lo, exec_lo, s0
	v_lshl_add_u32 v130, v138, 3, v134
	s_barrier_signal -1
	s_barrier_wait -1
	ds_store_b64 v130, v[32:33]
	s_wait_dscnt 0x0
	s_barrier_signal -1
	s_barrier_wait -1
	ds_load_b64 v[132:133], v134 offset:328
	v_mov_b32_e32 v130, 41
	s_cmp_lt_i32 s18, 43
	s_cbranch_scc1 .LBB122_863
; %bb.861:
	v_add3_u32 v131, v135, 0, 0x150
	v_mov_b32_e32 v130, 41
	s_mov_b32 s0, 42
.LBB122_862:                            ; =>This Inner Loop Header: Depth=1
	ds_load_b64 v[140:141], v131
	s_wait_dscnt 0x1
	v_cmp_gt_f32_e32 vcc_lo, 0, v132
	v_cndmask_b32_e64 v142, v132, -v132, vcc_lo
	v_cmp_gt_f32_e32 vcc_lo, 0, v133
	v_cndmask_b32_e64 v144, v133, -v133, vcc_lo
	s_wait_dscnt 0x0
	v_cmp_gt_f32_e32 vcc_lo, 0, v140
	v_cndmask_b32_e64 v143, v140, -v140, vcc_lo
	v_cmp_gt_f32_e32 vcc_lo, 0, v141
	v_cndmask_b32_e64 v145, v141, -v141, vcc_lo
	s_delay_alu instid0(VALU_DEP_1) | instskip(NEXT) | instid1(VALU_DEP_1)
	v_pk_add_f32 v[142:143], v[142:143], v[144:145]
	v_cmp_lt_f32_e32 vcc_lo, v142, v143
	v_dual_add_nc_u32 v131, 8, v131 :: v_dual_cndmask_b32 v133, v133, v141, vcc_lo
	v_cndmask_b32_e32 v132, v132, v140, vcc_lo
	v_cndmask_b32_e64 v130, v130, s0, vcc_lo
	s_add_co_i32 s0, s0, 1
	s_delay_alu instid0(SALU_CYCLE_1)
	s_cmp_lg_u32 s18, s0
	s_cbranch_scc1 .LBB122_862
.LBB122_863:
	s_wait_dscnt 0x0
	v_cmp_eq_f32_e32 vcc_lo, 0, v132
	v_cmp_eq_f32_e64 s0, 0, v133
	s_and_b32 s0, vcc_lo, s0
	s_delay_alu instid0(SALU_CYCLE_1) | instskip(NEXT) | instid1(SALU_CYCLE_1)
	s_and_saveexec_b32 s1, s0
	s_xor_b32 s0, exec_lo, s1
; %bb.864:
	v_cmp_ne_u32_e32 vcc_lo, 0, v136
	v_cndmask_b32_e32 v136, 42, v136, vcc_lo
; %bb.865:
	s_and_not1_saveexec_b32 s0, s0
	s_cbranch_execz .LBB122_871
; %bb.866:
	v_cmp_ngt_f32_e64 s1, |v132|, |v133|
	s_and_saveexec_b32 s12, s1
	s_delay_alu instid0(SALU_CYCLE_1)
	s_xor_b32 s1, exec_lo, s12
	s_cbranch_execz .LBB122_868
; %bb.867:
	v_div_scale_f32 v131, null, v133, v133, v132
	v_div_scale_f32 v141, vcc_lo, v132, v133, v132
	s_delay_alu instid0(VALU_DEP_2) | instskip(SKIP_1) | instid1(TRANS32_DEP_1)
	v_rcp_f32_e32 v139, v131
	v_nop
	v_fma_f32 v140, -v131, v139, 1.0
	s_delay_alu instid0(VALU_DEP_1) | instskip(NEXT) | instid1(VALU_DEP_1)
	v_fmac_f32_e32 v139, v140, v139
	v_mul_f32_e32 v140, v141, v139
	s_delay_alu instid0(VALU_DEP_1) | instskip(NEXT) | instid1(VALU_DEP_1)
	v_fma_f32 v142, -v131, v140, v141
	v_fmac_f32_e32 v140, v142, v139
	s_delay_alu instid0(VALU_DEP_1) | instskip(NEXT) | instid1(VALU_DEP_1)
	v_fma_f32 v131, -v131, v140, v141
	v_div_fmas_f32 v131, v131, v139, v140
	s_delay_alu instid0(VALU_DEP_1) | instskip(NEXT) | instid1(VALU_DEP_1)
	v_div_fixup_f32 v131, v131, v133, v132
	v_fmac_f32_e32 v133, v132, v131
	s_delay_alu instid0(VALU_DEP_1) | instskip(SKIP_1) | instid1(VALU_DEP_2)
	v_div_scale_f32 v132, null, v133, v133, 1.0
	v_div_scale_f32 v141, vcc_lo, 1.0, v133, 1.0
	v_rcp_f32_e32 v139, v132
	v_nop
	s_delay_alu instid0(TRANS32_DEP_1) | instskip(NEXT) | instid1(VALU_DEP_1)
	v_fma_f32 v140, -v132, v139, 1.0
	v_fmac_f32_e32 v139, v140, v139
	s_delay_alu instid0(VALU_DEP_1) | instskip(NEXT) | instid1(VALU_DEP_1)
	v_mul_f32_e32 v140, v141, v139
	v_fma_f32 v142, -v132, v140, v141
	s_delay_alu instid0(VALU_DEP_1) | instskip(NEXT) | instid1(VALU_DEP_1)
	v_fmac_f32_e32 v140, v142, v139
	v_fma_f32 v132, -v132, v140, v141
	s_delay_alu instid0(VALU_DEP_1) | instskip(NEXT) | instid1(VALU_DEP_1)
	v_div_fmas_f32 v132, v132, v139, v140
	v_div_fixup_f32 v133, v132, v133, 1.0
	s_delay_alu instid0(VALU_DEP_1)
	v_mul_f32_e32 v132, v131, v133
	v_xor_b32_e32 v133, 0x80000000, v133
.LBB122_868:
	s_and_not1_saveexec_b32 s1, s1
	s_cbranch_execz .LBB122_870
; %bb.869:
	s_delay_alu instid0(VALU_DEP_1) | instskip(SKIP_1) | instid1(VALU_DEP_2)
	v_div_scale_f32 v131, null, v132, v132, v133
	v_div_scale_f32 v141, vcc_lo, v133, v132, v133
	v_rcp_f32_e32 v139, v131
	v_nop
	s_delay_alu instid0(TRANS32_DEP_1) | instskip(NEXT) | instid1(VALU_DEP_1)
	v_fma_f32 v140, -v131, v139, 1.0
	v_fmac_f32_e32 v139, v140, v139
	s_delay_alu instid0(VALU_DEP_1) | instskip(NEXT) | instid1(VALU_DEP_1)
	v_mul_f32_e32 v140, v141, v139
	v_fma_f32 v142, -v131, v140, v141
	s_delay_alu instid0(VALU_DEP_1) | instskip(NEXT) | instid1(VALU_DEP_1)
	v_fmac_f32_e32 v140, v142, v139
	v_fma_f32 v131, -v131, v140, v141
	s_delay_alu instid0(VALU_DEP_1) | instskip(NEXT) | instid1(VALU_DEP_1)
	v_div_fmas_f32 v131, v131, v139, v140
	v_div_fixup_f32 v131, v131, v132, v133
	s_delay_alu instid0(VALU_DEP_1) | instskip(NEXT) | instid1(VALU_DEP_1)
	v_fmac_f32_e32 v132, v133, v131
	v_div_scale_f32 v133, null, v132, v132, 1.0
	s_delay_alu instid0(VALU_DEP_1) | instskip(SKIP_1) | instid1(TRANS32_DEP_1)
	v_rcp_f32_e32 v139, v133
	v_nop
	v_fma_f32 v140, -v133, v139, 1.0
	s_delay_alu instid0(VALU_DEP_1) | instskip(SKIP_1) | instid1(VALU_DEP_1)
	v_fmac_f32_e32 v139, v140, v139
	v_div_scale_f32 v140, vcc_lo, 1.0, v132, 1.0
	v_mul_f32_e32 v141, v140, v139
	s_delay_alu instid0(VALU_DEP_1) | instskip(NEXT) | instid1(VALU_DEP_1)
	v_fma_f32 v142, -v133, v141, v140
	v_fmac_f32_e32 v141, v142, v139
	s_delay_alu instid0(VALU_DEP_1) | instskip(NEXT) | instid1(VALU_DEP_1)
	v_fma_f32 v133, -v133, v141, v140
	v_div_fmas_f32 v133, v133, v139, v141
	s_delay_alu instid0(VALU_DEP_1) | instskip(NEXT) | instid1(VALU_DEP_1)
	v_div_fixup_f32 v132, v133, v132, 1.0
	v_mul_f32_e64 v133, v131, -v132
.LBB122_870:
	s_or_b32 exec_lo, exec_lo, s1
.LBB122_871:
	s_delay_alu instid0(SALU_CYCLE_1) | instskip(NEXT) | instid1(SALU_CYCLE_1)
	s_or_b32 exec_lo, exec_lo, s0
	s_mov_b32 s0, exec_lo
	v_cmpx_ne_u32_e64 v138, v130
	s_xor_b32 s0, exec_lo, s0
	s_cbranch_execz .LBB122_877
; %bb.872:
	s_mov_b32 s1, exec_lo
	v_cmpx_eq_u32_e32 41, v138
	s_cbranch_execz .LBB122_876
; %bb.873:
	v_cmp_ne_u32_e32 vcc_lo, 41, v130
	s_xor_b32 s12, s16, -1
	s_delay_alu instid0(SALU_CYCLE_1) | instskip(NEXT) | instid1(SALU_CYCLE_1)
	s_and_b32 s13, s12, vcc_lo
	s_and_saveexec_b32 s12, s13
	s_cbranch_execz .LBB122_875
; %bb.874:
	v_ashrrev_i32_e32 v131, 31, v130
	s_delay_alu instid0(VALU_DEP_1)
	v_lshl_add_u64 v[138:139], v[130:131], 2, v[4:5]
	s_clause 0x1
	global_load_b32 v131, v[138:139], off
	global_load_b32 v137, v[4:5], off offset:164
	s_wait_loadcnt 0x1
	global_store_b32 v[4:5], v131, off offset:164
	s_wait_loadcnt 0x0
	global_store_b32 v[138:139], v137, off
.LBB122_875:
	s_wait_xcnt 0x0
	s_or_b32 exec_lo, exec_lo, s12
	v_dual_mov_b32 v138, v130 :: v_dual_mov_b32 v137, v130
.LBB122_876:
	s_or_b32 exec_lo, exec_lo, s1
.LBB122_877:
	s_and_not1_saveexec_b32 s0, s0
	s_cbranch_execz .LBB122_879
; %bb.878:
	v_dual_mov_b32 v130, v34 :: v_dual_mov_b32 v131, v35
	v_dual_mov_b32 v138, v30 :: v_dual_mov_b32 v139, v31
	;; [unrolled: 1-line block ×12, first 2 shown]
	ds_store_2addr_b64 v134, v[130:131], v[138:139] offset0:42 offset1:43
	ds_store_2addr_b64 v134, v[140:141], v[142:143] offset0:44 offset1:45
	;; [unrolled: 1-line block ×6, first 2 shown]
	v_dual_mov_b32 v130, v12 :: v_dual_mov_b32 v131, v13
	v_dual_mov_b32 v140, v8 :: v_dual_mov_b32 v141, v9
	;; [unrolled: 1-line block ×7, first 2 shown]
	v_mov_b32_e32 v151, v15
	ds_store_2addr_b64 v134, v[130:131], v[140:141] offset0:54 offset1:55
	ds_store_2addr_b64 v134, v[142:143], v[144:145] offset0:56 offset1:57
	;; [unrolled: 1-line block ×4, first 2 shown]
.LBB122_879:
	s_or_b32 exec_lo, exec_lo, s0
	s_delay_alu instid0(SALU_CYCLE_1)
	s_mov_b32 s0, exec_lo
	s_wait_storecnt_dscnt 0x0
	s_barrier_signal -1
	s_barrier_wait -1
	v_cmpx_lt_i32_e32 41, v138
	s_cbranch_execz .LBB122_881
; %bb.880:
	v_pk_mul_f32 v[140:141], v[132:133], v[32:33] op_sel:[1,1] op_sel_hi:[0,1]
	s_delay_alu instid0(VALU_DEP_1)
	v_pk_fma_f32 v[130:131], v[132:133], v[32:33], v[140:141] op_sel_hi:[1,0,1] neg_lo:[0,0,1] neg_hi:[0,0,1]
	v_pk_fma_f32 v[132:133], v[132:133], v[32:33], v[140:141] op_sel_hi:[1,0,1]
	ds_load_2addr_b64 v[140:143], v134 offset0:42 offset1:43
	v_dual_mov_b32 v32, v130 :: v_dual_mov_b32 v33, v133
	s_wait_dscnt 0x0
	v_pk_mul_f32 v[144:145], v[140:141], v[132:133] op_sel:[0,1]
	s_delay_alu instid0(VALU_DEP_1) | instskip(SKIP_1) | instid1(VALU_DEP_1)
	v_pk_fma_f32 v[146:147], v[140:141], v[130:131], v[144:145] op_sel:[0,0,1] op_sel_hi:[1,1,0] neg_lo:[0,0,1] neg_hi:[0,0,1]
	v_pk_fma_f32 v[140:141], v[140:141], v[130:131], v[144:145] op_sel:[0,0,1] op_sel_hi:[1,0,0]
	v_mov_b32_e32 v147, v141
	v_pk_mul_f32 v[140:141], v[142:143], v[132:133] op_sel:[0,1]
	s_delay_alu instid0(VALU_DEP_1) | instskip(SKIP_1) | instid1(VALU_DEP_1)
	v_pk_fma_f32 v[144:145], v[142:143], v[130:131], v[140:141] op_sel:[0,0,1] op_sel_hi:[1,1,0] neg_lo:[0,0,1] neg_hi:[0,0,1]
	v_pk_fma_f32 v[140:141], v[142:143], v[130:131], v[140:141] op_sel:[0,0,1] op_sel_hi:[1,0,0]
	v_mov_b32_e32 v145, v141
	ds_load_2addr_b64 v[140:143], v134 offset0:44 offset1:45
	v_pk_add_f32 v[34:35], v[34:35], v[146:147] neg_lo:[0,1] neg_hi:[0,1]
	v_pk_add_f32 v[30:31], v[30:31], v[144:145] neg_lo:[0,1] neg_hi:[0,1]
	s_wait_dscnt 0x0
	v_pk_mul_f32 v[144:145], v[140:141], v[132:133] op_sel:[0,1]
	s_delay_alu instid0(VALU_DEP_1) | instskip(SKIP_2) | instid1(VALU_DEP_2)
	v_pk_fma_f32 v[146:147], v[140:141], v[130:131], v[144:145] op_sel:[0,0,1] op_sel_hi:[1,1,0] neg_lo:[0,0,1] neg_hi:[0,0,1]
	v_pk_fma_f32 v[140:141], v[140:141], v[130:131], v[144:145] op_sel:[0,0,1] op_sel_hi:[1,0,0]
	v_dual_mul_f32 v144, v143, v133 :: v_dual_mov_b32 v140, v143
	v_dual_mov_b32 v147, v141 :: v_dual_mov_b32 v141, v142
	s_delay_alu instid0(VALU_DEP_2) | instskip(SKIP_1) | instid1(VALU_DEP_3)
	v_pk_fma_f32 v[144:145], v[142:143], v[32:33], v[144:145] op_sel_hi:[1,1,0] neg_lo:[0,0,1] neg_hi:[0,0,1]
	v_mul_f32_e32 v142, v143, v130
	v_pk_add_f32 v[98:99], v[98:99], v[146:147] neg_lo:[0,1] neg_hi:[0,1]
	s_delay_alu instid0(VALU_DEP_2) | instskip(NEXT) | instid1(VALU_DEP_1)
	v_pk_fma_f32 v[140:141], v[140:141], v[32:33], v[142:143] op_sel_hi:[1,1,0]
	v_mov_b32_e32 v145, v141
	ds_load_2addr_b64 v[140:143], v134 offset0:46 offset1:47
	v_pk_add_f32 v[24:25], v[24:25], v[144:145] neg_lo:[0,1] neg_hi:[0,1]
	s_wait_dscnt 0x0
	v_pk_mul_f32 v[144:145], v[140:141], v[132:133] op_sel:[0,1]
	s_delay_alu instid0(VALU_DEP_1) | instskip(SKIP_1) | instid1(VALU_DEP_1)
	v_pk_fma_f32 v[146:147], v[140:141], v[130:131], v[144:145] op_sel:[0,0,1] op_sel_hi:[1,1,0] neg_lo:[0,0,1] neg_hi:[0,0,1]
	v_pk_fma_f32 v[140:141], v[140:141], v[130:131], v[144:145] op_sel:[0,0,1] op_sel_hi:[1,0,0]
	v_mov_b32_e32 v147, v141
	v_pk_mul_f32 v[140:141], v[142:143], v[132:133] op_sel:[0,1]
	s_delay_alu instid0(VALU_DEP_1) | instskip(SKIP_1) | instid1(VALU_DEP_1)
	v_pk_fma_f32 v[144:145], v[142:143], v[130:131], v[140:141] op_sel:[0,0,1] op_sel_hi:[1,1,0] neg_lo:[0,0,1] neg_hi:[0,0,1]
	v_pk_fma_f32 v[140:141], v[142:143], v[130:131], v[140:141] op_sel:[0,0,1] op_sel_hi:[1,0,0]
	v_mov_b32_e32 v145, v141
	ds_load_2addr_b64 v[140:143], v134 offset0:48 offset1:49
	v_pk_add_f32 v[28:29], v[28:29], v[146:147] neg_lo:[0,1] neg_hi:[0,1]
	v_pk_add_f32 v[22:23], v[22:23], v[144:145] neg_lo:[0,1] neg_hi:[0,1]
	s_wait_dscnt 0x0
	v_pk_mul_f32 v[144:145], v[140:141], v[132:133] op_sel:[0,1]
	s_delay_alu instid0(VALU_DEP_1) | instskip(SKIP_1) | instid1(VALU_DEP_1)
	v_pk_fma_f32 v[146:147], v[140:141], v[130:131], v[144:145] op_sel:[0,0,1] op_sel_hi:[1,1,0] neg_lo:[0,0,1] neg_hi:[0,0,1]
	v_pk_fma_f32 v[140:141], v[140:141], v[130:131], v[144:145] op_sel:[0,0,1] op_sel_hi:[1,0,0]
	v_mov_b32_e32 v147, v141
	v_pk_mul_f32 v[140:141], v[142:143], v[132:133] op_sel:[0,1]
	s_delay_alu instid0(VALU_DEP_1) | instskip(SKIP_1) | instid1(VALU_DEP_1)
	v_pk_fma_f32 v[144:145], v[142:143], v[130:131], v[140:141] op_sel:[0,0,1] op_sel_hi:[1,1,0] neg_lo:[0,0,1] neg_hi:[0,0,1]
	v_pk_fma_f32 v[140:141], v[142:143], v[130:131], v[140:141] op_sel:[0,0,1] op_sel_hi:[1,0,0]
	v_mov_b32_e32 v145, v141
	ds_load_2addr_b64 v[140:143], v134 offset0:50 offset1:51
	v_pk_add_f32 v[96:97], v[96:97], v[146:147] neg_lo:[0,1] neg_hi:[0,1]
	v_pk_add_f32 v[18:19], v[18:19], v[144:145] neg_lo:[0,1] neg_hi:[0,1]
	s_wait_dscnt 0x0
	v_dual_mul_f32 v144, v141, v133 :: v_dual_mul_f32 v146, v141, v130
	s_delay_alu instid0(VALU_DEP_1) | instskip(NEXT) | instid1(VALU_DEP_2)
	v_pk_fma_f32 v[144:145], v[140:141], v[32:33], v[144:145] op_sel_hi:[1,1,0] neg_lo:[0,0,1] neg_hi:[0,0,1]
	v_pk_fma_f32 v[140:141], v[140:141], v[32:33], v[146:147] op_sel:[1,0,0] op_sel_hi:[0,1,0]
	s_delay_alu instid0(VALU_DEP_1) | instskip(SKIP_1) | instid1(VALU_DEP_2)
	v_mov_b32_e32 v145, v141
	v_pk_mul_f32 v[140:141], v[142:143], v[132:133] op_sel:[0,1]
	v_pk_add_f32 v[20:21], v[20:21], v[144:145] neg_lo:[0,1] neg_hi:[0,1]
	s_delay_alu instid0(VALU_DEP_2) | instskip(SKIP_1) | instid1(VALU_DEP_1)
	v_pk_fma_f32 v[144:145], v[142:143], v[130:131], v[140:141] op_sel:[0,0,1] op_sel_hi:[1,1,0] neg_lo:[0,0,1] neg_hi:[0,0,1]
	v_pk_fma_f32 v[140:141], v[142:143], v[130:131], v[140:141] op_sel:[0,0,1] op_sel_hi:[1,0,0]
	v_mov_b32_e32 v145, v141
	ds_load_2addr_b64 v[140:143], v134 offset0:52 offset1:53
	v_pk_add_f32 v[36:37], v[36:37], v[144:145] neg_lo:[0,1] neg_hi:[0,1]
	s_wait_dscnt 0x0
	v_pk_mul_f32 v[144:145], v[140:141], v[132:133] op_sel:[0,1]
	s_delay_alu instid0(VALU_DEP_1) | instskip(SKIP_1) | instid1(VALU_DEP_1)
	v_pk_fma_f32 v[146:147], v[140:141], v[130:131], v[144:145] op_sel:[0,0,1] op_sel_hi:[1,1,0] neg_lo:[0,0,1] neg_hi:[0,0,1]
	v_pk_fma_f32 v[140:141], v[140:141], v[130:131], v[144:145] op_sel:[0,0,1] op_sel_hi:[1,0,0]
	v_mov_b32_e32 v147, v141
	v_pk_mul_f32 v[140:141], v[142:143], v[132:133] op_sel:[0,1]
	s_delay_alu instid0(VALU_DEP_2) | instskip(NEXT) | instid1(VALU_DEP_2)
	v_pk_add_f32 v[86:87], v[86:87], v[146:147] neg_lo:[0,1] neg_hi:[0,1]
	v_pk_fma_f32 v[144:145], v[142:143], v[130:131], v[140:141] op_sel:[0,0,1] op_sel_hi:[1,1,0] neg_lo:[0,0,1] neg_hi:[0,0,1]
	v_pk_fma_f32 v[140:141], v[142:143], v[130:131], v[140:141] op_sel:[0,0,1] op_sel_hi:[1,0,0]
	s_delay_alu instid0(VALU_DEP_1) | instskip(SKIP_4) | instid1(VALU_DEP_1)
	v_mov_b32_e32 v145, v141
	ds_load_2addr_b64 v[140:143], v134 offset0:54 offset1:55
	v_pk_add_f32 v[10:11], v[10:11], v[144:145] neg_lo:[0,1] neg_hi:[0,1]
	s_wait_dscnt 0x0
	v_pk_mul_f32 v[144:145], v[140:141], v[132:133] op_sel:[0,1]
	v_pk_fma_f32 v[146:147], v[140:141], v[130:131], v[144:145] op_sel:[0,0,1] op_sel_hi:[1,1,0] neg_lo:[0,0,1] neg_hi:[0,0,1]
	v_pk_fma_f32 v[140:141], v[140:141], v[130:131], v[144:145] op_sel:[0,0,1] op_sel_hi:[1,0,0]
	v_dual_mul_f32 v144, v143, v133 :: v_dual_mov_b32 v140, v143
	s_delay_alu instid0(VALU_DEP_2) | instskip(NEXT) | instid1(VALU_DEP_2)
	v_dual_mov_b32 v147, v141 :: v_dual_mov_b32 v141, v142
	v_pk_fma_f32 v[144:145], v[142:143], v[32:33], v[144:145] op_sel_hi:[1,1,0] neg_lo:[0,0,1] neg_hi:[0,0,1]
	v_mul_f32_e32 v142, v143, v130
	s_delay_alu instid0(VALU_DEP_3) | instskip(NEXT) | instid1(VALU_DEP_2)
	v_pk_add_f32 v[12:13], v[12:13], v[146:147] neg_lo:[0,1] neg_hi:[0,1]
	v_pk_fma_f32 v[140:141], v[140:141], v[32:33], v[142:143] op_sel_hi:[1,1,0]
	s_delay_alu instid0(VALU_DEP_1) | instskip(SKIP_4) | instid1(VALU_DEP_1)
	v_mov_b32_e32 v145, v141
	ds_load_2addr_b64 v[140:143], v134 offset0:56 offset1:57
	v_pk_add_f32 v[8:9], v[8:9], v[144:145] neg_lo:[0,1] neg_hi:[0,1]
	s_wait_dscnt 0x0
	v_pk_mul_f32 v[144:145], v[140:141], v[132:133] op_sel:[0,1]
	v_pk_fma_f32 v[146:147], v[140:141], v[130:131], v[144:145] op_sel:[0,0,1] op_sel_hi:[1,1,0] neg_lo:[0,0,1] neg_hi:[0,0,1]
	v_pk_fma_f32 v[140:141], v[140:141], v[130:131], v[144:145] op_sel:[0,0,1] op_sel_hi:[1,0,0]
	s_delay_alu instid0(VALU_DEP_1) | instskip(SKIP_1) | instid1(VALU_DEP_1)
	v_mov_b32_e32 v147, v141
	v_pk_mul_f32 v[140:141], v[142:143], v[132:133] op_sel:[0,1]
	v_pk_fma_f32 v[144:145], v[142:143], v[130:131], v[140:141] op_sel:[0,0,1] op_sel_hi:[1,1,0] neg_lo:[0,0,1] neg_hi:[0,0,1]
	v_pk_fma_f32 v[140:141], v[142:143], v[130:131], v[140:141] op_sel:[0,0,1] op_sel_hi:[1,0,0]
	s_delay_alu instid0(VALU_DEP_1)
	v_mov_b32_e32 v145, v141
	ds_load_2addr_b64 v[140:143], v134 offset0:58 offset1:59
	v_pk_add_f32 v[44:45], v[44:45], v[146:147] neg_lo:[0,1] neg_hi:[0,1]
	v_pk_add_f32 v[6:7], v[6:7], v[144:145] neg_lo:[0,1] neg_hi:[0,1]
	s_wait_dscnt 0x0
	v_pk_mul_f32 v[144:145], v[140:141], v[132:133] op_sel:[0,1]
	s_delay_alu instid0(VALU_DEP_1) | instskip(SKIP_1) | instid1(VALU_DEP_1)
	v_pk_fma_f32 v[146:147], v[140:141], v[130:131], v[144:145] op_sel:[0,0,1] op_sel_hi:[1,1,0] neg_lo:[0,0,1] neg_hi:[0,0,1]
	v_pk_fma_f32 v[140:141], v[140:141], v[130:131], v[144:145] op_sel:[0,0,1] op_sel_hi:[1,0,0]
	v_mov_b32_e32 v147, v141
	v_pk_mul_f32 v[140:141], v[142:143], v[132:133] op_sel:[0,1]
	s_delay_alu instid0(VALU_DEP_1) | instskip(SKIP_1) | instid1(VALU_DEP_1)
	v_pk_fma_f32 v[144:145], v[142:143], v[130:131], v[140:141] op_sel:[0,0,1] op_sel_hi:[1,1,0] neg_lo:[0,0,1] neg_hi:[0,0,1]
	v_pk_fma_f32 v[140:141], v[142:143], v[130:131], v[140:141] op_sel:[0,0,1] op_sel_hi:[1,0,0]
	v_mov_b32_e32 v145, v141
	ds_load_2addr_b64 v[140:143], v134 offset0:60 offset1:61
	v_pk_add_f32 v[26:27], v[26:27], v[146:147] neg_lo:[0,1] neg_hi:[0,1]
	v_pk_add_f32 v[16:17], v[16:17], v[144:145] neg_lo:[0,1] neg_hi:[0,1]
	s_wait_dscnt 0x0
	v_dual_mul_f32 v144, v141, v133 :: v_dual_mul_f32 v146, v141, v130
	v_pk_mul_f32 v[132:133], v[142:143], v[132:133] op_sel:[0,1]
	s_delay_alu instid0(VALU_DEP_2) | instskip(NEXT) | instid1(VALU_DEP_3)
	v_pk_fma_f32 v[144:145], v[140:141], v[32:33], v[144:145] op_sel_hi:[1,1,0] neg_lo:[0,0,1] neg_hi:[0,0,1]
	v_pk_fma_f32 v[140:141], v[140:141], v[32:33], v[146:147] op_sel:[1,0,0] op_sel_hi:[0,1,0]
	s_delay_alu instid0(VALU_DEP_1) | instskip(NEXT) | instid1(VALU_DEP_4)
	v_mov_b32_e32 v145, v141
	v_pk_fma_f32 v[140:141], v[142:143], v[130:131], v[132:133] op_sel:[0,0,1] op_sel_hi:[1,1,0] neg_lo:[0,0,1] neg_hi:[0,0,1]
	v_pk_fma_f32 v[130:131], v[142:143], v[130:131], v[132:133] op_sel:[0,0,1] op_sel_hi:[1,0,0]
	s_delay_alu instid0(VALU_DEP_1) | instskip(NEXT) | instid1(VALU_DEP_4)
	v_mov_b32_e32 v141, v131
	v_pk_add_f32 v[14:15], v[14:15], v[144:145] neg_lo:[0,1] neg_hi:[0,1]
	s_delay_alu instid0(VALU_DEP_2)
	v_pk_add_f32 v[128:129], v[128:129], v[140:141] neg_lo:[0,1] neg_hi:[0,1]
.LBB122_881:
	s_or_b32 exec_lo, exec_lo, s0
	v_lshl_add_u32 v130, v138, 3, v134
	s_barrier_signal -1
	s_barrier_wait -1
	ds_store_b64 v130, v[34:35]
	s_wait_dscnt 0x0
	s_barrier_signal -1
	s_barrier_wait -1
	ds_load_b64 v[132:133], v134 offset:336
	v_mov_b32_e32 v130, 42
	s_cmp_lt_i32 s18, 44
	s_cbranch_scc1 .LBB122_884
; %bb.882:
	v_add3_u32 v131, v135, 0, 0x158
	v_mov_b32_e32 v130, 42
	s_mov_b32 s0, 43
.LBB122_883:                            ; =>This Inner Loop Header: Depth=1
	ds_load_b64 v[140:141], v131
	s_wait_dscnt 0x1
	v_cmp_gt_f32_e32 vcc_lo, 0, v132
	v_cndmask_b32_e64 v142, v132, -v132, vcc_lo
	v_cmp_gt_f32_e32 vcc_lo, 0, v133
	v_cndmask_b32_e64 v144, v133, -v133, vcc_lo
	s_wait_dscnt 0x0
	v_cmp_gt_f32_e32 vcc_lo, 0, v140
	v_cndmask_b32_e64 v143, v140, -v140, vcc_lo
	v_cmp_gt_f32_e32 vcc_lo, 0, v141
	v_cndmask_b32_e64 v145, v141, -v141, vcc_lo
	s_delay_alu instid0(VALU_DEP_1) | instskip(NEXT) | instid1(VALU_DEP_1)
	v_pk_add_f32 v[142:143], v[142:143], v[144:145]
	v_cmp_lt_f32_e32 vcc_lo, v142, v143
	v_dual_add_nc_u32 v131, 8, v131 :: v_dual_cndmask_b32 v133, v133, v141, vcc_lo
	v_cndmask_b32_e32 v132, v132, v140, vcc_lo
	v_cndmask_b32_e64 v130, v130, s0, vcc_lo
	s_add_co_i32 s0, s0, 1
	s_delay_alu instid0(SALU_CYCLE_1)
	s_cmp_lg_u32 s18, s0
	s_cbranch_scc1 .LBB122_883
.LBB122_884:
	s_wait_dscnt 0x0
	v_cmp_eq_f32_e32 vcc_lo, 0, v132
	v_cmp_eq_f32_e64 s0, 0, v133
	s_and_b32 s0, vcc_lo, s0
	s_delay_alu instid0(SALU_CYCLE_1) | instskip(NEXT) | instid1(SALU_CYCLE_1)
	s_and_saveexec_b32 s1, s0
	s_xor_b32 s0, exec_lo, s1
; %bb.885:
	v_cmp_ne_u32_e32 vcc_lo, 0, v136
	v_cndmask_b32_e32 v136, 43, v136, vcc_lo
; %bb.886:
	s_and_not1_saveexec_b32 s0, s0
	s_cbranch_execz .LBB122_892
; %bb.887:
	v_cmp_ngt_f32_e64 s1, |v132|, |v133|
	s_and_saveexec_b32 s12, s1
	s_delay_alu instid0(SALU_CYCLE_1)
	s_xor_b32 s1, exec_lo, s12
	s_cbranch_execz .LBB122_889
; %bb.888:
	v_div_scale_f32 v131, null, v133, v133, v132
	v_div_scale_f32 v141, vcc_lo, v132, v133, v132
	s_delay_alu instid0(VALU_DEP_2) | instskip(SKIP_1) | instid1(TRANS32_DEP_1)
	v_rcp_f32_e32 v139, v131
	v_nop
	v_fma_f32 v140, -v131, v139, 1.0
	s_delay_alu instid0(VALU_DEP_1) | instskip(NEXT) | instid1(VALU_DEP_1)
	v_fmac_f32_e32 v139, v140, v139
	v_mul_f32_e32 v140, v141, v139
	s_delay_alu instid0(VALU_DEP_1) | instskip(NEXT) | instid1(VALU_DEP_1)
	v_fma_f32 v142, -v131, v140, v141
	v_fmac_f32_e32 v140, v142, v139
	s_delay_alu instid0(VALU_DEP_1) | instskip(NEXT) | instid1(VALU_DEP_1)
	v_fma_f32 v131, -v131, v140, v141
	v_div_fmas_f32 v131, v131, v139, v140
	s_delay_alu instid0(VALU_DEP_1) | instskip(NEXT) | instid1(VALU_DEP_1)
	v_div_fixup_f32 v131, v131, v133, v132
	v_fmac_f32_e32 v133, v132, v131
	s_delay_alu instid0(VALU_DEP_1) | instskip(SKIP_1) | instid1(VALU_DEP_2)
	v_div_scale_f32 v132, null, v133, v133, 1.0
	v_div_scale_f32 v141, vcc_lo, 1.0, v133, 1.0
	v_rcp_f32_e32 v139, v132
	v_nop
	s_delay_alu instid0(TRANS32_DEP_1) | instskip(NEXT) | instid1(VALU_DEP_1)
	v_fma_f32 v140, -v132, v139, 1.0
	v_fmac_f32_e32 v139, v140, v139
	s_delay_alu instid0(VALU_DEP_1) | instskip(NEXT) | instid1(VALU_DEP_1)
	v_mul_f32_e32 v140, v141, v139
	v_fma_f32 v142, -v132, v140, v141
	s_delay_alu instid0(VALU_DEP_1) | instskip(NEXT) | instid1(VALU_DEP_1)
	v_fmac_f32_e32 v140, v142, v139
	v_fma_f32 v132, -v132, v140, v141
	s_delay_alu instid0(VALU_DEP_1) | instskip(NEXT) | instid1(VALU_DEP_1)
	v_div_fmas_f32 v132, v132, v139, v140
	v_div_fixup_f32 v133, v132, v133, 1.0
	s_delay_alu instid0(VALU_DEP_1)
	v_mul_f32_e32 v132, v131, v133
	v_xor_b32_e32 v133, 0x80000000, v133
.LBB122_889:
	s_and_not1_saveexec_b32 s1, s1
	s_cbranch_execz .LBB122_891
; %bb.890:
	s_delay_alu instid0(VALU_DEP_1) | instskip(SKIP_1) | instid1(VALU_DEP_2)
	v_div_scale_f32 v131, null, v132, v132, v133
	v_div_scale_f32 v141, vcc_lo, v133, v132, v133
	v_rcp_f32_e32 v139, v131
	v_nop
	s_delay_alu instid0(TRANS32_DEP_1) | instskip(NEXT) | instid1(VALU_DEP_1)
	v_fma_f32 v140, -v131, v139, 1.0
	v_fmac_f32_e32 v139, v140, v139
	s_delay_alu instid0(VALU_DEP_1) | instskip(NEXT) | instid1(VALU_DEP_1)
	v_mul_f32_e32 v140, v141, v139
	v_fma_f32 v142, -v131, v140, v141
	s_delay_alu instid0(VALU_DEP_1) | instskip(NEXT) | instid1(VALU_DEP_1)
	v_fmac_f32_e32 v140, v142, v139
	v_fma_f32 v131, -v131, v140, v141
	s_delay_alu instid0(VALU_DEP_1) | instskip(NEXT) | instid1(VALU_DEP_1)
	v_div_fmas_f32 v131, v131, v139, v140
	v_div_fixup_f32 v131, v131, v132, v133
	s_delay_alu instid0(VALU_DEP_1) | instskip(NEXT) | instid1(VALU_DEP_1)
	v_fmac_f32_e32 v132, v133, v131
	v_div_scale_f32 v133, null, v132, v132, 1.0
	s_delay_alu instid0(VALU_DEP_1) | instskip(SKIP_1) | instid1(TRANS32_DEP_1)
	v_rcp_f32_e32 v139, v133
	v_nop
	v_fma_f32 v140, -v133, v139, 1.0
	s_delay_alu instid0(VALU_DEP_1) | instskip(SKIP_1) | instid1(VALU_DEP_1)
	v_fmac_f32_e32 v139, v140, v139
	v_div_scale_f32 v140, vcc_lo, 1.0, v132, 1.0
	v_mul_f32_e32 v141, v140, v139
	s_delay_alu instid0(VALU_DEP_1) | instskip(NEXT) | instid1(VALU_DEP_1)
	v_fma_f32 v142, -v133, v141, v140
	v_fmac_f32_e32 v141, v142, v139
	s_delay_alu instid0(VALU_DEP_1) | instskip(NEXT) | instid1(VALU_DEP_1)
	v_fma_f32 v133, -v133, v141, v140
	v_div_fmas_f32 v133, v133, v139, v141
	s_delay_alu instid0(VALU_DEP_1) | instskip(NEXT) | instid1(VALU_DEP_1)
	v_div_fixup_f32 v132, v133, v132, 1.0
	v_mul_f32_e64 v133, v131, -v132
.LBB122_891:
	s_or_b32 exec_lo, exec_lo, s1
.LBB122_892:
	s_delay_alu instid0(SALU_CYCLE_1) | instskip(NEXT) | instid1(SALU_CYCLE_1)
	s_or_b32 exec_lo, exec_lo, s0
	s_mov_b32 s0, exec_lo
	v_cmpx_ne_u32_e64 v138, v130
	s_xor_b32 s0, exec_lo, s0
	s_cbranch_execz .LBB122_898
; %bb.893:
	s_mov_b32 s1, exec_lo
	v_cmpx_eq_u32_e32 42, v138
	s_cbranch_execz .LBB122_897
; %bb.894:
	v_cmp_ne_u32_e32 vcc_lo, 42, v130
	s_xor_b32 s12, s16, -1
	s_delay_alu instid0(SALU_CYCLE_1) | instskip(NEXT) | instid1(SALU_CYCLE_1)
	s_and_b32 s13, s12, vcc_lo
	s_and_saveexec_b32 s12, s13
	s_cbranch_execz .LBB122_896
; %bb.895:
	v_ashrrev_i32_e32 v131, 31, v130
	s_delay_alu instid0(VALU_DEP_1)
	v_lshl_add_u64 v[138:139], v[130:131], 2, v[4:5]
	s_clause 0x1
	global_load_b32 v131, v[138:139], off
	global_load_b32 v137, v[4:5], off offset:168
	s_wait_loadcnt 0x1
	global_store_b32 v[4:5], v131, off offset:168
	s_wait_loadcnt 0x0
	global_store_b32 v[138:139], v137, off
.LBB122_896:
	s_wait_xcnt 0x0
	s_or_b32 exec_lo, exec_lo, s12
	v_dual_mov_b32 v138, v130 :: v_dual_mov_b32 v137, v130
.LBB122_897:
	s_or_b32 exec_lo, exec_lo, s1
.LBB122_898:
	s_and_not1_saveexec_b32 s0, s0
	s_cbranch_execz .LBB122_900
; %bb.899:
	v_mov_b32_e32 v138, 42
	ds_store_2addr_b64 v134, v[30:31], v[98:99] offset0:43 offset1:44
	ds_store_2addr_b64 v134, v[24:25], v[28:29] offset0:45 offset1:46
	;; [unrolled: 1-line block ×9, first 2 shown]
	ds_store_b64 v134, v[128:129] offset:488
.LBB122_900:
	s_or_b32 exec_lo, exec_lo, s0
	s_delay_alu instid0(SALU_CYCLE_1)
	s_mov_b32 s0, exec_lo
	s_wait_storecnt_dscnt 0x0
	s_barrier_signal -1
	s_barrier_wait -1
	v_cmpx_lt_i32_e32 42, v138
	s_cbranch_execz .LBB122_902
; %bb.901:
	v_pk_mul_f32 v[140:141], v[132:133], v[34:35] op_sel:[1,1] op_sel_hi:[0,1]
	s_delay_alu instid0(VALU_DEP_1)
	v_pk_fma_f32 v[130:131], v[132:133], v[34:35], v[140:141] op_sel_hi:[1,0,1] neg_lo:[0,0,1] neg_hi:[0,0,1]
	v_pk_fma_f32 v[132:133], v[132:133], v[34:35], v[140:141] op_sel_hi:[1,0,1]
	ds_load_2addr_b64 v[140:143], v134 offset0:43 offset1:44
	v_dual_mov_b32 v34, v130 :: v_dual_mov_b32 v35, v133
	s_wait_dscnt 0x0
	v_pk_mul_f32 v[144:145], v[140:141], v[132:133] op_sel:[0,1]
	s_delay_alu instid0(VALU_DEP_1) | instskip(SKIP_1) | instid1(VALU_DEP_1)
	v_pk_fma_f32 v[146:147], v[140:141], v[130:131], v[144:145] op_sel:[0,0,1] op_sel_hi:[1,1,0] neg_lo:[0,0,1] neg_hi:[0,0,1]
	v_pk_fma_f32 v[140:141], v[140:141], v[130:131], v[144:145] op_sel:[0,0,1] op_sel_hi:[1,0,0]
	v_mov_b32_e32 v147, v141
	v_pk_mul_f32 v[140:141], v[142:143], v[132:133] op_sel:[0,1]
	s_delay_alu instid0(VALU_DEP_1) | instskip(SKIP_1) | instid1(VALU_DEP_1)
	v_pk_fma_f32 v[144:145], v[142:143], v[130:131], v[140:141] op_sel:[0,0,1] op_sel_hi:[1,1,0] neg_lo:[0,0,1] neg_hi:[0,0,1]
	v_pk_fma_f32 v[140:141], v[142:143], v[130:131], v[140:141] op_sel:[0,0,1] op_sel_hi:[1,0,0]
	v_mov_b32_e32 v145, v141
	ds_load_2addr_b64 v[140:143], v134 offset0:45 offset1:46
	v_pk_add_f32 v[30:31], v[30:31], v[146:147] neg_lo:[0,1] neg_hi:[0,1]
	v_pk_add_f32 v[98:99], v[98:99], v[144:145] neg_lo:[0,1] neg_hi:[0,1]
	s_wait_dscnt 0x0
	v_pk_mul_f32 v[144:145], v[140:141], v[132:133] op_sel:[0,1]
	s_delay_alu instid0(VALU_DEP_1) | instskip(SKIP_2) | instid1(VALU_DEP_2)
	v_pk_fma_f32 v[146:147], v[140:141], v[130:131], v[144:145] op_sel:[0,0,1] op_sel_hi:[1,1,0] neg_lo:[0,0,1] neg_hi:[0,0,1]
	v_pk_fma_f32 v[140:141], v[140:141], v[130:131], v[144:145] op_sel:[0,0,1] op_sel_hi:[1,0,0]
	v_dual_mul_f32 v144, v143, v133 :: v_dual_mov_b32 v140, v143
	v_dual_mov_b32 v147, v141 :: v_dual_mov_b32 v141, v142
	s_delay_alu instid0(VALU_DEP_2) | instskip(SKIP_1) | instid1(VALU_DEP_3)
	v_pk_fma_f32 v[144:145], v[142:143], v[34:35], v[144:145] op_sel_hi:[1,1,0] neg_lo:[0,0,1] neg_hi:[0,0,1]
	v_mul_f32_e32 v142, v143, v130
	v_pk_add_f32 v[24:25], v[24:25], v[146:147] neg_lo:[0,1] neg_hi:[0,1]
	s_delay_alu instid0(VALU_DEP_2) | instskip(NEXT) | instid1(VALU_DEP_1)
	v_pk_fma_f32 v[140:141], v[140:141], v[34:35], v[142:143] op_sel_hi:[1,1,0]
	v_mov_b32_e32 v145, v141
	ds_load_2addr_b64 v[140:143], v134 offset0:47 offset1:48
	v_pk_add_f32 v[28:29], v[28:29], v[144:145] neg_lo:[0,1] neg_hi:[0,1]
	s_wait_dscnt 0x0
	v_pk_mul_f32 v[144:145], v[140:141], v[132:133] op_sel:[0,1]
	s_delay_alu instid0(VALU_DEP_1) | instskip(SKIP_1) | instid1(VALU_DEP_1)
	v_pk_fma_f32 v[146:147], v[140:141], v[130:131], v[144:145] op_sel:[0,0,1] op_sel_hi:[1,1,0] neg_lo:[0,0,1] neg_hi:[0,0,1]
	v_pk_fma_f32 v[140:141], v[140:141], v[130:131], v[144:145] op_sel:[0,0,1] op_sel_hi:[1,0,0]
	v_mov_b32_e32 v147, v141
	v_pk_mul_f32 v[140:141], v[142:143], v[132:133] op_sel:[0,1]
	s_delay_alu instid0(VALU_DEP_1) | instskip(SKIP_1) | instid1(VALU_DEP_1)
	v_pk_fma_f32 v[144:145], v[142:143], v[130:131], v[140:141] op_sel:[0,0,1] op_sel_hi:[1,1,0] neg_lo:[0,0,1] neg_hi:[0,0,1]
	v_pk_fma_f32 v[140:141], v[142:143], v[130:131], v[140:141] op_sel:[0,0,1] op_sel_hi:[1,0,0]
	v_mov_b32_e32 v145, v141
	ds_load_2addr_b64 v[140:143], v134 offset0:49 offset1:50
	v_pk_add_f32 v[22:23], v[22:23], v[146:147] neg_lo:[0,1] neg_hi:[0,1]
	v_pk_add_f32 v[96:97], v[96:97], v[144:145] neg_lo:[0,1] neg_hi:[0,1]
	s_wait_dscnt 0x0
	v_pk_mul_f32 v[144:145], v[140:141], v[132:133] op_sel:[0,1]
	s_delay_alu instid0(VALU_DEP_1) | instskip(SKIP_1) | instid1(VALU_DEP_1)
	v_pk_fma_f32 v[146:147], v[140:141], v[130:131], v[144:145] op_sel:[0,0,1] op_sel_hi:[1,1,0] neg_lo:[0,0,1] neg_hi:[0,0,1]
	v_pk_fma_f32 v[140:141], v[140:141], v[130:131], v[144:145] op_sel:[0,0,1] op_sel_hi:[1,0,0]
	v_mov_b32_e32 v147, v141
	v_pk_mul_f32 v[140:141], v[142:143], v[132:133] op_sel:[0,1]
	s_delay_alu instid0(VALU_DEP_1) | instskip(SKIP_1) | instid1(VALU_DEP_1)
	v_pk_fma_f32 v[144:145], v[142:143], v[130:131], v[140:141] op_sel:[0,0,1] op_sel_hi:[1,1,0] neg_lo:[0,0,1] neg_hi:[0,0,1]
	v_pk_fma_f32 v[140:141], v[142:143], v[130:131], v[140:141] op_sel:[0,0,1] op_sel_hi:[1,0,0]
	v_mov_b32_e32 v145, v141
	ds_load_2addr_b64 v[140:143], v134 offset0:51 offset1:52
	v_pk_add_f32 v[18:19], v[18:19], v[146:147] neg_lo:[0,1] neg_hi:[0,1]
	v_pk_add_f32 v[20:21], v[20:21], v[144:145] neg_lo:[0,1] neg_hi:[0,1]
	s_wait_dscnt 0x0
	v_dual_mul_f32 v144, v141, v133 :: v_dual_mul_f32 v146, v141, v130
	s_delay_alu instid0(VALU_DEP_1) | instskip(NEXT) | instid1(VALU_DEP_2)
	v_pk_fma_f32 v[144:145], v[140:141], v[34:35], v[144:145] op_sel_hi:[1,1,0] neg_lo:[0,0,1] neg_hi:[0,0,1]
	v_pk_fma_f32 v[140:141], v[140:141], v[34:35], v[146:147] op_sel:[1,0,0] op_sel_hi:[0,1,0]
	s_delay_alu instid0(VALU_DEP_1) | instskip(SKIP_1) | instid1(VALU_DEP_2)
	v_mov_b32_e32 v145, v141
	v_pk_mul_f32 v[140:141], v[142:143], v[132:133] op_sel:[0,1]
	v_pk_add_f32 v[36:37], v[36:37], v[144:145] neg_lo:[0,1] neg_hi:[0,1]
	s_delay_alu instid0(VALU_DEP_2) | instskip(SKIP_1) | instid1(VALU_DEP_1)
	v_pk_fma_f32 v[144:145], v[142:143], v[130:131], v[140:141] op_sel:[0,0,1] op_sel_hi:[1,1,0] neg_lo:[0,0,1] neg_hi:[0,0,1]
	v_pk_fma_f32 v[140:141], v[142:143], v[130:131], v[140:141] op_sel:[0,0,1] op_sel_hi:[1,0,0]
	v_mov_b32_e32 v145, v141
	ds_load_2addr_b64 v[140:143], v134 offset0:53 offset1:54
	v_pk_add_f32 v[86:87], v[86:87], v[144:145] neg_lo:[0,1] neg_hi:[0,1]
	s_wait_dscnt 0x0
	v_pk_mul_f32 v[144:145], v[140:141], v[132:133] op_sel:[0,1]
	s_delay_alu instid0(VALU_DEP_1) | instskip(SKIP_1) | instid1(VALU_DEP_1)
	v_pk_fma_f32 v[146:147], v[140:141], v[130:131], v[144:145] op_sel:[0,0,1] op_sel_hi:[1,1,0] neg_lo:[0,0,1] neg_hi:[0,0,1]
	v_pk_fma_f32 v[140:141], v[140:141], v[130:131], v[144:145] op_sel:[0,0,1] op_sel_hi:[1,0,0]
	v_mov_b32_e32 v147, v141
	v_pk_mul_f32 v[140:141], v[142:143], v[132:133] op_sel:[0,1]
	s_delay_alu instid0(VALU_DEP_2) | instskip(NEXT) | instid1(VALU_DEP_2)
	v_pk_add_f32 v[10:11], v[10:11], v[146:147] neg_lo:[0,1] neg_hi:[0,1]
	v_pk_fma_f32 v[144:145], v[142:143], v[130:131], v[140:141] op_sel:[0,0,1] op_sel_hi:[1,1,0] neg_lo:[0,0,1] neg_hi:[0,0,1]
	v_pk_fma_f32 v[140:141], v[142:143], v[130:131], v[140:141] op_sel:[0,0,1] op_sel_hi:[1,0,0]
	s_delay_alu instid0(VALU_DEP_1) | instskip(SKIP_4) | instid1(VALU_DEP_1)
	v_mov_b32_e32 v145, v141
	ds_load_2addr_b64 v[140:143], v134 offset0:55 offset1:56
	v_pk_add_f32 v[12:13], v[12:13], v[144:145] neg_lo:[0,1] neg_hi:[0,1]
	s_wait_dscnt 0x0
	v_pk_mul_f32 v[144:145], v[140:141], v[132:133] op_sel:[0,1]
	v_pk_fma_f32 v[146:147], v[140:141], v[130:131], v[144:145] op_sel:[0,0,1] op_sel_hi:[1,1,0] neg_lo:[0,0,1] neg_hi:[0,0,1]
	v_pk_fma_f32 v[140:141], v[140:141], v[130:131], v[144:145] op_sel:[0,0,1] op_sel_hi:[1,0,0]
	v_dual_mul_f32 v144, v143, v133 :: v_dual_mov_b32 v140, v143
	s_delay_alu instid0(VALU_DEP_2) | instskip(NEXT) | instid1(VALU_DEP_2)
	v_dual_mov_b32 v147, v141 :: v_dual_mov_b32 v141, v142
	v_pk_fma_f32 v[144:145], v[142:143], v[34:35], v[144:145] op_sel_hi:[1,1,0] neg_lo:[0,0,1] neg_hi:[0,0,1]
	v_mul_f32_e32 v142, v143, v130
	s_delay_alu instid0(VALU_DEP_3) | instskip(NEXT) | instid1(VALU_DEP_2)
	v_pk_add_f32 v[8:9], v[8:9], v[146:147] neg_lo:[0,1] neg_hi:[0,1]
	v_pk_fma_f32 v[140:141], v[140:141], v[34:35], v[142:143] op_sel_hi:[1,1,0]
	s_delay_alu instid0(VALU_DEP_1) | instskip(SKIP_4) | instid1(VALU_DEP_1)
	v_mov_b32_e32 v145, v141
	ds_load_2addr_b64 v[140:143], v134 offset0:57 offset1:58
	v_pk_add_f32 v[44:45], v[44:45], v[144:145] neg_lo:[0,1] neg_hi:[0,1]
	s_wait_dscnt 0x0
	v_pk_mul_f32 v[144:145], v[140:141], v[132:133] op_sel:[0,1]
	v_pk_fma_f32 v[146:147], v[140:141], v[130:131], v[144:145] op_sel:[0,0,1] op_sel_hi:[1,1,0] neg_lo:[0,0,1] neg_hi:[0,0,1]
	v_pk_fma_f32 v[140:141], v[140:141], v[130:131], v[144:145] op_sel:[0,0,1] op_sel_hi:[1,0,0]
	s_delay_alu instid0(VALU_DEP_1) | instskip(SKIP_1) | instid1(VALU_DEP_1)
	v_mov_b32_e32 v147, v141
	v_pk_mul_f32 v[140:141], v[142:143], v[132:133] op_sel:[0,1]
	v_pk_fma_f32 v[144:145], v[142:143], v[130:131], v[140:141] op_sel:[0,0,1] op_sel_hi:[1,1,0] neg_lo:[0,0,1] neg_hi:[0,0,1]
	v_pk_fma_f32 v[140:141], v[142:143], v[130:131], v[140:141] op_sel:[0,0,1] op_sel_hi:[1,0,0]
	s_delay_alu instid0(VALU_DEP_1)
	v_mov_b32_e32 v145, v141
	ds_load_2addr_b64 v[140:143], v134 offset0:59 offset1:60
	v_pk_add_f32 v[6:7], v[6:7], v[146:147] neg_lo:[0,1] neg_hi:[0,1]
	v_pk_add_f32 v[26:27], v[26:27], v[144:145] neg_lo:[0,1] neg_hi:[0,1]
	s_wait_dscnt 0x0
	v_pk_mul_f32 v[144:145], v[140:141], v[132:133] op_sel:[0,1]
	s_delay_alu instid0(VALU_DEP_1) | instskip(SKIP_1) | instid1(VALU_DEP_1)
	v_pk_fma_f32 v[146:147], v[140:141], v[130:131], v[144:145] op_sel:[0,0,1] op_sel_hi:[1,1,0] neg_lo:[0,0,1] neg_hi:[0,0,1]
	v_pk_fma_f32 v[140:141], v[140:141], v[130:131], v[144:145] op_sel:[0,0,1] op_sel_hi:[1,0,0]
	v_mov_b32_e32 v147, v141
	v_pk_mul_f32 v[140:141], v[142:143], v[132:133] op_sel:[0,1]
	s_delay_alu instid0(VALU_DEP_1) | instskip(SKIP_1) | instid1(VALU_DEP_1)
	v_pk_fma_f32 v[144:145], v[142:143], v[130:131], v[140:141] op_sel:[0,0,1] op_sel_hi:[1,1,0] neg_lo:[0,0,1] neg_hi:[0,0,1]
	v_pk_fma_f32 v[140:141], v[142:143], v[130:131], v[140:141] op_sel:[0,0,1] op_sel_hi:[1,0,0]
	v_mov_b32_e32 v145, v141
	ds_load_b64 v[140:141], v134 offset:488
	v_pk_add_f32 v[16:17], v[16:17], v[146:147] neg_lo:[0,1] neg_hi:[0,1]
	v_pk_add_f32 v[14:15], v[14:15], v[144:145] neg_lo:[0,1] neg_hi:[0,1]
	s_wait_dscnt 0x0
	v_pk_mul_f32 v[132:133], v[140:141], v[132:133] op_sel:[0,1]
	s_delay_alu instid0(VALU_DEP_1) | instskip(SKIP_1) | instid1(VALU_DEP_1)
	v_pk_fma_f32 v[142:143], v[140:141], v[130:131], v[132:133] op_sel:[0,0,1] op_sel_hi:[1,1,0] neg_lo:[0,0,1] neg_hi:[0,0,1]
	v_pk_fma_f32 v[130:131], v[140:141], v[130:131], v[132:133] op_sel:[0,0,1] op_sel_hi:[1,0,0]
	v_mov_b32_e32 v143, v131
	s_delay_alu instid0(VALU_DEP_1)
	v_pk_add_f32 v[128:129], v[128:129], v[142:143] neg_lo:[0,1] neg_hi:[0,1]
.LBB122_902:
	s_or_b32 exec_lo, exec_lo, s0
	v_lshl_add_u32 v130, v138, 3, v134
	s_barrier_signal -1
	s_barrier_wait -1
	ds_store_b64 v130, v[30:31]
	s_wait_dscnt 0x0
	s_barrier_signal -1
	s_barrier_wait -1
	ds_load_b64 v[130:131], v134 offset:344
	v_mov_b32_e32 v132, 43
	s_cmp_lt_i32 s18, 45
	s_cbranch_scc1 .LBB122_905
; %bb.903:
	v_add3_u32 v133, v135, 0, 0x160
	v_mov_b32_e32 v132, 43
	s_mov_b32 s0, 44
.LBB122_904:                            ; =>This Inner Loop Header: Depth=1
	ds_load_b64 v[140:141], v133
	s_wait_dscnt 0x1
	v_cmp_gt_f32_e32 vcc_lo, 0, v130
	v_cndmask_b32_e64 v142, v130, -v130, vcc_lo
	v_cmp_gt_f32_e32 vcc_lo, 0, v131
	v_cndmask_b32_e64 v144, v131, -v131, vcc_lo
	s_wait_dscnt 0x0
	v_cmp_gt_f32_e32 vcc_lo, 0, v140
	v_cndmask_b32_e64 v143, v140, -v140, vcc_lo
	v_cmp_gt_f32_e32 vcc_lo, 0, v141
	v_cndmask_b32_e64 v145, v141, -v141, vcc_lo
	s_delay_alu instid0(VALU_DEP_1) | instskip(NEXT) | instid1(VALU_DEP_1)
	v_pk_add_f32 v[142:143], v[142:143], v[144:145]
	v_cmp_lt_f32_e32 vcc_lo, v142, v143
	v_dual_cndmask_b32 v130, v130, v140 :: v_dual_add_nc_u32 v133, 8, v133
	v_cndmask_b32_e32 v131, v131, v141, vcc_lo
	v_cndmask_b32_e64 v132, v132, s0, vcc_lo
	s_add_co_i32 s0, s0, 1
	s_delay_alu instid0(SALU_CYCLE_1)
	s_cmp_lg_u32 s18, s0
	s_cbranch_scc1 .LBB122_904
.LBB122_905:
	s_wait_dscnt 0x0
	v_cmp_eq_f32_e32 vcc_lo, 0, v130
	v_cmp_eq_f32_e64 s0, 0, v131
	s_and_b32 s0, vcc_lo, s0
	s_delay_alu instid0(SALU_CYCLE_1) | instskip(NEXT) | instid1(SALU_CYCLE_1)
	s_and_saveexec_b32 s1, s0
	s_xor_b32 s0, exec_lo, s1
; %bb.906:
	v_cmp_ne_u32_e32 vcc_lo, 0, v136
	v_cndmask_b32_e32 v136, 44, v136, vcc_lo
; %bb.907:
	s_and_not1_saveexec_b32 s0, s0
	s_cbranch_execz .LBB122_913
; %bb.908:
	v_cmp_ngt_f32_e64 s1, |v130|, |v131|
	s_and_saveexec_b32 s12, s1
	s_delay_alu instid0(SALU_CYCLE_1)
	s_xor_b32 s1, exec_lo, s12
	s_cbranch_execz .LBB122_910
; %bb.909:
	v_div_scale_f32 v133, null, v131, v131, v130
	v_div_scale_f32 v141, vcc_lo, v130, v131, v130
	s_delay_alu instid0(VALU_DEP_2) | instskip(SKIP_1) | instid1(TRANS32_DEP_1)
	v_rcp_f32_e32 v139, v133
	v_nop
	v_fma_f32 v140, -v133, v139, 1.0
	s_delay_alu instid0(VALU_DEP_1) | instskip(NEXT) | instid1(VALU_DEP_1)
	v_fmac_f32_e32 v139, v140, v139
	v_mul_f32_e32 v140, v141, v139
	s_delay_alu instid0(VALU_DEP_1) | instskip(NEXT) | instid1(VALU_DEP_1)
	v_fma_f32 v142, -v133, v140, v141
	v_fmac_f32_e32 v140, v142, v139
	s_delay_alu instid0(VALU_DEP_1) | instskip(NEXT) | instid1(VALU_DEP_1)
	v_fma_f32 v133, -v133, v140, v141
	v_div_fmas_f32 v133, v133, v139, v140
	s_delay_alu instid0(VALU_DEP_1) | instskip(NEXT) | instid1(VALU_DEP_1)
	v_div_fixup_f32 v133, v133, v131, v130
	v_fmac_f32_e32 v131, v130, v133
	s_delay_alu instid0(VALU_DEP_1) | instskip(SKIP_1) | instid1(VALU_DEP_2)
	v_div_scale_f32 v130, null, v131, v131, 1.0
	v_div_scale_f32 v141, vcc_lo, 1.0, v131, 1.0
	v_rcp_f32_e32 v139, v130
	v_nop
	s_delay_alu instid0(TRANS32_DEP_1) | instskip(NEXT) | instid1(VALU_DEP_1)
	v_fma_f32 v140, -v130, v139, 1.0
	v_fmac_f32_e32 v139, v140, v139
	s_delay_alu instid0(VALU_DEP_1) | instskip(NEXT) | instid1(VALU_DEP_1)
	v_mul_f32_e32 v140, v141, v139
	v_fma_f32 v142, -v130, v140, v141
	s_delay_alu instid0(VALU_DEP_1) | instskip(NEXT) | instid1(VALU_DEP_1)
	v_fmac_f32_e32 v140, v142, v139
	v_fma_f32 v130, -v130, v140, v141
	s_delay_alu instid0(VALU_DEP_1) | instskip(NEXT) | instid1(VALU_DEP_1)
	v_div_fmas_f32 v130, v130, v139, v140
	v_div_fixup_f32 v131, v130, v131, 1.0
	s_delay_alu instid0(VALU_DEP_1)
	v_mul_f32_e32 v130, v133, v131
	v_xor_b32_e32 v131, 0x80000000, v131
.LBB122_910:
	s_and_not1_saveexec_b32 s1, s1
	s_cbranch_execz .LBB122_912
; %bb.911:
	s_delay_alu instid0(VALU_DEP_1) | instskip(SKIP_1) | instid1(VALU_DEP_2)
	v_div_scale_f32 v133, null, v130, v130, v131
	v_div_scale_f32 v141, vcc_lo, v131, v130, v131
	v_rcp_f32_e32 v139, v133
	v_nop
	s_delay_alu instid0(TRANS32_DEP_1) | instskip(NEXT) | instid1(VALU_DEP_1)
	v_fma_f32 v140, -v133, v139, 1.0
	v_fmac_f32_e32 v139, v140, v139
	s_delay_alu instid0(VALU_DEP_1) | instskip(NEXT) | instid1(VALU_DEP_1)
	v_mul_f32_e32 v140, v141, v139
	v_fma_f32 v142, -v133, v140, v141
	s_delay_alu instid0(VALU_DEP_1) | instskip(NEXT) | instid1(VALU_DEP_1)
	v_fmac_f32_e32 v140, v142, v139
	v_fma_f32 v133, -v133, v140, v141
	s_delay_alu instid0(VALU_DEP_1) | instskip(NEXT) | instid1(VALU_DEP_1)
	v_div_fmas_f32 v133, v133, v139, v140
	v_div_fixup_f32 v133, v133, v130, v131
	s_delay_alu instid0(VALU_DEP_1) | instskip(NEXT) | instid1(VALU_DEP_1)
	v_fmac_f32_e32 v130, v131, v133
	v_div_scale_f32 v131, null, v130, v130, 1.0
	s_delay_alu instid0(VALU_DEP_1) | instskip(SKIP_1) | instid1(TRANS32_DEP_1)
	v_rcp_f32_e32 v139, v131
	v_nop
	v_fma_f32 v140, -v131, v139, 1.0
	s_delay_alu instid0(VALU_DEP_1) | instskip(SKIP_1) | instid1(VALU_DEP_1)
	v_fmac_f32_e32 v139, v140, v139
	v_div_scale_f32 v140, vcc_lo, 1.0, v130, 1.0
	v_mul_f32_e32 v141, v140, v139
	s_delay_alu instid0(VALU_DEP_1) | instskip(NEXT) | instid1(VALU_DEP_1)
	v_fma_f32 v142, -v131, v141, v140
	v_fmac_f32_e32 v141, v142, v139
	s_delay_alu instid0(VALU_DEP_1) | instskip(NEXT) | instid1(VALU_DEP_1)
	v_fma_f32 v131, -v131, v141, v140
	v_div_fmas_f32 v131, v131, v139, v141
	s_delay_alu instid0(VALU_DEP_1) | instskip(NEXT) | instid1(VALU_DEP_1)
	v_div_fixup_f32 v130, v131, v130, 1.0
	v_mul_f32_e64 v131, v133, -v130
.LBB122_912:
	s_or_b32 exec_lo, exec_lo, s1
.LBB122_913:
	s_delay_alu instid0(SALU_CYCLE_1) | instskip(NEXT) | instid1(SALU_CYCLE_1)
	s_or_b32 exec_lo, exec_lo, s0
	s_mov_b32 s0, exec_lo
	v_cmpx_ne_u32_e64 v138, v132
	s_xor_b32 s0, exec_lo, s0
	s_cbranch_execz .LBB122_919
; %bb.914:
	s_mov_b32 s1, exec_lo
	v_cmpx_eq_u32_e32 43, v138
	s_cbranch_execz .LBB122_918
; %bb.915:
	v_cmp_ne_u32_e32 vcc_lo, 43, v132
	s_xor_b32 s12, s16, -1
	s_delay_alu instid0(SALU_CYCLE_1) | instskip(NEXT) | instid1(SALU_CYCLE_1)
	s_and_b32 s13, s12, vcc_lo
	s_and_saveexec_b32 s12, s13
	s_cbranch_execz .LBB122_917
; %bb.916:
	v_ashrrev_i32_e32 v133, 31, v132
	s_delay_alu instid0(VALU_DEP_1)
	v_lshl_add_u64 v[138:139], v[132:133], 2, v[4:5]
	s_clause 0x1
	global_load_b32 v133, v[138:139], off
	global_load_b32 v137, v[4:5], off offset:172
	s_wait_loadcnt 0x1
	global_store_b32 v[4:5], v133, off offset:172
	s_wait_loadcnt 0x0
	global_store_b32 v[138:139], v137, off
.LBB122_917:
	s_wait_xcnt 0x0
	s_or_b32 exec_lo, exec_lo, s12
	v_dual_mov_b32 v138, v132 :: v_dual_mov_b32 v137, v132
.LBB122_918:
	s_or_b32 exec_lo, exec_lo, s1
.LBB122_919:
	s_and_not1_saveexec_b32 s0, s0
	s_cbranch_execz .LBB122_921
; %bb.920:
	v_dual_mov_b32 v132, v98 :: v_dual_mov_b32 v133, v99
	v_dual_mov_b32 v138, v24 :: v_dual_mov_b32 v139, v25
	;; [unrolled: 1-line block ×8, first 2 shown]
	ds_store_2addr_b64 v134, v[132:133], v[138:139] offset0:44 offset1:45
	ds_store_2addr_b64 v134, v[140:141], v[142:143] offset0:46 offset1:47
	;; [unrolled: 1-line block ×4, first 2 shown]
	v_dual_mov_b32 v132, v86 :: v_dual_mov_b32 v133, v87
	v_dual_mov_b32 v140, v10 :: v_dual_mov_b32 v141, v11
	;; [unrolled: 1-line block ×9, first 2 shown]
	v_mov_b32_e32 v155, v15
	ds_store_2addr_b64 v134, v[132:133], v[140:141] offset0:52 offset1:53
	ds_store_2addr_b64 v134, v[142:143], v[144:145] offset0:54 offset1:55
	;; [unrolled: 1-line block ×5, first 2 shown]
.LBB122_921:
	s_or_b32 exec_lo, exec_lo, s0
	s_delay_alu instid0(SALU_CYCLE_1)
	s_mov_b32 s0, exec_lo
	s_wait_storecnt_dscnt 0x0
	s_barrier_signal -1
	s_barrier_wait -1
	v_cmpx_lt_i32_e32 43, v138
	s_cbranch_execz .LBB122_923
; %bb.922:
	v_pk_mul_f32 v[140:141], v[130:131], v[30:31] op_sel:[1,1] op_sel_hi:[0,1]
	s_delay_alu instid0(VALU_DEP_1)
	v_pk_fma_f32 v[132:133], v[130:131], v[30:31], v[140:141] op_sel_hi:[1,0,1] neg_lo:[0,0,1] neg_hi:[0,0,1]
	v_pk_fma_f32 v[130:131], v[130:131], v[30:31], v[140:141] op_sel_hi:[1,0,1]
	ds_load_2addr_b64 v[140:143], v134 offset0:44 offset1:45
	v_dual_mov_b32 v30, v132 :: v_dual_mov_b32 v31, v131
	s_wait_dscnt 0x0
	v_pk_mul_f32 v[144:145], v[140:141], v[130:131] op_sel:[0,1]
	s_delay_alu instid0(VALU_DEP_1) | instskip(SKIP_1) | instid1(VALU_DEP_1)
	v_pk_fma_f32 v[146:147], v[140:141], v[132:133], v[144:145] op_sel:[0,0,1] op_sel_hi:[1,1,0] neg_lo:[0,0,1] neg_hi:[0,0,1]
	v_pk_fma_f32 v[140:141], v[140:141], v[132:133], v[144:145] op_sel:[0,0,1] op_sel_hi:[1,0,0]
	v_mov_b32_e32 v147, v141
	v_pk_mul_f32 v[140:141], v[142:143], v[130:131] op_sel:[0,1]
	s_delay_alu instid0(VALU_DEP_1) | instskip(SKIP_1) | instid1(VALU_DEP_1)
	v_pk_fma_f32 v[144:145], v[142:143], v[132:133], v[140:141] op_sel:[0,0,1] op_sel_hi:[1,1,0] neg_lo:[0,0,1] neg_hi:[0,0,1]
	v_pk_fma_f32 v[140:141], v[142:143], v[132:133], v[140:141] op_sel:[0,0,1] op_sel_hi:[1,0,0]
	v_mov_b32_e32 v145, v141
	ds_load_2addr_b64 v[140:143], v134 offset0:46 offset1:47
	v_pk_add_f32 v[98:99], v[98:99], v[146:147] neg_lo:[0,1] neg_hi:[0,1]
	v_pk_add_f32 v[24:25], v[24:25], v[144:145] neg_lo:[0,1] neg_hi:[0,1]
	s_wait_dscnt 0x0
	v_pk_mul_f32 v[144:145], v[140:141], v[130:131] op_sel:[0,1]
	s_delay_alu instid0(VALU_DEP_1) | instskip(SKIP_2) | instid1(VALU_DEP_2)
	v_pk_fma_f32 v[146:147], v[140:141], v[132:133], v[144:145] op_sel:[0,0,1] op_sel_hi:[1,1,0] neg_lo:[0,0,1] neg_hi:[0,0,1]
	v_pk_fma_f32 v[140:141], v[140:141], v[132:133], v[144:145] op_sel:[0,0,1] op_sel_hi:[1,0,0]
	v_dual_mul_f32 v144, v143, v131 :: v_dual_mov_b32 v140, v143
	v_dual_mov_b32 v147, v141 :: v_dual_mov_b32 v141, v142
	s_delay_alu instid0(VALU_DEP_2) | instskip(SKIP_1) | instid1(VALU_DEP_3)
	v_pk_fma_f32 v[144:145], v[142:143], v[30:31], v[144:145] op_sel_hi:[1,1,0] neg_lo:[0,0,1] neg_hi:[0,0,1]
	v_mul_f32_e32 v142, v143, v132
	v_pk_add_f32 v[28:29], v[28:29], v[146:147] neg_lo:[0,1] neg_hi:[0,1]
	s_delay_alu instid0(VALU_DEP_2) | instskip(NEXT) | instid1(VALU_DEP_1)
	v_pk_fma_f32 v[140:141], v[140:141], v[30:31], v[142:143] op_sel_hi:[1,1,0]
	v_mov_b32_e32 v145, v141
	ds_load_2addr_b64 v[140:143], v134 offset0:48 offset1:49
	v_pk_add_f32 v[22:23], v[22:23], v[144:145] neg_lo:[0,1] neg_hi:[0,1]
	s_wait_dscnt 0x0
	v_pk_mul_f32 v[144:145], v[140:141], v[130:131] op_sel:[0,1]
	s_delay_alu instid0(VALU_DEP_1) | instskip(SKIP_1) | instid1(VALU_DEP_1)
	v_pk_fma_f32 v[146:147], v[140:141], v[132:133], v[144:145] op_sel:[0,0,1] op_sel_hi:[1,1,0] neg_lo:[0,0,1] neg_hi:[0,0,1]
	v_pk_fma_f32 v[140:141], v[140:141], v[132:133], v[144:145] op_sel:[0,0,1] op_sel_hi:[1,0,0]
	v_mov_b32_e32 v147, v141
	v_pk_mul_f32 v[140:141], v[142:143], v[130:131] op_sel:[0,1]
	s_delay_alu instid0(VALU_DEP_1) | instskip(SKIP_1) | instid1(VALU_DEP_1)
	v_pk_fma_f32 v[144:145], v[142:143], v[132:133], v[140:141] op_sel:[0,0,1] op_sel_hi:[1,1,0] neg_lo:[0,0,1] neg_hi:[0,0,1]
	v_pk_fma_f32 v[140:141], v[142:143], v[132:133], v[140:141] op_sel:[0,0,1] op_sel_hi:[1,0,0]
	v_mov_b32_e32 v145, v141
	ds_load_2addr_b64 v[140:143], v134 offset0:50 offset1:51
	v_pk_add_f32 v[96:97], v[96:97], v[146:147] neg_lo:[0,1] neg_hi:[0,1]
	v_pk_add_f32 v[18:19], v[18:19], v[144:145] neg_lo:[0,1] neg_hi:[0,1]
	s_wait_dscnt 0x0
	v_pk_mul_f32 v[144:145], v[140:141], v[130:131] op_sel:[0,1]
	s_delay_alu instid0(VALU_DEP_1) | instskip(SKIP_1) | instid1(VALU_DEP_1)
	v_pk_fma_f32 v[146:147], v[140:141], v[132:133], v[144:145] op_sel:[0,0,1] op_sel_hi:[1,1,0] neg_lo:[0,0,1] neg_hi:[0,0,1]
	v_pk_fma_f32 v[140:141], v[140:141], v[132:133], v[144:145] op_sel:[0,0,1] op_sel_hi:[1,0,0]
	v_mov_b32_e32 v147, v141
	v_pk_mul_f32 v[140:141], v[142:143], v[130:131] op_sel:[0,1]
	s_delay_alu instid0(VALU_DEP_1) | instskip(SKIP_1) | instid1(VALU_DEP_1)
	v_pk_fma_f32 v[144:145], v[142:143], v[132:133], v[140:141] op_sel:[0,0,1] op_sel_hi:[1,1,0] neg_lo:[0,0,1] neg_hi:[0,0,1]
	v_pk_fma_f32 v[140:141], v[142:143], v[132:133], v[140:141] op_sel:[0,0,1] op_sel_hi:[1,0,0]
	v_mov_b32_e32 v145, v141
	ds_load_2addr_b64 v[140:143], v134 offset0:52 offset1:53
	v_pk_add_f32 v[20:21], v[20:21], v[146:147] neg_lo:[0,1] neg_hi:[0,1]
	v_pk_add_f32 v[36:37], v[36:37], v[144:145] neg_lo:[0,1] neg_hi:[0,1]
	s_wait_dscnt 0x0
	v_dual_mul_f32 v144, v141, v131 :: v_dual_mul_f32 v146, v141, v132
	s_delay_alu instid0(VALU_DEP_1) | instskip(NEXT) | instid1(VALU_DEP_2)
	v_pk_fma_f32 v[144:145], v[140:141], v[30:31], v[144:145] op_sel_hi:[1,1,0] neg_lo:[0,0,1] neg_hi:[0,0,1]
	v_pk_fma_f32 v[140:141], v[140:141], v[30:31], v[146:147] op_sel:[1,0,0] op_sel_hi:[0,1,0]
	s_delay_alu instid0(VALU_DEP_1) | instskip(SKIP_1) | instid1(VALU_DEP_2)
	v_mov_b32_e32 v145, v141
	v_pk_mul_f32 v[140:141], v[142:143], v[130:131] op_sel:[0,1]
	v_pk_add_f32 v[86:87], v[86:87], v[144:145] neg_lo:[0,1] neg_hi:[0,1]
	s_delay_alu instid0(VALU_DEP_2) | instskip(SKIP_1) | instid1(VALU_DEP_1)
	v_pk_fma_f32 v[144:145], v[142:143], v[132:133], v[140:141] op_sel:[0,0,1] op_sel_hi:[1,1,0] neg_lo:[0,0,1] neg_hi:[0,0,1]
	v_pk_fma_f32 v[140:141], v[142:143], v[132:133], v[140:141] op_sel:[0,0,1] op_sel_hi:[1,0,0]
	v_mov_b32_e32 v145, v141
	ds_load_2addr_b64 v[140:143], v134 offset0:54 offset1:55
	v_pk_add_f32 v[10:11], v[10:11], v[144:145] neg_lo:[0,1] neg_hi:[0,1]
	s_wait_dscnt 0x0
	v_pk_mul_f32 v[144:145], v[140:141], v[130:131] op_sel:[0,1]
	s_delay_alu instid0(VALU_DEP_1) | instskip(SKIP_1) | instid1(VALU_DEP_1)
	v_pk_fma_f32 v[146:147], v[140:141], v[132:133], v[144:145] op_sel:[0,0,1] op_sel_hi:[1,1,0] neg_lo:[0,0,1] neg_hi:[0,0,1]
	v_pk_fma_f32 v[140:141], v[140:141], v[132:133], v[144:145] op_sel:[0,0,1] op_sel_hi:[1,0,0]
	v_mov_b32_e32 v147, v141
	v_pk_mul_f32 v[140:141], v[142:143], v[130:131] op_sel:[0,1]
	s_delay_alu instid0(VALU_DEP_2) | instskip(NEXT) | instid1(VALU_DEP_2)
	v_pk_add_f32 v[12:13], v[12:13], v[146:147] neg_lo:[0,1] neg_hi:[0,1]
	v_pk_fma_f32 v[144:145], v[142:143], v[132:133], v[140:141] op_sel:[0,0,1] op_sel_hi:[1,1,0] neg_lo:[0,0,1] neg_hi:[0,0,1]
	v_pk_fma_f32 v[140:141], v[142:143], v[132:133], v[140:141] op_sel:[0,0,1] op_sel_hi:[1,0,0]
	s_delay_alu instid0(VALU_DEP_1) | instskip(SKIP_4) | instid1(VALU_DEP_1)
	v_mov_b32_e32 v145, v141
	ds_load_2addr_b64 v[140:143], v134 offset0:56 offset1:57
	v_pk_add_f32 v[8:9], v[8:9], v[144:145] neg_lo:[0,1] neg_hi:[0,1]
	s_wait_dscnt 0x0
	v_pk_mul_f32 v[144:145], v[140:141], v[130:131] op_sel:[0,1]
	v_pk_fma_f32 v[146:147], v[140:141], v[132:133], v[144:145] op_sel:[0,0,1] op_sel_hi:[1,1,0] neg_lo:[0,0,1] neg_hi:[0,0,1]
	v_pk_fma_f32 v[140:141], v[140:141], v[132:133], v[144:145] op_sel:[0,0,1] op_sel_hi:[1,0,0]
	v_dual_mul_f32 v144, v143, v131 :: v_dual_mov_b32 v140, v143
	s_delay_alu instid0(VALU_DEP_2) | instskip(NEXT) | instid1(VALU_DEP_2)
	v_dual_mov_b32 v147, v141 :: v_dual_mov_b32 v141, v142
	v_pk_fma_f32 v[144:145], v[142:143], v[30:31], v[144:145] op_sel_hi:[1,1,0] neg_lo:[0,0,1] neg_hi:[0,0,1]
	v_mul_f32_e32 v142, v143, v132
	s_delay_alu instid0(VALU_DEP_3) | instskip(NEXT) | instid1(VALU_DEP_2)
	v_pk_add_f32 v[44:45], v[44:45], v[146:147] neg_lo:[0,1] neg_hi:[0,1]
	v_pk_fma_f32 v[140:141], v[140:141], v[30:31], v[142:143] op_sel_hi:[1,1,0]
	s_delay_alu instid0(VALU_DEP_1) | instskip(SKIP_4) | instid1(VALU_DEP_1)
	v_mov_b32_e32 v145, v141
	ds_load_2addr_b64 v[140:143], v134 offset0:58 offset1:59
	v_pk_add_f32 v[6:7], v[6:7], v[144:145] neg_lo:[0,1] neg_hi:[0,1]
	s_wait_dscnt 0x0
	v_pk_mul_f32 v[144:145], v[140:141], v[130:131] op_sel:[0,1]
	v_pk_fma_f32 v[146:147], v[140:141], v[132:133], v[144:145] op_sel:[0,0,1] op_sel_hi:[1,1,0] neg_lo:[0,0,1] neg_hi:[0,0,1]
	v_pk_fma_f32 v[140:141], v[140:141], v[132:133], v[144:145] op_sel:[0,0,1] op_sel_hi:[1,0,0]
	s_delay_alu instid0(VALU_DEP_1) | instskip(SKIP_1) | instid1(VALU_DEP_1)
	v_mov_b32_e32 v147, v141
	v_pk_mul_f32 v[140:141], v[142:143], v[130:131] op_sel:[0,1]
	v_pk_fma_f32 v[144:145], v[142:143], v[132:133], v[140:141] op_sel:[0,0,1] op_sel_hi:[1,1,0] neg_lo:[0,0,1] neg_hi:[0,0,1]
	v_pk_fma_f32 v[140:141], v[142:143], v[132:133], v[140:141] op_sel:[0,0,1] op_sel_hi:[1,0,0]
	s_delay_alu instid0(VALU_DEP_1)
	v_mov_b32_e32 v145, v141
	ds_load_2addr_b64 v[140:143], v134 offset0:60 offset1:61
	v_pk_add_f32 v[26:27], v[26:27], v[146:147] neg_lo:[0,1] neg_hi:[0,1]
	v_pk_add_f32 v[16:17], v[16:17], v[144:145] neg_lo:[0,1] neg_hi:[0,1]
	s_wait_dscnt 0x0
	v_pk_mul_f32 v[144:145], v[140:141], v[130:131] op_sel:[0,1]
	v_mul_f32_e32 v130, v143, v131
	s_delay_alu instid0(VALU_DEP_2) | instskip(SKIP_2) | instid1(VALU_DEP_4)
	v_pk_fma_f32 v[146:147], v[140:141], v[132:133], v[144:145] op_sel:[0,0,1] op_sel_hi:[1,1,0] neg_lo:[0,0,1] neg_hi:[0,0,1]
	v_pk_fma_f32 v[140:141], v[140:141], v[132:133], v[144:145] op_sel:[0,0,1] op_sel_hi:[1,0,0]
	v_dual_mov_b32 v140, v143 :: v_dual_mul_f32 v132, v143, v132
	v_pk_fma_f32 v[130:131], v[142:143], v[30:31], v[130:131] op_sel_hi:[1,1,0] neg_lo:[0,0,1] neg_hi:[0,0,1]
	s_delay_alu instid0(VALU_DEP_3) | instskip(NEXT) | instid1(VALU_DEP_1)
	v_dual_mov_b32 v147, v141 :: v_dual_mov_b32 v141, v142
	v_pk_add_f32 v[14:15], v[14:15], v[146:147] neg_lo:[0,1] neg_hi:[0,1]
	s_delay_alu instid0(VALU_DEP_2) | instskip(NEXT) | instid1(VALU_DEP_1)
	v_pk_fma_f32 v[132:133], v[140:141], v[30:31], v[132:133] op_sel_hi:[1,1,0]
	v_mov_b32_e32 v131, v133
	s_delay_alu instid0(VALU_DEP_1)
	v_pk_add_f32 v[128:129], v[128:129], v[130:131] neg_lo:[0,1] neg_hi:[0,1]
.LBB122_923:
	s_or_b32 exec_lo, exec_lo, s0
	v_lshl_add_u32 v130, v138, 3, v134
	s_barrier_signal -1
	s_barrier_wait -1
	ds_store_b64 v130, v[98:99]
	s_wait_dscnt 0x0
	s_barrier_signal -1
	s_barrier_wait -1
	ds_load_b64 v[130:131], v134 offset:352
	v_mov_b32_e32 v132, 44
	s_cmp_lt_i32 s18, 46
	s_cbranch_scc1 .LBB122_926
; %bb.924:
	v_add3_u32 v133, v135, 0, 0x168
	v_mov_b32_e32 v132, 44
	s_mov_b32 s0, 45
.LBB122_925:                            ; =>This Inner Loop Header: Depth=1
	ds_load_b64 v[140:141], v133
	s_wait_dscnt 0x1
	v_cmp_gt_f32_e32 vcc_lo, 0, v130
	v_cndmask_b32_e64 v142, v130, -v130, vcc_lo
	v_cmp_gt_f32_e32 vcc_lo, 0, v131
	v_cndmask_b32_e64 v144, v131, -v131, vcc_lo
	s_wait_dscnt 0x0
	v_cmp_gt_f32_e32 vcc_lo, 0, v140
	v_cndmask_b32_e64 v143, v140, -v140, vcc_lo
	v_cmp_gt_f32_e32 vcc_lo, 0, v141
	v_cndmask_b32_e64 v145, v141, -v141, vcc_lo
	s_delay_alu instid0(VALU_DEP_1) | instskip(NEXT) | instid1(VALU_DEP_1)
	v_pk_add_f32 v[142:143], v[142:143], v[144:145]
	v_cmp_lt_f32_e32 vcc_lo, v142, v143
	v_dual_cndmask_b32 v130, v130, v140 :: v_dual_add_nc_u32 v133, 8, v133
	v_cndmask_b32_e32 v131, v131, v141, vcc_lo
	v_cndmask_b32_e64 v132, v132, s0, vcc_lo
	s_add_co_i32 s0, s0, 1
	s_delay_alu instid0(SALU_CYCLE_1)
	s_cmp_lg_u32 s18, s0
	s_cbranch_scc1 .LBB122_925
.LBB122_926:
	s_wait_dscnt 0x0
	v_cmp_eq_f32_e32 vcc_lo, 0, v130
	v_cmp_eq_f32_e64 s0, 0, v131
	s_and_b32 s0, vcc_lo, s0
	s_delay_alu instid0(SALU_CYCLE_1) | instskip(NEXT) | instid1(SALU_CYCLE_1)
	s_and_saveexec_b32 s1, s0
	s_xor_b32 s0, exec_lo, s1
; %bb.927:
	v_cmp_ne_u32_e32 vcc_lo, 0, v136
	v_cndmask_b32_e32 v136, 45, v136, vcc_lo
; %bb.928:
	s_and_not1_saveexec_b32 s0, s0
	s_cbranch_execz .LBB122_934
; %bb.929:
	v_cmp_ngt_f32_e64 s1, |v130|, |v131|
	s_and_saveexec_b32 s12, s1
	s_delay_alu instid0(SALU_CYCLE_1)
	s_xor_b32 s1, exec_lo, s12
	s_cbranch_execz .LBB122_931
; %bb.930:
	v_div_scale_f32 v133, null, v131, v131, v130
	v_div_scale_f32 v141, vcc_lo, v130, v131, v130
	s_delay_alu instid0(VALU_DEP_2) | instskip(SKIP_1) | instid1(TRANS32_DEP_1)
	v_rcp_f32_e32 v139, v133
	v_nop
	v_fma_f32 v140, -v133, v139, 1.0
	s_delay_alu instid0(VALU_DEP_1) | instskip(NEXT) | instid1(VALU_DEP_1)
	v_fmac_f32_e32 v139, v140, v139
	v_mul_f32_e32 v140, v141, v139
	s_delay_alu instid0(VALU_DEP_1) | instskip(NEXT) | instid1(VALU_DEP_1)
	v_fma_f32 v142, -v133, v140, v141
	v_fmac_f32_e32 v140, v142, v139
	s_delay_alu instid0(VALU_DEP_1) | instskip(NEXT) | instid1(VALU_DEP_1)
	v_fma_f32 v133, -v133, v140, v141
	v_div_fmas_f32 v133, v133, v139, v140
	s_delay_alu instid0(VALU_DEP_1) | instskip(NEXT) | instid1(VALU_DEP_1)
	v_div_fixup_f32 v133, v133, v131, v130
	v_fmac_f32_e32 v131, v130, v133
	s_delay_alu instid0(VALU_DEP_1) | instskip(SKIP_1) | instid1(VALU_DEP_2)
	v_div_scale_f32 v130, null, v131, v131, 1.0
	v_div_scale_f32 v141, vcc_lo, 1.0, v131, 1.0
	v_rcp_f32_e32 v139, v130
	v_nop
	s_delay_alu instid0(TRANS32_DEP_1) | instskip(NEXT) | instid1(VALU_DEP_1)
	v_fma_f32 v140, -v130, v139, 1.0
	v_fmac_f32_e32 v139, v140, v139
	s_delay_alu instid0(VALU_DEP_1) | instskip(NEXT) | instid1(VALU_DEP_1)
	v_mul_f32_e32 v140, v141, v139
	v_fma_f32 v142, -v130, v140, v141
	s_delay_alu instid0(VALU_DEP_1) | instskip(NEXT) | instid1(VALU_DEP_1)
	v_fmac_f32_e32 v140, v142, v139
	v_fma_f32 v130, -v130, v140, v141
	s_delay_alu instid0(VALU_DEP_1) | instskip(NEXT) | instid1(VALU_DEP_1)
	v_div_fmas_f32 v130, v130, v139, v140
	v_div_fixup_f32 v131, v130, v131, 1.0
	s_delay_alu instid0(VALU_DEP_1)
	v_mul_f32_e32 v130, v133, v131
	v_xor_b32_e32 v131, 0x80000000, v131
.LBB122_931:
	s_and_not1_saveexec_b32 s1, s1
	s_cbranch_execz .LBB122_933
; %bb.932:
	s_delay_alu instid0(VALU_DEP_1) | instskip(SKIP_1) | instid1(VALU_DEP_2)
	v_div_scale_f32 v133, null, v130, v130, v131
	v_div_scale_f32 v141, vcc_lo, v131, v130, v131
	v_rcp_f32_e32 v139, v133
	v_nop
	s_delay_alu instid0(TRANS32_DEP_1) | instskip(NEXT) | instid1(VALU_DEP_1)
	v_fma_f32 v140, -v133, v139, 1.0
	v_fmac_f32_e32 v139, v140, v139
	s_delay_alu instid0(VALU_DEP_1) | instskip(NEXT) | instid1(VALU_DEP_1)
	v_mul_f32_e32 v140, v141, v139
	v_fma_f32 v142, -v133, v140, v141
	s_delay_alu instid0(VALU_DEP_1) | instskip(NEXT) | instid1(VALU_DEP_1)
	v_fmac_f32_e32 v140, v142, v139
	v_fma_f32 v133, -v133, v140, v141
	s_delay_alu instid0(VALU_DEP_1) | instskip(NEXT) | instid1(VALU_DEP_1)
	v_div_fmas_f32 v133, v133, v139, v140
	v_div_fixup_f32 v133, v133, v130, v131
	s_delay_alu instid0(VALU_DEP_1) | instskip(NEXT) | instid1(VALU_DEP_1)
	v_fmac_f32_e32 v130, v131, v133
	v_div_scale_f32 v131, null, v130, v130, 1.0
	s_delay_alu instid0(VALU_DEP_1) | instskip(SKIP_1) | instid1(TRANS32_DEP_1)
	v_rcp_f32_e32 v139, v131
	v_nop
	v_fma_f32 v140, -v131, v139, 1.0
	s_delay_alu instid0(VALU_DEP_1) | instskip(SKIP_1) | instid1(VALU_DEP_1)
	v_fmac_f32_e32 v139, v140, v139
	v_div_scale_f32 v140, vcc_lo, 1.0, v130, 1.0
	v_mul_f32_e32 v141, v140, v139
	s_delay_alu instid0(VALU_DEP_1) | instskip(NEXT) | instid1(VALU_DEP_1)
	v_fma_f32 v142, -v131, v141, v140
	v_fmac_f32_e32 v141, v142, v139
	s_delay_alu instid0(VALU_DEP_1) | instskip(NEXT) | instid1(VALU_DEP_1)
	v_fma_f32 v131, -v131, v141, v140
	v_div_fmas_f32 v131, v131, v139, v141
	s_delay_alu instid0(VALU_DEP_1) | instskip(NEXT) | instid1(VALU_DEP_1)
	v_div_fixup_f32 v130, v131, v130, 1.0
	v_mul_f32_e64 v131, v133, -v130
.LBB122_933:
	s_or_b32 exec_lo, exec_lo, s1
.LBB122_934:
	s_delay_alu instid0(SALU_CYCLE_1) | instskip(NEXT) | instid1(SALU_CYCLE_1)
	s_or_b32 exec_lo, exec_lo, s0
	s_mov_b32 s0, exec_lo
	v_cmpx_ne_u32_e64 v138, v132
	s_xor_b32 s0, exec_lo, s0
	s_cbranch_execz .LBB122_940
; %bb.935:
	s_mov_b32 s1, exec_lo
	v_cmpx_eq_u32_e32 44, v138
	s_cbranch_execz .LBB122_939
; %bb.936:
	v_cmp_ne_u32_e32 vcc_lo, 44, v132
	s_xor_b32 s12, s16, -1
	s_delay_alu instid0(SALU_CYCLE_1) | instskip(NEXT) | instid1(SALU_CYCLE_1)
	s_and_b32 s13, s12, vcc_lo
	s_and_saveexec_b32 s12, s13
	s_cbranch_execz .LBB122_938
; %bb.937:
	v_ashrrev_i32_e32 v133, 31, v132
	s_delay_alu instid0(VALU_DEP_1)
	v_lshl_add_u64 v[138:139], v[132:133], 2, v[4:5]
	s_clause 0x1
	global_load_b32 v133, v[138:139], off
	global_load_b32 v137, v[4:5], off offset:176
	s_wait_loadcnt 0x1
	global_store_b32 v[4:5], v133, off offset:176
	s_wait_loadcnt 0x0
	global_store_b32 v[138:139], v137, off
.LBB122_938:
	s_wait_xcnt 0x0
	s_or_b32 exec_lo, exec_lo, s12
	v_dual_mov_b32 v138, v132 :: v_dual_mov_b32 v137, v132
.LBB122_939:
	s_or_b32 exec_lo, exec_lo, s1
.LBB122_940:
	s_and_not1_saveexec_b32 s0, s0
	s_cbranch_execz .LBB122_942
; %bb.941:
	v_mov_b32_e32 v138, 44
	ds_store_2addr_b64 v134, v[24:25], v[28:29] offset0:45 offset1:46
	ds_store_2addr_b64 v134, v[22:23], v[96:97] offset0:47 offset1:48
	;; [unrolled: 1-line block ×8, first 2 shown]
	ds_store_b64 v134, v[128:129] offset:488
.LBB122_942:
	s_or_b32 exec_lo, exec_lo, s0
	s_delay_alu instid0(SALU_CYCLE_1)
	s_mov_b32 s0, exec_lo
	s_wait_storecnt_dscnt 0x0
	s_barrier_signal -1
	s_barrier_wait -1
	v_cmpx_lt_i32_e32 44, v138
	s_cbranch_execz .LBB122_944
; %bb.943:
	v_pk_mul_f32 v[140:141], v[130:131], v[98:99] op_sel:[1,1] op_sel_hi:[0,1]
	s_delay_alu instid0(VALU_DEP_1)
	v_pk_fma_f32 v[132:133], v[130:131], v[98:99], v[140:141] op_sel_hi:[1,0,1] neg_lo:[0,0,1] neg_hi:[0,0,1]
	v_pk_fma_f32 v[130:131], v[130:131], v[98:99], v[140:141] op_sel_hi:[1,0,1]
	ds_load_2addr_b64 v[140:143], v134 offset0:45 offset1:46
	v_dual_mov_b32 v98, v132 :: v_dual_mov_b32 v99, v131
	s_wait_dscnt 0x0
	v_pk_mul_f32 v[144:145], v[140:141], v[130:131] op_sel:[0,1]
	s_delay_alu instid0(VALU_DEP_1) | instskip(SKIP_1) | instid1(VALU_DEP_1)
	v_pk_fma_f32 v[146:147], v[140:141], v[132:133], v[144:145] op_sel:[0,0,1] op_sel_hi:[1,1,0] neg_lo:[0,0,1] neg_hi:[0,0,1]
	v_pk_fma_f32 v[140:141], v[140:141], v[132:133], v[144:145] op_sel:[0,0,1] op_sel_hi:[1,0,0]
	v_mov_b32_e32 v147, v141
	v_pk_mul_f32 v[140:141], v[142:143], v[130:131] op_sel:[0,1]
	s_delay_alu instid0(VALU_DEP_1) | instskip(SKIP_1) | instid1(VALU_DEP_1)
	v_pk_fma_f32 v[144:145], v[142:143], v[132:133], v[140:141] op_sel:[0,0,1] op_sel_hi:[1,1,0] neg_lo:[0,0,1] neg_hi:[0,0,1]
	v_pk_fma_f32 v[140:141], v[142:143], v[132:133], v[140:141] op_sel:[0,0,1] op_sel_hi:[1,0,0]
	v_mov_b32_e32 v145, v141
	ds_load_2addr_b64 v[140:143], v134 offset0:47 offset1:48
	v_pk_add_f32 v[24:25], v[24:25], v[146:147] neg_lo:[0,1] neg_hi:[0,1]
	v_pk_add_f32 v[28:29], v[28:29], v[144:145] neg_lo:[0,1] neg_hi:[0,1]
	s_wait_dscnt 0x0
	v_pk_mul_f32 v[144:145], v[140:141], v[130:131] op_sel:[0,1]
	s_delay_alu instid0(VALU_DEP_1) | instskip(SKIP_2) | instid1(VALU_DEP_2)
	v_pk_fma_f32 v[146:147], v[140:141], v[132:133], v[144:145] op_sel:[0,0,1] op_sel_hi:[1,1,0] neg_lo:[0,0,1] neg_hi:[0,0,1]
	v_pk_fma_f32 v[140:141], v[140:141], v[132:133], v[144:145] op_sel:[0,0,1] op_sel_hi:[1,0,0]
	v_dual_mul_f32 v144, v143, v131 :: v_dual_mov_b32 v140, v143
	v_dual_mov_b32 v147, v141 :: v_dual_mov_b32 v141, v142
	s_delay_alu instid0(VALU_DEP_2) | instskip(SKIP_1) | instid1(VALU_DEP_3)
	v_pk_fma_f32 v[144:145], v[142:143], v[98:99], v[144:145] op_sel_hi:[1,1,0] neg_lo:[0,0,1] neg_hi:[0,0,1]
	v_mul_f32_e32 v142, v143, v132
	v_pk_add_f32 v[22:23], v[22:23], v[146:147] neg_lo:[0,1] neg_hi:[0,1]
	s_delay_alu instid0(VALU_DEP_2) | instskip(NEXT) | instid1(VALU_DEP_1)
	v_pk_fma_f32 v[140:141], v[140:141], v[98:99], v[142:143] op_sel_hi:[1,1,0]
	v_mov_b32_e32 v145, v141
	ds_load_2addr_b64 v[140:143], v134 offset0:49 offset1:50
	v_pk_add_f32 v[96:97], v[96:97], v[144:145] neg_lo:[0,1] neg_hi:[0,1]
	s_wait_dscnt 0x0
	v_pk_mul_f32 v[144:145], v[140:141], v[130:131] op_sel:[0,1]
	s_delay_alu instid0(VALU_DEP_1) | instskip(SKIP_1) | instid1(VALU_DEP_1)
	v_pk_fma_f32 v[146:147], v[140:141], v[132:133], v[144:145] op_sel:[0,0,1] op_sel_hi:[1,1,0] neg_lo:[0,0,1] neg_hi:[0,0,1]
	v_pk_fma_f32 v[140:141], v[140:141], v[132:133], v[144:145] op_sel:[0,0,1] op_sel_hi:[1,0,0]
	v_mov_b32_e32 v147, v141
	v_pk_mul_f32 v[140:141], v[142:143], v[130:131] op_sel:[0,1]
	s_delay_alu instid0(VALU_DEP_1) | instskip(SKIP_1) | instid1(VALU_DEP_1)
	v_pk_fma_f32 v[144:145], v[142:143], v[132:133], v[140:141] op_sel:[0,0,1] op_sel_hi:[1,1,0] neg_lo:[0,0,1] neg_hi:[0,0,1]
	v_pk_fma_f32 v[140:141], v[142:143], v[132:133], v[140:141] op_sel:[0,0,1] op_sel_hi:[1,0,0]
	v_mov_b32_e32 v145, v141
	ds_load_2addr_b64 v[140:143], v134 offset0:51 offset1:52
	v_pk_add_f32 v[18:19], v[18:19], v[146:147] neg_lo:[0,1] neg_hi:[0,1]
	v_pk_add_f32 v[20:21], v[20:21], v[144:145] neg_lo:[0,1] neg_hi:[0,1]
	s_wait_dscnt 0x0
	v_pk_mul_f32 v[144:145], v[140:141], v[130:131] op_sel:[0,1]
	s_delay_alu instid0(VALU_DEP_1) | instskip(SKIP_1) | instid1(VALU_DEP_1)
	v_pk_fma_f32 v[146:147], v[140:141], v[132:133], v[144:145] op_sel:[0,0,1] op_sel_hi:[1,1,0] neg_lo:[0,0,1] neg_hi:[0,0,1]
	v_pk_fma_f32 v[140:141], v[140:141], v[132:133], v[144:145] op_sel:[0,0,1] op_sel_hi:[1,0,0]
	v_mov_b32_e32 v147, v141
	v_pk_mul_f32 v[140:141], v[142:143], v[130:131] op_sel:[0,1]
	s_delay_alu instid0(VALU_DEP_1) | instskip(SKIP_1) | instid1(VALU_DEP_1)
	v_pk_fma_f32 v[144:145], v[142:143], v[132:133], v[140:141] op_sel:[0,0,1] op_sel_hi:[1,1,0] neg_lo:[0,0,1] neg_hi:[0,0,1]
	v_pk_fma_f32 v[140:141], v[142:143], v[132:133], v[140:141] op_sel:[0,0,1] op_sel_hi:[1,0,0]
	v_mov_b32_e32 v145, v141
	ds_load_2addr_b64 v[140:143], v134 offset0:53 offset1:54
	v_pk_add_f32 v[36:37], v[36:37], v[146:147] neg_lo:[0,1] neg_hi:[0,1]
	v_pk_add_f32 v[86:87], v[86:87], v[144:145] neg_lo:[0,1] neg_hi:[0,1]
	s_wait_dscnt 0x0
	v_dual_mul_f32 v144, v141, v131 :: v_dual_mul_f32 v146, v141, v132
	s_delay_alu instid0(VALU_DEP_1) | instskip(NEXT) | instid1(VALU_DEP_2)
	v_pk_fma_f32 v[144:145], v[140:141], v[98:99], v[144:145] op_sel_hi:[1,1,0] neg_lo:[0,0,1] neg_hi:[0,0,1]
	v_pk_fma_f32 v[140:141], v[140:141], v[98:99], v[146:147] op_sel:[1,0,0] op_sel_hi:[0,1,0]
	s_delay_alu instid0(VALU_DEP_1) | instskip(SKIP_1) | instid1(VALU_DEP_2)
	v_mov_b32_e32 v145, v141
	v_pk_mul_f32 v[140:141], v[142:143], v[130:131] op_sel:[0,1]
	v_pk_add_f32 v[10:11], v[10:11], v[144:145] neg_lo:[0,1] neg_hi:[0,1]
	s_delay_alu instid0(VALU_DEP_2) | instskip(SKIP_1) | instid1(VALU_DEP_1)
	v_pk_fma_f32 v[144:145], v[142:143], v[132:133], v[140:141] op_sel:[0,0,1] op_sel_hi:[1,1,0] neg_lo:[0,0,1] neg_hi:[0,0,1]
	v_pk_fma_f32 v[140:141], v[142:143], v[132:133], v[140:141] op_sel:[0,0,1] op_sel_hi:[1,0,0]
	v_mov_b32_e32 v145, v141
	ds_load_2addr_b64 v[140:143], v134 offset0:55 offset1:56
	v_pk_add_f32 v[12:13], v[12:13], v[144:145] neg_lo:[0,1] neg_hi:[0,1]
	s_wait_dscnt 0x0
	v_pk_mul_f32 v[144:145], v[140:141], v[130:131] op_sel:[0,1]
	s_delay_alu instid0(VALU_DEP_1) | instskip(SKIP_1) | instid1(VALU_DEP_1)
	v_pk_fma_f32 v[146:147], v[140:141], v[132:133], v[144:145] op_sel:[0,0,1] op_sel_hi:[1,1,0] neg_lo:[0,0,1] neg_hi:[0,0,1]
	v_pk_fma_f32 v[140:141], v[140:141], v[132:133], v[144:145] op_sel:[0,0,1] op_sel_hi:[1,0,0]
	v_mov_b32_e32 v147, v141
	v_pk_mul_f32 v[140:141], v[142:143], v[130:131] op_sel:[0,1]
	s_delay_alu instid0(VALU_DEP_2) | instskip(NEXT) | instid1(VALU_DEP_2)
	v_pk_add_f32 v[8:9], v[8:9], v[146:147] neg_lo:[0,1] neg_hi:[0,1]
	v_pk_fma_f32 v[144:145], v[142:143], v[132:133], v[140:141] op_sel:[0,0,1] op_sel_hi:[1,1,0] neg_lo:[0,0,1] neg_hi:[0,0,1]
	v_pk_fma_f32 v[140:141], v[142:143], v[132:133], v[140:141] op_sel:[0,0,1] op_sel_hi:[1,0,0]
	s_delay_alu instid0(VALU_DEP_1) | instskip(SKIP_4) | instid1(VALU_DEP_1)
	v_mov_b32_e32 v145, v141
	ds_load_2addr_b64 v[140:143], v134 offset0:57 offset1:58
	v_pk_add_f32 v[44:45], v[44:45], v[144:145] neg_lo:[0,1] neg_hi:[0,1]
	s_wait_dscnt 0x0
	v_pk_mul_f32 v[144:145], v[140:141], v[130:131] op_sel:[0,1]
	v_pk_fma_f32 v[146:147], v[140:141], v[132:133], v[144:145] op_sel:[0,0,1] op_sel_hi:[1,1,0] neg_lo:[0,0,1] neg_hi:[0,0,1]
	v_pk_fma_f32 v[140:141], v[140:141], v[132:133], v[144:145] op_sel:[0,0,1] op_sel_hi:[1,0,0]
	v_dual_mul_f32 v144, v143, v131 :: v_dual_mov_b32 v140, v143
	s_delay_alu instid0(VALU_DEP_2) | instskip(NEXT) | instid1(VALU_DEP_2)
	v_dual_mov_b32 v147, v141 :: v_dual_mov_b32 v141, v142
	v_pk_fma_f32 v[144:145], v[142:143], v[98:99], v[144:145] op_sel_hi:[1,1,0] neg_lo:[0,0,1] neg_hi:[0,0,1]
	v_mul_f32_e32 v142, v143, v132
	s_delay_alu instid0(VALU_DEP_3) | instskip(NEXT) | instid1(VALU_DEP_2)
	v_pk_add_f32 v[6:7], v[6:7], v[146:147] neg_lo:[0,1] neg_hi:[0,1]
	v_pk_fma_f32 v[140:141], v[140:141], v[98:99], v[142:143] op_sel_hi:[1,1,0]
	s_delay_alu instid0(VALU_DEP_1) | instskip(SKIP_4) | instid1(VALU_DEP_1)
	v_mov_b32_e32 v145, v141
	ds_load_2addr_b64 v[140:143], v134 offset0:59 offset1:60
	v_pk_add_f32 v[26:27], v[26:27], v[144:145] neg_lo:[0,1] neg_hi:[0,1]
	s_wait_dscnt 0x0
	v_pk_mul_f32 v[144:145], v[140:141], v[130:131] op_sel:[0,1]
	v_pk_fma_f32 v[146:147], v[140:141], v[132:133], v[144:145] op_sel:[0,0,1] op_sel_hi:[1,1,0] neg_lo:[0,0,1] neg_hi:[0,0,1]
	v_pk_fma_f32 v[140:141], v[140:141], v[132:133], v[144:145] op_sel:[0,0,1] op_sel_hi:[1,0,0]
	s_delay_alu instid0(VALU_DEP_1) | instskip(SKIP_1) | instid1(VALU_DEP_1)
	v_mov_b32_e32 v147, v141
	v_pk_mul_f32 v[140:141], v[142:143], v[130:131] op_sel:[0,1]
	v_pk_fma_f32 v[144:145], v[142:143], v[132:133], v[140:141] op_sel:[0,0,1] op_sel_hi:[1,1,0] neg_lo:[0,0,1] neg_hi:[0,0,1]
	v_pk_fma_f32 v[140:141], v[142:143], v[132:133], v[140:141] op_sel:[0,0,1] op_sel_hi:[1,0,0]
	s_delay_alu instid0(VALU_DEP_1)
	v_mov_b32_e32 v145, v141
	ds_load_b64 v[140:141], v134 offset:488
	v_pk_add_f32 v[16:17], v[16:17], v[146:147] neg_lo:[0,1] neg_hi:[0,1]
	v_pk_add_f32 v[14:15], v[14:15], v[144:145] neg_lo:[0,1] neg_hi:[0,1]
	s_wait_dscnt 0x0
	v_pk_mul_f32 v[130:131], v[140:141], v[130:131] op_sel:[0,1]
	s_delay_alu instid0(VALU_DEP_1) | instskip(SKIP_1) | instid1(VALU_DEP_1)
	v_pk_fma_f32 v[142:143], v[140:141], v[132:133], v[130:131] op_sel:[0,0,1] op_sel_hi:[1,1,0] neg_lo:[0,0,1] neg_hi:[0,0,1]
	v_pk_fma_f32 v[130:131], v[140:141], v[132:133], v[130:131] op_sel:[0,0,1] op_sel_hi:[1,0,0]
	v_mov_b32_e32 v143, v131
	s_delay_alu instid0(VALU_DEP_1)
	v_pk_add_f32 v[128:129], v[128:129], v[142:143] neg_lo:[0,1] neg_hi:[0,1]
.LBB122_944:
	s_or_b32 exec_lo, exec_lo, s0
	v_lshl_add_u32 v130, v138, 3, v134
	s_barrier_signal -1
	s_barrier_wait -1
	ds_store_b64 v130, v[24:25]
	s_wait_dscnt 0x0
	s_barrier_signal -1
	s_barrier_wait -1
	ds_load_b64 v[130:131], v134 offset:360
	v_mov_b32_e32 v132, 45
	s_cmp_lt_i32 s18, 47
	s_cbranch_scc1 .LBB122_947
; %bb.945:
	v_add3_u32 v133, v135, 0, 0x170
	v_mov_b32_e32 v132, 45
	s_mov_b32 s0, 46
.LBB122_946:                            ; =>This Inner Loop Header: Depth=1
	ds_load_b64 v[140:141], v133
	s_wait_dscnt 0x1
	v_cmp_gt_f32_e32 vcc_lo, 0, v130
	v_cndmask_b32_e64 v142, v130, -v130, vcc_lo
	v_cmp_gt_f32_e32 vcc_lo, 0, v131
	v_cndmask_b32_e64 v144, v131, -v131, vcc_lo
	s_wait_dscnt 0x0
	v_cmp_gt_f32_e32 vcc_lo, 0, v140
	v_cndmask_b32_e64 v143, v140, -v140, vcc_lo
	v_cmp_gt_f32_e32 vcc_lo, 0, v141
	v_cndmask_b32_e64 v145, v141, -v141, vcc_lo
	s_delay_alu instid0(VALU_DEP_1) | instskip(NEXT) | instid1(VALU_DEP_1)
	v_pk_add_f32 v[142:143], v[142:143], v[144:145]
	v_cmp_lt_f32_e32 vcc_lo, v142, v143
	v_dual_cndmask_b32 v130, v130, v140 :: v_dual_add_nc_u32 v133, 8, v133
	v_cndmask_b32_e32 v131, v131, v141, vcc_lo
	v_cndmask_b32_e64 v132, v132, s0, vcc_lo
	s_add_co_i32 s0, s0, 1
	s_delay_alu instid0(SALU_CYCLE_1)
	s_cmp_lg_u32 s18, s0
	s_cbranch_scc1 .LBB122_946
.LBB122_947:
	s_wait_dscnt 0x0
	v_cmp_eq_f32_e32 vcc_lo, 0, v130
	v_cmp_eq_f32_e64 s0, 0, v131
	s_and_b32 s0, vcc_lo, s0
	s_delay_alu instid0(SALU_CYCLE_1) | instskip(NEXT) | instid1(SALU_CYCLE_1)
	s_and_saveexec_b32 s1, s0
	s_xor_b32 s0, exec_lo, s1
; %bb.948:
	v_cmp_ne_u32_e32 vcc_lo, 0, v136
	v_cndmask_b32_e32 v136, 46, v136, vcc_lo
; %bb.949:
	s_and_not1_saveexec_b32 s0, s0
	s_cbranch_execz .LBB122_955
; %bb.950:
	v_cmp_ngt_f32_e64 s1, |v130|, |v131|
	s_and_saveexec_b32 s12, s1
	s_delay_alu instid0(SALU_CYCLE_1)
	s_xor_b32 s1, exec_lo, s12
	s_cbranch_execz .LBB122_952
; %bb.951:
	v_div_scale_f32 v133, null, v131, v131, v130
	v_div_scale_f32 v141, vcc_lo, v130, v131, v130
	s_delay_alu instid0(VALU_DEP_2) | instskip(SKIP_1) | instid1(TRANS32_DEP_1)
	v_rcp_f32_e32 v139, v133
	v_nop
	v_fma_f32 v140, -v133, v139, 1.0
	s_delay_alu instid0(VALU_DEP_1) | instskip(NEXT) | instid1(VALU_DEP_1)
	v_fmac_f32_e32 v139, v140, v139
	v_mul_f32_e32 v140, v141, v139
	s_delay_alu instid0(VALU_DEP_1) | instskip(NEXT) | instid1(VALU_DEP_1)
	v_fma_f32 v142, -v133, v140, v141
	v_fmac_f32_e32 v140, v142, v139
	s_delay_alu instid0(VALU_DEP_1) | instskip(NEXT) | instid1(VALU_DEP_1)
	v_fma_f32 v133, -v133, v140, v141
	v_div_fmas_f32 v133, v133, v139, v140
	s_delay_alu instid0(VALU_DEP_1) | instskip(NEXT) | instid1(VALU_DEP_1)
	v_div_fixup_f32 v133, v133, v131, v130
	v_fmac_f32_e32 v131, v130, v133
	s_delay_alu instid0(VALU_DEP_1) | instskip(SKIP_1) | instid1(VALU_DEP_2)
	v_div_scale_f32 v130, null, v131, v131, 1.0
	v_div_scale_f32 v141, vcc_lo, 1.0, v131, 1.0
	v_rcp_f32_e32 v139, v130
	v_nop
	s_delay_alu instid0(TRANS32_DEP_1) | instskip(NEXT) | instid1(VALU_DEP_1)
	v_fma_f32 v140, -v130, v139, 1.0
	v_fmac_f32_e32 v139, v140, v139
	s_delay_alu instid0(VALU_DEP_1) | instskip(NEXT) | instid1(VALU_DEP_1)
	v_mul_f32_e32 v140, v141, v139
	v_fma_f32 v142, -v130, v140, v141
	s_delay_alu instid0(VALU_DEP_1) | instskip(NEXT) | instid1(VALU_DEP_1)
	v_fmac_f32_e32 v140, v142, v139
	v_fma_f32 v130, -v130, v140, v141
	s_delay_alu instid0(VALU_DEP_1) | instskip(NEXT) | instid1(VALU_DEP_1)
	v_div_fmas_f32 v130, v130, v139, v140
	v_div_fixup_f32 v131, v130, v131, 1.0
	s_delay_alu instid0(VALU_DEP_1)
	v_mul_f32_e32 v130, v133, v131
	v_xor_b32_e32 v131, 0x80000000, v131
.LBB122_952:
	s_and_not1_saveexec_b32 s1, s1
	s_cbranch_execz .LBB122_954
; %bb.953:
	s_delay_alu instid0(VALU_DEP_1) | instskip(SKIP_1) | instid1(VALU_DEP_2)
	v_div_scale_f32 v133, null, v130, v130, v131
	v_div_scale_f32 v141, vcc_lo, v131, v130, v131
	v_rcp_f32_e32 v139, v133
	v_nop
	s_delay_alu instid0(TRANS32_DEP_1) | instskip(NEXT) | instid1(VALU_DEP_1)
	v_fma_f32 v140, -v133, v139, 1.0
	v_fmac_f32_e32 v139, v140, v139
	s_delay_alu instid0(VALU_DEP_1) | instskip(NEXT) | instid1(VALU_DEP_1)
	v_mul_f32_e32 v140, v141, v139
	v_fma_f32 v142, -v133, v140, v141
	s_delay_alu instid0(VALU_DEP_1) | instskip(NEXT) | instid1(VALU_DEP_1)
	v_fmac_f32_e32 v140, v142, v139
	v_fma_f32 v133, -v133, v140, v141
	s_delay_alu instid0(VALU_DEP_1) | instskip(NEXT) | instid1(VALU_DEP_1)
	v_div_fmas_f32 v133, v133, v139, v140
	v_div_fixup_f32 v133, v133, v130, v131
	s_delay_alu instid0(VALU_DEP_1) | instskip(NEXT) | instid1(VALU_DEP_1)
	v_fmac_f32_e32 v130, v131, v133
	v_div_scale_f32 v131, null, v130, v130, 1.0
	s_delay_alu instid0(VALU_DEP_1) | instskip(SKIP_1) | instid1(TRANS32_DEP_1)
	v_rcp_f32_e32 v139, v131
	v_nop
	v_fma_f32 v140, -v131, v139, 1.0
	s_delay_alu instid0(VALU_DEP_1) | instskip(SKIP_1) | instid1(VALU_DEP_1)
	v_fmac_f32_e32 v139, v140, v139
	v_div_scale_f32 v140, vcc_lo, 1.0, v130, 1.0
	v_mul_f32_e32 v141, v140, v139
	s_delay_alu instid0(VALU_DEP_1) | instskip(NEXT) | instid1(VALU_DEP_1)
	v_fma_f32 v142, -v131, v141, v140
	v_fmac_f32_e32 v141, v142, v139
	s_delay_alu instid0(VALU_DEP_1) | instskip(NEXT) | instid1(VALU_DEP_1)
	v_fma_f32 v131, -v131, v141, v140
	v_div_fmas_f32 v131, v131, v139, v141
	s_delay_alu instid0(VALU_DEP_1) | instskip(NEXT) | instid1(VALU_DEP_1)
	v_div_fixup_f32 v130, v131, v130, 1.0
	v_mul_f32_e64 v131, v133, -v130
.LBB122_954:
	s_or_b32 exec_lo, exec_lo, s1
.LBB122_955:
	s_delay_alu instid0(SALU_CYCLE_1) | instskip(NEXT) | instid1(SALU_CYCLE_1)
	s_or_b32 exec_lo, exec_lo, s0
	s_mov_b32 s0, exec_lo
	v_cmpx_ne_u32_e64 v138, v132
	s_xor_b32 s0, exec_lo, s0
	s_cbranch_execz .LBB122_961
; %bb.956:
	s_mov_b32 s1, exec_lo
	v_cmpx_eq_u32_e32 45, v138
	s_cbranch_execz .LBB122_960
; %bb.957:
	v_cmp_ne_u32_e32 vcc_lo, 45, v132
	s_xor_b32 s12, s16, -1
	s_delay_alu instid0(SALU_CYCLE_1) | instskip(NEXT) | instid1(SALU_CYCLE_1)
	s_and_b32 s13, s12, vcc_lo
	s_and_saveexec_b32 s12, s13
	s_cbranch_execz .LBB122_959
; %bb.958:
	v_ashrrev_i32_e32 v133, 31, v132
	s_delay_alu instid0(VALU_DEP_1)
	v_lshl_add_u64 v[138:139], v[132:133], 2, v[4:5]
	s_clause 0x1
	global_load_b32 v133, v[138:139], off
	global_load_b32 v137, v[4:5], off offset:180
	s_wait_loadcnt 0x1
	global_store_b32 v[4:5], v133, off offset:180
	s_wait_loadcnt 0x0
	global_store_b32 v[138:139], v137, off
.LBB122_959:
	s_wait_xcnt 0x0
	s_or_b32 exec_lo, exec_lo, s12
	v_dual_mov_b32 v138, v132 :: v_dual_mov_b32 v137, v132
.LBB122_960:
	s_or_b32 exec_lo, exec_lo, s1
.LBB122_961:
	s_and_not1_saveexec_b32 s0, s0
	s_cbranch_execz .LBB122_963
; %bb.962:
	v_dual_mov_b32 v132, v28 :: v_dual_mov_b32 v133, v29
	v_dual_mov_b32 v138, v22 :: v_dual_mov_b32 v139, v23
	;; [unrolled: 1-line block ×8, first 2 shown]
	ds_store_2addr_b64 v134, v[132:133], v[138:139] offset0:46 offset1:47
	ds_store_2addr_b64 v134, v[140:141], v[142:143] offset0:48 offset1:49
	;; [unrolled: 1-line block ×4, first 2 shown]
	v_dual_mov_b32 v132, v12 :: v_dual_mov_b32 v133, v13
	v_dual_mov_b32 v140, v8 :: v_dual_mov_b32 v141, v9
	;; [unrolled: 1-line block ×7, first 2 shown]
	v_mov_b32_e32 v151, v15
	ds_store_2addr_b64 v134, v[132:133], v[140:141] offset0:54 offset1:55
	ds_store_2addr_b64 v134, v[142:143], v[144:145] offset0:56 offset1:57
	;; [unrolled: 1-line block ×4, first 2 shown]
.LBB122_963:
	s_or_b32 exec_lo, exec_lo, s0
	s_delay_alu instid0(SALU_CYCLE_1)
	s_mov_b32 s0, exec_lo
	s_wait_storecnt_dscnt 0x0
	s_barrier_signal -1
	s_barrier_wait -1
	v_cmpx_lt_i32_e32 45, v138
	s_cbranch_execz .LBB122_965
; %bb.964:
	v_pk_mul_f32 v[140:141], v[130:131], v[24:25] op_sel:[1,1] op_sel_hi:[0,1]
	s_delay_alu instid0(VALU_DEP_1)
	v_pk_fma_f32 v[132:133], v[130:131], v[24:25], v[140:141] op_sel_hi:[1,0,1] neg_lo:[0,0,1] neg_hi:[0,0,1]
	v_pk_fma_f32 v[130:131], v[130:131], v[24:25], v[140:141] op_sel_hi:[1,0,1]
	ds_load_2addr_b64 v[140:143], v134 offset0:46 offset1:47
	v_dual_mov_b32 v24, v132 :: v_dual_mov_b32 v25, v131
	s_wait_dscnt 0x0
	v_pk_mul_f32 v[144:145], v[140:141], v[130:131] op_sel:[0,1]
	s_delay_alu instid0(VALU_DEP_1) | instskip(SKIP_1) | instid1(VALU_DEP_1)
	v_pk_fma_f32 v[146:147], v[140:141], v[132:133], v[144:145] op_sel:[0,0,1] op_sel_hi:[1,1,0] neg_lo:[0,0,1] neg_hi:[0,0,1]
	v_pk_fma_f32 v[140:141], v[140:141], v[132:133], v[144:145] op_sel:[0,0,1] op_sel_hi:[1,0,0]
	v_mov_b32_e32 v147, v141
	v_pk_mul_f32 v[140:141], v[142:143], v[130:131] op_sel:[0,1]
	s_delay_alu instid0(VALU_DEP_1) | instskip(SKIP_1) | instid1(VALU_DEP_1)
	v_pk_fma_f32 v[144:145], v[142:143], v[132:133], v[140:141] op_sel:[0,0,1] op_sel_hi:[1,1,0] neg_lo:[0,0,1] neg_hi:[0,0,1]
	v_pk_fma_f32 v[140:141], v[142:143], v[132:133], v[140:141] op_sel:[0,0,1] op_sel_hi:[1,0,0]
	v_mov_b32_e32 v145, v141
	ds_load_2addr_b64 v[140:143], v134 offset0:48 offset1:49
	v_pk_add_f32 v[28:29], v[28:29], v[146:147] neg_lo:[0,1] neg_hi:[0,1]
	v_pk_add_f32 v[22:23], v[22:23], v[144:145] neg_lo:[0,1] neg_hi:[0,1]
	s_wait_dscnt 0x0
	v_pk_mul_f32 v[144:145], v[140:141], v[130:131] op_sel:[0,1]
	s_delay_alu instid0(VALU_DEP_1) | instskip(SKIP_2) | instid1(VALU_DEP_2)
	v_pk_fma_f32 v[146:147], v[140:141], v[132:133], v[144:145] op_sel:[0,0,1] op_sel_hi:[1,1,0] neg_lo:[0,0,1] neg_hi:[0,0,1]
	v_pk_fma_f32 v[140:141], v[140:141], v[132:133], v[144:145] op_sel:[0,0,1] op_sel_hi:[1,0,0]
	v_dual_mul_f32 v144, v143, v131 :: v_dual_mov_b32 v140, v143
	v_dual_mov_b32 v147, v141 :: v_dual_mov_b32 v141, v142
	s_delay_alu instid0(VALU_DEP_2) | instskip(SKIP_1) | instid1(VALU_DEP_3)
	v_pk_fma_f32 v[144:145], v[142:143], v[24:25], v[144:145] op_sel_hi:[1,1,0] neg_lo:[0,0,1] neg_hi:[0,0,1]
	v_mul_f32_e32 v142, v143, v132
	v_pk_add_f32 v[96:97], v[96:97], v[146:147] neg_lo:[0,1] neg_hi:[0,1]
	s_delay_alu instid0(VALU_DEP_2) | instskip(NEXT) | instid1(VALU_DEP_1)
	v_pk_fma_f32 v[140:141], v[140:141], v[24:25], v[142:143] op_sel_hi:[1,1,0]
	v_mov_b32_e32 v145, v141
	ds_load_2addr_b64 v[140:143], v134 offset0:50 offset1:51
	v_pk_add_f32 v[18:19], v[18:19], v[144:145] neg_lo:[0,1] neg_hi:[0,1]
	s_wait_dscnt 0x0
	v_pk_mul_f32 v[144:145], v[140:141], v[130:131] op_sel:[0,1]
	s_delay_alu instid0(VALU_DEP_1) | instskip(SKIP_1) | instid1(VALU_DEP_1)
	v_pk_fma_f32 v[146:147], v[140:141], v[132:133], v[144:145] op_sel:[0,0,1] op_sel_hi:[1,1,0] neg_lo:[0,0,1] neg_hi:[0,0,1]
	v_pk_fma_f32 v[140:141], v[140:141], v[132:133], v[144:145] op_sel:[0,0,1] op_sel_hi:[1,0,0]
	v_mov_b32_e32 v147, v141
	v_pk_mul_f32 v[140:141], v[142:143], v[130:131] op_sel:[0,1]
	s_delay_alu instid0(VALU_DEP_1) | instskip(SKIP_1) | instid1(VALU_DEP_1)
	v_pk_fma_f32 v[144:145], v[142:143], v[132:133], v[140:141] op_sel:[0,0,1] op_sel_hi:[1,1,0] neg_lo:[0,0,1] neg_hi:[0,0,1]
	v_pk_fma_f32 v[140:141], v[142:143], v[132:133], v[140:141] op_sel:[0,0,1] op_sel_hi:[1,0,0]
	v_mov_b32_e32 v145, v141
	ds_load_2addr_b64 v[140:143], v134 offset0:52 offset1:53
	v_pk_add_f32 v[20:21], v[20:21], v[146:147] neg_lo:[0,1] neg_hi:[0,1]
	v_pk_add_f32 v[36:37], v[36:37], v[144:145] neg_lo:[0,1] neg_hi:[0,1]
	s_wait_dscnt 0x0
	v_pk_mul_f32 v[144:145], v[140:141], v[130:131] op_sel:[0,1]
	s_delay_alu instid0(VALU_DEP_1) | instskip(SKIP_1) | instid1(VALU_DEP_1)
	v_pk_fma_f32 v[146:147], v[140:141], v[132:133], v[144:145] op_sel:[0,0,1] op_sel_hi:[1,1,0] neg_lo:[0,0,1] neg_hi:[0,0,1]
	v_pk_fma_f32 v[140:141], v[140:141], v[132:133], v[144:145] op_sel:[0,0,1] op_sel_hi:[1,0,0]
	v_mov_b32_e32 v147, v141
	v_pk_mul_f32 v[140:141], v[142:143], v[130:131] op_sel:[0,1]
	s_delay_alu instid0(VALU_DEP_1) | instskip(SKIP_1) | instid1(VALU_DEP_1)
	v_pk_fma_f32 v[144:145], v[142:143], v[132:133], v[140:141] op_sel:[0,0,1] op_sel_hi:[1,1,0] neg_lo:[0,0,1] neg_hi:[0,0,1]
	v_pk_fma_f32 v[140:141], v[142:143], v[132:133], v[140:141] op_sel:[0,0,1] op_sel_hi:[1,0,0]
	v_mov_b32_e32 v145, v141
	ds_load_2addr_b64 v[140:143], v134 offset0:54 offset1:55
	v_pk_add_f32 v[86:87], v[86:87], v[146:147] neg_lo:[0,1] neg_hi:[0,1]
	v_pk_add_f32 v[10:11], v[10:11], v[144:145] neg_lo:[0,1] neg_hi:[0,1]
	s_wait_dscnt 0x0
	v_dual_mul_f32 v144, v141, v131 :: v_dual_mul_f32 v146, v141, v132
	s_delay_alu instid0(VALU_DEP_1) | instskip(NEXT) | instid1(VALU_DEP_2)
	v_pk_fma_f32 v[144:145], v[140:141], v[24:25], v[144:145] op_sel_hi:[1,1,0] neg_lo:[0,0,1] neg_hi:[0,0,1]
	v_pk_fma_f32 v[140:141], v[140:141], v[24:25], v[146:147] op_sel:[1,0,0] op_sel_hi:[0,1,0]
	s_delay_alu instid0(VALU_DEP_1) | instskip(SKIP_1) | instid1(VALU_DEP_2)
	v_mov_b32_e32 v145, v141
	v_pk_mul_f32 v[140:141], v[142:143], v[130:131] op_sel:[0,1]
	v_pk_add_f32 v[12:13], v[12:13], v[144:145] neg_lo:[0,1] neg_hi:[0,1]
	s_delay_alu instid0(VALU_DEP_2) | instskip(SKIP_1) | instid1(VALU_DEP_1)
	v_pk_fma_f32 v[144:145], v[142:143], v[132:133], v[140:141] op_sel:[0,0,1] op_sel_hi:[1,1,0] neg_lo:[0,0,1] neg_hi:[0,0,1]
	v_pk_fma_f32 v[140:141], v[142:143], v[132:133], v[140:141] op_sel:[0,0,1] op_sel_hi:[1,0,0]
	v_mov_b32_e32 v145, v141
	ds_load_2addr_b64 v[140:143], v134 offset0:56 offset1:57
	v_pk_add_f32 v[8:9], v[8:9], v[144:145] neg_lo:[0,1] neg_hi:[0,1]
	s_wait_dscnt 0x0
	v_pk_mul_f32 v[144:145], v[140:141], v[130:131] op_sel:[0,1]
	s_delay_alu instid0(VALU_DEP_1) | instskip(SKIP_1) | instid1(VALU_DEP_1)
	v_pk_fma_f32 v[146:147], v[140:141], v[132:133], v[144:145] op_sel:[0,0,1] op_sel_hi:[1,1,0] neg_lo:[0,0,1] neg_hi:[0,0,1]
	v_pk_fma_f32 v[140:141], v[140:141], v[132:133], v[144:145] op_sel:[0,0,1] op_sel_hi:[1,0,0]
	v_mov_b32_e32 v147, v141
	v_pk_mul_f32 v[140:141], v[142:143], v[130:131] op_sel:[0,1]
	s_delay_alu instid0(VALU_DEP_2) | instskip(NEXT) | instid1(VALU_DEP_2)
	v_pk_add_f32 v[44:45], v[44:45], v[146:147] neg_lo:[0,1] neg_hi:[0,1]
	v_pk_fma_f32 v[144:145], v[142:143], v[132:133], v[140:141] op_sel:[0,0,1] op_sel_hi:[1,1,0] neg_lo:[0,0,1] neg_hi:[0,0,1]
	v_pk_fma_f32 v[140:141], v[142:143], v[132:133], v[140:141] op_sel:[0,0,1] op_sel_hi:[1,0,0]
	s_delay_alu instid0(VALU_DEP_1) | instskip(SKIP_4) | instid1(VALU_DEP_1)
	v_mov_b32_e32 v145, v141
	ds_load_2addr_b64 v[140:143], v134 offset0:58 offset1:59
	v_pk_add_f32 v[6:7], v[6:7], v[144:145] neg_lo:[0,1] neg_hi:[0,1]
	s_wait_dscnt 0x0
	v_pk_mul_f32 v[144:145], v[140:141], v[130:131] op_sel:[0,1]
	v_pk_fma_f32 v[146:147], v[140:141], v[132:133], v[144:145] op_sel:[0,0,1] op_sel_hi:[1,1,0] neg_lo:[0,0,1] neg_hi:[0,0,1]
	v_pk_fma_f32 v[140:141], v[140:141], v[132:133], v[144:145] op_sel:[0,0,1] op_sel_hi:[1,0,0]
	v_dual_mul_f32 v144, v143, v131 :: v_dual_mov_b32 v140, v143
	s_delay_alu instid0(VALU_DEP_2) | instskip(NEXT) | instid1(VALU_DEP_2)
	v_dual_mov_b32 v147, v141 :: v_dual_mov_b32 v141, v142
	v_pk_fma_f32 v[144:145], v[142:143], v[24:25], v[144:145] op_sel_hi:[1,1,0] neg_lo:[0,0,1] neg_hi:[0,0,1]
	v_mul_f32_e32 v142, v143, v132
	s_delay_alu instid0(VALU_DEP_3) | instskip(NEXT) | instid1(VALU_DEP_2)
	v_pk_add_f32 v[26:27], v[26:27], v[146:147] neg_lo:[0,1] neg_hi:[0,1]
	v_pk_fma_f32 v[140:141], v[140:141], v[24:25], v[142:143] op_sel_hi:[1,1,0]
	s_delay_alu instid0(VALU_DEP_1)
	v_mov_b32_e32 v145, v141
	ds_load_2addr_b64 v[140:143], v134 offset0:60 offset1:61
	v_pk_add_f32 v[16:17], v[16:17], v[144:145] neg_lo:[0,1] neg_hi:[0,1]
	s_wait_dscnt 0x0
	v_pk_mul_f32 v[144:145], v[140:141], v[130:131] op_sel:[0,1]
	v_pk_mul_f32 v[130:131], v[142:143], v[130:131] op_sel:[0,1]
	s_delay_alu instid0(VALU_DEP_2) | instskip(SKIP_1) | instid1(VALU_DEP_1)
	v_pk_fma_f32 v[146:147], v[140:141], v[132:133], v[144:145] op_sel:[0,0,1] op_sel_hi:[1,1,0] neg_lo:[0,0,1] neg_hi:[0,0,1]
	v_pk_fma_f32 v[140:141], v[140:141], v[132:133], v[144:145] op_sel:[0,0,1] op_sel_hi:[1,0,0]
	v_mov_b32_e32 v147, v141
	s_delay_alu instid0(VALU_DEP_4) | instskip(SKIP_1) | instid1(VALU_DEP_1)
	v_pk_fma_f32 v[140:141], v[142:143], v[132:133], v[130:131] op_sel:[0,0,1] op_sel_hi:[1,1,0] neg_lo:[0,0,1] neg_hi:[0,0,1]
	v_pk_fma_f32 v[130:131], v[142:143], v[132:133], v[130:131] op_sel:[0,0,1] op_sel_hi:[1,0,0]
	v_mov_b32_e32 v141, v131
	s_delay_alu instid0(VALU_DEP_4) | instskip(NEXT) | instid1(VALU_DEP_2)
	v_pk_add_f32 v[14:15], v[14:15], v[146:147] neg_lo:[0,1] neg_hi:[0,1]
	v_pk_add_f32 v[128:129], v[128:129], v[140:141] neg_lo:[0,1] neg_hi:[0,1]
.LBB122_965:
	s_or_b32 exec_lo, exec_lo, s0
	v_lshl_add_u32 v130, v138, 3, v134
	s_barrier_signal -1
	s_barrier_wait -1
	ds_store_b64 v130, v[28:29]
	s_wait_dscnt 0x0
	s_barrier_signal -1
	s_barrier_wait -1
	ds_load_b64 v[130:131], v134 offset:368
	v_mov_b32_e32 v132, 46
	s_cmp_lt_i32 s18, 48
	s_cbranch_scc1 .LBB122_968
; %bb.966:
	v_add3_u32 v133, v135, 0, 0x178
	v_mov_b32_e32 v132, 46
	s_mov_b32 s0, 47
.LBB122_967:                            ; =>This Inner Loop Header: Depth=1
	ds_load_b64 v[140:141], v133
	s_wait_dscnt 0x1
	v_cmp_gt_f32_e32 vcc_lo, 0, v130
	v_cndmask_b32_e64 v142, v130, -v130, vcc_lo
	v_cmp_gt_f32_e32 vcc_lo, 0, v131
	v_cndmask_b32_e64 v144, v131, -v131, vcc_lo
	s_wait_dscnt 0x0
	v_cmp_gt_f32_e32 vcc_lo, 0, v140
	v_cndmask_b32_e64 v143, v140, -v140, vcc_lo
	v_cmp_gt_f32_e32 vcc_lo, 0, v141
	v_cndmask_b32_e64 v145, v141, -v141, vcc_lo
	s_delay_alu instid0(VALU_DEP_1) | instskip(NEXT) | instid1(VALU_DEP_1)
	v_pk_add_f32 v[142:143], v[142:143], v[144:145]
	v_cmp_lt_f32_e32 vcc_lo, v142, v143
	v_dual_cndmask_b32 v130, v130, v140 :: v_dual_add_nc_u32 v133, 8, v133
	v_cndmask_b32_e32 v131, v131, v141, vcc_lo
	v_cndmask_b32_e64 v132, v132, s0, vcc_lo
	s_add_co_i32 s0, s0, 1
	s_delay_alu instid0(SALU_CYCLE_1)
	s_cmp_lg_u32 s18, s0
	s_cbranch_scc1 .LBB122_967
.LBB122_968:
	s_wait_dscnt 0x0
	v_cmp_eq_f32_e32 vcc_lo, 0, v130
	v_cmp_eq_f32_e64 s0, 0, v131
	s_and_b32 s0, vcc_lo, s0
	s_delay_alu instid0(SALU_CYCLE_1) | instskip(NEXT) | instid1(SALU_CYCLE_1)
	s_and_saveexec_b32 s1, s0
	s_xor_b32 s0, exec_lo, s1
; %bb.969:
	v_cmp_ne_u32_e32 vcc_lo, 0, v136
	v_cndmask_b32_e32 v136, 47, v136, vcc_lo
; %bb.970:
	s_and_not1_saveexec_b32 s0, s0
	s_cbranch_execz .LBB122_976
; %bb.971:
	v_cmp_ngt_f32_e64 s1, |v130|, |v131|
	s_and_saveexec_b32 s12, s1
	s_delay_alu instid0(SALU_CYCLE_1)
	s_xor_b32 s1, exec_lo, s12
	s_cbranch_execz .LBB122_973
; %bb.972:
	v_div_scale_f32 v133, null, v131, v131, v130
	v_div_scale_f32 v141, vcc_lo, v130, v131, v130
	s_delay_alu instid0(VALU_DEP_2) | instskip(SKIP_1) | instid1(TRANS32_DEP_1)
	v_rcp_f32_e32 v139, v133
	v_nop
	v_fma_f32 v140, -v133, v139, 1.0
	s_delay_alu instid0(VALU_DEP_1) | instskip(NEXT) | instid1(VALU_DEP_1)
	v_fmac_f32_e32 v139, v140, v139
	v_mul_f32_e32 v140, v141, v139
	s_delay_alu instid0(VALU_DEP_1) | instskip(NEXT) | instid1(VALU_DEP_1)
	v_fma_f32 v142, -v133, v140, v141
	v_fmac_f32_e32 v140, v142, v139
	s_delay_alu instid0(VALU_DEP_1) | instskip(NEXT) | instid1(VALU_DEP_1)
	v_fma_f32 v133, -v133, v140, v141
	v_div_fmas_f32 v133, v133, v139, v140
	s_delay_alu instid0(VALU_DEP_1) | instskip(NEXT) | instid1(VALU_DEP_1)
	v_div_fixup_f32 v133, v133, v131, v130
	v_fmac_f32_e32 v131, v130, v133
	s_delay_alu instid0(VALU_DEP_1) | instskip(SKIP_1) | instid1(VALU_DEP_2)
	v_div_scale_f32 v130, null, v131, v131, 1.0
	v_div_scale_f32 v141, vcc_lo, 1.0, v131, 1.0
	v_rcp_f32_e32 v139, v130
	v_nop
	s_delay_alu instid0(TRANS32_DEP_1) | instskip(NEXT) | instid1(VALU_DEP_1)
	v_fma_f32 v140, -v130, v139, 1.0
	v_fmac_f32_e32 v139, v140, v139
	s_delay_alu instid0(VALU_DEP_1) | instskip(NEXT) | instid1(VALU_DEP_1)
	v_mul_f32_e32 v140, v141, v139
	v_fma_f32 v142, -v130, v140, v141
	s_delay_alu instid0(VALU_DEP_1) | instskip(NEXT) | instid1(VALU_DEP_1)
	v_fmac_f32_e32 v140, v142, v139
	v_fma_f32 v130, -v130, v140, v141
	s_delay_alu instid0(VALU_DEP_1) | instskip(NEXT) | instid1(VALU_DEP_1)
	v_div_fmas_f32 v130, v130, v139, v140
	v_div_fixup_f32 v131, v130, v131, 1.0
	s_delay_alu instid0(VALU_DEP_1)
	v_mul_f32_e32 v130, v133, v131
	v_xor_b32_e32 v131, 0x80000000, v131
.LBB122_973:
	s_and_not1_saveexec_b32 s1, s1
	s_cbranch_execz .LBB122_975
; %bb.974:
	s_delay_alu instid0(VALU_DEP_1) | instskip(SKIP_1) | instid1(VALU_DEP_2)
	v_div_scale_f32 v133, null, v130, v130, v131
	v_div_scale_f32 v141, vcc_lo, v131, v130, v131
	v_rcp_f32_e32 v139, v133
	v_nop
	s_delay_alu instid0(TRANS32_DEP_1) | instskip(NEXT) | instid1(VALU_DEP_1)
	v_fma_f32 v140, -v133, v139, 1.0
	v_fmac_f32_e32 v139, v140, v139
	s_delay_alu instid0(VALU_DEP_1) | instskip(NEXT) | instid1(VALU_DEP_1)
	v_mul_f32_e32 v140, v141, v139
	v_fma_f32 v142, -v133, v140, v141
	s_delay_alu instid0(VALU_DEP_1) | instskip(NEXT) | instid1(VALU_DEP_1)
	v_fmac_f32_e32 v140, v142, v139
	v_fma_f32 v133, -v133, v140, v141
	s_delay_alu instid0(VALU_DEP_1) | instskip(NEXT) | instid1(VALU_DEP_1)
	v_div_fmas_f32 v133, v133, v139, v140
	v_div_fixup_f32 v133, v133, v130, v131
	s_delay_alu instid0(VALU_DEP_1) | instskip(NEXT) | instid1(VALU_DEP_1)
	v_fmac_f32_e32 v130, v131, v133
	v_div_scale_f32 v131, null, v130, v130, 1.0
	s_delay_alu instid0(VALU_DEP_1) | instskip(SKIP_1) | instid1(TRANS32_DEP_1)
	v_rcp_f32_e32 v139, v131
	v_nop
	v_fma_f32 v140, -v131, v139, 1.0
	s_delay_alu instid0(VALU_DEP_1) | instskip(SKIP_1) | instid1(VALU_DEP_1)
	v_fmac_f32_e32 v139, v140, v139
	v_div_scale_f32 v140, vcc_lo, 1.0, v130, 1.0
	v_mul_f32_e32 v141, v140, v139
	s_delay_alu instid0(VALU_DEP_1) | instskip(NEXT) | instid1(VALU_DEP_1)
	v_fma_f32 v142, -v131, v141, v140
	v_fmac_f32_e32 v141, v142, v139
	s_delay_alu instid0(VALU_DEP_1) | instskip(NEXT) | instid1(VALU_DEP_1)
	v_fma_f32 v131, -v131, v141, v140
	v_div_fmas_f32 v131, v131, v139, v141
	s_delay_alu instid0(VALU_DEP_1) | instskip(NEXT) | instid1(VALU_DEP_1)
	v_div_fixup_f32 v130, v131, v130, 1.0
	v_mul_f32_e64 v131, v133, -v130
.LBB122_975:
	s_or_b32 exec_lo, exec_lo, s1
.LBB122_976:
	s_delay_alu instid0(SALU_CYCLE_1) | instskip(NEXT) | instid1(SALU_CYCLE_1)
	s_or_b32 exec_lo, exec_lo, s0
	s_mov_b32 s0, exec_lo
	v_cmpx_ne_u32_e64 v138, v132
	s_xor_b32 s0, exec_lo, s0
	s_cbranch_execz .LBB122_982
; %bb.977:
	s_mov_b32 s1, exec_lo
	v_cmpx_eq_u32_e32 46, v138
	s_cbranch_execz .LBB122_981
; %bb.978:
	v_cmp_ne_u32_e32 vcc_lo, 46, v132
	s_xor_b32 s12, s16, -1
	s_delay_alu instid0(SALU_CYCLE_1) | instskip(NEXT) | instid1(SALU_CYCLE_1)
	s_and_b32 s13, s12, vcc_lo
	s_and_saveexec_b32 s12, s13
	s_cbranch_execz .LBB122_980
; %bb.979:
	v_ashrrev_i32_e32 v133, 31, v132
	s_delay_alu instid0(VALU_DEP_1)
	v_lshl_add_u64 v[138:139], v[132:133], 2, v[4:5]
	s_clause 0x1
	global_load_b32 v133, v[138:139], off
	global_load_b32 v137, v[4:5], off offset:184
	s_wait_loadcnt 0x1
	global_store_b32 v[4:5], v133, off offset:184
	s_wait_loadcnt 0x0
	global_store_b32 v[138:139], v137, off
.LBB122_980:
	s_wait_xcnt 0x0
	s_or_b32 exec_lo, exec_lo, s12
	v_dual_mov_b32 v138, v132 :: v_dual_mov_b32 v137, v132
.LBB122_981:
	s_or_b32 exec_lo, exec_lo, s1
.LBB122_982:
	s_and_not1_saveexec_b32 s0, s0
	s_cbranch_execz .LBB122_984
; %bb.983:
	v_mov_b32_e32 v138, 46
	ds_store_2addr_b64 v134, v[22:23], v[96:97] offset0:47 offset1:48
	ds_store_2addr_b64 v134, v[18:19], v[20:21] offset0:49 offset1:50
	;; [unrolled: 1-line block ×7, first 2 shown]
	ds_store_b64 v134, v[128:129] offset:488
.LBB122_984:
	s_or_b32 exec_lo, exec_lo, s0
	s_delay_alu instid0(SALU_CYCLE_1)
	s_mov_b32 s0, exec_lo
	s_wait_storecnt_dscnt 0x0
	s_barrier_signal -1
	s_barrier_wait -1
	v_cmpx_lt_i32_e32 46, v138
	s_cbranch_execz .LBB122_986
; %bb.985:
	v_pk_mul_f32 v[140:141], v[130:131], v[28:29] op_sel:[1,1] op_sel_hi:[0,1]
	s_delay_alu instid0(VALU_DEP_1)
	v_pk_fma_f32 v[132:133], v[130:131], v[28:29], v[140:141] op_sel_hi:[1,0,1] neg_lo:[0,0,1] neg_hi:[0,0,1]
	v_pk_fma_f32 v[130:131], v[130:131], v[28:29], v[140:141] op_sel_hi:[1,0,1]
	ds_load_2addr_b64 v[140:143], v134 offset0:47 offset1:48
	v_dual_mov_b32 v28, v132 :: v_dual_mov_b32 v29, v131
	s_wait_dscnt 0x0
	v_pk_mul_f32 v[144:145], v[140:141], v[130:131] op_sel:[0,1]
	s_delay_alu instid0(VALU_DEP_1) | instskip(SKIP_1) | instid1(VALU_DEP_1)
	v_pk_fma_f32 v[146:147], v[140:141], v[132:133], v[144:145] op_sel:[0,0,1] op_sel_hi:[1,1,0] neg_lo:[0,0,1] neg_hi:[0,0,1]
	v_pk_fma_f32 v[140:141], v[140:141], v[132:133], v[144:145] op_sel:[0,0,1] op_sel_hi:[1,0,0]
	v_mov_b32_e32 v147, v141
	v_pk_mul_f32 v[140:141], v[142:143], v[130:131] op_sel:[0,1]
	s_delay_alu instid0(VALU_DEP_1) | instskip(SKIP_1) | instid1(VALU_DEP_1)
	v_pk_fma_f32 v[144:145], v[142:143], v[132:133], v[140:141] op_sel:[0,0,1] op_sel_hi:[1,1,0] neg_lo:[0,0,1] neg_hi:[0,0,1]
	v_pk_fma_f32 v[140:141], v[142:143], v[132:133], v[140:141] op_sel:[0,0,1] op_sel_hi:[1,0,0]
	v_mov_b32_e32 v145, v141
	ds_load_2addr_b64 v[140:143], v134 offset0:49 offset1:50
	v_pk_add_f32 v[22:23], v[22:23], v[146:147] neg_lo:[0,1] neg_hi:[0,1]
	v_pk_add_f32 v[96:97], v[96:97], v[144:145] neg_lo:[0,1] neg_hi:[0,1]
	s_wait_dscnt 0x0
	v_pk_mul_f32 v[144:145], v[140:141], v[130:131] op_sel:[0,1]
	s_delay_alu instid0(VALU_DEP_1) | instskip(SKIP_2) | instid1(VALU_DEP_2)
	v_pk_fma_f32 v[146:147], v[140:141], v[132:133], v[144:145] op_sel:[0,0,1] op_sel_hi:[1,1,0] neg_lo:[0,0,1] neg_hi:[0,0,1]
	v_pk_fma_f32 v[140:141], v[140:141], v[132:133], v[144:145] op_sel:[0,0,1] op_sel_hi:[1,0,0]
	v_dual_mul_f32 v144, v143, v131 :: v_dual_mov_b32 v140, v143
	v_dual_mov_b32 v147, v141 :: v_dual_mov_b32 v141, v142
	s_delay_alu instid0(VALU_DEP_2) | instskip(SKIP_1) | instid1(VALU_DEP_3)
	v_pk_fma_f32 v[144:145], v[142:143], v[28:29], v[144:145] op_sel_hi:[1,1,0] neg_lo:[0,0,1] neg_hi:[0,0,1]
	v_mul_f32_e32 v142, v143, v132
	v_pk_add_f32 v[18:19], v[18:19], v[146:147] neg_lo:[0,1] neg_hi:[0,1]
	s_delay_alu instid0(VALU_DEP_2) | instskip(NEXT) | instid1(VALU_DEP_1)
	v_pk_fma_f32 v[140:141], v[140:141], v[28:29], v[142:143] op_sel_hi:[1,1,0]
	v_mov_b32_e32 v145, v141
	ds_load_2addr_b64 v[140:143], v134 offset0:51 offset1:52
	v_pk_add_f32 v[20:21], v[20:21], v[144:145] neg_lo:[0,1] neg_hi:[0,1]
	s_wait_dscnt 0x0
	v_pk_mul_f32 v[144:145], v[140:141], v[130:131] op_sel:[0,1]
	s_delay_alu instid0(VALU_DEP_1) | instskip(SKIP_1) | instid1(VALU_DEP_1)
	v_pk_fma_f32 v[146:147], v[140:141], v[132:133], v[144:145] op_sel:[0,0,1] op_sel_hi:[1,1,0] neg_lo:[0,0,1] neg_hi:[0,0,1]
	v_pk_fma_f32 v[140:141], v[140:141], v[132:133], v[144:145] op_sel:[0,0,1] op_sel_hi:[1,0,0]
	v_mov_b32_e32 v147, v141
	v_pk_mul_f32 v[140:141], v[142:143], v[130:131] op_sel:[0,1]
	s_delay_alu instid0(VALU_DEP_1) | instskip(SKIP_1) | instid1(VALU_DEP_1)
	v_pk_fma_f32 v[144:145], v[142:143], v[132:133], v[140:141] op_sel:[0,0,1] op_sel_hi:[1,1,0] neg_lo:[0,0,1] neg_hi:[0,0,1]
	v_pk_fma_f32 v[140:141], v[142:143], v[132:133], v[140:141] op_sel:[0,0,1] op_sel_hi:[1,0,0]
	v_mov_b32_e32 v145, v141
	ds_load_2addr_b64 v[140:143], v134 offset0:53 offset1:54
	v_pk_add_f32 v[36:37], v[36:37], v[146:147] neg_lo:[0,1] neg_hi:[0,1]
	v_pk_add_f32 v[86:87], v[86:87], v[144:145] neg_lo:[0,1] neg_hi:[0,1]
	s_wait_dscnt 0x0
	v_pk_mul_f32 v[144:145], v[140:141], v[130:131] op_sel:[0,1]
	s_delay_alu instid0(VALU_DEP_1) | instskip(SKIP_1) | instid1(VALU_DEP_1)
	v_pk_fma_f32 v[146:147], v[140:141], v[132:133], v[144:145] op_sel:[0,0,1] op_sel_hi:[1,1,0] neg_lo:[0,0,1] neg_hi:[0,0,1]
	v_pk_fma_f32 v[140:141], v[140:141], v[132:133], v[144:145] op_sel:[0,0,1] op_sel_hi:[1,0,0]
	v_mov_b32_e32 v147, v141
	v_pk_mul_f32 v[140:141], v[142:143], v[130:131] op_sel:[0,1]
	s_delay_alu instid0(VALU_DEP_1) | instskip(SKIP_1) | instid1(VALU_DEP_1)
	v_pk_fma_f32 v[144:145], v[142:143], v[132:133], v[140:141] op_sel:[0,0,1] op_sel_hi:[1,1,0] neg_lo:[0,0,1] neg_hi:[0,0,1]
	v_pk_fma_f32 v[140:141], v[142:143], v[132:133], v[140:141] op_sel:[0,0,1] op_sel_hi:[1,0,0]
	v_mov_b32_e32 v145, v141
	ds_load_2addr_b64 v[140:143], v134 offset0:55 offset1:56
	v_pk_add_f32 v[10:11], v[10:11], v[146:147] neg_lo:[0,1] neg_hi:[0,1]
	v_pk_add_f32 v[12:13], v[12:13], v[144:145] neg_lo:[0,1] neg_hi:[0,1]
	s_wait_dscnt 0x0
	v_dual_mul_f32 v144, v141, v131 :: v_dual_mul_f32 v146, v141, v132
	s_delay_alu instid0(VALU_DEP_1) | instskip(NEXT) | instid1(VALU_DEP_2)
	v_pk_fma_f32 v[144:145], v[140:141], v[28:29], v[144:145] op_sel_hi:[1,1,0] neg_lo:[0,0,1] neg_hi:[0,0,1]
	v_pk_fma_f32 v[140:141], v[140:141], v[28:29], v[146:147] op_sel:[1,0,0] op_sel_hi:[0,1,0]
	s_delay_alu instid0(VALU_DEP_1) | instskip(SKIP_1) | instid1(VALU_DEP_2)
	v_mov_b32_e32 v145, v141
	v_pk_mul_f32 v[140:141], v[142:143], v[130:131] op_sel:[0,1]
	v_pk_add_f32 v[8:9], v[8:9], v[144:145] neg_lo:[0,1] neg_hi:[0,1]
	s_delay_alu instid0(VALU_DEP_2) | instskip(SKIP_1) | instid1(VALU_DEP_1)
	v_pk_fma_f32 v[144:145], v[142:143], v[132:133], v[140:141] op_sel:[0,0,1] op_sel_hi:[1,1,0] neg_lo:[0,0,1] neg_hi:[0,0,1]
	v_pk_fma_f32 v[140:141], v[142:143], v[132:133], v[140:141] op_sel:[0,0,1] op_sel_hi:[1,0,0]
	v_mov_b32_e32 v145, v141
	ds_load_2addr_b64 v[140:143], v134 offset0:57 offset1:58
	v_pk_add_f32 v[44:45], v[44:45], v[144:145] neg_lo:[0,1] neg_hi:[0,1]
	s_wait_dscnt 0x0
	v_pk_mul_f32 v[144:145], v[140:141], v[130:131] op_sel:[0,1]
	s_delay_alu instid0(VALU_DEP_1) | instskip(SKIP_1) | instid1(VALU_DEP_1)
	v_pk_fma_f32 v[146:147], v[140:141], v[132:133], v[144:145] op_sel:[0,0,1] op_sel_hi:[1,1,0] neg_lo:[0,0,1] neg_hi:[0,0,1]
	v_pk_fma_f32 v[140:141], v[140:141], v[132:133], v[144:145] op_sel:[0,0,1] op_sel_hi:[1,0,0]
	v_mov_b32_e32 v147, v141
	v_pk_mul_f32 v[140:141], v[142:143], v[130:131] op_sel:[0,1]
	s_delay_alu instid0(VALU_DEP_2) | instskip(NEXT) | instid1(VALU_DEP_2)
	v_pk_add_f32 v[6:7], v[6:7], v[146:147] neg_lo:[0,1] neg_hi:[0,1]
	v_pk_fma_f32 v[144:145], v[142:143], v[132:133], v[140:141] op_sel:[0,0,1] op_sel_hi:[1,1,0] neg_lo:[0,0,1] neg_hi:[0,0,1]
	v_pk_fma_f32 v[140:141], v[142:143], v[132:133], v[140:141] op_sel:[0,0,1] op_sel_hi:[1,0,0]
	s_delay_alu instid0(VALU_DEP_1) | instskip(SKIP_4) | instid1(VALU_DEP_1)
	v_mov_b32_e32 v145, v141
	ds_load_2addr_b64 v[140:143], v134 offset0:59 offset1:60
	v_pk_add_f32 v[26:27], v[26:27], v[144:145] neg_lo:[0,1] neg_hi:[0,1]
	s_wait_dscnt 0x0
	v_pk_mul_f32 v[144:145], v[140:141], v[130:131] op_sel:[0,1]
	v_pk_fma_f32 v[146:147], v[140:141], v[132:133], v[144:145] op_sel:[0,0,1] op_sel_hi:[1,1,0] neg_lo:[0,0,1] neg_hi:[0,0,1]
	v_pk_fma_f32 v[140:141], v[140:141], v[132:133], v[144:145] op_sel:[0,0,1] op_sel_hi:[1,0,0]
	v_dual_mul_f32 v144, v143, v131 :: v_dual_mov_b32 v140, v143
	s_delay_alu instid0(VALU_DEP_2) | instskip(NEXT) | instid1(VALU_DEP_2)
	v_dual_mov_b32 v147, v141 :: v_dual_mov_b32 v141, v142
	v_pk_fma_f32 v[144:145], v[142:143], v[28:29], v[144:145] op_sel_hi:[1,1,0] neg_lo:[0,0,1] neg_hi:[0,0,1]
	v_mul_f32_e32 v142, v143, v132
	s_delay_alu instid0(VALU_DEP_3) | instskip(NEXT) | instid1(VALU_DEP_2)
	v_pk_add_f32 v[16:17], v[16:17], v[146:147] neg_lo:[0,1] neg_hi:[0,1]
	v_pk_fma_f32 v[140:141], v[140:141], v[28:29], v[142:143] op_sel_hi:[1,1,0]
	s_delay_alu instid0(VALU_DEP_1) | instskip(SKIP_4) | instid1(VALU_DEP_1)
	v_mov_b32_e32 v145, v141
	ds_load_b64 v[140:141], v134 offset:488
	v_pk_add_f32 v[14:15], v[14:15], v[144:145] neg_lo:[0,1] neg_hi:[0,1]
	s_wait_dscnt 0x0
	v_pk_mul_f32 v[130:131], v[140:141], v[130:131] op_sel:[0,1]
	v_pk_fma_f32 v[142:143], v[140:141], v[132:133], v[130:131] op_sel:[0,0,1] op_sel_hi:[1,1,0] neg_lo:[0,0,1] neg_hi:[0,0,1]
	v_pk_fma_f32 v[130:131], v[140:141], v[132:133], v[130:131] op_sel:[0,0,1] op_sel_hi:[1,0,0]
	s_delay_alu instid0(VALU_DEP_1) | instskip(NEXT) | instid1(VALU_DEP_1)
	v_mov_b32_e32 v143, v131
	v_pk_add_f32 v[128:129], v[128:129], v[142:143] neg_lo:[0,1] neg_hi:[0,1]
.LBB122_986:
	s_or_b32 exec_lo, exec_lo, s0
	v_lshl_add_u32 v130, v138, 3, v134
	s_barrier_signal -1
	s_barrier_wait -1
	ds_store_b64 v130, v[22:23]
	s_wait_dscnt 0x0
	s_barrier_signal -1
	s_barrier_wait -1
	ds_load_b64 v[130:131], v134 offset:376
	v_mov_b32_e32 v132, 47
	s_cmp_lt_i32 s18, 49
	s_cbranch_scc1 .LBB122_989
; %bb.987:
	v_add3_u32 v133, v135, 0, 0x180
	v_mov_b32_e32 v132, 47
	s_mov_b32 s0, 48
.LBB122_988:                            ; =>This Inner Loop Header: Depth=1
	ds_load_b64 v[140:141], v133
	s_wait_dscnt 0x1
	v_cmp_gt_f32_e32 vcc_lo, 0, v130
	v_cndmask_b32_e64 v142, v130, -v130, vcc_lo
	v_cmp_gt_f32_e32 vcc_lo, 0, v131
	v_cndmask_b32_e64 v144, v131, -v131, vcc_lo
	s_wait_dscnt 0x0
	v_cmp_gt_f32_e32 vcc_lo, 0, v140
	v_cndmask_b32_e64 v143, v140, -v140, vcc_lo
	v_cmp_gt_f32_e32 vcc_lo, 0, v141
	v_cndmask_b32_e64 v145, v141, -v141, vcc_lo
	s_delay_alu instid0(VALU_DEP_1) | instskip(NEXT) | instid1(VALU_DEP_1)
	v_pk_add_f32 v[142:143], v[142:143], v[144:145]
	v_cmp_lt_f32_e32 vcc_lo, v142, v143
	v_dual_cndmask_b32 v130, v130, v140 :: v_dual_add_nc_u32 v133, 8, v133
	v_cndmask_b32_e32 v131, v131, v141, vcc_lo
	v_cndmask_b32_e64 v132, v132, s0, vcc_lo
	s_add_co_i32 s0, s0, 1
	s_delay_alu instid0(SALU_CYCLE_1)
	s_cmp_lg_u32 s18, s0
	s_cbranch_scc1 .LBB122_988
.LBB122_989:
	s_wait_dscnt 0x0
	v_cmp_eq_f32_e32 vcc_lo, 0, v130
	v_cmp_eq_f32_e64 s0, 0, v131
	s_and_b32 s0, vcc_lo, s0
	s_delay_alu instid0(SALU_CYCLE_1) | instskip(NEXT) | instid1(SALU_CYCLE_1)
	s_and_saveexec_b32 s1, s0
	s_xor_b32 s0, exec_lo, s1
; %bb.990:
	v_cmp_ne_u32_e32 vcc_lo, 0, v136
	v_cndmask_b32_e32 v136, 48, v136, vcc_lo
; %bb.991:
	s_and_not1_saveexec_b32 s0, s0
	s_cbranch_execz .LBB122_997
; %bb.992:
	v_cmp_ngt_f32_e64 s1, |v130|, |v131|
	s_and_saveexec_b32 s12, s1
	s_delay_alu instid0(SALU_CYCLE_1)
	s_xor_b32 s1, exec_lo, s12
	s_cbranch_execz .LBB122_994
; %bb.993:
	v_div_scale_f32 v133, null, v131, v131, v130
	v_div_scale_f32 v141, vcc_lo, v130, v131, v130
	s_delay_alu instid0(VALU_DEP_2) | instskip(SKIP_1) | instid1(TRANS32_DEP_1)
	v_rcp_f32_e32 v139, v133
	v_nop
	v_fma_f32 v140, -v133, v139, 1.0
	s_delay_alu instid0(VALU_DEP_1) | instskip(NEXT) | instid1(VALU_DEP_1)
	v_fmac_f32_e32 v139, v140, v139
	v_mul_f32_e32 v140, v141, v139
	s_delay_alu instid0(VALU_DEP_1) | instskip(NEXT) | instid1(VALU_DEP_1)
	v_fma_f32 v142, -v133, v140, v141
	v_fmac_f32_e32 v140, v142, v139
	s_delay_alu instid0(VALU_DEP_1) | instskip(NEXT) | instid1(VALU_DEP_1)
	v_fma_f32 v133, -v133, v140, v141
	v_div_fmas_f32 v133, v133, v139, v140
	s_delay_alu instid0(VALU_DEP_1) | instskip(NEXT) | instid1(VALU_DEP_1)
	v_div_fixup_f32 v133, v133, v131, v130
	v_fmac_f32_e32 v131, v130, v133
	s_delay_alu instid0(VALU_DEP_1) | instskip(SKIP_1) | instid1(VALU_DEP_2)
	v_div_scale_f32 v130, null, v131, v131, 1.0
	v_div_scale_f32 v141, vcc_lo, 1.0, v131, 1.0
	v_rcp_f32_e32 v139, v130
	v_nop
	s_delay_alu instid0(TRANS32_DEP_1) | instskip(NEXT) | instid1(VALU_DEP_1)
	v_fma_f32 v140, -v130, v139, 1.0
	v_fmac_f32_e32 v139, v140, v139
	s_delay_alu instid0(VALU_DEP_1) | instskip(NEXT) | instid1(VALU_DEP_1)
	v_mul_f32_e32 v140, v141, v139
	v_fma_f32 v142, -v130, v140, v141
	s_delay_alu instid0(VALU_DEP_1) | instskip(NEXT) | instid1(VALU_DEP_1)
	v_fmac_f32_e32 v140, v142, v139
	v_fma_f32 v130, -v130, v140, v141
	s_delay_alu instid0(VALU_DEP_1) | instskip(NEXT) | instid1(VALU_DEP_1)
	v_div_fmas_f32 v130, v130, v139, v140
	v_div_fixup_f32 v131, v130, v131, 1.0
	s_delay_alu instid0(VALU_DEP_1)
	v_mul_f32_e32 v130, v133, v131
	v_xor_b32_e32 v131, 0x80000000, v131
.LBB122_994:
	s_and_not1_saveexec_b32 s1, s1
	s_cbranch_execz .LBB122_996
; %bb.995:
	s_delay_alu instid0(VALU_DEP_1) | instskip(SKIP_1) | instid1(VALU_DEP_2)
	v_div_scale_f32 v133, null, v130, v130, v131
	v_div_scale_f32 v141, vcc_lo, v131, v130, v131
	v_rcp_f32_e32 v139, v133
	v_nop
	s_delay_alu instid0(TRANS32_DEP_1) | instskip(NEXT) | instid1(VALU_DEP_1)
	v_fma_f32 v140, -v133, v139, 1.0
	v_fmac_f32_e32 v139, v140, v139
	s_delay_alu instid0(VALU_DEP_1) | instskip(NEXT) | instid1(VALU_DEP_1)
	v_mul_f32_e32 v140, v141, v139
	v_fma_f32 v142, -v133, v140, v141
	s_delay_alu instid0(VALU_DEP_1) | instskip(NEXT) | instid1(VALU_DEP_1)
	v_fmac_f32_e32 v140, v142, v139
	v_fma_f32 v133, -v133, v140, v141
	s_delay_alu instid0(VALU_DEP_1) | instskip(NEXT) | instid1(VALU_DEP_1)
	v_div_fmas_f32 v133, v133, v139, v140
	v_div_fixup_f32 v133, v133, v130, v131
	s_delay_alu instid0(VALU_DEP_1) | instskip(NEXT) | instid1(VALU_DEP_1)
	v_fmac_f32_e32 v130, v131, v133
	v_div_scale_f32 v131, null, v130, v130, 1.0
	s_delay_alu instid0(VALU_DEP_1) | instskip(SKIP_1) | instid1(TRANS32_DEP_1)
	v_rcp_f32_e32 v139, v131
	v_nop
	v_fma_f32 v140, -v131, v139, 1.0
	s_delay_alu instid0(VALU_DEP_1) | instskip(SKIP_1) | instid1(VALU_DEP_1)
	v_fmac_f32_e32 v139, v140, v139
	v_div_scale_f32 v140, vcc_lo, 1.0, v130, 1.0
	v_mul_f32_e32 v141, v140, v139
	s_delay_alu instid0(VALU_DEP_1) | instskip(NEXT) | instid1(VALU_DEP_1)
	v_fma_f32 v142, -v131, v141, v140
	v_fmac_f32_e32 v141, v142, v139
	s_delay_alu instid0(VALU_DEP_1) | instskip(NEXT) | instid1(VALU_DEP_1)
	v_fma_f32 v131, -v131, v141, v140
	v_div_fmas_f32 v131, v131, v139, v141
	s_delay_alu instid0(VALU_DEP_1) | instskip(NEXT) | instid1(VALU_DEP_1)
	v_div_fixup_f32 v130, v131, v130, 1.0
	v_mul_f32_e64 v131, v133, -v130
.LBB122_996:
	s_or_b32 exec_lo, exec_lo, s1
.LBB122_997:
	s_delay_alu instid0(SALU_CYCLE_1) | instskip(NEXT) | instid1(SALU_CYCLE_1)
	s_or_b32 exec_lo, exec_lo, s0
	s_mov_b32 s0, exec_lo
	v_cmpx_ne_u32_e64 v138, v132
	s_xor_b32 s0, exec_lo, s0
	s_cbranch_execz .LBB122_1003
; %bb.998:
	s_mov_b32 s1, exec_lo
	v_cmpx_eq_u32_e32 47, v138
	s_cbranch_execz .LBB122_1002
; %bb.999:
	v_cmp_ne_u32_e32 vcc_lo, 47, v132
	s_xor_b32 s12, s16, -1
	s_delay_alu instid0(SALU_CYCLE_1) | instskip(NEXT) | instid1(SALU_CYCLE_1)
	s_and_b32 s13, s12, vcc_lo
	s_and_saveexec_b32 s12, s13
	s_cbranch_execz .LBB122_1001
; %bb.1000:
	v_ashrrev_i32_e32 v133, 31, v132
	s_delay_alu instid0(VALU_DEP_1)
	v_lshl_add_u64 v[138:139], v[132:133], 2, v[4:5]
	s_clause 0x1
	global_load_b32 v133, v[138:139], off
	global_load_b32 v137, v[4:5], off offset:188
	s_wait_loadcnt 0x1
	global_store_b32 v[4:5], v133, off offset:188
	s_wait_loadcnt 0x0
	global_store_b32 v[138:139], v137, off
.LBB122_1001:
	s_wait_xcnt 0x0
	s_or_b32 exec_lo, exec_lo, s12
	v_dual_mov_b32 v138, v132 :: v_dual_mov_b32 v137, v132
.LBB122_1002:
	s_or_b32 exec_lo, exec_lo, s1
.LBB122_1003:
	s_and_not1_saveexec_b32 s0, s0
	s_cbranch_execz .LBB122_1005
; %bb.1004:
	v_dual_mov_b32 v132, v96 :: v_dual_mov_b32 v133, v97
	v_dual_mov_b32 v138, v18 :: v_dual_mov_b32 v139, v19
	v_dual_mov_b32 v140, v20 :: v_dual_mov_b32 v141, v21
	v_dual_mov_b32 v142, v36 :: v_dual_mov_b32 v143, v37
	ds_store_2addr_b64 v134, v[132:133], v[138:139] offset0:48 offset1:49
	ds_store_2addr_b64 v134, v[140:141], v[142:143] offset0:50 offset1:51
	v_dual_mov_b32 v132, v86 :: v_dual_mov_b32 v133, v87
	v_dual_mov_b32 v140, v10 :: v_dual_mov_b32 v141, v11
	;; [unrolled: 1-line block ×9, first 2 shown]
	v_mov_b32_e32 v155, v15
	ds_store_2addr_b64 v134, v[132:133], v[140:141] offset0:52 offset1:53
	ds_store_2addr_b64 v134, v[142:143], v[144:145] offset0:54 offset1:55
	;; [unrolled: 1-line block ×5, first 2 shown]
.LBB122_1005:
	s_or_b32 exec_lo, exec_lo, s0
	s_delay_alu instid0(SALU_CYCLE_1)
	s_mov_b32 s0, exec_lo
	s_wait_storecnt_dscnt 0x0
	s_barrier_signal -1
	s_barrier_wait -1
	v_cmpx_lt_i32_e32 47, v138
	s_cbranch_execz .LBB122_1007
; %bb.1006:
	v_pk_mul_f32 v[132:133], v[130:131], v[22:23] op_sel:[1,1] op_sel_hi:[0,1]
	s_delay_alu instid0(VALU_DEP_1)
	v_pk_fma_f32 v[140:141], v[130:131], v[22:23], v[132:133] op_sel_hi:[1,0,1] neg_lo:[0,0,1] neg_hi:[0,0,1]
	v_pk_fma_f32 v[142:143], v[130:131], v[22:23], v[132:133] op_sel_hi:[1,0,1]
	ds_load_2addr_b64 v[130:133], v134 offset0:48 offset1:49
	v_dual_mov_b32 v22, v140 :: v_dual_mov_b32 v23, v143
	s_wait_dscnt 0x0
	v_pk_mul_f32 v[144:145], v[130:131], v[142:143] op_sel:[0,1]
	s_delay_alu instid0(VALU_DEP_1) | instskip(SKIP_1) | instid1(VALU_DEP_1)
	v_pk_fma_f32 v[146:147], v[130:131], v[140:141], v[144:145] op_sel:[0,0,1] op_sel_hi:[1,1,0] neg_lo:[0,0,1] neg_hi:[0,0,1]
	v_pk_fma_f32 v[130:131], v[130:131], v[140:141], v[144:145] op_sel:[0,0,1] op_sel_hi:[1,0,0]
	v_mov_b32_e32 v147, v131
	v_pk_mul_f32 v[130:131], v[132:133], v[142:143] op_sel:[0,1]
	s_delay_alu instid0(VALU_DEP_1) | instskip(SKIP_1) | instid1(VALU_DEP_1)
	v_pk_fma_f32 v[144:145], v[132:133], v[140:141], v[130:131] op_sel:[0,0,1] op_sel_hi:[1,1,0] neg_lo:[0,0,1] neg_hi:[0,0,1]
	v_pk_fma_f32 v[130:131], v[132:133], v[140:141], v[130:131] op_sel:[0,0,1] op_sel_hi:[1,0,0]
	v_mov_b32_e32 v145, v131
	ds_load_2addr_b64 v[130:133], v134 offset0:50 offset1:51
	v_pk_add_f32 v[96:97], v[96:97], v[146:147] neg_lo:[0,1] neg_hi:[0,1]
	v_pk_add_f32 v[18:19], v[18:19], v[144:145] neg_lo:[0,1] neg_hi:[0,1]
	s_wait_dscnt 0x0
	v_pk_mul_f32 v[144:145], v[130:131], v[142:143] op_sel:[0,1]
	s_delay_alu instid0(VALU_DEP_1) | instskip(SKIP_2) | instid1(VALU_DEP_2)
	v_pk_fma_f32 v[146:147], v[130:131], v[140:141], v[144:145] op_sel:[0,0,1] op_sel_hi:[1,1,0] neg_lo:[0,0,1] neg_hi:[0,0,1]
	v_pk_fma_f32 v[130:131], v[130:131], v[140:141], v[144:145] op_sel:[0,0,1] op_sel_hi:[1,0,0]
	v_dual_mul_f32 v144, v133, v143 :: v_dual_mov_b32 v130, v133
	v_dual_mov_b32 v147, v131 :: v_dual_mov_b32 v131, v132
	s_delay_alu instid0(VALU_DEP_2) | instskip(SKIP_1) | instid1(VALU_DEP_3)
	v_pk_fma_f32 v[144:145], v[132:133], v[22:23], v[144:145] op_sel_hi:[1,1,0] neg_lo:[0,0,1] neg_hi:[0,0,1]
	v_mul_f32_e32 v132, v133, v140
	v_pk_add_f32 v[20:21], v[20:21], v[146:147] neg_lo:[0,1] neg_hi:[0,1]
	s_delay_alu instid0(VALU_DEP_2) | instskip(NEXT) | instid1(VALU_DEP_1)
	v_pk_fma_f32 v[130:131], v[130:131], v[22:23], v[132:133] op_sel_hi:[1,1,0]
	v_mov_b32_e32 v145, v131
	ds_load_2addr_b64 v[130:133], v134 offset0:52 offset1:53
	v_pk_add_f32 v[36:37], v[36:37], v[144:145] neg_lo:[0,1] neg_hi:[0,1]
	s_wait_dscnt 0x0
	v_pk_mul_f32 v[144:145], v[130:131], v[142:143] op_sel:[0,1]
	s_delay_alu instid0(VALU_DEP_1) | instskip(SKIP_1) | instid1(VALU_DEP_1)
	v_pk_fma_f32 v[146:147], v[130:131], v[140:141], v[144:145] op_sel:[0,0,1] op_sel_hi:[1,1,0] neg_lo:[0,0,1] neg_hi:[0,0,1]
	v_pk_fma_f32 v[130:131], v[130:131], v[140:141], v[144:145] op_sel:[0,0,1] op_sel_hi:[1,0,0]
	v_mov_b32_e32 v147, v131
	v_pk_mul_f32 v[130:131], v[132:133], v[142:143] op_sel:[0,1]
	s_delay_alu instid0(VALU_DEP_1) | instskip(SKIP_1) | instid1(VALU_DEP_1)
	v_pk_fma_f32 v[144:145], v[132:133], v[140:141], v[130:131] op_sel:[0,0,1] op_sel_hi:[1,1,0] neg_lo:[0,0,1] neg_hi:[0,0,1]
	v_pk_fma_f32 v[130:131], v[132:133], v[140:141], v[130:131] op_sel:[0,0,1] op_sel_hi:[1,0,0]
	v_mov_b32_e32 v145, v131
	ds_load_2addr_b64 v[130:133], v134 offset0:54 offset1:55
	v_pk_add_f32 v[86:87], v[86:87], v[146:147] neg_lo:[0,1] neg_hi:[0,1]
	v_pk_add_f32 v[10:11], v[10:11], v[144:145] neg_lo:[0,1] neg_hi:[0,1]
	s_wait_dscnt 0x0
	v_pk_mul_f32 v[144:145], v[130:131], v[142:143] op_sel:[0,1]
	s_delay_alu instid0(VALU_DEP_1) | instskip(SKIP_1) | instid1(VALU_DEP_1)
	v_pk_fma_f32 v[146:147], v[130:131], v[140:141], v[144:145] op_sel:[0,0,1] op_sel_hi:[1,1,0] neg_lo:[0,0,1] neg_hi:[0,0,1]
	v_pk_fma_f32 v[130:131], v[130:131], v[140:141], v[144:145] op_sel:[0,0,1] op_sel_hi:[1,0,0]
	v_mov_b32_e32 v147, v131
	v_pk_mul_f32 v[130:131], v[132:133], v[142:143] op_sel:[0,1]
	s_delay_alu instid0(VALU_DEP_1) | instskip(SKIP_1) | instid1(VALU_DEP_1)
	v_pk_fma_f32 v[144:145], v[132:133], v[140:141], v[130:131] op_sel:[0,0,1] op_sel_hi:[1,1,0] neg_lo:[0,0,1] neg_hi:[0,0,1]
	v_pk_fma_f32 v[130:131], v[132:133], v[140:141], v[130:131] op_sel:[0,0,1] op_sel_hi:[1,0,0]
	v_mov_b32_e32 v145, v131
	ds_load_2addr_b64 v[130:133], v134 offset0:56 offset1:57
	v_pk_add_f32 v[12:13], v[12:13], v[146:147] neg_lo:[0,1] neg_hi:[0,1]
	v_pk_add_f32 v[8:9], v[8:9], v[144:145] neg_lo:[0,1] neg_hi:[0,1]
	s_wait_dscnt 0x0
	v_dual_mul_f32 v144, v131, v143 :: v_dual_mul_f32 v146, v131, v140
	s_delay_alu instid0(VALU_DEP_1) | instskip(NEXT) | instid1(VALU_DEP_2)
	v_pk_fma_f32 v[144:145], v[130:131], v[22:23], v[144:145] op_sel_hi:[1,1,0] neg_lo:[0,0,1] neg_hi:[0,0,1]
	v_pk_fma_f32 v[130:131], v[130:131], v[22:23], v[146:147] op_sel:[1,0,0] op_sel_hi:[0,1,0]
	s_delay_alu instid0(VALU_DEP_1) | instskip(SKIP_1) | instid1(VALU_DEP_2)
	v_mov_b32_e32 v145, v131
	v_pk_mul_f32 v[130:131], v[132:133], v[142:143] op_sel:[0,1]
	v_pk_add_f32 v[44:45], v[44:45], v[144:145] neg_lo:[0,1] neg_hi:[0,1]
	s_delay_alu instid0(VALU_DEP_2) | instskip(SKIP_1) | instid1(VALU_DEP_1)
	v_pk_fma_f32 v[144:145], v[132:133], v[140:141], v[130:131] op_sel:[0,0,1] op_sel_hi:[1,1,0] neg_lo:[0,0,1] neg_hi:[0,0,1]
	v_pk_fma_f32 v[130:131], v[132:133], v[140:141], v[130:131] op_sel:[0,0,1] op_sel_hi:[1,0,0]
	v_mov_b32_e32 v145, v131
	ds_load_2addr_b64 v[130:133], v134 offset0:58 offset1:59
	v_pk_add_f32 v[6:7], v[6:7], v[144:145] neg_lo:[0,1] neg_hi:[0,1]
	s_wait_dscnt 0x0
	v_pk_mul_f32 v[144:145], v[130:131], v[142:143] op_sel:[0,1]
	s_delay_alu instid0(VALU_DEP_1) | instskip(SKIP_1) | instid1(VALU_DEP_1)
	v_pk_fma_f32 v[146:147], v[130:131], v[140:141], v[144:145] op_sel:[0,0,1] op_sel_hi:[1,1,0] neg_lo:[0,0,1] neg_hi:[0,0,1]
	v_pk_fma_f32 v[130:131], v[130:131], v[140:141], v[144:145] op_sel:[0,0,1] op_sel_hi:[1,0,0]
	v_mov_b32_e32 v147, v131
	v_pk_mul_f32 v[130:131], v[132:133], v[142:143] op_sel:[0,1]
	s_delay_alu instid0(VALU_DEP_2) | instskip(NEXT) | instid1(VALU_DEP_2)
	v_pk_add_f32 v[26:27], v[26:27], v[146:147] neg_lo:[0,1] neg_hi:[0,1]
	v_pk_fma_f32 v[144:145], v[132:133], v[140:141], v[130:131] op_sel:[0,0,1] op_sel_hi:[1,1,0] neg_lo:[0,0,1] neg_hi:[0,0,1]
	v_pk_fma_f32 v[130:131], v[132:133], v[140:141], v[130:131] op_sel:[0,0,1] op_sel_hi:[1,0,0]
	s_delay_alu instid0(VALU_DEP_1) | instskip(SKIP_4) | instid1(VALU_DEP_1)
	v_mov_b32_e32 v145, v131
	ds_load_2addr_b64 v[130:133], v134 offset0:60 offset1:61
	v_pk_add_f32 v[16:17], v[16:17], v[144:145] neg_lo:[0,1] neg_hi:[0,1]
	s_wait_dscnt 0x0
	v_pk_mul_f32 v[144:145], v[130:131], v[142:143] op_sel:[0,1]
	v_pk_fma_f32 v[146:147], v[130:131], v[140:141], v[144:145] op_sel:[0,0,1] op_sel_hi:[1,1,0] neg_lo:[0,0,1] neg_hi:[0,0,1]
	v_pk_fma_f32 v[130:131], v[130:131], v[140:141], v[144:145] op_sel:[0,0,1] op_sel_hi:[1,0,0]
	s_delay_alu instid0(VALU_DEP_1) | instskip(SKIP_1) | instid1(VALU_DEP_2)
	v_mov_b32_e32 v147, v131
	v_pk_mul_f32 v[130:131], v[132:133], v[142:143] op_sel:[0,1]
	v_pk_add_f32 v[14:15], v[14:15], v[146:147] neg_lo:[0,1] neg_hi:[0,1]
	s_delay_alu instid0(VALU_DEP_2) | instskip(SKIP_1) | instid1(VALU_DEP_1)
	v_pk_fma_f32 v[142:143], v[132:133], v[140:141], v[130:131] op_sel:[0,0,1] op_sel_hi:[1,1,0] neg_lo:[0,0,1] neg_hi:[0,0,1]
	v_pk_fma_f32 v[130:131], v[132:133], v[140:141], v[130:131] op_sel:[0,0,1] op_sel_hi:[1,0,0]
	v_mov_b32_e32 v143, v131
	s_delay_alu instid0(VALU_DEP_1)
	v_pk_add_f32 v[128:129], v[128:129], v[142:143] neg_lo:[0,1] neg_hi:[0,1]
.LBB122_1007:
	s_or_b32 exec_lo, exec_lo, s0
	v_lshl_add_u32 v130, v138, 3, v134
	s_barrier_signal -1
	s_barrier_wait -1
	ds_store_b64 v130, v[96:97]
	s_wait_dscnt 0x0
	s_barrier_signal -1
	s_barrier_wait -1
	ds_load_b64 v[130:131], v134 offset:384
	v_mov_b32_e32 v132, 48
	s_cmp_lt_i32 s18, 50
	s_cbranch_scc1 .LBB122_1010
; %bb.1008:
	v_add3_u32 v133, v135, 0, 0x188
	v_mov_b32_e32 v132, 48
	s_mov_b32 s0, 49
.LBB122_1009:                           ; =>This Inner Loop Header: Depth=1
	ds_load_b64 v[140:141], v133
	s_wait_dscnt 0x1
	v_cmp_gt_f32_e32 vcc_lo, 0, v130
	v_cndmask_b32_e64 v142, v130, -v130, vcc_lo
	v_cmp_gt_f32_e32 vcc_lo, 0, v131
	v_cndmask_b32_e64 v144, v131, -v131, vcc_lo
	s_wait_dscnt 0x0
	v_cmp_gt_f32_e32 vcc_lo, 0, v140
	v_cndmask_b32_e64 v143, v140, -v140, vcc_lo
	v_cmp_gt_f32_e32 vcc_lo, 0, v141
	v_cndmask_b32_e64 v145, v141, -v141, vcc_lo
	s_delay_alu instid0(VALU_DEP_1) | instskip(NEXT) | instid1(VALU_DEP_1)
	v_pk_add_f32 v[142:143], v[142:143], v[144:145]
	v_cmp_lt_f32_e32 vcc_lo, v142, v143
	v_dual_cndmask_b32 v130, v130, v140 :: v_dual_add_nc_u32 v133, 8, v133
	v_cndmask_b32_e32 v131, v131, v141, vcc_lo
	v_cndmask_b32_e64 v132, v132, s0, vcc_lo
	s_add_co_i32 s0, s0, 1
	s_delay_alu instid0(SALU_CYCLE_1)
	s_cmp_lg_u32 s18, s0
	s_cbranch_scc1 .LBB122_1009
.LBB122_1010:
	s_wait_dscnt 0x0
	v_cmp_eq_f32_e32 vcc_lo, 0, v130
	v_cmp_eq_f32_e64 s0, 0, v131
	s_and_b32 s0, vcc_lo, s0
	s_delay_alu instid0(SALU_CYCLE_1) | instskip(NEXT) | instid1(SALU_CYCLE_1)
	s_and_saveexec_b32 s1, s0
	s_xor_b32 s0, exec_lo, s1
; %bb.1011:
	v_cmp_ne_u32_e32 vcc_lo, 0, v136
	v_cndmask_b32_e32 v136, 49, v136, vcc_lo
; %bb.1012:
	s_and_not1_saveexec_b32 s0, s0
	s_cbranch_execz .LBB122_1018
; %bb.1013:
	v_cmp_ngt_f32_e64 s1, |v130|, |v131|
	s_and_saveexec_b32 s12, s1
	s_delay_alu instid0(SALU_CYCLE_1)
	s_xor_b32 s1, exec_lo, s12
	s_cbranch_execz .LBB122_1015
; %bb.1014:
	v_div_scale_f32 v133, null, v131, v131, v130
	v_div_scale_f32 v141, vcc_lo, v130, v131, v130
	s_delay_alu instid0(VALU_DEP_2) | instskip(SKIP_1) | instid1(TRANS32_DEP_1)
	v_rcp_f32_e32 v139, v133
	v_nop
	v_fma_f32 v140, -v133, v139, 1.0
	s_delay_alu instid0(VALU_DEP_1) | instskip(NEXT) | instid1(VALU_DEP_1)
	v_fmac_f32_e32 v139, v140, v139
	v_mul_f32_e32 v140, v141, v139
	s_delay_alu instid0(VALU_DEP_1) | instskip(NEXT) | instid1(VALU_DEP_1)
	v_fma_f32 v142, -v133, v140, v141
	v_fmac_f32_e32 v140, v142, v139
	s_delay_alu instid0(VALU_DEP_1) | instskip(NEXT) | instid1(VALU_DEP_1)
	v_fma_f32 v133, -v133, v140, v141
	v_div_fmas_f32 v133, v133, v139, v140
	s_delay_alu instid0(VALU_DEP_1) | instskip(NEXT) | instid1(VALU_DEP_1)
	v_div_fixup_f32 v133, v133, v131, v130
	v_fmac_f32_e32 v131, v130, v133
	s_delay_alu instid0(VALU_DEP_1) | instskip(SKIP_1) | instid1(VALU_DEP_2)
	v_div_scale_f32 v130, null, v131, v131, 1.0
	v_div_scale_f32 v141, vcc_lo, 1.0, v131, 1.0
	v_rcp_f32_e32 v139, v130
	v_nop
	s_delay_alu instid0(TRANS32_DEP_1) | instskip(NEXT) | instid1(VALU_DEP_1)
	v_fma_f32 v140, -v130, v139, 1.0
	v_fmac_f32_e32 v139, v140, v139
	s_delay_alu instid0(VALU_DEP_1) | instskip(NEXT) | instid1(VALU_DEP_1)
	v_mul_f32_e32 v140, v141, v139
	v_fma_f32 v142, -v130, v140, v141
	s_delay_alu instid0(VALU_DEP_1) | instskip(NEXT) | instid1(VALU_DEP_1)
	v_fmac_f32_e32 v140, v142, v139
	v_fma_f32 v130, -v130, v140, v141
	s_delay_alu instid0(VALU_DEP_1) | instskip(NEXT) | instid1(VALU_DEP_1)
	v_div_fmas_f32 v130, v130, v139, v140
	v_div_fixup_f32 v131, v130, v131, 1.0
	s_delay_alu instid0(VALU_DEP_1)
	v_mul_f32_e32 v130, v133, v131
	v_xor_b32_e32 v131, 0x80000000, v131
.LBB122_1015:
	s_and_not1_saveexec_b32 s1, s1
	s_cbranch_execz .LBB122_1017
; %bb.1016:
	s_delay_alu instid0(VALU_DEP_1) | instskip(SKIP_1) | instid1(VALU_DEP_2)
	v_div_scale_f32 v133, null, v130, v130, v131
	v_div_scale_f32 v141, vcc_lo, v131, v130, v131
	v_rcp_f32_e32 v139, v133
	v_nop
	s_delay_alu instid0(TRANS32_DEP_1) | instskip(NEXT) | instid1(VALU_DEP_1)
	v_fma_f32 v140, -v133, v139, 1.0
	v_fmac_f32_e32 v139, v140, v139
	s_delay_alu instid0(VALU_DEP_1) | instskip(NEXT) | instid1(VALU_DEP_1)
	v_mul_f32_e32 v140, v141, v139
	v_fma_f32 v142, -v133, v140, v141
	s_delay_alu instid0(VALU_DEP_1) | instskip(NEXT) | instid1(VALU_DEP_1)
	v_fmac_f32_e32 v140, v142, v139
	v_fma_f32 v133, -v133, v140, v141
	s_delay_alu instid0(VALU_DEP_1) | instskip(NEXT) | instid1(VALU_DEP_1)
	v_div_fmas_f32 v133, v133, v139, v140
	v_div_fixup_f32 v133, v133, v130, v131
	s_delay_alu instid0(VALU_DEP_1) | instskip(NEXT) | instid1(VALU_DEP_1)
	v_fmac_f32_e32 v130, v131, v133
	v_div_scale_f32 v131, null, v130, v130, 1.0
	s_delay_alu instid0(VALU_DEP_1) | instskip(SKIP_1) | instid1(TRANS32_DEP_1)
	v_rcp_f32_e32 v139, v131
	v_nop
	v_fma_f32 v140, -v131, v139, 1.0
	s_delay_alu instid0(VALU_DEP_1) | instskip(SKIP_1) | instid1(VALU_DEP_1)
	v_fmac_f32_e32 v139, v140, v139
	v_div_scale_f32 v140, vcc_lo, 1.0, v130, 1.0
	v_mul_f32_e32 v141, v140, v139
	s_delay_alu instid0(VALU_DEP_1) | instskip(NEXT) | instid1(VALU_DEP_1)
	v_fma_f32 v142, -v131, v141, v140
	v_fmac_f32_e32 v141, v142, v139
	s_delay_alu instid0(VALU_DEP_1) | instskip(NEXT) | instid1(VALU_DEP_1)
	v_fma_f32 v131, -v131, v141, v140
	v_div_fmas_f32 v131, v131, v139, v141
	s_delay_alu instid0(VALU_DEP_1) | instskip(NEXT) | instid1(VALU_DEP_1)
	v_div_fixup_f32 v130, v131, v130, 1.0
	v_mul_f32_e64 v131, v133, -v130
.LBB122_1017:
	s_or_b32 exec_lo, exec_lo, s1
.LBB122_1018:
	s_delay_alu instid0(SALU_CYCLE_1) | instskip(NEXT) | instid1(SALU_CYCLE_1)
	s_or_b32 exec_lo, exec_lo, s0
	s_mov_b32 s0, exec_lo
	v_cmpx_ne_u32_e64 v138, v132
	s_xor_b32 s0, exec_lo, s0
	s_cbranch_execz .LBB122_1024
; %bb.1019:
	s_mov_b32 s1, exec_lo
	v_cmpx_eq_u32_e32 48, v138
	s_cbranch_execz .LBB122_1023
; %bb.1020:
	v_cmp_ne_u32_e32 vcc_lo, 48, v132
	s_xor_b32 s12, s16, -1
	s_delay_alu instid0(SALU_CYCLE_1) | instskip(NEXT) | instid1(SALU_CYCLE_1)
	s_and_b32 s13, s12, vcc_lo
	s_and_saveexec_b32 s12, s13
	s_cbranch_execz .LBB122_1022
; %bb.1021:
	v_ashrrev_i32_e32 v133, 31, v132
	s_delay_alu instid0(VALU_DEP_1)
	v_lshl_add_u64 v[138:139], v[132:133], 2, v[4:5]
	s_clause 0x1
	global_load_b32 v133, v[138:139], off
	global_load_b32 v137, v[4:5], off offset:192
	s_wait_loadcnt 0x1
	global_store_b32 v[4:5], v133, off offset:192
	s_wait_loadcnt 0x0
	global_store_b32 v[138:139], v137, off
.LBB122_1022:
	s_wait_xcnt 0x0
	s_or_b32 exec_lo, exec_lo, s12
	v_dual_mov_b32 v138, v132 :: v_dual_mov_b32 v137, v132
.LBB122_1023:
	s_or_b32 exec_lo, exec_lo, s1
.LBB122_1024:
	s_and_not1_saveexec_b32 s0, s0
	s_cbranch_execz .LBB122_1026
; %bb.1025:
	v_mov_b32_e32 v138, 48
	ds_store_2addr_b64 v134, v[18:19], v[20:21] offset0:49 offset1:50
	ds_store_2addr_b64 v134, v[36:37], v[86:87] offset0:51 offset1:52
	;; [unrolled: 1-line block ×6, first 2 shown]
	ds_store_b64 v134, v[128:129] offset:488
.LBB122_1026:
	s_or_b32 exec_lo, exec_lo, s0
	s_delay_alu instid0(SALU_CYCLE_1)
	s_mov_b32 s0, exec_lo
	s_wait_storecnt_dscnt 0x0
	s_barrier_signal -1
	s_barrier_wait -1
	v_cmpx_lt_i32_e32 48, v138
	s_cbranch_execz .LBB122_1028
; %bb.1027:
	v_pk_mul_f32 v[132:133], v[130:131], v[96:97] op_sel:[1,1] op_sel_hi:[0,1]
	s_delay_alu instid0(VALU_DEP_1)
	v_pk_fma_f32 v[140:141], v[130:131], v[96:97], v[132:133] op_sel_hi:[1,0,1] neg_lo:[0,0,1] neg_hi:[0,0,1]
	v_pk_fma_f32 v[142:143], v[130:131], v[96:97], v[132:133] op_sel_hi:[1,0,1]
	ds_load_2addr_b64 v[130:133], v134 offset0:49 offset1:50
	v_dual_mov_b32 v96, v140 :: v_dual_mov_b32 v97, v143
	s_wait_dscnt 0x0
	v_pk_mul_f32 v[144:145], v[130:131], v[142:143] op_sel:[0,1]
	s_delay_alu instid0(VALU_DEP_1) | instskip(SKIP_1) | instid1(VALU_DEP_1)
	v_pk_fma_f32 v[146:147], v[130:131], v[140:141], v[144:145] op_sel:[0,0,1] op_sel_hi:[1,1,0] neg_lo:[0,0,1] neg_hi:[0,0,1]
	v_pk_fma_f32 v[130:131], v[130:131], v[140:141], v[144:145] op_sel:[0,0,1] op_sel_hi:[1,0,0]
	v_mov_b32_e32 v147, v131
	v_pk_mul_f32 v[130:131], v[132:133], v[142:143] op_sel:[0,1]
	s_delay_alu instid0(VALU_DEP_1) | instskip(SKIP_1) | instid1(VALU_DEP_1)
	v_pk_fma_f32 v[144:145], v[132:133], v[140:141], v[130:131] op_sel:[0,0,1] op_sel_hi:[1,1,0] neg_lo:[0,0,1] neg_hi:[0,0,1]
	v_pk_fma_f32 v[130:131], v[132:133], v[140:141], v[130:131] op_sel:[0,0,1] op_sel_hi:[1,0,0]
	v_mov_b32_e32 v145, v131
	ds_load_2addr_b64 v[130:133], v134 offset0:51 offset1:52
	v_pk_add_f32 v[18:19], v[18:19], v[146:147] neg_lo:[0,1] neg_hi:[0,1]
	v_pk_add_f32 v[20:21], v[20:21], v[144:145] neg_lo:[0,1] neg_hi:[0,1]
	s_wait_dscnt 0x0
	v_pk_mul_f32 v[144:145], v[130:131], v[142:143] op_sel:[0,1]
	s_delay_alu instid0(VALU_DEP_1) | instskip(SKIP_2) | instid1(VALU_DEP_2)
	v_pk_fma_f32 v[146:147], v[130:131], v[140:141], v[144:145] op_sel:[0,0,1] op_sel_hi:[1,1,0] neg_lo:[0,0,1] neg_hi:[0,0,1]
	v_pk_fma_f32 v[130:131], v[130:131], v[140:141], v[144:145] op_sel:[0,0,1] op_sel_hi:[1,0,0]
	v_dual_mul_f32 v144, v133, v143 :: v_dual_mov_b32 v130, v133
	v_dual_mov_b32 v147, v131 :: v_dual_mov_b32 v131, v132
	s_delay_alu instid0(VALU_DEP_2) | instskip(SKIP_1) | instid1(VALU_DEP_3)
	v_pk_fma_f32 v[144:145], v[132:133], v[96:97], v[144:145] op_sel_hi:[1,1,0] neg_lo:[0,0,1] neg_hi:[0,0,1]
	v_mul_f32_e32 v132, v133, v140
	v_pk_add_f32 v[36:37], v[36:37], v[146:147] neg_lo:[0,1] neg_hi:[0,1]
	s_delay_alu instid0(VALU_DEP_2) | instskip(NEXT) | instid1(VALU_DEP_1)
	v_pk_fma_f32 v[130:131], v[130:131], v[96:97], v[132:133] op_sel_hi:[1,1,0]
	v_mov_b32_e32 v145, v131
	ds_load_2addr_b64 v[130:133], v134 offset0:53 offset1:54
	v_pk_add_f32 v[86:87], v[86:87], v[144:145] neg_lo:[0,1] neg_hi:[0,1]
	s_wait_dscnt 0x0
	v_pk_mul_f32 v[144:145], v[130:131], v[142:143] op_sel:[0,1]
	s_delay_alu instid0(VALU_DEP_1) | instskip(SKIP_1) | instid1(VALU_DEP_1)
	v_pk_fma_f32 v[146:147], v[130:131], v[140:141], v[144:145] op_sel:[0,0,1] op_sel_hi:[1,1,0] neg_lo:[0,0,1] neg_hi:[0,0,1]
	v_pk_fma_f32 v[130:131], v[130:131], v[140:141], v[144:145] op_sel:[0,0,1] op_sel_hi:[1,0,0]
	v_mov_b32_e32 v147, v131
	v_pk_mul_f32 v[130:131], v[132:133], v[142:143] op_sel:[0,1]
	s_delay_alu instid0(VALU_DEP_1) | instskip(SKIP_1) | instid1(VALU_DEP_1)
	v_pk_fma_f32 v[144:145], v[132:133], v[140:141], v[130:131] op_sel:[0,0,1] op_sel_hi:[1,1,0] neg_lo:[0,0,1] neg_hi:[0,0,1]
	v_pk_fma_f32 v[130:131], v[132:133], v[140:141], v[130:131] op_sel:[0,0,1] op_sel_hi:[1,0,0]
	v_mov_b32_e32 v145, v131
	ds_load_2addr_b64 v[130:133], v134 offset0:55 offset1:56
	v_pk_add_f32 v[10:11], v[10:11], v[146:147] neg_lo:[0,1] neg_hi:[0,1]
	v_pk_add_f32 v[12:13], v[12:13], v[144:145] neg_lo:[0,1] neg_hi:[0,1]
	s_wait_dscnt 0x0
	v_pk_mul_f32 v[144:145], v[130:131], v[142:143] op_sel:[0,1]
	s_delay_alu instid0(VALU_DEP_1) | instskip(SKIP_1) | instid1(VALU_DEP_1)
	v_pk_fma_f32 v[146:147], v[130:131], v[140:141], v[144:145] op_sel:[0,0,1] op_sel_hi:[1,1,0] neg_lo:[0,0,1] neg_hi:[0,0,1]
	v_pk_fma_f32 v[130:131], v[130:131], v[140:141], v[144:145] op_sel:[0,0,1] op_sel_hi:[1,0,0]
	v_mov_b32_e32 v147, v131
	v_pk_mul_f32 v[130:131], v[132:133], v[142:143] op_sel:[0,1]
	s_delay_alu instid0(VALU_DEP_1) | instskip(SKIP_1) | instid1(VALU_DEP_1)
	v_pk_fma_f32 v[144:145], v[132:133], v[140:141], v[130:131] op_sel:[0,0,1] op_sel_hi:[1,1,0] neg_lo:[0,0,1] neg_hi:[0,0,1]
	v_pk_fma_f32 v[130:131], v[132:133], v[140:141], v[130:131] op_sel:[0,0,1] op_sel_hi:[1,0,0]
	v_mov_b32_e32 v145, v131
	ds_load_2addr_b64 v[130:133], v134 offset0:57 offset1:58
	v_pk_add_f32 v[8:9], v[8:9], v[146:147] neg_lo:[0,1] neg_hi:[0,1]
	v_pk_add_f32 v[44:45], v[44:45], v[144:145] neg_lo:[0,1] neg_hi:[0,1]
	s_wait_dscnt 0x0
	v_dual_mul_f32 v144, v131, v143 :: v_dual_mul_f32 v146, v131, v140
	s_delay_alu instid0(VALU_DEP_1) | instskip(NEXT) | instid1(VALU_DEP_2)
	v_pk_fma_f32 v[144:145], v[130:131], v[96:97], v[144:145] op_sel_hi:[1,1,0] neg_lo:[0,0,1] neg_hi:[0,0,1]
	v_pk_fma_f32 v[130:131], v[130:131], v[96:97], v[146:147] op_sel:[1,0,0] op_sel_hi:[0,1,0]
	s_delay_alu instid0(VALU_DEP_1) | instskip(SKIP_1) | instid1(VALU_DEP_2)
	v_mov_b32_e32 v145, v131
	v_pk_mul_f32 v[130:131], v[132:133], v[142:143] op_sel:[0,1]
	v_pk_add_f32 v[6:7], v[6:7], v[144:145] neg_lo:[0,1] neg_hi:[0,1]
	s_delay_alu instid0(VALU_DEP_2) | instskip(SKIP_1) | instid1(VALU_DEP_1)
	v_pk_fma_f32 v[144:145], v[132:133], v[140:141], v[130:131] op_sel:[0,0,1] op_sel_hi:[1,1,0] neg_lo:[0,0,1] neg_hi:[0,0,1]
	v_pk_fma_f32 v[130:131], v[132:133], v[140:141], v[130:131] op_sel:[0,0,1] op_sel_hi:[1,0,0]
	v_mov_b32_e32 v145, v131
	ds_load_2addr_b64 v[130:133], v134 offset0:59 offset1:60
	v_pk_add_f32 v[26:27], v[26:27], v[144:145] neg_lo:[0,1] neg_hi:[0,1]
	s_wait_dscnt 0x0
	v_pk_mul_f32 v[144:145], v[130:131], v[142:143] op_sel:[0,1]
	s_delay_alu instid0(VALU_DEP_1) | instskip(SKIP_1) | instid1(VALU_DEP_1)
	v_pk_fma_f32 v[146:147], v[130:131], v[140:141], v[144:145] op_sel:[0,0,1] op_sel_hi:[1,1,0] neg_lo:[0,0,1] neg_hi:[0,0,1]
	v_pk_fma_f32 v[130:131], v[130:131], v[140:141], v[144:145] op_sel:[0,0,1] op_sel_hi:[1,0,0]
	v_mov_b32_e32 v147, v131
	v_pk_mul_f32 v[130:131], v[132:133], v[142:143] op_sel:[0,1]
	s_delay_alu instid0(VALU_DEP_2) | instskip(NEXT) | instid1(VALU_DEP_2)
	v_pk_add_f32 v[16:17], v[16:17], v[146:147] neg_lo:[0,1] neg_hi:[0,1]
	v_pk_fma_f32 v[144:145], v[132:133], v[140:141], v[130:131] op_sel:[0,0,1] op_sel_hi:[1,1,0] neg_lo:[0,0,1] neg_hi:[0,0,1]
	v_pk_fma_f32 v[130:131], v[132:133], v[140:141], v[130:131] op_sel:[0,0,1] op_sel_hi:[1,0,0]
	s_delay_alu instid0(VALU_DEP_1) | instskip(SKIP_4) | instid1(VALU_DEP_1)
	v_mov_b32_e32 v145, v131
	ds_load_b64 v[130:131], v134 offset:488
	v_pk_add_f32 v[14:15], v[14:15], v[144:145] neg_lo:[0,1] neg_hi:[0,1]
	s_wait_dscnt 0x0
	v_pk_mul_f32 v[132:133], v[130:131], v[142:143] op_sel:[0,1]
	v_pk_fma_f32 v[142:143], v[130:131], v[140:141], v[132:133] op_sel:[0,0,1] op_sel_hi:[1,1,0] neg_lo:[0,0,1] neg_hi:[0,0,1]
	v_pk_fma_f32 v[130:131], v[130:131], v[140:141], v[132:133] op_sel:[0,0,1] op_sel_hi:[1,0,0]
	s_delay_alu instid0(VALU_DEP_1) | instskip(NEXT) | instid1(VALU_DEP_1)
	v_mov_b32_e32 v143, v131
	v_pk_add_f32 v[128:129], v[128:129], v[142:143] neg_lo:[0,1] neg_hi:[0,1]
.LBB122_1028:
	s_or_b32 exec_lo, exec_lo, s0
	v_lshl_add_u32 v130, v138, 3, v134
	s_barrier_signal -1
	s_barrier_wait -1
	ds_store_b64 v130, v[18:19]
	s_wait_dscnt 0x0
	s_barrier_signal -1
	s_barrier_wait -1
	ds_load_b64 v[130:131], v134 offset:392
	v_mov_b32_e32 v132, 49
	s_cmp_lt_i32 s18, 51
	s_cbranch_scc1 .LBB122_1031
; %bb.1029:
	v_add3_u32 v133, v135, 0, 0x190
	v_mov_b32_e32 v132, 49
	s_mov_b32 s0, 50
.LBB122_1030:                           ; =>This Inner Loop Header: Depth=1
	ds_load_b64 v[140:141], v133
	s_wait_dscnt 0x1
	v_cmp_gt_f32_e32 vcc_lo, 0, v130
	v_cndmask_b32_e64 v142, v130, -v130, vcc_lo
	v_cmp_gt_f32_e32 vcc_lo, 0, v131
	v_cndmask_b32_e64 v144, v131, -v131, vcc_lo
	s_wait_dscnt 0x0
	v_cmp_gt_f32_e32 vcc_lo, 0, v140
	v_cndmask_b32_e64 v143, v140, -v140, vcc_lo
	v_cmp_gt_f32_e32 vcc_lo, 0, v141
	v_cndmask_b32_e64 v145, v141, -v141, vcc_lo
	s_delay_alu instid0(VALU_DEP_1) | instskip(NEXT) | instid1(VALU_DEP_1)
	v_pk_add_f32 v[142:143], v[142:143], v[144:145]
	v_cmp_lt_f32_e32 vcc_lo, v142, v143
	v_dual_cndmask_b32 v130, v130, v140 :: v_dual_add_nc_u32 v133, 8, v133
	v_cndmask_b32_e32 v131, v131, v141, vcc_lo
	v_cndmask_b32_e64 v132, v132, s0, vcc_lo
	s_add_co_i32 s0, s0, 1
	s_delay_alu instid0(SALU_CYCLE_1)
	s_cmp_lg_u32 s18, s0
	s_cbranch_scc1 .LBB122_1030
.LBB122_1031:
	s_wait_dscnt 0x0
	v_cmp_eq_f32_e32 vcc_lo, 0, v130
	v_cmp_eq_f32_e64 s0, 0, v131
	s_and_b32 s0, vcc_lo, s0
	s_delay_alu instid0(SALU_CYCLE_1) | instskip(NEXT) | instid1(SALU_CYCLE_1)
	s_and_saveexec_b32 s1, s0
	s_xor_b32 s0, exec_lo, s1
; %bb.1032:
	v_cmp_ne_u32_e32 vcc_lo, 0, v136
	v_cndmask_b32_e32 v136, 50, v136, vcc_lo
; %bb.1033:
	s_and_not1_saveexec_b32 s0, s0
	s_cbranch_execz .LBB122_1039
; %bb.1034:
	v_cmp_ngt_f32_e64 s1, |v130|, |v131|
	s_and_saveexec_b32 s12, s1
	s_delay_alu instid0(SALU_CYCLE_1)
	s_xor_b32 s1, exec_lo, s12
	s_cbranch_execz .LBB122_1036
; %bb.1035:
	v_div_scale_f32 v133, null, v131, v131, v130
	v_div_scale_f32 v141, vcc_lo, v130, v131, v130
	s_delay_alu instid0(VALU_DEP_2) | instskip(SKIP_1) | instid1(TRANS32_DEP_1)
	v_rcp_f32_e32 v139, v133
	v_nop
	v_fma_f32 v140, -v133, v139, 1.0
	s_delay_alu instid0(VALU_DEP_1) | instskip(NEXT) | instid1(VALU_DEP_1)
	v_fmac_f32_e32 v139, v140, v139
	v_mul_f32_e32 v140, v141, v139
	s_delay_alu instid0(VALU_DEP_1) | instskip(NEXT) | instid1(VALU_DEP_1)
	v_fma_f32 v142, -v133, v140, v141
	v_fmac_f32_e32 v140, v142, v139
	s_delay_alu instid0(VALU_DEP_1) | instskip(NEXT) | instid1(VALU_DEP_1)
	v_fma_f32 v133, -v133, v140, v141
	v_div_fmas_f32 v133, v133, v139, v140
	s_delay_alu instid0(VALU_DEP_1) | instskip(NEXT) | instid1(VALU_DEP_1)
	v_div_fixup_f32 v133, v133, v131, v130
	v_fmac_f32_e32 v131, v130, v133
	s_delay_alu instid0(VALU_DEP_1) | instskip(SKIP_1) | instid1(VALU_DEP_2)
	v_div_scale_f32 v130, null, v131, v131, 1.0
	v_div_scale_f32 v141, vcc_lo, 1.0, v131, 1.0
	v_rcp_f32_e32 v139, v130
	v_nop
	s_delay_alu instid0(TRANS32_DEP_1) | instskip(NEXT) | instid1(VALU_DEP_1)
	v_fma_f32 v140, -v130, v139, 1.0
	v_fmac_f32_e32 v139, v140, v139
	s_delay_alu instid0(VALU_DEP_1) | instskip(NEXT) | instid1(VALU_DEP_1)
	v_mul_f32_e32 v140, v141, v139
	v_fma_f32 v142, -v130, v140, v141
	s_delay_alu instid0(VALU_DEP_1) | instskip(NEXT) | instid1(VALU_DEP_1)
	v_fmac_f32_e32 v140, v142, v139
	v_fma_f32 v130, -v130, v140, v141
	s_delay_alu instid0(VALU_DEP_1) | instskip(NEXT) | instid1(VALU_DEP_1)
	v_div_fmas_f32 v130, v130, v139, v140
	v_div_fixup_f32 v131, v130, v131, 1.0
	s_delay_alu instid0(VALU_DEP_1)
	v_mul_f32_e32 v130, v133, v131
	v_xor_b32_e32 v131, 0x80000000, v131
.LBB122_1036:
	s_and_not1_saveexec_b32 s1, s1
	s_cbranch_execz .LBB122_1038
; %bb.1037:
	s_delay_alu instid0(VALU_DEP_1) | instskip(SKIP_1) | instid1(VALU_DEP_2)
	v_div_scale_f32 v133, null, v130, v130, v131
	v_div_scale_f32 v141, vcc_lo, v131, v130, v131
	v_rcp_f32_e32 v139, v133
	v_nop
	s_delay_alu instid0(TRANS32_DEP_1) | instskip(NEXT) | instid1(VALU_DEP_1)
	v_fma_f32 v140, -v133, v139, 1.0
	v_fmac_f32_e32 v139, v140, v139
	s_delay_alu instid0(VALU_DEP_1) | instskip(NEXT) | instid1(VALU_DEP_1)
	v_mul_f32_e32 v140, v141, v139
	v_fma_f32 v142, -v133, v140, v141
	s_delay_alu instid0(VALU_DEP_1) | instskip(NEXT) | instid1(VALU_DEP_1)
	v_fmac_f32_e32 v140, v142, v139
	v_fma_f32 v133, -v133, v140, v141
	s_delay_alu instid0(VALU_DEP_1) | instskip(NEXT) | instid1(VALU_DEP_1)
	v_div_fmas_f32 v133, v133, v139, v140
	v_div_fixup_f32 v133, v133, v130, v131
	s_delay_alu instid0(VALU_DEP_1) | instskip(NEXT) | instid1(VALU_DEP_1)
	v_fmac_f32_e32 v130, v131, v133
	v_div_scale_f32 v131, null, v130, v130, 1.0
	s_delay_alu instid0(VALU_DEP_1) | instskip(SKIP_1) | instid1(TRANS32_DEP_1)
	v_rcp_f32_e32 v139, v131
	v_nop
	v_fma_f32 v140, -v131, v139, 1.0
	s_delay_alu instid0(VALU_DEP_1) | instskip(SKIP_1) | instid1(VALU_DEP_1)
	v_fmac_f32_e32 v139, v140, v139
	v_div_scale_f32 v140, vcc_lo, 1.0, v130, 1.0
	v_mul_f32_e32 v141, v140, v139
	s_delay_alu instid0(VALU_DEP_1) | instskip(NEXT) | instid1(VALU_DEP_1)
	v_fma_f32 v142, -v131, v141, v140
	v_fmac_f32_e32 v141, v142, v139
	s_delay_alu instid0(VALU_DEP_1) | instskip(NEXT) | instid1(VALU_DEP_1)
	v_fma_f32 v131, -v131, v141, v140
	v_div_fmas_f32 v131, v131, v139, v141
	s_delay_alu instid0(VALU_DEP_1) | instskip(NEXT) | instid1(VALU_DEP_1)
	v_div_fixup_f32 v130, v131, v130, 1.0
	v_mul_f32_e64 v131, v133, -v130
.LBB122_1038:
	s_or_b32 exec_lo, exec_lo, s1
.LBB122_1039:
	s_delay_alu instid0(SALU_CYCLE_1) | instskip(NEXT) | instid1(SALU_CYCLE_1)
	s_or_b32 exec_lo, exec_lo, s0
	s_mov_b32 s0, exec_lo
	v_cmpx_ne_u32_e64 v138, v132
	s_xor_b32 s0, exec_lo, s0
	s_cbranch_execz .LBB122_1045
; %bb.1040:
	s_mov_b32 s1, exec_lo
	v_cmpx_eq_u32_e32 49, v138
	s_cbranch_execz .LBB122_1044
; %bb.1041:
	v_cmp_ne_u32_e32 vcc_lo, 49, v132
	s_xor_b32 s12, s16, -1
	s_delay_alu instid0(SALU_CYCLE_1) | instskip(NEXT) | instid1(SALU_CYCLE_1)
	s_and_b32 s13, s12, vcc_lo
	s_and_saveexec_b32 s12, s13
	s_cbranch_execz .LBB122_1043
; %bb.1042:
	v_ashrrev_i32_e32 v133, 31, v132
	s_delay_alu instid0(VALU_DEP_1)
	v_lshl_add_u64 v[138:139], v[132:133], 2, v[4:5]
	s_clause 0x1
	global_load_b32 v133, v[138:139], off
	global_load_b32 v137, v[4:5], off offset:196
	s_wait_loadcnt 0x1
	global_store_b32 v[4:5], v133, off offset:196
	s_wait_loadcnt 0x0
	global_store_b32 v[138:139], v137, off
.LBB122_1043:
	s_wait_xcnt 0x0
	s_or_b32 exec_lo, exec_lo, s12
	v_dual_mov_b32 v138, v132 :: v_dual_mov_b32 v137, v132
.LBB122_1044:
	s_or_b32 exec_lo, exec_lo, s1
.LBB122_1045:
	s_and_not1_saveexec_b32 s0, s0
	s_cbranch_execz .LBB122_1047
; %bb.1046:
	v_dual_mov_b32 v132, v20 :: v_dual_mov_b32 v133, v21
	v_dual_mov_b32 v138, v36 :: v_dual_mov_b32 v139, v37
	;; [unrolled: 1-line block ×4, first 2 shown]
	ds_store_2addr_b64 v134, v[132:133], v[138:139] offset0:50 offset1:51
	ds_store_2addr_b64 v134, v[140:141], v[142:143] offset0:52 offset1:53
	v_dual_mov_b32 v132, v12 :: v_dual_mov_b32 v133, v13
	v_dual_mov_b32 v140, v8 :: v_dual_mov_b32 v141, v9
	;; [unrolled: 1-line block ×7, first 2 shown]
	v_mov_b32_e32 v151, v15
	ds_store_2addr_b64 v134, v[132:133], v[140:141] offset0:54 offset1:55
	ds_store_2addr_b64 v134, v[142:143], v[144:145] offset0:56 offset1:57
	;; [unrolled: 1-line block ×4, first 2 shown]
.LBB122_1047:
	s_or_b32 exec_lo, exec_lo, s0
	s_delay_alu instid0(SALU_CYCLE_1)
	s_mov_b32 s0, exec_lo
	s_wait_storecnt_dscnt 0x0
	s_barrier_signal -1
	s_barrier_wait -1
	v_cmpx_lt_i32_e32 49, v138
	s_cbranch_execz .LBB122_1049
; %bb.1048:
	v_pk_mul_f32 v[132:133], v[130:131], v[18:19] op_sel:[1,1] op_sel_hi:[0,1]
	s_delay_alu instid0(VALU_DEP_1)
	v_pk_fma_f32 v[140:141], v[130:131], v[18:19], v[132:133] op_sel_hi:[1,0,1] neg_lo:[0,0,1] neg_hi:[0,0,1]
	v_pk_fma_f32 v[142:143], v[130:131], v[18:19], v[132:133] op_sel_hi:[1,0,1]
	ds_load_2addr_b64 v[130:133], v134 offset0:50 offset1:51
	v_dual_mov_b32 v18, v140 :: v_dual_mov_b32 v19, v143
	s_wait_dscnt 0x0
	v_pk_mul_f32 v[144:145], v[130:131], v[142:143] op_sel:[0,1]
	s_delay_alu instid0(VALU_DEP_1) | instskip(SKIP_1) | instid1(VALU_DEP_1)
	v_pk_fma_f32 v[146:147], v[130:131], v[140:141], v[144:145] op_sel:[0,0,1] op_sel_hi:[1,1,0] neg_lo:[0,0,1] neg_hi:[0,0,1]
	v_pk_fma_f32 v[130:131], v[130:131], v[140:141], v[144:145] op_sel:[0,0,1] op_sel_hi:[1,0,0]
	v_mov_b32_e32 v147, v131
	v_pk_mul_f32 v[130:131], v[132:133], v[142:143] op_sel:[0,1]
	s_delay_alu instid0(VALU_DEP_1) | instskip(SKIP_1) | instid1(VALU_DEP_1)
	v_pk_fma_f32 v[144:145], v[132:133], v[140:141], v[130:131] op_sel:[0,0,1] op_sel_hi:[1,1,0] neg_lo:[0,0,1] neg_hi:[0,0,1]
	v_pk_fma_f32 v[130:131], v[132:133], v[140:141], v[130:131] op_sel:[0,0,1] op_sel_hi:[1,0,0]
	v_mov_b32_e32 v145, v131
	ds_load_2addr_b64 v[130:133], v134 offset0:52 offset1:53
	v_pk_add_f32 v[20:21], v[20:21], v[146:147] neg_lo:[0,1] neg_hi:[0,1]
	v_pk_add_f32 v[36:37], v[36:37], v[144:145] neg_lo:[0,1] neg_hi:[0,1]
	s_wait_dscnt 0x0
	v_pk_mul_f32 v[144:145], v[130:131], v[142:143] op_sel:[0,1]
	s_delay_alu instid0(VALU_DEP_1) | instskip(SKIP_2) | instid1(VALU_DEP_2)
	v_pk_fma_f32 v[146:147], v[130:131], v[140:141], v[144:145] op_sel:[0,0,1] op_sel_hi:[1,1,0] neg_lo:[0,0,1] neg_hi:[0,0,1]
	v_pk_fma_f32 v[130:131], v[130:131], v[140:141], v[144:145] op_sel:[0,0,1] op_sel_hi:[1,0,0]
	v_dual_mul_f32 v144, v133, v143 :: v_dual_mov_b32 v130, v133
	v_dual_mov_b32 v147, v131 :: v_dual_mov_b32 v131, v132
	s_delay_alu instid0(VALU_DEP_2) | instskip(SKIP_1) | instid1(VALU_DEP_3)
	v_pk_fma_f32 v[144:145], v[132:133], v[18:19], v[144:145] op_sel_hi:[1,1,0] neg_lo:[0,0,1] neg_hi:[0,0,1]
	v_mul_f32_e32 v132, v133, v140
	v_pk_add_f32 v[86:87], v[86:87], v[146:147] neg_lo:[0,1] neg_hi:[0,1]
	s_delay_alu instid0(VALU_DEP_2) | instskip(NEXT) | instid1(VALU_DEP_1)
	v_pk_fma_f32 v[130:131], v[130:131], v[18:19], v[132:133] op_sel_hi:[1,1,0]
	v_mov_b32_e32 v145, v131
	ds_load_2addr_b64 v[130:133], v134 offset0:54 offset1:55
	v_pk_add_f32 v[10:11], v[10:11], v[144:145] neg_lo:[0,1] neg_hi:[0,1]
	s_wait_dscnt 0x0
	v_pk_mul_f32 v[144:145], v[130:131], v[142:143] op_sel:[0,1]
	s_delay_alu instid0(VALU_DEP_1) | instskip(SKIP_1) | instid1(VALU_DEP_1)
	v_pk_fma_f32 v[146:147], v[130:131], v[140:141], v[144:145] op_sel:[0,0,1] op_sel_hi:[1,1,0] neg_lo:[0,0,1] neg_hi:[0,0,1]
	v_pk_fma_f32 v[130:131], v[130:131], v[140:141], v[144:145] op_sel:[0,0,1] op_sel_hi:[1,0,0]
	v_mov_b32_e32 v147, v131
	v_pk_mul_f32 v[130:131], v[132:133], v[142:143] op_sel:[0,1]
	s_delay_alu instid0(VALU_DEP_1) | instskip(SKIP_1) | instid1(VALU_DEP_1)
	v_pk_fma_f32 v[144:145], v[132:133], v[140:141], v[130:131] op_sel:[0,0,1] op_sel_hi:[1,1,0] neg_lo:[0,0,1] neg_hi:[0,0,1]
	v_pk_fma_f32 v[130:131], v[132:133], v[140:141], v[130:131] op_sel:[0,0,1] op_sel_hi:[1,0,0]
	v_mov_b32_e32 v145, v131
	ds_load_2addr_b64 v[130:133], v134 offset0:56 offset1:57
	v_pk_add_f32 v[12:13], v[12:13], v[146:147] neg_lo:[0,1] neg_hi:[0,1]
	v_pk_add_f32 v[8:9], v[8:9], v[144:145] neg_lo:[0,1] neg_hi:[0,1]
	s_wait_dscnt 0x0
	v_pk_mul_f32 v[144:145], v[130:131], v[142:143] op_sel:[0,1]
	s_delay_alu instid0(VALU_DEP_1) | instskip(SKIP_1) | instid1(VALU_DEP_1)
	v_pk_fma_f32 v[146:147], v[130:131], v[140:141], v[144:145] op_sel:[0,0,1] op_sel_hi:[1,1,0] neg_lo:[0,0,1] neg_hi:[0,0,1]
	v_pk_fma_f32 v[130:131], v[130:131], v[140:141], v[144:145] op_sel:[0,0,1] op_sel_hi:[1,0,0]
	v_mov_b32_e32 v147, v131
	v_pk_mul_f32 v[130:131], v[132:133], v[142:143] op_sel:[0,1]
	s_delay_alu instid0(VALU_DEP_1) | instskip(SKIP_1) | instid1(VALU_DEP_1)
	v_pk_fma_f32 v[144:145], v[132:133], v[140:141], v[130:131] op_sel:[0,0,1] op_sel_hi:[1,1,0] neg_lo:[0,0,1] neg_hi:[0,0,1]
	v_pk_fma_f32 v[130:131], v[132:133], v[140:141], v[130:131] op_sel:[0,0,1] op_sel_hi:[1,0,0]
	v_mov_b32_e32 v145, v131
	ds_load_2addr_b64 v[130:133], v134 offset0:58 offset1:59
	v_pk_add_f32 v[44:45], v[44:45], v[146:147] neg_lo:[0,1] neg_hi:[0,1]
	v_pk_add_f32 v[6:7], v[6:7], v[144:145] neg_lo:[0,1] neg_hi:[0,1]
	s_wait_dscnt 0x0
	v_dual_mul_f32 v144, v131, v143 :: v_dual_mul_f32 v146, v131, v140
	s_delay_alu instid0(VALU_DEP_1) | instskip(NEXT) | instid1(VALU_DEP_2)
	v_pk_fma_f32 v[144:145], v[130:131], v[18:19], v[144:145] op_sel_hi:[1,1,0] neg_lo:[0,0,1] neg_hi:[0,0,1]
	v_pk_fma_f32 v[130:131], v[130:131], v[18:19], v[146:147] op_sel:[1,0,0] op_sel_hi:[0,1,0]
	s_delay_alu instid0(VALU_DEP_1) | instskip(SKIP_1) | instid1(VALU_DEP_2)
	v_mov_b32_e32 v145, v131
	v_pk_mul_f32 v[130:131], v[132:133], v[142:143] op_sel:[0,1]
	v_pk_add_f32 v[26:27], v[26:27], v[144:145] neg_lo:[0,1] neg_hi:[0,1]
	s_delay_alu instid0(VALU_DEP_2) | instskip(SKIP_1) | instid1(VALU_DEP_1)
	v_pk_fma_f32 v[144:145], v[132:133], v[140:141], v[130:131] op_sel:[0,0,1] op_sel_hi:[1,1,0] neg_lo:[0,0,1] neg_hi:[0,0,1]
	v_pk_fma_f32 v[130:131], v[132:133], v[140:141], v[130:131] op_sel:[0,0,1] op_sel_hi:[1,0,0]
	v_mov_b32_e32 v145, v131
	ds_load_2addr_b64 v[130:133], v134 offset0:60 offset1:61
	v_pk_add_f32 v[16:17], v[16:17], v[144:145] neg_lo:[0,1] neg_hi:[0,1]
	s_wait_dscnt 0x0
	v_pk_mul_f32 v[144:145], v[130:131], v[142:143] op_sel:[0,1]
	v_mul_f32_e32 v142, v133, v143
	s_delay_alu instid0(VALU_DEP_2) | instskip(SKIP_2) | instid1(VALU_DEP_4)
	v_pk_fma_f32 v[146:147], v[130:131], v[140:141], v[144:145] op_sel:[0,0,1] op_sel_hi:[1,1,0] neg_lo:[0,0,1] neg_hi:[0,0,1]
	v_pk_fma_f32 v[130:131], v[130:131], v[140:141], v[144:145] op_sel:[0,0,1] op_sel_hi:[1,0,0]
	v_mov_b32_e32 v130, v133
	v_pk_fma_f32 v[142:143], v[132:133], v[18:19], v[142:143] op_sel_hi:[1,1,0] neg_lo:[0,0,1] neg_hi:[0,0,1]
	s_delay_alu instid0(VALU_DEP_3) | instskip(SKIP_1) | instid1(VALU_DEP_2)
	v_dual_mov_b32 v147, v131 :: v_dual_mov_b32 v131, v132
	v_mul_f32_e32 v132, v133, v140
	v_pk_add_f32 v[14:15], v[14:15], v[146:147] neg_lo:[0,1] neg_hi:[0,1]
	s_delay_alu instid0(VALU_DEP_2) | instskip(NEXT) | instid1(VALU_DEP_1)
	v_pk_fma_f32 v[130:131], v[130:131], v[18:19], v[132:133] op_sel_hi:[1,1,0]
	v_mov_b32_e32 v143, v131
	s_delay_alu instid0(VALU_DEP_1)
	v_pk_add_f32 v[128:129], v[128:129], v[142:143] neg_lo:[0,1] neg_hi:[0,1]
.LBB122_1049:
	s_or_b32 exec_lo, exec_lo, s0
	v_lshl_add_u32 v130, v138, 3, v134
	s_barrier_signal -1
	s_barrier_wait -1
	ds_store_b64 v130, v[20:21]
	s_wait_dscnt 0x0
	s_barrier_signal -1
	s_barrier_wait -1
	ds_load_b64 v[130:131], v134 offset:400
	v_mov_b32_e32 v132, 50
	s_cmp_lt_i32 s18, 52
	s_cbranch_scc1 .LBB122_1052
; %bb.1050:
	v_add3_u32 v133, v135, 0, 0x198
	v_mov_b32_e32 v132, 50
	s_mov_b32 s0, 51
.LBB122_1051:                           ; =>This Inner Loop Header: Depth=1
	ds_load_b64 v[140:141], v133
	s_wait_dscnt 0x1
	v_cmp_gt_f32_e32 vcc_lo, 0, v130
	v_cndmask_b32_e64 v142, v130, -v130, vcc_lo
	v_cmp_gt_f32_e32 vcc_lo, 0, v131
	v_cndmask_b32_e64 v144, v131, -v131, vcc_lo
	s_wait_dscnt 0x0
	v_cmp_gt_f32_e32 vcc_lo, 0, v140
	v_cndmask_b32_e64 v143, v140, -v140, vcc_lo
	v_cmp_gt_f32_e32 vcc_lo, 0, v141
	v_cndmask_b32_e64 v145, v141, -v141, vcc_lo
	s_delay_alu instid0(VALU_DEP_1) | instskip(NEXT) | instid1(VALU_DEP_1)
	v_pk_add_f32 v[142:143], v[142:143], v[144:145]
	v_cmp_lt_f32_e32 vcc_lo, v142, v143
	v_dual_cndmask_b32 v130, v130, v140 :: v_dual_add_nc_u32 v133, 8, v133
	v_cndmask_b32_e32 v131, v131, v141, vcc_lo
	v_cndmask_b32_e64 v132, v132, s0, vcc_lo
	s_add_co_i32 s0, s0, 1
	s_delay_alu instid0(SALU_CYCLE_1)
	s_cmp_lg_u32 s18, s0
	s_cbranch_scc1 .LBB122_1051
.LBB122_1052:
	s_wait_dscnt 0x0
	v_cmp_eq_f32_e32 vcc_lo, 0, v130
	v_cmp_eq_f32_e64 s0, 0, v131
	s_and_b32 s0, vcc_lo, s0
	s_delay_alu instid0(SALU_CYCLE_1) | instskip(NEXT) | instid1(SALU_CYCLE_1)
	s_and_saveexec_b32 s1, s0
	s_xor_b32 s0, exec_lo, s1
; %bb.1053:
	v_cmp_ne_u32_e32 vcc_lo, 0, v136
	v_cndmask_b32_e32 v136, 51, v136, vcc_lo
; %bb.1054:
	s_and_not1_saveexec_b32 s0, s0
	s_cbranch_execz .LBB122_1060
; %bb.1055:
	v_cmp_ngt_f32_e64 s1, |v130|, |v131|
	s_and_saveexec_b32 s12, s1
	s_delay_alu instid0(SALU_CYCLE_1)
	s_xor_b32 s1, exec_lo, s12
	s_cbranch_execz .LBB122_1057
; %bb.1056:
	v_div_scale_f32 v133, null, v131, v131, v130
	v_div_scale_f32 v141, vcc_lo, v130, v131, v130
	s_delay_alu instid0(VALU_DEP_2) | instskip(SKIP_1) | instid1(TRANS32_DEP_1)
	v_rcp_f32_e32 v139, v133
	v_nop
	v_fma_f32 v140, -v133, v139, 1.0
	s_delay_alu instid0(VALU_DEP_1) | instskip(NEXT) | instid1(VALU_DEP_1)
	v_fmac_f32_e32 v139, v140, v139
	v_mul_f32_e32 v140, v141, v139
	s_delay_alu instid0(VALU_DEP_1) | instskip(NEXT) | instid1(VALU_DEP_1)
	v_fma_f32 v142, -v133, v140, v141
	v_fmac_f32_e32 v140, v142, v139
	s_delay_alu instid0(VALU_DEP_1) | instskip(NEXT) | instid1(VALU_DEP_1)
	v_fma_f32 v133, -v133, v140, v141
	v_div_fmas_f32 v133, v133, v139, v140
	s_delay_alu instid0(VALU_DEP_1) | instskip(NEXT) | instid1(VALU_DEP_1)
	v_div_fixup_f32 v133, v133, v131, v130
	v_fmac_f32_e32 v131, v130, v133
	s_delay_alu instid0(VALU_DEP_1) | instskip(SKIP_1) | instid1(VALU_DEP_2)
	v_div_scale_f32 v130, null, v131, v131, 1.0
	v_div_scale_f32 v141, vcc_lo, 1.0, v131, 1.0
	v_rcp_f32_e32 v139, v130
	v_nop
	s_delay_alu instid0(TRANS32_DEP_1) | instskip(NEXT) | instid1(VALU_DEP_1)
	v_fma_f32 v140, -v130, v139, 1.0
	v_fmac_f32_e32 v139, v140, v139
	s_delay_alu instid0(VALU_DEP_1) | instskip(NEXT) | instid1(VALU_DEP_1)
	v_mul_f32_e32 v140, v141, v139
	v_fma_f32 v142, -v130, v140, v141
	s_delay_alu instid0(VALU_DEP_1) | instskip(NEXT) | instid1(VALU_DEP_1)
	v_fmac_f32_e32 v140, v142, v139
	v_fma_f32 v130, -v130, v140, v141
	s_delay_alu instid0(VALU_DEP_1) | instskip(NEXT) | instid1(VALU_DEP_1)
	v_div_fmas_f32 v130, v130, v139, v140
	v_div_fixup_f32 v131, v130, v131, 1.0
	s_delay_alu instid0(VALU_DEP_1)
	v_mul_f32_e32 v130, v133, v131
	v_xor_b32_e32 v131, 0x80000000, v131
.LBB122_1057:
	s_and_not1_saveexec_b32 s1, s1
	s_cbranch_execz .LBB122_1059
; %bb.1058:
	s_delay_alu instid0(VALU_DEP_1) | instskip(SKIP_1) | instid1(VALU_DEP_2)
	v_div_scale_f32 v133, null, v130, v130, v131
	v_div_scale_f32 v141, vcc_lo, v131, v130, v131
	v_rcp_f32_e32 v139, v133
	v_nop
	s_delay_alu instid0(TRANS32_DEP_1) | instskip(NEXT) | instid1(VALU_DEP_1)
	v_fma_f32 v140, -v133, v139, 1.0
	v_fmac_f32_e32 v139, v140, v139
	s_delay_alu instid0(VALU_DEP_1) | instskip(NEXT) | instid1(VALU_DEP_1)
	v_mul_f32_e32 v140, v141, v139
	v_fma_f32 v142, -v133, v140, v141
	s_delay_alu instid0(VALU_DEP_1) | instskip(NEXT) | instid1(VALU_DEP_1)
	v_fmac_f32_e32 v140, v142, v139
	v_fma_f32 v133, -v133, v140, v141
	s_delay_alu instid0(VALU_DEP_1) | instskip(NEXT) | instid1(VALU_DEP_1)
	v_div_fmas_f32 v133, v133, v139, v140
	v_div_fixup_f32 v133, v133, v130, v131
	s_delay_alu instid0(VALU_DEP_1) | instskip(NEXT) | instid1(VALU_DEP_1)
	v_fmac_f32_e32 v130, v131, v133
	v_div_scale_f32 v131, null, v130, v130, 1.0
	s_delay_alu instid0(VALU_DEP_1) | instskip(SKIP_1) | instid1(TRANS32_DEP_1)
	v_rcp_f32_e32 v139, v131
	v_nop
	v_fma_f32 v140, -v131, v139, 1.0
	s_delay_alu instid0(VALU_DEP_1) | instskip(SKIP_1) | instid1(VALU_DEP_1)
	v_fmac_f32_e32 v139, v140, v139
	v_div_scale_f32 v140, vcc_lo, 1.0, v130, 1.0
	v_mul_f32_e32 v141, v140, v139
	s_delay_alu instid0(VALU_DEP_1) | instskip(NEXT) | instid1(VALU_DEP_1)
	v_fma_f32 v142, -v131, v141, v140
	v_fmac_f32_e32 v141, v142, v139
	s_delay_alu instid0(VALU_DEP_1) | instskip(NEXT) | instid1(VALU_DEP_1)
	v_fma_f32 v131, -v131, v141, v140
	v_div_fmas_f32 v131, v131, v139, v141
	s_delay_alu instid0(VALU_DEP_1) | instskip(NEXT) | instid1(VALU_DEP_1)
	v_div_fixup_f32 v130, v131, v130, 1.0
	v_mul_f32_e64 v131, v133, -v130
.LBB122_1059:
	s_or_b32 exec_lo, exec_lo, s1
.LBB122_1060:
	s_delay_alu instid0(SALU_CYCLE_1) | instskip(NEXT) | instid1(SALU_CYCLE_1)
	s_or_b32 exec_lo, exec_lo, s0
	s_mov_b32 s0, exec_lo
	v_cmpx_ne_u32_e64 v138, v132
	s_xor_b32 s0, exec_lo, s0
	s_cbranch_execz .LBB122_1066
; %bb.1061:
	s_mov_b32 s1, exec_lo
	v_cmpx_eq_u32_e32 50, v138
	s_cbranch_execz .LBB122_1065
; %bb.1062:
	v_cmp_ne_u32_e32 vcc_lo, 50, v132
	s_xor_b32 s12, s16, -1
	s_delay_alu instid0(SALU_CYCLE_1) | instskip(NEXT) | instid1(SALU_CYCLE_1)
	s_and_b32 s13, s12, vcc_lo
	s_and_saveexec_b32 s12, s13
	s_cbranch_execz .LBB122_1064
; %bb.1063:
	v_ashrrev_i32_e32 v133, 31, v132
	s_delay_alu instid0(VALU_DEP_1)
	v_lshl_add_u64 v[138:139], v[132:133], 2, v[4:5]
	s_clause 0x1
	global_load_b32 v133, v[138:139], off
	global_load_b32 v137, v[4:5], off offset:200
	s_wait_loadcnt 0x1
	global_store_b32 v[4:5], v133, off offset:200
	s_wait_loadcnt 0x0
	global_store_b32 v[138:139], v137, off
.LBB122_1064:
	s_wait_xcnt 0x0
	s_or_b32 exec_lo, exec_lo, s12
	v_dual_mov_b32 v138, v132 :: v_dual_mov_b32 v137, v132
.LBB122_1065:
	s_or_b32 exec_lo, exec_lo, s1
.LBB122_1066:
	s_and_not1_saveexec_b32 s0, s0
	s_cbranch_execz .LBB122_1068
; %bb.1067:
	v_mov_b32_e32 v138, 50
	ds_store_2addr_b64 v134, v[36:37], v[86:87] offset0:51 offset1:52
	ds_store_2addr_b64 v134, v[10:11], v[12:13] offset0:53 offset1:54
	;; [unrolled: 1-line block ×5, first 2 shown]
	ds_store_b64 v134, v[128:129] offset:488
.LBB122_1068:
	s_or_b32 exec_lo, exec_lo, s0
	s_delay_alu instid0(SALU_CYCLE_1)
	s_mov_b32 s0, exec_lo
	s_wait_storecnt_dscnt 0x0
	s_barrier_signal -1
	s_barrier_wait -1
	v_cmpx_lt_i32_e32 50, v138
	s_cbranch_execz .LBB122_1070
; %bb.1069:
	v_pk_mul_f32 v[132:133], v[130:131], v[20:21] op_sel:[1,1] op_sel_hi:[0,1]
	s_delay_alu instid0(VALU_DEP_1)
	v_pk_fma_f32 v[140:141], v[130:131], v[20:21], v[132:133] op_sel_hi:[1,0,1] neg_lo:[0,0,1] neg_hi:[0,0,1]
	v_pk_fma_f32 v[142:143], v[130:131], v[20:21], v[132:133] op_sel_hi:[1,0,1]
	ds_load_2addr_b64 v[130:133], v134 offset0:51 offset1:52
	v_dual_mov_b32 v20, v140 :: v_dual_mov_b32 v21, v143
	s_wait_dscnt 0x0
	v_pk_mul_f32 v[144:145], v[130:131], v[142:143] op_sel:[0,1]
	s_delay_alu instid0(VALU_DEP_1) | instskip(SKIP_1) | instid1(VALU_DEP_1)
	v_pk_fma_f32 v[146:147], v[130:131], v[140:141], v[144:145] op_sel:[0,0,1] op_sel_hi:[1,1,0] neg_lo:[0,0,1] neg_hi:[0,0,1]
	v_pk_fma_f32 v[130:131], v[130:131], v[140:141], v[144:145] op_sel:[0,0,1] op_sel_hi:[1,0,0]
	v_mov_b32_e32 v147, v131
	v_pk_mul_f32 v[130:131], v[132:133], v[142:143] op_sel:[0,1]
	s_delay_alu instid0(VALU_DEP_1) | instskip(SKIP_1) | instid1(VALU_DEP_1)
	v_pk_fma_f32 v[144:145], v[132:133], v[140:141], v[130:131] op_sel:[0,0,1] op_sel_hi:[1,1,0] neg_lo:[0,0,1] neg_hi:[0,0,1]
	v_pk_fma_f32 v[130:131], v[132:133], v[140:141], v[130:131] op_sel:[0,0,1] op_sel_hi:[1,0,0]
	v_mov_b32_e32 v145, v131
	ds_load_2addr_b64 v[130:133], v134 offset0:53 offset1:54
	v_pk_add_f32 v[36:37], v[36:37], v[146:147] neg_lo:[0,1] neg_hi:[0,1]
	v_pk_add_f32 v[86:87], v[86:87], v[144:145] neg_lo:[0,1] neg_hi:[0,1]
	s_wait_dscnt 0x0
	v_pk_mul_f32 v[144:145], v[130:131], v[142:143] op_sel:[0,1]
	s_delay_alu instid0(VALU_DEP_1) | instskip(SKIP_2) | instid1(VALU_DEP_2)
	v_pk_fma_f32 v[146:147], v[130:131], v[140:141], v[144:145] op_sel:[0,0,1] op_sel_hi:[1,1,0] neg_lo:[0,0,1] neg_hi:[0,0,1]
	v_pk_fma_f32 v[130:131], v[130:131], v[140:141], v[144:145] op_sel:[0,0,1] op_sel_hi:[1,0,0]
	v_dual_mul_f32 v144, v133, v143 :: v_dual_mov_b32 v130, v133
	v_dual_mov_b32 v147, v131 :: v_dual_mov_b32 v131, v132
	s_delay_alu instid0(VALU_DEP_2) | instskip(SKIP_1) | instid1(VALU_DEP_3)
	v_pk_fma_f32 v[144:145], v[132:133], v[20:21], v[144:145] op_sel_hi:[1,1,0] neg_lo:[0,0,1] neg_hi:[0,0,1]
	v_mul_f32_e32 v132, v133, v140
	v_pk_add_f32 v[10:11], v[10:11], v[146:147] neg_lo:[0,1] neg_hi:[0,1]
	s_delay_alu instid0(VALU_DEP_2) | instskip(NEXT) | instid1(VALU_DEP_1)
	v_pk_fma_f32 v[130:131], v[130:131], v[20:21], v[132:133] op_sel_hi:[1,1,0]
	v_mov_b32_e32 v145, v131
	ds_load_2addr_b64 v[130:133], v134 offset0:55 offset1:56
	v_pk_add_f32 v[12:13], v[12:13], v[144:145] neg_lo:[0,1] neg_hi:[0,1]
	s_wait_dscnt 0x0
	v_pk_mul_f32 v[144:145], v[130:131], v[142:143] op_sel:[0,1]
	s_delay_alu instid0(VALU_DEP_1) | instskip(SKIP_1) | instid1(VALU_DEP_1)
	v_pk_fma_f32 v[146:147], v[130:131], v[140:141], v[144:145] op_sel:[0,0,1] op_sel_hi:[1,1,0] neg_lo:[0,0,1] neg_hi:[0,0,1]
	v_pk_fma_f32 v[130:131], v[130:131], v[140:141], v[144:145] op_sel:[0,0,1] op_sel_hi:[1,0,0]
	v_mov_b32_e32 v147, v131
	v_pk_mul_f32 v[130:131], v[132:133], v[142:143] op_sel:[0,1]
	s_delay_alu instid0(VALU_DEP_1) | instskip(SKIP_1) | instid1(VALU_DEP_1)
	v_pk_fma_f32 v[144:145], v[132:133], v[140:141], v[130:131] op_sel:[0,0,1] op_sel_hi:[1,1,0] neg_lo:[0,0,1] neg_hi:[0,0,1]
	v_pk_fma_f32 v[130:131], v[132:133], v[140:141], v[130:131] op_sel:[0,0,1] op_sel_hi:[1,0,0]
	v_mov_b32_e32 v145, v131
	ds_load_2addr_b64 v[130:133], v134 offset0:57 offset1:58
	v_pk_add_f32 v[8:9], v[8:9], v[146:147] neg_lo:[0,1] neg_hi:[0,1]
	v_pk_add_f32 v[44:45], v[44:45], v[144:145] neg_lo:[0,1] neg_hi:[0,1]
	s_wait_dscnt 0x0
	v_pk_mul_f32 v[144:145], v[130:131], v[142:143] op_sel:[0,1]
	s_delay_alu instid0(VALU_DEP_1) | instskip(SKIP_1) | instid1(VALU_DEP_1)
	v_pk_fma_f32 v[146:147], v[130:131], v[140:141], v[144:145] op_sel:[0,0,1] op_sel_hi:[1,1,0] neg_lo:[0,0,1] neg_hi:[0,0,1]
	v_pk_fma_f32 v[130:131], v[130:131], v[140:141], v[144:145] op_sel:[0,0,1] op_sel_hi:[1,0,0]
	v_mov_b32_e32 v147, v131
	v_pk_mul_f32 v[130:131], v[132:133], v[142:143] op_sel:[0,1]
	s_delay_alu instid0(VALU_DEP_1) | instskip(SKIP_1) | instid1(VALU_DEP_1)
	v_pk_fma_f32 v[144:145], v[132:133], v[140:141], v[130:131] op_sel:[0,0,1] op_sel_hi:[1,1,0] neg_lo:[0,0,1] neg_hi:[0,0,1]
	v_pk_fma_f32 v[130:131], v[132:133], v[140:141], v[130:131] op_sel:[0,0,1] op_sel_hi:[1,0,0]
	v_mov_b32_e32 v145, v131
	ds_load_2addr_b64 v[130:133], v134 offset0:59 offset1:60
	v_pk_add_f32 v[6:7], v[6:7], v[146:147] neg_lo:[0,1] neg_hi:[0,1]
	v_pk_add_f32 v[26:27], v[26:27], v[144:145] neg_lo:[0,1] neg_hi:[0,1]
	s_wait_dscnt 0x0
	v_dual_mul_f32 v144, v131, v143 :: v_dual_mul_f32 v146, v131, v140
	s_delay_alu instid0(VALU_DEP_1) | instskip(NEXT) | instid1(VALU_DEP_2)
	v_pk_fma_f32 v[144:145], v[130:131], v[20:21], v[144:145] op_sel_hi:[1,1,0] neg_lo:[0,0,1] neg_hi:[0,0,1]
	v_pk_fma_f32 v[130:131], v[130:131], v[20:21], v[146:147] op_sel:[1,0,0] op_sel_hi:[0,1,0]
	s_delay_alu instid0(VALU_DEP_1) | instskip(SKIP_1) | instid1(VALU_DEP_2)
	v_mov_b32_e32 v145, v131
	v_pk_mul_f32 v[130:131], v[132:133], v[142:143] op_sel:[0,1]
	v_pk_add_f32 v[16:17], v[16:17], v[144:145] neg_lo:[0,1] neg_hi:[0,1]
	s_delay_alu instid0(VALU_DEP_2) | instskip(SKIP_1) | instid1(VALU_DEP_1)
	v_pk_fma_f32 v[144:145], v[132:133], v[140:141], v[130:131] op_sel:[0,0,1] op_sel_hi:[1,1,0] neg_lo:[0,0,1] neg_hi:[0,0,1]
	v_pk_fma_f32 v[130:131], v[132:133], v[140:141], v[130:131] op_sel:[0,0,1] op_sel_hi:[1,0,0]
	v_mov_b32_e32 v145, v131
	ds_load_b64 v[130:131], v134 offset:488
	v_pk_add_f32 v[14:15], v[14:15], v[144:145] neg_lo:[0,1] neg_hi:[0,1]
	s_wait_dscnt 0x0
	v_pk_mul_f32 v[132:133], v[130:131], v[142:143] op_sel:[0,1]
	s_delay_alu instid0(VALU_DEP_1) | instskip(SKIP_1) | instid1(VALU_DEP_1)
	v_pk_fma_f32 v[142:143], v[130:131], v[140:141], v[132:133] op_sel:[0,0,1] op_sel_hi:[1,1,0] neg_lo:[0,0,1] neg_hi:[0,0,1]
	v_pk_fma_f32 v[130:131], v[130:131], v[140:141], v[132:133] op_sel:[0,0,1] op_sel_hi:[1,0,0]
	v_mov_b32_e32 v143, v131
	s_delay_alu instid0(VALU_DEP_1)
	v_pk_add_f32 v[128:129], v[128:129], v[142:143] neg_lo:[0,1] neg_hi:[0,1]
.LBB122_1070:
	s_or_b32 exec_lo, exec_lo, s0
	v_lshl_add_u32 v130, v138, 3, v134
	s_barrier_signal -1
	s_barrier_wait -1
	ds_store_b64 v130, v[36:37]
	s_wait_dscnt 0x0
	s_barrier_signal -1
	s_barrier_wait -1
	ds_load_b64 v[130:131], v134 offset:408
	v_mov_b32_e32 v132, 51
	s_cmp_lt_i32 s18, 53
	s_cbranch_scc1 .LBB122_1073
; %bb.1071:
	v_add3_u32 v133, v135, 0, 0x1a0
	v_mov_b32_e32 v132, 51
	s_mov_b32 s0, 52
.LBB122_1072:                           ; =>This Inner Loop Header: Depth=1
	ds_load_b64 v[140:141], v133
	s_wait_dscnt 0x1
	v_cmp_gt_f32_e32 vcc_lo, 0, v130
	v_cndmask_b32_e64 v142, v130, -v130, vcc_lo
	v_cmp_gt_f32_e32 vcc_lo, 0, v131
	v_cndmask_b32_e64 v144, v131, -v131, vcc_lo
	s_wait_dscnt 0x0
	v_cmp_gt_f32_e32 vcc_lo, 0, v140
	v_cndmask_b32_e64 v143, v140, -v140, vcc_lo
	v_cmp_gt_f32_e32 vcc_lo, 0, v141
	v_cndmask_b32_e64 v145, v141, -v141, vcc_lo
	s_delay_alu instid0(VALU_DEP_1) | instskip(NEXT) | instid1(VALU_DEP_1)
	v_pk_add_f32 v[142:143], v[142:143], v[144:145]
	v_cmp_lt_f32_e32 vcc_lo, v142, v143
	v_dual_cndmask_b32 v130, v130, v140 :: v_dual_add_nc_u32 v133, 8, v133
	v_cndmask_b32_e32 v131, v131, v141, vcc_lo
	v_cndmask_b32_e64 v132, v132, s0, vcc_lo
	s_add_co_i32 s0, s0, 1
	s_delay_alu instid0(SALU_CYCLE_1)
	s_cmp_lg_u32 s18, s0
	s_cbranch_scc1 .LBB122_1072
.LBB122_1073:
	s_wait_dscnt 0x0
	v_cmp_eq_f32_e32 vcc_lo, 0, v130
	v_cmp_eq_f32_e64 s0, 0, v131
	s_and_b32 s0, vcc_lo, s0
	s_delay_alu instid0(SALU_CYCLE_1) | instskip(NEXT) | instid1(SALU_CYCLE_1)
	s_and_saveexec_b32 s1, s0
	s_xor_b32 s0, exec_lo, s1
; %bb.1074:
	v_cmp_ne_u32_e32 vcc_lo, 0, v136
	v_cndmask_b32_e32 v136, 52, v136, vcc_lo
; %bb.1075:
	s_and_not1_saveexec_b32 s0, s0
	s_cbranch_execz .LBB122_1081
; %bb.1076:
	v_cmp_ngt_f32_e64 s1, |v130|, |v131|
	s_and_saveexec_b32 s12, s1
	s_delay_alu instid0(SALU_CYCLE_1)
	s_xor_b32 s1, exec_lo, s12
	s_cbranch_execz .LBB122_1078
; %bb.1077:
	v_div_scale_f32 v133, null, v131, v131, v130
	v_div_scale_f32 v141, vcc_lo, v130, v131, v130
	s_delay_alu instid0(VALU_DEP_2) | instskip(SKIP_1) | instid1(TRANS32_DEP_1)
	v_rcp_f32_e32 v139, v133
	v_nop
	v_fma_f32 v140, -v133, v139, 1.0
	s_delay_alu instid0(VALU_DEP_1) | instskip(NEXT) | instid1(VALU_DEP_1)
	v_fmac_f32_e32 v139, v140, v139
	v_mul_f32_e32 v140, v141, v139
	s_delay_alu instid0(VALU_DEP_1) | instskip(NEXT) | instid1(VALU_DEP_1)
	v_fma_f32 v142, -v133, v140, v141
	v_fmac_f32_e32 v140, v142, v139
	s_delay_alu instid0(VALU_DEP_1) | instskip(NEXT) | instid1(VALU_DEP_1)
	v_fma_f32 v133, -v133, v140, v141
	v_div_fmas_f32 v133, v133, v139, v140
	s_delay_alu instid0(VALU_DEP_1) | instskip(NEXT) | instid1(VALU_DEP_1)
	v_div_fixup_f32 v133, v133, v131, v130
	v_fmac_f32_e32 v131, v130, v133
	s_delay_alu instid0(VALU_DEP_1) | instskip(SKIP_1) | instid1(VALU_DEP_2)
	v_div_scale_f32 v130, null, v131, v131, 1.0
	v_div_scale_f32 v141, vcc_lo, 1.0, v131, 1.0
	v_rcp_f32_e32 v139, v130
	v_nop
	s_delay_alu instid0(TRANS32_DEP_1) | instskip(NEXT) | instid1(VALU_DEP_1)
	v_fma_f32 v140, -v130, v139, 1.0
	v_fmac_f32_e32 v139, v140, v139
	s_delay_alu instid0(VALU_DEP_1) | instskip(NEXT) | instid1(VALU_DEP_1)
	v_mul_f32_e32 v140, v141, v139
	v_fma_f32 v142, -v130, v140, v141
	s_delay_alu instid0(VALU_DEP_1) | instskip(NEXT) | instid1(VALU_DEP_1)
	v_fmac_f32_e32 v140, v142, v139
	v_fma_f32 v130, -v130, v140, v141
	s_delay_alu instid0(VALU_DEP_1) | instskip(NEXT) | instid1(VALU_DEP_1)
	v_div_fmas_f32 v130, v130, v139, v140
	v_div_fixup_f32 v131, v130, v131, 1.0
	s_delay_alu instid0(VALU_DEP_1)
	v_mul_f32_e32 v130, v133, v131
	v_xor_b32_e32 v131, 0x80000000, v131
.LBB122_1078:
	s_and_not1_saveexec_b32 s1, s1
	s_cbranch_execz .LBB122_1080
; %bb.1079:
	s_delay_alu instid0(VALU_DEP_1) | instskip(SKIP_1) | instid1(VALU_DEP_2)
	v_div_scale_f32 v133, null, v130, v130, v131
	v_div_scale_f32 v141, vcc_lo, v131, v130, v131
	v_rcp_f32_e32 v139, v133
	v_nop
	s_delay_alu instid0(TRANS32_DEP_1) | instskip(NEXT) | instid1(VALU_DEP_1)
	v_fma_f32 v140, -v133, v139, 1.0
	v_fmac_f32_e32 v139, v140, v139
	s_delay_alu instid0(VALU_DEP_1) | instskip(NEXT) | instid1(VALU_DEP_1)
	v_mul_f32_e32 v140, v141, v139
	v_fma_f32 v142, -v133, v140, v141
	s_delay_alu instid0(VALU_DEP_1) | instskip(NEXT) | instid1(VALU_DEP_1)
	v_fmac_f32_e32 v140, v142, v139
	v_fma_f32 v133, -v133, v140, v141
	s_delay_alu instid0(VALU_DEP_1) | instskip(NEXT) | instid1(VALU_DEP_1)
	v_div_fmas_f32 v133, v133, v139, v140
	v_div_fixup_f32 v133, v133, v130, v131
	s_delay_alu instid0(VALU_DEP_1) | instskip(NEXT) | instid1(VALU_DEP_1)
	v_fmac_f32_e32 v130, v131, v133
	v_div_scale_f32 v131, null, v130, v130, 1.0
	s_delay_alu instid0(VALU_DEP_1) | instskip(SKIP_1) | instid1(TRANS32_DEP_1)
	v_rcp_f32_e32 v139, v131
	v_nop
	v_fma_f32 v140, -v131, v139, 1.0
	s_delay_alu instid0(VALU_DEP_1) | instskip(SKIP_1) | instid1(VALU_DEP_1)
	v_fmac_f32_e32 v139, v140, v139
	v_div_scale_f32 v140, vcc_lo, 1.0, v130, 1.0
	v_mul_f32_e32 v141, v140, v139
	s_delay_alu instid0(VALU_DEP_1) | instskip(NEXT) | instid1(VALU_DEP_1)
	v_fma_f32 v142, -v131, v141, v140
	v_fmac_f32_e32 v141, v142, v139
	s_delay_alu instid0(VALU_DEP_1) | instskip(NEXT) | instid1(VALU_DEP_1)
	v_fma_f32 v131, -v131, v141, v140
	v_div_fmas_f32 v131, v131, v139, v141
	s_delay_alu instid0(VALU_DEP_1) | instskip(NEXT) | instid1(VALU_DEP_1)
	v_div_fixup_f32 v130, v131, v130, 1.0
	v_mul_f32_e64 v131, v133, -v130
.LBB122_1080:
	s_or_b32 exec_lo, exec_lo, s1
.LBB122_1081:
	s_delay_alu instid0(SALU_CYCLE_1) | instskip(NEXT) | instid1(SALU_CYCLE_1)
	s_or_b32 exec_lo, exec_lo, s0
	s_mov_b32 s0, exec_lo
	v_cmpx_ne_u32_e64 v138, v132
	s_xor_b32 s0, exec_lo, s0
	s_cbranch_execz .LBB122_1087
; %bb.1082:
	s_mov_b32 s1, exec_lo
	v_cmpx_eq_u32_e32 51, v138
	s_cbranch_execz .LBB122_1086
; %bb.1083:
	v_cmp_ne_u32_e32 vcc_lo, 51, v132
	s_xor_b32 s12, s16, -1
	s_delay_alu instid0(SALU_CYCLE_1) | instskip(NEXT) | instid1(SALU_CYCLE_1)
	s_and_b32 s13, s12, vcc_lo
	s_and_saveexec_b32 s12, s13
	s_cbranch_execz .LBB122_1085
; %bb.1084:
	v_ashrrev_i32_e32 v133, 31, v132
	s_delay_alu instid0(VALU_DEP_1)
	v_lshl_add_u64 v[138:139], v[132:133], 2, v[4:5]
	s_clause 0x1
	global_load_b32 v133, v[138:139], off
	global_load_b32 v137, v[4:5], off offset:204
	s_wait_loadcnt 0x1
	global_store_b32 v[4:5], v133, off offset:204
	s_wait_loadcnt 0x0
	global_store_b32 v[138:139], v137, off
.LBB122_1085:
	s_wait_xcnt 0x0
	s_or_b32 exec_lo, exec_lo, s12
	v_dual_mov_b32 v138, v132 :: v_dual_mov_b32 v137, v132
.LBB122_1086:
	s_or_b32 exec_lo, exec_lo, s1
.LBB122_1087:
	s_and_not1_saveexec_b32 s0, s0
	s_cbranch_execz .LBB122_1089
; %bb.1088:
	v_dual_mov_b32 v132, v86 :: v_dual_mov_b32 v133, v87
	v_dual_mov_b32 v140, v10 :: v_dual_mov_b32 v141, v11
	v_dual_mov_b32 v138, 51 :: v_dual_mov_b32 v142, v12
	v_dual_mov_b32 v143, v13 :: v_dual_mov_b32 v144, v8
	v_dual_mov_b32 v145, v9 :: v_dual_mov_b32 v146, v44
	v_dual_mov_b32 v147, v45 :: v_dual_mov_b32 v148, v6
	v_dual_mov_b32 v149, v7 :: v_dual_mov_b32 v150, v26
	v_dual_mov_b32 v151, v27 :: v_dual_mov_b32 v152, v16
	v_dual_mov_b32 v153, v17 :: v_dual_mov_b32 v154, v14
	v_mov_b32_e32 v155, v15
	ds_store_2addr_b64 v134, v[132:133], v[140:141] offset0:52 offset1:53
	ds_store_2addr_b64 v134, v[142:143], v[144:145] offset0:54 offset1:55
	;; [unrolled: 1-line block ×5, first 2 shown]
.LBB122_1089:
	s_or_b32 exec_lo, exec_lo, s0
	s_delay_alu instid0(SALU_CYCLE_1)
	s_mov_b32 s0, exec_lo
	s_wait_storecnt_dscnt 0x0
	s_barrier_signal -1
	s_barrier_wait -1
	v_cmpx_lt_i32_e32 51, v138
	s_cbranch_execz .LBB122_1091
; %bb.1090:
	v_pk_mul_f32 v[132:133], v[130:131], v[36:37] op_sel:[1,1] op_sel_hi:[0,1]
	s_delay_alu instid0(VALU_DEP_1)
	v_pk_fma_f32 v[140:141], v[130:131], v[36:37], v[132:133] op_sel_hi:[1,0,1] neg_lo:[0,0,1] neg_hi:[0,0,1]
	v_pk_fma_f32 v[142:143], v[130:131], v[36:37], v[132:133] op_sel_hi:[1,0,1]
	ds_load_2addr_b64 v[130:133], v134 offset0:52 offset1:53
	v_dual_mov_b32 v36, v140 :: v_dual_mov_b32 v37, v143
	s_wait_dscnt 0x0
	v_pk_mul_f32 v[144:145], v[130:131], v[142:143] op_sel:[0,1]
	s_delay_alu instid0(VALU_DEP_1) | instskip(SKIP_1) | instid1(VALU_DEP_1)
	v_pk_fma_f32 v[146:147], v[130:131], v[140:141], v[144:145] op_sel:[0,0,1] op_sel_hi:[1,1,0] neg_lo:[0,0,1] neg_hi:[0,0,1]
	v_pk_fma_f32 v[130:131], v[130:131], v[140:141], v[144:145] op_sel:[0,0,1] op_sel_hi:[1,0,0]
	v_mov_b32_e32 v147, v131
	v_pk_mul_f32 v[130:131], v[132:133], v[142:143] op_sel:[0,1]
	s_delay_alu instid0(VALU_DEP_1) | instskip(SKIP_1) | instid1(VALU_DEP_1)
	v_pk_fma_f32 v[144:145], v[132:133], v[140:141], v[130:131] op_sel:[0,0,1] op_sel_hi:[1,1,0] neg_lo:[0,0,1] neg_hi:[0,0,1]
	v_pk_fma_f32 v[130:131], v[132:133], v[140:141], v[130:131] op_sel:[0,0,1] op_sel_hi:[1,0,0]
	v_mov_b32_e32 v145, v131
	ds_load_2addr_b64 v[130:133], v134 offset0:54 offset1:55
	v_pk_add_f32 v[86:87], v[86:87], v[146:147] neg_lo:[0,1] neg_hi:[0,1]
	v_pk_add_f32 v[10:11], v[10:11], v[144:145] neg_lo:[0,1] neg_hi:[0,1]
	s_wait_dscnt 0x0
	v_pk_mul_f32 v[144:145], v[130:131], v[142:143] op_sel:[0,1]
	s_delay_alu instid0(VALU_DEP_1) | instskip(SKIP_2) | instid1(VALU_DEP_2)
	v_pk_fma_f32 v[146:147], v[130:131], v[140:141], v[144:145] op_sel:[0,0,1] op_sel_hi:[1,1,0] neg_lo:[0,0,1] neg_hi:[0,0,1]
	v_pk_fma_f32 v[130:131], v[130:131], v[140:141], v[144:145] op_sel:[0,0,1] op_sel_hi:[1,0,0]
	v_dual_mul_f32 v144, v133, v143 :: v_dual_mov_b32 v130, v133
	v_dual_mov_b32 v147, v131 :: v_dual_mov_b32 v131, v132
	s_delay_alu instid0(VALU_DEP_2) | instskip(SKIP_1) | instid1(VALU_DEP_3)
	v_pk_fma_f32 v[144:145], v[132:133], v[36:37], v[144:145] op_sel_hi:[1,1,0] neg_lo:[0,0,1] neg_hi:[0,0,1]
	v_mul_f32_e32 v132, v133, v140
	v_pk_add_f32 v[12:13], v[12:13], v[146:147] neg_lo:[0,1] neg_hi:[0,1]
	s_delay_alu instid0(VALU_DEP_2) | instskip(NEXT) | instid1(VALU_DEP_1)
	v_pk_fma_f32 v[130:131], v[130:131], v[36:37], v[132:133] op_sel_hi:[1,1,0]
	v_mov_b32_e32 v145, v131
	ds_load_2addr_b64 v[130:133], v134 offset0:56 offset1:57
	v_pk_add_f32 v[8:9], v[8:9], v[144:145] neg_lo:[0,1] neg_hi:[0,1]
	s_wait_dscnt 0x0
	v_pk_mul_f32 v[144:145], v[130:131], v[142:143] op_sel:[0,1]
	s_delay_alu instid0(VALU_DEP_1) | instskip(SKIP_1) | instid1(VALU_DEP_1)
	v_pk_fma_f32 v[146:147], v[130:131], v[140:141], v[144:145] op_sel:[0,0,1] op_sel_hi:[1,1,0] neg_lo:[0,0,1] neg_hi:[0,0,1]
	v_pk_fma_f32 v[130:131], v[130:131], v[140:141], v[144:145] op_sel:[0,0,1] op_sel_hi:[1,0,0]
	v_mov_b32_e32 v147, v131
	v_pk_mul_f32 v[130:131], v[132:133], v[142:143] op_sel:[0,1]
	s_delay_alu instid0(VALU_DEP_1) | instskip(SKIP_1) | instid1(VALU_DEP_1)
	v_pk_fma_f32 v[144:145], v[132:133], v[140:141], v[130:131] op_sel:[0,0,1] op_sel_hi:[1,1,0] neg_lo:[0,0,1] neg_hi:[0,0,1]
	v_pk_fma_f32 v[130:131], v[132:133], v[140:141], v[130:131] op_sel:[0,0,1] op_sel_hi:[1,0,0]
	v_mov_b32_e32 v145, v131
	ds_load_2addr_b64 v[130:133], v134 offset0:58 offset1:59
	v_pk_add_f32 v[44:45], v[44:45], v[146:147] neg_lo:[0,1] neg_hi:[0,1]
	v_pk_add_f32 v[6:7], v[6:7], v[144:145] neg_lo:[0,1] neg_hi:[0,1]
	s_wait_dscnt 0x0
	v_pk_mul_f32 v[144:145], v[130:131], v[142:143] op_sel:[0,1]
	s_delay_alu instid0(VALU_DEP_1) | instskip(SKIP_1) | instid1(VALU_DEP_1)
	v_pk_fma_f32 v[146:147], v[130:131], v[140:141], v[144:145] op_sel:[0,0,1] op_sel_hi:[1,1,0] neg_lo:[0,0,1] neg_hi:[0,0,1]
	v_pk_fma_f32 v[130:131], v[130:131], v[140:141], v[144:145] op_sel:[0,0,1] op_sel_hi:[1,0,0]
	v_mov_b32_e32 v147, v131
	v_pk_mul_f32 v[130:131], v[132:133], v[142:143] op_sel:[0,1]
	s_delay_alu instid0(VALU_DEP_1) | instskip(SKIP_1) | instid1(VALU_DEP_1)
	v_pk_fma_f32 v[144:145], v[132:133], v[140:141], v[130:131] op_sel:[0,0,1] op_sel_hi:[1,1,0] neg_lo:[0,0,1] neg_hi:[0,0,1]
	v_pk_fma_f32 v[130:131], v[132:133], v[140:141], v[130:131] op_sel:[0,0,1] op_sel_hi:[1,0,0]
	v_mov_b32_e32 v145, v131
	ds_load_2addr_b64 v[130:133], v134 offset0:60 offset1:61
	v_pk_add_f32 v[26:27], v[26:27], v[146:147] neg_lo:[0,1] neg_hi:[0,1]
	v_pk_add_f32 v[16:17], v[16:17], v[144:145] neg_lo:[0,1] neg_hi:[0,1]
	s_wait_dscnt 0x0
	v_dual_mul_f32 v144, v131, v143 :: v_dual_mul_f32 v146, v131, v140
	s_delay_alu instid0(VALU_DEP_1) | instskip(NEXT) | instid1(VALU_DEP_2)
	v_pk_fma_f32 v[144:145], v[130:131], v[36:37], v[144:145] op_sel_hi:[1,1,0] neg_lo:[0,0,1] neg_hi:[0,0,1]
	v_pk_fma_f32 v[130:131], v[130:131], v[36:37], v[146:147] op_sel:[1,0,0] op_sel_hi:[0,1,0]
	s_delay_alu instid0(VALU_DEP_1) | instskip(SKIP_1) | instid1(VALU_DEP_1)
	v_mov_b32_e32 v145, v131
	v_pk_mul_f32 v[130:131], v[132:133], v[142:143] op_sel:[0,1]
	v_pk_fma_f32 v[142:143], v[132:133], v[140:141], v[130:131] op_sel:[0,0,1] op_sel_hi:[1,1,0] neg_lo:[0,0,1] neg_hi:[0,0,1]
	v_pk_fma_f32 v[130:131], v[132:133], v[140:141], v[130:131] op_sel:[0,0,1] op_sel_hi:[1,0,0]
	s_delay_alu instid0(VALU_DEP_1) | instskip(SKIP_1) | instid1(VALU_DEP_2)
	v_mov_b32_e32 v143, v131
	v_pk_add_f32 v[14:15], v[14:15], v[144:145] neg_lo:[0,1] neg_hi:[0,1]
	v_pk_add_f32 v[128:129], v[128:129], v[142:143] neg_lo:[0,1] neg_hi:[0,1]
.LBB122_1091:
	s_or_b32 exec_lo, exec_lo, s0
	v_lshl_add_u32 v130, v138, 3, v134
	s_barrier_signal -1
	s_barrier_wait -1
	ds_store_b64 v130, v[86:87]
	s_wait_dscnt 0x0
	s_barrier_signal -1
	s_barrier_wait -1
	ds_load_b64 v[130:131], v134 offset:416
	v_mov_b32_e32 v132, 52
	s_cmp_lt_i32 s18, 54
	s_cbranch_scc1 .LBB122_1094
; %bb.1092:
	v_add3_u32 v133, v135, 0, 0x1a8
	v_mov_b32_e32 v132, 52
	s_mov_b32 s0, 53
.LBB122_1093:                           ; =>This Inner Loop Header: Depth=1
	ds_load_b64 v[140:141], v133
	s_wait_dscnt 0x1
	v_cmp_gt_f32_e32 vcc_lo, 0, v130
	v_cndmask_b32_e64 v142, v130, -v130, vcc_lo
	v_cmp_gt_f32_e32 vcc_lo, 0, v131
	v_cndmask_b32_e64 v144, v131, -v131, vcc_lo
	s_wait_dscnt 0x0
	v_cmp_gt_f32_e32 vcc_lo, 0, v140
	v_cndmask_b32_e64 v143, v140, -v140, vcc_lo
	v_cmp_gt_f32_e32 vcc_lo, 0, v141
	v_cndmask_b32_e64 v145, v141, -v141, vcc_lo
	s_delay_alu instid0(VALU_DEP_1) | instskip(NEXT) | instid1(VALU_DEP_1)
	v_pk_add_f32 v[142:143], v[142:143], v[144:145]
	v_cmp_lt_f32_e32 vcc_lo, v142, v143
	v_dual_cndmask_b32 v130, v130, v140 :: v_dual_add_nc_u32 v133, 8, v133
	v_cndmask_b32_e32 v131, v131, v141, vcc_lo
	v_cndmask_b32_e64 v132, v132, s0, vcc_lo
	s_add_co_i32 s0, s0, 1
	s_delay_alu instid0(SALU_CYCLE_1)
	s_cmp_lg_u32 s18, s0
	s_cbranch_scc1 .LBB122_1093
.LBB122_1094:
	s_wait_dscnt 0x0
	v_cmp_eq_f32_e32 vcc_lo, 0, v130
	v_cmp_eq_f32_e64 s0, 0, v131
	s_and_b32 s0, vcc_lo, s0
	s_delay_alu instid0(SALU_CYCLE_1) | instskip(NEXT) | instid1(SALU_CYCLE_1)
	s_and_saveexec_b32 s1, s0
	s_xor_b32 s0, exec_lo, s1
; %bb.1095:
	v_cmp_ne_u32_e32 vcc_lo, 0, v136
	v_cndmask_b32_e32 v136, 53, v136, vcc_lo
; %bb.1096:
	s_and_not1_saveexec_b32 s0, s0
	s_cbranch_execz .LBB122_1102
; %bb.1097:
	v_cmp_ngt_f32_e64 s1, |v130|, |v131|
	s_and_saveexec_b32 s12, s1
	s_delay_alu instid0(SALU_CYCLE_1)
	s_xor_b32 s1, exec_lo, s12
	s_cbranch_execz .LBB122_1099
; %bb.1098:
	v_div_scale_f32 v133, null, v131, v131, v130
	v_div_scale_f32 v141, vcc_lo, v130, v131, v130
	s_delay_alu instid0(VALU_DEP_2) | instskip(SKIP_1) | instid1(TRANS32_DEP_1)
	v_rcp_f32_e32 v139, v133
	v_nop
	v_fma_f32 v140, -v133, v139, 1.0
	s_delay_alu instid0(VALU_DEP_1) | instskip(NEXT) | instid1(VALU_DEP_1)
	v_fmac_f32_e32 v139, v140, v139
	v_mul_f32_e32 v140, v141, v139
	s_delay_alu instid0(VALU_DEP_1) | instskip(NEXT) | instid1(VALU_DEP_1)
	v_fma_f32 v142, -v133, v140, v141
	v_fmac_f32_e32 v140, v142, v139
	s_delay_alu instid0(VALU_DEP_1) | instskip(NEXT) | instid1(VALU_DEP_1)
	v_fma_f32 v133, -v133, v140, v141
	v_div_fmas_f32 v133, v133, v139, v140
	s_delay_alu instid0(VALU_DEP_1) | instskip(NEXT) | instid1(VALU_DEP_1)
	v_div_fixup_f32 v133, v133, v131, v130
	v_fmac_f32_e32 v131, v130, v133
	s_delay_alu instid0(VALU_DEP_1) | instskip(SKIP_1) | instid1(VALU_DEP_2)
	v_div_scale_f32 v130, null, v131, v131, 1.0
	v_div_scale_f32 v141, vcc_lo, 1.0, v131, 1.0
	v_rcp_f32_e32 v139, v130
	v_nop
	s_delay_alu instid0(TRANS32_DEP_1) | instskip(NEXT) | instid1(VALU_DEP_1)
	v_fma_f32 v140, -v130, v139, 1.0
	v_fmac_f32_e32 v139, v140, v139
	s_delay_alu instid0(VALU_DEP_1) | instskip(NEXT) | instid1(VALU_DEP_1)
	v_mul_f32_e32 v140, v141, v139
	v_fma_f32 v142, -v130, v140, v141
	s_delay_alu instid0(VALU_DEP_1) | instskip(NEXT) | instid1(VALU_DEP_1)
	v_fmac_f32_e32 v140, v142, v139
	v_fma_f32 v130, -v130, v140, v141
	s_delay_alu instid0(VALU_DEP_1) | instskip(NEXT) | instid1(VALU_DEP_1)
	v_div_fmas_f32 v130, v130, v139, v140
	v_div_fixup_f32 v131, v130, v131, 1.0
	s_delay_alu instid0(VALU_DEP_1)
	v_mul_f32_e32 v130, v133, v131
	v_xor_b32_e32 v131, 0x80000000, v131
.LBB122_1099:
	s_and_not1_saveexec_b32 s1, s1
	s_cbranch_execz .LBB122_1101
; %bb.1100:
	s_delay_alu instid0(VALU_DEP_1) | instskip(SKIP_1) | instid1(VALU_DEP_2)
	v_div_scale_f32 v133, null, v130, v130, v131
	v_div_scale_f32 v141, vcc_lo, v131, v130, v131
	v_rcp_f32_e32 v139, v133
	v_nop
	s_delay_alu instid0(TRANS32_DEP_1) | instskip(NEXT) | instid1(VALU_DEP_1)
	v_fma_f32 v140, -v133, v139, 1.0
	v_fmac_f32_e32 v139, v140, v139
	s_delay_alu instid0(VALU_DEP_1) | instskip(NEXT) | instid1(VALU_DEP_1)
	v_mul_f32_e32 v140, v141, v139
	v_fma_f32 v142, -v133, v140, v141
	s_delay_alu instid0(VALU_DEP_1) | instskip(NEXT) | instid1(VALU_DEP_1)
	v_fmac_f32_e32 v140, v142, v139
	v_fma_f32 v133, -v133, v140, v141
	s_delay_alu instid0(VALU_DEP_1) | instskip(NEXT) | instid1(VALU_DEP_1)
	v_div_fmas_f32 v133, v133, v139, v140
	v_div_fixup_f32 v133, v133, v130, v131
	s_delay_alu instid0(VALU_DEP_1) | instskip(NEXT) | instid1(VALU_DEP_1)
	v_fmac_f32_e32 v130, v131, v133
	v_div_scale_f32 v131, null, v130, v130, 1.0
	s_delay_alu instid0(VALU_DEP_1) | instskip(SKIP_1) | instid1(TRANS32_DEP_1)
	v_rcp_f32_e32 v139, v131
	v_nop
	v_fma_f32 v140, -v131, v139, 1.0
	s_delay_alu instid0(VALU_DEP_1) | instskip(SKIP_1) | instid1(VALU_DEP_1)
	v_fmac_f32_e32 v139, v140, v139
	v_div_scale_f32 v140, vcc_lo, 1.0, v130, 1.0
	v_mul_f32_e32 v141, v140, v139
	s_delay_alu instid0(VALU_DEP_1) | instskip(NEXT) | instid1(VALU_DEP_1)
	v_fma_f32 v142, -v131, v141, v140
	v_fmac_f32_e32 v141, v142, v139
	s_delay_alu instid0(VALU_DEP_1) | instskip(NEXT) | instid1(VALU_DEP_1)
	v_fma_f32 v131, -v131, v141, v140
	v_div_fmas_f32 v131, v131, v139, v141
	s_delay_alu instid0(VALU_DEP_1) | instskip(NEXT) | instid1(VALU_DEP_1)
	v_div_fixup_f32 v130, v131, v130, 1.0
	v_mul_f32_e64 v131, v133, -v130
.LBB122_1101:
	s_or_b32 exec_lo, exec_lo, s1
.LBB122_1102:
	s_delay_alu instid0(SALU_CYCLE_1) | instskip(NEXT) | instid1(SALU_CYCLE_1)
	s_or_b32 exec_lo, exec_lo, s0
	s_mov_b32 s0, exec_lo
	v_cmpx_ne_u32_e64 v138, v132
	s_xor_b32 s0, exec_lo, s0
	s_cbranch_execz .LBB122_1108
; %bb.1103:
	s_mov_b32 s1, exec_lo
	v_cmpx_eq_u32_e32 52, v138
	s_cbranch_execz .LBB122_1107
; %bb.1104:
	v_cmp_ne_u32_e32 vcc_lo, 52, v132
	s_xor_b32 s12, s16, -1
	s_delay_alu instid0(SALU_CYCLE_1) | instskip(NEXT) | instid1(SALU_CYCLE_1)
	s_and_b32 s13, s12, vcc_lo
	s_and_saveexec_b32 s12, s13
	s_cbranch_execz .LBB122_1106
; %bb.1105:
	v_ashrrev_i32_e32 v133, 31, v132
	s_delay_alu instid0(VALU_DEP_1)
	v_lshl_add_u64 v[138:139], v[132:133], 2, v[4:5]
	s_clause 0x1
	global_load_b32 v133, v[138:139], off
	global_load_b32 v137, v[4:5], off offset:208
	s_wait_loadcnt 0x1
	global_store_b32 v[4:5], v133, off offset:208
	s_wait_loadcnt 0x0
	global_store_b32 v[138:139], v137, off
.LBB122_1106:
	s_wait_xcnt 0x0
	s_or_b32 exec_lo, exec_lo, s12
	v_dual_mov_b32 v138, v132 :: v_dual_mov_b32 v137, v132
.LBB122_1107:
	s_or_b32 exec_lo, exec_lo, s1
.LBB122_1108:
	s_and_not1_saveexec_b32 s0, s0
	s_cbranch_execz .LBB122_1110
; %bb.1109:
	v_mov_b32_e32 v138, 52
	ds_store_2addr_b64 v134, v[10:11], v[12:13] offset0:53 offset1:54
	ds_store_2addr_b64 v134, v[8:9], v[44:45] offset0:55 offset1:56
	;; [unrolled: 1-line block ×4, first 2 shown]
	ds_store_b64 v134, v[128:129] offset:488
.LBB122_1110:
	s_or_b32 exec_lo, exec_lo, s0
	s_delay_alu instid0(SALU_CYCLE_1)
	s_mov_b32 s0, exec_lo
	s_wait_storecnt_dscnt 0x0
	s_barrier_signal -1
	s_barrier_wait -1
	v_cmpx_lt_i32_e32 52, v138
	s_cbranch_execz .LBB122_1112
; %bb.1111:
	v_pk_mul_f32 v[132:133], v[130:131], v[86:87] op_sel:[1,1] op_sel_hi:[0,1]
	s_delay_alu instid0(VALU_DEP_1)
	v_pk_fma_f32 v[140:141], v[130:131], v[86:87], v[132:133] op_sel_hi:[1,0,1] neg_lo:[0,0,1] neg_hi:[0,0,1]
	v_pk_fma_f32 v[142:143], v[130:131], v[86:87], v[132:133] op_sel_hi:[1,0,1]
	ds_load_2addr_b64 v[130:133], v134 offset0:53 offset1:54
	v_dual_mov_b32 v86, v140 :: v_dual_mov_b32 v87, v143
	s_wait_dscnt 0x0
	v_pk_mul_f32 v[144:145], v[130:131], v[142:143] op_sel:[0,1]
	s_delay_alu instid0(VALU_DEP_1) | instskip(SKIP_1) | instid1(VALU_DEP_1)
	v_pk_fma_f32 v[146:147], v[130:131], v[140:141], v[144:145] op_sel:[0,0,1] op_sel_hi:[1,1,0] neg_lo:[0,0,1] neg_hi:[0,0,1]
	v_pk_fma_f32 v[130:131], v[130:131], v[140:141], v[144:145] op_sel:[0,0,1] op_sel_hi:[1,0,0]
	v_mov_b32_e32 v147, v131
	v_pk_mul_f32 v[130:131], v[132:133], v[142:143] op_sel:[0,1]
	s_delay_alu instid0(VALU_DEP_1) | instskip(SKIP_1) | instid1(VALU_DEP_1)
	v_pk_fma_f32 v[144:145], v[132:133], v[140:141], v[130:131] op_sel:[0,0,1] op_sel_hi:[1,1,0] neg_lo:[0,0,1] neg_hi:[0,0,1]
	v_pk_fma_f32 v[130:131], v[132:133], v[140:141], v[130:131] op_sel:[0,0,1] op_sel_hi:[1,0,0]
	v_mov_b32_e32 v145, v131
	ds_load_2addr_b64 v[130:133], v134 offset0:55 offset1:56
	v_pk_add_f32 v[10:11], v[10:11], v[146:147] neg_lo:[0,1] neg_hi:[0,1]
	v_pk_add_f32 v[12:13], v[12:13], v[144:145] neg_lo:[0,1] neg_hi:[0,1]
	s_wait_dscnt 0x0
	v_pk_mul_f32 v[144:145], v[130:131], v[142:143] op_sel:[0,1]
	s_delay_alu instid0(VALU_DEP_1) | instskip(SKIP_2) | instid1(VALU_DEP_2)
	v_pk_fma_f32 v[146:147], v[130:131], v[140:141], v[144:145] op_sel:[0,0,1] op_sel_hi:[1,1,0] neg_lo:[0,0,1] neg_hi:[0,0,1]
	v_pk_fma_f32 v[130:131], v[130:131], v[140:141], v[144:145] op_sel:[0,0,1] op_sel_hi:[1,0,0]
	v_dual_mul_f32 v144, v133, v143 :: v_dual_mov_b32 v130, v133
	v_dual_mov_b32 v147, v131 :: v_dual_mov_b32 v131, v132
	s_delay_alu instid0(VALU_DEP_2) | instskip(SKIP_1) | instid1(VALU_DEP_3)
	v_pk_fma_f32 v[144:145], v[132:133], v[86:87], v[144:145] op_sel_hi:[1,1,0] neg_lo:[0,0,1] neg_hi:[0,0,1]
	v_mul_f32_e32 v132, v133, v140
	v_pk_add_f32 v[8:9], v[8:9], v[146:147] neg_lo:[0,1] neg_hi:[0,1]
	s_delay_alu instid0(VALU_DEP_2) | instskip(NEXT) | instid1(VALU_DEP_1)
	v_pk_fma_f32 v[130:131], v[130:131], v[86:87], v[132:133] op_sel_hi:[1,1,0]
	v_mov_b32_e32 v145, v131
	ds_load_2addr_b64 v[130:133], v134 offset0:57 offset1:58
	v_pk_add_f32 v[44:45], v[44:45], v[144:145] neg_lo:[0,1] neg_hi:[0,1]
	s_wait_dscnt 0x0
	v_pk_mul_f32 v[144:145], v[130:131], v[142:143] op_sel:[0,1]
	s_delay_alu instid0(VALU_DEP_1) | instskip(SKIP_1) | instid1(VALU_DEP_1)
	v_pk_fma_f32 v[146:147], v[130:131], v[140:141], v[144:145] op_sel:[0,0,1] op_sel_hi:[1,1,0] neg_lo:[0,0,1] neg_hi:[0,0,1]
	v_pk_fma_f32 v[130:131], v[130:131], v[140:141], v[144:145] op_sel:[0,0,1] op_sel_hi:[1,0,0]
	v_mov_b32_e32 v147, v131
	v_pk_mul_f32 v[130:131], v[132:133], v[142:143] op_sel:[0,1]
	s_delay_alu instid0(VALU_DEP_1) | instskip(SKIP_1) | instid1(VALU_DEP_1)
	v_pk_fma_f32 v[144:145], v[132:133], v[140:141], v[130:131] op_sel:[0,0,1] op_sel_hi:[1,1,0] neg_lo:[0,0,1] neg_hi:[0,0,1]
	v_pk_fma_f32 v[130:131], v[132:133], v[140:141], v[130:131] op_sel:[0,0,1] op_sel_hi:[1,0,0]
	v_mov_b32_e32 v145, v131
	ds_load_2addr_b64 v[130:133], v134 offset0:59 offset1:60
	v_pk_add_f32 v[6:7], v[6:7], v[146:147] neg_lo:[0,1] neg_hi:[0,1]
	v_pk_add_f32 v[26:27], v[26:27], v[144:145] neg_lo:[0,1] neg_hi:[0,1]
	s_wait_dscnt 0x0
	v_pk_mul_f32 v[144:145], v[130:131], v[142:143] op_sel:[0,1]
	s_delay_alu instid0(VALU_DEP_1) | instskip(SKIP_1) | instid1(VALU_DEP_1)
	v_pk_fma_f32 v[146:147], v[130:131], v[140:141], v[144:145] op_sel:[0,0,1] op_sel_hi:[1,1,0] neg_lo:[0,0,1] neg_hi:[0,0,1]
	v_pk_fma_f32 v[130:131], v[130:131], v[140:141], v[144:145] op_sel:[0,0,1] op_sel_hi:[1,0,0]
	v_mov_b32_e32 v147, v131
	v_pk_mul_f32 v[130:131], v[132:133], v[142:143] op_sel:[0,1]
	s_delay_alu instid0(VALU_DEP_1) | instskip(SKIP_1) | instid1(VALU_DEP_1)
	v_pk_fma_f32 v[144:145], v[132:133], v[140:141], v[130:131] op_sel:[0,0,1] op_sel_hi:[1,1,0] neg_lo:[0,0,1] neg_hi:[0,0,1]
	v_pk_fma_f32 v[130:131], v[132:133], v[140:141], v[130:131] op_sel:[0,0,1] op_sel_hi:[1,0,0]
	v_mov_b32_e32 v145, v131
	ds_load_b64 v[130:131], v134 offset:488
	v_pk_add_f32 v[16:17], v[16:17], v[146:147] neg_lo:[0,1] neg_hi:[0,1]
	v_pk_add_f32 v[14:15], v[14:15], v[144:145] neg_lo:[0,1] neg_hi:[0,1]
	s_wait_dscnt 0x0
	v_pk_mul_f32 v[132:133], v[130:131], v[142:143] op_sel:[0,1]
	s_delay_alu instid0(VALU_DEP_1) | instskip(SKIP_1) | instid1(VALU_DEP_1)
	v_pk_fma_f32 v[142:143], v[130:131], v[140:141], v[132:133] op_sel:[0,0,1] op_sel_hi:[1,1,0] neg_lo:[0,0,1] neg_hi:[0,0,1]
	v_pk_fma_f32 v[130:131], v[130:131], v[140:141], v[132:133] op_sel:[0,0,1] op_sel_hi:[1,0,0]
	v_mov_b32_e32 v143, v131
	s_delay_alu instid0(VALU_DEP_1)
	v_pk_add_f32 v[128:129], v[128:129], v[142:143] neg_lo:[0,1] neg_hi:[0,1]
.LBB122_1112:
	s_or_b32 exec_lo, exec_lo, s0
	v_lshl_add_u32 v130, v138, 3, v134
	s_barrier_signal -1
	s_barrier_wait -1
	ds_store_b64 v130, v[10:11]
	s_wait_dscnt 0x0
	s_barrier_signal -1
	s_barrier_wait -1
	ds_load_b64 v[130:131], v134 offset:424
	v_mov_b32_e32 v132, 53
	s_cmp_lt_i32 s18, 55
	s_cbranch_scc1 .LBB122_1115
; %bb.1113:
	v_add3_u32 v133, v135, 0, 0x1b0
	v_mov_b32_e32 v132, 53
	s_mov_b32 s0, 54
.LBB122_1114:                           ; =>This Inner Loop Header: Depth=1
	ds_load_b64 v[140:141], v133
	s_wait_dscnt 0x1
	v_cmp_gt_f32_e32 vcc_lo, 0, v130
	v_cndmask_b32_e64 v142, v130, -v130, vcc_lo
	v_cmp_gt_f32_e32 vcc_lo, 0, v131
	v_cndmask_b32_e64 v144, v131, -v131, vcc_lo
	s_wait_dscnt 0x0
	v_cmp_gt_f32_e32 vcc_lo, 0, v140
	v_cndmask_b32_e64 v143, v140, -v140, vcc_lo
	v_cmp_gt_f32_e32 vcc_lo, 0, v141
	v_cndmask_b32_e64 v145, v141, -v141, vcc_lo
	s_delay_alu instid0(VALU_DEP_1) | instskip(NEXT) | instid1(VALU_DEP_1)
	v_pk_add_f32 v[142:143], v[142:143], v[144:145]
	v_cmp_lt_f32_e32 vcc_lo, v142, v143
	v_dual_cndmask_b32 v130, v130, v140 :: v_dual_add_nc_u32 v133, 8, v133
	v_cndmask_b32_e32 v131, v131, v141, vcc_lo
	v_cndmask_b32_e64 v132, v132, s0, vcc_lo
	s_add_co_i32 s0, s0, 1
	s_delay_alu instid0(SALU_CYCLE_1)
	s_cmp_lg_u32 s18, s0
	s_cbranch_scc1 .LBB122_1114
.LBB122_1115:
	s_wait_dscnt 0x0
	v_cmp_eq_f32_e32 vcc_lo, 0, v130
	v_cmp_eq_f32_e64 s0, 0, v131
	s_and_b32 s0, vcc_lo, s0
	s_delay_alu instid0(SALU_CYCLE_1) | instskip(NEXT) | instid1(SALU_CYCLE_1)
	s_and_saveexec_b32 s1, s0
	s_xor_b32 s0, exec_lo, s1
; %bb.1116:
	v_cmp_ne_u32_e32 vcc_lo, 0, v136
	v_cndmask_b32_e32 v136, 54, v136, vcc_lo
; %bb.1117:
	s_and_not1_saveexec_b32 s0, s0
	s_cbranch_execz .LBB122_1123
; %bb.1118:
	v_cmp_ngt_f32_e64 s1, |v130|, |v131|
	s_and_saveexec_b32 s12, s1
	s_delay_alu instid0(SALU_CYCLE_1)
	s_xor_b32 s1, exec_lo, s12
	s_cbranch_execz .LBB122_1120
; %bb.1119:
	v_div_scale_f32 v133, null, v131, v131, v130
	v_div_scale_f32 v141, vcc_lo, v130, v131, v130
	s_delay_alu instid0(VALU_DEP_2) | instskip(SKIP_1) | instid1(TRANS32_DEP_1)
	v_rcp_f32_e32 v139, v133
	v_nop
	v_fma_f32 v140, -v133, v139, 1.0
	s_delay_alu instid0(VALU_DEP_1) | instskip(NEXT) | instid1(VALU_DEP_1)
	v_fmac_f32_e32 v139, v140, v139
	v_mul_f32_e32 v140, v141, v139
	s_delay_alu instid0(VALU_DEP_1) | instskip(NEXT) | instid1(VALU_DEP_1)
	v_fma_f32 v142, -v133, v140, v141
	v_fmac_f32_e32 v140, v142, v139
	s_delay_alu instid0(VALU_DEP_1) | instskip(NEXT) | instid1(VALU_DEP_1)
	v_fma_f32 v133, -v133, v140, v141
	v_div_fmas_f32 v133, v133, v139, v140
	s_delay_alu instid0(VALU_DEP_1) | instskip(NEXT) | instid1(VALU_DEP_1)
	v_div_fixup_f32 v133, v133, v131, v130
	v_fmac_f32_e32 v131, v130, v133
	s_delay_alu instid0(VALU_DEP_1) | instskip(SKIP_1) | instid1(VALU_DEP_2)
	v_div_scale_f32 v130, null, v131, v131, 1.0
	v_div_scale_f32 v141, vcc_lo, 1.0, v131, 1.0
	v_rcp_f32_e32 v139, v130
	v_nop
	s_delay_alu instid0(TRANS32_DEP_1) | instskip(NEXT) | instid1(VALU_DEP_1)
	v_fma_f32 v140, -v130, v139, 1.0
	v_fmac_f32_e32 v139, v140, v139
	s_delay_alu instid0(VALU_DEP_1) | instskip(NEXT) | instid1(VALU_DEP_1)
	v_mul_f32_e32 v140, v141, v139
	v_fma_f32 v142, -v130, v140, v141
	s_delay_alu instid0(VALU_DEP_1) | instskip(NEXT) | instid1(VALU_DEP_1)
	v_fmac_f32_e32 v140, v142, v139
	v_fma_f32 v130, -v130, v140, v141
	s_delay_alu instid0(VALU_DEP_1) | instskip(NEXT) | instid1(VALU_DEP_1)
	v_div_fmas_f32 v130, v130, v139, v140
	v_div_fixup_f32 v131, v130, v131, 1.0
	s_delay_alu instid0(VALU_DEP_1)
	v_mul_f32_e32 v130, v133, v131
	v_xor_b32_e32 v131, 0x80000000, v131
.LBB122_1120:
	s_and_not1_saveexec_b32 s1, s1
	s_cbranch_execz .LBB122_1122
; %bb.1121:
	s_delay_alu instid0(VALU_DEP_1) | instskip(SKIP_1) | instid1(VALU_DEP_2)
	v_div_scale_f32 v133, null, v130, v130, v131
	v_div_scale_f32 v141, vcc_lo, v131, v130, v131
	v_rcp_f32_e32 v139, v133
	v_nop
	s_delay_alu instid0(TRANS32_DEP_1) | instskip(NEXT) | instid1(VALU_DEP_1)
	v_fma_f32 v140, -v133, v139, 1.0
	v_fmac_f32_e32 v139, v140, v139
	s_delay_alu instid0(VALU_DEP_1) | instskip(NEXT) | instid1(VALU_DEP_1)
	v_mul_f32_e32 v140, v141, v139
	v_fma_f32 v142, -v133, v140, v141
	s_delay_alu instid0(VALU_DEP_1) | instskip(NEXT) | instid1(VALU_DEP_1)
	v_fmac_f32_e32 v140, v142, v139
	v_fma_f32 v133, -v133, v140, v141
	s_delay_alu instid0(VALU_DEP_1) | instskip(NEXT) | instid1(VALU_DEP_1)
	v_div_fmas_f32 v133, v133, v139, v140
	v_div_fixup_f32 v133, v133, v130, v131
	s_delay_alu instid0(VALU_DEP_1) | instskip(NEXT) | instid1(VALU_DEP_1)
	v_fmac_f32_e32 v130, v131, v133
	v_div_scale_f32 v131, null, v130, v130, 1.0
	s_delay_alu instid0(VALU_DEP_1) | instskip(SKIP_1) | instid1(TRANS32_DEP_1)
	v_rcp_f32_e32 v139, v131
	v_nop
	v_fma_f32 v140, -v131, v139, 1.0
	s_delay_alu instid0(VALU_DEP_1) | instskip(SKIP_1) | instid1(VALU_DEP_1)
	v_fmac_f32_e32 v139, v140, v139
	v_div_scale_f32 v140, vcc_lo, 1.0, v130, 1.0
	v_mul_f32_e32 v141, v140, v139
	s_delay_alu instid0(VALU_DEP_1) | instskip(NEXT) | instid1(VALU_DEP_1)
	v_fma_f32 v142, -v131, v141, v140
	v_fmac_f32_e32 v141, v142, v139
	s_delay_alu instid0(VALU_DEP_1) | instskip(NEXT) | instid1(VALU_DEP_1)
	v_fma_f32 v131, -v131, v141, v140
	v_div_fmas_f32 v131, v131, v139, v141
	s_delay_alu instid0(VALU_DEP_1) | instskip(NEXT) | instid1(VALU_DEP_1)
	v_div_fixup_f32 v130, v131, v130, 1.0
	v_mul_f32_e64 v131, v133, -v130
.LBB122_1122:
	s_or_b32 exec_lo, exec_lo, s1
.LBB122_1123:
	s_delay_alu instid0(SALU_CYCLE_1) | instskip(NEXT) | instid1(SALU_CYCLE_1)
	s_or_b32 exec_lo, exec_lo, s0
	s_mov_b32 s0, exec_lo
	v_cmpx_ne_u32_e64 v138, v132
	s_xor_b32 s0, exec_lo, s0
	s_cbranch_execz .LBB122_1129
; %bb.1124:
	s_mov_b32 s1, exec_lo
	v_cmpx_eq_u32_e32 53, v138
	s_cbranch_execz .LBB122_1128
; %bb.1125:
	v_cmp_ne_u32_e32 vcc_lo, 53, v132
	s_xor_b32 s12, s16, -1
	s_delay_alu instid0(SALU_CYCLE_1) | instskip(NEXT) | instid1(SALU_CYCLE_1)
	s_and_b32 s13, s12, vcc_lo
	s_and_saveexec_b32 s12, s13
	s_cbranch_execz .LBB122_1127
; %bb.1126:
	v_ashrrev_i32_e32 v133, 31, v132
	s_delay_alu instid0(VALU_DEP_1)
	v_lshl_add_u64 v[138:139], v[132:133], 2, v[4:5]
	s_clause 0x1
	global_load_b32 v133, v[138:139], off
	global_load_b32 v137, v[4:5], off offset:212
	s_wait_loadcnt 0x1
	global_store_b32 v[4:5], v133, off offset:212
	s_wait_loadcnt 0x0
	global_store_b32 v[138:139], v137, off
.LBB122_1127:
	s_wait_xcnt 0x0
	s_or_b32 exec_lo, exec_lo, s12
	v_dual_mov_b32 v138, v132 :: v_dual_mov_b32 v137, v132
.LBB122_1128:
	s_or_b32 exec_lo, exec_lo, s1
.LBB122_1129:
	s_and_not1_saveexec_b32 s0, s0
	s_cbranch_execz .LBB122_1131
; %bb.1130:
	v_dual_mov_b32 v132, v12 :: v_dual_mov_b32 v133, v13
	v_dual_mov_b32 v140, v8 :: v_dual_mov_b32 v141, v9
	;; [unrolled: 1-line block ×7, first 2 shown]
	v_mov_b32_e32 v151, v15
	ds_store_2addr_b64 v134, v[132:133], v[140:141] offset0:54 offset1:55
	ds_store_2addr_b64 v134, v[142:143], v[144:145] offset0:56 offset1:57
	;; [unrolled: 1-line block ×4, first 2 shown]
.LBB122_1131:
	s_or_b32 exec_lo, exec_lo, s0
	s_delay_alu instid0(SALU_CYCLE_1)
	s_mov_b32 s0, exec_lo
	s_wait_storecnt_dscnt 0x0
	s_barrier_signal -1
	s_barrier_wait -1
	v_cmpx_lt_i32_e32 53, v138
	s_cbranch_execz .LBB122_1133
; %bb.1132:
	v_pk_mul_f32 v[132:133], v[130:131], v[10:11] op_sel:[1,1] op_sel_hi:[0,1]
	s_delay_alu instid0(VALU_DEP_1)
	v_pk_fma_f32 v[140:141], v[130:131], v[10:11], v[132:133] op_sel_hi:[1,0,1] neg_lo:[0,0,1] neg_hi:[0,0,1]
	v_pk_fma_f32 v[142:143], v[130:131], v[10:11], v[132:133] op_sel_hi:[1,0,1]
	ds_load_2addr_b64 v[130:133], v134 offset0:54 offset1:55
	v_dual_mov_b32 v10, v140 :: v_dual_mov_b32 v11, v143
	s_wait_dscnt 0x0
	v_pk_mul_f32 v[144:145], v[130:131], v[142:143] op_sel:[0,1]
	s_delay_alu instid0(VALU_DEP_1) | instskip(SKIP_1) | instid1(VALU_DEP_1)
	v_pk_fma_f32 v[146:147], v[130:131], v[140:141], v[144:145] op_sel:[0,0,1] op_sel_hi:[1,1,0] neg_lo:[0,0,1] neg_hi:[0,0,1]
	v_pk_fma_f32 v[130:131], v[130:131], v[140:141], v[144:145] op_sel:[0,0,1] op_sel_hi:[1,0,0]
	v_mov_b32_e32 v147, v131
	v_pk_mul_f32 v[130:131], v[132:133], v[142:143] op_sel:[0,1]
	s_delay_alu instid0(VALU_DEP_1) | instskip(SKIP_1) | instid1(VALU_DEP_1)
	v_pk_fma_f32 v[144:145], v[132:133], v[140:141], v[130:131] op_sel:[0,0,1] op_sel_hi:[1,1,0] neg_lo:[0,0,1] neg_hi:[0,0,1]
	v_pk_fma_f32 v[130:131], v[132:133], v[140:141], v[130:131] op_sel:[0,0,1] op_sel_hi:[1,0,0]
	v_mov_b32_e32 v145, v131
	ds_load_2addr_b64 v[130:133], v134 offset0:56 offset1:57
	v_pk_add_f32 v[12:13], v[12:13], v[146:147] neg_lo:[0,1] neg_hi:[0,1]
	v_pk_add_f32 v[8:9], v[8:9], v[144:145] neg_lo:[0,1] neg_hi:[0,1]
	s_wait_dscnt 0x0
	v_pk_mul_f32 v[144:145], v[130:131], v[142:143] op_sel:[0,1]
	s_delay_alu instid0(VALU_DEP_1) | instskip(SKIP_2) | instid1(VALU_DEP_2)
	v_pk_fma_f32 v[146:147], v[130:131], v[140:141], v[144:145] op_sel:[0,0,1] op_sel_hi:[1,1,0] neg_lo:[0,0,1] neg_hi:[0,0,1]
	v_pk_fma_f32 v[130:131], v[130:131], v[140:141], v[144:145] op_sel:[0,0,1] op_sel_hi:[1,0,0]
	v_dual_mul_f32 v144, v133, v143 :: v_dual_mov_b32 v130, v133
	v_dual_mov_b32 v147, v131 :: v_dual_mov_b32 v131, v132
	s_delay_alu instid0(VALU_DEP_2) | instskip(SKIP_1) | instid1(VALU_DEP_3)
	v_pk_fma_f32 v[144:145], v[132:133], v[10:11], v[144:145] op_sel_hi:[1,1,0] neg_lo:[0,0,1] neg_hi:[0,0,1]
	v_mul_f32_e32 v132, v133, v140
	v_pk_add_f32 v[44:45], v[44:45], v[146:147] neg_lo:[0,1] neg_hi:[0,1]
	s_delay_alu instid0(VALU_DEP_2) | instskip(NEXT) | instid1(VALU_DEP_1)
	v_pk_fma_f32 v[130:131], v[130:131], v[10:11], v[132:133] op_sel_hi:[1,1,0]
	v_mov_b32_e32 v145, v131
	ds_load_2addr_b64 v[130:133], v134 offset0:58 offset1:59
	v_pk_add_f32 v[6:7], v[6:7], v[144:145] neg_lo:[0,1] neg_hi:[0,1]
	s_wait_dscnt 0x0
	v_pk_mul_f32 v[144:145], v[130:131], v[142:143] op_sel:[0,1]
	s_delay_alu instid0(VALU_DEP_1) | instskip(SKIP_1) | instid1(VALU_DEP_1)
	v_pk_fma_f32 v[146:147], v[130:131], v[140:141], v[144:145] op_sel:[0,0,1] op_sel_hi:[1,1,0] neg_lo:[0,0,1] neg_hi:[0,0,1]
	v_pk_fma_f32 v[130:131], v[130:131], v[140:141], v[144:145] op_sel:[0,0,1] op_sel_hi:[1,0,0]
	v_mov_b32_e32 v147, v131
	v_pk_mul_f32 v[130:131], v[132:133], v[142:143] op_sel:[0,1]
	s_delay_alu instid0(VALU_DEP_1) | instskip(SKIP_1) | instid1(VALU_DEP_1)
	v_pk_fma_f32 v[144:145], v[132:133], v[140:141], v[130:131] op_sel:[0,0,1] op_sel_hi:[1,1,0] neg_lo:[0,0,1] neg_hi:[0,0,1]
	v_pk_fma_f32 v[130:131], v[132:133], v[140:141], v[130:131] op_sel:[0,0,1] op_sel_hi:[1,0,0]
	v_mov_b32_e32 v145, v131
	ds_load_2addr_b64 v[130:133], v134 offset0:60 offset1:61
	v_pk_add_f32 v[26:27], v[26:27], v[146:147] neg_lo:[0,1] neg_hi:[0,1]
	v_pk_add_f32 v[16:17], v[16:17], v[144:145] neg_lo:[0,1] neg_hi:[0,1]
	s_wait_dscnt 0x0
	v_pk_mul_f32 v[144:145], v[130:131], v[142:143] op_sel:[0,1]
	s_delay_alu instid0(VALU_DEP_1) | instskip(SKIP_1) | instid1(VALU_DEP_1)
	v_pk_fma_f32 v[146:147], v[130:131], v[140:141], v[144:145] op_sel:[0,0,1] op_sel_hi:[1,1,0] neg_lo:[0,0,1] neg_hi:[0,0,1]
	v_pk_fma_f32 v[130:131], v[130:131], v[140:141], v[144:145] op_sel:[0,0,1] op_sel_hi:[1,0,0]
	v_mov_b32_e32 v147, v131
	v_pk_mul_f32 v[130:131], v[132:133], v[142:143] op_sel:[0,1]
	s_delay_alu instid0(VALU_DEP_1) | instskip(SKIP_1) | instid1(VALU_DEP_1)
	v_pk_fma_f32 v[142:143], v[132:133], v[140:141], v[130:131] op_sel:[0,0,1] op_sel_hi:[1,1,0] neg_lo:[0,0,1] neg_hi:[0,0,1]
	v_pk_fma_f32 v[130:131], v[132:133], v[140:141], v[130:131] op_sel:[0,0,1] op_sel_hi:[1,0,0]
	v_mov_b32_e32 v143, v131
	v_pk_add_f32 v[14:15], v[14:15], v[146:147] neg_lo:[0,1] neg_hi:[0,1]
	s_delay_alu instid0(VALU_DEP_2)
	v_pk_add_f32 v[128:129], v[128:129], v[142:143] neg_lo:[0,1] neg_hi:[0,1]
.LBB122_1133:
	s_or_b32 exec_lo, exec_lo, s0
	v_lshl_add_u32 v130, v138, 3, v134
	s_barrier_signal -1
	s_barrier_wait -1
	ds_store_b64 v130, v[12:13]
	s_wait_dscnt 0x0
	s_barrier_signal -1
	s_barrier_wait -1
	ds_load_b64 v[130:131], v134 offset:432
	v_mov_b32_e32 v132, 54
	s_cmp_lt_i32 s18, 56
	s_cbranch_scc1 .LBB122_1136
; %bb.1134:
	v_add3_u32 v133, v135, 0, 0x1b8
	v_mov_b32_e32 v132, 54
	s_mov_b32 s0, 55
.LBB122_1135:                           ; =>This Inner Loop Header: Depth=1
	ds_load_b64 v[140:141], v133
	s_wait_dscnt 0x1
	v_cmp_gt_f32_e32 vcc_lo, 0, v130
	v_cndmask_b32_e64 v142, v130, -v130, vcc_lo
	v_cmp_gt_f32_e32 vcc_lo, 0, v131
	v_cndmask_b32_e64 v144, v131, -v131, vcc_lo
	s_wait_dscnt 0x0
	v_cmp_gt_f32_e32 vcc_lo, 0, v140
	v_cndmask_b32_e64 v143, v140, -v140, vcc_lo
	v_cmp_gt_f32_e32 vcc_lo, 0, v141
	v_cndmask_b32_e64 v145, v141, -v141, vcc_lo
	s_delay_alu instid0(VALU_DEP_1) | instskip(NEXT) | instid1(VALU_DEP_1)
	v_pk_add_f32 v[142:143], v[142:143], v[144:145]
	v_cmp_lt_f32_e32 vcc_lo, v142, v143
	v_dual_cndmask_b32 v130, v130, v140 :: v_dual_add_nc_u32 v133, 8, v133
	v_cndmask_b32_e32 v131, v131, v141, vcc_lo
	v_cndmask_b32_e64 v132, v132, s0, vcc_lo
	s_add_co_i32 s0, s0, 1
	s_delay_alu instid0(SALU_CYCLE_1)
	s_cmp_lg_u32 s18, s0
	s_cbranch_scc1 .LBB122_1135
.LBB122_1136:
	s_wait_dscnt 0x0
	v_cmp_eq_f32_e32 vcc_lo, 0, v130
	v_cmp_eq_f32_e64 s0, 0, v131
	s_and_b32 s0, vcc_lo, s0
	s_delay_alu instid0(SALU_CYCLE_1) | instskip(NEXT) | instid1(SALU_CYCLE_1)
	s_and_saveexec_b32 s1, s0
	s_xor_b32 s0, exec_lo, s1
; %bb.1137:
	v_cmp_ne_u32_e32 vcc_lo, 0, v136
	v_cndmask_b32_e32 v136, 55, v136, vcc_lo
; %bb.1138:
	s_and_not1_saveexec_b32 s0, s0
	s_cbranch_execz .LBB122_1144
; %bb.1139:
	v_cmp_ngt_f32_e64 s1, |v130|, |v131|
	s_and_saveexec_b32 s12, s1
	s_delay_alu instid0(SALU_CYCLE_1)
	s_xor_b32 s1, exec_lo, s12
	s_cbranch_execz .LBB122_1141
; %bb.1140:
	v_div_scale_f32 v133, null, v131, v131, v130
	v_div_scale_f32 v141, vcc_lo, v130, v131, v130
	s_delay_alu instid0(VALU_DEP_2) | instskip(SKIP_1) | instid1(TRANS32_DEP_1)
	v_rcp_f32_e32 v139, v133
	v_nop
	v_fma_f32 v140, -v133, v139, 1.0
	s_delay_alu instid0(VALU_DEP_1) | instskip(NEXT) | instid1(VALU_DEP_1)
	v_fmac_f32_e32 v139, v140, v139
	v_mul_f32_e32 v140, v141, v139
	s_delay_alu instid0(VALU_DEP_1) | instskip(NEXT) | instid1(VALU_DEP_1)
	v_fma_f32 v142, -v133, v140, v141
	v_fmac_f32_e32 v140, v142, v139
	s_delay_alu instid0(VALU_DEP_1) | instskip(NEXT) | instid1(VALU_DEP_1)
	v_fma_f32 v133, -v133, v140, v141
	v_div_fmas_f32 v133, v133, v139, v140
	s_delay_alu instid0(VALU_DEP_1) | instskip(NEXT) | instid1(VALU_DEP_1)
	v_div_fixup_f32 v133, v133, v131, v130
	v_fmac_f32_e32 v131, v130, v133
	s_delay_alu instid0(VALU_DEP_1) | instskip(SKIP_1) | instid1(VALU_DEP_2)
	v_div_scale_f32 v130, null, v131, v131, 1.0
	v_div_scale_f32 v141, vcc_lo, 1.0, v131, 1.0
	v_rcp_f32_e32 v139, v130
	v_nop
	s_delay_alu instid0(TRANS32_DEP_1) | instskip(NEXT) | instid1(VALU_DEP_1)
	v_fma_f32 v140, -v130, v139, 1.0
	v_fmac_f32_e32 v139, v140, v139
	s_delay_alu instid0(VALU_DEP_1) | instskip(NEXT) | instid1(VALU_DEP_1)
	v_mul_f32_e32 v140, v141, v139
	v_fma_f32 v142, -v130, v140, v141
	s_delay_alu instid0(VALU_DEP_1) | instskip(NEXT) | instid1(VALU_DEP_1)
	v_fmac_f32_e32 v140, v142, v139
	v_fma_f32 v130, -v130, v140, v141
	s_delay_alu instid0(VALU_DEP_1) | instskip(NEXT) | instid1(VALU_DEP_1)
	v_div_fmas_f32 v130, v130, v139, v140
	v_div_fixup_f32 v131, v130, v131, 1.0
	s_delay_alu instid0(VALU_DEP_1)
	v_mul_f32_e32 v130, v133, v131
	v_xor_b32_e32 v131, 0x80000000, v131
.LBB122_1141:
	s_and_not1_saveexec_b32 s1, s1
	s_cbranch_execz .LBB122_1143
; %bb.1142:
	s_delay_alu instid0(VALU_DEP_1) | instskip(SKIP_1) | instid1(VALU_DEP_2)
	v_div_scale_f32 v133, null, v130, v130, v131
	v_div_scale_f32 v141, vcc_lo, v131, v130, v131
	v_rcp_f32_e32 v139, v133
	v_nop
	s_delay_alu instid0(TRANS32_DEP_1) | instskip(NEXT) | instid1(VALU_DEP_1)
	v_fma_f32 v140, -v133, v139, 1.0
	v_fmac_f32_e32 v139, v140, v139
	s_delay_alu instid0(VALU_DEP_1) | instskip(NEXT) | instid1(VALU_DEP_1)
	v_mul_f32_e32 v140, v141, v139
	v_fma_f32 v142, -v133, v140, v141
	s_delay_alu instid0(VALU_DEP_1) | instskip(NEXT) | instid1(VALU_DEP_1)
	v_fmac_f32_e32 v140, v142, v139
	v_fma_f32 v133, -v133, v140, v141
	s_delay_alu instid0(VALU_DEP_1) | instskip(NEXT) | instid1(VALU_DEP_1)
	v_div_fmas_f32 v133, v133, v139, v140
	v_div_fixup_f32 v133, v133, v130, v131
	s_delay_alu instid0(VALU_DEP_1) | instskip(NEXT) | instid1(VALU_DEP_1)
	v_fmac_f32_e32 v130, v131, v133
	v_div_scale_f32 v131, null, v130, v130, 1.0
	s_delay_alu instid0(VALU_DEP_1) | instskip(SKIP_1) | instid1(TRANS32_DEP_1)
	v_rcp_f32_e32 v139, v131
	v_nop
	v_fma_f32 v140, -v131, v139, 1.0
	s_delay_alu instid0(VALU_DEP_1) | instskip(SKIP_1) | instid1(VALU_DEP_1)
	v_fmac_f32_e32 v139, v140, v139
	v_div_scale_f32 v140, vcc_lo, 1.0, v130, 1.0
	v_mul_f32_e32 v141, v140, v139
	s_delay_alu instid0(VALU_DEP_1) | instskip(NEXT) | instid1(VALU_DEP_1)
	v_fma_f32 v142, -v131, v141, v140
	v_fmac_f32_e32 v141, v142, v139
	s_delay_alu instid0(VALU_DEP_1) | instskip(NEXT) | instid1(VALU_DEP_1)
	v_fma_f32 v131, -v131, v141, v140
	v_div_fmas_f32 v131, v131, v139, v141
	s_delay_alu instid0(VALU_DEP_1) | instskip(NEXT) | instid1(VALU_DEP_1)
	v_div_fixup_f32 v130, v131, v130, 1.0
	v_mul_f32_e64 v131, v133, -v130
.LBB122_1143:
	s_or_b32 exec_lo, exec_lo, s1
.LBB122_1144:
	s_delay_alu instid0(SALU_CYCLE_1) | instskip(NEXT) | instid1(SALU_CYCLE_1)
	s_or_b32 exec_lo, exec_lo, s0
	s_mov_b32 s0, exec_lo
	v_cmpx_ne_u32_e64 v138, v132
	s_xor_b32 s0, exec_lo, s0
	s_cbranch_execz .LBB122_1150
; %bb.1145:
	s_mov_b32 s1, exec_lo
	v_cmpx_eq_u32_e32 54, v138
	s_cbranch_execz .LBB122_1149
; %bb.1146:
	v_cmp_ne_u32_e32 vcc_lo, 54, v132
	s_xor_b32 s12, s16, -1
	s_delay_alu instid0(SALU_CYCLE_1) | instskip(NEXT) | instid1(SALU_CYCLE_1)
	s_and_b32 s13, s12, vcc_lo
	s_and_saveexec_b32 s12, s13
	s_cbranch_execz .LBB122_1148
; %bb.1147:
	v_ashrrev_i32_e32 v133, 31, v132
	s_delay_alu instid0(VALU_DEP_1)
	v_lshl_add_u64 v[138:139], v[132:133], 2, v[4:5]
	s_clause 0x1
	global_load_b32 v133, v[138:139], off
	global_load_b32 v137, v[4:5], off offset:216
	s_wait_loadcnt 0x1
	global_store_b32 v[4:5], v133, off offset:216
	s_wait_loadcnt 0x0
	global_store_b32 v[138:139], v137, off
.LBB122_1148:
	s_wait_xcnt 0x0
	s_or_b32 exec_lo, exec_lo, s12
	v_dual_mov_b32 v138, v132 :: v_dual_mov_b32 v137, v132
.LBB122_1149:
	s_or_b32 exec_lo, exec_lo, s1
.LBB122_1150:
	s_and_not1_saveexec_b32 s0, s0
	s_cbranch_execz .LBB122_1152
; %bb.1151:
	v_mov_b32_e32 v138, 54
	ds_store_2addr_b64 v134, v[8:9], v[44:45] offset0:55 offset1:56
	ds_store_2addr_b64 v134, v[6:7], v[26:27] offset0:57 offset1:58
	ds_store_2addr_b64 v134, v[16:17], v[14:15] offset0:59 offset1:60
	ds_store_b64 v134, v[128:129] offset:488
.LBB122_1152:
	s_or_b32 exec_lo, exec_lo, s0
	s_delay_alu instid0(SALU_CYCLE_1)
	s_mov_b32 s0, exec_lo
	s_wait_storecnt_dscnt 0x0
	s_barrier_signal -1
	s_barrier_wait -1
	v_cmpx_lt_i32_e32 54, v138
	s_cbranch_execz .LBB122_1154
; %bb.1153:
	v_pk_mul_f32 v[132:133], v[130:131], v[12:13] op_sel:[1,1] op_sel_hi:[0,1]
	s_delay_alu instid0(VALU_DEP_1)
	v_pk_fma_f32 v[140:141], v[130:131], v[12:13], v[132:133] op_sel_hi:[1,0,1] neg_lo:[0,0,1] neg_hi:[0,0,1]
	v_pk_fma_f32 v[142:143], v[130:131], v[12:13], v[132:133] op_sel_hi:[1,0,1]
	ds_load_2addr_b64 v[130:133], v134 offset0:55 offset1:56
	v_dual_mov_b32 v12, v140 :: v_dual_mov_b32 v13, v143
	s_wait_dscnt 0x0
	v_pk_mul_f32 v[144:145], v[130:131], v[142:143] op_sel:[0,1]
	s_delay_alu instid0(VALU_DEP_1) | instskip(SKIP_1) | instid1(VALU_DEP_1)
	v_pk_fma_f32 v[146:147], v[130:131], v[140:141], v[144:145] op_sel:[0,0,1] op_sel_hi:[1,1,0] neg_lo:[0,0,1] neg_hi:[0,0,1]
	v_pk_fma_f32 v[130:131], v[130:131], v[140:141], v[144:145] op_sel:[0,0,1] op_sel_hi:[1,0,0]
	v_mov_b32_e32 v147, v131
	v_pk_mul_f32 v[130:131], v[132:133], v[142:143] op_sel:[0,1]
	s_delay_alu instid0(VALU_DEP_1) | instskip(SKIP_1) | instid1(VALU_DEP_1)
	v_pk_fma_f32 v[144:145], v[132:133], v[140:141], v[130:131] op_sel:[0,0,1] op_sel_hi:[1,1,0] neg_lo:[0,0,1] neg_hi:[0,0,1]
	v_pk_fma_f32 v[130:131], v[132:133], v[140:141], v[130:131] op_sel:[0,0,1] op_sel_hi:[1,0,0]
	v_mov_b32_e32 v145, v131
	ds_load_2addr_b64 v[130:133], v134 offset0:57 offset1:58
	v_pk_add_f32 v[8:9], v[8:9], v[146:147] neg_lo:[0,1] neg_hi:[0,1]
	v_pk_add_f32 v[44:45], v[44:45], v[144:145] neg_lo:[0,1] neg_hi:[0,1]
	s_wait_dscnt 0x0
	v_pk_mul_f32 v[144:145], v[130:131], v[142:143] op_sel:[0,1]
	s_delay_alu instid0(VALU_DEP_1) | instskip(SKIP_2) | instid1(VALU_DEP_2)
	v_pk_fma_f32 v[146:147], v[130:131], v[140:141], v[144:145] op_sel:[0,0,1] op_sel_hi:[1,1,0] neg_lo:[0,0,1] neg_hi:[0,0,1]
	v_pk_fma_f32 v[130:131], v[130:131], v[140:141], v[144:145] op_sel:[0,0,1] op_sel_hi:[1,0,0]
	v_dual_mul_f32 v144, v133, v143 :: v_dual_mov_b32 v130, v133
	v_dual_mov_b32 v147, v131 :: v_dual_mov_b32 v131, v132
	s_delay_alu instid0(VALU_DEP_2) | instskip(SKIP_1) | instid1(VALU_DEP_3)
	v_pk_fma_f32 v[144:145], v[132:133], v[12:13], v[144:145] op_sel_hi:[1,1,0] neg_lo:[0,0,1] neg_hi:[0,0,1]
	v_mul_f32_e32 v132, v133, v140
	v_pk_add_f32 v[6:7], v[6:7], v[146:147] neg_lo:[0,1] neg_hi:[0,1]
	s_delay_alu instid0(VALU_DEP_2) | instskip(NEXT) | instid1(VALU_DEP_1)
	v_pk_fma_f32 v[130:131], v[130:131], v[12:13], v[132:133] op_sel_hi:[1,1,0]
	v_mov_b32_e32 v145, v131
	ds_load_2addr_b64 v[130:133], v134 offset0:59 offset1:60
	v_pk_add_f32 v[26:27], v[26:27], v[144:145] neg_lo:[0,1] neg_hi:[0,1]
	s_wait_dscnt 0x0
	v_pk_mul_f32 v[144:145], v[130:131], v[142:143] op_sel:[0,1]
	s_delay_alu instid0(VALU_DEP_1) | instskip(SKIP_1) | instid1(VALU_DEP_1)
	v_pk_fma_f32 v[146:147], v[130:131], v[140:141], v[144:145] op_sel:[0,0,1] op_sel_hi:[1,1,0] neg_lo:[0,0,1] neg_hi:[0,0,1]
	v_pk_fma_f32 v[130:131], v[130:131], v[140:141], v[144:145] op_sel:[0,0,1] op_sel_hi:[1,0,0]
	v_mov_b32_e32 v147, v131
	v_pk_mul_f32 v[130:131], v[132:133], v[142:143] op_sel:[0,1]
	s_delay_alu instid0(VALU_DEP_1) | instskip(SKIP_1) | instid1(VALU_DEP_1)
	v_pk_fma_f32 v[144:145], v[132:133], v[140:141], v[130:131] op_sel:[0,0,1] op_sel_hi:[1,1,0] neg_lo:[0,0,1] neg_hi:[0,0,1]
	v_pk_fma_f32 v[130:131], v[132:133], v[140:141], v[130:131] op_sel:[0,0,1] op_sel_hi:[1,0,0]
	v_mov_b32_e32 v145, v131
	ds_load_b64 v[130:131], v134 offset:488
	v_pk_add_f32 v[16:17], v[16:17], v[146:147] neg_lo:[0,1] neg_hi:[0,1]
	v_pk_add_f32 v[14:15], v[14:15], v[144:145] neg_lo:[0,1] neg_hi:[0,1]
	s_wait_dscnt 0x0
	v_pk_mul_f32 v[132:133], v[130:131], v[142:143] op_sel:[0,1]
	s_delay_alu instid0(VALU_DEP_1) | instskip(SKIP_1) | instid1(VALU_DEP_1)
	v_pk_fma_f32 v[142:143], v[130:131], v[140:141], v[132:133] op_sel:[0,0,1] op_sel_hi:[1,1,0] neg_lo:[0,0,1] neg_hi:[0,0,1]
	v_pk_fma_f32 v[130:131], v[130:131], v[140:141], v[132:133] op_sel:[0,0,1] op_sel_hi:[1,0,0]
	v_mov_b32_e32 v143, v131
	s_delay_alu instid0(VALU_DEP_1)
	v_pk_add_f32 v[128:129], v[128:129], v[142:143] neg_lo:[0,1] neg_hi:[0,1]
.LBB122_1154:
	s_or_b32 exec_lo, exec_lo, s0
	v_lshl_add_u32 v130, v138, 3, v134
	s_barrier_signal -1
	s_barrier_wait -1
	ds_store_b64 v130, v[8:9]
	s_wait_dscnt 0x0
	s_barrier_signal -1
	s_barrier_wait -1
	ds_load_b64 v[130:131], v134 offset:440
	v_mov_b32_e32 v132, 55
	s_cmp_lt_i32 s18, 57
	s_cbranch_scc1 .LBB122_1157
; %bb.1155:
	v_add3_u32 v133, v135, 0, 0x1c0
	v_mov_b32_e32 v132, 55
	s_mov_b32 s0, 56
.LBB122_1156:                           ; =>This Inner Loop Header: Depth=1
	ds_load_b64 v[140:141], v133
	s_wait_dscnt 0x1
	v_cmp_gt_f32_e32 vcc_lo, 0, v130
	v_cndmask_b32_e64 v142, v130, -v130, vcc_lo
	v_cmp_gt_f32_e32 vcc_lo, 0, v131
	v_cndmask_b32_e64 v144, v131, -v131, vcc_lo
	s_wait_dscnt 0x0
	v_cmp_gt_f32_e32 vcc_lo, 0, v140
	v_cndmask_b32_e64 v143, v140, -v140, vcc_lo
	v_cmp_gt_f32_e32 vcc_lo, 0, v141
	v_cndmask_b32_e64 v145, v141, -v141, vcc_lo
	s_delay_alu instid0(VALU_DEP_1) | instskip(NEXT) | instid1(VALU_DEP_1)
	v_pk_add_f32 v[142:143], v[142:143], v[144:145]
	v_cmp_lt_f32_e32 vcc_lo, v142, v143
	v_dual_cndmask_b32 v130, v130, v140 :: v_dual_add_nc_u32 v133, 8, v133
	v_cndmask_b32_e32 v131, v131, v141, vcc_lo
	v_cndmask_b32_e64 v132, v132, s0, vcc_lo
	s_add_co_i32 s0, s0, 1
	s_delay_alu instid0(SALU_CYCLE_1)
	s_cmp_lg_u32 s18, s0
	s_cbranch_scc1 .LBB122_1156
.LBB122_1157:
	s_wait_dscnt 0x0
	v_cmp_eq_f32_e32 vcc_lo, 0, v130
	v_cmp_eq_f32_e64 s0, 0, v131
	s_and_b32 s0, vcc_lo, s0
	s_delay_alu instid0(SALU_CYCLE_1) | instskip(NEXT) | instid1(SALU_CYCLE_1)
	s_and_saveexec_b32 s1, s0
	s_xor_b32 s0, exec_lo, s1
; %bb.1158:
	v_cmp_ne_u32_e32 vcc_lo, 0, v136
	v_cndmask_b32_e32 v136, 56, v136, vcc_lo
; %bb.1159:
	s_and_not1_saveexec_b32 s0, s0
	s_cbranch_execz .LBB122_1165
; %bb.1160:
	v_cmp_ngt_f32_e64 s1, |v130|, |v131|
	s_and_saveexec_b32 s12, s1
	s_delay_alu instid0(SALU_CYCLE_1)
	s_xor_b32 s1, exec_lo, s12
	s_cbranch_execz .LBB122_1162
; %bb.1161:
	v_div_scale_f32 v133, null, v131, v131, v130
	v_div_scale_f32 v141, vcc_lo, v130, v131, v130
	s_delay_alu instid0(VALU_DEP_2) | instskip(SKIP_1) | instid1(TRANS32_DEP_1)
	v_rcp_f32_e32 v139, v133
	v_nop
	v_fma_f32 v140, -v133, v139, 1.0
	s_delay_alu instid0(VALU_DEP_1) | instskip(NEXT) | instid1(VALU_DEP_1)
	v_fmac_f32_e32 v139, v140, v139
	v_mul_f32_e32 v140, v141, v139
	s_delay_alu instid0(VALU_DEP_1) | instskip(NEXT) | instid1(VALU_DEP_1)
	v_fma_f32 v142, -v133, v140, v141
	v_fmac_f32_e32 v140, v142, v139
	s_delay_alu instid0(VALU_DEP_1) | instskip(NEXT) | instid1(VALU_DEP_1)
	v_fma_f32 v133, -v133, v140, v141
	v_div_fmas_f32 v133, v133, v139, v140
	s_delay_alu instid0(VALU_DEP_1) | instskip(NEXT) | instid1(VALU_DEP_1)
	v_div_fixup_f32 v133, v133, v131, v130
	v_fmac_f32_e32 v131, v130, v133
	s_delay_alu instid0(VALU_DEP_1) | instskip(SKIP_1) | instid1(VALU_DEP_2)
	v_div_scale_f32 v130, null, v131, v131, 1.0
	v_div_scale_f32 v141, vcc_lo, 1.0, v131, 1.0
	v_rcp_f32_e32 v139, v130
	v_nop
	s_delay_alu instid0(TRANS32_DEP_1) | instskip(NEXT) | instid1(VALU_DEP_1)
	v_fma_f32 v140, -v130, v139, 1.0
	v_fmac_f32_e32 v139, v140, v139
	s_delay_alu instid0(VALU_DEP_1) | instskip(NEXT) | instid1(VALU_DEP_1)
	v_mul_f32_e32 v140, v141, v139
	v_fma_f32 v142, -v130, v140, v141
	s_delay_alu instid0(VALU_DEP_1) | instskip(NEXT) | instid1(VALU_DEP_1)
	v_fmac_f32_e32 v140, v142, v139
	v_fma_f32 v130, -v130, v140, v141
	s_delay_alu instid0(VALU_DEP_1) | instskip(NEXT) | instid1(VALU_DEP_1)
	v_div_fmas_f32 v130, v130, v139, v140
	v_div_fixup_f32 v131, v130, v131, 1.0
	s_delay_alu instid0(VALU_DEP_1)
	v_mul_f32_e32 v130, v133, v131
	v_xor_b32_e32 v131, 0x80000000, v131
.LBB122_1162:
	s_and_not1_saveexec_b32 s1, s1
	s_cbranch_execz .LBB122_1164
; %bb.1163:
	s_delay_alu instid0(VALU_DEP_1) | instskip(SKIP_1) | instid1(VALU_DEP_2)
	v_div_scale_f32 v133, null, v130, v130, v131
	v_div_scale_f32 v141, vcc_lo, v131, v130, v131
	v_rcp_f32_e32 v139, v133
	v_nop
	s_delay_alu instid0(TRANS32_DEP_1) | instskip(NEXT) | instid1(VALU_DEP_1)
	v_fma_f32 v140, -v133, v139, 1.0
	v_fmac_f32_e32 v139, v140, v139
	s_delay_alu instid0(VALU_DEP_1) | instskip(NEXT) | instid1(VALU_DEP_1)
	v_mul_f32_e32 v140, v141, v139
	v_fma_f32 v142, -v133, v140, v141
	s_delay_alu instid0(VALU_DEP_1) | instskip(NEXT) | instid1(VALU_DEP_1)
	v_fmac_f32_e32 v140, v142, v139
	v_fma_f32 v133, -v133, v140, v141
	s_delay_alu instid0(VALU_DEP_1) | instskip(NEXT) | instid1(VALU_DEP_1)
	v_div_fmas_f32 v133, v133, v139, v140
	v_div_fixup_f32 v133, v133, v130, v131
	s_delay_alu instid0(VALU_DEP_1) | instskip(NEXT) | instid1(VALU_DEP_1)
	v_fmac_f32_e32 v130, v131, v133
	v_div_scale_f32 v131, null, v130, v130, 1.0
	s_delay_alu instid0(VALU_DEP_1) | instskip(SKIP_1) | instid1(TRANS32_DEP_1)
	v_rcp_f32_e32 v139, v131
	v_nop
	v_fma_f32 v140, -v131, v139, 1.0
	s_delay_alu instid0(VALU_DEP_1) | instskip(SKIP_1) | instid1(VALU_DEP_1)
	v_fmac_f32_e32 v139, v140, v139
	v_div_scale_f32 v140, vcc_lo, 1.0, v130, 1.0
	v_mul_f32_e32 v141, v140, v139
	s_delay_alu instid0(VALU_DEP_1) | instskip(NEXT) | instid1(VALU_DEP_1)
	v_fma_f32 v142, -v131, v141, v140
	v_fmac_f32_e32 v141, v142, v139
	s_delay_alu instid0(VALU_DEP_1) | instskip(NEXT) | instid1(VALU_DEP_1)
	v_fma_f32 v131, -v131, v141, v140
	v_div_fmas_f32 v131, v131, v139, v141
	s_delay_alu instid0(VALU_DEP_1) | instskip(NEXT) | instid1(VALU_DEP_1)
	v_div_fixup_f32 v130, v131, v130, 1.0
	v_mul_f32_e64 v131, v133, -v130
.LBB122_1164:
	s_or_b32 exec_lo, exec_lo, s1
.LBB122_1165:
	s_delay_alu instid0(SALU_CYCLE_1) | instskip(NEXT) | instid1(SALU_CYCLE_1)
	s_or_b32 exec_lo, exec_lo, s0
	s_mov_b32 s0, exec_lo
	v_cmpx_ne_u32_e64 v138, v132
	s_xor_b32 s0, exec_lo, s0
	s_cbranch_execz .LBB122_1171
; %bb.1166:
	s_mov_b32 s1, exec_lo
	v_cmpx_eq_u32_e32 55, v138
	s_cbranch_execz .LBB122_1170
; %bb.1167:
	v_cmp_ne_u32_e32 vcc_lo, 55, v132
	s_xor_b32 s12, s16, -1
	s_delay_alu instid0(SALU_CYCLE_1) | instskip(NEXT) | instid1(SALU_CYCLE_1)
	s_and_b32 s13, s12, vcc_lo
	s_and_saveexec_b32 s12, s13
	s_cbranch_execz .LBB122_1169
; %bb.1168:
	v_ashrrev_i32_e32 v133, 31, v132
	s_delay_alu instid0(VALU_DEP_1)
	v_lshl_add_u64 v[138:139], v[132:133], 2, v[4:5]
	s_clause 0x1
	global_load_b32 v133, v[138:139], off
	global_load_b32 v137, v[4:5], off offset:220
	s_wait_loadcnt 0x1
	global_store_b32 v[4:5], v133, off offset:220
	s_wait_loadcnt 0x0
	global_store_b32 v[138:139], v137, off
.LBB122_1169:
	s_wait_xcnt 0x0
	s_or_b32 exec_lo, exec_lo, s12
	v_dual_mov_b32 v138, v132 :: v_dual_mov_b32 v137, v132
.LBB122_1170:
	s_or_b32 exec_lo, exec_lo, s1
.LBB122_1171:
	s_and_not1_saveexec_b32 s0, s0
	s_cbranch_execz .LBB122_1173
; %bb.1172:
	v_dual_mov_b32 v132, v44 :: v_dual_mov_b32 v133, v45
	v_dual_mov_b32 v140, v6 :: v_dual_mov_b32 v141, v7
	;; [unrolled: 1-line block ×5, first 2 shown]
	v_mov_b32_e32 v147, v15
	ds_store_2addr_b64 v134, v[132:133], v[140:141] offset0:56 offset1:57
	ds_store_2addr_b64 v134, v[142:143], v[144:145] offset0:58 offset1:59
	;; [unrolled: 1-line block ×3, first 2 shown]
.LBB122_1173:
	s_or_b32 exec_lo, exec_lo, s0
	s_delay_alu instid0(SALU_CYCLE_1)
	s_mov_b32 s0, exec_lo
	s_wait_storecnt_dscnt 0x0
	s_barrier_signal -1
	s_barrier_wait -1
	v_cmpx_lt_i32_e32 55, v138
	s_cbranch_execz .LBB122_1175
; %bb.1174:
	v_pk_mul_f32 v[132:133], v[130:131], v[8:9] op_sel:[1,1] op_sel_hi:[0,1]
	s_delay_alu instid0(VALU_DEP_1)
	v_pk_fma_f32 v[140:141], v[130:131], v[8:9], v[132:133] op_sel_hi:[1,0,1] neg_lo:[0,0,1] neg_hi:[0,0,1]
	v_pk_fma_f32 v[142:143], v[130:131], v[8:9], v[132:133] op_sel_hi:[1,0,1]
	ds_load_2addr_b64 v[130:133], v134 offset0:56 offset1:57
	v_dual_mov_b32 v8, v140 :: v_dual_mov_b32 v9, v143
	s_wait_dscnt 0x0
	v_pk_mul_f32 v[144:145], v[130:131], v[142:143] op_sel:[0,1]
	s_delay_alu instid0(VALU_DEP_1) | instskip(SKIP_1) | instid1(VALU_DEP_1)
	v_pk_fma_f32 v[146:147], v[130:131], v[140:141], v[144:145] op_sel:[0,0,1] op_sel_hi:[1,1,0] neg_lo:[0,0,1] neg_hi:[0,0,1]
	v_pk_fma_f32 v[130:131], v[130:131], v[140:141], v[144:145] op_sel:[0,0,1] op_sel_hi:[1,0,0]
	v_mov_b32_e32 v147, v131
	v_pk_mul_f32 v[130:131], v[132:133], v[142:143] op_sel:[0,1]
	s_delay_alu instid0(VALU_DEP_1) | instskip(SKIP_1) | instid1(VALU_DEP_1)
	v_pk_fma_f32 v[144:145], v[132:133], v[140:141], v[130:131] op_sel:[0,0,1] op_sel_hi:[1,1,0] neg_lo:[0,0,1] neg_hi:[0,0,1]
	v_pk_fma_f32 v[130:131], v[132:133], v[140:141], v[130:131] op_sel:[0,0,1] op_sel_hi:[1,0,0]
	v_mov_b32_e32 v145, v131
	ds_load_2addr_b64 v[130:133], v134 offset0:58 offset1:59
	v_pk_add_f32 v[44:45], v[44:45], v[146:147] neg_lo:[0,1] neg_hi:[0,1]
	v_pk_add_f32 v[6:7], v[6:7], v[144:145] neg_lo:[0,1] neg_hi:[0,1]
	s_wait_dscnt 0x0
	v_pk_mul_f32 v[144:145], v[130:131], v[142:143] op_sel:[0,1]
	s_delay_alu instid0(VALU_DEP_1) | instskip(SKIP_2) | instid1(VALU_DEP_2)
	v_pk_fma_f32 v[146:147], v[130:131], v[140:141], v[144:145] op_sel:[0,0,1] op_sel_hi:[1,1,0] neg_lo:[0,0,1] neg_hi:[0,0,1]
	v_pk_fma_f32 v[130:131], v[130:131], v[140:141], v[144:145] op_sel:[0,0,1] op_sel_hi:[1,0,0]
	v_dual_mul_f32 v144, v133, v143 :: v_dual_mov_b32 v130, v133
	v_dual_mov_b32 v147, v131 :: v_dual_mov_b32 v131, v132
	s_delay_alu instid0(VALU_DEP_2) | instskip(SKIP_1) | instid1(VALU_DEP_3)
	v_pk_fma_f32 v[144:145], v[132:133], v[8:9], v[144:145] op_sel_hi:[1,1,0] neg_lo:[0,0,1] neg_hi:[0,0,1]
	v_mul_f32_e32 v132, v133, v140
	v_pk_add_f32 v[26:27], v[26:27], v[146:147] neg_lo:[0,1] neg_hi:[0,1]
	s_delay_alu instid0(VALU_DEP_2) | instskip(NEXT) | instid1(VALU_DEP_1)
	v_pk_fma_f32 v[130:131], v[130:131], v[8:9], v[132:133] op_sel_hi:[1,1,0]
	v_mov_b32_e32 v145, v131
	ds_load_2addr_b64 v[130:133], v134 offset0:60 offset1:61
	v_pk_add_f32 v[16:17], v[16:17], v[144:145] neg_lo:[0,1] neg_hi:[0,1]
	s_wait_dscnt 0x0
	v_pk_mul_f32 v[144:145], v[130:131], v[142:143] op_sel:[0,1]
	v_mul_f32_e32 v142, v133, v143
	s_delay_alu instid0(VALU_DEP_2) | instskip(SKIP_2) | instid1(VALU_DEP_4)
	v_pk_fma_f32 v[146:147], v[130:131], v[140:141], v[144:145] op_sel:[0,0,1] op_sel_hi:[1,1,0] neg_lo:[0,0,1] neg_hi:[0,0,1]
	v_pk_fma_f32 v[130:131], v[130:131], v[140:141], v[144:145] op_sel:[0,0,1] op_sel_hi:[1,0,0]
	v_mov_b32_e32 v130, v133
	v_pk_fma_f32 v[142:143], v[132:133], v[8:9], v[142:143] op_sel_hi:[1,1,0] neg_lo:[0,0,1] neg_hi:[0,0,1]
	s_delay_alu instid0(VALU_DEP_3) | instskip(SKIP_1) | instid1(VALU_DEP_2)
	v_dual_mov_b32 v147, v131 :: v_dual_mov_b32 v131, v132
	v_mul_f32_e32 v132, v133, v140
	v_pk_add_f32 v[14:15], v[14:15], v[146:147] neg_lo:[0,1] neg_hi:[0,1]
	s_delay_alu instid0(VALU_DEP_2) | instskip(NEXT) | instid1(VALU_DEP_1)
	v_pk_fma_f32 v[130:131], v[130:131], v[8:9], v[132:133] op_sel_hi:[1,1,0]
	v_mov_b32_e32 v143, v131
	s_delay_alu instid0(VALU_DEP_1)
	v_pk_add_f32 v[128:129], v[128:129], v[142:143] neg_lo:[0,1] neg_hi:[0,1]
.LBB122_1175:
	s_or_b32 exec_lo, exec_lo, s0
	v_lshl_add_u32 v130, v138, 3, v134
	s_barrier_signal -1
	s_barrier_wait -1
	ds_store_b64 v130, v[44:45]
	s_wait_dscnt 0x0
	s_barrier_signal -1
	s_barrier_wait -1
	ds_load_b64 v[130:131], v134 offset:448
	v_mov_b32_e32 v132, 56
	s_cmp_lt_i32 s18, 58
	s_cbranch_scc1 .LBB122_1178
; %bb.1176:
	v_add3_u32 v133, v135, 0, 0x1c8
	v_mov_b32_e32 v132, 56
	s_mov_b32 s0, 57
.LBB122_1177:                           ; =>This Inner Loop Header: Depth=1
	ds_load_b64 v[140:141], v133
	s_wait_dscnt 0x1
	v_cmp_gt_f32_e32 vcc_lo, 0, v130
	v_cndmask_b32_e64 v142, v130, -v130, vcc_lo
	v_cmp_gt_f32_e32 vcc_lo, 0, v131
	v_cndmask_b32_e64 v144, v131, -v131, vcc_lo
	s_wait_dscnt 0x0
	v_cmp_gt_f32_e32 vcc_lo, 0, v140
	v_cndmask_b32_e64 v143, v140, -v140, vcc_lo
	v_cmp_gt_f32_e32 vcc_lo, 0, v141
	v_cndmask_b32_e64 v145, v141, -v141, vcc_lo
	s_delay_alu instid0(VALU_DEP_1) | instskip(NEXT) | instid1(VALU_DEP_1)
	v_pk_add_f32 v[142:143], v[142:143], v[144:145]
	v_cmp_lt_f32_e32 vcc_lo, v142, v143
	v_dual_cndmask_b32 v130, v130, v140 :: v_dual_add_nc_u32 v133, 8, v133
	v_cndmask_b32_e32 v131, v131, v141, vcc_lo
	v_cndmask_b32_e64 v132, v132, s0, vcc_lo
	s_add_co_i32 s0, s0, 1
	s_delay_alu instid0(SALU_CYCLE_1)
	s_cmp_lg_u32 s18, s0
	s_cbranch_scc1 .LBB122_1177
.LBB122_1178:
	s_wait_dscnt 0x0
	v_cmp_eq_f32_e32 vcc_lo, 0, v130
	v_cmp_eq_f32_e64 s0, 0, v131
	s_and_b32 s0, vcc_lo, s0
	s_delay_alu instid0(SALU_CYCLE_1) | instskip(NEXT) | instid1(SALU_CYCLE_1)
	s_and_saveexec_b32 s1, s0
	s_xor_b32 s0, exec_lo, s1
; %bb.1179:
	v_cmp_ne_u32_e32 vcc_lo, 0, v136
	v_cndmask_b32_e32 v136, 57, v136, vcc_lo
; %bb.1180:
	s_and_not1_saveexec_b32 s0, s0
	s_cbranch_execz .LBB122_1186
; %bb.1181:
	v_cmp_ngt_f32_e64 s1, |v130|, |v131|
	s_and_saveexec_b32 s12, s1
	s_delay_alu instid0(SALU_CYCLE_1)
	s_xor_b32 s1, exec_lo, s12
	s_cbranch_execz .LBB122_1183
; %bb.1182:
	v_div_scale_f32 v133, null, v131, v131, v130
	v_div_scale_f32 v141, vcc_lo, v130, v131, v130
	s_delay_alu instid0(VALU_DEP_2) | instskip(SKIP_1) | instid1(TRANS32_DEP_1)
	v_rcp_f32_e32 v139, v133
	v_nop
	v_fma_f32 v140, -v133, v139, 1.0
	s_delay_alu instid0(VALU_DEP_1) | instskip(NEXT) | instid1(VALU_DEP_1)
	v_fmac_f32_e32 v139, v140, v139
	v_mul_f32_e32 v140, v141, v139
	s_delay_alu instid0(VALU_DEP_1) | instskip(NEXT) | instid1(VALU_DEP_1)
	v_fma_f32 v142, -v133, v140, v141
	v_fmac_f32_e32 v140, v142, v139
	s_delay_alu instid0(VALU_DEP_1) | instskip(NEXT) | instid1(VALU_DEP_1)
	v_fma_f32 v133, -v133, v140, v141
	v_div_fmas_f32 v133, v133, v139, v140
	s_delay_alu instid0(VALU_DEP_1) | instskip(NEXT) | instid1(VALU_DEP_1)
	v_div_fixup_f32 v133, v133, v131, v130
	v_fmac_f32_e32 v131, v130, v133
	s_delay_alu instid0(VALU_DEP_1) | instskip(SKIP_1) | instid1(VALU_DEP_2)
	v_div_scale_f32 v130, null, v131, v131, 1.0
	v_div_scale_f32 v141, vcc_lo, 1.0, v131, 1.0
	v_rcp_f32_e32 v139, v130
	v_nop
	s_delay_alu instid0(TRANS32_DEP_1) | instskip(NEXT) | instid1(VALU_DEP_1)
	v_fma_f32 v140, -v130, v139, 1.0
	v_fmac_f32_e32 v139, v140, v139
	s_delay_alu instid0(VALU_DEP_1) | instskip(NEXT) | instid1(VALU_DEP_1)
	v_mul_f32_e32 v140, v141, v139
	v_fma_f32 v142, -v130, v140, v141
	s_delay_alu instid0(VALU_DEP_1) | instskip(NEXT) | instid1(VALU_DEP_1)
	v_fmac_f32_e32 v140, v142, v139
	v_fma_f32 v130, -v130, v140, v141
	s_delay_alu instid0(VALU_DEP_1) | instskip(NEXT) | instid1(VALU_DEP_1)
	v_div_fmas_f32 v130, v130, v139, v140
	v_div_fixup_f32 v131, v130, v131, 1.0
	s_delay_alu instid0(VALU_DEP_1)
	v_mul_f32_e32 v130, v133, v131
	v_xor_b32_e32 v131, 0x80000000, v131
.LBB122_1183:
	s_and_not1_saveexec_b32 s1, s1
	s_cbranch_execz .LBB122_1185
; %bb.1184:
	s_delay_alu instid0(VALU_DEP_1) | instskip(SKIP_1) | instid1(VALU_DEP_2)
	v_div_scale_f32 v133, null, v130, v130, v131
	v_div_scale_f32 v141, vcc_lo, v131, v130, v131
	v_rcp_f32_e32 v139, v133
	v_nop
	s_delay_alu instid0(TRANS32_DEP_1) | instskip(NEXT) | instid1(VALU_DEP_1)
	v_fma_f32 v140, -v133, v139, 1.0
	v_fmac_f32_e32 v139, v140, v139
	s_delay_alu instid0(VALU_DEP_1) | instskip(NEXT) | instid1(VALU_DEP_1)
	v_mul_f32_e32 v140, v141, v139
	v_fma_f32 v142, -v133, v140, v141
	s_delay_alu instid0(VALU_DEP_1) | instskip(NEXT) | instid1(VALU_DEP_1)
	v_fmac_f32_e32 v140, v142, v139
	v_fma_f32 v133, -v133, v140, v141
	s_delay_alu instid0(VALU_DEP_1) | instskip(NEXT) | instid1(VALU_DEP_1)
	v_div_fmas_f32 v133, v133, v139, v140
	v_div_fixup_f32 v133, v133, v130, v131
	s_delay_alu instid0(VALU_DEP_1) | instskip(NEXT) | instid1(VALU_DEP_1)
	v_fmac_f32_e32 v130, v131, v133
	v_div_scale_f32 v131, null, v130, v130, 1.0
	s_delay_alu instid0(VALU_DEP_1) | instskip(SKIP_1) | instid1(TRANS32_DEP_1)
	v_rcp_f32_e32 v139, v131
	v_nop
	v_fma_f32 v140, -v131, v139, 1.0
	s_delay_alu instid0(VALU_DEP_1) | instskip(SKIP_1) | instid1(VALU_DEP_1)
	v_fmac_f32_e32 v139, v140, v139
	v_div_scale_f32 v140, vcc_lo, 1.0, v130, 1.0
	v_mul_f32_e32 v141, v140, v139
	s_delay_alu instid0(VALU_DEP_1) | instskip(NEXT) | instid1(VALU_DEP_1)
	v_fma_f32 v142, -v131, v141, v140
	v_fmac_f32_e32 v141, v142, v139
	s_delay_alu instid0(VALU_DEP_1) | instskip(NEXT) | instid1(VALU_DEP_1)
	v_fma_f32 v131, -v131, v141, v140
	v_div_fmas_f32 v131, v131, v139, v141
	s_delay_alu instid0(VALU_DEP_1) | instskip(NEXT) | instid1(VALU_DEP_1)
	v_div_fixup_f32 v130, v131, v130, 1.0
	v_mul_f32_e64 v131, v133, -v130
.LBB122_1185:
	s_or_b32 exec_lo, exec_lo, s1
.LBB122_1186:
	s_delay_alu instid0(SALU_CYCLE_1) | instskip(NEXT) | instid1(SALU_CYCLE_1)
	s_or_b32 exec_lo, exec_lo, s0
	s_mov_b32 s0, exec_lo
	v_cmpx_ne_u32_e64 v138, v132
	s_xor_b32 s0, exec_lo, s0
	s_cbranch_execz .LBB122_1192
; %bb.1187:
	s_mov_b32 s1, exec_lo
	v_cmpx_eq_u32_e32 56, v138
	s_cbranch_execz .LBB122_1191
; %bb.1188:
	v_cmp_ne_u32_e32 vcc_lo, 56, v132
	s_xor_b32 s12, s16, -1
	s_delay_alu instid0(SALU_CYCLE_1) | instskip(NEXT) | instid1(SALU_CYCLE_1)
	s_and_b32 s13, s12, vcc_lo
	s_and_saveexec_b32 s12, s13
	s_cbranch_execz .LBB122_1190
; %bb.1189:
	v_ashrrev_i32_e32 v133, 31, v132
	s_delay_alu instid0(VALU_DEP_1)
	v_lshl_add_u64 v[138:139], v[132:133], 2, v[4:5]
	s_clause 0x1
	global_load_b32 v133, v[138:139], off
	global_load_b32 v137, v[4:5], off offset:224
	s_wait_loadcnt 0x1
	global_store_b32 v[4:5], v133, off offset:224
	s_wait_loadcnt 0x0
	global_store_b32 v[138:139], v137, off
.LBB122_1190:
	s_wait_xcnt 0x0
	s_or_b32 exec_lo, exec_lo, s12
	v_dual_mov_b32 v138, v132 :: v_dual_mov_b32 v137, v132
.LBB122_1191:
	s_or_b32 exec_lo, exec_lo, s1
.LBB122_1192:
	s_and_not1_saveexec_b32 s0, s0
	s_cbranch_execz .LBB122_1194
; %bb.1193:
	v_mov_b32_e32 v138, 56
	ds_store_2addr_b64 v134, v[6:7], v[26:27] offset0:57 offset1:58
	ds_store_2addr_b64 v134, v[16:17], v[14:15] offset0:59 offset1:60
	ds_store_b64 v134, v[128:129] offset:488
.LBB122_1194:
	s_or_b32 exec_lo, exec_lo, s0
	s_delay_alu instid0(SALU_CYCLE_1)
	s_mov_b32 s0, exec_lo
	s_wait_storecnt_dscnt 0x0
	s_barrier_signal -1
	s_barrier_wait -1
	v_cmpx_lt_i32_e32 56, v138
	s_cbranch_execz .LBB122_1196
; %bb.1195:
	v_pk_mul_f32 v[132:133], v[130:131], v[44:45] op_sel:[1,1] op_sel_hi:[0,1]
	s_delay_alu instid0(VALU_DEP_1)
	v_pk_fma_f32 v[140:141], v[130:131], v[44:45], v[132:133] op_sel_hi:[1,0,1] neg_lo:[0,0,1] neg_hi:[0,0,1]
	v_pk_fma_f32 v[142:143], v[130:131], v[44:45], v[132:133] op_sel_hi:[1,0,1]
	ds_load_2addr_b64 v[130:133], v134 offset0:57 offset1:58
	v_dual_mov_b32 v44, v140 :: v_dual_mov_b32 v45, v143
	s_wait_dscnt 0x0
	v_pk_mul_f32 v[144:145], v[130:131], v[142:143] op_sel:[0,1]
	s_delay_alu instid0(VALU_DEP_1) | instskip(SKIP_1) | instid1(VALU_DEP_1)
	v_pk_fma_f32 v[146:147], v[130:131], v[140:141], v[144:145] op_sel:[0,0,1] op_sel_hi:[1,1,0] neg_lo:[0,0,1] neg_hi:[0,0,1]
	v_pk_fma_f32 v[130:131], v[130:131], v[140:141], v[144:145] op_sel:[0,0,1] op_sel_hi:[1,0,0]
	v_mov_b32_e32 v147, v131
	v_pk_mul_f32 v[130:131], v[132:133], v[142:143] op_sel:[0,1]
	s_delay_alu instid0(VALU_DEP_1) | instskip(SKIP_1) | instid1(VALU_DEP_1)
	v_pk_fma_f32 v[144:145], v[132:133], v[140:141], v[130:131] op_sel:[0,0,1] op_sel_hi:[1,1,0] neg_lo:[0,0,1] neg_hi:[0,0,1]
	v_pk_fma_f32 v[130:131], v[132:133], v[140:141], v[130:131] op_sel:[0,0,1] op_sel_hi:[1,0,0]
	v_mov_b32_e32 v145, v131
	ds_load_2addr_b64 v[130:133], v134 offset0:59 offset1:60
	v_pk_add_f32 v[6:7], v[6:7], v[146:147] neg_lo:[0,1] neg_hi:[0,1]
	v_pk_add_f32 v[26:27], v[26:27], v[144:145] neg_lo:[0,1] neg_hi:[0,1]
	s_wait_dscnt 0x0
	v_pk_mul_f32 v[144:145], v[130:131], v[142:143] op_sel:[0,1]
	s_delay_alu instid0(VALU_DEP_1) | instskip(SKIP_2) | instid1(VALU_DEP_2)
	v_pk_fma_f32 v[146:147], v[130:131], v[140:141], v[144:145] op_sel:[0,0,1] op_sel_hi:[1,1,0] neg_lo:[0,0,1] neg_hi:[0,0,1]
	v_pk_fma_f32 v[130:131], v[130:131], v[140:141], v[144:145] op_sel:[0,0,1] op_sel_hi:[1,0,0]
	v_dual_mul_f32 v144, v133, v143 :: v_dual_mov_b32 v130, v133
	v_dual_mov_b32 v147, v131 :: v_dual_mov_b32 v131, v132
	s_delay_alu instid0(VALU_DEP_2) | instskip(SKIP_1) | instid1(VALU_DEP_3)
	v_pk_fma_f32 v[144:145], v[132:133], v[44:45], v[144:145] op_sel_hi:[1,1,0] neg_lo:[0,0,1] neg_hi:[0,0,1]
	v_mul_f32_e32 v132, v133, v140
	v_pk_add_f32 v[16:17], v[16:17], v[146:147] neg_lo:[0,1] neg_hi:[0,1]
	s_delay_alu instid0(VALU_DEP_2) | instskip(NEXT) | instid1(VALU_DEP_1)
	v_pk_fma_f32 v[130:131], v[130:131], v[44:45], v[132:133] op_sel_hi:[1,1,0]
	v_mov_b32_e32 v145, v131
	ds_load_b64 v[130:131], v134 offset:488
	v_pk_add_f32 v[14:15], v[14:15], v[144:145] neg_lo:[0,1] neg_hi:[0,1]
	s_wait_dscnt 0x0
	v_pk_mul_f32 v[132:133], v[130:131], v[142:143] op_sel:[0,1]
	s_delay_alu instid0(VALU_DEP_1) | instskip(SKIP_1) | instid1(VALU_DEP_1)
	v_pk_fma_f32 v[142:143], v[130:131], v[140:141], v[132:133] op_sel:[0,0,1] op_sel_hi:[1,1,0] neg_lo:[0,0,1] neg_hi:[0,0,1]
	v_pk_fma_f32 v[130:131], v[130:131], v[140:141], v[132:133] op_sel:[0,0,1] op_sel_hi:[1,0,0]
	v_mov_b32_e32 v143, v131
	s_delay_alu instid0(VALU_DEP_1)
	v_pk_add_f32 v[128:129], v[128:129], v[142:143] neg_lo:[0,1] neg_hi:[0,1]
.LBB122_1196:
	s_or_b32 exec_lo, exec_lo, s0
	v_lshl_add_u32 v130, v138, 3, v134
	s_barrier_signal -1
	s_barrier_wait -1
	ds_store_b64 v130, v[6:7]
	s_wait_dscnt 0x0
	s_barrier_signal -1
	s_barrier_wait -1
	ds_load_b64 v[130:131], v134 offset:456
	v_mov_b32_e32 v132, 57
	s_cmp_lt_i32 s18, 59
	s_cbranch_scc1 .LBB122_1199
; %bb.1197:
	v_add3_u32 v133, v135, 0, 0x1d0
	v_mov_b32_e32 v132, 57
	s_mov_b32 s0, 58
.LBB122_1198:                           ; =>This Inner Loop Header: Depth=1
	ds_load_b64 v[140:141], v133
	s_wait_dscnt 0x1
	v_cmp_gt_f32_e32 vcc_lo, 0, v130
	v_cndmask_b32_e64 v142, v130, -v130, vcc_lo
	v_cmp_gt_f32_e32 vcc_lo, 0, v131
	v_cndmask_b32_e64 v144, v131, -v131, vcc_lo
	s_wait_dscnt 0x0
	v_cmp_gt_f32_e32 vcc_lo, 0, v140
	v_cndmask_b32_e64 v143, v140, -v140, vcc_lo
	v_cmp_gt_f32_e32 vcc_lo, 0, v141
	v_cndmask_b32_e64 v145, v141, -v141, vcc_lo
	s_delay_alu instid0(VALU_DEP_1) | instskip(NEXT) | instid1(VALU_DEP_1)
	v_pk_add_f32 v[142:143], v[142:143], v[144:145]
	v_cmp_lt_f32_e32 vcc_lo, v142, v143
	v_dual_cndmask_b32 v130, v130, v140 :: v_dual_add_nc_u32 v133, 8, v133
	v_cndmask_b32_e32 v131, v131, v141, vcc_lo
	v_cndmask_b32_e64 v132, v132, s0, vcc_lo
	s_add_co_i32 s0, s0, 1
	s_delay_alu instid0(SALU_CYCLE_1)
	s_cmp_lg_u32 s18, s0
	s_cbranch_scc1 .LBB122_1198
.LBB122_1199:
	s_wait_dscnt 0x0
	v_cmp_eq_f32_e32 vcc_lo, 0, v130
	v_cmp_eq_f32_e64 s0, 0, v131
	s_and_b32 s0, vcc_lo, s0
	s_delay_alu instid0(SALU_CYCLE_1) | instskip(NEXT) | instid1(SALU_CYCLE_1)
	s_and_saveexec_b32 s1, s0
	s_xor_b32 s0, exec_lo, s1
; %bb.1200:
	v_cmp_ne_u32_e32 vcc_lo, 0, v136
	v_cndmask_b32_e32 v136, 58, v136, vcc_lo
; %bb.1201:
	s_and_not1_saveexec_b32 s0, s0
	s_cbranch_execz .LBB122_1207
; %bb.1202:
	v_cmp_ngt_f32_e64 s1, |v130|, |v131|
	s_and_saveexec_b32 s12, s1
	s_delay_alu instid0(SALU_CYCLE_1)
	s_xor_b32 s1, exec_lo, s12
	s_cbranch_execz .LBB122_1204
; %bb.1203:
	v_div_scale_f32 v133, null, v131, v131, v130
	v_div_scale_f32 v141, vcc_lo, v130, v131, v130
	s_delay_alu instid0(VALU_DEP_2) | instskip(SKIP_1) | instid1(TRANS32_DEP_1)
	v_rcp_f32_e32 v139, v133
	v_nop
	v_fma_f32 v140, -v133, v139, 1.0
	s_delay_alu instid0(VALU_DEP_1) | instskip(NEXT) | instid1(VALU_DEP_1)
	v_fmac_f32_e32 v139, v140, v139
	v_mul_f32_e32 v140, v141, v139
	s_delay_alu instid0(VALU_DEP_1) | instskip(NEXT) | instid1(VALU_DEP_1)
	v_fma_f32 v142, -v133, v140, v141
	v_fmac_f32_e32 v140, v142, v139
	s_delay_alu instid0(VALU_DEP_1) | instskip(NEXT) | instid1(VALU_DEP_1)
	v_fma_f32 v133, -v133, v140, v141
	v_div_fmas_f32 v133, v133, v139, v140
	s_delay_alu instid0(VALU_DEP_1) | instskip(NEXT) | instid1(VALU_DEP_1)
	v_div_fixup_f32 v133, v133, v131, v130
	v_fmac_f32_e32 v131, v130, v133
	s_delay_alu instid0(VALU_DEP_1) | instskip(SKIP_1) | instid1(VALU_DEP_2)
	v_div_scale_f32 v130, null, v131, v131, 1.0
	v_div_scale_f32 v141, vcc_lo, 1.0, v131, 1.0
	v_rcp_f32_e32 v139, v130
	v_nop
	s_delay_alu instid0(TRANS32_DEP_1) | instskip(NEXT) | instid1(VALU_DEP_1)
	v_fma_f32 v140, -v130, v139, 1.0
	v_fmac_f32_e32 v139, v140, v139
	s_delay_alu instid0(VALU_DEP_1) | instskip(NEXT) | instid1(VALU_DEP_1)
	v_mul_f32_e32 v140, v141, v139
	v_fma_f32 v142, -v130, v140, v141
	s_delay_alu instid0(VALU_DEP_1) | instskip(NEXT) | instid1(VALU_DEP_1)
	v_fmac_f32_e32 v140, v142, v139
	v_fma_f32 v130, -v130, v140, v141
	s_delay_alu instid0(VALU_DEP_1) | instskip(NEXT) | instid1(VALU_DEP_1)
	v_div_fmas_f32 v130, v130, v139, v140
	v_div_fixup_f32 v131, v130, v131, 1.0
	s_delay_alu instid0(VALU_DEP_1)
	v_mul_f32_e32 v130, v133, v131
	v_xor_b32_e32 v131, 0x80000000, v131
.LBB122_1204:
	s_and_not1_saveexec_b32 s1, s1
	s_cbranch_execz .LBB122_1206
; %bb.1205:
	s_delay_alu instid0(VALU_DEP_1) | instskip(SKIP_1) | instid1(VALU_DEP_2)
	v_div_scale_f32 v133, null, v130, v130, v131
	v_div_scale_f32 v141, vcc_lo, v131, v130, v131
	v_rcp_f32_e32 v139, v133
	v_nop
	s_delay_alu instid0(TRANS32_DEP_1) | instskip(NEXT) | instid1(VALU_DEP_1)
	v_fma_f32 v140, -v133, v139, 1.0
	v_fmac_f32_e32 v139, v140, v139
	s_delay_alu instid0(VALU_DEP_1) | instskip(NEXT) | instid1(VALU_DEP_1)
	v_mul_f32_e32 v140, v141, v139
	v_fma_f32 v142, -v133, v140, v141
	s_delay_alu instid0(VALU_DEP_1) | instskip(NEXT) | instid1(VALU_DEP_1)
	v_fmac_f32_e32 v140, v142, v139
	v_fma_f32 v133, -v133, v140, v141
	s_delay_alu instid0(VALU_DEP_1) | instskip(NEXT) | instid1(VALU_DEP_1)
	v_div_fmas_f32 v133, v133, v139, v140
	v_div_fixup_f32 v133, v133, v130, v131
	s_delay_alu instid0(VALU_DEP_1) | instskip(NEXT) | instid1(VALU_DEP_1)
	v_fmac_f32_e32 v130, v131, v133
	v_div_scale_f32 v131, null, v130, v130, 1.0
	s_delay_alu instid0(VALU_DEP_1) | instskip(SKIP_1) | instid1(TRANS32_DEP_1)
	v_rcp_f32_e32 v139, v131
	v_nop
	v_fma_f32 v140, -v131, v139, 1.0
	s_delay_alu instid0(VALU_DEP_1) | instskip(SKIP_1) | instid1(VALU_DEP_1)
	v_fmac_f32_e32 v139, v140, v139
	v_div_scale_f32 v140, vcc_lo, 1.0, v130, 1.0
	v_mul_f32_e32 v141, v140, v139
	s_delay_alu instid0(VALU_DEP_1) | instskip(NEXT) | instid1(VALU_DEP_1)
	v_fma_f32 v142, -v131, v141, v140
	v_fmac_f32_e32 v141, v142, v139
	s_delay_alu instid0(VALU_DEP_1) | instskip(NEXT) | instid1(VALU_DEP_1)
	v_fma_f32 v131, -v131, v141, v140
	v_div_fmas_f32 v131, v131, v139, v141
	s_delay_alu instid0(VALU_DEP_1) | instskip(NEXT) | instid1(VALU_DEP_1)
	v_div_fixup_f32 v130, v131, v130, 1.0
	v_mul_f32_e64 v131, v133, -v130
.LBB122_1206:
	s_or_b32 exec_lo, exec_lo, s1
.LBB122_1207:
	s_delay_alu instid0(SALU_CYCLE_1) | instskip(NEXT) | instid1(SALU_CYCLE_1)
	s_or_b32 exec_lo, exec_lo, s0
	s_mov_b32 s0, exec_lo
	v_cmpx_ne_u32_e64 v138, v132
	s_xor_b32 s0, exec_lo, s0
	s_cbranch_execz .LBB122_1213
; %bb.1208:
	s_mov_b32 s1, exec_lo
	v_cmpx_eq_u32_e32 57, v138
	s_cbranch_execz .LBB122_1212
; %bb.1209:
	v_cmp_ne_u32_e32 vcc_lo, 57, v132
	s_xor_b32 s12, s16, -1
	s_delay_alu instid0(SALU_CYCLE_1) | instskip(NEXT) | instid1(SALU_CYCLE_1)
	s_and_b32 s13, s12, vcc_lo
	s_and_saveexec_b32 s12, s13
	s_cbranch_execz .LBB122_1211
; %bb.1210:
	v_ashrrev_i32_e32 v133, 31, v132
	s_delay_alu instid0(VALU_DEP_1)
	v_lshl_add_u64 v[138:139], v[132:133], 2, v[4:5]
	s_clause 0x1
	global_load_b32 v133, v[138:139], off
	global_load_b32 v137, v[4:5], off offset:228
	s_wait_loadcnt 0x1
	global_store_b32 v[4:5], v133, off offset:228
	s_wait_loadcnt 0x0
	global_store_b32 v[138:139], v137, off
.LBB122_1211:
	s_wait_xcnt 0x0
	s_or_b32 exec_lo, exec_lo, s12
	v_dual_mov_b32 v138, v132 :: v_dual_mov_b32 v137, v132
.LBB122_1212:
	s_or_b32 exec_lo, exec_lo, s1
.LBB122_1213:
	s_and_not1_saveexec_b32 s0, s0
	s_cbranch_execz .LBB122_1215
; %bb.1214:
	v_dual_mov_b32 v132, v26 :: v_dual_mov_b32 v133, v27
	v_dual_mov_b32 v140, v16 :: v_dual_mov_b32 v141, v17
	;; [unrolled: 1-line block ×3, first 2 shown]
	v_mov_b32_e32 v143, v15
	ds_store_2addr_b64 v134, v[132:133], v[140:141] offset0:58 offset1:59
	ds_store_2addr_b64 v134, v[142:143], v[128:129] offset0:60 offset1:61
.LBB122_1215:
	s_or_b32 exec_lo, exec_lo, s0
	s_delay_alu instid0(SALU_CYCLE_1)
	s_mov_b32 s0, exec_lo
	s_wait_storecnt_dscnt 0x0
	s_barrier_signal -1
	s_barrier_wait -1
	v_cmpx_lt_i32_e32 57, v138
	s_cbranch_execz .LBB122_1217
; %bb.1216:
	ds_load_2addr_b64 v[140:143], v134 offset0:58 offset1:59
	ds_load_2addr_b64 v[144:147], v134 offset0:60 offset1:61
	v_pk_mul_f32 v[132:133], v[130:131], v[6:7] op_sel:[1,1] op_sel_hi:[0,1]
	s_delay_alu instid0(VALU_DEP_1) | instskip(SKIP_1) | instid1(VALU_DEP_1)
	v_pk_fma_f32 v[148:149], v[130:131], v[6:7], v[132:133] op_sel_hi:[1,0,1] neg_lo:[0,0,1] neg_hi:[0,0,1]
	v_pk_fma_f32 v[130:131], v[130:131], v[6:7], v[132:133] op_sel_hi:[1,0,1]
	v_dual_mov_b32 v6, v148 :: v_dual_mov_b32 v7, v131
	s_wait_dscnt 0x1
	s_delay_alu instid0(VALU_DEP_2)
	v_pk_mul_f32 v[132:133], v[140:141], v[130:131] op_sel:[0,1]
	s_wait_dscnt 0x0
	v_mov_b32_e32 v150, v147
	v_pk_mul_f32 v[152:153], v[142:143], v[130:131] op_sel:[0,1]
	v_pk_mul_f32 v[154:155], v[144:145], v[130:131] op_sel:[0,1]
	v_pk_fma_f32 v[156:157], v[140:141], v[148:149], v[132:133] op_sel:[0,0,1] op_sel_hi:[1,1,0] neg_lo:[0,0,1] neg_hi:[0,0,1]
	v_pk_fma_f32 v[132:133], v[140:141], v[148:149], v[132:133] op_sel:[0,0,1] op_sel_hi:[1,0,0]
	s_delay_alu instid0(VALU_DEP_1) | instskip(NEXT) | instid1(VALU_DEP_1)
	v_dual_mov_b32 v151, v146 :: v_dual_mov_b32 v157, v133
	v_pk_mul_f32 v[140:141], v[150:151], v[130:131] op_sel:[0,1]
	v_pk_fma_f32 v[150:151], v[142:143], v[148:149], v[152:153] op_sel:[0,0,1] op_sel_hi:[1,0,0]
	v_pk_fma_f32 v[142:143], v[142:143], v[148:149], v[152:153] op_sel:[0,0,1] op_sel_hi:[1,1,0] neg_lo:[0,0,1] neg_hi:[0,0,1]
	v_pk_fma_f32 v[152:153], v[144:145], v[148:149], v[154:155] op_sel:[0,0,1] op_sel_hi:[1,0,0]
	v_pk_fma_f32 v[144:145], v[144:145], v[148:149], v[154:155] op_sel:[0,0,1] op_sel_hi:[1,1,0] neg_lo:[0,0,1] neg_hi:[0,0,1]
	v_pk_fma_f32 v[132:133], v[146:147], v[148:149], v[140:141] op_sel_hi:[1,0,1]
	v_pk_fma_f32 v[140:141], v[146:147], v[148:149], v[140:141] neg_lo:[0,0,1] neg_hi:[0,0,1]
	s_delay_alu instid0(VALU_DEP_4) | instskip(SKIP_1) | instid1(VALU_DEP_4)
	v_dual_mov_b32 v143, v151 :: v_dual_mov_b32 v145, v153
	v_pk_add_f32 v[26:27], v[26:27], v[156:157] neg_lo:[0,1] neg_hi:[0,1]
	v_mov_b32_e32 v141, v133
	s_delay_alu instid0(VALU_DEP_3) | instskip(NEXT) | instid1(VALU_DEP_4)
	v_pk_add_f32 v[16:17], v[16:17], v[142:143] neg_lo:[0,1] neg_hi:[0,1]
	v_pk_add_f32 v[14:15], v[14:15], v[144:145] neg_lo:[0,1] neg_hi:[0,1]
	s_delay_alu instid0(VALU_DEP_3)
	v_pk_add_f32 v[128:129], v[128:129], v[140:141] neg_lo:[0,1] neg_hi:[0,1]
.LBB122_1217:
	s_or_b32 exec_lo, exec_lo, s0
	v_lshl_add_u32 v130, v138, 3, v134
	s_barrier_signal -1
	s_barrier_wait -1
	ds_store_b64 v130, v[26:27]
	s_wait_dscnt 0x0
	s_barrier_signal -1
	s_barrier_wait -1
	ds_load_b64 v[130:131], v134 offset:464
	v_mov_b32_e32 v132, 58
	s_cmp_lt_i32 s18, 60
	s_cbranch_scc1 .LBB122_1220
; %bb.1218:
	v_add3_u32 v133, v135, 0, 0x1d8
	v_mov_b32_e32 v132, 58
	s_mov_b32 s0, 59
.LBB122_1219:                           ; =>This Inner Loop Header: Depth=1
	ds_load_b64 v[140:141], v133
	s_wait_dscnt 0x1
	v_cmp_gt_f32_e32 vcc_lo, 0, v130
	v_cndmask_b32_e64 v142, v130, -v130, vcc_lo
	v_cmp_gt_f32_e32 vcc_lo, 0, v131
	v_cndmask_b32_e64 v144, v131, -v131, vcc_lo
	s_wait_dscnt 0x0
	v_cmp_gt_f32_e32 vcc_lo, 0, v140
	v_cndmask_b32_e64 v143, v140, -v140, vcc_lo
	v_cmp_gt_f32_e32 vcc_lo, 0, v141
	v_cndmask_b32_e64 v145, v141, -v141, vcc_lo
	s_delay_alu instid0(VALU_DEP_1) | instskip(NEXT) | instid1(VALU_DEP_1)
	v_pk_add_f32 v[142:143], v[142:143], v[144:145]
	v_cmp_lt_f32_e32 vcc_lo, v142, v143
	v_dual_cndmask_b32 v130, v130, v140 :: v_dual_add_nc_u32 v133, 8, v133
	v_cndmask_b32_e32 v131, v131, v141, vcc_lo
	v_cndmask_b32_e64 v132, v132, s0, vcc_lo
	s_add_co_i32 s0, s0, 1
	s_delay_alu instid0(SALU_CYCLE_1)
	s_cmp_lg_u32 s18, s0
	s_cbranch_scc1 .LBB122_1219
.LBB122_1220:
	s_wait_dscnt 0x0
	v_cmp_eq_f32_e32 vcc_lo, 0, v130
	v_cmp_eq_f32_e64 s0, 0, v131
	s_and_b32 s0, vcc_lo, s0
	s_delay_alu instid0(SALU_CYCLE_1) | instskip(NEXT) | instid1(SALU_CYCLE_1)
	s_and_saveexec_b32 s1, s0
	s_xor_b32 s0, exec_lo, s1
; %bb.1221:
	v_cmp_ne_u32_e32 vcc_lo, 0, v136
	v_cndmask_b32_e32 v136, 59, v136, vcc_lo
; %bb.1222:
	s_and_not1_saveexec_b32 s0, s0
	s_cbranch_execz .LBB122_1228
; %bb.1223:
	v_cmp_ngt_f32_e64 s1, |v130|, |v131|
	s_and_saveexec_b32 s12, s1
	s_delay_alu instid0(SALU_CYCLE_1)
	s_xor_b32 s1, exec_lo, s12
	s_cbranch_execz .LBB122_1225
; %bb.1224:
	v_div_scale_f32 v133, null, v131, v131, v130
	v_div_scale_f32 v141, vcc_lo, v130, v131, v130
	s_delay_alu instid0(VALU_DEP_2) | instskip(SKIP_1) | instid1(TRANS32_DEP_1)
	v_rcp_f32_e32 v139, v133
	v_nop
	v_fma_f32 v140, -v133, v139, 1.0
	s_delay_alu instid0(VALU_DEP_1) | instskip(NEXT) | instid1(VALU_DEP_1)
	v_fmac_f32_e32 v139, v140, v139
	v_mul_f32_e32 v140, v141, v139
	s_delay_alu instid0(VALU_DEP_1) | instskip(NEXT) | instid1(VALU_DEP_1)
	v_fma_f32 v142, -v133, v140, v141
	v_fmac_f32_e32 v140, v142, v139
	s_delay_alu instid0(VALU_DEP_1) | instskip(NEXT) | instid1(VALU_DEP_1)
	v_fma_f32 v133, -v133, v140, v141
	v_div_fmas_f32 v133, v133, v139, v140
	s_delay_alu instid0(VALU_DEP_1) | instskip(NEXT) | instid1(VALU_DEP_1)
	v_div_fixup_f32 v133, v133, v131, v130
	v_fmac_f32_e32 v131, v130, v133
	s_delay_alu instid0(VALU_DEP_1) | instskip(SKIP_1) | instid1(VALU_DEP_2)
	v_div_scale_f32 v130, null, v131, v131, 1.0
	v_div_scale_f32 v141, vcc_lo, 1.0, v131, 1.0
	v_rcp_f32_e32 v139, v130
	v_nop
	s_delay_alu instid0(TRANS32_DEP_1) | instskip(NEXT) | instid1(VALU_DEP_1)
	v_fma_f32 v140, -v130, v139, 1.0
	v_fmac_f32_e32 v139, v140, v139
	s_delay_alu instid0(VALU_DEP_1) | instskip(NEXT) | instid1(VALU_DEP_1)
	v_mul_f32_e32 v140, v141, v139
	v_fma_f32 v142, -v130, v140, v141
	s_delay_alu instid0(VALU_DEP_1) | instskip(NEXT) | instid1(VALU_DEP_1)
	v_fmac_f32_e32 v140, v142, v139
	v_fma_f32 v130, -v130, v140, v141
	s_delay_alu instid0(VALU_DEP_1) | instskip(NEXT) | instid1(VALU_DEP_1)
	v_div_fmas_f32 v130, v130, v139, v140
	v_div_fixup_f32 v131, v130, v131, 1.0
	s_delay_alu instid0(VALU_DEP_1)
	v_mul_f32_e32 v130, v133, v131
	v_xor_b32_e32 v131, 0x80000000, v131
.LBB122_1225:
	s_and_not1_saveexec_b32 s1, s1
	s_cbranch_execz .LBB122_1227
; %bb.1226:
	s_delay_alu instid0(VALU_DEP_1) | instskip(SKIP_1) | instid1(VALU_DEP_2)
	v_div_scale_f32 v133, null, v130, v130, v131
	v_div_scale_f32 v141, vcc_lo, v131, v130, v131
	v_rcp_f32_e32 v139, v133
	v_nop
	s_delay_alu instid0(TRANS32_DEP_1) | instskip(NEXT) | instid1(VALU_DEP_1)
	v_fma_f32 v140, -v133, v139, 1.0
	v_fmac_f32_e32 v139, v140, v139
	s_delay_alu instid0(VALU_DEP_1) | instskip(NEXT) | instid1(VALU_DEP_1)
	v_mul_f32_e32 v140, v141, v139
	v_fma_f32 v142, -v133, v140, v141
	s_delay_alu instid0(VALU_DEP_1) | instskip(NEXT) | instid1(VALU_DEP_1)
	v_fmac_f32_e32 v140, v142, v139
	v_fma_f32 v133, -v133, v140, v141
	s_delay_alu instid0(VALU_DEP_1) | instskip(NEXT) | instid1(VALU_DEP_1)
	v_div_fmas_f32 v133, v133, v139, v140
	v_div_fixup_f32 v133, v133, v130, v131
	s_delay_alu instid0(VALU_DEP_1) | instskip(NEXT) | instid1(VALU_DEP_1)
	v_fmac_f32_e32 v130, v131, v133
	v_div_scale_f32 v131, null, v130, v130, 1.0
	s_delay_alu instid0(VALU_DEP_1) | instskip(SKIP_1) | instid1(TRANS32_DEP_1)
	v_rcp_f32_e32 v139, v131
	v_nop
	v_fma_f32 v140, -v131, v139, 1.0
	s_delay_alu instid0(VALU_DEP_1) | instskip(SKIP_1) | instid1(VALU_DEP_1)
	v_fmac_f32_e32 v139, v140, v139
	v_div_scale_f32 v140, vcc_lo, 1.0, v130, 1.0
	v_mul_f32_e32 v141, v140, v139
	s_delay_alu instid0(VALU_DEP_1) | instskip(NEXT) | instid1(VALU_DEP_1)
	v_fma_f32 v142, -v131, v141, v140
	v_fmac_f32_e32 v141, v142, v139
	s_delay_alu instid0(VALU_DEP_1) | instskip(NEXT) | instid1(VALU_DEP_1)
	v_fma_f32 v131, -v131, v141, v140
	v_div_fmas_f32 v131, v131, v139, v141
	s_delay_alu instid0(VALU_DEP_1) | instskip(NEXT) | instid1(VALU_DEP_1)
	v_div_fixup_f32 v130, v131, v130, 1.0
	v_mul_f32_e64 v131, v133, -v130
.LBB122_1227:
	s_or_b32 exec_lo, exec_lo, s1
.LBB122_1228:
	s_delay_alu instid0(SALU_CYCLE_1) | instskip(NEXT) | instid1(SALU_CYCLE_1)
	s_or_b32 exec_lo, exec_lo, s0
	s_mov_b32 s0, exec_lo
	v_cmpx_ne_u32_e64 v138, v132
	s_xor_b32 s0, exec_lo, s0
	s_cbranch_execz .LBB122_1234
; %bb.1229:
	s_mov_b32 s1, exec_lo
	v_cmpx_eq_u32_e32 58, v138
	s_cbranch_execz .LBB122_1233
; %bb.1230:
	v_cmp_ne_u32_e32 vcc_lo, 58, v132
	s_xor_b32 s12, s16, -1
	s_delay_alu instid0(SALU_CYCLE_1) | instskip(NEXT) | instid1(SALU_CYCLE_1)
	s_and_b32 s13, s12, vcc_lo
	s_and_saveexec_b32 s12, s13
	s_cbranch_execz .LBB122_1232
; %bb.1231:
	v_ashrrev_i32_e32 v133, 31, v132
	s_delay_alu instid0(VALU_DEP_1)
	v_lshl_add_u64 v[138:139], v[132:133], 2, v[4:5]
	s_clause 0x1
	global_load_b32 v133, v[138:139], off
	global_load_b32 v137, v[4:5], off offset:232
	s_wait_loadcnt 0x1
	global_store_b32 v[4:5], v133, off offset:232
	s_wait_loadcnt 0x0
	global_store_b32 v[138:139], v137, off
.LBB122_1232:
	s_wait_xcnt 0x0
	s_or_b32 exec_lo, exec_lo, s12
	v_dual_mov_b32 v138, v132 :: v_dual_mov_b32 v137, v132
.LBB122_1233:
	s_or_b32 exec_lo, exec_lo, s1
.LBB122_1234:
	s_and_not1_saveexec_b32 s0, s0
	s_cbranch_execz .LBB122_1236
; %bb.1235:
	v_mov_b32_e32 v138, 58
	ds_store_2addr_b64 v134, v[16:17], v[14:15] offset0:59 offset1:60
	ds_store_b64 v134, v[128:129] offset:488
.LBB122_1236:
	s_or_b32 exec_lo, exec_lo, s0
	s_delay_alu instid0(SALU_CYCLE_1)
	s_mov_b32 s0, exec_lo
	s_wait_storecnt_dscnt 0x0
	s_barrier_signal -1
	s_barrier_wait -1
	v_cmpx_lt_i32_e32 58, v138
	s_cbranch_execz .LBB122_1238
; %bb.1237:
	ds_load_2addr_b64 v[140:143], v134 offset0:59 offset1:60
	ds_load_b64 v[132:133], v134 offset:488
	v_pk_mul_f32 v[144:145], v[130:131], v[26:27] op_sel:[1,1] op_sel_hi:[0,1]
	s_delay_alu instid0(VALU_DEP_1) | instskip(SKIP_2) | instid1(VALU_DEP_2)
	v_pk_fma_f32 v[146:147], v[130:131], v[26:27], v[144:145] op_sel_hi:[1,0,1]
	v_pk_fma_f32 v[26:27], v[130:131], v[26:27], v[144:145] op_sel_hi:[1,0,1] neg_lo:[0,0,1] neg_hi:[0,0,1]
	s_wait_dscnt 0x1
	v_pk_mul_f32 v[130:131], v[140:141], v[146:147] op_sel:[0,1]
	v_pk_mul_f32 v[144:145], v[142:143], v[146:147] op_sel:[0,1]
	s_wait_dscnt 0x0
	v_pk_mul_f32 v[148:149], v[132:133], v[146:147] op_sel:[1,1] op_sel_hi:[0,1]
	s_delay_alu instid0(VALU_DEP_3) | instskip(SKIP_2) | instid1(VALU_DEP_4)
	v_pk_fma_f32 v[150:151], v[140:141], v[26:27], v[130:131] op_sel:[0,0,1] op_sel_hi:[1,1,0] neg_lo:[0,0,1] neg_hi:[0,0,1]
	v_pk_fma_f32 v[130:131], v[140:141], v[26:27], v[130:131] op_sel:[0,0,1] op_sel_hi:[1,0,0]
	v_pk_fma_f32 v[140:141], v[142:143], v[26:27], v[144:145] op_sel:[0,0,1] op_sel_hi:[1,0,0]
	v_pk_fma_f32 v[152:153], v[132:133], v[26:27], v[148:149] op_sel_hi:[1,0,1]
	v_pk_fma_f32 v[142:143], v[142:143], v[26:27], v[144:145] op_sel:[0,0,1] op_sel_hi:[1,1,0] neg_lo:[0,0,1] neg_hi:[0,0,1]
	v_pk_fma_f32 v[132:133], v[132:133], v[26:27], v[148:149] neg_lo:[0,0,1] neg_hi:[0,0,1]
	s_delay_alu instid0(VALU_DEP_4) | instskip(NEXT) | instid1(VALU_DEP_4)
	v_dual_mov_b32 v151, v131 :: v_dual_mov_b32 v143, v141
	v_dual_mov_b32 v133, v153 :: v_dual_mov_b32 v27, v147
	s_delay_alu instid0(VALU_DEP_2) | instskip(NEXT) | instid1(VALU_DEP_3)
	v_pk_add_f32 v[16:17], v[16:17], v[150:151] neg_lo:[0,1] neg_hi:[0,1]
	v_pk_add_f32 v[14:15], v[14:15], v[142:143] neg_lo:[0,1] neg_hi:[0,1]
	s_delay_alu instid0(VALU_DEP_3)
	v_pk_add_f32 v[128:129], v[128:129], v[132:133] neg_lo:[0,1] neg_hi:[0,1]
.LBB122_1238:
	s_or_b32 exec_lo, exec_lo, s0
	v_lshl_add_u32 v130, v138, 3, v134
	s_barrier_signal -1
	s_barrier_wait -1
	ds_store_b64 v130, v[16:17]
	s_wait_dscnt 0x0
	s_barrier_signal -1
	s_barrier_wait -1
	ds_load_b64 v[130:131], v134 offset:472
	v_mov_b32_e32 v132, 59
	s_cmp_lt_i32 s18, 61
	s_cbranch_scc1 .LBB122_1241
; %bb.1239:
	v_add3_u32 v133, v135, 0, 0x1e0
	v_mov_b32_e32 v132, 59
	s_mov_b32 s0, 60
.LBB122_1240:                           ; =>This Inner Loop Header: Depth=1
	ds_load_b64 v[140:141], v133
	s_wait_dscnt 0x1
	v_cmp_gt_f32_e32 vcc_lo, 0, v130
	v_cndmask_b32_e64 v142, v130, -v130, vcc_lo
	v_cmp_gt_f32_e32 vcc_lo, 0, v131
	v_cndmask_b32_e64 v144, v131, -v131, vcc_lo
	s_wait_dscnt 0x0
	v_cmp_gt_f32_e32 vcc_lo, 0, v140
	v_cndmask_b32_e64 v143, v140, -v140, vcc_lo
	v_cmp_gt_f32_e32 vcc_lo, 0, v141
	v_cndmask_b32_e64 v145, v141, -v141, vcc_lo
	s_delay_alu instid0(VALU_DEP_1) | instskip(NEXT) | instid1(VALU_DEP_1)
	v_pk_add_f32 v[142:143], v[142:143], v[144:145]
	v_cmp_lt_f32_e32 vcc_lo, v142, v143
	v_dual_cndmask_b32 v130, v130, v140 :: v_dual_add_nc_u32 v133, 8, v133
	v_cndmask_b32_e32 v131, v131, v141, vcc_lo
	v_cndmask_b32_e64 v132, v132, s0, vcc_lo
	s_add_co_i32 s0, s0, 1
	s_delay_alu instid0(SALU_CYCLE_1)
	s_cmp_lg_u32 s18, s0
	s_cbranch_scc1 .LBB122_1240
.LBB122_1241:
	s_wait_dscnt 0x0
	v_cmp_eq_f32_e32 vcc_lo, 0, v130
	v_cmp_eq_f32_e64 s0, 0, v131
	s_and_b32 s0, vcc_lo, s0
	s_delay_alu instid0(SALU_CYCLE_1) | instskip(NEXT) | instid1(SALU_CYCLE_1)
	s_and_saveexec_b32 s1, s0
	s_xor_b32 s0, exec_lo, s1
; %bb.1242:
	v_cmp_ne_u32_e32 vcc_lo, 0, v136
	v_cndmask_b32_e32 v136, 60, v136, vcc_lo
; %bb.1243:
	s_and_not1_saveexec_b32 s0, s0
	s_cbranch_execz .LBB122_1249
; %bb.1244:
	v_cmp_ngt_f32_e64 s1, |v130|, |v131|
	s_and_saveexec_b32 s12, s1
	s_delay_alu instid0(SALU_CYCLE_1)
	s_xor_b32 s1, exec_lo, s12
	s_cbranch_execz .LBB122_1246
; %bb.1245:
	v_div_scale_f32 v133, null, v131, v131, v130
	v_div_scale_f32 v141, vcc_lo, v130, v131, v130
	s_delay_alu instid0(VALU_DEP_2) | instskip(SKIP_1) | instid1(TRANS32_DEP_1)
	v_rcp_f32_e32 v139, v133
	v_nop
	v_fma_f32 v140, -v133, v139, 1.0
	s_delay_alu instid0(VALU_DEP_1) | instskip(NEXT) | instid1(VALU_DEP_1)
	v_fmac_f32_e32 v139, v140, v139
	v_mul_f32_e32 v140, v141, v139
	s_delay_alu instid0(VALU_DEP_1) | instskip(NEXT) | instid1(VALU_DEP_1)
	v_fma_f32 v142, -v133, v140, v141
	v_fmac_f32_e32 v140, v142, v139
	s_delay_alu instid0(VALU_DEP_1) | instskip(NEXT) | instid1(VALU_DEP_1)
	v_fma_f32 v133, -v133, v140, v141
	v_div_fmas_f32 v133, v133, v139, v140
	s_delay_alu instid0(VALU_DEP_1) | instskip(NEXT) | instid1(VALU_DEP_1)
	v_div_fixup_f32 v133, v133, v131, v130
	v_fmac_f32_e32 v131, v130, v133
	s_delay_alu instid0(VALU_DEP_1) | instskip(SKIP_1) | instid1(VALU_DEP_2)
	v_div_scale_f32 v130, null, v131, v131, 1.0
	v_div_scale_f32 v141, vcc_lo, 1.0, v131, 1.0
	v_rcp_f32_e32 v139, v130
	v_nop
	s_delay_alu instid0(TRANS32_DEP_1) | instskip(NEXT) | instid1(VALU_DEP_1)
	v_fma_f32 v140, -v130, v139, 1.0
	v_fmac_f32_e32 v139, v140, v139
	s_delay_alu instid0(VALU_DEP_1) | instskip(NEXT) | instid1(VALU_DEP_1)
	v_mul_f32_e32 v140, v141, v139
	v_fma_f32 v142, -v130, v140, v141
	s_delay_alu instid0(VALU_DEP_1) | instskip(NEXT) | instid1(VALU_DEP_1)
	v_fmac_f32_e32 v140, v142, v139
	v_fma_f32 v130, -v130, v140, v141
	s_delay_alu instid0(VALU_DEP_1) | instskip(NEXT) | instid1(VALU_DEP_1)
	v_div_fmas_f32 v130, v130, v139, v140
	v_div_fixup_f32 v131, v130, v131, 1.0
	s_delay_alu instid0(VALU_DEP_1)
	v_mul_f32_e32 v130, v133, v131
	v_xor_b32_e32 v131, 0x80000000, v131
.LBB122_1246:
	s_and_not1_saveexec_b32 s1, s1
	s_cbranch_execz .LBB122_1248
; %bb.1247:
	s_delay_alu instid0(VALU_DEP_1) | instskip(SKIP_1) | instid1(VALU_DEP_2)
	v_div_scale_f32 v133, null, v130, v130, v131
	v_div_scale_f32 v141, vcc_lo, v131, v130, v131
	v_rcp_f32_e32 v139, v133
	v_nop
	s_delay_alu instid0(TRANS32_DEP_1) | instskip(NEXT) | instid1(VALU_DEP_1)
	v_fma_f32 v140, -v133, v139, 1.0
	v_fmac_f32_e32 v139, v140, v139
	s_delay_alu instid0(VALU_DEP_1) | instskip(NEXT) | instid1(VALU_DEP_1)
	v_mul_f32_e32 v140, v141, v139
	v_fma_f32 v142, -v133, v140, v141
	s_delay_alu instid0(VALU_DEP_1) | instskip(NEXT) | instid1(VALU_DEP_1)
	v_fmac_f32_e32 v140, v142, v139
	v_fma_f32 v133, -v133, v140, v141
	s_delay_alu instid0(VALU_DEP_1) | instskip(NEXT) | instid1(VALU_DEP_1)
	v_div_fmas_f32 v133, v133, v139, v140
	v_div_fixup_f32 v133, v133, v130, v131
	s_delay_alu instid0(VALU_DEP_1) | instskip(NEXT) | instid1(VALU_DEP_1)
	v_fmac_f32_e32 v130, v131, v133
	v_div_scale_f32 v131, null, v130, v130, 1.0
	s_delay_alu instid0(VALU_DEP_1) | instskip(SKIP_1) | instid1(TRANS32_DEP_1)
	v_rcp_f32_e32 v139, v131
	v_nop
	v_fma_f32 v140, -v131, v139, 1.0
	s_delay_alu instid0(VALU_DEP_1) | instskip(SKIP_1) | instid1(VALU_DEP_1)
	v_fmac_f32_e32 v139, v140, v139
	v_div_scale_f32 v140, vcc_lo, 1.0, v130, 1.0
	v_mul_f32_e32 v141, v140, v139
	s_delay_alu instid0(VALU_DEP_1) | instskip(NEXT) | instid1(VALU_DEP_1)
	v_fma_f32 v142, -v131, v141, v140
	v_fmac_f32_e32 v141, v142, v139
	s_delay_alu instid0(VALU_DEP_1) | instskip(NEXT) | instid1(VALU_DEP_1)
	v_fma_f32 v131, -v131, v141, v140
	v_div_fmas_f32 v131, v131, v139, v141
	s_delay_alu instid0(VALU_DEP_1) | instskip(NEXT) | instid1(VALU_DEP_1)
	v_div_fixup_f32 v130, v131, v130, 1.0
	v_mul_f32_e64 v131, v133, -v130
.LBB122_1248:
	s_or_b32 exec_lo, exec_lo, s1
.LBB122_1249:
	s_delay_alu instid0(SALU_CYCLE_1) | instskip(NEXT) | instid1(SALU_CYCLE_1)
	s_or_b32 exec_lo, exec_lo, s0
	s_mov_b32 s0, exec_lo
	v_cmpx_ne_u32_e64 v138, v132
	s_xor_b32 s0, exec_lo, s0
	s_cbranch_execz .LBB122_1255
; %bb.1250:
	s_mov_b32 s1, exec_lo
	v_cmpx_eq_u32_e32 59, v138
	s_cbranch_execz .LBB122_1254
; %bb.1251:
	v_cmp_ne_u32_e32 vcc_lo, 59, v132
	s_xor_b32 s12, s16, -1
	s_delay_alu instid0(SALU_CYCLE_1) | instskip(NEXT) | instid1(SALU_CYCLE_1)
	s_and_b32 s13, s12, vcc_lo
	s_and_saveexec_b32 s12, s13
	s_cbranch_execz .LBB122_1253
; %bb.1252:
	v_ashrrev_i32_e32 v133, 31, v132
	s_delay_alu instid0(VALU_DEP_1)
	v_lshl_add_u64 v[138:139], v[132:133], 2, v[4:5]
	s_clause 0x1
	global_load_b32 v133, v[138:139], off
	global_load_b32 v137, v[4:5], off offset:236
	s_wait_loadcnt 0x1
	global_store_b32 v[4:5], v133, off offset:236
	s_wait_loadcnt 0x0
	global_store_b32 v[138:139], v137, off
.LBB122_1253:
	s_wait_xcnt 0x0
	s_or_b32 exec_lo, exec_lo, s12
	v_dual_mov_b32 v138, v132 :: v_dual_mov_b32 v137, v132
.LBB122_1254:
	s_or_b32 exec_lo, exec_lo, s1
.LBB122_1255:
	s_and_not1_saveexec_b32 s0, s0
; %bb.1256:
	v_dual_mov_b32 v132, v14 :: v_dual_mov_b32 v133, v15
	v_mov_b32_e32 v138, 59
	ds_store_2addr_b64 v134, v[132:133], v[128:129] offset0:60 offset1:61
; %bb.1257:
	s_or_b32 exec_lo, exec_lo, s0
	s_delay_alu instid0(SALU_CYCLE_1)
	s_mov_b32 s0, exec_lo
	s_wait_storecnt_dscnt 0x0
	s_barrier_signal -1
	s_barrier_wait -1
	v_cmpx_lt_i32_e32 59, v138
	s_cbranch_execz .LBB122_1259
; %bb.1258:
	ds_load_2addr_b64 v[140:143], v134 offset0:60 offset1:61
	v_pk_mul_f32 v[132:133], v[130:131], v[16:17] op_sel:[1,1] op_sel_hi:[0,1]
	s_delay_alu instid0(VALU_DEP_1) | instskip(SKIP_3) | instid1(VALU_DEP_3)
	v_pk_fma_f32 v[144:145], v[130:131], v[16:17], v[132:133] op_sel_hi:[1,0,1]
	v_pk_fma_f32 v[16:17], v[130:131], v[16:17], v[132:133] op_sel_hi:[1,0,1] neg_lo:[0,0,1] neg_hi:[0,0,1]
	s_wait_dscnt 0x0
	v_dual_mov_b32 v146, v143 :: v_dual_mov_b32 v147, v142
	v_pk_mul_f32 v[130:131], v[140:141], v[144:145] op_sel:[0,1]
	s_delay_alu instid0(VALU_DEP_2) | instskip(NEXT) | instid1(VALU_DEP_2)
	v_pk_mul_f32 v[132:133], v[146:147], v[144:145] op_sel:[0,1]
	v_pk_fma_f32 v[146:147], v[140:141], v[16:17], v[130:131] op_sel:[0,0,1] op_sel_hi:[1,0,0]
	v_pk_fma_f32 v[130:131], v[140:141], v[16:17], v[130:131] op_sel:[0,0,1] op_sel_hi:[1,1,0] neg_lo:[0,0,1] neg_hi:[0,0,1]
	s_delay_alu instid0(VALU_DEP_3) | instskip(SKIP_1) | instid1(VALU_DEP_4)
	v_pk_fma_f32 v[148:149], v[142:143], v[16:17], v[132:133] op_sel_hi:[1,0,1]
	v_pk_fma_f32 v[132:133], v[142:143], v[16:17], v[132:133] neg_lo:[0,0,1] neg_hi:[0,0,1]
	v_dual_mov_b32 v131, v147 :: v_dual_mov_b32 v17, v145
	s_delay_alu instid0(VALU_DEP_3) | instskip(NEXT) | instid1(VALU_DEP_2)
	v_mov_b32_e32 v133, v149
	v_pk_add_f32 v[14:15], v[14:15], v[130:131] neg_lo:[0,1] neg_hi:[0,1]
	s_delay_alu instid0(VALU_DEP_2)
	v_pk_add_f32 v[128:129], v[128:129], v[132:133] neg_lo:[0,1] neg_hi:[0,1]
.LBB122_1259:
	s_or_b32 exec_lo, exec_lo, s0
	v_lshl_add_u32 v130, v138, 3, v134
	s_barrier_signal -1
	s_barrier_wait -1
	ds_store_b64 v130, v[14:15]
	s_wait_dscnt 0x0
	s_barrier_signal -1
	s_barrier_wait -1
	ds_load_b64 v[130:131], v134 offset:480
	v_mov_b32_e32 v132, 60
	s_cmp_lt_i32 s18, 62
	s_cbranch_scc1 .LBB122_1262
; %bb.1260:
	v_add3_u32 v133, v135, 0, 0x1e8
	v_mov_b32_e32 v132, 60
	s_mov_b32 s0, 61
.LBB122_1261:                           ; =>This Inner Loop Header: Depth=1
	ds_load_b64 v[140:141], v133
	s_wait_dscnt 0x1
	v_cmp_gt_f32_e32 vcc_lo, 0, v130
	v_cndmask_b32_e64 v142, v130, -v130, vcc_lo
	v_cmp_gt_f32_e32 vcc_lo, 0, v131
	v_cndmask_b32_e64 v144, v131, -v131, vcc_lo
	s_wait_dscnt 0x0
	v_cmp_gt_f32_e32 vcc_lo, 0, v140
	v_cndmask_b32_e64 v143, v140, -v140, vcc_lo
	v_cmp_gt_f32_e32 vcc_lo, 0, v141
	v_cndmask_b32_e64 v145, v141, -v141, vcc_lo
	s_delay_alu instid0(VALU_DEP_1) | instskip(NEXT) | instid1(VALU_DEP_1)
	v_pk_add_f32 v[142:143], v[142:143], v[144:145]
	v_cmp_lt_f32_e32 vcc_lo, v142, v143
	v_dual_cndmask_b32 v130, v130, v140 :: v_dual_add_nc_u32 v133, 8, v133
	v_cndmask_b32_e32 v131, v131, v141, vcc_lo
	v_cndmask_b32_e64 v132, v132, s0, vcc_lo
	s_add_co_i32 s0, s0, 1
	s_delay_alu instid0(SALU_CYCLE_1)
	s_cmp_lg_u32 s18, s0
	s_cbranch_scc1 .LBB122_1261
.LBB122_1262:
	s_wait_dscnt 0x0
	v_cmp_eq_f32_e32 vcc_lo, 0, v130
	v_cmp_eq_f32_e64 s0, 0, v131
	s_and_b32 s0, vcc_lo, s0
	s_delay_alu instid0(SALU_CYCLE_1) | instskip(NEXT) | instid1(SALU_CYCLE_1)
	s_and_saveexec_b32 s1, s0
	s_xor_b32 s0, exec_lo, s1
; %bb.1263:
	v_cmp_ne_u32_e32 vcc_lo, 0, v136
	v_cndmask_b32_e32 v136, 61, v136, vcc_lo
; %bb.1264:
	s_and_not1_saveexec_b32 s0, s0
	s_cbranch_execz .LBB122_1270
; %bb.1265:
	v_cmp_ngt_f32_e64 s1, |v130|, |v131|
	s_and_saveexec_b32 s12, s1
	s_delay_alu instid0(SALU_CYCLE_1)
	s_xor_b32 s1, exec_lo, s12
	s_cbranch_execz .LBB122_1267
; %bb.1266:
	v_div_scale_f32 v133, null, v131, v131, v130
	v_div_scale_f32 v141, vcc_lo, v130, v131, v130
	s_delay_alu instid0(VALU_DEP_2) | instskip(SKIP_1) | instid1(TRANS32_DEP_1)
	v_rcp_f32_e32 v139, v133
	v_nop
	v_fma_f32 v140, -v133, v139, 1.0
	s_delay_alu instid0(VALU_DEP_1) | instskip(NEXT) | instid1(VALU_DEP_1)
	v_fmac_f32_e32 v139, v140, v139
	v_mul_f32_e32 v140, v141, v139
	s_delay_alu instid0(VALU_DEP_1) | instskip(NEXT) | instid1(VALU_DEP_1)
	v_fma_f32 v142, -v133, v140, v141
	v_fmac_f32_e32 v140, v142, v139
	s_delay_alu instid0(VALU_DEP_1) | instskip(NEXT) | instid1(VALU_DEP_1)
	v_fma_f32 v133, -v133, v140, v141
	v_div_fmas_f32 v133, v133, v139, v140
	s_delay_alu instid0(VALU_DEP_1) | instskip(NEXT) | instid1(VALU_DEP_1)
	v_div_fixup_f32 v133, v133, v131, v130
	v_fmac_f32_e32 v131, v130, v133
	s_delay_alu instid0(VALU_DEP_1) | instskip(SKIP_1) | instid1(VALU_DEP_2)
	v_div_scale_f32 v130, null, v131, v131, 1.0
	v_div_scale_f32 v141, vcc_lo, 1.0, v131, 1.0
	v_rcp_f32_e32 v139, v130
	v_nop
	s_delay_alu instid0(TRANS32_DEP_1) | instskip(NEXT) | instid1(VALU_DEP_1)
	v_fma_f32 v140, -v130, v139, 1.0
	v_fmac_f32_e32 v139, v140, v139
	s_delay_alu instid0(VALU_DEP_1) | instskip(NEXT) | instid1(VALU_DEP_1)
	v_mul_f32_e32 v140, v141, v139
	v_fma_f32 v142, -v130, v140, v141
	s_delay_alu instid0(VALU_DEP_1) | instskip(NEXT) | instid1(VALU_DEP_1)
	v_fmac_f32_e32 v140, v142, v139
	v_fma_f32 v130, -v130, v140, v141
	s_delay_alu instid0(VALU_DEP_1) | instskip(NEXT) | instid1(VALU_DEP_1)
	v_div_fmas_f32 v130, v130, v139, v140
	v_div_fixup_f32 v131, v130, v131, 1.0
	s_delay_alu instid0(VALU_DEP_1)
	v_mul_f32_e32 v130, v133, v131
	v_xor_b32_e32 v131, 0x80000000, v131
.LBB122_1267:
	s_and_not1_saveexec_b32 s1, s1
	s_cbranch_execz .LBB122_1269
; %bb.1268:
	s_delay_alu instid0(VALU_DEP_1) | instskip(SKIP_1) | instid1(VALU_DEP_2)
	v_div_scale_f32 v133, null, v130, v130, v131
	v_div_scale_f32 v141, vcc_lo, v131, v130, v131
	v_rcp_f32_e32 v139, v133
	v_nop
	s_delay_alu instid0(TRANS32_DEP_1) | instskip(NEXT) | instid1(VALU_DEP_1)
	v_fma_f32 v140, -v133, v139, 1.0
	v_fmac_f32_e32 v139, v140, v139
	s_delay_alu instid0(VALU_DEP_1) | instskip(NEXT) | instid1(VALU_DEP_1)
	v_mul_f32_e32 v140, v141, v139
	v_fma_f32 v142, -v133, v140, v141
	s_delay_alu instid0(VALU_DEP_1) | instskip(NEXT) | instid1(VALU_DEP_1)
	v_fmac_f32_e32 v140, v142, v139
	v_fma_f32 v133, -v133, v140, v141
	s_delay_alu instid0(VALU_DEP_1) | instskip(NEXT) | instid1(VALU_DEP_1)
	v_div_fmas_f32 v133, v133, v139, v140
	v_div_fixup_f32 v133, v133, v130, v131
	s_delay_alu instid0(VALU_DEP_1) | instskip(NEXT) | instid1(VALU_DEP_1)
	v_fmac_f32_e32 v130, v131, v133
	v_div_scale_f32 v131, null, v130, v130, 1.0
	s_delay_alu instid0(VALU_DEP_1) | instskip(SKIP_1) | instid1(TRANS32_DEP_1)
	v_rcp_f32_e32 v139, v131
	v_nop
	v_fma_f32 v140, -v131, v139, 1.0
	s_delay_alu instid0(VALU_DEP_1) | instskip(SKIP_1) | instid1(VALU_DEP_1)
	v_fmac_f32_e32 v139, v140, v139
	v_div_scale_f32 v140, vcc_lo, 1.0, v130, 1.0
	v_mul_f32_e32 v141, v140, v139
	s_delay_alu instid0(VALU_DEP_1) | instskip(NEXT) | instid1(VALU_DEP_1)
	v_fma_f32 v142, -v131, v141, v140
	v_fmac_f32_e32 v141, v142, v139
	s_delay_alu instid0(VALU_DEP_1) | instskip(NEXT) | instid1(VALU_DEP_1)
	v_fma_f32 v131, -v131, v141, v140
	v_div_fmas_f32 v131, v131, v139, v141
	s_delay_alu instid0(VALU_DEP_1) | instskip(NEXT) | instid1(VALU_DEP_1)
	v_div_fixup_f32 v130, v131, v130, 1.0
	v_mul_f32_e64 v131, v133, -v130
.LBB122_1269:
	s_or_b32 exec_lo, exec_lo, s1
.LBB122_1270:
	s_delay_alu instid0(SALU_CYCLE_1) | instskip(NEXT) | instid1(SALU_CYCLE_1)
	s_or_b32 exec_lo, exec_lo, s0
	s_mov_b32 s0, exec_lo
	v_cmpx_ne_u32_e64 v138, v132
	s_xor_b32 s0, exec_lo, s0
	s_cbranch_execz .LBB122_1276
; %bb.1271:
	s_mov_b32 s1, exec_lo
	v_cmpx_eq_u32_e32 60, v138
	s_cbranch_execz .LBB122_1275
; %bb.1272:
	v_cmp_ne_u32_e32 vcc_lo, 60, v132
	s_xor_b32 s12, s16, -1
	s_delay_alu instid0(SALU_CYCLE_1) | instskip(NEXT) | instid1(SALU_CYCLE_1)
	s_and_b32 s13, s12, vcc_lo
	s_and_saveexec_b32 s12, s13
	s_cbranch_execz .LBB122_1274
; %bb.1273:
	v_ashrrev_i32_e32 v133, 31, v132
	s_delay_alu instid0(VALU_DEP_1)
	v_lshl_add_u64 v[138:139], v[132:133], 2, v[4:5]
	s_clause 0x1
	global_load_b32 v133, v[138:139], off
	global_load_b32 v137, v[4:5], off offset:240
	s_wait_loadcnt 0x1
	global_store_b32 v[4:5], v133, off offset:240
	s_wait_loadcnt 0x0
	global_store_b32 v[138:139], v137, off
.LBB122_1274:
	s_wait_xcnt 0x0
	s_or_b32 exec_lo, exec_lo, s12
	v_dual_mov_b32 v138, v132 :: v_dual_mov_b32 v137, v132
.LBB122_1275:
	s_or_b32 exec_lo, exec_lo, s1
.LBB122_1276:
	s_and_not1_saveexec_b32 s0, s0
; %bb.1277:
	v_mov_b32_e32 v138, 60
	ds_store_b64 v134, v[128:129] offset:488
; %bb.1278:
	s_or_b32 exec_lo, exec_lo, s0
	s_delay_alu instid0(SALU_CYCLE_1)
	s_mov_b32 s0, exec_lo
	s_wait_storecnt_dscnt 0x0
	s_barrier_signal -1
	s_barrier_wait -1
	v_cmpx_lt_i32_e32 60, v138
	s_cbranch_execz .LBB122_1280
; %bb.1279:
	ds_load_b64 v[132:133], v134 offset:488
	v_pk_mul_f32 v[140:141], v[130:131], v[14:15] op_sel:[1,1] op_sel_hi:[0,1]
	s_delay_alu instid0(VALU_DEP_1) | instskip(SKIP_2) | instid1(VALU_DEP_2)
	v_pk_fma_f32 v[142:143], v[130:131], v[14:15], v[140:141] op_sel_hi:[1,0,1]
	v_pk_fma_f32 v[14:15], v[130:131], v[14:15], v[140:141] op_sel_hi:[1,0,1] neg_lo:[0,0,1] neg_hi:[0,0,1]
	s_wait_dscnt 0x0
	v_pk_mul_f32 v[130:131], v[132:133], v[142:143] op_sel:[1,1] op_sel_hi:[0,1]
	s_delay_alu instid0(VALU_DEP_1) | instskip(SKIP_1) | instid1(VALU_DEP_2)
	v_pk_fma_f32 v[140:141], v[132:133], v[14:15], v[130:131] op_sel_hi:[1,0,1]
	v_pk_fma_f32 v[130:131], v[132:133], v[14:15], v[130:131] neg_lo:[0,0,1] neg_hi:[0,0,1]
	v_dual_mov_b32 v15, v143 :: v_dual_mov_b32 v131, v141
	s_delay_alu instid0(VALU_DEP_1)
	v_pk_add_f32 v[128:129], v[128:129], v[130:131] neg_lo:[0,1] neg_hi:[0,1]
.LBB122_1280:
	s_or_b32 exec_lo, exec_lo, s0
	v_lshl_add_u32 v130, v138, 3, v134
	s_barrier_signal -1
	s_barrier_wait -1
	ds_store_b64 v130, v[128:129]
	s_wait_dscnt 0x0
	s_barrier_signal -1
	s_barrier_wait -1
	ds_load_b64 v[130:131], v134 offset:488
	v_mov_b32_e32 v132, 61
	s_cmp_lt_i32 s18, 63
	s_cbranch_scc1 .LBB122_1283
; %bb.1281:
	v_add3_u32 v133, v135, 0, 0x1f0
	v_mov_b32_e32 v132, 61
	s_mov_b32 s0, 62
.LBB122_1282:                           ; =>This Inner Loop Header: Depth=1
	ds_load_b64 v[134:135], v133
	s_wait_dscnt 0x1
	v_cmp_gt_f32_e32 vcc_lo, 0, v130
	v_cndmask_b32_e64 v140, v130, -v130, vcc_lo
	v_cmp_gt_f32_e32 vcc_lo, 0, v131
	v_cndmask_b32_e64 v142, v131, -v131, vcc_lo
	s_wait_dscnt 0x0
	v_cmp_gt_f32_e32 vcc_lo, 0, v134
	v_cndmask_b32_e64 v141, v134, -v134, vcc_lo
	v_cmp_gt_f32_e32 vcc_lo, 0, v135
	v_cndmask_b32_e64 v143, v135, -v135, vcc_lo
	s_delay_alu instid0(VALU_DEP_1) | instskip(NEXT) | instid1(VALU_DEP_1)
	v_pk_add_f32 v[140:141], v[140:141], v[142:143]
	v_cmp_lt_f32_e32 vcc_lo, v140, v141
	v_dual_add_nc_u32 v133, 8, v133 :: v_dual_cndmask_b32 v131, v131, v135, vcc_lo
	v_cndmask_b32_e32 v130, v130, v134, vcc_lo
	v_cndmask_b32_e64 v132, v132, s0, vcc_lo
	s_add_co_i32 s0, s0, 1
	s_delay_alu instid0(SALU_CYCLE_1)
	s_cmp_lg_u32 s18, s0
	s_cbranch_scc1 .LBB122_1282
.LBB122_1283:
	s_wait_dscnt 0x0
	v_cmp_eq_f32_e32 vcc_lo, 0, v130
	v_cmp_eq_f32_e64 s0, 0, v131
	s_and_b32 s0, vcc_lo, s0
	s_delay_alu instid0(SALU_CYCLE_1) | instskip(NEXT) | instid1(SALU_CYCLE_1)
	s_and_saveexec_b32 s1, s0
	s_xor_b32 s0, exec_lo, s1
; %bb.1284:
	v_cmp_ne_u32_e32 vcc_lo, 0, v136
	v_cndmask_b32_e32 v136, 62, v136, vcc_lo
; %bb.1285:
	s_and_not1_saveexec_b32 s0, s0
	s_cbranch_execz .LBB122_1291
; %bb.1286:
	v_cmp_ngt_f32_e64 s1, |v130|, |v131|
	s_and_saveexec_b32 s12, s1
	s_delay_alu instid0(SALU_CYCLE_1)
	s_xor_b32 s1, exec_lo, s12
	s_cbranch_execz .LBB122_1288
; %bb.1287:
	v_div_scale_f32 v133, null, v131, v131, v130
	v_div_scale_f32 v139, vcc_lo, v130, v131, v130
	s_delay_alu instid0(VALU_DEP_2) | instskip(SKIP_1) | instid1(TRANS32_DEP_1)
	v_rcp_f32_e32 v134, v133
	v_nop
	v_fma_f32 v135, -v133, v134, 1.0
	s_delay_alu instid0(VALU_DEP_1) | instskip(NEXT) | instid1(VALU_DEP_1)
	v_fmac_f32_e32 v134, v135, v134
	v_mul_f32_e32 v135, v139, v134
	s_delay_alu instid0(VALU_DEP_1) | instskip(NEXT) | instid1(VALU_DEP_1)
	v_fma_f32 v140, -v133, v135, v139
	v_fmac_f32_e32 v135, v140, v134
	s_delay_alu instid0(VALU_DEP_1) | instskip(NEXT) | instid1(VALU_DEP_1)
	v_fma_f32 v133, -v133, v135, v139
	v_div_fmas_f32 v133, v133, v134, v135
	s_delay_alu instid0(VALU_DEP_1) | instskip(NEXT) | instid1(VALU_DEP_1)
	v_div_fixup_f32 v133, v133, v131, v130
	v_fmac_f32_e32 v131, v130, v133
	s_delay_alu instid0(VALU_DEP_1) | instskip(SKIP_1) | instid1(VALU_DEP_2)
	v_div_scale_f32 v130, null, v131, v131, 1.0
	v_div_scale_f32 v139, vcc_lo, 1.0, v131, 1.0
	v_rcp_f32_e32 v134, v130
	v_nop
	s_delay_alu instid0(TRANS32_DEP_1) | instskip(NEXT) | instid1(VALU_DEP_1)
	v_fma_f32 v135, -v130, v134, 1.0
	v_fmac_f32_e32 v134, v135, v134
	s_delay_alu instid0(VALU_DEP_1) | instskip(NEXT) | instid1(VALU_DEP_1)
	v_mul_f32_e32 v135, v139, v134
	v_fma_f32 v140, -v130, v135, v139
	s_delay_alu instid0(VALU_DEP_1) | instskip(NEXT) | instid1(VALU_DEP_1)
	v_fmac_f32_e32 v135, v140, v134
	v_fma_f32 v130, -v130, v135, v139
	s_delay_alu instid0(VALU_DEP_1) | instskip(NEXT) | instid1(VALU_DEP_1)
	v_div_fmas_f32 v130, v130, v134, v135
	v_div_fixup_f32 v131, v130, v131, 1.0
	s_delay_alu instid0(VALU_DEP_1)
	v_mul_f32_e32 v130, v133, v131
	v_xor_b32_e32 v131, 0x80000000, v131
.LBB122_1288:
	s_and_not1_saveexec_b32 s1, s1
	s_cbranch_execz .LBB122_1290
; %bb.1289:
	s_delay_alu instid0(VALU_DEP_1) | instskip(SKIP_1) | instid1(VALU_DEP_2)
	v_div_scale_f32 v133, null, v130, v130, v131
	v_div_scale_f32 v139, vcc_lo, v131, v130, v131
	v_rcp_f32_e32 v134, v133
	v_nop
	s_delay_alu instid0(TRANS32_DEP_1) | instskip(NEXT) | instid1(VALU_DEP_1)
	v_fma_f32 v135, -v133, v134, 1.0
	v_fmac_f32_e32 v134, v135, v134
	s_delay_alu instid0(VALU_DEP_1) | instskip(NEXT) | instid1(VALU_DEP_1)
	v_mul_f32_e32 v135, v139, v134
	v_fma_f32 v140, -v133, v135, v139
	s_delay_alu instid0(VALU_DEP_1) | instskip(NEXT) | instid1(VALU_DEP_1)
	v_fmac_f32_e32 v135, v140, v134
	v_fma_f32 v133, -v133, v135, v139
	s_delay_alu instid0(VALU_DEP_1) | instskip(NEXT) | instid1(VALU_DEP_1)
	v_div_fmas_f32 v133, v133, v134, v135
	v_div_fixup_f32 v133, v133, v130, v131
	s_delay_alu instid0(VALU_DEP_1) | instskip(NEXT) | instid1(VALU_DEP_1)
	v_fmac_f32_e32 v130, v131, v133
	v_div_scale_f32 v131, null, v130, v130, 1.0
	s_delay_alu instid0(VALU_DEP_1) | instskip(SKIP_1) | instid1(TRANS32_DEP_1)
	v_rcp_f32_e32 v134, v131
	v_nop
	v_fma_f32 v135, -v131, v134, 1.0
	s_delay_alu instid0(VALU_DEP_1) | instskip(SKIP_1) | instid1(VALU_DEP_1)
	v_fmac_f32_e32 v134, v135, v134
	v_div_scale_f32 v135, vcc_lo, 1.0, v130, 1.0
	v_mul_f32_e32 v139, v135, v134
	s_delay_alu instid0(VALU_DEP_1) | instskip(NEXT) | instid1(VALU_DEP_1)
	v_fma_f32 v140, -v131, v139, v135
	v_fmac_f32_e32 v139, v140, v134
	s_delay_alu instid0(VALU_DEP_1) | instskip(NEXT) | instid1(VALU_DEP_1)
	v_fma_f32 v131, -v131, v139, v135
	v_div_fmas_f32 v131, v131, v134, v139
	s_delay_alu instid0(VALU_DEP_1) | instskip(NEXT) | instid1(VALU_DEP_1)
	v_div_fixup_f32 v130, v131, v130, 1.0
	v_mul_f32_e64 v131, v133, -v130
.LBB122_1290:
	s_or_b32 exec_lo, exec_lo, s1
.LBB122_1291:
	s_delay_alu instid0(SALU_CYCLE_1)
	s_or_b32 exec_lo, exec_lo, s0
	v_mov_b32_e32 v134, 61
	s_mov_b32 s0, exec_lo
	v_cmpx_ne_u32_e64 v138, v132
	s_cbranch_execz .LBB122_1297
; %bb.1292:
	s_mov_b32 s1, exec_lo
	v_cmpx_eq_u32_e32 61, v138
	s_cbranch_execz .LBB122_1296
; %bb.1293:
	v_cmp_ne_u32_e32 vcc_lo, 61, v132
	s_xor_b32 s12, s16, -1
	s_delay_alu instid0(SALU_CYCLE_1) | instskip(NEXT) | instid1(SALU_CYCLE_1)
	s_and_b32 s13, s12, vcc_lo
	s_and_saveexec_b32 s12, s13
	s_cbranch_execz .LBB122_1295
; %bb.1294:
	v_ashrrev_i32_e32 v133, 31, v132
	s_delay_alu instid0(VALU_DEP_1)
	v_lshl_add_u64 v[134:135], v[132:133], 2, v[4:5]
	s_clause 0x1
	global_load_b32 v133, v[134:135], off
	global_load_b32 v137, v[4:5], off offset:244
	s_wait_loadcnt 0x1
	global_store_b32 v[4:5], v133, off offset:244
	s_wait_loadcnt 0x0
	global_store_b32 v[134:135], v137, off
.LBB122_1295:
	s_wait_xcnt 0x0
	s_or_b32 exec_lo, exec_lo, s12
	v_dual_mov_b32 v138, v132 :: v_dual_mov_b32 v137, v132
.LBB122_1296:
	s_or_b32 exec_lo, exec_lo, s1
	s_delay_alu instid0(VALU_DEP_1)
	v_mov_b32_e32 v134, v138
.LBB122_1297:
	s_or_b32 exec_lo, exec_lo, s0
	s_delay_alu instid0(VALU_DEP_1)
	v_ashrrev_i32_e32 v135, 31, v134
	s_mov_b32 s0, exec_lo
	s_wait_storecnt 0x0
	s_barrier_signal -1
	s_barrier_wait -1
	s_barrier_signal -1
	s_barrier_wait -1
	v_cmpx_gt_i32_e32 62, v134
	s_cbranch_execz .LBB122_1299
; %bb.1298:
	v_mul_u64_e32 v[4:5], s[10:11], v[2:3]
	v_add3_u32 v132, v137, s17, 1
	s_delay_alu instid0(VALU_DEP_2) | instskip(NEXT) | instid1(VALU_DEP_1)
	v_lshl_add_u64 v[4:5], v[4:5], 2, s[6:7]
	v_lshl_add_u64 v[4:5], s[8:9], 2, v[4:5]
	s_delay_alu instid0(VALU_DEP_1)
	v_lshl_add_u64 v[4:5], v[134:135], 2, v[4:5]
	global_store_b32 v[4:5], v132, off
.LBB122_1299:
	s_wait_xcnt 0x0
	s_or_b32 exec_lo, exec_lo, s0
	s_delay_alu instid0(SALU_CYCLE_1)
	s_mov_b32 s1, exec_lo
	v_cmpx_eq_u32_e32 0, v134
	s_cbranch_execz .LBB122_1302
; %bb.1300:
	s_wait_kmcnt 0x0
	v_lshl_add_u64 v[2:3], v[2:3], 2, s[4:5]
	v_cmp_ne_u32_e64 s0, 0, v136
	global_load_b32 v4, v[2:3], off
	s_wait_loadcnt 0x0
	v_cmp_eq_u32_e32 vcc_lo, 0, v4
	s_and_b32 s0, vcc_lo, s0
	s_wait_xcnt 0x0
	s_and_b32 exec_lo, exec_lo, s0
	s_cbranch_execz .LBB122_1302
; %bb.1301:
	v_add_nc_u32_e32 v4, s17, v136
	global_store_b32 v[2:3], v4, off
.LBB122_1302:
	s_wait_xcnt 0x0
	s_or_b32 exec_lo, exec_lo, s1
	v_add3_u32 v4, s2, s2, v134
	v_pk_mul_f32 v[2:3], v[130:131], v[128:129] op_sel:[1,1] op_sel_hi:[0,1]
	v_cmp_lt_i32_e32 vcc_lo, 61, v134
	v_lshl_add_u64 v[134:135], v[134:135], 3, v[0:1]
	s_delay_alu instid0(VALU_DEP_4) | instskip(NEXT) | instid1(VALU_DEP_4)
	v_add_nc_u32_e32 v132, s2, v4
	v_pk_fma_f32 v[154:155], v[130:131], v[128:129], v[2:3] op_sel_hi:[1,0,1]
	v_pk_fma_f32 v[2:3], v[130:131], v[128:129], v[2:3] neg_lo:[0,0,1] neg_hi:[0,0,1]
	global_store_b64 v[134:135], v[126:127], off
	s_wait_xcnt 0x0
	v_lshl_add_u64 v[126:127], s[2:3], 3, v[134:135]
	v_dual_cndmask_b32 v3, v129, v155 :: v_dual_add_nc_u32 v136, s2, v132
	v_dual_cndmask_b32 v2, v128, v2 :: v_dual_ashrrev_i32 v5, 31, v4
	global_store_b64 v[126:127], v[124:125], off
	v_add_nc_u32_e32 v138, s2, v136
	v_lshl_add_u64 v[4:5], v[4:5], 3, v[0:1]
	s_delay_alu instid0(VALU_DEP_2) | instskip(SKIP_2) | instid1(VALU_DEP_1)
	v_add_nc_u32_e32 v140, s2, v138
	global_store_b64 v[4:5], v[122:123], off
	v_add_nc_u32_e32 v142, s2, v140
	v_add_nc_u32_e32 v144, s2, v142
	s_delay_alu instid0(VALU_DEP_1) | instskip(SKIP_1) | instid1(VALU_DEP_2)
	v_add_nc_u32_e32 v146, s2, v144
	v_ashrrev_i32_e32 v141, 31, v140
	v_dual_ashrrev_i32 v145, 31, v144 :: v_dual_add_nc_u32 v148, s2, v146
	v_dual_ashrrev_i32 v137, 31, v136 :: v_dual_ashrrev_i32 v139, 31, v138
	s_delay_alu instid0(VALU_DEP_2) | instskip(NEXT) | instid1(VALU_DEP_1)
	v_dual_ashrrev_i32 v147, 31, v146 :: v_dual_add_nc_u32 v150, s2, v148
	v_add_nc_u32_e32 v152, s2, v150
	v_ashrrev_i32_e32 v143, 31, v142
	s_delay_alu instid0(VALU_DEP_2) | instskip(NEXT) | instid1(VALU_DEP_1)
	v_dual_ashrrev_i32 v151, 31, v150 :: v_dual_add_nc_u32 v130, s2, v152
	v_add_nc_u32_e32 v128, s2, v130
	s_delay_alu instid0(VALU_DEP_1) | instskip(NEXT) | instid1(VALU_DEP_1)
	v_add_nc_u32_e32 v154, s2, v128
	v_dual_add_nc_u32 v134, s2, v154 :: v_dual_ashrrev_i32 v153, 31, v152
	v_ashrrev_i32_e32 v131, 31, v130
	s_wait_xcnt 0x1
	s_delay_alu instid0(VALU_DEP_2) | instskip(SKIP_1) | instid1(VALU_DEP_2)
	v_add_nc_u32_e32 v124, s2, v134
	v_ashrrev_i32_e32 v155, 31, v154
	v_dual_ashrrev_i32 v135, 31, v134 :: v_dual_add_nc_u32 v126, s2, v124
	s_wait_xcnt 0x0
	s_delay_alu instid0(VALU_DEP_1) | instskip(NEXT) | instid1(VALU_DEP_1)
	v_dual_ashrrev_i32 v133, 31, v132 :: v_dual_add_nc_u32 v4, s2, v126
	v_lshl_add_u64 v[122:123], v[132:133], 3, v[0:1]
	s_delay_alu instid0(VALU_DEP_2)
	v_add_nc_u32_e32 v132, s2, v4
	global_store_b64 v[122:123], v[120:121], off
	s_wait_xcnt 0x0
	v_lshl_add_u64 v[120:121], v[136:137], 3, v[0:1]
	v_lshl_add_u64 v[136:137], v[138:139], 3, v[0:1]
	v_lshl_add_u64 v[138:139], v[140:141], 3, v[0:1]
	v_add_nc_u32_e32 v122, s2, v132
	v_lshl_add_u64 v[140:141], v[142:143], 3, v[0:1]
	global_store_b64 v[120:121], v[118:119], off
	v_lshl_add_u64 v[142:143], v[144:145], 3, v[0:1]
	s_clause 0x3
	global_store_b64 v[136:137], v[92:93], off
	global_store_b64 v[138:139], v[94:95], off
	;; [unrolled: 1-line block ×4, first 2 shown]
	s_wait_xcnt 0x4
	v_add_nc_u32_e32 v118, s2, v122
	s_wait_xcnt 0x2
	v_lshl_add_u64 v[94:95], v[146:147], 3, v[0:1]
	v_lshl_add_u64 v[136:137], v[150:151], 3, v[0:1]
	;; [unrolled: 1-line block ×3, first 2 shown]
	v_dual_ashrrev_i32 v5, 31, v4 :: v_dual_ashrrev_i32 v119, 31, v118
	v_dual_add_nc_u32 v120, s2, v118 :: v_dual_ashrrev_i32 v125, 31, v124
	v_dual_ashrrev_i32 v123, 31, v122 :: v_dual_ashrrev_i32 v133, 31, v132
	s_delay_alu instid0(VALU_DEP_3) | instskip(NEXT) | instid1(VALU_DEP_3)
	v_lshl_add_u64 v[4:5], v[4:5], 3, v[0:1]
	v_dual_add_nc_u32 v144, s2, v120 :: v_dual_ashrrev_i32 v127, 31, v126
	s_wait_xcnt 0x1
	s_delay_alu instid0(VALU_DEP_1) | instskip(SKIP_1) | instid1(VALU_DEP_2)
	v_add_nc_u32_e32 v90, s2, v144
	v_ashrrev_i32_e32 v149, 31, v148
	v_dual_ashrrev_i32 v145, 31, v144 :: v_dual_add_nc_u32 v92, s2, v90
	s_wait_xcnt 0x0
	s_delay_alu instid0(VALU_DEP_2)
	v_lshl_add_u64 v[116:117], v[148:149], 3, v[0:1]
	s_clause 0x3
	global_store_b64 v[94:95], v[84:85], off
	global_store_b64 v[116:117], v[88:89], off
	global_store_b64 v[136:137], v[82:83], off
	global_store_b64 v[138:139], v[114:115], off
	v_add_nc_u32_e32 v140, s2, v92
	s_wait_xcnt 0x2
	v_lshl_add_u64 v[88:89], v[130:131], 3, v[0:1]
	s_wait_xcnt 0x0
	v_lshl_add_u64 v[114:115], v[154:155], 3, v[0:1]
	v_lshl_add_u64 v[116:117], v[134:135], 3, v[0:1]
	v_dual_ashrrev_i32 v91, 31, v90 :: v_dual_add_nc_u32 v82, s2, v140
	v_ashrrev_i32_e32 v129, 31, v128
	v_ashrrev_i32_e32 v121, 31, v120
	s_delay_alu instid0(VALU_DEP_3) | instskip(NEXT) | instid1(VALU_DEP_3)
	v_dual_ashrrev_i32 v141, 31, v140 :: v_dual_add_nc_u32 v84, s2, v82
	v_lshl_add_u64 v[94:95], v[128:129], 3, v[0:1]
	s_clause 0x3
	global_store_b64 v[88:89], v[78:79], off
	global_store_b64 v[94:95], v[80:81], off
	;; [unrolled: 1-line block ×4, first 2 shown]
	v_add_nc_u32_e32 v128, s2, v84
	s_wait_xcnt 0x2
	v_lshl_add_u64 v[80:81], v[124:125], 3, v[0:1]
	v_lshl_add_u64 v[88:89], v[126:127], 3, v[0:1]
	v_lshl_add_u64 v[94:95], v[132:133], 3, v[0:1]
	s_clause 0x3
	global_store_b64 v[80:81], v[72:73], off
	global_store_b64 v[88:89], v[74:75], off
	;; [unrolled: 1-line block ×4, first 2 shown]
	s_wait_xcnt 0x5
	v_add_nc_u32_e32 v76, s2, v128
	s_wait_xcnt 0x3
	v_lshl_add_u64 v[72:73], v[122:123], 3, v[0:1]
	s_wait_xcnt 0x2
	v_lshl_add_u64 v[74:75], v[118:119], 3, v[0:1]
	v_ashrrev_i32_e32 v83, 31, v82
	v_lshl_add_u64 v[80:81], v[120:121], 3, v[0:1]
	v_add_nc_u32_e32 v78, s2, v76
	v_lshl_add_u64 v[88:89], v[144:145], 3, v[0:1]
	s_clause 0x3
	global_store_b64 v[72:73], v[66:67], off
	global_store_b64 v[74:75], v[68:69], off
	;; [unrolled: 1-line block ×4, first 2 shown]
	s_wait_xcnt 0x1
	v_lshl_add_u64 v[80:81], v[82:83], 3, v[0:1]
	v_add_nc_u32_e32 v112, s2, v78
	v_lshl_add_u64 v[74:75], v[140:141], 3, v[0:1]
	v_ashrrev_i32_e32 v77, 31, v76
	v_ashrrev_i32_e32 v129, 31, v128
	v_lshl_add_u64 v[68:69], v[90:91], 3, v[0:1]
	v_add_nc_u32_e32 v4, s2, v112
	s_delay_alu instid0(VALU_DEP_1) | instskip(NEXT) | instid1(VALU_DEP_1)
	v_add_nc_u32_e32 v70, s2, v4
	v_dual_add_nc_u32 v94, s2, v70 :: v_dual_ashrrev_i32 v85, 31, v84
	s_delay_alu instid0(VALU_DEP_1) | instskip(SKIP_1) | instid1(VALU_DEP_2)
	v_dual_ashrrev_i32 v95, 31, v94 :: v_dual_add_nc_u32 v64, s2, v94
	v_dual_ashrrev_i32 v93, 31, v92 :: v_dual_ashrrev_i32 v79, 31, v78
	v_add_nc_u32_e32 v66, s2, v64
	s_delay_alu instid0(VALU_DEP_2)
	v_lshl_add_u64 v[72:73], v[92:93], 3, v[0:1]
	s_clause 0x3
	global_store_b64 v[68:69], v[60:61], off
	global_store_b64 v[72:73], v[62:63], off
	;; [unrolled: 1-line block ×4, first 2 shown]
	v_add_nc_u32_e32 v82, s2, v66
	s_wait_xcnt 0x2
	v_lshl_add_u64 v[62:63], v[84:85], 3, v[0:1]
	v_lshl_add_u64 v[72:73], v[76:77], 3, v[0:1]
	;; [unrolled: 1-line block ×3, first 2 shown]
	s_wait_xcnt 0x1
	v_lshl_add_u64 v[74:75], v[78:79], 3, v[0:1]
	v_add_nc_u32_e32 v58, s2, v82
	s_clause 0x3
	global_store_b64 v[62:63], v[54:55], off
	global_store_b64 v[68:69], v[56:57], off
	;; [unrolled: 1-line block ×4, first 2 shown]
	v_dual_ashrrev_i32 v71, 31, v70 :: v_dual_ashrrev_i32 v113, 31, v112
	v_ashrrev_i32_e32 v67, 31, v66
	v_dual_add_nc_u32 v60, s2, v58 :: v_dual_ashrrev_i32 v5, 31, v4
	v_ashrrev_i32_e32 v83, 31, v82
	s_wait_xcnt 0x2
	v_lshl_add_u64 v[56:57], v[112:113], 3, v[0:1]
	v_lshl_add_u64 v[62:63], v[70:71], 3, v[0:1]
	v_dual_add_nc_u32 v76, s2, v60 :: v_dual_ashrrev_i32 v59, 31, v58
	v_lshl_add_u64 v[4:5], v[4:5], 3, v[0:1]
	v_lshl_add_u64 v[68:69], v[94:95], 3, v[0:1]
	s_clause 0x3
	global_store_b64 v[56:57], v[48:49], off
	global_store_b64 v[4:5], v[50:51], off
	;; [unrolled: 1-line block ×4, first 2 shown]
	s_wait_xcnt 0x5
	v_add_nc_u32_e32 v52, s2, v76
	s_wait_xcnt 0x2
	v_lshl_add_u64 v[50:51], v[66:67], 3, v[0:1]
	v_lshl_add_u64 v[56:57], v[82:83], 3, v[0:1]
	;; [unrolled: 1-line block ×3, first 2 shown]
	v_add_nc_u32_e32 v54, s2, v52
	v_ashrrev_i32_e32 v61, 31, v60
	s_delay_alu instid0(VALU_DEP_2) | instskip(SKIP_1) | instid1(VALU_DEP_2)
	v_dual_ashrrev_i32 v53, 31, v52 :: v_dual_add_nc_u32 v70, s2, v54
	v_ashrrev_i32_e32 v55, 31, v54
	v_dual_add_nc_u32 v4, s2, v70 :: v_dual_ashrrev_i32 v71, 31, v70
	s_wait_xcnt 0x1
	s_delay_alu instid0(VALU_DEP_1) | instskip(NEXT) | instid1(VALU_DEP_1)
	v_add_nc_u32_e32 v46, s2, v4
	v_dual_ashrrev_i32 v65, 31, v64 :: v_dual_add_nc_u32 v62, s2, v46
	s_delay_alu instid0(VALU_DEP_1)
	v_lshl_add_u64 v[48:49], v[64:65], 3, v[0:1]
	s_clause 0x3
	global_store_b64 v[48:49], v[40:41], off
	global_store_b64 v[50:51], v[42:43], off
	;; [unrolled: 1-line block ×4, first 2 shown]
	s_wait_xcnt 0x1
	v_dual_add_nc_u32 v38, s2, v62 :: v_dual_ashrrev_i32 v77, 31, v76
	v_lshl_add_u64 v[42:43], v[60:61], 3, v[0:1]
	v_lshl_add_u64 v[50:51], v[52:53], 3, v[0:1]
	;; [unrolled: 1-line block ×3, first 2 shown]
	s_delay_alu instid0(VALU_DEP_4)
	v_add_nc_u32_e32 v40, s2, v38
	v_lshl_add_u64 v[48:49], v[76:77], 3, v[0:1]
	s_clause 0x3
	global_store_b64 v[42:43], v[32:33], off
	global_store_b64 v[48:49], v[34:35], off
	;; [unrolled: 1-line block ×4, first 2 shown]
	v_add_nc_u32_e32 v54, s2, v40
	v_dual_ashrrev_i32 v5, 31, v4 :: v_dual_ashrrev_i32 v47, 31, v46
	s_wait_xcnt 0x2
	v_lshl_add_u64 v[34:35], v[70:71], 3, v[0:1]
	v_dual_ashrrev_i32 v39, 31, v38 :: v_dual_ashrrev_i32 v41, 31, v40
	s_wait_xcnt 0x1
	v_add_nc_u32_e32 v30, s2, v54
	v_lshl_add_u64 v[4:5], v[4:5], 3, v[0:1]
	v_lshl_add_u64 v[42:43], v[46:47], 3, v[0:1]
	s_delay_alu instid0(VALU_DEP_3) | instskip(NEXT) | instid1(VALU_DEP_1)
	v_add_nc_u32_e32 v32, s2, v30
	v_dual_ashrrev_i32 v63, 31, v62 :: v_dual_add_nc_u32 v48, s2, v32
	s_delay_alu instid0(VALU_DEP_1)
	v_lshl_add_u64 v[46:47], v[62:63], 3, v[0:1]
	s_clause 0x3
	global_store_b64 v[34:35], v[24:25], off
	global_store_b64 v[4:5], v[28:29], off
	;; [unrolled: 1-line block ×4, first 2 shown]
	s_wait_xcnt 0x3
	v_lshl_add_u64 v[24:25], v[38:39], 3, v[0:1]
	s_wait_xcnt 0x2
	v_dual_add_nc_u32 v4, s2, v48 :: v_dual_ashrrev_i32 v55, 31, v54
	v_dual_ashrrev_i32 v31, 31, v30 :: v_dual_ashrrev_i32 v33, 31, v32
	v_lshl_add_u64 v[28:29], v[40:41], 3, v[0:1]
	s_wait_xcnt 0x1
	s_delay_alu instid0(VALU_DEP_3)
	v_add_nc_u32_e32 v22, s2, v4
	v_lshl_add_u64 v[34:35], v[54:55], 3, v[0:1]
	v_lshl_add_u64 v[30:31], v[30:31], 3, v[0:1]
	s_clause 0x3
	global_store_b64 v[24:25], v[18:19], off
	global_store_b64 v[28:29], v[20:21], off
	;; [unrolled: 1-line block ×4, first 2 shown]
	v_dual_add_nc_u32 v38, s2, v22 :: v_dual_ashrrev_i32 v49, 31, v48
	v_ashrrev_i32_e32 v5, 31, v4
	s_wait_xcnt 0x3
	v_lshl_add_u64 v[24:25], v[32:33], 3, v[0:1]
	s_delay_alu instid0(VALU_DEP_3) | instskip(SKIP_3) | instid1(VALU_DEP_3)
	v_add_nc_u32_e32 v18, s2, v38
	s_wait_xcnt 0x2
	v_lshl_add_u64 v[28:29], v[48:49], 3, v[0:1]
	v_lshl_add_u64 v[4:5], v[4:5], 3, v[0:1]
	v_dual_add_nc_u32 v20, s2, v18 :: v_dual_ashrrev_i32 v19, 31, v18
	s_wait_xcnt 0x0
	s_delay_alu instid0(VALU_DEP_1) | instskip(SKIP_1) | instid1(VALU_DEP_2)
	v_dual_ashrrev_i32 v23, 31, v22 :: v_dual_add_nc_u32 v30, s2, v20
	v_ashrrev_i32_e32 v21, 31, v20
	v_lshl_add_u64 v[22:23], v[22:23], 3, v[0:1]
	s_clause 0x3
	global_store_b64 v[24:25], v[10:11], off
	global_store_b64 v[28:29], v[12:13], off
	;; [unrolled: 1-line block ×4, first 2 shown]
	s_wait_xcnt 0x1
	v_add_nc_u32_e32 v4, s2, v30
	v_ashrrev_i32_e32 v39, 31, v38
	v_ashrrev_i32_e32 v31, 31, v30
	v_lshl_add_u64 v[10:11], v[18:19], 3, v[0:1]
	v_lshl_add_u64 v[12:13], v[20:21], 3, v[0:1]
	v_ashrrev_i32_e32 v5, 31, v4
	v_lshl_add_u64 v[8:9], v[38:39], 3, v[0:1]
	v_lshl_add_u64 v[18:19], v[30:31], 3, v[0:1]
	s_delay_alu instid0(VALU_DEP_3)
	v_lshl_add_u64 v[0:1], v[4:5], 3, v[0:1]
	s_clause 0x4
	global_store_b64 v[8:9], v[6:7], off
	global_store_b64 v[10:11], v[26:27], off
	;; [unrolled: 1-line block ×5, first 2 shown]
.LBB122_1303:
	s_sendmsg sendmsg(MSG_DEALLOC_VGPRS)
	s_endpgm
	.section	.rodata,"a",@progbits
	.p2align	6, 0x0
	.amdhsa_kernel _ZN9rocsolver6v33100L18getf2_small_kernelILi62E19rocblas_complex_numIfEiiPS3_EEvT1_T3_lS5_lPS5_llPT2_S5_S5_S7_l
		.amdhsa_group_segment_fixed_size 0
		.amdhsa_private_segment_fixed_size 0
		.amdhsa_kernarg_size 352
		.amdhsa_user_sgpr_count 2
		.amdhsa_user_sgpr_dispatch_ptr 0
		.amdhsa_user_sgpr_queue_ptr 0
		.amdhsa_user_sgpr_kernarg_segment_ptr 1
		.amdhsa_user_sgpr_dispatch_id 0
		.amdhsa_user_sgpr_kernarg_preload_length 0
		.amdhsa_user_sgpr_kernarg_preload_offset 0
		.amdhsa_user_sgpr_private_segment_size 0
		.amdhsa_wavefront_size32 1
		.amdhsa_uses_dynamic_stack 0
		.amdhsa_enable_private_segment 0
		.amdhsa_system_sgpr_workgroup_id_x 1
		.amdhsa_system_sgpr_workgroup_id_y 1
		.amdhsa_system_sgpr_workgroup_id_z 0
		.amdhsa_system_sgpr_workgroup_info 0
		.amdhsa_system_vgpr_workitem_id 1
		.amdhsa_next_free_vgpr 160
		.amdhsa_next_free_sgpr 19
		.amdhsa_named_barrier_count 0
		.amdhsa_reserve_vcc 1
		.amdhsa_float_round_mode_32 0
		.amdhsa_float_round_mode_16_64 0
		.amdhsa_float_denorm_mode_32 3
		.amdhsa_float_denorm_mode_16_64 3
		.amdhsa_fp16_overflow 0
		.amdhsa_memory_ordered 1
		.amdhsa_forward_progress 1
		.amdhsa_inst_pref_size 255
		.amdhsa_round_robin_scheduling 0
		.amdhsa_exception_fp_ieee_invalid_op 0
		.amdhsa_exception_fp_denorm_src 0
		.amdhsa_exception_fp_ieee_div_zero 0
		.amdhsa_exception_fp_ieee_overflow 0
		.amdhsa_exception_fp_ieee_underflow 0
		.amdhsa_exception_fp_ieee_inexact 0
		.amdhsa_exception_int_div_zero 0
	.end_amdhsa_kernel
	.section	.text._ZN9rocsolver6v33100L18getf2_small_kernelILi62E19rocblas_complex_numIfEiiPS3_EEvT1_T3_lS5_lPS5_llPT2_S5_S5_S7_l,"axG",@progbits,_ZN9rocsolver6v33100L18getf2_small_kernelILi62E19rocblas_complex_numIfEiiPS3_EEvT1_T3_lS5_lPS5_llPT2_S5_S5_S7_l,comdat
.Lfunc_end122:
	.size	_ZN9rocsolver6v33100L18getf2_small_kernelILi62E19rocblas_complex_numIfEiiPS3_EEvT1_T3_lS5_lPS5_llPT2_S5_S5_S7_l, .Lfunc_end122-_ZN9rocsolver6v33100L18getf2_small_kernelILi62E19rocblas_complex_numIfEiiPS3_EEvT1_T3_lS5_lPS5_llPT2_S5_S5_S7_l
                                        ; -- End function
	.set _ZN9rocsolver6v33100L18getf2_small_kernelILi62E19rocblas_complex_numIfEiiPS3_EEvT1_T3_lS5_lPS5_llPT2_S5_S5_S7_l.num_vgpr, 160
	.set _ZN9rocsolver6v33100L18getf2_small_kernelILi62E19rocblas_complex_numIfEiiPS3_EEvT1_T3_lS5_lPS5_llPT2_S5_S5_S7_l.num_agpr, 0
	.set _ZN9rocsolver6v33100L18getf2_small_kernelILi62E19rocblas_complex_numIfEiiPS3_EEvT1_T3_lS5_lPS5_llPT2_S5_S5_S7_l.numbered_sgpr, 19
	.set _ZN9rocsolver6v33100L18getf2_small_kernelILi62E19rocblas_complex_numIfEiiPS3_EEvT1_T3_lS5_lPS5_llPT2_S5_S5_S7_l.num_named_barrier, 0
	.set _ZN9rocsolver6v33100L18getf2_small_kernelILi62E19rocblas_complex_numIfEiiPS3_EEvT1_T3_lS5_lPS5_llPT2_S5_S5_S7_l.private_seg_size, 0
	.set _ZN9rocsolver6v33100L18getf2_small_kernelILi62E19rocblas_complex_numIfEiiPS3_EEvT1_T3_lS5_lPS5_llPT2_S5_S5_S7_l.uses_vcc, 1
	.set _ZN9rocsolver6v33100L18getf2_small_kernelILi62E19rocblas_complex_numIfEiiPS3_EEvT1_T3_lS5_lPS5_llPT2_S5_S5_S7_l.uses_flat_scratch, 0
	.set _ZN9rocsolver6v33100L18getf2_small_kernelILi62E19rocblas_complex_numIfEiiPS3_EEvT1_T3_lS5_lPS5_llPT2_S5_S5_S7_l.has_dyn_sized_stack, 0
	.set _ZN9rocsolver6v33100L18getf2_small_kernelILi62E19rocblas_complex_numIfEiiPS3_EEvT1_T3_lS5_lPS5_llPT2_S5_S5_S7_l.has_recursion, 0
	.set _ZN9rocsolver6v33100L18getf2_small_kernelILi62E19rocblas_complex_numIfEiiPS3_EEvT1_T3_lS5_lPS5_llPT2_S5_S5_S7_l.has_indirect_call, 0
	.section	.AMDGPU.csdata,"",@progbits
; Kernel info:
; codeLenInByte = 171464
; TotalNumSgprs: 21
; NumVgprs: 160
; ScratchSize: 0
; MemoryBound: 0
; FloatMode: 240
; IeeeMode: 1
; LDSByteSize: 0 bytes/workgroup (compile time only)
; SGPRBlocks: 0
; VGPRBlocks: 9
; NumSGPRsForWavesPerEU: 21
; NumVGPRsForWavesPerEU: 160
; NamedBarCnt: 0
; Occupancy: 6
; WaveLimiterHint : 0
; COMPUTE_PGM_RSRC2:SCRATCH_EN: 0
; COMPUTE_PGM_RSRC2:USER_SGPR: 2
; COMPUTE_PGM_RSRC2:TRAP_HANDLER: 0
; COMPUTE_PGM_RSRC2:TGID_X_EN: 1
; COMPUTE_PGM_RSRC2:TGID_Y_EN: 1
; COMPUTE_PGM_RSRC2:TGID_Z_EN: 0
; COMPUTE_PGM_RSRC2:TIDIG_COMP_CNT: 1
	.section	.text._ZN9rocsolver6v33100L23getf2_npvt_small_kernelILi62E19rocblas_complex_numIfEiiPS3_EEvT1_T3_lS5_lPT2_S5_S5_,"axG",@progbits,_ZN9rocsolver6v33100L23getf2_npvt_small_kernelILi62E19rocblas_complex_numIfEiiPS3_EEvT1_T3_lS5_lPT2_S5_S5_,comdat
	.globl	_ZN9rocsolver6v33100L23getf2_npvt_small_kernelILi62E19rocblas_complex_numIfEiiPS3_EEvT1_T3_lS5_lPT2_S5_S5_ ; -- Begin function _ZN9rocsolver6v33100L23getf2_npvt_small_kernelILi62E19rocblas_complex_numIfEiiPS3_EEvT1_T3_lS5_lPT2_S5_S5_
	.p2align	8
	.type	_ZN9rocsolver6v33100L23getf2_npvt_small_kernelILi62E19rocblas_complex_numIfEiiPS3_EEvT1_T3_lS5_lPT2_S5_S5_,@function
_ZN9rocsolver6v33100L23getf2_npvt_small_kernelILi62E19rocblas_complex_numIfEiiPS3_EEvT1_T3_lS5_lPT2_S5_S5_: ; @_ZN9rocsolver6v33100L23getf2_npvt_small_kernelILi62E19rocblas_complex_numIfEiiPS3_EEvT1_T3_lS5_lPT2_S5_S5_
; %bb.0:
	s_clause 0x1
	s_load_u16 s13, s[0:1], 0x46
	s_load_b64 s[2:3], s[0:1], 0x30
	s_bfe_u32 s4, ttmp6, 0x40010
	s_bfe_u32 s5, ttmp6, 0x40004
	s_add_co_i32 s4, s4, 1
	s_getreg_b32 s6, hwreg(HW_REG_IB_STS2, 6, 4)
	s_mul_i32 s4, ttmp7, s4
	v_bfe_u32 v1, v0, 10, 10
	s_add_co_i32 s5, s5, s4
	s_cmp_eq_u32 s6, 0
	s_cselect_b32 s4, ttmp7, s5
	s_wait_kmcnt 0x0
	v_mad_u32 v26, s4, s13, v1
	s_delay_alu instid0(VALU_DEP_1)
	v_cmp_gt_i32_e32 vcc_lo, s2, v26
	s_and_saveexec_b32 s2, vcc_lo
	s_cbranch_execnz .LBB123_1
; %bb.562:
	s_add_pc_i64 .LBB123_561-.Lpost_addpc15
.Lpost_addpc15:
.LBB123_1:
	s_clause 0x1
	s_load_b32 s12, s[0:1], 0x18
	s_load_b128 s[8:11], s[0:1], 0x8
	v_and_b32_e32 v234, 0x3ff, v0
	s_load_b128 s[4:7], s[0:1], 0x20
	s_mulk_i32 s13, 0x1f0
	v_mad_u32_u24 v236, 0x1f0, v1, 0
	v_ashrrev_i32_e32 v27, 31, v26
	s_wait_xcnt 0x0
	v_cmp_ne_u32_e64 s1, 0, v234
	v_cmp_eq_u32_e64 s0, 0, v234
	v_dual_mov_b32 v37, 0 :: v_dual_lshlrev_b32 v3, 3, v1
	s_delay_alu instid0(VALU_DEP_1) | instskip(SKIP_4) | instid1(VALU_DEP_2)
	v_add3_u32 v235, 0, s13, v3
	s_wait_kmcnt 0x0
	v_add3_u32 v30, s12, s12, v234
	s_ashr_i32 s13, s12, 31
	v_mul_u64_e32 v[16:17], s[4:5], v[26:27]
	v_add_nc_u32_e32 v20, s12, v30
	s_delay_alu instid0(VALU_DEP_1) | instskip(NEXT) | instid1(VALU_DEP_1)
	v_add_nc_u32_e32 v22, s12, v20
	v_add_nc_u32_e32 v24, s12, v22
	s_delay_alu instid0(VALU_DEP_1) | instskip(SKIP_1) | instid1(VALU_DEP_2)
	v_add_nc_u32_e32 v28, s12, v24
	v_ashrrev_i32_e32 v21, 31, v20
	v_dual_add_nc_u32 v14, s12, v28 :: v_dual_ashrrev_i32 v29, 31, v28
	s_delay_alu instid0(VALU_DEP_1) | instskip(SKIP_1) | instid1(VALU_DEP_2)
	v_dual_ashrrev_i32 v25, 31, v24 :: v_dual_add_nc_u32 v18, s12, v14
	v_ashrrev_i32_e32 v23, 31, v22
	v_add_nc_u32_e32 v12, s12, v18
	v_lshl_add_u64 v[16:17], v[16:17], 3, s[8:9]
	s_delay_alu instid0(VALU_DEP_2) | instskip(NEXT) | instid1(VALU_DEP_2)
	v_add_nc_u32_e32 v8, s12, v12
	v_lshl_add_u64 v[68:69], s[10:11], 3, v[16:17]
	s_delay_alu instid0(VALU_DEP_2) | instskip(SKIP_1) | instid1(VALU_DEP_3)
	v_dual_add_nc_u32 v0, s12, v8 :: v_dual_ashrrev_i32 v15, 31, v14
	v_ashrrev_i32_e32 v13, 31, v12
	v_lshl_add_u64 v[38:39], v[20:21], 3, v[68:69]
	v_lshl_add_u64 v[22:23], v[22:23], 3, v[68:69]
	s_delay_alu instid0(VALU_DEP_4)
	v_add_nc_u32_e32 v4, s12, v0
	v_lshl_add_u64 v[14:15], v[14:15], 3, v[68:69]
	v_lshl_add_u64 v[40:41], v[12:13], 3, v[68:69]
	global_load_b64 v[46:47], v[38:39], off
	v_lshl_add_u64 v[20:21], v[24:25], 3, v[68:69]
	v_add_nc_u32_e32 v2, s12, v4
	v_lshl_add_u64 v[24:25], v[28:29], 3, v[68:69]
	global_load_b64 v[28:29], v[22:23], off
	v_ashrrev_i32_e32 v9, 31, v8
	scratch_store_b64 off, v[20:21], off    ; 8-byte Folded Spill
	v_dual_add_nc_u32 v6, s12, v2 :: v_dual_ashrrev_i32 v5, 31, v4
	v_ashrrev_i32_e32 v1, 31, v0
	v_lshl_add_u64 v[60:61], v[8:9], 3, v[68:69]
	scratch_store_b64 off, v[40:41], off offset:56 ; 8-byte Folded Spill
	v_add_nc_u32_e32 v10, s12, v6
	v_lshl_add_u64 v[62:63], v[4:5], 3, v[68:69]
	v_ashrrev_i32_e32 v7, 31, v6
	s_delay_alu instid0(VALU_DEP_3) | instskip(SKIP_4) | instid1(VALU_DEP_2)
	v_dual_add_nc_u32 v32, s12, v10 :: v_dual_ashrrev_i32 v11, 31, v10
	scratch_store_b64 off, v[62:63], off offset:80 ; 8-byte Folded Spill
	global_load_b64 v[66:67], v[62:63], off
	v_dual_add_nc_u32 v34, s12, v32 :: v_dual_ashrrev_i32 v33, 31, v32
	v_lshl_add_u64 v[10:11], v[10:11], 3, v[68:69]
	v_add_nc_u32_e32 v44, s12, v34
	v_lshlrev_b32_e32 v36, 3, v234
	s_delay_alu instid0(VALU_DEP_4)
	v_lshl_add_u64 v[74:75], v[32:33], 3, v[68:69]
	v_ashrrev_i32_e32 v35, 31, v34
	scratch_store_b64 off, v[10:11], off offset:112 ; 8-byte Folded Spill
	v_add_nc_u32_e32 v50, s12, v44
	v_add_nc_u64_e32 v[16:17], v[68:69], v[36:37]
	v_ashrrev_i32_e32 v45, 31, v44
	v_lshl_add_u64 v[34:35], v[34:35], 3, v[68:69]
	global_load_b64 v[82:83], v[74:75], off
	v_add_nc_u32_e32 v52, s12, v50
	v_ashrrev_i32_e32 v31, 31, v30
	v_ashrrev_i32_e32 v51, 31, v50
	v_lshl_add_u64 v[42:43], s[12:13], 3, v[16:17]
	v_lshl_add_u64 v[44:45], v[44:45], 3, v[68:69]
	v_add_nc_u32_e32 v54, s12, v52
	v_lshl_add_u64 v[36:37], v[30:31], 3, v[68:69]
	v_ashrrev_i32_e32 v53, 31, v52
	s_clause 0x1
	scratch_store_b64 off, v[24:25], off offset:8
	scratch_store_b64 off, v[14:15], off offset:24
	v_add_nc_u32_e32 v70, s12, v54
	global_load_b64 v[56:57], v[42:43], off
	v_lshl_add_u64 v[52:53], v[52:53], 3, v[68:69]
	scratch_store_b64 off, v[36:37], off offset:16 ; 8-byte Folded Spill
	global_load_b64 v[24:25], v[24:25], off
	v_add_nc_u32_e32 v30, s12, v70
	v_lshl_add_u64 v[50:51], v[50:51], 3, v[68:69]
	s_clause 0x1
	global_load_b64 v[98:99], v[52:53], off
	global_load_b64 v[48:49], v[36:37], off
	s_wait_xcnt 0x0
	v_lshl_add_u64 v[36:37], v[0:1], 3, v[68:69]
	v_add_nc_u32_e32 v72, s12, v30
	v_ashrrev_i32_e32 v19, 31, v18
	scratch_store_b64 off, v[60:61], off offset:64 ; 8-byte Folded Spill
	v_ashrrev_i32_e32 v55, 31, v54
	s_clause 0x1
	scratch_store_b64 off, v[36:37], off offset:72
	scratch_store_b64 off, v[42:43], off offset:88
	v_add_nc_u32_e32 v12, s12, v72
	v_lshl_add_u64 v[18:19], v[18:19], 3, v[68:69]
	s_clause 0x1
	scratch_store_b64 off, v[22:23], off offset:48
	scratch_store_b64 off, v[38:39], off offset:40
	s_clause 0x4
	global_load_b64 v[22:23], v[20:21], off
	global_load_b64 v[36:37], v[36:37], off
	;; [unrolled: 1-line block ×5, first 2 shown]
	s_wait_xcnt 0x0
	v_add_nc_u32_e32 v14, s12, v12
	scratch_store_b64 off, v[18:19], off offset:32 ; 8-byte Folded Spill
	v_dual_ashrrev_i32 v71, 31, v70 :: v_dual_ashrrev_i32 v13, 31, v12
	v_dual_ashrrev_i32 v73, 31, v72 :: v_dual_add_nc_u32 v8, s12, v14
	v_ashrrev_i32_e32 v3, 31, v2
	v_ashrrev_i32_e32 v15, 31, v14
	s_clause 0x3
	scratch_store_b64 off, v[34:35], off offset:128
	scratch_store_b64 off, v[44:45], off offset:136
	;; [unrolled: 1-line block ×4, first 2 shown]
	v_dual_add_nc_u32 v0, s12, v8 :: v_dual_ashrrev_i32 v9, 31, v8
	v_lshl_add_u64 v[14:15], v[14:15], 3, v[68:69]
	v_ashrrev_i32_e32 v31, 31, v30
	v_lshl_add_u64 v[72:73], v[72:73], 3, v[68:69]
	s_delay_alu instid0(VALU_DEP_4)
	v_add_nc_u32_e32 v4, s12, v0
	s_wait_xcnt 0x0
	v_lshl_add_u64 v[52:53], v[12:13], 3, v[68:69]
	global_load_b64 v[112:113], v[14:15], off
	v_lshl_add_u64 v[18:19], v[2:3], 3, v[68:69]
	s_clause 0x1
	global_load_b64 v[80:81], v[44:45], off
	global_load_b64 v[78:79], v[34:35], off
	v_add_nc_u32_e32 v2, s12, v4
	s_clause 0x4
	global_load_b64 v[38:39], v[40:41], off
	global_load_b64 v[76:77], v[50:51], off
	;; [unrolled: 1-line block ×5, first 2 shown]
	s_wait_xcnt 0x3
	v_lshl_add_u64 v[50:51], v[54:55], 3, v[68:69]
	v_lshl_add_u64 v[54:55], v[70:71], 3, v[68:69]
	;; [unrolled: 1-line block ×3, first 2 shown]
	global_load_b64 v[40:41], v[60:61], off
	v_lshl_add_u64 v[8:9], v[8:9], 3, v[68:69]
	s_clause 0x3
	scratch_store_b64 off, v[50:51], off offset:160
	scratch_store_b64 off, v[54:55], off offset:168
	;; [unrolled: 1-line block ×4, first 2 shown]
	global_load_b64 v[92:93], v[70:71], off
	s_wait_xcnt 0x5
	v_lshl_add_u64 v[60:61], v[6:7], 3, v[68:69]
	v_add_nc_u32_e32 v6, s12, v2
	s_clause 0x1
	scratch_store_b64 off, v[18:19], off offset:96
	scratch_store_b64 off, v[74:75], off offset:120
	global_load_b64 v[108:109], v[8:9], off
	scratch_store_b64 off, v[60:61], off offset:104 ; 8-byte Folded Spill
	s_clause 0x1
	global_load_b64 v[64:65], v[60:61], off
	global_load_b64 v[60:61], v[10:11], off
	s_wait_xcnt 0x0
	v_add_nc_u32_e32 v10, s12, v6
	global_load_b64 v[94:95], v[50:51], off
	v_dual_ashrrev_i32 v3, 31, v2 :: v_dual_ashrrev_i32 v1, 31, v0
	s_clause 0x1
	scratch_store_b64 off, v[52:53], off offset:192
	scratch_store_b64 off, v[14:15], off offset:200
	v_add_nc_u32_e32 v18, s12, v10
	s_wait_xcnt 0x1
	v_lshl_add_u64 v[52:53], v[2:3], 3, v[68:69]
	global_load_b64 v[96:97], v[54:55], off
	v_dual_ashrrev_i32 v5, 31, v4 :: v_dual_add_nc_u32 v32, s12, v18
	global_load_b64 v[128:129], v[52:53], off
	s_wait_xcnt 0x1
	v_lshl_add_u64 v[54:55], v[0:1], 3, v[68:69]
	scratch_store_b64 off, v[8:9], off offset:208 ; 8-byte Folded Spill
	v_dual_ashrrev_i32 v19, 31, v18 :: v_dual_ashrrev_i32 v33, 31, v32
	v_dual_add_nc_u32 v34, s12, v32 :: v_dual_ashrrev_i32 v7, 31, v6
	global_load_b64 v[130:131], v[54:55], off
	v_lshl_add_u64 v[18:19], v[18:19], 3, v[68:69]
	v_lshl_add_u64 v[32:33], v[32:33], 3, v[68:69]
	v_dual_add_nc_u32 v44, s12, v34 :: v_dual_ashrrev_i32 v35, 31, v34
	v_lshl_add_u64 v[6:7], v[6:7], 3, v[68:69]
	s_clause 0x1
	scratch_store_b64 off, v[18:19], off offset:256
	scratch_store_b64 off, v[54:55], off offset:216
	v_dual_ashrrev_i32 v45, 31, v44 :: v_dual_add_nc_u32 v30, s12, v44
	global_load_b64 v[124:125], v[6:7], off
	v_lshl_add_u64 v[34:35], v[34:35], 3, v[68:69]
	scratch_store_b64 off, v[32:33], off offset:264 ; 8-byte Folded Spill
	v_lshl_add_u64 v[44:45], v[44:45], 3, v[68:69]
	v_ashrrev_i32_e32 v11, 31, v10
	scratch_store_b64 off, v[52:53], off offset:232 ; 8-byte Folded Spill
	s_clause 0x3
	global_load_b64 v[142:143], v[18:19], off
	global_load_b64 v[144:145], v[32:33], off
	;; [unrolled: 1-line block ×4, first 2 shown]
	v_add_nc_u32_e32 v50, s12, v30
	v_lshl_add_u64 v[70:71], v[10:11], 3, v[68:69]
	s_clause 0x2
	scratch_store_b64 off, v[6:7], off offset:240
	scratch_store_b64 off, v[34:35], off offset:272
	;; [unrolled: 1-line block ×3, first 2 shown]
	v_add_nc_u32_e32 v12, s12, v50
	global_load_b64 v[146:147], v[70:71], off
	scratch_store_b64 off, v[70:71], off offset:248 ; 8-byte Folded Spill
	v_add_nc_u32_e32 v0, s12, v12
	s_wait_xcnt 0xf
	s_delay_alu instid0(VALU_DEP_1) | instskip(SKIP_2) | instid1(VALU_DEP_3)
	v_dual_add_nc_u32 v8, s12, v0 :: v_dual_ashrrev_i32 v31, 31, v30
	v_ashrrev_i32_e32 v13, 31, v12
	v_ashrrev_i32_e32 v1, 31, v0
	;; [unrolled: 1-line block ×3, first 2 shown]
	s_wait_xcnt 0x7
	v_lshl_add_u64 v[32:33], v[30:31], 3, v[68:69]
	v_lshl_add_u64 v[12:13], v[12:13], 3, v[68:69]
	s_clause 0x1
	global_load_b64 v[158:159], v[32:33], off
	global_load_b64 v[156:157], v[12:13], off
	v_lshl_add_u64 v[14:15], v[4:5], 3, v[68:69]
	v_dual_add_nc_u32 v4, s12, v8 :: v_dual_ashrrev_i32 v51, 31, v50
	scratch_store_b64 off, v[14:15], off offset:224 ; 8-byte Folded Spill
	v_dual_ashrrev_i32 v5, 31, v4 :: v_dual_add_nc_u32 v2, s12, v4
	global_load_b64 v[126:127], v[14:15], off
	s_wait_xcnt 0x7
	v_lshl_add_u64 v[34:35], v[50:51], 3, v[68:69]
	v_lshl_add_u64 v[50:51], v[0:1], 3, v[68:69]
	;; [unrolled: 1-line block ×3, first 2 shown]
	s_clause 0x3
	scratch_store_b64 off, v[32:33], off offset:288
	scratch_store_b64 off, v[12:13], off offset:304
	;; [unrolled: 1-line block ×4, first 2 shown]
	global_load_b64 v[176:177], v[4:5], off
	v_add_nc_u32_e32 v6, s12, v2
	global_load_b64 v[160:161], v[34:35], off
	v_ashrrev_i32_e32 v3, 31, v2
	global_load_b64 v[178:179], v[50:51], off
	v_add_nc_u32_e32 v10, s12, v6
	s_wait_xcnt 0x1
	v_lshl_add_u64 v[34:35], v[2:3], 3, v[68:69]
	scratch_store_b64 off, v[4:5], off offset:328 ; 8-byte Folded Spill
	v_add_nc_u32_e32 v14, s12, v10
	global_load_b64 v[172:173], v[34:35], off
	v_add_nc_u32_e32 v18, s12, v14
	s_delay_alu instid0(VALU_DEP_1) | instskip(NEXT) | instid1(VALU_DEP_1)
	v_dual_add_nc_u32 v30, s12, v18 :: v_dual_ashrrev_i32 v19, 31, v18
	v_dual_add_nc_u32 v0, s12, v30 :: v_dual_ashrrev_i32 v31, 31, v30
	s_delay_alu instid0(VALU_DEP_2) | instskip(NEXT) | instid1(VALU_DEP_2)
	v_lshl_add_u64 v[18:19], v[18:19], 3, v[68:69]
	v_dual_ashrrev_i32 v11, 31, v10 :: v_dual_ashrrev_i32 v1, 31, v0
	v_add_nc_u32_e32 v12, s12, v0
	s_delay_alu instid0(VALU_DEP_4)
	v_lshl_add_u64 v[30:31], v[30:31], 3, v[68:69]
	global_load_b64 v[188:189], v[18:19], off
	v_ashrrev_i32_e32 v15, 31, v14
	scratch_store_b64 off, v[18:19], off offset:368 ; 8-byte Folded Spill
	v_ashrrev_i32_e32 v13, 31, v12
	global_load_b64 v[210:211], v[30:31], off
	v_lshl_add_u64 v[32:33], v[8:9], 3, v[68:69]
	v_add_nc_u32_e32 v8, s12, v12
	v_lshl_add_u64 v[14:15], v[14:15], 3, v[68:69]
	v_lshl_add_u64 v[12:13], v[12:13], 3, v[68:69]
	s_wait_xcnt 0x1
	v_lshl_add_u64 v[18:19], v[0:1], 3, v[68:69]
	scratch_store_b64 off, v[32:33], off offset:320 ; 8-byte Folded Spill
	v_add_nc_u32_e32 v2, s12, v8
	global_load_b64 v[174:175], v[32:33], off
	s_wait_xcnt 0x0
	v_lshl_add_u64 v[32:33], v[10:11], 3, v[68:69]
	s_clause 0x1
	scratch_store_b64 off, v[14:15], off offset:360
	scratch_store_b64 off, v[30:31], off offset:376
	v_add_nc_u32_e32 v4, s12, v2
	v_ashrrev_i32_e32 v7, 31, v6
	global_load_b64 v[190:191], v[32:33], off
	scratch_store_b64 off, v[32:33], off offset:352 ; 8-byte Folded Spill
	s_clause 0x1
	global_load_b64 v[192:193], v[14:15], off
	global_load_b64 v[208:209], v[12:13], off
	v_lshl_add_u64 v[44:45], v[6:7], 3, v[68:69]
	v_dual_add_nc_u32 v6, s12, v4 :: v_dual_ashrrev_i32 v5, 31, v4
	v_ashrrev_i32_e32 v9, 31, v8
	scratch_store_b64 off, v[18:19], off offset:384 ; 8-byte Folded Spill
	global_load_b64 v[206:207], v[18:19], off
	v_dual_add_nc_u32 v10, s12, v6 :: v_dual_ashrrev_i32 v7, 31, v6
	v_lshl_add_u64 v[8:9], v[8:9], 3, v[68:69]
	scratch_store_b64 off, v[12:13], off offset:392 ; 8-byte Folded Spill
	global_load_b64 v[194:195], v[44:45], off
	s_wait_xcnt 0x5
	v_add_nc_u32_e32 v14, s12, v10
	s_clause 0x1
	scratch_store_b64 off, v[34:35], off offset:336
	scratch_store_b64 off, v[44:45], off offset:344
	global_load_b64 v[204:205], v[8:9], off
	v_dual_add_nc_u32 v0, s12, v14 :: v_dual_ashrrev_i32 v15, 31, v14
	s_delay_alu instid0(VALU_DEP_1) | instskip(NEXT) | instid1(VALU_DEP_2)
	v_dual_ashrrev_i32 v11, 31, v10 :: v_dual_ashrrev_i32 v1, 31, v0
	v_lshl_add_u64 v[14:15], v[14:15], 3, v[68:69]
	s_delay_alu instid0(VALU_DEP_2)
	v_lshl_add_u64 v[10:11], v[10:11], 3, v[68:69]
	s_clause 0x1
	global_load_b64 v[244:245], v[14:15], off
	global_load_b64 v[222:223], v[10:11], off
	s_wait_xcnt 0x6
	v_lshl_add_u64 v[12:13], v[4:5], 3, v[68:69]
	v_ashrrev_i32_e32 v3, 31, v2
	v_lshl_add_u64 v[18:19], v[6:7], 3, v[68:69]
	s_clause 0x2
	scratch_store_b64 off, v[10:11], off offset:432
	scratch_store_b64 off, v[14:15], off offset:440
	scratch_store_b64 off, v[12:13], off offset:416
	s_clause 0x1
	global_load_b64 v[224:225], v[12:13], off
	global_load_b64 v[226:227], v[18:19], off
	v_lshl_add_u64 v[32:33], v[2:3], 3, v[68:69]
	v_add_nc_u32_e32 v2, s12, v0
	s_clause 0x1
	scratch_store_b64 off, v[8:9], off offset:400
	scratch_store_b64 off, v[18:19], off offset:424
	s_wait_xcnt 0x6
	v_lshl_add_u64 v[10:11], v[0:1], 3, v[68:69]
	global_load_b64 v[228:229], v[32:33], off
	s_wait_xcnt 0x2
	v_dual_add_nc_u32 v8, s12, v2 :: v_dual_ashrrev_i32 v3, 31, v2
	scratch_store_b64 off, v[32:33], off offset:408 ; 8-byte Folded Spill
	global_load_b64 v[240:241], v[10:11], off
	v_add_nc_u32_e32 v4, s12, v8
	v_lshl_add_u64 v[2:3], v[2:3], 3, v[68:69]
	s_delay_alu instid0(VALU_DEP_2)
	v_add_nc_u32_e32 v6, s12, v4
	v_ashrrev_i32_e32 v9, 31, v8
	v_ashrrev_i32_e32 v5, 31, v4
	global_load_b64 v[242:243], v[2:3], off
	v_ashrrev_i32_e32 v7, 31, v6
	v_lshl_add_u64 v[8:9], v[8:9], 3, v[68:69]
	v_lshl_add_u64 v[4:5], v[4:5], 3, v[68:69]
	scratch_store_b64 off, v[2:3], off offset:464 ; 8-byte Folded Spill
	v_lshl_add_u64 v[0:1], v[6:7], 3, v[68:69]
	s_clause 0x1
	global_load_b64 v[238:239], v[8:9], off
	global_load_b64 v[246:247], v[4:5], off
	s_clause 0x2
	scratch_store_b64 off, v[10:11], off offset:456
	scratch_store_b64 off, v[8:9], off offset:472
	;; [unrolled: 1-line block ×3, first 2 shown]
	global_load_b64 v[248:249], v[0:1], off
	scratch_store_b64 off, v[4:5], off offset:480 ; 8-byte Folded Spill
	s_wait_xcnt 0x0
	s_and_saveexec_b32 s4, s0
	s_cbranch_execz .LBB123_8
; %bb.2:
	s_wait_loadcnt 0x33
	ds_store_b64 v235, v[58:59]
	ds_store_2addr_b64 v236, v[56:57], v[48:49] offset0:1 offset1:2
	ds_store_2addr_b64 v236, v[46:47], v[28:29] offset0:3 offset1:4
	;; [unrolled: 1-line block ×3, first 2 shown]
	s_wait_loadcnt 0x31
	ds_store_2addr_b64 v236, v[20:21], v[42:43] offset0:7 offset1:8
	s_wait_loadcnt 0x28
	ds_store_2addr_b64 v236, v[38:39], v[40:41] offset0:9 offset1:10
	ds_store_2addr_b64 v236, v[36:37], v[66:67] offset0:11 offset1:12
	s_wait_loadcnt 0x25
	ds_store_2addr_b64 v236, v[62:63], v[64:65] offset0:13 offset1:14
	s_wait_loadcnt 0x24
	ds_store_2addr_b64 v236, v[60:61], v[82:83] offset0:15 offset1:16
	ds_store_2addr_b64 v236, v[78:79], v[80:81] offset0:17 offset1:18
	ds_store_2addr_b64 v236, v[76:77], v[98:99] offset0:19 offset1:20
	s_wait_loadcnt 0x22
	ds_store_2addr_b64 v236, v[94:95], v[96:97] offset0:21 offset1:22
	ds_store_2addr_b64 v236, v[92:93], v[114:115] offset0:23 offset1:24
	;; [unrolled: 1-line block ×3, first 2 shown]
	s_wait_loadcnt 0x20
	ds_store_2addr_b64 v236, v[108:109], v[130:131] offset0:27 offset1:28
	s_wait_loadcnt 0x17
	ds_store_2addr_b64 v236, v[126:127], v[128:129] offset0:29 offset1:30
	ds_store_2addr_b64 v236, v[124:125], v[146:147] offset0:31 offset1:32
	;; [unrolled: 1-line block ×4, first 2 shown]
	s_wait_loadcnt 0x15
	ds_store_2addr_b64 v236, v[158:159], v[160:161] offset0:37 offset1:38
	s_wait_loadcnt 0x14
	ds_store_2addr_b64 v236, v[156:157], v[178:179] offset0:39 offset1:40
	;; [unrolled: 2-line block ×4, first 2 shown]
	ds_store_2addr_b64 v236, v[190:191], v[192:193] offset0:45 offset1:46
	ds_store_2addr_b64 v236, v[188:189], v[210:211] offset0:47 offset1:48
	;; [unrolled: 1-line block ×3, first 2 shown]
	s_wait_loadcnt 0x5
	ds_store_2addr_b64 v236, v[204:205], v[228:229] offset0:51 offset1:52
	ds_store_2addr_b64 v236, v[224:225], v[226:227] offset0:53 offset1:54
	;; [unrolled: 1-line block ×3, first 2 shown]
	s_wait_loadcnt 0x3
	ds_store_2addr_b64 v236, v[240:241], v[242:243] offset0:57 offset1:58
	s_wait_loadcnt 0x1
	ds_store_2addr_b64 v236, v[238:239], v[246:247] offset0:59 offset1:60
	s_wait_loadcnt 0x0
	ds_store_b64 v236, v[248:249] offset:488
	ds_load_b64 v[0:1], v235
	s_wait_dscnt 0x0
	v_cmp_neq_f32_e32 vcc_lo, 0, v0
	v_cmp_neq_f32_e64 s2, 0, v1
	s_or_b32 s2, vcc_lo, s2
	s_delay_alu instid0(SALU_CYCLE_1)
	s_and_b32 exec_lo, exec_lo, s2
	s_cbranch_execz .LBB123_8
; %bb.3:
	v_cmp_ngt_f32_e64 s2, |v0|, |v1|
                                        ; implicit-def: $vgpr2_vgpr3
	s_and_saveexec_b32 s5, s2
	s_delay_alu instid0(SALU_CYCLE_1)
	s_xor_b32 s2, exec_lo, s5
	s_cbranch_execz .LBB123_5
; %bb.4:
	v_div_scale_f32 v2, null, v1, v1, v0
	v_div_scale_f32 v5, vcc_lo, v0, v1, v0
	s_delay_alu instid0(VALU_DEP_2) | instskip(SKIP_1) | instid1(TRANS32_DEP_1)
	v_rcp_f32_e32 v3, v2
	v_nop
	v_fma_f32 v4, -v2, v3, 1.0
	s_delay_alu instid0(VALU_DEP_1) | instskip(NEXT) | instid1(VALU_DEP_1)
	v_fmac_f32_e32 v3, v4, v3
	v_mul_f32_e32 v4, v5, v3
	s_delay_alu instid0(VALU_DEP_1) | instskip(NEXT) | instid1(VALU_DEP_1)
	v_fma_f32 v6, -v2, v4, v5
	v_fmac_f32_e32 v4, v6, v3
	s_delay_alu instid0(VALU_DEP_1) | instskip(NEXT) | instid1(VALU_DEP_1)
	v_fma_f32 v2, -v2, v4, v5
	v_div_fmas_f32 v2, v2, v3, v4
	s_delay_alu instid0(VALU_DEP_1) | instskip(NEXT) | instid1(VALU_DEP_1)
	v_div_fixup_f32 v2, v2, v1, v0
	v_fmac_f32_e32 v1, v0, v2
	s_delay_alu instid0(VALU_DEP_1) | instskip(SKIP_1) | instid1(VALU_DEP_2)
	v_div_scale_f32 v0, null, v1, v1, 1.0
	v_div_scale_f32 v5, vcc_lo, 1.0, v1, 1.0
	v_rcp_f32_e32 v3, v0
	v_nop
	s_delay_alu instid0(TRANS32_DEP_1) | instskip(NEXT) | instid1(VALU_DEP_1)
	v_fma_f32 v4, -v0, v3, 1.0
	v_fmac_f32_e32 v3, v4, v3
	s_delay_alu instid0(VALU_DEP_1) | instskip(NEXT) | instid1(VALU_DEP_1)
	v_mul_f32_e32 v4, v5, v3
	v_fma_f32 v6, -v0, v4, v5
	s_delay_alu instid0(VALU_DEP_1) | instskip(NEXT) | instid1(VALU_DEP_1)
	v_fmac_f32_e32 v4, v6, v3
	v_fma_f32 v0, -v0, v4, v5
	s_delay_alu instid0(VALU_DEP_1) | instskip(NEXT) | instid1(VALU_DEP_1)
	v_div_fmas_f32 v0, v0, v3, v4
	v_div_fixup_f32 v0, v0, v1, 1.0
	s_delay_alu instid0(VALU_DEP_1)
	v_mul_f32_e32 v2, v2, v0
	v_xor_b32_e32 v3, 0x80000000, v0
                                        ; implicit-def: $vgpr0_vgpr1
.LBB123_5:
	s_and_not1_saveexec_b32 s2, s2
	s_cbranch_execz .LBB123_7
; %bb.6:
	v_div_scale_f32 v2, null, v0, v0, v1
	v_div_scale_f32 v5, vcc_lo, v1, v0, v1
	s_delay_alu instid0(VALU_DEP_2) | instskip(SKIP_1) | instid1(TRANS32_DEP_1)
	v_rcp_f32_e32 v3, v2
	v_nop
	v_fma_f32 v4, -v2, v3, 1.0
	s_delay_alu instid0(VALU_DEP_1) | instskip(NEXT) | instid1(VALU_DEP_1)
	v_fmac_f32_e32 v3, v4, v3
	v_mul_f32_e32 v4, v5, v3
	s_delay_alu instid0(VALU_DEP_1) | instskip(NEXT) | instid1(VALU_DEP_1)
	v_fma_f32 v6, -v2, v4, v5
	v_fmac_f32_e32 v4, v6, v3
	s_delay_alu instid0(VALU_DEP_1) | instskip(NEXT) | instid1(VALU_DEP_1)
	v_fma_f32 v2, -v2, v4, v5
	v_div_fmas_f32 v2, v2, v3, v4
	s_delay_alu instid0(VALU_DEP_1) | instskip(NEXT) | instid1(VALU_DEP_1)
	v_div_fixup_f32 v3, v2, v0, v1
	v_fmac_f32_e32 v0, v1, v3
	s_delay_alu instid0(VALU_DEP_1) | instskip(NEXT) | instid1(VALU_DEP_1)
	v_div_scale_f32 v1, null, v0, v0, 1.0
	v_rcp_f32_e32 v2, v1
	v_nop
	s_delay_alu instid0(TRANS32_DEP_1) | instskip(NEXT) | instid1(VALU_DEP_1)
	v_fma_f32 v4, -v1, v2, 1.0
	v_fmac_f32_e32 v2, v4, v2
	v_div_scale_f32 v4, vcc_lo, 1.0, v0, 1.0
	s_delay_alu instid0(VALU_DEP_1) | instskip(NEXT) | instid1(VALU_DEP_1)
	v_mul_f32_e32 v5, v4, v2
	v_fma_f32 v6, -v1, v5, v4
	s_delay_alu instid0(VALU_DEP_1) | instskip(NEXT) | instid1(VALU_DEP_1)
	v_fmac_f32_e32 v5, v6, v2
	v_fma_f32 v1, -v1, v5, v4
	s_delay_alu instid0(VALU_DEP_1) | instskip(NEXT) | instid1(VALU_DEP_1)
	v_div_fmas_f32 v1, v1, v2, v5
	v_div_fixup_f32 v2, v1, v0, 1.0
	s_delay_alu instid0(VALU_DEP_1)
	v_mul_f32_e64 v3, v3, -v2
.LBB123_7:
	s_or_b32 exec_lo, exec_lo, s2
	ds_store_b64 v235, v[2:3]
.LBB123_8:
	s_or_b32 exec_lo, exec_lo, s4
	s_wait_storecnt 0x0
	s_wait_loadcnt_dscnt 0x0
	s_barrier_signal -1
	s_barrier_wait -1
	ds_load_b64 v[0:1], v235
	s_wait_dscnt 0x0
	scratch_store_b64 off, v[0:1], off offset:488 ; 8-byte Folded Spill
	s_wait_xcnt 0x0
	s_and_saveexec_b32 s2, s1
	s_cbranch_execz .LBB123_10
; %bb.9:
	scratch_load_b64 v[4:5], off, off offset:488 ; 8-byte Folded Reload
	s_wait_loadcnt 0x0
	v_pk_mul_f32 v[2:3], v[4:5], v[58:59] op_sel:[1,1] op_sel_hi:[0,1]
	s_delay_alu instid0(VALU_DEP_1)
	v_pk_fma_f32 v[0:1], v[4:5], v[58:59], v[2:3] op_sel_hi:[1,0,1] neg_lo:[0,0,1] neg_hi:[0,0,1]
	v_pk_fma_f32 v[2:3], v[4:5], v[58:59], v[2:3] op_sel_hi:[1,0,1]
	ds_load_2addr_b64 v[4:7], v236 offset0:1 offset1:2
	v_dual_mov_b32 v58, v0 :: v_dual_mov_b32 v59, v3
	s_wait_dscnt 0x0
	v_pk_mul_f32 v[8:9], v[4:5], v[2:3] op_sel:[0,1]
	s_delay_alu instid0(VALU_DEP_1) | instskip(SKIP_1) | instid1(VALU_DEP_1)
	v_pk_fma_f32 v[10:11], v[4:5], v[0:1], v[8:9] op_sel:[0,0,1] op_sel_hi:[1,1,0] neg_lo:[0,0,1] neg_hi:[0,0,1]
	v_pk_fma_f32 v[4:5], v[4:5], v[0:1], v[8:9] op_sel:[0,0,1] op_sel_hi:[1,0,0]
	v_mov_b32_e32 v11, v5
	v_pk_mul_f32 v[4:5], v[6:7], v[2:3] op_sel:[0,1]
	s_delay_alu instid0(VALU_DEP_1) | instskip(SKIP_1) | instid1(VALU_DEP_1)
	v_pk_fma_f32 v[8:9], v[6:7], v[0:1], v[4:5] op_sel:[0,0,1] op_sel_hi:[1,1,0] neg_lo:[0,0,1] neg_hi:[0,0,1]
	v_pk_fma_f32 v[4:5], v[6:7], v[0:1], v[4:5] op_sel:[0,0,1] op_sel_hi:[1,0,0]
	v_mov_b32_e32 v9, v5
	ds_load_2addr_b64 v[4:7], v236 offset0:3 offset1:4
	v_pk_add_f32 v[56:57], v[56:57], v[10:11] neg_lo:[0,1] neg_hi:[0,1]
	v_pk_add_f32 v[48:49], v[48:49], v[8:9] neg_lo:[0,1] neg_hi:[0,1]
	s_wait_dscnt 0x0
	v_pk_mul_f32 v[8:9], v[4:5], v[2:3] op_sel:[0,1]
	s_delay_alu instid0(VALU_DEP_1) | instskip(SKIP_2) | instid1(VALU_DEP_2)
	v_pk_fma_f32 v[10:11], v[4:5], v[0:1], v[8:9] op_sel:[0,0,1] op_sel_hi:[1,1,0] neg_lo:[0,0,1] neg_hi:[0,0,1]
	v_pk_fma_f32 v[4:5], v[4:5], v[0:1], v[8:9] op_sel:[0,0,1] op_sel_hi:[1,0,0]
	v_dual_mul_f32 v8, v7, v3 :: v_dual_mov_b32 v4, v7
	v_dual_mov_b32 v11, v5 :: v_dual_mov_b32 v5, v6
	s_delay_alu instid0(VALU_DEP_2) | instskip(SKIP_1) | instid1(VALU_DEP_3)
	v_pk_fma_f32 v[8:9], v[6:7], v[58:59], v[8:9] op_sel_hi:[1,1,0] neg_lo:[0,0,1] neg_hi:[0,0,1]
	v_mul_f32_e32 v6, v7, v0
	v_pk_add_f32 v[46:47], v[46:47], v[10:11] neg_lo:[0,1] neg_hi:[0,1]
	s_delay_alu instid0(VALU_DEP_2) | instskip(NEXT) | instid1(VALU_DEP_1)
	v_pk_fma_f32 v[4:5], v[4:5], v[58:59], v[6:7] op_sel_hi:[1,1,0]
	v_mov_b32_e32 v9, v5
	ds_load_2addr_b64 v[4:7], v236 offset0:5 offset1:6
	v_pk_add_f32 v[28:29], v[28:29], v[8:9] neg_lo:[0,1] neg_hi:[0,1]
	s_wait_dscnt 0x0
	v_pk_mul_f32 v[8:9], v[4:5], v[2:3] op_sel:[0,1]
	s_delay_alu instid0(VALU_DEP_1) | instskip(SKIP_1) | instid1(VALU_DEP_1)
	v_pk_fma_f32 v[10:11], v[4:5], v[0:1], v[8:9] op_sel:[0,0,1] op_sel_hi:[1,1,0] neg_lo:[0,0,1] neg_hi:[0,0,1]
	v_pk_fma_f32 v[4:5], v[4:5], v[0:1], v[8:9] op_sel:[0,0,1] op_sel_hi:[1,0,0]
	v_mov_b32_e32 v11, v5
	v_pk_mul_f32 v[4:5], v[6:7], v[2:3] op_sel:[0,1]
	s_delay_alu instid0(VALU_DEP_1) | instskip(SKIP_1) | instid1(VALU_DEP_1)
	v_pk_fma_f32 v[8:9], v[6:7], v[0:1], v[4:5] op_sel:[0,0,1] op_sel_hi:[1,1,0] neg_lo:[0,0,1] neg_hi:[0,0,1]
	v_pk_fma_f32 v[4:5], v[6:7], v[0:1], v[4:5] op_sel:[0,0,1] op_sel_hi:[1,0,0]
	v_mov_b32_e32 v9, v5
	ds_load_2addr_b64 v[4:7], v236 offset0:7 offset1:8
	v_pk_add_f32 v[22:23], v[22:23], v[10:11] neg_lo:[0,1] neg_hi:[0,1]
	v_pk_add_f32 v[24:25], v[24:25], v[8:9] neg_lo:[0,1] neg_hi:[0,1]
	s_wait_dscnt 0x0
	v_pk_mul_f32 v[8:9], v[4:5], v[2:3] op_sel:[0,1]
	s_delay_alu instid0(VALU_DEP_1) | instskip(SKIP_1) | instid1(VALU_DEP_1)
	v_pk_fma_f32 v[10:11], v[4:5], v[0:1], v[8:9] op_sel:[0,0,1] op_sel_hi:[1,1,0] neg_lo:[0,0,1] neg_hi:[0,0,1]
	v_pk_fma_f32 v[4:5], v[4:5], v[0:1], v[8:9] op_sel:[0,0,1] op_sel_hi:[1,0,0]
	v_mov_b32_e32 v11, v5
	v_pk_mul_f32 v[4:5], v[6:7], v[2:3] op_sel:[0,1]
	s_delay_alu instid0(VALU_DEP_1) | instskip(SKIP_1) | instid1(VALU_DEP_1)
	v_pk_fma_f32 v[8:9], v[6:7], v[0:1], v[4:5] op_sel:[0,0,1] op_sel_hi:[1,1,0] neg_lo:[0,0,1] neg_hi:[0,0,1]
	v_pk_fma_f32 v[4:5], v[6:7], v[0:1], v[4:5] op_sel:[0,0,1] op_sel_hi:[1,0,0]
	v_mov_b32_e32 v9, v5
	ds_load_2addr_b64 v[4:7], v236 offset0:9 offset1:10
	v_pk_add_f32 v[20:21], v[20:21], v[10:11] neg_lo:[0,1] neg_hi:[0,1]
	v_pk_add_f32 v[42:43], v[42:43], v[8:9] neg_lo:[0,1] neg_hi:[0,1]
	s_wait_dscnt 0x0
	v_dual_mul_f32 v8, v5, v3 :: v_dual_mul_f32 v10, v5, v0
	s_delay_alu instid0(VALU_DEP_1) | instskip(NEXT) | instid1(VALU_DEP_2)
	v_pk_fma_f32 v[8:9], v[4:5], v[58:59], v[8:9] op_sel_hi:[1,1,0] neg_lo:[0,0,1] neg_hi:[0,0,1]
	v_pk_fma_f32 v[4:5], v[4:5], v[58:59], v[10:11] op_sel:[1,0,0] op_sel_hi:[0,1,0]
	s_delay_alu instid0(VALU_DEP_1) | instskip(SKIP_1) | instid1(VALU_DEP_2)
	v_mov_b32_e32 v9, v5
	v_pk_mul_f32 v[4:5], v[6:7], v[2:3] op_sel:[0,1]
	v_pk_add_f32 v[38:39], v[38:39], v[8:9] neg_lo:[0,1] neg_hi:[0,1]
	s_delay_alu instid0(VALU_DEP_2) | instskip(SKIP_1) | instid1(VALU_DEP_1)
	v_pk_fma_f32 v[8:9], v[6:7], v[0:1], v[4:5] op_sel:[0,0,1] op_sel_hi:[1,1,0] neg_lo:[0,0,1] neg_hi:[0,0,1]
	v_pk_fma_f32 v[4:5], v[6:7], v[0:1], v[4:5] op_sel:[0,0,1] op_sel_hi:[1,0,0]
	v_mov_b32_e32 v9, v5
	ds_load_2addr_b64 v[4:7], v236 offset0:11 offset1:12
	v_pk_add_f32 v[40:41], v[40:41], v[8:9] neg_lo:[0,1] neg_hi:[0,1]
	s_wait_dscnt 0x0
	v_pk_mul_f32 v[8:9], v[4:5], v[2:3] op_sel:[0,1]
	s_delay_alu instid0(VALU_DEP_1) | instskip(SKIP_1) | instid1(VALU_DEP_1)
	v_pk_fma_f32 v[10:11], v[4:5], v[0:1], v[8:9] op_sel:[0,0,1] op_sel_hi:[1,1,0] neg_lo:[0,0,1] neg_hi:[0,0,1]
	v_pk_fma_f32 v[4:5], v[4:5], v[0:1], v[8:9] op_sel:[0,0,1] op_sel_hi:[1,0,0]
	v_mov_b32_e32 v11, v5
	v_pk_mul_f32 v[4:5], v[6:7], v[2:3] op_sel:[0,1]
	s_delay_alu instid0(VALU_DEP_2) | instskip(NEXT) | instid1(VALU_DEP_2)
	v_pk_add_f32 v[36:37], v[36:37], v[10:11] neg_lo:[0,1] neg_hi:[0,1]
	v_pk_fma_f32 v[8:9], v[6:7], v[0:1], v[4:5] op_sel:[0,0,1] op_sel_hi:[1,1,0] neg_lo:[0,0,1] neg_hi:[0,0,1]
	v_pk_fma_f32 v[4:5], v[6:7], v[0:1], v[4:5] op_sel:[0,0,1] op_sel_hi:[1,0,0]
	s_delay_alu instid0(VALU_DEP_1) | instskip(SKIP_4) | instid1(VALU_DEP_1)
	v_mov_b32_e32 v9, v5
	ds_load_2addr_b64 v[4:7], v236 offset0:13 offset1:14
	v_pk_add_f32 v[66:67], v[66:67], v[8:9] neg_lo:[0,1] neg_hi:[0,1]
	s_wait_dscnt 0x0
	v_pk_mul_f32 v[8:9], v[4:5], v[2:3] op_sel:[0,1]
	v_pk_fma_f32 v[10:11], v[4:5], v[0:1], v[8:9] op_sel:[0,0,1] op_sel_hi:[1,1,0] neg_lo:[0,0,1] neg_hi:[0,0,1]
	v_pk_fma_f32 v[4:5], v[4:5], v[0:1], v[8:9] op_sel:[0,0,1] op_sel_hi:[1,0,0]
	v_dual_mul_f32 v8, v7, v3 :: v_dual_mov_b32 v4, v7
	s_delay_alu instid0(VALU_DEP_2) | instskip(NEXT) | instid1(VALU_DEP_2)
	v_dual_mov_b32 v11, v5 :: v_dual_mov_b32 v5, v6
	v_pk_fma_f32 v[8:9], v[6:7], v[58:59], v[8:9] op_sel_hi:[1,1,0] neg_lo:[0,0,1] neg_hi:[0,0,1]
	v_mul_f32_e32 v6, v7, v0
	s_delay_alu instid0(VALU_DEP_3) | instskip(NEXT) | instid1(VALU_DEP_2)
	v_pk_add_f32 v[62:63], v[62:63], v[10:11] neg_lo:[0,1] neg_hi:[0,1]
	v_pk_fma_f32 v[4:5], v[4:5], v[58:59], v[6:7] op_sel_hi:[1,1,0]
	s_delay_alu instid0(VALU_DEP_1) | instskip(SKIP_4) | instid1(VALU_DEP_1)
	v_mov_b32_e32 v9, v5
	ds_load_2addr_b64 v[4:7], v236 offset0:15 offset1:16
	v_pk_add_f32 v[64:65], v[64:65], v[8:9] neg_lo:[0,1] neg_hi:[0,1]
	s_wait_dscnt 0x0
	v_pk_mul_f32 v[8:9], v[4:5], v[2:3] op_sel:[0,1]
	v_pk_fma_f32 v[10:11], v[4:5], v[0:1], v[8:9] op_sel:[0,0,1] op_sel_hi:[1,1,0] neg_lo:[0,0,1] neg_hi:[0,0,1]
	v_pk_fma_f32 v[4:5], v[4:5], v[0:1], v[8:9] op_sel:[0,0,1] op_sel_hi:[1,0,0]
	s_delay_alu instid0(VALU_DEP_1) | instskip(SKIP_1) | instid1(VALU_DEP_1)
	v_mov_b32_e32 v11, v5
	v_pk_mul_f32 v[4:5], v[6:7], v[2:3] op_sel:[0,1]
	v_pk_fma_f32 v[8:9], v[6:7], v[0:1], v[4:5] op_sel:[0,0,1] op_sel_hi:[1,1,0] neg_lo:[0,0,1] neg_hi:[0,0,1]
	v_pk_fma_f32 v[4:5], v[6:7], v[0:1], v[4:5] op_sel:[0,0,1] op_sel_hi:[1,0,0]
	s_delay_alu instid0(VALU_DEP_1)
	v_mov_b32_e32 v9, v5
	ds_load_2addr_b64 v[4:7], v236 offset0:17 offset1:18
	v_pk_add_f32 v[60:61], v[60:61], v[10:11] neg_lo:[0,1] neg_hi:[0,1]
	v_pk_add_f32 v[82:83], v[82:83], v[8:9] neg_lo:[0,1] neg_hi:[0,1]
	s_wait_dscnt 0x0
	v_pk_mul_f32 v[8:9], v[4:5], v[2:3] op_sel:[0,1]
	s_delay_alu instid0(VALU_DEP_1) | instskip(SKIP_1) | instid1(VALU_DEP_1)
	v_pk_fma_f32 v[10:11], v[4:5], v[0:1], v[8:9] op_sel:[0,0,1] op_sel_hi:[1,1,0] neg_lo:[0,0,1] neg_hi:[0,0,1]
	v_pk_fma_f32 v[4:5], v[4:5], v[0:1], v[8:9] op_sel:[0,0,1] op_sel_hi:[1,0,0]
	v_mov_b32_e32 v11, v5
	v_pk_mul_f32 v[4:5], v[6:7], v[2:3] op_sel:[0,1]
	s_delay_alu instid0(VALU_DEP_1) | instskip(SKIP_1) | instid1(VALU_DEP_1)
	v_pk_fma_f32 v[8:9], v[6:7], v[0:1], v[4:5] op_sel:[0,0,1] op_sel_hi:[1,1,0] neg_lo:[0,0,1] neg_hi:[0,0,1]
	v_pk_fma_f32 v[4:5], v[6:7], v[0:1], v[4:5] op_sel:[0,0,1] op_sel_hi:[1,0,0]
	v_mov_b32_e32 v9, v5
	ds_load_2addr_b64 v[4:7], v236 offset0:19 offset1:20
	v_pk_add_f32 v[78:79], v[78:79], v[10:11] neg_lo:[0,1] neg_hi:[0,1]
	v_pk_add_f32 v[80:81], v[80:81], v[8:9] neg_lo:[0,1] neg_hi:[0,1]
	s_wait_dscnt 0x0
	v_dual_mul_f32 v8, v5, v3 :: v_dual_mul_f32 v10, v5, v0
	s_delay_alu instid0(VALU_DEP_1) | instskip(NEXT) | instid1(VALU_DEP_2)
	v_pk_fma_f32 v[8:9], v[4:5], v[58:59], v[8:9] op_sel_hi:[1,1,0] neg_lo:[0,0,1] neg_hi:[0,0,1]
	v_pk_fma_f32 v[4:5], v[4:5], v[58:59], v[10:11] op_sel:[1,0,0] op_sel_hi:[0,1,0]
	s_delay_alu instid0(VALU_DEP_1) | instskip(SKIP_1) | instid1(VALU_DEP_2)
	v_mov_b32_e32 v9, v5
	v_pk_mul_f32 v[4:5], v[6:7], v[2:3] op_sel:[0,1]
	v_pk_add_f32 v[76:77], v[76:77], v[8:9] neg_lo:[0,1] neg_hi:[0,1]
	s_delay_alu instid0(VALU_DEP_2) | instskip(SKIP_1) | instid1(VALU_DEP_1)
	v_pk_fma_f32 v[8:9], v[6:7], v[0:1], v[4:5] op_sel:[0,0,1] op_sel_hi:[1,1,0] neg_lo:[0,0,1] neg_hi:[0,0,1]
	v_pk_fma_f32 v[4:5], v[6:7], v[0:1], v[4:5] op_sel:[0,0,1] op_sel_hi:[1,0,0]
	v_mov_b32_e32 v9, v5
	ds_load_2addr_b64 v[4:7], v236 offset0:21 offset1:22
	v_pk_add_f32 v[98:99], v[98:99], v[8:9] neg_lo:[0,1] neg_hi:[0,1]
	s_wait_dscnt 0x0
	v_pk_mul_f32 v[8:9], v[4:5], v[2:3] op_sel:[0,1]
	s_delay_alu instid0(VALU_DEP_1) | instskip(SKIP_1) | instid1(VALU_DEP_1)
	v_pk_fma_f32 v[10:11], v[4:5], v[0:1], v[8:9] op_sel:[0,0,1] op_sel_hi:[1,1,0] neg_lo:[0,0,1] neg_hi:[0,0,1]
	v_pk_fma_f32 v[4:5], v[4:5], v[0:1], v[8:9] op_sel:[0,0,1] op_sel_hi:[1,0,0]
	v_mov_b32_e32 v11, v5
	v_pk_mul_f32 v[4:5], v[6:7], v[2:3] op_sel:[0,1]
	s_delay_alu instid0(VALU_DEP_2) | instskip(NEXT) | instid1(VALU_DEP_2)
	v_pk_add_f32 v[94:95], v[94:95], v[10:11] neg_lo:[0,1] neg_hi:[0,1]
	v_pk_fma_f32 v[8:9], v[6:7], v[0:1], v[4:5] op_sel:[0,0,1] op_sel_hi:[1,1,0] neg_lo:[0,0,1] neg_hi:[0,0,1]
	v_pk_fma_f32 v[4:5], v[6:7], v[0:1], v[4:5] op_sel:[0,0,1] op_sel_hi:[1,0,0]
	s_delay_alu instid0(VALU_DEP_1) | instskip(SKIP_4) | instid1(VALU_DEP_1)
	v_mov_b32_e32 v9, v5
	ds_load_2addr_b64 v[4:7], v236 offset0:23 offset1:24
	v_pk_add_f32 v[96:97], v[96:97], v[8:9] neg_lo:[0,1] neg_hi:[0,1]
	s_wait_dscnt 0x0
	v_pk_mul_f32 v[8:9], v[4:5], v[2:3] op_sel:[0,1]
	v_pk_fma_f32 v[10:11], v[4:5], v[0:1], v[8:9] op_sel:[0,0,1] op_sel_hi:[1,1,0] neg_lo:[0,0,1] neg_hi:[0,0,1]
	v_pk_fma_f32 v[4:5], v[4:5], v[0:1], v[8:9] op_sel:[0,0,1] op_sel_hi:[1,0,0]
	v_dual_mul_f32 v8, v7, v3 :: v_dual_mov_b32 v4, v7
	s_delay_alu instid0(VALU_DEP_2) | instskip(NEXT) | instid1(VALU_DEP_2)
	v_dual_mov_b32 v11, v5 :: v_dual_mov_b32 v5, v6
	v_pk_fma_f32 v[8:9], v[6:7], v[58:59], v[8:9] op_sel_hi:[1,1,0] neg_lo:[0,0,1] neg_hi:[0,0,1]
	v_mul_f32_e32 v6, v7, v0
	s_delay_alu instid0(VALU_DEP_3) | instskip(NEXT) | instid1(VALU_DEP_2)
	v_pk_add_f32 v[92:93], v[92:93], v[10:11] neg_lo:[0,1] neg_hi:[0,1]
	v_pk_fma_f32 v[4:5], v[4:5], v[58:59], v[6:7] op_sel_hi:[1,1,0]
	s_delay_alu instid0(VALU_DEP_1) | instskip(SKIP_4) | instid1(VALU_DEP_1)
	v_mov_b32_e32 v9, v5
	ds_load_2addr_b64 v[4:7], v236 offset0:25 offset1:26
	v_pk_add_f32 v[114:115], v[114:115], v[8:9] neg_lo:[0,1] neg_hi:[0,1]
	s_wait_dscnt 0x0
	v_pk_mul_f32 v[8:9], v[4:5], v[2:3] op_sel:[0,1]
	v_pk_fma_f32 v[10:11], v[4:5], v[0:1], v[8:9] op_sel:[0,0,1] op_sel_hi:[1,1,0] neg_lo:[0,0,1] neg_hi:[0,0,1]
	v_pk_fma_f32 v[4:5], v[4:5], v[0:1], v[8:9] op_sel:[0,0,1] op_sel_hi:[1,0,0]
	s_delay_alu instid0(VALU_DEP_1) | instskip(SKIP_1) | instid1(VALU_DEP_1)
	v_mov_b32_e32 v11, v5
	v_pk_mul_f32 v[4:5], v[6:7], v[2:3] op_sel:[0,1]
	v_pk_fma_f32 v[8:9], v[6:7], v[0:1], v[4:5] op_sel:[0,0,1] op_sel_hi:[1,1,0] neg_lo:[0,0,1] neg_hi:[0,0,1]
	v_pk_fma_f32 v[4:5], v[6:7], v[0:1], v[4:5] op_sel:[0,0,1] op_sel_hi:[1,0,0]
	s_delay_alu instid0(VALU_DEP_1)
	v_mov_b32_e32 v9, v5
	ds_load_2addr_b64 v[4:7], v236 offset0:27 offset1:28
	v_pk_add_f32 v[110:111], v[110:111], v[10:11] neg_lo:[0,1] neg_hi:[0,1]
	v_pk_add_f32 v[112:113], v[112:113], v[8:9] neg_lo:[0,1] neg_hi:[0,1]
	s_wait_dscnt 0x0
	v_pk_mul_f32 v[8:9], v[4:5], v[2:3] op_sel:[0,1]
	s_delay_alu instid0(VALU_DEP_1) | instskip(SKIP_1) | instid1(VALU_DEP_1)
	v_pk_fma_f32 v[10:11], v[4:5], v[0:1], v[8:9] op_sel:[0,0,1] op_sel_hi:[1,1,0] neg_lo:[0,0,1] neg_hi:[0,0,1]
	v_pk_fma_f32 v[4:5], v[4:5], v[0:1], v[8:9] op_sel:[0,0,1] op_sel_hi:[1,0,0]
	v_mov_b32_e32 v11, v5
	v_pk_mul_f32 v[4:5], v[6:7], v[2:3] op_sel:[0,1]
	s_delay_alu instid0(VALU_DEP_1) | instskip(SKIP_1) | instid1(VALU_DEP_1)
	v_pk_fma_f32 v[8:9], v[6:7], v[0:1], v[4:5] op_sel:[0,0,1] op_sel_hi:[1,1,0] neg_lo:[0,0,1] neg_hi:[0,0,1]
	v_pk_fma_f32 v[4:5], v[6:7], v[0:1], v[4:5] op_sel:[0,0,1] op_sel_hi:[1,0,0]
	v_mov_b32_e32 v9, v5
	ds_load_2addr_b64 v[4:7], v236 offset0:29 offset1:30
	v_pk_add_f32 v[108:109], v[108:109], v[10:11] neg_lo:[0,1] neg_hi:[0,1]
	v_pk_add_f32 v[130:131], v[130:131], v[8:9] neg_lo:[0,1] neg_hi:[0,1]
	s_wait_dscnt 0x0
	v_dual_mul_f32 v8, v5, v3 :: v_dual_mul_f32 v10, v5, v0
	s_delay_alu instid0(VALU_DEP_1) | instskip(NEXT) | instid1(VALU_DEP_2)
	v_pk_fma_f32 v[8:9], v[4:5], v[58:59], v[8:9] op_sel_hi:[1,1,0] neg_lo:[0,0,1] neg_hi:[0,0,1]
	v_pk_fma_f32 v[4:5], v[4:5], v[58:59], v[10:11] op_sel:[1,0,0] op_sel_hi:[0,1,0]
	s_delay_alu instid0(VALU_DEP_1) | instskip(SKIP_1) | instid1(VALU_DEP_2)
	v_mov_b32_e32 v9, v5
	v_pk_mul_f32 v[4:5], v[6:7], v[2:3] op_sel:[0,1]
	v_pk_add_f32 v[126:127], v[126:127], v[8:9] neg_lo:[0,1] neg_hi:[0,1]
	s_delay_alu instid0(VALU_DEP_2) | instskip(SKIP_1) | instid1(VALU_DEP_1)
	v_pk_fma_f32 v[8:9], v[6:7], v[0:1], v[4:5] op_sel:[0,0,1] op_sel_hi:[1,1,0] neg_lo:[0,0,1] neg_hi:[0,0,1]
	v_pk_fma_f32 v[4:5], v[6:7], v[0:1], v[4:5] op_sel:[0,0,1] op_sel_hi:[1,0,0]
	v_mov_b32_e32 v9, v5
	ds_load_2addr_b64 v[4:7], v236 offset0:31 offset1:32
	v_pk_add_f32 v[128:129], v[128:129], v[8:9] neg_lo:[0,1] neg_hi:[0,1]
	s_wait_dscnt 0x0
	v_pk_mul_f32 v[8:9], v[4:5], v[2:3] op_sel:[0,1]
	s_delay_alu instid0(VALU_DEP_1) | instskip(SKIP_1) | instid1(VALU_DEP_1)
	v_pk_fma_f32 v[10:11], v[4:5], v[0:1], v[8:9] op_sel:[0,0,1] op_sel_hi:[1,1,0] neg_lo:[0,0,1] neg_hi:[0,0,1]
	v_pk_fma_f32 v[4:5], v[4:5], v[0:1], v[8:9] op_sel:[0,0,1] op_sel_hi:[1,0,0]
	v_mov_b32_e32 v11, v5
	v_pk_mul_f32 v[4:5], v[6:7], v[2:3] op_sel:[0,1]
	s_delay_alu instid0(VALU_DEP_2) | instskip(NEXT) | instid1(VALU_DEP_2)
	v_pk_add_f32 v[124:125], v[124:125], v[10:11] neg_lo:[0,1] neg_hi:[0,1]
	v_pk_fma_f32 v[8:9], v[6:7], v[0:1], v[4:5] op_sel:[0,0,1] op_sel_hi:[1,1,0] neg_lo:[0,0,1] neg_hi:[0,0,1]
	v_pk_fma_f32 v[4:5], v[6:7], v[0:1], v[4:5] op_sel:[0,0,1] op_sel_hi:[1,0,0]
	s_delay_alu instid0(VALU_DEP_1) | instskip(SKIP_4) | instid1(VALU_DEP_1)
	v_mov_b32_e32 v9, v5
	ds_load_2addr_b64 v[4:7], v236 offset0:33 offset1:34
	v_pk_add_f32 v[146:147], v[146:147], v[8:9] neg_lo:[0,1] neg_hi:[0,1]
	s_wait_dscnt 0x0
	v_pk_mul_f32 v[8:9], v[4:5], v[2:3] op_sel:[0,1]
	v_pk_fma_f32 v[10:11], v[4:5], v[0:1], v[8:9] op_sel:[0,0,1] op_sel_hi:[1,1,0] neg_lo:[0,0,1] neg_hi:[0,0,1]
	v_pk_fma_f32 v[4:5], v[4:5], v[0:1], v[8:9] op_sel:[0,0,1] op_sel_hi:[1,0,0]
	v_dual_mul_f32 v8, v7, v3 :: v_dual_mov_b32 v4, v7
	s_delay_alu instid0(VALU_DEP_2) | instskip(NEXT) | instid1(VALU_DEP_2)
	v_dual_mov_b32 v11, v5 :: v_dual_mov_b32 v5, v6
	v_pk_fma_f32 v[8:9], v[6:7], v[58:59], v[8:9] op_sel_hi:[1,1,0] neg_lo:[0,0,1] neg_hi:[0,0,1]
	v_mul_f32_e32 v6, v7, v0
	s_delay_alu instid0(VALU_DEP_3) | instskip(NEXT) | instid1(VALU_DEP_2)
	v_pk_add_f32 v[142:143], v[142:143], v[10:11] neg_lo:[0,1] neg_hi:[0,1]
	v_pk_fma_f32 v[4:5], v[4:5], v[58:59], v[6:7] op_sel_hi:[1,1,0]
	s_delay_alu instid0(VALU_DEP_1) | instskip(SKIP_4) | instid1(VALU_DEP_1)
	v_mov_b32_e32 v9, v5
	ds_load_2addr_b64 v[4:7], v236 offset0:35 offset1:36
	v_pk_add_f32 v[144:145], v[144:145], v[8:9] neg_lo:[0,1] neg_hi:[0,1]
	s_wait_dscnt 0x0
	v_pk_mul_f32 v[8:9], v[4:5], v[2:3] op_sel:[0,1]
	v_pk_fma_f32 v[10:11], v[4:5], v[0:1], v[8:9] op_sel:[0,0,1] op_sel_hi:[1,1,0] neg_lo:[0,0,1] neg_hi:[0,0,1]
	v_pk_fma_f32 v[4:5], v[4:5], v[0:1], v[8:9] op_sel:[0,0,1] op_sel_hi:[1,0,0]
	s_delay_alu instid0(VALU_DEP_1) | instskip(SKIP_1) | instid1(VALU_DEP_1)
	v_mov_b32_e32 v11, v5
	v_pk_mul_f32 v[4:5], v[6:7], v[2:3] op_sel:[0,1]
	v_pk_fma_f32 v[8:9], v[6:7], v[0:1], v[4:5] op_sel:[0,0,1] op_sel_hi:[1,1,0] neg_lo:[0,0,1] neg_hi:[0,0,1]
	v_pk_fma_f32 v[4:5], v[6:7], v[0:1], v[4:5] op_sel:[0,0,1] op_sel_hi:[1,0,0]
	s_delay_alu instid0(VALU_DEP_1)
	v_mov_b32_e32 v9, v5
	ds_load_2addr_b64 v[4:7], v236 offset0:37 offset1:38
	v_pk_add_f32 v[140:141], v[140:141], v[10:11] neg_lo:[0,1] neg_hi:[0,1]
	v_pk_add_f32 v[162:163], v[162:163], v[8:9] neg_lo:[0,1] neg_hi:[0,1]
	s_wait_dscnt 0x0
	v_pk_mul_f32 v[8:9], v[4:5], v[2:3] op_sel:[0,1]
	s_delay_alu instid0(VALU_DEP_1) | instskip(SKIP_1) | instid1(VALU_DEP_1)
	v_pk_fma_f32 v[10:11], v[4:5], v[0:1], v[8:9] op_sel:[0,0,1] op_sel_hi:[1,1,0] neg_lo:[0,0,1] neg_hi:[0,0,1]
	v_pk_fma_f32 v[4:5], v[4:5], v[0:1], v[8:9] op_sel:[0,0,1] op_sel_hi:[1,0,0]
	v_mov_b32_e32 v11, v5
	v_pk_mul_f32 v[4:5], v[6:7], v[2:3] op_sel:[0,1]
	s_delay_alu instid0(VALU_DEP_1) | instskip(SKIP_1) | instid1(VALU_DEP_1)
	v_pk_fma_f32 v[8:9], v[6:7], v[0:1], v[4:5] op_sel:[0,0,1] op_sel_hi:[1,1,0] neg_lo:[0,0,1] neg_hi:[0,0,1]
	v_pk_fma_f32 v[4:5], v[6:7], v[0:1], v[4:5] op_sel:[0,0,1] op_sel_hi:[1,0,0]
	v_mov_b32_e32 v9, v5
	ds_load_2addr_b64 v[4:7], v236 offset0:39 offset1:40
	v_pk_add_f32 v[158:159], v[158:159], v[10:11] neg_lo:[0,1] neg_hi:[0,1]
	v_pk_add_f32 v[160:161], v[160:161], v[8:9] neg_lo:[0,1] neg_hi:[0,1]
	s_wait_dscnt 0x0
	v_dual_mul_f32 v8, v5, v3 :: v_dual_mul_f32 v10, v5, v0
	s_delay_alu instid0(VALU_DEP_1) | instskip(NEXT) | instid1(VALU_DEP_2)
	v_pk_fma_f32 v[8:9], v[4:5], v[58:59], v[8:9] op_sel_hi:[1,1,0] neg_lo:[0,0,1] neg_hi:[0,0,1]
	v_pk_fma_f32 v[4:5], v[4:5], v[58:59], v[10:11] op_sel:[1,0,0] op_sel_hi:[0,1,0]
	s_delay_alu instid0(VALU_DEP_1) | instskip(SKIP_1) | instid1(VALU_DEP_2)
	v_mov_b32_e32 v9, v5
	v_pk_mul_f32 v[4:5], v[6:7], v[2:3] op_sel:[0,1]
	v_pk_add_f32 v[156:157], v[156:157], v[8:9] neg_lo:[0,1] neg_hi:[0,1]
	s_delay_alu instid0(VALU_DEP_2) | instskip(SKIP_1) | instid1(VALU_DEP_1)
	v_pk_fma_f32 v[8:9], v[6:7], v[0:1], v[4:5] op_sel:[0,0,1] op_sel_hi:[1,1,0] neg_lo:[0,0,1] neg_hi:[0,0,1]
	v_pk_fma_f32 v[4:5], v[6:7], v[0:1], v[4:5] op_sel:[0,0,1] op_sel_hi:[1,0,0]
	v_mov_b32_e32 v9, v5
	ds_load_2addr_b64 v[4:7], v236 offset0:41 offset1:42
	v_pk_add_f32 v[178:179], v[178:179], v[8:9] neg_lo:[0,1] neg_hi:[0,1]
	s_wait_dscnt 0x0
	v_pk_mul_f32 v[8:9], v[4:5], v[2:3] op_sel:[0,1]
	s_delay_alu instid0(VALU_DEP_1) | instskip(SKIP_1) | instid1(VALU_DEP_1)
	v_pk_fma_f32 v[10:11], v[4:5], v[0:1], v[8:9] op_sel:[0,0,1] op_sel_hi:[1,1,0] neg_lo:[0,0,1] neg_hi:[0,0,1]
	v_pk_fma_f32 v[4:5], v[4:5], v[0:1], v[8:9] op_sel:[0,0,1] op_sel_hi:[1,0,0]
	v_mov_b32_e32 v11, v5
	v_pk_mul_f32 v[4:5], v[6:7], v[2:3] op_sel:[0,1]
	s_delay_alu instid0(VALU_DEP_2) | instskip(NEXT) | instid1(VALU_DEP_2)
	v_pk_add_f32 v[174:175], v[174:175], v[10:11] neg_lo:[0,1] neg_hi:[0,1]
	v_pk_fma_f32 v[8:9], v[6:7], v[0:1], v[4:5] op_sel:[0,0,1] op_sel_hi:[1,1,0] neg_lo:[0,0,1] neg_hi:[0,0,1]
	v_pk_fma_f32 v[4:5], v[6:7], v[0:1], v[4:5] op_sel:[0,0,1] op_sel_hi:[1,0,0]
	s_delay_alu instid0(VALU_DEP_1) | instskip(SKIP_4) | instid1(VALU_DEP_1)
	v_mov_b32_e32 v9, v5
	ds_load_2addr_b64 v[4:7], v236 offset0:43 offset1:44
	v_pk_add_f32 v[176:177], v[176:177], v[8:9] neg_lo:[0,1] neg_hi:[0,1]
	s_wait_dscnt 0x0
	v_pk_mul_f32 v[8:9], v[4:5], v[2:3] op_sel:[0,1]
	v_pk_fma_f32 v[10:11], v[4:5], v[0:1], v[8:9] op_sel:[0,0,1] op_sel_hi:[1,1,0] neg_lo:[0,0,1] neg_hi:[0,0,1]
	v_pk_fma_f32 v[4:5], v[4:5], v[0:1], v[8:9] op_sel:[0,0,1] op_sel_hi:[1,0,0]
	v_dual_mul_f32 v8, v7, v3 :: v_dual_mov_b32 v4, v7
	s_delay_alu instid0(VALU_DEP_2) | instskip(NEXT) | instid1(VALU_DEP_2)
	v_dual_mov_b32 v11, v5 :: v_dual_mov_b32 v5, v6
	v_pk_fma_f32 v[8:9], v[6:7], v[58:59], v[8:9] op_sel_hi:[1,1,0] neg_lo:[0,0,1] neg_hi:[0,0,1]
	v_mul_f32_e32 v6, v7, v0
	s_delay_alu instid0(VALU_DEP_3) | instskip(NEXT) | instid1(VALU_DEP_2)
	v_pk_add_f32 v[172:173], v[172:173], v[10:11] neg_lo:[0,1] neg_hi:[0,1]
	v_pk_fma_f32 v[4:5], v[4:5], v[58:59], v[6:7] op_sel_hi:[1,1,0]
	s_delay_alu instid0(VALU_DEP_1) | instskip(SKIP_4) | instid1(VALU_DEP_1)
	v_mov_b32_e32 v9, v5
	ds_load_2addr_b64 v[4:7], v236 offset0:45 offset1:46
	v_pk_add_f32 v[194:195], v[194:195], v[8:9] neg_lo:[0,1] neg_hi:[0,1]
	s_wait_dscnt 0x0
	v_pk_mul_f32 v[8:9], v[4:5], v[2:3] op_sel:[0,1]
	v_pk_fma_f32 v[10:11], v[4:5], v[0:1], v[8:9] op_sel:[0,0,1] op_sel_hi:[1,1,0] neg_lo:[0,0,1] neg_hi:[0,0,1]
	v_pk_fma_f32 v[4:5], v[4:5], v[0:1], v[8:9] op_sel:[0,0,1] op_sel_hi:[1,0,0]
	s_delay_alu instid0(VALU_DEP_1) | instskip(SKIP_1) | instid1(VALU_DEP_1)
	v_mov_b32_e32 v11, v5
	v_pk_mul_f32 v[4:5], v[6:7], v[2:3] op_sel:[0,1]
	v_pk_fma_f32 v[8:9], v[6:7], v[0:1], v[4:5] op_sel:[0,0,1] op_sel_hi:[1,1,0] neg_lo:[0,0,1] neg_hi:[0,0,1]
	v_pk_fma_f32 v[4:5], v[6:7], v[0:1], v[4:5] op_sel:[0,0,1] op_sel_hi:[1,0,0]
	s_delay_alu instid0(VALU_DEP_1)
	v_mov_b32_e32 v9, v5
	ds_load_2addr_b64 v[4:7], v236 offset0:47 offset1:48
	v_pk_add_f32 v[190:191], v[190:191], v[10:11] neg_lo:[0,1] neg_hi:[0,1]
	v_pk_add_f32 v[192:193], v[192:193], v[8:9] neg_lo:[0,1] neg_hi:[0,1]
	s_wait_dscnt 0x0
	v_pk_mul_f32 v[8:9], v[4:5], v[2:3] op_sel:[0,1]
	s_delay_alu instid0(VALU_DEP_1) | instskip(SKIP_1) | instid1(VALU_DEP_1)
	v_pk_fma_f32 v[10:11], v[4:5], v[0:1], v[8:9] op_sel:[0,0,1] op_sel_hi:[1,1,0] neg_lo:[0,0,1] neg_hi:[0,0,1]
	v_pk_fma_f32 v[4:5], v[4:5], v[0:1], v[8:9] op_sel:[0,0,1] op_sel_hi:[1,0,0]
	v_mov_b32_e32 v11, v5
	v_pk_mul_f32 v[4:5], v[6:7], v[2:3] op_sel:[0,1]
	s_delay_alu instid0(VALU_DEP_1) | instskip(SKIP_1) | instid1(VALU_DEP_1)
	v_pk_fma_f32 v[8:9], v[6:7], v[0:1], v[4:5] op_sel:[0,0,1] op_sel_hi:[1,1,0] neg_lo:[0,0,1] neg_hi:[0,0,1]
	v_pk_fma_f32 v[4:5], v[6:7], v[0:1], v[4:5] op_sel:[0,0,1] op_sel_hi:[1,0,0]
	v_mov_b32_e32 v9, v5
	ds_load_2addr_b64 v[4:7], v236 offset0:49 offset1:50
	v_pk_add_f32 v[188:189], v[188:189], v[10:11] neg_lo:[0,1] neg_hi:[0,1]
	v_pk_add_f32 v[210:211], v[210:211], v[8:9] neg_lo:[0,1] neg_hi:[0,1]
	s_wait_dscnt 0x0
	v_dual_mul_f32 v8, v5, v3 :: v_dual_mul_f32 v10, v5, v0
	s_delay_alu instid0(VALU_DEP_1) | instskip(NEXT) | instid1(VALU_DEP_2)
	v_pk_fma_f32 v[8:9], v[4:5], v[58:59], v[8:9] op_sel_hi:[1,1,0] neg_lo:[0,0,1] neg_hi:[0,0,1]
	v_pk_fma_f32 v[4:5], v[4:5], v[58:59], v[10:11] op_sel:[1,0,0] op_sel_hi:[0,1,0]
	s_delay_alu instid0(VALU_DEP_1) | instskip(SKIP_1) | instid1(VALU_DEP_2)
	v_mov_b32_e32 v9, v5
	v_pk_mul_f32 v[4:5], v[6:7], v[2:3] op_sel:[0,1]
	v_pk_add_f32 v[206:207], v[206:207], v[8:9] neg_lo:[0,1] neg_hi:[0,1]
	s_delay_alu instid0(VALU_DEP_2) | instskip(SKIP_1) | instid1(VALU_DEP_1)
	v_pk_fma_f32 v[8:9], v[6:7], v[0:1], v[4:5] op_sel:[0,0,1] op_sel_hi:[1,1,0] neg_lo:[0,0,1] neg_hi:[0,0,1]
	v_pk_fma_f32 v[4:5], v[6:7], v[0:1], v[4:5] op_sel:[0,0,1] op_sel_hi:[1,0,0]
	v_mov_b32_e32 v9, v5
	ds_load_2addr_b64 v[4:7], v236 offset0:51 offset1:52
	v_pk_add_f32 v[208:209], v[208:209], v[8:9] neg_lo:[0,1] neg_hi:[0,1]
	s_wait_dscnt 0x0
	v_pk_mul_f32 v[8:9], v[4:5], v[2:3] op_sel:[0,1]
	s_delay_alu instid0(VALU_DEP_1) | instskip(SKIP_1) | instid1(VALU_DEP_1)
	v_pk_fma_f32 v[10:11], v[4:5], v[0:1], v[8:9] op_sel:[0,0,1] op_sel_hi:[1,1,0] neg_lo:[0,0,1] neg_hi:[0,0,1]
	v_pk_fma_f32 v[4:5], v[4:5], v[0:1], v[8:9] op_sel:[0,0,1] op_sel_hi:[1,0,0]
	v_mov_b32_e32 v11, v5
	v_pk_mul_f32 v[4:5], v[6:7], v[2:3] op_sel:[0,1]
	s_delay_alu instid0(VALU_DEP_2) | instskip(NEXT) | instid1(VALU_DEP_2)
	v_pk_add_f32 v[204:205], v[204:205], v[10:11] neg_lo:[0,1] neg_hi:[0,1]
	v_pk_fma_f32 v[8:9], v[6:7], v[0:1], v[4:5] op_sel:[0,0,1] op_sel_hi:[1,1,0] neg_lo:[0,0,1] neg_hi:[0,0,1]
	v_pk_fma_f32 v[4:5], v[6:7], v[0:1], v[4:5] op_sel:[0,0,1] op_sel_hi:[1,0,0]
	s_delay_alu instid0(VALU_DEP_1) | instskip(SKIP_4) | instid1(VALU_DEP_1)
	v_mov_b32_e32 v9, v5
	ds_load_2addr_b64 v[4:7], v236 offset0:53 offset1:54
	v_pk_add_f32 v[228:229], v[228:229], v[8:9] neg_lo:[0,1] neg_hi:[0,1]
	s_wait_dscnt 0x0
	v_pk_mul_f32 v[8:9], v[4:5], v[2:3] op_sel:[0,1]
	v_pk_fma_f32 v[10:11], v[4:5], v[0:1], v[8:9] op_sel:[0,0,1] op_sel_hi:[1,1,0] neg_lo:[0,0,1] neg_hi:[0,0,1]
	v_pk_fma_f32 v[4:5], v[4:5], v[0:1], v[8:9] op_sel:[0,0,1] op_sel_hi:[1,0,0]
	v_dual_mul_f32 v8, v7, v3 :: v_dual_mov_b32 v4, v7
	s_delay_alu instid0(VALU_DEP_2) | instskip(NEXT) | instid1(VALU_DEP_2)
	v_dual_mov_b32 v11, v5 :: v_dual_mov_b32 v5, v6
	v_pk_fma_f32 v[8:9], v[6:7], v[58:59], v[8:9] op_sel_hi:[1,1,0] neg_lo:[0,0,1] neg_hi:[0,0,1]
	v_mul_f32_e32 v6, v7, v0
	s_delay_alu instid0(VALU_DEP_3) | instskip(NEXT) | instid1(VALU_DEP_2)
	v_pk_add_f32 v[224:225], v[224:225], v[10:11] neg_lo:[0,1] neg_hi:[0,1]
	v_pk_fma_f32 v[4:5], v[4:5], v[58:59], v[6:7] op_sel_hi:[1,1,0]
	s_delay_alu instid0(VALU_DEP_1) | instskip(SKIP_4) | instid1(VALU_DEP_1)
	v_mov_b32_e32 v9, v5
	ds_load_2addr_b64 v[4:7], v236 offset0:55 offset1:56
	v_pk_add_f32 v[226:227], v[226:227], v[8:9] neg_lo:[0,1] neg_hi:[0,1]
	s_wait_dscnt 0x0
	v_pk_mul_f32 v[8:9], v[4:5], v[2:3] op_sel:[0,1]
	v_pk_fma_f32 v[10:11], v[4:5], v[0:1], v[8:9] op_sel:[0,0,1] op_sel_hi:[1,1,0] neg_lo:[0,0,1] neg_hi:[0,0,1]
	v_pk_fma_f32 v[4:5], v[4:5], v[0:1], v[8:9] op_sel:[0,0,1] op_sel_hi:[1,0,0]
	s_delay_alu instid0(VALU_DEP_1) | instskip(SKIP_1) | instid1(VALU_DEP_1)
	v_mov_b32_e32 v11, v5
	v_pk_mul_f32 v[4:5], v[6:7], v[2:3] op_sel:[0,1]
	v_pk_fma_f32 v[8:9], v[6:7], v[0:1], v[4:5] op_sel:[0,0,1] op_sel_hi:[1,1,0] neg_lo:[0,0,1] neg_hi:[0,0,1]
	v_pk_fma_f32 v[4:5], v[6:7], v[0:1], v[4:5] op_sel:[0,0,1] op_sel_hi:[1,0,0]
	s_delay_alu instid0(VALU_DEP_1)
	v_mov_b32_e32 v9, v5
	ds_load_2addr_b64 v[4:7], v236 offset0:57 offset1:58
	v_pk_add_f32 v[222:223], v[222:223], v[10:11] neg_lo:[0,1] neg_hi:[0,1]
	v_pk_add_f32 v[244:245], v[244:245], v[8:9] neg_lo:[0,1] neg_hi:[0,1]
	s_wait_dscnt 0x0
	v_pk_mul_f32 v[8:9], v[4:5], v[2:3] op_sel:[0,1]
	s_delay_alu instid0(VALU_DEP_1) | instskip(SKIP_1) | instid1(VALU_DEP_1)
	v_pk_fma_f32 v[10:11], v[4:5], v[0:1], v[8:9] op_sel:[0,0,1] op_sel_hi:[1,1,0] neg_lo:[0,0,1] neg_hi:[0,0,1]
	v_pk_fma_f32 v[4:5], v[4:5], v[0:1], v[8:9] op_sel:[0,0,1] op_sel_hi:[1,0,0]
	v_mov_b32_e32 v11, v5
	v_pk_mul_f32 v[4:5], v[6:7], v[2:3] op_sel:[0,1]
	s_delay_alu instid0(VALU_DEP_1) | instskip(SKIP_1) | instid1(VALU_DEP_1)
	v_pk_fma_f32 v[8:9], v[6:7], v[0:1], v[4:5] op_sel:[0,0,1] op_sel_hi:[1,1,0] neg_lo:[0,0,1] neg_hi:[0,0,1]
	v_pk_fma_f32 v[4:5], v[6:7], v[0:1], v[4:5] op_sel:[0,0,1] op_sel_hi:[1,0,0]
	v_mov_b32_e32 v9, v5
	ds_load_2addr_b64 v[4:7], v236 offset0:59 offset1:60
	v_pk_add_f32 v[240:241], v[240:241], v[10:11] neg_lo:[0,1] neg_hi:[0,1]
	v_pk_add_f32 v[242:243], v[242:243], v[8:9] neg_lo:[0,1] neg_hi:[0,1]
	s_wait_dscnt 0x0
	v_dual_mul_f32 v8, v5, v3 :: v_dual_mul_f32 v10, v5, v0
	s_delay_alu instid0(VALU_DEP_1) | instskip(NEXT) | instid1(VALU_DEP_2)
	v_pk_fma_f32 v[8:9], v[4:5], v[58:59], v[8:9] op_sel_hi:[1,1,0] neg_lo:[0,0,1] neg_hi:[0,0,1]
	v_pk_fma_f32 v[4:5], v[4:5], v[58:59], v[10:11] op_sel:[1,0,0] op_sel_hi:[0,1,0]
	s_delay_alu instid0(VALU_DEP_1) | instskip(SKIP_1) | instid1(VALU_DEP_2)
	v_mov_b32_e32 v9, v5
	v_pk_mul_f32 v[4:5], v[6:7], v[2:3] op_sel:[0,1]
	v_pk_add_f32 v[238:239], v[238:239], v[8:9] neg_lo:[0,1] neg_hi:[0,1]
	s_delay_alu instid0(VALU_DEP_2) | instskip(SKIP_1) | instid1(VALU_DEP_1)
	v_pk_fma_f32 v[8:9], v[6:7], v[0:1], v[4:5] op_sel:[0,0,1] op_sel_hi:[1,1,0] neg_lo:[0,0,1] neg_hi:[0,0,1]
	v_pk_fma_f32 v[4:5], v[6:7], v[0:1], v[4:5] op_sel:[0,0,1] op_sel_hi:[1,0,0]
	v_mov_b32_e32 v9, v5
	ds_load_b64 v[4:5], v236 offset:488
	v_pk_add_f32 v[246:247], v[246:247], v[8:9] neg_lo:[0,1] neg_hi:[0,1]
	s_wait_dscnt 0x0
	v_pk_mul_f32 v[2:3], v[4:5], v[2:3] op_sel:[0,1]
	s_delay_alu instid0(VALU_DEP_1) | instskip(SKIP_1) | instid1(VALU_DEP_1)
	v_pk_fma_f32 v[6:7], v[4:5], v[0:1], v[2:3] op_sel:[0,0,1] op_sel_hi:[1,1,0] neg_lo:[0,0,1] neg_hi:[0,0,1]
	v_pk_fma_f32 v[0:1], v[4:5], v[0:1], v[2:3] op_sel:[0,0,1] op_sel_hi:[1,0,0]
	v_mov_b32_e32 v7, v1
	s_delay_alu instid0(VALU_DEP_1)
	v_pk_add_f32 v[248:249], v[248:249], v[6:7] neg_lo:[0,1] neg_hi:[0,1]
.LBB123_10:
	s_wait_xcnt 0x0
	s_or_b32 exec_lo, exec_lo, s2
	s_delay_alu instid0(SALU_CYCLE_1)
	s_mov_b32 s2, exec_lo
	s_wait_storecnt 0x0
	s_barrier_signal -1
	s_barrier_wait -1
	v_cmpx_eq_u32_e32 1, v234
	s_cbranch_execz .LBB123_17
; %bb.11:
	v_dual_mov_b32 v0, v48 :: v_dual_mov_b32 v1, v49
	v_dual_mov_b32 v2, v46 :: v_dual_mov_b32 v3, v47
	ds_store_b64 v235, v[56:57]
	ds_store_2addr_b64 v236, v[0:1], v[2:3] offset0:2 offset1:3
	v_dual_mov_b32 v0, v28 :: v_dual_mov_b32 v1, v29
	v_dual_mov_b32 v2, v22 :: v_dual_mov_b32 v3, v23
	ds_store_2addr_b64 v236, v[0:1], v[2:3] offset0:4 offset1:5
	v_dual_mov_b32 v0, v24 :: v_dual_mov_b32 v1, v25
	v_dual_mov_b32 v2, v20 :: v_dual_mov_b32 v3, v21
	;; [unrolled: 3-line block ×28, first 2 shown]
	ds_store_2addr_b64 v236, v[0:1], v[2:3] offset0:58 offset1:59
	v_dual_mov_b32 v0, v246 :: v_dual_mov_b32 v1, v247
	ds_store_2addr_b64 v236, v[0:1], v[248:249] offset0:60 offset1:61
	ds_load_b64 v[0:1], v235
	s_wait_dscnt 0x0
	v_cmp_neq_f32_e32 vcc_lo, 0, v0
	v_cmp_neq_f32_e64 s1, 0, v1
	s_or_b32 s1, vcc_lo, s1
	s_delay_alu instid0(SALU_CYCLE_1)
	s_and_b32 exec_lo, exec_lo, s1
	s_cbranch_execz .LBB123_17
; %bb.12:
	v_cmp_ngt_f32_e64 s1, |v0|, |v1|
                                        ; implicit-def: $vgpr2_vgpr3
	s_and_saveexec_b32 s4, s1
	s_delay_alu instid0(SALU_CYCLE_1)
	s_xor_b32 s1, exec_lo, s4
	s_cbranch_execz .LBB123_14
; %bb.13:
	v_div_scale_f32 v2, null, v1, v1, v0
	v_div_scale_f32 v5, vcc_lo, v0, v1, v0
	s_delay_alu instid0(VALU_DEP_2) | instskip(SKIP_1) | instid1(TRANS32_DEP_1)
	v_rcp_f32_e32 v3, v2
	v_nop
	v_fma_f32 v4, -v2, v3, 1.0
	s_delay_alu instid0(VALU_DEP_1) | instskip(NEXT) | instid1(VALU_DEP_1)
	v_fmac_f32_e32 v3, v4, v3
	v_mul_f32_e32 v4, v5, v3
	s_delay_alu instid0(VALU_DEP_1) | instskip(NEXT) | instid1(VALU_DEP_1)
	v_fma_f32 v6, -v2, v4, v5
	v_fmac_f32_e32 v4, v6, v3
	s_delay_alu instid0(VALU_DEP_1) | instskip(NEXT) | instid1(VALU_DEP_1)
	v_fma_f32 v2, -v2, v4, v5
	v_div_fmas_f32 v2, v2, v3, v4
	s_delay_alu instid0(VALU_DEP_1) | instskip(NEXT) | instid1(VALU_DEP_1)
	v_div_fixup_f32 v2, v2, v1, v0
	v_fmac_f32_e32 v1, v0, v2
	s_delay_alu instid0(VALU_DEP_1) | instskip(SKIP_1) | instid1(VALU_DEP_2)
	v_div_scale_f32 v0, null, v1, v1, 1.0
	v_div_scale_f32 v5, vcc_lo, 1.0, v1, 1.0
	v_rcp_f32_e32 v3, v0
	v_nop
	s_delay_alu instid0(TRANS32_DEP_1) | instskip(NEXT) | instid1(VALU_DEP_1)
	v_fma_f32 v4, -v0, v3, 1.0
	v_fmac_f32_e32 v3, v4, v3
	s_delay_alu instid0(VALU_DEP_1) | instskip(NEXT) | instid1(VALU_DEP_1)
	v_mul_f32_e32 v4, v5, v3
	v_fma_f32 v6, -v0, v4, v5
	s_delay_alu instid0(VALU_DEP_1) | instskip(NEXT) | instid1(VALU_DEP_1)
	v_fmac_f32_e32 v4, v6, v3
	v_fma_f32 v0, -v0, v4, v5
	s_delay_alu instid0(VALU_DEP_1) | instskip(NEXT) | instid1(VALU_DEP_1)
	v_div_fmas_f32 v0, v0, v3, v4
	v_div_fixup_f32 v0, v0, v1, 1.0
	s_delay_alu instid0(VALU_DEP_1)
	v_mul_f32_e32 v2, v2, v0
	v_xor_b32_e32 v3, 0x80000000, v0
                                        ; implicit-def: $vgpr0_vgpr1
.LBB123_14:
	s_and_not1_saveexec_b32 s1, s1
	s_cbranch_execz .LBB123_16
; %bb.15:
	v_div_scale_f32 v2, null, v0, v0, v1
	v_div_scale_f32 v5, vcc_lo, v1, v0, v1
	s_delay_alu instid0(VALU_DEP_2) | instskip(SKIP_1) | instid1(TRANS32_DEP_1)
	v_rcp_f32_e32 v3, v2
	v_nop
	v_fma_f32 v4, -v2, v3, 1.0
	s_delay_alu instid0(VALU_DEP_1) | instskip(NEXT) | instid1(VALU_DEP_1)
	v_fmac_f32_e32 v3, v4, v3
	v_mul_f32_e32 v4, v5, v3
	s_delay_alu instid0(VALU_DEP_1) | instskip(NEXT) | instid1(VALU_DEP_1)
	v_fma_f32 v6, -v2, v4, v5
	v_fmac_f32_e32 v4, v6, v3
	s_delay_alu instid0(VALU_DEP_1) | instskip(NEXT) | instid1(VALU_DEP_1)
	v_fma_f32 v2, -v2, v4, v5
	v_div_fmas_f32 v2, v2, v3, v4
	s_delay_alu instid0(VALU_DEP_1) | instskip(NEXT) | instid1(VALU_DEP_1)
	v_div_fixup_f32 v3, v2, v0, v1
	v_fmac_f32_e32 v0, v1, v3
	s_delay_alu instid0(VALU_DEP_1) | instskip(NEXT) | instid1(VALU_DEP_1)
	v_div_scale_f32 v1, null, v0, v0, 1.0
	v_rcp_f32_e32 v2, v1
	v_nop
	s_delay_alu instid0(TRANS32_DEP_1) | instskip(NEXT) | instid1(VALU_DEP_1)
	v_fma_f32 v4, -v1, v2, 1.0
	v_fmac_f32_e32 v2, v4, v2
	v_div_scale_f32 v4, vcc_lo, 1.0, v0, 1.0
	s_delay_alu instid0(VALU_DEP_1) | instskip(NEXT) | instid1(VALU_DEP_1)
	v_mul_f32_e32 v5, v4, v2
	v_fma_f32 v6, -v1, v5, v4
	s_delay_alu instid0(VALU_DEP_1) | instskip(NEXT) | instid1(VALU_DEP_1)
	v_fmac_f32_e32 v5, v6, v2
	v_fma_f32 v1, -v1, v5, v4
	s_delay_alu instid0(VALU_DEP_1) | instskip(NEXT) | instid1(VALU_DEP_1)
	v_div_fmas_f32 v1, v1, v2, v5
	v_div_fixup_f32 v2, v1, v0, 1.0
	s_delay_alu instid0(VALU_DEP_1)
	v_mul_f32_e64 v3, v3, -v2
.LBB123_16:
	s_or_b32 exec_lo, exec_lo, s1
	ds_store_b64 v235, v[2:3]
.LBB123_17:
	s_or_b32 exec_lo, exec_lo, s2
	s_wait_dscnt 0x0
	s_barrier_signal -1
	s_barrier_wait -1
	ds_load_b64 v[0:1], v235
	s_mov_b32 s1, exec_lo
	s_wait_dscnt 0x0
	scratch_store_b64 off, v[0:1], off offset:496 ; 8-byte Folded Spill
	s_wait_xcnt 0x0
	v_cmpx_lt_u32_e32 1, v234
	s_cbranch_execz .LBB123_19
; %bb.18:
	scratch_load_b64 v[4:5], off, off offset:496 ; 8-byte Folded Reload
	s_wait_loadcnt 0x0
	v_pk_mul_f32 v[2:3], v[4:5], v[56:57] op_sel:[1,1] op_sel_hi:[0,1]
	s_delay_alu instid0(VALU_DEP_1)
	v_pk_fma_f32 v[0:1], v[4:5], v[56:57], v[2:3] op_sel_hi:[1,0,1] neg_lo:[0,0,1] neg_hi:[0,0,1]
	v_pk_fma_f32 v[2:3], v[4:5], v[56:57], v[2:3] op_sel_hi:[1,0,1]
	ds_load_2addr_b64 v[4:7], v236 offset0:2 offset1:3
	v_dual_mov_b32 v56, v0 :: v_dual_mov_b32 v57, v3
	s_wait_dscnt 0x0
	v_pk_mul_f32 v[8:9], v[4:5], v[2:3] op_sel:[0,1]
	s_delay_alu instid0(VALU_DEP_1) | instskip(SKIP_1) | instid1(VALU_DEP_1)
	v_pk_fma_f32 v[10:11], v[4:5], v[0:1], v[8:9] op_sel:[0,0,1] op_sel_hi:[1,1,0] neg_lo:[0,0,1] neg_hi:[0,0,1]
	v_pk_fma_f32 v[4:5], v[4:5], v[0:1], v[8:9] op_sel:[0,0,1] op_sel_hi:[1,0,0]
	v_mov_b32_e32 v11, v5
	v_pk_mul_f32 v[4:5], v[6:7], v[2:3] op_sel:[0,1]
	s_delay_alu instid0(VALU_DEP_1) | instskip(SKIP_1) | instid1(VALU_DEP_1)
	v_pk_fma_f32 v[8:9], v[6:7], v[0:1], v[4:5] op_sel:[0,0,1] op_sel_hi:[1,1,0] neg_lo:[0,0,1] neg_hi:[0,0,1]
	v_pk_fma_f32 v[4:5], v[6:7], v[0:1], v[4:5] op_sel:[0,0,1] op_sel_hi:[1,0,0]
	v_mov_b32_e32 v9, v5
	ds_load_2addr_b64 v[4:7], v236 offset0:4 offset1:5
	v_pk_add_f32 v[48:49], v[48:49], v[10:11] neg_lo:[0,1] neg_hi:[0,1]
	v_pk_add_f32 v[46:47], v[46:47], v[8:9] neg_lo:[0,1] neg_hi:[0,1]
	s_wait_dscnt 0x0
	v_pk_mul_f32 v[8:9], v[4:5], v[2:3] op_sel:[0,1]
	s_delay_alu instid0(VALU_DEP_1) | instskip(SKIP_2) | instid1(VALU_DEP_2)
	v_pk_fma_f32 v[10:11], v[4:5], v[0:1], v[8:9] op_sel:[0,0,1] op_sel_hi:[1,1,0] neg_lo:[0,0,1] neg_hi:[0,0,1]
	v_pk_fma_f32 v[4:5], v[4:5], v[0:1], v[8:9] op_sel:[0,0,1] op_sel_hi:[1,0,0]
	v_dual_mul_f32 v8, v7, v3 :: v_dual_mov_b32 v4, v7
	v_dual_mov_b32 v11, v5 :: v_dual_mov_b32 v5, v6
	s_delay_alu instid0(VALU_DEP_2) | instskip(SKIP_1) | instid1(VALU_DEP_3)
	v_pk_fma_f32 v[8:9], v[6:7], v[56:57], v[8:9] op_sel_hi:[1,1,0] neg_lo:[0,0,1] neg_hi:[0,0,1]
	v_mul_f32_e32 v6, v7, v0
	v_pk_add_f32 v[28:29], v[28:29], v[10:11] neg_lo:[0,1] neg_hi:[0,1]
	s_delay_alu instid0(VALU_DEP_2) | instskip(NEXT) | instid1(VALU_DEP_1)
	v_pk_fma_f32 v[4:5], v[4:5], v[56:57], v[6:7] op_sel_hi:[1,1,0]
	v_mov_b32_e32 v9, v5
	ds_load_2addr_b64 v[4:7], v236 offset0:6 offset1:7
	v_pk_add_f32 v[22:23], v[22:23], v[8:9] neg_lo:[0,1] neg_hi:[0,1]
	s_wait_dscnt 0x0
	v_pk_mul_f32 v[8:9], v[4:5], v[2:3] op_sel:[0,1]
	s_delay_alu instid0(VALU_DEP_1) | instskip(SKIP_1) | instid1(VALU_DEP_1)
	v_pk_fma_f32 v[10:11], v[4:5], v[0:1], v[8:9] op_sel:[0,0,1] op_sel_hi:[1,1,0] neg_lo:[0,0,1] neg_hi:[0,0,1]
	v_pk_fma_f32 v[4:5], v[4:5], v[0:1], v[8:9] op_sel:[0,0,1] op_sel_hi:[1,0,0]
	v_mov_b32_e32 v11, v5
	v_pk_mul_f32 v[4:5], v[6:7], v[2:3] op_sel:[0,1]
	s_delay_alu instid0(VALU_DEP_1) | instskip(SKIP_1) | instid1(VALU_DEP_1)
	v_pk_fma_f32 v[8:9], v[6:7], v[0:1], v[4:5] op_sel:[0,0,1] op_sel_hi:[1,1,0] neg_lo:[0,0,1] neg_hi:[0,0,1]
	v_pk_fma_f32 v[4:5], v[6:7], v[0:1], v[4:5] op_sel:[0,0,1] op_sel_hi:[1,0,0]
	v_mov_b32_e32 v9, v5
	ds_load_2addr_b64 v[4:7], v236 offset0:8 offset1:9
	v_pk_add_f32 v[24:25], v[24:25], v[10:11] neg_lo:[0,1] neg_hi:[0,1]
	v_pk_add_f32 v[20:21], v[20:21], v[8:9] neg_lo:[0,1] neg_hi:[0,1]
	s_wait_dscnt 0x0
	v_pk_mul_f32 v[8:9], v[4:5], v[2:3] op_sel:[0,1]
	s_delay_alu instid0(VALU_DEP_1) | instskip(SKIP_1) | instid1(VALU_DEP_1)
	v_pk_fma_f32 v[10:11], v[4:5], v[0:1], v[8:9] op_sel:[0,0,1] op_sel_hi:[1,1,0] neg_lo:[0,0,1] neg_hi:[0,0,1]
	v_pk_fma_f32 v[4:5], v[4:5], v[0:1], v[8:9] op_sel:[0,0,1] op_sel_hi:[1,0,0]
	v_mov_b32_e32 v11, v5
	v_pk_mul_f32 v[4:5], v[6:7], v[2:3] op_sel:[0,1]
	s_delay_alu instid0(VALU_DEP_1) | instskip(SKIP_1) | instid1(VALU_DEP_1)
	v_pk_fma_f32 v[8:9], v[6:7], v[0:1], v[4:5] op_sel:[0,0,1] op_sel_hi:[1,1,0] neg_lo:[0,0,1] neg_hi:[0,0,1]
	v_pk_fma_f32 v[4:5], v[6:7], v[0:1], v[4:5] op_sel:[0,0,1] op_sel_hi:[1,0,0]
	v_mov_b32_e32 v9, v5
	ds_load_2addr_b64 v[4:7], v236 offset0:10 offset1:11
	v_pk_add_f32 v[42:43], v[42:43], v[10:11] neg_lo:[0,1] neg_hi:[0,1]
	v_pk_add_f32 v[38:39], v[38:39], v[8:9] neg_lo:[0,1] neg_hi:[0,1]
	s_wait_dscnt 0x0
	v_dual_mul_f32 v8, v5, v3 :: v_dual_mul_f32 v10, v5, v0
	s_delay_alu instid0(VALU_DEP_1) | instskip(NEXT) | instid1(VALU_DEP_2)
	v_pk_fma_f32 v[8:9], v[4:5], v[56:57], v[8:9] op_sel_hi:[1,1,0] neg_lo:[0,0,1] neg_hi:[0,0,1]
	v_pk_fma_f32 v[4:5], v[4:5], v[56:57], v[10:11] op_sel:[1,0,0] op_sel_hi:[0,1,0]
	s_delay_alu instid0(VALU_DEP_1) | instskip(SKIP_1) | instid1(VALU_DEP_2)
	v_mov_b32_e32 v9, v5
	v_pk_mul_f32 v[4:5], v[6:7], v[2:3] op_sel:[0,1]
	v_pk_add_f32 v[40:41], v[40:41], v[8:9] neg_lo:[0,1] neg_hi:[0,1]
	s_delay_alu instid0(VALU_DEP_2) | instskip(SKIP_1) | instid1(VALU_DEP_1)
	v_pk_fma_f32 v[8:9], v[6:7], v[0:1], v[4:5] op_sel:[0,0,1] op_sel_hi:[1,1,0] neg_lo:[0,0,1] neg_hi:[0,0,1]
	v_pk_fma_f32 v[4:5], v[6:7], v[0:1], v[4:5] op_sel:[0,0,1] op_sel_hi:[1,0,0]
	v_mov_b32_e32 v9, v5
	ds_load_2addr_b64 v[4:7], v236 offset0:12 offset1:13
	v_pk_add_f32 v[36:37], v[36:37], v[8:9] neg_lo:[0,1] neg_hi:[0,1]
	s_wait_dscnt 0x0
	v_pk_mul_f32 v[8:9], v[4:5], v[2:3] op_sel:[0,1]
	s_delay_alu instid0(VALU_DEP_1) | instskip(SKIP_1) | instid1(VALU_DEP_1)
	v_pk_fma_f32 v[10:11], v[4:5], v[0:1], v[8:9] op_sel:[0,0,1] op_sel_hi:[1,1,0] neg_lo:[0,0,1] neg_hi:[0,0,1]
	v_pk_fma_f32 v[4:5], v[4:5], v[0:1], v[8:9] op_sel:[0,0,1] op_sel_hi:[1,0,0]
	v_mov_b32_e32 v11, v5
	v_pk_mul_f32 v[4:5], v[6:7], v[2:3] op_sel:[0,1]
	s_delay_alu instid0(VALU_DEP_2) | instskip(NEXT) | instid1(VALU_DEP_2)
	v_pk_add_f32 v[66:67], v[66:67], v[10:11] neg_lo:[0,1] neg_hi:[0,1]
	v_pk_fma_f32 v[8:9], v[6:7], v[0:1], v[4:5] op_sel:[0,0,1] op_sel_hi:[1,1,0] neg_lo:[0,0,1] neg_hi:[0,0,1]
	v_pk_fma_f32 v[4:5], v[6:7], v[0:1], v[4:5] op_sel:[0,0,1] op_sel_hi:[1,0,0]
	s_delay_alu instid0(VALU_DEP_1) | instskip(SKIP_4) | instid1(VALU_DEP_1)
	v_mov_b32_e32 v9, v5
	ds_load_2addr_b64 v[4:7], v236 offset0:14 offset1:15
	v_pk_add_f32 v[62:63], v[62:63], v[8:9] neg_lo:[0,1] neg_hi:[0,1]
	s_wait_dscnt 0x0
	v_pk_mul_f32 v[8:9], v[4:5], v[2:3] op_sel:[0,1]
	v_pk_fma_f32 v[10:11], v[4:5], v[0:1], v[8:9] op_sel:[0,0,1] op_sel_hi:[1,1,0] neg_lo:[0,0,1] neg_hi:[0,0,1]
	v_pk_fma_f32 v[4:5], v[4:5], v[0:1], v[8:9] op_sel:[0,0,1] op_sel_hi:[1,0,0]
	v_dual_mul_f32 v8, v7, v3 :: v_dual_mov_b32 v4, v7
	s_delay_alu instid0(VALU_DEP_2) | instskip(NEXT) | instid1(VALU_DEP_2)
	v_dual_mov_b32 v11, v5 :: v_dual_mov_b32 v5, v6
	v_pk_fma_f32 v[8:9], v[6:7], v[56:57], v[8:9] op_sel_hi:[1,1,0] neg_lo:[0,0,1] neg_hi:[0,0,1]
	v_mul_f32_e32 v6, v7, v0
	s_delay_alu instid0(VALU_DEP_3) | instskip(NEXT) | instid1(VALU_DEP_2)
	v_pk_add_f32 v[64:65], v[64:65], v[10:11] neg_lo:[0,1] neg_hi:[0,1]
	v_pk_fma_f32 v[4:5], v[4:5], v[56:57], v[6:7] op_sel_hi:[1,1,0]
	s_delay_alu instid0(VALU_DEP_1) | instskip(SKIP_4) | instid1(VALU_DEP_1)
	v_mov_b32_e32 v9, v5
	ds_load_2addr_b64 v[4:7], v236 offset0:16 offset1:17
	v_pk_add_f32 v[60:61], v[60:61], v[8:9] neg_lo:[0,1] neg_hi:[0,1]
	s_wait_dscnt 0x0
	v_pk_mul_f32 v[8:9], v[4:5], v[2:3] op_sel:[0,1]
	v_pk_fma_f32 v[10:11], v[4:5], v[0:1], v[8:9] op_sel:[0,0,1] op_sel_hi:[1,1,0] neg_lo:[0,0,1] neg_hi:[0,0,1]
	v_pk_fma_f32 v[4:5], v[4:5], v[0:1], v[8:9] op_sel:[0,0,1] op_sel_hi:[1,0,0]
	s_delay_alu instid0(VALU_DEP_1) | instskip(SKIP_1) | instid1(VALU_DEP_1)
	v_mov_b32_e32 v11, v5
	v_pk_mul_f32 v[4:5], v[6:7], v[2:3] op_sel:[0,1]
	v_pk_fma_f32 v[8:9], v[6:7], v[0:1], v[4:5] op_sel:[0,0,1] op_sel_hi:[1,1,0] neg_lo:[0,0,1] neg_hi:[0,0,1]
	v_pk_fma_f32 v[4:5], v[6:7], v[0:1], v[4:5] op_sel:[0,0,1] op_sel_hi:[1,0,0]
	s_delay_alu instid0(VALU_DEP_1)
	v_mov_b32_e32 v9, v5
	ds_load_2addr_b64 v[4:7], v236 offset0:18 offset1:19
	v_pk_add_f32 v[82:83], v[82:83], v[10:11] neg_lo:[0,1] neg_hi:[0,1]
	v_pk_add_f32 v[78:79], v[78:79], v[8:9] neg_lo:[0,1] neg_hi:[0,1]
	s_wait_dscnt 0x0
	v_pk_mul_f32 v[8:9], v[4:5], v[2:3] op_sel:[0,1]
	s_delay_alu instid0(VALU_DEP_1) | instskip(SKIP_1) | instid1(VALU_DEP_1)
	v_pk_fma_f32 v[10:11], v[4:5], v[0:1], v[8:9] op_sel:[0,0,1] op_sel_hi:[1,1,0] neg_lo:[0,0,1] neg_hi:[0,0,1]
	v_pk_fma_f32 v[4:5], v[4:5], v[0:1], v[8:9] op_sel:[0,0,1] op_sel_hi:[1,0,0]
	v_mov_b32_e32 v11, v5
	v_pk_mul_f32 v[4:5], v[6:7], v[2:3] op_sel:[0,1]
	s_delay_alu instid0(VALU_DEP_1) | instskip(SKIP_1) | instid1(VALU_DEP_1)
	v_pk_fma_f32 v[8:9], v[6:7], v[0:1], v[4:5] op_sel:[0,0,1] op_sel_hi:[1,1,0] neg_lo:[0,0,1] neg_hi:[0,0,1]
	v_pk_fma_f32 v[4:5], v[6:7], v[0:1], v[4:5] op_sel:[0,0,1] op_sel_hi:[1,0,0]
	v_mov_b32_e32 v9, v5
	ds_load_2addr_b64 v[4:7], v236 offset0:20 offset1:21
	v_pk_add_f32 v[80:81], v[80:81], v[10:11] neg_lo:[0,1] neg_hi:[0,1]
	v_pk_add_f32 v[76:77], v[76:77], v[8:9] neg_lo:[0,1] neg_hi:[0,1]
	s_wait_dscnt 0x0
	v_dual_mul_f32 v8, v5, v3 :: v_dual_mul_f32 v10, v5, v0
	s_delay_alu instid0(VALU_DEP_1) | instskip(NEXT) | instid1(VALU_DEP_2)
	v_pk_fma_f32 v[8:9], v[4:5], v[56:57], v[8:9] op_sel_hi:[1,1,0] neg_lo:[0,0,1] neg_hi:[0,0,1]
	v_pk_fma_f32 v[4:5], v[4:5], v[56:57], v[10:11] op_sel:[1,0,0] op_sel_hi:[0,1,0]
	s_delay_alu instid0(VALU_DEP_1) | instskip(SKIP_1) | instid1(VALU_DEP_2)
	v_mov_b32_e32 v9, v5
	v_pk_mul_f32 v[4:5], v[6:7], v[2:3] op_sel:[0,1]
	v_pk_add_f32 v[98:99], v[98:99], v[8:9] neg_lo:[0,1] neg_hi:[0,1]
	s_delay_alu instid0(VALU_DEP_2) | instskip(SKIP_1) | instid1(VALU_DEP_1)
	v_pk_fma_f32 v[8:9], v[6:7], v[0:1], v[4:5] op_sel:[0,0,1] op_sel_hi:[1,1,0] neg_lo:[0,0,1] neg_hi:[0,0,1]
	v_pk_fma_f32 v[4:5], v[6:7], v[0:1], v[4:5] op_sel:[0,0,1] op_sel_hi:[1,0,0]
	v_mov_b32_e32 v9, v5
	ds_load_2addr_b64 v[4:7], v236 offset0:22 offset1:23
	v_pk_add_f32 v[94:95], v[94:95], v[8:9] neg_lo:[0,1] neg_hi:[0,1]
	s_wait_dscnt 0x0
	v_pk_mul_f32 v[8:9], v[4:5], v[2:3] op_sel:[0,1]
	s_delay_alu instid0(VALU_DEP_1) | instskip(SKIP_1) | instid1(VALU_DEP_1)
	v_pk_fma_f32 v[10:11], v[4:5], v[0:1], v[8:9] op_sel:[0,0,1] op_sel_hi:[1,1,0] neg_lo:[0,0,1] neg_hi:[0,0,1]
	v_pk_fma_f32 v[4:5], v[4:5], v[0:1], v[8:9] op_sel:[0,0,1] op_sel_hi:[1,0,0]
	v_mov_b32_e32 v11, v5
	v_pk_mul_f32 v[4:5], v[6:7], v[2:3] op_sel:[0,1]
	s_delay_alu instid0(VALU_DEP_2) | instskip(NEXT) | instid1(VALU_DEP_2)
	v_pk_add_f32 v[96:97], v[96:97], v[10:11] neg_lo:[0,1] neg_hi:[0,1]
	v_pk_fma_f32 v[8:9], v[6:7], v[0:1], v[4:5] op_sel:[0,0,1] op_sel_hi:[1,1,0] neg_lo:[0,0,1] neg_hi:[0,0,1]
	v_pk_fma_f32 v[4:5], v[6:7], v[0:1], v[4:5] op_sel:[0,0,1] op_sel_hi:[1,0,0]
	s_delay_alu instid0(VALU_DEP_1) | instskip(SKIP_4) | instid1(VALU_DEP_1)
	v_mov_b32_e32 v9, v5
	ds_load_2addr_b64 v[4:7], v236 offset0:24 offset1:25
	v_pk_add_f32 v[92:93], v[92:93], v[8:9] neg_lo:[0,1] neg_hi:[0,1]
	s_wait_dscnt 0x0
	v_pk_mul_f32 v[8:9], v[4:5], v[2:3] op_sel:[0,1]
	v_pk_fma_f32 v[10:11], v[4:5], v[0:1], v[8:9] op_sel:[0,0,1] op_sel_hi:[1,1,0] neg_lo:[0,0,1] neg_hi:[0,0,1]
	v_pk_fma_f32 v[4:5], v[4:5], v[0:1], v[8:9] op_sel:[0,0,1] op_sel_hi:[1,0,0]
	v_dual_mul_f32 v8, v7, v3 :: v_dual_mov_b32 v4, v7
	s_delay_alu instid0(VALU_DEP_2) | instskip(NEXT) | instid1(VALU_DEP_2)
	v_dual_mov_b32 v11, v5 :: v_dual_mov_b32 v5, v6
	v_pk_fma_f32 v[8:9], v[6:7], v[56:57], v[8:9] op_sel_hi:[1,1,0] neg_lo:[0,0,1] neg_hi:[0,0,1]
	v_mul_f32_e32 v6, v7, v0
	s_delay_alu instid0(VALU_DEP_3) | instskip(NEXT) | instid1(VALU_DEP_2)
	v_pk_add_f32 v[114:115], v[114:115], v[10:11] neg_lo:[0,1] neg_hi:[0,1]
	v_pk_fma_f32 v[4:5], v[4:5], v[56:57], v[6:7] op_sel_hi:[1,1,0]
	s_delay_alu instid0(VALU_DEP_1) | instskip(SKIP_4) | instid1(VALU_DEP_1)
	v_mov_b32_e32 v9, v5
	ds_load_2addr_b64 v[4:7], v236 offset0:26 offset1:27
	v_pk_add_f32 v[110:111], v[110:111], v[8:9] neg_lo:[0,1] neg_hi:[0,1]
	s_wait_dscnt 0x0
	v_pk_mul_f32 v[8:9], v[4:5], v[2:3] op_sel:[0,1]
	v_pk_fma_f32 v[10:11], v[4:5], v[0:1], v[8:9] op_sel:[0,0,1] op_sel_hi:[1,1,0] neg_lo:[0,0,1] neg_hi:[0,0,1]
	v_pk_fma_f32 v[4:5], v[4:5], v[0:1], v[8:9] op_sel:[0,0,1] op_sel_hi:[1,0,0]
	s_delay_alu instid0(VALU_DEP_1) | instskip(SKIP_1) | instid1(VALU_DEP_1)
	v_mov_b32_e32 v11, v5
	v_pk_mul_f32 v[4:5], v[6:7], v[2:3] op_sel:[0,1]
	v_pk_fma_f32 v[8:9], v[6:7], v[0:1], v[4:5] op_sel:[0,0,1] op_sel_hi:[1,1,0] neg_lo:[0,0,1] neg_hi:[0,0,1]
	v_pk_fma_f32 v[4:5], v[6:7], v[0:1], v[4:5] op_sel:[0,0,1] op_sel_hi:[1,0,0]
	s_delay_alu instid0(VALU_DEP_1)
	v_mov_b32_e32 v9, v5
	ds_load_2addr_b64 v[4:7], v236 offset0:28 offset1:29
	v_pk_add_f32 v[112:113], v[112:113], v[10:11] neg_lo:[0,1] neg_hi:[0,1]
	v_pk_add_f32 v[108:109], v[108:109], v[8:9] neg_lo:[0,1] neg_hi:[0,1]
	s_wait_dscnt 0x0
	v_pk_mul_f32 v[8:9], v[4:5], v[2:3] op_sel:[0,1]
	s_delay_alu instid0(VALU_DEP_1) | instskip(SKIP_1) | instid1(VALU_DEP_1)
	v_pk_fma_f32 v[10:11], v[4:5], v[0:1], v[8:9] op_sel:[0,0,1] op_sel_hi:[1,1,0] neg_lo:[0,0,1] neg_hi:[0,0,1]
	v_pk_fma_f32 v[4:5], v[4:5], v[0:1], v[8:9] op_sel:[0,0,1] op_sel_hi:[1,0,0]
	v_mov_b32_e32 v11, v5
	v_pk_mul_f32 v[4:5], v[6:7], v[2:3] op_sel:[0,1]
	s_delay_alu instid0(VALU_DEP_1) | instskip(SKIP_1) | instid1(VALU_DEP_1)
	v_pk_fma_f32 v[8:9], v[6:7], v[0:1], v[4:5] op_sel:[0,0,1] op_sel_hi:[1,1,0] neg_lo:[0,0,1] neg_hi:[0,0,1]
	v_pk_fma_f32 v[4:5], v[6:7], v[0:1], v[4:5] op_sel:[0,0,1] op_sel_hi:[1,0,0]
	v_mov_b32_e32 v9, v5
	ds_load_2addr_b64 v[4:7], v236 offset0:30 offset1:31
	v_pk_add_f32 v[130:131], v[130:131], v[10:11] neg_lo:[0,1] neg_hi:[0,1]
	v_pk_add_f32 v[126:127], v[126:127], v[8:9] neg_lo:[0,1] neg_hi:[0,1]
	s_wait_dscnt 0x0
	v_dual_mul_f32 v8, v5, v3 :: v_dual_mul_f32 v10, v5, v0
	s_delay_alu instid0(VALU_DEP_1) | instskip(NEXT) | instid1(VALU_DEP_2)
	v_pk_fma_f32 v[8:9], v[4:5], v[56:57], v[8:9] op_sel_hi:[1,1,0] neg_lo:[0,0,1] neg_hi:[0,0,1]
	v_pk_fma_f32 v[4:5], v[4:5], v[56:57], v[10:11] op_sel:[1,0,0] op_sel_hi:[0,1,0]
	s_delay_alu instid0(VALU_DEP_1) | instskip(SKIP_1) | instid1(VALU_DEP_2)
	v_mov_b32_e32 v9, v5
	v_pk_mul_f32 v[4:5], v[6:7], v[2:3] op_sel:[0,1]
	v_pk_add_f32 v[128:129], v[128:129], v[8:9] neg_lo:[0,1] neg_hi:[0,1]
	s_delay_alu instid0(VALU_DEP_2) | instskip(SKIP_1) | instid1(VALU_DEP_1)
	v_pk_fma_f32 v[8:9], v[6:7], v[0:1], v[4:5] op_sel:[0,0,1] op_sel_hi:[1,1,0] neg_lo:[0,0,1] neg_hi:[0,0,1]
	v_pk_fma_f32 v[4:5], v[6:7], v[0:1], v[4:5] op_sel:[0,0,1] op_sel_hi:[1,0,0]
	v_mov_b32_e32 v9, v5
	ds_load_2addr_b64 v[4:7], v236 offset0:32 offset1:33
	v_pk_add_f32 v[124:125], v[124:125], v[8:9] neg_lo:[0,1] neg_hi:[0,1]
	s_wait_dscnt 0x0
	v_pk_mul_f32 v[8:9], v[4:5], v[2:3] op_sel:[0,1]
	s_delay_alu instid0(VALU_DEP_1) | instskip(SKIP_1) | instid1(VALU_DEP_1)
	v_pk_fma_f32 v[10:11], v[4:5], v[0:1], v[8:9] op_sel:[0,0,1] op_sel_hi:[1,1,0] neg_lo:[0,0,1] neg_hi:[0,0,1]
	v_pk_fma_f32 v[4:5], v[4:5], v[0:1], v[8:9] op_sel:[0,0,1] op_sel_hi:[1,0,0]
	v_mov_b32_e32 v11, v5
	v_pk_mul_f32 v[4:5], v[6:7], v[2:3] op_sel:[0,1]
	s_delay_alu instid0(VALU_DEP_2) | instskip(NEXT) | instid1(VALU_DEP_2)
	v_pk_add_f32 v[146:147], v[146:147], v[10:11] neg_lo:[0,1] neg_hi:[0,1]
	v_pk_fma_f32 v[8:9], v[6:7], v[0:1], v[4:5] op_sel:[0,0,1] op_sel_hi:[1,1,0] neg_lo:[0,0,1] neg_hi:[0,0,1]
	v_pk_fma_f32 v[4:5], v[6:7], v[0:1], v[4:5] op_sel:[0,0,1] op_sel_hi:[1,0,0]
	s_delay_alu instid0(VALU_DEP_1) | instskip(SKIP_4) | instid1(VALU_DEP_1)
	v_mov_b32_e32 v9, v5
	ds_load_2addr_b64 v[4:7], v236 offset0:34 offset1:35
	v_pk_add_f32 v[142:143], v[142:143], v[8:9] neg_lo:[0,1] neg_hi:[0,1]
	s_wait_dscnt 0x0
	v_pk_mul_f32 v[8:9], v[4:5], v[2:3] op_sel:[0,1]
	v_pk_fma_f32 v[10:11], v[4:5], v[0:1], v[8:9] op_sel:[0,0,1] op_sel_hi:[1,1,0] neg_lo:[0,0,1] neg_hi:[0,0,1]
	v_pk_fma_f32 v[4:5], v[4:5], v[0:1], v[8:9] op_sel:[0,0,1] op_sel_hi:[1,0,0]
	v_dual_mul_f32 v8, v7, v3 :: v_dual_mov_b32 v4, v7
	s_delay_alu instid0(VALU_DEP_2) | instskip(NEXT) | instid1(VALU_DEP_2)
	v_dual_mov_b32 v11, v5 :: v_dual_mov_b32 v5, v6
	v_pk_fma_f32 v[8:9], v[6:7], v[56:57], v[8:9] op_sel_hi:[1,1,0] neg_lo:[0,0,1] neg_hi:[0,0,1]
	v_mul_f32_e32 v6, v7, v0
	s_delay_alu instid0(VALU_DEP_3) | instskip(NEXT) | instid1(VALU_DEP_2)
	v_pk_add_f32 v[144:145], v[144:145], v[10:11] neg_lo:[0,1] neg_hi:[0,1]
	v_pk_fma_f32 v[4:5], v[4:5], v[56:57], v[6:7] op_sel_hi:[1,1,0]
	s_delay_alu instid0(VALU_DEP_1) | instskip(SKIP_4) | instid1(VALU_DEP_1)
	v_mov_b32_e32 v9, v5
	ds_load_2addr_b64 v[4:7], v236 offset0:36 offset1:37
	v_pk_add_f32 v[140:141], v[140:141], v[8:9] neg_lo:[0,1] neg_hi:[0,1]
	s_wait_dscnt 0x0
	v_pk_mul_f32 v[8:9], v[4:5], v[2:3] op_sel:[0,1]
	v_pk_fma_f32 v[10:11], v[4:5], v[0:1], v[8:9] op_sel:[0,0,1] op_sel_hi:[1,1,0] neg_lo:[0,0,1] neg_hi:[0,0,1]
	v_pk_fma_f32 v[4:5], v[4:5], v[0:1], v[8:9] op_sel:[0,0,1] op_sel_hi:[1,0,0]
	s_delay_alu instid0(VALU_DEP_1) | instskip(SKIP_1) | instid1(VALU_DEP_1)
	v_mov_b32_e32 v11, v5
	v_pk_mul_f32 v[4:5], v[6:7], v[2:3] op_sel:[0,1]
	v_pk_fma_f32 v[8:9], v[6:7], v[0:1], v[4:5] op_sel:[0,0,1] op_sel_hi:[1,1,0] neg_lo:[0,0,1] neg_hi:[0,0,1]
	v_pk_fma_f32 v[4:5], v[6:7], v[0:1], v[4:5] op_sel:[0,0,1] op_sel_hi:[1,0,0]
	s_delay_alu instid0(VALU_DEP_1)
	v_mov_b32_e32 v9, v5
	ds_load_2addr_b64 v[4:7], v236 offset0:38 offset1:39
	v_pk_add_f32 v[162:163], v[162:163], v[10:11] neg_lo:[0,1] neg_hi:[0,1]
	v_pk_add_f32 v[158:159], v[158:159], v[8:9] neg_lo:[0,1] neg_hi:[0,1]
	s_wait_dscnt 0x0
	v_pk_mul_f32 v[8:9], v[4:5], v[2:3] op_sel:[0,1]
	s_delay_alu instid0(VALU_DEP_1) | instskip(SKIP_1) | instid1(VALU_DEP_1)
	v_pk_fma_f32 v[10:11], v[4:5], v[0:1], v[8:9] op_sel:[0,0,1] op_sel_hi:[1,1,0] neg_lo:[0,0,1] neg_hi:[0,0,1]
	v_pk_fma_f32 v[4:5], v[4:5], v[0:1], v[8:9] op_sel:[0,0,1] op_sel_hi:[1,0,0]
	v_mov_b32_e32 v11, v5
	v_pk_mul_f32 v[4:5], v[6:7], v[2:3] op_sel:[0,1]
	s_delay_alu instid0(VALU_DEP_1) | instskip(SKIP_1) | instid1(VALU_DEP_1)
	v_pk_fma_f32 v[8:9], v[6:7], v[0:1], v[4:5] op_sel:[0,0,1] op_sel_hi:[1,1,0] neg_lo:[0,0,1] neg_hi:[0,0,1]
	v_pk_fma_f32 v[4:5], v[6:7], v[0:1], v[4:5] op_sel:[0,0,1] op_sel_hi:[1,0,0]
	v_mov_b32_e32 v9, v5
	ds_load_2addr_b64 v[4:7], v236 offset0:40 offset1:41
	v_pk_add_f32 v[160:161], v[160:161], v[10:11] neg_lo:[0,1] neg_hi:[0,1]
	v_pk_add_f32 v[156:157], v[156:157], v[8:9] neg_lo:[0,1] neg_hi:[0,1]
	s_wait_dscnt 0x0
	v_dual_mul_f32 v8, v5, v3 :: v_dual_mul_f32 v10, v5, v0
	s_delay_alu instid0(VALU_DEP_1) | instskip(NEXT) | instid1(VALU_DEP_2)
	v_pk_fma_f32 v[8:9], v[4:5], v[56:57], v[8:9] op_sel_hi:[1,1,0] neg_lo:[0,0,1] neg_hi:[0,0,1]
	v_pk_fma_f32 v[4:5], v[4:5], v[56:57], v[10:11] op_sel:[1,0,0] op_sel_hi:[0,1,0]
	s_delay_alu instid0(VALU_DEP_1) | instskip(SKIP_1) | instid1(VALU_DEP_2)
	v_mov_b32_e32 v9, v5
	v_pk_mul_f32 v[4:5], v[6:7], v[2:3] op_sel:[0,1]
	v_pk_add_f32 v[178:179], v[178:179], v[8:9] neg_lo:[0,1] neg_hi:[0,1]
	s_delay_alu instid0(VALU_DEP_2) | instskip(SKIP_1) | instid1(VALU_DEP_1)
	v_pk_fma_f32 v[8:9], v[6:7], v[0:1], v[4:5] op_sel:[0,0,1] op_sel_hi:[1,1,0] neg_lo:[0,0,1] neg_hi:[0,0,1]
	v_pk_fma_f32 v[4:5], v[6:7], v[0:1], v[4:5] op_sel:[0,0,1] op_sel_hi:[1,0,0]
	v_mov_b32_e32 v9, v5
	ds_load_2addr_b64 v[4:7], v236 offset0:42 offset1:43
	v_pk_add_f32 v[174:175], v[174:175], v[8:9] neg_lo:[0,1] neg_hi:[0,1]
	s_wait_dscnt 0x0
	v_pk_mul_f32 v[8:9], v[4:5], v[2:3] op_sel:[0,1]
	s_delay_alu instid0(VALU_DEP_1) | instskip(SKIP_1) | instid1(VALU_DEP_1)
	v_pk_fma_f32 v[10:11], v[4:5], v[0:1], v[8:9] op_sel:[0,0,1] op_sel_hi:[1,1,0] neg_lo:[0,0,1] neg_hi:[0,0,1]
	v_pk_fma_f32 v[4:5], v[4:5], v[0:1], v[8:9] op_sel:[0,0,1] op_sel_hi:[1,0,0]
	v_mov_b32_e32 v11, v5
	v_pk_mul_f32 v[4:5], v[6:7], v[2:3] op_sel:[0,1]
	s_delay_alu instid0(VALU_DEP_2) | instskip(NEXT) | instid1(VALU_DEP_2)
	v_pk_add_f32 v[176:177], v[176:177], v[10:11] neg_lo:[0,1] neg_hi:[0,1]
	v_pk_fma_f32 v[8:9], v[6:7], v[0:1], v[4:5] op_sel:[0,0,1] op_sel_hi:[1,1,0] neg_lo:[0,0,1] neg_hi:[0,0,1]
	v_pk_fma_f32 v[4:5], v[6:7], v[0:1], v[4:5] op_sel:[0,0,1] op_sel_hi:[1,0,0]
	s_delay_alu instid0(VALU_DEP_1) | instskip(SKIP_4) | instid1(VALU_DEP_1)
	v_mov_b32_e32 v9, v5
	ds_load_2addr_b64 v[4:7], v236 offset0:44 offset1:45
	v_pk_add_f32 v[172:173], v[172:173], v[8:9] neg_lo:[0,1] neg_hi:[0,1]
	s_wait_dscnt 0x0
	v_pk_mul_f32 v[8:9], v[4:5], v[2:3] op_sel:[0,1]
	v_pk_fma_f32 v[10:11], v[4:5], v[0:1], v[8:9] op_sel:[0,0,1] op_sel_hi:[1,1,0] neg_lo:[0,0,1] neg_hi:[0,0,1]
	v_pk_fma_f32 v[4:5], v[4:5], v[0:1], v[8:9] op_sel:[0,0,1] op_sel_hi:[1,0,0]
	v_dual_mul_f32 v8, v7, v3 :: v_dual_mov_b32 v4, v7
	s_delay_alu instid0(VALU_DEP_2) | instskip(NEXT) | instid1(VALU_DEP_2)
	v_dual_mov_b32 v11, v5 :: v_dual_mov_b32 v5, v6
	v_pk_fma_f32 v[8:9], v[6:7], v[56:57], v[8:9] op_sel_hi:[1,1,0] neg_lo:[0,0,1] neg_hi:[0,0,1]
	v_mul_f32_e32 v6, v7, v0
	s_delay_alu instid0(VALU_DEP_3) | instskip(NEXT) | instid1(VALU_DEP_2)
	v_pk_add_f32 v[194:195], v[194:195], v[10:11] neg_lo:[0,1] neg_hi:[0,1]
	v_pk_fma_f32 v[4:5], v[4:5], v[56:57], v[6:7] op_sel_hi:[1,1,0]
	s_delay_alu instid0(VALU_DEP_1) | instskip(SKIP_4) | instid1(VALU_DEP_1)
	v_mov_b32_e32 v9, v5
	ds_load_2addr_b64 v[4:7], v236 offset0:46 offset1:47
	v_pk_add_f32 v[190:191], v[190:191], v[8:9] neg_lo:[0,1] neg_hi:[0,1]
	s_wait_dscnt 0x0
	v_pk_mul_f32 v[8:9], v[4:5], v[2:3] op_sel:[0,1]
	v_pk_fma_f32 v[10:11], v[4:5], v[0:1], v[8:9] op_sel:[0,0,1] op_sel_hi:[1,1,0] neg_lo:[0,0,1] neg_hi:[0,0,1]
	v_pk_fma_f32 v[4:5], v[4:5], v[0:1], v[8:9] op_sel:[0,0,1] op_sel_hi:[1,0,0]
	s_delay_alu instid0(VALU_DEP_1) | instskip(SKIP_1) | instid1(VALU_DEP_1)
	v_mov_b32_e32 v11, v5
	v_pk_mul_f32 v[4:5], v[6:7], v[2:3] op_sel:[0,1]
	v_pk_fma_f32 v[8:9], v[6:7], v[0:1], v[4:5] op_sel:[0,0,1] op_sel_hi:[1,1,0] neg_lo:[0,0,1] neg_hi:[0,0,1]
	v_pk_fma_f32 v[4:5], v[6:7], v[0:1], v[4:5] op_sel:[0,0,1] op_sel_hi:[1,0,0]
	s_delay_alu instid0(VALU_DEP_1)
	v_mov_b32_e32 v9, v5
	ds_load_2addr_b64 v[4:7], v236 offset0:48 offset1:49
	v_pk_add_f32 v[192:193], v[192:193], v[10:11] neg_lo:[0,1] neg_hi:[0,1]
	v_pk_add_f32 v[188:189], v[188:189], v[8:9] neg_lo:[0,1] neg_hi:[0,1]
	s_wait_dscnt 0x0
	v_pk_mul_f32 v[8:9], v[4:5], v[2:3] op_sel:[0,1]
	s_delay_alu instid0(VALU_DEP_1) | instskip(SKIP_1) | instid1(VALU_DEP_1)
	v_pk_fma_f32 v[10:11], v[4:5], v[0:1], v[8:9] op_sel:[0,0,1] op_sel_hi:[1,1,0] neg_lo:[0,0,1] neg_hi:[0,0,1]
	v_pk_fma_f32 v[4:5], v[4:5], v[0:1], v[8:9] op_sel:[0,0,1] op_sel_hi:[1,0,0]
	v_mov_b32_e32 v11, v5
	v_pk_mul_f32 v[4:5], v[6:7], v[2:3] op_sel:[0,1]
	s_delay_alu instid0(VALU_DEP_1) | instskip(SKIP_1) | instid1(VALU_DEP_1)
	v_pk_fma_f32 v[8:9], v[6:7], v[0:1], v[4:5] op_sel:[0,0,1] op_sel_hi:[1,1,0] neg_lo:[0,0,1] neg_hi:[0,0,1]
	v_pk_fma_f32 v[4:5], v[6:7], v[0:1], v[4:5] op_sel:[0,0,1] op_sel_hi:[1,0,0]
	v_mov_b32_e32 v9, v5
	ds_load_2addr_b64 v[4:7], v236 offset0:50 offset1:51
	v_pk_add_f32 v[210:211], v[210:211], v[10:11] neg_lo:[0,1] neg_hi:[0,1]
	v_pk_add_f32 v[206:207], v[206:207], v[8:9] neg_lo:[0,1] neg_hi:[0,1]
	s_wait_dscnt 0x0
	v_dual_mul_f32 v8, v5, v3 :: v_dual_mul_f32 v10, v5, v0
	s_delay_alu instid0(VALU_DEP_1) | instskip(NEXT) | instid1(VALU_DEP_2)
	v_pk_fma_f32 v[8:9], v[4:5], v[56:57], v[8:9] op_sel_hi:[1,1,0] neg_lo:[0,0,1] neg_hi:[0,0,1]
	v_pk_fma_f32 v[4:5], v[4:5], v[56:57], v[10:11] op_sel:[1,0,0] op_sel_hi:[0,1,0]
	s_delay_alu instid0(VALU_DEP_1) | instskip(SKIP_1) | instid1(VALU_DEP_2)
	v_mov_b32_e32 v9, v5
	v_pk_mul_f32 v[4:5], v[6:7], v[2:3] op_sel:[0,1]
	v_pk_add_f32 v[208:209], v[208:209], v[8:9] neg_lo:[0,1] neg_hi:[0,1]
	s_delay_alu instid0(VALU_DEP_2) | instskip(SKIP_1) | instid1(VALU_DEP_1)
	v_pk_fma_f32 v[8:9], v[6:7], v[0:1], v[4:5] op_sel:[0,0,1] op_sel_hi:[1,1,0] neg_lo:[0,0,1] neg_hi:[0,0,1]
	v_pk_fma_f32 v[4:5], v[6:7], v[0:1], v[4:5] op_sel:[0,0,1] op_sel_hi:[1,0,0]
	v_mov_b32_e32 v9, v5
	ds_load_2addr_b64 v[4:7], v236 offset0:52 offset1:53
	v_pk_add_f32 v[204:205], v[204:205], v[8:9] neg_lo:[0,1] neg_hi:[0,1]
	s_wait_dscnt 0x0
	v_pk_mul_f32 v[8:9], v[4:5], v[2:3] op_sel:[0,1]
	s_delay_alu instid0(VALU_DEP_1) | instskip(SKIP_1) | instid1(VALU_DEP_1)
	v_pk_fma_f32 v[10:11], v[4:5], v[0:1], v[8:9] op_sel:[0,0,1] op_sel_hi:[1,1,0] neg_lo:[0,0,1] neg_hi:[0,0,1]
	v_pk_fma_f32 v[4:5], v[4:5], v[0:1], v[8:9] op_sel:[0,0,1] op_sel_hi:[1,0,0]
	v_mov_b32_e32 v11, v5
	v_pk_mul_f32 v[4:5], v[6:7], v[2:3] op_sel:[0,1]
	s_delay_alu instid0(VALU_DEP_2) | instskip(NEXT) | instid1(VALU_DEP_2)
	v_pk_add_f32 v[228:229], v[228:229], v[10:11] neg_lo:[0,1] neg_hi:[0,1]
	v_pk_fma_f32 v[8:9], v[6:7], v[0:1], v[4:5] op_sel:[0,0,1] op_sel_hi:[1,1,0] neg_lo:[0,0,1] neg_hi:[0,0,1]
	v_pk_fma_f32 v[4:5], v[6:7], v[0:1], v[4:5] op_sel:[0,0,1] op_sel_hi:[1,0,0]
	s_delay_alu instid0(VALU_DEP_1) | instskip(SKIP_4) | instid1(VALU_DEP_1)
	v_mov_b32_e32 v9, v5
	ds_load_2addr_b64 v[4:7], v236 offset0:54 offset1:55
	v_pk_add_f32 v[224:225], v[224:225], v[8:9] neg_lo:[0,1] neg_hi:[0,1]
	s_wait_dscnt 0x0
	v_pk_mul_f32 v[8:9], v[4:5], v[2:3] op_sel:[0,1]
	v_pk_fma_f32 v[10:11], v[4:5], v[0:1], v[8:9] op_sel:[0,0,1] op_sel_hi:[1,1,0] neg_lo:[0,0,1] neg_hi:[0,0,1]
	v_pk_fma_f32 v[4:5], v[4:5], v[0:1], v[8:9] op_sel:[0,0,1] op_sel_hi:[1,0,0]
	v_dual_mul_f32 v8, v7, v3 :: v_dual_mov_b32 v4, v7
	s_delay_alu instid0(VALU_DEP_2) | instskip(NEXT) | instid1(VALU_DEP_2)
	v_dual_mov_b32 v11, v5 :: v_dual_mov_b32 v5, v6
	v_pk_fma_f32 v[8:9], v[6:7], v[56:57], v[8:9] op_sel_hi:[1,1,0] neg_lo:[0,0,1] neg_hi:[0,0,1]
	v_mul_f32_e32 v6, v7, v0
	s_delay_alu instid0(VALU_DEP_3) | instskip(NEXT) | instid1(VALU_DEP_2)
	v_pk_add_f32 v[226:227], v[226:227], v[10:11] neg_lo:[0,1] neg_hi:[0,1]
	v_pk_fma_f32 v[4:5], v[4:5], v[56:57], v[6:7] op_sel_hi:[1,1,0]
	s_delay_alu instid0(VALU_DEP_1) | instskip(SKIP_4) | instid1(VALU_DEP_1)
	v_mov_b32_e32 v9, v5
	ds_load_2addr_b64 v[4:7], v236 offset0:56 offset1:57
	v_pk_add_f32 v[222:223], v[222:223], v[8:9] neg_lo:[0,1] neg_hi:[0,1]
	s_wait_dscnt 0x0
	v_pk_mul_f32 v[8:9], v[4:5], v[2:3] op_sel:[0,1]
	v_pk_fma_f32 v[10:11], v[4:5], v[0:1], v[8:9] op_sel:[0,0,1] op_sel_hi:[1,1,0] neg_lo:[0,0,1] neg_hi:[0,0,1]
	v_pk_fma_f32 v[4:5], v[4:5], v[0:1], v[8:9] op_sel:[0,0,1] op_sel_hi:[1,0,0]
	s_delay_alu instid0(VALU_DEP_1) | instskip(SKIP_1) | instid1(VALU_DEP_1)
	v_mov_b32_e32 v11, v5
	v_pk_mul_f32 v[4:5], v[6:7], v[2:3] op_sel:[0,1]
	v_pk_fma_f32 v[8:9], v[6:7], v[0:1], v[4:5] op_sel:[0,0,1] op_sel_hi:[1,1,0] neg_lo:[0,0,1] neg_hi:[0,0,1]
	v_pk_fma_f32 v[4:5], v[6:7], v[0:1], v[4:5] op_sel:[0,0,1] op_sel_hi:[1,0,0]
	s_delay_alu instid0(VALU_DEP_1)
	v_mov_b32_e32 v9, v5
	ds_load_2addr_b64 v[4:7], v236 offset0:58 offset1:59
	v_pk_add_f32 v[244:245], v[244:245], v[10:11] neg_lo:[0,1] neg_hi:[0,1]
	v_pk_add_f32 v[240:241], v[240:241], v[8:9] neg_lo:[0,1] neg_hi:[0,1]
	s_wait_dscnt 0x0
	v_pk_mul_f32 v[8:9], v[4:5], v[2:3] op_sel:[0,1]
	s_delay_alu instid0(VALU_DEP_1) | instskip(SKIP_1) | instid1(VALU_DEP_1)
	v_pk_fma_f32 v[10:11], v[4:5], v[0:1], v[8:9] op_sel:[0,0,1] op_sel_hi:[1,1,0] neg_lo:[0,0,1] neg_hi:[0,0,1]
	v_pk_fma_f32 v[4:5], v[4:5], v[0:1], v[8:9] op_sel:[0,0,1] op_sel_hi:[1,0,0]
	v_mov_b32_e32 v11, v5
	v_pk_mul_f32 v[4:5], v[6:7], v[2:3] op_sel:[0,1]
	s_delay_alu instid0(VALU_DEP_1) | instskip(SKIP_1) | instid1(VALU_DEP_1)
	v_pk_fma_f32 v[8:9], v[6:7], v[0:1], v[4:5] op_sel:[0,0,1] op_sel_hi:[1,1,0] neg_lo:[0,0,1] neg_hi:[0,0,1]
	v_pk_fma_f32 v[4:5], v[6:7], v[0:1], v[4:5] op_sel:[0,0,1] op_sel_hi:[1,0,0]
	v_mov_b32_e32 v9, v5
	ds_load_2addr_b64 v[4:7], v236 offset0:60 offset1:61
	v_pk_add_f32 v[242:243], v[242:243], v[10:11] neg_lo:[0,1] neg_hi:[0,1]
	v_pk_add_f32 v[238:239], v[238:239], v[8:9] neg_lo:[0,1] neg_hi:[0,1]
	s_wait_dscnt 0x0
	v_mul_f32_e32 v2, v5, v3
	s_delay_alu instid0(VALU_DEP_1) | instskip(SKIP_1) | instid1(VALU_DEP_1)
	v_pk_fma_f32 v[8:9], v[4:5], v[56:57], v[2:3] op_sel_hi:[1,1,0] neg_lo:[0,0,1] neg_hi:[0,0,1]
	v_dual_mul_f32 v2, v5, v0 :: v_dual_mul_f32 v0, v7, v0
	v_pk_fma_f32 v[4:5], v[4:5], v[56:57], v[2:3] op_sel:[1,0,0] op_sel_hi:[0,1,0]
	v_dual_mov_b32 v4, v7 :: v_dual_mul_f32 v2, v7, v3
	s_delay_alu instid0(VALU_DEP_2) | instskip(NEXT) | instid1(VALU_DEP_2)
	v_dual_mov_b32 v9, v5 :: v_dual_mov_b32 v5, v6
	v_pk_fma_f32 v[2:3], v[6:7], v[56:57], v[2:3] op_sel_hi:[1,1,0] neg_lo:[0,0,1] neg_hi:[0,0,1]
	s_delay_alu instid0(VALU_DEP_2) | instskip(NEXT) | instid1(VALU_DEP_3)
	v_pk_add_f32 v[246:247], v[246:247], v[8:9] neg_lo:[0,1] neg_hi:[0,1]
	v_pk_fma_f32 v[0:1], v[4:5], v[56:57], v[0:1] op_sel_hi:[1,1,0]
	s_delay_alu instid0(VALU_DEP_1) | instskip(NEXT) | instid1(VALU_DEP_1)
	v_mov_b32_e32 v3, v1
	v_pk_add_f32 v[248:249], v[248:249], v[2:3] neg_lo:[0,1] neg_hi:[0,1]
.LBB123_19:
	s_wait_xcnt 0x0
	s_or_b32 exec_lo, exec_lo, s1
	s_delay_alu instid0(SALU_CYCLE_1)
	s_mov_b32 s2, exec_lo
	s_wait_storecnt 0x0
	s_barrier_signal -1
	s_barrier_wait -1
	v_cmpx_eq_u32_e32 2, v234
	s_cbranch_execz .LBB123_26
; %bb.20:
	ds_store_b64 v235, v[48:49]
	ds_store_2addr_b64 v236, v[46:47], v[28:29] offset0:3 offset1:4
	ds_store_2addr_b64 v236, v[22:23], v[24:25] offset0:5 offset1:6
	;; [unrolled: 1-line block ×29, first 2 shown]
	ds_store_b64 v236, v[248:249] offset:488
	ds_load_b64 v[0:1], v235
	s_wait_dscnt 0x0
	v_cmp_neq_f32_e32 vcc_lo, 0, v0
	v_cmp_neq_f32_e64 s1, 0, v1
	s_or_b32 s1, vcc_lo, s1
	s_delay_alu instid0(SALU_CYCLE_1)
	s_and_b32 exec_lo, exec_lo, s1
	s_cbranch_execz .LBB123_26
; %bb.21:
	v_cmp_ngt_f32_e64 s1, |v0|, |v1|
                                        ; implicit-def: $vgpr2_vgpr3
	s_and_saveexec_b32 s4, s1
	s_delay_alu instid0(SALU_CYCLE_1)
	s_xor_b32 s1, exec_lo, s4
	s_cbranch_execz .LBB123_23
; %bb.22:
	v_div_scale_f32 v2, null, v1, v1, v0
	v_div_scale_f32 v5, vcc_lo, v0, v1, v0
	s_delay_alu instid0(VALU_DEP_2) | instskip(SKIP_1) | instid1(TRANS32_DEP_1)
	v_rcp_f32_e32 v3, v2
	v_nop
	v_fma_f32 v4, -v2, v3, 1.0
	s_delay_alu instid0(VALU_DEP_1) | instskip(NEXT) | instid1(VALU_DEP_1)
	v_fmac_f32_e32 v3, v4, v3
	v_mul_f32_e32 v4, v5, v3
	s_delay_alu instid0(VALU_DEP_1) | instskip(NEXT) | instid1(VALU_DEP_1)
	v_fma_f32 v6, -v2, v4, v5
	v_fmac_f32_e32 v4, v6, v3
	s_delay_alu instid0(VALU_DEP_1) | instskip(NEXT) | instid1(VALU_DEP_1)
	v_fma_f32 v2, -v2, v4, v5
	v_div_fmas_f32 v2, v2, v3, v4
	s_delay_alu instid0(VALU_DEP_1) | instskip(NEXT) | instid1(VALU_DEP_1)
	v_div_fixup_f32 v2, v2, v1, v0
	v_fmac_f32_e32 v1, v0, v2
	s_delay_alu instid0(VALU_DEP_1) | instskip(SKIP_1) | instid1(VALU_DEP_2)
	v_div_scale_f32 v0, null, v1, v1, 1.0
	v_div_scale_f32 v5, vcc_lo, 1.0, v1, 1.0
	v_rcp_f32_e32 v3, v0
	v_nop
	s_delay_alu instid0(TRANS32_DEP_1) | instskip(NEXT) | instid1(VALU_DEP_1)
	v_fma_f32 v4, -v0, v3, 1.0
	v_fmac_f32_e32 v3, v4, v3
	s_delay_alu instid0(VALU_DEP_1) | instskip(NEXT) | instid1(VALU_DEP_1)
	v_mul_f32_e32 v4, v5, v3
	v_fma_f32 v6, -v0, v4, v5
	s_delay_alu instid0(VALU_DEP_1) | instskip(NEXT) | instid1(VALU_DEP_1)
	v_fmac_f32_e32 v4, v6, v3
	v_fma_f32 v0, -v0, v4, v5
	s_delay_alu instid0(VALU_DEP_1) | instskip(NEXT) | instid1(VALU_DEP_1)
	v_div_fmas_f32 v0, v0, v3, v4
	v_div_fixup_f32 v0, v0, v1, 1.0
	s_delay_alu instid0(VALU_DEP_1)
	v_mul_f32_e32 v2, v2, v0
	v_xor_b32_e32 v3, 0x80000000, v0
                                        ; implicit-def: $vgpr0_vgpr1
.LBB123_23:
	s_and_not1_saveexec_b32 s1, s1
	s_cbranch_execz .LBB123_25
; %bb.24:
	v_div_scale_f32 v2, null, v0, v0, v1
	v_div_scale_f32 v5, vcc_lo, v1, v0, v1
	s_delay_alu instid0(VALU_DEP_2) | instskip(SKIP_1) | instid1(TRANS32_DEP_1)
	v_rcp_f32_e32 v3, v2
	v_nop
	v_fma_f32 v4, -v2, v3, 1.0
	s_delay_alu instid0(VALU_DEP_1) | instskip(NEXT) | instid1(VALU_DEP_1)
	v_fmac_f32_e32 v3, v4, v3
	v_mul_f32_e32 v4, v5, v3
	s_delay_alu instid0(VALU_DEP_1) | instskip(NEXT) | instid1(VALU_DEP_1)
	v_fma_f32 v6, -v2, v4, v5
	v_fmac_f32_e32 v4, v6, v3
	s_delay_alu instid0(VALU_DEP_1) | instskip(NEXT) | instid1(VALU_DEP_1)
	v_fma_f32 v2, -v2, v4, v5
	v_div_fmas_f32 v2, v2, v3, v4
	s_delay_alu instid0(VALU_DEP_1) | instskip(NEXT) | instid1(VALU_DEP_1)
	v_div_fixup_f32 v3, v2, v0, v1
	v_fmac_f32_e32 v0, v1, v3
	s_delay_alu instid0(VALU_DEP_1) | instskip(NEXT) | instid1(VALU_DEP_1)
	v_div_scale_f32 v1, null, v0, v0, 1.0
	v_rcp_f32_e32 v2, v1
	v_nop
	s_delay_alu instid0(TRANS32_DEP_1) | instskip(NEXT) | instid1(VALU_DEP_1)
	v_fma_f32 v4, -v1, v2, 1.0
	v_fmac_f32_e32 v2, v4, v2
	v_div_scale_f32 v4, vcc_lo, 1.0, v0, 1.0
	s_delay_alu instid0(VALU_DEP_1) | instskip(NEXT) | instid1(VALU_DEP_1)
	v_mul_f32_e32 v5, v4, v2
	v_fma_f32 v6, -v1, v5, v4
	s_delay_alu instid0(VALU_DEP_1) | instskip(NEXT) | instid1(VALU_DEP_1)
	v_fmac_f32_e32 v5, v6, v2
	v_fma_f32 v1, -v1, v5, v4
	s_delay_alu instid0(VALU_DEP_1) | instskip(NEXT) | instid1(VALU_DEP_1)
	v_div_fmas_f32 v1, v1, v2, v5
	v_div_fixup_f32 v2, v1, v0, 1.0
	s_delay_alu instid0(VALU_DEP_1)
	v_mul_f32_e64 v3, v3, -v2
.LBB123_25:
	s_or_b32 exec_lo, exec_lo, s1
	ds_store_b64 v235, v[2:3]
.LBB123_26:
	s_or_b32 exec_lo, exec_lo, s2
	s_wait_dscnt 0x0
	s_barrier_signal -1
	s_barrier_wait -1
	ds_load_b64 v[0:1], v235
	s_mov_b32 s1, exec_lo
	s_wait_dscnt 0x0
	scratch_store_b64 off, v[0:1], off offset:504 ; 8-byte Folded Spill
	s_wait_xcnt 0x0
	v_cmpx_lt_u32_e32 2, v234
	s_cbranch_execz .LBB123_28
; %bb.27:
	scratch_load_b64 v[4:5], off, off offset:504 ; 8-byte Folded Reload
	s_wait_loadcnt 0x0
	v_pk_mul_f32 v[2:3], v[4:5], v[48:49] op_sel:[1,1] op_sel_hi:[0,1]
	s_delay_alu instid0(VALU_DEP_1)
	v_pk_fma_f32 v[0:1], v[4:5], v[48:49], v[2:3] op_sel_hi:[1,0,1] neg_lo:[0,0,1] neg_hi:[0,0,1]
	v_pk_fma_f32 v[2:3], v[4:5], v[48:49], v[2:3] op_sel_hi:[1,0,1]
	ds_load_2addr_b64 v[4:7], v236 offset0:3 offset1:4
	v_dual_mov_b32 v48, v0 :: v_dual_mov_b32 v49, v3
	s_wait_dscnt 0x0
	v_pk_mul_f32 v[8:9], v[4:5], v[2:3] op_sel:[0,1]
	s_delay_alu instid0(VALU_DEP_1) | instskip(SKIP_1) | instid1(VALU_DEP_1)
	v_pk_fma_f32 v[10:11], v[4:5], v[0:1], v[8:9] op_sel:[0,0,1] op_sel_hi:[1,1,0] neg_lo:[0,0,1] neg_hi:[0,0,1]
	v_pk_fma_f32 v[4:5], v[4:5], v[0:1], v[8:9] op_sel:[0,0,1] op_sel_hi:[1,0,0]
	v_mov_b32_e32 v11, v5
	v_pk_mul_f32 v[4:5], v[6:7], v[2:3] op_sel:[0,1]
	s_delay_alu instid0(VALU_DEP_1) | instskip(SKIP_1) | instid1(VALU_DEP_1)
	v_pk_fma_f32 v[8:9], v[6:7], v[0:1], v[4:5] op_sel:[0,0,1] op_sel_hi:[1,1,0] neg_lo:[0,0,1] neg_hi:[0,0,1]
	v_pk_fma_f32 v[4:5], v[6:7], v[0:1], v[4:5] op_sel:[0,0,1] op_sel_hi:[1,0,0]
	v_mov_b32_e32 v9, v5
	ds_load_2addr_b64 v[4:7], v236 offset0:5 offset1:6
	v_pk_add_f32 v[46:47], v[46:47], v[10:11] neg_lo:[0,1] neg_hi:[0,1]
	v_pk_add_f32 v[28:29], v[28:29], v[8:9] neg_lo:[0,1] neg_hi:[0,1]
	s_wait_dscnt 0x0
	v_pk_mul_f32 v[8:9], v[4:5], v[2:3] op_sel:[0,1]
	s_delay_alu instid0(VALU_DEP_1) | instskip(SKIP_2) | instid1(VALU_DEP_2)
	v_pk_fma_f32 v[10:11], v[4:5], v[0:1], v[8:9] op_sel:[0,0,1] op_sel_hi:[1,1,0] neg_lo:[0,0,1] neg_hi:[0,0,1]
	v_pk_fma_f32 v[4:5], v[4:5], v[0:1], v[8:9] op_sel:[0,0,1] op_sel_hi:[1,0,0]
	v_dual_mul_f32 v8, v7, v3 :: v_dual_mov_b32 v4, v7
	v_dual_mov_b32 v11, v5 :: v_dual_mov_b32 v5, v6
	s_delay_alu instid0(VALU_DEP_2) | instskip(SKIP_1) | instid1(VALU_DEP_3)
	v_pk_fma_f32 v[8:9], v[6:7], v[48:49], v[8:9] op_sel_hi:[1,1,0] neg_lo:[0,0,1] neg_hi:[0,0,1]
	v_mul_f32_e32 v6, v7, v0
	v_pk_add_f32 v[22:23], v[22:23], v[10:11] neg_lo:[0,1] neg_hi:[0,1]
	s_delay_alu instid0(VALU_DEP_2) | instskip(NEXT) | instid1(VALU_DEP_1)
	v_pk_fma_f32 v[4:5], v[4:5], v[48:49], v[6:7] op_sel_hi:[1,1,0]
	v_mov_b32_e32 v9, v5
	ds_load_2addr_b64 v[4:7], v236 offset0:7 offset1:8
	v_pk_add_f32 v[24:25], v[24:25], v[8:9] neg_lo:[0,1] neg_hi:[0,1]
	s_wait_dscnt 0x0
	v_pk_mul_f32 v[8:9], v[4:5], v[2:3] op_sel:[0,1]
	s_delay_alu instid0(VALU_DEP_1) | instskip(SKIP_1) | instid1(VALU_DEP_1)
	v_pk_fma_f32 v[10:11], v[4:5], v[0:1], v[8:9] op_sel:[0,0,1] op_sel_hi:[1,1,0] neg_lo:[0,0,1] neg_hi:[0,0,1]
	v_pk_fma_f32 v[4:5], v[4:5], v[0:1], v[8:9] op_sel:[0,0,1] op_sel_hi:[1,0,0]
	v_mov_b32_e32 v11, v5
	v_pk_mul_f32 v[4:5], v[6:7], v[2:3] op_sel:[0,1]
	s_delay_alu instid0(VALU_DEP_1) | instskip(SKIP_1) | instid1(VALU_DEP_1)
	v_pk_fma_f32 v[8:9], v[6:7], v[0:1], v[4:5] op_sel:[0,0,1] op_sel_hi:[1,1,0] neg_lo:[0,0,1] neg_hi:[0,0,1]
	v_pk_fma_f32 v[4:5], v[6:7], v[0:1], v[4:5] op_sel:[0,0,1] op_sel_hi:[1,0,0]
	v_mov_b32_e32 v9, v5
	ds_load_2addr_b64 v[4:7], v236 offset0:9 offset1:10
	v_pk_add_f32 v[20:21], v[20:21], v[10:11] neg_lo:[0,1] neg_hi:[0,1]
	v_pk_add_f32 v[42:43], v[42:43], v[8:9] neg_lo:[0,1] neg_hi:[0,1]
	s_wait_dscnt 0x0
	v_pk_mul_f32 v[8:9], v[4:5], v[2:3] op_sel:[0,1]
	s_delay_alu instid0(VALU_DEP_1) | instskip(SKIP_1) | instid1(VALU_DEP_1)
	v_pk_fma_f32 v[10:11], v[4:5], v[0:1], v[8:9] op_sel:[0,0,1] op_sel_hi:[1,1,0] neg_lo:[0,0,1] neg_hi:[0,0,1]
	v_pk_fma_f32 v[4:5], v[4:5], v[0:1], v[8:9] op_sel:[0,0,1] op_sel_hi:[1,0,0]
	v_mov_b32_e32 v11, v5
	v_pk_mul_f32 v[4:5], v[6:7], v[2:3] op_sel:[0,1]
	s_delay_alu instid0(VALU_DEP_1) | instskip(SKIP_1) | instid1(VALU_DEP_1)
	v_pk_fma_f32 v[8:9], v[6:7], v[0:1], v[4:5] op_sel:[0,0,1] op_sel_hi:[1,1,0] neg_lo:[0,0,1] neg_hi:[0,0,1]
	v_pk_fma_f32 v[4:5], v[6:7], v[0:1], v[4:5] op_sel:[0,0,1] op_sel_hi:[1,0,0]
	v_mov_b32_e32 v9, v5
	ds_load_2addr_b64 v[4:7], v236 offset0:11 offset1:12
	v_pk_add_f32 v[38:39], v[38:39], v[10:11] neg_lo:[0,1] neg_hi:[0,1]
	v_pk_add_f32 v[40:41], v[40:41], v[8:9] neg_lo:[0,1] neg_hi:[0,1]
	s_wait_dscnt 0x0
	v_dual_mul_f32 v8, v5, v3 :: v_dual_mul_f32 v10, v5, v0
	s_delay_alu instid0(VALU_DEP_1) | instskip(NEXT) | instid1(VALU_DEP_2)
	v_pk_fma_f32 v[8:9], v[4:5], v[48:49], v[8:9] op_sel_hi:[1,1,0] neg_lo:[0,0,1] neg_hi:[0,0,1]
	v_pk_fma_f32 v[4:5], v[4:5], v[48:49], v[10:11] op_sel:[1,0,0] op_sel_hi:[0,1,0]
	s_delay_alu instid0(VALU_DEP_1) | instskip(SKIP_1) | instid1(VALU_DEP_2)
	v_mov_b32_e32 v9, v5
	v_pk_mul_f32 v[4:5], v[6:7], v[2:3] op_sel:[0,1]
	v_pk_add_f32 v[36:37], v[36:37], v[8:9] neg_lo:[0,1] neg_hi:[0,1]
	s_delay_alu instid0(VALU_DEP_2) | instskip(SKIP_1) | instid1(VALU_DEP_1)
	v_pk_fma_f32 v[8:9], v[6:7], v[0:1], v[4:5] op_sel:[0,0,1] op_sel_hi:[1,1,0] neg_lo:[0,0,1] neg_hi:[0,0,1]
	v_pk_fma_f32 v[4:5], v[6:7], v[0:1], v[4:5] op_sel:[0,0,1] op_sel_hi:[1,0,0]
	v_mov_b32_e32 v9, v5
	ds_load_2addr_b64 v[4:7], v236 offset0:13 offset1:14
	v_pk_add_f32 v[66:67], v[66:67], v[8:9] neg_lo:[0,1] neg_hi:[0,1]
	s_wait_dscnt 0x0
	v_pk_mul_f32 v[8:9], v[4:5], v[2:3] op_sel:[0,1]
	s_delay_alu instid0(VALU_DEP_1) | instskip(SKIP_1) | instid1(VALU_DEP_1)
	v_pk_fma_f32 v[10:11], v[4:5], v[0:1], v[8:9] op_sel:[0,0,1] op_sel_hi:[1,1,0] neg_lo:[0,0,1] neg_hi:[0,0,1]
	v_pk_fma_f32 v[4:5], v[4:5], v[0:1], v[8:9] op_sel:[0,0,1] op_sel_hi:[1,0,0]
	v_mov_b32_e32 v11, v5
	v_pk_mul_f32 v[4:5], v[6:7], v[2:3] op_sel:[0,1]
	s_delay_alu instid0(VALU_DEP_2) | instskip(NEXT) | instid1(VALU_DEP_2)
	v_pk_add_f32 v[62:63], v[62:63], v[10:11] neg_lo:[0,1] neg_hi:[0,1]
	v_pk_fma_f32 v[8:9], v[6:7], v[0:1], v[4:5] op_sel:[0,0,1] op_sel_hi:[1,1,0] neg_lo:[0,0,1] neg_hi:[0,0,1]
	v_pk_fma_f32 v[4:5], v[6:7], v[0:1], v[4:5] op_sel:[0,0,1] op_sel_hi:[1,0,0]
	s_delay_alu instid0(VALU_DEP_1) | instskip(SKIP_4) | instid1(VALU_DEP_1)
	v_mov_b32_e32 v9, v5
	ds_load_2addr_b64 v[4:7], v236 offset0:15 offset1:16
	v_pk_add_f32 v[64:65], v[64:65], v[8:9] neg_lo:[0,1] neg_hi:[0,1]
	s_wait_dscnt 0x0
	v_pk_mul_f32 v[8:9], v[4:5], v[2:3] op_sel:[0,1]
	v_pk_fma_f32 v[10:11], v[4:5], v[0:1], v[8:9] op_sel:[0,0,1] op_sel_hi:[1,1,0] neg_lo:[0,0,1] neg_hi:[0,0,1]
	v_pk_fma_f32 v[4:5], v[4:5], v[0:1], v[8:9] op_sel:[0,0,1] op_sel_hi:[1,0,0]
	v_dual_mul_f32 v8, v7, v3 :: v_dual_mov_b32 v4, v7
	s_delay_alu instid0(VALU_DEP_2) | instskip(NEXT) | instid1(VALU_DEP_2)
	v_dual_mov_b32 v11, v5 :: v_dual_mov_b32 v5, v6
	v_pk_fma_f32 v[8:9], v[6:7], v[48:49], v[8:9] op_sel_hi:[1,1,0] neg_lo:[0,0,1] neg_hi:[0,0,1]
	v_mul_f32_e32 v6, v7, v0
	s_delay_alu instid0(VALU_DEP_3) | instskip(NEXT) | instid1(VALU_DEP_2)
	v_pk_add_f32 v[60:61], v[60:61], v[10:11] neg_lo:[0,1] neg_hi:[0,1]
	v_pk_fma_f32 v[4:5], v[4:5], v[48:49], v[6:7] op_sel_hi:[1,1,0]
	s_delay_alu instid0(VALU_DEP_1) | instskip(SKIP_4) | instid1(VALU_DEP_1)
	v_mov_b32_e32 v9, v5
	ds_load_2addr_b64 v[4:7], v236 offset0:17 offset1:18
	v_pk_add_f32 v[82:83], v[82:83], v[8:9] neg_lo:[0,1] neg_hi:[0,1]
	s_wait_dscnt 0x0
	v_pk_mul_f32 v[8:9], v[4:5], v[2:3] op_sel:[0,1]
	v_pk_fma_f32 v[10:11], v[4:5], v[0:1], v[8:9] op_sel:[0,0,1] op_sel_hi:[1,1,0] neg_lo:[0,0,1] neg_hi:[0,0,1]
	v_pk_fma_f32 v[4:5], v[4:5], v[0:1], v[8:9] op_sel:[0,0,1] op_sel_hi:[1,0,0]
	s_delay_alu instid0(VALU_DEP_1) | instskip(SKIP_1) | instid1(VALU_DEP_1)
	v_mov_b32_e32 v11, v5
	v_pk_mul_f32 v[4:5], v[6:7], v[2:3] op_sel:[0,1]
	v_pk_fma_f32 v[8:9], v[6:7], v[0:1], v[4:5] op_sel:[0,0,1] op_sel_hi:[1,1,0] neg_lo:[0,0,1] neg_hi:[0,0,1]
	v_pk_fma_f32 v[4:5], v[6:7], v[0:1], v[4:5] op_sel:[0,0,1] op_sel_hi:[1,0,0]
	s_delay_alu instid0(VALU_DEP_1)
	v_mov_b32_e32 v9, v5
	ds_load_2addr_b64 v[4:7], v236 offset0:19 offset1:20
	v_pk_add_f32 v[78:79], v[78:79], v[10:11] neg_lo:[0,1] neg_hi:[0,1]
	v_pk_add_f32 v[80:81], v[80:81], v[8:9] neg_lo:[0,1] neg_hi:[0,1]
	s_wait_dscnt 0x0
	v_pk_mul_f32 v[8:9], v[4:5], v[2:3] op_sel:[0,1]
	s_delay_alu instid0(VALU_DEP_1) | instskip(SKIP_1) | instid1(VALU_DEP_1)
	v_pk_fma_f32 v[10:11], v[4:5], v[0:1], v[8:9] op_sel:[0,0,1] op_sel_hi:[1,1,0] neg_lo:[0,0,1] neg_hi:[0,0,1]
	v_pk_fma_f32 v[4:5], v[4:5], v[0:1], v[8:9] op_sel:[0,0,1] op_sel_hi:[1,0,0]
	v_mov_b32_e32 v11, v5
	v_pk_mul_f32 v[4:5], v[6:7], v[2:3] op_sel:[0,1]
	s_delay_alu instid0(VALU_DEP_1) | instskip(SKIP_1) | instid1(VALU_DEP_1)
	v_pk_fma_f32 v[8:9], v[6:7], v[0:1], v[4:5] op_sel:[0,0,1] op_sel_hi:[1,1,0] neg_lo:[0,0,1] neg_hi:[0,0,1]
	v_pk_fma_f32 v[4:5], v[6:7], v[0:1], v[4:5] op_sel:[0,0,1] op_sel_hi:[1,0,0]
	v_mov_b32_e32 v9, v5
	ds_load_2addr_b64 v[4:7], v236 offset0:21 offset1:22
	v_pk_add_f32 v[76:77], v[76:77], v[10:11] neg_lo:[0,1] neg_hi:[0,1]
	v_pk_add_f32 v[98:99], v[98:99], v[8:9] neg_lo:[0,1] neg_hi:[0,1]
	s_wait_dscnt 0x0
	v_dual_mul_f32 v8, v5, v3 :: v_dual_mul_f32 v10, v5, v0
	s_delay_alu instid0(VALU_DEP_1) | instskip(NEXT) | instid1(VALU_DEP_2)
	v_pk_fma_f32 v[8:9], v[4:5], v[48:49], v[8:9] op_sel_hi:[1,1,0] neg_lo:[0,0,1] neg_hi:[0,0,1]
	v_pk_fma_f32 v[4:5], v[4:5], v[48:49], v[10:11] op_sel:[1,0,0] op_sel_hi:[0,1,0]
	s_delay_alu instid0(VALU_DEP_1) | instskip(SKIP_1) | instid1(VALU_DEP_2)
	v_mov_b32_e32 v9, v5
	v_pk_mul_f32 v[4:5], v[6:7], v[2:3] op_sel:[0,1]
	v_pk_add_f32 v[94:95], v[94:95], v[8:9] neg_lo:[0,1] neg_hi:[0,1]
	s_delay_alu instid0(VALU_DEP_2) | instskip(SKIP_1) | instid1(VALU_DEP_1)
	v_pk_fma_f32 v[8:9], v[6:7], v[0:1], v[4:5] op_sel:[0,0,1] op_sel_hi:[1,1,0] neg_lo:[0,0,1] neg_hi:[0,0,1]
	v_pk_fma_f32 v[4:5], v[6:7], v[0:1], v[4:5] op_sel:[0,0,1] op_sel_hi:[1,0,0]
	v_mov_b32_e32 v9, v5
	ds_load_2addr_b64 v[4:7], v236 offset0:23 offset1:24
	v_pk_add_f32 v[96:97], v[96:97], v[8:9] neg_lo:[0,1] neg_hi:[0,1]
	s_wait_dscnt 0x0
	v_pk_mul_f32 v[8:9], v[4:5], v[2:3] op_sel:[0,1]
	s_delay_alu instid0(VALU_DEP_1) | instskip(SKIP_1) | instid1(VALU_DEP_1)
	v_pk_fma_f32 v[10:11], v[4:5], v[0:1], v[8:9] op_sel:[0,0,1] op_sel_hi:[1,1,0] neg_lo:[0,0,1] neg_hi:[0,0,1]
	v_pk_fma_f32 v[4:5], v[4:5], v[0:1], v[8:9] op_sel:[0,0,1] op_sel_hi:[1,0,0]
	v_mov_b32_e32 v11, v5
	v_pk_mul_f32 v[4:5], v[6:7], v[2:3] op_sel:[0,1]
	s_delay_alu instid0(VALU_DEP_2) | instskip(NEXT) | instid1(VALU_DEP_2)
	v_pk_add_f32 v[92:93], v[92:93], v[10:11] neg_lo:[0,1] neg_hi:[0,1]
	v_pk_fma_f32 v[8:9], v[6:7], v[0:1], v[4:5] op_sel:[0,0,1] op_sel_hi:[1,1,0] neg_lo:[0,0,1] neg_hi:[0,0,1]
	v_pk_fma_f32 v[4:5], v[6:7], v[0:1], v[4:5] op_sel:[0,0,1] op_sel_hi:[1,0,0]
	s_delay_alu instid0(VALU_DEP_1) | instskip(SKIP_4) | instid1(VALU_DEP_1)
	v_mov_b32_e32 v9, v5
	ds_load_2addr_b64 v[4:7], v236 offset0:25 offset1:26
	v_pk_add_f32 v[114:115], v[114:115], v[8:9] neg_lo:[0,1] neg_hi:[0,1]
	s_wait_dscnt 0x0
	v_pk_mul_f32 v[8:9], v[4:5], v[2:3] op_sel:[0,1]
	v_pk_fma_f32 v[10:11], v[4:5], v[0:1], v[8:9] op_sel:[0,0,1] op_sel_hi:[1,1,0] neg_lo:[0,0,1] neg_hi:[0,0,1]
	v_pk_fma_f32 v[4:5], v[4:5], v[0:1], v[8:9] op_sel:[0,0,1] op_sel_hi:[1,0,0]
	v_dual_mul_f32 v8, v7, v3 :: v_dual_mov_b32 v4, v7
	s_delay_alu instid0(VALU_DEP_2) | instskip(NEXT) | instid1(VALU_DEP_2)
	v_dual_mov_b32 v11, v5 :: v_dual_mov_b32 v5, v6
	v_pk_fma_f32 v[8:9], v[6:7], v[48:49], v[8:9] op_sel_hi:[1,1,0] neg_lo:[0,0,1] neg_hi:[0,0,1]
	v_mul_f32_e32 v6, v7, v0
	s_delay_alu instid0(VALU_DEP_3) | instskip(NEXT) | instid1(VALU_DEP_2)
	v_pk_add_f32 v[110:111], v[110:111], v[10:11] neg_lo:[0,1] neg_hi:[0,1]
	v_pk_fma_f32 v[4:5], v[4:5], v[48:49], v[6:7] op_sel_hi:[1,1,0]
	s_delay_alu instid0(VALU_DEP_1) | instskip(SKIP_4) | instid1(VALU_DEP_1)
	v_mov_b32_e32 v9, v5
	ds_load_2addr_b64 v[4:7], v236 offset0:27 offset1:28
	v_pk_add_f32 v[112:113], v[112:113], v[8:9] neg_lo:[0,1] neg_hi:[0,1]
	s_wait_dscnt 0x0
	v_pk_mul_f32 v[8:9], v[4:5], v[2:3] op_sel:[0,1]
	v_pk_fma_f32 v[10:11], v[4:5], v[0:1], v[8:9] op_sel:[0,0,1] op_sel_hi:[1,1,0] neg_lo:[0,0,1] neg_hi:[0,0,1]
	v_pk_fma_f32 v[4:5], v[4:5], v[0:1], v[8:9] op_sel:[0,0,1] op_sel_hi:[1,0,0]
	s_delay_alu instid0(VALU_DEP_1) | instskip(SKIP_1) | instid1(VALU_DEP_1)
	v_mov_b32_e32 v11, v5
	v_pk_mul_f32 v[4:5], v[6:7], v[2:3] op_sel:[0,1]
	v_pk_fma_f32 v[8:9], v[6:7], v[0:1], v[4:5] op_sel:[0,0,1] op_sel_hi:[1,1,0] neg_lo:[0,0,1] neg_hi:[0,0,1]
	v_pk_fma_f32 v[4:5], v[6:7], v[0:1], v[4:5] op_sel:[0,0,1] op_sel_hi:[1,0,0]
	s_delay_alu instid0(VALU_DEP_1)
	v_mov_b32_e32 v9, v5
	ds_load_2addr_b64 v[4:7], v236 offset0:29 offset1:30
	v_pk_add_f32 v[108:109], v[108:109], v[10:11] neg_lo:[0,1] neg_hi:[0,1]
	v_pk_add_f32 v[130:131], v[130:131], v[8:9] neg_lo:[0,1] neg_hi:[0,1]
	s_wait_dscnt 0x0
	v_pk_mul_f32 v[8:9], v[4:5], v[2:3] op_sel:[0,1]
	s_delay_alu instid0(VALU_DEP_1) | instskip(SKIP_1) | instid1(VALU_DEP_1)
	v_pk_fma_f32 v[10:11], v[4:5], v[0:1], v[8:9] op_sel:[0,0,1] op_sel_hi:[1,1,0] neg_lo:[0,0,1] neg_hi:[0,0,1]
	v_pk_fma_f32 v[4:5], v[4:5], v[0:1], v[8:9] op_sel:[0,0,1] op_sel_hi:[1,0,0]
	v_mov_b32_e32 v11, v5
	v_pk_mul_f32 v[4:5], v[6:7], v[2:3] op_sel:[0,1]
	s_delay_alu instid0(VALU_DEP_1) | instskip(SKIP_1) | instid1(VALU_DEP_1)
	v_pk_fma_f32 v[8:9], v[6:7], v[0:1], v[4:5] op_sel:[0,0,1] op_sel_hi:[1,1,0] neg_lo:[0,0,1] neg_hi:[0,0,1]
	v_pk_fma_f32 v[4:5], v[6:7], v[0:1], v[4:5] op_sel:[0,0,1] op_sel_hi:[1,0,0]
	v_mov_b32_e32 v9, v5
	ds_load_2addr_b64 v[4:7], v236 offset0:31 offset1:32
	v_pk_add_f32 v[126:127], v[126:127], v[10:11] neg_lo:[0,1] neg_hi:[0,1]
	v_pk_add_f32 v[128:129], v[128:129], v[8:9] neg_lo:[0,1] neg_hi:[0,1]
	s_wait_dscnt 0x0
	v_dual_mul_f32 v8, v5, v3 :: v_dual_mul_f32 v10, v5, v0
	s_delay_alu instid0(VALU_DEP_1) | instskip(NEXT) | instid1(VALU_DEP_2)
	v_pk_fma_f32 v[8:9], v[4:5], v[48:49], v[8:9] op_sel_hi:[1,1,0] neg_lo:[0,0,1] neg_hi:[0,0,1]
	v_pk_fma_f32 v[4:5], v[4:5], v[48:49], v[10:11] op_sel:[1,0,0] op_sel_hi:[0,1,0]
	s_delay_alu instid0(VALU_DEP_1) | instskip(SKIP_1) | instid1(VALU_DEP_2)
	v_mov_b32_e32 v9, v5
	v_pk_mul_f32 v[4:5], v[6:7], v[2:3] op_sel:[0,1]
	v_pk_add_f32 v[124:125], v[124:125], v[8:9] neg_lo:[0,1] neg_hi:[0,1]
	s_delay_alu instid0(VALU_DEP_2) | instskip(SKIP_1) | instid1(VALU_DEP_1)
	v_pk_fma_f32 v[8:9], v[6:7], v[0:1], v[4:5] op_sel:[0,0,1] op_sel_hi:[1,1,0] neg_lo:[0,0,1] neg_hi:[0,0,1]
	v_pk_fma_f32 v[4:5], v[6:7], v[0:1], v[4:5] op_sel:[0,0,1] op_sel_hi:[1,0,0]
	v_mov_b32_e32 v9, v5
	ds_load_2addr_b64 v[4:7], v236 offset0:33 offset1:34
	v_pk_add_f32 v[146:147], v[146:147], v[8:9] neg_lo:[0,1] neg_hi:[0,1]
	s_wait_dscnt 0x0
	v_pk_mul_f32 v[8:9], v[4:5], v[2:3] op_sel:[0,1]
	s_delay_alu instid0(VALU_DEP_1) | instskip(SKIP_1) | instid1(VALU_DEP_1)
	v_pk_fma_f32 v[10:11], v[4:5], v[0:1], v[8:9] op_sel:[0,0,1] op_sel_hi:[1,1,0] neg_lo:[0,0,1] neg_hi:[0,0,1]
	v_pk_fma_f32 v[4:5], v[4:5], v[0:1], v[8:9] op_sel:[0,0,1] op_sel_hi:[1,0,0]
	v_mov_b32_e32 v11, v5
	v_pk_mul_f32 v[4:5], v[6:7], v[2:3] op_sel:[0,1]
	s_delay_alu instid0(VALU_DEP_2) | instskip(NEXT) | instid1(VALU_DEP_2)
	v_pk_add_f32 v[142:143], v[142:143], v[10:11] neg_lo:[0,1] neg_hi:[0,1]
	v_pk_fma_f32 v[8:9], v[6:7], v[0:1], v[4:5] op_sel:[0,0,1] op_sel_hi:[1,1,0] neg_lo:[0,0,1] neg_hi:[0,0,1]
	v_pk_fma_f32 v[4:5], v[6:7], v[0:1], v[4:5] op_sel:[0,0,1] op_sel_hi:[1,0,0]
	s_delay_alu instid0(VALU_DEP_1) | instskip(SKIP_4) | instid1(VALU_DEP_1)
	v_mov_b32_e32 v9, v5
	ds_load_2addr_b64 v[4:7], v236 offset0:35 offset1:36
	v_pk_add_f32 v[144:145], v[144:145], v[8:9] neg_lo:[0,1] neg_hi:[0,1]
	s_wait_dscnt 0x0
	v_pk_mul_f32 v[8:9], v[4:5], v[2:3] op_sel:[0,1]
	v_pk_fma_f32 v[10:11], v[4:5], v[0:1], v[8:9] op_sel:[0,0,1] op_sel_hi:[1,1,0] neg_lo:[0,0,1] neg_hi:[0,0,1]
	v_pk_fma_f32 v[4:5], v[4:5], v[0:1], v[8:9] op_sel:[0,0,1] op_sel_hi:[1,0,0]
	v_dual_mul_f32 v8, v7, v3 :: v_dual_mov_b32 v4, v7
	s_delay_alu instid0(VALU_DEP_2) | instskip(NEXT) | instid1(VALU_DEP_2)
	v_dual_mov_b32 v11, v5 :: v_dual_mov_b32 v5, v6
	v_pk_fma_f32 v[8:9], v[6:7], v[48:49], v[8:9] op_sel_hi:[1,1,0] neg_lo:[0,0,1] neg_hi:[0,0,1]
	v_mul_f32_e32 v6, v7, v0
	s_delay_alu instid0(VALU_DEP_3) | instskip(NEXT) | instid1(VALU_DEP_2)
	v_pk_add_f32 v[140:141], v[140:141], v[10:11] neg_lo:[0,1] neg_hi:[0,1]
	v_pk_fma_f32 v[4:5], v[4:5], v[48:49], v[6:7] op_sel_hi:[1,1,0]
	s_delay_alu instid0(VALU_DEP_1) | instskip(SKIP_4) | instid1(VALU_DEP_1)
	v_mov_b32_e32 v9, v5
	ds_load_2addr_b64 v[4:7], v236 offset0:37 offset1:38
	v_pk_add_f32 v[162:163], v[162:163], v[8:9] neg_lo:[0,1] neg_hi:[0,1]
	s_wait_dscnt 0x0
	v_pk_mul_f32 v[8:9], v[4:5], v[2:3] op_sel:[0,1]
	v_pk_fma_f32 v[10:11], v[4:5], v[0:1], v[8:9] op_sel:[0,0,1] op_sel_hi:[1,1,0] neg_lo:[0,0,1] neg_hi:[0,0,1]
	v_pk_fma_f32 v[4:5], v[4:5], v[0:1], v[8:9] op_sel:[0,0,1] op_sel_hi:[1,0,0]
	s_delay_alu instid0(VALU_DEP_1) | instskip(SKIP_1) | instid1(VALU_DEP_1)
	v_mov_b32_e32 v11, v5
	v_pk_mul_f32 v[4:5], v[6:7], v[2:3] op_sel:[0,1]
	v_pk_fma_f32 v[8:9], v[6:7], v[0:1], v[4:5] op_sel:[0,0,1] op_sel_hi:[1,1,0] neg_lo:[0,0,1] neg_hi:[0,0,1]
	v_pk_fma_f32 v[4:5], v[6:7], v[0:1], v[4:5] op_sel:[0,0,1] op_sel_hi:[1,0,0]
	s_delay_alu instid0(VALU_DEP_1)
	v_mov_b32_e32 v9, v5
	ds_load_2addr_b64 v[4:7], v236 offset0:39 offset1:40
	v_pk_add_f32 v[158:159], v[158:159], v[10:11] neg_lo:[0,1] neg_hi:[0,1]
	v_pk_add_f32 v[160:161], v[160:161], v[8:9] neg_lo:[0,1] neg_hi:[0,1]
	s_wait_dscnt 0x0
	v_pk_mul_f32 v[8:9], v[4:5], v[2:3] op_sel:[0,1]
	s_delay_alu instid0(VALU_DEP_1) | instskip(SKIP_1) | instid1(VALU_DEP_1)
	v_pk_fma_f32 v[10:11], v[4:5], v[0:1], v[8:9] op_sel:[0,0,1] op_sel_hi:[1,1,0] neg_lo:[0,0,1] neg_hi:[0,0,1]
	v_pk_fma_f32 v[4:5], v[4:5], v[0:1], v[8:9] op_sel:[0,0,1] op_sel_hi:[1,0,0]
	v_mov_b32_e32 v11, v5
	v_pk_mul_f32 v[4:5], v[6:7], v[2:3] op_sel:[0,1]
	s_delay_alu instid0(VALU_DEP_1) | instskip(SKIP_1) | instid1(VALU_DEP_1)
	v_pk_fma_f32 v[8:9], v[6:7], v[0:1], v[4:5] op_sel:[0,0,1] op_sel_hi:[1,1,0] neg_lo:[0,0,1] neg_hi:[0,0,1]
	v_pk_fma_f32 v[4:5], v[6:7], v[0:1], v[4:5] op_sel:[0,0,1] op_sel_hi:[1,0,0]
	v_mov_b32_e32 v9, v5
	ds_load_2addr_b64 v[4:7], v236 offset0:41 offset1:42
	v_pk_add_f32 v[156:157], v[156:157], v[10:11] neg_lo:[0,1] neg_hi:[0,1]
	v_pk_add_f32 v[178:179], v[178:179], v[8:9] neg_lo:[0,1] neg_hi:[0,1]
	s_wait_dscnt 0x0
	v_dual_mul_f32 v8, v5, v3 :: v_dual_mul_f32 v10, v5, v0
	s_delay_alu instid0(VALU_DEP_1) | instskip(NEXT) | instid1(VALU_DEP_2)
	v_pk_fma_f32 v[8:9], v[4:5], v[48:49], v[8:9] op_sel_hi:[1,1,0] neg_lo:[0,0,1] neg_hi:[0,0,1]
	v_pk_fma_f32 v[4:5], v[4:5], v[48:49], v[10:11] op_sel:[1,0,0] op_sel_hi:[0,1,0]
	s_delay_alu instid0(VALU_DEP_1) | instskip(SKIP_1) | instid1(VALU_DEP_2)
	v_mov_b32_e32 v9, v5
	v_pk_mul_f32 v[4:5], v[6:7], v[2:3] op_sel:[0,1]
	v_pk_add_f32 v[174:175], v[174:175], v[8:9] neg_lo:[0,1] neg_hi:[0,1]
	s_delay_alu instid0(VALU_DEP_2) | instskip(SKIP_1) | instid1(VALU_DEP_1)
	v_pk_fma_f32 v[8:9], v[6:7], v[0:1], v[4:5] op_sel:[0,0,1] op_sel_hi:[1,1,0] neg_lo:[0,0,1] neg_hi:[0,0,1]
	v_pk_fma_f32 v[4:5], v[6:7], v[0:1], v[4:5] op_sel:[0,0,1] op_sel_hi:[1,0,0]
	v_mov_b32_e32 v9, v5
	ds_load_2addr_b64 v[4:7], v236 offset0:43 offset1:44
	v_pk_add_f32 v[176:177], v[176:177], v[8:9] neg_lo:[0,1] neg_hi:[0,1]
	s_wait_dscnt 0x0
	v_pk_mul_f32 v[8:9], v[4:5], v[2:3] op_sel:[0,1]
	s_delay_alu instid0(VALU_DEP_1) | instskip(SKIP_1) | instid1(VALU_DEP_1)
	v_pk_fma_f32 v[10:11], v[4:5], v[0:1], v[8:9] op_sel:[0,0,1] op_sel_hi:[1,1,0] neg_lo:[0,0,1] neg_hi:[0,0,1]
	v_pk_fma_f32 v[4:5], v[4:5], v[0:1], v[8:9] op_sel:[0,0,1] op_sel_hi:[1,0,0]
	v_mov_b32_e32 v11, v5
	v_pk_mul_f32 v[4:5], v[6:7], v[2:3] op_sel:[0,1]
	s_delay_alu instid0(VALU_DEP_2) | instskip(NEXT) | instid1(VALU_DEP_2)
	v_pk_add_f32 v[172:173], v[172:173], v[10:11] neg_lo:[0,1] neg_hi:[0,1]
	v_pk_fma_f32 v[8:9], v[6:7], v[0:1], v[4:5] op_sel:[0,0,1] op_sel_hi:[1,1,0] neg_lo:[0,0,1] neg_hi:[0,0,1]
	v_pk_fma_f32 v[4:5], v[6:7], v[0:1], v[4:5] op_sel:[0,0,1] op_sel_hi:[1,0,0]
	s_delay_alu instid0(VALU_DEP_1) | instskip(SKIP_4) | instid1(VALU_DEP_1)
	v_mov_b32_e32 v9, v5
	ds_load_2addr_b64 v[4:7], v236 offset0:45 offset1:46
	v_pk_add_f32 v[194:195], v[194:195], v[8:9] neg_lo:[0,1] neg_hi:[0,1]
	s_wait_dscnt 0x0
	v_pk_mul_f32 v[8:9], v[4:5], v[2:3] op_sel:[0,1]
	v_pk_fma_f32 v[10:11], v[4:5], v[0:1], v[8:9] op_sel:[0,0,1] op_sel_hi:[1,1,0] neg_lo:[0,0,1] neg_hi:[0,0,1]
	v_pk_fma_f32 v[4:5], v[4:5], v[0:1], v[8:9] op_sel:[0,0,1] op_sel_hi:[1,0,0]
	v_dual_mul_f32 v8, v7, v3 :: v_dual_mov_b32 v4, v7
	s_delay_alu instid0(VALU_DEP_2) | instskip(NEXT) | instid1(VALU_DEP_2)
	v_dual_mov_b32 v11, v5 :: v_dual_mov_b32 v5, v6
	v_pk_fma_f32 v[8:9], v[6:7], v[48:49], v[8:9] op_sel_hi:[1,1,0] neg_lo:[0,0,1] neg_hi:[0,0,1]
	v_mul_f32_e32 v6, v7, v0
	s_delay_alu instid0(VALU_DEP_3) | instskip(NEXT) | instid1(VALU_DEP_2)
	v_pk_add_f32 v[190:191], v[190:191], v[10:11] neg_lo:[0,1] neg_hi:[0,1]
	v_pk_fma_f32 v[4:5], v[4:5], v[48:49], v[6:7] op_sel_hi:[1,1,0]
	s_delay_alu instid0(VALU_DEP_1) | instskip(SKIP_4) | instid1(VALU_DEP_1)
	v_mov_b32_e32 v9, v5
	ds_load_2addr_b64 v[4:7], v236 offset0:47 offset1:48
	v_pk_add_f32 v[192:193], v[192:193], v[8:9] neg_lo:[0,1] neg_hi:[0,1]
	s_wait_dscnt 0x0
	v_pk_mul_f32 v[8:9], v[4:5], v[2:3] op_sel:[0,1]
	v_pk_fma_f32 v[10:11], v[4:5], v[0:1], v[8:9] op_sel:[0,0,1] op_sel_hi:[1,1,0] neg_lo:[0,0,1] neg_hi:[0,0,1]
	v_pk_fma_f32 v[4:5], v[4:5], v[0:1], v[8:9] op_sel:[0,0,1] op_sel_hi:[1,0,0]
	s_delay_alu instid0(VALU_DEP_1) | instskip(SKIP_1) | instid1(VALU_DEP_1)
	v_mov_b32_e32 v11, v5
	v_pk_mul_f32 v[4:5], v[6:7], v[2:3] op_sel:[0,1]
	v_pk_fma_f32 v[8:9], v[6:7], v[0:1], v[4:5] op_sel:[0,0,1] op_sel_hi:[1,1,0] neg_lo:[0,0,1] neg_hi:[0,0,1]
	v_pk_fma_f32 v[4:5], v[6:7], v[0:1], v[4:5] op_sel:[0,0,1] op_sel_hi:[1,0,0]
	s_delay_alu instid0(VALU_DEP_1)
	v_mov_b32_e32 v9, v5
	ds_load_2addr_b64 v[4:7], v236 offset0:49 offset1:50
	v_pk_add_f32 v[188:189], v[188:189], v[10:11] neg_lo:[0,1] neg_hi:[0,1]
	v_pk_add_f32 v[210:211], v[210:211], v[8:9] neg_lo:[0,1] neg_hi:[0,1]
	s_wait_dscnt 0x0
	v_pk_mul_f32 v[8:9], v[4:5], v[2:3] op_sel:[0,1]
	s_delay_alu instid0(VALU_DEP_1) | instskip(SKIP_1) | instid1(VALU_DEP_1)
	v_pk_fma_f32 v[10:11], v[4:5], v[0:1], v[8:9] op_sel:[0,0,1] op_sel_hi:[1,1,0] neg_lo:[0,0,1] neg_hi:[0,0,1]
	v_pk_fma_f32 v[4:5], v[4:5], v[0:1], v[8:9] op_sel:[0,0,1] op_sel_hi:[1,0,0]
	v_mov_b32_e32 v11, v5
	v_pk_mul_f32 v[4:5], v[6:7], v[2:3] op_sel:[0,1]
	s_delay_alu instid0(VALU_DEP_1) | instskip(SKIP_1) | instid1(VALU_DEP_1)
	v_pk_fma_f32 v[8:9], v[6:7], v[0:1], v[4:5] op_sel:[0,0,1] op_sel_hi:[1,1,0] neg_lo:[0,0,1] neg_hi:[0,0,1]
	v_pk_fma_f32 v[4:5], v[6:7], v[0:1], v[4:5] op_sel:[0,0,1] op_sel_hi:[1,0,0]
	v_mov_b32_e32 v9, v5
	ds_load_2addr_b64 v[4:7], v236 offset0:51 offset1:52
	v_pk_add_f32 v[206:207], v[206:207], v[10:11] neg_lo:[0,1] neg_hi:[0,1]
	v_pk_add_f32 v[208:209], v[208:209], v[8:9] neg_lo:[0,1] neg_hi:[0,1]
	s_wait_dscnt 0x0
	v_dual_mul_f32 v8, v5, v3 :: v_dual_mul_f32 v10, v5, v0
	s_delay_alu instid0(VALU_DEP_1) | instskip(NEXT) | instid1(VALU_DEP_2)
	v_pk_fma_f32 v[8:9], v[4:5], v[48:49], v[8:9] op_sel_hi:[1,1,0] neg_lo:[0,0,1] neg_hi:[0,0,1]
	v_pk_fma_f32 v[4:5], v[4:5], v[48:49], v[10:11] op_sel:[1,0,0] op_sel_hi:[0,1,0]
	s_delay_alu instid0(VALU_DEP_1) | instskip(SKIP_1) | instid1(VALU_DEP_2)
	v_mov_b32_e32 v9, v5
	v_pk_mul_f32 v[4:5], v[6:7], v[2:3] op_sel:[0,1]
	v_pk_add_f32 v[204:205], v[204:205], v[8:9] neg_lo:[0,1] neg_hi:[0,1]
	s_delay_alu instid0(VALU_DEP_2) | instskip(SKIP_1) | instid1(VALU_DEP_1)
	v_pk_fma_f32 v[8:9], v[6:7], v[0:1], v[4:5] op_sel:[0,0,1] op_sel_hi:[1,1,0] neg_lo:[0,0,1] neg_hi:[0,0,1]
	v_pk_fma_f32 v[4:5], v[6:7], v[0:1], v[4:5] op_sel:[0,0,1] op_sel_hi:[1,0,0]
	v_mov_b32_e32 v9, v5
	ds_load_2addr_b64 v[4:7], v236 offset0:53 offset1:54
	v_pk_add_f32 v[228:229], v[228:229], v[8:9] neg_lo:[0,1] neg_hi:[0,1]
	s_wait_dscnt 0x0
	v_pk_mul_f32 v[8:9], v[4:5], v[2:3] op_sel:[0,1]
	s_delay_alu instid0(VALU_DEP_1) | instskip(SKIP_1) | instid1(VALU_DEP_1)
	v_pk_fma_f32 v[10:11], v[4:5], v[0:1], v[8:9] op_sel:[0,0,1] op_sel_hi:[1,1,0] neg_lo:[0,0,1] neg_hi:[0,0,1]
	v_pk_fma_f32 v[4:5], v[4:5], v[0:1], v[8:9] op_sel:[0,0,1] op_sel_hi:[1,0,0]
	v_mov_b32_e32 v11, v5
	v_pk_mul_f32 v[4:5], v[6:7], v[2:3] op_sel:[0,1]
	s_delay_alu instid0(VALU_DEP_2) | instskip(NEXT) | instid1(VALU_DEP_2)
	v_pk_add_f32 v[224:225], v[224:225], v[10:11] neg_lo:[0,1] neg_hi:[0,1]
	v_pk_fma_f32 v[8:9], v[6:7], v[0:1], v[4:5] op_sel:[0,0,1] op_sel_hi:[1,1,0] neg_lo:[0,0,1] neg_hi:[0,0,1]
	v_pk_fma_f32 v[4:5], v[6:7], v[0:1], v[4:5] op_sel:[0,0,1] op_sel_hi:[1,0,0]
	s_delay_alu instid0(VALU_DEP_1) | instskip(SKIP_4) | instid1(VALU_DEP_1)
	v_mov_b32_e32 v9, v5
	ds_load_2addr_b64 v[4:7], v236 offset0:55 offset1:56
	v_pk_add_f32 v[226:227], v[226:227], v[8:9] neg_lo:[0,1] neg_hi:[0,1]
	s_wait_dscnt 0x0
	v_pk_mul_f32 v[8:9], v[4:5], v[2:3] op_sel:[0,1]
	v_pk_fma_f32 v[10:11], v[4:5], v[0:1], v[8:9] op_sel:[0,0,1] op_sel_hi:[1,1,0] neg_lo:[0,0,1] neg_hi:[0,0,1]
	v_pk_fma_f32 v[4:5], v[4:5], v[0:1], v[8:9] op_sel:[0,0,1] op_sel_hi:[1,0,0]
	v_dual_mul_f32 v8, v7, v3 :: v_dual_mov_b32 v4, v7
	s_delay_alu instid0(VALU_DEP_2) | instskip(NEXT) | instid1(VALU_DEP_2)
	v_dual_mov_b32 v11, v5 :: v_dual_mov_b32 v5, v6
	v_pk_fma_f32 v[8:9], v[6:7], v[48:49], v[8:9] op_sel_hi:[1,1,0] neg_lo:[0,0,1] neg_hi:[0,0,1]
	v_mul_f32_e32 v6, v7, v0
	s_delay_alu instid0(VALU_DEP_3) | instskip(NEXT) | instid1(VALU_DEP_2)
	v_pk_add_f32 v[222:223], v[222:223], v[10:11] neg_lo:[0,1] neg_hi:[0,1]
	v_pk_fma_f32 v[4:5], v[4:5], v[48:49], v[6:7] op_sel_hi:[1,1,0]
	s_delay_alu instid0(VALU_DEP_1) | instskip(SKIP_4) | instid1(VALU_DEP_1)
	v_mov_b32_e32 v9, v5
	ds_load_2addr_b64 v[4:7], v236 offset0:57 offset1:58
	v_pk_add_f32 v[244:245], v[244:245], v[8:9] neg_lo:[0,1] neg_hi:[0,1]
	s_wait_dscnt 0x0
	v_pk_mul_f32 v[8:9], v[4:5], v[2:3] op_sel:[0,1]
	v_pk_fma_f32 v[10:11], v[4:5], v[0:1], v[8:9] op_sel:[0,0,1] op_sel_hi:[1,1,0] neg_lo:[0,0,1] neg_hi:[0,0,1]
	v_pk_fma_f32 v[4:5], v[4:5], v[0:1], v[8:9] op_sel:[0,0,1] op_sel_hi:[1,0,0]
	s_delay_alu instid0(VALU_DEP_1) | instskip(SKIP_1) | instid1(VALU_DEP_1)
	v_mov_b32_e32 v11, v5
	v_pk_mul_f32 v[4:5], v[6:7], v[2:3] op_sel:[0,1]
	v_pk_fma_f32 v[8:9], v[6:7], v[0:1], v[4:5] op_sel:[0,0,1] op_sel_hi:[1,1,0] neg_lo:[0,0,1] neg_hi:[0,0,1]
	v_pk_fma_f32 v[4:5], v[6:7], v[0:1], v[4:5] op_sel:[0,0,1] op_sel_hi:[1,0,0]
	s_delay_alu instid0(VALU_DEP_1)
	v_mov_b32_e32 v9, v5
	ds_load_2addr_b64 v[4:7], v236 offset0:59 offset1:60
	v_pk_add_f32 v[240:241], v[240:241], v[10:11] neg_lo:[0,1] neg_hi:[0,1]
	v_pk_add_f32 v[242:243], v[242:243], v[8:9] neg_lo:[0,1] neg_hi:[0,1]
	s_wait_dscnt 0x0
	v_pk_mul_f32 v[8:9], v[4:5], v[2:3] op_sel:[0,1]
	s_delay_alu instid0(VALU_DEP_1) | instskip(SKIP_1) | instid1(VALU_DEP_1)
	v_pk_fma_f32 v[10:11], v[4:5], v[0:1], v[8:9] op_sel:[0,0,1] op_sel_hi:[1,1,0] neg_lo:[0,0,1] neg_hi:[0,0,1]
	v_pk_fma_f32 v[4:5], v[4:5], v[0:1], v[8:9] op_sel:[0,0,1] op_sel_hi:[1,0,0]
	v_mov_b32_e32 v11, v5
	v_pk_mul_f32 v[4:5], v[6:7], v[2:3] op_sel:[0,1]
	s_delay_alu instid0(VALU_DEP_1) | instskip(SKIP_1) | instid1(VALU_DEP_1)
	v_pk_fma_f32 v[8:9], v[6:7], v[0:1], v[4:5] op_sel:[0,0,1] op_sel_hi:[1,1,0] neg_lo:[0,0,1] neg_hi:[0,0,1]
	v_pk_fma_f32 v[4:5], v[6:7], v[0:1], v[4:5] op_sel:[0,0,1] op_sel_hi:[1,0,0]
	v_mov_b32_e32 v9, v5
	ds_load_b64 v[4:5], v236 offset:488
	v_pk_add_f32 v[238:239], v[238:239], v[10:11] neg_lo:[0,1] neg_hi:[0,1]
	v_pk_add_f32 v[246:247], v[246:247], v[8:9] neg_lo:[0,1] neg_hi:[0,1]
	s_wait_dscnt 0x0
	v_pk_mul_f32 v[2:3], v[4:5], v[2:3] op_sel:[0,1]
	s_delay_alu instid0(VALU_DEP_1) | instskip(SKIP_1) | instid1(VALU_DEP_1)
	v_pk_fma_f32 v[6:7], v[4:5], v[0:1], v[2:3] op_sel:[0,0,1] op_sel_hi:[1,1,0] neg_lo:[0,0,1] neg_hi:[0,0,1]
	v_pk_fma_f32 v[0:1], v[4:5], v[0:1], v[2:3] op_sel:[0,0,1] op_sel_hi:[1,0,0]
	v_mov_b32_e32 v7, v1
	s_delay_alu instid0(VALU_DEP_1)
	v_pk_add_f32 v[248:249], v[248:249], v[6:7] neg_lo:[0,1] neg_hi:[0,1]
.LBB123_28:
	s_wait_xcnt 0x0
	s_or_b32 exec_lo, exec_lo, s1
	s_delay_alu instid0(SALU_CYCLE_1)
	s_mov_b32 s2, exec_lo
	s_wait_storecnt 0x0
	s_barrier_signal -1
	s_barrier_wait -1
	v_cmpx_eq_u32_e32 3, v234
	s_cbranch_execz .LBB123_35
; %bb.29:
	v_dual_mov_b32 v0, v28 :: v_dual_mov_b32 v1, v29
	v_dual_mov_b32 v2, v22 :: v_dual_mov_b32 v3, v23
	ds_store_b64 v235, v[46:47]
	ds_store_2addr_b64 v236, v[0:1], v[2:3] offset0:4 offset1:5
	v_dual_mov_b32 v0, v24 :: v_dual_mov_b32 v1, v25
	v_dual_mov_b32 v2, v20 :: v_dual_mov_b32 v3, v21
	ds_store_2addr_b64 v236, v[0:1], v[2:3] offset0:6 offset1:7
	v_dual_mov_b32 v0, v42 :: v_dual_mov_b32 v1, v43
	v_dual_mov_b32 v2, v38 :: v_dual_mov_b32 v3, v39
	;; [unrolled: 3-line block ×27, first 2 shown]
	ds_store_2addr_b64 v236, v[0:1], v[2:3] offset0:58 offset1:59
	v_dual_mov_b32 v0, v246 :: v_dual_mov_b32 v1, v247
	ds_store_2addr_b64 v236, v[0:1], v[248:249] offset0:60 offset1:61
	ds_load_b64 v[0:1], v235
	s_wait_dscnt 0x0
	v_cmp_neq_f32_e32 vcc_lo, 0, v0
	v_cmp_neq_f32_e64 s1, 0, v1
	s_or_b32 s1, vcc_lo, s1
	s_delay_alu instid0(SALU_CYCLE_1)
	s_and_b32 exec_lo, exec_lo, s1
	s_cbranch_execz .LBB123_35
; %bb.30:
	v_cmp_ngt_f32_e64 s1, |v0|, |v1|
                                        ; implicit-def: $vgpr2_vgpr3
	s_and_saveexec_b32 s4, s1
	s_delay_alu instid0(SALU_CYCLE_1)
	s_xor_b32 s1, exec_lo, s4
	s_cbranch_execz .LBB123_32
; %bb.31:
	v_div_scale_f32 v2, null, v1, v1, v0
	v_div_scale_f32 v5, vcc_lo, v0, v1, v0
	s_delay_alu instid0(VALU_DEP_2) | instskip(SKIP_1) | instid1(TRANS32_DEP_1)
	v_rcp_f32_e32 v3, v2
	v_nop
	v_fma_f32 v4, -v2, v3, 1.0
	s_delay_alu instid0(VALU_DEP_1) | instskip(NEXT) | instid1(VALU_DEP_1)
	v_fmac_f32_e32 v3, v4, v3
	v_mul_f32_e32 v4, v5, v3
	s_delay_alu instid0(VALU_DEP_1) | instskip(NEXT) | instid1(VALU_DEP_1)
	v_fma_f32 v6, -v2, v4, v5
	v_fmac_f32_e32 v4, v6, v3
	s_delay_alu instid0(VALU_DEP_1) | instskip(NEXT) | instid1(VALU_DEP_1)
	v_fma_f32 v2, -v2, v4, v5
	v_div_fmas_f32 v2, v2, v3, v4
	s_delay_alu instid0(VALU_DEP_1) | instskip(NEXT) | instid1(VALU_DEP_1)
	v_div_fixup_f32 v2, v2, v1, v0
	v_fmac_f32_e32 v1, v0, v2
	s_delay_alu instid0(VALU_DEP_1) | instskip(SKIP_1) | instid1(VALU_DEP_2)
	v_div_scale_f32 v0, null, v1, v1, 1.0
	v_div_scale_f32 v5, vcc_lo, 1.0, v1, 1.0
	v_rcp_f32_e32 v3, v0
	v_nop
	s_delay_alu instid0(TRANS32_DEP_1) | instskip(NEXT) | instid1(VALU_DEP_1)
	v_fma_f32 v4, -v0, v3, 1.0
	v_fmac_f32_e32 v3, v4, v3
	s_delay_alu instid0(VALU_DEP_1) | instskip(NEXT) | instid1(VALU_DEP_1)
	v_mul_f32_e32 v4, v5, v3
	v_fma_f32 v6, -v0, v4, v5
	s_delay_alu instid0(VALU_DEP_1) | instskip(NEXT) | instid1(VALU_DEP_1)
	v_fmac_f32_e32 v4, v6, v3
	v_fma_f32 v0, -v0, v4, v5
	s_delay_alu instid0(VALU_DEP_1) | instskip(NEXT) | instid1(VALU_DEP_1)
	v_div_fmas_f32 v0, v0, v3, v4
	v_div_fixup_f32 v0, v0, v1, 1.0
	s_delay_alu instid0(VALU_DEP_1)
	v_mul_f32_e32 v2, v2, v0
	v_xor_b32_e32 v3, 0x80000000, v0
                                        ; implicit-def: $vgpr0_vgpr1
.LBB123_32:
	s_and_not1_saveexec_b32 s1, s1
	s_cbranch_execz .LBB123_34
; %bb.33:
	v_div_scale_f32 v2, null, v0, v0, v1
	v_div_scale_f32 v5, vcc_lo, v1, v0, v1
	s_delay_alu instid0(VALU_DEP_2) | instskip(SKIP_1) | instid1(TRANS32_DEP_1)
	v_rcp_f32_e32 v3, v2
	v_nop
	v_fma_f32 v4, -v2, v3, 1.0
	s_delay_alu instid0(VALU_DEP_1) | instskip(NEXT) | instid1(VALU_DEP_1)
	v_fmac_f32_e32 v3, v4, v3
	v_mul_f32_e32 v4, v5, v3
	s_delay_alu instid0(VALU_DEP_1) | instskip(NEXT) | instid1(VALU_DEP_1)
	v_fma_f32 v6, -v2, v4, v5
	v_fmac_f32_e32 v4, v6, v3
	s_delay_alu instid0(VALU_DEP_1) | instskip(NEXT) | instid1(VALU_DEP_1)
	v_fma_f32 v2, -v2, v4, v5
	v_div_fmas_f32 v2, v2, v3, v4
	s_delay_alu instid0(VALU_DEP_1) | instskip(NEXT) | instid1(VALU_DEP_1)
	v_div_fixup_f32 v3, v2, v0, v1
	v_fmac_f32_e32 v0, v1, v3
	s_delay_alu instid0(VALU_DEP_1) | instskip(NEXT) | instid1(VALU_DEP_1)
	v_div_scale_f32 v1, null, v0, v0, 1.0
	v_rcp_f32_e32 v2, v1
	v_nop
	s_delay_alu instid0(TRANS32_DEP_1) | instskip(NEXT) | instid1(VALU_DEP_1)
	v_fma_f32 v4, -v1, v2, 1.0
	v_fmac_f32_e32 v2, v4, v2
	v_div_scale_f32 v4, vcc_lo, 1.0, v0, 1.0
	s_delay_alu instid0(VALU_DEP_1) | instskip(NEXT) | instid1(VALU_DEP_1)
	v_mul_f32_e32 v5, v4, v2
	v_fma_f32 v6, -v1, v5, v4
	s_delay_alu instid0(VALU_DEP_1) | instskip(NEXT) | instid1(VALU_DEP_1)
	v_fmac_f32_e32 v5, v6, v2
	v_fma_f32 v1, -v1, v5, v4
	s_delay_alu instid0(VALU_DEP_1) | instskip(NEXT) | instid1(VALU_DEP_1)
	v_div_fmas_f32 v1, v1, v2, v5
	v_div_fixup_f32 v2, v1, v0, 1.0
	s_delay_alu instid0(VALU_DEP_1)
	v_mul_f32_e64 v3, v3, -v2
.LBB123_34:
	s_or_b32 exec_lo, exec_lo, s1
	ds_store_b64 v235, v[2:3]
.LBB123_35:
	s_or_b32 exec_lo, exec_lo, s2
	s_wait_dscnt 0x0
	s_barrier_signal -1
	s_barrier_wait -1
	ds_load_b64 v[0:1], v235
	s_mov_b32 s1, exec_lo
	s_wait_dscnt 0x0
	scratch_store_b64 off, v[0:1], off offset:512 ; 8-byte Folded Spill
	s_wait_xcnt 0x0
	v_cmpx_lt_u32_e32 3, v234
	s_cbranch_execz .LBB123_37
; %bb.36:
	scratch_load_b64 v[0:1], off, off offset:512 ; 8-byte Folded Reload
	ds_load_2addr_b64 v[6:9], v236 offset0:4 offset1:5
	s_wait_loadcnt 0x0
	v_pk_mul_f32 v[4:5], v[0:1], v[46:47] op_sel:[1,1] op_sel_hi:[0,1]
	s_delay_alu instid0(VALU_DEP_1) | instskip(SKIP_1) | instid1(VALU_DEP_1)
	v_pk_fma_f32 v[2:3], v[0:1], v[46:47], v[4:5] op_sel_hi:[1,0,1] neg_lo:[0,0,1] neg_hi:[0,0,1]
	v_pk_fma_f32 v[4:5], v[0:1], v[46:47], v[4:5] op_sel_hi:[1,0,1]
	v_dual_mov_b32 v46, v2 :: v_dual_mov_b32 v47, v5
	s_wait_dscnt 0x0
	s_delay_alu instid0(VALU_DEP_2) | instskip(NEXT) | instid1(VALU_DEP_1)
	v_pk_mul_f32 v[10:11], v[6:7], v[4:5] op_sel:[0,1]
	v_pk_fma_f32 v[12:13], v[6:7], v[2:3], v[10:11] op_sel:[0,0,1] op_sel_hi:[1,1,0] neg_lo:[0,0,1] neg_hi:[0,0,1]
	v_pk_fma_f32 v[6:7], v[6:7], v[2:3], v[10:11] op_sel:[0,0,1] op_sel_hi:[1,0,0]
	s_delay_alu instid0(VALU_DEP_1) | instskip(SKIP_1) | instid1(VALU_DEP_1)
	v_mov_b32_e32 v13, v7
	v_pk_mul_f32 v[6:7], v[8:9], v[4:5] op_sel:[0,1]
	v_pk_fma_f32 v[10:11], v[8:9], v[2:3], v[6:7] op_sel:[0,0,1] op_sel_hi:[1,1,0] neg_lo:[0,0,1] neg_hi:[0,0,1]
	v_pk_fma_f32 v[6:7], v[8:9], v[2:3], v[6:7] op_sel:[0,0,1] op_sel_hi:[1,0,0]
	s_delay_alu instid0(VALU_DEP_1)
	v_mov_b32_e32 v11, v7
	ds_load_2addr_b64 v[6:9], v236 offset0:6 offset1:7
	v_pk_add_f32 v[28:29], v[28:29], v[12:13] neg_lo:[0,1] neg_hi:[0,1]
	v_pk_add_f32 v[22:23], v[22:23], v[10:11] neg_lo:[0,1] neg_hi:[0,1]
	s_wait_dscnt 0x0
	v_pk_mul_f32 v[10:11], v[6:7], v[4:5] op_sel:[0,1]
	s_delay_alu instid0(VALU_DEP_1) | instskip(SKIP_2) | instid1(VALU_DEP_2)
	v_pk_fma_f32 v[12:13], v[6:7], v[2:3], v[10:11] op_sel:[0,0,1] op_sel_hi:[1,1,0] neg_lo:[0,0,1] neg_hi:[0,0,1]
	v_pk_fma_f32 v[6:7], v[6:7], v[2:3], v[10:11] op_sel:[0,0,1] op_sel_hi:[1,0,0]
	v_dual_mul_f32 v10, v9, v5 :: v_dual_mov_b32 v6, v9
	v_dual_mov_b32 v13, v7 :: v_dual_mov_b32 v7, v8
	s_delay_alu instid0(VALU_DEP_2) | instskip(SKIP_1) | instid1(VALU_DEP_3)
	v_pk_fma_f32 v[10:11], v[8:9], v[46:47], v[10:11] op_sel_hi:[1,1,0] neg_lo:[0,0,1] neg_hi:[0,0,1]
	v_mul_f32_e32 v8, v9, v2
	v_pk_add_f32 v[24:25], v[24:25], v[12:13] neg_lo:[0,1] neg_hi:[0,1]
	s_delay_alu instid0(VALU_DEP_2) | instskip(NEXT) | instid1(VALU_DEP_1)
	v_pk_fma_f32 v[6:7], v[6:7], v[46:47], v[8:9] op_sel_hi:[1,1,0]
	v_mov_b32_e32 v11, v7
	ds_load_2addr_b64 v[6:9], v236 offset0:8 offset1:9
	v_pk_add_f32 v[20:21], v[20:21], v[10:11] neg_lo:[0,1] neg_hi:[0,1]
	s_wait_dscnt 0x0
	v_pk_mul_f32 v[10:11], v[6:7], v[4:5] op_sel:[0,1]
	s_delay_alu instid0(VALU_DEP_1) | instskip(SKIP_1) | instid1(VALU_DEP_1)
	v_pk_fma_f32 v[12:13], v[6:7], v[2:3], v[10:11] op_sel:[0,0,1] op_sel_hi:[1,1,0] neg_lo:[0,0,1] neg_hi:[0,0,1]
	v_pk_fma_f32 v[6:7], v[6:7], v[2:3], v[10:11] op_sel:[0,0,1] op_sel_hi:[1,0,0]
	v_mov_b32_e32 v13, v7
	v_pk_mul_f32 v[6:7], v[8:9], v[4:5] op_sel:[0,1]
	s_delay_alu instid0(VALU_DEP_1) | instskip(SKIP_1) | instid1(VALU_DEP_1)
	v_pk_fma_f32 v[10:11], v[8:9], v[2:3], v[6:7] op_sel:[0,0,1] op_sel_hi:[1,1,0] neg_lo:[0,0,1] neg_hi:[0,0,1]
	v_pk_fma_f32 v[6:7], v[8:9], v[2:3], v[6:7] op_sel:[0,0,1] op_sel_hi:[1,0,0]
	v_mov_b32_e32 v11, v7
	ds_load_2addr_b64 v[6:9], v236 offset0:10 offset1:11
	v_pk_add_f32 v[42:43], v[42:43], v[12:13] neg_lo:[0,1] neg_hi:[0,1]
	v_pk_add_f32 v[38:39], v[38:39], v[10:11] neg_lo:[0,1] neg_hi:[0,1]
	s_wait_dscnt 0x0
	v_pk_mul_f32 v[10:11], v[6:7], v[4:5] op_sel:[0,1]
	s_delay_alu instid0(VALU_DEP_1) | instskip(SKIP_1) | instid1(VALU_DEP_1)
	v_pk_fma_f32 v[12:13], v[6:7], v[2:3], v[10:11] op_sel:[0,0,1] op_sel_hi:[1,1,0] neg_lo:[0,0,1] neg_hi:[0,0,1]
	v_pk_fma_f32 v[6:7], v[6:7], v[2:3], v[10:11] op_sel:[0,0,1] op_sel_hi:[1,0,0]
	v_mov_b32_e32 v13, v7
	v_pk_mul_f32 v[6:7], v[8:9], v[4:5] op_sel:[0,1]
	s_delay_alu instid0(VALU_DEP_1) | instskip(SKIP_1) | instid1(VALU_DEP_1)
	v_pk_fma_f32 v[10:11], v[8:9], v[2:3], v[6:7] op_sel:[0,0,1] op_sel_hi:[1,1,0] neg_lo:[0,0,1] neg_hi:[0,0,1]
	v_pk_fma_f32 v[6:7], v[8:9], v[2:3], v[6:7] op_sel:[0,0,1] op_sel_hi:[1,0,0]
	v_mov_b32_e32 v11, v7
	ds_load_2addr_b64 v[6:9], v236 offset0:12 offset1:13
	v_pk_add_f32 v[40:41], v[40:41], v[12:13] neg_lo:[0,1] neg_hi:[0,1]
	v_pk_add_f32 v[36:37], v[36:37], v[10:11] neg_lo:[0,1] neg_hi:[0,1]
	s_wait_dscnt 0x0
	v_dual_mul_f32 v10, v7, v5 :: v_dual_mul_f32 v12, v7, v2
	s_delay_alu instid0(VALU_DEP_1) | instskip(NEXT) | instid1(VALU_DEP_2)
	v_pk_fma_f32 v[10:11], v[6:7], v[46:47], v[10:11] op_sel_hi:[1,1,0] neg_lo:[0,0,1] neg_hi:[0,0,1]
	v_pk_fma_f32 v[6:7], v[6:7], v[46:47], v[12:13] op_sel:[1,0,0] op_sel_hi:[0,1,0]
	s_delay_alu instid0(VALU_DEP_1) | instskip(SKIP_1) | instid1(VALU_DEP_2)
	v_mov_b32_e32 v11, v7
	v_pk_mul_f32 v[6:7], v[8:9], v[4:5] op_sel:[0,1]
	v_pk_add_f32 v[66:67], v[66:67], v[10:11] neg_lo:[0,1] neg_hi:[0,1]
	s_delay_alu instid0(VALU_DEP_2) | instskip(SKIP_1) | instid1(VALU_DEP_1)
	v_pk_fma_f32 v[10:11], v[8:9], v[2:3], v[6:7] op_sel:[0,0,1] op_sel_hi:[1,1,0] neg_lo:[0,0,1] neg_hi:[0,0,1]
	v_pk_fma_f32 v[6:7], v[8:9], v[2:3], v[6:7] op_sel:[0,0,1] op_sel_hi:[1,0,0]
	v_mov_b32_e32 v11, v7
	ds_load_2addr_b64 v[6:9], v236 offset0:14 offset1:15
	v_pk_add_f32 v[62:63], v[62:63], v[10:11] neg_lo:[0,1] neg_hi:[0,1]
	s_wait_dscnt 0x0
	v_pk_mul_f32 v[10:11], v[6:7], v[4:5] op_sel:[0,1]
	s_delay_alu instid0(VALU_DEP_1) | instskip(SKIP_1) | instid1(VALU_DEP_1)
	v_pk_fma_f32 v[12:13], v[6:7], v[2:3], v[10:11] op_sel:[0,0,1] op_sel_hi:[1,1,0] neg_lo:[0,0,1] neg_hi:[0,0,1]
	v_pk_fma_f32 v[6:7], v[6:7], v[2:3], v[10:11] op_sel:[0,0,1] op_sel_hi:[1,0,0]
	v_mov_b32_e32 v13, v7
	v_pk_mul_f32 v[6:7], v[8:9], v[4:5] op_sel:[0,1]
	s_delay_alu instid0(VALU_DEP_2) | instskip(NEXT) | instid1(VALU_DEP_2)
	v_pk_add_f32 v[64:65], v[64:65], v[12:13] neg_lo:[0,1] neg_hi:[0,1]
	v_pk_fma_f32 v[10:11], v[8:9], v[2:3], v[6:7] op_sel:[0,0,1] op_sel_hi:[1,1,0] neg_lo:[0,0,1] neg_hi:[0,0,1]
	v_pk_fma_f32 v[6:7], v[8:9], v[2:3], v[6:7] op_sel:[0,0,1] op_sel_hi:[1,0,0]
	s_delay_alu instid0(VALU_DEP_1) | instskip(SKIP_4) | instid1(VALU_DEP_1)
	v_mov_b32_e32 v11, v7
	ds_load_2addr_b64 v[6:9], v236 offset0:16 offset1:17
	v_pk_add_f32 v[60:61], v[60:61], v[10:11] neg_lo:[0,1] neg_hi:[0,1]
	s_wait_dscnt 0x0
	v_pk_mul_f32 v[10:11], v[6:7], v[4:5] op_sel:[0,1]
	v_pk_fma_f32 v[12:13], v[6:7], v[2:3], v[10:11] op_sel:[0,0,1] op_sel_hi:[1,1,0] neg_lo:[0,0,1] neg_hi:[0,0,1]
	v_pk_fma_f32 v[6:7], v[6:7], v[2:3], v[10:11] op_sel:[0,0,1] op_sel_hi:[1,0,0]
	v_dual_mul_f32 v10, v9, v5 :: v_dual_mov_b32 v6, v9
	s_delay_alu instid0(VALU_DEP_2) | instskip(NEXT) | instid1(VALU_DEP_2)
	v_dual_mov_b32 v13, v7 :: v_dual_mov_b32 v7, v8
	v_pk_fma_f32 v[10:11], v[8:9], v[46:47], v[10:11] op_sel_hi:[1,1,0] neg_lo:[0,0,1] neg_hi:[0,0,1]
	v_mul_f32_e32 v8, v9, v2
	s_delay_alu instid0(VALU_DEP_3) | instskip(NEXT) | instid1(VALU_DEP_2)
	v_pk_add_f32 v[82:83], v[82:83], v[12:13] neg_lo:[0,1] neg_hi:[0,1]
	v_pk_fma_f32 v[6:7], v[6:7], v[46:47], v[8:9] op_sel_hi:[1,1,0]
	s_delay_alu instid0(VALU_DEP_1) | instskip(SKIP_4) | instid1(VALU_DEP_1)
	v_mov_b32_e32 v11, v7
	ds_load_2addr_b64 v[6:9], v236 offset0:18 offset1:19
	v_pk_add_f32 v[78:79], v[78:79], v[10:11] neg_lo:[0,1] neg_hi:[0,1]
	s_wait_dscnt 0x0
	v_pk_mul_f32 v[10:11], v[6:7], v[4:5] op_sel:[0,1]
	v_pk_fma_f32 v[12:13], v[6:7], v[2:3], v[10:11] op_sel:[0,0,1] op_sel_hi:[1,1,0] neg_lo:[0,0,1] neg_hi:[0,0,1]
	v_pk_fma_f32 v[6:7], v[6:7], v[2:3], v[10:11] op_sel:[0,0,1] op_sel_hi:[1,0,0]
	s_delay_alu instid0(VALU_DEP_1) | instskip(SKIP_1) | instid1(VALU_DEP_1)
	v_mov_b32_e32 v13, v7
	v_pk_mul_f32 v[6:7], v[8:9], v[4:5] op_sel:[0,1]
	v_pk_fma_f32 v[10:11], v[8:9], v[2:3], v[6:7] op_sel:[0,0,1] op_sel_hi:[1,1,0] neg_lo:[0,0,1] neg_hi:[0,0,1]
	v_pk_fma_f32 v[6:7], v[8:9], v[2:3], v[6:7] op_sel:[0,0,1] op_sel_hi:[1,0,0]
	s_delay_alu instid0(VALU_DEP_1)
	v_mov_b32_e32 v11, v7
	ds_load_2addr_b64 v[6:9], v236 offset0:20 offset1:21
	v_pk_add_f32 v[80:81], v[80:81], v[12:13] neg_lo:[0,1] neg_hi:[0,1]
	v_pk_add_f32 v[76:77], v[76:77], v[10:11] neg_lo:[0,1] neg_hi:[0,1]
	s_wait_dscnt 0x0
	v_pk_mul_f32 v[10:11], v[6:7], v[4:5] op_sel:[0,1]
	s_delay_alu instid0(VALU_DEP_1) | instskip(SKIP_1) | instid1(VALU_DEP_1)
	v_pk_fma_f32 v[12:13], v[6:7], v[2:3], v[10:11] op_sel:[0,0,1] op_sel_hi:[1,1,0] neg_lo:[0,0,1] neg_hi:[0,0,1]
	v_pk_fma_f32 v[6:7], v[6:7], v[2:3], v[10:11] op_sel:[0,0,1] op_sel_hi:[1,0,0]
	v_mov_b32_e32 v13, v7
	v_pk_mul_f32 v[6:7], v[8:9], v[4:5] op_sel:[0,1]
	s_delay_alu instid0(VALU_DEP_1) | instskip(SKIP_1) | instid1(VALU_DEP_1)
	v_pk_fma_f32 v[10:11], v[8:9], v[2:3], v[6:7] op_sel:[0,0,1] op_sel_hi:[1,1,0] neg_lo:[0,0,1] neg_hi:[0,0,1]
	v_pk_fma_f32 v[6:7], v[8:9], v[2:3], v[6:7] op_sel:[0,0,1] op_sel_hi:[1,0,0]
	v_mov_b32_e32 v11, v7
	ds_load_2addr_b64 v[6:9], v236 offset0:22 offset1:23
	v_pk_add_f32 v[98:99], v[98:99], v[12:13] neg_lo:[0,1] neg_hi:[0,1]
	v_pk_add_f32 v[94:95], v[94:95], v[10:11] neg_lo:[0,1] neg_hi:[0,1]
	s_wait_dscnt 0x0
	v_dual_mul_f32 v10, v7, v5 :: v_dual_mul_f32 v12, v7, v2
	s_delay_alu instid0(VALU_DEP_1) | instskip(NEXT) | instid1(VALU_DEP_2)
	v_pk_fma_f32 v[10:11], v[6:7], v[46:47], v[10:11] op_sel_hi:[1,1,0] neg_lo:[0,0,1] neg_hi:[0,0,1]
	v_pk_fma_f32 v[6:7], v[6:7], v[46:47], v[12:13] op_sel:[1,0,0] op_sel_hi:[0,1,0]
	s_delay_alu instid0(VALU_DEP_1) | instskip(SKIP_1) | instid1(VALU_DEP_2)
	v_mov_b32_e32 v11, v7
	v_pk_mul_f32 v[6:7], v[8:9], v[4:5] op_sel:[0,1]
	v_pk_add_f32 v[96:97], v[96:97], v[10:11] neg_lo:[0,1] neg_hi:[0,1]
	s_delay_alu instid0(VALU_DEP_2) | instskip(SKIP_1) | instid1(VALU_DEP_1)
	v_pk_fma_f32 v[10:11], v[8:9], v[2:3], v[6:7] op_sel:[0,0,1] op_sel_hi:[1,1,0] neg_lo:[0,0,1] neg_hi:[0,0,1]
	v_pk_fma_f32 v[6:7], v[8:9], v[2:3], v[6:7] op_sel:[0,0,1] op_sel_hi:[1,0,0]
	v_mov_b32_e32 v11, v7
	ds_load_2addr_b64 v[6:9], v236 offset0:24 offset1:25
	v_pk_add_f32 v[92:93], v[92:93], v[10:11] neg_lo:[0,1] neg_hi:[0,1]
	s_wait_dscnt 0x0
	v_pk_mul_f32 v[10:11], v[6:7], v[4:5] op_sel:[0,1]
	s_delay_alu instid0(VALU_DEP_1) | instskip(SKIP_1) | instid1(VALU_DEP_1)
	v_pk_fma_f32 v[12:13], v[6:7], v[2:3], v[10:11] op_sel:[0,0,1] op_sel_hi:[1,1,0] neg_lo:[0,0,1] neg_hi:[0,0,1]
	v_pk_fma_f32 v[6:7], v[6:7], v[2:3], v[10:11] op_sel:[0,0,1] op_sel_hi:[1,0,0]
	v_mov_b32_e32 v13, v7
	v_pk_mul_f32 v[6:7], v[8:9], v[4:5] op_sel:[0,1]
	s_delay_alu instid0(VALU_DEP_2) | instskip(NEXT) | instid1(VALU_DEP_2)
	v_pk_add_f32 v[114:115], v[114:115], v[12:13] neg_lo:[0,1] neg_hi:[0,1]
	v_pk_fma_f32 v[10:11], v[8:9], v[2:3], v[6:7] op_sel:[0,0,1] op_sel_hi:[1,1,0] neg_lo:[0,0,1] neg_hi:[0,0,1]
	v_pk_fma_f32 v[6:7], v[8:9], v[2:3], v[6:7] op_sel:[0,0,1] op_sel_hi:[1,0,0]
	s_delay_alu instid0(VALU_DEP_1) | instskip(SKIP_4) | instid1(VALU_DEP_1)
	v_mov_b32_e32 v11, v7
	ds_load_2addr_b64 v[6:9], v236 offset0:26 offset1:27
	v_pk_add_f32 v[110:111], v[110:111], v[10:11] neg_lo:[0,1] neg_hi:[0,1]
	s_wait_dscnt 0x0
	v_pk_mul_f32 v[10:11], v[6:7], v[4:5] op_sel:[0,1]
	v_pk_fma_f32 v[12:13], v[6:7], v[2:3], v[10:11] op_sel:[0,0,1] op_sel_hi:[1,1,0] neg_lo:[0,0,1] neg_hi:[0,0,1]
	v_pk_fma_f32 v[6:7], v[6:7], v[2:3], v[10:11] op_sel:[0,0,1] op_sel_hi:[1,0,0]
	v_dual_mul_f32 v10, v9, v5 :: v_dual_mov_b32 v6, v9
	s_delay_alu instid0(VALU_DEP_2) | instskip(NEXT) | instid1(VALU_DEP_2)
	v_dual_mov_b32 v13, v7 :: v_dual_mov_b32 v7, v8
	v_pk_fma_f32 v[10:11], v[8:9], v[46:47], v[10:11] op_sel_hi:[1,1,0] neg_lo:[0,0,1] neg_hi:[0,0,1]
	v_mul_f32_e32 v8, v9, v2
	s_delay_alu instid0(VALU_DEP_3) | instskip(NEXT) | instid1(VALU_DEP_2)
	v_pk_add_f32 v[112:113], v[112:113], v[12:13] neg_lo:[0,1] neg_hi:[0,1]
	v_pk_fma_f32 v[6:7], v[6:7], v[46:47], v[8:9] op_sel_hi:[1,1,0]
	s_delay_alu instid0(VALU_DEP_1) | instskip(SKIP_4) | instid1(VALU_DEP_1)
	v_mov_b32_e32 v11, v7
	ds_load_2addr_b64 v[6:9], v236 offset0:28 offset1:29
	v_pk_add_f32 v[108:109], v[108:109], v[10:11] neg_lo:[0,1] neg_hi:[0,1]
	s_wait_dscnt 0x0
	v_pk_mul_f32 v[10:11], v[6:7], v[4:5] op_sel:[0,1]
	v_pk_fma_f32 v[12:13], v[6:7], v[2:3], v[10:11] op_sel:[0,0,1] op_sel_hi:[1,1,0] neg_lo:[0,0,1] neg_hi:[0,0,1]
	v_pk_fma_f32 v[6:7], v[6:7], v[2:3], v[10:11] op_sel:[0,0,1] op_sel_hi:[1,0,0]
	s_delay_alu instid0(VALU_DEP_1) | instskip(SKIP_1) | instid1(VALU_DEP_1)
	v_mov_b32_e32 v13, v7
	v_pk_mul_f32 v[6:7], v[8:9], v[4:5] op_sel:[0,1]
	v_pk_fma_f32 v[10:11], v[8:9], v[2:3], v[6:7] op_sel:[0,0,1] op_sel_hi:[1,1,0] neg_lo:[0,0,1] neg_hi:[0,0,1]
	v_pk_fma_f32 v[6:7], v[8:9], v[2:3], v[6:7] op_sel:[0,0,1] op_sel_hi:[1,0,0]
	s_delay_alu instid0(VALU_DEP_1)
	v_mov_b32_e32 v11, v7
	ds_load_2addr_b64 v[6:9], v236 offset0:30 offset1:31
	v_pk_add_f32 v[130:131], v[130:131], v[12:13] neg_lo:[0,1] neg_hi:[0,1]
	v_pk_add_f32 v[126:127], v[126:127], v[10:11] neg_lo:[0,1] neg_hi:[0,1]
	s_wait_dscnt 0x0
	v_pk_mul_f32 v[10:11], v[6:7], v[4:5] op_sel:[0,1]
	s_delay_alu instid0(VALU_DEP_1) | instskip(SKIP_1) | instid1(VALU_DEP_1)
	v_pk_fma_f32 v[12:13], v[6:7], v[2:3], v[10:11] op_sel:[0,0,1] op_sel_hi:[1,1,0] neg_lo:[0,0,1] neg_hi:[0,0,1]
	v_pk_fma_f32 v[6:7], v[6:7], v[2:3], v[10:11] op_sel:[0,0,1] op_sel_hi:[1,0,0]
	v_mov_b32_e32 v13, v7
	v_pk_mul_f32 v[6:7], v[8:9], v[4:5] op_sel:[0,1]
	s_delay_alu instid0(VALU_DEP_1) | instskip(SKIP_1) | instid1(VALU_DEP_1)
	v_pk_fma_f32 v[10:11], v[8:9], v[2:3], v[6:7] op_sel:[0,0,1] op_sel_hi:[1,1,0] neg_lo:[0,0,1] neg_hi:[0,0,1]
	v_pk_fma_f32 v[6:7], v[8:9], v[2:3], v[6:7] op_sel:[0,0,1] op_sel_hi:[1,0,0]
	v_mov_b32_e32 v11, v7
	ds_load_2addr_b64 v[6:9], v236 offset0:32 offset1:33
	v_pk_add_f32 v[128:129], v[128:129], v[12:13] neg_lo:[0,1] neg_hi:[0,1]
	v_pk_add_f32 v[124:125], v[124:125], v[10:11] neg_lo:[0,1] neg_hi:[0,1]
	s_wait_dscnt 0x0
	v_dual_mul_f32 v10, v7, v5 :: v_dual_mul_f32 v12, v7, v2
	s_delay_alu instid0(VALU_DEP_1) | instskip(NEXT) | instid1(VALU_DEP_2)
	v_pk_fma_f32 v[10:11], v[6:7], v[46:47], v[10:11] op_sel_hi:[1,1,0] neg_lo:[0,0,1] neg_hi:[0,0,1]
	v_pk_fma_f32 v[6:7], v[6:7], v[46:47], v[12:13] op_sel:[1,0,0] op_sel_hi:[0,1,0]
	s_delay_alu instid0(VALU_DEP_1) | instskip(SKIP_1) | instid1(VALU_DEP_2)
	v_mov_b32_e32 v11, v7
	v_pk_mul_f32 v[6:7], v[8:9], v[4:5] op_sel:[0,1]
	v_pk_add_f32 v[146:147], v[146:147], v[10:11] neg_lo:[0,1] neg_hi:[0,1]
	s_delay_alu instid0(VALU_DEP_2) | instskip(SKIP_1) | instid1(VALU_DEP_1)
	v_pk_fma_f32 v[10:11], v[8:9], v[2:3], v[6:7] op_sel:[0,0,1] op_sel_hi:[1,1,0] neg_lo:[0,0,1] neg_hi:[0,0,1]
	v_pk_fma_f32 v[6:7], v[8:9], v[2:3], v[6:7] op_sel:[0,0,1] op_sel_hi:[1,0,0]
	v_mov_b32_e32 v11, v7
	ds_load_2addr_b64 v[6:9], v236 offset0:34 offset1:35
	v_pk_add_f32 v[142:143], v[142:143], v[10:11] neg_lo:[0,1] neg_hi:[0,1]
	s_wait_dscnt 0x0
	v_pk_mul_f32 v[10:11], v[6:7], v[4:5] op_sel:[0,1]
	s_delay_alu instid0(VALU_DEP_1) | instskip(SKIP_1) | instid1(VALU_DEP_1)
	v_pk_fma_f32 v[12:13], v[6:7], v[2:3], v[10:11] op_sel:[0,0,1] op_sel_hi:[1,1,0] neg_lo:[0,0,1] neg_hi:[0,0,1]
	v_pk_fma_f32 v[6:7], v[6:7], v[2:3], v[10:11] op_sel:[0,0,1] op_sel_hi:[1,0,0]
	v_mov_b32_e32 v13, v7
	v_pk_mul_f32 v[6:7], v[8:9], v[4:5] op_sel:[0,1]
	s_delay_alu instid0(VALU_DEP_2) | instskip(NEXT) | instid1(VALU_DEP_2)
	v_pk_add_f32 v[144:145], v[144:145], v[12:13] neg_lo:[0,1] neg_hi:[0,1]
	v_pk_fma_f32 v[10:11], v[8:9], v[2:3], v[6:7] op_sel:[0,0,1] op_sel_hi:[1,1,0] neg_lo:[0,0,1] neg_hi:[0,0,1]
	v_pk_fma_f32 v[6:7], v[8:9], v[2:3], v[6:7] op_sel:[0,0,1] op_sel_hi:[1,0,0]
	s_delay_alu instid0(VALU_DEP_1) | instskip(SKIP_4) | instid1(VALU_DEP_1)
	v_mov_b32_e32 v11, v7
	ds_load_2addr_b64 v[6:9], v236 offset0:36 offset1:37
	v_pk_add_f32 v[140:141], v[140:141], v[10:11] neg_lo:[0,1] neg_hi:[0,1]
	s_wait_dscnt 0x0
	v_pk_mul_f32 v[10:11], v[6:7], v[4:5] op_sel:[0,1]
	v_pk_fma_f32 v[12:13], v[6:7], v[2:3], v[10:11] op_sel:[0,0,1] op_sel_hi:[1,1,0] neg_lo:[0,0,1] neg_hi:[0,0,1]
	v_pk_fma_f32 v[6:7], v[6:7], v[2:3], v[10:11] op_sel:[0,0,1] op_sel_hi:[1,0,0]
	v_dual_mul_f32 v10, v9, v5 :: v_dual_mov_b32 v6, v9
	s_delay_alu instid0(VALU_DEP_2) | instskip(NEXT) | instid1(VALU_DEP_2)
	v_dual_mov_b32 v13, v7 :: v_dual_mov_b32 v7, v8
	v_pk_fma_f32 v[10:11], v[8:9], v[46:47], v[10:11] op_sel_hi:[1,1,0] neg_lo:[0,0,1] neg_hi:[0,0,1]
	v_mul_f32_e32 v8, v9, v2
	s_delay_alu instid0(VALU_DEP_3) | instskip(NEXT) | instid1(VALU_DEP_2)
	v_pk_add_f32 v[162:163], v[162:163], v[12:13] neg_lo:[0,1] neg_hi:[0,1]
	v_pk_fma_f32 v[6:7], v[6:7], v[46:47], v[8:9] op_sel_hi:[1,1,0]
	s_delay_alu instid0(VALU_DEP_1) | instskip(SKIP_4) | instid1(VALU_DEP_1)
	v_mov_b32_e32 v11, v7
	ds_load_2addr_b64 v[6:9], v236 offset0:38 offset1:39
	v_pk_add_f32 v[158:159], v[158:159], v[10:11] neg_lo:[0,1] neg_hi:[0,1]
	s_wait_dscnt 0x0
	v_pk_mul_f32 v[10:11], v[6:7], v[4:5] op_sel:[0,1]
	v_pk_fma_f32 v[12:13], v[6:7], v[2:3], v[10:11] op_sel:[0,0,1] op_sel_hi:[1,1,0] neg_lo:[0,0,1] neg_hi:[0,0,1]
	v_pk_fma_f32 v[6:7], v[6:7], v[2:3], v[10:11] op_sel:[0,0,1] op_sel_hi:[1,0,0]
	s_delay_alu instid0(VALU_DEP_1) | instskip(SKIP_1) | instid1(VALU_DEP_1)
	v_mov_b32_e32 v13, v7
	v_pk_mul_f32 v[6:7], v[8:9], v[4:5] op_sel:[0,1]
	v_pk_fma_f32 v[10:11], v[8:9], v[2:3], v[6:7] op_sel:[0,0,1] op_sel_hi:[1,1,0] neg_lo:[0,0,1] neg_hi:[0,0,1]
	v_pk_fma_f32 v[6:7], v[8:9], v[2:3], v[6:7] op_sel:[0,0,1] op_sel_hi:[1,0,0]
	s_delay_alu instid0(VALU_DEP_1)
	v_mov_b32_e32 v11, v7
	ds_load_2addr_b64 v[6:9], v236 offset0:40 offset1:41
	v_pk_add_f32 v[160:161], v[160:161], v[12:13] neg_lo:[0,1] neg_hi:[0,1]
	v_pk_add_f32 v[156:157], v[156:157], v[10:11] neg_lo:[0,1] neg_hi:[0,1]
	s_wait_dscnt 0x0
	v_pk_mul_f32 v[10:11], v[6:7], v[4:5] op_sel:[0,1]
	s_delay_alu instid0(VALU_DEP_1) | instskip(SKIP_1) | instid1(VALU_DEP_1)
	v_pk_fma_f32 v[12:13], v[6:7], v[2:3], v[10:11] op_sel:[0,0,1] op_sel_hi:[1,1,0] neg_lo:[0,0,1] neg_hi:[0,0,1]
	v_pk_fma_f32 v[6:7], v[6:7], v[2:3], v[10:11] op_sel:[0,0,1] op_sel_hi:[1,0,0]
	v_mov_b32_e32 v13, v7
	v_pk_mul_f32 v[6:7], v[8:9], v[4:5] op_sel:[0,1]
	s_delay_alu instid0(VALU_DEP_1) | instskip(SKIP_1) | instid1(VALU_DEP_1)
	v_pk_fma_f32 v[10:11], v[8:9], v[2:3], v[6:7] op_sel:[0,0,1] op_sel_hi:[1,1,0] neg_lo:[0,0,1] neg_hi:[0,0,1]
	v_pk_fma_f32 v[6:7], v[8:9], v[2:3], v[6:7] op_sel:[0,0,1] op_sel_hi:[1,0,0]
	v_mov_b32_e32 v11, v7
	ds_load_2addr_b64 v[6:9], v236 offset0:42 offset1:43
	v_pk_add_f32 v[178:179], v[178:179], v[12:13] neg_lo:[0,1] neg_hi:[0,1]
	v_pk_add_f32 v[174:175], v[174:175], v[10:11] neg_lo:[0,1] neg_hi:[0,1]
	s_wait_dscnt 0x0
	v_dual_mul_f32 v10, v7, v5 :: v_dual_mul_f32 v12, v7, v2
	s_delay_alu instid0(VALU_DEP_1) | instskip(NEXT) | instid1(VALU_DEP_2)
	v_pk_fma_f32 v[10:11], v[6:7], v[46:47], v[10:11] op_sel_hi:[1,1,0] neg_lo:[0,0,1] neg_hi:[0,0,1]
	v_pk_fma_f32 v[6:7], v[6:7], v[46:47], v[12:13] op_sel:[1,0,0] op_sel_hi:[0,1,0]
	s_delay_alu instid0(VALU_DEP_1) | instskip(SKIP_1) | instid1(VALU_DEP_2)
	v_mov_b32_e32 v11, v7
	v_pk_mul_f32 v[6:7], v[8:9], v[4:5] op_sel:[0,1]
	v_pk_add_f32 v[176:177], v[176:177], v[10:11] neg_lo:[0,1] neg_hi:[0,1]
	s_delay_alu instid0(VALU_DEP_2) | instskip(SKIP_1) | instid1(VALU_DEP_1)
	v_pk_fma_f32 v[10:11], v[8:9], v[2:3], v[6:7] op_sel:[0,0,1] op_sel_hi:[1,1,0] neg_lo:[0,0,1] neg_hi:[0,0,1]
	v_pk_fma_f32 v[6:7], v[8:9], v[2:3], v[6:7] op_sel:[0,0,1] op_sel_hi:[1,0,0]
	v_mov_b32_e32 v11, v7
	ds_load_2addr_b64 v[6:9], v236 offset0:44 offset1:45
	v_pk_add_f32 v[172:173], v[172:173], v[10:11] neg_lo:[0,1] neg_hi:[0,1]
	s_wait_dscnt 0x0
	v_pk_mul_f32 v[10:11], v[6:7], v[4:5] op_sel:[0,1]
	s_delay_alu instid0(VALU_DEP_1) | instskip(SKIP_1) | instid1(VALU_DEP_1)
	v_pk_fma_f32 v[12:13], v[6:7], v[2:3], v[10:11] op_sel:[0,0,1] op_sel_hi:[1,1,0] neg_lo:[0,0,1] neg_hi:[0,0,1]
	v_pk_fma_f32 v[6:7], v[6:7], v[2:3], v[10:11] op_sel:[0,0,1] op_sel_hi:[1,0,0]
	v_mov_b32_e32 v13, v7
	v_pk_mul_f32 v[6:7], v[8:9], v[4:5] op_sel:[0,1]
	s_delay_alu instid0(VALU_DEP_2) | instskip(NEXT) | instid1(VALU_DEP_2)
	v_pk_add_f32 v[194:195], v[194:195], v[12:13] neg_lo:[0,1] neg_hi:[0,1]
	v_pk_fma_f32 v[10:11], v[8:9], v[2:3], v[6:7] op_sel:[0,0,1] op_sel_hi:[1,1,0] neg_lo:[0,0,1] neg_hi:[0,0,1]
	v_pk_fma_f32 v[6:7], v[8:9], v[2:3], v[6:7] op_sel:[0,0,1] op_sel_hi:[1,0,0]
	s_delay_alu instid0(VALU_DEP_1) | instskip(SKIP_4) | instid1(VALU_DEP_1)
	v_mov_b32_e32 v11, v7
	ds_load_2addr_b64 v[6:9], v236 offset0:46 offset1:47
	v_pk_add_f32 v[190:191], v[190:191], v[10:11] neg_lo:[0,1] neg_hi:[0,1]
	s_wait_dscnt 0x0
	v_pk_mul_f32 v[10:11], v[6:7], v[4:5] op_sel:[0,1]
	v_pk_fma_f32 v[12:13], v[6:7], v[2:3], v[10:11] op_sel:[0,0,1] op_sel_hi:[1,1,0] neg_lo:[0,0,1] neg_hi:[0,0,1]
	v_pk_fma_f32 v[6:7], v[6:7], v[2:3], v[10:11] op_sel:[0,0,1] op_sel_hi:[1,0,0]
	v_dual_mul_f32 v10, v9, v5 :: v_dual_mov_b32 v6, v9
	s_delay_alu instid0(VALU_DEP_2) | instskip(NEXT) | instid1(VALU_DEP_2)
	v_dual_mov_b32 v13, v7 :: v_dual_mov_b32 v7, v8
	v_pk_fma_f32 v[10:11], v[8:9], v[46:47], v[10:11] op_sel_hi:[1,1,0] neg_lo:[0,0,1] neg_hi:[0,0,1]
	v_mul_f32_e32 v8, v9, v2
	s_delay_alu instid0(VALU_DEP_3) | instskip(NEXT) | instid1(VALU_DEP_2)
	v_pk_add_f32 v[192:193], v[192:193], v[12:13] neg_lo:[0,1] neg_hi:[0,1]
	v_pk_fma_f32 v[6:7], v[6:7], v[46:47], v[8:9] op_sel_hi:[1,1,0]
	s_delay_alu instid0(VALU_DEP_1) | instskip(SKIP_4) | instid1(VALU_DEP_1)
	v_mov_b32_e32 v11, v7
	ds_load_2addr_b64 v[6:9], v236 offset0:48 offset1:49
	v_pk_add_f32 v[188:189], v[188:189], v[10:11] neg_lo:[0,1] neg_hi:[0,1]
	s_wait_dscnt 0x0
	v_pk_mul_f32 v[10:11], v[6:7], v[4:5] op_sel:[0,1]
	v_pk_fma_f32 v[12:13], v[6:7], v[2:3], v[10:11] op_sel:[0,0,1] op_sel_hi:[1,1,0] neg_lo:[0,0,1] neg_hi:[0,0,1]
	v_pk_fma_f32 v[6:7], v[6:7], v[2:3], v[10:11] op_sel:[0,0,1] op_sel_hi:[1,0,0]
	s_delay_alu instid0(VALU_DEP_1) | instskip(SKIP_1) | instid1(VALU_DEP_1)
	v_mov_b32_e32 v13, v7
	v_pk_mul_f32 v[6:7], v[8:9], v[4:5] op_sel:[0,1]
	v_pk_fma_f32 v[10:11], v[8:9], v[2:3], v[6:7] op_sel:[0,0,1] op_sel_hi:[1,1,0] neg_lo:[0,0,1] neg_hi:[0,0,1]
	v_pk_fma_f32 v[6:7], v[8:9], v[2:3], v[6:7] op_sel:[0,0,1] op_sel_hi:[1,0,0]
	s_delay_alu instid0(VALU_DEP_1)
	v_mov_b32_e32 v11, v7
	ds_load_2addr_b64 v[6:9], v236 offset0:50 offset1:51
	v_pk_add_f32 v[210:211], v[210:211], v[12:13] neg_lo:[0,1] neg_hi:[0,1]
	v_pk_add_f32 v[206:207], v[206:207], v[10:11] neg_lo:[0,1] neg_hi:[0,1]
	s_wait_dscnt 0x0
	v_pk_mul_f32 v[10:11], v[6:7], v[4:5] op_sel:[0,1]
	s_delay_alu instid0(VALU_DEP_1) | instskip(SKIP_1) | instid1(VALU_DEP_1)
	v_pk_fma_f32 v[12:13], v[6:7], v[2:3], v[10:11] op_sel:[0,0,1] op_sel_hi:[1,1,0] neg_lo:[0,0,1] neg_hi:[0,0,1]
	v_pk_fma_f32 v[6:7], v[6:7], v[2:3], v[10:11] op_sel:[0,0,1] op_sel_hi:[1,0,0]
	v_mov_b32_e32 v13, v7
	v_pk_mul_f32 v[6:7], v[8:9], v[4:5] op_sel:[0,1]
	s_delay_alu instid0(VALU_DEP_1) | instskip(SKIP_1) | instid1(VALU_DEP_1)
	v_pk_fma_f32 v[10:11], v[8:9], v[2:3], v[6:7] op_sel:[0,0,1] op_sel_hi:[1,1,0] neg_lo:[0,0,1] neg_hi:[0,0,1]
	v_pk_fma_f32 v[6:7], v[8:9], v[2:3], v[6:7] op_sel:[0,0,1] op_sel_hi:[1,0,0]
	v_mov_b32_e32 v11, v7
	ds_load_2addr_b64 v[6:9], v236 offset0:52 offset1:53
	v_pk_add_f32 v[208:209], v[208:209], v[12:13] neg_lo:[0,1] neg_hi:[0,1]
	v_pk_add_f32 v[204:205], v[204:205], v[10:11] neg_lo:[0,1] neg_hi:[0,1]
	s_wait_dscnt 0x0
	v_dual_mul_f32 v10, v7, v5 :: v_dual_mul_f32 v12, v7, v2
	s_delay_alu instid0(VALU_DEP_1) | instskip(NEXT) | instid1(VALU_DEP_2)
	v_pk_fma_f32 v[10:11], v[6:7], v[46:47], v[10:11] op_sel_hi:[1,1,0] neg_lo:[0,0,1] neg_hi:[0,0,1]
	v_pk_fma_f32 v[6:7], v[6:7], v[46:47], v[12:13] op_sel:[1,0,0] op_sel_hi:[0,1,0]
	s_delay_alu instid0(VALU_DEP_1) | instskip(SKIP_1) | instid1(VALU_DEP_2)
	v_mov_b32_e32 v11, v7
	v_pk_mul_f32 v[6:7], v[8:9], v[4:5] op_sel:[0,1]
	v_pk_add_f32 v[228:229], v[228:229], v[10:11] neg_lo:[0,1] neg_hi:[0,1]
	s_delay_alu instid0(VALU_DEP_2) | instskip(SKIP_1) | instid1(VALU_DEP_1)
	v_pk_fma_f32 v[10:11], v[8:9], v[2:3], v[6:7] op_sel:[0,0,1] op_sel_hi:[1,1,0] neg_lo:[0,0,1] neg_hi:[0,0,1]
	v_pk_fma_f32 v[6:7], v[8:9], v[2:3], v[6:7] op_sel:[0,0,1] op_sel_hi:[1,0,0]
	v_mov_b32_e32 v11, v7
	ds_load_2addr_b64 v[6:9], v236 offset0:54 offset1:55
	v_pk_add_f32 v[224:225], v[224:225], v[10:11] neg_lo:[0,1] neg_hi:[0,1]
	s_wait_dscnt 0x0
	v_pk_mul_f32 v[10:11], v[6:7], v[4:5] op_sel:[0,1]
	s_delay_alu instid0(VALU_DEP_1) | instskip(SKIP_1) | instid1(VALU_DEP_1)
	v_pk_fma_f32 v[12:13], v[6:7], v[2:3], v[10:11] op_sel:[0,0,1] op_sel_hi:[1,1,0] neg_lo:[0,0,1] neg_hi:[0,0,1]
	v_pk_fma_f32 v[6:7], v[6:7], v[2:3], v[10:11] op_sel:[0,0,1] op_sel_hi:[1,0,0]
	v_mov_b32_e32 v13, v7
	v_pk_mul_f32 v[6:7], v[8:9], v[4:5] op_sel:[0,1]
	s_delay_alu instid0(VALU_DEP_2) | instskip(NEXT) | instid1(VALU_DEP_2)
	v_pk_add_f32 v[226:227], v[226:227], v[12:13] neg_lo:[0,1] neg_hi:[0,1]
	v_pk_fma_f32 v[10:11], v[8:9], v[2:3], v[6:7] op_sel:[0,0,1] op_sel_hi:[1,1,0] neg_lo:[0,0,1] neg_hi:[0,0,1]
	v_pk_fma_f32 v[6:7], v[8:9], v[2:3], v[6:7] op_sel:[0,0,1] op_sel_hi:[1,0,0]
	s_delay_alu instid0(VALU_DEP_1) | instskip(SKIP_4) | instid1(VALU_DEP_1)
	v_mov_b32_e32 v11, v7
	ds_load_2addr_b64 v[6:9], v236 offset0:56 offset1:57
	v_pk_add_f32 v[222:223], v[222:223], v[10:11] neg_lo:[0,1] neg_hi:[0,1]
	s_wait_dscnt 0x0
	v_pk_mul_f32 v[10:11], v[6:7], v[4:5] op_sel:[0,1]
	v_pk_fma_f32 v[12:13], v[6:7], v[2:3], v[10:11] op_sel:[0,0,1] op_sel_hi:[1,1,0] neg_lo:[0,0,1] neg_hi:[0,0,1]
	v_pk_fma_f32 v[6:7], v[6:7], v[2:3], v[10:11] op_sel:[0,0,1] op_sel_hi:[1,0,0]
	v_dual_mul_f32 v10, v9, v5 :: v_dual_mov_b32 v6, v9
	s_delay_alu instid0(VALU_DEP_2) | instskip(NEXT) | instid1(VALU_DEP_2)
	v_dual_mov_b32 v13, v7 :: v_dual_mov_b32 v7, v8
	v_pk_fma_f32 v[10:11], v[8:9], v[46:47], v[10:11] op_sel_hi:[1,1,0] neg_lo:[0,0,1] neg_hi:[0,0,1]
	v_mul_f32_e32 v8, v9, v2
	s_delay_alu instid0(VALU_DEP_3) | instskip(NEXT) | instid1(VALU_DEP_2)
	v_pk_add_f32 v[244:245], v[244:245], v[12:13] neg_lo:[0,1] neg_hi:[0,1]
	v_pk_fma_f32 v[6:7], v[6:7], v[46:47], v[8:9] op_sel_hi:[1,1,0]
	s_delay_alu instid0(VALU_DEP_1) | instskip(SKIP_4) | instid1(VALU_DEP_1)
	v_mov_b32_e32 v11, v7
	ds_load_2addr_b64 v[6:9], v236 offset0:58 offset1:59
	v_pk_add_f32 v[240:241], v[240:241], v[10:11] neg_lo:[0,1] neg_hi:[0,1]
	s_wait_dscnt 0x0
	v_pk_mul_f32 v[10:11], v[6:7], v[4:5] op_sel:[0,1]
	v_pk_fma_f32 v[12:13], v[6:7], v[2:3], v[10:11] op_sel:[0,0,1] op_sel_hi:[1,1,0] neg_lo:[0,0,1] neg_hi:[0,0,1]
	v_pk_fma_f32 v[6:7], v[6:7], v[2:3], v[10:11] op_sel:[0,0,1] op_sel_hi:[1,0,0]
	s_delay_alu instid0(VALU_DEP_1) | instskip(SKIP_1) | instid1(VALU_DEP_1)
	v_mov_b32_e32 v13, v7
	v_pk_mul_f32 v[6:7], v[8:9], v[4:5] op_sel:[0,1]
	v_pk_fma_f32 v[10:11], v[8:9], v[2:3], v[6:7] op_sel:[0,0,1] op_sel_hi:[1,1,0] neg_lo:[0,0,1] neg_hi:[0,0,1]
	v_pk_fma_f32 v[6:7], v[8:9], v[2:3], v[6:7] op_sel:[0,0,1] op_sel_hi:[1,0,0]
	s_delay_alu instid0(VALU_DEP_1)
	v_mov_b32_e32 v11, v7
	ds_load_2addr_b64 v[6:9], v236 offset0:60 offset1:61
	v_pk_add_f32 v[242:243], v[242:243], v[12:13] neg_lo:[0,1] neg_hi:[0,1]
	v_pk_add_f32 v[238:239], v[238:239], v[10:11] neg_lo:[0,1] neg_hi:[0,1]
	s_wait_dscnt 0x0
	v_pk_mul_f32 v[10:11], v[6:7], v[4:5] op_sel:[0,1]
	v_pk_mul_f32 v[4:5], v[8:9], v[4:5] op_sel:[0,1]
	s_delay_alu instid0(VALU_DEP_2) | instskip(SKIP_1) | instid1(VALU_DEP_1)
	v_pk_fma_f32 v[12:13], v[6:7], v[2:3], v[10:11] op_sel:[0,0,1] op_sel_hi:[1,1,0] neg_lo:[0,0,1] neg_hi:[0,0,1]
	v_pk_fma_f32 v[6:7], v[6:7], v[2:3], v[10:11] op_sel:[0,0,1] op_sel_hi:[1,0,0]
	v_mov_b32_e32 v13, v7
	s_delay_alu instid0(VALU_DEP_4) | instskip(SKIP_1) | instid1(VALU_DEP_1)
	v_pk_fma_f32 v[6:7], v[8:9], v[2:3], v[4:5] op_sel:[0,0,1] op_sel_hi:[1,1,0] neg_lo:[0,0,1] neg_hi:[0,0,1]
	v_pk_fma_f32 v[2:3], v[8:9], v[2:3], v[4:5] op_sel:[0,0,1] op_sel_hi:[1,0,0]
	v_mov_b32_e32 v7, v3
	s_delay_alu instid0(VALU_DEP_4) | instskip(NEXT) | instid1(VALU_DEP_2)
	v_pk_add_f32 v[246:247], v[246:247], v[12:13] neg_lo:[0,1] neg_hi:[0,1]
	v_pk_add_f32 v[248:249], v[248:249], v[6:7] neg_lo:[0,1] neg_hi:[0,1]
.LBB123_37:
	s_wait_xcnt 0x0
	s_or_b32 exec_lo, exec_lo, s1
	s_delay_alu instid0(SALU_CYCLE_1)
	s_mov_b32 s2, exec_lo
	s_wait_storecnt 0x0
	s_barrier_signal -1
	s_barrier_wait -1
	v_cmpx_eq_u32_e32 4, v234
	s_cbranch_execz .LBB123_44
; %bb.38:
	ds_store_b64 v235, v[28:29]
	ds_store_2addr_b64 v236, v[22:23], v[24:25] offset0:5 offset1:6
	ds_store_2addr_b64 v236, v[20:21], v[42:43] offset0:7 offset1:8
	ds_store_2addr_b64 v236, v[38:39], v[40:41] offset0:9 offset1:10
	ds_store_2addr_b64 v236, v[36:37], v[66:67] offset0:11 offset1:12
	ds_store_2addr_b64 v236, v[62:63], v[64:65] offset0:13 offset1:14
	ds_store_2addr_b64 v236, v[60:61], v[82:83] offset0:15 offset1:16
	ds_store_2addr_b64 v236, v[78:79], v[80:81] offset0:17 offset1:18
	ds_store_2addr_b64 v236, v[76:77], v[98:99] offset0:19 offset1:20
	ds_store_2addr_b64 v236, v[94:95], v[96:97] offset0:21 offset1:22
	ds_store_2addr_b64 v236, v[92:93], v[114:115] offset0:23 offset1:24
	ds_store_2addr_b64 v236, v[110:111], v[112:113] offset0:25 offset1:26
	ds_store_2addr_b64 v236, v[108:109], v[130:131] offset0:27 offset1:28
	ds_store_2addr_b64 v236, v[126:127], v[128:129] offset0:29 offset1:30
	ds_store_2addr_b64 v236, v[124:125], v[146:147] offset0:31 offset1:32
	ds_store_2addr_b64 v236, v[142:143], v[144:145] offset0:33 offset1:34
	ds_store_2addr_b64 v236, v[140:141], v[162:163] offset0:35 offset1:36
	ds_store_2addr_b64 v236, v[158:159], v[160:161] offset0:37 offset1:38
	ds_store_2addr_b64 v236, v[156:157], v[178:179] offset0:39 offset1:40
	ds_store_2addr_b64 v236, v[174:175], v[176:177] offset0:41 offset1:42
	ds_store_2addr_b64 v236, v[172:173], v[194:195] offset0:43 offset1:44
	ds_store_2addr_b64 v236, v[190:191], v[192:193] offset0:45 offset1:46
	ds_store_2addr_b64 v236, v[188:189], v[210:211] offset0:47 offset1:48
	ds_store_2addr_b64 v236, v[206:207], v[208:209] offset0:49 offset1:50
	ds_store_2addr_b64 v236, v[204:205], v[228:229] offset0:51 offset1:52
	ds_store_2addr_b64 v236, v[224:225], v[226:227] offset0:53 offset1:54
	ds_store_2addr_b64 v236, v[222:223], v[244:245] offset0:55 offset1:56
	ds_store_2addr_b64 v236, v[240:241], v[242:243] offset0:57 offset1:58
	ds_store_2addr_b64 v236, v[238:239], v[246:247] offset0:59 offset1:60
	ds_store_b64 v236, v[248:249] offset:488
	ds_load_b64 v[2:3], v235
	s_wait_dscnt 0x0
	v_cmp_neq_f32_e32 vcc_lo, 0, v2
	v_cmp_neq_f32_e64 s1, 0, v3
	s_or_b32 s1, vcc_lo, s1
	s_delay_alu instid0(SALU_CYCLE_1)
	s_and_b32 exec_lo, exec_lo, s1
	s_cbranch_execz .LBB123_44
; %bb.39:
	v_cmp_ngt_f32_e64 s1, |v2|, |v3|
                                        ; implicit-def: $vgpr4_vgpr5
	s_and_saveexec_b32 s4, s1
	s_delay_alu instid0(SALU_CYCLE_1)
	s_xor_b32 s1, exec_lo, s4
	s_cbranch_execz .LBB123_41
; %bb.40:
	v_div_scale_f32 v0, null, v3, v3, v2
	v_div_scale_f32 v5, vcc_lo, v2, v3, v2
	s_delay_alu instid0(VALU_DEP_2) | instskip(SKIP_1) | instid1(TRANS32_DEP_1)
	v_rcp_f32_e32 v1, v0
	v_nop
	v_fma_f32 v4, -v0, v1, 1.0
	s_delay_alu instid0(VALU_DEP_1) | instskip(NEXT) | instid1(VALU_DEP_1)
	v_fmac_f32_e32 v1, v4, v1
	v_mul_f32_e32 v4, v5, v1
	s_delay_alu instid0(VALU_DEP_1) | instskip(NEXT) | instid1(VALU_DEP_1)
	v_fma_f32 v6, -v0, v4, v5
	v_fmac_f32_e32 v4, v6, v1
	s_delay_alu instid0(VALU_DEP_1) | instskip(NEXT) | instid1(VALU_DEP_1)
	v_fma_f32 v0, -v0, v4, v5
	v_div_fmas_f32 v0, v0, v1, v4
	s_delay_alu instid0(VALU_DEP_1) | instskip(NEXT) | instid1(VALU_DEP_1)
	v_div_fixup_f32 v0, v0, v3, v2
	v_fmac_f32_e32 v3, v2, v0
	s_delay_alu instid0(VALU_DEP_1) | instskip(SKIP_1) | instid1(VALU_DEP_2)
	v_div_scale_f32 v1, null, v3, v3, 1.0
	v_div_scale_f32 v5, vcc_lo, 1.0, v3, 1.0
	v_rcp_f32_e32 v2, v1
	v_nop
	s_delay_alu instid0(TRANS32_DEP_1) | instskip(NEXT) | instid1(VALU_DEP_1)
	v_fma_f32 v4, -v1, v2, 1.0
	v_fmac_f32_e32 v2, v4, v2
	s_delay_alu instid0(VALU_DEP_1) | instskip(NEXT) | instid1(VALU_DEP_1)
	v_mul_f32_e32 v4, v5, v2
	v_fma_f32 v6, -v1, v4, v5
	s_delay_alu instid0(VALU_DEP_1) | instskip(NEXT) | instid1(VALU_DEP_1)
	v_fmac_f32_e32 v4, v6, v2
	v_fma_f32 v1, -v1, v4, v5
	s_delay_alu instid0(VALU_DEP_1) | instskip(NEXT) | instid1(VALU_DEP_1)
	v_div_fmas_f32 v1, v1, v2, v4
	v_div_fixup_f32 v1, v1, v3, 1.0
                                        ; implicit-def: $vgpr2_vgpr3
	s_delay_alu instid0(VALU_DEP_1)
	v_mul_f32_e32 v4, v0, v1
	v_xor_b32_e32 v5, 0x80000000, v1
.LBB123_41:
	s_and_not1_saveexec_b32 s1, s1
	s_cbranch_execz .LBB123_43
; %bb.42:
	v_div_scale_f32 v0, null, v2, v2, v3
	v_div_scale_f32 v5, vcc_lo, v3, v2, v3
	s_delay_alu instid0(VALU_DEP_2) | instskip(SKIP_1) | instid1(TRANS32_DEP_1)
	v_rcp_f32_e32 v1, v0
	v_nop
	v_fma_f32 v4, -v0, v1, 1.0
	s_delay_alu instid0(VALU_DEP_1) | instskip(NEXT) | instid1(VALU_DEP_1)
	v_fmac_f32_e32 v1, v4, v1
	v_mul_f32_e32 v4, v5, v1
	s_delay_alu instid0(VALU_DEP_1) | instskip(NEXT) | instid1(VALU_DEP_1)
	v_fma_f32 v6, -v0, v4, v5
	v_fmac_f32_e32 v4, v6, v1
	s_delay_alu instid0(VALU_DEP_1) | instskip(NEXT) | instid1(VALU_DEP_1)
	v_fma_f32 v0, -v0, v4, v5
	v_div_fmas_f32 v0, v0, v1, v4
	s_delay_alu instid0(VALU_DEP_1) | instskip(NEXT) | instid1(VALU_DEP_1)
	v_div_fixup_f32 v0, v0, v2, v3
	v_fmac_f32_e32 v2, v3, v0
	s_delay_alu instid0(VALU_DEP_1) | instskip(NEXT) | instid1(VALU_DEP_1)
	v_div_scale_f32 v1, null, v2, v2, 1.0
	v_rcp_f32_e32 v3, v1
	v_nop
	s_delay_alu instid0(TRANS32_DEP_1) | instskip(NEXT) | instid1(VALU_DEP_1)
	v_fma_f32 v4, -v1, v3, 1.0
	v_fmac_f32_e32 v3, v4, v3
	v_div_scale_f32 v4, vcc_lo, 1.0, v2, 1.0
	s_delay_alu instid0(VALU_DEP_1) | instskip(NEXT) | instid1(VALU_DEP_1)
	v_mul_f32_e32 v5, v4, v3
	v_fma_f32 v6, -v1, v5, v4
	s_delay_alu instid0(VALU_DEP_1) | instskip(NEXT) | instid1(VALU_DEP_1)
	v_fmac_f32_e32 v5, v6, v3
	v_fma_f32 v1, -v1, v5, v4
	s_delay_alu instid0(VALU_DEP_1) | instskip(NEXT) | instid1(VALU_DEP_1)
	v_div_fmas_f32 v1, v1, v3, v5
	v_div_fixup_f32 v4, v1, v2, 1.0
	s_delay_alu instid0(VALU_DEP_1)
	v_mul_f32_e64 v5, v0, -v4
.LBB123_43:
	s_or_b32 exec_lo, exec_lo, s1
	ds_store_b64 v235, v[4:5]
.LBB123_44:
	s_or_b32 exec_lo, exec_lo, s2
	s_wait_dscnt 0x0
	s_barrier_signal -1
	s_barrier_wait -1
	ds_load_b64 v[2:3], v235
	s_mov_b32 s1, exec_lo
	v_cmpx_lt_u32_e32 4, v234
	s_cbranch_execz .LBB123_46
; %bb.45:
	ds_load_2addr_b64 v[8:11], v236 offset0:5 offset1:6
	s_wait_dscnt 0x1
	v_pk_mul_f32 v[6:7], v[2:3], v[28:29] op_sel:[1,1] op_sel_hi:[0,1]
	s_delay_alu instid0(VALU_DEP_1) | instskip(SKIP_1) | instid1(VALU_DEP_1)
	v_pk_fma_f32 v[4:5], v[2:3], v[28:29], v[6:7] op_sel_hi:[1,0,1] neg_lo:[0,0,1] neg_hi:[0,0,1]
	v_pk_fma_f32 v[6:7], v[2:3], v[28:29], v[6:7] op_sel_hi:[1,0,1]
	v_dual_mov_b32 v28, v4 :: v_dual_mov_b32 v29, v7
	s_wait_dscnt 0x0
	s_delay_alu instid0(VALU_DEP_2) | instskip(NEXT) | instid1(VALU_DEP_1)
	v_pk_mul_f32 v[12:13], v[8:9], v[6:7] op_sel:[0,1]
	v_pk_fma_f32 v[14:15], v[8:9], v[4:5], v[12:13] op_sel:[0,0,1] op_sel_hi:[1,1,0] neg_lo:[0,0,1] neg_hi:[0,0,1]
	v_pk_fma_f32 v[8:9], v[8:9], v[4:5], v[12:13] op_sel:[0,0,1] op_sel_hi:[1,0,0]
	s_delay_alu instid0(VALU_DEP_1) | instskip(SKIP_1) | instid1(VALU_DEP_1)
	v_mov_b32_e32 v15, v9
	v_pk_mul_f32 v[8:9], v[10:11], v[6:7] op_sel:[0,1]
	v_pk_fma_f32 v[12:13], v[10:11], v[4:5], v[8:9] op_sel:[0,0,1] op_sel_hi:[1,1,0] neg_lo:[0,0,1] neg_hi:[0,0,1]
	v_pk_fma_f32 v[8:9], v[10:11], v[4:5], v[8:9] op_sel:[0,0,1] op_sel_hi:[1,0,0]
	s_delay_alu instid0(VALU_DEP_1)
	v_mov_b32_e32 v13, v9
	ds_load_2addr_b64 v[8:11], v236 offset0:7 offset1:8
	v_pk_add_f32 v[22:23], v[22:23], v[14:15] neg_lo:[0,1] neg_hi:[0,1]
	v_pk_add_f32 v[24:25], v[24:25], v[12:13] neg_lo:[0,1] neg_hi:[0,1]
	s_wait_dscnt 0x0
	v_pk_mul_f32 v[12:13], v[8:9], v[6:7] op_sel:[0,1]
	s_delay_alu instid0(VALU_DEP_1) | instskip(SKIP_2) | instid1(VALU_DEP_2)
	v_pk_fma_f32 v[14:15], v[8:9], v[4:5], v[12:13] op_sel:[0,0,1] op_sel_hi:[1,1,0] neg_lo:[0,0,1] neg_hi:[0,0,1]
	v_pk_fma_f32 v[8:9], v[8:9], v[4:5], v[12:13] op_sel:[0,0,1] op_sel_hi:[1,0,0]
	v_dual_mul_f32 v12, v11, v7 :: v_dual_mov_b32 v8, v11
	v_dual_mov_b32 v15, v9 :: v_dual_mov_b32 v9, v10
	s_delay_alu instid0(VALU_DEP_2) | instskip(SKIP_1) | instid1(VALU_DEP_3)
	v_pk_fma_f32 v[12:13], v[10:11], v[28:29], v[12:13] op_sel_hi:[1,1,0] neg_lo:[0,0,1] neg_hi:[0,0,1]
	v_mul_f32_e32 v10, v11, v4
	v_pk_add_f32 v[20:21], v[20:21], v[14:15] neg_lo:[0,1] neg_hi:[0,1]
	s_delay_alu instid0(VALU_DEP_2) | instskip(NEXT) | instid1(VALU_DEP_1)
	v_pk_fma_f32 v[8:9], v[8:9], v[28:29], v[10:11] op_sel_hi:[1,1,0]
	v_mov_b32_e32 v13, v9
	ds_load_2addr_b64 v[8:11], v236 offset0:9 offset1:10
	v_pk_add_f32 v[42:43], v[42:43], v[12:13] neg_lo:[0,1] neg_hi:[0,1]
	s_wait_dscnt 0x0
	v_pk_mul_f32 v[12:13], v[8:9], v[6:7] op_sel:[0,1]
	s_delay_alu instid0(VALU_DEP_1) | instskip(SKIP_1) | instid1(VALU_DEP_1)
	v_pk_fma_f32 v[14:15], v[8:9], v[4:5], v[12:13] op_sel:[0,0,1] op_sel_hi:[1,1,0] neg_lo:[0,0,1] neg_hi:[0,0,1]
	v_pk_fma_f32 v[8:9], v[8:9], v[4:5], v[12:13] op_sel:[0,0,1] op_sel_hi:[1,0,0]
	v_mov_b32_e32 v15, v9
	v_pk_mul_f32 v[8:9], v[10:11], v[6:7] op_sel:[0,1]
	s_delay_alu instid0(VALU_DEP_1) | instskip(SKIP_1) | instid1(VALU_DEP_1)
	v_pk_fma_f32 v[12:13], v[10:11], v[4:5], v[8:9] op_sel:[0,0,1] op_sel_hi:[1,1,0] neg_lo:[0,0,1] neg_hi:[0,0,1]
	v_pk_fma_f32 v[8:9], v[10:11], v[4:5], v[8:9] op_sel:[0,0,1] op_sel_hi:[1,0,0]
	v_mov_b32_e32 v13, v9
	ds_load_2addr_b64 v[8:11], v236 offset0:11 offset1:12
	v_pk_add_f32 v[38:39], v[38:39], v[14:15] neg_lo:[0,1] neg_hi:[0,1]
	v_pk_add_f32 v[40:41], v[40:41], v[12:13] neg_lo:[0,1] neg_hi:[0,1]
	s_wait_dscnt 0x0
	v_pk_mul_f32 v[12:13], v[8:9], v[6:7] op_sel:[0,1]
	s_delay_alu instid0(VALU_DEP_1) | instskip(SKIP_1) | instid1(VALU_DEP_1)
	v_pk_fma_f32 v[14:15], v[8:9], v[4:5], v[12:13] op_sel:[0,0,1] op_sel_hi:[1,1,0] neg_lo:[0,0,1] neg_hi:[0,0,1]
	v_pk_fma_f32 v[8:9], v[8:9], v[4:5], v[12:13] op_sel:[0,0,1] op_sel_hi:[1,0,0]
	v_mov_b32_e32 v15, v9
	v_pk_mul_f32 v[8:9], v[10:11], v[6:7] op_sel:[0,1]
	s_delay_alu instid0(VALU_DEP_1) | instskip(SKIP_1) | instid1(VALU_DEP_1)
	v_pk_fma_f32 v[12:13], v[10:11], v[4:5], v[8:9] op_sel:[0,0,1] op_sel_hi:[1,1,0] neg_lo:[0,0,1] neg_hi:[0,0,1]
	v_pk_fma_f32 v[8:9], v[10:11], v[4:5], v[8:9] op_sel:[0,0,1] op_sel_hi:[1,0,0]
	v_mov_b32_e32 v13, v9
	ds_load_2addr_b64 v[8:11], v236 offset0:13 offset1:14
	v_pk_add_f32 v[36:37], v[36:37], v[14:15] neg_lo:[0,1] neg_hi:[0,1]
	v_pk_add_f32 v[66:67], v[66:67], v[12:13] neg_lo:[0,1] neg_hi:[0,1]
	s_wait_dscnt 0x0
	v_dual_mul_f32 v12, v9, v7 :: v_dual_mul_f32 v14, v9, v4
	s_delay_alu instid0(VALU_DEP_1) | instskip(NEXT) | instid1(VALU_DEP_2)
	v_pk_fma_f32 v[12:13], v[8:9], v[28:29], v[12:13] op_sel_hi:[1,1,0] neg_lo:[0,0,1] neg_hi:[0,0,1]
	v_pk_fma_f32 v[8:9], v[8:9], v[28:29], v[14:15] op_sel:[1,0,0] op_sel_hi:[0,1,0]
	s_delay_alu instid0(VALU_DEP_1) | instskip(SKIP_1) | instid1(VALU_DEP_2)
	v_mov_b32_e32 v13, v9
	v_pk_mul_f32 v[8:9], v[10:11], v[6:7] op_sel:[0,1]
	v_pk_add_f32 v[62:63], v[62:63], v[12:13] neg_lo:[0,1] neg_hi:[0,1]
	s_delay_alu instid0(VALU_DEP_2) | instskip(SKIP_1) | instid1(VALU_DEP_1)
	v_pk_fma_f32 v[12:13], v[10:11], v[4:5], v[8:9] op_sel:[0,0,1] op_sel_hi:[1,1,0] neg_lo:[0,0,1] neg_hi:[0,0,1]
	v_pk_fma_f32 v[8:9], v[10:11], v[4:5], v[8:9] op_sel:[0,0,1] op_sel_hi:[1,0,0]
	v_mov_b32_e32 v13, v9
	ds_load_2addr_b64 v[8:11], v236 offset0:15 offset1:16
	v_pk_add_f32 v[64:65], v[64:65], v[12:13] neg_lo:[0,1] neg_hi:[0,1]
	s_wait_dscnt 0x0
	v_pk_mul_f32 v[12:13], v[8:9], v[6:7] op_sel:[0,1]
	s_delay_alu instid0(VALU_DEP_1) | instskip(SKIP_1) | instid1(VALU_DEP_1)
	v_pk_fma_f32 v[14:15], v[8:9], v[4:5], v[12:13] op_sel:[0,0,1] op_sel_hi:[1,1,0] neg_lo:[0,0,1] neg_hi:[0,0,1]
	v_pk_fma_f32 v[8:9], v[8:9], v[4:5], v[12:13] op_sel:[0,0,1] op_sel_hi:[1,0,0]
	v_mov_b32_e32 v15, v9
	v_pk_mul_f32 v[8:9], v[10:11], v[6:7] op_sel:[0,1]
	s_delay_alu instid0(VALU_DEP_2) | instskip(NEXT) | instid1(VALU_DEP_2)
	v_pk_add_f32 v[60:61], v[60:61], v[14:15] neg_lo:[0,1] neg_hi:[0,1]
	v_pk_fma_f32 v[12:13], v[10:11], v[4:5], v[8:9] op_sel:[0,0,1] op_sel_hi:[1,1,0] neg_lo:[0,0,1] neg_hi:[0,0,1]
	v_pk_fma_f32 v[8:9], v[10:11], v[4:5], v[8:9] op_sel:[0,0,1] op_sel_hi:[1,0,0]
	s_delay_alu instid0(VALU_DEP_1) | instskip(SKIP_4) | instid1(VALU_DEP_1)
	v_mov_b32_e32 v13, v9
	ds_load_2addr_b64 v[8:11], v236 offset0:17 offset1:18
	v_pk_add_f32 v[82:83], v[82:83], v[12:13] neg_lo:[0,1] neg_hi:[0,1]
	s_wait_dscnt 0x0
	v_pk_mul_f32 v[12:13], v[8:9], v[6:7] op_sel:[0,1]
	v_pk_fma_f32 v[14:15], v[8:9], v[4:5], v[12:13] op_sel:[0,0,1] op_sel_hi:[1,1,0] neg_lo:[0,0,1] neg_hi:[0,0,1]
	v_pk_fma_f32 v[8:9], v[8:9], v[4:5], v[12:13] op_sel:[0,0,1] op_sel_hi:[1,0,0]
	v_dual_mul_f32 v12, v11, v7 :: v_dual_mov_b32 v8, v11
	s_delay_alu instid0(VALU_DEP_2) | instskip(NEXT) | instid1(VALU_DEP_2)
	v_dual_mov_b32 v15, v9 :: v_dual_mov_b32 v9, v10
	v_pk_fma_f32 v[12:13], v[10:11], v[28:29], v[12:13] op_sel_hi:[1,1,0] neg_lo:[0,0,1] neg_hi:[0,0,1]
	v_mul_f32_e32 v10, v11, v4
	s_delay_alu instid0(VALU_DEP_3) | instskip(NEXT) | instid1(VALU_DEP_2)
	v_pk_add_f32 v[78:79], v[78:79], v[14:15] neg_lo:[0,1] neg_hi:[0,1]
	v_pk_fma_f32 v[8:9], v[8:9], v[28:29], v[10:11] op_sel_hi:[1,1,0]
	s_delay_alu instid0(VALU_DEP_1) | instskip(SKIP_4) | instid1(VALU_DEP_1)
	v_mov_b32_e32 v13, v9
	ds_load_2addr_b64 v[8:11], v236 offset0:19 offset1:20
	v_pk_add_f32 v[80:81], v[80:81], v[12:13] neg_lo:[0,1] neg_hi:[0,1]
	s_wait_dscnt 0x0
	v_pk_mul_f32 v[12:13], v[8:9], v[6:7] op_sel:[0,1]
	v_pk_fma_f32 v[14:15], v[8:9], v[4:5], v[12:13] op_sel:[0,0,1] op_sel_hi:[1,1,0] neg_lo:[0,0,1] neg_hi:[0,0,1]
	v_pk_fma_f32 v[8:9], v[8:9], v[4:5], v[12:13] op_sel:[0,0,1] op_sel_hi:[1,0,0]
	s_delay_alu instid0(VALU_DEP_1) | instskip(SKIP_1) | instid1(VALU_DEP_1)
	v_mov_b32_e32 v15, v9
	v_pk_mul_f32 v[8:9], v[10:11], v[6:7] op_sel:[0,1]
	v_pk_fma_f32 v[12:13], v[10:11], v[4:5], v[8:9] op_sel:[0,0,1] op_sel_hi:[1,1,0] neg_lo:[0,0,1] neg_hi:[0,0,1]
	v_pk_fma_f32 v[8:9], v[10:11], v[4:5], v[8:9] op_sel:[0,0,1] op_sel_hi:[1,0,0]
	s_delay_alu instid0(VALU_DEP_1)
	v_mov_b32_e32 v13, v9
	ds_load_2addr_b64 v[8:11], v236 offset0:21 offset1:22
	v_pk_add_f32 v[76:77], v[76:77], v[14:15] neg_lo:[0,1] neg_hi:[0,1]
	v_pk_add_f32 v[98:99], v[98:99], v[12:13] neg_lo:[0,1] neg_hi:[0,1]
	s_wait_dscnt 0x0
	v_pk_mul_f32 v[12:13], v[8:9], v[6:7] op_sel:[0,1]
	s_delay_alu instid0(VALU_DEP_1) | instskip(SKIP_1) | instid1(VALU_DEP_1)
	v_pk_fma_f32 v[14:15], v[8:9], v[4:5], v[12:13] op_sel:[0,0,1] op_sel_hi:[1,1,0] neg_lo:[0,0,1] neg_hi:[0,0,1]
	v_pk_fma_f32 v[8:9], v[8:9], v[4:5], v[12:13] op_sel:[0,0,1] op_sel_hi:[1,0,0]
	v_mov_b32_e32 v15, v9
	v_pk_mul_f32 v[8:9], v[10:11], v[6:7] op_sel:[0,1]
	s_delay_alu instid0(VALU_DEP_1) | instskip(SKIP_1) | instid1(VALU_DEP_1)
	v_pk_fma_f32 v[12:13], v[10:11], v[4:5], v[8:9] op_sel:[0,0,1] op_sel_hi:[1,1,0] neg_lo:[0,0,1] neg_hi:[0,0,1]
	v_pk_fma_f32 v[8:9], v[10:11], v[4:5], v[8:9] op_sel:[0,0,1] op_sel_hi:[1,0,0]
	v_mov_b32_e32 v13, v9
	ds_load_2addr_b64 v[8:11], v236 offset0:23 offset1:24
	v_pk_add_f32 v[94:95], v[94:95], v[14:15] neg_lo:[0,1] neg_hi:[0,1]
	v_pk_add_f32 v[96:97], v[96:97], v[12:13] neg_lo:[0,1] neg_hi:[0,1]
	s_wait_dscnt 0x0
	v_dual_mul_f32 v12, v9, v7 :: v_dual_mul_f32 v14, v9, v4
	s_delay_alu instid0(VALU_DEP_1) | instskip(NEXT) | instid1(VALU_DEP_2)
	v_pk_fma_f32 v[12:13], v[8:9], v[28:29], v[12:13] op_sel_hi:[1,1,0] neg_lo:[0,0,1] neg_hi:[0,0,1]
	v_pk_fma_f32 v[8:9], v[8:9], v[28:29], v[14:15] op_sel:[1,0,0] op_sel_hi:[0,1,0]
	s_delay_alu instid0(VALU_DEP_1) | instskip(SKIP_1) | instid1(VALU_DEP_2)
	v_mov_b32_e32 v13, v9
	v_pk_mul_f32 v[8:9], v[10:11], v[6:7] op_sel:[0,1]
	v_pk_add_f32 v[92:93], v[92:93], v[12:13] neg_lo:[0,1] neg_hi:[0,1]
	s_delay_alu instid0(VALU_DEP_2) | instskip(SKIP_1) | instid1(VALU_DEP_1)
	v_pk_fma_f32 v[12:13], v[10:11], v[4:5], v[8:9] op_sel:[0,0,1] op_sel_hi:[1,1,0] neg_lo:[0,0,1] neg_hi:[0,0,1]
	v_pk_fma_f32 v[8:9], v[10:11], v[4:5], v[8:9] op_sel:[0,0,1] op_sel_hi:[1,0,0]
	v_mov_b32_e32 v13, v9
	ds_load_2addr_b64 v[8:11], v236 offset0:25 offset1:26
	v_pk_add_f32 v[114:115], v[114:115], v[12:13] neg_lo:[0,1] neg_hi:[0,1]
	s_wait_dscnt 0x0
	v_pk_mul_f32 v[12:13], v[8:9], v[6:7] op_sel:[0,1]
	s_delay_alu instid0(VALU_DEP_1) | instskip(SKIP_1) | instid1(VALU_DEP_1)
	v_pk_fma_f32 v[14:15], v[8:9], v[4:5], v[12:13] op_sel:[0,0,1] op_sel_hi:[1,1,0] neg_lo:[0,0,1] neg_hi:[0,0,1]
	v_pk_fma_f32 v[8:9], v[8:9], v[4:5], v[12:13] op_sel:[0,0,1] op_sel_hi:[1,0,0]
	v_mov_b32_e32 v15, v9
	v_pk_mul_f32 v[8:9], v[10:11], v[6:7] op_sel:[0,1]
	s_delay_alu instid0(VALU_DEP_2) | instskip(NEXT) | instid1(VALU_DEP_2)
	v_pk_add_f32 v[110:111], v[110:111], v[14:15] neg_lo:[0,1] neg_hi:[0,1]
	v_pk_fma_f32 v[12:13], v[10:11], v[4:5], v[8:9] op_sel:[0,0,1] op_sel_hi:[1,1,0] neg_lo:[0,0,1] neg_hi:[0,0,1]
	v_pk_fma_f32 v[8:9], v[10:11], v[4:5], v[8:9] op_sel:[0,0,1] op_sel_hi:[1,0,0]
	s_delay_alu instid0(VALU_DEP_1) | instskip(SKIP_4) | instid1(VALU_DEP_1)
	v_mov_b32_e32 v13, v9
	ds_load_2addr_b64 v[8:11], v236 offset0:27 offset1:28
	v_pk_add_f32 v[112:113], v[112:113], v[12:13] neg_lo:[0,1] neg_hi:[0,1]
	s_wait_dscnt 0x0
	v_pk_mul_f32 v[12:13], v[8:9], v[6:7] op_sel:[0,1]
	v_pk_fma_f32 v[14:15], v[8:9], v[4:5], v[12:13] op_sel:[0,0,1] op_sel_hi:[1,1,0] neg_lo:[0,0,1] neg_hi:[0,0,1]
	v_pk_fma_f32 v[8:9], v[8:9], v[4:5], v[12:13] op_sel:[0,0,1] op_sel_hi:[1,0,0]
	v_dual_mul_f32 v12, v11, v7 :: v_dual_mov_b32 v8, v11
	s_delay_alu instid0(VALU_DEP_2) | instskip(NEXT) | instid1(VALU_DEP_2)
	v_dual_mov_b32 v15, v9 :: v_dual_mov_b32 v9, v10
	v_pk_fma_f32 v[12:13], v[10:11], v[28:29], v[12:13] op_sel_hi:[1,1,0] neg_lo:[0,0,1] neg_hi:[0,0,1]
	v_mul_f32_e32 v10, v11, v4
	s_delay_alu instid0(VALU_DEP_3) | instskip(NEXT) | instid1(VALU_DEP_2)
	v_pk_add_f32 v[108:109], v[108:109], v[14:15] neg_lo:[0,1] neg_hi:[0,1]
	v_pk_fma_f32 v[8:9], v[8:9], v[28:29], v[10:11] op_sel_hi:[1,1,0]
	s_delay_alu instid0(VALU_DEP_1) | instskip(SKIP_4) | instid1(VALU_DEP_1)
	v_mov_b32_e32 v13, v9
	ds_load_2addr_b64 v[8:11], v236 offset0:29 offset1:30
	v_pk_add_f32 v[130:131], v[130:131], v[12:13] neg_lo:[0,1] neg_hi:[0,1]
	s_wait_dscnt 0x0
	v_pk_mul_f32 v[12:13], v[8:9], v[6:7] op_sel:[0,1]
	v_pk_fma_f32 v[14:15], v[8:9], v[4:5], v[12:13] op_sel:[0,0,1] op_sel_hi:[1,1,0] neg_lo:[0,0,1] neg_hi:[0,0,1]
	v_pk_fma_f32 v[8:9], v[8:9], v[4:5], v[12:13] op_sel:[0,0,1] op_sel_hi:[1,0,0]
	s_delay_alu instid0(VALU_DEP_1) | instskip(SKIP_1) | instid1(VALU_DEP_1)
	v_mov_b32_e32 v15, v9
	v_pk_mul_f32 v[8:9], v[10:11], v[6:7] op_sel:[0,1]
	v_pk_fma_f32 v[12:13], v[10:11], v[4:5], v[8:9] op_sel:[0,0,1] op_sel_hi:[1,1,0] neg_lo:[0,0,1] neg_hi:[0,0,1]
	v_pk_fma_f32 v[8:9], v[10:11], v[4:5], v[8:9] op_sel:[0,0,1] op_sel_hi:[1,0,0]
	s_delay_alu instid0(VALU_DEP_1)
	v_mov_b32_e32 v13, v9
	ds_load_2addr_b64 v[8:11], v236 offset0:31 offset1:32
	v_pk_add_f32 v[126:127], v[126:127], v[14:15] neg_lo:[0,1] neg_hi:[0,1]
	v_pk_add_f32 v[128:129], v[128:129], v[12:13] neg_lo:[0,1] neg_hi:[0,1]
	s_wait_dscnt 0x0
	v_pk_mul_f32 v[12:13], v[8:9], v[6:7] op_sel:[0,1]
	s_delay_alu instid0(VALU_DEP_1) | instskip(SKIP_1) | instid1(VALU_DEP_1)
	v_pk_fma_f32 v[14:15], v[8:9], v[4:5], v[12:13] op_sel:[0,0,1] op_sel_hi:[1,1,0] neg_lo:[0,0,1] neg_hi:[0,0,1]
	v_pk_fma_f32 v[8:9], v[8:9], v[4:5], v[12:13] op_sel:[0,0,1] op_sel_hi:[1,0,0]
	v_mov_b32_e32 v15, v9
	v_pk_mul_f32 v[8:9], v[10:11], v[6:7] op_sel:[0,1]
	s_delay_alu instid0(VALU_DEP_1) | instskip(SKIP_1) | instid1(VALU_DEP_1)
	v_pk_fma_f32 v[12:13], v[10:11], v[4:5], v[8:9] op_sel:[0,0,1] op_sel_hi:[1,1,0] neg_lo:[0,0,1] neg_hi:[0,0,1]
	v_pk_fma_f32 v[8:9], v[10:11], v[4:5], v[8:9] op_sel:[0,0,1] op_sel_hi:[1,0,0]
	v_mov_b32_e32 v13, v9
	ds_load_2addr_b64 v[8:11], v236 offset0:33 offset1:34
	v_pk_add_f32 v[124:125], v[124:125], v[14:15] neg_lo:[0,1] neg_hi:[0,1]
	v_pk_add_f32 v[146:147], v[146:147], v[12:13] neg_lo:[0,1] neg_hi:[0,1]
	s_wait_dscnt 0x0
	v_dual_mul_f32 v12, v9, v7 :: v_dual_mul_f32 v14, v9, v4
	s_delay_alu instid0(VALU_DEP_1) | instskip(NEXT) | instid1(VALU_DEP_2)
	v_pk_fma_f32 v[12:13], v[8:9], v[28:29], v[12:13] op_sel_hi:[1,1,0] neg_lo:[0,0,1] neg_hi:[0,0,1]
	v_pk_fma_f32 v[8:9], v[8:9], v[28:29], v[14:15] op_sel:[1,0,0] op_sel_hi:[0,1,0]
	s_delay_alu instid0(VALU_DEP_1) | instskip(SKIP_1) | instid1(VALU_DEP_2)
	v_mov_b32_e32 v13, v9
	v_pk_mul_f32 v[8:9], v[10:11], v[6:7] op_sel:[0,1]
	v_pk_add_f32 v[142:143], v[142:143], v[12:13] neg_lo:[0,1] neg_hi:[0,1]
	s_delay_alu instid0(VALU_DEP_2) | instskip(SKIP_1) | instid1(VALU_DEP_1)
	v_pk_fma_f32 v[12:13], v[10:11], v[4:5], v[8:9] op_sel:[0,0,1] op_sel_hi:[1,1,0] neg_lo:[0,0,1] neg_hi:[0,0,1]
	v_pk_fma_f32 v[8:9], v[10:11], v[4:5], v[8:9] op_sel:[0,0,1] op_sel_hi:[1,0,0]
	v_mov_b32_e32 v13, v9
	ds_load_2addr_b64 v[8:11], v236 offset0:35 offset1:36
	v_pk_add_f32 v[144:145], v[144:145], v[12:13] neg_lo:[0,1] neg_hi:[0,1]
	s_wait_dscnt 0x0
	v_pk_mul_f32 v[12:13], v[8:9], v[6:7] op_sel:[0,1]
	s_delay_alu instid0(VALU_DEP_1) | instskip(SKIP_1) | instid1(VALU_DEP_1)
	v_pk_fma_f32 v[14:15], v[8:9], v[4:5], v[12:13] op_sel:[0,0,1] op_sel_hi:[1,1,0] neg_lo:[0,0,1] neg_hi:[0,0,1]
	v_pk_fma_f32 v[8:9], v[8:9], v[4:5], v[12:13] op_sel:[0,0,1] op_sel_hi:[1,0,0]
	v_mov_b32_e32 v15, v9
	v_pk_mul_f32 v[8:9], v[10:11], v[6:7] op_sel:[0,1]
	s_delay_alu instid0(VALU_DEP_2) | instskip(NEXT) | instid1(VALU_DEP_2)
	v_pk_add_f32 v[140:141], v[140:141], v[14:15] neg_lo:[0,1] neg_hi:[0,1]
	v_pk_fma_f32 v[12:13], v[10:11], v[4:5], v[8:9] op_sel:[0,0,1] op_sel_hi:[1,1,0] neg_lo:[0,0,1] neg_hi:[0,0,1]
	v_pk_fma_f32 v[8:9], v[10:11], v[4:5], v[8:9] op_sel:[0,0,1] op_sel_hi:[1,0,0]
	s_delay_alu instid0(VALU_DEP_1) | instskip(SKIP_4) | instid1(VALU_DEP_1)
	v_mov_b32_e32 v13, v9
	ds_load_2addr_b64 v[8:11], v236 offset0:37 offset1:38
	v_pk_add_f32 v[162:163], v[162:163], v[12:13] neg_lo:[0,1] neg_hi:[0,1]
	s_wait_dscnt 0x0
	v_pk_mul_f32 v[12:13], v[8:9], v[6:7] op_sel:[0,1]
	v_pk_fma_f32 v[14:15], v[8:9], v[4:5], v[12:13] op_sel:[0,0,1] op_sel_hi:[1,1,0] neg_lo:[0,0,1] neg_hi:[0,0,1]
	v_pk_fma_f32 v[8:9], v[8:9], v[4:5], v[12:13] op_sel:[0,0,1] op_sel_hi:[1,0,0]
	v_dual_mul_f32 v12, v11, v7 :: v_dual_mov_b32 v8, v11
	s_delay_alu instid0(VALU_DEP_2) | instskip(NEXT) | instid1(VALU_DEP_2)
	v_dual_mov_b32 v15, v9 :: v_dual_mov_b32 v9, v10
	v_pk_fma_f32 v[12:13], v[10:11], v[28:29], v[12:13] op_sel_hi:[1,1,0] neg_lo:[0,0,1] neg_hi:[0,0,1]
	v_mul_f32_e32 v10, v11, v4
	s_delay_alu instid0(VALU_DEP_3) | instskip(NEXT) | instid1(VALU_DEP_2)
	v_pk_add_f32 v[158:159], v[158:159], v[14:15] neg_lo:[0,1] neg_hi:[0,1]
	v_pk_fma_f32 v[8:9], v[8:9], v[28:29], v[10:11] op_sel_hi:[1,1,0]
	s_delay_alu instid0(VALU_DEP_1) | instskip(SKIP_4) | instid1(VALU_DEP_1)
	v_mov_b32_e32 v13, v9
	ds_load_2addr_b64 v[8:11], v236 offset0:39 offset1:40
	v_pk_add_f32 v[160:161], v[160:161], v[12:13] neg_lo:[0,1] neg_hi:[0,1]
	s_wait_dscnt 0x0
	v_pk_mul_f32 v[12:13], v[8:9], v[6:7] op_sel:[0,1]
	v_pk_fma_f32 v[14:15], v[8:9], v[4:5], v[12:13] op_sel:[0,0,1] op_sel_hi:[1,1,0] neg_lo:[0,0,1] neg_hi:[0,0,1]
	v_pk_fma_f32 v[8:9], v[8:9], v[4:5], v[12:13] op_sel:[0,0,1] op_sel_hi:[1,0,0]
	s_delay_alu instid0(VALU_DEP_1) | instskip(SKIP_1) | instid1(VALU_DEP_1)
	v_mov_b32_e32 v15, v9
	v_pk_mul_f32 v[8:9], v[10:11], v[6:7] op_sel:[0,1]
	v_pk_fma_f32 v[12:13], v[10:11], v[4:5], v[8:9] op_sel:[0,0,1] op_sel_hi:[1,1,0] neg_lo:[0,0,1] neg_hi:[0,0,1]
	v_pk_fma_f32 v[8:9], v[10:11], v[4:5], v[8:9] op_sel:[0,0,1] op_sel_hi:[1,0,0]
	s_delay_alu instid0(VALU_DEP_1)
	v_mov_b32_e32 v13, v9
	ds_load_2addr_b64 v[8:11], v236 offset0:41 offset1:42
	v_pk_add_f32 v[156:157], v[156:157], v[14:15] neg_lo:[0,1] neg_hi:[0,1]
	v_pk_add_f32 v[178:179], v[178:179], v[12:13] neg_lo:[0,1] neg_hi:[0,1]
	s_wait_dscnt 0x0
	v_pk_mul_f32 v[12:13], v[8:9], v[6:7] op_sel:[0,1]
	s_delay_alu instid0(VALU_DEP_1) | instskip(SKIP_1) | instid1(VALU_DEP_1)
	v_pk_fma_f32 v[14:15], v[8:9], v[4:5], v[12:13] op_sel:[0,0,1] op_sel_hi:[1,1,0] neg_lo:[0,0,1] neg_hi:[0,0,1]
	v_pk_fma_f32 v[8:9], v[8:9], v[4:5], v[12:13] op_sel:[0,0,1] op_sel_hi:[1,0,0]
	v_mov_b32_e32 v15, v9
	v_pk_mul_f32 v[8:9], v[10:11], v[6:7] op_sel:[0,1]
	s_delay_alu instid0(VALU_DEP_1) | instskip(SKIP_1) | instid1(VALU_DEP_1)
	v_pk_fma_f32 v[12:13], v[10:11], v[4:5], v[8:9] op_sel:[0,0,1] op_sel_hi:[1,1,0] neg_lo:[0,0,1] neg_hi:[0,0,1]
	v_pk_fma_f32 v[8:9], v[10:11], v[4:5], v[8:9] op_sel:[0,0,1] op_sel_hi:[1,0,0]
	v_mov_b32_e32 v13, v9
	ds_load_2addr_b64 v[8:11], v236 offset0:43 offset1:44
	v_pk_add_f32 v[174:175], v[174:175], v[14:15] neg_lo:[0,1] neg_hi:[0,1]
	v_pk_add_f32 v[176:177], v[176:177], v[12:13] neg_lo:[0,1] neg_hi:[0,1]
	s_wait_dscnt 0x0
	v_dual_mul_f32 v12, v9, v7 :: v_dual_mul_f32 v14, v9, v4
	s_delay_alu instid0(VALU_DEP_1) | instskip(NEXT) | instid1(VALU_DEP_2)
	v_pk_fma_f32 v[12:13], v[8:9], v[28:29], v[12:13] op_sel_hi:[1,1,0] neg_lo:[0,0,1] neg_hi:[0,0,1]
	v_pk_fma_f32 v[8:9], v[8:9], v[28:29], v[14:15] op_sel:[1,0,0] op_sel_hi:[0,1,0]
	s_delay_alu instid0(VALU_DEP_1) | instskip(SKIP_1) | instid1(VALU_DEP_2)
	v_mov_b32_e32 v13, v9
	v_pk_mul_f32 v[8:9], v[10:11], v[6:7] op_sel:[0,1]
	v_pk_add_f32 v[172:173], v[172:173], v[12:13] neg_lo:[0,1] neg_hi:[0,1]
	s_delay_alu instid0(VALU_DEP_2) | instskip(SKIP_1) | instid1(VALU_DEP_1)
	v_pk_fma_f32 v[12:13], v[10:11], v[4:5], v[8:9] op_sel:[0,0,1] op_sel_hi:[1,1,0] neg_lo:[0,0,1] neg_hi:[0,0,1]
	v_pk_fma_f32 v[8:9], v[10:11], v[4:5], v[8:9] op_sel:[0,0,1] op_sel_hi:[1,0,0]
	v_mov_b32_e32 v13, v9
	ds_load_2addr_b64 v[8:11], v236 offset0:45 offset1:46
	v_pk_add_f32 v[194:195], v[194:195], v[12:13] neg_lo:[0,1] neg_hi:[0,1]
	s_wait_dscnt 0x0
	v_pk_mul_f32 v[12:13], v[8:9], v[6:7] op_sel:[0,1]
	s_delay_alu instid0(VALU_DEP_1) | instskip(SKIP_1) | instid1(VALU_DEP_1)
	v_pk_fma_f32 v[14:15], v[8:9], v[4:5], v[12:13] op_sel:[0,0,1] op_sel_hi:[1,1,0] neg_lo:[0,0,1] neg_hi:[0,0,1]
	v_pk_fma_f32 v[8:9], v[8:9], v[4:5], v[12:13] op_sel:[0,0,1] op_sel_hi:[1,0,0]
	v_mov_b32_e32 v15, v9
	v_pk_mul_f32 v[8:9], v[10:11], v[6:7] op_sel:[0,1]
	s_delay_alu instid0(VALU_DEP_2) | instskip(NEXT) | instid1(VALU_DEP_2)
	v_pk_add_f32 v[190:191], v[190:191], v[14:15] neg_lo:[0,1] neg_hi:[0,1]
	v_pk_fma_f32 v[12:13], v[10:11], v[4:5], v[8:9] op_sel:[0,0,1] op_sel_hi:[1,1,0] neg_lo:[0,0,1] neg_hi:[0,0,1]
	v_pk_fma_f32 v[8:9], v[10:11], v[4:5], v[8:9] op_sel:[0,0,1] op_sel_hi:[1,0,0]
	s_delay_alu instid0(VALU_DEP_1) | instskip(SKIP_4) | instid1(VALU_DEP_1)
	v_mov_b32_e32 v13, v9
	ds_load_2addr_b64 v[8:11], v236 offset0:47 offset1:48
	v_pk_add_f32 v[192:193], v[192:193], v[12:13] neg_lo:[0,1] neg_hi:[0,1]
	s_wait_dscnt 0x0
	v_pk_mul_f32 v[12:13], v[8:9], v[6:7] op_sel:[0,1]
	v_pk_fma_f32 v[14:15], v[8:9], v[4:5], v[12:13] op_sel:[0,0,1] op_sel_hi:[1,1,0] neg_lo:[0,0,1] neg_hi:[0,0,1]
	v_pk_fma_f32 v[8:9], v[8:9], v[4:5], v[12:13] op_sel:[0,0,1] op_sel_hi:[1,0,0]
	v_dual_mul_f32 v12, v11, v7 :: v_dual_mov_b32 v8, v11
	s_delay_alu instid0(VALU_DEP_2) | instskip(NEXT) | instid1(VALU_DEP_2)
	v_dual_mov_b32 v15, v9 :: v_dual_mov_b32 v9, v10
	v_pk_fma_f32 v[12:13], v[10:11], v[28:29], v[12:13] op_sel_hi:[1,1,0] neg_lo:[0,0,1] neg_hi:[0,0,1]
	v_mul_f32_e32 v10, v11, v4
	s_delay_alu instid0(VALU_DEP_3) | instskip(NEXT) | instid1(VALU_DEP_2)
	v_pk_add_f32 v[188:189], v[188:189], v[14:15] neg_lo:[0,1] neg_hi:[0,1]
	v_pk_fma_f32 v[8:9], v[8:9], v[28:29], v[10:11] op_sel_hi:[1,1,0]
	s_delay_alu instid0(VALU_DEP_1) | instskip(SKIP_4) | instid1(VALU_DEP_1)
	v_mov_b32_e32 v13, v9
	ds_load_2addr_b64 v[8:11], v236 offset0:49 offset1:50
	v_pk_add_f32 v[210:211], v[210:211], v[12:13] neg_lo:[0,1] neg_hi:[0,1]
	s_wait_dscnt 0x0
	v_pk_mul_f32 v[12:13], v[8:9], v[6:7] op_sel:[0,1]
	v_pk_fma_f32 v[14:15], v[8:9], v[4:5], v[12:13] op_sel:[0,0,1] op_sel_hi:[1,1,0] neg_lo:[0,0,1] neg_hi:[0,0,1]
	v_pk_fma_f32 v[8:9], v[8:9], v[4:5], v[12:13] op_sel:[0,0,1] op_sel_hi:[1,0,0]
	s_delay_alu instid0(VALU_DEP_1) | instskip(SKIP_1) | instid1(VALU_DEP_1)
	v_mov_b32_e32 v15, v9
	v_pk_mul_f32 v[8:9], v[10:11], v[6:7] op_sel:[0,1]
	v_pk_fma_f32 v[12:13], v[10:11], v[4:5], v[8:9] op_sel:[0,0,1] op_sel_hi:[1,1,0] neg_lo:[0,0,1] neg_hi:[0,0,1]
	v_pk_fma_f32 v[8:9], v[10:11], v[4:5], v[8:9] op_sel:[0,0,1] op_sel_hi:[1,0,0]
	s_delay_alu instid0(VALU_DEP_1)
	v_mov_b32_e32 v13, v9
	ds_load_2addr_b64 v[8:11], v236 offset0:51 offset1:52
	v_pk_add_f32 v[206:207], v[206:207], v[14:15] neg_lo:[0,1] neg_hi:[0,1]
	v_pk_add_f32 v[208:209], v[208:209], v[12:13] neg_lo:[0,1] neg_hi:[0,1]
	s_wait_dscnt 0x0
	v_pk_mul_f32 v[12:13], v[8:9], v[6:7] op_sel:[0,1]
	s_delay_alu instid0(VALU_DEP_1) | instskip(SKIP_1) | instid1(VALU_DEP_1)
	v_pk_fma_f32 v[14:15], v[8:9], v[4:5], v[12:13] op_sel:[0,0,1] op_sel_hi:[1,1,0] neg_lo:[0,0,1] neg_hi:[0,0,1]
	v_pk_fma_f32 v[8:9], v[8:9], v[4:5], v[12:13] op_sel:[0,0,1] op_sel_hi:[1,0,0]
	v_mov_b32_e32 v15, v9
	v_pk_mul_f32 v[8:9], v[10:11], v[6:7] op_sel:[0,1]
	s_delay_alu instid0(VALU_DEP_1) | instskip(SKIP_1) | instid1(VALU_DEP_1)
	v_pk_fma_f32 v[12:13], v[10:11], v[4:5], v[8:9] op_sel:[0,0,1] op_sel_hi:[1,1,0] neg_lo:[0,0,1] neg_hi:[0,0,1]
	v_pk_fma_f32 v[8:9], v[10:11], v[4:5], v[8:9] op_sel:[0,0,1] op_sel_hi:[1,0,0]
	v_mov_b32_e32 v13, v9
	ds_load_2addr_b64 v[8:11], v236 offset0:53 offset1:54
	v_pk_add_f32 v[204:205], v[204:205], v[14:15] neg_lo:[0,1] neg_hi:[0,1]
	v_pk_add_f32 v[228:229], v[228:229], v[12:13] neg_lo:[0,1] neg_hi:[0,1]
	s_wait_dscnt 0x0
	v_dual_mul_f32 v12, v9, v7 :: v_dual_mul_f32 v14, v9, v4
	s_delay_alu instid0(VALU_DEP_1) | instskip(NEXT) | instid1(VALU_DEP_2)
	v_pk_fma_f32 v[12:13], v[8:9], v[28:29], v[12:13] op_sel_hi:[1,1,0] neg_lo:[0,0,1] neg_hi:[0,0,1]
	v_pk_fma_f32 v[8:9], v[8:9], v[28:29], v[14:15] op_sel:[1,0,0] op_sel_hi:[0,1,0]
	s_delay_alu instid0(VALU_DEP_1) | instskip(SKIP_1) | instid1(VALU_DEP_2)
	v_mov_b32_e32 v13, v9
	v_pk_mul_f32 v[8:9], v[10:11], v[6:7] op_sel:[0,1]
	v_pk_add_f32 v[224:225], v[224:225], v[12:13] neg_lo:[0,1] neg_hi:[0,1]
	s_delay_alu instid0(VALU_DEP_2) | instskip(SKIP_1) | instid1(VALU_DEP_1)
	v_pk_fma_f32 v[12:13], v[10:11], v[4:5], v[8:9] op_sel:[0,0,1] op_sel_hi:[1,1,0] neg_lo:[0,0,1] neg_hi:[0,0,1]
	v_pk_fma_f32 v[8:9], v[10:11], v[4:5], v[8:9] op_sel:[0,0,1] op_sel_hi:[1,0,0]
	v_mov_b32_e32 v13, v9
	ds_load_2addr_b64 v[8:11], v236 offset0:55 offset1:56
	v_pk_add_f32 v[226:227], v[226:227], v[12:13] neg_lo:[0,1] neg_hi:[0,1]
	s_wait_dscnt 0x0
	v_pk_mul_f32 v[12:13], v[8:9], v[6:7] op_sel:[0,1]
	s_delay_alu instid0(VALU_DEP_1) | instskip(SKIP_1) | instid1(VALU_DEP_1)
	v_pk_fma_f32 v[14:15], v[8:9], v[4:5], v[12:13] op_sel:[0,0,1] op_sel_hi:[1,1,0] neg_lo:[0,0,1] neg_hi:[0,0,1]
	v_pk_fma_f32 v[8:9], v[8:9], v[4:5], v[12:13] op_sel:[0,0,1] op_sel_hi:[1,0,0]
	v_mov_b32_e32 v15, v9
	v_pk_mul_f32 v[8:9], v[10:11], v[6:7] op_sel:[0,1]
	s_delay_alu instid0(VALU_DEP_2) | instskip(NEXT) | instid1(VALU_DEP_2)
	v_pk_add_f32 v[222:223], v[222:223], v[14:15] neg_lo:[0,1] neg_hi:[0,1]
	v_pk_fma_f32 v[12:13], v[10:11], v[4:5], v[8:9] op_sel:[0,0,1] op_sel_hi:[1,1,0] neg_lo:[0,0,1] neg_hi:[0,0,1]
	v_pk_fma_f32 v[8:9], v[10:11], v[4:5], v[8:9] op_sel:[0,0,1] op_sel_hi:[1,0,0]
	s_delay_alu instid0(VALU_DEP_1) | instskip(SKIP_4) | instid1(VALU_DEP_1)
	v_mov_b32_e32 v13, v9
	ds_load_2addr_b64 v[8:11], v236 offset0:57 offset1:58
	v_pk_add_f32 v[244:245], v[244:245], v[12:13] neg_lo:[0,1] neg_hi:[0,1]
	s_wait_dscnt 0x0
	v_pk_mul_f32 v[12:13], v[8:9], v[6:7] op_sel:[0,1]
	v_pk_fma_f32 v[14:15], v[8:9], v[4:5], v[12:13] op_sel:[0,0,1] op_sel_hi:[1,1,0] neg_lo:[0,0,1] neg_hi:[0,0,1]
	v_pk_fma_f32 v[8:9], v[8:9], v[4:5], v[12:13] op_sel:[0,0,1] op_sel_hi:[1,0,0]
	v_dual_mul_f32 v12, v11, v7 :: v_dual_mov_b32 v8, v11
	s_delay_alu instid0(VALU_DEP_2) | instskip(NEXT) | instid1(VALU_DEP_2)
	v_dual_mov_b32 v15, v9 :: v_dual_mov_b32 v9, v10
	v_pk_fma_f32 v[12:13], v[10:11], v[28:29], v[12:13] op_sel_hi:[1,1,0] neg_lo:[0,0,1] neg_hi:[0,0,1]
	v_mul_f32_e32 v10, v11, v4
	s_delay_alu instid0(VALU_DEP_3) | instskip(NEXT) | instid1(VALU_DEP_2)
	v_pk_add_f32 v[240:241], v[240:241], v[14:15] neg_lo:[0,1] neg_hi:[0,1]
	v_pk_fma_f32 v[8:9], v[8:9], v[28:29], v[10:11] op_sel_hi:[1,1,0]
	s_delay_alu instid0(VALU_DEP_1) | instskip(SKIP_4) | instid1(VALU_DEP_1)
	v_mov_b32_e32 v13, v9
	ds_load_2addr_b64 v[8:11], v236 offset0:59 offset1:60
	v_pk_add_f32 v[242:243], v[242:243], v[12:13] neg_lo:[0,1] neg_hi:[0,1]
	s_wait_dscnt 0x0
	v_pk_mul_f32 v[12:13], v[8:9], v[6:7] op_sel:[0,1]
	v_pk_fma_f32 v[14:15], v[8:9], v[4:5], v[12:13] op_sel:[0,0,1] op_sel_hi:[1,1,0] neg_lo:[0,0,1] neg_hi:[0,0,1]
	v_pk_fma_f32 v[8:9], v[8:9], v[4:5], v[12:13] op_sel:[0,0,1] op_sel_hi:[1,0,0]
	s_delay_alu instid0(VALU_DEP_1) | instskip(SKIP_1) | instid1(VALU_DEP_1)
	v_mov_b32_e32 v15, v9
	v_pk_mul_f32 v[8:9], v[10:11], v[6:7] op_sel:[0,1]
	v_pk_fma_f32 v[12:13], v[10:11], v[4:5], v[8:9] op_sel:[0,0,1] op_sel_hi:[1,1,0] neg_lo:[0,0,1] neg_hi:[0,0,1]
	v_pk_fma_f32 v[8:9], v[10:11], v[4:5], v[8:9] op_sel:[0,0,1] op_sel_hi:[1,0,0]
	s_delay_alu instid0(VALU_DEP_1)
	v_mov_b32_e32 v13, v9
	ds_load_b64 v[8:9], v236 offset:488
	v_pk_add_f32 v[238:239], v[238:239], v[14:15] neg_lo:[0,1] neg_hi:[0,1]
	v_pk_add_f32 v[246:247], v[246:247], v[12:13] neg_lo:[0,1] neg_hi:[0,1]
	s_wait_dscnt 0x0
	v_pk_mul_f32 v[6:7], v[8:9], v[6:7] op_sel:[0,1]
	s_delay_alu instid0(VALU_DEP_1) | instskip(SKIP_1) | instid1(VALU_DEP_1)
	v_pk_fma_f32 v[10:11], v[8:9], v[4:5], v[6:7] op_sel:[0,0,1] op_sel_hi:[1,1,0] neg_lo:[0,0,1] neg_hi:[0,0,1]
	v_pk_fma_f32 v[4:5], v[8:9], v[4:5], v[6:7] op_sel:[0,0,1] op_sel_hi:[1,0,0]
	v_mov_b32_e32 v11, v5
	s_delay_alu instid0(VALU_DEP_1)
	v_pk_add_f32 v[248:249], v[248:249], v[10:11] neg_lo:[0,1] neg_hi:[0,1]
.LBB123_46:
	s_or_b32 exec_lo, exec_lo, s1
	s_delay_alu instid0(SALU_CYCLE_1)
	s_mov_b32 s2, exec_lo
	s_wait_dscnt 0x0
	s_barrier_signal -1
	s_barrier_wait -1
	v_cmpx_eq_u32_e32 5, v234
	s_cbranch_execz .LBB123_53
; %bb.47:
	v_dual_mov_b32 v4, v24 :: v_dual_mov_b32 v5, v25
	v_dual_mov_b32 v6, v20 :: v_dual_mov_b32 v7, v21
	ds_store_b64 v235, v[22:23]
	ds_store_2addr_b64 v236, v[4:5], v[6:7] offset0:6 offset1:7
	v_dual_mov_b32 v4, v42 :: v_dual_mov_b32 v5, v43
	v_dual_mov_b32 v6, v38 :: v_dual_mov_b32 v7, v39
	ds_store_2addr_b64 v236, v[4:5], v[6:7] offset0:8 offset1:9
	v_dual_mov_b32 v4, v40 :: v_dual_mov_b32 v5, v41
	v_dual_mov_b32 v6, v36 :: v_dual_mov_b32 v7, v37
	;; [unrolled: 3-line block ×26, first 2 shown]
	ds_store_2addr_b64 v236, v[4:5], v[6:7] offset0:58 offset1:59
	v_dual_mov_b32 v4, v246 :: v_dual_mov_b32 v5, v247
	ds_store_2addr_b64 v236, v[4:5], v[248:249] offset0:60 offset1:61
	ds_load_b64 v[4:5], v235
	s_wait_dscnt 0x0
	v_cmp_neq_f32_e32 vcc_lo, 0, v4
	v_cmp_neq_f32_e64 s1, 0, v5
	s_or_b32 s1, vcc_lo, s1
	s_delay_alu instid0(SALU_CYCLE_1)
	s_and_b32 exec_lo, exec_lo, s1
	s_cbranch_execz .LBB123_53
; %bb.48:
	v_cmp_ngt_f32_e64 s1, |v4|, |v5|
                                        ; implicit-def: $vgpr6_vgpr7
	s_and_saveexec_b32 s4, s1
	s_delay_alu instid0(SALU_CYCLE_1)
	s_xor_b32 s1, exec_lo, s4
	s_cbranch_execz .LBB123_50
; %bb.49:
	v_div_scale_f32 v0, null, v5, v5, v4
	v_div_scale_f32 v7, vcc_lo, v4, v5, v4
	s_delay_alu instid0(VALU_DEP_2) | instskip(SKIP_1) | instid1(TRANS32_DEP_1)
	v_rcp_f32_e32 v1, v0
	v_nop
	v_fma_f32 v6, -v0, v1, 1.0
	s_delay_alu instid0(VALU_DEP_1) | instskip(NEXT) | instid1(VALU_DEP_1)
	v_fmac_f32_e32 v1, v6, v1
	v_mul_f32_e32 v6, v7, v1
	s_delay_alu instid0(VALU_DEP_1) | instskip(NEXT) | instid1(VALU_DEP_1)
	v_fma_f32 v8, -v0, v6, v7
	v_fmac_f32_e32 v6, v8, v1
	s_delay_alu instid0(VALU_DEP_1) | instskip(NEXT) | instid1(VALU_DEP_1)
	v_fma_f32 v0, -v0, v6, v7
	v_div_fmas_f32 v0, v0, v1, v6
	s_delay_alu instid0(VALU_DEP_1) | instskip(NEXT) | instid1(VALU_DEP_1)
	v_div_fixup_f32 v0, v0, v5, v4
	v_fmac_f32_e32 v5, v4, v0
	s_delay_alu instid0(VALU_DEP_1) | instskip(SKIP_1) | instid1(VALU_DEP_2)
	v_div_scale_f32 v1, null, v5, v5, 1.0
	v_div_scale_f32 v7, vcc_lo, 1.0, v5, 1.0
	v_rcp_f32_e32 v4, v1
	v_nop
	s_delay_alu instid0(TRANS32_DEP_1) | instskip(NEXT) | instid1(VALU_DEP_1)
	v_fma_f32 v6, -v1, v4, 1.0
	v_fmac_f32_e32 v4, v6, v4
	s_delay_alu instid0(VALU_DEP_1) | instskip(NEXT) | instid1(VALU_DEP_1)
	v_mul_f32_e32 v6, v7, v4
	v_fma_f32 v8, -v1, v6, v7
	s_delay_alu instid0(VALU_DEP_1) | instskip(NEXT) | instid1(VALU_DEP_1)
	v_fmac_f32_e32 v6, v8, v4
	v_fma_f32 v1, -v1, v6, v7
	s_delay_alu instid0(VALU_DEP_1) | instskip(NEXT) | instid1(VALU_DEP_1)
	v_div_fmas_f32 v1, v1, v4, v6
	v_div_fixup_f32 v1, v1, v5, 1.0
                                        ; implicit-def: $vgpr4_vgpr5
	s_delay_alu instid0(VALU_DEP_1)
	v_mul_f32_e32 v6, v0, v1
	v_xor_b32_e32 v7, 0x80000000, v1
.LBB123_50:
	s_and_not1_saveexec_b32 s1, s1
	s_cbranch_execz .LBB123_52
; %bb.51:
	v_div_scale_f32 v0, null, v4, v4, v5
	v_div_scale_f32 v7, vcc_lo, v5, v4, v5
	s_delay_alu instid0(VALU_DEP_2) | instskip(SKIP_1) | instid1(TRANS32_DEP_1)
	v_rcp_f32_e32 v1, v0
	v_nop
	v_fma_f32 v6, -v0, v1, 1.0
	s_delay_alu instid0(VALU_DEP_1) | instskip(NEXT) | instid1(VALU_DEP_1)
	v_fmac_f32_e32 v1, v6, v1
	v_mul_f32_e32 v6, v7, v1
	s_delay_alu instid0(VALU_DEP_1) | instskip(NEXT) | instid1(VALU_DEP_1)
	v_fma_f32 v8, -v0, v6, v7
	v_fmac_f32_e32 v6, v8, v1
	s_delay_alu instid0(VALU_DEP_1) | instskip(NEXT) | instid1(VALU_DEP_1)
	v_fma_f32 v0, -v0, v6, v7
	v_div_fmas_f32 v0, v0, v1, v6
	s_delay_alu instid0(VALU_DEP_1) | instskip(NEXT) | instid1(VALU_DEP_1)
	v_div_fixup_f32 v0, v0, v4, v5
	v_fmac_f32_e32 v4, v5, v0
	s_delay_alu instid0(VALU_DEP_1) | instskip(NEXT) | instid1(VALU_DEP_1)
	v_div_scale_f32 v1, null, v4, v4, 1.0
	v_rcp_f32_e32 v5, v1
	v_nop
	s_delay_alu instid0(TRANS32_DEP_1) | instskip(NEXT) | instid1(VALU_DEP_1)
	v_fma_f32 v6, -v1, v5, 1.0
	v_fmac_f32_e32 v5, v6, v5
	v_div_scale_f32 v6, vcc_lo, 1.0, v4, 1.0
	s_delay_alu instid0(VALU_DEP_1) | instskip(NEXT) | instid1(VALU_DEP_1)
	v_mul_f32_e32 v7, v6, v5
	v_fma_f32 v8, -v1, v7, v6
	s_delay_alu instid0(VALU_DEP_1) | instskip(NEXT) | instid1(VALU_DEP_1)
	v_fmac_f32_e32 v7, v8, v5
	v_fma_f32 v1, -v1, v7, v6
	s_delay_alu instid0(VALU_DEP_1) | instskip(NEXT) | instid1(VALU_DEP_1)
	v_div_fmas_f32 v1, v1, v5, v7
	v_div_fixup_f32 v6, v1, v4, 1.0
	s_delay_alu instid0(VALU_DEP_1)
	v_mul_f32_e64 v7, v0, -v6
.LBB123_52:
	s_or_b32 exec_lo, exec_lo, s1
	ds_store_b64 v235, v[6:7]
.LBB123_53:
	s_or_b32 exec_lo, exec_lo, s2
	s_wait_dscnt 0x0
	s_barrier_signal -1
	s_barrier_wait -1
	ds_load_b64 v[4:5], v235
	s_mov_b32 s1, exec_lo
	v_cmpx_lt_u32_e32 5, v234
	s_cbranch_execz .LBB123_55
; %bb.54:
	ds_load_2addr_b64 v[10:13], v236 offset0:6 offset1:7
	s_wait_dscnt 0x1
	v_pk_mul_f32 v[8:9], v[4:5], v[22:23] op_sel:[1,1] op_sel_hi:[0,1]
	s_delay_alu instid0(VALU_DEP_1) | instskip(SKIP_1) | instid1(VALU_DEP_1)
	v_pk_fma_f32 v[6:7], v[4:5], v[22:23], v[8:9] op_sel_hi:[1,0,1] neg_lo:[0,0,1] neg_hi:[0,0,1]
	v_pk_fma_f32 v[8:9], v[4:5], v[22:23], v[8:9] op_sel_hi:[1,0,1]
	v_dual_mov_b32 v22, v6 :: v_dual_mov_b32 v23, v9
	s_wait_dscnt 0x0
	s_delay_alu instid0(VALU_DEP_2) | instskip(NEXT) | instid1(VALU_DEP_1)
	v_pk_mul_f32 v[14:15], v[10:11], v[8:9] op_sel:[0,1]
	v_pk_fma_f32 v[18:19], v[10:11], v[6:7], v[14:15] op_sel:[0,0,1] op_sel_hi:[1,1,0] neg_lo:[0,0,1] neg_hi:[0,0,1]
	v_pk_fma_f32 v[10:11], v[10:11], v[6:7], v[14:15] op_sel:[0,0,1] op_sel_hi:[1,0,0]
	s_delay_alu instid0(VALU_DEP_1) | instskip(SKIP_1) | instid1(VALU_DEP_1)
	v_mov_b32_e32 v19, v11
	v_pk_mul_f32 v[10:11], v[12:13], v[8:9] op_sel:[0,1]
	v_pk_fma_f32 v[14:15], v[12:13], v[6:7], v[10:11] op_sel:[0,0,1] op_sel_hi:[1,1,0] neg_lo:[0,0,1] neg_hi:[0,0,1]
	v_pk_fma_f32 v[10:11], v[12:13], v[6:7], v[10:11] op_sel:[0,0,1] op_sel_hi:[1,0,0]
	s_delay_alu instid0(VALU_DEP_1)
	v_mov_b32_e32 v15, v11
	ds_load_2addr_b64 v[10:13], v236 offset0:8 offset1:9
	v_pk_add_f32 v[24:25], v[24:25], v[18:19] neg_lo:[0,1] neg_hi:[0,1]
	v_pk_add_f32 v[20:21], v[20:21], v[14:15] neg_lo:[0,1] neg_hi:[0,1]
	s_wait_dscnt 0x0
	v_pk_mul_f32 v[14:15], v[10:11], v[8:9] op_sel:[0,1]
	s_delay_alu instid0(VALU_DEP_1) | instskip(SKIP_2) | instid1(VALU_DEP_2)
	v_pk_fma_f32 v[18:19], v[10:11], v[6:7], v[14:15] op_sel:[0,0,1] op_sel_hi:[1,1,0] neg_lo:[0,0,1] neg_hi:[0,0,1]
	v_pk_fma_f32 v[10:11], v[10:11], v[6:7], v[14:15] op_sel:[0,0,1] op_sel_hi:[1,0,0]
	v_dual_mul_f32 v14, v13, v9 :: v_dual_mov_b32 v10, v13
	v_dual_mov_b32 v19, v11 :: v_dual_mov_b32 v11, v12
	s_delay_alu instid0(VALU_DEP_2) | instskip(SKIP_1) | instid1(VALU_DEP_3)
	v_pk_fma_f32 v[14:15], v[12:13], v[22:23], v[14:15] op_sel_hi:[1,1,0] neg_lo:[0,0,1] neg_hi:[0,0,1]
	v_mul_f32_e32 v12, v13, v6
	v_pk_add_f32 v[42:43], v[42:43], v[18:19] neg_lo:[0,1] neg_hi:[0,1]
	s_delay_alu instid0(VALU_DEP_2) | instskip(NEXT) | instid1(VALU_DEP_1)
	v_pk_fma_f32 v[10:11], v[10:11], v[22:23], v[12:13] op_sel_hi:[1,1,0]
	v_mov_b32_e32 v15, v11
	ds_load_2addr_b64 v[10:13], v236 offset0:10 offset1:11
	v_pk_add_f32 v[38:39], v[38:39], v[14:15] neg_lo:[0,1] neg_hi:[0,1]
	s_wait_dscnt 0x0
	v_pk_mul_f32 v[14:15], v[10:11], v[8:9] op_sel:[0,1]
	s_delay_alu instid0(VALU_DEP_1) | instskip(SKIP_1) | instid1(VALU_DEP_1)
	v_pk_fma_f32 v[18:19], v[10:11], v[6:7], v[14:15] op_sel:[0,0,1] op_sel_hi:[1,1,0] neg_lo:[0,0,1] neg_hi:[0,0,1]
	v_pk_fma_f32 v[10:11], v[10:11], v[6:7], v[14:15] op_sel:[0,0,1] op_sel_hi:[1,0,0]
	v_mov_b32_e32 v19, v11
	v_pk_mul_f32 v[10:11], v[12:13], v[8:9] op_sel:[0,1]
	s_delay_alu instid0(VALU_DEP_1) | instskip(SKIP_1) | instid1(VALU_DEP_1)
	v_pk_fma_f32 v[14:15], v[12:13], v[6:7], v[10:11] op_sel:[0,0,1] op_sel_hi:[1,1,0] neg_lo:[0,0,1] neg_hi:[0,0,1]
	v_pk_fma_f32 v[10:11], v[12:13], v[6:7], v[10:11] op_sel:[0,0,1] op_sel_hi:[1,0,0]
	v_mov_b32_e32 v15, v11
	ds_load_2addr_b64 v[10:13], v236 offset0:12 offset1:13
	v_pk_add_f32 v[40:41], v[40:41], v[18:19] neg_lo:[0,1] neg_hi:[0,1]
	v_pk_add_f32 v[36:37], v[36:37], v[14:15] neg_lo:[0,1] neg_hi:[0,1]
	s_wait_dscnt 0x0
	v_pk_mul_f32 v[14:15], v[10:11], v[8:9] op_sel:[0,1]
	s_delay_alu instid0(VALU_DEP_1) | instskip(SKIP_1) | instid1(VALU_DEP_1)
	v_pk_fma_f32 v[18:19], v[10:11], v[6:7], v[14:15] op_sel:[0,0,1] op_sel_hi:[1,1,0] neg_lo:[0,0,1] neg_hi:[0,0,1]
	v_pk_fma_f32 v[10:11], v[10:11], v[6:7], v[14:15] op_sel:[0,0,1] op_sel_hi:[1,0,0]
	v_mov_b32_e32 v19, v11
	v_pk_mul_f32 v[10:11], v[12:13], v[8:9] op_sel:[0,1]
	s_delay_alu instid0(VALU_DEP_1) | instskip(SKIP_1) | instid1(VALU_DEP_1)
	v_pk_fma_f32 v[14:15], v[12:13], v[6:7], v[10:11] op_sel:[0,0,1] op_sel_hi:[1,1,0] neg_lo:[0,0,1] neg_hi:[0,0,1]
	v_pk_fma_f32 v[10:11], v[12:13], v[6:7], v[10:11] op_sel:[0,0,1] op_sel_hi:[1,0,0]
	v_mov_b32_e32 v15, v11
	ds_load_2addr_b64 v[10:13], v236 offset0:14 offset1:15
	v_pk_add_f32 v[66:67], v[66:67], v[18:19] neg_lo:[0,1] neg_hi:[0,1]
	v_pk_add_f32 v[62:63], v[62:63], v[14:15] neg_lo:[0,1] neg_hi:[0,1]
	s_wait_dscnt 0x0
	v_dual_mul_f32 v14, v11, v9 :: v_dual_mul_f32 v18, v11, v6
	s_delay_alu instid0(VALU_DEP_1) | instskip(NEXT) | instid1(VALU_DEP_2)
	v_pk_fma_f32 v[14:15], v[10:11], v[22:23], v[14:15] op_sel_hi:[1,1,0] neg_lo:[0,0,1] neg_hi:[0,0,1]
	v_pk_fma_f32 v[10:11], v[10:11], v[22:23], v[18:19] op_sel:[1,0,0] op_sel_hi:[0,1,0]
	s_delay_alu instid0(VALU_DEP_1) | instskip(SKIP_1) | instid1(VALU_DEP_2)
	v_mov_b32_e32 v15, v11
	v_pk_mul_f32 v[10:11], v[12:13], v[8:9] op_sel:[0,1]
	v_pk_add_f32 v[64:65], v[64:65], v[14:15] neg_lo:[0,1] neg_hi:[0,1]
	s_delay_alu instid0(VALU_DEP_2) | instskip(SKIP_1) | instid1(VALU_DEP_1)
	v_pk_fma_f32 v[14:15], v[12:13], v[6:7], v[10:11] op_sel:[0,0,1] op_sel_hi:[1,1,0] neg_lo:[0,0,1] neg_hi:[0,0,1]
	v_pk_fma_f32 v[10:11], v[12:13], v[6:7], v[10:11] op_sel:[0,0,1] op_sel_hi:[1,0,0]
	v_mov_b32_e32 v15, v11
	ds_load_2addr_b64 v[10:13], v236 offset0:16 offset1:17
	v_pk_add_f32 v[60:61], v[60:61], v[14:15] neg_lo:[0,1] neg_hi:[0,1]
	s_wait_dscnt 0x0
	v_pk_mul_f32 v[14:15], v[10:11], v[8:9] op_sel:[0,1]
	s_delay_alu instid0(VALU_DEP_1) | instskip(SKIP_1) | instid1(VALU_DEP_1)
	v_pk_fma_f32 v[18:19], v[10:11], v[6:7], v[14:15] op_sel:[0,0,1] op_sel_hi:[1,1,0] neg_lo:[0,0,1] neg_hi:[0,0,1]
	v_pk_fma_f32 v[10:11], v[10:11], v[6:7], v[14:15] op_sel:[0,0,1] op_sel_hi:[1,0,0]
	v_mov_b32_e32 v19, v11
	v_pk_mul_f32 v[10:11], v[12:13], v[8:9] op_sel:[0,1]
	s_delay_alu instid0(VALU_DEP_2) | instskip(NEXT) | instid1(VALU_DEP_2)
	v_pk_add_f32 v[82:83], v[82:83], v[18:19] neg_lo:[0,1] neg_hi:[0,1]
	v_pk_fma_f32 v[14:15], v[12:13], v[6:7], v[10:11] op_sel:[0,0,1] op_sel_hi:[1,1,0] neg_lo:[0,0,1] neg_hi:[0,0,1]
	v_pk_fma_f32 v[10:11], v[12:13], v[6:7], v[10:11] op_sel:[0,0,1] op_sel_hi:[1,0,0]
	s_delay_alu instid0(VALU_DEP_1) | instskip(SKIP_4) | instid1(VALU_DEP_1)
	v_mov_b32_e32 v15, v11
	ds_load_2addr_b64 v[10:13], v236 offset0:18 offset1:19
	v_pk_add_f32 v[78:79], v[78:79], v[14:15] neg_lo:[0,1] neg_hi:[0,1]
	s_wait_dscnt 0x0
	v_pk_mul_f32 v[14:15], v[10:11], v[8:9] op_sel:[0,1]
	v_pk_fma_f32 v[18:19], v[10:11], v[6:7], v[14:15] op_sel:[0,0,1] op_sel_hi:[1,1,0] neg_lo:[0,0,1] neg_hi:[0,0,1]
	v_pk_fma_f32 v[10:11], v[10:11], v[6:7], v[14:15] op_sel:[0,0,1] op_sel_hi:[1,0,0]
	v_dual_mul_f32 v14, v13, v9 :: v_dual_mov_b32 v10, v13
	s_delay_alu instid0(VALU_DEP_2) | instskip(NEXT) | instid1(VALU_DEP_2)
	v_dual_mov_b32 v19, v11 :: v_dual_mov_b32 v11, v12
	v_pk_fma_f32 v[14:15], v[12:13], v[22:23], v[14:15] op_sel_hi:[1,1,0] neg_lo:[0,0,1] neg_hi:[0,0,1]
	v_mul_f32_e32 v12, v13, v6
	s_delay_alu instid0(VALU_DEP_3) | instskip(NEXT) | instid1(VALU_DEP_2)
	v_pk_add_f32 v[80:81], v[80:81], v[18:19] neg_lo:[0,1] neg_hi:[0,1]
	v_pk_fma_f32 v[10:11], v[10:11], v[22:23], v[12:13] op_sel_hi:[1,1,0]
	s_delay_alu instid0(VALU_DEP_1) | instskip(SKIP_4) | instid1(VALU_DEP_1)
	v_mov_b32_e32 v15, v11
	ds_load_2addr_b64 v[10:13], v236 offset0:20 offset1:21
	v_pk_add_f32 v[76:77], v[76:77], v[14:15] neg_lo:[0,1] neg_hi:[0,1]
	s_wait_dscnt 0x0
	v_pk_mul_f32 v[14:15], v[10:11], v[8:9] op_sel:[0,1]
	v_pk_fma_f32 v[18:19], v[10:11], v[6:7], v[14:15] op_sel:[0,0,1] op_sel_hi:[1,1,0] neg_lo:[0,0,1] neg_hi:[0,0,1]
	v_pk_fma_f32 v[10:11], v[10:11], v[6:7], v[14:15] op_sel:[0,0,1] op_sel_hi:[1,0,0]
	s_delay_alu instid0(VALU_DEP_1) | instskip(SKIP_1) | instid1(VALU_DEP_1)
	v_mov_b32_e32 v19, v11
	v_pk_mul_f32 v[10:11], v[12:13], v[8:9] op_sel:[0,1]
	v_pk_fma_f32 v[14:15], v[12:13], v[6:7], v[10:11] op_sel:[0,0,1] op_sel_hi:[1,1,0] neg_lo:[0,0,1] neg_hi:[0,0,1]
	v_pk_fma_f32 v[10:11], v[12:13], v[6:7], v[10:11] op_sel:[0,0,1] op_sel_hi:[1,0,0]
	s_delay_alu instid0(VALU_DEP_1)
	v_mov_b32_e32 v15, v11
	ds_load_2addr_b64 v[10:13], v236 offset0:22 offset1:23
	v_pk_add_f32 v[98:99], v[98:99], v[18:19] neg_lo:[0,1] neg_hi:[0,1]
	v_pk_add_f32 v[94:95], v[94:95], v[14:15] neg_lo:[0,1] neg_hi:[0,1]
	s_wait_dscnt 0x0
	v_pk_mul_f32 v[14:15], v[10:11], v[8:9] op_sel:[0,1]
	s_delay_alu instid0(VALU_DEP_1) | instskip(SKIP_1) | instid1(VALU_DEP_1)
	v_pk_fma_f32 v[18:19], v[10:11], v[6:7], v[14:15] op_sel:[0,0,1] op_sel_hi:[1,1,0] neg_lo:[0,0,1] neg_hi:[0,0,1]
	v_pk_fma_f32 v[10:11], v[10:11], v[6:7], v[14:15] op_sel:[0,0,1] op_sel_hi:[1,0,0]
	v_mov_b32_e32 v19, v11
	v_pk_mul_f32 v[10:11], v[12:13], v[8:9] op_sel:[0,1]
	s_delay_alu instid0(VALU_DEP_1) | instskip(SKIP_1) | instid1(VALU_DEP_1)
	v_pk_fma_f32 v[14:15], v[12:13], v[6:7], v[10:11] op_sel:[0,0,1] op_sel_hi:[1,1,0] neg_lo:[0,0,1] neg_hi:[0,0,1]
	v_pk_fma_f32 v[10:11], v[12:13], v[6:7], v[10:11] op_sel:[0,0,1] op_sel_hi:[1,0,0]
	v_mov_b32_e32 v15, v11
	ds_load_2addr_b64 v[10:13], v236 offset0:24 offset1:25
	v_pk_add_f32 v[96:97], v[96:97], v[18:19] neg_lo:[0,1] neg_hi:[0,1]
	v_pk_add_f32 v[92:93], v[92:93], v[14:15] neg_lo:[0,1] neg_hi:[0,1]
	s_wait_dscnt 0x0
	v_dual_mul_f32 v14, v11, v9 :: v_dual_mul_f32 v18, v11, v6
	s_delay_alu instid0(VALU_DEP_1) | instskip(NEXT) | instid1(VALU_DEP_2)
	v_pk_fma_f32 v[14:15], v[10:11], v[22:23], v[14:15] op_sel_hi:[1,1,0] neg_lo:[0,0,1] neg_hi:[0,0,1]
	v_pk_fma_f32 v[10:11], v[10:11], v[22:23], v[18:19] op_sel:[1,0,0] op_sel_hi:[0,1,0]
	s_delay_alu instid0(VALU_DEP_1) | instskip(SKIP_1) | instid1(VALU_DEP_2)
	v_mov_b32_e32 v15, v11
	v_pk_mul_f32 v[10:11], v[12:13], v[8:9] op_sel:[0,1]
	v_pk_add_f32 v[114:115], v[114:115], v[14:15] neg_lo:[0,1] neg_hi:[0,1]
	s_delay_alu instid0(VALU_DEP_2) | instskip(SKIP_1) | instid1(VALU_DEP_1)
	v_pk_fma_f32 v[14:15], v[12:13], v[6:7], v[10:11] op_sel:[0,0,1] op_sel_hi:[1,1,0] neg_lo:[0,0,1] neg_hi:[0,0,1]
	v_pk_fma_f32 v[10:11], v[12:13], v[6:7], v[10:11] op_sel:[0,0,1] op_sel_hi:[1,0,0]
	v_mov_b32_e32 v15, v11
	ds_load_2addr_b64 v[10:13], v236 offset0:26 offset1:27
	v_pk_add_f32 v[110:111], v[110:111], v[14:15] neg_lo:[0,1] neg_hi:[0,1]
	s_wait_dscnt 0x0
	v_pk_mul_f32 v[14:15], v[10:11], v[8:9] op_sel:[0,1]
	s_delay_alu instid0(VALU_DEP_1) | instskip(SKIP_1) | instid1(VALU_DEP_1)
	v_pk_fma_f32 v[18:19], v[10:11], v[6:7], v[14:15] op_sel:[0,0,1] op_sel_hi:[1,1,0] neg_lo:[0,0,1] neg_hi:[0,0,1]
	v_pk_fma_f32 v[10:11], v[10:11], v[6:7], v[14:15] op_sel:[0,0,1] op_sel_hi:[1,0,0]
	v_mov_b32_e32 v19, v11
	v_pk_mul_f32 v[10:11], v[12:13], v[8:9] op_sel:[0,1]
	s_delay_alu instid0(VALU_DEP_2) | instskip(NEXT) | instid1(VALU_DEP_2)
	v_pk_add_f32 v[112:113], v[112:113], v[18:19] neg_lo:[0,1] neg_hi:[0,1]
	v_pk_fma_f32 v[14:15], v[12:13], v[6:7], v[10:11] op_sel:[0,0,1] op_sel_hi:[1,1,0] neg_lo:[0,0,1] neg_hi:[0,0,1]
	v_pk_fma_f32 v[10:11], v[12:13], v[6:7], v[10:11] op_sel:[0,0,1] op_sel_hi:[1,0,0]
	s_delay_alu instid0(VALU_DEP_1) | instskip(SKIP_4) | instid1(VALU_DEP_1)
	v_mov_b32_e32 v15, v11
	ds_load_2addr_b64 v[10:13], v236 offset0:28 offset1:29
	v_pk_add_f32 v[108:109], v[108:109], v[14:15] neg_lo:[0,1] neg_hi:[0,1]
	s_wait_dscnt 0x0
	v_pk_mul_f32 v[14:15], v[10:11], v[8:9] op_sel:[0,1]
	v_pk_fma_f32 v[18:19], v[10:11], v[6:7], v[14:15] op_sel:[0,0,1] op_sel_hi:[1,1,0] neg_lo:[0,0,1] neg_hi:[0,0,1]
	v_pk_fma_f32 v[10:11], v[10:11], v[6:7], v[14:15] op_sel:[0,0,1] op_sel_hi:[1,0,0]
	v_dual_mul_f32 v14, v13, v9 :: v_dual_mov_b32 v10, v13
	s_delay_alu instid0(VALU_DEP_2) | instskip(NEXT) | instid1(VALU_DEP_2)
	v_dual_mov_b32 v19, v11 :: v_dual_mov_b32 v11, v12
	v_pk_fma_f32 v[14:15], v[12:13], v[22:23], v[14:15] op_sel_hi:[1,1,0] neg_lo:[0,0,1] neg_hi:[0,0,1]
	v_mul_f32_e32 v12, v13, v6
	s_delay_alu instid0(VALU_DEP_3) | instskip(NEXT) | instid1(VALU_DEP_2)
	v_pk_add_f32 v[130:131], v[130:131], v[18:19] neg_lo:[0,1] neg_hi:[0,1]
	v_pk_fma_f32 v[10:11], v[10:11], v[22:23], v[12:13] op_sel_hi:[1,1,0]
	s_delay_alu instid0(VALU_DEP_1) | instskip(SKIP_4) | instid1(VALU_DEP_1)
	v_mov_b32_e32 v15, v11
	ds_load_2addr_b64 v[10:13], v236 offset0:30 offset1:31
	v_pk_add_f32 v[126:127], v[126:127], v[14:15] neg_lo:[0,1] neg_hi:[0,1]
	s_wait_dscnt 0x0
	v_pk_mul_f32 v[14:15], v[10:11], v[8:9] op_sel:[0,1]
	v_pk_fma_f32 v[18:19], v[10:11], v[6:7], v[14:15] op_sel:[0,0,1] op_sel_hi:[1,1,0] neg_lo:[0,0,1] neg_hi:[0,0,1]
	v_pk_fma_f32 v[10:11], v[10:11], v[6:7], v[14:15] op_sel:[0,0,1] op_sel_hi:[1,0,0]
	s_delay_alu instid0(VALU_DEP_1) | instskip(SKIP_1) | instid1(VALU_DEP_1)
	v_mov_b32_e32 v19, v11
	v_pk_mul_f32 v[10:11], v[12:13], v[8:9] op_sel:[0,1]
	v_pk_fma_f32 v[14:15], v[12:13], v[6:7], v[10:11] op_sel:[0,0,1] op_sel_hi:[1,1,0] neg_lo:[0,0,1] neg_hi:[0,0,1]
	v_pk_fma_f32 v[10:11], v[12:13], v[6:7], v[10:11] op_sel:[0,0,1] op_sel_hi:[1,0,0]
	s_delay_alu instid0(VALU_DEP_1)
	v_mov_b32_e32 v15, v11
	ds_load_2addr_b64 v[10:13], v236 offset0:32 offset1:33
	v_pk_add_f32 v[128:129], v[128:129], v[18:19] neg_lo:[0,1] neg_hi:[0,1]
	v_pk_add_f32 v[124:125], v[124:125], v[14:15] neg_lo:[0,1] neg_hi:[0,1]
	s_wait_dscnt 0x0
	v_pk_mul_f32 v[14:15], v[10:11], v[8:9] op_sel:[0,1]
	s_delay_alu instid0(VALU_DEP_1) | instskip(SKIP_1) | instid1(VALU_DEP_1)
	v_pk_fma_f32 v[18:19], v[10:11], v[6:7], v[14:15] op_sel:[0,0,1] op_sel_hi:[1,1,0] neg_lo:[0,0,1] neg_hi:[0,0,1]
	v_pk_fma_f32 v[10:11], v[10:11], v[6:7], v[14:15] op_sel:[0,0,1] op_sel_hi:[1,0,0]
	v_mov_b32_e32 v19, v11
	v_pk_mul_f32 v[10:11], v[12:13], v[8:9] op_sel:[0,1]
	s_delay_alu instid0(VALU_DEP_1) | instskip(SKIP_1) | instid1(VALU_DEP_1)
	v_pk_fma_f32 v[14:15], v[12:13], v[6:7], v[10:11] op_sel:[0,0,1] op_sel_hi:[1,1,0] neg_lo:[0,0,1] neg_hi:[0,0,1]
	v_pk_fma_f32 v[10:11], v[12:13], v[6:7], v[10:11] op_sel:[0,0,1] op_sel_hi:[1,0,0]
	v_mov_b32_e32 v15, v11
	ds_load_2addr_b64 v[10:13], v236 offset0:34 offset1:35
	v_pk_add_f32 v[146:147], v[146:147], v[18:19] neg_lo:[0,1] neg_hi:[0,1]
	v_pk_add_f32 v[142:143], v[142:143], v[14:15] neg_lo:[0,1] neg_hi:[0,1]
	s_wait_dscnt 0x0
	v_dual_mul_f32 v14, v11, v9 :: v_dual_mul_f32 v18, v11, v6
	s_delay_alu instid0(VALU_DEP_1) | instskip(NEXT) | instid1(VALU_DEP_2)
	v_pk_fma_f32 v[14:15], v[10:11], v[22:23], v[14:15] op_sel_hi:[1,1,0] neg_lo:[0,0,1] neg_hi:[0,0,1]
	v_pk_fma_f32 v[10:11], v[10:11], v[22:23], v[18:19] op_sel:[1,0,0] op_sel_hi:[0,1,0]
	s_delay_alu instid0(VALU_DEP_1) | instskip(SKIP_1) | instid1(VALU_DEP_2)
	v_mov_b32_e32 v15, v11
	v_pk_mul_f32 v[10:11], v[12:13], v[8:9] op_sel:[0,1]
	v_pk_add_f32 v[144:145], v[144:145], v[14:15] neg_lo:[0,1] neg_hi:[0,1]
	s_delay_alu instid0(VALU_DEP_2) | instskip(SKIP_1) | instid1(VALU_DEP_1)
	v_pk_fma_f32 v[14:15], v[12:13], v[6:7], v[10:11] op_sel:[0,0,1] op_sel_hi:[1,1,0] neg_lo:[0,0,1] neg_hi:[0,0,1]
	v_pk_fma_f32 v[10:11], v[12:13], v[6:7], v[10:11] op_sel:[0,0,1] op_sel_hi:[1,0,0]
	v_mov_b32_e32 v15, v11
	ds_load_2addr_b64 v[10:13], v236 offset0:36 offset1:37
	v_pk_add_f32 v[140:141], v[140:141], v[14:15] neg_lo:[0,1] neg_hi:[0,1]
	s_wait_dscnt 0x0
	v_pk_mul_f32 v[14:15], v[10:11], v[8:9] op_sel:[0,1]
	s_delay_alu instid0(VALU_DEP_1) | instskip(SKIP_1) | instid1(VALU_DEP_1)
	v_pk_fma_f32 v[18:19], v[10:11], v[6:7], v[14:15] op_sel:[0,0,1] op_sel_hi:[1,1,0] neg_lo:[0,0,1] neg_hi:[0,0,1]
	v_pk_fma_f32 v[10:11], v[10:11], v[6:7], v[14:15] op_sel:[0,0,1] op_sel_hi:[1,0,0]
	v_mov_b32_e32 v19, v11
	v_pk_mul_f32 v[10:11], v[12:13], v[8:9] op_sel:[0,1]
	s_delay_alu instid0(VALU_DEP_2) | instskip(NEXT) | instid1(VALU_DEP_2)
	v_pk_add_f32 v[162:163], v[162:163], v[18:19] neg_lo:[0,1] neg_hi:[0,1]
	v_pk_fma_f32 v[14:15], v[12:13], v[6:7], v[10:11] op_sel:[0,0,1] op_sel_hi:[1,1,0] neg_lo:[0,0,1] neg_hi:[0,0,1]
	v_pk_fma_f32 v[10:11], v[12:13], v[6:7], v[10:11] op_sel:[0,0,1] op_sel_hi:[1,0,0]
	s_delay_alu instid0(VALU_DEP_1) | instskip(SKIP_4) | instid1(VALU_DEP_1)
	v_mov_b32_e32 v15, v11
	ds_load_2addr_b64 v[10:13], v236 offset0:38 offset1:39
	v_pk_add_f32 v[158:159], v[158:159], v[14:15] neg_lo:[0,1] neg_hi:[0,1]
	s_wait_dscnt 0x0
	v_pk_mul_f32 v[14:15], v[10:11], v[8:9] op_sel:[0,1]
	v_pk_fma_f32 v[18:19], v[10:11], v[6:7], v[14:15] op_sel:[0,0,1] op_sel_hi:[1,1,0] neg_lo:[0,0,1] neg_hi:[0,0,1]
	v_pk_fma_f32 v[10:11], v[10:11], v[6:7], v[14:15] op_sel:[0,0,1] op_sel_hi:[1,0,0]
	v_dual_mul_f32 v14, v13, v9 :: v_dual_mov_b32 v10, v13
	s_delay_alu instid0(VALU_DEP_2) | instskip(NEXT) | instid1(VALU_DEP_2)
	v_dual_mov_b32 v19, v11 :: v_dual_mov_b32 v11, v12
	v_pk_fma_f32 v[14:15], v[12:13], v[22:23], v[14:15] op_sel_hi:[1,1,0] neg_lo:[0,0,1] neg_hi:[0,0,1]
	v_mul_f32_e32 v12, v13, v6
	s_delay_alu instid0(VALU_DEP_3) | instskip(NEXT) | instid1(VALU_DEP_2)
	v_pk_add_f32 v[160:161], v[160:161], v[18:19] neg_lo:[0,1] neg_hi:[0,1]
	v_pk_fma_f32 v[10:11], v[10:11], v[22:23], v[12:13] op_sel_hi:[1,1,0]
	s_delay_alu instid0(VALU_DEP_1) | instskip(SKIP_4) | instid1(VALU_DEP_1)
	v_mov_b32_e32 v15, v11
	ds_load_2addr_b64 v[10:13], v236 offset0:40 offset1:41
	v_pk_add_f32 v[156:157], v[156:157], v[14:15] neg_lo:[0,1] neg_hi:[0,1]
	s_wait_dscnt 0x0
	v_pk_mul_f32 v[14:15], v[10:11], v[8:9] op_sel:[0,1]
	v_pk_fma_f32 v[18:19], v[10:11], v[6:7], v[14:15] op_sel:[0,0,1] op_sel_hi:[1,1,0] neg_lo:[0,0,1] neg_hi:[0,0,1]
	v_pk_fma_f32 v[10:11], v[10:11], v[6:7], v[14:15] op_sel:[0,0,1] op_sel_hi:[1,0,0]
	s_delay_alu instid0(VALU_DEP_1) | instskip(SKIP_1) | instid1(VALU_DEP_1)
	v_mov_b32_e32 v19, v11
	v_pk_mul_f32 v[10:11], v[12:13], v[8:9] op_sel:[0,1]
	v_pk_fma_f32 v[14:15], v[12:13], v[6:7], v[10:11] op_sel:[0,0,1] op_sel_hi:[1,1,0] neg_lo:[0,0,1] neg_hi:[0,0,1]
	v_pk_fma_f32 v[10:11], v[12:13], v[6:7], v[10:11] op_sel:[0,0,1] op_sel_hi:[1,0,0]
	s_delay_alu instid0(VALU_DEP_1)
	v_mov_b32_e32 v15, v11
	ds_load_2addr_b64 v[10:13], v236 offset0:42 offset1:43
	v_pk_add_f32 v[178:179], v[178:179], v[18:19] neg_lo:[0,1] neg_hi:[0,1]
	v_pk_add_f32 v[174:175], v[174:175], v[14:15] neg_lo:[0,1] neg_hi:[0,1]
	s_wait_dscnt 0x0
	v_pk_mul_f32 v[14:15], v[10:11], v[8:9] op_sel:[0,1]
	s_delay_alu instid0(VALU_DEP_1) | instskip(SKIP_1) | instid1(VALU_DEP_1)
	v_pk_fma_f32 v[18:19], v[10:11], v[6:7], v[14:15] op_sel:[0,0,1] op_sel_hi:[1,1,0] neg_lo:[0,0,1] neg_hi:[0,0,1]
	v_pk_fma_f32 v[10:11], v[10:11], v[6:7], v[14:15] op_sel:[0,0,1] op_sel_hi:[1,0,0]
	v_mov_b32_e32 v19, v11
	v_pk_mul_f32 v[10:11], v[12:13], v[8:9] op_sel:[0,1]
	s_delay_alu instid0(VALU_DEP_1) | instskip(SKIP_1) | instid1(VALU_DEP_1)
	v_pk_fma_f32 v[14:15], v[12:13], v[6:7], v[10:11] op_sel:[0,0,1] op_sel_hi:[1,1,0] neg_lo:[0,0,1] neg_hi:[0,0,1]
	v_pk_fma_f32 v[10:11], v[12:13], v[6:7], v[10:11] op_sel:[0,0,1] op_sel_hi:[1,0,0]
	v_mov_b32_e32 v15, v11
	ds_load_2addr_b64 v[10:13], v236 offset0:44 offset1:45
	v_pk_add_f32 v[176:177], v[176:177], v[18:19] neg_lo:[0,1] neg_hi:[0,1]
	v_pk_add_f32 v[172:173], v[172:173], v[14:15] neg_lo:[0,1] neg_hi:[0,1]
	s_wait_dscnt 0x0
	v_dual_mul_f32 v14, v11, v9 :: v_dual_mul_f32 v18, v11, v6
	s_delay_alu instid0(VALU_DEP_1) | instskip(NEXT) | instid1(VALU_DEP_2)
	v_pk_fma_f32 v[14:15], v[10:11], v[22:23], v[14:15] op_sel_hi:[1,1,0] neg_lo:[0,0,1] neg_hi:[0,0,1]
	v_pk_fma_f32 v[10:11], v[10:11], v[22:23], v[18:19] op_sel:[1,0,0] op_sel_hi:[0,1,0]
	s_delay_alu instid0(VALU_DEP_1) | instskip(SKIP_1) | instid1(VALU_DEP_2)
	v_mov_b32_e32 v15, v11
	v_pk_mul_f32 v[10:11], v[12:13], v[8:9] op_sel:[0,1]
	v_pk_add_f32 v[194:195], v[194:195], v[14:15] neg_lo:[0,1] neg_hi:[0,1]
	s_delay_alu instid0(VALU_DEP_2) | instskip(SKIP_1) | instid1(VALU_DEP_1)
	v_pk_fma_f32 v[14:15], v[12:13], v[6:7], v[10:11] op_sel:[0,0,1] op_sel_hi:[1,1,0] neg_lo:[0,0,1] neg_hi:[0,0,1]
	v_pk_fma_f32 v[10:11], v[12:13], v[6:7], v[10:11] op_sel:[0,0,1] op_sel_hi:[1,0,0]
	v_mov_b32_e32 v15, v11
	ds_load_2addr_b64 v[10:13], v236 offset0:46 offset1:47
	v_pk_add_f32 v[190:191], v[190:191], v[14:15] neg_lo:[0,1] neg_hi:[0,1]
	s_wait_dscnt 0x0
	v_pk_mul_f32 v[14:15], v[10:11], v[8:9] op_sel:[0,1]
	s_delay_alu instid0(VALU_DEP_1) | instskip(SKIP_1) | instid1(VALU_DEP_1)
	v_pk_fma_f32 v[18:19], v[10:11], v[6:7], v[14:15] op_sel:[0,0,1] op_sel_hi:[1,1,0] neg_lo:[0,0,1] neg_hi:[0,0,1]
	v_pk_fma_f32 v[10:11], v[10:11], v[6:7], v[14:15] op_sel:[0,0,1] op_sel_hi:[1,0,0]
	v_mov_b32_e32 v19, v11
	v_pk_mul_f32 v[10:11], v[12:13], v[8:9] op_sel:[0,1]
	s_delay_alu instid0(VALU_DEP_2) | instskip(NEXT) | instid1(VALU_DEP_2)
	v_pk_add_f32 v[192:193], v[192:193], v[18:19] neg_lo:[0,1] neg_hi:[0,1]
	v_pk_fma_f32 v[14:15], v[12:13], v[6:7], v[10:11] op_sel:[0,0,1] op_sel_hi:[1,1,0] neg_lo:[0,0,1] neg_hi:[0,0,1]
	v_pk_fma_f32 v[10:11], v[12:13], v[6:7], v[10:11] op_sel:[0,0,1] op_sel_hi:[1,0,0]
	s_delay_alu instid0(VALU_DEP_1) | instskip(SKIP_4) | instid1(VALU_DEP_1)
	v_mov_b32_e32 v15, v11
	ds_load_2addr_b64 v[10:13], v236 offset0:48 offset1:49
	v_pk_add_f32 v[188:189], v[188:189], v[14:15] neg_lo:[0,1] neg_hi:[0,1]
	s_wait_dscnt 0x0
	v_pk_mul_f32 v[14:15], v[10:11], v[8:9] op_sel:[0,1]
	v_pk_fma_f32 v[18:19], v[10:11], v[6:7], v[14:15] op_sel:[0,0,1] op_sel_hi:[1,1,0] neg_lo:[0,0,1] neg_hi:[0,0,1]
	v_pk_fma_f32 v[10:11], v[10:11], v[6:7], v[14:15] op_sel:[0,0,1] op_sel_hi:[1,0,0]
	v_dual_mul_f32 v14, v13, v9 :: v_dual_mov_b32 v10, v13
	s_delay_alu instid0(VALU_DEP_2) | instskip(NEXT) | instid1(VALU_DEP_2)
	v_dual_mov_b32 v19, v11 :: v_dual_mov_b32 v11, v12
	v_pk_fma_f32 v[14:15], v[12:13], v[22:23], v[14:15] op_sel_hi:[1,1,0] neg_lo:[0,0,1] neg_hi:[0,0,1]
	v_mul_f32_e32 v12, v13, v6
	s_delay_alu instid0(VALU_DEP_3) | instskip(NEXT) | instid1(VALU_DEP_2)
	v_pk_add_f32 v[210:211], v[210:211], v[18:19] neg_lo:[0,1] neg_hi:[0,1]
	v_pk_fma_f32 v[10:11], v[10:11], v[22:23], v[12:13] op_sel_hi:[1,1,0]
	s_delay_alu instid0(VALU_DEP_1) | instskip(SKIP_4) | instid1(VALU_DEP_1)
	v_mov_b32_e32 v15, v11
	ds_load_2addr_b64 v[10:13], v236 offset0:50 offset1:51
	v_pk_add_f32 v[206:207], v[206:207], v[14:15] neg_lo:[0,1] neg_hi:[0,1]
	s_wait_dscnt 0x0
	v_pk_mul_f32 v[14:15], v[10:11], v[8:9] op_sel:[0,1]
	v_pk_fma_f32 v[18:19], v[10:11], v[6:7], v[14:15] op_sel:[0,0,1] op_sel_hi:[1,1,0] neg_lo:[0,0,1] neg_hi:[0,0,1]
	v_pk_fma_f32 v[10:11], v[10:11], v[6:7], v[14:15] op_sel:[0,0,1] op_sel_hi:[1,0,0]
	s_delay_alu instid0(VALU_DEP_1) | instskip(SKIP_1) | instid1(VALU_DEP_1)
	v_mov_b32_e32 v19, v11
	v_pk_mul_f32 v[10:11], v[12:13], v[8:9] op_sel:[0,1]
	v_pk_fma_f32 v[14:15], v[12:13], v[6:7], v[10:11] op_sel:[0,0,1] op_sel_hi:[1,1,0] neg_lo:[0,0,1] neg_hi:[0,0,1]
	v_pk_fma_f32 v[10:11], v[12:13], v[6:7], v[10:11] op_sel:[0,0,1] op_sel_hi:[1,0,0]
	s_delay_alu instid0(VALU_DEP_1)
	v_mov_b32_e32 v15, v11
	ds_load_2addr_b64 v[10:13], v236 offset0:52 offset1:53
	v_pk_add_f32 v[208:209], v[208:209], v[18:19] neg_lo:[0,1] neg_hi:[0,1]
	v_pk_add_f32 v[204:205], v[204:205], v[14:15] neg_lo:[0,1] neg_hi:[0,1]
	s_wait_dscnt 0x0
	v_pk_mul_f32 v[14:15], v[10:11], v[8:9] op_sel:[0,1]
	s_delay_alu instid0(VALU_DEP_1) | instskip(SKIP_1) | instid1(VALU_DEP_1)
	v_pk_fma_f32 v[18:19], v[10:11], v[6:7], v[14:15] op_sel:[0,0,1] op_sel_hi:[1,1,0] neg_lo:[0,0,1] neg_hi:[0,0,1]
	v_pk_fma_f32 v[10:11], v[10:11], v[6:7], v[14:15] op_sel:[0,0,1] op_sel_hi:[1,0,0]
	v_mov_b32_e32 v19, v11
	v_pk_mul_f32 v[10:11], v[12:13], v[8:9] op_sel:[0,1]
	s_delay_alu instid0(VALU_DEP_1) | instskip(SKIP_1) | instid1(VALU_DEP_1)
	v_pk_fma_f32 v[14:15], v[12:13], v[6:7], v[10:11] op_sel:[0,0,1] op_sel_hi:[1,1,0] neg_lo:[0,0,1] neg_hi:[0,0,1]
	v_pk_fma_f32 v[10:11], v[12:13], v[6:7], v[10:11] op_sel:[0,0,1] op_sel_hi:[1,0,0]
	v_mov_b32_e32 v15, v11
	ds_load_2addr_b64 v[10:13], v236 offset0:54 offset1:55
	v_pk_add_f32 v[228:229], v[228:229], v[18:19] neg_lo:[0,1] neg_hi:[0,1]
	v_pk_add_f32 v[224:225], v[224:225], v[14:15] neg_lo:[0,1] neg_hi:[0,1]
	s_wait_dscnt 0x0
	v_dual_mul_f32 v14, v11, v9 :: v_dual_mul_f32 v18, v11, v6
	s_delay_alu instid0(VALU_DEP_1) | instskip(NEXT) | instid1(VALU_DEP_2)
	v_pk_fma_f32 v[14:15], v[10:11], v[22:23], v[14:15] op_sel_hi:[1,1,0] neg_lo:[0,0,1] neg_hi:[0,0,1]
	v_pk_fma_f32 v[10:11], v[10:11], v[22:23], v[18:19] op_sel:[1,0,0] op_sel_hi:[0,1,0]
	s_delay_alu instid0(VALU_DEP_1) | instskip(SKIP_1) | instid1(VALU_DEP_2)
	v_mov_b32_e32 v15, v11
	v_pk_mul_f32 v[10:11], v[12:13], v[8:9] op_sel:[0,1]
	v_pk_add_f32 v[226:227], v[226:227], v[14:15] neg_lo:[0,1] neg_hi:[0,1]
	s_delay_alu instid0(VALU_DEP_2) | instskip(SKIP_1) | instid1(VALU_DEP_1)
	v_pk_fma_f32 v[14:15], v[12:13], v[6:7], v[10:11] op_sel:[0,0,1] op_sel_hi:[1,1,0] neg_lo:[0,0,1] neg_hi:[0,0,1]
	v_pk_fma_f32 v[10:11], v[12:13], v[6:7], v[10:11] op_sel:[0,0,1] op_sel_hi:[1,0,0]
	v_mov_b32_e32 v15, v11
	ds_load_2addr_b64 v[10:13], v236 offset0:56 offset1:57
	v_pk_add_f32 v[222:223], v[222:223], v[14:15] neg_lo:[0,1] neg_hi:[0,1]
	s_wait_dscnt 0x0
	v_pk_mul_f32 v[14:15], v[10:11], v[8:9] op_sel:[0,1]
	s_delay_alu instid0(VALU_DEP_1) | instskip(SKIP_1) | instid1(VALU_DEP_1)
	v_pk_fma_f32 v[18:19], v[10:11], v[6:7], v[14:15] op_sel:[0,0,1] op_sel_hi:[1,1,0] neg_lo:[0,0,1] neg_hi:[0,0,1]
	v_pk_fma_f32 v[10:11], v[10:11], v[6:7], v[14:15] op_sel:[0,0,1] op_sel_hi:[1,0,0]
	v_mov_b32_e32 v19, v11
	v_pk_mul_f32 v[10:11], v[12:13], v[8:9] op_sel:[0,1]
	s_delay_alu instid0(VALU_DEP_2) | instskip(NEXT) | instid1(VALU_DEP_2)
	v_pk_add_f32 v[244:245], v[244:245], v[18:19] neg_lo:[0,1] neg_hi:[0,1]
	v_pk_fma_f32 v[14:15], v[12:13], v[6:7], v[10:11] op_sel:[0,0,1] op_sel_hi:[1,1,0] neg_lo:[0,0,1] neg_hi:[0,0,1]
	v_pk_fma_f32 v[10:11], v[12:13], v[6:7], v[10:11] op_sel:[0,0,1] op_sel_hi:[1,0,0]
	s_delay_alu instid0(VALU_DEP_1) | instskip(SKIP_4) | instid1(VALU_DEP_1)
	v_mov_b32_e32 v15, v11
	ds_load_2addr_b64 v[10:13], v236 offset0:58 offset1:59
	v_pk_add_f32 v[240:241], v[240:241], v[14:15] neg_lo:[0,1] neg_hi:[0,1]
	s_wait_dscnt 0x0
	v_pk_mul_f32 v[14:15], v[10:11], v[8:9] op_sel:[0,1]
	v_pk_fma_f32 v[18:19], v[10:11], v[6:7], v[14:15] op_sel:[0,0,1] op_sel_hi:[1,1,0] neg_lo:[0,0,1] neg_hi:[0,0,1]
	v_pk_fma_f32 v[10:11], v[10:11], v[6:7], v[14:15] op_sel:[0,0,1] op_sel_hi:[1,0,0]
	v_dual_mul_f32 v14, v13, v9 :: v_dual_mov_b32 v10, v13
	s_delay_alu instid0(VALU_DEP_2) | instskip(NEXT) | instid1(VALU_DEP_2)
	v_dual_mov_b32 v19, v11 :: v_dual_mov_b32 v11, v12
	v_pk_fma_f32 v[14:15], v[12:13], v[22:23], v[14:15] op_sel_hi:[1,1,0] neg_lo:[0,0,1] neg_hi:[0,0,1]
	v_mul_f32_e32 v12, v13, v6
	s_delay_alu instid0(VALU_DEP_3) | instskip(NEXT) | instid1(VALU_DEP_2)
	v_pk_add_f32 v[242:243], v[242:243], v[18:19] neg_lo:[0,1] neg_hi:[0,1]
	v_pk_fma_f32 v[10:11], v[10:11], v[22:23], v[12:13] op_sel_hi:[1,1,0]
	s_delay_alu instid0(VALU_DEP_1)
	v_mov_b32_e32 v15, v11
	ds_load_2addr_b64 v[10:13], v236 offset0:60 offset1:61
	v_pk_add_f32 v[238:239], v[238:239], v[14:15] neg_lo:[0,1] neg_hi:[0,1]
	s_wait_dscnt 0x0
	v_pk_mul_f32 v[14:15], v[10:11], v[8:9] op_sel:[0,1]
	v_pk_mul_f32 v[8:9], v[12:13], v[8:9] op_sel:[0,1]
	s_delay_alu instid0(VALU_DEP_2) | instskip(SKIP_1) | instid1(VALU_DEP_1)
	v_pk_fma_f32 v[18:19], v[10:11], v[6:7], v[14:15] op_sel:[0,0,1] op_sel_hi:[1,1,0] neg_lo:[0,0,1] neg_hi:[0,0,1]
	v_pk_fma_f32 v[10:11], v[10:11], v[6:7], v[14:15] op_sel:[0,0,1] op_sel_hi:[1,0,0]
	v_mov_b32_e32 v19, v11
	s_delay_alu instid0(VALU_DEP_4) | instskip(SKIP_1) | instid1(VALU_DEP_1)
	v_pk_fma_f32 v[10:11], v[12:13], v[6:7], v[8:9] op_sel:[0,0,1] op_sel_hi:[1,1,0] neg_lo:[0,0,1] neg_hi:[0,0,1]
	v_pk_fma_f32 v[6:7], v[12:13], v[6:7], v[8:9] op_sel:[0,0,1] op_sel_hi:[1,0,0]
	v_mov_b32_e32 v11, v7
	s_delay_alu instid0(VALU_DEP_4) | instskip(NEXT) | instid1(VALU_DEP_2)
	v_pk_add_f32 v[246:247], v[246:247], v[18:19] neg_lo:[0,1] neg_hi:[0,1]
	v_pk_add_f32 v[248:249], v[248:249], v[10:11] neg_lo:[0,1] neg_hi:[0,1]
.LBB123_55:
	s_or_b32 exec_lo, exec_lo, s1
	s_delay_alu instid0(SALU_CYCLE_1)
	s_mov_b32 s2, exec_lo
	s_wait_dscnt 0x0
	s_barrier_signal -1
	s_barrier_wait -1
	v_cmpx_eq_u32_e32 6, v234
	s_cbranch_execz .LBB123_62
; %bb.56:
	ds_store_b64 v235, v[24:25]
	ds_store_2addr_b64 v236, v[20:21], v[42:43] offset0:7 offset1:8
	ds_store_2addr_b64 v236, v[38:39], v[40:41] offset0:9 offset1:10
	;; [unrolled: 1-line block ×27, first 2 shown]
	ds_store_b64 v236, v[248:249] offset:488
	ds_load_b64 v[6:7], v235
	s_wait_dscnt 0x0
	v_cmp_neq_f32_e32 vcc_lo, 0, v6
	v_cmp_neq_f32_e64 s1, 0, v7
	s_or_b32 s1, vcc_lo, s1
	s_delay_alu instid0(SALU_CYCLE_1)
	s_and_b32 exec_lo, exec_lo, s1
	s_cbranch_execz .LBB123_62
; %bb.57:
	v_cmp_ngt_f32_e64 s1, |v6|, |v7|
                                        ; implicit-def: $vgpr8_vgpr9
	s_and_saveexec_b32 s4, s1
	s_delay_alu instid0(SALU_CYCLE_1)
	s_xor_b32 s1, exec_lo, s4
	s_cbranch_execz .LBB123_59
; %bb.58:
	v_div_scale_f32 v0, null, v7, v7, v6
	v_div_scale_f32 v9, vcc_lo, v6, v7, v6
	s_delay_alu instid0(VALU_DEP_2) | instskip(SKIP_1) | instid1(TRANS32_DEP_1)
	v_rcp_f32_e32 v1, v0
	v_nop
	v_fma_f32 v8, -v0, v1, 1.0
	s_delay_alu instid0(VALU_DEP_1) | instskip(NEXT) | instid1(VALU_DEP_1)
	v_fmac_f32_e32 v1, v8, v1
	v_mul_f32_e32 v8, v9, v1
	s_delay_alu instid0(VALU_DEP_1) | instskip(NEXT) | instid1(VALU_DEP_1)
	v_fma_f32 v10, -v0, v8, v9
	v_fmac_f32_e32 v8, v10, v1
	s_delay_alu instid0(VALU_DEP_1) | instskip(NEXT) | instid1(VALU_DEP_1)
	v_fma_f32 v0, -v0, v8, v9
	v_div_fmas_f32 v0, v0, v1, v8
	s_delay_alu instid0(VALU_DEP_1) | instskip(NEXT) | instid1(VALU_DEP_1)
	v_div_fixup_f32 v0, v0, v7, v6
	v_fmac_f32_e32 v7, v6, v0
	s_delay_alu instid0(VALU_DEP_1) | instskip(SKIP_1) | instid1(VALU_DEP_2)
	v_div_scale_f32 v1, null, v7, v7, 1.0
	v_div_scale_f32 v9, vcc_lo, 1.0, v7, 1.0
	v_rcp_f32_e32 v6, v1
	v_nop
	s_delay_alu instid0(TRANS32_DEP_1) | instskip(NEXT) | instid1(VALU_DEP_1)
	v_fma_f32 v8, -v1, v6, 1.0
	v_fmac_f32_e32 v6, v8, v6
	s_delay_alu instid0(VALU_DEP_1) | instskip(NEXT) | instid1(VALU_DEP_1)
	v_mul_f32_e32 v8, v9, v6
	v_fma_f32 v10, -v1, v8, v9
	s_delay_alu instid0(VALU_DEP_1) | instskip(NEXT) | instid1(VALU_DEP_1)
	v_fmac_f32_e32 v8, v10, v6
	v_fma_f32 v1, -v1, v8, v9
	s_delay_alu instid0(VALU_DEP_1) | instskip(NEXT) | instid1(VALU_DEP_1)
	v_div_fmas_f32 v1, v1, v6, v8
	v_div_fixup_f32 v1, v1, v7, 1.0
                                        ; implicit-def: $vgpr6_vgpr7
	s_delay_alu instid0(VALU_DEP_1)
	v_mul_f32_e32 v8, v0, v1
	v_xor_b32_e32 v9, 0x80000000, v1
.LBB123_59:
	s_and_not1_saveexec_b32 s1, s1
	s_cbranch_execz .LBB123_61
; %bb.60:
	v_div_scale_f32 v0, null, v6, v6, v7
	v_div_scale_f32 v9, vcc_lo, v7, v6, v7
	s_delay_alu instid0(VALU_DEP_2) | instskip(SKIP_1) | instid1(TRANS32_DEP_1)
	v_rcp_f32_e32 v1, v0
	v_nop
	v_fma_f32 v8, -v0, v1, 1.0
	s_delay_alu instid0(VALU_DEP_1) | instskip(NEXT) | instid1(VALU_DEP_1)
	v_fmac_f32_e32 v1, v8, v1
	v_mul_f32_e32 v8, v9, v1
	s_delay_alu instid0(VALU_DEP_1) | instskip(NEXT) | instid1(VALU_DEP_1)
	v_fma_f32 v10, -v0, v8, v9
	v_fmac_f32_e32 v8, v10, v1
	s_delay_alu instid0(VALU_DEP_1) | instskip(NEXT) | instid1(VALU_DEP_1)
	v_fma_f32 v0, -v0, v8, v9
	v_div_fmas_f32 v0, v0, v1, v8
	s_delay_alu instid0(VALU_DEP_1) | instskip(NEXT) | instid1(VALU_DEP_1)
	v_div_fixup_f32 v0, v0, v6, v7
	v_fmac_f32_e32 v6, v7, v0
	s_delay_alu instid0(VALU_DEP_1) | instskip(NEXT) | instid1(VALU_DEP_1)
	v_div_scale_f32 v1, null, v6, v6, 1.0
	v_rcp_f32_e32 v7, v1
	v_nop
	s_delay_alu instid0(TRANS32_DEP_1) | instskip(NEXT) | instid1(VALU_DEP_1)
	v_fma_f32 v8, -v1, v7, 1.0
	v_fmac_f32_e32 v7, v8, v7
	v_div_scale_f32 v8, vcc_lo, 1.0, v6, 1.0
	s_delay_alu instid0(VALU_DEP_1) | instskip(NEXT) | instid1(VALU_DEP_1)
	v_mul_f32_e32 v9, v8, v7
	v_fma_f32 v10, -v1, v9, v8
	s_delay_alu instid0(VALU_DEP_1) | instskip(NEXT) | instid1(VALU_DEP_1)
	v_fmac_f32_e32 v9, v10, v7
	v_fma_f32 v1, -v1, v9, v8
	s_delay_alu instid0(VALU_DEP_1) | instskip(NEXT) | instid1(VALU_DEP_1)
	v_div_fmas_f32 v1, v1, v7, v9
	v_div_fixup_f32 v8, v1, v6, 1.0
	s_delay_alu instid0(VALU_DEP_1)
	v_mul_f32_e64 v9, v0, -v8
.LBB123_61:
	s_or_b32 exec_lo, exec_lo, s1
	ds_store_b64 v235, v[8:9]
.LBB123_62:
	s_or_b32 exec_lo, exec_lo, s2
	s_wait_dscnt 0x0
	s_barrier_signal -1
	s_barrier_wait -1
	ds_load_b64 v[6:7], v235
	s_mov_b32 s1, exec_lo
	v_cmpx_lt_u32_e32 6, v234
	s_cbranch_execz .LBB123_64
; %bb.63:
	ds_load_2addr_b64 v[12:15], v236 offset0:7 offset1:8
	s_wait_dscnt 0x1
	v_pk_mul_f32 v[10:11], v[6:7], v[24:25] op_sel:[1,1] op_sel_hi:[0,1]
	s_delay_alu instid0(VALU_DEP_1) | instskip(SKIP_1) | instid1(VALU_DEP_1)
	v_pk_fma_f32 v[8:9], v[6:7], v[24:25], v[10:11] op_sel_hi:[1,0,1] neg_lo:[0,0,1] neg_hi:[0,0,1]
	v_pk_fma_f32 v[10:11], v[6:7], v[24:25], v[10:11] op_sel_hi:[1,0,1]
	v_dual_mov_b32 v24, v8 :: v_dual_mov_b32 v25, v11
	s_wait_dscnt 0x0
	s_delay_alu instid0(VALU_DEP_2) | instskip(NEXT) | instid1(VALU_DEP_1)
	v_pk_mul_f32 v[18:19], v[12:13], v[10:11] op_sel:[0,1]
	v_pk_fma_f32 v[30:31], v[12:13], v[8:9], v[18:19] op_sel:[0,0,1] op_sel_hi:[1,1,0] neg_lo:[0,0,1] neg_hi:[0,0,1]
	v_pk_fma_f32 v[12:13], v[12:13], v[8:9], v[18:19] op_sel:[0,0,1] op_sel_hi:[1,0,0]
	s_delay_alu instid0(VALU_DEP_1) | instskip(SKIP_1) | instid1(VALU_DEP_1)
	v_mov_b32_e32 v31, v13
	v_pk_mul_f32 v[12:13], v[14:15], v[10:11] op_sel:[0,1]
	v_pk_fma_f32 v[18:19], v[14:15], v[8:9], v[12:13] op_sel:[0,0,1] op_sel_hi:[1,1,0] neg_lo:[0,0,1] neg_hi:[0,0,1]
	v_pk_fma_f32 v[12:13], v[14:15], v[8:9], v[12:13] op_sel:[0,0,1] op_sel_hi:[1,0,0]
	s_delay_alu instid0(VALU_DEP_1)
	v_mov_b32_e32 v19, v13
	ds_load_2addr_b64 v[12:15], v236 offset0:9 offset1:10
	v_pk_add_f32 v[20:21], v[20:21], v[30:31] neg_lo:[0,1] neg_hi:[0,1]
	v_pk_add_f32 v[42:43], v[42:43], v[18:19] neg_lo:[0,1] neg_hi:[0,1]
	s_wait_dscnt 0x0
	v_pk_mul_f32 v[18:19], v[12:13], v[10:11] op_sel:[0,1]
	s_delay_alu instid0(VALU_DEP_1) | instskip(SKIP_2) | instid1(VALU_DEP_2)
	v_pk_fma_f32 v[30:31], v[12:13], v[8:9], v[18:19] op_sel:[0,0,1] op_sel_hi:[1,1,0] neg_lo:[0,0,1] neg_hi:[0,0,1]
	v_pk_fma_f32 v[12:13], v[12:13], v[8:9], v[18:19] op_sel:[0,0,1] op_sel_hi:[1,0,0]
	v_dual_mul_f32 v18, v15, v11 :: v_dual_mov_b32 v12, v15
	v_dual_mov_b32 v31, v13 :: v_dual_mov_b32 v13, v14
	s_delay_alu instid0(VALU_DEP_2) | instskip(SKIP_1) | instid1(VALU_DEP_3)
	v_pk_fma_f32 v[18:19], v[14:15], v[24:25], v[18:19] op_sel_hi:[1,1,0] neg_lo:[0,0,1] neg_hi:[0,0,1]
	v_mul_f32_e32 v14, v15, v8
	v_pk_add_f32 v[38:39], v[38:39], v[30:31] neg_lo:[0,1] neg_hi:[0,1]
	s_delay_alu instid0(VALU_DEP_2) | instskip(NEXT) | instid1(VALU_DEP_1)
	v_pk_fma_f32 v[12:13], v[12:13], v[24:25], v[14:15] op_sel_hi:[1,1,0]
	v_mov_b32_e32 v19, v13
	ds_load_2addr_b64 v[12:15], v236 offset0:11 offset1:12
	v_pk_add_f32 v[40:41], v[40:41], v[18:19] neg_lo:[0,1] neg_hi:[0,1]
	s_wait_dscnt 0x0
	v_pk_mul_f32 v[18:19], v[12:13], v[10:11] op_sel:[0,1]
	s_delay_alu instid0(VALU_DEP_1) | instskip(SKIP_1) | instid1(VALU_DEP_1)
	v_pk_fma_f32 v[30:31], v[12:13], v[8:9], v[18:19] op_sel:[0,0,1] op_sel_hi:[1,1,0] neg_lo:[0,0,1] neg_hi:[0,0,1]
	v_pk_fma_f32 v[12:13], v[12:13], v[8:9], v[18:19] op_sel:[0,0,1] op_sel_hi:[1,0,0]
	v_mov_b32_e32 v31, v13
	v_pk_mul_f32 v[12:13], v[14:15], v[10:11] op_sel:[0,1]
	s_delay_alu instid0(VALU_DEP_1) | instskip(SKIP_1) | instid1(VALU_DEP_1)
	v_pk_fma_f32 v[18:19], v[14:15], v[8:9], v[12:13] op_sel:[0,0,1] op_sel_hi:[1,1,0] neg_lo:[0,0,1] neg_hi:[0,0,1]
	v_pk_fma_f32 v[12:13], v[14:15], v[8:9], v[12:13] op_sel:[0,0,1] op_sel_hi:[1,0,0]
	v_mov_b32_e32 v19, v13
	ds_load_2addr_b64 v[12:15], v236 offset0:13 offset1:14
	v_pk_add_f32 v[36:37], v[36:37], v[30:31] neg_lo:[0,1] neg_hi:[0,1]
	v_pk_add_f32 v[66:67], v[66:67], v[18:19] neg_lo:[0,1] neg_hi:[0,1]
	s_wait_dscnt 0x0
	v_pk_mul_f32 v[18:19], v[12:13], v[10:11] op_sel:[0,1]
	s_delay_alu instid0(VALU_DEP_1) | instskip(SKIP_1) | instid1(VALU_DEP_1)
	v_pk_fma_f32 v[30:31], v[12:13], v[8:9], v[18:19] op_sel:[0,0,1] op_sel_hi:[1,1,0] neg_lo:[0,0,1] neg_hi:[0,0,1]
	v_pk_fma_f32 v[12:13], v[12:13], v[8:9], v[18:19] op_sel:[0,0,1] op_sel_hi:[1,0,0]
	v_mov_b32_e32 v31, v13
	v_pk_mul_f32 v[12:13], v[14:15], v[10:11] op_sel:[0,1]
	s_delay_alu instid0(VALU_DEP_1) | instskip(SKIP_1) | instid1(VALU_DEP_1)
	v_pk_fma_f32 v[18:19], v[14:15], v[8:9], v[12:13] op_sel:[0,0,1] op_sel_hi:[1,1,0] neg_lo:[0,0,1] neg_hi:[0,0,1]
	v_pk_fma_f32 v[12:13], v[14:15], v[8:9], v[12:13] op_sel:[0,0,1] op_sel_hi:[1,0,0]
	v_mov_b32_e32 v19, v13
	ds_load_2addr_b64 v[12:15], v236 offset0:15 offset1:16
	v_pk_add_f32 v[62:63], v[62:63], v[30:31] neg_lo:[0,1] neg_hi:[0,1]
	v_pk_add_f32 v[64:65], v[64:65], v[18:19] neg_lo:[0,1] neg_hi:[0,1]
	s_wait_dscnt 0x0
	v_dual_mul_f32 v18, v13, v11 :: v_dual_mul_f32 v30, v13, v8
	s_delay_alu instid0(VALU_DEP_1) | instskip(NEXT) | instid1(VALU_DEP_2)
	v_pk_fma_f32 v[18:19], v[12:13], v[24:25], v[18:19] op_sel_hi:[1,1,0] neg_lo:[0,0,1] neg_hi:[0,0,1]
	v_pk_fma_f32 v[12:13], v[12:13], v[24:25], v[30:31] op_sel:[1,0,0] op_sel_hi:[0,1,0]
	s_delay_alu instid0(VALU_DEP_1) | instskip(SKIP_1) | instid1(VALU_DEP_2)
	v_mov_b32_e32 v19, v13
	v_pk_mul_f32 v[12:13], v[14:15], v[10:11] op_sel:[0,1]
	v_pk_add_f32 v[60:61], v[60:61], v[18:19] neg_lo:[0,1] neg_hi:[0,1]
	s_delay_alu instid0(VALU_DEP_2) | instskip(SKIP_1) | instid1(VALU_DEP_1)
	v_pk_fma_f32 v[18:19], v[14:15], v[8:9], v[12:13] op_sel:[0,0,1] op_sel_hi:[1,1,0] neg_lo:[0,0,1] neg_hi:[0,0,1]
	v_pk_fma_f32 v[12:13], v[14:15], v[8:9], v[12:13] op_sel:[0,0,1] op_sel_hi:[1,0,0]
	v_mov_b32_e32 v19, v13
	ds_load_2addr_b64 v[12:15], v236 offset0:17 offset1:18
	v_pk_add_f32 v[82:83], v[82:83], v[18:19] neg_lo:[0,1] neg_hi:[0,1]
	s_wait_dscnt 0x0
	v_pk_mul_f32 v[18:19], v[12:13], v[10:11] op_sel:[0,1]
	s_delay_alu instid0(VALU_DEP_1) | instskip(SKIP_1) | instid1(VALU_DEP_1)
	v_pk_fma_f32 v[30:31], v[12:13], v[8:9], v[18:19] op_sel:[0,0,1] op_sel_hi:[1,1,0] neg_lo:[0,0,1] neg_hi:[0,0,1]
	v_pk_fma_f32 v[12:13], v[12:13], v[8:9], v[18:19] op_sel:[0,0,1] op_sel_hi:[1,0,0]
	v_mov_b32_e32 v31, v13
	v_pk_mul_f32 v[12:13], v[14:15], v[10:11] op_sel:[0,1]
	s_delay_alu instid0(VALU_DEP_2) | instskip(NEXT) | instid1(VALU_DEP_2)
	v_pk_add_f32 v[78:79], v[78:79], v[30:31] neg_lo:[0,1] neg_hi:[0,1]
	v_pk_fma_f32 v[18:19], v[14:15], v[8:9], v[12:13] op_sel:[0,0,1] op_sel_hi:[1,1,0] neg_lo:[0,0,1] neg_hi:[0,0,1]
	v_pk_fma_f32 v[12:13], v[14:15], v[8:9], v[12:13] op_sel:[0,0,1] op_sel_hi:[1,0,0]
	s_delay_alu instid0(VALU_DEP_1) | instskip(SKIP_4) | instid1(VALU_DEP_1)
	v_mov_b32_e32 v19, v13
	ds_load_2addr_b64 v[12:15], v236 offset0:19 offset1:20
	v_pk_add_f32 v[80:81], v[80:81], v[18:19] neg_lo:[0,1] neg_hi:[0,1]
	s_wait_dscnt 0x0
	v_pk_mul_f32 v[18:19], v[12:13], v[10:11] op_sel:[0,1]
	v_pk_fma_f32 v[30:31], v[12:13], v[8:9], v[18:19] op_sel:[0,0,1] op_sel_hi:[1,1,0] neg_lo:[0,0,1] neg_hi:[0,0,1]
	v_pk_fma_f32 v[12:13], v[12:13], v[8:9], v[18:19] op_sel:[0,0,1] op_sel_hi:[1,0,0]
	v_dual_mul_f32 v18, v15, v11 :: v_dual_mov_b32 v12, v15
	s_delay_alu instid0(VALU_DEP_2) | instskip(NEXT) | instid1(VALU_DEP_2)
	v_dual_mov_b32 v31, v13 :: v_dual_mov_b32 v13, v14
	v_pk_fma_f32 v[18:19], v[14:15], v[24:25], v[18:19] op_sel_hi:[1,1,0] neg_lo:[0,0,1] neg_hi:[0,0,1]
	v_mul_f32_e32 v14, v15, v8
	s_delay_alu instid0(VALU_DEP_3) | instskip(NEXT) | instid1(VALU_DEP_2)
	v_pk_add_f32 v[76:77], v[76:77], v[30:31] neg_lo:[0,1] neg_hi:[0,1]
	v_pk_fma_f32 v[12:13], v[12:13], v[24:25], v[14:15] op_sel_hi:[1,1,0]
	s_delay_alu instid0(VALU_DEP_1) | instskip(SKIP_4) | instid1(VALU_DEP_1)
	v_mov_b32_e32 v19, v13
	ds_load_2addr_b64 v[12:15], v236 offset0:21 offset1:22
	v_pk_add_f32 v[98:99], v[98:99], v[18:19] neg_lo:[0,1] neg_hi:[0,1]
	s_wait_dscnt 0x0
	v_pk_mul_f32 v[18:19], v[12:13], v[10:11] op_sel:[0,1]
	v_pk_fma_f32 v[30:31], v[12:13], v[8:9], v[18:19] op_sel:[0,0,1] op_sel_hi:[1,1,0] neg_lo:[0,0,1] neg_hi:[0,0,1]
	v_pk_fma_f32 v[12:13], v[12:13], v[8:9], v[18:19] op_sel:[0,0,1] op_sel_hi:[1,0,0]
	s_delay_alu instid0(VALU_DEP_1) | instskip(SKIP_1) | instid1(VALU_DEP_1)
	v_mov_b32_e32 v31, v13
	v_pk_mul_f32 v[12:13], v[14:15], v[10:11] op_sel:[0,1]
	v_pk_fma_f32 v[18:19], v[14:15], v[8:9], v[12:13] op_sel:[0,0,1] op_sel_hi:[1,1,0] neg_lo:[0,0,1] neg_hi:[0,0,1]
	v_pk_fma_f32 v[12:13], v[14:15], v[8:9], v[12:13] op_sel:[0,0,1] op_sel_hi:[1,0,0]
	s_delay_alu instid0(VALU_DEP_1)
	v_mov_b32_e32 v19, v13
	ds_load_2addr_b64 v[12:15], v236 offset0:23 offset1:24
	v_pk_add_f32 v[94:95], v[94:95], v[30:31] neg_lo:[0,1] neg_hi:[0,1]
	v_pk_add_f32 v[96:97], v[96:97], v[18:19] neg_lo:[0,1] neg_hi:[0,1]
	s_wait_dscnt 0x0
	v_pk_mul_f32 v[18:19], v[12:13], v[10:11] op_sel:[0,1]
	s_delay_alu instid0(VALU_DEP_1) | instskip(SKIP_1) | instid1(VALU_DEP_1)
	v_pk_fma_f32 v[30:31], v[12:13], v[8:9], v[18:19] op_sel:[0,0,1] op_sel_hi:[1,1,0] neg_lo:[0,0,1] neg_hi:[0,0,1]
	v_pk_fma_f32 v[12:13], v[12:13], v[8:9], v[18:19] op_sel:[0,0,1] op_sel_hi:[1,0,0]
	v_mov_b32_e32 v31, v13
	v_pk_mul_f32 v[12:13], v[14:15], v[10:11] op_sel:[0,1]
	s_delay_alu instid0(VALU_DEP_1) | instskip(SKIP_1) | instid1(VALU_DEP_1)
	v_pk_fma_f32 v[18:19], v[14:15], v[8:9], v[12:13] op_sel:[0,0,1] op_sel_hi:[1,1,0] neg_lo:[0,0,1] neg_hi:[0,0,1]
	v_pk_fma_f32 v[12:13], v[14:15], v[8:9], v[12:13] op_sel:[0,0,1] op_sel_hi:[1,0,0]
	v_mov_b32_e32 v19, v13
	ds_load_2addr_b64 v[12:15], v236 offset0:25 offset1:26
	v_pk_add_f32 v[92:93], v[92:93], v[30:31] neg_lo:[0,1] neg_hi:[0,1]
	v_pk_add_f32 v[114:115], v[114:115], v[18:19] neg_lo:[0,1] neg_hi:[0,1]
	s_wait_dscnt 0x0
	v_dual_mul_f32 v18, v13, v11 :: v_dual_mul_f32 v30, v13, v8
	s_delay_alu instid0(VALU_DEP_1) | instskip(NEXT) | instid1(VALU_DEP_2)
	v_pk_fma_f32 v[18:19], v[12:13], v[24:25], v[18:19] op_sel_hi:[1,1,0] neg_lo:[0,0,1] neg_hi:[0,0,1]
	v_pk_fma_f32 v[12:13], v[12:13], v[24:25], v[30:31] op_sel:[1,0,0] op_sel_hi:[0,1,0]
	s_delay_alu instid0(VALU_DEP_1) | instskip(SKIP_1) | instid1(VALU_DEP_2)
	v_mov_b32_e32 v19, v13
	v_pk_mul_f32 v[12:13], v[14:15], v[10:11] op_sel:[0,1]
	v_pk_add_f32 v[110:111], v[110:111], v[18:19] neg_lo:[0,1] neg_hi:[0,1]
	s_delay_alu instid0(VALU_DEP_2) | instskip(SKIP_1) | instid1(VALU_DEP_1)
	v_pk_fma_f32 v[18:19], v[14:15], v[8:9], v[12:13] op_sel:[0,0,1] op_sel_hi:[1,1,0] neg_lo:[0,0,1] neg_hi:[0,0,1]
	v_pk_fma_f32 v[12:13], v[14:15], v[8:9], v[12:13] op_sel:[0,0,1] op_sel_hi:[1,0,0]
	v_mov_b32_e32 v19, v13
	ds_load_2addr_b64 v[12:15], v236 offset0:27 offset1:28
	v_pk_add_f32 v[112:113], v[112:113], v[18:19] neg_lo:[0,1] neg_hi:[0,1]
	s_wait_dscnt 0x0
	v_pk_mul_f32 v[18:19], v[12:13], v[10:11] op_sel:[0,1]
	s_delay_alu instid0(VALU_DEP_1) | instskip(SKIP_1) | instid1(VALU_DEP_1)
	v_pk_fma_f32 v[30:31], v[12:13], v[8:9], v[18:19] op_sel:[0,0,1] op_sel_hi:[1,1,0] neg_lo:[0,0,1] neg_hi:[0,0,1]
	v_pk_fma_f32 v[12:13], v[12:13], v[8:9], v[18:19] op_sel:[0,0,1] op_sel_hi:[1,0,0]
	v_mov_b32_e32 v31, v13
	v_pk_mul_f32 v[12:13], v[14:15], v[10:11] op_sel:[0,1]
	s_delay_alu instid0(VALU_DEP_2) | instskip(NEXT) | instid1(VALU_DEP_2)
	v_pk_add_f32 v[108:109], v[108:109], v[30:31] neg_lo:[0,1] neg_hi:[0,1]
	v_pk_fma_f32 v[18:19], v[14:15], v[8:9], v[12:13] op_sel:[0,0,1] op_sel_hi:[1,1,0] neg_lo:[0,0,1] neg_hi:[0,0,1]
	v_pk_fma_f32 v[12:13], v[14:15], v[8:9], v[12:13] op_sel:[0,0,1] op_sel_hi:[1,0,0]
	s_delay_alu instid0(VALU_DEP_1) | instskip(SKIP_4) | instid1(VALU_DEP_1)
	v_mov_b32_e32 v19, v13
	ds_load_2addr_b64 v[12:15], v236 offset0:29 offset1:30
	v_pk_add_f32 v[130:131], v[130:131], v[18:19] neg_lo:[0,1] neg_hi:[0,1]
	s_wait_dscnt 0x0
	v_pk_mul_f32 v[18:19], v[12:13], v[10:11] op_sel:[0,1]
	v_pk_fma_f32 v[30:31], v[12:13], v[8:9], v[18:19] op_sel:[0,0,1] op_sel_hi:[1,1,0] neg_lo:[0,0,1] neg_hi:[0,0,1]
	v_pk_fma_f32 v[12:13], v[12:13], v[8:9], v[18:19] op_sel:[0,0,1] op_sel_hi:[1,0,0]
	v_dual_mul_f32 v18, v15, v11 :: v_dual_mov_b32 v12, v15
	s_delay_alu instid0(VALU_DEP_2) | instskip(NEXT) | instid1(VALU_DEP_2)
	v_dual_mov_b32 v31, v13 :: v_dual_mov_b32 v13, v14
	v_pk_fma_f32 v[18:19], v[14:15], v[24:25], v[18:19] op_sel_hi:[1,1,0] neg_lo:[0,0,1] neg_hi:[0,0,1]
	v_mul_f32_e32 v14, v15, v8
	s_delay_alu instid0(VALU_DEP_3) | instskip(NEXT) | instid1(VALU_DEP_2)
	v_pk_add_f32 v[126:127], v[126:127], v[30:31] neg_lo:[0,1] neg_hi:[0,1]
	v_pk_fma_f32 v[12:13], v[12:13], v[24:25], v[14:15] op_sel_hi:[1,1,0]
	s_delay_alu instid0(VALU_DEP_1) | instskip(SKIP_4) | instid1(VALU_DEP_1)
	v_mov_b32_e32 v19, v13
	ds_load_2addr_b64 v[12:15], v236 offset0:31 offset1:32
	v_pk_add_f32 v[128:129], v[128:129], v[18:19] neg_lo:[0,1] neg_hi:[0,1]
	s_wait_dscnt 0x0
	v_pk_mul_f32 v[18:19], v[12:13], v[10:11] op_sel:[0,1]
	v_pk_fma_f32 v[30:31], v[12:13], v[8:9], v[18:19] op_sel:[0,0,1] op_sel_hi:[1,1,0] neg_lo:[0,0,1] neg_hi:[0,0,1]
	v_pk_fma_f32 v[12:13], v[12:13], v[8:9], v[18:19] op_sel:[0,0,1] op_sel_hi:[1,0,0]
	s_delay_alu instid0(VALU_DEP_1) | instskip(SKIP_1) | instid1(VALU_DEP_1)
	v_mov_b32_e32 v31, v13
	v_pk_mul_f32 v[12:13], v[14:15], v[10:11] op_sel:[0,1]
	v_pk_fma_f32 v[18:19], v[14:15], v[8:9], v[12:13] op_sel:[0,0,1] op_sel_hi:[1,1,0] neg_lo:[0,0,1] neg_hi:[0,0,1]
	v_pk_fma_f32 v[12:13], v[14:15], v[8:9], v[12:13] op_sel:[0,0,1] op_sel_hi:[1,0,0]
	s_delay_alu instid0(VALU_DEP_1)
	v_mov_b32_e32 v19, v13
	ds_load_2addr_b64 v[12:15], v236 offset0:33 offset1:34
	v_pk_add_f32 v[124:125], v[124:125], v[30:31] neg_lo:[0,1] neg_hi:[0,1]
	v_pk_add_f32 v[146:147], v[146:147], v[18:19] neg_lo:[0,1] neg_hi:[0,1]
	s_wait_dscnt 0x0
	v_pk_mul_f32 v[18:19], v[12:13], v[10:11] op_sel:[0,1]
	s_delay_alu instid0(VALU_DEP_1) | instskip(SKIP_1) | instid1(VALU_DEP_1)
	v_pk_fma_f32 v[30:31], v[12:13], v[8:9], v[18:19] op_sel:[0,0,1] op_sel_hi:[1,1,0] neg_lo:[0,0,1] neg_hi:[0,0,1]
	v_pk_fma_f32 v[12:13], v[12:13], v[8:9], v[18:19] op_sel:[0,0,1] op_sel_hi:[1,0,0]
	v_mov_b32_e32 v31, v13
	v_pk_mul_f32 v[12:13], v[14:15], v[10:11] op_sel:[0,1]
	s_delay_alu instid0(VALU_DEP_1) | instskip(SKIP_1) | instid1(VALU_DEP_1)
	v_pk_fma_f32 v[18:19], v[14:15], v[8:9], v[12:13] op_sel:[0,0,1] op_sel_hi:[1,1,0] neg_lo:[0,0,1] neg_hi:[0,0,1]
	v_pk_fma_f32 v[12:13], v[14:15], v[8:9], v[12:13] op_sel:[0,0,1] op_sel_hi:[1,0,0]
	v_mov_b32_e32 v19, v13
	ds_load_2addr_b64 v[12:15], v236 offset0:35 offset1:36
	v_pk_add_f32 v[142:143], v[142:143], v[30:31] neg_lo:[0,1] neg_hi:[0,1]
	v_pk_add_f32 v[144:145], v[144:145], v[18:19] neg_lo:[0,1] neg_hi:[0,1]
	s_wait_dscnt 0x0
	v_dual_mul_f32 v18, v13, v11 :: v_dual_mul_f32 v30, v13, v8
	s_delay_alu instid0(VALU_DEP_1) | instskip(NEXT) | instid1(VALU_DEP_2)
	v_pk_fma_f32 v[18:19], v[12:13], v[24:25], v[18:19] op_sel_hi:[1,1,0] neg_lo:[0,0,1] neg_hi:[0,0,1]
	v_pk_fma_f32 v[12:13], v[12:13], v[24:25], v[30:31] op_sel:[1,0,0] op_sel_hi:[0,1,0]
	s_delay_alu instid0(VALU_DEP_1) | instskip(SKIP_1) | instid1(VALU_DEP_2)
	v_mov_b32_e32 v19, v13
	v_pk_mul_f32 v[12:13], v[14:15], v[10:11] op_sel:[0,1]
	v_pk_add_f32 v[140:141], v[140:141], v[18:19] neg_lo:[0,1] neg_hi:[0,1]
	s_delay_alu instid0(VALU_DEP_2) | instskip(SKIP_1) | instid1(VALU_DEP_1)
	v_pk_fma_f32 v[18:19], v[14:15], v[8:9], v[12:13] op_sel:[0,0,1] op_sel_hi:[1,1,0] neg_lo:[0,0,1] neg_hi:[0,0,1]
	v_pk_fma_f32 v[12:13], v[14:15], v[8:9], v[12:13] op_sel:[0,0,1] op_sel_hi:[1,0,0]
	v_mov_b32_e32 v19, v13
	ds_load_2addr_b64 v[12:15], v236 offset0:37 offset1:38
	v_pk_add_f32 v[162:163], v[162:163], v[18:19] neg_lo:[0,1] neg_hi:[0,1]
	s_wait_dscnt 0x0
	v_pk_mul_f32 v[18:19], v[12:13], v[10:11] op_sel:[0,1]
	s_delay_alu instid0(VALU_DEP_1) | instskip(SKIP_1) | instid1(VALU_DEP_1)
	v_pk_fma_f32 v[30:31], v[12:13], v[8:9], v[18:19] op_sel:[0,0,1] op_sel_hi:[1,1,0] neg_lo:[0,0,1] neg_hi:[0,0,1]
	v_pk_fma_f32 v[12:13], v[12:13], v[8:9], v[18:19] op_sel:[0,0,1] op_sel_hi:[1,0,0]
	v_mov_b32_e32 v31, v13
	v_pk_mul_f32 v[12:13], v[14:15], v[10:11] op_sel:[0,1]
	s_delay_alu instid0(VALU_DEP_2) | instskip(NEXT) | instid1(VALU_DEP_2)
	v_pk_add_f32 v[158:159], v[158:159], v[30:31] neg_lo:[0,1] neg_hi:[0,1]
	v_pk_fma_f32 v[18:19], v[14:15], v[8:9], v[12:13] op_sel:[0,0,1] op_sel_hi:[1,1,0] neg_lo:[0,0,1] neg_hi:[0,0,1]
	v_pk_fma_f32 v[12:13], v[14:15], v[8:9], v[12:13] op_sel:[0,0,1] op_sel_hi:[1,0,0]
	s_delay_alu instid0(VALU_DEP_1) | instskip(SKIP_4) | instid1(VALU_DEP_1)
	v_mov_b32_e32 v19, v13
	ds_load_2addr_b64 v[12:15], v236 offset0:39 offset1:40
	v_pk_add_f32 v[160:161], v[160:161], v[18:19] neg_lo:[0,1] neg_hi:[0,1]
	s_wait_dscnt 0x0
	v_pk_mul_f32 v[18:19], v[12:13], v[10:11] op_sel:[0,1]
	v_pk_fma_f32 v[30:31], v[12:13], v[8:9], v[18:19] op_sel:[0,0,1] op_sel_hi:[1,1,0] neg_lo:[0,0,1] neg_hi:[0,0,1]
	v_pk_fma_f32 v[12:13], v[12:13], v[8:9], v[18:19] op_sel:[0,0,1] op_sel_hi:[1,0,0]
	v_dual_mul_f32 v18, v15, v11 :: v_dual_mov_b32 v12, v15
	s_delay_alu instid0(VALU_DEP_2) | instskip(NEXT) | instid1(VALU_DEP_2)
	v_dual_mov_b32 v31, v13 :: v_dual_mov_b32 v13, v14
	v_pk_fma_f32 v[18:19], v[14:15], v[24:25], v[18:19] op_sel_hi:[1,1,0] neg_lo:[0,0,1] neg_hi:[0,0,1]
	v_mul_f32_e32 v14, v15, v8
	s_delay_alu instid0(VALU_DEP_3) | instskip(NEXT) | instid1(VALU_DEP_2)
	v_pk_add_f32 v[156:157], v[156:157], v[30:31] neg_lo:[0,1] neg_hi:[0,1]
	v_pk_fma_f32 v[12:13], v[12:13], v[24:25], v[14:15] op_sel_hi:[1,1,0]
	s_delay_alu instid0(VALU_DEP_1) | instskip(SKIP_4) | instid1(VALU_DEP_1)
	v_mov_b32_e32 v19, v13
	ds_load_2addr_b64 v[12:15], v236 offset0:41 offset1:42
	v_pk_add_f32 v[178:179], v[178:179], v[18:19] neg_lo:[0,1] neg_hi:[0,1]
	s_wait_dscnt 0x0
	v_pk_mul_f32 v[18:19], v[12:13], v[10:11] op_sel:[0,1]
	v_pk_fma_f32 v[30:31], v[12:13], v[8:9], v[18:19] op_sel:[0,0,1] op_sel_hi:[1,1,0] neg_lo:[0,0,1] neg_hi:[0,0,1]
	v_pk_fma_f32 v[12:13], v[12:13], v[8:9], v[18:19] op_sel:[0,0,1] op_sel_hi:[1,0,0]
	s_delay_alu instid0(VALU_DEP_1) | instskip(SKIP_1) | instid1(VALU_DEP_1)
	v_mov_b32_e32 v31, v13
	v_pk_mul_f32 v[12:13], v[14:15], v[10:11] op_sel:[0,1]
	v_pk_fma_f32 v[18:19], v[14:15], v[8:9], v[12:13] op_sel:[0,0,1] op_sel_hi:[1,1,0] neg_lo:[0,0,1] neg_hi:[0,0,1]
	v_pk_fma_f32 v[12:13], v[14:15], v[8:9], v[12:13] op_sel:[0,0,1] op_sel_hi:[1,0,0]
	s_delay_alu instid0(VALU_DEP_1)
	v_mov_b32_e32 v19, v13
	ds_load_2addr_b64 v[12:15], v236 offset0:43 offset1:44
	v_pk_add_f32 v[174:175], v[174:175], v[30:31] neg_lo:[0,1] neg_hi:[0,1]
	v_pk_add_f32 v[176:177], v[176:177], v[18:19] neg_lo:[0,1] neg_hi:[0,1]
	s_wait_dscnt 0x0
	v_pk_mul_f32 v[18:19], v[12:13], v[10:11] op_sel:[0,1]
	s_delay_alu instid0(VALU_DEP_1) | instskip(SKIP_1) | instid1(VALU_DEP_1)
	v_pk_fma_f32 v[30:31], v[12:13], v[8:9], v[18:19] op_sel:[0,0,1] op_sel_hi:[1,1,0] neg_lo:[0,0,1] neg_hi:[0,0,1]
	v_pk_fma_f32 v[12:13], v[12:13], v[8:9], v[18:19] op_sel:[0,0,1] op_sel_hi:[1,0,0]
	v_mov_b32_e32 v31, v13
	v_pk_mul_f32 v[12:13], v[14:15], v[10:11] op_sel:[0,1]
	s_delay_alu instid0(VALU_DEP_1) | instskip(SKIP_1) | instid1(VALU_DEP_1)
	v_pk_fma_f32 v[18:19], v[14:15], v[8:9], v[12:13] op_sel:[0,0,1] op_sel_hi:[1,1,0] neg_lo:[0,0,1] neg_hi:[0,0,1]
	v_pk_fma_f32 v[12:13], v[14:15], v[8:9], v[12:13] op_sel:[0,0,1] op_sel_hi:[1,0,0]
	v_mov_b32_e32 v19, v13
	ds_load_2addr_b64 v[12:15], v236 offset0:45 offset1:46
	v_pk_add_f32 v[172:173], v[172:173], v[30:31] neg_lo:[0,1] neg_hi:[0,1]
	v_pk_add_f32 v[194:195], v[194:195], v[18:19] neg_lo:[0,1] neg_hi:[0,1]
	s_wait_dscnt 0x0
	v_dual_mul_f32 v18, v13, v11 :: v_dual_mul_f32 v30, v13, v8
	s_delay_alu instid0(VALU_DEP_1) | instskip(NEXT) | instid1(VALU_DEP_2)
	v_pk_fma_f32 v[18:19], v[12:13], v[24:25], v[18:19] op_sel_hi:[1,1,0] neg_lo:[0,0,1] neg_hi:[0,0,1]
	v_pk_fma_f32 v[12:13], v[12:13], v[24:25], v[30:31] op_sel:[1,0,0] op_sel_hi:[0,1,0]
	s_delay_alu instid0(VALU_DEP_1) | instskip(SKIP_1) | instid1(VALU_DEP_2)
	v_mov_b32_e32 v19, v13
	v_pk_mul_f32 v[12:13], v[14:15], v[10:11] op_sel:[0,1]
	v_pk_add_f32 v[190:191], v[190:191], v[18:19] neg_lo:[0,1] neg_hi:[0,1]
	s_delay_alu instid0(VALU_DEP_2) | instskip(SKIP_1) | instid1(VALU_DEP_1)
	v_pk_fma_f32 v[18:19], v[14:15], v[8:9], v[12:13] op_sel:[0,0,1] op_sel_hi:[1,1,0] neg_lo:[0,0,1] neg_hi:[0,0,1]
	v_pk_fma_f32 v[12:13], v[14:15], v[8:9], v[12:13] op_sel:[0,0,1] op_sel_hi:[1,0,0]
	v_mov_b32_e32 v19, v13
	ds_load_2addr_b64 v[12:15], v236 offset0:47 offset1:48
	v_pk_add_f32 v[192:193], v[192:193], v[18:19] neg_lo:[0,1] neg_hi:[0,1]
	s_wait_dscnt 0x0
	v_pk_mul_f32 v[18:19], v[12:13], v[10:11] op_sel:[0,1]
	s_delay_alu instid0(VALU_DEP_1) | instskip(SKIP_1) | instid1(VALU_DEP_1)
	v_pk_fma_f32 v[30:31], v[12:13], v[8:9], v[18:19] op_sel:[0,0,1] op_sel_hi:[1,1,0] neg_lo:[0,0,1] neg_hi:[0,0,1]
	v_pk_fma_f32 v[12:13], v[12:13], v[8:9], v[18:19] op_sel:[0,0,1] op_sel_hi:[1,0,0]
	v_mov_b32_e32 v31, v13
	v_pk_mul_f32 v[12:13], v[14:15], v[10:11] op_sel:[0,1]
	s_delay_alu instid0(VALU_DEP_2) | instskip(NEXT) | instid1(VALU_DEP_2)
	v_pk_add_f32 v[188:189], v[188:189], v[30:31] neg_lo:[0,1] neg_hi:[0,1]
	v_pk_fma_f32 v[18:19], v[14:15], v[8:9], v[12:13] op_sel:[0,0,1] op_sel_hi:[1,1,0] neg_lo:[0,0,1] neg_hi:[0,0,1]
	v_pk_fma_f32 v[12:13], v[14:15], v[8:9], v[12:13] op_sel:[0,0,1] op_sel_hi:[1,0,0]
	s_delay_alu instid0(VALU_DEP_1) | instskip(SKIP_4) | instid1(VALU_DEP_1)
	v_mov_b32_e32 v19, v13
	ds_load_2addr_b64 v[12:15], v236 offset0:49 offset1:50
	v_pk_add_f32 v[210:211], v[210:211], v[18:19] neg_lo:[0,1] neg_hi:[0,1]
	s_wait_dscnt 0x0
	v_pk_mul_f32 v[18:19], v[12:13], v[10:11] op_sel:[0,1]
	v_pk_fma_f32 v[30:31], v[12:13], v[8:9], v[18:19] op_sel:[0,0,1] op_sel_hi:[1,1,0] neg_lo:[0,0,1] neg_hi:[0,0,1]
	v_pk_fma_f32 v[12:13], v[12:13], v[8:9], v[18:19] op_sel:[0,0,1] op_sel_hi:[1,0,0]
	v_dual_mul_f32 v18, v15, v11 :: v_dual_mov_b32 v12, v15
	s_delay_alu instid0(VALU_DEP_2) | instskip(NEXT) | instid1(VALU_DEP_2)
	v_dual_mov_b32 v31, v13 :: v_dual_mov_b32 v13, v14
	v_pk_fma_f32 v[18:19], v[14:15], v[24:25], v[18:19] op_sel_hi:[1,1,0] neg_lo:[0,0,1] neg_hi:[0,0,1]
	v_mul_f32_e32 v14, v15, v8
	s_delay_alu instid0(VALU_DEP_3) | instskip(NEXT) | instid1(VALU_DEP_2)
	v_pk_add_f32 v[206:207], v[206:207], v[30:31] neg_lo:[0,1] neg_hi:[0,1]
	v_pk_fma_f32 v[12:13], v[12:13], v[24:25], v[14:15] op_sel_hi:[1,1,0]
	s_delay_alu instid0(VALU_DEP_1) | instskip(SKIP_4) | instid1(VALU_DEP_1)
	v_mov_b32_e32 v19, v13
	ds_load_2addr_b64 v[12:15], v236 offset0:51 offset1:52
	v_pk_add_f32 v[208:209], v[208:209], v[18:19] neg_lo:[0,1] neg_hi:[0,1]
	s_wait_dscnt 0x0
	v_pk_mul_f32 v[18:19], v[12:13], v[10:11] op_sel:[0,1]
	v_pk_fma_f32 v[30:31], v[12:13], v[8:9], v[18:19] op_sel:[0,0,1] op_sel_hi:[1,1,0] neg_lo:[0,0,1] neg_hi:[0,0,1]
	v_pk_fma_f32 v[12:13], v[12:13], v[8:9], v[18:19] op_sel:[0,0,1] op_sel_hi:[1,0,0]
	s_delay_alu instid0(VALU_DEP_1) | instskip(SKIP_1) | instid1(VALU_DEP_1)
	v_mov_b32_e32 v31, v13
	v_pk_mul_f32 v[12:13], v[14:15], v[10:11] op_sel:[0,1]
	v_pk_fma_f32 v[18:19], v[14:15], v[8:9], v[12:13] op_sel:[0,0,1] op_sel_hi:[1,1,0] neg_lo:[0,0,1] neg_hi:[0,0,1]
	v_pk_fma_f32 v[12:13], v[14:15], v[8:9], v[12:13] op_sel:[0,0,1] op_sel_hi:[1,0,0]
	s_delay_alu instid0(VALU_DEP_1)
	v_mov_b32_e32 v19, v13
	ds_load_2addr_b64 v[12:15], v236 offset0:53 offset1:54
	v_pk_add_f32 v[204:205], v[204:205], v[30:31] neg_lo:[0,1] neg_hi:[0,1]
	v_pk_add_f32 v[228:229], v[228:229], v[18:19] neg_lo:[0,1] neg_hi:[0,1]
	s_wait_dscnt 0x0
	v_pk_mul_f32 v[18:19], v[12:13], v[10:11] op_sel:[0,1]
	s_delay_alu instid0(VALU_DEP_1) | instskip(SKIP_1) | instid1(VALU_DEP_1)
	v_pk_fma_f32 v[30:31], v[12:13], v[8:9], v[18:19] op_sel:[0,0,1] op_sel_hi:[1,1,0] neg_lo:[0,0,1] neg_hi:[0,0,1]
	v_pk_fma_f32 v[12:13], v[12:13], v[8:9], v[18:19] op_sel:[0,0,1] op_sel_hi:[1,0,0]
	v_mov_b32_e32 v31, v13
	v_pk_mul_f32 v[12:13], v[14:15], v[10:11] op_sel:[0,1]
	s_delay_alu instid0(VALU_DEP_1) | instskip(SKIP_1) | instid1(VALU_DEP_1)
	v_pk_fma_f32 v[18:19], v[14:15], v[8:9], v[12:13] op_sel:[0,0,1] op_sel_hi:[1,1,0] neg_lo:[0,0,1] neg_hi:[0,0,1]
	v_pk_fma_f32 v[12:13], v[14:15], v[8:9], v[12:13] op_sel:[0,0,1] op_sel_hi:[1,0,0]
	v_mov_b32_e32 v19, v13
	ds_load_2addr_b64 v[12:15], v236 offset0:55 offset1:56
	v_pk_add_f32 v[224:225], v[224:225], v[30:31] neg_lo:[0,1] neg_hi:[0,1]
	v_pk_add_f32 v[226:227], v[226:227], v[18:19] neg_lo:[0,1] neg_hi:[0,1]
	s_wait_dscnt 0x0
	v_dual_mul_f32 v18, v13, v11 :: v_dual_mul_f32 v30, v13, v8
	s_delay_alu instid0(VALU_DEP_1) | instskip(NEXT) | instid1(VALU_DEP_2)
	v_pk_fma_f32 v[18:19], v[12:13], v[24:25], v[18:19] op_sel_hi:[1,1,0] neg_lo:[0,0,1] neg_hi:[0,0,1]
	v_pk_fma_f32 v[12:13], v[12:13], v[24:25], v[30:31] op_sel:[1,0,0] op_sel_hi:[0,1,0]
	s_delay_alu instid0(VALU_DEP_1) | instskip(SKIP_1) | instid1(VALU_DEP_2)
	v_mov_b32_e32 v19, v13
	v_pk_mul_f32 v[12:13], v[14:15], v[10:11] op_sel:[0,1]
	v_pk_add_f32 v[222:223], v[222:223], v[18:19] neg_lo:[0,1] neg_hi:[0,1]
	s_delay_alu instid0(VALU_DEP_2) | instskip(SKIP_1) | instid1(VALU_DEP_1)
	v_pk_fma_f32 v[18:19], v[14:15], v[8:9], v[12:13] op_sel:[0,0,1] op_sel_hi:[1,1,0] neg_lo:[0,0,1] neg_hi:[0,0,1]
	v_pk_fma_f32 v[12:13], v[14:15], v[8:9], v[12:13] op_sel:[0,0,1] op_sel_hi:[1,0,0]
	v_mov_b32_e32 v19, v13
	ds_load_2addr_b64 v[12:15], v236 offset0:57 offset1:58
	v_pk_add_f32 v[244:245], v[244:245], v[18:19] neg_lo:[0,1] neg_hi:[0,1]
	s_wait_dscnt 0x0
	v_pk_mul_f32 v[18:19], v[12:13], v[10:11] op_sel:[0,1]
	s_delay_alu instid0(VALU_DEP_1) | instskip(SKIP_1) | instid1(VALU_DEP_1)
	v_pk_fma_f32 v[30:31], v[12:13], v[8:9], v[18:19] op_sel:[0,0,1] op_sel_hi:[1,1,0] neg_lo:[0,0,1] neg_hi:[0,0,1]
	v_pk_fma_f32 v[12:13], v[12:13], v[8:9], v[18:19] op_sel:[0,0,1] op_sel_hi:[1,0,0]
	v_mov_b32_e32 v31, v13
	v_pk_mul_f32 v[12:13], v[14:15], v[10:11] op_sel:[0,1]
	s_delay_alu instid0(VALU_DEP_2) | instskip(NEXT) | instid1(VALU_DEP_2)
	v_pk_add_f32 v[240:241], v[240:241], v[30:31] neg_lo:[0,1] neg_hi:[0,1]
	v_pk_fma_f32 v[18:19], v[14:15], v[8:9], v[12:13] op_sel:[0,0,1] op_sel_hi:[1,1,0] neg_lo:[0,0,1] neg_hi:[0,0,1]
	v_pk_fma_f32 v[12:13], v[14:15], v[8:9], v[12:13] op_sel:[0,0,1] op_sel_hi:[1,0,0]
	s_delay_alu instid0(VALU_DEP_1) | instskip(SKIP_4) | instid1(VALU_DEP_1)
	v_mov_b32_e32 v19, v13
	ds_load_2addr_b64 v[12:15], v236 offset0:59 offset1:60
	v_pk_add_f32 v[242:243], v[242:243], v[18:19] neg_lo:[0,1] neg_hi:[0,1]
	s_wait_dscnt 0x0
	v_pk_mul_f32 v[18:19], v[12:13], v[10:11] op_sel:[0,1]
	v_pk_fma_f32 v[30:31], v[12:13], v[8:9], v[18:19] op_sel:[0,0,1] op_sel_hi:[1,1,0] neg_lo:[0,0,1] neg_hi:[0,0,1]
	v_pk_fma_f32 v[12:13], v[12:13], v[8:9], v[18:19] op_sel:[0,0,1] op_sel_hi:[1,0,0]
	v_dual_mul_f32 v18, v15, v11 :: v_dual_mov_b32 v12, v15
	s_delay_alu instid0(VALU_DEP_2) | instskip(NEXT) | instid1(VALU_DEP_2)
	v_dual_mov_b32 v31, v13 :: v_dual_mov_b32 v13, v14
	v_pk_fma_f32 v[18:19], v[14:15], v[24:25], v[18:19] op_sel_hi:[1,1,0] neg_lo:[0,0,1] neg_hi:[0,0,1]
	v_mul_f32_e32 v14, v15, v8
	s_delay_alu instid0(VALU_DEP_3) | instskip(NEXT) | instid1(VALU_DEP_2)
	v_pk_add_f32 v[238:239], v[238:239], v[30:31] neg_lo:[0,1] neg_hi:[0,1]
	v_pk_fma_f32 v[12:13], v[12:13], v[24:25], v[14:15] op_sel_hi:[1,1,0]
	s_delay_alu instid0(VALU_DEP_1) | instskip(SKIP_4) | instid1(VALU_DEP_1)
	v_mov_b32_e32 v19, v13
	ds_load_b64 v[12:13], v236 offset:488
	v_pk_add_f32 v[246:247], v[246:247], v[18:19] neg_lo:[0,1] neg_hi:[0,1]
	s_wait_dscnt 0x0
	v_pk_mul_f32 v[10:11], v[12:13], v[10:11] op_sel:[0,1]
	v_pk_fma_f32 v[14:15], v[12:13], v[8:9], v[10:11] op_sel:[0,0,1] op_sel_hi:[1,1,0] neg_lo:[0,0,1] neg_hi:[0,0,1]
	v_pk_fma_f32 v[8:9], v[12:13], v[8:9], v[10:11] op_sel:[0,0,1] op_sel_hi:[1,0,0]
	s_delay_alu instid0(VALU_DEP_1) | instskip(NEXT) | instid1(VALU_DEP_1)
	v_mov_b32_e32 v15, v9
	v_pk_add_f32 v[248:249], v[248:249], v[14:15] neg_lo:[0,1] neg_hi:[0,1]
.LBB123_64:
	s_or_b32 exec_lo, exec_lo, s1
	s_delay_alu instid0(SALU_CYCLE_1)
	s_mov_b32 s2, exec_lo
	s_wait_dscnt 0x0
	s_barrier_signal -1
	s_barrier_wait -1
	v_cmpx_eq_u32_e32 7, v234
	s_cbranch_execz .LBB123_71
; %bb.65:
	v_dual_mov_b32 v8, v42 :: v_dual_mov_b32 v9, v43
	v_dual_mov_b32 v10, v38 :: v_dual_mov_b32 v11, v39
	ds_store_b64 v235, v[20:21]
	ds_store_2addr_b64 v236, v[8:9], v[10:11] offset0:8 offset1:9
	v_dual_mov_b32 v8, v40 :: v_dual_mov_b32 v9, v41
	v_dual_mov_b32 v10, v36 :: v_dual_mov_b32 v11, v37
	ds_store_2addr_b64 v236, v[8:9], v[10:11] offset0:10 offset1:11
	v_dual_mov_b32 v8, v66 :: v_dual_mov_b32 v9, v67
	v_dual_mov_b32 v10, v62 :: v_dual_mov_b32 v11, v63
	;; [unrolled: 3-line block ×25, first 2 shown]
	ds_store_2addr_b64 v236, v[8:9], v[10:11] offset0:58 offset1:59
	v_dual_mov_b32 v8, v246 :: v_dual_mov_b32 v9, v247
	ds_store_2addr_b64 v236, v[8:9], v[248:249] offset0:60 offset1:61
	ds_load_b64 v[8:9], v235
	s_wait_dscnt 0x0
	v_cmp_neq_f32_e32 vcc_lo, 0, v8
	v_cmp_neq_f32_e64 s1, 0, v9
	s_or_b32 s1, vcc_lo, s1
	s_delay_alu instid0(SALU_CYCLE_1)
	s_and_b32 exec_lo, exec_lo, s1
	s_cbranch_execz .LBB123_71
; %bb.66:
	v_cmp_ngt_f32_e64 s1, |v8|, |v9|
                                        ; implicit-def: $vgpr10_vgpr11
	s_and_saveexec_b32 s4, s1
	s_delay_alu instid0(SALU_CYCLE_1)
	s_xor_b32 s1, exec_lo, s4
	s_cbranch_execz .LBB123_68
; %bb.67:
	v_div_scale_f32 v0, null, v9, v9, v8
	v_div_scale_f32 v11, vcc_lo, v8, v9, v8
	s_delay_alu instid0(VALU_DEP_2) | instskip(SKIP_1) | instid1(TRANS32_DEP_1)
	v_rcp_f32_e32 v1, v0
	v_nop
	v_fma_f32 v10, -v0, v1, 1.0
	s_delay_alu instid0(VALU_DEP_1) | instskip(NEXT) | instid1(VALU_DEP_1)
	v_fmac_f32_e32 v1, v10, v1
	v_mul_f32_e32 v10, v11, v1
	s_delay_alu instid0(VALU_DEP_1) | instskip(NEXT) | instid1(VALU_DEP_1)
	v_fma_f32 v12, -v0, v10, v11
	v_fmac_f32_e32 v10, v12, v1
	s_delay_alu instid0(VALU_DEP_1) | instskip(NEXT) | instid1(VALU_DEP_1)
	v_fma_f32 v0, -v0, v10, v11
	v_div_fmas_f32 v0, v0, v1, v10
	s_delay_alu instid0(VALU_DEP_1) | instskip(NEXT) | instid1(VALU_DEP_1)
	v_div_fixup_f32 v0, v0, v9, v8
	v_fmac_f32_e32 v9, v8, v0
	s_delay_alu instid0(VALU_DEP_1) | instskip(SKIP_1) | instid1(VALU_DEP_2)
	v_div_scale_f32 v1, null, v9, v9, 1.0
	v_div_scale_f32 v11, vcc_lo, 1.0, v9, 1.0
	v_rcp_f32_e32 v8, v1
	v_nop
	s_delay_alu instid0(TRANS32_DEP_1) | instskip(NEXT) | instid1(VALU_DEP_1)
	v_fma_f32 v10, -v1, v8, 1.0
	v_fmac_f32_e32 v8, v10, v8
	s_delay_alu instid0(VALU_DEP_1) | instskip(NEXT) | instid1(VALU_DEP_1)
	v_mul_f32_e32 v10, v11, v8
	v_fma_f32 v12, -v1, v10, v11
	s_delay_alu instid0(VALU_DEP_1) | instskip(NEXT) | instid1(VALU_DEP_1)
	v_fmac_f32_e32 v10, v12, v8
	v_fma_f32 v1, -v1, v10, v11
	s_delay_alu instid0(VALU_DEP_1) | instskip(NEXT) | instid1(VALU_DEP_1)
	v_div_fmas_f32 v1, v1, v8, v10
	v_div_fixup_f32 v1, v1, v9, 1.0
                                        ; implicit-def: $vgpr8_vgpr9
	s_delay_alu instid0(VALU_DEP_1)
	v_mul_f32_e32 v10, v0, v1
	v_xor_b32_e32 v11, 0x80000000, v1
.LBB123_68:
	s_and_not1_saveexec_b32 s1, s1
	s_cbranch_execz .LBB123_70
; %bb.69:
	v_div_scale_f32 v0, null, v8, v8, v9
	v_div_scale_f32 v11, vcc_lo, v9, v8, v9
	s_delay_alu instid0(VALU_DEP_2) | instskip(SKIP_1) | instid1(TRANS32_DEP_1)
	v_rcp_f32_e32 v1, v0
	v_nop
	v_fma_f32 v10, -v0, v1, 1.0
	s_delay_alu instid0(VALU_DEP_1) | instskip(NEXT) | instid1(VALU_DEP_1)
	v_fmac_f32_e32 v1, v10, v1
	v_mul_f32_e32 v10, v11, v1
	s_delay_alu instid0(VALU_DEP_1) | instskip(NEXT) | instid1(VALU_DEP_1)
	v_fma_f32 v12, -v0, v10, v11
	v_fmac_f32_e32 v10, v12, v1
	s_delay_alu instid0(VALU_DEP_1) | instskip(NEXT) | instid1(VALU_DEP_1)
	v_fma_f32 v0, -v0, v10, v11
	v_div_fmas_f32 v0, v0, v1, v10
	s_delay_alu instid0(VALU_DEP_1) | instskip(NEXT) | instid1(VALU_DEP_1)
	v_div_fixup_f32 v0, v0, v8, v9
	v_fmac_f32_e32 v8, v9, v0
	s_delay_alu instid0(VALU_DEP_1) | instskip(NEXT) | instid1(VALU_DEP_1)
	v_div_scale_f32 v1, null, v8, v8, 1.0
	v_rcp_f32_e32 v9, v1
	v_nop
	s_delay_alu instid0(TRANS32_DEP_1) | instskip(NEXT) | instid1(VALU_DEP_1)
	v_fma_f32 v10, -v1, v9, 1.0
	v_fmac_f32_e32 v9, v10, v9
	v_div_scale_f32 v10, vcc_lo, 1.0, v8, 1.0
	s_delay_alu instid0(VALU_DEP_1) | instskip(NEXT) | instid1(VALU_DEP_1)
	v_mul_f32_e32 v11, v10, v9
	v_fma_f32 v12, -v1, v11, v10
	s_delay_alu instid0(VALU_DEP_1) | instskip(NEXT) | instid1(VALU_DEP_1)
	v_fmac_f32_e32 v11, v12, v9
	v_fma_f32 v1, -v1, v11, v10
	s_delay_alu instid0(VALU_DEP_1) | instskip(NEXT) | instid1(VALU_DEP_1)
	v_div_fmas_f32 v1, v1, v9, v11
	v_div_fixup_f32 v10, v1, v8, 1.0
	s_delay_alu instid0(VALU_DEP_1)
	v_mul_f32_e64 v11, v0, -v10
.LBB123_70:
	s_or_b32 exec_lo, exec_lo, s1
	ds_store_b64 v235, v[10:11]
.LBB123_71:
	s_or_b32 exec_lo, exec_lo, s2
	s_wait_dscnt 0x0
	s_barrier_signal -1
	s_barrier_wait -1
	ds_load_b64 v[8:9], v235
	s_mov_b32 s1, exec_lo
	v_cmpx_lt_u32_e32 7, v234
	s_cbranch_execz .LBB123_73
; %bb.72:
	ds_load_2addr_b64 v[30:33], v236 offset0:8 offset1:9
	s_wait_dscnt 0x1
	v_pk_mul_f32 v[12:13], v[8:9], v[20:21] op_sel:[1,1] op_sel_hi:[0,1]
	s_delay_alu instid0(VALU_DEP_1) | instskip(SKIP_1) | instid1(VALU_DEP_1)
	v_pk_fma_f32 v[10:11], v[8:9], v[20:21], v[12:13] op_sel_hi:[1,0,1] neg_lo:[0,0,1] neg_hi:[0,0,1]
	v_pk_fma_f32 v[12:13], v[8:9], v[20:21], v[12:13] op_sel_hi:[1,0,1]
	v_dual_mov_b32 v20, v10 :: v_dual_mov_b32 v21, v13
	s_wait_dscnt 0x0
	s_delay_alu instid0(VALU_DEP_2) | instskip(NEXT) | instid1(VALU_DEP_1)
	v_pk_mul_f32 v[14:15], v[30:31], v[12:13] op_sel:[0,1]
	v_pk_fma_f32 v[18:19], v[30:31], v[10:11], v[14:15] op_sel:[0,0,1] op_sel_hi:[1,1,0] neg_lo:[0,0,1] neg_hi:[0,0,1]
	v_pk_fma_f32 v[14:15], v[30:31], v[10:11], v[14:15] op_sel:[0,0,1] op_sel_hi:[1,0,0]
	s_delay_alu instid0(VALU_DEP_1) | instskip(SKIP_1) | instid1(VALU_DEP_2)
	v_mov_b32_e32 v19, v15
	v_pk_mul_f32 v[14:15], v[32:33], v[12:13] op_sel:[0,1]
	v_pk_add_f32 v[42:43], v[42:43], v[18:19] neg_lo:[0,1] neg_hi:[0,1]
	s_delay_alu instid0(VALU_DEP_2) | instskip(SKIP_3) | instid1(VALU_DEP_1)
	v_pk_fma_f32 v[18:19], v[32:33], v[10:11], v[14:15] op_sel:[0,0,1] op_sel_hi:[1,1,0] neg_lo:[0,0,1] neg_hi:[0,0,1]
	v_pk_fma_f32 v[14:15], v[32:33], v[10:11], v[14:15] op_sel:[0,0,1] op_sel_hi:[1,0,0]
	ds_load_2addr_b64 v[30:33], v236 offset0:10 offset1:11
	v_mov_b32_e32 v19, v15
	v_pk_add_f32 v[38:39], v[38:39], v[18:19] neg_lo:[0,1] neg_hi:[0,1]
	s_wait_dscnt 0x0
	v_pk_mul_f32 v[14:15], v[30:31], v[12:13] op_sel:[0,1]
	s_delay_alu instid0(VALU_DEP_1) | instskip(SKIP_2) | instid1(VALU_DEP_2)
	v_pk_fma_f32 v[18:19], v[30:31], v[10:11], v[14:15] op_sel:[0,0,1] op_sel_hi:[1,1,0] neg_lo:[0,0,1] neg_hi:[0,0,1]
	v_pk_fma_f32 v[14:15], v[30:31], v[10:11], v[14:15] op_sel:[0,0,1] op_sel_hi:[1,0,0]
	v_dual_mov_b32 v14, v33 :: v_dual_mul_f32 v30, v33, v10
	v_dual_mov_b32 v19, v15 :: v_dual_mov_b32 v15, v32
	s_delay_alu instid0(VALU_DEP_1) | instskip(SKIP_1) | instid1(VALU_DEP_3)
	v_pk_add_f32 v[40:41], v[40:41], v[18:19] neg_lo:[0,1] neg_hi:[0,1]
	v_mul_f32_e32 v18, v33, v13
	v_pk_fma_f32 v[14:15], v[14:15], v[20:21], v[30:31] op_sel_hi:[1,1,0]
	s_delay_alu instid0(VALU_DEP_2) | instskip(SKIP_2) | instid1(VALU_DEP_1)
	v_pk_fma_f32 v[18:19], v[32:33], v[20:21], v[18:19] op_sel_hi:[1,1,0] neg_lo:[0,0,1] neg_hi:[0,0,1]
	ds_load_2addr_b64 v[30:33], v236 offset0:12 offset1:13
	v_mov_b32_e32 v19, v15
	v_pk_add_f32 v[36:37], v[36:37], v[18:19] neg_lo:[0,1] neg_hi:[0,1]
	s_wait_dscnt 0x0
	v_pk_mul_f32 v[14:15], v[30:31], v[12:13] op_sel:[0,1]
	s_delay_alu instid0(VALU_DEP_1) | instskip(SKIP_1) | instid1(VALU_DEP_1)
	v_pk_fma_f32 v[18:19], v[30:31], v[10:11], v[14:15] op_sel:[0,0,1] op_sel_hi:[1,1,0] neg_lo:[0,0,1] neg_hi:[0,0,1]
	v_pk_fma_f32 v[14:15], v[30:31], v[10:11], v[14:15] op_sel:[0,0,1] op_sel_hi:[1,0,0]
	v_mov_b32_e32 v19, v15
	v_pk_mul_f32 v[14:15], v[32:33], v[12:13] op_sel:[0,1]
	s_delay_alu instid0(VALU_DEP_2) | instskip(NEXT) | instid1(VALU_DEP_2)
	v_pk_add_f32 v[66:67], v[66:67], v[18:19] neg_lo:[0,1] neg_hi:[0,1]
	v_pk_fma_f32 v[18:19], v[32:33], v[10:11], v[14:15] op_sel:[0,0,1] op_sel_hi:[1,1,0] neg_lo:[0,0,1] neg_hi:[0,0,1]
	v_pk_fma_f32 v[14:15], v[32:33], v[10:11], v[14:15] op_sel:[0,0,1] op_sel_hi:[1,0,0]
	ds_load_2addr_b64 v[30:33], v236 offset0:14 offset1:15
	v_mov_b32_e32 v19, v15
	s_delay_alu instid0(VALU_DEP_1) | instskip(SKIP_2) | instid1(VALU_DEP_1)
	v_pk_add_f32 v[62:63], v[62:63], v[18:19] neg_lo:[0,1] neg_hi:[0,1]
	s_wait_dscnt 0x0
	v_pk_mul_f32 v[14:15], v[30:31], v[12:13] op_sel:[0,1]
	v_pk_fma_f32 v[18:19], v[30:31], v[10:11], v[14:15] op_sel:[0,0,1] op_sel_hi:[1,1,0] neg_lo:[0,0,1] neg_hi:[0,0,1]
	v_pk_fma_f32 v[14:15], v[30:31], v[10:11], v[14:15] op_sel:[0,0,1] op_sel_hi:[1,0,0]
	s_delay_alu instid0(VALU_DEP_1) | instskip(SKIP_1) | instid1(VALU_DEP_2)
	v_mov_b32_e32 v19, v15
	v_pk_mul_f32 v[14:15], v[32:33], v[12:13] op_sel:[0,1]
	v_pk_add_f32 v[64:65], v[64:65], v[18:19] neg_lo:[0,1] neg_hi:[0,1]
	s_delay_alu instid0(VALU_DEP_2) | instskip(SKIP_3) | instid1(VALU_DEP_1)
	v_pk_fma_f32 v[18:19], v[32:33], v[10:11], v[14:15] op_sel:[0,0,1] op_sel_hi:[1,1,0] neg_lo:[0,0,1] neg_hi:[0,0,1]
	v_pk_fma_f32 v[14:15], v[32:33], v[10:11], v[14:15] op_sel:[0,0,1] op_sel_hi:[1,0,0]
	ds_load_2addr_b64 v[30:33], v236 offset0:16 offset1:17
	v_mov_b32_e32 v19, v15
	v_pk_add_f32 v[60:61], v[60:61], v[18:19] neg_lo:[0,1] neg_hi:[0,1]
	s_wait_dscnt 0x0
	v_dual_mul_f32 v14, v31, v13 :: v_dual_mul_f32 v18, v31, v10
	s_delay_alu instid0(VALU_DEP_1) | instskip(NEXT) | instid1(VALU_DEP_2)
	v_pk_fma_f32 v[14:15], v[30:31], v[20:21], v[14:15] op_sel_hi:[1,1,0] neg_lo:[0,0,1] neg_hi:[0,0,1]
	v_pk_fma_f32 v[18:19], v[30:31], v[20:21], v[18:19] op_sel:[1,0,0] op_sel_hi:[0,1,0]
	s_delay_alu instid0(VALU_DEP_1) | instskip(NEXT) | instid1(VALU_DEP_1)
	v_mov_b32_e32 v15, v19
	v_pk_add_f32 v[82:83], v[82:83], v[14:15] neg_lo:[0,1] neg_hi:[0,1]
	v_pk_mul_f32 v[14:15], v[32:33], v[12:13] op_sel:[0,1]
	s_delay_alu instid0(VALU_DEP_1) | instskip(SKIP_3) | instid1(VALU_DEP_1)
	v_pk_fma_f32 v[18:19], v[32:33], v[10:11], v[14:15] op_sel:[0,0,1] op_sel_hi:[1,1,0] neg_lo:[0,0,1] neg_hi:[0,0,1]
	v_pk_fma_f32 v[14:15], v[32:33], v[10:11], v[14:15] op_sel:[0,0,1] op_sel_hi:[1,0,0]
	ds_load_2addr_b64 v[30:33], v236 offset0:18 offset1:19
	v_mov_b32_e32 v19, v15
	v_pk_add_f32 v[78:79], v[78:79], v[18:19] neg_lo:[0,1] neg_hi:[0,1]
	s_wait_dscnt 0x0
	v_pk_mul_f32 v[14:15], v[30:31], v[12:13] op_sel:[0,1]
	s_delay_alu instid0(VALU_DEP_1) | instskip(SKIP_1) | instid1(VALU_DEP_1)
	v_pk_fma_f32 v[18:19], v[30:31], v[10:11], v[14:15] op_sel:[0,0,1] op_sel_hi:[1,1,0] neg_lo:[0,0,1] neg_hi:[0,0,1]
	v_pk_fma_f32 v[14:15], v[30:31], v[10:11], v[14:15] op_sel:[0,0,1] op_sel_hi:[1,0,0]
	v_mov_b32_e32 v19, v15
	v_pk_mul_f32 v[14:15], v[32:33], v[12:13] op_sel:[0,1]
	s_delay_alu instid0(VALU_DEP_2) | instskip(NEXT) | instid1(VALU_DEP_2)
	v_pk_add_f32 v[80:81], v[80:81], v[18:19] neg_lo:[0,1] neg_hi:[0,1]
	v_pk_fma_f32 v[18:19], v[32:33], v[10:11], v[14:15] op_sel:[0,0,1] op_sel_hi:[1,1,0] neg_lo:[0,0,1] neg_hi:[0,0,1]
	v_pk_fma_f32 v[14:15], v[32:33], v[10:11], v[14:15] op_sel:[0,0,1] op_sel_hi:[1,0,0]
	ds_load_2addr_b64 v[30:33], v236 offset0:20 offset1:21
	v_mov_b32_e32 v19, v15
	s_delay_alu instid0(VALU_DEP_1) | instskip(SKIP_2) | instid1(VALU_DEP_1)
	v_pk_add_f32 v[76:77], v[76:77], v[18:19] neg_lo:[0,1] neg_hi:[0,1]
	s_wait_dscnt 0x0
	v_pk_mul_f32 v[14:15], v[30:31], v[12:13] op_sel:[0,1]
	v_pk_fma_f32 v[18:19], v[30:31], v[10:11], v[14:15] op_sel:[0,0,1] op_sel_hi:[1,1,0] neg_lo:[0,0,1] neg_hi:[0,0,1]
	v_pk_fma_f32 v[14:15], v[30:31], v[10:11], v[14:15] op_sel:[0,0,1] op_sel_hi:[1,0,0]
	v_dual_mov_b32 v14, v33 :: v_dual_mul_f32 v30, v33, v10
	s_delay_alu instid0(VALU_DEP_2) | instskip(NEXT) | instid1(VALU_DEP_1)
	v_dual_mov_b32 v19, v15 :: v_dual_mov_b32 v15, v32
	v_pk_add_f32 v[98:99], v[98:99], v[18:19] neg_lo:[0,1] neg_hi:[0,1]
	v_mul_f32_e32 v18, v33, v13
	s_delay_alu instid0(VALU_DEP_3) | instskip(NEXT) | instid1(VALU_DEP_2)
	v_pk_fma_f32 v[14:15], v[14:15], v[20:21], v[30:31] op_sel_hi:[1,1,0]
	v_pk_fma_f32 v[18:19], v[32:33], v[20:21], v[18:19] op_sel_hi:[1,1,0] neg_lo:[0,0,1] neg_hi:[0,0,1]
	ds_load_2addr_b64 v[30:33], v236 offset0:22 offset1:23
	v_mov_b32_e32 v19, v15
	s_delay_alu instid0(VALU_DEP_1) | instskip(SKIP_2) | instid1(VALU_DEP_1)
	v_pk_add_f32 v[94:95], v[94:95], v[18:19] neg_lo:[0,1] neg_hi:[0,1]
	s_wait_dscnt 0x0
	v_pk_mul_f32 v[14:15], v[30:31], v[12:13] op_sel:[0,1]
	v_pk_fma_f32 v[18:19], v[30:31], v[10:11], v[14:15] op_sel:[0,0,1] op_sel_hi:[1,1,0] neg_lo:[0,0,1] neg_hi:[0,0,1]
	v_pk_fma_f32 v[14:15], v[30:31], v[10:11], v[14:15] op_sel:[0,0,1] op_sel_hi:[1,0,0]
	s_delay_alu instid0(VALU_DEP_1) | instskip(SKIP_1) | instid1(VALU_DEP_2)
	v_mov_b32_e32 v19, v15
	v_pk_mul_f32 v[14:15], v[32:33], v[12:13] op_sel:[0,1]
	v_pk_add_f32 v[96:97], v[96:97], v[18:19] neg_lo:[0,1] neg_hi:[0,1]
	s_delay_alu instid0(VALU_DEP_2) | instskip(SKIP_3) | instid1(VALU_DEP_1)
	v_pk_fma_f32 v[18:19], v[32:33], v[10:11], v[14:15] op_sel:[0,0,1] op_sel_hi:[1,1,0] neg_lo:[0,0,1] neg_hi:[0,0,1]
	v_pk_fma_f32 v[14:15], v[32:33], v[10:11], v[14:15] op_sel:[0,0,1] op_sel_hi:[1,0,0]
	ds_load_2addr_b64 v[30:33], v236 offset0:24 offset1:25
	v_mov_b32_e32 v19, v15
	v_pk_add_f32 v[92:93], v[92:93], v[18:19] neg_lo:[0,1] neg_hi:[0,1]
	s_wait_dscnt 0x0
	v_pk_mul_f32 v[14:15], v[30:31], v[12:13] op_sel:[0,1]
	s_delay_alu instid0(VALU_DEP_1) | instskip(SKIP_1) | instid1(VALU_DEP_1)
	v_pk_fma_f32 v[18:19], v[30:31], v[10:11], v[14:15] op_sel:[0,0,1] op_sel_hi:[1,1,0] neg_lo:[0,0,1] neg_hi:[0,0,1]
	v_pk_fma_f32 v[14:15], v[30:31], v[10:11], v[14:15] op_sel:[0,0,1] op_sel_hi:[1,0,0]
	v_mov_b32_e32 v19, v15
	v_pk_mul_f32 v[14:15], v[32:33], v[12:13] op_sel:[0,1]
	s_delay_alu instid0(VALU_DEP_2) | instskip(NEXT) | instid1(VALU_DEP_2)
	v_pk_add_f32 v[114:115], v[114:115], v[18:19] neg_lo:[0,1] neg_hi:[0,1]
	v_pk_fma_f32 v[18:19], v[32:33], v[10:11], v[14:15] op_sel:[0,0,1] op_sel_hi:[1,1,0] neg_lo:[0,0,1] neg_hi:[0,0,1]
	v_pk_fma_f32 v[14:15], v[32:33], v[10:11], v[14:15] op_sel:[0,0,1] op_sel_hi:[1,0,0]
	ds_load_2addr_b64 v[30:33], v236 offset0:26 offset1:27
	v_mov_b32_e32 v19, v15
	s_delay_alu instid0(VALU_DEP_1) | instskip(SKIP_2) | instid1(VALU_DEP_1)
	v_pk_add_f32 v[110:111], v[110:111], v[18:19] neg_lo:[0,1] neg_hi:[0,1]
	s_wait_dscnt 0x0
	v_dual_mul_f32 v14, v31, v13 :: v_dual_mul_f32 v18, v31, v10
	v_pk_fma_f32 v[14:15], v[30:31], v[20:21], v[14:15] op_sel_hi:[1,1,0] neg_lo:[0,0,1] neg_hi:[0,0,1]
	s_delay_alu instid0(VALU_DEP_2) | instskip(NEXT) | instid1(VALU_DEP_1)
	v_pk_fma_f32 v[18:19], v[30:31], v[20:21], v[18:19] op_sel:[1,0,0] op_sel_hi:[0,1,0]
	v_mov_b32_e32 v15, v19
	s_delay_alu instid0(VALU_DEP_1) | instskip(SKIP_1) | instid1(VALU_DEP_1)
	v_pk_add_f32 v[112:113], v[112:113], v[14:15] neg_lo:[0,1] neg_hi:[0,1]
	v_pk_mul_f32 v[14:15], v[32:33], v[12:13] op_sel:[0,1]
	v_pk_fma_f32 v[18:19], v[32:33], v[10:11], v[14:15] op_sel:[0,0,1] op_sel_hi:[1,1,0] neg_lo:[0,0,1] neg_hi:[0,0,1]
	v_pk_fma_f32 v[14:15], v[32:33], v[10:11], v[14:15] op_sel:[0,0,1] op_sel_hi:[1,0,0]
	ds_load_2addr_b64 v[30:33], v236 offset0:28 offset1:29
	v_mov_b32_e32 v19, v15
	s_delay_alu instid0(VALU_DEP_1) | instskip(SKIP_2) | instid1(VALU_DEP_1)
	v_pk_add_f32 v[108:109], v[108:109], v[18:19] neg_lo:[0,1] neg_hi:[0,1]
	s_wait_dscnt 0x0
	v_pk_mul_f32 v[14:15], v[30:31], v[12:13] op_sel:[0,1]
	v_pk_fma_f32 v[18:19], v[30:31], v[10:11], v[14:15] op_sel:[0,0,1] op_sel_hi:[1,1,0] neg_lo:[0,0,1] neg_hi:[0,0,1]
	v_pk_fma_f32 v[14:15], v[30:31], v[10:11], v[14:15] op_sel:[0,0,1] op_sel_hi:[1,0,0]
	s_delay_alu instid0(VALU_DEP_1) | instskip(SKIP_1) | instid1(VALU_DEP_2)
	v_mov_b32_e32 v19, v15
	v_pk_mul_f32 v[14:15], v[32:33], v[12:13] op_sel:[0,1]
	v_pk_add_f32 v[130:131], v[130:131], v[18:19] neg_lo:[0,1] neg_hi:[0,1]
	s_delay_alu instid0(VALU_DEP_2) | instskip(SKIP_3) | instid1(VALU_DEP_1)
	v_pk_fma_f32 v[18:19], v[32:33], v[10:11], v[14:15] op_sel:[0,0,1] op_sel_hi:[1,1,0] neg_lo:[0,0,1] neg_hi:[0,0,1]
	v_pk_fma_f32 v[14:15], v[32:33], v[10:11], v[14:15] op_sel:[0,0,1] op_sel_hi:[1,0,0]
	ds_load_2addr_b64 v[30:33], v236 offset0:30 offset1:31
	v_mov_b32_e32 v19, v15
	v_pk_add_f32 v[126:127], v[126:127], v[18:19] neg_lo:[0,1] neg_hi:[0,1]
	s_wait_dscnt 0x0
	v_pk_mul_f32 v[14:15], v[30:31], v[12:13] op_sel:[0,1]
	s_delay_alu instid0(VALU_DEP_1) | instskip(SKIP_2) | instid1(VALU_DEP_2)
	v_pk_fma_f32 v[18:19], v[30:31], v[10:11], v[14:15] op_sel:[0,0,1] op_sel_hi:[1,1,0] neg_lo:[0,0,1] neg_hi:[0,0,1]
	v_pk_fma_f32 v[14:15], v[30:31], v[10:11], v[14:15] op_sel:[0,0,1] op_sel_hi:[1,0,0]
	v_dual_mov_b32 v14, v33 :: v_dual_mul_f32 v30, v33, v10
	v_dual_mov_b32 v19, v15 :: v_dual_mov_b32 v15, v32
	s_delay_alu instid0(VALU_DEP_1) | instskip(SKIP_1) | instid1(VALU_DEP_3)
	v_pk_add_f32 v[128:129], v[128:129], v[18:19] neg_lo:[0,1] neg_hi:[0,1]
	v_mul_f32_e32 v18, v33, v13
	v_pk_fma_f32 v[14:15], v[14:15], v[20:21], v[30:31] op_sel_hi:[1,1,0]
	s_delay_alu instid0(VALU_DEP_2) | instskip(SKIP_2) | instid1(VALU_DEP_1)
	v_pk_fma_f32 v[18:19], v[32:33], v[20:21], v[18:19] op_sel_hi:[1,1,0] neg_lo:[0,0,1] neg_hi:[0,0,1]
	ds_load_2addr_b64 v[30:33], v236 offset0:32 offset1:33
	v_mov_b32_e32 v19, v15
	v_pk_add_f32 v[124:125], v[124:125], v[18:19] neg_lo:[0,1] neg_hi:[0,1]
	s_wait_dscnt 0x0
	v_pk_mul_f32 v[14:15], v[30:31], v[12:13] op_sel:[0,1]
	s_delay_alu instid0(VALU_DEP_1) | instskip(SKIP_1) | instid1(VALU_DEP_1)
	v_pk_fma_f32 v[18:19], v[30:31], v[10:11], v[14:15] op_sel:[0,0,1] op_sel_hi:[1,1,0] neg_lo:[0,0,1] neg_hi:[0,0,1]
	v_pk_fma_f32 v[14:15], v[30:31], v[10:11], v[14:15] op_sel:[0,0,1] op_sel_hi:[1,0,0]
	v_mov_b32_e32 v19, v15
	v_pk_mul_f32 v[14:15], v[32:33], v[12:13] op_sel:[0,1]
	s_delay_alu instid0(VALU_DEP_2) | instskip(NEXT) | instid1(VALU_DEP_2)
	v_pk_add_f32 v[146:147], v[146:147], v[18:19] neg_lo:[0,1] neg_hi:[0,1]
	v_pk_fma_f32 v[18:19], v[32:33], v[10:11], v[14:15] op_sel:[0,0,1] op_sel_hi:[1,1,0] neg_lo:[0,0,1] neg_hi:[0,0,1]
	v_pk_fma_f32 v[14:15], v[32:33], v[10:11], v[14:15] op_sel:[0,0,1] op_sel_hi:[1,0,0]
	ds_load_2addr_b64 v[30:33], v236 offset0:34 offset1:35
	v_mov_b32_e32 v19, v15
	s_delay_alu instid0(VALU_DEP_1) | instskip(SKIP_2) | instid1(VALU_DEP_1)
	v_pk_add_f32 v[142:143], v[142:143], v[18:19] neg_lo:[0,1] neg_hi:[0,1]
	s_wait_dscnt 0x0
	v_pk_mul_f32 v[14:15], v[30:31], v[12:13] op_sel:[0,1]
	v_pk_fma_f32 v[18:19], v[30:31], v[10:11], v[14:15] op_sel:[0,0,1] op_sel_hi:[1,1,0] neg_lo:[0,0,1] neg_hi:[0,0,1]
	v_pk_fma_f32 v[14:15], v[30:31], v[10:11], v[14:15] op_sel:[0,0,1] op_sel_hi:[1,0,0]
	s_delay_alu instid0(VALU_DEP_1) | instskip(SKIP_1) | instid1(VALU_DEP_2)
	v_mov_b32_e32 v19, v15
	v_pk_mul_f32 v[14:15], v[32:33], v[12:13] op_sel:[0,1]
	v_pk_add_f32 v[144:145], v[144:145], v[18:19] neg_lo:[0,1] neg_hi:[0,1]
	s_delay_alu instid0(VALU_DEP_2) | instskip(SKIP_3) | instid1(VALU_DEP_1)
	v_pk_fma_f32 v[18:19], v[32:33], v[10:11], v[14:15] op_sel:[0,0,1] op_sel_hi:[1,1,0] neg_lo:[0,0,1] neg_hi:[0,0,1]
	v_pk_fma_f32 v[14:15], v[32:33], v[10:11], v[14:15] op_sel:[0,0,1] op_sel_hi:[1,0,0]
	ds_load_2addr_b64 v[30:33], v236 offset0:36 offset1:37
	v_mov_b32_e32 v19, v15
	v_pk_add_f32 v[140:141], v[140:141], v[18:19] neg_lo:[0,1] neg_hi:[0,1]
	s_wait_dscnt 0x0
	v_dual_mul_f32 v14, v31, v13 :: v_dual_mul_f32 v18, v31, v10
	s_delay_alu instid0(VALU_DEP_1) | instskip(NEXT) | instid1(VALU_DEP_2)
	v_pk_fma_f32 v[14:15], v[30:31], v[20:21], v[14:15] op_sel_hi:[1,1,0] neg_lo:[0,0,1] neg_hi:[0,0,1]
	v_pk_fma_f32 v[18:19], v[30:31], v[20:21], v[18:19] op_sel:[1,0,0] op_sel_hi:[0,1,0]
	s_delay_alu instid0(VALU_DEP_1) | instskip(NEXT) | instid1(VALU_DEP_1)
	v_mov_b32_e32 v15, v19
	v_pk_add_f32 v[162:163], v[162:163], v[14:15] neg_lo:[0,1] neg_hi:[0,1]
	v_pk_mul_f32 v[14:15], v[32:33], v[12:13] op_sel:[0,1]
	s_delay_alu instid0(VALU_DEP_1) | instskip(SKIP_3) | instid1(VALU_DEP_1)
	v_pk_fma_f32 v[18:19], v[32:33], v[10:11], v[14:15] op_sel:[0,0,1] op_sel_hi:[1,1,0] neg_lo:[0,0,1] neg_hi:[0,0,1]
	v_pk_fma_f32 v[14:15], v[32:33], v[10:11], v[14:15] op_sel:[0,0,1] op_sel_hi:[1,0,0]
	ds_load_2addr_b64 v[30:33], v236 offset0:38 offset1:39
	v_mov_b32_e32 v19, v15
	v_pk_add_f32 v[158:159], v[158:159], v[18:19] neg_lo:[0,1] neg_hi:[0,1]
	s_wait_dscnt 0x0
	v_pk_mul_f32 v[14:15], v[30:31], v[12:13] op_sel:[0,1]
	s_delay_alu instid0(VALU_DEP_1) | instskip(SKIP_1) | instid1(VALU_DEP_1)
	v_pk_fma_f32 v[18:19], v[30:31], v[10:11], v[14:15] op_sel:[0,0,1] op_sel_hi:[1,1,0] neg_lo:[0,0,1] neg_hi:[0,0,1]
	v_pk_fma_f32 v[14:15], v[30:31], v[10:11], v[14:15] op_sel:[0,0,1] op_sel_hi:[1,0,0]
	v_mov_b32_e32 v19, v15
	v_pk_mul_f32 v[14:15], v[32:33], v[12:13] op_sel:[0,1]
	s_delay_alu instid0(VALU_DEP_2) | instskip(NEXT) | instid1(VALU_DEP_2)
	v_pk_add_f32 v[160:161], v[160:161], v[18:19] neg_lo:[0,1] neg_hi:[0,1]
	v_pk_fma_f32 v[18:19], v[32:33], v[10:11], v[14:15] op_sel:[0,0,1] op_sel_hi:[1,1,0] neg_lo:[0,0,1] neg_hi:[0,0,1]
	v_pk_fma_f32 v[14:15], v[32:33], v[10:11], v[14:15] op_sel:[0,0,1] op_sel_hi:[1,0,0]
	ds_load_2addr_b64 v[30:33], v236 offset0:40 offset1:41
	v_mov_b32_e32 v19, v15
	s_delay_alu instid0(VALU_DEP_1) | instskip(SKIP_2) | instid1(VALU_DEP_1)
	v_pk_add_f32 v[156:157], v[156:157], v[18:19] neg_lo:[0,1] neg_hi:[0,1]
	s_wait_dscnt 0x0
	v_pk_mul_f32 v[14:15], v[30:31], v[12:13] op_sel:[0,1]
	v_pk_fma_f32 v[18:19], v[30:31], v[10:11], v[14:15] op_sel:[0,0,1] op_sel_hi:[1,1,0] neg_lo:[0,0,1] neg_hi:[0,0,1]
	v_pk_fma_f32 v[14:15], v[30:31], v[10:11], v[14:15] op_sel:[0,0,1] op_sel_hi:[1,0,0]
	v_dual_mov_b32 v14, v33 :: v_dual_mul_f32 v30, v33, v10
	s_delay_alu instid0(VALU_DEP_2) | instskip(NEXT) | instid1(VALU_DEP_1)
	v_dual_mov_b32 v19, v15 :: v_dual_mov_b32 v15, v32
	v_pk_add_f32 v[178:179], v[178:179], v[18:19] neg_lo:[0,1] neg_hi:[0,1]
	v_mul_f32_e32 v18, v33, v13
	s_delay_alu instid0(VALU_DEP_3) | instskip(NEXT) | instid1(VALU_DEP_2)
	v_pk_fma_f32 v[14:15], v[14:15], v[20:21], v[30:31] op_sel_hi:[1,1,0]
	v_pk_fma_f32 v[18:19], v[32:33], v[20:21], v[18:19] op_sel_hi:[1,1,0] neg_lo:[0,0,1] neg_hi:[0,0,1]
	ds_load_2addr_b64 v[30:33], v236 offset0:42 offset1:43
	v_mov_b32_e32 v19, v15
	s_delay_alu instid0(VALU_DEP_1) | instskip(SKIP_2) | instid1(VALU_DEP_1)
	v_pk_add_f32 v[174:175], v[174:175], v[18:19] neg_lo:[0,1] neg_hi:[0,1]
	s_wait_dscnt 0x0
	v_pk_mul_f32 v[14:15], v[30:31], v[12:13] op_sel:[0,1]
	v_pk_fma_f32 v[18:19], v[30:31], v[10:11], v[14:15] op_sel:[0,0,1] op_sel_hi:[1,1,0] neg_lo:[0,0,1] neg_hi:[0,0,1]
	v_pk_fma_f32 v[14:15], v[30:31], v[10:11], v[14:15] op_sel:[0,0,1] op_sel_hi:[1,0,0]
	s_delay_alu instid0(VALU_DEP_1) | instskip(SKIP_1) | instid1(VALU_DEP_2)
	v_mov_b32_e32 v19, v15
	v_pk_mul_f32 v[14:15], v[32:33], v[12:13] op_sel:[0,1]
	v_pk_add_f32 v[176:177], v[176:177], v[18:19] neg_lo:[0,1] neg_hi:[0,1]
	s_delay_alu instid0(VALU_DEP_2) | instskip(SKIP_3) | instid1(VALU_DEP_1)
	v_pk_fma_f32 v[18:19], v[32:33], v[10:11], v[14:15] op_sel:[0,0,1] op_sel_hi:[1,1,0] neg_lo:[0,0,1] neg_hi:[0,0,1]
	v_pk_fma_f32 v[14:15], v[32:33], v[10:11], v[14:15] op_sel:[0,0,1] op_sel_hi:[1,0,0]
	ds_load_2addr_b64 v[30:33], v236 offset0:44 offset1:45
	v_mov_b32_e32 v19, v15
	v_pk_add_f32 v[172:173], v[172:173], v[18:19] neg_lo:[0,1] neg_hi:[0,1]
	s_wait_dscnt 0x0
	v_pk_mul_f32 v[14:15], v[30:31], v[12:13] op_sel:[0,1]
	s_delay_alu instid0(VALU_DEP_1) | instskip(SKIP_1) | instid1(VALU_DEP_1)
	v_pk_fma_f32 v[18:19], v[30:31], v[10:11], v[14:15] op_sel:[0,0,1] op_sel_hi:[1,1,0] neg_lo:[0,0,1] neg_hi:[0,0,1]
	v_pk_fma_f32 v[14:15], v[30:31], v[10:11], v[14:15] op_sel:[0,0,1] op_sel_hi:[1,0,0]
	v_mov_b32_e32 v19, v15
	v_pk_mul_f32 v[14:15], v[32:33], v[12:13] op_sel:[0,1]
	s_delay_alu instid0(VALU_DEP_2) | instskip(NEXT) | instid1(VALU_DEP_2)
	v_pk_add_f32 v[194:195], v[194:195], v[18:19] neg_lo:[0,1] neg_hi:[0,1]
	v_pk_fma_f32 v[18:19], v[32:33], v[10:11], v[14:15] op_sel:[0,0,1] op_sel_hi:[1,1,0] neg_lo:[0,0,1] neg_hi:[0,0,1]
	v_pk_fma_f32 v[14:15], v[32:33], v[10:11], v[14:15] op_sel:[0,0,1] op_sel_hi:[1,0,0]
	ds_load_2addr_b64 v[30:33], v236 offset0:46 offset1:47
	v_mov_b32_e32 v19, v15
	s_delay_alu instid0(VALU_DEP_1) | instskip(SKIP_2) | instid1(VALU_DEP_1)
	v_pk_add_f32 v[190:191], v[190:191], v[18:19] neg_lo:[0,1] neg_hi:[0,1]
	s_wait_dscnt 0x0
	v_dual_mul_f32 v14, v31, v13 :: v_dual_mul_f32 v18, v31, v10
	v_pk_fma_f32 v[14:15], v[30:31], v[20:21], v[14:15] op_sel_hi:[1,1,0] neg_lo:[0,0,1] neg_hi:[0,0,1]
	s_delay_alu instid0(VALU_DEP_2) | instskip(NEXT) | instid1(VALU_DEP_1)
	v_pk_fma_f32 v[18:19], v[30:31], v[20:21], v[18:19] op_sel:[1,0,0] op_sel_hi:[0,1,0]
	v_mov_b32_e32 v15, v19
	s_delay_alu instid0(VALU_DEP_1) | instskip(SKIP_1) | instid1(VALU_DEP_1)
	v_pk_add_f32 v[192:193], v[192:193], v[14:15] neg_lo:[0,1] neg_hi:[0,1]
	v_pk_mul_f32 v[14:15], v[32:33], v[12:13] op_sel:[0,1]
	v_pk_fma_f32 v[18:19], v[32:33], v[10:11], v[14:15] op_sel:[0,0,1] op_sel_hi:[1,1,0] neg_lo:[0,0,1] neg_hi:[0,0,1]
	v_pk_fma_f32 v[14:15], v[32:33], v[10:11], v[14:15] op_sel:[0,0,1] op_sel_hi:[1,0,0]
	ds_load_2addr_b64 v[30:33], v236 offset0:48 offset1:49
	v_mov_b32_e32 v19, v15
	s_delay_alu instid0(VALU_DEP_1) | instskip(SKIP_2) | instid1(VALU_DEP_1)
	v_pk_add_f32 v[188:189], v[188:189], v[18:19] neg_lo:[0,1] neg_hi:[0,1]
	s_wait_dscnt 0x0
	v_pk_mul_f32 v[14:15], v[30:31], v[12:13] op_sel:[0,1]
	v_pk_fma_f32 v[18:19], v[30:31], v[10:11], v[14:15] op_sel:[0,0,1] op_sel_hi:[1,1,0] neg_lo:[0,0,1] neg_hi:[0,0,1]
	v_pk_fma_f32 v[14:15], v[30:31], v[10:11], v[14:15] op_sel:[0,0,1] op_sel_hi:[1,0,0]
	s_delay_alu instid0(VALU_DEP_1) | instskip(SKIP_1) | instid1(VALU_DEP_2)
	v_mov_b32_e32 v19, v15
	v_pk_mul_f32 v[14:15], v[32:33], v[12:13] op_sel:[0,1]
	v_pk_add_f32 v[210:211], v[210:211], v[18:19] neg_lo:[0,1] neg_hi:[0,1]
	s_delay_alu instid0(VALU_DEP_2) | instskip(SKIP_3) | instid1(VALU_DEP_1)
	v_pk_fma_f32 v[18:19], v[32:33], v[10:11], v[14:15] op_sel:[0,0,1] op_sel_hi:[1,1,0] neg_lo:[0,0,1] neg_hi:[0,0,1]
	v_pk_fma_f32 v[14:15], v[32:33], v[10:11], v[14:15] op_sel:[0,0,1] op_sel_hi:[1,0,0]
	ds_load_2addr_b64 v[30:33], v236 offset0:50 offset1:51
	v_mov_b32_e32 v19, v15
	v_pk_add_f32 v[206:207], v[206:207], v[18:19] neg_lo:[0,1] neg_hi:[0,1]
	s_wait_dscnt 0x0
	v_pk_mul_f32 v[14:15], v[30:31], v[12:13] op_sel:[0,1]
	s_delay_alu instid0(VALU_DEP_1) | instskip(SKIP_2) | instid1(VALU_DEP_2)
	v_pk_fma_f32 v[18:19], v[30:31], v[10:11], v[14:15] op_sel:[0,0,1] op_sel_hi:[1,1,0] neg_lo:[0,0,1] neg_hi:[0,0,1]
	v_pk_fma_f32 v[14:15], v[30:31], v[10:11], v[14:15] op_sel:[0,0,1] op_sel_hi:[1,0,0]
	v_dual_mov_b32 v14, v33 :: v_dual_mul_f32 v30, v33, v10
	v_dual_mov_b32 v19, v15 :: v_dual_mov_b32 v15, v32
	s_delay_alu instid0(VALU_DEP_1) | instskip(SKIP_1) | instid1(VALU_DEP_3)
	v_pk_add_f32 v[208:209], v[208:209], v[18:19] neg_lo:[0,1] neg_hi:[0,1]
	v_mul_f32_e32 v18, v33, v13
	v_pk_fma_f32 v[14:15], v[14:15], v[20:21], v[30:31] op_sel_hi:[1,1,0]
	s_delay_alu instid0(VALU_DEP_2) | instskip(SKIP_2) | instid1(VALU_DEP_1)
	v_pk_fma_f32 v[18:19], v[32:33], v[20:21], v[18:19] op_sel_hi:[1,1,0] neg_lo:[0,0,1] neg_hi:[0,0,1]
	ds_load_2addr_b64 v[30:33], v236 offset0:52 offset1:53
	v_mov_b32_e32 v19, v15
	v_pk_add_f32 v[204:205], v[204:205], v[18:19] neg_lo:[0,1] neg_hi:[0,1]
	s_wait_dscnt 0x0
	v_pk_mul_f32 v[14:15], v[30:31], v[12:13] op_sel:[0,1]
	s_delay_alu instid0(VALU_DEP_1) | instskip(SKIP_1) | instid1(VALU_DEP_1)
	v_pk_fma_f32 v[18:19], v[30:31], v[10:11], v[14:15] op_sel:[0,0,1] op_sel_hi:[1,1,0] neg_lo:[0,0,1] neg_hi:[0,0,1]
	v_pk_fma_f32 v[14:15], v[30:31], v[10:11], v[14:15] op_sel:[0,0,1] op_sel_hi:[1,0,0]
	v_mov_b32_e32 v19, v15
	v_pk_mul_f32 v[14:15], v[32:33], v[12:13] op_sel:[0,1]
	s_delay_alu instid0(VALU_DEP_2) | instskip(NEXT) | instid1(VALU_DEP_2)
	v_pk_add_f32 v[228:229], v[228:229], v[18:19] neg_lo:[0,1] neg_hi:[0,1]
	v_pk_fma_f32 v[18:19], v[32:33], v[10:11], v[14:15] op_sel:[0,0,1] op_sel_hi:[1,1,0] neg_lo:[0,0,1] neg_hi:[0,0,1]
	v_pk_fma_f32 v[14:15], v[32:33], v[10:11], v[14:15] op_sel:[0,0,1] op_sel_hi:[1,0,0]
	ds_load_2addr_b64 v[30:33], v236 offset0:54 offset1:55
	v_mov_b32_e32 v19, v15
	s_delay_alu instid0(VALU_DEP_1) | instskip(SKIP_2) | instid1(VALU_DEP_1)
	v_pk_add_f32 v[224:225], v[224:225], v[18:19] neg_lo:[0,1] neg_hi:[0,1]
	s_wait_dscnt 0x0
	v_pk_mul_f32 v[14:15], v[30:31], v[12:13] op_sel:[0,1]
	v_pk_fma_f32 v[18:19], v[30:31], v[10:11], v[14:15] op_sel:[0,0,1] op_sel_hi:[1,1,0] neg_lo:[0,0,1] neg_hi:[0,0,1]
	v_pk_fma_f32 v[14:15], v[30:31], v[10:11], v[14:15] op_sel:[0,0,1] op_sel_hi:[1,0,0]
	s_delay_alu instid0(VALU_DEP_1) | instskip(SKIP_1) | instid1(VALU_DEP_2)
	v_mov_b32_e32 v19, v15
	v_pk_mul_f32 v[14:15], v[32:33], v[12:13] op_sel:[0,1]
	v_pk_add_f32 v[226:227], v[226:227], v[18:19] neg_lo:[0,1] neg_hi:[0,1]
	s_delay_alu instid0(VALU_DEP_2) | instskip(SKIP_3) | instid1(VALU_DEP_1)
	v_pk_fma_f32 v[18:19], v[32:33], v[10:11], v[14:15] op_sel:[0,0,1] op_sel_hi:[1,1,0] neg_lo:[0,0,1] neg_hi:[0,0,1]
	v_pk_fma_f32 v[14:15], v[32:33], v[10:11], v[14:15] op_sel:[0,0,1] op_sel_hi:[1,0,0]
	ds_load_2addr_b64 v[30:33], v236 offset0:56 offset1:57
	v_mov_b32_e32 v19, v15
	v_pk_add_f32 v[222:223], v[222:223], v[18:19] neg_lo:[0,1] neg_hi:[0,1]
	s_wait_dscnt 0x0
	v_dual_mul_f32 v14, v31, v13 :: v_dual_mul_f32 v18, v31, v10
	s_delay_alu instid0(VALU_DEP_1) | instskip(NEXT) | instid1(VALU_DEP_2)
	v_pk_fma_f32 v[14:15], v[30:31], v[20:21], v[14:15] op_sel_hi:[1,1,0] neg_lo:[0,0,1] neg_hi:[0,0,1]
	v_pk_fma_f32 v[18:19], v[30:31], v[20:21], v[18:19] op_sel:[1,0,0] op_sel_hi:[0,1,0]
	s_delay_alu instid0(VALU_DEP_1) | instskip(NEXT) | instid1(VALU_DEP_1)
	v_mov_b32_e32 v15, v19
	v_pk_add_f32 v[244:245], v[244:245], v[14:15] neg_lo:[0,1] neg_hi:[0,1]
	v_pk_mul_f32 v[14:15], v[32:33], v[12:13] op_sel:[0,1]
	s_delay_alu instid0(VALU_DEP_1) | instskip(SKIP_3) | instid1(VALU_DEP_1)
	v_pk_fma_f32 v[18:19], v[32:33], v[10:11], v[14:15] op_sel:[0,0,1] op_sel_hi:[1,1,0] neg_lo:[0,0,1] neg_hi:[0,0,1]
	v_pk_fma_f32 v[14:15], v[32:33], v[10:11], v[14:15] op_sel:[0,0,1] op_sel_hi:[1,0,0]
	ds_load_2addr_b64 v[30:33], v236 offset0:58 offset1:59
	v_mov_b32_e32 v19, v15
	v_pk_add_f32 v[240:241], v[240:241], v[18:19] neg_lo:[0,1] neg_hi:[0,1]
	s_wait_dscnt 0x0
	v_pk_mul_f32 v[14:15], v[30:31], v[12:13] op_sel:[0,1]
	s_delay_alu instid0(VALU_DEP_1) | instskip(SKIP_1) | instid1(VALU_DEP_1)
	v_pk_fma_f32 v[18:19], v[30:31], v[10:11], v[14:15] op_sel:[0,0,1] op_sel_hi:[1,1,0] neg_lo:[0,0,1] neg_hi:[0,0,1]
	v_pk_fma_f32 v[14:15], v[30:31], v[10:11], v[14:15] op_sel:[0,0,1] op_sel_hi:[1,0,0]
	v_mov_b32_e32 v19, v15
	v_pk_mul_f32 v[14:15], v[32:33], v[12:13] op_sel:[0,1]
	s_delay_alu instid0(VALU_DEP_2) | instskip(NEXT) | instid1(VALU_DEP_2)
	v_pk_add_f32 v[242:243], v[242:243], v[18:19] neg_lo:[0,1] neg_hi:[0,1]
	v_pk_fma_f32 v[18:19], v[32:33], v[10:11], v[14:15] op_sel:[0,0,1] op_sel_hi:[1,1,0] neg_lo:[0,0,1] neg_hi:[0,0,1]
	v_pk_fma_f32 v[14:15], v[32:33], v[10:11], v[14:15] op_sel:[0,0,1] op_sel_hi:[1,0,0]
	ds_load_2addr_b64 v[30:33], v236 offset0:60 offset1:61
	v_mov_b32_e32 v19, v15
	s_delay_alu instid0(VALU_DEP_1) | instskip(SKIP_3) | instid1(VALU_DEP_2)
	v_pk_add_f32 v[238:239], v[238:239], v[18:19] neg_lo:[0,1] neg_hi:[0,1]
	s_wait_dscnt 0x0
	v_pk_mul_f32 v[14:15], v[30:31], v[12:13] op_sel:[0,1]
	v_mul_f32_e32 v12, v33, v13
	v_pk_fma_f32 v[18:19], v[30:31], v[10:11], v[14:15] op_sel:[0,0,1] op_sel_hi:[1,1,0] neg_lo:[0,0,1] neg_hi:[0,0,1]
	v_pk_fma_f32 v[14:15], v[30:31], v[10:11], v[14:15] op_sel:[0,0,1] op_sel_hi:[1,0,0]
	v_dual_mov_b32 v14, v33 :: v_dual_mul_f32 v10, v33, v10
	s_delay_alu instid0(VALU_DEP_4) | instskip(NEXT) | instid1(VALU_DEP_3)
	v_pk_fma_f32 v[12:13], v[32:33], v[20:21], v[12:13] op_sel_hi:[1,1,0] neg_lo:[0,0,1] neg_hi:[0,0,1]
	v_dual_mov_b32 v19, v15 :: v_dual_mov_b32 v15, v32
	s_delay_alu instid0(VALU_DEP_1) | instskip(NEXT) | instid1(VALU_DEP_2)
	v_pk_add_f32 v[246:247], v[246:247], v[18:19] neg_lo:[0,1] neg_hi:[0,1]
	v_pk_fma_f32 v[10:11], v[14:15], v[20:21], v[10:11] op_sel_hi:[1,1,0]
	s_delay_alu instid0(VALU_DEP_1) | instskip(NEXT) | instid1(VALU_DEP_1)
	v_mov_b32_e32 v13, v11
	v_pk_add_f32 v[248:249], v[248:249], v[12:13] neg_lo:[0,1] neg_hi:[0,1]
.LBB123_73:
	s_or_b32 exec_lo, exec_lo, s1
	s_delay_alu instid0(SALU_CYCLE_1)
	s_mov_b32 s2, exec_lo
	s_wait_dscnt 0x0
	s_barrier_signal -1
	s_barrier_wait -1
	v_cmpx_eq_u32_e32 8, v234
	s_cbranch_execz .LBB123_80
; %bb.74:
	ds_store_b64 v235, v[42:43]
	ds_store_2addr_b64 v236, v[38:39], v[40:41] offset0:9 offset1:10
	ds_store_2addr_b64 v236, v[36:37], v[66:67] offset0:11 offset1:12
	ds_store_2addr_b64 v236, v[62:63], v[64:65] offset0:13 offset1:14
	ds_store_2addr_b64 v236, v[60:61], v[82:83] offset0:15 offset1:16
	ds_store_2addr_b64 v236, v[78:79], v[80:81] offset0:17 offset1:18
	ds_store_2addr_b64 v236, v[76:77], v[98:99] offset0:19 offset1:20
	ds_store_2addr_b64 v236, v[94:95], v[96:97] offset0:21 offset1:22
	ds_store_2addr_b64 v236, v[92:93], v[114:115] offset0:23 offset1:24
	ds_store_2addr_b64 v236, v[110:111], v[112:113] offset0:25 offset1:26
	ds_store_2addr_b64 v236, v[108:109], v[130:131] offset0:27 offset1:28
	ds_store_2addr_b64 v236, v[126:127], v[128:129] offset0:29 offset1:30
	ds_store_2addr_b64 v236, v[124:125], v[146:147] offset0:31 offset1:32
	ds_store_2addr_b64 v236, v[142:143], v[144:145] offset0:33 offset1:34
	ds_store_2addr_b64 v236, v[140:141], v[162:163] offset0:35 offset1:36
	ds_store_2addr_b64 v236, v[158:159], v[160:161] offset0:37 offset1:38
	ds_store_2addr_b64 v236, v[156:157], v[178:179] offset0:39 offset1:40
	ds_store_2addr_b64 v236, v[174:175], v[176:177] offset0:41 offset1:42
	ds_store_2addr_b64 v236, v[172:173], v[194:195] offset0:43 offset1:44
	ds_store_2addr_b64 v236, v[190:191], v[192:193] offset0:45 offset1:46
	ds_store_2addr_b64 v236, v[188:189], v[210:211] offset0:47 offset1:48
	ds_store_2addr_b64 v236, v[206:207], v[208:209] offset0:49 offset1:50
	ds_store_2addr_b64 v236, v[204:205], v[228:229] offset0:51 offset1:52
	ds_store_2addr_b64 v236, v[224:225], v[226:227] offset0:53 offset1:54
	ds_store_2addr_b64 v236, v[222:223], v[244:245] offset0:55 offset1:56
	ds_store_2addr_b64 v236, v[240:241], v[242:243] offset0:57 offset1:58
	ds_store_2addr_b64 v236, v[238:239], v[246:247] offset0:59 offset1:60
	ds_store_b64 v236, v[248:249] offset:488
	ds_load_b64 v[10:11], v235
	s_wait_dscnt 0x0
	v_cmp_neq_f32_e32 vcc_lo, 0, v10
	v_cmp_neq_f32_e64 s1, 0, v11
	s_or_b32 s1, vcc_lo, s1
	s_delay_alu instid0(SALU_CYCLE_1)
	s_and_b32 exec_lo, exec_lo, s1
	s_cbranch_execz .LBB123_80
; %bb.75:
	v_cmp_ngt_f32_e64 s1, |v10|, |v11|
                                        ; implicit-def: $vgpr12_vgpr13
	s_and_saveexec_b32 s4, s1
	s_delay_alu instid0(SALU_CYCLE_1)
	s_xor_b32 s1, exec_lo, s4
	s_cbranch_execz .LBB123_77
; %bb.76:
	v_div_scale_f32 v0, null, v11, v11, v10
	v_div_scale_f32 v13, vcc_lo, v10, v11, v10
	s_delay_alu instid0(VALU_DEP_2) | instskip(SKIP_1) | instid1(TRANS32_DEP_1)
	v_rcp_f32_e32 v1, v0
	v_nop
	v_fma_f32 v12, -v0, v1, 1.0
	s_delay_alu instid0(VALU_DEP_1) | instskip(NEXT) | instid1(VALU_DEP_1)
	v_fmac_f32_e32 v1, v12, v1
	v_mul_f32_e32 v12, v13, v1
	s_delay_alu instid0(VALU_DEP_1) | instskip(NEXT) | instid1(VALU_DEP_1)
	v_fma_f32 v14, -v0, v12, v13
	v_fmac_f32_e32 v12, v14, v1
	s_delay_alu instid0(VALU_DEP_1) | instskip(NEXT) | instid1(VALU_DEP_1)
	v_fma_f32 v0, -v0, v12, v13
	v_div_fmas_f32 v0, v0, v1, v12
	s_delay_alu instid0(VALU_DEP_1) | instskip(NEXT) | instid1(VALU_DEP_1)
	v_div_fixup_f32 v0, v0, v11, v10
	v_fmac_f32_e32 v11, v10, v0
	s_delay_alu instid0(VALU_DEP_1) | instskip(SKIP_1) | instid1(VALU_DEP_2)
	v_div_scale_f32 v1, null, v11, v11, 1.0
	v_div_scale_f32 v13, vcc_lo, 1.0, v11, 1.0
	v_rcp_f32_e32 v10, v1
	v_nop
	s_delay_alu instid0(TRANS32_DEP_1) | instskip(NEXT) | instid1(VALU_DEP_1)
	v_fma_f32 v12, -v1, v10, 1.0
	v_fmac_f32_e32 v10, v12, v10
	s_delay_alu instid0(VALU_DEP_1) | instskip(NEXT) | instid1(VALU_DEP_1)
	v_mul_f32_e32 v12, v13, v10
	v_fma_f32 v14, -v1, v12, v13
	s_delay_alu instid0(VALU_DEP_1) | instskip(NEXT) | instid1(VALU_DEP_1)
	v_fmac_f32_e32 v12, v14, v10
	v_fma_f32 v1, -v1, v12, v13
	s_delay_alu instid0(VALU_DEP_1) | instskip(NEXT) | instid1(VALU_DEP_1)
	v_div_fmas_f32 v1, v1, v10, v12
	v_div_fixup_f32 v1, v1, v11, 1.0
                                        ; implicit-def: $vgpr10_vgpr11
	s_delay_alu instid0(VALU_DEP_1)
	v_mul_f32_e32 v12, v0, v1
	v_xor_b32_e32 v13, 0x80000000, v1
.LBB123_77:
	s_and_not1_saveexec_b32 s1, s1
	s_cbranch_execz .LBB123_79
; %bb.78:
	v_div_scale_f32 v0, null, v10, v10, v11
	v_div_scale_f32 v13, vcc_lo, v11, v10, v11
	s_delay_alu instid0(VALU_DEP_2) | instskip(SKIP_1) | instid1(TRANS32_DEP_1)
	v_rcp_f32_e32 v1, v0
	v_nop
	v_fma_f32 v12, -v0, v1, 1.0
	s_delay_alu instid0(VALU_DEP_1) | instskip(NEXT) | instid1(VALU_DEP_1)
	v_fmac_f32_e32 v1, v12, v1
	v_mul_f32_e32 v12, v13, v1
	s_delay_alu instid0(VALU_DEP_1) | instskip(NEXT) | instid1(VALU_DEP_1)
	v_fma_f32 v14, -v0, v12, v13
	v_fmac_f32_e32 v12, v14, v1
	s_delay_alu instid0(VALU_DEP_1) | instskip(NEXT) | instid1(VALU_DEP_1)
	v_fma_f32 v0, -v0, v12, v13
	v_div_fmas_f32 v0, v0, v1, v12
	s_delay_alu instid0(VALU_DEP_1) | instskip(NEXT) | instid1(VALU_DEP_1)
	v_div_fixup_f32 v0, v0, v10, v11
	v_fmac_f32_e32 v10, v11, v0
	s_delay_alu instid0(VALU_DEP_1) | instskip(NEXT) | instid1(VALU_DEP_1)
	v_div_scale_f32 v1, null, v10, v10, 1.0
	v_rcp_f32_e32 v11, v1
	v_nop
	s_delay_alu instid0(TRANS32_DEP_1) | instskip(NEXT) | instid1(VALU_DEP_1)
	v_fma_f32 v12, -v1, v11, 1.0
	v_fmac_f32_e32 v11, v12, v11
	v_div_scale_f32 v12, vcc_lo, 1.0, v10, 1.0
	s_delay_alu instid0(VALU_DEP_1) | instskip(NEXT) | instid1(VALU_DEP_1)
	v_mul_f32_e32 v13, v12, v11
	v_fma_f32 v14, -v1, v13, v12
	s_delay_alu instid0(VALU_DEP_1) | instskip(NEXT) | instid1(VALU_DEP_1)
	v_fmac_f32_e32 v13, v14, v11
	v_fma_f32 v1, -v1, v13, v12
	s_delay_alu instid0(VALU_DEP_1) | instskip(NEXT) | instid1(VALU_DEP_1)
	v_div_fmas_f32 v1, v1, v11, v13
	v_div_fixup_f32 v12, v1, v10, 1.0
	s_delay_alu instid0(VALU_DEP_1)
	v_mul_f32_e64 v13, v0, -v12
.LBB123_79:
	s_or_b32 exec_lo, exec_lo, s1
	ds_store_b64 v235, v[12:13]
.LBB123_80:
	s_or_b32 exec_lo, exec_lo, s2
	s_wait_dscnt 0x0
	s_barrier_signal -1
	s_barrier_wait -1
	ds_load_b64 v[10:11], v235
	s_mov_b32 s1, exec_lo
	v_cmpx_lt_u32_e32 8, v234
	s_cbranch_execz .LBB123_82
; %bb.81:
	ds_load_2addr_b64 v[30:33], v236 offset0:9 offset1:10
	s_wait_dscnt 0x1
	v_pk_mul_f32 v[14:15], v[10:11], v[42:43] op_sel:[1,1] op_sel_hi:[0,1]
	s_delay_alu instid0(VALU_DEP_1) | instskip(SKIP_1) | instid1(VALU_DEP_1)
	v_pk_fma_f32 v[12:13], v[10:11], v[42:43], v[14:15] op_sel_hi:[1,0,1] neg_lo:[0,0,1] neg_hi:[0,0,1]
	v_pk_fma_f32 v[14:15], v[10:11], v[42:43], v[14:15] op_sel_hi:[1,0,1]
	v_dual_mov_b32 v42, v12 :: v_dual_mov_b32 v43, v15
	s_wait_dscnt 0x0
	s_delay_alu instid0(VALU_DEP_2) | instskip(NEXT) | instid1(VALU_DEP_1)
	v_pk_mul_f32 v[18:19], v[30:31], v[14:15] op_sel:[0,1]
	v_pk_fma_f32 v[34:35], v[30:31], v[12:13], v[18:19] op_sel:[0,0,1] op_sel_hi:[1,1,0] neg_lo:[0,0,1] neg_hi:[0,0,1]
	v_pk_fma_f32 v[18:19], v[30:31], v[12:13], v[18:19] op_sel:[0,0,1] op_sel_hi:[1,0,0]
	s_delay_alu instid0(VALU_DEP_1) | instskip(SKIP_1) | instid1(VALU_DEP_1)
	v_mov_b32_e32 v35, v19
	v_pk_mul_f32 v[18:19], v[32:33], v[14:15] op_sel:[0,1]
	v_pk_fma_f32 v[30:31], v[32:33], v[12:13], v[18:19] op_sel:[0,0,1] op_sel_hi:[1,1,0] neg_lo:[0,0,1] neg_hi:[0,0,1]
	v_pk_fma_f32 v[18:19], v[32:33], v[12:13], v[18:19] op_sel:[0,0,1] op_sel_hi:[1,0,0]
	s_delay_alu instid0(VALU_DEP_1) | instskip(SKIP_1) | instid1(VALU_DEP_2)
	v_mov_b32_e32 v31, v19
	v_pk_add_f32 v[38:39], v[38:39], v[34:35] neg_lo:[0,1] neg_hi:[0,1]
	v_pk_add_f32 v[40:41], v[40:41], v[30:31] neg_lo:[0,1] neg_hi:[0,1]
	ds_load_2addr_b64 v[30:33], v236 offset0:11 offset1:12
	s_wait_dscnt 0x0
	v_pk_mul_f32 v[18:19], v[30:31], v[14:15] op_sel:[0,1]
	s_delay_alu instid0(VALU_DEP_1) | instskip(SKIP_2) | instid1(VALU_DEP_2)
	v_pk_fma_f32 v[34:35], v[30:31], v[12:13], v[18:19] op_sel:[0,0,1] op_sel_hi:[1,1,0] neg_lo:[0,0,1] neg_hi:[0,0,1]
	v_pk_fma_f32 v[18:19], v[30:31], v[12:13], v[18:19] op_sel:[0,0,1] op_sel_hi:[1,0,0]
	v_dual_mul_f32 v30, v33, v15 :: v_dual_mov_b32 v18, v33
	v_dual_mov_b32 v35, v19 :: v_dual_mov_b32 v19, v32
	s_delay_alu instid0(VALU_DEP_2) | instskip(SKIP_1) | instid1(VALU_DEP_3)
	v_pk_fma_f32 v[30:31], v[32:33], v[42:43], v[30:31] op_sel_hi:[1,1,0] neg_lo:[0,0,1] neg_hi:[0,0,1]
	v_mul_f32_e32 v32, v33, v12
	v_pk_add_f32 v[36:37], v[36:37], v[34:35] neg_lo:[0,1] neg_hi:[0,1]
	s_delay_alu instid0(VALU_DEP_2) | instskip(NEXT) | instid1(VALU_DEP_1)
	v_pk_fma_f32 v[18:19], v[18:19], v[42:43], v[32:33] op_sel_hi:[1,1,0]
	v_mov_b32_e32 v31, v19
	s_delay_alu instid0(VALU_DEP_1) | instskip(SKIP_3) | instid1(VALU_DEP_1)
	v_pk_add_f32 v[66:67], v[66:67], v[30:31] neg_lo:[0,1] neg_hi:[0,1]
	ds_load_2addr_b64 v[30:33], v236 offset0:13 offset1:14
	s_wait_dscnt 0x0
	v_pk_mul_f32 v[18:19], v[30:31], v[14:15] op_sel:[0,1]
	v_pk_fma_f32 v[34:35], v[30:31], v[12:13], v[18:19] op_sel:[0,0,1] op_sel_hi:[1,1,0] neg_lo:[0,0,1] neg_hi:[0,0,1]
	v_pk_fma_f32 v[18:19], v[30:31], v[12:13], v[18:19] op_sel:[0,0,1] op_sel_hi:[1,0,0]
	s_delay_alu instid0(VALU_DEP_1) | instskip(SKIP_1) | instid1(VALU_DEP_1)
	v_mov_b32_e32 v35, v19
	v_pk_mul_f32 v[18:19], v[32:33], v[14:15] op_sel:[0,1]
	v_pk_fma_f32 v[30:31], v[32:33], v[12:13], v[18:19] op_sel:[0,0,1] op_sel_hi:[1,1,0] neg_lo:[0,0,1] neg_hi:[0,0,1]
	v_pk_fma_f32 v[18:19], v[32:33], v[12:13], v[18:19] op_sel:[0,0,1] op_sel_hi:[1,0,0]
	s_delay_alu instid0(VALU_DEP_1) | instskip(SKIP_1) | instid1(VALU_DEP_2)
	v_mov_b32_e32 v31, v19
	v_pk_add_f32 v[62:63], v[62:63], v[34:35] neg_lo:[0,1] neg_hi:[0,1]
	v_pk_add_f32 v[64:65], v[64:65], v[30:31] neg_lo:[0,1] neg_hi:[0,1]
	ds_load_2addr_b64 v[30:33], v236 offset0:15 offset1:16
	s_wait_dscnt 0x0
	v_pk_mul_f32 v[18:19], v[30:31], v[14:15] op_sel:[0,1]
	s_delay_alu instid0(VALU_DEP_1) | instskip(SKIP_1) | instid1(VALU_DEP_1)
	v_pk_fma_f32 v[34:35], v[30:31], v[12:13], v[18:19] op_sel:[0,0,1] op_sel_hi:[1,1,0] neg_lo:[0,0,1] neg_hi:[0,0,1]
	v_pk_fma_f32 v[18:19], v[30:31], v[12:13], v[18:19] op_sel:[0,0,1] op_sel_hi:[1,0,0]
	v_mov_b32_e32 v35, v19
	v_pk_mul_f32 v[18:19], v[32:33], v[14:15] op_sel:[0,1]
	s_delay_alu instid0(VALU_DEP_1) | instskip(SKIP_1) | instid1(VALU_DEP_1)
	v_pk_fma_f32 v[30:31], v[32:33], v[12:13], v[18:19] op_sel:[0,0,1] op_sel_hi:[1,1,0] neg_lo:[0,0,1] neg_hi:[0,0,1]
	v_pk_fma_f32 v[18:19], v[32:33], v[12:13], v[18:19] op_sel:[0,0,1] op_sel_hi:[1,0,0]
	v_mov_b32_e32 v31, v19
	v_pk_add_f32 v[60:61], v[60:61], v[34:35] neg_lo:[0,1] neg_hi:[0,1]
	s_delay_alu instid0(VALU_DEP_2) | instskip(SKIP_3) | instid1(VALU_DEP_1)
	v_pk_add_f32 v[82:83], v[82:83], v[30:31] neg_lo:[0,1] neg_hi:[0,1]
	ds_load_2addr_b64 v[30:33], v236 offset0:17 offset1:18
	s_wait_dscnt 0x0
	v_dual_mul_f32 v18, v31, v15 :: v_dual_mul_f32 v34, v31, v12
	v_pk_fma_f32 v[18:19], v[30:31], v[42:43], v[18:19] op_sel_hi:[1,1,0] neg_lo:[0,0,1] neg_hi:[0,0,1]
	s_delay_alu instid0(VALU_DEP_2) | instskip(NEXT) | instid1(VALU_DEP_1)
	v_pk_fma_f32 v[30:31], v[30:31], v[42:43], v[34:35] op_sel:[1,0,0] op_sel_hi:[0,1,0]
	v_mov_b32_e32 v19, v31
	s_delay_alu instid0(VALU_DEP_1) | instskip(SKIP_1) | instid1(VALU_DEP_1)
	v_pk_add_f32 v[78:79], v[78:79], v[18:19] neg_lo:[0,1] neg_hi:[0,1]
	v_pk_mul_f32 v[18:19], v[32:33], v[14:15] op_sel:[0,1]
	v_pk_fma_f32 v[30:31], v[32:33], v[12:13], v[18:19] op_sel:[0,0,1] op_sel_hi:[1,1,0] neg_lo:[0,0,1] neg_hi:[0,0,1]
	v_pk_fma_f32 v[18:19], v[32:33], v[12:13], v[18:19] op_sel:[0,0,1] op_sel_hi:[1,0,0]
	s_delay_alu instid0(VALU_DEP_1) | instskip(NEXT) | instid1(VALU_DEP_1)
	v_mov_b32_e32 v31, v19
	v_pk_add_f32 v[80:81], v[80:81], v[30:31] neg_lo:[0,1] neg_hi:[0,1]
	ds_load_2addr_b64 v[30:33], v236 offset0:19 offset1:20
	s_wait_dscnt 0x0
	v_pk_mul_f32 v[18:19], v[30:31], v[14:15] op_sel:[0,1]
	s_delay_alu instid0(VALU_DEP_1) | instskip(SKIP_1) | instid1(VALU_DEP_1)
	v_pk_fma_f32 v[34:35], v[30:31], v[12:13], v[18:19] op_sel:[0,0,1] op_sel_hi:[1,1,0] neg_lo:[0,0,1] neg_hi:[0,0,1]
	v_pk_fma_f32 v[18:19], v[30:31], v[12:13], v[18:19] op_sel:[0,0,1] op_sel_hi:[1,0,0]
	v_mov_b32_e32 v35, v19
	v_pk_mul_f32 v[18:19], v[32:33], v[14:15] op_sel:[0,1]
	s_delay_alu instid0(VALU_DEP_2) | instskip(NEXT) | instid1(VALU_DEP_2)
	v_pk_add_f32 v[76:77], v[76:77], v[34:35] neg_lo:[0,1] neg_hi:[0,1]
	v_pk_fma_f32 v[30:31], v[32:33], v[12:13], v[18:19] op_sel:[0,0,1] op_sel_hi:[1,1,0] neg_lo:[0,0,1] neg_hi:[0,0,1]
	v_pk_fma_f32 v[18:19], v[32:33], v[12:13], v[18:19] op_sel:[0,0,1] op_sel_hi:[1,0,0]
	s_delay_alu instid0(VALU_DEP_1) | instskip(NEXT) | instid1(VALU_DEP_1)
	v_mov_b32_e32 v31, v19
	v_pk_add_f32 v[98:99], v[98:99], v[30:31] neg_lo:[0,1] neg_hi:[0,1]
	ds_load_2addr_b64 v[30:33], v236 offset0:21 offset1:22
	s_wait_dscnt 0x0
	v_pk_mul_f32 v[18:19], v[30:31], v[14:15] op_sel:[0,1]
	s_delay_alu instid0(VALU_DEP_1) | instskip(SKIP_2) | instid1(VALU_DEP_2)
	v_pk_fma_f32 v[34:35], v[30:31], v[12:13], v[18:19] op_sel:[0,0,1] op_sel_hi:[1,1,0] neg_lo:[0,0,1] neg_hi:[0,0,1]
	v_pk_fma_f32 v[18:19], v[30:31], v[12:13], v[18:19] op_sel:[0,0,1] op_sel_hi:[1,0,0]
	v_dual_mul_f32 v30, v33, v15 :: v_dual_mov_b32 v18, v33
	v_dual_mov_b32 v35, v19 :: v_dual_mov_b32 v19, v32
	s_delay_alu instid0(VALU_DEP_2) | instskip(SKIP_1) | instid1(VALU_DEP_3)
	v_pk_fma_f32 v[30:31], v[32:33], v[42:43], v[30:31] op_sel_hi:[1,1,0] neg_lo:[0,0,1] neg_hi:[0,0,1]
	v_mul_f32_e32 v32, v33, v12
	v_pk_add_f32 v[94:95], v[94:95], v[34:35] neg_lo:[0,1] neg_hi:[0,1]
	s_delay_alu instid0(VALU_DEP_2) | instskip(NEXT) | instid1(VALU_DEP_1)
	v_pk_fma_f32 v[18:19], v[18:19], v[42:43], v[32:33] op_sel_hi:[1,1,0]
	v_mov_b32_e32 v31, v19
	s_delay_alu instid0(VALU_DEP_1) | instskip(SKIP_3) | instid1(VALU_DEP_1)
	v_pk_add_f32 v[96:97], v[96:97], v[30:31] neg_lo:[0,1] neg_hi:[0,1]
	ds_load_2addr_b64 v[30:33], v236 offset0:23 offset1:24
	s_wait_dscnt 0x0
	v_pk_mul_f32 v[18:19], v[30:31], v[14:15] op_sel:[0,1]
	v_pk_fma_f32 v[34:35], v[30:31], v[12:13], v[18:19] op_sel:[0,0,1] op_sel_hi:[1,1,0] neg_lo:[0,0,1] neg_hi:[0,0,1]
	v_pk_fma_f32 v[18:19], v[30:31], v[12:13], v[18:19] op_sel:[0,0,1] op_sel_hi:[1,0,0]
	s_delay_alu instid0(VALU_DEP_1) | instskip(SKIP_1) | instid1(VALU_DEP_1)
	v_mov_b32_e32 v35, v19
	v_pk_mul_f32 v[18:19], v[32:33], v[14:15] op_sel:[0,1]
	v_pk_fma_f32 v[30:31], v[32:33], v[12:13], v[18:19] op_sel:[0,0,1] op_sel_hi:[1,1,0] neg_lo:[0,0,1] neg_hi:[0,0,1]
	v_pk_fma_f32 v[18:19], v[32:33], v[12:13], v[18:19] op_sel:[0,0,1] op_sel_hi:[1,0,0]
	s_delay_alu instid0(VALU_DEP_1) | instskip(SKIP_1) | instid1(VALU_DEP_2)
	v_mov_b32_e32 v31, v19
	v_pk_add_f32 v[92:93], v[92:93], v[34:35] neg_lo:[0,1] neg_hi:[0,1]
	v_pk_add_f32 v[114:115], v[114:115], v[30:31] neg_lo:[0,1] neg_hi:[0,1]
	ds_load_2addr_b64 v[30:33], v236 offset0:25 offset1:26
	s_wait_dscnt 0x0
	v_pk_mul_f32 v[18:19], v[30:31], v[14:15] op_sel:[0,1]
	s_delay_alu instid0(VALU_DEP_1) | instskip(SKIP_1) | instid1(VALU_DEP_1)
	v_pk_fma_f32 v[34:35], v[30:31], v[12:13], v[18:19] op_sel:[0,0,1] op_sel_hi:[1,1,0] neg_lo:[0,0,1] neg_hi:[0,0,1]
	v_pk_fma_f32 v[18:19], v[30:31], v[12:13], v[18:19] op_sel:[0,0,1] op_sel_hi:[1,0,0]
	v_mov_b32_e32 v35, v19
	v_pk_mul_f32 v[18:19], v[32:33], v[14:15] op_sel:[0,1]
	s_delay_alu instid0(VALU_DEP_1) | instskip(SKIP_1) | instid1(VALU_DEP_1)
	v_pk_fma_f32 v[30:31], v[32:33], v[12:13], v[18:19] op_sel:[0,0,1] op_sel_hi:[1,1,0] neg_lo:[0,0,1] neg_hi:[0,0,1]
	v_pk_fma_f32 v[18:19], v[32:33], v[12:13], v[18:19] op_sel:[0,0,1] op_sel_hi:[1,0,0]
	v_mov_b32_e32 v31, v19
	v_pk_add_f32 v[110:111], v[110:111], v[34:35] neg_lo:[0,1] neg_hi:[0,1]
	s_delay_alu instid0(VALU_DEP_2) | instskip(SKIP_3) | instid1(VALU_DEP_1)
	v_pk_add_f32 v[112:113], v[112:113], v[30:31] neg_lo:[0,1] neg_hi:[0,1]
	ds_load_2addr_b64 v[30:33], v236 offset0:27 offset1:28
	s_wait_dscnt 0x0
	v_dual_mul_f32 v18, v31, v15 :: v_dual_mul_f32 v34, v31, v12
	v_pk_fma_f32 v[18:19], v[30:31], v[42:43], v[18:19] op_sel_hi:[1,1,0] neg_lo:[0,0,1] neg_hi:[0,0,1]
	s_delay_alu instid0(VALU_DEP_2) | instskip(NEXT) | instid1(VALU_DEP_1)
	v_pk_fma_f32 v[30:31], v[30:31], v[42:43], v[34:35] op_sel:[1,0,0] op_sel_hi:[0,1,0]
	v_mov_b32_e32 v19, v31
	s_delay_alu instid0(VALU_DEP_1) | instskip(SKIP_1) | instid1(VALU_DEP_1)
	v_pk_add_f32 v[108:109], v[108:109], v[18:19] neg_lo:[0,1] neg_hi:[0,1]
	v_pk_mul_f32 v[18:19], v[32:33], v[14:15] op_sel:[0,1]
	v_pk_fma_f32 v[30:31], v[32:33], v[12:13], v[18:19] op_sel:[0,0,1] op_sel_hi:[1,1,0] neg_lo:[0,0,1] neg_hi:[0,0,1]
	v_pk_fma_f32 v[18:19], v[32:33], v[12:13], v[18:19] op_sel:[0,0,1] op_sel_hi:[1,0,0]
	s_delay_alu instid0(VALU_DEP_1) | instskip(NEXT) | instid1(VALU_DEP_1)
	v_mov_b32_e32 v31, v19
	v_pk_add_f32 v[130:131], v[130:131], v[30:31] neg_lo:[0,1] neg_hi:[0,1]
	ds_load_2addr_b64 v[30:33], v236 offset0:29 offset1:30
	s_wait_dscnt 0x0
	v_pk_mul_f32 v[18:19], v[30:31], v[14:15] op_sel:[0,1]
	s_delay_alu instid0(VALU_DEP_1) | instskip(SKIP_1) | instid1(VALU_DEP_1)
	v_pk_fma_f32 v[34:35], v[30:31], v[12:13], v[18:19] op_sel:[0,0,1] op_sel_hi:[1,1,0] neg_lo:[0,0,1] neg_hi:[0,0,1]
	v_pk_fma_f32 v[18:19], v[30:31], v[12:13], v[18:19] op_sel:[0,0,1] op_sel_hi:[1,0,0]
	v_mov_b32_e32 v35, v19
	v_pk_mul_f32 v[18:19], v[32:33], v[14:15] op_sel:[0,1]
	s_delay_alu instid0(VALU_DEP_2) | instskip(NEXT) | instid1(VALU_DEP_2)
	v_pk_add_f32 v[126:127], v[126:127], v[34:35] neg_lo:[0,1] neg_hi:[0,1]
	v_pk_fma_f32 v[30:31], v[32:33], v[12:13], v[18:19] op_sel:[0,0,1] op_sel_hi:[1,1,0] neg_lo:[0,0,1] neg_hi:[0,0,1]
	v_pk_fma_f32 v[18:19], v[32:33], v[12:13], v[18:19] op_sel:[0,0,1] op_sel_hi:[1,0,0]
	s_delay_alu instid0(VALU_DEP_1) | instskip(NEXT) | instid1(VALU_DEP_1)
	v_mov_b32_e32 v31, v19
	v_pk_add_f32 v[128:129], v[128:129], v[30:31] neg_lo:[0,1] neg_hi:[0,1]
	ds_load_2addr_b64 v[30:33], v236 offset0:31 offset1:32
	s_wait_dscnt 0x0
	v_pk_mul_f32 v[18:19], v[30:31], v[14:15] op_sel:[0,1]
	s_delay_alu instid0(VALU_DEP_1) | instskip(SKIP_2) | instid1(VALU_DEP_2)
	v_pk_fma_f32 v[34:35], v[30:31], v[12:13], v[18:19] op_sel:[0,0,1] op_sel_hi:[1,1,0] neg_lo:[0,0,1] neg_hi:[0,0,1]
	v_pk_fma_f32 v[18:19], v[30:31], v[12:13], v[18:19] op_sel:[0,0,1] op_sel_hi:[1,0,0]
	v_dual_mul_f32 v30, v33, v15 :: v_dual_mov_b32 v18, v33
	v_dual_mov_b32 v35, v19 :: v_dual_mov_b32 v19, v32
	s_delay_alu instid0(VALU_DEP_2) | instskip(SKIP_1) | instid1(VALU_DEP_3)
	v_pk_fma_f32 v[30:31], v[32:33], v[42:43], v[30:31] op_sel_hi:[1,1,0] neg_lo:[0,0,1] neg_hi:[0,0,1]
	v_mul_f32_e32 v32, v33, v12
	v_pk_add_f32 v[124:125], v[124:125], v[34:35] neg_lo:[0,1] neg_hi:[0,1]
	s_delay_alu instid0(VALU_DEP_2) | instskip(NEXT) | instid1(VALU_DEP_1)
	v_pk_fma_f32 v[18:19], v[18:19], v[42:43], v[32:33] op_sel_hi:[1,1,0]
	v_mov_b32_e32 v31, v19
	s_delay_alu instid0(VALU_DEP_1) | instskip(SKIP_3) | instid1(VALU_DEP_1)
	v_pk_add_f32 v[146:147], v[146:147], v[30:31] neg_lo:[0,1] neg_hi:[0,1]
	ds_load_2addr_b64 v[30:33], v236 offset0:33 offset1:34
	s_wait_dscnt 0x0
	v_pk_mul_f32 v[18:19], v[30:31], v[14:15] op_sel:[0,1]
	v_pk_fma_f32 v[34:35], v[30:31], v[12:13], v[18:19] op_sel:[0,0,1] op_sel_hi:[1,1,0] neg_lo:[0,0,1] neg_hi:[0,0,1]
	v_pk_fma_f32 v[18:19], v[30:31], v[12:13], v[18:19] op_sel:[0,0,1] op_sel_hi:[1,0,0]
	s_delay_alu instid0(VALU_DEP_1) | instskip(SKIP_1) | instid1(VALU_DEP_1)
	v_mov_b32_e32 v35, v19
	v_pk_mul_f32 v[18:19], v[32:33], v[14:15] op_sel:[0,1]
	v_pk_fma_f32 v[30:31], v[32:33], v[12:13], v[18:19] op_sel:[0,0,1] op_sel_hi:[1,1,0] neg_lo:[0,0,1] neg_hi:[0,0,1]
	v_pk_fma_f32 v[18:19], v[32:33], v[12:13], v[18:19] op_sel:[0,0,1] op_sel_hi:[1,0,0]
	s_delay_alu instid0(VALU_DEP_1) | instskip(SKIP_1) | instid1(VALU_DEP_2)
	v_mov_b32_e32 v31, v19
	v_pk_add_f32 v[142:143], v[142:143], v[34:35] neg_lo:[0,1] neg_hi:[0,1]
	v_pk_add_f32 v[144:145], v[144:145], v[30:31] neg_lo:[0,1] neg_hi:[0,1]
	ds_load_2addr_b64 v[30:33], v236 offset0:35 offset1:36
	s_wait_dscnt 0x0
	v_pk_mul_f32 v[18:19], v[30:31], v[14:15] op_sel:[0,1]
	s_delay_alu instid0(VALU_DEP_1) | instskip(SKIP_1) | instid1(VALU_DEP_1)
	v_pk_fma_f32 v[34:35], v[30:31], v[12:13], v[18:19] op_sel:[0,0,1] op_sel_hi:[1,1,0] neg_lo:[0,0,1] neg_hi:[0,0,1]
	v_pk_fma_f32 v[18:19], v[30:31], v[12:13], v[18:19] op_sel:[0,0,1] op_sel_hi:[1,0,0]
	v_mov_b32_e32 v35, v19
	v_pk_mul_f32 v[18:19], v[32:33], v[14:15] op_sel:[0,1]
	s_delay_alu instid0(VALU_DEP_1) | instskip(SKIP_1) | instid1(VALU_DEP_1)
	v_pk_fma_f32 v[30:31], v[32:33], v[12:13], v[18:19] op_sel:[0,0,1] op_sel_hi:[1,1,0] neg_lo:[0,0,1] neg_hi:[0,0,1]
	v_pk_fma_f32 v[18:19], v[32:33], v[12:13], v[18:19] op_sel:[0,0,1] op_sel_hi:[1,0,0]
	v_mov_b32_e32 v31, v19
	v_pk_add_f32 v[140:141], v[140:141], v[34:35] neg_lo:[0,1] neg_hi:[0,1]
	s_delay_alu instid0(VALU_DEP_2) | instskip(SKIP_3) | instid1(VALU_DEP_1)
	v_pk_add_f32 v[162:163], v[162:163], v[30:31] neg_lo:[0,1] neg_hi:[0,1]
	ds_load_2addr_b64 v[30:33], v236 offset0:37 offset1:38
	s_wait_dscnt 0x0
	v_dual_mul_f32 v18, v31, v15 :: v_dual_mul_f32 v34, v31, v12
	v_pk_fma_f32 v[18:19], v[30:31], v[42:43], v[18:19] op_sel_hi:[1,1,0] neg_lo:[0,0,1] neg_hi:[0,0,1]
	s_delay_alu instid0(VALU_DEP_2) | instskip(NEXT) | instid1(VALU_DEP_1)
	v_pk_fma_f32 v[30:31], v[30:31], v[42:43], v[34:35] op_sel:[1,0,0] op_sel_hi:[0,1,0]
	v_mov_b32_e32 v19, v31
	s_delay_alu instid0(VALU_DEP_1) | instskip(SKIP_1) | instid1(VALU_DEP_1)
	v_pk_add_f32 v[158:159], v[158:159], v[18:19] neg_lo:[0,1] neg_hi:[0,1]
	v_pk_mul_f32 v[18:19], v[32:33], v[14:15] op_sel:[0,1]
	v_pk_fma_f32 v[30:31], v[32:33], v[12:13], v[18:19] op_sel:[0,0,1] op_sel_hi:[1,1,0] neg_lo:[0,0,1] neg_hi:[0,0,1]
	v_pk_fma_f32 v[18:19], v[32:33], v[12:13], v[18:19] op_sel:[0,0,1] op_sel_hi:[1,0,0]
	s_delay_alu instid0(VALU_DEP_1) | instskip(NEXT) | instid1(VALU_DEP_1)
	v_mov_b32_e32 v31, v19
	v_pk_add_f32 v[160:161], v[160:161], v[30:31] neg_lo:[0,1] neg_hi:[0,1]
	ds_load_2addr_b64 v[30:33], v236 offset0:39 offset1:40
	s_wait_dscnt 0x0
	v_pk_mul_f32 v[18:19], v[30:31], v[14:15] op_sel:[0,1]
	s_delay_alu instid0(VALU_DEP_1) | instskip(SKIP_1) | instid1(VALU_DEP_1)
	v_pk_fma_f32 v[34:35], v[30:31], v[12:13], v[18:19] op_sel:[0,0,1] op_sel_hi:[1,1,0] neg_lo:[0,0,1] neg_hi:[0,0,1]
	v_pk_fma_f32 v[18:19], v[30:31], v[12:13], v[18:19] op_sel:[0,0,1] op_sel_hi:[1,0,0]
	v_mov_b32_e32 v35, v19
	v_pk_mul_f32 v[18:19], v[32:33], v[14:15] op_sel:[0,1]
	s_delay_alu instid0(VALU_DEP_2) | instskip(NEXT) | instid1(VALU_DEP_2)
	v_pk_add_f32 v[156:157], v[156:157], v[34:35] neg_lo:[0,1] neg_hi:[0,1]
	v_pk_fma_f32 v[30:31], v[32:33], v[12:13], v[18:19] op_sel:[0,0,1] op_sel_hi:[1,1,0] neg_lo:[0,0,1] neg_hi:[0,0,1]
	v_pk_fma_f32 v[18:19], v[32:33], v[12:13], v[18:19] op_sel:[0,0,1] op_sel_hi:[1,0,0]
	s_delay_alu instid0(VALU_DEP_1) | instskip(NEXT) | instid1(VALU_DEP_1)
	v_mov_b32_e32 v31, v19
	v_pk_add_f32 v[178:179], v[178:179], v[30:31] neg_lo:[0,1] neg_hi:[0,1]
	ds_load_2addr_b64 v[30:33], v236 offset0:41 offset1:42
	s_wait_dscnt 0x0
	v_pk_mul_f32 v[18:19], v[30:31], v[14:15] op_sel:[0,1]
	s_delay_alu instid0(VALU_DEP_1) | instskip(SKIP_2) | instid1(VALU_DEP_2)
	v_pk_fma_f32 v[34:35], v[30:31], v[12:13], v[18:19] op_sel:[0,0,1] op_sel_hi:[1,1,0] neg_lo:[0,0,1] neg_hi:[0,0,1]
	v_pk_fma_f32 v[18:19], v[30:31], v[12:13], v[18:19] op_sel:[0,0,1] op_sel_hi:[1,0,0]
	v_dual_mul_f32 v30, v33, v15 :: v_dual_mov_b32 v18, v33
	v_dual_mov_b32 v35, v19 :: v_dual_mov_b32 v19, v32
	s_delay_alu instid0(VALU_DEP_2) | instskip(SKIP_1) | instid1(VALU_DEP_3)
	v_pk_fma_f32 v[30:31], v[32:33], v[42:43], v[30:31] op_sel_hi:[1,1,0] neg_lo:[0,0,1] neg_hi:[0,0,1]
	v_mul_f32_e32 v32, v33, v12
	v_pk_add_f32 v[174:175], v[174:175], v[34:35] neg_lo:[0,1] neg_hi:[0,1]
	s_delay_alu instid0(VALU_DEP_2) | instskip(NEXT) | instid1(VALU_DEP_1)
	v_pk_fma_f32 v[18:19], v[18:19], v[42:43], v[32:33] op_sel_hi:[1,1,0]
	v_mov_b32_e32 v31, v19
	s_delay_alu instid0(VALU_DEP_1) | instskip(SKIP_3) | instid1(VALU_DEP_1)
	v_pk_add_f32 v[176:177], v[176:177], v[30:31] neg_lo:[0,1] neg_hi:[0,1]
	ds_load_2addr_b64 v[30:33], v236 offset0:43 offset1:44
	s_wait_dscnt 0x0
	v_pk_mul_f32 v[18:19], v[30:31], v[14:15] op_sel:[0,1]
	v_pk_fma_f32 v[34:35], v[30:31], v[12:13], v[18:19] op_sel:[0,0,1] op_sel_hi:[1,1,0] neg_lo:[0,0,1] neg_hi:[0,0,1]
	v_pk_fma_f32 v[18:19], v[30:31], v[12:13], v[18:19] op_sel:[0,0,1] op_sel_hi:[1,0,0]
	s_delay_alu instid0(VALU_DEP_1) | instskip(SKIP_1) | instid1(VALU_DEP_1)
	v_mov_b32_e32 v35, v19
	v_pk_mul_f32 v[18:19], v[32:33], v[14:15] op_sel:[0,1]
	v_pk_fma_f32 v[30:31], v[32:33], v[12:13], v[18:19] op_sel:[0,0,1] op_sel_hi:[1,1,0] neg_lo:[0,0,1] neg_hi:[0,0,1]
	v_pk_fma_f32 v[18:19], v[32:33], v[12:13], v[18:19] op_sel:[0,0,1] op_sel_hi:[1,0,0]
	s_delay_alu instid0(VALU_DEP_1) | instskip(SKIP_1) | instid1(VALU_DEP_2)
	v_mov_b32_e32 v31, v19
	v_pk_add_f32 v[172:173], v[172:173], v[34:35] neg_lo:[0,1] neg_hi:[0,1]
	v_pk_add_f32 v[194:195], v[194:195], v[30:31] neg_lo:[0,1] neg_hi:[0,1]
	ds_load_2addr_b64 v[30:33], v236 offset0:45 offset1:46
	s_wait_dscnt 0x0
	v_pk_mul_f32 v[18:19], v[30:31], v[14:15] op_sel:[0,1]
	s_delay_alu instid0(VALU_DEP_1) | instskip(SKIP_1) | instid1(VALU_DEP_1)
	v_pk_fma_f32 v[34:35], v[30:31], v[12:13], v[18:19] op_sel:[0,0,1] op_sel_hi:[1,1,0] neg_lo:[0,0,1] neg_hi:[0,0,1]
	v_pk_fma_f32 v[18:19], v[30:31], v[12:13], v[18:19] op_sel:[0,0,1] op_sel_hi:[1,0,0]
	v_mov_b32_e32 v35, v19
	v_pk_mul_f32 v[18:19], v[32:33], v[14:15] op_sel:[0,1]
	s_delay_alu instid0(VALU_DEP_1) | instskip(SKIP_1) | instid1(VALU_DEP_1)
	v_pk_fma_f32 v[30:31], v[32:33], v[12:13], v[18:19] op_sel:[0,0,1] op_sel_hi:[1,1,0] neg_lo:[0,0,1] neg_hi:[0,0,1]
	v_pk_fma_f32 v[18:19], v[32:33], v[12:13], v[18:19] op_sel:[0,0,1] op_sel_hi:[1,0,0]
	v_mov_b32_e32 v31, v19
	v_pk_add_f32 v[190:191], v[190:191], v[34:35] neg_lo:[0,1] neg_hi:[0,1]
	s_delay_alu instid0(VALU_DEP_2) | instskip(SKIP_3) | instid1(VALU_DEP_1)
	v_pk_add_f32 v[192:193], v[192:193], v[30:31] neg_lo:[0,1] neg_hi:[0,1]
	ds_load_2addr_b64 v[30:33], v236 offset0:47 offset1:48
	s_wait_dscnt 0x0
	v_dual_mul_f32 v18, v31, v15 :: v_dual_mul_f32 v34, v31, v12
	v_pk_fma_f32 v[18:19], v[30:31], v[42:43], v[18:19] op_sel_hi:[1,1,0] neg_lo:[0,0,1] neg_hi:[0,0,1]
	s_delay_alu instid0(VALU_DEP_2) | instskip(NEXT) | instid1(VALU_DEP_1)
	v_pk_fma_f32 v[30:31], v[30:31], v[42:43], v[34:35] op_sel:[1,0,0] op_sel_hi:[0,1,0]
	v_mov_b32_e32 v19, v31
	s_delay_alu instid0(VALU_DEP_1) | instskip(SKIP_1) | instid1(VALU_DEP_1)
	v_pk_add_f32 v[188:189], v[188:189], v[18:19] neg_lo:[0,1] neg_hi:[0,1]
	v_pk_mul_f32 v[18:19], v[32:33], v[14:15] op_sel:[0,1]
	v_pk_fma_f32 v[30:31], v[32:33], v[12:13], v[18:19] op_sel:[0,0,1] op_sel_hi:[1,1,0] neg_lo:[0,0,1] neg_hi:[0,0,1]
	v_pk_fma_f32 v[18:19], v[32:33], v[12:13], v[18:19] op_sel:[0,0,1] op_sel_hi:[1,0,0]
	s_delay_alu instid0(VALU_DEP_1) | instskip(NEXT) | instid1(VALU_DEP_1)
	v_mov_b32_e32 v31, v19
	v_pk_add_f32 v[210:211], v[210:211], v[30:31] neg_lo:[0,1] neg_hi:[0,1]
	ds_load_2addr_b64 v[30:33], v236 offset0:49 offset1:50
	s_wait_dscnt 0x0
	v_pk_mul_f32 v[18:19], v[30:31], v[14:15] op_sel:[0,1]
	s_delay_alu instid0(VALU_DEP_1) | instskip(SKIP_1) | instid1(VALU_DEP_1)
	v_pk_fma_f32 v[34:35], v[30:31], v[12:13], v[18:19] op_sel:[0,0,1] op_sel_hi:[1,1,0] neg_lo:[0,0,1] neg_hi:[0,0,1]
	v_pk_fma_f32 v[18:19], v[30:31], v[12:13], v[18:19] op_sel:[0,0,1] op_sel_hi:[1,0,0]
	v_mov_b32_e32 v35, v19
	v_pk_mul_f32 v[18:19], v[32:33], v[14:15] op_sel:[0,1]
	s_delay_alu instid0(VALU_DEP_2) | instskip(NEXT) | instid1(VALU_DEP_2)
	v_pk_add_f32 v[206:207], v[206:207], v[34:35] neg_lo:[0,1] neg_hi:[0,1]
	v_pk_fma_f32 v[30:31], v[32:33], v[12:13], v[18:19] op_sel:[0,0,1] op_sel_hi:[1,1,0] neg_lo:[0,0,1] neg_hi:[0,0,1]
	v_pk_fma_f32 v[18:19], v[32:33], v[12:13], v[18:19] op_sel:[0,0,1] op_sel_hi:[1,0,0]
	s_delay_alu instid0(VALU_DEP_1) | instskip(NEXT) | instid1(VALU_DEP_1)
	v_mov_b32_e32 v31, v19
	v_pk_add_f32 v[208:209], v[208:209], v[30:31] neg_lo:[0,1] neg_hi:[0,1]
	ds_load_2addr_b64 v[30:33], v236 offset0:51 offset1:52
	s_wait_dscnt 0x0
	v_pk_mul_f32 v[18:19], v[30:31], v[14:15] op_sel:[0,1]
	s_delay_alu instid0(VALU_DEP_1) | instskip(SKIP_2) | instid1(VALU_DEP_2)
	v_pk_fma_f32 v[34:35], v[30:31], v[12:13], v[18:19] op_sel:[0,0,1] op_sel_hi:[1,1,0] neg_lo:[0,0,1] neg_hi:[0,0,1]
	v_pk_fma_f32 v[18:19], v[30:31], v[12:13], v[18:19] op_sel:[0,0,1] op_sel_hi:[1,0,0]
	v_dual_mul_f32 v30, v33, v15 :: v_dual_mov_b32 v18, v33
	v_dual_mov_b32 v35, v19 :: v_dual_mov_b32 v19, v32
	s_delay_alu instid0(VALU_DEP_2) | instskip(SKIP_1) | instid1(VALU_DEP_3)
	v_pk_fma_f32 v[30:31], v[32:33], v[42:43], v[30:31] op_sel_hi:[1,1,0] neg_lo:[0,0,1] neg_hi:[0,0,1]
	v_mul_f32_e32 v32, v33, v12
	v_pk_add_f32 v[204:205], v[204:205], v[34:35] neg_lo:[0,1] neg_hi:[0,1]
	s_delay_alu instid0(VALU_DEP_2) | instskip(NEXT) | instid1(VALU_DEP_1)
	v_pk_fma_f32 v[18:19], v[18:19], v[42:43], v[32:33] op_sel_hi:[1,1,0]
	v_mov_b32_e32 v31, v19
	s_delay_alu instid0(VALU_DEP_1) | instskip(SKIP_3) | instid1(VALU_DEP_1)
	v_pk_add_f32 v[228:229], v[228:229], v[30:31] neg_lo:[0,1] neg_hi:[0,1]
	ds_load_2addr_b64 v[30:33], v236 offset0:53 offset1:54
	s_wait_dscnt 0x0
	v_pk_mul_f32 v[18:19], v[30:31], v[14:15] op_sel:[0,1]
	v_pk_fma_f32 v[34:35], v[30:31], v[12:13], v[18:19] op_sel:[0,0,1] op_sel_hi:[1,1,0] neg_lo:[0,0,1] neg_hi:[0,0,1]
	v_pk_fma_f32 v[18:19], v[30:31], v[12:13], v[18:19] op_sel:[0,0,1] op_sel_hi:[1,0,0]
	s_delay_alu instid0(VALU_DEP_1) | instskip(SKIP_1) | instid1(VALU_DEP_1)
	v_mov_b32_e32 v35, v19
	v_pk_mul_f32 v[18:19], v[32:33], v[14:15] op_sel:[0,1]
	v_pk_fma_f32 v[30:31], v[32:33], v[12:13], v[18:19] op_sel:[0,0,1] op_sel_hi:[1,1,0] neg_lo:[0,0,1] neg_hi:[0,0,1]
	v_pk_fma_f32 v[18:19], v[32:33], v[12:13], v[18:19] op_sel:[0,0,1] op_sel_hi:[1,0,0]
	s_delay_alu instid0(VALU_DEP_1) | instskip(SKIP_1) | instid1(VALU_DEP_2)
	v_mov_b32_e32 v31, v19
	v_pk_add_f32 v[224:225], v[224:225], v[34:35] neg_lo:[0,1] neg_hi:[0,1]
	v_pk_add_f32 v[226:227], v[226:227], v[30:31] neg_lo:[0,1] neg_hi:[0,1]
	ds_load_2addr_b64 v[30:33], v236 offset0:55 offset1:56
	s_wait_dscnt 0x0
	v_pk_mul_f32 v[18:19], v[30:31], v[14:15] op_sel:[0,1]
	s_delay_alu instid0(VALU_DEP_1) | instskip(SKIP_1) | instid1(VALU_DEP_1)
	v_pk_fma_f32 v[34:35], v[30:31], v[12:13], v[18:19] op_sel:[0,0,1] op_sel_hi:[1,1,0] neg_lo:[0,0,1] neg_hi:[0,0,1]
	v_pk_fma_f32 v[18:19], v[30:31], v[12:13], v[18:19] op_sel:[0,0,1] op_sel_hi:[1,0,0]
	v_mov_b32_e32 v35, v19
	v_pk_mul_f32 v[18:19], v[32:33], v[14:15] op_sel:[0,1]
	s_delay_alu instid0(VALU_DEP_1) | instskip(SKIP_1) | instid1(VALU_DEP_1)
	v_pk_fma_f32 v[30:31], v[32:33], v[12:13], v[18:19] op_sel:[0,0,1] op_sel_hi:[1,1,0] neg_lo:[0,0,1] neg_hi:[0,0,1]
	v_pk_fma_f32 v[18:19], v[32:33], v[12:13], v[18:19] op_sel:[0,0,1] op_sel_hi:[1,0,0]
	v_mov_b32_e32 v31, v19
	v_pk_add_f32 v[222:223], v[222:223], v[34:35] neg_lo:[0,1] neg_hi:[0,1]
	s_delay_alu instid0(VALU_DEP_2) | instskip(SKIP_3) | instid1(VALU_DEP_1)
	v_pk_add_f32 v[244:245], v[244:245], v[30:31] neg_lo:[0,1] neg_hi:[0,1]
	ds_load_2addr_b64 v[30:33], v236 offset0:57 offset1:58
	s_wait_dscnt 0x0
	v_dual_mul_f32 v18, v31, v15 :: v_dual_mul_f32 v34, v31, v12
	v_pk_fma_f32 v[18:19], v[30:31], v[42:43], v[18:19] op_sel_hi:[1,1,0] neg_lo:[0,0,1] neg_hi:[0,0,1]
	s_delay_alu instid0(VALU_DEP_2) | instskip(NEXT) | instid1(VALU_DEP_1)
	v_pk_fma_f32 v[30:31], v[30:31], v[42:43], v[34:35] op_sel:[1,0,0] op_sel_hi:[0,1,0]
	v_mov_b32_e32 v19, v31
	s_delay_alu instid0(VALU_DEP_1) | instskip(SKIP_1) | instid1(VALU_DEP_1)
	v_pk_add_f32 v[240:241], v[240:241], v[18:19] neg_lo:[0,1] neg_hi:[0,1]
	v_pk_mul_f32 v[18:19], v[32:33], v[14:15] op_sel:[0,1]
	v_pk_fma_f32 v[30:31], v[32:33], v[12:13], v[18:19] op_sel:[0,0,1] op_sel_hi:[1,1,0] neg_lo:[0,0,1] neg_hi:[0,0,1]
	v_pk_fma_f32 v[18:19], v[32:33], v[12:13], v[18:19] op_sel:[0,0,1] op_sel_hi:[1,0,0]
	s_delay_alu instid0(VALU_DEP_1) | instskip(NEXT) | instid1(VALU_DEP_1)
	v_mov_b32_e32 v31, v19
	v_pk_add_f32 v[242:243], v[242:243], v[30:31] neg_lo:[0,1] neg_hi:[0,1]
	ds_load_2addr_b64 v[30:33], v236 offset0:59 offset1:60
	s_wait_dscnt 0x0
	v_pk_mul_f32 v[18:19], v[30:31], v[14:15] op_sel:[0,1]
	s_delay_alu instid0(VALU_DEP_1) | instskip(SKIP_1) | instid1(VALU_DEP_1)
	v_pk_fma_f32 v[34:35], v[30:31], v[12:13], v[18:19] op_sel:[0,0,1] op_sel_hi:[1,1,0] neg_lo:[0,0,1] neg_hi:[0,0,1]
	v_pk_fma_f32 v[18:19], v[30:31], v[12:13], v[18:19] op_sel:[0,0,1] op_sel_hi:[1,0,0]
	v_mov_b32_e32 v35, v19
	v_pk_mul_f32 v[18:19], v[32:33], v[14:15] op_sel:[0,1]
	s_delay_alu instid0(VALU_DEP_2) | instskip(NEXT) | instid1(VALU_DEP_2)
	v_pk_add_f32 v[238:239], v[238:239], v[34:35] neg_lo:[0,1] neg_hi:[0,1]
	v_pk_fma_f32 v[30:31], v[32:33], v[12:13], v[18:19] op_sel:[0,0,1] op_sel_hi:[1,1,0] neg_lo:[0,0,1] neg_hi:[0,0,1]
	v_pk_fma_f32 v[18:19], v[32:33], v[12:13], v[18:19] op_sel:[0,0,1] op_sel_hi:[1,0,0]
	s_delay_alu instid0(VALU_DEP_1) | instskip(SKIP_4) | instid1(VALU_DEP_1)
	v_mov_b32_e32 v31, v19
	ds_load_b64 v[18:19], v236 offset:488
	v_pk_add_f32 v[246:247], v[246:247], v[30:31] neg_lo:[0,1] neg_hi:[0,1]
	s_wait_dscnt 0x0
	v_pk_mul_f32 v[14:15], v[18:19], v[14:15] op_sel:[0,1]
	v_pk_fma_f32 v[30:31], v[18:19], v[12:13], v[14:15] op_sel:[0,0,1] op_sel_hi:[1,1,0] neg_lo:[0,0,1] neg_hi:[0,0,1]
	v_pk_fma_f32 v[12:13], v[18:19], v[12:13], v[14:15] op_sel:[0,0,1] op_sel_hi:[1,0,0]
	s_delay_alu instid0(VALU_DEP_1) | instskip(NEXT) | instid1(VALU_DEP_1)
	v_mov_b32_e32 v31, v13
	v_pk_add_f32 v[248:249], v[248:249], v[30:31] neg_lo:[0,1] neg_hi:[0,1]
.LBB123_82:
	s_or_b32 exec_lo, exec_lo, s1
	s_delay_alu instid0(SALU_CYCLE_1)
	s_mov_b32 s2, exec_lo
	s_wait_dscnt 0x0
	s_barrier_signal -1
	s_barrier_wait -1
	v_cmpx_eq_u32_e32 9, v234
	s_cbranch_execz .LBB123_89
; %bb.83:
	v_dual_mov_b32 v12, v40 :: v_dual_mov_b32 v13, v41
	v_dual_mov_b32 v14, v36 :: v_dual_mov_b32 v15, v37
	ds_store_b64 v235, v[38:39]
	ds_store_2addr_b64 v236, v[12:13], v[14:15] offset0:10 offset1:11
	v_dual_mov_b32 v12, v66 :: v_dual_mov_b32 v13, v67
	v_dual_mov_b32 v14, v62 :: v_dual_mov_b32 v15, v63
	ds_store_2addr_b64 v236, v[12:13], v[14:15] offset0:12 offset1:13
	v_dual_mov_b32 v12, v64 :: v_dual_mov_b32 v13, v65
	v_dual_mov_b32 v14, v60 :: v_dual_mov_b32 v15, v61
	;; [unrolled: 3-line block ×24, first 2 shown]
	ds_store_2addr_b64 v236, v[12:13], v[14:15] offset0:58 offset1:59
	v_dual_mov_b32 v12, v246 :: v_dual_mov_b32 v13, v247
	ds_store_2addr_b64 v236, v[12:13], v[248:249] offset0:60 offset1:61
	ds_load_b64 v[12:13], v235
	s_wait_dscnt 0x0
	v_cmp_neq_f32_e32 vcc_lo, 0, v12
	v_cmp_neq_f32_e64 s1, 0, v13
	s_or_b32 s1, vcc_lo, s1
	s_delay_alu instid0(SALU_CYCLE_1)
	s_and_b32 exec_lo, exec_lo, s1
	s_cbranch_execz .LBB123_89
; %bb.84:
	v_cmp_ngt_f32_e64 s1, |v12|, |v13|
                                        ; implicit-def: $vgpr14_vgpr15
	s_and_saveexec_b32 s4, s1
	s_delay_alu instid0(SALU_CYCLE_1)
	s_xor_b32 s1, exec_lo, s4
	s_cbranch_execz .LBB123_86
; %bb.85:
	v_div_scale_f32 v0, null, v13, v13, v12
	v_div_scale_f32 v15, vcc_lo, v12, v13, v12
	s_delay_alu instid0(VALU_DEP_2) | instskip(SKIP_1) | instid1(TRANS32_DEP_1)
	v_rcp_f32_e32 v1, v0
	v_nop
	v_fma_f32 v14, -v0, v1, 1.0
	s_delay_alu instid0(VALU_DEP_1) | instskip(NEXT) | instid1(VALU_DEP_1)
	v_fmac_f32_e32 v1, v14, v1
	v_mul_f32_e32 v14, v15, v1
	s_delay_alu instid0(VALU_DEP_1) | instskip(NEXT) | instid1(VALU_DEP_1)
	v_fma_f32 v18, -v0, v14, v15
	v_fmac_f32_e32 v14, v18, v1
	s_delay_alu instid0(VALU_DEP_1) | instskip(NEXT) | instid1(VALU_DEP_1)
	v_fma_f32 v0, -v0, v14, v15
	v_div_fmas_f32 v0, v0, v1, v14
	s_delay_alu instid0(VALU_DEP_1) | instskip(NEXT) | instid1(VALU_DEP_1)
	v_div_fixup_f32 v0, v0, v13, v12
	v_fmac_f32_e32 v13, v12, v0
	s_delay_alu instid0(VALU_DEP_1) | instskip(SKIP_1) | instid1(VALU_DEP_2)
	v_div_scale_f32 v1, null, v13, v13, 1.0
	v_div_scale_f32 v15, vcc_lo, 1.0, v13, 1.0
	v_rcp_f32_e32 v12, v1
	v_nop
	s_delay_alu instid0(TRANS32_DEP_1) | instskip(NEXT) | instid1(VALU_DEP_1)
	v_fma_f32 v14, -v1, v12, 1.0
	v_fmac_f32_e32 v12, v14, v12
	s_delay_alu instid0(VALU_DEP_1) | instskip(NEXT) | instid1(VALU_DEP_1)
	v_mul_f32_e32 v14, v15, v12
	v_fma_f32 v18, -v1, v14, v15
	s_delay_alu instid0(VALU_DEP_1) | instskip(NEXT) | instid1(VALU_DEP_1)
	v_fmac_f32_e32 v14, v18, v12
	v_fma_f32 v1, -v1, v14, v15
	s_delay_alu instid0(VALU_DEP_1) | instskip(NEXT) | instid1(VALU_DEP_1)
	v_div_fmas_f32 v1, v1, v12, v14
	v_div_fixup_f32 v1, v1, v13, 1.0
                                        ; implicit-def: $vgpr12_vgpr13
	s_delay_alu instid0(VALU_DEP_1)
	v_mul_f32_e32 v14, v0, v1
	v_xor_b32_e32 v15, 0x80000000, v1
.LBB123_86:
	s_and_not1_saveexec_b32 s1, s1
	s_cbranch_execz .LBB123_88
; %bb.87:
	v_div_scale_f32 v0, null, v12, v12, v13
	v_div_scale_f32 v15, vcc_lo, v13, v12, v13
	s_delay_alu instid0(VALU_DEP_2) | instskip(SKIP_1) | instid1(TRANS32_DEP_1)
	v_rcp_f32_e32 v1, v0
	v_nop
	v_fma_f32 v14, -v0, v1, 1.0
	s_delay_alu instid0(VALU_DEP_1) | instskip(NEXT) | instid1(VALU_DEP_1)
	v_fmac_f32_e32 v1, v14, v1
	v_mul_f32_e32 v14, v15, v1
	s_delay_alu instid0(VALU_DEP_1) | instskip(NEXT) | instid1(VALU_DEP_1)
	v_fma_f32 v18, -v0, v14, v15
	v_fmac_f32_e32 v14, v18, v1
	s_delay_alu instid0(VALU_DEP_1) | instskip(NEXT) | instid1(VALU_DEP_1)
	v_fma_f32 v0, -v0, v14, v15
	v_div_fmas_f32 v0, v0, v1, v14
	s_delay_alu instid0(VALU_DEP_1) | instskip(NEXT) | instid1(VALU_DEP_1)
	v_div_fixup_f32 v0, v0, v12, v13
	v_fmac_f32_e32 v12, v13, v0
	s_delay_alu instid0(VALU_DEP_1) | instskip(NEXT) | instid1(VALU_DEP_1)
	v_div_scale_f32 v1, null, v12, v12, 1.0
	v_rcp_f32_e32 v13, v1
	v_nop
	s_delay_alu instid0(TRANS32_DEP_1) | instskip(NEXT) | instid1(VALU_DEP_1)
	v_fma_f32 v14, -v1, v13, 1.0
	v_fmac_f32_e32 v13, v14, v13
	v_div_scale_f32 v14, vcc_lo, 1.0, v12, 1.0
	s_delay_alu instid0(VALU_DEP_1) | instskip(NEXT) | instid1(VALU_DEP_1)
	v_mul_f32_e32 v15, v14, v13
	v_fma_f32 v18, -v1, v15, v14
	s_delay_alu instid0(VALU_DEP_1) | instskip(NEXT) | instid1(VALU_DEP_1)
	v_fmac_f32_e32 v15, v18, v13
	v_fma_f32 v1, -v1, v15, v14
	s_delay_alu instid0(VALU_DEP_1) | instskip(NEXT) | instid1(VALU_DEP_1)
	v_div_fmas_f32 v1, v1, v13, v15
	v_div_fixup_f32 v14, v1, v12, 1.0
	s_delay_alu instid0(VALU_DEP_1)
	v_mul_f32_e64 v15, v0, -v14
.LBB123_88:
	s_or_b32 exec_lo, exec_lo, s1
	ds_store_b64 v235, v[14:15]
.LBB123_89:
	s_or_b32 exec_lo, exec_lo, s2
	s_wait_dscnt 0x0
	s_barrier_signal -1
	s_barrier_wait -1
	ds_load_b64 v[12:13], v235
	s_mov_b32 s1, exec_lo
	v_cmpx_lt_u32_e32 9, v234
	s_cbranch_execz .LBB123_91
; %bb.90:
	ds_load_2addr_b64 v[30:33], v236 offset0:10 offset1:11
	s_wait_dscnt 0x1
	v_pk_mul_f32 v[18:19], v[12:13], v[38:39] op_sel:[1,1] op_sel_hi:[0,1]
	s_delay_alu instid0(VALU_DEP_1) | instskip(SKIP_1) | instid1(VALU_DEP_1)
	v_pk_fma_f32 v[14:15], v[12:13], v[38:39], v[18:19] op_sel_hi:[1,0,1] neg_lo:[0,0,1] neg_hi:[0,0,1]
	v_pk_fma_f32 v[18:19], v[12:13], v[38:39], v[18:19] op_sel_hi:[1,0,1]
	v_dual_mov_b32 v38, v14 :: v_dual_mov_b32 v39, v19
	s_wait_dscnt 0x0
	s_delay_alu instid0(VALU_DEP_2) | instskip(NEXT) | instid1(VALU_DEP_1)
	v_pk_mul_f32 v[34:35], v[30:31], v[18:19] op_sel:[0,1]
	v_pk_fma_f32 v[44:45], v[30:31], v[14:15], v[34:35] op_sel:[0,0,1] op_sel_hi:[1,1,0] neg_lo:[0,0,1] neg_hi:[0,0,1]
	v_pk_fma_f32 v[30:31], v[30:31], v[14:15], v[34:35] op_sel:[0,0,1] op_sel_hi:[1,0,0]
	s_delay_alu instid0(VALU_DEP_1) | instskip(SKIP_1) | instid1(VALU_DEP_1)
	v_mov_b32_e32 v45, v31
	v_pk_mul_f32 v[30:31], v[32:33], v[18:19] op_sel:[0,1]
	v_pk_fma_f32 v[34:35], v[32:33], v[14:15], v[30:31] op_sel:[0,0,1] op_sel_hi:[1,1,0] neg_lo:[0,0,1] neg_hi:[0,0,1]
	v_pk_fma_f32 v[30:31], v[32:33], v[14:15], v[30:31] op_sel:[0,0,1] op_sel_hi:[1,0,0]
	s_delay_alu instid0(VALU_DEP_1)
	v_mov_b32_e32 v35, v31
	ds_load_2addr_b64 v[30:33], v236 offset0:12 offset1:13
	v_pk_add_f32 v[40:41], v[40:41], v[44:45] neg_lo:[0,1] neg_hi:[0,1]
	v_pk_add_f32 v[36:37], v[36:37], v[34:35] neg_lo:[0,1] neg_hi:[0,1]
	s_wait_dscnt 0x0
	v_pk_mul_f32 v[34:35], v[30:31], v[18:19] op_sel:[0,1]
	s_delay_alu instid0(VALU_DEP_1) | instskip(SKIP_2) | instid1(VALU_DEP_2)
	v_pk_fma_f32 v[44:45], v[30:31], v[14:15], v[34:35] op_sel:[0,0,1] op_sel_hi:[1,1,0] neg_lo:[0,0,1] neg_hi:[0,0,1]
	v_pk_fma_f32 v[30:31], v[30:31], v[14:15], v[34:35] op_sel:[0,0,1] op_sel_hi:[1,0,0]
	v_dual_mul_f32 v34, v33, v19 :: v_dual_mov_b32 v30, v33
	v_dual_mov_b32 v45, v31 :: v_dual_mov_b32 v31, v32
	s_delay_alu instid0(VALU_DEP_2) | instskip(SKIP_1) | instid1(VALU_DEP_3)
	v_pk_fma_f32 v[34:35], v[32:33], v[38:39], v[34:35] op_sel_hi:[1,1,0] neg_lo:[0,0,1] neg_hi:[0,0,1]
	v_mul_f32_e32 v32, v33, v14
	v_pk_add_f32 v[66:67], v[66:67], v[44:45] neg_lo:[0,1] neg_hi:[0,1]
	s_delay_alu instid0(VALU_DEP_2) | instskip(NEXT) | instid1(VALU_DEP_1)
	v_pk_fma_f32 v[30:31], v[30:31], v[38:39], v[32:33] op_sel_hi:[1,1,0]
	v_mov_b32_e32 v35, v31
	ds_load_2addr_b64 v[30:33], v236 offset0:14 offset1:15
	v_pk_add_f32 v[62:63], v[62:63], v[34:35] neg_lo:[0,1] neg_hi:[0,1]
	s_wait_dscnt 0x0
	v_pk_mul_f32 v[34:35], v[30:31], v[18:19] op_sel:[0,1]
	s_delay_alu instid0(VALU_DEP_1) | instskip(SKIP_1) | instid1(VALU_DEP_1)
	v_pk_fma_f32 v[44:45], v[30:31], v[14:15], v[34:35] op_sel:[0,0,1] op_sel_hi:[1,1,0] neg_lo:[0,0,1] neg_hi:[0,0,1]
	v_pk_fma_f32 v[30:31], v[30:31], v[14:15], v[34:35] op_sel:[0,0,1] op_sel_hi:[1,0,0]
	v_mov_b32_e32 v45, v31
	v_pk_mul_f32 v[30:31], v[32:33], v[18:19] op_sel:[0,1]
	s_delay_alu instid0(VALU_DEP_1) | instskip(SKIP_1) | instid1(VALU_DEP_1)
	v_pk_fma_f32 v[34:35], v[32:33], v[14:15], v[30:31] op_sel:[0,0,1] op_sel_hi:[1,1,0] neg_lo:[0,0,1] neg_hi:[0,0,1]
	v_pk_fma_f32 v[30:31], v[32:33], v[14:15], v[30:31] op_sel:[0,0,1] op_sel_hi:[1,0,0]
	v_mov_b32_e32 v35, v31
	ds_load_2addr_b64 v[30:33], v236 offset0:16 offset1:17
	v_pk_add_f32 v[64:65], v[64:65], v[44:45] neg_lo:[0,1] neg_hi:[0,1]
	v_pk_add_f32 v[60:61], v[60:61], v[34:35] neg_lo:[0,1] neg_hi:[0,1]
	s_wait_dscnt 0x0
	v_pk_mul_f32 v[34:35], v[30:31], v[18:19] op_sel:[0,1]
	s_delay_alu instid0(VALU_DEP_1) | instskip(SKIP_1) | instid1(VALU_DEP_1)
	v_pk_fma_f32 v[44:45], v[30:31], v[14:15], v[34:35] op_sel:[0,0,1] op_sel_hi:[1,1,0] neg_lo:[0,0,1] neg_hi:[0,0,1]
	v_pk_fma_f32 v[30:31], v[30:31], v[14:15], v[34:35] op_sel:[0,0,1] op_sel_hi:[1,0,0]
	v_mov_b32_e32 v45, v31
	v_pk_mul_f32 v[30:31], v[32:33], v[18:19] op_sel:[0,1]
	s_delay_alu instid0(VALU_DEP_1) | instskip(SKIP_1) | instid1(VALU_DEP_1)
	v_pk_fma_f32 v[34:35], v[32:33], v[14:15], v[30:31] op_sel:[0,0,1] op_sel_hi:[1,1,0] neg_lo:[0,0,1] neg_hi:[0,0,1]
	v_pk_fma_f32 v[30:31], v[32:33], v[14:15], v[30:31] op_sel:[0,0,1] op_sel_hi:[1,0,0]
	v_mov_b32_e32 v35, v31
	ds_load_2addr_b64 v[30:33], v236 offset0:18 offset1:19
	v_pk_add_f32 v[82:83], v[82:83], v[44:45] neg_lo:[0,1] neg_hi:[0,1]
	v_pk_add_f32 v[78:79], v[78:79], v[34:35] neg_lo:[0,1] neg_hi:[0,1]
	s_wait_dscnt 0x0
	v_dual_mul_f32 v34, v31, v19 :: v_dual_mul_f32 v44, v31, v14
	s_delay_alu instid0(VALU_DEP_1) | instskip(NEXT) | instid1(VALU_DEP_2)
	v_pk_fma_f32 v[34:35], v[30:31], v[38:39], v[34:35] op_sel_hi:[1,1,0] neg_lo:[0,0,1] neg_hi:[0,0,1]
	v_pk_fma_f32 v[30:31], v[30:31], v[38:39], v[44:45] op_sel:[1,0,0] op_sel_hi:[0,1,0]
	s_delay_alu instid0(VALU_DEP_1) | instskip(SKIP_1) | instid1(VALU_DEP_2)
	v_mov_b32_e32 v35, v31
	v_pk_mul_f32 v[30:31], v[32:33], v[18:19] op_sel:[0,1]
	v_pk_add_f32 v[80:81], v[80:81], v[34:35] neg_lo:[0,1] neg_hi:[0,1]
	s_delay_alu instid0(VALU_DEP_2) | instskip(SKIP_1) | instid1(VALU_DEP_1)
	v_pk_fma_f32 v[34:35], v[32:33], v[14:15], v[30:31] op_sel:[0,0,1] op_sel_hi:[1,1,0] neg_lo:[0,0,1] neg_hi:[0,0,1]
	v_pk_fma_f32 v[30:31], v[32:33], v[14:15], v[30:31] op_sel:[0,0,1] op_sel_hi:[1,0,0]
	v_mov_b32_e32 v35, v31
	ds_load_2addr_b64 v[30:33], v236 offset0:20 offset1:21
	v_pk_add_f32 v[76:77], v[76:77], v[34:35] neg_lo:[0,1] neg_hi:[0,1]
	s_wait_dscnt 0x0
	v_pk_mul_f32 v[34:35], v[30:31], v[18:19] op_sel:[0,1]
	s_delay_alu instid0(VALU_DEP_1) | instskip(SKIP_1) | instid1(VALU_DEP_1)
	v_pk_fma_f32 v[44:45], v[30:31], v[14:15], v[34:35] op_sel:[0,0,1] op_sel_hi:[1,1,0] neg_lo:[0,0,1] neg_hi:[0,0,1]
	v_pk_fma_f32 v[30:31], v[30:31], v[14:15], v[34:35] op_sel:[0,0,1] op_sel_hi:[1,0,0]
	v_mov_b32_e32 v45, v31
	v_pk_mul_f32 v[30:31], v[32:33], v[18:19] op_sel:[0,1]
	s_delay_alu instid0(VALU_DEP_2) | instskip(NEXT) | instid1(VALU_DEP_2)
	v_pk_add_f32 v[98:99], v[98:99], v[44:45] neg_lo:[0,1] neg_hi:[0,1]
	v_pk_fma_f32 v[34:35], v[32:33], v[14:15], v[30:31] op_sel:[0,0,1] op_sel_hi:[1,1,0] neg_lo:[0,0,1] neg_hi:[0,0,1]
	v_pk_fma_f32 v[30:31], v[32:33], v[14:15], v[30:31] op_sel:[0,0,1] op_sel_hi:[1,0,0]
	s_delay_alu instid0(VALU_DEP_1) | instskip(SKIP_4) | instid1(VALU_DEP_1)
	v_mov_b32_e32 v35, v31
	ds_load_2addr_b64 v[30:33], v236 offset0:22 offset1:23
	v_pk_add_f32 v[94:95], v[94:95], v[34:35] neg_lo:[0,1] neg_hi:[0,1]
	s_wait_dscnt 0x0
	v_pk_mul_f32 v[34:35], v[30:31], v[18:19] op_sel:[0,1]
	v_pk_fma_f32 v[44:45], v[30:31], v[14:15], v[34:35] op_sel:[0,0,1] op_sel_hi:[1,1,0] neg_lo:[0,0,1] neg_hi:[0,0,1]
	v_pk_fma_f32 v[30:31], v[30:31], v[14:15], v[34:35] op_sel:[0,0,1] op_sel_hi:[1,0,0]
	v_dual_mul_f32 v34, v33, v19 :: v_dual_mov_b32 v30, v33
	s_delay_alu instid0(VALU_DEP_2) | instskip(NEXT) | instid1(VALU_DEP_2)
	v_dual_mov_b32 v45, v31 :: v_dual_mov_b32 v31, v32
	v_pk_fma_f32 v[34:35], v[32:33], v[38:39], v[34:35] op_sel_hi:[1,1,0] neg_lo:[0,0,1] neg_hi:[0,0,1]
	v_mul_f32_e32 v32, v33, v14
	s_delay_alu instid0(VALU_DEP_3) | instskip(NEXT) | instid1(VALU_DEP_2)
	v_pk_add_f32 v[96:97], v[96:97], v[44:45] neg_lo:[0,1] neg_hi:[0,1]
	v_pk_fma_f32 v[30:31], v[30:31], v[38:39], v[32:33] op_sel_hi:[1,1,0]
	s_delay_alu instid0(VALU_DEP_1) | instskip(SKIP_4) | instid1(VALU_DEP_1)
	v_mov_b32_e32 v35, v31
	ds_load_2addr_b64 v[30:33], v236 offset0:24 offset1:25
	v_pk_add_f32 v[92:93], v[92:93], v[34:35] neg_lo:[0,1] neg_hi:[0,1]
	s_wait_dscnt 0x0
	v_pk_mul_f32 v[34:35], v[30:31], v[18:19] op_sel:[0,1]
	v_pk_fma_f32 v[44:45], v[30:31], v[14:15], v[34:35] op_sel:[0,0,1] op_sel_hi:[1,1,0] neg_lo:[0,0,1] neg_hi:[0,0,1]
	v_pk_fma_f32 v[30:31], v[30:31], v[14:15], v[34:35] op_sel:[0,0,1] op_sel_hi:[1,0,0]
	s_delay_alu instid0(VALU_DEP_1) | instskip(SKIP_1) | instid1(VALU_DEP_1)
	v_mov_b32_e32 v45, v31
	v_pk_mul_f32 v[30:31], v[32:33], v[18:19] op_sel:[0,1]
	v_pk_fma_f32 v[34:35], v[32:33], v[14:15], v[30:31] op_sel:[0,0,1] op_sel_hi:[1,1,0] neg_lo:[0,0,1] neg_hi:[0,0,1]
	v_pk_fma_f32 v[30:31], v[32:33], v[14:15], v[30:31] op_sel:[0,0,1] op_sel_hi:[1,0,0]
	s_delay_alu instid0(VALU_DEP_1)
	v_mov_b32_e32 v35, v31
	ds_load_2addr_b64 v[30:33], v236 offset0:26 offset1:27
	v_pk_add_f32 v[114:115], v[114:115], v[44:45] neg_lo:[0,1] neg_hi:[0,1]
	v_pk_add_f32 v[110:111], v[110:111], v[34:35] neg_lo:[0,1] neg_hi:[0,1]
	s_wait_dscnt 0x0
	v_pk_mul_f32 v[34:35], v[30:31], v[18:19] op_sel:[0,1]
	s_delay_alu instid0(VALU_DEP_1) | instskip(SKIP_1) | instid1(VALU_DEP_1)
	v_pk_fma_f32 v[44:45], v[30:31], v[14:15], v[34:35] op_sel:[0,0,1] op_sel_hi:[1,1,0] neg_lo:[0,0,1] neg_hi:[0,0,1]
	v_pk_fma_f32 v[30:31], v[30:31], v[14:15], v[34:35] op_sel:[0,0,1] op_sel_hi:[1,0,0]
	v_mov_b32_e32 v45, v31
	v_pk_mul_f32 v[30:31], v[32:33], v[18:19] op_sel:[0,1]
	s_delay_alu instid0(VALU_DEP_1) | instskip(SKIP_1) | instid1(VALU_DEP_1)
	v_pk_fma_f32 v[34:35], v[32:33], v[14:15], v[30:31] op_sel:[0,0,1] op_sel_hi:[1,1,0] neg_lo:[0,0,1] neg_hi:[0,0,1]
	v_pk_fma_f32 v[30:31], v[32:33], v[14:15], v[30:31] op_sel:[0,0,1] op_sel_hi:[1,0,0]
	v_mov_b32_e32 v35, v31
	ds_load_2addr_b64 v[30:33], v236 offset0:28 offset1:29
	v_pk_add_f32 v[112:113], v[112:113], v[44:45] neg_lo:[0,1] neg_hi:[0,1]
	v_pk_add_f32 v[108:109], v[108:109], v[34:35] neg_lo:[0,1] neg_hi:[0,1]
	s_wait_dscnt 0x0
	v_dual_mul_f32 v34, v31, v19 :: v_dual_mul_f32 v44, v31, v14
	s_delay_alu instid0(VALU_DEP_1) | instskip(NEXT) | instid1(VALU_DEP_2)
	v_pk_fma_f32 v[34:35], v[30:31], v[38:39], v[34:35] op_sel_hi:[1,1,0] neg_lo:[0,0,1] neg_hi:[0,0,1]
	v_pk_fma_f32 v[30:31], v[30:31], v[38:39], v[44:45] op_sel:[1,0,0] op_sel_hi:[0,1,0]
	s_delay_alu instid0(VALU_DEP_1) | instskip(SKIP_1) | instid1(VALU_DEP_2)
	v_mov_b32_e32 v35, v31
	v_pk_mul_f32 v[30:31], v[32:33], v[18:19] op_sel:[0,1]
	v_pk_add_f32 v[130:131], v[130:131], v[34:35] neg_lo:[0,1] neg_hi:[0,1]
	s_delay_alu instid0(VALU_DEP_2) | instskip(SKIP_1) | instid1(VALU_DEP_1)
	v_pk_fma_f32 v[34:35], v[32:33], v[14:15], v[30:31] op_sel:[0,0,1] op_sel_hi:[1,1,0] neg_lo:[0,0,1] neg_hi:[0,0,1]
	v_pk_fma_f32 v[30:31], v[32:33], v[14:15], v[30:31] op_sel:[0,0,1] op_sel_hi:[1,0,0]
	v_mov_b32_e32 v35, v31
	ds_load_2addr_b64 v[30:33], v236 offset0:30 offset1:31
	v_pk_add_f32 v[126:127], v[126:127], v[34:35] neg_lo:[0,1] neg_hi:[0,1]
	s_wait_dscnt 0x0
	v_pk_mul_f32 v[34:35], v[30:31], v[18:19] op_sel:[0,1]
	s_delay_alu instid0(VALU_DEP_1) | instskip(SKIP_1) | instid1(VALU_DEP_1)
	v_pk_fma_f32 v[44:45], v[30:31], v[14:15], v[34:35] op_sel:[0,0,1] op_sel_hi:[1,1,0] neg_lo:[0,0,1] neg_hi:[0,0,1]
	v_pk_fma_f32 v[30:31], v[30:31], v[14:15], v[34:35] op_sel:[0,0,1] op_sel_hi:[1,0,0]
	v_mov_b32_e32 v45, v31
	v_pk_mul_f32 v[30:31], v[32:33], v[18:19] op_sel:[0,1]
	s_delay_alu instid0(VALU_DEP_2) | instskip(NEXT) | instid1(VALU_DEP_2)
	v_pk_add_f32 v[128:129], v[128:129], v[44:45] neg_lo:[0,1] neg_hi:[0,1]
	v_pk_fma_f32 v[34:35], v[32:33], v[14:15], v[30:31] op_sel:[0,0,1] op_sel_hi:[1,1,0] neg_lo:[0,0,1] neg_hi:[0,0,1]
	v_pk_fma_f32 v[30:31], v[32:33], v[14:15], v[30:31] op_sel:[0,0,1] op_sel_hi:[1,0,0]
	s_delay_alu instid0(VALU_DEP_1) | instskip(SKIP_4) | instid1(VALU_DEP_1)
	v_mov_b32_e32 v35, v31
	ds_load_2addr_b64 v[30:33], v236 offset0:32 offset1:33
	v_pk_add_f32 v[124:125], v[124:125], v[34:35] neg_lo:[0,1] neg_hi:[0,1]
	s_wait_dscnt 0x0
	v_pk_mul_f32 v[34:35], v[30:31], v[18:19] op_sel:[0,1]
	v_pk_fma_f32 v[44:45], v[30:31], v[14:15], v[34:35] op_sel:[0,0,1] op_sel_hi:[1,1,0] neg_lo:[0,0,1] neg_hi:[0,0,1]
	v_pk_fma_f32 v[30:31], v[30:31], v[14:15], v[34:35] op_sel:[0,0,1] op_sel_hi:[1,0,0]
	v_dual_mul_f32 v34, v33, v19 :: v_dual_mov_b32 v30, v33
	s_delay_alu instid0(VALU_DEP_2) | instskip(NEXT) | instid1(VALU_DEP_2)
	v_dual_mov_b32 v45, v31 :: v_dual_mov_b32 v31, v32
	v_pk_fma_f32 v[34:35], v[32:33], v[38:39], v[34:35] op_sel_hi:[1,1,0] neg_lo:[0,0,1] neg_hi:[0,0,1]
	v_mul_f32_e32 v32, v33, v14
	s_delay_alu instid0(VALU_DEP_3) | instskip(NEXT) | instid1(VALU_DEP_2)
	v_pk_add_f32 v[146:147], v[146:147], v[44:45] neg_lo:[0,1] neg_hi:[0,1]
	v_pk_fma_f32 v[30:31], v[30:31], v[38:39], v[32:33] op_sel_hi:[1,1,0]
	s_delay_alu instid0(VALU_DEP_1) | instskip(SKIP_4) | instid1(VALU_DEP_1)
	v_mov_b32_e32 v35, v31
	ds_load_2addr_b64 v[30:33], v236 offset0:34 offset1:35
	v_pk_add_f32 v[142:143], v[142:143], v[34:35] neg_lo:[0,1] neg_hi:[0,1]
	s_wait_dscnt 0x0
	v_pk_mul_f32 v[34:35], v[30:31], v[18:19] op_sel:[0,1]
	v_pk_fma_f32 v[44:45], v[30:31], v[14:15], v[34:35] op_sel:[0,0,1] op_sel_hi:[1,1,0] neg_lo:[0,0,1] neg_hi:[0,0,1]
	v_pk_fma_f32 v[30:31], v[30:31], v[14:15], v[34:35] op_sel:[0,0,1] op_sel_hi:[1,0,0]
	s_delay_alu instid0(VALU_DEP_1) | instskip(SKIP_1) | instid1(VALU_DEP_1)
	v_mov_b32_e32 v45, v31
	v_pk_mul_f32 v[30:31], v[32:33], v[18:19] op_sel:[0,1]
	v_pk_fma_f32 v[34:35], v[32:33], v[14:15], v[30:31] op_sel:[0,0,1] op_sel_hi:[1,1,0] neg_lo:[0,0,1] neg_hi:[0,0,1]
	v_pk_fma_f32 v[30:31], v[32:33], v[14:15], v[30:31] op_sel:[0,0,1] op_sel_hi:[1,0,0]
	s_delay_alu instid0(VALU_DEP_1)
	v_mov_b32_e32 v35, v31
	ds_load_2addr_b64 v[30:33], v236 offset0:36 offset1:37
	v_pk_add_f32 v[144:145], v[144:145], v[44:45] neg_lo:[0,1] neg_hi:[0,1]
	v_pk_add_f32 v[140:141], v[140:141], v[34:35] neg_lo:[0,1] neg_hi:[0,1]
	s_wait_dscnt 0x0
	v_pk_mul_f32 v[34:35], v[30:31], v[18:19] op_sel:[0,1]
	s_delay_alu instid0(VALU_DEP_1) | instskip(SKIP_1) | instid1(VALU_DEP_1)
	v_pk_fma_f32 v[44:45], v[30:31], v[14:15], v[34:35] op_sel:[0,0,1] op_sel_hi:[1,1,0] neg_lo:[0,0,1] neg_hi:[0,0,1]
	v_pk_fma_f32 v[30:31], v[30:31], v[14:15], v[34:35] op_sel:[0,0,1] op_sel_hi:[1,0,0]
	v_mov_b32_e32 v45, v31
	v_pk_mul_f32 v[30:31], v[32:33], v[18:19] op_sel:[0,1]
	s_delay_alu instid0(VALU_DEP_1) | instskip(SKIP_1) | instid1(VALU_DEP_1)
	v_pk_fma_f32 v[34:35], v[32:33], v[14:15], v[30:31] op_sel:[0,0,1] op_sel_hi:[1,1,0] neg_lo:[0,0,1] neg_hi:[0,0,1]
	v_pk_fma_f32 v[30:31], v[32:33], v[14:15], v[30:31] op_sel:[0,0,1] op_sel_hi:[1,0,0]
	v_mov_b32_e32 v35, v31
	ds_load_2addr_b64 v[30:33], v236 offset0:38 offset1:39
	v_pk_add_f32 v[162:163], v[162:163], v[44:45] neg_lo:[0,1] neg_hi:[0,1]
	v_pk_add_f32 v[158:159], v[158:159], v[34:35] neg_lo:[0,1] neg_hi:[0,1]
	s_wait_dscnt 0x0
	v_dual_mul_f32 v34, v31, v19 :: v_dual_mul_f32 v44, v31, v14
	s_delay_alu instid0(VALU_DEP_1) | instskip(NEXT) | instid1(VALU_DEP_2)
	v_pk_fma_f32 v[34:35], v[30:31], v[38:39], v[34:35] op_sel_hi:[1,1,0] neg_lo:[0,0,1] neg_hi:[0,0,1]
	v_pk_fma_f32 v[30:31], v[30:31], v[38:39], v[44:45] op_sel:[1,0,0] op_sel_hi:[0,1,0]
	s_delay_alu instid0(VALU_DEP_1) | instskip(SKIP_1) | instid1(VALU_DEP_2)
	v_mov_b32_e32 v35, v31
	v_pk_mul_f32 v[30:31], v[32:33], v[18:19] op_sel:[0,1]
	v_pk_add_f32 v[160:161], v[160:161], v[34:35] neg_lo:[0,1] neg_hi:[0,1]
	s_delay_alu instid0(VALU_DEP_2) | instskip(SKIP_1) | instid1(VALU_DEP_1)
	v_pk_fma_f32 v[34:35], v[32:33], v[14:15], v[30:31] op_sel:[0,0,1] op_sel_hi:[1,1,0] neg_lo:[0,0,1] neg_hi:[0,0,1]
	v_pk_fma_f32 v[30:31], v[32:33], v[14:15], v[30:31] op_sel:[0,0,1] op_sel_hi:[1,0,0]
	v_mov_b32_e32 v35, v31
	ds_load_2addr_b64 v[30:33], v236 offset0:40 offset1:41
	v_pk_add_f32 v[156:157], v[156:157], v[34:35] neg_lo:[0,1] neg_hi:[0,1]
	s_wait_dscnt 0x0
	v_pk_mul_f32 v[34:35], v[30:31], v[18:19] op_sel:[0,1]
	s_delay_alu instid0(VALU_DEP_1) | instskip(SKIP_1) | instid1(VALU_DEP_1)
	v_pk_fma_f32 v[44:45], v[30:31], v[14:15], v[34:35] op_sel:[0,0,1] op_sel_hi:[1,1,0] neg_lo:[0,0,1] neg_hi:[0,0,1]
	v_pk_fma_f32 v[30:31], v[30:31], v[14:15], v[34:35] op_sel:[0,0,1] op_sel_hi:[1,0,0]
	v_mov_b32_e32 v45, v31
	v_pk_mul_f32 v[30:31], v[32:33], v[18:19] op_sel:[0,1]
	s_delay_alu instid0(VALU_DEP_2) | instskip(NEXT) | instid1(VALU_DEP_2)
	v_pk_add_f32 v[178:179], v[178:179], v[44:45] neg_lo:[0,1] neg_hi:[0,1]
	v_pk_fma_f32 v[34:35], v[32:33], v[14:15], v[30:31] op_sel:[0,0,1] op_sel_hi:[1,1,0] neg_lo:[0,0,1] neg_hi:[0,0,1]
	v_pk_fma_f32 v[30:31], v[32:33], v[14:15], v[30:31] op_sel:[0,0,1] op_sel_hi:[1,0,0]
	s_delay_alu instid0(VALU_DEP_1) | instskip(SKIP_4) | instid1(VALU_DEP_1)
	v_mov_b32_e32 v35, v31
	ds_load_2addr_b64 v[30:33], v236 offset0:42 offset1:43
	v_pk_add_f32 v[174:175], v[174:175], v[34:35] neg_lo:[0,1] neg_hi:[0,1]
	s_wait_dscnt 0x0
	v_pk_mul_f32 v[34:35], v[30:31], v[18:19] op_sel:[0,1]
	v_pk_fma_f32 v[44:45], v[30:31], v[14:15], v[34:35] op_sel:[0,0,1] op_sel_hi:[1,1,0] neg_lo:[0,0,1] neg_hi:[0,0,1]
	v_pk_fma_f32 v[30:31], v[30:31], v[14:15], v[34:35] op_sel:[0,0,1] op_sel_hi:[1,0,0]
	v_dual_mul_f32 v34, v33, v19 :: v_dual_mov_b32 v30, v33
	s_delay_alu instid0(VALU_DEP_2) | instskip(NEXT) | instid1(VALU_DEP_2)
	v_dual_mov_b32 v45, v31 :: v_dual_mov_b32 v31, v32
	v_pk_fma_f32 v[34:35], v[32:33], v[38:39], v[34:35] op_sel_hi:[1,1,0] neg_lo:[0,0,1] neg_hi:[0,0,1]
	v_mul_f32_e32 v32, v33, v14
	s_delay_alu instid0(VALU_DEP_3) | instskip(NEXT) | instid1(VALU_DEP_2)
	v_pk_add_f32 v[176:177], v[176:177], v[44:45] neg_lo:[0,1] neg_hi:[0,1]
	v_pk_fma_f32 v[30:31], v[30:31], v[38:39], v[32:33] op_sel_hi:[1,1,0]
	s_delay_alu instid0(VALU_DEP_1) | instskip(SKIP_4) | instid1(VALU_DEP_1)
	v_mov_b32_e32 v35, v31
	ds_load_2addr_b64 v[30:33], v236 offset0:44 offset1:45
	v_pk_add_f32 v[172:173], v[172:173], v[34:35] neg_lo:[0,1] neg_hi:[0,1]
	s_wait_dscnt 0x0
	v_pk_mul_f32 v[34:35], v[30:31], v[18:19] op_sel:[0,1]
	v_pk_fma_f32 v[44:45], v[30:31], v[14:15], v[34:35] op_sel:[0,0,1] op_sel_hi:[1,1,0] neg_lo:[0,0,1] neg_hi:[0,0,1]
	v_pk_fma_f32 v[30:31], v[30:31], v[14:15], v[34:35] op_sel:[0,0,1] op_sel_hi:[1,0,0]
	s_delay_alu instid0(VALU_DEP_1) | instskip(SKIP_1) | instid1(VALU_DEP_1)
	v_mov_b32_e32 v45, v31
	v_pk_mul_f32 v[30:31], v[32:33], v[18:19] op_sel:[0,1]
	v_pk_fma_f32 v[34:35], v[32:33], v[14:15], v[30:31] op_sel:[0,0,1] op_sel_hi:[1,1,0] neg_lo:[0,0,1] neg_hi:[0,0,1]
	v_pk_fma_f32 v[30:31], v[32:33], v[14:15], v[30:31] op_sel:[0,0,1] op_sel_hi:[1,0,0]
	s_delay_alu instid0(VALU_DEP_1)
	v_mov_b32_e32 v35, v31
	ds_load_2addr_b64 v[30:33], v236 offset0:46 offset1:47
	v_pk_add_f32 v[194:195], v[194:195], v[44:45] neg_lo:[0,1] neg_hi:[0,1]
	v_pk_add_f32 v[190:191], v[190:191], v[34:35] neg_lo:[0,1] neg_hi:[0,1]
	s_wait_dscnt 0x0
	v_pk_mul_f32 v[34:35], v[30:31], v[18:19] op_sel:[0,1]
	s_delay_alu instid0(VALU_DEP_1) | instskip(SKIP_1) | instid1(VALU_DEP_1)
	v_pk_fma_f32 v[44:45], v[30:31], v[14:15], v[34:35] op_sel:[0,0,1] op_sel_hi:[1,1,0] neg_lo:[0,0,1] neg_hi:[0,0,1]
	v_pk_fma_f32 v[30:31], v[30:31], v[14:15], v[34:35] op_sel:[0,0,1] op_sel_hi:[1,0,0]
	v_mov_b32_e32 v45, v31
	v_pk_mul_f32 v[30:31], v[32:33], v[18:19] op_sel:[0,1]
	s_delay_alu instid0(VALU_DEP_1) | instskip(SKIP_1) | instid1(VALU_DEP_1)
	v_pk_fma_f32 v[34:35], v[32:33], v[14:15], v[30:31] op_sel:[0,0,1] op_sel_hi:[1,1,0] neg_lo:[0,0,1] neg_hi:[0,0,1]
	v_pk_fma_f32 v[30:31], v[32:33], v[14:15], v[30:31] op_sel:[0,0,1] op_sel_hi:[1,0,0]
	v_mov_b32_e32 v35, v31
	ds_load_2addr_b64 v[30:33], v236 offset0:48 offset1:49
	v_pk_add_f32 v[192:193], v[192:193], v[44:45] neg_lo:[0,1] neg_hi:[0,1]
	v_pk_add_f32 v[188:189], v[188:189], v[34:35] neg_lo:[0,1] neg_hi:[0,1]
	s_wait_dscnt 0x0
	v_dual_mul_f32 v34, v31, v19 :: v_dual_mul_f32 v44, v31, v14
	s_delay_alu instid0(VALU_DEP_1) | instskip(NEXT) | instid1(VALU_DEP_2)
	v_pk_fma_f32 v[34:35], v[30:31], v[38:39], v[34:35] op_sel_hi:[1,1,0] neg_lo:[0,0,1] neg_hi:[0,0,1]
	v_pk_fma_f32 v[30:31], v[30:31], v[38:39], v[44:45] op_sel:[1,0,0] op_sel_hi:[0,1,0]
	s_delay_alu instid0(VALU_DEP_1) | instskip(SKIP_1) | instid1(VALU_DEP_2)
	v_mov_b32_e32 v35, v31
	v_pk_mul_f32 v[30:31], v[32:33], v[18:19] op_sel:[0,1]
	v_pk_add_f32 v[210:211], v[210:211], v[34:35] neg_lo:[0,1] neg_hi:[0,1]
	s_delay_alu instid0(VALU_DEP_2) | instskip(SKIP_1) | instid1(VALU_DEP_1)
	v_pk_fma_f32 v[34:35], v[32:33], v[14:15], v[30:31] op_sel:[0,0,1] op_sel_hi:[1,1,0] neg_lo:[0,0,1] neg_hi:[0,0,1]
	v_pk_fma_f32 v[30:31], v[32:33], v[14:15], v[30:31] op_sel:[0,0,1] op_sel_hi:[1,0,0]
	v_mov_b32_e32 v35, v31
	ds_load_2addr_b64 v[30:33], v236 offset0:50 offset1:51
	v_pk_add_f32 v[206:207], v[206:207], v[34:35] neg_lo:[0,1] neg_hi:[0,1]
	s_wait_dscnt 0x0
	v_pk_mul_f32 v[34:35], v[30:31], v[18:19] op_sel:[0,1]
	s_delay_alu instid0(VALU_DEP_1) | instskip(SKIP_1) | instid1(VALU_DEP_1)
	v_pk_fma_f32 v[44:45], v[30:31], v[14:15], v[34:35] op_sel:[0,0,1] op_sel_hi:[1,1,0] neg_lo:[0,0,1] neg_hi:[0,0,1]
	v_pk_fma_f32 v[30:31], v[30:31], v[14:15], v[34:35] op_sel:[0,0,1] op_sel_hi:[1,0,0]
	v_mov_b32_e32 v45, v31
	v_pk_mul_f32 v[30:31], v[32:33], v[18:19] op_sel:[0,1]
	s_delay_alu instid0(VALU_DEP_2) | instskip(NEXT) | instid1(VALU_DEP_2)
	v_pk_add_f32 v[208:209], v[208:209], v[44:45] neg_lo:[0,1] neg_hi:[0,1]
	v_pk_fma_f32 v[34:35], v[32:33], v[14:15], v[30:31] op_sel:[0,0,1] op_sel_hi:[1,1,0] neg_lo:[0,0,1] neg_hi:[0,0,1]
	v_pk_fma_f32 v[30:31], v[32:33], v[14:15], v[30:31] op_sel:[0,0,1] op_sel_hi:[1,0,0]
	s_delay_alu instid0(VALU_DEP_1) | instskip(SKIP_4) | instid1(VALU_DEP_1)
	v_mov_b32_e32 v35, v31
	ds_load_2addr_b64 v[30:33], v236 offset0:52 offset1:53
	v_pk_add_f32 v[204:205], v[204:205], v[34:35] neg_lo:[0,1] neg_hi:[0,1]
	s_wait_dscnt 0x0
	v_pk_mul_f32 v[34:35], v[30:31], v[18:19] op_sel:[0,1]
	v_pk_fma_f32 v[44:45], v[30:31], v[14:15], v[34:35] op_sel:[0,0,1] op_sel_hi:[1,1,0] neg_lo:[0,0,1] neg_hi:[0,0,1]
	v_pk_fma_f32 v[30:31], v[30:31], v[14:15], v[34:35] op_sel:[0,0,1] op_sel_hi:[1,0,0]
	v_dual_mul_f32 v34, v33, v19 :: v_dual_mov_b32 v30, v33
	s_delay_alu instid0(VALU_DEP_2) | instskip(NEXT) | instid1(VALU_DEP_2)
	v_dual_mov_b32 v45, v31 :: v_dual_mov_b32 v31, v32
	v_pk_fma_f32 v[34:35], v[32:33], v[38:39], v[34:35] op_sel_hi:[1,1,0] neg_lo:[0,0,1] neg_hi:[0,0,1]
	v_mul_f32_e32 v32, v33, v14
	s_delay_alu instid0(VALU_DEP_3) | instskip(NEXT) | instid1(VALU_DEP_2)
	v_pk_add_f32 v[228:229], v[228:229], v[44:45] neg_lo:[0,1] neg_hi:[0,1]
	v_pk_fma_f32 v[30:31], v[30:31], v[38:39], v[32:33] op_sel_hi:[1,1,0]
	s_delay_alu instid0(VALU_DEP_1) | instskip(SKIP_4) | instid1(VALU_DEP_1)
	v_mov_b32_e32 v35, v31
	ds_load_2addr_b64 v[30:33], v236 offset0:54 offset1:55
	v_pk_add_f32 v[224:225], v[224:225], v[34:35] neg_lo:[0,1] neg_hi:[0,1]
	s_wait_dscnt 0x0
	v_pk_mul_f32 v[34:35], v[30:31], v[18:19] op_sel:[0,1]
	v_pk_fma_f32 v[44:45], v[30:31], v[14:15], v[34:35] op_sel:[0,0,1] op_sel_hi:[1,1,0] neg_lo:[0,0,1] neg_hi:[0,0,1]
	v_pk_fma_f32 v[30:31], v[30:31], v[14:15], v[34:35] op_sel:[0,0,1] op_sel_hi:[1,0,0]
	s_delay_alu instid0(VALU_DEP_1) | instskip(SKIP_1) | instid1(VALU_DEP_1)
	v_mov_b32_e32 v45, v31
	v_pk_mul_f32 v[30:31], v[32:33], v[18:19] op_sel:[0,1]
	v_pk_fma_f32 v[34:35], v[32:33], v[14:15], v[30:31] op_sel:[0,0,1] op_sel_hi:[1,1,0] neg_lo:[0,0,1] neg_hi:[0,0,1]
	v_pk_fma_f32 v[30:31], v[32:33], v[14:15], v[30:31] op_sel:[0,0,1] op_sel_hi:[1,0,0]
	s_delay_alu instid0(VALU_DEP_1)
	v_mov_b32_e32 v35, v31
	ds_load_2addr_b64 v[30:33], v236 offset0:56 offset1:57
	v_pk_add_f32 v[226:227], v[226:227], v[44:45] neg_lo:[0,1] neg_hi:[0,1]
	v_pk_add_f32 v[222:223], v[222:223], v[34:35] neg_lo:[0,1] neg_hi:[0,1]
	s_wait_dscnt 0x0
	v_pk_mul_f32 v[34:35], v[30:31], v[18:19] op_sel:[0,1]
	s_delay_alu instid0(VALU_DEP_1) | instskip(SKIP_1) | instid1(VALU_DEP_1)
	v_pk_fma_f32 v[44:45], v[30:31], v[14:15], v[34:35] op_sel:[0,0,1] op_sel_hi:[1,1,0] neg_lo:[0,0,1] neg_hi:[0,0,1]
	v_pk_fma_f32 v[30:31], v[30:31], v[14:15], v[34:35] op_sel:[0,0,1] op_sel_hi:[1,0,0]
	v_mov_b32_e32 v45, v31
	v_pk_mul_f32 v[30:31], v[32:33], v[18:19] op_sel:[0,1]
	s_delay_alu instid0(VALU_DEP_1) | instskip(SKIP_1) | instid1(VALU_DEP_1)
	v_pk_fma_f32 v[34:35], v[32:33], v[14:15], v[30:31] op_sel:[0,0,1] op_sel_hi:[1,1,0] neg_lo:[0,0,1] neg_hi:[0,0,1]
	v_pk_fma_f32 v[30:31], v[32:33], v[14:15], v[30:31] op_sel:[0,0,1] op_sel_hi:[1,0,0]
	v_mov_b32_e32 v35, v31
	ds_load_2addr_b64 v[30:33], v236 offset0:58 offset1:59
	v_pk_add_f32 v[244:245], v[244:245], v[44:45] neg_lo:[0,1] neg_hi:[0,1]
	v_pk_add_f32 v[240:241], v[240:241], v[34:35] neg_lo:[0,1] neg_hi:[0,1]
	s_wait_dscnt 0x0
	v_dual_mul_f32 v34, v31, v19 :: v_dual_mul_f32 v44, v31, v14
	s_delay_alu instid0(VALU_DEP_1) | instskip(NEXT) | instid1(VALU_DEP_2)
	v_pk_fma_f32 v[34:35], v[30:31], v[38:39], v[34:35] op_sel_hi:[1,1,0] neg_lo:[0,0,1] neg_hi:[0,0,1]
	v_pk_fma_f32 v[30:31], v[30:31], v[38:39], v[44:45] op_sel:[1,0,0] op_sel_hi:[0,1,0]
	s_delay_alu instid0(VALU_DEP_1) | instskip(SKIP_1) | instid1(VALU_DEP_2)
	v_mov_b32_e32 v35, v31
	v_pk_mul_f32 v[30:31], v[32:33], v[18:19] op_sel:[0,1]
	v_pk_add_f32 v[242:243], v[242:243], v[34:35] neg_lo:[0,1] neg_hi:[0,1]
	s_delay_alu instid0(VALU_DEP_2) | instskip(SKIP_1) | instid1(VALU_DEP_1)
	v_pk_fma_f32 v[34:35], v[32:33], v[14:15], v[30:31] op_sel:[0,0,1] op_sel_hi:[1,1,0] neg_lo:[0,0,1] neg_hi:[0,0,1]
	v_pk_fma_f32 v[30:31], v[32:33], v[14:15], v[30:31] op_sel:[0,0,1] op_sel_hi:[1,0,0]
	v_mov_b32_e32 v35, v31
	ds_load_2addr_b64 v[30:33], v236 offset0:60 offset1:61
	v_pk_add_f32 v[238:239], v[238:239], v[34:35] neg_lo:[0,1] neg_hi:[0,1]
	s_wait_dscnt 0x0
	v_pk_mul_f32 v[34:35], v[30:31], v[18:19] op_sel:[0,1]
	v_pk_mul_f32 v[18:19], v[32:33], v[18:19] op_sel:[0,1]
	s_delay_alu instid0(VALU_DEP_2) | instskip(SKIP_1) | instid1(VALU_DEP_1)
	v_pk_fma_f32 v[44:45], v[30:31], v[14:15], v[34:35] op_sel:[0,0,1] op_sel_hi:[1,1,0] neg_lo:[0,0,1] neg_hi:[0,0,1]
	v_pk_fma_f32 v[30:31], v[30:31], v[14:15], v[34:35] op_sel:[0,0,1] op_sel_hi:[1,0,0]
	v_mov_b32_e32 v45, v31
	s_delay_alu instid0(VALU_DEP_4) | instskip(SKIP_1) | instid1(VALU_DEP_3)
	v_pk_fma_f32 v[30:31], v[32:33], v[14:15], v[18:19] op_sel:[0,0,1] op_sel_hi:[1,1,0] neg_lo:[0,0,1] neg_hi:[0,0,1]
	v_pk_fma_f32 v[14:15], v[32:33], v[14:15], v[18:19] op_sel:[0,0,1] op_sel_hi:[1,0,0]
	v_pk_add_f32 v[246:247], v[246:247], v[44:45] neg_lo:[0,1] neg_hi:[0,1]
	s_delay_alu instid0(VALU_DEP_2) | instskip(NEXT) | instid1(VALU_DEP_1)
	v_mov_b32_e32 v31, v15
	v_pk_add_f32 v[248:249], v[248:249], v[30:31] neg_lo:[0,1] neg_hi:[0,1]
.LBB123_91:
	s_or_b32 exec_lo, exec_lo, s1
	s_delay_alu instid0(SALU_CYCLE_1)
	s_mov_b32 s2, exec_lo
	s_wait_dscnt 0x0
	s_barrier_signal -1
	s_barrier_wait -1
	v_cmpx_eq_u32_e32 10, v234
	s_cbranch_execz .LBB123_98
; %bb.92:
	ds_store_b64 v235, v[40:41]
	ds_store_2addr_b64 v236, v[36:37], v[66:67] offset0:11 offset1:12
	ds_store_2addr_b64 v236, v[62:63], v[64:65] offset0:13 offset1:14
	;; [unrolled: 1-line block ×25, first 2 shown]
	ds_store_b64 v236, v[248:249] offset:488
	ds_load_b64 v[14:15], v235
	s_wait_dscnt 0x0
	v_cmp_neq_f32_e32 vcc_lo, 0, v14
	v_cmp_neq_f32_e64 s1, 0, v15
	s_or_b32 s1, vcc_lo, s1
	s_delay_alu instid0(SALU_CYCLE_1)
	s_and_b32 exec_lo, exec_lo, s1
	s_cbranch_execz .LBB123_98
; %bb.93:
	v_cmp_ngt_f32_e64 s1, |v14|, |v15|
                                        ; implicit-def: $vgpr18_vgpr19
	s_and_saveexec_b32 s4, s1
	s_delay_alu instid0(SALU_CYCLE_1)
	s_xor_b32 s1, exec_lo, s4
	s_cbranch_execz .LBB123_95
; %bb.94:
	v_div_scale_f32 v0, null, v15, v15, v14
	v_div_scale_f32 v19, vcc_lo, v14, v15, v14
	s_delay_alu instid0(VALU_DEP_2) | instskip(SKIP_1) | instid1(TRANS32_DEP_1)
	v_rcp_f32_e32 v1, v0
	v_nop
	v_fma_f32 v18, -v0, v1, 1.0
	s_delay_alu instid0(VALU_DEP_1) | instskip(NEXT) | instid1(VALU_DEP_1)
	v_fmac_f32_e32 v1, v18, v1
	v_mul_f32_e32 v18, v19, v1
	s_delay_alu instid0(VALU_DEP_1) | instskip(NEXT) | instid1(VALU_DEP_1)
	v_fma_f32 v30, -v0, v18, v19
	v_fmac_f32_e32 v18, v30, v1
	s_delay_alu instid0(VALU_DEP_1) | instskip(NEXT) | instid1(VALU_DEP_1)
	v_fma_f32 v0, -v0, v18, v19
	v_div_fmas_f32 v0, v0, v1, v18
	s_delay_alu instid0(VALU_DEP_1) | instskip(NEXT) | instid1(VALU_DEP_1)
	v_div_fixup_f32 v0, v0, v15, v14
	v_fmac_f32_e32 v15, v14, v0
	s_delay_alu instid0(VALU_DEP_1) | instskip(SKIP_1) | instid1(VALU_DEP_2)
	v_div_scale_f32 v1, null, v15, v15, 1.0
	v_div_scale_f32 v19, vcc_lo, 1.0, v15, 1.0
	v_rcp_f32_e32 v14, v1
	v_nop
	s_delay_alu instid0(TRANS32_DEP_1) | instskip(NEXT) | instid1(VALU_DEP_1)
	v_fma_f32 v18, -v1, v14, 1.0
	v_fmac_f32_e32 v14, v18, v14
	s_delay_alu instid0(VALU_DEP_1) | instskip(NEXT) | instid1(VALU_DEP_1)
	v_mul_f32_e32 v18, v19, v14
	v_fma_f32 v30, -v1, v18, v19
	s_delay_alu instid0(VALU_DEP_1) | instskip(NEXT) | instid1(VALU_DEP_1)
	v_fmac_f32_e32 v18, v30, v14
	v_fma_f32 v1, -v1, v18, v19
	s_delay_alu instid0(VALU_DEP_1) | instskip(NEXT) | instid1(VALU_DEP_1)
	v_div_fmas_f32 v1, v1, v14, v18
	v_div_fixup_f32 v1, v1, v15, 1.0
                                        ; implicit-def: $vgpr14_vgpr15
	s_delay_alu instid0(VALU_DEP_1)
	v_mul_f32_e32 v18, v0, v1
	v_xor_b32_e32 v19, 0x80000000, v1
.LBB123_95:
	s_and_not1_saveexec_b32 s1, s1
	s_cbranch_execz .LBB123_97
; %bb.96:
	v_div_scale_f32 v0, null, v14, v14, v15
	v_div_scale_f32 v19, vcc_lo, v15, v14, v15
	s_delay_alu instid0(VALU_DEP_2) | instskip(SKIP_1) | instid1(TRANS32_DEP_1)
	v_rcp_f32_e32 v1, v0
	v_nop
	v_fma_f32 v18, -v0, v1, 1.0
	s_delay_alu instid0(VALU_DEP_1) | instskip(NEXT) | instid1(VALU_DEP_1)
	v_fmac_f32_e32 v1, v18, v1
	v_mul_f32_e32 v18, v19, v1
	s_delay_alu instid0(VALU_DEP_1) | instskip(NEXT) | instid1(VALU_DEP_1)
	v_fma_f32 v30, -v0, v18, v19
	v_fmac_f32_e32 v18, v30, v1
	s_delay_alu instid0(VALU_DEP_1) | instskip(NEXT) | instid1(VALU_DEP_1)
	v_fma_f32 v0, -v0, v18, v19
	v_div_fmas_f32 v0, v0, v1, v18
	s_delay_alu instid0(VALU_DEP_1) | instskip(NEXT) | instid1(VALU_DEP_1)
	v_div_fixup_f32 v0, v0, v14, v15
	v_fmac_f32_e32 v14, v15, v0
	s_delay_alu instid0(VALU_DEP_1) | instskip(NEXT) | instid1(VALU_DEP_1)
	v_div_scale_f32 v1, null, v14, v14, 1.0
	v_rcp_f32_e32 v15, v1
	v_nop
	s_delay_alu instid0(TRANS32_DEP_1) | instskip(NEXT) | instid1(VALU_DEP_1)
	v_fma_f32 v18, -v1, v15, 1.0
	v_fmac_f32_e32 v15, v18, v15
	v_div_scale_f32 v18, vcc_lo, 1.0, v14, 1.0
	s_delay_alu instid0(VALU_DEP_1) | instskip(NEXT) | instid1(VALU_DEP_1)
	v_mul_f32_e32 v19, v18, v15
	v_fma_f32 v30, -v1, v19, v18
	s_delay_alu instid0(VALU_DEP_1) | instskip(NEXT) | instid1(VALU_DEP_1)
	v_fmac_f32_e32 v19, v30, v15
	v_fma_f32 v1, -v1, v19, v18
	s_delay_alu instid0(VALU_DEP_1) | instskip(NEXT) | instid1(VALU_DEP_1)
	v_div_fmas_f32 v1, v1, v15, v19
	v_div_fixup_f32 v18, v1, v14, 1.0
	s_delay_alu instid0(VALU_DEP_1)
	v_mul_f32_e64 v19, v0, -v18
.LBB123_97:
	s_or_b32 exec_lo, exec_lo, s1
	ds_store_b64 v235, v[18:19]
.LBB123_98:
	s_or_b32 exec_lo, exec_lo, s2
	s_wait_dscnt 0x0
	s_barrier_signal -1
	s_barrier_wait -1
	ds_load_b64 v[14:15], v235
	s_mov_b32 s1, exec_lo
	v_cmpx_lt_u32_e32 10, v234
	s_cbranch_execz .LBB123_100
; %bb.99:
	ds_load_2addr_b64 v[32:35], v236 offset0:11 offset1:12
	s_wait_dscnt 0x1
	v_pk_mul_f32 v[30:31], v[14:15], v[40:41] op_sel:[1,1] op_sel_hi:[0,1]
	s_delay_alu instid0(VALU_DEP_1) | instskip(SKIP_1) | instid1(VALU_DEP_1)
	v_pk_fma_f32 v[18:19], v[14:15], v[40:41], v[30:31] op_sel_hi:[1,0,1] neg_lo:[0,0,1] neg_hi:[0,0,1]
	v_pk_fma_f32 v[30:31], v[14:15], v[40:41], v[30:31] op_sel_hi:[1,0,1]
	v_dual_mov_b32 v40, v18 :: v_dual_mov_b32 v41, v31
	s_wait_dscnt 0x0
	s_delay_alu instid0(VALU_DEP_2) | instskip(NEXT) | instid1(VALU_DEP_1)
	v_pk_mul_f32 v[44:45], v[32:33], v[30:31] op_sel:[0,1]
	v_pk_fma_f32 v[50:51], v[32:33], v[18:19], v[44:45] op_sel:[0,0,1] op_sel_hi:[1,1,0] neg_lo:[0,0,1] neg_hi:[0,0,1]
	v_pk_fma_f32 v[32:33], v[32:33], v[18:19], v[44:45] op_sel:[0,0,1] op_sel_hi:[1,0,0]
	s_delay_alu instid0(VALU_DEP_1) | instskip(SKIP_1) | instid1(VALU_DEP_1)
	v_mov_b32_e32 v51, v33
	v_pk_mul_f32 v[32:33], v[34:35], v[30:31] op_sel:[0,1]
	v_pk_fma_f32 v[44:45], v[34:35], v[18:19], v[32:33] op_sel:[0,0,1] op_sel_hi:[1,1,0] neg_lo:[0,0,1] neg_hi:[0,0,1]
	v_pk_fma_f32 v[32:33], v[34:35], v[18:19], v[32:33] op_sel:[0,0,1] op_sel_hi:[1,0,0]
	s_delay_alu instid0(VALU_DEP_1)
	v_mov_b32_e32 v45, v33
	ds_load_2addr_b64 v[32:35], v236 offset0:13 offset1:14
	v_pk_add_f32 v[36:37], v[36:37], v[50:51] neg_lo:[0,1] neg_hi:[0,1]
	v_pk_add_f32 v[66:67], v[66:67], v[44:45] neg_lo:[0,1] neg_hi:[0,1]
	s_wait_dscnt 0x0
	v_pk_mul_f32 v[44:45], v[32:33], v[30:31] op_sel:[0,1]
	s_delay_alu instid0(VALU_DEP_1) | instskip(SKIP_2) | instid1(VALU_DEP_2)
	v_pk_fma_f32 v[50:51], v[32:33], v[18:19], v[44:45] op_sel:[0,0,1] op_sel_hi:[1,1,0] neg_lo:[0,0,1] neg_hi:[0,0,1]
	v_pk_fma_f32 v[32:33], v[32:33], v[18:19], v[44:45] op_sel:[0,0,1] op_sel_hi:[1,0,0]
	v_dual_mul_f32 v44, v35, v31 :: v_dual_mov_b32 v32, v35
	v_dual_mov_b32 v51, v33 :: v_dual_mov_b32 v33, v34
	s_delay_alu instid0(VALU_DEP_2) | instskip(SKIP_1) | instid1(VALU_DEP_3)
	v_pk_fma_f32 v[44:45], v[34:35], v[40:41], v[44:45] op_sel_hi:[1,1,0] neg_lo:[0,0,1] neg_hi:[0,0,1]
	v_mul_f32_e32 v34, v35, v18
	v_pk_add_f32 v[62:63], v[62:63], v[50:51] neg_lo:[0,1] neg_hi:[0,1]
	s_delay_alu instid0(VALU_DEP_2) | instskip(NEXT) | instid1(VALU_DEP_1)
	v_pk_fma_f32 v[32:33], v[32:33], v[40:41], v[34:35] op_sel_hi:[1,1,0]
	v_mov_b32_e32 v45, v33
	ds_load_2addr_b64 v[32:35], v236 offset0:15 offset1:16
	v_pk_add_f32 v[64:65], v[64:65], v[44:45] neg_lo:[0,1] neg_hi:[0,1]
	s_wait_dscnt 0x0
	v_pk_mul_f32 v[44:45], v[32:33], v[30:31] op_sel:[0,1]
	s_delay_alu instid0(VALU_DEP_1) | instskip(SKIP_1) | instid1(VALU_DEP_1)
	v_pk_fma_f32 v[50:51], v[32:33], v[18:19], v[44:45] op_sel:[0,0,1] op_sel_hi:[1,1,0] neg_lo:[0,0,1] neg_hi:[0,0,1]
	v_pk_fma_f32 v[32:33], v[32:33], v[18:19], v[44:45] op_sel:[0,0,1] op_sel_hi:[1,0,0]
	v_mov_b32_e32 v51, v33
	v_pk_mul_f32 v[32:33], v[34:35], v[30:31] op_sel:[0,1]
	s_delay_alu instid0(VALU_DEP_1) | instskip(SKIP_1) | instid1(VALU_DEP_1)
	v_pk_fma_f32 v[44:45], v[34:35], v[18:19], v[32:33] op_sel:[0,0,1] op_sel_hi:[1,1,0] neg_lo:[0,0,1] neg_hi:[0,0,1]
	v_pk_fma_f32 v[32:33], v[34:35], v[18:19], v[32:33] op_sel:[0,0,1] op_sel_hi:[1,0,0]
	v_mov_b32_e32 v45, v33
	ds_load_2addr_b64 v[32:35], v236 offset0:17 offset1:18
	v_pk_add_f32 v[60:61], v[60:61], v[50:51] neg_lo:[0,1] neg_hi:[0,1]
	v_pk_add_f32 v[82:83], v[82:83], v[44:45] neg_lo:[0,1] neg_hi:[0,1]
	s_wait_dscnt 0x0
	v_pk_mul_f32 v[44:45], v[32:33], v[30:31] op_sel:[0,1]
	s_delay_alu instid0(VALU_DEP_1) | instskip(SKIP_1) | instid1(VALU_DEP_1)
	v_pk_fma_f32 v[50:51], v[32:33], v[18:19], v[44:45] op_sel:[0,0,1] op_sel_hi:[1,1,0] neg_lo:[0,0,1] neg_hi:[0,0,1]
	v_pk_fma_f32 v[32:33], v[32:33], v[18:19], v[44:45] op_sel:[0,0,1] op_sel_hi:[1,0,0]
	v_mov_b32_e32 v51, v33
	v_pk_mul_f32 v[32:33], v[34:35], v[30:31] op_sel:[0,1]
	s_delay_alu instid0(VALU_DEP_1) | instskip(SKIP_1) | instid1(VALU_DEP_1)
	v_pk_fma_f32 v[44:45], v[34:35], v[18:19], v[32:33] op_sel:[0,0,1] op_sel_hi:[1,1,0] neg_lo:[0,0,1] neg_hi:[0,0,1]
	v_pk_fma_f32 v[32:33], v[34:35], v[18:19], v[32:33] op_sel:[0,0,1] op_sel_hi:[1,0,0]
	v_mov_b32_e32 v45, v33
	ds_load_2addr_b64 v[32:35], v236 offset0:19 offset1:20
	v_pk_add_f32 v[78:79], v[78:79], v[50:51] neg_lo:[0,1] neg_hi:[0,1]
	v_pk_add_f32 v[80:81], v[80:81], v[44:45] neg_lo:[0,1] neg_hi:[0,1]
	s_wait_dscnt 0x0
	v_dual_mul_f32 v44, v33, v31 :: v_dual_mul_f32 v50, v33, v18
	s_delay_alu instid0(VALU_DEP_1) | instskip(NEXT) | instid1(VALU_DEP_2)
	v_pk_fma_f32 v[44:45], v[32:33], v[40:41], v[44:45] op_sel_hi:[1,1,0] neg_lo:[0,0,1] neg_hi:[0,0,1]
	v_pk_fma_f32 v[32:33], v[32:33], v[40:41], v[50:51] op_sel:[1,0,0] op_sel_hi:[0,1,0]
	s_delay_alu instid0(VALU_DEP_1) | instskip(SKIP_1) | instid1(VALU_DEP_2)
	v_mov_b32_e32 v45, v33
	v_pk_mul_f32 v[32:33], v[34:35], v[30:31] op_sel:[0,1]
	v_pk_add_f32 v[76:77], v[76:77], v[44:45] neg_lo:[0,1] neg_hi:[0,1]
	s_delay_alu instid0(VALU_DEP_2) | instskip(SKIP_1) | instid1(VALU_DEP_1)
	v_pk_fma_f32 v[44:45], v[34:35], v[18:19], v[32:33] op_sel:[0,0,1] op_sel_hi:[1,1,0] neg_lo:[0,0,1] neg_hi:[0,0,1]
	v_pk_fma_f32 v[32:33], v[34:35], v[18:19], v[32:33] op_sel:[0,0,1] op_sel_hi:[1,0,0]
	v_mov_b32_e32 v45, v33
	ds_load_2addr_b64 v[32:35], v236 offset0:21 offset1:22
	v_pk_add_f32 v[98:99], v[98:99], v[44:45] neg_lo:[0,1] neg_hi:[0,1]
	s_wait_dscnt 0x0
	v_pk_mul_f32 v[44:45], v[32:33], v[30:31] op_sel:[0,1]
	s_delay_alu instid0(VALU_DEP_1) | instskip(SKIP_1) | instid1(VALU_DEP_1)
	v_pk_fma_f32 v[50:51], v[32:33], v[18:19], v[44:45] op_sel:[0,0,1] op_sel_hi:[1,1,0] neg_lo:[0,0,1] neg_hi:[0,0,1]
	v_pk_fma_f32 v[32:33], v[32:33], v[18:19], v[44:45] op_sel:[0,0,1] op_sel_hi:[1,0,0]
	v_mov_b32_e32 v51, v33
	v_pk_mul_f32 v[32:33], v[34:35], v[30:31] op_sel:[0,1]
	s_delay_alu instid0(VALU_DEP_2) | instskip(NEXT) | instid1(VALU_DEP_2)
	v_pk_add_f32 v[94:95], v[94:95], v[50:51] neg_lo:[0,1] neg_hi:[0,1]
	v_pk_fma_f32 v[44:45], v[34:35], v[18:19], v[32:33] op_sel:[0,0,1] op_sel_hi:[1,1,0] neg_lo:[0,0,1] neg_hi:[0,0,1]
	v_pk_fma_f32 v[32:33], v[34:35], v[18:19], v[32:33] op_sel:[0,0,1] op_sel_hi:[1,0,0]
	s_delay_alu instid0(VALU_DEP_1) | instskip(SKIP_4) | instid1(VALU_DEP_1)
	v_mov_b32_e32 v45, v33
	ds_load_2addr_b64 v[32:35], v236 offset0:23 offset1:24
	v_pk_add_f32 v[96:97], v[96:97], v[44:45] neg_lo:[0,1] neg_hi:[0,1]
	s_wait_dscnt 0x0
	v_pk_mul_f32 v[44:45], v[32:33], v[30:31] op_sel:[0,1]
	v_pk_fma_f32 v[50:51], v[32:33], v[18:19], v[44:45] op_sel:[0,0,1] op_sel_hi:[1,1,0] neg_lo:[0,0,1] neg_hi:[0,0,1]
	v_pk_fma_f32 v[32:33], v[32:33], v[18:19], v[44:45] op_sel:[0,0,1] op_sel_hi:[1,0,0]
	v_dual_mul_f32 v44, v35, v31 :: v_dual_mov_b32 v32, v35
	s_delay_alu instid0(VALU_DEP_2) | instskip(NEXT) | instid1(VALU_DEP_2)
	v_dual_mov_b32 v51, v33 :: v_dual_mov_b32 v33, v34
	v_pk_fma_f32 v[44:45], v[34:35], v[40:41], v[44:45] op_sel_hi:[1,1,0] neg_lo:[0,0,1] neg_hi:[0,0,1]
	v_mul_f32_e32 v34, v35, v18
	s_delay_alu instid0(VALU_DEP_3) | instskip(NEXT) | instid1(VALU_DEP_2)
	v_pk_add_f32 v[92:93], v[92:93], v[50:51] neg_lo:[0,1] neg_hi:[0,1]
	v_pk_fma_f32 v[32:33], v[32:33], v[40:41], v[34:35] op_sel_hi:[1,1,0]
	s_delay_alu instid0(VALU_DEP_1) | instskip(SKIP_4) | instid1(VALU_DEP_1)
	v_mov_b32_e32 v45, v33
	ds_load_2addr_b64 v[32:35], v236 offset0:25 offset1:26
	v_pk_add_f32 v[114:115], v[114:115], v[44:45] neg_lo:[0,1] neg_hi:[0,1]
	s_wait_dscnt 0x0
	v_pk_mul_f32 v[44:45], v[32:33], v[30:31] op_sel:[0,1]
	v_pk_fma_f32 v[50:51], v[32:33], v[18:19], v[44:45] op_sel:[0,0,1] op_sel_hi:[1,1,0] neg_lo:[0,0,1] neg_hi:[0,0,1]
	v_pk_fma_f32 v[32:33], v[32:33], v[18:19], v[44:45] op_sel:[0,0,1] op_sel_hi:[1,0,0]
	s_delay_alu instid0(VALU_DEP_1) | instskip(SKIP_1) | instid1(VALU_DEP_1)
	v_mov_b32_e32 v51, v33
	v_pk_mul_f32 v[32:33], v[34:35], v[30:31] op_sel:[0,1]
	v_pk_fma_f32 v[44:45], v[34:35], v[18:19], v[32:33] op_sel:[0,0,1] op_sel_hi:[1,1,0] neg_lo:[0,0,1] neg_hi:[0,0,1]
	v_pk_fma_f32 v[32:33], v[34:35], v[18:19], v[32:33] op_sel:[0,0,1] op_sel_hi:[1,0,0]
	s_delay_alu instid0(VALU_DEP_1)
	v_mov_b32_e32 v45, v33
	ds_load_2addr_b64 v[32:35], v236 offset0:27 offset1:28
	v_pk_add_f32 v[110:111], v[110:111], v[50:51] neg_lo:[0,1] neg_hi:[0,1]
	v_pk_add_f32 v[112:113], v[112:113], v[44:45] neg_lo:[0,1] neg_hi:[0,1]
	s_wait_dscnt 0x0
	v_pk_mul_f32 v[44:45], v[32:33], v[30:31] op_sel:[0,1]
	s_delay_alu instid0(VALU_DEP_1) | instskip(SKIP_1) | instid1(VALU_DEP_1)
	v_pk_fma_f32 v[50:51], v[32:33], v[18:19], v[44:45] op_sel:[0,0,1] op_sel_hi:[1,1,0] neg_lo:[0,0,1] neg_hi:[0,0,1]
	v_pk_fma_f32 v[32:33], v[32:33], v[18:19], v[44:45] op_sel:[0,0,1] op_sel_hi:[1,0,0]
	v_mov_b32_e32 v51, v33
	v_pk_mul_f32 v[32:33], v[34:35], v[30:31] op_sel:[0,1]
	s_delay_alu instid0(VALU_DEP_1) | instskip(SKIP_1) | instid1(VALU_DEP_1)
	v_pk_fma_f32 v[44:45], v[34:35], v[18:19], v[32:33] op_sel:[0,0,1] op_sel_hi:[1,1,0] neg_lo:[0,0,1] neg_hi:[0,0,1]
	v_pk_fma_f32 v[32:33], v[34:35], v[18:19], v[32:33] op_sel:[0,0,1] op_sel_hi:[1,0,0]
	v_mov_b32_e32 v45, v33
	ds_load_2addr_b64 v[32:35], v236 offset0:29 offset1:30
	v_pk_add_f32 v[108:109], v[108:109], v[50:51] neg_lo:[0,1] neg_hi:[0,1]
	v_pk_add_f32 v[130:131], v[130:131], v[44:45] neg_lo:[0,1] neg_hi:[0,1]
	s_wait_dscnt 0x0
	v_dual_mul_f32 v44, v33, v31 :: v_dual_mul_f32 v50, v33, v18
	s_delay_alu instid0(VALU_DEP_1) | instskip(NEXT) | instid1(VALU_DEP_2)
	v_pk_fma_f32 v[44:45], v[32:33], v[40:41], v[44:45] op_sel_hi:[1,1,0] neg_lo:[0,0,1] neg_hi:[0,0,1]
	v_pk_fma_f32 v[32:33], v[32:33], v[40:41], v[50:51] op_sel:[1,0,0] op_sel_hi:[0,1,0]
	s_delay_alu instid0(VALU_DEP_1) | instskip(SKIP_1) | instid1(VALU_DEP_2)
	v_mov_b32_e32 v45, v33
	v_pk_mul_f32 v[32:33], v[34:35], v[30:31] op_sel:[0,1]
	v_pk_add_f32 v[126:127], v[126:127], v[44:45] neg_lo:[0,1] neg_hi:[0,1]
	s_delay_alu instid0(VALU_DEP_2) | instskip(SKIP_1) | instid1(VALU_DEP_1)
	v_pk_fma_f32 v[44:45], v[34:35], v[18:19], v[32:33] op_sel:[0,0,1] op_sel_hi:[1,1,0] neg_lo:[0,0,1] neg_hi:[0,0,1]
	v_pk_fma_f32 v[32:33], v[34:35], v[18:19], v[32:33] op_sel:[0,0,1] op_sel_hi:[1,0,0]
	v_mov_b32_e32 v45, v33
	ds_load_2addr_b64 v[32:35], v236 offset0:31 offset1:32
	v_pk_add_f32 v[128:129], v[128:129], v[44:45] neg_lo:[0,1] neg_hi:[0,1]
	s_wait_dscnt 0x0
	v_pk_mul_f32 v[44:45], v[32:33], v[30:31] op_sel:[0,1]
	s_delay_alu instid0(VALU_DEP_1) | instskip(SKIP_1) | instid1(VALU_DEP_1)
	v_pk_fma_f32 v[50:51], v[32:33], v[18:19], v[44:45] op_sel:[0,0,1] op_sel_hi:[1,1,0] neg_lo:[0,0,1] neg_hi:[0,0,1]
	v_pk_fma_f32 v[32:33], v[32:33], v[18:19], v[44:45] op_sel:[0,0,1] op_sel_hi:[1,0,0]
	v_mov_b32_e32 v51, v33
	v_pk_mul_f32 v[32:33], v[34:35], v[30:31] op_sel:[0,1]
	s_delay_alu instid0(VALU_DEP_2) | instskip(NEXT) | instid1(VALU_DEP_2)
	v_pk_add_f32 v[124:125], v[124:125], v[50:51] neg_lo:[0,1] neg_hi:[0,1]
	v_pk_fma_f32 v[44:45], v[34:35], v[18:19], v[32:33] op_sel:[0,0,1] op_sel_hi:[1,1,0] neg_lo:[0,0,1] neg_hi:[0,0,1]
	v_pk_fma_f32 v[32:33], v[34:35], v[18:19], v[32:33] op_sel:[0,0,1] op_sel_hi:[1,0,0]
	s_delay_alu instid0(VALU_DEP_1) | instskip(SKIP_4) | instid1(VALU_DEP_1)
	v_mov_b32_e32 v45, v33
	ds_load_2addr_b64 v[32:35], v236 offset0:33 offset1:34
	v_pk_add_f32 v[146:147], v[146:147], v[44:45] neg_lo:[0,1] neg_hi:[0,1]
	s_wait_dscnt 0x0
	v_pk_mul_f32 v[44:45], v[32:33], v[30:31] op_sel:[0,1]
	v_pk_fma_f32 v[50:51], v[32:33], v[18:19], v[44:45] op_sel:[0,0,1] op_sel_hi:[1,1,0] neg_lo:[0,0,1] neg_hi:[0,0,1]
	v_pk_fma_f32 v[32:33], v[32:33], v[18:19], v[44:45] op_sel:[0,0,1] op_sel_hi:[1,0,0]
	v_dual_mul_f32 v44, v35, v31 :: v_dual_mov_b32 v32, v35
	s_delay_alu instid0(VALU_DEP_2) | instskip(NEXT) | instid1(VALU_DEP_2)
	v_dual_mov_b32 v51, v33 :: v_dual_mov_b32 v33, v34
	v_pk_fma_f32 v[44:45], v[34:35], v[40:41], v[44:45] op_sel_hi:[1,1,0] neg_lo:[0,0,1] neg_hi:[0,0,1]
	v_mul_f32_e32 v34, v35, v18
	s_delay_alu instid0(VALU_DEP_3) | instskip(NEXT) | instid1(VALU_DEP_2)
	v_pk_add_f32 v[142:143], v[142:143], v[50:51] neg_lo:[0,1] neg_hi:[0,1]
	v_pk_fma_f32 v[32:33], v[32:33], v[40:41], v[34:35] op_sel_hi:[1,1,0]
	s_delay_alu instid0(VALU_DEP_1) | instskip(SKIP_4) | instid1(VALU_DEP_1)
	v_mov_b32_e32 v45, v33
	ds_load_2addr_b64 v[32:35], v236 offset0:35 offset1:36
	v_pk_add_f32 v[144:145], v[144:145], v[44:45] neg_lo:[0,1] neg_hi:[0,1]
	s_wait_dscnt 0x0
	v_pk_mul_f32 v[44:45], v[32:33], v[30:31] op_sel:[0,1]
	v_pk_fma_f32 v[50:51], v[32:33], v[18:19], v[44:45] op_sel:[0,0,1] op_sel_hi:[1,1,0] neg_lo:[0,0,1] neg_hi:[0,0,1]
	v_pk_fma_f32 v[32:33], v[32:33], v[18:19], v[44:45] op_sel:[0,0,1] op_sel_hi:[1,0,0]
	s_delay_alu instid0(VALU_DEP_1) | instskip(SKIP_1) | instid1(VALU_DEP_1)
	v_mov_b32_e32 v51, v33
	v_pk_mul_f32 v[32:33], v[34:35], v[30:31] op_sel:[0,1]
	v_pk_fma_f32 v[44:45], v[34:35], v[18:19], v[32:33] op_sel:[0,0,1] op_sel_hi:[1,1,0] neg_lo:[0,0,1] neg_hi:[0,0,1]
	v_pk_fma_f32 v[32:33], v[34:35], v[18:19], v[32:33] op_sel:[0,0,1] op_sel_hi:[1,0,0]
	s_delay_alu instid0(VALU_DEP_1)
	v_mov_b32_e32 v45, v33
	ds_load_2addr_b64 v[32:35], v236 offset0:37 offset1:38
	v_pk_add_f32 v[140:141], v[140:141], v[50:51] neg_lo:[0,1] neg_hi:[0,1]
	v_pk_add_f32 v[162:163], v[162:163], v[44:45] neg_lo:[0,1] neg_hi:[0,1]
	s_wait_dscnt 0x0
	v_pk_mul_f32 v[44:45], v[32:33], v[30:31] op_sel:[0,1]
	s_delay_alu instid0(VALU_DEP_1) | instskip(SKIP_1) | instid1(VALU_DEP_1)
	v_pk_fma_f32 v[50:51], v[32:33], v[18:19], v[44:45] op_sel:[0,0,1] op_sel_hi:[1,1,0] neg_lo:[0,0,1] neg_hi:[0,0,1]
	v_pk_fma_f32 v[32:33], v[32:33], v[18:19], v[44:45] op_sel:[0,0,1] op_sel_hi:[1,0,0]
	v_mov_b32_e32 v51, v33
	v_pk_mul_f32 v[32:33], v[34:35], v[30:31] op_sel:[0,1]
	s_delay_alu instid0(VALU_DEP_1) | instskip(SKIP_1) | instid1(VALU_DEP_1)
	v_pk_fma_f32 v[44:45], v[34:35], v[18:19], v[32:33] op_sel:[0,0,1] op_sel_hi:[1,1,0] neg_lo:[0,0,1] neg_hi:[0,0,1]
	v_pk_fma_f32 v[32:33], v[34:35], v[18:19], v[32:33] op_sel:[0,0,1] op_sel_hi:[1,0,0]
	v_mov_b32_e32 v45, v33
	ds_load_2addr_b64 v[32:35], v236 offset0:39 offset1:40
	v_pk_add_f32 v[158:159], v[158:159], v[50:51] neg_lo:[0,1] neg_hi:[0,1]
	v_pk_add_f32 v[160:161], v[160:161], v[44:45] neg_lo:[0,1] neg_hi:[0,1]
	s_wait_dscnt 0x0
	v_dual_mul_f32 v44, v33, v31 :: v_dual_mul_f32 v50, v33, v18
	s_delay_alu instid0(VALU_DEP_1) | instskip(NEXT) | instid1(VALU_DEP_2)
	v_pk_fma_f32 v[44:45], v[32:33], v[40:41], v[44:45] op_sel_hi:[1,1,0] neg_lo:[0,0,1] neg_hi:[0,0,1]
	v_pk_fma_f32 v[32:33], v[32:33], v[40:41], v[50:51] op_sel:[1,0,0] op_sel_hi:[0,1,0]
	s_delay_alu instid0(VALU_DEP_1) | instskip(SKIP_1) | instid1(VALU_DEP_2)
	v_mov_b32_e32 v45, v33
	v_pk_mul_f32 v[32:33], v[34:35], v[30:31] op_sel:[0,1]
	v_pk_add_f32 v[156:157], v[156:157], v[44:45] neg_lo:[0,1] neg_hi:[0,1]
	s_delay_alu instid0(VALU_DEP_2) | instskip(SKIP_1) | instid1(VALU_DEP_1)
	v_pk_fma_f32 v[44:45], v[34:35], v[18:19], v[32:33] op_sel:[0,0,1] op_sel_hi:[1,1,0] neg_lo:[0,0,1] neg_hi:[0,0,1]
	v_pk_fma_f32 v[32:33], v[34:35], v[18:19], v[32:33] op_sel:[0,0,1] op_sel_hi:[1,0,0]
	v_mov_b32_e32 v45, v33
	ds_load_2addr_b64 v[32:35], v236 offset0:41 offset1:42
	v_pk_add_f32 v[178:179], v[178:179], v[44:45] neg_lo:[0,1] neg_hi:[0,1]
	s_wait_dscnt 0x0
	v_pk_mul_f32 v[44:45], v[32:33], v[30:31] op_sel:[0,1]
	s_delay_alu instid0(VALU_DEP_1) | instskip(SKIP_1) | instid1(VALU_DEP_1)
	v_pk_fma_f32 v[50:51], v[32:33], v[18:19], v[44:45] op_sel:[0,0,1] op_sel_hi:[1,1,0] neg_lo:[0,0,1] neg_hi:[0,0,1]
	v_pk_fma_f32 v[32:33], v[32:33], v[18:19], v[44:45] op_sel:[0,0,1] op_sel_hi:[1,0,0]
	v_mov_b32_e32 v51, v33
	v_pk_mul_f32 v[32:33], v[34:35], v[30:31] op_sel:[0,1]
	s_delay_alu instid0(VALU_DEP_2) | instskip(NEXT) | instid1(VALU_DEP_2)
	v_pk_add_f32 v[174:175], v[174:175], v[50:51] neg_lo:[0,1] neg_hi:[0,1]
	v_pk_fma_f32 v[44:45], v[34:35], v[18:19], v[32:33] op_sel:[0,0,1] op_sel_hi:[1,1,0] neg_lo:[0,0,1] neg_hi:[0,0,1]
	v_pk_fma_f32 v[32:33], v[34:35], v[18:19], v[32:33] op_sel:[0,0,1] op_sel_hi:[1,0,0]
	s_delay_alu instid0(VALU_DEP_1) | instskip(SKIP_4) | instid1(VALU_DEP_1)
	v_mov_b32_e32 v45, v33
	ds_load_2addr_b64 v[32:35], v236 offset0:43 offset1:44
	v_pk_add_f32 v[176:177], v[176:177], v[44:45] neg_lo:[0,1] neg_hi:[0,1]
	s_wait_dscnt 0x0
	v_pk_mul_f32 v[44:45], v[32:33], v[30:31] op_sel:[0,1]
	v_pk_fma_f32 v[50:51], v[32:33], v[18:19], v[44:45] op_sel:[0,0,1] op_sel_hi:[1,1,0] neg_lo:[0,0,1] neg_hi:[0,0,1]
	v_pk_fma_f32 v[32:33], v[32:33], v[18:19], v[44:45] op_sel:[0,0,1] op_sel_hi:[1,0,0]
	v_dual_mul_f32 v44, v35, v31 :: v_dual_mov_b32 v32, v35
	s_delay_alu instid0(VALU_DEP_2) | instskip(NEXT) | instid1(VALU_DEP_2)
	v_dual_mov_b32 v51, v33 :: v_dual_mov_b32 v33, v34
	v_pk_fma_f32 v[44:45], v[34:35], v[40:41], v[44:45] op_sel_hi:[1,1,0] neg_lo:[0,0,1] neg_hi:[0,0,1]
	v_mul_f32_e32 v34, v35, v18
	s_delay_alu instid0(VALU_DEP_3) | instskip(NEXT) | instid1(VALU_DEP_2)
	v_pk_add_f32 v[172:173], v[172:173], v[50:51] neg_lo:[0,1] neg_hi:[0,1]
	v_pk_fma_f32 v[32:33], v[32:33], v[40:41], v[34:35] op_sel_hi:[1,1,0]
	s_delay_alu instid0(VALU_DEP_1) | instskip(SKIP_4) | instid1(VALU_DEP_1)
	v_mov_b32_e32 v45, v33
	ds_load_2addr_b64 v[32:35], v236 offset0:45 offset1:46
	v_pk_add_f32 v[194:195], v[194:195], v[44:45] neg_lo:[0,1] neg_hi:[0,1]
	s_wait_dscnt 0x0
	v_pk_mul_f32 v[44:45], v[32:33], v[30:31] op_sel:[0,1]
	v_pk_fma_f32 v[50:51], v[32:33], v[18:19], v[44:45] op_sel:[0,0,1] op_sel_hi:[1,1,0] neg_lo:[0,0,1] neg_hi:[0,0,1]
	v_pk_fma_f32 v[32:33], v[32:33], v[18:19], v[44:45] op_sel:[0,0,1] op_sel_hi:[1,0,0]
	s_delay_alu instid0(VALU_DEP_1) | instskip(SKIP_1) | instid1(VALU_DEP_1)
	v_mov_b32_e32 v51, v33
	v_pk_mul_f32 v[32:33], v[34:35], v[30:31] op_sel:[0,1]
	v_pk_fma_f32 v[44:45], v[34:35], v[18:19], v[32:33] op_sel:[0,0,1] op_sel_hi:[1,1,0] neg_lo:[0,0,1] neg_hi:[0,0,1]
	v_pk_fma_f32 v[32:33], v[34:35], v[18:19], v[32:33] op_sel:[0,0,1] op_sel_hi:[1,0,0]
	s_delay_alu instid0(VALU_DEP_1)
	v_mov_b32_e32 v45, v33
	ds_load_2addr_b64 v[32:35], v236 offset0:47 offset1:48
	v_pk_add_f32 v[190:191], v[190:191], v[50:51] neg_lo:[0,1] neg_hi:[0,1]
	v_pk_add_f32 v[192:193], v[192:193], v[44:45] neg_lo:[0,1] neg_hi:[0,1]
	s_wait_dscnt 0x0
	v_pk_mul_f32 v[44:45], v[32:33], v[30:31] op_sel:[0,1]
	s_delay_alu instid0(VALU_DEP_1) | instskip(SKIP_1) | instid1(VALU_DEP_1)
	v_pk_fma_f32 v[50:51], v[32:33], v[18:19], v[44:45] op_sel:[0,0,1] op_sel_hi:[1,1,0] neg_lo:[0,0,1] neg_hi:[0,0,1]
	v_pk_fma_f32 v[32:33], v[32:33], v[18:19], v[44:45] op_sel:[0,0,1] op_sel_hi:[1,0,0]
	v_mov_b32_e32 v51, v33
	v_pk_mul_f32 v[32:33], v[34:35], v[30:31] op_sel:[0,1]
	s_delay_alu instid0(VALU_DEP_1) | instskip(SKIP_1) | instid1(VALU_DEP_1)
	v_pk_fma_f32 v[44:45], v[34:35], v[18:19], v[32:33] op_sel:[0,0,1] op_sel_hi:[1,1,0] neg_lo:[0,0,1] neg_hi:[0,0,1]
	v_pk_fma_f32 v[32:33], v[34:35], v[18:19], v[32:33] op_sel:[0,0,1] op_sel_hi:[1,0,0]
	v_mov_b32_e32 v45, v33
	ds_load_2addr_b64 v[32:35], v236 offset0:49 offset1:50
	v_pk_add_f32 v[188:189], v[188:189], v[50:51] neg_lo:[0,1] neg_hi:[0,1]
	v_pk_add_f32 v[210:211], v[210:211], v[44:45] neg_lo:[0,1] neg_hi:[0,1]
	s_wait_dscnt 0x0
	v_dual_mul_f32 v44, v33, v31 :: v_dual_mul_f32 v50, v33, v18
	s_delay_alu instid0(VALU_DEP_1) | instskip(NEXT) | instid1(VALU_DEP_2)
	v_pk_fma_f32 v[44:45], v[32:33], v[40:41], v[44:45] op_sel_hi:[1,1,0] neg_lo:[0,0,1] neg_hi:[0,0,1]
	v_pk_fma_f32 v[32:33], v[32:33], v[40:41], v[50:51] op_sel:[1,0,0] op_sel_hi:[0,1,0]
	s_delay_alu instid0(VALU_DEP_1) | instskip(SKIP_1) | instid1(VALU_DEP_2)
	v_mov_b32_e32 v45, v33
	v_pk_mul_f32 v[32:33], v[34:35], v[30:31] op_sel:[0,1]
	v_pk_add_f32 v[206:207], v[206:207], v[44:45] neg_lo:[0,1] neg_hi:[0,1]
	s_delay_alu instid0(VALU_DEP_2) | instskip(SKIP_1) | instid1(VALU_DEP_1)
	v_pk_fma_f32 v[44:45], v[34:35], v[18:19], v[32:33] op_sel:[0,0,1] op_sel_hi:[1,1,0] neg_lo:[0,0,1] neg_hi:[0,0,1]
	v_pk_fma_f32 v[32:33], v[34:35], v[18:19], v[32:33] op_sel:[0,0,1] op_sel_hi:[1,0,0]
	v_mov_b32_e32 v45, v33
	ds_load_2addr_b64 v[32:35], v236 offset0:51 offset1:52
	v_pk_add_f32 v[208:209], v[208:209], v[44:45] neg_lo:[0,1] neg_hi:[0,1]
	s_wait_dscnt 0x0
	v_pk_mul_f32 v[44:45], v[32:33], v[30:31] op_sel:[0,1]
	s_delay_alu instid0(VALU_DEP_1) | instskip(SKIP_1) | instid1(VALU_DEP_1)
	v_pk_fma_f32 v[50:51], v[32:33], v[18:19], v[44:45] op_sel:[0,0,1] op_sel_hi:[1,1,0] neg_lo:[0,0,1] neg_hi:[0,0,1]
	v_pk_fma_f32 v[32:33], v[32:33], v[18:19], v[44:45] op_sel:[0,0,1] op_sel_hi:[1,0,0]
	v_mov_b32_e32 v51, v33
	v_pk_mul_f32 v[32:33], v[34:35], v[30:31] op_sel:[0,1]
	s_delay_alu instid0(VALU_DEP_2) | instskip(NEXT) | instid1(VALU_DEP_2)
	v_pk_add_f32 v[204:205], v[204:205], v[50:51] neg_lo:[0,1] neg_hi:[0,1]
	v_pk_fma_f32 v[44:45], v[34:35], v[18:19], v[32:33] op_sel:[0,0,1] op_sel_hi:[1,1,0] neg_lo:[0,0,1] neg_hi:[0,0,1]
	v_pk_fma_f32 v[32:33], v[34:35], v[18:19], v[32:33] op_sel:[0,0,1] op_sel_hi:[1,0,0]
	s_delay_alu instid0(VALU_DEP_1) | instskip(SKIP_4) | instid1(VALU_DEP_1)
	v_mov_b32_e32 v45, v33
	ds_load_2addr_b64 v[32:35], v236 offset0:53 offset1:54
	v_pk_add_f32 v[228:229], v[228:229], v[44:45] neg_lo:[0,1] neg_hi:[0,1]
	s_wait_dscnt 0x0
	v_pk_mul_f32 v[44:45], v[32:33], v[30:31] op_sel:[0,1]
	v_pk_fma_f32 v[50:51], v[32:33], v[18:19], v[44:45] op_sel:[0,0,1] op_sel_hi:[1,1,0] neg_lo:[0,0,1] neg_hi:[0,0,1]
	v_pk_fma_f32 v[32:33], v[32:33], v[18:19], v[44:45] op_sel:[0,0,1] op_sel_hi:[1,0,0]
	v_dual_mul_f32 v44, v35, v31 :: v_dual_mov_b32 v32, v35
	s_delay_alu instid0(VALU_DEP_2) | instskip(NEXT) | instid1(VALU_DEP_2)
	v_dual_mov_b32 v51, v33 :: v_dual_mov_b32 v33, v34
	v_pk_fma_f32 v[44:45], v[34:35], v[40:41], v[44:45] op_sel_hi:[1,1,0] neg_lo:[0,0,1] neg_hi:[0,0,1]
	v_mul_f32_e32 v34, v35, v18
	s_delay_alu instid0(VALU_DEP_3) | instskip(NEXT) | instid1(VALU_DEP_2)
	v_pk_add_f32 v[224:225], v[224:225], v[50:51] neg_lo:[0,1] neg_hi:[0,1]
	v_pk_fma_f32 v[32:33], v[32:33], v[40:41], v[34:35] op_sel_hi:[1,1,0]
	s_delay_alu instid0(VALU_DEP_1) | instskip(SKIP_4) | instid1(VALU_DEP_1)
	v_mov_b32_e32 v45, v33
	ds_load_2addr_b64 v[32:35], v236 offset0:55 offset1:56
	v_pk_add_f32 v[226:227], v[226:227], v[44:45] neg_lo:[0,1] neg_hi:[0,1]
	s_wait_dscnt 0x0
	v_pk_mul_f32 v[44:45], v[32:33], v[30:31] op_sel:[0,1]
	v_pk_fma_f32 v[50:51], v[32:33], v[18:19], v[44:45] op_sel:[0,0,1] op_sel_hi:[1,1,0] neg_lo:[0,0,1] neg_hi:[0,0,1]
	v_pk_fma_f32 v[32:33], v[32:33], v[18:19], v[44:45] op_sel:[0,0,1] op_sel_hi:[1,0,0]
	s_delay_alu instid0(VALU_DEP_1) | instskip(SKIP_1) | instid1(VALU_DEP_1)
	v_mov_b32_e32 v51, v33
	v_pk_mul_f32 v[32:33], v[34:35], v[30:31] op_sel:[0,1]
	v_pk_fma_f32 v[44:45], v[34:35], v[18:19], v[32:33] op_sel:[0,0,1] op_sel_hi:[1,1,0] neg_lo:[0,0,1] neg_hi:[0,0,1]
	v_pk_fma_f32 v[32:33], v[34:35], v[18:19], v[32:33] op_sel:[0,0,1] op_sel_hi:[1,0,0]
	s_delay_alu instid0(VALU_DEP_1)
	v_mov_b32_e32 v45, v33
	ds_load_2addr_b64 v[32:35], v236 offset0:57 offset1:58
	v_pk_add_f32 v[222:223], v[222:223], v[50:51] neg_lo:[0,1] neg_hi:[0,1]
	v_pk_add_f32 v[244:245], v[244:245], v[44:45] neg_lo:[0,1] neg_hi:[0,1]
	s_wait_dscnt 0x0
	v_pk_mul_f32 v[44:45], v[32:33], v[30:31] op_sel:[0,1]
	s_delay_alu instid0(VALU_DEP_1) | instskip(SKIP_1) | instid1(VALU_DEP_1)
	v_pk_fma_f32 v[50:51], v[32:33], v[18:19], v[44:45] op_sel:[0,0,1] op_sel_hi:[1,1,0] neg_lo:[0,0,1] neg_hi:[0,0,1]
	v_pk_fma_f32 v[32:33], v[32:33], v[18:19], v[44:45] op_sel:[0,0,1] op_sel_hi:[1,0,0]
	v_mov_b32_e32 v51, v33
	v_pk_mul_f32 v[32:33], v[34:35], v[30:31] op_sel:[0,1]
	s_delay_alu instid0(VALU_DEP_1) | instskip(SKIP_1) | instid1(VALU_DEP_1)
	v_pk_fma_f32 v[44:45], v[34:35], v[18:19], v[32:33] op_sel:[0,0,1] op_sel_hi:[1,1,0] neg_lo:[0,0,1] neg_hi:[0,0,1]
	v_pk_fma_f32 v[32:33], v[34:35], v[18:19], v[32:33] op_sel:[0,0,1] op_sel_hi:[1,0,0]
	v_mov_b32_e32 v45, v33
	ds_load_2addr_b64 v[32:35], v236 offset0:59 offset1:60
	v_pk_add_f32 v[240:241], v[240:241], v[50:51] neg_lo:[0,1] neg_hi:[0,1]
	v_pk_add_f32 v[242:243], v[242:243], v[44:45] neg_lo:[0,1] neg_hi:[0,1]
	s_wait_dscnt 0x0
	v_dual_mul_f32 v44, v33, v31 :: v_dual_mul_f32 v50, v33, v18
	s_delay_alu instid0(VALU_DEP_1) | instskip(NEXT) | instid1(VALU_DEP_2)
	v_pk_fma_f32 v[44:45], v[32:33], v[40:41], v[44:45] op_sel_hi:[1,1,0] neg_lo:[0,0,1] neg_hi:[0,0,1]
	v_pk_fma_f32 v[32:33], v[32:33], v[40:41], v[50:51] op_sel:[1,0,0] op_sel_hi:[0,1,0]
	s_delay_alu instid0(VALU_DEP_1) | instskip(SKIP_1) | instid1(VALU_DEP_2)
	v_mov_b32_e32 v45, v33
	v_pk_mul_f32 v[32:33], v[34:35], v[30:31] op_sel:[0,1]
	v_pk_add_f32 v[238:239], v[238:239], v[44:45] neg_lo:[0,1] neg_hi:[0,1]
	s_delay_alu instid0(VALU_DEP_2) | instskip(SKIP_1) | instid1(VALU_DEP_1)
	v_pk_fma_f32 v[44:45], v[34:35], v[18:19], v[32:33] op_sel:[0,0,1] op_sel_hi:[1,1,0] neg_lo:[0,0,1] neg_hi:[0,0,1]
	v_pk_fma_f32 v[32:33], v[34:35], v[18:19], v[32:33] op_sel:[0,0,1] op_sel_hi:[1,0,0]
	v_mov_b32_e32 v45, v33
	ds_load_b64 v[32:33], v236 offset:488
	v_pk_add_f32 v[246:247], v[246:247], v[44:45] neg_lo:[0,1] neg_hi:[0,1]
	s_wait_dscnt 0x0
	v_pk_mul_f32 v[30:31], v[32:33], v[30:31] op_sel:[0,1]
	s_delay_alu instid0(VALU_DEP_1) | instskip(SKIP_1) | instid1(VALU_DEP_1)
	v_pk_fma_f32 v[34:35], v[32:33], v[18:19], v[30:31] op_sel:[0,0,1] op_sel_hi:[1,1,0] neg_lo:[0,0,1] neg_hi:[0,0,1]
	v_pk_fma_f32 v[18:19], v[32:33], v[18:19], v[30:31] op_sel:[0,0,1] op_sel_hi:[1,0,0]
	v_mov_b32_e32 v35, v19
	s_delay_alu instid0(VALU_DEP_1)
	v_pk_add_f32 v[248:249], v[248:249], v[34:35] neg_lo:[0,1] neg_hi:[0,1]
.LBB123_100:
	s_or_b32 exec_lo, exec_lo, s1
	s_delay_alu instid0(SALU_CYCLE_1)
	s_mov_b32 s2, exec_lo
	s_wait_dscnt 0x0
	s_barrier_signal -1
	s_barrier_wait -1
	v_cmpx_eq_u32_e32 11, v234
	s_cbranch_execz .LBB123_107
; %bb.101:
	v_dual_mov_b32 v18, v66 :: v_dual_mov_b32 v19, v67
	v_dual_mov_b32 v30, v62 :: v_dual_mov_b32 v31, v63
	ds_store_b64 v235, v[36:37]
	ds_store_2addr_b64 v236, v[18:19], v[30:31] offset0:12 offset1:13
	v_dual_mov_b32 v18, v64 :: v_dual_mov_b32 v19, v65
	v_dual_mov_b32 v30, v60 :: v_dual_mov_b32 v31, v61
	ds_store_2addr_b64 v236, v[18:19], v[30:31] offset0:14 offset1:15
	v_dual_mov_b32 v18, v82 :: v_dual_mov_b32 v19, v83
	v_dual_mov_b32 v30, v78 :: v_dual_mov_b32 v31, v79
	;; [unrolled: 3-line block ×23, first 2 shown]
	ds_store_2addr_b64 v236, v[18:19], v[30:31] offset0:58 offset1:59
	v_dual_mov_b32 v18, v246 :: v_dual_mov_b32 v19, v247
	ds_store_2addr_b64 v236, v[18:19], v[248:249] offset0:60 offset1:61
	ds_load_b64 v[18:19], v235
	s_wait_dscnt 0x0
	v_cmp_neq_f32_e32 vcc_lo, 0, v18
	v_cmp_neq_f32_e64 s1, 0, v19
	s_or_b32 s1, vcc_lo, s1
	s_delay_alu instid0(SALU_CYCLE_1)
	s_and_b32 exec_lo, exec_lo, s1
	s_cbranch_execz .LBB123_107
; %bb.102:
	v_cmp_ngt_f32_e64 s1, |v18|, |v19|
                                        ; implicit-def: $vgpr30_vgpr31
	s_and_saveexec_b32 s4, s1
	s_delay_alu instid0(SALU_CYCLE_1)
	s_xor_b32 s1, exec_lo, s4
	s_cbranch_execz .LBB123_104
; %bb.103:
	v_div_scale_f32 v0, null, v19, v19, v18
	v_div_scale_f32 v31, vcc_lo, v18, v19, v18
	s_delay_alu instid0(VALU_DEP_2) | instskip(SKIP_1) | instid1(TRANS32_DEP_1)
	v_rcp_f32_e32 v1, v0
	v_nop
	v_fma_f32 v30, -v0, v1, 1.0
	s_delay_alu instid0(VALU_DEP_1) | instskip(NEXT) | instid1(VALU_DEP_1)
	v_fmac_f32_e32 v1, v30, v1
	v_mul_f32_e32 v30, v31, v1
	s_delay_alu instid0(VALU_DEP_1) | instskip(NEXT) | instid1(VALU_DEP_1)
	v_fma_f32 v32, -v0, v30, v31
	v_fmac_f32_e32 v30, v32, v1
	s_delay_alu instid0(VALU_DEP_1) | instskip(NEXT) | instid1(VALU_DEP_1)
	v_fma_f32 v0, -v0, v30, v31
	v_div_fmas_f32 v0, v0, v1, v30
	s_delay_alu instid0(VALU_DEP_1) | instskip(NEXT) | instid1(VALU_DEP_1)
	v_div_fixup_f32 v0, v0, v19, v18
	v_fmac_f32_e32 v19, v18, v0
	s_delay_alu instid0(VALU_DEP_1) | instskip(SKIP_1) | instid1(VALU_DEP_2)
	v_div_scale_f32 v1, null, v19, v19, 1.0
	v_div_scale_f32 v31, vcc_lo, 1.0, v19, 1.0
	v_rcp_f32_e32 v18, v1
	v_nop
	s_delay_alu instid0(TRANS32_DEP_1) | instskip(NEXT) | instid1(VALU_DEP_1)
	v_fma_f32 v30, -v1, v18, 1.0
	v_fmac_f32_e32 v18, v30, v18
	s_delay_alu instid0(VALU_DEP_1) | instskip(NEXT) | instid1(VALU_DEP_1)
	v_mul_f32_e32 v30, v31, v18
	v_fma_f32 v32, -v1, v30, v31
	s_delay_alu instid0(VALU_DEP_1) | instskip(NEXT) | instid1(VALU_DEP_1)
	v_fmac_f32_e32 v30, v32, v18
	v_fma_f32 v1, -v1, v30, v31
	s_delay_alu instid0(VALU_DEP_1) | instskip(NEXT) | instid1(VALU_DEP_1)
	v_div_fmas_f32 v1, v1, v18, v30
	v_div_fixup_f32 v1, v1, v19, 1.0
                                        ; implicit-def: $vgpr18_vgpr19
	s_delay_alu instid0(VALU_DEP_1)
	v_mul_f32_e32 v30, v0, v1
	v_xor_b32_e32 v31, 0x80000000, v1
.LBB123_104:
	s_and_not1_saveexec_b32 s1, s1
	s_cbranch_execz .LBB123_106
; %bb.105:
	v_div_scale_f32 v0, null, v18, v18, v19
	v_div_scale_f32 v31, vcc_lo, v19, v18, v19
	s_delay_alu instid0(VALU_DEP_2) | instskip(SKIP_1) | instid1(TRANS32_DEP_1)
	v_rcp_f32_e32 v1, v0
	v_nop
	v_fma_f32 v30, -v0, v1, 1.0
	s_delay_alu instid0(VALU_DEP_1) | instskip(NEXT) | instid1(VALU_DEP_1)
	v_fmac_f32_e32 v1, v30, v1
	v_mul_f32_e32 v30, v31, v1
	s_delay_alu instid0(VALU_DEP_1) | instskip(NEXT) | instid1(VALU_DEP_1)
	v_fma_f32 v32, -v0, v30, v31
	v_fmac_f32_e32 v30, v32, v1
	s_delay_alu instid0(VALU_DEP_1) | instskip(NEXT) | instid1(VALU_DEP_1)
	v_fma_f32 v0, -v0, v30, v31
	v_div_fmas_f32 v0, v0, v1, v30
	s_delay_alu instid0(VALU_DEP_1) | instskip(NEXT) | instid1(VALU_DEP_1)
	v_div_fixup_f32 v0, v0, v18, v19
	v_fmac_f32_e32 v18, v19, v0
	s_delay_alu instid0(VALU_DEP_1) | instskip(NEXT) | instid1(VALU_DEP_1)
	v_div_scale_f32 v1, null, v18, v18, 1.0
	v_rcp_f32_e32 v19, v1
	v_nop
	s_delay_alu instid0(TRANS32_DEP_1) | instskip(NEXT) | instid1(VALU_DEP_1)
	v_fma_f32 v30, -v1, v19, 1.0
	v_fmac_f32_e32 v19, v30, v19
	v_div_scale_f32 v30, vcc_lo, 1.0, v18, 1.0
	s_delay_alu instid0(VALU_DEP_1) | instskip(NEXT) | instid1(VALU_DEP_1)
	v_mul_f32_e32 v31, v30, v19
	v_fma_f32 v32, -v1, v31, v30
	s_delay_alu instid0(VALU_DEP_1) | instskip(NEXT) | instid1(VALU_DEP_1)
	v_fmac_f32_e32 v31, v32, v19
	v_fma_f32 v1, -v1, v31, v30
	s_delay_alu instid0(VALU_DEP_1) | instskip(NEXT) | instid1(VALU_DEP_1)
	v_div_fmas_f32 v1, v1, v19, v31
	v_div_fixup_f32 v30, v1, v18, 1.0
	s_delay_alu instid0(VALU_DEP_1)
	v_mul_f32_e64 v31, v0, -v30
.LBB123_106:
	s_or_b32 exec_lo, exec_lo, s1
	ds_store_b64 v235, v[30:31]
.LBB123_107:
	s_or_b32 exec_lo, exec_lo, s2
	s_wait_dscnt 0x0
	s_barrier_signal -1
	s_barrier_wait -1
	ds_load_b64 v[18:19], v235
	s_mov_b32 s1, exec_lo
	v_cmpx_lt_u32_e32 11, v234
	s_cbranch_execz .LBB123_109
; %bb.108:
	ds_load_2addr_b64 v[50:53], v236 offset0:12 offset1:13
	s_wait_dscnt 0x1
	v_pk_mul_f32 v[32:33], v[18:19], v[36:37] op_sel:[1,1] op_sel_hi:[0,1]
	s_delay_alu instid0(VALU_DEP_1) | instskip(SKIP_1) | instid1(VALU_DEP_1)
	v_pk_fma_f32 v[30:31], v[18:19], v[36:37], v[32:33] op_sel_hi:[1,0,1] neg_lo:[0,0,1] neg_hi:[0,0,1]
	v_pk_fma_f32 v[32:33], v[18:19], v[36:37], v[32:33] op_sel_hi:[1,0,1]
	v_dual_mov_b32 v36, v30 :: v_dual_mov_b32 v37, v33
	s_wait_dscnt 0x0
	s_delay_alu instid0(VALU_DEP_2) | instskip(NEXT) | instid1(VALU_DEP_1)
	v_pk_mul_f32 v[34:35], v[50:51], v[32:33] op_sel:[0,1]
	v_pk_fma_f32 v[44:45], v[50:51], v[30:31], v[34:35] op_sel:[0,0,1] op_sel_hi:[1,1,0] neg_lo:[0,0,1] neg_hi:[0,0,1]
	v_pk_fma_f32 v[34:35], v[50:51], v[30:31], v[34:35] op_sel:[0,0,1] op_sel_hi:[1,0,0]
	s_delay_alu instid0(VALU_DEP_1) | instskip(SKIP_1) | instid1(VALU_DEP_2)
	v_mov_b32_e32 v45, v35
	v_pk_mul_f32 v[34:35], v[52:53], v[32:33] op_sel:[0,1]
	v_pk_add_f32 v[66:67], v[66:67], v[44:45] neg_lo:[0,1] neg_hi:[0,1]
	s_delay_alu instid0(VALU_DEP_2) | instskip(SKIP_3) | instid1(VALU_DEP_1)
	v_pk_fma_f32 v[44:45], v[52:53], v[30:31], v[34:35] op_sel:[0,0,1] op_sel_hi:[1,1,0] neg_lo:[0,0,1] neg_hi:[0,0,1]
	v_pk_fma_f32 v[34:35], v[52:53], v[30:31], v[34:35] op_sel:[0,0,1] op_sel_hi:[1,0,0]
	ds_load_2addr_b64 v[50:53], v236 offset0:14 offset1:15
	v_mov_b32_e32 v45, v35
	v_pk_add_f32 v[62:63], v[62:63], v[44:45] neg_lo:[0,1] neg_hi:[0,1]
	s_wait_dscnt 0x0
	v_pk_mul_f32 v[34:35], v[50:51], v[32:33] op_sel:[0,1]
	s_delay_alu instid0(VALU_DEP_1) | instskip(SKIP_2) | instid1(VALU_DEP_2)
	v_pk_fma_f32 v[44:45], v[50:51], v[30:31], v[34:35] op_sel:[0,0,1] op_sel_hi:[1,1,0] neg_lo:[0,0,1] neg_hi:[0,0,1]
	v_pk_fma_f32 v[34:35], v[50:51], v[30:31], v[34:35] op_sel:[0,0,1] op_sel_hi:[1,0,0]
	v_dual_mov_b32 v34, v53 :: v_dual_mul_f32 v50, v53, v30
	v_dual_mov_b32 v45, v35 :: v_dual_mov_b32 v35, v52
	s_delay_alu instid0(VALU_DEP_1) | instskip(SKIP_1) | instid1(VALU_DEP_3)
	v_pk_add_f32 v[64:65], v[64:65], v[44:45] neg_lo:[0,1] neg_hi:[0,1]
	v_mul_f32_e32 v44, v53, v33
	v_pk_fma_f32 v[34:35], v[34:35], v[36:37], v[50:51] op_sel_hi:[1,1,0]
	s_delay_alu instid0(VALU_DEP_2) | instskip(SKIP_2) | instid1(VALU_DEP_1)
	v_pk_fma_f32 v[44:45], v[52:53], v[36:37], v[44:45] op_sel_hi:[1,1,0] neg_lo:[0,0,1] neg_hi:[0,0,1]
	ds_load_2addr_b64 v[50:53], v236 offset0:16 offset1:17
	v_mov_b32_e32 v45, v35
	v_pk_add_f32 v[60:61], v[60:61], v[44:45] neg_lo:[0,1] neg_hi:[0,1]
	s_wait_dscnt 0x0
	v_pk_mul_f32 v[34:35], v[50:51], v[32:33] op_sel:[0,1]
	s_delay_alu instid0(VALU_DEP_1) | instskip(SKIP_1) | instid1(VALU_DEP_1)
	v_pk_fma_f32 v[44:45], v[50:51], v[30:31], v[34:35] op_sel:[0,0,1] op_sel_hi:[1,1,0] neg_lo:[0,0,1] neg_hi:[0,0,1]
	v_pk_fma_f32 v[34:35], v[50:51], v[30:31], v[34:35] op_sel:[0,0,1] op_sel_hi:[1,0,0]
	v_mov_b32_e32 v45, v35
	v_pk_mul_f32 v[34:35], v[52:53], v[32:33] op_sel:[0,1]
	s_delay_alu instid0(VALU_DEP_2) | instskip(NEXT) | instid1(VALU_DEP_2)
	v_pk_add_f32 v[82:83], v[82:83], v[44:45] neg_lo:[0,1] neg_hi:[0,1]
	v_pk_fma_f32 v[44:45], v[52:53], v[30:31], v[34:35] op_sel:[0,0,1] op_sel_hi:[1,1,0] neg_lo:[0,0,1] neg_hi:[0,0,1]
	v_pk_fma_f32 v[34:35], v[52:53], v[30:31], v[34:35] op_sel:[0,0,1] op_sel_hi:[1,0,0]
	ds_load_2addr_b64 v[50:53], v236 offset0:18 offset1:19
	v_mov_b32_e32 v45, v35
	s_delay_alu instid0(VALU_DEP_1) | instskip(SKIP_2) | instid1(VALU_DEP_1)
	v_pk_add_f32 v[78:79], v[78:79], v[44:45] neg_lo:[0,1] neg_hi:[0,1]
	s_wait_dscnt 0x0
	v_pk_mul_f32 v[34:35], v[50:51], v[32:33] op_sel:[0,1]
	v_pk_fma_f32 v[44:45], v[50:51], v[30:31], v[34:35] op_sel:[0,0,1] op_sel_hi:[1,1,0] neg_lo:[0,0,1] neg_hi:[0,0,1]
	v_pk_fma_f32 v[34:35], v[50:51], v[30:31], v[34:35] op_sel:[0,0,1] op_sel_hi:[1,0,0]
	s_delay_alu instid0(VALU_DEP_1) | instskip(SKIP_1) | instid1(VALU_DEP_2)
	v_mov_b32_e32 v45, v35
	v_pk_mul_f32 v[34:35], v[52:53], v[32:33] op_sel:[0,1]
	v_pk_add_f32 v[80:81], v[80:81], v[44:45] neg_lo:[0,1] neg_hi:[0,1]
	s_delay_alu instid0(VALU_DEP_2) | instskip(SKIP_3) | instid1(VALU_DEP_1)
	v_pk_fma_f32 v[44:45], v[52:53], v[30:31], v[34:35] op_sel:[0,0,1] op_sel_hi:[1,1,0] neg_lo:[0,0,1] neg_hi:[0,0,1]
	v_pk_fma_f32 v[34:35], v[52:53], v[30:31], v[34:35] op_sel:[0,0,1] op_sel_hi:[1,0,0]
	ds_load_2addr_b64 v[50:53], v236 offset0:20 offset1:21
	v_mov_b32_e32 v45, v35
	v_pk_add_f32 v[76:77], v[76:77], v[44:45] neg_lo:[0,1] neg_hi:[0,1]
	s_wait_dscnt 0x0
	v_dual_mul_f32 v34, v51, v33 :: v_dual_mul_f32 v44, v51, v30
	s_delay_alu instid0(VALU_DEP_1) | instskip(NEXT) | instid1(VALU_DEP_2)
	v_pk_fma_f32 v[34:35], v[50:51], v[36:37], v[34:35] op_sel_hi:[1,1,0] neg_lo:[0,0,1] neg_hi:[0,0,1]
	v_pk_fma_f32 v[44:45], v[50:51], v[36:37], v[44:45] op_sel:[1,0,0] op_sel_hi:[0,1,0]
	s_delay_alu instid0(VALU_DEP_1) | instskip(NEXT) | instid1(VALU_DEP_1)
	v_mov_b32_e32 v35, v45
	v_pk_add_f32 v[98:99], v[98:99], v[34:35] neg_lo:[0,1] neg_hi:[0,1]
	v_pk_mul_f32 v[34:35], v[52:53], v[32:33] op_sel:[0,1]
	s_delay_alu instid0(VALU_DEP_1) | instskip(SKIP_3) | instid1(VALU_DEP_1)
	v_pk_fma_f32 v[44:45], v[52:53], v[30:31], v[34:35] op_sel:[0,0,1] op_sel_hi:[1,1,0] neg_lo:[0,0,1] neg_hi:[0,0,1]
	v_pk_fma_f32 v[34:35], v[52:53], v[30:31], v[34:35] op_sel:[0,0,1] op_sel_hi:[1,0,0]
	ds_load_2addr_b64 v[50:53], v236 offset0:22 offset1:23
	v_mov_b32_e32 v45, v35
	v_pk_add_f32 v[94:95], v[94:95], v[44:45] neg_lo:[0,1] neg_hi:[0,1]
	s_wait_dscnt 0x0
	v_pk_mul_f32 v[34:35], v[50:51], v[32:33] op_sel:[0,1]
	s_delay_alu instid0(VALU_DEP_1) | instskip(SKIP_1) | instid1(VALU_DEP_1)
	v_pk_fma_f32 v[44:45], v[50:51], v[30:31], v[34:35] op_sel:[0,0,1] op_sel_hi:[1,1,0] neg_lo:[0,0,1] neg_hi:[0,0,1]
	v_pk_fma_f32 v[34:35], v[50:51], v[30:31], v[34:35] op_sel:[0,0,1] op_sel_hi:[1,0,0]
	v_mov_b32_e32 v45, v35
	v_pk_mul_f32 v[34:35], v[52:53], v[32:33] op_sel:[0,1]
	s_delay_alu instid0(VALU_DEP_2) | instskip(NEXT) | instid1(VALU_DEP_2)
	v_pk_add_f32 v[96:97], v[96:97], v[44:45] neg_lo:[0,1] neg_hi:[0,1]
	v_pk_fma_f32 v[44:45], v[52:53], v[30:31], v[34:35] op_sel:[0,0,1] op_sel_hi:[1,1,0] neg_lo:[0,0,1] neg_hi:[0,0,1]
	v_pk_fma_f32 v[34:35], v[52:53], v[30:31], v[34:35] op_sel:[0,0,1] op_sel_hi:[1,0,0]
	ds_load_2addr_b64 v[50:53], v236 offset0:24 offset1:25
	v_mov_b32_e32 v45, v35
	s_delay_alu instid0(VALU_DEP_1) | instskip(SKIP_2) | instid1(VALU_DEP_1)
	v_pk_add_f32 v[92:93], v[92:93], v[44:45] neg_lo:[0,1] neg_hi:[0,1]
	s_wait_dscnt 0x0
	v_pk_mul_f32 v[34:35], v[50:51], v[32:33] op_sel:[0,1]
	v_pk_fma_f32 v[44:45], v[50:51], v[30:31], v[34:35] op_sel:[0,0,1] op_sel_hi:[1,1,0] neg_lo:[0,0,1] neg_hi:[0,0,1]
	v_pk_fma_f32 v[34:35], v[50:51], v[30:31], v[34:35] op_sel:[0,0,1] op_sel_hi:[1,0,0]
	v_dual_mov_b32 v34, v53 :: v_dual_mul_f32 v50, v53, v30
	s_delay_alu instid0(VALU_DEP_2) | instskip(NEXT) | instid1(VALU_DEP_1)
	v_dual_mov_b32 v45, v35 :: v_dual_mov_b32 v35, v52
	v_pk_add_f32 v[114:115], v[114:115], v[44:45] neg_lo:[0,1] neg_hi:[0,1]
	v_mul_f32_e32 v44, v53, v33
	s_delay_alu instid0(VALU_DEP_3) | instskip(NEXT) | instid1(VALU_DEP_2)
	v_pk_fma_f32 v[34:35], v[34:35], v[36:37], v[50:51] op_sel_hi:[1,1,0]
	v_pk_fma_f32 v[44:45], v[52:53], v[36:37], v[44:45] op_sel_hi:[1,1,0] neg_lo:[0,0,1] neg_hi:[0,0,1]
	ds_load_2addr_b64 v[50:53], v236 offset0:26 offset1:27
	v_mov_b32_e32 v45, v35
	s_delay_alu instid0(VALU_DEP_1) | instskip(SKIP_2) | instid1(VALU_DEP_1)
	v_pk_add_f32 v[110:111], v[110:111], v[44:45] neg_lo:[0,1] neg_hi:[0,1]
	s_wait_dscnt 0x0
	v_pk_mul_f32 v[34:35], v[50:51], v[32:33] op_sel:[0,1]
	v_pk_fma_f32 v[44:45], v[50:51], v[30:31], v[34:35] op_sel:[0,0,1] op_sel_hi:[1,1,0] neg_lo:[0,0,1] neg_hi:[0,0,1]
	v_pk_fma_f32 v[34:35], v[50:51], v[30:31], v[34:35] op_sel:[0,0,1] op_sel_hi:[1,0,0]
	s_delay_alu instid0(VALU_DEP_1) | instskip(SKIP_1) | instid1(VALU_DEP_2)
	v_mov_b32_e32 v45, v35
	v_pk_mul_f32 v[34:35], v[52:53], v[32:33] op_sel:[0,1]
	v_pk_add_f32 v[112:113], v[112:113], v[44:45] neg_lo:[0,1] neg_hi:[0,1]
	s_delay_alu instid0(VALU_DEP_2) | instskip(SKIP_3) | instid1(VALU_DEP_1)
	v_pk_fma_f32 v[44:45], v[52:53], v[30:31], v[34:35] op_sel:[0,0,1] op_sel_hi:[1,1,0] neg_lo:[0,0,1] neg_hi:[0,0,1]
	v_pk_fma_f32 v[34:35], v[52:53], v[30:31], v[34:35] op_sel:[0,0,1] op_sel_hi:[1,0,0]
	ds_load_2addr_b64 v[50:53], v236 offset0:28 offset1:29
	v_mov_b32_e32 v45, v35
	v_pk_add_f32 v[108:109], v[108:109], v[44:45] neg_lo:[0,1] neg_hi:[0,1]
	s_wait_dscnt 0x0
	v_pk_mul_f32 v[34:35], v[50:51], v[32:33] op_sel:[0,1]
	s_delay_alu instid0(VALU_DEP_1) | instskip(SKIP_1) | instid1(VALU_DEP_1)
	v_pk_fma_f32 v[44:45], v[50:51], v[30:31], v[34:35] op_sel:[0,0,1] op_sel_hi:[1,1,0] neg_lo:[0,0,1] neg_hi:[0,0,1]
	v_pk_fma_f32 v[34:35], v[50:51], v[30:31], v[34:35] op_sel:[0,0,1] op_sel_hi:[1,0,0]
	v_mov_b32_e32 v45, v35
	v_pk_mul_f32 v[34:35], v[52:53], v[32:33] op_sel:[0,1]
	s_delay_alu instid0(VALU_DEP_2) | instskip(NEXT) | instid1(VALU_DEP_2)
	v_pk_add_f32 v[130:131], v[130:131], v[44:45] neg_lo:[0,1] neg_hi:[0,1]
	v_pk_fma_f32 v[44:45], v[52:53], v[30:31], v[34:35] op_sel:[0,0,1] op_sel_hi:[1,1,0] neg_lo:[0,0,1] neg_hi:[0,0,1]
	v_pk_fma_f32 v[34:35], v[52:53], v[30:31], v[34:35] op_sel:[0,0,1] op_sel_hi:[1,0,0]
	ds_load_2addr_b64 v[50:53], v236 offset0:30 offset1:31
	v_mov_b32_e32 v45, v35
	s_delay_alu instid0(VALU_DEP_1) | instskip(SKIP_2) | instid1(VALU_DEP_1)
	v_pk_add_f32 v[126:127], v[126:127], v[44:45] neg_lo:[0,1] neg_hi:[0,1]
	s_wait_dscnt 0x0
	v_dual_mul_f32 v44, v51, v30 :: v_dual_mul_f32 v34, v51, v33
	v_pk_fma_f32 v[44:45], v[50:51], v[36:37], v[44:45] op_sel:[1,0,0] op_sel_hi:[0,1,0]
	s_delay_alu instid0(VALU_DEP_2) | instskip(NEXT) | instid1(VALU_DEP_2)
	v_pk_fma_f32 v[34:35], v[50:51], v[36:37], v[34:35] op_sel_hi:[1,1,0] neg_lo:[0,0,1] neg_hi:[0,0,1]
	v_mov_b32_e32 v35, v45
	s_delay_alu instid0(VALU_DEP_1) | instskip(SKIP_1) | instid1(VALU_DEP_1)
	v_pk_add_f32 v[128:129], v[128:129], v[34:35] neg_lo:[0,1] neg_hi:[0,1]
	v_pk_mul_f32 v[34:35], v[52:53], v[32:33] op_sel:[0,1]
	v_pk_fma_f32 v[44:45], v[52:53], v[30:31], v[34:35] op_sel:[0,0,1] op_sel_hi:[1,1,0] neg_lo:[0,0,1] neg_hi:[0,0,1]
	v_pk_fma_f32 v[34:35], v[52:53], v[30:31], v[34:35] op_sel:[0,0,1] op_sel_hi:[1,0,0]
	ds_load_2addr_b64 v[50:53], v236 offset0:32 offset1:33
	v_mov_b32_e32 v45, v35
	s_delay_alu instid0(VALU_DEP_1) | instskip(SKIP_2) | instid1(VALU_DEP_1)
	v_pk_add_f32 v[124:125], v[124:125], v[44:45] neg_lo:[0,1] neg_hi:[0,1]
	s_wait_dscnt 0x0
	v_pk_mul_f32 v[34:35], v[50:51], v[32:33] op_sel:[0,1]
	v_pk_fma_f32 v[44:45], v[50:51], v[30:31], v[34:35] op_sel:[0,0,1] op_sel_hi:[1,1,0] neg_lo:[0,0,1] neg_hi:[0,0,1]
	v_pk_fma_f32 v[34:35], v[50:51], v[30:31], v[34:35] op_sel:[0,0,1] op_sel_hi:[1,0,0]
	s_delay_alu instid0(VALU_DEP_1) | instskip(SKIP_1) | instid1(VALU_DEP_2)
	v_mov_b32_e32 v45, v35
	v_pk_mul_f32 v[34:35], v[52:53], v[32:33] op_sel:[0,1]
	v_pk_add_f32 v[146:147], v[146:147], v[44:45] neg_lo:[0,1] neg_hi:[0,1]
	s_delay_alu instid0(VALU_DEP_2) | instskip(SKIP_3) | instid1(VALU_DEP_1)
	v_pk_fma_f32 v[44:45], v[52:53], v[30:31], v[34:35] op_sel:[0,0,1] op_sel_hi:[1,1,0] neg_lo:[0,0,1] neg_hi:[0,0,1]
	v_pk_fma_f32 v[34:35], v[52:53], v[30:31], v[34:35] op_sel:[0,0,1] op_sel_hi:[1,0,0]
	ds_load_2addr_b64 v[50:53], v236 offset0:34 offset1:35
	v_mov_b32_e32 v45, v35
	v_pk_add_f32 v[142:143], v[142:143], v[44:45] neg_lo:[0,1] neg_hi:[0,1]
	s_wait_dscnt 0x0
	v_pk_mul_f32 v[34:35], v[50:51], v[32:33] op_sel:[0,1]
	s_delay_alu instid0(VALU_DEP_1) | instskip(SKIP_2) | instid1(VALU_DEP_2)
	v_pk_fma_f32 v[44:45], v[50:51], v[30:31], v[34:35] op_sel:[0,0,1] op_sel_hi:[1,1,0] neg_lo:[0,0,1] neg_hi:[0,0,1]
	v_pk_fma_f32 v[34:35], v[50:51], v[30:31], v[34:35] op_sel:[0,0,1] op_sel_hi:[1,0,0]
	v_dual_mov_b32 v34, v53 :: v_dual_mul_f32 v50, v53, v30
	v_dual_mov_b32 v45, v35 :: v_dual_mov_b32 v35, v52
	s_delay_alu instid0(VALU_DEP_1) | instskip(SKIP_1) | instid1(VALU_DEP_3)
	v_pk_add_f32 v[144:145], v[144:145], v[44:45] neg_lo:[0,1] neg_hi:[0,1]
	v_mul_f32_e32 v44, v53, v33
	v_pk_fma_f32 v[34:35], v[34:35], v[36:37], v[50:51] op_sel_hi:[1,1,0]
	s_delay_alu instid0(VALU_DEP_2) | instskip(SKIP_2) | instid1(VALU_DEP_1)
	v_pk_fma_f32 v[44:45], v[52:53], v[36:37], v[44:45] op_sel_hi:[1,1,0] neg_lo:[0,0,1] neg_hi:[0,0,1]
	ds_load_2addr_b64 v[50:53], v236 offset0:36 offset1:37
	v_mov_b32_e32 v45, v35
	v_pk_add_f32 v[140:141], v[140:141], v[44:45] neg_lo:[0,1] neg_hi:[0,1]
	s_wait_dscnt 0x0
	v_pk_mul_f32 v[34:35], v[50:51], v[32:33] op_sel:[0,1]
	s_delay_alu instid0(VALU_DEP_1) | instskip(SKIP_1) | instid1(VALU_DEP_1)
	v_pk_fma_f32 v[44:45], v[50:51], v[30:31], v[34:35] op_sel:[0,0,1] op_sel_hi:[1,1,0] neg_lo:[0,0,1] neg_hi:[0,0,1]
	v_pk_fma_f32 v[34:35], v[50:51], v[30:31], v[34:35] op_sel:[0,0,1] op_sel_hi:[1,0,0]
	v_mov_b32_e32 v45, v35
	v_pk_mul_f32 v[34:35], v[52:53], v[32:33] op_sel:[0,1]
	s_delay_alu instid0(VALU_DEP_2) | instskip(NEXT) | instid1(VALU_DEP_2)
	v_pk_add_f32 v[162:163], v[162:163], v[44:45] neg_lo:[0,1] neg_hi:[0,1]
	v_pk_fma_f32 v[44:45], v[52:53], v[30:31], v[34:35] op_sel:[0,0,1] op_sel_hi:[1,1,0] neg_lo:[0,0,1] neg_hi:[0,0,1]
	v_pk_fma_f32 v[34:35], v[52:53], v[30:31], v[34:35] op_sel:[0,0,1] op_sel_hi:[1,0,0]
	ds_load_2addr_b64 v[50:53], v236 offset0:38 offset1:39
	v_mov_b32_e32 v45, v35
	s_delay_alu instid0(VALU_DEP_1) | instskip(SKIP_2) | instid1(VALU_DEP_1)
	v_pk_add_f32 v[158:159], v[158:159], v[44:45] neg_lo:[0,1] neg_hi:[0,1]
	s_wait_dscnt 0x0
	v_pk_mul_f32 v[34:35], v[50:51], v[32:33] op_sel:[0,1]
	v_pk_fma_f32 v[44:45], v[50:51], v[30:31], v[34:35] op_sel:[0,0,1] op_sel_hi:[1,1,0] neg_lo:[0,0,1] neg_hi:[0,0,1]
	v_pk_fma_f32 v[34:35], v[50:51], v[30:31], v[34:35] op_sel:[0,0,1] op_sel_hi:[1,0,0]
	s_delay_alu instid0(VALU_DEP_1) | instskip(SKIP_1) | instid1(VALU_DEP_2)
	v_mov_b32_e32 v45, v35
	v_pk_mul_f32 v[34:35], v[52:53], v[32:33] op_sel:[0,1]
	v_pk_add_f32 v[160:161], v[160:161], v[44:45] neg_lo:[0,1] neg_hi:[0,1]
	s_delay_alu instid0(VALU_DEP_2) | instskip(SKIP_3) | instid1(VALU_DEP_1)
	v_pk_fma_f32 v[44:45], v[52:53], v[30:31], v[34:35] op_sel:[0,0,1] op_sel_hi:[1,1,0] neg_lo:[0,0,1] neg_hi:[0,0,1]
	v_pk_fma_f32 v[34:35], v[52:53], v[30:31], v[34:35] op_sel:[0,0,1] op_sel_hi:[1,0,0]
	ds_load_2addr_b64 v[50:53], v236 offset0:40 offset1:41
	v_mov_b32_e32 v45, v35
	v_pk_add_f32 v[156:157], v[156:157], v[44:45] neg_lo:[0,1] neg_hi:[0,1]
	s_wait_dscnt 0x0
	v_dual_mul_f32 v34, v51, v33 :: v_dual_mul_f32 v44, v51, v30
	s_delay_alu instid0(VALU_DEP_1) | instskip(NEXT) | instid1(VALU_DEP_2)
	v_pk_fma_f32 v[34:35], v[50:51], v[36:37], v[34:35] op_sel_hi:[1,1,0] neg_lo:[0,0,1] neg_hi:[0,0,1]
	v_pk_fma_f32 v[44:45], v[50:51], v[36:37], v[44:45] op_sel:[1,0,0] op_sel_hi:[0,1,0]
	s_delay_alu instid0(VALU_DEP_1) | instskip(NEXT) | instid1(VALU_DEP_1)
	v_mov_b32_e32 v35, v45
	v_pk_add_f32 v[178:179], v[178:179], v[34:35] neg_lo:[0,1] neg_hi:[0,1]
	v_pk_mul_f32 v[34:35], v[52:53], v[32:33] op_sel:[0,1]
	s_delay_alu instid0(VALU_DEP_1) | instskip(SKIP_3) | instid1(VALU_DEP_1)
	v_pk_fma_f32 v[44:45], v[52:53], v[30:31], v[34:35] op_sel:[0,0,1] op_sel_hi:[1,1,0] neg_lo:[0,0,1] neg_hi:[0,0,1]
	v_pk_fma_f32 v[34:35], v[52:53], v[30:31], v[34:35] op_sel:[0,0,1] op_sel_hi:[1,0,0]
	ds_load_2addr_b64 v[50:53], v236 offset0:42 offset1:43
	v_mov_b32_e32 v45, v35
	v_pk_add_f32 v[174:175], v[174:175], v[44:45] neg_lo:[0,1] neg_hi:[0,1]
	s_wait_dscnt 0x0
	v_pk_mul_f32 v[34:35], v[50:51], v[32:33] op_sel:[0,1]
	s_delay_alu instid0(VALU_DEP_1) | instskip(SKIP_1) | instid1(VALU_DEP_1)
	v_pk_fma_f32 v[44:45], v[50:51], v[30:31], v[34:35] op_sel:[0,0,1] op_sel_hi:[1,1,0] neg_lo:[0,0,1] neg_hi:[0,0,1]
	v_pk_fma_f32 v[34:35], v[50:51], v[30:31], v[34:35] op_sel:[0,0,1] op_sel_hi:[1,0,0]
	v_mov_b32_e32 v45, v35
	v_pk_mul_f32 v[34:35], v[52:53], v[32:33] op_sel:[0,1]
	s_delay_alu instid0(VALU_DEP_2) | instskip(NEXT) | instid1(VALU_DEP_2)
	v_pk_add_f32 v[176:177], v[176:177], v[44:45] neg_lo:[0,1] neg_hi:[0,1]
	v_pk_fma_f32 v[44:45], v[52:53], v[30:31], v[34:35] op_sel:[0,0,1] op_sel_hi:[1,1,0] neg_lo:[0,0,1] neg_hi:[0,0,1]
	v_pk_fma_f32 v[34:35], v[52:53], v[30:31], v[34:35] op_sel:[0,0,1] op_sel_hi:[1,0,0]
	ds_load_2addr_b64 v[50:53], v236 offset0:44 offset1:45
	v_mov_b32_e32 v45, v35
	s_delay_alu instid0(VALU_DEP_1) | instskip(SKIP_2) | instid1(VALU_DEP_1)
	v_pk_add_f32 v[172:173], v[172:173], v[44:45] neg_lo:[0,1] neg_hi:[0,1]
	s_wait_dscnt 0x0
	v_pk_mul_f32 v[34:35], v[50:51], v[32:33] op_sel:[0,1]
	v_pk_fma_f32 v[44:45], v[50:51], v[30:31], v[34:35] op_sel:[0,0,1] op_sel_hi:[1,1,0] neg_lo:[0,0,1] neg_hi:[0,0,1]
	v_pk_fma_f32 v[34:35], v[50:51], v[30:31], v[34:35] op_sel:[0,0,1] op_sel_hi:[1,0,0]
	v_dual_mov_b32 v34, v53 :: v_dual_mul_f32 v50, v53, v30
	s_delay_alu instid0(VALU_DEP_2) | instskip(NEXT) | instid1(VALU_DEP_1)
	v_dual_mov_b32 v45, v35 :: v_dual_mov_b32 v35, v52
	v_pk_add_f32 v[194:195], v[194:195], v[44:45] neg_lo:[0,1] neg_hi:[0,1]
	v_mul_f32_e32 v44, v53, v33
	s_delay_alu instid0(VALU_DEP_3) | instskip(NEXT) | instid1(VALU_DEP_2)
	v_pk_fma_f32 v[34:35], v[34:35], v[36:37], v[50:51] op_sel_hi:[1,1,0]
	v_pk_fma_f32 v[44:45], v[52:53], v[36:37], v[44:45] op_sel_hi:[1,1,0] neg_lo:[0,0,1] neg_hi:[0,0,1]
	ds_load_2addr_b64 v[50:53], v236 offset0:46 offset1:47
	v_mov_b32_e32 v45, v35
	s_delay_alu instid0(VALU_DEP_1) | instskip(SKIP_2) | instid1(VALU_DEP_1)
	v_pk_add_f32 v[190:191], v[190:191], v[44:45] neg_lo:[0,1] neg_hi:[0,1]
	s_wait_dscnt 0x0
	v_pk_mul_f32 v[34:35], v[50:51], v[32:33] op_sel:[0,1]
	v_pk_fma_f32 v[44:45], v[50:51], v[30:31], v[34:35] op_sel:[0,0,1] op_sel_hi:[1,1,0] neg_lo:[0,0,1] neg_hi:[0,0,1]
	v_pk_fma_f32 v[34:35], v[50:51], v[30:31], v[34:35] op_sel:[0,0,1] op_sel_hi:[1,0,0]
	s_delay_alu instid0(VALU_DEP_1) | instskip(SKIP_1) | instid1(VALU_DEP_2)
	v_mov_b32_e32 v45, v35
	v_pk_mul_f32 v[34:35], v[52:53], v[32:33] op_sel:[0,1]
	v_pk_add_f32 v[192:193], v[192:193], v[44:45] neg_lo:[0,1] neg_hi:[0,1]
	s_delay_alu instid0(VALU_DEP_2) | instskip(SKIP_3) | instid1(VALU_DEP_1)
	v_pk_fma_f32 v[44:45], v[52:53], v[30:31], v[34:35] op_sel:[0,0,1] op_sel_hi:[1,1,0] neg_lo:[0,0,1] neg_hi:[0,0,1]
	v_pk_fma_f32 v[34:35], v[52:53], v[30:31], v[34:35] op_sel:[0,0,1] op_sel_hi:[1,0,0]
	ds_load_2addr_b64 v[50:53], v236 offset0:48 offset1:49
	v_mov_b32_e32 v45, v35
	v_pk_add_f32 v[188:189], v[188:189], v[44:45] neg_lo:[0,1] neg_hi:[0,1]
	s_wait_dscnt 0x0
	v_pk_mul_f32 v[34:35], v[50:51], v[32:33] op_sel:[0,1]
	s_delay_alu instid0(VALU_DEP_1) | instskip(SKIP_1) | instid1(VALU_DEP_1)
	v_pk_fma_f32 v[44:45], v[50:51], v[30:31], v[34:35] op_sel:[0,0,1] op_sel_hi:[1,1,0] neg_lo:[0,0,1] neg_hi:[0,0,1]
	v_pk_fma_f32 v[34:35], v[50:51], v[30:31], v[34:35] op_sel:[0,0,1] op_sel_hi:[1,0,0]
	v_mov_b32_e32 v45, v35
	v_pk_mul_f32 v[34:35], v[52:53], v[32:33] op_sel:[0,1]
	s_delay_alu instid0(VALU_DEP_2) | instskip(NEXT) | instid1(VALU_DEP_2)
	v_pk_add_f32 v[210:211], v[210:211], v[44:45] neg_lo:[0,1] neg_hi:[0,1]
	v_pk_fma_f32 v[44:45], v[52:53], v[30:31], v[34:35] op_sel:[0,0,1] op_sel_hi:[1,1,0] neg_lo:[0,0,1] neg_hi:[0,0,1]
	v_pk_fma_f32 v[34:35], v[52:53], v[30:31], v[34:35] op_sel:[0,0,1] op_sel_hi:[1,0,0]
	ds_load_2addr_b64 v[50:53], v236 offset0:50 offset1:51
	v_mov_b32_e32 v45, v35
	s_delay_alu instid0(VALU_DEP_1) | instskip(SKIP_2) | instid1(VALU_DEP_1)
	v_pk_add_f32 v[206:207], v[206:207], v[44:45] neg_lo:[0,1] neg_hi:[0,1]
	s_wait_dscnt 0x0
	v_dual_mul_f32 v44, v51, v30 :: v_dual_mul_f32 v34, v51, v33
	v_pk_fma_f32 v[44:45], v[50:51], v[36:37], v[44:45] op_sel:[1,0,0] op_sel_hi:[0,1,0]
	s_delay_alu instid0(VALU_DEP_2) | instskip(NEXT) | instid1(VALU_DEP_2)
	v_pk_fma_f32 v[34:35], v[50:51], v[36:37], v[34:35] op_sel_hi:[1,1,0] neg_lo:[0,0,1] neg_hi:[0,0,1]
	v_mov_b32_e32 v35, v45
	s_delay_alu instid0(VALU_DEP_1) | instskip(SKIP_1) | instid1(VALU_DEP_1)
	v_pk_add_f32 v[208:209], v[208:209], v[34:35] neg_lo:[0,1] neg_hi:[0,1]
	v_pk_mul_f32 v[34:35], v[52:53], v[32:33] op_sel:[0,1]
	v_pk_fma_f32 v[44:45], v[52:53], v[30:31], v[34:35] op_sel:[0,0,1] op_sel_hi:[1,1,0] neg_lo:[0,0,1] neg_hi:[0,0,1]
	v_pk_fma_f32 v[34:35], v[52:53], v[30:31], v[34:35] op_sel:[0,0,1] op_sel_hi:[1,0,0]
	ds_load_2addr_b64 v[50:53], v236 offset0:52 offset1:53
	v_mov_b32_e32 v45, v35
	s_delay_alu instid0(VALU_DEP_1) | instskip(SKIP_2) | instid1(VALU_DEP_1)
	v_pk_add_f32 v[204:205], v[204:205], v[44:45] neg_lo:[0,1] neg_hi:[0,1]
	s_wait_dscnt 0x0
	v_pk_mul_f32 v[34:35], v[50:51], v[32:33] op_sel:[0,1]
	v_pk_fma_f32 v[44:45], v[50:51], v[30:31], v[34:35] op_sel:[0,0,1] op_sel_hi:[1,1,0] neg_lo:[0,0,1] neg_hi:[0,0,1]
	v_pk_fma_f32 v[34:35], v[50:51], v[30:31], v[34:35] op_sel:[0,0,1] op_sel_hi:[1,0,0]
	s_delay_alu instid0(VALU_DEP_1) | instskip(SKIP_1) | instid1(VALU_DEP_2)
	v_mov_b32_e32 v45, v35
	v_pk_mul_f32 v[34:35], v[52:53], v[32:33] op_sel:[0,1]
	v_pk_add_f32 v[228:229], v[228:229], v[44:45] neg_lo:[0,1] neg_hi:[0,1]
	s_delay_alu instid0(VALU_DEP_2) | instskip(SKIP_3) | instid1(VALU_DEP_1)
	v_pk_fma_f32 v[44:45], v[52:53], v[30:31], v[34:35] op_sel:[0,0,1] op_sel_hi:[1,1,0] neg_lo:[0,0,1] neg_hi:[0,0,1]
	v_pk_fma_f32 v[34:35], v[52:53], v[30:31], v[34:35] op_sel:[0,0,1] op_sel_hi:[1,0,0]
	ds_load_2addr_b64 v[50:53], v236 offset0:54 offset1:55
	v_mov_b32_e32 v45, v35
	v_pk_add_f32 v[224:225], v[224:225], v[44:45] neg_lo:[0,1] neg_hi:[0,1]
	s_wait_dscnt 0x0
	v_pk_mul_f32 v[34:35], v[50:51], v[32:33] op_sel:[0,1]
	s_delay_alu instid0(VALU_DEP_1) | instskip(SKIP_2) | instid1(VALU_DEP_2)
	v_pk_fma_f32 v[44:45], v[50:51], v[30:31], v[34:35] op_sel:[0,0,1] op_sel_hi:[1,1,0] neg_lo:[0,0,1] neg_hi:[0,0,1]
	v_pk_fma_f32 v[34:35], v[50:51], v[30:31], v[34:35] op_sel:[0,0,1] op_sel_hi:[1,0,0]
	v_dual_mov_b32 v34, v53 :: v_dual_mul_f32 v50, v53, v30
	v_dual_mov_b32 v45, v35 :: v_dual_mov_b32 v35, v52
	s_delay_alu instid0(VALU_DEP_1) | instskip(SKIP_1) | instid1(VALU_DEP_3)
	v_pk_add_f32 v[226:227], v[226:227], v[44:45] neg_lo:[0,1] neg_hi:[0,1]
	v_mul_f32_e32 v44, v53, v33
	v_pk_fma_f32 v[34:35], v[34:35], v[36:37], v[50:51] op_sel_hi:[1,1,0]
	s_delay_alu instid0(VALU_DEP_2) | instskip(SKIP_2) | instid1(VALU_DEP_1)
	v_pk_fma_f32 v[44:45], v[52:53], v[36:37], v[44:45] op_sel_hi:[1,1,0] neg_lo:[0,0,1] neg_hi:[0,0,1]
	ds_load_2addr_b64 v[50:53], v236 offset0:56 offset1:57
	v_mov_b32_e32 v45, v35
	v_pk_add_f32 v[222:223], v[222:223], v[44:45] neg_lo:[0,1] neg_hi:[0,1]
	s_wait_dscnt 0x0
	v_pk_mul_f32 v[34:35], v[50:51], v[32:33] op_sel:[0,1]
	s_delay_alu instid0(VALU_DEP_1) | instskip(SKIP_1) | instid1(VALU_DEP_1)
	v_pk_fma_f32 v[44:45], v[50:51], v[30:31], v[34:35] op_sel:[0,0,1] op_sel_hi:[1,1,0] neg_lo:[0,0,1] neg_hi:[0,0,1]
	v_pk_fma_f32 v[34:35], v[50:51], v[30:31], v[34:35] op_sel:[0,0,1] op_sel_hi:[1,0,0]
	v_mov_b32_e32 v45, v35
	v_pk_mul_f32 v[34:35], v[52:53], v[32:33] op_sel:[0,1]
	s_delay_alu instid0(VALU_DEP_2) | instskip(NEXT) | instid1(VALU_DEP_2)
	v_pk_add_f32 v[244:245], v[244:245], v[44:45] neg_lo:[0,1] neg_hi:[0,1]
	v_pk_fma_f32 v[44:45], v[52:53], v[30:31], v[34:35] op_sel:[0,0,1] op_sel_hi:[1,1,0] neg_lo:[0,0,1] neg_hi:[0,0,1]
	v_pk_fma_f32 v[34:35], v[52:53], v[30:31], v[34:35] op_sel:[0,0,1] op_sel_hi:[1,0,0]
	ds_load_2addr_b64 v[50:53], v236 offset0:58 offset1:59
	v_mov_b32_e32 v45, v35
	s_delay_alu instid0(VALU_DEP_1) | instskip(SKIP_2) | instid1(VALU_DEP_1)
	v_pk_add_f32 v[240:241], v[240:241], v[44:45] neg_lo:[0,1] neg_hi:[0,1]
	s_wait_dscnt 0x0
	v_pk_mul_f32 v[34:35], v[50:51], v[32:33] op_sel:[0,1]
	v_pk_fma_f32 v[44:45], v[50:51], v[30:31], v[34:35] op_sel:[0,0,1] op_sel_hi:[1,1,0] neg_lo:[0,0,1] neg_hi:[0,0,1]
	v_pk_fma_f32 v[34:35], v[50:51], v[30:31], v[34:35] op_sel:[0,0,1] op_sel_hi:[1,0,0]
	s_delay_alu instid0(VALU_DEP_1) | instskip(SKIP_1) | instid1(VALU_DEP_2)
	v_mov_b32_e32 v45, v35
	v_pk_mul_f32 v[34:35], v[52:53], v[32:33] op_sel:[0,1]
	v_pk_add_f32 v[242:243], v[242:243], v[44:45] neg_lo:[0,1] neg_hi:[0,1]
	s_delay_alu instid0(VALU_DEP_2) | instskip(SKIP_3) | instid1(VALU_DEP_1)
	v_pk_fma_f32 v[44:45], v[52:53], v[30:31], v[34:35] op_sel:[0,0,1] op_sel_hi:[1,1,0] neg_lo:[0,0,1] neg_hi:[0,0,1]
	v_pk_fma_f32 v[34:35], v[52:53], v[30:31], v[34:35] op_sel:[0,0,1] op_sel_hi:[1,0,0]
	ds_load_2addr_b64 v[50:53], v236 offset0:60 offset1:61
	v_mov_b32_e32 v45, v35
	v_pk_add_f32 v[238:239], v[238:239], v[44:45] neg_lo:[0,1] neg_hi:[0,1]
	s_wait_dscnt 0x0
	v_dual_mul_f32 v34, v51, v33 :: v_dual_mul_f32 v44, v51, v30
	v_pk_mul_f32 v[32:33], v[52:53], v[32:33] op_sel:[0,1]
	s_delay_alu instid0(VALU_DEP_2) | instskip(NEXT) | instid1(VALU_DEP_3)
	v_pk_fma_f32 v[34:35], v[50:51], v[36:37], v[34:35] op_sel_hi:[1,1,0] neg_lo:[0,0,1] neg_hi:[0,0,1]
	v_pk_fma_f32 v[44:45], v[50:51], v[36:37], v[44:45] op_sel:[1,0,0] op_sel_hi:[0,1,0]
	s_delay_alu instid0(VALU_DEP_1) | instskip(NEXT) | instid1(VALU_DEP_1)
	v_mov_b32_e32 v35, v45
	v_pk_add_f32 v[246:247], v[246:247], v[34:35] neg_lo:[0,1] neg_hi:[0,1]
	v_pk_fma_f32 v[34:35], v[52:53], v[30:31], v[32:33] op_sel:[0,0,1] op_sel_hi:[1,1,0] neg_lo:[0,0,1] neg_hi:[0,0,1]
	v_pk_fma_f32 v[30:31], v[52:53], v[30:31], v[32:33] op_sel:[0,0,1] op_sel_hi:[1,0,0]
	s_delay_alu instid0(VALU_DEP_1) | instskip(NEXT) | instid1(VALU_DEP_1)
	v_mov_b32_e32 v35, v31
	v_pk_add_f32 v[248:249], v[248:249], v[34:35] neg_lo:[0,1] neg_hi:[0,1]
.LBB123_109:
	s_or_b32 exec_lo, exec_lo, s1
	s_delay_alu instid0(SALU_CYCLE_1)
	s_mov_b32 s2, exec_lo
	s_wait_dscnt 0x0
	s_barrier_signal -1
	s_barrier_wait -1
	v_cmpx_eq_u32_e32 12, v234
	s_cbranch_execz .LBB123_116
; %bb.110:
	ds_store_b64 v235, v[66:67]
	ds_store_2addr_b64 v236, v[62:63], v[64:65] offset0:13 offset1:14
	ds_store_2addr_b64 v236, v[60:61], v[82:83] offset0:15 offset1:16
	;; [unrolled: 1-line block ×24, first 2 shown]
	ds_store_b64 v236, v[248:249] offset:488
	ds_load_b64 v[30:31], v235
	s_wait_dscnt 0x0
	v_cmp_neq_f32_e32 vcc_lo, 0, v30
	v_cmp_neq_f32_e64 s1, 0, v31
	s_or_b32 s1, vcc_lo, s1
	s_delay_alu instid0(SALU_CYCLE_1)
	s_and_b32 exec_lo, exec_lo, s1
	s_cbranch_execz .LBB123_116
; %bb.111:
	v_cmp_ngt_f32_e64 s1, |v30|, |v31|
                                        ; implicit-def: $vgpr32_vgpr33
	s_and_saveexec_b32 s4, s1
	s_delay_alu instid0(SALU_CYCLE_1)
	s_xor_b32 s1, exec_lo, s4
	s_cbranch_execz .LBB123_113
; %bb.112:
	v_div_scale_f32 v0, null, v31, v31, v30
	v_div_scale_f32 v33, vcc_lo, v30, v31, v30
	s_delay_alu instid0(VALU_DEP_2) | instskip(SKIP_1) | instid1(TRANS32_DEP_1)
	v_rcp_f32_e32 v1, v0
	v_nop
	v_fma_f32 v32, -v0, v1, 1.0
	s_delay_alu instid0(VALU_DEP_1) | instskip(NEXT) | instid1(VALU_DEP_1)
	v_fmac_f32_e32 v1, v32, v1
	v_mul_f32_e32 v32, v33, v1
	s_delay_alu instid0(VALU_DEP_1) | instskip(NEXT) | instid1(VALU_DEP_1)
	v_fma_f32 v34, -v0, v32, v33
	v_fmac_f32_e32 v32, v34, v1
	s_delay_alu instid0(VALU_DEP_1) | instskip(NEXT) | instid1(VALU_DEP_1)
	v_fma_f32 v0, -v0, v32, v33
	v_div_fmas_f32 v0, v0, v1, v32
	s_delay_alu instid0(VALU_DEP_1) | instskip(NEXT) | instid1(VALU_DEP_1)
	v_div_fixup_f32 v0, v0, v31, v30
	v_fmac_f32_e32 v31, v30, v0
	s_delay_alu instid0(VALU_DEP_1) | instskip(SKIP_1) | instid1(VALU_DEP_2)
	v_div_scale_f32 v1, null, v31, v31, 1.0
	v_div_scale_f32 v33, vcc_lo, 1.0, v31, 1.0
	v_rcp_f32_e32 v30, v1
	v_nop
	s_delay_alu instid0(TRANS32_DEP_1) | instskip(NEXT) | instid1(VALU_DEP_1)
	v_fma_f32 v32, -v1, v30, 1.0
	v_fmac_f32_e32 v30, v32, v30
	s_delay_alu instid0(VALU_DEP_1) | instskip(NEXT) | instid1(VALU_DEP_1)
	v_mul_f32_e32 v32, v33, v30
	v_fma_f32 v34, -v1, v32, v33
	s_delay_alu instid0(VALU_DEP_1) | instskip(NEXT) | instid1(VALU_DEP_1)
	v_fmac_f32_e32 v32, v34, v30
	v_fma_f32 v1, -v1, v32, v33
	s_delay_alu instid0(VALU_DEP_1) | instskip(NEXT) | instid1(VALU_DEP_1)
	v_div_fmas_f32 v1, v1, v30, v32
	v_div_fixup_f32 v1, v1, v31, 1.0
                                        ; implicit-def: $vgpr30_vgpr31
	s_delay_alu instid0(VALU_DEP_1)
	v_mul_f32_e32 v32, v0, v1
	v_xor_b32_e32 v33, 0x80000000, v1
.LBB123_113:
	s_and_not1_saveexec_b32 s1, s1
	s_cbranch_execz .LBB123_115
; %bb.114:
	v_div_scale_f32 v0, null, v30, v30, v31
	v_div_scale_f32 v33, vcc_lo, v31, v30, v31
	s_delay_alu instid0(VALU_DEP_2) | instskip(SKIP_1) | instid1(TRANS32_DEP_1)
	v_rcp_f32_e32 v1, v0
	v_nop
	v_fma_f32 v32, -v0, v1, 1.0
	s_delay_alu instid0(VALU_DEP_1) | instskip(NEXT) | instid1(VALU_DEP_1)
	v_fmac_f32_e32 v1, v32, v1
	v_mul_f32_e32 v32, v33, v1
	s_delay_alu instid0(VALU_DEP_1) | instskip(NEXT) | instid1(VALU_DEP_1)
	v_fma_f32 v34, -v0, v32, v33
	v_fmac_f32_e32 v32, v34, v1
	s_delay_alu instid0(VALU_DEP_1) | instskip(NEXT) | instid1(VALU_DEP_1)
	v_fma_f32 v0, -v0, v32, v33
	v_div_fmas_f32 v0, v0, v1, v32
	s_delay_alu instid0(VALU_DEP_1) | instskip(NEXT) | instid1(VALU_DEP_1)
	v_div_fixup_f32 v0, v0, v30, v31
	v_fmac_f32_e32 v30, v31, v0
	s_delay_alu instid0(VALU_DEP_1) | instskip(NEXT) | instid1(VALU_DEP_1)
	v_div_scale_f32 v1, null, v30, v30, 1.0
	v_rcp_f32_e32 v31, v1
	v_nop
	s_delay_alu instid0(TRANS32_DEP_1) | instskip(NEXT) | instid1(VALU_DEP_1)
	v_fma_f32 v32, -v1, v31, 1.0
	v_fmac_f32_e32 v31, v32, v31
	v_div_scale_f32 v32, vcc_lo, 1.0, v30, 1.0
	s_delay_alu instid0(VALU_DEP_1) | instskip(NEXT) | instid1(VALU_DEP_1)
	v_mul_f32_e32 v33, v32, v31
	v_fma_f32 v34, -v1, v33, v32
	s_delay_alu instid0(VALU_DEP_1) | instskip(NEXT) | instid1(VALU_DEP_1)
	v_fmac_f32_e32 v33, v34, v31
	v_fma_f32 v1, -v1, v33, v32
	s_delay_alu instid0(VALU_DEP_1) | instskip(NEXT) | instid1(VALU_DEP_1)
	v_div_fmas_f32 v1, v1, v31, v33
	v_div_fixup_f32 v32, v1, v30, 1.0
	s_delay_alu instid0(VALU_DEP_1)
	v_mul_f32_e64 v33, v0, -v32
.LBB123_115:
	s_or_b32 exec_lo, exec_lo, s1
	ds_store_b64 v235, v[32:33]
.LBB123_116:
	s_or_b32 exec_lo, exec_lo, s2
	s_wait_dscnt 0x0
	s_barrier_signal -1
	s_barrier_wait -1
	ds_load_b64 v[30:31], v235
	s_mov_b32 s1, exec_lo
	v_cmpx_lt_u32_e32 12, v234
	s_cbranch_execz .LBB123_118
; %bb.117:
	ds_load_2addr_b64 v[50:53], v236 offset0:13 offset1:14
	s_wait_dscnt 0x1
	v_pk_mul_f32 v[34:35], v[30:31], v[66:67] op_sel:[1,1] op_sel_hi:[0,1]
	s_delay_alu instid0(VALU_DEP_1) | instskip(SKIP_1) | instid1(VALU_DEP_1)
	v_pk_fma_f32 v[32:33], v[30:31], v[66:67], v[34:35] op_sel_hi:[1,0,1] neg_lo:[0,0,1] neg_hi:[0,0,1]
	v_pk_fma_f32 v[34:35], v[30:31], v[66:67], v[34:35] op_sel_hi:[1,0,1]
	v_dual_mov_b32 v66, v32 :: v_dual_mov_b32 v67, v35
	s_wait_dscnt 0x0
	s_delay_alu instid0(VALU_DEP_2) | instskip(NEXT) | instid1(VALU_DEP_1)
	v_pk_mul_f32 v[44:45], v[50:51], v[34:35] op_sel:[0,1]
	v_pk_fma_f32 v[54:55], v[50:51], v[32:33], v[44:45] op_sel:[0,0,1] op_sel_hi:[1,1,0] neg_lo:[0,0,1] neg_hi:[0,0,1]
	v_pk_fma_f32 v[44:45], v[50:51], v[32:33], v[44:45] op_sel:[0,0,1] op_sel_hi:[1,0,0]
	s_delay_alu instid0(VALU_DEP_1) | instskip(SKIP_1) | instid1(VALU_DEP_1)
	v_mov_b32_e32 v55, v45
	v_pk_mul_f32 v[44:45], v[52:53], v[34:35] op_sel:[0,1]
	v_pk_fma_f32 v[50:51], v[52:53], v[32:33], v[44:45] op_sel:[0,0,1] op_sel_hi:[1,1,0] neg_lo:[0,0,1] neg_hi:[0,0,1]
	v_pk_fma_f32 v[44:45], v[52:53], v[32:33], v[44:45] op_sel:[0,0,1] op_sel_hi:[1,0,0]
	s_delay_alu instid0(VALU_DEP_1) | instskip(SKIP_1) | instid1(VALU_DEP_2)
	v_mov_b32_e32 v51, v45
	v_pk_add_f32 v[62:63], v[62:63], v[54:55] neg_lo:[0,1] neg_hi:[0,1]
	v_pk_add_f32 v[64:65], v[64:65], v[50:51] neg_lo:[0,1] neg_hi:[0,1]
	ds_load_2addr_b64 v[50:53], v236 offset0:15 offset1:16
	s_wait_dscnt 0x0
	v_pk_mul_f32 v[44:45], v[50:51], v[34:35] op_sel:[0,1]
	s_delay_alu instid0(VALU_DEP_1) | instskip(SKIP_2) | instid1(VALU_DEP_2)
	v_pk_fma_f32 v[54:55], v[50:51], v[32:33], v[44:45] op_sel:[0,0,1] op_sel_hi:[1,1,0] neg_lo:[0,0,1] neg_hi:[0,0,1]
	v_pk_fma_f32 v[44:45], v[50:51], v[32:33], v[44:45] op_sel:[0,0,1] op_sel_hi:[1,0,0]
	v_dual_mul_f32 v50, v53, v35 :: v_dual_mov_b32 v44, v53
	v_dual_mov_b32 v55, v45 :: v_dual_mov_b32 v45, v52
	s_delay_alu instid0(VALU_DEP_2) | instskip(SKIP_1) | instid1(VALU_DEP_3)
	v_pk_fma_f32 v[50:51], v[52:53], v[66:67], v[50:51] op_sel_hi:[1,1,0] neg_lo:[0,0,1] neg_hi:[0,0,1]
	v_mul_f32_e32 v52, v53, v32
	v_pk_add_f32 v[60:61], v[60:61], v[54:55] neg_lo:[0,1] neg_hi:[0,1]
	s_delay_alu instid0(VALU_DEP_2) | instskip(NEXT) | instid1(VALU_DEP_1)
	v_pk_fma_f32 v[44:45], v[44:45], v[66:67], v[52:53] op_sel_hi:[1,1,0]
	v_mov_b32_e32 v51, v45
	s_delay_alu instid0(VALU_DEP_1) | instskip(SKIP_3) | instid1(VALU_DEP_1)
	v_pk_add_f32 v[82:83], v[82:83], v[50:51] neg_lo:[0,1] neg_hi:[0,1]
	ds_load_2addr_b64 v[50:53], v236 offset0:17 offset1:18
	s_wait_dscnt 0x0
	v_pk_mul_f32 v[44:45], v[50:51], v[34:35] op_sel:[0,1]
	v_pk_fma_f32 v[54:55], v[50:51], v[32:33], v[44:45] op_sel:[0,0,1] op_sel_hi:[1,1,0] neg_lo:[0,0,1] neg_hi:[0,0,1]
	v_pk_fma_f32 v[44:45], v[50:51], v[32:33], v[44:45] op_sel:[0,0,1] op_sel_hi:[1,0,0]
	s_delay_alu instid0(VALU_DEP_1) | instskip(SKIP_1) | instid1(VALU_DEP_2)
	v_mov_b32_e32 v55, v45
	v_pk_mul_f32 v[44:45], v[52:53], v[34:35] op_sel:[0,1]
	v_pk_add_f32 v[78:79], v[78:79], v[54:55] neg_lo:[0,1] neg_hi:[0,1]
	s_delay_alu instid0(VALU_DEP_2) | instskip(SKIP_1) | instid1(VALU_DEP_1)
	v_pk_fma_f32 v[50:51], v[52:53], v[32:33], v[44:45] op_sel:[0,0,1] op_sel_hi:[1,1,0] neg_lo:[0,0,1] neg_hi:[0,0,1]
	v_pk_fma_f32 v[44:45], v[52:53], v[32:33], v[44:45] op_sel:[0,0,1] op_sel_hi:[1,0,0]
	v_mov_b32_e32 v51, v45
	s_delay_alu instid0(VALU_DEP_1) | instskip(SKIP_3) | instid1(VALU_DEP_1)
	v_pk_add_f32 v[80:81], v[80:81], v[50:51] neg_lo:[0,1] neg_hi:[0,1]
	ds_load_2addr_b64 v[50:53], v236 offset0:19 offset1:20
	s_wait_dscnt 0x0
	v_pk_mul_f32 v[44:45], v[50:51], v[34:35] op_sel:[0,1]
	v_pk_fma_f32 v[54:55], v[50:51], v[32:33], v[44:45] op_sel:[0,0,1] op_sel_hi:[1,1,0] neg_lo:[0,0,1] neg_hi:[0,0,1]
	v_pk_fma_f32 v[44:45], v[50:51], v[32:33], v[44:45] op_sel:[0,0,1] op_sel_hi:[1,0,0]
	s_delay_alu instid0(VALU_DEP_1) | instskip(SKIP_1) | instid1(VALU_DEP_2)
	v_mov_b32_e32 v55, v45
	v_pk_mul_f32 v[44:45], v[52:53], v[34:35] op_sel:[0,1]
	v_pk_add_f32 v[76:77], v[76:77], v[54:55] neg_lo:[0,1] neg_hi:[0,1]
	s_delay_alu instid0(VALU_DEP_2) | instskip(SKIP_1) | instid1(VALU_DEP_1)
	v_pk_fma_f32 v[50:51], v[52:53], v[32:33], v[44:45] op_sel:[0,0,1] op_sel_hi:[1,1,0] neg_lo:[0,0,1] neg_hi:[0,0,1]
	v_pk_fma_f32 v[44:45], v[52:53], v[32:33], v[44:45] op_sel:[0,0,1] op_sel_hi:[1,0,0]
	v_mov_b32_e32 v51, v45
	s_delay_alu instid0(VALU_DEP_1) | instskip(SKIP_3) | instid1(VALU_DEP_1)
	v_pk_add_f32 v[98:99], v[98:99], v[50:51] neg_lo:[0,1] neg_hi:[0,1]
	ds_load_2addr_b64 v[50:53], v236 offset0:21 offset1:22
	s_wait_dscnt 0x0
	v_dual_mul_f32 v44, v51, v35 :: v_dual_mul_f32 v54, v51, v32
	v_pk_fma_f32 v[44:45], v[50:51], v[66:67], v[44:45] op_sel_hi:[1,1,0] neg_lo:[0,0,1] neg_hi:[0,0,1]
	s_delay_alu instid0(VALU_DEP_2) | instskip(NEXT) | instid1(VALU_DEP_1)
	v_pk_fma_f32 v[50:51], v[50:51], v[66:67], v[54:55] op_sel:[1,0,0] op_sel_hi:[0,1,0]
	v_mov_b32_e32 v45, v51
	s_delay_alu instid0(VALU_DEP_1) | instskip(SKIP_1) | instid1(VALU_DEP_1)
	v_pk_add_f32 v[94:95], v[94:95], v[44:45] neg_lo:[0,1] neg_hi:[0,1]
	v_pk_mul_f32 v[44:45], v[52:53], v[34:35] op_sel:[0,1]
	v_pk_fma_f32 v[50:51], v[52:53], v[32:33], v[44:45] op_sel:[0,0,1] op_sel_hi:[1,1,0] neg_lo:[0,0,1] neg_hi:[0,0,1]
	v_pk_fma_f32 v[44:45], v[52:53], v[32:33], v[44:45] op_sel:[0,0,1] op_sel_hi:[1,0,0]
	s_delay_alu instid0(VALU_DEP_1) | instskip(NEXT) | instid1(VALU_DEP_1)
	v_mov_b32_e32 v51, v45
	v_pk_add_f32 v[96:97], v[96:97], v[50:51] neg_lo:[0,1] neg_hi:[0,1]
	ds_load_2addr_b64 v[50:53], v236 offset0:23 offset1:24
	s_wait_dscnt 0x0
	v_pk_mul_f32 v[44:45], v[50:51], v[34:35] op_sel:[0,1]
	s_delay_alu instid0(VALU_DEP_1) | instskip(SKIP_1) | instid1(VALU_DEP_1)
	v_pk_fma_f32 v[54:55], v[50:51], v[32:33], v[44:45] op_sel:[0,0,1] op_sel_hi:[1,1,0] neg_lo:[0,0,1] neg_hi:[0,0,1]
	v_pk_fma_f32 v[44:45], v[50:51], v[32:33], v[44:45] op_sel:[0,0,1] op_sel_hi:[1,0,0]
	v_mov_b32_e32 v55, v45
	v_pk_mul_f32 v[44:45], v[52:53], v[34:35] op_sel:[0,1]
	s_delay_alu instid0(VALU_DEP_2) | instskip(NEXT) | instid1(VALU_DEP_2)
	v_pk_add_f32 v[92:93], v[92:93], v[54:55] neg_lo:[0,1] neg_hi:[0,1]
	v_pk_fma_f32 v[50:51], v[52:53], v[32:33], v[44:45] op_sel:[0,0,1] op_sel_hi:[1,1,0] neg_lo:[0,0,1] neg_hi:[0,0,1]
	v_pk_fma_f32 v[44:45], v[52:53], v[32:33], v[44:45] op_sel:[0,0,1] op_sel_hi:[1,0,0]
	s_delay_alu instid0(VALU_DEP_1) | instskip(NEXT) | instid1(VALU_DEP_1)
	v_mov_b32_e32 v51, v45
	v_pk_add_f32 v[114:115], v[114:115], v[50:51] neg_lo:[0,1] neg_hi:[0,1]
	ds_load_2addr_b64 v[50:53], v236 offset0:25 offset1:26
	s_wait_dscnt 0x0
	v_pk_mul_f32 v[44:45], v[50:51], v[34:35] op_sel:[0,1]
	s_delay_alu instid0(VALU_DEP_1) | instskip(SKIP_2) | instid1(VALU_DEP_2)
	v_pk_fma_f32 v[54:55], v[50:51], v[32:33], v[44:45] op_sel:[0,0,1] op_sel_hi:[1,1,0] neg_lo:[0,0,1] neg_hi:[0,0,1]
	v_pk_fma_f32 v[44:45], v[50:51], v[32:33], v[44:45] op_sel:[0,0,1] op_sel_hi:[1,0,0]
	v_dual_mul_f32 v50, v53, v35 :: v_dual_mov_b32 v44, v53
	v_dual_mov_b32 v55, v45 :: v_dual_mov_b32 v45, v52
	s_delay_alu instid0(VALU_DEP_2) | instskip(SKIP_1) | instid1(VALU_DEP_3)
	v_pk_fma_f32 v[50:51], v[52:53], v[66:67], v[50:51] op_sel_hi:[1,1,0] neg_lo:[0,0,1] neg_hi:[0,0,1]
	v_mul_f32_e32 v52, v53, v32
	v_pk_add_f32 v[110:111], v[110:111], v[54:55] neg_lo:[0,1] neg_hi:[0,1]
	s_delay_alu instid0(VALU_DEP_2) | instskip(NEXT) | instid1(VALU_DEP_1)
	v_pk_fma_f32 v[44:45], v[44:45], v[66:67], v[52:53] op_sel_hi:[1,1,0]
	v_mov_b32_e32 v51, v45
	s_delay_alu instid0(VALU_DEP_1) | instskip(SKIP_3) | instid1(VALU_DEP_1)
	v_pk_add_f32 v[112:113], v[112:113], v[50:51] neg_lo:[0,1] neg_hi:[0,1]
	ds_load_2addr_b64 v[50:53], v236 offset0:27 offset1:28
	s_wait_dscnt 0x0
	v_pk_mul_f32 v[44:45], v[50:51], v[34:35] op_sel:[0,1]
	v_pk_fma_f32 v[54:55], v[50:51], v[32:33], v[44:45] op_sel:[0,0,1] op_sel_hi:[1,1,0] neg_lo:[0,0,1] neg_hi:[0,0,1]
	v_pk_fma_f32 v[44:45], v[50:51], v[32:33], v[44:45] op_sel:[0,0,1] op_sel_hi:[1,0,0]
	s_delay_alu instid0(VALU_DEP_1) | instskip(SKIP_1) | instid1(VALU_DEP_2)
	v_mov_b32_e32 v55, v45
	v_pk_mul_f32 v[44:45], v[52:53], v[34:35] op_sel:[0,1]
	v_pk_add_f32 v[108:109], v[108:109], v[54:55] neg_lo:[0,1] neg_hi:[0,1]
	s_delay_alu instid0(VALU_DEP_2) | instskip(SKIP_1) | instid1(VALU_DEP_1)
	v_pk_fma_f32 v[50:51], v[52:53], v[32:33], v[44:45] op_sel:[0,0,1] op_sel_hi:[1,1,0] neg_lo:[0,0,1] neg_hi:[0,0,1]
	v_pk_fma_f32 v[44:45], v[52:53], v[32:33], v[44:45] op_sel:[0,0,1] op_sel_hi:[1,0,0]
	v_mov_b32_e32 v51, v45
	s_delay_alu instid0(VALU_DEP_1) | instskip(SKIP_3) | instid1(VALU_DEP_1)
	v_pk_add_f32 v[130:131], v[130:131], v[50:51] neg_lo:[0,1] neg_hi:[0,1]
	ds_load_2addr_b64 v[50:53], v236 offset0:29 offset1:30
	s_wait_dscnt 0x0
	v_pk_mul_f32 v[44:45], v[50:51], v[34:35] op_sel:[0,1]
	v_pk_fma_f32 v[54:55], v[50:51], v[32:33], v[44:45] op_sel:[0,0,1] op_sel_hi:[1,1,0] neg_lo:[0,0,1] neg_hi:[0,0,1]
	v_pk_fma_f32 v[44:45], v[50:51], v[32:33], v[44:45] op_sel:[0,0,1] op_sel_hi:[1,0,0]
	s_delay_alu instid0(VALU_DEP_1) | instskip(SKIP_1) | instid1(VALU_DEP_2)
	v_mov_b32_e32 v55, v45
	v_pk_mul_f32 v[44:45], v[52:53], v[34:35] op_sel:[0,1]
	v_pk_add_f32 v[126:127], v[126:127], v[54:55] neg_lo:[0,1] neg_hi:[0,1]
	s_delay_alu instid0(VALU_DEP_2) | instskip(SKIP_1) | instid1(VALU_DEP_1)
	v_pk_fma_f32 v[50:51], v[52:53], v[32:33], v[44:45] op_sel:[0,0,1] op_sel_hi:[1,1,0] neg_lo:[0,0,1] neg_hi:[0,0,1]
	v_pk_fma_f32 v[44:45], v[52:53], v[32:33], v[44:45] op_sel:[0,0,1] op_sel_hi:[1,0,0]
	v_mov_b32_e32 v51, v45
	s_delay_alu instid0(VALU_DEP_1) | instskip(SKIP_3) | instid1(VALU_DEP_1)
	v_pk_add_f32 v[128:129], v[128:129], v[50:51] neg_lo:[0,1] neg_hi:[0,1]
	ds_load_2addr_b64 v[50:53], v236 offset0:31 offset1:32
	s_wait_dscnt 0x0
	v_dual_mul_f32 v44, v51, v35 :: v_dual_mul_f32 v54, v51, v32
	v_pk_fma_f32 v[44:45], v[50:51], v[66:67], v[44:45] op_sel_hi:[1,1,0] neg_lo:[0,0,1] neg_hi:[0,0,1]
	s_delay_alu instid0(VALU_DEP_2) | instskip(NEXT) | instid1(VALU_DEP_1)
	v_pk_fma_f32 v[50:51], v[50:51], v[66:67], v[54:55] op_sel:[1,0,0] op_sel_hi:[0,1,0]
	v_mov_b32_e32 v45, v51
	s_delay_alu instid0(VALU_DEP_1) | instskip(SKIP_1) | instid1(VALU_DEP_1)
	v_pk_add_f32 v[124:125], v[124:125], v[44:45] neg_lo:[0,1] neg_hi:[0,1]
	v_pk_mul_f32 v[44:45], v[52:53], v[34:35] op_sel:[0,1]
	v_pk_fma_f32 v[50:51], v[52:53], v[32:33], v[44:45] op_sel:[0,0,1] op_sel_hi:[1,1,0] neg_lo:[0,0,1] neg_hi:[0,0,1]
	v_pk_fma_f32 v[44:45], v[52:53], v[32:33], v[44:45] op_sel:[0,0,1] op_sel_hi:[1,0,0]
	s_delay_alu instid0(VALU_DEP_1) | instskip(NEXT) | instid1(VALU_DEP_1)
	v_mov_b32_e32 v51, v45
	v_pk_add_f32 v[146:147], v[146:147], v[50:51] neg_lo:[0,1] neg_hi:[0,1]
	ds_load_2addr_b64 v[50:53], v236 offset0:33 offset1:34
	s_wait_dscnt 0x0
	v_pk_mul_f32 v[44:45], v[50:51], v[34:35] op_sel:[0,1]
	s_delay_alu instid0(VALU_DEP_1) | instskip(SKIP_1) | instid1(VALU_DEP_1)
	v_pk_fma_f32 v[54:55], v[50:51], v[32:33], v[44:45] op_sel:[0,0,1] op_sel_hi:[1,1,0] neg_lo:[0,0,1] neg_hi:[0,0,1]
	v_pk_fma_f32 v[44:45], v[50:51], v[32:33], v[44:45] op_sel:[0,0,1] op_sel_hi:[1,0,0]
	v_mov_b32_e32 v55, v45
	v_pk_mul_f32 v[44:45], v[52:53], v[34:35] op_sel:[0,1]
	s_delay_alu instid0(VALU_DEP_2) | instskip(NEXT) | instid1(VALU_DEP_2)
	v_pk_add_f32 v[142:143], v[142:143], v[54:55] neg_lo:[0,1] neg_hi:[0,1]
	v_pk_fma_f32 v[50:51], v[52:53], v[32:33], v[44:45] op_sel:[0,0,1] op_sel_hi:[1,1,0] neg_lo:[0,0,1] neg_hi:[0,0,1]
	v_pk_fma_f32 v[44:45], v[52:53], v[32:33], v[44:45] op_sel:[0,0,1] op_sel_hi:[1,0,0]
	s_delay_alu instid0(VALU_DEP_1) | instskip(NEXT) | instid1(VALU_DEP_1)
	v_mov_b32_e32 v51, v45
	v_pk_add_f32 v[144:145], v[144:145], v[50:51] neg_lo:[0,1] neg_hi:[0,1]
	ds_load_2addr_b64 v[50:53], v236 offset0:35 offset1:36
	s_wait_dscnt 0x0
	v_pk_mul_f32 v[44:45], v[50:51], v[34:35] op_sel:[0,1]
	s_delay_alu instid0(VALU_DEP_1) | instskip(SKIP_2) | instid1(VALU_DEP_2)
	v_pk_fma_f32 v[54:55], v[50:51], v[32:33], v[44:45] op_sel:[0,0,1] op_sel_hi:[1,1,0] neg_lo:[0,0,1] neg_hi:[0,0,1]
	v_pk_fma_f32 v[44:45], v[50:51], v[32:33], v[44:45] op_sel:[0,0,1] op_sel_hi:[1,0,0]
	v_dual_mul_f32 v50, v53, v35 :: v_dual_mov_b32 v44, v53
	v_dual_mov_b32 v55, v45 :: v_dual_mov_b32 v45, v52
	s_delay_alu instid0(VALU_DEP_2) | instskip(SKIP_1) | instid1(VALU_DEP_3)
	v_pk_fma_f32 v[50:51], v[52:53], v[66:67], v[50:51] op_sel_hi:[1,1,0] neg_lo:[0,0,1] neg_hi:[0,0,1]
	v_mul_f32_e32 v52, v53, v32
	v_pk_add_f32 v[140:141], v[140:141], v[54:55] neg_lo:[0,1] neg_hi:[0,1]
	s_delay_alu instid0(VALU_DEP_2) | instskip(NEXT) | instid1(VALU_DEP_1)
	v_pk_fma_f32 v[44:45], v[44:45], v[66:67], v[52:53] op_sel_hi:[1,1,0]
	v_mov_b32_e32 v51, v45
	s_delay_alu instid0(VALU_DEP_1) | instskip(SKIP_3) | instid1(VALU_DEP_1)
	v_pk_add_f32 v[162:163], v[162:163], v[50:51] neg_lo:[0,1] neg_hi:[0,1]
	ds_load_2addr_b64 v[50:53], v236 offset0:37 offset1:38
	s_wait_dscnt 0x0
	v_pk_mul_f32 v[44:45], v[50:51], v[34:35] op_sel:[0,1]
	v_pk_fma_f32 v[54:55], v[50:51], v[32:33], v[44:45] op_sel:[0,0,1] op_sel_hi:[1,1,0] neg_lo:[0,0,1] neg_hi:[0,0,1]
	v_pk_fma_f32 v[44:45], v[50:51], v[32:33], v[44:45] op_sel:[0,0,1] op_sel_hi:[1,0,0]
	s_delay_alu instid0(VALU_DEP_1) | instskip(SKIP_1) | instid1(VALU_DEP_2)
	v_mov_b32_e32 v55, v45
	v_pk_mul_f32 v[44:45], v[52:53], v[34:35] op_sel:[0,1]
	v_pk_add_f32 v[158:159], v[158:159], v[54:55] neg_lo:[0,1] neg_hi:[0,1]
	s_delay_alu instid0(VALU_DEP_2) | instskip(SKIP_1) | instid1(VALU_DEP_1)
	v_pk_fma_f32 v[50:51], v[52:53], v[32:33], v[44:45] op_sel:[0,0,1] op_sel_hi:[1,1,0] neg_lo:[0,0,1] neg_hi:[0,0,1]
	v_pk_fma_f32 v[44:45], v[52:53], v[32:33], v[44:45] op_sel:[0,0,1] op_sel_hi:[1,0,0]
	v_mov_b32_e32 v51, v45
	s_delay_alu instid0(VALU_DEP_1) | instskip(SKIP_3) | instid1(VALU_DEP_1)
	v_pk_add_f32 v[160:161], v[160:161], v[50:51] neg_lo:[0,1] neg_hi:[0,1]
	ds_load_2addr_b64 v[50:53], v236 offset0:39 offset1:40
	s_wait_dscnt 0x0
	v_pk_mul_f32 v[44:45], v[50:51], v[34:35] op_sel:[0,1]
	v_pk_fma_f32 v[54:55], v[50:51], v[32:33], v[44:45] op_sel:[0,0,1] op_sel_hi:[1,1,0] neg_lo:[0,0,1] neg_hi:[0,0,1]
	v_pk_fma_f32 v[44:45], v[50:51], v[32:33], v[44:45] op_sel:[0,0,1] op_sel_hi:[1,0,0]
	s_delay_alu instid0(VALU_DEP_1) | instskip(SKIP_1) | instid1(VALU_DEP_2)
	v_mov_b32_e32 v55, v45
	v_pk_mul_f32 v[44:45], v[52:53], v[34:35] op_sel:[0,1]
	v_pk_add_f32 v[156:157], v[156:157], v[54:55] neg_lo:[0,1] neg_hi:[0,1]
	s_delay_alu instid0(VALU_DEP_2) | instskip(SKIP_1) | instid1(VALU_DEP_1)
	v_pk_fma_f32 v[50:51], v[52:53], v[32:33], v[44:45] op_sel:[0,0,1] op_sel_hi:[1,1,0] neg_lo:[0,0,1] neg_hi:[0,0,1]
	v_pk_fma_f32 v[44:45], v[52:53], v[32:33], v[44:45] op_sel:[0,0,1] op_sel_hi:[1,0,0]
	v_mov_b32_e32 v51, v45
	s_delay_alu instid0(VALU_DEP_1) | instskip(SKIP_3) | instid1(VALU_DEP_1)
	v_pk_add_f32 v[178:179], v[178:179], v[50:51] neg_lo:[0,1] neg_hi:[0,1]
	ds_load_2addr_b64 v[50:53], v236 offset0:41 offset1:42
	s_wait_dscnt 0x0
	v_dual_mul_f32 v44, v51, v35 :: v_dual_mul_f32 v54, v51, v32
	v_pk_fma_f32 v[44:45], v[50:51], v[66:67], v[44:45] op_sel_hi:[1,1,0] neg_lo:[0,0,1] neg_hi:[0,0,1]
	s_delay_alu instid0(VALU_DEP_2) | instskip(NEXT) | instid1(VALU_DEP_1)
	v_pk_fma_f32 v[50:51], v[50:51], v[66:67], v[54:55] op_sel:[1,0,0] op_sel_hi:[0,1,0]
	v_mov_b32_e32 v45, v51
	s_delay_alu instid0(VALU_DEP_1) | instskip(SKIP_1) | instid1(VALU_DEP_1)
	v_pk_add_f32 v[174:175], v[174:175], v[44:45] neg_lo:[0,1] neg_hi:[0,1]
	v_pk_mul_f32 v[44:45], v[52:53], v[34:35] op_sel:[0,1]
	v_pk_fma_f32 v[50:51], v[52:53], v[32:33], v[44:45] op_sel:[0,0,1] op_sel_hi:[1,1,0] neg_lo:[0,0,1] neg_hi:[0,0,1]
	v_pk_fma_f32 v[44:45], v[52:53], v[32:33], v[44:45] op_sel:[0,0,1] op_sel_hi:[1,0,0]
	s_delay_alu instid0(VALU_DEP_1) | instskip(NEXT) | instid1(VALU_DEP_1)
	v_mov_b32_e32 v51, v45
	v_pk_add_f32 v[176:177], v[176:177], v[50:51] neg_lo:[0,1] neg_hi:[0,1]
	ds_load_2addr_b64 v[50:53], v236 offset0:43 offset1:44
	s_wait_dscnt 0x0
	v_pk_mul_f32 v[44:45], v[50:51], v[34:35] op_sel:[0,1]
	s_delay_alu instid0(VALU_DEP_1) | instskip(SKIP_1) | instid1(VALU_DEP_1)
	v_pk_fma_f32 v[54:55], v[50:51], v[32:33], v[44:45] op_sel:[0,0,1] op_sel_hi:[1,1,0] neg_lo:[0,0,1] neg_hi:[0,0,1]
	v_pk_fma_f32 v[44:45], v[50:51], v[32:33], v[44:45] op_sel:[0,0,1] op_sel_hi:[1,0,0]
	v_mov_b32_e32 v55, v45
	v_pk_mul_f32 v[44:45], v[52:53], v[34:35] op_sel:[0,1]
	s_delay_alu instid0(VALU_DEP_2) | instskip(NEXT) | instid1(VALU_DEP_2)
	v_pk_add_f32 v[172:173], v[172:173], v[54:55] neg_lo:[0,1] neg_hi:[0,1]
	v_pk_fma_f32 v[50:51], v[52:53], v[32:33], v[44:45] op_sel:[0,0,1] op_sel_hi:[1,1,0] neg_lo:[0,0,1] neg_hi:[0,0,1]
	v_pk_fma_f32 v[44:45], v[52:53], v[32:33], v[44:45] op_sel:[0,0,1] op_sel_hi:[1,0,0]
	s_delay_alu instid0(VALU_DEP_1) | instskip(NEXT) | instid1(VALU_DEP_1)
	v_mov_b32_e32 v51, v45
	v_pk_add_f32 v[194:195], v[194:195], v[50:51] neg_lo:[0,1] neg_hi:[0,1]
	ds_load_2addr_b64 v[50:53], v236 offset0:45 offset1:46
	s_wait_dscnt 0x0
	v_pk_mul_f32 v[44:45], v[50:51], v[34:35] op_sel:[0,1]
	s_delay_alu instid0(VALU_DEP_1) | instskip(SKIP_2) | instid1(VALU_DEP_2)
	v_pk_fma_f32 v[54:55], v[50:51], v[32:33], v[44:45] op_sel:[0,0,1] op_sel_hi:[1,1,0] neg_lo:[0,0,1] neg_hi:[0,0,1]
	v_pk_fma_f32 v[44:45], v[50:51], v[32:33], v[44:45] op_sel:[0,0,1] op_sel_hi:[1,0,0]
	v_dual_mul_f32 v50, v53, v35 :: v_dual_mov_b32 v44, v53
	v_dual_mov_b32 v55, v45 :: v_dual_mov_b32 v45, v52
	s_delay_alu instid0(VALU_DEP_2) | instskip(SKIP_1) | instid1(VALU_DEP_3)
	v_pk_fma_f32 v[50:51], v[52:53], v[66:67], v[50:51] op_sel_hi:[1,1,0] neg_lo:[0,0,1] neg_hi:[0,0,1]
	v_mul_f32_e32 v52, v53, v32
	v_pk_add_f32 v[190:191], v[190:191], v[54:55] neg_lo:[0,1] neg_hi:[0,1]
	s_delay_alu instid0(VALU_DEP_2) | instskip(NEXT) | instid1(VALU_DEP_1)
	v_pk_fma_f32 v[44:45], v[44:45], v[66:67], v[52:53] op_sel_hi:[1,1,0]
	v_mov_b32_e32 v51, v45
	s_delay_alu instid0(VALU_DEP_1) | instskip(SKIP_3) | instid1(VALU_DEP_1)
	v_pk_add_f32 v[192:193], v[192:193], v[50:51] neg_lo:[0,1] neg_hi:[0,1]
	ds_load_2addr_b64 v[50:53], v236 offset0:47 offset1:48
	s_wait_dscnt 0x0
	v_pk_mul_f32 v[44:45], v[50:51], v[34:35] op_sel:[0,1]
	v_pk_fma_f32 v[54:55], v[50:51], v[32:33], v[44:45] op_sel:[0,0,1] op_sel_hi:[1,1,0] neg_lo:[0,0,1] neg_hi:[0,0,1]
	v_pk_fma_f32 v[44:45], v[50:51], v[32:33], v[44:45] op_sel:[0,0,1] op_sel_hi:[1,0,0]
	s_delay_alu instid0(VALU_DEP_1) | instskip(SKIP_1) | instid1(VALU_DEP_2)
	v_mov_b32_e32 v55, v45
	v_pk_mul_f32 v[44:45], v[52:53], v[34:35] op_sel:[0,1]
	v_pk_add_f32 v[188:189], v[188:189], v[54:55] neg_lo:[0,1] neg_hi:[0,1]
	s_delay_alu instid0(VALU_DEP_2) | instskip(SKIP_1) | instid1(VALU_DEP_1)
	v_pk_fma_f32 v[50:51], v[52:53], v[32:33], v[44:45] op_sel:[0,0,1] op_sel_hi:[1,1,0] neg_lo:[0,0,1] neg_hi:[0,0,1]
	v_pk_fma_f32 v[44:45], v[52:53], v[32:33], v[44:45] op_sel:[0,0,1] op_sel_hi:[1,0,0]
	v_mov_b32_e32 v51, v45
	s_delay_alu instid0(VALU_DEP_1) | instskip(SKIP_3) | instid1(VALU_DEP_1)
	v_pk_add_f32 v[210:211], v[210:211], v[50:51] neg_lo:[0,1] neg_hi:[0,1]
	ds_load_2addr_b64 v[50:53], v236 offset0:49 offset1:50
	s_wait_dscnt 0x0
	v_pk_mul_f32 v[44:45], v[50:51], v[34:35] op_sel:[0,1]
	v_pk_fma_f32 v[54:55], v[50:51], v[32:33], v[44:45] op_sel:[0,0,1] op_sel_hi:[1,1,0] neg_lo:[0,0,1] neg_hi:[0,0,1]
	v_pk_fma_f32 v[44:45], v[50:51], v[32:33], v[44:45] op_sel:[0,0,1] op_sel_hi:[1,0,0]
	s_delay_alu instid0(VALU_DEP_1) | instskip(SKIP_1) | instid1(VALU_DEP_2)
	v_mov_b32_e32 v55, v45
	v_pk_mul_f32 v[44:45], v[52:53], v[34:35] op_sel:[0,1]
	v_pk_add_f32 v[206:207], v[206:207], v[54:55] neg_lo:[0,1] neg_hi:[0,1]
	s_delay_alu instid0(VALU_DEP_2) | instskip(SKIP_1) | instid1(VALU_DEP_1)
	v_pk_fma_f32 v[50:51], v[52:53], v[32:33], v[44:45] op_sel:[0,0,1] op_sel_hi:[1,1,0] neg_lo:[0,0,1] neg_hi:[0,0,1]
	v_pk_fma_f32 v[44:45], v[52:53], v[32:33], v[44:45] op_sel:[0,0,1] op_sel_hi:[1,0,0]
	v_mov_b32_e32 v51, v45
	s_delay_alu instid0(VALU_DEP_1) | instskip(SKIP_3) | instid1(VALU_DEP_1)
	v_pk_add_f32 v[208:209], v[208:209], v[50:51] neg_lo:[0,1] neg_hi:[0,1]
	ds_load_2addr_b64 v[50:53], v236 offset0:51 offset1:52
	s_wait_dscnt 0x0
	v_dual_mul_f32 v44, v51, v35 :: v_dual_mul_f32 v54, v51, v32
	v_pk_fma_f32 v[44:45], v[50:51], v[66:67], v[44:45] op_sel_hi:[1,1,0] neg_lo:[0,0,1] neg_hi:[0,0,1]
	s_delay_alu instid0(VALU_DEP_2) | instskip(NEXT) | instid1(VALU_DEP_1)
	v_pk_fma_f32 v[50:51], v[50:51], v[66:67], v[54:55] op_sel:[1,0,0] op_sel_hi:[0,1,0]
	v_mov_b32_e32 v45, v51
	s_delay_alu instid0(VALU_DEP_1) | instskip(SKIP_1) | instid1(VALU_DEP_1)
	v_pk_add_f32 v[204:205], v[204:205], v[44:45] neg_lo:[0,1] neg_hi:[0,1]
	v_pk_mul_f32 v[44:45], v[52:53], v[34:35] op_sel:[0,1]
	v_pk_fma_f32 v[50:51], v[52:53], v[32:33], v[44:45] op_sel:[0,0,1] op_sel_hi:[1,1,0] neg_lo:[0,0,1] neg_hi:[0,0,1]
	v_pk_fma_f32 v[44:45], v[52:53], v[32:33], v[44:45] op_sel:[0,0,1] op_sel_hi:[1,0,0]
	s_delay_alu instid0(VALU_DEP_1) | instskip(NEXT) | instid1(VALU_DEP_1)
	v_mov_b32_e32 v51, v45
	v_pk_add_f32 v[228:229], v[228:229], v[50:51] neg_lo:[0,1] neg_hi:[0,1]
	ds_load_2addr_b64 v[50:53], v236 offset0:53 offset1:54
	s_wait_dscnt 0x0
	v_pk_mul_f32 v[44:45], v[50:51], v[34:35] op_sel:[0,1]
	s_delay_alu instid0(VALU_DEP_1) | instskip(SKIP_1) | instid1(VALU_DEP_1)
	v_pk_fma_f32 v[54:55], v[50:51], v[32:33], v[44:45] op_sel:[0,0,1] op_sel_hi:[1,1,0] neg_lo:[0,0,1] neg_hi:[0,0,1]
	v_pk_fma_f32 v[44:45], v[50:51], v[32:33], v[44:45] op_sel:[0,0,1] op_sel_hi:[1,0,0]
	v_mov_b32_e32 v55, v45
	v_pk_mul_f32 v[44:45], v[52:53], v[34:35] op_sel:[0,1]
	s_delay_alu instid0(VALU_DEP_2) | instskip(NEXT) | instid1(VALU_DEP_2)
	v_pk_add_f32 v[224:225], v[224:225], v[54:55] neg_lo:[0,1] neg_hi:[0,1]
	v_pk_fma_f32 v[50:51], v[52:53], v[32:33], v[44:45] op_sel:[0,0,1] op_sel_hi:[1,1,0] neg_lo:[0,0,1] neg_hi:[0,0,1]
	v_pk_fma_f32 v[44:45], v[52:53], v[32:33], v[44:45] op_sel:[0,0,1] op_sel_hi:[1,0,0]
	s_delay_alu instid0(VALU_DEP_1) | instskip(NEXT) | instid1(VALU_DEP_1)
	v_mov_b32_e32 v51, v45
	v_pk_add_f32 v[226:227], v[226:227], v[50:51] neg_lo:[0,1] neg_hi:[0,1]
	ds_load_2addr_b64 v[50:53], v236 offset0:55 offset1:56
	s_wait_dscnt 0x0
	v_pk_mul_f32 v[44:45], v[50:51], v[34:35] op_sel:[0,1]
	s_delay_alu instid0(VALU_DEP_1) | instskip(SKIP_2) | instid1(VALU_DEP_2)
	v_pk_fma_f32 v[54:55], v[50:51], v[32:33], v[44:45] op_sel:[0,0,1] op_sel_hi:[1,1,0] neg_lo:[0,0,1] neg_hi:[0,0,1]
	v_pk_fma_f32 v[44:45], v[50:51], v[32:33], v[44:45] op_sel:[0,0,1] op_sel_hi:[1,0,0]
	v_dual_mul_f32 v50, v53, v35 :: v_dual_mov_b32 v44, v53
	v_dual_mov_b32 v55, v45 :: v_dual_mov_b32 v45, v52
	s_delay_alu instid0(VALU_DEP_2) | instskip(SKIP_1) | instid1(VALU_DEP_3)
	v_pk_fma_f32 v[50:51], v[52:53], v[66:67], v[50:51] op_sel_hi:[1,1,0] neg_lo:[0,0,1] neg_hi:[0,0,1]
	v_mul_f32_e32 v52, v53, v32
	v_pk_add_f32 v[222:223], v[222:223], v[54:55] neg_lo:[0,1] neg_hi:[0,1]
	s_delay_alu instid0(VALU_DEP_2) | instskip(NEXT) | instid1(VALU_DEP_1)
	v_pk_fma_f32 v[44:45], v[44:45], v[66:67], v[52:53] op_sel_hi:[1,1,0]
	v_mov_b32_e32 v51, v45
	s_delay_alu instid0(VALU_DEP_1) | instskip(SKIP_3) | instid1(VALU_DEP_1)
	v_pk_add_f32 v[244:245], v[244:245], v[50:51] neg_lo:[0,1] neg_hi:[0,1]
	ds_load_2addr_b64 v[50:53], v236 offset0:57 offset1:58
	s_wait_dscnt 0x0
	v_pk_mul_f32 v[44:45], v[50:51], v[34:35] op_sel:[0,1]
	v_pk_fma_f32 v[54:55], v[50:51], v[32:33], v[44:45] op_sel:[0,0,1] op_sel_hi:[1,1,0] neg_lo:[0,0,1] neg_hi:[0,0,1]
	v_pk_fma_f32 v[44:45], v[50:51], v[32:33], v[44:45] op_sel:[0,0,1] op_sel_hi:[1,0,0]
	s_delay_alu instid0(VALU_DEP_1) | instskip(SKIP_1) | instid1(VALU_DEP_2)
	v_mov_b32_e32 v55, v45
	v_pk_mul_f32 v[44:45], v[52:53], v[34:35] op_sel:[0,1]
	v_pk_add_f32 v[240:241], v[240:241], v[54:55] neg_lo:[0,1] neg_hi:[0,1]
	s_delay_alu instid0(VALU_DEP_2) | instskip(SKIP_1) | instid1(VALU_DEP_1)
	v_pk_fma_f32 v[50:51], v[52:53], v[32:33], v[44:45] op_sel:[0,0,1] op_sel_hi:[1,1,0] neg_lo:[0,0,1] neg_hi:[0,0,1]
	v_pk_fma_f32 v[44:45], v[52:53], v[32:33], v[44:45] op_sel:[0,0,1] op_sel_hi:[1,0,0]
	v_mov_b32_e32 v51, v45
	s_delay_alu instid0(VALU_DEP_1) | instskip(SKIP_3) | instid1(VALU_DEP_1)
	v_pk_add_f32 v[242:243], v[242:243], v[50:51] neg_lo:[0,1] neg_hi:[0,1]
	ds_load_2addr_b64 v[50:53], v236 offset0:59 offset1:60
	s_wait_dscnt 0x0
	v_pk_mul_f32 v[44:45], v[50:51], v[34:35] op_sel:[0,1]
	v_pk_fma_f32 v[54:55], v[50:51], v[32:33], v[44:45] op_sel:[0,0,1] op_sel_hi:[1,1,0] neg_lo:[0,0,1] neg_hi:[0,0,1]
	v_pk_fma_f32 v[44:45], v[50:51], v[32:33], v[44:45] op_sel:[0,0,1] op_sel_hi:[1,0,0]
	s_delay_alu instid0(VALU_DEP_1) | instskip(SKIP_1) | instid1(VALU_DEP_2)
	v_mov_b32_e32 v55, v45
	v_pk_mul_f32 v[44:45], v[52:53], v[34:35] op_sel:[0,1]
	v_pk_add_f32 v[238:239], v[238:239], v[54:55] neg_lo:[0,1] neg_hi:[0,1]
	s_delay_alu instid0(VALU_DEP_2) | instskip(SKIP_1) | instid1(VALU_DEP_1)
	v_pk_fma_f32 v[50:51], v[52:53], v[32:33], v[44:45] op_sel:[0,0,1] op_sel_hi:[1,1,0] neg_lo:[0,0,1] neg_hi:[0,0,1]
	v_pk_fma_f32 v[44:45], v[52:53], v[32:33], v[44:45] op_sel:[0,0,1] op_sel_hi:[1,0,0]
	v_mov_b32_e32 v51, v45
	ds_load_b64 v[44:45], v236 offset:488
	v_pk_add_f32 v[246:247], v[246:247], v[50:51] neg_lo:[0,1] neg_hi:[0,1]
	s_wait_dscnt 0x0
	v_pk_mul_f32 v[34:35], v[44:45], v[34:35] op_sel:[0,1]
	s_delay_alu instid0(VALU_DEP_1) | instskip(SKIP_1) | instid1(VALU_DEP_1)
	v_pk_fma_f32 v[50:51], v[44:45], v[32:33], v[34:35] op_sel:[0,0,1] op_sel_hi:[1,1,0] neg_lo:[0,0,1] neg_hi:[0,0,1]
	v_pk_fma_f32 v[32:33], v[44:45], v[32:33], v[34:35] op_sel:[0,0,1] op_sel_hi:[1,0,0]
	v_mov_b32_e32 v51, v33
	s_delay_alu instid0(VALU_DEP_1)
	v_pk_add_f32 v[248:249], v[248:249], v[50:51] neg_lo:[0,1] neg_hi:[0,1]
.LBB123_118:
	s_or_b32 exec_lo, exec_lo, s1
	s_delay_alu instid0(SALU_CYCLE_1)
	s_mov_b32 s2, exec_lo
	s_wait_dscnt 0x0
	s_barrier_signal -1
	s_barrier_wait -1
	v_cmpx_eq_u32_e32 13, v234
	s_cbranch_execz .LBB123_125
; %bb.119:
	v_dual_mov_b32 v32, v64 :: v_dual_mov_b32 v33, v65
	v_dual_mov_b32 v34, v60 :: v_dual_mov_b32 v35, v61
	ds_store_b64 v235, v[62:63]
	ds_store_2addr_b64 v236, v[32:33], v[34:35] offset0:14 offset1:15
	v_dual_mov_b32 v32, v82 :: v_dual_mov_b32 v33, v83
	v_dual_mov_b32 v34, v78 :: v_dual_mov_b32 v35, v79
	ds_store_2addr_b64 v236, v[32:33], v[34:35] offset0:16 offset1:17
	v_dual_mov_b32 v32, v80 :: v_dual_mov_b32 v33, v81
	v_dual_mov_b32 v34, v76 :: v_dual_mov_b32 v35, v77
	;; [unrolled: 3-line block ×22, first 2 shown]
	ds_store_2addr_b64 v236, v[32:33], v[34:35] offset0:58 offset1:59
	v_dual_mov_b32 v32, v246 :: v_dual_mov_b32 v33, v247
	ds_store_2addr_b64 v236, v[32:33], v[248:249] offset0:60 offset1:61
	ds_load_b64 v[32:33], v235
	s_wait_dscnt 0x0
	v_cmp_neq_f32_e32 vcc_lo, 0, v32
	v_cmp_neq_f32_e64 s1, 0, v33
	s_or_b32 s1, vcc_lo, s1
	s_delay_alu instid0(SALU_CYCLE_1)
	s_and_b32 exec_lo, exec_lo, s1
	s_cbranch_execz .LBB123_125
; %bb.120:
	v_cmp_ngt_f32_e64 s1, |v32|, |v33|
                                        ; implicit-def: $vgpr34_vgpr35
	s_and_saveexec_b32 s4, s1
	s_delay_alu instid0(SALU_CYCLE_1)
	s_xor_b32 s1, exec_lo, s4
	s_cbranch_execz .LBB123_122
; %bb.121:
	v_div_scale_f32 v0, null, v33, v33, v32
	v_div_scale_f32 v35, vcc_lo, v32, v33, v32
	s_delay_alu instid0(VALU_DEP_2) | instskip(SKIP_1) | instid1(TRANS32_DEP_1)
	v_rcp_f32_e32 v1, v0
	v_nop
	v_fma_f32 v34, -v0, v1, 1.0
	s_delay_alu instid0(VALU_DEP_1) | instskip(NEXT) | instid1(VALU_DEP_1)
	v_fmac_f32_e32 v1, v34, v1
	v_mul_f32_e32 v34, v35, v1
	s_delay_alu instid0(VALU_DEP_1) | instskip(NEXT) | instid1(VALU_DEP_1)
	v_fma_f32 v44, -v0, v34, v35
	v_fmac_f32_e32 v34, v44, v1
	s_delay_alu instid0(VALU_DEP_1) | instskip(NEXT) | instid1(VALU_DEP_1)
	v_fma_f32 v0, -v0, v34, v35
	v_div_fmas_f32 v0, v0, v1, v34
	s_delay_alu instid0(VALU_DEP_1) | instskip(NEXT) | instid1(VALU_DEP_1)
	v_div_fixup_f32 v0, v0, v33, v32
	v_fmac_f32_e32 v33, v32, v0
	s_delay_alu instid0(VALU_DEP_1) | instskip(SKIP_1) | instid1(VALU_DEP_2)
	v_div_scale_f32 v1, null, v33, v33, 1.0
	v_div_scale_f32 v35, vcc_lo, 1.0, v33, 1.0
	v_rcp_f32_e32 v32, v1
	v_nop
	s_delay_alu instid0(TRANS32_DEP_1) | instskip(NEXT) | instid1(VALU_DEP_1)
	v_fma_f32 v34, -v1, v32, 1.0
	v_fmac_f32_e32 v32, v34, v32
	s_delay_alu instid0(VALU_DEP_1) | instskip(NEXT) | instid1(VALU_DEP_1)
	v_mul_f32_e32 v34, v35, v32
	v_fma_f32 v44, -v1, v34, v35
	s_delay_alu instid0(VALU_DEP_1) | instskip(NEXT) | instid1(VALU_DEP_1)
	v_fmac_f32_e32 v34, v44, v32
	v_fma_f32 v1, -v1, v34, v35
	s_delay_alu instid0(VALU_DEP_1) | instskip(NEXT) | instid1(VALU_DEP_1)
	v_div_fmas_f32 v1, v1, v32, v34
	v_div_fixup_f32 v1, v1, v33, 1.0
                                        ; implicit-def: $vgpr32_vgpr33
	s_delay_alu instid0(VALU_DEP_1)
	v_mul_f32_e32 v34, v0, v1
	v_xor_b32_e32 v35, 0x80000000, v1
.LBB123_122:
	s_and_not1_saveexec_b32 s1, s1
	s_cbranch_execz .LBB123_124
; %bb.123:
	v_div_scale_f32 v0, null, v32, v32, v33
	v_div_scale_f32 v35, vcc_lo, v33, v32, v33
	s_delay_alu instid0(VALU_DEP_2) | instskip(SKIP_1) | instid1(TRANS32_DEP_1)
	v_rcp_f32_e32 v1, v0
	v_nop
	v_fma_f32 v34, -v0, v1, 1.0
	s_delay_alu instid0(VALU_DEP_1) | instskip(NEXT) | instid1(VALU_DEP_1)
	v_fmac_f32_e32 v1, v34, v1
	v_mul_f32_e32 v34, v35, v1
	s_delay_alu instid0(VALU_DEP_1) | instskip(NEXT) | instid1(VALU_DEP_1)
	v_fma_f32 v44, -v0, v34, v35
	v_fmac_f32_e32 v34, v44, v1
	s_delay_alu instid0(VALU_DEP_1) | instskip(NEXT) | instid1(VALU_DEP_1)
	v_fma_f32 v0, -v0, v34, v35
	v_div_fmas_f32 v0, v0, v1, v34
	s_delay_alu instid0(VALU_DEP_1) | instskip(NEXT) | instid1(VALU_DEP_1)
	v_div_fixup_f32 v0, v0, v32, v33
	v_fmac_f32_e32 v32, v33, v0
	s_delay_alu instid0(VALU_DEP_1) | instskip(NEXT) | instid1(VALU_DEP_1)
	v_div_scale_f32 v1, null, v32, v32, 1.0
	v_rcp_f32_e32 v33, v1
	v_nop
	s_delay_alu instid0(TRANS32_DEP_1) | instskip(NEXT) | instid1(VALU_DEP_1)
	v_fma_f32 v34, -v1, v33, 1.0
	v_fmac_f32_e32 v33, v34, v33
	v_div_scale_f32 v34, vcc_lo, 1.0, v32, 1.0
	s_delay_alu instid0(VALU_DEP_1) | instskip(NEXT) | instid1(VALU_DEP_1)
	v_mul_f32_e32 v35, v34, v33
	v_fma_f32 v44, -v1, v35, v34
	s_delay_alu instid0(VALU_DEP_1) | instskip(NEXT) | instid1(VALU_DEP_1)
	v_fmac_f32_e32 v35, v44, v33
	v_fma_f32 v1, -v1, v35, v34
	s_delay_alu instid0(VALU_DEP_1) | instskip(NEXT) | instid1(VALU_DEP_1)
	v_div_fmas_f32 v1, v1, v33, v35
	v_div_fixup_f32 v34, v1, v32, 1.0
	s_delay_alu instid0(VALU_DEP_1)
	v_mul_f32_e64 v35, v0, -v34
.LBB123_124:
	s_or_b32 exec_lo, exec_lo, s1
	ds_store_b64 v235, v[34:35]
.LBB123_125:
	s_or_b32 exec_lo, exec_lo, s2
	s_wait_dscnt 0x0
	s_barrier_signal -1
	s_barrier_wait -1
	ds_load_b64 v[32:33], v235
	s_mov_b32 s1, exec_lo
	v_cmpx_lt_u32_e32 13, v234
	s_cbranch_execz .LBB123_127
; %bb.126:
	ds_load_2addr_b64 v[50:53], v236 offset0:14 offset1:15
	s_wait_dscnt 0x1
	v_pk_mul_f32 v[44:45], v[32:33], v[62:63] op_sel:[1,1] op_sel_hi:[0,1]
	s_delay_alu instid0(VALU_DEP_1) | instskip(SKIP_1) | instid1(VALU_DEP_1)
	v_pk_fma_f32 v[34:35], v[32:33], v[62:63], v[44:45] op_sel_hi:[1,0,1] neg_lo:[0,0,1] neg_hi:[0,0,1]
	v_pk_fma_f32 v[44:45], v[32:33], v[62:63], v[44:45] op_sel_hi:[1,0,1]
	v_dual_mov_b32 v62, v34 :: v_dual_mov_b32 v63, v45
	s_wait_dscnt 0x0
	s_delay_alu instid0(VALU_DEP_2) | instskip(NEXT) | instid1(VALU_DEP_1)
	v_pk_mul_f32 v[54:55], v[50:51], v[44:45] op_sel:[0,1]
	v_pk_fma_f32 v[68:69], v[50:51], v[34:35], v[54:55] op_sel:[0,0,1] op_sel_hi:[1,1,0] neg_lo:[0,0,1] neg_hi:[0,0,1]
	v_pk_fma_f32 v[50:51], v[50:51], v[34:35], v[54:55] op_sel:[0,0,1] op_sel_hi:[1,0,0]
	s_delay_alu instid0(VALU_DEP_1) | instskip(SKIP_1) | instid1(VALU_DEP_1)
	v_mov_b32_e32 v69, v51
	v_pk_mul_f32 v[50:51], v[52:53], v[44:45] op_sel:[0,1]
	v_pk_fma_f32 v[54:55], v[52:53], v[34:35], v[50:51] op_sel:[0,0,1] op_sel_hi:[1,1,0] neg_lo:[0,0,1] neg_hi:[0,0,1]
	v_pk_fma_f32 v[50:51], v[52:53], v[34:35], v[50:51] op_sel:[0,0,1] op_sel_hi:[1,0,0]
	s_delay_alu instid0(VALU_DEP_1)
	v_mov_b32_e32 v55, v51
	ds_load_2addr_b64 v[50:53], v236 offset0:16 offset1:17
	v_pk_add_f32 v[64:65], v[64:65], v[68:69] neg_lo:[0,1] neg_hi:[0,1]
	v_pk_add_f32 v[60:61], v[60:61], v[54:55] neg_lo:[0,1] neg_hi:[0,1]
	s_wait_dscnt 0x0
	v_pk_mul_f32 v[54:55], v[50:51], v[44:45] op_sel:[0,1]
	s_delay_alu instid0(VALU_DEP_1) | instskip(SKIP_2) | instid1(VALU_DEP_2)
	v_pk_fma_f32 v[68:69], v[50:51], v[34:35], v[54:55] op_sel:[0,0,1] op_sel_hi:[1,1,0] neg_lo:[0,0,1] neg_hi:[0,0,1]
	v_pk_fma_f32 v[50:51], v[50:51], v[34:35], v[54:55] op_sel:[0,0,1] op_sel_hi:[1,0,0]
	v_dual_mul_f32 v54, v53, v45 :: v_dual_mov_b32 v50, v53
	v_dual_mov_b32 v69, v51 :: v_dual_mov_b32 v51, v52
	s_delay_alu instid0(VALU_DEP_2) | instskip(SKIP_1) | instid1(VALU_DEP_3)
	v_pk_fma_f32 v[54:55], v[52:53], v[62:63], v[54:55] op_sel_hi:[1,1,0] neg_lo:[0,0,1] neg_hi:[0,0,1]
	v_mul_f32_e32 v52, v53, v34
	v_pk_add_f32 v[82:83], v[82:83], v[68:69] neg_lo:[0,1] neg_hi:[0,1]
	s_delay_alu instid0(VALU_DEP_2) | instskip(NEXT) | instid1(VALU_DEP_1)
	v_pk_fma_f32 v[50:51], v[50:51], v[62:63], v[52:53] op_sel_hi:[1,1,0]
	v_mov_b32_e32 v55, v51
	ds_load_2addr_b64 v[50:53], v236 offset0:18 offset1:19
	v_pk_add_f32 v[78:79], v[78:79], v[54:55] neg_lo:[0,1] neg_hi:[0,1]
	s_wait_dscnt 0x0
	v_pk_mul_f32 v[54:55], v[50:51], v[44:45] op_sel:[0,1]
	s_delay_alu instid0(VALU_DEP_1) | instskip(SKIP_1) | instid1(VALU_DEP_1)
	v_pk_fma_f32 v[68:69], v[50:51], v[34:35], v[54:55] op_sel:[0,0,1] op_sel_hi:[1,1,0] neg_lo:[0,0,1] neg_hi:[0,0,1]
	v_pk_fma_f32 v[50:51], v[50:51], v[34:35], v[54:55] op_sel:[0,0,1] op_sel_hi:[1,0,0]
	v_mov_b32_e32 v69, v51
	v_pk_mul_f32 v[50:51], v[52:53], v[44:45] op_sel:[0,1]
	s_delay_alu instid0(VALU_DEP_1) | instskip(SKIP_1) | instid1(VALU_DEP_1)
	v_pk_fma_f32 v[54:55], v[52:53], v[34:35], v[50:51] op_sel:[0,0,1] op_sel_hi:[1,1,0] neg_lo:[0,0,1] neg_hi:[0,0,1]
	v_pk_fma_f32 v[50:51], v[52:53], v[34:35], v[50:51] op_sel:[0,0,1] op_sel_hi:[1,0,0]
	v_mov_b32_e32 v55, v51
	ds_load_2addr_b64 v[50:53], v236 offset0:20 offset1:21
	v_pk_add_f32 v[80:81], v[80:81], v[68:69] neg_lo:[0,1] neg_hi:[0,1]
	v_pk_add_f32 v[76:77], v[76:77], v[54:55] neg_lo:[0,1] neg_hi:[0,1]
	s_wait_dscnt 0x0
	v_pk_mul_f32 v[54:55], v[50:51], v[44:45] op_sel:[0,1]
	s_delay_alu instid0(VALU_DEP_1) | instskip(SKIP_1) | instid1(VALU_DEP_1)
	v_pk_fma_f32 v[68:69], v[50:51], v[34:35], v[54:55] op_sel:[0,0,1] op_sel_hi:[1,1,0] neg_lo:[0,0,1] neg_hi:[0,0,1]
	v_pk_fma_f32 v[50:51], v[50:51], v[34:35], v[54:55] op_sel:[0,0,1] op_sel_hi:[1,0,0]
	v_mov_b32_e32 v69, v51
	v_pk_mul_f32 v[50:51], v[52:53], v[44:45] op_sel:[0,1]
	s_delay_alu instid0(VALU_DEP_1) | instskip(SKIP_1) | instid1(VALU_DEP_1)
	v_pk_fma_f32 v[54:55], v[52:53], v[34:35], v[50:51] op_sel:[0,0,1] op_sel_hi:[1,1,0] neg_lo:[0,0,1] neg_hi:[0,0,1]
	v_pk_fma_f32 v[50:51], v[52:53], v[34:35], v[50:51] op_sel:[0,0,1] op_sel_hi:[1,0,0]
	v_mov_b32_e32 v55, v51
	ds_load_2addr_b64 v[50:53], v236 offset0:22 offset1:23
	v_pk_add_f32 v[98:99], v[98:99], v[68:69] neg_lo:[0,1] neg_hi:[0,1]
	v_pk_add_f32 v[94:95], v[94:95], v[54:55] neg_lo:[0,1] neg_hi:[0,1]
	s_wait_dscnt 0x0
	v_dual_mul_f32 v54, v51, v45 :: v_dual_mul_f32 v68, v51, v34
	s_delay_alu instid0(VALU_DEP_1) | instskip(NEXT) | instid1(VALU_DEP_2)
	v_pk_fma_f32 v[54:55], v[50:51], v[62:63], v[54:55] op_sel_hi:[1,1,0] neg_lo:[0,0,1] neg_hi:[0,0,1]
	v_pk_fma_f32 v[50:51], v[50:51], v[62:63], v[68:69] op_sel:[1,0,0] op_sel_hi:[0,1,0]
	s_delay_alu instid0(VALU_DEP_1) | instskip(SKIP_1) | instid1(VALU_DEP_2)
	v_mov_b32_e32 v55, v51
	v_pk_mul_f32 v[50:51], v[52:53], v[44:45] op_sel:[0,1]
	v_pk_add_f32 v[96:97], v[96:97], v[54:55] neg_lo:[0,1] neg_hi:[0,1]
	s_delay_alu instid0(VALU_DEP_2) | instskip(SKIP_1) | instid1(VALU_DEP_1)
	v_pk_fma_f32 v[54:55], v[52:53], v[34:35], v[50:51] op_sel:[0,0,1] op_sel_hi:[1,1,0] neg_lo:[0,0,1] neg_hi:[0,0,1]
	v_pk_fma_f32 v[50:51], v[52:53], v[34:35], v[50:51] op_sel:[0,0,1] op_sel_hi:[1,0,0]
	v_mov_b32_e32 v55, v51
	ds_load_2addr_b64 v[50:53], v236 offset0:24 offset1:25
	v_pk_add_f32 v[92:93], v[92:93], v[54:55] neg_lo:[0,1] neg_hi:[0,1]
	s_wait_dscnt 0x0
	v_pk_mul_f32 v[54:55], v[50:51], v[44:45] op_sel:[0,1]
	s_delay_alu instid0(VALU_DEP_1) | instskip(SKIP_1) | instid1(VALU_DEP_1)
	v_pk_fma_f32 v[68:69], v[50:51], v[34:35], v[54:55] op_sel:[0,0,1] op_sel_hi:[1,1,0] neg_lo:[0,0,1] neg_hi:[0,0,1]
	v_pk_fma_f32 v[50:51], v[50:51], v[34:35], v[54:55] op_sel:[0,0,1] op_sel_hi:[1,0,0]
	v_mov_b32_e32 v69, v51
	v_pk_mul_f32 v[50:51], v[52:53], v[44:45] op_sel:[0,1]
	s_delay_alu instid0(VALU_DEP_2) | instskip(NEXT) | instid1(VALU_DEP_2)
	v_pk_add_f32 v[114:115], v[114:115], v[68:69] neg_lo:[0,1] neg_hi:[0,1]
	v_pk_fma_f32 v[54:55], v[52:53], v[34:35], v[50:51] op_sel:[0,0,1] op_sel_hi:[1,1,0] neg_lo:[0,0,1] neg_hi:[0,0,1]
	v_pk_fma_f32 v[50:51], v[52:53], v[34:35], v[50:51] op_sel:[0,0,1] op_sel_hi:[1,0,0]
	s_delay_alu instid0(VALU_DEP_1) | instskip(SKIP_4) | instid1(VALU_DEP_1)
	v_mov_b32_e32 v55, v51
	ds_load_2addr_b64 v[50:53], v236 offset0:26 offset1:27
	v_pk_add_f32 v[110:111], v[110:111], v[54:55] neg_lo:[0,1] neg_hi:[0,1]
	s_wait_dscnt 0x0
	v_pk_mul_f32 v[54:55], v[50:51], v[44:45] op_sel:[0,1]
	v_pk_fma_f32 v[68:69], v[50:51], v[34:35], v[54:55] op_sel:[0,0,1] op_sel_hi:[1,1,0] neg_lo:[0,0,1] neg_hi:[0,0,1]
	v_pk_fma_f32 v[50:51], v[50:51], v[34:35], v[54:55] op_sel:[0,0,1] op_sel_hi:[1,0,0]
	v_dual_mul_f32 v54, v53, v45 :: v_dual_mov_b32 v50, v53
	s_delay_alu instid0(VALU_DEP_2) | instskip(NEXT) | instid1(VALU_DEP_2)
	v_dual_mov_b32 v69, v51 :: v_dual_mov_b32 v51, v52
	v_pk_fma_f32 v[54:55], v[52:53], v[62:63], v[54:55] op_sel_hi:[1,1,0] neg_lo:[0,0,1] neg_hi:[0,0,1]
	v_mul_f32_e32 v52, v53, v34
	s_delay_alu instid0(VALU_DEP_3) | instskip(NEXT) | instid1(VALU_DEP_2)
	v_pk_add_f32 v[112:113], v[112:113], v[68:69] neg_lo:[0,1] neg_hi:[0,1]
	v_pk_fma_f32 v[50:51], v[50:51], v[62:63], v[52:53] op_sel_hi:[1,1,0]
	s_delay_alu instid0(VALU_DEP_1) | instskip(SKIP_4) | instid1(VALU_DEP_1)
	v_mov_b32_e32 v55, v51
	ds_load_2addr_b64 v[50:53], v236 offset0:28 offset1:29
	v_pk_add_f32 v[108:109], v[108:109], v[54:55] neg_lo:[0,1] neg_hi:[0,1]
	s_wait_dscnt 0x0
	v_pk_mul_f32 v[54:55], v[50:51], v[44:45] op_sel:[0,1]
	v_pk_fma_f32 v[68:69], v[50:51], v[34:35], v[54:55] op_sel:[0,0,1] op_sel_hi:[1,1,0] neg_lo:[0,0,1] neg_hi:[0,0,1]
	v_pk_fma_f32 v[50:51], v[50:51], v[34:35], v[54:55] op_sel:[0,0,1] op_sel_hi:[1,0,0]
	s_delay_alu instid0(VALU_DEP_1) | instskip(SKIP_1) | instid1(VALU_DEP_1)
	v_mov_b32_e32 v69, v51
	v_pk_mul_f32 v[50:51], v[52:53], v[44:45] op_sel:[0,1]
	v_pk_fma_f32 v[54:55], v[52:53], v[34:35], v[50:51] op_sel:[0,0,1] op_sel_hi:[1,1,0] neg_lo:[0,0,1] neg_hi:[0,0,1]
	v_pk_fma_f32 v[50:51], v[52:53], v[34:35], v[50:51] op_sel:[0,0,1] op_sel_hi:[1,0,0]
	s_delay_alu instid0(VALU_DEP_1)
	v_mov_b32_e32 v55, v51
	ds_load_2addr_b64 v[50:53], v236 offset0:30 offset1:31
	v_pk_add_f32 v[130:131], v[130:131], v[68:69] neg_lo:[0,1] neg_hi:[0,1]
	v_pk_add_f32 v[126:127], v[126:127], v[54:55] neg_lo:[0,1] neg_hi:[0,1]
	s_wait_dscnt 0x0
	v_pk_mul_f32 v[54:55], v[50:51], v[44:45] op_sel:[0,1]
	s_delay_alu instid0(VALU_DEP_1) | instskip(SKIP_1) | instid1(VALU_DEP_1)
	v_pk_fma_f32 v[68:69], v[50:51], v[34:35], v[54:55] op_sel:[0,0,1] op_sel_hi:[1,1,0] neg_lo:[0,0,1] neg_hi:[0,0,1]
	v_pk_fma_f32 v[50:51], v[50:51], v[34:35], v[54:55] op_sel:[0,0,1] op_sel_hi:[1,0,0]
	v_mov_b32_e32 v69, v51
	v_pk_mul_f32 v[50:51], v[52:53], v[44:45] op_sel:[0,1]
	s_delay_alu instid0(VALU_DEP_1) | instskip(SKIP_1) | instid1(VALU_DEP_1)
	v_pk_fma_f32 v[54:55], v[52:53], v[34:35], v[50:51] op_sel:[0,0,1] op_sel_hi:[1,1,0] neg_lo:[0,0,1] neg_hi:[0,0,1]
	v_pk_fma_f32 v[50:51], v[52:53], v[34:35], v[50:51] op_sel:[0,0,1] op_sel_hi:[1,0,0]
	v_mov_b32_e32 v55, v51
	ds_load_2addr_b64 v[50:53], v236 offset0:32 offset1:33
	v_pk_add_f32 v[128:129], v[128:129], v[68:69] neg_lo:[0,1] neg_hi:[0,1]
	v_pk_add_f32 v[124:125], v[124:125], v[54:55] neg_lo:[0,1] neg_hi:[0,1]
	s_wait_dscnt 0x0
	v_dual_mul_f32 v54, v51, v45 :: v_dual_mul_f32 v68, v51, v34
	s_delay_alu instid0(VALU_DEP_1) | instskip(NEXT) | instid1(VALU_DEP_2)
	v_pk_fma_f32 v[54:55], v[50:51], v[62:63], v[54:55] op_sel_hi:[1,1,0] neg_lo:[0,0,1] neg_hi:[0,0,1]
	v_pk_fma_f32 v[50:51], v[50:51], v[62:63], v[68:69] op_sel:[1,0,0] op_sel_hi:[0,1,0]
	s_delay_alu instid0(VALU_DEP_1) | instskip(SKIP_1) | instid1(VALU_DEP_2)
	v_mov_b32_e32 v55, v51
	v_pk_mul_f32 v[50:51], v[52:53], v[44:45] op_sel:[0,1]
	v_pk_add_f32 v[146:147], v[146:147], v[54:55] neg_lo:[0,1] neg_hi:[0,1]
	s_delay_alu instid0(VALU_DEP_2) | instskip(SKIP_1) | instid1(VALU_DEP_1)
	v_pk_fma_f32 v[54:55], v[52:53], v[34:35], v[50:51] op_sel:[0,0,1] op_sel_hi:[1,1,0] neg_lo:[0,0,1] neg_hi:[0,0,1]
	v_pk_fma_f32 v[50:51], v[52:53], v[34:35], v[50:51] op_sel:[0,0,1] op_sel_hi:[1,0,0]
	v_mov_b32_e32 v55, v51
	ds_load_2addr_b64 v[50:53], v236 offset0:34 offset1:35
	v_pk_add_f32 v[142:143], v[142:143], v[54:55] neg_lo:[0,1] neg_hi:[0,1]
	s_wait_dscnt 0x0
	v_pk_mul_f32 v[54:55], v[50:51], v[44:45] op_sel:[0,1]
	s_delay_alu instid0(VALU_DEP_1) | instskip(SKIP_1) | instid1(VALU_DEP_1)
	v_pk_fma_f32 v[68:69], v[50:51], v[34:35], v[54:55] op_sel:[0,0,1] op_sel_hi:[1,1,0] neg_lo:[0,0,1] neg_hi:[0,0,1]
	v_pk_fma_f32 v[50:51], v[50:51], v[34:35], v[54:55] op_sel:[0,0,1] op_sel_hi:[1,0,0]
	v_mov_b32_e32 v69, v51
	v_pk_mul_f32 v[50:51], v[52:53], v[44:45] op_sel:[0,1]
	s_delay_alu instid0(VALU_DEP_2) | instskip(NEXT) | instid1(VALU_DEP_2)
	v_pk_add_f32 v[144:145], v[144:145], v[68:69] neg_lo:[0,1] neg_hi:[0,1]
	v_pk_fma_f32 v[54:55], v[52:53], v[34:35], v[50:51] op_sel:[0,0,1] op_sel_hi:[1,1,0] neg_lo:[0,0,1] neg_hi:[0,0,1]
	v_pk_fma_f32 v[50:51], v[52:53], v[34:35], v[50:51] op_sel:[0,0,1] op_sel_hi:[1,0,0]
	s_delay_alu instid0(VALU_DEP_1) | instskip(SKIP_4) | instid1(VALU_DEP_1)
	v_mov_b32_e32 v55, v51
	ds_load_2addr_b64 v[50:53], v236 offset0:36 offset1:37
	v_pk_add_f32 v[140:141], v[140:141], v[54:55] neg_lo:[0,1] neg_hi:[0,1]
	s_wait_dscnt 0x0
	v_pk_mul_f32 v[54:55], v[50:51], v[44:45] op_sel:[0,1]
	v_pk_fma_f32 v[68:69], v[50:51], v[34:35], v[54:55] op_sel:[0,0,1] op_sel_hi:[1,1,0] neg_lo:[0,0,1] neg_hi:[0,0,1]
	v_pk_fma_f32 v[50:51], v[50:51], v[34:35], v[54:55] op_sel:[0,0,1] op_sel_hi:[1,0,0]
	v_dual_mul_f32 v54, v53, v45 :: v_dual_mov_b32 v50, v53
	s_delay_alu instid0(VALU_DEP_2) | instskip(NEXT) | instid1(VALU_DEP_2)
	v_dual_mov_b32 v69, v51 :: v_dual_mov_b32 v51, v52
	v_pk_fma_f32 v[54:55], v[52:53], v[62:63], v[54:55] op_sel_hi:[1,1,0] neg_lo:[0,0,1] neg_hi:[0,0,1]
	v_mul_f32_e32 v52, v53, v34
	s_delay_alu instid0(VALU_DEP_3) | instskip(NEXT) | instid1(VALU_DEP_2)
	v_pk_add_f32 v[162:163], v[162:163], v[68:69] neg_lo:[0,1] neg_hi:[0,1]
	v_pk_fma_f32 v[50:51], v[50:51], v[62:63], v[52:53] op_sel_hi:[1,1,0]
	s_delay_alu instid0(VALU_DEP_1) | instskip(SKIP_4) | instid1(VALU_DEP_1)
	v_mov_b32_e32 v55, v51
	ds_load_2addr_b64 v[50:53], v236 offset0:38 offset1:39
	v_pk_add_f32 v[158:159], v[158:159], v[54:55] neg_lo:[0,1] neg_hi:[0,1]
	s_wait_dscnt 0x0
	v_pk_mul_f32 v[54:55], v[50:51], v[44:45] op_sel:[0,1]
	v_pk_fma_f32 v[68:69], v[50:51], v[34:35], v[54:55] op_sel:[0,0,1] op_sel_hi:[1,1,0] neg_lo:[0,0,1] neg_hi:[0,0,1]
	v_pk_fma_f32 v[50:51], v[50:51], v[34:35], v[54:55] op_sel:[0,0,1] op_sel_hi:[1,0,0]
	s_delay_alu instid0(VALU_DEP_1) | instskip(SKIP_1) | instid1(VALU_DEP_1)
	v_mov_b32_e32 v69, v51
	v_pk_mul_f32 v[50:51], v[52:53], v[44:45] op_sel:[0,1]
	v_pk_fma_f32 v[54:55], v[52:53], v[34:35], v[50:51] op_sel:[0,0,1] op_sel_hi:[1,1,0] neg_lo:[0,0,1] neg_hi:[0,0,1]
	v_pk_fma_f32 v[50:51], v[52:53], v[34:35], v[50:51] op_sel:[0,0,1] op_sel_hi:[1,0,0]
	s_delay_alu instid0(VALU_DEP_1)
	v_mov_b32_e32 v55, v51
	ds_load_2addr_b64 v[50:53], v236 offset0:40 offset1:41
	v_pk_add_f32 v[160:161], v[160:161], v[68:69] neg_lo:[0,1] neg_hi:[0,1]
	v_pk_add_f32 v[156:157], v[156:157], v[54:55] neg_lo:[0,1] neg_hi:[0,1]
	s_wait_dscnt 0x0
	v_pk_mul_f32 v[54:55], v[50:51], v[44:45] op_sel:[0,1]
	s_delay_alu instid0(VALU_DEP_1) | instskip(SKIP_1) | instid1(VALU_DEP_1)
	v_pk_fma_f32 v[68:69], v[50:51], v[34:35], v[54:55] op_sel:[0,0,1] op_sel_hi:[1,1,0] neg_lo:[0,0,1] neg_hi:[0,0,1]
	v_pk_fma_f32 v[50:51], v[50:51], v[34:35], v[54:55] op_sel:[0,0,1] op_sel_hi:[1,0,0]
	v_mov_b32_e32 v69, v51
	v_pk_mul_f32 v[50:51], v[52:53], v[44:45] op_sel:[0,1]
	s_delay_alu instid0(VALU_DEP_1) | instskip(SKIP_1) | instid1(VALU_DEP_1)
	v_pk_fma_f32 v[54:55], v[52:53], v[34:35], v[50:51] op_sel:[0,0,1] op_sel_hi:[1,1,0] neg_lo:[0,0,1] neg_hi:[0,0,1]
	v_pk_fma_f32 v[50:51], v[52:53], v[34:35], v[50:51] op_sel:[0,0,1] op_sel_hi:[1,0,0]
	v_mov_b32_e32 v55, v51
	ds_load_2addr_b64 v[50:53], v236 offset0:42 offset1:43
	v_pk_add_f32 v[178:179], v[178:179], v[68:69] neg_lo:[0,1] neg_hi:[0,1]
	v_pk_add_f32 v[174:175], v[174:175], v[54:55] neg_lo:[0,1] neg_hi:[0,1]
	s_wait_dscnt 0x0
	v_dual_mul_f32 v54, v51, v45 :: v_dual_mul_f32 v68, v51, v34
	s_delay_alu instid0(VALU_DEP_1) | instskip(NEXT) | instid1(VALU_DEP_2)
	v_pk_fma_f32 v[54:55], v[50:51], v[62:63], v[54:55] op_sel_hi:[1,1,0] neg_lo:[0,0,1] neg_hi:[0,0,1]
	v_pk_fma_f32 v[50:51], v[50:51], v[62:63], v[68:69] op_sel:[1,0,0] op_sel_hi:[0,1,0]
	s_delay_alu instid0(VALU_DEP_1) | instskip(SKIP_1) | instid1(VALU_DEP_2)
	v_mov_b32_e32 v55, v51
	v_pk_mul_f32 v[50:51], v[52:53], v[44:45] op_sel:[0,1]
	v_pk_add_f32 v[176:177], v[176:177], v[54:55] neg_lo:[0,1] neg_hi:[0,1]
	s_delay_alu instid0(VALU_DEP_2) | instskip(SKIP_1) | instid1(VALU_DEP_1)
	v_pk_fma_f32 v[54:55], v[52:53], v[34:35], v[50:51] op_sel:[0,0,1] op_sel_hi:[1,1,0] neg_lo:[0,0,1] neg_hi:[0,0,1]
	v_pk_fma_f32 v[50:51], v[52:53], v[34:35], v[50:51] op_sel:[0,0,1] op_sel_hi:[1,0,0]
	v_mov_b32_e32 v55, v51
	ds_load_2addr_b64 v[50:53], v236 offset0:44 offset1:45
	v_pk_add_f32 v[172:173], v[172:173], v[54:55] neg_lo:[0,1] neg_hi:[0,1]
	s_wait_dscnt 0x0
	v_pk_mul_f32 v[54:55], v[50:51], v[44:45] op_sel:[0,1]
	s_delay_alu instid0(VALU_DEP_1) | instskip(SKIP_1) | instid1(VALU_DEP_1)
	v_pk_fma_f32 v[68:69], v[50:51], v[34:35], v[54:55] op_sel:[0,0,1] op_sel_hi:[1,1,0] neg_lo:[0,0,1] neg_hi:[0,0,1]
	v_pk_fma_f32 v[50:51], v[50:51], v[34:35], v[54:55] op_sel:[0,0,1] op_sel_hi:[1,0,0]
	v_mov_b32_e32 v69, v51
	v_pk_mul_f32 v[50:51], v[52:53], v[44:45] op_sel:[0,1]
	s_delay_alu instid0(VALU_DEP_2) | instskip(NEXT) | instid1(VALU_DEP_2)
	v_pk_add_f32 v[194:195], v[194:195], v[68:69] neg_lo:[0,1] neg_hi:[0,1]
	v_pk_fma_f32 v[54:55], v[52:53], v[34:35], v[50:51] op_sel:[0,0,1] op_sel_hi:[1,1,0] neg_lo:[0,0,1] neg_hi:[0,0,1]
	v_pk_fma_f32 v[50:51], v[52:53], v[34:35], v[50:51] op_sel:[0,0,1] op_sel_hi:[1,0,0]
	s_delay_alu instid0(VALU_DEP_1) | instskip(SKIP_4) | instid1(VALU_DEP_1)
	v_mov_b32_e32 v55, v51
	ds_load_2addr_b64 v[50:53], v236 offset0:46 offset1:47
	v_pk_add_f32 v[190:191], v[190:191], v[54:55] neg_lo:[0,1] neg_hi:[0,1]
	s_wait_dscnt 0x0
	v_pk_mul_f32 v[54:55], v[50:51], v[44:45] op_sel:[0,1]
	v_pk_fma_f32 v[68:69], v[50:51], v[34:35], v[54:55] op_sel:[0,0,1] op_sel_hi:[1,1,0] neg_lo:[0,0,1] neg_hi:[0,0,1]
	v_pk_fma_f32 v[50:51], v[50:51], v[34:35], v[54:55] op_sel:[0,0,1] op_sel_hi:[1,0,0]
	v_dual_mul_f32 v54, v53, v45 :: v_dual_mov_b32 v50, v53
	s_delay_alu instid0(VALU_DEP_2) | instskip(NEXT) | instid1(VALU_DEP_2)
	v_dual_mov_b32 v69, v51 :: v_dual_mov_b32 v51, v52
	v_pk_fma_f32 v[54:55], v[52:53], v[62:63], v[54:55] op_sel_hi:[1,1,0] neg_lo:[0,0,1] neg_hi:[0,0,1]
	v_mul_f32_e32 v52, v53, v34
	s_delay_alu instid0(VALU_DEP_3) | instskip(NEXT) | instid1(VALU_DEP_2)
	v_pk_add_f32 v[192:193], v[192:193], v[68:69] neg_lo:[0,1] neg_hi:[0,1]
	v_pk_fma_f32 v[50:51], v[50:51], v[62:63], v[52:53] op_sel_hi:[1,1,0]
	s_delay_alu instid0(VALU_DEP_1) | instskip(SKIP_4) | instid1(VALU_DEP_1)
	v_mov_b32_e32 v55, v51
	ds_load_2addr_b64 v[50:53], v236 offset0:48 offset1:49
	v_pk_add_f32 v[188:189], v[188:189], v[54:55] neg_lo:[0,1] neg_hi:[0,1]
	s_wait_dscnt 0x0
	v_pk_mul_f32 v[54:55], v[50:51], v[44:45] op_sel:[0,1]
	v_pk_fma_f32 v[68:69], v[50:51], v[34:35], v[54:55] op_sel:[0,0,1] op_sel_hi:[1,1,0] neg_lo:[0,0,1] neg_hi:[0,0,1]
	v_pk_fma_f32 v[50:51], v[50:51], v[34:35], v[54:55] op_sel:[0,0,1] op_sel_hi:[1,0,0]
	s_delay_alu instid0(VALU_DEP_1) | instskip(SKIP_1) | instid1(VALU_DEP_1)
	v_mov_b32_e32 v69, v51
	v_pk_mul_f32 v[50:51], v[52:53], v[44:45] op_sel:[0,1]
	v_pk_fma_f32 v[54:55], v[52:53], v[34:35], v[50:51] op_sel:[0,0,1] op_sel_hi:[1,1,0] neg_lo:[0,0,1] neg_hi:[0,0,1]
	v_pk_fma_f32 v[50:51], v[52:53], v[34:35], v[50:51] op_sel:[0,0,1] op_sel_hi:[1,0,0]
	s_delay_alu instid0(VALU_DEP_1)
	v_mov_b32_e32 v55, v51
	ds_load_2addr_b64 v[50:53], v236 offset0:50 offset1:51
	v_pk_add_f32 v[210:211], v[210:211], v[68:69] neg_lo:[0,1] neg_hi:[0,1]
	v_pk_add_f32 v[206:207], v[206:207], v[54:55] neg_lo:[0,1] neg_hi:[0,1]
	s_wait_dscnt 0x0
	v_pk_mul_f32 v[54:55], v[50:51], v[44:45] op_sel:[0,1]
	s_delay_alu instid0(VALU_DEP_1) | instskip(SKIP_1) | instid1(VALU_DEP_1)
	v_pk_fma_f32 v[68:69], v[50:51], v[34:35], v[54:55] op_sel:[0,0,1] op_sel_hi:[1,1,0] neg_lo:[0,0,1] neg_hi:[0,0,1]
	v_pk_fma_f32 v[50:51], v[50:51], v[34:35], v[54:55] op_sel:[0,0,1] op_sel_hi:[1,0,0]
	v_mov_b32_e32 v69, v51
	v_pk_mul_f32 v[50:51], v[52:53], v[44:45] op_sel:[0,1]
	s_delay_alu instid0(VALU_DEP_1) | instskip(SKIP_1) | instid1(VALU_DEP_1)
	v_pk_fma_f32 v[54:55], v[52:53], v[34:35], v[50:51] op_sel:[0,0,1] op_sel_hi:[1,1,0] neg_lo:[0,0,1] neg_hi:[0,0,1]
	v_pk_fma_f32 v[50:51], v[52:53], v[34:35], v[50:51] op_sel:[0,0,1] op_sel_hi:[1,0,0]
	v_mov_b32_e32 v55, v51
	ds_load_2addr_b64 v[50:53], v236 offset0:52 offset1:53
	v_pk_add_f32 v[208:209], v[208:209], v[68:69] neg_lo:[0,1] neg_hi:[0,1]
	v_pk_add_f32 v[204:205], v[204:205], v[54:55] neg_lo:[0,1] neg_hi:[0,1]
	s_wait_dscnt 0x0
	v_dual_mul_f32 v54, v51, v45 :: v_dual_mul_f32 v68, v51, v34
	s_delay_alu instid0(VALU_DEP_1) | instskip(NEXT) | instid1(VALU_DEP_2)
	v_pk_fma_f32 v[54:55], v[50:51], v[62:63], v[54:55] op_sel_hi:[1,1,0] neg_lo:[0,0,1] neg_hi:[0,0,1]
	v_pk_fma_f32 v[50:51], v[50:51], v[62:63], v[68:69] op_sel:[1,0,0] op_sel_hi:[0,1,0]
	s_delay_alu instid0(VALU_DEP_1) | instskip(SKIP_1) | instid1(VALU_DEP_2)
	v_mov_b32_e32 v55, v51
	v_pk_mul_f32 v[50:51], v[52:53], v[44:45] op_sel:[0,1]
	v_pk_add_f32 v[228:229], v[228:229], v[54:55] neg_lo:[0,1] neg_hi:[0,1]
	s_delay_alu instid0(VALU_DEP_2) | instskip(SKIP_1) | instid1(VALU_DEP_1)
	v_pk_fma_f32 v[54:55], v[52:53], v[34:35], v[50:51] op_sel:[0,0,1] op_sel_hi:[1,1,0] neg_lo:[0,0,1] neg_hi:[0,0,1]
	v_pk_fma_f32 v[50:51], v[52:53], v[34:35], v[50:51] op_sel:[0,0,1] op_sel_hi:[1,0,0]
	v_mov_b32_e32 v55, v51
	ds_load_2addr_b64 v[50:53], v236 offset0:54 offset1:55
	v_pk_add_f32 v[224:225], v[224:225], v[54:55] neg_lo:[0,1] neg_hi:[0,1]
	s_wait_dscnt 0x0
	v_pk_mul_f32 v[54:55], v[50:51], v[44:45] op_sel:[0,1]
	s_delay_alu instid0(VALU_DEP_1) | instskip(SKIP_1) | instid1(VALU_DEP_1)
	v_pk_fma_f32 v[68:69], v[50:51], v[34:35], v[54:55] op_sel:[0,0,1] op_sel_hi:[1,1,0] neg_lo:[0,0,1] neg_hi:[0,0,1]
	v_pk_fma_f32 v[50:51], v[50:51], v[34:35], v[54:55] op_sel:[0,0,1] op_sel_hi:[1,0,0]
	v_mov_b32_e32 v69, v51
	v_pk_mul_f32 v[50:51], v[52:53], v[44:45] op_sel:[0,1]
	s_delay_alu instid0(VALU_DEP_2) | instskip(NEXT) | instid1(VALU_DEP_2)
	v_pk_add_f32 v[226:227], v[226:227], v[68:69] neg_lo:[0,1] neg_hi:[0,1]
	v_pk_fma_f32 v[54:55], v[52:53], v[34:35], v[50:51] op_sel:[0,0,1] op_sel_hi:[1,1,0] neg_lo:[0,0,1] neg_hi:[0,0,1]
	v_pk_fma_f32 v[50:51], v[52:53], v[34:35], v[50:51] op_sel:[0,0,1] op_sel_hi:[1,0,0]
	s_delay_alu instid0(VALU_DEP_1) | instskip(SKIP_4) | instid1(VALU_DEP_1)
	v_mov_b32_e32 v55, v51
	ds_load_2addr_b64 v[50:53], v236 offset0:56 offset1:57
	v_pk_add_f32 v[222:223], v[222:223], v[54:55] neg_lo:[0,1] neg_hi:[0,1]
	s_wait_dscnt 0x0
	v_pk_mul_f32 v[54:55], v[50:51], v[44:45] op_sel:[0,1]
	v_pk_fma_f32 v[68:69], v[50:51], v[34:35], v[54:55] op_sel:[0,0,1] op_sel_hi:[1,1,0] neg_lo:[0,0,1] neg_hi:[0,0,1]
	v_pk_fma_f32 v[50:51], v[50:51], v[34:35], v[54:55] op_sel:[0,0,1] op_sel_hi:[1,0,0]
	v_dual_mul_f32 v54, v53, v45 :: v_dual_mov_b32 v50, v53
	s_delay_alu instid0(VALU_DEP_2) | instskip(NEXT) | instid1(VALU_DEP_2)
	v_dual_mov_b32 v69, v51 :: v_dual_mov_b32 v51, v52
	v_pk_fma_f32 v[54:55], v[52:53], v[62:63], v[54:55] op_sel_hi:[1,1,0] neg_lo:[0,0,1] neg_hi:[0,0,1]
	v_mul_f32_e32 v52, v53, v34
	s_delay_alu instid0(VALU_DEP_3) | instskip(NEXT) | instid1(VALU_DEP_2)
	v_pk_add_f32 v[244:245], v[244:245], v[68:69] neg_lo:[0,1] neg_hi:[0,1]
	v_pk_fma_f32 v[50:51], v[50:51], v[62:63], v[52:53] op_sel_hi:[1,1,0]
	s_delay_alu instid0(VALU_DEP_1) | instskip(SKIP_4) | instid1(VALU_DEP_1)
	v_mov_b32_e32 v55, v51
	ds_load_2addr_b64 v[50:53], v236 offset0:58 offset1:59
	v_pk_add_f32 v[240:241], v[240:241], v[54:55] neg_lo:[0,1] neg_hi:[0,1]
	s_wait_dscnt 0x0
	v_pk_mul_f32 v[54:55], v[50:51], v[44:45] op_sel:[0,1]
	v_pk_fma_f32 v[68:69], v[50:51], v[34:35], v[54:55] op_sel:[0,0,1] op_sel_hi:[1,1,0] neg_lo:[0,0,1] neg_hi:[0,0,1]
	v_pk_fma_f32 v[50:51], v[50:51], v[34:35], v[54:55] op_sel:[0,0,1] op_sel_hi:[1,0,0]
	s_delay_alu instid0(VALU_DEP_1) | instskip(SKIP_1) | instid1(VALU_DEP_1)
	v_mov_b32_e32 v69, v51
	v_pk_mul_f32 v[50:51], v[52:53], v[44:45] op_sel:[0,1]
	v_pk_fma_f32 v[54:55], v[52:53], v[34:35], v[50:51] op_sel:[0,0,1] op_sel_hi:[1,1,0] neg_lo:[0,0,1] neg_hi:[0,0,1]
	v_pk_fma_f32 v[50:51], v[52:53], v[34:35], v[50:51] op_sel:[0,0,1] op_sel_hi:[1,0,0]
	s_delay_alu instid0(VALU_DEP_1)
	v_mov_b32_e32 v55, v51
	ds_load_2addr_b64 v[50:53], v236 offset0:60 offset1:61
	v_pk_add_f32 v[242:243], v[242:243], v[68:69] neg_lo:[0,1] neg_hi:[0,1]
	v_pk_add_f32 v[238:239], v[238:239], v[54:55] neg_lo:[0,1] neg_hi:[0,1]
	s_wait_dscnt 0x0
	v_pk_mul_f32 v[54:55], v[50:51], v[44:45] op_sel:[0,1]
	v_mul_f32_e32 v44, v53, v45
	s_delay_alu instid0(VALU_DEP_2) | instskip(SKIP_2) | instid1(VALU_DEP_4)
	v_pk_fma_f32 v[68:69], v[50:51], v[34:35], v[54:55] op_sel:[0,0,1] op_sel_hi:[1,1,0] neg_lo:[0,0,1] neg_hi:[0,0,1]
	v_pk_fma_f32 v[50:51], v[50:51], v[34:35], v[54:55] op_sel:[0,0,1] op_sel_hi:[1,0,0]
	v_dual_mov_b32 v50, v53 :: v_dual_mul_f32 v34, v53, v34
	v_pk_fma_f32 v[44:45], v[52:53], v[62:63], v[44:45] op_sel_hi:[1,1,0] neg_lo:[0,0,1] neg_hi:[0,0,1]
	s_delay_alu instid0(VALU_DEP_3) | instskip(NEXT) | instid1(VALU_DEP_1)
	v_dual_mov_b32 v69, v51 :: v_dual_mov_b32 v51, v52
	v_pk_add_f32 v[246:247], v[246:247], v[68:69] neg_lo:[0,1] neg_hi:[0,1]
	s_delay_alu instid0(VALU_DEP_2) | instskip(NEXT) | instid1(VALU_DEP_1)
	v_pk_fma_f32 v[34:35], v[50:51], v[62:63], v[34:35] op_sel_hi:[1,1,0]
	v_mov_b32_e32 v45, v35
	s_delay_alu instid0(VALU_DEP_1)
	v_pk_add_f32 v[248:249], v[248:249], v[44:45] neg_lo:[0,1] neg_hi:[0,1]
.LBB123_127:
	s_or_b32 exec_lo, exec_lo, s1
	s_delay_alu instid0(SALU_CYCLE_1)
	s_mov_b32 s2, exec_lo
	s_wait_dscnt 0x0
	s_barrier_signal -1
	s_barrier_wait -1
	v_cmpx_eq_u32_e32 14, v234
	s_cbranch_execz .LBB123_134
; %bb.128:
	ds_store_b64 v235, v[64:65]
	ds_store_2addr_b64 v236, v[60:61], v[82:83] offset0:15 offset1:16
	ds_store_2addr_b64 v236, v[78:79], v[80:81] offset0:17 offset1:18
	;; [unrolled: 1-line block ×23, first 2 shown]
	ds_store_b64 v236, v[248:249] offset:488
	ds_load_b64 v[34:35], v235
	s_wait_dscnt 0x0
	v_cmp_neq_f32_e32 vcc_lo, 0, v34
	v_cmp_neq_f32_e64 s1, 0, v35
	s_or_b32 s1, vcc_lo, s1
	s_delay_alu instid0(SALU_CYCLE_1)
	s_and_b32 exec_lo, exec_lo, s1
	s_cbranch_execz .LBB123_134
; %bb.129:
	v_cmp_ngt_f32_e64 s1, |v34|, |v35|
                                        ; implicit-def: $vgpr44_vgpr45
	s_and_saveexec_b32 s4, s1
	s_delay_alu instid0(SALU_CYCLE_1)
	s_xor_b32 s1, exec_lo, s4
	s_cbranch_execz .LBB123_131
; %bb.130:
	v_div_scale_f32 v0, null, v35, v35, v34
	v_div_scale_f32 v45, vcc_lo, v34, v35, v34
	s_delay_alu instid0(VALU_DEP_2) | instskip(SKIP_1) | instid1(TRANS32_DEP_1)
	v_rcp_f32_e32 v1, v0
	v_nop
	v_fma_f32 v44, -v0, v1, 1.0
	s_delay_alu instid0(VALU_DEP_1) | instskip(NEXT) | instid1(VALU_DEP_1)
	v_fmac_f32_e32 v1, v44, v1
	v_mul_f32_e32 v44, v45, v1
	s_delay_alu instid0(VALU_DEP_1) | instskip(NEXT) | instid1(VALU_DEP_1)
	v_fma_f32 v50, -v0, v44, v45
	v_fmac_f32_e32 v44, v50, v1
	s_delay_alu instid0(VALU_DEP_1) | instskip(NEXT) | instid1(VALU_DEP_1)
	v_fma_f32 v0, -v0, v44, v45
	v_div_fmas_f32 v0, v0, v1, v44
	s_delay_alu instid0(VALU_DEP_1) | instskip(NEXT) | instid1(VALU_DEP_1)
	v_div_fixup_f32 v0, v0, v35, v34
	v_fmac_f32_e32 v35, v34, v0
	s_delay_alu instid0(VALU_DEP_1) | instskip(SKIP_1) | instid1(VALU_DEP_2)
	v_div_scale_f32 v1, null, v35, v35, 1.0
	v_div_scale_f32 v45, vcc_lo, 1.0, v35, 1.0
	v_rcp_f32_e32 v34, v1
	v_nop
	s_delay_alu instid0(TRANS32_DEP_1) | instskip(NEXT) | instid1(VALU_DEP_1)
	v_fma_f32 v44, -v1, v34, 1.0
	v_fmac_f32_e32 v34, v44, v34
	s_delay_alu instid0(VALU_DEP_1) | instskip(NEXT) | instid1(VALU_DEP_1)
	v_mul_f32_e32 v44, v45, v34
	v_fma_f32 v50, -v1, v44, v45
	s_delay_alu instid0(VALU_DEP_1) | instskip(NEXT) | instid1(VALU_DEP_1)
	v_fmac_f32_e32 v44, v50, v34
	v_fma_f32 v1, -v1, v44, v45
	s_delay_alu instid0(VALU_DEP_1) | instskip(NEXT) | instid1(VALU_DEP_1)
	v_div_fmas_f32 v1, v1, v34, v44
	v_div_fixup_f32 v1, v1, v35, 1.0
                                        ; implicit-def: $vgpr34_vgpr35
	s_delay_alu instid0(VALU_DEP_1)
	v_mul_f32_e32 v44, v0, v1
	v_xor_b32_e32 v45, 0x80000000, v1
.LBB123_131:
	s_and_not1_saveexec_b32 s1, s1
	s_cbranch_execz .LBB123_133
; %bb.132:
	v_div_scale_f32 v0, null, v34, v34, v35
	v_div_scale_f32 v45, vcc_lo, v35, v34, v35
	s_delay_alu instid0(VALU_DEP_2) | instskip(SKIP_1) | instid1(TRANS32_DEP_1)
	v_rcp_f32_e32 v1, v0
	v_nop
	v_fma_f32 v44, -v0, v1, 1.0
	s_delay_alu instid0(VALU_DEP_1) | instskip(NEXT) | instid1(VALU_DEP_1)
	v_fmac_f32_e32 v1, v44, v1
	v_mul_f32_e32 v44, v45, v1
	s_delay_alu instid0(VALU_DEP_1) | instskip(NEXT) | instid1(VALU_DEP_1)
	v_fma_f32 v50, -v0, v44, v45
	v_fmac_f32_e32 v44, v50, v1
	s_delay_alu instid0(VALU_DEP_1) | instskip(NEXT) | instid1(VALU_DEP_1)
	v_fma_f32 v0, -v0, v44, v45
	v_div_fmas_f32 v0, v0, v1, v44
	s_delay_alu instid0(VALU_DEP_1) | instskip(NEXT) | instid1(VALU_DEP_1)
	v_div_fixup_f32 v0, v0, v34, v35
	v_fmac_f32_e32 v34, v35, v0
	s_delay_alu instid0(VALU_DEP_1) | instskip(NEXT) | instid1(VALU_DEP_1)
	v_div_scale_f32 v1, null, v34, v34, 1.0
	v_rcp_f32_e32 v35, v1
	v_nop
	s_delay_alu instid0(TRANS32_DEP_1) | instskip(NEXT) | instid1(VALU_DEP_1)
	v_fma_f32 v44, -v1, v35, 1.0
	v_fmac_f32_e32 v35, v44, v35
	v_div_scale_f32 v44, vcc_lo, 1.0, v34, 1.0
	s_delay_alu instid0(VALU_DEP_1) | instskip(NEXT) | instid1(VALU_DEP_1)
	v_mul_f32_e32 v45, v44, v35
	v_fma_f32 v50, -v1, v45, v44
	s_delay_alu instid0(VALU_DEP_1) | instskip(NEXT) | instid1(VALU_DEP_1)
	v_fmac_f32_e32 v45, v50, v35
	v_fma_f32 v1, -v1, v45, v44
	s_delay_alu instid0(VALU_DEP_1) | instskip(NEXT) | instid1(VALU_DEP_1)
	v_div_fmas_f32 v1, v1, v35, v45
	v_div_fixup_f32 v44, v1, v34, 1.0
	s_delay_alu instid0(VALU_DEP_1)
	v_mul_f32_e64 v45, v0, -v44
.LBB123_133:
	s_or_b32 exec_lo, exec_lo, s1
	ds_store_b64 v235, v[44:45]
.LBB123_134:
	s_or_b32 exec_lo, exec_lo, s2
	s_wait_dscnt 0x0
	s_barrier_signal -1
	s_barrier_wait -1
	ds_load_b64 v[34:35], v235
	s_mov_b32 s1, exec_lo
	v_cmpx_lt_u32_e32 14, v234
	s_cbranch_execz .LBB123_136
; %bb.135:
	ds_load_2addr_b64 v[52:55], v236 offset0:15 offset1:16
	s_wait_dscnt 0x1
	v_pk_mul_f32 v[50:51], v[34:35], v[64:65] op_sel:[1,1] op_sel_hi:[0,1]
	s_delay_alu instid0(VALU_DEP_1) | instskip(SKIP_1) | instid1(VALU_DEP_1)
	v_pk_fma_f32 v[44:45], v[34:35], v[64:65], v[50:51] op_sel_hi:[1,0,1] neg_lo:[0,0,1] neg_hi:[0,0,1]
	v_pk_fma_f32 v[50:51], v[34:35], v[64:65], v[50:51] op_sel_hi:[1,0,1]
	v_dual_mov_b32 v64, v44 :: v_dual_mov_b32 v65, v51
	s_wait_dscnt 0x0
	s_delay_alu instid0(VALU_DEP_2) | instskip(NEXT) | instid1(VALU_DEP_1)
	v_pk_mul_f32 v[68:69], v[52:53], v[50:51] op_sel:[0,1]
	v_pk_fma_f32 v[70:71], v[52:53], v[44:45], v[68:69] op_sel:[0,0,1] op_sel_hi:[1,1,0] neg_lo:[0,0,1] neg_hi:[0,0,1]
	v_pk_fma_f32 v[52:53], v[52:53], v[44:45], v[68:69] op_sel:[0,0,1] op_sel_hi:[1,0,0]
	s_delay_alu instid0(VALU_DEP_1) | instskip(SKIP_1) | instid1(VALU_DEP_1)
	v_mov_b32_e32 v71, v53
	v_pk_mul_f32 v[52:53], v[54:55], v[50:51] op_sel:[0,1]
	v_pk_fma_f32 v[68:69], v[54:55], v[44:45], v[52:53] op_sel:[0,0,1] op_sel_hi:[1,1,0] neg_lo:[0,0,1] neg_hi:[0,0,1]
	v_pk_fma_f32 v[52:53], v[54:55], v[44:45], v[52:53] op_sel:[0,0,1] op_sel_hi:[1,0,0]
	s_delay_alu instid0(VALU_DEP_1)
	v_mov_b32_e32 v69, v53
	ds_load_2addr_b64 v[52:55], v236 offset0:17 offset1:18
	v_pk_add_f32 v[60:61], v[60:61], v[70:71] neg_lo:[0,1] neg_hi:[0,1]
	v_pk_add_f32 v[82:83], v[82:83], v[68:69] neg_lo:[0,1] neg_hi:[0,1]
	s_wait_dscnt 0x0
	v_pk_mul_f32 v[68:69], v[52:53], v[50:51] op_sel:[0,1]
	s_delay_alu instid0(VALU_DEP_1) | instskip(SKIP_2) | instid1(VALU_DEP_2)
	v_pk_fma_f32 v[70:71], v[52:53], v[44:45], v[68:69] op_sel:[0,0,1] op_sel_hi:[1,1,0] neg_lo:[0,0,1] neg_hi:[0,0,1]
	v_pk_fma_f32 v[52:53], v[52:53], v[44:45], v[68:69] op_sel:[0,0,1] op_sel_hi:[1,0,0]
	v_dual_mul_f32 v68, v55, v51 :: v_dual_mov_b32 v52, v55
	v_dual_mov_b32 v71, v53 :: v_dual_mov_b32 v53, v54
	s_delay_alu instid0(VALU_DEP_2) | instskip(SKIP_1) | instid1(VALU_DEP_3)
	v_pk_fma_f32 v[68:69], v[54:55], v[64:65], v[68:69] op_sel_hi:[1,1,0] neg_lo:[0,0,1] neg_hi:[0,0,1]
	v_mul_f32_e32 v54, v55, v44
	v_pk_add_f32 v[78:79], v[78:79], v[70:71] neg_lo:[0,1] neg_hi:[0,1]
	s_delay_alu instid0(VALU_DEP_2) | instskip(NEXT) | instid1(VALU_DEP_1)
	v_pk_fma_f32 v[52:53], v[52:53], v[64:65], v[54:55] op_sel_hi:[1,1,0]
	v_mov_b32_e32 v69, v53
	ds_load_2addr_b64 v[52:55], v236 offset0:19 offset1:20
	v_pk_add_f32 v[80:81], v[80:81], v[68:69] neg_lo:[0,1] neg_hi:[0,1]
	s_wait_dscnt 0x0
	v_pk_mul_f32 v[68:69], v[52:53], v[50:51] op_sel:[0,1]
	s_delay_alu instid0(VALU_DEP_1) | instskip(SKIP_1) | instid1(VALU_DEP_1)
	v_pk_fma_f32 v[70:71], v[52:53], v[44:45], v[68:69] op_sel:[0,0,1] op_sel_hi:[1,1,0] neg_lo:[0,0,1] neg_hi:[0,0,1]
	v_pk_fma_f32 v[52:53], v[52:53], v[44:45], v[68:69] op_sel:[0,0,1] op_sel_hi:[1,0,0]
	v_mov_b32_e32 v71, v53
	v_pk_mul_f32 v[52:53], v[54:55], v[50:51] op_sel:[0,1]
	s_delay_alu instid0(VALU_DEP_1) | instskip(SKIP_1) | instid1(VALU_DEP_1)
	v_pk_fma_f32 v[68:69], v[54:55], v[44:45], v[52:53] op_sel:[0,0,1] op_sel_hi:[1,1,0] neg_lo:[0,0,1] neg_hi:[0,0,1]
	v_pk_fma_f32 v[52:53], v[54:55], v[44:45], v[52:53] op_sel:[0,0,1] op_sel_hi:[1,0,0]
	v_mov_b32_e32 v69, v53
	ds_load_2addr_b64 v[52:55], v236 offset0:21 offset1:22
	v_pk_add_f32 v[76:77], v[76:77], v[70:71] neg_lo:[0,1] neg_hi:[0,1]
	v_pk_add_f32 v[98:99], v[98:99], v[68:69] neg_lo:[0,1] neg_hi:[0,1]
	s_wait_dscnt 0x0
	v_pk_mul_f32 v[68:69], v[52:53], v[50:51] op_sel:[0,1]
	s_delay_alu instid0(VALU_DEP_1) | instskip(SKIP_1) | instid1(VALU_DEP_1)
	v_pk_fma_f32 v[70:71], v[52:53], v[44:45], v[68:69] op_sel:[0,0,1] op_sel_hi:[1,1,0] neg_lo:[0,0,1] neg_hi:[0,0,1]
	v_pk_fma_f32 v[52:53], v[52:53], v[44:45], v[68:69] op_sel:[0,0,1] op_sel_hi:[1,0,0]
	v_mov_b32_e32 v71, v53
	v_pk_mul_f32 v[52:53], v[54:55], v[50:51] op_sel:[0,1]
	s_delay_alu instid0(VALU_DEP_1) | instskip(SKIP_1) | instid1(VALU_DEP_1)
	v_pk_fma_f32 v[68:69], v[54:55], v[44:45], v[52:53] op_sel:[0,0,1] op_sel_hi:[1,1,0] neg_lo:[0,0,1] neg_hi:[0,0,1]
	v_pk_fma_f32 v[52:53], v[54:55], v[44:45], v[52:53] op_sel:[0,0,1] op_sel_hi:[1,0,0]
	v_mov_b32_e32 v69, v53
	ds_load_2addr_b64 v[52:55], v236 offset0:23 offset1:24
	v_pk_add_f32 v[94:95], v[94:95], v[70:71] neg_lo:[0,1] neg_hi:[0,1]
	v_pk_add_f32 v[96:97], v[96:97], v[68:69] neg_lo:[0,1] neg_hi:[0,1]
	s_wait_dscnt 0x0
	v_dual_mul_f32 v68, v53, v51 :: v_dual_mul_f32 v70, v53, v44
	s_delay_alu instid0(VALU_DEP_1) | instskip(NEXT) | instid1(VALU_DEP_2)
	v_pk_fma_f32 v[68:69], v[52:53], v[64:65], v[68:69] op_sel_hi:[1,1,0] neg_lo:[0,0,1] neg_hi:[0,0,1]
	v_pk_fma_f32 v[52:53], v[52:53], v[64:65], v[70:71] op_sel:[1,0,0] op_sel_hi:[0,1,0]
	s_delay_alu instid0(VALU_DEP_1) | instskip(SKIP_1) | instid1(VALU_DEP_2)
	v_mov_b32_e32 v69, v53
	v_pk_mul_f32 v[52:53], v[54:55], v[50:51] op_sel:[0,1]
	v_pk_add_f32 v[92:93], v[92:93], v[68:69] neg_lo:[0,1] neg_hi:[0,1]
	s_delay_alu instid0(VALU_DEP_2) | instskip(SKIP_1) | instid1(VALU_DEP_1)
	v_pk_fma_f32 v[68:69], v[54:55], v[44:45], v[52:53] op_sel:[0,0,1] op_sel_hi:[1,1,0] neg_lo:[0,0,1] neg_hi:[0,0,1]
	v_pk_fma_f32 v[52:53], v[54:55], v[44:45], v[52:53] op_sel:[0,0,1] op_sel_hi:[1,0,0]
	v_mov_b32_e32 v69, v53
	ds_load_2addr_b64 v[52:55], v236 offset0:25 offset1:26
	v_pk_add_f32 v[114:115], v[114:115], v[68:69] neg_lo:[0,1] neg_hi:[0,1]
	s_wait_dscnt 0x0
	v_pk_mul_f32 v[68:69], v[52:53], v[50:51] op_sel:[0,1]
	s_delay_alu instid0(VALU_DEP_1) | instskip(SKIP_1) | instid1(VALU_DEP_1)
	v_pk_fma_f32 v[70:71], v[52:53], v[44:45], v[68:69] op_sel:[0,0,1] op_sel_hi:[1,1,0] neg_lo:[0,0,1] neg_hi:[0,0,1]
	v_pk_fma_f32 v[52:53], v[52:53], v[44:45], v[68:69] op_sel:[0,0,1] op_sel_hi:[1,0,0]
	v_mov_b32_e32 v71, v53
	v_pk_mul_f32 v[52:53], v[54:55], v[50:51] op_sel:[0,1]
	s_delay_alu instid0(VALU_DEP_2) | instskip(NEXT) | instid1(VALU_DEP_2)
	v_pk_add_f32 v[110:111], v[110:111], v[70:71] neg_lo:[0,1] neg_hi:[0,1]
	v_pk_fma_f32 v[68:69], v[54:55], v[44:45], v[52:53] op_sel:[0,0,1] op_sel_hi:[1,1,0] neg_lo:[0,0,1] neg_hi:[0,0,1]
	v_pk_fma_f32 v[52:53], v[54:55], v[44:45], v[52:53] op_sel:[0,0,1] op_sel_hi:[1,0,0]
	s_delay_alu instid0(VALU_DEP_1) | instskip(SKIP_4) | instid1(VALU_DEP_1)
	v_mov_b32_e32 v69, v53
	ds_load_2addr_b64 v[52:55], v236 offset0:27 offset1:28
	v_pk_add_f32 v[112:113], v[112:113], v[68:69] neg_lo:[0,1] neg_hi:[0,1]
	s_wait_dscnt 0x0
	v_pk_mul_f32 v[68:69], v[52:53], v[50:51] op_sel:[0,1]
	v_pk_fma_f32 v[70:71], v[52:53], v[44:45], v[68:69] op_sel:[0,0,1] op_sel_hi:[1,1,0] neg_lo:[0,0,1] neg_hi:[0,0,1]
	v_pk_fma_f32 v[52:53], v[52:53], v[44:45], v[68:69] op_sel:[0,0,1] op_sel_hi:[1,0,0]
	v_dual_mul_f32 v68, v55, v51 :: v_dual_mov_b32 v52, v55
	s_delay_alu instid0(VALU_DEP_2) | instskip(NEXT) | instid1(VALU_DEP_2)
	v_dual_mov_b32 v71, v53 :: v_dual_mov_b32 v53, v54
	v_pk_fma_f32 v[68:69], v[54:55], v[64:65], v[68:69] op_sel_hi:[1,1,0] neg_lo:[0,0,1] neg_hi:[0,0,1]
	v_mul_f32_e32 v54, v55, v44
	s_delay_alu instid0(VALU_DEP_3) | instskip(NEXT) | instid1(VALU_DEP_2)
	v_pk_add_f32 v[108:109], v[108:109], v[70:71] neg_lo:[0,1] neg_hi:[0,1]
	v_pk_fma_f32 v[52:53], v[52:53], v[64:65], v[54:55] op_sel_hi:[1,1,0]
	s_delay_alu instid0(VALU_DEP_1) | instskip(SKIP_4) | instid1(VALU_DEP_1)
	v_mov_b32_e32 v69, v53
	ds_load_2addr_b64 v[52:55], v236 offset0:29 offset1:30
	v_pk_add_f32 v[130:131], v[130:131], v[68:69] neg_lo:[0,1] neg_hi:[0,1]
	s_wait_dscnt 0x0
	v_pk_mul_f32 v[68:69], v[52:53], v[50:51] op_sel:[0,1]
	v_pk_fma_f32 v[70:71], v[52:53], v[44:45], v[68:69] op_sel:[0,0,1] op_sel_hi:[1,1,0] neg_lo:[0,0,1] neg_hi:[0,0,1]
	v_pk_fma_f32 v[52:53], v[52:53], v[44:45], v[68:69] op_sel:[0,0,1] op_sel_hi:[1,0,0]
	s_delay_alu instid0(VALU_DEP_1) | instskip(SKIP_1) | instid1(VALU_DEP_1)
	v_mov_b32_e32 v71, v53
	v_pk_mul_f32 v[52:53], v[54:55], v[50:51] op_sel:[0,1]
	v_pk_fma_f32 v[68:69], v[54:55], v[44:45], v[52:53] op_sel:[0,0,1] op_sel_hi:[1,1,0] neg_lo:[0,0,1] neg_hi:[0,0,1]
	v_pk_fma_f32 v[52:53], v[54:55], v[44:45], v[52:53] op_sel:[0,0,1] op_sel_hi:[1,0,0]
	s_delay_alu instid0(VALU_DEP_1)
	v_mov_b32_e32 v69, v53
	ds_load_2addr_b64 v[52:55], v236 offset0:31 offset1:32
	v_pk_add_f32 v[126:127], v[126:127], v[70:71] neg_lo:[0,1] neg_hi:[0,1]
	v_pk_add_f32 v[128:129], v[128:129], v[68:69] neg_lo:[0,1] neg_hi:[0,1]
	s_wait_dscnt 0x0
	v_pk_mul_f32 v[68:69], v[52:53], v[50:51] op_sel:[0,1]
	s_delay_alu instid0(VALU_DEP_1) | instskip(SKIP_1) | instid1(VALU_DEP_1)
	v_pk_fma_f32 v[70:71], v[52:53], v[44:45], v[68:69] op_sel:[0,0,1] op_sel_hi:[1,1,0] neg_lo:[0,0,1] neg_hi:[0,0,1]
	v_pk_fma_f32 v[52:53], v[52:53], v[44:45], v[68:69] op_sel:[0,0,1] op_sel_hi:[1,0,0]
	v_mov_b32_e32 v71, v53
	v_pk_mul_f32 v[52:53], v[54:55], v[50:51] op_sel:[0,1]
	s_delay_alu instid0(VALU_DEP_1) | instskip(SKIP_1) | instid1(VALU_DEP_1)
	v_pk_fma_f32 v[68:69], v[54:55], v[44:45], v[52:53] op_sel:[0,0,1] op_sel_hi:[1,1,0] neg_lo:[0,0,1] neg_hi:[0,0,1]
	v_pk_fma_f32 v[52:53], v[54:55], v[44:45], v[52:53] op_sel:[0,0,1] op_sel_hi:[1,0,0]
	v_mov_b32_e32 v69, v53
	ds_load_2addr_b64 v[52:55], v236 offset0:33 offset1:34
	v_pk_add_f32 v[124:125], v[124:125], v[70:71] neg_lo:[0,1] neg_hi:[0,1]
	v_pk_add_f32 v[146:147], v[146:147], v[68:69] neg_lo:[0,1] neg_hi:[0,1]
	s_wait_dscnt 0x0
	v_dual_mul_f32 v68, v53, v51 :: v_dual_mul_f32 v70, v53, v44
	s_delay_alu instid0(VALU_DEP_1) | instskip(NEXT) | instid1(VALU_DEP_2)
	v_pk_fma_f32 v[68:69], v[52:53], v[64:65], v[68:69] op_sel_hi:[1,1,0] neg_lo:[0,0,1] neg_hi:[0,0,1]
	v_pk_fma_f32 v[52:53], v[52:53], v[64:65], v[70:71] op_sel:[1,0,0] op_sel_hi:[0,1,0]
	s_delay_alu instid0(VALU_DEP_1) | instskip(SKIP_1) | instid1(VALU_DEP_2)
	v_mov_b32_e32 v69, v53
	v_pk_mul_f32 v[52:53], v[54:55], v[50:51] op_sel:[0,1]
	v_pk_add_f32 v[142:143], v[142:143], v[68:69] neg_lo:[0,1] neg_hi:[0,1]
	s_delay_alu instid0(VALU_DEP_2) | instskip(SKIP_1) | instid1(VALU_DEP_1)
	v_pk_fma_f32 v[68:69], v[54:55], v[44:45], v[52:53] op_sel:[0,0,1] op_sel_hi:[1,1,0] neg_lo:[0,0,1] neg_hi:[0,0,1]
	v_pk_fma_f32 v[52:53], v[54:55], v[44:45], v[52:53] op_sel:[0,0,1] op_sel_hi:[1,0,0]
	v_mov_b32_e32 v69, v53
	ds_load_2addr_b64 v[52:55], v236 offset0:35 offset1:36
	v_pk_add_f32 v[144:145], v[144:145], v[68:69] neg_lo:[0,1] neg_hi:[0,1]
	s_wait_dscnt 0x0
	v_pk_mul_f32 v[68:69], v[52:53], v[50:51] op_sel:[0,1]
	s_delay_alu instid0(VALU_DEP_1) | instskip(SKIP_1) | instid1(VALU_DEP_1)
	v_pk_fma_f32 v[70:71], v[52:53], v[44:45], v[68:69] op_sel:[0,0,1] op_sel_hi:[1,1,0] neg_lo:[0,0,1] neg_hi:[0,0,1]
	v_pk_fma_f32 v[52:53], v[52:53], v[44:45], v[68:69] op_sel:[0,0,1] op_sel_hi:[1,0,0]
	v_mov_b32_e32 v71, v53
	v_pk_mul_f32 v[52:53], v[54:55], v[50:51] op_sel:[0,1]
	s_delay_alu instid0(VALU_DEP_2) | instskip(NEXT) | instid1(VALU_DEP_2)
	v_pk_add_f32 v[140:141], v[140:141], v[70:71] neg_lo:[0,1] neg_hi:[0,1]
	v_pk_fma_f32 v[68:69], v[54:55], v[44:45], v[52:53] op_sel:[0,0,1] op_sel_hi:[1,1,0] neg_lo:[0,0,1] neg_hi:[0,0,1]
	v_pk_fma_f32 v[52:53], v[54:55], v[44:45], v[52:53] op_sel:[0,0,1] op_sel_hi:[1,0,0]
	s_delay_alu instid0(VALU_DEP_1) | instskip(SKIP_4) | instid1(VALU_DEP_1)
	v_mov_b32_e32 v69, v53
	ds_load_2addr_b64 v[52:55], v236 offset0:37 offset1:38
	v_pk_add_f32 v[162:163], v[162:163], v[68:69] neg_lo:[0,1] neg_hi:[0,1]
	s_wait_dscnt 0x0
	v_pk_mul_f32 v[68:69], v[52:53], v[50:51] op_sel:[0,1]
	v_pk_fma_f32 v[70:71], v[52:53], v[44:45], v[68:69] op_sel:[0,0,1] op_sel_hi:[1,1,0] neg_lo:[0,0,1] neg_hi:[0,0,1]
	v_pk_fma_f32 v[52:53], v[52:53], v[44:45], v[68:69] op_sel:[0,0,1] op_sel_hi:[1,0,0]
	v_dual_mul_f32 v68, v55, v51 :: v_dual_mov_b32 v52, v55
	s_delay_alu instid0(VALU_DEP_2) | instskip(NEXT) | instid1(VALU_DEP_2)
	v_dual_mov_b32 v71, v53 :: v_dual_mov_b32 v53, v54
	v_pk_fma_f32 v[68:69], v[54:55], v[64:65], v[68:69] op_sel_hi:[1,1,0] neg_lo:[0,0,1] neg_hi:[0,0,1]
	v_mul_f32_e32 v54, v55, v44
	s_delay_alu instid0(VALU_DEP_3) | instskip(NEXT) | instid1(VALU_DEP_2)
	v_pk_add_f32 v[158:159], v[158:159], v[70:71] neg_lo:[0,1] neg_hi:[0,1]
	v_pk_fma_f32 v[52:53], v[52:53], v[64:65], v[54:55] op_sel_hi:[1,1,0]
	s_delay_alu instid0(VALU_DEP_1) | instskip(SKIP_4) | instid1(VALU_DEP_1)
	v_mov_b32_e32 v69, v53
	ds_load_2addr_b64 v[52:55], v236 offset0:39 offset1:40
	v_pk_add_f32 v[160:161], v[160:161], v[68:69] neg_lo:[0,1] neg_hi:[0,1]
	s_wait_dscnt 0x0
	v_pk_mul_f32 v[68:69], v[52:53], v[50:51] op_sel:[0,1]
	v_pk_fma_f32 v[70:71], v[52:53], v[44:45], v[68:69] op_sel:[0,0,1] op_sel_hi:[1,1,0] neg_lo:[0,0,1] neg_hi:[0,0,1]
	v_pk_fma_f32 v[52:53], v[52:53], v[44:45], v[68:69] op_sel:[0,0,1] op_sel_hi:[1,0,0]
	s_delay_alu instid0(VALU_DEP_1) | instskip(SKIP_1) | instid1(VALU_DEP_1)
	v_mov_b32_e32 v71, v53
	v_pk_mul_f32 v[52:53], v[54:55], v[50:51] op_sel:[0,1]
	v_pk_fma_f32 v[68:69], v[54:55], v[44:45], v[52:53] op_sel:[0,0,1] op_sel_hi:[1,1,0] neg_lo:[0,0,1] neg_hi:[0,0,1]
	v_pk_fma_f32 v[52:53], v[54:55], v[44:45], v[52:53] op_sel:[0,0,1] op_sel_hi:[1,0,0]
	s_delay_alu instid0(VALU_DEP_1)
	v_mov_b32_e32 v69, v53
	ds_load_2addr_b64 v[52:55], v236 offset0:41 offset1:42
	v_pk_add_f32 v[156:157], v[156:157], v[70:71] neg_lo:[0,1] neg_hi:[0,1]
	v_pk_add_f32 v[178:179], v[178:179], v[68:69] neg_lo:[0,1] neg_hi:[0,1]
	s_wait_dscnt 0x0
	v_pk_mul_f32 v[68:69], v[52:53], v[50:51] op_sel:[0,1]
	s_delay_alu instid0(VALU_DEP_1) | instskip(SKIP_1) | instid1(VALU_DEP_1)
	v_pk_fma_f32 v[70:71], v[52:53], v[44:45], v[68:69] op_sel:[0,0,1] op_sel_hi:[1,1,0] neg_lo:[0,0,1] neg_hi:[0,0,1]
	v_pk_fma_f32 v[52:53], v[52:53], v[44:45], v[68:69] op_sel:[0,0,1] op_sel_hi:[1,0,0]
	v_mov_b32_e32 v71, v53
	v_pk_mul_f32 v[52:53], v[54:55], v[50:51] op_sel:[0,1]
	s_delay_alu instid0(VALU_DEP_1) | instskip(SKIP_1) | instid1(VALU_DEP_1)
	v_pk_fma_f32 v[68:69], v[54:55], v[44:45], v[52:53] op_sel:[0,0,1] op_sel_hi:[1,1,0] neg_lo:[0,0,1] neg_hi:[0,0,1]
	v_pk_fma_f32 v[52:53], v[54:55], v[44:45], v[52:53] op_sel:[0,0,1] op_sel_hi:[1,0,0]
	v_mov_b32_e32 v69, v53
	ds_load_2addr_b64 v[52:55], v236 offset0:43 offset1:44
	v_pk_add_f32 v[174:175], v[174:175], v[70:71] neg_lo:[0,1] neg_hi:[0,1]
	v_pk_add_f32 v[176:177], v[176:177], v[68:69] neg_lo:[0,1] neg_hi:[0,1]
	s_wait_dscnt 0x0
	v_dual_mul_f32 v68, v53, v51 :: v_dual_mul_f32 v70, v53, v44
	s_delay_alu instid0(VALU_DEP_1) | instskip(NEXT) | instid1(VALU_DEP_2)
	v_pk_fma_f32 v[68:69], v[52:53], v[64:65], v[68:69] op_sel_hi:[1,1,0] neg_lo:[0,0,1] neg_hi:[0,0,1]
	v_pk_fma_f32 v[52:53], v[52:53], v[64:65], v[70:71] op_sel:[1,0,0] op_sel_hi:[0,1,0]
	s_delay_alu instid0(VALU_DEP_1) | instskip(SKIP_1) | instid1(VALU_DEP_2)
	v_mov_b32_e32 v69, v53
	v_pk_mul_f32 v[52:53], v[54:55], v[50:51] op_sel:[0,1]
	v_pk_add_f32 v[172:173], v[172:173], v[68:69] neg_lo:[0,1] neg_hi:[0,1]
	s_delay_alu instid0(VALU_DEP_2) | instskip(SKIP_1) | instid1(VALU_DEP_1)
	v_pk_fma_f32 v[68:69], v[54:55], v[44:45], v[52:53] op_sel:[0,0,1] op_sel_hi:[1,1,0] neg_lo:[0,0,1] neg_hi:[0,0,1]
	v_pk_fma_f32 v[52:53], v[54:55], v[44:45], v[52:53] op_sel:[0,0,1] op_sel_hi:[1,0,0]
	v_mov_b32_e32 v69, v53
	ds_load_2addr_b64 v[52:55], v236 offset0:45 offset1:46
	v_pk_add_f32 v[194:195], v[194:195], v[68:69] neg_lo:[0,1] neg_hi:[0,1]
	s_wait_dscnt 0x0
	v_pk_mul_f32 v[68:69], v[52:53], v[50:51] op_sel:[0,1]
	s_delay_alu instid0(VALU_DEP_1) | instskip(SKIP_1) | instid1(VALU_DEP_1)
	v_pk_fma_f32 v[70:71], v[52:53], v[44:45], v[68:69] op_sel:[0,0,1] op_sel_hi:[1,1,0] neg_lo:[0,0,1] neg_hi:[0,0,1]
	v_pk_fma_f32 v[52:53], v[52:53], v[44:45], v[68:69] op_sel:[0,0,1] op_sel_hi:[1,0,0]
	v_mov_b32_e32 v71, v53
	v_pk_mul_f32 v[52:53], v[54:55], v[50:51] op_sel:[0,1]
	s_delay_alu instid0(VALU_DEP_2) | instskip(NEXT) | instid1(VALU_DEP_2)
	v_pk_add_f32 v[190:191], v[190:191], v[70:71] neg_lo:[0,1] neg_hi:[0,1]
	v_pk_fma_f32 v[68:69], v[54:55], v[44:45], v[52:53] op_sel:[0,0,1] op_sel_hi:[1,1,0] neg_lo:[0,0,1] neg_hi:[0,0,1]
	v_pk_fma_f32 v[52:53], v[54:55], v[44:45], v[52:53] op_sel:[0,0,1] op_sel_hi:[1,0,0]
	s_delay_alu instid0(VALU_DEP_1) | instskip(SKIP_4) | instid1(VALU_DEP_1)
	v_mov_b32_e32 v69, v53
	ds_load_2addr_b64 v[52:55], v236 offset0:47 offset1:48
	v_pk_add_f32 v[192:193], v[192:193], v[68:69] neg_lo:[0,1] neg_hi:[0,1]
	s_wait_dscnt 0x0
	v_pk_mul_f32 v[68:69], v[52:53], v[50:51] op_sel:[0,1]
	v_pk_fma_f32 v[70:71], v[52:53], v[44:45], v[68:69] op_sel:[0,0,1] op_sel_hi:[1,1,0] neg_lo:[0,0,1] neg_hi:[0,0,1]
	v_pk_fma_f32 v[52:53], v[52:53], v[44:45], v[68:69] op_sel:[0,0,1] op_sel_hi:[1,0,0]
	v_dual_mul_f32 v68, v55, v51 :: v_dual_mov_b32 v52, v55
	s_delay_alu instid0(VALU_DEP_2) | instskip(NEXT) | instid1(VALU_DEP_2)
	v_dual_mov_b32 v71, v53 :: v_dual_mov_b32 v53, v54
	v_pk_fma_f32 v[68:69], v[54:55], v[64:65], v[68:69] op_sel_hi:[1,1,0] neg_lo:[0,0,1] neg_hi:[0,0,1]
	v_mul_f32_e32 v54, v55, v44
	s_delay_alu instid0(VALU_DEP_3) | instskip(NEXT) | instid1(VALU_DEP_2)
	v_pk_add_f32 v[188:189], v[188:189], v[70:71] neg_lo:[0,1] neg_hi:[0,1]
	v_pk_fma_f32 v[52:53], v[52:53], v[64:65], v[54:55] op_sel_hi:[1,1,0]
	s_delay_alu instid0(VALU_DEP_1) | instskip(SKIP_4) | instid1(VALU_DEP_1)
	v_mov_b32_e32 v69, v53
	ds_load_2addr_b64 v[52:55], v236 offset0:49 offset1:50
	v_pk_add_f32 v[210:211], v[210:211], v[68:69] neg_lo:[0,1] neg_hi:[0,1]
	s_wait_dscnt 0x0
	v_pk_mul_f32 v[68:69], v[52:53], v[50:51] op_sel:[0,1]
	v_pk_fma_f32 v[70:71], v[52:53], v[44:45], v[68:69] op_sel:[0,0,1] op_sel_hi:[1,1,0] neg_lo:[0,0,1] neg_hi:[0,0,1]
	v_pk_fma_f32 v[52:53], v[52:53], v[44:45], v[68:69] op_sel:[0,0,1] op_sel_hi:[1,0,0]
	s_delay_alu instid0(VALU_DEP_1) | instskip(SKIP_1) | instid1(VALU_DEP_1)
	v_mov_b32_e32 v71, v53
	v_pk_mul_f32 v[52:53], v[54:55], v[50:51] op_sel:[0,1]
	v_pk_fma_f32 v[68:69], v[54:55], v[44:45], v[52:53] op_sel:[0,0,1] op_sel_hi:[1,1,0] neg_lo:[0,0,1] neg_hi:[0,0,1]
	v_pk_fma_f32 v[52:53], v[54:55], v[44:45], v[52:53] op_sel:[0,0,1] op_sel_hi:[1,0,0]
	s_delay_alu instid0(VALU_DEP_1)
	v_mov_b32_e32 v69, v53
	ds_load_2addr_b64 v[52:55], v236 offset0:51 offset1:52
	v_pk_add_f32 v[206:207], v[206:207], v[70:71] neg_lo:[0,1] neg_hi:[0,1]
	v_pk_add_f32 v[208:209], v[208:209], v[68:69] neg_lo:[0,1] neg_hi:[0,1]
	s_wait_dscnt 0x0
	v_pk_mul_f32 v[68:69], v[52:53], v[50:51] op_sel:[0,1]
	s_delay_alu instid0(VALU_DEP_1) | instskip(SKIP_1) | instid1(VALU_DEP_1)
	v_pk_fma_f32 v[70:71], v[52:53], v[44:45], v[68:69] op_sel:[0,0,1] op_sel_hi:[1,1,0] neg_lo:[0,0,1] neg_hi:[0,0,1]
	v_pk_fma_f32 v[52:53], v[52:53], v[44:45], v[68:69] op_sel:[0,0,1] op_sel_hi:[1,0,0]
	v_mov_b32_e32 v71, v53
	v_pk_mul_f32 v[52:53], v[54:55], v[50:51] op_sel:[0,1]
	s_delay_alu instid0(VALU_DEP_1) | instskip(SKIP_1) | instid1(VALU_DEP_1)
	v_pk_fma_f32 v[68:69], v[54:55], v[44:45], v[52:53] op_sel:[0,0,1] op_sel_hi:[1,1,0] neg_lo:[0,0,1] neg_hi:[0,0,1]
	v_pk_fma_f32 v[52:53], v[54:55], v[44:45], v[52:53] op_sel:[0,0,1] op_sel_hi:[1,0,0]
	v_mov_b32_e32 v69, v53
	ds_load_2addr_b64 v[52:55], v236 offset0:53 offset1:54
	v_pk_add_f32 v[204:205], v[204:205], v[70:71] neg_lo:[0,1] neg_hi:[0,1]
	v_pk_add_f32 v[228:229], v[228:229], v[68:69] neg_lo:[0,1] neg_hi:[0,1]
	s_wait_dscnt 0x0
	v_dual_mul_f32 v68, v53, v51 :: v_dual_mul_f32 v70, v53, v44
	s_delay_alu instid0(VALU_DEP_1) | instskip(NEXT) | instid1(VALU_DEP_2)
	v_pk_fma_f32 v[68:69], v[52:53], v[64:65], v[68:69] op_sel_hi:[1,1,0] neg_lo:[0,0,1] neg_hi:[0,0,1]
	v_pk_fma_f32 v[52:53], v[52:53], v[64:65], v[70:71] op_sel:[1,0,0] op_sel_hi:[0,1,0]
	s_delay_alu instid0(VALU_DEP_1) | instskip(SKIP_1) | instid1(VALU_DEP_2)
	v_mov_b32_e32 v69, v53
	v_pk_mul_f32 v[52:53], v[54:55], v[50:51] op_sel:[0,1]
	v_pk_add_f32 v[224:225], v[224:225], v[68:69] neg_lo:[0,1] neg_hi:[0,1]
	s_delay_alu instid0(VALU_DEP_2) | instskip(SKIP_1) | instid1(VALU_DEP_1)
	v_pk_fma_f32 v[68:69], v[54:55], v[44:45], v[52:53] op_sel:[0,0,1] op_sel_hi:[1,1,0] neg_lo:[0,0,1] neg_hi:[0,0,1]
	v_pk_fma_f32 v[52:53], v[54:55], v[44:45], v[52:53] op_sel:[0,0,1] op_sel_hi:[1,0,0]
	v_mov_b32_e32 v69, v53
	ds_load_2addr_b64 v[52:55], v236 offset0:55 offset1:56
	v_pk_add_f32 v[226:227], v[226:227], v[68:69] neg_lo:[0,1] neg_hi:[0,1]
	s_wait_dscnt 0x0
	v_pk_mul_f32 v[68:69], v[52:53], v[50:51] op_sel:[0,1]
	s_delay_alu instid0(VALU_DEP_1) | instskip(SKIP_1) | instid1(VALU_DEP_1)
	v_pk_fma_f32 v[70:71], v[52:53], v[44:45], v[68:69] op_sel:[0,0,1] op_sel_hi:[1,1,0] neg_lo:[0,0,1] neg_hi:[0,0,1]
	v_pk_fma_f32 v[52:53], v[52:53], v[44:45], v[68:69] op_sel:[0,0,1] op_sel_hi:[1,0,0]
	v_mov_b32_e32 v71, v53
	v_pk_mul_f32 v[52:53], v[54:55], v[50:51] op_sel:[0,1]
	s_delay_alu instid0(VALU_DEP_2) | instskip(NEXT) | instid1(VALU_DEP_2)
	v_pk_add_f32 v[222:223], v[222:223], v[70:71] neg_lo:[0,1] neg_hi:[0,1]
	v_pk_fma_f32 v[68:69], v[54:55], v[44:45], v[52:53] op_sel:[0,0,1] op_sel_hi:[1,1,0] neg_lo:[0,0,1] neg_hi:[0,0,1]
	v_pk_fma_f32 v[52:53], v[54:55], v[44:45], v[52:53] op_sel:[0,0,1] op_sel_hi:[1,0,0]
	s_delay_alu instid0(VALU_DEP_1) | instskip(SKIP_4) | instid1(VALU_DEP_1)
	v_mov_b32_e32 v69, v53
	ds_load_2addr_b64 v[52:55], v236 offset0:57 offset1:58
	v_pk_add_f32 v[244:245], v[244:245], v[68:69] neg_lo:[0,1] neg_hi:[0,1]
	s_wait_dscnt 0x0
	v_pk_mul_f32 v[68:69], v[52:53], v[50:51] op_sel:[0,1]
	v_pk_fma_f32 v[70:71], v[52:53], v[44:45], v[68:69] op_sel:[0,0,1] op_sel_hi:[1,1,0] neg_lo:[0,0,1] neg_hi:[0,0,1]
	v_pk_fma_f32 v[52:53], v[52:53], v[44:45], v[68:69] op_sel:[0,0,1] op_sel_hi:[1,0,0]
	v_dual_mul_f32 v68, v55, v51 :: v_dual_mov_b32 v52, v55
	s_delay_alu instid0(VALU_DEP_2) | instskip(NEXT) | instid1(VALU_DEP_2)
	v_dual_mov_b32 v71, v53 :: v_dual_mov_b32 v53, v54
	v_pk_fma_f32 v[68:69], v[54:55], v[64:65], v[68:69] op_sel_hi:[1,1,0] neg_lo:[0,0,1] neg_hi:[0,0,1]
	v_mul_f32_e32 v54, v55, v44
	s_delay_alu instid0(VALU_DEP_3) | instskip(NEXT) | instid1(VALU_DEP_2)
	v_pk_add_f32 v[240:241], v[240:241], v[70:71] neg_lo:[0,1] neg_hi:[0,1]
	v_pk_fma_f32 v[52:53], v[52:53], v[64:65], v[54:55] op_sel_hi:[1,1,0]
	s_delay_alu instid0(VALU_DEP_1) | instskip(SKIP_4) | instid1(VALU_DEP_1)
	v_mov_b32_e32 v69, v53
	ds_load_2addr_b64 v[52:55], v236 offset0:59 offset1:60
	v_pk_add_f32 v[242:243], v[242:243], v[68:69] neg_lo:[0,1] neg_hi:[0,1]
	s_wait_dscnt 0x0
	v_pk_mul_f32 v[68:69], v[52:53], v[50:51] op_sel:[0,1]
	v_pk_fma_f32 v[70:71], v[52:53], v[44:45], v[68:69] op_sel:[0,0,1] op_sel_hi:[1,1,0] neg_lo:[0,0,1] neg_hi:[0,0,1]
	v_pk_fma_f32 v[52:53], v[52:53], v[44:45], v[68:69] op_sel:[0,0,1] op_sel_hi:[1,0,0]
	s_delay_alu instid0(VALU_DEP_1) | instskip(SKIP_1) | instid1(VALU_DEP_1)
	v_mov_b32_e32 v71, v53
	v_pk_mul_f32 v[52:53], v[54:55], v[50:51] op_sel:[0,1]
	v_pk_fma_f32 v[68:69], v[54:55], v[44:45], v[52:53] op_sel:[0,0,1] op_sel_hi:[1,1,0] neg_lo:[0,0,1] neg_hi:[0,0,1]
	v_pk_fma_f32 v[52:53], v[54:55], v[44:45], v[52:53] op_sel:[0,0,1] op_sel_hi:[1,0,0]
	s_delay_alu instid0(VALU_DEP_1)
	v_mov_b32_e32 v69, v53
	ds_load_b64 v[52:53], v236 offset:488
	v_pk_add_f32 v[238:239], v[238:239], v[70:71] neg_lo:[0,1] neg_hi:[0,1]
	v_pk_add_f32 v[246:247], v[246:247], v[68:69] neg_lo:[0,1] neg_hi:[0,1]
	s_wait_dscnt 0x0
	v_pk_mul_f32 v[50:51], v[52:53], v[50:51] op_sel:[0,1]
	s_delay_alu instid0(VALU_DEP_1) | instskip(SKIP_1) | instid1(VALU_DEP_1)
	v_pk_fma_f32 v[54:55], v[52:53], v[44:45], v[50:51] op_sel:[0,0,1] op_sel_hi:[1,1,0] neg_lo:[0,0,1] neg_hi:[0,0,1]
	v_pk_fma_f32 v[44:45], v[52:53], v[44:45], v[50:51] op_sel:[0,0,1] op_sel_hi:[1,0,0]
	v_mov_b32_e32 v55, v45
	s_delay_alu instid0(VALU_DEP_1)
	v_pk_add_f32 v[248:249], v[248:249], v[54:55] neg_lo:[0,1] neg_hi:[0,1]
.LBB123_136:
	s_or_b32 exec_lo, exec_lo, s1
	s_delay_alu instid0(SALU_CYCLE_1)
	s_mov_b32 s2, exec_lo
	s_wait_dscnt 0x0
	s_barrier_signal -1
	s_barrier_wait -1
	v_cmpx_eq_u32_e32 15, v234
	s_cbranch_execz .LBB123_143
; %bb.137:
	v_dual_mov_b32 v44, v82 :: v_dual_mov_b32 v45, v83
	v_dual_mov_b32 v50, v78 :: v_dual_mov_b32 v51, v79
	ds_store_b64 v235, v[60:61]
	ds_store_2addr_b64 v236, v[44:45], v[50:51] offset0:16 offset1:17
	v_dual_mov_b32 v44, v80 :: v_dual_mov_b32 v45, v81
	v_dual_mov_b32 v50, v76 :: v_dual_mov_b32 v51, v77
	ds_store_2addr_b64 v236, v[44:45], v[50:51] offset0:18 offset1:19
	v_dual_mov_b32 v44, v98 :: v_dual_mov_b32 v45, v99
	v_dual_mov_b32 v50, v94 :: v_dual_mov_b32 v51, v95
	;; [unrolled: 3-line block ×21, first 2 shown]
	ds_store_2addr_b64 v236, v[44:45], v[50:51] offset0:58 offset1:59
	v_dual_mov_b32 v44, v246 :: v_dual_mov_b32 v45, v247
	ds_store_2addr_b64 v236, v[44:45], v[248:249] offset0:60 offset1:61
	ds_load_b64 v[44:45], v235
	s_wait_dscnt 0x0
	v_cmp_neq_f32_e32 vcc_lo, 0, v44
	v_cmp_neq_f32_e64 s1, 0, v45
	s_or_b32 s1, vcc_lo, s1
	s_delay_alu instid0(SALU_CYCLE_1)
	s_and_b32 exec_lo, exec_lo, s1
	s_cbranch_execz .LBB123_143
; %bb.138:
	v_cmp_ngt_f32_e64 s1, |v44|, |v45|
                                        ; implicit-def: $vgpr50_vgpr51
	s_and_saveexec_b32 s4, s1
	s_delay_alu instid0(SALU_CYCLE_1)
	s_xor_b32 s1, exec_lo, s4
	s_cbranch_execz .LBB123_140
; %bb.139:
	v_div_scale_f32 v0, null, v45, v45, v44
	v_div_scale_f32 v51, vcc_lo, v44, v45, v44
	s_delay_alu instid0(VALU_DEP_2) | instskip(SKIP_1) | instid1(TRANS32_DEP_1)
	v_rcp_f32_e32 v1, v0
	v_nop
	v_fma_f32 v50, -v0, v1, 1.0
	s_delay_alu instid0(VALU_DEP_1) | instskip(NEXT) | instid1(VALU_DEP_1)
	v_fmac_f32_e32 v1, v50, v1
	v_mul_f32_e32 v50, v51, v1
	s_delay_alu instid0(VALU_DEP_1) | instskip(NEXT) | instid1(VALU_DEP_1)
	v_fma_f32 v52, -v0, v50, v51
	v_fmac_f32_e32 v50, v52, v1
	s_delay_alu instid0(VALU_DEP_1) | instskip(NEXT) | instid1(VALU_DEP_1)
	v_fma_f32 v0, -v0, v50, v51
	v_div_fmas_f32 v0, v0, v1, v50
	s_delay_alu instid0(VALU_DEP_1) | instskip(NEXT) | instid1(VALU_DEP_1)
	v_div_fixup_f32 v0, v0, v45, v44
	v_fmac_f32_e32 v45, v44, v0
	s_delay_alu instid0(VALU_DEP_1) | instskip(SKIP_1) | instid1(VALU_DEP_2)
	v_div_scale_f32 v1, null, v45, v45, 1.0
	v_div_scale_f32 v51, vcc_lo, 1.0, v45, 1.0
	v_rcp_f32_e32 v44, v1
	v_nop
	s_delay_alu instid0(TRANS32_DEP_1) | instskip(NEXT) | instid1(VALU_DEP_1)
	v_fma_f32 v50, -v1, v44, 1.0
	v_fmac_f32_e32 v44, v50, v44
	s_delay_alu instid0(VALU_DEP_1) | instskip(NEXT) | instid1(VALU_DEP_1)
	v_mul_f32_e32 v50, v51, v44
	v_fma_f32 v52, -v1, v50, v51
	s_delay_alu instid0(VALU_DEP_1) | instskip(NEXT) | instid1(VALU_DEP_1)
	v_fmac_f32_e32 v50, v52, v44
	v_fma_f32 v1, -v1, v50, v51
	s_delay_alu instid0(VALU_DEP_1) | instskip(NEXT) | instid1(VALU_DEP_1)
	v_div_fmas_f32 v1, v1, v44, v50
	v_div_fixup_f32 v1, v1, v45, 1.0
                                        ; implicit-def: $vgpr44_vgpr45
	s_delay_alu instid0(VALU_DEP_1)
	v_mul_f32_e32 v50, v0, v1
	v_xor_b32_e32 v51, 0x80000000, v1
.LBB123_140:
	s_and_not1_saveexec_b32 s1, s1
	s_cbranch_execz .LBB123_142
; %bb.141:
	v_div_scale_f32 v0, null, v44, v44, v45
	v_div_scale_f32 v51, vcc_lo, v45, v44, v45
	s_delay_alu instid0(VALU_DEP_2) | instskip(SKIP_1) | instid1(TRANS32_DEP_1)
	v_rcp_f32_e32 v1, v0
	v_nop
	v_fma_f32 v50, -v0, v1, 1.0
	s_delay_alu instid0(VALU_DEP_1) | instskip(NEXT) | instid1(VALU_DEP_1)
	v_fmac_f32_e32 v1, v50, v1
	v_mul_f32_e32 v50, v51, v1
	s_delay_alu instid0(VALU_DEP_1) | instskip(NEXT) | instid1(VALU_DEP_1)
	v_fma_f32 v52, -v0, v50, v51
	v_fmac_f32_e32 v50, v52, v1
	s_delay_alu instid0(VALU_DEP_1) | instskip(NEXT) | instid1(VALU_DEP_1)
	v_fma_f32 v0, -v0, v50, v51
	v_div_fmas_f32 v0, v0, v1, v50
	s_delay_alu instid0(VALU_DEP_1) | instskip(NEXT) | instid1(VALU_DEP_1)
	v_div_fixup_f32 v0, v0, v44, v45
	v_fmac_f32_e32 v44, v45, v0
	s_delay_alu instid0(VALU_DEP_1) | instskip(NEXT) | instid1(VALU_DEP_1)
	v_div_scale_f32 v1, null, v44, v44, 1.0
	v_rcp_f32_e32 v45, v1
	v_nop
	s_delay_alu instid0(TRANS32_DEP_1) | instskip(NEXT) | instid1(VALU_DEP_1)
	v_fma_f32 v50, -v1, v45, 1.0
	v_fmac_f32_e32 v45, v50, v45
	v_div_scale_f32 v50, vcc_lo, 1.0, v44, 1.0
	s_delay_alu instid0(VALU_DEP_1) | instskip(NEXT) | instid1(VALU_DEP_1)
	v_mul_f32_e32 v51, v50, v45
	v_fma_f32 v52, -v1, v51, v50
	s_delay_alu instid0(VALU_DEP_1) | instskip(NEXT) | instid1(VALU_DEP_1)
	v_fmac_f32_e32 v51, v52, v45
	v_fma_f32 v1, -v1, v51, v50
	s_delay_alu instid0(VALU_DEP_1) | instskip(NEXT) | instid1(VALU_DEP_1)
	v_div_fmas_f32 v1, v1, v45, v51
	v_div_fixup_f32 v50, v1, v44, 1.0
	s_delay_alu instid0(VALU_DEP_1)
	v_mul_f32_e64 v51, v0, -v50
.LBB123_142:
	s_or_b32 exec_lo, exec_lo, s1
	ds_store_b64 v235, v[50:51]
.LBB123_143:
	s_or_b32 exec_lo, exec_lo, s2
	s_wait_dscnt 0x0
	s_barrier_signal -1
	s_barrier_wait -1
	ds_load_b64 v[44:45], v235
	s_mov_b32 s1, exec_lo
	v_cmpx_lt_u32_e32 15, v234
	s_cbranch_execz .LBB123_145
; %bb.144:
	ds_load_2addr_b64 v[68:71], v236 offset0:16 offset1:17
	s_wait_dscnt 0x1
	v_pk_mul_f32 v[52:53], v[44:45], v[60:61] op_sel:[1,1] op_sel_hi:[0,1]
	s_delay_alu instid0(VALU_DEP_1) | instskip(SKIP_1) | instid1(VALU_DEP_1)
	v_pk_fma_f32 v[50:51], v[44:45], v[60:61], v[52:53] op_sel_hi:[1,0,1] neg_lo:[0,0,1] neg_hi:[0,0,1]
	v_pk_fma_f32 v[52:53], v[44:45], v[60:61], v[52:53] op_sel_hi:[1,0,1]
	v_dual_mov_b32 v60, v50 :: v_dual_mov_b32 v61, v53
	s_wait_dscnt 0x0
	s_delay_alu instid0(VALU_DEP_2) | instskip(NEXT) | instid1(VALU_DEP_1)
	v_pk_mul_f32 v[54:55], v[68:69], v[52:53] op_sel:[0,1]
	v_pk_fma_f32 v[72:73], v[68:69], v[50:51], v[54:55] op_sel:[0,0,1] op_sel_hi:[1,1,0] neg_lo:[0,0,1] neg_hi:[0,0,1]
	v_pk_fma_f32 v[54:55], v[68:69], v[50:51], v[54:55] op_sel:[0,0,1] op_sel_hi:[1,0,0]
	s_delay_alu instid0(VALU_DEP_1) | instskip(SKIP_1) | instid1(VALU_DEP_1)
	v_mov_b32_e32 v73, v55
	v_pk_mul_f32 v[54:55], v[70:71], v[52:53] op_sel:[0,1]
	v_pk_fma_f32 v[68:69], v[70:71], v[50:51], v[54:55] op_sel:[0,0,1] op_sel_hi:[1,1,0] neg_lo:[0,0,1] neg_hi:[0,0,1]
	v_pk_fma_f32 v[54:55], v[70:71], v[50:51], v[54:55] op_sel:[0,0,1] op_sel_hi:[1,0,0]
	s_delay_alu instid0(VALU_DEP_1) | instskip(SKIP_1) | instid1(VALU_DEP_2)
	v_mov_b32_e32 v69, v55
	v_pk_add_f32 v[82:83], v[82:83], v[72:73] neg_lo:[0,1] neg_hi:[0,1]
	v_pk_add_f32 v[78:79], v[78:79], v[68:69] neg_lo:[0,1] neg_hi:[0,1]
	ds_load_2addr_b64 v[68:71], v236 offset0:18 offset1:19
	s_wait_dscnt 0x0
	v_pk_mul_f32 v[54:55], v[68:69], v[52:53] op_sel:[0,1]
	s_delay_alu instid0(VALU_DEP_1) | instskip(SKIP_2) | instid1(VALU_DEP_2)
	v_pk_fma_f32 v[72:73], v[68:69], v[50:51], v[54:55] op_sel:[0,0,1] op_sel_hi:[1,1,0] neg_lo:[0,0,1] neg_hi:[0,0,1]
	v_pk_fma_f32 v[54:55], v[68:69], v[50:51], v[54:55] op_sel:[0,0,1] op_sel_hi:[1,0,0]
	v_dual_mul_f32 v68, v71, v53 :: v_dual_mov_b32 v54, v71
	v_dual_mov_b32 v73, v55 :: v_dual_mov_b32 v55, v70
	s_delay_alu instid0(VALU_DEP_2) | instskip(SKIP_1) | instid1(VALU_DEP_3)
	v_pk_fma_f32 v[68:69], v[70:71], v[60:61], v[68:69] op_sel_hi:[1,1,0] neg_lo:[0,0,1] neg_hi:[0,0,1]
	v_mul_f32_e32 v70, v71, v50
	v_pk_add_f32 v[80:81], v[80:81], v[72:73] neg_lo:[0,1] neg_hi:[0,1]
	s_delay_alu instid0(VALU_DEP_2) | instskip(NEXT) | instid1(VALU_DEP_1)
	v_pk_fma_f32 v[54:55], v[54:55], v[60:61], v[70:71] op_sel_hi:[1,1,0]
	v_mov_b32_e32 v69, v55
	s_delay_alu instid0(VALU_DEP_1) | instskip(SKIP_3) | instid1(VALU_DEP_1)
	v_pk_add_f32 v[76:77], v[76:77], v[68:69] neg_lo:[0,1] neg_hi:[0,1]
	ds_load_2addr_b64 v[68:71], v236 offset0:20 offset1:21
	s_wait_dscnt 0x0
	v_pk_mul_f32 v[54:55], v[68:69], v[52:53] op_sel:[0,1]
	v_pk_fma_f32 v[72:73], v[68:69], v[50:51], v[54:55] op_sel:[0,0,1] op_sel_hi:[1,1,0] neg_lo:[0,0,1] neg_hi:[0,0,1]
	v_pk_fma_f32 v[54:55], v[68:69], v[50:51], v[54:55] op_sel:[0,0,1] op_sel_hi:[1,0,0]
	s_delay_alu instid0(VALU_DEP_1) | instskip(SKIP_1) | instid1(VALU_DEP_2)
	v_mov_b32_e32 v73, v55
	v_pk_mul_f32 v[54:55], v[70:71], v[52:53] op_sel:[0,1]
	v_pk_add_f32 v[98:99], v[98:99], v[72:73] neg_lo:[0,1] neg_hi:[0,1]
	s_delay_alu instid0(VALU_DEP_2) | instskip(SKIP_1) | instid1(VALU_DEP_1)
	v_pk_fma_f32 v[68:69], v[70:71], v[50:51], v[54:55] op_sel:[0,0,1] op_sel_hi:[1,1,0] neg_lo:[0,0,1] neg_hi:[0,0,1]
	v_pk_fma_f32 v[54:55], v[70:71], v[50:51], v[54:55] op_sel:[0,0,1] op_sel_hi:[1,0,0]
	v_mov_b32_e32 v69, v55
	s_delay_alu instid0(VALU_DEP_1) | instskip(SKIP_3) | instid1(VALU_DEP_1)
	v_pk_add_f32 v[94:95], v[94:95], v[68:69] neg_lo:[0,1] neg_hi:[0,1]
	ds_load_2addr_b64 v[68:71], v236 offset0:22 offset1:23
	s_wait_dscnt 0x0
	v_pk_mul_f32 v[54:55], v[68:69], v[52:53] op_sel:[0,1]
	v_pk_fma_f32 v[72:73], v[68:69], v[50:51], v[54:55] op_sel:[0,0,1] op_sel_hi:[1,1,0] neg_lo:[0,0,1] neg_hi:[0,0,1]
	v_pk_fma_f32 v[54:55], v[68:69], v[50:51], v[54:55] op_sel:[0,0,1] op_sel_hi:[1,0,0]
	s_delay_alu instid0(VALU_DEP_1) | instskip(SKIP_1) | instid1(VALU_DEP_2)
	v_mov_b32_e32 v73, v55
	v_pk_mul_f32 v[54:55], v[70:71], v[52:53] op_sel:[0,1]
	v_pk_add_f32 v[96:97], v[96:97], v[72:73] neg_lo:[0,1] neg_hi:[0,1]
	s_delay_alu instid0(VALU_DEP_2) | instskip(SKIP_1) | instid1(VALU_DEP_1)
	v_pk_fma_f32 v[68:69], v[70:71], v[50:51], v[54:55] op_sel:[0,0,1] op_sel_hi:[1,1,0] neg_lo:[0,0,1] neg_hi:[0,0,1]
	v_pk_fma_f32 v[54:55], v[70:71], v[50:51], v[54:55] op_sel:[0,0,1] op_sel_hi:[1,0,0]
	v_mov_b32_e32 v69, v55
	s_delay_alu instid0(VALU_DEP_1) | instskip(SKIP_3) | instid1(VALU_DEP_1)
	v_pk_add_f32 v[92:93], v[92:93], v[68:69] neg_lo:[0,1] neg_hi:[0,1]
	ds_load_2addr_b64 v[68:71], v236 offset0:24 offset1:25
	s_wait_dscnt 0x0
	v_dual_mul_f32 v54, v69, v53 :: v_dual_mul_f32 v72, v69, v50
	v_pk_fma_f32 v[54:55], v[68:69], v[60:61], v[54:55] op_sel_hi:[1,1,0] neg_lo:[0,0,1] neg_hi:[0,0,1]
	s_delay_alu instid0(VALU_DEP_2) | instskip(NEXT) | instid1(VALU_DEP_1)
	v_pk_fma_f32 v[68:69], v[68:69], v[60:61], v[72:73] op_sel:[1,0,0] op_sel_hi:[0,1,0]
	v_mov_b32_e32 v55, v69
	s_delay_alu instid0(VALU_DEP_1) | instskip(SKIP_1) | instid1(VALU_DEP_1)
	v_pk_add_f32 v[114:115], v[114:115], v[54:55] neg_lo:[0,1] neg_hi:[0,1]
	v_pk_mul_f32 v[54:55], v[70:71], v[52:53] op_sel:[0,1]
	v_pk_fma_f32 v[68:69], v[70:71], v[50:51], v[54:55] op_sel:[0,0,1] op_sel_hi:[1,1,0] neg_lo:[0,0,1] neg_hi:[0,0,1]
	v_pk_fma_f32 v[54:55], v[70:71], v[50:51], v[54:55] op_sel:[0,0,1] op_sel_hi:[1,0,0]
	s_delay_alu instid0(VALU_DEP_1) | instskip(NEXT) | instid1(VALU_DEP_1)
	v_mov_b32_e32 v69, v55
	v_pk_add_f32 v[110:111], v[110:111], v[68:69] neg_lo:[0,1] neg_hi:[0,1]
	ds_load_2addr_b64 v[68:71], v236 offset0:26 offset1:27
	s_wait_dscnt 0x0
	v_pk_mul_f32 v[54:55], v[68:69], v[52:53] op_sel:[0,1]
	s_delay_alu instid0(VALU_DEP_1) | instskip(SKIP_1) | instid1(VALU_DEP_1)
	v_pk_fma_f32 v[72:73], v[68:69], v[50:51], v[54:55] op_sel:[0,0,1] op_sel_hi:[1,1,0] neg_lo:[0,0,1] neg_hi:[0,0,1]
	v_pk_fma_f32 v[54:55], v[68:69], v[50:51], v[54:55] op_sel:[0,0,1] op_sel_hi:[1,0,0]
	v_mov_b32_e32 v73, v55
	v_pk_mul_f32 v[54:55], v[70:71], v[52:53] op_sel:[0,1]
	s_delay_alu instid0(VALU_DEP_2) | instskip(NEXT) | instid1(VALU_DEP_2)
	v_pk_add_f32 v[112:113], v[112:113], v[72:73] neg_lo:[0,1] neg_hi:[0,1]
	v_pk_fma_f32 v[68:69], v[70:71], v[50:51], v[54:55] op_sel:[0,0,1] op_sel_hi:[1,1,0] neg_lo:[0,0,1] neg_hi:[0,0,1]
	v_pk_fma_f32 v[54:55], v[70:71], v[50:51], v[54:55] op_sel:[0,0,1] op_sel_hi:[1,0,0]
	s_delay_alu instid0(VALU_DEP_1) | instskip(NEXT) | instid1(VALU_DEP_1)
	v_mov_b32_e32 v69, v55
	v_pk_add_f32 v[108:109], v[108:109], v[68:69] neg_lo:[0,1] neg_hi:[0,1]
	ds_load_2addr_b64 v[68:71], v236 offset0:28 offset1:29
	s_wait_dscnt 0x0
	v_pk_mul_f32 v[54:55], v[68:69], v[52:53] op_sel:[0,1]
	s_delay_alu instid0(VALU_DEP_1) | instskip(SKIP_2) | instid1(VALU_DEP_2)
	v_pk_fma_f32 v[72:73], v[68:69], v[50:51], v[54:55] op_sel:[0,0,1] op_sel_hi:[1,1,0] neg_lo:[0,0,1] neg_hi:[0,0,1]
	v_pk_fma_f32 v[54:55], v[68:69], v[50:51], v[54:55] op_sel:[0,0,1] op_sel_hi:[1,0,0]
	v_dual_mul_f32 v68, v71, v53 :: v_dual_mov_b32 v54, v71
	v_dual_mov_b32 v73, v55 :: v_dual_mov_b32 v55, v70
	s_delay_alu instid0(VALU_DEP_2) | instskip(SKIP_1) | instid1(VALU_DEP_3)
	v_pk_fma_f32 v[68:69], v[70:71], v[60:61], v[68:69] op_sel_hi:[1,1,0] neg_lo:[0,0,1] neg_hi:[0,0,1]
	v_mul_f32_e32 v70, v71, v50
	v_pk_add_f32 v[130:131], v[130:131], v[72:73] neg_lo:[0,1] neg_hi:[0,1]
	s_delay_alu instid0(VALU_DEP_2) | instskip(NEXT) | instid1(VALU_DEP_1)
	v_pk_fma_f32 v[54:55], v[54:55], v[60:61], v[70:71] op_sel_hi:[1,1,0]
	v_mov_b32_e32 v69, v55
	s_delay_alu instid0(VALU_DEP_1) | instskip(SKIP_3) | instid1(VALU_DEP_1)
	v_pk_add_f32 v[126:127], v[126:127], v[68:69] neg_lo:[0,1] neg_hi:[0,1]
	ds_load_2addr_b64 v[68:71], v236 offset0:30 offset1:31
	s_wait_dscnt 0x0
	v_pk_mul_f32 v[54:55], v[68:69], v[52:53] op_sel:[0,1]
	v_pk_fma_f32 v[72:73], v[68:69], v[50:51], v[54:55] op_sel:[0,0,1] op_sel_hi:[1,1,0] neg_lo:[0,0,1] neg_hi:[0,0,1]
	v_pk_fma_f32 v[54:55], v[68:69], v[50:51], v[54:55] op_sel:[0,0,1] op_sel_hi:[1,0,0]
	s_delay_alu instid0(VALU_DEP_1) | instskip(SKIP_1) | instid1(VALU_DEP_2)
	v_mov_b32_e32 v73, v55
	v_pk_mul_f32 v[54:55], v[70:71], v[52:53] op_sel:[0,1]
	v_pk_add_f32 v[128:129], v[128:129], v[72:73] neg_lo:[0,1] neg_hi:[0,1]
	s_delay_alu instid0(VALU_DEP_2) | instskip(SKIP_1) | instid1(VALU_DEP_1)
	v_pk_fma_f32 v[68:69], v[70:71], v[50:51], v[54:55] op_sel:[0,0,1] op_sel_hi:[1,1,0] neg_lo:[0,0,1] neg_hi:[0,0,1]
	v_pk_fma_f32 v[54:55], v[70:71], v[50:51], v[54:55] op_sel:[0,0,1] op_sel_hi:[1,0,0]
	v_mov_b32_e32 v69, v55
	s_delay_alu instid0(VALU_DEP_1) | instskip(SKIP_3) | instid1(VALU_DEP_1)
	v_pk_add_f32 v[124:125], v[124:125], v[68:69] neg_lo:[0,1] neg_hi:[0,1]
	ds_load_2addr_b64 v[68:71], v236 offset0:32 offset1:33
	s_wait_dscnt 0x0
	v_pk_mul_f32 v[54:55], v[68:69], v[52:53] op_sel:[0,1]
	v_pk_fma_f32 v[72:73], v[68:69], v[50:51], v[54:55] op_sel:[0,0,1] op_sel_hi:[1,1,0] neg_lo:[0,0,1] neg_hi:[0,0,1]
	v_pk_fma_f32 v[54:55], v[68:69], v[50:51], v[54:55] op_sel:[0,0,1] op_sel_hi:[1,0,0]
	s_delay_alu instid0(VALU_DEP_1) | instskip(SKIP_1) | instid1(VALU_DEP_2)
	v_mov_b32_e32 v73, v55
	v_pk_mul_f32 v[54:55], v[70:71], v[52:53] op_sel:[0,1]
	v_pk_add_f32 v[146:147], v[146:147], v[72:73] neg_lo:[0,1] neg_hi:[0,1]
	s_delay_alu instid0(VALU_DEP_2) | instskip(SKIP_1) | instid1(VALU_DEP_1)
	v_pk_fma_f32 v[68:69], v[70:71], v[50:51], v[54:55] op_sel:[0,0,1] op_sel_hi:[1,1,0] neg_lo:[0,0,1] neg_hi:[0,0,1]
	v_pk_fma_f32 v[54:55], v[70:71], v[50:51], v[54:55] op_sel:[0,0,1] op_sel_hi:[1,0,0]
	v_mov_b32_e32 v69, v55
	s_delay_alu instid0(VALU_DEP_1) | instskip(SKIP_3) | instid1(VALU_DEP_1)
	v_pk_add_f32 v[142:143], v[142:143], v[68:69] neg_lo:[0,1] neg_hi:[0,1]
	ds_load_2addr_b64 v[68:71], v236 offset0:34 offset1:35
	s_wait_dscnt 0x0
	v_dual_mul_f32 v54, v69, v53 :: v_dual_mul_f32 v72, v69, v50
	v_pk_fma_f32 v[54:55], v[68:69], v[60:61], v[54:55] op_sel_hi:[1,1,0] neg_lo:[0,0,1] neg_hi:[0,0,1]
	s_delay_alu instid0(VALU_DEP_2) | instskip(NEXT) | instid1(VALU_DEP_1)
	v_pk_fma_f32 v[68:69], v[68:69], v[60:61], v[72:73] op_sel:[1,0,0] op_sel_hi:[0,1,0]
	v_mov_b32_e32 v55, v69
	s_delay_alu instid0(VALU_DEP_1) | instskip(SKIP_1) | instid1(VALU_DEP_1)
	v_pk_add_f32 v[144:145], v[144:145], v[54:55] neg_lo:[0,1] neg_hi:[0,1]
	v_pk_mul_f32 v[54:55], v[70:71], v[52:53] op_sel:[0,1]
	v_pk_fma_f32 v[68:69], v[70:71], v[50:51], v[54:55] op_sel:[0,0,1] op_sel_hi:[1,1,0] neg_lo:[0,0,1] neg_hi:[0,0,1]
	v_pk_fma_f32 v[54:55], v[70:71], v[50:51], v[54:55] op_sel:[0,0,1] op_sel_hi:[1,0,0]
	s_delay_alu instid0(VALU_DEP_1) | instskip(NEXT) | instid1(VALU_DEP_1)
	v_mov_b32_e32 v69, v55
	v_pk_add_f32 v[140:141], v[140:141], v[68:69] neg_lo:[0,1] neg_hi:[0,1]
	ds_load_2addr_b64 v[68:71], v236 offset0:36 offset1:37
	s_wait_dscnt 0x0
	v_pk_mul_f32 v[54:55], v[68:69], v[52:53] op_sel:[0,1]
	s_delay_alu instid0(VALU_DEP_1) | instskip(SKIP_1) | instid1(VALU_DEP_1)
	v_pk_fma_f32 v[72:73], v[68:69], v[50:51], v[54:55] op_sel:[0,0,1] op_sel_hi:[1,1,0] neg_lo:[0,0,1] neg_hi:[0,0,1]
	v_pk_fma_f32 v[54:55], v[68:69], v[50:51], v[54:55] op_sel:[0,0,1] op_sel_hi:[1,0,0]
	v_mov_b32_e32 v73, v55
	v_pk_mul_f32 v[54:55], v[70:71], v[52:53] op_sel:[0,1]
	s_delay_alu instid0(VALU_DEP_2) | instskip(NEXT) | instid1(VALU_DEP_2)
	v_pk_add_f32 v[162:163], v[162:163], v[72:73] neg_lo:[0,1] neg_hi:[0,1]
	v_pk_fma_f32 v[68:69], v[70:71], v[50:51], v[54:55] op_sel:[0,0,1] op_sel_hi:[1,1,0] neg_lo:[0,0,1] neg_hi:[0,0,1]
	v_pk_fma_f32 v[54:55], v[70:71], v[50:51], v[54:55] op_sel:[0,0,1] op_sel_hi:[1,0,0]
	s_delay_alu instid0(VALU_DEP_1) | instskip(NEXT) | instid1(VALU_DEP_1)
	v_mov_b32_e32 v69, v55
	v_pk_add_f32 v[158:159], v[158:159], v[68:69] neg_lo:[0,1] neg_hi:[0,1]
	ds_load_2addr_b64 v[68:71], v236 offset0:38 offset1:39
	s_wait_dscnt 0x0
	v_pk_mul_f32 v[54:55], v[68:69], v[52:53] op_sel:[0,1]
	s_delay_alu instid0(VALU_DEP_1) | instskip(SKIP_2) | instid1(VALU_DEP_2)
	v_pk_fma_f32 v[72:73], v[68:69], v[50:51], v[54:55] op_sel:[0,0,1] op_sel_hi:[1,1,0] neg_lo:[0,0,1] neg_hi:[0,0,1]
	v_pk_fma_f32 v[54:55], v[68:69], v[50:51], v[54:55] op_sel:[0,0,1] op_sel_hi:[1,0,0]
	v_dual_mul_f32 v68, v71, v53 :: v_dual_mov_b32 v54, v71
	v_dual_mov_b32 v73, v55 :: v_dual_mov_b32 v55, v70
	s_delay_alu instid0(VALU_DEP_2) | instskip(SKIP_1) | instid1(VALU_DEP_3)
	v_pk_fma_f32 v[68:69], v[70:71], v[60:61], v[68:69] op_sel_hi:[1,1,0] neg_lo:[0,0,1] neg_hi:[0,0,1]
	v_mul_f32_e32 v70, v71, v50
	v_pk_add_f32 v[160:161], v[160:161], v[72:73] neg_lo:[0,1] neg_hi:[0,1]
	s_delay_alu instid0(VALU_DEP_2) | instskip(NEXT) | instid1(VALU_DEP_1)
	v_pk_fma_f32 v[54:55], v[54:55], v[60:61], v[70:71] op_sel_hi:[1,1,0]
	v_mov_b32_e32 v69, v55
	s_delay_alu instid0(VALU_DEP_1) | instskip(SKIP_3) | instid1(VALU_DEP_1)
	v_pk_add_f32 v[156:157], v[156:157], v[68:69] neg_lo:[0,1] neg_hi:[0,1]
	ds_load_2addr_b64 v[68:71], v236 offset0:40 offset1:41
	s_wait_dscnt 0x0
	v_pk_mul_f32 v[54:55], v[68:69], v[52:53] op_sel:[0,1]
	v_pk_fma_f32 v[72:73], v[68:69], v[50:51], v[54:55] op_sel:[0,0,1] op_sel_hi:[1,1,0] neg_lo:[0,0,1] neg_hi:[0,0,1]
	v_pk_fma_f32 v[54:55], v[68:69], v[50:51], v[54:55] op_sel:[0,0,1] op_sel_hi:[1,0,0]
	s_delay_alu instid0(VALU_DEP_1) | instskip(SKIP_1) | instid1(VALU_DEP_2)
	v_mov_b32_e32 v73, v55
	v_pk_mul_f32 v[54:55], v[70:71], v[52:53] op_sel:[0,1]
	v_pk_add_f32 v[178:179], v[178:179], v[72:73] neg_lo:[0,1] neg_hi:[0,1]
	s_delay_alu instid0(VALU_DEP_2) | instskip(SKIP_1) | instid1(VALU_DEP_1)
	v_pk_fma_f32 v[68:69], v[70:71], v[50:51], v[54:55] op_sel:[0,0,1] op_sel_hi:[1,1,0] neg_lo:[0,0,1] neg_hi:[0,0,1]
	v_pk_fma_f32 v[54:55], v[70:71], v[50:51], v[54:55] op_sel:[0,0,1] op_sel_hi:[1,0,0]
	v_mov_b32_e32 v69, v55
	s_delay_alu instid0(VALU_DEP_1) | instskip(SKIP_3) | instid1(VALU_DEP_1)
	v_pk_add_f32 v[174:175], v[174:175], v[68:69] neg_lo:[0,1] neg_hi:[0,1]
	ds_load_2addr_b64 v[68:71], v236 offset0:42 offset1:43
	s_wait_dscnt 0x0
	v_pk_mul_f32 v[54:55], v[68:69], v[52:53] op_sel:[0,1]
	v_pk_fma_f32 v[72:73], v[68:69], v[50:51], v[54:55] op_sel:[0,0,1] op_sel_hi:[1,1,0] neg_lo:[0,0,1] neg_hi:[0,0,1]
	v_pk_fma_f32 v[54:55], v[68:69], v[50:51], v[54:55] op_sel:[0,0,1] op_sel_hi:[1,0,0]
	s_delay_alu instid0(VALU_DEP_1) | instskip(SKIP_1) | instid1(VALU_DEP_2)
	v_mov_b32_e32 v73, v55
	v_pk_mul_f32 v[54:55], v[70:71], v[52:53] op_sel:[0,1]
	v_pk_add_f32 v[176:177], v[176:177], v[72:73] neg_lo:[0,1] neg_hi:[0,1]
	s_delay_alu instid0(VALU_DEP_2) | instskip(SKIP_1) | instid1(VALU_DEP_1)
	v_pk_fma_f32 v[68:69], v[70:71], v[50:51], v[54:55] op_sel:[0,0,1] op_sel_hi:[1,1,0] neg_lo:[0,0,1] neg_hi:[0,0,1]
	v_pk_fma_f32 v[54:55], v[70:71], v[50:51], v[54:55] op_sel:[0,0,1] op_sel_hi:[1,0,0]
	v_mov_b32_e32 v69, v55
	s_delay_alu instid0(VALU_DEP_1) | instskip(SKIP_3) | instid1(VALU_DEP_1)
	v_pk_add_f32 v[172:173], v[172:173], v[68:69] neg_lo:[0,1] neg_hi:[0,1]
	ds_load_2addr_b64 v[68:71], v236 offset0:44 offset1:45
	s_wait_dscnt 0x0
	v_dual_mul_f32 v54, v69, v53 :: v_dual_mul_f32 v72, v69, v50
	v_pk_fma_f32 v[54:55], v[68:69], v[60:61], v[54:55] op_sel_hi:[1,1,0] neg_lo:[0,0,1] neg_hi:[0,0,1]
	s_delay_alu instid0(VALU_DEP_2) | instskip(NEXT) | instid1(VALU_DEP_1)
	v_pk_fma_f32 v[68:69], v[68:69], v[60:61], v[72:73] op_sel:[1,0,0] op_sel_hi:[0,1,0]
	v_mov_b32_e32 v55, v69
	s_delay_alu instid0(VALU_DEP_1) | instskip(SKIP_1) | instid1(VALU_DEP_1)
	v_pk_add_f32 v[194:195], v[194:195], v[54:55] neg_lo:[0,1] neg_hi:[0,1]
	v_pk_mul_f32 v[54:55], v[70:71], v[52:53] op_sel:[0,1]
	v_pk_fma_f32 v[68:69], v[70:71], v[50:51], v[54:55] op_sel:[0,0,1] op_sel_hi:[1,1,0] neg_lo:[0,0,1] neg_hi:[0,0,1]
	v_pk_fma_f32 v[54:55], v[70:71], v[50:51], v[54:55] op_sel:[0,0,1] op_sel_hi:[1,0,0]
	s_delay_alu instid0(VALU_DEP_1) | instskip(NEXT) | instid1(VALU_DEP_1)
	v_mov_b32_e32 v69, v55
	v_pk_add_f32 v[190:191], v[190:191], v[68:69] neg_lo:[0,1] neg_hi:[0,1]
	ds_load_2addr_b64 v[68:71], v236 offset0:46 offset1:47
	s_wait_dscnt 0x0
	v_pk_mul_f32 v[54:55], v[68:69], v[52:53] op_sel:[0,1]
	s_delay_alu instid0(VALU_DEP_1) | instskip(SKIP_1) | instid1(VALU_DEP_1)
	v_pk_fma_f32 v[72:73], v[68:69], v[50:51], v[54:55] op_sel:[0,0,1] op_sel_hi:[1,1,0] neg_lo:[0,0,1] neg_hi:[0,0,1]
	v_pk_fma_f32 v[54:55], v[68:69], v[50:51], v[54:55] op_sel:[0,0,1] op_sel_hi:[1,0,0]
	v_mov_b32_e32 v73, v55
	v_pk_mul_f32 v[54:55], v[70:71], v[52:53] op_sel:[0,1]
	s_delay_alu instid0(VALU_DEP_2) | instskip(NEXT) | instid1(VALU_DEP_2)
	v_pk_add_f32 v[192:193], v[192:193], v[72:73] neg_lo:[0,1] neg_hi:[0,1]
	v_pk_fma_f32 v[68:69], v[70:71], v[50:51], v[54:55] op_sel:[0,0,1] op_sel_hi:[1,1,0] neg_lo:[0,0,1] neg_hi:[0,0,1]
	v_pk_fma_f32 v[54:55], v[70:71], v[50:51], v[54:55] op_sel:[0,0,1] op_sel_hi:[1,0,0]
	s_delay_alu instid0(VALU_DEP_1) | instskip(NEXT) | instid1(VALU_DEP_1)
	v_mov_b32_e32 v69, v55
	v_pk_add_f32 v[188:189], v[188:189], v[68:69] neg_lo:[0,1] neg_hi:[0,1]
	ds_load_2addr_b64 v[68:71], v236 offset0:48 offset1:49
	s_wait_dscnt 0x0
	v_pk_mul_f32 v[54:55], v[68:69], v[52:53] op_sel:[0,1]
	s_delay_alu instid0(VALU_DEP_1) | instskip(SKIP_2) | instid1(VALU_DEP_2)
	v_pk_fma_f32 v[72:73], v[68:69], v[50:51], v[54:55] op_sel:[0,0,1] op_sel_hi:[1,1,0] neg_lo:[0,0,1] neg_hi:[0,0,1]
	v_pk_fma_f32 v[54:55], v[68:69], v[50:51], v[54:55] op_sel:[0,0,1] op_sel_hi:[1,0,0]
	v_dual_mul_f32 v68, v71, v53 :: v_dual_mov_b32 v54, v71
	v_dual_mov_b32 v73, v55 :: v_dual_mov_b32 v55, v70
	s_delay_alu instid0(VALU_DEP_2) | instskip(SKIP_1) | instid1(VALU_DEP_3)
	v_pk_fma_f32 v[68:69], v[70:71], v[60:61], v[68:69] op_sel_hi:[1,1,0] neg_lo:[0,0,1] neg_hi:[0,0,1]
	v_mul_f32_e32 v70, v71, v50
	v_pk_add_f32 v[210:211], v[210:211], v[72:73] neg_lo:[0,1] neg_hi:[0,1]
	s_delay_alu instid0(VALU_DEP_2) | instskip(NEXT) | instid1(VALU_DEP_1)
	v_pk_fma_f32 v[54:55], v[54:55], v[60:61], v[70:71] op_sel_hi:[1,1,0]
	v_mov_b32_e32 v69, v55
	s_delay_alu instid0(VALU_DEP_1) | instskip(SKIP_3) | instid1(VALU_DEP_1)
	v_pk_add_f32 v[206:207], v[206:207], v[68:69] neg_lo:[0,1] neg_hi:[0,1]
	ds_load_2addr_b64 v[68:71], v236 offset0:50 offset1:51
	s_wait_dscnt 0x0
	v_pk_mul_f32 v[54:55], v[68:69], v[52:53] op_sel:[0,1]
	v_pk_fma_f32 v[72:73], v[68:69], v[50:51], v[54:55] op_sel:[0,0,1] op_sel_hi:[1,1,0] neg_lo:[0,0,1] neg_hi:[0,0,1]
	v_pk_fma_f32 v[54:55], v[68:69], v[50:51], v[54:55] op_sel:[0,0,1] op_sel_hi:[1,0,0]
	s_delay_alu instid0(VALU_DEP_1) | instskip(SKIP_1) | instid1(VALU_DEP_2)
	v_mov_b32_e32 v73, v55
	v_pk_mul_f32 v[54:55], v[70:71], v[52:53] op_sel:[0,1]
	v_pk_add_f32 v[208:209], v[208:209], v[72:73] neg_lo:[0,1] neg_hi:[0,1]
	s_delay_alu instid0(VALU_DEP_2) | instskip(SKIP_1) | instid1(VALU_DEP_1)
	v_pk_fma_f32 v[68:69], v[70:71], v[50:51], v[54:55] op_sel:[0,0,1] op_sel_hi:[1,1,0] neg_lo:[0,0,1] neg_hi:[0,0,1]
	v_pk_fma_f32 v[54:55], v[70:71], v[50:51], v[54:55] op_sel:[0,0,1] op_sel_hi:[1,0,0]
	v_mov_b32_e32 v69, v55
	s_delay_alu instid0(VALU_DEP_1) | instskip(SKIP_3) | instid1(VALU_DEP_1)
	v_pk_add_f32 v[204:205], v[204:205], v[68:69] neg_lo:[0,1] neg_hi:[0,1]
	ds_load_2addr_b64 v[68:71], v236 offset0:52 offset1:53
	s_wait_dscnt 0x0
	v_pk_mul_f32 v[54:55], v[68:69], v[52:53] op_sel:[0,1]
	v_pk_fma_f32 v[72:73], v[68:69], v[50:51], v[54:55] op_sel:[0,0,1] op_sel_hi:[1,1,0] neg_lo:[0,0,1] neg_hi:[0,0,1]
	v_pk_fma_f32 v[54:55], v[68:69], v[50:51], v[54:55] op_sel:[0,0,1] op_sel_hi:[1,0,0]
	s_delay_alu instid0(VALU_DEP_1) | instskip(SKIP_1) | instid1(VALU_DEP_2)
	v_mov_b32_e32 v73, v55
	v_pk_mul_f32 v[54:55], v[70:71], v[52:53] op_sel:[0,1]
	v_pk_add_f32 v[228:229], v[228:229], v[72:73] neg_lo:[0,1] neg_hi:[0,1]
	s_delay_alu instid0(VALU_DEP_2) | instskip(SKIP_1) | instid1(VALU_DEP_1)
	v_pk_fma_f32 v[68:69], v[70:71], v[50:51], v[54:55] op_sel:[0,0,1] op_sel_hi:[1,1,0] neg_lo:[0,0,1] neg_hi:[0,0,1]
	v_pk_fma_f32 v[54:55], v[70:71], v[50:51], v[54:55] op_sel:[0,0,1] op_sel_hi:[1,0,0]
	v_mov_b32_e32 v69, v55
	s_delay_alu instid0(VALU_DEP_1) | instskip(SKIP_3) | instid1(VALU_DEP_1)
	v_pk_add_f32 v[224:225], v[224:225], v[68:69] neg_lo:[0,1] neg_hi:[0,1]
	ds_load_2addr_b64 v[68:71], v236 offset0:54 offset1:55
	s_wait_dscnt 0x0
	v_dual_mul_f32 v54, v69, v53 :: v_dual_mul_f32 v72, v69, v50
	v_pk_fma_f32 v[54:55], v[68:69], v[60:61], v[54:55] op_sel_hi:[1,1,0] neg_lo:[0,0,1] neg_hi:[0,0,1]
	s_delay_alu instid0(VALU_DEP_2) | instskip(NEXT) | instid1(VALU_DEP_1)
	v_pk_fma_f32 v[68:69], v[68:69], v[60:61], v[72:73] op_sel:[1,0,0] op_sel_hi:[0,1,0]
	v_mov_b32_e32 v55, v69
	s_delay_alu instid0(VALU_DEP_1) | instskip(SKIP_1) | instid1(VALU_DEP_1)
	v_pk_add_f32 v[226:227], v[226:227], v[54:55] neg_lo:[0,1] neg_hi:[0,1]
	v_pk_mul_f32 v[54:55], v[70:71], v[52:53] op_sel:[0,1]
	v_pk_fma_f32 v[68:69], v[70:71], v[50:51], v[54:55] op_sel:[0,0,1] op_sel_hi:[1,1,0] neg_lo:[0,0,1] neg_hi:[0,0,1]
	v_pk_fma_f32 v[54:55], v[70:71], v[50:51], v[54:55] op_sel:[0,0,1] op_sel_hi:[1,0,0]
	s_delay_alu instid0(VALU_DEP_1) | instskip(NEXT) | instid1(VALU_DEP_1)
	v_mov_b32_e32 v69, v55
	v_pk_add_f32 v[222:223], v[222:223], v[68:69] neg_lo:[0,1] neg_hi:[0,1]
	ds_load_2addr_b64 v[68:71], v236 offset0:56 offset1:57
	s_wait_dscnt 0x0
	v_pk_mul_f32 v[54:55], v[68:69], v[52:53] op_sel:[0,1]
	s_delay_alu instid0(VALU_DEP_1) | instskip(SKIP_1) | instid1(VALU_DEP_1)
	v_pk_fma_f32 v[72:73], v[68:69], v[50:51], v[54:55] op_sel:[0,0,1] op_sel_hi:[1,1,0] neg_lo:[0,0,1] neg_hi:[0,0,1]
	v_pk_fma_f32 v[54:55], v[68:69], v[50:51], v[54:55] op_sel:[0,0,1] op_sel_hi:[1,0,0]
	v_mov_b32_e32 v73, v55
	v_pk_mul_f32 v[54:55], v[70:71], v[52:53] op_sel:[0,1]
	s_delay_alu instid0(VALU_DEP_2) | instskip(NEXT) | instid1(VALU_DEP_2)
	v_pk_add_f32 v[244:245], v[244:245], v[72:73] neg_lo:[0,1] neg_hi:[0,1]
	v_pk_fma_f32 v[68:69], v[70:71], v[50:51], v[54:55] op_sel:[0,0,1] op_sel_hi:[1,1,0] neg_lo:[0,0,1] neg_hi:[0,0,1]
	v_pk_fma_f32 v[54:55], v[70:71], v[50:51], v[54:55] op_sel:[0,0,1] op_sel_hi:[1,0,0]
	s_delay_alu instid0(VALU_DEP_1) | instskip(NEXT) | instid1(VALU_DEP_1)
	v_mov_b32_e32 v69, v55
	v_pk_add_f32 v[240:241], v[240:241], v[68:69] neg_lo:[0,1] neg_hi:[0,1]
	ds_load_2addr_b64 v[68:71], v236 offset0:58 offset1:59
	s_wait_dscnt 0x0
	v_pk_mul_f32 v[54:55], v[68:69], v[52:53] op_sel:[0,1]
	s_delay_alu instid0(VALU_DEP_1) | instskip(SKIP_2) | instid1(VALU_DEP_2)
	v_pk_fma_f32 v[72:73], v[68:69], v[50:51], v[54:55] op_sel:[0,0,1] op_sel_hi:[1,1,0] neg_lo:[0,0,1] neg_hi:[0,0,1]
	v_pk_fma_f32 v[54:55], v[68:69], v[50:51], v[54:55] op_sel:[0,0,1] op_sel_hi:[1,0,0]
	v_dual_mul_f32 v68, v71, v53 :: v_dual_mov_b32 v54, v71
	v_dual_mov_b32 v73, v55 :: v_dual_mov_b32 v55, v70
	s_delay_alu instid0(VALU_DEP_2) | instskip(SKIP_1) | instid1(VALU_DEP_3)
	v_pk_fma_f32 v[68:69], v[70:71], v[60:61], v[68:69] op_sel_hi:[1,1,0] neg_lo:[0,0,1] neg_hi:[0,0,1]
	v_mul_f32_e32 v70, v71, v50
	v_pk_add_f32 v[242:243], v[242:243], v[72:73] neg_lo:[0,1] neg_hi:[0,1]
	s_delay_alu instid0(VALU_DEP_2) | instskip(NEXT) | instid1(VALU_DEP_1)
	v_pk_fma_f32 v[54:55], v[54:55], v[60:61], v[70:71] op_sel_hi:[1,1,0]
	v_mov_b32_e32 v69, v55
	s_delay_alu instid0(VALU_DEP_1) | instskip(SKIP_4) | instid1(VALU_DEP_2)
	v_pk_add_f32 v[238:239], v[238:239], v[68:69] neg_lo:[0,1] neg_hi:[0,1]
	ds_load_2addr_b64 v[68:71], v236 offset0:60 offset1:61
	s_wait_dscnt 0x0
	v_pk_mul_f32 v[54:55], v[68:69], v[52:53] op_sel:[0,1]
	v_pk_mul_f32 v[52:53], v[70:71], v[52:53] op_sel:[0,1]
	v_pk_fma_f32 v[72:73], v[68:69], v[50:51], v[54:55] op_sel:[0,0,1] op_sel_hi:[1,1,0] neg_lo:[0,0,1] neg_hi:[0,0,1]
	v_pk_fma_f32 v[54:55], v[68:69], v[50:51], v[54:55] op_sel:[0,0,1] op_sel_hi:[1,0,0]
	s_delay_alu instid0(VALU_DEP_1) | instskip(NEXT) | instid1(VALU_DEP_4)
	v_mov_b32_e32 v73, v55
	v_pk_fma_f32 v[54:55], v[70:71], v[50:51], v[52:53] op_sel:[0,0,1] op_sel_hi:[1,1,0] neg_lo:[0,0,1] neg_hi:[0,0,1]
	v_pk_fma_f32 v[50:51], v[70:71], v[50:51], v[52:53] op_sel:[0,0,1] op_sel_hi:[1,0,0]
	s_delay_alu instid0(VALU_DEP_3) | instskip(NEXT) | instid1(VALU_DEP_2)
	v_pk_add_f32 v[246:247], v[246:247], v[72:73] neg_lo:[0,1] neg_hi:[0,1]
	v_mov_b32_e32 v55, v51
	s_delay_alu instid0(VALU_DEP_1)
	v_pk_add_f32 v[248:249], v[248:249], v[54:55] neg_lo:[0,1] neg_hi:[0,1]
.LBB123_145:
	s_or_b32 exec_lo, exec_lo, s1
	s_delay_alu instid0(SALU_CYCLE_1)
	s_mov_b32 s2, exec_lo
	s_wait_dscnt 0x0
	s_barrier_signal -1
	s_barrier_wait -1
	v_cmpx_eq_u32_e32 16, v234
	s_cbranch_execz .LBB123_152
; %bb.146:
	ds_store_b64 v235, v[82:83]
	ds_store_2addr_b64 v236, v[78:79], v[80:81] offset0:17 offset1:18
	ds_store_2addr_b64 v236, v[76:77], v[98:99] offset0:19 offset1:20
	;; [unrolled: 1-line block ×22, first 2 shown]
	ds_store_b64 v236, v[248:249] offset:488
	ds_load_b64 v[50:51], v235
	s_wait_dscnt 0x0
	v_cmp_neq_f32_e32 vcc_lo, 0, v50
	v_cmp_neq_f32_e64 s1, 0, v51
	s_or_b32 s1, vcc_lo, s1
	s_delay_alu instid0(SALU_CYCLE_1)
	s_and_b32 exec_lo, exec_lo, s1
	s_cbranch_execz .LBB123_152
; %bb.147:
	v_cmp_ngt_f32_e64 s1, |v50|, |v51|
                                        ; implicit-def: $vgpr52_vgpr53
	s_and_saveexec_b32 s4, s1
	s_delay_alu instid0(SALU_CYCLE_1)
	s_xor_b32 s1, exec_lo, s4
	s_cbranch_execz .LBB123_149
; %bb.148:
	v_div_scale_f32 v0, null, v51, v51, v50
	v_div_scale_f32 v53, vcc_lo, v50, v51, v50
	s_delay_alu instid0(VALU_DEP_2) | instskip(SKIP_1) | instid1(TRANS32_DEP_1)
	v_rcp_f32_e32 v1, v0
	v_nop
	v_fma_f32 v52, -v0, v1, 1.0
	s_delay_alu instid0(VALU_DEP_1) | instskip(NEXT) | instid1(VALU_DEP_1)
	v_fmac_f32_e32 v1, v52, v1
	v_mul_f32_e32 v52, v53, v1
	s_delay_alu instid0(VALU_DEP_1) | instskip(NEXT) | instid1(VALU_DEP_1)
	v_fma_f32 v54, -v0, v52, v53
	v_fmac_f32_e32 v52, v54, v1
	s_delay_alu instid0(VALU_DEP_1) | instskip(NEXT) | instid1(VALU_DEP_1)
	v_fma_f32 v0, -v0, v52, v53
	v_div_fmas_f32 v0, v0, v1, v52
	s_delay_alu instid0(VALU_DEP_1) | instskip(NEXT) | instid1(VALU_DEP_1)
	v_div_fixup_f32 v0, v0, v51, v50
	v_fmac_f32_e32 v51, v50, v0
	s_delay_alu instid0(VALU_DEP_1) | instskip(SKIP_1) | instid1(VALU_DEP_2)
	v_div_scale_f32 v1, null, v51, v51, 1.0
	v_div_scale_f32 v53, vcc_lo, 1.0, v51, 1.0
	v_rcp_f32_e32 v50, v1
	v_nop
	s_delay_alu instid0(TRANS32_DEP_1) | instskip(NEXT) | instid1(VALU_DEP_1)
	v_fma_f32 v52, -v1, v50, 1.0
	v_fmac_f32_e32 v50, v52, v50
	s_delay_alu instid0(VALU_DEP_1) | instskip(NEXT) | instid1(VALU_DEP_1)
	v_mul_f32_e32 v52, v53, v50
	v_fma_f32 v54, -v1, v52, v53
	s_delay_alu instid0(VALU_DEP_1) | instskip(NEXT) | instid1(VALU_DEP_1)
	v_fmac_f32_e32 v52, v54, v50
	v_fma_f32 v1, -v1, v52, v53
	s_delay_alu instid0(VALU_DEP_1) | instskip(NEXT) | instid1(VALU_DEP_1)
	v_div_fmas_f32 v1, v1, v50, v52
	v_div_fixup_f32 v1, v1, v51, 1.0
                                        ; implicit-def: $vgpr50_vgpr51
	s_delay_alu instid0(VALU_DEP_1)
	v_mul_f32_e32 v52, v0, v1
	v_xor_b32_e32 v53, 0x80000000, v1
.LBB123_149:
	s_and_not1_saveexec_b32 s1, s1
	s_cbranch_execz .LBB123_151
; %bb.150:
	v_div_scale_f32 v0, null, v50, v50, v51
	v_div_scale_f32 v53, vcc_lo, v51, v50, v51
	s_delay_alu instid0(VALU_DEP_2) | instskip(SKIP_1) | instid1(TRANS32_DEP_1)
	v_rcp_f32_e32 v1, v0
	v_nop
	v_fma_f32 v52, -v0, v1, 1.0
	s_delay_alu instid0(VALU_DEP_1) | instskip(NEXT) | instid1(VALU_DEP_1)
	v_fmac_f32_e32 v1, v52, v1
	v_mul_f32_e32 v52, v53, v1
	s_delay_alu instid0(VALU_DEP_1) | instskip(NEXT) | instid1(VALU_DEP_1)
	v_fma_f32 v54, -v0, v52, v53
	v_fmac_f32_e32 v52, v54, v1
	s_delay_alu instid0(VALU_DEP_1) | instskip(NEXT) | instid1(VALU_DEP_1)
	v_fma_f32 v0, -v0, v52, v53
	v_div_fmas_f32 v0, v0, v1, v52
	s_delay_alu instid0(VALU_DEP_1) | instskip(NEXT) | instid1(VALU_DEP_1)
	v_div_fixup_f32 v0, v0, v50, v51
	v_fmac_f32_e32 v50, v51, v0
	s_delay_alu instid0(VALU_DEP_1) | instskip(NEXT) | instid1(VALU_DEP_1)
	v_div_scale_f32 v1, null, v50, v50, 1.0
	v_rcp_f32_e32 v51, v1
	v_nop
	s_delay_alu instid0(TRANS32_DEP_1) | instskip(NEXT) | instid1(VALU_DEP_1)
	v_fma_f32 v52, -v1, v51, 1.0
	v_fmac_f32_e32 v51, v52, v51
	v_div_scale_f32 v52, vcc_lo, 1.0, v50, 1.0
	s_delay_alu instid0(VALU_DEP_1) | instskip(NEXT) | instid1(VALU_DEP_1)
	v_mul_f32_e32 v53, v52, v51
	v_fma_f32 v54, -v1, v53, v52
	s_delay_alu instid0(VALU_DEP_1) | instskip(NEXT) | instid1(VALU_DEP_1)
	v_fmac_f32_e32 v53, v54, v51
	v_fma_f32 v1, -v1, v53, v52
	s_delay_alu instid0(VALU_DEP_1) | instskip(NEXT) | instid1(VALU_DEP_1)
	v_div_fmas_f32 v1, v1, v51, v53
	v_div_fixup_f32 v52, v1, v50, 1.0
	s_delay_alu instid0(VALU_DEP_1)
	v_mul_f32_e64 v53, v0, -v52
.LBB123_151:
	s_or_b32 exec_lo, exec_lo, s1
	ds_store_b64 v235, v[52:53]
.LBB123_152:
	s_or_b32 exec_lo, exec_lo, s2
	s_wait_dscnt 0x0
	s_barrier_signal -1
	s_barrier_wait -1
	ds_load_b64 v[50:51], v235
	s_mov_b32 s1, exec_lo
	v_cmpx_lt_u32_e32 16, v234
	s_cbranch_execz .LBB123_154
; %bb.153:
	ds_load_2addr_b64 v[68:71], v236 offset0:17 offset1:18
	s_wait_dscnt 0x1
	v_pk_mul_f32 v[54:55], v[50:51], v[82:83] op_sel:[1,1] op_sel_hi:[0,1]
	s_delay_alu instid0(VALU_DEP_1) | instskip(SKIP_1) | instid1(VALU_DEP_1)
	v_pk_fma_f32 v[52:53], v[50:51], v[82:83], v[54:55] op_sel_hi:[1,0,1] neg_lo:[0,0,1] neg_hi:[0,0,1]
	v_pk_fma_f32 v[54:55], v[50:51], v[82:83], v[54:55] op_sel_hi:[1,0,1]
	v_dual_mov_b32 v82, v52 :: v_dual_mov_b32 v83, v55
	s_wait_dscnt 0x0
	s_delay_alu instid0(VALU_DEP_2) | instskip(NEXT) | instid1(VALU_DEP_1)
	v_pk_mul_f32 v[72:73], v[68:69], v[54:55] op_sel:[0,1]
	v_pk_fma_f32 v[74:75], v[68:69], v[52:53], v[72:73] op_sel:[0,0,1] op_sel_hi:[1,1,0] neg_lo:[0,0,1] neg_hi:[0,0,1]
	v_pk_fma_f32 v[68:69], v[68:69], v[52:53], v[72:73] op_sel:[0,0,1] op_sel_hi:[1,0,0]
	s_delay_alu instid0(VALU_DEP_1) | instskip(SKIP_1) | instid1(VALU_DEP_1)
	v_mov_b32_e32 v75, v69
	v_pk_mul_f32 v[68:69], v[70:71], v[54:55] op_sel:[0,1]
	v_pk_fma_f32 v[72:73], v[70:71], v[52:53], v[68:69] op_sel:[0,0,1] op_sel_hi:[1,1,0] neg_lo:[0,0,1] neg_hi:[0,0,1]
	v_pk_fma_f32 v[68:69], v[70:71], v[52:53], v[68:69] op_sel:[0,0,1] op_sel_hi:[1,0,0]
	s_delay_alu instid0(VALU_DEP_1)
	v_mov_b32_e32 v73, v69
	ds_load_2addr_b64 v[68:71], v236 offset0:19 offset1:20
	v_pk_add_f32 v[78:79], v[78:79], v[74:75] neg_lo:[0,1] neg_hi:[0,1]
	v_pk_add_f32 v[80:81], v[80:81], v[72:73] neg_lo:[0,1] neg_hi:[0,1]
	s_wait_dscnt 0x0
	v_pk_mul_f32 v[72:73], v[68:69], v[54:55] op_sel:[0,1]
	s_delay_alu instid0(VALU_DEP_1) | instskip(SKIP_2) | instid1(VALU_DEP_2)
	v_pk_fma_f32 v[74:75], v[68:69], v[52:53], v[72:73] op_sel:[0,0,1] op_sel_hi:[1,1,0] neg_lo:[0,0,1] neg_hi:[0,0,1]
	v_pk_fma_f32 v[68:69], v[68:69], v[52:53], v[72:73] op_sel:[0,0,1] op_sel_hi:[1,0,0]
	v_dual_mul_f32 v72, v71, v55 :: v_dual_mov_b32 v68, v71
	v_dual_mov_b32 v75, v69 :: v_dual_mov_b32 v69, v70
	s_delay_alu instid0(VALU_DEP_2) | instskip(SKIP_1) | instid1(VALU_DEP_3)
	v_pk_fma_f32 v[72:73], v[70:71], v[82:83], v[72:73] op_sel_hi:[1,1,0] neg_lo:[0,0,1] neg_hi:[0,0,1]
	v_mul_f32_e32 v70, v71, v52
	v_pk_add_f32 v[76:77], v[76:77], v[74:75] neg_lo:[0,1] neg_hi:[0,1]
	s_delay_alu instid0(VALU_DEP_2) | instskip(NEXT) | instid1(VALU_DEP_1)
	v_pk_fma_f32 v[68:69], v[68:69], v[82:83], v[70:71] op_sel_hi:[1,1,0]
	v_mov_b32_e32 v73, v69
	ds_load_2addr_b64 v[68:71], v236 offset0:21 offset1:22
	v_pk_add_f32 v[98:99], v[98:99], v[72:73] neg_lo:[0,1] neg_hi:[0,1]
	s_wait_dscnt 0x0
	v_pk_mul_f32 v[72:73], v[68:69], v[54:55] op_sel:[0,1]
	s_delay_alu instid0(VALU_DEP_1) | instskip(SKIP_1) | instid1(VALU_DEP_1)
	v_pk_fma_f32 v[74:75], v[68:69], v[52:53], v[72:73] op_sel:[0,0,1] op_sel_hi:[1,1,0] neg_lo:[0,0,1] neg_hi:[0,0,1]
	v_pk_fma_f32 v[68:69], v[68:69], v[52:53], v[72:73] op_sel:[0,0,1] op_sel_hi:[1,0,0]
	v_mov_b32_e32 v75, v69
	v_pk_mul_f32 v[68:69], v[70:71], v[54:55] op_sel:[0,1]
	s_delay_alu instid0(VALU_DEP_1) | instskip(SKIP_1) | instid1(VALU_DEP_1)
	v_pk_fma_f32 v[72:73], v[70:71], v[52:53], v[68:69] op_sel:[0,0,1] op_sel_hi:[1,1,0] neg_lo:[0,0,1] neg_hi:[0,0,1]
	v_pk_fma_f32 v[68:69], v[70:71], v[52:53], v[68:69] op_sel:[0,0,1] op_sel_hi:[1,0,0]
	v_mov_b32_e32 v73, v69
	ds_load_2addr_b64 v[68:71], v236 offset0:23 offset1:24
	v_pk_add_f32 v[94:95], v[94:95], v[74:75] neg_lo:[0,1] neg_hi:[0,1]
	v_pk_add_f32 v[96:97], v[96:97], v[72:73] neg_lo:[0,1] neg_hi:[0,1]
	s_wait_dscnt 0x0
	v_pk_mul_f32 v[72:73], v[68:69], v[54:55] op_sel:[0,1]
	s_delay_alu instid0(VALU_DEP_1) | instskip(SKIP_1) | instid1(VALU_DEP_1)
	v_pk_fma_f32 v[74:75], v[68:69], v[52:53], v[72:73] op_sel:[0,0,1] op_sel_hi:[1,1,0] neg_lo:[0,0,1] neg_hi:[0,0,1]
	v_pk_fma_f32 v[68:69], v[68:69], v[52:53], v[72:73] op_sel:[0,0,1] op_sel_hi:[1,0,0]
	v_mov_b32_e32 v75, v69
	v_pk_mul_f32 v[68:69], v[70:71], v[54:55] op_sel:[0,1]
	s_delay_alu instid0(VALU_DEP_1) | instskip(SKIP_1) | instid1(VALU_DEP_1)
	v_pk_fma_f32 v[72:73], v[70:71], v[52:53], v[68:69] op_sel:[0,0,1] op_sel_hi:[1,1,0] neg_lo:[0,0,1] neg_hi:[0,0,1]
	v_pk_fma_f32 v[68:69], v[70:71], v[52:53], v[68:69] op_sel:[0,0,1] op_sel_hi:[1,0,0]
	v_mov_b32_e32 v73, v69
	ds_load_2addr_b64 v[68:71], v236 offset0:25 offset1:26
	v_pk_add_f32 v[92:93], v[92:93], v[74:75] neg_lo:[0,1] neg_hi:[0,1]
	v_pk_add_f32 v[114:115], v[114:115], v[72:73] neg_lo:[0,1] neg_hi:[0,1]
	s_wait_dscnt 0x0
	v_dual_mul_f32 v72, v69, v55 :: v_dual_mul_f32 v74, v69, v52
	s_delay_alu instid0(VALU_DEP_1) | instskip(NEXT) | instid1(VALU_DEP_2)
	v_pk_fma_f32 v[72:73], v[68:69], v[82:83], v[72:73] op_sel_hi:[1,1,0] neg_lo:[0,0,1] neg_hi:[0,0,1]
	v_pk_fma_f32 v[68:69], v[68:69], v[82:83], v[74:75] op_sel:[1,0,0] op_sel_hi:[0,1,0]
	s_delay_alu instid0(VALU_DEP_1) | instskip(SKIP_1) | instid1(VALU_DEP_2)
	v_mov_b32_e32 v73, v69
	v_pk_mul_f32 v[68:69], v[70:71], v[54:55] op_sel:[0,1]
	v_pk_add_f32 v[110:111], v[110:111], v[72:73] neg_lo:[0,1] neg_hi:[0,1]
	s_delay_alu instid0(VALU_DEP_2) | instskip(SKIP_1) | instid1(VALU_DEP_1)
	v_pk_fma_f32 v[72:73], v[70:71], v[52:53], v[68:69] op_sel:[0,0,1] op_sel_hi:[1,1,0] neg_lo:[0,0,1] neg_hi:[0,0,1]
	v_pk_fma_f32 v[68:69], v[70:71], v[52:53], v[68:69] op_sel:[0,0,1] op_sel_hi:[1,0,0]
	v_mov_b32_e32 v73, v69
	ds_load_2addr_b64 v[68:71], v236 offset0:27 offset1:28
	v_pk_add_f32 v[112:113], v[112:113], v[72:73] neg_lo:[0,1] neg_hi:[0,1]
	s_wait_dscnt 0x0
	v_pk_mul_f32 v[72:73], v[68:69], v[54:55] op_sel:[0,1]
	s_delay_alu instid0(VALU_DEP_1) | instskip(SKIP_1) | instid1(VALU_DEP_1)
	v_pk_fma_f32 v[74:75], v[68:69], v[52:53], v[72:73] op_sel:[0,0,1] op_sel_hi:[1,1,0] neg_lo:[0,0,1] neg_hi:[0,0,1]
	v_pk_fma_f32 v[68:69], v[68:69], v[52:53], v[72:73] op_sel:[0,0,1] op_sel_hi:[1,0,0]
	v_mov_b32_e32 v75, v69
	v_pk_mul_f32 v[68:69], v[70:71], v[54:55] op_sel:[0,1]
	s_delay_alu instid0(VALU_DEP_2) | instskip(NEXT) | instid1(VALU_DEP_2)
	v_pk_add_f32 v[108:109], v[108:109], v[74:75] neg_lo:[0,1] neg_hi:[0,1]
	v_pk_fma_f32 v[72:73], v[70:71], v[52:53], v[68:69] op_sel:[0,0,1] op_sel_hi:[1,1,0] neg_lo:[0,0,1] neg_hi:[0,0,1]
	v_pk_fma_f32 v[68:69], v[70:71], v[52:53], v[68:69] op_sel:[0,0,1] op_sel_hi:[1,0,0]
	s_delay_alu instid0(VALU_DEP_1) | instskip(SKIP_4) | instid1(VALU_DEP_1)
	v_mov_b32_e32 v73, v69
	ds_load_2addr_b64 v[68:71], v236 offset0:29 offset1:30
	v_pk_add_f32 v[130:131], v[130:131], v[72:73] neg_lo:[0,1] neg_hi:[0,1]
	s_wait_dscnt 0x0
	v_pk_mul_f32 v[72:73], v[68:69], v[54:55] op_sel:[0,1]
	v_pk_fma_f32 v[74:75], v[68:69], v[52:53], v[72:73] op_sel:[0,0,1] op_sel_hi:[1,1,0] neg_lo:[0,0,1] neg_hi:[0,0,1]
	v_pk_fma_f32 v[68:69], v[68:69], v[52:53], v[72:73] op_sel:[0,0,1] op_sel_hi:[1,0,0]
	v_dual_mul_f32 v72, v71, v55 :: v_dual_mov_b32 v68, v71
	s_delay_alu instid0(VALU_DEP_2) | instskip(NEXT) | instid1(VALU_DEP_2)
	v_dual_mov_b32 v75, v69 :: v_dual_mov_b32 v69, v70
	v_pk_fma_f32 v[72:73], v[70:71], v[82:83], v[72:73] op_sel_hi:[1,1,0] neg_lo:[0,0,1] neg_hi:[0,0,1]
	v_mul_f32_e32 v70, v71, v52
	s_delay_alu instid0(VALU_DEP_3) | instskip(NEXT) | instid1(VALU_DEP_2)
	v_pk_add_f32 v[126:127], v[126:127], v[74:75] neg_lo:[0,1] neg_hi:[0,1]
	v_pk_fma_f32 v[68:69], v[68:69], v[82:83], v[70:71] op_sel_hi:[1,1,0]
	s_delay_alu instid0(VALU_DEP_1) | instskip(SKIP_4) | instid1(VALU_DEP_1)
	v_mov_b32_e32 v73, v69
	ds_load_2addr_b64 v[68:71], v236 offset0:31 offset1:32
	v_pk_add_f32 v[128:129], v[128:129], v[72:73] neg_lo:[0,1] neg_hi:[0,1]
	s_wait_dscnt 0x0
	v_pk_mul_f32 v[72:73], v[68:69], v[54:55] op_sel:[0,1]
	v_pk_fma_f32 v[74:75], v[68:69], v[52:53], v[72:73] op_sel:[0,0,1] op_sel_hi:[1,1,0] neg_lo:[0,0,1] neg_hi:[0,0,1]
	v_pk_fma_f32 v[68:69], v[68:69], v[52:53], v[72:73] op_sel:[0,0,1] op_sel_hi:[1,0,0]
	s_delay_alu instid0(VALU_DEP_1) | instskip(SKIP_1) | instid1(VALU_DEP_1)
	v_mov_b32_e32 v75, v69
	v_pk_mul_f32 v[68:69], v[70:71], v[54:55] op_sel:[0,1]
	v_pk_fma_f32 v[72:73], v[70:71], v[52:53], v[68:69] op_sel:[0,0,1] op_sel_hi:[1,1,0] neg_lo:[0,0,1] neg_hi:[0,0,1]
	v_pk_fma_f32 v[68:69], v[70:71], v[52:53], v[68:69] op_sel:[0,0,1] op_sel_hi:[1,0,0]
	s_delay_alu instid0(VALU_DEP_1)
	v_mov_b32_e32 v73, v69
	ds_load_2addr_b64 v[68:71], v236 offset0:33 offset1:34
	v_pk_add_f32 v[124:125], v[124:125], v[74:75] neg_lo:[0,1] neg_hi:[0,1]
	v_pk_add_f32 v[146:147], v[146:147], v[72:73] neg_lo:[0,1] neg_hi:[0,1]
	s_wait_dscnt 0x0
	v_pk_mul_f32 v[72:73], v[68:69], v[54:55] op_sel:[0,1]
	s_delay_alu instid0(VALU_DEP_1) | instskip(SKIP_1) | instid1(VALU_DEP_1)
	v_pk_fma_f32 v[74:75], v[68:69], v[52:53], v[72:73] op_sel:[0,0,1] op_sel_hi:[1,1,0] neg_lo:[0,0,1] neg_hi:[0,0,1]
	v_pk_fma_f32 v[68:69], v[68:69], v[52:53], v[72:73] op_sel:[0,0,1] op_sel_hi:[1,0,0]
	v_mov_b32_e32 v75, v69
	v_pk_mul_f32 v[68:69], v[70:71], v[54:55] op_sel:[0,1]
	s_delay_alu instid0(VALU_DEP_1) | instskip(SKIP_1) | instid1(VALU_DEP_1)
	v_pk_fma_f32 v[72:73], v[70:71], v[52:53], v[68:69] op_sel:[0,0,1] op_sel_hi:[1,1,0] neg_lo:[0,0,1] neg_hi:[0,0,1]
	v_pk_fma_f32 v[68:69], v[70:71], v[52:53], v[68:69] op_sel:[0,0,1] op_sel_hi:[1,0,0]
	v_mov_b32_e32 v73, v69
	ds_load_2addr_b64 v[68:71], v236 offset0:35 offset1:36
	v_pk_add_f32 v[142:143], v[142:143], v[74:75] neg_lo:[0,1] neg_hi:[0,1]
	v_pk_add_f32 v[144:145], v[144:145], v[72:73] neg_lo:[0,1] neg_hi:[0,1]
	s_wait_dscnt 0x0
	v_dual_mul_f32 v72, v69, v55 :: v_dual_mul_f32 v74, v69, v52
	s_delay_alu instid0(VALU_DEP_1) | instskip(NEXT) | instid1(VALU_DEP_2)
	v_pk_fma_f32 v[72:73], v[68:69], v[82:83], v[72:73] op_sel_hi:[1,1,0] neg_lo:[0,0,1] neg_hi:[0,0,1]
	v_pk_fma_f32 v[68:69], v[68:69], v[82:83], v[74:75] op_sel:[1,0,0] op_sel_hi:[0,1,0]
	s_delay_alu instid0(VALU_DEP_1) | instskip(SKIP_1) | instid1(VALU_DEP_2)
	v_mov_b32_e32 v73, v69
	v_pk_mul_f32 v[68:69], v[70:71], v[54:55] op_sel:[0,1]
	v_pk_add_f32 v[140:141], v[140:141], v[72:73] neg_lo:[0,1] neg_hi:[0,1]
	s_delay_alu instid0(VALU_DEP_2) | instskip(SKIP_1) | instid1(VALU_DEP_1)
	v_pk_fma_f32 v[72:73], v[70:71], v[52:53], v[68:69] op_sel:[0,0,1] op_sel_hi:[1,1,0] neg_lo:[0,0,1] neg_hi:[0,0,1]
	v_pk_fma_f32 v[68:69], v[70:71], v[52:53], v[68:69] op_sel:[0,0,1] op_sel_hi:[1,0,0]
	v_mov_b32_e32 v73, v69
	ds_load_2addr_b64 v[68:71], v236 offset0:37 offset1:38
	v_pk_add_f32 v[162:163], v[162:163], v[72:73] neg_lo:[0,1] neg_hi:[0,1]
	s_wait_dscnt 0x0
	v_pk_mul_f32 v[72:73], v[68:69], v[54:55] op_sel:[0,1]
	s_delay_alu instid0(VALU_DEP_1) | instskip(SKIP_1) | instid1(VALU_DEP_1)
	v_pk_fma_f32 v[74:75], v[68:69], v[52:53], v[72:73] op_sel:[0,0,1] op_sel_hi:[1,1,0] neg_lo:[0,0,1] neg_hi:[0,0,1]
	v_pk_fma_f32 v[68:69], v[68:69], v[52:53], v[72:73] op_sel:[0,0,1] op_sel_hi:[1,0,0]
	v_mov_b32_e32 v75, v69
	v_pk_mul_f32 v[68:69], v[70:71], v[54:55] op_sel:[0,1]
	s_delay_alu instid0(VALU_DEP_2) | instskip(NEXT) | instid1(VALU_DEP_2)
	v_pk_add_f32 v[158:159], v[158:159], v[74:75] neg_lo:[0,1] neg_hi:[0,1]
	v_pk_fma_f32 v[72:73], v[70:71], v[52:53], v[68:69] op_sel:[0,0,1] op_sel_hi:[1,1,0] neg_lo:[0,0,1] neg_hi:[0,0,1]
	v_pk_fma_f32 v[68:69], v[70:71], v[52:53], v[68:69] op_sel:[0,0,1] op_sel_hi:[1,0,0]
	s_delay_alu instid0(VALU_DEP_1) | instskip(SKIP_4) | instid1(VALU_DEP_1)
	v_mov_b32_e32 v73, v69
	ds_load_2addr_b64 v[68:71], v236 offset0:39 offset1:40
	v_pk_add_f32 v[160:161], v[160:161], v[72:73] neg_lo:[0,1] neg_hi:[0,1]
	s_wait_dscnt 0x0
	v_pk_mul_f32 v[72:73], v[68:69], v[54:55] op_sel:[0,1]
	v_pk_fma_f32 v[74:75], v[68:69], v[52:53], v[72:73] op_sel:[0,0,1] op_sel_hi:[1,1,0] neg_lo:[0,0,1] neg_hi:[0,0,1]
	v_pk_fma_f32 v[68:69], v[68:69], v[52:53], v[72:73] op_sel:[0,0,1] op_sel_hi:[1,0,0]
	v_dual_mul_f32 v72, v71, v55 :: v_dual_mov_b32 v68, v71
	s_delay_alu instid0(VALU_DEP_2) | instskip(NEXT) | instid1(VALU_DEP_2)
	v_dual_mov_b32 v75, v69 :: v_dual_mov_b32 v69, v70
	v_pk_fma_f32 v[72:73], v[70:71], v[82:83], v[72:73] op_sel_hi:[1,1,0] neg_lo:[0,0,1] neg_hi:[0,0,1]
	v_mul_f32_e32 v70, v71, v52
	s_delay_alu instid0(VALU_DEP_3) | instskip(NEXT) | instid1(VALU_DEP_2)
	v_pk_add_f32 v[156:157], v[156:157], v[74:75] neg_lo:[0,1] neg_hi:[0,1]
	v_pk_fma_f32 v[68:69], v[68:69], v[82:83], v[70:71] op_sel_hi:[1,1,0]
	s_delay_alu instid0(VALU_DEP_1) | instskip(SKIP_4) | instid1(VALU_DEP_1)
	v_mov_b32_e32 v73, v69
	ds_load_2addr_b64 v[68:71], v236 offset0:41 offset1:42
	v_pk_add_f32 v[178:179], v[178:179], v[72:73] neg_lo:[0,1] neg_hi:[0,1]
	s_wait_dscnt 0x0
	v_pk_mul_f32 v[72:73], v[68:69], v[54:55] op_sel:[0,1]
	v_pk_fma_f32 v[74:75], v[68:69], v[52:53], v[72:73] op_sel:[0,0,1] op_sel_hi:[1,1,0] neg_lo:[0,0,1] neg_hi:[0,0,1]
	v_pk_fma_f32 v[68:69], v[68:69], v[52:53], v[72:73] op_sel:[0,0,1] op_sel_hi:[1,0,0]
	s_delay_alu instid0(VALU_DEP_1) | instskip(SKIP_1) | instid1(VALU_DEP_1)
	v_mov_b32_e32 v75, v69
	v_pk_mul_f32 v[68:69], v[70:71], v[54:55] op_sel:[0,1]
	v_pk_fma_f32 v[72:73], v[70:71], v[52:53], v[68:69] op_sel:[0,0,1] op_sel_hi:[1,1,0] neg_lo:[0,0,1] neg_hi:[0,0,1]
	v_pk_fma_f32 v[68:69], v[70:71], v[52:53], v[68:69] op_sel:[0,0,1] op_sel_hi:[1,0,0]
	s_delay_alu instid0(VALU_DEP_1)
	v_mov_b32_e32 v73, v69
	ds_load_2addr_b64 v[68:71], v236 offset0:43 offset1:44
	v_pk_add_f32 v[174:175], v[174:175], v[74:75] neg_lo:[0,1] neg_hi:[0,1]
	v_pk_add_f32 v[176:177], v[176:177], v[72:73] neg_lo:[0,1] neg_hi:[0,1]
	s_wait_dscnt 0x0
	v_pk_mul_f32 v[72:73], v[68:69], v[54:55] op_sel:[0,1]
	s_delay_alu instid0(VALU_DEP_1) | instskip(SKIP_1) | instid1(VALU_DEP_1)
	v_pk_fma_f32 v[74:75], v[68:69], v[52:53], v[72:73] op_sel:[0,0,1] op_sel_hi:[1,1,0] neg_lo:[0,0,1] neg_hi:[0,0,1]
	v_pk_fma_f32 v[68:69], v[68:69], v[52:53], v[72:73] op_sel:[0,0,1] op_sel_hi:[1,0,0]
	v_mov_b32_e32 v75, v69
	v_pk_mul_f32 v[68:69], v[70:71], v[54:55] op_sel:[0,1]
	s_delay_alu instid0(VALU_DEP_1) | instskip(SKIP_1) | instid1(VALU_DEP_1)
	v_pk_fma_f32 v[72:73], v[70:71], v[52:53], v[68:69] op_sel:[0,0,1] op_sel_hi:[1,1,0] neg_lo:[0,0,1] neg_hi:[0,0,1]
	v_pk_fma_f32 v[68:69], v[70:71], v[52:53], v[68:69] op_sel:[0,0,1] op_sel_hi:[1,0,0]
	v_mov_b32_e32 v73, v69
	ds_load_2addr_b64 v[68:71], v236 offset0:45 offset1:46
	v_pk_add_f32 v[172:173], v[172:173], v[74:75] neg_lo:[0,1] neg_hi:[0,1]
	v_pk_add_f32 v[194:195], v[194:195], v[72:73] neg_lo:[0,1] neg_hi:[0,1]
	s_wait_dscnt 0x0
	v_dual_mul_f32 v72, v69, v55 :: v_dual_mul_f32 v74, v69, v52
	s_delay_alu instid0(VALU_DEP_1) | instskip(NEXT) | instid1(VALU_DEP_2)
	v_pk_fma_f32 v[72:73], v[68:69], v[82:83], v[72:73] op_sel_hi:[1,1,0] neg_lo:[0,0,1] neg_hi:[0,0,1]
	v_pk_fma_f32 v[68:69], v[68:69], v[82:83], v[74:75] op_sel:[1,0,0] op_sel_hi:[0,1,0]
	s_delay_alu instid0(VALU_DEP_1) | instskip(SKIP_1) | instid1(VALU_DEP_2)
	v_mov_b32_e32 v73, v69
	v_pk_mul_f32 v[68:69], v[70:71], v[54:55] op_sel:[0,1]
	v_pk_add_f32 v[190:191], v[190:191], v[72:73] neg_lo:[0,1] neg_hi:[0,1]
	s_delay_alu instid0(VALU_DEP_2) | instskip(SKIP_1) | instid1(VALU_DEP_1)
	v_pk_fma_f32 v[72:73], v[70:71], v[52:53], v[68:69] op_sel:[0,0,1] op_sel_hi:[1,1,0] neg_lo:[0,0,1] neg_hi:[0,0,1]
	v_pk_fma_f32 v[68:69], v[70:71], v[52:53], v[68:69] op_sel:[0,0,1] op_sel_hi:[1,0,0]
	v_mov_b32_e32 v73, v69
	ds_load_2addr_b64 v[68:71], v236 offset0:47 offset1:48
	v_pk_add_f32 v[192:193], v[192:193], v[72:73] neg_lo:[0,1] neg_hi:[0,1]
	s_wait_dscnt 0x0
	v_pk_mul_f32 v[72:73], v[68:69], v[54:55] op_sel:[0,1]
	s_delay_alu instid0(VALU_DEP_1) | instskip(SKIP_1) | instid1(VALU_DEP_1)
	v_pk_fma_f32 v[74:75], v[68:69], v[52:53], v[72:73] op_sel:[0,0,1] op_sel_hi:[1,1,0] neg_lo:[0,0,1] neg_hi:[0,0,1]
	v_pk_fma_f32 v[68:69], v[68:69], v[52:53], v[72:73] op_sel:[0,0,1] op_sel_hi:[1,0,0]
	v_mov_b32_e32 v75, v69
	v_pk_mul_f32 v[68:69], v[70:71], v[54:55] op_sel:[0,1]
	s_delay_alu instid0(VALU_DEP_2) | instskip(NEXT) | instid1(VALU_DEP_2)
	v_pk_add_f32 v[188:189], v[188:189], v[74:75] neg_lo:[0,1] neg_hi:[0,1]
	v_pk_fma_f32 v[72:73], v[70:71], v[52:53], v[68:69] op_sel:[0,0,1] op_sel_hi:[1,1,0] neg_lo:[0,0,1] neg_hi:[0,0,1]
	v_pk_fma_f32 v[68:69], v[70:71], v[52:53], v[68:69] op_sel:[0,0,1] op_sel_hi:[1,0,0]
	s_delay_alu instid0(VALU_DEP_1) | instskip(SKIP_4) | instid1(VALU_DEP_1)
	v_mov_b32_e32 v73, v69
	ds_load_2addr_b64 v[68:71], v236 offset0:49 offset1:50
	v_pk_add_f32 v[210:211], v[210:211], v[72:73] neg_lo:[0,1] neg_hi:[0,1]
	s_wait_dscnt 0x0
	v_pk_mul_f32 v[72:73], v[68:69], v[54:55] op_sel:[0,1]
	v_pk_fma_f32 v[74:75], v[68:69], v[52:53], v[72:73] op_sel:[0,0,1] op_sel_hi:[1,1,0] neg_lo:[0,0,1] neg_hi:[0,0,1]
	v_pk_fma_f32 v[68:69], v[68:69], v[52:53], v[72:73] op_sel:[0,0,1] op_sel_hi:[1,0,0]
	v_dual_mul_f32 v72, v71, v55 :: v_dual_mov_b32 v68, v71
	s_delay_alu instid0(VALU_DEP_2) | instskip(NEXT) | instid1(VALU_DEP_2)
	v_dual_mov_b32 v75, v69 :: v_dual_mov_b32 v69, v70
	v_pk_fma_f32 v[72:73], v[70:71], v[82:83], v[72:73] op_sel_hi:[1,1,0] neg_lo:[0,0,1] neg_hi:[0,0,1]
	v_mul_f32_e32 v70, v71, v52
	s_delay_alu instid0(VALU_DEP_3) | instskip(NEXT) | instid1(VALU_DEP_2)
	v_pk_add_f32 v[206:207], v[206:207], v[74:75] neg_lo:[0,1] neg_hi:[0,1]
	v_pk_fma_f32 v[68:69], v[68:69], v[82:83], v[70:71] op_sel_hi:[1,1,0]
	s_delay_alu instid0(VALU_DEP_1) | instskip(SKIP_4) | instid1(VALU_DEP_1)
	v_mov_b32_e32 v73, v69
	ds_load_2addr_b64 v[68:71], v236 offset0:51 offset1:52
	v_pk_add_f32 v[208:209], v[208:209], v[72:73] neg_lo:[0,1] neg_hi:[0,1]
	s_wait_dscnt 0x0
	v_pk_mul_f32 v[72:73], v[68:69], v[54:55] op_sel:[0,1]
	v_pk_fma_f32 v[74:75], v[68:69], v[52:53], v[72:73] op_sel:[0,0,1] op_sel_hi:[1,1,0] neg_lo:[0,0,1] neg_hi:[0,0,1]
	v_pk_fma_f32 v[68:69], v[68:69], v[52:53], v[72:73] op_sel:[0,0,1] op_sel_hi:[1,0,0]
	s_delay_alu instid0(VALU_DEP_1) | instskip(SKIP_1) | instid1(VALU_DEP_1)
	v_mov_b32_e32 v75, v69
	v_pk_mul_f32 v[68:69], v[70:71], v[54:55] op_sel:[0,1]
	v_pk_fma_f32 v[72:73], v[70:71], v[52:53], v[68:69] op_sel:[0,0,1] op_sel_hi:[1,1,0] neg_lo:[0,0,1] neg_hi:[0,0,1]
	v_pk_fma_f32 v[68:69], v[70:71], v[52:53], v[68:69] op_sel:[0,0,1] op_sel_hi:[1,0,0]
	s_delay_alu instid0(VALU_DEP_1)
	v_mov_b32_e32 v73, v69
	ds_load_2addr_b64 v[68:71], v236 offset0:53 offset1:54
	v_pk_add_f32 v[204:205], v[204:205], v[74:75] neg_lo:[0,1] neg_hi:[0,1]
	v_pk_add_f32 v[228:229], v[228:229], v[72:73] neg_lo:[0,1] neg_hi:[0,1]
	s_wait_dscnt 0x0
	v_pk_mul_f32 v[72:73], v[68:69], v[54:55] op_sel:[0,1]
	s_delay_alu instid0(VALU_DEP_1) | instskip(SKIP_1) | instid1(VALU_DEP_1)
	v_pk_fma_f32 v[74:75], v[68:69], v[52:53], v[72:73] op_sel:[0,0,1] op_sel_hi:[1,1,0] neg_lo:[0,0,1] neg_hi:[0,0,1]
	v_pk_fma_f32 v[68:69], v[68:69], v[52:53], v[72:73] op_sel:[0,0,1] op_sel_hi:[1,0,0]
	v_mov_b32_e32 v75, v69
	v_pk_mul_f32 v[68:69], v[70:71], v[54:55] op_sel:[0,1]
	s_delay_alu instid0(VALU_DEP_1) | instskip(SKIP_1) | instid1(VALU_DEP_1)
	v_pk_fma_f32 v[72:73], v[70:71], v[52:53], v[68:69] op_sel:[0,0,1] op_sel_hi:[1,1,0] neg_lo:[0,0,1] neg_hi:[0,0,1]
	v_pk_fma_f32 v[68:69], v[70:71], v[52:53], v[68:69] op_sel:[0,0,1] op_sel_hi:[1,0,0]
	v_mov_b32_e32 v73, v69
	ds_load_2addr_b64 v[68:71], v236 offset0:55 offset1:56
	v_pk_add_f32 v[224:225], v[224:225], v[74:75] neg_lo:[0,1] neg_hi:[0,1]
	v_pk_add_f32 v[226:227], v[226:227], v[72:73] neg_lo:[0,1] neg_hi:[0,1]
	s_wait_dscnt 0x0
	v_dual_mul_f32 v72, v69, v55 :: v_dual_mul_f32 v74, v69, v52
	s_delay_alu instid0(VALU_DEP_1) | instskip(NEXT) | instid1(VALU_DEP_2)
	v_pk_fma_f32 v[72:73], v[68:69], v[82:83], v[72:73] op_sel_hi:[1,1,0] neg_lo:[0,0,1] neg_hi:[0,0,1]
	v_pk_fma_f32 v[68:69], v[68:69], v[82:83], v[74:75] op_sel:[1,0,0] op_sel_hi:[0,1,0]
	s_delay_alu instid0(VALU_DEP_1) | instskip(SKIP_1) | instid1(VALU_DEP_2)
	v_mov_b32_e32 v73, v69
	v_pk_mul_f32 v[68:69], v[70:71], v[54:55] op_sel:[0,1]
	v_pk_add_f32 v[222:223], v[222:223], v[72:73] neg_lo:[0,1] neg_hi:[0,1]
	s_delay_alu instid0(VALU_DEP_2) | instskip(SKIP_1) | instid1(VALU_DEP_1)
	v_pk_fma_f32 v[72:73], v[70:71], v[52:53], v[68:69] op_sel:[0,0,1] op_sel_hi:[1,1,0] neg_lo:[0,0,1] neg_hi:[0,0,1]
	v_pk_fma_f32 v[68:69], v[70:71], v[52:53], v[68:69] op_sel:[0,0,1] op_sel_hi:[1,0,0]
	v_mov_b32_e32 v73, v69
	ds_load_2addr_b64 v[68:71], v236 offset0:57 offset1:58
	v_pk_add_f32 v[244:245], v[244:245], v[72:73] neg_lo:[0,1] neg_hi:[0,1]
	s_wait_dscnt 0x0
	v_pk_mul_f32 v[72:73], v[68:69], v[54:55] op_sel:[0,1]
	s_delay_alu instid0(VALU_DEP_1) | instskip(SKIP_1) | instid1(VALU_DEP_1)
	v_pk_fma_f32 v[74:75], v[68:69], v[52:53], v[72:73] op_sel:[0,0,1] op_sel_hi:[1,1,0] neg_lo:[0,0,1] neg_hi:[0,0,1]
	v_pk_fma_f32 v[68:69], v[68:69], v[52:53], v[72:73] op_sel:[0,0,1] op_sel_hi:[1,0,0]
	v_mov_b32_e32 v75, v69
	v_pk_mul_f32 v[68:69], v[70:71], v[54:55] op_sel:[0,1]
	s_delay_alu instid0(VALU_DEP_2) | instskip(NEXT) | instid1(VALU_DEP_2)
	v_pk_add_f32 v[240:241], v[240:241], v[74:75] neg_lo:[0,1] neg_hi:[0,1]
	v_pk_fma_f32 v[72:73], v[70:71], v[52:53], v[68:69] op_sel:[0,0,1] op_sel_hi:[1,1,0] neg_lo:[0,0,1] neg_hi:[0,0,1]
	v_pk_fma_f32 v[68:69], v[70:71], v[52:53], v[68:69] op_sel:[0,0,1] op_sel_hi:[1,0,0]
	s_delay_alu instid0(VALU_DEP_1) | instskip(SKIP_4) | instid1(VALU_DEP_1)
	v_mov_b32_e32 v73, v69
	ds_load_2addr_b64 v[68:71], v236 offset0:59 offset1:60
	v_pk_add_f32 v[242:243], v[242:243], v[72:73] neg_lo:[0,1] neg_hi:[0,1]
	s_wait_dscnt 0x0
	v_pk_mul_f32 v[72:73], v[68:69], v[54:55] op_sel:[0,1]
	v_pk_fma_f32 v[74:75], v[68:69], v[52:53], v[72:73] op_sel:[0,0,1] op_sel_hi:[1,1,0] neg_lo:[0,0,1] neg_hi:[0,0,1]
	v_pk_fma_f32 v[68:69], v[68:69], v[52:53], v[72:73] op_sel:[0,0,1] op_sel_hi:[1,0,0]
	v_dual_mul_f32 v72, v71, v55 :: v_dual_mov_b32 v68, v71
	s_delay_alu instid0(VALU_DEP_2) | instskip(NEXT) | instid1(VALU_DEP_2)
	v_dual_mov_b32 v75, v69 :: v_dual_mov_b32 v69, v70
	v_pk_fma_f32 v[72:73], v[70:71], v[82:83], v[72:73] op_sel_hi:[1,1,0] neg_lo:[0,0,1] neg_hi:[0,0,1]
	v_mul_f32_e32 v70, v71, v52
	s_delay_alu instid0(VALU_DEP_3) | instskip(NEXT) | instid1(VALU_DEP_2)
	v_pk_add_f32 v[238:239], v[238:239], v[74:75] neg_lo:[0,1] neg_hi:[0,1]
	v_pk_fma_f32 v[68:69], v[68:69], v[82:83], v[70:71] op_sel_hi:[1,1,0]
	s_delay_alu instid0(VALU_DEP_1) | instskip(SKIP_4) | instid1(VALU_DEP_1)
	v_mov_b32_e32 v73, v69
	ds_load_b64 v[68:69], v236 offset:488
	v_pk_add_f32 v[246:247], v[246:247], v[72:73] neg_lo:[0,1] neg_hi:[0,1]
	s_wait_dscnt 0x0
	v_pk_mul_f32 v[54:55], v[68:69], v[54:55] op_sel:[0,1]
	v_pk_fma_f32 v[70:71], v[68:69], v[52:53], v[54:55] op_sel:[0,0,1] op_sel_hi:[1,1,0] neg_lo:[0,0,1] neg_hi:[0,0,1]
	v_pk_fma_f32 v[52:53], v[68:69], v[52:53], v[54:55] op_sel:[0,0,1] op_sel_hi:[1,0,0]
	s_delay_alu instid0(VALU_DEP_1) | instskip(NEXT) | instid1(VALU_DEP_1)
	v_mov_b32_e32 v71, v53
	v_pk_add_f32 v[248:249], v[248:249], v[70:71] neg_lo:[0,1] neg_hi:[0,1]
.LBB123_154:
	s_or_b32 exec_lo, exec_lo, s1
	s_delay_alu instid0(SALU_CYCLE_1)
	s_mov_b32 s2, exec_lo
	s_wait_dscnt 0x0
	s_barrier_signal -1
	s_barrier_wait -1
	v_cmpx_eq_u32_e32 17, v234
	s_cbranch_execz .LBB123_161
; %bb.155:
	v_dual_mov_b32 v52, v80 :: v_dual_mov_b32 v53, v81
	v_dual_mov_b32 v54, v76 :: v_dual_mov_b32 v55, v77
	ds_store_b64 v235, v[78:79]
	ds_store_2addr_b64 v236, v[52:53], v[54:55] offset0:18 offset1:19
	v_dual_mov_b32 v52, v98 :: v_dual_mov_b32 v53, v99
	v_dual_mov_b32 v54, v94 :: v_dual_mov_b32 v55, v95
	ds_store_2addr_b64 v236, v[52:53], v[54:55] offset0:20 offset1:21
	v_dual_mov_b32 v52, v96 :: v_dual_mov_b32 v53, v97
	v_dual_mov_b32 v54, v92 :: v_dual_mov_b32 v55, v93
	;; [unrolled: 3-line block ×20, first 2 shown]
	ds_store_2addr_b64 v236, v[52:53], v[54:55] offset0:58 offset1:59
	v_dual_mov_b32 v52, v246 :: v_dual_mov_b32 v53, v247
	ds_store_2addr_b64 v236, v[52:53], v[248:249] offset0:60 offset1:61
	ds_load_b64 v[52:53], v235
	s_wait_dscnt 0x0
	v_cmp_neq_f32_e32 vcc_lo, 0, v52
	v_cmp_neq_f32_e64 s1, 0, v53
	s_or_b32 s1, vcc_lo, s1
	s_delay_alu instid0(SALU_CYCLE_1)
	s_and_b32 exec_lo, exec_lo, s1
	s_cbranch_execz .LBB123_161
; %bb.156:
	v_cmp_ngt_f32_e64 s1, |v52|, |v53|
                                        ; implicit-def: $vgpr54_vgpr55
	s_and_saveexec_b32 s4, s1
	s_delay_alu instid0(SALU_CYCLE_1)
	s_xor_b32 s1, exec_lo, s4
	s_cbranch_execz .LBB123_158
; %bb.157:
	v_div_scale_f32 v0, null, v53, v53, v52
	v_div_scale_f32 v55, vcc_lo, v52, v53, v52
	s_delay_alu instid0(VALU_DEP_2) | instskip(SKIP_1) | instid1(TRANS32_DEP_1)
	v_rcp_f32_e32 v1, v0
	v_nop
	v_fma_f32 v54, -v0, v1, 1.0
	s_delay_alu instid0(VALU_DEP_1) | instskip(NEXT) | instid1(VALU_DEP_1)
	v_fmac_f32_e32 v1, v54, v1
	v_mul_f32_e32 v54, v55, v1
	s_delay_alu instid0(VALU_DEP_1) | instskip(NEXT) | instid1(VALU_DEP_1)
	v_fma_f32 v68, -v0, v54, v55
	v_fmac_f32_e32 v54, v68, v1
	s_delay_alu instid0(VALU_DEP_1) | instskip(NEXT) | instid1(VALU_DEP_1)
	v_fma_f32 v0, -v0, v54, v55
	v_div_fmas_f32 v0, v0, v1, v54
	s_delay_alu instid0(VALU_DEP_1) | instskip(NEXT) | instid1(VALU_DEP_1)
	v_div_fixup_f32 v0, v0, v53, v52
	v_fmac_f32_e32 v53, v52, v0
	s_delay_alu instid0(VALU_DEP_1) | instskip(SKIP_1) | instid1(VALU_DEP_2)
	v_div_scale_f32 v1, null, v53, v53, 1.0
	v_div_scale_f32 v55, vcc_lo, 1.0, v53, 1.0
	v_rcp_f32_e32 v52, v1
	v_nop
	s_delay_alu instid0(TRANS32_DEP_1) | instskip(NEXT) | instid1(VALU_DEP_1)
	v_fma_f32 v54, -v1, v52, 1.0
	v_fmac_f32_e32 v52, v54, v52
	s_delay_alu instid0(VALU_DEP_1) | instskip(NEXT) | instid1(VALU_DEP_1)
	v_mul_f32_e32 v54, v55, v52
	v_fma_f32 v68, -v1, v54, v55
	s_delay_alu instid0(VALU_DEP_1) | instskip(NEXT) | instid1(VALU_DEP_1)
	v_fmac_f32_e32 v54, v68, v52
	v_fma_f32 v1, -v1, v54, v55
	s_delay_alu instid0(VALU_DEP_1) | instskip(NEXT) | instid1(VALU_DEP_1)
	v_div_fmas_f32 v1, v1, v52, v54
	v_div_fixup_f32 v1, v1, v53, 1.0
                                        ; implicit-def: $vgpr52_vgpr53
	s_delay_alu instid0(VALU_DEP_1)
	v_mul_f32_e32 v54, v0, v1
	v_xor_b32_e32 v55, 0x80000000, v1
.LBB123_158:
	s_and_not1_saveexec_b32 s1, s1
	s_cbranch_execz .LBB123_160
; %bb.159:
	v_div_scale_f32 v0, null, v52, v52, v53
	v_div_scale_f32 v55, vcc_lo, v53, v52, v53
	s_delay_alu instid0(VALU_DEP_2) | instskip(SKIP_1) | instid1(TRANS32_DEP_1)
	v_rcp_f32_e32 v1, v0
	v_nop
	v_fma_f32 v54, -v0, v1, 1.0
	s_delay_alu instid0(VALU_DEP_1) | instskip(NEXT) | instid1(VALU_DEP_1)
	v_fmac_f32_e32 v1, v54, v1
	v_mul_f32_e32 v54, v55, v1
	s_delay_alu instid0(VALU_DEP_1) | instskip(NEXT) | instid1(VALU_DEP_1)
	v_fma_f32 v68, -v0, v54, v55
	v_fmac_f32_e32 v54, v68, v1
	s_delay_alu instid0(VALU_DEP_1) | instskip(NEXT) | instid1(VALU_DEP_1)
	v_fma_f32 v0, -v0, v54, v55
	v_div_fmas_f32 v0, v0, v1, v54
	s_delay_alu instid0(VALU_DEP_1) | instskip(NEXT) | instid1(VALU_DEP_1)
	v_div_fixup_f32 v0, v0, v52, v53
	v_fmac_f32_e32 v52, v53, v0
	s_delay_alu instid0(VALU_DEP_1) | instskip(NEXT) | instid1(VALU_DEP_1)
	v_div_scale_f32 v1, null, v52, v52, 1.0
	v_rcp_f32_e32 v53, v1
	v_nop
	s_delay_alu instid0(TRANS32_DEP_1) | instskip(NEXT) | instid1(VALU_DEP_1)
	v_fma_f32 v54, -v1, v53, 1.0
	v_fmac_f32_e32 v53, v54, v53
	v_div_scale_f32 v54, vcc_lo, 1.0, v52, 1.0
	s_delay_alu instid0(VALU_DEP_1) | instskip(NEXT) | instid1(VALU_DEP_1)
	v_mul_f32_e32 v55, v54, v53
	v_fma_f32 v68, -v1, v55, v54
	s_delay_alu instid0(VALU_DEP_1) | instskip(NEXT) | instid1(VALU_DEP_1)
	v_fmac_f32_e32 v55, v68, v53
	v_fma_f32 v1, -v1, v55, v54
	s_delay_alu instid0(VALU_DEP_1) | instskip(NEXT) | instid1(VALU_DEP_1)
	v_div_fmas_f32 v1, v1, v53, v55
	v_div_fixup_f32 v54, v1, v52, 1.0
	s_delay_alu instid0(VALU_DEP_1)
	v_mul_f32_e64 v55, v0, -v54
.LBB123_160:
	s_or_b32 exec_lo, exec_lo, s1
	ds_store_b64 v235, v[54:55]
.LBB123_161:
	s_or_b32 exec_lo, exec_lo, s2
	s_wait_dscnt 0x0
	s_barrier_signal -1
	s_barrier_wait -1
	ds_load_b64 v[52:53], v235
	s_mov_b32 s1, exec_lo
	v_cmpx_lt_u32_e32 17, v234
	s_cbranch_execz .LBB123_163
; %bb.162:
	ds_load_2addr_b64 v[70:73], v236 offset0:18 offset1:19
	s_wait_dscnt 0x1
	v_pk_mul_f32 v[68:69], v[52:53], v[78:79] op_sel:[1,1] op_sel_hi:[0,1]
	s_delay_alu instid0(VALU_DEP_1) | instskip(SKIP_1) | instid1(VALU_DEP_1)
	v_pk_fma_f32 v[54:55], v[52:53], v[78:79], v[68:69] op_sel_hi:[1,0,1] neg_lo:[0,0,1] neg_hi:[0,0,1]
	v_pk_fma_f32 v[68:69], v[52:53], v[78:79], v[68:69] op_sel_hi:[1,0,1]
	v_dual_mov_b32 v78, v54 :: v_dual_mov_b32 v79, v69
	s_wait_dscnt 0x0
	s_delay_alu instid0(VALU_DEP_2) | instskip(NEXT) | instid1(VALU_DEP_1)
	v_pk_mul_f32 v[74:75], v[70:71], v[68:69] op_sel:[0,1]
	v_pk_fma_f32 v[84:85], v[70:71], v[54:55], v[74:75] op_sel:[0,0,1] op_sel_hi:[1,1,0] neg_lo:[0,0,1] neg_hi:[0,0,1]
	v_pk_fma_f32 v[70:71], v[70:71], v[54:55], v[74:75] op_sel:[0,0,1] op_sel_hi:[1,0,0]
	s_delay_alu instid0(VALU_DEP_1) | instskip(SKIP_1) | instid1(VALU_DEP_1)
	v_mov_b32_e32 v85, v71
	v_pk_mul_f32 v[70:71], v[72:73], v[68:69] op_sel:[0,1]
	v_pk_fma_f32 v[74:75], v[72:73], v[54:55], v[70:71] op_sel:[0,0,1] op_sel_hi:[1,1,0] neg_lo:[0,0,1] neg_hi:[0,0,1]
	v_pk_fma_f32 v[70:71], v[72:73], v[54:55], v[70:71] op_sel:[0,0,1] op_sel_hi:[1,0,0]
	s_delay_alu instid0(VALU_DEP_1)
	v_mov_b32_e32 v75, v71
	ds_load_2addr_b64 v[70:73], v236 offset0:20 offset1:21
	v_pk_add_f32 v[80:81], v[80:81], v[84:85] neg_lo:[0,1] neg_hi:[0,1]
	v_pk_add_f32 v[76:77], v[76:77], v[74:75] neg_lo:[0,1] neg_hi:[0,1]
	s_wait_dscnt 0x0
	v_pk_mul_f32 v[74:75], v[70:71], v[68:69] op_sel:[0,1]
	s_delay_alu instid0(VALU_DEP_1) | instskip(SKIP_2) | instid1(VALU_DEP_2)
	v_pk_fma_f32 v[84:85], v[70:71], v[54:55], v[74:75] op_sel:[0,0,1] op_sel_hi:[1,1,0] neg_lo:[0,0,1] neg_hi:[0,0,1]
	v_pk_fma_f32 v[70:71], v[70:71], v[54:55], v[74:75] op_sel:[0,0,1] op_sel_hi:[1,0,0]
	v_dual_mul_f32 v74, v73, v69 :: v_dual_mov_b32 v70, v73
	v_dual_mov_b32 v85, v71 :: v_dual_mov_b32 v71, v72
	s_delay_alu instid0(VALU_DEP_2) | instskip(SKIP_1) | instid1(VALU_DEP_3)
	v_pk_fma_f32 v[74:75], v[72:73], v[78:79], v[74:75] op_sel_hi:[1,1,0] neg_lo:[0,0,1] neg_hi:[0,0,1]
	v_mul_f32_e32 v72, v73, v54
	v_pk_add_f32 v[98:99], v[98:99], v[84:85] neg_lo:[0,1] neg_hi:[0,1]
	s_delay_alu instid0(VALU_DEP_2) | instskip(NEXT) | instid1(VALU_DEP_1)
	v_pk_fma_f32 v[70:71], v[70:71], v[78:79], v[72:73] op_sel_hi:[1,1,0]
	v_mov_b32_e32 v75, v71
	ds_load_2addr_b64 v[70:73], v236 offset0:22 offset1:23
	v_pk_add_f32 v[94:95], v[94:95], v[74:75] neg_lo:[0,1] neg_hi:[0,1]
	s_wait_dscnt 0x0
	v_pk_mul_f32 v[74:75], v[70:71], v[68:69] op_sel:[0,1]
	s_delay_alu instid0(VALU_DEP_1) | instskip(SKIP_1) | instid1(VALU_DEP_1)
	v_pk_fma_f32 v[84:85], v[70:71], v[54:55], v[74:75] op_sel:[0,0,1] op_sel_hi:[1,1,0] neg_lo:[0,0,1] neg_hi:[0,0,1]
	v_pk_fma_f32 v[70:71], v[70:71], v[54:55], v[74:75] op_sel:[0,0,1] op_sel_hi:[1,0,0]
	v_mov_b32_e32 v85, v71
	v_pk_mul_f32 v[70:71], v[72:73], v[68:69] op_sel:[0,1]
	s_delay_alu instid0(VALU_DEP_1) | instskip(SKIP_1) | instid1(VALU_DEP_1)
	v_pk_fma_f32 v[74:75], v[72:73], v[54:55], v[70:71] op_sel:[0,0,1] op_sel_hi:[1,1,0] neg_lo:[0,0,1] neg_hi:[0,0,1]
	v_pk_fma_f32 v[70:71], v[72:73], v[54:55], v[70:71] op_sel:[0,0,1] op_sel_hi:[1,0,0]
	v_mov_b32_e32 v75, v71
	ds_load_2addr_b64 v[70:73], v236 offset0:24 offset1:25
	v_pk_add_f32 v[96:97], v[96:97], v[84:85] neg_lo:[0,1] neg_hi:[0,1]
	v_pk_add_f32 v[92:93], v[92:93], v[74:75] neg_lo:[0,1] neg_hi:[0,1]
	s_wait_dscnt 0x0
	v_pk_mul_f32 v[74:75], v[70:71], v[68:69] op_sel:[0,1]
	s_delay_alu instid0(VALU_DEP_1) | instskip(SKIP_1) | instid1(VALU_DEP_1)
	v_pk_fma_f32 v[84:85], v[70:71], v[54:55], v[74:75] op_sel:[0,0,1] op_sel_hi:[1,1,0] neg_lo:[0,0,1] neg_hi:[0,0,1]
	v_pk_fma_f32 v[70:71], v[70:71], v[54:55], v[74:75] op_sel:[0,0,1] op_sel_hi:[1,0,0]
	v_mov_b32_e32 v85, v71
	v_pk_mul_f32 v[70:71], v[72:73], v[68:69] op_sel:[0,1]
	s_delay_alu instid0(VALU_DEP_1) | instskip(SKIP_1) | instid1(VALU_DEP_1)
	v_pk_fma_f32 v[74:75], v[72:73], v[54:55], v[70:71] op_sel:[0,0,1] op_sel_hi:[1,1,0] neg_lo:[0,0,1] neg_hi:[0,0,1]
	v_pk_fma_f32 v[70:71], v[72:73], v[54:55], v[70:71] op_sel:[0,0,1] op_sel_hi:[1,0,0]
	v_mov_b32_e32 v75, v71
	ds_load_2addr_b64 v[70:73], v236 offset0:26 offset1:27
	v_pk_add_f32 v[114:115], v[114:115], v[84:85] neg_lo:[0,1] neg_hi:[0,1]
	v_pk_add_f32 v[110:111], v[110:111], v[74:75] neg_lo:[0,1] neg_hi:[0,1]
	s_wait_dscnt 0x0
	v_dual_mul_f32 v74, v71, v69 :: v_dual_mul_f32 v84, v71, v54
	s_delay_alu instid0(VALU_DEP_1) | instskip(NEXT) | instid1(VALU_DEP_2)
	v_pk_fma_f32 v[74:75], v[70:71], v[78:79], v[74:75] op_sel_hi:[1,1,0] neg_lo:[0,0,1] neg_hi:[0,0,1]
	v_pk_fma_f32 v[70:71], v[70:71], v[78:79], v[84:85] op_sel:[1,0,0] op_sel_hi:[0,1,0]
	s_delay_alu instid0(VALU_DEP_1) | instskip(SKIP_1) | instid1(VALU_DEP_2)
	v_mov_b32_e32 v75, v71
	v_pk_mul_f32 v[70:71], v[72:73], v[68:69] op_sel:[0,1]
	v_pk_add_f32 v[112:113], v[112:113], v[74:75] neg_lo:[0,1] neg_hi:[0,1]
	s_delay_alu instid0(VALU_DEP_2) | instskip(SKIP_1) | instid1(VALU_DEP_1)
	v_pk_fma_f32 v[74:75], v[72:73], v[54:55], v[70:71] op_sel:[0,0,1] op_sel_hi:[1,1,0] neg_lo:[0,0,1] neg_hi:[0,0,1]
	v_pk_fma_f32 v[70:71], v[72:73], v[54:55], v[70:71] op_sel:[0,0,1] op_sel_hi:[1,0,0]
	v_mov_b32_e32 v75, v71
	ds_load_2addr_b64 v[70:73], v236 offset0:28 offset1:29
	v_pk_add_f32 v[108:109], v[108:109], v[74:75] neg_lo:[0,1] neg_hi:[0,1]
	s_wait_dscnt 0x0
	v_pk_mul_f32 v[74:75], v[70:71], v[68:69] op_sel:[0,1]
	s_delay_alu instid0(VALU_DEP_1) | instskip(SKIP_1) | instid1(VALU_DEP_1)
	v_pk_fma_f32 v[84:85], v[70:71], v[54:55], v[74:75] op_sel:[0,0,1] op_sel_hi:[1,1,0] neg_lo:[0,0,1] neg_hi:[0,0,1]
	v_pk_fma_f32 v[70:71], v[70:71], v[54:55], v[74:75] op_sel:[0,0,1] op_sel_hi:[1,0,0]
	v_mov_b32_e32 v85, v71
	v_pk_mul_f32 v[70:71], v[72:73], v[68:69] op_sel:[0,1]
	s_delay_alu instid0(VALU_DEP_2) | instskip(NEXT) | instid1(VALU_DEP_2)
	v_pk_add_f32 v[130:131], v[130:131], v[84:85] neg_lo:[0,1] neg_hi:[0,1]
	v_pk_fma_f32 v[74:75], v[72:73], v[54:55], v[70:71] op_sel:[0,0,1] op_sel_hi:[1,1,0] neg_lo:[0,0,1] neg_hi:[0,0,1]
	v_pk_fma_f32 v[70:71], v[72:73], v[54:55], v[70:71] op_sel:[0,0,1] op_sel_hi:[1,0,0]
	s_delay_alu instid0(VALU_DEP_1) | instskip(SKIP_4) | instid1(VALU_DEP_1)
	v_mov_b32_e32 v75, v71
	ds_load_2addr_b64 v[70:73], v236 offset0:30 offset1:31
	v_pk_add_f32 v[126:127], v[126:127], v[74:75] neg_lo:[0,1] neg_hi:[0,1]
	s_wait_dscnt 0x0
	v_pk_mul_f32 v[74:75], v[70:71], v[68:69] op_sel:[0,1]
	v_pk_fma_f32 v[84:85], v[70:71], v[54:55], v[74:75] op_sel:[0,0,1] op_sel_hi:[1,1,0] neg_lo:[0,0,1] neg_hi:[0,0,1]
	v_pk_fma_f32 v[70:71], v[70:71], v[54:55], v[74:75] op_sel:[0,0,1] op_sel_hi:[1,0,0]
	v_dual_mul_f32 v74, v73, v69 :: v_dual_mov_b32 v70, v73
	s_delay_alu instid0(VALU_DEP_2) | instskip(NEXT) | instid1(VALU_DEP_2)
	v_dual_mov_b32 v85, v71 :: v_dual_mov_b32 v71, v72
	v_pk_fma_f32 v[74:75], v[72:73], v[78:79], v[74:75] op_sel_hi:[1,1,0] neg_lo:[0,0,1] neg_hi:[0,0,1]
	v_mul_f32_e32 v72, v73, v54
	s_delay_alu instid0(VALU_DEP_3) | instskip(NEXT) | instid1(VALU_DEP_2)
	v_pk_add_f32 v[128:129], v[128:129], v[84:85] neg_lo:[0,1] neg_hi:[0,1]
	v_pk_fma_f32 v[70:71], v[70:71], v[78:79], v[72:73] op_sel_hi:[1,1,0]
	s_delay_alu instid0(VALU_DEP_1) | instskip(SKIP_4) | instid1(VALU_DEP_1)
	v_mov_b32_e32 v75, v71
	ds_load_2addr_b64 v[70:73], v236 offset0:32 offset1:33
	v_pk_add_f32 v[124:125], v[124:125], v[74:75] neg_lo:[0,1] neg_hi:[0,1]
	s_wait_dscnt 0x0
	v_pk_mul_f32 v[74:75], v[70:71], v[68:69] op_sel:[0,1]
	v_pk_fma_f32 v[84:85], v[70:71], v[54:55], v[74:75] op_sel:[0,0,1] op_sel_hi:[1,1,0] neg_lo:[0,0,1] neg_hi:[0,0,1]
	v_pk_fma_f32 v[70:71], v[70:71], v[54:55], v[74:75] op_sel:[0,0,1] op_sel_hi:[1,0,0]
	s_delay_alu instid0(VALU_DEP_1) | instskip(SKIP_1) | instid1(VALU_DEP_1)
	v_mov_b32_e32 v85, v71
	v_pk_mul_f32 v[70:71], v[72:73], v[68:69] op_sel:[0,1]
	v_pk_fma_f32 v[74:75], v[72:73], v[54:55], v[70:71] op_sel:[0,0,1] op_sel_hi:[1,1,0] neg_lo:[0,0,1] neg_hi:[0,0,1]
	v_pk_fma_f32 v[70:71], v[72:73], v[54:55], v[70:71] op_sel:[0,0,1] op_sel_hi:[1,0,0]
	s_delay_alu instid0(VALU_DEP_1)
	v_mov_b32_e32 v75, v71
	ds_load_2addr_b64 v[70:73], v236 offset0:34 offset1:35
	v_pk_add_f32 v[146:147], v[146:147], v[84:85] neg_lo:[0,1] neg_hi:[0,1]
	v_pk_add_f32 v[142:143], v[142:143], v[74:75] neg_lo:[0,1] neg_hi:[0,1]
	s_wait_dscnt 0x0
	v_pk_mul_f32 v[74:75], v[70:71], v[68:69] op_sel:[0,1]
	s_delay_alu instid0(VALU_DEP_1) | instskip(SKIP_1) | instid1(VALU_DEP_1)
	v_pk_fma_f32 v[84:85], v[70:71], v[54:55], v[74:75] op_sel:[0,0,1] op_sel_hi:[1,1,0] neg_lo:[0,0,1] neg_hi:[0,0,1]
	v_pk_fma_f32 v[70:71], v[70:71], v[54:55], v[74:75] op_sel:[0,0,1] op_sel_hi:[1,0,0]
	v_mov_b32_e32 v85, v71
	v_pk_mul_f32 v[70:71], v[72:73], v[68:69] op_sel:[0,1]
	s_delay_alu instid0(VALU_DEP_1) | instskip(SKIP_1) | instid1(VALU_DEP_1)
	v_pk_fma_f32 v[74:75], v[72:73], v[54:55], v[70:71] op_sel:[0,0,1] op_sel_hi:[1,1,0] neg_lo:[0,0,1] neg_hi:[0,0,1]
	v_pk_fma_f32 v[70:71], v[72:73], v[54:55], v[70:71] op_sel:[0,0,1] op_sel_hi:[1,0,0]
	v_mov_b32_e32 v75, v71
	ds_load_2addr_b64 v[70:73], v236 offset0:36 offset1:37
	v_pk_add_f32 v[144:145], v[144:145], v[84:85] neg_lo:[0,1] neg_hi:[0,1]
	v_pk_add_f32 v[140:141], v[140:141], v[74:75] neg_lo:[0,1] neg_hi:[0,1]
	s_wait_dscnt 0x0
	v_dual_mul_f32 v74, v71, v69 :: v_dual_mul_f32 v84, v71, v54
	s_delay_alu instid0(VALU_DEP_1) | instskip(NEXT) | instid1(VALU_DEP_2)
	v_pk_fma_f32 v[74:75], v[70:71], v[78:79], v[74:75] op_sel_hi:[1,1,0] neg_lo:[0,0,1] neg_hi:[0,0,1]
	v_pk_fma_f32 v[70:71], v[70:71], v[78:79], v[84:85] op_sel:[1,0,0] op_sel_hi:[0,1,0]
	s_delay_alu instid0(VALU_DEP_1) | instskip(SKIP_1) | instid1(VALU_DEP_2)
	v_mov_b32_e32 v75, v71
	v_pk_mul_f32 v[70:71], v[72:73], v[68:69] op_sel:[0,1]
	v_pk_add_f32 v[162:163], v[162:163], v[74:75] neg_lo:[0,1] neg_hi:[0,1]
	s_delay_alu instid0(VALU_DEP_2) | instskip(SKIP_1) | instid1(VALU_DEP_1)
	v_pk_fma_f32 v[74:75], v[72:73], v[54:55], v[70:71] op_sel:[0,0,1] op_sel_hi:[1,1,0] neg_lo:[0,0,1] neg_hi:[0,0,1]
	v_pk_fma_f32 v[70:71], v[72:73], v[54:55], v[70:71] op_sel:[0,0,1] op_sel_hi:[1,0,0]
	v_mov_b32_e32 v75, v71
	ds_load_2addr_b64 v[70:73], v236 offset0:38 offset1:39
	v_pk_add_f32 v[158:159], v[158:159], v[74:75] neg_lo:[0,1] neg_hi:[0,1]
	s_wait_dscnt 0x0
	v_pk_mul_f32 v[74:75], v[70:71], v[68:69] op_sel:[0,1]
	s_delay_alu instid0(VALU_DEP_1) | instskip(SKIP_1) | instid1(VALU_DEP_1)
	v_pk_fma_f32 v[84:85], v[70:71], v[54:55], v[74:75] op_sel:[0,0,1] op_sel_hi:[1,1,0] neg_lo:[0,0,1] neg_hi:[0,0,1]
	v_pk_fma_f32 v[70:71], v[70:71], v[54:55], v[74:75] op_sel:[0,0,1] op_sel_hi:[1,0,0]
	v_mov_b32_e32 v85, v71
	v_pk_mul_f32 v[70:71], v[72:73], v[68:69] op_sel:[0,1]
	s_delay_alu instid0(VALU_DEP_2) | instskip(NEXT) | instid1(VALU_DEP_2)
	v_pk_add_f32 v[160:161], v[160:161], v[84:85] neg_lo:[0,1] neg_hi:[0,1]
	v_pk_fma_f32 v[74:75], v[72:73], v[54:55], v[70:71] op_sel:[0,0,1] op_sel_hi:[1,1,0] neg_lo:[0,0,1] neg_hi:[0,0,1]
	v_pk_fma_f32 v[70:71], v[72:73], v[54:55], v[70:71] op_sel:[0,0,1] op_sel_hi:[1,0,0]
	s_delay_alu instid0(VALU_DEP_1) | instskip(SKIP_4) | instid1(VALU_DEP_1)
	v_mov_b32_e32 v75, v71
	ds_load_2addr_b64 v[70:73], v236 offset0:40 offset1:41
	v_pk_add_f32 v[156:157], v[156:157], v[74:75] neg_lo:[0,1] neg_hi:[0,1]
	s_wait_dscnt 0x0
	v_pk_mul_f32 v[74:75], v[70:71], v[68:69] op_sel:[0,1]
	v_pk_fma_f32 v[84:85], v[70:71], v[54:55], v[74:75] op_sel:[0,0,1] op_sel_hi:[1,1,0] neg_lo:[0,0,1] neg_hi:[0,0,1]
	v_pk_fma_f32 v[70:71], v[70:71], v[54:55], v[74:75] op_sel:[0,0,1] op_sel_hi:[1,0,0]
	v_dual_mul_f32 v74, v73, v69 :: v_dual_mov_b32 v70, v73
	s_delay_alu instid0(VALU_DEP_2) | instskip(NEXT) | instid1(VALU_DEP_2)
	v_dual_mov_b32 v85, v71 :: v_dual_mov_b32 v71, v72
	v_pk_fma_f32 v[74:75], v[72:73], v[78:79], v[74:75] op_sel_hi:[1,1,0] neg_lo:[0,0,1] neg_hi:[0,0,1]
	v_mul_f32_e32 v72, v73, v54
	s_delay_alu instid0(VALU_DEP_3) | instskip(NEXT) | instid1(VALU_DEP_2)
	v_pk_add_f32 v[178:179], v[178:179], v[84:85] neg_lo:[0,1] neg_hi:[0,1]
	v_pk_fma_f32 v[70:71], v[70:71], v[78:79], v[72:73] op_sel_hi:[1,1,0]
	s_delay_alu instid0(VALU_DEP_1) | instskip(SKIP_4) | instid1(VALU_DEP_1)
	v_mov_b32_e32 v75, v71
	ds_load_2addr_b64 v[70:73], v236 offset0:42 offset1:43
	v_pk_add_f32 v[174:175], v[174:175], v[74:75] neg_lo:[0,1] neg_hi:[0,1]
	s_wait_dscnt 0x0
	v_pk_mul_f32 v[74:75], v[70:71], v[68:69] op_sel:[0,1]
	v_pk_fma_f32 v[84:85], v[70:71], v[54:55], v[74:75] op_sel:[0,0,1] op_sel_hi:[1,1,0] neg_lo:[0,0,1] neg_hi:[0,0,1]
	v_pk_fma_f32 v[70:71], v[70:71], v[54:55], v[74:75] op_sel:[0,0,1] op_sel_hi:[1,0,0]
	s_delay_alu instid0(VALU_DEP_1) | instskip(SKIP_1) | instid1(VALU_DEP_1)
	v_mov_b32_e32 v85, v71
	v_pk_mul_f32 v[70:71], v[72:73], v[68:69] op_sel:[0,1]
	v_pk_fma_f32 v[74:75], v[72:73], v[54:55], v[70:71] op_sel:[0,0,1] op_sel_hi:[1,1,0] neg_lo:[0,0,1] neg_hi:[0,0,1]
	v_pk_fma_f32 v[70:71], v[72:73], v[54:55], v[70:71] op_sel:[0,0,1] op_sel_hi:[1,0,0]
	s_delay_alu instid0(VALU_DEP_1)
	v_mov_b32_e32 v75, v71
	ds_load_2addr_b64 v[70:73], v236 offset0:44 offset1:45
	v_pk_add_f32 v[176:177], v[176:177], v[84:85] neg_lo:[0,1] neg_hi:[0,1]
	v_pk_add_f32 v[172:173], v[172:173], v[74:75] neg_lo:[0,1] neg_hi:[0,1]
	s_wait_dscnt 0x0
	v_pk_mul_f32 v[74:75], v[70:71], v[68:69] op_sel:[0,1]
	s_delay_alu instid0(VALU_DEP_1) | instskip(SKIP_1) | instid1(VALU_DEP_1)
	v_pk_fma_f32 v[84:85], v[70:71], v[54:55], v[74:75] op_sel:[0,0,1] op_sel_hi:[1,1,0] neg_lo:[0,0,1] neg_hi:[0,0,1]
	v_pk_fma_f32 v[70:71], v[70:71], v[54:55], v[74:75] op_sel:[0,0,1] op_sel_hi:[1,0,0]
	v_mov_b32_e32 v85, v71
	v_pk_mul_f32 v[70:71], v[72:73], v[68:69] op_sel:[0,1]
	s_delay_alu instid0(VALU_DEP_1) | instskip(SKIP_1) | instid1(VALU_DEP_1)
	v_pk_fma_f32 v[74:75], v[72:73], v[54:55], v[70:71] op_sel:[0,0,1] op_sel_hi:[1,1,0] neg_lo:[0,0,1] neg_hi:[0,0,1]
	v_pk_fma_f32 v[70:71], v[72:73], v[54:55], v[70:71] op_sel:[0,0,1] op_sel_hi:[1,0,0]
	v_mov_b32_e32 v75, v71
	ds_load_2addr_b64 v[70:73], v236 offset0:46 offset1:47
	v_pk_add_f32 v[194:195], v[194:195], v[84:85] neg_lo:[0,1] neg_hi:[0,1]
	v_pk_add_f32 v[190:191], v[190:191], v[74:75] neg_lo:[0,1] neg_hi:[0,1]
	s_wait_dscnt 0x0
	v_dual_mul_f32 v74, v71, v69 :: v_dual_mul_f32 v84, v71, v54
	s_delay_alu instid0(VALU_DEP_1) | instskip(NEXT) | instid1(VALU_DEP_2)
	v_pk_fma_f32 v[74:75], v[70:71], v[78:79], v[74:75] op_sel_hi:[1,1,0] neg_lo:[0,0,1] neg_hi:[0,0,1]
	v_pk_fma_f32 v[70:71], v[70:71], v[78:79], v[84:85] op_sel:[1,0,0] op_sel_hi:[0,1,0]
	s_delay_alu instid0(VALU_DEP_1) | instskip(SKIP_1) | instid1(VALU_DEP_2)
	v_mov_b32_e32 v75, v71
	v_pk_mul_f32 v[70:71], v[72:73], v[68:69] op_sel:[0,1]
	v_pk_add_f32 v[192:193], v[192:193], v[74:75] neg_lo:[0,1] neg_hi:[0,1]
	s_delay_alu instid0(VALU_DEP_2) | instskip(SKIP_1) | instid1(VALU_DEP_1)
	v_pk_fma_f32 v[74:75], v[72:73], v[54:55], v[70:71] op_sel:[0,0,1] op_sel_hi:[1,1,0] neg_lo:[0,0,1] neg_hi:[0,0,1]
	v_pk_fma_f32 v[70:71], v[72:73], v[54:55], v[70:71] op_sel:[0,0,1] op_sel_hi:[1,0,0]
	v_mov_b32_e32 v75, v71
	ds_load_2addr_b64 v[70:73], v236 offset0:48 offset1:49
	v_pk_add_f32 v[188:189], v[188:189], v[74:75] neg_lo:[0,1] neg_hi:[0,1]
	s_wait_dscnt 0x0
	v_pk_mul_f32 v[74:75], v[70:71], v[68:69] op_sel:[0,1]
	s_delay_alu instid0(VALU_DEP_1) | instskip(SKIP_1) | instid1(VALU_DEP_1)
	v_pk_fma_f32 v[84:85], v[70:71], v[54:55], v[74:75] op_sel:[0,0,1] op_sel_hi:[1,1,0] neg_lo:[0,0,1] neg_hi:[0,0,1]
	v_pk_fma_f32 v[70:71], v[70:71], v[54:55], v[74:75] op_sel:[0,0,1] op_sel_hi:[1,0,0]
	v_mov_b32_e32 v85, v71
	v_pk_mul_f32 v[70:71], v[72:73], v[68:69] op_sel:[0,1]
	s_delay_alu instid0(VALU_DEP_2) | instskip(NEXT) | instid1(VALU_DEP_2)
	v_pk_add_f32 v[210:211], v[210:211], v[84:85] neg_lo:[0,1] neg_hi:[0,1]
	v_pk_fma_f32 v[74:75], v[72:73], v[54:55], v[70:71] op_sel:[0,0,1] op_sel_hi:[1,1,0] neg_lo:[0,0,1] neg_hi:[0,0,1]
	v_pk_fma_f32 v[70:71], v[72:73], v[54:55], v[70:71] op_sel:[0,0,1] op_sel_hi:[1,0,0]
	s_delay_alu instid0(VALU_DEP_1) | instskip(SKIP_4) | instid1(VALU_DEP_1)
	v_mov_b32_e32 v75, v71
	ds_load_2addr_b64 v[70:73], v236 offset0:50 offset1:51
	v_pk_add_f32 v[206:207], v[206:207], v[74:75] neg_lo:[0,1] neg_hi:[0,1]
	s_wait_dscnt 0x0
	v_pk_mul_f32 v[74:75], v[70:71], v[68:69] op_sel:[0,1]
	v_pk_fma_f32 v[84:85], v[70:71], v[54:55], v[74:75] op_sel:[0,0,1] op_sel_hi:[1,1,0] neg_lo:[0,0,1] neg_hi:[0,0,1]
	v_pk_fma_f32 v[70:71], v[70:71], v[54:55], v[74:75] op_sel:[0,0,1] op_sel_hi:[1,0,0]
	v_dual_mul_f32 v74, v73, v69 :: v_dual_mov_b32 v70, v73
	s_delay_alu instid0(VALU_DEP_2) | instskip(NEXT) | instid1(VALU_DEP_2)
	v_dual_mov_b32 v85, v71 :: v_dual_mov_b32 v71, v72
	v_pk_fma_f32 v[74:75], v[72:73], v[78:79], v[74:75] op_sel_hi:[1,1,0] neg_lo:[0,0,1] neg_hi:[0,0,1]
	v_mul_f32_e32 v72, v73, v54
	s_delay_alu instid0(VALU_DEP_3) | instskip(NEXT) | instid1(VALU_DEP_2)
	v_pk_add_f32 v[208:209], v[208:209], v[84:85] neg_lo:[0,1] neg_hi:[0,1]
	v_pk_fma_f32 v[70:71], v[70:71], v[78:79], v[72:73] op_sel_hi:[1,1,0]
	s_delay_alu instid0(VALU_DEP_1) | instskip(SKIP_4) | instid1(VALU_DEP_1)
	v_mov_b32_e32 v75, v71
	ds_load_2addr_b64 v[70:73], v236 offset0:52 offset1:53
	v_pk_add_f32 v[204:205], v[204:205], v[74:75] neg_lo:[0,1] neg_hi:[0,1]
	s_wait_dscnt 0x0
	v_pk_mul_f32 v[74:75], v[70:71], v[68:69] op_sel:[0,1]
	v_pk_fma_f32 v[84:85], v[70:71], v[54:55], v[74:75] op_sel:[0,0,1] op_sel_hi:[1,1,0] neg_lo:[0,0,1] neg_hi:[0,0,1]
	v_pk_fma_f32 v[70:71], v[70:71], v[54:55], v[74:75] op_sel:[0,0,1] op_sel_hi:[1,0,0]
	s_delay_alu instid0(VALU_DEP_1) | instskip(SKIP_1) | instid1(VALU_DEP_1)
	v_mov_b32_e32 v85, v71
	v_pk_mul_f32 v[70:71], v[72:73], v[68:69] op_sel:[0,1]
	v_pk_fma_f32 v[74:75], v[72:73], v[54:55], v[70:71] op_sel:[0,0,1] op_sel_hi:[1,1,0] neg_lo:[0,0,1] neg_hi:[0,0,1]
	v_pk_fma_f32 v[70:71], v[72:73], v[54:55], v[70:71] op_sel:[0,0,1] op_sel_hi:[1,0,0]
	s_delay_alu instid0(VALU_DEP_1)
	v_mov_b32_e32 v75, v71
	ds_load_2addr_b64 v[70:73], v236 offset0:54 offset1:55
	v_pk_add_f32 v[228:229], v[228:229], v[84:85] neg_lo:[0,1] neg_hi:[0,1]
	v_pk_add_f32 v[224:225], v[224:225], v[74:75] neg_lo:[0,1] neg_hi:[0,1]
	s_wait_dscnt 0x0
	v_pk_mul_f32 v[74:75], v[70:71], v[68:69] op_sel:[0,1]
	s_delay_alu instid0(VALU_DEP_1) | instskip(SKIP_1) | instid1(VALU_DEP_1)
	v_pk_fma_f32 v[84:85], v[70:71], v[54:55], v[74:75] op_sel:[0,0,1] op_sel_hi:[1,1,0] neg_lo:[0,0,1] neg_hi:[0,0,1]
	v_pk_fma_f32 v[70:71], v[70:71], v[54:55], v[74:75] op_sel:[0,0,1] op_sel_hi:[1,0,0]
	v_mov_b32_e32 v85, v71
	v_pk_mul_f32 v[70:71], v[72:73], v[68:69] op_sel:[0,1]
	s_delay_alu instid0(VALU_DEP_1) | instskip(SKIP_1) | instid1(VALU_DEP_1)
	v_pk_fma_f32 v[74:75], v[72:73], v[54:55], v[70:71] op_sel:[0,0,1] op_sel_hi:[1,1,0] neg_lo:[0,0,1] neg_hi:[0,0,1]
	v_pk_fma_f32 v[70:71], v[72:73], v[54:55], v[70:71] op_sel:[0,0,1] op_sel_hi:[1,0,0]
	v_mov_b32_e32 v75, v71
	ds_load_2addr_b64 v[70:73], v236 offset0:56 offset1:57
	v_pk_add_f32 v[226:227], v[226:227], v[84:85] neg_lo:[0,1] neg_hi:[0,1]
	v_pk_add_f32 v[222:223], v[222:223], v[74:75] neg_lo:[0,1] neg_hi:[0,1]
	s_wait_dscnt 0x0
	v_dual_mul_f32 v74, v71, v69 :: v_dual_mul_f32 v84, v71, v54
	s_delay_alu instid0(VALU_DEP_1) | instskip(NEXT) | instid1(VALU_DEP_2)
	v_pk_fma_f32 v[74:75], v[70:71], v[78:79], v[74:75] op_sel_hi:[1,1,0] neg_lo:[0,0,1] neg_hi:[0,0,1]
	v_pk_fma_f32 v[70:71], v[70:71], v[78:79], v[84:85] op_sel:[1,0,0] op_sel_hi:[0,1,0]
	s_delay_alu instid0(VALU_DEP_1) | instskip(SKIP_1) | instid1(VALU_DEP_2)
	v_mov_b32_e32 v75, v71
	v_pk_mul_f32 v[70:71], v[72:73], v[68:69] op_sel:[0,1]
	v_pk_add_f32 v[244:245], v[244:245], v[74:75] neg_lo:[0,1] neg_hi:[0,1]
	s_delay_alu instid0(VALU_DEP_2) | instskip(SKIP_1) | instid1(VALU_DEP_1)
	v_pk_fma_f32 v[74:75], v[72:73], v[54:55], v[70:71] op_sel:[0,0,1] op_sel_hi:[1,1,0] neg_lo:[0,0,1] neg_hi:[0,0,1]
	v_pk_fma_f32 v[70:71], v[72:73], v[54:55], v[70:71] op_sel:[0,0,1] op_sel_hi:[1,0,0]
	v_mov_b32_e32 v75, v71
	ds_load_2addr_b64 v[70:73], v236 offset0:58 offset1:59
	v_pk_add_f32 v[240:241], v[240:241], v[74:75] neg_lo:[0,1] neg_hi:[0,1]
	s_wait_dscnt 0x0
	v_pk_mul_f32 v[74:75], v[70:71], v[68:69] op_sel:[0,1]
	s_delay_alu instid0(VALU_DEP_1) | instskip(SKIP_1) | instid1(VALU_DEP_1)
	v_pk_fma_f32 v[84:85], v[70:71], v[54:55], v[74:75] op_sel:[0,0,1] op_sel_hi:[1,1,0] neg_lo:[0,0,1] neg_hi:[0,0,1]
	v_pk_fma_f32 v[70:71], v[70:71], v[54:55], v[74:75] op_sel:[0,0,1] op_sel_hi:[1,0,0]
	v_mov_b32_e32 v85, v71
	v_pk_mul_f32 v[70:71], v[72:73], v[68:69] op_sel:[0,1]
	s_delay_alu instid0(VALU_DEP_2) | instskip(NEXT) | instid1(VALU_DEP_2)
	v_pk_add_f32 v[242:243], v[242:243], v[84:85] neg_lo:[0,1] neg_hi:[0,1]
	v_pk_fma_f32 v[74:75], v[72:73], v[54:55], v[70:71] op_sel:[0,0,1] op_sel_hi:[1,1,0] neg_lo:[0,0,1] neg_hi:[0,0,1]
	v_pk_fma_f32 v[70:71], v[72:73], v[54:55], v[70:71] op_sel:[0,0,1] op_sel_hi:[1,0,0]
	s_delay_alu instid0(VALU_DEP_1)
	v_mov_b32_e32 v75, v71
	ds_load_2addr_b64 v[70:73], v236 offset0:60 offset1:61
	v_pk_add_f32 v[238:239], v[238:239], v[74:75] neg_lo:[0,1] neg_hi:[0,1]
	s_wait_dscnt 0x0
	v_pk_mul_f32 v[74:75], v[70:71], v[68:69] op_sel:[0,1]
	v_pk_mul_f32 v[68:69], v[72:73], v[68:69] op_sel:[0,1]
	s_delay_alu instid0(VALU_DEP_2) | instskip(SKIP_1) | instid1(VALU_DEP_1)
	v_pk_fma_f32 v[84:85], v[70:71], v[54:55], v[74:75] op_sel:[0,0,1] op_sel_hi:[1,1,0] neg_lo:[0,0,1] neg_hi:[0,0,1]
	v_pk_fma_f32 v[70:71], v[70:71], v[54:55], v[74:75] op_sel:[0,0,1] op_sel_hi:[1,0,0]
	v_mov_b32_e32 v85, v71
	s_delay_alu instid0(VALU_DEP_4) | instskip(SKIP_1) | instid1(VALU_DEP_3)
	v_pk_fma_f32 v[70:71], v[72:73], v[54:55], v[68:69] op_sel:[0,0,1] op_sel_hi:[1,1,0] neg_lo:[0,0,1] neg_hi:[0,0,1]
	v_pk_fma_f32 v[54:55], v[72:73], v[54:55], v[68:69] op_sel:[0,0,1] op_sel_hi:[1,0,0]
	v_pk_add_f32 v[246:247], v[246:247], v[84:85] neg_lo:[0,1] neg_hi:[0,1]
	s_delay_alu instid0(VALU_DEP_2) | instskip(NEXT) | instid1(VALU_DEP_1)
	v_mov_b32_e32 v71, v55
	v_pk_add_f32 v[248:249], v[248:249], v[70:71] neg_lo:[0,1] neg_hi:[0,1]
.LBB123_163:
	s_or_b32 exec_lo, exec_lo, s1
	s_delay_alu instid0(SALU_CYCLE_1)
	s_mov_b32 s2, exec_lo
	s_wait_dscnt 0x0
	s_barrier_signal -1
	s_barrier_wait -1
	v_cmpx_eq_u32_e32 18, v234
	s_cbranch_execz .LBB123_170
; %bb.164:
	ds_store_b64 v235, v[80:81]
	ds_store_2addr_b64 v236, v[76:77], v[98:99] offset0:19 offset1:20
	ds_store_2addr_b64 v236, v[94:95], v[96:97] offset0:21 offset1:22
	;; [unrolled: 1-line block ×21, first 2 shown]
	ds_store_b64 v236, v[248:249] offset:488
	ds_load_b64 v[54:55], v235
	s_wait_dscnt 0x0
	v_cmp_neq_f32_e32 vcc_lo, 0, v54
	v_cmp_neq_f32_e64 s1, 0, v55
	s_or_b32 s1, vcc_lo, s1
	s_delay_alu instid0(SALU_CYCLE_1)
	s_and_b32 exec_lo, exec_lo, s1
	s_cbranch_execz .LBB123_170
; %bb.165:
	v_cmp_ngt_f32_e64 s1, |v54|, |v55|
                                        ; implicit-def: $vgpr68_vgpr69
	s_and_saveexec_b32 s4, s1
	s_delay_alu instid0(SALU_CYCLE_1)
	s_xor_b32 s1, exec_lo, s4
	s_cbranch_execz .LBB123_167
; %bb.166:
	v_div_scale_f32 v0, null, v55, v55, v54
	v_div_scale_f32 v69, vcc_lo, v54, v55, v54
	s_delay_alu instid0(VALU_DEP_2) | instskip(SKIP_1) | instid1(TRANS32_DEP_1)
	v_rcp_f32_e32 v1, v0
	v_nop
	v_fma_f32 v68, -v0, v1, 1.0
	s_delay_alu instid0(VALU_DEP_1) | instskip(NEXT) | instid1(VALU_DEP_1)
	v_fmac_f32_e32 v1, v68, v1
	v_mul_f32_e32 v68, v69, v1
	s_delay_alu instid0(VALU_DEP_1) | instskip(NEXT) | instid1(VALU_DEP_1)
	v_fma_f32 v70, -v0, v68, v69
	v_fmac_f32_e32 v68, v70, v1
	s_delay_alu instid0(VALU_DEP_1) | instskip(NEXT) | instid1(VALU_DEP_1)
	v_fma_f32 v0, -v0, v68, v69
	v_div_fmas_f32 v0, v0, v1, v68
	s_delay_alu instid0(VALU_DEP_1) | instskip(NEXT) | instid1(VALU_DEP_1)
	v_div_fixup_f32 v0, v0, v55, v54
	v_fmac_f32_e32 v55, v54, v0
	s_delay_alu instid0(VALU_DEP_1) | instskip(SKIP_1) | instid1(VALU_DEP_2)
	v_div_scale_f32 v1, null, v55, v55, 1.0
	v_div_scale_f32 v69, vcc_lo, 1.0, v55, 1.0
	v_rcp_f32_e32 v54, v1
	v_nop
	s_delay_alu instid0(TRANS32_DEP_1) | instskip(NEXT) | instid1(VALU_DEP_1)
	v_fma_f32 v68, -v1, v54, 1.0
	v_fmac_f32_e32 v54, v68, v54
	s_delay_alu instid0(VALU_DEP_1) | instskip(NEXT) | instid1(VALU_DEP_1)
	v_mul_f32_e32 v68, v69, v54
	v_fma_f32 v70, -v1, v68, v69
	s_delay_alu instid0(VALU_DEP_1) | instskip(NEXT) | instid1(VALU_DEP_1)
	v_fmac_f32_e32 v68, v70, v54
	v_fma_f32 v1, -v1, v68, v69
	s_delay_alu instid0(VALU_DEP_1) | instskip(NEXT) | instid1(VALU_DEP_1)
	v_div_fmas_f32 v1, v1, v54, v68
	v_div_fixup_f32 v1, v1, v55, 1.0
                                        ; implicit-def: $vgpr54_vgpr55
	s_delay_alu instid0(VALU_DEP_1)
	v_mul_f32_e32 v68, v0, v1
	v_xor_b32_e32 v69, 0x80000000, v1
.LBB123_167:
	s_and_not1_saveexec_b32 s1, s1
	s_cbranch_execz .LBB123_169
; %bb.168:
	v_div_scale_f32 v0, null, v54, v54, v55
	v_div_scale_f32 v69, vcc_lo, v55, v54, v55
	s_delay_alu instid0(VALU_DEP_2) | instskip(SKIP_1) | instid1(TRANS32_DEP_1)
	v_rcp_f32_e32 v1, v0
	v_nop
	v_fma_f32 v68, -v0, v1, 1.0
	s_delay_alu instid0(VALU_DEP_1) | instskip(NEXT) | instid1(VALU_DEP_1)
	v_fmac_f32_e32 v1, v68, v1
	v_mul_f32_e32 v68, v69, v1
	s_delay_alu instid0(VALU_DEP_1) | instskip(NEXT) | instid1(VALU_DEP_1)
	v_fma_f32 v70, -v0, v68, v69
	v_fmac_f32_e32 v68, v70, v1
	s_delay_alu instid0(VALU_DEP_1) | instskip(NEXT) | instid1(VALU_DEP_1)
	v_fma_f32 v0, -v0, v68, v69
	v_div_fmas_f32 v0, v0, v1, v68
	s_delay_alu instid0(VALU_DEP_1) | instskip(NEXT) | instid1(VALU_DEP_1)
	v_div_fixup_f32 v0, v0, v54, v55
	v_fmac_f32_e32 v54, v55, v0
	s_delay_alu instid0(VALU_DEP_1) | instskip(NEXT) | instid1(VALU_DEP_1)
	v_div_scale_f32 v1, null, v54, v54, 1.0
	v_rcp_f32_e32 v55, v1
	v_nop
	s_delay_alu instid0(TRANS32_DEP_1) | instskip(NEXT) | instid1(VALU_DEP_1)
	v_fma_f32 v68, -v1, v55, 1.0
	v_fmac_f32_e32 v55, v68, v55
	v_div_scale_f32 v68, vcc_lo, 1.0, v54, 1.0
	s_delay_alu instid0(VALU_DEP_1) | instskip(NEXT) | instid1(VALU_DEP_1)
	v_mul_f32_e32 v69, v68, v55
	v_fma_f32 v70, -v1, v69, v68
	s_delay_alu instid0(VALU_DEP_1) | instskip(NEXT) | instid1(VALU_DEP_1)
	v_fmac_f32_e32 v69, v70, v55
	v_fma_f32 v1, -v1, v69, v68
	s_delay_alu instid0(VALU_DEP_1) | instskip(NEXT) | instid1(VALU_DEP_1)
	v_div_fmas_f32 v1, v1, v55, v69
	v_div_fixup_f32 v68, v1, v54, 1.0
	s_delay_alu instid0(VALU_DEP_1)
	v_mul_f32_e64 v69, v0, -v68
.LBB123_169:
	s_or_b32 exec_lo, exec_lo, s1
	ds_store_b64 v235, v[68:69]
.LBB123_170:
	s_or_b32 exec_lo, exec_lo, s2
	s_wait_dscnt 0x0
	s_barrier_signal -1
	s_barrier_wait -1
	ds_load_b64 v[54:55], v235
	s_mov_b32 s1, exec_lo
	v_cmpx_lt_u32_e32 18, v234
	s_cbranch_execz .LBB123_172
; %bb.171:
	ds_load_2addr_b64 v[72:75], v236 offset0:19 offset1:20
	s_wait_dscnt 0x1
	v_pk_mul_f32 v[70:71], v[54:55], v[80:81] op_sel:[1,1] op_sel_hi:[0,1]
	s_delay_alu instid0(VALU_DEP_1) | instskip(SKIP_1) | instid1(VALU_DEP_1)
	v_pk_fma_f32 v[68:69], v[54:55], v[80:81], v[70:71] op_sel_hi:[1,0,1] neg_lo:[0,0,1] neg_hi:[0,0,1]
	v_pk_fma_f32 v[70:71], v[54:55], v[80:81], v[70:71] op_sel_hi:[1,0,1]
	v_dual_mov_b32 v80, v68 :: v_dual_mov_b32 v81, v71
	s_wait_dscnt 0x0
	s_delay_alu instid0(VALU_DEP_2) | instskip(NEXT) | instid1(VALU_DEP_1)
	v_pk_mul_f32 v[84:85], v[72:73], v[70:71] op_sel:[0,1]
	v_pk_fma_f32 v[86:87], v[72:73], v[68:69], v[84:85] op_sel:[0,0,1] op_sel_hi:[1,1,0] neg_lo:[0,0,1] neg_hi:[0,0,1]
	v_pk_fma_f32 v[72:73], v[72:73], v[68:69], v[84:85] op_sel:[0,0,1] op_sel_hi:[1,0,0]
	s_delay_alu instid0(VALU_DEP_1) | instskip(SKIP_1) | instid1(VALU_DEP_1)
	v_mov_b32_e32 v87, v73
	v_pk_mul_f32 v[72:73], v[74:75], v[70:71] op_sel:[0,1]
	v_pk_fma_f32 v[84:85], v[74:75], v[68:69], v[72:73] op_sel:[0,0,1] op_sel_hi:[1,1,0] neg_lo:[0,0,1] neg_hi:[0,0,1]
	v_pk_fma_f32 v[72:73], v[74:75], v[68:69], v[72:73] op_sel:[0,0,1] op_sel_hi:[1,0,0]
	s_delay_alu instid0(VALU_DEP_1)
	v_mov_b32_e32 v85, v73
	ds_load_2addr_b64 v[72:75], v236 offset0:21 offset1:22
	v_pk_add_f32 v[76:77], v[76:77], v[86:87] neg_lo:[0,1] neg_hi:[0,1]
	v_pk_add_f32 v[98:99], v[98:99], v[84:85] neg_lo:[0,1] neg_hi:[0,1]
	s_wait_dscnt 0x0
	v_pk_mul_f32 v[84:85], v[72:73], v[70:71] op_sel:[0,1]
	s_delay_alu instid0(VALU_DEP_1) | instskip(SKIP_2) | instid1(VALU_DEP_2)
	v_pk_fma_f32 v[86:87], v[72:73], v[68:69], v[84:85] op_sel:[0,0,1] op_sel_hi:[1,1,0] neg_lo:[0,0,1] neg_hi:[0,0,1]
	v_pk_fma_f32 v[72:73], v[72:73], v[68:69], v[84:85] op_sel:[0,0,1] op_sel_hi:[1,0,0]
	v_dual_mul_f32 v84, v75, v71 :: v_dual_mov_b32 v72, v75
	v_dual_mov_b32 v87, v73 :: v_dual_mov_b32 v73, v74
	s_delay_alu instid0(VALU_DEP_2) | instskip(SKIP_1) | instid1(VALU_DEP_3)
	v_pk_fma_f32 v[84:85], v[74:75], v[80:81], v[84:85] op_sel_hi:[1,1,0] neg_lo:[0,0,1] neg_hi:[0,0,1]
	v_mul_f32_e32 v74, v75, v68
	v_pk_add_f32 v[94:95], v[94:95], v[86:87] neg_lo:[0,1] neg_hi:[0,1]
	s_delay_alu instid0(VALU_DEP_2) | instskip(NEXT) | instid1(VALU_DEP_1)
	v_pk_fma_f32 v[72:73], v[72:73], v[80:81], v[74:75] op_sel_hi:[1,1,0]
	v_mov_b32_e32 v85, v73
	ds_load_2addr_b64 v[72:75], v236 offset0:23 offset1:24
	v_pk_add_f32 v[96:97], v[96:97], v[84:85] neg_lo:[0,1] neg_hi:[0,1]
	s_wait_dscnt 0x0
	v_pk_mul_f32 v[84:85], v[72:73], v[70:71] op_sel:[0,1]
	s_delay_alu instid0(VALU_DEP_1) | instskip(SKIP_1) | instid1(VALU_DEP_1)
	v_pk_fma_f32 v[86:87], v[72:73], v[68:69], v[84:85] op_sel:[0,0,1] op_sel_hi:[1,1,0] neg_lo:[0,0,1] neg_hi:[0,0,1]
	v_pk_fma_f32 v[72:73], v[72:73], v[68:69], v[84:85] op_sel:[0,0,1] op_sel_hi:[1,0,0]
	v_mov_b32_e32 v87, v73
	v_pk_mul_f32 v[72:73], v[74:75], v[70:71] op_sel:[0,1]
	s_delay_alu instid0(VALU_DEP_1) | instskip(SKIP_1) | instid1(VALU_DEP_1)
	v_pk_fma_f32 v[84:85], v[74:75], v[68:69], v[72:73] op_sel:[0,0,1] op_sel_hi:[1,1,0] neg_lo:[0,0,1] neg_hi:[0,0,1]
	v_pk_fma_f32 v[72:73], v[74:75], v[68:69], v[72:73] op_sel:[0,0,1] op_sel_hi:[1,0,0]
	v_mov_b32_e32 v85, v73
	ds_load_2addr_b64 v[72:75], v236 offset0:25 offset1:26
	v_pk_add_f32 v[92:93], v[92:93], v[86:87] neg_lo:[0,1] neg_hi:[0,1]
	v_pk_add_f32 v[114:115], v[114:115], v[84:85] neg_lo:[0,1] neg_hi:[0,1]
	s_wait_dscnt 0x0
	v_pk_mul_f32 v[84:85], v[72:73], v[70:71] op_sel:[0,1]
	s_delay_alu instid0(VALU_DEP_1) | instskip(SKIP_1) | instid1(VALU_DEP_1)
	v_pk_fma_f32 v[86:87], v[72:73], v[68:69], v[84:85] op_sel:[0,0,1] op_sel_hi:[1,1,0] neg_lo:[0,0,1] neg_hi:[0,0,1]
	v_pk_fma_f32 v[72:73], v[72:73], v[68:69], v[84:85] op_sel:[0,0,1] op_sel_hi:[1,0,0]
	v_mov_b32_e32 v87, v73
	v_pk_mul_f32 v[72:73], v[74:75], v[70:71] op_sel:[0,1]
	s_delay_alu instid0(VALU_DEP_1) | instskip(SKIP_1) | instid1(VALU_DEP_1)
	v_pk_fma_f32 v[84:85], v[74:75], v[68:69], v[72:73] op_sel:[0,0,1] op_sel_hi:[1,1,0] neg_lo:[0,0,1] neg_hi:[0,0,1]
	v_pk_fma_f32 v[72:73], v[74:75], v[68:69], v[72:73] op_sel:[0,0,1] op_sel_hi:[1,0,0]
	v_mov_b32_e32 v85, v73
	ds_load_2addr_b64 v[72:75], v236 offset0:27 offset1:28
	v_pk_add_f32 v[110:111], v[110:111], v[86:87] neg_lo:[0,1] neg_hi:[0,1]
	v_pk_add_f32 v[112:113], v[112:113], v[84:85] neg_lo:[0,1] neg_hi:[0,1]
	s_wait_dscnt 0x0
	v_dual_mul_f32 v84, v73, v71 :: v_dual_mul_f32 v86, v73, v68
	s_delay_alu instid0(VALU_DEP_1) | instskip(NEXT) | instid1(VALU_DEP_2)
	v_pk_fma_f32 v[84:85], v[72:73], v[80:81], v[84:85] op_sel_hi:[1,1,0] neg_lo:[0,0,1] neg_hi:[0,0,1]
	v_pk_fma_f32 v[72:73], v[72:73], v[80:81], v[86:87] op_sel:[1,0,0] op_sel_hi:[0,1,0]
	s_delay_alu instid0(VALU_DEP_1) | instskip(SKIP_1) | instid1(VALU_DEP_2)
	v_mov_b32_e32 v85, v73
	v_pk_mul_f32 v[72:73], v[74:75], v[70:71] op_sel:[0,1]
	v_pk_add_f32 v[108:109], v[108:109], v[84:85] neg_lo:[0,1] neg_hi:[0,1]
	s_delay_alu instid0(VALU_DEP_2) | instskip(SKIP_1) | instid1(VALU_DEP_1)
	v_pk_fma_f32 v[84:85], v[74:75], v[68:69], v[72:73] op_sel:[0,0,1] op_sel_hi:[1,1,0] neg_lo:[0,0,1] neg_hi:[0,0,1]
	v_pk_fma_f32 v[72:73], v[74:75], v[68:69], v[72:73] op_sel:[0,0,1] op_sel_hi:[1,0,0]
	v_mov_b32_e32 v85, v73
	ds_load_2addr_b64 v[72:75], v236 offset0:29 offset1:30
	v_pk_add_f32 v[130:131], v[130:131], v[84:85] neg_lo:[0,1] neg_hi:[0,1]
	s_wait_dscnt 0x0
	v_pk_mul_f32 v[84:85], v[72:73], v[70:71] op_sel:[0,1]
	s_delay_alu instid0(VALU_DEP_1) | instskip(SKIP_1) | instid1(VALU_DEP_1)
	v_pk_fma_f32 v[86:87], v[72:73], v[68:69], v[84:85] op_sel:[0,0,1] op_sel_hi:[1,1,0] neg_lo:[0,0,1] neg_hi:[0,0,1]
	v_pk_fma_f32 v[72:73], v[72:73], v[68:69], v[84:85] op_sel:[0,0,1] op_sel_hi:[1,0,0]
	v_mov_b32_e32 v87, v73
	v_pk_mul_f32 v[72:73], v[74:75], v[70:71] op_sel:[0,1]
	s_delay_alu instid0(VALU_DEP_2) | instskip(NEXT) | instid1(VALU_DEP_2)
	v_pk_add_f32 v[126:127], v[126:127], v[86:87] neg_lo:[0,1] neg_hi:[0,1]
	v_pk_fma_f32 v[84:85], v[74:75], v[68:69], v[72:73] op_sel:[0,0,1] op_sel_hi:[1,1,0] neg_lo:[0,0,1] neg_hi:[0,0,1]
	v_pk_fma_f32 v[72:73], v[74:75], v[68:69], v[72:73] op_sel:[0,0,1] op_sel_hi:[1,0,0]
	s_delay_alu instid0(VALU_DEP_1) | instskip(SKIP_4) | instid1(VALU_DEP_1)
	v_mov_b32_e32 v85, v73
	ds_load_2addr_b64 v[72:75], v236 offset0:31 offset1:32
	v_pk_add_f32 v[128:129], v[128:129], v[84:85] neg_lo:[0,1] neg_hi:[0,1]
	s_wait_dscnt 0x0
	v_pk_mul_f32 v[84:85], v[72:73], v[70:71] op_sel:[0,1]
	v_pk_fma_f32 v[86:87], v[72:73], v[68:69], v[84:85] op_sel:[0,0,1] op_sel_hi:[1,1,0] neg_lo:[0,0,1] neg_hi:[0,0,1]
	v_pk_fma_f32 v[72:73], v[72:73], v[68:69], v[84:85] op_sel:[0,0,1] op_sel_hi:[1,0,0]
	v_dual_mul_f32 v84, v75, v71 :: v_dual_mov_b32 v72, v75
	s_delay_alu instid0(VALU_DEP_2) | instskip(NEXT) | instid1(VALU_DEP_2)
	v_dual_mov_b32 v87, v73 :: v_dual_mov_b32 v73, v74
	v_pk_fma_f32 v[84:85], v[74:75], v[80:81], v[84:85] op_sel_hi:[1,1,0] neg_lo:[0,0,1] neg_hi:[0,0,1]
	v_mul_f32_e32 v74, v75, v68
	s_delay_alu instid0(VALU_DEP_3) | instskip(NEXT) | instid1(VALU_DEP_2)
	v_pk_add_f32 v[124:125], v[124:125], v[86:87] neg_lo:[0,1] neg_hi:[0,1]
	v_pk_fma_f32 v[72:73], v[72:73], v[80:81], v[74:75] op_sel_hi:[1,1,0]
	s_delay_alu instid0(VALU_DEP_1) | instskip(SKIP_4) | instid1(VALU_DEP_1)
	v_mov_b32_e32 v85, v73
	ds_load_2addr_b64 v[72:75], v236 offset0:33 offset1:34
	v_pk_add_f32 v[146:147], v[146:147], v[84:85] neg_lo:[0,1] neg_hi:[0,1]
	s_wait_dscnt 0x0
	v_pk_mul_f32 v[84:85], v[72:73], v[70:71] op_sel:[0,1]
	v_pk_fma_f32 v[86:87], v[72:73], v[68:69], v[84:85] op_sel:[0,0,1] op_sel_hi:[1,1,0] neg_lo:[0,0,1] neg_hi:[0,0,1]
	v_pk_fma_f32 v[72:73], v[72:73], v[68:69], v[84:85] op_sel:[0,0,1] op_sel_hi:[1,0,0]
	s_delay_alu instid0(VALU_DEP_1) | instskip(SKIP_1) | instid1(VALU_DEP_1)
	v_mov_b32_e32 v87, v73
	v_pk_mul_f32 v[72:73], v[74:75], v[70:71] op_sel:[0,1]
	v_pk_fma_f32 v[84:85], v[74:75], v[68:69], v[72:73] op_sel:[0,0,1] op_sel_hi:[1,1,0] neg_lo:[0,0,1] neg_hi:[0,0,1]
	v_pk_fma_f32 v[72:73], v[74:75], v[68:69], v[72:73] op_sel:[0,0,1] op_sel_hi:[1,0,0]
	s_delay_alu instid0(VALU_DEP_1)
	v_mov_b32_e32 v85, v73
	ds_load_2addr_b64 v[72:75], v236 offset0:35 offset1:36
	v_pk_add_f32 v[142:143], v[142:143], v[86:87] neg_lo:[0,1] neg_hi:[0,1]
	v_pk_add_f32 v[144:145], v[144:145], v[84:85] neg_lo:[0,1] neg_hi:[0,1]
	s_wait_dscnt 0x0
	v_pk_mul_f32 v[84:85], v[72:73], v[70:71] op_sel:[0,1]
	s_delay_alu instid0(VALU_DEP_1) | instskip(SKIP_1) | instid1(VALU_DEP_1)
	v_pk_fma_f32 v[86:87], v[72:73], v[68:69], v[84:85] op_sel:[0,0,1] op_sel_hi:[1,1,0] neg_lo:[0,0,1] neg_hi:[0,0,1]
	v_pk_fma_f32 v[72:73], v[72:73], v[68:69], v[84:85] op_sel:[0,0,1] op_sel_hi:[1,0,0]
	v_mov_b32_e32 v87, v73
	v_pk_mul_f32 v[72:73], v[74:75], v[70:71] op_sel:[0,1]
	s_delay_alu instid0(VALU_DEP_1) | instskip(SKIP_1) | instid1(VALU_DEP_1)
	v_pk_fma_f32 v[84:85], v[74:75], v[68:69], v[72:73] op_sel:[0,0,1] op_sel_hi:[1,1,0] neg_lo:[0,0,1] neg_hi:[0,0,1]
	v_pk_fma_f32 v[72:73], v[74:75], v[68:69], v[72:73] op_sel:[0,0,1] op_sel_hi:[1,0,0]
	v_mov_b32_e32 v85, v73
	ds_load_2addr_b64 v[72:75], v236 offset0:37 offset1:38
	v_pk_add_f32 v[140:141], v[140:141], v[86:87] neg_lo:[0,1] neg_hi:[0,1]
	v_pk_add_f32 v[162:163], v[162:163], v[84:85] neg_lo:[0,1] neg_hi:[0,1]
	s_wait_dscnt 0x0
	v_dual_mul_f32 v84, v73, v71 :: v_dual_mul_f32 v86, v73, v68
	s_delay_alu instid0(VALU_DEP_1) | instskip(NEXT) | instid1(VALU_DEP_2)
	v_pk_fma_f32 v[84:85], v[72:73], v[80:81], v[84:85] op_sel_hi:[1,1,0] neg_lo:[0,0,1] neg_hi:[0,0,1]
	v_pk_fma_f32 v[72:73], v[72:73], v[80:81], v[86:87] op_sel:[1,0,0] op_sel_hi:[0,1,0]
	s_delay_alu instid0(VALU_DEP_1) | instskip(SKIP_1) | instid1(VALU_DEP_2)
	v_mov_b32_e32 v85, v73
	v_pk_mul_f32 v[72:73], v[74:75], v[70:71] op_sel:[0,1]
	v_pk_add_f32 v[158:159], v[158:159], v[84:85] neg_lo:[0,1] neg_hi:[0,1]
	s_delay_alu instid0(VALU_DEP_2) | instskip(SKIP_1) | instid1(VALU_DEP_1)
	v_pk_fma_f32 v[84:85], v[74:75], v[68:69], v[72:73] op_sel:[0,0,1] op_sel_hi:[1,1,0] neg_lo:[0,0,1] neg_hi:[0,0,1]
	v_pk_fma_f32 v[72:73], v[74:75], v[68:69], v[72:73] op_sel:[0,0,1] op_sel_hi:[1,0,0]
	v_mov_b32_e32 v85, v73
	ds_load_2addr_b64 v[72:75], v236 offset0:39 offset1:40
	v_pk_add_f32 v[160:161], v[160:161], v[84:85] neg_lo:[0,1] neg_hi:[0,1]
	s_wait_dscnt 0x0
	v_pk_mul_f32 v[84:85], v[72:73], v[70:71] op_sel:[0,1]
	s_delay_alu instid0(VALU_DEP_1) | instskip(SKIP_1) | instid1(VALU_DEP_1)
	v_pk_fma_f32 v[86:87], v[72:73], v[68:69], v[84:85] op_sel:[0,0,1] op_sel_hi:[1,1,0] neg_lo:[0,0,1] neg_hi:[0,0,1]
	v_pk_fma_f32 v[72:73], v[72:73], v[68:69], v[84:85] op_sel:[0,0,1] op_sel_hi:[1,0,0]
	v_mov_b32_e32 v87, v73
	v_pk_mul_f32 v[72:73], v[74:75], v[70:71] op_sel:[0,1]
	s_delay_alu instid0(VALU_DEP_2) | instskip(NEXT) | instid1(VALU_DEP_2)
	v_pk_add_f32 v[156:157], v[156:157], v[86:87] neg_lo:[0,1] neg_hi:[0,1]
	v_pk_fma_f32 v[84:85], v[74:75], v[68:69], v[72:73] op_sel:[0,0,1] op_sel_hi:[1,1,0] neg_lo:[0,0,1] neg_hi:[0,0,1]
	v_pk_fma_f32 v[72:73], v[74:75], v[68:69], v[72:73] op_sel:[0,0,1] op_sel_hi:[1,0,0]
	s_delay_alu instid0(VALU_DEP_1) | instskip(SKIP_4) | instid1(VALU_DEP_1)
	v_mov_b32_e32 v85, v73
	ds_load_2addr_b64 v[72:75], v236 offset0:41 offset1:42
	v_pk_add_f32 v[178:179], v[178:179], v[84:85] neg_lo:[0,1] neg_hi:[0,1]
	s_wait_dscnt 0x0
	v_pk_mul_f32 v[84:85], v[72:73], v[70:71] op_sel:[0,1]
	v_pk_fma_f32 v[86:87], v[72:73], v[68:69], v[84:85] op_sel:[0,0,1] op_sel_hi:[1,1,0] neg_lo:[0,0,1] neg_hi:[0,0,1]
	v_pk_fma_f32 v[72:73], v[72:73], v[68:69], v[84:85] op_sel:[0,0,1] op_sel_hi:[1,0,0]
	v_dual_mul_f32 v84, v75, v71 :: v_dual_mov_b32 v72, v75
	s_delay_alu instid0(VALU_DEP_2) | instskip(NEXT) | instid1(VALU_DEP_2)
	v_dual_mov_b32 v87, v73 :: v_dual_mov_b32 v73, v74
	v_pk_fma_f32 v[84:85], v[74:75], v[80:81], v[84:85] op_sel_hi:[1,1,0] neg_lo:[0,0,1] neg_hi:[0,0,1]
	v_mul_f32_e32 v74, v75, v68
	s_delay_alu instid0(VALU_DEP_3) | instskip(NEXT) | instid1(VALU_DEP_2)
	v_pk_add_f32 v[174:175], v[174:175], v[86:87] neg_lo:[0,1] neg_hi:[0,1]
	v_pk_fma_f32 v[72:73], v[72:73], v[80:81], v[74:75] op_sel_hi:[1,1,0]
	s_delay_alu instid0(VALU_DEP_1) | instskip(SKIP_4) | instid1(VALU_DEP_1)
	v_mov_b32_e32 v85, v73
	ds_load_2addr_b64 v[72:75], v236 offset0:43 offset1:44
	v_pk_add_f32 v[176:177], v[176:177], v[84:85] neg_lo:[0,1] neg_hi:[0,1]
	s_wait_dscnt 0x0
	v_pk_mul_f32 v[84:85], v[72:73], v[70:71] op_sel:[0,1]
	v_pk_fma_f32 v[86:87], v[72:73], v[68:69], v[84:85] op_sel:[0,0,1] op_sel_hi:[1,1,0] neg_lo:[0,0,1] neg_hi:[0,0,1]
	v_pk_fma_f32 v[72:73], v[72:73], v[68:69], v[84:85] op_sel:[0,0,1] op_sel_hi:[1,0,0]
	s_delay_alu instid0(VALU_DEP_1) | instskip(SKIP_1) | instid1(VALU_DEP_1)
	v_mov_b32_e32 v87, v73
	v_pk_mul_f32 v[72:73], v[74:75], v[70:71] op_sel:[0,1]
	v_pk_fma_f32 v[84:85], v[74:75], v[68:69], v[72:73] op_sel:[0,0,1] op_sel_hi:[1,1,0] neg_lo:[0,0,1] neg_hi:[0,0,1]
	v_pk_fma_f32 v[72:73], v[74:75], v[68:69], v[72:73] op_sel:[0,0,1] op_sel_hi:[1,0,0]
	s_delay_alu instid0(VALU_DEP_1)
	v_mov_b32_e32 v85, v73
	ds_load_2addr_b64 v[72:75], v236 offset0:45 offset1:46
	v_pk_add_f32 v[172:173], v[172:173], v[86:87] neg_lo:[0,1] neg_hi:[0,1]
	v_pk_add_f32 v[194:195], v[194:195], v[84:85] neg_lo:[0,1] neg_hi:[0,1]
	s_wait_dscnt 0x0
	v_pk_mul_f32 v[84:85], v[72:73], v[70:71] op_sel:[0,1]
	s_delay_alu instid0(VALU_DEP_1) | instskip(SKIP_1) | instid1(VALU_DEP_1)
	v_pk_fma_f32 v[86:87], v[72:73], v[68:69], v[84:85] op_sel:[0,0,1] op_sel_hi:[1,1,0] neg_lo:[0,0,1] neg_hi:[0,0,1]
	v_pk_fma_f32 v[72:73], v[72:73], v[68:69], v[84:85] op_sel:[0,0,1] op_sel_hi:[1,0,0]
	v_mov_b32_e32 v87, v73
	v_pk_mul_f32 v[72:73], v[74:75], v[70:71] op_sel:[0,1]
	s_delay_alu instid0(VALU_DEP_1) | instskip(SKIP_1) | instid1(VALU_DEP_1)
	v_pk_fma_f32 v[84:85], v[74:75], v[68:69], v[72:73] op_sel:[0,0,1] op_sel_hi:[1,1,0] neg_lo:[0,0,1] neg_hi:[0,0,1]
	v_pk_fma_f32 v[72:73], v[74:75], v[68:69], v[72:73] op_sel:[0,0,1] op_sel_hi:[1,0,0]
	v_mov_b32_e32 v85, v73
	ds_load_2addr_b64 v[72:75], v236 offset0:47 offset1:48
	v_pk_add_f32 v[190:191], v[190:191], v[86:87] neg_lo:[0,1] neg_hi:[0,1]
	v_pk_add_f32 v[192:193], v[192:193], v[84:85] neg_lo:[0,1] neg_hi:[0,1]
	s_wait_dscnt 0x0
	v_dual_mul_f32 v84, v73, v71 :: v_dual_mul_f32 v86, v73, v68
	s_delay_alu instid0(VALU_DEP_1) | instskip(NEXT) | instid1(VALU_DEP_2)
	v_pk_fma_f32 v[84:85], v[72:73], v[80:81], v[84:85] op_sel_hi:[1,1,0] neg_lo:[0,0,1] neg_hi:[0,0,1]
	v_pk_fma_f32 v[72:73], v[72:73], v[80:81], v[86:87] op_sel:[1,0,0] op_sel_hi:[0,1,0]
	s_delay_alu instid0(VALU_DEP_1) | instskip(SKIP_1) | instid1(VALU_DEP_2)
	v_mov_b32_e32 v85, v73
	v_pk_mul_f32 v[72:73], v[74:75], v[70:71] op_sel:[0,1]
	v_pk_add_f32 v[188:189], v[188:189], v[84:85] neg_lo:[0,1] neg_hi:[0,1]
	s_delay_alu instid0(VALU_DEP_2) | instskip(SKIP_1) | instid1(VALU_DEP_1)
	v_pk_fma_f32 v[84:85], v[74:75], v[68:69], v[72:73] op_sel:[0,0,1] op_sel_hi:[1,1,0] neg_lo:[0,0,1] neg_hi:[0,0,1]
	v_pk_fma_f32 v[72:73], v[74:75], v[68:69], v[72:73] op_sel:[0,0,1] op_sel_hi:[1,0,0]
	v_mov_b32_e32 v85, v73
	ds_load_2addr_b64 v[72:75], v236 offset0:49 offset1:50
	v_pk_add_f32 v[210:211], v[210:211], v[84:85] neg_lo:[0,1] neg_hi:[0,1]
	s_wait_dscnt 0x0
	v_pk_mul_f32 v[84:85], v[72:73], v[70:71] op_sel:[0,1]
	s_delay_alu instid0(VALU_DEP_1) | instskip(SKIP_1) | instid1(VALU_DEP_1)
	v_pk_fma_f32 v[86:87], v[72:73], v[68:69], v[84:85] op_sel:[0,0,1] op_sel_hi:[1,1,0] neg_lo:[0,0,1] neg_hi:[0,0,1]
	v_pk_fma_f32 v[72:73], v[72:73], v[68:69], v[84:85] op_sel:[0,0,1] op_sel_hi:[1,0,0]
	v_mov_b32_e32 v87, v73
	v_pk_mul_f32 v[72:73], v[74:75], v[70:71] op_sel:[0,1]
	s_delay_alu instid0(VALU_DEP_2) | instskip(NEXT) | instid1(VALU_DEP_2)
	v_pk_add_f32 v[206:207], v[206:207], v[86:87] neg_lo:[0,1] neg_hi:[0,1]
	v_pk_fma_f32 v[84:85], v[74:75], v[68:69], v[72:73] op_sel:[0,0,1] op_sel_hi:[1,1,0] neg_lo:[0,0,1] neg_hi:[0,0,1]
	v_pk_fma_f32 v[72:73], v[74:75], v[68:69], v[72:73] op_sel:[0,0,1] op_sel_hi:[1,0,0]
	s_delay_alu instid0(VALU_DEP_1) | instskip(SKIP_4) | instid1(VALU_DEP_1)
	v_mov_b32_e32 v85, v73
	ds_load_2addr_b64 v[72:75], v236 offset0:51 offset1:52
	v_pk_add_f32 v[208:209], v[208:209], v[84:85] neg_lo:[0,1] neg_hi:[0,1]
	s_wait_dscnt 0x0
	v_pk_mul_f32 v[84:85], v[72:73], v[70:71] op_sel:[0,1]
	v_pk_fma_f32 v[86:87], v[72:73], v[68:69], v[84:85] op_sel:[0,0,1] op_sel_hi:[1,1,0] neg_lo:[0,0,1] neg_hi:[0,0,1]
	v_pk_fma_f32 v[72:73], v[72:73], v[68:69], v[84:85] op_sel:[0,0,1] op_sel_hi:[1,0,0]
	v_dual_mul_f32 v84, v75, v71 :: v_dual_mov_b32 v72, v75
	s_delay_alu instid0(VALU_DEP_2) | instskip(NEXT) | instid1(VALU_DEP_2)
	v_dual_mov_b32 v87, v73 :: v_dual_mov_b32 v73, v74
	v_pk_fma_f32 v[84:85], v[74:75], v[80:81], v[84:85] op_sel_hi:[1,1,0] neg_lo:[0,0,1] neg_hi:[0,0,1]
	v_mul_f32_e32 v74, v75, v68
	s_delay_alu instid0(VALU_DEP_3) | instskip(NEXT) | instid1(VALU_DEP_2)
	v_pk_add_f32 v[204:205], v[204:205], v[86:87] neg_lo:[0,1] neg_hi:[0,1]
	v_pk_fma_f32 v[72:73], v[72:73], v[80:81], v[74:75] op_sel_hi:[1,1,0]
	s_delay_alu instid0(VALU_DEP_1) | instskip(SKIP_4) | instid1(VALU_DEP_1)
	v_mov_b32_e32 v85, v73
	ds_load_2addr_b64 v[72:75], v236 offset0:53 offset1:54
	v_pk_add_f32 v[228:229], v[228:229], v[84:85] neg_lo:[0,1] neg_hi:[0,1]
	s_wait_dscnt 0x0
	v_pk_mul_f32 v[84:85], v[72:73], v[70:71] op_sel:[0,1]
	v_pk_fma_f32 v[86:87], v[72:73], v[68:69], v[84:85] op_sel:[0,0,1] op_sel_hi:[1,1,0] neg_lo:[0,0,1] neg_hi:[0,0,1]
	v_pk_fma_f32 v[72:73], v[72:73], v[68:69], v[84:85] op_sel:[0,0,1] op_sel_hi:[1,0,0]
	s_delay_alu instid0(VALU_DEP_1) | instskip(SKIP_1) | instid1(VALU_DEP_1)
	v_mov_b32_e32 v87, v73
	v_pk_mul_f32 v[72:73], v[74:75], v[70:71] op_sel:[0,1]
	v_pk_fma_f32 v[84:85], v[74:75], v[68:69], v[72:73] op_sel:[0,0,1] op_sel_hi:[1,1,0] neg_lo:[0,0,1] neg_hi:[0,0,1]
	v_pk_fma_f32 v[72:73], v[74:75], v[68:69], v[72:73] op_sel:[0,0,1] op_sel_hi:[1,0,0]
	s_delay_alu instid0(VALU_DEP_1)
	v_mov_b32_e32 v85, v73
	ds_load_2addr_b64 v[72:75], v236 offset0:55 offset1:56
	v_pk_add_f32 v[224:225], v[224:225], v[86:87] neg_lo:[0,1] neg_hi:[0,1]
	v_pk_add_f32 v[226:227], v[226:227], v[84:85] neg_lo:[0,1] neg_hi:[0,1]
	s_wait_dscnt 0x0
	v_pk_mul_f32 v[84:85], v[72:73], v[70:71] op_sel:[0,1]
	s_delay_alu instid0(VALU_DEP_1) | instskip(SKIP_1) | instid1(VALU_DEP_1)
	v_pk_fma_f32 v[86:87], v[72:73], v[68:69], v[84:85] op_sel:[0,0,1] op_sel_hi:[1,1,0] neg_lo:[0,0,1] neg_hi:[0,0,1]
	v_pk_fma_f32 v[72:73], v[72:73], v[68:69], v[84:85] op_sel:[0,0,1] op_sel_hi:[1,0,0]
	v_mov_b32_e32 v87, v73
	v_pk_mul_f32 v[72:73], v[74:75], v[70:71] op_sel:[0,1]
	s_delay_alu instid0(VALU_DEP_1) | instskip(SKIP_1) | instid1(VALU_DEP_1)
	v_pk_fma_f32 v[84:85], v[74:75], v[68:69], v[72:73] op_sel:[0,0,1] op_sel_hi:[1,1,0] neg_lo:[0,0,1] neg_hi:[0,0,1]
	v_pk_fma_f32 v[72:73], v[74:75], v[68:69], v[72:73] op_sel:[0,0,1] op_sel_hi:[1,0,0]
	v_mov_b32_e32 v85, v73
	ds_load_2addr_b64 v[72:75], v236 offset0:57 offset1:58
	v_pk_add_f32 v[222:223], v[222:223], v[86:87] neg_lo:[0,1] neg_hi:[0,1]
	v_pk_add_f32 v[244:245], v[244:245], v[84:85] neg_lo:[0,1] neg_hi:[0,1]
	s_wait_dscnt 0x0
	v_dual_mul_f32 v84, v73, v71 :: v_dual_mul_f32 v86, v73, v68
	s_delay_alu instid0(VALU_DEP_1) | instskip(NEXT) | instid1(VALU_DEP_2)
	v_pk_fma_f32 v[84:85], v[72:73], v[80:81], v[84:85] op_sel_hi:[1,1,0] neg_lo:[0,0,1] neg_hi:[0,0,1]
	v_pk_fma_f32 v[72:73], v[72:73], v[80:81], v[86:87] op_sel:[1,0,0] op_sel_hi:[0,1,0]
	s_delay_alu instid0(VALU_DEP_1) | instskip(SKIP_1) | instid1(VALU_DEP_2)
	v_mov_b32_e32 v85, v73
	v_pk_mul_f32 v[72:73], v[74:75], v[70:71] op_sel:[0,1]
	v_pk_add_f32 v[240:241], v[240:241], v[84:85] neg_lo:[0,1] neg_hi:[0,1]
	s_delay_alu instid0(VALU_DEP_2) | instskip(SKIP_1) | instid1(VALU_DEP_1)
	v_pk_fma_f32 v[84:85], v[74:75], v[68:69], v[72:73] op_sel:[0,0,1] op_sel_hi:[1,1,0] neg_lo:[0,0,1] neg_hi:[0,0,1]
	v_pk_fma_f32 v[72:73], v[74:75], v[68:69], v[72:73] op_sel:[0,0,1] op_sel_hi:[1,0,0]
	v_mov_b32_e32 v85, v73
	ds_load_2addr_b64 v[72:75], v236 offset0:59 offset1:60
	v_pk_add_f32 v[242:243], v[242:243], v[84:85] neg_lo:[0,1] neg_hi:[0,1]
	s_wait_dscnt 0x0
	v_pk_mul_f32 v[84:85], v[72:73], v[70:71] op_sel:[0,1]
	s_delay_alu instid0(VALU_DEP_1) | instskip(SKIP_1) | instid1(VALU_DEP_1)
	v_pk_fma_f32 v[86:87], v[72:73], v[68:69], v[84:85] op_sel:[0,0,1] op_sel_hi:[1,1,0] neg_lo:[0,0,1] neg_hi:[0,0,1]
	v_pk_fma_f32 v[72:73], v[72:73], v[68:69], v[84:85] op_sel:[0,0,1] op_sel_hi:[1,0,0]
	v_mov_b32_e32 v87, v73
	v_pk_mul_f32 v[72:73], v[74:75], v[70:71] op_sel:[0,1]
	s_delay_alu instid0(VALU_DEP_2) | instskip(NEXT) | instid1(VALU_DEP_2)
	v_pk_add_f32 v[238:239], v[238:239], v[86:87] neg_lo:[0,1] neg_hi:[0,1]
	v_pk_fma_f32 v[84:85], v[74:75], v[68:69], v[72:73] op_sel:[0,0,1] op_sel_hi:[1,1,0] neg_lo:[0,0,1] neg_hi:[0,0,1]
	v_pk_fma_f32 v[72:73], v[74:75], v[68:69], v[72:73] op_sel:[0,0,1] op_sel_hi:[1,0,0]
	s_delay_alu instid0(VALU_DEP_1) | instskip(SKIP_4) | instid1(VALU_DEP_1)
	v_mov_b32_e32 v85, v73
	ds_load_b64 v[72:73], v236 offset:488
	v_pk_add_f32 v[246:247], v[246:247], v[84:85] neg_lo:[0,1] neg_hi:[0,1]
	s_wait_dscnt 0x0
	v_pk_mul_f32 v[70:71], v[72:73], v[70:71] op_sel:[0,1]
	v_pk_fma_f32 v[74:75], v[72:73], v[68:69], v[70:71] op_sel:[0,0,1] op_sel_hi:[1,1,0] neg_lo:[0,0,1] neg_hi:[0,0,1]
	v_pk_fma_f32 v[68:69], v[72:73], v[68:69], v[70:71] op_sel:[0,0,1] op_sel_hi:[1,0,0]
	s_delay_alu instid0(VALU_DEP_1) | instskip(NEXT) | instid1(VALU_DEP_1)
	v_mov_b32_e32 v75, v69
	v_pk_add_f32 v[248:249], v[248:249], v[74:75] neg_lo:[0,1] neg_hi:[0,1]
.LBB123_172:
	s_or_b32 exec_lo, exec_lo, s1
	s_delay_alu instid0(SALU_CYCLE_1)
	s_mov_b32 s2, exec_lo
	s_wait_dscnt 0x0
	s_barrier_signal -1
	s_barrier_wait -1
	v_cmpx_eq_u32_e32 19, v234
	s_cbranch_execz .LBB123_179
; %bb.173:
	v_dual_mov_b32 v68, v98 :: v_dual_mov_b32 v69, v99
	v_dual_mov_b32 v70, v94 :: v_dual_mov_b32 v71, v95
	ds_store_b64 v235, v[76:77]
	ds_store_2addr_b64 v236, v[68:69], v[70:71] offset0:20 offset1:21
	v_dual_mov_b32 v68, v96 :: v_dual_mov_b32 v69, v97
	v_dual_mov_b32 v70, v92 :: v_dual_mov_b32 v71, v93
	ds_store_2addr_b64 v236, v[68:69], v[70:71] offset0:22 offset1:23
	v_dual_mov_b32 v68, v114 :: v_dual_mov_b32 v69, v115
	v_dual_mov_b32 v70, v110 :: v_dual_mov_b32 v71, v111
	ds_store_2addr_b64 v236, v[68:69], v[70:71] offset0:24 offset1:25
	v_dual_mov_b32 v68, v112 :: v_dual_mov_b32 v69, v113
	v_dual_mov_b32 v70, v108 :: v_dual_mov_b32 v71, v109
	ds_store_2addr_b64 v236, v[68:69], v[70:71] offset0:26 offset1:27
	v_dual_mov_b32 v68, v130 :: v_dual_mov_b32 v69, v131
	v_dual_mov_b32 v70, v126 :: v_dual_mov_b32 v71, v127
	ds_store_2addr_b64 v236, v[68:69], v[70:71] offset0:28 offset1:29
	v_dual_mov_b32 v68, v128 :: v_dual_mov_b32 v69, v129
	v_dual_mov_b32 v70, v124 :: v_dual_mov_b32 v71, v125
	ds_store_2addr_b64 v236, v[68:69], v[70:71] offset0:30 offset1:31
	v_dual_mov_b32 v68, v146 :: v_dual_mov_b32 v69, v147
	v_dual_mov_b32 v70, v142 :: v_dual_mov_b32 v71, v143
	ds_store_2addr_b64 v236, v[68:69], v[70:71] offset0:32 offset1:33
	v_dual_mov_b32 v68, v144 :: v_dual_mov_b32 v69, v145
	v_dual_mov_b32 v70, v140 :: v_dual_mov_b32 v71, v141
	ds_store_2addr_b64 v236, v[68:69], v[70:71] offset0:34 offset1:35
	v_dual_mov_b32 v68, v162 :: v_dual_mov_b32 v69, v163
	v_dual_mov_b32 v70, v158 :: v_dual_mov_b32 v71, v159
	ds_store_2addr_b64 v236, v[68:69], v[70:71] offset0:36 offset1:37
	v_dual_mov_b32 v68, v160 :: v_dual_mov_b32 v69, v161
	v_dual_mov_b32 v70, v156 :: v_dual_mov_b32 v71, v157
	ds_store_2addr_b64 v236, v[68:69], v[70:71] offset0:38 offset1:39
	v_dual_mov_b32 v68, v178 :: v_dual_mov_b32 v69, v179
	v_dual_mov_b32 v70, v174 :: v_dual_mov_b32 v71, v175
	ds_store_2addr_b64 v236, v[68:69], v[70:71] offset0:40 offset1:41
	v_dual_mov_b32 v68, v176 :: v_dual_mov_b32 v69, v177
	v_dual_mov_b32 v70, v172 :: v_dual_mov_b32 v71, v173
	ds_store_2addr_b64 v236, v[68:69], v[70:71] offset0:42 offset1:43
	v_dual_mov_b32 v68, v194 :: v_dual_mov_b32 v69, v195
	v_dual_mov_b32 v70, v190 :: v_dual_mov_b32 v71, v191
	ds_store_2addr_b64 v236, v[68:69], v[70:71] offset0:44 offset1:45
	v_dual_mov_b32 v68, v192 :: v_dual_mov_b32 v69, v193
	v_dual_mov_b32 v70, v188 :: v_dual_mov_b32 v71, v189
	ds_store_2addr_b64 v236, v[68:69], v[70:71] offset0:46 offset1:47
	v_dual_mov_b32 v68, v210 :: v_dual_mov_b32 v69, v211
	v_dual_mov_b32 v70, v206 :: v_dual_mov_b32 v71, v207
	ds_store_2addr_b64 v236, v[68:69], v[70:71] offset0:48 offset1:49
	v_dual_mov_b32 v68, v208 :: v_dual_mov_b32 v69, v209
	v_dual_mov_b32 v70, v204 :: v_dual_mov_b32 v71, v205
	ds_store_2addr_b64 v236, v[68:69], v[70:71] offset0:50 offset1:51
	v_dual_mov_b32 v68, v228 :: v_dual_mov_b32 v69, v229
	v_dual_mov_b32 v70, v224 :: v_dual_mov_b32 v71, v225
	ds_store_2addr_b64 v236, v[68:69], v[70:71] offset0:52 offset1:53
	v_dual_mov_b32 v68, v226 :: v_dual_mov_b32 v69, v227
	v_dual_mov_b32 v70, v222 :: v_dual_mov_b32 v71, v223
	ds_store_2addr_b64 v236, v[68:69], v[70:71] offset0:54 offset1:55
	v_dual_mov_b32 v68, v244 :: v_dual_mov_b32 v69, v245
	v_dual_mov_b32 v70, v240 :: v_dual_mov_b32 v71, v241
	ds_store_2addr_b64 v236, v[68:69], v[70:71] offset0:56 offset1:57
	v_dual_mov_b32 v68, v242 :: v_dual_mov_b32 v69, v243
	v_dual_mov_b32 v70, v238 :: v_dual_mov_b32 v71, v239
	ds_store_2addr_b64 v236, v[68:69], v[70:71] offset0:58 offset1:59
	v_dual_mov_b32 v68, v246 :: v_dual_mov_b32 v69, v247
	ds_store_2addr_b64 v236, v[68:69], v[248:249] offset0:60 offset1:61
	ds_load_b64 v[68:69], v235
	s_wait_dscnt 0x0
	v_cmp_neq_f32_e32 vcc_lo, 0, v68
	v_cmp_neq_f32_e64 s1, 0, v69
	s_or_b32 s1, vcc_lo, s1
	s_delay_alu instid0(SALU_CYCLE_1)
	s_and_b32 exec_lo, exec_lo, s1
	s_cbranch_execz .LBB123_179
; %bb.174:
	v_cmp_ngt_f32_e64 s1, |v68|, |v69|
                                        ; implicit-def: $vgpr70_vgpr71
	s_and_saveexec_b32 s4, s1
	s_delay_alu instid0(SALU_CYCLE_1)
	s_xor_b32 s1, exec_lo, s4
	s_cbranch_execz .LBB123_176
; %bb.175:
	v_div_scale_f32 v0, null, v69, v69, v68
	v_div_scale_f32 v71, vcc_lo, v68, v69, v68
	s_delay_alu instid0(VALU_DEP_2) | instskip(SKIP_1) | instid1(TRANS32_DEP_1)
	v_rcp_f32_e32 v1, v0
	v_nop
	v_fma_f32 v70, -v0, v1, 1.0
	s_delay_alu instid0(VALU_DEP_1) | instskip(NEXT) | instid1(VALU_DEP_1)
	v_fmac_f32_e32 v1, v70, v1
	v_mul_f32_e32 v70, v71, v1
	s_delay_alu instid0(VALU_DEP_1) | instskip(NEXT) | instid1(VALU_DEP_1)
	v_fma_f32 v72, -v0, v70, v71
	v_fmac_f32_e32 v70, v72, v1
	s_delay_alu instid0(VALU_DEP_1) | instskip(NEXT) | instid1(VALU_DEP_1)
	v_fma_f32 v0, -v0, v70, v71
	v_div_fmas_f32 v0, v0, v1, v70
	s_delay_alu instid0(VALU_DEP_1) | instskip(NEXT) | instid1(VALU_DEP_1)
	v_div_fixup_f32 v0, v0, v69, v68
	v_fmac_f32_e32 v69, v68, v0
	s_delay_alu instid0(VALU_DEP_1) | instskip(SKIP_1) | instid1(VALU_DEP_2)
	v_div_scale_f32 v1, null, v69, v69, 1.0
	v_div_scale_f32 v71, vcc_lo, 1.0, v69, 1.0
	v_rcp_f32_e32 v68, v1
	v_nop
	s_delay_alu instid0(TRANS32_DEP_1) | instskip(NEXT) | instid1(VALU_DEP_1)
	v_fma_f32 v70, -v1, v68, 1.0
	v_fmac_f32_e32 v68, v70, v68
	s_delay_alu instid0(VALU_DEP_1) | instskip(NEXT) | instid1(VALU_DEP_1)
	v_mul_f32_e32 v70, v71, v68
	v_fma_f32 v72, -v1, v70, v71
	s_delay_alu instid0(VALU_DEP_1) | instskip(NEXT) | instid1(VALU_DEP_1)
	v_fmac_f32_e32 v70, v72, v68
	v_fma_f32 v1, -v1, v70, v71
	s_delay_alu instid0(VALU_DEP_1) | instskip(NEXT) | instid1(VALU_DEP_1)
	v_div_fmas_f32 v1, v1, v68, v70
	v_div_fixup_f32 v1, v1, v69, 1.0
                                        ; implicit-def: $vgpr68_vgpr69
	s_delay_alu instid0(VALU_DEP_1)
	v_mul_f32_e32 v70, v0, v1
	v_xor_b32_e32 v71, 0x80000000, v1
.LBB123_176:
	s_and_not1_saveexec_b32 s1, s1
	s_cbranch_execz .LBB123_178
; %bb.177:
	v_div_scale_f32 v0, null, v68, v68, v69
	v_div_scale_f32 v71, vcc_lo, v69, v68, v69
	s_delay_alu instid0(VALU_DEP_2) | instskip(SKIP_1) | instid1(TRANS32_DEP_1)
	v_rcp_f32_e32 v1, v0
	v_nop
	v_fma_f32 v70, -v0, v1, 1.0
	s_delay_alu instid0(VALU_DEP_1) | instskip(NEXT) | instid1(VALU_DEP_1)
	v_fmac_f32_e32 v1, v70, v1
	v_mul_f32_e32 v70, v71, v1
	s_delay_alu instid0(VALU_DEP_1) | instskip(NEXT) | instid1(VALU_DEP_1)
	v_fma_f32 v72, -v0, v70, v71
	v_fmac_f32_e32 v70, v72, v1
	s_delay_alu instid0(VALU_DEP_1) | instskip(NEXT) | instid1(VALU_DEP_1)
	v_fma_f32 v0, -v0, v70, v71
	v_div_fmas_f32 v0, v0, v1, v70
	s_delay_alu instid0(VALU_DEP_1) | instskip(NEXT) | instid1(VALU_DEP_1)
	v_div_fixup_f32 v0, v0, v68, v69
	v_fmac_f32_e32 v68, v69, v0
	s_delay_alu instid0(VALU_DEP_1) | instskip(NEXT) | instid1(VALU_DEP_1)
	v_div_scale_f32 v1, null, v68, v68, 1.0
	v_rcp_f32_e32 v69, v1
	v_nop
	s_delay_alu instid0(TRANS32_DEP_1) | instskip(NEXT) | instid1(VALU_DEP_1)
	v_fma_f32 v70, -v1, v69, 1.0
	v_fmac_f32_e32 v69, v70, v69
	v_div_scale_f32 v70, vcc_lo, 1.0, v68, 1.0
	s_delay_alu instid0(VALU_DEP_1) | instskip(NEXT) | instid1(VALU_DEP_1)
	v_mul_f32_e32 v71, v70, v69
	v_fma_f32 v72, -v1, v71, v70
	s_delay_alu instid0(VALU_DEP_1) | instskip(NEXT) | instid1(VALU_DEP_1)
	v_fmac_f32_e32 v71, v72, v69
	v_fma_f32 v1, -v1, v71, v70
	s_delay_alu instid0(VALU_DEP_1) | instskip(NEXT) | instid1(VALU_DEP_1)
	v_div_fmas_f32 v1, v1, v69, v71
	v_div_fixup_f32 v70, v1, v68, 1.0
	s_delay_alu instid0(VALU_DEP_1)
	v_mul_f32_e64 v71, v0, -v70
.LBB123_178:
	s_or_b32 exec_lo, exec_lo, s1
	ds_store_b64 v235, v[70:71]
.LBB123_179:
	s_or_b32 exec_lo, exec_lo, s2
	s_wait_dscnt 0x0
	s_barrier_signal -1
	s_barrier_wait -1
	ds_load_b64 v[68:69], v235
	s_mov_b32 s1, exec_lo
	v_cmpx_lt_u32_e32 19, v234
	s_cbranch_execz .LBB123_181
; %bb.180:
	ds_load_2addr_b64 v[84:87], v236 offset0:20 offset1:21
	s_wait_dscnt 0x1
	v_pk_mul_f32 v[72:73], v[68:69], v[76:77] op_sel:[1,1] op_sel_hi:[0,1]
	s_delay_alu instid0(VALU_DEP_1) | instskip(SKIP_1) | instid1(VALU_DEP_1)
	v_pk_fma_f32 v[70:71], v[68:69], v[76:77], v[72:73] op_sel_hi:[1,0,1] neg_lo:[0,0,1] neg_hi:[0,0,1]
	v_pk_fma_f32 v[72:73], v[68:69], v[76:77], v[72:73] op_sel_hi:[1,0,1]
	v_dual_mov_b32 v76, v70 :: v_dual_mov_b32 v77, v73
	s_wait_dscnt 0x0
	s_delay_alu instid0(VALU_DEP_2) | instskip(NEXT) | instid1(VALU_DEP_1)
	v_pk_mul_f32 v[74:75], v[84:85], v[72:73] op_sel:[0,1]
	v_pk_fma_f32 v[88:89], v[84:85], v[70:71], v[74:75] op_sel:[0,0,1] op_sel_hi:[1,1,0] neg_lo:[0,0,1] neg_hi:[0,0,1]
	v_pk_fma_f32 v[74:75], v[84:85], v[70:71], v[74:75] op_sel:[0,0,1] op_sel_hi:[1,0,0]
	s_delay_alu instid0(VALU_DEP_1) | instskip(SKIP_1) | instid1(VALU_DEP_1)
	v_mov_b32_e32 v89, v75
	v_pk_mul_f32 v[74:75], v[86:87], v[72:73] op_sel:[0,1]
	v_pk_fma_f32 v[84:85], v[86:87], v[70:71], v[74:75] op_sel:[0,0,1] op_sel_hi:[1,1,0] neg_lo:[0,0,1] neg_hi:[0,0,1]
	v_pk_fma_f32 v[74:75], v[86:87], v[70:71], v[74:75] op_sel:[0,0,1] op_sel_hi:[1,0,0]
	s_delay_alu instid0(VALU_DEP_1) | instskip(SKIP_1) | instid1(VALU_DEP_2)
	v_mov_b32_e32 v85, v75
	v_pk_add_f32 v[98:99], v[98:99], v[88:89] neg_lo:[0,1] neg_hi:[0,1]
	v_pk_add_f32 v[94:95], v[94:95], v[84:85] neg_lo:[0,1] neg_hi:[0,1]
	ds_load_2addr_b64 v[84:87], v236 offset0:22 offset1:23
	s_wait_dscnt 0x0
	v_pk_mul_f32 v[74:75], v[84:85], v[72:73] op_sel:[0,1]
	s_delay_alu instid0(VALU_DEP_1) | instskip(SKIP_2) | instid1(VALU_DEP_2)
	v_pk_fma_f32 v[88:89], v[84:85], v[70:71], v[74:75] op_sel:[0,0,1] op_sel_hi:[1,1,0] neg_lo:[0,0,1] neg_hi:[0,0,1]
	v_pk_fma_f32 v[74:75], v[84:85], v[70:71], v[74:75] op_sel:[0,0,1] op_sel_hi:[1,0,0]
	v_dual_mul_f32 v84, v87, v73 :: v_dual_mov_b32 v74, v87
	v_dual_mov_b32 v89, v75 :: v_dual_mov_b32 v75, v86
	s_delay_alu instid0(VALU_DEP_2) | instskip(SKIP_1) | instid1(VALU_DEP_3)
	v_pk_fma_f32 v[84:85], v[86:87], v[76:77], v[84:85] op_sel_hi:[1,1,0] neg_lo:[0,0,1] neg_hi:[0,0,1]
	v_mul_f32_e32 v86, v87, v70
	v_pk_add_f32 v[96:97], v[96:97], v[88:89] neg_lo:[0,1] neg_hi:[0,1]
	s_delay_alu instid0(VALU_DEP_2) | instskip(NEXT) | instid1(VALU_DEP_1)
	v_pk_fma_f32 v[74:75], v[74:75], v[76:77], v[86:87] op_sel_hi:[1,1,0]
	v_mov_b32_e32 v85, v75
	s_delay_alu instid0(VALU_DEP_1) | instskip(SKIP_3) | instid1(VALU_DEP_1)
	v_pk_add_f32 v[92:93], v[92:93], v[84:85] neg_lo:[0,1] neg_hi:[0,1]
	ds_load_2addr_b64 v[84:87], v236 offset0:24 offset1:25
	s_wait_dscnt 0x0
	v_pk_mul_f32 v[74:75], v[84:85], v[72:73] op_sel:[0,1]
	v_pk_fma_f32 v[88:89], v[84:85], v[70:71], v[74:75] op_sel:[0,0,1] op_sel_hi:[1,1,0] neg_lo:[0,0,1] neg_hi:[0,0,1]
	v_pk_fma_f32 v[74:75], v[84:85], v[70:71], v[74:75] op_sel:[0,0,1] op_sel_hi:[1,0,0]
	s_delay_alu instid0(VALU_DEP_1) | instskip(SKIP_1) | instid1(VALU_DEP_2)
	v_mov_b32_e32 v89, v75
	v_pk_mul_f32 v[74:75], v[86:87], v[72:73] op_sel:[0,1]
	v_pk_add_f32 v[114:115], v[114:115], v[88:89] neg_lo:[0,1] neg_hi:[0,1]
	s_delay_alu instid0(VALU_DEP_2) | instskip(SKIP_1) | instid1(VALU_DEP_1)
	v_pk_fma_f32 v[84:85], v[86:87], v[70:71], v[74:75] op_sel:[0,0,1] op_sel_hi:[1,1,0] neg_lo:[0,0,1] neg_hi:[0,0,1]
	v_pk_fma_f32 v[74:75], v[86:87], v[70:71], v[74:75] op_sel:[0,0,1] op_sel_hi:[1,0,0]
	v_mov_b32_e32 v85, v75
	s_delay_alu instid0(VALU_DEP_1) | instskip(SKIP_3) | instid1(VALU_DEP_1)
	v_pk_add_f32 v[110:111], v[110:111], v[84:85] neg_lo:[0,1] neg_hi:[0,1]
	ds_load_2addr_b64 v[84:87], v236 offset0:26 offset1:27
	s_wait_dscnt 0x0
	v_pk_mul_f32 v[74:75], v[84:85], v[72:73] op_sel:[0,1]
	v_pk_fma_f32 v[88:89], v[84:85], v[70:71], v[74:75] op_sel:[0,0,1] op_sel_hi:[1,1,0] neg_lo:[0,0,1] neg_hi:[0,0,1]
	v_pk_fma_f32 v[74:75], v[84:85], v[70:71], v[74:75] op_sel:[0,0,1] op_sel_hi:[1,0,0]
	s_delay_alu instid0(VALU_DEP_1) | instskip(SKIP_1) | instid1(VALU_DEP_2)
	v_mov_b32_e32 v89, v75
	v_pk_mul_f32 v[74:75], v[86:87], v[72:73] op_sel:[0,1]
	v_pk_add_f32 v[112:113], v[112:113], v[88:89] neg_lo:[0,1] neg_hi:[0,1]
	s_delay_alu instid0(VALU_DEP_2) | instskip(SKIP_1) | instid1(VALU_DEP_1)
	v_pk_fma_f32 v[84:85], v[86:87], v[70:71], v[74:75] op_sel:[0,0,1] op_sel_hi:[1,1,0] neg_lo:[0,0,1] neg_hi:[0,0,1]
	v_pk_fma_f32 v[74:75], v[86:87], v[70:71], v[74:75] op_sel:[0,0,1] op_sel_hi:[1,0,0]
	v_mov_b32_e32 v85, v75
	s_delay_alu instid0(VALU_DEP_1) | instskip(SKIP_3) | instid1(VALU_DEP_1)
	v_pk_add_f32 v[108:109], v[108:109], v[84:85] neg_lo:[0,1] neg_hi:[0,1]
	ds_load_2addr_b64 v[84:87], v236 offset0:28 offset1:29
	s_wait_dscnt 0x0
	v_dual_mul_f32 v74, v85, v73 :: v_dual_mul_f32 v88, v85, v70
	v_pk_fma_f32 v[74:75], v[84:85], v[76:77], v[74:75] op_sel_hi:[1,1,0] neg_lo:[0,0,1] neg_hi:[0,0,1]
	s_delay_alu instid0(VALU_DEP_2) | instskip(NEXT) | instid1(VALU_DEP_1)
	v_pk_fma_f32 v[84:85], v[84:85], v[76:77], v[88:89] op_sel:[1,0,0] op_sel_hi:[0,1,0]
	v_mov_b32_e32 v75, v85
	s_delay_alu instid0(VALU_DEP_1) | instskip(SKIP_1) | instid1(VALU_DEP_1)
	v_pk_add_f32 v[130:131], v[130:131], v[74:75] neg_lo:[0,1] neg_hi:[0,1]
	v_pk_mul_f32 v[74:75], v[86:87], v[72:73] op_sel:[0,1]
	v_pk_fma_f32 v[84:85], v[86:87], v[70:71], v[74:75] op_sel:[0,0,1] op_sel_hi:[1,1,0] neg_lo:[0,0,1] neg_hi:[0,0,1]
	v_pk_fma_f32 v[74:75], v[86:87], v[70:71], v[74:75] op_sel:[0,0,1] op_sel_hi:[1,0,0]
	s_delay_alu instid0(VALU_DEP_1) | instskip(NEXT) | instid1(VALU_DEP_1)
	v_mov_b32_e32 v85, v75
	v_pk_add_f32 v[126:127], v[126:127], v[84:85] neg_lo:[0,1] neg_hi:[0,1]
	ds_load_2addr_b64 v[84:87], v236 offset0:30 offset1:31
	s_wait_dscnt 0x0
	v_pk_mul_f32 v[74:75], v[84:85], v[72:73] op_sel:[0,1]
	s_delay_alu instid0(VALU_DEP_1) | instskip(SKIP_1) | instid1(VALU_DEP_1)
	v_pk_fma_f32 v[88:89], v[84:85], v[70:71], v[74:75] op_sel:[0,0,1] op_sel_hi:[1,1,0] neg_lo:[0,0,1] neg_hi:[0,0,1]
	v_pk_fma_f32 v[74:75], v[84:85], v[70:71], v[74:75] op_sel:[0,0,1] op_sel_hi:[1,0,0]
	v_mov_b32_e32 v89, v75
	v_pk_mul_f32 v[74:75], v[86:87], v[72:73] op_sel:[0,1]
	s_delay_alu instid0(VALU_DEP_2) | instskip(NEXT) | instid1(VALU_DEP_2)
	v_pk_add_f32 v[128:129], v[128:129], v[88:89] neg_lo:[0,1] neg_hi:[0,1]
	v_pk_fma_f32 v[84:85], v[86:87], v[70:71], v[74:75] op_sel:[0,0,1] op_sel_hi:[1,1,0] neg_lo:[0,0,1] neg_hi:[0,0,1]
	v_pk_fma_f32 v[74:75], v[86:87], v[70:71], v[74:75] op_sel:[0,0,1] op_sel_hi:[1,0,0]
	s_delay_alu instid0(VALU_DEP_1) | instskip(NEXT) | instid1(VALU_DEP_1)
	v_mov_b32_e32 v85, v75
	v_pk_add_f32 v[124:125], v[124:125], v[84:85] neg_lo:[0,1] neg_hi:[0,1]
	ds_load_2addr_b64 v[84:87], v236 offset0:32 offset1:33
	s_wait_dscnt 0x0
	v_pk_mul_f32 v[74:75], v[84:85], v[72:73] op_sel:[0,1]
	s_delay_alu instid0(VALU_DEP_1) | instskip(SKIP_2) | instid1(VALU_DEP_2)
	v_pk_fma_f32 v[88:89], v[84:85], v[70:71], v[74:75] op_sel:[0,0,1] op_sel_hi:[1,1,0] neg_lo:[0,0,1] neg_hi:[0,0,1]
	v_pk_fma_f32 v[74:75], v[84:85], v[70:71], v[74:75] op_sel:[0,0,1] op_sel_hi:[1,0,0]
	v_dual_mul_f32 v84, v87, v73 :: v_dual_mov_b32 v74, v87
	v_dual_mov_b32 v89, v75 :: v_dual_mov_b32 v75, v86
	s_delay_alu instid0(VALU_DEP_2) | instskip(SKIP_1) | instid1(VALU_DEP_3)
	v_pk_fma_f32 v[84:85], v[86:87], v[76:77], v[84:85] op_sel_hi:[1,1,0] neg_lo:[0,0,1] neg_hi:[0,0,1]
	v_mul_f32_e32 v86, v87, v70
	v_pk_add_f32 v[146:147], v[146:147], v[88:89] neg_lo:[0,1] neg_hi:[0,1]
	s_delay_alu instid0(VALU_DEP_2) | instskip(NEXT) | instid1(VALU_DEP_1)
	v_pk_fma_f32 v[74:75], v[74:75], v[76:77], v[86:87] op_sel_hi:[1,1,0]
	v_mov_b32_e32 v85, v75
	s_delay_alu instid0(VALU_DEP_1) | instskip(SKIP_3) | instid1(VALU_DEP_1)
	v_pk_add_f32 v[142:143], v[142:143], v[84:85] neg_lo:[0,1] neg_hi:[0,1]
	ds_load_2addr_b64 v[84:87], v236 offset0:34 offset1:35
	s_wait_dscnt 0x0
	v_pk_mul_f32 v[74:75], v[84:85], v[72:73] op_sel:[0,1]
	v_pk_fma_f32 v[88:89], v[84:85], v[70:71], v[74:75] op_sel:[0,0,1] op_sel_hi:[1,1,0] neg_lo:[0,0,1] neg_hi:[0,0,1]
	v_pk_fma_f32 v[74:75], v[84:85], v[70:71], v[74:75] op_sel:[0,0,1] op_sel_hi:[1,0,0]
	s_delay_alu instid0(VALU_DEP_1) | instskip(SKIP_1) | instid1(VALU_DEP_2)
	v_mov_b32_e32 v89, v75
	v_pk_mul_f32 v[74:75], v[86:87], v[72:73] op_sel:[0,1]
	v_pk_add_f32 v[144:145], v[144:145], v[88:89] neg_lo:[0,1] neg_hi:[0,1]
	s_delay_alu instid0(VALU_DEP_2) | instskip(SKIP_1) | instid1(VALU_DEP_1)
	v_pk_fma_f32 v[84:85], v[86:87], v[70:71], v[74:75] op_sel:[0,0,1] op_sel_hi:[1,1,0] neg_lo:[0,0,1] neg_hi:[0,0,1]
	v_pk_fma_f32 v[74:75], v[86:87], v[70:71], v[74:75] op_sel:[0,0,1] op_sel_hi:[1,0,0]
	v_mov_b32_e32 v85, v75
	s_delay_alu instid0(VALU_DEP_1) | instskip(SKIP_3) | instid1(VALU_DEP_1)
	v_pk_add_f32 v[140:141], v[140:141], v[84:85] neg_lo:[0,1] neg_hi:[0,1]
	ds_load_2addr_b64 v[84:87], v236 offset0:36 offset1:37
	s_wait_dscnt 0x0
	v_pk_mul_f32 v[74:75], v[84:85], v[72:73] op_sel:[0,1]
	v_pk_fma_f32 v[88:89], v[84:85], v[70:71], v[74:75] op_sel:[0,0,1] op_sel_hi:[1,1,0] neg_lo:[0,0,1] neg_hi:[0,0,1]
	v_pk_fma_f32 v[74:75], v[84:85], v[70:71], v[74:75] op_sel:[0,0,1] op_sel_hi:[1,0,0]
	s_delay_alu instid0(VALU_DEP_1) | instskip(SKIP_1) | instid1(VALU_DEP_2)
	v_mov_b32_e32 v89, v75
	v_pk_mul_f32 v[74:75], v[86:87], v[72:73] op_sel:[0,1]
	v_pk_add_f32 v[162:163], v[162:163], v[88:89] neg_lo:[0,1] neg_hi:[0,1]
	s_delay_alu instid0(VALU_DEP_2) | instskip(SKIP_1) | instid1(VALU_DEP_1)
	v_pk_fma_f32 v[84:85], v[86:87], v[70:71], v[74:75] op_sel:[0,0,1] op_sel_hi:[1,1,0] neg_lo:[0,0,1] neg_hi:[0,0,1]
	v_pk_fma_f32 v[74:75], v[86:87], v[70:71], v[74:75] op_sel:[0,0,1] op_sel_hi:[1,0,0]
	v_mov_b32_e32 v85, v75
	s_delay_alu instid0(VALU_DEP_1) | instskip(SKIP_3) | instid1(VALU_DEP_1)
	v_pk_add_f32 v[158:159], v[158:159], v[84:85] neg_lo:[0,1] neg_hi:[0,1]
	ds_load_2addr_b64 v[84:87], v236 offset0:38 offset1:39
	s_wait_dscnt 0x0
	v_dual_mul_f32 v74, v85, v73 :: v_dual_mul_f32 v88, v85, v70
	v_pk_fma_f32 v[74:75], v[84:85], v[76:77], v[74:75] op_sel_hi:[1,1,0] neg_lo:[0,0,1] neg_hi:[0,0,1]
	s_delay_alu instid0(VALU_DEP_2) | instskip(NEXT) | instid1(VALU_DEP_1)
	v_pk_fma_f32 v[84:85], v[84:85], v[76:77], v[88:89] op_sel:[1,0,0] op_sel_hi:[0,1,0]
	v_mov_b32_e32 v75, v85
	s_delay_alu instid0(VALU_DEP_1) | instskip(SKIP_1) | instid1(VALU_DEP_1)
	v_pk_add_f32 v[160:161], v[160:161], v[74:75] neg_lo:[0,1] neg_hi:[0,1]
	v_pk_mul_f32 v[74:75], v[86:87], v[72:73] op_sel:[0,1]
	v_pk_fma_f32 v[84:85], v[86:87], v[70:71], v[74:75] op_sel:[0,0,1] op_sel_hi:[1,1,0] neg_lo:[0,0,1] neg_hi:[0,0,1]
	v_pk_fma_f32 v[74:75], v[86:87], v[70:71], v[74:75] op_sel:[0,0,1] op_sel_hi:[1,0,0]
	s_delay_alu instid0(VALU_DEP_1) | instskip(NEXT) | instid1(VALU_DEP_1)
	v_mov_b32_e32 v85, v75
	v_pk_add_f32 v[156:157], v[156:157], v[84:85] neg_lo:[0,1] neg_hi:[0,1]
	ds_load_2addr_b64 v[84:87], v236 offset0:40 offset1:41
	s_wait_dscnt 0x0
	v_pk_mul_f32 v[74:75], v[84:85], v[72:73] op_sel:[0,1]
	s_delay_alu instid0(VALU_DEP_1) | instskip(SKIP_1) | instid1(VALU_DEP_1)
	v_pk_fma_f32 v[88:89], v[84:85], v[70:71], v[74:75] op_sel:[0,0,1] op_sel_hi:[1,1,0] neg_lo:[0,0,1] neg_hi:[0,0,1]
	v_pk_fma_f32 v[74:75], v[84:85], v[70:71], v[74:75] op_sel:[0,0,1] op_sel_hi:[1,0,0]
	v_mov_b32_e32 v89, v75
	v_pk_mul_f32 v[74:75], v[86:87], v[72:73] op_sel:[0,1]
	s_delay_alu instid0(VALU_DEP_2) | instskip(NEXT) | instid1(VALU_DEP_2)
	v_pk_add_f32 v[178:179], v[178:179], v[88:89] neg_lo:[0,1] neg_hi:[0,1]
	v_pk_fma_f32 v[84:85], v[86:87], v[70:71], v[74:75] op_sel:[0,0,1] op_sel_hi:[1,1,0] neg_lo:[0,0,1] neg_hi:[0,0,1]
	v_pk_fma_f32 v[74:75], v[86:87], v[70:71], v[74:75] op_sel:[0,0,1] op_sel_hi:[1,0,0]
	s_delay_alu instid0(VALU_DEP_1) | instskip(NEXT) | instid1(VALU_DEP_1)
	v_mov_b32_e32 v85, v75
	v_pk_add_f32 v[174:175], v[174:175], v[84:85] neg_lo:[0,1] neg_hi:[0,1]
	ds_load_2addr_b64 v[84:87], v236 offset0:42 offset1:43
	s_wait_dscnt 0x0
	v_pk_mul_f32 v[74:75], v[84:85], v[72:73] op_sel:[0,1]
	s_delay_alu instid0(VALU_DEP_1) | instskip(SKIP_2) | instid1(VALU_DEP_2)
	v_pk_fma_f32 v[88:89], v[84:85], v[70:71], v[74:75] op_sel:[0,0,1] op_sel_hi:[1,1,0] neg_lo:[0,0,1] neg_hi:[0,0,1]
	v_pk_fma_f32 v[74:75], v[84:85], v[70:71], v[74:75] op_sel:[0,0,1] op_sel_hi:[1,0,0]
	v_dual_mul_f32 v84, v87, v73 :: v_dual_mov_b32 v74, v87
	v_dual_mov_b32 v89, v75 :: v_dual_mov_b32 v75, v86
	s_delay_alu instid0(VALU_DEP_2) | instskip(SKIP_1) | instid1(VALU_DEP_3)
	v_pk_fma_f32 v[84:85], v[86:87], v[76:77], v[84:85] op_sel_hi:[1,1,0] neg_lo:[0,0,1] neg_hi:[0,0,1]
	v_mul_f32_e32 v86, v87, v70
	v_pk_add_f32 v[176:177], v[176:177], v[88:89] neg_lo:[0,1] neg_hi:[0,1]
	s_delay_alu instid0(VALU_DEP_2) | instskip(NEXT) | instid1(VALU_DEP_1)
	v_pk_fma_f32 v[74:75], v[74:75], v[76:77], v[86:87] op_sel_hi:[1,1,0]
	v_mov_b32_e32 v85, v75
	s_delay_alu instid0(VALU_DEP_1) | instskip(SKIP_3) | instid1(VALU_DEP_1)
	v_pk_add_f32 v[172:173], v[172:173], v[84:85] neg_lo:[0,1] neg_hi:[0,1]
	ds_load_2addr_b64 v[84:87], v236 offset0:44 offset1:45
	s_wait_dscnt 0x0
	v_pk_mul_f32 v[74:75], v[84:85], v[72:73] op_sel:[0,1]
	v_pk_fma_f32 v[88:89], v[84:85], v[70:71], v[74:75] op_sel:[0,0,1] op_sel_hi:[1,1,0] neg_lo:[0,0,1] neg_hi:[0,0,1]
	v_pk_fma_f32 v[74:75], v[84:85], v[70:71], v[74:75] op_sel:[0,0,1] op_sel_hi:[1,0,0]
	s_delay_alu instid0(VALU_DEP_1) | instskip(SKIP_1) | instid1(VALU_DEP_2)
	v_mov_b32_e32 v89, v75
	v_pk_mul_f32 v[74:75], v[86:87], v[72:73] op_sel:[0,1]
	v_pk_add_f32 v[194:195], v[194:195], v[88:89] neg_lo:[0,1] neg_hi:[0,1]
	s_delay_alu instid0(VALU_DEP_2) | instskip(SKIP_1) | instid1(VALU_DEP_1)
	v_pk_fma_f32 v[84:85], v[86:87], v[70:71], v[74:75] op_sel:[0,0,1] op_sel_hi:[1,1,0] neg_lo:[0,0,1] neg_hi:[0,0,1]
	v_pk_fma_f32 v[74:75], v[86:87], v[70:71], v[74:75] op_sel:[0,0,1] op_sel_hi:[1,0,0]
	v_mov_b32_e32 v85, v75
	s_delay_alu instid0(VALU_DEP_1) | instskip(SKIP_3) | instid1(VALU_DEP_1)
	v_pk_add_f32 v[190:191], v[190:191], v[84:85] neg_lo:[0,1] neg_hi:[0,1]
	ds_load_2addr_b64 v[84:87], v236 offset0:46 offset1:47
	s_wait_dscnt 0x0
	v_pk_mul_f32 v[74:75], v[84:85], v[72:73] op_sel:[0,1]
	v_pk_fma_f32 v[88:89], v[84:85], v[70:71], v[74:75] op_sel:[0,0,1] op_sel_hi:[1,1,0] neg_lo:[0,0,1] neg_hi:[0,0,1]
	v_pk_fma_f32 v[74:75], v[84:85], v[70:71], v[74:75] op_sel:[0,0,1] op_sel_hi:[1,0,0]
	s_delay_alu instid0(VALU_DEP_1) | instskip(SKIP_1) | instid1(VALU_DEP_2)
	v_mov_b32_e32 v89, v75
	v_pk_mul_f32 v[74:75], v[86:87], v[72:73] op_sel:[0,1]
	v_pk_add_f32 v[192:193], v[192:193], v[88:89] neg_lo:[0,1] neg_hi:[0,1]
	s_delay_alu instid0(VALU_DEP_2) | instskip(SKIP_1) | instid1(VALU_DEP_1)
	v_pk_fma_f32 v[84:85], v[86:87], v[70:71], v[74:75] op_sel:[0,0,1] op_sel_hi:[1,1,0] neg_lo:[0,0,1] neg_hi:[0,0,1]
	v_pk_fma_f32 v[74:75], v[86:87], v[70:71], v[74:75] op_sel:[0,0,1] op_sel_hi:[1,0,0]
	v_mov_b32_e32 v85, v75
	s_delay_alu instid0(VALU_DEP_1) | instskip(SKIP_3) | instid1(VALU_DEP_1)
	v_pk_add_f32 v[188:189], v[188:189], v[84:85] neg_lo:[0,1] neg_hi:[0,1]
	ds_load_2addr_b64 v[84:87], v236 offset0:48 offset1:49
	s_wait_dscnt 0x0
	v_dual_mul_f32 v74, v85, v73 :: v_dual_mul_f32 v88, v85, v70
	v_pk_fma_f32 v[74:75], v[84:85], v[76:77], v[74:75] op_sel_hi:[1,1,0] neg_lo:[0,0,1] neg_hi:[0,0,1]
	s_delay_alu instid0(VALU_DEP_2) | instskip(NEXT) | instid1(VALU_DEP_1)
	v_pk_fma_f32 v[84:85], v[84:85], v[76:77], v[88:89] op_sel:[1,0,0] op_sel_hi:[0,1,0]
	v_mov_b32_e32 v75, v85
	s_delay_alu instid0(VALU_DEP_1) | instskip(SKIP_1) | instid1(VALU_DEP_1)
	v_pk_add_f32 v[210:211], v[210:211], v[74:75] neg_lo:[0,1] neg_hi:[0,1]
	v_pk_mul_f32 v[74:75], v[86:87], v[72:73] op_sel:[0,1]
	v_pk_fma_f32 v[84:85], v[86:87], v[70:71], v[74:75] op_sel:[0,0,1] op_sel_hi:[1,1,0] neg_lo:[0,0,1] neg_hi:[0,0,1]
	v_pk_fma_f32 v[74:75], v[86:87], v[70:71], v[74:75] op_sel:[0,0,1] op_sel_hi:[1,0,0]
	s_delay_alu instid0(VALU_DEP_1) | instskip(NEXT) | instid1(VALU_DEP_1)
	v_mov_b32_e32 v85, v75
	v_pk_add_f32 v[206:207], v[206:207], v[84:85] neg_lo:[0,1] neg_hi:[0,1]
	ds_load_2addr_b64 v[84:87], v236 offset0:50 offset1:51
	s_wait_dscnt 0x0
	v_pk_mul_f32 v[74:75], v[84:85], v[72:73] op_sel:[0,1]
	s_delay_alu instid0(VALU_DEP_1) | instskip(SKIP_1) | instid1(VALU_DEP_1)
	v_pk_fma_f32 v[88:89], v[84:85], v[70:71], v[74:75] op_sel:[0,0,1] op_sel_hi:[1,1,0] neg_lo:[0,0,1] neg_hi:[0,0,1]
	v_pk_fma_f32 v[74:75], v[84:85], v[70:71], v[74:75] op_sel:[0,0,1] op_sel_hi:[1,0,0]
	v_mov_b32_e32 v89, v75
	v_pk_mul_f32 v[74:75], v[86:87], v[72:73] op_sel:[0,1]
	s_delay_alu instid0(VALU_DEP_2) | instskip(NEXT) | instid1(VALU_DEP_2)
	v_pk_add_f32 v[208:209], v[208:209], v[88:89] neg_lo:[0,1] neg_hi:[0,1]
	v_pk_fma_f32 v[84:85], v[86:87], v[70:71], v[74:75] op_sel:[0,0,1] op_sel_hi:[1,1,0] neg_lo:[0,0,1] neg_hi:[0,0,1]
	v_pk_fma_f32 v[74:75], v[86:87], v[70:71], v[74:75] op_sel:[0,0,1] op_sel_hi:[1,0,0]
	s_delay_alu instid0(VALU_DEP_1) | instskip(NEXT) | instid1(VALU_DEP_1)
	v_mov_b32_e32 v85, v75
	v_pk_add_f32 v[204:205], v[204:205], v[84:85] neg_lo:[0,1] neg_hi:[0,1]
	ds_load_2addr_b64 v[84:87], v236 offset0:52 offset1:53
	s_wait_dscnt 0x0
	v_pk_mul_f32 v[74:75], v[84:85], v[72:73] op_sel:[0,1]
	s_delay_alu instid0(VALU_DEP_1) | instskip(SKIP_2) | instid1(VALU_DEP_2)
	v_pk_fma_f32 v[88:89], v[84:85], v[70:71], v[74:75] op_sel:[0,0,1] op_sel_hi:[1,1,0] neg_lo:[0,0,1] neg_hi:[0,0,1]
	v_pk_fma_f32 v[74:75], v[84:85], v[70:71], v[74:75] op_sel:[0,0,1] op_sel_hi:[1,0,0]
	v_dual_mul_f32 v84, v87, v73 :: v_dual_mov_b32 v74, v87
	v_dual_mov_b32 v89, v75 :: v_dual_mov_b32 v75, v86
	s_delay_alu instid0(VALU_DEP_2) | instskip(SKIP_1) | instid1(VALU_DEP_3)
	v_pk_fma_f32 v[84:85], v[86:87], v[76:77], v[84:85] op_sel_hi:[1,1,0] neg_lo:[0,0,1] neg_hi:[0,0,1]
	v_mul_f32_e32 v86, v87, v70
	v_pk_add_f32 v[228:229], v[228:229], v[88:89] neg_lo:[0,1] neg_hi:[0,1]
	s_delay_alu instid0(VALU_DEP_2) | instskip(NEXT) | instid1(VALU_DEP_1)
	v_pk_fma_f32 v[74:75], v[74:75], v[76:77], v[86:87] op_sel_hi:[1,1,0]
	v_mov_b32_e32 v85, v75
	s_delay_alu instid0(VALU_DEP_1) | instskip(SKIP_3) | instid1(VALU_DEP_1)
	v_pk_add_f32 v[224:225], v[224:225], v[84:85] neg_lo:[0,1] neg_hi:[0,1]
	ds_load_2addr_b64 v[84:87], v236 offset0:54 offset1:55
	s_wait_dscnt 0x0
	v_pk_mul_f32 v[74:75], v[84:85], v[72:73] op_sel:[0,1]
	v_pk_fma_f32 v[88:89], v[84:85], v[70:71], v[74:75] op_sel:[0,0,1] op_sel_hi:[1,1,0] neg_lo:[0,0,1] neg_hi:[0,0,1]
	v_pk_fma_f32 v[74:75], v[84:85], v[70:71], v[74:75] op_sel:[0,0,1] op_sel_hi:[1,0,0]
	s_delay_alu instid0(VALU_DEP_1) | instskip(SKIP_1) | instid1(VALU_DEP_2)
	v_mov_b32_e32 v89, v75
	v_pk_mul_f32 v[74:75], v[86:87], v[72:73] op_sel:[0,1]
	v_pk_add_f32 v[226:227], v[226:227], v[88:89] neg_lo:[0,1] neg_hi:[0,1]
	s_delay_alu instid0(VALU_DEP_2) | instskip(SKIP_1) | instid1(VALU_DEP_1)
	v_pk_fma_f32 v[84:85], v[86:87], v[70:71], v[74:75] op_sel:[0,0,1] op_sel_hi:[1,1,0] neg_lo:[0,0,1] neg_hi:[0,0,1]
	v_pk_fma_f32 v[74:75], v[86:87], v[70:71], v[74:75] op_sel:[0,0,1] op_sel_hi:[1,0,0]
	v_mov_b32_e32 v85, v75
	s_delay_alu instid0(VALU_DEP_1) | instskip(SKIP_3) | instid1(VALU_DEP_1)
	v_pk_add_f32 v[222:223], v[222:223], v[84:85] neg_lo:[0,1] neg_hi:[0,1]
	ds_load_2addr_b64 v[84:87], v236 offset0:56 offset1:57
	s_wait_dscnt 0x0
	v_pk_mul_f32 v[74:75], v[84:85], v[72:73] op_sel:[0,1]
	v_pk_fma_f32 v[88:89], v[84:85], v[70:71], v[74:75] op_sel:[0,0,1] op_sel_hi:[1,1,0] neg_lo:[0,0,1] neg_hi:[0,0,1]
	v_pk_fma_f32 v[74:75], v[84:85], v[70:71], v[74:75] op_sel:[0,0,1] op_sel_hi:[1,0,0]
	s_delay_alu instid0(VALU_DEP_1) | instskip(SKIP_1) | instid1(VALU_DEP_2)
	v_mov_b32_e32 v89, v75
	v_pk_mul_f32 v[74:75], v[86:87], v[72:73] op_sel:[0,1]
	v_pk_add_f32 v[244:245], v[244:245], v[88:89] neg_lo:[0,1] neg_hi:[0,1]
	s_delay_alu instid0(VALU_DEP_2) | instskip(SKIP_1) | instid1(VALU_DEP_1)
	v_pk_fma_f32 v[84:85], v[86:87], v[70:71], v[74:75] op_sel:[0,0,1] op_sel_hi:[1,1,0] neg_lo:[0,0,1] neg_hi:[0,0,1]
	v_pk_fma_f32 v[74:75], v[86:87], v[70:71], v[74:75] op_sel:[0,0,1] op_sel_hi:[1,0,0]
	v_mov_b32_e32 v85, v75
	s_delay_alu instid0(VALU_DEP_1) | instskip(SKIP_3) | instid1(VALU_DEP_1)
	v_pk_add_f32 v[240:241], v[240:241], v[84:85] neg_lo:[0,1] neg_hi:[0,1]
	ds_load_2addr_b64 v[84:87], v236 offset0:58 offset1:59
	s_wait_dscnt 0x0
	v_dual_mul_f32 v74, v85, v73 :: v_dual_mul_f32 v88, v85, v70
	v_pk_fma_f32 v[74:75], v[84:85], v[76:77], v[74:75] op_sel_hi:[1,1,0] neg_lo:[0,0,1] neg_hi:[0,0,1]
	s_delay_alu instid0(VALU_DEP_2) | instskip(NEXT) | instid1(VALU_DEP_1)
	v_pk_fma_f32 v[84:85], v[84:85], v[76:77], v[88:89] op_sel:[1,0,0] op_sel_hi:[0,1,0]
	v_mov_b32_e32 v75, v85
	s_delay_alu instid0(VALU_DEP_1) | instskip(SKIP_1) | instid1(VALU_DEP_1)
	v_pk_add_f32 v[242:243], v[242:243], v[74:75] neg_lo:[0,1] neg_hi:[0,1]
	v_pk_mul_f32 v[74:75], v[86:87], v[72:73] op_sel:[0,1]
	v_pk_fma_f32 v[84:85], v[86:87], v[70:71], v[74:75] op_sel:[0,0,1] op_sel_hi:[1,1,0] neg_lo:[0,0,1] neg_hi:[0,0,1]
	v_pk_fma_f32 v[74:75], v[86:87], v[70:71], v[74:75] op_sel:[0,0,1] op_sel_hi:[1,0,0]
	s_delay_alu instid0(VALU_DEP_1) | instskip(NEXT) | instid1(VALU_DEP_1)
	v_mov_b32_e32 v85, v75
	v_pk_add_f32 v[238:239], v[238:239], v[84:85] neg_lo:[0,1] neg_hi:[0,1]
	ds_load_2addr_b64 v[84:87], v236 offset0:60 offset1:61
	s_wait_dscnt 0x0
	v_pk_mul_f32 v[74:75], v[84:85], v[72:73] op_sel:[0,1]
	v_mul_f32_e32 v72, v87, v73
	s_delay_alu instid0(VALU_DEP_2) | instskip(SKIP_2) | instid1(VALU_DEP_4)
	v_pk_fma_f32 v[88:89], v[84:85], v[70:71], v[74:75] op_sel:[0,0,1] op_sel_hi:[1,1,0] neg_lo:[0,0,1] neg_hi:[0,0,1]
	v_pk_fma_f32 v[74:75], v[84:85], v[70:71], v[74:75] op_sel:[0,0,1] op_sel_hi:[1,0,0]
	v_dual_mov_b32 v74, v87 :: v_dual_mul_f32 v70, v87, v70
	v_pk_fma_f32 v[72:73], v[86:87], v[76:77], v[72:73] op_sel_hi:[1,1,0] neg_lo:[0,0,1] neg_hi:[0,0,1]
	s_delay_alu instid0(VALU_DEP_3) | instskip(NEXT) | instid1(VALU_DEP_1)
	v_dual_mov_b32 v89, v75 :: v_dual_mov_b32 v75, v86
	v_pk_add_f32 v[246:247], v[246:247], v[88:89] neg_lo:[0,1] neg_hi:[0,1]
	s_delay_alu instid0(VALU_DEP_2) | instskip(NEXT) | instid1(VALU_DEP_1)
	v_pk_fma_f32 v[70:71], v[74:75], v[76:77], v[70:71] op_sel_hi:[1,1,0]
	v_mov_b32_e32 v73, v71
	s_delay_alu instid0(VALU_DEP_1)
	v_pk_add_f32 v[248:249], v[248:249], v[72:73] neg_lo:[0,1] neg_hi:[0,1]
.LBB123_181:
	s_or_b32 exec_lo, exec_lo, s1
	s_delay_alu instid0(SALU_CYCLE_1)
	s_mov_b32 s2, exec_lo
	s_wait_dscnt 0x0
	s_barrier_signal -1
	s_barrier_wait -1
	v_cmpx_eq_u32_e32 20, v234
	s_cbranch_execz .LBB123_188
; %bb.182:
	ds_store_b64 v235, v[98:99]
	ds_store_2addr_b64 v236, v[94:95], v[96:97] offset0:21 offset1:22
	ds_store_2addr_b64 v236, v[92:93], v[114:115] offset0:23 offset1:24
	;; [unrolled: 1-line block ×20, first 2 shown]
	ds_store_b64 v236, v[248:249] offset:488
	ds_load_b64 v[70:71], v235
	s_wait_dscnt 0x0
	v_cmp_neq_f32_e32 vcc_lo, 0, v70
	v_cmp_neq_f32_e64 s1, 0, v71
	s_or_b32 s1, vcc_lo, s1
	s_delay_alu instid0(SALU_CYCLE_1)
	s_and_b32 exec_lo, exec_lo, s1
	s_cbranch_execz .LBB123_188
; %bb.183:
	v_cmp_ngt_f32_e64 s1, |v70|, |v71|
                                        ; implicit-def: $vgpr72_vgpr73
	s_and_saveexec_b32 s4, s1
	s_delay_alu instid0(SALU_CYCLE_1)
	s_xor_b32 s1, exec_lo, s4
	s_cbranch_execz .LBB123_185
; %bb.184:
	v_div_scale_f32 v0, null, v71, v71, v70
	v_div_scale_f32 v73, vcc_lo, v70, v71, v70
	s_delay_alu instid0(VALU_DEP_2) | instskip(SKIP_1) | instid1(TRANS32_DEP_1)
	v_rcp_f32_e32 v1, v0
	v_nop
	v_fma_f32 v72, -v0, v1, 1.0
	s_delay_alu instid0(VALU_DEP_1) | instskip(NEXT) | instid1(VALU_DEP_1)
	v_fmac_f32_e32 v1, v72, v1
	v_mul_f32_e32 v72, v73, v1
	s_delay_alu instid0(VALU_DEP_1) | instskip(NEXT) | instid1(VALU_DEP_1)
	v_fma_f32 v74, -v0, v72, v73
	v_fmac_f32_e32 v72, v74, v1
	s_delay_alu instid0(VALU_DEP_1) | instskip(NEXT) | instid1(VALU_DEP_1)
	v_fma_f32 v0, -v0, v72, v73
	v_div_fmas_f32 v0, v0, v1, v72
	s_delay_alu instid0(VALU_DEP_1) | instskip(NEXT) | instid1(VALU_DEP_1)
	v_div_fixup_f32 v0, v0, v71, v70
	v_fmac_f32_e32 v71, v70, v0
	s_delay_alu instid0(VALU_DEP_1) | instskip(SKIP_1) | instid1(VALU_DEP_2)
	v_div_scale_f32 v1, null, v71, v71, 1.0
	v_div_scale_f32 v73, vcc_lo, 1.0, v71, 1.0
	v_rcp_f32_e32 v70, v1
	v_nop
	s_delay_alu instid0(TRANS32_DEP_1) | instskip(NEXT) | instid1(VALU_DEP_1)
	v_fma_f32 v72, -v1, v70, 1.0
	v_fmac_f32_e32 v70, v72, v70
	s_delay_alu instid0(VALU_DEP_1) | instskip(NEXT) | instid1(VALU_DEP_1)
	v_mul_f32_e32 v72, v73, v70
	v_fma_f32 v74, -v1, v72, v73
	s_delay_alu instid0(VALU_DEP_1) | instskip(NEXT) | instid1(VALU_DEP_1)
	v_fmac_f32_e32 v72, v74, v70
	v_fma_f32 v1, -v1, v72, v73
	s_delay_alu instid0(VALU_DEP_1) | instskip(NEXT) | instid1(VALU_DEP_1)
	v_div_fmas_f32 v1, v1, v70, v72
	v_div_fixup_f32 v1, v1, v71, 1.0
                                        ; implicit-def: $vgpr70_vgpr71
	s_delay_alu instid0(VALU_DEP_1)
	v_mul_f32_e32 v72, v0, v1
	v_xor_b32_e32 v73, 0x80000000, v1
.LBB123_185:
	s_and_not1_saveexec_b32 s1, s1
	s_cbranch_execz .LBB123_187
; %bb.186:
	v_div_scale_f32 v0, null, v70, v70, v71
	v_div_scale_f32 v73, vcc_lo, v71, v70, v71
	s_delay_alu instid0(VALU_DEP_2) | instskip(SKIP_1) | instid1(TRANS32_DEP_1)
	v_rcp_f32_e32 v1, v0
	v_nop
	v_fma_f32 v72, -v0, v1, 1.0
	s_delay_alu instid0(VALU_DEP_1) | instskip(NEXT) | instid1(VALU_DEP_1)
	v_fmac_f32_e32 v1, v72, v1
	v_mul_f32_e32 v72, v73, v1
	s_delay_alu instid0(VALU_DEP_1) | instskip(NEXT) | instid1(VALU_DEP_1)
	v_fma_f32 v74, -v0, v72, v73
	v_fmac_f32_e32 v72, v74, v1
	s_delay_alu instid0(VALU_DEP_1) | instskip(NEXT) | instid1(VALU_DEP_1)
	v_fma_f32 v0, -v0, v72, v73
	v_div_fmas_f32 v0, v0, v1, v72
	s_delay_alu instid0(VALU_DEP_1) | instskip(NEXT) | instid1(VALU_DEP_1)
	v_div_fixup_f32 v0, v0, v70, v71
	v_fmac_f32_e32 v70, v71, v0
	s_delay_alu instid0(VALU_DEP_1) | instskip(NEXT) | instid1(VALU_DEP_1)
	v_div_scale_f32 v1, null, v70, v70, 1.0
	v_rcp_f32_e32 v71, v1
	v_nop
	s_delay_alu instid0(TRANS32_DEP_1) | instskip(NEXT) | instid1(VALU_DEP_1)
	v_fma_f32 v72, -v1, v71, 1.0
	v_fmac_f32_e32 v71, v72, v71
	v_div_scale_f32 v72, vcc_lo, 1.0, v70, 1.0
	s_delay_alu instid0(VALU_DEP_1) | instskip(NEXT) | instid1(VALU_DEP_1)
	v_mul_f32_e32 v73, v72, v71
	v_fma_f32 v74, -v1, v73, v72
	s_delay_alu instid0(VALU_DEP_1) | instskip(NEXT) | instid1(VALU_DEP_1)
	v_fmac_f32_e32 v73, v74, v71
	v_fma_f32 v1, -v1, v73, v72
	s_delay_alu instid0(VALU_DEP_1) | instskip(NEXT) | instid1(VALU_DEP_1)
	v_div_fmas_f32 v1, v1, v71, v73
	v_div_fixup_f32 v72, v1, v70, 1.0
	s_delay_alu instid0(VALU_DEP_1)
	v_mul_f32_e64 v73, v0, -v72
.LBB123_187:
	s_or_b32 exec_lo, exec_lo, s1
	ds_store_b64 v235, v[72:73]
.LBB123_188:
	s_or_b32 exec_lo, exec_lo, s2
	s_wait_dscnt 0x0
	s_barrier_signal -1
	s_barrier_wait -1
	ds_load_b64 v[70:71], v235
	s_mov_b32 s1, exec_lo
	v_cmpx_lt_u32_e32 20, v234
	s_cbranch_execz .LBB123_190
; %bb.189:
	ds_load_2addr_b64 v[84:87], v236 offset0:21 offset1:22
	s_wait_dscnt 0x1
	v_pk_mul_f32 v[74:75], v[70:71], v[98:99] op_sel:[1,1] op_sel_hi:[0,1]
	s_delay_alu instid0(VALU_DEP_1) | instskip(SKIP_1) | instid1(VALU_DEP_1)
	v_pk_fma_f32 v[72:73], v[70:71], v[98:99], v[74:75] op_sel_hi:[1,0,1] neg_lo:[0,0,1] neg_hi:[0,0,1]
	v_pk_fma_f32 v[74:75], v[70:71], v[98:99], v[74:75] op_sel_hi:[1,0,1]
	v_dual_mov_b32 v98, v72 :: v_dual_mov_b32 v99, v75
	s_wait_dscnt 0x0
	s_delay_alu instid0(VALU_DEP_2) | instskip(NEXT) | instid1(VALU_DEP_1)
	v_pk_mul_f32 v[88:89], v[84:85], v[74:75] op_sel:[0,1]
	v_pk_fma_f32 v[90:91], v[84:85], v[72:73], v[88:89] op_sel:[0,0,1] op_sel_hi:[1,1,0] neg_lo:[0,0,1] neg_hi:[0,0,1]
	v_pk_fma_f32 v[84:85], v[84:85], v[72:73], v[88:89] op_sel:[0,0,1] op_sel_hi:[1,0,0]
	s_delay_alu instid0(VALU_DEP_1) | instskip(SKIP_1) | instid1(VALU_DEP_1)
	v_mov_b32_e32 v91, v85
	v_pk_mul_f32 v[84:85], v[86:87], v[74:75] op_sel:[0,1]
	v_pk_fma_f32 v[88:89], v[86:87], v[72:73], v[84:85] op_sel:[0,0,1] op_sel_hi:[1,1,0] neg_lo:[0,0,1] neg_hi:[0,0,1]
	v_pk_fma_f32 v[84:85], v[86:87], v[72:73], v[84:85] op_sel:[0,0,1] op_sel_hi:[1,0,0]
	s_delay_alu instid0(VALU_DEP_1)
	v_mov_b32_e32 v89, v85
	ds_load_2addr_b64 v[84:87], v236 offset0:23 offset1:24
	v_pk_add_f32 v[94:95], v[94:95], v[90:91] neg_lo:[0,1] neg_hi:[0,1]
	v_pk_add_f32 v[96:97], v[96:97], v[88:89] neg_lo:[0,1] neg_hi:[0,1]
	s_wait_dscnt 0x0
	v_pk_mul_f32 v[88:89], v[84:85], v[74:75] op_sel:[0,1]
	s_delay_alu instid0(VALU_DEP_1) | instskip(SKIP_2) | instid1(VALU_DEP_2)
	v_pk_fma_f32 v[90:91], v[84:85], v[72:73], v[88:89] op_sel:[0,0,1] op_sel_hi:[1,1,0] neg_lo:[0,0,1] neg_hi:[0,0,1]
	v_pk_fma_f32 v[84:85], v[84:85], v[72:73], v[88:89] op_sel:[0,0,1] op_sel_hi:[1,0,0]
	v_dual_mul_f32 v88, v87, v75 :: v_dual_mov_b32 v84, v87
	v_dual_mov_b32 v91, v85 :: v_dual_mov_b32 v85, v86
	s_delay_alu instid0(VALU_DEP_2) | instskip(SKIP_1) | instid1(VALU_DEP_3)
	v_pk_fma_f32 v[88:89], v[86:87], v[98:99], v[88:89] op_sel_hi:[1,1,0] neg_lo:[0,0,1] neg_hi:[0,0,1]
	v_mul_f32_e32 v86, v87, v72
	v_pk_add_f32 v[92:93], v[92:93], v[90:91] neg_lo:[0,1] neg_hi:[0,1]
	s_delay_alu instid0(VALU_DEP_2) | instskip(NEXT) | instid1(VALU_DEP_1)
	v_pk_fma_f32 v[84:85], v[84:85], v[98:99], v[86:87] op_sel_hi:[1,1,0]
	v_mov_b32_e32 v89, v85
	ds_load_2addr_b64 v[84:87], v236 offset0:25 offset1:26
	v_pk_add_f32 v[114:115], v[114:115], v[88:89] neg_lo:[0,1] neg_hi:[0,1]
	s_wait_dscnt 0x0
	v_pk_mul_f32 v[88:89], v[84:85], v[74:75] op_sel:[0,1]
	s_delay_alu instid0(VALU_DEP_1) | instskip(SKIP_1) | instid1(VALU_DEP_1)
	v_pk_fma_f32 v[90:91], v[84:85], v[72:73], v[88:89] op_sel:[0,0,1] op_sel_hi:[1,1,0] neg_lo:[0,0,1] neg_hi:[0,0,1]
	v_pk_fma_f32 v[84:85], v[84:85], v[72:73], v[88:89] op_sel:[0,0,1] op_sel_hi:[1,0,0]
	v_mov_b32_e32 v91, v85
	v_pk_mul_f32 v[84:85], v[86:87], v[74:75] op_sel:[0,1]
	s_delay_alu instid0(VALU_DEP_1) | instskip(SKIP_1) | instid1(VALU_DEP_1)
	v_pk_fma_f32 v[88:89], v[86:87], v[72:73], v[84:85] op_sel:[0,0,1] op_sel_hi:[1,1,0] neg_lo:[0,0,1] neg_hi:[0,0,1]
	v_pk_fma_f32 v[84:85], v[86:87], v[72:73], v[84:85] op_sel:[0,0,1] op_sel_hi:[1,0,0]
	v_mov_b32_e32 v89, v85
	ds_load_2addr_b64 v[84:87], v236 offset0:27 offset1:28
	v_pk_add_f32 v[110:111], v[110:111], v[90:91] neg_lo:[0,1] neg_hi:[0,1]
	v_pk_add_f32 v[112:113], v[112:113], v[88:89] neg_lo:[0,1] neg_hi:[0,1]
	s_wait_dscnt 0x0
	v_pk_mul_f32 v[88:89], v[84:85], v[74:75] op_sel:[0,1]
	s_delay_alu instid0(VALU_DEP_1) | instskip(SKIP_1) | instid1(VALU_DEP_1)
	v_pk_fma_f32 v[90:91], v[84:85], v[72:73], v[88:89] op_sel:[0,0,1] op_sel_hi:[1,1,0] neg_lo:[0,0,1] neg_hi:[0,0,1]
	v_pk_fma_f32 v[84:85], v[84:85], v[72:73], v[88:89] op_sel:[0,0,1] op_sel_hi:[1,0,0]
	v_mov_b32_e32 v91, v85
	v_pk_mul_f32 v[84:85], v[86:87], v[74:75] op_sel:[0,1]
	s_delay_alu instid0(VALU_DEP_1) | instskip(SKIP_1) | instid1(VALU_DEP_1)
	v_pk_fma_f32 v[88:89], v[86:87], v[72:73], v[84:85] op_sel:[0,0,1] op_sel_hi:[1,1,0] neg_lo:[0,0,1] neg_hi:[0,0,1]
	v_pk_fma_f32 v[84:85], v[86:87], v[72:73], v[84:85] op_sel:[0,0,1] op_sel_hi:[1,0,0]
	v_mov_b32_e32 v89, v85
	ds_load_2addr_b64 v[84:87], v236 offset0:29 offset1:30
	v_pk_add_f32 v[108:109], v[108:109], v[90:91] neg_lo:[0,1] neg_hi:[0,1]
	v_pk_add_f32 v[130:131], v[130:131], v[88:89] neg_lo:[0,1] neg_hi:[0,1]
	s_wait_dscnt 0x0
	v_dual_mul_f32 v88, v85, v75 :: v_dual_mul_f32 v90, v85, v72
	s_delay_alu instid0(VALU_DEP_1) | instskip(NEXT) | instid1(VALU_DEP_2)
	v_pk_fma_f32 v[88:89], v[84:85], v[98:99], v[88:89] op_sel_hi:[1,1,0] neg_lo:[0,0,1] neg_hi:[0,0,1]
	v_pk_fma_f32 v[84:85], v[84:85], v[98:99], v[90:91] op_sel:[1,0,0] op_sel_hi:[0,1,0]
	s_delay_alu instid0(VALU_DEP_1) | instskip(SKIP_1) | instid1(VALU_DEP_2)
	v_mov_b32_e32 v89, v85
	v_pk_mul_f32 v[84:85], v[86:87], v[74:75] op_sel:[0,1]
	v_pk_add_f32 v[126:127], v[126:127], v[88:89] neg_lo:[0,1] neg_hi:[0,1]
	s_delay_alu instid0(VALU_DEP_2) | instskip(SKIP_1) | instid1(VALU_DEP_1)
	v_pk_fma_f32 v[88:89], v[86:87], v[72:73], v[84:85] op_sel:[0,0,1] op_sel_hi:[1,1,0] neg_lo:[0,0,1] neg_hi:[0,0,1]
	v_pk_fma_f32 v[84:85], v[86:87], v[72:73], v[84:85] op_sel:[0,0,1] op_sel_hi:[1,0,0]
	v_mov_b32_e32 v89, v85
	ds_load_2addr_b64 v[84:87], v236 offset0:31 offset1:32
	v_pk_add_f32 v[128:129], v[128:129], v[88:89] neg_lo:[0,1] neg_hi:[0,1]
	s_wait_dscnt 0x0
	v_pk_mul_f32 v[88:89], v[84:85], v[74:75] op_sel:[0,1]
	s_delay_alu instid0(VALU_DEP_1) | instskip(SKIP_1) | instid1(VALU_DEP_1)
	v_pk_fma_f32 v[90:91], v[84:85], v[72:73], v[88:89] op_sel:[0,0,1] op_sel_hi:[1,1,0] neg_lo:[0,0,1] neg_hi:[0,0,1]
	v_pk_fma_f32 v[84:85], v[84:85], v[72:73], v[88:89] op_sel:[0,0,1] op_sel_hi:[1,0,0]
	v_mov_b32_e32 v91, v85
	v_pk_mul_f32 v[84:85], v[86:87], v[74:75] op_sel:[0,1]
	s_delay_alu instid0(VALU_DEP_2) | instskip(NEXT) | instid1(VALU_DEP_2)
	v_pk_add_f32 v[124:125], v[124:125], v[90:91] neg_lo:[0,1] neg_hi:[0,1]
	v_pk_fma_f32 v[88:89], v[86:87], v[72:73], v[84:85] op_sel:[0,0,1] op_sel_hi:[1,1,0] neg_lo:[0,0,1] neg_hi:[0,0,1]
	v_pk_fma_f32 v[84:85], v[86:87], v[72:73], v[84:85] op_sel:[0,0,1] op_sel_hi:[1,0,0]
	s_delay_alu instid0(VALU_DEP_1) | instskip(SKIP_4) | instid1(VALU_DEP_1)
	v_mov_b32_e32 v89, v85
	ds_load_2addr_b64 v[84:87], v236 offset0:33 offset1:34
	v_pk_add_f32 v[146:147], v[146:147], v[88:89] neg_lo:[0,1] neg_hi:[0,1]
	s_wait_dscnt 0x0
	v_pk_mul_f32 v[88:89], v[84:85], v[74:75] op_sel:[0,1]
	v_pk_fma_f32 v[90:91], v[84:85], v[72:73], v[88:89] op_sel:[0,0,1] op_sel_hi:[1,1,0] neg_lo:[0,0,1] neg_hi:[0,0,1]
	v_pk_fma_f32 v[84:85], v[84:85], v[72:73], v[88:89] op_sel:[0,0,1] op_sel_hi:[1,0,0]
	v_dual_mul_f32 v88, v87, v75 :: v_dual_mov_b32 v84, v87
	s_delay_alu instid0(VALU_DEP_2) | instskip(NEXT) | instid1(VALU_DEP_2)
	v_dual_mov_b32 v91, v85 :: v_dual_mov_b32 v85, v86
	v_pk_fma_f32 v[88:89], v[86:87], v[98:99], v[88:89] op_sel_hi:[1,1,0] neg_lo:[0,0,1] neg_hi:[0,0,1]
	v_mul_f32_e32 v86, v87, v72
	s_delay_alu instid0(VALU_DEP_3) | instskip(NEXT) | instid1(VALU_DEP_2)
	v_pk_add_f32 v[142:143], v[142:143], v[90:91] neg_lo:[0,1] neg_hi:[0,1]
	v_pk_fma_f32 v[84:85], v[84:85], v[98:99], v[86:87] op_sel_hi:[1,1,0]
	s_delay_alu instid0(VALU_DEP_1) | instskip(SKIP_4) | instid1(VALU_DEP_1)
	v_mov_b32_e32 v89, v85
	ds_load_2addr_b64 v[84:87], v236 offset0:35 offset1:36
	v_pk_add_f32 v[144:145], v[144:145], v[88:89] neg_lo:[0,1] neg_hi:[0,1]
	s_wait_dscnt 0x0
	v_pk_mul_f32 v[88:89], v[84:85], v[74:75] op_sel:[0,1]
	v_pk_fma_f32 v[90:91], v[84:85], v[72:73], v[88:89] op_sel:[0,0,1] op_sel_hi:[1,1,0] neg_lo:[0,0,1] neg_hi:[0,0,1]
	v_pk_fma_f32 v[84:85], v[84:85], v[72:73], v[88:89] op_sel:[0,0,1] op_sel_hi:[1,0,0]
	s_delay_alu instid0(VALU_DEP_1) | instskip(SKIP_1) | instid1(VALU_DEP_1)
	v_mov_b32_e32 v91, v85
	v_pk_mul_f32 v[84:85], v[86:87], v[74:75] op_sel:[0,1]
	v_pk_fma_f32 v[88:89], v[86:87], v[72:73], v[84:85] op_sel:[0,0,1] op_sel_hi:[1,1,0] neg_lo:[0,0,1] neg_hi:[0,0,1]
	v_pk_fma_f32 v[84:85], v[86:87], v[72:73], v[84:85] op_sel:[0,0,1] op_sel_hi:[1,0,0]
	s_delay_alu instid0(VALU_DEP_1)
	v_mov_b32_e32 v89, v85
	ds_load_2addr_b64 v[84:87], v236 offset0:37 offset1:38
	v_pk_add_f32 v[140:141], v[140:141], v[90:91] neg_lo:[0,1] neg_hi:[0,1]
	v_pk_add_f32 v[162:163], v[162:163], v[88:89] neg_lo:[0,1] neg_hi:[0,1]
	s_wait_dscnt 0x0
	v_pk_mul_f32 v[88:89], v[84:85], v[74:75] op_sel:[0,1]
	s_delay_alu instid0(VALU_DEP_1) | instskip(SKIP_1) | instid1(VALU_DEP_1)
	v_pk_fma_f32 v[90:91], v[84:85], v[72:73], v[88:89] op_sel:[0,0,1] op_sel_hi:[1,1,0] neg_lo:[0,0,1] neg_hi:[0,0,1]
	v_pk_fma_f32 v[84:85], v[84:85], v[72:73], v[88:89] op_sel:[0,0,1] op_sel_hi:[1,0,0]
	v_mov_b32_e32 v91, v85
	v_pk_mul_f32 v[84:85], v[86:87], v[74:75] op_sel:[0,1]
	s_delay_alu instid0(VALU_DEP_1) | instskip(SKIP_1) | instid1(VALU_DEP_1)
	v_pk_fma_f32 v[88:89], v[86:87], v[72:73], v[84:85] op_sel:[0,0,1] op_sel_hi:[1,1,0] neg_lo:[0,0,1] neg_hi:[0,0,1]
	v_pk_fma_f32 v[84:85], v[86:87], v[72:73], v[84:85] op_sel:[0,0,1] op_sel_hi:[1,0,0]
	v_mov_b32_e32 v89, v85
	ds_load_2addr_b64 v[84:87], v236 offset0:39 offset1:40
	v_pk_add_f32 v[158:159], v[158:159], v[90:91] neg_lo:[0,1] neg_hi:[0,1]
	v_pk_add_f32 v[160:161], v[160:161], v[88:89] neg_lo:[0,1] neg_hi:[0,1]
	s_wait_dscnt 0x0
	v_dual_mul_f32 v88, v85, v75 :: v_dual_mul_f32 v90, v85, v72
	s_delay_alu instid0(VALU_DEP_1) | instskip(NEXT) | instid1(VALU_DEP_2)
	v_pk_fma_f32 v[88:89], v[84:85], v[98:99], v[88:89] op_sel_hi:[1,1,0] neg_lo:[0,0,1] neg_hi:[0,0,1]
	v_pk_fma_f32 v[84:85], v[84:85], v[98:99], v[90:91] op_sel:[1,0,0] op_sel_hi:[0,1,0]
	s_delay_alu instid0(VALU_DEP_1) | instskip(SKIP_1) | instid1(VALU_DEP_2)
	v_mov_b32_e32 v89, v85
	v_pk_mul_f32 v[84:85], v[86:87], v[74:75] op_sel:[0,1]
	v_pk_add_f32 v[156:157], v[156:157], v[88:89] neg_lo:[0,1] neg_hi:[0,1]
	s_delay_alu instid0(VALU_DEP_2) | instskip(SKIP_1) | instid1(VALU_DEP_1)
	v_pk_fma_f32 v[88:89], v[86:87], v[72:73], v[84:85] op_sel:[0,0,1] op_sel_hi:[1,1,0] neg_lo:[0,0,1] neg_hi:[0,0,1]
	v_pk_fma_f32 v[84:85], v[86:87], v[72:73], v[84:85] op_sel:[0,0,1] op_sel_hi:[1,0,0]
	v_mov_b32_e32 v89, v85
	ds_load_2addr_b64 v[84:87], v236 offset0:41 offset1:42
	v_pk_add_f32 v[178:179], v[178:179], v[88:89] neg_lo:[0,1] neg_hi:[0,1]
	s_wait_dscnt 0x0
	v_pk_mul_f32 v[88:89], v[84:85], v[74:75] op_sel:[0,1]
	s_delay_alu instid0(VALU_DEP_1) | instskip(SKIP_1) | instid1(VALU_DEP_1)
	v_pk_fma_f32 v[90:91], v[84:85], v[72:73], v[88:89] op_sel:[0,0,1] op_sel_hi:[1,1,0] neg_lo:[0,0,1] neg_hi:[0,0,1]
	v_pk_fma_f32 v[84:85], v[84:85], v[72:73], v[88:89] op_sel:[0,0,1] op_sel_hi:[1,0,0]
	v_mov_b32_e32 v91, v85
	v_pk_mul_f32 v[84:85], v[86:87], v[74:75] op_sel:[0,1]
	s_delay_alu instid0(VALU_DEP_2) | instskip(NEXT) | instid1(VALU_DEP_2)
	v_pk_add_f32 v[174:175], v[174:175], v[90:91] neg_lo:[0,1] neg_hi:[0,1]
	v_pk_fma_f32 v[88:89], v[86:87], v[72:73], v[84:85] op_sel:[0,0,1] op_sel_hi:[1,1,0] neg_lo:[0,0,1] neg_hi:[0,0,1]
	v_pk_fma_f32 v[84:85], v[86:87], v[72:73], v[84:85] op_sel:[0,0,1] op_sel_hi:[1,0,0]
	s_delay_alu instid0(VALU_DEP_1) | instskip(SKIP_4) | instid1(VALU_DEP_1)
	v_mov_b32_e32 v89, v85
	ds_load_2addr_b64 v[84:87], v236 offset0:43 offset1:44
	v_pk_add_f32 v[176:177], v[176:177], v[88:89] neg_lo:[0,1] neg_hi:[0,1]
	s_wait_dscnt 0x0
	v_pk_mul_f32 v[88:89], v[84:85], v[74:75] op_sel:[0,1]
	v_pk_fma_f32 v[90:91], v[84:85], v[72:73], v[88:89] op_sel:[0,0,1] op_sel_hi:[1,1,0] neg_lo:[0,0,1] neg_hi:[0,0,1]
	v_pk_fma_f32 v[84:85], v[84:85], v[72:73], v[88:89] op_sel:[0,0,1] op_sel_hi:[1,0,0]
	v_dual_mul_f32 v88, v87, v75 :: v_dual_mov_b32 v84, v87
	s_delay_alu instid0(VALU_DEP_2) | instskip(NEXT) | instid1(VALU_DEP_2)
	v_dual_mov_b32 v91, v85 :: v_dual_mov_b32 v85, v86
	v_pk_fma_f32 v[88:89], v[86:87], v[98:99], v[88:89] op_sel_hi:[1,1,0] neg_lo:[0,0,1] neg_hi:[0,0,1]
	v_mul_f32_e32 v86, v87, v72
	s_delay_alu instid0(VALU_DEP_3) | instskip(NEXT) | instid1(VALU_DEP_2)
	v_pk_add_f32 v[172:173], v[172:173], v[90:91] neg_lo:[0,1] neg_hi:[0,1]
	v_pk_fma_f32 v[84:85], v[84:85], v[98:99], v[86:87] op_sel_hi:[1,1,0]
	s_delay_alu instid0(VALU_DEP_1) | instskip(SKIP_4) | instid1(VALU_DEP_1)
	v_mov_b32_e32 v89, v85
	ds_load_2addr_b64 v[84:87], v236 offset0:45 offset1:46
	v_pk_add_f32 v[194:195], v[194:195], v[88:89] neg_lo:[0,1] neg_hi:[0,1]
	s_wait_dscnt 0x0
	v_pk_mul_f32 v[88:89], v[84:85], v[74:75] op_sel:[0,1]
	v_pk_fma_f32 v[90:91], v[84:85], v[72:73], v[88:89] op_sel:[0,0,1] op_sel_hi:[1,1,0] neg_lo:[0,0,1] neg_hi:[0,0,1]
	v_pk_fma_f32 v[84:85], v[84:85], v[72:73], v[88:89] op_sel:[0,0,1] op_sel_hi:[1,0,0]
	s_delay_alu instid0(VALU_DEP_1) | instskip(SKIP_1) | instid1(VALU_DEP_1)
	v_mov_b32_e32 v91, v85
	v_pk_mul_f32 v[84:85], v[86:87], v[74:75] op_sel:[0,1]
	v_pk_fma_f32 v[88:89], v[86:87], v[72:73], v[84:85] op_sel:[0,0,1] op_sel_hi:[1,1,0] neg_lo:[0,0,1] neg_hi:[0,0,1]
	v_pk_fma_f32 v[84:85], v[86:87], v[72:73], v[84:85] op_sel:[0,0,1] op_sel_hi:[1,0,0]
	s_delay_alu instid0(VALU_DEP_1)
	v_mov_b32_e32 v89, v85
	ds_load_2addr_b64 v[84:87], v236 offset0:47 offset1:48
	v_pk_add_f32 v[190:191], v[190:191], v[90:91] neg_lo:[0,1] neg_hi:[0,1]
	v_pk_add_f32 v[192:193], v[192:193], v[88:89] neg_lo:[0,1] neg_hi:[0,1]
	s_wait_dscnt 0x0
	v_pk_mul_f32 v[88:89], v[84:85], v[74:75] op_sel:[0,1]
	s_delay_alu instid0(VALU_DEP_1) | instskip(SKIP_1) | instid1(VALU_DEP_1)
	v_pk_fma_f32 v[90:91], v[84:85], v[72:73], v[88:89] op_sel:[0,0,1] op_sel_hi:[1,1,0] neg_lo:[0,0,1] neg_hi:[0,0,1]
	v_pk_fma_f32 v[84:85], v[84:85], v[72:73], v[88:89] op_sel:[0,0,1] op_sel_hi:[1,0,0]
	v_mov_b32_e32 v91, v85
	v_pk_mul_f32 v[84:85], v[86:87], v[74:75] op_sel:[0,1]
	s_delay_alu instid0(VALU_DEP_1) | instskip(SKIP_1) | instid1(VALU_DEP_1)
	v_pk_fma_f32 v[88:89], v[86:87], v[72:73], v[84:85] op_sel:[0,0,1] op_sel_hi:[1,1,0] neg_lo:[0,0,1] neg_hi:[0,0,1]
	v_pk_fma_f32 v[84:85], v[86:87], v[72:73], v[84:85] op_sel:[0,0,1] op_sel_hi:[1,0,0]
	v_mov_b32_e32 v89, v85
	ds_load_2addr_b64 v[84:87], v236 offset0:49 offset1:50
	v_pk_add_f32 v[188:189], v[188:189], v[90:91] neg_lo:[0,1] neg_hi:[0,1]
	v_pk_add_f32 v[210:211], v[210:211], v[88:89] neg_lo:[0,1] neg_hi:[0,1]
	s_wait_dscnt 0x0
	v_dual_mul_f32 v88, v85, v75 :: v_dual_mul_f32 v90, v85, v72
	s_delay_alu instid0(VALU_DEP_1) | instskip(NEXT) | instid1(VALU_DEP_2)
	v_pk_fma_f32 v[88:89], v[84:85], v[98:99], v[88:89] op_sel_hi:[1,1,0] neg_lo:[0,0,1] neg_hi:[0,0,1]
	v_pk_fma_f32 v[84:85], v[84:85], v[98:99], v[90:91] op_sel:[1,0,0] op_sel_hi:[0,1,0]
	s_delay_alu instid0(VALU_DEP_1) | instskip(SKIP_1) | instid1(VALU_DEP_2)
	v_mov_b32_e32 v89, v85
	v_pk_mul_f32 v[84:85], v[86:87], v[74:75] op_sel:[0,1]
	v_pk_add_f32 v[206:207], v[206:207], v[88:89] neg_lo:[0,1] neg_hi:[0,1]
	s_delay_alu instid0(VALU_DEP_2) | instskip(SKIP_1) | instid1(VALU_DEP_1)
	v_pk_fma_f32 v[88:89], v[86:87], v[72:73], v[84:85] op_sel:[0,0,1] op_sel_hi:[1,1,0] neg_lo:[0,0,1] neg_hi:[0,0,1]
	v_pk_fma_f32 v[84:85], v[86:87], v[72:73], v[84:85] op_sel:[0,0,1] op_sel_hi:[1,0,0]
	v_mov_b32_e32 v89, v85
	ds_load_2addr_b64 v[84:87], v236 offset0:51 offset1:52
	v_pk_add_f32 v[208:209], v[208:209], v[88:89] neg_lo:[0,1] neg_hi:[0,1]
	s_wait_dscnt 0x0
	v_pk_mul_f32 v[88:89], v[84:85], v[74:75] op_sel:[0,1]
	s_delay_alu instid0(VALU_DEP_1) | instskip(SKIP_1) | instid1(VALU_DEP_1)
	v_pk_fma_f32 v[90:91], v[84:85], v[72:73], v[88:89] op_sel:[0,0,1] op_sel_hi:[1,1,0] neg_lo:[0,0,1] neg_hi:[0,0,1]
	v_pk_fma_f32 v[84:85], v[84:85], v[72:73], v[88:89] op_sel:[0,0,1] op_sel_hi:[1,0,0]
	v_mov_b32_e32 v91, v85
	v_pk_mul_f32 v[84:85], v[86:87], v[74:75] op_sel:[0,1]
	s_delay_alu instid0(VALU_DEP_2) | instskip(NEXT) | instid1(VALU_DEP_2)
	v_pk_add_f32 v[204:205], v[204:205], v[90:91] neg_lo:[0,1] neg_hi:[0,1]
	v_pk_fma_f32 v[88:89], v[86:87], v[72:73], v[84:85] op_sel:[0,0,1] op_sel_hi:[1,1,0] neg_lo:[0,0,1] neg_hi:[0,0,1]
	v_pk_fma_f32 v[84:85], v[86:87], v[72:73], v[84:85] op_sel:[0,0,1] op_sel_hi:[1,0,0]
	s_delay_alu instid0(VALU_DEP_1) | instskip(SKIP_4) | instid1(VALU_DEP_1)
	v_mov_b32_e32 v89, v85
	ds_load_2addr_b64 v[84:87], v236 offset0:53 offset1:54
	v_pk_add_f32 v[228:229], v[228:229], v[88:89] neg_lo:[0,1] neg_hi:[0,1]
	s_wait_dscnt 0x0
	v_pk_mul_f32 v[88:89], v[84:85], v[74:75] op_sel:[0,1]
	v_pk_fma_f32 v[90:91], v[84:85], v[72:73], v[88:89] op_sel:[0,0,1] op_sel_hi:[1,1,0] neg_lo:[0,0,1] neg_hi:[0,0,1]
	v_pk_fma_f32 v[84:85], v[84:85], v[72:73], v[88:89] op_sel:[0,0,1] op_sel_hi:[1,0,0]
	v_dual_mul_f32 v88, v87, v75 :: v_dual_mov_b32 v84, v87
	s_delay_alu instid0(VALU_DEP_2) | instskip(NEXT) | instid1(VALU_DEP_2)
	v_dual_mov_b32 v91, v85 :: v_dual_mov_b32 v85, v86
	v_pk_fma_f32 v[88:89], v[86:87], v[98:99], v[88:89] op_sel_hi:[1,1,0] neg_lo:[0,0,1] neg_hi:[0,0,1]
	v_mul_f32_e32 v86, v87, v72
	s_delay_alu instid0(VALU_DEP_3) | instskip(NEXT) | instid1(VALU_DEP_2)
	v_pk_add_f32 v[224:225], v[224:225], v[90:91] neg_lo:[0,1] neg_hi:[0,1]
	v_pk_fma_f32 v[84:85], v[84:85], v[98:99], v[86:87] op_sel_hi:[1,1,0]
	s_delay_alu instid0(VALU_DEP_1) | instskip(SKIP_4) | instid1(VALU_DEP_1)
	v_mov_b32_e32 v89, v85
	ds_load_2addr_b64 v[84:87], v236 offset0:55 offset1:56
	v_pk_add_f32 v[226:227], v[226:227], v[88:89] neg_lo:[0,1] neg_hi:[0,1]
	s_wait_dscnt 0x0
	v_pk_mul_f32 v[88:89], v[84:85], v[74:75] op_sel:[0,1]
	v_pk_fma_f32 v[90:91], v[84:85], v[72:73], v[88:89] op_sel:[0,0,1] op_sel_hi:[1,1,0] neg_lo:[0,0,1] neg_hi:[0,0,1]
	v_pk_fma_f32 v[84:85], v[84:85], v[72:73], v[88:89] op_sel:[0,0,1] op_sel_hi:[1,0,0]
	s_delay_alu instid0(VALU_DEP_1) | instskip(SKIP_1) | instid1(VALU_DEP_1)
	v_mov_b32_e32 v91, v85
	v_pk_mul_f32 v[84:85], v[86:87], v[74:75] op_sel:[0,1]
	v_pk_fma_f32 v[88:89], v[86:87], v[72:73], v[84:85] op_sel:[0,0,1] op_sel_hi:[1,1,0] neg_lo:[0,0,1] neg_hi:[0,0,1]
	v_pk_fma_f32 v[84:85], v[86:87], v[72:73], v[84:85] op_sel:[0,0,1] op_sel_hi:[1,0,0]
	s_delay_alu instid0(VALU_DEP_1)
	v_mov_b32_e32 v89, v85
	ds_load_2addr_b64 v[84:87], v236 offset0:57 offset1:58
	v_pk_add_f32 v[222:223], v[222:223], v[90:91] neg_lo:[0,1] neg_hi:[0,1]
	v_pk_add_f32 v[244:245], v[244:245], v[88:89] neg_lo:[0,1] neg_hi:[0,1]
	s_wait_dscnt 0x0
	v_pk_mul_f32 v[88:89], v[84:85], v[74:75] op_sel:[0,1]
	s_delay_alu instid0(VALU_DEP_1) | instskip(SKIP_1) | instid1(VALU_DEP_1)
	v_pk_fma_f32 v[90:91], v[84:85], v[72:73], v[88:89] op_sel:[0,0,1] op_sel_hi:[1,1,0] neg_lo:[0,0,1] neg_hi:[0,0,1]
	v_pk_fma_f32 v[84:85], v[84:85], v[72:73], v[88:89] op_sel:[0,0,1] op_sel_hi:[1,0,0]
	v_mov_b32_e32 v91, v85
	v_pk_mul_f32 v[84:85], v[86:87], v[74:75] op_sel:[0,1]
	s_delay_alu instid0(VALU_DEP_1) | instskip(SKIP_1) | instid1(VALU_DEP_1)
	v_pk_fma_f32 v[88:89], v[86:87], v[72:73], v[84:85] op_sel:[0,0,1] op_sel_hi:[1,1,0] neg_lo:[0,0,1] neg_hi:[0,0,1]
	v_pk_fma_f32 v[84:85], v[86:87], v[72:73], v[84:85] op_sel:[0,0,1] op_sel_hi:[1,0,0]
	v_mov_b32_e32 v89, v85
	ds_load_2addr_b64 v[84:87], v236 offset0:59 offset1:60
	v_pk_add_f32 v[240:241], v[240:241], v[90:91] neg_lo:[0,1] neg_hi:[0,1]
	v_pk_add_f32 v[242:243], v[242:243], v[88:89] neg_lo:[0,1] neg_hi:[0,1]
	s_wait_dscnt 0x0
	v_dual_mul_f32 v88, v85, v75 :: v_dual_mul_f32 v90, v85, v72
	s_delay_alu instid0(VALU_DEP_1) | instskip(NEXT) | instid1(VALU_DEP_2)
	v_pk_fma_f32 v[88:89], v[84:85], v[98:99], v[88:89] op_sel_hi:[1,1,0] neg_lo:[0,0,1] neg_hi:[0,0,1]
	v_pk_fma_f32 v[84:85], v[84:85], v[98:99], v[90:91] op_sel:[1,0,0] op_sel_hi:[0,1,0]
	s_delay_alu instid0(VALU_DEP_1) | instskip(SKIP_1) | instid1(VALU_DEP_2)
	v_mov_b32_e32 v89, v85
	v_pk_mul_f32 v[84:85], v[86:87], v[74:75] op_sel:[0,1]
	v_pk_add_f32 v[238:239], v[238:239], v[88:89] neg_lo:[0,1] neg_hi:[0,1]
	s_delay_alu instid0(VALU_DEP_2) | instskip(SKIP_1) | instid1(VALU_DEP_1)
	v_pk_fma_f32 v[88:89], v[86:87], v[72:73], v[84:85] op_sel:[0,0,1] op_sel_hi:[1,1,0] neg_lo:[0,0,1] neg_hi:[0,0,1]
	v_pk_fma_f32 v[84:85], v[86:87], v[72:73], v[84:85] op_sel:[0,0,1] op_sel_hi:[1,0,0]
	v_mov_b32_e32 v89, v85
	ds_load_b64 v[84:85], v236 offset:488
	v_pk_add_f32 v[246:247], v[246:247], v[88:89] neg_lo:[0,1] neg_hi:[0,1]
	s_wait_dscnt 0x0
	v_pk_mul_f32 v[74:75], v[84:85], v[74:75] op_sel:[0,1]
	s_delay_alu instid0(VALU_DEP_1) | instskip(SKIP_1) | instid1(VALU_DEP_1)
	v_pk_fma_f32 v[86:87], v[84:85], v[72:73], v[74:75] op_sel:[0,0,1] op_sel_hi:[1,1,0] neg_lo:[0,0,1] neg_hi:[0,0,1]
	v_pk_fma_f32 v[72:73], v[84:85], v[72:73], v[74:75] op_sel:[0,0,1] op_sel_hi:[1,0,0]
	v_mov_b32_e32 v87, v73
	s_delay_alu instid0(VALU_DEP_1)
	v_pk_add_f32 v[248:249], v[248:249], v[86:87] neg_lo:[0,1] neg_hi:[0,1]
.LBB123_190:
	s_or_b32 exec_lo, exec_lo, s1
	s_delay_alu instid0(SALU_CYCLE_1)
	s_mov_b32 s2, exec_lo
	s_wait_dscnt 0x0
	s_barrier_signal -1
	s_barrier_wait -1
	v_cmpx_eq_u32_e32 21, v234
	s_cbranch_execz .LBB123_197
; %bb.191:
	v_dual_mov_b32 v72, v96 :: v_dual_mov_b32 v73, v97
	v_dual_mov_b32 v74, v92 :: v_dual_mov_b32 v75, v93
	ds_store_b64 v235, v[94:95]
	ds_store_2addr_b64 v236, v[72:73], v[74:75] offset0:22 offset1:23
	v_dual_mov_b32 v72, v114 :: v_dual_mov_b32 v73, v115
	v_dual_mov_b32 v74, v110 :: v_dual_mov_b32 v75, v111
	ds_store_2addr_b64 v236, v[72:73], v[74:75] offset0:24 offset1:25
	v_dual_mov_b32 v72, v112 :: v_dual_mov_b32 v73, v113
	v_dual_mov_b32 v74, v108 :: v_dual_mov_b32 v75, v109
	;; [unrolled: 3-line block ×18, first 2 shown]
	ds_store_2addr_b64 v236, v[72:73], v[74:75] offset0:58 offset1:59
	v_dual_mov_b32 v72, v246 :: v_dual_mov_b32 v73, v247
	ds_store_2addr_b64 v236, v[72:73], v[248:249] offset0:60 offset1:61
	ds_load_b64 v[72:73], v235
	s_wait_dscnt 0x0
	v_cmp_neq_f32_e32 vcc_lo, 0, v72
	v_cmp_neq_f32_e64 s1, 0, v73
	s_or_b32 s1, vcc_lo, s1
	s_delay_alu instid0(SALU_CYCLE_1)
	s_and_b32 exec_lo, exec_lo, s1
	s_cbranch_execz .LBB123_197
; %bb.192:
	v_cmp_ngt_f32_e64 s1, |v72|, |v73|
                                        ; implicit-def: $vgpr74_vgpr75
	s_and_saveexec_b32 s4, s1
	s_delay_alu instid0(SALU_CYCLE_1)
	s_xor_b32 s1, exec_lo, s4
	s_cbranch_execz .LBB123_194
; %bb.193:
	v_div_scale_f32 v0, null, v73, v73, v72
	v_div_scale_f32 v75, vcc_lo, v72, v73, v72
	s_delay_alu instid0(VALU_DEP_2) | instskip(SKIP_1) | instid1(TRANS32_DEP_1)
	v_rcp_f32_e32 v1, v0
	v_nop
	v_fma_f32 v74, -v0, v1, 1.0
	s_delay_alu instid0(VALU_DEP_1) | instskip(NEXT) | instid1(VALU_DEP_1)
	v_fmac_f32_e32 v1, v74, v1
	v_mul_f32_e32 v74, v75, v1
	s_delay_alu instid0(VALU_DEP_1) | instskip(NEXT) | instid1(VALU_DEP_1)
	v_fma_f32 v84, -v0, v74, v75
	v_fmac_f32_e32 v74, v84, v1
	s_delay_alu instid0(VALU_DEP_1) | instskip(NEXT) | instid1(VALU_DEP_1)
	v_fma_f32 v0, -v0, v74, v75
	v_div_fmas_f32 v0, v0, v1, v74
	s_delay_alu instid0(VALU_DEP_1) | instskip(NEXT) | instid1(VALU_DEP_1)
	v_div_fixup_f32 v0, v0, v73, v72
	v_fmac_f32_e32 v73, v72, v0
	s_delay_alu instid0(VALU_DEP_1) | instskip(SKIP_1) | instid1(VALU_DEP_2)
	v_div_scale_f32 v1, null, v73, v73, 1.0
	v_div_scale_f32 v75, vcc_lo, 1.0, v73, 1.0
	v_rcp_f32_e32 v72, v1
	v_nop
	s_delay_alu instid0(TRANS32_DEP_1) | instskip(NEXT) | instid1(VALU_DEP_1)
	v_fma_f32 v74, -v1, v72, 1.0
	v_fmac_f32_e32 v72, v74, v72
	s_delay_alu instid0(VALU_DEP_1) | instskip(NEXT) | instid1(VALU_DEP_1)
	v_mul_f32_e32 v74, v75, v72
	v_fma_f32 v84, -v1, v74, v75
	s_delay_alu instid0(VALU_DEP_1) | instskip(NEXT) | instid1(VALU_DEP_1)
	v_fmac_f32_e32 v74, v84, v72
	v_fma_f32 v1, -v1, v74, v75
	s_delay_alu instid0(VALU_DEP_1) | instskip(NEXT) | instid1(VALU_DEP_1)
	v_div_fmas_f32 v1, v1, v72, v74
	v_div_fixup_f32 v1, v1, v73, 1.0
                                        ; implicit-def: $vgpr72_vgpr73
	s_delay_alu instid0(VALU_DEP_1)
	v_mul_f32_e32 v74, v0, v1
	v_xor_b32_e32 v75, 0x80000000, v1
.LBB123_194:
	s_and_not1_saveexec_b32 s1, s1
	s_cbranch_execz .LBB123_196
; %bb.195:
	v_div_scale_f32 v0, null, v72, v72, v73
	v_div_scale_f32 v75, vcc_lo, v73, v72, v73
	s_delay_alu instid0(VALU_DEP_2) | instskip(SKIP_1) | instid1(TRANS32_DEP_1)
	v_rcp_f32_e32 v1, v0
	v_nop
	v_fma_f32 v74, -v0, v1, 1.0
	s_delay_alu instid0(VALU_DEP_1) | instskip(NEXT) | instid1(VALU_DEP_1)
	v_fmac_f32_e32 v1, v74, v1
	v_mul_f32_e32 v74, v75, v1
	s_delay_alu instid0(VALU_DEP_1) | instskip(NEXT) | instid1(VALU_DEP_1)
	v_fma_f32 v84, -v0, v74, v75
	v_fmac_f32_e32 v74, v84, v1
	s_delay_alu instid0(VALU_DEP_1) | instskip(NEXT) | instid1(VALU_DEP_1)
	v_fma_f32 v0, -v0, v74, v75
	v_div_fmas_f32 v0, v0, v1, v74
	s_delay_alu instid0(VALU_DEP_1) | instskip(NEXT) | instid1(VALU_DEP_1)
	v_div_fixup_f32 v0, v0, v72, v73
	v_fmac_f32_e32 v72, v73, v0
	s_delay_alu instid0(VALU_DEP_1) | instskip(NEXT) | instid1(VALU_DEP_1)
	v_div_scale_f32 v1, null, v72, v72, 1.0
	v_rcp_f32_e32 v73, v1
	v_nop
	s_delay_alu instid0(TRANS32_DEP_1) | instskip(NEXT) | instid1(VALU_DEP_1)
	v_fma_f32 v74, -v1, v73, 1.0
	v_fmac_f32_e32 v73, v74, v73
	v_div_scale_f32 v74, vcc_lo, 1.0, v72, 1.0
	s_delay_alu instid0(VALU_DEP_1) | instskip(NEXT) | instid1(VALU_DEP_1)
	v_mul_f32_e32 v75, v74, v73
	v_fma_f32 v84, -v1, v75, v74
	s_delay_alu instid0(VALU_DEP_1) | instskip(NEXT) | instid1(VALU_DEP_1)
	v_fmac_f32_e32 v75, v84, v73
	v_fma_f32 v1, -v1, v75, v74
	s_delay_alu instid0(VALU_DEP_1) | instskip(NEXT) | instid1(VALU_DEP_1)
	v_div_fmas_f32 v1, v1, v73, v75
	v_div_fixup_f32 v74, v1, v72, 1.0
	s_delay_alu instid0(VALU_DEP_1)
	v_mul_f32_e64 v75, v0, -v74
.LBB123_196:
	s_or_b32 exec_lo, exec_lo, s1
	ds_store_b64 v235, v[74:75]
.LBB123_197:
	s_or_b32 exec_lo, exec_lo, s2
	s_wait_dscnt 0x0
	s_barrier_signal -1
	s_barrier_wait -1
	ds_load_b64 v[72:73], v235
	s_mov_b32 s1, exec_lo
	v_cmpx_lt_u32_e32 21, v234
	s_cbranch_execz .LBB123_199
; %bb.198:
	ds_load_2addr_b64 v[86:89], v236 offset0:22 offset1:23
	s_wait_dscnt 0x1
	v_pk_mul_f32 v[84:85], v[72:73], v[94:95] op_sel:[1,1] op_sel_hi:[0,1]
	s_delay_alu instid0(VALU_DEP_1) | instskip(SKIP_1) | instid1(VALU_DEP_1)
	v_pk_fma_f32 v[74:75], v[72:73], v[94:95], v[84:85] op_sel_hi:[1,0,1] neg_lo:[0,0,1] neg_hi:[0,0,1]
	v_pk_fma_f32 v[84:85], v[72:73], v[94:95], v[84:85] op_sel_hi:[1,0,1]
	v_dual_mov_b32 v94, v74 :: v_dual_mov_b32 v95, v85
	s_wait_dscnt 0x0
	s_delay_alu instid0(VALU_DEP_2) | instskip(NEXT) | instid1(VALU_DEP_1)
	v_pk_mul_f32 v[90:91], v[86:87], v[84:85] op_sel:[0,1]
	v_pk_fma_f32 v[100:101], v[86:87], v[74:75], v[90:91] op_sel:[0,0,1] op_sel_hi:[1,1,0] neg_lo:[0,0,1] neg_hi:[0,0,1]
	v_pk_fma_f32 v[86:87], v[86:87], v[74:75], v[90:91] op_sel:[0,0,1] op_sel_hi:[1,0,0]
	s_delay_alu instid0(VALU_DEP_1) | instskip(SKIP_1) | instid1(VALU_DEP_1)
	v_mov_b32_e32 v101, v87
	v_pk_mul_f32 v[86:87], v[88:89], v[84:85] op_sel:[0,1]
	v_pk_fma_f32 v[90:91], v[88:89], v[74:75], v[86:87] op_sel:[0,0,1] op_sel_hi:[1,1,0] neg_lo:[0,0,1] neg_hi:[0,0,1]
	v_pk_fma_f32 v[86:87], v[88:89], v[74:75], v[86:87] op_sel:[0,0,1] op_sel_hi:[1,0,0]
	s_delay_alu instid0(VALU_DEP_1)
	v_mov_b32_e32 v91, v87
	ds_load_2addr_b64 v[86:89], v236 offset0:24 offset1:25
	v_pk_add_f32 v[96:97], v[96:97], v[100:101] neg_lo:[0,1] neg_hi:[0,1]
	v_pk_add_f32 v[92:93], v[92:93], v[90:91] neg_lo:[0,1] neg_hi:[0,1]
	s_wait_dscnt 0x0
	v_pk_mul_f32 v[90:91], v[86:87], v[84:85] op_sel:[0,1]
	s_delay_alu instid0(VALU_DEP_1) | instskip(SKIP_2) | instid1(VALU_DEP_2)
	v_pk_fma_f32 v[100:101], v[86:87], v[74:75], v[90:91] op_sel:[0,0,1] op_sel_hi:[1,1,0] neg_lo:[0,0,1] neg_hi:[0,0,1]
	v_pk_fma_f32 v[86:87], v[86:87], v[74:75], v[90:91] op_sel:[0,0,1] op_sel_hi:[1,0,0]
	v_dual_mul_f32 v90, v89, v85 :: v_dual_mov_b32 v86, v89
	v_dual_mov_b32 v101, v87 :: v_dual_mov_b32 v87, v88
	s_delay_alu instid0(VALU_DEP_2) | instskip(SKIP_1) | instid1(VALU_DEP_3)
	v_pk_fma_f32 v[90:91], v[88:89], v[94:95], v[90:91] op_sel_hi:[1,1,0] neg_lo:[0,0,1] neg_hi:[0,0,1]
	v_mul_f32_e32 v88, v89, v74
	v_pk_add_f32 v[114:115], v[114:115], v[100:101] neg_lo:[0,1] neg_hi:[0,1]
	s_delay_alu instid0(VALU_DEP_2) | instskip(NEXT) | instid1(VALU_DEP_1)
	v_pk_fma_f32 v[86:87], v[86:87], v[94:95], v[88:89] op_sel_hi:[1,1,0]
	v_mov_b32_e32 v91, v87
	ds_load_2addr_b64 v[86:89], v236 offset0:26 offset1:27
	v_pk_add_f32 v[110:111], v[110:111], v[90:91] neg_lo:[0,1] neg_hi:[0,1]
	s_wait_dscnt 0x0
	v_pk_mul_f32 v[90:91], v[86:87], v[84:85] op_sel:[0,1]
	s_delay_alu instid0(VALU_DEP_1) | instskip(SKIP_1) | instid1(VALU_DEP_1)
	v_pk_fma_f32 v[100:101], v[86:87], v[74:75], v[90:91] op_sel:[0,0,1] op_sel_hi:[1,1,0] neg_lo:[0,0,1] neg_hi:[0,0,1]
	v_pk_fma_f32 v[86:87], v[86:87], v[74:75], v[90:91] op_sel:[0,0,1] op_sel_hi:[1,0,0]
	v_mov_b32_e32 v101, v87
	v_pk_mul_f32 v[86:87], v[88:89], v[84:85] op_sel:[0,1]
	s_delay_alu instid0(VALU_DEP_1) | instskip(SKIP_1) | instid1(VALU_DEP_1)
	v_pk_fma_f32 v[90:91], v[88:89], v[74:75], v[86:87] op_sel:[0,0,1] op_sel_hi:[1,1,0] neg_lo:[0,0,1] neg_hi:[0,0,1]
	v_pk_fma_f32 v[86:87], v[88:89], v[74:75], v[86:87] op_sel:[0,0,1] op_sel_hi:[1,0,0]
	v_mov_b32_e32 v91, v87
	ds_load_2addr_b64 v[86:89], v236 offset0:28 offset1:29
	v_pk_add_f32 v[112:113], v[112:113], v[100:101] neg_lo:[0,1] neg_hi:[0,1]
	v_pk_add_f32 v[108:109], v[108:109], v[90:91] neg_lo:[0,1] neg_hi:[0,1]
	s_wait_dscnt 0x0
	v_pk_mul_f32 v[90:91], v[86:87], v[84:85] op_sel:[0,1]
	s_delay_alu instid0(VALU_DEP_1) | instskip(SKIP_1) | instid1(VALU_DEP_1)
	v_pk_fma_f32 v[100:101], v[86:87], v[74:75], v[90:91] op_sel:[0,0,1] op_sel_hi:[1,1,0] neg_lo:[0,0,1] neg_hi:[0,0,1]
	v_pk_fma_f32 v[86:87], v[86:87], v[74:75], v[90:91] op_sel:[0,0,1] op_sel_hi:[1,0,0]
	v_mov_b32_e32 v101, v87
	v_pk_mul_f32 v[86:87], v[88:89], v[84:85] op_sel:[0,1]
	s_delay_alu instid0(VALU_DEP_1) | instskip(SKIP_1) | instid1(VALU_DEP_1)
	v_pk_fma_f32 v[90:91], v[88:89], v[74:75], v[86:87] op_sel:[0,0,1] op_sel_hi:[1,1,0] neg_lo:[0,0,1] neg_hi:[0,0,1]
	v_pk_fma_f32 v[86:87], v[88:89], v[74:75], v[86:87] op_sel:[0,0,1] op_sel_hi:[1,0,0]
	v_mov_b32_e32 v91, v87
	ds_load_2addr_b64 v[86:89], v236 offset0:30 offset1:31
	v_pk_add_f32 v[130:131], v[130:131], v[100:101] neg_lo:[0,1] neg_hi:[0,1]
	v_pk_add_f32 v[126:127], v[126:127], v[90:91] neg_lo:[0,1] neg_hi:[0,1]
	s_wait_dscnt 0x0
	v_dual_mul_f32 v90, v87, v85 :: v_dual_mul_f32 v100, v87, v74
	s_delay_alu instid0(VALU_DEP_1) | instskip(NEXT) | instid1(VALU_DEP_2)
	v_pk_fma_f32 v[90:91], v[86:87], v[94:95], v[90:91] op_sel_hi:[1,1,0] neg_lo:[0,0,1] neg_hi:[0,0,1]
	v_pk_fma_f32 v[86:87], v[86:87], v[94:95], v[100:101] op_sel:[1,0,0] op_sel_hi:[0,1,0]
	s_delay_alu instid0(VALU_DEP_1) | instskip(SKIP_1) | instid1(VALU_DEP_2)
	v_mov_b32_e32 v91, v87
	v_pk_mul_f32 v[86:87], v[88:89], v[84:85] op_sel:[0,1]
	v_pk_add_f32 v[128:129], v[128:129], v[90:91] neg_lo:[0,1] neg_hi:[0,1]
	s_delay_alu instid0(VALU_DEP_2) | instskip(SKIP_1) | instid1(VALU_DEP_1)
	v_pk_fma_f32 v[90:91], v[88:89], v[74:75], v[86:87] op_sel:[0,0,1] op_sel_hi:[1,1,0] neg_lo:[0,0,1] neg_hi:[0,0,1]
	v_pk_fma_f32 v[86:87], v[88:89], v[74:75], v[86:87] op_sel:[0,0,1] op_sel_hi:[1,0,0]
	v_mov_b32_e32 v91, v87
	ds_load_2addr_b64 v[86:89], v236 offset0:32 offset1:33
	v_pk_add_f32 v[124:125], v[124:125], v[90:91] neg_lo:[0,1] neg_hi:[0,1]
	s_wait_dscnt 0x0
	v_pk_mul_f32 v[90:91], v[86:87], v[84:85] op_sel:[0,1]
	s_delay_alu instid0(VALU_DEP_1) | instskip(SKIP_1) | instid1(VALU_DEP_1)
	v_pk_fma_f32 v[100:101], v[86:87], v[74:75], v[90:91] op_sel:[0,0,1] op_sel_hi:[1,1,0] neg_lo:[0,0,1] neg_hi:[0,0,1]
	v_pk_fma_f32 v[86:87], v[86:87], v[74:75], v[90:91] op_sel:[0,0,1] op_sel_hi:[1,0,0]
	v_mov_b32_e32 v101, v87
	v_pk_mul_f32 v[86:87], v[88:89], v[84:85] op_sel:[0,1]
	s_delay_alu instid0(VALU_DEP_2) | instskip(NEXT) | instid1(VALU_DEP_2)
	v_pk_add_f32 v[146:147], v[146:147], v[100:101] neg_lo:[0,1] neg_hi:[0,1]
	v_pk_fma_f32 v[90:91], v[88:89], v[74:75], v[86:87] op_sel:[0,0,1] op_sel_hi:[1,1,0] neg_lo:[0,0,1] neg_hi:[0,0,1]
	v_pk_fma_f32 v[86:87], v[88:89], v[74:75], v[86:87] op_sel:[0,0,1] op_sel_hi:[1,0,0]
	s_delay_alu instid0(VALU_DEP_1) | instskip(SKIP_4) | instid1(VALU_DEP_1)
	v_mov_b32_e32 v91, v87
	ds_load_2addr_b64 v[86:89], v236 offset0:34 offset1:35
	v_pk_add_f32 v[142:143], v[142:143], v[90:91] neg_lo:[0,1] neg_hi:[0,1]
	s_wait_dscnt 0x0
	v_pk_mul_f32 v[90:91], v[86:87], v[84:85] op_sel:[0,1]
	v_pk_fma_f32 v[100:101], v[86:87], v[74:75], v[90:91] op_sel:[0,0,1] op_sel_hi:[1,1,0] neg_lo:[0,0,1] neg_hi:[0,0,1]
	v_pk_fma_f32 v[86:87], v[86:87], v[74:75], v[90:91] op_sel:[0,0,1] op_sel_hi:[1,0,0]
	v_dual_mul_f32 v90, v89, v85 :: v_dual_mov_b32 v86, v89
	s_delay_alu instid0(VALU_DEP_2) | instskip(NEXT) | instid1(VALU_DEP_2)
	v_dual_mov_b32 v101, v87 :: v_dual_mov_b32 v87, v88
	v_pk_fma_f32 v[90:91], v[88:89], v[94:95], v[90:91] op_sel_hi:[1,1,0] neg_lo:[0,0,1] neg_hi:[0,0,1]
	v_mul_f32_e32 v88, v89, v74
	s_delay_alu instid0(VALU_DEP_3) | instskip(NEXT) | instid1(VALU_DEP_2)
	v_pk_add_f32 v[144:145], v[144:145], v[100:101] neg_lo:[0,1] neg_hi:[0,1]
	v_pk_fma_f32 v[86:87], v[86:87], v[94:95], v[88:89] op_sel_hi:[1,1,0]
	s_delay_alu instid0(VALU_DEP_1) | instskip(SKIP_4) | instid1(VALU_DEP_1)
	v_mov_b32_e32 v91, v87
	ds_load_2addr_b64 v[86:89], v236 offset0:36 offset1:37
	v_pk_add_f32 v[140:141], v[140:141], v[90:91] neg_lo:[0,1] neg_hi:[0,1]
	s_wait_dscnt 0x0
	v_pk_mul_f32 v[90:91], v[86:87], v[84:85] op_sel:[0,1]
	v_pk_fma_f32 v[100:101], v[86:87], v[74:75], v[90:91] op_sel:[0,0,1] op_sel_hi:[1,1,0] neg_lo:[0,0,1] neg_hi:[0,0,1]
	v_pk_fma_f32 v[86:87], v[86:87], v[74:75], v[90:91] op_sel:[0,0,1] op_sel_hi:[1,0,0]
	s_delay_alu instid0(VALU_DEP_1) | instskip(SKIP_1) | instid1(VALU_DEP_1)
	v_mov_b32_e32 v101, v87
	v_pk_mul_f32 v[86:87], v[88:89], v[84:85] op_sel:[0,1]
	v_pk_fma_f32 v[90:91], v[88:89], v[74:75], v[86:87] op_sel:[0,0,1] op_sel_hi:[1,1,0] neg_lo:[0,0,1] neg_hi:[0,0,1]
	v_pk_fma_f32 v[86:87], v[88:89], v[74:75], v[86:87] op_sel:[0,0,1] op_sel_hi:[1,0,0]
	s_delay_alu instid0(VALU_DEP_1)
	v_mov_b32_e32 v91, v87
	ds_load_2addr_b64 v[86:89], v236 offset0:38 offset1:39
	v_pk_add_f32 v[162:163], v[162:163], v[100:101] neg_lo:[0,1] neg_hi:[0,1]
	v_pk_add_f32 v[158:159], v[158:159], v[90:91] neg_lo:[0,1] neg_hi:[0,1]
	s_wait_dscnt 0x0
	v_pk_mul_f32 v[90:91], v[86:87], v[84:85] op_sel:[0,1]
	s_delay_alu instid0(VALU_DEP_1) | instskip(SKIP_1) | instid1(VALU_DEP_1)
	v_pk_fma_f32 v[100:101], v[86:87], v[74:75], v[90:91] op_sel:[0,0,1] op_sel_hi:[1,1,0] neg_lo:[0,0,1] neg_hi:[0,0,1]
	v_pk_fma_f32 v[86:87], v[86:87], v[74:75], v[90:91] op_sel:[0,0,1] op_sel_hi:[1,0,0]
	v_mov_b32_e32 v101, v87
	v_pk_mul_f32 v[86:87], v[88:89], v[84:85] op_sel:[0,1]
	s_delay_alu instid0(VALU_DEP_1) | instskip(SKIP_1) | instid1(VALU_DEP_1)
	v_pk_fma_f32 v[90:91], v[88:89], v[74:75], v[86:87] op_sel:[0,0,1] op_sel_hi:[1,1,0] neg_lo:[0,0,1] neg_hi:[0,0,1]
	v_pk_fma_f32 v[86:87], v[88:89], v[74:75], v[86:87] op_sel:[0,0,1] op_sel_hi:[1,0,0]
	v_mov_b32_e32 v91, v87
	ds_load_2addr_b64 v[86:89], v236 offset0:40 offset1:41
	v_pk_add_f32 v[160:161], v[160:161], v[100:101] neg_lo:[0,1] neg_hi:[0,1]
	v_pk_add_f32 v[156:157], v[156:157], v[90:91] neg_lo:[0,1] neg_hi:[0,1]
	s_wait_dscnt 0x0
	v_dual_mul_f32 v90, v87, v85 :: v_dual_mul_f32 v100, v87, v74
	s_delay_alu instid0(VALU_DEP_1) | instskip(NEXT) | instid1(VALU_DEP_2)
	v_pk_fma_f32 v[90:91], v[86:87], v[94:95], v[90:91] op_sel_hi:[1,1,0] neg_lo:[0,0,1] neg_hi:[0,0,1]
	v_pk_fma_f32 v[86:87], v[86:87], v[94:95], v[100:101] op_sel:[1,0,0] op_sel_hi:[0,1,0]
	s_delay_alu instid0(VALU_DEP_1) | instskip(SKIP_1) | instid1(VALU_DEP_2)
	v_mov_b32_e32 v91, v87
	v_pk_mul_f32 v[86:87], v[88:89], v[84:85] op_sel:[0,1]
	v_pk_add_f32 v[178:179], v[178:179], v[90:91] neg_lo:[0,1] neg_hi:[0,1]
	s_delay_alu instid0(VALU_DEP_2) | instskip(SKIP_1) | instid1(VALU_DEP_1)
	v_pk_fma_f32 v[90:91], v[88:89], v[74:75], v[86:87] op_sel:[0,0,1] op_sel_hi:[1,1,0] neg_lo:[0,0,1] neg_hi:[0,0,1]
	v_pk_fma_f32 v[86:87], v[88:89], v[74:75], v[86:87] op_sel:[0,0,1] op_sel_hi:[1,0,0]
	v_mov_b32_e32 v91, v87
	ds_load_2addr_b64 v[86:89], v236 offset0:42 offset1:43
	v_pk_add_f32 v[174:175], v[174:175], v[90:91] neg_lo:[0,1] neg_hi:[0,1]
	s_wait_dscnt 0x0
	v_pk_mul_f32 v[90:91], v[86:87], v[84:85] op_sel:[0,1]
	s_delay_alu instid0(VALU_DEP_1) | instskip(SKIP_1) | instid1(VALU_DEP_1)
	v_pk_fma_f32 v[100:101], v[86:87], v[74:75], v[90:91] op_sel:[0,0,1] op_sel_hi:[1,1,0] neg_lo:[0,0,1] neg_hi:[0,0,1]
	v_pk_fma_f32 v[86:87], v[86:87], v[74:75], v[90:91] op_sel:[0,0,1] op_sel_hi:[1,0,0]
	v_mov_b32_e32 v101, v87
	v_pk_mul_f32 v[86:87], v[88:89], v[84:85] op_sel:[0,1]
	s_delay_alu instid0(VALU_DEP_2) | instskip(NEXT) | instid1(VALU_DEP_2)
	v_pk_add_f32 v[176:177], v[176:177], v[100:101] neg_lo:[0,1] neg_hi:[0,1]
	v_pk_fma_f32 v[90:91], v[88:89], v[74:75], v[86:87] op_sel:[0,0,1] op_sel_hi:[1,1,0] neg_lo:[0,0,1] neg_hi:[0,0,1]
	v_pk_fma_f32 v[86:87], v[88:89], v[74:75], v[86:87] op_sel:[0,0,1] op_sel_hi:[1,0,0]
	s_delay_alu instid0(VALU_DEP_1) | instskip(SKIP_4) | instid1(VALU_DEP_1)
	v_mov_b32_e32 v91, v87
	ds_load_2addr_b64 v[86:89], v236 offset0:44 offset1:45
	v_pk_add_f32 v[172:173], v[172:173], v[90:91] neg_lo:[0,1] neg_hi:[0,1]
	s_wait_dscnt 0x0
	v_pk_mul_f32 v[90:91], v[86:87], v[84:85] op_sel:[0,1]
	v_pk_fma_f32 v[100:101], v[86:87], v[74:75], v[90:91] op_sel:[0,0,1] op_sel_hi:[1,1,0] neg_lo:[0,0,1] neg_hi:[0,0,1]
	v_pk_fma_f32 v[86:87], v[86:87], v[74:75], v[90:91] op_sel:[0,0,1] op_sel_hi:[1,0,0]
	v_dual_mul_f32 v90, v89, v85 :: v_dual_mov_b32 v86, v89
	s_delay_alu instid0(VALU_DEP_2) | instskip(NEXT) | instid1(VALU_DEP_2)
	v_dual_mov_b32 v101, v87 :: v_dual_mov_b32 v87, v88
	v_pk_fma_f32 v[90:91], v[88:89], v[94:95], v[90:91] op_sel_hi:[1,1,0] neg_lo:[0,0,1] neg_hi:[0,0,1]
	v_mul_f32_e32 v88, v89, v74
	s_delay_alu instid0(VALU_DEP_3) | instskip(NEXT) | instid1(VALU_DEP_2)
	v_pk_add_f32 v[194:195], v[194:195], v[100:101] neg_lo:[0,1] neg_hi:[0,1]
	v_pk_fma_f32 v[86:87], v[86:87], v[94:95], v[88:89] op_sel_hi:[1,1,0]
	s_delay_alu instid0(VALU_DEP_1) | instskip(SKIP_4) | instid1(VALU_DEP_1)
	v_mov_b32_e32 v91, v87
	ds_load_2addr_b64 v[86:89], v236 offset0:46 offset1:47
	v_pk_add_f32 v[190:191], v[190:191], v[90:91] neg_lo:[0,1] neg_hi:[0,1]
	s_wait_dscnt 0x0
	v_pk_mul_f32 v[90:91], v[86:87], v[84:85] op_sel:[0,1]
	v_pk_fma_f32 v[100:101], v[86:87], v[74:75], v[90:91] op_sel:[0,0,1] op_sel_hi:[1,1,0] neg_lo:[0,0,1] neg_hi:[0,0,1]
	v_pk_fma_f32 v[86:87], v[86:87], v[74:75], v[90:91] op_sel:[0,0,1] op_sel_hi:[1,0,0]
	s_delay_alu instid0(VALU_DEP_1) | instskip(SKIP_1) | instid1(VALU_DEP_1)
	v_mov_b32_e32 v101, v87
	v_pk_mul_f32 v[86:87], v[88:89], v[84:85] op_sel:[0,1]
	v_pk_fma_f32 v[90:91], v[88:89], v[74:75], v[86:87] op_sel:[0,0,1] op_sel_hi:[1,1,0] neg_lo:[0,0,1] neg_hi:[0,0,1]
	v_pk_fma_f32 v[86:87], v[88:89], v[74:75], v[86:87] op_sel:[0,0,1] op_sel_hi:[1,0,0]
	s_delay_alu instid0(VALU_DEP_1)
	v_mov_b32_e32 v91, v87
	ds_load_2addr_b64 v[86:89], v236 offset0:48 offset1:49
	v_pk_add_f32 v[192:193], v[192:193], v[100:101] neg_lo:[0,1] neg_hi:[0,1]
	v_pk_add_f32 v[188:189], v[188:189], v[90:91] neg_lo:[0,1] neg_hi:[0,1]
	s_wait_dscnt 0x0
	v_pk_mul_f32 v[90:91], v[86:87], v[84:85] op_sel:[0,1]
	s_delay_alu instid0(VALU_DEP_1) | instskip(SKIP_1) | instid1(VALU_DEP_1)
	v_pk_fma_f32 v[100:101], v[86:87], v[74:75], v[90:91] op_sel:[0,0,1] op_sel_hi:[1,1,0] neg_lo:[0,0,1] neg_hi:[0,0,1]
	v_pk_fma_f32 v[86:87], v[86:87], v[74:75], v[90:91] op_sel:[0,0,1] op_sel_hi:[1,0,0]
	v_mov_b32_e32 v101, v87
	v_pk_mul_f32 v[86:87], v[88:89], v[84:85] op_sel:[0,1]
	s_delay_alu instid0(VALU_DEP_1) | instskip(SKIP_1) | instid1(VALU_DEP_1)
	v_pk_fma_f32 v[90:91], v[88:89], v[74:75], v[86:87] op_sel:[0,0,1] op_sel_hi:[1,1,0] neg_lo:[0,0,1] neg_hi:[0,0,1]
	v_pk_fma_f32 v[86:87], v[88:89], v[74:75], v[86:87] op_sel:[0,0,1] op_sel_hi:[1,0,0]
	v_mov_b32_e32 v91, v87
	ds_load_2addr_b64 v[86:89], v236 offset0:50 offset1:51
	v_pk_add_f32 v[210:211], v[210:211], v[100:101] neg_lo:[0,1] neg_hi:[0,1]
	v_pk_add_f32 v[206:207], v[206:207], v[90:91] neg_lo:[0,1] neg_hi:[0,1]
	s_wait_dscnt 0x0
	v_dual_mul_f32 v90, v87, v85 :: v_dual_mul_f32 v100, v87, v74
	s_delay_alu instid0(VALU_DEP_1) | instskip(NEXT) | instid1(VALU_DEP_2)
	v_pk_fma_f32 v[90:91], v[86:87], v[94:95], v[90:91] op_sel_hi:[1,1,0] neg_lo:[0,0,1] neg_hi:[0,0,1]
	v_pk_fma_f32 v[86:87], v[86:87], v[94:95], v[100:101] op_sel:[1,0,0] op_sel_hi:[0,1,0]
	s_delay_alu instid0(VALU_DEP_1) | instskip(SKIP_1) | instid1(VALU_DEP_2)
	v_mov_b32_e32 v91, v87
	v_pk_mul_f32 v[86:87], v[88:89], v[84:85] op_sel:[0,1]
	v_pk_add_f32 v[208:209], v[208:209], v[90:91] neg_lo:[0,1] neg_hi:[0,1]
	s_delay_alu instid0(VALU_DEP_2) | instskip(SKIP_1) | instid1(VALU_DEP_1)
	v_pk_fma_f32 v[90:91], v[88:89], v[74:75], v[86:87] op_sel:[0,0,1] op_sel_hi:[1,1,0] neg_lo:[0,0,1] neg_hi:[0,0,1]
	v_pk_fma_f32 v[86:87], v[88:89], v[74:75], v[86:87] op_sel:[0,0,1] op_sel_hi:[1,0,0]
	v_mov_b32_e32 v91, v87
	ds_load_2addr_b64 v[86:89], v236 offset0:52 offset1:53
	v_pk_add_f32 v[204:205], v[204:205], v[90:91] neg_lo:[0,1] neg_hi:[0,1]
	s_wait_dscnt 0x0
	v_pk_mul_f32 v[90:91], v[86:87], v[84:85] op_sel:[0,1]
	s_delay_alu instid0(VALU_DEP_1) | instskip(SKIP_1) | instid1(VALU_DEP_1)
	v_pk_fma_f32 v[100:101], v[86:87], v[74:75], v[90:91] op_sel:[0,0,1] op_sel_hi:[1,1,0] neg_lo:[0,0,1] neg_hi:[0,0,1]
	v_pk_fma_f32 v[86:87], v[86:87], v[74:75], v[90:91] op_sel:[0,0,1] op_sel_hi:[1,0,0]
	v_mov_b32_e32 v101, v87
	v_pk_mul_f32 v[86:87], v[88:89], v[84:85] op_sel:[0,1]
	s_delay_alu instid0(VALU_DEP_2) | instskip(NEXT) | instid1(VALU_DEP_2)
	v_pk_add_f32 v[228:229], v[228:229], v[100:101] neg_lo:[0,1] neg_hi:[0,1]
	v_pk_fma_f32 v[90:91], v[88:89], v[74:75], v[86:87] op_sel:[0,0,1] op_sel_hi:[1,1,0] neg_lo:[0,0,1] neg_hi:[0,0,1]
	v_pk_fma_f32 v[86:87], v[88:89], v[74:75], v[86:87] op_sel:[0,0,1] op_sel_hi:[1,0,0]
	s_delay_alu instid0(VALU_DEP_1) | instskip(SKIP_4) | instid1(VALU_DEP_1)
	v_mov_b32_e32 v91, v87
	ds_load_2addr_b64 v[86:89], v236 offset0:54 offset1:55
	v_pk_add_f32 v[224:225], v[224:225], v[90:91] neg_lo:[0,1] neg_hi:[0,1]
	s_wait_dscnt 0x0
	v_pk_mul_f32 v[90:91], v[86:87], v[84:85] op_sel:[0,1]
	v_pk_fma_f32 v[100:101], v[86:87], v[74:75], v[90:91] op_sel:[0,0,1] op_sel_hi:[1,1,0] neg_lo:[0,0,1] neg_hi:[0,0,1]
	v_pk_fma_f32 v[86:87], v[86:87], v[74:75], v[90:91] op_sel:[0,0,1] op_sel_hi:[1,0,0]
	v_dual_mul_f32 v90, v89, v85 :: v_dual_mov_b32 v86, v89
	s_delay_alu instid0(VALU_DEP_2) | instskip(NEXT) | instid1(VALU_DEP_2)
	v_dual_mov_b32 v101, v87 :: v_dual_mov_b32 v87, v88
	v_pk_fma_f32 v[90:91], v[88:89], v[94:95], v[90:91] op_sel_hi:[1,1,0] neg_lo:[0,0,1] neg_hi:[0,0,1]
	v_mul_f32_e32 v88, v89, v74
	s_delay_alu instid0(VALU_DEP_3) | instskip(NEXT) | instid1(VALU_DEP_2)
	v_pk_add_f32 v[226:227], v[226:227], v[100:101] neg_lo:[0,1] neg_hi:[0,1]
	v_pk_fma_f32 v[86:87], v[86:87], v[94:95], v[88:89] op_sel_hi:[1,1,0]
	s_delay_alu instid0(VALU_DEP_1) | instskip(SKIP_4) | instid1(VALU_DEP_1)
	v_mov_b32_e32 v91, v87
	ds_load_2addr_b64 v[86:89], v236 offset0:56 offset1:57
	v_pk_add_f32 v[222:223], v[222:223], v[90:91] neg_lo:[0,1] neg_hi:[0,1]
	s_wait_dscnt 0x0
	v_pk_mul_f32 v[90:91], v[86:87], v[84:85] op_sel:[0,1]
	v_pk_fma_f32 v[100:101], v[86:87], v[74:75], v[90:91] op_sel:[0,0,1] op_sel_hi:[1,1,0] neg_lo:[0,0,1] neg_hi:[0,0,1]
	v_pk_fma_f32 v[86:87], v[86:87], v[74:75], v[90:91] op_sel:[0,0,1] op_sel_hi:[1,0,0]
	s_delay_alu instid0(VALU_DEP_1) | instskip(SKIP_1) | instid1(VALU_DEP_1)
	v_mov_b32_e32 v101, v87
	v_pk_mul_f32 v[86:87], v[88:89], v[84:85] op_sel:[0,1]
	v_pk_fma_f32 v[90:91], v[88:89], v[74:75], v[86:87] op_sel:[0,0,1] op_sel_hi:[1,1,0] neg_lo:[0,0,1] neg_hi:[0,0,1]
	v_pk_fma_f32 v[86:87], v[88:89], v[74:75], v[86:87] op_sel:[0,0,1] op_sel_hi:[1,0,0]
	s_delay_alu instid0(VALU_DEP_1)
	v_mov_b32_e32 v91, v87
	ds_load_2addr_b64 v[86:89], v236 offset0:58 offset1:59
	v_pk_add_f32 v[244:245], v[244:245], v[100:101] neg_lo:[0,1] neg_hi:[0,1]
	v_pk_add_f32 v[240:241], v[240:241], v[90:91] neg_lo:[0,1] neg_hi:[0,1]
	s_wait_dscnt 0x0
	v_pk_mul_f32 v[90:91], v[86:87], v[84:85] op_sel:[0,1]
	s_delay_alu instid0(VALU_DEP_1) | instskip(SKIP_1) | instid1(VALU_DEP_1)
	v_pk_fma_f32 v[100:101], v[86:87], v[74:75], v[90:91] op_sel:[0,0,1] op_sel_hi:[1,1,0] neg_lo:[0,0,1] neg_hi:[0,0,1]
	v_pk_fma_f32 v[86:87], v[86:87], v[74:75], v[90:91] op_sel:[0,0,1] op_sel_hi:[1,0,0]
	v_mov_b32_e32 v101, v87
	v_pk_mul_f32 v[86:87], v[88:89], v[84:85] op_sel:[0,1]
	s_delay_alu instid0(VALU_DEP_1) | instskip(SKIP_1) | instid1(VALU_DEP_1)
	v_pk_fma_f32 v[90:91], v[88:89], v[74:75], v[86:87] op_sel:[0,0,1] op_sel_hi:[1,1,0] neg_lo:[0,0,1] neg_hi:[0,0,1]
	v_pk_fma_f32 v[86:87], v[88:89], v[74:75], v[86:87] op_sel:[0,0,1] op_sel_hi:[1,0,0]
	v_mov_b32_e32 v91, v87
	ds_load_2addr_b64 v[86:89], v236 offset0:60 offset1:61
	v_pk_add_f32 v[242:243], v[242:243], v[100:101] neg_lo:[0,1] neg_hi:[0,1]
	v_pk_add_f32 v[238:239], v[238:239], v[90:91] neg_lo:[0,1] neg_hi:[0,1]
	s_wait_dscnt 0x0
	v_dual_mul_f32 v90, v87, v85 :: v_dual_mul_f32 v100, v87, v74
	v_pk_mul_f32 v[84:85], v[88:89], v[84:85] op_sel:[0,1]
	s_delay_alu instid0(VALU_DEP_2) | instskip(NEXT) | instid1(VALU_DEP_3)
	v_pk_fma_f32 v[90:91], v[86:87], v[94:95], v[90:91] op_sel_hi:[1,1,0] neg_lo:[0,0,1] neg_hi:[0,0,1]
	v_pk_fma_f32 v[86:87], v[86:87], v[94:95], v[100:101] op_sel:[1,0,0] op_sel_hi:[0,1,0]
	s_delay_alu instid0(VALU_DEP_1) | instskip(NEXT) | instid1(VALU_DEP_4)
	v_mov_b32_e32 v91, v87
	v_pk_fma_f32 v[86:87], v[88:89], v[74:75], v[84:85] op_sel:[0,0,1] op_sel_hi:[1,1,0] neg_lo:[0,0,1] neg_hi:[0,0,1]
	v_pk_fma_f32 v[74:75], v[88:89], v[74:75], v[84:85] op_sel:[0,0,1] op_sel_hi:[1,0,0]
	s_delay_alu instid0(VALU_DEP_1) | instskip(NEXT) | instid1(VALU_DEP_4)
	v_mov_b32_e32 v87, v75
	v_pk_add_f32 v[246:247], v[246:247], v[90:91] neg_lo:[0,1] neg_hi:[0,1]
	s_delay_alu instid0(VALU_DEP_2)
	v_pk_add_f32 v[248:249], v[248:249], v[86:87] neg_lo:[0,1] neg_hi:[0,1]
.LBB123_199:
	s_or_b32 exec_lo, exec_lo, s1
	s_delay_alu instid0(SALU_CYCLE_1)
	s_mov_b32 s2, exec_lo
	s_wait_dscnt 0x0
	s_barrier_signal -1
	s_barrier_wait -1
	v_cmpx_eq_u32_e32 22, v234
	s_cbranch_execz .LBB123_206
; %bb.200:
	ds_store_b64 v235, v[96:97]
	ds_store_2addr_b64 v236, v[92:93], v[114:115] offset0:23 offset1:24
	ds_store_2addr_b64 v236, v[110:111], v[112:113] offset0:25 offset1:26
	;; [unrolled: 1-line block ×19, first 2 shown]
	ds_store_b64 v236, v[248:249] offset:488
	ds_load_b64 v[74:75], v235
	s_wait_dscnt 0x0
	v_cmp_neq_f32_e32 vcc_lo, 0, v74
	v_cmp_neq_f32_e64 s1, 0, v75
	s_or_b32 s1, vcc_lo, s1
	s_delay_alu instid0(SALU_CYCLE_1)
	s_and_b32 exec_lo, exec_lo, s1
	s_cbranch_execz .LBB123_206
; %bb.201:
	v_cmp_ngt_f32_e64 s1, |v74|, |v75|
                                        ; implicit-def: $vgpr84_vgpr85
	s_and_saveexec_b32 s4, s1
	s_delay_alu instid0(SALU_CYCLE_1)
	s_xor_b32 s1, exec_lo, s4
	s_cbranch_execz .LBB123_203
; %bb.202:
	v_div_scale_f32 v0, null, v75, v75, v74
	v_div_scale_f32 v85, vcc_lo, v74, v75, v74
	s_delay_alu instid0(VALU_DEP_2) | instskip(SKIP_1) | instid1(TRANS32_DEP_1)
	v_rcp_f32_e32 v1, v0
	v_nop
	v_fma_f32 v84, -v0, v1, 1.0
	s_delay_alu instid0(VALU_DEP_1) | instskip(NEXT) | instid1(VALU_DEP_1)
	v_fmac_f32_e32 v1, v84, v1
	v_mul_f32_e32 v84, v85, v1
	s_delay_alu instid0(VALU_DEP_1) | instskip(NEXT) | instid1(VALU_DEP_1)
	v_fma_f32 v86, -v0, v84, v85
	v_fmac_f32_e32 v84, v86, v1
	s_delay_alu instid0(VALU_DEP_1) | instskip(NEXT) | instid1(VALU_DEP_1)
	v_fma_f32 v0, -v0, v84, v85
	v_div_fmas_f32 v0, v0, v1, v84
	s_delay_alu instid0(VALU_DEP_1) | instskip(NEXT) | instid1(VALU_DEP_1)
	v_div_fixup_f32 v0, v0, v75, v74
	v_fmac_f32_e32 v75, v74, v0
	s_delay_alu instid0(VALU_DEP_1) | instskip(SKIP_1) | instid1(VALU_DEP_2)
	v_div_scale_f32 v1, null, v75, v75, 1.0
	v_div_scale_f32 v85, vcc_lo, 1.0, v75, 1.0
	v_rcp_f32_e32 v74, v1
	v_nop
	s_delay_alu instid0(TRANS32_DEP_1) | instskip(NEXT) | instid1(VALU_DEP_1)
	v_fma_f32 v84, -v1, v74, 1.0
	v_fmac_f32_e32 v74, v84, v74
	s_delay_alu instid0(VALU_DEP_1) | instskip(NEXT) | instid1(VALU_DEP_1)
	v_mul_f32_e32 v84, v85, v74
	v_fma_f32 v86, -v1, v84, v85
	s_delay_alu instid0(VALU_DEP_1) | instskip(NEXT) | instid1(VALU_DEP_1)
	v_fmac_f32_e32 v84, v86, v74
	v_fma_f32 v1, -v1, v84, v85
	s_delay_alu instid0(VALU_DEP_1) | instskip(NEXT) | instid1(VALU_DEP_1)
	v_div_fmas_f32 v1, v1, v74, v84
	v_div_fixup_f32 v1, v1, v75, 1.0
                                        ; implicit-def: $vgpr74_vgpr75
	s_delay_alu instid0(VALU_DEP_1)
	v_mul_f32_e32 v84, v0, v1
	v_xor_b32_e32 v85, 0x80000000, v1
.LBB123_203:
	s_and_not1_saveexec_b32 s1, s1
	s_cbranch_execz .LBB123_205
; %bb.204:
	v_div_scale_f32 v0, null, v74, v74, v75
	v_div_scale_f32 v85, vcc_lo, v75, v74, v75
	s_delay_alu instid0(VALU_DEP_2) | instskip(SKIP_1) | instid1(TRANS32_DEP_1)
	v_rcp_f32_e32 v1, v0
	v_nop
	v_fma_f32 v84, -v0, v1, 1.0
	s_delay_alu instid0(VALU_DEP_1) | instskip(NEXT) | instid1(VALU_DEP_1)
	v_fmac_f32_e32 v1, v84, v1
	v_mul_f32_e32 v84, v85, v1
	s_delay_alu instid0(VALU_DEP_1) | instskip(NEXT) | instid1(VALU_DEP_1)
	v_fma_f32 v86, -v0, v84, v85
	v_fmac_f32_e32 v84, v86, v1
	s_delay_alu instid0(VALU_DEP_1) | instskip(NEXT) | instid1(VALU_DEP_1)
	v_fma_f32 v0, -v0, v84, v85
	v_div_fmas_f32 v0, v0, v1, v84
	s_delay_alu instid0(VALU_DEP_1) | instskip(NEXT) | instid1(VALU_DEP_1)
	v_div_fixup_f32 v0, v0, v74, v75
	v_fmac_f32_e32 v74, v75, v0
	s_delay_alu instid0(VALU_DEP_1) | instskip(NEXT) | instid1(VALU_DEP_1)
	v_div_scale_f32 v1, null, v74, v74, 1.0
	v_rcp_f32_e32 v75, v1
	v_nop
	s_delay_alu instid0(TRANS32_DEP_1) | instskip(NEXT) | instid1(VALU_DEP_1)
	v_fma_f32 v84, -v1, v75, 1.0
	v_fmac_f32_e32 v75, v84, v75
	v_div_scale_f32 v84, vcc_lo, 1.0, v74, 1.0
	s_delay_alu instid0(VALU_DEP_1) | instskip(NEXT) | instid1(VALU_DEP_1)
	v_mul_f32_e32 v85, v84, v75
	v_fma_f32 v86, -v1, v85, v84
	s_delay_alu instid0(VALU_DEP_1) | instskip(NEXT) | instid1(VALU_DEP_1)
	v_fmac_f32_e32 v85, v86, v75
	v_fma_f32 v1, -v1, v85, v84
	s_delay_alu instid0(VALU_DEP_1) | instskip(NEXT) | instid1(VALU_DEP_1)
	v_div_fmas_f32 v1, v1, v75, v85
	v_div_fixup_f32 v84, v1, v74, 1.0
	s_delay_alu instid0(VALU_DEP_1)
	v_mul_f32_e64 v85, v0, -v84
.LBB123_205:
	s_or_b32 exec_lo, exec_lo, s1
	ds_store_b64 v235, v[84:85]
.LBB123_206:
	s_or_b32 exec_lo, exec_lo, s2
	s_wait_dscnt 0x0
	s_barrier_signal -1
	s_barrier_wait -1
	ds_load_b64 v[74:75], v235
	s_mov_b32 s1, exec_lo
	v_cmpx_lt_u32_e32 22, v234
	s_cbranch_execz .LBB123_208
; %bb.207:
	ds_load_2addr_b64 v[88:91], v236 offset0:23 offset1:24
	s_wait_dscnt 0x1
	v_pk_mul_f32 v[86:87], v[74:75], v[96:97] op_sel:[1,1] op_sel_hi:[0,1]
	s_delay_alu instid0(VALU_DEP_1) | instskip(SKIP_1) | instid1(VALU_DEP_1)
	v_pk_fma_f32 v[84:85], v[74:75], v[96:97], v[86:87] op_sel_hi:[1,0,1] neg_lo:[0,0,1] neg_hi:[0,0,1]
	v_pk_fma_f32 v[86:87], v[74:75], v[96:97], v[86:87] op_sel_hi:[1,0,1]
	v_dual_mov_b32 v96, v84 :: v_dual_mov_b32 v97, v87
	s_wait_dscnt 0x0
	s_delay_alu instid0(VALU_DEP_2) | instskip(NEXT) | instid1(VALU_DEP_1)
	v_pk_mul_f32 v[100:101], v[88:89], v[86:87] op_sel:[0,1]
	v_pk_fma_f32 v[102:103], v[88:89], v[84:85], v[100:101] op_sel:[0,0,1] op_sel_hi:[1,1,0] neg_lo:[0,0,1] neg_hi:[0,0,1]
	v_pk_fma_f32 v[88:89], v[88:89], v[84:85], v[100:101] op_sel:[0,0,1] op_sel_hi:[1,0,0]
	s_delay_alu instid0(VALU_DEP_1) | instskip(SKIP_1) | instid1(VALU_DEP_1)
	v_mov_b32_e32 v103, v89
	v_pk_mul_f32 v[88:89], v[90:91], v[86:87] op_sel:[0,1]
	v_pk_fma_f32 v[100:101], v[90:91], v[84:85], v[88:89] op_sel:[0,0,1] op_sel_hi:[1,1,0] neg_lo:[0,0,1] neg_hi:[0,0,1]
	v_pk_fma_f32 v[88:89], v[90:91], v[84:85], v[88:89] op_sel:[0,0,1] op_sel_hi:[1,0,0]
	s_delay_alu instid0(VALU_DEP_1)
	v_mov_b32_e32 v101, v89
	ds_load_2addr_b64 v[88:91], v236 offset0:25 offset1:26
	v_pk_add_f32 v[92:93], v[92:93], v[102:103] neg_lo:[0,1] neg_hi:[0,1]
	v_pk_add_f32 v[114:115], v[114:115], v[100:101] neg_lo:[0,1] neg_hi:[0,1]
	s_wait_dscnt 0x0
	v_pk_mul_f32 v[100:101], v[88:89], v[86:87] op_sel:[0,1]
	s_delay_alu instid0(VALU_DEP_1) | instskip(SKIP_2) | instid1(VALU_DEP_2)
	v_pk_fma_f32 v[102:103], v[88:89], v[84:85], v[100:101] op_sel:[0,0,1] op_sel_hi:[1,1,0] neg_lo:[0,0,1] neg_hi:[0,0,1]
	v_pk_fma_f32 v[88:89], v[88:89], v[84:85], v[100:101] op_sel:[0,0,1] op_sel_hi:[1,0,0]
	v_dual_mul_f32 v100, v91, v87 :: v_dual_mov_b32 v88, v91
	v_dual_mov_b32 v103, v89 :: v_dual_mov_b32 v89, v90
	s_delay_alu instid0(VALU_DEP_2) | instskip(SKIP_1) | instid1(VALU_DEP_3)
	v_pk_fma_f32 v[100:101], v[90:91], v[96:97], v[100:101] op_sel_hi:[1,1,0] neg_lo:[0,0,1] neg_hi:[0,0,1]
	v_mul_f32_e32 v90, v91, v84
	v_pk_add_f32 v[110:111], v[110:111], v[102:103] neg_lo:[0,1] neg_hi:[0,1]
	s_delay_alu instid0(VALU_DEP_2) | instskip(NEXT) | instid1(VALU_DEP_1)
	v_pk_fma_f32 v[88:89], v[88:89], v[96:97], v[90:91] op_sel_hi:[1,1,0]
	v_mov_b32_e32 v101, v89
	ds_load_2addr_b64 v[88:91], v236 offset0:27 offset1:28
	v_pk_add_f32 v[112:113], v[112:113], v[100:101] neg_lo:[0,1] neg_hi:[0,1]
	s_wait_dscnt 0x0
	v_pk_mul_f32 v[100:101], v[88:89], v[86:87] op_sel:[0,1]
	s_delay_alu instid0(VALU_DEP_1) | instskip(SKIP_1) | instid1(VALU_DEP_1)
	v_pk_fma_f32 v[102:103], v[88:89], v[84:85], v[100:101] op_sel:[0,0,1] op_sel_hi:[1,1,0] neg_lo:[0,0,1] neg_hi:[0,0,1]
	v_pk_fma_f32 v[88:89], v[88:89], v[84:85], v[100:101] op_sel:[0,0,1] op_sel_hi:[1,0,0]
	v_mov_b32_e32 v103, v89
	v_pk_mul_f32 v[88:89], v[90:91], v[86:87] op_sel:[0,1]
	s_delay_alu instid0(VALU_DEP_1) | instskip(SKIP_1) | instid1(VALU_DEP_1)
	v_pk_fma_f32 v[100:101], v[90:91], v[84:85], v[88:89] op_sel:[0,0,1] op_sel_hi:[1,1,0] neg_lo:[0,0,1] neg_hi:[0,0,1]
	v_pk_fma_f32 v[88:89], v[90:91], v[84:85], v[88:89] op_sel:[0,0,1] op_sel_hi:[1,0,0]
	v_mov_b32_e32 v101, v89
	ds_load_2addr_b64 v[88:91], v236 offset0:29 offset1:30
	v_pk_add_f32 v[108:109], v[108:109], v[102:103] neg_lo:[0,1] neg_hi:[0,1]
	v_pk_add_f32 v[130:131], v[130:131], v[100:101] neg_lo:[0,1] neg_hi:[0,1]
	s_wait_dscnt 0x0
	v_pk_mul_f32 v[100:101], v[88:89], v[86:87] op_sel:[0,1]
	s_delay_alu instid0(VALU_DEP_1) | instskip(SKIP_1) | instid1(VALU_DEP_1)
	v_pk_fma_f32 v[102:103], v[88:89], v[84:85], v[100:101] op_sel:[0,0,1] op_sel_hi:[1,1,0] neg_lo:[0,0,1] neg_hi:[0,0,1]
	v_pk_fma_f32 v[88:89], v[88:89], v[84:85], v[100:101] op_sel:[0,0,1] op_sel_hi:[1,0,0]
	v_mov_b32_e32 v103, v89
	v_pk_mul_f32 v[88:89], v[90:91], v[86:87] op_sel:[0,1]
	s_delay_alu instid0(VALU_DEP_1) | instskip(SKIP_1) | instid1(VALU_DEP_1)
	v_pk_fma_f32 v[100:101], v[90:91], v[84:85], v[88:89] op_sel:[0,0,1] op_sel_hi:[1,1,0] neg_lo:[0,0,1] neg_hi:[0,0,1]
	v_pk_fma_f32 v[88:89], v[90:91], v[84:85], v[88:89] op_sel:[0,0,1] op_sel_hi:[1,0,0]
	v_mov_b32_e32 v101, v89
	ds_load_2addr_b64 v[88:91], v236 offset0:31 offset1:32
	v_pk_add_f32 v[126:127], v[126:127], v[102:103] neg_lo:[0,1] neg_hi:[0,1]
	v_pk_add_f32 v[128:129], v[128:129], v[100:101] neg_lo:[0,1] neg_hi:[0,1]
	s_wait_dscnt 0x0
	v_dual_mul_f32 v100, v89, v87 :: v_dual_mul_f32 v102, v89, v84
	s_delay_alu instid0(VALU_DEP_1) | instskip(NEXT) | instid1(VALU_DEP_2)
	v_pk_fma_f32 v[100:101], v[88:89], v[96:97], v[100:101] op_sel_hi:[1,1,0] neg_lo:[0,0,1] neg_hi:[0,0,1]
	v_pk_fma_f32 v[88:89], v[88:89], v[96:97], v[102:103] op_sel:[1,0,0] op_sel_hi:[0,1,0]
	s_delay_alu instid0(VALU_DEP_1) | instskip(SKIP_1) | instid1(VALU_DEP_2)
	v_mov_b32_e32 v101, v89
	v_pk_mul_f32 v[88:89], v[90:91], v[86:87] op_sel:[0,1]
	v_pk_add_f32 v[124:125], v[124:125], v[100:101] neg_lo:[0,1] neg_hi:[0,1]
	s_delay_alu instid0(VALU_DEP_2) | instskip(SKIP_1) | instid1(VALU_DEP_1)
	v_pk_fma_f32 v[100:101], v[90:91], v[84:85], v[88:89] op_sel:[0,0,1] op_sel_hi:[1,1,0] neg_lo:[0,0,1] neg_hi:[0,0,1]
	v_pk_fma_f32 v[88:89], v[90:91], v[84:85], v[88:89] op_sel:[0,0,1] op_sel_hi:[1,0,0]
	v_mov_b32_e32 v101, v89
	ds_load_2addr_b64 v[88:91], v236 offset0:33 offset1:34
	v_pk_add_f32 v[146:147], v[146:147], v[100:101] neg_lo:[0,1] neg_hi:[0,1]
	s_wait_dscnt 0x0
	v_pk_mul_f32 v[100:101], v[88:89], v[86:87] op_sel:[0,1]
	s_delay_alu instid0(VALU_DEP_1) | instskip(SKIP_1) | instid1(VALU_DEP_1)
	v_pk_fma_f32 v[102:103], v[88:89], v[84:85], v[100:101] op_sel:[0,0,1] op_sel_hi:[1,1,0] neg_lo:[0,0,1] neg_hi:[0,0,1]
	v_pk_fma_f32 v[88:89], v[88:89], v[84:85], v[100:101] op_sel:[0,0,1] op_sel_hi:[1,0,0]
	v_mov_b32_e32 v103, v89
	v_pk_mul_f32 v[88:89], v[90:91], v[86:87] op_sel:[0,1]
	s_delay_alu instid0(VALU_DEP_2) | instskip(NEXT) | instid1(VALU_DEP_2)
	v_pk_add_f32 v[142:143], v[142:143], v[102:103] neg_lo:[0,1] neg_hi:[0,1]
	v_pk_fma_f32 v[100:101], v[90:91], v[84:85], v[88:89] op_sel:[0,0,1] op_sel_hi:[1,1,0] neg_lo:[0,0,1] neg_hi:[0,0,1]
	v_pk_fma_f32 v[88:89], v[90:91], v[84:85], v[88:89] op_sel:[0,0,1] op_sel_hi:[1,0,0]
	s_delay_alu instid0(VALU_DEP_1) | instskip(SKIP_4) | instid1(VALU_DEP_1)
	v_mov_b32_e32 v101, v89
	ds_load_2addr_b64 v[88:91], v236 offset0:35 offset1:36
	v_pk_add_f32 v[144:145], v[144:145], v[100:101] neg_lo:[0,1] neg_hi:[0,1]
	s_wait_dscnt 0x0
	v_pk_mul_f32 v[100:101], v[88:89], v[86:87] op_sel:[0,1]
	v_pk_fma_f32 v[102:103], v[88:89], v[84:85], v[100:101] op_sel:[0,0,1] op_sel_hi:[1,1,0] neg_lo:[0,0,1] neg_hi:[0,0,1]
	v_pk_fma_f32 v[88:89], v[88:89], v[84:85], v[100:101] op_sel:[0,0,1] op_sel_hi:[1,0,0]
	v_dual_mul_f32 v100, v91, v87 :: v_dual_mov_b32 v88, v91
	s_delay_alu instid0(VALU_DEP_2) | instskip(NEXT) | instid1(VALU_DEP_2)
	v_dual_mov_b32 v103, v89 :: v_dual_mov_b32 v89, v90
	v_pk_fma_f32 v[100:101], v[90:91], v[96:97], v[100:101] op_sel_hi:[1,1,0] neg_lo:[0,0,1] neg_hi:[0,0,1]
	v_mul_f32_e32 v90, v91, v84
	s_delay_alu instid0(VALU_DEP_3) | instskip(NEXT) | instid1(VALU_DEP_2)
	v_pk_add_f32 v[140:141], v[140:141], v[102:103] neg_lo:[0,1] neg_hi:[0,1]
	v_pk_fma_f32 v[88:89], v[88:89], v[96:97], v[90:91] op_sel_hi:[1,1,0]
	s_delay_alu instid0(VALU_DEP_1) | instskip(SKIP_4) | instid1(VALU_DEP_1)
	v_mov_b32_e32 v101, v89
	ds_load_2addr_b64 v[88:91], v236 offset0:37 offset1:38
	v_pk_add_f32 v[162:163], v[162:163], v[100:101] neg_lo:[0,1] neg_hi:[0,1]
	s_wait_dscnt 0x0
	v_pk_mul_f32 v[100:101], v[88:89], v[86:87] op_sel:[0,1]
	v_pk_fma_f32 v[102:103], v[88:89], v[84:85], v[100:101] op_sel:[0,0,1] op_sel_hi:[1,1,0] neg_lo:[0,0,1] neg_hi:[0,0,1]
	v_pk_fma_f32 v[88:89], v[88:89], v[84:85], v[100:101] op_sel:[0,0,1] op_sel_hi:[1,0,0]
	s_delay_alu instid0(VALU_DEP_1) | instskip(SKIP_1) | instid1(VALU_DEP_1)
	v_mov_b32_e32 v103, v89
	v_pk_mul_f32 v[88:89], v[90:91], v[86:87] op_sel:[0,1]
	v_pk_fma_f32 v[100:101], v[90:91], v[84:85], v[88:89] op_sel:[0,0,1] op_sel_hi:[1,1,0] neg_lo:[0,0,1] neg_hi:[0,0,1]
	v_pk_fma_f32 v[88:89], v[90:91], v[84:85], v[88:89] op_sel:[0,0,1] op_sel_hi:[1,0,0]
	s_delay_alu instid0(VALU_DEP_1)
	v_mov_b32_e32 v101, v89
	ds_load_2addr_b64 v[88:91], v236 offset0:39 offset1:40
	v_pk_add_f32 v[158:159], v[158:159], v[102:103] neg_lo:[0,1] neg_hi:[0,1]
	v_pk_add_f32 v[160:161], v[160:161], v[100:101] neg_lo:[0,1] neg_hi:[0,1]
	s_wait_dscnt 0x0
	v_pk_mul_f32 v[100:101], v[88:89], v[86:87] op_sel:[0,1]
	s_delay_alu instid0(VALU_DEP_1) | instskip(SKIP_1) | instid1(VALU_DEP_1)
	v_pk_fma_f32 v[102:103], v[88:89], v[84:85], v[100:101] op_sel:[0,0,1] op_sel_hi:[1,1,0] neg_lo:[0,0,1] neg_hi:[0,0,1]
	v_pk_fma_f32 v[88:89], v[88:89], v[84:85], v[100:101] op_sel:[0,0,1] op_sel_hi:[1,0,0]
	v_mov_b32_e32 v103, v89
	v_pk_mul_f32 v[88:89], v[90:91], v[86:87] op_sel:[0,1]
	s_delay_alu instid0(VALU_DEP_1) | instskip(SKIP_1) | instid1(VALU_DEP_1)
	v_pk_fma_f32 v[100:101], v[90:91], v[84:85], v[88:89] op_sel:[0,0,1] op_sel_hi:[1,1,0] neg_lo:[0,0,1] neg_hi:[0,0,1]
	v_pk_fma_f32 v[88:89], v[90:91], v[84:85], v[88:89] op_sel:[0,0,1] op_sel_hi:[1,0,0]
	v_mov_b32_e32 v101, v89
	ds_load_2addr_b64 v[88:91], v236 offset0:41 offset1:42
	v_pk_add_f32 v[156:157], v[156:157], v[102:103] neg_lo:[0,1] neg_hi:[0,1]
	v_pk_add_f32 v[178:179], v[178:179], v[100:101] neg_lo:[0,1] neg_hi:[0,1]
	s_wait_dscnt 0x0
	v_dual_mul_f32 v100, v89, v87 :: v_dual_mul_f32 v102, v89, v84
	s_delay_alu instid0(VALU_DEP_1) | instskip(NEXT) | instid1(VALU_DEP_2)
	v_pk_fma_f32 v[100:101], v[88:89], v[96:97], v[100:101] op_sel_hi:[1,1,0] neg_lo:[0,0,1] neg_hi:[0,0,1]
	v_pk_fma_f32 v[88:89], v[88:89], v[96:97], v[102:103] op_sel:[1,0,0] op_sel_hi:[0,1,0]
	s_delay_alu instid0(VALU_DEP_1) | instskip(SKIP_1) | instid1(VALU_DEP_2)
	v_mov_b32_e32 v101, v89
	v_pk_mul_f32 v[88:89], v[90:91], v[86:87] op_sel:[0,1]
	v_pk_add_f32 v[174:175], v[174:175], v[100:101] neg_lo:[0,1] neg_hi:[0,1]
	s_delay_alu instid0(VALU_DEP_2) | instskip(SKIP_1) | instid1(VALU_DEP_1)
	v_pk_fma_f32 v[100:101], v[90:91], v[84:85], v[88:89] op_sel:[0,0,1] op_sel_hi:[1,1,0] neg_lo:[0,0,1] neg_hi:[0,0,1]
	v_pk_fma_f32 v[88:89], v[90:91], v[84:85], v[88:89] op_sel:[0,0,1] op_sel_hi:[1,0,0]
	v_mov_b32_e32 v101, v89
	ds_load_2addr_b64 v[88:91], v236 offset0:43 offset1:44
	v_pk_add_f32 v[176:177], v[176:177], v[100:101] neg_lo:[0,1] neg_hi:[0,1]
	s_wait_dscnt 0x0
	v_pk_mul_f32 v[100:101], v[88:89], v[86:87] op_sel:[0,1]
	s_delay_alu instid0(VALU_DEP_1) | instskip(SKIP_1) | instid1(VALU_DEP_1)
	v_pk_fma_f32 v[102:103], v[88:89], v[84:85], v[100:101] op_sel:[0,0,1] op_sel_hi:[1,1,0] neg_lo:[0,0,1] neg_hi:[0,0,1]
	v_pk_fma_f32 v[88:89], v[88:89], v[84:85], v[100:101] op_sel:[0,0,1] op_sel_hi:[1,0,0]
	v_mov_b32_e32 v103, v89
	v_pk_mul_f32 v[88:89], v[90:91], v[86:87] op_sel:[0,1]
	s_delay_alu instid0(VALU_DEP_2) | instskip(NEXT) | instid1(VALU_DEP_2)
	v_pk_add_f32 v[172:173], v[172:173], v[102:103] neg_lo:[0,1] neg_hi:[0,1]
	v_pk_fma_f32 v[100:101], v[90:91], v[84:85], v[88:89] op_sel:[0,0,1] op_sel_hi:[1,1,0] neg_lo:[0,0,1] neg_hi:[0,0,1]
	v_pk_fma_f32 v[88:89], v[90:91], v[84:85], v[88:89] op_sel:[0,0,1] op_sel_hi:[1,0,0]
	s_delay_alu instid0(VALU_DEP_1) | instskip(SKIP_4) | instid1(VALU_DEP_1)
	v_mov_b32_e32 v101, v89
	ds_load_2addr_b64 v[88:91], v236 offset0:45 offset1:46
	v_pk_add_f32 v[194:195], v[194:195], v[100:101] neg_lo:[0,1] neg_hi:[0,1]
	s_wait_dscnt 0x0
	v_pk_mul_f32 v[100:101], v[88:89], v[86:87] op_sel:[0,1]
	v_pk_fma_f32 v[102:103], v[88:89], v[84:85], v[100:101] op_sel:[0,0,1] op_sel_hi:[1,1,0] neg_lo:[0,0,1] neg_hi:[0,0,1]
	v_pk_fma_f32 v[88:89], v[88:89], v[84:85], v[100:101] op_sel:[0,0,1] op_sel_hi:[1,0,0]
	v_dual_mul_f32 v100, v91, v87 :: v_dual_mov_b32 v88, v91
	s_delay_alu instid0(VALU_DEP_2) | instskip(NEXT) | instid1(VALU_DEP_2)
	v_dual_mov_b32 v103, v89 :: v_dual_mov_b32 v89, v90
	v_pk_fma_f32 v[100:101], v[90:91], v[96:97], v[100:101] op_sel_hi:[1,1,0] neg_lo:[0,0,1] neg_hi:[0,0,1]
	v_mul_f32_e32 v90, v91, v84
	s_delay_alu instid0(VALU_DEP_3) | instskip(NEXT) | instid1(VALU_DEP_2)
	v_pk_add_f32 v[190:191], v[190:191], v[102:103] neg_lo:[0,1] neg_hi:[0,1]
	v_pk_fma_f32 v[88:89], v[88:89], v[96:97], v[90:91] op_sel_hi:[1,1,0]
	s_delay_alu instid0(VALU_DEP_1) | instskip(SKIP_4) | instid1(VALU_DEP_1)
	v_mov_b32_e32 v101, v89
	ds_load_2addr_b64 v[88:91], v236 offset0:47 offset1:48
	v_pk_add_f32 v[192:193], v[192:193], v[100:101] neg_lo:[0,1] neg_hi:[0,1]
	s_wait_dscnt 0x0
	v_pk_mul_f32 v[100:101], v[88:89], v[86:87] op_sel:[0,1]
	v_pk_fma_f32 v[102:103], v[88:89], v[84:85], v[100:101] op_sel:[0,0,1] op_sel_hi:[1,1,0] neg_lo:[0,0,1] neg_hi:[0,0,1]
	v_pk_fma_f32 v[88:89], v[88:89], v[84:85], v[100:101] op_sel:[0,0,1] op_sel_hi:[1,0,0]
	s_delay_alu instid0(VALU_DEP_1) | instskip(SKIP_1) | instid1(VALU_DEP_1)
	v_mov_b32_e32 v103, v89
	v_pk_mul_f32 v[88:89], v[90:91], v[86:87] op_sel:[0,1]
	v_pk_fma_f32 v[100:101], v[90:91], v[84:85], v[88:89] op_sel:[0,0,1] op_sel_hi:[1,1,0] neg_lo:[0,0,1] neg_hi:[0,0,1]
	v_pk_fma_f32 v[88:89], v[90:91], v[84:85], v[88:89] op_sel:[0,0,1] op_sel_hi:[1,0,0]
	s_delay_alu instid0(VALU_DEP_1)
	v_mov_b32_e32 v101, v89
	ds_load_2addr_b64 v[88:91], v236 offset0:49 offset1:50
	v_pk_add_f32 v[188:189], v[188:189], v[102:103] neg_lo:[0,1] neg_hi:[0,1]
	v_pk_add_f32 v[210:211], v[210:211], v[100:101] neg_lo:[0,1] neg_hi:[0,1]
	s_wait_dscnt 0x0
	v_pk_mul_f32 v[100:101], v[88:89], v[86:87] op_sel:[0,1]
	s_delay_alu instid0(VALU_DEP_1) | instskip(SKIP_1) | instid1(VALU_DEP_1)
	v_pk_fma_f32 v[102:103], v[88:89], v[84:85], v[100:101] op_sel:[0,0,1] op_sel_hi:[1,1,0] neg_lo:[0,0,1] neg_hi:[0,0,1]
	v_pk_fma_f32 v[88:89], v[88:89], v[84:85], v[100:101] op_sel:[0,0,1] op_sel_hi:[1,0,0]
	v_mov_b32_e32 v103, v89
	v_pk_mul_f32 v[88:89], v[90:91], v[86:87] op_sel:[0,1]
	s_delay_alu instid0(VALU_DEP_1) | instskip(SKIP_1) | instid1(VALU_DEP_1)
	v_pk_fma_f32 v[100:101], v[90:91], v[84:85], v[88:89] op_sel:[0,0,1] op_sel_hi:[1,1,0] neg_lo:[0,0,1] neg_hi:[0,0,1]
	v_pk_fma_f32 v[88:89], v[90:91], v[84:85], v[88:89] op_sel:[0,0,1] op_sel_hi:[1,0,0]
	v_mov_b32_e32 v101, v89
	ds_load_2addr_b64 v[88:91], v236 offset0:51 offset1:52
	v_pk_add_f32 v[206:207], v[206:207], v[102:103] neg_lo:[0,1] neg_hi:[0,1]
	v_pk_add_f32 v[208:209], v[208:209], v[100:101] neg_lo:[0,1] neg_hi:[0,1]
	s_wait_dscnt 0x0
	v_dual_mul_f32 v100, v89, v87 :: v_dual_mul_f32 v102, v89, v84
	s_delay_alu instid0(VALU_DEP_1) | instskip(NEXT) | instid1(VALU_DEP_2)
	v_pk_fma_f32 v[100:101], v[88:89], v[96:97], v[100:101] op_sel_hi:[1,1,0] neg_lo:[0,0,1] neg_hi:[0,0,1]
	v_pk_fma_f32 v[88:89], v[88:89], v[96:97], v[102:103] op_sel:[1,0,0] op_sel_hi:[0,1,0]
	s_delay_alu instid0(VALU_DEP_1) | instskip(SKIP_1) | instid1(VALU_DEP_2)
	v_mov_b32_e32 v101, v89
	v_pk_mul_f32 v[88:89], v[90:91], v[86:87] op_sel:[0,1]
	v_pk_add_f32 v[204:205], v[204:205], v[100:101] neg_lo:[0,1] neg_hi:[0,1]
	s_delay_alu instid0(VALU_DEP_2) | instskip(SKIP_1) | instid1(VALU_DEP_1)
	v_pk_fma_f32 v[100:101], v[90:91], v[84:85], v[88:89] op_sel:[0,0,1] op_sel_hi:[1,1,0] neg_lo:[0,0,1] neg_hi:[0,0,1]
	v_pk_fma_f32 v[88:89], v[90:91], v[84:85], v[88:89] op_sel:[0,0,1] op_sel_hi:[1,0,0]
	v_mov_b32_e32 v101, v89
	ds_load_2addr_b64 v[88:91], v236 offset0:53 offset1:54
	v_pk_add_f32 v[228:229], v[228:229], v[100:101] neg_lo:[0,1] neg_hi:[0,1]
	s_wait_dscnt 0x0
	v_pk_mul_f32 v[100:101], v[88:89], v[86:87] op_sel:[0,1]
	s_delay_alu instid0(VALU_DEP_1) | instskip(SKIP_1) | instid1(VALU_DEP_1)
	v_pk_fma_f32 v[102:103], v[88:89], v[84:85], v[100:101] op_sel:[0,0,1] op_sel_hi:[1,1,0] neg_lo:[0,0,1] neg_hi:[0,0,1]
	v_pk_fma_f32 v[88:89], v[88:89], v[84:85], v[100:101] op_sel:[0,0,1] op_sel_hi:[1,0,0]
	v_mov_b32_e32 v103, v89
	v_pk_mul_f32 v[88:89], v[90:91], v[86:87] op_sel:[0,1]
	s_delay_alu instid0(VALU_DEP_2) | instskip(NEXT) | instid1(VALU_DEP_2)
	v_pk_add_f32 v[224:225], v[224:225], v[102:103] neg_lo:[0,1] neg_hi:[0,1]
	v_pk_fma_f32 v[100:101], v[90:91], v[84:85], v[88:89] op_sel:[0,0,1] op_sel_hi:[1,1,0] neg_lo:[0,0,1] neg_hi:[0,0,1]
	v_pk_fma_f32 v[88:89], v[90:91], v[84:85], v[88:89] op_sel:[0,0,1] op_sel_hi:[1,0,0]
	s_delay_alu instid0(VALU_DEP_1) | instskip(SKIP_4) | instid1(VALU_DEP_1)
	v_mov_b32_e32 v101, v89
	ds_load_2addr_b64 v[88:91], v236 offset0:55 offset1:56
	v_pk_add_f32 v[226:227], v[226:227], v[100:101] neg_lo:[0,1] neg_hi:[0,1]
	s_wait_dscnt 0x0
	v_pk_mul_f32 v[100:101], v[88:89], v[86:87] op_sel:[0,1]
	v_pk_fma_f32 v[102:103], v[88:89], v[84:85], v[100:101] op_sel:[0,0,1] op_sel_hi:[1,1,0] neg_lo:[0,0,1] neg_hi:[0,0,1]
	v_pk_fma_f32 v[88:89], v[88:89], v[84:85], v[100:101] op_sel:[0,0,1] op_sel_hi:[1,0,0]
	v_dual_mul_f32 v100, v91, v87 :: v_dual_mov_b32 v88, v91
	s_delay_alu instid0(VALU_DEP_2) | instskip(NEXT) | instid1(VALU_DEP_2)
	v_dual_mov_b32 v103, v89 :: v_dual_mov_b32 v89, v90
	v_pk_fma_f32 v[100:101], v[90:91], v[96:97], v[100:101] op_sel_hi:[1,1,0] neg_lo:[0,0,1] neg_hi:[0,0,1]
	v_mul_f32_e32 v90, v91, v84
	s_delay_alu instid0(VALU_DEP_3) | instskip(NEXT) | instid1(VALU_DEP_2)
	v_pk_add_f32 v[222:223], v[222:223], v[102:103] neg_lo:[0,1] neg_hi:[0,1]
	v_pk_fma_f32 v[88:89], v[88:89], v[96:97], v[90:91] op_sel_hi:[1,1,0]
	s_delay_alu instid0(VALU_DEP_1) | instskip(SKIP_4) | instid1(VALU_DEP_1)
	v_mov_b32_e32 v101, v89
	ds_load_2addr_b64 v[88:91], v236 offset0:57 offset1:58
	v_pk_add_f32 v[244:245], v[244:245], v[100:101] neg_lo:[0,1] neg_hi:[0,1]
	s_wait_dscnt 0x0
	v_pk_mul_f32 v[100:101], v[88:89], v[86:87] op_sel:[0,1]
	v_pk_fma_f32 v[102:103], v[88:89], v[84:85], v[100:101] op_sel:[0,0,1] op_sel_hi:[1,1,0] neg_lo:[0,0,1] neg_hi:[0,0,1]
	v_pk_fma_f32 v[88:89], v[88:89], v[84:85], v[100:101] op_sel:[0,0,1] op_sel_hi:[1,0,0]
	s_delay_alu instid0(VALU_DEP_1) | instskip(SKIP_1) | instid1(VALU_DEP_1)
	v_mov_b32_e32 v103, v89
	v_pk_mul_f32 v[88:89], v[90:91], v[86:87] op_sel:[0,1]
	v_pk_fma_f32 v[100:101], v[90:91], v[84:85], v[88:89] op_sel:[0,0,1] op_sel_hi:[1,1,0] neg_lo:[0,0,1] neg_hi:[0,0,1]
	v_pk_fma_f32 v[88:89], v[90:91], v[84:85], v[88:89] op_sel:[0,0,1] op_sel_hi:[1,0,0]
	s_delay_alu instid0(VALU_DEP_1)
	v_mov_b32_e32 v101, v89
	ds_load_2addr_b64 v[88:91], v236 offset0:59 offset1:60
	v_pk_add_f32 v[240:241], v[240:241], v[102:103] neg_lo:[0,1] neg_hi:[0,1]
	v_pk_add_f32 v[242:243], v[242:243], v[100:101] neg_lo:[0,1] neg_hi:[0,1]
	s_wait_dscnt 0x0
	v_pk_mul_f32 v[100:101], v[88:89], v[86:87] op_sel:[0,1]
	s_delay_alu instid0(VALU_DEP_1) | instskip(SKIP_1) | instid1(VALU_DEP_1)
	v_pk_fma_f32 v[102:103], v[88:89], v[84:85], v[100:101] op_sel:[0,0,1] op_sel_hi:[1,1,0] neg_lo:[0,0,1] neg_hi:[0,0,1]
	v_pk_fma_f32 v[88:89], v[88:89], v[84:85], v[100:101] op_sel:[0,0,1] op_sel_hi:[1,0,0]
	v_mov_b32_e32 v103, v89
	v_pk_mul_f32 v[88:89], v[90:91], v[86:87] op_sel:[0,1]
	s_delay_alu instid0(VALU_DEP_1) | instskip(SKIP_1) | instid1(VALU_DEP_1)
	v_pk_fma_f32 v[100:101], v[90:91], v[84:85], v[88:89] op_sel:[0,0,1] op_sel_hi:[1,1,0] neg_lo:[0,0,1] neg_hi:[0,0,1]
	v_pk_fma_f32 v[88:89], v[90:91], v[84:85], v[88:89] op_sel:[0,0,1] op_sel_hi:[1,0,0]
	v_mov_b32_e32 v101, v89
	ds_load_b64 v[88:89], v236 offset:488
	v_pk_add_f32 v[238:239], v[238:239], v[102:103] neg_lo:[0,1] neg_hi:[0,1]
	v_pk_add_f32 v[246:247], v[246:247], v[100:101] neg_lo:[0,1] neg_hi:[0,1]
	s_wait_dscnt 0x0
	v_pk_mul_f32 v[86:87], v[88:89], v[86:87] op_sel:[0,1]
	s_delay_alu instid0(VALU_DEP_1) | instskip(SKIP_1) | instid1(VALU_DEP_1)
	v_pk_fma_f32 v[90:91], v[88:89], v[84:85], v[86:87] op_sel:[0,0,1] op_sel_hi:[1,1,0] neg_lo:[0,0,1] neg_hi:[0,0,1]
	v_pk_fma_f32 v[84:85], v[88:89], v[84:85], v[86:87] op_sel:[0,0,1] op_sel_hi:[1,0,0]
	v_mov_b32_e32 v91, v85
	s_delay_alu instid0(VALU_DEP_1)
	v_pk_add_f32 v[248:249], v[248:249], v[90:91] neg_lo:[0,1] neg_hi:[0,1]
.LBB123_208:
	s_or_b32 exec_lo, exec_lo, s1
	s_delay_alu instid0(SALU_CYCLE_1)
	s_mov_b32 s2, exec_lo
	s_wait_dscnt 0x0
	s_barrier_signal -1
	s_barrier_wait -1
	v_cmpx_eq_u32_e32 23, v234
	s_cbranch_execz .LBB123_215
; %bb.209:
	v_dual_mov_b32 v84, v114 :: v_dual_mov_b32 v85, v115
	v_dual_mov_b32 v86, v110 :: v_dual_mov_b32 v87, v111
	ds_store_b64 v235, v[92:93]
	ds_store_2addr_b64 v236, v[84:85], v[86:87] offset0:24 offset1:25
	v_dual_mov_b32 v84, v112 :: v_dual_mov_b32 v85, v113
	v_dual_mov_b32 v86, v108 :: v_dual_mov_b32 v87, v109
	ds_store_2addr_b64 v236, v[84:85], v[86:87] offset0:26 offset1:27
	v_dual_mov_b32 v84, v130 :: v_dual_mov_b32 v85, v131
	v_dual_mov_b32 v86, v126 :: v_dual_mov_b32 v87, v127
	;; [unrolled: 3-line block ×17, first 2 shown]
	ds_store_2addr_b64 v236, v[84:85], v[86:87] offset0:58 offset1:59
	v_dual_mov_b32 v84, v246 :: v_dual_mov_b32 v85, v247
	ds_store_2addr_b64 v236, v[84:85], v[248:249] offset0:60 offset1:61
	ds_load_b64 v[84:85], v235
	s_wait_dscnt 0x0
	v_cmp_neq_f32_e32 vcc_lo, 0, v84
	v_cmp_neq_f32_e64 s1, 0, v85
	s_or_b32 s1, vcc_lo, s1
	s_delay_alu instid0(SALU_CYCLE_1)
	s_and_b32 exec_lo, exec_lo, s1
	s_cbranch_execz .LBB123_215
; %bb.210:
	v_cmp_ngt_f32_e64 s1, |v84|, |v85|
                                        ; implicit-def: $vgpr86_vgpr87
	s_and_saveexec_b32 s4, s1
	s_delay_alu instid0(SALU_CYCLE_1)
	s_xor_b32 s1, exec_lo, s4
	s_cbranch_execz .LBB123_212
; %bb.211:
	v_div_scale_f32 v0, null, v85, v85, v84
	v_div_scale_f32 v87, vcc_lo, v84, v85, v84
	s_delay_alu instid0(VALU_DEP_2) | instskip(SKIP_1) | instid1(TRANS32_DEP_1)
	v_rcp_f32_e32 v1, v0
	v_nop
	v_fma_f32 v86, -v0, v1, 1.0
	s_delay_alu instid0(VALU_DEP_1) | instskip(NEXT) | instid1(VALU_DEP_1)
	v_fmac_f32_e32 v1, v86, v1
	v_mul_f32_e32 v86, v87, v1
	s_delay_alu instid0(VALU_DEP_1) | instskip(NEXT) | instid1(VALU_DEP_1)
	v_fma_f32 v88, -v0, v86, v87
	v_fmac_f32_e32 v86, v88, v1
	s_delay_alu instid0(VALU_DEP_1) | instskip(NEXT) | instid1(VALU_DEP_1)
	v_fma_f32 v0, -v0, v86, v87
	v_div_fmas_f32 v0, v0, v1, v86
	s_delay_alu instid0(VALU_DEP_1) | instskip(NEXT) | instid1(VALU_DEP_1)
	v_div_fixup_f32 v0, v0, v85, v84
	v_fmac_f32_e32 v85, v84, v0
	s_delay_alu instid0(VALU_DEP_1) | instskip(SKIP_1) | instid1(VALU_DEP_2)
	v_div_scale_f32 v1, null, v85, v85, 1.0
	v_div_scale_f32 v87, vcc_lo, 1.0, v85, 1.0
	v_rcp_f32_e32 v84, v1
	v_nop
	s_delay_alu instid0(TRANS32_DEP_1) | instskip(NEXT) | instid1(VALU_DEP_1)
	v_fma_f32 v86, -v1, v84, 1.0
	v_fmac_f32_e32 v84, v86, v84
	s_delay_alu instid0(VALU_DEP_1) | instskip(NEXT) | instid1(VALU_DEP_1)
	v_mul_f32_e32 v86, v87, v84
	v_fma_f32 v88, -v1, v86, v87
	s_delay_alu instid0(VALU_DEP_1) | instskip(NEXT) | instid1(VALU_DEP_1)
	v_fmac_f32_e32 v86, v88, v84
	v_fma_f32 v1, -v1, v86, v87
	s_delay_alu instid0(VALU_DEP_1) | instskip(NEXT) | instid1(VALU_DEP_1)
	v_div_fmas_f32 v1, v1, v84, v86
	v_div_fixup_f32 v1, v1, v85, 1.0
                                        ; implicit-def: $vgpr84_vgpr85
	s_delay_alu instid0(VALU_DEP_1)
	v_mul_f32_e32 v86, v0, v1
	v_xor_b32_e32 v87, 0x80000000, v1
.LBB123_212:
	s_and_not1_saveexec_b32 s1, s1
	s_cbranch_execz .LBB123_214
; %bb.213:
	v_div_scale_f32 v0, null, v84, v84, v85
	v_div_scale_f32 v87, vcc_lo, v85, v84, v85
	s_delay_alu instid0(VALU_DEP_2) | instskip(SKIP_1) | instid1(TRANS32_DEP_1)
	v_rcp_f32_e32 v1, v0
	v_nop
	v_fma_f32 v86, -v0, v1, 1.0
	s_delay_alu instid0(VALU_DEP_1) | instskip(NEXT) | instid1(VALU_DEP_1)
	v_fmac_f32_e32 v1, v86, v1
	v_mul_f32_e32 v86, v87, v1
	s_delay_alu instid0(VALU_DEP_1) | instskip(NEXT) | instid1(VALU_DEP_1)
	v_fma_f32 v88, -v0, v86, v87
	v_fmac_f32_e32 v86, v88, v1
	s_delay_alu instid0(VALU_DEP_1) | instskip(NEXT) | instid1(VALU_DEP_1)
	v_fma_f32 v0, -v0, v86, v87
	v_div_fmas_f32 v0, v0, v1, v86
	s_delay_alu instid0(VALU_DEP_1) | instskip(NEXT) | instid1(VALU_DEP_1)
	v_div_fixup_f32 v0, v0, v84, v85
	v_fmac_f32_e32 v84, v85, v0
	s_delay_alu instid0(VALU_DEP_1) | instskip(NEXT) | instid1(VALU_DEP_1)
	v_div_scale_f32 v1, null, v84, v84, 1.0
	v_rcp_f32_e32 v85, v1
	v_nop
	s_delay_alu instid0(TRANS32_DEP_1) | instskip(NEXT) | instid1(VALU_DEP_1)
	v_fma_f32 v86, -v1, v85, 1.0
	v_fmac_f32_e32 v85, v86, v85
	v_div_scale_f32 v86, vcc_lo, 1.0, v84, 1.0
	s_delay_alu instid0(VALU_DEP_1) | instskip(NEXT) | instid1(VALU_DEP_1)
	v_mul_f32_e32 v87, v86, v85
	v_fma_f32 v88, -v1, v87, v86
	s_delay_alu instid0(VALU_DEP_1) | instskip(NEXT) | instid1(VALU_DEP_1)
	v_fmac_f32_e32 v87, v88, v85
	v_fma_f32 v1, -v1, v87, v86
	s_delay_alu instid0(VALU_DEP_1) | instskip(NEXT) | instid1(VALU_DEP_1)
	v_div_fmas_f32 v1, v1, v85, v87
	v_div_fixup_f32 v86, v1, v84, 1.0
	s_delay_alu instid0(VALU_DEP_1)
	v_mul_f32_e64 v87, v0, -v86
.LBB123_214:
	s_or_b32 exec_lo, exec_lo, s1
	ds_store_b64 v235, v[86:87]
.LBB123_215:
	s_or_b32 exec_lo, exec_lo, s2
	s_wait_dscnt 0x0
	s_barrier_signal -1
	s_barrier_wait -1
	ds_load_b64 v[84:85], v235
	s_mov_b32 s1, exec_lo
	v_cmpx_lt_u32_e32 23, v234
	s_cbranch_execz .LBB123_217
; %bb.216:
	ds_load_2addr_b64 v[100:103], v236 offset0:24 offset1:25
	s_wait_dscnt 0x1
	v_pk_mul_f32 v[88:89], v[84:85], v[92:93] op_sel:[1,1] op_sel_hi:[0,1]
	s_delay_alu instid0(VALU_DEP_1) | instskip(SKIP_1) | instid1(VALU_DEP_1)
	v_pk_fma_f32 v[86:87], v[84:85], v[92:93], v[88:89] op_sel_hi:[1,0,1] neg_lo:[0,0,1] neg_hi:[0,0,1]
	v_pk_fma_f32 v[88:89], v[84:85], v[92:93], v[88:89] op_sel_hi:[1,0,1]
	v_dual_mov_b32 v92, v86 :: v_dual_mov_b32 v93, v89
	s_wait_dscnt 0x0
	s_delay_alu instid0(VALU_DEP_2) | instskip(NEXT) | instid1(VALU_DEP_1)
	v_pk_mul_f32 v[90:91], v[100:101], v[88:89] op_sel:[0,1]
	v_pk_fma_f32 v[104:105], v[100:101], v[86:87], v[90:91] op_sel:[0,0,1] op_sel_hi:[1,1,0] neg_lo:[0,0,1] neg_hi:[0,0,1]
	v_pk_fma_f32 v[90:91], v[100:101], v[86:87], v[90:91] op_sel:[0,0,1] op_sel_hi:[1,0,0]
	s_delay_alu instid0(VALU_DEP_1) | instskip(SKIP_1) | instid1(VALU_DEP_1)
	v_mov_b32_e32 v105, v91
	v_pk_mul_f32 v[90:91], v[102:103], v[88:89] op_sel:[0,1]
	v_pk_fma_f32 v[100:101], v[102:103], v[86:87], v[90:91] op_sel:[0,0,1] op_sel_hi:[1,1,0] neg_lo:[0,0,1] neg_hi:[0,0,1]
	v_pk_fma_f32 v[90:91], v[102:103], v[86:87], v[90:91] op_sel:[0,0,1] op_sel_hi:[1,0,0]
	s_delay_alu instid0(VALU_DEP_1) | instskip(SKIP_1) | instid1(VALU_DEP_2)
	v_mov_b32_e32 v101, v91
	v_pk_add_f32 v[114:115], v[114:115], v[104:105] neg_lo:[0,1] neg_hi:[0,1]
	v_pk_add_f32 v[110:111], v[110:111], v[100:101] neg_lo:[0,1] neg_hi:[0,1]
	ds_load_2addr_b64 v[100:103], v236 offset0:26 offset1:27
	s_wait_dscnt 0x0
	v_pk_mul_f32 v[90:91], v[100:101], v[88:89] op_sel:[0,1]
	s_delay_alu instid0(VALU_DEP_1) | instskip(SKIP_2) | instid1(VALU_DEP_2)
	v_pk_fma_f32 v[104:105], v[100:101], v[86:87], v[90:91] op_sel:[0,0,1] op_sel_hi:[1,1,0] neg_lo:[0,0,1] neg_hi:[0,0,1]
	v_pk_fma_f32 v[90:91], v[100:101], v[86:87], v[90:91] op_sel:[0,0,1] op_sel_hi:[1,0,0]
	v_dual_mul_f32 v100, v103, v89 :: v_dual_mov_b32 v90, v103
	v_dual_mov_b32 v105, v91 :: v_dual_mov_b32 v91, v102
	s_delay_alu instid0(VALU_DEP_2) | instskip(SKIP_1) | instid1(VALU_DEP_3)
	v_pk_fma_f32 v[100:101], v[102:103], v[92:93], v[100:101] op_sel_hi:[1,1,0] neg_lo:[0,0,1] neg_hi:[0,0,1]
	v_mul_f32_e32 v102, v103, v86
	v_pk_add_f32 v[112:113], v[112:113], v[104:105] neg_lo:[0,1] neg_hi:[0,1]
	s_delay_alu instid0(VALU_DEP_2) | instskip(NEXT) | instid1(VALU_DEP_1)
	v_pk_fma_f32 v[90:91], v[90:91], v[92:93], v[102:103] op_sel_hi:[1,1,0]
	v_mov_b32_e32 v101, v91
	s_delay_alu instid0(VALU_DEP_1) | instskip(SKIP_3) | instid1(VALU_DEP_1)
	v_pk_add_f32 v[108:109], v[108:109], v[100:101] neg_lo:[0,1] neg_hi:[0,1]
	ds_load_2addr_b64 v[100:103], v236 offset0:28 offset1:29
	s_wait_dscnt 0x0
	v_pk_mul_f32 v[90:91], v[100:101], v[88:89] op_sel:[0,1]
	v_pk_fma_f32 v[104:105], v[100:101], v[86:87], v[90:91] op_sel:[0,0,1] op_sel_hi:[1,1,0] neg_lo:[0,0,1] neg_hi:[0,0,1]
	v_pk_fma_f32 v[90:91], v[100:101], v[86:87], v[90:91] op_sel:[0,0,1] op_sel_hi:[1,0,0]
	s_delay_alu instid0(VALU_DEP_1) | instskip(SKIP_1) | instid1(VALU_DEP_2)
	v_mov_b32_e32 v105, v91
	v_pk_mul_f32 v[90:91], v[102:103], v[88:89] op_sel:[0,1]
	v_pk_add_f32 v[130:131], v[130:131], v[104:105] neg_lo:[0,1] neg_hi:[0,1]
	s_delay_alu instid0(VALU_DEP_2) | instskip(SKIP_1) | instid1(VALU_DEP_1)
	v_pk_fma_f32 v[100:101], v[102:103], v[86:87], v[90:91] op_sel:[0,0,1] op_sel_hi:[1,1,0] neg_lo:[0,0,1] neg_hi:[0,0,1]
	v_pk_fma_f32 v[90:91], v[102:103], v[86:87], v[90:91] op_sel:[0,0,1] op_sel_hi:[1,0,0]
	v_mov_b32_e32 v101, v91
	s_delay_alu instid0(VALU_DEP_1) | instskip(SKIP_3) | instid1(VALU_DEP_1)
	v_pk_add_f32 v[126:127], v[126:127], v[100:101] neg_lo:[0,1] neg_hi:[0,1]
	ds_load_2addr_b64 v[100:103], v236 offset0:30 offset1:31
	s_wait_dscnt 0x0
	v_pk_mul_f32 v[90:91], v[100:101], v[88:89] op_sel:[0,1]
	v_pk_fma_f32 v[104:105], v[100:101], v[86:87], v[90:91] op_sel:[0,0,1] op_sel_hi:[1,1,0] neg_lo:[0,0,1] neg_hi:[0,0,1]
	v_pk_fma_f32 v[90:91], v[100:101], v[86:87], v[90:91] op_sel:[0,0,1] op_sel_hi:[1,0,0]
	s_delay_alu instid0(VALU_DEP_1) | instskip(SKIP_1) | instid1(VALU_DEP_2)
	v_mov_b32_e32 v105, v91
	v_pk_mul_f32 v[90:91], v[102:103], v[88:89] op_sel:[0,1]
	v_pk_add_f32 v[128:129], v[128:129], v[104:105] neg_lo:[0,1] neg_hi:[0,1]
	s_delay_alu instid0(VALU_DEP_2) | instskip(SKIP_1) | instid1(VALU_DEP_1)
	v_pk_fma_f32 v[100:101], v[102:103], v[86:87], v[90:91] op_sel:[0,0,1] op_sel_hi:[1,1,0] neg_lo:[0,0,1] neg_hi:[0,0,1]
	v_pk_fma_f32 v[90:91], v[102:103], v[86:87], v[90:91] op_sel:[0,0,1] op_sel_hi:[1,0,0]
	v_mov_b32_e32 v101, v91
	s_delay_alu instid0(VALU_DEP_1) | instskip(SKIP_3) | instid1(VALU_DEP_1)
	v_pk_add_f32 v[124:125], v[124:125], v[100:101] neg_lo:[0,1] neg_hi:[0,1]
	ds_load_2addr_b64 v[100:103], v236 offset0:32 offset1:33
	s_wait_dscnt 0x0
	v_dual_mul_f32 v90, v101, v89 :: v_dual_mul_f32 v104, v101, v86
	v_pk_fma_f32 v[90:91], v[100:101], v[92:93], v[90:91] op_sel_hi:[1,1,0] neg_lo:[0,0,1] neg_hi:[0,0,1]
	s_delay_alu instid0(VALU_DEP_2) | instskip(NEXT) | instid1(VALU_DEP_1)
	v_pk_fma_f32 v[100:101], v[100:101], v[92:93], v[104:105] op_sel:[1,0,0] op_sel_hi:[0,1,0]
	v_mov_b32_e32 v91, v101
	s_delay_alu instid0(VALU_DEP_1) | instskip(SKIP_1) | instid1(VALU_DEP_1)
	v_pk_add_f32 v[146:147], v[146:147], v[90:91] neg_lo:[0,1] neg_hi:[0,1]
	v_pk_mul_f32 v[90:91], v[102:103], v[88:89] op_sel:[0,1]
	v_pk_fma_f32 v[100:101], v[102:103], v[86:87], v[90:91] op_sel:[0,0,1] op_sel_hi:[1,1,0] neg_lo:[0,0,1] neg_hi:[0,0,1]
	v_pk_fma_f32 v[90:91], v[102:103], v[86:87], v[90:91] op_sel:[0,0,1] op_sel_hi:[1,0,0]
	s_delay_alu instid0(VALU_DEP_1) | instskip(NEXT) | instid1(VALU_DEP_1)
	v_mov_b32_e32 v101, v91
	v_pk_add_f32 v[142:143], v[142:143], v[100:101] neg_lo:[0,1] neg_hi:[0,1]
	ds_load_2addr_b64 v[100:103], v236 offset0:34 offset1:35
	s_wait_dscnt 0x0
	v_pk_mul_f32 v[90:91], v[100:101], v[88:89] op_sel:[0,1]
	s_delay_alu instid0(VALU_DEP_1) | instskip(SKIP_1) | instid1(VALU_DEP_1)
	v_pk_fma_f32 v[104:105], v[100:101], v[86:87], v[90:91] op_sel:[0,0,1] op_sel_hi:[1,1,0] neg_lo:[0,0,1] neg_hi:[0,0,1]
	v_pk_fma_f32 v[90:91], v[100:101], v[86:87], v[90:91] op_sel:[0,0,1] op_sel_hi:[1,0,0]
	v_mov_b32_e32 v105, v91
	v_pk_mul_f32 v[90:91], v[102:103], v[88:89] op_sel:[0,1]
	s_delay_alu instid0(VALU_DEP_2) | instskip(NEXT) | instid1(VALU_DEP_2)
	v_pk_add_f32 v[144:145], v[144:145], v[104:105] neg_lo:[0,1] neg_hi:[0,1]
	v_pk_fma_f32 v[100:101], v[102:103], v[86:87], v[90:91] op_sel:[0,0,1] op_sel_hi:[1,1,0] neg_lo:[0,0,1] neg_hi:[0,0,1]
	v_pk_fma_f32 v[90:91], v[102:103], v[86:87], v[90:91] op_sel:[0,0,1] op_sel_hi:[1,0,0]
	s_delay_alu instid0(VALU_DEP_1) | instskip(NEXT) | instid1(VALU_DEP_1)
	v_mov_b32_e32 v101, v91
	v_pk_add_f32 v[140:141], v[140:141], v[100:101] neg_lo:[0,1] neg_hi:[0,1]
	ds_load_2addr_b64 v[100:103], v236 offset0:36 offset1:37
	s_wait_dscnt 0x0
	v_pk_mul_f32 v[90:91], v[100:101], v[88:89] op_sel:[0,1]
	s_delay_alu instid0(VALU_DEP_1) | instskip(SKIP_2) | instid1(VALU_DEP_2)
	v_pk_fma_f32 v[104:105], v[100:101], v[86:87], v[90:91] op_sel:[0,0,1] op_sel_hi:[1,1,0] neg_lo:[0,0,1] neg_hi:[0,0,1]
	v_pk_fma_f32 v[90:91], v[100:101], v[86:87], v[90:91] op_sel:[0,0,1] op_sel_hi:[1,0,0]
	v_dual_mul_f32 v100, v103, v89 :: v_dual_mov_b32 v90, v103
	v_dual_mov_b32 v105, v91 :: v_dual_mov_b32 v91, v102
	s_delay_alu instid0(VALU_DEP_2) | instskip(SKIP_1) | instid1(VALU_DEP_3)
	v_pk_fma_f32 v[100:101], v[102:103], v[92:93], v[100:101] op_sel_hi:[1,1,0] neg_lo:[0,0,1] neg_hi:[0,0,1]
	v_mul_f32_e32 v102, v103, v86
	v_pk_add_f32 v[162:163], v[162:163], v[104:105] neg_lo:[0,1] neg_hi:[0,1]
	s_delay_alu instid0(VALU_DEP_2) | instskip(NEXT) | instid1(VALU_DEP_1)
	v_pk_fma_f32 v[90:91], v[90:91], v[92:93], v[102:103] op_sel_hi:[1,1,0]
	v_mov_b32_e32 v101, v91
	s_delay_alu instid0(VALU_DEP_1) | instskip(SKIP_3) | instid1(VALU_DEP_1)
	v_pk_add_f32 v[158:159], v[158:159], v[100:101] neg_lo:[0,1] neg_hi:[0,1]
	ds_load_2addr_b64 v[100:103], v236 offset0:38 offset1:39
	s_wait_dscnt 0x0
	v_pk_mul_f32 v[90:91], v[100:101], v[88:89] op_sel:[0,1]
	v_pk_fma_f32 v[104:105], v[100:101], v[86:87], v[90:91] op_sel:[0,0,1] op_sel_hi:[1,1,0] neg_lo:[0,0,1] neg_hi:[0,0,1]
	v_pk_fma_f32 v[90:91], v[100:101], v[86:87], v[90:91] op_sel:[0,0,1] op_sel_hi:[1,0,0]
	s_delay_alu instid0(VALU_DEP_1) | instskip(SKIP_1) | instid1(VALU_DEP_2)
	v_mov_b32_e32 v105, v91
	v_pk_mul_f32 v[90:91], v[102:103], v[88:89] op_sel:[0,1]
	v_pk_add_f32 v[160:161], v[160:161], v[104:105] neg_lo:[0,1] neg_hi:[0,1]
	s_delay_alu instid0(VALU_DEP_2) | instskip(SKIP_1) | instid1(VALU_DEP_1)
	v_pk_fma_f32 v[100:101], v[102:103], v[86:87], v[90:91] op_sel:[0,0,1] op_sel_hi:[1,1,0] neg_lo:[0,0,1] neg_hi:[0,0,1]
	v_pk_fma_f32 v[90:91], v[102:103], v[86:87], v[90:91] op_sel:[0,0,1] op_sel_hi:[1,0,0]
	v_mov_b32_e32 v101, v91
	s_delay_alu instid0(VALU_DEP_1) | instskip(SKIP_3) | instid1(VALU_DEP_1)
	v_pk_add_f32 v[156:157], v[156:157], v[100:101] neg_lo:[0,1] neg_hi:[0,1]
	ds_load_2addr_b64 v[100:103], v236 offset0:40 offset1:41
	s_wait_dscnt 0x0
	v_pk_mul_f32 v[90:91], v[100:101], v[88:89] op_sel:[0,1]
	v_pk_fma_f32 v[104:105], v[100:101], v[86:87], v[90:91] op_sel:[0,0,1] op_sel_hi:[1,1,0] neg_lo:[0,0,1] neg_hi:[0,0,1]
	v_pk_fma_f32 v[90:91], v[100:101], v[86:87], v[90:91] op_sel:[0,0,1] op_sel_hi:[1,0,0]
	s_delay_alu instid0(VALU_DEP_1) | instskip(SKIP_1) | instid1(VALU_DEP_2)
	v_mov_b32_e32 v105, v91
	v_pk_mul_f32 v[90:91], v[102:103], v[88:89] op_sel:[0,1]
	v_pk_add_f32 v[178:179], v[178:179], v[104:105] neg_lo:[0,1] neg_hi:[0,1]
	s_delay_alu instid0(VALU_DEP_2) | instskip(SKIP_1) | instid1(VALU_DEP_1)
	v_pk_fma_f32 v[100:101], v[102:103], v[86:87], v[90:91] op_sel:[0,0,1] op_sel_hi:[1,1,0] neg_lo:[0,0,1] neg_hi:[0,0,1]
	v_pk_fma_f32 v[90:91], v[102:103], v[86:87], v[90:91] op_sel:[0,0,1] op_sel_hi:[1,0,0]
	v_mov_b32_e32 v101, v91
	s_delay_alu instid0(VALU_DEP_1) | instskip(SKIP_3) | instid1(VALU_DEP_1)
	v_pk_add_f32 v[174:175], v[174:175], v[100:101] neg_lo:[0,1] neg_hi:[0,1]
	ds_load_2addr_b64 v[100:103], v236 offset0:42 offset1:43
	s_wait_dscnt 0x0
	v_dual_mul_f32 v90, v101, v89 :: v_dual_mul_f32 v104, v101, v86
	v_pk_fma_f32 v[90:91], v[100:101], v[92:93], v[90:91] op_sel_hi:[1,1,0] neg_lo:[0,0,1] neg_hi:[0,0,1]
	s_delay_alu instid0(VALU_DEP_2) | instskip(NEXT) | instid1(VALU_DEP_1)
	v_pk_fma_f32 v[100:101], v[100:101], v[92:93], v[104:105] op_sel:[1,0,0] op_sel_hi:[0,1,0]
	v_mov_b32_e32 v91, v101
	s_delay_alu instid0(VALU_DEP_1) | instskip(SKIP_1) | instid1(VALU_DEP_1)
	v_pk_add_f32 v[176:177], v[176:177], v[90:91] neg_lo:[0,1] neg_hi:[0,1]
	v_pk_mul_f32 v[90:91], v[102:103], v[88:89] op_sel:[0,1]
	v_pk_fma_f32 v[100:101], v[102:103], v[86:87], v[90:91] op_sel:[0,0,1] op_sel_hi:[1,1,0] neg_lo:[0,0,1] neg_hi:[0,0,1]
	v_pk_fma_f32 v[90:91], v[102:103], v[86:87], v[90:91] op_sel:[0,0,1] op_sel_hi:[1,0,0]
	s_delay_alu instid0(VALU_DEP_1) | instskip(NEXT) | instid1(VALU_DEP_1)
	v_mov_b32_e32 v101, v91
	v_pk_add_f32 v[172:173], v[172:173], v[100:101] neg_lo:[0,1] neg_hi:[0,1]
	ds_load_2addr_b64 v[100:103], v236 offset0:44 offset1:45
	s_wait_dscnt 0x0
	v_pk_mul_f32 v[90:91], v[100:101], v[88:89] op_sel:[0,1]
	s_delay_alu instid0(VALU_DEP_1) | instskip(SKIP_1) | instid1(VALU_DEP_1)
	v_pk_fma_f32 v[104:105], v[100:101], v[86:87], v[90:91] op_sel:[0,0,1] op_sel_hi:[1,1,0] neg_lo:[0,0,1] neg_hi:[0,0,1]
	v_pk_fma_f32 v[90:91], v[100:101], v[86:87], v[90:91] op_sel:[0,0,1] op_sel_hi:[1,0,0]
	v_mov_b32_e32 v105, v91
	v_pk_mul_f32 v[90:91], v[102:103], v[88:89] op_sel:[0,1]
	s_delay_alu instid0(VALU_DEP_2) | instskip(NEXT) | instid1(VALU_DEP_2)
	v_pk_add_f32 v[194:195], v[194:195], v[104:105] neg_lo:[0,1] neg_hi:[0,1]
	v_pk_fma_f32 v[100:101], v[102:103], v[86:87], v[90:91] op_sel:[0,0,1] op_sel_hi:[1,1,0] neg_lo:[0,0,1] neg_hi:[0,0,1]
	v_pk_fma_f32 v[90:91], v[102:103], v[86:87], v[90:91] op_sel:[0,0,1] op_sel_hi:[1,0,0]
	s_delay_alu instid0(VALU_DEP_1) | instskip(NEXT) | instid1(VALU_DEP_1)
	v_mov_b32_e32 v101, v91
	v_pk_add_f32 v[190:191], v[190:191], v[100:101] neg_lo:[0,1] neg_hi:[0,1]
	ds_load_2addr_b64 v[100:103], v236 offset0:46 offset1:47
	s_wait_dscnt 0x0
	v_pk_mul_f32 v[90:91], v[100:101], v[88:89] op_sel:[0,1]
	s_delay_alu instid0(VALU_DEP_1) | instskip(SKIP_2) | instid1(VALU_DEP_2)
	v_pk_fma_f32 v[104:105], v[100:101], v[86:87], v[90:91] op_sel:[0,0,1] op_sel_hi:[1,1,0] neg_lo:[0,0,1] neg_hi:[0,0,1]
	v_pk_fma_f32 v[90:91], v[100:101], v[86:87], v[90:91] op_sel:[0,0,1] op_sel_hi:[1,0,0]
	v_dual_mul_f32 v100, v103, v89 :: v_dual_mov_b32 v90, v103
	v_dual_mov_b32 v105, v91 :: v_dual_mov_b32 v91, v102
	s_delay_alu instid0(VALU_DEP_2) | instskip(SKIP_1) | instid1(VALU_DEP_3)
	v_pk_fma_f32 v[100:101], v[102:103], v[92:93], v[100:101] op_sel_hi:[1,1,0] neg_lo:[0,0,1] neg_hi:[0,0,1]
	v_mul_f32_e32 v102, v103, v86
	v_pk_add_f32 v[192:193], v[192:193], v[104:105] neg_lo:[0,1] neg_hi:[0,1]
	s_delay_alu instid0(VALU_DEP_2) | instskip(NEXT) | instid1(VALU_DEP_1)
	v_pk_fma_f32 v[90:91], v[90:91], v[92:93], v[102:103] op_sel_hi:[1,1,0]
	v_mov_b32_e32 v101, v91
	s_delay_alu instid0(VALU_DEP_1) | instskip(SKIP_3) | instid1(VALU_DEP_1)
	v_pk_add_f32 v[188:189], v[188:189], v[100:101] neg_lo:[0,1] neg_hi:[0,1]
	ds_load_2addr_b64 v[100:103], v236 offset0:48 offset1:49
	s_wait_dscnt 0x0
	v_pk_mul_f32 v[90:91], v[100:101], v[88:89] op_sel:[0,1]
	v_pk_fma_f32 v[104:105], v[100:101], v[86:87], v[90:91] op_sel:[0,0,1] op_sel_hi:[1,1,0] neg_lo:[0,0,1] neg_hi:[0,0,1]
	v_pk_fma_f32 v[90:91], v[100:101], v[86:87], v[90:91] op_sel:[0,0,1] op_sel_hi:[1,0,0]
	s_delay_alu instid0(VALU_DEP_1) | instskip(SKIP_1) | instid1(VALU_DEP_2)
	v_mov_b32_e32 v105, v91
	v_pk_mul_f32 v[90:91], v[102:103], v[88:89] op_sel:[0,1]
	v_pk_add_f32 v[210:211], v[210:211], v[104:105] neg_lo:[0,1] neg_hi:[0,1]
	s_delay_alu instid0(VALU_DEP_2) | instskip(SKIP_1) | instid1(VALU_DEP_1)
	v_pk_fma_f32 v[100:101], v[102:103], v[86:87], v[90:91] op_sel:[0,0,1] op_sel_hi:[1,1,0] neg_lo:[0,0,1] neg_hi:[0,0,1]
	v_pk_fma_f32 v[90:91], v[102:103], v[86:87], v[90:91] op_sel:[0,0,1] op_sel_hi:[1,0,0]
	v_mov_b32_e32 v101, v91
	s_delay_alu instid0(VALU_DEP_1) | instskip(SKIP_3) | instid1(VALU_DEP_1)
	v_pk_add_f32 v[206:207], v[206:207], v[100:101] neg_lo:[0,1] neg_hi:[0,1]
	ds_load_2addr_b64 v[100:103], v236 offset0:50 offset1:51
	s_wait_dscnt 0x0
	v_pk_mul_f32 v[90:91], v[100:101], v[88:89] op_sel:[0,1]
	v_pk_fma_f32 v[104:105], v[100:101], v[86:87], v[90:91] op_sel:[0,0,1] op_sel_hi:[1,1,0] neg_lo:[0,0,1] neg_hi:[0,0,1]
	v_pk_fma_f32 v[90:91], v[100:101], v[86:87], v[90:91] op_sel:[0,0,1] op_sel_hi:[1,0,0]
	s_delay_alu instid0(VALU_DEP_1) | instskip(SKIP_1) | instid1(VALU_DEP_2)
	v_mov_b32_e32 v105, v91
	v_pk_mul_f32 v[90:91], v[102:103], v[88:89] op_sel:[0,1]
	v_pk_add_f32 v[208:209], v[208:209], v[104:105] neg_lo:[0,1] neg_hi:[0,1]
	s_delay_alu instid0(VALU_DEP_2) | instskip(SKIP_1) | instid1(VALU_DEP_1)
	v_pk_fma_f32 v[100:101], v[102:103], v[86:87], v[90:91] op_sel:[0,0,1] op_sel_hi:[1,1,0] neg_lo:[0,0,1] neg_hi:[0,0,1]
	v_pk_fma_f32 v[90:91], v[102:103], v[86:87], v[90:91] op_sel:[0,0,1] op_sel_hi:[1,0,0]
	v_mov_b32_e32 v101, v91
	s_delay_alu instid0(VALU_DEP_1) | instskip(SKIP_3) | instid1(VALU_DEP_1)
	v_pk_add_f32 v[204:205], v[204:205], v[100:101] neg_lo:[0,1] neg_hi:[0,1]
	ds_load_2addr_b64 v[100:103], v236 offset0:52 offset1:53
	s_wait_dscnt 0x0
	v_dual_mul_f32 v90, v101, v89 :: v_dual_mul_f32 v104, v101, v86
	v_pk_fma_f32 v[90:91], v[100:101], v[92:93], v[90:91] op_sel_hi:[1,1,0] neg_lo:[0,0,1] neg_hi:[0,0,1]
	s_delay_alu instid0(VALU_DEP_2) | instskip(NEXT) | instid1(VALU_DEP_1)
	v_pk_fma_f32 v[100:101], v[100:101], v[92:93], v[104:105] op_sel:[1,0,0] op_sel_hi:[0,1,0]
	v_mov_b32_e32 v91, v101
	s_delay_alu instid0(VALU_DEP_1) | instskip(SKIP_1) | instid1(VALU_DEP_1)
	v_pk_add_f32 v[228:229], v[228:229], v[90:91] neg_lo:[0,1] neg_hi:[0,1]
	v_pk_mul_f32 v[90:91], v[102:103], v[88:89] op_sel:[0,1]
	v_pk_fma_f32 v[100:101], v[102:103], v[86:87], v[90:91] op_sel:[0,0,1] op_sel_hi:[1,1,0] neg_lo:[0,0,1] neg_hi:[0,0,1]
	v_pk_fma_f32 v[90:91], v[102:103], v[86:87], v[90:91] op_sel:[0,0,1] op_sel_hi:[1,0,0]
	s_delay_alu instid0(VALU_DEP_1) | instskip(NEXT) | instid1(VALU_DEP_1)
	v_mov_b32_e32 v101, v91
	v_pk_add_f32 v[224:225], v[224:225], v[100:101] neg_lo:[0,1] neg_hi:[0,1]
	ds_load_2addr_b64 v[100:103], v236 offset0:54 offset1:55
	s_wait_dscnt 0x0
	v_pk_mul_f32 v[90:91], v[100:101], v[88:89] op_sel:[0,1]
	s_delay_alu instid0(VALU_DEP_1) | instskip(SKIP_1) | instid1(VALU_DEP_1)
	v_pk_fma_f32 v[104:105], v[100:101], v[86:87], v[90:91] op_sel:[0,0,1] op_sel_hi:[1,1,0] neg_lo:[0,0,1] neg_hi:[0,0,1]
	v_pk_fma_f32 v[90:91], v[100:101], v[86:87], v[90:91] op_sel:[0,0,1] op_sel_hi:[1,0,0]
	v_mov_b32_e32 v105, v91
	v_pk_mul_f32 v[90:91], v[102:103], v[88:89] op_sel:[0,1]
	s_delay_alu instid0(VALU_DEP_2) | instskip(NEXT) | instid1(VALU_DEP_2)
	v_pk_add_f32 v[226:227], v[226:227], v[104:105] neg_lo:[0,1] neg_hi:[0,1]
	v_pk_fma_f32 v[100:101], v[102:103], v[86:87], v[90:91] op_sel:[0,0,1] op_sel_hi:[1,1,0] neg_lo:[0,0,1] neg_hi:[0,0,1]
	v_pk_fma_f32 v[90:91], v[102:103], v[86:87], v[90:91] op_sel:[0,0,1] op_sel_hi:[1,0,0]
	s_delay_alu instid0(VALU_DEP_1) | instskip(NEXT) | instid1(VALU_DEP_1)
	v_mov_b32_e32 v101, v91
	v_pk_add_f32 v[222:223], v[222:223], v[100:101] neg_lo:[0,1] neg_hi:[0,1]
	ds_load_2addr_b64 v[100:103], v236 offset0:56 offset1:57
	s_wait_dscnt 0x0
	v_pk_mul_f32 v[90:91], v[100:101], v[88:89] op_sel:[0,1]
	s_delay_alu instid0(VALU_DEP_1) | instskip(SKIP_2) | instid1(VALU_DEP_2)
	v_pk_fma_f32 v[104:105], v[100:101], v[86:87], v[90:91] op_sel:[0,0,1] op_sel_hi:[1,1,0] neg_lo:[0,0,1] neg_hi:[0,0,1]
	v_pk_fma_f32 v[90:91], v[100:101], v[86:87], v[90:91] op_sel:[0,0,1] op_sel_hi:[1,0,0]
	v_dual_mul_f32 v100, v103, v89 :: v_dual_mov_b32 v90, v103
	v_dual_mov_b32 v105, v91 :: v_dual_mov_b32 v91, v102
	s_delay_alu instid0(VALU_DEP_2) | instskip(SKIP_1) | instid1(VALU_DEP_3)
	v_pk_fma_f32 v[100:101], v[102:103], v[92:93], v[100:101] op_sel_hi:[1,1,0] neg_lo:[0,0,1] neg_hi:[0,0,1]
	v_mul_f32_e32 v102, v103, v86
	v_pk_add_f32 v[244:245], v[244:245], v[104:105] neg_lo:[0,1] neg_hi:[0,1]
	s_delay_alu instid0(VALU_DEP_2) | instskip(NEXT) | instid1(VALU_DEP_1)
	v_pk_fma_f32 v[90:91], v[90:91], v[92:93], v[102:103] op_sel_hi:[1,1,0]
	v_mov_b32_e32 v101, v91
	s_delay_alu instid0(VALU_DEP_1) | instskip(SKIP_3) | instid1(VALU_DEP_1)
	v_pk_add_f32 v[240:241], v[240:241], v[100:101] neg_lo:[0,1] neg_hi:[0,1]
	ds_load_2addr_b64 v[100:103], v236 offset0:58 offset1:59
	s_wait_dscnt 0x0
	v_pk_mul_f32 v[90:91], v[100:101], v[88:89] op_sel:[0,1]
	v_pk_fma_f32 v[104:105], v[100:101], v[86:87], v[90:91] op_sel:[0,0,1] op_sel_hi:[1,1,0] neg_lo:[0,0,1] neg_hi:[0,0,1]
	v_pk_fma_f32 v[90:91], v[100:101], v[86:87], v[90:91] op_sel:[0,0,1] op_sel_hi:[1,0,0]
	s_delay_alu instid0(VALU_DEP_1) | instskip(SKIP_1) | instid1(VALU_DEP_2)
	v_mov_b32_e32 v105, v91
	v_pk_mul_f32 v[90:91], v[102:103], v[88:89] op_sel:[0,1]
	v_pk_add_f32 v[242:243], v[242:243], v[104:105] neg_lo:[0,1] neg_hi:[0,1]
	s_delay_alu instid0(VALU_DEP_2) | instskip(SKIP_1) | instid1(VALU_DEP_1)
	v_pk_fma_f32 v[100:101], v[102:103], v[86:87], v[90:91] op_sel:[0,0,1] op_sel_hi:[1,1,0] neg_lo:[0,0,1] neg_hi:[0,0,1]
	v_pk_fma_f32 v[90:91], v[102:103], v[86:87], v[90:91] op_sel:[0,0,1] op_sel_hi:[1,0,0]
	v_mov_b32_e32 v101, v91
	s_delay_alu instid0(VALU_DEP_1) | instskip(SKIP_4) | instid1(VALU_DEP_2)
	v_pk_add_f32 v[238:239], v[238:239], v[100:101] neg_lo:[0,1] neg_hi:[0,1]
	ds_load_2addr_b64 v[100:103], v236 offset0:60 offset1:61
	s_wait_dscnt 0x0
	v_pk_mul_f32 v[90:91], v[100:101], v[88:89] op_sel:[0,1]
	v_pk_mul_f32 v[88:89], v[102:103], v[88:89] op_sel:[0,1]
	v_pk_fma_f32 v[104:105], v[100:101], v[86:87], v[90:91] op_sel:[0,0,1] op_sel_hi:[1,1,0] neg_lo:[0,0,1] neg_hi:[0,0,1]
	v_pk_fma_f32 v[90:91], v[100:101], v[86:87], v[90:91] op_sel:[0,0,1] op_sel_hi:[1,0,0]
	s_delay_alu instid0(VALU_DEP_1) | instskip(NEXT) | instid1(VALU_DEP_4)
	v_mov_b32_e32 v105, v91
	v_pk_fma_f32 v[90:91], v[102:103], v[86:87], v[88:89] op_sel:[0,0,1] op_sel_hi:[1,1,0] neg_lo:[0,0,1] neg_hi:[0,0,1]
	v_pk_fma_f32 v[86:87], v[102:103], v[86:87], v[88:89] op_sel:[0,0,1] op_sel_hi:[1,0,0]
	s_delay_alu instid0(VALU_DEP_3) | instskip(NEXT) | instid1(VALU_DEP_2)
	v_pk_add_f32 v[246:247], v[246:247], v[104:105] neg_lo:[0,1] neg_hi:[0,1]
	v_mov_b32_e32 v91, v87
	s_delay_alu instid0(VALU_DEP_1)
	v_pk_add_f32 v[248:249], v[248:249], v[90:91] neg_lo:[0,1] neg_hi:[0,1]
.LBB123_217:
	s_or_b32 exec_lo, exec_lo, s1
	s_delay_alu instid0(SALU_CYCLE_1)
	s_mov_b32 s2, exec_lo
	s_wait_dscnt 0x0
	s_barrier_signal -1
	s_barrier_wait -1
	v_cmpx_eq_u32_e32 24, v234
	s_cbranch_execz .LBB123_224
; %bb.218:
	ds_store_b64 v235, v[114:115]
	ds_store_2addr_b64 v236, v[110:111], v[112:113] offset0:25 offset1:26
	ds_store_2addr_b64 v236, v[108:109], v[130:131] offset0:27 offset1:28
	;; [unrolled: 1-line block ×18, first 2 shown]
	ds_store_b64 v236, v[248:249] offset:488
	ds_load_b64 v[86:87], v235
	s_wait_dscnt 0x0
	v_cmp_neq_f32_e32 vcc_lo, 0, v86
	v_cmp_neq_f32_e64 s1, 0, v87
	s_or_b32 s1, vcc_lo, s1
	s_delay_alu instid0(SALU_CYCLE_1)
	s_and_b32 exec_lo, exec_lo, s1
	s_cbranch_execz .LBB123_224
; %bb.219:
	v_cmp_ngt_f32_e64 s1, |v86|, |v87|
                                        ; implicit-def: $vgpr88_vgpr89
	s_and_saveexec_b32 s4, s1
	s_delay_alu instid0(SALU_CYCLE_1)
	s_xor_b32 s1, exec_lo, s4
	s_cbranch_execz .LBB123_221
; %bb.220:
	v_div_scale_f32 v0, null, v87, v87, v86
	v_div_scale_f32 v89, vcc_lo, v86, v87, v86
	s_delay_alu instid0(VALU_DEP_2) | instskip(SKIP_1) | instid1(TRANS32_DEP_1)
	v_rcp_f32_e32 v1, v0
	v_nop
	v_fma_f32 v88, -v0, v1, 1.0
	s_delay_alu instid0(VALU_DEP_1) | instskip(NEXT) | instid1(VALU_DEP_1)
	v_fmac_f32_e32 v1, v88, v1
	v_mul_f32_e32 v88, v89, v1
	s_delay_alu instid0(VALU_DEP_1) | instskip(NEXT) | instid1(VALU_DEP_1)
	v_fma_f32 v90, -v0, v88, v89
	v_fmac_f32_e32 v88, v90, v1
	s_delay_alu instid0(VALU_DEP_1) | instskip(NEXT) | instid1(VALU_DEP_1)
	v_fma_f32 v0, -v0, v88, v89
	v_div_fmas_f32 v0, v0, v1, v88
	s_delay_alu instid0(VALU_DEP_1) | instskip(NEXT) | instid1(VALU_DEP_1)
	v_div_fixup_f32 v0, v0, v87, v86
	v_fmac_f32_e32 v87, v86, v0
	s_delay_alu instid0(VALU_DEP_1) | instskip(SKIP_1) | instid1(VALU_DEP_2)
	v_div_scale_f32 v1, null, v87, v87, 1.0
	v_div_scale_f32 v89, vcc_lo, 1.0, v87, 1.0
	v_rcp_f32_e32 v86, v1
	v_nop
	s_delay_alu instid0(TRANS32_DEP_1) | instskip(NEXT) | instid1(VALU_DEP_1)
	v_fma_f32 v88, -v1, v86, 1.0
	v_fmac_f32_e32 v86, v88, v86
	s_delay_alu instid0(VALU_DEP_1) | instskip(NEXT) | instid1(VALU_DEP_1)
	v_mul_f32_e32 v88, v89, v86
	v_fma_f32 v90, -v1, v88, v89
	s_delay_alu instid0(VALU_DEP_1) | instskip(NEXT) | instid1(VALU_DEP_1)
	v_fmac_f32_e32 v88, v90, v86
	v_fma_f32 v1, -v1, v88, v89
	s_delay_alu instid0(VALU_DEP_1) | instskip(NEXT) | instid1(VALU_DEP_1)
	v_div_fmas_f32 v1, v1, v86, v88
	v_div_fixup_f32 v1, v1, v87, 1.0
                                        ; implicit-def: $vgpr86_vgpr87
	s_delay_alu instid0(VALU_DEP_1)
	v_mul_f32_e32 v88, v0, v1
	v_xor_b32_e32 v89, 0x80000000, v1
.LBB123_221:
	s_and_not1_saveexec_b32 s1, s1
	s_cbranch_execz .LBB123_223
; %bb.222:
	v_div_scale_f32 v0, null, v86, v86, v87
	v_div_scale_f32 v89, vcc_lo, v87, v86, v87
	s_delay_alu instid0(VALU_DEP_2) | instskip(SKIP_1) | instid1(TRANS32_DEP_1)
	v_rcp_f32_e32 v1, v0
	v_nop
	v_fma_f32 v88, -v0, v1, 1.0
	s_delay_alu instid0(VALU_DEP_1) | instskip(NEXT) | instid1(VALU_DEP_1)
	v_fmac_f32_e32 v1, v88, v1
	v_mul_f32_e32 v88, v89, v1
	s_delay_alu instid0(VALU_DEP_1) | instskip(NEXT) | instid1(VALU_DEP_1)
	v_fma_f32 v90, -v0, v88, v89
	v_fmac_f32_e32 v88, v90, v1
	s_delay_alu instid0(VALU_DEP_1) | instskip(NEXT) | instid1(VALU_DEP_1)
	v_fma_f32 v0, -v0, v88, v89
	v_div_fmas_f32 v0, v0, v1, v88
	s_delay_alu instid0(VALU_DEP_1) | instskip(NEXT) | instid1(VALU_DEP_1)
	v_div_fixup_f32 v0, v0, v86, v87
	v_fmac_f32_e32 v86, v87, v0
	s_delay_alu instid0(VALU_DEP_1) | instskip(NEXT) | instid1(VALU_DEP_1)
	v_div_scale_f32 v1, null, v86, v86, 1.0
	v_rcp_f32_e32 v87, v1
	v_nop
	s_delay_alu instid0(TRANS32_DEP_1) | instskip(NEXT) | instid1(VALU_DEP_1)
	v_fma_f32 v88, -v1, v87, 1.0
	v_fmac_f32_e32 v87, v88, v87
	v_div_scale_f32 v88, vcc_lo, 1.0, v86, 1.0
	s_delay_alu instid0(VALU_DEP_1) | instskip(NEXT) | instid1(VALU_DEP_1)
	v_mul_f32_e32 v89, v88, v87
	v_fma_f32 v90, -v1, v89, v88
	s_delay_alu instid0(VALU_DEP_1) | instskip(NEXT) | instid1(VALU_DEP_1)
	v_fmac_f32_e32 v89, v90, v87
	v_fma_f32 v1, -v1, v89, v88
	s_delay_alu instid0(VALU_DEP_1) | instskip(NEXT) | instid1(VALU_DEP_1)
	v_div_fmas_f32 v1, v1, v87, v89
	v_div_fixup_f32 v88, v1, v86, 1.0
	s_delay_alu instid0(VALU_DEP_1)
	v_mul_f32_e64 v89, v0, -v88
.LBB123_223:
	s_or_b32 exec_lo, exec_lo, s1
	ds_store_b64 v235, v[88:89]
.LBB123_224:
	s_or_b32 exec_lo, exec_lo, s2
	s_wait_dscnt 0x0
	s_barrier_signal -1
	s_barrier_wait -1
	ds_load_b64 v[86:87], v235
	s_mov_b32 s1, exec_lo
	v_cmpx_lt_u32_e32 24, v234
	s_cbranch_execz .LBB123_226
; %bb.225:
	ds_load_2addr_b64 v[100:103], v236 offset0:25 offset1:26
	s_wait_dscnt 0x1
	v_pk_mul_f32 v[90:91], v[86:87], v[114:115] op_sel:[1,1] op_sel_hi:[0,1]
	s_delay_alu instid0(VALU_DEP_1) | instskip(SKIP_1) | instid1(VALU_DEP_1)
	v_pk_fma_f32 v[88:89], v[86:87], v[114:115], v[90:91] op_sel_hi:[1,0,1] neg_lo:[0,0,1] neg_hi:[0,0,1]
	v_pk_fma_f32 v[90:91], v[86:87], v[114:115], v[90:91] op_sel_hi:[1,0,1]
	v_dual_mov_b32 v114, v88 :: v_dual_mov_b32 v115, v91
	s_wait_dscnt 0x0
	s_delay_alu instid0(VALU_DEP_2) | instskip(NEXT) | instid1(VALU_DEP_1)
	v_pk_mul_f32 v[104:105], v[100:101], v[90:91] op_sel:[0,1]
	v_pk_fma_f32 v[106:107], v[100:101], v[88:89], v[104:105] op_sel:[0,0,1] op_sel_hi:[1,1,0] neg_lo:[0,0,1] neg_hi:[0,0,1]
	v_pk_fma_f32 v[100:101], v[100:101], v[88:89], v[104:105] op_sel:[0,0,1] op_sel_hi:[1,0,0]
	s_delay_alu instid0(VALU_DEP_1) | instskip(SKIP_1) | instid1(VALU_DEP_1)
	v_mov_b32_e32 v107, v101
	v_pk_mul_f32 v[100:101], v[102:103], v[90:91] op_sel:[0,1]
	v_pk_fma_f32 v[104:105], v[102:103], v[88:89], v[100:101] op_sel:[0,0,1] op_sel_hi:[1,1,0] neg_lo:[0,0,1] neg_hi:[0,0,1]
	v_pk_fma_f32 v[100:101], v[102:103], v[88:89], v[100:101] op_sel:[0,0,1] op_sel_hi:[1,0,0]
	s_delay_alu instid0(VALU_DEP_1)
	v_mov_b32_e32 v105, v101
	ds_load_2addr_b64 v[100:103], v236 offset0:27 offset1:28
	v_pk_add_f32 v[110:111], v[110:111], v[106:107] neg_lo:[0,1] neg_hi:[0,1]
	v_pk_add_f32 v[112:113], v[112:113], v[104:105] neg_lo:[0,1] neg_hi:[0,1]
	s_wait_dscnt 0x0
	v_pk_mul_f32 v[104:105], v[100:101], v[90:91] op_sel:[0,1]
	s_delay_alu instid0(VALU_DEP_1) | instskip(SKIP_2) | instid1(VALU_DEP_2)
	v_pk_fma_f32 v[106:107], v[100:101], v[88:89], v[104:105] op_sel:[0,0,1] op_sel_hi:[1,1,0] neg_lo:[0,0,1] neg_hi:[0,0,1]
	v_pk_fma_f32 v[100:101], v[100:101], v[88:89], v[104:105] op_sel:[0,0,1] op_sel_hi:[1,0,0]
	v_dual_mul_f32 v104, v103, v91 :: v_dual_mov_b32 v100, v103
	v_dual_mov_b32 v107, v101 :: v_dual_mov_b32 v101, v102
	s_delay_alu instid0(VALU_DEP_2) | instskip(SKIP_1) | instid1(VALU_DEP_3)
	v_pk_fma_f32 v[104:105], v[102:103], v[114:115], v[104:105] op_sel_hi:[1,1,0] neg_lo:[0,0,1] neg_hi:[0,0,1]
	v_mul_f32_e32 v102, v103, v88
	v_pk_add_f32 v[108:109], v[108:109], v[106:107] neg_lo:[0,1] neg_hi:[0,1]
	s_delay_alu instid0(VALU_DEP_2) | instskip(NEXT) | instid1(VALU_DEP_1)
	v_pk_fma_f32 v[100:101], v[100:101], v[114:115], v[102:103] op_sel_hi:[1,1,0]
	v_mov_b32_e32 v105, v101
	ds_load_2addr_b64 v[100:103], v236 offset0:29 offset1:30
	v_pk_add_f32 v[130:131], v[130:131], v[104:105] neg_lo:[0,1] neg_hi:[0,1]
	s_wait_dscnt 0x0
	v_pk_mul_f32 v[104:105], v[100:101], v[90:91] op_sel:[0,1]
	s_delay_alu instid0(VALU_DEP_1) | instskip(SKIP_1) | instid1(VALU_DEP_1)
	v_pk_fma_f32 v[106:107], v[100:101], v[88:89], v[104:105] op_sel:[0,0,1] op_sel_hi:[1,1,0] neg_lo:[0,0,1] neg_hi:[0,0,1]
	v_pk_fma_f32 v[100:101], v[100:101], v[88:89], v[104:105] op_sel:[0,0,1] op_sel_hi:[1,0,0]
	v_mov_b32_e32 v107, v101
	v_pk_mul_f32 v[100:101], v[102:103], v[90:91] op_sel:[0,1]
	s_delay_alu instid0(VALU_DEP_1) | instskip(SKIP_1) | instid1(VALU_DEP_1)
	v_pk_fma_f32 v[104:105], v[102:103], v[88:89], v[100:101] op_sel:[0,0,1] op_sel_hi:[1,1,0] neg_lo:[0,0,1] neg_hi:[0,0,1]
	v_pk_fma_f32 v[100:101], v[102:103], v[88:89], v[100:101] op_sel:[0,0,1] op_sel_hi:[1,0,0]
	v_mov_b32_e32 v105, v101
	ds_load_2addr_b64 v[100:103], v236 offset0:31 offset1:32
	v_pk_add_f32 v[126:127], v[126:127], v[106:107] neg_lo:[0,1] neg_hi:[0,1]
	v_pk_add_f32 v[128:129], v[128:129], v[104:105] neg_lo:[0,1] neg_hi:[0,1]
	s_wait_dscnt 0x0
	v_pk_mul_f32 v[104:105], v[100:101], v[90:91] op_sel:[0,1]
	s_delay_alu instid0(VALU_DEP_1) | instskip(SKIP_1) | instid1(VALU_DEP_1)
	v_pk_fma_f32 v[106:107], v[100:101], v[88:89], v[104:105] op_sel:[0,0,1] op_sel_hi:[1,1,0] neg_lo:[0,0,1] neg_hi:[0,0,1]
	v_pk_fma_f32 v[100:101], v[100:101], v[88:89], v[104:105] op_sel:[0,0,1] op_sel_hi:[1,0,0]
	v_mov_b32_e32 v107, v101
	v_pk_mul_f32 v[100:101], v[102:103], v[90:91] op_sel:[0,1]
	s_delay_alu instid0(VALU_DEP_1) | instskip(SKIP_1) | instid1(VALU_DEP_1)
	v_pk_fma_f32 v[104:105], v[102:103], v[88:89], v[100:101] op_sel:[0,0,1] op_sel_hi:[1,1,0] neg_lo:[0,0,1] neg_hi:[0,0,1]
	v_pk_fma_f32 v[100:101], v[102:103], v[88:89], v[100:101] op_sel:[0,0,1] op_sel_hi:[1,0,0]
	v_mov_b32_e32 v105, v101
	ds_load_2addr_b64 v[100:103], v236 offset0:33 offset1:34
	v_pk_add_f32 v[124:125], v[124:125], v[106:107] neg_lo:[0,1] neg_hi:[0,1]
	v_pk_add_f32 v[146:147], v[146:147], v[104:105] neg_lo:[0,1] neg_hi:[0,1]
	s_wait_dscnt 0x0
	v_dual_mul_f32 v104, v101, v91 :: v_dual_mul_f32 v106, v101, v88
	s_delay_alu instid0(VALU_DEP_1) | instskip(NEXT) | instid1(VALU_DEP_2)
	v_pk_fma_f32 v[104:105], v[100:101], v[114:115], v[104:105] op_sel_hi:[1,1,0] neg_lo:[0,0,1] neg_hi:[0,0,1]
	v_pk_fma_f32 v[100:101], v[100:101], v[114:115], v[106:107] op_sel:[1,0,0] op_sel_hi:[0,1,0]
	s_delay_alu instid0(VALU_DEP_1) | instskip(SKIP_1) | instid1(VALU_DEP_2)
	v_mov_b32_e32 v105, v101
	v_pk_mul_f32 v[100:101], v[102:103], v[90:91] op_sel:[0,1]
	v_pk_add_f32 v[142:143], v[142:143], v[104:105] neg_lo:[0,1] neg_hi:[0,1]
	s_delay_alu instid0(VALU_DEP_2) | instskip(SKIP_1) | instid1(VALU_DEP_1)
	v_pk_fma_f32 v[104:105], v[102:103], v[88:89], v[100:101] op_sel:[0,0,1] op_sel_hi:[1,1,0] neg_lo:[0,0,1] neg_hi:[0,0,1]
	v_pk_fma_f32 v[100:101], v[102:103], v[88:89], v[100:101] op_sel:[0,0,1] op_sel_hi:[1,0,0]
	v_mov_b32_e32 v105, v101
	ds_load_2addr_b64 v[100:103], v236 offset0:35 offset1:36
	v_pk_add_f32 v[144:145], v[144:145], v[104:105] neg_lo:[0,1] neg_hi:[0,1]
	s_wait_dscnt 0x0
	v_pk_mul_f32 v[104:105], v[100:101], v[90:91] op_sel:[0,1]
	s_delay_alu instid0(VALU_DEP_1) | instskip(SKIP_1) | instid1(VALU_DEP_1)
	v_pk_fma_f32 v[106:107], v[100:101], v[88:89], v[104:105] op_sel:[0,0,1] op_sel_hi:[1,1,0] neg_lo:[0,0,1] neg_hi:[0,0,1]
	v_pk_fma_f32 v[100:101], v[100:101], v[88:89], v[104:105] op_sel:[0,0,1] op_sel_hi:[1,0,0]
	v_mov_b32_e32 v107, v101
	v_pk_mul_f32 v[100:101], v[102:103], v[90:91] op_sel:[0,1]
	s_delay_alu instid0(VALU_DEP_2) | instskip(NEXT) | instid1(VALU_DEP_2)
	v_pk_add_f32 v[140:141], v[140:141], v[106:107] neg_lo:[0,1] neg_hi:[0,1]
	v_pk_fma_f32 v[104:105], v[102:103], v[88:89], v[100:101] op_sel:[0,0,1] op_sel_hi:[1,1,0] neg_lo:[0,0,1] neg_hi:[0,0,1]
	v_pk_fma_f32 v[100:101], v[102:103], v[88:89], v[100:101] op_sel:[0,0,1] op_sel_hi:[1,0,0]
	s_delay_alu instid0(VALU_DEP_1) | instskip(SKIP_4) | instid1(VALU_DEP_1)
	v_mov_b32_e32 v105, v101
	ds_load_2addr_b64 v[100:103], v236 offset0:37 offset1:38
	v_pk_add_f32 v[162:163], v[162:163], v[104:105] neg_lo:[0,1] neg_hi:[0,1]
	s_wait_dscnt 0x0
	v_pk_mul_f32 v[104:105], v[100:101], v[90:91] op_sel:[0,1]
	v_pk_fma_f32 v[106:107], v[100:101], v[88:89], v[104:105] op_sel:[0,0,1] op_sel_hi:[1,1,0] neg_lo:[0,0,1] neg_hi:[0,0,1]
	v_pk_fma_f32 v[100:101], v[100:101], v[88:89], v[104:105] op_sel:[0,0,1] op_sel_hi:[1,0,0]
	v_dual_mul_f32 v104, v103, v91 :: v_dual_mov_b32 v100, v103
	s_delay_alu instid0(VALU_DEP_2) | instskip(NEXT) | instid1(VALU_DEP_2)
	v_dual_mov_b32 v107, v101 :: v_dual_mov_b32 v101, v102
	v_pk_fma_f32 v[104:105], v[102:103], v[114:115], v[104:105] op_sel_hi:[1,1,0] neg_lo:[0,0,1] neg_hi:[0,0,1]
	v_mul_f32_e32 v102, v103, v88
	s_delay_alu instid0(VALU_DEP_3) | instskip(NEXT) | instid1(VALU_DEP_2)
	v_pk_add_f32 v[158:159], v[158:159], v[106:107] neg_lo:[0,1] neg_hi:[0,1]
	v_pk_fma_f32 v[100:101], v[100:101], v[114:115], v[102:103] op_sel_hi:[1,1,0]
	s_delay_alu instid0(VALU_DEP_1) | instskip(SKIP_4) | instid1(VALU_DEP_1)
	v_mov_b32_e32 v105, v101
	ds_load_2addr_b64 v[100:103], v236 offset0:39 offset1:40
	v_pk_add_f32 v[160:161], v[160:161], v[104:105] neg_lo:[0,1] neg_hi:[0,1]
	s_wait_dscnt 0x0
	v_pk_mul_f32 v[104:105], v[100:101], v[90:91] op_sel:[0,1]
	v_pk_fma_f32 v[106:107], v[100:101], v[88:89], v[104:105] op_sel:[0,0,1] op_sel_hi:[1,1,0] neg_lo:[0,0,1] neg_hi:[0,0,1]
	v_pk_fma_f32 v[100:101], v[100:101], v[88:89], v[104:105] op_sel:[0,0,1] op_sel_hi:[1,0,0]
	s_delay_alu instid0(VALU_DEP_1) | instskip(SKIP_1) | instid1(VALU_DEP_1)
	v_mov_b32_e32 v107, v101
	v_pk_mul_f32 v[100:101], v[102:103], v[90:91] op_sel:[0,1]
	v_pk_fma_f32 v[104:105], v[102:103], v[88:89], v[100:101] op_sel:[0,0,1] op_sel_hi:[1,1,0] neg_lo:[0,0,1] neg_hi:[0,0,1]
	v_pk_fma_f32 v[100:101], v[102:103], v[88:89], v[100:101] op_sel:[0,0,1] op_sel_hi:[1,0,0]
	s_delay_alu instid0(VALU_DEP_1)
	v_mov_b32_e32 v105, v101
	ds_load_2addr_b64 v[100:103], v236 offset0:41 offset1:42
	v_pk_add_f32 v[156:157], v[156:157], v[106:107] neg_lo:[0,1] neg_hi:[0,1]
	v_pk_add_f32 v[178:179], v[178:179], v[104:105] neg_lo:[0,1] neg_hi:[0,1]
	s_wait_dscnt 0x0
	v_pk_mul_f32 v[104:105], v[100:101], v[90:91] op_sel:[0,1]
	s_delay_alu instid0(VALU_DEP_1) | instskip(SKIP_1) | instid1(VALU_DEP_1)
	v_pk_fma_f32 v[106:107], v[100:101], v[88:89], v[104:105] op_sel:[0,0,1] op_sel_hi:[1,1,0] neg_lo:[0,0,1] neg_hi:[0,0,1]
	v_pk_fma_f32 v[100:101], v[100:101], v[88:89], v[104:105] op_sel:[0,0,1] op_sel_hi:[1,0,0]
	v_mov_b32_e32 v107, v101
	v_pk_mul_f32 v[100:101], v[102:103], v[90:91] op_sel:[0,1]
	s_delay_alu instid0(VALU_DEP_1) | instskip(SKIP_1) | instid1(VALU_DEP_1)
	v_pk_fma_f32 v[104:105], v[102:103], v[88:89], v[100:101] op_sel:[0,0,1] op_sel_hi:[1,1,0] neg_lo:[0,0,1] neg_hi:[0,0,1]
	v_pk_fma_f32 v[100:101], v[102:103], v[88:89], v[100:101] op_sel:[0,0,1] op_sel_hi:[1,0,0]
	v_mov_b32_e32 v105, v101
	ds_load_2addr_b64 v[100:103], v236 offset0:43 offset1:44
	v_pk_add_f32 v[174:175], v[174:175], v[106:107] neg_lo:[0,1] neg_hi:[0,1]
	v_pk_add_f32 v[176:177], v[176:177], v[104:105] neg_lo:[0,1] neg_hi:[0,1]
	s_wait_dscnt 0x0
	v_dual_mul_f32 v104, v101, v91 :: v_dual_mul_f32 v106, v101, v88
	s_delay_alu instid0(VALU_DEP_1) | instskip(NEXT) | instid1(VALU_DEP_2)
	v_pk_fma_f32 v[104:105], v[100:101], v[114:115], v[104:105] op_sel_hi:[1,1,0] neg_lo:[0,0,1] neg_hi:[0,0,1]
	v_pk_fma_f32 v[100:101], v[100:101], v[114:115], v[106:107] op_sel:[1,0,0] op_sel_hi:[0,1,0]
	s_delay_alu instid0(VALU_DEP_1) | instskip(SKIP_1) | instid1(VALU_DEP_2)
	v_mov_b32_e32 v105, v101
	v_pk_mul_f32 v[100:101], v[102:103], v[90:91] op_sel:[0,1]
	v_pk_add_f32 v[172:173], v[172:173], v[104:105] neg_lo:[0,1] neg_hi:[0,1]
	s_delay_alu instid0(VALU_DEP_2) | instskip(SKIP_1) | instid1(VALU_DEP_1)
	v_pk_fma_f32 v[104:105], v[102:103], v[88:89], v[100:101] op_sel:[0,0,1] op_sel_hi:[1,1,0] neg_lo:[0,0,1] neg_hi:[0,0,1]
	v_pk_fma_f32 v[100:101], v[102:103], v[88:89], v[100:101] op_sel:[0,0,1] op_sel_hi:[1,0,0]
	v_mov_b32_e32 v105, v101
	ds_load_2addr_b64 v[100:103], v236 offset0:45 offset1:46
	v_pk_add_f32 v[194:195], v[194:195], v[104:105] neg_lo:[0,1] neg_hi:[0,1]
	s_wait_dscnt 0x0
	v_pk_mul_f32 v[104:105], v[100:101], v[90:91] op_sel:[0,1]
	s_delay_alu instid0(VALU_DEP_1) | instskip(SKIP_1) | instid1(VALU_DEP_1)
	v_pk_fma_f32 v[106:107], v[100:101], v[88:89], v[104:105] op_sel:[0,0,1] op_sel_hi:[1,1,0] neg_lo:[0,0,1] neg_hi:[0,0,1]
	v_pk_fma_f32 v[100:101], v[100:101], v[88:89], v[104:105] op_sel:[0,0,1] op_sel_hi:[1,0,0]
	v_mov_b32_e32 v107, v101
	v_pk_mul_f32 v[100:101], v[102:103], v[90:91] op_sel:[0,1]
	s_delay_alu instid0(VALU_DEP_2) | instskip(NEXT) | instid1(VALU_DEP_2)
	v_pk_add_f32 v[190:191], v[190:191], v[106:107] neg_lo:[0,1] neg_hi:[0,1]
	v_pk_fma_f32 v[104:105], v[102:103], v[88:89], v[100:101] op_sel:[0,0,1] op_sel_hi:[1,1,0] neg_lo:[0,0,1] neg_hi:[0,0,1]
	v_pk_fma_f32 v[100:101], v[102:103], v[88:89], v[100:101] op_sel:[0,0,1] op_sel_hi:[1,0,0]
	s_delay_alu instid0(VALU_DEP_1) | instskip(SKIP_4) | instid1(VALU_DEP_1)
	v_mov_b32_e32 v105, v101
	ds_load_2addr_b64 v[100:103], v236 offset0:47 offset1:48
	v_pk_add_f32 v[192:193], v[192:193], v[104:105] neg_lo:[0,1] neg_hi:[0,1]
	s_wait_dscnt 0x0
	v_pk_mul_f32 v[104:105], v[100:101], v[90:91] op_sel:[0,1]
	v_pk_fma_f32 v[106:107], v[100:101], v[88:89], v[104:105] op_sel:[0,0,1] op_sel_hi:[1,1,0] neg_lo:[0,0,1] neg_hi:[0,0,1]
	v_pk_fma_f32 v[100:101], v[100:101], v[88:89], v[104:105] op_sel:[0,0,1] op_sel_hi:[1,0,0]
	v_dual_mul_f32 v104, v103, v91 :: v_dual_mov_b32 v100, v103
	s_delay_alu instid0(VALU_DEP_2) | instskip(NEXT) | instid1(VALU_DEP_2)
	v_dual_mov_b32 v107, v101 :: v_dual_mov_b32 v101, v102
	v_pk_fma_f32 v[104:105], v[102:103], v[114:115], v[104:105] op_sel_hi:[1,1,0] neg_lo:[0,0,1] neg_hi:[0,0,1]
	v_mul_f32_e32 v102, v103, v88
	s_delay_alu instid0(VALU_DEP_3) | instskip(NEXT) | instid1(VALU_DEP_2)
	v_pk_add_f32 v[188:189], v[188:189], v[106:107] neg_lo:[0,1] neg_hi:[0,1]
	v_pk_fma_f32 v[100:101], v[100:101], v[114:115], v[102:103] op_sel_hi:[1,1,0]
	s_delay_alu instid0(VALU_DEP_1) | instskip(SKIP_4) | instid1(VALU_DEP_1)
	v_mov_b32_e32 v105, v101
	ds_load_2addr_b64 v[100:103], v236 offset0:49 offset1:50
	v_pk_add_f32 v[210:211], v[210:211], v[104:105] neg_lo:[0,1] neg_hi:[0,1]
	s_wait_dscnt 0x0
	v_pk_mul_f32 v[104:105], v[100:101], v[90:91] op_sel:[0,1]
	v_pk_fma_f32 v[106:107], v[100:101], v[88:89], v[104:105] op_sel:[0,0,1] op_sel_hi:[1,1,0] neg_lo:[0,0,1] neg_hi:[0,0,1]
	v_pk_fma_f32 v[100:101], v[100:101], v[88:89], v[104:105] op_sel:[0,0,1] op_sel_hi:[1,0,0]
	s_delay_alu instid0(VALU_DEP_1) | instskip(SKIP_1) | instid1(VALU_DEP_1)
	v_mov_b32_e32 v107, v101
	v_pk_mul_f32 v[100:101], v[102:103], v[90:91] op_sel:[0,1]
	v_pk_fma_f32 v[104:105], v[102:103], v[88:89], v[100:101] op_sel:[0,0,1] op_sel_hi:[1,1,0] neg_lo:[0,0,1] neg_hi:[0,0,1]
	v_pk_fma_f32 v[100:101], v[102:103], v[88:89], v[100:101] op_sel:[0,0,1] op_sel_hi:[1,0,0]
	s_delay_alu instid0(VALU_DEP_1)
	v_mov_b32_e32 v105, v101
	ds_load_2addr_b64 v[100:103], v236 offset0:51 offset1:52
	v_pk_add_f32 v[206:207], v[206:207], v[106:107] neg_lo:[0,1] neg_hi:[0,1]
	v_pk_add_f32 v[208:209], v[208:209], v[104:105] neg_lo:[0,1] neg_hi:[0,1]
	s_wait_dscnt 0x0
	v_pk_mul_f32 v[104:105], v[100:101], v[90:91] op_sel:[0,1]
	s_delay_alu instid0(VALU_DEP_1) | instskip(SKIP_1) | instid1(VALU_DEP_1)
	v_pk_fma_f32 v[106:107], v[100:101], v[88:89], v[104:105] op_sel:[0,0,1] op_sel_hi:[1,1,0] neg_lo:[0,0,1] neg_hi:[0,0,1]
	v_pk_fma_f32 v[100:101], v[100:101], v[88:89], v[104:105] op_sel:[0,0,1] op_sel_hi:[1,0,0]
	v_mov_b32_e32 v107, v101
	v_pk_mul_f32 v[100:101], v[102:103], v[90:91] op_sel:[0,1]
	s_delay_alu instid0(VALU_DEP_1) | instskip(SKIP_1) | instid1(VALU_DEP_1)
	v_pk_fma_f32 v[104:105], v[102:103], v[88:89], v[100:101] op_sel:[0,0,1] op_sel_hi:[1,1,0] neg_lo:[0,0,1] neg_hi:[0,0,1]
	v_pk_fma_f32 v[100:101], v[102:103], v[88:89], v[100:101] op_sel:[0,0,1] op_sel_hi:[1,0,0]
	v_mov_b32_e32 v105, v101
	ds_load_2addr_b64 v[100:103], v236 offset0:53 offset1:54
	v_pk_add_f32 v[204:205], v[204:205], v[106:107] neg_lo:[0,1] neg_hi:[0,1]
	v_pk_add_f32 v[228:229], v[228:229], v[104:105] neg_lo:[0,1] neg_hi:[0,1]
	s_wait_dscnt 0x0
	v_dual_mul_f32 v104, v101, v91 :: v_dual_mul_f32 v106, v101, v88
	s_delay_alu instid0(VALU_DEP_1) | instskip(NEXT) | instid1(VALU_DEP_2)
	v_pk_fma_f32 v[104:105], v[100:101], v[114:115], v[104:105] op_sel_hi:[1,1,0] neg_lo:[0,0,1] neg_hi:[0,0,1]
	v_pk_fma_f32 v[100:101], v[100:101], v[114:115], v[106:107] op_sel:[1,0,0] op_sel_hi:[0,1,0]
	s_delay_alu instid0(VALU_DEP_1) | instskip(SKIP_1) | instid1(VALU_DEP_2)
	v_mov_b32_e32 v105, v101
	v_pk_mul_f32 v[100:101], v[102:103], v[90:91] op_sel:[0,1]
	v_pk_add_f32 v[224:225], v[224:225], v[104:105] neg_lo:[0,1] neg_hi:[0,1]
	s_delay_alu instid0(VALU_DEP_2) | instskip(SKIP_1) | instid1(VALU_DEP_1)
	v_pk_fma_f32 v[104:105], v[102:103], v[88:89], v[100:101] op_sel:[0,0,1] op_sel_hi:[1,1,0] neg_lo:[0,0,1] neg_hi:[0,0,1]
	v_pk_fma_f32 v[100:101], v[102:103], v[88:89], v[100:101] op_sel:[0,0,1] op_sel_hi:[1,0,0]
	v_mov_b32_e32 v105, v101
	ds_load_2addr_b64 v[100:103], v236 offset0:55 offset1:56
	v_pk_add_f32 v[226:227], v[226:227], v[104:105] neg_lo:[0,1] neg_hi:[0,1]
	s_wait_dscnt 0x0
	v_pk_mul_f32 v[104:105], v[100:101], v[90:91] op_sel:[0,1]
	s_delay_alu instid0(VALU_DEP_1) | instskip(SKIP_1) | instid1(VALU_DEP_1)
	v_pk_fma_f32 v[106:107], v[100:101], v[88:89], v[104:105] op_sel:[0,0,1] op_sel_hi:[1,1,0] neg_lo:[0,0,1] neg_hi:[0,0,1]
	v_pk_fma_f32 v[100:101], v[100:101], v[88:89], v[104:105] op_sel:[0,0,1] op_sel_hi:[1,0,0]
	v_mov_b32_e32 v107, v101
	v_pk_mul_f32 v[100:101], v[102:103], v[90:91] op_sel:[0,1]
	s_delay_alu instid0(VALU_DEP_2) | instskip(NEXT) | instid1(VALU_DEP_2)
	v_pk_add_f32 v[222:223], v[222:223], v[106:107] neg_lo:[0,1] neg_hi:[0,1]
	v_pk_fma_f32 v[104:105], v[102:103], v[88:89], v[100:101] op_sel:[0,0,1] op_sel_hi:[1,1,0] neg_lo:[0,0,1] neg_hi:[0,0,1]
	v_pk_fma_f32 v[100:101], v[102:103], v[88:89], v[100:101] op_sel:[0,0,1] op_sel_hi:[1,0,0]
	s_delay_alu instid0(VALU_DEP_1) | instskip(SKIP_4) | instid1(VALU_DEP_1)
	v_mov_b32_e32 v105, v101
	ds_load_2addr_b64 v[100:103], v236 offset0:57 offset1:58
	v_pk_add_f32 v[244:245], v[244:245], v[104:105] neg_lo:[0,1] neg_hi:[0,1]
	s_wait_dscnt 0x0
	v_pk_mul_f32 v[104:105], v[100:101], v[90:91] op_sel:[0,1]
	v_pk_fma_f32 v[106:107], v[100:101], v[88:89], v[104:105] op_sel:[0,0,1] op_sel_hi:[1,1,0] neg_lo:[0,0,1] neg_hi:[0,0,1]
	v_pk_fma_f32 v[100:101], v[100:101], v[88:89], v[104:105] op_sel:[0,0,1] op_sel_hi:[1,0,0]
	v_dual_mul_f32 v104, v103, v91 :: v_dual_mov_b32 v100, v103
	s_delay_alu instid0(VALU_DEP_2) | instskip(NEXT) | instid1(VALU_DEP_2)
	v_dual_mov_b32 v107, v101 :: v_dual_mov_b32 v101, v102
	v_pk_fma_f32 v[104:105], v[102:103], v[114:115], v[104:105] op_sel_hi:[1,1,0] neg_lo:[0,0,1] neg_hi:[0,0,1]
	v_mul_f32_e32 v102, v103, v88
	s_delay_alu instid0(VALU_DEP_3) | instskip(NEXT) | instid1(VALU_DEP_2)
	v_pk_add_f32 v[240:241], v[240:241], v[106:107] neg_lo:[0,1] neg_hi:[0,1]
	v_pk_fma_f32 v[100:101], v[100:101], v[114:115], v[102:103] op_sel_hi:[1,1,0]
	s_delay_alu instid0(VALU_DEP_1) | instskip(SKIP_4) | instid1(VALU_DEP_1)
	v_mov_b32_e32 v105, v101
	ds_load_2addr_b64 v[100:103], v236 offset0:59 offset1:60
	v_pk_add_f32 v[242:243], v[242:243], v[104:105] neg_lo:[0,1] neg_hi:[0,1]
	s_wait_dscnt 0x0
	v_pk_mul_f32 v[104:105], v[100:101], v[90:91] op_sel:[0,1]
	v_pk_fma_f32 v[106:107], v[100:101], v[88:89], v[104:105] op_sel:[0,0,1] op_sel_hi:[1,1,0] neg_lo:[0,0,1] neg_hi:[0,0,1]
	v_pk_fma_f32 v[100:101], v[100:101], v[88:89], v[104:105] op_sel:[0,0,1] op_sel_hi:[1,0,0]
	s_delay_alu instid0(VALU_DEP_1) | instskip(SKIP_1) | instid1(VALU_DEP_1)
	v_mov_b32_e32 v107, v101
	v_pk_mul_f32 v[100:101], v[102:103], v[90:91] op_sel:[0,1]
	v_pk_fma_f32 v[104:105], v[102:103], v[88:89], v[100:101] op_sel:[0,0,1] op_sel_hi:[1,1,0] neg_lo:[0,0,1] neg_hi:[0,0,1]
	v_pk_fma_f32 v[100:101], v[102:103], v[88:89], v[100:101] op_sel:[0,0,1] op_sel_hi:[1,0,0]
	s_delay_alu instid0(VALU_DEP_1)
	v_mov_b32_e32 v105, v101
	ds_load_b64 v[100:101], v236 offset:488
	v_pk_add_f32 v[238:239], v[238:239], v[106:107] neg_lo:[0,1] neg_hi:[0,1]
	v_pk_add_f32 v[246:247], v[246:247], v[104:105] neg_lo:[0,1] neg_hi:[0,1]
	s_wait_dscnt 0x0
	v_pk_mul_f32 v[90:91], v[100:101], v[90:91] op_sel:[0,1]
	s_delay_alu instid0(VALU_DEP_1) | instskip(SKIP_1) | instid1(VALU_DEP_1)
	v_pk_fma_f32 v[102:103], v[100:101], v[88:89], v[90:91] op_sel:[0,0,1] op_sel_hi:[1,1,0] neg_lo:[0,0,1] neg_hi:[0,0,1]
	v_pk_fma_f32 v[88:89], v[100:101], v[88:89], v[90:91] op_sel:[0,0,1] op_sel_hi:[1,0,0]
	v_mov_b32_e32 v103, v89
	s_delay_alu instid0(VALU_DEP_1)
	v_pk_add_f32 v[248:249], v[248:249], v[102:103] neg_lo:[0,1] neg_hi:[0,1]
.LBB123_226:
	s_or_b32 exec_lo, exec_lo, s1
	s_delay_alu instid0(SALU_CYCLE_1)
	s_mov_b32 s2, exec_lo
	s_wait_dscnt 0x0
	s_barrier_signal -1
	s_barrier_wait -1
	v_cmpx_eq_u32_e32 25, v234
	s_cbranch_execz .LBB123_233
; %bb.227:
	v_dual_mov_b32 v88, v112 :: v_dual_mov_b32 v89, v113
	v_dual_mov_b32 v90, v108 :: v_dual_mov_b32 v91, v109
	ds_store_b64 v235, v[110:111]
	ds_store_2addr_b64 v236, v[88:89], v[90:91] offset0:26 offset1:27
	v_dual_mov_b32 v88, v130 :: v_dual_mov_b32 v89, v131
	v_dual_mov_b32 v90, v126 :: v_dual_mov_b32 v91, v127
	ds_store_2addr_b64 v236, v[88:89], v[90:91] offset0:28 offset1:29
	v_dual_mov_b32 v88, v128 :: v_dual_mov_b32 v89, v129
	v_dual_mov_b32 v90, v124 :: v_dual_mov_b32 v91, v125
	;; [unrolled: 3-line block ×16, first 2 shown]
	ds_store_2addr_b64 v236, v[88:89], v[90:91] offset0:58 offset1:59
	v_dual_mov_b32 v88, v246 :: v_dual_mov_b32 v89, v247
	ds_store_2addr_b64 v236, v[88:89], v[248:249] offset0:60 offset1:61
	ds_load_b64 v[88:89], v235
	s_wait_dscnt 0x0
	v_cmp_neq_f32_e32 vcc_lo, 0, v88
	v_cmp_neq_f32_e64 s1, 0, v89
	s_or_b32 s1, vcc_lo, s1
	s_delay_alu instid0(SALU_CYCLE_1)
	s_and_b32 exec_lo, exec_lo, s1
	s_cbranch_execz .LBB123_233
; %bb.228:
	v_cmp_ngt_f32_e64 s1, |v88|, |v89|
                                        ; implicit-def: $vgpr90_vgpr91
	s_and_saveexec_b32 s4, s1
	s_delay_alu instid0(SALU_CYCLE_1)
	s_xor_b32 s1, exec_lo, s4
	s_cbranch_execz .LBB123_230
; %bb.229:
	v_div_scale_f32 v0, null, v89, v89, v88
	v_div_scale_f32 v91, vcc_lo, v88, v89, v88
	s_delay_alu instid0(VALU_DEP_2) | instskip(SKIP_1) | instid1(TRANS32_DEP_1)
	v_rcp_f32_e32 v1, v0
	v_nop
	v_fma_f32 v90, -v0, v1, 1.0
	s_delay_alu instid0(VALU_DEP_1) | instskip(NEXT) | instid1(VALU_DEP_1)
	v_fmac_f32_e32 v1, v90, v1
	v_mul_f32_e32 v90, v91, v1
	s_delay_alu instid0(VALU_DEP_1) | instskip(NEXT) | instid1(VALU_DEP_1)
	v_fma_f32 v100, -v0, v90, v91
	v_fmac_f32_e32 v90, v100, v1
	s_delay_alu instid0(VALU_DEP_1) | instskip(NEXT) | instid1(VALU_DEP_1)
	v_fma_f32 v0, -v0, v90, v91
	v_div_fmas_f32 v0, v0, v1, v90
	s_delay_alu instid0(VALU_DEP_1) | instskip(NEXT) | instid1(VALU_DEP_1)
	v_div_fixup_f32 v0, v0, v89, v88
	v_fmac_f32_e32 v89, v88, v0
	s_delay_alu instid0(VALU_DEP_1) | instskip(SKIP_1) | instid1(VALU_DEP_2)
	v_div_scale_f32 v1, null, v89, v89, 1.0
	v_div_scale_f32 v91, vcc_lo, 1.0, v89, 1.0
	v_rcp_f32_e32 v88, v1
	v_nop
	s_delay_alu instid0(TRANS32_DEP_1) | instskip(NEXT) | instid1(VALU_DEP_1)
	v_fma_f32 v90, -v1, v88, 1.0
	v_fmac_f32_e32 v88, v90, v88
	s_delay_alu instid0(VALU_DEP_1) | instskip(NEXT) | instid1(VALU_DEP_1)
	v_mul_f32_e32 v90, v91, v88
	v_fma_f32 v100, -v1, v90, v91
	s_delay_alu instid0(VALU_DEP_1) | instskip(NEXT) | instid1(VALU_DEP_1)
	v_fmac_f32_e32 v90, v100, v88
	v_fma_f32 v1, -v1, v90, v91
	s_delay_alu instid0(VALU_DEP_1) | instskip(NEXT) | instid1(VALU_DEP_1)
	v_div_fmas_f32 v1, v1, v88, v90
	v_div_fixup_f32 v1, v1, v89, 1.0
                                        ; implicit-def: $vgpr88_vgpr89
	s_delay_alu instid0(VALU_DEP_1)
	v_mul_f32_e32 v90, v0, v1
	v_xor_b32_e32 v91, 0x80000000, v1
.LBB123_230:
	s_and_not1_saveexec_b32 s1, s1
	s_cbranch_execz .LBB123_232
; %bb.231:
	v_div_scale_f32 v0, null, v88, v88, v89
	v_div_scale_f32 v91, vcc_lo, v89, v88, v89
	s_delay_alu instid0(VALU_DEP_2) | instskip(SKIP_1) | instid1(TRANS32_DEP_1)
	v_rcp_f32_e32 v1, v0
	v_nop
	v_fma_f32 v90, -v0, v1, 1.0
	s_delay_alu instid0(VALU_DEP_1) | instskip(NEXT) | instid1(VALU_DEP_1)
	v_fmac_f32_e32 v1, v90, v1
	v_mul_f32_e32 v90, v91, v1
	s_delay_alu instid0(VALU_DEP_1) | instskip(NEXT) | instid1(VALU_DEP_1)
	v_fma_f32 v100, -v0, v90, v91
	v_fmac_f32_e32 v90, v100, v1
	s_delay_alu instid0(VALU_DEP_1) | instskip(NEXT) | instid1(VALU_DEP_1)
	v_fma_f32 v0, -v0, v90, v91
	v_div_fmas_f32 v0, v0, v1, v90
	s_delay_alu instid0(VALU_DEP_1) | instskip(NEXT) | instid1(VALU_DEP_1)
	v_div_fixup_f32 v0, v0, v88, v89
	v_fmac_f32_e32 v88, v89, v0
	s_delay_alu instid0(VALU_DEP_1) | instskip(NEXT) | instid1(VALU_DEP_1)
	v_div_scale_f32 v1, null, v88, v88, 1.0
	v_rcp_f32_e32 v89, v1
	v_nop
	s_delay_alu instid0(TRANS32_DEP_1) | instskip(NEXT) | instid1(VALU_DEP_1)
	v_fma_f32 v90, -v1, v89, 1.0
	v_fmac_f32_e32 v89, v90, v89
	v_div_scale_f32 v90, vcc_lo, 1.0, v88, 1.0
	s_delay_alu instid0(VALU_DEP_1) | instskip(NEXT) | instid1(VALU_DEP_1)
	v_mul_f32_e32 v91, v90, v89
	v_fma_f32 v100, -v1, v91, v90
	s_delay_alu instid0(VALU_DEP_1) | instskip(NEXT) | instid1(VALU_DEP_1)
	v_fmac_f32_e32 v91, v100, v89
	v_fma_f32 v1, -v1, v91, v90
	s_delay_alu instid0(VALU_DEP_1) | instskip(NEXT) | instid1(VALU_DEP_1)
	v_div_fmas_f32 v1, v1, v89, v91
	v_div_fixup_f32 v90, v1, v88, 1.0
	s_delay_alu instid0(VALU_DEP_1)
	v_mul_f32_e64 v91, v0, -v90
.LBB123_232:
	s_or_b32 exec_lo, exec_lo, s1
	ds_store_b64 v235, v[90:91]
.LBB123_233:
	s_or_b32 exec_lo, exec_lo, s2
	s_wait_dscnt 0x0
	s_barrier_signal -1
	s_barrier_wait -1
	ds_load_b64 v[88:89], v235
	s_mov_b32 s1, exec_lo
	v_cmpx_lt_u32_e32 25, v234
	s_cbranch_execz .LBB123_235
; %bb.234:
	ds_load_2addr_b64 v[102:105], v236 offset0:26 offset1:27
	s_wait_dscnt 0x1
	v_pk_mul_f32 v[100:101], v[88:89], v[110:111] op_sel:[1,1] op_sel_hi:[0,1]
	s_delay_alu instid0(VALU_DEP_1) | instskip(SKIP_1) | instid1(VALU_DEP_1)
	v_pk_fma_f32 v[90:91], v[88:89], v[110:111], v[100:101] op_sel_hi:[1,0,1] neg_lo:[0,0,1] neg_hi:[0,0,1]
	v_pk_fma_f32 v[100:101], v[88:89], v[110:111], v[100:101] op_sel_hi:[1,0,1]
	v_dual_mov_b32 v110, v90 :: v_dual_mov_b32 v111, v101
	s_wait_dscnt 0x0
	s_delay_alu instid0(VALU_DEP_2) | instskip(NEXT) | instid1(VALU_DEP_1)
	v_pk_mul_f32 v[106:107], v[102:103], v[100:101] op_sel:[0,1]
	v_pk_fma_f32 v[116:117], v[102:103], v[90:91], v[106:107] op_sel:[0,0,1] op_sel_hi:[1,1,0] neg_lo:[0,0,1] neg_hi:[0,0,1]
	v_pk_fma_f32 v[102:103], v[102:103], v[90:91], v[106:107] op_sel:[0,0,1] op_sel_hi:[1,0,0]
	s_delay_alu instid0(VALU_DEP_1) | instskip(SKIP_1) | instid1(VALU_DEP_1)
	v_mov_b32_e32 v117, v103
	v_pk_mul_f32 v[102:103], v[104:105], v[100:101] op_sel:[0,1]
	v_pk_fma_f32 v[106:107], v[104:105], v[90:91], v[102:103] op_sel:[0,0,1] op_sel_hi:[1,1,0] neg_lo:[0,0,1] neg_hi:[0,0,1]
	v_pk_fma_f32 v[102:103], v[104:105], v[90:91], v[102:103] op_sel:[0,0,1] op_sel_hi:[1,0,0]
	s_delay_alu instid0(VALU_DEP_1)
	v_mov_b32_e32 v107, v103
	ds_load_2addr_b64 v[102:105], v236 offset0:28 offset1:29
	v_pk_add_f32 v[112:113], v[112:113], v[116:117] neg_lo:[0,1] neg_hi:[0,1]
	v_pk_add_f32 v[108:109], v[108:109], v[106:107] neg_lo:[0,1] neg_hi:[0,1]
	s_wait_dscnt 0x0
	v_pk_mul_f32 v[106:107], v[102:103], v[100:101] op_sel:[0,1]
	s_delay_alu instid0(VALU_DEP_1) | instskip(SKIP_2) | instid1(VALU_DEP_2)
	v_pk_fma_f32 v[116:117], v[102:103], v[90:91], v[106:107] op_sel:[0,0,1] op_sel_hi:[1,1,0] neg_lo:[0,0,1] neg_hi:[0,0,1]
	v_pk_fma_f32 v[102:103], v[102:103], v[90:91], v[106:107] op_sel:[0,0,1] op_sel_hi:[1,0,0]
	v_dual_mul_f32 v106, v105, v101 :: v_dual_mov_b32 v102, v105
	v_dual_mov_b32 v117, v103 :: v_dual_mov_b32 v103, v104
	s_delay_alu instid0(VALU_DEP_2) | instskip(SKIP_1) | instid1(VALU_DEP_3)
	v_pk_fma_f32 v[106:107], v[104:105], v[110:111], v[106:107] op_sel_hi:[1,1,0] neg_lo:[0,0,1] neg_hi:[0,0,1]
	v_mul_f32_e32 v104, v105, v90
	v_pk_add_f32 v[130:131], v[130:131], v[116:117] neg_lo:[0,1] neg_hi:[0,1]
	s_delay_alu instid0(VALU_DEP_2) | instskip(NEXT) | instid1(VALU_DEP_1)
	v_pk_fma_f32 v[102:103], v[102:103], v[110:111], v[104:105] op_sel_hi:[1,1,0]
	v_mov_b32_e32 v107, v103
	ds_load_2addr_b64 v[102:105], v236 offset0:30 offset1:31
	v_pk_add_f32 v[126:127], v[126:127], v[106:107] neg_lo:[0,1] neg_hi:[0,1]
	s_wait_dscnt 0x0
	v_pk_mul_f32 v[106:107], v[102:103], v[100:101] op_sel:[0,1]
	s_delay_alu instid0(VALU_DEP_1) | instskip(SKIP_1) | instid1(VALU_DEP_1)
	v_pk_fma_f32 v[116:117], v[102:103], v[90:91], v[106:107] op_sel:[0,0,1] op_sel_hi:[1,1,0] neg_lo:[0,0,1] neg_hi:[0,0,1]
	v_pk_fma_f32 v[102:103], v[102:103], v[90:91], v[106:107] op_sel:[0,0,1] op_sel_hi:[1,0,0]
	v_mov_b32_e32 v117, v103
	v_pk_mul_f32 v[102:103], v[104:105], v[100:101] op_sel:[0,1]
	s_delay_alu instid0(VALU_DEP_1) | instskip(SKIP_1) | instid1(VALU_DEP_1)
	v_pk_fma_f32 v[106:107], v[104:105], v[90:91], v[102:103] op_sel:[0,0,1] op_sel_hi:[1,1,0] neg_lo:[0,0,1] neg_hi:[0,0,1]
	v_pk_fma_f32 v[102:103], v[104:105], v[90:91], v[102:103] op_sel:[0,0,1] op_sel_hi:[1,0,0]
	v_mov_b32_e32 v107, v103
	ds_load_2addr_b64 v[102:105], v236 offset0:32 offset1:33
	v_pk_add_f32 v[128:129], v[128:129], v[116:117] neg_lo:[0,1] neg_hi:[0,1]
	v_pk_add_f32 v[124:125], v[124:125], v[106:107] neg_lo:[0,1] neg_hi:[0,1]
	s_wait_dscnt 0x0
	v_pk_mul_f32 v[106:107], v[102:103], v[100:101] op_sel:[0,1]
	s_delay_alu instid0(VALU_DEP_1) | instskip(SKIP_1) | instid1(VALU_DEP_1)
	v_pk_fma_f32 v[116:117], v[102:103], v[90:91], v[106:107] op_sel:[0,0,1] op_sel_hi:[1,1,0] neg_lo:[0,0,1] neg_hi:[0,0,1]
	v_pk_fma_f32 v[102:103], v[102:103], v[90:91], v[106:107] op_sel:[0,0,1] op_sel_hi:[1,0,0]
	v_mov_b32_e32 v117, v103
	v_pk_mul_f32 v[102:103], v[104:105], v[100:101] op_sel:[0,1]
	s_delay_alu instid0(VALU_DEP_1) | instskip(SKIP_1) | instid1(VALU_DEP_1)
	v_pk_fma_f32 v[106:107], v[104:105], v[90:91], v[102:103] op_sel:[0,0,1] op_sel_hi:[1,1,0] neg_lo:[0,0,1] neg_hi:[0,0,1]
	v_pk_fma_f32 v[102:103], v[104:105], v[90:91], v[102:103] op_sel:[0,0,1] op_sel_hi:[1,0,0]
	v_mov_b32_e32 v107, v103
	ds_load_2addr_b64 v[102:105], v236 offset0:34 offset1:35
	v_pk_add_f32 v[146:147], v[146:147], v[116:117] neg_lo:[0,1] neg_hi:[0,1]
	v_pk_add_f32 v[142:143], v[142:143], v[106:107] neg_lo:[0,1] neg_hi:[0,1]
	s_wait_dscnt 0x0
	v_dual_mul_f32 v106, v103, v101 :: v_dual_mul_f32 v116, v103, v90
	s_delay_alu instid0(VALU_DEP_1) | instskip(NEXT) | instid1(VALU_DEP_2)
	v_pk_fma_f32 v[106:107], v[102:103], v[110:111], v[106:107] op_sel_hi:[1,1,0] neg_lo:[0,0,1] neg_hi:[0,0,1]
	v_pk_fma_f32 v[102:103], v[102:103], v[110:111], v[116:117] op_sel:[1,0,0] op_sel_hi:[0,1,0]
	s_delay_alu instid0(VALU_DEP_1) | instskip(SKIP_1) | instid1(VALU_DEP_2)
	v_mov_b32_e32 v107, v103
	v_pk_mul_f32 v[102:103], v[104:105], v[100:101] op_sel:[0,1]
	v_pk_add_f32 v[144:145], v[144:145], v[106:107] neg_lo:[0,1] neg_hi:[0,1]
	s_delay_alu instid0(VALU_DEP_2) | instskip(SKIP_1) | instid1(VALU_DEP_1)
	v_pk_fma_f32 v[106:107], v[104:105], v[90:91], v[102:103] op_sel:[0,0,1] op_sel_hi:[1,1,0] neg_lo:[0,0,1] neg_hi:[0,0,1]
	v_pk_fma_f32 v[102:103], v[104:105], v[90:91], v[102:103] op_sel:[0,0,1] op_sel_hi:[1,0,0]
	v_mov_b32_e32 v107, v103
	ds_load_2addr_b64 v[102:105], v236 offset0:36 offset1:37
	v_pk_add_f32 v[140:141], v[140:141], v[106:107] neg_lo:[0,1] neg_hi:[0,1]
	s_wait_dscnt 0x0
	v_pk_mul_f32 v[106:107], v[102:103], v[100:101] op_sel:[0,1]
	s_delay_alu instid0(VALU_DEP_1) | instskip(SKIP_1) | instid1(VALU_DEP_1)
	v_pk_fma_f32 v[116:117], v[102:103], v[90:91], v[106:107] op_sel:[0,0,1] op_sel_hi:[1,1,0] neg_lo:[0,0,1] neg_hi:[0,0,1]
	v_pk_fma_f32 v[102:103], v[102:103], v[90:91], v[106:107] op_sel:[0,0,1] op_sel_hi:[1,0,0]
	v_mov_b32_e32 v117, v103
	v_pk_mul_f32 v[102:103], v[104:105], v[100:101] op_sel:[0,1]
	s_delay_alu instid0(VALU_DEP_2) | instskip(NEXT) | instid1(VALU_DEP_2)
	v_pk_add_f32 v[162:163], v[162:163], v[116:117] neg_lo:[0,1] neg_hi:[0,1]
	v_pk_fma_f32 v[106:107], v[104:105], v[90:91], v[102:103] op_sel:[0,0,1] op_sel_hi:[1,1,0] neg_lo:[0,0,1] neg_hi:[0,0,1]
	v_pk_fma_f32 v[102:103], v[104:105], v[90:91], v[102:103] op_sel:[0,0,1] op_sel_hi:[1,0,0]
	s_delay_alu instid0(VALU_DEP_1) | instskip(SKIP_4) | instid1(VALU_DEP_1)
	v_mov_b32_e32 v107, v103
	ds_load_2addr_b64 v[102:105], v236 offset0:38 offset1:39
	v_pk_add_f32 v[158:159], v[158:159], v[106:107] neg_lo:[0,1] neg_hi:[0,1]
	s_wait_dscnt 0x0
	v_pk_mul_f32 v[106:107], v[102:103], v[100:101] op_sel:[0,1]
	v_pk_fma_f32 v[116:117], v[102:103], v[90:91], v[106:107] op_sel:[0,0,1] op_sel_hi:[1,1,0] neg_lo:[0,0,1] neg_hi:[0,0,1]
	v_pk_fma_f32 v[102:103], v[102:103], v[90:91], v[106:107] op_sel:[0,0,1] op_sel_hi:[1,0,0]
	v_dual_mul_f32 v106, v105, v101 :: v_dual_mov_b32 v102, v105
	s_delay_alu instid0(VALU_DEP_2) | instskip(NEXT) | instid1(VALU_DEP_2)
	v_dual_mov_b32 v117, v103 :: v_dual_mov_b32 v103, v104
	v_pk_fma_f32 v[106:107], v[104:105], v[110:111], v[106:107] op_sel_hi:[1,1,0] neg_lo:[0,0,1] neg_hi:[0,0,1]
	v_mul_f32_e32 v104, v105, v90
	s_delay_alu instid0(VALU_DEP_3) | instskip(NEXT) | instid1(VALU_DEP_2)
	v_pk_add_f32 v[160:161], v[160:161], v[116:117] neg_lo:[0,1] neg_hi:[0,1]
	v_pk_fma_f32 v[102:103], v[102:103], v[110:111], v[104:105] op_sel_hi:[1,1,0]
	s_delay_alu instid0(VALU_DEP_1) | instskip(SKIP_4) | instid1(VALU_DEP_1)
	v_mov_b32_e32 v107, v103
	ds_load_2addr_b64 v[102:105], v236 offset0:40 offset1:41
	v_pk_add_f32 v[156:157], v[156:157], v[106:107] neg_lo:[0,1] neg_hi:[0,1]
	s_wait_dscnt 0x0
	v_pk_mul_f32 v[106:107], v[102:103], v[100:101] op_sel:[0,1]
	v_pk_fma_f32 v[116:117], v[102:103], v[90:91], v[106:107] op_sel:[0,0,1] op_sel_hi:[1,1,0] neg_lo:[0,0,1] neg_hi:[0,0,1]
	v_pk_fma_f32 v[102:103], v[102:103], v[90:91], v[106:107] op_sel:[0,0,1] op_sel_hi:[1,0,0]
	s_delay_alu instid0(VALU_DEP_1) | instskip(SKIP_1) | instid1(VALU_DEP_1)
	v_mov_b32_e32 v117, v103
	v_pk_mul_f32 v[102:103], v[104:105], v[100:101] op_sel:[0,1]
	v_pk_fma_f32 v[106:107], v[104:105], v[90:91], v[102:103] op_sel:[0,0,1] op_sel_hi:[1,1,0] neg_lo:[0,0,1] neg_hi:[0,0,1]
	v_pk_fma_f32 v[102:103], v[104:105], v[90:91], v[102:103] op_sel:[0,0,1] op_sel_hi:[1,0,0]
	s_delay_alu instid0(VALU_DEP_1)
	v_mov_b32_e32 v107, v103
	ds_load_2addr_b64 v[102:105], v236 offset0:42 offset1:43
	v_pk_add_f32 v[178:179], v[178:179], v[116:117] neg_lo:[0,1] neg_hi:[0,1]
	v_pk_add_f32 v[174:175], v[174:175], v[106:107] neg_lo:[0,1] neg_hi:[0,1]
	s_wait_dscnt 0x0
	v_pk_mul_f32 v[106:107], v[102:103], v[100:101] op_sel:[0,1]
	s_delay_alu instid0(VALU_DEP_1) | instskip(SKIP_1) | instid1(VALU_DEP_1)
	v_pk_fma_f32 v[116:117], v[102:103], v[90:91], v[106:107] op_sel:[0,0,1] op_sel_hi:[1,1,0] neg_lo:[0,0,1] neg_hi:[0,0,1]
	v_pk_fma_f32 v[102:103], v[102:103], v[90:91], v[106:107] op_sel:[0,0,1] op_sel_hi:[1,0,0]
	v_mov_b32_e32 v117, v103
	v_pk_mul_f32 v[102:103], v[104:105], v[100:101] op_sel:[0,1]
	s_delay_alu instid0(VALU_DEP_1) | instskip(SKIP_1) | instid1(VALU_DEP_1)
	v_pk_fma_f32 v[106:107], v[104:105], v[90:91], v[102:103] op_sel:[0,0,1] op_sel_hi:[1,1,0] neg_lo:[0,0,1] neg_hi:[0,0,1]
	v_pk_fma_f32 v[102:103], v[104:105], v[90:91], v[102:103] op_sel:[0,0,1] op_sel_hi:[1,0,0]
	v_mov_b32_e32 v107, v103
	ds_load_2addr_b64 v[102:105], v236 offset0:44 offset1:45
	v_pk_add_f32 v[176:177], v[176:177], v[116:117] neg_lo:[0,1] neg_hi:[0,1]
	v_pk_add_f32 v[172:173], v[172:173], v[106:107] neg_lo:[0,1] neg_hi:[0,1]
	s_wait_dscnt 0x0
	v_dual_mul_f32 v106, v103, v101 :: v_dual_mul_f32 v116, v103, v90
	s_delay_alu instid0(VALU_DEP_1) | instskip(NEXT) | instid1(VALU_DEP_2)
	v_pk_fma_f32 v[106:107], v[102:103], v[110:111], v[106:107] op_sel_hi:[1,1,0] neg_lo:[0,0,1] neg_hi:[0,0,1]
	v_pk_fma_f32 v[102:103], v[102:103], v[110:111], v[116:117] op_sel:[1,0,0] op_sel_hi:[0,1,0]
	s_delay_alu instid0(VALU_DEP_1) | instskip(SKIP_1) | instid1(VALU_DEP_2)
	v_mov_b32_e32 v107, v103
	v_pk_mul_f32 v[102:103], v[104:105], v[100:101] op_sel:[0,1]
	v_pk_add_f32 v[194:195], v[194:195], v[106:107] neg_lo:[0,1] neg_hi:[0,1]
	s_delay_alu instid0(VALU_DEP_2) | instskip(SKIP_1) | instid1(VALU_DEP_1)
	v_pk_fma_f32 v[106:107], v[104:105], v[90:91], v[102:103] op_sel:[0,0,1] op_sel_hi:[1,1,0] neg_lo:[0,0,1] neg_hi:[0,0,1]
	v_pk_fma_f32 v[102:103], v[104:105], v[90:91], v[102:103] op_sel:[0,0,1] op_sel_hi:[1,0,0]
	v_mov_b32_e32 v107, v103
	ds_load_2addr_b64 v[102:105], v236 offset0:46 offset1:47
	v_pk_add_f32 v[190:191], v[190:191], v[106:107] neg_lo:[0,1] neg_hi:[0,1]
	s_wait_dscnt 0x0
	v_pk_mul_f32 v[106:107], v[102:103], v[100:101] op_sel:[0,1]
	s_delay_alu instid0(VALU_DEP_1) | instskip(SKIP_1) | instid1(VALU_DEP_1)
	v_pk_fma_f32 v[116:117], v[102:103], v[90:91], v[106:107] op_sel:[0,0,1] op_sel_hi:[1,1,0] neg_lo:[0,0,1] neg_hi:[0,0,1]
	v_pk_fma_f32 v[102:103], v[102:103], v[90:91], v[106:107] op_sel:[0,0,1] op_sel_hi:[1,0,0]
	v_mov_b32_e32 v117, v103
	v_pk_mul_f32 v[102:103], v[104:105], v[100:101] op_sel:[0,1]
	s_delay_alu instid0(VALU_DEP_2) | instskip(NEXT) | instid1(VALU_DEP_2)
	v_pk_add_f32 v[192:193], v[192:193], v[116:117] neg_lo:[0,1] neg_hi:[0,1]
	v_pk_fma_f32 v[106:107], v[104:105], v[90:91], v[102:103] op_sel:[0,0,1] op_sel_hi:[1,1,0] neg_lo:[0,0,1] neg_hi:[0,0,1]
	v_pk_fma_f32 v[102:103], v[104:105], v[90:91], v[102:103] op_sel:[0,0,1] op_sel_hi:[1,0,0]
	s_delay_alu instid0(VALU_DEP_1) | instskip(SKIP_4) | instid1(VALU_DEP_1)
	v_mov_b32_e32 v107, v103
	ds_load_2addr_b64 v[102:105], v236 offset0:48 offset1:49
	v_pk_add_f32 v[188:189], v[188:189], v[106:107] neg_lo:[0,1] neg_hi:[0,1]
	s_wait_dscnt 0x0
	v_pk_mul_f32 v[106:107], v[102:103], v[100:101] op_sel:[0,1]
	v_pk_fma_f32 v[116:117], v[102:103], v[90:91], v[106:107] op_sel:[0,0,1] op_sel_hi:[1,1,0] neg_lo:[0,0,1] neg_hi:[0,0,1]
	v_pk_fma_f32 v[102:103], v[102:103], v[90:91], v[106:107] op_sel:[0,0,1] op_sel_hi:[1,0,0]
	v_dual_mul_f32 v106, v105, v101 :: v_dual_mov_b32 v102, v105
	s_delay_alu instid0(VALU_DEP_2) | instskip(NEXT) | instid1(VALU_DEP_2)
	v_dual_mov_b32 v117, v103 :: v_dual_mov_b32 v103, v104
	v_pk_fma_f32 v[106:107], v[104:105], v[110:111], v[106:107] op_sel_hi:[1,1,0] neg_lo:[0,0,1] neg_hi:[0,0,1]
	v_mul_f32_e32 v104, v105, v90
	s_delay_alu instid0(VALU_DEP_3) | instskip(NEXT) | instid1(VALU_DEP_2)
	v_pk_add_f32 v[210:211], v[210:211], v[116:117] neg_lo:[0,1] neg_hi:[0,1]
	v_pk_fma_f32 v[102:103], v[102:103], v[110:111], v[104:105] op_sel_hi:[1,1,0]
	s_delay_alu instid0(VALU_DEP_1) | instskip(SKIP_4) | instid1(VALU_DEP_1)
	v_mov_b32_e32 v107, v103
	ds_load_2addr_b64 v[102:105], v236 offset0:50 offset1:51
	v_pk_add_f32 v[206:207], v[206:207], v[106:107] neg_lo:[0,1] neg_hi:[0,1]
	s_wait_dscnt 0x0
	v_pk_mul_f32 v[106:107], v[102:103], v[100:101] op_sel:[0,1]
	v_pk_fma_f32 v[116:117], v[102:103], v[90:91], v[106:107] op_sel:[0,0,1] op_sel_hi:[1,1,0] neg_lo:[0,0,1] neg_hi:[0,0,1]
	v_pk_fma_f32 v[102:103], v[102:103], v[90:91], v[106:107] op_sel:[0,0,1] op_sel_hi:[1,0,0]
	s_delay_alu instid0(VALU_DEP_1) | instskip(SKIP_1) | instid1(VALU_DEP_1)
	v_mov_b32_e32 v117, v103
	v_pk_mul_f32 v[102:103], v[104:105], v[100:101] op_sel:[0,1]
	v_pk_fma_f32 v[106:107], v[104:105], v[90:91], v[102:103] op_sel:[0,0,1] op_sel_hi:[1,1,0] neg_lo:[0,0,1] neg_hi:[0,0,1]
	v_pk_fma_f32 v[102:103], v[104:105], v[90:91], v[102:103] op_sel:[0,0,1] op_sel_hi:[1,0,0]
	s_delay_alu instid0(VALU_DEP_1)
	v_mov_b32_e32 v107, v103
	ds_load_2addr_b64 v[102:105], v236 offset0:52 offset1:53
	v_pk_add_f32 v[208:209], v[208:209], v[116:117] neg_lo:[0,1] neg_hi:[0,1]
	v_pk_add_f32 v[204:205], v[204:205], v[106:107] neg_lo:[0,1] neg_hi:[0,1]
	s_wait_dscnt 0x0
	v_pk_mul_f32 v[106:107], v[102:103], v[100:101] op_sel:[0,1]
	s_delay_alu instid0(VALU_DEP_1) | instskip(SKIP_1) | instid1(VALU_DEP_1)
	v_pk_fma_f32 v[116:117], v[102:103], v[90:91], v[106:107] op_sel:[0,0,1] op_sel_hi:[1,1,0] neg_lo:[0,0,1] neg_hi:[0,0,1]
	v_pk_fma_f32 v[102:103], v[102:103], v[90:91], v[106:107] op_sel:[0,0,1] op_sel_hi:[1,0,0]
	v_mov_b32_e32 v117, v103
	v_pk_mul_f32 v[102:103], v[104:105], v[100:101] op_sel:[0,1]
	s_delay_alu instid0(VALU_DEP_1) | instskip(SKIP_1) | instid1(VALU_DEP_1)
	v_pk_fma_f32 v[106:107], v[104:105], v[90:91], v[102:103] op_sel:[0,0,1] op_sel_hi:[1,1,0] neg_lo:[0,0,1] neg_hi:[0,0,1]
	v_pk_fma_f32 v[102:103], v[104:105], v[90:91], v[102:103] op_sel:[0,0,1] op_sel_hi:[1,0,0]
	v_mov_b32_e32 v107, v103
	ds_load_2addr_b64 v[102:105], v236 offset0:54 offset1:55
	v_pk_add_f32 v[228:229], v[228:229], v[116:117] neg_lo:[0,1] neg_hi:[0,1]
	v_pk_add_f32 v[224:225], v[224:225], v[106:107] neg_lo:[0,1] neg_hi:[0,1]
	s_wait_dscnt 0x0
	v_dual_mul_f32 v106, v103, v101 :: v_dual_mul_f32 v116, v103, v90
	s_delay_alu instid0(VALU_DEP_1) | instskip(NEXT) | instid1(VALU_DEP_2)
	v_pk_fma_f32 v[106:107], v[102:103], v[110:111], v[106:107] op_sel_hi:[1,1,0] neg_lo:[0,0,1] neg_hi:[0,0,1]
	v_pk_fma_f32 v[102:103], v[102:103], v[110:111], v[116:117] op_sel:[1,0,0] op_sel_hi:[0,1,0]
	s_delay_alu instid0(VALU_DEP_1) | instskip(SKIP_1) | instid1(VALU_DEP_2)
	v_mov_b32_e32 v107, v103
	v_pk_mul_f32 v[102:103], v[104:105], v[100:101] op_sel:[0,1]
	v_pk_add_f32 v[226:227], v[226:227], v[106:107] neg_lo:[0,1] neg_hi:[0,1]
	s_delay_alu instid0(VALU_DEP_2) | instskip(SKIP_1) | instid1(VALU_DEP_1)
	v_pk_fma_f32 v[106:107], v[104:105], v[90:91], v[102:103] op_sel:[0,0,1] op_sel_hi:[1,1,0] neg_lo:[0,0,1] neg_hi:[0,0,1]
	v_pk_fma_f32 v[102:103], v[104:105], v[90:91], v[102:103] op_sel:[0,0,1] op_sel_hi:[1,0,0]
	v_mov_b32_e32 v107, v103
	ds_load_2addr_b64 v[102:105], v236 offset0:56 offset1:57
	v_pk_add_f32 v[222:223], v[222:223], v[106:107] neg_lo:[0,1] neg_hi:[0,1]
	s_wait_dscnt 0x0
	v_pk_mul_f32 v[106:107], v[102:103], v[100:101] op_sel:[0,1]
	s_delay_alu instid0(VALU_DEP_1) | instskip(SKIP_1) | instid1(VALU_DEP_1)
	v_pk_fma_f32 v[116:117], v[102:103], v[90:91], v[106:107] op_sel:[0,0,1] op_sel_hi:[1,1,0] neg_lo:[0,0,1] neg_hi:[0,0,1]
	v_pk_fma_f32 v[102:103], v[102:103], v[90:91], v[106:107] op_sel:[0,0,1] op_sel_hi:[1,0,0]
	v_mov_b32_e32 v117, v103
	v_pk_mul_f32 v[102:103], v[104:105], v[100:101] op_sel:[0,1]
	s_delay_alu instid0(VALU_DEP_2) | instskip(NEXT) | instid1(VALU_DEP_2)
	v_pk_add_f32 v[244:245], v[244:245], v[116:117] neg_lo:[0,1] neg_hi:[0,1]
	v_pk_fma_f32 v[106:107], v[104:105], v[90:91], v[102:103] op_sel:[0,0,1] op_sel_hi:[1,1,0] neg_lo:[0,0,1] neg_hi:[0,0,1]
	v_pk_fma_f32 v[102:103], v[104:105], v[90:91], v[102:103] op_sel:[0,0,1] op_sel_hi:[1,0,0]
	s_delay_alu instid0(VALU_DEP_1) | instskip(SKIP_4) | instid1(VALU_DEP_1)
	v_mov_b32_e32 v107, v103
	ds_load_2addr_b64 v[102:105], v236 offset0:58 offset1:59
	v_pk_add_f32 v[240:241], v[240:241], v[106:107] neg_lo:[0,1] neg_hi:[0,1]
	s_wait_dscnt 0x0
	v_pk_mul_f32 v[106:107], v[102:103], v[100:101] op_sel:[0,1]
	v_pk_fma_f32 v[116:117], v[102:103], v[90:91], v[106:107] op_sel:[0,0,1] op_sel_hi:[1,1,0] neg_lo:[0,0,1] neg_hi:[0,0,1]
	v_pk_fma_f32 v[102:103], v[102:103], v[90:91], v[106:107] op_sel:[0,0,1] op_sel_hi:[1,0,0]
	v_dual_mul_f32 v106, v105, v101 :: v_dual_mov_b32 v102, v105
	s_delay_alu instid0(VALU_DEP_2) | instskip(NEXT) | instid1(VALU_DEP_2)
	v_dual_mov_b32 v117, v103 :: v_dual_mov_b32 v103, v104
	v_pk_fma_f32 v[106:107], v[104:105], v[110:111], v[106:107] op_sel_hi:[1,1,0] neg_lo:[0,0,1] neg_hi:[0,0,1]
	v_mul_f32_e32 v104, v105, v90
	s_delay_alu instid0(VALU_DEP_3) | instskip(NEXT) | instid1(VALU_DEP_2)
	v_pk_add_f32 v[242:243], v[242:243], v[116:117] neg_lo:[0,1] neg_hi:[0,1]
	v_pk_fma_f32 v[102:103], v[102:103], v[110:111], v[104:105] op_sel_hi:[1,1,0]
	s_delay_alu instid0(VALU_DEP_1)
	v_mov_b32_e32 v107, v103
	ds_load_2addr_b64 v[102:105], v236 offset0:60 offset1:61
	v_pk_add_f32 v[238:239], v[238:239], v[106:107] neg_lo:[0,1] neg_hi:[0,1]
	s_wait_dscnt 0x0
	v_pk_mul_f32 v[106:107], v[102:103], v[100:101] op_sel:[0,1]
	v_mul_f32_e32 v100, v105, v101
	s_delay_alu instid0(VALU_DEP_2) | instskip(SKIP_2) | instid1(VALU_DEP_4)
	v_pk_fma_f32 v[116:117], v[102:103], v[90:91], v[106:107] op_sel:[0,0,1] op_sel_hi:[1,1,0] neg_lo:[0,0,1] neg_hi:[0,0,1]
	v_pk_fma_f32 v[102:103], v[102:103], v[90:91], v[106:107] op_sel:[0,0,1] op_sel_hi:[1,0,0]
	v_dual_mov_b32 v102, v105 :: v_dual_mul_f32 v90, v105, v90
	v_pk_fma_f32 v[100:101], v[104:105], v[110:111], v[100:101] op_sel_hi:[1,1,0] neg_lo:[0,0,1] neg_hi:[0,0,1]
	s_delay_alu instid0(VALU_DEP_3) | instskip(NEXT) | instid1(VALU_DEP_1)
	v_dual_mov_b32 v117, v103 :: v_dual_mov_b32 v103, v104
	v_pk_add_f32 v[246:247], v[246:247], v[116:117] neg_lo:[0,1] neg_hi:[0,1]
	s_delay_alu instid0(VALU_DEP_2) | instskip(NEXT) | instid1(VALU_DEP_1)
	v_pk_fma_f32 v[90:91], v[102:103], v[110:111], v[90:91] op_sel_hi:[1,1,0]
	v_mov_b32_e32 v101, v91
	s_delay_alu instid0(VALU_DEP_1)
	v_pk_add_f32 v[248:249], v[248:249], v[100:101] neg_lo:[0,1] neg_hi:[0,1]
.LBB123_235:
	s_or_b32 exec_lo, exec_lo, s1
	s_delay_alu instid0(SALU_CYCLE_1)
	s_mov_b32 s2, exec_lo
	s_wait_dscnt 0x0
	s_barrier_signal -1
	s_barrier_wait -1
	v_cmpx_eq_u32_e32 26, v234
	s_cbranch_execz .LBB123_242
; %bb.236:
	ds_store_b64 v235, v[112:113]
	ds_store_2addr_b64 v236, v[108:109], v[130:131] offset0:27 offset1:28
	ds_store_2addr_b64 v236, v[126:127], v[128:129] offset0:29 offset1:30
	;; [unrolled: 1-line block ×17, first 2 shown]
	ds_store_b64 v236, v[248:249] offset:488
	ds_load_b64 v[90:91], v235
	s_wait_dscnt 0x0
	v_cmp_neq_f32_e32 vcc_lo, 0, v90
	v_cmp_neq_f32_e64 s1, 0, v91
	s_or_b32 s1, vcc_lo, s1
	s_delay_alu instid0(SALU_CYCLE_1)
	s_and_b32 exec_lo, exec_lo, s1
	s_cbranch_execz .LBB123_242
; %bb.237:
	v_cmp_ngt_f32_e64 s1, |v90|, |v91|
                                        ; implicit-def: $vgpr100_vgpr101
	s_and_saveexec_b32 s4, s1
	s_delay_alu instid0(SALU_CYCLE_1)
	s_xor_b32 s1, exec_lo, s4
	s_cbranch_execz .LBB123_239
; %bb.238:
	v_div_scale_f32 v0, null, v91, v91, v90
	v_div_scale_f32 v101, vcc_lo, v90, v91, v90
	s_delay_alu instid0(VALU_DEP_2) | instskip(SKIP_1) | instid1(TRANS32_DEP_1)
	v_rcp_f32_e32 v1, v0
	v_nop
	v_fma_f32 v100, -v0, v1, 1.0
	s_delay_alu instid0(VALU_DEP_1) | instskip(NEXT) | instid1(VALU_DEP_1)
	v_fmac_f32_e32 v1, v100, v1
	v_mul_f32_e32 v100, v101, v1
	s_delay_alu instid0(VALU_DEP_1) | instskip(NEXT) | instid1(VALU_DEP_1)
	v_fma_f32 v102, -v0, v100, v101
	v_fmac_f32_e32 v100, v102, v1
	s_delay_alu instid0(VALU_DEP_1) | instskip(NEXT) | instid1(VALU_DEP_1)
	v_fma_f32 v0, -v0, v100, v101
	v_div_fmas_f32 v0, v0, v1, v100
	s_delay_alu instid0(VALU_DEP_1) | instskip(NEXT) | instid1(VALU_DEP_1)
	v_div_fixup_f32 v0, v0, v91, v90
	v_fmac_f32_e32 v91, v90, v0
	s_delay_alu instid0(VALU_DEP_1) | instskip(SKIP_1) | instid1(VALU_DEP_2)
	v_div_scale_f32 v1, null, v91, v91, 1.0
	v_div_scale_f32 v101, vcc_lo, 1.0, v91, 1.0
	v_rcp_f32_e32 v90, v1
	v_nop
	s_delay_alu instid0(TRANS32_DEP_1) | instskip(NEXT) | instid1(VALU_DEP_1)
	v_fma_f32 v100, -v1, v90, 1.0
	v_fmac_f32_e32 v90, v100, v90
	s_delay_alu instid0(VALU_DEP_1) | instskip(NEXT) | instid1(VALU_DEP_1)
	v_mul_f32_e32 v100, v101, v90
	v_fma_f32 v102, -v1, v100, v101
	s_delay_alu instid0(VALU_DEP_1) | instskip(NEXT) | instid1(VALU_DEP_1)
	v_fmac_f32_e32 v100, v102, v90
	v_fma_f32 v1, -v1, v100, v101
	s_delay_alu instid0(VALU_DEP_1) | instskip(NEXT) | instid1(VALU_DEP_1)
	v_div_fmas_f32 v1, v1, v90, v100
	v_div_fixup_f32 v1, v1, v91, 1.0
                                        ; implicit-def: $vgpr90_vgpr91
	s_delay_alu instid0(VALU_DEP_1)
	v_mul_f32_e32 v100, v0, v1
	v_xor_b32_e32 v101, 0x80000000, v1
.LBB123_239:
	s_and_not1_saveexec_b32 s1, s1
	s_cbranch_execz .LBB123_241
; %bb.240:
	v_div_scale_f32 v0, null, v90, v90, v91
	v_div_scale_f32 v101, vcc_lo, v91, v90, v91
	s_delay_alu instid0(VALU_DEP_2) | instskip(SKIP_1) | instid1(TRANS32_DEP_1)
	v_rcp_f32_e32 v1, v0
	v_nop
	v_fma_f32 v100, -v0, v1, 1.0
	s_delay_alu instid0(VALU_DEP_1) | instskip(NEXT) | instid1(VALU_DEP_1)
	v_fmac_f32_e32 v1, v100, v1
	v_mul_f32_e32 v100, v101, v1
	s_delay_alu instid0(VALU_DEP_1) | instskip(NEXT) | instid1(VALU_DEP_1)
	v_fma_f32 v102, -v0, v100, v101
	v_fmac_f32_e32 v100, v102, v1
	s_delay_alu instid0(VALU_DEP_1) | instskip(NEXT) | instid1(VALU_DEP_1)
	v_fma_f32 v0, -v0, v100, v101
	v_div_fmas_f32 v0, v0, v1, v100
	s_delay_alu instid0(VALU_DEP_1) | instskip(NEXT) | instid1(VALU_DEP_1)
	v_div_fixup_f32 v0, v0, v90, v91
	v_fmac_f32_e32 v90, v91, v0
	s_delay_alu instid0(VALU_DEP_1) | instskip(NEXT) | instid1(VALU_DEP_1)
	v_div_scale_f32 v1, null, v90, v90, 1.0
	v_rcp_f32_e32 v91, v1
	v_nop
	s_delay_alu instid0(TRANS32_DEP_1) | instskip(NEXT) | instid1(VALU_DEP_1)
	v_fma_f32 v100, -v1, v91, 1.0
	v_fmac_f32_e32 v91, v100, v91
	v_div_scale_f32 v100, vcc_lo, 1.0, v90, 1.0
	s_delay_alu instid0(VALU_DEP_1) | instskip(NEXT) | instid1(VALU_DEP_1)
	v_mul_f32_e32 v101, v100, v91
	v_fma_f32 v102, -v1, v101, v100
	s_delay_alu instid0(VALU_DEP_1) | instskip(NEXT) | instid1(VALU_DEP_1)
	v_fmac_f32_e32 v101, v102, v91
	v_fma_f32 v1, -v1, v101, v100
	s_delay_alu instid0(VALU_DEP_1) | instskip(NEXT) | instid1(VALU_DEP_1)
	v_div_fmas_f32 v1, v1, v91, v101
	v_div_fixup_f32 v100, v1, v90, 1.0
	s_delay_alu instid0(VALU_DEP_1)
	v_mul_f32_e64 v101, v0, -v100
.LBB123_241:
	s_or_b32 exec_lo, exec_lo, s1
	ds_store_b64 v235, v[100:101]
.LBB123_242:
	s_or_b32 exec_lo, exec_lo, s2
	s_wait_dscnt 0x0
	s_barrier_signal -1
	s_barrier_wait -1
	ds_load_b64 v[90:91], v235
	s_mov_b32 s1, exec_lo
	v_cmpx_lt_u32_e32 26, v234
	s_cbranch_execz .LBB123_244
; %bb.243:
	ds_load_2addr_b64 v[104:107], v236 offset0:27 offset1:28
	s_wait_dscnt 0x1
	v_pk_mul_f32 v[102:103], v[90:91], v[112:113] op_sel:[1,1] op_sel_hi:[0,1]
	s_delay_alu instid0(VALU_DEP_1) | instskip(SKIP_1) | instid1(VALU_DEP_1)
	v_pk_fma_f32 v[100:101], v[90:91], v[112:113], v[102:103] op_sel_hi:[1,0,1] neg_lo:[0,0,1] neg_hi:[0,0,1]
	v_pk_fma_f32 v[102:103], v[90:91], v[112:113], v[102:103] op_sel_hi:[1,0,1]
	v_dual_mov_b32 v112, v100 :: v_dual_mov_b32 v113, v103
	s_wait_dscnt 0x0
	s_delay_alu instid0(VALU_DEP_2) | instskip(NEXT) | instid1(VALU_DEP_1)
	v_pk_mul_f32 v[116:117], v[104:105], v[102:103] op_sel:[0,1]
	v_pk_fma_f32 v[118:119], v[104:105], v[100:101], v[116:117] op_sel:[0,0,1] op_sel_hi:[1,1,0] neg_lo:[0,0,1] neg_hi:[0,0,1]
	v_pk_fma_f32 v[104:105], v[104:105], v[100:101], v[116:117] op_sel:[0,0,1] op_sel_hi:[1,0,0]
	s_delay_alu instid0(VALU_DEP_1) | instskip(SKIP_1) | instid1(VALU_DEP_1)
	v_mov_b32_e32 v119, v105
	v_pk_mul_f32 v[104:105], v[106:107], v[102:103] op_sel:[0,1]
	v_pk_fma_f32 v[116:117], v[106:107], v[100:101], v[104:105] op_sel:[0,0,1] op_sel_hi:[1,1,0] neg_lo:[0,0,1] neg_hi:[0,0,1]
	v_pk_fma_f32 v[104:105], v[106:107], v[100:101], v[104:105] op_sel:[0,0,1] op_sel_hi:[1,0,0]
	s_delay_alu instid0(VALU_DEP_1)
	v_mov_b32_e32 v117, v105
	ds_load_2addr_b64 v[104:107], v236 offset0:29 offset1:30
	v_pk_add_f32 v[108:109], v[108:109], v[118:119] neg_lo:[0,1] neg_hi:[0,1]
	v_pk_add_f32 v[130:131], v[130:131], v[116:117] neg_lo:[0,1] neg_hi:[0,1]
	s_wait_dscnt 0x0
	v_pk_mul_f32 v[116:117], v[104:105], v[102:103] op_sel:[0,1]
	s_delay_alu instid0(VALU_DEP_1) | instskip(SKIP_2) | instid1(VALU_DEP_2)
	v_pk_fma_f32 v[118:119], v[104:105], v[100:101], v[116:117] op_sel:[0,0,1] op_sel_hi:[1,1,0] neg_lo:[0,0,1] neg_hi:[0,0,1]
	v_pk_fma_f32 v[104:105], v[104:105], v[100:101], v[116:117] op_sel:[0,0,1] op_sel_hi:[1,0,0]
	v_dual_mul_f32 v116, v107, v103 :: v_dual_mov_b32 v104, v107
	v_dual_mov_b32 v119, v105 :: v_dual_mov_b32 v105, v106
	s_delay_alu instid0(VALU_DEP_2) | instskip(SKIP_1) | instid1(VALU_DEP_3)
	v_pk_fma_f32 v[116:117], v[106:107], v[112:113], v[116:117] op_sel_hi:[1,1,0] neg_lo:[0,0,1] neg_hi:[0,0,1]
	v_mul_f32_e32 v106, v107, v100
	v_pk_add_f32 v[126:127], v[126:127], v[118:119] neg_lo:[0,1] neg_hi:[0,1]
	s_delay_alu instid0(VALU_DEP_2) | instskip(NEXT) | instid1(VALU_DEP_1)
	v_pk_fma_f32 v[104:105], v[104:105], v[112:113], v[106:107] op_sel_hi:[1,1,0]
	v_mov_b32_e32 v117, v105
	ds_load_2addr_b64 v[104:107], v236 offset0:31 offset1:32
	v_pk_add_f32 v[128:129], v[128:129], v[116:117] neg_lo:[0,1] neg_hi:[0,1]
	s_wait_dscnt 0x0
	v_pk_mul_f32 v[116:117], v[104:105], v[102:103] op_sel:[0,1]
	s_delay_alu instid0(VALU_DEP_1) | instskip(SKIP_1) | instid1(VALU_DEP_1)
	v_pk_fma_f32 v[118:119], v[104:105], v[100:101], v[116:117] op_sel:[0,0,1] op_sel_hi:[1,1,0] neg_lo:[0,0,1] neg_hi:[0,0,1]
	v_pk_fma_f32 v[104:105], v[104:105], v[100:101], v[116:117] op_sel:[0,0,1] op_sel_hi:[1,0,0]
	v_mov_b32_e32 v119, v105
	v_pk_mul_f32 v[104:105], v[106:107], v[102:103] op_sel:[0,1]
	s_delay_alu instid0(VALU_DEP_1) | instskip(SKIP_1) | instid1(VALU_DEP_1)
	v_pk_fma_f32 v[116:117], v[106:107], v[100:101], v[104:105] op_sel:[0,0,1] op_sel_hi:[1,1,0] neg_lo:[0,0,1] neg_hi:[0,0,1]
	v_pk_fma_f32 v[104:105], v[106:107], v[100:101], v[104:105] op_sel:[0,0,1] op_sel_hi:[1,0,0]
	v_mov_b32_e32 v117, v105
	ds_load_2addr_b64 v[104:107], v236 offset0:33 offset1:34
	v_pk_add_f32 v[124:125], v[124:125], v[118:119] neg_lo:[0,1] neg_hi:[0,1]
	v_pk_add_f32 v[146:147], v[146:147], v[116:117] neg_lo:[0,1] neg_hi:[0,1]
	s_wait_dscnt 0x0
	v_pk_mul_f32 v[116:117], v[104:105], v[102:103] op_sel:[0,1]
	s_delay_alu instid0(VALU_DEP_1) | instskip(SKIP_1) | instid1(VALU_DEP_1)
	v_pk_fma_f32 v[118:119], v[104:105], v[100:101], v[116:117] op_sel:[0,0,1] op_sel_hi:[1,1,0] neg_lo:[0,0,1] neg_hi:[0,0,1]
	v_pk_fma_f32 v[104:105], v[104:105], v[100:101], v[116:117] op_sel:[0,0,1] op_sel_hi:[1,0,0]
	v_mov_b32_e32 v119, v105
	v_pk_mul_f32 v[104:105], v[106:107], v[102:103] op_sel:[0,1]
	s_delay_alu instid0(VALU_DEP_1) | instskip(SKIP_1) | instid1(VALU_DEP_1)
	v_pk_fma_f32 v[116:117], v[106:107], v[100:101], v[104:105] op_sel:[0,0,1] op_sel_hi:[1,1,0] neg_lo:[0,0,1] neg_hi:[0,0,1]
	v_pk_fma_f32 v[104:105], v[106:107], v[100:101], v[104:105] op_sel:[0,0,1] op_sel_hi:[1,0,0]
	v_mov_b32_e32 v117, v105
	ds_load_2addr_b64 v[104:107], v236 offset0:35 offset1:36
	v_pk_add_f32 v[142:143], v[142:143], v[118:119] neg_lo:[0,1] neg_hi:[0,1]
	v_pk_add_f32 v[144:145], v[144:145], v[116:117] neg_lo:[0,1] neg_hi:[0,1]
	s_wait_dscnt 0x0
	v_dual_mul_f32 v116, v105, v103 :: v_dual_mul_f32 v118, v105, v100
	s_delay_alu instid0(VALU_DEP_1) | instskip(NEXT) | instid1(VALU_DEP_2)
	v_pk_fma_f32 v[116:117], v[104:105], v[112:113], v[116:117] op_sel_hi:[1,1,0] neg_lo:[0,0,1] neg_hi:[0,0,1]
	v_pk_fma_f32 v[104:105], v[104:105], v[112:113], v[118:119] op_sel:[1,0,0] op_sel_hi:[0,1,0]
	s_delay_alu instid0(VALU_DEP_1) | instskip(SKIP_1) | instid1(VALU_DEP_2)
	v_mov_b32_e32 v117, v105
	v_pk_mul_f32 v[104:105], v[106:107], v[102:103] op_sel:[0,1]
	v_pk_add_f32 v[140:141], v[140:141], v[116:117] neg_lo:[0,1] neg_hi:[0,1]
	s_delay_alu instid0(VALU_DEP_2) | instskip(SKIP_1) | instid1(VALU_DEP_1)
	v_pk_fma_f32 v[116:117], v[106:107], v[100:101], v[104:105] op_sel:[0,0,1] op_sel_hi:[1,1,0] neg_lo:[0,0,1] neg_hi:[0,0,1]
	v_pk_fma_f32 v[104:105], v[106:107], v[100:101], v[104:105] op_sel:[0,0,1] op_sel_hi:[1,0,0]
	v_mov_b32_e32 v117, v105
	ds_load_2addr_b64 v[104:107], v236 offset0:37 offset1:38
	v_pk_add_f32 v[162:163], v[162:163], v[116:117] neg_lo:[0,1] neg_hi:[0,1]
	s_wait_dscnt 0x0
	v_pk_mul_f32 v[116:117], v[104:105], v[102:103] op_sel:[0,1]
	s_delay_alu instid0(VALU_DEP_1) | instskip(SKIP_1) | instid1(VALU_DEP_1)
	v_pk_fma_f32 v[118:119], v[104:105], v[100:101], v[116:117] op_sel:[0,0,1] op_sel_hi:[1,1,0] neg_lo:[0,0,1] neg_hi:[0,0,1]
	v_pk_fma_f32 v[104:105], v[104:105], v[100:101], v[116:117] op_sel:[0,0,1] op_sel_hi:[1,0,0]
	v_mov_b32_e32 v119, v105
	v_pk_mul_f32 v[104:105], v[106:107], v[102:103] op_sel:[0,1]
	s_delay_alu instid0(VALU_DEP_2) | instskip(NEXT) | instid1(VALU_DEP_2)
	v_pk_add_f32 v[158:159], v[158:159], v[118:119] neg_lo:[0,1] neg_hi:[0,1]
	v_pk_fma_f32 v[116:117], v[106:107], v[100:101], v[104:105] op_sel:[0,0,1] op_sel_hi:[1,1,0] neg_lo:[0,0,1] neg_hi:[0,0,1]
	v_pk_fma_f32 v[104:105], v[106:107], v[100:101], v[104:105] op_sel:[0,0,1] op_sel_hi:[1,0,0]
	s_delay_alu instid0(VALU_DEP_1) | instskip(SKIP_4) | instid1(VALU_DEP_1)
	v_mov_b32_e32 v117, v105
	ds_load_2addr_b64 v[104:107], v236 offset0:39 offset1:40
	v_pk_add_f32 v[160:161], v[160:161], v[116:117] neg_lo:[0,1] neg_hi:[0,1]
	s_wait_dscnt 0x0
	v_pk_mul_f32 v[116:117], v[104:105], v[102:103] op_sel:[0,1]
	v_pk_fma_f32 v[118:119], v[104:105], v[100:101], v[116:117] op_sel:[0,0,1] op_sel_hi:[1,1,0] neg_lo:[0,0,1] neg_hi:[0,0,1]
	v_pk_fma_f32 v[104:105], v[104:105], v[100:101], v[116:117] op_sel:[0,0,1] op_sel_hi:[1,0,0]
	v_dual_mul_f32 v116, v107, v103 :: v_dual_mov_b32 v104, v107
	s_delay_alu instid0(VALU_DEP_2) | instskip(NEXT) | instid1(VALU_DEP_2)
	v_dual_mov_b32 v119, v105 :: v_dual_mov_b32 v105, v106
	v_pk_fma_f32 v[116:117], v[106:107], v[112:113], v[116:117] op_sel_hi:[1,1,0] neg_lo:[0,0,1] neg_hi:[0,0,1]
	v_mul_f32_e32 v106, v107, v100
	s_delay_alu instid0(VALU_DEP_3) | instskip(NEXT) | instid1(VALU_DEP_2)
	v_pk_add_f32 v[156:157], v[156:157], v[118:119] neg_lo:[0,1] neg_hi:[0,1]
	v_pk_fma_f32 v[104:105], v[104:105], v[112:113], v[106:107] op_sel_hi:[1,1,0]
	s_delay_alu instid0(VALU_DEP_1) | instskip(SKIP_4) | instid1(VALU_DEP_1)
	v_mov_b32_e32 v117, v105
	ds_load_2addr_b64 v[104:107], v236 offset0:41 offset1:42
	v_pk_add_f32 v[178:179], v[178:179], v[116:117] neg_lo:[0,1] neg_hi:[0,1]
	s_wait_dscnt 0x0
	v_pk_mul_f32 v[116:117], v[104:105], v[102:103] op_sel:[0,1]
	v_pk_fma_f32 v[118:119], v[104:105], v[100:101], v[116:117] op_sel:[0,0,1] op_sel_hi:[1,1,0] neg_lo:[0,0,1] neg_hi:[0,0,1]
	v_pk_fma_f32 v[104:105], v[104:105], v[100:101], v[116:117] op_sel:[0,0,1] op_sel_hi:[1,0,0]
	s_delay_alu instid0(VALU_DEP_1) | instskip(SKIP_1) | instid1(VALU_DEP_1)
	v_mov_b32_e32 v119, v105
	v_pk_mul_f32 v[104:105], v[106:107], v[102:103] op_sel:[0,1]
	v_pk_fma_f32 v[116:117], v[106:107], v[100:101], v[104:105] op_sel:[0,0,1] op_sel_hi:[1,1,0] neg_lo:[0,0,1] neg_hi:[0,0,1]
	v_pk_fma_f32 v[104:105], v[106:107], v[100:101], v[104:105] op_sel:[0,0,1] op_sel_hi:[1,0,0]
	s_delay_alu instid0(VALU_DEP_1)
	v_mov_b32_e32 v117, v105
	ds_load_2addr_b64 v[104:107], v236 offset0:43 offset1:44
	v_pk_add_f32 v[174:175], v[174:175], v[118:119] neg_lo:[0,1] neg_hi:[0,1]
	v_pk_add_f32 v[176:177], v[176:177], v[116:117] neg_lo:[0,1] neg_hi:[0,1]
	s_wait_dscnt 0x0
	v_pk_mul_f32 v[116:117], v[104:105], v[102:103] op_sel:[0,1]
	s_delay_alu instid0(VALU_DEP_1) | instskip(SKIP_1) | instid1(VALU_DEP_1)
	v_pk_fma_f32 v[118:119], v[104:105], v[100:101], v[116:117] op_sel:[0,0,1] op_sel_hi:[1,1,0] neg_lo:[0,0,1] neg_hi:[0,0,1]
	v_pk_fma_f32 v[104:105], v[104:105], v[100:101], v[116:117] op_sel:[0,0,1] op_sel_hi:[1,0,0]
	v_mov_b32_e32 v119, v105
	v_pk_mul_f32 v[104:105], v[106:107], v[102:103] op_sel:[0,1]
	s_delay_alu instid0(VALU_DEP_1) | instskip(SKIP_1) | instid1(VALU_DEP_1)
	v_pk_fma_f32 v[116:117], v[106:107], v[100:101], v[104:105] op_sel:[0,0,1] op_sel_hi:[1,1,0] neg_lo:[0,0,1] neg_hi:[0,0,1]
	v_pk_fma_f32 v[104:105], v[106:107], v[100:101], v[104:105] op_sel:[0,0,1] op_sel_hi:[1,0,0]
	v_mov_b32_e32 v117, v105
	ds_load_2addr_b64 v[104:107], v236 offset0:45 offset1:46
	v_pk_add_f32 v[172:173], v[172:173], v[118:119] neg_lo:[0,1] neg_hi:[0,1]
	v_pk_add_f32 v[194:195], v[194:195], v[116:117] neg_lo:[0,1] neg_hi:[0,1]
	s_wait_dscnt 0x0
	v_dual_mul_f32 v116, v105, v103 :: v_dual_mul_f32 v118, v105, v100
	s_delay_alu instid0(VALU_DEP_1) | instskip(NEXT) | instid1(VALU_DEP_2)
	v_pk_fma_f32 v[116:117], v[104:105], v[112:113], v[116:117] op_sel_hi:[1,1,0] neg_lo:[0,0,1] neg_hi:[0,0,1]
	v_pk_fma_f32 v[104:105], v[104:105], v[112:113], v[118:119] op_sel:[1,0,0] op_sel_hi:[0,1,0]
	s_delay_alu instid0(VALU_DEP_1) | instskip(SKIP_1) | instid1(VALU_DEP_2)
	v_mov_b32_e32 v117, v105
	v_pk_mul_f32 v[104:105], v[106:107], v[102:103] op_sel:[0,1]
	v_pk_add_f32 v[190:191], v[190:191], v[116:117] neg_lo:[0,1] neg_hi:[0,1]
	s_delay_alu instid0(VALU_DEP_2) | instskip(SKIP_1) | instid1(VALU_DEP_1)
	v_pk_fma_f32 v[116:117], v[106:107], v[100:101], v[104:105] op_sel:[0,0,1] op_sel_hi:[1,1,0] neg_lo:[0,0,1] neg_hi:[0,0,1]
	v_pk_fma_f32 v[104:105], v[106:107], v[100:101], v[104:105] op_sel:[0,0,1] op_sel_hi:[1,0,0]
	v_mov_b32_e32 v117, v105
	ds_load_2addr_b64 v[104:107], v236 offset0:47 offset1:48
	v_pk_add_f32 v[192:193], v[192:193], v[116:117] neg_lo:[0,1] neg_hi:[0,1]
	s_wait_dscnt 0x0
	v_pk_mul_f32 v[116:117], v[104:105], v[102:103] op_sel:[0,1]
	s_delay_alu instid0(VALU_DEP_1) | instskip(SKIP_1) | instid1(VALU_DEP_1)
	v_pk_fma_f32 v[118:119], v[104:105], v[100:101], v[116:117] op_sel:[0,0,1] op_sel_hi:[1,1,0] neg_lo:[0,0,1] neg_hi:[0,0,1]
	v_pk_fma_f32 v[104:105], v[104:105], v[100:101], v[116:117] op_sel:[0,0,1] op_sel_hi:[1,0,0]
	v_mov_b32_e32 v119, v105
	v_pk_mul_f32 v[104:105], v[106:107], v[102:103] op_sel:[0,1]
	s_delay_alu instid0(VALU_DEP_2) | instskip(NEXT) | instid1(VALU_DEP_2)
	v_pk_add_f32 v[188:189], v[188:189], v[118:119] neg_lo:[0,1] neg_hi:[0,1]
	v_pk_fma_f32 v[116:117], v[106:107], v[100:101], v[104:105] op_sel:[0,0,1] op_sel_hi:[1,1,0] neg_lo:[0,0,1] neg_hi:[0,0,1]
	v_pk_fma_f32 v[104:105], v[106:107], v[100:101], v[104:105] op_sel:[0,0,1] op_sel_hi:[1,0,0]
	s_delay_alu instid0(VALU_DEP_1) | instskip(SKIP_4) | instid1(VALU_DEP_1)
	v_mov_b32_e32 v117, v105
	ds_load_2addr_b64 v[104:107], v236 offset0:49 offset1:50
	v_pk_add_f32 v[210:211], v[210:211], v[116:117] neg_lo:[0,1] neg_hi:[0,1]
	s_wait_dscnt 0x0
	v_pk_mul_f32 v[116:117], v[104:105], v[102:103] op_sel:[0,1]
	v_pk_fma_f32 v[118:119], v[104:105], v[100:101], v[116:117] op_sel:[0,0,1] op_sel_hi:[1,1,0] neg_lo:[0,0,1] neg_hi:[0,0,1]
	v_pk_fma_f32 v[104:105], v[104:105], v[100:101], v[116:117] op_sel:[0,0,1] op_sel_hi:[1,0,0]
	v_dual_mul_f32 v116, v107, v103 :: v_dual_mov_b32 v104, v107
	s_delay_alu instid0(VALU_DEP_2) | instskip(NEXT) | instid1(VALU_DEP_2)
	v_dual_mov_b32 v119, v105 :: v_dual_mov_b32 v105, v106
	v_pk_fma_f32 v[116:117], v[106:107], v[112:113], v[116:117] op_sel_hi:[1,1,0] neg_lo:[0,0,1] neg_hi:[0,0,1]
	v_mul_f32_e32 v106, v107, v100
	s_delay_alu instid0(VALU_DEP_3) | instskip(NEXT) | instid1(VALU_DEP_2)
	v_pk_add_f32 v[206:207], v[206:207], v[118:119] neg_lo:[0,1] neg_hi:[0,1]
	v_pk_fma_f32 v[104:105], v[104:105], v[112:113], v[106:107] op_sel_hi:[1,1,0]
	s_delay_alu instid0(VALU_DEP_1) | instskip(SKIP_4) | instid1(VALU_DEP_1)
	v_mov_b32_e32 v117, v105
	ds_load_2addr_b64 v[104:107], v236 offset0:51 offset1:52
	v_pk_add_f32 v[208:209], v[208:209], v[116:117] neg_lo:[0,1] neg_hi:[0,1]
	s_wait_dscnt 0x0
	v_pk_mul_f32 v[116:117], v[104:105], v[102:103] op_sel:[0,1]
	v_pk_fma_f32 v[118:119], v[104:105], v[100:101], v[116:117] op_sel:[0,0,1] op_sel_hi:[1,1,0] neg_lo:[0,0,1] neg_hi:[0,0,1]
	v_pk_fma_f32 v[104:105], v[104:105], v[100:101], v[116:117] op_sel:[0,0,1] op_sel_hi:[1,0,0]
	s_delay_alu instid0(VALU_DEP_1) | instskip(SKIP_1) | instid1(VALU_DEP_1)
	v_mov_b32_e32 v119, v105
	v_pk_mul_f32 v[104:105], v[106:107], v[102:103] op_sel:[0,1]
	v_pk_fma_f32 v[116:117], v[106:107], v[100:101], v[104:105] op_sel:[0,0,1] op_sel_hi:[1,1,0] neg_lo:[0,0,1] neg_hi:[0,0,1]
	v_pk_fma_f32 v[104:105], v[106:107], v[100:101], v[104:105] op_sel:[0,0,1] op_sel_hi:[1,0,0]
	s_delay_alu instid0(VALU_DEP_1)
	v_mov_b32_e32 v117, v105
	ds_load_2addr_b64 v[104:107], v236 offset0:53 offset1:54
	v_pk_add_f32 v[204:205], v[204:205], v[118:119] neg_lo:[0,1] neg_hi:[0,1]
	v_pk_add_f32 v[228:229], v[228:229], v[116:117] neg_lo:[0,1] neg_hi:[0,1]
	s_wait_dscnt 0x0
	v_pk_mul_f32 v[116:117], v[104:105], v[102:103] op_sel:[0,1]
	s_delay_alu instid0(VALU_DEP_1) | instskip(SKIP_1) | instid1(VALU_DEP_1)
	v_pk_fma_f32 v[118:119], v[104:105], v[100:101], v[116:117] op_sel:[0,0,1] op_sel_hi:[1,1,0] neg_lo:[0,0,1] neg_hi:[0,0,1]
	v_pk_fma_f32 v[104:105], v[104:105], v[100:101], v[116:117] op_sel:[0,0,1] op_sel_hi:[1,0,0]
	v_mov_b32_e32 v119, v105
	v_pk_mul_f32 v[104:105], v[106:107], v[102:103] op_sel:[0,1]
	s_delay_alu instid0(VALU_DEP_1) | instskip(SKIP_1) | instid1(VALU_DEP_1)
	v_pk_fma_f32 v[116:117], v[106:107], v[100:101], v[104:105] op_sel:[0,0,1] op_sel_hi:[1,1,0] neg_lo:[0,0,1] neg_hi:[0,0,1]
	v_pk_fma_f32 v[104:105], v[106:107], v[100:101], v[104:105] op_sel:[0,0,1] op_sel_hi:[1,0,0]
	v_mov_b32_e32 v117, v105
	ds_load_2addr_b64 v[104:107], v236 offset0:55 offset1:56
	v_pk_add_f32 v[224:225], v[224:225], v[118:119] neg_lo:[0,1] neg_hi:[0,1]
	v_pk_add_f32 v[226:227], v[226:227], v[116:117] neg_lo:[0,1] neg_hi:[0,1]
	s_wait_dscnt 0x0
	v_dual_mul_f32 v116, v105, v103 :: v_dual_mul_f32 v118, v105, v100
	s_delay_alu instid0(VALU_DEP_1) | instskip(NEXT) | instid1(VALU_DEP_2)
	v_pk_fma_f32 v[116:117], v[104:105], v[112:113], v[116:117] op_sel_hi:[1,1,0] neg_lo:[0,0,1] neg_hi:[0,0,1]
	v_pk_fma_f32 v[104:105], v[104:105], v[112:113], v[118:119] op_sel:[1,0,0] op_sel_hi:[0,1,0]
	s_delay_alu instid0(VALU_DEP_1) | instskip(SKIP_1) | instid1(VALU_DEP_2)
	v_mov_b32_e32 v117, v105
	v_pk_mul_f32 v[104:105], v[106:107], v[102:103] op_sel:[0,1]
	v_pk_add_f32 v[222:223], v[222:223], v[116:117] neg_lo:[0,1] neg_hi:[0,1]
	s_delay_alu instid0(VALU_DEP_2) | instskip(SKIP_1) | instid1(VALU_DEP_1)
	v_pk_fma_f32 v[116:117], v[106:107], v[100:101], v[104:105] op_sel:[0,0,1] op_sel_hi:[1,1,0] neg_lo:[0,0,1] neg_hi:[0,0,1]
	v_pk_fma_f32 v[104:105], v[106:107], v[100:101], v[104:105] op_sel:[0,0,1] op_sel_hi:[1,0,0]
	v_mov_b32_e32 v117, v105
	ds_load_2addr_b64 v[104:107], v236 offset0:57 offset1:58
	v_pk_add_f32 v[244:245], v[244:245], v[116:117] neg_lo:[0,1] neg_hi:[0,1]
	s_wait_dscnt 0x0
	v_pk_mul_f32 v[116:117], v[104:105], v[102:103] op_sel:[0,1]
	s_delay_alu instid0(VALU_DEP_1) | instskip(SKIP_1) | instid1(VALU_DEP_1)
	v_pk_fma_f32 v[118:119], v[104:105], v[100:101], v[116:117] op_sel:[0,0,1] op_sel_hi:[1,1,0] neg_lo:[0,0,1] neg_hi:[0,0,1]
	v_pk_fma_f32 v[104:105], v[104:105], v[100:101], v[116:117] op_sel:[0,0,1] op_sel_hi:[1,0,0]
	v_mov_b32_e32 v119, v105
	v_pk_mul_f32 v[104:105], v[106:107], v[102:103] op_sel:[0,1]
	s_delay_alu instid0(VALU_DEP_2) | instskip(NEXT) | instid1(VALU_DEP_2)
	v_pk_add_f32 v[240:241], v[240:241], v[118:119] neg_lo:[0,1] neg_hi:[0,1]
	v_pk_fma_f32 v[116:117], v[106:107], v[100:101], v[104:105] op_sel:[0,0,1] op_sel_hi:[1,1,0] neg_lo:[0,0,1] neg_hi:[0,0,1]
	v_pk_fma_f32 v[104:105], v[106:107], v[100:101], v[104:105] op_sel:[0,0,1] op_sel_hi:[1,0,0]
	s_delay_alu instid0(VALU_DEP_1) | instskip(SKIP_4) | instid1(VALU_DEP_1)
	v_mov_b32_e32 v117, v105
	ds_load_2addr_b64 v[104:107], v236 offset0:59 offset1:60
	v_pk_add_f32 v[242:243], v[242:243], v[116:117] neg_lo:[0,1] neg_hi:[0,1]
	s_wait_dscnt 0x0
	v_pk_mul_f32 v[116:117], v[104:105], v[102:103] op_sel:[0,1]
	v_pk_fma_f32 v[118:119], v[104:105], v[100:101], v[116:117] op_sel:[0,0,1] op_sel_hi:[1,1,0] neg_lo:[0,0,1] neg_hi:[0,0,1]
	v_pk_fma_f32 v[104:105], v[104:105], v[100:101], v[116:117] op_sel:[0,0,1] op_sel_hi:[1,0,0]
	v_dual_mul_f32 v116, v107, v103 :: v_dual_mov_b32 v104, v107
	s_delay_alu instid0(VALU_DEP_2) | instskip(NEXT) | instid1(VALU_DEP_2)
	v_dual_mov_b32 v119, v105 :: v_dual_mov_b32 v105, v106
	v_pk_fma_f32 v[116:117], v[106:107], v[112:113], v[116:117] op_sel_hi:[1,1,0] neg_lo:[0,0,1] neg_hi:[0,0,1]
	v_mul_f32_e32 v106, v107, v100
	s_delay_alu instid0(VALU_DEP_3) | instskip(NEXT) | instid1(VALU_DEP_2)
	v_pk_add_f32 v[238:239], v[238:239], v[118:119] neg_lo:[0,1] neg_hi:[0,1]
	v_pk_fma_f32 v[104:105], v[104:105], v[112:113], v[106:107] op_sel_hi:[1,1,0]
	s_delay_alu instid0(VALU_DEP_1) | instskip(SKIP_4) | instid1(VALU_DEP_1)
	v_mov_b32_e32 v117, v105
	ds_load_b64 v[104:105], v236 offset:488
	v_pk_add_f32 v[246:247], v[246:247], v[116:117] neg_lo:[0,1] neg_hi:[0,1]
	s_wait_dscnt 0x0
	v_pk_mul_f32 v[102:103], v[104:105], v[102:103] op_sel:[0,1]
	v_pk_fma_f32 v[106:107], v[104:105], v[100:101], v[102:103] op_sel:[0,0,1] op_sel_hi:[1,1,0] neg_lo:[0,0,1] neg_hi:[0,0,1]
	v_pk_fma_f32 v[100:101], v[104:105], v[100:101], v[102:103] op_sel:[0,0,1] op_sel_hi:[1,0,0]
	s_delay_alu instid0(VALU_DEP_1) | instskip(NEXT) | instid1(VALU_DEP_1)
	v_mov_b32_e32 v107, v101
	v_pk_add_f32 v[248:249], v[248:249], v[106:107] neg_lo:[0,1] neg_hi:[0,1]
.LBB123_244:
	s_or_b32 exec_lo, exec_lo, s1
	s_delay_alu instid0(SALU_CYCLE_1)
	s_mov_b32 s2, exec_lo
	s_wait_dscnt 0x0
	s_barrier_signal -1
	s_barrier_wait -1
	v_cmpx_eq_u32_e32 27, v234
	s_cbranch_execz .LBB123_251
; %bb.245:
	v_dual_mov_b32 v100, v130 :: v_dual_mov_b32 v101, v131
	v_dual_mov_b32 v102, v126 :: v_dual_mov_b32 v103, v127
	ds_store_b64 v235, v[108:109]
	ds_store_2addr_b64 v236, v[100:101], v[102:103] offset0:28 offset1:29
	v_dual_mov_b32 v100, v128 :: v_dual_mov_b32 v101, v129
	v_dual_mov_b32 v102, v124 :: v_dual_mov_b32 v103, v125
	ds_store_2addr_b64 v236, v[100:101], v[102:103] offset0:30 offset1:31
	v_dual_mov_b32 v100, v146 :: v_dual_mov_b32 v101, v147
	v_dual_mov_b32 v102, v142 :: v_dual_mov_b32 v103, v143
	;; [unrolled: 3-line block ×15, first 2 shown]
	ds_store_2addr_b64 v236, v[100:101], v[102:103] offset0:58 offset1:59
	v_dual_mov_b32 v100, v246 :: v_dual_mov_b32 v101, v247
	ds_store_2addr_b64 v236, v[100:101], v[248:249] offset0:60 offset1:61
	ds_load_b64 v[100:101], v235
	s_wait_dscnt 0x0
	v_cmp_neq_f32_e32 vcc_lo, 0, v100
	v_cmp_neq_f32_e64 s1, 0, v101
	s_or_b32 s1, vcc_lo, s1
	s_delay_alu instid0(SALU_CYCLE_1)
	s_and_b32 exec_lo, exec_lo, s1
	s_cbranch_execz .LBB123_251
; %bb.246:
	v_cmp_ngt_f32_e64 s1, |v100|, |v101|
                                        ; implicit-def: $vgpr102_vgpr103
	s_and_saveexec_b32 s4, s1
	s_delay_alu instid0(SALU_CYCLE_1)
	s_xor_b32 s1, exec_lo, s4
	s_cbranch_execz .LBB123_248
; %bb.247:
	v_div_scale_f32 v0, null, v101, v101, v100
	v_div_scale_f32 v103, vcc_lo, v100, v101, v100
	s_delay_alu instid0(VALU_DEP_2) | instskip(SKIP_1) | instid1(TRANS32_DEP_1)
	v_rcp_f32_e32 v1, v0
	v_nop
	v_fma_f32 v102, -v0, v1, 1.0
	s_delay_alu instid0(VALU_DEP_1) | instskip(NEXT) | instid1(VALU_DEP_1)
	v_fmac_f32_e32 v1, v102, v1
	v_mul_f32_e32 v102, v103, v1
	s_delay_alu instid0(VALU_DEP_1) | instskip(NEXT) | instid1(VALU_DEP_1)
	v_fma_f32 v104, -v0, v102, v103
	v_fmac_f32_e32 v102, v104, v1
	s_delay_alu instid0(VALU_DEP_1) | instskip(NEXT) | instid1(VALU_DEP_1)
	v_fma_f32 v0, -v0, v102, v103
	v_div_fmas_f32 v0, v0, v1, v102
	s_delay_alu instid0(VALU_DEP_1) | instskip(NEXT) | instid1(VALU_DEP_1)
	v_div_fixup_f32 v0, v0, v101, v100
	v_fmac_f32_e32 v101, v100, v0
	s_delay_alu instid0(VALU_DEP_1) | instskip(SKIP_1) | instid1(VALU_DEP_2)
	v_div_scale_f32 v1, null, v101, v101, 1.0
	v_div_scale_f32 v103, vcc_lo, 1.0, v101, 1.0
	v_rcp_f32_e32 v100, v1
	v_nop
	s_delay_alu instid0(TRANS32_DEP_1) | instskip(NEXT) | instid1(VALU_DEP_1)
	v_fma_f32 v102, -v1, v100, 1.0
	v_fmac_f32_e32 v100, v102, v100
	s_delay_alu instid0(VALU_DEP_1) | instskip(NEXT) | instid1(VALU_DEP_1)
	v_mul_f32_e32 v102, v103, v100
	v_fma_f32 v104, -v1, v102, v103
	s_delay_alu instid0(VALU_DEP_1) | instskip(NEXT) | instid1(VALU_DEP_1)
	v_fmac_f32_e32 v102, v104, v100
	v_fma_f32 v1, -v1, v102, v103
	s_delay_alu instid0(VALU_DEP_1) | instskip(NEXT) | instid1(VALU_DEP_1)
	v_div_fmas_f32 v1, v1, v100, v102
	v_div_fixup_f32 v1, v1, v101, 1.0
                                        ; implicit-def: $vgpr100_vgpr101
	s_delay_alu instid0(VALU_DEP_1)
	v_mul_f32_e32 v102, v0, v1
	v_xor_b32_e32 v103, 0x80000000, v1
.LBB123_248:
	s_and_not1_saveexec_b32 s1, s1
	s_cbranch_execz .LBB123_250
; %bb.249:
	v_div_scale_f32 v0, null, v100, v100, v101
	v_div_scale_f32 v103, vcc_lo, v101, v100, v101
	s_delay_alu instid0(VALU_DEP_2) | instskip(SKIP_1) | instid1(TRANS32_DEP_1)
	v_rcp_f32_e32 v1, v0
	v_nop
	v_fma_f32 v102, -v0, v1, 1.0
	s_delay_alu instid0(VALU_DEP_1) | instskip(NEXT) | instid1(VALU_DEP_1)
	v_fmac_f32_e32 v1, v102, v1
	v_mul_f32_e32 v102, v103, v1
	s_delay_alu instid0(VALU_DEP_1) | instskip(NEXT) | instid1(VALU_DEP_1)
	v_fma_f32 v104, -v0, v102, v103
	v_fmac_f32_e32 v102, v104, v1
	s_delay_alu instid0(VALU_DEP_1) | instskip(NEXT) | instid1(VALU_DEP_1)
	v_fma_f32 v0, -v0, v102, v103
	v_div_fmas_f32 v0, v0, v1, v102
	s_delay_alu instid0(VALU_DEP_1) | instskip(NEXT) | instid1(VALU_DEP_1)
	v_div_fixup_f32 v0, v0, v100, v101
	v_fmac_f32_e32 v100, v101, v0
	s_delay_alu instid0(VALU_DEP_1) | instskip(NEXT) | instid1(VALU_DEP_1)
	v_div_scale_f32 v1, null, v100, v100, 1.0
	v_rcp_f32_e32 v101, v1
	v_nop
	s_delay_alu instid0(TRANS32_DEP_1) | instskip(NEXT) | instid1(VALU_DEP_1)
	v_fma_f32 v102, -v1, v101, 1.0
	v_fmac_f32_e32 v101, v102, v101
	v_div_scale_f32 v102, vcc_lo, 1.0, v100, 1.0
	s_delay_alu instid0(VALU_DEP_1) | instskip(NEXT) | instid1(VALU_DEP_1)
	v_mul_f32_e32 v103, v102, v101
	v_fma_f32 v104, -v1, v103, v102
	s_delay_alu instid0(VALU_DEP_1) | instskip(NEXT) | instid1(VALU_DEP_1)
	v_fmac_f32_e32 v103, v104, v101
	v_fma_f32 v1, -v1, v103, v102
	s_delay_alu instid0(VALU_DEP_1) | instskip(NEXT) | instid1(VALU_DEP_1)
	v_div_fmas_f32 v1, v1, v101, v103
	v_div_fixup_f32 v102, v1, v100, 1.0
	s_delay_alu instid0(VALU_DEP_1)
	v_mul_f32_e64 v103, v0, -v102
.LBB123_250:
	s_or_b32 exec_lo, exec_lo, s1
	ds_store_b64 v235, v[102:103]
.LBB123_251:
	s_or_b32 exec_lo, exec_lo, s2
	s_wait_dscnt 0x0
	s_barrier_signal -1
	s_barrier_wait -1
	ds_load_b64 v[100:101], v235
	s_mov_b32 s1, exec_lo
	v_cmpx_lt_u32_e32 27, v234
	s_cbranch_execz .LBB123_253
; %bb.252:
	ds_load_2addr_b64 v[116:119], v236 offset0:28 offset1:29
	s_wait_dscnt 0x1
	v_pk_mul_f32 v[104:105], v[100:101], v[108:109] op_sel:[1,1] op_sel_hi:[0,1]
	s_delay_alu instid0(VALU_DEP_1) | instskip(SKIP_1) | instid1(VALU_DEP_1)
	v_pk_fma_f32 v[102:103], v[100:101], v[108:109], v[104:105] op_sel_hi:[1,0,1] neg_lo:[0,0,1] neg_hi:[0,0,1]
	v_pk_fma_f32 v[104:105], v[100:101], v[108:109], v[104:105] op_sel_hi:[1,0,1]
	v_dual_mov_b32 v108, v102 :: v_dual_mov_b32 v109, v105
	s_wait_dscnt 0x0
	s_delay_alu instid0(VALU_DEP_2) | instskip(NEXT) | instid1(VALU_DEP_1)
	v_pk_mul_f32 v[106:107], v[116:117], v[104:105] op_sel:[0,1]
	v_pk_fma_f32 v[120:121], v[116:117], v[102:103], v[106:107] op_sel:[0,0,1] op_sel_hi:[1,1,0] neg_lo:[0,0,1] neg_hi:[0,0,1]
	v_pk_fma_f32 v[106:107], v[116:117], v[102:103], v[106:107] op_sel:[0,0,1] op_sel_hi:[1,0,0]
	s_delay_alu instid0(VALU_DEP_1) | instskip(SKIP_1) | instid1(VALU_DEP_1)
	v_mov_b32_e32 v121, v107
	v_pk_mul_f32 v[106:107], v[118:119], v[104:105] op_sel:[0,1]
	v_pk_fma_f32 v[116:117], v[118:119], v[102:103], v[106:107] op_sel:[0,0,1] op_sel_hi:[1,1,0] neg_lo:[0,0,1] neg_hi:[0,0,1]
	v_pk_fma_f32 v[106:107], v[118:119], v[102:103], v[106:107] op_sel:[0,0,1] op_sel_hi:[1,0,0]
	s_delay_alu instid0(VALU_DEP_1) | instskip(SKIP_1) | instid1(VALU_DEP_2)
	v_mov_b32_e32 v117, v107
	v_pk_add_f32 v[130:131], v[130:131], v[120:121] neg_lo:[0,1] neg_hi:[0,1]
	v_pk_add_f32 v[126:127], v[126:127], v[116:117] neg_lo:[0,1] neg_hi:[0,1]
	ds_load_2addr_b64 v[116:119], v236 offset0:30 offset1:31
	s_wait_dscnt 0x0
	v_pk_mul_f32 v[106:107], v[116:117], v[104:105] op_sel:[0,1]
	s_delay_alu instid0(VALU_DEP_1) | instskip(SKIP_2) | instid1(VALU_DEP_2)
	v_pk_fma_f32 v[120:121], v[116:117], v[102:103], v[106:107] op_sel:[0,0,1] op_sel_hi:[1,1,0] neg_lo:[0,0,1] neg_hi:[0,0,1]
	v_pk_fma_f32 v[106:107], v[116:117], v[102:103], v[106:107] op_sel:[0,0,1] op_sel_hi:[1,0,0]
	v_dual_mul_f32 v116, v119, v105 :: v_dual_mov_b32 v106, v119
	v_dual_mov_b32 v121, v107 :: v_dual_mov_b32 v107, v118
	s_delay_alu instid0(VALU_DEP_2) | instskip(SKIP_1) | instid1(VALU_DEP_3)
	v_pk_fma_f32 v[116:117], v[118:119], v[108:109], v[116:117] op_sel_hi:[1,1,0] neg_lo:[0,0,1] neg_hi:[0,0,1]
	v_mul_f32_e32 v118, v119, v102
	v_pk_add_f32 v[128:129], v[128:129], v[120:121] neg_lo:[0,1] neg_hi:[0,1]
	s_delay_alu instid0(VALU_DEP_2) | instskip(NEXT) | instid1(VALU_DEP_1)
	v_pk_fma_f32 v[106:107], v[106:107], v[108:109], v[118:119] op_sel_hi:[1,1,0]
	v_mov_b32_e32 v117, v107
	s_delay_alu instid0(VALU_DEP_1) | instskip(SKIP_3) | instid1(VALU_DEP_1)
	v_pk_add_f32 v[124:125], v[124:125], v[116:117] neg_lo:[0,1] neg_hi:[0,1]
	ds_load_2addr_b64 v[116:119], v236 offset0:32 offset1:33
	s_wait_dscnt 0x0
	v_pk_mul_f32 v[106:107], v[116:117], v[104:105] op_sel:[0,1]
	v_pk_fma_f32 v[120:121], v[116:117], v[102:103], v[106:107] op_sel:[0,0,1] op_sel_hi:[1,1,0] neg_lo:[0,0,1] neg_hi:[0,0,1]
	v_pk_fma_f32 v[106:107], v[116:117], v[102:103], v[106:107] op_sel:[0,0,1] op_sel_hi:[1,0,0]
	s_delay_alu instid0(VALU_DEP_1) | instskip(SKIP_1) | instid1(VALU_DEP_2)
	v_mov_b32_e32 v121, v107
	v_pk_mul_f32 v[106:107], v[118:119], v[104:105] op_sel:[0,1]
	v_pk_add_f32 v[146:147], v[146:147], v[120:121] neg_lo:[0,1] neg_hi:[0,1]
	s_delay_alu instid0(VALU_DEP_2) | instskip(SKIP_1) | instid1(VALU_DEP_1)
	v_pk_fma_f32 v[116:117], v[118:119], v[102:103], v[106:107] op_sel:[0,0,1] op_sel_hi:[1,1,0] neg_lo:[0,0,1] neg_hi:[0,0,1]
	v_pk_fma_f32 v[106:107], v[118:119], v[102:103], v[106:107] op_sel:[0,0,1] op_sel_hi:[1,0,0]
	v_mov_b32_e32 v117, v107
	s_delay_alu instid0(VALU_DEP_1) | instskip(SKIP_3) | instid1(VALU_DEP_1)
	v_pk_add_f32 v[142:143], v[142:143], v[116:117] neg_lo:[0,1] neg_hi:[0,1]
	ds_load_2addr_b64 v[116:119], v236 offset0:34 offset1:35
	s_wait_dscnt 0x0
	v_pk_mul_f32 v[106:107], v[116:117], v[104:105] op_sel:[0,1]
	v_pk_fma_f32 v[120:121], v[116:117], v[102:103], v[106:107] op_sel:[0,0,1] op_sel_hi:[1,1,0] neg_lo:[0,0,1] neg_hi:[0,0,1]
	v_pk_fma_f32 v[106:107], v[116:117], v[102:103], v[106:107] op_sel:[0,0,1] op_sel_hi:[1,0,0]
	s_delay_alu instid0(VALU_DEP_1) | instskip(SKIP_1) | instid1(VALU_DEP_2)
	v_mov_b32_e32 v121, v107
	v_pk_mul_f32 v[106:107], v[118:119], v[104:105] op_sel:[0,1]
	v_pk_add_f32 v[144:145], v[144:145], v[120:121] neg_lo:[0,1] neg_hi:[0,1]
	s_delay_alu instid0(VALU_DEP_2) | instskip(SKIP_1) | instid1(VALU_DEP_1)
	v_pk_fma_f32 v[116:117], v[118:119], v[102:103], v[106:107] op_sel:[0,0,1] op_sel_hi:[1,1,0] neg_lo:[0,0,1] neg_hi:[0,0,1]
	v_pk_fma_f32 v[106:107], v[118:119], v[102:103], v[106:107] op_sel:[0,0,1] op_sel_hi:[1,0,0]
	v_mov_b32_e32 v117, v107
	s_delay_alu instid0(VALU_DEP_1) | instskip(SKIP_3) | instid1(VALU_DEP_1)
	v_pk_add_f32 v[140:141], v[140:141], v[116:117] neg_lo:[0,1] neg_hi:[0,1]
	ds_load_2addr_b64 v[116:119], v236 offset0:36 offset1:37
	s_wait_dscnt 0x0
	v_dual_mul_f32 v106, v117, v105 :: v_dual_mul_f32 v120, v117, v102
	v_pk_fma_f32 v[106:107], v[116:117], v[108:109], v[106:107] op_sel_hi:[1,1,0] neg_lo:[0,0,1] neg_hi:[0,0,1]
	s_delay_alu instid0(VALU_DEP_2) | instskip(NEXT) | instid1(VALU_DEP_1)
	v_pk_fma_f32 v[116:117], v[116:117], v[108:109], v[120:121] op_sel:[1,0,0] op_sel_hi:[0,1,0]
	v_mov_b32_e32 v107, v117
	s_delay_alu instid0(VALU_DEP_1) | instskip(SKIP_1) | instid1(VALU_DEP_1)
	v_pk_add_f32 v[162:163], v[162:163], v[106:107] neg_lo:[0,1] neg_hi:[0,1]
	v_pk_mul_f32 v[106:107], v[118:119], v[104:105] op_sel:[0,1]
	v_pk_fma_f32 v[116:117], v[118:119], v[102:103], v[106:107] op_sel:[0,0,1] op_sel_hi:[1,1,0] neg_lo:[0,0,1] neg_hi:[0,0,1]
	v_pk_fma_f32 v[106:107], v[118:119], v[102:103], v[106:107] op_sel:[0,0,1] op_sel_hi:[1,0,0]
	s_delay_alu instid0(VALU_DEP_1) | instskip(NEXT) | instid1(VALU_DEP_1)
	v_mov_b32_e32 v117, v107
	v_pk_add_f32 v[158:159], v[158:159], v[116:117] neg_lo:[0,1] neg_hi:[0,1]
	ds_load_2addr_b64 v[116:119], v236 offset0:38 offset1:39
	s_wait_dscnt 0x0
	v_pk_mul_f32 v[106:107], v[116:117], v[104:105] op_sel:[0,1]
	s_delay_alu instid0(VALU_DEP_1) | instskip(SKIP_1) | instid1(VALU_DEP_1)
	v_pk_fma_f32 v[120:121], v[116:117], v[102:103], v[106:107] op_sel:[0,0,1] op_sel_hi:[1,1,0] neg_lo:[0,0,1] neg_hi:[0,0,1]
	v_pk_fma_f32 v[106:107], v[116:117], v[102:103], v[106:107] op_sel:[0,0,1] op_sel_hi:[1,0,0]
	v_mov_b32_e32 v121, v107
	v_pk_mul_f32 v[106:107], v[118:119], v[104:105] op_sel:[0,1]
	s_delay_alu instid0(VALU_DEP_2) | instskip(NEXT) | instid1(VALU_DEP_2)
	v_pk_add_f32 v[160:161], v[160:161], v[120:121] neg_lo:[0,1] neg_hi:[0,1]
	v_pk_fma_f32 v[116:117], v[118:119], v[102:103], v[106:107] op_sel:[0,0,1] op_sel_hi:[1,1,0] neg_lo:[0,0,1] neg_hi:[0,0,1]
	v_pk_fma_f32 v[106:107], v[118:119], v[102:103], v[106:107] op_sel:[0,0,1] op_sel_hi:[1,0,0]
	s_delay_alu instid0(VALU_DEP_1) | instskip(NEXT) | instid1(VALU_DEP_1)
	v_mov_b32_e32 v117, v107
	v_pk_add_f32 v[156:157], v[156:157], v[116:117] neg_lo:[0,1] neg_hi:[0,1]
	ds_load_2addr_b64 v[116:119], v236 offset0:40 offset1:41
	s_wait_dscnt 0x0
	v_pk_mul_f32 v[106:107], v[116:117], v[104:105] op_sel:[0,1]
	s_delay_alu instid0(VALU_DEP_1) | instskip(SKIP_2) | instid1(VALU_DEP_2)
	v_pk_fma_f32 v[120:121], v[116:117], v[102:103], v[106:107] op_sel:[0,0,1] op_sel_hi:[1,1,0] neg_lo:[0,0,1] neg_hi:[0,0,1]
	v_pk_fma_f32 v[106:107], v[116:117], v[102:103], v[106:107] op_sel:[0,0,1] op_sel_hi:[1,0,0]
	v_dual_mul_f32 v116, v119, v105 :: v_dual_mov_b32 v106, v119
	v_dual_mov_b32 v121, v107 :: v_dual_mov_b32 v107, v118
	s_delay_alu instid0(VALU_DEP_2) | instskip(SKIP_1) | instid1(VALU_DEP_3)
	v_pk_fma_f32 v[116:117], v[118:119], v[108:109], v[116:117] op_sel_hi:[1,1,0] neg_lo:[0,0,1] neg_hi:[0,0,1]
	v_mul_f32_e32 v118, v119, v102
	v_pk_add_f32 v[178:179], v[178:179], v[120:121] neg_lo:[0,1] neg_hi:[0,1]
	s_delay_alu instid0(VALU_DEP_2) | instskip(NEXT) | instid1(VALU_DEP_1)
	v_pk_fma_f32 v[106:107], v[106:107], v[108:109], v[118:119] op_sel_hi:[1,1,0]
	v_mov_b32_e32 v117, v107
	s_delay_alu instid0(VALU_DEP_1) | instskip(SKIP_3) | instid1(VALU_DEP_1)
	v_pk_add_f32 v[174:175], v[174:175], v[116:117] neg_lo:[0,1] neg_hi:[0,1]
	ds_load_2addr_b64 v[116:119], v236 offset0:42 offset1:43
	s_wait_dscnt 0x0
	v_pk_mul_f32 v[106:107], v[116:117], v[104:105] op_sel:[0,1]
	v_pk_fma_f32 v[120:121], v[116:117], v[102:103], v[106:107] op_sel:[0,0,1] op_sel_hi:[1,1,0] neg_lo:[0,0,1] neg_hi:[0,0,1]
	v_pk_fma_f32 v[106:107], v[116:117], v[102:103], v[106:107] op_sel:[0,0,1] op_sel_hi:[1,0,0]
	s_delay_alu instid0(VALU_DEP_1) | instskip(SKIP_1) | instid1(VALU_DEP_2)
	v_mov_b32_e32 v121, v107
	v_pk_mul_f32 v[106:107], v[118:119], v[104:105] op_sel:[0,1]
	v_pk_add_f32 v[176:177], v[176:177], v[120:121] neg_lo:[0,1] neg_hi:[0,1]
	s_delay_alu instid0(VALU_DEP_2) | instskip(SKIP_1) | instid1(VALU_DEP_1)
	v_pk_fma_f32 v[116:117], v[118:119], v[102:103], v[106:107] op_sel:[0,0,1] op_sel_hi:[1,1,0] neg_lo:[0,0,1] neg_hi:[0,0,1]
	v_pk_fma_f32 v[106:107], v[118:119], v[102:103], v[106:107] op_sel:[0,0,1] op_sel_hi:[1,0,0]
	v_mov_b32_e32 v117, v107
	s_delay_alu instid0(VALU_DEP_1) | instskip(SKIP_3) | instid1(VALU_DEP_1)
	v_pk_add_f32 v[172:173], v[172:173], v[116:117] neg_lo:[0,1] neg_hi:[0,1]
	ds_load_2addr_b64 v[116:119], v236 offset0:44 offset1:45
	s_wait_dscnt 0x0
	v_pk_mul_f32 v[106:107], v[116:117], v[104:105] op_sel:[0,1]
	v_pk_fma_f32 v[120:121], v[116:117], v[102:103], v[106:107] op_sel:[0,0,1] op_sel_hi:[1,1,0] neg_lo:[0,0,1] neg_hi:[0,0,1]
	v_pk_fma_f32 v[106:107], v[116:117], v[102:103], v[106:107] op_sel:[0,0,1] op_sel_hi:[1,0,0]
	s_delay_alu instid0(VALU_DEP_1) | instskip(SKIP_1) | instid1(VALU_DEP_2)
	v_mov_b32_e32 v121, v107
	v_pk_mul_f32 v[106:107], v[118:119], v[104:105] op_sel:[0,1]
	v_pk_add_f32 v[194:195], v[194:195], v[120:121] neg_lo:[0,1] neg_hi:[0,1]
	s_delay_alu instid0(VALU_DEP_2) | instskip(SKIP_1) | instid1(VALU_DEP_1)
	v_pk_fma_f32 v[116:117], v[118:119], v[102:103], v[106:107] op_sel:[0,0,1] op_sel_hi:[1,1,0] neg_lo:[0,0,1] neg_hi:[0,0,1]
	v_pk_fma_f32 v[106:107], v[118:119], v[102:103], v[106:107] op_sel:[0,0,1] op_sel_hi:[1,0,0]
	v_mov_b32_e32 v117, v107
	s_delay_alu instid0(VALU_DEP_1) | instskip(SKIP_3) | instid1(VALU_DEP_1)
	v_pk_add_f32 v[190:191], v[190:191], v[116:117] neg_lo:[0,1] neg_hi:[0,1]
	ds_load_2addr_b64 v[116:119], v236 offset0:46 offset1:47
	s_wait_dscnt 0x0
	v_dual_mul_f32 v106, v117, v105 :: v_dual_mul_f32 v120, v117, v102
	v_pk_fma_f32 v[106:107], v[116:117], v[108:109], v[106:107] op_sel_hi:[1,1,0] neg_lo:[0,0,1] neg_hi:[0,0,1]
	s_delay_alu instid0(VALU_DEP_2) | instskip(NEXT) | instid1(VALU_DEP_1)
	v_pk_fma_f32 v[116:117], v[116:117], v[108:109], v[120:121] op_sel:[1,0,0] op_sel_hi:[0,1,0]
	v_mov_b32_e32 v107, v117
	s_delay_alu instid0(VALU_DEP_1) | instskip(SKIP_1) | instid1(VALU_DEP_1)
	v_pk_add_f32 v[192:193], v[192:193], v[106:107] neg_lo:[0,1] neg_hi:[0,1]
	v_pk_mul_f32 v[106:107], v[118:119], v[104:105] op_sel:[0,1]
	v_pk_fma_f32 v[116:117], v[118:119], v[102:103], v[106:107] op_sel:[0,0,1] op_sel_hi:[1,1,0] neg_lo:[0,0,1] neg_hi:[0,0,1]
	v_pk_fma_f32 v[106:107], v[118:119], v[102:103], v[106:107] op_sel:[0,0,1] op_sel_hi:[1,0,0]
	s_delay_alu instid0(VALU_DEP_1) | instskip(NEXT) | instid1(VALU_DEP_1)
	v_mov_b32_e32 v117, v107
	v_pk_add_f32 v[188:189], v[188:189], v[116:117] neg_lo:[0,1] neg_hi:[0,1]
	ds_load_2addr_b64 v[116:119], v236 offset0:48 offset1:49
	s_wait_dscnt 0x0
	v_pk_mul_f32 v[106:107], v[116:117], v[104:105] op_sel:[0,1]
	s_delay_alu instid0(VALU_DEP_1) | instskip(SKIP_1) | instid1(VALU_DEP_1)
	v_pk_fma_f32 v[120:121], v[116:117], v[102:103], v[106:107] op_sel:[0,0,1] op_sel_hi:[1,1,0] neg_lo:[0,0,1] neg_hi:[0,0,1]
	v_pk_fma_f32 v[106:107], v[116:117], v[102:103], v[106:107] op_sel:[0,0,1] op_sel_hi:[1,0,0]
	v_mov_b32_e32 v121, v107
	v_pk_mul_f32 v[106:107], v[118:119], v[104:105] op_sel:[0,1]
	s_delay_alu instid0(VALU_DEP_2) | instskip(NEXT) | instid1(VALU_DEP_2)
	v_pk_add_f32 v[210:211], v[210:211], v[120:121] neg_lo:[0,1] neg_hi:[0,1]
	v_pk_fma_f32 v[116:117], v[118:119], v[102:103], v[106:107] op_sel:[0,0,1] op_sel_hi:[1,1,0] neg_lo:[0,0,1] neg_hi:[0,0,1]
	v_pk_fma_f32 v[106:107], v[118:119], v[102:103], v[106:107] op_sel:[0,0,1] op_sel_hi:[1,0,0]
	s_delay_alu instid0(VALU_DEP_1) | instskip(NEXT) | instid1(VALU_DEP_1)
	v_mov_b32_e32 v117, v107
	v_pk_add_f32 v[206:207], v[206:207], v[116:117] neg_lo:[0,1] neg_hi:[0,1]
	ds_load_2addr_b64 v[116:119], v236 offset0:50 offset1:51
	s_wait_dscnt 0x0
	v_pk_mul_f32 v[106:107], v[116:117], v[104:105] op_sel:[0,1]
	s_delay_alu instid0(VALU_DEP_1) | instskip(SKIP_2) | instid1(VALU_DEP_2)
	v_pk_fma_f32 v[120:121], v[116:117], v[102:103], v[106:107] op_sel:[0,0,1] op_sel_hi:[1,1,0] neg_lo:[0,0,1] neg_hi:[0,0,1]
	v_pk_fma_f32 v[106:107], v[116:117], v[102:103], v[106:107] op_sel:[0,0,1] op_sel_hi:[1,0,0]
	v_dual_mul_f32 v116, v119, v105 :: v_dual_mov_b32 v106, v119
	v_dual_mov_b32 v121, v107 :: v_dual_mov_b32 v107, v118
	s_delay_alu instid0(VALU_DEP_2) | instskip(SKIP_1) | instid1(VALU_DEP_3)
	v_pk_fma_f32 v[116:117], v[118:119], v[108:109], v[116:117] op_sel_hi:[1,1,0] neg_lo:[0,0,1] neg_hi:[0,0,1]
	v_mul_f32_e32 v118, v119, v102
	v_pk_add_f32 v[208:209], v[208:209], v[120:121] neg_lo:[0,1] neg_hi:[0,1]
	s_delay_alu instid0(VALU_DEP_2) | instskip(NEXT) | instid1(VALU_DEP_1)
	v_pk_fma_f32 v[106:107], v[106:107], v[108:109], v[118:119] op_sel_hi:[1,1,0]
	v_mov_b32_e32 v117, v107
	s_delay_alu instid0(VALU_DEP_1) | instskip(SKIP_3) | instid1(VALU_DEP_1)
	v_pk_add_f32 v[204:205], v[204:205], v[116:117] neg_lo:[0,1] neg_hi:[0,1]
	ds_load_2addr_b64 v[116:119], v236 offset0:52 offset1:53
	s_wait_dscnt 0x0
	v_pk_mul_f32 v[106:107], v[116:117], v[104:105] op_sel:[0,1]
	v_pk_fma_f32 v[120:121], v[116:117], v[102:103], v[106:107] op_sel:[0,0,1] op_sel_hi:[1,1,0] neg_lo:[0,0,1] neg_hi:[0,0,1]
	v_pk_fma_f32 v[106:107], v[116:117], v[102:103], v[106:107] op_sel:[0,0,1] op_sel_hi:[1,0,0]
	s_delay_alu instid0(VALU_DEP_1) | instskip(SKIP_1) | instid1(VALU_DEP_2)
	v_mov_b32_e32 v121, v107
	v_pk_mul_f32 v[106:107], v[118:119], v[104:105] op_sel:[0,1]
	v_pk_add_f32 v[228:229], v[228:229], v[120:121] neg_lo:[0,1] neg_hi:[0,1]
	s_delay_alu instid0(VALU_DEP_2) | instskip(SKIP_1) | instid1(VALU_DEP_1)
	v_pk_fma_f32 v[116:117], v[118:119], v[102:103], v[106:107] op_sel:[0,0,1] op_sel_hi:[1,1,0] neg_lo:[0,0,1] neg_hi:[0,0,1]
	v_pk_fma_f32 v[106:107], v[118:119], v[102:103], v[106:107] op_sel:[0,0,1] op_sel_hi:[1,0,0]
	v_mov_b32_e32 v117, v107
	s_delay_alu instid0(VALU_DEP_1) | instskip(SKIP_3) | instid1(VALU_DEP_1)
	v_pk_add_f32 v[224:225], v[224:225], v[116:117] neg_lo:[0,1] neg_hi:[0,1]
	ds_load_2addr_b64 v[116:119], v236 offset0:54 offset1:55
	s_wait_dscnt 0x0
	v_pk_mul_f32 v[106:107], v[116:117], v[104:105] op_sel:[0,1]
	v_pk_fma_f32 v[120:121], v[116:117], v[102:103], v[106:107] op_sel:[0,0,1] op_sel_hi:[1,1,0] neg_lo:[0,0,1] neg_hi:[0,0,1]
	v_pk_fma_f32 v[106:107], v[116:117], v[102:103], v[106:107] op_sel:[0,0,1] op_sel_hi:[1,0,0]
	s_delay_alu instid0(VALU_DEP_1) | instskip(SKIP_1) | instid1(VALU_DEP_2)
	v_mov_b32_e32 v121, v107
	v_pk_mul_f32 v[106:107], v[118:119], v[104:105] op_sel:[0,1]
	v_pk_add_f32 v[226:227], v[226:227], v[120:121] neg_lo:[0,1] neg_hi:[0,1]
	s_delay_alu instid0(VALU_DEP_2) | instskip(SKIP_1) | instid1(VALU_DEP_1)
	v_pk_fma_f32 v[116:117], v[118:119], v[102:103], v[106:107] op_sel:[0,0,1] op_sel_hi:[1,1,0] neg_lo:[0,0,1] neg_hi:[0,0,1]
	v_pk_fma_f32 v[106:107], v[118:119], v[102:103], v[106:107] op_sel:[0,0,1] op_sel_hi:[1,0,0]
	v_mov_b32_e32 v117, v107
	s_delay_alu instid0(VALU_DEP_1) | instskip(SKIP_3) | instid1(VALU_DEP_1)
	v_pk_add_f32 v[222:223], v[222:223], v[116:117] neg_lo:[0,1] neg_hi:[0,1]
	ds_load_2addr_b64 v[116:119], v236 offset0:56 offset1:57
	s_wait_dscnt 0x0
	v_dual_mul_f32 v106, v117, v105 :: v_dual_mul_f32 v120, v117, v102
	v_pk_fma_f32 v[106:107], v[116:117], v[108:109], v[106:107] op_sel_hi:[1,1,0] neg_lo:[0,0,1] neg_hi:[0,0,1]
	s_delay_alu instid0(VALU_DEP_2) | instskip(NEXT) | instid1(VALU_DEP_1)
	v_pk_fma_f32 v[116:117], v[116:117], v[108:109], v[120:121] op_sel:[1,0,0] op_sel_hi:[0,1,0]
	v_mov_b32_e32 v107, v117
	s_delay_alu instid0(VALU_DEP_1) | instskip(SKIP_1) | instid1(VALU_DEP_1)
	v_pk_add_f32 v[244:245], v[244:245], v[106:107] neg_lo:[0,1] neg_hi:[0,1]
	v_pk_mul_f32 v[106:107], v[118:119], v[104:105] op_sel:[0,1]
	v_pk_fma_f32 v[116:117], v[118:119], v[102:103], v[106:107] op_sel:[0,0,1] op_sel_hi:[1,1,0] neg_lo:[0,0,1] neg_hi:[0,0,1]
	v_pk_fma_f32 v[106:107], v[118:119], v[102:103], v[106:107] op_sel:[0,0,1] op_sel_hi:[1,0,0]
	s_delay_alu instid0(VALU_DEP_1) | instskip(NEXT) | instid1(VALU_DEP_1)
	v_mov_b32_e32 v117, v107
	v_pk_add_f32 v[240:241], v[240:241], v[116:117] neg_lo:[0,1] neg_hi:[0,1]
	ds_load_2addr_b64 v[116:119], v236 offset0:58 offset1:59
	s_wait_dscnt 0x0
	v_pk_mul_f32 v[106:107], v[116:117], v[104:105] op_sel:[0,1]
	s_delay_alu instid0(VALU_DEP_1) | instskip(SKIP_1) | instid1(VALU_DEP_1)
	v_pk_fma_f32 v[120:121], v[116:117], v[102:103], v[106:107] op_sel:[0,0,1] op_sel_hi:[1,1,0] neg_lo:[0,0,1] neg_hi:[0,0,1]
	v_pk_fma_f32 v[106:107], v[116:117], v[102:103], v[106:107] op_sel:[0,0,1] op_sel_hi:[1,0,0]
	v_mov_b32_e32 v121, v107
	v_pk_mul_f32 v[106:107], v[118:119], v[104:105] op_sel:[0,1]
	s_delay_alu instid0(VALU_DEP_2) | instskip(NEXT) | instid1(VALU_DEP_2)
	v_pk_add_f32 v[242:243], v[242:243], v[120:121] neg_lo:[0,1] neg_hi:[0,1]
	v_pk_fma_f32 v[116:117], v[118:119], v[102:103], v[106:107] op_sel:[0,0,1] op_sel_hi:[1,1,0] neg_lo:[0,0,1] neg_hi:[0,0,1]
	v_pk_fma_f32 v[106:107], v[118:119], v[102:103], v[106:107] op_sel:[0,0,1] op_sel_hi:[1,0,0]
	s_delay_alu instid0(VALU_DEP_1) | instskip(NEXT) | instid1(VALU_DEP_1)
	v_mov_b32_e32 v117, v107
	v_pk_add_f32 v[238:239], v[238:239], v[116:117] neg_lo:[0,1] neg_hi:[0,1]
	ds_load_2addr_b64 v[116:119], v236 offset0:60 offset1:61
	s_wait_dscnt 0x0
	v_pk_mul_f32 v[106:107], v[116:117], v[104:105] op_sel:[0,1]
	v_pk_mul_f32 v[104:105], v[118:119], v[104:105] op_sel:[0,1]
	s_delay_alu instid0(VALU_DEP_2) | instskip(SKIP_1) | instid1(VALU_DEP_1)
	v_pk_fma_f32 v[120:121], v[116:117], v[102:103], v[106:107] op_sel:[0,0,1] op_sel_hi:[1,1,0] neg_lo:[0,0,1] neg_hi:[0,0,1]
	v_pk_fma_f32 v[106:107], v[116:117], v[102:103], v[106:107] op_sel:[0,0,1] op_sel_hi:[1,0,0]
	v_mov_b32_e32 v121, v107
	s_delay_alu instid0(VALU_DEP_4) | instskip(SKIP_1) | instid1(VALU_DEP_3)
	v_pk_fma_f32 v[106:107], v[118:119], v[102:103], v[104:105] op_sel:[0,0,1] op_sel_hi:[1,1,0] neg_lo:[0,0,1] neg_hi:[0,0,1]
	v_pk_fma_f32 v[102:103], v[118:119], v[102:103], v[104:105] op_sel:[0,0,1] op_sel_hi:[1,0,0]
	v_pk_add_f32 v[246:247], v[246:247], v[120:121] neg_lo:[0,1] neg_hi:[0,1]
	s_delay_alu instid0(VALU_DEP_2) | instskip(NEXT) | instid1(VALU_DEP_1)
	v_mov_b32_e32 v107, v103
	v_pk_add_f32 v[248:249], v[248:249], v[106:107] neg_lo:[0,1] neg_hi:[0,1]
.LBB123_253:
	s_or_b32 exec_lo, exec_lo, s1
	s_delay_alu instid0(SALU_CYCLE_1)
	s_mov_b32 s2, exec_lo
	s_wait_dscnt 0x0
	s_barrier_signal -1
	s_barrier_wait -1
	v_cmpx_eq_u32_e32 28, v234
	s_cbranch_execz .LBB123_260
; %bb.254:
	ds_store_b64 v235, v[130:131]
	ds_store_2addr_b64 v236, v[126:127], v[128:129] offset0:29 offset1:30
	ds_store_2addr_b64 v236, v[124:125], v[146:147] offset0:31 offset1:32
	;; [unrolled: 1-line block ×16, first 2 shown]
	ds_store_b64 v236, v[248:249] offset:488
	ds_load_b64 v[102:103], v235
	s_wait_dscnt 0x0
	v_cmp_neq_f32_e32 vcc_lo, 0, v102
	v_cmp_neq_f32_e64 s1, 0, v103
	s_or_b32 s1, vcc_lo, s1
	s_delay_alu instid0(SALU_CYCLE_1)
	s_and_b32 exec_lo, exec_lo, s1
	s_cbranch_execz .LBB123_260
; %bb.255:
	v_cmp_ngt_f32_e64 s1, |v102|, |v103|
                                        ; implicit-def: $vgpr104_vgpr105
	s_and_saveexec_b32 s4, s1
	s_delay_alu instid0(SALU_CYCLE_1)
	s_xor_b32 s1, exec_lo, s4
	s_cbranch_execz .LBB123_257
; %bb.256:
	v_div_scale_f32 v0, null, v103, v103, v102
	v_div_scale_f32 v105, vcc_lo, v102, v103, v102
	s_delay_alu instid0(VALU_DEP_2) | instskip(SKIP_1) | instid1(TRANS32_DEP_1)
	v_rcp_f32_e32 v1, v0
	v_nop
	v_fma_f32 v104, -v0, v1, 1.0
	s_delay_alu instid0(VALU_DEP_1) | instskip(NEXT) | instid1(VALU_DEP_1)
	v_fmac_f32_e32 v1, v104, v1
	v_mul_f32_e32 v104, v105, v1
	s_delay_alu instid0(VALU_DEP_1) | instskip(NEXT) | instid1(VALU_DEP_1)
	v_fma_f32 v106, -v0, v104, v105
	v_fmac_f32_e32 v104, v106, v1
	s_delay_alu instid0(VALU_DEP_1) | instskip(NEXT) | instid1(VALU_DEP_1)
	v_fma_f32 v0, -v0, v104, v105
	v_div_fmas_f32 v0, v0, v1, v104
	s_delay_alu instid0(VALU_DEP_1) | instskip(NEXT) | instid1(VALU_DEP_1)
	v_div_fixup_f32 v0, v0, v103, v102
	v_fmac_f32_e32 v103, v102, v0
	s_delay_alu instid0(VALU_DEP_1) | instskip(SKIP_1) | instid1(VALU_DEP_2)
	v_div_scale_f32 v1, null, v103, v103, 1.0
	v_div_scale_f32 v105, vcc_lo, 1.0, v103, 1.0
	v_rcp_f32_e32 v102, v1
	v_nop
	s_delay_alu instid0(TRANS32_DEP_1) | instskip(NEXT) | instid1(VALU_DEP_1)
	v_fma_f32 v104, -v1, v102, 1.0
	v_fmac_f32_e32 v102, v104, v102
	s_delay_alu instid0(VALU_DEP_1) | instskip(NEXT) | instid1(VALU_DEP_1)
	v_mul_f32_e32 v104, v105, v102
	v_fma_f32 v106, -v1, v104, v105
	s_delay_alu instid0(VALU_DEP_1) | instskip(NEXT) | instid1(VALU_DEP_1)
	v_fmac_f32_e32 v104, v106, v102
	v_fma_f32 v1, -v1, v104, v105
	s_delay_alu instid0(VALU_DEP_1) | instskip(NEXT) | instid1(VALU_DEP_1)
	v_div_fmas_f32 v1, v1, v102, v104
	v_div_fixup_f32 v1, v1, v103, 1.0
                                        ; implicit-def: $vgpr102_vgpr103
	s_delay_alu instid0(VALU_DEP_1)
	v_mul_f32_e32 v104, v0, v1
	v_xor_b32_e32 v105, 0x80000000, v1
.LBB123_257:
	s_and_not1_saveexec_b32 s1, s1
	s_cbranch_execz .LBB123_259
; %bb.258:
	v_div_scale_f32 v0, null, v102, v102, v103
	v_div_scale_f32 v105, vcc_lo, v103, v102, v103
	s_delay_alu instid0(VALU_DEP_2) | instskip(SKIP_1) | instid1(TRANS32_DEP_1)
	v_rcp_f32_e32 v1, v0
	v_nop
	v_fma_f32 v104, -v0, v1, 1.0
	s_delay_alu instid0(VALU_DEP_1) | instskip(NEXT) | instid1(VALU_DEP_1)
	v_fmac_f32_e32 v1, v104, v1
	v_mul_f32_e32 v104, v105, v1
	s_delay_alu instid0(VALU_DEP_1) | instskip(NEXT) | instid1(VALU_DEP_1)
	v_fma_f32 v106, -v0, v104, v105
	v_fmac_f32_e32 v104, v106, v1
	s_delay_alu instid0(VALU_DEP_1) | instskip(NEXT) | instid1(VALU_DEP_1)
	v_fma_f32 v0, -v0, v104, v105
	v_div_fmas_f32 v0, v0, v1, v104
	s_delay_alu instid0(VALU_DEP_1) | instskip(NEXT) | instid1(VALU_DEP_1)
	v_div_fixup_f32 v0, v0, v102, v103
	v_fmac_f32_e32 v102, v103, v0
	s_delay_alu instid0(VALU_DEP_1) | instskip(NEXT) | instid1(VALU_DEP_1)
	v_div_scale_f32 v1, null, v102, v102, 1.0
	v_rcp_f32_e32 v103, v1
	v_nop
	s_delay_alu instid0(TRANS32_DEP_1) | instskip(NEXT) | instid1(VALU_DEP_1)
	v_fma_f32 v104, -v1, v103, 1.0
	v_fmac_f32_e32 v103, v104, v103
	v_div_scale_f32 v104, vcc_lo, 1.0, v102, 1.0
	s_delay_alu instid0(VALU_DEP_1) | instskip(NEXT) | instid1(VALU_DEP_1)
	v_mul_f32_e32 v105, v104, v103
	v_fma_f32 v106, -v1, v105, v104
	s_delay_alu instid0(VALU_DEP_1) | instskip(NEXT) | instid1(VALU_DEP_1)
	v_fmac_f32_e32 v105, v106, v103
	v_fma_f32 v1, -v1, v105, v104
	s_delay_alu instid0(VALU_DEP_1) | instskip(NEXT) | instid1(VALU_DEP_1)
	v_div_fmas_f32 v1, v1, v103, v105
	v_div_fixup_f32 v104, v1, v102, 1.0
	s_delay_alu instid0(VALU_DEP_1)
	v_mul_f32_e64 v105, v0, -v104
.LBB123_259:
	s_or_b32 exec_lo, exec_lo, s1
	ds_store_b64 v235, v[104:105]
.LBB123_260:
	s_or_b32 exec_lo, exec_lo, s2
	s_wait_dscnt 0x0
	s_barrier_signal -1
	s_barrier_wait -1
	ds_load_b64 v[102:103], v235
	s_mov_b32 s1, exec_lo
	v_cmpx_lt_u32_e32 28, v234
	s_cbranch_execz .LBB123_262
; %bb.261:
	ds_load_2addr_b64 v[116:119], v236 offset0:29 offset1:30
	s_wait_dscnt 0x1
	v_pk_mul_f32 v[106:107], v[102:103], v[130:131] op_sel:[1,1] op_sel_hi:[0,1]
	s_delay_alu instid0(VALU_DEP_1) | instskip(SKIP_1) | instid1(VALU_DEP_1)
	v_pk_fma_f32 v[104:105], v[102:103], v[130:131], v[106:107] op_sel_hi:[1,0,1] neg_lo:[0,0,1] neg_hi:[0,0,1]
	v_pk_fma_f32 v[106:107], v[102:103], v[130:131], v[106:107] op_sel_hi:[1,0,1]
	v_dual_mov_b32 v130, v104 :: v_dual_mov_b32 v131, v107
	s_wait_dscnt 0x0
	s_delay_alu instid0(VALU_DEP_2) | instskip(NEXT) | instid1(VALU_DEP_1)
	v_pk_mul_f32 v[120:121], v[116:117], v[106:107] op_sel:[0,1]
	v_pk_fma_f32 v[122:123], v[116:117], v[104:105], v[120:121] op_sel:[0,0,1] op_sel_hi:[1,1,0] neg_lo:[0,0,1] neg_hi:[0,0,1]
	v_pk_fma_f32 v[116:117], v[116:117], v[104:105], v[120:121] op_sel:[0,0,1] op_sel_hi:[1,0,0]
	s_delay_alu instid0(VALU_DEP_1) | instskip(SKIP_1) | instid1(VALU_DEP_1)
	v_mov_b32_e32 v123, v117
	v_pk_mul_f32 v[116:117], v[118:119], v[106:107] op_sel:[0,1]
	v_pk_fma_f32 v[120:121], v[118:119], v[104:105], v[116:117] op_sel:[0,0,1] op_sel_hi:[1,1,0] neg_lo:[0,0,1] neg_hi:[0,0,1]
	v_pk_fma_f32 v[116:117], v[118:119], v[104:105], v[116:117] op_sel:[0,0,1] op_sel_hi:[1,0,0]
	s_delay_alu instid0(VALU_DEP_1)
	v_mov_b32_e32 v121, v117
	ds_load_2addr_b64 v[116:119], v236 offset0:31 offset1:32
	v_pk_add_f32 v[126:127], v[126:127], v[122:123] neg_lo:[0,1] neg_hi:[0,1]
	v_pk_add_f32 v[128:129], v[128:129], v[120:121] neg_lo:[0,1] neg_hi:[0,1]
	s_wait_dscnt 0x0
	v_pk_mul_f32 v[120:121], v[116:117], v[106:107] op_sel:[0,1]
	s_delay_alu instid0(VALU_DEP_1) | instskip(SKIP_2) | instid1(VALU_DEP_2)
	v_pk_fma_f32 v[122:123], v[116:117], v[104:105], v[120:121] op_sel:[0,0,1] op_sel_hi:[1,1,0] neg_lo:[0,0,1] neg_hi:[0,0,1]
	v_pk_fma_f32 v[116:117], v[116:117], v[104:105], v[120:121] op_sel:[0,0,1] op_sel_hi:[1,0,0]
	v_dual_mul_f32 v120, v119, v107 :: v_dual_mov_b32 v116, v119
	v_dual_mov_b32 v123, v117 :: v_dual_mov_b32 v117, v118
	s_delay_alu instid0(VALU_DEP_2) | instskip(SKIP_1) | instid1(VALU_DEP_3)
	v_pk_fma_f32 v[120:121], v[118:119], v[130:131], v[120:121] op_sel_hi:[1,1,0] neg_lo:[0,0,1] neg_hi:[0,0,1]
	v_mul_f32_e32 v118, v119, v104
	v_pk_add_f32 v[124:125], v[124:125], v[122:123] neg_lo:[0,1] neg_hi:[0,1]
	s_delay_alu instid0(VALU_DEP_2) | instskip(NEXT) | instid1(VALU_DEP_1)
	v_pk_fma_f32 v[116:117], v[116:117], v[130:131], v[118:119] op_sel_hi:[1,1,0]
	v_mov_b32_e32 v121, v117
	ds_load_2addr_b64 v[116:119], v236 offset0:33 offset1:34
	v_pk_add_f32 v[146:147], v[146:147], v[120:121] neg_lo:[0,1] neg_hi:[0,1]
	s_wait_dscnt 0x0
	v_pk_mul_f32 v[120:121], v[116:117], v[106:107] op_sel:[0,1]
	s_delay_alu instid0(VALU_DEP_1) | instskip(SKIP_1) | instid1(VALU_DEP_1)
	v_pk_fma_f32 v[122:123], v[116:117], v[104:105], v[120:121] op_sel:[0,0,1] op_sel_hi:[1,1,0] neg_lo:[0,0,1] neg_hi:[0,0,1]
	v_pk_fma_f32 v[116:117], v[116:117], v[104:105], v[120:121] op_sel:[0,0,1] op_sel_hi:[1,0,0]
	v_mov_b32_e32 v123, v117
	v_pk_mul_f32 v[116:117], v[118:119], v[106:107] op_sel:[0,1]
	s_delay_alu instid0(VALU_DEP_1) | instskip(SKIP_1) | instid1(VALU_DEP_1)
	v_pk_fma_f32 v[120:121], v[118:119], v[104:105], v[116:117] op_sel:[0,0,1] op_sel_hi:[1,1,0] neg_lo:[0,0,1] neg_hi:[0,0,1]
	v_pk_fma_f32 v[116:117], v[118:119], v[104:105], v[116:117] op_sel:[0,0,1] op_sel_hi:[1,0,0]
	v_mov_b32_e32 v121, v117
	ds_load_2addr_b64 v[116:119], v236 offset0:35 offset1:36
	v_pk_add_f32 v[142:143], v[142:143], v[122:123] neg_lo:[0,1] neg_hi:[0,1]
	v_pk_add_f32 v[144:145], v[144:145], v[120:121] neg_lo:[0,1] neg_hi:[0,1]
	s_wait_dscnt 0x0
	v_pk_mul_f32 v[120:121], v[116:117], v[106:107] op_sel:[0,1]
	s_delay_alu instid0(VALU_DEP_1) | instskip(SKIP_1) | instid1(VALU_DEP_1)
	v_pk_fma_f32 v[122:123], v[116:117], v[104:105], v[120:121] op_sel:[0,0,1] op_sel_hi:[1,1,0] neg_lo:[0,0,1] neg_hi:[0,0,1]
	v_pk_fma_f32 v[116:117], v[116:117], v[104:105], v[120:121] op_sel:[0,0,1] op_sel_hi:[1,0,0]
	v_mov_b32_e32 v123, v117
	v_pk_mul_f32 v[116:117], v[118:119], v[106:107] op_sel:[0,1]
	s_delay_alu instid0(VALU_DEP_1) | instskip(SKIP_1) | instid1(VALU_DEP_1)
	v_pk_fma_f32 v[120:121], v[118:119], v[104:105], v[116:117] op_sel:[0,0,1] op_sel_hi:[1,1,0] neg_lo:[0,0,1] neg_hi:[0,0,1]
	v_pk_fma_f32 v[116:117], v[118:119], v[104:105], v[116:117] op_sel:[0,0,1] op_sel_hi:[1,0,0]
	v_mov_b32_e32 v121, v117
	ds_load_2addr_b64 v[116:119], v236 offset0:37 offset1:38
	v_pk_add_f32 v[140:141], v[140:141], v[122:123] neg_lo:[0,1] neg_hi:[0,1]
	v_pk_add_f32 v[162:163], v[162:163], v[120:121] neg_lo:[0,1] neg_hi:[0,1]
	s_wait_dscnt 0x0
	v_dual_mul_f32 v120, v117, v107 :: v_dual_mul_f32 v122, v117, v104
	s_delay_alu instid0(VALU_DEP_1) | instskip(NEXT) | instid1(VALU_DEP_2)
	v_pk_fma_f32 v[120:121], v[116:117], v[130:131], v[120:121] op_sel_hi:[1,1,0] neg_lo:[0,0,1] neg_hi:[0,0,1]
	v_pk_fma_f32 v[116:117], v[116:117], v[130:131], v[122:123] op_sel:[1,0,0] op_sel_hi:[0,1,0]
	s_delay_alu instid0(VALU_DEP_1) | instskip(SKIP_1) | instid1(VALU_DEP_2)
	v_mov_b32_e32 v121, v117
	v_pk_mul_f32 v[116:117], v[118:119], v[106:107] op_sel:[0,1]
	v_pk_add_f32 v[158:159], v[158:159], v[120:121] neg_lo:[0,1] neg_hi:[0,1]
	s_delay_alu instid0(VALU_DEP_2) | instskip(SKIP_1) | instid1(VALU_DEP_1)
	v_pk_fma_f32 v[120:121], v[118:119], v[104:105], v[116:117] op_sel:[0,0,1] op_sel_hi:[1,1,0] neg_lo:[0,0,1] neg_hi:[0,0,1]
	v_pk_fma_f32 v[116:117], v[118:119], v[104:105], v[116:117] op_sel:[0,0,1] op_sel_hi:[1,0,0]
	v_mov_b32_e32 v121, v117
	ds_load_2addr_b64 v[116:119], v236 offset0:39 offset1:40
	v_pk_add_f32 v[160:161], v[160:161], v[120:121] neg_lo:[0,1] neg_hi:[0,1]
	s_wait_dscnt 0x0
	v_pk_mul_f32 v[120:121], v[116:117], v[106:107] op_sel:[0,1]
	s_delay_alu instid0(VALU_DEP_1) | instskip(SKIP_1) | instid1(VALU_DEP_1)
	v_pk_fma_f32 v[122:123], v[116:117], v[104:105], v[120:121] op_sel:[0,0,1] op_sel_hi:[1,1,0] neg_lo:[0,0,1] neg_hi:[0,0,1]
	v_pk_fma_f32 v[116:117], v[116:117], v[104:105], v[120:121] op_sel:[0,0,1] op_sel_hi:[1,0,0]
	v_mov_b32_e32 v123, v117
	v_pk_mul_f32 v[116:117], v[118:119], v[106:107] op_sel:[0,1]
	s_delay_alu instid0(VALU_DEP_2) | instskip(NEXT) | instid1(VALU_DEP_2)
	v_pk_add_f32 v[156:157], v[156:157], v[122:123] neg_lo:[0,1] neg_hi:[0,1]
	v_pk_fma_f32 v[120:121], v[118:119], v[104:105], v[116:117] op_sel:[0,0,1] op_sel_hi:[1,1,0] neg_lo:[0,0,1] neg_hi:[0,0,1]
	v_pk_fma_f32 v[116:117], v[118:119], v[104:105], v[116:117] op_sel:[0,0,1] op_sel_hi:[1,0,0]
	s_delay_alu instid0(VALU_DEP_1) | instskip(SKIP_4) | instid1(VALU_DEP_1)
	v_mov_b32_e32 v121, v117
	ds_load_2addr_b64 v[116:119], v236 offset0:41 offset1:42
	v_pk_add_f32 v[178:179], v[178:179], v[120:121] neg_lo:[0,1] neg_hi:[0,1]
	s_wait_dscnt 0x0
	v_pk_mul_f32 v[120:121], v[116:117], v[106:107] op_sel:[0,1]
	v_pk_fma_f32 v[122:123], v[116:117], v[104:105], v[120:121] op_sel:[0,0,1] op_sel_hi:[1,1,0] neg_lo:[0,0,1] neg_hi:[0,0,1]
	v_pk_fma_f32 v[116:117], v[116:117], v[104:105], v[120:121] op_sel:[0,0,1] op_sel_hi:[1,0,0]
	v_dual_mul_f32 v120, v119, v107 :: v_dual_mov_b32 v116, v119
	s_delay_alu instid0(VALU_DEP_2) | instskip(NEXT) | instid1(VALU_DEP_2)
	v_dual_mov_b32 v123, v117 :: v_dual_mov_b32 v117, v118
	v_pk_fma_f32 v[120:121], v[118:119], v[130:131], v[120:121] op_sel_hi:[1,1,0] neg_lo:[0,0,1] neg_hi:[0,0,1]
	v_mul_f32_e32 v118, v119, v104
	s_delay_alu instid0(VALU_DEP_3) | instskip(NEXT) | instid1(VALU_DEP_2)
	v_pk_add_f32 v[174:175], v[174:175], v[122:123] neg_lo:[0,1] neg_hi:[0,1]
	v_pk_fma_f32 v[116:117], v[116:117], v[130:131], v[118:119] op_sel_hi:[1,1,0]
	s_delay_alu instid0(VALU_DEP_1) | instskip(SKIP_4) | instid1(VALU_DEP_1)
	v_mov_b32_e32 v121, v117
	ds_load_2addr_b64 v[116:119], v236 offset0:43 offset1:44
	v_pk_add_f32 v[176:177], v[176:177], v[120:121] neg_lo:[0,1] neg_hi:[0,1]
	s_wait_dscnt 0x0
	v_pk_mul_f32 v[120:121], v[116:117], v[106:107] op_sel:[0,1]
	v_pk_fma_f32 v[122:123], v[116:117], v[104:105], v[120:121] op_sel:[0,0,1] op_sel_hi:[1,1,0] neg_lo:[0,0,1] neg_hi:[0,0,1]
	v_pk_fma_f32 v[116:117], v[116:117], v[104:105], v[120:121] op_sel:[0,0,1] op_sel_hi:[1,0,0]
	s_delay_alu instid0(VALU_DEP_1) | instskip(SKIP_1) | instid1(VALU_DEP_1)
	v_mov_b32_e32 v123, v117
	v_pk_mul_f32 v[116:117], v[118:119], v[106:107] op_sel:[0,1]
	v_pk_fma_f32 v[120:121], v[118:119], v[104:105], v[116:117] op_sel:[0,0,1] op_sel_hi:[1,1,0] neg_lo:[0,0,1] neg_hi:[0,0,1]
	v_pk_fma_f32 v[116:117], v[118:119], v[104:105], v[116:117] op_sel:[0,0,1] op_sel_hi:[1,0,0]
	s_delay_alu instid0(VALU_DEP_1)
	v_mov_b32_e32 v121, v117
	ds_load_2addr_b64 v[116:119], v236 offset0:45 offset1:46
	v_pk_add_f32 v[172:173], v[172:173], v[122:123] neg_lo:[0,1] neg_hi:[0,1]
	v_pk_add_f32 v[194:195], v[194:195], v[120:121] neg_lo:[0,1] neg_hi:[0,1]
	s_wait_dscnt 0x0
	v_pk_mul_f32 v[120:121], v[116:117], v[106:107] op_sel:[0,1]
	s_delay_alu instid0(VALU_DEP_1) | instskip(SKIP_1) | instid1(VALU_DEP_1)
	v_pk_fma_f32 v[122:123], v[116:117], v[104:105], v[120:121] op_sel:[0,0,1] op_sel_hi:[1,1,0] neg_lo:[0,0,1] neg_hi:[0,0,1]
	v_pk_fma_f32 v[116:117], v[116:117], v[104:105], v[120:121] op_sel:[0,0,1] op_sel_hi:[1,0,0]
	v_mov_b32_e32 v123, v117
	v_pk_mul_f32 v[116:117], v[118:119], v[106:107] op_sel:[0,1]
	s_delay_alu instid0(VALU_DEP_1) | instskip(SKIP_1) | instid1(VALU_DEP_1)
	v_pk_fma_f32 v[120:121], v[118:119], v[104:105], v[116:117] op_sel:[0,0,1] op_sel_hi:[1,1,0] neg_lo:[0,0,1] neg_hi:[0,0,1]
	v_pk_fma_f32 v[116:117], v[118:119], v[104:105], v[116:117] op_sel:[0,0,1] op_sel_hi:[1,0,0]
	v_mov_b32_e32 v121, v117
	ds_load_2addr_b64 v[116:119], v236 offset0:47 offset1:48
	v_pk_add_f32 v[190:191], v[190:191], v[122:123] neg_lo:[0,1] neg_hi:[0,1]
	v_pk_add_f32 v[192:193], v[192:193], v[120:121] neg_lo:[0,1] neg_hi:[0,1]
	s_wait_dscnt 0x0
	v_dual_mul_f32 v120, v117, v107 :: v_dual_mul_f32 v122, v117, v104
	s_delay_alu instid0(VALU_DEP_1) | instskip(NEXT) | instid1(VALU_DEP_2)
	v_pk_fma_f32 v[120:121], v[116:117], v[130:131], v[120:121] op_sel_hi:[1,1,0] neg_lo:[0,0,1] neg_hi:[0,0,1]
	v_pk_fma_f32 v[116:117], v[116:117], v[130:131], v[122:123] op_sel:[1,0,0] op_sel_hi:[0,1,0]
	s_delay_alu instid0(VALU_DEP_1) | instskip(SKIP_1) | instid1(VALU_DEP_2)
	v_mov_b32_e32 v121, v117
	v_pk_mul_f32 v[116:117], v[118:119], v[106:107] op_sel:[0,1]
	v_pk_add_f32 v[188:189], v[188:189], v[120:121] neg_lo:[0,1] neg_hi:[0,1]
	s_delay_alu instid0(VALU_DEP_2) | instskip(SKIP_1) | instid1(VALU_DEP_1)
	v_pk_fma_f32 v[120:121], v[118:119], v[104:105], v[116:117] op_sel:[0,0,1] op_sel_hi:[1,1,0] neg_lo:[0,0,1] neg_hi:[0,0,1]
	v_pk_fma_f32 v[116:117], v[118:119], v[104:105], v[116:117] op_sel:[0,0,1] op_sel_hi:[1,0,0]
	v_mov_b32_e32 v121, v117
	ds_load_2addr_b64 v[116:119], v236 offset0:49 offset1:50
	v_pk_add_f32 v[210:211], v[210:211], v[120:121] neg_lo:[0,1] neg_hi:[0,1]
	s_wait_dscnt 0x0
	v_pk_mul_f32 v[120:121], v[116:117], v[106:107] op_sel:[0,1]
	s_delay_alu instid0(VALU_DEP_1) | instskip(SKIP_1) | instid1(VALU_DEP_1)
	v_pk_fma_f32 v[122:123], v[116:117], v[104:105], v[120:121] op_sel:[0,0,1] op_sel_hi:[1,1,0] neg_lo:[0,0,1] neg_hi:[0,0,1]
	v_pk_fma_f32 v[116:117], v[116:117], v[104:105], v[120:121] op_sel:[0,0,1] op_sel_hi:[1,0,0]
	v_mov_b32_e32 v123, v117
	v_pk_mul_f32 v[116:117], v[118:119], v[106:107] op_sel:[0,1]
	s_delay_alu instid0(VALU_DEP_2) | instskip(NEXT) | instid1(VALU_DEP_2)
	v_pk_add_f32 v[206:207], v[206:207], v[122:123] neg_lo:[0,1] neg_hi:[0,1]
	v_pk_fma_f32 v[120:121], v[118:119], v[104:105], v[116:117] op_sel:[0,0,1] op_sel_hi:[1,1,0] neg_lo:[0,0,1] neg_hi:[0,0,1]
	v_pk_fma_f32 v[116:117], v[118:119], v[104:105], v[116:117] op_sel:[0,0,1] op_sel_hi:[1,0,0]
	s_delay_alu instid0(VALU_DEP_1) | instskip(SKIP_4) | instid1(VALU_DEP_1)
	v_mov_b32_e32 v121, v117
	ds_load_2addr_b64 v[116:119], v236 offset0:51 offset1:52
	v_pk_add_f32 v[208:209], v[208:209], v[120:121] neg_lo:[0,1] neg_hi:[0,1]
	s_wait_dscnt 0x0
	v_pk_mul_f32 v[120:121], v[116:117], v[106:107] op_sel:[0,1]
	v_pk_fma_f32 v[122:123], v[116:117], v[104:105], v[120:121] op_sel:[0,0,1] op_sel_hi:[1,1,0] neg_lo:[0,0,1] neg_hi:[0,0,1]
	v_pk_fma_f32 v[116:117], v[116:117], v[104:105], v[120:121] op_sel:[0,0,1] op_sel_hi:[1,0,0]
	v_dual_mul_f32 v120, v119, v107 :: v_dual_mov_b32 v116, v119
	s_delay_alu instid0(VALU_DEP_2) | instskip(NEXT) | instid1(VALU_DEP_2)
	v_dual_mov_b32 v123, v117 :: v_dual_mov_b32 v117, v118
	v_pk_fma_f32 v[120:121], v[118:119], v[130:131], v[120:121] op_sel_hi:[1,1,0] neg_lo:[0,0,1] neg_hi:[0,0,1]
	v_mul_f32_e32 v118, v119, v104
	s_delay_alu instid0(VALU_DEP_3) | instskip(NEXT) | instid1(VALU_DEP_2)
	v_pk_add_f32 v[204:205], v[204:205], v[122:123] neg_lo:[0,1] neg_hi:[0,1]
	v_pk_fma_f32 v[116:117], v[116:117], v[130:131], v[118:119] op_sel_hi:[1,1,0]
	s_delay_alu instid0(VALU_DEP_1) | instskip(SKIP_4) | instid1(VALU_DEP_1)
	v_mov_b32_e32 v121, v117
	ds_load_2addr_b64 v[116:119], v236 offset0:53 offset1:54
	v_pk_add_f32 v[228:229], v[228:229], v[120:121] neg_lo:[0,1] neg_hi:[0,1]
	s_wait_dscnt 0x0
	v_pk_mul_f32 v[120:121], v[116:117], v[106:107] op_sel:[0,1]
	v_pk_fma_f32 v[122:123], v[116:117], v[104:105], v[120:121] op_sel:[0,0,1] op_sel_hi:[1,1,0] neg_lo:[0,0,1] neg_hi:[0,0,1]
	v_pk_fma_f32 v[116:117], v[116:117], v[104:105], v[120:121] op_sel:[0,0,1] op_sel_hi:[1,0,0]
	s_delay_alu instid0(VALU_DEP_1) | instskip(SKIP_1) | instid1(VALU_DEP_1)
	v_mov_b32_e32 v123, v117
	v_pk_mul_f32 v[116:117], v[118:119], v[106:107] op_sel:[0,1]
	v_pk_fma_f32 v[120:121], v[118:119], v[104:105], v[116:117] op_sel:[0,0,1] op_sel_hi:[1,1,0] neg_lo:[0,0,1] neg_hi:[0,0,1]
	v_pk_fma_f32 v[116:117], v[118:119], v[104:105], v[116:117] op_sel:[0,0,1] op_sel_hi:[1,0,0]
	s_delay_alu instid0(VALU_DEP_1)
	v_mov_b32_e32 v121, v117
	ds_load_2addr_b64 v[116:119], v236 offset0:55 offset1:56
	v_pk_add_f32 v[224:225], v[224:225], v[122:123] neg_lo:[0,1] neg_hi:[0,1]
	v_pk_add_f32 v[226:227], v[226:227], v[120:121] neg_lo:[0,1] neg_hi:[0,1]
	s_wait_dscnt 0x0
	v_pk_mul_f32 v[120:121], v[116:117], v[106:107] op_sel:[0,1]
	s_delay_alu instid0(VALU_DEP_1) | instskip(SKIP_1) | instid1(VALU_DEP_1)
	v_pk_fma_f32 v[122:123], v[116:117], v[104:105], v[120:121] op_sel:[0,0,1] op_sel_hi:[1,1,0] neg_lo:[0,0,1] neg_hi:[0,0,1]
	v_pk_fma_f32 v[116:117], v[116:117], v[104:105], v[120:121] op_sel:[0,0,1] op_sel_hi:[1,0,0]
	v_mov_b32_e32 v123, v117
	v_pk_mul_f32 v[116:117], v[118:119], v[106:107] op_sel:[0,1]
	s_delay_alu instid0(VALU_DEP_1) | instskip(SKIP_1) | instid1(VALU_DEP_1)
	v_pk_fma_f32 v[120:121], v[118:119], v[104:105], v[116:117] op_sel:[0,0,1] op_sel_hi:[1,1,0] neg_lo:[0,0,1] neg_hi:[0,0,1]
	v_pk_fma_f32 v[116:117], v[118:119], v[104:105], v[116:117] op_sel:[0,0,1] op_sel_hi:[1,0,0]
	v_mov_b32_e32 v121, v117
	ds_load_2addr_b64 v[116:119], v236 offset0:57 offset1:58
	v_pk_add_f32 v[222:223], v[222:223], v[122:123] neg_lo:[0,1] neg_hi:[0,1]
	v_pk_add_f32 v[244:245], v[244:245], v[120:121] neg_lo:[0,1] neg_hi:[0,1]
	s_wait_dscnt 0x0
	v_dual_mul_f32 v120, v117, v107 :: v_dual_mul_f32 v122, v117, v104
	s_delay_alu instid0(VALU_DEP_1) | instskip(NEXT) | instid1(VALU_DEP_2)
	v_pk_fma_f32 v[120:121], v[116:117], v[130:131], v[120:121] op_sel_hi:[1,1,0] neg_lo:[0,0,1] neg_hi:[0,0,1]
	v_pk_fma_f32 v[116:117], v[116:117], v[130:131], v[122:123] op_sel:[1,0,0] op_sel_hi:[0,1,0]
	s_delay_alu instid0(VALU_DEP_1) | instskip(SKIP_1) | instid1(VALU_DEP_2)
	v_mov_b32_e32 v121, v117
	v_pk_mul_f32 v[116:117], v[118:119], v[106:107] op_sel:[0,1]
	v_pk_add_f32 v[240:241], v[240:241], v[120:121] neg_lo:[0,1] neg_hi:[0,1]
	s_delay_alu instid0(VALU_DEP_2) | instskip(SKIP_1) | instid1(VALU_DEP_1)
	v_pk_fma_f32 v[120:121], v[118:119], v[104:105], v[116:117] op_sel:[0,0,1] op_sel_hi:[1,1,0] neg_lo:[0,0,1] neg_hi:[0,0,1]
	v_pk_fma_f32 v[116:117], v[118:119], v[104:105], v[116:117] op_sel:[0,0,1] op_sel_hi:[1,0,0]
	v_mov_b32_e32 v121, v117
	ds_load_2addr_b64 v[116:119], v236 offset0:59 offset1:60
	v_pk_add_f32 v[242:243], v[242:243], v[120:121] neg_lo:[0,1] neg_hi:[0,1]
	s_wait_dscnt 0x0
	v_pk_mul_f32 v[120:121], v[116:117], v[106:107] op_sel:[0,1]
	s_delay_alu instid0(VALU_DEP_1) | instskip(SKIP_1) | instid1(VALU_DEP_1)
	v_pk_fma_f32 v[122:123], v[116:117], v[104:105], v[120:121] op_sel:[0,0,1] op_sel_hi:[1,1,0] neg_lo:[0,0,1] neg_hi:[0,0,1]
	v_pk_fma_f32 v[116:117], v[116:117], v[104:105], v[120:121] op_sel:[0,0,1] op_sel_hi:[1,0,0]
	v_mov_b32_e32 v123, v117
	v_pk_mul_f32 v[116:117], v[118:119], v[106:107] op_sel:[0,1]
	s_delay_alu instid0(VALU_DEP_2) | instskip(NEXT) | instid1(VALU_DEP_2)
	v_pk_add_f32 v[238:239], v[238:239], v[122:123] neg_lo:[0,1] neg_hi:[0,1]
	v_pk_fma_f32 v[120:121], v[118:119], v[104:105], v[116:117] op_sel:[0,0,1] op_sel_hi:[1,1,0] neg_lo:[0,0,1] neg_hi:[0,0,1]
	v_pk_fma_f32 v[116:117], v[118:119], v[104:105], v[116:117] op_sel:[0,0,1] op_sel_hi:[1,0,0]
	s_delay_alu instid0(VALU_DEP_1) | instskip(SKIP_4) | instid1(VALU_DEP_1)
	v_mov_b32_e32 v121, v117
	ds_load_b64 v[116:117], v236 offset:488
	v_pk_add_f32 v[246:247], v[246:247], v[120:121] neg_lo:[0,1] neg_hi:[0,1]
	s_wait_dscnt 0x0
	v_pk_mul_f32 v[106:107], v[116:117], v[106:107] op_sel:[0,1]
	v_pk_fma_f32 v[118:119], v[116:117], v[104:105], v[106:107] op_sel:[0,0,1] op_sel_hi:[1,1,0] neg_lo:[0,0,1] neg_hi:[0,0,1]
	v_pk_fma_f32 v[104:105], v[116:117], v[104:105], v[106:107] op_sel:[0,0,1] op_sel_hi:[1,0,0]
	s_delay_alu instid0(VALU_DEP_1) | instskip(NEXT) | instid1(VALU_DEP_1)
	v_mov_b32_e32 v119, v105
	v_pk_add_f32 v[248:249], v[248:249], v[118:119] neg_lo:[0,1] neg_hi:[0,1]
.LBB123_262:
	s_or_b32 exec_lo, exec_lo, s1
	s_delay_alu instid0(SALU_CYCLE_1)
	s_mov_b32 s2, exec_lo
	s_wait_dscnt 0x0
	s_barrier_signal -1
	s_barrier_wait -1
	v_cmpx_eq_u32_e32 29, v234
	s_cbranch_execz .LBB123_269
; %bb.263:
	v_dual_mov_b32 v104, v128 :: v_dual_mov_b32 v105, v129
	v_dual_mov_b32 v106, v124 :: v_dual_mov_b32 v107, v125
	ds_store_b64 v235, v[126:127]
	ds_store_2addr_b64 v236, v[104:105], v[106:107] offset0:30 offset1:31
	v_dual_mov_b32 v104, v146 :: v_dual_mov_b32 v105, v147
	v_dual_mov_b32 v106, v142 :: v_dual_mov_b32 v107, v143
	ds_store_2addr_b64 v236, v[104:105], v[106:107] offset0:32 offset1:33
	v_dual_mov_b32 v104, v144 :: v_dual_mov_b32 v105, v145
	v_dual_mov_b32 v106, v140 :: v_dual_mov_b32 v107, v141
	;; [unrolled: 3-line block ×14, first 2 shown]
	ds_store_2addr_b64 v236, v[104:105], v[106:107] offset0:58 offset1:59
	v_dual_mov_b32 v104, v246 :: v_dual_mov_b32 v105, v247
	ds_store_2addr_b64 v236, v[104:105], v[248:249] offset0:60 offset1:61
	ds_load_b64 v[104:105], v235
	s_wait_dscnt 0x0
	v_cmp_neq_f32_e32 vcc_lo, 0, v104
	v_cmp_neq_f32_e64 s1, 0, v105
	s_or_b32 s1, vcc_lo, s1
	s_delay_alu instid0(SALU_CYCLE_1)
	s_and_b32 exec_lo, exec_lo, s1
	s_cbranch_execz .LBB123_269
; %bb.264:
	v_cmp_ngt_f32_e64 s1, |v104|, |v105|
                                        ; implicit-def: $vgpr106_vgpr107
	s_and_saveexec_b32 s4, s1
	s_delay_alu instid0(SALU_CYCLE_1)
	s_xor_b32 s1, exec_lo, s4
	s_cbranch_execz .LBB123_266
; %bb.265:
	v_div_scale_f32 v0, null, v105, v105, v104
	v_div_scale_f32 v107, vcc_lo, v104, v105, v104
	s_delay_alu instid0(VALU_DEP_2) | instskip(SKIP_1) | instid1(TRANS32_DEP_1)
	v_rcp_f32_e32 v1, v0
	v_nop
	v_fma_f32 v106, -v0, v1, 1.0
	s_delay_alu instid0(VALU_DEP_1) | instskip(NEXT) | instid1(VALU_DEP_1)
	v_fmac_f32_e32 v1, v106, v1
	v_mul_f32_e32 v106, v107, v1
	s_delay_alu instid0(VALU_DEP_1) | instskip(NEXT) | instid1(VALU_DEP_1)
	v_fma_f32 v116, -v0, v106, v107
	v_fmac_f32_e32 v106, v116, v1
	s_delay_alu instid0(VALU_DEP_1) | instskip(NEXT) | instid1(VALU_DEP_1)
	v_fma_f32 v0, -v0, v106, v107
	v_div_fmas_f32 v0, v0, v1, v106
	s_delay_alu instid0(VALU_DEP_1) | instskip(NEXT) | instid1(VALU_DEP_1)
	v_div_fixup_f32 v0, v0, v105, v104
	v_fmac_f32_e32 v105, v104, v0
	s_delay_alu instid0(VALU_DEP_1) | instskip(SKIP_1) | instid1(VALU_DEP_2)
	v_div_scale_f32 v1, null, v105, v105, 1.0
	v_div_scale_f32 v107, vcc_lo, 1.0, v105, 1.0
	v_rcp_f32_e32 v104, v1
	v_nop
	s_delay_alu instid0(TRANS32_DEP_1) | instskip(NEXT) | instid1(VALU_DEP_1)
	v_fma_f32 v106, -v1, v104, 1.0
	v_fmac_f32_e32 v104, v106, v104
	s_delay_alu instid0(VALU_DEP_1) | instskip(NEXT) | instid1(VALU_DEP_1)
	v_mul_f32_e32 v106, v107, v104
	v_fma_f32 v116, -v1, v106, v107
	s_delay_alu instid0(VALU_DEP_1) | instskip(NEXT) | instid1(VALU_DEP_1)
	v_fmac_f32_e32 v106, v116, v104
	v_fma_f32 v1, -v1, v106, v107
	s_delay_alu instid0(VALU_DEP_1) | instskip(NEXT) | instid1(VALU_DEP_1)
	v_div_fmas_f32 v1, v1, v104, v106
	v_div_fixup_f32 v1, v1, v105, 1.0
                                        ; implicit-def: $vgpr104_vgpr105
	s_delay_alu instid0(VALU_DEP_1)
	v_mul_f32_e32 v106, v0, v1
	v_xor_b32_e32 v107, 0x80000000, v1
.LBB123_266:
	s_and_not1_saveexec_b32 s1, s1
	s_cbranch_execz .LBB123_268
; %bb.267:
	v_div_scale_f32 v0, null, v104, v104, v105
	v_div_scale_f32 v107, vcc_lo, v105, v104, v105
	s_delay_alu instid0(VALU_DEP_2) | instskip(SKIP_1) | instid1(TRANS32_DEP_1)
	v_rcp_f32_e32 v1, v0
	v_nop
	v_fma_f32 v106, -v0, v1, 1.0
	s_delay_alu instid0(VALU_DEP_1) | instskip(NEXT) | instid1(VALU_DEP_1)
	v_fmac_f32_e32 v1, v106, v1
	v_mul_f32_e32 v106, v107, v1
	s_delay_alu instid0(VALU_DEP_1) | instskip(NEXT) | instid1(VALU_DEP_1)
	v_fma_f32 v116, -v0, v106, v107
	v_fmac_f32_e32 v106, v116, v1
	s_delay_alu instid0(VALU_DEP_1) | instskip(NEXT) | instid1(VALU_DEP_1)
	v_fma_f32 v0, -v0, v106, v107
	v_div_fmas_f32 v0, v0, v1, v106
	s_delay_alu instid0(VALU_DEP_1) | instskip(NEXT) | instid1(VALU_DEP_1)
	v_div_fixup_f32 v0, v0, v104, v105
	v_fmac_f32_e32 v104, v105, v0
	s_delay_alu instid0(VALU_DEP_1) | instskip(NEXT) | instid1(VALU_DEP_1)
	v_div_scale_f32 v1, null, v104, v104, 1.0
	v_rcp_f32_e32 v105, v1
	v_nop
	s_delay_alu instid0(TRANS32_DEP_1) | instskip(NEXT) | instid1(VALU_DEP_1)
	v_fma_f32 v106, -v1, v105, 1.0
	v_fmac_f32_e32 v105, v106, v105
	v_div_scale_f32 v106, vcc_lo, 1.0, v104, 1.0
	s_delay_alu instid0(VALU_DEP_1) | instskip(NEXT) | instid1(VALU_DEP_1)
	v_mul_f32_e32 v107, v106, v105
	v_fma_f32 v116, -v1, v107, v106
	s_delay_alu instid0(VALU_DEP_1) | instskip(NEXT) | instid1(VALU_DEP_1)
	v_fmac_f32_e32 v107, v116, v105
	v_fma_f32 v1, -v1, v107, v106
	s_delay_alu instid0(VALU_DEP_1) | instskip(NEXT) | instid1(VALU_DEP_1)
	v_div_fmas_f32 v1, v1, v105, v107
	v_div_fixup_f32 v106, v1, v104, 1.0
	s_delay_alu instid0(VALU_DEP_1)
	v_mul_f32_e64 v107, v0, -v106
.LBB123_268:
	s_or_b32 exec_lo, exec_lo, s1
	ds_store_b64 v235, v[106:107]
.LBB123_269:
	s_or_b32 exec_lo, exec_lo, s2
	s_wait_dscnt 0x0
	s_barrier_signal -1
	s_barrier_wait -1
	ds_load_b64 v[104:105], v235
	s_mov_b32 s1, exec_lo
	v_cmpx_lt_u32_e32 29, v234
	s_cbranch_execz .LBB123_271
; %bb.270:
	ds_load_2addr_b64 v[118:121], v236 offset0:30 offset1:31
	s_wait_dscnt 0x1
	v_pk_mul_f32 v[116:117], v[104:105], v[126:127] op_sel:[1,1] op_sel_hi:[0,1]
	s_delay_alu instid0(VALU_DEP_1) | instskip(SKIP_1) | instid1(VALU_DEP_1)
	v_pk_fma_f32 v[106:107], v[104:105], v[126:127], v[116:117] op_sel_hi:[1,0,1] neg_lo:[0,0,1] neg_hi:[0,0,1]
	v_pk_fma_f32 v[116:117], v[104:105], v[126:127], v[116:117] op_sel_hi:[1,0,1]
	v_dual_mov_b32 v126, v106 :: v_dual_mov_b32 v127, v117
	s_wait_dscnt 0x0
	s_delay_alu instid0(VALU_DEP_2) | instskip(NEXT) | instid1(VALU_DEP_1)
	v_pk_mul_f32 v[122:123], v[118:119], v[116:117] op_sel:[0,1]
	v_pk_fma_f32 v[132:133], v[118:119], v[106:107], v[122:123] op_sel:[0,0,1] op_sel_hi:[1,1,0] neg_lo:[0,0,1] neg_hi:[0,0,1]
	v_pk_fma_f32 v[118:119], v[118:119], v[106:107], v[122:123] op_sel:[0,0,1] op_sel_hi:[1,0,0]
	s_delay_alu instid0(VALU_DEP_1) | instskip(SKIP_1) | instid1(VALU_DEP_1)
	v_mov_b32_e32 v133, v119
	v_pk_mul_f32 v[118:119], v[120:121], v[116:117] op_sel:[0,1]
	v_pk_fma_f32 v[122:123], v[120:121], v[106:107], v[118:119] op_sel:[0,0,1] op_sel_hi:[1,1,0] neg_lo:[0,0,1] neg_hi:[0,0,1]
	v_pk_fma_f32 v[118:119], v[120:121], v[106:107], v[118:119] op_sel:[0,0,1] op_sel_hi:[1,0,0]
	s_delay_alu instid0(VALU_DEP_1)
	v_mov_b32_e32 v123, v119
	ds_load_2addr_b64 v[118:121], v236 offset0:32 offset1:33
	v_pk_add_f32 v[128:129], v[128:129], v[132:133] neg_lo:[0,1] neg_hi:[0,1]
	v_pk_add_f32 v[124:125], v[124:125], v[122:123] neg_lo:[0,1] neg_hi:[0,1]
	s_wait_dscnt 0x0
	v_pk_mul_f32 v[122:123], v[118:119], v[116:117] op_sel:[0,1]
	s_delay_alu instid0(VALU_DEP_1) | instskip(SKIP_2) | instid1(VALU_DEP_2)
	v_pk_fma_f32 v[132:133], v[118:119], v[106:107], v[122:123] op_sel:[0,0,1] op_sel_hi:[1,1,0] neg_lo:[0,0,1] neg_hi:[0,0,1]
	v_pk_fma_f32 v[118:119], v[118:119], v[106:107], v[122:123] op_sel:[0,0,1] op_sel_hi:[1,0,0]
	v_dual_mul_f32 v122, v121, v117 :: v_dual_mov_b32 v118, v121
	v_dual_mov_b32 v133, v119 :: v_dual_mov_b32 v119, v120
	s_delay_alu instid0(VALU_DEP_2) | instskip(SKIP_1) | instid1(VALU_DEP_3)
	v_pk_fma_f32 v[122:123], v[120:121], v[126:127], v[122:123] op_sel_hi:[1,1,0] neg_lo:[0,0,1] neg_hi:[0,0,1]
	v_mul_f32_e32 v120, v121, v106
	v_pk_add_f32 v[146:147], v[146:147], v[132:133] neg_lo:[0,1] neg_hi:[0,1]
	s_delay_alu instid0(VALU_DEP_2) | instskip(NEXT) | instid1(VALU_DEP_1)
	v_pk_fma_f32 v[118:119], v[118:119], v[126:127], v[120:121] op_sel_hi:[1,1,0]
	v_mov_b32_e32 v123, v119
	ds_load_2addr_b64 v[118:121], v236 offset0:34 offset1:35
	v_pk_add_f32 v[142:143], v[142:143], v[122:123] neg_lo:[0,1] neg_hi:[0,1]
	s_wait_dscnt 0x0
	v_pk_mul_f32 v[122:123], v[118:119], v[116:117] op_sel:[0,1]
	s_delay_alu instid0(VALU_DEP_1) | instskip(SKIP_1) | instid1(VALU_DEP_1)
	v_pk_fma_f32 v[132:133], v[118:119], v[106:107], v[122:123] op_sel:[0,0,1] op_sel_hi:[1,1,0] neg_lo:[0,0,1] neg_hi:[0,0,1]
	v_pk_fma_f32 v[118:119], v[118:119], v[106:107], v[122:123] op_sel:[0,0,1] op_sel_hi:[1,0,0]
	v_mov_b32_e32 v133, v119
	v_pk_mul_f32 v[118:119], v[120:121], v[116:117] op_sel:[0,1]
	s_delay_alu instid0(VALU_DEP_1) | instskip(SKIP_1) | instid1(VALU_DEP_1)
	v_pk_fma_f32 v[122:123], v[120:121], v[106:107], v[118:119] op_sel:[0,0,1] op_sel_hi:[1,1,0] neg_lo:[0,0,1] neg_hi:[0,0,1]
	v_pk_fma_f32 v[118:119], v[120:121], v[106:107], v[118:119] op_sel:[0,0,1] op_sel_hi:[1,0,0]
	v_mov_b32_e32 v123, v119
	ds_load_2addr_b64 v[118:121], v236 offset0:36 offset1:37
	v_pk_add_f32 v[144:145], v[144:145], v[132:133] neg_lo:[0,1] neg_hi:[0,1]
	v_pk_add_f32 v[140:141], v[140:141], v[122:123] neg_lo:[0,1] neg_hi:[0,1]
	s_wait_dscnt 0x0
	v_pk_mul_f32 v[122:123], v[118:119], v[116:117] op_sel:[0,1]
	s_delay_alu instid0(VALU_DEP_1) | instskip(SKIP_1) | instid1(VALU_DEP_1)
	v_pk_fma_f32 v[132:133], v[118:119], v[106:107], v[122:123] op_sel:[0,0,1] op_sel_hi:[1,1,0] neg_lo:[0,0,1] neg_hi:[0,0,1]
	v_pk_fma_f32 v[118:119], v[118:119], v[106:107], v[122:123] op_sel:[0,0,1] op_sel_hi:[1,0,0]
	v_mov_b32_e32 v133, v119
	v_pk_mul_f32 v[118:119], v[120:121], v[116:117] op_sel:[0,1]
	s_delay_alu instid0(VALU_DEP_1) | instskip(SKIP_1) | instid1(VALU_DEP_1)
	v_pk_fma_f32 v[122:123], v[120:121], v[106:107], v[118:119] op_sel:[0,0,1] op_sel_hi:[1,1,0] neg_lo:[0,0,1] neg_hi:[0,0,1]
	v_pk_fma_f32 v[118:119], v[120:121], v[106:107], v[118:119] op_sel:[0,0,1] op_sel_hi:[1,0,0]
	v_mov_b32_e32 v123, v119
	ds_load_2addr_b64 v[118:121], v236 offset0:38 offset1:39
	v_pk_add_f32 v[162:163], v[162:163], v[132:133] neg_lo:[0,1] neg_hi:[0,1]
	v_pk_add_f32 v[158:159], v[158:159], v[122:123] neg_lo:[0,1] neg_hi:[0,1]
	s_wait_dscnt 0x0
	v_dual_mul_f32 v122, v119, v117 :: v_dual_mul_f32 v132, v119, v106
	s_delay_alu instid0(VALU_DEP_1) | instskip(NEXT) | instid1(VALU_DEP_2)
	v_pk_fma_f32 v[122:123], v[118:119], v[126:127], v[122:123] op_sel_hi:[1,1,0] neg_lo:[0,0,1] neg_hi:[0,0,1]
	v_pk_fma_f32 v[118:119], v[118:119], v[126:127], v[132:133] op_sel:[1,0,0] op_sel_hi:[0,1,0]
	s_delay_alu instid0(VALU_DEP_1) | instskip(SKIP_1) | instid1(VALU_DEP_2)
	v_mov_b32_e32 v123, v119
	v_pk_mul_f32 v[118:119], v[120:121], v[116:117] op_sel:[0,1]
	v_pk_add_f32 v[160:161], v[160:161], v[122:123] neg_lo:[0,1] neg_hi:[0,1]
	s_delay_alu instid0(VALU_DEP_2) | instskip(SKIP_1) | instid1(VALU_DEP_1)
	v_pk_fma_f32 v[122:123], v[120:121], v[106:107], v[118:119] op_sel:[0,0,1] op_sel_hi:[1,1,0] neg_lo:[0,0,1] neg_hi:[0,0,1]
	v_pk_fma_f32 v[118:119], v[120:121], v[106:107], v[118:119] op_sel:[0,0,1] op_sel_hi:[1,0,0]
	v_mov_b32_e32 v123, v119
	ds_load_2addr_b64 v[118:121], v236 offset0:40 offset1:41
	v_pk_add_f32 v[156:157], v[156:157], v[122:123] neg_lo:[0,1] neg_hi:[0,1]
	s_wait_dscnt 0x0
	v_pk_mul_f32 v[122:123], v[118:119], v[116:117] op_sel:[0,1]
	s_delay_alu instid0(VALU_DEP_1) | instskip(SKIP_1) | instid1(VALU_DEP_1)
	v_pk_fma_f32 v[132:133], v[118:119], v[106:107], v[122:123] op_sel:[0,0,1] op_sel_hi:[1,1,0] neg_lo:[0,0,1] neg_hi:[0,0,1]
	v_pk_fma_f32 v[118:119], v[118:119], v[106:107], v[122:123] op_sel:[0,0,1] op_sel_hi:[1,0,0]
	v_mov_b32_e32 v133, v119
	v_pk_mul_f32 v[118:119], v[120:121], v[116:117] op_sel:[0,1]
	s_delay_alu instid0(VALU_DEP_2) | instskip(NEXT) | instid1(VALU_DEP_2)
	v_pk_add_f32 v[178:179], v[178:179], v[132:133] neg_lo:[0,1] neg_hi:[0,1]
	v_pk_fma_f32 v[122:123], v[120:121], v[106:107], v[118:119] op_sel:[0,0,1] op_sel_hi:[1,1,0] neg_lo:[0,0,1] neg_hi:[0,0,1]
	v_pk_fma_f32 v[118:119], v[120:121], v[106:107], v[118:119] op_sel:[0,0,1] op_sel_hi:[1,0,0]
	s_delay_alu instid0(VALU_DEP_1) | instskip(SKIP_4) | instid1(VALU_DEP_1)
	v_mov_b32_e32 v123, v119
	ds_load_2addr_b64 v[118:121], v236 offset0:42 offset1:43
	v_pk_add_f32 v[174:175], v[174:175], v[122:123] neg_lo:[0,1] neg_hi:[0,1]
	s_wait_dscnt 0x0
	v_pk_mul_f32 v[122:123], v[118:119], v[116:117] op_sel:[0,1]
	v_pk_fma_f32 v[132:133], v[118:119], v[106:107], v[122:123] op_sel:[0,0,1] op_sel_hi:[1,1,0] neg_lo:[0,0,1] neg_hi:[0,0,1]
	v_pk_fma_f32 v[118:119], v[118:119], v[106:107], v[122:123] op_sel:[0,0,1] op_sel_hi:[1,0,0]
	v_dual_mul_f32 v122, v121, v117 :: v_dual_mov_b32 v118, v121
	s_delay_alu instid0(VALU_DEP_2) | instskip(NEXT) | instid1(VALU_DEP_2)
	v_dual_mov_b32 v133, v119 :: v_dual_mov_b32 v119, v120
	v_pk_fma_f32 v[122:123], v[120:121], v[126:127], v[122:123] op_sel_hi:[1,1,0] neg_lo:[0,0,1] neg_hi:[0,0,1]
	v_mul_f32_e32 v120, v121, v106
	s_delay_alu instid0(VALU_DEP_3) | instskip(NEXT) | instid1(VALU_DEP_2)
	v_pk_add_f32 v[176:177], v[176:177], v[132:133] neg_lo:[0,1] neg_hi:[0,1]
	v_pk_fma_f32 v[118:119], v[118:119], v[126:127], v[120:121] op_sel_hi:[1,1,0]
	s_delay_alu instid0(VALU_DEP_1) | instskip(SKIP_4) | instid1(VALU_DEP_1)
	v_mov_b32_e32 v123, v119
	ds_load_2addr_b64 v[118:121], v236 offset0:44 offset1:45
	v_pk_add_f32 v[172:173], v[172:173], v[122:123] neg_lo:[0,1] neg_hi:[0,1]
	s_wait_dscnt 0x0
	v_pk_mul_f32 v[122:123], v[118:119], v[116:117] op_sel:[0,1]
	v_pk_fma_f32 v[132:133], v[118:119], v[106:107], v[122:123] op_sel:[0,0,1] op_sel_hi:[1,1,0] neg_lo:[0,0,1] neg_hi:[0,0,1]
	v_pk_fma_f32 v[118:119], v[118:119], v[106:107], v[122:123] op_sel:[0,0,1] op_sel_hi:[1,0,0]
	s_delay_alu instid0(VALU_DEP_1) | instskip(SKIP_1) | instid1(VALU_DEP_1)
	v_mov_b32_e32 v133, v119
	v_pk_mul_f32 v[118:119], v[120:121], v[116:117] op_sel:[0,1]
	v_pk_fma_f32 v[122:123], v[120:121], v[106:107], v[118:119] op_sel:[0,0,1] op_sel_hi:[1,1,0] neg_lo:[0,0,1] neg_hi:[0,0,1]
	v_pk_fma_f32 v[118:119], v[120:121], v[106:107], v[118:119] op_sel:[0,0,1] op_sel_hi:[1,0,0]
	s_delay_alu instid0(VALU_DEP_1)
	v_mov_b32_e32 v123, v119
	ds_load_2addr_b64 v[118:121], v236 offset0:46 offset1:47
	v_pk_add_f32 v[194:195], v[194:195], v[132:133] neg_lo:[0,1] neg_hi:[0,1]
	v_pk_add_f32 v[190:191], v[190:191], v[122:123] neg_lo:[0,1] neg_hi:[0,1]
	s_wait_dscnt 0x0
	v_pk_mul_f32 v[122:123], v[118:119], v[116:117] op_sel:[0,1]
	s_delay_alu instid0(VALU_DEP_1) | instskip(SKIP_1) | instid1(VALU_DEP_1)
	v_pk_fma_f32 v[132:133], v[118:119], v[106:107], v[122:123] op_sel:[0,0,1] op_sel_hi:[1,1,0] neg_lo:[0,0,1] neg_hi:[0,0,1]
	v_pk_fma_f32 v[118:119], v[118:119], v[106:107], v[122:123] op_sel:[0,0,1] op_sel_hi:[1,0,0]
	v_mov_b32_e32 v133, v119
	v_pk_mul_f32 v[118:119], v[120:121], v[116:117] op_sel:[0,1]
	s_delay_alu instid0(VALU_DEP_1) | instskip(SKIP_1) | instid1(VALU_DEP_1)
	v_pk_fma_f32 v[122:123], v[120:121], v[106:107], v[118:119] op_sel:[0,0,1] op_sel_hi:[1,1,0] neg_lo:[0,0,1] neg_hi:[0,0,1]
	v_pk_fma_f32 v[118:119], v[120:121], v[106:107], v[118:119] op_sel:[0,0,1] op_sel_hi:[1,0,0]
	v_mov_b32_e32 v123, v119
	ds_load_2addr_b64 v[118:121], v236 offset0:48 offset1:49
	v_pk_add_f32 v[192:193], v[192:193], v[132:133] neg_lo:[0,1] neg_hi:[0,1]
	v_pk_add_f32 v[188:189], v[188:189], v[122:123] neg_lo:[0,1] neg_hi:[0,1]
	s_wait_dscnt 0x0
	v_dual_mul_f32 v122, v119, v117 :: v_dual_mul_f32 v132, v119, v106
	s_delay_alu instid0(VALU_DEP_1) | instskip(NEXT) | instid1(VALU_DEP_2)
	v_pk_fma_f32 v[122:123], v[118:119], v[126:127], v[122:123] op_sel_hi:[1,1,0] neg_lo:[0,0,1] neg_hi:[0,0,1]
	v_pk_fma_f32 v[118:119], v[118:119], v[126:127], v[132:133] op_sel:[1,0,0] op_sel_hi:[0,1,0]
	s_delay_alu instid0(VALU_DEP_1) | instskip(SKIP_1) | instid1(VALU_DEP_2)
	v_mov_b32_e32 v123, v119
	v_pk_mul_f32 v[118:119], v[120:121], v[116:117] op_sel:[0,1]
	v_pk_add_f32 v[210:211], v[210:211], v[122:123] neg_lo:[0,1] neg_hi:[0,1]
	s_delay_alu instid0(VALU_DEP_2) | instskip(SKIP_1) | instid1(VALU_DEP_1)
	v_pk_fma_f32 v[122:123], v[120:121], v[106:107], v[118:119] op_sel:[0,0,1] op_sel_hi:[1,1,0] neg_lo:[0,0,1] neg_hi:[0,0,1]
	v_pk_fma_f32 v[118:119], v[120:121], v[106:107], v[118:119] op_sel:[0,0,1] op_sel_hi:[1,0,0]
	v_mov_b32_e32 v123, v119
	ds_load_2addr_b64 v[118:121], v236 offset0:50 offset1:51
	v_pk_add_f32 v[206:207], v[206:207], v[122:123] neg_lo:[0,1] neg_hi:[0,1]
	s_wait_dscnt 0x0
	v_pk_mul_f32 v[122:123], v[118:119], v[116:117] op_sel:[0,1]
	s_delay_alu instid0(VALU_DEP_1) | instskip(SKIP_1) | instid1(VALU_DEP_1)
	v_pk_fma_f32 v[132:133], v[118:119], v[106:107], v[122:123] op_sel:[0,0,1] op_sel_hi:[1,1,0] neg_lo:[0,0,1] neg_hi:[0,0,1]
	v_pk_fma_f32 v[118:119], v[118:119], v[106:107], v[122:123] op_sel:[0,0,1] op_sel_hi:[1,0,0]
	v_mov_b32_e32 v133, v119
	v_pk_mul_f32 v[118:119], v[120:121], v[116:117] op_sel:[0,1]
	s_delay_alu instid0(VALU_DEP_2) | instskip(NEXT) | instid1(VALU_DEP_2)
	v_pk_add_f32 v[208:209], v[208:209], v[132:133] neg_lo:[0,1] neg_hi:[0,1]
	v_pk_fma_f32 v[122:123], v[120:121], v[106:107], v[118:119] op_sel:[0,0,1] op_sel_hi:[1,1,0] neg_lo:[0,0,1] neg_hi:[0,0,1]
	v_pk_fma_f32 v[118:119], v[120:121], v[106:107], v[118:119] op_sel:[0,0,1] op_sel_hi:[1,0,0]
	s_delay_alu instid0(VALU_DEP_1) | instskip(SKIP_4) | instid1(VALU_DEP_1)
	v_mov_b32_e32 v123, v119
	ds_load_2addr_b64 v[118:121], v236 offset0:52 offset1:53
	v_pk_add_f32 v[204:205], v[204:205], v[122:123] neg_lo:[0,1] neg_hi:[0,1]
	s_wait_dscnt 0x0
	v_pk_mul_f32 v[122:123], v[118:119], v[116:117] op_sel:[0,1]
	v_pk_fma_f32 v[132:133], v[118:119], v[106:107], v[122:123] op_sel:[0,0,1] op_sel_hi:[1,1,0] neg_lo:[0,0,1] neg_hi:[0,0,1]
	v_pk_fma_f32 v[118:119], v[118:119], v[106:107], v[122:123] op_sel:[0,0,1] op_sel_hi:[1,0,0]
	v_dual_mul_f32 v122, v121, v117 :: v_dual_mov_b32 v118, v121
	s_delay_alu instid0(VALU_DEP_2) | instskip(NEXT) | instid1(VALU_DEP_2)
	v_dual_mov_b32 v133, v119 :: v_dual_mov_b32 v119, v120
	v_pk_fma_f32 v[122:123], v[120:121], v[126:127], v[122:123] op_sel_hi:[1,1,0] neg_lo:[0,0,1] neg_hi:[0,0,1]
	v_mul_f32_e32 v120, v121, v106
	s_delay_alu instid0(VALU_DEP_3) | instskip(NEXT) | instid1(VALU_DEP_2)
	v_pk_add_f32 v[228:229], v[228:229], v[132:133] neg_lo:[0,1] neg_hi:[0,1]
	v_pk_fma_f32 v[118:119], v[118:119], v[126:127], v[120:121] op_sel_hi:[1,1,0]
	s_delay_alu instid0(VALU_DEP_1) | instskip(SKIP_4) | instid1(VALU_DEP_1)
	v_mov_b32_e32 v123, v119
	ds_load_2addr_b64 v[118:121], v236 offset0:54 offset1:55
	v_pk_add_f32 v[224:225], v[224:225], v[122:123] neg_lo:[0,1] neg_hi:[0,1]
	s_wait_dscnt 0x0
	v_pk_mul_f32 v[122:123], v[118:119], v[116:117] op_sel:[0,1]
	v_pk_fma_f32 v[132:133], v[118:119], v[106:107], v[122:123] op_sel:[0,0,1] op_sel_hi:[1,1,0] neg_lo:[0,0,1] neg_hi:[0,0,1]
	v_pk_fma_f32 v[118:119], v[118:119], v[106:107], v[122:123] op_sel:[0,0,1] op_sel_hi:[1,0,0]
	s_delay_alu instid0(VALU_DEP_1) | instskip(SKIP_1) | instid1(VALU_DEP_1)
	v_mov_b32_e32 v133, v119
	v_pk_mul_f32 v[118:119], v[120:121], v[116:117] op_sel:[0,1]
	v_pk_fma_f32 v[122:123], v[120:121], v[106:107], v[118:119] op_sel:[0,0,1] op_sel_hi:[1,1,0] neg_lo:[0,0,1] neg_hi:[0,0,1]
	v_pk_fma_f32 v[118:119], v[120:121], v[106:107], v[118:119] op_sel:[0,0,1] op_sel_hi:[1,0,0]
	s_delay_alu instid0(VALU_DEP_1)
	v_mov_b32_e32 v123, v119
	ds_load_2addr_b64 v[118:121], v236 offset0:56 offset1:57
	v_pk_add_f32 v[226:227], v[226:227], v[132:133] neg_lo:[0,1] neg_hi:[0,1]
	v_pk_add_f32 v[222:223], v[222:223], v[122:123] neg_lo:[0,1] neg_hi:[0,1]
	s_wait_dscnt 0x0
	v_pk_mul_f32 v[122:123], v[118:119], v[116:117] op_sel:[0,1]
	s_delay_alu instid0(VALU_DEP_1) | instskip(SKIP_1) | instid1(VALU_DEP_1)
	v_pk_fma_f32 v[132:133], v[118:119], v[106:107], v[122:123] op_sel:[0,0,1] op_sel_hi:[1,1,0] neg_lo:[0,0,1] neg_hi:[0,0,1]
	v_pk_fma_f32 v[118:119], v[118:119], v[106:107], v[122:123] op_sel:[0,0,1] op_sel_hi:[1,0,0]
	v_mov_b32_e32 v133, v119
	v_pk_mul_f32 v[118:119], v[120:121], v[116:117] op_sel:[0,1]
	s_delay_alu instid0(VALU_DEP_1) | instskip(SKIP_1) | instid1(VALU_DEP_1)
	v_pk_fma_f32 v[122:123], v[120:121], v[106:107], v[118:119] op_sel:[0,0,1] op_sel_hi:[1,1,0] neg_lo:[0,0,1] neg_hi:[0,0,1]
	v_pk_fma_f32 v[118:119], v[120:121], v[106:107], v[118:119] op_sel:[0,0,1] op_sel_hi:[1,0,0]
	v_mov_b32_e32 v123, v119
	ds_load_2addr_b64 v[118:121], v236 offset0:58 offset1:59
	v_pk_add_f32 v[244:245], v[244:245], v[132:133] neg_lo:[0,1] neg_hi:[0,1]
	v_pk_add_f32 v[240:241], v[240:241], v[122:123] neg_lo:[0,1] neg_hi:[0,1]
	s_wait_dscnt 0x0
	v_dual_mul_f32 v122, v119, v117 :: v_dual_mul_f32 v132, v119, v106
	s_delay_alu instid0(VALU_DEP_1) | instskip(NEXT) | instid1(VALU_DEP_2)
	v_pk_fma_f32 v[122:123], v[118:119], v[126:127], v[122:123] op_sel_hi:[1,1,0] neg_lo:[0,0,1] neg_hi:[0,0,1]
	v_pk_fma_f32 v[118:119], v[118:119], v[126:127], v[132:133] op_sel:[1,0,0] op_sel_hi:[0,1,0]
	s_delay_alu instid0(VALU_DEP_1) | instskip(SKIP_1) | instid1(VALU_DEP_2)
	v_mov_b32_e32 v123, v119
	v_pk_mul_f32 v[118:119], v[120:121], v[116:117] op_sel:[0,1]
	v_pk_add_f32 v[242:243], v[242:243], v[122:123] neg_lo:[0,1] neg_hi:[0,1]
	s_delay_alu instid0(VALU_DEP_2) | instskip(SKIP_1) | instid1(VALU_DEP_1)
	v_pk_fma_f32 v[122:123], v[120:121], v[106:107], v[118:119] op_sel:[0,0,1] op_sel_hi:[1,1,0] neg_lo:[0,0,1] neg_hi:[0,0,1]
	v_pk_fma_f32 v[118:119], v[120:121], v[106:107], v[118:119] op_sel:[0,0,1] op_sel_hi:[1,0,0]
	v_mov_b32_e32 v123, v119
	ds_load_2addr_b64 v[118:121], v236 offset0:60 offset1:61
	v_pk_add_f32 v[238:239], v[238:239], v[122:123] neg_lo:[0,1] neg_hi:[0,1]
	s_wait_dscnt 0x0
	v_pk_mul_f32 v[122:123], v[118:119], v[116:117] op_sel:[0,1]
	v_pk_mul_f32 v[116:117], v[120:121], v[116:117] op_sel:[0,1]
	s_delay_alu instid0(VALU_DEP_2) | instskip(SKIP_1) | instid1(VALU_DEP_1)
	v_pk_fma_f32 v[132:133], v[118:119], v[106:107], v[122:123] op_sel:[0,0,1] op_sel_hi:[1,1,0] neg_lo:[0,0,1] neg_hi:[0,0,1]
	v_pk_fma_f32 v[118:119], v[118:119], v[106:107], v[122:123] op_sel:[0,0,1] op_sel_hi:[1,0,0]
	v_mov_b32_e32 v133, v119
	s_delay_alu instid0(VALU_DEP_4) | instskip(SKIP_1) | instid1(VALU_DEP_3)
	v_pk_fma_f32 v[118:119], v[120:121], v[106:107], v[116:117] op_sel:[0,0,1] op_sel_hi:[1,1,0] neg_lo:[0,0,1] neg_hi:[0,0,1]
	v_pk_fma_f32 v[106:107], v[120:121], v[106:107], v[116:117] op_sel:[0,0,1] op_sel_hi:[1,0,0]
	v_pk_add_f32 v[246:247], v[246:247], v[132:133] neg_lo:[0,1] neg_hi:[0,1]
	s_delay_alu instid0(VALU_DEP_2) | instskip(NEXT) | instid1(VALU_DEP_1)
	v_mov_b32_e32 v119, v107
	v_pk_add_f32 v[248:249], v[248:249], v[118:119] neg_lo:[0,1] neg_hi:[0,1]
.LBB123_271:
	s_or_b32 exec_lo, exec_lo, s1
	s_delay_alu instid0(SALU_CYCLE_1)
	s_mov_b32 s2, exec_lo
	s_wait_dscnt 0x0
	s_barrier_signal -1
	s_barrier_wait -1
	v_cmpx_eq_u32_e32 30, v234
	s_cbranch_execz .LBB123_278
; %bb.272:
	ds_store_b64 v235, v[128:129]
	ds_store_2addr_b64 v236, v[124:125], v[146:147] offset0:31 offset1:32
	ds_store_2addr_b64 v236, v[142:143], v[144:145] offset0:33 offset1:34
	;; [unrolled: 1-line block ×15, first 2 shown]
	ds_store_b64 v236, v[248:249] offset:488
	ds_load_b64 v[106:107], v235
	s_wait_dscnt 0x0
	v_cmp_neq_f32_e32 vcc_lo, 0, v106
	v_cmp_neq_f32_e64 s1, 0, v107
	s_or_b32 s1, vcc_lo, s1
	s_delay_alu instid0(SALU_CYCLE_1)
	s_and_b32 exec_lo, exec_lo, s1
	s_cbranch_execz .LBB123_278
; %bb.273:
	v_cmp_ngt_f32_e64 s1, |v106|, |v107|
                                        ; implicit-def: $vgpr116_vgpr117
	s_and_saveexec_b32 s4, s1
	s_delay_alu instid0(SALU_CYCLE_1)
	s_xor_b32 s1, exec_lo, s4
	s_cbranch_execz .LBB123_275
; %bb.274:
	v_div_scale_f32 v0, null, v107, v107, v106
	v_div_scale_f32 v117, vcc_lo, v106, v107, v106
	s_delay_alu instid0(VALU_DEP_2) | instskip(SKIP_1) | instid1(TRANS32_DEP_1)
	v_rcp_f32_e32 v1, v0
	v_nop
	v_fma_f32 v116, -v0, v1, 1.0
	s_delay_alu instid0(VALU_DEP_1) | instskip(NEXT) | instid1(VALU_DEP_1)
	v_fmac_f32_e32 v1, v116, v1
	v_mul_f32_e32 v116, v117, v1
	s_delay_alu instid0(VALU_DEP_1) | instskip(NEXT) | instid1(VALU_DEP_1)
	v_fma_f32 v118, -v0, v116, v117
	v_fmac_f32_e32 v116, v118, v1
	s_delay_alu instid0(VALU_DEP_1) | instskip(NEXT) | instid1(VALU_DEP_1)
	v_fma_f32 v0, -v0, v116, v117
	v_div_fmas_f32 v0, v0, v1, v116
	s_delay_alu instid0(VALU_DEP_1) | instskip(NEXT) | instid1(VALU_DEP_1)
	v_div_fixup_f32 v0, v0, v107, v106
	v_fmac_f32_e32 v107, v106, v0
	s_delay_alu instid0(VALU_DEP_1) | instskip(SKIP_1) | instid1(VALU_DEP_2)
	v_div_scale_f32 v1, null, v107, v107, 1.0
	v_div_scale_f32 v117, vcc_lo, 1.0, v107, 1.0
	v_rcp_f32_e32 v106, v1
	v_nop
	s_delay_alu instid0(TRANS32_DEP_1) | instskip(NEXT) | instid1(VALU_DEP_1)
	v_fma_f32 v116, -v1, v106, 1.0
	v_fmac_f32_e32 v106, v116, v106
	s_delay_alu instid0(VALU_DEP_1) | instskip(NEXT) | instid1(VALU_DEP_1)
	v_mul_f32_e32 v116, v117, v106
	v_fma_f32 v118, -v1, v116, v117
	s_delay_alu instid0(VALU_DEP_1) | instskip(NEXT) | instid1(VALU_DEP_1)
	v_fmac_f32_e32 v116, v118, v106
	v_fma_f32 v1, -v1, v116, v117
	s_delay_alu instid0(VALU_DEP_1) | instskip(NEXT) | instid1(VALU_DEP_1)
	v_div_fmas_f32 v1, v1, v106, v116
	v_div_fixup_f32 v1, v1, v107, 1.0
                                        ; implicit-def: $vgpr106_vgpr107
	s_delay_alu instid0(VALU_DEP_1)
	v_mul_f32_e32 v116, v0, v1
	v_xor_b32_e32 v117, 0x80000000, v1
.LBB123_275:
	s_and_not1_saveexec_b32 s1, s1
	s_cbranch_execz .LBB123_277
; %bb.276:
	v_div_scale_f32 v0, null, v106, v106, v107
	v_div_scale_f32 v117, vcc_lo, v107, v106, v107
	s_delay_alu instid0(VALU_DEP_2) | instskip(SKIP_1) | instid1(TRANS32_DEP_1)
	v_rcp_f32_e32 v1, v0
	v_nop
	v_fma_f32 v116, -v0, v1, 1.0
	s_delay_alu instid0(VALU_DEP_1) | instskip(NEXT) | instid1(VALU_DEP_1)
	v_fmac_f32_e32 v1, v116, v1
	v_mul_f32_e32 v116, v117, v1
	s_delay_alu instid0(VALU_DEP_1) | instskip(NEXT) | instid1(VALU_DEP_1)
	v_fma_f32 v118, -v0, v116, v117
	v_fmac_f32_e32 v116, v118, v1
	s_delay_alu instid0(VALU_DEP_1) | instskip(NEXT) | instid1(VALU_DEP_1)
	v_fma_f32 v0, -v0, v116, v117
	v_div_fmas_f32 v0, v0, v1, v116
	s_delay_alu instid0(VALU_DEP_1) | instskip(NEXT) | instid1(VALU_DEP_1)
	v_div_fixup_f32 v0, v0, v106, v107
	v_fmac_f32_e32 v106, v107, v0
	s_delay_alu instid0(VALU_DEP_1) | instskip(NEXT) | instid1(VALU_DEP_1)
	v_div_scale_f32 v1, null, v106, v106, 1.0
	v_rcp_f32_e32 v107, v1
	v_nop
	s_delay_alu instid0(TRANS32_DEP_1) | instskip(NEXT) | instid1(VALU_DEP_1)
	v_fma_f32 v116, -v1, v107, 1.0
	v_fmac_f32_e32 v107, v116, v107
	v_div_scale_f32 v116, vcc_lo, 1.0, v106, 1.0
	s_delay_alu instid0(VALU_DEP_1) | instskip(NEXT) | instid1(VALU_DEP_1)
	v_mul_f32_e32 v117, v116, v107
	v_fma_f32 v118, -v1, v117, v116
	s_delay_alu instid0(VALU_DEP_1) | instskip(NEXT) | instid1(VALU_DEP_1)
	v_fmac_f32_e32 v117, v118, v107
	v_fma_f32 v1, -v1, v117, v116
	s_delay_alu instid0(VALU_DEP_1) | instskip(NEXT) | instid1(VALU_DEP_1)
	v_div_fmas_f32 v1, v1, v107, v117
	v_div_fixup_f32 v116, v1, v106, 1.0
	s_delay_alu instid0(VALU_DEP_1)
	v_mul_f32_e64 v117, v0, -v116
.LBB123_277:
	s_or_b32 exec_lo, exec_lo, s1
	ds_store_b64 v235, v[116:117]
.LBB123_278:
	s_or_b32 exec_lo, exec_lo, s2
	s_wait_dscnt 0x0
	s_barrier_signal -1
	s_barrier_wait -1
	ds_load_b64 v[106:107], v235
	s_mov_b32 s1, exec_lo
	v_cmpx_lt_u32_e32 30, v234
	s_cbranch_execz .LBB123_280
; %bb.279:
	ds_load_2addr_b64 v[120:123], v236 offset0:31 offset1:32
	s_wait_dscnt 0x1
	v_pk_mul_f32 v[118:119], v[106:107], v[128:129] op_sel:[1,1] op_sel_hi:[0,1]
	s_delay_alu instid0(VALU_DEP_1) | instskip(SKIP_1) | instid1(VALU_DEP_1)
	v_pk_fma_f32 v[116:117], v[106:107], v[128:129], v[118:119] op_sel_hi:[1,0,1] neg_lo:[0,0,1] neg_hi:[0,0,1]
	v_pk_fma_f32 v[118:119], v[106:107], v[128:129], v[118:119] op_sel_hi:[1,0,1]
	v_dual_mov_b32 v128, v116 :: v_dual_mov_b32 v129, v119
	s_wait_dscnt 0x0
	s_delay_alu instid0(VALU_DEP_2) | instskip(NEXT) | instid1(VALU_DEP_1)
	v_pk_mul_f32 v[132:133], v[120:121], v[118:119] op_sel:[0,1]
	v_pk_fma_f32 v[134:135], v[120:121], v[116:117], v[132:133] op_sel:[0,0,1] op_sel_hi:[1,1,0] neg_lo:[0,0,1] neg_hi:[0,0,1]
	v_pk_fma_f32 v[120:121], v[120:121], v[116:117], v[132:133] op_sel:[0,0,1] op_sel_hi:[1,0,0]
	s_delay_alu instid0(VALU_DEP_1) | instskip(SKIP_1) | instid1(VALU_DEP_1)
	v_mov_b32_e32 v135, v121
	v_pk_mul_f32 v[120:121], v[122:123], v[118:119] op_sel:[0,1]
	v_pk_fma_f32 v[132:133], v[122:123], v[116:117], v[120:121] op_sel:[0,0,1] op_sel_hi:[1,1,0] neg_lo:[0,0,1] neg_hi:[0,0,1]
	v_pk_fma_f32 v[120:121], v[122:123], v[116:117], v[120:121] op_sel:[0,0,1] op_sel_hi:[1,0,0]
	s_delay_alu instid0(VALU_DEP_1)
	v_mov_b32_e32 v133, v121
	ds_load_2addr_b64 v[120:123], v236 offset0:33 offset1:34
	v_pk_add_f32 v[124:125], v[124:125], v[134:135] neg_lo:[0,1] neg_hi:[0,1]
	v_pk_add_f32 v[146:147], v[146:147], v[132:133] neg_lo:[0,1] neg_hi:[0,1]
	s_wait_dscnt 0x0
	v_pk_mul_f32 v[132:133], v[120:121], v[118:119] op_sel:[0,1]
	s_delay_alu instid0(VALU_DEP_1) | instskip(SKIP_2) | instid1(VALU_DEP_2)
	v_pk_fma_f32 v[134:135], v[120:121], v[116:117], v[132:133] op_sel:[0,0,1] op_sel_hi:[1,1,0] neg_lo:[0,0,1] neg_hi:[0,0,1]
	v_pk_fma_f32 v[120:121], v[120:121], v[116:117], v[132:133] op_sel:[0,0,1] op_sel_hi:[1,0,0]
	v_dual_mul_f32 v132, v123, v119 :: v_dual_mov_b32 v120, v123
	v_dual_mov_b32 v135, v121 :: v_dual_mov_b32 v121, v122
	s_delay_alu instid0(VALU_DEP_2) | instskip(SKIP_1) | instid1(VALU_DEP_3)
	v_pk_fma_f32 v[132:133], v[122:123], v[128:129], v[132:133] op_sel_hi:[1,1,0] neg_lo:[0,0,1] neg_hi:[0,0,1]
	v_mul_f32_e32 v122, v123, v116
	v_pk_add_f32 v[142:143], v[142:143], v[134:135] neg_lo:[0,1] neg_hi:[0,1]
	s_delay_alu instid0(VALU_DEP_2) | instskip(NEXT) | instid1(VALU_DEP_1)
	v_pk_fma_f32 v[120:121], v[120:121], v[128:129], v[122:123] op_sel_hi:[1,1,0]
	v_mov_b32_e32 v133, v121
	ds_load_2addr_b64 v[120:123], v236 offset0:35 offset1:36
	v_pk_add_f32 v[144:145], v[144:145], v[132:133] neg_lo:[0,1] neg_hi:[0,1]
	s_wait_dscnt 0x0
	v_pk_mul_f32 v[132:133], v[120:121], v[118:119] op_sel:[0,1]
	s_delay_alu instid0(VALU_DEP_1) | instskip(SKIP_1) | instid1(VALU_DEP_1)
	v_pk_fma_f32 v[134:135], v[120:121], v[116:117], v[132:133] op_sel:[0,0,1] op_sel_hi:[1,1,0] neg_lo:[0,0,1] neg_hi:[0,0,1]
	v_pk_fma_f32 v[120:121], v[120:121], v[116:117], v[132:133] op_sel:[0,0,1] op_sel_hi:[1,0,0]
	v_mov_b32_e32 v135, v121
	v_pk_mul_f32 v[120:121], v[122:123], v[118:119] op_sel:[0,1]
	s_delay_alu instid0(VALU_DEP_1) | instskip(SKIP_1) | instid1(VALU_DEP_1)
	v_pk_fma_f32 v[132:133], v[122:123], v[116:117], v[120:121] op_sel:[0,0,1] op_sel_hi:[1,1,0] neg_lo:[0,0,1] neg_hi:[0,0,1]
	v_pk_fma_f32 v[120:121], v[122:123], v[116:117], v[120:121] op_sel:[0,0,1] op_sel_hi:[1,0,0]
	v_mov_b32_e32 v133, v121
	ds_load_2addr_b64 v[120:123], v236 offset0:37 offset1:38
	v_pk_add_f32 v[140:141], v[140:141], v[134:135] neg_lo:[0,1] neg_hi:[0,1]
	v_pk_add_f32 v[162:163], v[162:163], v[132:133] neg_lo:[0,1] neg_hi:[0,1]
	s_wait_dscnt 0x0
	v_pk_mul_f32 v[132:133], v[120:121], v[118:119] op_sel:[0,1]
	s_delay_alu instid0(VALU_DEP_1) | instskip(SKIP_1) | instid1(VALU_DEP_1)
	v_pk_fma_f32 v[134:135], v[120:121], v[116:117], v[132:133] op_sel:[0,0,1] op_sel_hi:[1,1,0] neg_lo:[0,0,1] neg_hi:[0,0,1]
	v_pk_fma_f32 v[120:121], v[120:121], v[116:117], v[132:133] op_sel:[0,0,1] op_sel_hi:[1,0,0]
	v_mov_b32_e32 v135, v121
	v_pk_mul_f32 v[120:121], v[122:123], v[118:119] op_sel:[0,1]
	s_delay_alu instid0(VALU_DEP_1) | instskip(SKIP_1) | instid1(VALU_DEP_1)
	v_pk_fma_f32 v[132:133], v[122:123], v[116:117], v[120:121] op_sel:[0,0,1] op_sel_hi:[1,1,0] neg_lo:[0,0,1] neg_hi:[0,0,1]
	v_pk_fma_f32 v[120:121], v[122:123], v[116:117], v[120:121] op_sel:[0,0,1] op_sel_hi:[1,0,0]
	v_mov_b32_e32 v133, v121
	ds_load_2addr_b64 v[120:123], v236 offset0:39 offset1:40
	v_pk_add_f32 v[158:159], v[158:159], v[134:135] neg_lo:[0,1] neg_hi:[0,1]
	v_pk_add_f32 v[160:161], v[160:161], v[132:133] neg_lo:[0,1] neg_hi:[0,1]
	s_wait_dscnt 0x0
	v_dual_mul_f32 v132, v121, v119 :: v_dual_mul_f32 v134, v121, v116
	s_delay_alu instid0(VALU_DEP_1) | instskip(NEXT) | instid1(VALU_DEP_2)
	v_pk_fma_f32 v[132:133], v[120:121], v[128:129], v[132:133] op_sel_hi:[1,1,0] neg_lo:[0,0,1] neg_hi:[0,0,1]
	v_pk_fma_f32 v[120:121], v[120:121], v[128:129], v[134:135] op_sel:[1,0,0] op_sel_hi:[0,1,0]
	s_delay_alu instid0(VALU_DEP_1) | instskip(SKIP_1) | instid1(VALU_DEP_2)
	v_mov_b32_e32 v133, v121
	v_pk_mul_f32 v[120:121], v[122:123], v[118:119] op_sel:[0,1]
	v_pk_add_f32 v[156:157], v[156:157], v[132:133] neg_lo:[0,1] neg_hi:[0,1]
	s_delay_alu instid0(VALU_DEP_2) | instskip(SKIP_1) | instid1(VALU_DEP_1)
	v_pk_fma_f32 v[132:133], v[122:123], v[116:117], v[120:121] op_sel:[0,0,1] op_sel_hi:[1,1,0] neg_lo:[0,0,1] neg_hi:[0,0,1]
	v_pk_fma_f32 v[120:121], v[122:123], v[116:117], v[120:121] op_sel:[0,0,1] op_sel_hi:[1,0,0]
	v_mov_b32_e32 v133, v121
	ds_load_2addr_b64 v[120:123], v236 offset0:41 offset1:42
	v_pk_add_f32 v[178:179], v[178:179], v[132:133] neg_lo:[0,1] neg_hi:[0,1]
	s_wait_dscnt 0x0
	v_pk_mul_f32 v[132:133], v[120:121], v[118:119] op_sel:[0,1]
	s_delay_alu instid0(VALU_DEP_1) | instskip(SKIP_1) | instid1(VALU_DEP_1)
	v_pk_fma_f32 v[134:135], v[120:121], v[116:117], v[132:133] op_sel:[0,0,1] op_sel_hi:[1,1,0] neg_lo:[0,0,1] neg_hi:[0,0,1]
	v_pk_fma_f32 v[120:121], v[120:121], v[116:117], v[132:133] op_sel:[0,0,1] op_sel_hi:[1,0,0]
	v_mov_b32_e32 v135, v121
	v_pk_mul_f32 v[120:121], v[122:123], v[118:119] op_sel:[0,1]
	s_delay_alu instid0(VALU_DEP_2) | instskip(NEXT) | instid1(VALU_DEP_2)
	v_pk_add_f32 v[174:175], v[174:175], v[134:135] neg_lo:[0,1] neg_hi:[0,1]
	v_pk_fma_f32 v[132:133], v[122:123], v[116:117], v[120:121] op_sel:[0,0,1] op_sel_hi:[1,1,0] neg_lo:[0,0,1] neg_hi:[0,0,1]
	v_pk_fma_f32 v[120:121], v[122:123], v[116:117], v[120:121] op_sel:[0,0,1] op_sel_hi:[1,0,0]
	s_delay_alu instid0(VALU_DEP_1) | instskip(SKIP_4) | instid1(VALU_DEP_1)
	v_mov_b32_e32 v133, v121
	ds_load_2addr_b64 v[120:123], v236 offset0:43 offset1:44
	v_pk_add_f32 v[176:177], v[176:177], v[132:133] neg_lo:[0,1] neg_hi:[0,1]
	s_wait_dscnt 0x0
	v_pk_mul_f32 v[132:133], v[120:121], v[118:119] op_sel:[0,1]
	v_pk_fma_f32 v[134:135], v[120:121], v[116:117], v[132:133] op_sel:[0,0,1] op_sel_hi:[1,1,0] neg_lo:[0,0,1] neg_hi:[0,0,1]
	v_pk_fma_f32 v[120:121], v[120:121], v[116:117], v[132:133] op_sel:[0,0,1] op_sel_hi:[1,0,0]
	v_dual_mul_f32 v132, v123, v119 :: v_dual_mov_b32 v120, v123
	s_delay_alu instid0(VALU_DEP_2) | instskip(NEXT) | instid1(VALU_DEP_2)
	v_dual_mov_b32 v135, v121 :: v_dual_mov_b32 v121, v122
	v_pk_fma_f32 v[132:133], v[122:123], v[128:129], v[132:133] op_sel_hi:[1,1,0] neg_lo:[0,0,1] neg_hi:[0,0,1]
	v_mul_f32_e32 v122, v123, v116
	s_delay_alu instid0(VALU_DEP_3) | instskip(NEXT) | instid1(VALU_DEP_2)
	v_pk_add_f32 v[172:173], v[172:173], v[134:135] neg_lo:[0,1] neg_hi:[0,1]
	v_pk_fma_f32 v[120:121], v[120:121], v[128:129], v[122:123] op_sel_hi:[1,1,0]
	s_delay_alu instid0(VALU_DEP_1) | instskip(SKIP_4) | instid1(VALU_DEP_1)
	v_mov_b32_e32 v133, v121
	ds_load_2addr_b64 v[120:123], v236 offset0:45 offset1:46
	v_pk_add_f32 v[194:195], v[194:195], v[132:133] neg_lo:[0,1] neg_hi:[0,1]
	s_wait_dscnt 0x0
	v_pk_mul_f32 v[132:133], v[120:121], v[118:119] op_sel:[0,1]
	v_pk_fma_f32 v[134:135], v[120:121], v[116:117], v[132:133] op_sel:[0,0,1] op_sel_hi:[1,1,0] neg_lo:[0,0,1] neg_hi:[0,0,1]
	v_pk_fma_f32 v[120:121], v[120:121], v[116:117], v[132:133] op_sel:[0,0,1] op_sel_hi:[1,0,0]
	s_delay_alu instid0(VALU_DEP_1) | instskip(SKIP_1) | instid1(VALU_DEP_1)
	v_mov_b32_e32 v135, v121
	v_pk_mul_f32 v[120:121], v[122:123], v[118:119] op_sel:[0,1]
	v_pk_fma_f32 v[132:133], v[122:123], v[116:117], v[120:121] op_sel:[0,0,1] op_sel_hi:[1,1,0] neg_lo:[0,0,1] neg_hi:[0,0,1]
	v_pk_fma_f32 v[120:121], v[122:123], v[116:117], v[120:121] op_sel:[0,0,1] op_sel_hi:[1,0,0]
	s_delay_alu instid0(VALU_DEP_1)
	v_mov_b32_e32 v133, v121
	ds_load_2addr_b64 v[120:123], v236 offset0:47 offset1:48
	v_pk_add_f32 v[190:191], v[190:191], v[134:135] neg_lo:[0,1] neg_hi:[0,1]
	v_pk_add_f32 v[192:193], v[192:193], v[132:133] neg_lo:[0,1] neg_hi:[0,1]
	s_wait_dscnt 0x0
	v_pk_mul_f32 v[132:133], v[120:121], v[118:119] op_sel:[0,1]
	s_delay_alu instid0(VALU_DEP_1) | instskip(SKIP_1) | instid1(VALU_DEP_1)
	v_pk_fma_f32 v[134:135], v[120:121], v[116:117], v[132:133] op_sel:[0,0,1] op_sel_hi:[1,1,0] neg_lo:[0,0,1] neg_hi:[0,0,1]
	v_pk_fma_f32 v[120:121], v[120:121], v[116:117], v[132:133] op_sel:[0,0,1] op_sel_hi:[1,0,0]
	v_mov_b32_e32 v135, v121
	v_pk_mul_f32 v[120:121], v[122:123], v[118:119] op_sel:[0,1]
	s_delay_alu instid0(VALU_DEP_1) | instskip(SKIP_1) | instid1(VALU_DEP_1)
	v_pk_fma_f32 v[132:133], v[122:123], v[116:117], v[120:121] op_sel:[0,0,1] op_sel_hi:[1,1,0] neg_lo:[0,0,1] neg_hi:[0,0,1]
	v_pk_fma_f32 v[120:121], v[122:123], v[116:117], v[120:121] op_sel:[0,0,1] op_sel_hi:[1,0,0]
	v_mov_b32_e32 v133, v121
	ds_load_2addr_b64 v[120:123], v236 offset0:49 offset1:50
	v_pk_add_f32 v[188:189], v[188:189], v[134:135] neg_lo:[0,1] neg_hi:[0,1]
	v_pk_add_f32 v[210:211], v[210:211], v[132:133] neg_lo:[0,1] neg_hi:[0,1]
	s_wait_dscnt 0x0
	v_dual_mul_f32 v132, v121, v119 :: v_dual_mul_f32 v134, v121, v116
	s_delay_alu instid0(VALU_DEP_1) | instskip(NEXT) | instid1(VALU_DEP_2)
	v_pk_fma_f32 v[132:133], v[120:121], v[128:129], v[132:133] op_sel_hi:[1,1,0] neg_lo:[0,0,1] neg_hi:[0,0,1]
	v_pk_fma_f32 v[120:121], v[120:121], v[128:129], v[134:135] op_sel:[1,0,0] op_sel_hi:[0,1,0]
	s_delay_alu instid0(VALU_DEP_1) | instskip(SKIP_1) | instid1(VALU_DEP_2)
	v_mov_b32_e32 v133, v121
	v_pk_mul_f32 v[120:121], v[122:123], v[118:119] op_sel:[0,1]
	v_pk_add_f32 v[206:207], v[206:207], v[132:133] neg_lo:[0,1] neg_hi:[0,1]
	s_delay_alu instid0(VALU_DEP_2) | instskip(SKIP_1) | instid1(VALU_DEP_1)
	v_pk_fma_f32 v[132:133], v[122:123], v[116:117], v[120:121] op_sel:[0,0,1] op_sel_hi:[1,1,0] neg_lo:[0,0,1] neg_hi:[0,0,1]
	v_pk_fma_f32 v[120:121], v[122:123], v[116:117], v[120:121] op_sel:[0,0,1] op_sel_hi:[1,0,0]
	v_mov_b32_e32 v133, v121
	ds_load_2addr_b64 v[120:123], v236 offset0:51 offset1:52
	v_pk_add_f32 v[208:209], v[208:209], v[132:133] neg_lo:[0,1] neg_hi:[0,1]
	s_wait_dscnt 0x0
	v_pk_mul_f32 v[132:133], v[120:121], v[118:119] op_sel:[0,1]
	s_delay_alu instid0(VALU_DEP_1) | instskip(SKIP_1) | instid1(VALU_DEP_1)
	v_pk_fma_f32 v[134:135], v[120:121], v[116:117], v[132:133] op_sel:[0,0,1] op_sel_hi:[1,1,0] neg_lo:[0,0,1] neg_hi:[0,0,1]
	v_pk_fma_f32 v[120:121], v[120:121], v[116:117], v[132:133] op_sel:[0,0,1] op_sel_hi:[1,0,0]
	v_mov_b32_e32 v135, v121
	v_pk_mul_f32 v[120:121], v[122:123], v[118:119] op_sel:[0,1]
	s_delay_alu instid0(VALU_DEP_2) | instskip(NEXT) | instid1(VALU_DEP_2)
	v_pk_add_f32 v[204:205], v[204:205], v[134:135] neg_lo:[0,1] neg_hi:[0,1]
	v_pk_fma_f32 v[132:133], v[122:123], v[116:117], v[120:121] op_sel:[0,0,1] op_sel_hi:[1,1,0] neg_lo:[0,0,1] neg_hi:[0,0,1]
	v_pk_fma_f32 v[120:121], v[122:123], v[116:117], v[120:121] op_sel:[0,0,1] op_sel_hi:[1,0,0]
	s_delay_alu instid0(VALU_DEP_1) | instskip(SKIP_4) | instid1(VALU_DEP_1)
	v_mov_b32_e32 v133, v121
	ds_load_2addr_b64 v[120:123], v236 offset0:53 offset1:54
	v_pk_add_f32 v[228:229], v[228:229], v[132:133] neg_lo:[0,1] neg_hi:[0,1]
	s_wait_dscnt 0x0
	v_pk_mul_f32 v[132:133], v[120:121], v[118:119] op_sel:[0,1]
	v_pk_fma_f32 v[134:135], v[120:121], v[116:117], v[132:133] op_sel:[0,0,1] op_sel_hi:[1,1,0] neg_lo:[0,0,1] neg_hi:[0,0,1]
	v_pk_fma_f32 v[120:121], v[120:121], v[116:117], v[132:133] op_sel:[0,0,1] op_sel_hi:[1,0,0]
	v_dual_mul_f32 v132, v123, v119 :: v_dual_mov_b32 v120, v123
	s_delay_alu instid0(VALU_DEP_2) | instskip(NEXT) | instid1(VALU_DEP_2)
	v_dual_mov_b32 v135, v121 :: v_dual_mov_b32 v121, v122
	v_pk_fma_f32 v[132:133], v[122:123], v[128:129], v[132:133] op_sel_hi:[1,1,0] neg_lo:[0,0,1] neg_hi:[0,0,1]
	v_mul_f32_e32 v122, v123, v116
	s_delay_alu instid0(VALU_DEP_3) | instskip(NEXT) | instid1(VALU_DEP_2)
	v_pk_add_f32 v[224:225], v[224:225], v[134:135] neg_lo:[0,1] neg_hi:[0,1]
	v_pk_fma_f32 v[120:121], v[120:121], v[128:129], v[122:123] op_sel_hi:[1,1,0]
	s_delay_alu instid0(VALU_DEP_1) | instskip(SKIP_4) | instid1(VALU_DEP_1)
	v_mov_b32_e32 v133, v121
	ds_load_2addr_b64 v[120:123], v236 offset0:55 offset1:56
	v_pk_add_f32 v[226:227], v[226:227], v[132:133] neg_lo:[0,1] neg_hi:[0,1]
	s_wait_dscnt 0x0
	v_pk_mul_f32 v[132:133], v[120:121], v[118:119] op_sel:[0,1]
	v_pk_fma_f32 v[134:135], v[120:121], v[116:117], v[132:133] op_sel:[0,0,1] op_sel_hi:[1,1,0] neg_lo:[0,0,1] neg_hi:[0,0,1]
	v_pk_fma_f32 v[120:121], v[120:121], v[116:117], v[132:133] op_sel:[0,0,1] op_sel_hi:[1,0,0]
	s_delay_alu instid0(VALU_DEP_1) | instskip(SKIP_1) | instid1(VALU_DEP_1)
	v_mov_b32_e32 v135, v121
	v_pk_mul_f32 v[120:121], v[122:123], v[118:119] op_sel:[0,1]
	v_pk_fma_f32 v[132:133], v[122:123], v[116:117], v[120:121] op_sel:[0,0,1] op_sel_hi:[1,1,0] neg_lo:[0,0,1] neg_hi:[0,0,1]
	v_pk_fma_f32 v[120:121], v[122:123], v[116:117], v[120:121] op_sel:[0,0,1] op_sel_hi:[1,0,0]
	s_delay_alu instid0(VALU_DEP_1)
	v_mov_b32_e32 v133, v121
	ds_load_2addr_b64 v[120:123], v236 offset0:57 offset1:58
	v_pk_add_f32 v[222:223], v[222:223], v[134:135] neg_lo:[0,1] neg_hi:[0,1]
	v_pk_add_f32 v[244:245], v[244:245], v[132:133] neg_lo:[0,1] neg_hi:[0,1]
	s_wait_dscnt 0x0
	v_pk_mul_f32 v[132:133], v[120:121], v[118:119] op_sel:[0,1]
	s_delay_alu instid0(VALU_DEP_1) | instskip(SKIP_1) | instid1(VALU_DEP_1)
	v_pk_fma_f32 v[134:135], v[120:121], v[116:117], v[132:133] op_sel:[0,0,1] op_sel_hi:[1,1,0] neg_lo:[0,0,1] neg_hi:[0,0,1]
	v_pk_fma_f32 v[120:121], v[120:121], v[116:117], v[132:133] op_sel:[0,0,1] op_sel_hi:[1,0,0]
	v_mov_b32_e32 v135, v121
	v_pk_mul_f32 v[120:121], v[122:123], v[118:119] op_sel:[0,1]
	s_delay_alu instid0(VALU_DEP_1) | instskip(SKIP_1) | instid1(VALU_DEP_1)
	v_pk_fma_f32 v[132:133], v[122:123], v[116:117], v[120:121] op_sel:[0,0,1] op_sel_hi:[1,1,0] neg_lo:[0,0,1] neg_hi:[0,0,1]
	v_pk_fma_f32 v[120:121], v[122:123], v[116:117], v[120:121] op_sel:[0,0,1] op_sel_hi:[1,0,0]
	v_mov_b32_e32 v133, v121
	ds_load_2addr_b64 v[120:123], v236 offset0:59 offset1:60
	v_pk_add_f32 v[240:241], v[240:241], v[134:135] neg_lo:[0,1] neg_hi:[0,1]
	v_pk_add_f32 v[242:243], v[242:243], v[132:133] neg_lo:[0,1] neg_hi:[0,1]
	s_wait_dscnt 0x0
	v_dual_mul_f32 v132, v121, v119 :: v_dual_mul_f32 v134, v121, v116
	s_delay_alu instid0(VALU_DEP_1) | instskip(NEXT) | instid1(VALU_DEP_2)
	v_pk_fma_f32 v[132:133], v[120:121], v[128:129], v[132:133] op_sel_hi:[1,1,0] neg_lo:[0,0,1] neg_hi:[0,0,1]
	v_pk_fma_f32 v[120:121], v[120:121], v[128:129], v[134:135] op_sel:[1,0,0] op_sel_hi:[0,1,0]
	s_delay_alu instid0(VALU_DEP_1) | instskip(SKIP_1) | instid1(VALU_DEP_2)
	v_mov_b32_e32 v133, v121
	v_pk_mul_f32 v[120:121], v[122:123], v[118:119] op_sel:[0,1]
	v_pk_add_f32 v[238:239], v[238:239], v[132:133] neg_lo:[0,1] neg_hi:[0,1]
	s_delay_alu instid0(VALU_DEP_2) | instskip(SKIP_1) | instid1(VALU_DEP_1)
	v_pk_fma_f32 v[132:133], v[122:123], v[116:117], v[120:121] op_sel:[0,0,1] op_sel_hi:[1,1,0] neg_lo:[0,0,1] neg_hi:[0,0,1]
	v_pk_fma_f32 v[120:121], v[122:123], v[116:117], v[120:121] op_sel:[0,0,1] op_sel_hi:[1,0,0]
	v_mov_b32_e32 v133, v121
	ds_load_b64 v[120:121], v236 offset:488
	v_pk_add_f32 v[246:247], v[246:247], v[132:133] neg_lo:[0,1] neg_hi:[0,1]
	s_wait_dscnt 0x0
	v_pk_mul_f32 v[118:119], v[120:121], v[118:119] op_sel:[0,1]
	s_delay_alu instid0(VALU_DEP_1) | instskip(SKIP_1) | instid1(VALU_DEP_1)
	v_pk_fma_f32 v[122:123], v[120:121], v[116:117], v[118:119] op_sel:[0,0,1] op_sel_hi:[1,1,0] neg_lo:[0,0,1] neg_hi:[0,0,1]
	v_pk_fma_f32 v[116:117], v[120:121], v[116:117], v[118:119] op_sel:[0,0,1] op_sel_hi:[1,0,0]
	v_mov_b32_e32 v123, v117
	s_delay_alu instid0(VALU_DEP_1)
	v_pk_add_f32 v[248:249], v[248:249], v[122:123] neg_lo:[0,1] neg_hi:[0,1]
.LBB123_280:
	s_or_b32 exec_lo, exec_lo, s1
	s_delay_alu instid0(SALU_CYCLE_1)
	s_mov_b32 s2, exec_lo
	s_wait_dscnt 0x0
	s_barrier_signal -1
	s_barrier_wait -1
	v_cmpx_eq_u32_e32 31, v234
	s_cbranch_execz .LBB123_287
; %bb.281:
	v_dual_mov_b32 v116, v146 :: v_dual_mov_b32 v117, v147
	v_dual_mov_b32 v118, v142 :: v_dual_mov_b32 v119, v143
	ds_store_b64 v235, v[124:125]
	ds_store_2addr_b64 v236, v[116:117], v[118:119] offset0:32 offset1:33
	v_dual_mov_b32 v116, v144 :: v_dual_mov_b32 v117, v145
	v_dual_mov_b32 v118, v140 :: v_dual_mov_b32 v119, v141
	ds_store_2addr_b64 v236, v[116:117], v[118:119] offset0:34 offset1:35
	v_dual_mov_b32 v116, v162 :: v_dual_mov_b32 v117, v163
	v_dual_mov_b32 v118, v158 :: v_dual_mov_b32 v119, v159
	;; [unrolled: 3-line block ×13, first 2 shown]
	ds_store_2addr_b64 v236, v[116:117], v[118:119] offset0:58 offset1:59
	v_dual_mov_b32 v116, v246 :: v_dual_mov_b32 v117, v247
	ds_store_2addr_b64 v236, v[116:117], v[248:249] offset0:60 offset1:61
	ds_load_b64 v[116:117], v235
	s_wait_dscnt 0x0
	v_cmp_neq_f32_e32 vcc_lo, 0, v116
	v_cmp_neq_f32_e64 s1, 0, v117
	s_or_b32 s1, vcc_lo, s1
	s_delay_alu instid0(SALU_CYCLE_1)
	s_and_b32 exec_lo, exec_lo, s1
	s_cbranch_execz .LBB123_287
; %bb.282:
	v_cmp_ngt_f32_e64 s1, |v116|, |v117|
                                        ; implicit-def: $vgpr118_vgpr119
	s_and_saveexec_b32 s4, s1
	s_delay_alu instid0(SALU_CYCLE_1)
	s_xor_b32 s1, exec_lo, s4
	s_cbranch_execz .LBB123_284
; %bb.283:
	v_div_scale_f32 v0, null, v117, v117, v116
	v_div_scale_f32 v119, vcc_lo, v116, v117, v116
	s_delay_alu instid0(VALU_DEP_2) | instskip(SKIP_1) | instid1(TRANS32_DEP_1)
	v_rcp_f32_e32 v1, v0
	v_nop
	v_fma_f32 v118, -v0, v1, 1.0
	s_delay_alu instid0(VALU_DEP_1) | instskip(NEXT) | instid1(VALU_DEP_1)
	v_fmac_f32_e32 v1, v118, v1
	v_mul_f32_e32 v118, v119, v1
	s_delay_alu instid0(VALU_DEP_1) | instskip(NEXT) | instid1(VALU_DEP_1)
	v_fma_f32 v120, -v0, v118, v119
	v_fmac_f32_e32 v118, v120, v1
	s_delay_alu instid0(VALU_DEP_1) | instskip(NEXT) | instid1(VALU_DEP_1)
	v_fma_f32 v0, -v0, v118, v119
	v_div_fmas_f32 v0, v0, v1, v118
	s_delay_alu instid0(VALU_DEP_1) | instskip(NEXT) | instid1(VALU_DEP_1)
	v_div_fixup_f32 v0, v0, v117, v116
	v_fmac_f32_e32 v117, v116, v0
	s_delay_alu instid0(VALU_DEP_1) | instskip(SKIP_1) | instid1(VALU_DEP_2)
	v_div_scale_f32 v1, null, v117, v117, 1.0
	v_div_scale_f32 v119, vcc_lo, 1.0, v117, 1.0
	v_rcp_f32_e32 v116, v1
	v_nop
	s_delay_alu instid0(TRANS32_DEP_1) | instskip(NEXT) | instid1(VALU_DEP_1)
	v_fma_f32 v118, -v1, v116, 1.0
	v_fmac_f32_e32 v116, v118, v116
	s_delay_alu instid0(VALU_DEP_1) | instskip(NEXT) | instid1(VALU_DEP_1)
	v_mul_f32_e32 v118, v119, v116
	v_fma_f32 v120, -v1, v118, v119
	s_delay_alu instid0(VALU_DEP_1) | instskip(NEXT) | instid1(VALU_DEP_1)
	v_fmac_f32_e32 v118, v120, v116
	v_fma_f32 v1, -v1, v118, v119
	s_delay_alu instid0(VALU_DEP_1) | instskip(NEXT) | instid1(VALU_DEP_1)
	v_div_fmas_f32 v1, v1, v116, v118
	v_div_fixup_f32 v1, v1, v117, 1.0
                                        ; implicit-def: $vgpr116_vgpr117
	s_delay_alu instid0(VALU_DEP_1)
	v_mul_f32_e32 v118, v0, v1
	v_xor_b32_e32 v119, 0x80000000, v1
.LBB123_284:
	s_and_not1_saveexec_b32 s1, s1
	s_cbranch_execz .LBB123_286
; %bb.285:
	v_div_scale_f32 v0, null, v116, v116, v117
	v_div_scale_f32 v119, vcc_lo, v117, v116, v117
	s_delay_alu instid0(VALU_DEP_2) | instskip(SKIP_1) | instid1(TRANS32_DEP_1)
	v_rcp_f32_e32 v1, v0
	v_nop
	v_fma_f32 v118, -v0, v1, 1.0
	s_delay_alu instid0(VALU_DEP_1) | instskip(NEXT) | instid1(VALU_DEP_1)
	v_fmac_f32_e32 v1, v118, v1
	v_mul_f32_e32 v118, v119, v1
	s_delay_alu instid0(VALU_DEP_1) | instskip(NEXT) | instid1(VALU_DEP_1)
	v_fma_f32 v120, -v0, v118, v119
	v_fmac_f32_e32 v118, v120, v1
	s_delay_alu instid0(VALU_DEP_1) | instskip(NEXT) | instid1(VALU_DEP_1)
	v_fma_f32 v0, -v0, v118, v119
	v_div_fmas_f32 v0, v0, v1, v118
	s_delay_alu instid0(VALU_DEP_1) | instskip(NEXT) | instid1(VALU_DEP_1)
	v_div_fixup_f32 v0, v0, v116, v117
	v_fmac_f32_e32 v116, v117, v0
	s_delay_alu instid0(VALU_DEP_1) | instskip(NEXT) | instid1(VALU_DEP_1)
	v_div_scale_f32 v1, null, v116, v116, 1.0
	v_rcp_f32_e32 v117, v1
	v_nop
	s_delay_alu instid0(TRANS32_DEP_1) | instskip(NEXT) | instid1(VALU_DEP_1)
	v_fma_f32 v118, -v1, v117, 1.0
	v_fmac_f32_e32 v117, v118, v117
	v_div_scale_f32 v118, vcc_lo, 1.0, v116, 1.0
	s_delay_alu instid0(VALU_DEP_1) | instskip(NEXT) | instid1(VALU_DEP_1)
	v_mul_f32_e32 v119, v118, v117
	v_fma_f32 v120, -v1, v119, v118
	s_delay_alu instid0(VALU_DEP_1) | instskip(NEXT) | instid1(VALU_DEP_1)
	v_fmac_f32_e32 v119, v120, v117
	v_fma_f32 v1, -v1, v119, v118
	s_delay_alu instid0(VALU_DEP_1) | instskip(NEXT) | instid1(VALU_DEP_1)
	v_div_fmas_f32 v1, v1, v117, v119
	v_div_fixup_f32 v118, v1, v116, 1.0
	s_delay_alu instid0(VALU_DEP_1)
	v_mul_f32_e64 v119, v0, -v118
.LBB123_286:
	s_or_b32 exec_lo, exec_lo, s1
	ds_store_b64 v235, v[118:119]
.LBB123_287:
	s_or_b32 exec_lo, exec_lo, s2
	s_wait_dscnt 0x0
	s_barrier_signal -1
	s_barrier_wait -1
	ds_load_b64 v[116:117], v235
	s_mov_b32 s1, exec_lo
	v_cmpx_lt_u32_e32 31, v234
	s_cbranch_execz .LBB123_289
; %bb.288:
	ds_load_2addr_b64 v[132:135], v236 offset0:32 offset1:33
	s_wait_dscnt 0x1
	v_pk_mul_f32 v[120:121], v[116:117], v[124:125] op_sel:[1,1] op_sel_hi:[0,1]
	s_delay_alu instid0(VALU_DEP_1) | instskip(SKIP_1) | instid1(VALU_DEP_1)
	v_pk_fma_f32 v[118:119], v[116:117], v[124:125], v[120:121] op_sel_hi:[1,0,1] neg_lo:[0,0,1] neg_hi:[0,0,1]
	v_pk_fma_f32 v[120:121], v[116:117], v[124:125], v[120:121] op_sel_hi:[1,0,1]
	v_dual_mov_b32 v124, v118 :: v_dual_mov_b32 v125, v121
	s_wait_dscnt 0x0
	s_delay_alu instid0(VALU_DEP_2) | instskip(NEXT) | instid1(VALU_DEP_1)
	v_pk_mul_f32 v[122:123], v[132:133], v[120:121] op_sel:[0,1]
	v_pk_fma_f32 v[136:137], v[132:133], v[118:119], v[122:123] op_sel:[0,0,1] op_sel_hi:[1,1,0] neg_lo:[0,0,1] neg_hi:[0,0,1]
	v_pk_fma_f32 v[122:123], v[132:133], v[118:119], v[122:123] op_sel:[0,0,1] op_sel_hi:[1,0,0]
	s_delay_alu instid0(VALU_DEP_1) | instskip(SKIP_1) | instid1(VALU_DEP_1)
	v_mov_b32_e32 v137, v123
	v_pk_mul_f32 v[122:123], v[134:135], v[120:121] op_sel:[0,1]
	v_pk_fma_f32 v[132:133], v[134:135], v[118:119], v[122:123] op_sel:[0,0,1] op_sel_hi:[1,1,0] neg_lo:[0,0,1] neg_hi:[0,0,1]
	v_pk_fma_f32 v[122:123], v[134:135], v[118:119], v[122:123] op_sel:[0,0,1] op_sel_hi:[1,0,0]
	s_delay_alu instid0(VALU_DEP_1) | instskip(SKIP_1) | instid1(VALU_DEP_2)
	v_mov_b32_e32 v133, v123
	v_pk_add_f32 v[146:147], v[146:147], v[136:137] neg_lo:[0,1] neg_hi:[0,1]
	v_pk_add_f32 v[142:143], v[142:143], v[132:133] neg_lo:[0,1] neg_hi:[0,1]
	ds_load_2addr_b64 v[132:135], v236 offset0:34 offset1:35
	s_wait_dscnt 0x0
	v_pk_mul_f32 v[122:123], v[132:133], v[120:121] op_sel:[0,1]
	s_delay_alu instid0(VALU_DEP_1) | instskip(SKIP_2) | instid1(VALU_DEP_2)
	v_pk_fma_f32 v[136:137], v[132:133], v[118:119], v[122:123] op_sel:[0,0,1] op_sel_hi:[1,1,0] neg_lo:[0,0,1] neg_hi:[0,0,1]
	v_pk_fma_f32 v[122:123], v[132:133], v[118:119], v[122:123] op_sel:[0,0,1] op_sel_hi:[1,0,0]
	v_dual_mul_f32 v132, v135, v121 :: v_dual_mov_b32 v122, v135
	v_dual_mov_b32 v137, v123 :: v_dual_mov_b32 v123, v134
	s_delay_alu instid0(VALU_DEP_2) | instskip(SKIP_1) | instid1(VALU_DEP_3)
	v_pk_fma_f32 v[132:133], v[134:135], v[124:125], v[132:133] op_sel_hi:[1,1,0] neg_lo:[0,0,1] neg_hi:[0,0,1]
	v_mul_f32_e32 v134, v135, v118
	v_pk_add_f32 v[144:145], v[144:145], v[136:137] neg_lo:[0,1] neg_hi:[0,1]
	s_delay_alu instid0(VALU_DEP_2) | instskip(NEXT) | instid1(VALU_DEP_1)
	v_pk_fma_f32 v[122:123], v[122:123], v[124:125], v[134:135] op_sel_hi:[1,1,0]
	v_mov_b32_e32 v133, v123
	s_delay_alu instid0(VALU_DEP_1) | instskip(SKIP_3) | instid1(VALU_DEP_1)
	v_pk_add_f32 v[140:141], v[140:141], v[132:133] neg_lo:[0,1] neg_hi:[0,1]
	ds_load_2addr_b64 v[132:135], v236 offset0:36 offset1:37
	s_wait_dscnt 0x0
	v_pk_mul_f32 v[122:123], v[132:133], v[120:121] op_sel:[0,1]
	v_pk_fma_f32 v[136:137], v[132:133], v[118:119], v[122:123] op_sel:[0,0,1] op_sel_hi:[1,1,0] neg_lo:[0,0,1] neg_hi:[0,0,1]
	v_pk_fma_f32 v[122:123], v[132:133], v[118:119], v[122:123] op_sel:[0,0,1] op_sel_hi:[1,0,0]
	s_delay_alu instid0(VALU_DEP_1) | instskip(SKIP_1) | instid1(VALU_DEP_2)
	v_mov_b32_e32 v137, v123
	v_pk_mul_f32 v[122:123], v[134:135], v[120:121] op_sel:[0,1]
	v_pk_add_f32 v[162:163], v[162:163], v[136:137] neg_lo:[0,1] neg_hi:[0,1]
	s_delay_alu instid0(VALU_DEP_2) | instskip(SKIP_1) | instid1(VALU_DEP_1)
	v_pk_fma_f32 v[132:133], v[134:135], v[118:119], v[122:123] op_sel:[0,0,1] op_sel_hi:[1,1,0] neg_lo:[0,0,1] neg_hi:[0,0,1]
	v_pk_fma_f32 v[122:123], v[134:135], v[118:119], v[122:123] op_sel:[0,0,1] op_sel_hi:[1,0,0]
	v_mov_b32_e32 v133, v123
	s_delay_alu instid0(VALU_DEP_1) | instskip(SKIP_3) | instid1(VALU_DEP_1)
	v_pk_add_f32 v[158:159], v[158:159], v[132:133] neg_lo:[0,1] neg_hi:[0,1]
	ds_load_2addr_b64 v[132:135], v236 offset0:38 offset1:39
	s_wait_dscnt 0x0
	v_pk_mul_f32 v[122:123], v[132:133], v[120:121] op_sel:[0,1]
	v_pk_fma_f32 v[136:137], v[132:133], v[118:119], v[122:123] op_sel:[0,0,1] op_sel_hi:[1,1,0] neg_lo:[0,0,1] neg_hi:[0,0,1]
	v_pk_fma_f32 v[122:123], v[132:133], v[118:119], v[122:123] op_sel:[0,0,1] op_sel_hi:[1,0,0]
	s_delay_alu instid0(VALU_DEP_1) | instskip(SKIP_1) | instid1(VALU_DEP_2)
	v_mov_b32_e32 v137, v123
	v_pk_mul_f32 v[122:123], v[134:135], v[120:121] op_sel:[0,1]
	v_pk_add_f32 v[160:161], v[160:161], v[136:137] neg_lo:[0,1] neg_hi:[0,1]
	s_delay_alu instid0(VALU_DEP_2) | instskip(SKIP_1) | instid1(VALU_DEP_1)
	v_pk_fma_f32 v[132:133], v[134:135], v[118:119], v[122:123] op_sel:[0,0,1] op_sel_hi:[1,1,0] neg_lo:[0,0,1] neg_hi:[0,0,1]
	v_pk_fma_f32 v[122:123], v[134:135], v[118:119], v[122:123] op_sel:[0,0,1] op_sel_hi:[1,0,0]
	v_mov_b32_e32 v133, v123
	s_delay_alu instid0(VALU_DEP_1) | instskip(SKIP_3) | instid1(VALU_DEP_1)
	v_pk_add_f32 v[156:157], v[156:157], v[132:133] neg_lo:[0,1] neg_hi:[0,1]
	ds_load_2addr_b64 v[132:135], v236 offset0:40 offset1:41
	s_wait_dscnt 0x0
	v_dual_mul_f32 v122, v133, v121 :: v_dual_mul_f32 v136, v133, v118
	v_pk_fma_f32 v[122:123], v[132:133], v[124:125], v[122:123] op_sel_hi:[1,1,0] neg_lo:[0,0,1] neg_hi:[0,0,1]
	s_delay_alu instid0(VALU_DEP_2) | instskip(NEXT) | instid1(VALU_DEP_1)
	v_pk_fma_f32 v[132:133], v[132:133], v[124:125], v[136:137] op_sel:[1,0,0] op_sel_hi:[0,1,0]
	v_mov_b32_e32 v123, v133
	s_delay_alu instid0(VALU_DEP_1) | instskip(SKIP_1) | instid1(VALU_DEP_1)
	v_pk_add_f32 v[178:179], v[178:179], v[122:123] neg_lo:[0,1] neg_hi:[0,1]
	v_pk_mul_f32 v[122:123], v[134:135], v[120:121] op_sel:[0,1]
	v_pk_fma_f32 v[132:133], v[134:135], v[118:119], v[122:123] op_sel:[0,0,1] op_sel_hi:[1,1,0] neg_lo:[0,0,1] neg_hi:[0,0,1]
	v_pk_fma_f32 v[122:123], v[134:135], v[118:119], v[122:123] op_sel:[0,0,1] op_sel_hi:[1,0,0]
	s_delay_alu instid0(VALU_DEP_1) | instskip(NEXT) | instid1(VALU_DEP_1)
	v_mov_b32_e32 v133, v123
	v_pk_add_f32 v[174:175], v[174:175], v[132:133] neg_lo:[0,1] neg_hi:[0,1]
	ds_load_2addr_b64 v[132:135], v236 offset0:42 offset1:43
	s_wait_dscnt 0x0
	v_pk_mul_f32 v[122:123], v[132:133], v[120:121] op_sel:[0,1]
	s_delay_alu instid0(VALU_DEP_1) | instskip(SKIP_1) | instid1(VALU_DEP_1)
	v_pk_fma_f32 v[136:137], v[132:133], v[118:119], v[122:123] op_sel:[0,0,1] op_sel_hi:[1,1,0] neg_lo:[0,0,1] neg_hi:[0,0,1]
	v_pk_fma_f32 v[122:123], v[132:133], v[118:119], v[122:123] op_sel:[0,0,1] op_sel_hi:[1,0,0]
	v_mov_b32_e32 v137, v123
	v_pk_mul_f32 v[122:123], v[134:135], v[120:121] op_sel:[0,1]
	s_delay_alu instid0(VALU_DEP_2) | instskip(NEXT) | instid1(VALU_DEP_2)
	v_pk_add_f32 v[176:177], v[176:177], v[136:137] neg_lo:[0,1] neg_hi:[0,1]
	v_pk_fma_f32 v[132:133], v[134:135], v[118:119], v[122:123] op_sel:[0,0,1] op_sel_hi:[1,1,0] neg_lo:[0,0,1] neg_hi:[0,0,1]
	v_pk_fma_f32 v[122:123], v[134:135], v[118:119], v[122:123] op_sel:[0,0,1] op_sel_hi:[1,0,0]
	s_delay_alu instid0(VALU_DEP_1) | instskip(NEXT) | instid1(VALU_DEP_1)
	v_mov_b32_e32 v133, v123
	v_pk_add_f32 v[172:173], v[172:173], v[132:133] neg_lo:[0,1] neg_hi:[0,1]
	ds_load_2addr_b64 v[132:135], v236 offset0:44 offset1:45
	s_wait_dscnt 0x0
	v_pk_mul_f32 v[122:123], v[132:133], v[120:121] op_sel:[0,1]
	s_delay_alu instid0(VALU_DEP_1) | instskip(SKIP_2) | instid1(VALU_DEP_2)
	v_pk_fma_f32 v[136:137], v[132:133], v[118:119], v[122:123] op_sel:[0,0,1] op_sel_hi:[1,1,0] neg_lo:[0,0,1] neg_hi:[0,0,1]
	v_pk_fma_f32 v[122:123], v[132:133], v[118:119], v[122:123] op_sel:[0,0,1] op_sel_hi:[1,0,0]
	v_dual_mul_f32 v132, v135, v121 :: v_dual_mov_b32 v122, v135
	v_dual_mov_b32 v137, v123 :: v_dual_mov_b32 v123, v134
	s_delay_alu instid0(VALU_DEP_2) | instskip(SKIP_1) | instid1(VALU_DEP_3)
	v_pk_fma_f32 v[132:133], v[134:135], v[124:125], v[132:133] op_sel_hi:[1,1,0] neg_lo:[0,0,1] neg_hi:[0,0,1]
	v_mul_f32_e32 v134, v135, v118
	v_pk_add_f32 v[194:195], v[194:195], v[136:137] neg_lo:[0,1] neg_hi:[0,1]
	s_delay_alu instid0(VALU_DEP_2) | instskip(NEXT) | instid1(VALU_DEP_1)
	v_pk_fma_f32 v[122:123], v[122:123], v[124:125], v[134:135] op_sel_hi:[1,1,0]
	v_mov_b32_e32 v133, v123
	s_delay_alu instid0(VALU_DEP_1) | instskip(SKIP_3) | instid1(VALU_DEP_1)
	v_pk_add_f32 v[190:191], v[190:191], v[132:133] neg_lo:[0,1] neg_hi:[0,1]
	ds_load_2addr_b64 v[132:135], v236 offset0:46 offset1:47
	s_wait_dscnt 0x0
	v_pk_mul_f32 v[122:123], v[132:133], v[120:121] op_sel:[0,1]
	v_pk_fma_f32 v[136:137], v[132:133], v[118:119], v[122:123] op_sel:[0,0,1] op_sel_hi:[1,1,0] neg_lo:[0,0,1] neg_hi:[0,0,1]
	v_pk_fma_f32 v[122:123], v[132:133], v[118:119], v[122:123] op_sel:[0,0,1] op_sel_hi:[1,0,0]
	s_delay_alu instid0(VALU_DEP_1) | instskip(SKIP_1) | instid1(VALU_DEP_2)
	v_mov_b32_e32 v137, v123
	v_pk_mul_f32 v[122:123], v[134:135], v[120:121] op_sel:[0,1]
	v_pk_add_f32 v[192:193], v[192:193], v[136:137] neg_lo:[0,1] neg_hi:[0,1]
	s_delay_alu instid0(VALU_DEP_2) | instskip(SKIP_1) | instid1(VALU_DEP_1)
	v_pk_fma_f32 v[132:133], v[134:135], v[118:119], v[122:123] op_sel:[0,0,1] op_sel_hi:[1,1,0] neg_lo:[0,0,1] neg_hi:[0,0,1]
	v_pk_fma_f32 v[122:123], v[134:135], v[118:119], v[122:123] op_sel:[0,0,1] op_sel_hi:[1,0,0]
	v_mov_b32_e32 v133, v123
	s_delay_alu instid0(VALU_DEP_1) | instskip(SKIP_3) | instid1(VALU_DEP_1)
	v_pk_add_f32 v[188:189], v[188:189], v[132:133] neg_lo:[0,1] neg_hi:[0,1]
	ds_load_2addr_b64 v[132:135], v236 offset0:48 offset1:49
	s_wait_dscnt 0x0
	v_pk_mul_f32 v[122:123], v[132:133], v[120:121] op_sel:[0,1]
	v_pk_fma_f32 v[136:137], v[132:133], v[118:119], v[122:123] op_sel:[0,0,1] op_sel_hi:[1,1,0] neg_lo:[0,0,1] neg_hi:[0,0,1]
	v_pk_fma_f32 v[122:123], v[132:133], v[118:119], v[122:123] op_sel:[0,0,1] op_sel_hi:[1,0,0]
	s_delay_alu instid0(VALU_DEP_1) | instskip(SKIP_1) | instid1(VALU_DEP_2)
	v_mov_b32_e32 v137, v123
	v_pk_mul_f32 v[122:123], v[134:135], v[120:121] op_sel:[0,1]
	v_pk_add_f32 v[210:211], v[210:211], v[136:137] neg_lo:[0,1] neg_hi:[0,1]
	s_delay_alu instid0(VALU_DEP_2) | instskip(SKIP_1) | instid1(VALU_DEP_1)
	v_pk_fma_f32 v[132:133], v[134:135], v[118:119], v[122:123] op_sel:[0,0,1] op_sel_hi:[1,1,0] neg_lo:[0,0,1] neg_hi:[0,0,1]
	v_pk_fma_f32 v[122:123], v[134:135], v[118:119], v[122:123] op_sel:[0,0,1] op_sel_hi:[1,0,0]
	v_mov_b32_e32 v133, v123
	s_delay_alu instid0(VALU_DEP_1) | instskip(SKIP_3) | instid1(VALU_DEP_1)
	v_pk_add_f32 v[206:207], v[206:207], v[132:133] neg_lo:[0,1] neg_hi:[0,1]
	ds_load_2addr_b64 v[132:135], v236 offset0:50 offset1:51
	s_wait_dscnt 0x0
	v_dual_mul_f32 v122, v133, v121 :: v_dual_mul_f32 v136, v133, v118
	v_pk_fma_f32 v[122:123], v[132:133], v[124:125], v[122:123] op_sel_hi:[1,1,0] neg_lo:[0,0,1] neg_hi:[0,0,1]
	s_delay_alu instid0(VALU_DEP_2) | instskip(NEXT) | instid1(VALU_DEP_1)
	v_pk_fma_f32 v[132:133], v[132:133], v[124:125], v[136:137] op_sel:[1,0,0] op_sel_hi:[0,1,0]
	v_mov_b32_e32 v123, v133
	s_delay_alu instid0(VALU_DEP_1) | instskip(SKIP_1) | instid1(VALU_DEP_1)
	v_pk_add_f32 v[208:209], v[208:209], v[122:123] neg_lo:[0,1] neg_hi:[0,1]
	v_pk_mul_f32 v[122:123], v[134:135], v[120:121] op_sel:[0,1]
	v_pk_fma_f32 v[132:133], v[134:135], v[118:119], v[122:123] op_sel:[0,0,1] op_sel_hi:[1,1,0] neg_lo:[0,0,1] neg_hi:[0,0,1]
	v_pk_fma_f32 v[122:123], v[134:135], v[118:119], v[122:123] op_sel:[0,0,1] op_sel_hi:[1,0,0]
	s_delay_alu instid0(VALU_DEP_1) | instskip(NEXT) | instid1(VALU_DEP_1)
	v_mov_b32_e32 v133, v123
	v_pk_add_f32 v[204:205], v[204:205], v[132:133] neg_lo:[0,1] neg_hi:[0,1]
	ds_load_2addr_b64 v[132:135], v236 offset0:52 offset1:53
	s_wait_dscnt 0x0
	v_pk_mul_f32 v[122:123], v[132:133], v[120:121] op_sel:[0,1]
	s_delay_alu instid0(VALU_DEP_1) | instskip(SKIP_1) | instid1(VALU_DEP_1)
	v_pk_fma_f32 v[136:137], v[132:133], v[118:119], v[122:123] op_sel:[0,0,1] op_sel_hi:[1,1,0] neg_lo:[0,0,1] neg_hi:[0,0,1]
	v_pk_fma_f32 v[122:123], v[132:133], v[118:119], v[122:123] op_sel:[0,0,1] op_sel_hi:[1,0,0]
	v_mov_b32_e32 v137, v123
	v_pk_mul_f32 v[122:123], v[134:135], v[120:121] op_sel:[0,1]
	s_delay_alu instid0(VALU_DEP_2) | instskip(NEXT) | instid1(VALU_DEP_2)
	v_pk_add_f32 v[228:229], v[228:229], v[136:137] neg_lo:[0,1] neg_hi:[0,1]
	v_pk_fma_f32 v[132:133], v[134:135], v[118:119], v[122:123] op_sel:[0,0,1] op_sel_hi:[1,1,0] neg_lo:[0,0,1] neg_hi:[0,0,1]
	v_pk_fma_f32 v[122:123], v[134:135], v[118:119], v[122:123] op_sel:[0,0,1] op_sel_hi:[1,0,0]
	s_delay_alu instid0(VALU_DEP_1) | instskip(NEXT) | instid1(VALU_DEP_1)
	v_mov_b32_e32 v133, v123
	v_pk_add_f32 v[224:225], v[224:225], v[132:133] neg_lo:[0,1] neg_hi:[0,1]
	ds_load_2addr_b64 v[132:135], v236 offset0:54 offset1:55
	s_wait_dscnt 0x0
	v_pk_mul_f32 v[122:123], v[132:133], v[120:121] op_sel:[0,1]
	s_delay_alu instid0(VALU_DEP_1) | instskip(SKIP_2) | instid1(VALU_DEP_2)
	v_pk_fma_f32 v[136:137], v[132:133], v[118:119], v[122:123] op_sel:[0,0,1] op_sel_hi:[1,1,0] neg_lo:[0,0,1] neg_hi:[0,0,1]
	v_pk_fma_f32 v[122:123], v[132:133], v[118:119], v[122:123] op_sel:[0,0,1] op_sel_hi:[1,0,0]
	v_dual_mul_f32 v132, v135, v121 :: v_dual_mov_b32 v122, v135
	v_dual_mov_b32 v137, v123 :: v_dual_mov_b32 v123, v134
	s_delay_alu instid0(VALU_DEP_2) | instskip(SKIP_1) | instid1(VALU_DEP_3)
	v_pk_fma_f32 v[132:133], v[134:135], v[124:125], v[132:133] op_sel_hi:[1,1,0] neg_lo:[0,0,1] neg_hi:[0,0,1]
	v_mul_f32_e32 v134, v135, v118
	v_pk_add_f32 v[226:227], v[226:227], v[136:137] neg_lo:[0,1] neg_hi:[0,1]
	s_delay_alu instid0(VALU_DEP_2) | instskip(NEXT) | instid1(VALU_DEP_1)
	v_pk_fma_f32 v[122:123], v[122:123], v[124:125], v[134:135] op_sel_hi:[1,1,0]
	v_mov_b32_e32 v133, v123
	s_delay_alu instid0(VALU_DEP_1) | instskip(SKIP_3) | instid1(VALU_DEP_1)
	v_pk_add_f32 v[222:223], v[222:223], v[132:133] neg_lo:[0,1] neg_hi:[0,1]
	ds_load_2addr_b64 v[132:135], v236 offset0:56 offset1:57
	s_wait_dscnt 0x0
	v_pk_mul_f32 v[122:123], v[132:133], v[120:121] op_sel:[0,1]
	v_pk_fma_f32 v[136:137], v[132:133], v[118:119], v[122:123] op_sel:[0,0,1] op_sel_hi:[1,1,0] neg_lo:[0,0,1] neg_hi:[0,0,1]
	v_pk_fma_f32 v[122:123], v[132:133], v[118:119], v[122:123] op_sel:[0,0,1] op_sel_hi:[1,0,0]
	s_delay_alu instid0(VALU_DEP_1) | instskip(SKIP_1) | instid1(VALU_DEP_2)
	v_mov_b32_e32 v137, v123
	v_pk_mul_f32 v[122:123], v[134:135], v[120:121] op_sel:[0,1]
	v_pk_add_f32 v[244:245], v[244:245], v[136:137] neg_lo:[0,1] neg_hi:[0,1]
	s_delay_alu instid0(VALU_DEP_2) | instskip(SKIP_1) | instid1(VALU_DEP_1)
	v_pk_fma_f32 v[132:133], v[134:135], v[118:119], v[122:123] op_sel:[0,0,1] op_sel_hi:[1,1,0] neg_lo:[0,0,1] neg_hi:[0,0,1]
	v_pk_fma_f32 v[122:123], v[134:135], v[118:119], v[122:123] op_sel:[0,0,1] op_sel_hi:[1,0,0]
	v_mov_b32_e32 v133, v123
	s_delay_alu instid0(VALU_DEP_1) | instskip(SKIP_3) | instid1(VALU_DEP_1)
	v_pk_add_f32 v[240:241], v[240:241], v[132:133] neg_lo:[0,1] neg_hi:[0,1]
	ds_load_2addr_b64 v[132:135], v236 offset0:58 offset1:59
	s_wait_dscnt 0x0
	v_pk_mul_f32 v[122:123], v[132:133], v[120:121] op_sel:[0,1]
	v_pk_fma_f32 v[136:137], v[132:133], v[118:119], v[122:123] op_sel:[0,0,1] op_sel_hi:[1,1,0] neg_lo:[0,0,1] neg_hi:[0,0,1]
	v_pk_fma_f32 v[122:123], v[132:133], v[118:119], v[122:123] op_sel:[0,0,1] op_sel_hi:[1,0,0]
	s_delay_alu instid0(VALU_DEP_1) | instskip(SKIP_1) | instid1(VALU_DEP_2)
	v_mov_b32_e32 v137, v123
	v_pk_mul_f32 v[122:123], v[134:135], v[120:121] op_sel:[0,1]
	v_pk_add_f32 v[242:243], v[242:243], v[136:137] neg_lo:[0,1] neg_hi:[0,1]
	s_delay_alu instid0(VALU_DEP_2) | instskip(SKIP_1) | instid1(VALU_DEP_1)
	v_pk_fma_f32 v[132:133], v[134:135], v[118:119], v[122:123] op_sel:[0,0,1] op_sel_hi:[1,1,0] neg_lo:[0,0,1] neg_hi:[0,0,1]
	v_pk_fma_f32 v[122:123], v[134:135], v[118:119], v[122:123] op_sel:[0,0,1] op_sel_hi:[1,0,0]
	v_mov_b32_e32 v133, v123
	s_delay_alu instid0(VALU_DEP_1) | instskip(SKIP_3) | instid1(VALU_DEP_1)
	v_pk_add_f32 v[238:239], v[238:239], v[132:133] neg_lo:[0,1] neg_hi:[0,1]
	ds_load_2addr_b64 v[132:135], v236 offset0:60 offset1:61
	s_wait_dscnt 0x0
	v_mul_f32_e32 v120, v133, v121
	v_pk_fma_f32 v[122:123], v[132:133], v[124:125], v[120:121] op_sel_hi:[1,1,0] neg_lo:[0,0,1] neg_hi:[0,0,1]
	v_dual_mul_f32 v120, v133, v118 :: v_dual_mul_f32 v118, v135, v118
	s_delay_alu instid0(VALU_DEP_1) | instskip(NEXT) | instid1(VALU_DEP_1)
	v_pk_fma_f32 v[132:133], v[132:133], v[124:125], v[120:121] op_sel:[1,0,0] op_sel_hi:[0,1,0]
	v_dual_mul_f32 v120, v135, v121 :: v_dual_mov_b32 v123, v133
	s_delay_alu instid0(VALU_DEP_1) | instskip(NEXT) | instid1(VALU_DEP_2)
	v_pk_fma_f32 v[120:121], v[134:135], v[124:125], v[120:121] op_sel_hi:[1,1,0] neg_lo:[0,0,1] neg_hi:[0,0,1]
	v_pk_add_f32 v[246:247], v[246:247], v[122:123] neg_lo:[0,1] neg_hi:[0,1]
	v_dual_mov_b32 v122, v135 :: v_dual_mov_b32 v123, v134
	s_delay_alu instid0(VALU_DEP_1) | instskip(NEXT) | instid1(VALU_DEP_1)
	v_pk_fma_f32 v[118:119], v[122:123], v[124:125], v[118:119] op_sel_hi:[1,1,0]
	v_mov_b32_e32 v121, v119
	s_delay_alu instid0(VALU_DEP_1)
	v_pk_add_f32 v[248:249], v[248:249], v[120:121] neg_lo:[0,1] neg_hi:[0,1]
.LBB123_289:
	s_or_b32 exec_lo, exec_lo, s1
	s_delay_alu instid0(SALU_CYCLE_1)
	s_mov_b32 s2, exec_lo
	s_wait_dscnt 0x0
	s_barrier_signal -1
	s_barrier_wait -1
	v_cmpx_eq_u32_e32 32, v234
	s_cbranch_execz .LBB123_296
; %bb.290:
	ds_store_b64 v235, v[146:147]
	ds_store_2addr_b64 v236, v[142:143], v[144:145] offset0:33 offset1:34
	ds_store_2addr_b64 v236, v[140:141], v[162:163] offset0:35 offset1:36
	;; [unrolled: 1-line block ×14, first 2 shown]
	ds_store_b64 v236, v[248:249] offset:488
	ds_load_b64 v[118:119], v235
	s_wait_dscnt 0x0
	v_cmp_neq_f32_e32 vcc_lo, 0, v118
	v_cmp_neq_f32_e64 s1, 0, v119
	s_or_b32 s1, vcc_lo, s1
	s_delay_alu instid0(SALU_CYCLE_1)
	s_and_b32 exec_lo, exec_lo, s1
	s_cbranch_execz .LBB123_296
; %bb.291:
	v_cmp_ngt_f32_e64 s1, |v118|, |v119|
                                        ; implicit-def: $vgpr120_vgpr121
	s_and_saveexec_b32 s4, s1
	s_delay_alu instid0(SALU_CYCLE_1)
	s_xor_b32 s1, exec_lo, s4
	s_cbranch_execz .LBB123_293
; %bb.292:
	v_div_scale_f32 v0, null, v119, v119, v118
	v_div_scale_f32 v121, vcc_lo, v118, v119, v118
	s_delay_alu instid0(VALU_DEP_2) | instskip(SKIP_1) | instid1(TRANS32_DEP_1)
	v_rcp_f32_e32 v1, v0
	v_nop
	v_fma_f32 v120, -v0, v1, 1.0
	s_delay_alu instid0(VALU_DEP_1) | instskip(NEXT) | instid1(VALU_DEP_1)
	v_fmac_f32_e32 v1, v120, v1
	v_mul_f32_e32 v120, v121, v1
	s_delay_alu instid0(VALU_DEP_1) | instskip(NEXT) | instid1(VALU_DEP_1)
	v_fma_f32 v122, -v0, v120, v121
	v_fmac_f32_e32 v120, v122, v1
	s_delay_alu instid0(VALU_DEP_1) | instskip(NEXT) | instid1(VALU_DEP_1)
	v_fma_f32 v0, -v0, v120, v121
	v_div_fmas_f32 v0, v0, v1, v120
	s_delay_alu instid0(VALU_DEP_1) | instskip(NEXT) | instid1(VALU_DEP_1)
	v_div_fixup_f32 v0, v0, v119, v118
	v_fmac_f32_e32 v119, v118, v0
	s_delay_alu instid0(VALU_DEP_1) | instskip(SKIP_1) | instid1(VALU_DEP_2)
	v_div_scale_f32 v1, null, v119, v119, 1.0
	v_div_scale_f32 v121, vcc_lo, 1.0, v119, 1.0
	v_rcp_f32_e32 v118, v1
	v_nop
	s_delay_alu instid0(TRANS32_DEP_1) | instskip(NEXT) | instid1(VALU_DEP_1)
	v_fma_f32 v120, -v1, v118, 1.0
	v_fmac_f32_e32 v118, v120, v118
	s_delay_alu instid0(VALU_DEP_1) | instskip(NEXT) | instid1(VALU_DEP_1)
	v_mul_f32_e32 v120, v121, v118
	v_fma_f32 v122, -v1, v120, v121
	s_delay_alu instid0(VALU_DEP_1) | instskip(NEXT) | instid1(VALU_DEP_1)
	v_fmac_f32_e32 v120, v122, v118
	v_fma_f32 v1, -v1, v120, v121
	s_delay_alu instid0(VALU_DEP_1) | instskip(NEXT) | instid1(VALU_DEP_1)
	v_div_fmas_f32 v1, v1, v118, v120
	v_div_fixup_f32 v1, v1, v119, 1.0
                                        ; implicit-def: $vgpr118_vgpr119
	s_delay_alu instid0(VALU_DEP_1)
	v_mul_f32_e32 v120, v0, v1
	v_xor_b32_e32 v121, 0x80000000, v1
.LBB123_293:
	s_and_not1_saveexec_b32 s1, s1
	s_cbranch_execz .LBB123_295
; %bb.294:
	v_div_scale_f32 v0, null, v118, v118, v119
	v_div_scale_f32 v121, vcc_lo, v119, v118, v119
	s_delay_alu instid0(VALU_DEP_2) | instskip(SKIP_1) | instid1(TRANS32_DEP_1)
	v_rcp_f32_e32 v1, v0
	v_nop
	v_fma_f32 v120, -v0, v1, 1.0
	s_delay_alu instid0(VALU_DEP_1) | instskip(NEXT) | instid1(VALU_DEP_1)
	v_fmac_f32_e32 v1, v120, v1
	v_mul_f32_e32 v120, v121, v1
	s_delay_alu instid0(VALU_DEP_1) | instskip(NEXT) | instid1(VALU_DEP_1)
	v_fma_f32 v122, -v0, v120, v121
	v_fmac_f32_e32 v120, v122, v1
	s_delay_alu instid0(VALU_DEP_1) | instskip(NEXT) | instid1(VALU_DEP_1)
	v_fma_f32 v0, -v0, v120, v121
	v_div_fmas_f32 v0, v0, v1, v120
	s_delay_alu instid0(VALU_DEP_1) | instskip(NEXT) | instid1(VALU_DEP_1)
	v_div_fixup_f32 v0, v0, v118, v119
	v_fmac_f32_e32 v118, v119, v0
	s_delay_alu instid0(VALU_DEP_1) | instskip(NEXT) | instid1(VALU_DEP_1)
	v_div_scale_f32 v1, null, v118, v118, 1.0
	v_rcp_f32_e32 v119, v1
	v_nop
	s_delay_alu instid0(TRANS32_DEP_1) | instskip(NEXT) | instid1(VALU_DEP_1)
	v_fma_f32 v120, -v1, v119, 1.0
	v_fmac_f32_e32 v119, v120, v119
	v_div_scale_f32 v120, vcc_lo, 1.0, v118, 1.0
	s_delay_alu instid0(VALU_DEP_1) | instskip(NEXT) | instid1(VALU_DEP_1)
	v_mul_f32_e32 v121, v120, v119
	v_fma_f32 v122, -v1, v121, v120
	s_delay_alu instid0(VALU_DEP_1) | instskip(NEXT) | instid1(VALU_DEP_1)
	v_fmac_f32_e32 v121, v122, v119
	v_fma_f32 v1, -v1, v121, v120
	s_delay_alu instid0(VALU_DEP_1) | instskip(NEXT) | instid1(VALU_DEP_1)
	v_div_fmas_f32 v1, v1, v119, v121
	v_div_fixup_f32 v120, v1, v118, 1.0
	s_delay_alu instid0(VALU_DEP_1)
	v_mul_f32_e64 v121, v0, -v120
.LBB123_295:
	s_or_b32 exec_lo, exec_lo, s1
	ds_store_b64 v235, v[120:121]
.LBB123_296:
	s_or_b32 exec_lo, exec_lo, s2
	s_wait_dscnt 0x0
	s_barrier_signal -1
	s_barrier_wait -1
	ds_load_b64 v[118:119], v235
	s_mov_b32 s1, exec_lo
	v_cmpx_lt_u32_e32 32, v234
	s_cbranch_execz .LBB123_298
; %bb.297:
	ds_load_2addr_b64 v[132:135], v236 offset0:33 offset1:34
	s_wait_dscnt 0x1
	v_pk_mul_f32 v[122:123], v[118:119], v[146:147] op_sel:[1,1] op_sel_hi:[0,1]
	s_delay_alu instid0(VALU_DEP_1) | instskip(SKIP_1) | instid1(VALU_DEP_1)
	v_pk_fma_f32 v[120:121], v[118:119], v[146:147], v[122:123] op_sel_hi:[1,0,1] neg_lo:[0,0,1] neg_hi:[0,0,1]
	v_pk_fma_f32 v[122:123], v[118:119], v[146:147], v[122:123] op_sel_hi:[1,0,1]
	v_dual_mov_b32 v146, v120 :: v_dual_mov_b32 v147, v123
	s_wait_dscnt 0x0
	s_delay_alu instid0(VALU_DEP_2) | instskip(NEXT) | instid1(VALU_DEP_1)
	v_pk_mul_f32 v[136:137], v[132:133], v[122:123] op_sel:[0,1]
	v_pk_fma_f32 v[138:139], v[132:133], v[120:121], v[136:137] op_sel:[0,0,1] op_sel_hi:[1,1,0] neg_lo:[0,0,1] neg_hi:[0,0,1]
	v_pk_fma_f32 v[132:133], v[132:133], v[120:121], v[136:137] op_sel:[0,0,1] op_sel_hi:[1,0,0]
	s_delay_alu instid0(VALU_DEP_1) | instskip(SKIP_1) | instid1(VALU_DEP_1)
	v_mov_b32_e32 v139, v133
	v_pk_mul_f32 v[132:133], v[134:135], v[122:123] op_sel:[0,1]
	v_pk_fma_f32 v[136:137], v[134:135], v[120:121], v[132:133] op_sel:[0,0,1] op_sel_hi:[1,1,0] neg_lo:[0,0,1] neg_hi:[0,0,1]
	v_pk_fma_f32 v[132:133], v[134:135], v[120:121], v[132:133] op_sel:[0,0,1] op_sel_hi:[1,0,0]
	s_delay_alu instid0(VALU_DEP_1)
	v_mov_b32_e32 v137, v133
	ds_load_2addr_b64 v[132:135], v236 offset0:35 offset1:36
	v_pk_add_f32 v[142:143], v[142:143], v[138:139] neg_lo:[0,1] neg_hi:[0,1]
	v_pk_add_f32 v[144:145], v[144:145], v[136:137] neg_lo:[0,1] neg_hi:[0,1]
	s_wait_dscnt 0x0
	v_pk_mul_f32 v[136:137], v[132:133], v[122:123] op_sel:[0,1]
	s_delay_alu instid0(VALU_DEP_1) | instskip(SKIP_2) | instid1(VALU_DEP_2)
	v_pk_fma_f32 v[138:139], v[132:133], v[120:121], v[136:137] op_sel:[0,0,1] op_sel_hi:[1,1,0] neg_lo:[0,0,1] neg_hi:[0,0,1]
	v_pk_fma_f32 v[132:133], v[132:133], v[120:121], v[136:137] op_sel:[0,0,1] op_sel_hi:[1,0,0]
	v_dual_mul_f32 v136, v135, v123 :: v_dual_mov_b32 v132, v135
	v_dual_mov_b32 v139, v133 :: v_dual_mov_b32 v133, v134
	s_delay_alu instid0(VALU_DEP_2) | instskip(SKIP_1) | instid1(VALU_DEP_3)
	v_pk_fma_f32 v[136:137], v[134:135], v[146:147], v[136:137] op_sel_hi:[1,1,0] neg_lo:[0,0,1] neg_hi:[0,0,1]
	v_mul_f32_e32 v134, v135, v120
	v_pk_add_f32 v[140:141], v[140:141], v[138:139] neg_lo:[0,1] neg_hi:[0,1]
	s_delay_alu instid0(VALU_DEP_2) | instskip(NEXT) | instid1(VALU_DEP_1)
	v_pk_fma_f32 v[132:133], v[132:133], v[146:147], v[134:135] op_sel_hi:[1,1,0]
	v_mov_b32_e32 v137, v133
	ds_load_2addr_b64 v[132:135], v236 offset0:37 offset1:38
	v_pk_add_f32 v[162:163], v[162:163], v[136:137] neg_lo:[0,1] neg_hi:[0,1]
	s_wait_dscnt 0x0
	v_pk_mul_f32 v[136:137], v[132:133], v[122:123] op_sel:[0,1]
	s_delay_alu instid0(VALU_DEP_1) | instskip(SKIP_1) | instid1(VALU_DEP_1)
	v_pk_fma_f32 v[138:139], v[132:133], v[120:121], v[136:137] op_sel:[0,0,1] op_sel_hi:[1,1,0] neg_lo:[0,0,1] neg_hi:[0,0,1]
	v_pk_fma_f32 v[132:133], v[132:133], v[120:121], v[136:137] op_sel:[0,0,1] op_sel_hi:[1,0,0]
	v_mov_b32_e32 v139, v133
	v_pk_mul_f32 v[132:133], v[134:135], v[122:123] op_sel:[0,1]
	s_delay_alu instid0(VALU_DEP_1) | instskip(SKIP_1) | instid1(VALU_DEP_1)
	v_pk_fma_f32 v[136:137], v[134:135], v[120:121], v[132:133] op_sel:[0,0,1] op_sel_hi:[1,1,0] neg_lo:[0,0,1] neg_hi:[0,0,1]
	v_pk_fma_f32 v[132:133], v[134:135], v[120:121], v[132:133] op_sel:[0,0,1] op_sel_hi:[1,0,0]
	v_mov_b32_e32 v137, v133
	ds_load_2addr_b64 v[132:135], v236 offset0:39 offset1:40
	v_pk_add_f32 v[158:159], v[158:159], v[138:139] neg_lo:[0,1] neg_hi:[0,1]
	v_pk_add_f32 v[160:161], v[160:161], v[136:137] neg_lo:[0,1] neg_hi:[0,1]
	s_wait_dscnt 0x0
	v_pk_mul_f32 v[136:137], v[132:133], v[122:123] op_sel:[0,1]
	s_delay_alu instid0(VALU_DEP_1) | instskip(SKIP_1) | instid1(VALU_DEP_1)
	v_pk_fma_f32 v[138:139], v[132:133], v[120:121], v[136:137] op_sel:[0,0,1] op_sel_hi:[1,1,0] neg_lo:[0,0,1] neg_hi:[0,0,1]
	v_pk_fma_f32 v[132:133], v[132:133], v[120:121], v[136:137] op_sel:[0,0,1] op_sel_hi:[1,0,0]
	v_mov_b32_e32 v139, v133
	v_pk_mul_f32 v[132:133], v[134:135], v[122:123] op_sel:[0,1]
	s_delay_alu instid0(VALU_DEP_1) | instskip(SKIP_1) | instid1(VALU_DEP_1)
	v_pk_fma_f32 v[136:137], v[134:135], v[120:121], v[132:133] op_sel:[0,0,1] op_sel_hi:[1,1,0] neg_lo:[0,0,1] neg_hi:[0,0,1]
	v_pk_fma_f32 v[132:133], v[134:135], v[120:121], v[132:133] op_sel:[0,0,1] op_sel_hi:[1,0,0]
	v_mov_b32_e32 v137, v133
	ds_load_2addr_b64 v[132:135], v236 offset0:41 offset1:42
	v_pk_add_f32 v[156:157], v[156:157], v[138:139] neg_lo:[0,1] neg_hi:[0,1]
	v_pk_add_f32 v[178:179], v[178:179], v[136:137] neg_lo:[0,1] neg_hi:[0,1]
	s_wait_dscnt 0x0
	v_dual_mul_f32 v136, v133, v123 :: v_dual_mul_f32 v138, v133, v120
	s_delay_alu instid0(VALU_DEP_1) | instskip(NEXT) | instid1(VALU_DEP_2)
	v_pk_fma_f32 v[136:137], v[132:133], v[146:147], v[136:137] op_sel_hi:[1,1,0] neg_lo:[0,0,1] neg_hi:[0,0,1]
	v_pk_fma_f32 v[132:133], v[132:133], v[146:147], v[138:139] op_sel:[1,0,0] op_sel_hi:[0,1,0]
	s_delay_alu instid0(VALU_DEP_1) | instskip(SKIP_1) | instid1(VALU_DEP_2)
	v_mov_b32_e32 v137, v133
	v_pk_mul_f32 v[132:133], v[134:135], v[122:123] op_sel:[0,1]
	v_pk_add_f32 v[174:175], v[174:175], v[136:137] neg_lo:[0,1] neg_hi:[0,1]
	s_delay_alu instid0(VALU_DEP_2) | instskip(SKIP_1) | instid1(VALU_DEP_1)
	v_pk_fma_f32 v[136:137], v[134:135], v[120:121], v[132:133] op_sel:[0,0,1] op_sel_hi:[1,1,0] neg_lo:[0,0,1] neg_hi:[0,0,1]
	v_pk_fma_f32 v[132:133], v[134:135], v[120:121], v[132:133] op_sel:[0,0,1] op_sel_hi:[1,0,0]
	v_mov_b32_e32 v137, v133
	ds_load_2addr_b64 v[132:135], v236 offset0:43 offset1:44
	v_pk_add_f32 v[176:177], v[176:177], v[136:137] neg_lo:[0,1] neg_hi:[0,1]
	s_wait_dscnt 0x0
	v_pk_mul_f32 v[136:137], v[132:133], v[122:123] op_sel:[0,1]
	s_delay_alu instid0(VALU_DEP_1) | instskip(SKIP_1) | instid1(VALU_DEP_1)
	v_pk_fma_f32 v[138:139], v[132:133], v[120:121], v[136:137] op_sel:[0,0,1] op_sel_hi:[1,1,0] neg_lo:[0,0,1] neg_hi:[0,0,1]
	v_pk_fma_f32 v[132:133], v[132:133], v[120:121], v[136:137] op_sel:[0,0,1] op_sel_hi:[1,0,0]
	v_mov_b32_e32 v139, v133
	v_pk_mul_f32 v[132:133], v[134:135], v[122:123] op_sel:[0,1]
	s_delay_alu instid0(VALU_DEP_2) | instskip(NEXT) | instid1(VALU_DEP_2)
	v_pk_add_f32 v[172:173], v[172:173], v[138:139] neg_lo:[0,1] neg_hi:[0,1]
	v_pk_fma_f32 v[136:137], v[134:135], v[120:121], v[132:133] op_sel:[0,0,1] op_sel_hi:[1,1,0] neg_lo:[0,0,1] neg_hi:[0,0,1]
	v_pk_fma_f32 v[132:133], v[134:135], v[120:121], v[132:133] op_sel:[0,0,1] op_sel_hi:[1,0,0]
	s_delay_alu instid0(VALU_DEP_1) | instskip(SKIP_4) | instid1(VALU_DEP_1)
	v_mov_b32_e32 v137, v133
	ds_load_2addr_b64 v[132:135], v236 offset0:45 offset1:46
	v_pk_add_f32 v[194:195], v[194:195], v[136:137] neg_lo:[0,1] neg_hi:[0,1]
	s_wait_dscnt 0x0
	v_pk_mul_f32 v[136:137], v[132:133], v[122:123] op_sel:[0,1]
	v_pk_fma_f32 v[138:139], v[132:133], v[120:121], v[136:137] op_sel:[0,0,1] op_sel_hi:[1,1,0] neg_lo:[0,0,1] neg_hi:[0,0,1]
	v_pk_fma_f32 v[132:133], v[132:133], v[120:121], v[136:137] op_sel:[0,0,1] op_sel_hi:[1,0,0]
	v_dual_mul_f32 v136, v135, v123 :: v_dual_mov_b32 v132, v135
	s_delay_alu instid0(VALU_DEP_2) | instskip(NEXT) | instid1(VALU_DEP_2)
	v_dual_mov_b32 v139, v133 :: v_dual_mov_b32 v133, v134
	v_pk_fma_f32 v[136:137], v[134:135], v[146:147], v[136:137] op_sel_hi:[1,1,0] neg_lo:[0,0,1] neg_hi:[0,0,1]
	v_mul_f32_e32 v134, v135, v120
	s_delay_alu instid0(VALU_DEP_3) | instskip(NEXT) | instid1(VALU_DEP_2)
	v_pk_add_f32 v[190:191], v[190:191], v[138:139] neg_lo:[0,1] neg_hi:[0,1]
	v_pk_fma_f32 v[132:133], v[132:133], v[146:147], v[134:135] op_sel_hi:[1,1,0]
	s_delay_alu instid0(VALU_DEP_1) | instskip(SKIP_4) | instid1(VALU_DEP_1)
	v_mov_b32_e32 v137, v133
	ds_load_2addr_b64 v[132:135], v236 offset0:47 offset1:48
	v_pk_add_f32 v[192:193], v[192:193], v[136:137] neg_lo:[0,1] neg_hi:[0,1]
	s_wait_dscnt 0x0
	v_pk_mul_f32 v[136:137], v[132:133], v[122:123] op_sel:[0,1]
	v_pk_fma_f32 v[138:139], v[132:133], v[120:121], v[136:137] op_sel:[0,0,1] op_sel_hi:[1,1,0] neg_lo:[0,0,1] neg_hi:[0,0,1]
	v_pk_fma_f32 v[132:133], v[132:133], v[120:121], v[136:137] op_sel:[0,0,1] op_sel_hi:[1,0,0]
	s_delay_alu instid0(VALU_DEP_1) | instskip(SKIP_1) | instid1(VALU_DEP_1)
	v_mov_b32_e32 v139, v133
	v_pk_mul_f32 v[132:133], v[134:135], v[122:123] op_sel:[0,1]
	v_pk_fma_f32 v[136:137], v[134:135], v[120:121], v[132:133] op_sel:[0,0,1] op_sel_hi:[1,1,0] neg_lo:[0,0,1] neg_hi:[0,0,1]
	v_pk_fma_f32 v[132:133], v[134:135], v[120:121], v[132:133] op_sel:[0,0,1] op_sel_hi:[1,0,0]
	s_delay_alu instid0(VALU_DEP_1)
	v_mov_b32_e32 v137, v133
	ds_load_2addr_b64 v[132:135], v236 offset0:49 offset1:50
	v_pk_add_f32 v[188:189], v[188:189], v[138:139] neg_lo:[0,1] neg_hi:[0,1]
	v_pk_add_f32 v[210:211], v[210:211], v[136:137] neg_lo:[0,1] neg_hi:[0,1]
	s_wait_dscnt 0x0
	v_pk_mul_f32 v[136:137], v[132:133], v[122:123] op_sel:[0,1]
	s_delay_alu instid0(VALU_DEP_1) | instskip(SKIP_1) | instid1(VALU_DEP_1)
	v_pk_fma_f32 v[138:139], v[132:133], v[120:121], v[136:137] op_sel:[0,0,1] op_sel_hi:[1,1,0] neg_lo:[0,0,1] neg_hi:[0,0,1]
	v_pk_fma_f32 v[132:133], v[132:133], v[120:121], v[136:137] op_sel:[0,0,1] op_sel_hi:[1,0,0]
	v_mov_b32_e32 v139, v133
	v_pk_mul_f32 v[132:133], v[134:135], v[122:123] op_sel:[0,1]
	s_delay_alu instid0(VALU_DEP_1) | instskip(SKIP_1) | instid1(VALU_DEP_1)
	v_pk_fma_f32 v[136:137], v[134:135], v[120:121], v[132:133] op_sel:[0,0,1] op_sel_hi:[1,1,0] neg_lo:[0,0,1] neg_hi:[0,0,1]
	v_pk_fma_f32 v[132:133], v[134:135], v[120:121], v[132:133] op_sel:[0,0,1] op_sel_hi:[1,0,0]
	v_mov_b32_e32 v137, v133
	ds_load_2addr_b64 v[132:135], v236 offset0:51 offset1:52
	v_pk_add_f32 v[206:207], v[206:207], v[138:139] neg_lo:[0,1] neg_hi:[0,1]
	v_pk_add_f32 v[208:209], v[208:209], v[136:137] neg_lo:[0,1] neg_hi:[0,1]
	s_wait_dscnt 0x0
	v_dual_mul_f32 v136, v133, v123 :: v_dual_mul_f32 v138, v133, v120
	s_delay_alu instid0(VALU_DEP_1) | instskip(NEXT) | instid1(VALU_DEP_2)
	v_pk_fma_f32 v[136:137], v[132:133], v[146:147], v[136:137] op_sel_hi:[1,1,0] neg_lo:[0,0,1] neg_hi:[0,0,1]
	v_pk_fma_f32 v[132:133], v[132:133], v[146:147], v[138:139] op_sel:[1,0,0] op_sel_hi:[0,1,0]
	s_delay_alu instid0(VALU_DEP_1) | instskip(SKIP_1) | instid1(VALU_DEP_2)
	v_mov_b32_e32 v137, v133
	v_pk_mul_f32 v[132:133], v[134:135], v[122:123] op_sel:[0,1]
	v_pk_add_f32 v[204:205], v[204:205], v[136:137] neg_lo:[0,1] neg_hi:[0,1]
	s_delay_alu instid0(VALU_DEP_2) | instskip(SKIP_1) | instid1(VALU_DEP_1)
	v_pk_fma_f32 v[136:137], v[134:135], v[120:121], v[132:133] op_sel:[0,0,1] op_sel_hi:[1,1,0] neg_lo:[0,0,1] neg_hi:[0,0,1]
	v_pk_fma_f32 v[132:133], v[134:135], v[120:121], v[132:133] op_sel:[0,0,1] op_sel_hi:[1,0,0]
	v_mov_b32_e32 v137, v133
	ds_load_2addr_b64 v[132:135], v236 offset0:53 offset1:54
	v_pk_add_f32 v[228:229], v[228:229], v[136:137] neg_lo:[0,1] neg_hi:[0,1]
	s_wait_dscnt 0x0
	v_pk_mul_f32 v[136:137], v[132:133], v[122:123] op_sel:[0,1]
	s_delay_alu instid0(VALU_DEP_1) | instskip(SKIP_1) | instid1(VALU_DEP_1)
	v_pk_fma_f32 v[138:139], v[132:133], v[120:121], v[136:137] op_sel:[0,0,1] op_sel_hi:[1,1,0] neg_lo:[0,0,1] neg_hi:[0,0,1]
	v_pk_fma_f32 v[132:133], v[132:133], v[120:121], v[136:137] op_sel:[0,0,1] op_sel_hi:[1,0,0]
	v_mov_b32_e32 v139, v133
	v_pk_mul_f32 v[132:133], v[134:135], v[122:123] op_sel:[0,1]
	s_delay_alu instid0(VALU_DEP_2) | instskip(NEXT) | instid1(VALU_DEP_2)
	v_pk_add_f32 v[224:225], v[224:225], v[138:139] neg_lo:[0,1] neg_hi:[0,1]
	v_pk_fma_f32 v[136:137], v[134:135], v[120:121], v[132:133] op_sel:[0,0,1] op_sel_hi:[1,1,0] neg_lo:[0,0,1] neg_hi:[0,0,1]
	v_pk_fma_f32 v[132:133], v[134:135], v[120:121], v[132:133] op_sel:[0,0,1] op_sel_hi:[1,0,0]
	s_delay_alu instid0(VALU_DEP_1) | instskip(SKIP_4) | instid1(VALU_DEP_1)
	v_mov_b32_e32 v137, v133
	ds_load_2addr_b64 v[132:135], v236 offset0:55 offset1:56
	v_pk_add_f32 v[226:227], v[226:227], v[136:137] neg_lo:[0,1] neg_hi:[0,1]
	s_wait_dscnt 0x0
	v_pk_mul_f32 v[136:137], v[132:133], v[122:123] op_sel:[0,1]
	v_pk_fma_f32 v[138:139], v[132:133], v[120:121], v[136:137] op_sel:[0,0,1] op_sel_hi:[1,1,0] neg_lo:[0,0,1] neg_hi:[0,0,1]
	v_pk_fma_f32 v[132:133], v[132:133], v[120:121], v[136:137] op_sel:[0,0,1] op_sel_hi:[1,0,0]
	v_dual_mul_f32 v136, v135, v123 :: v_dual_mov_b32 v132, v135
	s_delay_alu instid0(VALU_DEP_2) | instskip(NEXT) | instid1(VALU_DEP_2)
	v_dual_mov_b32 v139, v133 :: v_dual_mov_b32 v133, v134
	v_pk_fma_f32 v[136:137], v[134:135], v[146:147], v[136:137] op_sel_hi:[1,1,0] neg_lo:[0,0,1] neg_hi:[0,0,1]
	v_mul_f32_e32 v134, v135, v120
	s_delay_alu instid0(VALU_DEP_3) | instskip(NEXT) | instid1(VALU_DEP_2)
	v_pk_add_f32 v[222:223], v[222:223], v[138:139] neg_lo:[0,1] neg_hi:[0,1]
	v_pk_fma_f32 v[132:133], v[132:133], v[146:147], v[134:135] op_sel_hi:[1,1,0]
	s_delay_alu instid0(VALU_DEP_1) | instskip(SKIP_4) | instid1(VALU_DEP_1)
	v_mov_b32_e32 v137, v133
	ds_load_2addr_b64 v[132:135], v236 offset0:57 offset1:58
	v_pk_add_f32 v[244:245], v[244:245], v[136:137] neg_lo:[0,1] neg_hi:[0,1]
	s_wait_dscnt 0x0
	v_pk_mul_f32 v[136:137], v[132:133], v[122:123] op_sel:[0,1]
	v_pk_fma_f32 v[138:139], v[132:133], v[120:121], v[136:137] op_sel:[0,0,1] op_sel_hi:[1,1,0] neg_lo:[0,0,1] neg_hi:[0,0,1]
	v_pk_fma_f32 v[132:133], v[132:133], v[120:121], v[136:137] op_sel:[0,0,1] op_sel_hi:[1,0,0]
	s_delay_alu instid0(VALU_DEP_1) | instskip(SKIP_1) | instid1(VALU_DEP_1)
	v_mov_b32_e32 v139, v133
	v_pk_mul_f32 v[132:133], v[134:135], v[122:123] op_sel:[0,1]
	v_pk_fma_f32 v[136:137], v[134:135], v[120:121], v[132:133] op_sel:[0,0,1] op_sel_hi:[1,1,0] neg_lo:[0,0,1] neg_hi:[0,0,1]
	v_pk_fma_f32 v[132:133], v[134:135], v[120:121], v[132:133] op_sel:[0,0,1] op_sel_hi:[1,0,0]
	s_delay_alu instid0(VALU_DEP_1)
	v_mov_b32_e32 v137, v133
	ds_load_2addr_b64 v[132:135], v236 offset0:59 offset1:60
	v_pk_add_f32 v[240:241], v[240:241], v[138:139] neg_lo:[0,1] neg_hi:[0,1]
	v_pk_add_f32 v[242:243], v[242:243], v[136:137] neg_lo:[0,1] neg_hi:[0,1]
	s_wait_dscnt 0x0
	v_pk_mul_f32 v[136:137], v[132:133], v[122:123] op_sel:[0,1]
	s_delay_alu instid0(VALU_DEP_1) | instskip(SKIP_1) | instid1(VALU_DEP_1)
	v_pk_fma_f32 v[138:139], v[132:133], v[120:121], v[136:137] op_sel:[0,0,1] op_sel_hi:[1,1,0] neg_lo:[0,0,1] neg_hi:[0,0,1]
	v_pk_fma_f32 v[132:133], v[132:133], v[120:121], v[136:137] op_sel:[0,0,1] op_sel_hi:[1,0,0]
	v_mov_b32_e32 v139, v133
	v_pk_mul_f32 v[132:133], v[134:135], v[122:123] op_sel:[0,1]
	s_delay_alu instid0(VALU_DEP_1) | instskip(SKIP_1) | instid1(VALU_DEP_1)
	v_pk_fma_f32 v[136:137], v[134:135], v[120:121], v[132:133] op_sel:[0,0,1] op_sel_hi:[1,1,0] neg_lo:[0,0,1] neg_hi:[0,0,1]
	v_pk_fma_f32 v[132:133], v[134:135], v[120:121], v[132:133] op_sel:[0,0,1] op_sel_hi:[1,0,0]
	v_mov_b32_e32 v137, v133
	ds_load_b64 v[132:133], v236 offset:488
	v_pk_add_f32 v[238:239], v[238:239], v[138:139] neg_lo:[0,1] neg_hi:[0,1]
	v_pk_add_f32 v[246:247], v[246:247], v[136:137] neg_lo:[0,1] neg_hi:[0,1]
	s_wait_dscnt 0x0
	v_pk_mul_f32 v[122:123], v[132:133], v[122:123] op_sel:[0,1]
	s_delay_alu instid0(VALU_DEP_1) | instskip(SKIP_1) | instid1(VALU_DEP_1)
	v_pk_fma_f32 v[134:135], v[132:133], v[120:121], v[122:123] op_sel:[0,0,1] op_sel_hi:[1,1,0] neg_lo:[0,0,1] neg_hi:[0,0,1]
	v_pk_fma_f32 v[120:121], v[132:133], v[120:121], v[122:123] op_sel:[0,0,1] op_sel_hi:[1,0,0]
	v_mov_b32_e32 v135, v121
	s_delay_alu instid0(VALU_DEP_1)
	v_pk_add_f32 v[248:249], v[248:249], v[134:135] neg_lo:[0,1] neg_hi:[0,1]
.LBB123_298:
	s_or_b32 exec_lo, exec_lo, s1
	s_delay_alu instid0(SALU_CYCLE_1)
	s_mov_b32 s2, exec_lo
	s_wait_dscnt 0x0
	s_barrier_signal -1
	s_barrier_wait -1
	v_cmpx_eq_u32_e32 33, v234
	s_cbranch_execz .LBB123_305
; %bb.299:
	v_dual_mov_b32 v120, v144 :: v_dual_mov_b32 v121, v145
	v_dual_mov_b32 v122, v140 :: v_dual_mov_b32 v123, v141
	ds_store_b64 v235, v[142:143]
	ds_store_2addr_b64 v236, v[120:121], v[122:123] offset0:34 offset1:35
	v_dual_mov_b32 v120, v162 :: v_dual_mov_b32 v121, v163
	v_dual_mov_b32 v122, v158 :: v_dual_mov_b32 v123, v159
	ds_store_2addr_b64 v236, v[120:121], v[122:123] offset0:36 offset1:37
	v_dual_mov_b32 v120, v160 :: v_dual_mov_b32 v121, v161
	v_dual_mov_b32 v122, v156 :: v_dual_mov_b32 v123, v157
	;; [unrolled: 3-line block ×12, first 2 shown]
	ds_store_2addr_b64 v236, v[120:121], v[122:123] offset0:58 offset1:59
	v_dual_mov_b32 v120, v246 :: v_dual_mov_b32 v121, v247
	ds_store_2addr_b64 v236, v[120:121], v[248:249] offset0:60 offset1:61
	ds_load_b64 v[120:121], v235
	s_wait_dscnt 0x0
	v_cmp_neq_f32_e32 vcc_lo, 0, v120
	v_cmp_neq_f32_e64 s1, 0, v121
	s_or_b32 s1, vcc_lo, s1
	s_delay_alu instid0(SALU_CYCLE_1)
	s_and_b32 exec_lo, exec_lo, s1
	s_cbranch_execz .LBB123_305
; %bb.300:
	v_cmp_ngt_f32_e64 s1, |v120|, |v121|
                                        ; implicit-def: $vgpr122_vgpr123
	s_and_saveexec_b32 s4, s1
	s_delay_alu instid0(SALU_CYCLE_1)
	s_xor_b32 s1, exec_lo, s4
	s_cbranch_execz .LBB123_302
; %bb.301:
	v_div_scale_f32 v0, null, v121, v121, v120
	v_div_scale_f32 v123, vcc_lo, v120, v121, v120
	s_delay_alu instid0(VALU_DEP_2) | instskip(SKIP_1) | instid1(TRANS32_DEP_1)
	v_rcp_f32_e32 v1, v0
	v_nop
	v_fma_f32 v122, -v0, v1, 1.0
	s_delay_alu instid0(VALU_DEP_1) | instskip(NEXT) | instid1(VALU_DEP_1)
	v_fmac_f32_e32 v1, v122, v1
	v_mul_f32_e32 v122, v123, v1
	s_delay_alu instid0(VALU_DEP_1) | instskip(NEXT) | instid1(VALU_DEP_1)
	v_fma_f32 v132, -v0, v122, v123
	v_fmac_f32_e32 v122, v132, v1
	s_delay_alu instid0(VALU_DEP_1) | instskip(NEXT) | instid1(VALU_DEP_1)
	v_fma_f32 v0, -v0, v122, v123
	v_div_fmas_f32 v0, v0, v1, v122
	s_delay_alu instid0(VALU_DEP_1) | instskip(NEXT) | instid1(VALU_DEP_1)
	v_div_fixup_f32 v0, v0, v121, v120
	v_fmac_f32_e32 v121, v120, v0
	s_delay_alu instid0(VALU_DEP_1) | instskip(SKIP_1) | instid1(VALU_DEP_2)
	v_div_scale_f32 v1, null, v121, v121, 1.0
	v_div_scale_f32 v123, vcc_lo, 1.0, v121, 1.0
	v_rcp_f32_e32 v120, v1
	v_nop
	s_delay_alu instid0(TRANS32_DEP_1) | instskip(NEXT) | instid1(VALU_DEP_1)
	v_fma_f32 v122, -v1, v120, 1.0
	v_fmac_f32_e32 v120, v122, v120
	s_delay_alu instid0(VALU_DEP_1) | instskip(NEXT) | instid1(VALU_DEP_1)
	v_mul_f32_e32 v122, v123, v120
	v_fma_f32 v132, -v1, v122, v123
	s_delay_alu instid0(VALU_DEP_1) | instskip(NEXT) | instid1(VALU_DEP_1)
	v_fmac_f32_e32 v122, v132, v120
	v_fma_f32 v1, -v1, v122, v123
	s_delay_alu instid0(VALU_DEP_1) | instskip(NEXT) | instid1(VALU_DEP_1)
	v_div_fmas_f32 v1, v1, v120, v122
	v_div_fixup_f32 v1, v1, v121, 1.0
                                        ; implicit-def: $vgpr120_vgpr121
	s_delay_alu instid0(VALU_DEP_1)
	v_mul_f32_e32 v122, v0, v1
	v_xor_b32_e32 v123, 0x80000000, v1
.LBB123_302:
	s_and_not1_saveexec_b32 s1, s1
	s_cbranch_execz .LBB123_304
; %bb.303:
	v_div_scale_f32 v0, null, v120, v120, v121
	v_div_scale_f32 v123, vcc_lo, v121, v120, v121
	s_delay_alu instid0(VALU_DEP_2) | instskip(SKIP_1) | instid1(TRANS32_DEP_1)
	v_rcp_f32_e32 v1, v0
	v_nop
	v_fma_f32 v122, -v0, v1, 1.0
	s_delay_alu instid0(VALU_DEP_1) | instskip(NEXT) | instid1(VALU_DEP_1)
	v_fmac_f32_e32 v1, v122, v1
	v_mul_f32_e32 v122, v123, v1
	s_delay_alu instid0(VALU_DEP_1) | instskip(NEXT) | instid1(VALU_DEP_1)
	v_fma_f32 v132, -v0, v122, v123
	v_fmac_f32_e32 v122, v132, v1
	s_delay_alu instid0(VALU_DEP_1) | instskip(NEXT) | instid1(VALU_DEP_1)
	v_fma_f32 v0, -v0, v122, v123
	v_div_fmas_f32 v0, v0, v1, v122
	s_delay_alu instid0(VALU_DEP_1) | instskip(NEXT) | instid1(VALU_DEP_1)
	v_div_fixup_f32 v0, v0, v120, v121
	v_fmac_f32_e32 v120, v121, v0
	s_delay_alu instid0(VALU_DEP_1) | instskip(NEXT) | instid1(VALU_DEP_1)
	v_div_scale_f32 v1, null, v120, v120, 1.0
	v_rcp_f32_e32 v121, v1
	v_nop
	s_delay_alu instid0(TRANS32_DEP_1) | instskip(NEXT) | instid1(VALU_DEP_1)
	v_fma_f32 v122, -v1, v121, 1.0
	v_fmac_f32_e32 v121, v122, v121
	v_div_scale_f32 v122, vcc_lo, 1.0, v120, 1.0
	s_delay_alu instid0(VALU_DEP_1) | instskip(NEXT) | instid1(VALU_DEP_1)
	v_mul_f32_e32 v123, v122, v121
	v_fma_f32 v132, -v1, v123, v122
	s_delay_alu instid0(VALU_DEP_1) | instskip(NEXT) | instid1(VALU_DEP_1)
	v_fmac_f32_e32 v123, v132, v121
	v_fma_f32 v1, -v1, v123, v122
	s_delay_alu instid0(VALU_DEP_1) | instskip(NEXT) | instid1(VALU_DEP_1)
	v_div_fmas_f32 v1, v1, v121, v123
	v_div_fixup_f32 v122, v1, v120, 1.0
	s_delay_alu instid0(VALU_DEP_1)
	v_mul_f32_e64 v123, v0, -v122
.LBB123_304:
	s_or_b32 exec_lo, exec_lo, s1
	ds_store_b64 v235, v[122:123]
.LBB123_305:
	s_or_b32 exec_lo, exec_lo, s2
	s_wait_dscnt 0x0
	s_barrier_signal -1
	s_barrier_wait -1
	ds_load_b64 v[120:121], v235
	s_mov_b32 s1, exec_lo
	v_cmpx_lt_u32_e32 33, v234
	s_cbranch_execz .LBB123_307
; %bb.306:
	ds_load_2addr_b64 v[134:137], v236 offset0:34 offset1:35
	s_wait_dscnt 0x1
	v_pk_mul_f32 v[132:133], v[120:121], v[142:143] op_sel:[1,1] op_sel_hi:[0,1]
	s_delay_alu instid0(VALU_DEP_1) | instskip(SKIP_1) | instid1(VALU_DEP_1)
	v_pk_fma_f32 v[122:123], v[120:121], v[142:143], v[132:133] op_sel_hi:[1,0,1] neg_lo:[0,0,1] neg_hi:[0,0,1]
	v_pk_fma_f32 v[132:133], v[120:121], v[142:143], v[132:133] op_sel_hi:[1,0,1]
	v_dual_mov_b32 v142, v122 :: v_dual_mov_b32 v143, v133
	s_wait_dscnt 0x0
	s_delay_alu instid0(VALU_DEP_2) | instskip(NEXT) | instid1(VALU_DEP_1)
	v_pk_mul_f32 v[138:139], v[134:135], v[132:133] op_sel:[0,1]
	v_pk_fma_f32 v[148:149], v[134:135], v[122:123], v[138:139] op_sel:[0,0,1] op_sel_hi:[1,1,0] neg_lo:[0,0,1] neg_hi:[0,0,1]
	v_pk_fma_f32 v[134:135], v[134:135], v[122:123], v[138:139] op_sel:[0,0,1] op_sel_hi:[1,0,0]
	s_delay_alu instid0(VALU_DEP_1) | instskip(SKIP_1) | instid1(VALU_DEP_1)
	v_mov_b32_e32 v149, v135
	v_pk_mul_f32 v[134:135], v[136:137], v[132:133] op_sel:[0,1]
	v_pk_fma_f32 v[138:139], v[136:137], v[122:123], v[134:135] op_sel:[0,0,1] op_sel_hi:[1,1,0] neg_lo:[0,0,1] neg_hi:[0,0,1]
	v_pk_fma_f32 v[134:135], v[136:137], v[122:123], v[134:135] op_sel:[0,0,1] op_sel_hi:[1,0,0]
	s_delay_alu instid0(VALU_DEP_1)
	v_mov_b32_e32 v139, v135
	ds_load_2addr_b64 v[134:137], v236 offset0:36 offset1:37
	v_pk_add_f32 v[144:145], v[144:145], v[148:149] neg_lo:[0,1] neg_hi:[0,1]
	v_pk_add_f32 v[140:141], v[140:141], v[138:139] neg_lo:[0,1] neg_hi:[0,1]
	s_wait_dscnt 0x0
	v_pk_mul_f32 v[138:139], v[134:135], v[132:133] op_sel:[0,1]
	s_delay_alu instid0(VALU_DEP_1) | instskip(SKIP_2) | instid1(VALU_DEP_2)
	v_pk_fma_f32 v[148:149], v[134:135], v[122:123], v[138:139] op_sel:[0,0,1] op_sel_hi:[1,1,0] neg_lo:[0,0,1] neg_hi:[0,0,1]
	v_pk_fma_f32 v[134:135], v[134:135], v[122:123], v[138:139] op_sel:[0,0,1] op_sel_hi:[1,0,0]
	v_dual_mul_f32 v138, v137, v133 :: v_dual_mov_b32 v134, v137
	v_dual_mov_b32 v149, v135 :: v_dual_mov_b32 v135, v136
	s_delay_alu instid0(VALU_DEP_2) | instskip(SKIP_1) | instid1(VALU_DEP_3)
	v_pk_fma_f32 v[138:139], v[136:137], v[142:143], v[138:139] op_sel_hi:[1,1,0] neg_lo:[0,0,1] neg_hi:[0,0,1]
	v_mul_f32_e32 v136, v137, v122
	v_pk_add_f32 v[162:163], v[162:163], v[148:149] neg_lo:[0,1] neg_hi:[0,1]
	s_delay_alu instid0(VALU_DEP_2) | instskip(NEXT) | instid1(VALU_DEP_1)
	v_pk_fma_f32 v[134:135], v[134:135], v[142:143], v[136:137] op_sel_hi:[1,1,0]
	v_mov_b32_e32 v139, v135
	ds_load_2addr_b64 v[134:137], v236 offset0:38 offset1:39
	v_pk_add_f32 v[158:159], v[158:159], v[138:139] neg_lo:[0,1] neg_hi:[0,1]
	s_wait_dscnt 0x0
	v_pk_mul_f32 v[138:139], v[134:135], v[132:133] op_sel:[0,1]
	s_delay_alu instid0(VALU_DEP_1) | instskip(SKIP_1) | instid1(VALU_DEP_1)
	v_pk_fma_f32 v[148:149], v[134:135], v[122:123], v[138:139] op_sel:[0,0,1] op_sel_hi:[1,1,0] neg_lo:[0,0,1] neg_hi:[0,0,1]
	v_pk_fma_f32 v[134:135], v[134:135], v[122:123], v[138:139] op_sel:[0,0,1] op_sel_hi:[1,0,0]
	v_mov_b32_e32 v149, v135
	v_pk_mul_f32 v[134:135], v[136:137], v[132:133] op_sel:[0,1]
	s_delay_alu instid0(VALU_DEP_1) | instskip(SKIP_1) | instid1(VALU_DEP_1)
	v_pk_fma_f32 v[138:139], v[136:137], v[122:123], v[134:135] op_sel:[0,0,1] op_sel_hi:[1,1,0] neg_lo:[0,0,1] neg_hi:[0,0,1]
	v_pk_fma_f32 v[134:135], v[136:137], v[122:123], v[134:135] op_sel:[0,0,1] op_sel_hi:[1,0,0]
	v_mov_b32_e32 v139, v135
	ds_load_2addr_b64 v[134:137], v236 offset0:40 offset1:41
	v_pk_add_f32 v[160:161], v[160:161], v[148:149] neg_lo:[0,1] neg_hi:[0,1]
	v_pk_add_f32 v[156:157], v[156:157], v[138:139] neg_lo:[0,1] neg_hi:[0,1]
	s_wait_dscnt 0x0
	v_pk_mul_f32 v[138:139], v[134:135], v[132:133] op_sel:[0,1]
	s_delay_alu instid0(VALU_DEP_1) | instskip(SKIP_1) | instid1(VALU_DEP_1)
	v_pk_fma_f32 v[148:149], v[134:135], v[122:123], v[138:139] op_sel:[0,0,1] op_sel_hi:[1,1,0] neg_lo:[0,0,1] neg_hi:[0,0,1]
	v_pk_fma_f32 v[134:135], v[134:135], v[122:123], v[138:139] op_sel:[0,0,1] op_sel_hi:[1,0,0]
	v_mov_b32_e32 v149, v135
	v_pk_mul_f32 v[134:135], v[136:137], v[132:133] op_sel:[0,1]
	s_delay_alu instid0(VALU_DEP_1) | instskip(SKIP_1) | instid1(VALU_DEP_1)
	v_pk_fma_f32 v[138:139], v[136:137], v[122:123], v[134:135] op_sel:[0,0,1] op_sel_hi:[1,1,0] neg_lo:[0,0,1] neg_hi:[0,0,1]
	v_pk_fma_f32 v[134:135], v[136:137], v[122:123], v[134:135] op_sel:[0,0,1] op_sel_hi:[1,0,0]
	v_mov_b32_e32 v139, v135
	ds_load_2addr_b64 v[134:137], v236 offset0:42 offset1:43
	v_pk_add_f32 v[178:179], v[178:179], v[148:149] neg_lo:[0,1] neg_hi:[0,1]
	v_pk_add_f32 v[174:175], v[174:175], v[138:139] neg_lo:[0,1] neg_hi:[0,1]
	s_wait_dscnt 0x0
	v_dual_mul_f32 v138, v135, v133 :: v_dual_mul_f32 v148, v135, v122
	s_delay_alu instid0(VALU_DEP_1) | instskip(NEXT) | instid1(VALU_DEP_2)
	v_pk_fma_f32 v[138:139], v[134:135], v[142:143], v[138:139] op_sel_hi:[1,1,0] neg_lo:[0,0,1] neg_hi:[0,0,1]
	v_pk_fma_f32 v[134:135], v[134:135], v[142:143], v[148:149] op_sel:[1,0,0] op_sel_hi:[0,1,0]
	s_delay_alu instid0(VALU_DEP_1) | instskip(SKIP_1) | instid1(VALU_DEP_2)
	v_mov_b32_e32 v139, v135
	v_pk_mul_f32 v[134:135], v[136:137], v[132:133] op_sel:[0,1]
	v_pk_add_f32 v[176:177], v[176:177], v[138:139] neg_lo:[0,1] neg_hi:[0,1]
	s_delay_alu instid0(VALU_DEP_2) | instskip(SKIP_1) | instid1(VALU_DEP_1)
	v_pk_fma_f32 v[138:139], v[136:137], v[122:123], v[134:135] op_sel:[0,0,1] op_sel_hi:[1,1,0] neg_lo:[0,0,1] neg_hi:[0,0,1]
	v_pk_fma_f32 v[134:135], v[136:137], v[122:123], v[134:135] op_sel:[0,0,1] op_sel_hi:[1,0,0]
	v_mov_b32_e32 v139, v135
	ds_load_2addr_b64 v[134:137], v236 offset0:44 offset1:45
	v_pk_add_f32 v[172:173], v[172:173], v[138:139] neg_lo:[0,1] neg_hi:[0,1]
	s_wait_dscnt 0x0
	v_pk_mul_f32 v[138:139], v[134:135], v[132:133] op_sel:[0,1]
	s_delay_alu instid0(VALU_DEP_1) | instskip(SKIP_1) | instid1(VALU_DEP_1)
	v_pk_fma_f32 v[148:149], v[134:135], v[122:123], v[138:139] op_sel:[0,0,1] op_sel_hi:[1,1,0] neg_lo:[0,0,1] neg_hi:[0,0,1]
	v_pk_fma_f32 v[134:135], v[134:135], v[122:123], v[138:139] op_sel:[0,0,1] op_sel_hi:[1,0,0]
	v_mov_b32_e32 v149, v135
	v_pk_mul_f32 v[134:135], v[136:137], v[132:133] op_sel:[0,1]
	s_delay_alu instid0(VALU_DEP_2) | instskip(NEXT) | instid1(VALU_DEP_2)
	v_pk_add_f32 v[194:195], v[194:195], v[148:149] neg_lo:[0,1] neg_hi:[0,1]
	v_pk_fma_f32 v[138:139], v[136:137], v[122:123], v[134:135] op_sel:[0,0,1] op_sel_hi:[1,1,0] neg_lo:[0,0,1] neg_hi:[0,0,1]
	v_pk_fma_f32 v[134:135], v[136:137], v[122:123], v[134:135] op_sel:[0,0,1] op_sel_hi:[1,0,0]
	s_delay_alu instid0(VALU_DEP_1) | instskip(SKIP_4) | instid1(VALU_DEP_1)
	v_mov_b32_e32 v139, v135
	ds_load_2addr_b64 v[134:137], v236 offset0:46 offset1:47
	v_pk_add_f32 v[190:191], v[190:191], v[138:139] neg_lo:[0,1] neg_hi:[0,1]
	s_wait_dscnt 0x0
	v_pk_mul_f32 v[138:139], v[134:135], v[132:133] op_sel:[0,1]
	v_pk_fma_f32 v[148:149], v[134:135], v[122:123], v[138:139] op_sel:[0,0,1] op_sel_hi:[1,1,0] neg_lo:[0,0,1] neg_hi:[0,0,1]
	v_pk_fma_f32 v[134:135], v[134:135], v[122:123], v[138:139] op_sel:[0,0,1] op_sel_hi:[1,0,0]
	v_dual_mul_f32 v138, v137, v133 :: v_dual_mov_b32 v134, v137
	s_delay_alu instid0(VALU_DEP_2) | instskip(NEXT) | instid1(VALU_DEP_2)
	v_dual_mov_b32 v149, v135 :: v_dual_mov_b32 v135, v136
	v_pk_fma_f32 v[138:139], v[136:137], v[142:143], v[138:139] op_sel_hi:[1,1,0] neg_lo:[0,0,1] neg_hi:[0,0,1]
	v_mul_f32_e32 v136, v137, v122
	s_delay_alu instid0(VALU_DEP_3) | instskip(NEXT) | instid1(VALU_DEP_2)
	v_pk_add_f32 v[192:193], v[192:193], v[148:149] neg_lo:[0,1] neg_hi:[0,1]
	v_pk_fma_f32 v[134:135], v[134:135], v[142:143], v[136:137] op_sel_hi:[1,1,0]
	s_delay_alu instid0(VALU_DEP_1) | instskip(SKIP_4) | instid1(VALU_DEP_1)
	v_mov_b32_e32 v139, v135
	ds_load_2addr_b64 v[134:137], v236 offset0:48 offset1:49
	v_pk_add_f32 v[188:189], v[188:189], v[138:139] neg_lo:[0,1] neg_hi:[0,1]
	s_wait_dscnt 0x0
	v_pk_mul_f32 v[138:139], v[134:135], v[132:133] op_sel:[0,1]
	v_pk_fma_f32 v[148:149], v[134:135], v[122:123], v[138:139] op_sel:[0,0,1] op_sel_hi:[1,1,0] neg_lo:[0,0,1] neg_hi:[0,0,1]
	v_pk_fma_f32 v[134:135], v[134:135], v[122:123], v[138:139] op_sel:[0,0,1] op_sel_hi:[1,0,0]
	s_delay_alu instid0(VALU_DEP_1) | instskip(SKIP_1) | instid1(VALU_DEP_1)
	v_mov_b32_e32 v149, v135
	v_pk_mul_f32 v[134:135], v[136:137], v[132:133] op_sel:[0,1]
	v_pk_fma_f32 v[138:139], v[136:137], v[122:123], v[134:135] op_sel:[0,0,1] op_sel_hi:[1,1,0] neg_lo:[0,0,1] neg_hi:[0,0,1]
	v_pk_fma_f32 v[134:135], v[136:137], v[122:123], v[134:135] op_sel:[0,0,1] op_sel_hi:[1,0,0]
	s_delay_alu instid0(VALU_DEP_1)
	v_mov_b32_e32 v139, v135
	ds_load_2addr_b64 v[134:137], v236 offset0:50 offset1:51
	v_pk_add_f32 v[210:211], v[210:211], v[148:149] neg_lo:[0,1] neg_hi:[0,1]
	v_pk_add_f32 v[206:207], v[206:207], v[138:139] neg_lo:[0,1] neg_hi:[0,1]
	s_wait_dscnt 0x0
	v_pk_mul_f32 v[138:139], v[134:135], v[132:133] op_sel:[0,1]
	s_delay_alu instid0(VALU_DEP_1) | instskip(SKIP_1) | instid1(VALU_DEP_1)
	v_pk_fma_f32 v[148:149], v[134:135], v[122:123], v[138:139] op_sel:[0,0,1] op_sel_hi:[1,1,0] neg_lo:[0,0,1] neg_hi:[0,0,1]
	v_pk_fma_f32 v[134:135], v[134:135], v[122:123], v[138:139] op_sel:[0,0,1] op_sel_hi:[1,0,0]
	v_mov_b32_e32 v149, v135
	v_pk_mul_f32 v[134:135], v[136:137], v[132:133] op_sel:[0,1]
	s_delay_alu instid0(VALU_DEP_1) | instskip(SKIP_1) | instid1(VALU_DEP_1)
	v_pk_fma_f32 v[138:139], v[136:137], v[122:123], v[134:135] op_sel:[0,0,1] op_sel_hi:[1,1,0] neg_lo:[0,0,1] neg_hi:[0,0,1]
	v_pk_fma_f32 v[134:135], v[136:137], v[122:123], v[134:135] op_sel:[0,0,1] op_sel_hi:[1,0,0]
	v_mov_b32_e32 v139, v135
	ds_load_2addr_b64 v[134:137], v236 offset0:52 offset1:53
	v_pk_add_f32 v[208:209], v[208:209], v[148:149] neg_lo:[0,1] neg_hi:[0,1]
	v_pk_add_f32 v[204:205], v[204:205], v[138:139] neg_lo:[0,1] neg_hi:[0,1]
	s_wait_dscnt 0x0
	v_dual_mul_f32 v138, v135, v133 :: v_dual_mul_f32 v148, v135, v122
	s_delay_alu instid0(VALU_DEP_1) | instskip(NEXT) | instid1(VALU_DEP_2)
	v_pk_fma_f32 v[138:139], v[134:135], v[142:143], v[138:139] op_sel_hi:[1,1,0] neg_lo:[0,0,1] neg_hi:[0,0,1]
	v_pk_fma_f32 v[134:135], v[134:135], v[142:143], v[148:149] op_sel:[1,0,0] op_sel_hi:[0,1,0]
	s_delay_alu instid0(VALU_DEP_1) | instskip(SKIP_1) | instid1(VALU_DEP_2)
	v_mov_b32_e32 v139, v135
	v_pk_mul_f32 v[134:135], v[136:137], v[132:133] op_sel:[0,1]
	v_pk_add_f32 v[228:229], v[228:229], v[138:139] neg_lo:[0,1] neg_hi:[0,1]
	s_delay_alu instid0(VALU_DEP_2) | instskip(SKIP_1) | instid1(VALU_DEP_1)
	v_pk_fma_f32 v[138:139], v[136:137], v[122:123], v[134:135] op_sel:[0,0,1] op_sel_hi:[1,1,0] neg_lo:[0,0,1] neg_hi:[0,0,1]
	v_pk_fma_f32 v[134:135], v[136:137], v[122:123], v[134:135] op_sel:[0,0,1] op_sel_hi:[1,0,0]
	v_mov_b32_e32 v139, v135
	ds_load_2addr_b64 v[134:137], v236 offset0:54 offset1:55
	v_pk_add_f32 v[224:225], v[224:225], v[138:139] neg_lo:[0,1] neg_hi:[0,1]
	s_wait_dscnt 0x0
	v_pk_mul_f32 v[138:139], v[134:135], v[132:133] op_sel:[0,1]
	s_delay_alu instid0(VALU_DEP_1) | instskip(SKIP_1) | instid1(VALU_DEP_1)
	v_pk_fma_f32 v[148:149], v[134:135], v[122:123], v[138:139] op_sel:[0,0,1] op_sel_hi:[1,1,0] neg_lo:[0,0,1] neg_hi:[0,0,1]
	v_pk_fma_f32 v[134:135], v[134:135], v[122:123], v[138:139] op_sel:[0,0,1] op_sel_hi:[1,0,0]
	v_mov_b32_e32 v149, v135
	v_pk_mul_f32 v[134:135], v[136:137], v[132:133] op_sel:[0,1]
	s_delay_alu instid0(VALU_DEP_2) | instskip(NEXT) | instid1(VALU_DEP_2)
	v_pk_add_f32 v[226:227], v[226:227], v[148:149] neg_lo:[0,1] neg_hi:[0,1]
	v_pk_fma_f32 v[138:139], v[136:137], v[122:123], v[134:135] op_sel:[0,0,1] op_sel_hi:[1,1,0] neg_lo:[0,0,1] neg_hi:[0,0,1]
	v_pk_fma_f32 v[134:135], v[136:137], v[122:123], v[134:135] op_sel:[0,0,1] op_sel_hi:[1,0,0]
	s_delay_alu instid0(VALU_DEP_1) | instskip(SKIP_4) | instid1(VALU_DEP_1)
	v_mov_b32_e32 v139, v135
	ds_load_2addr_b64 v[134:137], v236 offset0:56 offset1:57
	v_pk_add_f32 v[222:223], v[222:223], v[138:139] neg_lo:[0,1] neg_hi:[0,1]
	s_wait_dscnt 0x0
	v_pk_mul_f32 v[138:139], v[134:135], v[132:133] op_sel:[0,1]
	v_pk_fma_f32 v[148:149], v[134:135], v[122:123], v[138:139] op_sel:[0,0,1] op_sel_hi:[1,1,0] neg_lo:[0,0,1] neg_hi:[0,0,1]
	v_pk_fma_f32 v[134:135], v[134:135], v[122:123], v[138:139] op_sel:[0,0,1] op_sel_hi:[1,0,0]
	v_dual_mul_f32 v138, v137, v133 :: v_dual_mov_b32 v134, v137
	s_delay_alu instid0(VALU_DEP_2) | instskip(NEXT) | instid1(VALU_DEP_2)
	v_dual_mov_b32 v149, v135 :: v_dual_mov_b32 v135, v136
	v_pk_fma_f32 v[138:139], v[136:137], v[142:143], v[138:139] op_sel_hi:[1,1,0] neg_lo:[0,0,1] neg_hi:[0,0,1]
	v_mul_f32_e32 v136, v137, v122
	s_delay_alu instid0(VALU_DEP_3) | instskip(NEXT) | instid1(VALU_DEP_2)
	v_pk_add_f32 v[244:245], v[244:245], v[148:149] neg_lo:[0,1] neg_hi:[0,1]
	v_pk_fma_f32 v[134:135], v[134:135], v[142:143], v[136:137] op_sel_hi:[1,1,0]
	s_delay_alu instid0(VALU_DEP_1) | instskip(SKIP_4) | instid1(VALU_DEP_1)
	v_mov_b32_e32 v139, v135
	ds_load_2addr_b64 v[134:137], v236 offset0:58 offset1:59
	v_pk_add_f32 v[240:241], v[240:241], v[138:139] neg_lo:[0,1] neg_hi:[0,1]
	s_wait_dscnt 0x0
	v_pk_mul_f32 v[138:139], v[134:135], v[132:133] op_sel:[0,1]
	v_pk_fma_f32 v[148:149], v[134:135], v[122:123], v[138:139] op_sel:[0,0,1] op_sel_hi:[1,1,0] neg_lo:[0,0,1] neg_hi:[0,0,1]
	v_pk_fma_f32 v[134:135], v[134:135], v[122:123], v[138:139] op_sel:[0,0,1] op_sel_hi:[1,0,0]
	s_delay_alu instid0(VALU_DEP_1) | instskip(SKIP_1) | instid1(VALU_DEP_1)
	v_mov_b32_e32 v149, v135
	v_pk_mul_f32 v[134:135], v[136:137], v[132:133] op_sel:[0,1]
	v_pk_fma_f32 v[138:139], v[136:137], v[122:123], v[134:135] op_sel:[0,0,1] op_sel_hi:[1,1,0] neg_lo:[0,0,1] neg_hi:[0,0,1]
	v_pk_fma_f32 v[134:135], v[136:137], v[122:123], v[134:135] op_sel:[0,0,1] op_sel_hi:[1,0,0]
	s_delay_alu instid0(VALU_DEP_1)
	v_mov_b32_e32 v139, v135
	ds_load_2addr_b64 v[134:137], v236 offset0:60 offset1:61
	v_pk_add_f32 v[242:243], v[242:243], v[148:149] neg_lo:[0,1] neg_hi:[0,1]
	v_pk_add_f32 v[238:239], v[238:239], v[138:139] neg_lo:[0,1] neg_hi:[0,1]
	s_wait_dscnt 0x0
	v_pk_mul_f32 v[138:139], v[134:135], v[132:133] op_sel:[0,1]
	v_pk_mul_f32 v[132:133], v[136:137], v[132:133] op_sel:[0,1]
	s_delay_alu instid0(VALU_DEP_2) | instskip(SKIP_1) | instid1(VALU_DEP_1)
	v_pk_fma_f32 v[148:149], v[134:135], v[122:123], v[138:139] op_sel:[0,0,1] op_sel_hi:[1,1,0] neg_lo:[0,0,1] neg_hi:[0,0,1]
	v_pk_fma_f32 v[134:135], v[134:135], v[122:123], v[138:139] op_sel:[0,0,1] op_sel_hi:[1,0,0]
	v_mov_b32_e32 v149, v135
	s_delay_alu instid0(VALU_DEP_4) | instskip(SKIP_1) | instid1(VALU_DEP_1)
	v_pk_fma_f32 v[134:135], v[136:137], v[122:123], v[132:133] op_sel:[0,0,1] op_sel_hi:[1,1,0] neg_lo:[0,0,1] neg_hi:[0,0,1]
	v_pk_fma_f32 v[122:123], v[136:137], v[122:123], v[132:133] op_sel:[0,0,1] op_sel_hi:[1,0,0]
	v_mov_b32_e32 v135, v123
	s_delay_alu instid0(VALU_DEP_4) | instskip(NEXT) | instid1(VALU_DEP_2)
	v_pk_add_f32 v[246:247], v[246:247], v[148:149] neg_lo:[0,1] neg_hi:[0,1]
	v_pk_add_f32 v[248:249], v[248:249], v[134:135] neg_lo:[0,1] neg_hi:[0,1]
.LBB123_307:
	s_or_b32 exec_lo, exec_lo, s1
	s_delay_alu instid0(SALU_CYCLE_1)
	s_mov_b32 s2, exec_lo
	s_wait_dscnt 0x0
	s_barrier_signal -1
	s_barrier_wait -1
	v_cmpx_eq_u32_e32 34, v234
	s_cbranch_execz .LBB123_314
; %bb.308:
	ds_store_b64 v235, v[144:145]
	ds_store_2addr_b64 v236, v[140:141], v[162:163] offset0:35 offset1:36
	ds_store_2addr_b64 v236, v[158:159], v[160:161] offset0:37 offset1:38
	;; [unrolled: 1-line block ×13, first 2 shown]
	ds_store_b64 v236, v[248:249] offset:488
	ds_load_b64 v[122:123], v235
	s_wait_dscnt 0x0
	v_cmp_neq_f32_e32 vcc_lo, 0, v122
	v_cmp_neq_f32_e64 s1, 0, v123
	s_or_b32 s1, vcc_lo, s1
	s_delay_alu instid0(SALU_CYCLE_1)
	s_and_b32 exec_lo, exec_lo, s1
	s_cbranch_execz .LBB123_314
; %bb.309:
	v_cmp_ngt_f32_e64 s1, |v122|, |v123|
                                        ; implicit-def: $vgpr132_vgpr133
	s_and_saveexec_b32 s4, s1
	s_delay_alu instid0(SALU_CYCLE_1)
	s_xor_b32 s1, exec_lo, s4
	s_cbranch_execz .LBB123_311
; %bb.310:
	v_div_scale_f32 v0, null, v123, v123, v122
	v_div_scale_f32 v133, vcc_lo, v122, v123, v122
	s_delay_alu instid0(VALU_DEP_2) | instskip(SKIP_1) | instid1(TRANS32_DEP_1)
	v_rcp_f32_e32 v1, v0
	v_nop
	v_fma_f32 v132, -v0, v1, 1.0
	s_delay_alu instid0(VALU_DEP_1) | instskip(NEXT) | instid1(VALU_DEP_1)
	v_fmac_f32_e32 v1, v132, v1
	v_mul_f32_e32 v132, v133, v1
	s_delay_alu instid0(VALU_DEP_1) | instskip(NEXT) | instid1(VALU_DEP_1)
	v_fma_f32 v134, -v0, v132, v133
	v_fmac_f32_e32 v132, v134, v1
	s_delay_alu instid0(VALU_DEP_1) | instskip(NEXT) | instid1(VALU_DEP_1)
	v_fma_f32 v0, -v0, v132, v133
	v_div_fmas_f32 v0, v0, v1, v132
	s_delay_alu instid0(VALU_DEP_1) | instskip(NEXT) | instid1(VALU_DEP_1)
	v_div_fixup_f32 v0, v0, v123, v122
	v_fmac_f32_e32 v123, v122, v0
	s_delay_alu instid0(VALU_DEP_1) | instskip(SKIP_1) | instid1(VALU_DEP_2)
	v_div_scale_f32 v1, null, v123, v123, 1.0
	v_div_scale_f32 v133, vcc_lo, 1.0, v123, 1.0
	v_rcp_f32_e32 v122, v1
	v_nop
	s_delay_alu instid0(TRANS32_DEP_1) | instskip(NEXT) | instid1(VALU_DEP_1)
	v_fma_f32 v132, -v1, v122, 1.0
	v_fmac_f32_e32 v122, v132, v122
	s_delay_alu instid0(VALU_DEP_1) | instskip(NEXT) | instid1(VALU_DEP_1)
	v_mul_f32_e32 v132, v133, v122
	v_fma_f32 v134, -v1, v132, v133
	s_delay_alu instid0(VALU_DEP_1) | instskip(NEXT) | instid1(VALU_DEP_1)
	v_fmac_f32_e32 v132, v134, v122
	v_fma_f32 v1, -v1, v132, v133
	s_delay_alu instid0(VALU_DEP_1) | instskip(NEXT) | instid1(VALU_DEP_1)
	v_div_fmas_f32 v1, v1, v122, v132
	v_div_fixup_f32 v1, v1, v123, 1.0
                                        ; implicit-def: $vgpr122_vgpr123
	s_delay_alu instid0(VALU_DEP_1)
	v_mul_f32_e32 v132, v0, v1
	v_xor_b32_e32 v133, 0x80000000, v1
.LBB123_311:
	s_and_not1_saveexec_b32 s1, s1
	s_cbranch_execz .LBB123_313
; %bb.312:
	v_div_scale_f32 v0, null, v122, v122, v123
	v_div_scale_f32 v133, vcc_lo, v123, v122, v123
	s_delay_alu instid0(VALU_DEP_2) | instskip(SKIP_1) | instid1(TRANS32_DEP_1)
	v_rcp_f32_e32 v1, v0
	v_nop
	v_fma_f32 v132, -v0, v1, 1.0
	s_delay_alu instid0(VALU_DEP_1) | instskip(NEXT) | instid1(VALU_DEP_1)
	v_fmac_f32_e32 v1, v132, v1
	v_mul_f32_e32 v132, v133, v1
	s_delay_alu instid0(VALU_DEP_1) | instskip(NEXT) | instid1(VALU_DEP_1)
	v_fma_f32 v134, -v0, v132, v133
	v_fmac_f32_e32 v132, v134, v1
	s_delay_alu instid0(VALU_DEP_1) | instskip(NEXT) | instid1(VALU_DEP_1)
	v_fma_f32 v0, -v0, v132, v133
	v_div_fmas_f32 v0, v0, v1, v132
	s_delay_alu instid0(VALU_DEP_1) | instskip(NEXT) | instid1(VALU_DEP_1)
	v_div_fixup_f32 v0, v0, v122, v123
	v_fmac_f32_e32 v122, v123, v0
	s_delay_alu instid0(VALU_DEP_1) | instskip(NEXT) | instid1(VALU_DEP_1)
	v_div_scale_f32 v1, null, v122, v122, 1.0
	v_rcp_f32_e32 v123, v1
	v_nop
	s_delay_alu instid0(TRANS32_DEP_1) | instskip(NEXT) | instid1(VALU_DEP_1)
	v_fma_f32 v132, -v1, v123, 1.0
	v_fmac_f32_e32 v123, v132, v123
	v_div_scale_f32 v132, vcc_lo, 1.0, v122, 1.0
	s_delay_alu instid0(VALU_DEP_1) | instskip(NEXT) | instid1(VALU_DEP_1)
	v_mul_f32_e32 v133, v132, v123
	v_fma_f32 v134, -v1, v133, v132
	s_delay_alu instid0(VALU_DEP_1) | instskip(NEXT) | instid1(VALU_DEP_1)
	v_fmac_f32_e32 v133, v134, v123
	v_fma_f32 v1, -v1, v133, v132
	s_delay_alu instid0(VALU_DEP_1) | instskip(NEXT) | instid1(VALU_DEP_1)
	v_div_fmas_f32 v1, v1, v123, v133
	v_div_fixup_f32 v132, v1, v122, 1.0
	s_delay_alu instid0(VALU_DEP_1)
	v_mul_f32_e64 v133, v0, -v132
.LBB123_313:
	s_or_b32 exec_lo, exec_lo, s1
	ds_store_b64 v235, v[132:133]
.LBB123_314:
	s_or_b32 exec_lo, exec_lo, s2
	s_wait_dscnt 0x0
	s_barrier_signal -1
	s_barrier_wait -1
	ds_load_b64 v[122:123], v235
	s_mov_b32 s1, exec_lo
	v_cmpx_lt_u32_e32 34, v234
	s_cbranch_execz .LBB123_316
; %bb.315:
	ds_load_2addr_b64 v[136:139], v236 offset0:35 offset1:36
	s_wait_dscnt 0x1
	v_pk_mul_f32 v[134:135], v[122:123], v[144:145] op_sel:[1,1] op_sel_hi:[0,1]
	s_delay_alu instid0(VALU_DEP_1) | instskip(SKIP_1) | instid1(VALU_DEP_1)
	v_pk_fma_f32 v[132:133], v[122:123], v[144:145], v[134:135] op_sel_hi:[1,0,1] neg_lo:[0,0,1] neg_hi:[0,0,1]
	v_pk_fma_f32 v[134:135], v[122:123], v[144:145], v[134:135] op_sel_hi:[1,0,1]
	v_dual_mov_b32 v144, v132 :: v_dual_mov_b32 v145, v135
	s_wait_dscnt 0x0
	s_delay_alu instid0(VALU_DEP_2) | instskip(NEXT) | instid1(VALU_DEP_1)
	v_pk_mul_f32 v[148:149], v[136:137], v[134:135] op_sel:[0,1]
	v_pk_fma_f32 v[150:151], v[136:137], v[132:133], v[148:149] op_sel:[0,0,1] op_sel_hi:[1,1,0] neg_lo:[0,0,1] neg_hi:[0,0,1]
	v_pk_fma_f32 v[136:137], v[136:137], v[132:133], v[148:149] op_sel:[0,0,1] op_sel_hi:[1,0,0]
	s_delay_alu instid0(VALU_DEP_1) | instskip(SKIP_1) | instid1(VALU_DEP_1)
	v_mov_b32_e32 v151, v137
	v_pk_mul_f32 v[136:137], v[138:139], v[134:135] op_sel:[0,1]
	v_pk_fma_f32 v[148:149], v[138:139], v[132:133], v[136:137] op_sel:[0,0,1] op_sel_hi:[1,1,0] neg_lo:[0,0,1] neg_hi:[0,0,1]
	v_pk_fma_f32 v[136:137], v[138:139], v[132:133], v[136:137] op_sel:[0,0,1] op_sel_hi:[1,0,0]
	s_delay_alu instid0(VALU_DEP_1)
	v_mov_b32_e32 v149, v137
	ds_load_2addr_b64 v[136:139], v236 offset0:37 offset1:38
	v_pk_add_f32 v[140:141], v[140:141], v[150:151] neg_lo:[0,1] neg_hi:[0,1]
	v_pk_add_f32 v[162:163], v[162:163], v[148:149] neg_lo:[0,1] neg_hi:[0,1]
	s_wait_dscnt 0x0
	v_pk_mul_f32 v[148:149], v[136:137], v[134:135] op_sel:[0,1]
	s_delay_alu instid0(VALU_DEP_1) | instskip(SKIP_2) | instid1(VALU_DEP_2)
	v_pk_fma_f32 v[150:151], v[136:137], v[132:133], v[148:149] op_sel:[0,0,1] op_sel_hi:[1,1,0] neg_lo:[0,0,1] neg_hi:[0,0,1]
	v_pk_fma_f32 v[136:137], v[136:137], v[132:133], v[148:149] op_sel:[0,0,1] op_sel_hi:[1,0,0]
	v_dual_mul_f32 v148, v139, v135 :: v_dual_mov_b32 v136, v139
	v_dual_mov_b32 v151, v137 :: v_dual_mov_b32 v137, v138
	s_delay_alu instid0(VALU_DEP_2) | instskip(SKIP_1) | instid1(VALU_DEP_3)
	v_pk_fma_f32 v[148:149], v[138:139], v[144:145], v[148:149] op_sel_hi:[1,1,0] neg_lo:[0,0,1] neg_hi:[0,0,1]
	v_mul_f32_e32 v138, v139, v132
	v_pk_add_f32 v[158:159], v[158:159], v[150:151] neg_lo:[0,1] neg_hi:[0,1]
	s_delay_alu instid0(VALU_DEP_2) | instskip(NEXT) | instid1(VALU_DEP_1)
	v_pk_fma_f32 v[136:137], v[136:137], v[144:145], v[138:139] op_sel_hi:[1,1,0]
	v_mov_b32_e32 v149, v137
	ds_load_2addr_b64 v[136:139], v236 offset0:39 offset1:40
	v_pk_add_f32 v[160:161], v[160:161], v[148:149] neg_lo:[0,1] neg_hi:[0,1]
	s_wait_dscnt 0x0
	v_pk_mul_f32 v[148:149], v[136:137], v[134:135] op_sel:[0,1]
	s_delay_alu instid0(VALU_DEP_1) | instskip(SKIP_1) | instid1(VALU_DEP_1)
	v_pk_fma_f32 v[150:151], v[136:137], v[132:133], v[148:149] op_sel:[0,0,1] op_sel_hi:[1,1,0] neg_lo:[0,0,1] neg_hi:[0,0,1]
	v_pk_fma_f32 v[136:137], v[136:137], v[132:133], v[148:149] op_sel:[0,0,1] op_sel_hi:[1,0,0]
	v_mov_b32_e32 v151, v137
	v_pk_mul_f32 v[136:137], v[138:139], v[134:135] op_sel:[0,1]
	s_delay_alu instid0(VALU_DEP_1) | instskip(SKIP_1) | instid1(VALU_DEP_1)
	v_pk_fma_f32 v[148:149], v[138:139], v[132:133], v[136:137] op_sel:[0,0,1] op_sel_hi:[1,1,0] neg_lo:[0,0,1] neg_hi:[0,0,1]
	v_pk_fma_f32 v[136:137], v[138:139], v[132:133], v[136:137] op_sel:[0,0,1] op_sel_hi:[1,0,0]
	v_mov_b32_e32 v149, v137
	ds_load_2addr_b64 v[136:139], v236 offset0:41 offset1:42
	v_pk_add_f32 v[156:157], v[156:157], v[150:151] neg_lo:[0,1] neg_hi:[0,1]
	v_pk_add_f32 v[178:179], v[178:179], v[148:149] neg_lo:[0,1] neg_hi:[0,1]
	s_wait_dscnt 0x0
	v_pk_mul_f32 v[148:149], v[136:137], v[134:135] op_sel:[0,1]
	s_delay_alu instid0(VALU_DEP_1) | instskip(SKIP_1) | instid1(VALU_DEP_1)
	v_pk_fma_f32 v[150:151], v[136:137], v[132:133], v[148:149] op_sel:[0,0,1] op_sel_hi:[1,1,0] neg_lo:[0,0,1] neg_hi:[0,0,1]
	v_pk_fma_f32 v[136:137], v[136:137], v[132:133], v[148:149] op_sel:[0,0,1] op_sel_hi:[1,0,0]
	v_mov_b32_e32 v151, v137
	v_pk_mul_f32 v[136:137], v[138:139], v[134:135] op_sel:[0,1]
	s_delay_alu instid0(VALU_DEP_1) | instskip(SKIP_1) | instid1(VALU_DEP_1)
	v_pk_fma_f32 v[148:149], v[138:139], v[132:133], v[136:137] op_sel:[0,0,1] op_sel_hi:[1,1,0] neg_lo:[0,0,1] neg_hi:[0,0,1]
	v_pk_fma_f32 v[136:137], v[138:139], v[132:133], v[136:137] op_sel:[0,0,1] op_sel_hi:[1,0,0]
	v_mov_b32_e32 v149, v137
	ds_load_2addr_b64 v[136:139], v236 offset0:43 offset1:44
	v_pk_add_f32 v[174:175], v[174:175], v[150:151] neg_lo:[0,1] neg_hi:[0,1]
	v_pk_add_f32 v[176:177], v[176:177], v[148:149] neg_lo:[0,1] neg_hi:[0,1]
	s_wait_dscnt 0x0
	v_dual_mul_f32 v148, v137, v135 :: v_dual_mul_f32 v150, v137, v132
	s_delay_alu instid0(VALU_DEP_1) | instskip(NEXT) | instid1(VALU_DEP_2)
	v_pk_fma_f32 v[148:149], v[136:137], v[144:145], v[148:149] op_sel_hi:[1,1,0] neg_lo:[0,0,1] neg_hi:[0,0,1]
	v_pk_fma_f32 v[136:137], v[136:137], v[144:145], v[150:151] op_sel:[1,0,0] op_sel_hi:[0,1,0]
	s_delay_alu instid0(VALU_DEP_1) | instskip(SKIP_1) | instid1(VALU_DEP_2)
	v_mov_b32_e32 v149, v137
	v_pk_mul_f32 v[136:137], v[138:139], v[134:135] op_sel:[0,1]
	v_pk_add_f32 v[172:173], v[172:173], v[148:149] neg_lo:[0,1] neg_hi:[0,1]
	s_delay_alu instid0(VALU_DEP_2) | instskip(SKIP_1) | instid1(VALU_DEP_1)
	v_pk_fma_f32 v[148:149], v[138:139], v[132:133], v[136:137] op_sel:[0,0,1] op_sel_hi:[1,1,0] neg_lo:[0,0,1] neg_hi:[0,0,1]
	v_pk_fma_f32 v[136:137], v[138:139], v[132:133], v[136:137] op_sel:[0,0,1] op_sel_hi:[1,0,0]
	v_mov_b32_e32 v149, v137
	ds_load_2addr_b64 v[136:139], v236 offset0:45 offset1:46
	v_pk_add_f32 v[194:195], v[194:195], v[148:149] neg_lo:[0,1] neg_hi:[0,1]
	s_wait_dscnt 0x0
	v_pk_mul_f32 v[148:149], v[136:137], v[134:135] op_sel:[0,1]
	s_delay_alu instid0(VALU_DEP_1) | instskip(SKIP_1) | instid1(VALU_DEP_1)
	v_pk_fma_f32 v[150:151], v[136:137], v[132:133], v[148:149] op_sel:[0,0,1] op_sel_hi:[1,1,0] neg_lo:[0,0,1] neg_hi:[0,0,1]
	v_pk_fma_f32 v[136:137], v[136:137], v[132:133], v[148:149] op_sel:[0,0,1] op_sel_hi:[1,0,0]
	v_mov_b32_e32 v151, v137
	v_pk_mul_f32 v[136:137], v[138:139], v[134:135] op_sel:[0,1]
	s_delay_alu instid0(VALU_DEP_2) | instskip(NEXT) | instid1(VALU_DEP_2)
	v_pk_add_f32 v[190:191], v[190:191], v[150:151] neg_lo:[0,1] neg_hi:[0,1]
	v_pk_fma_f32 v[148:149], v[138:139], v[132:133], v[136:137] op_sel:[0,0,1] op_sel_hi:[1,1,0] neg_lo:[0,0,1] neg_hi:[0,0,1]
	v_pk_fma_f32 v[136:137], v[138:139], v[132:133], v[136:137] op_sel:[0,0,1] op_sel_hi:[1,0,0]
	s_delay_alu instid0(VALU_DEP_1) | instskip(SKIP_4) | instid1(VALU_DEP_1)
	v_mov_b32_e32 v149, v137
	ds_load_2addr_b64 v[136:139], v236 offset0:47 offset1:48
	v_pk_add_f32 v[192:193], v[192:193], v[148:149] neg_lo:[0,1] neg_hi:[0,1]
	s_wait_dscnt 0x0
	v_pk_mul_f32 v[148:149], v[136:137], v[134:135] op_sel:[0,1]
	v_pk_fma_f32 v[150:151], v[136:137], v[132:133], v[148:149] op_sel:[0,0,1] op_sel_hi:[1,1,0] neg_lo:[0,0,1] neg_hi:[0,0,1]
	v_pk_fma_f32 v[136:137], v[136:137], v[132:133], v[148:149] op_sel:[0,0,1] op_sel_hi:[1,0,0]
	v_dual_mul_f32 v148, v139, v135 :: v_dual_mov_b32 v136, v139
	s_delay_alu instid0(VALU_DEP_2) | instskip(NEXT) | instid1(VALU_DEP_2)
	v_dual_mov_b32 v151, v137 :: v_dual_mov_b32 v137, v138
	v_pk_fma_f32 v[148:149], v[138:139], v[144:145], v[148:149] op_sel_hi:[1,1,0] neg_lo:[0,0,1] neg_hi:[0,0,1]
	v_mul_f32_e32 v138, v139, v132
	s_delay_alu instid0(VALU_DEP_3) | instskip(NEXT) | instid1(VALU_DEP_2)
	v_pk_add_f32 v[188:189], v[188:189], v[150:151] neg_lo:[0,1] neg_hi:[0,1]
	v_pk_fma_f32 v[136:137], v[136:137], v[144:145], v[138:139] op_sel_hi:[1,1,0]
	s_delay_alu instid0(VALU_DEP_1) | instskip(SKIP_4) | instid1(VALU_DEP_1)
	v_mov_b32_e32 v149, v137
	ds_load_2addr_b64 v[136:139], v236 offset0:49 offset1:50
	v_pk_add_f32 v[210:211], v[210:211], v[148:149] neg_lo:[0,1] neg_hi:[0,1]
	s_wait_dscnt 0x0
	v_pk_mul_f32 v[148:149], v[136:137], v[134:135] op_sel:[0,1]
	v_pk_fma_f32 v[150:151], v[136:137], v[132:133], v[148:149] op_sel:[0,0,1] op_sel_hi:[1,1,0] neg_lo:[0,0,1] neg_hi:[0,0,1]
	v_pk_fma_f32 v[136:137], v[136:137], v[132:133], v[148:149] op_sel:[0,0,1] op_sel_hi:[1,0,0]
	s_delay_alu instid0(VALU_DEP_1) | instskip(SKIP_1) | instid1(VALU_DEP_1)
	v_mov_b32_e32 v151, v137
	v_pk_mul_f32 v[136:137], v[138:139], v[134:135] op_sel:[0,1]
	v_pk_fma_f32 v[148:149], v[138:139], v[132:133], v[136:137] op_sel:[0,0,1] op_sel_hi:[1,1,0] neg_lo:[0,0,1] neg_hi:[0,0,1]
	v_pk_fma_f32 v[136:137], v[138:139], v[132:133], v[136:137] op_sel:[0,0,1] op_sel_hi:[1,0,0]
	s_delay_alu instid0(VALU_DEP_1)
	v_mov_b32_e32 v149, v137
	ds_load_2addr_b64 v[136:139], v236 offset0:51 offset1:52
	v_pk_add_f32 v[206:207], v[206:207], v[150:151] neg_lo:[0,1] neg_hi:[0,1]
	v_pk_add_f32 v[208:209], v[208:209], v[148:149] neg_lo:[0,1] neg_hi:[0,1]
	s_wait_dscnt 0x0
	v_pk_mul_f32 v[148:149], v[136:137], v[134:135] op_sel:[0,1]
	s_delay_alu instid0(VALU_DEP_1) | instskip(SKIP_1) | instid1(VALU_DEP_1)
	v_pk_fma_f32 v[150:151], v[136:137], v[132:133], v[148:149] op_sel:[0,0,1] op_sel_hi:[1,1,0] neg_lo:[0,0,1] neg_hi:[0,0,1]
	v_pk_fma_f32 v[136:137], v[136:137], v[132:133], v[148:149] op_sel:[0,0,1] op_sel_hi:[1,0,0]
	v_mov_b32_e32 v151, v137
	v_pk_mul_f32 v[136:137], v[138:139], v[134:135] op_sel:[0,1]
	s_delay_alu instid0(VALU_DEP_1) | instskip(SKIP_1) | instid1(VALU_DEP_1)
	v_pk_fma_f32 v[148:149], v[138:139], v[132:133], v[136:137] op_sel:[0,0,1] op_sel_hi:[1,1,0] neg_lo:[0,0,1] neg_hi:[0,0,1]
	v_pk_fma_f32 v[136:137], v[138:139], v[132:133], v[136:137] op_sel:[0,0,1] op_sel_hi:[1,0,0]
	v_mov_b32_e32 v149, v137
	ds_load_2addr_b64 v[136:139], v236 offset0:53 offset1:54
	v_pk_add_f32 v[204:205], v[204:205], v[150:151] neg_lo:[0,1] neg_hi:[0,1]
	v_pk_add_f32 v[228:229], v[228:229], v[148:149] neg_lo:[0,1] neg_hi:[0,1]
	s_wait_dscnt 0x0
	v_dual_mul_f32 v148, v137, v135 :: v_dual_mul_f32 v150, v137, v132
	s_delay_alu instid0(VALU_DEP_1) | instskip(NEXT) | instid1(VALU_DEP_2)
	v_pk_fma_f32 v[148:149], v[136:137], v[144:145], v[148:149] op_sel_hi:[1,1,0] neg_lo:[0,0,1] neg_hi:[0,0,1]
	v_pk_fma_f32 v[136:137], v[136:137], v[144:145], v[150:151] op_sel:[1,0,0] op_sel_hi:[0,1,0]
	s_delay_alu instid0(VALU_DEP_1) | instskip(SKIP_1) | instid1(VALU_DEP_2)
	v_mov_b32_e32 v149, v137
	v_pk_mul_f32 v[136:137], v[138:139], v[134:135] op_sel:[0,1]
	v_pk_add_f32 v[224:225], v[224:225], v[148:149] neg_lo:[0,1] neg_hi:[0,1]
	s_delay_alu instid0(VALU_DEP_2) | instskip(SKIP_1) | instid1(VALU_DEP_1)
	v_pk_fma_f32 v[148:149], v[138:139], v[132:133], v[136:137] op_sel:[0,0,1] op_sel_hi:[1,1,0] neg_lo:[0,0,1] neg_hi:[0,0,1]
	v_pk_fma_f32 v[136:137], v[138:139], v[132:133], v[136:137] op_sel:[0,0,1] op_sel_hi:[1,0,0]
	v_mov_b32_e32 v149, v137
	ds_load_2addr_b64 v[136:139], v236 offset0:55 offset1:56
	v_pk_add_f32 v[226:227], v[226:227], v[148:149] neg_lo:[0,1] neg_hi:[0,1]
	s_wait_dscnt 0x0
	v_pk_mul_f32 v[148:149], v[136:137], v[134:135] op_sel:[0,1]
	s_delay_alu instid0(VALU_DEP_1) | instskip(SKIP_1) | instid1(VALU_DEP_1)
	v_pk_fma_f32 v[150:151], v[136:137], v[132:133], v[148:149] op_sel:[0,0,1] op_sel_hi:[1,1,0] neg_lo:[0,0,1] neg_hi:[0,0,1]
	v_pk_fma_f32 v[136:137], v[136:137], v[132:133], v[148:149] op_sel:[0,0,1] op_sel_hi:[1,0,0]
	v_mov_b32_e32 v151, v137
	v_pk_mul_f32 v[136:137], v[138:139], v[134:135] op_sel:[0,1]
	s_delay_alu instid0(VALU_DEP_2) | instskip(NEXT) | instid1(VALU_DEP_2)
	v_pk_add_f32 v[222:223], v[222:223], v[150:151] neg_lo:[0,1] neg_hi:[0,1]
	v_pk_fma_f32 v[148:149], v[138:139], v[132:133], v[136:137] op_sel:[0,0,1] op_sel_hi:[1,1,0] neg_lo:[0,0,1] neg_hi:[0,0,1]
	v_pk_fma_f32 v[136:137], v[138:139], v[132:133], v[136:137] op_sel:[0,0,1] op_sel_hi:[1,0,0]
	s_delay_alu instid0(VALU_DEP_1) | instskip(SKIP_4) | instid1(VALU_DEP_1)
	v_mov_b32_e32 v149, v137
	ds_load_2addr_b64 v[136:139], v236 offset0:57 offset1:58
	v_pk_add_f32 v[244:245], v[244:245], v[148:149] neg_lo:[0,1] neg_hi:[0,1]
	s_wait_dscnt 0x0
	v_pk_mul_f32 v[148:149], v[136:137], v[134:135] op_sel:[0,1]
	v_pk_fma_f32 v[150:151], v[136:137], v[132:133], v[148:149] op_sel:[0,0,1] op_sel_hi:[1,1,0] neg_lo:[0,0,1] neg_hi:[0,0,1]
	v_pk_fma_f32 v[136:137], v[136:137], v[132:133], v[148:149] op_sel:[0,0,1] op_sel_hi:[1,0,0]
	v_dual_mul_f32 v148, v139, v135 :: v_dual_mov_b32 v136, v139
	s_delay_alu instid0(VALU_DEP_2) | instskip(NEXT) | instid1(VALU_DEP_2)
	v_dual_mov_b32 v151, v137 :: v_dual_mov_b32 v137, v138
	v_pk_fma_f32 v[148:149], v[138:139], v[144:145], v[148:149] op_sel_hi:[1,1,0] neg_lo:[0,0,1] neg_hi:[0,0,1]
	v_mul_f32_e32 v138, v139, v132
	s_delay_alu instid0(VALU_DEP_3) | instskip(NEXT) | instid1(VALU_DEP_2)
	v_pk_add_f32 v[240:241], v[240:241], v[150:151] neg_lo:[0,1] neg_hi:[0,1]
	v_pk_fma_f32 v[136:137], v[136:137], v[144:145], v[138:139] op_sel_hi:[1,1,0]
	s_delay_alu instid0(VALU_DEP_1) | instskip(SKIP_4) | instid1(VALU_DEP_1)
	v_mov_b32_e32 v149, v137
	ds_load_2addr_b64 v[136:139], v236 offset0:59 offset1:60
	v_pk_add_f32 v[242:243], v[242:243], v[148:149] neg_lo:[0,1] neg_hi:[0,1]
	s_wait_dscnt 0x0
	v_pk_mul_f32 v[148:149], v[136:137], v[134:135] op_sel:[0,1]
	v_pk_fma_f32 v[150:151], v[136:137], v[132:133], v[148:149] op_sel:[0,0,1] op_sel_hi:[1,1,0] neg_lo:[0,0,1] neg_hi:[0,0,1]
	v_pk_fma_f32 v[136:137], v[136:137], v[132:133], v[148:149] op_sel:[0,0,1] op_sel_hi:[1,0,0]
	s_delay_alu instid0(VALU_DEP_1) | instskip(SKIP_1) | instid1(VALU_DEP_1)
	v_mov_b32_e32 v151, v137
	v_pk_mul_f32 v[136:137], v[138:139], v[134:135] op_sel:[0,1]
	v_pk_fma_f32 v[148:149], v[138:139], v[132:133], v[136:137] op_sel:[0,0,1] op_sel_hi:[1,1,0] neg_lo:[0,0,1] neg_hi:[0,0,1]
	v_pk_fma_f32 v[136:137], v[138:139], v[132:133], v[136:137] op_sel:[0,0,1] op_sel_hi:[1,0,0]
	s_delay_alu instid0(VALU_DEP_1)
	v_mov_b32_e32 v149, v137
	ds_load_b64 v[136:137], v236 offset:488
	v_pk_add_f32 v[238:239], v[238:239], v[150:151] neg_lo:[0,1] neg_hi:[0,1]
	v_pk_add_f32 v[246:247], v[246:247], v[148:149] neg_lo:[0,1] neg_hi:[0,1]
	s_wait_dscnt 0x0
	v_pk_mul_f32 v[134:135], v[136:137], v[134:135] op_sel:[0,1]
	s_delay_alu instid0(VALU_DEP_1) | instskip(SKIP_1) | instid1(VALU_DEP_1)
	v_pk_fma_f32 v[138:139], v[136:137], v[132:133], v[134:135] op_sel:[0,0,1] op_sel_hi:[1,1,0] neg_lo:[0,0,1] neg_hi:[0,0,1]
	v_pk_fma_f32 v[132:133], v[136:137], v[132:133], v[134:135] op_sel:[0,0,1] op_sel_hi:[1,0,0]
	v_mov_b32_e32 v139, v133
	s_delay_alu instid0(VALU_DEP_1)
	v_pk_add_f32 v[248:249], v[248:249], v[138:139] neg_lo:[0,1] neg_hi:[0,1]
.LBB123_316:
	s_or_b32 exec_lo, exec_lo, s1
	s_delay_alu instid0(SALU_CYCLE_1)
	s_mov_b32 s2, exec_lo
	s_wait_dscnt 0x0
	s_barrier_signal -1
	s_barrier_wait -1
	v_cmpx_eq_u32_e32 35, v234
	s_cbranch_execz .LBB123_323
; %bb.317:
	v_dual_mov_b32 v132, v162 :: v_dual_mov_b32 v133, v163
	v_dual_mov_b32 v134, v158 :: v_dual_mov_b32 v135, v159
	ds_store_b64 v235, v[140:141]
	ds_store_2addr_b64 v236, v[132:133], v[134:135] offset0:36 offset1:37
	v_dual_mov_b32 v132, v160 :: v_dual_mov_b32 v133, v161
	v_dual_mov_b32 v134, v156 :: v_dual_mov_b32 v135, v157
	ds_store_2addr_b64 v236, v[132:133], v[134:135] offset0:38 offset1:39
	v_dual_mov_b32 v132, v178 :: v_dual_mov_b32 v133, v179
	v_dual_mov_b32 v134, v174 :: v_dual_mov_b32 v135, v175
	;; [unrolled: 3-line block ×11, first 2 shown]
	ds_store_2addr_b64 v236, v[132:133], v[134:135] offset0:58 offset1:59
	v_dual_mov_b32 v132, v246 :: v_dual_mov_b32 v133, v247
	ds_store_2addr_b64 v236, v[132:133], v[248:249] offset0:60 offset1:61
	ds_load_b64 v[132:133], v235
	s_wait_dscnt 0x0
	v_cmp_neq_f32_e32 vcc_lo, 0, v132
	v_cmp_neq_f32_e64 s1, 0, v133
	s_or_b32 s1, vcc_lo, s1
	s_delay_alu instid0(SALU_CYCLE_1)
	s_and_b32 exec_lo, exec_lo, s1
	s_cbranch_execz .LBB123_323
; %bb.318:
	v_cmp_ngt_f32_e64 s1, |v132|, |v133|
                                        ; implicit-def: $vgpr134_vgpr135
	s_and_saveexec_b32 s4, s1
	s_delay_alu instid0(SALU_CYCLE_1)
	s_xor_b32 s1, exec_lo, s4
	s_cbranch_execz .LBB123_320
; %bb.319:
	v_div_scale_f32 v0, null, v133, v133, v132
	v_div_scale_f32 v135, vcc_lo, v132, v133, v132
	s_delay_alu instid0(VALU_DEP_2) | instskip(SKIP_1) | instid1(TRANS32_DEP_1)
	v_rcp_f32_e32 v1, v0
	v_nop
	v_fma_f32 v134, -v0, v1, 1.0
	s_delay_alu instid0(VALU_DEP_1) | instskip(NEXT) | instid1(VALU_DEP_1)
	v_fmac_f32_e32 v1, v134, v1
	v_mul_f32_e32 v134, v135, v1
	s_delay_alu instid0(VALU_DEP_1) | instskip(NEXT) | instid1(VALU_DEP_1)
	v_fma_f32 v136, -v0, v134, v135
	v_fmac_f32_e32 v134, v136, v1
	s_delay_alu instid0(VALU_DEP_1) | instskip(NEXT) | instid1(VALU_DEP_1)
	v_fma_f32 v0, -v0, v134, v135
	v_div_fmas_f32 v0, v0, v1, v134
	s_delay_alu instid0(VALU_DEP_1) | instskip(NEXT) | instid1(VALU_DEP_1)
	v_div_fixup_f32 v0, v0, v133, v132
	v_fmac_f32_e32 v133, v132, v0
	s_delay_alu instid0(VALU_DEP_1) | instskip(SKIP_1) | instid1(VALU_DEP_2)
	v_div_scale_f32 v1, null, v133, v133, 1.0
	v_div_scale_f32 v135, vcc_lo, 1.0, v133, 1.0
	v_rcp_f32_e32 v132, v1
	v_nop
	s_delay_alu instid0(TRANS32_DEP_1) | instskip(NEXT) | instid1(VALU_DEP_1)
	v_fma_f32 v134, -v1, v132, 1.0
	v_fmac_f32_e32 v132, v134, v132
	s_delay_alu instid0(VALU_DEP_1) | instskip(NEXT) | instid1(VALU_DEP_1)
	v_mul_f32_e32 v134, v135, v132
	v_fma_f32 v136, -v1, v134, v135
	s_delay_alu instid0(VALU_DEP_1) | instskip(NEXT) | instid1(VALU_DEP_1)
	v_fmac_f32_e32 v134, v136, v132
	v_fma_f32 v1, -v1, v134, v135
	s_delay_alu instid0(VALU_DEP_1) | instskip(NEXT) | instid1(VALU_DEP_1)
	v_div_fmas_f32 v1, v1, v132, v134
	v_div_fixup_f32 v1, v1, v133, 1.0
                                        ; implicit-def: $vgpr132_vgpr133
	s_delay_alu instid0(VALU_DEP_1)
	v_mul_f32_e32 v134, v0, v1
	v_xor_b32_e32 v135, 0x80000000, v1
.LBB123_320:
	s_and_not1_saveexec_b32 s1, s1
	s_cbranch_execz .LBB123_322
; %bb.321:
	v_div_scale_f32 v0, null, v132, v132, v133
	v_div_scale_f32 v135, vcc_lo, v133, v132, v133
	s_delay_alu instid0(VALU_DEP_2) | instskip(SKIP_1) | instid1(TRANS32_DEP_1)
	v_rcp_f32_e32 v1, v0
	v_nop
	v_fma_f32 v134, -v0, v1, 1.0
	s_delay_alu instid0(VALU_DEP_1) | instskip(NEXT) | instid1(VALU_DEP_1)
	v_fmac_f32_e32 v1, v134, v1
	v_mul_f32_e32 v134, v135, v1
	s_delay_alu instid0(VALU_DEP_1) | instskip(NEXT) | instid1(VALU_DEP_1)
	v_fma_f32 v136, -v0, v134, v135
	v_fmac_f32_e32 v134, v136, v1
	s_delay_alu instid0(VALU_DEP_1) | instskip(NEXT) | instid1(VALU_DEP_1)
	v_fma_f32 v0, -v0, v134, v135
	v_div_fmas_f32 v0, v0, v1, v134
	s_delay_alu instid0(VALU_DEP_1) | instskip(NEXT) | instid1(VALU_DEP_1)
	v_div_fixup_f32 v0, v0, v132, v133
	v_fmac_f32_e32 v132, v133, v0
	s_delay_alu instid0(VALU_DEP_1) | instskip(NEXT) | instid1(VALU_DEP_1)
	v_div_scale_f32 v1, null, v132, v132, 1.0
	v_rcp_f32_e32 v133, v1
	v_nop
	s_delay_alu instid0(TRANS32_DEP_1) | instskip(NEXT) | instid1(VALU_DEP_1)
	v_fma_f32 v134, -v1, v133, 1.0
	v_fmac_f32_e32 v133, v134, v133
	v_div_scale_f32 v134, vcc_lo, 1.0, v132, 1.0
	s_delay_alu instid0(VALU_DEP_1) | instskip(NEXT) | instid1(VALU_DEP_1)
	v_mul_f32_e32 v135, v134, v133
	v_fma_f32 v136, -v1, v135, v134
	s_delay_alu instid0(VALU_DEP_1) | instskip(NEXT) | instid1(VALU_DEP_1)
	v_fmac_f32_e32 v135, v136, v133
	v_fma_f32 v1, -v1, v135, v134
	s_delay_alu instid0(VALU_DEP_1) | instskip(NEXT) | instid1(VALU_DEP_1)
	v_div_fmas_f32 v1, v1, v133, v135
	v_div_fixup_f32 v134, v1, v132, 1.0
	s_delay_alu instid0(VALU_DEP_1)
	v_mul_f32_e64 v135, v0, -v134
.LBB123_322:
	s_or_b32 exec_lo, exec_lo, s1
	ds_store_b64 v235, v[134:135]
.LBB123_323:
	s_or_b32 exec_lo, exec_lo, s2
	s_wait_dscnt 0x0
	s_barrier_signal -1
	s_barrier_wait -1
	ds_load_b64 v[132:133], v235
	s_mov_b32 s1, exec_lo
	v_cmpx_lt_u32_e32 35, v234
	s_cbranch_execz .LBB123_325
; %bb.324:
	ds_load_2addr_b64 v[148:151], v236 offset0:36 offset1:37
	s_wait_dscnt 0x1
	v_pk_mul_f32 v[136:137], v[132:133], v[140:141] op_sel:[1,1] op_sel_hi:[0,1]
	s_delay_alu instid0(VALU_DEP_1) | instskip(SKIP_1) | instid1(VALU_DEP_1)
	v_pk_fma_f32 v[134:135], v[132:133], v[140:141], v[136:137] op_sel_hi:[1,0,1] neg_lo:[0,0,1] neg_hi:[0,0,1]
	v_pk_fma_f32 v[136:137], v[132:133], v[140:141], v[136:137] op_sel_hi:[1,0,1]
	v_dual_mov_b32 v140, v134 :: v_dual_mov_b32 v141, v137
	s_wait_dscnt 0x0
	s_delay_alu instid0(VALU_DEP_2) | instskip(NEXT) | instid1(VALU_DEP_1)
	v_pk_mul_f32 v[138:139], v[148:149], v[136:137] op_sel:[0,1]
	v_pk_fma_f32 v[152:153], v[148:149], v[134:135], v[138:139] op_sel:[0,0,1] op_sel_hi:[1,1,0] neg_lo:[0,0,1] neg_hi:[0,0,1]
	v_pk_fma_f32 v[138:139], v[148:149], v[134:135], v[138:139] op_sel:[0,0,1] op_sel_hi:[1,0,0]
	s_delay_alu instid0(VALU_DEP_1) | instskip(SKIP_1) | instid1(VALU_DEP_1)
	v_mov_b32_e32 v153, v139
	v_pk_mul_f32 v[138:139], v[150:151], v[136:137] op_sel:[0,1]
	v_pk_fma_f32 v[148:149], v[150:151], v[134:135], v[138:139] op_sel:[0,0,1] op_sel_hi:[1,1,0] neg_lo:[0,0,1] neg_hi:[0,0,1]
	v_pk_fma_f32 v[138:139], v[150:151], v[134:135], v[138:139] op_sel:[0,0,1] op_sel_hi:[1,0,0]
	s_delay_alu instid0(VALU_DEP_1) | instskip(SKIP_1) | instid1(VALU_DEP_2)
	v_mov_b32_e32 v149, v139
	v_pk_add_f32 v[162:163], v[162:163], v[152:153] neg_lo:[0,1] neg_hi:[0,1]
	v_pk_add_f32 v[158:159], v[158:159], v[148:149] neg_lo:[0,1] neg_hi:[0,1]
	ds_load_2addr_b64 v[148:151], v236 offset0:38 offset1:39
	s_wait_dscnt 0x0
	v_pk_mul_f32 v[138:139], v[148:149], v[136:137] op_sel:[0,1]
	s_delay_alu instid0(VALU_DEP_1) | instskip(SKIP_2) | instid1(VALU_DEP_2)
	v_pk_fma_f32 v[152:153], v[148:149], v[134:135], v[138:139] op_sel:[0,0,1] op_sel_hi:[1,1,0] neg_lo:[0,0,1] neg_hi:[0,0,1]
	v_pk_fma_f32 v[138:139], v[148:149], v[134:135], v[138:139] op_sel:[0,0,1] op_sel_hi:[1,0,0]
	v_dual_mul_f32 v148, v151, v137 :: v_dual_mov_b32 v138, v151
	v_dual_mov_b32 v153, v139 :: v_dual_mov_b32 v139, v150
	s_delay_alu instid0(VALU_DEP_2) | instskip(SKIP_1) | instid1(VALU_DEP_3)
	v_pk_fma_f32 v[148:149], v[150:151], v[140:141], v[148:149] op_sel_hi:[1,1,0] neg_lo:[0,0,1] neg_hi:[0,0,1]
	v_mul_f32_e32 v150, v151, v134
	v_pk_add_f32 v[160:161], v[160:161], v[152:153] neg_lo:[0,1] neg_hi:[0,1]
	s_delay_alu instid0(VALU_DEP_2) | instskip(NEXT) | instid1(VALU_DEP_1)
	v_pk_fma_f32 v[138:139], v[138:139], v[140:141], v[150:151] op_sel_hi:[1,1,0]
	v_mov_b32_e32 v149, v139
	s_delay_alu instid0(VALU_DEP_1) | instskip(SKIP_3) | instid1(VALU_DEP_1)
	v_pk_add_f32 v[156:157], v[156:157], v[148:149] neg_lo:[0,1] neg_hi:[0,1]
	ds_load_2addr_b64 v[148:151], v236 offset0:40 offset1:41
	s_wait_dscnt 0x0
	v_pk_mul_f32 v[138:139], v[148:149], v[136:137] op_sel:[0,1]
	v_pk_fma_f32 v[152:153], v[148:149], v[134:135], v[138:139] op_sel:[0,0,1] op_sel_hi:[1,1,0] neg_lo:[0,0,1] neg_hi:[0,0,1]
	v_pk_fma_f32 v[138:139], v[148:149], v[134:135], v[138:139] op_sel:[0,0,1] op_sel_hi:[1,0,0]
	s_delay_alu instid0(VALU_DEP_1) | instskip(SKIP_1) | instid1(VALU_DEP_2)
	v_mov_b32_e32 v153, v139
	v_pk_mul_f32 v[138:139], v[150:151], v[136:137] op_sel:[0,1]
	v_pk_add_f32 v[178:179], v[178:179], v[152:153] neg_lo:[0,1] neg_hi:[0,1]
	s_delay_alu instid0(VALU_DEP_2) | instskip(SKIP_1) | instid1(VALU_DEP_1)
	v_pk_fma_f32 v[148:149], v[150:151], v[134:135], v[138:139] op_sel:[0,0,1] op_sel_hi:[1,1,0] neg_lo:[0,0,1] neg_hi:[0,0,1]
	v_pk_fma_f32 v[138:139], v[150:151], v[134:135], v[138:139] op_sel:[0,0,1] op_sel_hi:[1,0,0]
	v_mov_b32_e32 v149, v139
	s_delay_alu instid0(VALU_DEP_1) | instskip(SKIP_3) | instid1(VALU_DEP_1)
	v_pk_add_f32 v[174:175], v[174:175], v[148:149] neg_lo:[0,1] neg_hi:[0,1]
	ds_load_2addr_b64 v[148:151], v236 offset0:42 offset1:43
	s_wait_dscnt 0x0
	v_pk_mul_f32 v[138:139], v[148:149], v[136:137] op_sel:[0,1]
	v_pk_fma_f32 v[152:153], v[148:149], v[134:135], v[138:139] op_sel:[0,0,1] op_sel_hi:[1,1,0] neg_lo:[0,0,1] neg_hi:[0,0,1]
	v_pk_fma_f32 v[138:139], v[148:149], v[134:135], v[138:139] op_sel:[0,0,1] op_sel_hi:[1,0,0]
	s_delay_alu instid0(VALU_DEP_1) | instskip(SKIP_1) | instid1(VALU_DEP_2)
	v_mov_b32_e32 v153, v139
	v_pk_mul_f32 v[138:139], v[150:151], v[136:137] op_sel:[0,1]
	v_pk_add_f32 v[176:177], v[176:177], v[152:153] neg_lo:[0,1] neg_hi:[0,1]
	s_delay_alu instid0(VALU_DEP_2) | instskip(SKIP_1) | instid1(VALU_DEP_1)
	v_pk_fma_f32 v[148:149], v[150:151], v[134:135], v[138:139] op_sel:[0,0,1] op_sel_hi:[1,1,0] neg_lo:[0,0,1] neg_hi:[0,0,1]
	v_pk_fma_f32 v[138:139], v[150:151], v[134:135], v[138:139] op_sel:[0,0,1] op_sel_hi:[1,0,0]
	v_mov_b32_e32 v149, v139
	s_delay_alu instid0(VALU_DEP_1) | instskip(SKIP_3) | instid1(VALU_DEP_1)
	v_pk_add_f32 v[172:173], v[172:173], v[148:149] neg_lo:[0,1] neg_hi:[0,1]
	ds_load_2addr_b64 v[148:151], v236 offset0:44 offset1:45
	s_wait_dscnt 0x0
	v_dual_mul_f32 v138, v149, v137 :: v_dual_mul_f32 v152, v149, v134
	v_pk_fma_f32 v[138:139], v[148:149], v[140:141], v[138:139] op_sel_hi:[1,1,0] neg_lo:[0,0,1] neg_hi:[0,0,1]
	s_delay_alu instid0(VALU_DEP_2) | instskip(NEXT) | instid1(VALU_DEP_1)
	v_pk_fma_f32 v[148:149], v[148:149], v[140:141], v[152:153] op_sel:[1,0,0] op_sel_hi:[0,1,0]
	v_mov_b32_e32 v139, v149
	s_delay_alu instid0(VALU_DEP_1) | instskip(SKIP_1) | instid1(VALU_DEP_1)
	v_pk_add_f32 v[194:195], v[194:195], v[138:139] neg_lo:[0,1] neg_hi:[0,1]
	v_pk_mul_f32 v[138:139], v[150:151], v[136:137] op_sel:[0,1]
	v_pk_fma_f32 v[148:149], v[150:151], v[134:135], v[138:139] op_sel:[0,0,1] op_sel_hi:[1,1,0] neg_lo:[0,0,1] neg_hi:[0,0,1]
	v_pk_fma_f32 v[138:139], v[150:151], v[134:135], v[138:139] op_sel:[0,0,1] op_sel_hi:[1,0,0]
	s_delay_alu instid0(VALU_DEP_1) | instskip(NEXT) | instid1(VALU_DEP_1)
	v_mov_b32_e32 v149, v139
	v_pk_add_f32 v[190:191], v[190:191], v[148:149] neg_lo:[0,1] neg_hi:[0,1]
	ds_load_2addr_b64 v[148:151], v236 offset0:46 offset1:47
	s_wait_dscnt 0x0
	v_pk_mul_f32 v[138:139], v[148:149], v[136:137] op_sel:[0,1]
	s_delay_alu instid0(VALU_DEP_1) | instskip(SKIP_1) | instid1(VALU_DEP_1)
	v_pk_fma_f32 v[152:153], v[148:149], v[134:135], v[138:139] op_sel:[0,0,1] op_sel_hi:[1,1,0] neg_lo:[0,0,1] neg_hi:[0,0,1]
	v_pk_fma_f32 v[138:139], v[148:149], v[134:135], v[138:139] op_sel:[0,0,1] op_sel_hi:[1,0,0]
	v_mov_b32_e32 v153, v139
	v_pk_mul_f32 v[138:139], v[150:151], v[136:137] op_sel:[0,1]
	s_delay_alu instid0(VALU_DEP_2) | instskip(NEXT) | instid1(VALU_DEP_2)
	v_pk_add_f32 v[192:193], v[192:193], v[152:153] neg_lo:[0,1] neg_hi:[0,1]
	v_pk_fma_f32 v[148:149], v[150:151], v[134:135], v[138:139] op_sel:[0,0,1] op_sel_hi:[1,1,0] neg_lo:[0,0,1] neg_hi:[0,0,1]
	v_pk_fma_f32 v[138:139], v[150:151], v[134:135], v[138:139] op_sel:[0,0,1] op_sel_hi:[1,0,0]
	s_delay_alu instid0(VALU_DEP_1) | instskip(NEXT) | instid1(VALU_DEP_1)
	v_mov_b32_e32 v149, v139
	v_pk_add_f32 v[188:189], v[188:189], v[148:149] neg_lo:[0,1] neg_hi:[0,1]
	ds_load_2addr_b64 v[148:151], v236 offset0:48 offset1:49
	s_wait_dscnt 0x0
	v_pk_mul_f32 v[138:139], v[148:149], v[136:137] op_sel:[0,1]
	s_delay_alu instid0(VALU_DEP_1) | instskip(SKIP_2) | instid1(VALU_DEP_2)
	v_pk_fma_f32 v[152:153], v[148:149], v[134:135], v[138:139] op_sel:[0,0,1] op_sel_hi:[1,1,0] neg_lo:[0,0,1] neg_hi:[0,0,1]
	v_pk_fma_f32 v[138:139], v[148:149], v[134:135], v[138:139] op_sel:[0,0,1] op_sel_hi:[1,0,0]
	v_dual_mul_f32 v148, v151, v137 :: v_dual_mov_b32 v138, v151
	v_dual_mov_b32 v153, v139 :: v_dual_mov_b32 v139, v150
	s_delay_alu instid0(VALU_DEP_2) | instskip(SKIP_1) | instid1(VALU_DEP_3)
	v_pk_fma_f32 v[148:149], v[150:151], v[140:141], v[148:149] op_sel_hi:[1,1,0] neg_lo:[0,0,1] neg_hi:[0,0,1]
	v_mul_f32_e32 v150, v151, v134
	v_pk_add_f32 v[210:211], v[210:211], v[152:153] neg_lo:[0,1] neg_hi:[0,1]
	s_delay_alu instid0(VALU_DEP_2) | instskip(NEXT) | instid1(VALU_DEP_1)
	v_pk_fma_f32 v[138:139], v[138:139], v[140:141], v[150:151] op_sel_hi:[1,1,0]
	v_mov_b32_e32 v149, v139
	s_delay_alu instid0(VALU_DEP_1) | instskip(SKIP_3) | instid1(VALU_DEP_1)
	v_pk_add_f32 v[206:207], v[206:207], v[148:149] neg_lo:[0,1] neg_hi:[0,1]
	ds_load_2addr_b64 v[148:151], v236 offset0:50 offset1:51
	s_wait_dscnt 0x0
	v_pk_mul_f32 v[138:139], v[148:149], v[136:137] op_sel:[0,1]
	v_pk_fma_f32 v[152:153], v[148:149], v[134:135], v[138:139] op_sel:[0,0,1] op_sel_hi:[1,1,0] neg_lo:[0,0,1] neg_hi:[0,0,1]
	v_pk_fma_f32 v[138:139], v[148:149], v[134:135], v[138:139] op_sel:[0,0,1] op_sel_hi:[1,0,0]
	s_delay_alu instid0(VALU_DEP_1) | instskip(SKIP_1) | instid1(VALU_DEP_2)
	v_mov_b32_e32 v153, v139
	v_pk_mul_f32 v[138:139], v[150:151], v[136:137] op_sel:[0,1]
	v_pk_add_f32 v[208:209], v[208:209], v[152:153] neg_lo:[0,1] neg_hi:[0,1]
	s_delay_alu instid0(VALU_DEP_2) | instskip(SKIP_1) | instid1(VALU_DEP_1)
	v_pk_fma_f32 v[148:149], v[150:151], v[134:135], v[138:139] op_sel:[0,0,1] op_sel_hi:[1,1,0] neg_lo:[0,0,1] neg_hi:[0,0,1]
	v_pk_fma_f32 v[138:139], v[150:151], v[134:135], v[138:139] op_sel:[0,0,1] op_sel_hi:[1,0,0]
	v_mov_b32_e32 v149, v139
	s_delay_alu instid0(VALU_DEP_1) | instskip(SKIP_3) | instid1(VALU_DEP_1)
	v_pk_add_f32 v[204:205], v[204:205], v[148:149] neg_lo:[0,1] neg_hi:[0,1]
	ds_load_2addr_b64 v[148:151], v236 offset0:52 offset1:53
	s_wait_dscnt 0x0
	v_pk_mul_f32 v[138:139], v[148:149], v[136:137] op_sel:[0,1]
	v_pk_fma_f32 v[152:153], v[148:149], v[134:135], v[138:139] op_sel:[0,0,1] op_sel_hi:[1,1,0] neg_lo:[0,0,1] neg_hi:[0,0,1]
	v_pk_fma_f32 v[138:139], v[148:149], v[134:135], v[138:139] op_sel:[0,0,1] op_sel_hi:[1,0,0]
	s_delay_alu instid0(VALU_DEP_1) | instskip(SKIP_1) | instid1(VALU_DEP_2)
	v_mov_b32_e32 v153, v139
	v_pk_mul_f32 v[138:139], v[150:151], v[136:137] op_sel:[0,1]
	v_pk_add_f32 v[228:229], v[228:229], v[152:153] neg_lo:[0,1] neg_hi:[0,1]
	s_delay_alu instid0(VALU_DEP_2) | instskip(SKIP_1) | instid1(VALU_DEP_1)
	v_pk_fma_f32 v[148:149], v[150:151], v[134:135], v[138:139] op_sel:[0,0,1] op_sel_hi:[1,1,0] neg_lo:[0,0,1] neg_hi:[0,0,1]
	v_pk_fma_f32 v[138:139], v[150:151], v[134:135], v[138:139] op_sel:[0,0,1] op_sel_hi:[1,0,0]
	v_mov_b32_e32 v149, v139
	s_delay_alu instid0(VALU_DEP_1) | instskip(SKIP_3) | instid1(VALU_DEP_1)
	v_pk_add_f32 v[224:225], v[224:225], v[148:149] neg_lo:[0,1] neg_hi:[0,1]
	ds_load_2addr_b64 v[148:151], v236 offset0:54 offset1:55
	s_wait_dscnt 0x0
	v_dual_mul_f32 v138, v149, v137 :: v_dual_mul_f32 v152, v149, v134
	v_pk_fma_f32 v[138:139], v[148:149], v[140:141], v[138:139] op_sel_hi:[1,1,0] neg_lo:[0,0,1] neg_hi:[0,0,1]
	s_delay_alu instid0(VALU_DEP_2) | instskip(NEXT) | instid1(VALU_DEP_1)
	v_pk_fma_f32 v[148:149], v[148:149], v[140:141], v[152:153] op_sel:[1,0,0] op_sel_hi:[0,1,0]
	v_mov_b32_e32 v139, v149
	s_delay_alu instid0(VALU_DEP_1) | instskip(SKIP_1) | instid1(VALU_DEP_1)
	v_pk_add_f32 v[226:227], v[226:227], v[138:139] neg_lo:[0,1] neg_hi:[0,1]
	v_pk_mul_f32 v[138:139], v[150:151], v[136:137] op_sel:[0,1]
	v_pk_fma_f32 v[148:149], v[150:151], v[134:135], v[138:139] op_sel:[0,0,1] op_sel_hi:[1,1,0] neg_lo:[0,0,1] neg_hi:[0,0,1]
	v_pk_fma_f32 v[138:139], v[150:151], v[134:135], v[138:139] op_sel:[0,0,1] op_sel_hi:[1,0,0]
	s_delay_alu instid0(VALU_DEP_1) | instskip(NEXT) | instid1(VALU_DEP_1)
	v_mov_b32_e32 v149, v139
	v_pk_add_f32 v[222:223], v[222:223], v[148:149] neg_lo:[0,1] neg_hi:[0,1]
	ds_load_2addr_b64 v[148:151], v236 offset0:56 offset1:57
	s_wait_dscnt 0x0
	v_pk_mul_f32 v[138:139], v[148:149], v[136:137] op_sel:[0,1]
	s_delay_alu instid0(VALU_DEP_1) | instskip(SKIP_1) | instid1(VALU_DEP_1)
	v_pk_fma_f32 v[152:153], v[148:149], v[134:135], v[138:139] op_sel:[0,0,1] op_sel_hi:[1,1,0] neg_lo:[0,0,1] neg_hi:[0,0,1]
	v_pk_fma_f32 v[138:139], v[148:149], v[134:135], v[138:139] op_sel:[0,0,1] op_sel_hi:[1,0,0]
	v_mov_b32_e32 v153, v139
	v_pk_mul_f32 v[138:139], v[150:151], v[136:137] op_sel:[0,1]
	s_delay_alu instid0(VALU_DEP_2) | instskip(NEXT) | instid1(VALU_DEP_2)
	v_pk_add_f32 v[244:245], v[244:245], v[152:153] neg_lo:[0,1] neg_hi:[0,1]
	v_pk_fma_f32 v[148:149], v[150:151], v[134:135], v[138:139] op_sel:[0,0,1] op_sel_hi:[1,1,0] neg_lo:[0,0,1] neg_hi:[0,0,1]
	v_pk_fma_f32 v[138:139], v[150:151], v[134:135], v[138:139] op_sel:[0,0,1] op_sel_hi:[1,0,0]
	s_delay_alu instid0(VALU_DEP_1) | instskip(NEXT) | instid1(VALU_DEP_1)
	v_mov_b32_e32 v149, v139
	v_pk_add_f32 v[240:241], v[240:241], v[148:149] neg_lo:[0,1] neg_hi:[0,1]
	ds_load_2addr_b64 v[148:151], v236 offset0:58 offset1:59
	s_wait_dscnt 0x0
	v_pk_mul_f32 v[138:139], v[148:149], v[136:137] op_sel:[0,1]
	s_delay_alu instid0(VALU_DEP_1) | instskip(SKIP_2) | instid1(VALU_DEP_2)
	v_pk_fma_f32 v[152:153], v[148:149], v[134:135], v[138:139] op_sel:[0,0,1] op_sel_hi:[1,1,0] neg_lo:[0,0,1] neg_hi:[0,0,1]
	v_pk_fma_f32 v[138:139], v[148:149], v[134:135], v[138:139] op_sel:[0,0,1] op_sel_hi:[1,0,0]
	v_dual_mul_f32 v148, v151, v137 :: v_dual_mov_b32 v138, v151
	v_dual_mov_b32 v153, v139 :: v_dual_mov_b32 v139, v150
	s_delay_alu instid0(VALU_DEP_2) | instskip(SKIP_1) | instid1(VALU_DEP_3)
	v_pk_fma_f32 v[148:149], v[150:151], v[140:141], v[148:149] op_sel_hi:[1,1,0] neg_lo:[0,0,1] neg_hi:[0,0,1]
	v_mul_f32_e32 v150, v151, v134
	v_pk_add_f32 v[242:243], v[242:243], v[152:153] neg_lo:[0,1] neg_hi:[0,1]
	s_delay_alu instid0(VALU_DEP_2) | instskip(NEXT) | instid1(VALU_DEP_1)
	v_pk_fma_f32 v[138:139], v[138:139], v[140:141], v[150:151] op_sel_hi:[1,1,0]
	v_mov_b32_e32 v149, v139
	s_delay_alu instid0(VALU_DEP_1) | instskip(SKIP_4) | instid1(VALU_DEP_2)
	v_pk_add_f32 v[238:239], v[238:239], v[148:149] neg_lo:[0,1] neg_hi:[0,1]
	ds_load_2addr_b64 v[148:151], v236 offset0:60 offset1:61
	s_wait_dscnt 0x0
	v_pk_mul_f32 v[138:139], v[148:149], v[136:137] op_sel:[0,1]
	v_pk_mul_f32 v[136:137], v[150:151], v[136:137] op_sel:[0,1]
	v_pk_fma_f32 v[152:153], v[148:149], v[134:135], v[138:139] op_sel:[0,0,1] op_sel_hi:[1,1,0] neg_lo:[0,0,1] neg_hi:[0,0,1]
	v_pk_fma_f32 v[138:139], v[148:149], v[134:135], v[138:139] op_sel:[0,0,1] op_sel_hi:[1,0,0]
	s_delay_alu instid0(VALU_DEP_1) | instskip(NEXT) | instid1(VALU_DEP_4)
	v_mov_b32_e32 v153, v139
	v_pk_fma_f32 v[138:139], v[150:151], v[134:135], v[136:137] op_sel:[0,0,1] op_sel_hi:[1,1,0] neg_lo:[0,0,1] neg_hi:[0,0,1]
	v_pk_fma_f32 v[134:135], v[150:151], v[134:135], v[136:137] op_sel:[0,0,1] op_sel_hi:[1,0,0]
	s_delay_alu instid0(VALU_DEP_3) | instskip(NEXT) | instid1(VALU_DEP_2)
	v_pk_add_f32 v[246:247], v[246:247], v[152:153] neg_lo:[0,1] neg_hi:[0,1]
	v_mov_b32_e32 v139, v135
	s_delay_alu instid0(VALU_DEP_1)
	v_pk_add_f32 v[248:249], v[248:249], v[138:139] neg_lo:[0,1] neg_hi:[0,1]
.LBB123_325:
	s_or_b32 exec_lo, exec_lo, s1
	s_delay_alu instid0(SALU_CYCLE_1)
	s_mov_b32 s2, exec_lo
	s_wait_dscnt 0x0
	s_barrier_signal -1
	s_barrier_wait -1
	v_cmpx_eq_u32_e32 36, v234
	s_cbranch_execz .LBB123_332
; %bb.326:
	ds_store_b64 v235, v[162:163]
	ds_store_2addr_b64 v236, v[158:159], v[160:161] offset0:37 offset1:38
	ds_store_2addr_b64 v236, v[156:157], v[178:179] offset0:39 offset1:40
	;; [unrolled: 1-line block ×12, first 2 shown]
	ds_store_b64 v236, v[248:249] offset:488
	ds_load_b64 v[134:135], v235
	s_wait_dscnt 0x0
	v_cmp_neq_f32_e32 vcc_lo, 0, v134
	v_cmp_neq_f32_e64 s1, 0, v135
	s_or_b32 s1, vcc_lo, s1
	s_delay_alu instid0(SALU_CYCLE_1)
	s_and_b32 exec_lo, exec_lo, s1
	s_cbranch_execz .LBB123_332
; %bb.327:
	v_cmp_ngt_f32_e64 s1, |v134|, |v135|
                                        ; implicit-def: $vgpr136_vgpr137
	s_and_saveexec_b32 s4, s1
	s_delay_alu instid0(SALU_CYCLE_1)
	s_xor_b32 s1, exec_lo, s4
	s_cbranch_execz .LBB123_329
; %bb.328:
	v_div_scale_f32 v0, null, v135, v135, v134
	v_div_scale_f32 v137, vcc_lo, v134, v135, v134
	s_delay_alu instid0(VALU_DEP_2) | instskip(SKIP_1) | instid1(TRANS32_DEP_1)
	v_rcp_f32_e32 v1, v0
	v_nop
	v_fma_f32 v136, -v0, v1, 1.0
	s_delay_alu instid0(VALU_DEP_1) | instskip(NEXT) | instid1(VALU_DEP_1)
	v_fmac_f32_e32 v1, v136, v1
	v_mul_f32_e32 v136, v137, v1
	s_delay_alu instid0(VALU_DEP_1) | instskip(NEXT) | instid1(VALU_DEP_1)
	v_fma_f32 v138, -v0, v136, v137
	v_fmac_f32_e32 v136, v138, v1
	s_delay_alu instid0(VALU_DEP_1) | instskip(NEXT) | instid1(VALU_DEP_1)
	v_fma_f32 v0, -v0, v136, v137
	v_div_fmas_f32 v0, v0, v1, v136
	s_delay_alu instid0(VALU_DEP_1) | instskip(NEXT) | instid1(VALU_DEP_1)
	v_div_fixup_f32 v0, v0, v135, v134
	v_fmac_f32_e32 v135, v134, v0
	s_delay_alu instid0(VALU_DEP_1) | instskip(SKIP_1) | instid1(VALU_DEP_2)
	v_div_scale_f32 v1, null, v135, v135, 1.0
	v_div_scale_f32 v137, vcc_lo, 1.0, v135, 1.0
	v_rcp_f32_e32 v134, v1
	v_nop
	s_delay_alu instid0(TRANS32_DEP_1) | instskip(NEXT) | instid1(VALU_DEP_1)
	v_fma_f32 v136, -v1, v134, 1.0
	v_fmac_f32_e32 v134, v136, v134
	s_delay_alu instid0(VALU_DEP_1) | instskip(NEXT) | instid1(VALU_DEP_1)
	v_mul_f32_e32 v136, v137, v134
	v_fma_f32 v138, -v1, v136, v137
	s_delay_alu instid0(VALU_DEP_1) | instskip(NEXT) | instid1(VALU_DEP_1)
	v_fmac_f32_e32 v136, v138, v134
	v_fma_f32 v1, -v1, v136, v137
	s_delay_alu instid0(VALU_DEP_1) | instskip(NEXT) | instid1(VALU_DEP_1)
	v_div_fmas_f32 v1, v1, v134, v136
	v_div_fixup_f32 v1, v1, v135, 1.0
                                        ; implicit-def: $vgpr134_vgpr135
	s_delay_alu instid0(VALU_DEP_1)
	v_mul_f32_e32 v136, v0, v1
	v_xor_b32_e32 v137, 0x80000000, v1
.LBB123_329:
	s_and_not1_saveexec_b32 s1, s1
	s_cbranch_execz .LBB123_331
; %bb.330:
	v_div_scale_f32 v0, null, v134, v134, v135
	v_div_scale_f32 v137, vcc_lo, v135, v134, v135
	s_delay_alu instid0(VALU_DEP_2) | instskip(SKIP_1) | instid1(TRANS32_DEP_1)
	v_rcp_f32_e32 v1, v0
	v_nop
	v_fma_f32 v136, -v0, v1, 1.0
	s_delay_alu instid0(VALU_DEP_1) | instskip(NEXT) | instid1(VALU_DEP_1)
	v_fmac_f32_e32 v1, v136, v1
	v_mul_f32_e32 v136, v137, v1
	s_delay_alu instid0(VALU_DEP_1) | instskip(NEXT) | instid1(VALU_DEP_1)
	v_fma_f32 v138, -v0, v136, v137
	v_fmac_f32_e32 v136, v138, v1
	s_delay_alu instid0(VALU_DEP_1) | instskip(NEXT) | instid1(VALU_DEP_1)
	v_fma_f32 v0, -v0, v136, v137
	v_div_fmas_f32 v0, v0, v1, v136
	s_delay_alu instid0(VALU_DEP_1) | instskip(NEXT) | instid1(VALU_DEP_1)
	v_div_fixup_f32 v0, v0, v134, v135
	v_fmac_f32_e32 v134, v135, v0
	s_delay_alu instid0(VALU_DEP_1) | instskip(NEXT) | instid1(VALU_DEP_1)
	v_div_scale_f32 v1, null, v134, v134, 1.0
	v_rcp_f32_e32 v135, v1
	v_nop
	s_delay_alu instid0(TRANS32_DEP_1) | instskip(NEXT) | instid1(VALU_DEP_1)
	v_fma_f32 v136, -v1, v135, 1.0
	v_fmac_f32_e32 v135, v136, v135
	v_div_scale_f32 v136, vcc_lo, 1.0, v134, 1.0
	s_delay_alu instid0(VALU_DEP_1) | instskip(NEXT) | instid1(VALU_DEP_1)
	v_mul_f32_e32 v137, v136, v135
	v_fma_f32 v138, -v1, v137, v136
	s_delay_alu instid0(VALU_DEP_1) | instskip(NEXT) | instid1(VALU_DEP_1)
	v_fmac_f32_e32 v137, v138, v135
	v_fma_f32 v1, -v1, v137, v136
	s_delay_alu instid0(VALU_DEP_1) | instskip(NEXT) | instid1(VALU_DEP_1)
	v_div_fmas_f32 v1, v1, v135, v137
	v_div_fixup_f32 v136, v1, v134, 1.0
	s_delay_alu instid0(VALU_DEP_1)
	v_mul_f32_e64 v137, v0, -v136
.LBB123_331:
	s_or_b32 exec_lo, exec_lo, s1
	ds_store_b64 v235, v[136:137]
.LBB123_332:
	s_or_b32 exec_lo, exec_lo, s2
	s_wait_dscnt 0x0
	s_barrier_signal -1
	s_barrier_wait -1
	ds_load_b64 v[134:135], v235
	s_mov_b32 s1, exec_lo
	v_cmpx_lt_u32_e32 36, v234
	s_cbranch_execz .LBB123_334
; %bb.333:
	ds_load_2addr_b64 v[148:151], v236 offset0:37 offset1:38
	s_wait_dscnt 0x1
	v_pk_mul_f32 v[138:139], v[134:135], v[162:163] op_sel:[1,1] op_sel_hi:[0,1]
	s_delay_alu instid0(VALU_DEP_1) | instskip(SKIP_1) | instid1(VALU_DEP_1)
	v_pk_fma_f32 v[136:137], v[134:135], v[162:163], v[138:139] op_sel_hi:[1,0,1] neg_lo:[0,0,1] neg_hi:[0,0,1]
	v_pk_fma_f32 v[138:139], v[134:135], v[162:163], v[138:139] op_sel_hi:[1,0,1]
	v_dual_mov_b32 v162, v136 :: v_dual_mov_b32 v163, v139
	s_wait_dscnt 0x0
	s_delay_alu instid0(VALU_DEP_2) | instskip(NEXT) | instid1(VALU_DEP_1)
	v_pk_mul_f32 v[152:153], v[148:149], v[138:139] op_sel:[0,1]
	v_pk_fma_f32 v[154:155], v[148:149], v[136:137], v[152:153] op_sel:[0,0,1] op_sel_hi:[1,1,0] neg_lo:[0,0,1] neg_hi:[0,0,1]
	v_pk_fma_f32 v[148:149], v[148:149], v[136:137], v[152:153] op_sel:[0,0,1] op_sel_hi:[1,0,0]
	s_delay_alu instid0(VALU_DEP_1) | instskip(SKIP_1) | instid1(VALU_DEP_1)
	v_mov_b32_e32 v155, v149
	v_pk_mul_f32 v[148:149], v[150:151], v[138:139] op_sel:[0,1]
	v_pk_fma_f32 v[152:153], v[150:151], v[136:137], v[148:149] op_sel:[0,0,1] op_sel_hi:[1,1,0] neg_lo:[0,0,1] neg_hi:[0,0,1]
	v_pk_fma_f32 v[148:149], v[150:151], v[136:137], v[148:149] op_sel:[0,0,1] op_sel_hi:[1,0,0]
	s_delay_alu instid0(VALU_DEP_1)
	v_mov_b32_e32 v153, v149
	ds_load_2addr_b64 v[148:151], v236 offset0:39 offset1:40
	v_pk_add_f32 v[158:159], v[158:159], v[154:155] neg_lo:[0,1] neg_hi:[0,1]
	v_pk_add_f32 v[160:161], v[160:161], v[152:153] neg_lo:[0,1] neg_hi:[0,1]
	s_wait_dscnt 0x0
	v_pk_mul_f32 v[152:153], v[148:149], v[138:139] op_sel:[0,1]
	s_delay_alu instid0(VALU_DEP_1) | instskip(SKIP_2) | instid1(VALU_DEP_2)
	v_pk_fma_f32 v[154:155], v[148:149], v[136:137], v[152:153] op_sel:[0,0,1] op_sel_hi:[1,1,0] neg_lo:[0,0,1] neg_hi:[0,0,1]
	v_pk_fma_f32 v[148:149], v[148:149], v[136:137], v[152:153] op_sel:[0,0,1] op_sel_hi:[1,0,0]
	v_dual_mul_f32 v152, v151, v139 :: v_dual_mov_b32 v148, v151
	v_dual_mov_b32 v155, v149 :: v_dual_mov_b32 v149, v150
	s_delay_alu instid0(VALU_DEP_2) | instskip(SKIP_1) | instid1(VALU_DEP_3)
	v_pk_fma_f32 v[152:153], v[150:151], v[162:163], v[152:153] op_sel_hi:[1,1,0] neg_lo:[0,0,1] neg_hi:[0,0,1]
	v_mul_f32_e32 v150, v151, v136
	v_pk_add_f32 v[156:157], v[156:157], v[154:155] neg_lo:[0,1] neg_hi:[0,1]
	s_delay_alu instid0(VALU_DEP_2) | instskip(NEXT) | instid1(VALU_DEP_1)
	v_pk_fma_f32 v[148:149], v[148:149], v[162:163], v[150:151] op_sel_hi:[1,1,0]
	v_mov_b32_e32 v153, v149
	ds_load_2addr_b64 v[148:151], v236 offset0:41 offset1:42
	v_pk_add_f32 v[178:179], v[178:179], v[152:153] neg_lo:[0,1] neg_hi:[0,1]
	s_wait_dscnt 0x0
	v_pk_mul_f32 v[152:153], v[148:149], v[138:139] op_sel:[0,1]
	s_delay_alu instid0(VALU_DEP_1) | instskip(SKIP_1) | instid1(VALU_DEP_1)
	v_pk_fma_f32 v[154:155], v[148:149], v[136:137], v[152:153] op_sel:[0,0,1] op_sel_hi:[1,1,0] neg_lo:[0,0,1] neg_hi:[0,0,1]
	v_pk_fma_f32 v[148:149], v[148:149], v[136:137], v[152:153] op_sel:[0,0,1] op_sel_hi:[1,0,0]
	v_mov_b32_e32 v155, v149
	v_pk_mul_f32 v[148:149], v[150:151], v[138:139] op_sel:[0,1]
	s_delay_alu instid0(VALU_DEP_1) | instskip(SKIP_1) | instid1(VALU_DEP_1)
	v_pk_fma_f32 v[152:153], v[150:151], v[136:137], v[148:149] op_sel:[0,0,1] op_sel_hi:[1,1,0] neg_lo:[0,0,1] neg_hi:[0,0,1]
	v_pk_fma_f32 v[148:149], v[150:151], v[136:137], v[148:149] op_sel:[0,0,1] op_sel_hi:[1,0,0]
	v_mov_b32_e32 v153, v149
	ds_load_2addr_b64 v[148:151], v236 offset0:43 offset1:44
	v_pk_add_f32 v[174:175], v[174:175], v[154:155] neg_lo:[0,1] neg_hi:[0,1]
	v_pk_add_f32 v[176:177], v[176:177], v[152:153] neg_lo:[0,1] neg_hi:[0,1]
	s_wait_dscnt 0x0
	v_pk_mul_f32 v[152:153], v[148:149], v[138:139] op_sel:[0,1]
	s_delay_alu instid0(VALU_DEP_1) | instskip(SKIP_1) | instid1(VALU_DEP_1)
	v_pk_fma_f32 v[154:155], v[148:149], v[136:137], v[152:153] op_sel:[0,0,1] op_sel_hi:[1,1,0] neg_lo:[0,0,1] neg_hi:[0,0,1]
	v_pk_fma_f32 v[148:149], v[148:149], v[136:137], v[152:153] op_sel:[0,0,1] op_sel_hi:[1,0,0]
	v_mov_b32_e32 v155, v149
	v_pk_mul_f32 v[148:149], v[150:151], v[138:139] op_sel:[0,1]
	s_delay_alu instid0(VALU_DEP_1) | instskip(SKIP_1) | instid1(VALU_DEP_1)
	v_pk_fma_f32 v[152:153], v[150:151], v[136:137], v[148:149] op_sel:[0,0,1] op_sel_hi:[1,1,0] neg_lo:[0,0,1] neg_hi:[0,0,1]
	v_pk_fma_f32 v[148:149], v[150:151], v[136:137], v[148:149] op_sel:[0,0,1] op_sel_hi:[1,0,0]
	v_mov_b32_e32 v153, v149
	ds_load_2addr_b64 v[148:151], v236 offset0:45 offset1:46
	v_pk_add_f32 v[172:173], v[172:173], v[154:155] neg_lo:[0,1] neg_hi:[0,1]
	v_pk_add_f32 v[194:195], v[194:195], v[152:153] neg_lo:[0,1] neg_hi:[0,1]
	s_wait_dscnt 0x0
	v_dual_mul_f32 v152, v149, v139 :: v_dual_mul_f32 v154, v149, v136
	s_delay_alu instid0(VALU_DEP_1) | instskip(NEXT) | instid1(VALU_DEP_2)
	v_pk_fma_f32 v[152:153], v[148:149], v[162:163], v[152:153] op_sel_hi:[1,1,0] neg_lo:[0,0,1] neg_hi:[0,0,1]
	v_pk_fma_f32 v[148:149], v[148:149], v[162:163], v[154:155] op_sel:[1,0,0] op_sel_hi:[0,1,0]
	s_delay_alu instid0(VALU_DEP_1) | instskip(SKIP_1) | instid1(VALU_DEP_2)
	v_mov_b32_e32 v153, v149
	v_pk_mul_f32 v[148:149], v[150:151], v[138:139] op_sel:[0,1]
	v_pk_add_f32 v[190:191], v[190:191], v[152:153] neg_lo:[0,1] neg_hi:[0,1]
	s_delay_alu instid0(VALU_DEP_2) | instskip(SKIP_1) | instid1(VALU_DEP_1)
	v_pk_fma_f32 v[152:153], v[150:151], v[136:137], v[148:149] op_sel:[0,0,1] op_sel_hi:[1,1,0] neg_lo:[0,0,1] neg_hi:[0,0,1]
	v_pk_fma_f32 v[148:149], v[150:151], v[136:137], v[148:149] op_sel:[0,0,1] op_sel_hi:[1,0,0]
	v_mov_b32_e32 v153, v149
	ds_load_2addr_b64 v[148:151], v236 offset0:47 offset1:48
	v_pk_add_f32 v[192:193], v[192:193], v[152:153] neg_lo:[0,1] neg_hi:[0,1]
	s_wait_dscnt 0x0
	v_pk_mul_f32 v[152:153], v[148:149], v[138:139] op_sel:[0,1]
	s_delay_alu instid0(VALU_DEP_1) | instskip(SKIP_1) | instid1(VALU_DEP_1)
	v_pk_fma_f32 v[154:155], v[148:149], v[136:137], v[152:153] op_sel:[0,0,1] op_sel_hi:[1,1,0] neg_lo:[0,0,1] neg_hi:[0,0,1]
	v_pk_fma_f32 v[148:149], v[148:149], v[136:137], v[152:153] op_sel:[0,0,1] op_sel_hi:[1,0,0]
	v_mov_b32_e32 v155, v149
	v_pk_mul_f32 v[148:149], v[150:151], v[138:139] op_sel:[0,1]
	s_delay_alu instid0(VALU_DEP_2) | instskip(NEXT) | instid1(VALU_DEP_2)
	v_pk_add_f32 v[188:189], v[188:189], v[154:155] neg_lo:[0,1] neg_hi:[0,1]
	v_pk_fma_f32 v[152:153], v[150:151], v[136:137], v[148:149] op_sel:[0,0,1] op_sel_hi:[1,1,0] neg_lo:[0,0,1] neg_hi:[0,0,1]
	v_pk_fma_f32 v[148:149], v[150:151], v[136:137], v[148:149] op_sel:[0,0,1] op_sel_hi:[1,0,0]
	s_delay_alu instid0(VALU_DEP_1) | instskip(SKIP_4) | instid1(VALU_DEP_1)
	v_mov_b32_e32 v153, v149
	ds_load_2addr_b64 v[148:151], v236 offset0:49 offset1:50
	v_pk_add_f32 v[210:211], v[210:211], v[152:153] neg_lo:[0,1] neg_hi:[0,1]
	s_wait_dscnt 0x0
	v_pk_mul_f32 v[152:153], v[148:149], v[138:139] op_sel:[0,1]
	v_pk_fma_f32 v[154:155], v[148:149], v[136:137], v[152:153] op_sel:[0,0,1] op_sel_hi:[1,1,0] neg_lo:[0,0,1] neg_hi:[0,0,1]
	v_pk_fma_f32 v[148:149], v[148:149], v[136:137], v[152:153] op_sel:[0,0,1] op_sel_hi:[1,0,0]
	v_dual_mul_f32 v152, v151, v139 :: v_dual_mov_b32 v148, v151
	s_delay_alu instid0(VALU_DEP_2) | instskip(NEXT) | instid1(VALU_DEP_2)
	v_dual_mov_b32 v155, v149 :: v_dual_mov_b32 v149, v150
	v_pk_fma_f32 v[152:153], v[150:151], v[162:163], v[152:153] op_sel_hi:[1,1,0] neg_lo:[0,0,1] neg_hi:[0,0,1]
	v_mul_f32_e32 v150, v151, v136
	s_delay_alu instid0(VALU_DEP_3) | instskip(NEXT) | instid1(VALU_DEP_2)
	v_pk_add_f32 v[206:207], v[206:207], v[154:155] neg_lo:[0,1] neg_hi:[0,1]
	v_pk_fma_f32 v[148:149], v[148:149], v[162:163], v[150:151] op_sel_hi:[1,1,0]
	s_delay_alu instid0(VALU_DEP_1) | instskip(SKIP_4) | instid1(VALU_DEP_1)
	v_mov_b32_e32 v153, v149
	ds_load_2addr_b64 v[148:151], v236 offset0:51 offset1:52
	v_pk_add_f32 v[208:209], v[208:209], v[152:153] neg_lo:[0,1] neg_hi:[0,1]
	s_wait_dscnt 0x0
	v_pk_mul_f32 v[152:153], v[148:149], v[138:139] op_sel:[0,1]
	v_pk_fma_f32 v[154:155], v[148:149], v[136:137], v[152:153] op_sel:[0,0,1] op_sel_hi:[1,1,0] neg_lo:[0,0,1] neg_hi:[0,0,1]
	v_pk_fma_f32 v[148:149], v[148:149], v[136:137], v[152:153] op_sel:[0,0,1] op_sel_hi:[1,0,0]
	s_delay_alu instid0(VALU_DEP_1) | instskip(SKIP_1) | instid1(VALU_DEP_1)
	v_mov_b32_e32 v155, v149
	v_pk_mul_f32 v[148:149], v[150:151], v[138:139] op_sel:[0,1]
	v_pk_fma_f32 v[152:153], v[150:151], v[136:137], v[148:149] op_sel:[0,0,1] op_sel_hi:[1,1,0] neg_lo:[0,0,1] neg_hi:[0,0,1]
	v_pk_fma_f32 v[148:149], v[150:151], v[136:137], v[148:149] op_sel:[0,0,1] op_sel_hi:[1,0,0]
	s_delay_alu instid0(VALU_DEP_1)
	v_mov_b32_e32 v153, v149
	ds_load_2addr_b64 v[148:151], v236 offset0:53 offset1:54
	v_pk_add_f32 v[204:205], v[204:205], v[154:155] neg_lo:[0,1] neg_hi:[0,1]
	v_pk_add_f32 v[228:229], v[228:229], v[152:153] neg_lo:[0,1] neg_hi:[0,1]
	s_wait_dscnt 0x0
	v_pk_mul_f32 v[152:153], v[148:149], v[138:139] op_sel:[0,1]
	s_delay_alu instid0(VALU_DEP_1) | instskip(SKIP_1) | instid1(VALU_DEP_1)
	v_pk_fma_f32 v[154:155], v[148:149], v[136:137], v[152:153] op_sel:[0,0,1] op_sel_hi:[1,1,0] neg_lo:[0,0,1] neg_hi:[0,0,1]
	v_pk_fma_f32 v[148:149], v[148:149], v[136:137], v[152:153] op_sel:[0,0,1] op_sel_hi:[1,0,0]
	v_mov_b32_e32 v155, v149
	v_pk_mul_f32 v[148:149], v[150:151], v[138:139] op_sel:[0,1]
	s_delay_alu instid0(VALU_DEP_1) | instskip(SKIP_1) | instid1(VALU_DEP_1)
	v_pk_fma_f32 v[152:153], v[150:151], v[136:137], v[148:149] op_sel:[0,0,1] op_sel_hi:[1,1,0] neg_lo:[0,0,1] neg_hi:[0,0,1]
	v_pk_fma_f32 v[148:149], v[150:151], v[136:137], v[148:149] op_sel:[0,0,1] op_sel_hi:[1,0,0]
	v_mov_b32_e32 v153, v149
	ds_load_2addr_b64 v[148:151], v236 offset0:55 offset1:56
	v_pk_add_f32 v[224:225], v[224:225], v[154:155] neg_lo:[0,1] neg_hi:[0,1]
	v_pk_add_f32 v[226:227], v[226:227], v[152:153] neg_lo:[0,1] neg_hi:[0,1]
	s_wait_dscnt 0x0
	v_dual_mul_f32 v152, v149, v139 :: v_dual_mul_f32 v154, v149, v136
	s_delay_alu instid0(VALU_DEP_1) | instskip(NEXT) | instid1(VALU_DEP_2)
	v_pk_fma_f32 v[152:153], v[148:149], v[162:163], v[152:153] op_sel_hi:[1,1,0] neg_lo:[0,0,1] neg_hi:[0,0,1]
	v_pk_fma_f32 v[148:149], v[148:149], v[162:163], v[154:155] op_sel:[1,0,0] op_sel_hi:[0,1,0]
	s_delay_alu instid0(VALU_DEP_1) | instskip(SKIP_1) | instid1(VALU_DEP_2)
	v_mov_b32_e32 v153, v149
	v_pk_mul_f32 v[148:149], v[150:151], v[138:139] op_sel:[0,1]
	v_pk_add_f32 v[222:223], v[222:223], v[152:153] neg_lo:[0,1] neg_hi:[0,1]
	s_delay_alu instid0(VALU_DEP_2) | instskip(SKIP_1) | instid1(VALU_DEP_1)
	v_pk_fma_f32 v[152:153], v[150:151], v[136:137], v[148:149] op_sel:[0,0,1] op_sel_hi:[1,1,0] neg_lo:[0,0,1] neg_hi:[0,0,1]
	v_pk_fma_f32 v[148:149], v[150:151], v[136:137], v[148:149] op_sel:[0,0,1] op_sel_hi:[1,0,0]
	v_mov_b32_e32 v153, v149
	ds_load_2addr_b64 v[148:151], v236 offset0:57 offset1:58
	v_pk_add_f32 v[244:245], v[244:245], v[152:153] neg_lo:[0,1] neg_hi:[0,1]
	s_wait_dscnt 0x0
	v_pk_mul_f32 v[152:153], v[148:149], v[138:139] op_sel:[0,1]
	s_delay_alu instid0(VALU_DEP_1) | instskip(SKIP_1) | instid1(VALU_DEP_1)
	v_pk_fma_f32 v[154:155], v[148:149], v[136:137], v[152:153] op_sel:[0,0,1] op_sel_hi:[1,1,0] neg_lo:[0,0,1] neg_hi:[0,0,1]
	v_pk_fma_f32 v[148:149], v[148:149], v[136:137], v[152:153] op_sel:[0,0,1] op_sel_hi:[1,0,0]
	v_mov_b32_e32 v155, v149
	v_pk_mul_f32 v[148:149], v[150:151], v[138:139] op_sel:[0,1]
	s_delay_alu instid0(VALU_DEP_2) | instskip(NEXT) | instid1(VALU_DEP_2)
	v_pk_add_f32 v[240:241], v[240:241], v[154:155] neg_lo:[0,1] neg_hi:[0,1]
	v_pk_fma_f32 v[152:153], v[150:151], v[136:137], v[148:149] op_sel:[0,0,1] op_sel_hi:[1,1,0] neg_lo:[0,0,1] neg_hi:[0,0,1]
	v_pk_fma_f32 v[148:149], v[150:151], v[136:137], v[148:149] op_sel:[0,0,1] op_sel_hi:[1,0,0]
	s_delay_alu instid0(VALU_DEP_1) | instskip(SKIP_4) | instid1(VALU_DEP_1)
	v_mov_b32_e32 v153, v149
	ds_load_2addr_b64 v[148:151], v236 offset0:59 offset1:60
	v_pk_add_f32 v[242:243], v[242:243], v[152:153] neg_lo:[0,1] neg_hi:[0,1]
	s_wait_dscnt 0x0
	v_pk_mul_f32 v[152:153], v[148:149], v[138:139] op_sel:[0,1]
	v_pk_fma_f32 v[154:155], v[148:149], v[136:137], v[152:153] op_sel:[0,0,1] op_sel_hi:[1,1,0] neg_lo:[0,0,1] neg_hi:[0,0,1]
	v_pk_fma_f32 v[148:149], v[148:149], v[136:137], v[152:153] op_sel:[0,0,1] op_sel_hi:[1,0,0]
	v_dual_mul_f32 v152, v151, v139 :: v_dual_mov_b32 v148, v151
	s_delay_alu instid0(VALU_DEP_2) | instskip(NEXT) | instid1(VALU_DEP_2)
	v_dual_mov_b32 v155, v149 :: v_dual_mov_b32 v149, v150
	v_pk_fma_f32 v[152:153], v[150:151], v[162:163], v[152:153] op_sel_hi:[1,1,0] neg_lo:[0,0,1] neg_hi:[0,0,1]
	v_mul_f32_e32 v150, v151, v136
	s_delay_alu instid0(VALU_DEP_3) | instskip(NEXT) | instid1(VALU_DEP_2)
	v_pk_add_f32 v[238:239], v[238:239], v[154:155] neg_lo:[0,1] neg_hi:[0,1]
	v_pk_fma_f32 v[148:149], v[148:149], v[162:163], v[150:151] op_sel_hi:[1,1,0]
	s_delay_alu instid0(VALU_DEP_1) | instskip(SKIP_4) | instid1(VALU_DEP_1)
	v_mov_b32_e32 v153, v149
	ds_load_b64 v[148:149], v236 offset:488
	v_pk_add_f32 v[246:247], v[246:247], v[152:153] neg_lo:[0,1] neg_hi:[0,1]
	s_wait_dscnt 0x0
	v_pk_mul_f32 v[138:139], v[148:149], v[138:139] op_sel:[0,1]
	v_pk_fma_f32 v[150:151], v[148:149], v[136:137], v[138:139] op_sel:[0,0,1] op_sel_hi:[1,1,0] neg_lo:[0,0,1] neg_hi:[0,0,1]
	v_pk_fma_f32 v[136:137], v[148:149], v[136:137], v[138:139] op_sel:[0,0,1] op_sel_hi:[1,0,0]
	s_delay_alu instid0(VALU_DEP_1) | instskip(NEXT) | instid1(VALU_DEP_1)
	v_mov_b32_e32 v151, v137
	v_pk_add_f32 v[248:249], v[248:249], v[150:151] neg_lo:[0,1] neg_hi:[0,1]
.LBB123_334:
	s_or_b32 exec_lo, exec_lo, s1
	s_delay_alu instid0(SALU_CYCLE_1)
	s_mov_b32 s2, exec_lo
	s_wait_dscnt 0x0
	s_barrier_signal -1
	s_barrier_wait -1
	v_cmpx_eq_u32_e32 37, v234
	s_cbranch_execz .LBB123_341
; %bb.335:
	v_dual_mov_b32 v136, v160 :: v_dual_mov_b32 v137, v161
	v_dual_mov_b32 v138, v156 :: v_dual_mov_b32 v139, v157
	ds_store_b64 v235, v[158:159]
	ds_store_2addr_b64 v236, v[136:137], v[138:139] offset0:38 offset1:39
	v_dual_mov_b32 v136, v178 :: v_dual_mov_b32 v137, v179
	v_dual_mov_b32 v138, v174 :: v_dual_mov_b32 v139, v175
	ds_store_2addr_b64 v236, v[136:137], v[138:139] offset0:40 offset1:41
	v_dual_mov_b32 v136, v176 :: v_dual_mov_b32 v137, v177
	v_dual_mov_b32 v138, v172 :: v_dual_mov_b32 v139, v173
	;; [unrolled: 3-line block ×10, first 2 shown]
	ds_store_2addr_b64 v236, v[136:137], v[138:139] offset0:58 offset1:59
	v_dual_mov_b32 v136, v246 :: v_dual_mov_b32 v137, v247
	ds_store_2addr_b64 v236, v[136:137], v[248:249] offset0:60 offset1:61
	ds_load_b64 v[136:137], v235
	s_wait_dscnt 0x0
	v_cmp_neq_f32_e32 vcc_lo, 0, v136
	v_cmp_neq_f32_e64 s1, 0, v137
	s_or_b32 s1, vcc_lo, s1
	s_delay_alu instid0(SALU_CYCLE_1)
	s_and_b32 exec_lo, exec_lo, s1
	s_cbranch_execz .LBB123_341
; %bb.336:
	v_cmp_ngt_f32_e64 s1, |v136|, |v137|
                                        ; implicit-def: $vgpr138_vgpr139
	s_and_saveexec_b32 s4, s1
	s_delay_alu instid0(SALU_CYCLE_1)
	s_xor_b32 s1, exec_lo, s4
	s_cbranch_execz .LBB123_338
; %bb.337:
	v_div_scale_f32 v0, null, v137, v137, v136
	v_div_scale_f32 v139, vcc_lo, v136, v137, v136
	s_delay_alu instid0(VALU_DEP_2) | instskip(SKIP_1) | instid1(TRANS32_DEP_1)
	v_rcp_f32_e32 v1, v0
	v_nop
	v_fma_f32 v138, -v0, v1, 1.0
	s_delay_alu instid0(VALU_DEP_1) | instskip(NEXT) | instid1(VALU_DEP_1)
	v_fmac_f32_e32 v1, v138, v1
	v_mul_f32_e32 v138, v139, v1
	s_delay_alu instid0(VALU_DEP_1) | instskip(NEXT) | instid1(VALU_DEP_1)
	v_fma_f32 v148, -v0, v138, v139
	v_fmac_f32_e32 v138, v148, v1
	s_delay_alu instid0(VALU_DEP_1) | instskip(NEXT) | instid1(VALU_DEP_1)
	v_fma_f32 v0, -v0, v138, v139
	v_div_fmas_f32 v0, v0, v1, v138
	s_delay_alu instid0(VALU_DEP_1) | instskip(NEXT) | instid1(VALU_DEP_1)
	v_div_fixup_f32 v0, v0, v137, v136
	v_fmac_f32_e32 v137, v136, v0
	s_delay_alu instid0(VALU_DEP_1) | instskip(SKIP_1) | instid1(VALU_DEP_2)
	v_div_scale_f32 v1, null, v137, v137, 1.0
	v_div_scale_f32 v139, vcc_lo, 1.0, v137, 1.0
	v_rcp_f32_e32 v136, v1
	v_nop
	s_delay_alu instid0(TRANS32_DEP_1) | instskip(NEXT) | instid1(VALU_DEP_1)
	v_fma_f32 v138, -v1, v136, 1.0
	v_fmac_f32_e32 v136, v138, v136
	s_delay_alu instid0(VALU_DEP_1) | instskip(NEXT) | instid1(VALU_DEP_1)
	v_mul_f32_e32 v138, v139, v136
	v_fma_f32 v148, -v1, v138, v139
	s_delay_alu instid0(VALU_DEP_1) | instskip(NEXT) | instid1(VALU_DEP_1)
	v_fmac_f32_e32 v138, v148, v136
	v_fma_f32 v1, -v1, v138, v139
	s_delay_alu instid0(VALU_DEP_1) | instskip(NEXT) | instid1(VALU_DEP_1)
	v_div_fmas_f32 v1, v1, v136, v138
	v_div_fixup_f32 v1, v1, v137, 1.0
                                        ; implicit-def: $vgpr136_vgpr137
	s_delay_alu instid0(VALU_DEP_1)
	v_mul_f32_e32 v138, v0, v1
	v_xor_b32_e32 v139, 0x80000000, v1
.LBB123_338:
	s_and_not1_saveexec_b32 s1, s1
	s_cbranch_execz .LBB123_340
; %bb.339:
	v_div_scale_f32 v0, null, v136, v136, v137
	v_div_scale_f32 v139, vcc_lo, v137, v136, v137
	s_delay_alu instid0(VALU_DEP_2) | instskip(SKIP_1) | instid1(TRANS32_DEP_1)
	v_rcp_f32_e32 v1, v0
	v_nop
	v_fma_f32 v138, -v0, v1, 1.0
	s_delay_alu instid0(VALU_DEP_1) | instskip(NEXT) | instid1(VALU_DEP_1)
	v_fmac_f32_e32 v1, v138, v1
	v_mul_f32_e32 v138, v139, v1
	s_delay_alu instid0(VALU_DEP_1) | instskip(NEXT) | instid1(VALU_DEP_1)
	v_fma_f32 v148, -v0, v138, v139
	v_fmac_f32_e32 v138, v148, v1
	s_delay_alu instid0(VALU_DEP_1) | instskip(NEXT) | instid1(VALU_DEP_1)
	v_fma_f32 v0, -v0, v138, v139
	v_div_fmas_f32 v0, v0, v1, v138
	s_delay_alu instid0(VALU_DEP_1) | instskip(NEXT) | instid1(VALU_DEP_1)
	v_div_fixup_f32 v0, v0, v136, v137
	v_fmac_f32_e32 v136, v137, v0
	s_delay_alu instid0(VALU_DEP_1) | instskip(NEXT) | instid1(VALU_DEP_1)
	v_div_scale_f32 v1, null, v136, v136, 1.0
	v_rcp_f32_e32 v137, v1
	v_nop
	s_delay_alu instid0(TRANS32_DEP_1) | instskip(NEXT) | instid1(VALU_DEP_1)
	v_fma_f32 v138, -v1, v137, 1.0
	v_fmac_f32_e32 v137, v138, v137
	v_div_scale_f32 v138, vcc_lo, 1.0, v136, 1.0
	s_delay_alu instid0(VALU_DEP_1) | instskip(NEXT) | instid1(VALU_DEP_1)
	v_mul_f32_e32 v139, v138, v137
	v_fma_f32 v148, -v1, v139, v138
	s_delay_alu instid0(VALU_DEP_1) | instskip(NEXT) | instid1(VALU_DEP_1)
	v_fmac_f32_e32 v139, v148, v137
	v_fma_f32 v1, -v1, v139, v138
	s_delay_alu instid0(VALU_DEP_1) | instskip(NEXT) | instid1(VALU_DEP_1)
	v_div_fmas_f32 v1, v1, v137, v139
	v_div_fixup_f32 v138, v1, v136, 1.0
	s_delay_alu instid0(VALU_DEP_1)
	v_mul_f32_e64 v139, v0, -v138
.LBB123_340:
	s_or_b32 exec_lo, exec_lo, s1
	ds_store_b64 v235, v[138:139]
.LBB123_341:
	s_or_b32 exec_lo, exec_lo, s2
	s_wait_dscnt 0x0
	s_barrier_signal -1
	s_barrier_wait -1
	ds_load_b64 v[136:137], v235
	s_mov_b32 s1, exec_lo
	v_cmpx_lt_u32_e32 37, v234
	s_cbranch_execz .LBB123_343
; %bb.342:
	ds_load_2addr_b64 v[150:153], v236 offset0:38 offset1:39
	s_wait_dscnt 0x1
	v_pk_mul_f32 v[148:149], v[136:137], v[158:159] op_sel:[1,1] op_sel_hi:[0,1]
	s_delay_alu instid0(VALU_DEP_1) | instskip(SKIP_1) | instid1(VALU_DEP_1)
	v_pk_fma_f32 v[138:139], v[136:137], v[158:159], v[148:149] op_sel_hi:[1,0,1] neg_lo:[0,0,1] neg_hi:[0,0,1]
	v_pk_fma_f32 v[148:149], v[136:137], v[158:159], v[148:149] op_sel_hi:[1,0,1]
	v_dual_mov_b32 v158, v138 :: v_dual_mov_b32 v159, v149
	s_wait_dscnt 0x0
	s_delay_alu instid0(VALU_DEP_2) | instskip(NEXT) | instid1(VALU_DEP_1)
	v_pk_mul_f32 v[154:155], v[150:151], v[148:149] op_sel:[0,1]
	v_pk_fma_f32 v[164:165], v[150:151], v[138:139], v[154:155] op_sel:[0,0,1] op_sel_hi:[1,1,0] neg_lo:[0,0,1] neg_hi:[0,0,1]
	v_pk_fma_f32 v[150:151], v[150:151], v[138:139], v[154:155] op_sel:[0,0,1] op_sel_hi:[1,0,0]
	s_delay_alu instid0(VALU_DEP_1) | instskip(SKIP_1) | instid1(VALU_DEP_1)
	v_mov_b32_e32 v165, v151
	v_pk_mul_f32 v[150:151], v[152:153], v[148:149] op_sel:[0,1]
	v_pk_fma_f32 v[154:155], v[152:153], v[138:139], v[150:151] op_sel:[0,0,1] op_sel_hi:[1,1,0] neg_lo:[0,0,1] neg_hi:[0,0,1]
	v_pk_fma_f32 v[150:151], v[152:153], v[138:139], v[150:151] op_sel:[0,0,1] op_sel_hi:[1,0,0]
	s_delay_alu instid0(VALU_DEP_1)
	v_mov_b32_e32 v155, v151
	ds_load_2addr_b64 v[150:153], v236 offset0:40 offset1:41
	v_pk_add_f32 v[160:161], v[160:161], v[164:165] neg_lo:[0,1] neg_hi:[0,1]
	v_pk_add_f32 v[156:157], v[156:157], v[154:155] neg_lo:[0,1] neg_hi:[0,1]
	s_wait_dscnt 0x0
	v_pk_mul_f32 v[154:155], v[150:151], v[148:149] op_sel:[0,1]
	s_delay_alu instid0(VALU_DEP_1) | instskip(SKIP_2) | instid1(VALU_DEP_2)
	v_pk_fma_f32 v[164:165], v[150:151], v[138:139], v[154:155] op_sel:[0,0,1] op_sel_hi:[1,1,0] neg_lo:[0,0,1] neg_hi:[0,0,1]
	v_pk_fma_f32 v[150:151], v[150:151], v[138:139], v[154:155] op_sel:[0,0,1] op_sel_hi:[1,0,0]
	v_dual_mul_f32 v154, v153, v149 :: v_dual_mov_b32 v150, v153
	v_dual_mov_b32 v165, v151 :: v_dual_mov_b32 v151, v152
	s_delay_alu instid0(VALU_DEP_2) | instskip(SKIP_1) | instid1(VALU_DEP_3)
	v_pk_fma_f32 v[154:155], v[152:153], v[158:159], v[154:155] op_sel_hi:[1,1,0] neg_lo:[0,0,1] neg_hi:[0,0,1]
	v_mul_f32_e32 v152, v153, v138
	v_pk_add_f32 v[178:179], v[178:179], v[164:165] neg_lo:[0,1] neg_hi:[0,1]
	s_delay_alu instid0(VALU_DEP_2) | instskip(NEXT) | instid1(VALU_DEP_1)
	v_pk_fma_f32 v[150:151], v[150:151], v[158:159], v[152:153] op_sel_hi:[1,1,0]
	v_mov_b32_e32 v155, v151
	ds_load_2addr_b64 v[150:153], v236 offset0:42 offset1:43
	v_pk_add_f32 v[174:175], v[174:175], v[154:155] neg_lo:[0,1] neg_hi:[0,1]
	s_wait_dscnt 0x0
	v_pk_mul_f32 v[154:155], v[150:151], v[148:149] op_sel:[0,1]
	s_delay_alu instid0(VALU_DEP_1) | instskip(SKIP_1) | instid1(VALU_DEP_1)
	v_pk_fma_f32 v[164:165], v[150:151], v[138:139], v[154:155] op_sel:[0,0,1] op_sel_hi:[1,1,0] neg_lo:[0,0,1] neg_hi:[0,0,1]
	v_pk_fma_f32 v[150:151], v[150:151], v[138:139], v[154:155] op_sel:[0,0,1] op_sel_hi:[1,0,0]
	v_mov_b32_e32 v165, v151
	v_pk_mul_f32 v[150:151], v[152:153], v[148:149] op_sel:[0,1]
	s_delay_alu instid0(VALU_DEP_1) | instskip(SKIP_1) | instid1(VALU_DEP_1)
	v_pk_fma_f32 v[154:155], v[152:153], v[138:139], v[150:151] op_sel:[0,0,1] op_sel_hi:[1,1,0] neg_lo:[0,0,1] neg_hi:[0,0,1]
	v_pk_fma_f32 v[150:151], v[152:153], v[138:139], v[150:151] op_sel:[0,0,1] op_sel_hi:[1,0,0]
	v_mov_b32_e32 v155, v151
	ds_load_2addr_b64 v[150:153], v236 offset0:44 offset1:45
	v_pk_add_f32 v[176:177], v[176:177], v[164:165] neg_lo:[0,1] neg_hi:[0,1]
	v_pk_add_f32 v[172:173], v[172:173], v[154:155] neg_lo:[0,1] neg_hi:[0,1]
	s_wait_dscnt 0x0
	v_pk_mul_f32 v[154:155], v[150:151], v[148:149] op_sel:[0,1]
	s_delay_alu instid0(VALU_DEP_1) | instskip(SKIP_1) | instid1(VALU_DEP_1)
	v_pk_fma_f32 v[164:165], v[150:151], v[138:139], v[154:155] op_sel:[0,0,1] op_sel_hi:[1,1,0] neg_lo:[0,0,1] neg_hi:[0,0,1]
	v_pk_fma_f32 v[150:151], v[150:151], v[138:139], v[154:155] op_sel:[0,0,1] op_sel_hi:[1,0,0]
	v_mov_b32_e32 v165, v151
	v_pk_mul_f32 v[150:151], v[152:153], v[148:149] op_sel:[0,1]
	s_delay_alu instid0(VALU_DEP_1) | instskip(SKIP_1) | instid1(VALU_DEP_1)
	v_pk_fma_f32 v[154:155], v[152:153], v[138:139], v[150:151] op_sel:[0,0,1] op_sel_hi:[1,1,0] neg_lo:[0,0,1] neg_hi:[0,0,1]
	v_pk_fma_f32 v[150:151], v[152:153], v[138:139], v[150:151] op_sel:[0,0,1] op_sel_hi:[1,0,0]
	v_mov_b32_e32 v155, v151
	ds_load_2addr_b64 v[150:153], v236 offset0:46 offset1:47
	v_pk_add_f32 v[194:195], v[194:195], v[164:165] neg_lo:[0,1] neg_hi:[0,1]
	v_pk_add_f32 v[190:191], v[190:191], v[154:155] neg_lo:[0,1] neg_hi:[0,1]
	s_wait_dscnt 0x0
	v_dual_mul_f32 v154, v151, v149 :: v_dual_mul_f32 v164, v151, v138
	s_delay_alu instid0(VALU_DEP_1) | instskip(NEXT) | instid1(VALU_DEP_2)
	v_pk_fma_f32 v[154:155], v[150:151], v[158:159], v[154:155] op_sel_hi:[1,1,0] neg_lo:[0,0,1] neg_hi:[0,0,1]
	v_pk_fma_f32 v[150:151], v[150:151], v[158:159], v[164:165] op_sel:[1,0,0] op_sel_hi:[0,1,0]
	s_delay_alu instid0(VALU_DEP_1) | instskip(SKIP_1) | instid1(VALU_DEP_2)
	v_mov_b32_e32 v155, v151
	v_pk_mul_f32 v[150:151], v[152:153], v[148:149] op_sel:[0,1]
	v_pk_add_f32 v[192:193], v[192:193], v[154:155] neg_lo:[0,1] neg_hi:[0,1]
	s_delay_alu instid0(VALU_DEP_2) | instskip(SKIP_1) | instid1(VALU_DEP_1)
	v_pk_fma_f32 v[154:155], v[152:153], v[138:139], v[150:151] op_sel:[0,0,1] op_sel_hi:[1,1,0] neg_lo:[0,0,1] neg_hi:[0,0,1]
	v_pk_fma_f32 v[150:151], v[152:153], v[138:139], v[150:151] op_sel:[0,0,1] op_sel_hi:[1,0,0]
	v_mov_b32_e32 v155, v151
	ds_load_2addr_b64 v[150:153], v236 offset0:48 offset1:49
	v_pk_add_f32 v[188:189], v[188:189], v[154:155] neg_lo:[0,1] neg_hi:[0,1]
	s_wait_dscnt 0x0
	v_pk_mul_f32 v[154:155], v[150:151], v[148:149] op_sel:[0,1]
	s_delay_alu instid0(VALU_DEP_1) | instskip(SKIP_1) | instid1(VALU_DEP_1)
	v_pk_fma_f32 v[164:165], v[150:151], v[138:139], v[154:155] op_sel:[0,0,1] op_sel_hi:[1,1,0] neg_lo:[0,0,1] neg_hi:[0,0,1]
	v_pk_fma_f32 v[150:151], v[150:151], v[138:139], v[154:155] op_sel:[0,0,1] op_sel_hi:[1,0,0]
	v_mov_b32_e32 v165, v151
	v_pk_mul_f32 v[150:151], v[152:153], v[148:149] op_sel:[0,1]
	s_delay_alu instid0(VALU_DEP_2) | instskip(NEXT) | instid1(VALU_DEP_2)
	v_pk_add_f32 v[210:211], v[210:211], v[164:165] neg_lo:[0,1] neg_hi:[0,1]
	v_pk_fma_f32 v[154:155], v[152:153], v[138:139], v[150:151] op_sel:[0,0,1] op_sel_hi:[1,1,0] neg_lo:[0,0,1] neg_hi:[0,0,1]
	v_pk_fma_f32 v[150:151], v[152:153], v[138:139], v[150:151] op_sel:[0,0,1] op_sel_hi:[1,0,0]
	s_delay_alu instid0(VALU_DEP_1) | instskip(SKIP_4) | instid1(VALU_DEP_1)
	v_mov_b32_e32 v155, v151
	ds_load_2addr_b64 v[150:153], v236 offset0:50 offset1:51
	v_pk_add_f32 v[206:207], v[206:207], v[154:155] neg_lo:[0,1] neg_hi:[0,1]
	s_wait_dscnt 0x0
	v_pk_mul_f32 v[154:155], v[150:151], v[148:149] op_sel:[0,1]
	v_pk_fma_f32 v[164:165], v[150:151], v[138:139], v[154:155] op_sel:[0,0,1] op_sel_hi:[1,1,0] neg_lo:[0,0,1] neg_hi:[0,0,1]
	v_pk_fma_f32 v[150:151], v[150:151], v[138:139], v[154:155] op_sel:[0,0,1] op_sel_hi:[1,0,0]
	v_dual_mul_f32 v154, v153, v149 :: v_dual_mov_b32 v150, v153
	s_delay_alu instid0(VALU_DEP_2) | instskip(NEXT) | instid1(VALU_DEP_2)
	v_dual_mov_b32 v165, v151 :: v_dual_mov_b32 v151, v152
	v_pk_fma_f32 v[154:155], v[152:153], v[158:159], v[154:155] op_sel_hi:[1,1,0] neg_lo:[0,0,1] neg_hi:[0,0,1]
	v_mul_f32_e32 v152, v153, v138
	s_delay_alu instid0(VALU_DEP_3) | instskip(NEXT) | instid1(VALU_DEP_2)
	v_pk_add_f32 v[208:209], v[208:209], v[164:165] neg_lo:[0,1] neg_hi:[0,1]
	v_pk_fma_f32 v[150:151], v[150:151], v[158:159], v[152:153] op_sel_hi:[1,1,0]
	s_delay_alu instid0(VALU_DEP_1) | instskip(SKIP_4) | instid1(VALU_DEP_1)
	v_mov_b32_e32 v155, v151
	ds_load_2addr_b64 v[150:153], v236 offset0:52 offset1:53
	v_pk_add_f32 v[204:205], v[204:205], v[154:155] neg_lo:[0,1] neg_hi:[0,1]
	s_wait_dscnt 0x0
	v_pk_mul_f32 v[154:155], v[150:151], v[148:149] op_sel:[0,1]
	v_pk_fma_f32 v[164:165], v[150:151], v[138:139], v[154:155] op_sel:[0,0,1] op_sel_hi:[1,1,0] neg_lo:[0,0,1] neg_hi:[0,0,1]
	v_pk_fma_f32 v[150:151], v[150:151], v[138:139], v[154:155] op_sel:[0,0,1] op_sel_hi:[1,0,0]
	s_delay_alu instid0(VALU_DEP_1) | instskip(SKIP_1) | instid1(VALU_DEP_1)
	v_mov_b32_e32 v165, v151
	v_pk_mul_f32 v[150:151], v[152:153], v[148:149] op_sel:[0,1]
	v_pk_fma_f32 v[154:155], v[152:153], v[138:139], v[150:151] op_sel:[0,0,1] op_sel_hi:[1,1,0] neg_lo:[0,0,1] neg_hi:[0,0,1]
	v_pk_fma_f32 v[150:151], v[152:153], v[138:139], v[150:151] op_sel:[0,0,1] op_sel_hi:[1,0,0]
	s_delay_alu instid0(VALU_DEP_1)
	v_mov_b32_e32 v155, v151
	ds_load_2addr_b64 v[150:153], v236 offset0:54 offset1:55
	v_pk_add_f32 v[228:229], v[228:229], v[164:165] neg_lo:[0,1] neg_hi:[0,1]
	v_pk_add_f32 v[224:225], v[224:225], v[154:155] neg_lo:[0,1] neg_hi:[0,1]
	s_wait_dscnt 0x0
	v_pk_mul_f32 v[154:155], v[150:151], v[148:149] op_sel:[0,1]
	s_delay_alu instid0(VALU_DEP_1) | instskip(SKIP_1) | instid1(VALU_DEP_1)
	v_pk_fma_f32 v[164:165], v[150:151], v[138:139], v[154:155] op_sel:[0,0,1] op_sel_hi:[1,1,0] neg_lo:[0,0,1] neg_hi:[0,0,1]
	v_pk_fma_f32 v[150:151], v[150:151], v[138:139], v[154:155] op_sel:[0,0,1] op_sel_hi:[1,0,0]
	v_mov_b32_e32 v165, v151
	v_pk_mul_f32 v[150:151], v[152:153], v[148:149] op_sel:[0,1]
	s_delay_alu instid0(VALU_DEP_1) | instskip(SKIP_1) | instid1(VALU_DEP_1)
	v_pk_fma_f32 v[154:155], v[152:153], v[138:139], v[150:151] op_sel:[0,0,1] op_sel_hi:[1,1,0] neg_lo:[0,0,1] neg_hi:[0,0,1]
	v_pk_fma_f32 v[150:151], v[152:153], v[138:139], v[150:151] op_sel:[0,0,1] op_sel_hi:[1,0,0]
	v_mov_b32_e32 v155, v151
	ds_load_2addr_b64 v[150:153], v236 offset0:56 offset1:57
	v_pk_add_f32 v[226:227], v[226:227], v[164:165] neg_lo:[0,1] neg_hi:[0,1]
	v_pk_add_f32 v[222:223], v[222:223], v[154:155] neg_lo:[0,1] neg_hi:[0,1]
	s_wait_dscnt 0x0
	v_dual_mul_f32 v154, v151, v149 :: v_dual_mul_f32 v164, v151, v138
	s_delay_alu instid0(VALU_DEP_1) | instskip(NEXT) | instid1(VALU_DEP_2)
	v_pk_fma_f32 v[154:155], v[150:151], v[158:159], v[154:155] op_sel_hi:[1,1,0] neg_lo:[0,0,1] neg_hi:[0,0,1]
	v_pk_fma_f32 v[150:151], v[150:151], v[158:159], v[164:165] op_sel:[1,0,0] op_sel_hi:[0,1,0]
	s_delay_alu instid0(VALU_DEP_1) | instskip(SKIP_1) | instid1(VALU_DEP_2)
	v_mov_b32_e32 v155, v151
	v_pk_mul_f32 v[150:151], v[152:153], v[148:149] op_sel:[0,1]
	v_pk_add_f32 v[244:245], v[244:245], v[154:155] neg_lo:[0,1] neg_hi:[0,1]
	s_delay_alu instid0(VALU_DEP_2) | instskip(SKIP_1) | instid1(VALU_DEP_1)
	v_pk_fma_f32 v[154:155], v[152:153], v[138:139], v[150:151] op_sel:[0,0,1] op_sel_hi:[1,1,0] neg_lo:[0,0,1] neg_hi:[0,0,1]
	v_pk_fma_f32 v[150:151], v[152:153], v[138:139], v[150:151] op_sel:[0,0,1] op_sel_hi:[1,0,0]
	v_mov_b32_e32 v155, v151
	ds_load_2addr_b64 v[150:153], v236 offset0:58 offset1:59
	v_pk_add_f32 v[240:241], v[240:241], v[154:155] neg_lo:[0,1] neg_hi:[0,1]
	s_wait_dscnt 0x0
	v_pk_mul_f32 v[154:155], v[150:151], v[148:149] op_sel:[0,1]
	s_delay_alu instid0(VALU_DEP_1) | instskip(SKIP_1) | instid1(VALU_DEP_1)
	v_pk_fma_f32 v[164:165], v[150:151], v[138:139], v[154:155] op_sel:[0,0,1] op_sel_hi:[1,1,0] neg_lo:[0,0,1] neg_hi:[0,0,1]
	v_pk_fma_f32 v[150:151], v[150:151], v[138:139], v[154:155] op_sel:[0,0,1] op_sel_hi:[1,0,0]
	v_mov_b32_e32 v165, v151
	v_pk_mul_f32 v[150:151], v[152:153], v[148:149] op_sel:[0,1]
	s_delay_alu instid0(VALU_DEP_2) | instskip(NEXT) | instid1(VALU_DEP_2)
	v_pk_add_f32 v[242:243], v[242:243], v[164:165] neg_lo:[0,1] neg_hi:[0,1]
	v_pk_fma_f32 v[154:155], v[152:153], v[138:139], v[150:151] op_sel:[0,0,1] op_sel_hi:[1,1,0] neg_lo:[0,0,1] neg_hi:[0,0,1]
	v_pk_fma_f32 v[150:151], v[152:153], v[138:139], v[150:151] op_sel:[0,0,1] op_sel_hi:[1,0,0]
	s_delay_alu instid0(VALU_DEP_1)
	v_mov_b32_e32 v155, v151
	ds_load_2addr_b64 v[150:153], v236 offset0:60 offset1:61
	v_pk_add_f32 v[238:239], v[238:239], v[154:155] neg_lo:[0,1] neg_hi:[0,1]
	s_wait_dscnt 0x0
	v_pk_mul_f32 v[154:155], v[150:151], v[148:149] op_sel:[0,1]
	v_mul_f32_e32 v148, v153, v149
	s_delay_alu instid0(VALU_DEP_2) | instskip(SKIP_2) | instid1(VALU_DEP_4)
	v_pk_fma_f32 v[164:165], v[150:151], v[138:139], v[154:155] op_sel:[0,0,1] op_sel_hi:[1,1,0] neg_lo:[0,0,1] neg_hi:[0,0,1]
	v_pk_fma_f32 v[150:151], v[150:151], v[138:139], v[154:155] op_sel:[0,0,1] op_sel_hi:[1,0,0]
	v_dual_mov_b32 v150, v153 :: v_dual_mul_f32 v138, v153, v138
	v_pk_fma_f32 v[148:149], v[152:153], v[158:159], v[148:149] op_sel_hi:[1,1,0] neg_lo:[0,0,1] neg_hi:[0,0,1]
	s_delay_alu instid0(VALU_DEP_3) | instskip(NEXT) | instid1(VALU_DEP_1)
	v_dual_mov_b32 v165, v151 :: v_dual_mov_b32 v151, v152
	v_pk_add_f32 v[246:247], v[246:247], v[164:165] neg_lo:[0,1] neg_hi:[0,1]
	s_delay_alu instid0(VALU_DEP_2) | instskip(NEXT) | instid1(VALU_DEP_1)
	v_pk_fma_f32 v[138:139], v[150:151], v[158:159], v[138:139] op_sel_hi:[1,1,0]
	v_mov_b32_e32 v149, v139
	s_delay_alu instid0(VALU_DEP_1)
	v_pk_add_f32 v[248:249], v[248:249], v[148:149] neg_lo:[0,1] neg_hi:[0,1]
.LBB123_343:
	s_or_b32 exec_lo, exec_lo, s1
	s_delay_alu instid0(SALU_CYCLE_1)
	s_mov_b32 s2, exec_lo
	s_wait_dscnt 0x0
	s_barrier_signal -1
	s_barrier_wait -1
	v_cmpx_eq_u32_e32 38, v234
	s_cbranch_execz .LBB123_350
; %bb.344:
	ds_store_b64 v235, v[160:161]
	ds_store_2addr_b64 v236, v[156:157], v[178:179] offset0:39 offset1:40
	ds_store_2addr_b64 v236, v[174:175], v[176:177] offset0:41 offset1:42
	;; [unrolled: 1-line block ×11, first 2 shown]
	ds_store_b64 v236, v[248:249] offset:488
	ds_load_b64 v[138:139], v235
	s_wait_dscnt 0x0
	v_cmp_neq_f32_e32 vcc_lo, 0, v138
	v_cmp_neq_f32_e64 s1, 0, v139
	s_or_b32 s1, vcc_lo, s1
	s_delay_alu instid0(SALU_CYCLE_1)
	s_and_b32 exec_lo, exec_lo, s1
	s_cbranch_execz .LBB123_350
; %bb.345:
	v_cmp_ngt_f32_e64 s1, |v138|, |v139|
                                        ; implicit-def: $vgpr148_vgpr149
	s_and_saveexec_b32 s4, s1
	s_delay_alu instid0(SALU_CYCLE_1)
	s_xor_b32 s1, exec_lo, s4
	s_cbranch_execz .LBB123_347
; %bb.346:
	v_div_scale_f32 v0, null, v139, v139, v138
	v_div_scale_f32 v149, vcc_lo, v138, v139, v138
	s_delay_alu instid0(VALU_DEP_2) | instskip(SKIP_1) | instid1(TRANS32_DEP_1)
	v_rcp_f32_e32 v1, v0
	v_nop
	v_fma_f32 v148, -v0, v1, 1.0
	s_delay_alu instid0(VALU_DEP_1) | instskip(NEXT) | instid1(VALU_DEP_1)
	v_fmac_f32_e32 v1, v148, v1
	v_mul_f32_e32 v148, v149, v1
	s_delay_alu instid0(VALU_DEP_1) | instskip(NEXT) | instid1(VALU_DEP_1)
	v_fma_f32 v150, -v0, v148, v149
	v_fmac_f32_e32 v148, v150, v1
	s_delay_alu instid0(VALU_DEP_1) | instskip(NEXT) | instid1(VALU_DEP_1)
	v_fma_f32 v0, -v0, v148, v149
	v_div_fmas_f32 v0, v0, v1, v148
	s_delay_alu instid0(VALU_DEP_1) | instskip(NEXT) | instid1(VALU_DEP_1)
	v_div_fixup_f32 v0, v0, v139, v138
	v_fmac_f32_e32 v139, v138, v0
	s_delay_alu instid0(VALU_DEP_1) | instskip(SKIP_1) | instid1(VALU_DEP_2)
	v_div_scale_f32 v1, null, v139, v139, 1.0
	v_div_scale_f32 v149, vcc_lo, 1.0, v139, 1.0
	v_rcp_f32_e32 v138, v1
	v_nop
	s_delay_alu instid0(TRANS32_DEP_1) | instskip(NEXT) | instid1(VALU_DEP_1)
	v_fma_f32 v148, -v1, v138, 1.0
	v_fmac_f32_e32 v138, v148, v138
	s_delay_alu instid0(VALU_DEP_1) | instskip(NEXT) | instid1(VALU_DEP_1)
	v_mul_f32_e32 v148, v149, v138
	v_fma_f32 v150, -v1, v148, v149
	s_delay_alu instid0(VALU_DEP_1) | instskip(NEXT) | instid1(VALU_DEP_1)
	v_fmac_f32_e32 v148, v150, v138
	v_fma_f32 v1, -v1, v148, v149
	s_delay_alu instid0(VALU_DEP_1) | instskip(NEXT) | instid1(VALU_DEP_1)
	v_div_fmas_f32 v1, v1, v138, v148
	v_div_fixup_f32 v1, v1, v139, 1.0
                                        ; implicit-def: $vgpr138_vgpr139
	s_delay_alu instid0(VALU_DEP_1)
	v_mul_f32_e32 v148, v0, v1
	v_xor_b32_e32 v149, 0x80000000, v1
.LBB123_347:
	s_and_not1_saveexec_b32 s1, s1
	s_cbranch_execz .LBB123_349
; %bb.348:
	v_div_scale_f32 v0, null, v138, v138, v139
	v_div_scale_f32 v149, vcc_lo, v139, v138, v139
	s_delay_alu instid0(VALU_DEP_2) | instskip(SKIP_1) | instid1(TRANS32_DEP_1)
	v_rcp_f32_e32 v1, v0
	v_nop
	v_fma_f32 v148, -v0, v1, 1.0
	s_delay_alu instid0(VALU_DEP_1) | instskip(NEXT) | instid1(VALU_DEP_1)
	v_fmac_f32_e32 v1, v148, v1
	v_mul_f32_e32 v148, v149, v1
	s_delay_alu instid0(VALU_DEP_1) | instskip(NEXT) | instid1(VALU_DEP_1)
	v_fma_f32 v150, -v0, v148, v149
	v_fmac_f32_e32 v148, v150, v1
	s_delay_alu instid0(VALU_DEP_1) | instskip(NEXT) | instid1(VALU_DEP_1)
	v_fma_f32 v0, -v0, v148, v149
	v_div_fmas_f32 v0, v0, v1, v148
	s_delay_alu instid0(VALU_DEP_1) | instskip(NEXT) | instid1(VALU_DEP_1)
	v_div_fixup_f32 v0, v0, v138, v139
	v_fmac_f32_e32 v138, v139, v0
	s_delay_alu instid0(VALU_DEP_1) | instskip(NEXT) | instid1(VALU_DEP_1)
	v_div_scale_f32 v1, null, v138, v138, 1.0
	v_rcp_f32_e32 v139, v1
	v_nop
	s_delay_alu instid0(TRANS32_DEP_1) | instskip(NEXT) | instid1(VALU_DEP_1)
	v_fma_f32 v148, -v1, v139, 1.0
	v_fmac_f32_e32 v139, v148, v139
	v_div_scale_f32 v148, vcc_lo, 1.0, v138, 1.0
	s_delay_alu instid0(VALU_DEP_1) | instskip(NEXT) | instid1(VALU_DEP_1)
	v_mul_f32_e32 v149, v148, v139
	v_fma_f32 v150, -v1, v149, v148
	s_delay_alu instid0(VALU_DEP_1) | instskip(NEXT) | instid1(VALU_DEP_1)
	v_fmac_f32_e32 v149, v150, v139
	v_fma_f32 v1, -v1, v149, v148
	s_delay_alu instid0(VALU_DEP_1) | instskip(NEXT) | instid1(VALU_DEP_1)
	v_div_fmas_f32 v1, v1, v139, v149
	v_div_fixup_f32 v148, v1, v138, 1.0
	s_delay_alu instid0(VALU_DEP_1)
	v_mul_f32_e64 v149, v0, -v148
.LBB123_349:
	s_or_b32 exec_lo, exec_lo, s1
	ds_store_b64 v235, v[148:149]
.LBB123_350:
	s_or_b32 exec_lo, exec_lo, s2
	s_wait_dscnt 0x0
	s_barrier_signal -1
	s_barrier_wait -1
	ds_load_b64 v[138:139], v235
	s_mov_b32 s1, exec_lo
	v_cmpx_lt_u32_e32 38, v234
	s_cbranch_execz .LBB123_352
; %bb.351:
	ds_load_2addr_b64 v[152:155], v236 offset0:39 offset1:40
	s_wait_dscnt 0x1
	v_pk_mul_f32 v[150:151], v[138:139], v[160:161] op_sel:[1,1] op_sel_hi:[0,1]
	s_delay_alu instid0(VALU_DEP_1) | instskip(SKIP_1) | instid1(VALU_DEP_1)
	v_pk_fma_f32 v[148:149], v[138:139], v[160:161], v[150:151] op_sel_hi:[1,0,1] neg_lo:[0,0,1] neg_hi:[0,0,1]
	v_pk_fma_f32 v[150:151], v[138:139], v[160:161], v[150:151] op_sel_hi:[1,0,1]
	v_dual_mov_b32 v160, v148 :: v_dual_mov_b32 v161, v151
	s_wait_dscnt 0x0
	s_delay_alu instid0(VALU_DEP_2) | instskip(NEXT) | instid1(VALU_DEP_1)
	v_pk_mul_f32 v[164:165], v[152:153], v[150:151] op_sel:[0,1]
	v_pk_fma_f32 v[166:167], v[152:153], v[148:149], v[164:165] op_sel:[0,0,1] op_sel_hi:[1,1,0] neg_lo:[0,0,1] neg_hi:[0,0,1]
	v_pk_fma_f32 v[152:153], v[152:153], v[148:149], v[164:165] op_sel:[0,0,1] op_sel_hi:[1,0,0]
	s_delay_alu instid0(VALU_DEP_1) | instskip(SKIP_1) | instid1(VALU_DEP_1)
	v_mov_b32_e32 v167, v153
	v_pk_mul_f32 v[152:153], v[154:155], v[150:151] op_sel:[0,1]
	v_pk_fma_f32 v[164:165], v[154:155], v[148:149], v[152:153] op_sel:[0,0,1] op_sel_hi:[1,1,0] neg_lo:[0,0,1] neg_hi:[0,0,1]
	v_pk_fma_f32 v[152:153], v[154:155], v[148:149], v[152:153] op_sel:[0,0,1] op_sel_hi:[1,0,0]
	s_delay_alu instid0(VALU_DEP_1)
	v_mov_b32_e32 v165, v153
	ds_load_2addr_b64 v[152:155], v236 offset0:41 offset1:42
	v_pk_add_f32 v[156:157], v[156:157], v[166:167] neg_lo:[0,1] neg_hi:[0,1]
	v_pk_add_f32 v[178:179], v[178:179], v[164:165] neg_lo:[0,1] neg_hi:[0,1]
	s_wait_dscnt 0x0
	v_pk_mul_f32 v[164:165], v[152:153], v[150:151] op_sel:[0,1]
	s_delay_alu instid0(VALU_DEP_1) | instskip(SKIP_2) | instid1(VALU_DEP_2)
	v_pk_fma_f32 v[166:167], v[152:153], v[148:149], v[164:165] op_sel:[0,0,1] op_sel_hi:[1,1,0] neg_lo:[0,0,1] neg_hi:[0,0,1]
	v_pk_fma_f32 v[152:153], v[152:153], v[148:149], v[164:165] op_sel:[0,0,1] op_sel_hi:[1,0,0]
	v_dual_mul_f32 v164, v155, v151 :: v_dual_mov_b32 v152, v155
	v_dual_mov_b32 v167, v153 :: v_dual_mov_b32 v153, v154
	s_delay_alu instid0(VALU_DEP_2) | instskip(SKIP_1) | instid1(VALU_DEP_3)
	v_pk_fma_f32 v[164:165], v[154:155], v[160:161], v[164:165] op_sel_hi:[1,1,0] neg_lo:[0,0,1] neg_hi:[0,0,1]
	v_mul_f32_e32 v154, v155, v148
	v_pk_add_f32 v[174:175], v[174:175], v[166:167] neg_lo:[0,1] neg_hi:[0,1]
	s_delay_alu instid0(VALU_DEP_2) | instskip(NEXT) | instid1(VALU_DEP_1)
	v_pk_fma_f32 v[152:153], v[152:153], v[160:161], v[154:155] op_sel_hi:[1,1,0]
	v_mov_b32_e32 v165, v153
	ds_load_2addr_b64 v[152:155], v236 offset0:43 offset1:44
	v_pk_add_f32 v[176:177], v[176:177], v[164:165] neg_lo:[0,1] neg_hi:[0,1]
	s_wait_dscnt 0x0
	v_pk_mul_f32 v[164:165], v[152:153], v[150:151] op_sel:[0,1]
	s_delay_alu instid0(VALU_DEP_1) | instskip(SKIP_1) | instid1(VALU_DEP_1)
	v_pk_fma_f32 v[166:167], v[152:153], v[148:149], v[164:165] op_sel:[0,0,1] op_sel_hi:[1,1,0] neg_lo:[0,0,1] neg_hi:[0,0,1]
	v_pk_fma_f32 v[152:153], v[152:153], v[148:149], v[164:165] op_sel:[0,0,1] op_sel_hi:[1,0,0]
	v_mov_b32_e32 v167, v153
	v_pk_mul_f32 v[152:153], v[154:155], v[150:151] op_sel:[0,1]
	s_delay_alu instid0(VALU_DEP_1) | instskip(SKIP_1) | instid1(VALU_DEP_1)
	v_pk_fma_f32 v[164:165], v[154:155], v[148:149], v[152:153] op_sel:[0,0,1] op_sel_hi:[1,1,0] neg_lo:[0,0,1] neg_hi:[0,0,1]
	v_pk_fma_f32 v[152:153], v[154:155], v[148:149], v[152:153] op_sel:[0,0,1] op_sel_hi:[1,0,0]
	v_mov_b32_e32 v165, v153
	ds_load_2addr_b64 v[152:155], v236 offset0:45 offset1:46
	v_pk_add_f32 v[172:173], v[172:173], v[166:167] neg_lo:[0,1] neg_hi:[0,1]
	v_pk_add_f32 v[194:195], v[194:195], v[164:165] neg_lo:[0,1] neg_hi:[0,1]
	s_wait_dscnt 0x0
	v_pk_mul_f32 v[164:165], v[152:153], v[150:151] op_sel:[0,1]
	s_delay_alu instid0(VALU_DEP_1) | instskip(SKIP_1) | instid1(VALU_DEP_1)
	v_pk_fma_f32 v[166:167], v[152:153], v[148:149], v[164:165] op_sel:[0,0,1] op_sel_hi:[1,1,0] neg_lo:[0,0,1] neg_hi:[0,0,1]
	v_pk_fma_f32 v[152:153], v[152:153], v[148:149], v[164:165] op_sel:[0,0,1] op_sel_hi:[1,0,0]
	v_mov_b32_e32 v167, v153
	v_pk_mul_f32 v[152:153], v[154:155], v[150:151] op_sel:[0,1]
	s_delay_alu instid0(VALU_DEP_1) | instskip(SKIP_1) | instid1(VALU_DEP_1)
	v_pk_fma_f32 v[164:165], v[154:155], v[148:149], v[152:153] op_sel:[0,0,1] op_sel_hi:[1,1,0] neg_lo:[0,0,1] neg_hi:[0,0,1]
	v_pk_fma_f32 v[152:153], v[154:155], v[148:149], v[152:153] op_sel:[0,0,1] op_sel_hi:[1,0,0]
	v_mov_b32_e32 v165, v153
	ds_load_2addr_b64 v[152:155], v236 offset0:47 offset1:48
	v_pk_add_f32 v[190:191], v[190:191], v[166:167] neg_lo:[0,1] neg_hi:[0,1]
	v_pk_add_f32 v[192:193], v[192:193], v[164:165] neg_lo:[0,1] neg_hi:[0,1]
	s_wait_dscnt 0x0
	v_dual_mul_f32 v164, v153, v151 :: v_dual_mul_f32 v166, v153, v148
	s_delay_alu instid0(VALU_DEP_1) | instskip(NEXT) | instid1(VALU_DEP_2)
	v_pk_fma_f32 v[164:165], v[152:153], v[160:161], v[164:165] op_sel_hi:[1,1,0] neg_lo:[0,0,1] neg_hi:[0,0,1]
	v_pk_fma_f32 v[152:153], v[152:153], v[160:161], v[166:167] op_sel:[1,0,0] op_sel_hi:[0,1,0]
	s_delay_alu instid0(VALU_DEP_1) | instskip(SKIP_1) | instid1(VALU_DEP_2)
	v_mov_b32_e32 v165, v153
	v_pk_mul_f32 v[152:153], v[154:155], v[150:151] op_sel:[0,1]
	v_pk_add_f32 v[188:189], v[188:189], v[164:165] neg_lo:[0,1] neg_hi:[0,1]
	s_delay_alu instid0(VALU_DEP_2) | instskip(SKIP_1) | instid1(VALU_DEP_1)
	v_pk_fma_f32 v[164:165], v[154:155], v[148:149], v[152:153] op_sel:[0,0,1] op_sel_hi:[1,1,0] neg_lo:[0,0,1] neg_hi:[0,0,1]
	v_pk_fma_f32 v[152:153], v[154:155], v[148:149], v[152:153] op_sel:[0,0,1] op_sel_hi:[1,0,0]
	v_mov_b32_e32 v165, v153
	ds_load_2addr_b64 v[152:155], v236 offset0:49 offset1:50
	v_pk_add_f32 v[210:211], v[210:211], v[164:165] neg_lo:[0,1] neg_hi:[0,1]
	s_wait_dscnt 0x0
	v_pk_mul_f32 v[164:165], v[152:153], v[150:151] op_sel:[0,1]
	s_delay_alu instid0(VALU_DEP_1) | instskip(SKIP_1) | instid1(VALU_DEP_1)
	v_pk_fma_f32 v[166:167], v[152:153], v[148:149], v[164:165] op_sel:[0,0,1] op_sel_hi:[1,1,0] neg_lo:[0,0,1] neg_hi:[0,0,1]
	v_pk_fma_f32 v[152:153], v[152:153], v[148:149], v[164:165] op_sel:[0,0,1] op_sel_hi:[1,0,0]
	v_mov_b32_e32 v167, v153
	v_pk_mul_f32 v[152:153], v[154:155], v[150:151] op_sel:[0,1]
	s_delay_alu instid0(VALU_DEP_2) | instskip(NEXT) | instid1(VALU_DEP_2)
	v_pk_add_f32 v[206:207], v[206:207], v[166:167] neg_lo:[0,1] neg_hi:[0,1]
	v_pk_fma_f32 v[164:165], v[154:155], v[148:149], v[152:153] op_sel:[0,0,1] op_sel_hi:[1,1,0] neg_lo:[0,0,1] neg_hi:[0,0,1]
	v_pk_fma_f32 v[152:153], v[154:155], v[148:149], v[152:153] op_sel:[0,0,1] op_sel_hi:[1,0,0]
	s_delay_alu instid0(VALU_DEP_1) | instskip(SKIP_4) | instid1(VALU_DEP_1)
	v_mov_b32_e32 v165, v153
	ds_load_2addr_b64 v[152:155], v236 offset0:51 offset1:52
	v_pk_add_f32 v[208:209], v[208:209], v[164:165] neg_lo:[0,1] neg_hi:[0,1]
	s_wait_dscnt 0x0
	v_pk_mul_f32 v[164:165], v[152:153], v[150:151] op_sel:[0,1]
	v_pk_fma_f32 v[166:167], v[152:153], v[148:149], v[164:165] op_sel:[0,0,1] op_sel_hi:[1,1,0] neg_lo:[0,0,1] neg_hi:[0,0,1]
	v_pk_fma_f32 v[152:153], v[152:153], v[148:149], v[164:165] op_sel:[0,0,1] op_sel_hi:[1,0,0]
	v_dual_mul_f32 v164, v155, v151 :: v_dual_mov_b32 v152, v155
	s_delay_alu instid0(VALU_DEP_2) | instskip(NEXT) | instid1(VALU_DEP_2)
	v_dual_mov_b32 v167, v153 :: v_dual_mov_b32 v153, v154
	v_pk_fma_f32 v[164:165], v[154:155], v[160:161], v[164:165] op_sel_hi:[1,1,0] neg_lo:[0,0,1] neg_hi:[0,0,1]
	v_mul_f32_e32 v154, v155, v148
	s_delay_alu instid0(VALU_DEP_3) | instskip(NEXT) | instid1(VALU_DEP_2)
	v_pk_add_f32 v[204:205], v[204:205], v[166:167] neg_lo:[0,1] neg_hi:[0,1]
	v_pk_fma_f32 v[152:153], v[152:153], v[160:161], v[154:155] op_sel_hi:[1,1,0]
	s_delay_alu instid0(VALU_DEP_1) | instskip(SKIP_4) | instid1(VALU_DEP_1)
	v_mov_b32_e32 v165, v153
	ds_load_2addr_b64 v[152:155], v236 offset0:53 offset1:54
	v_pk_add_f32 v[228:229], v[228:229], v[164:165] neg_lo:[0,1] neg_hi:[0,1]
	s_wait_dscnt 0x0
	v_pk_mul_f32 v[164:165], v[152:153], v[150:151] op_sel:[0,1]
	v_pk_fma_f32 v[166:167], v[152:153], v[148:149], v[164:165] op_sel:[0,0,1] op_sel_hi:[1,1,0] neg_lo:[0,0,1] neg_hi:[0,0,1]
	v_pk_fma_f32 v[152:153], v[152:153], v[148:149], v[164:165] op_sel:[0,0,1] op_sel_hi:[1,0,0]
	s_delay_alu instid0(VALU_DEP_1) | instskip(SKIP_1) | instid1(VALU_DEP_1)
	v_mov_b32_e32 v167, v153
	v_pk_mul_f32 v[152:153], v[154:155], v[150:151] op_sel:[0,1]
	v_pk_fma_f32 v[164:165], v[154:155], v[148:149], v[152:153] op_sel:[0,0,1] op_sel_hi:[1,1,0] neg_lo:[0,0,1] neg_hi:[0,0,1]
	v_pk_fma_f32 v[152:153], v[154:155], v[148:149], v[152:153] op_sel:[0,0,1] op_sel_hi:[1,0,0]
	s_delay_alu instid0(VALU_DEP_1)
	v_mov_b32_e32 v165, v153
	ds_load_2addr_b64 v[152:155], v236 offset0:55 offset1:56
	v_pk_add_f32 v[224:225], v[224:225], v[166:167] neg_lo:[0,1] neg_hi:[0,1]
	v_pk_add_f32 v[226:227], v[226:227], v[164:165] neg_lo:[0,1] neg_hi:[0,1]
	s_wait_dscnt 0x0
	v_pk_mul_f32 v[164:165], v[152:153], v[150:151] op_sel:[0,1]
	s_delay_alu instid0(VALU_DEP_1) | instskip(SKIP_1) | instid1(VALU_DEP_1)
	v_pk_fma_f32 v[166:167], v[152:153], v[148:149], v[164:165] op_sel:[0,0,1] op_sel_hi:[1,1,0] neg_lo:[0,0,1] neg_hi:[0,0,1]
	v_pk_fma_f32 v[152:153], v[152:153], v[148:149], v[164:165] op_sel:[0,0,1] op_sel_hi:[1,0,0]
	v_mov_b32_e32 v167, v153
	v_pk_mul_f32 v[152:153], v[154:155], v[150:151] op_sel:[0,1]
	s_delay_alu instid0(VALU_DEP_1) | instskip(SKIP_1) | instid1(VALU_DEP_1)
	v_pk_fma_f32 v[164:165], v[154:155], v[148:149], v[152:153] op_sel:[0,0,1] op_sel_hi:[1,1,0] neg_lo:[0,0,1] neg_hi:[0,0,1]
	v_pk_fma_f32 v[152:153], v[154:155], v[148:149], v[152:153] op_sel:[0,0,1] op_sel_hi:[1,0,0]
	v_mov_b32_e32 v165, v153
	ds_load_2addr_b64 v[152:155], v236 offset0:57 offset1:58
	v_pk_add_f32 v[222:223], v[222:223], v[166:167] neg_lo:[0,1] neg_hi:[0,1]
	v_pk_add_f32 v[244:245], v[244:245], v[164:165] neg_lo:[0,1] neg_hi:[0,1]
	s_wait_dscnt 0x0
	v_dual_mul_f32 v164, v153, v151 :: v_dual_mul_f32 v166, v153, v148
	s_delay_alu instid0(VALU_DEP_1) | instskip(NEXT) | instid1(VALU_DEP_2)
	v_pk_fma_f32 v[164:165], v[152:153], v[160:161], v[164:165] op_sel_hi:[1,1,0] neg_lo:[0,0,1] neg_hi:[0,0,1]
	v_pk_fma_f32 v[152:153], v[152:153], v[160:161], v[166:167] op_sel:[1,0,0] op_sel_hi:[0,1,0]
	s_delay_alu instid0(VALU_DEP_1) | instskip(SKIP_1) | instid1(VALU_DEP_2)
	v_mov_b32_e32 v165, v153
	v_pk_mul_f32 v[152:153], v[154:155], v[150:151] op_sel:[0,1]
	v_pk_add_f32 v[240:241], v[240:241], v[164:165] neg_lo:[0,1] neg_hi:[0,1]
	s_delay_alu instid0(VALU_DEP_2) | instskip(SKIP_1) | instid1(VALU_DEP_1)
	v_pk_fma_f32 v[164:165], v[154:155], v[148:149], v[152:153] op_sel:[0,0,1] op_sel_hi:[1,1,0] neg_lo:[0,0,1] neg_hi:[0,0,1]
	v_pk_fma_f32 v[152:153], v[154:155], v[148:149], v[152:153] op_sel:[0,0,1] op_sel_hi:[1,0,0]
	v_mov_b32_e32 v165, v153
	ds_load_2addr_b64 v[152:155], v236 offset0:59 offset1:60
	v_pk_add_f32 v[242:243], v[242:243], v[164:165] neg_lo:[0,1] neg_hi:[0,1]
	s_wait_dscnt 0x0
	v_pk_mul_f32 v[164:165], v[152:153], v[150:151] op_sel:[0,1]
	s_delay_alu instid0(VALU_DEP_1) | instskip(SKIP_1) | instid1(VALU_DEP_1)
	v_pk_fma_f32 v[166:167], v[152:153], v[148:149], v[164:165] op_sel:[0,0,1] op_sel_hi:[1,1,0] neg_lo:[0,0,1] neg_hi:[0,0,1]
	v_pk_fma_f32 v[152:153], v[152:153], v[148:149], v[164:165] op_sel:[0,0,1] op_sel_hi:[1,0,0]
	v_mov_b32_e32 v167, v153
	v_pk_mul_f32 v[152:153], v[154:155], v[150:151] op_sel:[0,1]
	s_delay_alu instid0(VALU_DEP_2) | instskip(NEXT) | instid1(VALU_DEP_2)
	v_pk_add_f32 v[238:239], v[238:239], v[166:167] neg_lo:[0,1] neg_hi:[0,1]
	v_pk_fma_f32 v[164:165], v[154:155], v[148:149], v[152:153] op_sel:[0,0,1] op_sel_hi:[1,1,0] neg_lo:[0,0,1] neg_hi:[0,0,1]
	v_pk_fma_f32 v[152:153], v[154:155], v[148:149], v[152:153] op_sel:[0,0,1] op_sel_hi:[1,0,0]
	s_delay_alu instid0(VALU_DEP_1) | instskip(SKIP_4) | instid1(VALU_DEP_1)
	v_mov_b32_e32 v165, v153
	ds_load_b64 v[152:153], v236 offset:488
	v_pk_add_f32 v[246:247], v[246:247], v[164:165] neg_lo:[0,1] neg_hi:[0,1]
	s_wait_dscnt 0x0
	v_pk_mul_f32 v[150:151], v[152:153], v[150:151] op_sel:[0,1]
	v_pk_fma_f32 v[154:155], v[152:153], v[148:149], v[150:151] op_sel:[0,0,1] op_sel_hi:[1,1,0] neg_lo:[0,0,1] neg_hi:[0,0,1]
	v_pk_fma_f32 v[148:149], v[152:153], v[148:149], v[150:151] op_sel:[0,0,1] op_sel_hi:[1,0,0]
	s_delay_alu instid0(VALU_DEP_1) | instskip(NEXT) | instid1(VALU_DEP_1)
	v_mov_b32_e32 v155, v149
	v_pk_add_f32 v[248:249], v[248:249], v[154:155] neg_lo:[0,1] neg_hi:[0,1]
.LBB123_352:
	s_or_b32 exec_lo, exec_lo, s1
	s_delay_alu instid0(SALU_CYCLE_1)
	s_mov_b32 s2, exec_lo
	s_wait_dscnt 0x0
	s_barrier_signal -1
	s_barrier_wait -1
	v_cmpx_eq_u32_e32 39, v234
	s_cbranch_execz .LBB123_359
; %bb.353:
	v_dual_mov_b32 v148, v178 :: v_dual_mov_b32 v149, v179
	v_dual_mov_b32 v150, v174 :: v_dual_mov_b32 v151, v175
	ds_store_b64 v235, v[156:157]
	ds_store_2addr_b64 v236, v[148:149], v[150:151] offset0:40 offset1:41
	v_dual_mov_b32 v148, v176 :: v_dual_mov_b32 v149, v177
	v_dual_mov_b32 v150, v172 :: v_dual_mov_b32 v151, v173
	ds_store_2addr_b64 v236, v[148:149], v[150:151] offset0:42 offset1:43
	v_dual_mov_b32 v148, v194 :: v_dual_mov_b32 v149, v195
	v_dual_mov_b32 v150, v190 :: v_dual_mov_b32 v151, v191
	ds_store_2addr_b64 v236, v[148:149], v[150:151] offset0:44 offset1:45
	v_dual_mov_b32 v148, v192 :: v_dual_mov_b32 v149, v193
	v_dual_mov_b32 v150, v188 :: v_dual_mov_b32 v151, v189
	ds_store_2addr_b64 v236, v[148:149], v[150:151] offset0:46 offset1:47
	v_dual_mov_b32 v148, v210 :: v_dual_mov_b32 v149, v211
	v_dual_mov_b32 v150, v206 :: v_dual_mov_b32 v151, v207
	ds_store_2addr_b64 v236, v[148:149], v[150:151] offset0:48 offset1:49
	v_dual_mov_b32 v148, v208 :: v_dual_mov_b32 v149, v209
	v_dual_mov_b32 v150, v204 :: v_dual_mov_b32 v151, v205
	ds_store_2addr_b64 v236, v[148:149], v[150:151] offset0:50 offset1:51
	v_dual_mov_b32 v148, v228 :: v_dual_mov_b32 v149, v229
	v_dual_mov_b32 v150, v224 :: v_dual_mov_b32 v151, v225
	ds_store_2addr_b64 v236, v[148:149], v[150:151] offset0:52 offset1:53
	v_dual_mov_b32 v148, v226 :: v_dual_mov_b32 v149, v227
	v_dual_mov_b32 v150, v222 :: v_dual_mov_b32 v151, v223
	ds_store_2addr_b64 v236, v[148:149], v[150:151] offset0:54 offset1:55
	v_dual_mov_b32 v148, v244 :: v_dual_mov_b32 v149, v245
	v_dual_mov_b32 v150, v240 :: v_dual_mov_b32 v151, v241
	ds_store_2addr_b64 v236, v[148:149], v[150:151] offset0:56 offset1:57
	v_dual_mov_b32 v148, v242 :: v_dual_mov_b32 v149, v243
	v_dual_mov_b32 v150, v238 :: v_dual_mov_b32 v151, v239
	ds_store_2addr_b64 v236, v[148:149], v[150:151] offset0:58 offset1:59
	v_dual_mov_b32 v148, v246 :: v_dual_mov_b32 v149, v247
	ds_store_2addr_b64 v236, v[148:149], v[248:249] offset0:60 offset1:61
	ds_load_b64 v[148:149], v235
	s_wait_dscnt 0x0
	v_cmp_neq_f32_e32 vcc_lo, 0, v148
	v_cmp_neq_f32_e64 s1, 0, v149
	s_or_b32 s1, vcc_lo, s1
	s_delay_alu instid0(SALU_CYCLE_1)
	s_and_b32 exec_lo, exec_lo, s1
	s_cbranch_execz .LBB123_359
; %bb.354:
	v_cmp_ngt_f32_e64 s1, |v148|, |v149|
                                        ; implicit-def: $vgpr150_vgpr151
	s_and_saveexec_b32 s4, s1
	s_delay_alu instid0(SALU_CYCLE_1)
	s_xor_b32 s1, exec_lo, s4
	s_cbranch_execz .LBB123_356
; %bb.355:
	v_div_scale_f32 v0, null, v149, v149, v148
	v_div_scale_f32 v151, vcc_lo, v148, v149, v148
	s_delay_alu instid0(VALU_DEP_2) | instskip(SKIP_1) | instid1(TRANS32_DEP_1)
	v_rcp_f32_e32 v1, v0
	v_nop
	v_fma_f32 v150, -v0, v1, 1.0
	s_delay_alu instid0(VALU_DEP_1) | instskip(NEXT) | instid1(VALU_DEP_1)
	v_fmac_f32_e32 v1, v150, v1
	v_mul_f32_e32 v150, v151, v1
	s_delay_alu instid0(VALU_DEP_1) | instskip(NEXT) | instid1(VALU_DEP_1)
	v_fma_f32 v152, -v0, v150, v151
	v_fmac_f32_e32 v150, v152, v1
	s_delay_alu instid0(VALU_DEP_1) | instskip(NEXT) | instid1(VALU_DEP_1)
	v_fma_f32 v0, -v0, v150, v151
	v_div_fmas_f32 v0, v0, v1, v150
	s_delay_alu instid0(VALU_DEP_1) | instskip(NEXT) | instid1(VALU_DEP_1)
	v_div_fixup_f32 v0, v0, v149, v148
	v_fmac_f32_e32 v149, v148, v0
	s_delay_alu instid0(VALU_DEP_1) | instskip(SKIP_1) | instid1(VALU_DEP_2)
	v_div_scale_f32 v1, null, v149, v149, 1.0
	v_div_scale_f32 v151, vcc_lo, 1.0, v149, 1.0
	v_rcp_f32_e32 v148, v1
	v_nop
	s_delay_alu instid0(TRANS32_DEP_1) | instskip(NEXT) | instid1(VALU_DEP_1)
	v_fma_f32 v150, -v1, v148, 1.0
	v_fmac_f32_e32 v148, v150, v148
	s_delay_alu instid0(VALU_DEP_1) | instskip(NEXT) | instid1(VALU_DEP_1)
	v_mul_f32_e32 v150, v151, v148
	v_fma_f32 v152, -v1, v150, v151
	s_delay_alu instid0(VALU_DEP_1) | instskip(NEXT) | instid1(VALU_DEP_1)
	v_fmac_f32_e32 v150, v152, v148
	v_fma_f32 v1, -v1, v150, v151
	s_delay_alu instid0(VALU_DEP_1) | instskip(NEXT) | instid1(VALU_DEP_1)
	v_div_fmas_f32 v1, v1, v148, v150
	v_div_fixup_f32 v1, v1, v149, 1.0
                                        ; implicit-def: $vgpr148_vgpr149
	s_delay_alu instid0(VALU_DEP_1)
	v_mul_f32_e32 v150, v0, v1
	v_xor_b32_e32 v151, 0x80000000, v1
.LBB123_356:
	s_and_not1_saveexec_b32 s1, s1
	s_cbranch_execz .LBB123_358
; %bb.357:
	v_div_scale_f32 v0, null, v148, v148, v149
	v_div_scale_f32 v151, vcc_lo, v149, v148, v149
	s_delay_alu instid0(VALU_DEP_2) | instskip(SKIP_1) | instid1(TRANS32_DEP_1)
	v_rcp_f32_e32 v1, v0
	v_nop
	v_fma_f32 v150, -v0, v1, 1.0
	s_delay_alu instid0(VALU_DEP_1) | instskip(NEXT) | instid1(VALU_DEP_1)
	v_fmac_f32_e32 v1, v150, v1
	v_mul_f32_e32 v150, v151, v1
	s_delay_alu instid0(VALU_DEP_1) | instskip(NEXT) | instid1(VALU_DEP_1)
	v_fma_f32 v152, -v0, v150, v151
	v_fmac_f32_e32 v150, v152, v1
	s_delay_alu instid0(VALU_DEP_1) | instskip(NEXT) | instid1(VALU_DEP_1)
	v_fma_f32 v0, -v0, v150, v151
	v_div_fmas_f32 v0, v0, v1, v150
	s_delay_alu instid0(VALU_DEP_1) | instskip(NEXT) | instid1(VALU_DEP_1)
	v_div_fixup_f32 v0, v0, v148, v149
	v_fmac_f32_e32 v148, v149, v0
	s_delay_alu instid0(VALU_DEP_1) | instskip(NEXT) | instid1(VALU_DEP_1)
	v_div_scale_f32 v1, null, v148, v148, 1.0
	v_rcp_f32_e32 v149, v1
	v_nop
	s_delay_alu instid0(TRANS32_DEP_1) | instskip(NEXT) | instid1(VALU_DEP_1)
	v_fma_f32 v150, -v1, v149, 1.0
	v_fmac_f32_e32 v149, v150, v149
	v_div_scale_f32 v150, vcc_lo, 1.0, v148, 1.0
	s_delay_alu instid0(VALU_DEP_1) | instskip(NEXT) | instid1(VALU_DEP_1)
	v_mul_f32_e32 v151, v150, v149
	v_fma_f32 v152, -v1, v151, v150
	s_delay_alu instid0(VALU_DEP_1) | instskip(NEXT) | instid1(VALU_DEP_1)
	v_fmac_f32_e32 v151, v152, v149
	v_fma_f32 v1, -v1, v151, v150
	s_delay_alu instid0(VALU_DEP_1) | instskip(NEXT) | instid1(VALU_DEP_1)
	v_div_fmas_f32 v1, v1, v149, v151
	v_div_fixup_f32 v150, v1, v148, 1.0
	s_delay_alu instid0(VALU_DEP_1)
	v_mul_f32_e64 v151, v0, -v150
.LBB123_358:
	s_or_b32 exec_lo, exec_lo, s1
	ds_store_b64 v235, v[150:151]
.LBB123_359:
	s_or_b32 exec_lo, exec_lo, s2
	s_wait_dscnt 0x0
	s_barrier_signal -1
	s_barrier_wait -1
	ds_load_b64 v[148:149], v235
	s_mov_b32 s1, exec_lo
	v_cmpx_lt_u32_e32 39, v234
	s_cbranch_execz .LBB123_361
; %bb.360:
	ds_load_2addr_b64 v[164:167], v236 offset0:40 offset1:41
	s_wait_dscnt 0x1
	v_pk_mul_f32 v[152:153], v[148:149], v[156:157] op_sel:[1,1] op_sel_hi:[0,1]
	s_delay_alu instid0(VALU_DEP_1) | instskip(SKIP_1) | instid1(VALU_DEP_1)
	v_pk_fma_f32 v[150:151], v[148:149], v[156:157], v[152:153] op_sel_hi:[1,0,1] neg_lo:[0,0,1] neg_hi:[0,0,1]
	v_pk_fma_f32 v[152:153], v[148:149], v[156:157], v[152:153] op_sel_hi:[1,0,1]
	v_dual_mov_b32 v156, v150 :: v_dual_mov_b32 v157, v153
	s_wait_dscnt 0x0
	s_delay_alu instid0(VALU_DEP_2) | instskip(NEXT) | instid1(VALU_DEP_1)
	v_pk_mul_f32 v[154:155], v[164:165], v[152:153] op_sel:[0,1]
	v_pk_fma_f32 v[168:169], v[164:165], v[150:151], v[154:155] op_sel:[0,0,1] op_sel_hi:[1,1,0] neg_lo:[0,0,1] neg_hi:[0,0,1]
	v_pk_fma_f32 v[154:155], v[164:165], v[150:151], v[154:155] op_sel:[0,0,1] op_sel_hi:[1,0,0]
	s_delay_alu instid0(VALU_DEP_1) | instskip(SKIP_1) | instid1(VALU_DEP_1)
	v_mov_b32_e32 v169, v155
	v_pk_mul_f32 v[154:155], v[166:167], v[152:153] op_sel:[0,1]
	v_pk_fma_f32 v[164:165], v[166:167], v[150:151], v[154:155] op_sel:[0,0,1] op_sel_hi:[1,1,0] neg_lo:[0,0,1] neg_hi:[0,0,1]
	v_pk_fma_f32 v[154:155], v[166:167], v[150:151], v[154:155] op_sel:[0,0,1] op_sel_hi:[1,0,0]
	s_delay_alu instid0(VALU_DEP_1) | instskip(SKIP_1) | instid1(VALU_DEP_2)
	v_mov_b32_e32 v165, v155
	v_pk_add_f32 v[178:179], v[178:179], v[168:169] neg_lo:[0,1] neg_hi:[0,1]
	v_pk_add_f32 v[174:175], v[174:175], v[164:165] neg_lo:[0,1] neg_hi:[0,1]
	ds_load_2addr_b64 v[164:167], v236 offset0:42 offset1:43
	s_wait_dscnt 0x0
	v_pk_mul_f32 v[154:155], v[164:165], v[152:153] op_sel:[0,1]
	s_delay_alu instid0(VALU_DEP_1) | instskip(SKIP_2) | instid1(VALU_DEP_2)
	v_pk_fma_f32 v[168:169], v[164:165], v[150:151], v[154:155] op_sel:[0,0,1] op_sel_hi:[1,1,0] neg_lo:[0,0,1] neg_hi:[0,0,1]
	v_pk_fma_f32 v[154:155], v[164:165], v[150:151], v[154:155] op_sel:[0,0,1] op_sel_hi:[1,0,0]
	v_dual_mul_f32 v164, v167, v153 :: v_dual_mov_b32 v154, v167
	v_dual_mov_b32 v169, v155 :: v_dual_mov_b32 v155, v166
	s_delay_alu instid0(VALU_DEP_2) | instskip(SKIP_1) | instid1(VALU_DEP_3)
	v_pk_fma_f32 v[164:165], v[166:167], v[156:157], v[164:165] op_sel_hi:[1,1,0] neg_lo:[0,0,1] neg_hi:[0,0,1]
	v_mul_f32_e32 v166, v167, v150
	v_pk_add_f32 v[176:177], v[176:177], v[168:169] neg_lo:[0,1] neg_hi:[0,1]
	s_delay_alu instid0(VALU_DEP_2) | instskip(NEXT) | instid1(VALU_DEP_1)
	v_pk_fma_f32 v[154:155], v[154:155], v[156:157], v[166:167] op_sel_hi:[1,1,0]
	v_mov_b32_e32 v165, v155
	s_delay_alu instid0(VALU_DEP_1) | instskip(SKIP_3) | instid1(VALU_DEP_1)
	v_pk_add_f32 v[172:173], v[172:173], v[164:165] neg_lo:[0,1] neg_hi:[0,1]
	ds_load_2addr_b64 v[164:167], v236 offset0:44 offset1:45
	s_wait_dscnt 0x0
	v_pk_mul_f32 v[154:155], v[164:165], v[152:153] op_sel:[0,1]
	v_pk_fma_f32 v[168:169], v[164:165], v[150:151], v[154:155] op_sel:[0,0,1] op_sel_hi:[1,1,0] neg_lo:[0,0,1] neg_hi:[0,0,1]
	v_pk_fma_f32 v[154:155], v[164:165], v[150:151], v[154:155] op_sel:[0,0,1] op_sel_hi:[1,0,0]
	s_delay_alu instid0(VALU_DEP_1) | instskip(SKIP_1) | instid1(VALU_DEP_2)
	v_mov_b32_e32 v169, v155
	v_pk_mul_f32 v[154:155], v[166:167], v[152:153] op_sel:[0,1]
	v_pk_add_f32 v[194:195], v[194:195], v[168:169] neg_lo:[0,1] neg_hi:[0,1]
	s_delay_alu instid0(VALU_DEP_2) | instskip(SKIP_1) | instid1(VALU_DEP_1)
	v_pk_fma_f32 v[164:165], v[166:167], v[150:151], v[154:155] op_sel:[0,0,1] op_sel_hi:[1,1,0] neg_lo:[0,0,1] neg_hi:[0,0,1]
	v_pk_fma_f32 v[154:155], v[166:167], v[150:151], v[154:155] op_sel:[0,0,1] op_sel_hi:[1,0,0]
	v_mov_b32_e32 v165, v155
	s_delay_alu instid0(VALU_DEP_1) | instskip(SKIP_3) | instid1(VALU_DEP_1)
	v_pk_add_f32 v[190:191], v[190:191], v[164:165] neg_lo:[0,1] neg_hi:[0,1]
	ds_load_2addr_b64 v[164:167], v236 offset0:46 offset1:47
	s_wait_dscnt 0x0
	v_pk_mul_f32 v[154:155], v[164:165], v[152:153] op_sel:[0,1]
	v_pk_fma_f32 v[168:169], v[164:165], v[150:151], v[154:155] op_sel:[0,0,1] op_sel_hi:[1,1,0] neg_lo:[0,0,1] neg_hi:[0,0,1]
	v_pk_fma_f32 v[154:155], v[164:165], v[150:151], v[154:155] op_sel:[0,0,1] op_sel_hi:[1,0,0]
	s_delay_alu instid0(VALU_DEP_1) | instskip(SKIP_1) | instid1(VALU_DEP_2)
	v_mov_b32_e32 v169, v155
	v_pk_mul_f32 v[154:155], v[166:167], v[152:153] op_sel:[0,1]
	v_pk_add_f32 v[192:193], v[192:193], v[168:169] neg_lo:[0,1] neg_hi:[0,1]
	s_delay_alu instid0(VALU_DEP_2) | instskip(SKIP_1) | instid1(VALU_DEP_1)
	v_pk_fma_f32 v[164:165], v[166:167], v[150:151], v[154:155] op_sel:[0,0,1] op_sel_hi:[1,1,0] neg_lo:[0,0,1] neg_hi:[0,0,1]
	v_pk_fma_f32 v[154:155], v[166:167], v[150:151], v[154:155] op_sel:[0,0,1] op_sel_hi:[1,0,0]
	v_mov_b32_e32 v165, v155
	s_delay_alu instid0(VALU_DEP_1) | instskip(SKIP_3) | instid1(VALU_DEP_1)
	v_pk_add_f32 v[188:189], v[188:189], v[164:165] neg_lo:[0,1] neg_hi:[0,1]
	ds_load_2addr_b64 v[164:167], v236 offset0:48 offset1:49
	s_wait_dscnt 0x0
	v_dual_mul_f32 v154, v165, v153 :: v_dual_mul_f32 v168, v165, v150
	v_pk_fma_f32 v[154:155], v[164:165], v[156:157], v[154:155] op_sel_hi:[1,1,0] neg_lo:[0,0,1] neg_hi:[0,0,1]
	s_delay_alu instid0(VALU_DEP_2) | instskip(NEXT) | instid1(VALU_DEP_1)
	v_pk_fma_f32 v[164:165], v[164:165], v[156:157], v[168:169] op_sel:[1,0,0] op_sel_hi:[0,1,0]
	v_mov_b32_e32 v155, v165
	s_delay_alu instid0(VALU_DEP_1) | instskip(SKIP_1) | instid1(VALU_DEP_1)
	v_pk_add_f32 v[210:211], v[210:211], v[154:155] neg_lo:[0,1] neg_hi:[0,1]
	v_pk_mul_f32 v[154:155], v[166:167], v[152:153] op_sel:[0,1]
	v_pk_fma_f32 v[164:165], v[166:167], v[150:151], v[154:155] op_sel:[0,0,1] op_sel_hi:[1,1,0] neg_lo:[0,0,1] neg_hi:[0,0,1]
	v_pk_fma_f32 v[154:155], v[166:167], v[150:151], v[154:155] op_sel:[0,0,1] op_sel_hi:[1,0,0]
	s_delay_alu instid0(VALU_DEP_1) | instskip(NEXT) | instid1(VALU_DEP_1)
	v_mov_b32_e32 v165, v155
	v_pk_add_f32 v[206:207], v[206:207], v[164:165] neg_lo:[0,1] neg_hi:[0,1]
	ds_load_2addr_b64 v[164:167], v236 offset0:50 offset1:51
	s_wait_dscnt 0x0
	v_pk_mul_f32 v[154:155], v[164:165], v[152:153] op_sel:[0,1]
	s_delay_alu instid0(VALU_DEP_1) | instskip(SKIP_1) | instid1(VALU_DEP_1)
	v_pk_fma_f32 v[168:169], v[164:165], v[150:151], v[154:155] op_sel:[0,0,1] op_sel_hi:[1,1,0] neg_lo:[0,0,1] neg_hi:[0,0,1]
	v_pk_fma_f32 v[154:155], v[164:165], v[150:151], v[154:155] op_sel:[0,0,1] op_sel_hi:[1,0,0]
	v_mov_b32_e32 v169, v155
	v_pk_mul_f32 v[154:155], v[166:167], v[152:153] op_sel:[0,1]
	s_delay_alu instid0(VALU_DEP_2) | instskip(NEXT) | instid1(VALU_DEP_2)
	v_pk_add_f32 v[208:209], v[208:209], v[168:169] neg_lo:[0,1] neg_hi:[0,1]
	v_pk_fma_f32 v[164:165], v[166:167], v[150:151], v[154:155] op_sel:[0,0,1] op_sel_hi:[1,1,0] neg_lo:[0,0,1] neg_hi:[0,0,1]
	v_pk_fma_f32 v[154:155], v[166:167], v[150:151], v[154:155] op_sel:[0,0,1] op_sel_hi:[1,0,0]
	s_delay_alu instid0(VALU_DEP_1) | instskip(NEXT) | instid1(VALU_DEP_1)
	v_mov_b32_e32 v165, v155
	v_pk_add_f32 v[204:205], v[204:205], v[164:165] neg_lo:[0,1] neg_hi:[0,1]
	ds_load_2addr_b64 v[164:167], v236 offset0:52 offset1:53
	s_wait_dscnt 0x0
	v_pk_mul_f32 v[154:155], v[164:165], v[152:153] op_sel:[0,1]
	s_delay_alu instid0(VALU_DEP_1) | instskip(SKIP_2) | instid1(VALU_DEP_2)
	v_pk_fma_f32 v[168:169], v[164:165], v[150:151], v[154:155] op_sel:[0,0,1] op_sel_hi:[1,1,0] neg_lo:[0,0,1] neg_hi:[0,0,1]
	v_pk_fma_f32 v[154:155], v[164:165], v[150:151], v[154:155] op_sel:[0,0,1] op_sel_hi:[1,0,0]
	v_dual_mul_f32 v164, v167, v153 :: v_dual_mov_b32 v154, v167
	v_dual_mov_b32 v169, v155 :: v_dual_mov_b32 v155, v166
	s_delay_alu instid0(VALU_DEP_2) | instskip(SKIP_1) | instid1(VALU_DEP_3)
	v_pk_fma_f32 v[164:165], v[166:167], v[156:157], v[164:165] op_sel_hi:[1,1,0] neg_lo:[0,0,1] neg_hi:[0,0,1]
	v_mul_f32_e32 v166, v167, v150
	v_pk_add_f32 v[228:229], v[228:229], v[168:169] neg_lo:[0,1] neg_hi:[0,1]
	s_delay_alu instid0(VALU_DEP_2) | instskip(NEXT) | instid1(VALU_DEP_1)
	v_pk_fma_f32 v[154:155], v[154:155], v[156:157], v[166:167] op_sel_hi:[1,1,0]
	v_mov_b32_e32 v165, v155
	s_delay_alu instid0(VALU_DEP_1) | instskip(SKIP_3) | instid1(VALU_DEP_1)
	v_pk_add_f32 v[224:225], v[224:225], v[164:165] neg_lo:[0,1] neg_hi:[0,1]
	ds_load_2addr_b64 v[164:167], v236 offset0:54 offset1:55
	s_wait_dscnt 0x0
	v_pk_mul_f32 v[154:155], v[164:165], v[152:153] op_sel:[0,1]
	v_pk_fma_f32 v[168:169], v[164:165], v[150:151], v[154:155] op_sel:[0,0,1] op_sel_hi:[1,1,0] neg_lo:[0,0,1] neg_hi:[0,0,1]
	v_pk_fma_f32 v[154:155], v[164:165], v[150:151], v[154:155] op_sel:[0,0,1] op_sel_hi:[1,0,0]
	s_delay_alu instid0(VALU_DEP_1) | instskip(SKIP_1) | instid1(VALU_DEP_2)
	v_mov_b32_e32 v169, v155
	v_pk_mul_f32 v[154:155], v[166:167], v[152:153] op_sel:[0,1]
	v_pk_add_f32 v[226:227], v[226:227], v[168:169] neg_lo:[0,1] neg_hi:[0,1]
	s_delay_alu instid0(VALU_DEP_2) | instskip(SKIP_1) | instid1(VALU_DEP_1)
	v_pk_fma_f32 v[164:165], v[166:167], v[150:151], v[154:155] op_sel:[0,0,1] op_sel_hi:[1,1,0] neg_lo:[0,0,1] neg_hi:[0,0,1]
	v_pk_fma_f32 v[154:155], v[166:167], v[150:151], v[154:155] op_sel:[0,0,1] op_sel_hi:[1,0,0]
	v_mov_b32_e32 v165, v155
	s_delay_alu instid0(VALU_DEP_1) | instskip(SKIP_3) | instid1(VALU_DEP_1)
	v_pk_add_f32 v[222:223], v[222:223], v[164:165] neg_lo:[0,1] neg_hi:[0,1]
	ds_load_2addr_b64 v[164:167], v236 offset0:56 offset1:57
	s_wait_dscnt 0x0
	v_pk_mul_f32 v[154:155], v[164:165], v[152:153] op_sel:[0,1]
	v_pk_fma_f32 v[168:169], v[164:165], v[150:151], v[154:155] op_sel:[0,0,1] op_sel_hi:[1,1,0] neg_lo:[0,0,1] neg_hi:[0,0,1]
	v_pk_fma_f32 v[154:155], v[164:165], v[150:151], v[154:155] op_sel:[0,0,1] op_sel_hi:[1,0,0]
	s_delay_alu instid0(VALU_DEP_1) | instskip(SKIP_1) | instid1(VALU_DEP_2)
	v_mov_b32_e32 v169, v155
	v_pk_mul_f32 v[154:155], v[166:167], v[152:153] op_sel:[0,1]
	v_pk_add_f32 v[244:245], v[244:245], v[168:169] neg_lo:[0,1] neg_hi:[0,1]
	s_delay_alu instid0(VALU_DEP_2) | instskip(SKIP_1) | instid1(VALU_DEP_1)
	v_pk_fma_f32 v[164:165], v[166:167], v[150:151], v[154:155] op_sel:[0,0,1] op_sel_hi:[1,1,0] neg_lo:[0,0,1] neg_hi:[0,0,1]
	v_pk_fma_f32 v[154:155], v[166:167], v[150:151], v[154:155] op_sel:[0,0,1] op_sel_hi:[1,0,0]
	v_mov_b32_e32 v165, v155
	s_delay_alu instid0(VALU_DEP_1) | instskip(SKIP_3) | instid1(VALU_DEP_1)
	v_pk_add_f32 v[240:241], v[240:241], v[164:165] neg_lo:[0,1] neg_hi:[0,1]
	ds_load_2addr_b64 v[164:167], v236 offset0:58 offset1:59
	s_wait_dscnt 0x0
	v_dual_mul_f32 v154, v165, v153 :: v_dual_mul_f32 v168, v165, v150
	v_pk_fma_f32 v[154:155], v[164:165], v[156:157], v[154:155] op_sel_hi:[1,1,0] neg_lo:[0,0,1] neg_hi:[0,0,1]
	s_delay_alu instid0(VALU_DEP_2) | instskip(NEXT) | instid1(VALU_DEP_1)
	v_pk_fma_f32 v[164:165], v[164:165], v[156:157], v[168:169] op_sel:[1,0,0] op_sel_hi:[0,1,0]
	v_mov_b32_e32 v155, v165
	s_delay_alu instid0(VALU_DEP_1) | instskip(SKIP_1) | instid1(VALU_DEP_1)
	v_pk_add_f32 v[242:243], v[242:243], v[154:155] neg_lo:[0,1] neg_hi:[0,1]
	v_pk_mul_f32 v[154:155], v[166:167], v[152:153] op_sel:[0,1]
	v_pk_fma_f32 v[164:165], v[166:167], v[150:151], v[154:155] op_sel:[0,0,1] op_sel_hi:[1,1,0] neg_lo:[0,0,1] neg_hi:[0,0,1]
	v_pk_fma_f32 v[154:155], v[166:167], v[150:151], v[154:155] op_sel:[0,0,1] op_sel_hi:[1,0,0]
	s_delay_alu instid0(VALU_DEP_1) | instskip(NEXT) | instid1(VALU_DEP_1)
	v_mov_b32_e32 v165, v155
	v_pk_add_f32 v[238:239], v[238:239], v[164:165] neg_lo:[0,1] neg_hi:[0,1]
	ds_load_2addr_b64 v[164:167], v236 offset0:60 offset1:61
	s_wait_dscnt 0x0
	v_pk_mul_f32 v[154:155], v[164:165], v[152:153] op_sel:[0,1]
	v_pk_mul_f32 v[152:153], v[166:167], v[152:153] op_sel:[0,1]
	s_delay_alu instid0(VALU_DEP_2) | instskip(SKIP_1) | instid1(VALU_DEP_1)
	v_pk_fma_f32 v[168:169], v[164:165], v[150:151], v[154:155] op_sel:[0,0,1] op_sel_hi:[1,1,0] neg_lo:[0,0,1] neg_hi:[0,0,1]
	v_pk_fma_f32 v[154:155], v[164:165], v[150:151], v[154:155] op_sel:[0,0,1] op_sel_hi:[1,0,0]
	v_mov_b32_e32 v169, v155
	s_delay_alu instid0(VALU_DEP_4) | instskip(SKIP_1) | instid1(VALU_DEP_3)
	v_pk_fma_f32 v[154:155], v[166:167], v[150:151], v[152:153] op_sel:[0,0,1] op_sel_hi:[1,1,0] neg_lo:[0,0,1] neg_hi:[0,0,1]
	v_pk_fma_f32 v[150:151], v[166:167], v[150:151], v[152:153] op_sel:[0,0,1] op_sel_hi:[1,0,0]
	v_pk_add_f32 v[246:247], v[246:247], v[168:169] neg_lo:[0,1] neg_hi:[0,1]
	s_delay_alu instid0(VALU_DEP_2) | instskip(NEXT) | instid1(VALU_DEP_1)
	v_mov_b32_e32 v155, v151
	v_pk_add_f32 v[248:249], v[248:249], v[154:155] neg_lo:[0,1] neg_hi:[0,1]
.LBB123_361:
	s_or_b32 exec_lo, exec_lo, s1
	s_delay_alu instid0(SALU_CYCLE_1)
	s_mov_b32 s2, exec_lo
	s_wait_dscnt 0x0
	s_barrier_signal -1
	s_barrier_wait -1
	v_cmpx_eq_u32_e32 40, v234
	s_cbranch_execz .LBB123_368
; %bb.362:
	ds_store_b64 v235, v[178:179]
	ds_store_2addr_b64 v236, v[174:175], v[176:177] offset0:41 offset1:42
	ds_store_2addr_b64 v236, v[172:173], v[194:195] offset0:43 offset1:44
	;; [unrolled: 1-line block ×10, first 2 shown]
	ds_store_b64 v236, v[248:249] offset:488
	ds_load_b64 v[150:151], v235
	s_wait_dscnt 0x0
	v_cmp_neq_f32_e32 vcc_lo, 0, v150
	v_cmp_neq_f32_e64 s1, 0, v151
	s_or_b32 s1, vcc_lo, s1
	s_delay_alu instid0(SALU_CYCLE_1)
	s_and_b32 exec_lo, exec_lo, s1
	s_cbranch_execz .LBB123_368
; %bb.363:
	v_cmp_ngt_f32_e64 s1, |v150|, |v151|
                                        ; implicit-def: $vgpr152_vgpr153
	s_and_saveexec_b32 s4, s1
	s_delay_alu instid0(SALU_CYCLE_1)
	s_xor_b32 s1, exec_lo, s4
	s_cbranch_execz .LBB123_365
; %bb.364:
	v_div_scale_f32 v0, null, v151, v151, v150
	v_div_scale_f32 v153, vcc_lo, v150, v151, v150
	s_delay_alu instid0(VALU_DEP_2) | instskip(SKIP_1) | instid1(TRANS32_DEP_1)
	v_rcp_f32_e32 v1, v0
	v_nop
	v_fma_f32 v152, -v0, v1, 1.0
	s_delay_alu instid0(VALU_DEP_1) | instskip(NEXT) | instid1(VALU_DEP_1)
	v_fmac_f32_e32 v1, v152, v1
	v_mul_f32_e32 v152, v153, v1
	s_delay_alu instid0(VALU_DEP_1) | instskip(NEXT) | instid1(VALU_DEP_1)
	v_fma_f32 v154, -v0, v152, v153
	v_fmac_f32_e32 v152, v154, v1
	s_delay_alu instid0(VALU_DEP_1) | instskip(NEXT) | instid1(VALU_DEP_1)
	v_fma_f32 v0, -v0, v152, v153
	v_div_fmas_f32 v0, v0, v1, v152
	s_delay_alu instid0(VALU_DEP_1) | instskip(NEXT) | instid1(VALU_DEP_1)
	v_div_fixup_f32 v0, v0, v151, v150
	v_fmac_f32_e32 v151, v150, v0
	s_delay_alu instid0(VALU_DEP_1) | instskip(SKIP_1) | instid1(VALU_DEP_2)
	v_div_scale_f32 v1, null, v151, v151, 1.0
	v_div_scale_f32 v153, vcc_lo, 1.0, v151, 1.0
	v_rcp_f32_e32 v150, v1
	v_nop
	s_delay_alu instid0(TRANS32_DEP_1) | instskip(NEXT) | instid1(VALU_DEP_1)
	v_fma_f32 v152, -v1, v150, 1.0
	v_fmac_f32_e32 v150, v152, v150
	s_delay_alu instid0(VALU_DEP_1) | instskip(NEXT) | instid1(VALU_DEP_1)
	v_mul_f32_e32 v152, v153, v150
	v_fma_f32 v154, -v1, v152, v153
	s_delay_alu instid0(VALU_DEP_1) | instskip(NEXT) | instid1(VALU_DEP_1)
	v_fmac_f32_e32 v152, v154, v150
	v_fma_f32 v1, -v1, v152, v153
	s_delay_alu instid0(VALU_DEP_1) | instskip(NEXT) | instid1(VALU_DEP_1)
	v_div_fmas_f32 v1, v1, v150, v152
	v_div_fixup_f32 v1, v1, v151, 1.0
                                        ; implicit-def: $vgpr150_vgpr151
	s_delay_alu instid0(VALU_DEP_1)
	v_mul_f32_e32 v152, v0, v1
	v_xor_b32_e32 v153, 0x80000000, v1
.LBB123_365:
	s_and_not1_saveexec_b32 s1, s1
	s_cbranch_execz .LBB123_367
; %bb.366:
	v_div_scale_f32 v0, null, v150, v150, v151
	v_div_scale_f32 v153, vcc_lo, v151, v150, v151
	s_delay_alu instid0(VALU_DEP_2) | instskip(SKIP_1) | instid1(TRANS32_DEP_1)
	v_rcp_f32_e32 v1, v0
	v_nop
	v_fma_f32 v152, -v0, v1, 1.0
	s_delay_alu instid0(VALU_DEP_1) | instskip(NEXT) | instid1(VALU_DEP_1)
	v_fmac_f32_e32 v1, v152, v1
	v_mul_f32_e32 v152, v153, v1
	s_delay_alu instid0(VALU_DEP_1) | instskip(NEXT) | instid1(VALU_DEP_1)
	v_fma_f32 v154, -v0, v152, v153
	v_fmac_f32_e32 v152, v154, v1
	s_delay_alu instid0(VALU_DEP_1) | instskip(NEXT) | instid1(VALU_DEP_1)
	v_fma_f32 v0, -v0, v152, v153
	v_div_fmas_f32 v0, v0, v1, v152
	s_delay_alu instid0(VALU_DEP_1) | instskip(NEXT) | instid1(VALU_DEP_1)
	v_div_fixup_f32 v0, v0, v150, v151
	v_fmac_f32_e32 v150, v151, v0
	s_delay_alu instid0(VALU_DEP_1) | instskip(NEXT) | instid1(VALU_DEP_1)
	v_div_scale_f32 v1, null, v150, v150, 1.0
	v_rcp_f32_e32 v151, v1
	v_nop
	s_delay_alu instid0(TRANS32_DEP_1) | instskip(NEXT) | instid1(VALU_DEP_1)
	v_fma_f32 v152, -v1, v151, 1.0
	v_fmac_f32_e32 v151, v152, v151
	v_div_scale_f32 v152, vcc_lo, 1.0, v150, 1.0
	s_delay_alu instid0(VALU_DEP_1) | instskip(NEXT) | instid1(VALU_DEP_1)
	v_mul_f32_e32 v153, v152, v151
	v_fma_f32 v154, -v1, v153, v152
	s_delay_alu instid0(VALU_DEP_1) | instskip(NEXT) | instid1(VALU_DEP_1)
	v_fmac_f32_e32 v153, v154, v151
	v_fma_f32 v1, -v1, v153, v152
	s_delay_alu instid0(VALU_DEP_1) | instskip(NEXT) | instid1(VALU_DEP_1)
	v_div_fmas_f32 v1, v1, v151, v153
	v_div_fixup_f32 v152, v1, v150, 1.0
	s_delay_alu instid0(VALU_DEP_1)
	v_mul_f32_e64 v153, v0, -v152
.LBB123_367:
	s_or_b32 exec_lo, exec_lo, s1
	ds_store_b64 v235, v[152:153]
.LBB123_368:
	s_or_b32 exec_lo, exec_lo, s2
	s_wait_dscnt 0x0
	s_barrier_signal -1
	s_barrier_wait -1
	ds_load_b64 v[150:151], v235
	s_mov_b32 s1, exec_lo
	v_cmpx_lt_u32_e32 40, v234
	s_cbranch_execz .LBB123_370
; %bb.369:
	ds_load_2addr_b64 v[164:167], v236 offset0:41 offset1:42
	s_wait_dscnt 0x1
	v_pk_mul_f32 v[154:155], v[150:151], v[178:179] op_sel:[1,1] op_sel_hi:[0,1]
	s_delay_alu instid0(VALU_DEP_1) | instskip(SKIP_1) | instid1(VALU_DEP_1)
	v_pk_fma_f32 v[152:153], v[150:151], v[178:179], v[154:155] op_sel_hi:[1,0,1] neg_lo:[0,0,1] neg_hi:[0,0,1]
	v_pk_fma_f32 v[154:155], v[150:151], v[178:179], v[154:155] op_sel_hi:[1,0,1]
	v_dual_mov_b32 v178, v152 :: v_dual_mov_b32 v179, v155
	s_wait_dscnt 0x0
	s_delay_alu instid0(VALU_DEP_2) | instskip(NEXT) | instid1(VALU_DEP_1)
	v_pk_mul_f32 v[168:169], v[164:165], v[154:155] op_sel:[0,1]
	v_pk_fma_f32 v[170:171], v[164:165], v[152:153], v[168:169] op_sel:[0,0,1] op_sel_hi:[1,1,0] neg_lo:[0,0,1] neg_hi:[0,0,1]
	v_pk_fma_f32 v[164:165], v[164:165], v[152:153], v[168:169] op_sel:[0,0,1] op_sel_hi:[1,0,0]
	s_delay_alu instid0(VALU_DEP_1) | instskip(SKIP_1) | instid1(VALU_DEP_1)
	v_mov_b32_e32 v171, v165
	v_pk_mul_f32 v[164:165], v[166:167], v[154:155] op_sel:[0,1]
	v_pk_fma_f32 v[168:169], v[166:167], v[152:153], v[164:165] op_sel:[0,0,1] op_sel_hi:[1,1,0] neg_lo:[0,0,1] neg_hi:[0,0,1]
	v_pk_fma_f32 v[164:165], v[166:167], v[152:153], v[164:165] op_sel:[0,0,1] op_sel_hi:[1,0,0]
	s_delay_alu instid0(VALU_DEP_1)
	v_mov_b32_e32 v169, v165
	ds_load_2addr_b64 v[164:167], v236 offset0:43 offset1:44
	v_pk_add_f32 v[174:175], v[174:175], v[170:171] neg_lo:[0,1] neg_hi:[0,1]
	v_pk_add_f32 v[176:177], v[176:177], v[168:169] neg_lo:[0,1] neg_hi:[0,1]
	s_wait_dscnt 0x0
	v_pk_mul_f32 v[168:169], v[164:165], v[154:155] op_sel:[0,1]
	s_delay_alu instid0(VALU_DEP_1) | instskip(SKIP_2) | instid1(VALU_DEP_2)
	v_pk_fma_f32 v[170:171], v[164:165], v[152:153], v[168:169] op_sel:[0,0,1] op_sel_hi:[1,1,0] neg_lo:[0,0,1] neg_hi:[0,0,1]
	v_pk_fma_f32 v[164:165], v[164:165], v[152:153], v[168:169] op_sel:[0,0,1] op_sel_hi:[1,0,0]
	v_dual_mul_f32 v168, v167, v155 :: v_dual_mov_b32 v164, v167
	v_dual_mov_b32 v171, v165 :: v_dual_mov_b32 v165, v166
	s_delay_alu instid0(VALU_DEP_2) | instskip(SKIP_1) | instid1(VALU_DEP_3)
	v_pk_fma_f32 v[168:169], v[166:167], v[178:179], v[168:169] op_sel_hi:[1,1,0] neg_lo:[0,0,1] neg_hi:[0,0,1]
	v_mul_f32_e32 v166, v167, v152
	v_pk_add_f32 v[172:173], v[172:173], v[170:171] neg_lo:[0,1] neg_hi:[0,1]
	s_delay_alu instid0(VALU_DEP_2) | instskip(NEXT) | instid1(VALU_DEP_1)
	v_pk_fma_f32 v[164:165], v[164:165], v[178:179], v[166:167] op_sel_hi:[1,1,0]
	v_mov_b32_e32 v169, v165
	ds_load_2addr_b64 v[164:167], v236 offset0:45 offset1:46
	v_pk_add_f32 v[194:195], v[194:195], v[168:169] neg_lo:[0,1] neg_hi:[0,1]
	s_wait_dscnt 0x0
	v_pk_mul_f32 v[168:169], v[164:165], v[154:155] op_sel:[0,1]
	s_delay_alu instid0(VALU_DEP_1) | instskip(SKIP_1) | instid1(VALU_DEP_1)
	v_pk_fma_f32 v[170:171], v[164:165], v[152:153], v[168:169] op_sel:[0,0,1] op_sel_hi:[1,1,0] neg_lo:[0,0,1] neg_hi:[0,0,1]
	v_pk_fma_f32 v[164:165], v[164:165], v[152:153], v[168:169] op_sel:[0,0,1] op_sel_hi:[1,0,0]
	v_mov_b32_e32 v171, v165
	v_pk_mul_f32 v[164:165], v[166:167], v[154:155] op_sel:[0,1]
	s_delay_alu instid0(VALU_DEP_1) | instskip(SKIP_1) | instid1(VALU_DEP_1)
	v_pk_fma_f32 v[168:169], v[166:167], v[152:153], v[164:165] op_sel:[0,0,1] op_sel_hi:[1,1,0] neg_lo:[0,0,1] neg_hi:[0,0,1]
	v_pk_fma_f32 v[164:165], v[166:167], v[152:153], v[164:165] op_sel:[0,0,1] op_sel_hi:[1,0,0]
	v_mov_b32_e32 v169, v165
	ds_load_2addr_b64 v[164:167], v236 offset0:47 offset1:48
	v_pk_add_f32 v[190:191], v[190:191], v[170:171] neg_lo:[0,1] neg_hi:[0,1]
	v_pk_add_f32 v[192:193], v[192:193], v[168:169] neg_lo:[0,1] neg_hi:[0,1]
	s_wait_dscnt 0x0
	v_pk_mul_f32 v[168:169], v[164:165], v[154:155] op_sel:[0,1]
	s_delay_alu instid0(VALU_DEP_1) | instskip(SKIP_1) | instid1(VALU_DEP_1)
	v_pk_fma_f32 v[170:171], v[164:165], v[152:153], v[168:169] op_sel:[0,0,1] op_sel_hi:[1,1,0] neg_lo:[0,0,1] neg_hi:[0,0,1]
	v_pk_fma_f32 v[164:165], v[164:165], v[152:153], v[168:169] op_sel:[0,0,1] op_sel_hi:[1,0,0]
	v_mov_b32_e32 v171, v165
	v_pk_mul_f32 v[164:165], v[166:167], v[154:155] op_sel:[0,1]
	s_delay_alu instid0(VALU_DEP_1) | instskip(SKIP_1) | instid1(VALU_DEP_1)
	v_pk_fma_f32 v[168:169], v[166:167], v[152:153], v[164:165] op_sel:[0,0,1] op_sel_hi:[1,1,0] neg_lo:[0,0,1] neg_hi:[0,0,1]
	v_pk_fma_f32 v[164:165], v[166:167], v[152:153], v[164:165] op_sel:[0,0,1] op_sel_hi:[1,0,0]
	v_mov_b32_e32 v169, v165
	ds_load_2addr_b64 v[164:167], v236 offset0:49 offset1:50
	v_pk_add_f32 v[188:189], v[188:189], v[170:171] neg_lo:[0,1] neg_hi:[0,1]
	v_pk_add_f32 v[210:211], v[210:211], v[168:169] neg_lo:[0,1] neg_hi:[0,1]
	s_wait_dscnt 0x0
	v_dual_mul_f32 v168, v165, v155 :: v_dual_mul_f32 v170, v165, v152
	s_delay_alu instid0(VALU_DEP_1) | instskip(NEXT) | instid1(VALU_DEP_2)
	v_pk_fma_f32 v[168:169], v[164:165], v[178:179], v[168:169] op_sel_hi:[1,1,0] neg_lo:[0,0,1] neg_hi:[0,0,1]
	v_pk_fma_f32 v[164:165], v[164:165], v[178:179], v[170:171] op_sel:[1,0,0] op_sel_hi:[0,1,0]
	s_delay_alu instid0(VALU_DEP_1) | instskip(SKIP_1) | instid1(VALU_DEP_2)
	v_mov_b32_e32 v169, v165
	v_pk_mul_f32 v[164:165], v[166:167], v[154:155] op_sel:[0,1]
	v_pk_add_f32 v[206:207], v[206:207], v[168:169] neg_lo:[0,1] neg_hi:[0,1]
	s_delay_alu instid0(VALU_DEP_2) | instskip(SKIP_1) | instid1(VALU_DEP_1)
	v_pk_fma_f32 v[168:169], v[166:167], v[152:153], v[164:165] op_sel:[0,0,1] op_sel_hi:[1,1,0] neg_lo:[0,0,1] neg_hi:[0,0,1]
	v_pk_fma_f32 v[164:165], v[166:167], v[152:153], v[164:165] op_sel:[0,0,1] op_sel_hi:[1,0,0]
	v_mov_b32_e32 v169, v165
	ds_load_2addr_b64 v[164:167], v236 offset0:51 offset1:52
	v_pk_add_f32 v[208:209], v[208:209], v[168:169] neg_lo:[0,1] neg_hi:[0,1]
	s_wait_dscnt 0x0
	v_pk_mul_f32 v[168:169], v[164:165], v[154:155] op_sel:[0,1]
	s_delay_alu instid0(VALU_DEP_1) | instskip(SKIP_1) | instid1(VALU_DEP_1)
	v_pk_fma_f32 v[170:171], v[164:165], v[152:153], v[168:169] op_sel:[0,0,1] op_sel_hi:[1,1,0] neg_lo:[0,0,1] neg_hi:[0,0,1]
	v_pk_fma_f32 v[164:165], v[164:165], v[152:153], v[168:169] op_sel:[0,0,1] op_sel_hi:[1,0,0]
	v_mov_b32_e32 v171, v165
	v_pk_mul_f32 v[164:165], v[166:167], v[154:155] op_sel:[0,1]
	s_delay_alu instid0(VALU_DEP_2) | instskip(NEXT) | instid1(VALU_DEP_2)
	v_pk_add_f32 v[204:205], v[204:205], v[170:171] neg_lo:[0,1] neg_hi:[0,1]
	v_pk_fma_f32 v[168:169], v[166:167], v[152:153], v[164:165] op_sel:[0,0,1] op_sel_hi:[1,1,0] neg_lo:[0,0,1] neg_hi:[0,0,1]
	v_pk_fma_f32 v[164:165], v[166:167], v[152:153], v[164:165] op_sel:[0,0,1] op_sel_hi:[1,0,0]
	s_delay_alu instid0(VALU_DEP_1) | instskip(SKIP_4) | instid1(VALU_DEP_1)
	v_mov_b32_e32 v169, v165
	ds_load_2addr_b64 v[164:167], v236 offset0:53 offset1:54
	v_pk_add_f32 v[228:229], v[228:229], v[168:169] neg_lo:[0,1] neg_hi:[0,1]
	s_wait_dscnt 0x0
	v_pk_mul_f32 v[168:169], v[164:165], v[154:155] op_sel:[0,1]
	v_pk_fma_f32 v[170:171], v[164:165], v[152:153], v[168:169] op_sel:[0,0,1] op_sel_hi:[1,1,0] neg_lo:[0,0,1] neg_hi:[0,0,1]
	v_pk_fma_f32 v[164:165], v[164:165], v[152:153], v[168:169] op_sel:[0,0,1] op_sel_hi:[1,0,0]
	v_dual_mul_f32 v168, v167, v155 :: v_dual_mov_b32 v164, v167
	s_delay_alu instid0(VALU_DEP_2) | instskip(NEXT) | instid1(VALU_DEP_2)
	v_dual_mov_b32 v171, v165 :: v_dual_mov_b32 v165, v166
	v_pk_fma_f32 v[168:169], v[166:167], v[178:179], v[168:169] op_sel_hi:[1,1,0] neg_lo:[0,0,1] neg_hi:[0,0,1]
	v_mul_f32_e32 v166, v167, v152
	s_delay_alu instid0(VALU_DEP_3) | instskip(NEXT) | instid1(VALU_DEP_2)
	v_pk_add_f32 v[224:225], v[224:225], v[170:171] neg_lo:[0,1] neg_hi:[0,1]
	v_pk_fma_f32 v[164:165], v[164:165], v[178:179], v[166:167] op_sel_hi:[1,1,0]
	s_delay_alu instid0(VALU_DEP_1) | instskip(SKIP_4) | instid1(VALU_DEP_1)
	v_mov_b32_e32 v169, v165
	ds_load_2addr_b64 v[164:167], v236 offset0:55 offset1:56
	v_pk_add_f32 v[226:227], v[226:227], v[168:169] neg_lo:[0,1] neg_hi:[0,1]
	s_wait_dscnt 0x0
	v_pk_mul_f32 v[168:169], v[164:165], v[154:155] op_sel:[0,1]
	v_pk_fma_f32 v[170:171], v[164:165], v[152:153], v[168:169] op_sel:[0,0,1] op_sel_hi:[1,1,0] neg_lo:[0,0,1] neg_hi:[0,0,1]
	v_pk_fma_f32 v[164:165], v[164:165], v[152:153], v[168:169] op_sel:[0,0,1] op_sel_hi:[1,0,0]
	s_delay_alu instid0(VALU_DEP_1) | instskip(SKIP_1) | instid1(VALU_DEP_1)
	v_mov_b32_e32 v171, v165
	v_pk_mul_f32 v[164:165], v[166:167], v[154:155] op_sel:[0,1]
	v_pk_fma_f32 v[168:169], v[166:167], v[152:153], v[164:165] op_sel:[0,0,1] op_sel_hi:[1,1,0] neg_lo:[0,0,1] neg_hi:[0,0,1]
	v_pk_fma_f32 v[164:165], v[166:167], v[152:153], v[164:165] op_sel:[0,0,1] op_sel_hi:[1,0,0]
	s_delay_alu instid0(VALU_DEP_1)
	v_mov_b32_e32 v169, v165
	ds_load_2addr_b64 v[164:167], v236 offset0:57 offset1:58
	v_pk_add_f32 v[222:223], v[222:223], v[170:171] neg_lo:[0,1] neg_hi:[0,1]
	v_pk_add_f32 v[244:245], v[244:245], v[168:169] neg_lo:[0,1] neg_hi:[0,1]
	s_wait_dscnt 0x0
	v_pk_mul_f32 v[168:169], v[164:165], v[154:155] op_sel:[0,1]
	s_delay_alu instid0(VALU_DEP_1) | instskip(SKIP_1) | instid1(VALU_DEP_1)
	v_pk_fma_f32 v[170:171], v[164:165], v[152:153], v[168:169] op_sel:[0,0,1] op_sel_hi:[1,1,0] neg_lo:[0,0,1] neg_hi:[0,0,1]
	v_pk_fma_f32 v[164:165], v[164:165], v[152:153], v[168:169] op_sel:[0,0,1] op_sel_hi:[1,0,0]
	v_mov_b32_e32 v171, v165
	v_pk_mul_f32 v[164:165], v[166:167], v[154:155] op_sel:[0,1]
	s_delay_alu instid0(VALU_DEP_1) | instskip(SKIP_1) | instid1(VALU_DEP_1)
	v_pk_fma_f32 v[168:169], v[166:167], v[152:153], v[164:165] op_sel:[0,0,1] op_sel_hi:[1,1,0] neg_lo:[0,0,1] neg_hi:[0,0,1]
	v_pk_fma_f32 v[164:165], v[166:167], v[152:153], v[164:165] op_sel:[0,0,1] op_sel_hi:[1,0,0]
	v_mov_b32_e32 v169, v165
	ds_load_2addr_b64 v[164:167], v236 offset0:59 offset1:60
	v_pk_add_f32 v[240:241], v[240:241], v[170:171] neg_lo:[0,1] neg_hi:[0,1]
	v_pk_add_f32 v[242:243], v[242:243], v[168:169] neg_lo:[0,1] neg_hi:[0,1]
	s_wait_dscnt 0x0
	v_dual_mul_f32 v168, v165, v155 :: v_dual_mul_f32 v170, v165, v152
	s_delay_alu instid0(VALU_DEP_1) | instskip(NEXT) | instid1(VALU_DEP_2)
	v_pk_fma_f32 v[168:169], v[164:165], v[178:179], v[168:169] op_sel_hi:[1,1,0] neg_lo:[0,0,1] neg_hi:[0,0,1]
	v_pk_fma_f32 v[164:165], v[164:165], v[178:179], v[170:171] op_sel:[1,0,0] op_sel_hi:[0,1,0]
	s_delay_alu instid0(VALU_DEP_1) | instskip(SKIP_1) | instid1(VALU_DEP_2)
	v_mov_b32_e32 v169, v165
	v_pk_mul_f32 v[164:165], v[166:167], v[154:155] op_sel:[0,1]
	v_pk_add_f32 v[238:239], v[238:239], v[168:169] neg_lo:[0,1] neg_hi:[0,1]
	s_delay_alu instid0(VALU_DEP_2) | instskip(SKIP_1) | instid1(VALU_DEP_1)
	v_pk_fma_f32 v[168:169], v[166:167], v[152:153], v[164:165] op_sel:[0,0,1] op_sel_hi:[1,1,0] neg_lo:[0,0,1] neg_hi:[0,0,1]
	v_pk_fma_f32 v[164:165], v[166:167], v[152:153], v[164:165] op_sel:[0,0,1] op_sel_hi:[1,0,0]
	v_mov_b32_e32 v169, v165
	ds_load_b64 v[164:165], v236 offset:488
	v_pk_add_f32 v[246:247], v[246:247], v[168:169] neg_lo:[0,1] neg_hi:[0,1]
	s_wait_dscnt 0x0
	v_pk_mul_f32 v[154:155], v[164:165], v[154:155] op_sel:[0,1]
	s_delay_alu instid0(VALU_DEP_1) | instskip(SKIP_1) | instid1(VALU_DEP_1)
	v_pk_fma_f32 v[166:167], v[164:165], v[152:153], v[154:155] op_sel:[0,0,1] op_sel_hi:[1,1,0] neg_lo:[0,0,1] neg_hi:[0,0,1]
	v_pk_fma_f32 v[152:153], v[164:165], v[152:153], v[154:155] op_sel:[0,0,1] op_sel_hi:[1,0,0]
	v_mov_b32_e32 v167, v153
	s_delay_alu instid0(VALU_DEP_1)
	v_pk_add_f32 v[248:249], v[248:249], v[166:167] neg_lo:[0,1] neg_hi:[0,1]
.LBB123_370:
	s_or_b32 exec_lo, exec_lo, s1
	s_delay_alu instid0(SALU_CYCLE_1)
	s_mov_b32 s2, exec_lo
	s_wait_dscnt 0x0
	s_barrier_signal -1
	s_barrier_wait -1
	v_cmpx_eq_u32_e32 41, v234
	s_cbranch_execz .LBB123_377
; %bb.371:
	v_dual_mov_b32 v152, v176 :: v_dual_mov_b32 v153, v177
	v_dual_mov_b32 v154, v172 :: v_dual_mov_b32 v155, v173
	ds_store_b64 v235, v[174:175]
	ds_store_2addr_b64 v236, v[152:153], v[154:155] offset0:42 offset1:43
	v_dual_mov_b32 v152, v194 :: v_dual_mov_b32 v153, v195
	v_dual_mov_b32 v154, v190 :: v_dual_mov_b32 v155, v191
	ds_store_2addr_b64 v236, v[152:153], v[154:155] offset0:44 offset1:45
	v_dual_mov_b32 v152, v192 :: v_dual_mov_b32 v153, v193
	v_dual_mov_b32 v154, v188 :: v_dual_mov_b32 v155, v189
	;; [unrolled: 3-line block ×8, first 2 shown]
	ds_store_2addr_b64 v236, v[152:153], v[154:155] offset0:58 offset1:59
	v_dual_mov_b32 v152, v246 :: v_dual_mov_b32 v153, v247
	ds_store_2addr_b64 v236, v[152:153], v[248:249] offset0:60 offset1:61
	ds_load_b64 v[152:153], v235
	s_wait_dscnt 0x0
	v_cmp_neq_f32_e32 vcc_lo, 0, v152
	v_cmp_neq_f32_e64 s1, 0, v153
	s_or_b32 s1, vcc_lo, s1
	s_delay_alu instid0(SALU_CYCLE_1)
	s_and_b32 exec_lo, exec_lo, s1
	s_cbranch_execz .LBB123_377
; %bb.372:
	v_cmp_ngt_f32_e64 s1, |v152|, |v153|
                                        ; implicit-def: $vgpr154_vgpr155
	s_and_saveexec_b32 s4, s1
	s_delay_alu instid0(SALU_CYCLE_1)
	s_xor_b32 s1, exec_lo, s4
	s_cbranch_execz .LBB123_374
; %bb.373:
	v_div_scale_f32 v0, null, v153, v153, v152
	v_div_scale_f32 v155, vcc_lo, v152, v153, v152
	s_delay_alu instid0(VALU_DEP_2) | instskip(SKIP_1) | instid1(TRANS32_DEP_1)
	v_rcp_f32_e32 v1, v0
	v_nop
	v_fma_f32 v154, -v0, v1, 1.0
	s_delay_alu instid0(VALU_DEP_1) | instskip(NEXT) | instid1(VALU_DEP_1)
	v_fmac_f32_e32 v1, v154, v1
	v_mul_f32_e32 v154, v155, v1
	s_delay_alu instid0(VALU_DEP_1) | instskip(NEXT) | instid1(VALU_DEP_1)
	v_fma_f32 v164, -v0, v154, v155
	v_fmac_f32_e32 v154, v164, v1
	s_delay_alu instid0(VALU_DEP_1) | instskip(NEXT) | instid1(VALU_DEP_1)
	v_fma_f32 v0, -v0, v154, v155
	v_div_fmas_f32 v0, v0, v1, v154
	s_delay_alu instid0(VALU_DEP_1) | instskip(NEXT) | instid1(VALU_DEP_1)
	v_div_fixup_f32 v0, v0, v153, v152
	v_fmac_f32_e32 v153, v152, v0
	s_delay_alu instid0(VALU_DEP_1) | instskip(SKIP_1) | instid1(VALU_DEP_2)
	v_div_scale_f32 v1, null, v153, v153, 1.0
	v_div_scale_f32 v155, vcc_lo, 1.0, v153, 1.0
	v_rcp_f32_e32 v152, v1
	v_nop
	s_delay_alu instid0(TRANS32_DEP_1) | instskip(NEXT) | instid1(VALU_DEP_1)
	v_fma_f32 v154, -v1, v152, 1.0
	v_fmac_f32_e32 v152, v154, v152
	s_delay_alu instid0(VALU_DEP_1) | instskip(NEXT) | instid1(VALU_DEP_1)
	v_mul_f32_e32 v154, v155, v152
	v_fma_f32 v164, -v1, v154, v155
	s_delay_alu instid0(VALU_DEP_1) | instskip(NEXT) | instid1(VALU_DEP_1)
	v_fmac_f32_e32 v154, v164, v152
	v_fma_f32 v1, -v1, v154, v155
	s_delay_alu instid0(VALU_DEP_1) | instskip(NEXT) | instid1(VALU_DEP_1)
	v_div_fmas_f32 v1, v1, v152, v154
	v_div_fixup_f32 v1, v1, v153, 1.0
                                        ; implicit-def: $vgpr152_vgpr153
	s_delay_alu instid0(VALU_DEP_1)
	v_mul_f32_e32 v154, v0, v1
	v_xor_b32_e32 v155, 0x80000000, v1
.LBB123_374:
	s_and_not1_saveexec_b32 s1, s1
	s_cbranch_execz .LBB123_376
; %bb.375:
	v_div_scale_f32 v0, null, v152, v152, v153
	v_div_scale_f32 v155, vcc_lo, v153, v152, v153
	s_delay_alu instid0(VALU_DEP_2) | instskip(SKIP_1) | instid1(TRANS32_DEP_1)
	v_rcp_f32_e32 v1, v0
	v_nop
	v_fma_f32 v154, -v0, v1, 1.0
	s_delay_alu instid0(VALU_DEP_1) | instskip(NEXT) | instid1(VALU_DEP_1)
	v_fmac_f32_e32 v1, v154, v1
	v_mul_f32_e32 v154, v155, v1
	s_delay_alu instid0(VALU_DEP_1) | instskip(NEXT) | instid1(VALU_DEP_1)
	v_fma_f32 v164, -v0, v154, v155
	v_fmac_f32_e32 v154, v164, v1
	s_delay_alu instid0(VALU_DEP_1) | instskip(NEXT) | instid1(VALU_DEP_1)
	v_fma_f32 v0, -v0, v154, v155
	v_div_fmas_f32 v0, v0, v1, v154
	s_delay_alu instid0(VALU_DEP_1) | instskip(NEXT) | instid1(VALU_DEP_1)
	v_div_fixup_f32 v0, v0, v152, v153
	v_fmac_f32_e32 v152, v153, v0
	s_delay_alu instid0(VALU_DEP_1) | instskip(NEXT) | instid1(VALU_DEP_1)
	v_div_scale_f32 v1, null, v152, v152, 1.0
	v_rcp_f32_e32 v153, v1
	v_nop
	s_delay_alu instid0(TRANS32_DEP_1) | instskip(NEXT) | instid1(VALU_DEP_1)
	v_fma_f32 v154, -v1, v153, 1.0
	v_fmac_f32_e32 v153, v154, v153
	v_div_scale_f32 v154, vcc_lo, 1.0, v152, 1.0
	s_delay_alu instid0(VALU_DEP_1) | instskip(NEXT) | instid1(VALU_DEP_1)
	v_mul_f32_e32 v155, v154, v153
	v_fma_f32 v164, -v1, v155, v154
	s_delay_alu instid0(VALU_DEP_1) | instskip(NEXT) | instid1(VALU_DEP_1)
	v_fmac_f32_e32 v155, v164, v153
	v_fma_f32 v1, -v1, v155, v154
	s_delay_alu instid0(VALU_DEP_1) | instskip(NEXT) | instid1(VALU_DEP_1)
	v_div_fmas_f32 v1, v1, v153, v155
	v_div_fixup_f32 v154, v1, v152, 1.0
	s_delay_alu instid0(VALU_DEP_1)
	v_mul_f32_e64 v155, v0, -v154
.LBB123_376:
	s_or_b32 exec_lo, exec_lo, s1
	ds_store_b64 v235, v[154:155]
.LBB123_377:
	s_or_b32 exec_lo, exec_lo, s2
	s_wait_dscnt 0x0
	s_barrier_signal -1
	s_barrier_wait -1
	ds_load_b64 v[152:153], v235
	s_mov_b32 s1, exec_lo
	v_cmpx_lt_u32_e32 41, v234
	s_cbranch_execz .LBB123_379
; %bb.378:
	ds_load_2addr_b64 v[166:169], v236 offset0:42 offset1:43
	s_wait_dscnt 0x1
	v_pk_mul_f32 v[164:165], v[152:153], v[174:175] op_sel:[1,1] op_sel_hi:[0,1]
	s_delay_alu instid0(VALU_DEP_1) | instskip(SKIP_1) | instid1(VALU_DEP_1)
	v_pk_fma_f32 v[154:155], v[152:153], v[174:175], v[164:165] op_sel_hi:[1,0,1] neg_lo:[0,0,1] neg_hi:[0,0,1]
	v_pk_fma_f32 v[164:165], v[152:153], v[174:175], v[164:165] op_sel_hi:[1,0,1]
	v_dual_mov_b32 v174, v154 :: v_dual_mov_b32 v175, v165
	s_wait_dscnt 0x0
	s_delay_alu instid0(VALU_DEP_2) | instskip(NEXT) | instid1(VALU_DEP_1)
	v_pk_mul_f32 v[170:171], v[166:167], v[164:165] op_sel:[0,1]
	v_pk_fma_f32 v[180:181], v[166:167], v[154:155], v[170:171] op_sel:[0,0,1] op_sel_hi:[1,1,0] neg_lo:[0,0,1] neg_hi:[0,0,1]
	v_pk_fma_f32 v[166:167], v[166:167], v[154:155], v[170:171] op_sel:[0,0,1] op_sel_hi:[1,0,0]
	s_delay_alu instid0(VALU_DEP_1) | instskip(SKIP_1) | instid1(VALU_DEP_1)
	v_mov_b32_e32 v181, v167
	v_pk_mul_f32 v[166:167], v[168:169], v[164:165] op_sel:[0,1]
	v_pk_fma_f32 v[170:171], v[168:169], v[154:155], v[166:167] op_sel:[0,0,1] op_sel_hi:[1,1,0] neg_lo:[0,0,1] neg_hi:[0,0,1]
	v_pk_fma_f32 v[166:167], v[168:169], v[154:155], v[166:167] op_sel:[0,0,1] op_sel_hi:[1,0,0]
	s_delay_alu instid0(VALU_DEP_1)
	v_mov_b32_e32 v171, v167
	ds_load_2addr_b64 v[166:169], v236 offset0:44 offset1:45
	v_pk_add_f32 v[176:177], v[176:177], v[180:181] neg_lo:[0,1] neg_hi:[0,1]
	v_pk_add_f32 v[172:173], v[172:173], v[170:171] neg_lo:[0,1] neg_hi:[0,1]
	s_wait_dscnt 0x0
	v_pk_mul_f32 v[170:171], v[166:167], v[164:165] op_sel:[0,1]
	s_delay_alu instid0(VALU_DEP_1) | instskip(SKIP_2) | instid1(VALU_DEP_2)
	v_pk_fma_f32 v[180:181], v[166:167], v[154:155], v[170:171] op_sel:[0,0,1] op_sel_hi:[1,1,0] neg_lo:[0,0,1] neg_hi:[0,0,1]
	v_pk_fma_f32 v[166:167], v[166:167], v[154:155], v[170:171] op_sel:[0,0,1] op_sel_hi:[1,0,0]
	v_dual_mul_f32 v170, v169, v165 :: v_dual_mov_b32 v166, v169
	v_dual_mov_b32 v181, v167 :: v_dual_mov_b32 v167, v168
	s_delay_alu instid0(VALU_DEP_2) | instskip(SKIP_1) | instid1(VALU_DEP_3)
	v_pk_fma_f32 v[170:171], v[168:169], v[174:175], v[170:171] op_sel_hi:[1,1,0] neg_lo:[0,0,1] neg_hi:[0,0,1]
	v_mul_f32_e32 v168, v169, v154
	v_pk_add_f32 v[194:195], v[194:195], v[180:181] neg_lo:[0,1] neg_hi:[0,1]
	s_delay_alu instid0(VALU_DEP_2) | instskip(NEXT) | instid1(VALU_DEP_1)
	v_pk_fma_f32 v[166:167], v[166:167], v[174:175], v[168:169] op_sel_hi:[1,1,0]
	v_mov_b32_e32 v171, v167
	ds_load_2addr_b64 v[166:169], v236 offset0:46 offset1:47
	v_pk_add_f32 v[190:191], v[190:191], v[170:171] neg_lo:[0,1] neg_hi:[0,1]
	s_wait_dscnt 0x0
	v_pk_mul_f32 v[170:171], v[166:167], v[164:165] op_sel:[0,1]
	s_delay_alu instid0(VALU_DEP_1) | instskip(SKIP_1) | instid1(VALU_DEP_1)
	v_pk_fma_f32 v[180:181], v[166:167], v[154:155], v[170:171] op_sel:[0,0,1] op_sel_hi:[1,1,0] neg_lo:[0,0,1] neg_hi:[0,0,1]
	v_pk_fma_f32 v[166:167], v[166:167], v[154:155], v[170:171] op_sel:[0,0,1] op_sel_hi:[1,0,0]
	v_mov_b32_e32 v181, v167
	v_pk_mul_f32 v[166:167], v[168:169], v[164:165] op_sel:[0,1]
	s_delay_alu instid0(VALU_DEP_1) | instskip(SKIP_1) | instid1(VALU_DEP_1)
	v_pk_fma_f32 v[170:171], v[168:169], v[154:155], v[166:167] op_sel:[0,0,1] op_sel_hi:[1,1,0] neg_lo:[0,0,1] neg_hi:[0,0,1]
	v_pk_fma_f32 v[166:167], v[168:169], v[154:155], v[166:167] op_sel:[0,0,1] op_sel_hi:[1,0,0]
	v_mov_b32_e32 v171, v167
	ds_load_2addr_b64 v[166:169], v236 offset0:48 offset1:49
	v_pk_add_f32 v[192:193], v[192:193], v[180:181] neg_lo:[0,1] neg_hi:[0,1]
	v_pk_add_f32 v[188:189], v[188:189], v[170:171] neg_lo:[0,1] neg_hi:[0,1]
	s_wait_dscnt 0x0
	v_pk_mul_f32 v[170:171], v[166:167], v[164:165] op_sel:[0,1]
	s_delay_alu instid0(VALU_DEP_1) | instskip(SKIP_1) | instid1(VALU_DEP_1)
	v_pk_fma_f32 v[180:181], v[166:167], v[154:155], v[170:171] op_sel:[0,0,1] op_sel_hi:[1,1,0] neg_lo:[0,0,1] neg_hi:[0,0,1]
	v_pk_fma_f32 v[166:167], v[166:167], v[154:155], v[170:171] op_sel:[0,0,1] op_sel_hi:[1,0,0]
	v_mov_b32_e32 v181, v167
	v_pk_mul_f32 v[166:167], v[168:169], v[164:165] op_sel:[0,1]
	s_delay_alu instid0(VALU_DEP_1) | instskip(SKIP_1) | instid1(VALU_DEP_1)
	v_pk_fma_f32 v[170:171], v[168:169], v[154:155], v[166:167] op_sel:[0,0,1] op_sel_hi:[1,1,0] neg_lo:[0,0,1] neg_hi:[0,0,1]
	v_pk_fma_f32 v[166:167], v[168:169], v[154:155], v[166:167] op_sel:[0,0,1] op_sel_hi:[1,0,0]
	v_mov_b32_e32 v171, v167
	ds_load_2addr_b64 v[166:169], v236 offset0:50 offset1:51
	v_pk_add_f32 v[210:211], v[210:211], v[180:181] neg_lo:[0,1] neg_hi:[0,1]
	v_pk_add_f32 v[206:207], v[206:207], v[170:171] neg_lo:[0,1] neg_hi:[0,1]
	s_wait_dscnt 0x0
	v_dual_mul_f32 v170, v167, v165 :: v_dual_mul_f32 v180, v167, v154
	s_delay_alu instid0(VALU_DEP_1) | instskip(NEXT) | instid1(VALU_DEP_2)
	v_pk_fma_f32 v[170:171], v[166:167], v[174:175], v[170:171] op_sel_hi:[1,1,0] neg_lo:[0,0,1] neg_hi:[0,0,1]
	v_pk_fma_f32 v[166:167], v[166:167], v[174:175], v[180:181] op_sel:[1,0,0] op_sel_hi:[0,1,0]
	s_delay_alu instid0(VALU_DEP_1) | instskip(SKIP_1) | instid1(VALU_DEP_2)
	v_mov_b32_e32 v171, v167
	v_pk_mul_f32 v[166:167], v[168:169], v[164:165] op_sel:[0,1]
	v_pk_add_f32 v[208:209], v[208:209], v[170:171] neg_lo:[0,1] neg_hi:[0,1]
	s_delay_alu instid0(VALU_DEP_2) | instskip(SKIP_1) | instid1(VALU_DEP_1)
	v_pk_fma_f32 v[170:171], v[168:169], v[154:155], v[166:167] op_sel:[0,0,1] op_sel_hi:[1,1,0] neg_lo:[0,0,1] neg_hi:[0,0,1]
	v_pk_fma_f32 v[166:167], v[168:169], v[154:155], v[166:167] op_sel:[0,0,1] op_sel_hi:[1,0,0]
	v_mov_b32_e32 v171, v167
	ds_load_2addr_b64 v[166:169], v236 offset0:52 offset1:53
	v_pk_add_f32 v[204:205], v[204:205], v[170:171] neg_lo:[0,1] neg_hi:[0,1]
	s_wait_dscnt 0x0
	v_pk_mul_f32 v[170:171], v[166:167], v[164:165] op_sel:[0,1]
	s_delay_alu instid0(VALU_DEP_1) | instskip(SKIP_1) | instid1(VALU_DEP_1)
	v_pk_fma_f32 v[180:181], v[166:167], v[154:155], v[170:171] op_sel:[0,0,1] op_sel_hi:[1,1,0] neg_lo:[0,0,1] neg_hi:[0,0,1]
	v_pk_fma_f32 v[166:167], v[166:167], v[154:155], v[170:171] op_sel:[0,0,1] op_sel_hi:[1,0,0]
	v_mov_b32_e32 v181, v167
	v_pk_mul_f32 v[166:167], v[168:169], v[164:165] op_sel:[0,1]
	s_delay_alu instid0(VALU_DEP_2) | instskip(NEXT) | instid1(VALU_DEP_2)
	v_pk_add_f32 v[228:229], v[228:229], v[180:181] neg_lo:[0,1] neg_hi:[0,1]
	v_pk_fma_f32 v[170:171], v[168:169], v[154:155], v[166:167] op_sel:[0,0,1] op_sel_hi:[1,1,0] neg_lo:[0,0,1] neg_hi:[0,0,1]
	v_pk_fma_f32 v[166:167], v[168:169], v[154:155], v[166:167] op_sel:[0,0,1] op_sel_hi:[1,0,0]
	s_delay_alu instid0(VALU_DEP_1) | instskip(SKIP_4) | instid1(VALU_DEP_1)
	v_mov_b32_e32 v171, v167
	ds_load_2addr_b64 v[166:169], v236 offset0:54 offset1:55
	v_pk_add_f32 v[224:225], v[224:225], v[170:171] neg_lo:[0,1] neg_hi:[0,1]
	s_wait_dscnt 0x0
	v_pk_mul_f32 v[170:171], v[166:167], v[164:165] op_sel:[0,1]
	v_pk_fma_f32 v[180:181], v[166:167], v[154:155], v[170:171] op_sel:[0,0,1] op_sel_hi:[1,1,0] neg_lo:[0,0,1] neg_hi:[0,0,1]
	v_pk_fma_f32 v[166:167], v[166:167], v[154:155], v[170:171] op_sel:[0,0,1] op_sel_hi:[1,0,0]
	v_dual_mul_f32 v170, v169, v165 :: v_dual_mov_b32 v166, v169
	s_delay_alu instid0(VALU_DEP_2) | instskip(NEXT) | instid1(VALU_DEP_2)
	v_dual_mov_b32 v181, v167 :: v_dual_mov_b32 v167, v168
	v_pk_fma_f32 v[170:171], v[168:169], v[174:175], v[170:171] op_sel_hi:[1,1,0] neg_lo:[0,0,1] neg_hi:[0,0,1]
	v_mul_f32_e32 v168, v169, v154
	s_delay_alu instid0(VALU_DEP_3) | instskip(NEXT) | instid1(VALU_DEP_2)
	v_pk_add_f32 v[226:227], v[226:227], v[180:181] neg_lo:[0,1] neg_hi:[0,1]
	v_pk_fma_f32 v[166:167], v[166:167], v[174:175], v[168:169] op_sel_hi:[1,1,0]
	s_delay_alu instid0(VALU_DEP_1) | instskip(SKIP_4) | instid1(VALU_DEP_1)
	v_mov_b32_e32 v171, v167
	ds_load_2addr_b64 v[166:169], v236 offset0:56 offset1:57
	v_pk_add_f32 v[222:223], v[222:223], v[170:171] neg_lo:[0,1] neg_hi:[0,1]
	s_wait_dscnt 0x0
	v_pk_mul_f32 v[170:171], v[166:167], v[164:165] op_sel:[0,1]
	v_pk_fma_f32 v[180:181], v[166:167], v[154:155], v[170:171] op_sel:[0,0,1] op_sel_hi:[1,1,0] neg_lo:[0,0,1] neg_hi:[0,0,1]
	v_pk_fma_f32 v[166:167], v[166:167], v[154:155], v[170:171] op_sel:[0,0,1] op_sel_hi:[1,0,0]
	s_delay_alu instid0(VALU_DEP_1) | instskip(SKIP_1) | instid1(VALU_DEP_1)
	v_mov_b32_e32 v181, v167
	v_pk_mul_f32 v[166:167], v[168:169], v[164:165] op_sel:[0,1]
	v_pk_fma_f32 v[170:171], v[168:169], v[154:155], v[166:167] op_sel:[0,0,1] op_sel_hi:[1,1,0] neg_lo:[0,0,1] neg_hi:[0,0,1]
	v_pk_fma_f32 v[166:167], v[168:169], v[154:155], v[166:167] op_sel:[0,0,1] op_sel_hi:[1,0,0]
	s_delay_alu instid0(VALU_DEP_1)
	v_mov_b32_e32 v171, v167
	ds_load_2addr_b64 v[166:169], v236 offset0:58 offset1:59
	v_pk_add_f32 v[244:245], v[244:245], v[180:181] neg_lo:[0,1] neg_hi:[0,1]
	v_pk_add_f32 v[240:241], v[240:241], v[170:171] neg_lo:[0,1] neg_hi:[0,1]
	s_wait_dscnt 0x0
	v_pk_mul_f32 v[170:171], v[166:167], v[164:165] op_sel:[0,1]
	s_delay_alu instid0(VALU_DEP_1) | instskip(SKIP_1) | instid1(VALU_DEP_1)
	v_pk_fma_f32 v[180:181], v[166:167], v[154:155], v[170:171] op_sel:[0,0,1] op_sel_hi:[1,1,0] neg_lo:[0,0,1] neg_hi:[0,0,1]
	v_pk_fma_f32 v[166:167], v[166:167], v[154:155], v[170:171] op_sel:[0,0,1] op_sel_hi:[1,0,0]
	v_mov_b32_e32 v181, v167
	v_pk_mul_f32 v[166:167], v[168:169], v[164:165] op_sel:[0,1]
	s_delay_alu instid0(VALU_DEP_1) | instskip(SKIP_1) | instid1(VALU_DEP_1)
	v_pk_fma_f32 v[170:171], v[168:169], v[154:155], v[166:167] op_sel:[0,0,1] op_sel_hi:[1,1,0] neg_lo:[0,0,1] neg_hi:[0,0,1]
	v_pk_fma_f32 v[166:167], v[168:169], v[154:155], v[166:167] op_sel:[0,0,1] op_sel_hi:[1,0,0]
	v_mov_b32_e32 v171, v167
	ds_load_2addr_b64 v[166:169], v236 offset0:60 offset1:61
	v_pk_add_f32 v[242:243], v[242:243], v[180:181] neg_lo:[0,1] neg_hi:[0,1]
	v_pk_add_f32 v[238:239], v[238:239], v[170:171] neg_lo:[0,1] neg_hi:[0,1]
	s_wait_dscnt 0x0
	v_dual_mul_f32 v170, v167, v165 :: v_dual_mul_f32 v180, v167, v154
	v_pk_mul_f32 v[164:165], v[168:169], v[164:165] op_sel:[0,1]
	s_delay_alu instid0(VALU_DEP_2) | instskip(NEXT) | instid1(VALU_DEP_3)
	v_pk_fma_f32 v[170:171], v[166:167], v[174:175], v[170:171] op_sel_hi:[1,1,0] neg_lo:[0,0,1] neg_hi:[0,0,1]
	v_pk_fma_f32 v[166:167], v[166:167], v[174:175], v[180:181] op_sel:[1,0,0] op_sel_hi:[0,1,0]
	s_delay_alu instid0(VALU_DEP_1) | instskip(NEXT) | instid1(VALU_DEP_4)
	v_mov_b32_e32 v171, v167
	v_pk_fma_f32 v[166:167], v[168:169], v[154:155], v[164:165] op_sel:[0,0,1] op_sel_hi:[1,1,0] neg_lo:[0,0,1] neg_hi:[0,0,1]
	v_pk_fma_f32 v[154:155], v[168:169], v[154:155], v[164:165] op_sel:[0,0,1] op_sel_hi:[1,0,0]
	s_delay_alu instid0(VALU_DEP_1) | instskip(NEXT) | instid1(VALU_DEP_4)
	v_mov_b32_e32 v167, v155
	v_pk_add_f32 v[246:247], v[246:247], v[170:171] neg_lo:[0,1] neg_hi:[0,1]
	s_delay_alu instid0(VALU_DEP_2)
	v_pk_add_f32 v[248:249], v[248:249], v[166:167] neg_lo:[0,1] neg_hi:[0,1]
.LBB123_379:
	s_or_b32 exec_lo, exec_lo, s1
	s_delay_alu instid0(SALU_CYCLE_1)
	s_mov_b32 s2, exec_lo
	s_wait_dscnt 0x0
	s_barrier_signal -1
	s_barrier_wait -1
	v_cmpx_eq_u32_e32 42, v234
	s_cbranch_execz .LBB123_386
; %bb.380:
	ds_store_b64 v235, v[176:177]
	ds_store_2addr_b64 v236, v[172:173], v[194:195] offset0:43 offset1:44
	ds_store_2addr_b64 v236, v[190:191], v[192:193] offset0:45 offset1:46
	;; [unrolled: 1-line block ×9, first 2 shown]
	ds_store_b64 v236, v[248:249] offset:488
	ds_load_b64 v[154:155], v235
	s_wait_dscnt 0x0
	v_cmp_neq_f32_e32 vcc_lo, 0, v154
	v_cmp_neq_f32_e64 s1, 0, v155
	s_or_b32 s1, vcc_lo, s1
	s_delay_alu instid0(SALU_CYCLE_1)
	s_and_b32 exec_lo, exec_lo, s1
	s_cbranch_execz .LBB123_386
; %bb.381:
	v_cmp_ngt_f32_e64 s1, |v154|, |v155|
                                        ; implicit-def: $vgpr164_vgpr165
	s_and_saveexec_b32 s4, s1
	s_delay_alu instid0(SALU_CYCLE_1)
	s_xor_b32 s1, exec_lo, s4
	s_cbranch_execz .LBB123_383
; %bb.382:
	v_div_scale_f32 v0, null, v155, v155, v154
	v_div_scale_f32 v165, vcc_lo, v154, v155, v154
	s_delay_alu instid0(VALU_DEP_2) | instskip(SKIP_1) | instid1(TRANS32_DEP_1)
	v_rcp_f32_e32 v1, v0
	v_nop
	v_fma_f32 v164, -v0, v1, 1.0
	s_delay_alu instid0(VALU_DEP_1) | instskip(NEXT) | instid1(VALU_DEP_1)
	v_fmac_f32_e32 v1, v164, v1
	v_mul_f32_e32 v164, v165, v1
	s_delay_alu instid0(VALU_DEP_1) | instskip(NEXT) | instid1(VALU_DEP_1)
	v_fma_f32 v166, -v0, v164, v165
	v_fmac_f32_e32 v164, v166, v1
	s_delay_alu instid0(VALU_DEP_1) | instskip(NEXT) | instid1(VALU_DEP_1)
	v_fma_f32 v0, -v0, v164, v165
	v_div_fmas_f32 v0, v0, v1, v164
	s_delay_alu instid0(VALU_DEP_1) | instskip(NEXT) | instid1(VALU_DEP_1)
	v_div_fixup_f32 v0, v0, v155, v154
	v_fmac_f32_e32 v155, v154, v0
	s_delay_alu instid0(VALU_DEP_1) | instskip(SKIP_1) | instid1(VALU_DEP_2)
	v_div_scale_f32 v1, null, v155, v155, 1.0
	v_div_scale_f32 v165, vcc_lo, 1.0, v155, 1.0
	v_rcp_f32_e32 v154, v1
	v_nop
	s_delay_alu instid0(TRANS32_DEP_1) | instskip(NEXT) | instid1(VALU_DEP_1)
	v_fma_f32 v164, -v1, v154, 1.0
	v_fmac_f32_e32 v154, v164, v154
	s_delay_alu instid0(VALU_DEP_1) | instskip(NEXT) | instid1(VALU_DEP_1)
	v_mul_f32_e32 v164, v165, v154
	v_fma_f32 v166, -v1, v164, v165
	s_delay_alu instid0(VALU_DEP_1) | instskip(NEXT) | instid1(VALU_DEP_1)
	v_fmac_f32_e32 v164, v166, v154
	v_fma_f32 v1, -v1, v164, v165
	s_delay_alu instid0(VALU_DEP_1) | instskip(NEXT) | instid1(VALU_DEP_1)
	v_div_fmas_f32 v1, v1, v154, v164
	v_div_fixup_f32 v1, v1, v155, 1.0
                                        ; implicit-def: $vgpr154_vgpr155
	s_delay_alu instid0(VALU_DEP_1)
	v_mul_f32_e32 v164, v0, v1
	v_xor_b32_e32 v165, 0x80000000, v1
.LBB123_383:
	s_and_not1_saveexec_b32 s1, s1
	s_cbranch_execz .LBB123_385
; %bb.384:
	v_div_scale_f32 v0, null, v154, v154, v155
	v_div_scale_f32 v165, vcc_lo, v155, v154, v155
	s_delay_alu instid0(VALU_DEP_2) | instskip(SKIP_1) | instid1(TRANS32_DEP_1)
	v_rcp_f32_e32 v1, v0
	v_nop
	v_fma_f32 v164, -v0, v1, 1.0
	s_delay_alu instid0(VALU_DEP_1) | instskip(NEXT) | instid1(VALU_DEP_1)
	v_fmac_f32_e32 v1, v164, v1
	v_mul_f32_e32 v164, v165, v1
	s_delay_alu instid0(VALU_DEP_1) | instskip(NEXT) | instid1(VALU_DEP_1)
	v_fma_f32 v166, -v0, v164, v165
	v_fmac_f32_e32 v164, v166, v1
	s_delay_alu instid0(VALU_DEP_1) | instskip(NEXT) | instid1(VALU_DEP_1)
	v_fma_f32 v0, -v0, v164, v165
	v_div_fmas_f32 v0, v0, v1, v164
	s_delay_alu instid0(VALU_DEP_1) | instskip(NEXT) | instid1(VALU_DEP_1)
	v_div_fixup_f32 v0, v0, v154, v155
	v_fmac_f32_e32 v154, v155, v0
	s_delay_alu instid0(VALU_DEP_1) | instskip(NEXT) | instid1(VALU_DEP_1)
	v_div_scale_f32 v1, null, v154, v154, 1.0
	v_rcp_f32_e32 v155, v1
	v_nop
	s_delay_alu instid0(TRANS32_DEP_1) | instskip(NEXT) | instid1(VALU_DEP_1)
	v_fma_f32 v164, -v1, v155, 1.0
	v_fmac_f32_e32 v155, v164, v155
	v_div_scale_f32 v164, vcc_lo, 1.0, v154, 1.0
	s_delay_alu instid0(VALU_DEP_1) | instskip(NEXT) | instid1(VALU_DEP_1)
	v_mul_f32_e32 v165, v164, v155
	v_fma_f32 v166, -v1, v165, v164
	s_delay_alu instid0(VALU_DEP_1) | instskip(NEXT) | instid1(VALU_DEP_1)
	v_fmac_f32_e32 v165, v166, v155
	v_fma_f32 v1, -v1, v165, v164
	s_delay_alu instid0(VALU_DEP_1) | instskip(NEXT) | instid1(VALU_DEP_1)
	v_div_fmas_f32 v1, v1, v155, v165
	v_div_fixup_f32 v164, v1, v154, 1.0
	s_delay_alu instid0(VALU_DEP_1)
	v_mul_f32_e64 v165, v0, -v164
.LBB123_385:
	s_or_b32 exec_lo, exec_lo, s1
	ds_store_b64 v235, v[164:165]
.LBB123_386:
	s_or_b32 exec_lo, exec_lo, s2
	s_wait_dscnt 0x0
	s_barrier_signal -1
	s_barrier_wait -1
	ds_load_b64 v[154:155], v235
	s_mov_b32 s1, exec_lo
	v_cmpx_lt_u32_e32 42, v234
	s_cbranch_execz .LBB123_388
; %bb.387:
	ds_load_2addr_b64 v[168:171], v236 offset0:43 offset1:44
	s_wait_dscnt 0x1
	v_pk_mul_f32 v[166:167], v[154:155], v[176:177] op_sel:[1,1] op_sel_hi:[0,1]
	s_delay_alu instid0(VALU_DEP_1) | instskip(SKIP_1) | instid1(VALU_DEP_1)
	v_pk_fma_f32 v[164:165], v[154:155], v[176:177], v[166:167] op_sel_hi:[1,0,1] neg_lo:[0,0,1] neg_hi:[0,0,1]
	v_pk_fma_f32 v[166:167], v[154:155], v[176:177], v[166:167] op_sel_hi:[1,0,1]
	v_dual_mov_b32 v176, v164 :: v_dual_mov_b32 v177, v167
	s_wait_dscnt 0x0
	s_delay_alu instid0(VALU_DEP_2) | instskip(NEXT) | instid1(VALU_DEP_1)
	v_pk_mul_f32 v[180:181], v[168:169], v[166:167] op_sel:[0,1]
	v_pk_fma_f32 v[182:183], v[168:169], v[164:165], v[180:181] op_sel:[0,0,1] op_sel_hi:[1,1,0] neg_lo:[0,0,1] neg_hi:[0,0,1]
	v_pk_fma_f32 v[168:169], v[168:169], v[164:165], v[180:181] op_sel:[0,0,1] op_sel_hi:[1,0,0]
	s_delay_alu instid0(VALU_DEP_1) | instskip(SKIP_1) | instid1(VALU_DEP_1)
	v_mov_b32_e32 v183, v169
	v_pk_mul_f32 v[168:169], v[170:171], v[166:167] op_sel:[0,1]
	v_pk_fma_f32 v[180:181], v[170:171], v[164:165], v[168:169] op_sel:[0,0,1] op_sel_hi:[1,1,0] neg_lo:[0,0,1] neg_hi:[0,0,1]
	v_pk_fma_f32 v[168:169], v[170:171], v[164:165], v[168:169] op_sel:[0,0,1] op_sel_hi:[1,0,0]
	s_delay_alu instid0(VALU_DEP_1)
	v_mov_b32_e32 v181, v169
	ds_load_2addr_b64 v[168:171], v236 offset0:45 offset1:46
	v_pk_add_f32 v[172:173], v[172:173], v[182:183] neg_lo:[0,1] neg_hi:[0,1]
	v_pk_add_f32 v[194:195], v[194:195], v[180:181] neg_lo:[0,1] neg_hi:[0,1]
	s_wait_dscnt 0x0
	v_pk_mul_f32 v[180:181], v[168:169], v[166:167] op_sel:[0,1]
	s_delay_alu instid0(VALU_DEP_1) | instskip(SKIP_2) | instid1(VALU_DEP_2)
	v_pk_fma_f32 v[182:183], v[168:169], v[164:165], v[180:181] op_sel:[0,0,1] op_sel_hi:[1,1,0] neg_lo:[0,0,1] neg_hi:[0,0,1]
	v_pk_fma_f32 v[168:169], v[168:169], v[164:165], v[180:181] op_sel:[0,0,1] op_sel_hi:[1,0,0]
	v_dual_mul_f32 v180, v171, v167 :: v_dual_mov_b32 v168, v171
	v_dual_mov_b32 v183, v169 :: v_dual_mov_b32 v169, v170
	s_delay_alu instid0(VALU_DEP_2) | instskip(SKIP_1) | instid1(VALU_DEP_3)
	v_pk_fma_f32 v[180:181], v[170:171], v[176:177], v[180:181] op_sel_hi:[1,1,0] neg_lo:[0,0,1] neg_hi:[0,0,1]
	v_mul_f32_e32 v170, v171, v164
	v_pk_add_f32 v[190:191], v[190:191], v[182:183] neg_lo:[0,1] neg_hi:[0,1]
	s_delay_alu instid0(VALU_DEP_2) | instskip(NEXT) | instid1(VALU_DEP_1)
	v_pk_fma_f32 v[168:169], v[168:169], v[176:177], v[170:171] op_sel_hi:[1,1,0]
	v_mov_b32_e32 v181, v169
	ds_load_2addr_b64 v[168:171], v236 offset0:47 offset1:48
	v_pk_add_f32 v[192:193], v[192:193], v[180:181] neg_lo:[0,1] neg_hi:[0,1]
	s_wait_dscnt 0x0
	v_pk_mul_f32 v[180:181], v[168:169], v[166:167] op_sel:[0,1]
	s_delay_alu instid0(VALU_DEP_1) | instskip(SKIP_1) | instid1(VALU_DEP_1)
	v_pk_fma_f32 v[182:183], v[168:169], v[164:165], v[180:181] op_sel:[0,0,1] op_sel_hi:[1,1,0] neg_lo:[0,0,1] neg_hi:[0,0,1]
	v_pk_fma_f32 v[168:169], v[168:169], v[164:165], v[180:181] op_sel:[0,0,1] op_sel_hi:[1,0,0]
	v_mov_b32_e32 v183, v169
	v_pk_mul_f32 v[168:169], v[170:171], v[166:167] op_sel:[0,1]
	s_delay_alu instid0(VALU_DEP_1) | instskip(SKIP_1) | instid1(VALU_DEP_1)
	v_pk_fma_f32 v[180:181], v[170:171], v[164:165], v[168:169] op_sel:[0,0,1] op_sel_hi:[1,1,0] neg_lo:[0,0,1] neg_hi:[0,0,1]
	v_pk_fma_f32 v[168:169], v[170:171], v[164:165], v[168:169] op_sel:[0,0,1] op_sel_hi:[1,0,0]
	v_mov_b32_e32 v181, v169
	ds_load_2addr_b64 v[168:171], v236 offset0:49 offset1:50
	v_pk_add_f32 v[188:189], v[188:189], v[182:183] neg_lo:[0,1] neg_hi:[0,1]
	v_pk_add_f32 v[210:211], v[210:211], v[180:181] neg_lo:[0,1] neg_hi:[0,1]
	s_wait_dscnt 0x0
	v_pk_mul_f32 v[180:181], v[168:169], v[166:167] op_sel:[0,1]
	s_delay_alu instid0(VALU_DEP_1) | instskip(SKIP_1) | instid1(VALU_DEP_1)
	v_pk_fma_f32 v[182:183], v[168:169], v[164:165], v[180:181] op_sel:[0,0,1] op_sel_hi:[1,1,0] neg_lo:[0,0,1] neg_hi:[0,0,1]
	v_pk_fma_f32 v[168:169], v[168:169], v[164:165], v[180:181] op_sel:[0,0,1] op_sel_hi:[1,0,0]
	v_mov_b32_e32 v183, v169
	v_pk_mul_f32 v[168:169], v[170:171], v[166:167] op_sel:[0,1]
	s_delay_alu instid0(VALU_DEP_1) | instskip(SKIP_1) | instid1(VALU_DEP_1)
	v_pk_fma_f32 v[180:181], v[170:171], v[164:165], v[168:169] op_sel:[0,0,1] op_sel_hi:[1,1,0] neg_lo:[0,0,1] neg_hi:[0,0,1]
	v_pk_fma_f32 v[168:169], v[170:171], v[164:165], v[168:169] op_sel:[0,0,1] op_sel_hi:[1,0,0]
	v_mov_b32_e32 v181, v169
	ds_load_2addr_b64 v[168:171], v236 offset0:51 offset1:52
	v_pk_add_f32 v[206:207], v[206:207], v[182:183] neg_lo:[0,1] neg_hi:[0,1]
	v_pk_add_f32 v[208:209], v[208:209], v[180:181] neg_lo:[0,1] neg_hi:[0,1]
	s_wait_dscnt 0x0
	v_dual_mul_f32 v180, v169, v167 :: v_dual_mul_f32 v182, v169, v164
	s_delay_alu instid0(VALU_DEP_1) | instskip(NEXT) | instid1(VALU_DEP_2)
	v_pk_fma_f32 v[180:181], v[168:169], v[176:177], v[180:181] op_sel_hi:[1,1,0] neg_lo:[0,0,1] neg_hi:[0,0,1]
	v_pk_fma_f32 v[168:169], v[168:169], v[176:177], v[182:183] op_sel:[1,0,0] op_sel_hi:[0,1,0]
	s_delay_alu instid0(VALU_DEP_1) | instskip(SKIP_1) | instid1(VALU_DEP_2)
	v_mov_b32_e32 v181, v169
	v_pk_mul_f32 v[168:169], v[170:171], v[166:167] op_sel:[0,1]
	v_pk_add_f32 v[204:205], v[204:205], v[180:181] neg_lo:[0,1] neg_hi:[0,1]
	s_delay_alu instid0(VALU_DEP_2) | instskip(SKIP_1) | instid1(VALU_DEP_1)
	v_pk_fma_f32 v[180:181], v[170:171], v[164:165], v[168:169] op_sel:[0,0,1] op_sel_hi:[1,1,0] neg_lo:[0,0,1] neg_hi:[0,0,1]
	v_pk_fma_f32 v[168:169], v[170:171], v[164:165], v[168:169] op_sel:[0,0,1] op_sel_hi:[1,0,0]
	v_mov_b32_e32 v181, v169
	ds_load_2addr_b64 v[168:171], v236 offset0:53 offset1:54
	v_pk_add_f32 v[228:229], v[228:229], v[180:181] neg_lo:[0,1] neg_hi:[0,1]
	s_wait_dscnt 0x0
	v_pk_mul_f32 v[180:181], v[168:169], v[166:167] op_sel:[0,1]
	s_delay_alu instid0(VALU_DEP_1) | instskip(SKIP_1) | instid1(VALU_DEP_1)
	v_pk_fma_f32 v[182:183], v[168:169], v[164:165], v[180:181] op_sel:[0,0,1] op_sel_hi:[1,1,0] neg_lo:[0,0,1] neg_hi:[0,0,1]
	v_pk_fma_f32 v[168:169], v[168:169], v[164:165], v[180:181] op_sel:[0,0,1] op_sel_hi:[1,0,0]
	v_mov_b32_e32 v183, v169
	v_pk_mul_f32 v[168:169], v[170:171], v[166:167] op_sel:[0,1]
	s_delay_alu instid0(VALU_DEP_2) | instskip(NEXT) | instid1(VALU_DEP_2)
	v_pk_add_f32 v[224:225], v[224:225], v[182:183] neg_lo:[0,1] neg_hi:[0,1]
	v_pk_fma_f32 v[180:181], v[170:171], v[164:165], v[168:169] op_sel:[0,0,1] op_sel_hi:[1,1,0] neg_lo:[0,0,1] neg_hi:[0,0,1]
	v_pk_fma_f32 v[168:169], v[170:171], v[164:165], v[168:169] op_sel:[0,0,1] op_sel_hi:[1,0,0]
	s_delay_alu instid0(VALU_DEP_1) | instskip(SKIP_4) | instid1(VALU_DEP_1)
	v_mov_b32_e32 v181, v169
	ds_load_2addr_b64 v[168:171], v236 offset0:55 offset1:56
	v_pk_add_f32 v[226:227], v[226:227], v[180:181] neg_lo:[0,1] neg_hi:[0,1]
	s_wait_dscnt 0x0
	v_pk_mul_f32 v[180:181], v[168:169], v[166:167] op_sel:[0,1]
	v_pk_fma_f32 v[182:183], v[168:169], v[164:165], v[180:181] op_sel:[0,0,1] op_sel_hi:[1,1,0] neg_lo:[0,0,1] neg_hi:[0,0,1]
	v_pk_fma_f32 v[168:169], v[168:169], v[164:165], v[180:181] op_sel:[0,0,1] op_sel_hi:[1,0,0]
	v_dual_mul_f32 v180, v171, v167 :: v_dual_mov_b32 v168, v171
	s_delay_alu instid0(VALU_DEP_2) | instskip(NEXT) | instid1(VALU_DEP_2)
	v_dual_mov_b32 v183, v169 :: v_dual_mov_b32 v169, v170
	v_pk_fma_f32 v[180:181], v[170:171], v[176:177], v[180:181] op_sel_hi:[1,1,0] neg_lo:[0,0,1] neg_hi:[0,0,1]
	v_mul_f32_e32 v170, v171, v164
	s_delay_alu instid0(VALU_DEP_3) | instskip(NEXT) | instid1(VALU_DEP_2)
	v_pk_add_f32 v[222:223], v[222:223], v[182:183] neg_lo:[0,1] neg_hi:[0,1]
	v_pk_fma_f32 v[168:169], v[168:169], v[176:177], v[170:171] op_sel_hi:[1,1,0]
	s_delay_alu instid0(VALU_DEP_1) | instskip(SKIP_4) | instid1(VALU_DEP_1)
	v_mov_b32_e32 v181, v169
	ds_load_2addr_b64 v[168:171], v236 offset0:57 offset1:58
	v_pk_add_f32 v[244:245], v[244:245], v[180:181] neg_lo:[0,1] neg_hi:[0,1]
	s_wait_dscnt 0x0
	v_pk_mul_f32 v[180:181], v[168:169], v[166:167] op_sel:[0,1]
	v_pk_fma_f32 v[182:183], v[168:169], v[164:165], v[180:181] op_sel:[0,0,1] op_sel_hi:[1,1,0] neg_lo:[0,0,1] neg_hi:[0,0,1]
	v_pk_fma_f32 v[168:169], v[168:169], v[164:165], v[180:181] op_sel:[0,0,1] op_sel_hi:[1,0,0]
	s_delay_alu instid0(VALU_DEP_1) | instskip(SKIP_1) | instid1(VALU_DEP_1)
	v_mov_b32_e32 v183, v169
	v_pk_mul_f32 v[168:169], v[170:171], v[166:167] op_sel:[0,1]
	v_pk_fma_f32 v[180:181], v[170:171], v[164:165], v[168:169] op_sel:[0,0,1] op_sel_hi:[1,1,0] neg_lo:[0,0,1] neg_hi:[0,0,1]
	v_pk_fma_f32 v[168:169], v[170:171], v[164:165], v[168:169] op_sel:[0,0,1] op_sel_hi:[1,0,0]
	s_delay_alu instid0(VALU_DEP_1)
	v_mov_b32_e32 v181, v169
	ds_load_2addr_b64 v[168:171], v236 offset0:59 offset1:60
	v_pk_add_f32 v[240:241], v[240:241], v[182:183] neg_lo:[0,1] neg_hi:[0,1]
	v_pk_add_f32 v[242:243], v[242:243], v[180:181] neg_lo:[0,1] neg_hi:[0,1]
	s_wait_dscnt 0x0
	v_pk_mul_f32 v[180:181], v[168:169], v[166:167] op_sel:[0,1]
	s_delay_alu instid0(VALU_DEP_1) | instskip(SKIP_1) | instid1(VALU_DEP_1)
	v_pk_fma_f32 v[182:183], v[168:169], v[164:165], v[180:181] op_sel:[0,0,1] op_sel_hi:[1,1,0] neg_lo:[0,0,1] neg_hi:[0,0,1]
	v_pk_fma_f32 v[168:169], v[168:169], v[164:165], v[180:181] op_sel:[0,0,1] op_sel_hi:[1,0,0]
	v_mov_b32_e32 v183, v169
	v_pk_mul_f32 v[168:169], v[170:171], v[166:167] op_sel:[0,1]
	s_delay_alu instid0(VALU_DEP_1) | instskip(SKIP_1) | instid1(VALU_DEP_1)
	v_pk_fma_f32 v[180:181], v[170:171], v[164:165], v[168:169] op_sel:[0,0,1] op_sel_hi:[1,1,0] neg_lo:[0,0,1] neg_hi:[0,0,1]
	v_pk_fma_f32 v[168:169], v[170:171], v[164:165], v[168:169] op_sel:[0,0,1] op_sel_hi:[1,0,0]
	v_mov_b32_e32 v181, v169
	ds_load_b64 v[168:169], v236 offset:488
	v_pk_add_f32 v[238:239], v[238:239], v[182:183] neg_lo:[0,1] neg_hi:[0,1]
	v_pk_add_f32 v[246:247], v[246:247], v[180:181] neg_lo:[0,1] neg_hi:[0,1]
	s_wait_dscnt 0x0
	v_pk_mul_f32 v[166:167], v[168:169], v[166:167] op_sel:[0,1]
	s_delay_alu instid0(VALU_DEP_1) | instskip(SKIP_1) | instid1(VALU_DEP_1)
	v_pk_fma_f32 v[170:171], v[168:169], v[164:165], v[166:167] op_sel:[0,0,1] op_sel_hi:[1,1,0] neg_lo:[0,0,1] neg_hi:[0,0,1]
	v_pk_fma_f32 v[164:165], v[168:169], v[164:165], v[166:167] op_sel:[0,0,1] op_sel_hi:[1,0,0]
	v_mov_b32_e32 v171, v165
	s_delay_alu instid0(VALU_DEP_1)
	v_pk_add_f32 v[248:249], v[248:249], v[170:171] neg_lo:[0,1] neg_hi:[0,1]
.LBB123_388:
	s_or_b32 exec_lo, exec_lo, s1
	s_delay_alu instid0(SALU_CYCLE_1)
	s_mov_b32 s2, exec_lo
	s_wait_dscnt 0x0
	s_barrier_signal -1
	s_barrier_wait -1
	v_cmpx_eq_u32_e32 43, v234
	s_cbranch_execz .LBB123_395
; %bb.389:
	v_dual_mov_b32 v164, v194 :: v_dual_mov_b32 v165, v195
	v_dual_mov_b32 v166, v190 :: v_dual_mov_b32 v167, v191
	ds_store_b64 v235, v[172:173]
	ds_store_2addr_b64 v236, v[164:165], v[166:167] offset0:44 offset1:45
	v_dual_mov_b32 v164, v192 :: v_dual_mov_b32 v165, v193
	v_dual_mov_b32 v166, v188 :: v_dual_mov_b32 v167, v189
	ds_store_2addr_b64 v236, v[164:165], v[166:167] offset0:46 offset1:47
	v_dual_mov_b32 v164, v210 :: v_dual_mov_b32 v165, v211
	v_dual_mov_b32 v166, v206 :: v_dual_mov_b32 v167, v207
	;; [unrolled: 3-line block ×7, first 2 shown]
	ds_store_2addr_b64 v236, v[164:165], v[166:167] offset0:58 offset1:59
	v_dual_mov_b32 v164, v246 :: v_dual_mov_b32 v165, v247
	ds_store_2addr_b64 v236, v[164:165], v[248:249] offset0:60 offset1:61
	ds_load_b64 v[164:165], v235
	s_wait_dscnt 0x0
	v_cmp_neq_f32_e32 vcc_lo, 0, v164
	v_cmp_neq_f32_e64 s1, 0, v165
	s_or_b32 s1, vcc_lo, s1
	s_delay_alu instid0(SALU_CYCLE_1)
	s_and_b32 exec_lo, exec_lo, s1
	s_cbranch_execz .LBB123_395
; %bb.390:
	v_cmp_ngt_f32_e64 s1, |v164|, |v165|
                                        ; implicit-def: $vgpr166_vgpr167
	s_and_saveexec_b32 s4, s1
	s_delay_alu instid0(SALU_CYCLE_1)
	s_xor_b32 s1, exec_lo, s4
	s_cbranch_execz .LBB123_392
; %bb.391:
	v_div_scale_f32 v0, null, v165, v165, v164
	v_div_scale_f32 v167, vcc_lo, v164, v165, v164
	s_delay_alu instid0(VALU_DEP_2) | instskip(SKIP_1) | instid1(TRANS32_DEP_1)
	v_rcp_f32_e32 v1, v0
	v_nop
	v_fma_f32 v166, -v0, v1, 1.0
	s_delay_alu instid0(VALU_DEP_1) | instskip(NEXT) | instid1(VALU_DEP_1)
	v_fmac_f32_e32 v1, v166, v1
	v_mul_f32_e32 v166, v167, v1
	s_delay_alu instid0(VALU_DEP_1) | instskip(NEXT) | instid1(VALU_DEP_1)
	v_fma_f32 v168, -v0, v166, v167
	v_fmac_f32_e32 v166, v168, v1
	s_delay_alu instid0(VALU_DEP_1) | instskip(NEXT) | instid1(VALU_DEP_1)
	v_fma_f32 v0, -v0, v166, v167
	v_div_fmas_f32 v0, v0, v1, v166
	s_delay_alu instid0(VALU_DEP_1) | instskip(NEXT) | instid1(VALU_DEP_1)
	v_div_fixup_f32 v0, v0, v165, v164
	v_fmac_f32_e32 v165, v164, v0
	s_delay_alu instid0(VALU_DEP_1) | instskip(SKIP_1) | instid1(VALU_DEP_2)
	v_div_scale_f32 v1, null, v165, v165, 1.0
	v_div_scale_f32 v167, vcc_lo, 1.0, v165, 1.0
	v_rcp_f32_e32 v164, v1
	v_nop
	s_delay_alu instid0(TRANS32_DEP_1) | instskip(NEXT) | instid1(VALU_DEP_1)
	v_fma_f32 v166, -v1, v164, 1.0
	v_fmac_f32_e32 v164, v166, v164
	s_delay_alu instid0(VALU_DEP_1) | instskip(NEXT) | instid1(VALU_DEP_1)
	v_mul_f32_e32 v166, v167, v164
	v_fma_f32 v168, -v1, v166, v167
	s_delay_alu instid0(VALU_DEP_1) | instskip(NEXT) | instid1(VALU_DEP_1)
	v_fmac_f32_e32 v166, v168, v164
	v_fma_f32 v1, -v1, v166, v167
	s_delay_alu instid0(VALU_DEP_1) | instskip(NEXT) | instid1(VALU_DEP_1)
	v_div_fmas_f32 v1, v1, v164, v166
	v_div_fixup_f32 v1, v1, v165, 1.0
                                        ; implicit-def: $vgpr164_vgpr165
	s_delay_alu instid0(VALU_DEP_1)
	v_mul_f32_e32 v166, v0, v1
	v_xor_b32_e32 v167, 0x80000000, v1
.LBB123_392:
	s_and_not1_saveexec_b32 s1, s1
	s_cbranch_execz .LBB123_394
; %bb.393:
	v_div_scale_f32 v0, null, v164, v164, v165
	v_div_scale_f32 v167, vcc_lo, v165, v164, v165
	s_delay_alu instid0(VALU_DEP_2) | instskip(SKIP_1) | instid1(TRANS32_DEP_1)
	v_rcp_f32_e32 v1, v0
	v_nop
	v_fma_f32 v166, -v0, v1, 1.0
	s_delay_alu instid0(VALU_DEP_1) | instskip(NEXT) | instid1(VALU_DEP_1)
	v_fmac_f32_e32 v1, v166, v1
	v_mul_f32_e32 v166, v167, v1
	s_delay_alu instid0(VALU_DEP_1) | instskip(NEXT) | instid1(VALU_DEP_1)
	v_fma_f32 v168, -v0, v166, v167
	v_fmac_f32_e32 v166, v168, v1
	s_delay_alu instid0(VALU_DEP_1) | instskip(NEXT) | instid1(VALU_DEP_1)
	v_fma_f32 v0, -v0, v166, v167
	v_div_fmas_f32 v0, v0, v1, v166
	s_delay_alu instid0(VALU_DEP_1) | instskip(NEXT) | instid1(VALU_DEP_1)
	v_div_fixup_f32 v0, v0, v164, v165
	v_fmac_f32_e32 v164, v165, v0
	s_delay_alu instid0(VALU_DEP_1) | instskip(NEXT) | instid1(VALU_DEP_1)
	v_div_scale_f32 v1, null, v164, v164, 1.0
	v_rcp_f32_e32 v165, v1
	v_nop
	s_delay_alu instid0(TRANS32_DEP_1) | instskip(NEXT) | instid1(VALU_DEP_1)
	v_fma_f32 v166, -v1, v165, 1.0
	v_fmac_f32_e32 v165, v166, v165
	v_div_scale_f32 v166, vcc_lo, 1.0, v164, 1.0
	s_delay_alu instid0(VALU_DEP_1) | instskip(NEXT) | instid1(VALU_DEP_1)
	v_mul_f32_e32 v167, v166, v165
	v_fma_f32 v168, -v1, v167, v166
	s_delay_alu instid0(VALU_DEP_1) | instskip(NEXT) | instid1(VALU_DEP_1)
	v_fmac_f32_e32 v167, v168, v165
	v_fma_f32 v1, -v1, v167, v166
	s_delay_alu instid0(VALU_DEP_1) | instskip(NEXT) | instid1(VALU_DEP_1)
	v_div_fmas_f32 v1, v1, v165, v167
	v_div_fixup_f32 v166, v1, v164, 1.0
	s_delay_alu instid0(VALU_DEP_1)
	v_mul_f32_e64 v167, v0, -v166
.LBB123_394:
	s_or_b32 exec_lo, exec_lo, s1
	ds_store_b64 v235, v[166:167]
.LBB123_395:
	s_or_b32 exec_lo, exec_lo, s2
	s_wait_dscnt 0x0
	s_barrier_signal -1
	s_barrier_wait -1
	ds_load_b64 v[164:165], v235
	s_mov_b32 s1, exec_lo
	v_cmpx_lt_u32_e32 43, v234
	s_cbranch_execz .LBB123_397
; %bb.396:
	ds_load_2addr_b64 v[180:183], v236 offset0:44 offset1:45
	s_wait_dscnt 0x1
	v_pk_mul_f32 v[168:169], v[164:165], v[172:173] op_sel:[1,1] op_sel_hi:[0,1]
	s_delay_alu instid0(VALU_DEP_1) | instskip(SKIP_1) | instid1(VALU_DEP_1)
	v_pk_fma_f32 v[166:167], v[164:165], v[172:173], v[168:169] op_sel_hi:[1,0,1] neg_lo:[0,0,1] neg_hi:[0,0,1]
	v_pk_fma_f32 v[168:169], v[164:165], v[172:173], v[168:169] op_sel_hi:[1,0,1]
	v_dual_mov_b32 v172, v166 :: v_dual_mov_b32 v173, v169
	s_wait_dscnt 0x0
	s_delay_alu instid0(VALU_DEP_2) | instskip(NEXT) | instid1(VALU_DEP_1)
	v_pk_mul_f32 v[170:171], v[180:181], v[168:169] op_sel:[0,1]
	v_pk_fma_f32 v[184:185], v[180:181], v[166:167], v[170:171] op_sel:[0,0,1] op_sel_hi:[1,1,0] neg_lo:[0,0,1] neg_hi:[0,0,1]
	v_pk_fma_f32 v[170:171], v[180:181], v[166:167], v[170:171] op_sel:[0,0,1] op_sel_hi:[1,0,0]
	s_delay_alu instid0(VALU_DEP_1) | instskip(SKIP_1) | instid1(VALU_DEP_1)
	v_mov_b32_e32 v185, v171
	v_pk_mul_f32 v[170:171], v[182:183], v[168:169] op_sel:[0,1]
	v_pk_fma_f32 v[180:181], v[182:183], v[166:167], v[170:171] op_sel:[0,0,1] op_sel_hi:[1,1,0] neg_lo:[0,0,1] neg_hi:[0,0,1]
	v_pk_fma_f32 v[170:171], v[182:183], v[166:167], v[170:171] op_sel:[0,0,1] op_sel_hi:[1,0,0]
	s_delay_alu instid0(VALU_DEP_1) | instskip(SKIP_1) | instid1(VALU_DEP_2)
	v_mov_b32_e32 v181, v171
	v_pk_add_f32 v[194:195], v[194:195], v[184:185] neg_lo:[0,1] neg_hi:[0,1]
	v_pk_add_f32 v[190:191], v[190:191], v[180:181] neg_lo:[0,1] neg_hi:[0,1]
	ds_load_2addr_b64 v[180:183], v236 offset0:46 offset1:47
	s_wait_dscnt 0x0
	v_pk_mul_f32 v[170:171], v[180:181], v[168:169] op_sel:[0,1]
	s_delay_alu instid0(VALU_DEP_1) | instskip(SKIP_2) | instid1(VALU_DEP_2)
	v_pk_fma_f32 v[184:185], v[180:181], v[166:167], v[170:171] op_sel:[0,0,1] op_sel_hi:[1,1,0] neg_lo:[0,0,1] neg_hi:[0,0,1]
	v_pk_fma_f32 v[170:171], v[180:181], v[166:167], v[170:171] op_sel:[0,0,1] op_sel_hi:[1,0,0]
	v_dual_mul_f32 v180, v183, v169 :: v_dual_mov_b32 v170, v183
	v_dual_mov_b32 v185, v171 :: v_dual_mov_b32 v171, v182
	s_delay_alu instid0(VALU_DEP_2) | instskip(SKIP_1) | instid1(VALU_DEP_3)
	v_pk_fma_f32 v[180:181], v[182:183], v[172:173], v[180:181] op_sel_hi:[1,1,0] neg_lo:[0,0,1] neg_hi:[0,0,1]
	v_mul_f32_e32 v182, v183, v166
	v_pk_add_f32 v[192:193], v[192:193], v[184:185] neg_lo:[0,1] neg_hi:[0,1]
	s_delay_alu instid0(VALU_DEP_2) | instskip(NEXT) | instid1(VALU_DEP_1)
	v_pk_fma_f32 v[170:171], v[170:171], v[172:173], v[182:183] op_sel_hi:[1,1,0]
	v_mov_b32_e32 v181, v171
	s_delay_alu instid0(VALU_DEP_1) | instskip(SKIP_3) | instid1(VALU_DEP_1)
	v_pk_add_f32 v[188:189], v[188:189], v[180:181] neg_lo:[0,1] neg_hi:[0,1]
	ds_load_2addr_b64 v[180:183], v236 offset0:48 offset1:49
	s_wait_dscnt 0x0
	v_pk_mul_f32 v[170:171], v[180:181], v[168:169] op_sel:[0,1]
	v_pk_fma_f32 v[184:185], v[180:181], v[166:167], v[170:171] op_sel:[0,0,1] op_sel_hi:[1,1,0] neg_lo:[0,0,1] neg_hi:[0,0,1]
	v_pk_fma_f32 v[170:171], v[180:181], v[166:167], v[170:171] op_sel:[0,0,1] op_sel_hi:[1,0,0]
	s_delay_alu instid0(VALU_DEP_1) | instskip(SKIP_1) | instid1(VALU_DEP_2)
	v_mov_b32_e32 v185, v171
	v_pk_mul_f32 v[170:171], v[182:183], v[168:169] op_sel:[0,1]
	v_pk_add_f32 v[210:211], v[210:211], v[184:185] neg_lo:[0,1] neg_hi:[0,1]
	s_delay_alu instid0(VALU_DEP_2) | instskip(SKIP_1) | instid1(VALU_DEP_1)
	v_pk_fma_f32 v[180:181], v[182:183], v[166:167], v[170:171] op_sel:[0,0,1] op_sel_hi:[1,1,0] neg_lo:[0,0,1] neg_hi:[0,0,1]
	v_pk_fma_f32 v[170:171], v[182:183], v[166:167], v[170:171] op_sel:[0,0,1] op_sel_hi:[1,0,0]
	v_mov_b32_e32 v181, v171
	s_delay_alu instid0(VALU_DEP_1) | instskip(SKIP_3) | instid1(VALU_DEP_1)
	v_pk_add_f32 v[206:207], v[206:207], v[180:181] neg_lo:[0,1] neg_hi:[0,1]
	ds_load_2addr_b64 v[180:183], v236 offset0:50 offset1:51
	s_wait_dscnt 0x0
	v_pk_mul_f32 v[170:171], v[180:181], v[168:169] op_sel:[0,1]
	v_pk_fma_f32 v[184:185], v[180:181], v[166:167], v[170:171] op_sel:[0,0,1] op_sel_hi:[1,1,0] neg_lo:[0,0,1] neg_hi:[0,0,1]
	v_pk_fma_f32 v[170:171], v[180:181], v[166:167], v[170:171] op_sel:[0,0,1] op_sel_hi:[1,0,0]
	s_delay_alu instid0(VALU_DEP_1) | instskip(SKIP_1) | instid1(VALU_DEP_2)
	v_mov_b32_e32 v185, v171
	v_pk_mul_f32 v[170:171], v[182:183], v[168:169] op_sel:[0,1]
	v_pk_add_f32 v[208:209], v[208:209], v[184:185] neg_lo:[0,1] neg_hi:[0,1]
	s_delay_alu instid0(VALU_DEP_2) | instskip(SKIP_1) | instid1(VALU_DEP_1)
	v_pk_fma_f32 v[180:181], v[182:183], v[166:167], v[170:171] op_sel:[0,0,1] op_sel_hi:[1,1,0] neg_lo:[0,0,1] neg_hi:[0,0,1]
	v_pk_fma_f32 v[170:171], v[182:183], v[166:167], v[170:171] op_sel:[0,0,1] op_sel_hi:[1,0,0]
	v_mov_b32_e32 v181, v171
	s_delay_alu instid0(VALU_DEP_1) | instskip(SKIP_3) | instid1(VALU_DEP_1)
	v_pk_add_f32 v[204:205], v[204:205], v[180:181] neg_lo:[0,1] neg_hi:[0,1]
	ds_load_2addr_b64 v[180:183], v236 offset0:52 offset1:53
	s_wait_dscnt 0x0
	v_dual_mul_f32 v170, v181, v169 :: v_dual_mul_f32 v184, v181, v166
	v_pk_fma_f32 v[170:171], v[180:181], v[172:173], v[170:171] op_sel_hi:[1,1,0] neg_lo:[0,0,1] neg_hi:[0,0,1]
	s_delay_alu instid0(VALU_DEP_2) | instskip(NEXT) | instid1(VALU_DEP_1)
	v_pk_fma_f32 v[180:181], v[180:181], v[172:173], v[184:185] op_sel:[1,0,0] op_sel_hi:[0,1,0]
	v_mov_b32_e32 v171, v181
	s_delay_alu instid0(VALU_DEP_1) | instskip(SKIP_1) | instid1(VALU_DEP_1)
	v_pk_add_f32 v[228:229], v[228:229], v[170:171] neg_lo:[0,1] neg_hi:[0,1]
	v_pk_mul_f32 v[170:171], v[182:183], v[168:169] op_sel:[0,1]
	v_pk_fma_f32 v[180:181], v[182:183], v[166:167], v[170:171] op_sel:[0,0,1] op_sel_hi:[1,1,0] neg_lo:[0,0,1] neg_hi:[0,0,1]
	v_pk_fma_f32 v[170:171], v[182:183], v[166:167], v[170:171] op_sel:[0,0,1] op_sel_hi:[1,0,0]
	s_delay_alu instid0(VALU_DEP_1) | instskip(NEXT) | instid1(VALU_DEP_1)
	v_mov_b32_e32 v181, v171
	v_pk_add_f32 v[224:225], v[224:225], v[180:181] neg_lo:[0,1] neg_hi:[0,1]
	ds_load_2addr_b64 v[180:183], v236 offset0:54 offset1:55
	s_wait_dscnt 0x0
	v_pk_mul_f32 v[170:171], v[180:181], v[168:169] op_sel:[0,1]
	s_delay_alu instid0(VALU_DEP_1) | instskip(SKIP_1) | instid1(VALU_DEP_1)
	v_pk_fma_f32 v[184:185], v[180:181], v[166:167], v[170:171] op_sel:[0,0,1] op_sel_hi:[1,1,0] neg_lo:[0,0,1] neg_hi:[0,0,1]
	v_pk_fma_f32 v[170:171], v[180:181], v[166:167], v[170:171] op_sel:[0,0,1] op_sel_hi:[1,0,0]
	v_mov_b32_e32 v185, v171
	v_pk_mul_f32 v[170:171], v[182:183], v[168:169] op_sel:[0,1]
	s_delay_alu instid0(VALU_DEP_2) | instskip(NEXT) | instid1(VALU_DEP_2)
	v_pk_add_f32 v[226:227], v[226:227], v[184:185] neg_lo:[0,1] neg_hi:[0,1]
	v_pk_fma_f32 v[180:181], v[182:183], v[166:167], v[170:171] op_sel:[0,0,1] op_sel_hi:[1,1,0] neg_lo:[0,0,1] neg_hi:[0,0,1]
	v_pk_fma_f32 v[170:171], v[182:183], v[166:167], v[170:171] op_sel:[0,0,1] op_sel_hi:[1,0,0]
	s_delay_alu instid0(VALU_DEP_1) | instskip(NEXT) | instid1(VALU_DEP_1)
	v_mov_b32_e32 v181, v171
	v_pk_add_f32 v[222:223], v[222:223], v[180:181] neg_lo:[0,1] neg_hi:[0,1]
	ds_load_2addr_b64 v[180:183], v236 offset0:56 offset1:57
	s_wait_dscnt 0x0
	v_pk_mul_f32 v[170:171], v[180:181], v[168:169] op_sel:[0,1]
	s_delay_alu instid0(VALU_DEP_1) | instskip(SKIP_2) | instid1(VALU_DEP_2)
	v_pk_fma_f32 v[184:185], v[180:181], v[166:167], v[170:171] op_sel:[0,0,1] op_sel_hi:[1,1,0] neg_lo:[0,0,1] neg_hi:[0,0,1]
	v_pk_fma_f32 v[170:171], v[180:181], v[166:167], v[170:171] op_sel:[0,0,1] op_sel_hi:[1,0,0]
	v_dual_mul_f32 v180, v183, v169 :: v_dual_mov_b32 v170, v183
	v_dual_mov_b32 v185, v171 :: v_dual_mov_b32 v171, v182
	s_delay_alu instid0(VALU_DEP_2) | instskip(SKIP_1) | instid1(VALU_DEP_3)
	v_pk_fma_f32 v[180:181], v[182:183], v[172:173], v[180:181] op_sel_hi:[1,1,0] neg_lo:[0,0,1] neg_hi:[0,0,1]
	v_mul_f32_e32 v182, v183, v166
	v_pk_add_f32 v[244:245], v[244:245], v[184:185] neg_lo:[0,1] neg_hi:[0,1]
	s_delay_alu instid0(VALU_DEP_2) | instskip(NEXT) | instid1(VALU_DEP_1)
	v_pk_fma_f32 v[170:171], v[170:171], v[172:173], v[182:183] op_sel_hi:[1,1,0]
	v_mov_b32_e32 v181, v171
	s_delay_alu instid0(VALU_DEP_1) | instskip(SKIP_3) | instid1(VALU_DEP_1)
	v_pk_add_f32 v[240:241], v[240:241], v[180:181] neg_lo:[0,1] neg_hi:[0,1]
	ds_load_2addr_b64 v[180:183], v236 offset0:58 offset1:59
	s_wait_dscnt 0x0
	v_pk_mul_f32 v[170:171], v[180:181], v[168:169] op_sel:[0,1]
	v_pk_fma_f32 v[184:185], v[180:181], v[166:167], v[170:171] op_sel:[0,0,1] op_sel_hi:[1,1,0] neg_lo:[0,0,1] neg_hi:[0,0,1]
	v_pk_fma_f32 v[170:171], v[180:181], v[166:167], v[170:171] op_sel:[0,0,1] op_sel_hi:[1,0,0]
	s_delay_alu instid0(VALU_DEP_1) | instskip(SKIP_1) | instid1(VALU_DEP_2)
	v_mov_b32_e32 v185, v171
	v_pk_mul_f32 v[170:171], v[182:183], v[168:169] op_sel:[0,1]
	v_pk_add_f32 v[242:243], v[242:243], v[184:185] neg_lo:[0,1] neg_hi:[0,1]
	s_delay_alu instid0(VALU_DEP_2) | instskip(SKIP_1) | instid1(VALU_DEP_1)
	v_pk_fma_f32 v[180:181], v[182:183], v[166:167], v[170:171] op_sel:[0,0,1] op_sel_hi:[1,1,0] neg_lo:[0,0,1] neg_hi:[0,0,1]
	v_pk_fma_f32 v[170:171], v[182:183], v[166:167], v[170:171] op_sel:[0,0,1] op_sel_hi:[1,0,0]
	v_mov_b32_e32 v181, v171
	s_delay_alu instid0(VALU_DEP_1) | instskip(SKIP_4) | instid1(VALU_DEP_2)
	v_pk_add_f32 v[238:239], v[238:239], v[180:181] neg_lo:[0,1] neg_hi:[0,1]
	ds_load_2addr_b64 v[180:183], v236 offset0:60 offset1:61
	s_wait_dscnt 0x0
	v_pk_mul_f32 v[170:171], v[180:181], v[168:169] op_sel:[0,1]
	v_mul_f32_e32 v168, v183, v169
	v_pk_fma_f32 v[184:185], v[180:181], v[166:167], v[170:171] op_sel:[0,0,1] op_sel_hi:[1,1,0] neg_lo:[0,0,1] neg_hi:[0,0,1]
	v_pk_fma_f32 v[170:171], v[180:181], v[166:167], v[170:171] op_sel:[0,0,1] op_sel_hi:[1,0,0]
	v_dual_mov_b32 v170, v183 :: v_dual_mul_f32 v166, v183, v166
	s_delay_alu instid0(VALU_DEP_4) | instskip(NEXT) | instid1(VALU_DEP_3)
	v_pk_fma_f32 v[168:169], v[182:183], v[172:173], v[168:169] op_sel_hi:[1,1,0] neg_lo:[0,0,1] neg_hi:[0,0,1]
	v_dual_mov_b32 v185, v171 :: v_dual_mov_b32 v171, v182
	s_delay_alu instid0(VALU_DEP_1) | instskip(NEXT) | instid1(VALU_DEP_2)
	v_pk_add_f32 v[246:247], v[246:247], v[184:185] neg_lo:[0,1] neg_hi:[0,1]
	v_pk_fma_f32 v[166:167], v[170:171], v[172:173], v[166:167] op_sel_hi:[1,1,0]
	s_delay_alu instid0(VALU_DEP_1) | instskip(NEXT) | instid1(VALU_DEP_1)
	v_mov_b32_e32 v169, v167
	v_pk_add_f32 v[248:249], v[248:249], v[168:169] neg_lo:[0,1] neg_hi:[0,1]
.LBB123_397:
	s_or_b32 exec_lo, exec_lo, s1
	s_delay_alu instid0(SALU_CYCLE_1)
	s_mov_b32 s2, exec_lo
	s_wait_dscnt 0x0
	s_barrier_signal -1
	s_barrier_wait -1
	v_cmpx_eq_u32_e32 44, v234
	s_cbranch_execz .LBB123_404
; %bb.398:
	ds_store_b64 v235, v[194:195]
	ds_store_2addr_b64 v236, v[190:191], v[192:193] offset0:45 offset1:46
	ds_store_2addr_b64 v236, v[188:189], v[210:211] offset0:47 offset1:48
	;; [unrolled: 1-line block ×8, first 2 shown]
	ds_store_b64 v236, v[248:249] offset:488
	ds_load_b64 v[166:167], v235
	s_wait_dscnt 0x0
	v_cmp_neq_f32_e32 vcc_lo, 0, v166
	v_cmp_neq_f32_e64 s1, 0, v167
	s_or_b32 s1, vcc_lo, s1
	s_delay_alu instid0(SALU_CYCLE_1)
	s_and_b32 exec_lo, exec_lo, s1
	s_cbranch_execz .LBB123_404
; %bb.399:
	v_cmp_ngt_f32_e64 s1, |v166|, |v167|
                                        ; implicit-def: $vgpr168_vgpr169
	s_and_saveexec_b32 s4, s1
	s_delay_alu instid0(SALU_CYCLE_1)
	s_xor_b32 s1, exec_lo, s4
	s_cbranch_execz .LBB123_401
; %bb.400:
	v_div_scale_f32 v0, null, v167, v167, v166
	v_div_scale_f32 v169, vcc_lo, v166, v167, v166
	s_delay_alu instid0(VALU_DEP_2) | instskip(SKIP_1) | instid1(TRANS32_DEP_1)
	v_rcp_f32_e32 v1, v0
	v_nop
	v_fma_f32 v168, -v0, v1, 1.0
	s_delay_alu instid0(VALU_DEP_1) | instskip(NEXT) | instid1(VALU_DEP_1)
	v_fmac_f32_e32 v1, v168, v1
	v_mul_f32_e32 v168, v169, v1
	s_delay_alu instid0(VALU_DEP_1) | instskip(NEXT) | instid1(VALU_DEP_1)
	v_fma_f32 v170, -v0, v168, v169
	v_fmac_f32_e32 v168, v170, v1
	s_delay_alu instid0(VALU_DEP_1) | instskip(NEXT) | instid1(VALU_DEP_1)
	v_fma_f32 v0, -v0, v168, v169
	v_div_fmas_f32 v0, v0, v1, v168
	s_delay_alu instid0(VALU_DEP_1) | instskip(NEXT) | instid1(VALU_DEP_1)
	v_div_fixup_f32 v0, v0, v167, v166
	v_fmac_f32_e32 v167, v166, v0
	s_delay_alu instid0(VALU_DEP_1) | instskip(SKIP_1) | instid1(VALU_DEP_2)
	v_div_scale_f32 v1, null, v167, v167, 1.0
	v_div_scale_f32 v169, vcc_lo, 1.0, v167, 1.0
	v_rcp_f32_e32 v166, v1
	v_nop
	s_delay_alu instid0(TRANS32_DEP_1) | instskip(NEXT) | instid1(VALU_DEP_1)
	v_fma_f32 v168, -v1, v166, 1.0
	v_fmac_f32_e32 v166, v168, v166
	s_delay_alu instid0(VALU_DEP_1) | instskip(NEXT) | instid1(VALU_DEP_1)
	v_mul_f32_e32 v168, v169, v166
	v_fma_f32 v170, -v1, v168, v169
	s_delay_alu instid0(VALU_DEP_1) | instskip(NEXT) | instid1(VALU_DEP_1)
	v_fmac_f32_e32 v168, v170, v166
	v_fma_f32 v1, -v1, v168, v169
	s_delay_alu instid0(VALU_DEP_1) | instskip(NEXT) | instid1(VALU_DEP_1)
	v_div_fmas_f32 v1, v1, v166, v168
	v_div_fixup_f32 v1, v1, v167, 1.0
                                        ; implicit-def: $vgpr166_vgpr167
	s_delay_alu instid0(VALU_DEP_1)
	v_mul_f32_e32 v168, v0, v1
	v_xor_b32_e32 v169, 0x80000000, v1
.LBB123_401:
	s_and_not1_saveexec_b32 s1, s1
	s_cbranch_execz .LBB123_403
; %bb.402:
	v_div_scale_f32 v0, null, v166, v166, v167
	v_div_scale_f32 v169, vcc_lo, v167, v166, v167
	s_delay_alu instid0(VALU_DEP_2) | instskip(SKIP_1) | instid1(TRANS32_DEP_1)
	v_rcp_f32_e32 v1, v0
	v_nop
	v_fma_f32 v168, -v0, v1, 1.0
	s_delay_alu instid0(VALU_DEP_1) | instskip(NEXT) | instid1(VALU_DEP_1)
	v_fmac_f32_e32 v1, v168, v1
	v_mul_f32_e32 v168, v169, v1
	s_delay_alu instid0(VALU_DEP_1) | instskip(NEXT) | instid1(VALU_DEP_1)
	v_fma_f32 v170, -v0, v168, v169
	v_fmac_f32_e32 v168, v170, v1
	s_delay_alu instid0(VALU_DEP_1) | instskip(NEXT) | instid1(VALU_DEP_1)
	v_fma_f32 v0, -v0, v168, v169
	v_div_fmas_f32 v0, v0, v1, v168
	s_delay_alu instid0(VALU_DEP_1) | instskip(NEXT) | instid1(VALU_DEP_1)
	v_div_fixup_f32 v0, v0, v166, v167
	v_fmac_f32_e32 v166, v167, v0
	s_delay_alu instid0(VALU_DEP_1) | instskip(NEXT) | instid1(VALU_DEP_1)
	v_div_scale_f32 v1, null, v166, v166, 1.0
	v_rcp_f32_e32 v167, v1
	v_nop
	s_delay_alu instid0(TRANS32_DEP_1) | instskip(NEXT) | instid1(VALU_DEP_1)
	v_fma_f32 v168, -v1, v167, 1.0
	v_fmac_f32_e32 v167, v168, v167
	v_div_scale_f32 v168, vcc_lo, 1.0, v166, 1.0
	s_delay_alu instid0(VALU_DEP_1) | instskip(NEXT) | instid1(VALU_DEP_1)
	v_mul_f32_e32 v169, v168, v167
	v_fma_f32 v170, -v1, v169, v168
	s_delay_alu instid0(VALU_DEP_1) | instskip(NEXT) | instid1(VALU_DEP_1)
	v_fmac_f32_e32 v169, v170, v167
	v_fma_f32 v1, -v1, v169, v168
	s_delay_alu instid0(VALU_DEP_1) | instskip(NEXT) | instid1(VALU_DEP_1)
	v_div_fmas_f32 v1, v1, v167, v169
	v_div_fixup_f32 v168, v1, v166, 1.0
	s_delay_alu instid0(VALU_DEP_1)
	v_mul_f32_e64 v169, v0, -v168
.LBB123_403:
	s_or_b32 exec_lo, exec_lo, s1
	ds_store_b64 v235, v[168:169]
.LBB123_404:
	s_or_b32 exec_lo, exec_lo, s2
	s_wait_dscnt 0x0
	s_barrier_signal -1
	s_barrier_wait -1
	ds_load_b64 v[166:167], v235
	s_mov_b32 s1, exec_lo
	v_cmpx_lt_u32_e32 44, v234
	s_cbranch_execz .LBB123_406
; %bb.405:
	ds_load_2addr_b64 v[180:183], v236 offset0:45 offset1:46
	s_wait_dscnt 0x1
	v_pk_mul_f32 v[170:171], v[166:167], v[194:195] op_sel:[1,1] op_sel_hi:[0,1]
	s_delay_alu instid0(VALU_DEP_1) | instskip(SKIP_1) | instid1(VALU_DEP_1)
	v_pk_fma_f32 v[168:169], v[166:167], v[194:195], v[170:171] op_sel_hi:[1,0,1] neg_lo:[0,0,1] neg_hi:[0,0,1]
	v_pk_fma_f32 v[170:171], v[166:167], v[194:195], v[170:171] op_sel_hi:[1,0,1]
	v_dual_mov_b32 v194, v168 :: v_dual_mov_b32 v195, v171
	s_wait_dscnt 0x0
	s_delay_alu instid0(VALU_DEP_2) | instskip(NEXT) | instid1(VALU_DEP_1)
	v_pk_mul_f32 v[184:185], v[180:181], v[170:171] op_sel:[0,1]
	v_pk_fma_f32 v[186:187], v[180:181], v[168:169], v[184:185] op_sel:[0,0,1] op_sel_hi:[1,1,0] neg_lo:[0,0,1] neg_hi:[0,0,1]
	v_pk_fma_f32 v[180:181], v[180:181], v[168:169], v[184:185] op_sel:[0,0,1] op_sel_hi:[1,0,0]
	s_delay_alu instid0(VALU_DEP_1) | instskip(SKIP_1) | instid1(VALU_DEP_1)
	v_mov_b32_e32 v187, v181
	v_pk_mul_f32 v[180:181], v[182:183], v[170:171] op_sel:[0,1]
	v_pk_fma_f32 v[184:185], v[182:183], v[168:169], v[180:181] op_sel:[0,0,1] op_sel_hi:[1,1,0] neg_lo:[0,0,1] neg_hi:[0,0,1]
	v_pk_fma_f32 v[180:181], v[182:183], v[168:169], v[180:181] op_sel:[0,0,1] op_sel_hi:[1,0,0]
	s_delay_alu instid0(VALU_DEP_1)
	v_mov_b32_e32 v185, v181
	ds_load_2addr_b64 v[180:183], v236 offset0:47 offset1:48
	v_pk_add_f32 v[190:191], v[190:191], v[186:187] neg_lo:[0,1] neg_hi:[0,1]
	v_pk_add_f32 v[192:193], v[192:193], v[184:185] neg_lo:[0,1] neg_hi:[0,1]
	s_wait_dscnt 0x0
	v_pk_mul_f32 v[184:185], v[180:181], v[170:171] op_sel:[0,1]
	s_delay_alu instid0(VALU_DEP_1) | instskip(SKIP_2) | instid1(VALU_DEP_2)
	v_pk_fma_f32 v[186:187], v[180:181], v[168:169], v[184:185] op_sel:[0,0,1] op_sel_hi:[1,1,0] neg_lo:[0,0,1] neg_hi:[0,0,1]
	v_pk_fma_f32 v[180:181], v[180:181], v[168:169], v[184:185] op_sel:[0,0,1] op_sel_hi:[1,0,0]
	v_dual_mul_f32 v184, v183, v171 :: v_dual_mov_b32 v180, v183
	v_dual_mov_b32 v187, v181 :: v_dual_mov_b32 v181, v182
	s_delay_alu instid0(VALU_DEP_2) | instskip(SKIP_1) | instid1(VALU_DEP_3)
	v_pk_fma_f32 v[184:185], v[182:183], v[194:195], v[184:185] op_sel_hi:[1,1,0] neg_lo:[0,0,1] neg_hi:[0,0,1]
	v_mul_f32_e32 v182, v183, v168
	v_pk_add_f32 v[188:189], v[188:189], v[186:187] neg_lo:[0,1] neg_hi:[0,1]
	s_delay_alu instid0(VALU_DEP_2) | instskip(NEXT) | instid1(VALU_DEP_1)
	v_pk_fma_f32 v[180:181], v[180:181], v[194:195], v[182:183] op_sel_hi:[1,1,0]
	v_mov_b32_e32 v185, v181
	ds_load_2addr_b64 v[180:183], v236 offset0:49 offset1:50
	v_pk_add_f32 v[210:211], v[210:211], v[184:185] neg_lo:[0,1] neg_hi:[0,1]
	s_wait_dscnt 0x0
	v_pk_mul_f32 v[184:185], v[180:181], v[170:171] op_sel:[0,1]
	s_delay_alu instid0(VALU_DEP_1) | instskip(SKIP_1) | instid1(VALU_DEP_1)
	v_pk_fma_f32 v[186:187], v[180:181], v[168:169], v[184:185] op_sel:[0,0,1] op_sel_hi:[1,1,0] neg_lo:[0,0,1] neg_hi:[0,0,1]
	v_pk_fma_f32 v[180:181], v[180:181], v[168:169], v[184:185] op_sel:[0,0,1] op_sel_hi:[1,0,0]
	v_mov_b32_e32 v187, v181
	v_pk_mul_f32 v[180:181], v[182:183], v[170:171] op_sel:[0,1]
	s_delay_alu instid0(VALU_DEP_1) | instskip(SKIP_1) | instid1(VALU_DEP_1)
	v_pk_fma_f32 v[184:185], v[182:183], v[168:169], v[180:181] op_sel:[0,0,1] op_sel_hi:[1,1,0] neg_lo:[0,0,1] neg_hi:[0,0,1]
	v_pk_fma_f32 v[180:181], v[182:183], v[168:169], v[180:181] op_sel:[0,0,1] op_sel_hi:[1,0,0]
	v_mov_b32_e32 v185, v181
	ds_load_2addr_b64 v[180:183], v236 offset0:51 offset1:52
	v_pk_add_f32 v[206:207], v[206:207], v[186:187] neg_lo:[0,1] neg_hi:[0,1]
	v_pk_add_f32 v[208:209], v[208:209], v[184:185] neg_lo:[0,1] neg_hi:[0,1]
	s_wait_dscnt 0x0
	v_pk_mul_f32 v[184:185], v[180:181], v[170:171] op_sel:[0,1]
	s_delay_alu instid0(VALU_DEP_1) | instskip(SKIP_1) | instid1(VALU_DEP_1)
	v_pk_fma_f32 v[186:187], v[180:181], v[168:169], v[184:185] op_sel:[0,0,1] op_sel_hi:[1,1,0] neg_lo:[0,0,1] neg_hi:[0,0,1]
	v_pk_fma_f32 v[180:181], v[180:181], v[168:169], v[184:185] op_sel:[0,0,1] op_sel_hi:[1,0,0]
	v_mov_b32_e32 v187, v181
	v_pk_mul_f32 v[180:181], v[182:183], v[170:171] op_sel:[0,1]
	s_delay_alu instid0(VALU_DEP_1) | instskip(SKIP_1) | instid1(VALU_DEP_1)
	v_pk_fma_f32 v[184:185], v[182:183], v[168:169], v[180:181] op_sel:[0,0,1] op_sel_hi:[1,1,0] neg_lo:[0,0,1] neg_hi:[0,0,1]
	v_pk_fma_f32 v[180:181], v[182:183], v[168:169], v[180:181] op_sel:[0,0,1] op_sel_hi:[1,0,0]
	v_mov_b32_e32 v185, v181
	ds_load_2addr_b64 v[180:183], v236 offset0:53 offset1:54
	v_pk_add_f32 v[204:205], v[204:205], v[186:187] neg_lo:[0,1] neg_hi:[0,1]
	v_pk_add_f32 v[228:229], v[228:229], v[184:185] neg_lo:[0,1] neg_hi:[0,1]
	s_wait_dscnt 0x0
	v_dual_mul_f32 v184, v181, v171 :: v_dual_mul_f32 v186, v181, v168
	s_delay_alu instid0(VALU_DEP_1) | instskip(NEXT) | instid1(VALU_DEP_2)
	v_pk_fma_f32 v[184:185], v[180:181], v[194:195], v[184:185] op_sel_hi:[1,1,0] neg_lo:[0,0,1] neg_hi:[0,0,1]
	v_pk_fma_f32 v[180:181], v[180:181], v[194:195], v[186:187] op_sel:[1,0,0] op_sel_hi:[0,1,0]
	s_delay_alu instid0(VALU_DEP_1) | instskip(SKIP_1) | instid1(VALU_DEP_2)
	v_mov_b32_e32 v185, v181
	v_pk_mul_f32 v[180:181], v[182:183], v[170:171] op_sel:[0,1]
	v_pk_add_f32 v[224:225], v[224:225], v[184:185] neg_lo:[0,1] neg_hi:[0,1]
	s_delay_alu instid0(VALU_DEP_2) | instskip(SKIP_1) | instid1(VALU_DEP_1)
	v_pk_fma_f32 v[184:185], v[182:183], v[168:169], v[180:181] op_sel:[0,0,1] op_sel_hi:[1,1,0] neg_lo:[0,0,1] neg_hi:[0,0,1]
	v_pk_fma_f32 v[180:181], v[182:183], v[168:169], v[180:181] op_sel:[0,0,1] op_sel_hi:[1,0,0]
	v_mov_b32_e32 v185, v181
	ds_load_2addr_b64 v[180:183], v236 offset0:55 offset1:56
	v_pk_add_f32 v[226:227], v[226:227], v[184:185] neg_lo:[0,1] neg_hi:[0,1]
	s_wait_dscnt 0x0
	v_pk_mul_f32 v[184:185], v[180:181], v[170:171] op_sel:[0,1]
	s_delay_alu instid0(VALU_DEP_1) | instskip(SKIP_1) | instid1(VALU_DEP_1)
	v_pk_fma_f32 v[186:187], v[180:181], v[168:169], v[184:185] op_sel:[0,0,1] op_sel_hi:[1,1,0] neg_lo:[0,0,1] neg_hi:[0,0,1]
	v_pk_fma_f32 v[180:181], v[180:181], v[168:169], v[184:185] op_sel:[0,0,1] op_sel_hi:[1,0,0]
	v_mov_b32_e32 v187, v181
	v_pk_mul_f32 v[180:181], v[182:183], v[170:171] op_sel:[0,1]
	s_delay_alu instid0(VALU_DEP_2) | instskip(NEXT) | instid1(VALU_DEP_2)
	v_pk_add_f32 v[222:223], v[222:223], v[186:187] neg_lo:[0,1] neg_hi:[0,1]
	v_pk_fma_f32 v[184:185], v[182:183], v[168:169], v[180:181] op_sel:[0,0,1] op_sel_hi:[1,1,0] neg_lo:[0,0,1] neg_hi:[0,0,1]
	v_pk_fma_f32 v[180:181], v[182:183], v[168:169], v[180:181] op_sel:[0,0,1] op_sel_hi:[1,0,0]
	s_delay_alu instid0(VALU_DEP_1) | instskip(SKIP_4) | instid1(VALU_DEP_1)
	v_mov_b32_e32 v185, v181
	ds_load_2addr_b64 v[180:183], v236 offset0:57 offset1:58
	v_pk_add_f32 v[244:245], v[244:245], v[184:185] neg_lo:[0,1] neg_hi:[0,1]
	s_wait_dscnt 0x0
	v_pk_mul_f32 v[184:185], v[180:181], v[170:171] op_sel:[0,1]
	v_pk_fma_f32 v[186:187], v[180:181], v[168:169], v[184:185] op_sel:[0,0,1] op_sel_hi:[1,1,0] neg_lo:[0,0,1] neg_hi:[0,0,1]
	v_pk_fma_f32 v[180:181], v[180:181], v[168:169], v[184:185] op_sel:[0,0,1] op_sel_hi:[1,0,0]
	v_dual_mul_f32 v184, v183, v171 :: v_dual_mov_b32 v180, v183
	s_delay_alu instid0(VALU_DEP_2) | instskip(NEXT) | instid1(VALU_DEP_2)
	v_dual_mov_b32 v187, v181 :: v_dual_mov_b32 v181, v182
	v_pk_fma_f32 v[184:185], v[182:183], v[194:195], v[184:185] op_sel_hi:[1,1,0] neg_lo:[0,0,1] neg_hi:[0,0,1]
	v_mul_f32_e32 v182, v183, v168
	s_delay_alu instid0(VALU_DEP_3) | instskip(NEXT) | instid1(VALU_DEP_2)
	v_pk_add_f32 v[240:241], v[240:241], v[186:187] neg_lo:[0,1] neg_hi:[0,1]
	v_pk_fma_f32 v[180:181], v[180:181], v[194:195], v[182:183] op_sel_hi:[1,1,0]
	s_delay_alu instid0(VALU_DEP_1) | instskip(SKIP_4) | instid1(VALU_DEP_1)
	v_mov_b32_e32 v185, v181
	ds_load_2addr_b64 v[180:183], v236 offset0:59 offset1:60
	v_pk_add_f32 v[242:243], v[242:243], v[184:185] neg_lo:[0,1] neg_hi:[0,1]
	s_wait_dscnt 0x0
	v_pk_mul_f32 v[184:185], v[180:181], v[170:171] op_sel:[0,1]
	v_pk_fma_f32 v[186:187], v[180:181], v[168:169], v[184:185] op_sel:[0,0,1] op_sel_hi:[1,1,0] neg_lo:[0,0,1] neg_hi:[0,0,1]
	v_pk_fma_f32 v[180:181], v[180:181], v[168:169], v[184:185] op_sel:[0,0,1] op_sel_hi:[1,0,0]
	s_delay_alu instid0(VALU_DEP_1) | instskip(SKIP_1) | instid1(VALU_DEP_1)
	v_mov_b32_e32 v187, v181
	v_pk_mul_f32 v[180:181], v[182:183], v[170:171] op_sel:[0,1]
	v_pk_fma_f32 v[184:185], v[182:183], v[168:169], v[180:181] op_sel:[0,0,1] op_sel_hi:[1,1,0] neg_lo:[0,0,1] neg_hi:[0,0,1]
	v_pk_fma_f32 v[180:181], v[182:183], v[168:169], v[180:181] op_sel:[0,0,1] op_sel_hi:[1,0,0]
	s_delay_alu instid0(VALU_DEP_1)
	v_mov_b32_e32 v185, v181
	ds_load_b64 v[180:181], v236 offset:488
	v_pk_add_f32 v[238:239], v[238:239], v[186:187] neg_lo:[0,1] neg_hi:[0,1]
	v_pk_add_f32 v[246:247], v[246:247], v[184:185] neg_lo:[0,1] neg_hi:[0,1]
	s_wait_dscnt 0x0
	v_pk_mul_f32 v[170:171], v[180:181], v[170:171] op_sel:[0,1]
	s_delay_alu instid0(VALU_DEP_1) | instskip(SKIP_1) | instid1(VALU_DEP_1)
	v_pk_fma_f32 v[182:183], v[180:181], v[168:169], v[170:171] op_sel:[0,0,1] op_sel_hi:[1,1,0] neg_lo:[0,0,1] neg_hi:[0,0,1]
	v_pk_fma_f32 v[168:169], v[180:181], v[168:169], v[170:171] op_sel:[0,0,1] op_sel_hi:[1,0,0]
	v_mov_b32_e32 v183, v169
	s_delay_alu instid0(VALU_DEP_1)
	v_pk_add_f32 v[248:249], v[248:249], v[182:183] neg_lo:[0,1] neg_hi:[0,1]
.LBB123_406:
	s_or_b32 exec_lo, exec_lo, s1
	s_delay_alu instid0(SALU_CYCLE_1)
	s_mov_b32 s2, exec_lo
	s_wait_dscnt 0x0
	s_barrier_signal -1
	s_barrier_wait -1
	v_cmpx_eq_u32_e32 45, v234
	s_cbranch_execz .LBB123_413
; %bb.407:
	v_dual_mov_b32 v168, v192 :: v_dual_mov_b32 v169, v193
	v_dual_mov_b32 v170, v188 :: v_dual_mov_b32 v171, v189
	ds_store_b64 v235, v[190:191]
	ds_store_2addr_b64 v236, v[168:169], v[170:171] offset0:46 offset1:47
	v_dual_mov_b32 v168, v210 :: v_dual_mov_b32 v169, v211
	v_dual_mov_b32 v170, v206 :: v_dual_mov_b32 v171, v207
	ds_store_2addr_b64 v236, v[168:169], v[170:171] offset0:48 offset1:49
	v_dual_mov_b32 v168, v208 :: v_dual_mov_b32 v169, v209
	v_dual_mov_b32 v170, v204 :: v_dual_mov_b32 v171, v205
	;; [unrolled: 3-line block ×6, first 2 shown]
	ds_store_2addr_b64 v236, v[168:169], v[170:171] offset0:58 offset1:59
	v_dual_mov_b32 v168, v246 :: v_dual_mov_b32 v169, v247
	ds_store_2addr_b64 v236, v[168:169], v[248:249] offset0:60 offset1:61
	ds_load_b64 v[168:169], v235
	s_wait_dscnt 0x0
	v_cmp_neq_f32_e32 vcc_lo, 0, v168
	v_cmp_neq_f32_e64 s1, 0, v169
	s_or_b32 s1, vcc_lo, s1
	s_delay_alu instid0(SALU_CYCLE_1)
	s_and_b32 exec_lo, exec_lo, s1
	s_cbranch_execz .LBB123_413
; %bb.408:
	v_cmp_ngt_f32_e64 s1, |v168|, |v169|
                                        ; implicit-def: $vgpr170_vgpr171
	s_and_saveexec_b32 s4, s1
	s_delay_alu instid0(SALU_CYCLE_1)
	s_xor_b32 s1, exec_lo, s4
	s_cbranch_execz .LBB123_410
; %bb.409:
	v_div_scale_f32 v0, null, v169, v169, v168
	v_div_scale_f32 v171, vcc_lo, v168, v169, v168
	s_delay_alu instid0(VALU_DEP_2) | instskip(SKIP_1) | instid1(TRANS32_DEP_1)
	v_rcp_f32_e32 v1, v0
	v_nop
	v_fma_f32 v170, -v0, v1, 1.0
	s_delay_alu instid0(VALU_DEP_1) | instskip(NEXT) | instid1(VALU_DEP_1)
	v_fmac_f32_e32 v1, v170, v1
	v_mul_f32_e32 v170, v171, v1
	s_delay_alu instid0(VALU_DEP_1) | instskip(NEXT) | instid1(VALU_DEP_1)
	v_fma_f32 v180, -v0, v170, v171
	v_fmac_f32_e32 v170, v180, v1
	s_delay_alu instid0(VALU_DEP_1) | instskip(NEXT) | instid1(VALU_DEP_1)
	v_fma_f32 v0, -v0, v170, v171
	v_div_fmas_f32 v0, v0, v1, v170
	s_delay_alu instid0(VALU_DEP_1) | instskip(NEXT) | instid1(VALU_DEP_1)
	v_div_fixup_f32 v0, v0, v169, v168
	v_fmac_f32_e32 v169, v168, v0
	s_delay_alu instid0(VALU_DEP_1) | instskip(SKIP_1) | instid1(VALU_DEP_2)
	v_div_scale_f32 v1, null, v169, v169, 1.0
	v_div_scale_f32 v171, vcc_lo, 1.0, v169, 1.0
	v_rcp_f32_e32 v168, v1
	v_nop
	s_delay_alu instid0(TRANS32_DEP_1) | instskip(NEXT) | instid1(VALU_DEP_1)
	v_fma_f32 v170, -v1, v168, 1.0
	v_fmac_f32_e32 v168, v170, v168
	s_delay_alu instid0(VALU_DEP_1) | instskip(NEXT) | instid1(VALU_DEP_1)
	v_mul_f32_e32 v170, v171, v168
	v_fma_f32 v180, -v1, v170, v171
	s_delay_alu instid0(VALU_DEP_1) | instskip(NEXT) | instid1(VALU_DEP_1)
	v_fmac_f32_e32 v170, v180, v168
	v_fma_f32 v1, -v1, v170, v171
	s_delay_alu instid0(VALU_DEP_1) | instskip(NEXT) | instid1(VALU_DEP_1)
	v_div_fmas_f32 v1, v1, v168, v170
	v_div_fixup_f32 v1, v1, v169, 1.0
                                        ; implicit-def: $vgpr168_vgpr169
	s_delay_alu instid0(VALU_DEP_1)
	v_mul_f32_e32 v170, v0, v1
	v_xor_b32_e32 v171, 0x80000000, v1
.LBB123_410:
	s_and_not1_saveexec_b32 s1, s1
	s_cbranch_execz .LBB123_412
; %bb.411:
	v_div_scale_f32 v0, null, v168, v168, v169
	v_div_scale_f32 v171, vcc_lo, v169, v168, v169
	s_delay_alu instid0(VALU_DEP_2) | instskip(SKIP_1) | instid1(TRANS32_DEP_1)
	v_rcp_f32_e32 v1, v0
	v_nop
	v_fma_f32 v170, -v0, v1, 1.0
	s_delay_alu instid0(VALU_DEP_1) | instskip(NEXT) | instid1(VALU_DEP_1)
	v_fmac_f32_e32 v1, v170, v1
	v_mul_f32_e32 v170, v171, v1
	s_delay_alu instid0(VALU_DEP_1) | instskip(NEXT) | instid1(VALU_DEP_1)
	v_fma_f32 v180, -v0, v170, v171
	v_fmac_f32_e32 v170, v180, v1
	s_delay_alu instid0(VALU_DEP_1) | instskip(NEXT) | instid1(VALU_DEP_1)
	v_fma_f32 v0, -v0, v170, v171
	v_div_fmas_f32 v0, v0, v1, v170
	s_delay_alu instid0(VALU_DEP_1) | instskip(NEXT) | instid1(VALU_DEP_1)
	v_div_fixup_f32 v0, v0, v168, v169
	v_fmac_f32_e32 v168, v169, v0
	s_delay_alu instid0(VALU_DEP_1) | instskip(NEXT) | instid1(VALU_DEP_1)
	v_div_scale_f32 v1, null, v168, v168, 1.0
	v_rcp_f32_e32 v169, v1
	v_nop
	s_delay_alu instid0(TRANS32_DEP_1) | instskip(NEXT) | instid1(VALU_DEP_1)
	v_fma_f32 v170, -v1, v169, 1.0
	v_fmac_f32_e32 v169, v170, v169
	v_div_scale_f32 v170, vcc_lo, 1.0, v168, 1.0
	s_delay_alu instid0(VALU_DEP_1) | instskip(NEXT) | instid1(VALU_DEP_1)
	v_mul_f32_e32 v171, v170, v169
	v_fma_f32 v180, -v1, v171, v170
	s_delay_alu instid0(VALU_DEP_1) | instskip(NEXT) | instid1(VALU_DEP_1)
	v_fmac_f32_e32 v171, v180, v169
	v_fma_f32 v1, -v1, v171, v170
	s_delay_alu instid0(VALU_DEP_1) | instskip(NEXT) | instid1(VALU_DEP_1)
	v_div_fmas_f32 v1, v1, v169, v171
	v_div_fixup_f32 v170, v1, v168, 1.0
	s_delay_alu instid0(VALU_DEP_1)
	v_mul_f32_e64 v171, v0, -v170
.LBB123_412:
	s_or_b32 exec_lo, exec_lo, s1
	ds_store_b64 v235, v[170:171]
.LBB123_413:
	s_or_b32 exec_lo, exec_lo, s2
	s_wait_dscnt 0x0
	s_barrier_signal -1
	s_barrier_wait -1
	ds_load_b64 v[168:169], v235
	s_mov_b32 s1, exec_lo
	v_cmpx_lt_u32_e32 45, v234
	s_cbranch_execz .LBB123_415
; %bb.414:
	ds_load_2addr_b64 v[182:185], v236 offset0:46 offset1:47
	s_wait_dscnt 0x1
	v_pk_mul_f32 v[180:181], v[168:169], v[190:191] op_sel:[1,1] op_sel_hi:[0,1]
	s_delay_alu instid0(VALU_DEP_1) | instskip(SKIP_1) | instid1(VALU_DEP_1)
	v_pk_fma_f32 v[170:171], v[168:169], v[190:191], v[180:181] op_sel_hi:[1,0,1] neg_lo:[0,0,1] neg_hi:[0,0,1]
	v_pk_fma_f32 v[180:181], v[168:169], v[190:191], v[180:181] op_sel_hi:[1,0,1]
	v_dual_mov_b32 v190, v170 :: v_dual_mov_b32 v191, v181
	s_wait_dscnt 0x0
	s_delay_alu instid0(VALU_DEP_2) | instskip(NEXT) | instid1(VALU_DEP_1)
	v_pk_mul_f32 v[186:187], v[182:183], v[180:181] op_sel:[0,1]
	v_pk_fma_f32 v[196:197], v[182:183], v[170:171], v[186:187] op_sel:[0,0,1] op_sel_hi:[1,1,0] neg_lo:[0,0,1] neg_hi:[0,0,1]
	v_pk_fma_f32 v[182:183], v[182:183], v[170:171], v[186:187] op_sel:[0,0,1] op_sel_hi:[1,0,0]
	s_delay_alu instid0(VALU_DEP_1) | instskip(SKIP_1) | instid1(VALU_DEP_1)
	v_mov_b32_e32 v197, v183
	v_pk_mul_f32 v[182:183], v[184:185], v[180:181] op_sel:[0,1]
	v_pk_fma_f32 v[186:187], v[184:185], v[170:171], v[182:183] op_sel:[0,0,1] op_sel_hi:[1,1,0] neg_lo:[0,0,1] neg_hi:[0,0,1]
	v_pk_fma_f32 v[182:183], v[184:185], v[170:171], v[182:183] op_sel:[0,0,1] op_sel_hi:[1,0,0]
	s_delay_alu instid0(VALU_DEP_1)
	v_mov_b32_e32 v187, v183
	ds_load_2addr_b64 v[182:185], v236 offset0:48 offset1:49
	v_pk_add_f32 v[192:193], v[192:193], v[196:197] neg_lo:[0,1] neg_hi:[0,1]
	v_pk_add_f32 v[188:189], v[188:189], v[186:187] neg_lo:[0,1] neg_hi:[0,1]
	s_wait_dscnt 0x0
	v_pk_mul_f32 v[186:187], v[182:183], v[180:181] op_sel:[0,1]
	s_delay_alu instid0(VALU_DEP_1) | instskip(SKIP_2) | instid1(VALU_DEP_2)
	v_pk_fma_f32 v[196:197], v[182:183], v[170:171], v[186:187] op_sel:[0,0,1] op_sel_hi:[1,1,0] neg_lo:[0,0,1] neg_hi:[0,0,1]
	v_pk_fma_f32 v[182:183], v[182:183], v[170:171], v[186:187] op_sel:[0,0,1] op_sel_hi:[1,0,0]
	v_dual_mul_f32 v186, v185, v181 :: v_dual_mov_b32 v182, v185
	v_dual_mov_b32 v197, v183 :: v_dual_mov_b32 v183, v184
	s_delay_alu instid0(VALU_DEP_2) | instskip(SKIP_1) | instid1(VALU_DEP_3)
	v_pk_fma_f32 v[186:187], v[184:185], v[190:191], v[186:187] op_sel_hi:[1,1,0] neg_lo:[0,0,1] neg_hi:[0,0,1]
	v_mul_f32_e32 v184, v185, v170
	v_pk_add_f32 v[210:211], v[210:211], v[196:197] neg_lo:[0,1] neg_hi:[0,1]
	s_delay_alu instid0(VALU_DEP_2) | instskip(NEXT) | instid1(VALU_DEP_1)
	v_pk_fma_f32 v[182:183], v[182:183], v[190:191], v[184:185] op_sel_hi:[1,1,0]
	v_mov_b32_e32 v187, v183
	ds_load_2addr_b64 v[182:185], v236 offset0:50 offset1:51
	v_pk_add_f32 v[206:207], v[206:207], v[186:187] neg_lo:[0,1] neg_hi:[0,1]
	s_wait_dscnt 0x0
	v_pk_mul_f32 v[186:187], v[182:183], v[180:181] op_sel:[0,1]
	s_delay_alu instid0(VALU_DEP_1) | instskip(SKIP_1) | instid1(VALU_DEP_1)
	v_pk_fma_f32 v[196:197], v[182:183], v[170:171], v[186:187] op_sel:[0,0,1] op_sel_hi:[1,1,0] neg_lo:[0,0,1] neg_hi:[0,0,1]
	v_pk_fma_f32 v[182:183], v[182:183], v[170:171], v[186:187] op_sel:[0,0,1] op_sel_hi:[1,0,0]
	v_mov_b32_e32 v197, v183
	v_pk_mul_f32 v[182:183], v[184:185], v[180:181] op_sel:[0,1]
	s_delay_alu instid0(VALU_DEP_1) | instskip(SKIP_1) | instid1(VALU_DEP_1)
	v_pk_fma_f32 v[186:187], v[184:185], v[170:171], v[182:183] op_sel:[0,0,1] op_sel_hi:[1,1,0] neg_lo:[0,0,1] neg_hi:[0,0,1]
	v_pk_fma_f32 v[182:183], v[184:185], v[170:171], v[182:183] op_sel:[0,0,1] op_sel_hi:[1,0,0]
	v_mov_b32_e32 v187, v183
	ds_load_2addr_b64 v[182:185], v236 offset0:52 offset1:53
	v_pk_add_f32 v[208:209], v[208:209], v[196:197] neg_lo:[0,1] neg_hi:[0,1]
	v_pk_add_f32 v[204:205], v[204:205], v[186:187] neg_lo:[0,1] neg_hi:[0,1]
	s_wait_dscnt 0x0
	v_pk_mul_f32 v[186:187], v[182:183], v[180:181] op_sel:[0,1]
	s_delay_alu instid0(VALU_DEP_1) | instskip(SKIP_1) | instid1(VALU_DEP_1)
	v_pk_fma_f32 v[196:197], v[182:183], v[170:171], v[186:187] op_sel:[0,0,1] op_sel_hi:[1,1,0] neg_lo:[0,0,1] neg_hi:[0,0,1]
	v_pk_fma_f32 v[182:183], v[182:183], v[170:171], v[186:187] op_sel:[0,0,1] op_sel_hi:[1,0,0]
	v_mov_b32_e32 v197, v183
	v_pk_mul_f32 v[182:183], v[184:185], v[180:181] op_sel:[0,1]
	s_delay_alu instid0(VALU_DEP_1) | instskip(SKIP_1) | instid1(VALU_DEP_1)
	v_pk_fma_f32 v[186:187], v[184:185], v[170:171], v[182:183] op_sel:[0,0,1] op_sel_hi:[1,1,0] neg_lo:[0,0,1] neg_hi:[0,0,1]
	v_pk_fma_f32 v[182:183], v[184:185], v[170:171], v[182:183] op_sel:[0,0,1] op_sel_hi:[1,0,0]
	v_mov_b32_e32 v187, v183
	ds_load_2addr_b64 v[182:185], v236 offset0:54 offset1:55
	v_pk_add_f32 v[228:229], v[228:229], v[196:197] neg_lo:[0,1] neg_hi:[0,1]
	v_pk_add_f32 v[224:225], v[224:225], v[186:187] neg_lo:[0,1] neg_hi:[0,1]
	s_wait_dscnt 0x0
	v_dual_mul_f32 v186, v183, v181 :: v_dual_mul_f32 v196, v183, v170
	s_delay_alu instid0(VALU_DEP_1) | instskip(NEXT) | instid1(VALU_DEP_2)
	v_pk_fma_f32 v[186:187], v[182:183], v[190:191], v[186:187] op_sel_hi:[1,1,0] neg_lo:[0,0,1] neg_hi:[0,0,1]
	v_pk_fma_f32 v[182:183], v[182:183], v[190:191], v[196:197] op_sel:[1,0,0] op_sel_hi:[0,1,0]
	s_delay_alu instid0(VALU_DEP_1) | instskip(SKIP_1) | instid1(VALU_DEP_2)
	v_mov_b32_e32 v187, v183
	v_pk_mul_f32 v[182:183], v[184:185], v[180:181] op_sel:[0,1]
	v_pk_add_f32 v[226:227], v[226:227], v[186:187] neg_lo:[0,1] neg_hi:[0,1]
	s_delay_alu instid0(VALU_DEP_2) | instskip(SKIP_1) | instid1(VALU_DEP_1)
	v_pk_fma_f32 v[186:187], v[184:185], v[170:171], v[182:183] op_sel:[0,0,1] op_sel_hi:[1,1,0] neg_lo:[0,0,1] neg_hi:[0,0,1]
	v_pk_fma_f32 v[182:183], v[184:185], v[170:171], v[182:183] op_sel:[0,0,1] op_sel_hi:[1,0,0]
	v_mov_b32_e32 v187, v183
	ds_load_2addr_b64 v[182:185], v236 offset0:56 offset1:57
	v_pk_add_f32 v[222:223], v[222:223], v[186:187] neg_lo:[0,1] neg_hi:[0,1]
	s_wait_dscnt 0x0
	v_pk_mul_f32 v[186:187], v[182:183], v[180:181] op_sel:[0,1]
	s_delay_alu instid0(VALU_DEP_1) | instskip(SKIP_1) | instid1(VALU_DEP_1)
	v_pk_fma_f32 v[196:197], v[182:183], v[170:171], v[186:187] op_sel:[0,0,1] op_sel_hi:[1,1,0] neg_lo:[0,0,1] neg_hi:[0,0,1]
	v_pk_fma_f32 v[182:183], v[182:183], v[170:171], v[186:187] op_sel:[0,0,1] op_sel_hi:[1,0,0]
	v_mov_b32_e32 v197, v183
	v_pk_mul_f32 v[182:183], v[184:185], v[180:181] op_sel:[0,1]
	s_delay_alu instid0(VALU_DEP_2) | instskip(NEXT) | instid1(VALU_DEP_2)
	v_pk_add_f32 v[244:245], v[244:245], v[196:197] neg_lo:[0,1] neg_hi:[0,1]
	v_pk_fma_f32 v[186:187], v[184:185], v[170:171], v[182:183] op_sel:[0,0,1] op_sel_hi:[1,1,0] neg_lo:[0,0,1] neg_hi:[0,0,1]
	v_pk_fma_f32 v[182:183], v[184:185], v[170:171], v[182:183] op_sel:[0,0,1] op_sel_hi:[1,0,0]
	s_delay_alu instid0(VALU_DEP_1) | instskip(SKIP_4) | instid1(VALU_DEP_1)
	v_mov_b32_e32 v187, v183
	ds_load_2addr_b64 v[182:185], v236 offset0:58 offset1:59
	v_pk_add_f32 v[240:241], v[240:241], v[186:187] neg_lo:[0,1] neg_hi:[0,1]
	s_wait_dscnt 0x0
	v_pk_mul_f32 v[186:187], v[182:183], v[180:181] op_sel:[0,1]
	v_pk_fma_f32 v[196:197], v[182:183], v[170:171], v[186:187] op_sel:[0,0,1] op_sel_hi:[1,1,0] neg_lo:[0,0,1] neg_hi:[0,0,1]
	v_pk_fma_f32 v[182:183], v[182:183], v[170:171], v[186:187] op_sel:[0,0,1] op_sel_hi:[1,0,0]
	v_dual_mul_f32 v186, v185, v181 :: v_dual_mov_b32 v182, v185
	s_delay_alu instid0(VALU_DEP_2) | instskip(NEXT) | instid1(VALU_DEP_2)
	v_dual_mov_b32 v197, v183 :: v_dual_mov_b32 v183, v184
	v_pk_fma_f32 v[186:187], v[184:185], v[190:191], v[186:187] op_sel_hi:[1,1,0] neg_lo:[0,0,1] neg_hi:[0,0,1]
	v_mul_f32_e32 v184, v185, v170
	s_delay_alu instid0(VALU_DEP_3) | instskip(NEXT) | instid1(VALU_DEP_2)
	v_pk_add_f32 v[242:243], v[242:243], v[196:197] neg_lo:[0,1] neg_hi:[0,1]
	v_pk_fma_f32 v[182:183], v[182:183], v[190:191], v[184:185] op_sel_hi:[1,1,0]
	s_delay_alu instid0(VALU_DEP_1)
	v_mov_b32_e32 v187, v183
	ds_load_2addr_b64 v[182:185], v236 offset0:60 offset1:61
	v_pk_add_f32 v[238:239], v[238:239], v[186:187] neg_lo:[0,1] neg_hi:[0,1]
	s_wait_dscnt 0x0
	v_pk_mul_f32 v[186:187], v[182:183], v[180:181] op_sel:[0,1]
	v_pk_mul_f32 v[180:181], v[184:185], v[180:181] op_sel:[0,1]
	s_delay_alu instid0(VALU_DEP_2) | instskip(SKIP_1) | instid1(VALU_DEP_1)
	v_pk_fma_f32 v[196:197], v[182:183], v[170:171], v[186:187] op_sel:[0,0,1] op_sel_hi:[1,1,0] neg_lo:[0,0,1] neg_hi:[0,0,1]
	v_pk_fma_f32 v[182:183], v[182:183], v[170:171], v[186:187] op_sel:[0,0,1] op_sel_hi:[1,0,0]
	v_mov_b32_e32 v197, v183
	s_delay_alu instid0(VALU_DEP_4) | instskip(SKIP_1) | instid1(VALU_DEP_1)
	v_pk_fma_f32 v[182:183], v[184:185], v[170:171], v[180:181] op_sel:[0,0,1] op_sel_hi:[1,1,0] neg_lo:[0,0,1] neg_hi:[0,0,1]
	v_pk_fma_f32 v[170:171], v[184:185], v[170:171], v[180:181] op_sel:[0,0,1] op_sel_hi:[1,0,0]
	v_mov_b32_e32 v183, v171
	s_delay_alu instid0(VALU_DEP_4) | instskip(NEXT) | instid1(VALU_DEP_2)
	v_pk_add_f32 v[246:247], v[246:247], v[196:197] neg_lo:[0,1] neg_hi:[0,1]
	v_pk_add_f32 v[248:249], v[248:249], v[182:183] neg_lo:[0,1] neg_hi:[0,1]
.LBB123_415:
	s_or_b32 exec_lo, exec_lo, s1
	s_delay_alu instid0(SALU_CYCLE_1)
	s_mov_b32 s2, exec_lo
	s_wait_dscnt 0x0
	s_barrier_signal -1
	s_barrier_wait -1
	v_cmpx_eq_u32_e32 46, v234
	s_cbranch_execz .LBB123_422
; %bb.416:
	ds_store_b64 v235, v[192:193]
	ds_store_2addr_b64 v236, v[188:189], v[210:211] offset0:47 offset1:48
	ds_store_2addr_b64 v236, v[206:207], v[208:209] offset0:49 offset1:50
	;; [unrolled: 1-line block ×7, first 2 shown]
	ds_store_b64 v236, v[248:249] offset:488
	ds_load_b64 v[170:171], v235
	s_wait_dscnt 0x0
	v_cmp_neq_f32_e32 vcc_lo, 0, v170
	v_cmp_neq_f32_e64 s1, 0, v171
	s_or_b32 s1, vcc_lo, s1
	s_delay_alu instid0(SALU_CYCLE_1)
	s_and_b32 exec_lo, exec_lo, s1
	s_cbranch_execz .LBB123_422
; %bb.417:
	v_cmp_ngt_f32_e64 s1, |v170|, |v171|
                                        ; implicit-def: $vgpr180_vgpr181
	s_and_saveexec_b32 s4, s1
	s_delay_alu instid0(SALU_CYCLE_1)
	s_xor_b32 s1, exec_lo, s4
	s_cbranch_execz .LBB123_419
; %bb.418:
	v_div_scale_f32 v0, null, v171, v171, v170
	v_div_scale_f32 v181, vcc_lo, v170, v171, v170
	s_delay_alu instid0(VALU_DEP_2) | instskip(SKIP_1) | instid1(TRANS32_DEP_1)
	v_rcp_f32_e32 v1, v0
	v_nop
	v_fma_f32 v180, -v0, v1, 1.0
	s_delay_alu instid0(VALU_DEP_1) | instskip(NEXT) | instid1(VALU_DEP_1)
	v_fmac_f32_e32 v1, v180, v1
	v_mul_f32_e32 v180, v181, v1
	s_delay_alu instid0(VALU_DEP_1) | instskip(NEXT) | instid1(VALU_DEP_1)
	v_fma_f32 v182, -v0, v180, v181
	v_fmac_f32_e32 v180, v182, v1
	s_delay_alu instid0(VALU_DEP_1) | instskip(NEXT) | instid1(VALU_DEP_1)
	v_fma_f32 v0, -v0, v180, v181
	v_div_fmas_f32 v0, v0, v1, v180
	s_delay_alu instid0(VALU_DEP_1) | instskip(NEXT) | instid1(VALU_DEP_1)
	v_div_fixup_f32 v0, v0, v171, v170
	v_fmac_f32_e32 v171, v170, v0
	s_delay_alu instid0(VALU_DEP_1) | instskip(SKIP_1) | instid1(VALU_DEP_2)
	v_div_scale_f32 v1, null, v171, v171, 1.0
	v_div_scale_f32 v181, vcc_lo, 1.0, v171, 1.0
	v_rcp_f32_e32 v170, v1
	v_nop
	s_delay_alu instid0(TRANS32_DEP_1) | instskip(NEXT) | instid1(VALU_DEP_1)
	v_fma_f32 v180, -v1, v170, 1.0
	v_fmac_f32_e32 v170, v180, v170
	s_delay_alu instid0(VALU_DEP_1) | instskip(NEXT) | instid1(VALU_DEP_1)
	v_mul_f32_e32 v180, v181, v170
	v_fma_f32 v182, -v1, v180, v181
	s_delay_alu instid0(VALU_DEP_1) | instskip(NEXT) | instid1(VALU_DEP_1)
	v_fmac_f32_e32 v180, v182, v170
	v_fma_f32 v1, -v1, v180, v181
	s_delay_alu instid0(VALU_DEP_1) | instskip(NEXT) | instid1(VALU_DEP_1)
	v_div_fmas_f32 v1, v1, v170, v180
	v_div_fixup_f32 v1, v1, v171, 1.0
                                        ; implicit-def: $vgpr170_vgpr171
	s_delay_alu instid0(VALU_DEP_1)
	v_mul_f32_e32 v180, v0, v1
	v_xor_b32_e32 v181, 0x80000000, v1
.LBB123_419:
	s_and_not1_saveexec_b32 s1, s1
	s_cbranch_execz .LBB123_421
; %bb.420:
	v_div_scale_f32 v0, null, v170, v170, v171
	v_div_scale_f32 v181, vcc_lo, v171, v170, v171
	s_delay_alu instid0(VALU_DEP_2) | instskip(SKIP_1) | instid1(TRANS32_DEP_1)
	v_rcp_f32_e32 v1, v0
	v_nop
	v_fma_f32 v180, -v0, v1, 1.0
	s_delay_alu instid0(VALU_DEP_1) | instskip(NEXT) | instid1(VALU_DEP_1)
	v_fmac_f32_e32 v1, v180, v1
	v_mul_f32_e32 v180, v181, v1
	s_delay_alu instid0(VALU_DEP_1) | instskip(NEXT) | instid1(VALU_DEP_1)
	v_fma_f32 v182, -v0, v180, v181
	v_fmac_f32_e32 v180, v182, v1
	s_delay_alu instid0(VALU_DEP_1) | instskip(NEXT) | instid1(VALU_DEP_1)
	v_fma_f32 v0, -v0, v180, v181
	v_div_fmas_f32 v0, v0, v1, v180
	s_delay_alu instid0(VALU_DEP_1) | instskip(NEXT) | instid1(VALU_DEP_1)
	v_div_fixup_f32 v0, v0, v170, v171
	v_fmac_f32_e32 v170, v171, v0
	s_delay_alu instid0(VALU_DEP_1) | instskip(NEXT) | instid1(VALU_DEP_1)
	v_div_scale_f32 v1, null, v170, v170, 1.0
	v_rcp_f32_e32 v171, v1
	v_nop
	s_delay_alu instid0(TRANS32_DEP_1) | instskip(NEXT) | instid1(VALU_DEP_1)
	v_fma_f32 v180, -v1, v171, 1.0
	v_fmac_f32_e32 v171, v180, v171
	v_div_scale_f32 v180, vcc_lo, 1.0, v170, 1.0
	s_delay_alu instid0(VALU_DEP_1) | instskip(NEXT) | instid1(VALU_DEP_1)
	v_mul_f32_e32 v181, v180, v171
	v_fma_f32 v182, -v1, v181, v180
	s_delay_alu instid0(VALU_DEP_1) | instskip(NEXT) | instid1(VALU_DEP_1)
	v_fmac_f32_e32 v181, v182, v171
	v_fma_f32 v1, -v1, v181, v180
	s_delay_alu instid0(VALU_DEP_1) | instskip(NEXT) | instid1(VALU_DEP_1)
	v_div_fmas_f32 v1, v1, v171, v181
	v_div_fixup_f32 v180, v1, v170, 1.0
	s_delay_alu instid0(VALU_DEP_1)
	v_mul_f32_e64 v181, v0, -v180
.LBB123_421:
	s_or_b32 exec_lo, exec_lo, s1
	ds_store_b64 v235, v[180:181]
.LBB123_422:
	s_or_b32 exec_lo, exec_lo, s2
	s_wait_dscnt 0x0
	s_barrier_signal -1
	s_barrier_wait -1
	ds_load_b64 v[170:171], v235
	s_mov_b32 s1, exec_lo
	v_cmpx_lt_u32_e32 46, v234
	s_cbranch_execz .LBB123_424
; %bb.423:
	ds_load_2addr_b64 v[184:187], v236 offset0:47 offset1:48
	s_wait_dscnt 0x1
	v_pk_mul_f32 v[182:183], v[170:171], v[192:193] op_sel:[1,1] op_sel_hi:[0,1]
	s_delay_alu instid0(VALU_DEP_1) | instskip(SKIP_1) | instid1(VALU_DEP_1)
	v_pk_fma_f32 v[180:181], v[170:171], v[192:193], v[182:183] op_sel_hi:[1,0,1] neg_lo:[0,0,1] neg_hi:[0,0,1]
	v_pk_fma_f32 v[182:183], v[170:171], v[192:193], v[182:183] op_sel_hi:[1,0,1]
	v_dual_mov_b32 v192, v180 :: v_dual_mov_b32 v193, v183
	s_wait_dscnt 0x0
	s_delay_alu instid0(VALU_DEP_2) | instskip(NEXT) | instid1(VALU_DEP_1)
	v_pk_mul_f32 v[196:197], v[184:185], v[182:183] op_sel:[0,1]
	v_pk_fma_f32 v[198:199], v[184:185], v[180:181], v[196:197] op_sel:[0,0,1] op_sel_hi:[1,1,0] neg_lo:[0,0,1] neg_hi:[0,0,1]
	v_pk_fma_f32 v[184:185], v[184:185], v[180:181], v[196:197] op_sel:[0,0,1] op_sel_hi:[1,0,0]
	s_delay_alu instid0(VALU_DEP_1) | instskip(SKIP_1) | instid1(VALU_DEP_1)
	v_mov_b32_e32 v199, v185
	v_pk_mul_f32 v[184:185], v[186:187], v[182:183] op_sel:[0,1]
	v_pk_fma_f32 v[196:197], v[186:187], v[180:181], v[184:185] op_sel:[0,0,1] op_sel_hi:[1,1,0] neg_lo:[0,0,1] neg_hi:[0,0,1]
	v_pk_fma_f32 v[184:185], v[186:187], v[180:181], v[184:185] op_sel:[0,0,1] op_sel_hi:[1,0,0]
	s_delay_alu instid0(VALU_DEP_1)
	v_mov_b32_e32 v197, v185
	ds_load_2addr_b64 v[184:187], v236 offset0:49 offset1:50
	v_pk_add_f32 v[188:189], v[188:189], v[198:199] neg_lo:[0,1] neg_hi:[0,1]
	v_pk_add_f32 v[210:211], v[210:211], v[196:197] neg_lo:[0,1] neg_hi:[0,1]
	s_wait_dscnt 0x0
	v_pk_mul_f32 v[196:197], v[184:185], v[182:183] op_sel:[0,1]
	s_delay_alu instid0(VALU_DEP_1) | instskip(SKIP_2) | instid1(VALU_DEP_2)
	v_pk_fma_f32 v[198:199], v[184:185], v[180:181], v[196:197] op_sel:[0,0,1] op_sel_hi:[1,1,0] neg_lo:[0,0,1] neg_hi:[0,0,1]
	v_pk_fma_f32 v[184:185], v[184:185], v[180:181], v[196:197] op_sel:[0,0,1] op_sel_hi:[1,0,0]
	v_dual_mul_f32 v196, v187, v183 :: v_dual_mov_b32 v184, v187
	v_dual_mov_b32 v199, v185 :: v_dual_mov_b32 v185, v186
	s_delay_alu instid0(VALU_DEP_2) | instskip(SKIP_1) | instid1(VALU_DEP_3)
	v_pk_fma_f32 v[196:197], v[186:187], v[192:193], v[196:197] op_sel_hi:[1,1,0] neg_lo:[0,0,1] neg_hi:[0,0,1]
	v_mul_f32_e32 v186, v187, v180
	v_pk_add_f32 v[206:207], v[206:207], v[198:199] neg_lo:[0,1] neg_hi:[0,1]
	s_delay_alu instid0(VALU_DEP_2) | instskip(NEXT) | instid1(VALU_DEP_1)
	v_pk_fma_f32 v[184:185], v[184:185], v[192:193], v[186:187] op_sel_hi:[1,1,0]
	v_mov_b32_e32 v197, v185
	ds_load_2addr_b64 v[184:187], v236 offset0:51 offset1:52
	v_pk_add_f32 v[208:209], v[208:209], v[196:197] neg_lo:[0,1] neg_hi:[0,1]
	s_wait_dscnt 0x0
	v_pk_mul_f32 v[196:197], v[184:185], v[182:183] op_sel:[0,1]
	s_delay_alu instid0(VALU_DEP_1) | instskip(SKIP_1) | instid1(VALU_DEP_1)
	v_pk_fma_f32 v[198:199], v[184:185], v[180:181], v[196:197] op_sel:[0,0,1] op_sel_hi:[1,1,0] neg_lo:[0,0,1] neg_hi:[0,0,1]
	v_pk_fma_f32 v[184:185], v[184:185], v[180:181], v[196:197] op_sel:[0,0,1] op_sel_hi:[1,0,0]
	v_mov_b32_e32 v199, v185
	v_pk_mul_f32 v[184:185], v[186:187], v[182:183] op_sel:[0,1]
	s_delay_alu instid0(VALU_DEP_1) | instskip(SKIP_1) | instid1(VALU_DEP_1)
	v_pk_fma_f32 v[196:197], v[186:187], v[180:181], v[184:185] op_sel:[0,0,1] op_sel_hi:[1,1,0] neg_lo:[0,0,1] neg_hi:[0,0,1]
	v_pk_fma_f32 v[184:185], v[186:187], v[180:181], v[184:185] op_sel:[0,0,1] op_sel_hi:[1,0,0]
	v_mov_b32_e32 v197, v185
	ds_load_2addr_b64 v[184:187], v236 offset0:53 offset1:54
	v_pk_add_f32 v[204:205], v[204:205], v[198:199] neg_lo:[0,1] neg_hi:[0,1]
	v_pk_add_f32 v[228:229], v[228:229], v[196:197] neg_lo:[0,1] neg_hi:[0,1]
	s_wait_dscnt 0x0
	v_pk_mul_f32 v[196:197], v[184:185], v[182:183] op_sel:[0,1]
	s_delay_alu instid0(VALU_DEP_1) | instskip(SKIP_1) | instid1(VALU_DEP_1)
	v_pk_fma_f32 v[198:199], v[184:185], v[180:181], v[196:197] op_sel:[0,0,1] op_sel_hi:[1,1,0] neg_lo:[0,0,1] neg_hi:[0,0,1]
	v_pk_fma_f32 v[184:185], v[184:185], v[180:181], v[196:197] op_sel:[0,0,1] op_sel_hi:[1,0,0]
	v_mov_b32_e32 v199, v185
	v_pk_mul_f32 v[184:185], v[186:187], v[182:183] op_sel:[0,1]
	s_delay_alu instid0(VALU_DEP_1) | instskip(SKIP_1) | instid1(VALU_DEP_1)
	v_pk_fma_f32 v[196:197], v[186:187], v[180:181], v[184:185] op_sel:[0,0,1] op_sel_hi:[1,1,0] neg_lo:[0,0,1] neg_hi:[0,0,1]
	v_pk_fma_f32 v[184:185], v[186:187], v[180:181], v[184:185] op_sel:[0,0,1] op_sel_hi:[1,0,0]
	v_mov_b32_e32 v197, v185
	ds_load_2addr_b64 v[184:187], v236 offset0:55 offset1:56
	v_pk_add_f32 v[224:225], v[224:225], v[198:199] neg_lo:[0,1] neg_hi:[0,1]
	v_pk_add_f32 v[226:227], v[226:227], v[196:197] neg_lo:[0,1] neg_hi:[0,1]
	s_wait_dscnt 0x0
	v_dual_mul_f32 v196, v185, v183 :: v_dual_mul_f32 v198, v185, v180
	s_delay_alu instid0(VALU_DEP_1) | instskip(NEXT) | instid1(VALU_DEP_2)
	v_pk_fma_f32 v[196:197], v[184:185], v[192:193], v[196:197] op_sel_hi:[1,1,0] neg_lo:[0,0,1] neg_hi:[0,0,1]
	v_pk_fma_f32 v[184:185], v[184:185], v[192:193], v[198:199] op_sel:[1,0,0] op_sel_hi:[0,1,0]
	s_delay_alu instid0(VALU_DEP_1) | instskip(SKIP_1) | instid1(VALU_DEP_2)
	v_mov_b32_e32 v197, v185
	v_pk_mul_f32 v[184:185], v[186:187], v[182:183] op_sel:[0,1]
	v_pk_add_f32 v[222:223], v[222:223], v[196:197] neg_lo:[0,1] neg_hi:[0,1]
	s_delay_alu instid0(VALU_DEP_2) | instskip(SKIP_1) | instid1(VALU_DEP_1)
	v_pk_fma_f32 v[196:197], v[186:187], v[180:181], v[184:185] op_sel:[0,0,1] op_sel_hi:[1,1,0] neg_lo:[0,0,1] neg_hi:[0,0,1]
	v_pk_fma_f32 v[184:185], v[186:187], v[180:181], v[184:185] op_sel:[0,0,1] op_sel_hi:[1,0,0]
	v_mov_b32_e32 v197, v185
	ds_load_2addr_b64 v[184:187], v236 offset0:57 offset1:58
	v_pk_add_f32 v[244:245], v[244:245], v[196:197] neg_lo:[0,1] neg_hi:[0,1]
	s_wait_dscnt 0x0
	v_pk_mul_f32 v[196:197], v[184:185], v[182:183] op_sel:[0,1]
	s_delay_alu instid0(VALU_DEP_1) | instskip(SKIP_1) | instid1(VALU_DEP_1)
	v_pk_fma_f32 v[198:199], v[184:185], v[180:181], v[196:197] op_sel:[0,0,1] op_sel_hi:[1,1,0] neg_lo:[0,0,1] neg_hi:[0,0,1]
	v_pk_fma_f32 v[184:185], v[184:185], v[180:181], v[196:197] op_sel:[0,0,1] op_sel_hi:[1,0,0]
	v_mov_b32_e32 v199, v185
	v_pk_mul_f32 v[184:185], v[186:187], v[182:183] op_sel:[0,1]
	s_delay_alu instid0(VALU_DEP_2) | instskip(NEXT) | instid1(VALU_DEP_2)
	v_pk_add_f32 v[240:241], v[240:241], v[198:199] neg_lo:[0,1] neg_hi:[0,1]
	v_pk_fma_f32 v[196:197], v[186:187], v[180:181], v[184:185] op_sel:[0,0,1] op_sel_hi:[1,1,0] neg_lo:[0,0,1] neg_hi:[0,0,1]
	v_pk_fma_f32 v[184:185], v[186:187], v[180:181], v[184:185] op_sel:[0,0,1] op_sel_hi:[1,0,0]
	s_delay_alu instid0(VALU_DEP_1) | instskip(SKIP_4) | instid1(VALU_DEP_1)
	v_mov_b32_e32 v197, v185
	ds_load_2addr_b64 v[184:187], v236 offset0:59 offset1:60
	v_pk_add_f32 v[242:243], v[242:243], v[196:197] neg_lo:[0,1] neg_hi:[0,1]
	s_wait_dscnt 0x0
	v_pk_mul_f32 v[196:197], v[184:185], v[182:183] op_sel:[0,1]
	v_pk_fma_f32 v[198:199], v[184:185], v[180:181], v[196:197] op_sel:[0,0,1] op_sel_hi:[1,1,0] neg_lo:[0,0,1] neg_hi:[0,0,1]
	v_pk_fma_f32 v[184:185], v[184:185], v[180:181], v[196:197] op_sel:[0,0,1] op_sel_hi:[1,0,0]
	v_dual_mul_f32 v196, v187, v183 :: v_dual_mov_b32 v184, v187
	s_delay_alu instid0(VALU_DEP_2) | instskip(NEXT) | instid1(VALU_DEP_2)
	v_dual_mov_b32 v199, v185 :: v_dual_mov_b32 v185, v186
	v_pk_fma_f32 v[196:197], v[186:187], v[192:193], v[196:197] op_sel_hi:[1,1,0] neg_lo:[0,0,1] neg_hi:[0,0,1]
	v_mul_f32_e32 v186, v187, v180
	s_delay_alu instid0(VALU_DEP_3) | instskip(NEXT) | instid1(VALU_DEP_2)
	v_pk_add_f32 v[238:239], v[238:239], v[198:199] neg_lo:[0,1] neg_hi:[0,1]
	v_pk_fma_f32 v[184:185], v[184:185], v[192:193], v[186:187] op_sel_hi:[1,1,0]
	s_delay_alu instid0(VALU_DEP_1) | instskip(SKIP_4) | instid1(VALU_DEP_1)
	v_mov_b32_e32 v197, v185
	ds_load_b64 v[184:185], v236 offset:488
	v_pk_add_f32 v[246:247], v[246:247], v[196:197] neg_lo:[0,1] neg_hi:[0,1]
	s_wait_dscnt 0x0
	v_pk_mul_f32 v[182:183], v[184:185], v[182:183] op_sel:[0,1]
	v_pk_fma_f32 v[186:187], v[184:185], v[180:181], v[182:183] op_sel:[0,0,1] op_sel_hi:[1,1,0] neg_lo:[0,0,1] neg_hi:[0,0,1]
	v_pk_fma_f32 v[180:181], v[184:185], v[180:181], v[182:183] op_sel:[0,0,1] op_sel_hi:[1,0,0]
	s_delay_alu instid0(VALU_DEP_1) | instskip(NEXT) | instid1(VALU_DEP_1)
	v_mov_b32_e32 v187, v181
	v_pk_add_f32 v[248:249], v[248:249], v[186:187] neg_lo:[0,1] neg_hi:[0,1]
.LBB123_424:
	s_or_b32 exec_lo, exec_lo, s1
	s_delay_alu instid0(SALU_CYCLE_1)
	s_mov_b32 s2, exec_lo
	s_wait_dscnt 0x0
	s_barrier_signal -1
	s_barrier_wait -1
	v_cmpx_eq_u32_e32 47, v234
	s_cbranch_execz .LBB123_431
; %bb.425:
	v_dual_mov_b32 v180, v210 :: v_dual_mov_b32 v181, v211
	v_dual_mov_b32 v182, v206 :: v_dual_mov_b32 v183, v207
	ds_store_b64 v235, v[188:189]
	ds_store_2addr_b64 v236, v[180:181], v[182:183] offset0:48 offset1:49
	v_dual_mov_b32 v180, v208 :: v_dual_mov_b32 v181, v209
	v_dual_mov_b32 v182, v204 :: v_dual_mov_b32 v183, v205
	ds_store_2addr_b64 v236, v[180:181], v[182:183] offset0:50 offset1:51
	v_dual_mov_b32 v180, v228 :: v_dual_mov_b32 v181, v229
	v_dual_mov_b32 v182, v224 :: v_dual_mov_b32 v183, v225
	ds_store_2addr_b64 v236, v[180:181], v[182:183] offset0:52 offset1:53
	v_dual_mov_b32 v180, v226 :: v_dual_mov_b32 v181, v227
	v_dual_mov_b32 v182, v222 :: v_dual_mov_b32 v183, v223
	ds_store_2addr_b64 v236, v[180:181], v[182:183] offset0:54 offset1:55
	v_dual_mov_b32 v180, v244 :: v_dual_mov_b32 v181, v245
	v_dual_mov_b32 v182, v240 :: v_dual_mov_b32 v183, v241
	ds_store_2addr_b64 v236, v[180:181], v[182:183] offset0:56 offset1:57
	v_dual_mov_b32 v180, v242 :: v_dual_mov_b32 v181, v243
	v_dual_mov_b32 v182, v238 :: v_dual_mov_b32 v183, v239
	ds_store_2addr_b64 v236, v[180:181], v[182:183] offset0:58 offset1:59
	v_dual_mov_b32 v180, v246 :: v_dual_mov_b32 v181, v247
	ds_store_2addr_b64 v236, v[180:181], v[248:249] offset0:60 offset1:61
	ds_load_b64 v[180:181], v235
	s_wait_dscnt 0x0
	v_cmp_neq_f32_e32 vcc_lo, 0, v180
	v_cmp_neq_f32_e64 s1, 0, v181
	s_or_b32 s1, vcc_lo, s1
	s_delay_alu instid0(SALU_CYCLE_1)
	s_and_b32 exec_lo, exec_lo, s1
	s_cbranch_execz .LBB123_431
; %bb.426:
	v_cmp_ngt_f32_e64 s1, |v180|, |v181|
                                        ; implicit-def: $vgpr182_vgpr183
	s_and_saveexec_b32 s4, s1
	s_delay_alu instid0(SALU_CYCLE_1)
	s_xor_b32 s1, exec_lo, s4
	s_cbranch_execz .LBB123_428
; %bb.427:
	v_div_scale_f32 v0, null, v181, v181, v180
	v_div_scale_f32 v183, vcc_lo, v180, v181, v180
	s_delay_alu instid0(VALU_DEP_2) | instskip(SKIP_1) | instid1(TRANS32_DEP_1)
	v_rcp_f32_e32 v1, v0
	v_nop
	v_fma_f32 v182, -v0, v1, 1.0
	s_delay_alu instid0(VALU_DEP_1) | instskip(NEXT) | instid1(VALU_DEP_1)
	v_fmac_f32_e32 v1, v182, v1
	v_mul_f32_e32 v182, v183, v1
	s_delay_alu instid0(VALU_DEP_1) | instskip(NEXT) | instid1(VALU_DEP_1)
	v_fma_f32 v184, -v0, v182, v183
	v_fmac_f32_e32 v182, v184, v1
	s_delay_alu instid0(VALU_DEP_1) | instskip(NEXT) | instid1(VALU_DEP_1)
	v_fma_f32 v0, -v0, v182, v183
	v_div_fmas_f32 v0, v0, v1, v182
	s_delay_alu instid0(VALU_DEP_1) | instskip(NEXT) | instid1(VALU_DEP_1)
	v_div_fixup_f32 v0, v0, v181, v180
	v_fmac_f32_e32 v181, v180, v0
	s_delay_alu instid0(VALU_DEP_1) | instskip(SKIP_1) | instid1(VALU_DEP_2)
	v_div_scale_f32 v1, null, v181, v181, 1.0
	v_div_scale_f32 v183, vcc_lo, 1.0, v181, 1.0
	v_rcp_f32_e32 v180, v1
	v_nop
	s_delay_alu instid0(TRANS32_DEP_1) | instskip(NEXT) | instid1(VALU_DEP_1)
	v_fma_f32 v182, -v1, v180, 1.0
	v_fmac_f32_e32 v180, v182, v180
	s_delay_alu instid0(VALU_DEP_1) | instskip(NEXT) | instid1(VALU_DEP_1)
	v_mul_f32_e32 v182, v183, v180
	v_fma_f32 v184, -v1, v182, v183
	s_delay_alu instid0(VALU_DEP_1) | instskip(NEXT) | instid1(VALU_DEP_1)
	v_fmac_f32_e32 v182, v184, v180
	v_fma_f32 v1, -v1, v182, v183
	s_delay_alu instid0(VALU_DEP_1) | instskip(NEXT) | instid1(VALU_DEP_1)
	v_div_fmas_f32 v1, v1, v180, v182
	v_div_fixup_f32 v1, v1, v181, 1.0
                                        ; implicit-def: $vgpr180_vgpr181
	s_delay_alu instid0(VALU_DEP_1)
	v_mul_f32_e32 v182, v0, v1
	v_xor_b32_e32 v183, 0x80000000, v1
.LBB123_428:
	s_and_not1_saveexec_b32 s1, s1
	s_cbranch_execz .LBB123_430
; %bb.429:
	v_div_scale_f32 v0, null, v180, v180, v181
	v_div_scale_f32 v183, vcc_lo, v181, v180, v181
	s_delay_alu instid0(VALU_DEP_2) | instskip(SKIP_1) | instid1(TRANS32_DEP_1)
	v_rcp_f32_e32 v1, v0
	v_nop
	v_fma_f32 v182, -v0, v1, 1.0
	s_delay_alu instid0(VALU_DEP_1) | instskip(NEXT) | instid1(VALU_DEP_1)
	v_fmac_f32_e32 v1, v182, v1
	v_mul_f32_e32 v182, v183, v1
	s_delay_alu instid0(VALU_DEP_1) | instskip(NEXT) | instid1(VALU_DEP_1)
	v_fma_f32 v184, -v0, v182, v183
	v_fmac_f32_e32 v182, v184, v1
	s_delay_alu instid0(VALU_DEP_1) | instskip(NEXT) | instid1(VALU_DEP_1)
	v_fma_f32 v0, -v0, v182, v183
	v_div_fmas_f32 v0, v0, v1, v182
	s_delay_alu instid0(VALU_DEP_1) | instskip(NEXT) | instid1(VALU_DEP_1)
	v_div_fixup_f32 v0, v0, v180, v181
	v_fmac_f32_e32 v180, v181, v0
	s_delay_alu instid0(VALU_DEP_1) | instskip(NEXT) | instid1(VALU_DEP_1)
	v_div_scale_f32 v1, null, v180, v180, 1.0
	v_rcp_f32_e32 v181, v1
	v_nop
	s_delay_alu instid0(TRANS32_DEP_1) | instskip(NEXT) | instid1(VALU_DEP_1)
	v_fma_f32 v182, -v1, v181, 1.0
	v_fmac_f32_e32 v181, v182, v181
	v_div_scale_f32 v182, vcc_lo, 1.0, v180, 1.0
	s_delay_alu instid0(VALU_DEP_1) | instskip(NEXT) | instid1(VALU_DEP_1)
	v_mul_f32_e32 v183, v182, v181
	v_fma_f32 v184, -v1, v183, v182
	s_delay_alu instid0(VALU_DEP_1) | instskip(NEXT) | instid1(VALU_DEP_1)
	v_fmac_f32_e32 v183, v184, v181
	v_fma_f32 v1, -v1, v183, v182
	s_delay_alu instid0(VALU_DEP_1) | instskip(NEXT) | instid1(VALU_DEP_1)
	v_div_fmas_f32 v1, v1, v181, v183
	v_div_fixup_f32 v182, v1, v180, 1.0
	s_delay_alu instid0(VALU_DEP_1)
	v_mul_f32_e64 v183, v0, -v182
.LBB123_430:
	s_or_b32 exec_lo, exec_lo, s1
	ds_store_b64 v235, v[182:183]
.LBB123_431:
	s_or_b32 exec_lo, exec_lo, s2
	s_wait_dscnt 0x0
	s_barrier_signal -1
	s_barrier_wait -1
	ds_load_b64 v[180:181], v235
	s_mov_b32 s1, exec_lo
	v_cmpx_lt_u32_e32 47, v234
	s_cbranch_execz .LBB123_433
; %bb.432:
	ds_load_2addr_b64 v[196:199], v236 offset0:48 offset1:49
	s_wait_dscnt 0x1
	v_pk_mul_f32 v[184:185], v[180:181], v[188:189] op_sel:[1,1] op_sel_hi:[0,1]
	s_delay_alu instid0(VALU_DEP_1) | instskip(SKIP_1) | instid1(VALU_DEP_1)
	v_pk_fma_f32 v[182:183], v[180:181], v[188:189], v[184:185] op_sel_hi:[1,0,1] neg_lo:[0,0,1] neg_hi:[0,0,1]
	v_pk_fma_f32 v[184:185], v[180:181], v[188:189], v[184:185] op_sel_hi:[1,0,1]
	v_dual_mov_b32 v188, v182 :: v_dual_mov_b32 v189, v185
	s_wait_dscnt 0x0
	s_delay_alu instid0(VALU_DEP_2) | instskip(NEXT) | instid1(VALU_DEP_1)
	v_pk_mul_f32 v[186:187], v[196:197], v[184:185] op_sel:[0,1]
	v_pk_fma_f32 v[200:201], v[196:197], v[182:183], v[186:187] op_sel:[0,0,1] op_sel_hi:[1,1,0] neg_lo:[0,0,1] neg_hi:[0,0,1]
	v_pk_fma_f32 v[186:187], v[196:197], v[182:183], v[186:187] op_sel:[0,0,1] op_sel_hi:[1,0,0]
	s_delay_alu instid0(VALU_DEP_1) | instskip(SKIP_1) | instid1(VALU_DEP_1)
	v_mov_b32_e32 v201, v187
	v_pk_mul_f32 v[186:187], v[198:199], v[184:185] op_sel:[0,1]
	v_pk_fma_f32 v[196:197], v[198:199], v[182:183], v[186:187] op_sel:[0,0,1] op_sel_hi:[1,1,0] neg_lo:[0,0,1] neg_hi:[0,0,1]
	v_pk_fma_f32 v[186:187], v[198:199], v[182:183], v[186:187] op_sel:[0,0,1] op_sel_hi:[1,0,0]
	s_delay_alu instid0(VALU_DEP_1) | instskip(SKIP_1) | instid1(VALU_DEP_2)
	v_mov_b32_e32 v197, v187
	v_pk_add_f32 v[210:211], v[210:211], v[200:201] neg_lo:[0,1] neg_hi:[0,1]
	v_pk_add_f32 v[206:207], v[206:207], v[196:197] neg_lo:[0,1] neg_hi:[0,1]
	ds_load_2addr_b64 v[196:199], v236 offset0:50 offset1:51
	s_wait_dscnt 0x0
	v_pk_mul_f32 v[186:187], v[196:197], v[184:185] op_sel:[0,1]
	s_delay_alu instid0(VALU_DEP_1) | instskip(SKIP_2) | instid1(VALU_DEP_2)
	v_pk_fma_f32 v[200:201], v[196:197], v[182:183], v[186:187] op_sel:[0,0,1] op_sel_hi:[1,1,0] neg_lo:[0,0,1] neg_hi:[0,0,1]
	v_pk_fma_f32 v[186:187], v[196:197], v[182:183], v[186:187] op_sel:[0,0,1] op_sel_hi:[1,0,0]
	v_dual_mul_f32 v196, v199, v185 :: v_dual_mov_b32 v186, v199
	v_dual_mov_b32 v201, v187 :: v_dual_mov_b32 v187, v198
	s_delay_alu instid0(VALU_DEP_2) | instskip(SKIP_1) | instid1(VALU_DEP_3)
	v_pk_fma_f32 v[196:197], v[198:199], v[188:189], v[196:197] op_sel_hi:[1,1,0] neg_lo:[0,0,1] neg_hi:[0,0,1]
	v_mul_f32_e32 v198, v199, v182
	v_pk_add_f32 v[208:209], v[208:209], v[200:201] neg_lo:[0,1] neg_hi:[0,1]
	s_delay_alu instid0(VALU_DEP_2) | instskip(NEXT) | instid1(VALU_DEP_1)
	v_pk_fma_f32 v[186:187], v[186:187], v[188:189], v[198:199] op_sel_hi:[1,1,0]
	v_mov_b32_e32 v197, v187
	s_delay_alu instid0(VALU_DEP_1) | instskip(SKIP_3) | instid1(VALU_DEP_1)
	v_pk_add_f32 v[204:205], v[204:205], v[196:197] neg_lo:[0,1] neg_hi:[0,1]
	ds_load_2addr_b64 v[196:199], v236 offset0:52 offset1:53
	s_wait_dscnt 0x0
	v_pk_mul_f32 v[186:187], v[196:197], v[184:185] op_sel:[0,1]
	v_pk_fma_f32 v[200:201], v[196:197], v[182:183], v[186:187] op_sel:[0,0,1] op_sel_hi:[1,1,0] neg_lo:[0,0,1] neg_hi:[0,0,1]
	v_pk_fma_f32 v[186:187], v[196:197], v[182:183], v[186:187] op_sel:[0,0,1] op_sel_hi:[1,0,0]
	s_delay_alu instid0(VALU_DEP_1) | instskip(SKIP_1) | instid1(VALU_DEP_2)
	v_mov_b32_e32 v201, v187
	v_pk_mul_f32 v[186:187], v[198:199], v[184:185] op_sel:[0,1]
	v_pk_add_f32 v[228:229], v[228:229], v[200:201] neg_lo:[0,1] neg_hi:[0,1]
	s_delay_alu instid0(VALU_DEP_2) | instskip(SKIP_1) | instid1(VALU_DEP_1)
	v_pk_fma_f32 v[196:197], v[198:199], v[182:183], v[186:187] op_sel:[0,0,1] op_sel_hi:[1,1,0] neg_lo:[0,0,1] neg_hi:[0,0,1]
	v_pk_fma_f32 v[186:187], v[198:199], v[182:183], v[186:187] op_sel:[0,0,1] op_sel_hi:[1,0,0]
	v_mov_b32_e32 v197, v187
	s_delay_alu instid0(VALU_DEP_1) | instskip(SKIP_3) | instid1(VALU_DEP_1)
	v_pk_add_f32 v[224:225], v[224:225], v[196:197] neg_lo:[0,1] neg_hi:[0,1]
	ds_load_2addr_b64 v[196:199], v236 offset0:54 offset1:55
	s_wait_dscnt 0x0
	v_pk_mul_f32 v[186:187], v[196:197], v[184:185] op_sel:[0,1]
	v_pk_fma_f32 v[200:201], v[196:197], v[182:183], v[186:187] op_sel:[0,0,1] op_sel_hi:[1,1,0] neg_lo:[0,0,1] neg_hi:[0,0,1]
	v_pk_fma_f32 v[186:187], v[196:197], v[182:183], v[186:187] op_sel:[0,0,1] op_sel_hi:[1,0,0]
	s_delay_alu instid0(VALU_DEP_1) | instskip(SKIP_1) | instid1(VALU_DEP_2)
	v_mov_b32_e32 v201, v187
	v_pk_mul_f32 v[186:187], v[198:199], v[184:185] op_sel:[0,1]
	v_pk_add_f32 v[226:227], v[226:227], v[200:201] neg_lo:[0,1] neg_hi:[0,1]
	s_delay_alu instid0(VALU_DEP_2) | instskip(SKIP_1) | instid1(VALU_DEP_1)
	v_pk_fma_f32 v[196:197], v[198:199], v[182:183], v[186:187] op_sel:[0,0,1] op_sel_hi:[1,1,0] neg_lo:[0,0,1] neg_hi:[0,0,1]
	v_pk_fma_f32 v[186:187], v[198:199], v[182:183], v[186:187] op_sel:[0,0,1] op_sel_hi:[1,0,0]
	v_mov_b32_e32 v197, v187
	s_delay_alu instid0(VALU_DEP_1) | instskip(SKIP_3) | instid1(VALU_DEP_1)
	v_pk_add_f32 v[222:223], v[222:223], v[196:197] neg_lo:[0,1] neg_hi:[0,1]
	ds_load_2addr_b64 v[196:199], v236 offset0:56 offset1:57
	s_wait_dscnt 0x0
	v_dual_mul_f32 v186, v197, v185 :: v_dual_mul_f32 v200, v197, v182
	v_pk_fma_f32 v[186:187], v[196:197], v[188:189], v[186:187] op_sel_hi:[1,1,0] neg_lo:[0,0,1] neg_hi:[0,0,1]
	s_delay_alu instid0(VALU_DEP_2) | instskip(NEXT) | instid1(VALU_DEP_1)
	v_pk_fma_f32 v[196:197], v[196:197], v[188:189], v[200:201] op_sel:[1,0,0] op_sel_hi:[0,1,0]
	v_mov_b32_e32 v187, v197
	s_delay_alu instid0(VALU_DEP_1) | instskip(SKIP_1) | instid1(VALU_DEP_1)
	v_pk_add_f32 v[244:245], v[244:245], v[186:187] neg_lo:[0,1] neg_hi:[0,1]
	v_pk_mul_f32 v[186:187], v[198:199], v[184:185] op_sel:[0,1]
	v_pk_fma_f32 v[196:197], v[198:199], v[182:183], v[186:187] op_sel:[0,0,1] op_sel_hi:[1,1,0] neg_lo:[0,0,1] neg_hi:[0,0,1]
	v_pk_fma_f32 v[186:187], v[198:199], v[182:183], v[186:187] op_sel:[0,0,1] op_sel_hi:[1,0,0]
	s_delay_alu instid0(VALU_DEP_1) | instskip(NEXT) | instid1(VALU_DEP_1)
	v_mov_b32_e32 v197, v187
	v_pk_add_f32 v[240:241], v[240:241], v[196:197] neg_lo:[0,1] neg_hi:[0,1]
	ds_load_2addr_b64 v[196:199], v236 offset0:58 offset1:59
	s_wait_dscnt 0x0
	v_pk_mul_f32 v[186:187], v[196:197], v[184:185] op_sel:[0,1]
	s_delay_alu instid0(VALU_DEP_1) | instskip(SKIP_1) | instid1(VALU_DEP_1)
	v_pk_fma_f32 v[200:201], v[196:197], v[182:183], v[186:187] op_sel:[0,0,1] op_sel_hi:[1,1,0] neg_lo:[0,0,1] neg_hi:[0,0,1]
	v_pk_fma_f32 v[186:187], v[196:197], v[182:183], v[186:187] op_sel:[0,0,1] op_sel_hi:[1,0,0]
	v_mov_b32_e32 v201, v187
	v_pk_mul_f32 v[186:187], v[198:199], v[184:185] op_sel:[0,1]
	s_delay_alu instid0(VALU_DEP_2) | instskip(NEXT) | instid1(VALU_DEP_2)
	v_pk_add_f32 v[242:243], v[242:243], v[200:201] neg_lo:[0,1] neg_hi:[0,1]
	v_pk_fma_f32 v[196:197], v[198:199], v[182:183], v[186:187] op_sel:[0,0,1] op_sel_hi:[1,1,0] neg_lo:[0,0,1] neg_hi:[0,0,1]
	v_pk_fma_f32 v[186:187], v[198:199], v[182:183], v[186:187] op_sel:[0,0,1] op_sel_hi:[1,0,0]
	s_delay_alu instid0(VALU_DEP_1) | instskip(NEXT) | instid1(VALU_DEP_1)
	v_mov_b32_e32 v197, v187
	v_pk_add_f32 v[238:239], v[238:239], v[196:197] neg_lo:[0,1] neg_hi:[0,1]
	ds_load_2addr_b64 v[196:199], v236 offset0:60 offset1:61
	s_wait_dscnt 0x0
	v_pk_mul_f32 v[186:187], v[196:197], v[184:185] op_sel:[0,1]
	v_pk_mul_f32 v[184:185], v[198:199], v[184:185] op_sel:[0,1]
	s_delay_alu instid0(VALU_DEP_2) | instskip(SKIP_1) | instid1(VALU_DEP_1)
	v_pk_fma_f32 v[200:201], v[196:197], v[182:183], v[186:187] op_sel:[0,0,1] op_sel_hi:[1,1,0] neg_lo:[0,0,1] neg_hi:[0,0,1]
	v_pk_fma_f32 v[186:187], v[196:197], v[182:183], v[186:187] op_sel:[0,0,1] op_sel_hi:[1,0,0]
	v_mov_b32_e32 v201, v187
	s_delay_alu instid0(VALU_DEP_4) | instskip(SKIP_1) | instid1(VALU_DEP_3)
	v_pk_fma_f32 v[186:187], v[198:199], v[182:183], v[184:185] op_sel:[0,0,1] op_sel_hi:[1,1,0] neg_lo:[0,0,1] neg_hi:[0,0,1]
	v_pk_fma_f32 v[182:183], v[198:199], v[182:183], v[184:185] op_sel:[0,0,1] op_sel_hi:[1,0,0]
	v_pk_add_f32 v[246:247], v[246:247], v[200:201] neg_lo:[0,1] neg_hi:[0,1]
	s_delay_alu instid0(VALU_DEP_2) | instskip(NEXT) | instid1(VALU_DEP_1)
	v_mov_b32_e32 v187, v183
	v_pk_add_f32 v[248:249], v[248:249], v[186:187] neg_lo:[0,1] neg_hi:[0,1]
.LBB123_433:
	s_or_b32 exec_lo, exec_lo, s1
	s_delay_alu instid0(SALU_CYCLE_1)
	s_mov_b32 s2, exec_lo
	s_wait_dscnt 0x0
	s_barrier_signal -1
	s_barrier_wait -1
	v_cmpx_eq_u32_e32 48, v234
	s_cbranch_execz .LBB123_440
; %bb.434:
	ds_store_b64 v235, v[210:211]
	ds_store_2addr_b64 v236, v[206:207], v[208:209] offset0:49 offset1:50
	ds_store_2addr_b64 v236, v[204:205], v[228:229] offset0:51 offset1:52
	;; [unrolled: 1-line block ×6, first 2 shown]
	ds_store_b64 v236, v[248:249] offset:488
	ds_load_b64 v[182:183], v235
	s_wait_dscnt 0x0
	v_cmp_neq_f32_e32 vcc_lo, 0, v182
	v_cmp_neq_f32_e64 s1, 0, v183
	s_or_b32 s1, vcc_lo, s1
	s_delay_alu instid0(SALU_CYCLE_1)
	s_and_b32 exec_lo, exec_lo, s1
	s_cbranch_execz .LBB123_440
; %bb.435:
	v_cmp_ngt_f32_e64 s1, |v182|, |v183|
                                        ; implicit-def: $vgpr184_vgpr185
	s_and_saveexec_b32 s4, s1
	s_delay_alu instid0(SALU_CYCLE_1)
	s_xor_b32 s1, exec_lo, s4
	s_cbranch_execz .LBB123_437
; %bb.436:
	v_div_scale_f32 v0, null, v183, v183, v182
	v_div_scale_f32 v185, vcc_lo, v182, v183, v182
	s_delay_alu instid0(VALU_DEP_2) | instskip(SKIP_1) | instid1(TRANS32_DEP_1)
	v_rcp_f32_e32 v1, v0
	v_nop
	v_fma_f32 v184, -v0, v1, 1.0
	s_delay_alu instid0(VALU_DEP_1) | instskip(NEXT) | instid1(VALU_DEP_1)
	v_fmac_f32_e32 v1, v184, v1
	v_mul_f32_e32 v184, v185, v1
	s_delay_alu instid0(VALU_DEP_1) | instskip(NEXT) | instid1(VALU_DEP_1)
	v_fma_f32 v186, -v0, v184, v185
	v_fmac_f32_e32 v184, v186, v1
	s_delay_alu instid0(VALU_DEP_1) | instskip(NEXT) | instid1(VALU_DEP_1)
	v_fma_f32 v0, -v0, v184, v185
	v_div_fmas_f32 v0, v0, v1, v184
	s_delay_alu instid0(VALU_DEP_1) | instskip(NEXT) | instid1(VALU_DEP_1)
	v_div_fixup_f32 v0, v0, v183, v182
	v_fmac_f32_e32 v183, v182, v0
	s_delay_alu instid0(VALU_DEP_1) | instskip(SKIP_1) | instid1(VALU_DEP_2)
	v_div_scale_f32 v1, null, v183, v183, 1.0
	v_div_scale_f32 v185, vcc_lo, 1.0, v183, 1.0
	v_rcp_f32_e32 v182, v1
	v_nop
	s_delay_alu instid0(TRANS32_DEP_1) | instskip(NEXT) | instid1(VALU_DEP_1)
	v_fma_f32 v184, -v1, v182, 1.0
	v_fmac_f32_e32 v182, v184, v182
	s_delay_alu instid0(VALU_DEP_1) | instskip(NEXT) | instid1(VALU_DEP_1)
	v_mul_f32_e32 v184, v185, v182
	v_fma_f32 v186, -v1, v184, v185
	s_delay_alu instid0(VALU_DEP_1) | instskip(NEXT) | instid1(VALU_DEP_1)
	v_fmac_f32_e32 v184, v186, v182
	v_fma_f32 v1, -v1, v184, v185
	s_delay_alu instid0(VALU_DEP_1) | instskip(NEXT) | instid1(VALU_DEP_1)
	v_div_fmas_f32 v1, v1, v182, v184
	v_div_fixup_f32 v1, v1, v183, 1.0
                                        ; implicit-def: $vgpr182_vgpr183
	s_delay_alu instid0(VALU_DEP_1)
	v_mul_f32_e32 v184, v0, v1
	v_xor_b32_e32 v185, 0x80000000, v1
.LBB123_437:
	s_and_not1_saveexec_b32 s1, s1
	s_cbranch_execz .LBB123_439
; %bb.438:
	v_div_scale_f32 v0, null, v182, v182, v183
	v_div_scale_f32 v185, vcc_lo, v183, v182, v183
	s_delay_alu instid0(VALU_DEP_2) | instskip(SKIP_1) | instid1(TRANS32_DEP_1)
	v_rcp_f32_e32 v1, v0
	v_nop
	v_fma_f32 v184, -v0, v1, 1.0
	s_delay_alu instid0(VALU_DEP_1) | instskip(NEXT) | instid1(VALU_DEP_1)
	v_fmac_f32_e32 v1, v184, v1
	v_mul_f32_e32 v184, v185, v1
	s_delay_alu instid0(VALU_DEP_1) | instskip(NEXT) | instid1(VALU_DEP_1)
	v_fma_f32 v186, -v0, v184, v185
	v_fmac_f32_e32 v184, v186, v1
	s_delay_alu instid0(VALU_DEP_1) | instskip(NEXT) | instid1(VALU_DEP_1)
	v_fma_f32 v0, -v0, v184, v185
	v_div_fmas_f32 v0, v0, v1, v184
	s_delay_alu instid0(VALU_DEP_1) | instskip(NEXT) | instid1(VALU_DEP_1)
	v_div_fixup_f32 v0, v0, v182, v183
	v_fmac_f32_e32 v182, v183, v0
	s_delay_alu instid0(VALU_DEP_1) | instskip(NEXT) | instid1(VALU_DEP_1)
	v_div_scale_f32 v1, null, v182, v182, 1.0
	v_rcp_f32_e32 v183, v1
	v_nop
	s_delay_alu instid0(TRANS32_DEP_1) | instskip(NEXT) | instid1(VALU_DEP_1)
	v_fma_f32 v184, -v1, v183, 1.0
	v_fmac_f32_e32 v183, v184, v183
	v_div_scale_f32 v184, vcc_lo, 1.0, v182, 1.0
	s_delay_alu instid0(VALU_DEP_1) | instskip(NEXT) | instid1(VALU_DEP_1)
	v_mul_f32_e32 v185, v184, v183
	v_fma_f32 v186, -v1, v185, v184
	s_delay_alu instid0(VALU_DEP_1) | instskip(NEXT) | instid1(VALU_DEP_1)
	v_fmac_f32_e32 v185, v186, v183
	v_fma_f32 v1, -v1, v185, v184
	s_delay_alu instid0(VALU_DEP_1) | instskip(NEXT) | instid1(VALU_DEP_1)
	v_div_fmas_f32 v1, v1, v183, v185
	v_div_fixup_f32 v184, v1, v182, 1.0
	s_delay_alu instid0(VALU_DEP_1)
	v_mul_f32_e64 v185, v0, -v184
.LBB123_439:
	s_or_b32 exec_lo, exec_lo, s1
	ds_store_b64 v235, v[184:185]
.LBB123_440:
	s_or_b32 exec_lo, exec_lo, s2
	s_wait_dscnt 0x0
	s_barrier_signal -1
	s_barrier_wait -1
	ds_load_b64 v[182:183], v235
	s_mov_b32 s1, exec_lo
	v_cmpx_lt_u32_e32 48, v234
	s_cbranch_execz .LBB123_442
; %bb.441:
	ds_load_2addr_b64 v[196:199], v236 offset0:49 offset1:50
	s_wait_dscnt 0x1
	v_pk_mul_f32 v[186:187], v[182:183], v[210:211] op_sel:[1,1] op_sel_hi:[0,1]
	s_delay_alu instid0(VALU_DEP_1) | instskip(SKIP_1) | instid1(VALU_DEP_1)
	v_pk_fma_f32 v[184:185], v[182:183], v[210:211], v[186:187] op_sel_hi:[1,0,1] neg_lo:[0,0,1] neg_hi:[0,0,1]
	v_pk_fma_f32 v[186:187], v[182:183], v[210:211], v[186:187] op_sel_hi:[1,0,1]
	v_dual_mov_b32 v210, v184 :: v_dual_mov_b32 v211, v187
	s_wait_dscnt 0x0
	s_delay_alu instid0(VALU_DEP_2) | instskip(NEXT) | instid1(VALU_DEP_1)
	v_pk_mul_f32 v[200:201], v[196:197], v[186:187] op_sel:[0,1]
	v_pk_fma_f32 v[202:203], v[196:197], v[184:185], v[200:201] op_sel:[0,0,1] op_sel_hi:[1,1,0] neg_lo:[0,0,1] neg_hi:[0,0,1]
	v_pk_fma_f32 v[196:197], v[196:197], v[184:185], v[200:201] op_sel:[0,0,1] op_sel_hi:[1,0,0]
	s_delay_alu instid0(VALU_DEP_1) | instskip(SKIP_1) | instid1(VALU_DEP_1)
	v_mov_b32_e32 v203, v197
	v_pk_mul_f32 v[196:197], v[198:199], v[186:187] op_sel:[0,1]
	v_pk_fma_f32 v[200:201], v[198:199], v[184:185], v[196:197] op_sel:[0,0,1] op_sel_hi:[1,1,0] neg_lo:[0,0,1] neg_hi:[0,0,1]
	v_pk_fma_f32 v[196:197], v[198:199], v[184:185], v[196:197] op_sel:[0,0,1] op_sel_hi:[1,0,0]
	s_delay_alu instid0(VALU_DEP_1)
	v_mov_b32_e32 v201, v197
	ds_load_2addr_b64 v[196:199], v236 offset0:51 offset1:52
	v_pk_add_f32 v[206:207], v[206:207], v[202:203] neg_lo:[0,1] neg_hi:[0,1]
	v_pk_add_f32 v[208:209], v[208:209], v[200:201] neg_lo:[0,1] neg_hi:[0,1]
	s_wait_dscnt 0x0
	v_pk_mul_f32 v[200:201], v[196:197], v[186:187] op_sel:[0,1]
	s_delay_alu instid0(VALU_DEP_1) | instskip(SKIP_2) | instid1(VALU_DEP_2)
	v_pk_fma_f32 v[202:203], v[196:197], v[184:185], v[200:201] op_sel:[0,0,1] op_sel_hi:[1,1,0] neg_lo:[0,0,1] neg_hi:[0,0,1]
	v_pk_fma_f32 v[196:197], v[196:197], v[184:185], v[200:201] op_sel:[0,0,1] op_sel_hi:[1,0,0]
	v_dual_mul_f32 v200, v199, v187 :: v_dual_mov_b32 v196, v199
	v_dual_mov_b32 v203, v197 :: v_dual_mov_b32 v197, v198
	s_delay_alu instid0(VALU_DEP_2) | instskip(SKIP_1) | instid1(VALU_DEP_3)
	v_pk_fma_f32 v[200:201], v[198:199], v[210:211], v[200:201] op_sel_hi:[1,1,0] neg_lo:[0,0,1] neg_hi:[0,0,1]
	v_mul_f32_e32 v198, v199, v184
	v_pk_add_f32 v[204:205], v[204:205], v[202:203] neg_lo:[0,1] neg_hi:[0,1]
	s_delay_alu instid0(VALU_DEP_2) | instskip(NEXT) | instid1(VALU_DEP_1)
	v_pk_fma_f32 v[196:197], v[196:197], v[210:211], v[198:199] op_sel_hi:[1,1,0]
	v_mov_b32_e32 v201, v197
	ds_load_2addr_b64 v[196:199], v236 offset0:53 offset1:54
	v_pk_add_f32 v[228:229], v[228:229], v[200:201] neg_lo:[0,1] neg_hi:[0,1]
	s_wait_dscnt 0x0
	v_pk_mul_f32 v[200:201], v[196:197], v[186:187] op_sel:[0,1]
	s_delay_alu instid0(VALU_DEP_1) | instskip(SKIP_1) | instid1(VALU_DEP_1)
	v_pk_fma_f32 v[202:203], v[196:197], v[184:185], v[200:201] op_sel:[0,0,1] op_sel_hi:[1,1,0] neg_lo:[0,0,1] neg_hi:[0,0,1]
	v_pk_fma_f32 v[196:197], v[196:197], v[184:185], v[200:201] op_sel:[0,0,1] op_sel_hi:[1,0,0]
	v_mov_b32_e32 v203, v197
	v_pk_mul_f32 v[196:197], v[198:199], v[186:187] op_sel:[0,1]
	s_delay_alu instid0(VALU_DEP_1) | instskip(SKIP_1) | instid1(VALU_DEP_1)
	v_pk_fma_f32 v[200:201], v[198:199], v[184:185], v[196:197] op_sel:[0,0,1] op_sel_hi:[1,1,0] neg_lo:[0,0,1] neg_hi:[0,0,1]
	v_pk_fma_f32 v[196:197], v[198:199], v[184:185], v[196:197] op_sel:[0,0,1] op_sel_hi:[1,0,0]
	v_mov_b32_e32 v201, v197
	ds_load_2addr_b64 v[196:199], v236 offset0:55 offset1:56
	v_pk_add_f32 v[224:225], v[224:225], v[202:203] neg_lo:[0,1] neg_hi:[0,1]
	v_pk_add_f32 v[226:227], v[226:227], v[200:201] neg_lo:[0,1] neg_hi:[0,1]
	s_wait_dscnt 0x0
	v_pk_mul_f32 v[200:201], v[196:197], v[186:187] op_sel:[0,1]
	s_delay_alu instid0(VALU_DEP_1) | instskip(SKIP_1) | instid1(VALU_DEP_1)
	v_pk_fma_f32 v[202:203], v[196:197], v[184:185], v[200:201] op_sel:[0,0,1] op_sel_hi:[1,1,0] neg_lo:[0,0,1] neg_hi:[0,0,1]
	v_pk_fma_f32 v[196:197], v[196:197], v[184:185], v[200:201] op_sel:[0,0,1] op_sel_hi:[1,0,0]
	v_mov_b32_e32 v203, v197
	v_pk_mul_f32 v[196:197], v[198:199], v[186:187] op_sel:[0,1]
	s_delay_alu instid0(VALU_DEP_1) | instskip(SKIP_1) | instid1(VALU_DEP_1)
	v_pk_fma_f32 v[200:201], v[198:199], v[184:185], v[196:197] op_sel:[0,0,1] op_sel_hi:[1,1,0] neg_lo:[0,0,1] neg_hi:[0,0,1]
	v_pk_fma_f32 v[196:197], v[198:199], v[184:185], v[196:197] op_sel:[0,0,1] op_sel_hi:[1,0,0]
	v_mov_b32_e32 v201, v197
	ds_load_2addr_b64 v[196:199], v236 offset0:57 offset1:58
	v_pk_add_f32 v[222:223], v[222:223], v[202:203] neg_lo:[0,1] neg_hi:[0,1]
	v_pk_add_f32 v[244:245], v[244:245], v[200:201] neg_lo:[0,1] neg_hi:[0,1]
	s_wait_dscnt 0x0
	v_dual_mul_f32 v200, v197, v187 :: v_dual_mul_f32 v202, v197, v184
	s_delay_alu instid0(VALU_DEP_1) | instskip(NEXT) | instid1(VALU_DEP_2)
	v_pk_fma_f32 v[200:201], v[196:197], v[210:211], v[200:201] op_sel_hi:[1,1,0] neg_lo:[0,0,1] neg_hi:[0,0,1]
	v_pk_fma_f32 v[196:197], v[196:197], v[210:211], v[202:203] op_sel:[1,0,0] op_sel_hi:[0,1,0]
	s_delay_alu instid0(VALU_DEP_1) | instskip(SKIP_1) | instid1(VALU_DEP_2)
	v_mov_b32_e32 v201, v197
	v_pk_mul_f32 v[196:197], v[198:199], v[186:187] op_sel:[0,1]
	v_pk_add_f32 v[240:241], v[240:241], v[200:201] neg_lo:[0,1] neg_hi:[0,1]
	s_delay_alu instid0(VALU_DEP_2) | instskip(SKIP_1) | instid1(VALU_DEP_1)
	v_pk_fma_f32 v[200:201], v[198:199], v[184:185], v[196:197] op_sel:[0,0,1] op_sel_hi:[1,1,0] neg_lo:[0,0,1] neg_hi:[0,0,1]
	v_pk_fma_f32 v[196:197], v[198:199], v[184:185], v[196:197] op_sel:[0,0,1] op_sel_hi:[1,0,0]
	v_mov_b32_e32 v201, v197
	ds_load_2addr_b64 v[196:199], v236 offset0:59 offset1:60
	v_pk_add_f32 v[242:243], v[242:243], v[200:201] neg_lo:[0,1] neg_hi:[0,1]
	s_wait_dscnt 0x0
	v_pk_mul_f32 v[200:201], v[196:197], v[186:187] op_sel:[0,1]
	s_delay_alu instid0(VALU_DEP_1) | instskip(SKIP_1) | instid1(VALU_DEP_1)
	v_pk_fma_f32 v[202:203], v[196:197], v[184:185], v[200:201] op_sel:[0,0,1] op_sel_hi:[1,1,0] neg_lo:[0,0,1] neg_hi:[0,0,1]
	v_pk_fma_f32 v[196:197], v[196:197], v[184:185], v[200:201] op_sel:[0,0,1] op_sel_hi:[1,0,0]
	v_mov_b32_e32 v203, v197
	v_pk_mul_f32 v[196:197], v[198:199], v[186:187] op_sel:[0,1]
	s_delay_alu instid0(VALU_DEP_2) | instskip(NEXT) | instid1(VALU_DEP_2)
	v_pk_add_f32 v[238:239], v[238:239], v[202:203] neg_lo:[0,1] neg_hi:[0,1]
	v_pk_fma_f32 v[200:201], v[198:199], v[184:185], v[196:197] op_sel:[0,0,1] op_sel_hi:[1,1,0] neg_lo:[0,0,1] neg_hi:[0,0,1]
	v_pk_fma_f32 v[196:197], v[198:199], v[184:185], v[196:197] op_sel:[0,0,1] op_sel_hi:[1,0,0]
	s_delay_alu instid0(VALU_DEP_1) | instskip(SKIP_4) | instid1(VALU_DEP_1)
	v_mov_b32_e32 v201, v197
	ds_load_b64 v[196:197], v236 offset:488
	v_pk_add_f32 v[246:247], v[246:247], v[200:201] neg_lo:[0,1] neg_hi:[0,1]
	s_wait_dscnt 0x0
	v_pk_mul_f32 v[186:187], v[196:197], v[186:187] op_sel:[0,1]
	v_pk_fma_f32 v[198:199], v[196:197], v[184:185], v[186:187] op_sel:[0,0,1] op_sel_hi:[1,1,0] neg_lo:[0,0,1] neg_hi:[0,0,1]
	v_pk_fma_f32 v[184:185], v[196:197], v[184:185], v[186:187] op_sel:[0,0,1] op_sel_hi:[1,0,0]
	s_delay_alu instid0(VALU_DEP_1) | instskip(NEXT) | instid1(VALU_DEP_1)
	v_mov_b32_e32 v199, v185
	v_pk_add_f32 v[248:249], v[248:249], v[198:199] neg_lo:[0,1] neg_hi:[0,1]
.LBB123_442:
	s_or_b32 exec_lo, exec_lo, s1
	s_delay_alu instid0(SALU_CYCLE_1)
	s_mov_b32 s2, exec_lo
	s_wait_dscnt 0x0
	s_barrier_signal -1
	s_barrier_wait -1
	v_cmpx_eq_u32_e32 49, v234
	s_cbranch_execz .LBB123_449
; %bb.443:
	v_dual_mov_b32 v184, v208 :: v_dual_mov_b32 v185, v209
	v_dual_mov_b32 v186, v204 :: v_dual_mov_b32 v187, v205
	ds_store_b64 v235, v[206:207]
	ds_store_2addr_b64 v236, v[184:185], v[186:187] offset0:50 offset1:51
	v_dual_mov_b32 v184, v228 :: v_dual_mov_b32 v185, v229
	v_dual_mov_b32 v186, v224 :: v_dual_mov_b32 v187, v225
	ds_store_2addr_b64 v236, v[184:185], v[186:187] offset0:52 offset1:53
	v_dual_mov_b32 v184, v226 :: v_dual_mov_b32 v185, v227
	v_dual_mov_b32 v186, v222 :: v_dual_mov_b32 v187, v223
	;; [unrolled: 3-line block ×4, first 2 shown]
	ds_store_2addr_b64 v236, v[184:185], v[186:187] offset0:58 offset1:59
	v_dual_mov_b32 v184, v246 :: v_dual_mov_b32 v185, v247
	ds_store_2addr_b64 v236, v[184:185], v[248:249] offset0:60 offset1:61
	ds_load_b64 v[184:185], v235
	s_wait_dscnt 0x0
	v_cmp_neq_f32_e32 vcc_lo, 0, v184
	v_cmp_neq_f32_e64 s1, 0, v185
	s_or_b32 s1, vcc_lo, s1
	s_delay_alu instid0(SALU_CYCLE_1)
	s_and_b32 exec_lo, exec_lo, s1
	s_cbranch_execz .LBB123_449
; %bb.444:
	v_cmp_ngt_f32_e64 s1, |v184|, |v185|
                                        ; implicit-def: $vgpr186_vgpr187
	s_and_saveexec_b32 s4, s1
	s_delay_alu instid0(SALU_CYCLE_1)
	s_xor_b32 s1, exec_lo, s4
	s_cbranch_execz .LBB123_446
; %bb.445:
	v_div_scale_f32 v0, null, v185, v185, v184
	v_div_scale_f32 v187, vcc_lo, v184, v185, v184
	s_delay_alu instid0(VALU_DEP_2) | instskip(SKIP_1) | instid1(TRANS32_DEP_1)
	v_rcp_f32_e32 v1, v0
	v_nop
	v_fma_f32 v186, -v0, v1, 1.0
	s_delay_alu instid0(VALU_DEP_1) | instskip(NEXT) | instid1(VALU_DEP_1)
	v_fmac_f32_e32 v1, v186, v1
	v_mul_f32_e32 v186, v187, v1
	s_delay_alu instid0(VALU_DEP_1) | instskip(NEXT) | instid1(VALU_DEP_1)
	v_fma_f32 v196, -v0, v186, v187
	v_fmac_f32_e32 v186, v196, v1
	s_delay_alu instid0(VALU_DEP_1) | instskip(NEXT) | instid1(VALU_DEP_1)
	v_fma_f32 v0, -v0, v186, v187
	v_div_fmas_f32 v0, v0, v1, v186
	s_delay_alu instid0(VALU_DEP_1) | instskip(NEXT) | instid1(VALU_DEP_1)
	v_div_fixup_f32 v0, v0, v185, v184
	v_fmac_f32_e32 v185, v184, v0
	s_delay_alu instid0(VALU_DEP_1) | instskip(SKIP_1) | instid1(VALU_DEP_2)
	v_div_scale_f32 v1, null, v185, v185, 1.0
	v_div_scale_f32 v187, vcc_lo, 1.0, v185, 1.0
	v_rcp_f32_e32 v184, v1
	v_nop
	s_delay_alu instid0(TRANS32_DEP_1) | instskip(NEXT) | instid1(VALU_DEP_1)
	v_fma_f32 v186, -v1, v184, 1.0
	v_fmac_f32_e32 v184, v186, v184
	s_delay_alu instid0(VALU_DEP_1) | instskip(NEXT) | instid1(VALU_DEP_1)
	v_mul_f32_e32 v186, v187, v184
	v_fma_f32 v196, -v1, v186, v187
	s_delay_alu instid0(VALU_DEP_1) | instskip(NEXT) | instid1(VALU_DEP_1)
	v_fmac_f32_e32 v186, v196, v184
	v_fma_f32 v1, -v1, v186, v187
	s_delay_alu instid0(VALU_DEP_1) | instskip(NEXT) | instid1(VALU_DEP_1)
	v_div_fmas_f32 v1, v1, v184, v186
	v_div_fixup_f32 v1, v1, v185, 1.0
                                        ; implicit-def: $vgpr184_vgpr185
	s_delay_alu instid0(VALU_DEP_1)
	v_mul_f32_e32 v186, v0, v1
	v_xor_b32_e32 v187, 0x80000000, v1
.LBB123_446:
	s_and_not1_saveexec_b32 s1, s1
	s_cbranch_execz .LBB123_448
; %bb.447:
	v_div_scale_f32 v0, null, v184, v184, v185
	v_div_scale_f32 v187, vcc_lo, v185, v184, v185
	s_delay_alu instid0(VALU_DEP_2) | instskip(SKIP_1) | instid1(TRANS32_DEP_1)
	v_rcp_f32_e32 v1, v0
	v_nop
	v_fma_f32 v186, -v0, v1, 1.0
	s_delay_alu instid0(VALU_DEP_1) | instskip(NEXT) | instid1(VALU_DEP_1)
	v_fmac_f32_e32 v1, v186, v1
	v_mul_f32_e32 v186, v187, v1
	s_delay_alu instid0(VALU_DEP_1) | instskip(NEXT) | instid1(VALU_DEP_1)
	v_fma_f32 v196, -v0, v186, v187
	v_fmac_f32_e32 v186, v196, v1
	s_delay_alu instid0(VALU_DEP_1) | instskip(NEXT) | instid1(VALU_DEP_1)
	v_fma_f32 v0, -v0, v186, v187
	v_div_fmas_f32 v0, v0, v1, v186
	s_delay_alu instid0(VALU_DEP_1) | instskip(NEXT) | instid1(VALU_DEP_1)
	v_div_fixup_f32 v0, v0, v184, v185
	v_fmac_f32_e32 v184, v185, v0
	s_delay_alu instid0(VALU_DEP_1) | instskip(NEXT) | instid1(VALU_DEP_1)
	v_div_scale_f32 v1, null, v184, v184, 1.0
	v_rcp_f32_e32 v185, v1
	v_nop
	s_delay_alu instid0(TRANS32_DEP_1) | instskip(NEXT) | instid1(VALU_DEP_1)
	v_fma_f32 v186, -v1, v185, 1.0
	v_fmac_f32_e32 v185, v186, v185
	v_div_scale_f32 v186, vcc_lo, 1.0, v184, 1.0
	s_delay_alu instid0(VALU_DEP_1) | instskip(NEXT) | instid1(VALU_DEP_1)
	v_mul_f32_e32 v187, v186, v185
	v_fma_f32 v196, -v1, v187, v186
	s_delay_alu instid0(VALU_DEP_1) | instskip(NEXT) | instid1(VALU_DEP_1)
	v_fmac_f32_e32 v187, v196, v185
	v_fma_f32 v1, -v1, v187, v186
	s_delay_alu instid0(VALU_DEP_1) | instskip(NEXT) | instid1(VALU_DEP_1)
	v_div_fmas_f32 v1, v1, v185, v187
	v_div_fixup_f32 v186, v1, v184, 1.0
	s_delay_alu instid0(VALU_DEP_1)
	v_mul_f32_e64 v187, v0, -v186
.LBB123_448:
	s_or_b32 exec_lo, exec_lo, s1
	ds_store_b64 v235, v[186:187]
.LBB123_449:
	s_or_b32 exec_lo, exec_lo, s2
	s_wait_dscnt 0x0
	s_barrier_signal -1
	s_barrier_wait -1
	ds_load_b64 v[184:185], v235
	s_mov_b32 s1, exec_lo
	v_cmpx_lt_u32_e32 49, v234
	s_cbranch_execz .LBB123_451
; %bb.450:
	ds_load_2addr_b64 v[198:201], v236 offset0:50 offset1:51
	s_wait_dscnt 0x1
	v_pk_mul_f32 v[196:197], v[184:185], v[206:207] op_sel:[1,1] op_sel_hi:[0,1]
	s_delay_alu instid0(VALU_DEP_1) | instskip(SKIP_1) | instid1(VALU_DEP_1)
	v_pk_fma_f32 v[186:187], v[184:185], v[206:207], v[196:197] op_sel_hi:[1,0,1] neg_lo:[0,0,1] neg_hi:[0,0,1]
	v_pk_fma_f32 v[196:197], v[184:185], v[206:207], v[196:197] op_sel_hi:[1,0,1]
	v_dual_mov_b32 v206, v186 :: v_dual_mov_b32 v207, v197
	s_wait_dscnt 0x0
	s_delay_alu instid0(VALU_DEP_2) | instskip(NEXT) | instid1(VALU_DEP_1)
	v_pk_mul_f32 v[202:203], v[198:199], v[196:197] op_sel:[0,1]
	v_pk_fma_f32 v[212:213], v[198:199], v[186:187], v[202:203] op_sel:[0,0,1] op_sel_hi:[1,1,0] neg_lo:[0,0,1] neg_hi:[0,0,1]
	v_pk_fma_f32 v[198:199], v[198:199], v[186:187], v[202:203] op_sel:[0,0,1] op_sel_hi:[1,0,0]
	s_delay_alu instid0(VALU_DEP_1) | instskip(SKIP_1) | instid1(VALU_DEP_1)
	v_mov_b32_e32 v213, v199
	v_pk_mul_f32 v[198:199], v[200:201], v[196:197] op_sel:[0,1]
	v_pk_fma_f32 v[202:203], v[200:201], v[186:187], v[198:199] op_sel:[0,0,1] op_sel_hi:[1,1,0] neg_lo:[0,0,1] neg_hi:[0,0,1]
	v_pk_fma_f32 v[198:199], v[200:201], v[186:187], v[198:199] op_sel:[0,0,1] op_sel_hi:[1,0,0]
	s_delay_alu instid0(VALU_DEP_1)
	v_mov_b32_e32 v203, v199
	ds_load_2addr_b64 v[198:201], v236 offset0:52 offset1:53
	v_pk_add_f32 v[208:209], v[208:209], v[212:213] neg_lo:[0,1] neg_hi:[0,1]
	v_pk_add_f32 v[204:205], v[204:205], v[202:203] neg_lo:[0,1] neg_hi:[0,1]
	s_wait_dscnt 0x0
	v_pk_mul_f32 v[202:203], v[198:199], v[196:197] op_sel:[0,1]
	s_delay_alu instid0(VALU_DEP_1) | instskip(SKIP_2) | instid1(VALU_DEP_2)
	v_pk_fma_f32 v[212:213], v[198:199], v[186:187], v[202:203] op_sel:[0,0,1] op_sel_hi:[1,1,0] neg_lo:[0,0,1] neg_hi:[0,0,1]
	v_pk_fma_f32 v[198:199], v[198:199], v[186:187], v[202:203] op_sel:[0,0,1] op_sel_hi:[1,0,0]
	v_dual_mul_f32 v202, v201, v197 :: v_dual_mov_b32 v198, v201
	v_dual_mov_b32 v213, v199 :: v_dual_mov_b32 v199, v200
	s_delay_alu instid0(VALU_DEP_2) | instskip(SKIP_1) | instid1(VALU_DEP_3)
	v_pk_fma_f32 v[202:203], v[200:201], v[206:207], v[202:203] op_sel_hi:[1,1,0] neg_lo:[0,0,1] neg_hi:[0,0,1]
	v_mul_f32_e32 v200, v201, v186
	v_pk_add_f32 v[228:229], v[228:229], v[212:213] neg_lo:[0,1] neg_hi:[0,1]
	s_delay_alu instid0(VALU_DEP_2) | instskip(NEXT) | instid1(VALU_DEP_1)
	v_pk_fma_f32 v[198:199], v[198:199], v[206:207], v[200:201] op_sel_hi:[1,1,0]
	v_mov_b32_e32 v203, v199
	ds_load_2addr_b64 v[198:201], v236 offset0:54 offset1:55
	v_pk_add_f32 v[224:225], v[224:225], v[202:203] neg_lo:[0,1] neg_hi:[0,1]
	s_wait_dscnt 0x0
	v_pk_mul_f32 v[202:203], v[198:199], v[196:197] op_sel:[0,1]
	s_delay_alu instid0(VALU_DEP_1) | instskip(SKIP_1) | instid1(VALU_DEP_1)
	v_pk_fma_f32 v[212:213], v[198:199], v[186:187], v[202:203] op_sel:[0,0,1] op_sel_hi:[1,1,0] neg_lo:[0,0,1] neg_hi:[0,0,1]
	v_pk_fma_f32 v[198:199], v[198:199], v[186:187], v[202:203] op_sel:[0,0,1] op_sel_hi:[1,0,0]
	v_mov_b32_e32 v213, v199
	v_pk_mul_f32 v[198:199], v[200:201], v[196:197] op_sel:[0,1]
	s_delay_alu instid0(VALU_DEP_1) | instskip(SKIP_1) | instid1(VALU_DEP_1)
	v_pk_fma_f32 v[202:203], v[200:201], v[186:187], v[198:199] op_sel:[0,0,1] op_sel_hi:[1,1,0] neg_lo:[0,0,1] neg_hi:[0,0,1]
	v_pk_fma_f32 v[198:199], v[200:201], v[186:187], v[198:199] op_sel:[0,0,1] op_sel_hi:[1,0,0]
	v_mov_b32_e32 v203, v199
	ds_load_2addr_b64 v[198:201], v236 offset0:56 offset1:57
	v_pk_add_f32 v[226:227], v[226:227], v[212:213] neg_lo:[0,1] neg_hi:[0,1]
	v_pk_add_f32 v[222:223], v[222:223], v[202:203] neg_lo:[0,1] neg_hi:[0,1]
	s_wait_dscnt 0x0
	v_pk_mul_f32 v[202:203], v[198:199], v[196:197] op_sel:[0,1]
	s_delay_alu instid0(VALU_DEP_1) | instskip(SKIP_1) | instid1(VALU_DEP_1)
	v_pk_fma_f32 v[212:213], v[198:199], v[186:187], v[202:203] op_sel:[0,0,1] op_sel_hi:[1,1,0] neg_lo:[0,0,1] neg_hi:[0,0,1]
	v_pk_fma_f32 v[198:199], v[198:199], v[186:187], v[202:203] op_sel:[0,0,1] op_sel_hi:[1,0,0]
	v_mov_b32_e32 v213, v199
	v_pk_mul_f32 v[198:199], v[200:201], v[196:197] op_sel:[0,1]
	s_delay_alu instid0(VALU_DEP_1) | instskip(SKIP_1) | instid1(VALU_DEP_1)
	v_pk_fma_f32 v[202:203], v[200:201], v[186:187], v[198:199] op_sel:[0,0,1] op_sel_hi:[1,1,0] neg_lo:[0,0,1] neg_hi:[0,0,1]
	v_pk_fma_f32 v[198:199], v[200:201], v[186:187], v[198:199] op_sel:[0,0,1] op_sel_hi:[1,0,0]
	v_mov_b32_e32 v203, v199
	ds_load_2addr_b64 v[198:201], v236 offset0:58 offset1:59
	v_pk_add_f32 v[244:245], v[244:245], v[212:213] neg_lo:[0,1] neg_hi:[0,1]
	v_pk_add_f32 v[240:241], v[240:241], v[202:203] neg_lo:[0,1] neg_hi:[0,1]
	s_wait_dscnt 0x0
	v_dual_mul_f32 v202, v199, v197 :: v_dual_mul_f32 v212, v199, v186
	s_delay_alu instid0(VALU_DEP_1) | instskip(NEXT) | instid1(VALU_DEP_2)
	v_pk_fma_f32 v[202:203], v[198:199], v[206:207], v[202:203] op_sel_hi:[1,1,0] neg_lo:[0,0,1] neg_hi:[0,0,1]
	v_pk_fma_f32 v[198:199], v[198:199], v[206:207], v[212:213] op_sel:[1,0,0] op_sel_hi:[0,1,0]
	s_delay_alu instid0(VALU_DEP_1) | instskip(SKIP_1) | instid1(VALU_DEP_2)
	v_mov_b32_e32 v203, v199
	v_pk_mul_f32 v[198:199], v[200:201], v[196:197] op_sel:[0,1]
	v_pk_add_f32 v[242:243], v[242:243], v[202:203] neg_lo:[0,1] neg_hi:[0,1]
	s_delay_alu instid0(VALU_DEP_2) | instskip(SKIP_1) | instid1(VALU_DEP_1)
	v_pk_fma_f32 v[202:203], v[200:201], v[186:187], v[198:199] op_sel:[0,0,1] op_sel_hi:[1,1,0] neg_lo:[0,0,1] neg_hi:[0,0,1]
	v_pk_fma_f32 v[198:199], v[200:201], v[186:187], v[198:199] op_sel:[0,0,1] op_sel_hi:[1,0,0]
	v_mov_b32_e32 v203, v199
	ds_load_2addr_b64 v[198:201], v236 offset0:60 offset1:61
	v_pk_add_f32 v[238:239], v[238:239], v[202:203] neg_lo:[0,1] neg_hi:[0,1]
	s_wait_dscnt 0x0
	v_pk_mul_f32 v[202:203], v[198:199], v[196:197] op_sel:[0,1]
	v_mul_f32_e32 v196, v201, v197
	s_delay_alu instid0(VALU_DEP_2) | instskip(SKIP_2) | instid1(VALU_DEP_4)
	v_pk_fma_f32 v[212:213], v[198:199], v[186:187], v[202:203] op_sel:[0,0,1] op_sel_hi:[1,1,0] neg_lo:[0,0,1] neg_hi:[0,0,1]
	v_pk_fma_f32 v[198:199], v[198:199], v[186:187], v[202:203] op_sel:[0,0,1] op_sel_hi:[1,0,0]
	v_dual_mov_b32 v198, v201 :: v_dual_mul_f32 v186, v201, v186
	v_pk_fma_f32 v[196:197], v[200:201], v[206:207], v[196:197] op_sel_hi:[1,1,0] neg_lo:[0,0,1] neg_hi:[0,0,1]
	s_delay_alu instid0(VALU_DEP_3) | instskip(NEXT) | instid1(VALU_DEP_1)
	v_dual_mov_b32 v213, v199 :: v_dual_mov_b32 v199, v200
	v_pk_add_f32 v[246:247], v[246:247], v[212:213] neg_lo:[0,1] neg_hi:[0,1]
	s_delay_alu instid0(VALU_DEP_2) | instskip(NEXT) | instid1(VALU_DEP_1)
	v_pk_fma_f32 v[186:187], v[198:199], v[206:207], v[186:187] op_sel_hi:[1,1,0]
	v_mov_b32_e32 v197, v187
	s_delay_alu instid0(VALU_DEP_1)
	v_pk_add_f32 v[248:249], v[248:249], v[196:197] neg_lo:[0,1] neg_hi:[0,1]
.LBB123_451:
	s_or_b32 exec_lo, exec_lo, s1
	s_delay_alu instid0(SALU_CYCLE_1)
	s_mov_b32 s2, exec_lo
	s_wait_dscnt 0x0
	s_barrier_signal -1
	s_barrier_wait -1
	v_cmpx_eq_u32_e32 50, v234
	s_cbranch_execz .LBB123_458
; %bb.452:
	ds_store_b64 v235, v[208:209]
	ds_store_2addr_b64 v236, v[204:205], v[228:229] offset0:51 offset1:52
	ds_store_2addr_b64 v236, v[224:225], v[226:227] offset0:53 offset1:54
	;; [unrolled: 1-line block ×5, first 2 shown]
	ds_store_b64 v236, v[248:249] offset:488
	ds_load_b64 v[186:187], v235
	s_wait_dscnt 0x0
	v_cmp_neq_f32_e32 vcc_lo, 0, v186
	v_cmp_neq_f32_e64 s1, 0, v187
	s_or_b32 s1, vcc_lo, s1
	s_delay_alu instid0(SALU_CYCLE_1)
	s_and_b32 exec_lo, exec_lo, s1
	s_cbranch_execz .LBB123_458
; %bb.453:
	v_cmp_ngt_f32_e64 s1, |v186|, |v187|
                                        ; implicit-def: $vgpr196_vgpr197
	s_and_saveexec_b32 s4, s1
	s_delay_alu instid0(SALU_CYCLE_1)
	s_xor_b32 s1, exec_lo, s4
	s_cbranch_execz .LBB123_455
; %bb.454:
	v_div_scale_f32 v0, null, v187, v187, v186
	v_div_scale_f32 v197, vcc_lo, v186, v187, v186
	s_delay_alu instid0(VALU_DEP_2) | instskip(SKIP_1) | instid1(TRANS32_DEP_1)
	v_rcp_f32_e32 v1, v0
	v_nop
	v_fma_f32 v196, -v0, v1, 1.0
	s_delay_alu instid0(VALU_DEP_1) | instskip(NEXT) | instid1(VALU_DEP_1)
	v_fmac_f32_e32 v1, v196, v1
	v_mul_f32_e32 v196, v197, v1
	s_delay_alu instid0(VALU_DEP_1) | instskip(NEXT) | instid1(VALU_DEP_1)
	v_fma_f32 v198, -v0, v196, v197
	v_fmac_f32_e32 v196, v198, v1
	s_delay_alu instid0(VALU_DEP_1) | instskip(NEXT) | instid1(VALU_DEP_1)
	v_fma_f32 v0, -v0, v196, v197
	v_div_fmas_f32 v0, v0, v1, v196
	s_delay_alu instid0(VALU_DEP_1) | instskip(NEXT) | instid1(VALU_DEP_1)
	v_div_fixup_f32 v0, v0, v187, v186
	v_fmac_f32_e32 v187, v186, v0
	s_delay_alu instid0(VALU_DEP_1) | instskip(SKIP_1) | instid1(VALU_DEP_2)
	v_div_scale_f32 v1, null, v187, v187, 1.0
	v_div_scale_f32 v197, vcc_lo, 1.0, v187, 1.0
	v_rcp_f32_e32 v186, v1
	v_nop
	s_delay_alu instid0(TRANS32_DEP_1) | instskip(NEXT) | instid1(VALU_DEP_1)
	v_fma_f32 v196, -v1, v186, 1.0
	v_fmac_f32_e32 v186, v196, v186
	s_delay_alu instid0(VALU_DEP_1) | instskip(NEXT) | instid1(VALU_DEP_1)
	v_mul_f32_e32 v196, v197, v186
	v_fma_f32 v198, -v1, v196, v197
	s_delay_alu instid0(VALU_DEP_1) | instskip(NEXT) | instid1(VALU_DEP_1)
	v_fmac_f32_e32 v196, v198, v186
	v_fma_f32 v1, -v1, v196, v197
	s_delay_alu instid0(VALU_DEP_1) | instskip(NEXT) | instid1(VALU_DEP_1)
	v_div_fmas_f32 v1, v1, v186, v196
	v_div_fixup_f32 v1, v1, v187, 1.0
                                        ; implicit-def: $vgpr186_vgpr187
	s_delay_alu instid0(VALU_DEP_1)
	v_mul_f32_e32 v196, v0, v1
	v_xor_b32_e32 v197, 0x80000000, v1
.LBB123_455:
	s_and_not1_saveexec_b32 s1, s1
	s_cbranch_execz .LBB123_457
; %bb.456:
	v_div_scale_f32 v0, null, v186, v186, v187
	v_div_scale_f32 v197, vcc_lo, v187, v186, v187
	s_delay_alu instid0(VALU_DEP_2) | instskip(SKIP_1) | instid1(TRANS32_DEP_1)
	v_rcp_f32_e32 v1, v0
	v_nop
	v_fma_f32 v196, -v0, v1, 1.0
	s_delay_alu instid0(VALU_DEP_1) | instskip(NEXT) | instid1(VALU_DEP_1)
	v_fmac_f32_e32 v1, v196, v1
	v_mul_f32_e32 v196, v197, v1
	s_delay_alu instid0(VALU_DEP_1) | instskip(NEXT) | instid1(VALU_DEP_1)
	v_fma_f32 v198, -v0, v196, v197
	v_fmac_f32_e32 v196, v198, v1
	s_delay_alu instid0(VALU_DEP_1) | instskip(NEXT) | instid1(VALU_DEP_1)
	v_fma_f32 v0, -v0, v196, v197
	v_div_fmas_f32 v0, v0, v1, v196
	s_delay_alu instid0(VALU_DEP_1) | instskip(NEXT) | instid1(VALU_DEP_1)
	v_div_fixup_f32 v0, v0, v186, v187
	v_fmac_f32_e32 v186, v187, v0
	s_delay_alu instid0(VALU_DEP_1) | instskip(NEXT) | instid1(VALU_DEP_1)
	v_div_scale_f32 v1, null, v186, v186, 1.0
	v_rcp_f32_e32 v187, v1
	v_nop
	s_delay_alu instid0(TRANS32_DEP_1) | instskip(NEXT) | instid1(VALU_DEP_1)
	v_fma_f32 v196, -v1, v187, 1.0
	v_fmac_f32_e32 v187, v196, v187
	v_div_scale_f32 v196, vcc_lo, 1.0, v186, 1.0
	s_delay_alu instid0(VALU_DEP_1) | instskip(NEXT) | instid1(VALU_DEP_1)
	v_mul_f32_e32 v197, v196, v187
	v_fma_f32 v198, -v1, v197, v196
	s_delay_alu instid0(VALU_DEP_1) | instskip(NEXT) | instid1(VALU_DEP_1)
	v_fmac_f32_e32 v197, v198, v187
	v_fma_f32 v1, -v1, v197, v196
	s_delay_alu instid0(VALU_DEP_1) | instskip(NEXT) | instid1(VALU_DEP_1)
	v_div_fmas_f32 v1, v1, v187, v197
	v_div_fixup_f32 v196, v1, v186, 1.0
	s_delay_alu instid0(VALU_DEP_1)
	v_mul_f32_e64 v197, v0, -v196
.LBB123_457:
	s_or_b32 exec_lo, exec_lo, s1
	ds_store_b64 v235, v[196:197]
.LBB123_458:
	s_or_b32 exec_lo, exec_lo, s2
	s_wait_dscnt 0x0
	s_barrier_signal -1
	s_barrier_wait -1
	ds_load_b64 v[186:187], v235
	s_mov_b32 s1, exec_lo
	v_cmpx_lt_u32_e32 50, v234
	s_cbranch_execz .LBB123_460
; %bb.459:
	ds_load_2addr_b64 v[200:203], v236 offset0:51 offset1:52
	s_wait_dscnt 0x1
	v_pk_mul_f32 v[198:199], v[186:187], v[208:209] op_sel:[1,1] op_sel_hi:[0,1]
	s_delay_alu instid0(VALU_DEP_1) | instskip(SKIP_1) | instid1(VALU_DEP_1)
	v_pk_fma_f32 v[196:197], v[186:187], v[208:209], v[198:199] op_sel_hi:[1,0,1] neg_lo:[0,0,1] neg_hi:[0,0,1]
	v_pk_fma_f32 v[198:199], v[186:187], v[208:209], v[198:199] op_sel_hi:[1,0,1]
	v_dual_mov_b32 v208, v196 :: v_dual_mov_b32 v209, v199
	s_wait_dscnt 0x0
	s_delay_alu instid0(VALU_DEP_2) | instskip(NEXT) | instid1(VALU_DEP_1)
	v_pk_mul_f32 v[212:213], v[200:201], v[198:199] op_sel:[0,1]
	v_pk_fma_f32 v[214:215], v[200:201], v[196:197], v[212:213] op_sel:[0,0,1] op_sel_hi:[1,1,0] neg_lo:[0,0,1] neg_hi:[0,0,1]
	v_pk_fma_f32 v[200:201], v[200:201], v[196:197], v[212:213] op_sel:[0,0,1] op_sel_hi:[1,0,0]
	s_delay_alu instid0(VALU_DEP_1) | instskip(SKIP_1) | instid1(VALU_DEP_1)
	v_mov_b32_e32 v215, v201
	v_pk_mul_f32 v[200:201], v[202:203], v[198:199] op_sel:[0,1]
	v_pk_fma_f32 v[212:213], v[202:203], v[196:197], v[200:201] op_sel:[0,0,1] op_sel_hi:[1,1,0] neg_lo:[0,0,1] neg_hi:[0,0,1]
	v_pk_fma_f32 v[200:201], v[202:203], v[196:197], v[200:201] op_sel:[0,0,1] op_sel_hi:[1,0,0]
	s_delay_alu instid0(VALU_DEP_1)
	v_mov_b32_e32 v213, v201
	ds_load_2addr_b64 v[200:203], v236 offset0:53 offset1:54
	v_pk_add_f32 v[204:205], v[204:205], v[214:215] neg_lo:[0,1] neg_hi:[0,1]
	v_pk_add_f32 v[228:229], v[228:229], v[212:213] neg_lo:[0,1] neg_hi:[0,1]
	s_wait_dscnt 0x0
	v_pk_mul_f32 v[212:213], v[200:201], v[198:199] op_sel:[0,1]
	s_delay_alu instid0(VALU_DEP_1) | instskip(SKIP_2) | instid1(VALU_DEP_2)
	v_pk_fma_f32 v[214:215], v[200:201], v[196:197], v[212:213] op_sel:[0,0,1] op_sel_hi:[1,1,0] neg_lo:[0,0,1] neg_hi:[0,0,1]
	v_pk_fma_f32 v[200:201], v[200:201], v[196:197], v[212:213] op_sel:[0,0,1] op_sel_hi:[1,0,0]
	v_dual_mul_f32 v212, v203, v199 :: v_dual_mov_b32 v200, v203
	v_dual_mov_b32 v215, v201 :: v_dual_mov_b32 v201, v202
	s_delay_alu instid0(VALU_DEP_2) | instskip(SKIP_1) | instid1(VALU_DEP_3)
	v_pk_fma_f32 v[212:213], v[202:203], v[208:209], v[212:213] op_sel_hi:[1,1,0] neg_lo:[0,0,1] neg_hi:[0,0,1]
	v_mul_f32_e32 v202, v203, v196
	v_pk_add_f32 v[224:225], v[224:225], v[214:215] neg_lo:[0,1] neg_hi:[0,1]
	s_delay_alu instid0(VALU_DEP_2) | instskip(NEXT) | instid1(VALU_DEP_1)
	v_pk_fma_f32 v[200:201], v[200:201], v[208:209], v[202:203] op_sel_hi:[1,1,0]
	v_mov_b32_e32 v213, v201
	ds_load_2addr_b64 v[200:203], v236 offset0:55 offset1:56
	v_pk_add_f32 v[226:227], v[226:227], v[212:213] neg_lo:[0,1] neg_hi:[0,1]
	s_wait_dscnt 0x0
	v_pk_mul_f32 v[212:213], v[200:201], v[198:199] op_sel:[0,1]
	s_delay_alu instid0(VALU_DEP_1) | instskip(SKIP_1) | instid1(VALU_DEP_1)
	v_pk_fma_f32 v[214:215], v[200:201], v[196:197], v[212:213] op_sel:[0,0,1] op_sel_hi:[1,1,0] neg_lo:[0,0,1] neg_hi:[0,0,1]
	v_pk_fma_f32 v[200:201], v[200:201], v[196:197], v[212:213] op_sel:[0,0,1] op_sel_hi:[1,0,0]
	v_mov_b32_e32 v215, v201
	v_pk_mul_f32 v[200:201], v[202:203], v[198:199] op_sel:[0,1]
	s_delay_alu instid0(VALU_DEP_1) | instskip(SKIP_1) | instid1(VALU_DEP_1)
	v_pk_fma_f32 v[212:213], v[202:203], v[196:197], v[200:201] op_sel:[0,0,1] op_sel_hi:[1,1,0] neg_lo:[0,0,1] neg_hi:[0,0,1]
	v_pk_fma_f32 v[200:201], v[202:203], v[196:197], v[200:201] op_sel:[0,0,1] op_sel_hi:[1,0,0]
	v_mov_b32_e32 v213, v201
	ds_load_2addr_b64 v[200:203], v236 offset0:57 offset1:58
	v_pk_add_f32 v[222:223], v[222:223], v[214:215] neg_lo:[0,1] neg_hi:[0,1]
	v_pk_add_f32 v[244:245], v[244:245], v[212:213] neg_lo:[0,1] neg_hi:[0,1]
	s_wait_dscnt 0x0
	v_pk_mul_f32 v[212:213], v[200:201], v[198:199] op_sel:[0,1]
	s_delay_alu instid0(VALU_DEP_1) | instskip(SKIP_1) | instid1(VALU_DEP_1)
	v_pk_fma_f32 v[214:215], v[200:201], v[196:197], v[212:213] op_sel:[0,0,1] op_sel_hi:[1,1,0] neg_lo:[0,0,1] neg_hi:[0,0,1]
	v_pk_fma_f32 v[200:201], v[200:201], v[196:197], v[212:213] op_sel:[0,0,1] op_sel_hi:[1,0,0]
	v_mov_b32_e32 v215, v201
	v_pk_mul_f32 v[200:201], v[202:203], v[198:199] op_sel:[0,1]
	s_delay_alu instid0(VALU_DEP_1) | instskip(SKIP_1) | instid1(VALU_DEP_1)
	v_pk_fma_f32 v[212:213], v[202:203], v[196:197], v[200:201] op_sel:[0,0,1] op_sel_hi:[1,1,0] neg_lo:[0,0,1] neg_hi:[0,0,1]
	v_pk_fma_f32 v[200:201], v[202:203], v[196:197], v[200:201] op_sel:[0,0,1] op_sel_hi:[1,0,0]
	v_mov_b32_e32 v213, v201
	ds_load_2addr_b64 v[200:203], v236 offset0:59 offset1:60
	v_pk_add_f32 v[240:241], v[240:241], v[214:215] neg_lo:[0,1] neg_hi:[0,1]
	v_pk_add_f32 v[242:243], v[242:243], v[212:213] neg_lo:[0,1] neg_hi:[0,1]
	s_wait_dscnt 0x0
	v_dual_mul_f32 v212, v201, v199 :: v_dual_mul_f32 v214, v201, v196
	s_delay_alu instid0(VALU_DEP_1) | instskip(NEXT) | instid1(VALU_DEP_2)
	v_pk_fma_f32 v[212:213], v[200:201], v[208:209], v[212:213] op_sel_hi:[1,1,0] neg_lo:[0,0,1] neg_hi:[0,0,1]
	v_pk_fma_f32 v[200:201], v[200:201], v[208:209], v[214:215] op_sel:[1,0,0] op_sel_hi:[0,1,0]
	s_delay_alu instid0(VALU_DEP_1) | instskip(SKIP_1) | instid1(VALU_DEP_2)
	v_mov_b32_e32 v213, v201
	v_pk_mul_f32 v[200:201], v[202:203], v[198:199] op_sel:[0,1]
	v_pk_add_f32 v[238:239], v[238:239], v[212:213] neg_lo:[0,1] neg_hi:[0,1]
	s_delay_alu instid0(VALU_DEP_2) | instskip(SKIP_1) | instid1(VALU_DEP_1)
	v_pk_fma_f32 v[212:213], v[202:203], v[196:197], v[200:201] op_sel:[0,0,1] op_sel_hi:[1,1,0] neg_lo:[0,0,1] neg_hi:[0,0,1]
	v_pk_fma_f32 v[200:201], v[202:203], v[196:197], v[200:201] op_sel:[0,0,1] op_sel_hi:[1,0,0]
	v_mov_b32_e32 v213, v201
	ds_load_b64 v[200:201], v236 offset:488
	v_pk_add_f32 v[246:247], v[246:247], v[212:213] neg_lo:[0,1] neg_hi:[0,1]
	s_wait_dscnt 0x0
	v_pk_mul_f32 v[198:199], v[200:201], v[198:199] op_sel:[0,1]
	s_delay_alu instid0(VALU_DEP_1) | instskip(SKIP_1) | instid1(VALU_DEP_1)
	v_pk_fma_f32 v[202:203], v[200:201], v[196:197], v[198:199] op_sel:[0,0,1] op_sel_hi:[1,1,0] neg_lo:[0,0,1] neg_hi:[0,0,1]
	v_pk_fma_f32 v[196:197], v[200:201], v[196:197], v[198:199] op_sel:[0,0,1] op_sel_hi:[1,0,0]
	v_mov_b32_e32 v203, v197
	s_delay_alu instid0(VALU_DEP_1)
	v_pk_add_f32 v[248:249], v[248:249], v[202:203] neg_lo:[0,1] neg_hi:[0,1]
.LBB123_460:
	s_or_b32 exec_lo, exec_lo, s1
	s_delay_alu instid0(SALU_CYCLE_1)
	s_mov_b32 s2, exec_lo
	s_wait_dscnt 0x0
	s_barrier_signal -1
	s_barrier_wait -1
	v_cmpx_eq_u32_e32 51, v234
	s_cbranch_execz .LBB123_467
; %bb.461:
	v_dual_mov_b32 v196, v228 :: v_dual_mov_b32 v197, v229
	v_dual_mov_b32 v198, v224 :: v_dual_mov_b32 v199, v225
	ds_store_b64 v235, v[204:205]
	ds_store_2addr_b64 v236, v[196:197], v[198:199] offset0:52 offset1:53
	v_dual_mov_b32 v196, v226 :: v_dual_mov_b32 v197, v227
	v_dual_mov_b32 v198, v222 :: v_dual_mov_b32 v199, v223
	ds_store_2addr_b64 v236, v[196:197], v[198:199] offset0:54 offset1:55
	v_dual_mov_b32 v196, v244 :: v_dual_mov_b32 v197, v245
	v_dual_mov_b32 v198, v240 :: v_dual_mov_b32 v199, v241
	;; [unrolled: 3-line block ×3, first 2 shown]
	ds_store_2addr_b64 v236, v[196:197], v[198:199] offset0:58 offset1:59
	v_dual_mov_b32 v196, v246 :: v_dual_mov_b32 v197, v247
	ds_store_2addr_b64 v236, v[196:197], v[248:249] offset0:60 offset1:61
	ds_load_b64 v[196:197], v235
	s_wait_dscnt 0x0
	v_cmp_neq_f32_e32 vcc_lo, 0, v196
	v_cmp_neq_f32_e64 s1, 0, v197
	s_or_b32 s1, vcc_lo, s1
	s_delay_alu instid0(SALU_CYCLE_1)
	s_and_b32 exec_lo, exec_lo, s1
	s_cbranch_execz .LBB123_467
; %bb.462:
	v_cmp_ngt_f32_e64 s1, |v196|, |v197|
                                        ; implicit-def: $vgpr198_vgpr199
	s_and_saveexec_b32 s4, s1
	s_delay_alu instid0(SALU_CYCLE_1)
	s_xor_b32 s1, exec_lo, s4
	s_cbranch_execz .LBB123_464
; %bb.463:
	v_div_scale_f32 v0, null, v197, v197, v196
	v_div_scale_f32 v199, vcc_lo, v196, v197, v196
	s_delay_alu instid0(VALU_DEP_2) | instskip(SKIP_1) | instid1(TRANS32_DEP_1)
	v_rcp_f32_e32 v1, v0
	v_nop
	v_fma_f32 v198, -v0, v1, 1.0
	s_delay_alu instid0(VALU_DEP_1) | instskip(NEXT) | instid1(VALU_DEP_1)
	v_fmac_f32_e32 v1, v198, v1
	v_mul_f32_e32 v198, v199, v1
	s_delay_alu instid0(VALU_DEP_1) | instskip(NEXT) | instid1(VALU_DEP_1)
	v_fma_f32 v200, -v0, v198, v199
	v_fmac_f32_e32 v198, v200, v1
	s_delay_alu instid0(VALU_DEP_1) | instskip(NEXT) | instid1(VALU_DEP_1)
	v_fma_f32 v0, -v0, v198, v199
	v_div_fmas_f32 v0, v0, v1, v198
	s_delay_alu instid0(VALU_DEP_1) | instskip(NEXT) | instid1(VALU_DEP_1)
	v_div_fixup_f32 v0, v0, v197, v196
	v_fmac_f32_e32 v197, v196, v0
	s_delay_alu instid0(VALU_DEP_1) | instskip(SKIP_1) | instid1(VALU_DEP_2)
	v_div_scale_f32 v1, null, v197, v197, 1.0
	v_div_scale_f32 v199, vcc_lo, 1.0, v197, 1.0
	v_rcp_f32_e32 v196, v1
	v_nop
	s_delay_alu instid0(TRANS32_DEP_1) | instskip(NEXT) | instid1(VALU_DEP_1)
	v_fma_f32 v198, -v1, v196, 1.0
	v_fmac_f32_e32 v196, v198, v196
	s_delay_alu instid0(VALU_DEP_1) | instskip(NEXT) | instid1(VALU_DEP_1)
	v_mul_f32_e32 v198, v199, v196
	v_fma_f32 v200, -v1, v198, v199
	s_delay_alu instid0(VALU_DEP_1) | instskip(NEXT) | instid1(VALU_DEP_1)
	v_fmac_f32_e32 v198, v200, v196
	v_fma_f32 v1, -v1, v198, v199
	s_delay_alu instid0(VALU_DEP_1) | instskip(NEXT) | instid1(VALU_DEP_1)
	v_div_fmas_f32 v1, v1, v196, v198
	v_div_fixup_f32 v1, v1, v197, 1.0
                                        ; implicit-def: $vgpr196_vgpr197
	s_delay_alu instid0(VALU_DEP_1)
	v_mul_f32_e32 v198, v0, v1
	v_xor_b32_e32 v199, 0x80000000, v1
.LBB123_464:
	s_and_not1_saveexec_b32 s1, s1
	s_cbranch_execz .LBB123_466
; %bb.465:
	v_div_scale_f32 v0, null, v196, v196, v197
	v_div_scale_f32 v199, vcc_lo, v197, v196, v197
	s_delay_alu instid0(VALU_DEP_2) | instskip(SKIP_1) | instid1(TRANS32_DEP_1)
	v_rcp_f32_e32 v1, v0
	v_nop
	v_fma_f32 v198, -v0, v1, 1.0
	s_delay_alu instid0(VALU_DEP_1) | instskip(NEXT) | instid1(VALU_DEP_1)
	v_fmac_f32_e32 v1, v198, v1
	v_mul_f32_e32 v198, v199, v1
	s_delay_alu instid0(VALU_DEP_1) | instskip(NEXT) | instid1(VALU_DEP_1)
	v_fma_f32 v200, -v0, v198, v199
	v_fmac_f32_e32 v198, v200, v1
	s_delay_alu instid0(VALU_DEP_1) | instskip(NEXT) | instid1(VALU_DEP_1)
	v_fma_f32 v0, -v0, v198, v199
	v_div_fmas_f32 v0, v0, v1, v198
	s_delay_alu instid0(VALU_DEP_1) | instskip(NEXT) | instid1(VALU_DEP_1)
	v_div_fixup_f32 v0, v0, v196, v197
	v_fmac_f32_e32 v196, v197, v0
	s_delay_alu instid0(VALU_DEP_1) | instskip(NEXT) | instid1(VALU_DEP_1)
	v_div_scale_f32 v1, null, v196, v196, 1.0
	v_rcp_f32_e32 v197, v1
	v_nop
	s_delay_alu instid0(TRANS32_DEP_1) | instskip(NEXT) | instid1(VALU_DEP_1)
	v_fma_f32 v198, -v1, v197, 1.0
	v_fmac_f32_e32 v197, v198, v197
	v_div_scale_f32 v198, vcc_lo, 1.0, v196, 1.0
	s_delay_alu instid0(VALU_DEP_1) | instskip(NEXT) | instid1(VALU_DEP_1)
	v_mul_f32_e32 v199, v198, v197
	v_fma_f32 v200, -v1, v199, v198
	s_delay_alu instid0(VALU_DEP_1) | instskip(NEXT) | instid1(VALU_DEP_1)
	v_fmac_f32_e32 v199, v200, v197
	v_fma_f32 v1, -v1, v199, v198
	s_delay_alu instid0(VALU_DEP_1) | instskip(NEXT) | instid1(VALU_DEP_1)
	v_div_fmas_f32 v1, v1, v197, v199
	v_div_fixup_f32 v198, v1, v196, 1.0
	s_delay_alu instid0(VALU_DEP_1)
	v_mul_f32_e64 v199, v0, -v198
.LBB123_466:
	s_or_b32 exec_lo, exec_lo, s1
	ds_store_b64 v235, v[198:199]
.LBB123_467:
	s_or_b32 exec_lo, exec_lo, s2
	s_wait_dscnt 0x0
	s_barrier_signal -1
	s_barrier_wait -1
	ds_load_b64 v[196:197], v235
	s_mov_b32 s1, exec_lo
	v_cmpx_lt_u32_e32 51, v234
	s_cbranch_execz .LBB123_469
; %bb.468:
	ds_load_2addr_b64 v[212:215], v236 offset0:52 offset1:53
	s_wait_dscnt 0x1
	v_pk_mul_f32 v[200:201], v[196:197], v[204:205] op_sel:[1,1] op_sel_hi:[0,1]
	s_delay_alu instid0(VALU_DEP_1) | instskip(SKIP_1) | instid1(VALU_DEP_1)
	v_pk_fma_f32 v[198:199], v[196:197], v[204:205], v[200:201] op_sel_hi:[1,0,1] neg_lo:[0,0,1] neg_hi:[0,0,1]
	v_pk_fma_f32 v[200:201], v[196:197], v[204:205], v[200:201] op_sel_hi:[1,0,1]
	v_dual_mov_b32 v204, v198 :: v_dual_mov_b32 v205, v201
	s_wait_dscnt 0x0
	s_delay_alu instid0(VALU_DEP_2) | instskip(NEXT) | instid1(VALU_DEP_1)
	v_pk_mul_f32 v[202:203], v[212:213], v[200:201] op_sel:[0,1]
	v_pk_fma_f32 v[216:217], v[212:213], v[198:199], v[202:203] op_sel:[0,0,1] op_sel_hi:[1,1,0] neg_lo:[0,0,1] neg_hi:[0,0,1]
	v_pk_fma_f32 v[202:203], v[212:213], v[198:199], v[202:203] op_sel:[0,0,1] op_sel_hi:[1,0,0]
	s_delay_alu instid0(VALU_DEP_1) | instskip(SKIP_1) | instid1(VALU_DEP_1)
	v_mov_b32_e32 v217, v203
	v_pk_mul_f32 v[202:203], v[214:215], v[200:201] op_sel:[0,1]
	v_pk_fma_f32 v[212:213], v[214:215], v[198:199], v[202:203] op_sel:[0,0,1] op_sel_hi:[1,1,0] neg_lo:[0,0,1] neg_hi:[0,0,1]
	v_pk_fma_f32 v[202:203], v[214:215], v[198:199], v[202:203] op_sel:[0,0,1] op_sel_hi:[1,0,0]
	s_delay_alu instid0(VALU_DEP_1) | instskip(SKIP_1) | instid1(VALU_DEP_2)
	v_mov_b32_e32 v213, v203
	v_pk_add_f32 v[228:229], v[228:229], v[216:217] neg_lo:[0,1] neg_hi:[0,1]
	v_pk_add_f32 v[224:225], v[224:225], v[212:213] neg_lo:[0,1] neg_hi:[0,1]
	ds_load_2addr_b64 v[212:215], v236 offset0:54 offset1:55
	s_wait_dscnt 0x0
	v_pk_mul_f32 v[202:203], v[212:213], v[200:201] op_sel:[0,1]
	s_delay_alu instid0(VALU_DEP_1) | instskip(SKIP_2) | instid1(VALU_DEP_2)
	v_pk_fma_f32 v[216:217], v[212:213], v[198:199], v[202:203] op_sel:[0,0,1] op_sel_hi:[1,1,0] neg_lo:[0,0,1] neg_hi:[0,0,1]
	v_pk_fma_f32 v[202:203], v[212:213], v[198:199], v[202:203] op_sel:[0,0,1] op_sel_hi:[1,0,0]
	v_dual_mul_f32 v212, v215, v201 :: v_dual_mov_b32 v202, v215
	v_dual_mov_b32 v217, v203 :: v_dual_mov_b32 v203, v214
	s_delay_alu instid0(VALU_DEP_2) | instskip(SKIP_1) | instid1(VALU_DEP_3)
	v_pk_fma_f32 v[212:213], v[214:215], v[204:205], v[212:213] op_sel_hi:[1,1,0] neg_lo:[0,0,1] neg_hi:[0,0,1]
	v_mul_f32_e32 v214, v215, v198
	v_pk_add_f32 v[226:227], v[226:227], v[216:217] neg_lo:[0,1] neg_hi:[0,1]
	s_delay_alu instid0(VALU_DEP_2) | instskip(NEXT) | instid1(VALU_DEP_1)
	v_pk_fma_f32 v[202:203], v[202:203], v[204:205], v[214:215] op_sel_hi:[1,1,0]
	v_mov_b32_e32 v213, v203
	s_delay_alu instid0(VALU_DEP_1) | instskip(SKIP_3) | instid1(VALU_DEP_1)
	v_pk_add_f32 v[222:223], v[222:223], v[212:213] neg_lo:[0,1] neg_hi:[0,1]
	ds_load_2addr_b64 v[212:215], v236 offset0:56 offset1:57
	s_wait_dscnt 0x0
	v_pk_mul_f32 v[202:203], v[212:213], v[200:201] op_sel:[0,1]
	v_pk_fma_f32 v[216:217], v[212:213], v[198:199], v[202:203] op_sel:[0,0,1] op_sel_hi:[1,1,0] neg_lo:[0,0,1] neg_hi:[0,0,1]
	v_pk_fma_f32 v[202:203], v[212:213], v[198:199], v[202:203] op_sel:[0,0,1] op_sel_hi:[1,0,0]
	s_delay_alu instid0(VALU_DEP_1) | instskip(SKIP_1) | instid1(VALU_DEP_2)
	v_mov_b32_e32 v217, v203
	v_pk_mul_f32 v[202:203], v[214:215], v[200:201] op_sel:[0,1]
	v_pk_add_f32 v[244:245], v[244:245], v[216:217] neg_lo:[0,1] neg_hi:[0,1]
	s_delay_alu instid0(VALU_DEP_2) | instskip(SKIP_1) | instid1(VALU_DEP_1)
	v_pk_fma_f32 v[212:213], v[214:215], v[198:199], v[202:203] op_sel:[0,0,1] op_sel_hi:[1,1,0] neg_lo:[0,0,1] neg_hi:[0,0,1]
	v_pk_fma_f32 v[202:203], v[214:215], v[198:199], v[202:203] op_sel:[0,0,1] op_sel_hi:[1,0,0]
	v_mov_b32_e32 v213, v203
	s_delay_alu instid0(VALU_DEP_1) | instskip(SKIP_3) | instid1(VALU_DEP_1)
	v_pk_add_f32 v[240:241], v[240:241], v[212:213] neg_lo:[0,1] neg_hi:[0,1]
	ds_load_2addr_b64 v[212:215], v236 offset0:58 offset1:59
	s_wait_dscnt 0x0
	v_pk_mul_f32 v[202:203], v[212:213], v[200:201] op_sel:[0,1]
	v_pk_fma_f32 v[216:217], v[212:213], v[198:199], v[202:203] op_sel:[0,0,1] op_sel_hi:[1,1,0] neg_lo:[0,0,1] neg_hi:[0,0,1]
	v_pk_fma_f32 v[202:203], v[212:213], v[198:199], v[202:203] op_sel:[0,0,1] op_sel_hi:[1,0,0]
	s_delay_alu instid0(VALU_DEP_1) | instskip(SKIP_1) | instid1(VALU_DEP_2)
	v_mov_b32_e32 v217, v203
	v_pk_mul_f32 v[202:203], v[214:215], v[200:201] op_sel:[0,1]
	v_pk_add_f32 v[242:243], v[242:243], v[216:217] neg_lo:[0,1] neg_hi:[0,1]
	s_delay_alu instid0(VALU_DEP_2) | instskip(SKIP_1) | instid1(VALU_DEP_1)
	v_pk_fma_f32 v[212:213], v[214:215], v[198:199], v[202:203] op_sel:[0,0,1] op_sel_hi:[1,1,0] neg_lo:[0,0,1] neg_hi:[0,0,1]
	v_pk_fma_f32 v[202:203], v[214:215], v[198:199], v[202:203] op_sel:[0,0,1] op_sel_hi:[1,0,0]
	v_mov_b32_e32 v213, v203
	s_delay_alu instid0(VALU_DEP_1) | instskip(SKIP_4) | instid1(VALU_DEP_2)
	v_pk_add_f32 v[238:239], v[238:239], v[212:213] neg_lo:[0,1] neg_hi:[0,1]
	ds_load_2addr_b64 v[212:215], v236 offset0:60 offset1:61
	s_wait_dscnt 0x0
	v_dual_mul_f32 v202, v213, v201 :: v_dual_mul_f32 v216, v213, v198
	v_pk_mul_f32 v[200:201], v[214:215], v[200:201] op_sel:[0,1]
	v_pk_fma_f32 v[202:203], v[212:213], v[204:205], v[202:203] op_sel_hi:[1,1,0] neg_lo:[0,0,1] neg_hi:[0,0,1]
	s_delay_alu instid0(VALU_DEP_3) | instskip(NEXT) | instid1(VALU_DEP_1)
	v_pk_fma_f32 v[212:213], v[212:213], v[204:205], v[216:217] op_sel:[1,0,0] op_sel_hi:[0,1,0]
	v_mov_b32_e32 v203, v213
	s_delay_alu instid0(VALU_DEP_1) | instskip(SKIP_2) | instid1(VALU_DEP_1)
	v_pk_add_f32 v[246:247], v[246:247], v[202:203] neg_lo:[0,1] neg_hi:[0,1]
	v_pk_fma_f32 v[202:203], v[214:215], v[198:199], v[200:201] op_sel:[0,0,1] op_sel_hi:[1,1,0] neg_lo:[0,0,1] neg_hi:[0,0,1]
	v_pk_fma_f32 v[198:199], v[214:215], v[198:199], v[200:201] op_sel:[0,0,1] op_sel_hi:[1,0,0]
	v_mov_b32_e32 v203, v199
	s_delay_alu instid0(VALU_DEP_1)
	v_pk_add_f32 v[248:249], v[248:249], v[202:203] neg_lo:[0,1] neg_hi:[0,1]
.LBB123_469:
	s_or_b32 exec_lo, exec_lo, s1
	s_delay_alu instid0(SALU_CYCLE_1)
	s_mov_b32 s2, exec_lo
	s_wait_dscnt 0x0
	s_barrier_signal -1
	s_barrier_wait -1
	v_cmpx_eq_u32_e32 52, v234
	s_cbranch_execz .LBB123_476
; %bb.470:
	ds_store_b64 v235, v[228:229]
	ds_store_2addr_b64 v236, v[224:225], v[226:227] offset0:53 offset1:54
	ds_store_2addr_b64 v236, v[222:223], v[244:245] offset0:55 offset1:56
	;; [unrolled: 1-line block ×4, first 2 shown]
	ds_store_b64 v236, v[248:249] offset:488
	ds_load_b64 v[198:199], v235
	s_wait_dscnt 0x0
	v_cmp_neq_f32_e32 vcc_lo, 0, v198
	v_cmp_neq_f32_e64 s1, 0, v199
	s_or_b32 s1, vcc_lo, s1
	s_delay_alu instid0(SALU_CYCLE_1)
	s_and_b32 exec_lo, exec_lo, s1
	s_cbranch_execz .LBB123_476
; %bb.471:
	v_cmp_ngt_f32_e64 s1, |v198|, |v199|
                                        ; implicit-def: $vgpr200_vgpr201
	s_and_saveexec_b32 s4, s1
	s_delay_alu instid0(SALU_CYCLE_1)
	s_xor_b32 s1, exec_lo, s4
	s_cbranch_execz .LBB123_473
; %bb.472:
	v_div_scale_f32 v0, null, v199, v199, v198
	v_div_scale_f32 v201, vcc_lo, v198, v199, v198
	s_delay_alu instid0(VALU_DEP_2) | instskip(SKIP_1) | instid1(TRANS32_DEP_1)
	v_rcp_f32_e32 v1, v0
	v_nop
	v_fma_f32 v200, -v0, v1, 1.0
	s_delay_alu instid0(VALU_DEP_1) | instskip(NEXT) | instid1(VALU_DEP_1)
	v_fmac_f32_e32 v1, v200, v1
	v_mul_f32_e32 v200, v201, v1
	s_delay_alu instid0(VALU_DEP_1) | instskip(NEXT) | instid1(VALU_DEP_1)
	v_fma_f32 v202, -v0, v200, v201
	v_fmac_f32_e32 v200, v202, v1
	s_delay_alu instid0(VALU_DEP_1) | instskip(NEXT) | instid1(VALU_DEP_1)
	v_fma_f32 v0, -v0, v200, v201
	v_div_fmas_f32 v0, v0, v1, v200
	s_delay_alu instid0(VALU_DEP_1) | instskip(NEXT) | instid1(VALU_DEP_1)
	v_div_fixup_f32 v0, v0, v199, v198
	v_fmac_f32_e32 v199, v198, v0
	s_delay_alu instid0(VALU_DEP_1) | instskip(SKIP_1) | instid1(VALU_DEP_2)
	v_div_scale_f32 v1, null, v199, v199, 1.0
	v_div_scale_f32 v201, vcc_lo, 1.0, v199, 1.0
	v_rcp_f32_e32 v198, v1
	v_nop
	s_delay_alu instid0(TRANS32_DEP_1) | instskip(NEXT) | instid1(VALU_DEP_1)
	v_fma_f32 v200, -v1, v198, 1.0
	v_fmac_f32_e32 v198, v200, v198
	s_delay_alu instid0(VALU_DEP_1) | instskip(NEXT) | instid1(VALU_DEP_1)
	v_mul_f32_e32 v200, v201, v198
	v_fma_f32 v202, -v1, v200, v201
	s_delay_alu instid0(VALU_DEP_1) | instskip(NEXT) | instid1(VALU_DEP_1)
	v_fmac_f32_e32 v200, v202, v198
	v_fma_f32 v1, -v1, v200, v201
	s_delay_alu instid0(VALU_DEP_1) | instskip(NEXT) | instid1(VALU_DEP_1)
	v_div_fmas_f32 v1, v1, v198, v200
	v_div_fixup_f32 v1, v1, v199, 1.0
                                        ; implicit-def: $vgpr198_vgpr199
	s_delay_alu instid0(VALU_DEP_1)
	v_mul_f32_e32 v200, v0, v1
	v_xor_b32_e32 v201, 0x80000000, v1
.LBB123_473:
	s_and_not1_saveexec_b32 s1, s1
	s_cbranch_execz .LBB123_475
; %bb.474:
	v_div_scale_f32 v0, null, v198, v198, v199
	v_div_scale_f32 v201, vcc_lo, v199, v198, v199
	s_delay_alu instid0(VALU_DEP_2) | instskip(SKIP_1) | instid1(TRANS32_DEP_1)
	v_rcp_f32_e32 v1, v0
	v_nop
	v_fma_f32 v200, -v0, v1, 1.0
	s_delay_alu instid0(VALU_DEP_1) | instskip(NEXT) | instid1(VALU_DEP_1)
	v_fmac_f32_e32 v1, v200, v1
	v_mul_f32_e32 v200, v201, v1
	s_delay_alu instid0(VALU_DEP_1) | instskip(NEXT) | instid1(VALU_DEP_1)
	v_fma_f32 v202, -v0, v200, v201
	v_fmac_f32_e32 v200, v202, v1
	s_delay_alu instid0(VALU_DEP_1) | instskip(NEXT) | instid1(VALU_DEP_1)
	v_fma_f32 v0, -v0, v200, v201
	v_div_fmas_f32 v0, v0, v1, v200
	s_delay_alu instid0(VALU_DEP_1) | instskip(NEXT) | instid1(VALU_DEP_1)
	v_div_fixup_f32 v0, v0, v198, v199
	v_fmac_f32_e32 v198, v199, v0
	s_delay_alu instid0(VALU_DEP_1) | instskip(NEXT) | instid1(VALU_DEP_1)
	v_div_scale_f32 v1, null, v198, v198, 1.0
	v_rcp_f32_e32 v199, v1
	v_nop
	s_delay_alu instid0(TRANS32_DEP_1) | instskip(NEXT) | instid1(VALU_DEP_1)
	v_fma_f32 v200, -v1, v199, 1.0
	v_fmac_f32_e32 v199, v200, v199
	v_div_scale_f32 v200, vcc_lo, 1.0, v198, 1.0
	s_delay_alu instid0(VALU_DEP_1) | instskip(NEXT) | instid1(VALU_DEP_1)
	v_mul_f32_e32 v201, v200, v199
	v_fma_f32 v202, -v1, v201, v200
	s_delay_alu instid0(VALU_DEP_1) | instskip(NEXT) | instid1(VALU_DEP_1)
	v_fmac_f32_e32 v201, v202, v199
	v_fma_f32 v1, -v1, v201, v200
	s_delay_alu instid0(VALU_DEP_1) | instskip(NEXT) | instid1(VALU_DEP_1)
	v_div_fmas_f32 v1, v1, v199, v201
	v_div_fixup_f32 v200, v1, v198, 1.0
	s_delay_alu instid0(VALU_DEP_1)
	v_mul_f32_e64 v201, v0, -v200
.LBB123_475:
	s_or_b32 exec_lo, exec_lo, s1
	ds_store_b64 v235, v[200:201]
.LBB123_476:
	s_or_b32 exec_lo, exec_lo, s2
	s_wait_dscnt 0x0
	s_barrier_signal -1
	s_barrier_wait -1
	ds_load_b64 v[198:199], v235
	s_mov_b32 s1, exec_lo
	v_cmpx_lt_u32_e32 52, v234
	s_cbranch_execz .LBB123_478
; %bb.477:
	ds_load_2addr_b64 v[212:215], v236 offset0:53 offset1:54
	s_wait_dscnt 0x1
	v_pk_mul_f32 v[202:203], v[198:199], v[228:229] op_sel:[1,1] op_sel_hi:[0,1]
	s_delay_alu instid0(VALU_DEP_1) | instskip(SKIP_1) | instid1(VALU_DEP_1)
	v_pk_fma_f32 v[200:201], v[198:199], v[228:229], v[202:203] op_sel_hi:[1,0,1] neg_lo:[0,0,1] neg_hi:[0,0,1]
	v_pk_fma_f32 v[202:203], v[198:199], v[228:229], v[202:203] op_sel_hi:[1,0,1]
	v_dual_mov_b32 v228, v200 :: v_dual_mov_b32 v229, v203
	s_wait_dscnt 0x0
	s_delay_alu instid0(VALU_DEP_2) | instskip(NEXT) | instid1(VALU_DEP_1)
	v_pk_mul_f32 v[216:217], v[212:213], v[202:203] op_sel:[0,1]
	v_pk_fma_f32 v[218:219], v[212:213], v[200:201], v[216:217] op_sel:[0,0,1] op_sel_hi:[1,1,0] neg_lo:[0,0,1] neg_hi:[0,0,1]
	v_pk_fma_f32 v[212:213], v[212:213], v[200:201], v[216:217] op_sel:[0,0,1] op_sel_hi:[1,0,0]
	s_delay_alu instid0(VALU_DEP_1) | instskip(SKIP_1) | instid1(VALU_DEP_1)
	v_mov_b32_e32 v219, v213
	v_pk_mul_f32 v[212:213], v[214:215], v[202:203] op_sel:[0,1]
	v_pk_fma_f32 v[216:217], v[214:215], v[200:201], v[212:213] op_sel:[0,0,1] op_sel_hi:[1,1,0] neg_lo:[0,0,1] neg_hi:[0,0,1]
	v_pk_fma_f32 v[212:213], v[214:215], v[200:201], v[212:213] op_sel:[0,0,1] op_sel_hi:[1,0,0]
	s_delay_alu instid0(VALU_DEP_1)
	v_mov_b32_e32 v217, v213
	ds_load_2addr_b64 v[212:215], v236 offset0:55 offset1:56
	v_pk_add_f32 v[224:225], v[224:225], v[218:219] neg_lo:[0,1] neg_hi:[0,1]
	v_pk_add_f32 v[226:227], v[226:227], v[216:217] neg_lo:[0,1] neg_hi:[0,1]
	s_wait_dscnt 0x0
	v_pk_mul_f32 v[216:217], v[212:213], v[202:203] op_sel:[0,1]
	s_delay_alu instid0(VALU_DEP_1) | instskip(SKIP_2) | instid1(VALU_DEP_2)
	v_pk_fma_f32 v[218:219], v[212:213], v[200:201], v[216:217] op_sel:[0,0,1] op_sel_hi:[1,1,0] neg_lo:[0,0,1] neg_hi:[0,0,1]
	v_pk_fma_f32 v[212:213], v[212:213], v[200:201], v[216:217] op_sel:[0,0,1] op_sel_hi:[1,0,0]
	v_dual_mul_f32 v216, v215, v203 :: v_dual_mov_b32 v212, v215
	v_dual_mov_b32 v219, v213 :: v_dual_mov_b32 v213, v214
	s_delay_alu instid0(VALU_DEP_2) | instskip(SKIP_1) | instid1(VALU_DEP_3)
	v_pk_fma_f32 v[216:217], v[214:215], v[228:229], v[216:217] op_sel_hi:[1,1,0] neg_lo:[0,0,1] neg_hi:[0,0,1]
	v_mul_f32_e32 v214, v215, v200
	v_pk_add_f32 v[222:223], v[222:223], v[218:219] neg_lo:[0,1] neg_hi:[0,1]
	s_delay_alu instid0(VALU_DEP_2) | instskip(NEXT) | instid1(VALU_DEP_1)
	v_pk_fma_f32 v[212:213], v[212:213], v[228:229], v[214:215] op_sel_hi:[1,1,0]
	v_mov_b32_e32 v217, v213
	ds_load_2addr_b64 v[212:215], v236 offset0:57 offset1:58
	v_pk_add_f32 v[244:245], v[244:245], v[216:217] neg_lo:[0,1] neg_hi:[0,1]
	s_wait_dscnt 0x0
	v_pk_mul_f32 v[216:217], v[212:213], v[202:203] op_sel:[0,1]
	s_delay_alu instid0(VALU_DEP_1) | instskip(SKIP_1) | instid1(VALU_DEP_1)
	v_pk_fma_f32 v[218:219], v[212:213], v[200:201], v[216:217] op_sel:[0,0,1] op_sel_hi:[1,1,0] neg_lo:[0,0,1] neg_hi:[0,0,1]
	v_pk_fma_f32 v[212:213], v[212:213], v[200:201], v[216:217] op_sel:[0,0,1] op_sel_hi:[1,0,0]
	v_mov_b32_e32 v219, v213
	v_pk_mul_f32 v[212:213], v[214:215], v[202:203] op_sel:[0,1]
	s_delay_alu instid0(VALU_DEP_1) | instskip(SKIP_1) | instid1(VALU_DEP_1)
	v_pk_fma_f32 v[216:217], v[214:215], v[200:201], v[212:213] op_sel:[0,0,1] op_sel_hi:[1,1,0] neg_lo:[0,0,1] neg_hi:[0,0,1]
	v_pk_fma_f32 v[212:213], v[214:215], v[200:201], v[212:213] op_sel:[0,0,1] op_sel_hi:[1,0,0]
	v_mov_b32_e32 v217, v213
	ds_load_2addr_b64 v[212:215], v236 offset0:59 offset1:60
	v_pk_add_f32 v[240:241], v[240:241], v[218:219] neg_lo:[0,1] neg_hi:[0,1]
	v_pk_add_f32 v[242:243], v[242:243], v[216:217] neg_lo:[0,1] neg_hi:[0,1]
	s_wait_dscnt 0x0
	v_pk_mul_f32 v[216:217], v[212:213], v[202:203] op_sel:[0,1]
	s_delay_alu instid0(VALU_DEP_1) | instskip(SKIP_1) | instid1(VALU_DEP_1)
	v_pk_fma_f32 v[218:219], v[212:213], v[200:201], v[216:217] op_sel:[0,0,1] op_sel_hi:[1,1,0] neg_lo:[0,0,1] neg_hi:[0,0,1]
	v_pk_fma_f32 v[212:213], v[212:213], v[200:201], v[216:217] op_sel:[0,0,1] op_sel_hi:[1,0,0]
	v_mov_b32_e32 v219, v213
	v_pk_mul_f32 v[212:213], v[214:215], v[202:203] op_sel:[0,1]
	s_delay_alu instid0(VALU_DEP_1) | instskip(SKIP_1) | instid1(VALU_DEP_1)
	v_pk_fma_f32 v[216:217], v[214:215], v[200:201], v[212:213] op_sel:[0,0,1] op_sel_hi:[1,1,0] neg_lo:[0,0,1] neg_hi:[0,0,1]
	v_pk_fma_f32 v[212:213], v[214:215], v[200:201], v[212:213] op_sel:[0,0,1] op_sel_hi:[1,0,0]
	v_mov_b32_e32 v217, v213
	ds_load_b64 v[212:213], v236 offset:488
	v_pk_add_f32 v[238:239], v[238:239], v[218:219] neg_lo:[0,1] neg_hi:[0,1]
	v_pk_add_f32 v[246:247], v[246:247], v[216:217] neg_lo:[0,1] neg_hi:[0,1]
	s_wait_dscnt 0x0
	v_pk_mul_f32 v[202:203], v[212:213], v[202:203] op_sel:[0,1]
	s_delay_alu instid0(VALU_DEP_1) | instskip(SKIP_1) | instid1(VALU_DEP_1)
	v_pk_fma_f32 v[214:215], v[212:213], v[200:201], v[202:203] op_sel:[0,0,1] op_sel_hi:[1,1,0] neg_lo:[0,0,1] neg_hi:[0,0,1]
	v_pk_fma_f32 v[200:201], v[212:213], v[200:201], v[202:203] op_sel:[0,0,1] op_sel_hi:[1,0,0]
	v_mov_b32_e32 v215, v201
	s_delay_alu instid0(VALU_DEP_1)
	v_pk_add_f32 v[248:249], v[248:249], v[214:215] neg_lo:[0,1] neg_hi:[0,1]
.LBB123_478:
	s_or_b32 exec_lo, exec_lo, s1
	s_delay_alu instid0(SALU_CYCLE_1)
	s_mov_b32 s2, exec_lo
	s_wait_dscnt 0x0
	s_barrier_signal -1
	s_barrier_wait -1
	v_cmpx_eq_u32_e32 53, v234
	s_cbranch_execz .LBB123_485
; %bb.479:
	v_dual_mov_b32 v200, v226 :: v_dual_mov_b32 v201, v227
	v_dual_mov_b32 v202, v222 :: v_dual_mov_b32 v203, v223
	ds_store_b64 v235, v[224:225]
	ds_store_2addr_b64 v236, v[200:201], v[202:203] offset0:54 offset1:55
	v_dual_mov_b32 v200, v244 :: v_dual_mov_b32 v201, v245
	v_dual_mov_b32 v202, v240 :: v_dual_mov_b32 v203, v241
	ds_store_2addr_b64 v236, v[200:201], v[202:203] offset0:56 offset1:57
	v_dual_mov_b32 v200, v242 :: v_dual_mov_b32 v201, v243
	v_dual_mov_b32 v202, v238 :: v_dual_mov_b32 v203, v239
	ds_store_2addr_b64 v236, v[200:201], v[202:203] offset0:58 offset1:59
	v_dual_mov_b32 v200, v246 :: v_dual_mov_b32 v201, v247
	ds_store_2addr_b64 v236, v[200:201], v[248:249] offset0:60 offset1:61
	ds_load_b64 v[200:201], v235
	s_wait_dscnt 0x0
	v_cmp_neq_f32_e32 vcc_lo, 0, v200
	v_cmp_neq_f32_e64 s1, 0, v201
	s_or_b32 s1, vcc_lo, s1
	s_delay_alu instid0(SALU_CYCLE_1)
	s_and_b32 exec_lo, exec_lo, s1
	s_cbranch_execz .LBB123_485
; %bb.480:
	v_cmp_ngt_f32_e64 s1, |v200|, |v201|
                                        ; implicit-def: $vgpr202_vgpr203
	s_and_saveexec_b32 s4, s1
	s_delay_alu instid0(SALU_CYCLE_1)
	s_xor_b32 s1, exec_lo, s4
	s_cbranch_execz .LBB123_482
; %bb.481:
	v_div_scale_f32 v0, null, v201, v201, v200
	v_div_scale_f32 v203, vcc_lo, v200, v201, v200
	s_delay_alu instid0(VALU_DEP_2) | instskip(SKIP_1) | instid1(TRANS32_DEP_1)
	v_rcp_f32_e32 v1, v0
	v_nop
	v_fma_f32 v202, -v0, v1, 1.0
	s_delay_alu instid0(VALU_DEP_1) | instskip(NEXT) | instid1(VALU_DEP_1)
	v_fmac_f32_e32 v1, v202, v1
	v_mul_f32_e32 v202, v203, v1
	s_delay_alu instid0(VALU_DEP_1) | instskip(NEXT) | instid1(VALU_DEP_1)
	v_fma_f32 v212, -v0, v202, v203
	v_fmac_f32_e32 v202, v212, v1
	s_delay_alu instid0(VALU_DEP_1) | instskip(NEXT) | instid1(VALU_DEP_1)
	v_fma_f32 v0, -v0, v202, v203
	v_div_fmas_f32 v0, v0, v1, v202
	s_delay_alu instid0(VALU_DEP_1) | instskip(NEXT) | instid1(VALU_DEP_1)
	v_div_fixup_f32 v0, v0, v201, v200
	v_fmac_f32_e32 v201, v200, v0
	s_delay_alu instid0(VALU_DEP_1) | instskip(SKIP_1) | instid1(VALU_DEP_2)
	v_div_scale_f32 v1, null, v201, v201, 1.0
	v_div_scale_f32 v203, vcc_lo, 1.0, v201, 1.0
	v_rcp_f32_e32 v200, v1
	v_nop
	s_delay_alu instid0(TRANS32_DEP_1) | instskip(NEXT) | instid1(VALU_DEP_1)
	v_fma_f32 v202, -v1, v200, 1.0
	v_fmac_f32_e32 v200, v202, v200
	s_delay_alu instid0(VALU_DEP_1) | instskip(NEXT) | instid1(VALU_DEP_1)
	v_mul_f32_e32 v202, v203, v200
	v_fma_f32 v212, -v1, v202, v203
	s_delay_alu instid0(VALU_DEP_1) | instskip(NEXT) | instid1(VALU_DEP_1)
	v_fmac_f32_e32 v202, v212, v200
	v_fma_f32 v1, -v1, v202, v203
	s_delay_alu instid0(VALU_DEP_1) | instskip(NEXT) | instid1(VALU_DEP_1)
	v_div_fmas_f32 v1, v1, v200, v202
	v_div_fixup_f32 v1, v1, v201, 1.0
                                        ; implicit-def: $vgpr200_vgpr201
	s_delay_alu instid0(VALU_DEP_1)
	v_mul_f32_e32 v202, v0, v1
	v_xor_b32_e32 v203, 0x80000000, v1
.LBB123_482:
	s_and_not1_saveexec_b32 s1, s1
	s_cbranch_execz .LBB123_484
; %bb.483:
	v_div_scale_f32 v0, null, v200, v200, v201
	v_div_scale_f32 v203, vcc_lo, v201, v200, v201
	s_delay_alu instid0(VALU_DEP_2) | instskip(SKIP_1) | instid1(TRANS32_DEP_1)
	v_rcp_f32_e32 v1, v0
	v_nop
	v_fma_f32 v202, -v0, v1, 1.0
	s_delay_alu instid0(VALU_DEP_1) | instskip(NEXT) | instid1(VALU_DEP_1)
	v_fmac_f32_e32 v1, v202, v1
	v_mul_f32_e32 v202, v203, v1
	s_delay_alu instid0(VALU_DEP_1) | instskip(NEXT) | instid1(VALU_DEP_1)
	v_fma_f32 v212, -v0, v202, v203
	v_fmac_f32_e32 v202, v212, v1
	s_delay_alu instid0(VALU_DEP_1) | instskip(NEXT) | instid1(VALU_DEP_1)
	v_fma_f32 v0, -v0, v202, v203
	v_div_fmas_f32 v0, v0, v1, v202
	s_delay_alu instid0(VALU_DEP_1) | instskip(NEXT) | instid1(VALU_DEP_1)
	v_div_fixup_f32 v0, v0, v200, v201
	v_fmac_f32_e32 v200, v201, v0
	s_delay_alu instid0(VALU_DEP_1) | instskip(NEXT) | instid1(VALU_DEP_1)
	v_div_scale_f32 v1, null, v200, v200, 1.0
	v_rcp_f32_e32 v201, v1
	v_nop
	s_delay_alu instid0(TRANS32_DEP_1) | instskip(NEXT) | instid1(VALU_DEP_1)
	v_fma_f32 v202, -v1, v201, 1.0
	v_fmac_f32_e32 v201, v202, v201
	v_div_scale_f32 v202, vcc_lo, 1.0, v200, 1.0
	s_delay_alu instid0(VALU_DEP_1) | instskip(NEXT) | instid1(VALU_DEP_1)
	v_mul_f32_e32 v203, v202, v201
	v_fma_f32 v212, -v1, v203, v202
	s_delay_alu instid0(VALU_DEP_1) | instskip(NEXT) | instid1(VALU_DEP_1)
	v_fmac_f32_e32 v203, v212, v201
	v_fma_f32 v1, -v1, v203, v202
	s_delay_alu instid0(VALU_DEP_1) | instskip(NEXT) | instid1(VALU_DEP_1)
	v_div_fmas_f32 v1, v1, v201, v203
	v_div_fixup_f32 v202, v1, v200, 1.0
	s_delay_alu instid0(VALU_DEP_1)
	v_mul_f32_e64 v203, v0, -v202
.LBB123_484:
	s_or_b32 exec_lo, exec_lo, s1
	ds_store_b64 v235, v[202:203]
.LBB123_485:
	s_or_b32 exec_lo, exec_lo, s2
	s_wait_dscnt 0x0
	s_barrier_signal -1
	s_barrier_wait -1
	ds_load_b64 v[200:201], v235
	s_mov_b32 s1, exec_lo
	v_cmpx_lt_u32_e32 53, v234
	s_cbranch_execz .LBB123_487
; %bb.486:
	ds_load_2addr_b64 v[214:217], v236 offset0:54 offset1:55
	s_wait_dscnt 0x1
	v_pk_mul_f32 v[212:213], v[200:201], v[224:225] op_sel:[1,1] op_sel_hi:[0,1]
	s_delay_alu instid0(VALU_DEP_1) | instskip(SKIP_1) | instid1(VALU_DEP_1)
	v_pk_fma_f32 v[202:203], v[200:201], v[224:225], v[212:213] op_sel_hi:[1,0,1] neg_lo:[0,0,1] neg_hi:[0,0,1]
	v_pk_fma_f32 v[212:213], v[200:201], v[224:225], v[212:213] op_sel_hi:[1,0,1]
	v_dual_mov_b32 v224, v202 :: v_dual_mov_b32 v225, v213
	s_wait_dscnt 0x0
	s_delay_alu instid0(VALU_DEP_2) | instskip(NEXT) | instid1(VALU_DEP_1)
	v_pk_mul_f32 v[218:219], v[214:215], v[212:213] op_sel:[0,1]
	v_pk_fma_f32 v[220:221], v[214:215], v[202:203], v[218:219] op_sel:[0,0,1] op_sel_hi:[1,1,0] neg_lo:[0,0,1] neg_hi:[0,0,1]
	v_pk_fma_f32 v[214:215], v[214:215], v[202:203], v[218:219] op_sel:[0,0,1] op_sel_hi:[1,0,0]
	s_delay_alu instid0(VALU_DEP_1) | instskip(SKIP_1) | instid1(VALU_DEP_1)
	v_mov_b32_e32 v221, v215
	v_pk_mul_f32 v[214:215], v[216:217], v[212:213] op_sel:[0,1]
	v_pk_fma_f32 v[218:219], v[216:217], v[202:203], v[214:215] op_sel:[0,0,1] op_sel_hi:[1,1,0] neg_lo:[0,0,1] neg_hi:[0,0,1]
	v_pk_fma_f32 v[214:215], v[216:217], v[202:203], v[214:215] op_sel:[0,0,1] op_sel_hi:[1,0,0]
	s_delay_alu instid0(VALU_DEP_1)
	v_mov_b32_e32 v219, v215
	ds_load_2addr_b64 v[214:217], v236 offset0:56 offset1:57
	v_pk_add_f32 v[226:227], v[226:227], v[220:221] neg_lo:[0,1] neg_hi:[0,1]
	v_pk_add_f32 v[222:223], v[222:223], v[218:219] neg_lo:[0,1] neg_hi:[0,1]
	s_wait_dscnt 0x0
	v_pk_mul_f32 v[218:219], v[214:215], v[212:213] op_sel:[0,1]
	s_delay_alu instid0(VALU_DEP_1) | instskip(SKIP_2) | instid1(VALU_DEP_2)
	v_pk_fma_f32 v[220:221], v[214:215], v[202:203], v[218:219] op_sel:[0,0,1] op_sel_hi:[1,1,0] neg_lo:[0,0,1] neg_hi:[0,0,1]
	v_pk_fma_f32 v[214:215], v[214:215], v[202:203], v[218:219] op_sel:[0,0,1] op_sel_hi:[1,0,0]
	v_dual_mul_f32 v218, v217, v213 :: v_dual_mov_b32 v214, v217
	v_dual_mov_b32 v221, v215 :: v_dual_mov_b32 v215, v216
	s_delay_alu instid0(VALU_DEP_2) | instskip(SKIP_1) | instid1(VALU_DEP_3)
	v_pk_fma_f32 v[218:219], v[216:217], v[224:225], v[218:219] op_sel_hi:[1,1,0] neg_lo:[0,0,1] neg_hi:[0,0,1]
	v_mul_f32_e32 v216, v217, v202
	v_pk_add_f32 v[244:245], v[244:245], v[220:221] neg_lo:[0,1] neg_hi:[0,1]
	s_delay_alu instid0(VALU_DEP_2) | instskip(NEXT) | instid1(VALU_DEP_1)
	v_pk_fma_f32 v[214:215], v[214:215], v[224:225], v[216:217] op_sel_hi:[1,1,0]
	v_mov_b32_e32 v219, v215
	ds_load_2addr_b64 v[214:217], v236 offset0:58 offset1:59
	v_pk_add_f32 v[240:241], v[240:241], v[218:219] neg_lo:[0,1] neg_hi:[0,1]
	s_wait_dscnt 0x0
	v_pk_mul_f32 v[218:219], v[214:215], v[212:213] op_sel:[0,1]
	s_delay_alu instid0(VALU_DEP_1) | instskip(SKIP_1) | instid1(VALU_DEP_1)
	v_pk_fma_f32 v[220:221], v[214:215], v[202:203], v[218:219] op_sel:[0,0,1] op_sel_hi:[1,1,0] neg_lo:[0,0,1] neg_hi:[0,0,1]
	v_pk_fma_f32 v[214:215], v[214:215], v[202:203], v[218:219] op_sel:[0,0,1] op_sel_hi:[1,0,0]
	v_mov_b32_e32 v221, v215
	v_pk_mul_f32 v[214:215], v[216:217], v[212:213] op_sel:[0,1]
	s_delay_alu instid0(VALU_DEP_1) | instskip(SKIP_1) | instid1(VALU_DEP_1)
	v_pk_fma_f32 v[218:219], v[216:217], v[202:203], v[214:215] op_sel:[0,0,1] op_sel_hi:[1,1,0] neg_lo:[0,0,1] neg_hi:[0,0,1]
	v_pk_fma_f32 v[214:215], v[216:217], v[202:203], v[214:215] op_sel:[0,0,1] op_sel_hi:[1,0,0]
	v_mov_b32_e32 v219, v215
	ds_load_2addr_b64 v[214:217], v236 offset0:60 offset1:61
	v_pk_add_f32 v[242:243], v[242:243], v[220:221] neg_lo:[0,1] neg_hi:[0,1]
	v_pk_add_f32 v[238:239], v[238:239], v[218:219] neg_lo:[0,1] neg_hi:[0,1]
	s_wait_dscnt 0x0
	v_pk_mul_f32 v[218:219], v[214:215], v[212:213] op_sel:[0,1]
	v_pk_mul_f32 v[212:213], v[216:217], v[212:213] op_sel:[0,1]
	s_delay_alu instid0(VALU_DEP_2) | instskip(SKIP_1) | instid1(VALU_DEP_1)
	v_pk_fma_f32 v[220:221], v[214:215], v[202:203], v[218:219] op_sel:[0,0,1] op_sel_hi:[1,1,0] neg_lo:[0,0,1] neg_hi:[0,0,1]
	v_pk_fma_f32 v[214:215], v[214:215], v[202:203], v[218:219] op_sel:[0,0,1] op_sel_hi:[1,0,0]
	v_mov_b32_e32 v221, v215
	s_delay_alu instid0(VALU_DEP_4) | instskip(SKIP_1) | instid1(VALU_DEP_1)
	v_pk_fma_f32 v[214:215], v[216:217], v[202:203], v[212:213] op_sel:[0,0,1] op_sel_hi:[1,1,0] neg_lo:[0,0,1] neg_hi:[0,0,1]
	v_pk_fma_f32 v[202:203], v[216:217], v[202:203], v[212:213] op_sel:[0,0,1] op_sel_hi:[1,0,0]
	v_mov_b32_e32 v215, v203
	s_delay_alu instid0(VALU_DEP_4) | instskip(NEXT) | instid1(VALU_DEP_2)
	v_pk_add_f32 v[246:247], v[246:247], v[220:221] neg_lo:[0,1] neg_hi:[0,1]
	v_pk_add_f32 v[248:249], v[248:249], v[214:215] neg_lo:[0,1] neg_hi:[0,1]
.LBB123_487:
	s_or_b32 exec_lo, exec_lo, s1
	s_delay_alu instid0(SALU_CYCLE_1)
	s_mov_b32 s2, exec_lo
	s_wait_dscnt 0x0
	s_barrier_signal -1
	s_barrier_wait -1
	v_cmpx_eq_u32_e32 54, v234
	s_cbranch_execz .LBB123_494
; %bb.488:
	ds_store_b64 v235, v[226:227]
	ds_store_2addr_b64 v236, v[222:223], v[244:245] offset0:55 offset1:56
	ds_store_2addr_b64 v236, v[240:241], v[242:243] offset0:57 offset1:58
	ds_store_2addr_b64 v236, v[238:239], v[246:247] offset0:59 offset1:60
	ds_store_b64 v236, v[248:249] offset:488
	ds_load_b64 v[202:203], v235
	s_wait_dscnt 0x0
	v_cmp_neq_f32_e32 vcc_lo, 0, v202
	v_cmp_neq_f32_e64 s1, 0, v203
	s_or_b32 s1, vcc_lo, s1
	s_delay_alu instid0(SALU_CYCLE_1)
	s_and_b32 exec_lo, exec_lo, s1
	s_cbranch_execz .LBB123_494
; %bb.489:
	v_cmp_ngt_f32_e64 s1, |v202|, |v203|
                                        ; implicit-def: $vgpr212_vgpr213
	s_and_saveexec_b32 s4, s1
	s_delay_alu instid0(SALU_CYCLE_1)
	s_xor_b32 s1, exec_lo, s4
	s_cbranch_execz .LBB123_491
; %bb.490:
	v_div_scale_f32 v0, null, v203, v203, v202
	v_div_scale_f32 v213, vcc_lo, v202, v203, v202
	s_delay_alu instid0(VALU_DEP_2) | instskip(SKIP_1) | instid1(TRANS32_DEP_1)
	v_rcp_f32_e32 v1, v0
	v_nop
	v_fma_f32 v212, -v0, v1, 1.0
	s_delay_alu instid0(VALU_DEP_1) | instskip(NEXT) | instid1(VALU_DEP_1)
	v_fmac_f32_e32 v1, v212, v1
	v_mul_f32_e32 v212, v213, v1
	s_delay_alu instid0(VALU_DEP_1) | instskip(NEXT) | instid1(VALU_DEP_1)
	v_fma_f32 v214, -v0, v212, v213
	v_fmac_f32_e32 v212, v214, v1
	s_delay_alu instid0(VALU_DEP_1) | instskip(NEXT) | instid1(VALU_DEP_1)
	v_fma_f32 v0, -v0, v212, v213
	v_div_fmas_f32 v0, v0, v1, v212
	s_delay_alu instid0(VALU_DEP_1) | instskip(NEXT) | instid1(VALU_DEP_1)
	v_div_fixup_f32 v0, v0, v203, v202
	v_fmac_f32_e32 v203, v202, v0
	s_delay_alu instid0(VALU_DEP_1) | instskip(SKIP_1) | instid1(VALU_DEP_2)
	v_div_scale_f32 v1, null, v203, v203, 1.0
	v_div_scale_f32 v213, vcc_lo, 1.0, v203, 1.0
	v_rcp_f32_e32 v202, v1
	v_nop
	s_delay_alu instid0(TRANS32_DEP_1) | instskip(NEXT) | instid1(VALU_DEP_1)
	v_fma_f32 v212, -v1, v202, 1.0
	v_fmac_f32_e32 v202, v212, v202
	s_delay_alu instid0(VALU_DEP_1) | instskip(NEXT) | instid1(VALU_DEP_1)
	v_mul_f32_e32 v212, v213, v202
	v_fma_f32 v214, -v1, v212, v213
	s_delay_alu instid0(VALU_DEP_1) | instskip(NEXT) | instid1(VALU_DEP_1)
	v_fmac_f32_e32 v212, v214, v202
	v_fma_f32 v1, -v1, v212, v213
	s_delay_alu instid0(VALU_DEP_1) | instskip(NEXT) | instid1(VALU_DEP_1)
	v_div_fmas_f32 v1, v1, v202, v212
	v_div_fixup_f32 v1, v1, v203, 1.0
                                        ; implicit-def: $vgpr202_vgpr203
	s_delay_alu instid0(VALU_DEP_1)
	v_mul_f32_e32 v212, v0, v1
	v_xor_b32_e32 v213, 0x80000000, v1
.LBB123_491:
	s_and_not1_saveexec_b32 s1, s1
	s_cbranch_execz .LBB123_493
; %bb.492:
	v_div_scale_f32 v0, null, v202, v202, v203
	v_div_scale_f32 v213, vcc_lo, v203, v202, v203
	s_delay_alu instid0(VALU_DEP_2) | instskip(SKIP_1) | instid1(TRANS32_DEP_1)
	v_rcp_f32_e32 v1, v0
	v_nop
	v_fma_f32 v212, -v0, v1, 1.0
	s_delay_alu instid0(VALU_DEP_1) | instskip(NEXT) | instid1(VALU_DEP_1)
	v_fmac_f32_e32 v1, v212, v1
	v_mul_f32_e32 v212, v213, v1
	s_delay_alu instid0(VALU_DEP_1) | instskip(NEXT) | instid1(VALU_DEP_1)
	v_fma_f32 v214, -v0, v212, v213
	v_fmac_f32_e32 v212, v214, v1
	s_delay_alu instid0(VALU_DEP_1) | instskip(NEXT) | instid1(VALU_DEP_1)
	v_fma_f32 v0, -v0, v212, v213
	v_div_fmas_f32 v0, v0, v1, v212
	s_delay_alu instid0(VALU_DEP_1) | instskip(NEXT) | instid1(VALU_DEP_1)
	v_div_fixup_f32 v0, v0, v202, v203
	v_fmac_f32_e32 v202, v203, v0
	s_delay_alu instid0(VALU_DEP_1) | instskip(NEXT) | instid1(VALU_DEP_1)
	v_div_scale_f32 v1, null, v202, v202, 1.0
	v_rcp_f32_e32 v203, v1
	v_nop
	s_delay_alu instid0(TRANS32_DEP_1) | instskip(NEXT) | instid1(VALU_DEP_1)
	v_fma_f32 v212, -v1, v203, 1.0
	v_fmac_f32_e32 v203, v212, v203
	v_div_scale_f32 v212, vcc_lo, 1.0, v202, 1.0
	s_delay_alu instid0(VALU_DEP_1) | instskip(NEXT) | instid1(VALU_DEP_1)
	v_mul_f32_e32 v213, v212, v203
	v_fma_f32 v214, -v1, v213, v212
	s_delay_alu instid0(VALU_DEP_1) | instskip(NEXT) | instid1(VALU_DEP_1)
	v_fmac_f32_e32 v213, v214, v203
	v_fma_f32 v1, -v1, v213, v212
	s_delay_alu instid0(VALU_DEP_1) | instskip(NEXT) | instid1(VALU_DEP_1)
	v_div_fmas_f32 v1, v1, v203, v213
	v_div_fixup_f32 v212, v1, v202, 1.0
	s_delay_alu instid0(VALU_DEP_1)
	v_mul_f32_e64 v213, v0, -v212
.LBB123_493:
	s_or_b32 exec_lo, exec_lo, s1
	ds_store_b64 v235, v[212:213]
.LBB123_494:
	s_or_b32 exec_lo, exec_lo, s2
	s_wait_dscnt 0x0
	s_barrier_signal -1
	s_barrier_wait -1
	ds_load_b64 v[202:203], v235
	s_mov_b32 s1, exec_lo
	v_cmpx_lt_u32_e32 54, v234
	s_cbranch_execz .LBB123_496
; %bb.495:
	s_wait_dscnt 0x0
	v_pk_mul_f32 v[214:215], v[202:203], v[226:227] op_sel:[1,1] op_sel_hi:[0,1]
	s_delay_alu instid0(VALU_DEP_1)
	v_pk_fma_f32 v[212:213], v[202:203], v[226:227], v[214:215] op_sel_hi:[1,0,1] neg_lo:[0,0,1] neg_hi:[0,0,1]
	v_pk_fma_f32 v[218:219], v[202:203], v[226:227], v[214:215] op_sel_hi:[1,0,1]
	ds_load_2addr_b64 v[214:217], v236 offset0:55 offset1:56
	v_dual_mov_b32 v226, v212 :: v_dual_mov_b32 v227, v219
	s_wait_dscnt 0x0
	v_pk_mul_f32 v[220:221], v[214:215], v[218:219] op_sel:[0,1]
	s_delay_alu instid0(VALU_DEP_1) | instskip(SKIP_1) | instid1(VALU_DEP_1)
	v_pk_fma_f32 v[230:231], v[214:215], v[212:213], v[220:221] op_sel:[0,0,1] op_sel_hi:[1,1,0] neg_lo:[0,0,1] neg_hi:[0,0,1]
	v_pk_fma_f32 v[214:215], v[214:215], v[212:213], v[220:221] op_sel:[0,0,1] op_sel_hi:[1,0,0]
	v_mov_b32_e32 v231, v215
	v_pk_mul_f32 v[214:215], v[216:217], v[218:219] op_sel:[0,1]
	s_delay_alu instid0(VALU_DEP_1) | instskip(SKIP_1) | instid1(VALU_DEP_1)
	v_pk_fma_f32 v[220:221], v[216:217], v[212:213], v[214:215] op_sel:[0,0,1] op_sel_hi:[1,1,0] neg_lo:[0,0,1] neg_hi:[0,0,1]
	v_pk_fma_f32 v[214:215], v[216:217], v[212:213], v[214:215] op_sel:[0,0,1] op_sel_hi:[1,0,0]
	v_mov_b32_e32 v221, v215
	ds_load_2addr_b64 v[214:217], v236 offset0:57 offset1:58
	v_pk_add_f32 v[222:223], v[222:223], v[230:231] neg_lo:[0,1] neg_hi:[0,1]
	v_pk_add_f32 v[244:245], v[244:245], v[220:221] neg_lo:[0,1] neg_hi:[0,1]
	s_wait_dscnt 0x0
	v_pk_mul_f32 v[220:221], v[214:215], v[218:219] op_sel:[0,1]
	s_delay_alu instid0(VALU_DEP_1) | instskip(SKIP_2) | instid1(VALU_DEP_2)
	v_pk_fma_f32 v[230:231], v[214:215], v[212:213], v[220:221] op_sel:[0,0,1] op_sel_hi:[1,1,0] neg_lo:[0,0,1] neg_hi:[0,0,1]
	v_pk_fma_f32 v[214:215], v[214:215], v[212:213], v[220:221] op_sel:[0,0,1] op_sel_hi:[1,0,0]
	v_dual_mul_f32 v220, v217, v219 :: v_dual_mov_b32 v214, v217
	v_dual_mov_b32 v231, v215 :: v_dual_mov_b32 v215, v216
	s_delay_alu instid0(VALU_DEP_2) | instskip(SKIP_1) | instid1(VALU_DEP_3)
	v_pk_fma_f32 v[220:221], v[216:217], v[226:227], v[220:221] op_sel_hi:[1,1,0] neg_lo:[0,0,1] neg_hi:[0,0,1]
	v_mul_f32_e32 v216, v217, v212
	v_pk_add_f32 v[240:241], v[240:241], v[230:231] neg_lo:[0,1] neg_hi:[0,1]
	s_delay_alu instid0(VALU_DEP_2) | instskip(NEXT) | instid1(VALU_DEP_1)
	v_pk_fma_f32 v[214:215], v[214:215], v[226:227], v[216:217] op_sel_hi:[1,1,0]
	v_mov_b32_e32 v221, v215
	ds_load_2addr_b64 v[214:217], v236 offset0:59 offset1:60
	v_pk_add_f32 v[242:243], v[242:243], v[220:221] neg_lo:[0,1] neg_hi:[0,1]
	s_wait_dscnt 0x0
	v_pk_mul_f32 v[220:221], v[214:215], v[218:219] op_sel:[0,1]
	s_delay_alu instid0(VALU_DEP_1) | instskip(SKIP_1) | instid1(VALU_DEP_1)
	v_pk_fma_f32 v[230:231], v[214:215], v[212:213], v[220:221] op_sel:[0,0,1] op_sel_hi:[1,1,0] neg_lo:[0,0,1] neg_hi:[0,0,1]
	v_pk_fma_f32 v[214:215], v[214:215], v[212:213], v[220:221] op_sel:[0,0,1] op_sel_hi:[1,0,0]
	v_mov_b32_e32 v231, v215
	v_pk_mul_f32 v[214:215], v[216:217], v[218:219] op_sel:[0,1]
	s_delay_alu instid0(VALU_DEP_1) | instskip(SKIP_1) | instid1(VALU_DEP_1)
	v_pk_fma_f32 v[220:221], v[216:217], v[212:213], v[214:215] op_sel:[0,0,1] op_sel_hi:[1,1,0] neg_lo:[0,0,1] neg_hi:[0,0,1]
	v_pk_fma_f32 v[214:215], v[216:217], v[212:213], v[214:215] op_sel:[0,0,1] op_sel_hi:[1,0,0]
	v_mov_b32_e32 v221, v215
	ds_load_b64 v[214:215], v236 offset:488
	v_pk_add_f32 v[238:239], v[238:239], v[230:231] neg_lo:[0,1] neg_hi:[0,1]
	v_pk_add_f32 v[246:247], v[246:247], v[220:221] neg_lo:[0,1] neg_hi:[0,1]
	s_wait_dscnt 0x0
	v_pk_mul_f32 v[216:217], v[214:215], v[218:219] op_sel:[0,1]
	s_delay_alu instid0(VALU_DEP_1) | instskip(SKIP_1) | instid1(VALU_DEP_1)
	v_pk_fma_f32 v[218:219], v[214:215], v[212:213], v[216:217] op_sel:[0,0,1] op_sel_hi:[1,1,0] neg_lo:[0,0,1] neg_hi:[0,0,1]
	v_pk_fma_f32 v[212:213], v[214:215], v[212:213], v[216:217] op_sel:[0,0,1] op_sel_hi:[1,0,0]
	v_mov_b32_e32 v219, v213
	s_delay_alu instid0(VALU_DEP_1)
	v_pk_add_f32 v[248:249], v[248:249], v[218:219] neg_lo:[0,1] neg_hi:[0,1]
.LBB123_496:
	s_or_b32 exec_lo, exec_lo, s1
	s_delay_alu instid0(SALU_CYCLE_1)
	s_mov_b32 s2, exec_lo
	s_wait_dscnt 0x0
	s_barrier_signal -1
	s_barrier_wait -1
	v_cmpx_eq_u32_e32 55, v234
	s_cbranch_execz .LBB123_503
; %bb.497:
	v_dual_mov_b32 v212, v244 :: v_dual_mov_b32 v213, v245
	v_dual_mov_b32 v214, v240 :: v_dual_mov_b32 v215, v241
	ds_store_b64 v235, v[222:223]
	ds_store_2addr_b64 v236, v[212:213], v[214:215] offset0:56 offset1:57
	v_dual_mov_b32 v212, v242 :: v_dual_mov_b32 v213, v243
	v_dual_mov_b32 v214, v238 :: v_dual_mov_b32 v215, v239
	ds_store_2addr_b64 v236, v[212:213], v[214:215] offset0:58 offset1:59
	v_dual_mov_b32 v212, v246 :: v_dual_mov_b32 v213, v247
	ds_store_2addr_b64 v236, v[212:213], v[248:249] offset0:60 offset1:61
	ds_load_b64 v[212:213], v235
	s_wait_dscnt 0x0
	v_cmp_neq_f32_e32 vcc_lo, 0, v212
	v_cmp_neq_f32_e64 s1, 0, v213
	s_or_b32 s1, vcc_lo, s1
	s_delay_alu instid0(SALU_CYCLE_1)
	s_and_b32 exec_lo, exec_lo, s1
	s_cbranch_execz .LBB123_503
; %bb.498:
	v_cmp_ngt_f32_e64 s1, |v212|, |v213|
                                        ; implicit-def: $vgpr214_vgpr215
	s_and_saveexec_b32 s4, s1
	s_delay_alu instid0(SALU_CYCLE_1)
	s_xor_b32 s1, exec_lo, s4
	s_cbranch_execz .LBB123_500
; %bb.499:
	v_div_scale_f32 v0, null, v213, v213, v212
	v_div_scale_f32 v215, vcc_lo, v212, v213, v212
	s_delay_alu instid0(VALU_DEP_2) | instskip(SKIP_1) | instid1(TRANS32_DEP_1)
	v_rcp_f32_e32 v1, v0
	v_nop
	v_fma_f32 v214, -v0, v1, 1.0
	s_delay_alu instid0(VALU_DEP_1) | instskip(NEXT) | instid1(VALU_DEP_1)
	v_fmac_f32_e32 v1, v214, v1
	v_mul_f32_e32 v214, v215, v1
	s_delay_alu instid0(VALU_DEP_1) | instskip(NEXT) | instid1(VALU_DEP_1)
	v_fma_f32 v216, -v0, v214, v215
	v_fmac_f32_e32 v214, v216, v1
	s_delay_alu instid0(VALU_DEP_1) | instskip(NEXT) | instid1(VALU_DEP_1)
	v_fma_f32 v0, -v0, v214, v215
	v_div_fmas_f32 v0, v0, v1, v214
	s_delay_alu instid0(VALU_DEP_1) | instskip(NEXT) | instid1(VALU_DEP_1)
	v_div_fixup_f32 v0, v0, v213, v212
	v_fmac_f32_e32 v213, v212, v0
	s_delay_alu instid0(VALU_DEP_1) | instskip(SKIP_1) | instid1(VALU_DEP_2)
	v_div_scale_f32 v1, null, v213, v213, 1.0
	v_div_scale_f32 v215, vcc_lo, 1.0, v213, 1.0
	v_rcp_f32_e32 v212, v1
	v_nop
	s_delay_alu instid0(TRANS32_DEP_1) | instskip(NEXT) | instid1(VALU_DEP_1)
	v_fma_f32 v214, -v1, v212, 1.0
	v_fmac_f32_e32 v212, v214, v212
	s_delay_alu instid0(VALU_DEP_1) | instskip(NEXT) | instid1(VALU_DEP_1)
	v_mul_f32_e32 v214, v215, v212
	v_fma_f32 v216, -v1, v214, v215
	s_delay_alu instid0(VALU_DEP_1) | instskip(NEXT) | instid1(VALU_DEP_1)
	v_fmac_f32_e32 v214, v216, v212
	v_fma_f32 v1, -v1, v214, v215
	s_delay_alu instid0(VALU_DEP_1) | instskip(NEXT) | instid1(VALU_DEP_1)
	v_div_fmas_f32 v1, v1, v212, v214
	v_div_fixup_f32 v1, v1, v213, 1.0
                                        ; implicit-def: $vgpr212_vgpr213
	s_delay_alu instid0(VALU_DEP_1)
	v_mul_f32_e32 v214, v0, v1
	v_xor_b32_e32 v215, 0x80000000, v1
.LBB123_500:
	s_and_not1_saveexec_b32 s1, s1
	s_cbranch_execz .LBB123_502
; %bb.501:
	v_div_scale_f32 v0, null, v212, v212, v213
	v_div_scale_f32 v215, vcc_lo, v213, v212, v213
	s_delay_alu instid0(VALU_DEP_2) | instskip(SKIP_1) | instid1(TRANS32_DEP_1)
	v_rcp_f32_e32 v1, v0
	v_nop
	v_fma_f32 v214, -v0, v1, 1.0
	s_delay_alu instid0(VALU_DEP_1) | instskip(NEXT) | instid1(VALU_DEP_1)
	v_fmac_f32_e32 v1, v214, v1
	v_mul_f32_e32 v214, v215, v1
	s_delay_alu instid0(VALU_DEP_1) | instskip(NEXT) | instid1(VALU_DEP_1)
	v_fma_f32 v216, -v0, v214, v215
	v_fmac_f32_e32 v214, v216, v1
	s_delay_alu instid0(VALU_DEP_1) | instskip(NEXT) | instid1(VALU_DEP_1)
	v_fma_f32 v0, -v0, v214, v215
	v_div_fmas_f32 v0, v0, v1, v214
	s_delay_alu instid0(VALU_DEP_1) | instskip(NEXT) | instid1(VALU_DEP_1)
	v_div_fixup_f32 v0, v0, v212, v213
	v_fmac_f32_e32 v212, v213, v0
	s_delay_alu instid0(VALU_DEP_1) | instskip(NEXT) | instid1(VALU_DEP_1)
	v_div_scale_f32 v1, null, v212, v212, 1.0
	v_rcp_f32_e32 v213, v1
	v_nop
	s_delay_alu instid0(TRANS32_DEP_1) | instskip(NEXT) | instid1(VALU_DEP_1)
	v_fma_f32 v214, -v1, v213, 1.0
	v_fmac_f32_e32 v213, v214, v213
	v_div_scale_f32 v214, vcc_lo, 1.0, v212, 1.0
	s_delay_alu instid0(VALU_DEP_1) | instskip(NEXT) | instid1(VALU_DEP_1)
	v_mul_f32_e32 v215, v214, v213
	v_fma_f32 v216, -v1, v215, v214
	s_delay_alu instid0(VALU_DEP_1) | instskip(NEXT) | instid1(VALU_DEP_1)
	v_fmac_f32_e32 v215, v216, v213
	v_fma_f32 v1, -v1, v215, v214
	s_delay_alu instid0(VALU_DEP_1) | instskip(NEXT) | instid1(VALU_DEP_1)
	v_div_fmas_f32 v1, v1, v213, v215
	v_div_fixup_f32 v214, v1, v212, 1.0
	s_delay_alu instid0(VALU_DEP_1)
	v_mul_f32_e64 v215, v0, -v214
.LBB123_502:
	s_or_b32 exec_lo, exec_lo, s1
	ds_store_b64 v235, v[214:215]
.LBB123_503:
	s_or_b32 exec_lo, exec_lo, s2
	s_wait_dscnt 0x0
	s_barrier_signal -1
	s_barrier_wait -1
	ds_load_b64 v[212:213], v235
	s_mov_b32 s1, exec_lo
	v_cmpx_lt_u32_e32 55, v234
	s_cbranch_execz .LBB123_505
; %bb.504:
	s_wait_dscnt 0x0
	v_pk_mul_f32 v[214:215], v[212:213], v[222:223] op_sel:[1,1] op_sel_hi:[0,1]
	s_delay_alu instid0(VALU_DEP_1)
	v_pk_fma_f32 v[218:219], v[212:213], v[222:223], v[214:215] op_sel_hi:[1,0,1] neg_lo:[0,0,1] neg_hi:[0,0,1]
	v_pk_fma_f32 v[220:221], v[212:213], v[222:223], v[214:215] op_sel_hi:[1,0,1]
	ds_load_2addr_b64 v[214:217], v236 offset0:56 offset1:57
	v_dual_mov_b32 v222, v218 :: v_dual_mov_b32 v223, v221
	s_wait_dscnt 0x0
	v_pk_mul_f32 v[230:231], v[214:215], v[220:221] op_sel:[0,1]
	s_delay_alu instid0(VALU_DEP_1) | instskip(SKIP_1) | instid1(VALU_DEP_1)
	v_pk_fma_f32 v[232:233], v[214:215], v[218:219], v[230:231] op_sel:[0,0,1] op_sel_hi:[1,1,0] neg_lo:[0,0,1] neg_hi:[0,0,1]
	v_pk_fma_f32 v[214:215], v[214:215], v[218:219], v[230:231] op_sel:[0,0,1] op_sel_hi:[1,0,0]
	v_mov_b32_e32 v233, v215
	v_pk_mul_f32 v[214:215], v[216:217], v[220:221] op_sel:[0,1]
	s_delay_alu instid0(VALU_DEP_1) | instskip(SKIP_1) | instid1(VALU_DEP_1)
	v_pk_fma_f32 v[230:231], v[216:217], v[218:219], v[214:215] op_sel:[0,0,1] op_sel_hi:[1,1,0] neg_lo:[0,0,1] neg_hi:[0,0,1]
	v_pk_fma_f32 v[214:215], v[216:217], v[218:219], v[214:215] op_sel:[0,0,1] op_sel_hi:[1,0,0]
	v_mov_b32_e32 v231, v215
	ds_load_2addr_b64 v[214:217], v236 offset0:58 offset1:59
	v_pk_add_f32 v[244:245], v[244:245], v[232:233] neg_lo:[0,1] neg_hi:[0,1]
	v_pk_add_f32 v[240:241], v[240:241], v[230:231] neg_lo:[0,1] neg_hi:[0,1]
	s_wait_dscnt 0x0
	v_pk_mul_f32 v[230:231], v[214:215], v[220:221] op_sel:[0,1]
	s_delay_alu instid0(VALU_DEP_1) | instskip(SKIP_2) | instid1(VALU_DEP_2)
	v_pk_fma_f32 v[232:233], v[214:215], v[218:219], v[230:231] op_sel:[0,0,1] op_sel_hi:[1,1,0] neg_lo:[0,0,1] neg_hi:[0,0,1]
	v_pk_fma_f32 v[214:215], v[214:215], v[218:219], v[230:231] op_sel:[0,0,1] op_sel_hi:[1,0,0]
	v_dual_mul_f32 v230, v217, v221 :: v_dual_mov_b32 v214, v217
	v_dual_mov_b32 v233, v215 :: v_dual_mov_b32 v215, v216
	s_delay_alu instid0(VALU_DEP_2) | instskip(SKIP_1) | instid1(VALU_DEP_3)
	v_pk_fma_f32 v[230:231], v[216:217], v[222:223], v[230:231] op_sel_hi:[1,1,0] neg_lo:[0,0,1] neg_hi:[0,0,1]
	v_mul_f32_e32 v216, v217, v218
	v_pk_add_f32 v[242:243], v[242:243], v[232:233] neg_lo:[0,1] neg_hi:[0,1]
	s_delay_alu instid0(VALU_DEP_2) | instskip(NEXT) | instid1(VALU_DEP_1)
	v_pk_fma_f32 v[214:215], v[214:215], v[222:223], v[216:217] op_sel_hi:[1,1,0]
	v_mov_b32_e32 v231, v215
	ds_load_2addr_b64 v[214:217], v236 offset0:60 offset1:61
	v_pk_add_f32 v[238:239], v[238:239], v[230:231] neg_lo:[0,1] neg_hi:[0,1]
	s_wait_dscnt 0x0
	v_pk_mul_f32 v[230:231], v[214:215], v[220:221] op_sel:[0,1]
	v_mul_f32_e32 v220, v217, v221
	s_delay_alu instid0(VALU_DEP_2) | instskip(SKIP_2) | instid1(VALU_DEP_4)
	v_pk_fma_f32 v[232:233], v[214:215], v[218:219], v[230:231] op_sel:[0,0,1] op_sel_hi:[1,1,0] neg_lo:[0,0,1] neg_hi:[0,0,1]
	v_pk_fma_f32 v[214:215], v[214:215], v[218:219], v[230:231] op_sel:[0,0,1] op_sel_hi:[1,0,0]
	v_mov_b32_e32 v214, v217
	v_pk_fma_f32 v[220:221], v[216:217], v[222:223], v[220:221] op_sel_hi:[1,1,0] neg_lo:[0,0,1] neg_hi:[0,0,1]
	s_delay_alu instid0(VALU_DEP_3) | instskip(SKIP_1) | instid1(VALU_DEP_2)
	v_dual_mov_b32 v233, v215 :: v_dual_mov_b32 v215, v216
	v_mul_f32_e32 v216, v217, v218
	v_pk_add_f32 v[246:247], v[246:247], v[232:233] neg_lo:[0,1] neg_hi:[0,1]
	s_delay_alu instid0(VALU_DEP_2) | instskip(NEXT) | instid1(VALU_DEP_1)
	v_pk_fma_f32 v[214:215], v[214:215], v[222:223], v[216:217] op_sel_hi:[1,1,0]
	v_mov_b32_e32 v221, v215
	s_delay_alu instid0(VALU_DEP_1)
	v_pk_add_f32 v[248:249], v[248:249], v[220:221] neg_lo:[0,1] neg_hi:[0,1]
.LBB123_505:
	s_or_b32 exec_lo, exec_lo, s1
	s_delay_alu instid0(SALU_CYCLE_1)
	s_mov_b32 s2, exec_lo
	s_wait_dscnt 0x0
	s_barrier_signal -1
	s_barrier_wait -1
	v_cmpx_eq_u32_e32 56, v234
	s_cbranch_execz .LBB123_512
; %bb.506:
	ds_store_b64 v235, v[244:245]
	ds_store_2addr_b64 v236, v[240:241], v[242:243] offset0:57 offset1:58
	ds_store_2addr_b64 v236, v[238:239], v[246:247] offset0:59 offset1:60
	ds_store_b64 v236, v[248:249] offset:488
	ds_load_b64 v[214:215], v235
	s_wait_dscnt 0x0
	v_cmp_neq_f32_e32 vcc_lo, 0, v214
	v_cmp_neq_f32_e64 s1, 0, v215
	s_or_b32 s1, vcc_lo, s1
	s_delay_alu instid0(SALU_CYCLE_1)
	s_and_b32 exec_lo, exec_lo, s1
	s_cbranch_execz .LBB123_512
; %bb.507:
	v_cmp_ngt_f32_e64 s1, |v214|, |v215|
                                        ; implicit-def: $vgpr216_vgpr217
	s_and_saveexec_b32 s4, s1
	s_delay_alu instid0(SALU_CYCLE_1)
	s_xor_b32 s1, exec_lo, s4
	s_cbranch_execz .LBB123_509
; %bb.508:
	v_div_scale_f32 v0, null, v215, v215, v214
	v_div_scale_f32 v217, vcc_lo, v214, v215, v214
	s_delay_alu instid0(VALU_DEP_2) | instskip(SKIP_1) | instid1(TRANS32_DEP_1)
	v_rcp_f32_e32 v1, v0
	v_nop
	v_fma_f32 v216, -v0, v1, 1.0
	s_delay_alu instid0(VALU_DEP_1) | instskip(NEXT) | instid1(VALU_DEP_1)
	v_fmac_f32_e32 v1, v216, v1
	v_mul_f32_e32 v216, v217, v1
	s_delay_alu instid0(VALU_DEP_1) | instskip(NEXT) | instid1(VALU_DEP_1)
	v_fma_f32 v218, -v0, v216, v217
	v_fmac_f32_e32 v216, v218, v1
	s_delay_alu instid0(VALU_DEP_1) | instskip(NEXT) | instid1(VALU_DEP_1)
	v_fma_f32 v0, -v0, v216, v217
	v_div_fmas_f32 v0, v0, v1, v216
	s_delay_alu instid0(VALU_DEP_1) | instskip(NEXT) | instid1(VALU_DEP_1)
	v_div_fixup_f32 v0, v0, v215, v214
	v_fmac_f32_e32 v215, v214, v0
	s_delay_alu instid0(VALU_DEP_1) | instskip(SKIP_1) | instid1(VALU_DEP_2)
	v_div_scale_f32 v1, null, v215, v215, 1.0
	v_div_scale_f32 v217, vcc_lo, 1.0, v215, 1.0
	v_rcp_f32_e32 v214, v1
	v_nop
	s_delay_alu instid0(TRANS32_DEP_1) | instskip(NEXT) | instid1(VALU_DEP_1)
	v_fma_f32 v216, -v1, v214, 1.0
	v_fmac_f32_e32 v214, v216, v214
	s_delay_alu instid0(VALU_DEP_1) | instskip(NEXT) | instid1(VALU_DEP_1)
	v_mul_f32_e32 v216, v217, v214
	v_fma_f32 v218, -v1, v216, v217
	s_delay_alu instid0(VALU_DEP_1) | instskip(NEXT) | instid1(VALU_DEP_1)
	v_fmac_f32_e32 v216, v218, v214
	v_fma_f32 v1, -v1, v216, v217
	s_delay_alu instid0(VALU_DEP_1) | instskip(NEXT) | instid1(VALU_DEP_1)
	v_div_fmas_f32 v1, v1, v214, v216
	v_div_fixup_f32 v1, v1, v215, 1.0
                                        ; implicit-def: $vgpr214_vgpr215
	s_delay_alu instid0(VALU_DEP_1)
	v_mul_f32_e32 v216, v0, v1
	v_xor_b32_e32 v217, 0x80000000, v1
.LBB123_509:
	s_and_not1_saveexec_b32 s1, s1
	s_cbranch_execz .LBB123_511
; %bb.510:
	v_div_scale_f32 v0, null, v214, v214, v215
	v_div_scale_f32 v217, vcc_lo, v215, v214, v215
	s_delay_alu instid0(VALU_DEP_2) | instskip(SKIP_1) | instid1(TRANS32_DEP_1)
	v_rcp_f32_e32 v1, v0
	v_nop
	v_fma_f32 v216, -v0, v1, 1.0
	s_delay_alu instid0(VALU_DEP_1) | instskip(NEXT) | instid1(VALU_DEP_1)
	v_fmac_f32_e32 v1, v216, v1
	v_mul_f32_e32 v216, v217, v1
	s_delay_alu instid0(VALU_DEP_1) | instskip(NEXT) | instid1(VALU_DEP_1)
	v_fma_f32 v218, -v0, v216, v217
	v_fmac_f32_e32 v216, v218, v1
	s_delay_alu instid0(VALU_DEP_1) | instskip(NEXT) | instid1(VALU_DEP_1)
	v_fma_f32 v0, -v0, v216, v217
	v_div_fmas_f32 v0, v0, v1, v216
	s_delay_alu instid0(VALU_DEP_1) | instskip(NEXT) | instid1(VALU_DEP_1)
	v_div_fixup_f32 v0, v0, v214, v215
	v_fmac_f32_e32 v214, v215, v0
	s_delay_alu instid0(VALU_DEP_1) | instskip(NEXT) | instid1(VALU_DEP_1)
	v_div_scale_f32 v1, null, v214, v214, 1.0
	v_rcp_f32_e32 v215, v1
	v_nop
	s_delay_alu instid0(TRANS32_DEP_1) | instskip(NEXT) | instid1(VALU_DEP_1)
	v_fma_f32 v216, -v1, v215, 1.0
	v_fmac_f32_e32 v215, v216, v215
	v_div_scale_f32 v216, vcc_lo, 1.0, v214, 1.0
	s_delay_alu instid0(VALU_DEP_1) | instskip(NEXT) | instid1(VALU_DEP_1)
	v_mul_f32_e32 v217, v216, v215
	v_fma_f32 v218, -v1, v217, v216
	s_delay_alu instid0(VALU_DEP_1) | instskip(NEXT) | instid1(VALU_DEP_1)
	v_fmac_f32_e32 v217, v218, v215
	v_fma_f32 v1, -v1, v217, v216
	s_delay_alu instid0(VALU_DEP_1) | instskip(NEXT) | instid1(VALU_DEP_1)
	v_div_fmas_f32 v1, v1, v215, v217
	v_div_fixup_f32 v216, v1, v214, 1.0
	s_delay_alu instid0(VALU_DEP_1)
	v_mul_f32_e64 v217, v0, -v216
.LBB123_511:
	s_or_b32 exec_lo, exec_lo, s1
	ds_store_b64 v235, v[216:217]
.LBB123_512:
	s_or_b32 exec_lo, exec_lo, s2
	s_wait_dscnt 0x0
	s_barrier_signal -1
	s_barrier_wait -1
	ds_load_b64 v[214:215], v235
	s_mov_b32 s1, exec_lo
	v_cmpx_lt_u32_e32 56, v234
	s_cbranch_execz .LBB123_514
; %bb.513:
	s_wait_dscnt 0x0
	v_pk_mul_f32 v[216:217], v[214:215], v[244:245] op_sel:[1,1] op_sel_hi:[0,1]
	s_delay_alu instid0(VALU_DEP_1)
	v_pk_fma_f32 v[220:221], v[214:215], v[244:245], v[216:217] op_sel_hi:[1,0,1] neg_lo:[0,0,1] neg_hi:[0,0,1]
	v_pk_fma_f32 v[230:231], v[214:215], v[244:245], v[216:217] op_sel_hi:[1,0,1]
	ds_load_2addr_b64 v[216:219], v236 offset0:57 offset1:58
	v_dual_mov_b32 v244, v220 :: v_dual_mov_b32 v245, v231
	s_wait_dscnt 0x0
	v_pk_mul_f32 v[232:233], v[216:217], v[230:231] op_sel:[0,1]
	s_delay_alu instid0(VALU_DEP_1) | instskip(SKIP_1) | instid1(VALU_DEP_1)
	v_pk_fma_f32 v[250:251], v[216:217], v[220:221], v[232:233] op_sel:[0,0,1] op_sel_hi:[1,1,0] neg_lo:[0,0,1] neg_hi:[0,0,1]
	v_pk_fma_f32 v[216:217], v[216:217], v[220:221], v[232:233] op_sel:[0,0,1] op_sel_hi:[1,0,0]
	v_mov_b32_e32 v251, v217
	v_pk_mul_f32 v[216:217], v[218:219], v[230:231] op_sel:[0,1]
	s_delay_alu instid0(VALU_DEP_1) | instskip(SKIP_1) | instid1(VALU_DEP_1)
	v_pk_fma_f32 v[232:233], v[218:219], v[220:221], v[216:217] op_sel:[0,0,1] op_sel_hi:[1,1,0] neg_lo:[0,0,1] neg_hi:[0,0,1]
	v_pk_fma_f32 v[216:217], v[218:219], v[220:221], v[216:217] op_sel:[0,0,1] op_sel_hi:[1,0,0]
	v_mov_b32_e32 v233, v217
	ds_load_2addr_b64 v[216:219], v236 offset0:59 offset1:60
	v_pk_add_f32 v[240:241], v[240:241], v[250:251] neg_lo:[0,1] neg_hi:[0,1]
	v_pk_add_f32 v[242:243], v[242:243], v[232:233] neg_lo:[0,1] neg_hi:[0,1]
	s_wait_dscnt 0x0
	v_pk_mul_f32 v[232:233], v[216:217], v[230:231] op_sel:[0,1]
	s_delay_alu instid0(VALU_DEP_1) | instskip(SKIP_2) | instid1(VALU_DEP_2)
	v_pk_fma_f32 v[250:251], v[216:217], v[220:221], v[232:233] op_sel:[0,0,1] op_sel_hi:[1,1,0] neg_lo:[0,0,1] neg_hi:[0,0,1]
	v_pk_fma_f32 v[216:217], v[216:217], v[220:221], v[232:233] op_sel:[0,0,1] op_sel_hi:[1,0,0]
	v_dual_mul_f32 v232, v219, v231 :: v_dual_mov_b32 v216, v219
	v_dual_mov_b32 v251, v217 :: v_dual_mov_b32 v217, v218
	s_delay_alu instid0(VALU_DEP_2) | instskip(SKIP_1) | instid1(VALU_DEP_3)
	v_pk_fma_f32 v[232:233], v[218:219], v[244:245], v[232:233] op_sel_hi:[1,1,0] neg_lo:[0,0,1] neg_hi:[0,0,1]
	v_mul_f32_e32 v218, v219, v220
	v_pk_add_f32 v[238:239], v[238:239], v[250:251] neg_lo:[0,1] neg_hi:[0,1]
	s_delay_alu instid0(VALU_DEP_2) | instskip(NEXT) | instid1(VALU_DEP_1)
	v_pk_fma_f32 v[216:217], v[216:217], v[244:245], v[218:219] op_sel_hi:[1,1,0]
	v_mov_b32_e32 v233, v217
	ds_load_b64 v[216:217], v236 offset:488
	v_pk_add_f32 v[246:247], v[246:247], v[232:233] neg_lo:[0,1] neg_hi:[0,1]
	s_wait_dscnt 0x0
	v_pk_mul_f32 v[218:219], v[216:217], v[230:231] op_sel:[0,1]
	s_delay_alu instid0(VALU_DEP_1) | instskip(SKIP_1) | instid1(VALU_DEP_1)
	v_pk_fma_f32 v[230:231], v[216:217], v[220:221], v[218:219] op_sel:[0,0,1] op_sel_hi:[1,1,0] neg_lo:[0,0,1] neg_hi:[0,0,1]
	v_pk_fma_f32 v[216:217], v[216:217], v[220:221], v[218:219] op_sel:[0,0,1] op_sel_hi:[1,0,0]
	v_mov_b32_e32 v231, v217
	s_delay_alu instid0(VALU_DEP_1)
	v_pk_add_f32 v[248:249], v[248:249], v[230:231] neg_lo:[0,1] neg_hi:[0,1]
.LBB123_514:
	s_or_b32 exec_lo, exec_lo, s1
	s_delay_alu instid0(SALU_CYCLE_1)
	s_mov_b32 s2, exec_lo
	s_wait_dscnt 0x0
	s_barrier_signal -1
	s_barrier_wait -1
	v_cmpx_eq_u32_e32 57, v234
	s_cbranch_execz .LBB123_521
; %bb.515:
	v_dual_mov_b32 v216, v242 :: v_dual_mov_b32 v217, v243
	v_dual_mov_b32 v218, v238 :: v_dual_mov_b32 v219, v239
	ds_store_b64 v235, v[240:241]
	ds_store_2addr_b64 v236, v[216:217], v[218:219] offset0:58 offset1:59
	v_dual_mov_b32 v216, v246 :: v_dual_mov_b32 v217, v247
	ds_store_2addr_b64 v236, v[216:217], v[248:249] offset0:60 offset1:61
	ds_load_b64 v[216:217], v235
	s_wait_dscnt 0x0
	v_cmp_neq_f32_e32 vcc_lo, 0, v216
	v_cmp_neq_f32_e64 s1, 0, v217
	s_or_b32 s1, vcc_lo, s1
	s_delay_alu instid0(SALU_CYCLE_1)
	s_and_b32 exec_lo, exec_lo, s1
	s_cbranch_execz .LBB123_521
; %bb.516:
	v_cmp_ngt_f32_e64 s1, |v216|, |v217|
                                        ; implicit-def: $vgpr218_vgpr219
	s_and_saveexec_b32 s4, s1
	s_delay_alu instid0(SALU_CYCLE_1)
	s_xor_b32 s1, exec_lo, s4
	s_cbranch_execz .LBB123_518
; %bb.517:
	v_div_scale_f32 v0, null, v217, v217, v216
	v_div_scale_f32 v219, vcc_lo, v216, v217, v216
	s_delay_alu instid0(VALU_DEP_2) | instskip(SKIP_1) | instid1(TRANS32_DEP_1)
	v_rcp_f32_e32 v1, v0
	v_nop
	v_fma_f32 v218, -v0, v1, 1.0
	s_delay_alu instid0(VALU_DEP_1) | instskip(NEXT) | instid1(VALU_DEP_1)
	v_fmac_f32_e32 v1, v218, v1
	v_mul_f32_e32 v218, v219, v1
	s_delay_alu instid0(VALU_DEP_1) | instskip(NEXT) | instid1(VALU_DEP_1)
	v_fma_f32 v220, -v0, v218, v219
	v_fmac_f32_e32 v218, v220, v1
	s_delay_alu instid0(VALU_DEP_1) | instskip(NEXT) | instid1(VALU_DEP_1)
	v_fma_f32 v0, -v0, v218, v219
	v_div_fmas_f32 v0, v0, v1, v218
	s_delay_alu instid0(VALU_DEP_1) | instskip(NEXT) | instid1(VALU_DEP_1)
	v_div_fixup_f32 v0, v0, v217, v216
	v_fmac_f32_e32 v217, v216, v0
	s_delay_alu instid0(VALU_DEP_1) | instskip(SKIP_1) | instid1(VALU_DEP_2)
	v_div_scale_f32 v1, null, v217, v217, 1.0
	v_div_scale_f32 v219, vcc_lo, 1.0, v217, 1.0
	v_rcp_f32_e32 v216, v1
	v_nop
	s_delay_alu instid0(TRANS32_DEP_1) | instskip(NEXT) | instid1(VALU_DEP_1)
	v_fma_f32 v218, -v1, v216, 1.0
	v_fmac_f32_e32 v216, v218, v216
	s_delay_alu instid0(VALU_DEP_1) | instskip(NEXT) | instid1(VALU_DEP_1)
	v_mul_f32_e32 v218, v219, v216
	v_fma_f32 v220, -v1, v218, v219
	s_delay_alu instid0(VALU_DEP_1) | instskip(NEXT) | instid1(VALU_DEP_1)
	v_fmac_f32_e32 v218, v220, v216
	v_fma_f32 v1, -v1, v218, v219
	s_delay_alu instid0(VALU_DEP_1) | instskip(NEXT) | instid1(VALU_DEP_1)
	v_div_fmas_f32 v1, v1, v216, v218
	v_div_fixup_f32 v1, v1, v217, 1.0
                                        ; implicit-def: $vgpr216_vgpr217
	s_delay_alu instid0(VALU_DEP_1)
	v_mul_f32_e32 v218, v0, v1
	v_xor_b32_e32 v219, 0x80000000, v1
.LBB123_518:
	s_and_not1_saveexec_b32 s1, s1
	s_cbranch_execz .LBB123_520
; %bb.519:
	v_div_scale_f32 v0, null, v216, v216, v217
	v_div_scale_f32 v219, vcc_lo, v217, v216, v217
	s_delay_alu instid0(VALU_DEP_2) | instskip(SKIP_1) | instid1(TRANS32_DEP_1)
	v_rcp_f32_e32 v1, v0
	v_nop
	v_fma_f32 v218, -v0, v1, 1.0
	s_delay_alu instid0(VALU_DEP_1) | instskip(NEXT) | instid1(VALU_DEP_1)
	v_fmac_f32_e32 v1, v218, v1
	v_mul_f32_e32 v218, v219, v1
	s_delay_alu instid0(VALU_DEP_1) | instskip(NEXT) | instid1(VALU_DEP_1)
	v_fma_f32 v220, -v0, v218, v219
	v_fmac_f32_e32 v218, v220, v1
	s_delay_alu instid0(VALU_DEP_1) | instskip(NEXT) | instid1(VALU_DEP_1)
	v_fma_f32 v0, -v0, v218, v219
	v_div_fmas_f32 v0, v0, v1, v218
	s_delay_alu instid0(VALU_DEP_1) | instskip(NEXT) | instid1(VALU_DEP_1)
	v_div_fixup_f32 v0, v0, v216, v217
	v_fmac_f32_e32 v216, v217, v0
	s_delay_alu instid0(VALU_DEP_1) | instskip(NEXT) | instid1(VALU_DEP_1)
	v_div_scale_f32 v1, null, v216, v216, 1.0
	v_rcp_f32_e32 v217, v1
	v_nop
	s_delay_alu instid0(TRANS32_DEP_1) | instskip(NEXT) | instid1(VALU_DEP_1)
	v_fma_f32 v218, -v1, v217, 1.0
	v_fmac_f32_e32 v217, v218, v217
	v_div_scale_f32 v218, vcc_lo, 1.0, v216, 1.0
	s_delay_alu instid0(VALU_DEP_1) | instskip(NEXT) | instid1(VALU_DEP_1)
	v_mul_f32_e32 v219, v218, v217
	v_fma_f32 v220, -v1, v219, v218
	s_delay_alu instid0(VALU_DEP_1) | instskip(NEXT) | instid1(VALU_DEP_1)
	v_fmac_f32_e32 v219, v220, v217
	v_fma_f32 v1, -v1, v219, v218
	s_delay_alu instid0(VALU_DEP_1) | instskip(NEXT) | instid1(VALU_DEP_1)
	v_div_fmas_f32 v1, v1, v217, v219
	v_div_fixup_f32 v218, v1, v216, 1.0
	s_delay_alu instid0(VALU_DEP_1)
	v_mul_f32_e64 v219, v0, -v218
.LBB123_520:
	s_or_b32 exec_lo, exec_lo, s1
	ds_store_b64 v235, v[218:219]
.LBB123_521:
	s_or_b32 exec_lo, exec_lo, s2
	s_wait_dscnt 0x0
	s_barrier_signal -1
	s_barrier_wait -1
	ds_load_b64 v[218:219], v235
	s_mov_b32 s1, exec_lo
	v_cmpx_lt_u32_e32 57, v234
	s_cbranch_execz .LBB123_523
; %bb.522:
	ds_load_2addr_b64 v[230:233], v236 offset0:58 offset1:59
	s_wait_dscnt 0x1
	v_pk_mul_f32 v[216:217], v[218:219], v[240:241] op_sel:[1,1] op_sel_hi:[0,1]
	s_delay_alu instid0(VALU_DEP_1) | instskip(SKIP_1) | instid1(VALU_DEP_1)
	v_pk_fma_f32 v[220:221], v[218:219], v[240:241], v[216:217] op_sel_hi:[1,0,1] neg_lo:[0,0,1] neg_hi:[0,0,1]
	v_pk_fma_f32 v[216:217], v[218:219], v[240:241], v[216:217] op_sel_hi:[1,0,1]
	v_dual_mov_b32 v240, v220 :: v_dual_mov_b32 v241, v217
	s_wait_dscnt 0x0
	s_delay_alu instid0(VALU_DEP_2) | instskip(NEXT) | instid1(VALU_DEP_1)
	v_pk_mul_f32 v[250:251], v[230:231], v[216:217] op_sel:[0,1]
	v_pk_fma_f32 v[252:253], v[230:231], v[220:221], v[250:251] op_sel:[0,0,1] op_sel_hi:[1,1,0] neg_lo:[0,0,1] neg_hi:[0,0,1]
	v_pk_fma_f32 v[230:231], v[230:231], v[220:221], v[250:251] op_sel:[0,0,1] op_sel_hi:[1,0,0]
	s_delay_alu instid0(VALU_DEP_1) | instskip(SKIP_1) | instid1(VALU_DEP_1)
	v_mov_b32_e32 v253, v231
	v_pk_mul_f32 v[230:231], v[232:233], v[216:217] op_sel:[0,1]
	v_pk_fma_f32 v[250:251], v[232:233], v[220:221], v[230:231] op_sel:[0,0,1] op_sel_hi:[1,1,0] neg_lo:[0,0,1] neg_hi:[0,0,1]
	v_pk_fma_f32 v[230:231], v[232:233], v[220:221], v[230:231] op_sel:[0,0,1] op_sel_hi:[1,0,0]
	s_delay_alu instid0(VALU_DEP_1)
	v_mov_b32_e32 v251, v231
	ds_load_2addr_b64 v[230:233], v236 offset0:60 offset1:61
	v_pk_add_f32 v[242:243], v[242:243], v[252:253] neg_lo:[0,1] neg_hi:[0,1]
	v_pk_add_f32 v[238:239], v[238:239], v[250:251] neg_lo:[0,1] neg_hi:[0,1]
	s_wait_dscnt 0x0
	v_pk_mul_f32 v[250:251], v[230:231], v[216:217] op_sel:[0,1]
	s_delay_alu instid0(VALU_DEP_1) | instskip(SKIP_1) | instid1(VALU_DEP_1)
	v_pk_fma_f32 v[252:253], v[230:231], v[220:221], v[250:251] op_sel:[0,0,1] op_sel_hi:[1,1,0] neg_lo:[0,0,1] neg_hi:[0,0,1]
	v_pk_fma_f32 v[230:231], v[230:231], v[220:221], v[250:251] op_sel:[0,0,1] op_sel_hi:[1,0,0]
	v_dual_mov_b32 v230, v233 :: v_dual_mov_b32 v253, v231
	v_mov_b32_e32 v231, v232
	s_delay_alu instid0(VALU_DEP_2) | instskip(NEXT) | instid1(VALU_DEP_2)
	v_pk_add_f32 v[246:247], v[246:247], v[252:253] neg_lo:[0,1] neg_hi:[0,1]
	v_pk_mul_f32 v[216:217], v[230:231], v[216:217] op_sel:[0,1]
	s_delay_alu instid0(VALU_DEP_1) | instskip(SKIP_1) | instid1(VALU_DEP_1)
	v_pk_fma_f32 v[230:231], v[232:233], v[220:221], v[216:217] neg_lo:[0,0,1] neg_hi:[0,0,1]
	v_pk_fma_f32 v[216:217], v[232:233], v[220:221], v[216:217] op_sel_hi:[1,0,1]
	v_mov_b32_e32 v231, v217
	s_delay_alu instid0(VALU_DEP_1)
	v_pk_add_f32 v[248:249], v[248:249], v[230:231] neg_lo:[0,1] neg_hi:[0,1]
.LBB123_523:
	s_or_b32 exec_lo, exec_lo, s1
	s_delay_alu instid0(SALU_CYCLE_1)
	s_mov_b32 s2, exec_lo
	s_wait_dscnt 0x0
	s_barrier_signal -1
	s_barrier_wait -1
	v_cmpx_eq_u32_e32 58, v234
	s_cbranch_execz .LBB123_530
; %bb.524:
	ds_store_b64 v235, v[242:243]
	ds_store_2addr_b64 v236, v[238:239], v[246:247] offset0:59 offset1:60
	ds_store_b64 v236, v[248:249] offset:488
	ds_load_b64 v[216:217], v235
	s_wait_dscnt 0x0
	v_cmp_neq_f32_e32 vcc_lo, 0, v216
	v_cmp_neq_f32_e64 s1, 0, v217
	s_or_b32 s1, vcc_lo, s1
	s_delay_alu instid0(SALU_CYCLE_1)
	s_and_b32 exec_lo, exec_lo, s1
	s_cbranch_execz .LBB123_530
; %bb.525:
	v_cmp_ngt_f32_e64 s1, |v216|, |v217|
                                        ; implicit-def: $vgpr220_vgpr221
	s_and_saveexec_b32 s4, s1
	s_delay_alu instid0(SALU_CYCLE_1)
	s_xor_b32 s1, exec_lo, s4
	s_cbranch_execz .LBB123_527
; %bb.526:
	v_div_scale_f32 v0, null, v217, v217, v216
	v_div_scale_f32 v221, vcc_lo, v216, v217, v216
	s_delay_alu instid0(VALU_DEP_2) | instskip(SKIP_1) | instid1(TRANS32_DEP_1)
	v_rcp_f32_e32 v1, v0
	v_nop
	v_fma_f32 v220, -v0, v1, 1.0
	s_delay_alu instid0(VALU_DEP_1) | instskip(NEXT) | instid1(VALU_DEP_1)
	v_fmac_f32_e32 v1, v220, v1
	v_mul_f32_e32 v220, v221, v1
	s_delay_alu instid0(VALU_DEP_1) | instskip(NEXT) | instid1(VALU_DEP_1)
	v_fma_f32 v230, -v0, v220, v221
	v_fmac_f32_e32 v220, v230, v1
	s_delay_alu instid0(VALU_DEP_1) | instskip(NEXT) | instid1(VALU_DEP_1)
	v_fma_f32 v0, -v0, v220, v221
	v_div_fmas_f32 v0, v0, v1, v220
	s_delay_alu instid0(VALU_DEP_1) | instskip(NEXT) | instid1(VALU_DEP_1)
	v_div_fixup_f32 v0, v0, v217, v216
	v_fmac_f32_e32 v217, v216, v0
	s_delay_alu instid0(VALU_DEP_1) | instskip(SKIP_1) | instid1(VALU_DEP_2)
	v_div_scale_f32 v1, null, v217, v217, 1.0
	v_div_scale_f32 v221, vcc_lo, 1.0, v217, 1.0
	v_rcp_f32_e32 v216, v1
	v_nop
	s_delay_alu instid0(TRANS32_DEP_1) | instskip(NEXT) | instid1(VALU_DEP_1)
	v_fma_f32 v220, -v1, v216, 1.0
	v_fmac_f32_e32 v216, v220, v216
	s_delay_alu instid0(VALU_DEP_1) | instskip(NEXT) | instid1(VALU_DEP_1)
	v_mul_f32_e32 v220, v221, v216
	v_fma_f32 v230, -v1, v220, v221
	s_delay_alu instid0(VALU_DEP_1) | instskip(NEXT) | instid1(VALU_DEP_1)
	v_fmac_f32_e32 v220, v230, v216
	v_fma_f32 v1, -v1, v220, v221
	s_delay_alu instid0(VALU_DEP_1) | instskip(NEXT) | instid1(VALU_DEP_1)
	v_div_fmas_f32 v1, v1, v216, v220
	v_div_fixup_f32 v1, v1, v217, 1.0
                                        ; implicit-def: $vgpr216_vgpr217
	s_delay_alu instid0(VALU_DEP_1)
	v_mul_f32_e32 v220, v0, v1
	v_xor_b32_e32 v221, 0x80000000, v1
.LBB123_527:
	s_and_not1_saveexec_b32 s1, s1
	s_cbranch_execz .LBB123_529
; %bb.528:
	v_div_scale_f32 v0, null, v216, v216, v217
	v_div_scale_f32 v221, vcc_lo, v217, v216, v217
	s_delay_alu instid0(VALU_DEP_2) | instskip(SKIP_1) | instid1(TRANS32_DEP_1)
	v_rcp_f32_e32 v1, v0
	v_nop
	v_fma_f32 v220, -v0, v1, 1.0
	s_delay_alu instid0(VALU_DEP_1) | instskip(NEXT) | instid1(VALU_DEP_1)
	v_fmac_f32_e32 v1, v220, v1
	v_mul_f32_e32 v220, v221, v1
	s_delay_alu instid0(VALU_DEP_1) | instskip(NEXT) | instid1(VALU_DEP_1)
	v_fma_f32 v230, -v0, v220, v221
	v_fmac_f32_e32 v220, v230, v1
	s_delay_alu instid0(VALU_DEP_1) | instskip(NEXT) | instid1(VALU_DEP_1)
	v_fma_f32 v0, -v0, v220, v221
	v_div_fmas_f32 v0, v0, v1, v220
	s_delay_alu instid0(VALU_DEP_1) | instskip(NEXT) | instid1(VALU_DEP_1)
	v_div_fixup_f32 v0, v0, v216, v217
	v_fmac_f32_e32 v216, v217, v0
	s_delay_alu instid0(VALU_DEP_1) | instskip(NEXT) | instid1(VALU_DEP_1)
	v_div_scale_f32 v1, null, v216, v216, 1.0
	v_rcp_f32_e32 v217, v1
	v_nop
	s_delay_alu instid0(TRANS32_DEP_1) | instskip(NEXT) | instid1(VALU_DEP_1)
	v_fma_f32 v220, -v1, v217, 1.0
	v_fmac_f32_e32 v217, v220, v217
	v_div_scale_f32 v220, vcc_lo, 1.0, v216, 1.0
	s_delay_alu instid0(VALU_DEP_1) | instskip(NEXT) | instid1(VALU_DEP_1)
	v_mul_f32_e32 v221, v220, v217
	v_fma_f32 v230, -v1, v221, v220
	s_delay_alu instid0(VALU_DEP_1) | instskip(NEXT) | instid1(VALU_DEP_1)
	v_fmac_f32_e32 v221, v230, v217
	v_fma_f32 v1, -v1, v221, v220
	s_delay_alu instid0(VALU_DEP_1) | instskip(NEXT) | instid1(VALU_DEP_1)
	v_div_fmas_f32 v1, v1, v217, v221
	v_div_fixup_f32 v220, v1, v216, 1.0
	s_delay_alu instid0(VALU_DEP_1)
	v_mul_f32_e64 v221, v0, -v220
.LBB123_529:
	s_or_b32 exec_lo, exec_lo, s1
	ds_store_b64 v235, v[220:221]
.LBB123_530:
	s_or_b32 exec_lo, exec_lo, s2
	s_wait_dscnt 0x0
	s_barrier_signal -1
	s_barrier_wait -1
	ds_load_b64 v[220:221], v235
	s_mov_b32 s1, exec_lo
	v_cmpx_lt_u32_e32 58, v234
	s_cbranch_execz .LBB123_532
; %bb.531:
	ds_load_2addr_b64 v[230:233], v236 offset0:59 offset1:60
	s_wait_dscnt 0x1
	v_pk_mul_f32 v[216:217], v[220:221], v[242:243] op_sel:[1,1] op_sel_hi:[0,1]
	s_delay_alu instid0(VALU_DEP_1) | instskip(SKIP_1) | instid1(VALU_DEP_1)
	v_pk_fma_f32 v[250:251], v[220:221], v[242:243], v[216:217] op_sel_hi:[1,0,1] neg_lo:[0,0,1] neg_hi:[0,0,1]
	v_pk_fma_f32 v[216:217], v[220:221], v[242:243], v[216:217] op_sel_hi:[1,0,1]
	v_dual_mov_b32 v242, v250 :: v_dual_mov_b32 v243, v217
	s_wait_dscnt 0x0
	s_delay_alu instid0(VALU_DEP_2) | instskip(NEXT) | instid1(VALU_DEP_1)
	v_pk_mul_f32 v[252:253], v[230:231], v[216:217] op_sel:[0,1]
	v_pk_fma_f32 v[254:255], v[230:231], v[250:251], v[252:253] op_sel:[0,0,1] op_sel_hi:[1,1,0] neg_lo:[0,0,1] neg_hi:[0,0,1]
	v_pk_fma_f32 v[230:231], v[230:231], v[250:251], v[252:253] op_sel:[0,0,1] op_sel_hi:[1,0,0]
	s_delay_alu instid0(VALU_DEP_1) | instskip(SKIP_1) | instid1(VALU_DEP_1)
	v_mov_b32_e32 v255, v231
	v_pk_mul_f32 v[230:231], v[232:233], v[216:217] op_sel:[0,1]
	v_pk_fma_f32 v[252:253], v[232:233], v[250:251], v[230:231] op_sel:[0,0,1] op_sel_hi:[1,1,0] neg_lo:[0,0,1] neg_hi:[0,0,1]
	v_pk_fma_f32 v[230:231], v[232:233], v[250:251], v[230:231] op_sel:[0,0,1] op_sel_hi:[1,0,0]
	s_delay_alu instid0(VALU_DEP_1)
	v_mov_b32_e32 v253, v231
	ds_load_b64 v[230:231], v236 offset:488
	v_pk_add_f32 v[238:239], v[238:239], v[254:255] neg_lo:[0,1] neg_hi:[0,1]
	v_pk_add_f32 v[246:247], v[246:247], v[252:253] neg_lo:[0,1] neg_hi:[0,1]
	s_wait_dscnt 0x0
	v_pk_mul_f32 v[216:217], v[230:231], v[216:217] op_sel:[1,1] op_sel_hi:[0,1]
	s_delay_alu instid0(VALU_DEP_1) | instskip(SKIP_1) | instid1(VALU_DEP_1)
	v_pk_fma_f32 v[232:233], v[230:231], v[250:251], v[216:217] neg_lo:[0,0,1] neg_hi:[0,0,1]
	v_pk_fma_f32 v[216:217], v[230:231], v[250:251], v[216:217] op_sel_hi:[1,0,1]
	v_mov_b32_e32 v233, v217
	s_delay_alu instid0(VALU_DEP_1)
	v_pk_add_f32 v[248:249], v[248:249], v[232:233] neg_lo:[0,1] neg_hi:[0,1]
.LBB123_532:
	s_or_b32 exec_lo, exec_lo, s1
	s_delay_alu instid0(SALU_CYCLE_1)
	s_mov_b32 s2, exec_lo
	s_wait_dscnt 0x0
	s_barrier_signal -1
	s_barrier_wait -1
	v_cmpx_eq_u32_e32 59, v234
	s_cbranch_execz .LBB123_539
; %bb.533:
	v_dual_mov_b32 v216, v246 :: v_dual_mov_b32 v217, v247
	ds_store_b64 v235, v[238:239]
	ds_store_2addr_b64 v236, v[216:217], v[248:249] offset0:60 offset1:61
	ds_load_b64 v[216:217], v235
	s_wait_dscnt 0x0
	v_cmp_neq_f32_e32 vcc_lo, 0, v216
	v_cmp_neq_f32_e64 s1, 0, v217
	s_or_b32 s1, vcc_lo, s1
	s_delay_alu instid0(SALU_CYCLE_1)
	s_and_b32 exec_lo, exec_lo, s1
	s_cbranch_execz .LBB123_539
; %bb.534:
	v_cmp_ngt_f32_e64 s1, |v216|, |v217|
                                        ; implicit-def: $vgpr230_vgpr231
	s_and_saveexec_b32 s4, s1
	s_delay_alu instid0(SALU_CYCLE_1)
	s_xor_b32 s1, exec_lo, s4
	s_cbranch_execz .LBB123_536
; %bb.535:
	v_div_scale_f32 v0, null, v217, v217, v216
	v_div_scale_f32 v231, vcc_lo, v216, v217, v216
	s_delay_alu instid0(VALU_DEP_2) | instskip(SKIP_1) | instid1(TRANS32_DEP_1)
	v_rcp_f32_e32 v1, v0
	v_nop
	v_fma_f32 v230, -v0, v1, 1.0
	s_delay_alu instid0(VALU_DEP_1) | instskip(NEXT) | instid1(VALU_DEP_1)
	v_fmac_f32_e32 v1, v230, v1
	v_mul_f32_e32 v230, v231, v1
	s_delay_alu instid0(VALU_DEP_1) | instskip(NEXT) | instid1(VALU_DEP_1)
	v_fma_f32 v232, -v0, v230, v231
	v_fmac_f32_e32 v230, v232, v1
	s_delay_alu instid0(VALU_DEP_1) | instskip(NEXT) | instid1(VALU_DEP_1)
	v_fma_f32 v0, -v0, v230, v231
	v_div_fmas_f32 v0, v0, v1, v230
	s_delay_alu instid0(VALU_DEP_1) | instskip(NEXT) | instid1(VALU_DEP_1)
	v_div_fixup_f32 v0, v0, v217, v216
	v_fmac_f32_e32 v217, v216, v0
	s_delay_alu instid0(VALU_DEP_1) | instskip(SKIP_1) | instid1(VALU_DEP_2)
	v_div_scale_f32 v1, null, v217, v217, 1.0
	v_div_scale_f32 v231, vcc_lo, 1.0, v217, 1.0
	v_rcp_f32_e32 v216, v1
	v_nop
	s_delay_alu instid0(TRANS32_DEP_1) | instskip(NEXT) | instid1(VALU_DEP_1)
	v_fma_f32 v230, -v1, v216, 1.0
	v_fmac_f32_e32 v216, v230, v216
	s_delay_alu instid0(VALU_DEP_1) | instskip(NEXT) | instid1(VALU_DEP_1)
	v_mul_f32_e32 v230, v231, v216
	v_fma_f32 v232, -v1, v230, v231
	s_delay_alu instid0(VALU_DEP_1) | instskip(NEXT) | instid1(VALU_DEP_1)
	v_fmac_f32_e32 v230, v232, v216
	v_fma_f32 v1, -v1, v230, v231
	s_delay_alu instid0(VALU_DEP_1) | instskip(NEXT) | instid1(VALU_DEP_1)
	v_div_fmas_f32 v1, v1, v216, v230
	v_div_fixup_f32 v1, v1, v217, 1.0
                                        ; implicit-def: $vgpr216_vgpr217
	s_delay_alu instid0(VALU_DEP_1)
	v_mul_f32_e32 v230, v0, v1
	v_xor_b32_e32 v231, 0x80000000, v1
.LBB123_536:
	s_and_not1_saveexec_b32 s1, s1
	s_cbranch_execz .LBB123_538
; %bb.537:
	v_div_scale_f32 v0, null, v216, v216, v217
	v_div_scale_f32 v231, vcc_lo, v217, v216, v217
	s_delay_alu instid0(VALU_DEP_2) | instskip(SKIP_1) | instid1(TRANS32_DEP_1)
	v_rcp_f32_e32 v1, v0
	v_nop
	v_fma_f32 v230, -v0, v1, 1.0
	s_delay_alu instid0(VALU_DEP_1) | instskip(NEXT) | instid1(VALU_DEP_1)
	v_fmac_f32_e32 v1, v230, v1
	v_mul_f32_e32 v230, v231, v1
	s_delay_alu instid0(VALU_DEP_1) | instskip(NEXT) | instid1(VALU_DEP_1)
	v_fma_f32 v232, -v0, v230, v231
	v_fmac_f32_e32 v230, v232, v1
	s_delay_alu instid0(VALU_DEP_1) | instskip(NEXT) | instid1(VALU_DEP_1)
	v_fma_f32 v0, -v0, v230, v231
	v_div_fmas_f32 v0, v0, v1, v230
	s_delay_alu instid0(VALU_DEP_1) | instskip(NEXT) | instid1(VALU_DEP_1)
	v_div_fixup_f32 v0, v0, v216, v217
	v_fmac_f32_e32 v216, v217, v0
	s_delay_alu instid0(VALU_DEP_1) | instskip(NEXT) | instid1(VALU_DEP_1)
	v_div_scale_f32 v1, null, v216, v216, 1.0
	v_rcp_f32_e32 v217, v1
	v_nop
	s_delay_alu instid0(TRANS32_DEP_1) | instskip(NEXT) | instid1(VALU_DEP_1)
	v_fma_f32 v230, -v1, v217, 1.0
	v_fmac_f32_e32 v217, v230, v217
	v_div_scale_f32 v230, vcc_lo, 1.0, v216, 1.0
	s_delay_alu instid0(VALU_DEP_1) | instskip(NEXT) | instid1(VALU_DEP_1)
	v_mul_f32_e32 v231, v230, v217
	v_fma_f32 v232, -v1, v231, v230
	s_delay_alu instid0(VALU_DEP_1) | instskip(NEXT) | instid1(VALU_DEP_1)
	v_fmac_f32_e32 v231, v232, v217
	v_fma_f32 v1, -v1, v231, v230
	s_delay_alu instid0(VALU_DEP_1) | instskip(NEXT) | instid1(VALU_DEP_1)
	v_div_fmas_f32 v1, v1, v217, v231
	v_div_fixup_f32 v230, v1, v216, 1.0
	s_delay_alu instid0(VALU_DEP_1)
	v_mul_f32_e64 v231, v0, -v230
.LBB123_538:
	s_or_b32 exec_lo, exec_lo, s1
	ds_store_b64 v235, v[230:231]
.LBB123_539:
	s_or_b32 exec_lo, exec_lo, s2
	s_wait_dscnt 0x0
	s_barrier_signal -1
	s_barrier_wait -1
	ds_load_b64 v[230:231], v235
	s_mov_b32 s1, exec_lo
	v_cmpx_lt_u32_e32 59, v234
	s_cbranch_execz .LBB123_541
; %bb.540:
	ds_load_2addr_b64 v[250:253], v236 offset0:60 offset1:61
	s_wait_dscnt 0x1
	v_pk_mul_f32 v[216:217], v[230:231], v[238:239] op_sel:[1,1] op_sel_hi:[0,1]
	s_delay_alu instid0(VALU_DEP_1) | instskip(SKIP_1) | instid1(VALU_DEP_1)
	v_pk_fma_f32 v[232:233], v[230:231], v[238:239], v[216:217] op_sel_hi:[1,0,1] neg_lo:[0,0,1] neg_hi:[0,0,1]
	v_pk_fma_f32 v[216:217], v[230:231], v[238:239], v[216:217] op_sel_hi:[1,0,1]
	v_dual_mov_b32 v238, v232 :: v_dual_mov_b32 v239, v217
	s_wait_dscnt 0x0
	s_delay_alu instid0(VALU_DEP_2) | instskip(NEXT) | instid1(VALU_DEP_1)
	v_pk_mul_f32 v[254:255], v[250:251], v[216:217] op_sel:[0,1]
	v_pk_fma_f32 v[0:1], v[250:251], v[232:233], v[254:255] op_sel:[0,0,1] op_sel_hi:[1,1,0] neg_lo:[0,0,1] neg_hi:[0,0,1]
	v_pk_fma_f32 v[250:251], v[250:251], v[232:233], v[254:255] op_sel:[0,0,1] op_sel_hi:[1,0,0]
	s_delay_alu instid0(VALU_DEP_1) | instskip(NEXT) | instid1(VALU_DEP_1)
	v_mov_b32_e32 v1, v251
	v_pk_add_f32 v[246:247], v[246:247], v[0:1] neg_lo:[0,1] neg_hi:[0,1]
	v_dual_mov_b32 v0, v253 :: v_dual_mov_b32 v1, v252
	s_delay_alu instid0(VALU_DEP_1) | instskip(NEXT) | instid1(VALU_DEP_1)
	v_pk_mul_f32 v[0:1], v[0:1], v[216:217] op_sel:[0,1]
	v_pk_fma_f32 v[216:217], v[252:253], v[232:233], v[0:1] neg_lo:[0,0,1] neg_hi:[0,0,1]
	v_pk_fma_f32 v[0:1], v[252:253], v[232:233], v[0:1] op_sel_hi:[1,0,1]
	s_delay_alu instid0(VALU_DEP_1) | instskip(NEXT) | instid1(VALU_DEP_1)
	v_mov_b32_e32 v217, v1
	v_pk_add_f32 v[248:249], v[248:249], v[216:217] neg_lo:[0,1] neg_hi:[0,1]
.LBB123_541:
	s_or_b32 exec_lo, exec_lo, s1
	s_delay_alu instid0(SALU_CYCLE_1)
	s_mov_b32 s2, exec_lo
	s_wait_dscnt 0x0
	s_barrier_signal -1
	s_barrier_wait -1
	v_cmpx_eq_u32_e32 60, v234
	s_cbranch_execz .LBB123_548
; %bb.542:
	ds_store_b64 v235, v[246:247]
	ds_store_b64 v236, v[248:249] offset:488
	ds_load_b64 v[216:217], v235
	s_wait_dscnt 0x0
	v_cmp_neq_f32_e32 vcc_lo, 0, v216
	v_cmp_neq_f32_e64 s1, 0, v217
	s_or_b32 s1, vcc_lo, s1
	s_delay_alu instid0(SALU_CYCLE_1)
	s_and_b32 exec_lo, exec_lo, s1
	s_cbranch_execz .LBB123_548
; %bb.543:
	v_cmp_ngt_f32_e64 s1, |v216|, |v217|
                                        ; implicit-def: $vgpr232_vgpr233
	s_and_saveexec_b32 s4, s1
	s_delay_alu instid0(SALU_CYCLE_1)
	s_xor_b32 s1, exec_lo, s4
	s_cbranch_execz .LBB123_545
; %bb.544:
	v_div_scale_f32 v0, null, v217, v217, v216
	v_div_scale_f32 v233, vcc_lo, v216, v217, v216
	s_delay_alu instid0(VALU_DEP_2) | instskip(SKIP_1) | instid1(TRANS32_DEP_1)
	v_rcp_f32_e32 v1, v0
	v_nop
	v_fma_f32 v232, -v0, v1, 1.0
	s_delay_alu instid0(VALU_DEP_1) | instskip(NEXT) | instid1(VALU_DEP_1)
	v_fmac_f32_e32 v1, v232, v1
	v_mul_f32_e32 v232, v233, v1
	s_delay_alu instid0(VALU_DEP_1) | instskip(NEXT) | instid1(VALU_DEP_1)
	v_fma_f32 v237, -v0, v232, v233
	v_fmac_f32_e32 v232, v237, v1
	s_delay_alu instid0(VALU_DEP_1) | instskip(NEXT) | instid1(VALU_DEP_1)
	v_fma_f32 v0, -v0, v232, v233
	v_div_fmas_f32 v0, v0, v1, v232
	s_delay_alu instid0(VALU_DEP_1) | instskip(NEXT) | instid1(VALU_DEP_1)
	v_div_fixup_f32 v0, v0, v217, v216
	v_fmac_f32_e32 v217, v216, v0
	s_delay_alu instid0(VALU_DEP_1) | instskip(SKIP_1) | instid1(VALU_DEP_2)
	v_div_scale_f32 v1, null, v217, v217, 1.0
	v_div_scale_f32 v233, vcc_lo, 1.0, v217, 1.0
	v_rcp_f32_e32 v216, v1
	v_nop
	s_delay_alu instid0(TRANS32_DEP_1) | instskip(NEXT) | instid1(VALU_DEP_1)
	v_fma_f32 v232, -v1, v216, 1.0
	v_fmac_f32_e32 v216, v232, v216
	s_delay_alu instid0(VALU_DEP_1) | instskip(NEXT) | instid1(VALU_DEP_1)
	v_mul_f32_e32 v232, v233, v216
	v_fma_f32 v237, -v1, v232, v233
	s_delay_alu instid0(VALU_DEP_1) | instskip(NEXT) | instid1(VALU_DEP_1)
	v_fmac_f32_e32 v232, v237, v216
	v_fma_f32 v1, -v1, v232, v233
	s_delay_alu instid0(VALU_DEP_1) | instskip(NEXT) | instid1(VALU_DEP_1)
	v_div_fmas_f32 v1, v1, v216, v232
	v_div_fixup_f32 v1, v1, v217, 1.0
                                        ; implicit-def: $vgpr216_vgpr217
	s_delay_alu instid0(VALU_DEP_1)
	v_mul_f32_e32 v232, v0, v1
	v_xor_b32_e32 v233, 0x80000000, v1
.LBB123_545:
	s_and_not1_saveexec_b32 s1, s1
	s_cbranch_execz .LBB123_547
; %bb.546:
	v_div_scale_f32 v0, null, v216, v216, v217
	v_div_scale_f32 v233, vcc_lo, v217, v216, v217
	s_delay_alu instid0(VALU_DEP_2) | instskip(SKIP_1) | instid1(TRANS32_DEP_1)
	v_rcp_f32_e32 v1, v0
	v_nop
	v_fma_f32 v232, -v0, v1, 1.0
	s_delay_alu instid0(VALU_DEP_1) | instskip(NEXT) | instid1(VALU_DEP_1)
	v_fmac_f32_e32 v1, v232, v1
	v_mul_f32_e32 v232, v233, v1
	s_delay_alu instid0(VALU_DEP_1) | instskip(NEXT) | instid1(VALU_DEP_1)
	v_fma_f32 v237, -v0, v232, v233
	v_fmac_f32_e32 v232, v237, v1
	s_delay_alu instid0(VALU_DEP_1) | instskip(NEXT) | instid1(VALU_DEP_1)
	v_fma_f32 v0, -v0, v232, v233
	v_div_fmas_f32 v0, v0, v1, v232
	s_delay_alu instid0(VALU_DEP_1) | instskip(NEXT) | instid1(VALU_DEP_1)
	v_div_fixup_f32 v0, v0, v216, v217
	v_fmac_f32_e32 v216, v217, v0
	s_delay_alu instid0(VALU_DEP_1) | instskip(NEXT) | instid1(VALU_DEP_1)
	v_div_scale_f32 v1, null, v216, v216, 1.0
	v_rcp_f32_e32 v217, v1
	v_nop
	s_delay_alu instid0(TRANS32_DEP_1) | instskip(NEXT) | instid1(VALU_DEP_1)
	v_fma_f32 v232, -v1, v217, 1.0
	v_fmac_f32_e32 v217, v232, v217
	v_div_scale_f32 v232, vcc_lo, 1.0, v216, 1.0
	s_delay_alu instid0(VALU_DEP_1) | instskip(NEXT) | instid1(VALU_DEP_1)
	v_mul_f32_e32 v233, v232, v217
	v_fma_f32 v237, -v1, v233, v232
	s_delay_alu instid0(VALU_DEP_1) | instskip(NEXT) | instid1(VALU_DEP_1)
	v_fmac_f32_e32 v233, v237, v217
	v_fma_f32 v1, -v1, v233, v232
	s_delay_alu instid0(VALU_DEP_1) | instskip(NEXT) | instid1(VALU_DEP_1)
	v_div_fmas_f32 v1, v1, v217, v233
	v_div_fixup_f32 v232, v1, v216, 1.0
	s_delay_alu instid0(VALU_DEP_1)
	v_mul_f32_e64 v233, v0, -v232
.LBB123_547:
	s_or_b32 exec_lo, exec_lo, s1
	ds_store_b64 v235, v[232:233]
.LBB123_548:
	s_or_b32 exec_lo, exec_lo, s2
	s_wait_dscnt 0x0
	s_barrier_signal -1
	s_barrier_wait -1
	ds_load_b64 v[232:233], v235
	s_mov_b32 s1, exec_lo
	v_cmpx_lt_u32_e32 60, v234
	s_cbranch_execz .LBB123_550
; %bb.549:
	ds_load_b64 v[0:1], v236 offset:488
	s_wait_dscnt 0x1
	v_pk_mul_f32 v[216:217], v[232:233], v[246:247] op_sel:[1,1] op_sel_hi:[0,1]
	s_delay_alu instid0(VALU_DEP_1) | instskip(SKIP_2) | instid1(VALU_DEP_2)
	v_pk_fma_f32 v[236:237], v[232:233], v[246:247], v[216:217] op_sel_hi:[1,0,1]
	v_pk_fma_f32 v[246:247], v[232:233], v[246:247], v[216:217] op_sel_hi:[1,0,1] neg_lo:[0,0,1] neg_hi:[0,0,1]
	s_wait_dscnt 0x0
	v_pk_mul_f32 v[216:217], v[0:1], v[236:237] op_sel:[1,1] op_sel_hi:[0,1]
	s_delay_alu instid0(VALU_DEP_1) | instskip(SKIP_1) | instid1(VALU_DEP_2)
	v_pk_fma_f32 v[250:251], v[0:1], v[246:247], v[216:217] op_sel_hi:[1,0,1]
	v_pk_fma_f32 v[0:1], v[0:1], v[246:247], v[216:217] neg_lo:[0,0,1] neg_hi:[0,0,1]
	v_dual_mov_b32 v247, v237 :: v_dual_mov_b32 v1, v251
	s_delay_alu instid0(VALU_DEP_1)
	v_pk_add_f32 v[248:249], v[248:249], v[0:1] neg_lo:[0,1] neg_hi:[0,1]
.LBB123_550:
	s_or_b32 exec_lo, exec_lo, s1
	s_delay_alu instid0(SALU_CYCLE_1)
	s_mov_b32 s2, exec_lo
	s_wait_dscnt 0x0
	s_barrier_signal -1
	s_barrier_wait -1
	v_cmpx_eq_u32_e32 61, v234
	s_cbranch_execz .LBB123_557
; %bb.551:
	v_cmp_neq_f32_e32 vcc_lo, 0, v248
	v_cmp_neq_f32_e64 s1, 0, v249
	ds_store_b64 v235, v[248:249]
	s_or_b32 s1, vcc_lo, s1
	s_delay_alu instid0(SALU_CYCLE_1)
	s_and_b32 exec_lo, exec_lo, s1
	s_cbranch_execz .LBB123_557
; %bb.552:
	v_cmp_ngt_f32_e64 s1, |v248|, |v249|
                                        ; implicit-def: $vgpr216_vgpr217
	s_and_saveexec_b32 s4, s1
	s_delay_alu instid0(SALU_CYCLE_1)
	s_xor_b32 s1, exec_lo, s4
	s_cbranch_execz .LBB123_554
; %bb.553:
	v_div_scale_f32 v0, null, v249, v249, v248
	v_div_scale_f32 v217, vcc_lo, v248, v249, v248
	s_delay_alu instid0(VALU_DEP_2) | instskip(SKIP_1) | instid1(TRANS32_DEP_1)
	v_rcp_f32_e32 v1, v0
	v_nop
	v_fma_f32 v216, -v0, v1, 1.0
	s_delay_alu instid0(VALU_DEP_1) | instskip(NEXT) | instid1(VALU_DEP_1)
	v_fmac_f32_e32 v1, v216, v1
	v_mul_f32_e32 v216, v217, v1
	s_delay_alu instid0(VALU_DEP_1) | instskip(NEXT) | instid1(VALU_DEP_1)
	v_fma_f32 v236, -v0, v216, v217
	v_fmac_f32_e32 v216, v236, v1
	s_delay_alu instid0(VALU_DEP_1) | instskip(NEXT) | instid1(VALU_DEP_1)
	v_fma_f32 v0, -v0, v216, v217
	v_div_fmas_f32 v0, v0, v1, v216
	s_delay_alu instid0(VALU_DEP_1) | instskip(NEXT) | instid1(VALU_DEP_1)
	v_div_fixup_f32 v0, v0, v249, v248
	v_fma_f32 v1, v248, v0, v249
	s_delay_alu instid0(VALU_DEP_1) | instskip(SKIP_1) | instid1(VALU_DEP_2)
	v_div_scale_f32 v216, null, v1, v1, 1.0
	v_div_scale_f32 v237, vcc_lo, 1.0, v1, 1.0
	v_rcp_f32_e32 v217, v216
	v_nop
	s_delay_alu instid0(TRANS32_DEP_1) | instskip(NEXT) | instid1(VALU_DEP_1)
	v_fma_f32 v236, -v216, v217, 1.0
	v_fmac_f32_e32 v217, v236, v217
	s_delay_alu instid0(VALU_DEP_1) | instskip(NEXT) | instid1(VALU_DEP_1)
	v_mul_f32_e32 v236, v237, v217
	v_fma_f32 v250, -v216, v236, v237
	s_delay_alu instid0(VALU_DEP_1) | instskip(NEXT) | instid1(VALU_DEP_1)
	v_fmac_f32_e32 v236, v250, v217
	v_fma_f32 v216, -v216, v236, v237
	s_delay_alu instid0(VALU_DEP_1) | instskip(NEXT) | instid1(VALU_DEP_1)
	v_div_fmas_f32 v216, v216, v217, v236
	v_div_fixup_f32 v1, v216, v1, 1.0
	s_delay_alu instid0(VALU_DEP_1)
	v_mul_f32_e32 v216, v0, v1
	v_xor_b32_e32 v217, 0x80000000, v1
.LBB123_554:
	s_and_not1_saveexec_b32 s1, s1
	s_cbranch_execz .LBB123_556
; %bb.555:
	v_div_scale_f32 v0, null, v248, v248, v249
	v_div_scale_f32 v217, vcc_lo, v249, v248, v249
	s_delay_alu instid0(VALU_DEP_2) | instskip(SKIP_1) | instid1(TRANS32_DEP_1)
	v_rcp_f32_e32 v1, v0
	v_nop
	v_fma_f32 v216, -v0, v1, 1.0
	s_delay_alu instid0(VALU_DEP_1) | instskip(NEXT) | instid1(VALU_DEP_1)
	v_fmac_f32_e32 v1, v216, v1
	v_mul_f32_e32 v216, v217, v1
	s_delay_alu instid0(VALU_DEP_1) | instskip(NEXT) | instid1(VALU_DEP_1)
	v_fma_f32 v236, -v0, v216, v217
	v_fmac_f32_e32 v216, v236, v1
	s_delay_alu instid0(VALU_DEP_1) | instskip(NEXT) | instid1(VALU_DEP_1)
	v_fma_f32 v0, -v0, v216, v217
	v_div_fmas_f32 v0, v0, v1, v216
	s_delay_alu instid0(VALU_DEP_1) | instskip(NEXT) | instid1(VALU_DEP_1)
	v_div_fixup_f32 v0, v0, v248, v249
	v_fma_f32 v1, v249, v0, v248
	s_delay_alu instid0(VALU_DEP_1) | instskip(NEXT) | instid1(VALU_DEP_1)
	v_div_scale_f32 v216, null, v1, v1, 1.0
	v_rcp_f32_e32 v217, v216
	v_nop
	s_delay_alu instid0(TRANS32_DEP_1) | instskip(NEXT) | instid1(VALU_DEP_1)
	v_fma_f32 v236, -v216, v217, 1.0
	v_fmac_f32_e32 v217, v236, v217
	v_div_scale_f32 v236, vcc_lo, 1.0, v1, 1.0
	s_delay_alu instid0(VALU_DEP_1) | instskip(NEXT) | instid1(VALU_DEP_1)
	v_mul_f32_e32 v237, v236, v217
	v_fma_f32 v250, -v216, v237, v236
	s_delay_alu instid0(VALU_DEP_1) | instskip(NEXT) | instid1(VALU_DEP_1)
	v_fmac_f32_e32 v237, v250, v217
	v_fma_f32 v216, -v216, v237, v236
	s_delay_alu instid0(VALU_DEP_1) | instskip(NEXT) | instid1(VALU_DEP_1)
	v_div_fmas_f32 v216, v216, v217, v237
	v_div_fixup_f32 v216, v216, v1, 1.0
	s_delay_alu instid0(VALU_DEP_1)
	v_mul_f32_e64 v217, v0, -v216
.LBB123_556:
	s_or_b32 exec_lo, exec_lo, s1
	ds_store_b64 v235, v[216:217]
.LBB123_557:
	s_or_b32 exec_lo, exec_lo, s2
	s_wait_dscnt 0x0
	s_barrier_signal -1
	s_barrier_wait -1
	ds_load_b64 v[216:217], v235
	s_wait_dscnt 0x0
	s_barrier_signal -1
	s_barrier_wait -1
	s_and_saveexec_b32 s2, s0
	s_cbranch_execz .LBB123_560
; %bb.558:
	s_clause 0x1
	scratch_load_b64 v[0:1], off, off offset:488 th:TH_LOAD_LU
	scratch_load_b64 v[236:237], off, off offset:496 th:TH_LOAD_LU
	s_wait_loadcnt 0x1
	v_cmp_eq_f32_e32 vcc_lo, 0, v0
	v_cmp_eq_f32_e64 s0, 0, v1
	s_and_b32 s1, vcc_lo, s0
	s_wait_loadcnt 0x0
	v_cmp_neq_f32_e32 vcc_lo, 0, v236
	v_cmp_neq_f32_e64 s0, 0, v237
	scratch_load_b64 v[236:237], off, off offset:504 th:TH_LOAD_LU ; 8-byte Folded Reload
	v_cndmask_b32_e64 v0, 0, 1, s1
	s_or_b32 s0, vcc_lo, s0
	s_delay_alu instid0(SALU_CYCLE_1) | instskip(SKIP_1) | instid1(VALU_DEP_2)
	s_or_b32 vcc_lo, s0, s1
	v_cmp_eq_f32_e64 s1, 0, v217
	v_cndmask_b32_e32 v0, 2, v0, vcc_lo
	s_wait_loadcnt 0x0
	v_cmp_eq_f32_e32 vcc_lo, 0, v236
	v_cmp_eq_f32_e64 s0, 0, v237
	scratch_load_b64 v[236:237], off, off offset:512 th:TH_LOAD_LU ; 8-byte Folded Reload
	s_and_b32 s0, vcc_lo, s0
	v_cmp_eq_u32_e32 vcc_lo, 0, v0
	s_and_b32 s0, s0, vcc_lo
	s_delay_alu instid0(SALU_CYCLE_1)
	v_cndmask_b32_e64 v0, v0, 3, s0
	s_wait_loadcnt 0x0
	v_cmp_eq_f32_e32 vcc_lo, 0, v236
	v_cmp_eq_f32_e64 s0, 0, v237
	s_and_b32 s0, vcc_lo, s0
	v_cmp_eq_u32_e32 vcc_lo, 0, v0
	s_and_b32 s0, s0, vcc_lo
	v_cmp_eq_f32_e32 vcc_lo, 0, v2
	v_cndmask_b32_e64 v0, v0, 4, s0
	v_cmp_eq_f32_e64 s0, 0, v3
	s_and_b32 s0, vcc_lo, s0
	v_cmp_eq_u32_e32 vcc_lo, 0, v0
	s_and_b32 s0, s0, vcc_lo
	v_cmp_eq_f32_e32 vcc_lo, 0, v4
	v_cndmask_b32_e64 v0, v0, 5, s0
	;; [unrolled: 6-line block ×57, first 2 shown]
	v_cmp_eq_f32_e64 s0, 0, v233
	s_and_b32 s0, vcc_lo, s0
	v_cmp_eq_u32_e32 vcc_lo, 0, v0
	s_and_b32 s0, s0, vcc_lo
	s_delay_alu instid0(SALU_CYCLE_1) | instskip(SKIP_1) | instid1(VALU_DEP_2)
	v_cndmask_b32_e64 v0, v0, 61, s0
	v_cmp_eq_f32_e64 s0, 0, v216
	v_cmp_eq_u32_e32 vcc_lo, 0, v0
	s_and_b32 s0, s0, s1
	s_delay_alu instid0(SALU_CYCLE_1) | instskip(NEXT) | instid1(SALU_CYCLE_1)
	s_and_b32 s0, s0, vcc_lo
	v_cndmask_b32_e64 v2, v0, 62, s0
	v_lshl_add_u64 v[0:1], v[26:27], 2, s[6:7]
	s_delay_alu instid0(VALU_DEP_2) | instskip(SKIP_4) | instid1(SALU_CYCLE_1)
	v_cmp_ne_u32_e64 s0, 0, v2
	global_load_b32 v3, v[0:1], off
	s_wait_loadcnt 0x0
	v_cmp_eq_u32_e32 vcc_lo, 0, v3
	s_and_b32 s0, vcc_lo, s0
	s_and_b32 exec_lo, exec_lo, s0
	s_cbranch_execz .LBB123_560
; %bb.559:
	v_add_nc_u32_e32 v2, s3, v2
	global_store_b32 v[0:1], v2, off
.LBB123_560:
	s_wait_xcnt 0x0
	s_or_b32 exec_lo, exec_lo, s2
	s_clause 0x1
	scratch_load_b64 v[2:3], off, off offset:88 th:TH_LOAD_LU
	scratch_load_b64 v[4:5], off, off offset:16 th:TH_LOAD_LU
	v_pk_mul_f32 v[0:1], v[216:217], v[248:249] op_sel:[1,1] op_sel_hi:[0,1]
	global_store_b64 v[16:17], v[58:59], off
	v_cmp_lt_u32_e32 vcc_lo, 61, v234
	s_wait_loadcnt 0x1
	global_store_b64 v[2:3], v[56:57], off
	s_wait_xcnt 0x0
	v_pk_fma_f32 v[2:3], v[216:217], v[248:249], v[0:1] op_sel_hi:[1,0,1]
	v_pk_fma_f32 v[0:1], v[216:217], v[248:249], v[0:1] neg_lo:[0,0,1] neg_hi:[0,0,1]
	s_delay_alu instid0(VALU_DEP_1)
	v_dual_cndmask_b32 v1, v249, v3 :: v_dual_cndmask_b32 v0, v248, v0
	scratch_load_b64 v[2:3], off, off th:TH_LOAD_LU ; 8-byte Folded Reload
	s_wait_loadcnt 0x1
	global_store_b64 v[4:5], v[48:49], off
	scratch_load_b64 v[4:5], off, off offset:40 th:TH_LOAD_LU ; 8-byte Folded Reload
	s_wait_loadcnt 0x0
	global_store_b64 v[4:5], v[46:47], off
	scratch_load_b64 v[4:5], off, off offset:48 th:TH_LOAD_LU ; 8-byte Folded Reload
	s_wait_loadcnt 0x0
	s_clause 0x1
	global_store_b64 v[4:5], v[28:29], off
	global_store_b64 v[2:3], v[22:23], off
	scratch_load_b64 v[2:3], off, off offset:8 th:TH_LOAD_LU ; 8-byte Folded Reload
	s_wait_loadcnt 0x0
	global_store_b64 v[2:3], v[24:25], off
	scratch_load_b64 v[2:3], off, off offset:24 th:TH_LOAD_LU ; 8-byte Folded Reload
	s_wait_loadcnt 0x0
	;; [unrolled: 3-line block ×56, first 2 shown]
	global_store_b64 v[2:3], v[0:1], off
.LBB123_561:
	s_sendmsg sendmsg(MSG_DEALLOC_VGPRS)
	s_endpgm
	.section	.rodata,"a",@progbits
	.p2align	6, 0x0
	.amdhsa_kernel _ZN9rocsolver6v33100L23getf2_npvt_small_kernelILi62E19rocblas_complex_numIfEiiPS3_EEvT1_T3_lS5_lPT2_S5_S5_
		.amdhsa_group_segment_fixed_size 0
		.amdhsa_private_segment_fixed_size 524
		.amdhsa_kernarg_size 312
		.amdhsa_user_sgpr_count 2
		.amdhsa_user_sgpr_dispatch_ptr 0
		.amdhsa_user_sgpr_queue_ptr 0
		.amdhsa_user_sgpr_kernarg_segment_ptr 1
		.amdhsa_user_sgpr_dispatch_id 0
		.amdhsa_user_sgpr_kernarg_preload_length 0
		.amdhsa_user_sgpr_kernarg_preload_offset 0
		.amdhsa_user_sgpr_private_segment_size 0
		.amdhsa_wavefront_size32 1
		.amdhsa_uses_dynamic_stack 0
		.amdhsa_enable_private_segment 1
		.amdhsa_system_sgpr_workgroup_id_x 1
		.amdhsa_system_sgpr_workgroup_id_y 1
		.amdhsa_system_sgpr_workgroup_id_z 0
		.amdhsa_system_sgpr_workgroup_info 0
		.amdhsa_system_vgpr_workitem_id 1
		.amdhsa_next_free_vgpr 256
		.amdhsa_next_free_sgpr 14
		.amdhsa_named_barrier_count 0
		.amdhsa_reserve_vcc 1
		.amdhsa_float_round_mode_32 0
		.amdhsa_float_round_mode_16_64 0
		.amdhsa_float_denorm_mode_32 3
		.amdhsa_float_denorm_mode_16_64 3
		.amdhsa_fp16_overflow 0
		.amdhsa_memory_ordered 1
		.amdhsa_forward_progress 1
		.amdhsa_inst_pref_size 255
		.amdhsa_round_robin_scheduling 0
		.amdhsa_exception_fp_ieee_invalid_op 0
		.amdhsa_exception_fp_denorm_src 0
		.amdhsa_exception_fp_ieee_div_zero 0
		.amdhsa_exception_fp_ieee_overflow 0
		.amdhsa_exception_fp_ieee_underflow 0
		.amdhsa_exception_fp_ieee_inexact 0
		.amdhsa_exception_int_div_zero 0
	.end_amdhsa_kernel
	.section	.text._ZN9rocsolver6v33100L23getf2_npvt_small_kernelILi62E19rocblas_complex_numIfEiiPS3_EEvT1_T3_lS5_lPT2_S5_S5_,"axG",@progbits,_ZN9rocsolver6v33100L23getf2_npvt_small_kernelILi62E19rocblas_complex_numIfEiiPS3_EEvT1_T3_lS5_lPT2_S5_S5_,comdat
.Lfunc_end123:
	.size	_ZN9rocsolver6v33100L23getf2_npvt_small_kernelILi62E19rocblas_complex_numIfEiiPS3_EEvT1_T3_lS5_lPT2_S5_S5_, .Lfunc_end123-_ZN9rocsolver6v33100L23getf2_npvt_small_kernelILi62E19rocblas_complex_numIfEiiPS3_EEvT1_T3_lS5_lPT2_S5_S5_
                                        ; -- End function
	.set _ZN9rocsolver6v33100L23getf2_npvt_small_kernelILi62E19rocblas_complex_numIfEiiPS3_EEvT1_T3_lS5_lPT2_S5_S5_.num_vgpr, 256
	.set _ZN9rocsolver6v33100L23getf2_npvt_small_kernelILi62E19rocblas_complex_numIfEiiPS3_EEvT1_T3_lS5_lPT2_S5_S5_.num_agpr, 0
	.set _ZN9rocsolver6v33100L23getf2_npvt_small_kernelILi62E19rocblas_complex_numIfEiiPS3_EEvT1_T3_lS5_lPT2_S5_S5_.numbered_sgpr, 14
	.set _ZN9rocsolver6v33100L23getf2_npvt_small_kernelILi62E19rocblas_complex_numIfEiiPS3_EEvT1_T3_lS5_lPT2_S5_S5_.num_named_barrier, 0
	.set _ZN9rocsolver6v33100L23getf2_npvt_small_kernelILi62E19rocblas_complex_numIfEiiPS3_EEvT1_T3_lS5_lPT2_S5_S5_.private_seg_size, 524
	.set _ZN9rocsolver6v33100L23getf2_npvt_small_kernelILi62E19rocblas_complex_numIfEiiPS3_EEvT1_T3_lS5_lPT2_S5_S5_.uses_vcc, 1
	.set _ZN9rocsolver6v33100L23getf2_npvt_small_kernelILi62E19rocblas_complex_numIfEiiPS3_EEvT1_T3_lS5_lPT2_S5_S5_.uses_flat_scratch, 1
	.set _ZN9rocsolver6v33100L23getf2_npvt_small_kernelILi62E19rocblas_complex_numIfEiiPS3_EEvT1_T3_lS5_lPT2_S5_S5_.has_dyn_sized_stack, 0
	.set _ZN9rocsolver6v33100L23getf2_npvt_small_kernelILi62E19rocblas_complex_numIfEiiPS3_EEvT1_T3_lS5_lPT2_S5_S5_.has_recursion, 0
	.set _ZN9rocsolver6v33100L23getf2_npvt_small_kernelILi62E19rocblas_complex_numIfEiiPS3_EEvT1_T3_lS5_lPT2_S5_S5_.has_indirect_call, 0
	.section	.AMDGPU.csdata,"",@progbits
; Kernel info:
; codeLenInByte = 154348
; TotalNumSgprs: 16
; NumVgprs: 256
; ScratchSize: 524
; MemoryBound: 0
; FloatMode: 240
; IeeeMode: 1
; LDSByteSize: 0 bytes/workgroup (compile time only)
; SGPRBlocks: 0
; VGPRBlocks: 15
; NumSGPRsForWavesPerEU: 16
; NumVGPRsForWavesPerEU: 256
; NamedBarCnt: 0
; Occupancy: 4
; WaveLimiterHint : 0
; COMPUTE_PGM_RSRC2:SCRATCH_EN: 1
; COMPUTE_PGM_RSRC2:USER_SGPR: 2
; COMPUTE_PGM_RSRC2:TRAP_HANDLER: 0
; COMPUTE_PGM_RSRC2:TGID_X_EN: 1
; COMPUTE_PGM_RSRC2:TGID_Y_EN: 1
; COMPUTE_PGM_RSRC2:TGID_Z_EN: 0
; COMPUTE_PGM_RSRC2:TIDIG_COMP_CNT: 1
	.section	.text._ZN9rocsolver6v33100L18getf2_small_kernelILi63E19rocblas_complex_numIfEiiPS3_EEvT1_T3_lS5_lPS5_llPT2_S5_S5_S7_l,"axG",@progbits,_ZN9rocsolver6v33100L18getf2_small_kernelILi63E19rocblas_complex_numIfEiiPS3_EEvT1_T3_lS5_lPS5_llPT2_S5_S5_S7_l,comdat
	.globl	_ZN9rocsolver6v33100L18getf2_small_kernelILi63E19rocblas_complex_numIfEiiPS3_EEvT1_T3_lS5_lPS5_llPT2_S5_S5_S7_l ; -- Begin function _ZN9rocsolver6v33100L18getf2_small_kernelILi63E19rocblas_complex_numIfEiiPS3_EEvT1_T3_lS5_lPS5_llPT2_S5_S5_S7_l
	.p2align	8
	.type	_ZN9rocsolver6v33100L18getf2_small_kernelILi63E19rocblas_complex_numIfEiiPS3_EEvT1_T3_lS5_lPS5_llPT2_S5_S5_S7_l,@function
_ZN9rocsolver6v33100L18getf2_small_kernelILi63E19rocblas_complex_numIfEiiPS3_EEvT1_T3_lS5_lPS5_llPT2_S5_S5_S7_l: ; @_ZN9rocsolver6v33100L18getf2_small_kernelILi63E19rocblas_complex_numIfEiiPS3_EEvT1_T3_lS5_lPS5_llPT2_S5_S5_S7_l
; %bb.0:
	s_clause 0x1
	s_load_u16 s2, s[0:1], 0x6e
	s_load_b64 s[16:17], s[0:1], 0x48
	s_bfe_u32 s3, ttmp6, 0x40010
	s_bfe_u32 s4, ttmp6, 0x40004
	s_add_co_i32 s3, s3, 1
	s_getreg_b32 s5, hwreg(HW_REG_IB_STS2, 6, 4)
	s_mul_i32 s3, ttmp7, s3
	v_bfe_u32 v134, v0, 10, 10
	s_add_co_i32 s4, s4, s3
	s_cmp_eq_u32 s5, 0
	s_cselect_b32 s3, ttmp7, s4
	s_wait_kmcnt 0x0
	v_mad_u32 v2, s3, s2, v134
	s_mov_b32 s2, exec_lo
	s_delay_alu instid0(VALU_DEP_1)
	v_cmpx_gt_i32_e64 s16, v2
	s_cbranch_execnz .LBB124_1
; %bb.1325:
	s_add_pc_i64 .LBB124_1324-.Lpost_addpc16
.Lpost_addpc16:
.LBB124_1:
	s_load_b128 s[4:7], s[0:1], 0x50
	v_mov_b64_e32 v[4:5], 0
	v_ashrrev_i32_e32 v3, 31, v2
	s_wait_kmcnt 0x0
	s_cmp_eq_u64 s[4:5], 0
	s_cselect_b32 s16, -1, 0
	s_delay_alu instid0(SALU_CYCLE_1)
	s_and_b32 vcc_lo, exec_lo, s16
	s_cbranch_vccnz .LBB124_3
; %bb.2:
	v_mul_u64_e32 v[4:5], s[6:7], v[2:3]
	s_delay_alu instid0(VALU_DEP_1)
	v_lshl_add_u64 v[4:5], v[4:5], 2, s[4:5]
.LBB124_3:
	s_clause 0x2
	s_load_b32 s2, s[0:1], 0x18
	s_load_b128 s[12:15], s[0:1], 0x8
	s_load_b32 s18, s[0:1], 0x0
	v_and_b32_e32 v139, 0x3ff, v0
	s_load_b256 s[4:11], s[0:1], 0x20
	s_delay_alu instid0(VALU_DEP_1) | instskip(SKIP_4) | instid1(VALU_DEP_2)
	v_dual_mov_b32 v133, 0 :: v_dual_lshlrev_b32 v132, 3, v139
	s_wait_kmcnt 0x0
	v_add3_u32 v8, s2, s2, v139
	s_ashr_i32 s3, s2, 31
	v_mul_u64_e32 v[0:1], s[4:5], v[2:3]
	v_add_nc_u32_e32 v6, s2, v8
	s_max_i32 s4, s18, 63
	s_cmp_lt_i32 s18, 2
	s_delay_alu instid0(VALU_DEP_1) | instskip(NEXT) | instid1(VALU_DEP_1)
	v_dual_ashrrev_i32 v9, 31, v8 :: v_dual_add_nc_u32 v10, s2, v6
	v_add_nc_u32_e32 v12, s2, v10
	s_delay_alu instid0(VALU_DEP_1) | instskip(NEXT) | instid1(VALU_DEP_1)
	v_dual_add_nc_u32 v14, s2, v12 :: v_dual_ashrrev_i32 v11, 31, v10
	v_dual_ashrrev_i32 v13, 31, v12 :: v_dual_add_nc_u32 v16, s2, v14
	s_delay_alu instid0(VALU_DEP_1) | instskip(NEXT) | instid1(VALU_DEP_1)
	v_add_nc_u32_e32 v18, s2, v16
	v_add_nc_u32_e32 v20, s2, v18
	v_lshl_add_u64 v[0:1], v[0:1], 3, s[12:13]
	s_delay_alu instid0(VALU_DEP_2) | instskip(NEXT) | instid1(VALU_DEP_2)
	v_add_nc_u32_e32 v22, s2, v20
	v_lshl_add_u64 v[0:1], s[14:15], 3, v[0:1]
	v_dual_ashrrev_i32 v15, 31, v14 :: v_dual_ashrrev_i32 v17, 31, v16
	s_delay_alu instid0(VALU_DEP_3) | instskip(NEXT) | instid1(VALU_DEP_3)
	v_add_nc_u32_e32 v24, s2, v22
	v_lshl_add_u64 v[10:11], v[10:11], 3, v[0:1]
	v_add_nc_u64_e32 v[50:51], v[0:1], v[132:133]
	v_lshl_add_u64 v[12:13], v[12:13], 3, v[0:1]
	v_lshl_add_u64 v[14:15], v[14:15], 3, v[0:1]
	v_add_nc_u32_e32 v26, s2, v24
	v_lshl_add_u64 v[16:17], v[16:17], 3, v[0:1]
	s_clause 0x3
	global_load_b64 v[120:121], v[10:11], off
	global_load_b64 v[118:119], v[12:13], off
	;; [unrolled: 1-line block ×4, first 2 shown]
	v_lshl_add_u64 v[8:9], v[8:9], 3, v[0:1]
	v_add_nc_u32_e32 v28, s2, v26
	s_wait_xcnt 0x3
	v_lshl_add_u64 v[10:11], s[2:3], 3, v[50:51]
	v_ashrrev_i32_e32 v21, 31, v20
	v_ashrrev_i32_e32 v25, 31, v24
	v_add_nc_u32_e32 v30, s2, v28
	s_delay_alu instid0(VALU_DEP_3) | instskip(NEXT) | instid1(VALU_DEP_2)
	v_lshl_add_u64 v[20:21], v[20:21], 3, v[0:1]
	v_add_nc_u32_e32 v32, s2, v30
	s_delay_alu instid0(VALU_DEP_1) | instskip(NEXT) | instid1(VALU_DEP_1)
	v_dual_add_nc_u32 v34, s2, v32 :: v_dual_ashrrev_i32 v27, 31, v26
	v_dual_ashrrev_i32 v29, 31, v28 :: v_dual_add_nc_u32 v36, s2, v34
	s_wait_xcnt 0x0
	s_delay_alu instid0(VALU_DEP_1) | instskip(NEXT) | instid1(VALU_DEP_2)
	v_lshl_add_u64 v[16:17], v[28:29], 3, v[0:1]
	v_add_nc_u32_e32 v38, s2, v36
	v_ashrrev_i32_e32 v33, 31, v32
	s_delay_alu instid0(VALU_DEP_2) | instskip(NEXT) | instid1(VALU_DEP_1)
	v_dual_ashrrev_i32 v37, 31, v36 :: v_dual_add_nc_u32 v40, s2, v38
	v_dual_ashrrev_i32 v35, 31, v34 :: v_dual_ashrrev_i32 v41, 31, v40
	v_add_nc_u32_e32 v42, s2, v40
	s_delay_alu instid0(VALU_DEP_1) | instskip(SKIP_1) | instid1(VALU_DEP_2)
	v_add_nc_u32_e32 v44, s2, v42
	v_ashrrev_i32_e32 v7, 31, v6
	v_dual_ashrrev_i32 v39, 31, v38 :: v_dual_ashrrev_i32 v45, 31, v44
	v_add_nc_u32_e32 v46, s2, v44
	s_delay_alu instid0(VALU_DEP_3)
	v_lshl_add_u64 v[6:7], v[6:7], 3, v[0:1]
	s_clause 0x3
	global_load_b64 v[124:125], v[8:9], off
	global_load_b64 v[122:123], v[6:7], off
	;; [unrolled: 1-line block ×4, first 2 shown]
	v_add_nc_u32_e32 v48, s2, v46
	v_ashrrev_i32_e32 v19, 31, v18
	s_wait_xcnt 0x2
	v_lshl_add_u64 v[6:7], v[24:25], 3, v[0:1]
	s_wait_xcnt 0x0
	v_lshl_add_u64 v[10:11], v[26:27], 3, v[0:1]
	v_lshl_add_u64 v[24:25], v[38:39], 3, v[0:1]
	v_add_nc_u32_e32 v66, s2, v48
	v_lshl_add_u64 v[18:19], v[18:19], 3, v[0:1]
	v_lshl_add_u64 v[26:27], v[40:41], 3, v[0:1]
	s_delay_alu instid0(VALU_DEP_3) | instskip(SKIP_1) | instid1(VALU_DEP_2)
	v_dual_ashrrev_i32 v49, 31, v48 :: v_dual_add_nc_u32 v68, s2, v66
	v_ashrrev_i32_e32 v23, 31, v22
	v_dual_ashrrev_i32 v47, 31, v46 :: v_dual_ashrrev_i32 v69, 31, v68
	v_add_nc_u32_e32 v74, s2, v68
	s_delay_alu instid0(VALU_DEP_3)
	v_lshl_add_u64 v[12:13], v[22:23], 3, v[0:1]
	s_clause 0x3
	global_load_b64 v[116:117], v[18:19], off
	global_load_b64 v[114:115], v[20:21], off
	;; [unrolled: 1-line block ×4, first 2 shown]
	v_add_nc_u32_e32 v14, s2, v74
	s_wait_xcnt 0x2
	v_lshl_add_u64 v[20:21], v[32:33], 3, v[0:1]
	v_lshl_add_u64 v[32:33], v[48:49], 3, v[0:1]
	s_delay_alu instid0(VALU_DEP_3) | instskip(SKIP_1) | instid1(VALU_DEP_1)
	v_add_nc_u32_e32 v8, s2, v14
	s_wait_xcnt 0x0
	v_dual_add_nc_u32 v6, s2, v8 :: v_dual_ashrrev_i32 v15, 31, v14
	s_delay_alu instid0(VALU_DEP_1) | instskip(SKIP_2) | instid1(VALU_DEP_4)
	v_dual_ashrrev_i32 v9, 31, v8 :: v_dual_add_nc_u32 v12, s2, v6
	v_ashrrev_i32_e32 v31, 31, v30
	v_ashrrev_i32_e32 v75, 31, v74
	v_lshl_add_u64 v[14:15], v[14:15], 3, v[0:1]
	s_delay_alu instid0(VALU_DEP_4)
	v_lshl_add_u64 v[8:9], v[8:9], 3, v[0:1]
	v_add_nc_u32_e32 v22, s2, v12
	v_lshl_add_u64 v[18:19], v[30:31], 3, v[0:1]
	s_clause 0x3
	global_load_b64 v[112:113], v[10:11], off
	global_load_b64 v[110:111], v[16:17], off
	;; [unrolled: 1-line block ×4, first 2 shown]
	s_wait_xcnt 0x3
	v_add_nc_u32_e32 v10, s2, v22
	s_wait_xcnt 0x2
	v_lshl_add_u64 v[16:17], v[34:35], 3, v[0:1]
	s_wait_xcnt 0x0
	v_lshl_add_u64 v[20:21], v[36:37], 3, v[0:1]
	s_clause 0x3
	global_load_b64 v[108:109], v[16:17], off
	global_load_b64 v[106:107], v[20:21], off
	;; [unrolled: 1-line block ×4, first 2 shown]
	v_add_nc_u32_e32 v18, s2, v10
	s_wait_xcnt 0x0
	v_lshl_add_u64 v[26:27], v[44:45], 3, v[0:1]
	v_lshl_add_u64 v[30:31], v[46:47], 3, v[0:1]
	v_ashrrev_i32_e32 v13, 31, v12
	v_lshl_add_u64 v[36:37], v[74:75], 3, v[0:1]
	v_add_nc_u32_e32 v28, s2, v18
	s_delay_alu instid0(VALU_DEP_3) | instskip(NEXT) | instid1(VALU_DEP_2)
	v_lshl_add_u64 v[12:13], v[12:13], 3, v[0:1]
	v_dual_add_nc_u32 v16, s2, v28 :: v_dual_ashrrev_i32 v43, 31, v42
	v_ashrrev_i32_e32 v7, 31, v6
	s_delay_alu instid0(VALU_DEP_2) | instskip(NEXT) | instid1(VALU_DEP_3)
	v_dual_ashrrev_i32 v11, 31, v10 :: v_dual_add_nc_u32 v24, s2, v16
	v_lshl_add_u64 v[20:21], v[42:43], 3, v[0:1]
	s_clause 0x3
	global_load_b64 v[104:105], v[20:21], off
	global_load_b64 v[102:103], v[26:27], off
	;; [unrolled: 1-line block ×4, first 2 shown]
	v_add_nc_u32_e32 v34, s2, v24
	s_wait_xcnt 0x0
	v_lshl_add_u64 v[32:33], v[68:69], 3, v[0:1]
	v_dual_ashrrev_i32 v23, 31, v22 :: v_dual_ashrrev_i32 v25, 31, v24
	s_delay_alu instid0(VALU_DEP_3) | instskip(SKIP_2) | instid1(VALU_DEP_4)
	v_dual_ashrrev_i32 v17, 31, v16 :: v_dual_add_nc_u32 v20, s2, v34
	v_ashrrev_i32_e32 v67, 31, v66
	v_lshl_add_u64 v[6:7], v[6:7], 3, v[0:1]
	v_lshl_add_u64 v[22:23], v[22:23], 3, v[0:1]
	s_delay_alu instid0(VALU_DEP_4)
	v_dual_ashrrev_i32 v19, 31, v18 :: v_dual_ashrrev_i32 v21, 31, v20
	v_add_nc_u32_e32 v30, s2, v20
	v_lshl_add_u64 v[26:27], v[66:67], 3, v[0:1]
	s_clause 0x3
	global_load_b64 v[100:101], v[26:27], off
	global_load_b64 v[98:99], v[32:33], off
	;; [unrolled: 1-line block ×4, first 2 shown]
	v_dual_add_nc_u32 v66, s2, v30 :: v_dual_ashrrev_i32 v29, 31, v28
	s_clause 0x3
	global_load_b64 v[96:97], v[8:9], off
	global_load_b64 v[94:95], v[6:7], off
	;; [unrolled: 1-line block ×4, first 2 shown]
	s_wait_xcnt 0x3
	v_lshl_add_u64 v[8:9], v[10:11], 3, v[0:1]
	s_wait_xcnt 0x1
	v_lshl_add_u64 v[12:13], v[18:19], 3, v[0:1]
	v_add_nc_u32_e32 v14, s2, v66
	v_lshl_add_u64 v[18:19], v[28:29], 3, v[0:1]
	v_lshl_add_u64 v[16:17], v[16:17], 3, v[0:1]
	s_clause 0x3
	global_load_b64 v[92:93], v[8:9], off
	global_load_b64 v[90:91], v[12:13], off
	;; [unrolled: 1-line block ×4, first 2 shown]
	v_add_nc_u32_e32 v26, s2, v14
	v_ashrrev_i32_e32 v31, 31, v30
	s_wait_xcnt 0x2
	v_lshl_add_u64 v[12:13], v[24:25], 3, v[0:1]
	v_lshl_add_u64 v[20:21], v[20:21], 3, v[0:1]
	v_add_nc_u32_e32 v68, s2, v26
	v_lshl_add_u64 v[22:23], v[30:31], 3, v[0:1]
	s_delay_alu instid0(VALU_DEP_2) | instskip(NEXT) | instid1(VALU_DEP_1)
	v_add_nc_u32_e32 v6, s2, v68
	v_add_nc_u32_e32 v10, s2, v6
	s_delay_alu instid0(VALU_DEP_1) | instskip(NEXT) | instid1(VALU_DEP_1)
	v_add_nc_u32_e32 v28, s2, v10
	v_dual_ashrrev_i32 v27, 31, v26 :: v_dual_ashrrev_i32 v29, 31, v28
	v_dual_add_nc_u32 v8, s2, v28 :: v_dual_ashrrev_i32 v67, 31, v66
	v_dual_ashrrev_i32 v69, 31, v68 :: v_dual_ashrrev_i32 v7, 31, v6
	s_delay_alu instid0(VALU_DEP_3) | instskip(SKIP_1) | instid1(VALU_DEP_3)
	v_lshl_add_u64 v[28:29], v[28:29], 3, v[0:1]
	s_wait_xcnt 0x0
	v_dual_add_nc_u32 v16, s2, v8 :: v_dual_ashrrev_i32 v35, 31, v34
	v_ashrrev_i32_e32 v9, 31, v8
	v_lshl_add_u64 v[6:7], v[6:7], 3, v[0:1]
	s_delay_alu instid0(VALU_DEP_3) | instskip(NEXT) | instid1(VALU_DEP_4)
	v_add_nc_u32_e32 v30, s2, v16
	v_lshl_add_u64 v[18:19], v[34:35], 3, v[0:1]
	s_clause 0x3
	global_load_b64 v[88:89], v[12:13], off
	global_load_b64 v[86:87], v[18:19], off
	;; [unrolled: 1-line block ×4, first 2 shown]
	s_wait_xcnt 0x3
	v_add_nc_u32_e32 v12, s2, v30
	v_ashrrev_i32_e32 v15, 31, v14
	s_wait_xcnt 0x2
	v_lshl_add_u64 v[18:19], v[66:67], 3, v[0:1]
	s_wait_xcnt 0x1
	v_lshl_add_u64 v[20:21], v[26:27], 3, v[0:1]
	v_lshl_add_u64 v[26:27], v[68:69], 3, v[0:1]
	v_add_nc_u32_e32 v34, s2, v12
	v_lshl_add_u64 v[14:15], v[14:15], 3, v[0:1]
	s_clause 0x3
	global_load_b64 v[84:85], v[18:19], off
	global_load_b64 v[82:83], v[14:15], off
	global_load_b64 v[24:25], v[20:21], off
	global_load_b64 v[22:23], v[26:27], off
	v_dual_add_nc_u32 v66, s2, v34 :: v_dual_ashrrev_i32 v17, 31, v16
	v_dual_ashrrev_i32 v11, 31, v10 :: v_dual_ashrrev_i32 v13, 31, v12
	v_lshl_add_u64 v[8:9], v[8:9], 3, v[0:1]
	s_wait_xcnt 0x2
	s_delay_alu instid0(VALU_DEP_3)
	v_add_nc_u32_e32 v14, s2, v66
	v_ashrrev_i32_e32 v31, 31, v30
	v_lshl_add_u64 v[10:11], v[10:11], 3, v[0:1]
	s_clause 0x3
	global_load_b64 v[80:81], v[6:7], off
	global_load_b64 v[78:79], v[10:11], off
	;; [unrolled: 1-line block ×4, first 2 shown]
	s_wait_xcnt 0x4
	v_add_nc_u32_e32 v26, s2, v14
	s_wait_xcnt 0x0
	v_lshl_add_u64 v[8:9], v[16:17], 3, v[0:1]
	v_lshl_add_u64 v[10:11], v[30:31], 3, v[0:1]
	;; [unrolled: 1-line block ×3, first 2 shown]
	v_add_nc_u32_e32 v68, s2, v26
	s_delay_alu instid0(VALU_DEP_1) | instskip(SKIP_2) | instid1(VALU_DEP_3)
	v_dual_add_nc_u32 v6, s2, v68 :: v_dual_ashrrev_i32 v15, 31, v14
	v_ashrrev_i32_e32 v27, 31, v26
	v_dual_ashrrev_i32 v35, 31, v34 :: v_dual_ashrrev_i32 v69, 31, v68
	v_add_nc_u32_e32 v130, s2, v6
	s_delay_alu instid0(VALU_DEP_3) | instskip(NEXT) | instid1(VALU_DEP_3)
	v_lshl_add_u64 v[26:27], v[26:27], 3, v[0:1]
	v_lshl_add_u64 v[28:29], v[34:35], 3, v[0:1]
	s_clause 0x3
	global_load_b64 v[76:77], v[8:9], off
	global_load_b64 v[74:75], v[10:11], off
	;; [unrolled: 1-line block ×3, first 2 shown]
	; meta instruction
	; meta instruction
	; meta instruction
	global_load_b64 v[28:29], v[28:29], off
	v_add_nc_u32_e32 v30, s2, v130
	s_wait_xcnt 0x2
	v_lshl_add_u64 v[10:11], v[14:15], 3, v[0:1]
	v_lshl_add_u64 v[34:35], v[68:69], 3, v[0:1]
	s_wait_xcnt 0x1
	v_add_nc_u32_e32 v12, s2, v30
	s_delay_alu instid0(VALU_DEP_1) | instskip(SKIP_1) | instid1(VALU_DEP_2)
	v_dual_ashrrev_i32 v7, 31, v6 :: v_dual_ashrrev_i32 v13, 31, v12
	v_dual_add_nc_u32 v14, s2, v12 :: v_dual_ashrrev_i32 v131, 31, v130
	v_lshl_add_u64 v[6:7], v[6:7], 3, v[0:1]
	s_delay_alu instid0(VALU_DEP_3) | instskip(NEXT) | instid1(VALU_DEP_3)
	v_lshl_add_u64 v[12:13], v[12:13], 3, v[0:1]
	v_dual_add_nc_u32 v136, s2, v14 :: v_dual_ashrrev_i32 v15, 31, v14
	v_ashrrev_i32_e32 v67, 31, v66
	s_delay_alu instid0(VALU_DEP_2) | instskip(NEXT) | instid1(VALU_DEP_3)
	v_dual_ashrrev_i32 v31, 31, v30 :: v_dual_ashrrev_i32 v137, 31, v136
	v_lshl_add_u64 v[14:15], v[14:15], 3, v[0:1]
	s_delay_alu instid0(VALU_DEP_3)
	v_lshl_add_u64 v[8:9], v[66:67], 3, v[0:1]
	s_clause 0x3
	global_load_b64 v[68:69], v[8:9], off
	global_load_b64 v[66:67], v[10:11], off
	;; [unrolled: 1-line block ×4, first 2 shown]
	s_wait_xcnt 0x0
	v_add_nc_u32_e32 v34, s2, v136
	v_lshl_add_u64 v[26:27], v[130:131], 3, v[0:1]
	v_lshl_add_u64 v[130:131], v[30:31], 3, v[0:1]
	;; [unrolled: 1-line block ×3, first 2 shown]
	s_delay_alu instid0(VALU_DEP_4) | instskip(NEXT) | instid1(VALU_DEP_1)
	v_ashrrev_i32_e32 v35, 31, v34
	v_lshl_add_u64 v[140:141], v[34:35], 3, v[0:1]
	s_clause 0x6
	global_load_b64 v[34:35], v[6:7], off
	global_load_b64 v[30:31], v[26:27], off
	;; [unrolled: 1-line block ×7, first 2 shown]
	s_wait_xcnt 0x1
	v_mul_lo_u32 v137, s4, v134
	s_load_b64 s[4:5], s[0:1], 0x40
	s_delay_alu instid0(VALU_DEP_1) | instskip(NEXT) | instid1(VALU_DEP_1)
	v_lshl_add_u32 v136, v137, 3, 0
	v_dual_lshlrev_b32 v137, 3, v137 :: v_dual_add_nc_u32 v132, v136, v132
	s_wait_loadcnt 0x38
	ds_store_b64 v132, v[128:129]
	s_wait_loadcnt_dscnt 0x0
	s_barrier_signal -1
	s_barrier_wait -1
	ds_load_b64 v[134:135], v136
	s_cbranch_scc1 .LBB124_6
; %bb.4:
	v_add3_u32 v132, v137, 0, 8
	v_mov_b32_e32 v133, 0
	s_wait_xcnt 0x0
	s_mov_b32 s1, 1
.LBB124_5:                              ; =>This Inner Loop Header: Depth=1
	ds_load_b64 v[140:141], v132
	s_wait_dscnt 0x1
	v_cmp_gt_f32_e32 vcc_lo, 0, v134
	v_cmp_gt_f32_e64 s0, 0, v135
	s_delay_alu instid0(VALU_DEP_1) | instskip(SKIP_3) | instid1(VALU_DEP_1)
	v_dual_cndmask_b32 v142, v134, -v134, vcc_lo :: v_dual_cndmask_b32 v144, v135, -v135, s0
	s_wait_dscnt 0x0
	v_cmp_gt_f32_e32 vcc_lo, 0, v140
	v_cmp_gt_f32_e64 s0, 0, v141
	v_dual_cndmask_b32 v143, v140, -v140, vcc_lo :: v_dual_cndmask_b32 v145, v141, -v141, s0
	s_delay_alu instid0(VALU_DEP_1) | instskip(NEXT) | instid1(VALU_DEP_1)
	v_pk_add_f32 v[142:143], v[142:143], v[144:145]
	v_cmp_lt_f32_e32 vcc_lo, v142, v143
	v_dual_cndmask_b32 v135, v135, v141 :: v_dual_add_nc_u32 v132, 8, v132
	v_cndmask_b32_e32 v134, v134, v140, vcc_lo
	v_cndmask_b32_e64 v133, v133, s1, vcc_lo
	s_add_co_i32 s1, s1, 1
	s_delay_alu instid0(SALU_CYCLE_1)
	s_cmp_eq_u32 s18, s1
	s_cbranch_scc0 .LBB124_5
.LBB124_6:
	s_wait_dscnt 0x0
	v_cmp_neq_f32_e32 vcc_lo, 0, v134
	s_wait_xcnt 0x0
	v_cmp_neq_f32_e64 s0, 0, v135
	v_dual_mov_b32 v138, 1 :: v_dual_mov_b32 v141, 1
	s_or_b32 s1, vcc_lo, s0
	s_delay_alu instid0(SALU_CYCLE_1)
	s_and_saveexec_b32 s0, s1
	s_cbranch_execz .LBB124_12
; %bb.7:
	v_cmp_ngt_f32_e64 s1, |v134|, |v135|
	s_and_saveexec_b32 s12, s1
	s_delay_alu instid0(SALU_CYCLE_1)
	s_xor_b32 s1, exec_lo, s12
	s_cbranch_execz .LBB124_9
; %bb.8:
	v_div_scale_f32 v132, null, v135, v135, v134
	v_div_scale_f32 v141, vcc_lo, v134, v135, v134
	s_delay_alu instid0(VALU_DEP_2) | instskip(SKIP_1) | instid1(TRANS32_DEP_1)
	v_rcp_f32_e32 v138, v132
	v_nop
	v_fma_f32 v140, -v132, v138, 1.0
	s_delay_alu instid0(VALU_DEP_1) | instskip(NEXT) | instid1(VALU_DEP_1)
	v_fmac_f32_e32 v138, v140, v138
	v_mul_f32_e32 v140, v141, v138
	s_delay_alu instid0(VALU_DEP_1) | instskip(NEXT) | instid1(VALU_DEP_1)
	v_fma_f32 v142, -v132, v140, v141
	v_fmac_f32_e32 v140, v142, v138
	s_delay_alu instid0(VALU_DEP_1) | instskip(NEXT) | instid1(VALU_DEP_1)
	v_fma_f32 v132, -v132, v140, v141
	v_div_fmas_f32 v132, v132, v138, v140
	s_delay_alu instid0(VALU_DEP_1) | instskip(NEXT) | instid1(VALU_DEP_1)
	v_div_fixup_f32 v132, v132, v135, v134
	v_fmac_f32_e32 v135, v134, v132
	s_delay_alu instid0(VALU_DEP_1) | instskip(SKIP_1) | instid1(VALU_DEP_2)
	v_div_scale_f32 v134, null, v135, v135, 1.0
	v_div_scale_f32 v141, vcc_lo, 1.0, v135, 1.0
	v_rcp_f32_e32 v138, v134
	v_nop
	s_delay_alu instid0(TRANS32_DEP_1) | instskip(NEXT) | instid1(VALU_DEP_1)
	v_fma_f32 v140, -v134, v138, 1.0
	v_fmac_f32_e32 v138, v140, v138
	s_delay_alu instid0(VALU_DEP_1) | instskip(NEXT) | instid1(VALU_DEP_1)
	v_mul_f32_e32 v140, v141, v138
	v_fma_f32 v142, -v134, v140, v141
	s_delay_alu instid0(VALU_DEP_1) | instskip(NEXT) | instid1(VALU_DEP_1)
	v_fmac_f32_e32 v140, v142, v138
	v_fma_f32 v134, -v134, v140, v141
	s_delay_alu instid0(VALU_DEP_1) | instskip(NEXT) | instid1(VALU_DEP_1)
	v_div_fmas_f32 v134, v134, v138, v140
	v_div_fixup_f32 v135, v134, v135, 1.0
	s_delay_alu instid0(VALU_DEP_1)
	v_mul_f32_e32 v134, v132, v135
	v_xor_b32_e32 v135, 0x80000000, v135
.LBB124_9:
	s_and_not1_saveexec_b32 s1, s1
	s_cbranch_execz .LBB124_11
; %bb.10:
	s_delay_alu instid0(VALU_DEP_1) | instskip(SKIP_1) | instid1(VALU_DEP_2)
	v_div_scale_f32 v132, null, v134, v134, v135
	v_div_scale_f32 v141, vcc_lo, v135, v134, v135
	v_rcp_f32_e32 v138, v132
	v_nop
	s_delay_alu instid0(TRANS32_DEP_1) | instskip(NEXT) | instid1(VALU_DEP_1)
	v_fma_f32 v140, -v132, v138, 1.0
	v_fmac_f32_e32 v138, v140, v138
	s_delay_alu instid0(VALU_DEP_1) | instskip(NEXT) | instid1(VALU_DEP_1)
	v_mul_f32_e32 v140, v141, v138
	v_fma_f32 v142, -v132, v140, v141
	s_delay_alu instid0(VALU_DEP_1) | instskip(NEXT) | instid1(VALU_DEP_1)
	v_fmac_f32_e32 v140, v142, v138
	v_fma_f32 v132, -v132, v140, v141
	s_delay_alu instid0(VALU_DEP_1) | instskip(NEXT) | instid1(VALU_DEP_1)
	v_div_fmas_f32 v132, v132, v138, v140
	v_div_fixup_f32 v132, v132, v134, v135
	s_delay_alu instid0(VALU_DEP_1) | instskip(NEXT) | instid1(VALU_DEP_1)
	v_fmac_f32_e32 v134, v135, v132
	v_div_scale_f32 v135, null, v134, v134, 1.0
	s_delay_alu instid0(VALU_DEP_1) | instskip(SKIP_1) | instid1(TRANS32_DEP_1)
	v_rcp_f32_e32 v138, v135
	v_nop
	v_fma_f32 v140, -v135, v138, 1.0
	s_delay_alu instid0(VALU_DEP_1) | instskip(SKIP_1) | instid1(VALU_DEP_1)
	v_fmac_f32_e32 v138, v140, v138
	v_div_scale_f32 v140, vcc_lo, 1.0, v134, 1.0
	v_mul_f32_e32 v141, v140, v138
	s_delay_alu instid0(VALU_DEP_1) | instskip(NEXT) | instid1(VALU_DEP_1)
	v_fma_f32 v142, -v135, v141, v140
	v_fmac_f32_e32 v141, v142, v138
	s_delay_alu instid0(VALU_DEP_1) | instskip(NEXT) | instid1(VALU_DEP_1)
	v_fma_f32 v135, -v135, v141, v140
	v_div_fmas_f32 v135, v135, v138, v141
	s_delay_alu instid0(VALU_DEP_1) | instskip(NEXT) | instid1(VALU_DEP_1)
	v_div_fixup_f32 v134, v135, v134, 1.0
	v_mul_f32_e64 v135, v132, -v134
.LBB124_11:
	s_or_b32 exec_lo, exec_lo, s1
	v_dual_mov_b32 v141, 0 :: v_dual_mov_b32 v138, 2
.LBB124_12:
	s_or_b32 exec_lo, exec_lo, s0
	s_delay_alu instid0(SALU_CYCLE_1)
	s_mov_b32 s0, exec_lo
	v_cmpx_ne_u32_e64 v139, v133
	s_xor_b32 s0, exec_lo, s0
	s_cbranch_execz .LBB124_18
; %bb.13:
	s_mov_b32 s1, exec_lo
	v_cmpx_eq_u32_e32 0, v139
	s_cbranch_execz .LBB124_17
; %bb.14:
	v_cmp_ne_u32_e32 vcc_lo, 0, v133
	s_xor_b32 s12, s16, -1
	s_delay_alu instid0(SALU_CYCLE_1) | instskip(NEXT) | instid1(SALU_CYCLE_1)
	s_and_b32 s13, s12, vcc_lo
	s_and_saveexec_b32 s12, s13
	s_cbranch_execz .LBB124_16
; %bb.15:
	v_dual_mov_b32 v142, v133 :: v_dual_ashrrev_i32 v143, 31, v133
	s_delay_alu instid0(VALU_DEP_1)
	v_lshl_add_u64 v[142:143], v[142:143], 2, v[4:5]
	s_clause 0x1
	global_load_b32 v132, v[142:143], off
	global_load_b32 v139, v[4:5], off
	s_wait_loadcnt 0x1
	global_store_b32 v[4:5], v132, off
	s_wait_loadcnt 0x0
	global_store_b32 v[142:143], v139, off
.LBB124_16:
	s_wait_xcnt 0x0
	s_or_b32 exec_lo, exec_lo, s12
	v_mov_b32_e32 v139, v133
.LBB124_17:
	s_or_b32 exec_lo, exec_lo, s1
.LBB124_18:
	s_or_saveexec_b32 s0, s0
	s_delay_alu instid0(VALU_DEP_1)
	v_mov_b32_e32 v140, v139
	s_xor_b32 exec_lo, exec_lo, s0
	s_cbranch_execz .LBB124_20
; %bb.19:
	v_mov_b32_e32 v140, 0
	ds_store_2addr_b64 v136, v[126:127], v[124:125] offset0:1 offset1:2
	ds_store_2addr_b64 v136, v[122:123], v[120:121] offset0:3 offset1:4
	;; [unrolled: 1-line block ×31, first 2 shown]
.LBB124_20:
	s_or_b32 exec_lo, exec_lo, s0
	s_delay_alu instid0(SALU_CYCLE_1)
	s_mov_b32 s0, exec_lo
	s_wait_storecnt_dscnt 0x0
	s_barrier_signal -1
	s_barrier_wait -1
	v_cmpx_lt_i32_e32 0, v140
	s_cbranch_execz .LBB124_22
; %bb.21:
	v_pk_mul_f32 v[142:143], v[134:135], v[128:129] op_sel:[1,1] op_sel_hi:[0,1]
	s_delay_alu instid0(VALU_DEP_1)
	v_pk_fma_f32 v[132:133], v[134:135], v[128:129], v[142:143] op_sel_hi:[1,0,1] neg_lo:[0,0,1] neg_hi:[0,0,1]
	v_pk_fma_f32 v[134:135], v[134:135], v[128:129], v[142:143] op_sel_hi:[1,0,1]
	ds_load_2addr_b64 v[142:145], v136 offset0:1 offset1:2
	v_dual_mov_b32 v128, v132 :: v_dual_mov_b32 v129, v135
	s_wait_dscnt 0x0
	v_pk_mul_f32 v[146:147], v[142:143], v[134:135] op_sel:[0,1]
	s_delay_alu instid0(VALU_DEP_1) | instskip(SKIP_1) | instid1(VALU_DEP_1)
	v_pk_fma_f32 v[148:149], v[142:143], v[132:133], v[146:147] op_sel:[0,0,1] op_sel_hi:[1,1,0] neg_lo:[0,0,1] neg_hi:[0,0,1]
	v_pk_fma_f32 v[142:143], v[142:143], v[132:133], v[146:147] op_sel:[0,0,1] op_sel_hi:[1,0,0]
	v_mov_b32_e32 v149, v143
	v_pk_mul_f32 v[142:143], v[144:145], v[134:135] op_sel:[0,1]
	s_delay_alu instid0(VALU_DEP_1) | instskip(SKIP_1) | instid1(VALU_DEP_1)
	v_pk_fma_f32 v[146:147], v[144:145], v[132:133], v[142:143] op_sel:[0,0,1] op_sel_hi:[1,1,0] neg_lo:[0,0,1] neg_hi:[0,0,1]
	v_pk_fma_f32 v[142:143], v[144:145], v[132:133], v[142:143] op_sel:[0,0,1] op_sel_hi:[1,0,0]
	v_mov_b32_e32 v147, v143
	ds_load_2addr_b64 v[142:145], v136 offset0:3 offset1:4
	v_pk_add_f32 v[126:127], v[126:127], v[148:149] neg_lo:[0,1] neg_hi:[0,1]
	v_pk_add_f32 v[124:125], v[124:125], v[146:147] neg_lo:[0,1] neg_hi:[0,1]
	s_wait_dscnt 0x0
	v_pk_mul_f32 v[146:147], v[142:143], v[134:135] op_sel:[0,1]
	s_delay_alu instid0(VALU_DEP_1) | instskip(SKIP_2) | instid1(VALU_DEP_2)
	v_pk_fma_f32 v[148:149], v[142:143], v[132:133], v[146:147] op_sel:[0,0,1] op_sel_hi:[1,1,0] neg_lo:[0,0,1] neg_hi:[0,0,1]
	v_pk_fma_f32 v[142:143], v[142:143], v[132:133], v[146:147] op_sel:[0,0,1] op_sel_hi:[1,0,0]
	v_dual_mul_f32 v146, v145, v135 :: v_dual_mov_b32 v142, v145
	v_dual_mov_b32 v149, v143 :: v_dual_mov_b32 v143, v144
	s_delay_alu instid0(VALU_DEP_2) | instskip(SKIP_1) | instid1(VALU_DEP_3)
	v_pk_fma_f32 v[146:147], v[144:145], v[128:129], v[146:147] op_sel_hi:[1,1,0] neg_lo:[0,0,1] neg_hi:[0,0,1]
	v_mul_f32_e32 v144, v145, v132
	v_pk_add_f32 v[122:123], v[122:123], v[148:149] neg_lo:[0,1] neg_hi:[0,1]
	s_delay_alu instid0(VALU_DEP_2) | instskip(NEXT) | instid1(VALU_DEP_1)
	v_pk_fma_f32 v[142:143], v[142:143], v[128:129], v[144:145] op_sel_hi:[1,1,0]
	v_mov_b32_e32 v147, v143
	ds_load_2addr_b64 v[142:145], v136 offset0:5 offset1:6
	v_pk_add_f32 v[120:121], v[120:121], v[146:147] neg_lo:[0,1] neg_hi:[0,1]
	s_wait_dscnt 0x0
	v_pk_mul_f32 v[146:147], v[142:143], v[134:135] op_sel:[0,1]
	s_delay_alu instid0(VALU_DEP_1) | instskip(SKIP_1) | instid1(VALU_DEP_1)
	v_pk_fma_f32 v[148:149], v[142:143], v[132:133], v[146:147] op_sel:[0,0,1] op_sel_hi:[1,1,0] neg_lo:[0,0,1] neg_hi:[0,0,1]
	v_pk_fma_f32 v[142:143], v[142:143], v[132:133], v[146:147] op_sel:[0,0,1] op_sel_hi:[1,0,0]
	v_mov_b32_e32 v149, v143
	v_pk_mul_f32 v[142:143], v[144:145], v[134:135] op_sel:[0,1]
	s_delay_alu instid0(VALU_DEP_1) | instskip(SKIP_1) | instid1(VALU_DEP_1)
	v_pk_fma_f32 v[146:147], v[144:145], v[132:133], v[142:143] op_sel:[0,0,1] op_sel_hi:[1,1,0] neg_lo:[0,0,1] neg_hi:[0,0,1]
	v_pk_fma_f32 v[142:143], v[144:145], v[132:133], v[142:143] op_sel:[0,0,1] op_sel_hi:[1,0,0]
	v_mov_b32_e32 v147, v143
	ds_load_2addr_b64 v[142:145], v136 offset0:7 offset1:8
	v_pk_add_f32 v[118:119], v[118:119], v[148:149] neg_lo:[0,1] neg_hi:[0,1]
	v_pk_add_f32 v[72:73], v[72:73], v[146:147] neg_lo:[0,1] neg_hi:[0,1]
	s_wait_dscnt 0x0
	v_pk_mul_f32 v[146:147], v[142:143], v[134:135] op_sel:[0,1]
	s_delay_alu instid0(VALU_DEP_1) | instskip(SKIP_1) | instid1(VALU_DEP_1)
	v_pk_fma_f32 v[148:149], v[142:143], v[132:133], v[146:147] op_sel:[0,0,1] op_sel_hi:[1,1,0] neg_lo:[0,0,1] neg_hi:[0,0,1]
	v_pk_fma_f32 v[142:143], v[142:143], v[132:133], v[146:147] op_sel:[0,0,1] op_sel_hi:[1,0,0]
	v_mov_b32_e32 v149, v143
	v_pk_mul_f32 v[142:143], v[144:145], v[134:135] op_sel:[0,1]
	s_delay_alu instid0(VALU_DEP_1) | instskip(SKIP_1) | instid1(VALU_DEP_1)
	v_pk_fma_f32 v[146:147], v[144:145], v[132:133], v[142:143] op_sel:[0,0,1] op_sel_hi:[1,1,0] neg_lo:[0,0,1] neg_hi:[0,0,1]
	v_pk_fma_f32 v[142:143], v[144:145], v[132:133], v[142:143] op_sel:[0,0,1] op_sel_hi:[1,0,0]
	v_mov_b32_e32 v147, v143
	ds_load_2addr_b64 v[142:145], v136 offset0:9 offset1:10
	v_pk_add_f32 v[70:71], v[70:71], v[148:149] neg_lo:[0,1] neg_hi:[0,1]
	v_pk_add_f32 v[116:117], v[116:117], v[146:147] neg_lo:[0,1] neg_hi:[0,1]
	s_wait_dscnt 0x0
	v_dual_mul_f32 v146, v143, v135 :: v_dual_mul_f32 v148, v143, v132
	s_delay_alu instid0(VALU_DEP_1) | instskip(NEXT) | instid1(VALU_DEP_2)
	v_pk_fma_f32 v[146:147], v[142:143], v[128:129], v[146:147] op_sel_hi:[1,1,0] neg_lo:[0,0,1] neg_hi:[0,0,1]
	v_pk_fma_f32 v[142:143], v[142:143], v[128:129], v[148:149] op_sel:[1,0,0] op_sel_hi:[0,1,0]
	s_delay_alu instid0(VALU_DEP_1) | instskip(SKIP_1) | instid1(VALU_DEP_2)
	v_mov_b32_e32 v147, v143
	v_pk_mul_f32 v[142:143], v[144:145], v[134:135] op_sel:[0,1]
	v_pk_add_f32 v[114:115], v[114:115], v[146:147] neg_lo:[0,1] neg_hi:[0,1]
	s_delay_alu instid0(VALU_DEP_2) | instskip(SKIP_1) | instid1(VALU_DEP_1)
	v_pk_fma_f32 v[146:147], v[144:145], v[132:133], v[142:143] op_sel:[0,0,1] op_sel_hi:[1,1,0] neg_lo:[0,0,1] neg_hi:[0,0,1]
	v_pk_fma_f32 v[142:143], v[144:145], v[132:133], v[142:143] op_sel:[0,0,1] op_sel_hi:[1,0,0]
	v_mov_b32_e32 v147, v143
	ds_load_2addr_b64 v[142:145], v136 offset0:11 offset1:12
	v_pk_add_f32 v[64:65], v[64:65], v[146:147] neg_lo:[0,1] neg_hi:[0,1]
	s_wait_dscnt 0x0
	v_pk_mul_f32 v[146:147], v[142:143], v[134:135] op_sel:[0,1]
	s_delay_alu instid0(VALU_DEP_1) | instskip(SKIP_1) | instid1(VALU_DEP_1)
	v_pk_fma_f32 v[148:149], v[142:143], v[132:133], v[146:147] op_sel:[0,0,1] op_sel_hi:[1,1,0] neg_lo:[0,0,1] neg_hi:[0,0,1]
	v_pk_fma_f32 v[142:143], v[142:143], v[132:133], v[146:147] op_sel:[0,0,1] op_sel_hi:[1,0,0]
	v_mov_b32_e32 v149, v143
	v_pk_mul_f32 v[142:143], v[144:145], v[134:135] op_sel:[0,1]
	s_delay_alu instid0(VALU_DEP_2) | instskip(NEXT) | instid1(VALU_DEP_2)
	v_pk_add_f32 v[62:63], v[62:63], v[148:149] neg_lo:[0,1] neg_hi:[0,1]
	v_pk_fma_f32 v[146:147], v[144:145], v[132:133], v[142:143] op_sel:[0,0,1] op_sel_hi:[1,1,0] neg_lo:[0,0,1] neg_hi:[0,0,1]
	v_pk_fma_f32 v[142:143], v[144:145], v[132:133], v[142:143] op_sel:[0,0,1] op_sel_hi:[1,0,0]
	s_delay_alu instid0(VALU_DEP_1) | instskip(SKIP_4) | instid1(VALU_DEP_1)
	v_mov_b32_e32 v147, v143
	ds_load_2addr_b64 v[142:145], v136 offset0:13 offset1:14
	v_pk_add_f32 v[112:113], v[112:113], v[146:147] neg_lo:[0,1] neg_hi:[0,1]
	s_wait_dscnt 0x0
	v_pk_mul_f32 v[146:147], v[142:143], v[134:135] op_sel:[0,1]
	v_pk_fma_f32 v[148:149], v[142:143], v[132:133], v[146:147] op_sel:[0,0,1] op_sel_hi:[1,1,0] neg_lo:[0,0,1] neg_hi:[0,0,1]
	v_pk_fma_f32 v[142:143], v[142:143], v[132:133], v[146:147] op_sel:[0,0,1] op_sel_hi:[1,0,0]
	v_dual_mul_f32 v146, v145, v135 :: v_dual_mov_b32 v142, v145
	s_delay_alu instid0(VALU_DEP_2) | instskip(NEXT) | instid1(VALU_DEP_2)
	v_dual_mov_b32 v149, v143 :: v_dual_mov_b32 v143, v144
	v_pk_fma_f32 v[146:147], v[144:145], v[128:129], v[146:147] op_sel_hi:[1,1,0] neg_lo:[0,0,1] neg_hi:[0,0,1]
	v_mul_f32_e32 v144, v145, v132
	s_delay_alu instid0(VALU_DEP_3) | instskip(NEXT) | instid1(VALU_DEP_2)
	v_pk_add_f32 v[110:111], v[110:111], v[148:149] neg_lo:[0,1] neg_hi:[0,1]
	v_pk_fma_f32 v[142:143], v[142:143], v[128:129], v[144:145] op_sel_hi:[1,1,0]
	s_delay_alu instid0(VALU_DEP_1) | instskip(SKIP_4) | instid1(VALU_DEP_1)
	v_mov_b32_e32 v147, v143
	ds_load_2addr_b64 v[142:145], v136 offset0:15 offset1:16
	v_pk_add_f32 v[60:61], v[60:61], v[146:147] neg_lo:[0,1] neg_hi:[0,1]
	s_wait_dscnt 0x0
	v_pk_mul_f32 v[146:147], v[142:143], v[134:135] op_sel:[0,1]
	v_pk_fma_f32 v[148:149], v[142:143], v[132:133], v[146:147] op_sel:[0,0,1] op_sel_hi:[1,1,0] neg_lo:[0,0,1] neg_hi:[0,0,1]
	v_pk_fma_f32 v[142:143], v[142:143], v[132:133], v[146:147] op_sel:[0,0,1] op_sel_hi:[1,0,0]
	s_delay_alu instid0(VALU_DEP_1) | instskip(SKIP_1) | instid1(VALU_DEP_1)
	v_mov_b32_e32 v149, v143
	v_pk_mul_f32 v[142:143], v[144:145], v[134:135] op_sel:[0,1]
	v_pk_fma_f32 v[146:147], v[144:145], v[132:133], v[142:143] op_sel:[0,0,1] op_sel_hi:[1,1,0] neg_lo:[0,0,1] neg_hi:[0,0,1]
	v_pk_fma_f32 v[142:143], v[144:145], v[132:133], v[142:143] op_sel:[0,0,1] op_sel_hi:[1,0,0]
	s_delay_alu instid0(VALU_DEP_1)
	v_mov_b32_e32 v147, v143
	ds_load_2addr_b64 v[142:145], v136 offset0:17 offset1:18
	v_pk_add_f32 v[58:59], v[58:59], v[148:149] neg_lo:[0,1] neg_hi:[0,1]
	v_pk_add_f32 v[108:109], v[108:109], v[146:147] neg_lo:[0,1] neg_hi:[0,1]
	s_wait_dscnt 0x0
	v_pk_mul_f32 v[146:147], v[142:143], v[134:135] op_sel:[0,1]
	s_delay_alu instid0(VALU_DEP_1) | instskip(SKIP_1) | instid1(VALU_DEP_1)
	v_pk_fma_f32 v[148:149], v[142:143], v[132:133], v[146:147] op_sel:[0,0,1] op_sel_hi:[1,1,0] neg_lo:[0,0,1] neg_hi:[0,0,1]
	v_pk_fma_f32 v[142:143], v[142:143], v[132:133], v[146:147] op_sel:[0,0,1] op_sel_hi:[1,0,0]
	v_mov_b32_e32 v149, v143
	v_pk_mul_f32 v[142:143], v[144:145], v[134:135] op_sel:[0,1]
	s_delay_alu instid0(VALU_DEP_1) | instskip(SKIP_1) | instid1(VALU_DEP_1)
	v_pk_fma_f32 v[146:147], v[144:145], v[132:133], v[142:143] op_sel:[0,0,1] op_sel_hi:[1,1,0] neg_lo:[0,0,1] neg_hi:[0,0,1]
	v_pk_fma_f32 v[142:143], v[144:145], v[132:133], v[142:143] op_sel:[0,0,1] op_sel_hi:[1,0,0]
	v_mov_b32_e32 v147, v143
	ds_load_2addr_b64 v[142:145], v136 offset0:19 offset1:20
	v_pk_add_f32 v[106:107], v[106:107], v[148:149] neg_lo:[0,1] neg_hi:[0,1]
	v_pk_add_f32 v[56:57], v[56:57], v[146:147] neg_lo:[0,1] neg_hi:[0,1]
	s_wait_dscnt 0x0
	v_dual_mul_f32 v146, v143, v135 :: v_dual_mul_f32 v148, v143, v132
	s_delay_alu instid0(VALU_DEP_1) | instskip(NEXT) | instid1(VALU_DEP_2)
	v_pk_fma_f32 v[146:147], v[142:143], v[128:129], v[146:147] op_sel_hi:[1,1,0] neg_lo:[0,0,1] neg_hi:[0,0,1]
	v_pk_fma_f32 v[142:143], v[142:143], v[128:129], v[148:149] op_sel:[1,0,0] op_sel_hi:[0,1,0]
	s_delay_alu instid0(VALU_DEP_1) | instskip(SKIP_1) | instid1(VALU_DEP_2)
	v_mov_b32_e32 v147, v143
	v_pk_mul_f32 v[142:143], v[144:145], v[134:135] op_sel:[0,1]
	v_pk_add_f32 v[54:55], v[54:55], v[146:147] neg_lo:[0,1] neg_hi:[0,1]
	s_delay_alu instid0(VALU_DEP_2) | instskip(SKIP_1) | instid1(VALU_DEP_1)
	v_pk_fma_f32 v[146:147], v[144:145], v[132:133], v[142:143] op_sel:[0,0,1] op_sel_hi:[1,1,0] neg_lo:[0,0,1] neg_hi:[0,0,1]
	v_pk_fma_f32 v[142:143], v[144:145], v[132:133], v[142:143] op_sel:[0,0,1] op_sel_hi:[1,0,0]
	v_mov_b32_e32 v147, v143
	ds_load_2addr_b64 v[142:145], v136 offset0:21 offset1:22
	v_pk_add_f32 v[104:105], v[104:105], v[146:147] neg_lo:[0,1] neg_hi:[0,1]
	s_wait_dscnt 0x0
	v_pk_mul_f32 v[146:147], v[142:143], v[134:135] op_sel:[0,1]
	s_delay_alu instid0(VALU_DEP_1) | instskip(SKIP_1) | instid1(VALU_DEP_1)
	v_pk_fma_f32 v[148:149], v[142:143], v[132:133], v[146:147] op_sel:[0,0,1] op_sel_hi:[1,1,0] neg_lo:[0,0,1] neg_hi:[0,0,1]
	v_pk_fma_f32 v[142:143], v[142:143], v[132:133], v[146:147] op_sel:[0,0,1] op_sel_hi:[1,0,0]
	v_mov_b32_e32 v149, v143
	v_pk_mul_f32 v[142:143], v[144:145], v[134:135] op_sel:[0,1]
	s_delay_alu instid0(VALU_DEP_2) | instskip(NEXT) | instid1(VALU_DEP_2)
	v_pk_add_f32 v[102:103], v[102:103], v[148:149] neg_lo:[0,1] neg_hi:[0,1]
	v_pk_fma_f32 v[146:147], v[144:145], v[132:133], v[142:143] op_sel:[0,0,1] op_sel_hi:[1,1,0] neg_lo:[0,0,1] neg_hi:[0,0,1]
	v_pk_fma_f32 v[142:143], v[144:145], v[132:133], v[142:143] op_sel:[0,0,1] op_sel_hi:[1,0,0]
	s_delay_alu instid0(VALU_DEP_1) | instskip(SKIP_4) | instid1(VALU_DEP_1)
	v_mov_b32_e32 v147, v143
	ds_load_2addr_b64 v[142:145], v136 offset0:23 offset1:24
	v_pk_add_f32 v[52:53], v[52:53], v[146:147] neg_lo:[0,1] neg_hi:[0,1]
	s_wait_dscnt 0x0
	v_pk_mul_f32 v[146:147], v[142:143], v[134:135] op_sel:[0,1]
	v_pk_fma_f32 v[148:149], v[142:143], v[132:133], v[146:147] op_sel:[0,0,1] op_sel_hi:[1,1,0] neg_lo:[0,0,1] neg_hi:[0,0,1]
	v_pk_fma_f32 v[142:143], v[142:143], v[132:133], v[146:147] op_sel:[0,0,1] op_sel_hi:[1,0,0]
	v_dual_mul_f32 v146, v145, v135 :: v_dual_mov_b32 v142, v145
	s_delay_alu instid0(VALU_DEP_2) | instskip(NEXT) | instid1(VALU_DEP_2)
	v_dual_mov_b32 v149, v143 :: v_dual_mov_b32 v143, v144
	v_pk_fma_f32 v[146:147], v[144:145], v[128:129], v[146:147] op_sel_hi:[1,1,0] neg_lo:[0,0,1] neg_hi:[0,0,1]
	v_mul_f32_e32 v144, v145, v132
	s_delay_alu instid0(VALU_DEP_3) | instskip(NEXT) | instid1(VALU_DEP_2)
	v_pk_add_f32 v[50:51], v[50:51], v[148:149] neg_lo:[0,1] neg_hi:[0,1]
	v_pk_fma_f32 v[142:143], v[142:143], v[128:129], v[144:145] op_sel_hi:[1,1,0]
	s_delay_alu instid0(VALU_DEP_1) | instskip(SKIP_4) | instid1(VALU_DEP_1)
	v_mov_b32_e32 v147, v143
	ds_load_2addr_b64 v[142:145], v136 offset0:25 offset1:26
	v_pk_add_f32 v[100:101], v[100:101], v[146:147] neg_lo:[0,1] neg_hi:[0,1]
	s_wait_dscnt 0x0
	v_pk_mul_f32 v[146:147], v[142:143], v[134:135] op_sel:[0,1]
	v_pk_fma_f32 v[148:149], v[142:143], v[132:133], v[146:147] op_sel:[0,0,1] op_sel_hi:[1,1,0] neg_lo:[0,0,1] neg_hi:[0,0,1]
	v_pk_fma_f32 v[142:143], v[142:143], v[132:133], v[146:147] op_sel:[0,0,1] op_sel_hi:[1,0,0]
	s_delay_alu instid0(VALU_DEP_1) | instskip(SKIP_1) | instid1(VALU_DEP_1)
	v_mov_b32_e32 v149, v143
	v_pk_mul_f32 v[142:143], v[144:145], v[134:135] op_sel:[0,1]
	v_pk_fma_f32 v[146:147], v[144:145], v[132:133], v[142:143] op_sel:[0,0,1] op_sel_hi:[1,1,0] neg_lo:[0,0,1] neg_hi:[0,0,1]
	v_pk_fma_f32 v[142:143], v[144:145], v[132:133], v[142:143] op_sel:[0,0,1] op_sel_hi:[1,0,0]
	s_delay_alu instid0(VALU_DEP_1)
	v_mov_b32_e32 v147, v143
	ds_load_2addr_b64 v[142:145], v136 offset0:27 offset1:28
	v_pk_add_f32 v[98:99], v[98:99], v[148:149] neg_lo:[0,1] neg_hi:[0,1]
	v_pk_add_f32 v[48:49], v[48:49], v[146:147] neg_lo:[0,1] neg_hi:[0,1]
	s_wait_dscnt 0x0
	v_pk_mul_f32 v[146:147], v[142:143], v[134:135] op_sel:[0,1]
	s_delay_alu instid0(VALU_DEP_1) | instskip(SKIP_1) | instid1(VALU_DEP_1)
	v_pk_fma_f32 v[148:149], v[142:143], v[132:133], v[146:147] op_sel:[0,0,1] op_sel_hi:[1,1,0] neg_lo:[0,0,1] neg_hi:[0,0,1]
	v_pk_fma_f32 v[142:143], v[142:143], v[132:133], v[146:147] op_sel:[0,0,1] op_sel_hi:[1,0,0]
	v_mov_b32_e32 v149, v143
	v_pk_mul_f32 v[142:143], v[144:145], v[134:135] op_sel:[0,1]
	s_delay_alu instid0(VALU_DEP_1) | instskip(SKIP_1) | instid1(VALU_DEP_1)
	v_pk_fma_f32 v[146:147], v[144:145], v[132:133], v[142:143] op_sel:[0,0,1] op_sel_hi:[1,1,0] neg_lo:[0,0,1] neg_hi:[0,0,1]
	v_pk_fma_f32 v[142:143], v[144:145], v[132:133], v[142:143] op_sel:[0,0,1] op_sel_hi:[1,0,0]
	v_mov_b32_e32 v147, v143
	ds_load_2addr_b64 v[142:145], v136 offset0:29 offset1:30
	v_pk_add_f32 v[46:47], v[46:47], v[148:149] neg_lo:[0,1] neg_hi:[0,1]
	v_pk_add_f32 v[96:97], v[96:97], v[146:147] neg_lo:[0,1] neg_hi:[0,1]
	s_wait_dscnt 0x0
	v_dual_mul_f32 v146, v143, v135 :: v_dual_mul_f32 v148, v143, v132
	s_delay_alu instid0(VALU_DEP_1) | instskip(NEXT) | instid1(VALU_DEP_2)
	v_pk_fma_f32 v[146:147], v[142:143], v[128:129], v[146:147] op_sel_hi:[1,1,0] neg_lo:[0,0,1] neg_hi:[0,0,1]
	v_pk_fma_f32 v[142:143], v[142:143], v[128:129], v[148:149] op_sel:[1,0,0] op_sel_hi:[0,1,0]
	s_delay_alu instid0(VALU_DEP_1) | instskip(SKIP_1) | instid1(VALU_DEP_2)
	v_mov_b32_e32 v147, v143
	v_pk_mul_f32 v[142:143], v[144:145], v[134:135] op_sel:[0,1]
	v_pk_add_f32 v[94:95], v[94:95], v[146:147] neg_lo:[0,1] neg_hi:[0,1]
	s_delay_alu instid0(VALU_DEP_2) | instskip(SKIP_1) | instid1(VALU_DEP_1)
	v_pk_fma_f32 v[146:147], v[144:145], v[132:133], v[142:143] op_sel:[0,0,1] op_sel_hi:[1,1,0] neg_lo:[0,0,1] neg_hi:[0,0,1]
	v_pk_fma_f32 v[142:143], v[144:145], v[132:133], v[142:143] op_sel:[0,0,1] op_sel_hi:[1,0,0]
	v_mov_b32_e32 v147, v143
	ds_load_2addr_b64 v[142:145], v136 offset0:31 offset1:32
	v_pk_add_f32 v[44:45], v[44:45], v[146:147] neg_lo:[0,1] neg_hi:[0,1]
	s_wait_dscnt 0x0
	v_pk_mul_f32 v[146:147], v[142:143], v[134:135] op_sel:[0,1]
	s_delay_alu instid0(VALU_DEP_1) | instskip(SKIP_1) | instid1(VALU_DEP_1)
	v_pk_fma_f32 v[148:149], v[142:143], v[132:133], v[146:147] op_sel:[0,0,1] op_sel_hi:[1,1,0] neg_lo:[0,0,1] neg_hi:[0,0,1]
	v_pk_fma_f32 v[142:143], v[142:143], v[132:133], v[146:147] op_sel:[0,0,1] op_sel_hi:[1,0,0]
	v_mov_b32_e32 v149, v143
	v_pk_mul_f32 v[142:143], v[144:145], v[134:135] op_sel:[0,1]
	s_delay_alu instid0(VALU_DEP_2) | instskip(NEXT) | instid1(VALU_DEP_2)
	v_pk_add_f32 v[42:43], v[42:43], v[148:149] neg_lo:[0,1] neg_hi:[0,1]
	v_pk_fma_f32 v[146:147], v[144:145], v[132:133], v[142:143] op_sel:[0,0,1] op_sel_hi:[1,1,0] neg_lo:[0,0,1] neg_hi:[0,0,1]
	v_pk_fma_f32 v[142:143], v[144:145], v[132:133], v[142:143] op_sel:[0,0,1] op_sel_hi:[1,0,0]
	s_delay_alu instid0(VALU_DEP_1) | instskip(SKIP_4) | instid1(VALU_DEP_1)
	v_mov_b32_e32 v147, v143
	ds_load_2addr_b64 v[142:145], v136 offset0:33 offset1:34
	v_pk_add_f32 v[92:93], v[92:93], v[146:147] neg_lo:[0,1] neg_hi:[0,1]
	s_wait_dscnt 0x0
	v_pk_mul_f32 v[146:147], v[142:143], v[134:135] op_sel:[0,1]
	v_pk_fma_f32 v[148:149], v[142:143], v[132:133], v[146:147] op_sel:[0,0,1] op_sel_hi:[1,1,0] neg_lo:[0,0,1] neg_hi:[0,0,1]
	v_pk_fma_f32 v[142:143], v[142:143], v[132:133], v[146:147] op_sel:[0,0,1] op_sel_hi:[1,0,0]
	v_dual_mul_f32 v146, v145, v135 :: v_dual_mov_b32 v142, v145
	s_delay_alu instid0(VALU_DEP_2) | instskip(NEXT) | instid1(VALU_DEP_2)
	v_dual_mov_b32 v149, v143 :: v_dual_mov_b32 v143, v144
	v_pk_fma_f32 v[146:147], v[144:145], v[128:129], v[146:147] op_sel_hi:[1,1,0] neg_lo:[0,0,1] neg_hi:[0,0,1]
	v_mul_f32_e32 v144, v145, v132
	s_delay_alu instid0(VALU_DEP_3) | instskip(NEXT) | instid1(VALU_DEP_2)
	v_pk_add_f32 v[90:91], v[90:91], v[148:149] neg_lo:[0,1] neg_hi:[0,1]
	v_pk_fma_f32 v[142:143], v[142:143], v[128:129], v[144:145] op_sel_hi:[1,1,0]
	s_delay_alu instid0(VALU_DEP_1) | instskip(SKIP_4) | instid1(VALU_DEP_1)
	v_mov_b32_e32 v147, v143
	ds_load_2addr_b64 v[142:145], v136 offset0:35 offset1:36
	v_pk_add_f32 v[40:41], v[40:41], v[146:147] neg_lo:[0,1] neg_hi:[0,1]
	s_wait_dscnt 0x0
	v_pk_mul_f32 v[146:147], v[142:143], v[134:135] op_sel:[0,1]
	v_pk_fma_f32 v[148:149], v[142:143], v[132:133], v[146:147] op_sel:[0,0,1] op_sel_hi:[1,1,0] neg_lo:[0,0,1] neg_hi:[0,0,1]
	v_pk_fma_f32 v[142:143], v[142:143], v[132:133], v[146:147] op_sel:[0,0,1] op_sel_hi:[1,0,0]
	s_delay_alu instid0(VALU_DEP_1) | instskip(SKIP_1) | instid1(VALU_DEP_1)
	v_mov_b32_e32 v149, v143
	v_pk_mul_f32 v[142:143], v[144:145], v[134:135] op_sel:[0,1]
	v_pk_fma_f32 v[146:147], v[144:145], v[132:133], v[142:143] op_sel:[0,0,1] op_sel_hi:[1,1,0] neg_lo:[0,0,1] neg_hi:[0,0,1]
	v_pk_fma_f32 v[142:143], v[144:145], v[132:133], v[142:143] op_sel:[0,0,1] op_sel_hi:[1,0,0]
	s_delay_alu instid0(VALU_DEP_1)
	v_mov_b32_e32 v147, v143
	ds_load_2addr_b64 v[142:145], v136 offset0:37 offset1:38
	v_pk_add_f32 v[38:39], v[38:39], v[148:149] neg_lo:[0,1] neg_hi:[0,1]
	v_pk_add_f32 v[88:89], v[88:89], v[146:147] neg_lo:[0,1] neg_hi:[0,1]
	s_wait_dscnt 0x0
	v_pk_mul_f32 v[146:147], v[142:143], v[134:135] op_sel:[0,1]
	s_delay_alu instid0(VALU_DEP_1) | instskip(SKIP_1) | instid1(VALU_DEP_1)
	v_pk_fma_f32 v[148:149], v[142:143], v[132:133], v[146:147] op_sel:[0,0,1] op_sel_hi:[1,1,0] neg_lo:[0,0,1] neg_hi:[0,0,1]
	v_pk_fma_f32 v[142:143], v[142:143], v[132:133], v[146:147] op_sel:[0,0,1] op_sel_hi:[1,0,0]
	v_mov_b32_e32 v149, v143
	v_pk_mul_f32 v[142:143], v[144:145], v[134:135] op_sel:[0,1]
	s_delay_alu instid0(VALU_DEP_1) | instskip(SKIP_1) | instid1(VALU_DEP_1)
	v_pk_fma_f32 v[146:147], v[144:145], v[132:133], v[142:143] op_sel:[0,0,1] op_sel_hi:[1,1,0] neg_lo:[0,0,1] neg_hi:[0,0,1]
	v_pk_fma_f32 v[142:143], v[144:145], v[132:133], v[142:143] op_sel:[0,0,1] op_sel_hi:[1,0,0]
	v_mov_b32_e32 v147, v143
	ds_load_2addr_b64 v[142:145], v136 offset0:39 offset1:40
	v_pk_add_f32 v[86:87], v[86:87], v[148:149] neg_lo:[0,1] neg_hi:[0,1]
	v_pk_add_f32 v[36:37], v[36:37], v[146:147] neg_lo:[0,1] neg_hi:[0,1]
	s_wait_dscnt 0x0
	v_dual_mul_f32 v146, v143, v135 :: v_dual_mul_f32 v148, v143, v132
	s_delay_alu instid0(VALU_DEP_1) | instskip(NEXT) | instid1(VALU_DEP_2)
	v_pk_fma_f32 v[146:147], v[142:143], v[128:129], v[146:147] op_sel_hi:[1,1,0] neg_lo:[0,0,1] neg_hi:[0,0,1]
	v_pk_fma_f32 v[142:143], v[142:143], v[128:129], v[148:149] op_sel:[1,0,0] op_sel_hi:[0,1,0]
	s_delay_alu instid0(VALU_DEP_1) | instskip(SKIP_1) | instid1(VALU_DEP_2)
	v_mov_b32_e32 v147, v143
	v_pk_mul_f32 v[142:143], v[144:145], v[134:135] op_sel:[0,1]
	v_pk_add_f32 v[32:33], v[32:33], v[146:147] neg_lo:[0,1] neg_hi:[0,1]
	s_delay_alu instid0(VALU_DEP_2) | instskip(SKIP_1) | instid1(VALU_DEP_1)
	v_pk_fma_f32 v[146:147], v[144:145], v[132:133], v[142:143] op_sel:[0,0,1] op_sel_hi:[1,1,0] neg_lo:[0,0,1] neg_hi:[0,0,1]
	v_pk_fma_f32 v[142:143], v[144:145], v[132:133], v[142:143] op_sel:[0,0,1] op_sel_hi:[1,0,0]
	v_mov_b32_e32 v147, v143
	ds_load_2addr_b64 v[142:145], v136 offset0:41 offset1:42
	v_pk_add_f32 v[84:85], v[84:85], v[146:147] neg_lo:[0,1] neg_hi:[0,1]
	s_wait_dscnt 0x0
	v_pk_mul_f32 v[146:147], v[142:143], v[134:135] op_sel:[0,1]
	s_delay_alu instid0(VALU_DEP_1) | instskip(SKIP_1) | instid1(VALU_DEP_1)
	v_pk_fma_f32 v[148:149], v[142:143], v[132:133], v[146:147] op_sel:[0,0,1] op_sel_hi:[1,1,0] neg_lo:[0,0,1] neg_hi:[0,0,1]
	v_pk_fma_f32 v[142:143], v[142:143], v[132:133], v[146:147] op_sel:[0,0,1] op_sel_hi:[1,0,0]
	v_mov_b32_e32 v149, v143
	v_pk_mul_f32 v[142:143], v[144:145], v[134:135] op_sel:[0,1]
	s_delay_alu instid0(VALU_DEP_2) | instskip(NEXT) | instid1(VALU_DEP_2)
	v_pk_add_f32 v[82:83], v[82:83], v[148:149] neg_lo:[0,1] neg_hi:[0,1]
	v_pk_fma_f32 v[146:147], v[144:145], v[132:133], v[142:143] op_sel:[0,0,1] op_sel_hi:[1,1,0] neg_lo:[0,0,1] neg_hi:[0,0,1]
	v_pk_fma_f32 v[142:143], v[144:145], v[132:133], v[142:143] op_sel:[0,0,1] op_sel_hi:[1,0,0]
	s_delay_alu instid0(VALU_DEP_1) | instskip(SKIP_4) | instid1(VALU_DEP_1)
	v_mov_b32_e32 v147, v143
	ds_load_2addr_b64 v[142:145], v136 offset0:43 offset1:44
	v_pk_add_f32 v[24:25], v[24:25], v[146:147] neg_lo:[0,1] neg_hi:[0,1]
	s_wait_dscnt 0x0
	v_pk_mul_f32 v[146:147], v[142:143], v[134:135] op_sel:[0,1]
	v_pk_fma_f32 v[148:149], v[142:143], v[132:133], v[146:147] op_sel:[0,0,1] op_sel_hi:[1,1,0] neg_lo:[0,0,1] neg_hi:[0,0,1]
	v_pk_fma_f32 v[142:143], v[142:143], v[132:133], v[146:147] op_sel:[0,0,1] op_sel_hi:[1,0,0]
	v_dual_mul_f32 v146, v145, v135 :: v_dual_mov_b32 v142, v145
	s_delay_alu instid0(VALU_DEP_2) | instskip(NEXT) | instid1(VALU_DEP_2)
	v_dual_mov_b32 v149, v143 :: v_dual_mov_b32 v143, v144
	v_pk_fma_f32 v[146:147], v[144:145], v[128:129], v[146:147] op_sel_hi:[1,1,0] neg_lo:[0,0,1] neg_hi:[0,0,1]
	v_mul_f32_e32 v144, v145, v132
	s_delay_alu instid0(VALU_DEP_3) | instskip(NEXT) | instid1(VALU_DEP_2)
	v_pk_add_f32 v[22:23], v[22:23], v[148:149] neg_lo:[0,1] neg_hi:[0,1]
	v_pk_fma_f32 v[142:143], v[142:143], v[128:129], v[144:145] op_sel_hi:[1,1,0]
	s_delay_alu instid0(VALU_DEP_1) | instskip(SKIP_4) | instid1(VALU_DEP_1)
	v_mov_b32_e32 v147, v143
	ds_load_2addr_b64 v[142:145], v136 offset0:45 offset1:46
	v_pk_add_f32 v[80:81], v[80:81], v[146:147] neg_lo:[0,1] neg_hi:[0,1]
	s_wait_dscnt 0x0
	v_pk_mul_f32 v[146:147], v[142:143], v[134:135] op_sel:[0,1]
	v_pk_fma_f32 v[148:149], v[142:143], v[132:133], v[146:147] op_sel:[0,0,1] op_sel_hi:[1,1,0] neg_lo:[0,0,1] neg_hi:[0,0,1]
	v_pk_fma_f32 v[142:143], v[142:143], v[132:133], v[146:147] op_sel:[0,0,1] op_sel_hi:[1,0,0]
	s_delay_alu instid0(VALU_DEP_1) | instskip(SKIP_1) | instid1(VALU_DEP_1)
	v_mov_b32_e32 v149, v143
	v_pk_mul_f32 v[142:143], v[144:145], v[134:135] op_sel:[0,1]
	v_pk_fma_f32 v[146:147], v[144:145], v[132:133], v[142:143] op_sel:[0,0,1] op_sel_hi:[1,1,0] neg_lo:[0,0,1] neg_hi:[0,0,1]
	v_pk_fma_f32 v[142:143], v[144:145], v[132:133], v[142:143] op_sel:[0,0,1] op_sel_hi:[1,0,0]
	s_delay_alu instid0(VALU_DEP_1)
	v_mov_b32_e32 v147, v143
	ds_load_2addr_b64 v[142:145], v136 offset0:47 offset1:48
	v_pk_add_f32 v[78:79], v[78:79], v[148:149] neg_lo:[0,1] neg_hi:[0,1]
	v_pk_add_f32 v[20:21], v[20:21], v[146:147] neg_lo:[0,1] neg_hi:[0,1]
	s_wait_dscnt 0x0
	v_pk_mul_f32 v[146:147], v[142:143], v[134:135] op_sel:[0,1]
	s_delay_alu instid0(VALU_DEP_1) | instskip(SKIP_1) | instid1(VALU_DEP_1)
	v_pk_fma_f32 v[148:149], v[142:143], v[132:133], v[146:147] op_sel:[0,0,1] op_sel_hi:[1,1,0] neg_lo:[0,0,1] neg_hi:[0,0,1]
	v_pk_fma_f32 v[142:143], v[142:143], v[132:133], v[146:147] op_sel:[0,0,1] op_sel_hi:[1,0,0]
	v_mov_b32_e32 v149, v143
	v_pk_mul_f32 v[142:143], v[144:145], v[134:135] op_sel:[0,1]
	s_delay_alu instid0(VALU_DEP_1) | instskip(SKIP_1) | instid1(VALU_DEP_1)
	v_pk_fma_f32 v[146:147], v[144:145], v[132:133], v[142:143] op_sel:[0,0,1] op_sel_hi:[1,1,0] neg_lo:[0,0,1] neg_hi:[0,0,1]
	v_pk_fma_f32 v[142:143], v[144:145], v[132:133], v[142:143] op_sel:[0,0,1] op_sel_hi:[1,0,0]
	v_mov_b32_e32 v147, v143
	ds_load_2addr_b64 v[142:145], v136 offset0:49 offset1:50
	v_pk_add_f32 v[18:19], v[18:19], v[148:149] neg_lo:[0,1] neg_hi:[0,1]
	v_pk_add_f32 v[76:77], v[76:77], v[146:147] neg_lo:[0,1] neg_hi:[0,1]
	s_wait_dscnt 0x0
	v_dual_mul_f32 v146, v143, v135 :: v_dual_mul_f32 v148, v143, v132
	s_delay_alu instid0(VALU_DEP_1) | instskip(NEXT) | instid1(VALU_DEP_2)
	v_pk_fma_f32 v[146:147], v[142:143], v[128:129], v[146:147] op_sel_hi:[1,1,0] neg_lo:[0,0,1] neg_hi:[0,0,1]
	v_pk_fma_f32 v[142:143], v[142:143], v[128:129], v[148:149] op_sel:[1,0,0] op_sel_hi:[0,1,0]
	s_delay_alu instid0(VALU_DEP_1) | instskip(SKIP_1) | instid1(VALU_DEP_2)
	v_mov_b32_e32 v147, v143
	v_pk_mul_f32 v[142:143], v[144:145], v[134:135] op_sel:[0,1]
	v_pk_add_f32 v[74:75], v[74:75], v[146:147] neg_lo:[0,1] neg_hi:[0,1]
	s_delay_alu instid0(VALU_DEP_2) | instskip(SKIP_1) | instid1(VALU_DEP_1)
	v_pk_fma_f32 v[146:147], v[144:145], v[132:133], v[142:143] op_sel:[0,0,1] op_sel_hi:[1,1,0] neg_lo:[0,0,1] neg_hi:[0,0,1]
	v_pk_fma_f32 v[142:143], v[144:145], v[132:133], v[142:143] op_sel:[0,0,1] op_sel_hi:[1,0,0]
	v_mov_b32_e32 v147, v143
	ds_load_2addr_b64 v[142:145], v136 offset0:51 offset1:52
	v_pk_add_f32 v[16:17], v[16:17], v[146:147] neg_lo:[0,1] neg_hi:[0,1]
	s_wait_dscnt 0x0
	v_pk_mul_f32 v[146:147], v[142:143], v[134:135] op_sel:[0,1]
	s_delay_alu instid0(VALU_DEP_1) | instskip(SKIP_1) | instid1(VALU_DEP_1)
	v_pk_fma_f32 v[148:149], v[142:143], v[132:133], v[146:147] op_sel:[0,0,1] op_sel_hi:[1,1,0] neg_lo:[0,0,1] neg_hi:[0,0,1]
	v_pk_fma_f32 v[142:143], v[142:143], v[132:133], v[146:147] op_sel:[0,0,1] op_sel_hi:[1,0,0]
	v_mov_b32_e32 v149, v143
	v_pk_mul_f32 v[142:143], v[144:145], v[134:135] op_sel:[0,1]
	s_delay_alu instid0(VALU_DEP_2) | instskip(NEXT) | instid1(VALU_DEP_2)
	v_pk_add_f32 v[28:29], v[28:29], v[148:149] neg_lo:[0,1] neg_hi:[0,1]
	v_pk_fma_f32 v[146:147], v[144:145], v[132:133], v[142:143] op_sel:[0,0,1] op_sel_hi:[1,1,0] neg_lo:[0,0,1] neg_hi:[0,0,1]
	v_pk_fma_f32 v[142:143], v[144:145], v[132:133], v[142:143] op_sel:[0,0,1] op_sel_hi:[1,0,0]
	s_delay_alu instid0(VALU_DEP_1) | instskip(SKIP_4) | instid1(VALU_DEP_1)
	v_mov_b32_e32 v147, v143
	ds_load_2addr_b64 v[142:145], v136 offset0:53 offset1:54
	v_pk_add_f32 v[68:69], v[68:69], v[146:147] neg_lo:[0,1] neg_hi:[0,1]
	s_wait_dscnt 0x0
	v_pk_mul_f32 v[146:147], v[142:143], v[134:135] op_sel:[0,1]
	v_pk_fma_f32 v[148:149], v[142:143], v[132:133], v[146:147] op_sel:[0,0,1] op_sel_hi:[1,1,0] neg_lo:[0,0,1] neg_hi:[0,0,1]
	v_pk_fma_f32 v[142:143], v[142:143], v[132:133], v[146:147] op_sel:[0,0,1] op_sel_hi:[1,0,0]
	v_dual_mul_f32 v146, v145, v135 :: v_dual_mov_b32 v142, v145
	s_delay_alu instid0(VALU_DEP_2) | instskip(NEXT) | instid1(VALU_DEP_2)
	v_dual_mov_b32 v149, v143 :: v_dual_mov_b32 v143, v144
	v_pk_fma_f32 v[146:147], v[144:145], v[128:129], v[146:147] op_sel_hi:[1,1,0] neg_lo:[0,0,1] neg_hi:[0,0,1]
	v_mul_f32_e32 v144, v145, v132
	s_delay_alu instid0(VALU_DEP_3) | instskip(NEXT) | instid1(VALU_DEP_2)
	v_pk_add_f32 v[66:67], v[66:67], v[148:149] neg_lo:[0,1] neg_hi:[0,1]
	v_pk_fma_f32 v[142:143], v[142:143], v[128:129], v[144:145] op_sel_hi:[1,1,0]
	s_delay_alu instid0(VALU_DEP_1) | instskip(SKIP_4) | instid1(VALU_DEP_1)
	v_mov_b32_e32 v147, v143
	ds_load_2addr_b64 v[142:145], v136 offset0:55 offset1:56
	v_pk_add_f32 v[10:11], v[10:11], v[146:147] neg_lo:[0,1] neg_hi:[0,1]
	s_wait_dscnt 0x0
	v_pk_mul_f32 v[146:147], v[142:143], v[134:135] op_sel:[0,1]
	v_pk_fma_f32 v[148:149], v[142:143], v[132:133], v[146:147] op_sel:[0,0,1] op_sel_hi:[1,1,0] neg_lo:[0,0,1] neg_hi:[0,0,1]
	v_pk_fma_f32 v[142:143], v[142:143], v[132:133], v[146:147] op_sel:[0,0,1] op_sel_hi:[1,0,0]
	s_delay_alu instid0(VALU_DEP_1) | instskip(SKIP_1) | instid1(VALU_DEP_1)
	v_mov_b32_e32 v149, v143
	v_pk_mul_f32 v[142:143], v[144:145], v[134:135] op_sel:[0,1]
	v_pk_fma_f32 v[146:147], v[144:145], v[132:133], v[142:143] op_sel:[0,0,1] op_sel_hi:[1,1,0] neg_lo:[0,0,1] neg_hi:[0,0,1]
	v_pk_fma_f32 v[142:143], v[144:145], v[132:133], v[142:143] op_sel:[0,0,1] op_sel_hi:[1,0,0]
	s_delay_alu instid0(VALU_DEP_1)
	v_mov_b32_e32 v147, v143
	ds_load_2addr_b64 v[142:145], v136 offset0:57 offset1:58
	v_pk_add_f32 v[8:9], v[8:9], v[148:149] neg_lo:[0,1] neg_hi:[0,1]
	v_pk_add_f32 v[34:35], v[34:35], v[146:147] neg_lo:[0,1] neg_hi:[0,1]
	s_wait_dscnt 0x0
	v_pk_mul_f32 v[146:147], v[142:143], v[134:135] op_sel:[0,1]
	s_delay_alu instid0(VALU_DEP_1) | instskip(SKIP_1) | instid1(VALU_DEP_1)
	v_pk_fma_f32 v[148:149], v[142:143], v[132:133], v[146:147] op_sel:[0,0,1] op_sel_hi:[1,1,0] neg_lo:[0,0,1] neg_hi:[0,0,1]
	v_pk_fma_f32 v[142:143], v[142:143], v[132:133], v[146:147] op_sel:[0,0,1] op_sel_hi:[1,0,0]
	v_mov_b32_e32 v149, v143
	v_pk_mul_f32 v[142:143], v[144:145], v[134:135] op_sel:[0,1]
	s_delay_alu instid0(VALU_DEP_1) | instskip(SKIP_1) | instid1(VALU_DEP_1)
	v_pk_fma_f32 v[146:147], v[144:145], v[132:133], v[142:143] op_sel:[0,0,1] op_sel_hi:[1,1,0] neg_lo:[0,0,1] neg_hi:[0,0,1]
	v_pk_fma_f32 v[142:143], v[144:145], v[132:133], v[142:143] op_sel:[0,0,1] op_sel_hi:[1,0,0]
	v_mov_b32_e32 v147, v143
	ds_load_2addr_b64 v[142:145], v136 offset0:59 offset1:60
	v_pk_add_f32 v[30:31], v[30:31], v[148:149] neg_lo:[0,1] neg_hi:[0,1]
	v_pk_add_f32 v[6:7], v[6:7], v[146:147] neg_lo:[0,1] neg_hi:[0,1]
	s_wait_dscnt 0x0
	v_dual_mul_f32 v146, v143, v135 :: v_dual_mul_f32 v148, v143, v132
	s_delay_alu instid0(VALU_DEP_1) | instskip(NEXT) | instid1(VALU_DEP_2)
	v_pk_fma_f32 v[146:147], v[142:143], v[128:129], v[146:147] op_sel_hi:[1,1,0] neg_lo:[0,0,1] neg_hi:[0,0,1]
	v_pk_fma_f32 v[142:143], v[142:143], v[128:129], v[148:149] op_sel:[1,0,0] op_sel_hi:[0,1,0]
	s_delay_alu instid0(VALU_DEP_1) | instskip(SKIP_1) | instid1(VALU_DEP_2)
	v_mov_b32_e32 v147, v143
	v_pk_mul_f32 v[142:143], v[144:145], v[134:135] op_sel:[0,1]
	v_pk_add_f32 v[26:27], v[26:27], v[146:147] neg_lo:[0,1] neg_hi:[0,1]
	s_delay_alu instid0(VALU_DEP_2) | instskip(SKIP_1) | instid1(VALU_DEP_1)
	v_pk_fma_f32 v[146:147], v[144:145], v[132:133], v[142:143] op_sel:[0,0,1] op_sel_hi:[1,1,0] neg_lo:[0,0,1] neg_hi:[0,0,1]
	v_pk_fma_f32 v[142:143], v[144:145], v[132:133], v[142:143] op_sel:[0,0,1] op_sel_hi:[1,0,0]
	v_mov_b32_e32 v147, v143
	ds_load_2addr_b64 v[142:145], v136 offset0:61 offset1:62
	v_pk_add_f32 v[14:15], v[14:15], v[146:147] neg_lo:[0,1] neg_hi:[0,1]
	s_wait_dscnt 0x0
	v_pk_mul_f32 v[146:147], v[142:143], v[134:135] op_sel:[0,1]
	v_pk_mul_f32 v[134:135], v[144:145], v[134:135] op_sel:[0,1]
	s_delay_alu instid0(VALU_DEP_2) | instskip(SKIP_1) | instid1(VALU_DEP_1)
	v_pk_fma_f32 v[148:149], v[142:143], v[132:133], v[146:147] op_sel:[0,0,1] op_sel_hi:[1,1,0] neg_lo:[0,0,1] neg_hi:[0,0,1]
	v_pk_fma_f32 v[142:143], v[142:143], v[132:133], v[146:147] op_sel:[0,0,1] op_sel_hi:[1,0,0]
	v_mov_b32_e32 v149, v143
	s_delay_alu instid0(VALU_DEP_4) | instskip(SKIP_1) | instid1(VALU_DEP_3)
	v_pk_fma_f32 v[142:143], v[144:145], v[132:133], v[134:135] op_sel:[0,0,1] op_sel_hi:[1,1,0] neg_lo:[0,0,1] neg_hi:[0,0,1]
	v_pk_fma_f32 v[132:133], v[144:145], v[132:133], v[134:135] op_sel:[0,0,1] op_sel_hi:[1,0,0]
	v_pk_add_f32 v[12:13], v[12:13], v[148:149] neg_lo:[0,1] neg_hi:[0,1]
	s_delay_alu instid0(VALU_DEP_2) | instskip(NEXT) | instid1(VALU_DEP_1)
	v_mov_b32_e32 v143, v133
	v_pk_add_f32 v[130:131], v[130:131], v[142:143] neg_lo:[0,1] neg_hi:[0,1]
.LBB124_22:
	s_or_b32 exec_lo, exec_lo, s0
	v_lshl_add_u32 v132, v140, 3, v136
	s_barrier_signal -1
	s_barrier_wait -1
	ds_store_b64 v132, v[126:127]
	s_wait_dscnt 0x0
	s_barrier_signal -1
	s_barrier_wait -1
	ds_load_b64 v[134:135], v136 offset:8
	v_mov_b32_e32 v132, 1
	s_cmp_lt_i32 s18, 3
	s_cbranch_scc1 .LBB124_25
; %bb.23:
	v_add3_u32 v133, v137, 0, 16
	v_mov_b32_e32 v132, 1
	s_mov_b32 s0, 2
.LBB124_24:                             ; =>This Inner Loop Header: Depth=1
	ds_load_b64 v[142:143], v133
	s_wait_dscnt 0x1
	v_cmp_gt_f32_e32 vcc_lo, 0, v134
	v_cndmask_b32_e64 v144, v134, -v134, vcc_lo
	v_cmp_gt_f32_e32 vcc_lo, 0, v135
	v_cndmask_b32_e64 v146, v135, -v135, vcc_lo
	s_wait_dscnt 0x0
	v_cmp_gt_f32_e32 vcc_lo, 0, v142
	v_cndmask_b32_e64 v145, v142, -v142, vcc_lo
	v_cmp_gt_f32_e32 vcc_lo, 0, v143
	v_cndmask_b32_e64 v147, v143, -v143, vcc_lo
	s_delay_alu instid0(VALU_DEP_1) | instskip(NEXT) | instid1(VALU_DEP_1)
	v_pk_add_f32 v[144:145], v[144:145], v[146:147]
	v_cmp_lt_f32_e32 vcc_lo, v144, v145
	v_dual_add_nc_u32 v133, 8, v133 :: v_dual_cndmask_b32 v135, v135, v143, vcc_lo
	v_cndmask_b32_e32 v134, v134, v142, vcc_lo
	v_cndmask_b32_e64 v132, v132, s0, vcc_lo
	s_add_co_i32 s0, s0, 1
	s_delay_alu instid0(SALU_CYCLE_1)
	s_cmp_lg_u32 s18, s0
	s_cbranch_scc1 .LBB124_24
.LBB124_25:
	s_wait_dscnt 0x0
	v_cmp_neq_f32_e32 vcc_lo, 0, v134
	v_cmp_neq_f32_e64 s0, 0, v135
	s_or_b32 s1, vcc_lo, s0
	s_delay_alu instid0(SALU_CYCLE_1)
	s_and_saveexec_b32 s0, s1
	s_cbranch_execz .LBB124_31
; %bb.26:
	v_cmp_ngt_f32_e64 s1, |v134|, |v135|
	s_and_saveexec_b32 s12, s1
	s_delay_alu instid0(SALU_CYCLE_1)
	s_xor_b32 s1, exec_lo, s12
	s_cbranch_execz .LBB124_28
; %bb.27:
	v_div_scale_f32 v133, null, v135, v135, v134
	v_div_scale_f32 v143, vcc_lo, v134, v135, v134
	s_delay_alu instid0(VALU_DEP_2) | instskip(SKIP_1) | instid1(TRANS32_DEP_1)
	v_rcp_f32_e32 v138, v133
	v_nop
	v_fma_f32 v142, -v133, v138, 1.0
	s_delay_alu instid0(VALU_DEP_1) | instskip(NEXT) | instid1(VALU_DEP_1)
	v_fmac_f32_e32 v138, v142, v138
	v_mul_f32_e32 v142, v143, v138
	s_delay_alu instid0(VALU_DEP_1) | instskip(NEXT) | instid1(VALU_DEP_1)
	v_fma_f32 v144, -v133, v142, v143
	v_fmac_f32_e32 v142, v144, v138
	s_delay_alu instid0(VALU_DEP_1) | instskip(NEXT) | instid1(VALU_DEP_1)
	v_fma_f32 v133, -v133, v142, v143
	v_div_fmas_f32 v133, v133, v138, v142
	s_delay_alu instid0(VALU_DEP_1) | instskip(NEXT) | instid1(VALU_DEP_1)
	v_div_fixup_f32 v133, v133, v135, v134
	v_fmac_f32_e32 v135, v134, v133
	s_delay_alu instid0(VALU_DEP_1) | instskip(SKIP_1) | instid1(VALU_DEP_2)
	v_div_scale_f32 v134, null, v135, v135, 1.0
	v_div_scale_f32 v143, vcc_lo, 1.0, v135, 1.0
	v_rcp_f32_e32 v138, v134
	v_nop
	s_delay_alu instid0(TRANS32_DEP_1) | instskip(NEXT) | instid1(VALU_DEP_1)
	v_fma_f32 v142, -v134, v138, 1.0
	v_fmac_f32_e32 v138, v142, v138
	s_delay_alu instid0(VALU_DEP_1) | instskip(NEXT) | instid1(VALU_DEP_1)
	v_mul_f32_e32 v142, v143, v138
	v_fma_f32 v144, -v134, v142, v143
	s_delay_alu instid0(VALU_DEP_1) | instskip(NEXT) | instid1(VALU_DEP_1)
	v_fmac_f32_e32 v142, v144, v138
	v_fma_f32 v134, -v134, v142, v143
	s_delay_alu instid0(VALU_DEP_1) | instskip(NEXT) | instid1(VALU_DEP_1)
	v_div_fmas_f32 v134, v134, v138, v142
	v_div_fixup_f32 v135, v134, v135, 1.0
	s_delay_alu instid0(VALU_DEP_1)
	v_mul_f32_e32 v134, v133, v135
	v_xor_b32_e32 v135, 0x80000000, v135
.LBB124_28:
	s_and_not1_saveexec_b32 s1, s1
	s_cbranch_execz .LBB124_30
; %bb.29:
	s_delay_alu instid0(VALU_DEP_1) | instskip(SKIP_1) | instid1(VALU_DEP_2)
	v_div_scale_f32 v133, null, v134, v134, v135
	v_div_scale_f32 v143, vcc_lo, v135, v134, v135
	v_rcp_f32_e32 v138, v133
	v_nop
	s_delay_alu instid0(TRANS32_DEP_1) | instskip(NEXT) | instid1(VALU_DEP_1)
	v_fma_f32 v142, -v133, v138, 1.0
	v_fmac_f32_e32 v138, v142, v138
	s_delay_alu instid0(VALU_DEP_1) | instskip(NEXT) | instid1(VALU_DEP_1)
	v_mul_f32_e32 v142, v143, v138
	v_fma_f32 v144, -v133, v142, v143
	s_delay_alu instid0(VALU_DEP_1) | instskip(NEXT) | instid1(VALU_DEP_1)
	v_fmac_f32_e32 v142, v144, v138
	v_fma_f32 v133, -v133, v142, v143
	s_delay_alu instid0(VALU_DEP_1) | instskip(NEXT) | instid1(VALU_DEP_1)
	v_div_fmas_f32 v133, v133, v138, v142
	v_div_fixup_f32 v133, v133, v134, v135
	s_delay_alu instid0(VALU_DEP_1) | instskip(NEXT) | instid1(VALU_DEP_1)
	v_fmac_f32_e32 v134, v135, v133
	v_div_scale_f32 v135, null, v134, v134, 1.0
	s_delay_alu instid0(VALU_DEP_1) | instskip(SKIP_1) | instid1(TRANS32_DEP_1)
	v_rcp_f32_e32 v138, v135
	v_nop
	v_fma_f32 v142, -v135, v138, 1.0
	s_delay_alu instid0(VALU_DEP_1) | instskip(SKIP_1) | instid1(VALU_DEP_1)
	v_fmac_f32_e32 v138, v142, v138
	v_div_scale_f32 v142, vcc_lo, 1.0, v134, 1.0
	v_mul_f32_e32 v143, v142, v138
	s_delay_alu instid0(VALU_DEP_1) | instskip(NEXT) | instid1(VALU_DEP_1)
	v_fma_f32 v144, -v135, v143, v142
	v_fmac_f32_e32 v143, v144, v138
	s_delay_alu instid0(VALU_DEP_1) | instskip(NEXT) | instid1(VALU_DEP_1)
	v_fma_f32 v135, -v135, v143, v142
	v_div_fmas_f32 v135, v135, v138, v143
	s_delay_alu instid0(VALU_DEP_1) | instskip(NEXT) | instid1(VALU_DEP_1)
	v_div_fixup_f32 v134, v135, v134, 1.0
	v_mul_f32_e64 v135, v133, -v134
.LBB124_30:
	s_or_b32 exec_lo, exec_lo, s1
	v_mov_b32_e32 v138, v141
.LBB124_31:
	s_or_b32 exec_lo, exec_lo, s0
	s_delay_alu instid0(SALU_CYCLE_1)
	s_mov_b32 s0, exec_lo
	v_cmpx_ne_u32_e64 v140, v132
	s_xor_b32 s0, exec_lo, s0
	s_cbranch_execz .LBB124_37
; %bb.32:
	s_mov_b32 s1, exec_lo
	v_cmpx_eq_u32_e32 1, v140
	s_cbranch_execz .LBB124_36
; %bb.33:
	v_cmp_ne_u32_e32 vcc_lo, 1, v132
	s_xor_b32 s12, s16, -1
	s_delay_alu instid0(SALU_CYCLE_1) | instskip(NEXT) | instid1(SALU_CYCLE_1)
	s_and_b32 s13, s12, vcc_lo
	s_and_saveexec_b32 s12, s13
	s_cbranch_execz .LBB124_35
; %bb.34:
	v_ashrrev_i32_e32 v133, 31, v132
	s_delay_alu instid0(VALU_DEP_1)
	v_lshl_add_u64 v[140:141], v[132:133], 2, v[4:5]
	s_clause 0x1
	global_load_b32 v133, v[140:141], off
	global_load_b32 v139, v[4:5], off offset:4
	s_wait_loadcnt 0x1
	global_store_b32 v[4:5], v133, off offset:4
	s_wait_loadcnt 0x0
	global_store_b32 v[140:141], v139, off
.LBB124_35:
	s_wait_xcnt 0x0
	s_or_b32 exec_lo, exec_lo, s12
	v_dual_mov_b32 v140, v132 :: v_dual_mov_b32 v139, v132
.LBB124_36:
	s_or_b32 exec_lo, exec_lo, s1
.LBB124_37:
	s_and_not1_saveexec_b32 s0, s0
	s_cbranch_execz .LBB124_39
; %bb.38:
	v_dual_mov_b32 v132, v124 :: v_dual_mov_b32 v133, v125
	v_dual_mov_b32 v140, v122 :: v_dual_mov_b32 v141, v123
	ds_store_2addr_b64 v136, v[132:133], v[140:141] offset0:2 offset1:3
	v_dual_mov_b32 v132, v120 :: v_dual_mov_b32 v133, v121
	v_dual_mov_b32 v140, v118 :: v_dual_mov_b32 v141, v119
	ds_store_2addr_b64 v136, v[132:133], v[140:141] offset0:4 offset1:5
	;; [unrolled: 3-line block ×30, first 2 shown]
	ds_store_b64 v136, v[130:131] offset:496
	v_mov_b32_e32 v140, 1
.LBB124_39:
	s_or_b32 exec_lo, exec_lo, s0
	s_delay_alu instid0(SALU_CYCLE_1)
	s_mov_b32 s0, exec_lo
	s_wait_storecnt_dscnt 0x0
	s_barrier_signal -1
	s_barrier_wait -1
	v_cmpx_lt_i32_e32 1, v140
	s_cbranch_execz .LBB124_41
; %bb.40:
	v_pk_mul_f32 v[142:143], v[134:135], v[126:127] op_sel:[1,1] op_sel_hi:[0,1]
	s_delay_alu instid0(VALU_DEP_1)
	v_pk_fma_f32 v[132:133], v[134:135], v[126:127], v[142:143] op_sel_hi:[1,0,1] neg_lo:[0,0,1] neg_hi:[0,0,1]
	v_pk_fma_f32 v[134:135], v[134:135], v[126:127], v[142:143] op_sel_hi:[1,0,1]
	ds_load_2addr_b64 v[142:145], v136 offset0:2 offset1:3
	v_dual_mov_b32 v126, v132 :: v_dual_mov_b32 v127, v135
	s_wait_dscnt 0x0
	v_pk_mul_f32 v[146:147], v[142:143], v[134:135] op_sel:[0,1]
	s_delay_alu instid0(VALU_DEP_1) | instskip(SKIP_1) | instid1(VALU_DEP_1)
	v_pk_fma_f32 v[148:149], v[142:143], v[132:133], v[146:147] op_sel:[0,0,1] op_sel_hi:[1,1,0] neg_lo:[0,0,1] neg_hi:[0,0,1]
	v_pk_fma_f32 v[142:143], v[142:143], v[132:133], v[146:147] op_sel:[0,0,1] op_sel_hi:[1,0,0]
	v_mov_b32_e32 v149, v143
	v_pk_mul_f32 v[142:143], v[144:145], v[134:135] op_sel:[0,1]
	s_delay_alu instid0(VALU_DEP_1) | instskip(SKIP_1) | instid1(VALU_DEP_1)
	v_pk_fma_f32 v[146:147], v[144:145], v[132:133], v[142:143] op_sel:[0,0,1] op_sel_hi:[1,1,0] neg_lo:[0,0,1] neg_hi:[0,0,1]
	v_pk_fma_f32 v[142:143], v[144:145], v[132:133], v[142:143] op_sel:[0,0,1] op_sel_hi:[1,0,0]
	v_mov_b32_e32 v147, v143
	ds_load_2addr_b64 v[142:145], v136 offset0:4 offset1:5
	v_pk_add_f32 v[124:125], v[124:125], v[148:149] neg_lo:[0,1] neg_hi:[0,1]
	v_pk_add_f32 v[122:123], v[122:123], v[146:147] neg_lo:[0,1] neg_hi:[0,1]
	s_wait_dscnt 0x0
	v_pk_mul_f32 v[146:147], v[142:143], v[134:135] op_sel:[0,1]
	s_delay_alu instid0(VALU_DEP_1) | instskip(SKIP_2) | instid1(VALU_DEP_2)
	v_pk_fma_f32 v[148:149], v[142:143], v[132:133], v[146:147] op_sel:[0,0,1] op_sel_hi:[1,1,0] neg_lo:[0,0,1] neg_hi:[0,0,1]
	v_pk_fma_f32 v[142:143], v[142:143], v[132:133], v[146:147] op_sel:[0,0,1] op_sel_hi:[1,0,0]
	v_dual_mul_f32 v146, v145, v135 :: v_dual_mov_b32 v142, v145
	v_dual_mov_b32 v149, v143 :: v_dual_mov_b32 v143, v144
	s_delay_alu instid0(VALU_DEP_2) | instskip(SKIP_1) | instid1(VALU_DEP_3)
	v_pk_fma_f32 v[146:147], v[144:145], v[126:127], v[146:147] op_sel_hi:[1,1,0] neg_lo:[0,0,1] neg_hi:[0,0,1]
	v_mul_f32_e32 v144, v145, v132
	v_pk_add_f32 v[120:121], v[120:121], v[148:149] neg_lo:[0,1] neg_hi:[0,1]
	s_delay_alu instid0(VALU_DEP_2) | instskip(NEXT) | instid1(VALU_DEP_1)
	v_pk_fma_f32 v[142:143], v[142:143], v[126:127], v[144:145] op_sel_hi:[1,1,0]
	v_mov_b32_e32 v147, v143
	ds_load_2addr_b64 v[142:145], v136 offset0:6 offset1:7
	v_pk_add_f32 v[118:119], v[118:119], v[146:147] neg_lo:[0,1] neg_hi:[0,1]
	s_wait_dscnt 0x0
	v_pk_mul_f32 v[146:147], v[142:143], v[134:135] op_sel:[0,1]
	s_delay_alu instid0(VALU_DEP_1) | instskip(SKIP_1) | instid1(VALU_DEP_1)
	v_pk_fma_f32 v[148:149], v[142:143], v[132:133], v[146:147] op_sel:[0,0,1] op_sel_hi:[1,1,0] neg_lo:[0,0,1] neg_hi:[0,0,1]
	v_pk_fma_f32 v[142:143], v[142:143], v[132:133], v[146:147] op_sel:[0,0,1] op_sel_hi:[1,0,0]
	v_mov_b32_e32 v149, v143
	v_pk_mul_f32 v[142:143], v[144:145], v[134:135] op_sel:[0,1]
	s_delay_alu instid0(VALU_DEP_1) | instskip(SKIP_1) | instid1(VALU_DEP_1)
	v_pk_fma_f32 v[146:147], v[144:145], v[132:133], v[142:143] op_sel:[0,0,1] op_sel_hi:[1,1,0] neg_lo:[0,0,1] neg_hi:[0,0,1]
	v_pk_fma_f32 v[142:143], v[144:145], v[132:133], v[142:143] op_sel:[0,0,1] op_sel_hi:[1,0,0]
	v_mov_b32_e32 v147, v143
	ds_load_2addr_b64 v[142:145], v136 offset0:8 offset1:9
	v_pk_add_f32 v[72:73], v[72:73], v[148:149] neg_lo:[0,1] neg_hi:[0,1]
	v_pk_add_f32 v[70:71], v[70:71], v[146:147] neg_lo:[0,1] neg_hi:[0,1]
	s_wait_dscnt 0x0
	v_pk_mul_f32 v[146:147], v[142:143], v[134:135] op_sel:[0,1]
	s_delay_alu instid0(VALU_DEP_1) | instskip(SKIP_1) | instid1(VALU_DEP_1)
	v_pk_fma_f32 v[148:149], v[142:143], v[132:133], v[146:147] op_sel:[0,0,1] op_sel_hi:[1,1,0] neg_lo:[0,0,1] neg_hi:[0,0,1]
	v_pk_fma_f32 v[142:143], v[142:143], v[132:133], v[146:147] op_sel:[0,0,1] op_sel_hi:[1,0,0]
	v_mov_b32_e32 v149, v143
	v_pk_mul_f32 v[142:143], v[144:145], v[134:135] op_sel:[0,1]
	s_delay_alu instid0(VALU_DEP_1) | instskip(SKIP_1) | instid1(VALU_DEP_1)
	v_pk_fma_f32 v[146:147], v[144:145], v[132:133], v[142:143] op_sel:[0,0,1] op_sel_hi:[1,1,0] neg_lo:[0,0,1] neg_hi:[0,0,1]
	v_pk_fma_f32 v[142:143], v[144:145], v[132:133], v[142:143] op_sel:[0,0,1] op_sel_hi:[1,0,0]
	v_mov_b32_e32 v147, v143
	ds_load_2addr_b64 v[142:145], v136 offset0:10 offset1:11
	v_pk_add_f32 v[116:117], v[116:117], v[148:149] neg_lo:[0,1] neg_hi:[0,1]
	v_pk_add_f32 v[114:115], v[114:115], v[146:147] neg_lo:[0,1] neg_hi:[0,1]
	s_wait_dscnt 0x0
	v_dual_mul_f32 v146, v143, v135 :: v_dual_mul_f32 v148, v143, v132
	s_delay_alu instid0(VALU_DEP_1) | instskip(NEXT) | instid1(VALU_DEP_2)
	v_pk_fma_f32 v[146:147], v[142:143], v[126:127], v[146:147] op_sel_hi:[1,1,0] neg_lo:[0,0,1] neg_hi:[0,0,1]
	v_pk_fma_f32 v[142:143], v[142:143], v[126:127], v[148:149] op_sel:[1,0,0] op_sel_hi:[0,1,0]
	s_delay_alu instid0(VALU_DEP_1) | instskip(SKIP_1) | instid1(VALU_DEP_2)
	v_mov_b32_e32 v147, v143
	v_pk_mul_f32 v[142:143], v[144:145], v[134:135] op_sel:[0,1]
	v_pk_add_f32 v[64:65], v[64:65], v[146:147] neg_lo:[0,1] neg_hi:[0,1]
	s_delay_alu instid0(VALU_DEP_2) | instskip(SKIP_1) | instid1(VALU_DEP_1)
	v_pk_fma_f32 v[146:147], v[144:145], v[132:133], v[142:143] op_sel:[0,0,1] op_sel_hi:[1,1,0] neg_lo:[0,0,1] neg_hi:[0,0,1]
	v_pk_fma_f32 v[142:143], v[144:145], v[132:133], v[142:143] op_sel:[0,0,1] op_sel_hi:[1,0,0]
	v_mov_b32_e32 v147, v143
	ds_load_2addr_b64 v[142:145], v136 offset0:12 offset1:13
	v_pk_add_f32 v[62:63], v[62:63], v[146:147] neg_lo:[0,1] neg_hi:[0,1]
	s_wait_dscnt 0x0
	v_pk_mul_f32 v[146:147], v[142:143], v[134:135] op_sel:[0,1]
	s_delay_alu instid0(VALU_DEP_1) | instskip(SKIP_1) | instid1(VALU_DEP_1)
	v_pk_fma_f32 v[148:149], v[142:143], v[132:133], v[146:147] op_sel:[0,0,1] op_sel_hi:[1,1,0] neg_lo:[0,0,1] neg_hi:[0,0,1]
	v_pk_fma_f32 v[142:143], v[142:143], v[132:133], v[146:147] op_sel:[0,0,1] op_sel_hi:[1,0,0]
	v_mov_b32_e32 v149, v143
	v_pk_mul_f32 v[142:143], v[144:145], v[134:135] op_sel:[0,1]
	s_delay_alu instid0(VALU_DEP_2) | instskip(NEXT) | instid1(VALU_DEP_2)
	v_pk_add_f32 v[112:113], v[112:113], v[148:149] neg_lo:[0,1] neg_hi:[0,1]
	v_pk_fma_f32 v[146:147], v[144:145], v[132:133], v[142:143] op_sel:[0,0,1] op_sel_hi:[1,1,0] neg_lo:[0,0,1] neg_hi:[0,0,1]
	v_pk_fma_f32 v[142:143], v[144:145], v[132:133], v[142:143] op_sel:[0,0,1] op_sel_hi:[1,0,0]
	s_delay_alu instid0(VALU_DEP_1) | instskip(SKIP_4) | instid1(VALU_DEP_1)
	v_mov_b32_e32 v147, v143
	ds_load_2addr_b64 v[142:145], v136 offset0:14 offset1:15
	v_pk_add_f32 v[110:111], v[110:111], v[146:147] neg_lo:[0,1] neg_hi:[0,1]
	s_wait_dscnt 0x0
	v_pk_mul_f32 v[146:147], v[142:143], v[134:135] op_sel:[0,1]
	v_pk_fma_f32 v[148:149], v[142:143], v[132:133], v[146:147] op_sel:[0,0,1] op_sel_hi:[1,1,0] neg_lo:[0,0,1] neg_hi:[0,0,1]
	v_pk_fma_f32 v[142:143], v[142:143], v[132:133], v[146:147] op_sel:[0,0,1] op_sel_hi:[1,0,0]
	v_dual_mul_f32 v146, v145, v135 :: v_dual_mov_b32 v142, v145
	s_delay_alu instid0(VALU_DEP_2) | instskip(NEXT) | instid1(VALU_DEP_2)
	v_dual_mov_b32 v149, v143 :: v_dual_mov_b32 v143, v144
	v_pk_fma_f32 v[146:147], v[144:145], v[126:127], v[146:147] op_sel_hi:[1,1,0] neg_lo:[0,0,1] neg_hi:[0,0,1]
	v_mul_f32_e32 v144, v145, v132
	s_delay_alu instid0(VALU_DEP_3) | instskip(NEXT) | instid1(VALU_DEP_2)
	v_pk_add_f32 v[60:61], v[60:61], v[148:149] neg_lo:[0,1] neg_hi:[0,1]
	v_pk_fma_f32 v[142:143], v[142:143], v[126:127], v[144:145] op_sel_hi:[1,1,0]
	s_delay_alu instid0(VALU_DEP_1) | instskip(SKIP_4) | instid1(VALU_DEP_1)
	v_mov_b32_e32 v147, v143
	ds_load_2addr_b64 v[142:145], v136 offset0:16 offset1:17
	v_pk_add_f32 v[58:59], v[58:59], v[146:147] neg_lo:[0,1] neg_hi:[0,1]
	s_wait_dscnt 0x0
	v_pk_mul_f32 v[146:147], v[142:143], v[134:135] op_sel:[0,1]
	v_pk_fma_f32 v[148:149], v[142:143], v[132:133], v[146:147] op_sel:[0,0,1] op_sel_hi:[1,1,0] neg_lo:[0,0,1] neg_hi:[0,0,1]
	v_pk_fma_f32 v[142:143], v[142:143], v[132:133], v[146:147] op_sel:[0,0,1] op_sel_hi:[1,0,0]
	s_delay_alu instid0(VALU_DEP_1) | instskip(SKIP_1) | instid1(VALU_DEP_1)
	v_mov_b32_e32 v149, v143
	v_pk_mul_f32 v[142:143], v[144:145], v[134:135] op_sel:[0,1]
	v_pk_fma_f32 v[146:147], v[144:145], v[132:133], v[142:143] op_sel:[0,0,1] op_sel_hi:[1,1,0] neg_lo:[0,0,1] neg_hi:[0,0,1]
	v_pk_fma_f32 v[142:143], v[144:145], v[132:133], v[142:143] op_sel:[0,0,1] op_sel_hi:[1,0,0]
	s_delay_alu instid0(VALU_DEP_1)
	v_mov_b32_e32 v147, v143
	ds_load_2addr_b64 v[142:145], v136 offset0:18 offset1:19
	v_pk_add_f32 v[108:109], v[108:109], v[148:149] neg_lo:[0,1] neg_hi:[0,1]
	v_pk_add_f32 v[106:107], v[106:107], v[146:147] neg_lo:[0,1] neg_hi:[0,1]
	s_wait_dscnt 0x0
	v_pk_mul_f32 v[146:147], v[142:143], v[134:135] op_sel:[0,1]
	s_delay_alu instid0(VALU_DEP_1) | instskip(SKIP_1) | instid1(VALU_DEP_1)
	v_pk_fma_f32 v[148:149], v[142:143], v[132:133], v[146:147] op_sel:[0,0,1] op_sel_hi:[1,1,0] neg_lo:[0,0,1] neg_hi:[0,0,1]
	v_pk_fma_f32 v[142:143], v[142:143], v[132:133], v[146:147] op_sel:[0,0,1] op_sel_hi:[1,0,0]
	v_mov_b32_e32 v149, v143
	v_pk_mul_f32 v[142:143], v[144:145], v[134:135] op_sel:[0,1]
	s_delay_alu instid0(VALU_DEP_1) | instskip(SKIP_1) | instid1(VALU_DEP_1)
	v_pk_fma_f32 v[146:147], v[144:145], v[132:133], v[142:143] op_sel:[0,0,1] op_sel_hi:[1,1,0] neg_lo:[0,0,1] neg_hi:[0,0,1]
	v_pk_fma_f32 v[142:143], v[144:145], v[132:133], v[142:143] op_sel:[0,0,1] op_sel_hi:[1,0,0]
	v_mov_b32_e32 v147, v143
	ds_load_2addr_b64 v[142:145], v136 offset0:20 offset1:21
	v_pk_add_f32 v[56:57], v[56:57], v[148:149] neg_lo:[0,1] neg_hi:[0,1]
	v_pk_add_f32 v[54:55], v[54:55], v[146:147] neg_lo:[0,1] neg_hi:[0,1]
	s_wait_dscnt 0x0
	v_dual_mul_f32 v146, v143, v135 :: v_dual_mul_f32 v148, v143, v132
	s_delay_alu instid0(VALU_DEP_1) | instskip(NEXT) | instid1(VALU_DEP_2)
	v_pk_fma_f32 v[146:147], v[142:143], v[126:127], v[146:147] op_sel_hi:[1,1,0] neg_lo:[0,0,1] neg_hi:[0,0,1]
	v_pk_fma_f32 v[142:143], v[142:143], v[126:127], v[148:149] op_sel:[1,0,0] op_sel_hi:[0,1,0]
	s_delay_alu instid0(VALU_DEP_1) | instskip(SKIP_1) | instid1(VALU_DEP_2)
	v_mov_b32_e32 v147, v143
	v_pk_mul_f32 v[142:143], v[144:145], v[134:135] op_sel:[0,1]
	v_pk_add_f32 v[104:105], v[104:105], v[146:147] neg_lo:[0,1] neg_hi:[0,1]
	s_delay_alu instid0(VALU_DEP_2) | instskip(SKIP_1) | instid1(VALU_DEP_1)
	v_pk_fma_f32 v[146:147], v[144:145], v[132:133], v[142:143] op_sel:[0,0,1] op_sel_hi:[1,1,0] neg_lo:[0,0,1] neg_hi:[0,0,1]
	v_pk_fma_f32 v[142:143], v[144:145], v[132:133], v[142:143] op_sel:[0,0,1] op_sel_hi:[1,0,0]
	v_mov_b32_e32 v147, v143
	ds_load_2addr_b64 v[142:145], v136 offset0:22 offset1:23
	v_pk_add_f32 v[102:103], v[102:103], v[146:147] neg_lo:[0,1] neg_hi:[0,1]
	s_wait_dscnt 0x0
	v_pk_mul_f32 v[146:147], v[142:143], v[134:135] op_sel:[0,1]
	s_delay_alu instid0(VALU_DEP_1) | instskip(SKIP_1) | instid1(VALU_DEP_1)
	v_pk_fma_f32 v[148:149], v[142:143], v[132:133], v[146:147] op_sel:[0,0,1] op_sel_hi:[1,1,0] neg_lo:[0,0,1] neg_hi:[0,0,1]
	v_pk_fma_f32 v[142:143], v[142:143], v[132:133], v[146:147] op_sel:[0,0,1] op_sel_hi:[1,0,0]
	v_mov_b32_e32 v149, v143
	v_pk_mul_f32 v[142:143], v[144:145], v[134:135] op_sel:[0,1]
	s_delay_alu instid0(VALU_DEP_2) | instskip(NEXT) | instid1(VALU_DEP_2)
	v_pk_add_f32 v[52:53], v[52:53], v[148:149] neg_lo:[0,1] neg_hi:[0,1]
	v_pk_fma_f32 v[146:147], v[144:145], v[132:133], v[142:143] op_sel:[0,0,1] op_sel_hi:[1,1,0] neg_lo:[0,0,1] neg_hi:[0,0,1]
	v_pk_fma_f32 v[142:143], v[144:145], v[132:133], v[142:143] op_sel:[0,0,1] op_sel_hi:[1,0,0]
	s_delay_alu instid0(VALU_DEP_1) | instskip(SKIP_4) | instid1(VALU_DEP_1)
	v_mov_b32_e32 v147, v143
	ds_load_2addr_b64 v[142:145], v136 offset0:24 offset1:25
	v_pk_add_f32 v[50:51], v[50:51], v[146:147] neg_lo:[0,1] neg_hi:[0,1]
	s_wait_dscnt 0x0
	v_pk_mul_f32 v[146:147], v[142:143], v[134:135] op_sel:[0,1]
	v_pk_fma_f32 v[148:149], v[142:143], v[132:133], v[146:147] op_sel:[0,0,1] op_sel_hi:[1,1,0] neg_lo:[0,0,1] neg_hi:[0,0,1]
	v_pk_fma_f32 v[142:143], v[142:143], v[132:133], v[146:147] op_sel:[0,0,1] op_sel_hi:[1,0,0]
	v_dual_mul_f32 v146, v145, v135 :: v_dual_mov_b32 v142, v145
	s_delay_alu instid0(VALU_DEP_2) | instskip(NEXT) | instid1(VALU_DEP_2)
	v_dual_mov_b32 v149, v143 :: v_dual_mov_b32 v143, v144
	v_pk_fma_f32 v[146:147], v[144:145], v[126:127], v[146:147] op_sel_hi:[1,1,0] neg_lo:[0,0,1] neg_hi:[0,0,1]
	v_mul_f32_e32 v144, v145, v132
	s_delay_alu instid0(VALU_DEP_3) | instskip(NEXT) | instid1(VALU_DEP_2)
	v_pk_add_f32 v[100:101], v[100:101], v[148:149] neg_lo:[0,1] neg_hi:[0,1]
	v_pk_fma_f32 v[142:143], v[142:143], v[126:127], v[144:145] op_sel_hi:[1,1,0]
	s_delay_alu instid0(VALU_DEP_1) | instskip(SKIP_4) | instid1(VALU_DEP_1)
	v_mov_b32_e32 v147, v143
	ds_load_2addr_b64 v[142:145], v136 offset0:26 offset1:27
	v_pk_add_f32 v[98:99], v[98:99], v[146:147] neg_lo:[0,1] neg_hi:[0,1]
	s_wait_dscnt 0x0
	v_pk_mul_f32 v[146:147], v[142:143], v[134:135] op_sel:[0,1]
	v_pk_fma_f32 v[148:149], v[142:143], v[132:133], v[146:147] op_sel:[0,0,1] op_sel_hi:[1,1,0] neg_lo:[0,0,1] neg_hi:[0,0,1]
	v_pk_fma_f32 v[142:143], v[142:143], v[132:133], v[146:147] op_sel:[0,0,1] op_sel_hi:[1,0,0]
	s_delay_alu instid0(VALU_DEP_1) | instskip(SKIP_1) | instid1(VALU_DEP_1)
	v_mov_b32_e32 v149, v143
	v_pk_mul_f32 v[142:143], v[144:145], v[134:135] op_sel:[0,1]
	v_pk_fma_f32 v[146:147], v[144:145], v[132:133], v[142:143] op_sel:[0,0,1] op_sel_hi:[1,1,0] neg_lo:[0,0,1] neg_hi:[0,0,1]
	v_pk_fma_f32 v[142:143], v[144:145], v[132:133], v[142:143] op_sel:[0,0,1] op_sel_hi:[1,0,0]
	s_delay_alu instid0(VALU_DEP_1)
	v_mov_b32_e32 v147, v143
	ds_load_2addr_b64 v[142:145], v136 offset0:28 offset1:29
	v_pk_add_f32 v[48:49], v[48:49], v[148:149] neg_lo:[0,1] neg_hi:[0,1]
	v_pk_add_f32 v[46:47], v[46:47], v[146:147] neg_lo:[0,1] neg_hi:[0,1]
	s_wait_dscnt 0x0
	v_pk_mul_f32 v[146:147], v[142:143], v[134:135] op_sel:[0,1]
	s_delay_alu instid0(VALU_DEP_1) | instskip(SKIP_1) | instid1(VALU_DEP_1)
	v_pk_fma_f32 v[148:149], v[142:143], v[132:133], v[146:147] op_sel:[0,0,1] op_sel_hi:[1,1,0] neg_lo:[0,0,1] neg_hi:[0,0,1]
	v_pk_fma_f32 v[142:143], v[142:143], v[132:133], v[146:147] op_sel:[0,0,1] op_sel_hi:[1,0,0]
	v_mov_b32_e32 v149, v143
	v_pk_mul_f32 v[142:143], v[144:145], v[134:135] op_sel:[0,1]
	s_delay_alu instid0(VALU_DEP_1) | instskip(SKIP_1) | instid1(VALU_DEP_1)
	v_pk_fma_f32 v[146:147], v[144:145], v[132:133], v[142:143] op_sel:[0,0,1] op_sel_hi:[1,1,0] neg_lo:[0,0,1] neg_hi:[0,0,1]
	v_pk_fma_f32 v[142:143], v[144:145], v[132:133], v[142:143] op_sel:[0,0,1] op_sel_hi:[1,0,0]
	v_mov_b32_e32 v147, v143
	ds_load_2addr_b64 v[142:145], v136 offset0:30 offset1:31
	v_pk_add_f32 v[96:97], v[96:97], v[148:149] neg_lo:[0,1] neg_hi:[0,1]
	v_pk_add_f32 v[94:95], v[94:95], v[146:147] neg_lo:[0,1] neg_hi:[0,1]
	s_wait_dscnt 0x0
	v_dual_mul_f32 v146, v143, v135 :: v_dual_mul_f32 v148, v143, v132
	s_delay_alu instid0(VALU_DEP_1) | instskip(NEXT) | instid1(VALU_DEP_2)
	v_pk_fma_f32 v[146:147], v[142:143], v[126:127], v[146:147] op_sel_hi:[1,1,0] neg_lo:[0,0,1] neg_hi:[0,0,1]
	v_pk_fma_f32 v[142:143], v[142:143], v[126:127], v[148:149] op_sel:[1,0,0] op_sel_hi:[0,1,0]
	s_delay_alu instid0(VALU_DEP_1) | instskip(SKIP_1) | instid1(VALU_DEP_2)
	v_mov_b32_e32 v147, v143
	v_pk_mul_f32 v[142:143], v[144:145], v[134:135] op_sel:[0,1]
	v_pk_add_f32 v[44:45], v[44:45], v[146:147] neg_lo:[0,1] neg_hi:[0,1]
	s_delay_alu instid0(VALU_DEP_2) | instskip(SKIP_1) | instid1(VALU_DEP_1)
	v_pk_fma_f32 v[146:147], v[144:145], v[132:133], v[142:143] op_sel:[0,0,1] op_sel_hi:[1,1,0] neg_lo:[0,0,1] neg_hi:[0,0,1]
	v_pk_fma_f32 v[142:143], v[144:145], v[132:133], v[142:143] op_sel:[0,0,1] op_sel_hi:[1,0,0]
	v_mov_b32_e32 v147, v143
	ds_load_2addr_b64 v[142:145], v136 offset0:32 offset1:33
	v_pk_add_f32 v[42:43], v[42:43], v[146:147] neg_lo:[0,1] neg_hi:[0,1]
	s_wait_dscnt 0x0
	v_pk_mul_f32 v[146:147], v[142:143], v[134:135] op_sel:[0,1]
	s_delay_alu instid0(VALU_DEP_1) | instskip(SKIP_1) | instid1(VALU_DEP_1)
	v_pk_fma_f32 v[148:149], v[142:143], v[132:133], v[146:147] op_sel:[0,0,1] op_sel_hi:[1,1,0] neg_lo:[0,0,1] neg_hi:[0,0,1]
	v_pk_fma_f32 v[142:143], v[142:143], v[132:133], v[146:147] op_sel:[0,0,1] op_sel_hi:[1,0,0]
	v_mov_b32_e32 v149, v143
	v_pk_mul_f32 v[142:143], v[144:145], v[134:135] op_sel:[0,1]
	s_delay_alu instid0(VALU_DEP_2) | instskip(NEXT) | instid1(VALU_DEP_2)
	v_pk_add_f32 v[92:93], v[92:93], v[148:149] neg_lo:[0,1] neg_hi:[0,1]
	v_pk_fma_f32 v[146:147], v[144:145], v[132:133], v[142:143] op_sel:[0,0,1] op_sel_hi:[1,1,0] neg_lo:[0,0,1] neg_hi:[0,0,1]
	v_pk_fma_f32 v[142:143], v[144:145], v[132:133], v[142:143] op_sel:[0,0,1] op_sel_hi:[1,0,0]
	s_delay_alu instid0(VALU_DEP_1) | instskip(SKIP_4) | instid1(VALU_DEP_1)
	v_mov_b32_e32 v147, v143
	ds_load_2addr_b64 v[142:145], v136 offset0:34 offset1:35
	v_pk_add_f32 v[90:91], v[90:91], v[146:147] neg_lo:[0,1] neg_hi:[0,1]
	s_wait_dscnt 0x0
	v_pk_mul_f32 v[146:147], v[142:143], v[134:135] op_sel:[0,1]
	v_pk_fma_f32 v[148:149], v[142:143], v[132:133], v[146:147] op_sel:[0,0,1] op_sel_hi:[1,1,0] neg_lo:[0,0,1] neg_hi:[0,0,1]
	v_pk_fma_f32 v[142:143], v[142:143], v[132:133], v[146:147] op_sel:[0,0,1] op_sel_hi:[1,0,0]
	v_dual_mul_f32 v146, v145, v135 :: v_dual_mov_b32 v142, v145
	s_delay_alu instid0(VALU_DEP_2) | instskip(NEXT) | instid1(VALU_DEP_2)
	v_dual_mov_b32 v149, v143 :: v_dual_mov_b32 v143, v144
	v_pk_fma_f32 v[146:147], v[144:145], v[126:127], v[146:147] op_sel_hi:[1,1,0] neg_lo:[0,0,1] neg_hi:[0,0,1]
	v_mul_f32_e32 v144, v145, v132
	s_delay_alu instid0(VALU_DEP_3) | instskip(NEXT) | instid1(VALU_DEP_2)
	v_pk_add_f32 v[40:41], v[40:41], v[148:149] neg_lo:[0,1] neg_hi:[0,1]
	v_pk_fma_f32 v[142:143], v[142:143], v[126:127], v[144:145] op_sel_hi:[1,1,0]
	s_delay_alu instid0(VALU_DEP_1) | instskip(SKIP_4) | instid1(VALU_DEP_1)
	v_mov_b32_e32 v147, v143
	ds_load_2addr_b64 v[142:145], v136 offset0:36 offset1:37
	v_pk_add_f32 v[38:39], v[38:39], v[146:147] neg_lo:[0,1] neg_hi:[0,1]
	s_wait_dscnt 0x0
	v_pk_mul_f32 v[146:147], v[142:143], v[134:135] op_sel:[0,1]
	v_pk_fma_f32 v[148:149], v[142:143], v[132:133], v[146:147] op_sel:[0,0,1] op_sel_hi:[1,1,0] neg_lo:[0,0,1] neg_hi:[0,0,1]
	v_pk_fma_f32 v[142:143], v[142:143], v[132:133], v[146:147] op_sel:[0,0,1] op_sel_hi:[1,0,0]
	s_delay_alu instid0(VALU_DEP_1) | instskip(SKIP_1) | instid1(VALU_DEP_1)
	v_mov_b32_e32 v149, v143
	v_pk_mul_f32 v[142:143], v[144:145], v[134:135] op_sel:[0,1]
	v_pk_fma_f32 v[146:147], v[144:145], v[132:133], v[142:143] op_sel:[0,0,1] op_sel_hi:[1,1,0] neg_lo:[0,0,1] neg_hi:[0,0,1]
	v_pk_fma_f32 v[142:143], v[144:145], v[132:133], v[142:143] op_sel:[0,0,1] op_sel_hi:[1,0,0]
	s_delay_alu instid0(VALU_DEP_1)
	v_mov_b32_e32 v147, v143
	ds_load_2addr_b64 v[142:145], v136 offset0:38 offset1:39
	v_pk_add_f32 v[88:89], v[88:89], v[148:149] neg_lo:[0,1] neg_hi:[0,1]
	v_pk_add_f32 v[86:87], v[86:87], v[146:147] neg_lo:[0,1] neg_hi:[0,1]
	s_wait_dscnt 0x0
	v_pk_mul_f32 v[146:147], v[142:143], v[134:135] op_sel:[0,1]
	s_delay_alu instid0(VALU_DEP_1) | instskip(SKIP_1) | instid1(VALU_DEP_1)
	v_pk_fma_f32 v[148:149], v[142:143], v[132:133], v[146:147] op_sel:[0,0,1] op_sel_hi:[1,1,0] neg_lo:[0,0,1] neg_hi:[0,0,1]
	v_pk_fma_f32 v[142:143], v[142:143], v[132:133], v[146:147] op_sel:[0,0,1] op_sel_hi:[1,0,0]
	v_mov_b32_e32 v149, v143
	v_pk_mul_f32 v[142:143], v[144:145], v[134:135] op_sel:[0,1]
	s_delay_alu instid0(VALU_DEP_1) | instskip(SKIP_1) | instid1(VALU_DEP_1)
	v_pk_fma_f32 v[146:147], v[144:145], v[132:133], v[142:143] op_sel:[0,0,1] op_sel_hi:[1,1,0] neg_lo:[0,0,1] neg_hi:[0,0,1]
	v_pk_fma_f32 v[142:143], v[144:145], v[132:133], v[142:143] op_sel:[0,0,1] op_sel_hi:[1,0,0]
	v_mov_b32_e32 v147, v143
	ds_load_2addr_b64 v[142:145], v136 offset0:40 offset1:41
	v_pk_add_f32 v[36:37], v[36:37], v[148:149] neg_lo:[0,1] neg_hi:[0,1]
	v_pk_add_f32 v[32:33], v[32:33], v[146:147] neg_lo:[0,1] neg_hi:[0,1]
	s_wait_dscnt 0x0
	v_dual_mul_f32 v146, v143, v135 :: v_dual_mul_f32 v148, v143, v132
	s_delay_alu instid0(VALU_DEP_1) | instskip(NEXT) | instid1(VALU_DEP_2)
	v_pk_fma_f32 v[146:147], v[142:143], v[126:127], v[146:147] op_sel_hi:[1,1,0] neg_lo:[0,0,1] neg_hi:[0,0,1]
	v_pk_fma_f32 v[142:143], v[142:143], v[126:127], v[148:149] op_sel:[1,0,0] op_sel_hi:[0,1,0]
	s_delay_alu instid0(VALU_DEP_1) | instskip(SKIP_1) | instid1(VALU_DEP_2)
	v_mov_b32_e32 v147, v143
	v_pk_mul_f32 v[142:143], v[144:145], v[134:135] op_sel:[0,1]
	v_pk_add_f32 v[84:85], v[84:85], v[146:147] neg_lo:[0,1] neg_hi:[0,1]
	s_delay_alu instid0(VALU_DEP_2) | instskip(SKIP_1) | instid1(VALU_DEP_1)
	v_pk_fma_f32 v[146:147], v[144:145], v[132:133], v[142:143] op_sel:[0,0,1] op_sel_hi:[1,1,0] neg_lo:[0,0,1] neg_hi:[0,0,1]
	v_pk_fma_f32 v[142:143], v[144:145], v[132:133], v[142:143] op_sel:[0,0,1] op_sel_hi:[1,0,0]
	v_mov_b32_e32 v147, v143
	ds_load_2addr_b64 v[142:145], v136 offset0:42 offset1:43
	v_pk_add_f32 v[82:83], v[82:83], v[146:147] neg_lo:[0,1] neg_hi:[0,1]
	s_wait_dscnt 0x0
	v_pk_mul_f32 v[146:147], v[142:143], v[134:135] op_sel:[0,1]
	s_delay_alu instid0(VALU_DEP_1) | instskip(SKIP_1) | instid1(VALU_DEP_1)
	v_pk_fma_f32 v[148:149], v[142:143], v[132:133], v[146:147] op_sel:[0,0,1] op_sel_hi:[1,1,0] neg_lo:[0,0,1] neg_hi:[0,0,1]
	v_pk_fma_f32 v[142:143], v[142:143], v[132:133], v[146:147] op_sel:[0,0,1] op_sel_hi:[1,0,0]
	v_mov_b32_e32 v149, v143
	v_pk_mul_f32 v[142:143], v[144:145], v[134:135] op_sel:[0,1]
	s_delay_alu instid0(VALU_DEP_2) | instskip(NEXT) | instid1(VALU_DEP_2)
	v_pk_add_f32 v[24:25], v[24:25], v[148:149] neg_lo:[0,1] neg_hi:[0,1]
	v_pk_fma_f32 v[146:147], v[144:145], v[132:133], v[142:143] op_sel:[0,0,1] op_sel_hi:[1,1,0] neg_lo:[0,0,1] neg_hi:[0,0,1]
	v_pk_fma_f32 v[142:143], v[144:145], v[132:133], v[142:143] op_sel:[0,0,1] op_sel_hi:[1,0,0]
	s_delay_alu instid0(VALU_DEP_1) | instskip(SKIP_4) | instid1(VALU_DEP_1)
	v_mov_b32_e32 v147, v143
	ds_load_2addr_b64 v[142:145], v136 offset0:44 offset1:45
	v_pk_add_f32 v[22:23], v[22:23], v[146:147] neg_lo:[0,1] neg_hi:[0,1]
	s_wait_dscnt 0x0
	v_pk_mul_f32 v[146:147], v[142:143], v[134:135] op_sel:[0,1]
	v_pk_fma_f32 v[148:149], v[142:143], v[132:133], v[146:147] op_sel:[0,0,1] op_sel_hi:[1,1,0] neg_lo:[0,0,1] neg_hi:[0,0,1]
	v_pk_fma_f32 v[142:143], v[142:143], v[132:133], v[146:147] op_sel:[0,0,1] op_sel_hi:[1,0,0]
	v_dual_mul_f32 v146, v145, v135 :: v_dual_mov_b32 v142, v145
	s_delay_alu instid0(VALU_DEP_2) | instskip(NEXT) | instid1(VALU_DEP_2)
	v_dual_mov_b32 v149, v143 :: v_dual_mov_b32 v143, v144
	v_pk_fma_f32 v[146:147], v[144:145], v[126:127], v[146:147] op_sel_hi:[1,1,0] neg_lo:[0,0,1] neg_hi:[0,0,1]
	v_mul_f32_e32 v144, v145, v132
	s_delay_alu instid0(VALU_DEP_3) | instskip(NEXT) | instid1(VALU_DEP_2)
	v_pk_add_f32 v[80:81], v[80:81], v[148:149] neg_lo:[0,1] neg_hi:[0,1]
	v_pk_fma_f32 v[142:143], v[142:143], v[126:127], v[144:145] op_sel_hi:[1,1,0]
	s_delay_alu instid0(VALU_DEP_1) | instskip(SKIP_4) | instid1(VALU_DEP_1)
	v_mov_b32_e32 v147, v143
	ds_load_2addr_b64 v[142:145], v136 offset0:46 offset1:47
	v_pk_add_f32 v[78:79], v[78:79], v[146:147] neg_lo:[0,1] neg_hi:[0,1]
	s_wait_dscnt 0x0
	v_pk_mul_f32 v[146:147], v[142:143], v[134:135] op_sel:[0,1]
	v_pk_fma_f32 v[148:149], v[142:143], v[132:133], v[146:147] op_sel:[0,0,1] op_sel_hi:[1,1,0] neg_lo:[0,0,1] neg_hi:[0,0,1]
	v_pk_fma_f32 v[142:143], v[142:143], v[132:133], v[146:147] op_sel:[0,0,1] op_sel_hi:[1,0,0]
	s_delay_alu instid0(VALU_DEP_1) | instskip(SKIP_1) | instid1(VALU_DEP_1)
	v_mov_b32_e32 v149, v143
	v_pk_mul_f32 v[142:143], v[144:145], v[134:135] op_sel:[0,1]
	v_pk_fma_f32 v[146:147], v[144:145], v[132:133], v[142:143] op_sel:[0,0,1] op_sel_hi:[1,1,0] neg_lo:[0,0,1] neg_hi:[0,0,1]
	v_pk_fma_f32 v[142:143], v[144:145], v[132:133], v[142:143] op_sel:[0,0,1] op_sel_hi:[1,0,0]
	s_delay_alu instid0(VALU_DEP_1)
	v_mov_b32_e32 v147, v143
	ds_load_2addr_b64 v[142:145], v136 offset0:48 offset1:49
	v_pk_add_f32 v[20:21], v[20:21], v[148:149] neg_lo:[0,1] neg_hi:[0,1]
	v_pk_add_f32 v[18:19], v[18:19], v[146:147] neg_lo:[0,1] neg_hi:[0,1]
	s_wait_dscnt 0x0
	v_pk_mul_f32 v[146:147], v[142:143], v[134:135] op_sel:[0,1]
	s_delay_alu instid0(VALU_DEP_1) | instskip(SKIP_1) | instid1(VALU_DEP_1)
	v_pk_fma_f32 v[148:149], v[142:143], v[132:133], v[146:147] op_sel:[0,0,1] op_sel_hi:[1,1,0] neg_lo:[0,0,1] neg_hi:[0,0,1]
	v_pk_fma_f32 v[142:143], v[142:143], v[132:133], v[146:147] op_sel:[0,0,1] op_sel_hi:[1,0,0]
	v_mov_b32_e32 v149, v143
	v_pk_mul_f32 v[142:143], v[144:145], v[134:135] op_sel:[0,1]
	s_delay_alu instid0(VALU_DEP_1) | instskip(SKIP_1) | instid1(VALU_DEP_1)
	v_pk_fma_f32 v[146:147], v[144:145], v[132:133], v[142:143] op_sel:[0,0,1] op_sel_hi:[1,1,0] neg_lo:[0,0,1] neg_hi:[0,0,1]
	v_pk_fma_f32 v[142:143], v[144:145], v[132:133], v[142:143] op_sel:[0,0,1] op_sel_hi:[1,0,0]
	v_mov_b32_e32 v147, v143
	ds_load_2addr_b64 v[142:145], v136 offset0:50 offset1:51
	v_pk_add_f32 v[76:77], v[76:77], v[148:149] neg_lo:[0,1] neg_hi:[0,1]
	v_pk_add_f32 v[74:75], v[74:75], v[146:147] neg_lo:[0,1] neg_hi:[0,1]
	s_wait_dscnt 0x0
	v_dual_mul_f32 v146, v143, v135 :: v_dual_mul_f32 v148, v143, v132
	s_delay_alu instid0(VALU_DEP_1) | instskip(NEXT) | instid1(VALU_DEP_2)
	v_pk_fma_f32 v[146:147], v[142:143], v[126:127], v[146:147] op_sel_hi:[1,1,0] neg_lo:[0,0,1] neg_hi:[0,0,1]
	v_pk_fma_f32 v[142:143], v[142:143], v[126:127], v[148:149] op_sel:[1,0,0] op_sel_hi:[0,1,0]
	s_delay_alu instid0(VALU_DEP_1) | instskip(SKIP_1) | instid1(VALU_DEP_2)
	v_mov_b32_e32 v147, v143
	v_pk_mul_f32 v[142:143], v[144:145], v[134:135] op_sel:[0,1]
	v_pk_add_f32 v[16:17], v[16:17], v[146:147] neg_lo:[0,1] neg_hi:[0,1]
	s_delay_alu instid0(VALU_DEP_2) | instskip(SKIP_1) | instid1(VALU_DEP_1)
	v_pk_fma_f32 v[146:147], v[144:145], v[132:133], v[142:143] op_sel:[0,0,1] op_sel_hi:[1,1,0] neg_lo:[0,0,1] neg_hi:[0,0,1]
	v_pk_fma_f32 v[142:143], v[144:145], v[132:133], v[142:143] op_sel:[0,0,1] op_sel_hi:[1,0,0]
	v_mov_b32_e32 v147, v143
	ds_load_2addr_b64 v[142:145], v136 offset0:52 offset1:53
	v_pk_add_f32 v[28:29], v[28:29], v[146:147] neg_lo:[0,1] neg_hi:[0,1]
	s_wait_dscnt 0x0
	v_pk_mul_f32 v[146:147], v[142:143], v[134:135] op_sel:[0,1]
	s_delay_alu instid0(VALU_DEP_1) | instskip(SKIP_1) | instid1(VALU_DEP_1)
	v_pk_fma_f32 v[148:149], v[142:143], v[132:133], v[146:147] op_sel:[0,0,1] op_sel_hi:[1,1,0] neg_lo:[0,0,1] neg_hi:[0,0,1]
	v_pk_fma_f32 v[142:143], v[142:143], v[132:133], v[146:147] op_sel:[0,0,1] op_sel_hi:[1,0,0]
	v_mov_b32_e32 v149, v143
	v_pk_mul_f32 v[142:143], v[144:145], v[134:135] op_sel:[0,1]
	s_delay_alu instid0(VALU_DEP_2) | instskip(NEXT) | instid1(VALU_DEP_2)
	v_pk_add_f32 v[68:69], v[68:69], v[148:149] neg_lo:[0,1] neg_hi:[0,1]
	v_pk_fma_f32 v[146:147], v[144:145], v[132:133], v[142:143] op_sel:[0,0,1] op_sel_hi:[1,1,0] neg_lo:[0,0,1] neg_hi:[0,0,1]
	v_pk_fma_f32 v[142:143], v[144:145], v[132:133], v[142:143] op_sel:[0,0,1] op_sel_hi:[1,0,0]
	s_delay_alu instid0(VALU_DEP_1) | instskip(SKIP_4) | instid1(VALU_DEP_1)
	v_mov_b32_e32 v147, v143
	ds_load_2addr_b64 v[142:145], v136 offset0:54 offset1:55
	v_pk_add_f32 v[66:67], v[66:67], v[146:147] neg_lo:[0,1] neg_hi:[0,1]
	s_wait_dscnt 0x0
	v_pk_mul_f32 v[146:147], v[142:143], v[134:135] op_sel:[0,1]
	v_pk_fma_f32 v[148:149], v[142:143], v[132:133], v[146:147] op_sel:[0,0,1] op_sel_hi:[1,1,0] neg_lo:[0,0,1] neg_hi:[0,0,1]
	v_pk_fma_f32 v[142:143], v[142:143], v[132:133], v[146:147] op_sel:[0,0,1] op_sel_hi:[1,0,0]
	v_dual_mul_f32 v146, v145, v135 :: v_dual_mov_b32 v142, v145
	s_delay_alu instid0(VALU_DEP_2) | instskip(NEXT) | instid1(VALU_DEP_2)
	v_dual_mov_b32 v149, v143 :: v_dual_mov_b32 v143, v144
	v_pk_fma_f32 v[146:147], v[144:145], v[126:127], v[146:147] op_sel_hi:[1,1,0] neg_lo:[0,0,1] neg_hi:[0,0,1]
	v_mul_f32_e32 v144, v145, v132
	s_delay_alu instid0(VALU_DEP_3) | instskip(NEXT) | instid1(VALU_DEP_2)
	v_pk_add_f32 v[10:11], v[10:11], v[148:149] neg_lo:[0,1] neg_hi:[0,1]
	v_pk_fma_f32 v[142:143], v[142:143], v[126:127], v[144:145] op_sel_hi:[1,1,0]
	s_delay_alu instid0(VALU_DEP_1) | instskip(SKIP_4) | instid1(VALU_DEP_1)
	v_mov_b32_e32 v147, v143
	ds_load_2addr_b64 v[142:145], v136 offset0:56 offset1:57
	v_pk_add_f32 v[8:9], v[8:9], v[146:147] neg_lo:[0,1] neg_hi:[0,1]
	s_wait_dscnt 0x0
	v_pk_mul_f32 v[146:147], v[142:143], v[134:135] op_sel:[0,1]
	v_pk_fma_f32 v[148:149], v[142:143], v[132:133], v[146:147] op_sel:[0,0,1] op_sel_hi:[1,1,0] neg_lo:[0,0,1] neg_hi:[0,0,1]
	v_pk_fma_f32 v[142:143], v[142:143], v[132:133], v[146:147] op_sel:[0,0,1] op_sel_hi:[1,0,0]
	s_delay_alu instid0(VALU_DEP_1) | instskip(SKIP_1) | instid1(VALU_DEP_1)
	v_mov_b32_e32 v149, v143
	v_pk_mul_f32 v[142:143], v[144:145], v[134:135] op_sel:[0,1]
	v_pk_fma_f32 v[146:147], v[144:145], v[132:133], v[142:143] op_sel:[0,0,1] op_sel_hi:[1,1,0] neg_lo:[0,0,1] neg_hi:[0,0,1]
	v_pk_fma_f32 v[142:143], v[144:145], v[132:133], v[142:143] op_sel:[0,0,1] op_sel_hi:[1,0,0]
	s_delay_alu instid0(VALU_DEP_1)
	v_mov_b32_e32 v147, v143
	ds_load_2addr_b64 v[142:145], v136 offset0:58 offset1:59
	v_pk_add_f32 v[34:35], v[34:35], v[148:149] neg_lo:[0,1] neg_hi:[0,1]
	v_pk_add_f32 v[30:31], v[30:31], v[146:147] neg_lo:[0,1] neg_hi:[0,1]
	s_wait_dscnt 0x0
	v_pk_mul_f32 v[146:147], v[142:143], v[134:135] op_sel:[0,1]
	s_delay_alu instid0(VALU_DEP_1) | instskip(SKIP_1) | instid1(VALU_DEP_1)
	v_pk_fma_f32 v[148:149], v[142:143], v[132:133], v[146:147] op_sel:[0,0,1] op_sel_hi:[1,1,0] neg_lo:[0,0,1] neg_hi:[0,0,1]
	v_pk_fma_f32 v[142:143], v[142:143], v[132:133], v[146:147] op_sel:[0,0,1] op_sel_hi:[1,0,0]
	v_mov_b32_e32 v149, v143
	v_pk_mul_f32 v[142:143], v[144:145], v[134:135] op_sel:[0,1]
	s_delay_alu instid0(VALU_DEP_1) | instskip(SKIP_1) | instid1(VALU_DEP_1)
	v_pk_fma_f32 v[146:147], v[144:145], v[132:133], v[142:143] op_sel:[0,0,1] op_sel_hi:[1,1,0] neg_lo:[0,0,1] neg_hi:[0,0,1]
	v_pk_fma_f32 v[142:143], v[144:145], v[132:133], v[142:143] op_sel:[0,0,1] op_sel_hi:[1,0,0]
	v_mov_b32_e32 v147, v143
	ds_load_2addr_b64 v[142:145], v136 offset0:60 offset1:61
	v_pk_add_f32 v[6:7], v[6:7], v[148:149] neg_lo:[0,1] neg_hi:[0,1]
	v_pk_add_f32 v[26:27], v[26:27], v[146:147] neg_lo:[0,1] neg_hi:[0,1]
	s_wait_dscnt 0x0
	v_dual_mul_f32 v146, v143, v135 :: v_dual_mul_f32 v148, v143, v132
	s_delay_alu instid0(VALU_DEP_1) | instskip(NEXT) | instid1(VALU_DEP_2)
	v_pk_fma_f32 v[146:147], v[142:143], v[126:127], v[146:147] op_sel_hi:[1,1,0] neg_lo:[0,0,1] neg_hi:[0,0,1]
	v_pk_fma_f32 v[142:143], v[142:143], v[126:127], v[148:149] op_sel:[1,0,0] op_sel_hi:[0,1,0]
	s_delay_alu instid0(VALU_DEP_1) | instskip(SKIP_1) | instid1(VALU_DEP_2)
	v_mov_b32_e32 v147, v143
	v_pk_mul_f32 v[142:143], v[144:145], v[134:135] op_sel:[0,1]
	v_pk_add_f32 v[14:15], v[14:15], v[146:147] neg_lo:[0,1] neg_hi:[0,1]
	s_delay_alu instid0(VALU_DEP_2) | instskip(SKIP_1) | instid1(VALU_DEP_1)
	v_pk_fma_f32 v[146:147], v[144:145], v[132:133], v[142:143] op_sel:[0,0,1] op_sel_hi:[1,1,0] neg_lo:[0,0,1] neg_hi:[0,0,1]
	v_pk_fma_f32 v[142:143], v[144:145], v[132:133], v[142:143] op_sel:[0,0,1] op_sel_hi:[1,0,0]
	v_mov_b32_e32 v147, v143
	ds_load_b64 v[142:143], v136 offset:496
	v_pk_add_f32 v[12:13], v[12:13], v[146:147] neg_lo:[0,1] neg_hi:[0,1]
	s_wait_dscnt 0x0
	v_pk_mul_f32 v[134:135], v[142:143], v[134:135] op_sel:[0,1]
	s_delay_alu instid0(VALU_DEP_1) | instskip(SKIP_1) | instid1(VALU_DEP_1)
	v_pk_fma_f32 v[144:145], v[142:143], v[132:133], v[134:135] op_sel:[0,0,1] op_sel_hi:[1,1,0] neg_lo:[0,0,1] neg_hi:[0,0,1]
	v_pk_fma_f32 v[132:133], v[142:143], v[132:133], v[134:135] op_sel:[0,0,1] op_sel_hi:[1,0,0]
	v_mov_b32_e32 v145, v133
	s_delay_alu instid0(VALU_DEP_1)
	v_pk_add_f32 v[130:131], v[130:131], v[144:145] neg_lo:[0,1] neg_hi:[0,1]
.LBB124_41:
	s_or_b32 exec_lo, exec_lo, s0
	v_lshl_add_u32 v132, v140, 3, v136
	s_barrier_signal -1
	s_barrier_wait -1
	ds_store_b64 v132, v[124:125]
	s_wait_dscnt 0x0
	s_barrier_signal -1
	s_barrier_wait -1
	ds_load_b64 v[134:135], v136 offset:16
	v_mov_b32_e32 v132, 2
	s_cmp_lt_i32 s18, 4
	s_mov_b32 s0, 3
	s_cbranch_scc1 .LBB124_44
; %bb.42:
	v_add3_u32 v133, v137, 0, 24
	v_mov_b32_e32 v132, 2
.LBB124_43:                             ; =>This Inner Loop Header: Depth=1
	ds_load_b64 v[142:143], v133
	s_wait_dscnt 0x1
	v_cmp_gt_f32_e32 vcc_lo, 0, v134
	v_cndmask_b32_e64 v144, v134, -v134, vcc_lo
	v_cmp_gt_f32_e32 vcc_lo, 0, v135
	v_cndmask_b32_e64 v146, v135, -v135, vcc_lo
	s_wait_dscnt 0x0
	v_cmp_gt_f32_e32 vcc_lo, 0, v142
	v_cndmask_b32_e64 v145, v142, -v142, vcc_lo
	v_cmp_gt_f32_e32 vcc_lo, 0, v143
	v_cndmask_b32_e64 v147, v143, -v143, vcc_lo
	s_delay_alu instid0(VALU_DEP_1) | instskip(NEXT) | instid1(VALU_DEP_1)
	v_pk_add_f32 v[144:145], v[144:145], v[146:147]
	v_cmp_lt_f32_e32 vcc_lo, v144, v145
	v_dual_add_nc_u32 v133, 8, v133 :: v_dual_cndmask_b32 v135, v135, v143, vcc_lo
	v_cndmask_b32_e32 v134, v134, v142, vcc_lo
	v_cndmask_b32_e64 v132, v132, s0, vcc_lo
	s_add_co_i32 s0, s0, 1
	s_delay_alu instid0(SALU_CYCLE_1)
	s_cmp_lg_u32 s18, s0
	s_cbranch_scc1 .LBB124_43
.LBB124_44:
	s_wait_dscnt 0x0
	v_cmp_eq_f32_e32 vcc_lo, 0, v134
	v_cmp_eq_f32_e64 s0, 0, v135
	s_and_b32 s0, vcc_lo, s0
	s_delay_alu instid0(SALU_CYCLE_1) | instskip(NEXT) | instid1(SALU_CYCLE_1)
	s_and_saveexec_b32 s1, s0
	s_xor_b32 s0, exec_lo, s1
; %bb.45:
	v_cmp_ne_u32_e32 vcc_lo, 0, v138
	v_cndmask_b32_e32 v138, 3, v138, vcc_lo
; %bb.46:
	s_and_not1_saveexec_b32 s0, s0
	s_cbranch_execz .LBB124_52
; %bb.47:
	v_cmp_ngt_f32_e64 s1, |v134|, |v135|
	s_and_saveexec_b32 s12, s1
	s_delay_alu instid0(SALU_CYCLE_1)
	s_xor_b32 s1, exec_lo, s12
	s_cbranch_execz .LBB124_49
; %bb.48:
	v_div_scale_f32 v133, null, v135, v135, v134
	v_div_scale_f32 v143, vcc_lo, v134, v135, v134
	s_delay_alu instid0(VALU_DEP_2) | instskip(SKIP_1) | instid1(TRANS32_DEP_1)
	v_rcp_f32_e32 v141, v133
	v_nop
	v_fma_f32 v142, -v133, v141, 1.0
	s_delay_alu instid0(VALU_DEP_1) | instskip(NEXT) | instid1(VALU_DEP_1)
	v_fmac_f32_e32 v141, v142, v141
	v_mul_f32_e32 v142, v143, v141
	s_delay_alu instid0(VALU_DEP_1) | instskip(NEXT) | instid1(VALU_DEP_1)
	v_fma_f32 v144, -v133, v142, v143
	v_fmac_f32_e32 v142, v144, v141
	s_delay_alu instid0(VALU_DEP_1) | instskip(NEXT) | instid1(VALU_DEP_1)
	v_fma_f32 v133, -v133, v142, v143
	v_div_fmas_f32 v133, v133, v141, v142
	s_delay_alu instid0(VALU_DEP_1) | instskip(NEXT) | instid1(VALU_DEP_1)
	v_div_fixup_f32 v133, v133, v135, v134
	v_fmac_f32_e32 v135, v134, v133
	s_delay_alu instid0(VALU_DEP_1) | instskip(SKIP_1) | instid1(VALU_DEP_2)
	v_div_scale_f32 v134, null, v135, v135, 1.0
	v_div_scale_f32 v143, vcc_lo, 1.0, v135, 1.0
	v_rcp_f32_e32 v141, v134
	v_nop
	s_delay_alu instid0(TRANS32_DEP_1) | instskip(NEXT) | instid1(VALU_DEP_1)
	v_fma_f32 v142, -v134, v141, 1.0
	v_fmac_f32_e32 v141, v142, v141
	s_delay_alu instid0(VALU_DEP_1) | instskip(NEXT) | instid1(VALU_DEP_1)
	v_mul_f32_e32 v142, v143, v141
	v_fma_f32 v144, -v134, v142, v143
	s_delay_alu instid0(VALU_DEP_1) | instskip(NEXT) | instid1(VALU_DEP_1)
	v_fmac_f32_e32 v142, v144, v141
	v_fma_f32 v134, -v134, v142, v143
	s_delay_alu instid0(VALU_DEP_1) | instskip(NEXT) | instid1(VALU_DEP_1)
	v_div_fmas_f32 v134, v134, v141, v142
	v_div_fixup_f32 v135, v134, v135, 1.0
	s_delay_alu instid0(VALU_DEP_1)
	v_mul_f32_e32 v134, v133, v135
	v_xor_b32_e32 v135, 0x80000000, v135
.LBB124_49:
	s_and_not1_saveexec_b32 s1, s1
	s_cbranch_execz .LBB124_51
; %bb.50:
	s_delay_alu instid0(VALU_DEP_1) | instskip(SKIP_1) | instid1(VALU_DEP_2)
	v_div_scale_f32 v133, null, v134, v134, v135
	v_div_scale_f32 v143, vcc_lo, v135, v134, v135
	v_rcp_f32_e32 v141, v133
	v_nop
	s_delay_alu instid0(TRANS32_DEP_1) | instskip(NEXT) | instid1(VALU_DEP_1)
	v_fma_f32 v142, -v133, v141, 1.0
	v_fmac_f32_e32 v141, v142, v141
	s_delay_alu instid0(VALU_DEP_1) | instskip(NEXT) | instid1(VALU_DEP_1)
	v_mul_f32_e32 v142, v143, v141
	v_fma_f32 v144, -v133, v142, v143
	s_delay_alu instid0(VALU_DEP_1) | instskip(NEXT) | instid1(VALU_DEP_1)
	v_fmac_f32_e32 v142, v144, v141
	v_fma_f32 v133, -v133, v142, v143
	s_delay_alu instid0(VALU_DEP_1) | instskip(NEXT) | instid1(VALU_DEP_1)
	v_div_fmas_f32 v133, v133, v141, v142
	v_div_fixup_f32 v133, v133, v134, v135
	s_delay_alu instid0(VALU_DEP_1) | instskip(NEXT) | instid1(VALU_DEP_1)
	v_fmac_f32_e32 v134, v135, v133
	v_div_scale_f32 v135, null, v134, v134, 1.0
	s_delay_alu instid0(VALU_DEP_1) | instskip(SKIP_1) | instid1(TRANS32_DEP_1)
	v_rcp_f32_e32 v141, v135
	v_nop
	v_fma_f32 v142, -v135, v141, 1.0
	s_delay_alu instid0(VALU_DEP_1) | instskip(SKIP_1) | instid1(VALU_DEP_1)
	v_fmac_f32_e32 v141, v142, v141
	v_div_scale_f32 v142, vcc_lo, 1.0, v134, 1.0
	v_mul_f32_e32 v143, v142, v141
	s_delay_alu instid0(VALU_DEP_1) | instskip(NEXT) | instid1(VALU_DEP_1)
	v_fma_f32 v144, -v135, v143, v142
	v_fmac_f32_e32 v143, v144, v141
	s_delay_alu instid0(VALU_DEP_1) | instskip(NEXT) | instid1(VALU_DEP_1)
	v_fma_f32 v135, -v135, v143, v142
	v_div_fmas_f32 v135, v135, v141, v143
	s_delay_alu instid0(VALU_DEP_1) | instskip(NEXT) | instid1(VALU_DEP_1)
	v_div_fixup_f32 v134, v135, v134, 1.0
	v_mul_f32_e64 v135, v133, -v134
.LBB124_51:
	s_or_b32 exec_lo, exec_lo, s1
.LBB124_52:
	s_delay_alu instid0(SALU_CYCLE_1) | instskip(NEXT) | instid1(SALU_CYCLE_1)
	s_or_b32 exec_lo, exec_lo, s0
	s_mov_b32 s0, exec_lo
	v_cmpx_ne_u32_e64 v140, v132
	s_xor_b32 s0, exec_lo, s0
	s_cbranch_execz .LBB124_58
; %bb.53:
	s_mov_b32 s1, exec_lo
	v_cmpx_eq_u32_e32 2, v140
	s_cbranch_execz .LBB124_57
; %bb.54:
	v_cmp_ne_u32_e32 vcc_lo, 2, v132
	s_xor_b32 s12, s16, -1
	s_delay_alu instid0(SALU_CYCLE_1) | instskip(NEXT) | instid1(SALU_CYCLE_1)
	s_and_b32 s13, s12, vcc_lo
	s_and_saveexec_b32 s12, s13
	s_cbranch_execz .LBB124_56
; %bb.55:
	v_ashrrev_i32_e32 v133, 31, v132
	s_delay_alu instid0(VALU_DEP_1)
	v_lshl_add_u64 v[140:141], v[132:133], 2, v[4:5]
	s_clause 0x1
	global_load_b32 v133, v[140:141], off
	global_load_b32 v139, v[4:5], off offset:8
	s_wait_loadcnt 0x1
	global_store_b32 v[4:5], v133, off offset:8
	s_wait_loadcnt 0x0
	global_store_b32 v[140:141], v139, off
.LBB124_56:
	s_wait_xcnt 0x0
	s_or_b32 exec_lo, exec_lo, s12
	v_dual_mov_b32 v140, v132 :: v_dual_mov_b32 v139, v132
.LBB124_57:
	s_or_b32 exec_lo, exec_lo, s1
.LBB124_58:
	s_and_not1_saveexec_b32 s0, s0
	s_cbranch_execz .LBB124_60
; %bb.59:
	v_mov_b32_e32 v140, 2
	ds_store_2addr_b64 v136, v[122:123], v[120:121] offset0:3 offset1:4
	ds_store_2addr_b64 v136, v[118:119], v[72:73] offset0:5 offset1:6
	;; [unrolled: 1-line block ×30, first 2 shown]
.LBB124_60:
	s_or_b32 exec_lo, exec_lo, s0
	s_delay_alu instid0(SALU_CYCLE_1)
	s_mov_b32 s0, exec_lo
	s_wait_storecnt_dscnt 0x0
	s_barrier_signal -1
	s_barrier_wait -1
	v_cmpx_lt_i32_e32 2, v140
	s_cbranch_execz .LBB124_62
; %bb.61:
	v_pk_mul_f32 v[142:143], v[134:135], v[124:125] op_sel:[1,1] op_sel_hi:[0,1]
	s_delay_alu instid0(VALU_DEP_1)
	v_pk_fma_f32 v[132:133], v[134:135], v[124:125], v[142:143] op_sel_hi:[1,0,1] neg_lo:[0,0,1] neg_hi:[0,0,1]
	v_pk_fma_f32 v[134:135], v[134:135], v[124:125], v[142:143] op_sel_hi:[1,0,1]
	ds_load_2addr_b64 v[142:145], v136 offset0:3 offset1:4
	v_dual_mov_b32 v124, v132 :: v_dual_mov_b32 v125, v135
	s_wait_dscnt 0x0
	v_pk_mul_f32 v[146:147], v[142:143], v[134:135] op_sel:[0,1]
	s_delay_alu instid0(VALU_DEP_1) | instskip(SKIP_1) | instid1(VALU_DEP_1)
	v_pk_fma_f32 v[148:149], v[142:143], v[132:133], v[146:147] op_sel:[0,0,1] op_sel_hi:[1,1,0] neg_lo:[0,0,1] neg_hi:[0,0,1]
	v_pk_fma_f32 v[142:143], v[142:143], v[132:133], v[146:147] op_sel:[0,0,1] op_sel_hi:[1,0,0]
	v_mov_b32_e32 v149, v143
	v_pk_mul_f32 v[142:143], v[144:145], v[134:135] op_sel:[0,1]
	s_delay_alu instid0(VALU_DEP_1) | instskip(SKIP_1) | instid1(VALU_DEP_1)
	v_pk_fma_f32 v[146:147], v[144:145], v[132:133], v[142:143] op_sel:[0,0,1] op_sel_hi:[1,1,0] neg_lo:[0,0,1] neg_hi:[0,0,1]
	v_pk_fma_f32 v[142:143], v[144:145], v[132:133], v[142:143] op_sel:[0,0,1] op_sel_hi:[1,0,0]
	v_mov_b32_e32 v147, v143
	ds_load_2addr_b64 v[142:145], v136 offset0:5 offset1:6
	v_pk_add_f32 v[122:123], v[122:123], v[148:149] neg_lo:[0,1] neg_hi:[0,1]
	v_pk_add_f32 v[120:121], v[120:121], v[146:147] neg_lo:[0,1] neg_hi:[0,1]
	s_wait_dscnt 0x0
	v_pk_mul_f32 v[146:147], v[142:143], v[134:135] op_sel:[0,1]
	s_delay_alu instid0(VALU_DEP_1) | instskip(SKIP_2) | instid1(VALU_DEP_2)
	v_pk_fma_f32 v[148:149], v[142:143], v[132:133], v[146:147] op_sel:[0,0,1] op_sel_hi:[1,1,0] neg_lo:[0,0,1] neg_hi:[0,0,1]
	v_pk_fma_f32 v[142:143], v[142:143], v[132:133], v[146:147] op_sel:[0,0,1] op_sel_hi:[1,0,0]
	v_dual_mul_f32 v146, v145, v135 :: v_dual_mov_b32 v142, v145
	v_dual_mov_b32 v149, v143 :: v_dual_mov_b32 v143, v144
	s_delay_alu instid0(VALU_DEP_2) | instskip(SKIP_1) | instid1(VALU_DEP_3)
	v_pk_fma_f32 v[146:147], v[144:145], v[124:125], v[146:147] op_sel_hi:[1,1,0] neg_lo:[0,0,1] neg_hi:[0,0,1]
	v_mul_f32_e32 v144, v145, v132
	v_pk_add_f32 v[118:119], v[118:119], v[148:149] neg_lo:[0,1] neg_hi:[0,1]
	s_delay_alu instid0(VALU_DEP_2) | instskip(NEXT) | instid1(VALU_DEP_1)
	v_pk_fma_f32 v[142:143], v[142:143], v[124:125], v[144:145] op_sel_hi:[1,1,0]
	v_mov_b32_e32 v147, v143
	ds_load_2addr_b64 v[142:145], v136 offset0:7 offset1:8
	v_pk_add_f32 v[72:73], v[72:73], v[146:147] neg_lo:[0,1] neg_hi:[0,1]
	s_wait_dscnt 0x0
	v_pk_mul_f32 v[146:147], v[142:143], v[134:135] op_sel:[0,1]
	s_delay_alu instid0(VALU_DEP_1) | instskip(SKIP_1) | instid1(VALU_DEP_1)
	v_pk_fma_f32 v[148:149], v[142:143], v[132:133], v[146:147] op_sel:[0,0,1] op_sel_hi:[1,1,0] neg_lo:[0,0,1] neg_hi:[0,0,1]
	v_pk_fma_f32 v[142:143], v[142:143], v[132:133], v[146:147] op_sel:[0,0,1] op_sel_hi:[1,0,0]
	v_mov_b32_e32 v149, v143
	v_pk_mul_f32 v[142:143], v[144:145], v[134:135] op_sel:[0,1]
	s_delay_alu instid0(VALU_DEP_1) | instskip(SKIP_1) | instid1(VALU_DEP_1)
	v_pk_fma_f32 v[146:147], v[144:145], v[132:133], v[142:143] op_sel:[0,0,1] op_sel_hi:[1,1,0] neg_lo:[0,0,1] neg_hi:[0,0,1]
	v_pk_fma_f32 v[142:143], v[144:145], v[132:133], v[142:143] op_sel:[0,0,1] op_sel_hi:[1,0,0]
	v_mov_b32_e32 v147, v143
	ds_load_2addr_b64 v[142:145], v136 offset0:9 offset1:10
	v_pk_add_f32 v[70:71], v[70:71], v[148:149] neg_lo:[0,1] neg_hi:[0,1]
	v_pk_add_f32 v[116:117], v[116:117], v[146:147] neg_lo:[0,1] neg_hi:[0,1]
	s_wait_dscnt 0x0
	v_pk_mul_f32 v[146:147], v[142:143], v[134:135] op_sel:[0,1]
	s_delay_alu instid0(VALU_DEP_1) | instskip(SKIP_1) | instid1(VALU_DEP_1)
	v_pk_fma_f32 v[148:149], v[142:143], v[132:133], v[146:147] op_sel:[0,0,1] op_sel_hi:[1,1,0] neg_lo:[0,0,1] neg_hi:[0,0,1]
	v_pk_fma_f32 v[142:143], v[142:143], v[132:133], v[146:147] op_sel:[0,0,1] op_sel_hi:[1,0,0]
	v_mov_b32_e32 v149, v143
	v_pk_mul_f32 v[142:143], v[144:145], v[134:135] op_sel:[0,1]
	s_delay_alu instid0(VALU_DEP_1) | instskip(SKIP_1) | instid1(VALU_DEP_1)
	v_pk_fma_f32 v[146:147], v[144:145], v[132:133], v[142:143] op_sel:[0,0,1] op_sel_hi:[1,1,0] neg_lo:[0,0,1] neg_hi:[0,0,1]
	v_pk_fma_f32 v[142:143], v[144:145], v[132:133], v[142:143] op_sel:[0,0,1] op_sel_hi:[1,0,0]
	v_mov_b32_e32 v147, v143
	ds_load_2addr_b64 v[142:145], v136 offset0:11 offset1:12
	v_pk_add_f32 v[114:115], v[114:115], v[148:149] neg_lo:[0,1] neg_hi:[0,1]
	v_pk_add_f32 v[64:65], v[64:65], v[146:147] neg_lo:[0,1] neg_hi:[0,1]
	s_wait_dscnt 0x0
	v_dual_mul_f32 v146, v143, v135 :: v_dual_mul_f32 v148, v143, v132
	s_delay_alu instid0(VALU_DEP_1) | instskip(NEXT) | instid1(VALU_DEP_2)
	v_pk_fma_f32 v[146:147], v[142:143], v[124:125], v[146:147] op_sel_hi:[1,1,0] neg_lo:[0,0,1] neg_hi:[0,0,1]
	v_pk_fma_f32 v[142:143], v[142:143], v[124:125], v[148:149] op_sel:[1,0,0] op_sel_hi:[0,1,0]
	s_delay_alu instid0(VALU_DEP_1) | instskip(SKIP_1) | instid1(VALU_DEP_2)
	v_mov_b32_e32 v147, v143
	v_pk_mul_f32 v[142:143], v[144:145], v[134:135] op_sel:[0,1]
	v_pk_add_f32 v[62:63], v[62:63], v[146:147] neg_lo:[0,1] neg_hi:[0,1]
	s_delay_alu instid0(VALU_DEP_2) | instskip(SKIP_1) | instid1(VALU_DEP_1)
	v_pk_fma_f32 v[146:147], v[144:145], v[132:133], v[142:143] op_sel:[0,0,1] op_sel_hi:[1,1,0] neg_lo:[0,0,1] neg_hi:[0,0,1]
	v_pk_fma_f32 v[142:143], v[144:145], v[132:133], v[142:143] op_sel:[0,0,1] op_sel_hi:[1,0,0]
	v_mov_b32_e32 v147, v143
	ds_load_2addr_b64 v[142:145], v136 offset0:13 offset1:14
	v_pk_add_f32 v[112:113], v[112:113], v[146:147] neg_lo:[0,1] neg_hi:[0,1]
	s_wait_dscnt 0x0
	v_pk_mul_f32 v[146:147], v[142:143], v[134:135] op_sel:[0,1]
	s_delay_alu instid0(VALU_DEP_1) | instskip(SKIP_1) | instid1(VALU_DEP_1)
	v_pk_fma_f32 v[148:149], v[142:143], v[132:133], v[146:147] op_sel:[0,0,1] op_sel_hi:[1,1,0] neg_lo:[0,0,1] neg_hi:[0,0,1]
	v_pk_fma_f32 v[142:143], v[142:143], v[132:133], v[146:147] op_sel:[0,0,1] op_sel_hi:[1,0,0]
	v_mov_b32_e32 v149, v143
	v_pk_mul_f32 v[142:143], v[144:145], v[134:135] op_sel:[0,1]
	s_delay_alu instid0(VALU_DEP_2) | instskip(NEXT) | instid1(VALU_DEP_2)
	v_pk_add_f32 v[110:111], v[110:111], v[148:149] neg_lo:[0,1] neg_hi:[0,1]
	v_pk_fma_f32 v[146:147], v[144:145], v[132:133], v[142:143] op_sel:[0,0,1] op_sel_hi:[1,1,0] neg_lo:[0,0,1] neg_hi:[0,0,1]
	v_pk_fma_f32 v[142:143], v[144:145], v[132:133], v[142:143] op_sel:[0,0,1] op_sel_hi:[1,0,0]
	s_delay_alu instid0(VALU_DEP_1) | instskip(SKIP_4) | instid1(VALU_DEP_1)
	v_mov_b32_e32 v147, v143
	ds_load_2addr_b64 v[142:145], v136 offset0:15 offset1:16
	v_pk_add_f32 v[60:61], v[60:61], v[146:147] neg_lo:[0,1] neg_hi:[0,1]
	s_wait_dscnt 0x0
	v_pk_mul_f32 v[146:147], v[142:143], v[134:135] op_sel:[0,1]
	v_pk_fma_f32 v[148:149], v[142:143], v[132:133], v[146:147] op_sel:[0,0,1] op_sel_hi:[1,1,0] neg_lo:[0,0,1] neg_hi:[0,0,1]
	v_pk_fma_f32 v[142:143], v[142:143], v[132:133], v[146:147] op_sel:[0,0,1] op_sel_hi:[1,0,0]
	v_dual_mul_f32 v146, v145, v135 :: v_dual_mov_b32 v142, v145
	s_delay_alu instid0(VALU_DEP_2) | instskip(NEXT) | instid1(VALU_DEP_2)
	v_dual_mov_b32 v149, v143 :: v_dual_mov_b32 v143, v144
	v_pk_fma_f32 v[146:147], v[144:145], v[124:125], v[146:147] op_sel_hi:[1,1,0] neg_lo:[0,0,1] neg_hi:[0,0,1]
	v_mul_f32_e32 v144, v145, v132
	s_delay_alu instid0(VALU_DEP_3) | instskip(NEXT) | instid1(VALU_DEP_2)
	v_pk_add_f32 v[58:59], v[58:59], v[148:149] neg_lo:[0,1] neg_hi:[0,1]
	v_pk_fma_f32 v[142:143], v[142:143], v[124:125], v[144:145] op_sel_hi:[1,1,0]
	s_delay_alu instid0(VALU_DEP_1) | instskip(SKIP_4) | instid1(VALU_DEP_1)
	v_mov_b32_e32 v147, v143
	ds_load_2addr_b64 v[142:145], v136 offset0:17 offset1:18
	v_pk_add_f32 v[108:109], v[108:109], v[146:147] neg_lo:[0,1] neg_hi:[0,1]
	s_wait_dscnt 0x0
	v_pk_mul_f32 v[146:147], v[142:143], v[134:135] op_sel:[0,1]
	v_pk_fma_f32 v[148:149], v[142:143], v[132:133], v[146:147] op_sel:[0,0,1] op_sel_hi:[1,1,0] neg_lo:[0,0,1] neg_hi:[0,0,1]
	v_pk_fma_f32 v[142:143], v[142:143], v[132:133], v[146:147] op_sel:[0,0,1] op_sel_hi:[1,0,0]
	s_delay_alu instid0(VALU_DEP_1) | instskip(SKIP_1) | instid1(VALU_DEP_1)
	v_mov_b32_e32 v149, v143
	v_pk_mul_f32 v[142:143], v[144:145], v[134:135] op_sel:[0,1]
	v_pk_fma_f32 v[146:147], v[144:145], v[132:133], v[142:143] op_sel:[0,0,1] op_sel_hi:[1,1,0] neg_lo:[0,0,1] neg_hi:[0,0,1]
	v_pk_fma_f32 v[142:143], v[144:145], v[132:133], v[142:143] op_sel:[0,0,1] op_sel_hi:[1,0,0]
	s_delay_alu instid0(VALU_DEP_1)
	v_mov_b32_e32 v147, v143
	ds_load_2addr_b64 v[142:145], v136 offset0:19 offset1:20
	v_pk_add_f32 v[106:107], v[106:107], v[148:149] neg_lo:[0,1] neg_hi:[0,1]
	v_pk_add_f32 v[56:57], v[56:57], v[146:147] neg_lo:[0,1] neg_hi:[0,1]
	s_wait_dscnt 0x0
	v_pk_mul_f32 v[146:147], v[142:143], v[134:135] op_sel:[0,1]
	s_delay_alu instid0(VALU_DEP_1) | instskip(SKIP_1) | instid1(VALU_DEP_1)
	v_pk_fma_f32 v[148:149], v[142:143], v[132:133], v[146:147] op_sel:[0,0,1] op_sel_hi:[1,1,0] neg_lo:[0,0,1] neg_hi:[0,0,1]
	v_pk_fma_f32 v[142:143], v[142:143], v[132:133], v[146:147] op_sel:[0,0,1] op_sel_hi:[1,0,0]
	v_mov_b32_e32 v149, v143
	v_pk_mul_f32 v[142:143], v[144:145], v[134:135] op_sel:[0,1]
	s_delay_alu instid0(VALU_DEP_1) | instskip(SKIP_1) | instid1(VALU_DEP_1)
	v_pk_fma_f32 v[146:147], v[144:145], v[132:133], v[142:143] op_sel:[0,0,1] op_sel_hi:[1,1,0] neg_lo:[0,0,1] neg_hi:[0,0,1]
	v_pk_fma_f32 v[142:143], v[144:145], v[132:133], v[142:143] op_sel:[0,0,1] op_sel_hi:[1,0,0]
	v_mov_b32_e32 v147, v143
	ds_load_2addr_b64 v[142:145], v136 offset0:21 offset1:22
	v_pk_add_f32 v[54:55], v[54:55], v[148:149] neg_lo:[0,1] neg_hi:[0,1]
	v_pk_add_f32 v[104:105], v[104:105], v[146:147] neg_lo:[0,1] neg_hi:[0,1]
	s_wait_dscnt 0x0
	v_dual_mul_f32 v146, v143, v135 :: v_dual_mul_f32 v148, v143, v132
	s_delay_alu instid0(VALU_DEP_1) | instskip(NEXT) | instid1(VALU_DEP_2)
	v_pk_fma_f32 v[146:147], v[142:143], v[124:125], v[146:147] op_sel_hi:[1,1,0] neg_lo:[0,0,1] neg_hi:[0,0,1]
	v_pk_fma_f32 v[142:143], v[142:143], v[124:125], v[148:149] op_sel:[1,0,0] op_sel_hi:[0,1,0]
	s_delay_alu instid0(VALU_DEP_1) | instskip(SKIP_1) | instid1(VALU_DEP_2)
	v_mov_b32_e32 v147, v143
	v_pk_mul_f32 v[142:143], v[144:145], v[134:135] op_sel:[0,1]
	v_pk_add_f32 v[102:103], v[102:103], v[146:147] neg_lo:[0,1] neg_hi:[0,1]
	s_delay_alu instid0(VALU_DEP_2) | instskip(SKIP_1) | instid1(VALU_DEP_1)
	v_pk_fma_f32 v[146:147], v[144:145], v[132:133], v[142:143] op_sel:[0,0,1] op_sel_hi:[1,1,0] neg_lo:[0,0,1] neg_hi:[0,0,1]
	v_pk_fma_f32 v[142:143], v[144:145], v[132:133], v[142:143] op_sel:[0,0,1] op_sel_hi:[1,0,0]
	v_mov_b32_e32 v147, v143
	ds_load_2addr_b64 v[142:145], v136 offset0:23 offset1:24
	v_pk_add_f32 v[52:53], v[52:53], v[146:147] neg_lo:[0,1] neg_hi:[0,1]
	s_wait_dscnt 0x0
	v_pk_mul_f32 v[146:147], v[142:143], v[134:135] op_sel:[0,1]
	s_delay_alu instid0(VALU_DEP_1) | instskip(SKIP_1) | instid1(VALU_DEP_1)
	v_pk_fma_f32 v[148:149], v[142:143], v[132:133], v[146:147] op_sel:[0,0,1] op_sel_hi:[1,1,0] neg_lo:[0,0,1] neg_hi:[0,0,1]
	v_pk_fma_f32 v[142:143], v[142:143], v[132:133], v[146:147] op_sel:[0,0,1] op_sel_hi:[1,0,0]
	v_mov_b32_e32 v149, v143
	v_pk_mul_f32 v[142:143], v[144:145], v[134:135] op_sel:[0,1]
	s_delay_alu instid0(VALU_DEP_2) | instskip(NEXT) | instid1(VALU_DEP_2)
	v_pk_add_f32 v[50:51], v[50:51], v[148:149] neg_lo:[0,1] neg_hi:[0,1]
	v_pk_fma_f32 v[146:147], v[144:145], v[132:133], v[142:143] op_sel:[0,0,1] op_sel_hi:[1,1,0] neg_lo:[0,0,1] neg_hi:[0,0,1]
	v_pk_fma_f32 v[142:143], v[144:145], v[132:133], v[142:143] op_sel:[0,0,1] op_sel_hi:[1,0,0]
	s_delay_alu instid0(VALU_DEP_1) | instskip(SKIP_4) | instid1(VALU_DEP_1)
	v_mov_b32_e32 v147, v143
	ds_load_2addr_b64 v[142:145], v136 offset0:25 offset1:26
	v_pk_add_f32 v[100:101], v[100:101], v[146:147] neg_lo:[0,1] neg_hi:[0,1]
	s_wait_dscnt 0x0
	v_pk_mul_f32 v[146:147], v[142:143], v[134:135] op_sel:[0,1]
	v_pk_fma_f32 v[148:149], v[142:143], v[132:133], v[146:147] op_sel:[0,0,1] op_sel_hi:[1,1,0] neg_lo:[0,0,1] neg_hi:[0,0,1]
	v_pk_fma_f32 v[142:143], v[142:143], v[132:133], v[146:147] op_sel:[0,0,1] op_sel_hi:[1,0,0]
	v_dual_mul_f32 v146, v145, v135 :: v_dual_mov_b32 v142, v145
	s_delay_alu instid0(VALU_DEP_2) | instskip(NEXT) | instid1(VALU_DEP_2)
	v_dual_mov_b32 v149, v143 :: v_dual_mov_b32 v143, v144
	v_pk_fma_f32 v[146:147], v[144:145], v[124:125], v[146:147] op_sel_hi:[1,1,0] neg_lo:[0,0,1] neg_hi:[0,0,1]
	v_mul_f32_e32 v144, v145, v132
	s_delay_alu instid0(VALU_DEP_3) | instskip(NEXT) | instid1(VALU_DEP_2)
	v_pk_add_f32 v[98:99], v[98:99], v[148:149] neg_lo:[0,1] neg_hi:[0,1]
	v_pk_fma_f32 v[142:143], v[142:143], v[124:125], v[144:145] op_sel_hi:[1,1,0]
	s_delay_alu instid0(VALU_DEP_1) | instskip(SKIP_4) | instid1(VALU_DEP_1)
	v_mov_b32_e32 v147, v143
	ds_load_2addr_b64 v[142:145], v136 offset0:27 offset1:28
	v_pk_add_f32 v[48:49], v[48:49], v[146:147] neg_lo:[0,1] neg_hi:[0,1]
	s_wait_dscnt 0x0
	v_pk_mul_f32 v[146:147], v[142:143], v[134:135] op_sel:[0,1]
	v_pk_fma_f32 v[148:149], v[142:143], v[132:133], v[146:147] op_sel:[0,0,1] op_sel_hi:[1,1,0] neg_lo:[0,0,1] neg_hi:[0,0,1]
	v_pk_fma_f32 v[142:143], v[142:143], v[132:133], v[146:147] op_sel:[0,0,1] op_sel_hi:[1,0,0]
	s_delay_alu instid0(VALU_DEP_1) | instskip(SKIP_1) | instid1(VALU_DEP_1)
	v_mov_b32_e32 v149, v143
	v_pk_mul_f32 v[142:143], v[144:145], v[134:135] op_sel:[0,1]
	v_pk_fma_f32 v[146:147], v[144:145], v[132:133], v[142:143] op_sel:[0,0,1] op_sel_hi:[1,1,0] neg_lo:[0,0,1] neg_hi:[0,0,1]
	v_pk_fma_f32 v[142:143], v[144:145], v[132:133], v[142:143] op_sel:[0,0,1] op_sel_hi:[1,0,0]
	s_delay_alu instid0(VALU_DEP_1)
	v_mov_b32_e32 v147, v143
	ds_load_2addr_b64 v[142:145], v136 offset0:29 offset1:30
	v_pk_add_f32 v[46:47], v[46:47], v[148:149] neg_lo:[0,1] neg_hi:[0,1]
	v_pk_add_f32 v[96:97], v[96:97], v[146:147] neg_lo:[0,1] neg_hi:[0,1]
	s_wait_dscnt 0x0
	v_pk_mul_f32 v[146:147], v[142:143], v[134:135] op_sel:[0,1]
	s_delay_alu instid0(VALU_DEP_1) | instskip(SKIP_1) | instid1(VALU_DEP_1)
	v_pk_fma_f32 v[148:149], v[142:143], v[132:133], v[146:147] op_sel:[0,0,1] op_sel_hi:[1,1,0] neg_lo:[0,0,1] neg_hi:[0,0,1]
	v_pk_fma_f32 v[142:143], v[142:143], v[132:133], v[146:147] op_sel:[0,0,1] op_sel_hi:[1,0,0]
	v_mov_b32_e32 v149, v143
	v_pk_mul_f32 v[142:143], v[144:145], v[134:135] op_sel:[0,1]
	s_delay_alu instid0(VALU_DEP_1) | instskip(SKIP_1) | instid1(VALU_DEP_1)
	v_pk_fma_f32 v[146:147], v[144:145], v[132:133], v[142:143] op_sel:[0,0,1] op_sel_hi:[1,1,0] neg_lo:[0,0,1] neg_hi:[0,0,1]
	v_pk_fma_f32 v[142:143], v[144:145], v[132:133], v[142:143] op_sel:[0,0,1] op_sel_hi:[1,0,0]
	v_mov_b32_e32 v147, v143
	ds_load_2addr_b64 v[142:145], v136 offset0:31 offset1:32
	v_pk_add_f32 v[94:95], v[94:95], v[148:149] neg_lo:[0,1] neg_hi:[0,1]
	v_pk_add_f32 v[44:45], v[44:45], v[146:147] neg_lo:[0,1] neg_hi:[0,1]
	s_wait_dscnt 0x0
	v_dual_mul_f32 v146, v143, v135 :: v_dual_mul_f32 v148, v143, v132
	s_delay_alu instid0(VALU_DEP_1) | instskip(NEXT) | instid1(VALU_DEP_2)
	v_pk_fma_f32 v[146:147], v[142:143], v[124:125], v[146:147] op_sel_hi:[1,1,0] neg_lo:[0,0,1] neg_hi:[0,0,1]
	v_pk_fma_f32 v[142:143], v[142:143], v[124:125], v[148:149] op_sel:[1,0,0] op_sel_hi:[0,1,0]
	s_delay_alu instid0(VALU_DEP_1) | instskip(SKIP_1) | instid1(VALU_DEP_2)
	v_mov_b32_e32 v147, v143
	v_pk_mul_f32 v[142:143], v[144:145], v[134:135] op_sel:[0,1]
	v_pk_add_f32 v[42:43], v[42:43], v[146:147] neg_lo:[0,1] neg_hi:[0,1]
	s_delay_alu instid0(VALU_DEP_2) | instskip(SKIP_1) | instid1(VALU_DEP_1)
	v_pk_fma_f32 v[146:147], v[144:145], v[132:133], v[142:143] op_sel:[0,0,1] op_sel_hi:[1,1,0] neg_lo:[0,0,1] neg_hi:[0,0,1]
	v_pk_fma_f32 v[142:143], v[144:145], v[132:133], v[142:143] op_sel:[0,0,1] op_sel_hi:[1,0,0]
	v_mov_b32_e32 v147, v143
	ds_load_2addr_b64 v[142:145], v136 offset0:33 offset1:34
	v_pk_add_f32 v[92:93], v[92:93], v[146:147] neg_lo:[0,1] neg_hi:[0,1]
	s_wait_dscnt 0x0
	v_pk_mul_f32 v[146:147], v[142:143], v[134:135] op_sel:[0,1]
	s_delay_alu instid0(VALU_DEP_1) | instskip(SKIP_1) | instid1(VALU_DEP_1)
	v_pk_fma_f32 v[148:149], v[142:143], v[132:133], v[146:147] op_sel:[0,0,1] op_sel_hi:[1,1,0] neg_lo:[0,0,1] neg_hi:[0,0,1]
	v_pk_fma_f32 v[142:143], v[142:143], v[132:133], v[146:147] op_sel:[0,0,1] op_sel_hi:[1,0,0]
	v_mov_b32_e32 v149, v143
	v_pk_mul_f32 v[142:143], v[144:145], v[134:135] op_sel:[0,1]
	s_delay_alu instid0(VALU_DEP_2) | instskip(NEXT) | instid1(VALU_DEP_2)
	v_pk_add_f32 v[90:91], v[90:91], v[148:149] neg_lo:[0,1] neg_hi:[0,1]
	v_pk_fma_f32 v[146:147], v[144:145], v[132:133], v[142:143] op_sel:[0,0,1] op_sel_hi:[1,1,0] neg_lo:[0,0,1] neg_hi:[0,0,1]
	v_pk_fma_f32 v[142:143], v[144:145], v[132:133], v[142:143] op_sel:[0,0,1] op_sel_hi:[1,0,0]
	s_delay_alu instid0(VALU_DEP_1) | instskip(SKIP_4) | instid1(VALU_DEP_1)
	v_mov_b32_e32 v147, v143
	ds_load_2addr_b64 v[142:145], v136 offset0:35 offset1:36
	v_pk_add_f32 v[40:41], v[40:41], v[146:147] neg_lo:[0,1] neg_hi:[0,1]
	s_wait_dscnt 0x0
	v_pk_mul_f32 v[146:147], v[142:143], v[134:135] op_sel:[0,1]
	v_pk_fma_f32 v[148:149], v[142:143], v[132:133], v[146:147] op_sel:[0,0,1] op_sel_hi:[1,1,0] neg_lo:[0,0,1] neg_hi:[0,0,1]
	v_pk_fma_f32 v[142:143], v[142:143], v[132:133], v[146:147] op_sel:[0,0,1] op_sel_hi:[1,0,0]
	v_dual_mul_f32 v146, v145, v135 :: v_dual_mov_b32 v142, v145
	s_delay_alu instid0(VALU_DEP_2) | instskip(NEXT) | instid1(VALU_DEP_2)
	v_dual_mov_b32 v149, v143 :: v_dual_mov_b32 v143, v144
	v_pk_fma_f32 v[146:147], v[144:145], v[124:125], v[146:147] op_sel_hi:[1,1,0] neg_lo:[0,0,1] neg_hi:[0,0,1]
	v_mul_f32_e32 v144, v145, v132
	s_delay_alu instid0(VALU_DEP_3) | instskip(NEXT) | instid1(VALU_DEP_2)
	v_pk_add_f32 v[38:39], v[38:39], v[148:149] neg_lo:[0,1] neg_hi:[0,1]
	v_pk_fma_f32 v[142:143], v[142:143], v[124:125], v[144:145] op_sel_hi:[1,1,0]
	s_delay_alu instid0(VALU_DEP_1) | instskip(SKIP_4) | instid1(VALU_DEP_1)
	v_mov_b32_e32 v147, v143
	ds_load_2addr_b64 v[142:145], v136 offset0:37 offset1:38
	v_pk_add_f32 v[88:89], v[88:89], v[146:147] neg_lo:[0,1] neg_hi:[0,1]
	s_wait_dscnt 0x0
	v_pk_mul_f32 v[146:147], v[142:143], v[134:135] op_sel:[0,1]
	v_pk_fma_f32 v[148:149], v[142:143], v[132:133], v[146:147] op_sel:[0,0,1] op_sel_hi:[1,1,0] neg_lo:[0,0,1] neg_hi:[0,0,1]
	v_pk_fma_f32 v[142:143], v[142:143], v[132:133], v[146:147] op_sel:[0,0,1] op_sel_hi:[1,0,0]
	s_delay_alu instid0(VALU_DEP_1) | instskip(SKIP_1) | instid1(VALU_DEP_1)
	v_mov_b32_e32 v149, v143
	v_pk_mul_f32 v[142:143], v[144:145], v[134:135] op_sel:[0,1]
	v_pk_fma_f32 v[146:147], v[144:145], v[132:133], v[142:143] op_sel:[0,0,1] op_sel_hi:[1,1,0] neg_lo:[0,0,1] neg_hi:[0,0,1]
	v_pk_fma_f32 v[142:143], v[144:145], v[132:133], v[142:143] op_sel:[0,0,1] op_sel_hi:[1,0,0]
	s_delay_alu instid0(VALU_DEP_1)
	v_mov_b32_e32 v147, v143
	ds_load_2addr_b64 v[142:145], v136 offset0:39 offset1:40
	v_pk_add_f32 v[86:87], v[86:87], v[148:149] neg_lo:[0,1] neg_hi:[0,1]
	v_pk_add_f32 v[36:37], v[36:37], v[146:147] neg_lo:[0,1] neg_hi:[0,1]
	s_wait_dscnt 0x0
	v_pk_mul_f32 v[146:147], v[142:143], v[134:135] op_sel:[0,1]
	s_delay_alu instid0(VALU_DEP_1) | instskip(SKIP_1) | instid1(VALU_DEP_1)
	v_pk_fma_f32 v[148:149], v[142:143], v[132:133], v[146:147] op_sel:[0,0,1] op_sel_hi:[1,1,0] neg_lo:[0,0,1] neg_hi:[0,0,1]
	v_pk_fma_f32 v[142:143], v[142:143], v[132:133], v[146:147] op_sel:[0,0,1] op_sel_hi:[1,0,0]
	v_mov_b32_e32 v149, v143
	v_pk_mul_f32 v[142:143], v[144:145], v[134:135] op_sel:[0,1]
	s_delay_alu instid0(VALU_DEP_1) | instskip(SKIP_1) | instid1(VALU_DEP_1)
	v_pk_fma_f32 v[146:147], v[144:145], v[132:133], v[142:143] op_sel:[0,0,1] op_sel_hi:[1,1,0] neg_lo:[0,0,1] neg_hi:[0,0,1]
	v_pk_fma_f32 v[142:143], v[144:145], v[132:133], v[142:143] op_sel:[0,0,1] op_sel_hi:[1,0,0]
	v_mov_b32_e32 v147, v143
	ds_load_2addr_b64 v[142:145], v136 offset0:41 offset1:42
	v_pk_add_f32 v[32:33], v[32:33], v[148:149] neg_lo:[0,1] neg_hi:[0,1]
	v_pk_add_f32 v[84:85], v[84:85], v[146:147] neg_lo:[0,1] neg_hi:[0,1]
	s_wait_dscnt 0x0
	v_dual_mul_f32 v146, v143, v135 :: v_dual_mul_f32 v148, v143, v132
	s_delay_alu instid0(VALU_DEP_1) | instskip(NEXT) | instid1(VALU_DEP_2)
	v_pk_fma_f32 v[146:147], v[142:143], v[124:125], v[146:147] op_sel_hi:[1,1,0] neg_lo:[0,0,1] neg_hi:[0,0,1]
	v_pk_fma_f32 v[142:143], v[142:143], v[124:125], v[148:149] op_sel:[1,0,0] op_sel_hi:[0,1,0]
	s_delay_alu instid0(VALU_DEP_1) | instskip(SKIP_1) | instid1(VALU_DEP_2)
	v_mov_b32_e32 v147, v143
	v_pk_mul_f32 v[142:143], v[144:145], v[134:135] op_sel:[0,1]
	v_pk_add_f32 v[82:83], v[82:83], v[146:147] neg_lo:[0,1] neg_hi:[0,1]
	s_delay_alu instid0(VALU_DEP_2) | instskip(SKIP_1) | instid1(VALU_DEP_1)
	v_pk_fma_f32 v[146:147], v[144:145], v[132:133], v[142:143] op_sel:[0,0,1] op_sel_hi:[1,1,0] neg_lo:[0,0,1] neg_hi:[0,0,1]
	v_pk_fma_f32 v[142:143], v[144:145], v[132:133], v[142:143] op_sel:[0,0,1] op_sel_hi:[1,0,0]
	v_mov_b32_e32 v147, v143
	ds_load_2addr_b64 v[142:145], v136 offset0:43 offset1:44
	v_pk_add_f32 v[24:25], v[24:25], v[146:147] neg_lo:[0,1] neg_hi:[0,1]
	s_wait_dscnt 0x0
	v_pk_mul_f32 v[146:147], v[142:143], v[134:135] op_sel:[0,1]
	s_delay_alu instid0(VALU_DEP_1) | instskip(SKIP_1) | instid1(VALU_DEP_1)
	v_pk_fma_f32 v[148:149], v[142:143], v[132:133], v[146:147] op_sel:[0,0,1] op_sel_hi:[1,1,0] neg_lo:[0,0,1] neg_hi:[0,0,1]
	v_pk_fma_f32 v[142:143], v[142:143], v[132:133], v[146:147] op_sel:[0,0,1] op_sel_hi:[1,0,0]
	v_mov_b32_e32 v149, v143
	v_pk_mul_f32 v[142:143], v[144:145], v[134:135] op_sel:[0,1]
	s_delay_alu instid0(VALU_DEP_2) | instskip(NEXT) | instid1(VALU_DEP_2)
	v_pk_add_f32 v[22:23], v[22:23], v[148:149] neg_lo:[0,1] neg_hi:[0,1]
	v_pk_fma_f32 v[146:147], v[144:145], v[132:133], v[142:143] op_sel:[0,0,1] op_sel_hi:[1,1,0] neg_lo:[0,0,1] neg_hi:[0,0,1]
	v_pk_fma_f32 v[142:143], v[144:145], v[132:133], v[142:143] op_sel:[0,0,1] op_sel_hi:[1,0,0]
	s_delay_alu instid0(VALU_DEP_1) | instskip(SKIP_4) | instid1(VALU_DEP_1)
	v_mov_b32_e32 v147, v143
	ds_load_2addr_b64 v[142:145], v136 offset0:45 offset1:46
	v_pk_add_f32 v[80:81], v[80:81], v[146:147] neg_lo:[0,1] neg_hi:[0,1]
	s_wait_dscnt 0x0
	v_pk_mul_f32 v[146:147], v[142:143], v[134:135] op_sel:[0,1]
	v_pk_fma_f32 v[148:149], v[142:143], v[132:133], v[146:147] op_sel:[0,0,1] op_sel_hi:[1,1,0] neg_lo:[0,0,1] neg_hi:[0,0,1]
	v_pk_fma_f32 v[142:143], v[142:143], v[132:133], v[146:147] op_sel:[0,0,1] op_sel_hi:[1,0,0]
	v_dual_mul_f32 v146, v145, v135 :: v_dual_mov_b32 v142, v145
	s_delay_alu instid0(VALU_DEP_2) | instskip(NEXT) | instid1(VALU_DEP_2)
	v_dual_mov_b32 v149, v143 :: v_dual_mov_b32 v143, v144
	v_pk_fma_f32 v[146:147], v[144:145], v[124:125], v[146:147] op_sel_hi:[1,1,0] neg_lo:[0,0,1] neg_hi:[0,0,1]
	v_mul_f32_e32 v144, v145, v132
	s_delay_alu instid0(VALU_DEP_3) | instskip(NEXT) | instid1(VALU_DEP_2)
	v_pk_add_f32 v[78:79], v[78:79], v[148:149] neg_lo:[0,1] neg_hi:[0,1]
	v_pk_fma_f32 v[142:143], v[142:143], v[124:125], v[144:145] op_sel_hi:[1,1,0]
	s_delay_alu instid0(VALU_DEP_1) | instskip(SKIP_4) | instid1(VALU_DEP_1)
	v_mov_b32_e32 v147, v143
	ds_load_2addr_b64 v[142:145], v136 offset0:47 offset1:48
	v_pk_add_f32 v[20:21], v[20:21], v[146:147] neg_lo:[0,1] neg_hi:[0,1]
	s_wait_dscnt 0x0
	v_pk_mul_f32 v[146:147], v[142:143], v[134:135] op_sel:[0,1]
	v_pk_fma_f32 v[148:149], v[142:143], v[132:133], v[146:147] op_sel:[0,0,1] op_sel_hi:[1,1,0] neg_lo:[0,0,1] neg_hi:[0,0,1]
	v_pk_fma_f32 v[142:143], v[142:143], v[132:133], v[146:147] op_sel:[0,0,1] op_sel_hi:[1,0,0]
	s_delay_alu instid0(VALU_DEP_1) | instskip(SKIP_1) | instid1(VALU_DEP_1)
	v_mov_b32_e32 v149, v143
	v_pk_mul_f32 v[142:143], v[144:145], v[134:135] op_sel:[0,1]
	v_pk_fma_f32 v[146:147], v[144:145], v[132:133], v[142:143] op_sel:[0,0,1] op_sel_hi:[1,1,0] neg_lo:[0,0,1] neg_hi:[0,0,1]
	v_pk_fma_f32 v[142:143], v[144:145], v[132:133], v[142:143] op_sel:[0,0,1] op_sel_hi:[1,0,0]
	s_delay_alu instid0(VALU_DEP_1)
	v_mov_b32_e32 v147, v143
	ds_load_2addr_b64 v[142:145], v136 offset0:49 offset1:50
	v_pk_add_f32 v[18:19], v[18:19], v[148:149] neg_lo:[0,1] neg_hi:[0,1]
	v_pk_add_f32 v[76:77], v[76:77], v[146:147] neg_lo:[0,1] neg_hi:[0,1]
	s_wait_dscnt 0x0
	v_pk_mul_f32 v[146:147], v[142:143], v[134:135] op_sel:[0,1]
	s_delay_alu instid0(VALU_DEP_1) | instskip(SKIP_1) | instid1(VALU_DEP_1)
	v_pk_fma_f32 v[148:149], v[142:143], v[132:133], v[146:147] op_sel:[0,0,1] op_sel_hi:[1,1,0] neg_lo:[0,0,1] neg_hi:[0,0,1]
	v_pk_fma_f32 v[142:143], v[142:143], v[132:133], v[146:147] op_sel:[0,0,1] op_sel_hi:[1,0,0]
	v_mov_b32_e32 v149, v143
	v_pk_mul_f32 v[142:143], v[144:145], v[134:135] op_sel:[0,1]
	s_delay_alu instid0(VALU_DEP_1) | instskip(SKIP_1) | instid1(VALU_DEP_1)
	v_pk_fma_f32 v[146:147], v[144:145], v[132:133], v[142:143] op_sel:[0,0,1] op_sel_hi:[1,1,0] neg_lo:[0,0,1] neg_hi:[0,0,1]
	v_pk_fma_f32 v[142:143], v[144:145], v[132:133], v[142:143] op_sel:[0,0,1] op_sel_hi:[1,0,0]
	v_mov_b32_e32 v147, v143
	ds_load_2addr_b64 v[142:145], v136 offset0:51 offset1:52
	v_pk_add_f32 v[74:75], v[74:75], v[148:149] neg_lo:[0,1] neg_hi:[0,1]
	v_pk_add_f32 v[16:17], v[16:17], v[146:147] neg_lo:[0,1] neg_hi:[0,1]
	s_wait_dscnt 0x0
	v_dual_mul_f32 v146, v143, v135 :: v_dual_mul_f32 v148, v143, v132
	s_delay_alu instid0(VALU_DEP_1) | instskip(NEXT) | instid1(VALU_DEP_2)
	v_pk_fma_f32 v[146:147], v[142:143], v[124:125], v[146:147] op_sel_hi:[1,1,0] neg_lo:[0,0,1] neg_hi:[0,0,1]
	v_pk_fma_f32 v[142:143], v[142:143], v[124:125], v[148:149] op_sel:[1,0,0] op_sel_hi:[0,1,0]
	s_delay_alu instid0(VALU_DEP_1) | instskip(SKIP_1) | instid1(VALU_DEP_2)
	v_mov_b32_e32 v147, v143
	v_pk_mul_f32 v[142:143], v[144:145], v[134:135] op_sel:[0,1]
	v_pk_add_f32 v[28:29], v[28:29], v[146:147] neg_lo:[0,1] neg_hi:[0,1]
	s_delay_alu instid0(VALU_DEP_2) | instskip(SKIP_1) | instid1(VALU_DEP_1)
	v_pk_fma_f32 v[146:147], v[144:145], v[132:133], v[142:143] op_sel:[0,0,1] op_sel_hi:[1,1,0] neg_lo:[0,0,1] neg_hi:[0,0,1]
	v_pk_fma_f32 v[142:143], v[144:145], v[132:133], v[142:143] op_sel:[0,0,1] op_sel_hi:[1,0,0]
	v_mov_b32_e32 v147, v143
	ds_load_2addr_b64 v[142:145], v136 offset0:53 offset1:54
	v_pk_add_f32 v[68:69], v[68:69], v[146:147] neg_lo:[0,1] neg_hi:[0,1]
	s_wait_dscnt 0x0
	v_pk_mul_f32 v[146:147], v[142:143], v[134:135] op_sel:[0,1]
	s_delay_alu instid0(VALU_DEP_1) | instskip(SKIP_1) | instid1(VALU_DEP_1)
	v_pk_fma_f32 v[148:149], v[142:143], v[132:133], v[146:147] op_sel:[0,0,1] op_sel_hi:[1,1,0] neg_lo:[0,0,1] neg_hi:[0,0,1]
	v_pk_fma_f32 v[142:143], v[142:143], v[132:133], v[146:147] op_sel:[0,0,1] op_sel_hi:[1,0,0]
	v_mov_b32_e32 v149, v143
	v_pk_mul_f32 v[142:143], v[144:145], v[134:135] op_sel:[0,1]
	s_delay_alu instid0(VALU_DEP_2) | instskip(NEXT) | instid1(VALU_DEP_2)
	v_pk_add_f32 v[66:67], v[66:67], v[148:149] neg_lo:[0,1] neg_hi:[0,1]
	v_pk_fma_f32 v[146:147], v[144:145], v[132:133], v[142:143] op_sel:[0,0,1] op_sel_hi:[1,1,0] neg_lo:[0,0,1] neg_hi:[0,0,1]
	v_pk_fma_f32 v[142:143], v[144:145], v[132:133], v[142:143] op_sel:[0,0,1] op_sel_hi:[1,0,0]
	s_delay_alu instid0(VALU_DEP_1) | instskip(SKIP_4) | instid1(VALU_DEP_1)
	v_mov_b32_e32 v147, v143
	ds_load_2addr_b64 v[142:145], v136 offset0:55 offset1:56
	v_pk_add_f32 v[10:11], v[10:11], v[146:147] neg_lo:[0,1] neg_hi:[0,1]
	s_wait_dscnt 0x0
	v_pk_mul_f32 v[146:147], v[142:143], v[134:135] op_sel:[0,1]
	v_pk_fma_f32 v[148:149], v[142:143], v[132:133], v[146:147] op_sel:[0,0,1] op_sel_hi:[1,1,0] neg_lo:[0,0,1] neg_hi:[0,0,1]
	v_pk_fma_f32 v[142:143], v[142:143], v[132:133], v[146:147] op_sel:[0,0,1] op_sel_hi:[1,0,0]
	v_dual_mul_f32 v146, v145, v135 :: v_dual_mov_b32 v142, v145
	s_delay_alu instid0(VALU_DEP_2) | instskip(NEXT) | instid1(VALU_DEP_2)
	v_dual_mov_b32 v149, v143 :: v_dual_mov_b32 v143, v144
	v_pk_fma_f32 v[146:147], v[144:145], v[124:125], v[146:147] op_sel_hi:[1,1,0] neg_lo:[0,0,1] neg_hi:[0,0,1]
	v_mul_f32_e32 v144, v145, v132
	s_delay_alu instid0(VALU_DEP_3) | instskip(NEXT) | instid1(VALU_DEP_2)
	v_pk_add_f32 v[8:9], v[8:9], v[148:149] neg_lo:[0,1] neg_hi:[0,1]
	v_pk_fma_f32 v[142:143], v[142:143], v[124:125], v[144:145] op_sel_hi:[1,1,0]
	s_delay_alu instid0(VALU_DEP_1) | instskip(SKIP_4) | instid1(VALU_DEP_1)
	v_mov_b32_e32 v147, v143
	ds_load_2addr_b64 v[142:145], v136 offset0:57 offset1:58
	v_pk_add_f32 v[34:35], v[34:35], v[146:147] neg_lo:[0,1] neg_hi:[0,1]
	s_wait_dscnt 0x0
	v_pk_mul_f32 v[146:147], v[142:143], v[134:135] op_sel:[0,1]
	v_pk_fma_f32 v[148:149], v[142:143], v[132:133], v[146:147] op_sel:[0,0,1] op_sel_hi:[1,1,0] neg_lo:[0,0,1] neg_hi:[0,0,1]
	v_pk_fma_f32 v[142:143], v[142:143], v[132:133], v[146:147] op_sel:[0,0,1] op_sel_hi:[1,0,0]
	s_delay_alu instid0(VALU_DEP_1) | instskip(SKIP_1) | instid1(VALU_DEP_1)
	v_mov_b32_e32 v149, v143
	v_pk_mul_f32 v[142:143], v[144:145], v[134:135] op_sel:[0,1]
	v_pk_fma_f32 v[146:147], v[144:145], v[132:133], v[142:143] op_sel:[0,0,1] op_sel_hi:[1,1,0] neg_lo:[0,0,1] neg_hi:[0,0,1]
	v_pk_fma_f32 v[142:143], v[144:145], v[132:133], v[142:143] op_sel:[0,0,1] op_sel_hi:[1,0,0]
	s_delay_alu instid0(VALU_DEP_1)
	v_mov_b32_e32 v147, v143
	ds_load_2addr_b64 v[142:145], v136 offset0:59 offset1:60
	v_pk_add_f32 v[30:31], v[30:31], v[148:149] neg_lo:[0,1] neg_hi:[0,1]
	v_pk_add_f32 v[6:7], v[6:7], v[146:147] neg_lo:[0,1] neg_hi:[0,1]
	s_wait_dscnt 0x0
	v_pk_mul_f32 v[146:147], v[142:143], v[134:135] op_sel:[0,1]
	s_delay_alu instid0(VALU_DEP_1) | instskip(SKIP_1) | instid1(VALU_DEP_1)
	v_pk_fma_f32 v[148:149], v[142:143], v[132:133], v[146:147] op_sel:[0,0,1] op_sel_hi:[1,1,0] neg_lo:[0,0,1] neg_hi:[0,0,1]
	v_pk_fma_f32 v[142:143], v[142:143], v[132:133], v[146:147] op_sel:[0,0,1] op_sel_hi:[1,0,0]
	v_mov_b32_e32 v149, v143
	v_pk_mul_f32 v[142:143], v[144:145], v[134:135] op_sel:[0,1]
	s_delay_alu instid0(VALU_DEP_1) | instskip(SKIP_1) | instid1(VALU_DEP_1)
	v_pk_fma_f32 v[146:147], v[144:145], v[132:133], v[142:143] op_sel:[0,0,1] op_sel_hi:[1,1,0] neg_lo:[0,0,1] neg_hi:[0,0,1]
	v_pk_fma_f32 v[142:143], v[144:145], v[132:133], v[142:143] op_sel:[0,0,1] op_sel_hi:[1,0,0]
	v_mov_b32_e32 v147, v143
	ds_load_2addr_b64 v[142:145], v136 offset0:61 offset1:62
	v_pk_add_f32 v[26:27], v[26:27], v[148:149] neg_lo:[0,1] neg_hi:[0,1]
	v_pk_add_f32 v[14:15], v[14:15], v[146:147] neg_lo:[0,1] neg_hi:[0,1]
	s_wait_dscnt 0x0
	v_mul_f32_e32 v134, v143, v135
	s_delay_alu instid0(VALU_DEP_1) | instskip(SKIP_1) | instid1(VALU_DEP_1)
	v_pk_fma_f32 v[146:147], v[142:143], v[124:125], v[134:135] op_sel_hi:[1,1,0] neg_lo:[0,0,1] neg_hi:[0,0,1]
	v_dual_mul_f32 v134, v143, v132 :: v_dual_mul_f32 v132, v145, v132
	v_pk_fma_f32 v[142:143], v[142:143], v[124:125], v[134:135] op_sel:[1,0,0] op_sel_hi:[0,1,0]
	v_dual_mov_b32 v142, v145 :: v_dual_mul_f32 v134, v145, v135
	s_delay_alu instid0(VALU_DEP_2) | instskip(NEXT) | instid1(VALU_DEP_2)
	v_dual_mov_b32 v147, v143 :: v_dual_mov_b32 v143, v144
	v_pk_fma_f32 v[134:135], v[144:145], v[124:125], v[134:135] op_sel_hi:[1,1,0] neg_lo:[0,0,1] neg_hi:[0,0,1]
	s_delay_alu instid0(VALU_DEP_2) | instskip(NEXT) | instid1(VALU_DEP_3)
	v_pk_add_f32 v[12:13], v[12:13], v[146:147] neg_lo:[0,1] neg_hi:[0,1]
	v_pk_fma_f32 v[132:133], v[142:143], v[124:125], v[132:133] op_sel_hi:[1,1,0]
	s_delay_alu instid0(VALU_DEP_1) | instskip(NEXT) | instid1(VALU_DEP_1)
	v_mov_b32_e32 v135, v133
	v_pk_add_f32 v[130:131], v[130:131], v[134:135] neg_lo:[0,1] neg_hi:[0,1]
.LBB124_62:
	s_or_b32 exec_lo, exec_lo, s0
	v_lshl_add_u32 v132, v140, 3, v136
	s_barrier_signal -1
	s_barrier_wait -1
	ds_store_b64 v132, v[122:123]
	s_wait_dscnt 0x0
	s_barrier_signal -1
	s_barrier_wait -1
	ds_load_b64 v[134:135], v136 offset:24
	v_mov_b32_e32 v132, 3
	s_cmp_lt_i32 s18, 5
	s_cbranch_scc1 .LBB124_65
; %bb.63:
	v_mov_b32_e32 v132, 3
	v_add3_u32 v133, v137, 0, 32
	s_mov_b32 s0, 4
.LBB124_64:                             ; =>This Inner Loop Header: Depth=1
	ds_load_b64 v[142:143], v133
	s_wait_dscnt 0x1
	v_cmp_gt_f32_e32 vcc_lo, 0, v134
	v_cndmask_b32_e64 v144, v134, -v134, vcc_lo
	v_cmp_gt_f32_e32 vcc_lo, 0, v135
	v_cndmask_b32_e64 v146, v135, -v135, vcc_lo
	s_wait_dscnt 0x0
	v_cmp_gt_f32_e32 vcc_lo, 0, v142
	v_cndmask_b32_e64 v145, v142, -v142, vcc_lo
	v_cmp_gt_f32_e32 vcc_lo, 0, v143
	v_cndmask_b32_e64 v147, v143, -v143, vcc_lo
	s_delay_alu instid0(VALU_DEP_1) | instskip(NEXT) | instid1(VALU_DEP_1)
	v_pk_add_f32 v[144:145], v[144:145], v[146:147]
	v_cmp_lt_f32_e32 vcc_lo, v144, v145
	v_dual_add_nc_u32 v133, 8, v133 :: v_dual_cndmask_b32 v135, v135, v143, vcc_lo
	v_cndmask_b32_e32 v134, v134, v142, vcc_lo
	v_cndmask_b32_e64 v132, v132, s0, vcc_lo
	s_add_co_i32 s0, s0, 1
	s_delay_alu instid0(SALU_CYCLE_1)
	s_cmp_lg_u32 s18, s0
	s_cbranch_scc1 .LBB124_64
.LBB124_65:
	s_wait_dscnt 0x0
	v_cmp_eq_f32_e32 vcc_lo, 0, v134
	v_cmp_eq_f32_e64 s0, 0, v135
	s_and_b32 s0, vcc_lo, s0
	s_delay_alu instid0(SALU_CYCLE_1) | instskip(NEXT) | instid1(SALU_CYCLE_1)
	s_and_saveexec_b32 s1, s0
	s_xor_b32 s0, exec_lo, s1
; %bb.66:
	v_cmp_ne_u32_e32 vcc_lo, 0, v138
	v_cndmask_b32_e32 v138, 4, v138, vcc_lo
; %bb.67:
	s_and_not1_saveexec_b32 s0, s0
	s_cbranch_execz .LBB124_73
; %bb.68:
	v_cmp_ngt_f32_e64 s1, |v134|, |v135|
	s_and_saveexec_b32 s12, s1
	s_delay_alu instid0(SALU_CYCLE_1)
	s_xor_b32 s1, exec_lo, s12
	s_cbranch_execz .LBB124_70
; %bb.69:
	v_div_scale_f32 v133, null, v135, v135, v134
	v_div_scale_f32 v143, vcc_lo, v134, v135, v134
	s_delay_alu instid0(VALU_DEP_2) | instskip(SKIP_1) | instid1(TRANS32_DEP_1)
	v_rcp_f32_e32 v141, v133
	v_nop
	v_fma_f32 v142, -v133, v141, 1.0
	s_delay_alu instid0(VALU_DEP_1) | instskip(NEXT) | instid1(VALU_DEP_1)
	v_fmac_f32_e32 v141, v142, v141
	v_mul_f32_e32 v142, v143, v141
	s_delay_alu instid0(VALU_DEP_1) | instskip(NEXT) | instid1(VALU_DEP_1)
	v_fma_f32 v144, -v133, v142, v143
	v_fmac_f32_e32 v142, v144, v141
	s_delay_alu instid0(VALU_DEP_1) | instskip(NEXT) | instid1(VALU_DEP_1)
	v_fma_f32 v133, -v133, v142, v143
	v_div_fmas_f32 v133, v133, v141, v142
	s_delay_alu instid0(VALU_DEP_1) | instskip(NEXT) | instid1(VALU_DEP_1)
	v_div_fixup_f32 v133, v133, v135, v134
	v_fmac_f32_e32 v135, v134, v133
	s_delay_alu instid0(VALU_DEP_1) | instskip(SKIP_1) | instid1(VALU_DEP_2)
	v_div_scale_f32 v134, null, v135, v135, 1.0
	v_div_scale_f32 v143, vcc_lo, 1.0, v135, 1.0
	v_rcp_f32_e32 v141, v134
	v_nop
	s_delay_alu instid0(TRANS32_DEP_1) | instskip(NEXT) | instid1(VALU_DEP_1)
	v_fma_f32 v142, -v134, v141, 1.0
	v_fmac_f32_e32 v141, v142, v141
	s_delay_alu instid0(VALU_DEP_1) | instskip(NEXT) | instid1(VALU_DEP_1)
	v_mul_f32_e32 v142, v143, v141
	v_fma_f32 v144, -v134, v142, v143
	s_delay_alu instid0(VALU_DEP_1) | instskip(NEXT) | instid1(VALU_DEP_1)
	v_fmac_f32_e32 v142, v144, v141
	v_fma_f32 v134, -v134, v142, v143
	s_delay_alu instid0(VALU_DEP_1) | instskip(NEXT) | instid1(VALU_DEP_1)
	v_div_fmas_f32 v134, v134, v141, v142
	v_div_fixup_f32 v135, v134, v135, 1.0
	s_delay_alu instid0(VALU_DEP_1)
	v_mul_f32_e32 v134, v133, v135
	v_xor_b32_e32 v135, 0x80000000, v135
.LBB124_70:
	s_and_not1_saveexec_b32 s1, s1
	s_cbranch_execz .LBB124_72
; %bb.71:
	s_delay_alu instid0(VALU_DEP_1) | instskip(SKIP_1) | instid1(VALU_DEP_2)
	v_div_scale_f32 v133, null, v134, v134, v135
	v_div_scale_f32 v143, vcc_lo, v135, v134, v135
	v_rcp_f32_e32 v141, v133
	v_nop
	s_delay_alu instid0(TRANS32_DEP_1) | instskip(NEXT) | instid1(VALU_DEP_1)
	v_fma_f32 v142, -v133, v141, 1.0
	v_fmac_f32_e32 v141, v142, v141
	s_delay_alu instid0(VALU_DEP_1) | instskip(NEXT) | instid1(VALU_DEP_1)
	v_mul_f32_e32 v142, v143, v141
	v_fma_f32 v144, -v133, v142, v143
	s_delay_alu instid0(VALU_DEP_1) | instskip(NEXT) | instid1(VALU_DEP_1)
	v_fmac_f32_e32 v142, v144, v141
	v_fma_f32 v133, -v133, v142, v143
	s_delay_alu instid0(VALU_DEP_1) | instskip(NEXT) | instid1(VALU_DEP_1)
	v_div_fmas_f32 v133, v133, v141, v142
	v_div_fixup_f32 v133, v133, v134, v135
	s_delay_alu instid0(VALU_DEP_1) | instskip(NEXT) | instid1(VALU_DEP_1)
	v_fmac_f32_e32 v134, v135, v133
	v_div_scale_f32 v135, null, v134, v134, 1.0
	s_delay_alu instid0(VALU_DEP_1) | instskip(SKIP_1) | instid1(TRANS32_DEP_1)
	v_rcp_f32_e32 v141, v135
	v_nop
	v_fma_f32 v142, -v135, v141, 1.0
	s_delay_alu instid0(VALU_DEP_1) | instskip(SKIP_1) | instid1(VALU_DEP_1)
	v_fmac_f32_e32 v141, v142, v141
	v_div_scale_f32 v142, vcc_lo, 1.0, v134, 1.0
	v_mul_f32_e32 v143, v142, v141
	s_delay_alu instid0(VALU_DEP_1) | instskip(NEXT) | instid1(VALU_DEP_1)
	v_fma_f32 v144, -v135, v143, v142
	v_fmac_f32_e32 v143, v144, v141
	s_delay_alu instid0(VALU_DEP_1) | instskip(NEXT) | instid1(VALU_DEP_1)
	v_fma_f32 v135, -v135, v143, v142
	v_div_fmas_f32 v135, v135, v141, v143
	s_delay_alu instid0(VALU_DEP_1) | instskip(NEXT) | instid1(VALU_DEP_1)
	v_div_fixup_f32 v134, v135, v134, 1.0
	v_mul_f32_e64 v135, v133, -v134
.LBB124_72:
	s_or_b32 exec_lo, exec_lo, s1
.LBB124_73:
	s_delay_alu instid0(SALU_CYCLE_1) | instskip(NEXT) | instid1(SALU_CYCLE_1)
	s_or_b32 exec_lo, exec_lo, s0
	s_mov_b32 s0, exec_lo
	v_cmpx_ne_u32_e64 v140, v132
	s_xor_b32 s0, exec_lo, s0
	s_cbranch_execz .LBB124_79
; %bb.74:
	s_mov_b32 s1, exec_lo
	v_cmpx_eq_u32_e32 3, v140
	s_cbranch_execz .LBB124_78
; %bb.75:
	v_cmp_ne_u32_e32 vcc_lo, 3, v132
	s_xor_b32 s12, s16, -1
	s_delay_alu instid0(SALU_CYCLE_1) | instskip(NEXT) | instid1(SALU_CYCLE_1)
	s_and_b32 s13, s12, vcc_lo
	s_and_saveexec_b32 s12, s13
	s_cbranch_execz .LBB124_77
; %bb.76:
	v_ashrrev_i32_e32 v133, 31, v132
	s_delay_alu instid0(VALU_DEP_1)
	v_lshl_add_u64 v[140:141], v[132:133], 2, v[4:5]
	s_clause 0x1
	global_load_b32 v133, v[140:141], off
	global_load_b32 v139, v[4:5], off offset:12
	s_wait_loadcnt 0x1
	global_store_b32 v[4:5], v133, off offset:12
	s_wait_loadcnt 0x0
	global_store_b32 v[140:141], v139, off
.LBB124_77:
	s_wait_xcnt 0x0
	s_or_b32 exec_lo, exec_lo, s12
	v_dual_mov_b32 v140, v132 :: v_dual_mov_b32 v139, v132
.LBB124_78:
	s_or_b32 exec_lo, exec_lo, s1
.LBB124_79:
	s_and_not1_saveexec_b32 s0, s0
	s_cbranch_execz .LBB124_81
; %bb.80:
	v_dual_mov_b32 v132, v120 :: v_dual_mov_b32 v133, v121
	v_dual_mov_b32 v140, v118 :: v_dual_mov_b32 v141, v119
	ds_store_2addr_b64 v136, v[132:133], v[140:141] offset0:4 offset1:5
	v_dual_mov_b32 v132, v72 :: v_dual_mov_b32 v133, v73
	v_dual_mov_b32 v140, v70 :: v_dual_mov_b32 v141, v71
	ds_store_2addr_b64 v136, v[132:133], v[140:141] offset0:6 offset1:7
	v_dual_mov_b32 v132, v116 :: v_dual_mov_b32 v133, v117
	v_dual_mov_b32 v140, v114 :: v_dual_mov_b32 v141, v115
	ds_store_2addr_b64 v136, v[132:133], v[140:141] offset0:8 offset1:9
	v_dual_mov_b32 v132, v64 :: v_dual_mov_b32 v133, v65
	v_dual_mov_b32 v140, v62 :: v_dual_mov_b32 v141, v63
	ds_store_2addr_b64 v136, v[132:133], v[140:141] offset0:10 offset1:11
	v_dual_mov_b32 v132, v112 :: v_dual_mov_b32 v133, v113
	v_dual_mov_b32 v140, v110 :: v_dual_mov_b32 v141, v111
	ds_store_2addr_b64 v136, v[132:133], v[140:141] offset0:12 offset1:13
	v_dual_mov_b32 v132, v60 :: v_dual_mov_b32 v133, v61
	v_dual_mov_b32 v140, v58 :: v_dual_mov_b32 v141, v59
	ds_store_2addr_b64 v136, v[132:133], v[140:141] offset0:14 offset1:15
	v_dual_mov_b32 v132, v108 :: v_dual_mov_b32 v133, v109
	v_dual_mov_b32 v140, v106 :: v_dual_mov_b32 v141, v107
	ds_store_2addr_b64 v136, v[132:133], v[140:141] offset0:16 offset1:17
	v_dual_mov_b32 v132, v56 :: v_dual_mov_b32 v133, v57
	v_dual_mov_b32 v140, v54 :: v_dual_mov_b32 v141, v55
	ds_store_2addr_b64 v136, v[132:133], v[140:141] offset0:18 offset1:19
	v_dual_mov_b32 v132, v104 :: v_dual_mov_b32 v133, v105
	v_dual_mov_b32 v140, v102 :: v_dual_mov_b32 v141, v103
	ds_store_2addr_b64 v136, v[132:133], v[140:141] offset0:20 offset1:21
	v_dual_mov_b32 v132, v52 :: v_dual_mov_b32 v133, v53
	v_dual_mov_b32 v140, v50 :: v_dual_mov_b32 v141, v51
	ds_store_2addr_b64 v136, v[132:133], v[140:141] offset0:22 offset1:23
	v_dual_mov_b32 v132, v100 :: v_dual_mov_b32 v133, v101
	v_dual_mov_b32 v140, v98 :: v_dual_mov_b32 v141, v99
	ds_store_2addr_b64 v136, v[132:133], v[140:141] offset0:24 offset1:25
	v_dual_mov_b32 v132, v48 :: v_dual_mov_b32 v133, v49
	v_dual_mov_b32 v140, v46 :: v_dual_mov_b32 v141, v47
	ds_store_2addr_b64 v136, v[132:133], v[140:141] offset0:26 offset1:27
	v_dual_mov_b32 v132, v96 :: v_dual_mov_b32 v133, v97
	v_dual_mov_b32 v140, v94 :: v_dual_mov_b32 v141, v95
	ds_store_2addr_b64 v136, v[132:133], v[140:141] offset0:28 offset1:29
	v_dual_mov_b32 v132, v44 :: v_dual_mov_b32 v133, v45
	v_dual_mov_b32 v140, v42 :: v_dual_mov_b32 v141, v43
	ds_store_2addr_b64 v136, v[132:133], v[140:141] offset0:30 offset1:31
	v_dual_mov_b32 v132, v92 :: v_dual_mov_b32 v133, v93
	v_dual_mov_b32 v140, v90 :: v_dual_mov_b32 v141, v91
	ds_store_2addr_b64 v136, v[132:133], v[140:141] offset0:32 offset1:33
	v_dual_mov_b32 v132, v40 :: v_dual_mov_b32 v133, v41
	v_dual_mov_b32 v140, v38 :: v_dual_mov_b32 v141, v39
	ds_store_2addr_b64 v136, v[132:133], v[140:141] offset0:34 offset1:35
	v_dual_mov_b32 v132, v88 :: v_dual_mov_b32 v133, v89
	v_dual_mov_b32 v140, v86 :: v_dual_mov_b32 v141, v87
	ds_store_2addr_b64 v136, v[132:133], v[140:141] offset0:36 offset1:37
	v_dual_mov_b32 v132, v36 :: v_dual_mov_b32 v133, v37
	v_dual_mov_b32 v140, v32 :: v_dual_mov_b32 v141, v33
	ds_store_2addr_b64 v136, v[132:133], v[140:141] offset0:38 offset1:39
	v_dual_mov_b32 v132, v84 :: v_dual_mov_b32 v133, v85
	v_dual_mov_b32 v140, v82 :: v_dual_mov_b32 v141, v83
	ds_store_2addr_b64 v136, v[132:133], v[140:141] offset0:40 offset1:41
	v_dual_mov_b32 v132, v24 :: v_dual_mov_b32 v133, v25
	v_dual_mov_b32 v140, v22 :: v_dual_mov_b32 v141, v23
	ds_store_2addr_b64 v136, v[132:133], v[140:141] offset0:42 offset1:43
	v_dual_mov_b32 v132, v80 :: v_dual_mov_b32 v133, v81
	v_dual_mov_b32 v140, v78 :: v_dual_mov_b32 v141, v79
	ds_store_2addr_b64 v136, v[132:133], v[140:141] offset0:44 offset1:45
	v_dual_mov_b32 v132, v20 :: v_dual_mov_b32 v133, v21
	v_dual_mov_b32 v140, v18 :: v_dual_mov_b32 v141, v19
	ds_store_2addr_b64 v136, v[132:133], v[140:141] offset0:46 offset1:47
	v_dual_mov_b32 v132, v76 :: v_dual_mov_b32 v133, v77
	v_dual_mov_b32 v140, v74 :: v_dual_mov_b32 v141, v75
	ds_store_2addr_b64 v136, v[132:133], v[140:141] offset0:48 offset1:49
	v_dual_mov_b32 v132, v16 :: v_dual_mov_b32 v133, v17
	v_dual_mov_b32 v140, v28 :: v_dual_mov_b32 v141, v29
	ds_store_2addr_b64 v136, v[132:133], v[140:141] offset0:50 offset1:51
	v_dual_mov_b32 v132, v68 :: v_dual_mov_b32 v133, v69
	v_dual_mov_b32 v140, v66 :: v_dual_mov_b32 v141, v67
	ds_store_2addr_b64 v136, v[132:133], v[140:141] offset0:52 offset1:53
	v_dual_mov_b32 v132, v10 :: v_dual_mov_b32 v133, v11
	v_dual_mov_b32 v140, v8 :: v_dual_mov_b32 v141, v9
	ds_store_2addr_b64 v136, v[132:133], v[140:141] offset0:54 offset1:55
	v_dual_mov_b32 v132, v34 :: v_dual_mov_b32 v133, v35
	v_dual_mov_b32 v140, v30 :: v_dual_mov_b32 v141, v31
	ds_store_2addr_b64 v136, v[132:133], v[140:141] offset0:56 offset1:57
	v_dual_mov_b32 v132, v6 :: v_dual_mov_b32 v133, v7
	v_dual_mov_b32 v140, v26 :: v_dual_mov_b32 v141, v27
	ds_store_2addr_b64 v136, v[132:133], v[140:141] offset0:58 offset1:59
	v_dual_mov_b32 v132, v14 :: v_dual_mov_b32 v133, v15
	v_dual_mov_b32 v140, v12 :: v_dual_mov_b32 v141, v13
	ds_store_2addr_b64 v136, v[132:133], v[140:141] offset0:60 offset1:61
	ds_store_b64 v136, v[130:131] offset:496
	v_mov_b32_e32 v140, 3
.LBB124_81:
	s_or_b32 exec_lo, exec_lo, s0
	s_delay_alu instid0(SALU_CYCLE_1)
	s_mov_b32 s0, exec_lo
	s_wait_storecnt_dscnt 0x0
	s_barrier_signal -1
	s_barrier_wait -1
	v_cmpx_lt_i32_e32 3, v140
	s_cbranch_execz .LBB124_83
; %bb.82:
	v_pk_mul_f32 v[142:143], v[134:135], v[122:123] op_sel:[1,1] op_sel_hi:[0,1]
	s_delay_alu instid0(VALU_DEP_1)
	v_pk_fma_f32 v[132:133], v[134:135], v[122:123], v[142:143] op_sel_hi:[1,0,1] neg_lo:[0,0,1] neg_hi:[0,0,1]
	v_pk_fma_f32 v[134:135], v[134:135], v[122:123], v[142:143] op_sel_hi:[1,0,1]
	ds_load_2addr_b64 v[142:145], v136 offset0:4 offset1:5
	v_dual_mov_b32 v122, v132 :: v_dual_mov_b32 v123, v135
	s_wait_dscnt 0x0
	v_pk_mul_f32 v[146:147], v[142:143], v[134:135] op_sel:[0,1]
	s_delay_alu instid0(VALU_DEP_1) | instskip(SKIP_1) | instid1(VALU_DEP_1)
	v_pk_fma_f32 v[148:149], v[142:143], v[132:133], v[146:147] op_sel:[0,0,1] op_sel_hi:[1,1,0] neg_lo:[0,0,1] neg_hi:[0,0,1]
	v_pk_fma_f32 v[142:143], v[142:143], v[132:133], v[146:147] op_sel:[0,0,1] op_sel_hi:[1,0,0]
	v_mov_b32_e32 v149, v143
	v_pk_mul_f32 v[142:143], v[144:145], v[134:135] op_sel:[0,1]
	s_delay_alu instid0(VALU_DEP_1) | instskip(SKIP_1) | instid1(VALU_DEP_1)
	v_pk_fma_f32 v[146:147], v[144:145], v[132:133], v[142:143] op_sel:[0,0,1] op_sel_hi:[1,1,0] neg_lo:[0,0,1] neg_hi:[0,0,1]
	v_pk_fma_f32 v[142:143], v[144:145], v[132:133], v[142:143] op_sel:[0,0,1] op_sel_hi:[1,0,0]
	v_mov_b32_e32 v147, v143
	ds_load_2addr_b64 v[142:145], v136 offset0:6 offset1:7
	v_pk_add_f32 v[120:121], v[120:121], v[148:149] neg_lo:[0,1] neg_hi:[0,1]
	v_pk_add_f32 v[118:119], v[118:119], v[146:147] neg_lo:[0,1] neg_hi:[0,1]
	s_wait_dscnt 0x0
	v_pk_mul_f32 v[146:147], v[142:143], v[134:135] op_sel:[0,1]
	s_delay_alu instid0(VALU_DEP_1) | instskip(SKIP_2) | instid1(VALU_DEP_2)
	v_pk_fma_f32 v[148:149], v[142:143], v[132:133], v[146:147] op_sel:[0,0,1] op_sel_hi:[1,1,0] neg_lo:[0,0,1] neg_hi:[0,0,1]
	v_pk_fma_f32 v[142:143], v[142:143], v[132:133], v[146:147] op_sel:[0,0,1] op_sel_hi:[1,0,0]
	v_dual_mul_f32 v146, v145, v135 :: v_dual_mov_b32 v142, v145
	v_dual_mov_b32 v149, v143 :: v_dual_mov_b32 v143, v144
	s_delay_alu instid0(VALU_DEP_2) | instskip(SKIP_1) | instid1(VALU_DEP_3)
	v_pk_fma_f32 v[146:147], v[144:145], v[122:123], v[146:147] op_sel_hi:[1,1,0] neg_lo:[0,0,1] neg_hi:[0,0,1]
	v_mul_f32_e32 v144, v145, v132
	v_pk_add_f32 v[72:73], v[72:73], v[148:149] neg_lo:[0,1] neg_hi:[0,1]
	s_delay_alu instid0(VALU_DEP_2) | instskip(NEXT) | instid1(VALU_DEP_1)
	v_pk_fma_f32 v[142:143], v[142:143], v[122:123], v[144:145] op_sel_hi:[1,1,0]
	v_mov_b32_e32 v147, v143
	ds_load_2addr_b64 v[142:145], v136 offset0:8 offset1:9
	v_pk_add_f32 v[70:71], v[70:71], v[146:147] neg_lo:[0,1] neg_hi:[0,1]
	s_wait_dscnt 0x0
	v_pk_mul_f32 v[146:147], v[142:143], v[134:135] op_sel:[0,1]
	s_delay_alu instid0(VALU_DEP_1) | instskip(SKIP_1) | instid1(VALU_DEP_1)
	v_pk_fma_f32 v[148:149], v[142:143], v[132:133], v[146:147] op_sel:[0,0,1] op_sel_hi:[1,1,0] neg_lo:[0,0,1] neg_hi:[0,0,1]
	v_pk_fma_f32 v[142:143], v[142:143], v[132:133], v[146:147] op_sel:[0,0,1] op_sel_hi:[1,0,0]
	v_mov_b32_e32 v149, v143
	v_pk_mul_f32 v[142:143], v[144:145], v[134:135] op_sel:[0,1]
	s_delay_alu instid0(VALU_DEP_1) | instskip(SKIP_1) | instid1(VALU_DEP_1)
	v_pk_fma_f32 v[146:147], v[144:145], v[132:133], v[142:143] op_sel:[0,0,1] op_sel_hi:[1,1,0] neg_lo:[0,0,1] neg_hi:[0,0,1]
	v_pk_fma_f32 v[142:143], v[144:145], v[132:133], v[142:143] op_sel:[0,0,1] op_sel_hi:[1,0,0]
	v_mov_b32_e32 v147, v143
	ds_load_2addr_b64 v[142:145], v136 offset0:10 offset1:11
	v_pk_add_f32 v[116:117], v[116:117], v[148:149] neg_lo:[0,1] neg_hi:[0,1]
	v_pk_add_f32 v[114:115], v[114:115], v[146:147] neg_lo:[0,1] neg_hi:[0,1]
	s_wait_dscnt 0x0
	v_pk_mul_f32 v[146:147], v[142:143], v[134:135] op_sel:[0,1]
	s_delay_alu instid0(VALU_DEP_1) | instskip(SKIP_1) | instid1(VALU_DEP_1)
	v_pk_fma_f32 v[148:149], v[142:143], v[132:133], v[146:147] op_sel:[0,0,1] op_sel_hi:[1,1,0] neg_lo:[0,0,1] neg_hi:[0,0,1]
	v_pk_fma_f32 v[142:143], v[142:143], v[132:133], v[146:147] op_sel:[0,0,1] op_sel_hi:[1,0,0]
	v_mov_b32_e32 v149, v143
	v_pk_mul_f32 v[142:143], v[144:145], v[134:135] op_sel:[0,1]
	s_delay_alu instid0(VALU_DEP_1) | instskip(SKIP_1) | instid1(VALU_DEP_1)
	v_pk_fma_f32 v[146:147], v[144:145], v[132:133], v[142:143] op_sel:[0,0,1] op_sel_hi:[1,1,0] neg_lo:[0,0,1] neg_hi:[0,0,1]
	v_pk_fma_f32 v[142:143], v[144:145], v[132:133], v[142:143] op_sel:[0,0,1] op_sel_hi:[1,0,0]
	v_mov_b32_e32 v147, v143
	ds_load_2addr_b64 v[142:145], v136 offset0:12 offset1:13
	v_pk_add_f32 v[64:65], v[64:65], v[148:149] neg_lo:[0,1] neg_hi:[0,1]
	v_pk_add_f32 v[62:63], v[62:63], v[146:147] neg_lo:[0,1] neg_hi:[0,1]
	s_wait_dscnt 0x0
	v_dual_mul_f32 v146, v143, v135 :: v_dual_mul_f32 v148, v143, v132
	s_delay_alu instid0(VALU_DEP_1) | instskip(NEXT) | instid1(VALU_DEP_2)
	v_pk_fma_f32 v[146:147], v[142:143], v[122:123], v[146:147] op_sel_hi:[1,1,0] neg_lo:[0,0,1] neg_hi:[0,0,1]
	v_pk_fma_f32 v[142:143], v[142:143], v[122:123], v[148:149] op_sel:[1,0,0] op_sel_hi:[0,1,0]
	s_delay_alu instid0(VALU_DEP_1) | instskip(SKIP_1) | instid1(VALU_DEP_2)
	v_mov_b32_e32 v147, v143
	v_pk_mul_f32 v[142:143], v[144:145], v[134:135] op_sel:[0,1]
	v_pk_add_f32 v[112:113], v[112:113], v[146:147] neg_lo:[0,1] neg_hi:[0,1]
	s_delay_alu instid0(VALU_DEP_2) | instskip(SKIP_1) | instid1(VALU_DEP_1)
	v_pk_fma_f32 v[146:147], v[144:145], v[132:133], v[142:143] op_sel:[0,0,1] op_sel_hi:[1,1,0] neg_lo:[0,0,1] neg_hi:[0,0,1]
	v_pk_fma_f32 v[142:143], v[144:145], v[132:133], v[142:143] op_sel:[0,0,1] op_sel_hi:[1,0,0]
	v_mov_b32_e32 v147, v143
	ds_load_2addr_b64 v[142:145], v136 offset0:14 offset1:15
	v_pk_add_f32 v[110:111], v[110:111], v[146:147] neg_lo:[0,1] neg_hi:[0,1]
	s_wait_dscnt 0x0
	v_pk_mul_f32 v[146:147], v[142:143], v[134:135] op_sel:[0,1]
	s_delay_alu instid0(VALU_DEP_1) | instskip(SKIP_1) | instid1(VALU_DEP_1)
	v_pk_fma_f32 v[148:149], v[142:143], v[132:133], v[146:147] op_sel:[0,0,1] op_sel_hi:[1,1,0] neg_lo:[0,0,1] neg_hi:[0,0,1]
	v_pk_fma_f32 v[142:143], v[142:143], v[132:133], v[146:147] op_sel:[0,0,1] op_sel_hi:[1,0,0]
	v_mov_b32_e32 v149, v143
	v_pk_mul_f32 v[142:143], v[144:145], v[134:135] op_sel:[0,1]
	s_delay_alu instid0(VALU_DEP_2) | instskip(NEXT) | instid1(VALU_DEP_2)
	v_pk_add_f32 v[60:61], v[60:61], v[148:149] neg_lo:[0,1] neg_hi:[0,1]
	v_pk_fma_f32 v[146:147], v[144:145], v[132:133], v[142:143] op_sel:[0,0,1] op_sel_hi:[1,1,0] neg_lo:[0,0,1] neg_hi:[0,0,1]
	v_pk_fma_f32 v[142:143], v[144:145], v[132:133], v[142:143] op_sel:[0,0,1] op_sel_hi:[1,0,0]
	s_delay_alu instid0(VALU_DEP_1) | instskip(SKIP_4) | instid1(VALU_DEP_1)
	v_mov_b32_e32 v147, v143
	ds_load_2addr_b64 v[142:145], v136 offset0:16 offset1:17
	v_pk_add_f32 v[58:59], v[58:59], v[146:147] neg_lo:[0,1] neg_hi:[0,1]
	s_wait_dscnt 0x0
	v_pk_mul_f32 v[146:147], v[142:143], v[134:135] op_sel:[0,1]
	v_pk_fma_f32 v[148:149], v[142:143], v[132:133], v[146:147] op_sel:[0,0,1] op_sel_hi:[1,1,0] neg_lo:[0,0,1] neg_hi:[0,0,1]
	v_pk_fma_f32 v[142:143], v[142:143], v[132:133], v[146:147] op_sel:[0,0,1] op_sel_hi:[1,0,0]
	v_dual_mul_f32 v146, v145, v135 :: v_dual_mov_b32 v142, v145
	s_delay_alu instid0(VALU_DEP_2) | instskip(NEXT) | instid1(VALU_DEP_2)
	v_dual_mov_b32 v149, v143 :: v_dual_mov_b32 v143, v144
	v_pk_fma_f32 v[146:147], v[144:145], v[122:123], v[146:147] op_sel_hi:[1,1,0] neg_lo:[0,0,1] neg_hi:[0,0,1]
	v_mul_f32_e32 v144, v145, v132
	s_delay_alu instid0(VALU_DEP_3) | instskip(NEXT) | instid1(VALU_DEP_2)
	v_pk_add_f32 v[108:109], v[108:109], v[148:149] neg_lo:[0,1] neg_hi:[0,1]
	v_pk_fma_f32 v[142:143], v[142:143], v[122:123], v[144:145] op_sel_hi:[1,1,0]
	s_delay_alu instid0(VALU_DEP_1) | instskip(SKIP_4) | instid1(VALU_DEP_1)
	v_mov_b32_e32 v147, v143
	ds_load_2addr_b64 v[142:145], v136 offset0:18 offset1:19
	v_pk_add_f32 v[106:107], v[106:107], v[146:147] neg_lo:[0,1] neg_hi:[0,1]
	s_wait_dscnt 0x0
	v_pk_mul_f32 v[146:147], v[142:143], v[134:135] op_sel:[0,1]
	v_pk_fma_f32 v[148:149], v[142:143], v[132:133], v[146:147] op_sel:[0,0,1] op_sel_hi:[1,1,0] neg_lo:[0,0,1] neg_hi:[0,0,1]
	v_pk_fma_f32 v[142:143], v[142:143], v[132:133], v[146:147] op_sel:[0,0,1] op_sel_hi:[1,0,0]
	s_delay_alu instid0(VALU_DEP_1) | instskip(SKIP_1) | instid1(VALU_DEP_1)
	v_mov_b32_e32 v149, v143
	v_pk_mul_f32 v[142:143], v[144:145], v[134:135] op_sel:[0,1]
	v_pk_fma_f32 v[146:147], v[144:145], v[132:133], v[142:143] op_sel:[0,0,1] op_sel_hi:[1,1,0] neg_lo:[0,0,1] neg_hi:[0,0,1]
	v_pk_fma_f32 v[142:143], v[144:145], v[132:133], v[142:143] op_sel:[0,0,1] op_sel_hi:[1,0,0]
	s_delay_alu instid0(VALU_DEP_1)
	v_mov_b32_e32 v147, v143
	ds_load_2addr_b64 v[142:145], v136 offset0:20 offset1:21
	v_pk_add_f32 v[56:57], v[56:57], v[148:149] neg_lo:[0,1] neg_hi:[0,1]
	v_pk_add_f32 v[54:55], v[54:55], v[146:147] neg_lo:[0,1] neg_hi:[0,1]
	s_wait_dscnt 0x0
	v_pk_mul_f32 v[146:147], v[142:143], v[134:135] op_sel:[0,1]
	s_delay_alu instid0(VALU_DEP_1) | instskip(SKIP_1) | instid1(VALU_DEP_1)
	v_pk_fma_f32 v[148:149], v[142:143], v[132:133], v[146:147] op_sel:[0,0,1] op_sel_hi:[1,1,0] neg_lo:[0,0,1] neg_hi:[0,0,1]
	v_pk_fma_f32 v[142:143], v[142:143], v[132:133], v[146:147] op_sel:[0,0,1] op_sel_hi:[1,0,0]
	v_mov_b32_e32 v149, v143
	v_pk_mul_f32 v[142:143], v[144:145], v[134:135] op_sel:[0,1]
	s_delay_alu instid0(VALU_DEP_1) | instskip(SKIP_1) | instid1(VALU_DEP_1)
	v_pk_fma_f32 v[146:147], v[144:145], v[132:133], v[142:143] op_sel:[0,0,1] op_sel_hi:[1,1,0] neg_lo:[0,0,1] neg_hi:[0,0,1]
	v_pk_fma_f32 v[142:143], v[144:145], v[132:133], v[142:143] op_sel:[0,0,1] op_sel_hi:[1,0,0]
	v_mov_b32_e32 v147, v143
	ds_load_2addr_b64 v[142:145], v136 offset0:22 offset1:23
	v_pk_add_f32 v[104:105], v[104:105], v[148:149] neg_lo:[0,1] neg_hi:[0,1]
	v_pk_add_f32 v[102:103], v[102:103], v[146:147] neg_lo:[0,1] neg_hi:[0,1]
	s_wait_dscnt 0x0
	v_dual_mul_f32 v146, v143, v135 :: v_dual_mul_f32 v148, v143, v132
	s_delay_alu instid0(VALU_DEP_1) | instskip(NEXT) | instid1(VALU_DEP_2)
	v_pk_fma_f32 v[146:147], v[142:143], v[122:123], v[146:147] op_sel_hi:[1,1,0] neg_lo:[0,0,1] neg_hi:[0,0,1]
	v_pk_fma_f32 v[142:143], v[142:143], v[122:123], v[148:149] op_sel:[1,0,0] op_sel_hi:[0,1,0]
	s_delay_alu instid0(VALU_DEP_1) | instskip(SKIP_1) | instid1(VALU_DEP_2)
	v_mov_b32_e32 v147, v143
	v_pk_mul_f32 v[142:143], v[144:145], v[134:135] op_sel:[0,1]
	v_pk_add_f32 v[52:53], v[52:53], v[146:147] neg_lo:[0,1] neg_hi:[0,1]
	s_delay_alu instid0(VALU_DEP_2) | instskip(SKIP_1) | instid1(VALU_DEP_1)
	v_pk_fma_f32 v[146:147], v[144:145], v[132:133], v[142:143] op_sel:[0,0,1] op_sel_hi:[1,1,0] neg_lo:[0,0,1] neg_hi:[0,0,1]
	v_pk_fma_f32 v[142:143], v[144:145], v[132:133], v[142:143] op_sel:[0,0,1] op_sel_hi:[1,0,0]
	v_mov_b32_e32 v147, v143
	ds_load_2addr_b64 v[142:145], v136 offset0:24 offset1:25
	v_pk_add_f32 v[50:51], v[50:51], v[146:147] neg_lo:[0,1] neg_hi:[0,1]
	s_wait_dscnt 0x0
	v_pk_mul_f32 v[146:147], v[142:143], v[134:135] op_sel:[0,1]
	s_delay_alu instid0(VALU_DEP_1) | instskip(SKIP_1) | instid1(VALU_DEP_1)
	v_pk_fma_f32 v[148:149], v[142:143], v[132:133], v[146:147] op_sel:[0,0,1] op_sel_hi:[1,1,0] neg_lo:[0,0,1] neg_hi:[0,0,1]
	v_pk_fma_f32 v[142:143], v[142:143], v[132:133], v[146:147] op_sel:[0,0,1] op_sel_hi:[1,0,0]
	v_mov_b32_e32 v149, v143
	v_pk_mul_f32 v[142:143], v[144:145], v[134:135] op_sel:[0,1]
	s_delay_alu instid0(VALU_DEP_2) | instskip(NEXT) | instid1(VALU_DEP_2)
	v_pk_add_f32 v[100:101], v[100:101], v[148:149] neg_lo:[0,1] neg_hi:[0,1]
	v_pk_fma_f32 v[146:147], v[144:145], v[132:133], v[142:143] op_sel:[0,0,1] op_sel_hi:[1,1,0] neg_lo:[0,0,1] neg_hi:[0,0,1]
	v_pk_fma_f32 v[142:143], v[144:145], v[132:133], v[142:143] op_sel:[0,0,1] op_sel_hi:[1,0,0]
	s_delay_alu instid0(VALU_DEP_1) | instskip(SKIP_4) | instid1(VALU_DEP_1)
	v_mov_b32_e32 v147, v143
	ds_load_2addr_b64 v[142:145], v136 offset0:26 offset1:27
	v_pk_add_f32 v[98:99], v[98:99], v[146:147] neg_lo:[0,1] neg_hi:[0,1]
	s_wait_dscnt 0x0
	v_pk_mul_f32 v[146:147], v[142:143], v[134:135] op_sel:[0,1]
	v_pk_fma_f32 v[148:149], v[142:143], v[132:133], v[146:147] op_sel:[0,0,1] op_sel_hi:[1,1,0] neg_lo:[0,0,1] neg_hi:[0,0,1]
	v_pk_fma_f32 v[142:143], v[142:143], v[132:133], v[146:147] op_sel:[0,0,1] op_sel_hi:[1,0,0]
	v_dual_mul_f32 v146, v145, v135 :: v_dual_mov_b32 v142, v145
	s_delay_alu instid0(VALU_DEP_2) | instskip(NEXT) | instid1(VALU_DEP_2)
	v_dual_mov_b32 v149, v143 :: v_dual_mov_b32 v143, v144
	v_pk_fma_f32 v[146:147], v[144:145], v[122:123], v[146:147] op_sel_hi:[1,1,0] neg_lo:[0,0,1] neg_hi:[0,0,1]
	v_mul_f32_e32 v144, v145, v132
	s_delay_alu instid0(VALU_DEP_3) | instskip(NEXT) | instid1(VALU_DEP_2)
	v_pk_add_f32 v[48:49], v[48:49], v[148:149] neg_lo:[0,1] neg_hi:[0,1]
	v_pk_fma_f32 v[142:143], v[142:143], v[122:123], v[144:145] op_sel_hi:[1,1,0]
	s_delay_alu instid0(VALU_DEP_1) | instskip(SKIP_4) | instid1(VALU_DEP_1)
	v_mov_b32_e32 v147, v143
	ds_load_2addr_b64 v[142:145], v136 offset0:28 offset1:29
	v_pk_add_f32 v[46:47], v[46:47], v[146:147] neg_lo:[0,1] neg_hi:[0,1]
	s_wait_dscnt 0x0
	v_pk_mul_f32 v[146:147], v[142:143], v[134:135] op_sel:[0,1]
	v_pk_fma_f32 v[148:149], v[142:143], v[132:133], v[146:147] op_sel:[0,0,1] op_sel_hi:[1,1,0] neg_lo:[0,0,1] neg_hi:[0,0,1]
	v_pk_fma_f32 v[142:143], v[142:143], v[132:133], v[146:147] op_sel:[0,0,1] op_sel_hi:[1,0,0]
	s_delay_alu instid0(VALU_DEP_1) | instskip(SKIP_1) | instid1(VALU_DEP_1)
	v_mov_b32_e32 v149, v143
	v_pk_mul_f32 v[142:143], v[144:145], v[134:135] op_sel:[0,1]
	v_pk_fma_f32 v[146:147], v[144:145], v[132:133], v[142:143] op_sel:[0,0,1] op_sel_hi:[1,1,0] neg_lo:[0,0,1] neg_hi:[0,0,1]
	v_pk_fma_f32 v[142:143], v[144:145], v[132:133], v[142:143] op_sel:[0,0,1] op_sel_hi:[1,0,0]
	s_delay_alu instid0(VALU_DEP_1)
	v_mov_b32_e32 v147, v143
	ds_load_2addr_b64 v[142:145], v136 offset0:30 offset1:31
	v_pk_add_f32 v[96:97], v[96:97], v[148:149] neg_lo:[0,1] neg_hi:[0,1]
	v_pk_add_f32 v[94:95], v[94:95], v[146:147] neg_lo:[0,1] neg_hi:[0,1]
	s_wait_dscnt 0x0
	v_pk_mul_f32 v[146:147], v[142:143], v[134:135] op_sel:[0,1]
	s_delay_alu instid0(VALU_DEP_1) | instskip(SKIP_1) | instid1(VALU_DEP_1)
	v_pk_fma_f32 v[148:149], v[142:143], v[132:133], v[146:147] op_sel:[0,0,1] op_sel_hi:[1,1,0] neg_lo:[0,0,1] neg_hi:[0,0,1]
	v_pk_fma_f32 v[142:143], v[142:143], v[132:133], v[146:147] op_sel:[0,0,1] op_sel_hi:[1,0,0]
	v_mov_b32_e32 v149, v143
	v_pk_mul_f32 v[142:143], v[144:145], v[134:135] op_sel:[0,1]
	s_delay_alu instid0(VALU_DEP_1) | instskip(SKIP_1) | instid1(VALU_DEP_1)
	v_pk_fma_f32 v[146:147], v[144:145], v[132:133], v[142:143] op_sel:[0,0,1] op_sel_hi:[1,1,0] neg_lo:[0,0,1] neg_hi:[0,0,1]
	v_pk_fma_f32 v[142:143], v[144:145], v[132:133], v[142:143] op_sel:[0,0,1] op_sel_hi:[1,0,0]
	v_mov_b32_e32 v147, v143
	ds_load_2addr_b64 v[142:145], v136 offset0:32 offset1:33
	v_pk_add_f32 v[44:45], v[44:45], v[148:149] neg_lo:[0,1] neg_hi:[0,1]
	v_pk_add_f32 v[42:43], v[42:43], v[146:147] neg_lo:[0,1] neg_hi:[0,1]
	s_wait_dscnt 0x0
	v_dual_mul_f32 v146, v143, v135 :: v_dual_mul_f32 v148, v143, v132
	s_delay_alu instid0(VALU_DEP_1) | instskip(NEXT) | instid1(VALU_DEP_2)
	v_pk_fma_f32 v[146:147], v[142:143], v[122:123], v[146:147] op_sel_hi:[1,1,0] neg_lo:[0,0,1] neg_hi:[0,0,1]
	v_pk_fma_f32 v[142:143], v[142:143], v[122:123], v[148:149] op_sel:[1,0,0] op_sel_hi:[0,1,0]
	s_delay_alu instid0(VALU_DEP_1) | instskip(SKIP_1) | instid1(VALU_DEP_2)
	v_mov_b32_e32 v147, v143
	v_pk_mul_f32 v[142:143], v[144:145], v[134:135] op_sel:[0,1]
	v_pk_add_f32 v[92:93], v[92:93], v[146:147] neg_lo:[0,1] neg_hi:[0,1]
	s_delay_alu instid0(VALU_DEP_2) | instskip(SKIP_1) | instid1(VALU_DEP_1)
	v_pk_fma_f32 v[146:147], v[144:145], v[132:133], v[142:143] op_sel:[0,0,1] op_sel_hi:[1,1,0] neg_lo:[0,0,1] neg_hi:[0,0,1]
	v_pk_fma_f32 v[142:143], v[144:145], v[132:133], v[142:143] op_sel:[0,0,1] op_sel_hi:[1,0,0]
	v_mov_b32_e32 v147, v143
	ds_load_2addr_b64 v[142:145], v136 offset0:34 offset1:35
	v_pk_add_f32 v[90:91], v[90:91], v[146:147] neg_lo:[0,1] neg_hi:[0,1]
	s_wait_dscnt 0x0
	v_pk_mul_f32 v[146:147], v[142:143], v[134:135] op_sel:[0,1]
	s_delay_alu instid0(VALU_DEP_1) | instskip(SKIP_1) | instid1(VALU_DEP_1)
	v_pk_fma_f32 v[148:149], v[142:143], v[132:133], v[146:147] op_sel:[0,0,1] op_sel_hi:[1,1,0] neg_lo:[0,0,1] neg_hi:[0,0,1]
	v_pk_fma_f32 v[142:143], v[142:143], v[132:133], v[146:147] op_sel:[0,0,1] op_sel_hi:[1,0,0]
	v_mov_b32_e32 v149, v143
	v_pk_mul_f32 v[142:143], v[144:145], v[134:135] op_sel:[0,1]
	s_delay_alu instid0(VALU_DEP_2) | instskip(NEXT) | instid1(VALU_DEP_2)
	v_pk_add_f32 v[40:41], v[40:41], v[148:149] neg_lo:[0,1] neg_hi:[0,1]
	v_pk_fma_f32 v[146:147], v[144:145], v[132:133], v[142:143] op_sel:[0,0,1] op_sel_hi:[1,1,0] neg_lo:[0,0,1] neg_hi:[0,0,1]
	v_pk_fma_f32 v[142:143], v[144:145], v[132:133], v[142:143] op_sel:[0,0,1] op_sel_hi:[1,0,0]
	s_delay_alu instid0(VALU_DEP_1) | instskip(SKIP_4) | instid1(VALU_DEP_1)
	v_mov_b32_e32 v147, v143
	ds_load_2addr_b64 v[142:145], v136 offset0:36 offset1:37
	v_pk_add_f32 v[38:39], v[38:39], v[146:147] neg_lo:[0,1] neg_hi:[0,1]
	s_wait_dscnt 0x0
	v_pk_mul_f32 v[146:147], v[142:143], v[134:135] op_sel:[0,1]
	v_pk_fma_f32 v[148:149], v[142:143], v[132:133], v[146:147] op_sel:[0,0,1] op_sel_hi:[1,1,0] neg_lo:[0,0,1] neg_hi:[0,0,1]
	v_pk_fma_f32 v[142:143], v[142:143], v[132:133], v[146:147] op_sel:[0,0,1] op_sel_hi:[1,0,0]
	v_dual_mul_f32 v146, v145, v135 :: v_dual_mov_b32 v142, v145
	s_delay_alu instid0(VALU_DEP_2) | instskip(NEXT) | instid1(VALU_DEP_2)
	v_dual_mov_b32 v149, v143 :: v_dual_mov_b32 v143, v144
	v_pk_fma_f32 v[146:147], v[144:145], v[122:123], v[146:147] op_sel_hi:[1,1,0] neg_lo:[0,0,1] neg_hi:[0,0,1]
	v_mul_f32_e32 v144, v145, v132
	s_delay_alu instid0(VALU_DEP_3) | instskip(NEXT) | instid1(VALU_DEP_2)
	v_pk_add_f32 v[88:89], v[88:89], v[148:149] neg_lo:[0,1] neg_hi:[0,1]
	v_pk_fma_f32 v[142:143], v[142:143], v[122:123], v[144:145] op_sel_hi:[1,1,0]
	s_delay_alu instid0(VALU_DEP_1) | instskip(SKIP_4) | instid1(VALU_DEP_1)
	v_mov_b32_e32 v147, v143
	ds_load_2addr_b64 v[142:145], v136 offset0:38 offset1:39
	v_pk_add_f32 v[86:87], v[86:87], v[146:147] neg_lo:[0,1] neg_hi:[0,1]
	s_wait_dscnt 0x0
	v_pk_mul_f32 v[146:147], v[142:143], v[134:135] op_sel:[0,1]
	v_pk_fma_f32 v[148:149], v[142:143], v[132:133], v[146:147] op_sel:[0,0,1] op_sel_hi:[1,1,0] neg_lo:[0,0,1] neg_hi:[0,0,1]
	v_pk_fma_f32 v[142:143], v[142:143], v[132:133], v[146:147] op_sel:[0,0,1] op_sel_hi:[1,0,0]
	s_delay_alu instid0(VALU_DEP_1) | instskip(SKIP_1) | instid1(VALU_DEP_1)
	v_mov_b32_e32 v149, v143
	v_pk_mul_f32 v[142:143], v[144:145], v[134:135] op_sel:[0,1]
	v_pk_fma_f32 v[146:147], v[144:145], v[132:133], v[142:143] op_sel:[0,0,1] op_sel_hi:[1,1,0] neg_lo:[0,0,1] neg_hi:[0,0,1]
	v_pk_fma_f32 v[142:143], v[144:145], v[132:133], v[142:143] op_sel:[0,0,1] op_sel_hi:[1,0,0]
	s_delay_alu instid0(VALU_DEP_1)
	v_mov_b32_e32 v147, v143
	ds_load_2addr_b64 v[142:145], v136 offset0:40 offset1:41
	v_pk_add_f32 v[36:37], v[36:37], v[148:149] neg_lo:[0,1] neg_hi:[0,1]
	v_pk_add_f32 v[32:33], v[32:33], v[146:147] neg_lo:[0,1] neg_hi:[0,1]
	s_wait_dscnt 0x0
	v_pk_mul_f32 v[146:147], v[142:143], v[134:135] op_sel:[0,1]
	s_delay_alu instid0(VALU_DEP_1) | instskip(SKIP_1) | instid1(VALU_DEP_1)
	v_pk_fma_f32 v[148:149], v[142:143], v[132:133], v[146:147] op_sel:[0,0,1] op_sel_hi:[1,1,0] neg_lo:[0,0,1] neg_hi:[0,0,1]
	v_pk_fma_f32 v[142:143], v[142:143], v[132:133], v[146:147] op_sel:[0,0,1] op_sel_hi:[1,0,0]
	v_mov_b32_e32 v149, v143
	v_pk_mul_f32 v[142:143], v[144:145], v[134:135] op_sel:[0,1]
	s_delay_alu instid0(VALU_DEP_1) | instskip(SKIP_1) | instid1(VALU_DEP_1)
	v_pk_fma_f32 v[146:147], v[144:145], v[132:133], v[142:143] op_sel:[0,0,1] op_sel_hi:[1,1,0] neg_lo:[0,0,1] neg_hi:[0,0,1]
	v_pk_fma_f32 v[142:143], v[144:145], v[132:133], v[142:143] op_sel:[0,0,1] op_sel_hi:[1,0,0]
	v_mov_b32_e32 v147, v143
	ds_load_2addr_b64 v[142:145], v136 offset0:42 offset1:43
	v_pk_add_f32 v[84:85], v[84:85], v[148:149] neg_lo:[0,1] neg_hi:[0,1]
	v_pk_add_f32 v[82:83], v[82:83], v[146:147] neg_lo:[0,1] neg_hi:[0,1]
	s_wait_dscnt 0x0
	v_dual_mul_f32 v146, v143, v135 :: v_dual_mul_f32 v148, v143, v132
	s_delay_alu instid0(VALU_DEP_1) | instskip(NEXT) | instid1(VALU_DEP_2)
	v_pk_fma_f32 v[146:147], v[142:143], v[122:123], v[146:147] op_sel_hi:[1,1,0] neg_lo:[0,0,1] neg_hi:[0,0,1]
	v_pk_fma_f32 v[142:143], v[142:143], v[122:123], v[148:149] op_sel:[1,0,0] op_sel_hi:[0,1,0]
	s_delay_alu instid0(VALU_DEP_1) | instskip(SKIP_1) | instid1(VALU_DEP_2)
	v_mov_b32_e32 v147, v143
	v_pk_mul_f32 v[142:143], v[144:145], v[134:135] op_sel:[0,1]
	v_pk_add_f32 v[24:25], v[24:25], v[146:147] neg_lo:[0,1] neg_hi:[0,1]
	s_delay_alu instid0(VALU_DEP_2) | instskip(SKIP_1) | instid1(VALU_DEP_1)
	v_pk_fma_f32 v[146:147], v[144:145], v[132:133], v[142:143] op_sel:[0,0,1] op_sel_hi:[1,1,0] neg_lo:[0,0,1] neg_hi:[0,0,1]
	v_pk_fma_f32 v[142:143], v[144:145], v[132:133], v[142:143] op_sel:[0,0,1] op_sel_hi:[1,0,0]
	v_mov_b32_e32 v147, v143
	ds_load_2addr_b64 v[142:145], v136 offset0:44 offset1:45
	v_pk_add_f32 v[22:23], v[22:23], v[146:147] neg_lo:[0,1] neg_hi:[0,1]
	s_wait_dscnt 0x0
	v_pk_mul_f32 v[146:147], v[142:143], v[134:135] op_sel:[0,1]
	s_delay_alu instid0(VALU_DEP_1) | instskip(SKIP_1) | instid1(VALU_DEP_1)
	v_pk_fma_f32 v[148:149], v[142:143], v[132:133], v[146:147] op_sel:[0,0,1] op_sel_hi:[1,1,0] neg_lo:[0,0,1] neg_hi:[0,0,1]
	v_pk_fma_f32 v[142:143], v[142:143], v[132:133], v[146:147] op_sel:[0,0,1] op_sel_hi:[1,0,0]
	v_mov_b32_e32 v149, v143
	v_pk_mul_f32 v[142:143], v[144:145], v[134:135] op_sel:[0,1]
	s_delay_alu instid0(VALU_DEP_2) | instskip(NEXT) | instid1(VALU_DEP_2)
	v_pk_add_f32 v[80:81], v[80:81], v[148:149] neg_lo:[0,1] neg_hi:[0,1]
	v_pk_fma_f32 v[146:147], v[144:145], v[132:133], v[142:143] op_sel:[0,0,1] op_sel_hi:[1,1,0] neg_lo:[0,0,1] neg_hi:[0,0,1]
	v_pk_fma_f32 v[142:143], v[144:145], v[132:133], v[142:143] op_sel:[0,0,1] op_sel_hi:[1,0,0]
	s_delay_alu instid0(VALU_DEP_1) | instskip(SKIP_4) | instid1(VALU_DEP_1)
	v_mov_b32_e32 v147, v143
	ds_load_2addr_b64 v[142:145], v136 offset0:46 offset1:47
	v_pk_add_f32 v[78:79], v[78:79], v[146:147] neg_lo:[0,1] neg_hi:[0,1]
	s_wait_dscnt 0x0
	v_pk_mul_f32 v[146:147], v[142:143], v[134:135] op_sel:[0,1]
	v_pk_fma_f32 v[148:149], v[142:143], v[132:133], v[146:147] op_sel:[0,0,1] op_sel_hi:[1,1,0] neg_lo:[0,0,1] neg_hi:[0,0,1]
	v_pk_fma_f32 v[142:143], v[142:143], v[132:133], v[146:147] op_sel:[0,0,1] op_sel_hi:[1,0,0]
	v_dual_mul_f32 v146, v145, v135 :: v_dual_mov_b32 v142, v145
	s_delay_alu instid0(VALU_DEP_2) | instskip(NEXT) | instid1(VALU_DEP_2)
	v_dual_mov_b32 v149, v143 :: v_dual_mov_b32 v143, v144
	v_pk_fma_f32 v[146:147], v[144:145], v[122:123], v[146:147] op_sel_hi:[1,1,0] neg_lo:[0,0,1] neg_hi:[0,0,1]
	v_mul_f32_e32 v144, v145, v132
	s_delay_alu instid0(VALU_DEP_3) | instskip(NEXT) | instid1(VALU_DEP_2)
	v_pk_add_f32 v[20:21], v[20:21], v[148:149] neg_lo:[0,1] neg_hi:[0,1]
	v_pk_fma_f32 v[142:143], v[142:143], v[122:123], v[144:145] op_sel_hi:[1,1,0]
	s_delay_alu instid0(VALU_DEP_1) | instskip(SKIP_4) | instid1(VALU_DEP_1)
	v_mov_b32_e32 v147, v143
	ds_load_2addr_b64 v[142:145], v136 offset0:48 offset1:49
	v_pk_add_f32 v[18:19], v[18:19], v[146:147] neg_lo:[0,1] neg_hi:[0,1]
	s_wait_dscnt 0x0
	v_pk_mul_f32 v[146:147], v[142:143], v[134:135] op_sel:[0,1]
	v_pk_fma_f32 v[148:149], v[142:143], v[132:133], v[146:147] op_sel:[0,0,1] op_sel_hi:[1,1,0] neg_lo:[0,0,1] neg_hi:[0,0,1]
	v_pk_fma_f32 v[142:143], v[142:143], v[132:133], v[146:147] op_sel:[0,0,1] op_sel_hi:[1,0,0]
	s_delay_alu instid0(VALU_DEP_1) | instskip(SKIP_1) | instid1(VALU_DEP_1)
	v_mov_b32_e32 v149, v143
	v_pk_mul_f32 v[142:143], v[144:145], v[134:135] op_sel:[0,1]
	v_pk_fma_f32 v[146:147], v[144:145], v[132:133], v[142:143] op_sel:[0,0,1] op_sel_hi:[1,1,0] neg_lo:[0,0,1] neg_hi:[0,0,1]
	v_pk_fma_f32 v[142:143], v[144:145], v[132:133], v[142:143] op_sel:[0,0,1] op_sel_hi:[1,0,0]
	s_delay_alu instid0(VALU_DEP_1)
	v_mov_b32_e32 v147, v143
	ds_load_2addr_b64 v[142:145], v136 offset0:50 offset1:51
	v_pk_add_f32 v[76:77], v[76:77], v[148:149] neg_lo:[0,1] neg_hi:[0,1]
	v_pk_add_f32 v[74:75], v[74:75], v[146:147] neg_lo:[0,1] neg_hi:[0,1]
	s_wait_dscnt 0x0
	v_pk_mul_f32 v[146:147], v[142:143], v[134:135] op_sel:[0,1]
	s_delay_alu instid0(VALU_DEP_1) | instskip(SKIP_1) | instid1(VALU_DEP_1)
	v_pk_fma_f32 v[148:149], v[142:143], v[132:133], v[146:147] op_sel:[0,0,1] op_sel_hi:[1,1,0] neg_lo:[0,0,1] neg_hi:[0,0,1]
	v_pk_fma_f32 v[142:143], v[142:143], v[132:133], v[146:147] op_sel:[0,0,1] op_sel_hi:[1,0,0]
	v_mov_b32_e32 v149, v143
	v_pk_mul_f32 v[142:143], v[144:145], v[134:135] op_sel:[0,1]
	s_delay_alu instid0(VALU_DEP_1) | instskip(SKIP_1) | instid1(VALU_DEP_1)
	v_pk_fma_f32 v[146:147], v[144:145], v[132:133], v[142:143] op_sel:[0,0,1] op_sel_hi:[1,1,0] neg_lo:[0,0,1] neg_hi:[0,0,1]
	v_pk_fma_f32 v[142:143], v[144:145], v[132:133], v[142:143] op_sel:[0,0,1] op_sel_hi:[1,0,0]
	v_mov_b32_e32 v147, v143
	ds_load_2addr_b64 v[142:145], v136 offset0:52 offset1:53
	v_pk_add_f32 v[16:17], v[16:17], v[148:149] neg_lo:[0,1] neg_hi:[0,1]
	v_pk_add_f32 v[28:29], v[28:29], v[146:147] neg_lo:[0,1] neg_hi:[0,1]
	s_wait_dscnt 0x0
	v_dual_mul_f32 v146, v143, v135 :: v_dual_mul_f32 v148, v143, v132
	s_delay_alu instid0(VALU_DEP_1) | instskip(NEXT) | instid1(VALU_DEP_2)
	v_pk_fma_f32 v[146:147], v[142:143], v[122:123], v[146:147] op_sel_hi:[1,1,0] neg_lo:[0,0,1] neg_hi:[0,0,1]
	v_pk_fma_f32 v[142:143], v[142:143], v[122:123], v[148:149] op_sel:[1,0,0] op_sel_hi:[0,1,0]
	s_delay_alu instid0(VALU_DEP_1) | instskip(SKIP_1) | instid1(VALU_DEP_2)
	v_mov_b32_e32 v147, v143
	v_pk_mul_f32 v[142:143], v[144:145], v[134:135] op_sel:[0,1]
	v_pk_add_f32 v[68:69], v[68:69], v[146:147] neg_lo:[0,1] neg_hi:[0,1]
	s_delay_alu instid0(VALU_DEP_2) | instskip(SKIP_1) | instid1(VALU_DEP_1)
	v_pk_fma_f32 v[146:147], v[144:145], v[132:133], v[142:143] op_sel:[0,0,1] op_sel_hi:[1,1,0] neg_lo:[0,0,1] neg_hi:[0,0,1]
	v_pk_fma_f32 v[142:143], v[144:145], v[132:133], v[142:143] op_sel:[0,0,1] op_sel_hi:[1,0,0]
	v_mov_b32_e32 v147, v143
	ds_load_2addr_b64 v[142:145], v136 offset0:54 offset1:55
	v_pk_add_f32 v[66:67], v[66:67], v[146:147] neg_lo:[0,1] neg_hi:[0,1]
	s_wait_dscnt 0x0
	v_pk_mul_f32 v[146:147], v[142:143], v[134:135] op_sel:[0,1]
	s_delay_alu instid0(VALU_DEP_1) | instskip(SKIP_1) | instid1(VALU_DEP_1)
	v_pk_fma_f32 v[148:149], v[142:143], v[132:133], v[146:147] op_sel:[0,0,1] op_sel_hi:[1,1,0] neg_lo:[0,0,1] neg_hi:[0,0,1]
	v_pk_fma_f32 v[142:143], v[142:143], v[132:133], v[146:147] op_sel:[0,0,1] op_sel_hi:[1,0,0]
	v_mov_b32_e32 v149, v143
	v_pk_mul_f32 v[142:143], v[144:145], v[134:135] op_sel:[0,1]
	s_delay_alu instid0(VALU_DEP_2) | instskip(NEXT) | instid1(VALU_DEP_2)
	v_pk_add_f32 v[10:11], v[10:11], v[148:149] neg_lo:[0,1] neg_hi:[0,1]
	v_pk_fma_f32 v[146:147], v[144:145], v[132:133], v[142:143] op_sel:[0,0,1] op_sel_hi:[1,1,0] neg_lo:[0,0,1] neg_hi:[0,0,1]
	v_pk_fma_f32 v[142:143], v[144:145], v[132:133], v[142:143] op_sel:[0,0,1] op_sel_hi:[1,0,0]
	s_delay_alu instid0(VALU_DEP_1) | instskip(SKIP_4) | instid1(VALU_DEP_1)
	v_mov_b32_e32 v147, v143
	ds_load_2addr_b64 v[142:145], v136 offset0:56 offset1:57
	v_pk_add_f32 v[8:9], v[8:9], v[146:147] neg_lo:[0,1] neg_hi:[0,1]
	s_wait_dscnt 0x0
	v_pk_mul_f32 v[146:147], v[142:143], v[134:135] op_sel:[0,1]
	v_pk_fma_f32 v[148:149], v[142:143], v[132:133], v[146:147] op_sel:[0,0,1] op_sel_hi:[1,1,0] neg_lo:[0,0,1] neg_hi:[0,0,1]
	v_pk_fma_f32 v[142:143], v[142:143], v[132:133], v[146:147] op_sel:[0,0,1] op_sel_hi:[1,0,0]
	v_dual_mul_f32 v146, v145, v135 :: v_dual_mov_b32 v142, v145
	s_delay_alu instid0(VALU_DEP_2) | instskip(NEXT) | instid1(VALU_DEP_2)
	v_dual_mov_b32 v149, v143 :: v_dual_mov_b32 v143, v144
	v_pk_fma_f32 v[146:147], v[144:145], v[122:123], v[146:147] op_sel_hi:[1,1,0] neg_lo:[0,0,1] neg_hi:[0,0,1]
	v_mul_f32_e32 v144, v145, v132
	s_delay_alu instid0(VALU_DEP_3) | instskip(NEXT) | instid1(VALU_DEP_2)
	v_pk_add_f32 v[34:35], v[34:35], v[148:149] neg_lo:[0,1] neg_hi:[0,1]
	v_pk_fma_f32 v[142:143], v[142:143], v[122:123], v[144:145] op_sel_hi:[1,1,0]
	s_delay_alu instid0(VALU_DEP_1) | instskip(SKIP_4) | instid1(VALU_DEP_1)
	v_mov_b32_e32 v147, v143
	ds_load_2addr_b64 v[142:145], v136 offset0:58 offset1:59
	v_pk_add_f32 v[30:31], v[30:31], v[146:147] neg_lo:[0,1] neg_hi:[0,1]
	s_wait_dscnt 0x0
	v_pk_mul_f32 v[146:147], v[142:143], v[134:135] op_sel:[0,1]
	v_pk_fma_f32 v[148:149], v[142:143], v[132:133], v[146:147] op_sel:[0,0,1] op_sel_hi:[1,1,0] neg_lo:[0,0,1] neg_hi:[0,0,1]
	v_pk_fma_f32 v[142:143], v[142:143], v[132:133], v[146:147] op_sel:[0,0,1] op_sel_hi:[1,0,0]
	s_delay_alu instid0(VALU_DEP_1) | instskip(SKIP_1) | instid1(VALU_DEP_1)
	v_mov_b32_e32 v149, v143
	v_pk_mul_f32 v[142:143], v[144:145], v[134:135] op_sel:[0,1]
	v_pk_fma_f32 v[146:147], v[144:145], v[132:133], v[142:143] op_sel:[0,0,1] op_sel_hi:[1,1,0] neg_lo:[0,0,1] neg_hi:[0,0,1]
	v_pk_fma_f32 v[142:143], v[144:145], v[132:133], v[142:143] op_sel:[0,0,1] op_sel_hi:[1,0,0]
	s_delay_alu instid0(VALU_DEP_1)
	v_mov_b32_e32 v147, v143
	ds_load_2addr_b64 v[142:145], v136 offset0:60 offset1:61
	v_pk_add_f32 v[6:7], v[6:7], v[148:149] neg_lo:[0,1] neg_hi:[0,1]
	v_pk_add_f32 v[26:27], v[26:27], v[146:147] neg_lo:[0,1] neg_hi:[0,1]
	s_wait_dscnt 0x0
	v_pk_mul_f32 v[146:147], v[142:143], v[134:135] op_sel:[0,1]
	s_delay_alu instid0(VALU_DEP_1) | instskip(SKIP_1) | instid1(VALU_DEP_1)
	v_pk_fma_f32 v[148:149], v[142:143], v[132:133], v[146:147] op_sel:[0,0,1] op_sel_hi:[1,1,0] neg_lo:[0,0,1] neg_hi:[0,0,1]
	v_pk_fma_f32 v[142:143], v[142:143], v[132:133], v[146:147] op_sel:[0,0,1] op_sel_hi:[1,0,0]
	v_mov_b32_e32 v149, v143
	v_pk_mul_f32 v[142:143], v[144:145], v[134:135] op_sel:[0,1]
	s_delay_alu instid0(VALU_DEP_1) | instskip(SKIP_1) | instid1(VALU_DEP_1)
	v_pk_fma_f32 v[146:147], v[144:145], v[132:133], v[142:143] op_sel:[0,0,1] op_sel_hi:[1,1,0] neg_lo:[0,0,1] neg_hi:[0,0,1]
	v_pk_fma_f32 v[142:143], v[144:145], v[132:133], v[142:143] op_sel:[0,0,1] op_sel_hi:[1,0,0]
	v_mov_b32_e32 v147, v143
	ds_load_b64 v[142:143], v136 offset:496
	v_pk_add_f32 v[14:15], v[14:15], v[148:149] neg_lo:[0,1] neg_hi:[0,1]
	v_pk_add_f32 v[12:13], v[12:13], v[146:147] neg_lo:[0,1] neg_hi:[0,1]
	s_wait_dscnt 0x0
	v_pk_mul_f32 v[134:135], v[142:143], v[134:135] op_sel:[0,1]
	s_delay_alu instid0(VALU_DEP_1) | instskip(SKIP_1) | instid1(VALU_DEP_1)
	v_pk_fma_f32 v[144:145], v[142:143], v[132:133], v[134:135] op_sel:[0,0,1] op_sel_hi:[1,1,0] neg_lo:[0,0,1] neg_hi:[0,0,1]
	v_pk_fma_f32 v[132:133], v[142:143], v[132:133], v[134:135] op_sel:[0,0,1] op_sel_hi:[1,0,0]
	v_mov_b32_e32 v145, v133
	s_delay_alu instid0(VALU_DEP_1)
	v_pk_add_f32 v[130:131], v[130:131], v[144:145] neg_lo:[0,1] neg_hi:[0,1]
.LBB124_83:
	s_or_b32 exec_lo, exec_lo, s0
	v_lshl_add_u32 v132, v140, 3, v136
	s_barrier_signal -1
	s_barrier_wait -1
	ds_store_b64 v132, v[120:121]
	s_wait_dscnt 0x0
	s_barrier_signal -1
	s_barrier_wait -1
	ds_load_b64 v[134:135], v136 offset:32
	v_mov_b32_e32 v132, 4
	s_cmp_lt_i32 s18, 6
	s_cbranch_scc1 .LBB124_86
; %bb.84:
	v_add3_u32 v133, v137, 0, 40
	v_mov_b32_e32 v132, 4
	s_mov_b32 s0, 5
.LBB124_85:                             ; =>This Inner Loop Header: Depth=1
	ds_load_b64 v[142:143], v133
	s_wait_dscnt 0x1
	v_cmp_gt_f32_e32 vcc_lo, 0, v134
	v_cndmask_b32_e64 v144, v134, -v134, vcc_lo
	v_cmp_gt_f32_e32 vcc_lo, 0, v135
	v_cndmask_b32_e64 v146, v135, -v135, vcc_lo
	s_wait_dscnt 0x0
	v_cmp_gt_f32_e32 vcc_lo, 0, v142
	v_cndmask_b32_e64 v145, v142, -v142, vcc_lo
	v_cmp_gt_f32_e32 vcc_lo, 0, v143
	v_cndmask_b32_e64 v147, v143, -v143, vcc_lo
	s_delay_alu instid0(VALU_DEP_1) | instskip(NEXT) | instid1(VALU_DEP_1)
	v_pk_add_f32 v[144:145], v[144:145], v[146:147]
	v_cmp_lt_f32_e32 vcc_lo, v144, v145
	v_dual_add_nc_u32 v133, 8, v133 :: v_dual_cndmask_b32 v135, v135, v143, vcc_lo
	v_cndmask_b32_e32 v134, v134, v142, vcc_lo
	v_cndmask_b32_e64 v132, v132, s0, vcc_lo
	s_add_co_i32 s0, s0, 1
	s_delay_alu instid0(SALU_CYCLE_1)
	s_cmp_lg_u32 s18, s0
	s_cbranch_scc1 .LBB124_85
.LBB124_86:
	s_wait_dscnt 0x0
	v_cmp_eq_f32_e32 vcc_lo, 0, v134
	v_cmp_eq_f32_e64 s0, 0, v135
	s_and_b32 s0, vcc_lo, s0
	s_delay_alu instid0(SALU_CYCLE_1) | instskip(NEXT) | instid1(SALU_CYCLE_1)
	s_and_saveexec_b32 s1, s0
	s_xor_b32 s0, exec_lo, s1
; %bb.87:
	v_cmp_ne_u32_e32 vcc_lo, 0, v138
	v_cndmask_b32_e32 v138, 5, v138, vcc_lo
; %bb.88:
	s_and_not1_saveexec_b32 s0, s0
	s_cbranch_execz .LBB124_94
; %bb.89:
	v_cmp_ngt_f32_e64 s1, |v134|, |v135|
	s_and_saveexec_b32 s12, s1
	s_delay_alu instid0(SALU_CYCLE_1)
	s_xor_b32 s1, exec_lo, s12
	s_cbranch_execz .LBB124_91
; %bb.90:
	v_div_scale_f32 v133, null, v135, v135, v134
	v_div_scale_f32 v143, vcc_lo, v134, v135, v134
	s_delay_alu instid0(VALU_DEP_2) | instskip(SKIP_1) | instid1(TRANS32_DEP_1)
	v_rcp_f32_e32 v141, v133
	v_nop
	v_fma_f32 v142, -v133, v141, 1.0
	s_delay_alu instid0(VALU_DEP_1) | instskip(NEXT) | instid1(VALU_DEP_1)
	v_fmac_f32_e32 v141, v142, v141
	v_mul_f32_e32 v142, v143, v141
	s_delay_alu instid0(VALU_DEP_1) | instskip(NEXT) | instid1(VALU_DEP_1)
	v_fma_f32 v144, -v133, v142, v143
	v_fmac_f32_e32 v142, v144, v141
	s_delay_alu instid0(VALU_DEP_1) | instskip(NEXT) | instid1(VALU_DEP_1)
	v_fma_f32 v133, -v133, v142, v143
	v_div_fmas_f32 v133, v133, v141, v142
	s_delay_alu instid0(VALU_DEP_1) | instskip(NEXT) | instid1(VALU_DEP_1)
	v_div_fixup_f32 v133, v133, v135, v134
	v_fmac_f32_e32 v135, v134, v133
	s_delay_alu instid0(VALU_DEP_1) | instskip(SKIP_1) | instid1(VALU_DEP_2)
	v_div_scale_f32 v134, null, v135, v135, 1.0
	v_div_scale_f32 v143, vcc_lo, 1.0, v135, 1.0
	v_rcp_f32_e32 v141, v134
	v_nop
	s_delay_alu instid0(TRANS32_DEP_1) | instskip(NEXT) | instid1(VALU_DEP_1)
	v_fma_f32 v142, -v134, v141, 1.0
	v_fmac_f32_e32 v141, v142, v141
	s_delay_alu instid0(VALU_DEP_1) | instskip(NEXT) | instid1(VALU_DEP_1)
	v_mul_f32_e32 v142, v143, v141
	v_fma_f32 v144, -v134, v142, v143
	s_delay_alu instid0(VALU_DEP_1) | instskip(NEXT) | instid1(VALU_DEP_1)
	v_fmac_f32_e32 v142, v144, v141
	v_fma_f32 v134, -v134, v142, v143
	s_delay_alu instid0(VALU_DEP_1) | instskip(NEXT) | instid1(VALU_DEP_1)
	v_div_fmas_f32 v134, v134, v141, v142
	v_div_fixup_f32 v135, v134, v135, 1.0
	s_delay_alu instid0(VALU_DEP_1)
	v_mul_f32_e32 v134, v133, v135
	v_xor_b32_e32 v135, 0x80000000, v135
.LBB124_91:
	s_and_not1_saveexec_b32 s1, s1
	s_cbranch_execz .LBB124_93
; %bb.92:
	s_delay_alu instid0(VALU_DEP_1) | instskip(SKIP_1) | instid1(VALU_DEP_2)
	v_div_scale_f32 v133, null, v134, v134, v135
	v_div_scale_f32 v143, vcc_lo, v135, v134, v135
	v_rcp_f32_e32 v141, v133
	v_nop
	s_delay_alu instid0(TRANS32_DEP_1) | instskip(NEXT) | instid1(VALU_DEP_1)
	v_fma_f32 v142, -v133, v141, 1.0
	v_fmac_f32_e32 v141, v142, v141
	s_delay_alu instid0(VALU_DEP_1) | instskip(NEXT) | instid1(VALU_DEP_1)
	v_mul_f32_e32 v142, v143, v141
	v_fma_f32 v144, -v133, v142, v143
	s_delay_alu instid0(VALU_DEP_1) | instskip(NEXT) | instid1(VALU_DEP_1)
	v_fmac_f32_e32 v142, v144, v141
	v_fma_f32 v133, -v133, v142, v143
	s_delay_alu instid0(VALU_DEP_1) | instskip(NEXT) | instid1(VALU_DEP_1)
	v_div_fmas_f32 v133, v133, v141, v142
	v_div_fixup_f32 v133, v133, v134, v135
	s_delay_alu instid0(VALU_DEP_1) | instskip(NEXT) | instid1(VALU_DEP_1)
	v_fmac_f32_e32 v134, v135, v133
	v_div_scale_f32 v135, null, v134, v134, 1.0
	s_delay_alu instid0(VALU_DEP_1) | instskip(SKIP_1) | instid1(TRANS32_DEP_1)
	v_rcp_f32_e32 v141, v135
	v_nop
	v_fma_f32 v142, -v135, v141, 1.0
	s_delay_alu instid0(VALU_DEP_1) | instskip(SKIP_1) | instid1(VALU_DEP_1)
	v_fmac_f32_e32 v141, v142, v141
	v_div_scale_f32 v142, vcc_lo, 1.0, v134, 1.0
	v_mul_f32_e32 v143, v142, v141
	s_delay_alu instid0(VALU_DEP_1) | instskip(NEXT) | instid1(VALU_DEP_1)
	v_fma_f32 v144, -v135, v143, v142
	v_fmac_f32_e32 v143, v144, v141
	s_delay_alu instid0(VALU_DEP_1) | instskip(NEXT) | instid1(VALU_DEP_1)
	v_fma_f32 v135, -v135, v143, v142
	v_div_fmas_f32 v135, v135, v141, v143
	s_delay_alu instid0(VALU_DEP_1) | instskip(NEXT) | instid1(VALU_DEP_1)
	v_div_fixup_f32 v134, v135, v134, 1.0
	v_mul_f32_e64 v135, v133, -v134
.LBB124_93:
	s_or_b32 exec_lo, exec_lo, s1
.LBB124_94:
	s_delay_alu instid0(SALU_CYCLE_1) | instskip(NEXT) | instid1(SALU_CYCLE_1)
	s_or_b32 exec_lo, exec_lo, s0
	s_mov_b32 s0, exec_lo
	v_cmpx_ne_u32_e64 v140, v132
	s_xor_b32 s0, exec_lo, s0
	s_cbranch_execz .LBB124_100
; %bb.95:
	s_mov_b32 s1, exec_lo
	v_cmpx_eq_u32_e32 4, v140
	s_cbranch_execz .LBB124_99
; %bb.96:
	v_cmp_ne_u32_e32 vcc_lo, 4, v132
	s_xor_b32 s12, s16, -1
	s_delay_alu instid0(SALU_CYCLE_1) | instskip(NEXT) | instid1(SALU_CYCLE_1)
	s_and_b32 s13, s12, vcc_lo
	s_and_saveexec_b32 s12, s13
	s_cbranch_execz .LBB124_98
; %bb.97:
	v_ashrrev_i32_e32 v133, 31, v132
	s_delay_alu instid0(VALU_DEP_1)
	v_lshl_add_u64 v[140:141], v[132:133], 2, v[4:5]
	s_clause 0x1
	global_load_b32 v133, v[140:141], off
	global_load_b32 v139, v[4:5], off offset:16
	s_wait_loadcnt 0x1
	global_store_b32 v[4:5], v133, off offset:16
	s_wait_loadcnt 0x0
	global_store_b32 v[140:141], v139, off
.LBB124_98:
	s_wait_xcnt 0x0
	s_or_b32 exec_lo, exec_lo, s12
	v_dual_mov_b32 v140, v132 :: v_dual_mov_b32 v139, v132
.LBB124_99:
	s_or_b32 exec_lo, exec_lo, s1
.LBB124_100:
	s_and_not1_saveexec_b32 s0, s0
	s_cbranch_execz .LBB124_102
; %bb.101:
	v_mov_b32_e32 v140, 4
	ds_store_2addr_b64 v136, v[118:119], v[72:73] offset0:5 offset1:6
	ds_store_2addr_b64 v136, v[70:71], v[116:117] offset0:7 offset1:8
	;; [unrolled: 1-line block ×29, first 2 shown]
.LBB124_102:
	s_or_b32 exec_lo, exec_lo, s0
	s_delay_alu instid0(SALU_CYCLE_1)
	s_mov_b32 s0, exec_lo
	s_wait_storecnt_dscnt 0x0
	s_barrier_signal -1
	s_barrier_wait -1
	v_cmpx_lt_i32_e32 4, v140
	s_cbranch_execz .LBB124_104
; %bb.103:
	v_pk_mul_f32 v[142:143], v[134:135], v[120:121] op_sel:[1,1] op_sel_hi:[0,1]
	s_delay_alu instid0(VALU_DEP_1)
	v_pk_fma_f32 v[132:133], v[134:135], v[120:121], v[142:143] op_sel_hi:[1,0,1] neg_lo:[0,0,1] neg_hi:[0,0,1]
	v_pk_fma_f32 v[134:135], v[134:135], v[120:121], v[142:143] op_sel_hi:[1,0,1]
	ds_load_2addr_b64 v[142:145], v136 offset0:5 offset1:6
	v_dual_mov_b32 v120, v132 :: v_dual_mov_b32 v121, v135
	s_wait_dscnt 0x0
	v_pk_mul_f32 v[146:147], v[142:143], v[134:135] op_sel:[0,1]
	s_delay_alu instid0(VALU_DEP_1) | instskip(SKIP_1) | instid1(VALU_DEP_1)
	v_pk_fma_f32 v[148:149], v[142:143], v[132:133], v[146:147] op_sel:[0,0,1] op_sel_hi:[1,1,0] neg_lo:[0,0,1] neg_hi:[0,0,1]
	v_pk_fma_f32 v[142:143], v[142:143], v[132:133], v[146:147] op_sel:[0,0,1] op_sel_hi:[1,0,0]
	v_mov_b32_e32 v149, v143
	v_pk_mul_f32 v[142:143], v[144:145], v[134:135] op_sel:[0,1]
	s_delay_alu instid0(VALU_DEP_1) | instskip(SKIP_1) | instid1(VALU_DEP_1)
	v_pk_fma_f32 v[146:147], v[144:145], v[132:133], v[142:143] op_sel:[0,0,1] op_sel_hi:[1,1,0] neg_lo:[0,0,1] neg_hi:[0,0,1]
	v_pk_fma_f32 v[142:143], v[144:145], v[132:133], v[142:143] op_sel:[0,0,1] op_sel_hi:[1,0,0]
	v_mov_b32_e32 v147, v143
	ds_load_2addr_b64 v[142:145], v136 offset0:7 offset1:8
	v_pk_add_f32 v[118:119], v[118:119], v[148:149] neg_lo:[0,1] neg_hi:[0,1]
	v_pk_add_f32 v[72:73], v[72:73], v[146:147] neg_lo:[0,1] neg_hi:[0,1]
	s_wait_dscnt 0x0
	v_pk_mul_f32 v[146:147], v[142:143], v[134:135] op_sel:[0,1]
	s_delay_alu instid0(VALU_DEP_1) | instskip(SKIP_2) | instid1(VALU_DEP_2)
	v_pk_fma_f32 v[148:149], v[142:143], v[132:133], v[146:147] op_sel:[0,0,1] op_sel_hi:[1,1,0] neg_lo:[0,0,1] neg_hi:[0,0,1]
	v_pk_fma_f32 v[142:143], v[142:143], v[132:133], v[146:147] op_sel:[0,0,1] op_sel_hi:[1,0,0]
	v_dual_mul_f32 v146, v145, v135 :: v_dual_mov_b32 v142, v145
	v_dual_mov_b32 v149, v143 :: v_dual_mov_b32 v143, v144
	s_delay_alu instid0(VALU_DEP_2) | instskip(SKIP_1) | instid1(VALU_DEP_3)
	v_pk_fma_f32 v[146:147], v[144:145], v[120:121], v[146:147] op_sel_hi:[1,1,0] neg_lo:[0,0,1] neg_hi:[0,0,1]
	v_mul_f32_e32 v144, v145, v132
	v_pk_add_f32 v[70:71], v[70:71], v[148:149] neg_lo:[0,1] neg_hi:[0,1]
	s_delay_alu instid0(VALU_DEP_2) | instskip(NEXT) | instid1(VALU_DEP_1)
	v_pk_fma_f32 v[142:143], v[142:143], v[120:121], v[144:145] op_sel_hi:[1,1,0]
	v_mov_b32_e32 v147, v143
	ds_load_2addr_b64 v[142:145], v136 offset0:9 offset1:10
	v_pk_add_f32 v[116:117], v[116:117], v[146:147] neg_lo:[0,1] neg_hi:[0,1]
	s_wait_dscnt 0x0
	v_pk_mul_f32 v[146:147], v[142:143], v[134:135] op_sel:[0,1]
	s_delay_alu instid0(VALU_DEP_1) | instskip(SKIP_1) | instid1(VALU_DEP_1)
	v_pk_fma_f32 v[148:149], v[142:143], v[132:133], v[146:147] op_sel:[0,0,1] op_sel_hi:[1,1,0] neg_lo:[0,0,1] neg_hi:[0,0,1]
	v_pk_fma_f32 v[142:143], v[142:143], v[132:133], v[146:147] op_sel:[0,0,1] op_sel_hi:[1,0,0]
	v_mov_b32_e32 v149, v143
	v_pk_mul_f32 v[142:143], v[144:145], v[134:135] op_sel:[0,1]
	s_delay_alu instid0(VALU_DEP_1) | instskip(SKIP_1) | instid1(VALU_DEP_1)
	v_pk_fma_f32 v[146:147], v[144:145], v[132:133], v[142:143] op_sel:[0,0,1] op_sel_hi:[1,1,0] neg_lo:[0,0,1] neg_hi:[0,0,1]
	v_pk_fma_f32 v[142:143], v[144:145], v[132:133], v[142:143] op_sel:[0,0,1] op_sel_hi:[1,0,0]
	v_mov_b32_e32 v147, v143
	ds_load_2addr_b64 v[142:145], v136 offset0:11 offset1:12
	v_pk_add_f32 v[114:115], v[114:115], v[148:149] neg_lo:[0,1] neg_hi:[0,1]
	v_pk_add_f32 v[64:65], v[64:65], v[146:147] neg_lo:[0,1] neg_hi:[0,1]
	s_wait_dscnt 0x0
	v_pk_mul_f32 v[146:147], v[142:143], v[134:135] op_sel:[0,1]
	s_delay_alu instid0(VALU_DEP_1) | instskip(SKIP_1) | instid1(VALU_DEP_1)
	v_pk_fma_f32 v[148:149], v[142:143], v[132:133], v[146:147] op_sel:[0,0,1] op_sel_hi:[1,1,0] neg_lo:[0,0,1] neg_hi:[0,0,1]
	v_pk_fma_f32 v[142:143], v[142:143], v[132:133], v[146:147] op_sel:[0,0,1] op_sel_hi:[1,0,0]
	v_mov_b32_e32 v149, v143
	v_pk_mul_f32 v[142:143], v[144:145], v[134:135] op_sel:[0,1]
	s_delay_alu instid0(VALU_DEP_1) | instskip(SKIP_1) | instid1(VALU_DEP_1)
	v_pk_fma_f32 v[146:147], v[144:145], v[132:133], v[142:143] op_sel:[0,0,1] op_sel_hi:[1,1,0] neg_lo:[0,0,1] neg_hi:[0,0,1]
	v_pk_fma_f32 v[142:143], v[144:145], v[132:133], v[142:143] op_sel:[0,0,1] op_sel_hi:[1,0,0]
	v_mov_b32_e32 v147, v143
	ds_load_2addr_b64 v[142:145], v136 offset0:13 offset1:14
	v_pk_add_f32 v[62:63], v[62:63], v[148:149] neg_lo:[0,1] neg_hi:[0,1]
	v_pk_add_f32 v[112:113], v[112:113], v[146:147] neg_lo:[0,1] neg_hi:[0,1]
	s_wait_dscnt 0x0
	v_dual_mul_f32 v146, v143, v135 :: v_dual_mul_f32 v148, v143, v132
	s_delay_alu instid0(VALU_DEP_1) | instskip(NEXT) | instid1(VALU_DEP_2)
	v_pk_fma_f32 v[146:147], v[142:143], v[120:121], v[146:147] op_sel_hi:[1,1,0] neg_lo:[0,0,1] neg_hi:[0,0,1]
	v_pk_fma_f32 v[142:143], v[142:143], v[120:121], v[148:149] op_sel:[1,0,0] op_sel_hi:[0,1,0]
	s_delay_alu instid0(VALU_DEP_1) | instskip(SKIP_1) | instid1(VALU_DEP_2)
	v_mov_b32_e32 v147, v143
	v_pk_mul_f32 v[142:143], v[144:145], v[134:135] op_sel:[0,1]
	v_pk_add_f32 v[110:111], v[110:111], v[146:147] neg_lo:[0,1] neg_hi:[0,1]
	s_delay_alu instid0(VALU_DEP_2) | instskip(SKIP_1) | instid1(VALU_DEP_1)
	v_pk_fma_f32 v[146:147], v[144:145], v[132:133], v[142:143] op_sel:[0,0,1] op_sel_hi:[1,1,0] neg_lo:[0,0,1] neg_hi:[0,0,1]
	v_pk_fma_f32 v[142:143], v[144:145], v[132:133], v[142:143] op_sel:[0,0,1] op_sel_hi:[1,0,0]
	v_mov_b32_e32 v147, v143
	ds_load_2addr_b64 v[142:145], v136 offset0:15 offset1:16
	v_pk_add_f32 v[60:61], v[60:61], v[146:147] neg_lo:[0,1] neg_hi:[0,1]
	s_wait_dscnt 0x0
	v_pk_mul_f32 v[146:147], v[142:143], v[134:135] op_sel:[0,1]
	s_delay_alu instid0(VALU_DEP_1) | instskip(SKIP_1) | instid1(VALU_DEP_1)
	v_pk_fma_f32 v[148:149], v[142:143], v[132:133], v[146:147] op_sel:[0,0,1] op_sel_hi:[1,1,0] neg_lo:[0,0,1] neg_hi:[0,0,1]
	v_pk_fma_f32 v[142:143], v[142:143], v[132:133], v[146:147] op_sel:[0,0,1] op_sel_hi:[1,0,0]
	v_mov_b32_e32 v149, v143
	v_pk_mul_f32 v[142:143], v[144:145], v[134:135] op_sel:[0,1]
	s_delay_alu instid0(VALU_DEP_2) | instskip(NEXT) | instid1(VALU_DEP_2)
	v_pk_add_f32 v[58:59], v[58:59], v[148:149] neg_lo:[0,1] neg_hi:[0,1]
	v_pk_fma_f32 v[146:147], v[144:145], v[132:133], v[142:143] op_sel:[0,0,1] op_sel_hi:[1,1,0] neg_lo:[0,0,1] neg_hi:[0,0,1]
	v_pk_fma_f32 v[142:143], v[144:145], v[132:133], v[142:143] op_sel:[0,0,1] op_sel_hi:[1,0,0]
	s_delay_alu instid0(VALU_DEP_1) | instskip(SKIP_4) | instid1(VALU_DEP_1)
	v_mov_b32_e32 v147, v143
	ds_load_2addr_b64 v[142:145], v136 offset0:17 offset1:18
	v_pk_add_f32 v[108:109], v[108:109], v[146:147] neg_lo:[0,1] neg_hi:[0,1]
	s_wait_dscnt 0x0
	v_pk_mul_f32 v[146:147], v[142:143], v[134:135] op_sel:[0,1]
	v_pk_fma_f32 v[148:149], v[142:143], v[132:133], v[146:147] op_sel:[0,0,1] op_sel_hi:[1,1,0] neg_lo:[0,0,1] neg_hi:[0,0,1]
	v_pk_fma_f32 v[142:143], v[142:143], v[132:133], v[146:147] op_sel:[0,0,1] op_sel_hi:[1,0,0]
	v_dual_mul_f32 v146, v145, v135 :: v_dual_mov_b32 v142, v145
	s_delay_alu instid0(VALU_DEP_2) | instskip(NEXT) | instid1(VALU_DEP_2)
	v_dual_mov_b32 v149, v143 :: v_dual_mov_b32 v143, v144
	v_pk_fma_f32 v[146:147], v[144:145], v[120:121], v[146:147] op_sel_hi:[1,1,0] neg_lo:[0,0,1] neg_hi:[0,0,1]
	v_mul_f32_e32 v144, v145, v132
	s_delay_alu instid0(VALU_DEP_3) | instskip(NEXT) | instid1(VALU_DEP_2)
	v_pk_add_f32 v[106:107], v[106:107], v[148:149] neg_lo:[0,1] neg_hi:[0,1]
	v_pk_fma_f32 v[142:143], v[142:143], v[120:121], v[144:145] op_sel_hi:[1,1,0]
	s_delay_alu instid0(VALU_DEP_1) | instskip(SKIP_4) | instid1(VALU_DEP_1)
	v_mov_b32_e32 v147, v143
	ds_load_2addr_b64 v[142:145], v136 offset0:19 offset1:20
	v_pk_add_f32 v[56:57], v[56:57], v[146:147] neg_lo:[0,1] neg_hi:[0,1]
	s_wait_dscnt 0x0
	v_pk_mul_f32 v[146:147], v[142:143], v[134:135] op_sel:[0,1]
	v_pk_fma_f32 v[148:149], v[142:143], v[132:133], v[146:147] op_sel:[0,0,1] op_sel_hi:[1,1,0] neg_lo:[0,0,1] neg_hi:[0,0,1]
	v_pk_fma_f32 v[142:143], v[142:143], v[132:133], v[146:147] op_sel:[0,0,1] op_sel_hi:[1,0,0]
	s_delay_alu instid0(VALU_DEP_1) | instskip(SKIP_1) | instid1(VALU_DEP_1)
	v_mov_b32_e32 v149, v143
	v_pk_mul_f32 v[142:143], v[144:145], v[134:135] op_sel:[0,1]
	v_pk_fma_f32 v[146:147], v[144:145], v[132:133], v[142:143] op_sel:[0,0,1] op_sel_hi:[1,1,0] neg_lo:[0,0,1] neg_hi:[0,0,1]
	v_pk_fma_f32 v[142:143], v[144:145], v[132:133], v[142:143] op_sel:[0,0,1] op_sel_hi:[1,0,0]
	s_delay_alu instid0(VALU_DEP_1)
	v_mov_b32_e32 v147, v143
	ds_load_2addr_b64 v[142:145], v136 offset0:21 offset1:22
	v_pk_add_f32 v[54:55], v[54:55], v[148:149] neg_lo:[0,1] neg_hi:[0,1]
	v_pk_add_f32 v[104:105], v[104:105], v[146:147] neg_lo:[0,1] neg_hi:[0,1]
	s_wait_dscnt 0x0
	v_pk_mul_f32 v[146:147], v[142:143], v[134:135] op_sel:[0,1]
	s_delay_alu instid0(VALU_DEP_1) | instskip(SKIP_1) | instid1(VALU_DEP_1)
	v_pk_fma_f32 v[148:149], v[142:143], v[132:133], v[146:147] op_sel:[0,0,1] op_sel_hi:[1,1,0] neg_lo:[0,0,1] neg_hi:[0,0,1]
	v_pk_fma_f32 v[142:143], v[142:143], v[132:133], v[146:147] op_sel:[0,0,1] op_sel_hi:[1,0,0]
	v_mov_b32_e32 v149, v143
	v_pk_mul_f32 v[142:143], v[144:145], v[134:135] op_sel:[0,1]
	s_delay_alu instid0(VALU_DEP_1) | instskip(SKIP_1) | instid1(VALU_DEP_1)
	v_pk_fma_f32 v[146:147], v[144:145], v[132:133], v[142:143] op_sel:[0,0,1] op_sel_hi:[1,1,0] neg_lo:[0,0,1] neg_hi:[0,0,1]
	v_pk_fma_f32 v[142:143], v[144:145], v[132:133], v[142:143] op_sel:[0,0,1] op_sel_hi:[1,0,0]
	v_mov_b32_e32 v147, v143
	ds_load_2addr_b64 v[142:145], v136 offset0:23 offset1:24
	v_pk_add_f32 v[102:103], v[102:103], v[148:149] neg_lo:[0,1] neg_hi:[0,1]
	v_pk_add_f32 v[52:53], v[52:53], v[146:147] neg_lo:[0,1] neg_hi:[0,1]
	s_wait_dscnt 0x0
	v_dual_mul_f32 v146, v143, v135 :: v_dual_mul_f32 v148, v143, v132
	s_delay_alu instid0(VALU_DEP_1) | instskip(NEXT) | instid1(VALU_DEP_2)
	v_pk_fma_f32 v[146:147], v[142:143], v[120:121], v[146:147] op_sel_hi:[1,1,0] neg_lo:[0,0,1] neg_hi:[0,0,1]
	v_pk_fma_f32 v[142:143], v[142:143], v[120:121], v[148:149] op_sel:[1,0,0] op_sel_hi:[0,1,0]
	s_delay_alu instid0(VALU_DEP_1) | instskip(SKIP_1) | instid1(VALU_DEP_2)
	v_mov_b32_e32 v147, v143
	v_pk_mul_f32 v[142:143], v[144:145], v[134:135] op_sel:[0,1]
	v_pk_add_f32 v[50:51], v[50:51], v[146:147] neg_lo:[0,1] neg_hi:[0,1]
	s_delay_alu instid0(VALU_DEP_2) | instskip(SKIP_1) | instid1(VALU_DEP_1)
	v_pk_fma_f32 v[146:147], v[144:145], v[132:133], v[142:143] op_sel:[0,0,1] op_sel_hi:[1,1,0] neg_lo:[0,0,1] neg_hi:[0,0,1]
	v_pk_fma_f32 v[142:143], v[144:145], v[132:133], v[142:143] op_sel:[0,0,1] op_sel_hi:[1,0,0]
	v_mov_b32_e32 v147, v143
	ds_load_2addr_b64 v[142:145], v136 offset0:25 offset1:26
	v_pk_add_f32 v[100:101], v[100:101], v[146:147] neg_lo:[0,1] neg_hi:[0,1]
	s_wait_dscnt 0x0
	v_pk_mul_f32 v[146:147], v[142:143], v[134:135] op_sel:[0,1]
	s_delay_alu instid0(VALU_DEP_1) | instskip(SKIP_1) | instid1(VALU_DEP_1)
	v_pk_fma_f32 v[148:149], v[142:143], v[132:133], v[146:147] op_sel:[0,0,1] op_sel_hi:[1,1,0] neg_lo:[0,0,1] neg_hi:[0,0,1]
	v_pk_fma_f32 v[142:143], v[142:143], v[132:133], v[146:147] op_sel:[0,0,1] op_sel_hi:[1,0,0]
	v_mov_b32_e32 v149, v143
	v_pk_mul_f32 v[142:143], v[144:145], v[134:135] op_sel:[0,1]
	s_delay_alu instid0(VALU_DEP_2) | instskip(NEXT) | instid1(VALU_DEP_2)
	v_pk_add_f32 v[98:99], v[98:99], v[148:149] neg_lo:[0,1] neg_hi:[0,1]
	v_pk_fma_f32 v[146:147], v[144:145], v[132:133], v[142:143] op_sel:[0,0,1] op_sel_hi:[1,1,0] neg_lo:[0,0,1] neg_hi:[0,0,1]
	v_pk_fma_f32 v[142:143], v[144:145], v[132:133], v[142:143] op_sel:[0,0,1] op_sel_hi:[1,0,0]
	s_delay_alu instid0(VALU_DEP_1) | instskip(SKIP_4) | instid1(VALU_DEP_1)
	v_mov_b32_e32 v147, v143
	ds_load_2addr_b64 v[142:145], v136 offset0:27 offset1:28
	v_pk_add_f32 v[48:49], v[48:49], v[146:147] neg_lo:[0,1] neg_hi:[0,1]
	s_wait_dscnt 0x0
	v_pk_mul_f32 v[146:147], v[142:143], v[134:135] op_sel:[0,1]
	v_pk_fma_f32 v[148:149], v[142:143], v[132:133], v[146:147] op_sel:[0,0,1] op_sel_hi:[1,1,0] neg_lo:[0,0,1] neg_hi:[0,0,1]
	v_pk_fma_f32 v[142:143], v[142:143], v[132:133], v[146:147] op_sel:[0,0,1] op_sel_hi:[1,0,0]
	v_dual_mul_f32 v146, v145, v135 :: v_dual_mov_b32 v142, v145
	s_delay_alu instid0(VALU_DEP_2) | instskip(NEXT) | instid1(VALU_DEP_2)
	v_dual_mov_b32 v149, v143 :: v_dual_mov_b32 v143, v144
	v_pk_fma_f32 v[146:147], v[144:145], v[120:121], v[146:147] op_sel_hi:[1,1,0] neg_lo:[0,0,1] neg_hi:[0,0,1]
	v_mul_f32_e32 v144, v145, v132
	s_delay_alu instid0(VALU_DEP_3) | instskip(NEXT) | instid1(VALU_DEP_2)
	v_pk_add_f32 v[46:47], v[46:47], v[148:149] neg_lo:[0,1] neg_hi:[0,1]
	v_pk_fma_f32 v[142:143], v[142:143], v[120:121], v[144:145] op_sel_hi:[1,1,0]
	s_delay_alu instid0(VALU_DEP_1) | instskip(SKIP_4) | instid1(VALU_DEP_1)
	v_mov_b32_e32 v147, v143
	ds_load_2addr_b64 v[142:145], v136 offset0:29 offset1:30
	v_pk_add_f32 v[96:97], v[96:97], v[146:147] neg_lo:[0,1] neg_hi:[0,1]
	s_wait_dscnt 0x0
	v_pk_mul_f32 v[146:147], v[142:143], v[134:135] op_sel:[0,1]
	v_pk_fma_f32 v[148:149], v[142:143], v[132:133], v[146:147] op_sel:[0,0,1] op_sel_hi:[1,1,0] neg_lo:[0,0,1] neg_hi:[0,0,1]
	v_pk_fma_f32 v[142:143], v[142:143], v[132:133], v[146:147] op_sel:[0,0,1] op_sel_hi:[1,0,0]
	s_delay_alu instid0(VALU_DEP_1) | instskip(SKIP_1) | instid1(VALU_DEP_1)
	v_mov_b32_e32 v149, v143
	v_pk_mul_f32 v[142:143], v[144:145], v[134:135] op_sel:[0,1]
	v_pk_fma_f32 v[146:147], v[144:145], v[132:133], v[142:143] op_sel:[0,0,1] op_sel_hi:[1,1,0] neg_lo:[0,0,1] neg_hi:[0,0,1]
	v_pk_fma_f32 v[142:143], v[144:145], v[132:133], v[142:143] op_sel:[0,0,1] op_sel_hi:[1,0,0]
	s_delay_alu instid0(VALU_DEP_1)
	v_mov_b32_e32 v147, v143
	ds_load_2addr_b64 v[142:145], v136 offset0:31 offset1:32
	v_pk_add_f32 v[94:95], v[94:95], v[148:149] neg_lo:[0,1] neg_hi:[0,1]
	v_pk_add_f32 v[44:45], v[44:45], v[146:147] neg_lo:[0,1] neg_hi:[0,1]
	s_wait_dscnt 0x0
	v_pk_mul_f32 v[146:147], v[142:143], v[134:135] op_sel:[0,1]
	s_delay_alu instid0(VALU_DEP_1) | instskip(SKIP_1) | instid1(VALU_DEP_1)
	v_pk_fma_f32 v[148:149], v[142:143], v[132:133], v[146:147] op_sel:[0,0,1] op_sel_hi:[1,1,0] neg_lo:[0,0,1] neg_hi:[0,0,1]
	v_pk_fma_f32 v[142:143], v[142:143], v[132:133], v[146:147] op_sel:[0,0,1] op_sel_hi:[1,0,0]
	v_mov_b32_e32 v149, v143
	v_pk_mul_f32 v[142:143], v[144:145], v[134:135] op_sel:[0,1]
	s_delay_alu instid0(VALU_DEP_1) | instskip(SKIP_1) | instid1(VALU_DEP_1)
	v_pk_fma_f32 v[146:147], v[144:145], v[132:133], v[142:143] op_sel:[0,0,1] op_sel_hi:[1,1,0] neg_lo:[0,0,1] neg_hi:[0,0,1]
	v_pk_fma_f32 v[142:143], v[144:145], v[132:133], v[142:143] op_sel:[0,0,1] op_sel_hi:[1,0,0]
	v_mov_b32_e32 v147, v143
	ds_load_2addr_b64 v[142:145], v136 offset0:33 offset1:34
	v_pk_add_f32 v[42:43], v[42:43], v[148:149] neg_lo:[0,1] neg_hi:[0,1]
	v_pk_add_f32 v[92:93], v[92:93], v[146:147] neg_lo:[0,1] neg_hi:[0,1]
	s_wait_dscnt 0x0
	v_dual_mul_f32 v146, v143, v135 :: v_dual_mul_f32 v148, v143, v132
	s_delay_alu instid0(VALU_DEP_1) | instskip(NEXT) | instid1(VALU_DEP_2)
	v_pk_fma_f32 v[146:147], v[142:143], v[120:121], v[146:147] op_sel_hi:[1,1,0] neg_lo:[0,0,1] neg_hi:[0,0,1]
	v_pk_fma_f32 v[142:143], v[142:143], v[120:121], v[148:149] op_sel:[1,0,0] op_sel_hi:[0,1,0]
	s_delay_alu instid0(VALU_DEP_1) | instskip(SKIP_1) | instid1(VALU_DEP_2)
	v_mov_b32_e32 v147, v143
	v_pk_mul_f32 v[142:143], v[144:145], v[134:135] op_sel:[0,1]
	v_pk_add_f32 v[90:91], v[90:91], v[146:147] neg_lo:[0,1] neg_hi:[0,1]
	s_delay_alu instid0(VALU_DEP_2) | instskip(SKIP_1) | instid1(VALU_DEP_1)
	v_pk_fma_f32 v[146:147], v[144:145], v[132:133], v[142:143] op_sel:[0,0,1] op_sel_hi:[1,1,0] neg_lo:[0,0,1] neg_hi:[0,0,1]
	v_pk_fma_f32 v[142:143], v[144:145], v[132:133], v[142:143] op_sel:[0,0,1] op_sel_hi:[1,0,0]
	v_mov_b32_e32 v147, v143
	ds_load_2addr_b64 v[142:145], v136 offset0:35 offset1:36
	v_pk_add_f32 v[40:41], v[40:41], v[146:147] neg_lo:[0,1] neg_hi:[0,1]
	s_wait_dscnt 0x0
	v_pk_mul_f32 v[146:147], v[142:143], v[134:135] op_sel:[0,1]
	s_delay_alu instid0(VALU_DEP_1) | instskip(SKIP_1) | instid1(VALU_DEP_1)
	v_pk_fma_f32 v[148:149], v[142:143], v[132:133], v[146:147] op_sel:[0,0,1] op_sel_hi:[1,1,0] neg_lo:[0,0,1] neg_hi:[0,0,1]
	v_pk_fma_f32 v[142:143], v[142:143], v[132:133], v[146:147] op_sel:[0,0,1] op_sel_hi:[1,0,0]
	v_mov_b32_e32 v149, v143
	v_pk_mul_f32 v[142:143], v[144:145], v[134:135] op_sel:[0,1]
	s_delay_alu instid0(VALU_DEP_2) | instskip(NEXT) | instid1(VALU_DEP_2)
	v_pk_add_f32 v[38:39], v[38:39], v[148:149] neg_lo:[0,1] neg_hi:[0,1]
	v_pk_fma_f32 v[146:147], v[144:145], v[132:133], v[142:143] op_sel:[0,0,1] op_sel_hi:[1,1,0] neg_lo:[0,0,1] neg_hi:[0,0,1]
	v_pk_fma_f32 v[142:143], v[144:145], v[132:133], v[142:143] op_sel:[0,0,1] op_sel_hi:[1,0,0]
	s_delay_alu instid0(VALU_DEP_1) | instskip(SKIP_4) | instid1(VALU_DEP_1)
	v_mov_b32_e32 v147, v143
	ds_load_2addr_b64 v[142:145], v136 offset0:37 offset1:38
	v_pk_add_f32 v[88:89], v[88:89], v[146:147] neg_lo:[0,1] neg_hi:[0,1]
	s_wait_dscnt 0x0
	v_pk_mul_f32 v[146:147], v[142:143], v[134:135] op_sel:[0,1]
	v_pk_fma_f32 v[148:149], v[142:143], v[132:133], v[146:147] op_sel:[0,0,1] op_sel_hi:[1,1,0] neg_lo:[0,0,1] neg_hi:[0,0,1]
	v_pk_fma_f32 v[142:143], v[142:143], v[132:133], v[146:147] op_sel:[0,0,1] op_sel_hi:[1,0,0]
	v_dual_mul_f32 v146, v145, v135 :: v_dual_mov_b32 v142, v145
	s_delay_alu instid0(VALU_DEP_2) | instskip(NEXT) | instid1(VALU_DEP_2)
	v_dual_mov_b32 v149, v143 :: v_dual_mov_b32 v143, v144
	v_pk_fma_f32 v[146:147], v[144:145], v[120:121], v[146:147] op_sel_hi:[1,1,0] neg_lo:[0,0,1] neg_hi:[0,0,1]
	v_mul_f32_e32 v144, v145, v132
	s_delay_alu instid0(VALU_DEP_3) | instskip(NEXT) | instid1(VALU_DEP_2)
	v_pk_add_f32 v[86:87], v[86:87], v[148:149] neg_lo:[0,1] neg_hi:[0,1]
	v_pk_fma_f32 v[142:143], v[142:143], v[120:121], v[144:145] op_sel_hi:[1,1,0]
	s_delay_alu instid0(VALU_DEP_1) | instskip(SKIP_4) | instid1(VALU_DEP_1)
	v_mov_b32_e32 v147, v143
	ds_load_2addr_b64 v[142:145], v136 offset0:39 offset1:40
	v_pk_add_f32 v[36:37], v[36:37], v[146:147] neg_lo:[0,1] neg_hi:[0,1]
	s_wait_dscnt 0x0
	v_pk_mul_f32 v[146:147], v[142:143], v[134:135] op_sel:[0,1]
	v_pk_fma_f32 v[148:149], v[142:143], v[132:133], v[146:147] op_sel:[0,0,1] op_sel_hi:[1,1,0] neg_lo:[0,0,1] neg_hi:[0,0,1]
	v_pk_fma_f32 v[142:143], v[142:143], v[132:133], v[146:147] op_sel:[0,0,1] op_sel_hi:[1,0,0]
	s_delay_alu instid0(VALU_DEP_1) | instskip(SKIP_1) | instid1(VALU_DEP_1)
	v_mov_b32_e32 v149, v143
	v_pk_mul_f32 v[142:143], v[144:145], v[134:135] op_sel:[0,1]
	v_pk_fma_f32 v[146:147], v[144:145], v[132:133], v[142:143] op_sel:[0,0,1] op_sel_hi:[1,1,0] neg_lo:[0,0,1] neg_hi:[0,0,1]
	v_pk_fma_f32 v[142:143], v[144:145], v[132:133], v[142:143] op_sel:[0,0,1] op_sel_hi:[1,0,0]
	s_delay_alu instid0(VALU_DEP_1)
	v_mov_b32_e32 v147, v143
	ds_load_2addr_b64 v[142:145], v136 offset0:41 offset1:42
	v_pk_add_f32 v[32:33], v[32:33], v[148:149] neg_lo:[0,1] neg_hi:[0,1]
	v_pk_add_f32 v[84:85], v[84:85], v[146:147] neg_lo:[0,1] neg_hi:[0,1]
	s_wait_dscnt 0x0
	v_pk_mul_f32 v[146:147], v[142:143], v[134:135] op_sel:[0,1]
	s_delay_alu instid0(VALU_DEP_1) | instskip(SKIP_1) | instid1(VALU_DEP_1)
	v_pk_fma_f32 v[148:149], v[142:143], v[132:133], v[146:147] op_sel:[0,0,1] op_sel_hi:[1,1,0] neg_lo:[0,0,1] neg_hi:[0,0,1]
	v_pk_fma_f32 v[142:143], v[142:143], v[132:133], v[146:147] op_sel:[0,0,1] op_sel_hi:[1,0,0]
	v_mov_b32_e32 v149, v143
	v_pk_mul_f32 v[142:143], v[144:145], v[134:135] op_sel:[0,1]
	s_delay_alu instid0(VALU_DEP_1) | instskip(SKIP_1) | instid1(VALU_DEP_1)
	v_pk_fma_f32 v[146:147], v[144:145], v[132:133], v[142:143] op_sel:[0,0,1] op_sel_hi:[1,1,0] neg_lo:[0,0,1] neg_hi:[0,0,1]
	v_pk_fma_f32 v[142:143], v[144:145], v[132:133], v[142:143] op_sel:[0,0,1] op_sel_hi:[1,0,0]
	v_mov_b32_e32 v147, v143
	ds_load_2addr_b64 v[142:145], v136 offset0:43 offset1:44
	v_pk_add_f32 v[82:83], v[82:83], v[148:149] neg_lo:[0,1] neg_hi:[0,1]
	v_pk_add_f32 v[24:25], v[24:25], v[146:147] neg_lo:[0,1] neg_hi:[0,1]
	s_wait_dscnt 0x0
	v_dual_mul_f32 v146, v143, v135 :: v_dual_mul_f32 v148, v143, v132
	s_delay_alu instid0(VALU_DEP_1) | instskip(NEXT) | instid1(VALU_DEP_2)
	v_pk_fma_f32 v[146:147], v[142:143], v[120:121], v[146:147] op_sel_hi:[1,1,0] neg_lo:[0,0,1] neg_hi:[0,0,1]
	v_pk_fma_f32 v[142:143], v[142:143], v[120:121], v[148:149] op_sel:[1,0,0] op_sel_hi:[0,1,0]
	s_delay_alu instid0(VALU_DEP_1) | instskip(SKIP_1) | instid1(VALU_DEP_2)
	v_mov_b32_e32 v147, v143
	v_pk_mul_f32 v[142:143], v[144:145], v[134:135] op_sel:[0,1]
	v_pk_add_f32 v[22:23], v[22:23], v[146:147] neg_lo:[0,1] neg_hi:[0,1]
	s_delay_alu instid0(VALU_DEP_2) | instskip(SKIP_1) | instid1(VALU_DEP_1)
	v_pk_fma_f32 v[146:147], v[144:145], v[132:133], v[142:143] op_sel:[0,0,1] op_sel_hi:[1,1,0] neg_lo:[0,0,1] neg_hi:[0,0,1]
	v_pk_fma_f32 v[142:143], v[144:145], v[132:133], v[142:143] op_sel:[0,0,1] op_sel_hi:[1,0,0]
	v_mov_b32_e32 v147, v143
	ds_load_2addr_b64 v[142:145], v136 offset0:45 offset1:46
	v_pk_add_f32 v[80:81], v[80:81], v[146:147] neg_lo:[0,1] neg_hi:[0,1]
	s_wait_dscnt 0x0
	v_pk_mul_f32 v[146:147], v[142:143], v[134:135] op_sel:[0,1]
	s_delay_alu instid0(VALU_DEP_1) | instskip(SKIP_1) | instid1(VALU_DEP_1)
	v_pk_fma_f32 v[148:149], v[142:143], v[132:133], v[146:147] op_sel:[0,0,1] op_sel_hi:[1,1,0] neg_lo:[0,0,1] neg_hi:[0,0,1]
	v_pk_fma_f32 v[142:143], v[142:143], v[132:133], v[146:147] op_sel:[0,0,1] op_sel_hi:[1,0,0]
	v_mov_b32_e32 v149, v143
	v_pk_mul_f32 v[142:143], v[144:145], v[134:135] op_sel:[0,1]
	s_delay_alu instid0(VALU_DEP_2) | instskip(NEXT) | instid1(VALU_DEP_2)
	v_pk_add_f32 v[78:79], v[78:79], v[148:149] neg_lo:[0,1] neg_hi:[0,1]
	v_pk_fma_f32 v[146:147], v[144:145], v[132:133], v[142:143] op_sel:[0,0,1] op_sel_hi:[1,1,0] neg_lo:[0,0,1] neg_hi:[0,0,1]
	v_pk_fma_f32 v[142:143], v[144:145], v[132:133], v[142:143] op_sel:[0,0,1] op_sel_hi:[1,0,0]
	s_delay_alu instid0(VALU_DEP_1) | instskip(SKIP_4) | instid1(VALU_DEP_1)
	v_mov_b32_e32 v147, v143
	ds_load_2addr_b64 v[142:145], v136 offset0:47 offset1:48
	v_pk_add_f32 v[20:21], v[20:21], v[146:147] neg_lo:[0,1] neg_hi:[0,1]
	s_wait_dscnt 0x0
	v_pk_mul_f32 v[146:147], v[142:143], v[134:135] op_sel:[0,1]
	v_pk_fma_f32 v[148:149], v[142:143], v[132:133], v[146:147] op_sel:[0,0,1] op_sel_hi:[1,1,0] neg_lo:[0,0,1] neg_hi:[0,0,1]
	v_pk_fma_f32 v[142:143], v[142:143], v[132:133], v[146:147] op_sel:[0,0,1] op_sel_hi:[1,0,0]
	v_dual_mul_f32 v146, v145, v135 :: v_dual_mov_b32 v142, v145
	s_delay_alu instid0(VALU_DEP_2) | instskip(NEXT) | instid1(VALU_DEP_2)
	v_dual_mov_b32 v149, v143 :: v_dual_mov_b32 v143, v144
	v_pk_fma_f32 v[146:147], v[144:145], v[120:121], v[146:147] op_sel_hi:[1,1,0] neg_lo:[0,0,1] neg_hi:[0,0,1]
	v_mul_f32_e32 v144, v145, v132
	s_delay_alu instid0(VALU_DEP_3) | instskip(NEXT) | instid1(VALU_DEP_2)
	v_pk_add_f32 v[18:19], v[18:19], v[148:149] neg_lo:[0,1] neg_hi:[0,1]
	v_pk_fma_f32 v[142:143], v[142:143], v[120:121], v[144:145] op_sel_hi:[1,1,0]
	s_delay_alu instid0(VALU_DEP_1) | instskip(SKIP_4) | instid1(VALU_DEP_1)
	v_mov_b32_e32 v147, v143
	ds_load_2addr_b64 v[142:145], v136 offset0:49 offset1:50
	v_pk_add_f32 v[76:77], v[76:77], v[146:147] neg_lo:[0,1] neg_hi:[0,1]
	s_wait_dscnt 0x0
	v_pk_mul_f32 v[146:147], v[142:143], v[134:135] op_sel:[0,1]
	v_pk_fma_f32 v[148:149], v[142:143], v[132:133], v[146:147] op_sel:[0,0,1] op_sel_hi:[1,1,0] neg_lo:[0,0,1] neg_hi:[0,0,1]
	v_pk_fma_f32 v[142:143], v[142:143], v[132:133], v[146:147] op_sel:[0,0,1] op_sel_hi:[1,0,0]
	s_delay_alu instid0(VALU_DEP_1) | instskip(SKIP_1) | instid1(VALU_DEP_1)
	v_mov_b32_e32 v149, v143
	v_pk_mul_f32 v[142:143], v[144:145], v[134:135] op_sel:[0,1]
	v_pk_fma_f32 v[146:147], v[144:145], v[132:133], v[142:143] op_sel:[0,0,1] op_sel_hi:[1,1,0] neg_lo:[0,0,1] neg_hi:[0,0,1]
	v_pk_fma_f32 v[142:143], v[144:145], v[132:133], v[142:143] op_sel:[0,0,1] op_sel_hi:[1,0,0]
	s_delay_alu instid0(VALU_DEP_1)
	v_mov_b32_e32 v147, v143
	ds_load_2addr_b64 v[142:145], v136 offset0:51 offset1:52
	v_pk_add_f32 v[74:75], v[74:75], v[148:149] neg_lo:[0,1] neg_hi:[0,1]
	v_pk_add_f32 v[16:17], v[16:17], v[146:147] neg_lo:[0,1] neg_hi:[0,1]
	s_wait_dscnt 0x0
	v_pk_mul_f32 v[146:147], v[142:143], v[134:135] op_sel:[0,1]
	s_delay_alu instid0(VALU_DEP_1) | instskip(SKIP_1) | instid1(VALU_DEP_1)
	v_pk_fma_f32 v[148:149], v[142:143], v[132:133], v[146:147] op_sel:[0,0,1] op_sel_hi:[1,1,0] neg_lo:[0,0,1] neg_hi:[0,0,1]
	v_pk_fma_f32 v[142:143], v[142:143], v[132:133], v[146:147] op_sel:[0,0,1] op_sel_hi:[1,0,0]
	v_mov_b32_e32 v149, v143
	v_pk_mul_f32 v[142:143], v[144:145], v[134:135] op_sel:[0,1]
	s_delay_alu instid0(VALU_DEP_1) | instskip(SKIP_1) | instid1(VALU_DEP_1)
	v_pk_fma_f32 v[146:147], v[144:145], v[132:133], v[142:143] op_sel:[0,0,1] op_sel_hi:[1,1,0] neg_lo:[0,0,1] neg_hi:[0,0,1]
	v_pk_fma_f32 v[142:143], v[144:145], v[132:133], v[142:143] op_sel:[0,0,1] op_sel_hi:[1,0,0]
	v_mov_b32_e32 v147, v143
	ds_load_2addr_b64 v[142:145], v136 offset0:53 offset1:54
	v_pk_add_f32 v[28:29], v[28:29], v[148:149] neg_lo:[0,1] neg_hi:[0,1]
	v_pk_add_f32 v[68:69], v[68:69], v[146:147] neg_lo:[0,1] neg_hi:[0,1]
	s_wait_dscnt 0x0
	v_dual_mul_f32 v146, v143, v135 :: v_dual_mul_f32 v148, v143, v132
	s_delay_alu instid0(VALU_DEP_1) | instskip(NEXT) | instid1(VALU_DEP_2)
	v_pk_fma_f32 v[146:147], v[142:143], v[120:121], v[146:147] op_sel_hi:[1,1,0] neg_lo:[0,0,1] neg_hi:[0,0,1]
	v_pk_fma_f32 v[142:143], v[142:143], v[120:121], v[148:149] op_sel:[1,0,0] op_sel_hi:[0,1,0]
	s_delay_alu instid0(VALU_DEP_1) | instskip(SKIP_1) | instid1(VALU_DEP_2)
	v_mov_b32_e32 v147, v143
	v_pk_mul_f32 v[142:143], v[144:145], v[134:135] op_sel:[0,1]
	v_pk_add_f32 v[66:67], v[66:67], v[146:147] neg_lo:[0,1] neg_hi:[0,1]
	s_delay_alu instid0(VALU_DEP_2) | instskip(SKIP_1) | instid1(VALU_DEP_1)
	v_pk_fma_f32 v[146:147], v[144:145], v[132:133], v[142:143] op_sel:[0,0,1] op_sel_hi:[1,1,0] neg_lo:[0,0,1] neg_hi:[0,0,1]
	v_pk_fma_f32 v[142:143], v[144:145], v[132:133], v[142:143] op_sel:[0,0,1] op_sel_hi:[1,0,0]
	v_mov_b32_e32 v147, v143
	ds_load_2addr_b64 v[142:145], v136 offset0:55 offset1:56
	v_pk_add_f32 v[10:11], v[10:11], v[146:147] neg_lo:[0,1] neg_hi:[0,1]
	s_wait_dscnt 0x0
	v_pk_mul_f32 v[146:147], v[142:143], v[134:135] op_sel:[0,1]
	s_delay_alu instid0(VALU_DEP_1) | instskip(SKIP_1) | instid1(VALU_DEP_1)
	v_pk_fma_f32 v[148:149], v[142:143], v[132:133], v[146:147] op_sel:[0,0,1] op_sel_hi:[1,1,0] neg_lo:[0,0,1] neg_hi:[0,0,1]
	v_pk_fma_f32 v[142:143], v[142:143], v[132:133], v[146:147] op_sel:[0,0,1] op_sel_hi:[1,0,0]
	v_mov_b32_e32 v149, v143
	v_pk_mul_f32 v[142:143], v[144:145], v[134:135] op_sel:[0,1]
	s_delay_alu instid0(VALU_DEP_2) | instskip(NEXT) | instid1(VALU_DEP_2)
	v_pk_add_f32 v[8:9], v[8:9], v[148:149] neg_lo:[0,1] neg_hi:[0,1]
	v_pk_fma_f32 v[146:147], v[144:145], v[132:133], v[142:143] op_sel:[0,0,1] op_sel_hi:[1,1,0] neg_lo:[0,0,1] neg_hi:[0,0,1]
	v_pk_fma_f32 v[142:143], v[144:145], v[132:133], v[142:143] op_sel:[0,0,1] op_sel_hi:[1,0,0]
	s_delay_alu instid0(VALU_DEP_1) | instskip(SKIP_4) | instid1(VALU_DEP_1)
	v_mov_b32_e32 v147, v143
	ds_load_2addr_b64 v[142:145], v136 offset0:57 offset1:58
	v_pk_add_f32 v[34:35], v[34:35], v[146:147] neg_lo:[0,1] neg_hi:[0,1]
	s_wait_dscnt 0x0
	v_pk_mul_f32 v[146:147], v[142:143], v[134:135] op_sel:[0,1]
	v_pk_fma_f32 v[148:149], v[142:143], v[132:133], v[146:147] op_sel:[0,0,1] op_sel_hi:[1,1,0] neg_lo:[0,0,1] neg_hi:[0,0,1]
	v_pk_fma_f32 v[142:143], v[142:143], v[132:133], v[146:147] op_sel:[0,0,1] op_sel_hi:[1,0,0]
	v_dual_mul_f32 v146, v145, v135 :: v_dual_mov_b32 v142, v145
	s_delay_alu instid0(VALU_DEP_2) | instskip(NEXT) | instid1(VALU_DEP_2)
	v_dual_mov_b32 v149, v143 :: v_dual_mov_b32 v143, v144
	v_pk_fma_f32 v[146:147], v[144:145], v[120:121], v[146:147] op_sel_hi:[1,1,0] neg_lo:[0,0,1] neg_hi:[0,0,1]
	v_mul_f32_e32 v144, v145, v132
	s_delay_alu instid0(VALU_DEP_3) | instskip(NEXT) | instid1(VALU_DEP_2)
	v_pk_add_f32 v[30:31], v[30:31], v[148:149] neg_lo:[0,1] neg_hi:[0,1]
	v_pk_fma_f32 v[142:143], v[142:143], v[120:121], v[144:145] op_sel_hi:[1,1,0]
	s_delay_alu instid0(VALU_DEP_1) | instskip(SKIP_4) | instid1(VALU_DEP_1)
	v_mov_b32_e32 v147, v143
	ds_load_2addr_b64 v[142:145], v136 offset0:59 offset1:60
	v_pk_add_f32 v[6:7], v[6:7], v[146:147] neg_lo:[0,1] neg_hi:[0,1]
	s_wait_dscnt 0x0
	v_pk_mul_f32 v[146:147], v[142:143], v[134:135] op_sel:[0,1]
	v_pk_fma_f32 v[148:149], v[142:143], v[132:133], v[146:147] op_sel:[0,0,1] op_sel_hi:[1,1,0] neg_lo:[0,0,1] neg_hi:[0,0,1]
	v_pk_fma_f32 v[142:143], v[142:143], v[132:133], v[146:147] op_sel:[0,0,1] op_sel_hi:[1,0,0]
	s_delay_alu instid0(VALU_DEP_1) | instskip(SKIP_1) | instid1(VALU_DEP_1)
	v_mov_b32_e32 v149, v143
	v_pk_mul_f32 v[142:143], v[144:145], v[134:135] op_sel:[0,1]
	v_pk_fma_f32 v[146:147], v[144:145], v[132:133], v[142:143] op_sel:[0,0,1] op_sel_hi:[1,1,0] neg_lo:[0,0,1] neg_hi:[0,0,1]
	v_pk_fma_f32 v[142:143], v[144:145], v[132:133], v[142:143] op_sel:[0,0,1] op_sel_hi:[1,0,0]
	s_delay_alu instid0(VALU_DEP_1)
	v_mov_b32_e32 v147, v143
	ds_load_2addr_b64 v[142:145], v136 offset0:61 offset1:62
	v_pk_add_f32 v[26:27], v[26:27], v[148:149] neg_lo:[0,1] neg_hi:[0,1]
	v_pk_add_f32 v[14:15], v[14:15], v[146:147] neg_lo:[0,1] neg_hi:[0,1]
	s_wait_dscnt 0x0
	v_pk_mul_f32 v[146:147], v[142:143], v[134:135] op_sel:[0,1]
	v_pk_mul_f32 v[134:135], v[144:145], v[134:135] op_sel:[0,1]
	s_delay_alu instid0(VALU_DEP_2) | instskip(SKIP_1) | instid1(VALU_DEP_1)
	v_pk_fma_f32 v[148:149], v[142:143], v[132:133], v[146:147] op_sel:[0,0,1] op_sel_hi:[1,1,0] neg_lo:[0,0,1] neg_hi:[0,0,1]
	v_pk_fma_f32 v[142:143], v[142:143], v[132:133], v[146:147] op_sel:[0,0,1] op_sel_hi:[1,0,0]
	v_mov_b32_e32 v149, v143
	s_delay_alu instid0(VALU_DEP_4) | instskip(SKIP_1) | instid1(VALU_DEP_1)
	v_pk_fma_f32 v[142:143], v[144:145], v[132:133], v[134:135] op_sel:[0,0,1] op_sel_hi:[1,1,0] neg_lo:[0,0,1] neg_hi:[0,0,1]
	v_pk_fma_f32 v[132:133], v[144:145], v[132:133], v[134:135] op_sel:[0,0,1] op_sel_hi:[1,0,0]
	v_mov_b32_e32 v143, v133
	s_delay_alu instid0(VALU_DEP_4) | instskip(NEXT) | instid1(VALU_DEP_2)
	v_pk_add_f32 v[12:13], v[12:13], v[148:149] neg_lo:[0,1] neg_hi:[0,1]
	v_pk_add_f32 v[130:131], v[130:131], v[142:143] neg_lo:[0,1] neg_hi:[0,1]
.LBB124_104:
	s_or_b32 exec_lo, exec_lo, s0
	v_lshl_add_u32 v132, v140, 3, v136
	s_barrier_signal -1
	s_barrier_wait -1
	ds_store_b64 v132, v[118:119]
	s_wait_dscnt 0x0
	s_barrier_signal -1
	s_barrier_wait -1
	ds_load_b64 v[134:135], v136 offset:40
	v_mov_b32_e32 v132, 5
	s_cmp_lt_i32 s18, 7
	s_cbranch_scc1 .LBB124_107
; %bb.105:
	v_add3_u32 v133, v137, 0, 48
	v_mov_b32_e32 v132, 5
	s_mov_b32 s0, 6
.LBB124_106:                            ; =>This Inner Loop Header: Depth=1
	ds_load_b64 v[142:143], v133
	s_wait_dscnt 0x1
	v_cmp_gt_f32_e32 vcc_lo, 0, v134
	v_cndmask_b32_e64 v144, v134, -v134, vcc_lo
	v_cmp_gt_f32_e32 vcc_lo, 0, v135
	v_cndmask_b32_e64 v146, v135, -v135, vcc_lo
	s_wait_dscnt 0x0
	v_cmp_gt_f32_e32 vcc_lo, 0, v142
	v_cndmask_b32_e64 v145, v142, -v142, vcc_lo
	v_cmp_gt_f32_e32 vcc_lo, 0, v143
	v_cndmask_b32_e64 v147, v143, -v143, vcc_lo
	s_delay_alu instid0(VALU_DEP_1) | instskip(NEXT) | instid1(VALU_DEP_1)
	v_pk_add_f32 v[144:145], v[144:145], v[146:147]
	v_cmp_lt_f32_e32 vcc_lo, v144, v145
	v_dual_add_nc_u32 v133, 8, v133 :: v_dual_cndmask_b32 v135, v135, v143, vcc_lo
	v_cndmask_b32_e32 v134, v134, v142, vcc_lo
	v_cndmask_b32_e64 v132, v132, s0, vcc_lo
	s_add_co_i32 s0, s0, 1
	s_delay_alu instid0(SALU_CYCLE_1)
	s_cmp_lg_u32 s18, s0
	s_cbranch_scc1 .LBB124_106
.LBB124_107:
	s_wait_dscnt 0x0
	v_cmp_eq_f32_e32 vcc_lo, 0, v134
	v_cmp_eq_f32_e64 s0, 0, v135
	s_and_b32 s0, vcc_lo, s0
	s_delay_alu instid0(SALU_CYCLE_1) | instskip(NEXT) | instid1(SALU_CYCLE_1)
	s_and_saveexec_b32 s1, s0
	s_xor_b32 s0, exec_lo, s1
; %bb.108:
	v_cmp_ne_u32_e32 vcc_lo, 0, v138
	v_cndmask_b32_e32 v138, 6, v138, vcc_lo
; %bb.109:
	s_and_not1_saveexec_b32 s0, s0
	s_cbranch_execz .LBB124_115
; %bb.110:
	v_cmp_ngt_f32_e64 s1, |v134|, |v135|
	s_and_saveexec_b32 s12, s1
	s_delay_alu instid0(SALU_CYCLE_1)
	s_xor_b32 s1, exec_lo, s12
	s_cbranch_execz .LBB124_112
; %bb.111:
	v_div_scale_f32 v133, null, v135, v135, v134
	v_div_scale_f32 v143, vcc_lo, v134, v135, v134
	s_delay_alu instid0(VALU_DEP_2) | instskip(SKIP_1) | instid1(TRANS32_DEP_1)
	v_rcp_f32_e32 v141, v133
	v_nop
	v_fma_f32 v142, -v133, v141, 1.0
	s_delay_alu instid0(VALU_DEP_1) | instskip(NEXT) | instid1(VALU_DEP_1)
	v_fmac_f32_e32 v141, v142, v141
	v_mul_f32_e32 v142, v143, v141
	s_delay_alu instid0(VALU_DEP_1) | instskip(NEXT) | instid1(VALU_DEP_1)
	v_fma_f32 v144, -v133, v142, v143
	v_fmac_f32_e32 v142, v144, v141
	s_delay_alu instid0(VALU_DEP_1) | instskip(NEXT) | instid1(VALU_DEP_1)
	v_fma_f32 v133, -v133, v142, v143
	v_div_fmas_f32 v133, v133, v141, v142
	s_delay_alu instid0(VALU_DEP_1) | instskip(NEXT) | instid1(VALU_DEP_1)
	v_div_fixup_f32 v133, v133, v135, v134
	v_fmac_f32_e32 v135, v134, v133
	s_delay_alu instid0(VALU_DEP_1) | instskip(SKIP_1) | instid1(VALU_DEP_2)
	v_div_scale_f32 v134, null, v135, v135, 1.0
	v_div_scale_f32 v143, vcc_lo, 1.0, v135, 1.0
	v_rcp_f32_e32 v141, v134
	v_nop
	s_delay_alu instid0(TRANS32_DEP_1) | instskip(NEXT) | instid1(VALU_DEP_1)
	v_fma_f32 v142, -v134, v141, 1.0
	v_fmac_f32_e32 v141, v142, v141
	s_delay_alu instid0(VALU_DEP_1) | instskip(NEXT) | instid1(VALU_DEP_1)
	v_mul_f32_e32 v142, v143, v141
	v_fma_f32 v144, -v134, v142, v143
	s_delay_alu instid0(VALU_DEP_1) | instskip(NEXT) | instid1(VALU_DEP_1)
	v_fmac_f32_e32 v142, v144, v141
	v_fma_f32 v134, -v134, v142, v143
	s_delay_alu instid0(VALU_DEP_1) | instskip(NEXT) | instid1(VALU_DEP_1)
	v_div_fmas_f32 v134, v134, v141, v142
	v_div_fixup_f32 v135, v134, v135, 1.0
	s_delay_alu instid0(VALU_DEP_1)
	v_mul_f32_e32 v134, v133, v135
	v_xor_b32_e32 v135, 0x80000000, v135
.LBB124_112:
	s_and_not1_saveexec_b32 s1, s1
	s_cbranch_execz .LBB124_114
; %bb.113:
	s_delay_alu instid0(VALU_DEP_1) | instskip(SKIP_1) | instid1(VALU_DEP_2)
	v_div_scale_f32 v133, null, v134, v134, v135
	v_div_scale_f32 v143, vcc_lo, v135, v134, v135
	v_rcp_f32_e32 v141, v133
	v_nop
	s_delay_alu instid0(TRANS32_DEP_1) | instskip(NEXT) | instid1(VALU_DEP_1)
	v_fma_f32 v142, -v133, v141, 1.0
	v_fmac_f32_e32 v141, v142, v141
	s_delay_alu instid0(VALU_DEP_1) | instskip(NEXT) | instid1(VALU_DEP_1)
	v_mul_f32_e32 v142, v143, v141
	v_fma_f32 v144, -v133, v142, v143
	s_delay_alu instid0(VALU_DEP_1) | instskip(NEXT) | instid1(VALU_DEP_1)
	v_fmac_f32_e32 v142, v144, v141
	v_fma_f32 v133, -v133, v142, v143
	s_delay_alu instid0(VALU_DEP_1) | instskip(NEXT) | instid1(VALU_DEP_1)
	v_div_fmas_f32 v133, v133, v141, v142
	v_div_fixup_f32 v133, v133, v134, v135
	s_delay_alu instid0(VALU_DEP_1) | instskip(NEXT) | instid1(VALU_DEP_1)
	v_fmac_f32_e32 v134, v135, v133
	v_div_scale_f32 v135, null, v134, v134, 1.0
	s_delay_alu instid0(VALU_DEP_1) | instskip(SKIP_1) | instid1(TRANS32_DEP_1)
	v_rcp_f32_e32 v141, v135
	v_nop
	v_fma_f32 v142, -v135, v141, 1.0
	s_delay_alu instid0(VALU_DEP_1) | instskip(SKIP_1) | instid1(VALU_DEP_1)
	v_fmac_f32_e32 v141, v142, v141
	v_div_scale_f32 v142, vcc_lo, 1.0, v134, 1.0
	v_mul_f32_e32 v143, v142, v141
	s_delay_alu instid0(VALU_DEP_1) | instskip(NEXT) | instid1(VALU_DEP_1)
	v_fma_f32 v144, -v135, v143, v142
	v_fmac_f32_e32 v143, v144, v141
	s_delay_alu instid0(VALU_DEP_1) | instskip(NEXT) | instid1(VALU_DEP_1)
	v_fma_f32 v135, -v135, v143, v142
	v_div_fmas_f32 v135, v135, v141, v143
	s_delay_alu instid0(VALU_DEP_1) | instskip(NEXT) | instid1(VALU_DEP_1)
	v_div_fixup_f32 v134, v135, v134, 1.0
	v_mul_f32_e64 v135, v133, -v134
.LBB124_114:
	s_or_b32 exec_lo, exec_lo, s1
.LBB124_115:
	s_delay_alu instid0(SALU_CYCLE_1) | instskip(NEXT) | instid1(SALU_CYCLE_1)
	s_or_b32 exec_lo, exec_lo, s0
	s_mov_b32 s0, exec_lo
	v_cmpx_ne_u32_e64 v140, v132
	s_xor_b32 s0, exec_lo, s0
	s_cbranch_execz .LBB124_121
; %bb.116:
	s_mov_b32 s1, exec_lo
	v_cmpx_eq_u32_e32 5, v140
	s_cbranch_execz .LBB124_120
; %bb.117:
	v_cmp_ne_u32_e32 vcc_lo, 5, v132
	s_xor_b32 s12, s16, -1
	s_delay_alu instid0(SALU_CYCLE_1) | instskip(NEXT) | instid1(SALU_CYCLE_1)
	s_and_b32 s13, s12, vcc_lo
	s_and_saveexec_b32 s12, s13
	s_cbranch_execz .LBB124_119
; %bb.118:
	v_ashrrev_i32_e32 v133, 31, v132
	s_delay_alu instid0(VALU_DEP_1)
	v_lshl_add_u64 v[140:141], v[132:133], 2, v[4:5]
	s_clause 0x1
	global_load_b32 v133, v[140:141], off
	global_load_b32 v139, v[4:5], off offset:20
	s_wait_loadcnt 0x1
	global_store_b32 v[4:5], v133, off offset:20
	s_wait_loadcnt 0x0
	global_store_b32 v[140:141], v139, off
.LBB124_119:
	s_wait_xcnt 0x0
	s_or_b32 exec_lo, exec_lo, s12
	v_dual_mov_b32 v140, v132 :: v_dual_mov_b32 v139, v132
.LBB124_120:
	s_or_b32 exec_lo, exec_lo, s1
.LBB124_121:
	s_and_not1_saveexec_b32 s0, s0
	s_cbranch_execz .LBB124_123
; %bb.122:
	v_dual_mov_b32 v132, v72 :: v_dual_mov_b32 v133, v73
	v_dual_mov_b32 v140, v70 :: v_dual_mov_b32 v141, v71
	ds_store_2addr_b64 v136, v[132:133], v[140:141] offset0:6 offset1:7
	v_dual_mov_b32 v132, v116 :: v_dual_mov_b32 v133, v117
	v_dual_mov_b32 v140, v114 :: v_dual_mov_b32 v141, v115
	ds_store_2addr_b64 v136, v[132:133], v[140:141] offset0:8 offset1:9
	;; [unrolled: 3-line block ×28, first 2 shown]
	ds_store_b64 v136, v[130:131] offset:496
	v_mov_b32_e32 v140, 5
.LBB124_123:
	s_or_b32 exec_lo, exec_lo, s0
	s_delay_alu instid0(SALU_CYCLE_1)
	s_mov_b32 s0, exec_lo
	s_wait_storecnt_dscnt 0x0
	s_barrier_signal -1
	s_barrier_wait -1
	v_cmpx_lt_i32_e32 5, v140
	s_cbranch_execz .LBB124_125
; %bb.124:
	v_pk_mul_f32 v[142:143], v[134:135], v[118:119] op_sel:[1,1] op_sel_hi:[0,1]
	s_delay_alu instid0(VALU_DEP_1)
	v_pk_fma_f32 v[132:133], v[134:135], v[118:119], v[142:143] op_sel_hi:[1,0,1] neg_lo:[0,0,1] neg_hi:[0,0,1]
	v_pk_fma_f32 v[134:135], v[134:135], v[118:119], v[142:143] op_sel_hi:[1,0,1]
	ds_load_2addr_b64 v[142:145], v136 offset0:6 offset1:7
	v_dual_mov_b32 v118, v132 :: v_dual_mov_b32 v119, v135
	s_wait_dscnt 0x0
	v_pk_mul_f32 v[146:147], v[142:143], v[134:135] op_sel:[0,1]
	s_delay_alu instid0(VALU_DEP_1) | instskip(SKIP_1) | instid1(VALU_DEP_1)
	v_pk_fma_f32 v[148:149], v[142:143], v[132:133], v[146:147] op_sel:[0,0,1] op_sel_hi:[1,1,0] neg_lo:[0,0,1] neg_hi:[0,0,1]
	v_pk_fma_f32 v[142:143], v[142:143], v[132:133], v[146:147] op_sel:[0,0,1] op_sel_hi:[1,0,0]
	v_mov_b32_e32 v149, v143
	v_pk_mul_f32 v[142:143], v[144:145], v[134:135] op_sel:[0,1]
	s_delay_alu instid0(VALU_DEP_1) | instskip(SKIP_1) | instid1(VALU_DEP_1)
	v_pk_fma_f32 v[146:147], v[144:145], v[132:133], v[142:143] op_sel:[0,0,1] op_sel_hi:[1,1,0] neg_lo:[0,0,1] neg_hi:[0,0,1]
	v_pk_fma_f32 v[142:143], v[144:145], v[132:133], v[142:143] op_sel:[0,0,1] op_sel_hi:[1,0,0]
	v_mov_b32_e32 v147, v143
	ds_load_2addr_b64 v[142:145], v136 offset0:8 offset1:9
	v_pk_add_f32 v[72:73], v[72:73], v[148:149] neg_lo:[0,1] neg_hi:[0,1]
	v_pk_add_f32 v[70:71], v[70:71], v[146:147] neg_lo:[0,1] neg_hi:[0,1]
	s_wait_dscnt 0x0
	v_pk_mul_f32 v[146:147], v[142:143], v[134:135] op_sel:[0,1]
	s_delay_alu instid0(VALU_DEP_1) | instskip(SKIP_2) | instid1(VALU_DEP_2)
	v_pk_fma_f32 v[148:149], v[142:143], v[132:133], v[146:147] op_sel:[0,0,1] op_sel_hi:[1,1,0] neg_lo:[0,0,1] neg_hi:[0,0,1]
	v_pk_fma_f32 v[142:143], v[142:143], v[132:133], v[146:147] op_sel:[0,0,1] op_sel_hi:[1,0,0]
	v_dual_mul_f32 v146, v145, v135 :: v_dual_mov_b32 v142, v145
	v_dual_mov_b32 v149, v143 :: v_dual_mov_b32 v143, v144
	s_delay_alu instid0(VALU_DEP_2) | instskip(SKIP_1) | instid1(VALU_DEP_3)
	v_pk_fma_f32 v[146:147], v[144:145], v[118:119], v[146:147] op_sel_hi:[1,1,0] neg_lo:[0,0,1] neg_hi:[0,0,1]
	v_mul_f32_e32 v144, v145, v132
	v_pk_add_f32 v[116:117], v[116:117], v[148:149] neg_lo:[0,1] neg_hi:[0,1]
	s_delay_alu instid0(VALU_DEP_2) | instskip(NEXT) | instid1(VALU_DEP_1)
	v_pk_fma_f32 v[142:143], v[142:143], v[118:119], v[144:145] op_sel_hi:[1,1,0]
	v_mov_b32_e32 v147, v143
	ds_load_2addr_b64 v[142:145], v136 offset0:10 offset1:11
	v_pk_add_f32 v[114:115], v[114:115], v[146:147] neg_lo:[0,1] neg_hi:[0,1]
	s_wait_dscnt 0x0
	v_pk_mul_f32 v[146:147], v[142:143], v[134:135] op_sel:[0,1]
	s_delay_alu instid0(VALU_DEP_1) | instskip(SKIP_1) | instid1(VALU_DEP_1)
	v_pk_fma_f32 v[148:149], v[142:143], v[132:133], v[146:147] op_sel:[0,0,1] op_sel_hi:[1,1,0] neg_lo:[0,0,1] neg_hi:[0,0,1]
	v_pk_fma_f32 v[142:143], v[142:143], v[132:133], v[146:147] op_sel:[0,0,1] op_sel_hi:[1,0,0]
	v_mov_b32_e32 v149, v143
	v_pk_mul_f32 v[142:143], v[144:145], v[134:135] op_sel:[0,1]
	s_delay_alu instid0(VALU_DEP_1) | instskip(SKIP_1) | instid1(VALU_DEP_1)
	v_pk_fma_f32 v[146:147], v[144:145], v[132:133], v[142:143] op_sel:[0,0,1] op_sel_hi:[1,1,0] neg_lo:[0,0,1] neg_hi:[0,0,1]
	v_pk_fma_f32 v[142:143], v[144:145], v[132:133], v[142:143] op_sel:[0,0,1] op_sel_hi:[1,0,0]
	v_mov_b32_e32 v147, v143
	ds_load_2addr_b64 v[142:145], v136 offset0:12 offset1:13
	v_pk_add_f32 v[64:65], v[64:65], v[148:149] neg_lo:[0,1] neg_hi:[0,1]
	v_pk_add_f32 v[62:63], v[62:63], v[146:147] neg_lo:[0,1] neg_hi:[0,1]
	s_wait_dscnt 0x0
	v_pk_mul_f32 v[146:147], v[142:143], v[134:135] op_sel:[0,1]
	s_delay_alu instid0(VALU_DEP_1) | instskip(SKIP_1) | instid1(VALU_DEP_1)
	v_pk_fma_f32 v[148:149], v[142:143], v[132:133], v[146:147] op_sel:[0,0,1] op_sel_hi:[1,1,0] neg_lo:[0,0,1] neg_hi:[0,0,1]
	v_pk_fma_f32 v[142:143], v[142:143], v[132:133], v[146:147] op_sel:[0,0,1] op_sel_hi:[1,0,0]
	v_mov_b32_e32 v149, v143
	v_pk_mul_f32 v[142:143], v[144:145], v[134:135] op_sel:[0,1]
	s_delay_alu instid0(VALU_DEP_1) | instskip(SKIP_1) | instid1(VALU_DEP_1)
	v_pk_fma_f32 v[146:147], v[144:145], v[132:133], v[142:143] op_sel:[0,0,1] op_sel_hi:[1,1,0] neg_lo:[0,0,1] neg_hi:[0,0,1]
	v_pk_fma_f32 v[142:143], v[144:145], v[132:133], v[142:143] op_sel:[0,0,1] op_sel_hi:[1,0,0]
	v_mov_b32_e32 v147, v143
	ds_load_2addr_b64 v[142:145], v136 offset0:14 offset1:15
	v_pk_add_f32 v[112:113], v[112:113], v[148:149] neg_lo:[0,1] neg_hi:[0,1]
	v_pk_add_f32 v[110:111], v[110:111], v[146:147] neg_lo:[0,1] neg_hi:[0,1]
	s_wait_dscnt 0x0
	v_dual_mul_f32 v146, v143, v135 :: v_dual_mul_f32 v148, v143, v132
	s_delay_alu instid0(VALU_DEP_1) | instskip(NEXT) | instid1(VALU_DEP_2)
	v_pk_fma_f32 v[146:147], v[142:143], v[118:119], v[146:147] op_sel_hi:[1,1,0] neg_lo:[0,0,1] neg_hi:[0,0,1]
	v_pk_fma_f32 v[142:143], v[142:143], v[118:119], v[148:149] op_sel:[1,0,0] op_sel_hi:[0,1,0]
	s_delay_alu instid0(VALU_DEP_1) | instskip(SKIP_1) | instid1(VALU_DEP_2)
	v_mov_b32_e32 v147, v143
	v_pk_mul_f32 v[142:143], v[144:145], v[134:135] op_sel:[0,1]
	v_pk_add_f32 v[60:61], v[60:61], v[146:147] neg_lo:[0,1] neg_hi:[0,1]
	s_delay_alu instid0(VALU_DEP_2) | instskip(SKIP_1) | instid1(VALU_DEP_1)
	v_pk_fma_f32 v[146:147], v[144:145], v[132:133], v[142:143] op_sel:[0,0,1] op_sel_hi:[1,1,0] neg_lo:[0,0,1] neg_hi:[0,0,1]
	v_pk_fma_f32 v[142:143], v[144:145], v[132:133], v[142:143] op_sel:[0,0,1] op_sel_hi:[1,0,0]
	v_mov_b32_e32 v147, v143
	ds_load_2addr_b64 v[142:145], v136 offset0:16 offset1:17
	v_pk_add_f32 v[58:59], v[58:59], v[146:147] neg_lo:[0,1] neg_hi:[0,1]
	s_wait_dscnt 0x0
	v_pk_mul_f32 v[146:147], v[142:143], v[134:135] op_sel:[0,1]
	s_delay_alu instid0(VALU_DEP_1) | instskip(SKIP_1) | instid1(VALU_DEP_1)
	v_pk_fma_f32 v[148:149], v[142:143], v[132:133], v[146:147] op_sel:[0,0,1] op_sel_hi:[1,1,0] neg_lo:[0,0,1] neg_hi:[0,0,1]
	v_pk_fma_f32 v[142:143], v[142:143], v[132:133], v[146:147] op_sel:[0,0,1] op_sel_hi:[1,0,0]
	v_mov_b32_e32 v149, v143
	v_pk_mul_f32 v[142:143], v[144:145], v[134:135] op_sel:[0,1]
	s_delay_alu instid0(VALU_DEP_2) | instskip(NEXT) | instid1(VALU_DEP_2)
	v_pk_add_f32 v[108:109], v[108:109], v[148:149] neg_lo:[0,1] neg_hi:[0,1]
	v_pk_fma_f32 v[146:147], v[144:145], v[132:133], v[142:143] op_sel:[0,0,1] op_sel_hi:[1,1,0] neg_lo:[0,0,1] neg_hi:[0,0,1]
	v_pk_fma_f32 v[142:143], v[144:145], v[132:133], v[142:143] op_sel:[0,0,1] op_sel_hi:[1,0,0]
	s_delay_alu instid0(VALU_DEP_1) | instskip(SKIP_4) | instid1(VALU_DEP_1)
	v_mov_b32_e32 v147, v143
	ds_load_2addr_b64 v[142:145], v136 offset0:18 offset1:19
	v_pk_add_f32 v[106:107], v[106:107], v[146:147] neg_lo:[0,1] neg_hi:[0,1]
	s_wait_dscnt 0x0
	v_pk_mul_f32 v[146:147], v[142:143], v[134:135] op_sel:[0,1]
	v_pk_fma_f32 v[148:149], v[142:143], v[132:133], v[146:147] op_sel:[0,0,1] op_sel_hi:[1,1,0] neg_lo:[0,0,1] neg_hi:[0,0,1]
	v_pk_fma_f32 v[142:143], v[142:143], v[132:133], v[146:147] op_sel:[0,0,1] op_sel_hi:[1,0,0]
	v_dual_mul_f32 v146, v145, v135 :: v_dual_mov_b32 v142, v145
	s_delay_alu instid0(VALU_DEP_2) | instskip(NEXT) | instid1(VALU_DEP_2)
	v_dual_mov_b32 v149, v143 :: v_dual_mov_b32 v143, v144
	v_pk_fma_f32 v[146:147], v[144:145], v[118:119], v[146:147] op_sel_hi:[1,1,0] neg_lo:[0,0,1] neg_hi:[0,0,1]
	v_mul_f32_e32 v144, v145, v132
	s_delay_alu instid0(VALU_DEP_3) | instskip(NEXT) | instid1(VALU_DEP_2)
	v_pk_add_f32 v[56:57], v[56:57], v[148:149] neg_lo:[0,1] neg_hi:[0,1]
	v_pk_fma_f32 v[142:143], v[142:143], v[118:119], v[144:145] op_sel_hi:[1,1,0]
	s_delay_alu instid0(VALU_DEP_1) | instskip(SKIP_4) | instid1(VALU_DEP_1)
	v_mov_b32_e32 v147, v143
	ds_load_2addr_b64 v[142:145], v136 offset0:20 offset1:21
	v_pk_add_f32 v[54:55], v[54:55], v[146:147] neg_lo:[0,1] neg_hi:[0,1]
	s_wait_dscnt 0x0
	v_pk_mul_f32 v[146:147], v[142:143], v[134:135] op_sel:[0,1]
	v_pk_fma_f32 v[148:149], v[142:143], v[132:133], v[146:147] op_sel:[0,0,1] op_sel_hi:[1,1,0] neg_lo:[0,0,1] neg_hi:[0,0,1]
	v_pk_fma_f32 v[142:143], v[142:143], v[132:133], v[146:147] op_sel:[0,0,1] op_sel_hi:[1,0,0]
	s_delay_alu instid0(VALU_DEP_1) | instskip(SKIP_1) | instid1(VALU_DEP_1)
	v_mov_b32_e32 v149, v143
	v_pk_mul_f32 v[142:143], v[144:145], v[134:135] op_sel:[0,1]
	v_pk_fma_f32 v[146:147], v[144:145], v[132:133], v[142:143] op_sel:[0,0,1] op_sel_hi:[1,1,0] neg_lo:[0,0,1] neg_hi:[0,0,1]
	v_pk_fma_f32 v[142:143], v[144:145], v[132:133], v[142:143] op_sel:[0,0,1] op_sel_hi:[1,0,0]
	s_delay_alu instid0(VALU_DEP_1)
	v_mov_b32_e32 v147, v143
	ds_load_2addr_b64 v[142:145], v136 offset0:22 offset1:23
	v_pk_add_f32 v[104:105], v[104:105], v[148:149] neg_lo:[0,1] neg_hi:[0,1]
	v_pk_add_f32 v[102:103], v[102:103], v[146:147] neg_lo:[0,1] neg_hi:[0,1]
	s_wait_dscnt 0x0
	v_pk_mul_f32 v[146:147], v[142:143], v[134:135] op_sel:[0,1]
	s_delay_alu instid0(VALU_DEP_1) | instskip(SKIP_1) | instid1(VALU_DEP_1)
	v_pk_fma_f32 v[148:149], v[142:143], v[132:133], v[146:147] op_sel:[0,0,1] op_sel_hi:[1,1,0] neg_lo:[0,0,1] neg_hi:[0,0,1]
	v_pk_fma_f32 v[142:143], v[142:143], v[132:133], v[146:147] op_sel:[0,0,1] op_sel_hi:[1,0,0]
	v_mov_b32_e32 v149, v143
	v_pk_mul_f32 v[142:143], v[144:145], v[134:135] op_sel:[0,1]
	s_delay_alu instid0(VALU_DEP_1) | instskip(SKIP_1) | instid1(VALU_DEP_1)
	v_pk_fma_f32 v[146:147], v[144:145], v[132:133], v[142:143] op_sel:[0,0,1] op_sel_hi:[1,1,0] neg_lo:[0,0,1] neg_hi:[0,0,1]
	v_pk_fma_f32 v[142:143], v[144:145], v[132:133], v[142:143] op_sel:[0,0,1] op_sel_hi:[1,0,0]
	v_mov_b32_e32 v147, v143
	ds_load_2addr_b64 v[142:145], v136 offset0:24 offset1:25
	v_pk_add_f32 v[52:53], v[52:53], v[148:149] neg_lo:[0,1] neg_hi:[0,1]
	v_pk_add_f32 v[50:51], v[50:51], v[146:147] neg_lo:[0,1] neg_hi:[0,1]
	s_wait_dscnt 0x0
	v_dual_mul_f32 v146, v143, v135 :: v_dual_mul_f32 v148, v143, v132
	s_delay_alu instid0(VALU_DEP_1) | instskip(NEXT) | instid1(VALU_DEP_2)
	v_pk_fma_f32 v[146:147], v[142:143], v[118:119], v[146:147] op_sel_hi:[1,1,0] neg_lo:[0,0,1] neg_hi:[0,0,1]
	v_pk_fma_f32 v[142:143], v[142:143], v[118:119], v[148:149] op_sel:[1,0,0] op_sel_hi:[0,1,0]
	s_delay_alu instid0(VALU_DEP_1) | instskip(SKIP_1) | instid1(VALU_DEP_2)
	v_mov_b32_e32 v147, v143
	v_pk_mul_f32 v[142:143], v[144:145], v[134:135] op_sel:[0,1]
	v_pk_add_f32 v[100:101], v[100:101], v[146:147] neg_lo:[0,1] neg_hi:[0,1]
	s_delay_alu instid0(VALU_DEP_2) | instskip(SKIP_1) | instid1(VALU_DEP_1)
	v_pk_fma_f32 v[146:147], v[144:145], v[132:133], v[142:143] op_sel:[0,0,1] op_sel_hi:[1,1,0] neg_lo:[0,0,1] neg_hi:[0,0,1]
	v_pk_fma_f32 v[142:143], v[144:145], v[132:133], v[142:143] op_sel:[0,0,1] op_sel_hi:[1,0,0]
	v_mov_b32_e32 v147, v143
	ds_load_2addr_b64 v[142:145], v136 offset0:26 offset1:27
	v_pk_add_f32 v[98:99], v[98:99], v[146:147] neg_lo:[0,1] neg_hi:[0,1]
	s_wait_dscnt 0x0
	v_pk_mul_f32 v[146:147], v[142:143], v[134:135] op_sel:[0,1]
	s_delay_alu instid0(VALU_DEP_1) | instskip(SKIP_1) | instid1(VALU_DEP_1)
	v_pk_fma_f32 v[148:149], v[142:143], v[132:133], v[146:147] op_sel:[0,0,1] op_sel_hi:[1,1,0] neg_lo:[0,0,1] neg_hi:[0,0,1]
	v_pk_fma_f32 v[142:143], v[142:143], v[132:133], v[146:147] op_sel:[0,0,1] op_sel_hi:[1,0,0]
	v_mov_b32_e32 v149, v143
	v_pk_mul_f32 v[142:143], v[144:145], v[134:135] op_sel:[0,1]
	s_delay_alu instid0(VALU_DEP_2) | instskip(NEXT) | instid1(VALU_DEP_2)
	v_pk_add_f32 v[48:49], v[48:49], v[148:149] neg_lo:[0,1] neg_hi:[0,1]
	v_pk_fma_f32 v[146:147], v[144:145], v[132:133], v[142:143] op_sel:[0,0,1] op_sel_hi:[1,1,0] neg_lo:[0,0,1] neg_hi:[0,0,1]
	v_pk_fma_f32 v[142:143], v[144:145], v[132:133], v[142:143] op_sel:[0,0,1] op_sel_hi:[1,0,0]
	s_delay_alu instid0(VALU_DEP_1) | instskip(SKIP_4) | instid1(VALU_DEP_1)
	v_mov_b32_e32 v147, v143
	ds_load_2addr_b64 v[142:145], v136 offset0:28 offset1:29
	v_pk_add_f32 v[46:47], v[46:47], v[146:147] neg_lo:[0,1] neg_hi:[0,1]
	s_wait_dscnt 0x0
	v_pk_mul_f32 v[146:147], v[142:143], v[134:135] op_sel:[0,1]
	v_pk_fma_f32 v[148:149], v[142:143], v[132:133], v[146:147] op_sel:[0,0,1] op_sel_hi:[1,1,0] neg_lo:[0,0,1] neg_hi:[0,0,1]
	v_pk_fma_f32 v[142:143], v[142:143], v[132:133], v[146:147] op_sel:[0,0,1] op_sel_hi:[1,0,0]
	v_dual_mul_f32 v146, v145, v135 :: v_dual_mov_b32 v142, v145
	s_delay_alu instid0(VALU_DEP_2) | instskip(NEXT) | instid1(VALU_DEP_2)
	v_dual_mov_b32 v149, v143 :: v_dual_mov_b32 v143, v144
	v_pk_fma_f32 v[146:147], v[144:145], v[118:119], v[146:147] op_sel_hi:[1,1,0] neg_lo:[0,0,1] neg_hi:[0,0,1]
	v_mul_f32_e32 v144, v145, v132
	s_delay_alu instid0(VALU_DEP_3) | instskip(NEXT) | instid1(VALU_DEP_2)
	v_pk_add_f32 v[96:97], v[96:97], v[148:149] neg_lo:[0,1] neg_hi:[0,1]
	v_pk_fma_f32 v[142:143], v[142:143], v[118:119], v[144:145] op_sel_hi:[1,1,0]
	s_delay_alu instid0(VALU_DEP_1) | instskip(SKIP_4) | instid1(VALU_DEP_1)
	v_mov_b32_e32 v147, v143
	ds_load_2addr_b64 v[142:145], v136 offset0:30 offset1:31
	v_pk_add_f32 v[94:95], v[94:95], v[146:147] neg_lo:[0,1] neg_hi:[0,1]
	s_wait_dscnt 0x0
	v_pk_mul_f32 v[146:147], v[142:143], v[134:135] op_sel:[0,1]
	v_pk_fma_f32 v[148:149], v[142:143], v[132:133], v[146:147] op_sel:[0,0,1] op_sel_hi:[1,1,0] neg_lo:[0,0,1] neg_hi:[0,0,1]
	v_pk_fma_f32 v[142:143], v[142:143], v[132:133], v[146:147] op_sel:[0,0,1] op_sel_hi:[1,0,0]
	s_delay_alu instid0(VALU_DEP_1) | instskip(SKIP_1) | instid1(VALU_DEP_1)
	v_mov_b32_e32 v149, v143
	v_pk_mul_f32 v[142:143], v[144:145], v[134:135] op_sel:[0,1]
	v_pk_fma_f32 v[146:147], v[144:145], v[132:133], v[142:143] op_sel:[0,0,1] op_sel_hi:[1,1,0] neg_lo:[0,0,1] neg_hi:[0,0,1]
	v_pk_fma_f32 v[142:143], v[144:145], v[132:133], v[142:143] op_sel:[0,0,1] op_sel_hi:[1,0,0]
	s_delay_alu instid0(VALU_DEP_1)
	v_mov_b32_e32 v147, v143
	ds_load_2addr_b64 v[142:145], v136 offset0:32 offset1:33
	v_pk_add_f32 v[44:45], v[44:45], v[148:149] neg_lo:[0,1] neg_hi:[0,1]
	v_pk_add_f32 v[42:43], v[42:43], v[146:147] neg_lo:[0,1] neg_hi:[0,1]
	s_wait_dscnt 0x0
	v_pk_mul_f32 v[146:147], v[142:143], v[134:135] op_sel:[0,1]
	s_delay_alu instid0(VALU_DEP_1) | instskip(SKIP_1) | instid1(VALU_DEP_1)
	v_pk_fma_f32 v[148:149], v[142:143], v[132:133], v[146:147] op_sel:[0,0,1] op_sel_hi:[1,1,0] neg_lo:[0,0,1] neg_hi:[0,0,1]
	v_pk_fma_f32 v[142:143], v[142:143], v[132:133], v[146:147] op_sel:[0,0,1] op_sel_hi:[1,0,0]
	v_mov_b32_e32 v149, v143
	v_pk_mul_f32 v[142:143], v[144:145], v[134:135] op_sel:[0,1]
	s_delay_alu instid0(VALU_DEP_1) | instskip(SKIP_1) | instid1(VALU_DEP_1)
	v_pk_fma_f32 v[146:147], v[144:145], v[132:133], v[142:143] op_sel:[0,0,1] op_sel_hi:[1,1,0] neg_lo:[0,0,1] neg_hi:[0,0,1]
	v_pk_fma_f32 v[142:143], v[144:145], v[132:133], v[142:143] op_sel:[0,0,1] op_sel_hi:[1,0,0]
	v_mov_b32_e32 v147, v143
	ds_load_2addr_b64 v[142:145], v136 offset0:34 offset1:35
	v_pk_add_f32 v[92:93], v[92:93], v[148:149] neg_lo:[0,1] neg_hi:[0,1]
	v_pk_add_f32 v[90:91], v[90:91], v[146:147] neg_lo:[0,1] neg_hi:[0,1]
	s_wait_dscnt 0x0
	v_dual_mul_f32 v146, v143, v135 :: v_dual_mul_f32 v148, v143, v132
	s_delay_alu instid0(VALU_DEP_1) | instskip(NEXT) | instid1(VALU_DEP_2)
	v_pk_fma_f32 v[146:147], v[142:143], v[118:119], v[146:147] op_sel_hi:[1,1,0] neg_lo:[0,0,1] neg_hi:[0,0,1]
	v_pk_fma_f32 v[142:143], v[142:143], v[118:119], v[148:149] op_sel:[1,0,0] op_sel_hi:[0,1,0]
	s_delay_alu instid0(VALU_DEP_1) | instskip(SKIP_1) | instid1(VALU_DEP_2)
	v_mov_b32_e32 v147, v143
	v_pk_mul_f32 v[142:143], v[144:145], v[134:135] op_sel:[0,1]
	v_pk_add_f32 v[40:41], v[40:41], v[146:147] neg_lo:[0,1] neg_hi:[0,1]
	s_delay_alu instid0(VALU_DEP_2) | instskip(SKIP_1) | instid1(VALU_DEP_1)
	v_pk_fma_f32 v[146:147], v[144:145], v[132:133], v[142:143] op_sel:[0,0,1] op_sel_hi:[1,1,0] neg_lo:[0,0,1] neg_hi:[0,0,1]
	v_pk_fma_f32 v[142:143], v[144:145], v[132:133], v[142:143] op_sel:[0,0,1] op_sel_hi:[1,0,0]
	v_mov_b32_e32 v147, v143
	ds_load_2addr_b64 v[142:145], v136 offset0:36 offset1:37
	v_pk_add_f32 v[38:39], v[38:39], v[146:147] neg_lo:[0,1] neg_hi:[0,1]
	s_wait_dscnt 0x0
	v_pk_mul_f32 v[146:147], v[142:143], v[134:135] op_sel:[0,1]
	s_delay_alu instid0(VALU_DEP_1) | instskip(SKIP_1) | instid1(VALU_DEP_1)
	v_pk_fma_f32 v[148:149], v[142:143], v[132:133], v[146:147] op_sel:[0,0,1] op_sel_hi:[1,1,0] neg_lo:[0,0,1] neg_hi:[0,0,1]
	v_pk_fma_f32 v[142:143], v[142:143], v[132:133], v[146:147] op_sel:[0,0,1] op_sel_hi:[1,0,0]
	v_mov_b32_e32 v149, v143
	v_pk_mul_f32 v[142:143], v[144:145], v[134:135] op_sel:[0,1]
	s_delay_alu instid0(VALU_DEP_2) | instskip(NEXT) | instid1(VALU_DEP_2)
	v_pk_add_f32 v[88:89], v[88:89], v[148:149] neg_lo:[0,1] neg_hi:[0,1]
	v_pk_fma_f32 v[146:147], v[144:145], v[132:133], v[142:143] op_sel:[0,0,1] op_sel_hi:[1,1,0] neg_lo:[0,0,1] neg_hi:[0,0,1]
	v_pk_fma_f32 v[142:143], v[144:145], v[132:133], v[142:143] op_sel:[0,0,1] op_sel_hi:[1,0,0]
	s_delay_alu instid0(VALU_DEP_1) | instskip(SKIP_4) | instid1(VALU_DEP_1)
	v_mov_b32_e32 v147, v143
	ds_load_2addr_b64 v[142:145], v136 offset0:38 offset1:39
	v_pk_add_f32 v[86:87], v[86:87], v[146:147] neg_lo:[0,1] neg_hi:[0,1]
	s_wait_dscnt 0x0
	v_pk_mul_f32 v[146:147], v[142:143], v[134:135] op_sel:[0,1]
	v_pk_fma_f32 v[148:149], v[142:143], v[132:133], v[146:147] op_sel:[0,0,1] op_sel_hi:[1,1,0] neg_lo:[0,0,1] neg_hi:[0,0,1]
	v_pk_fma_f32 v[142:143], v[142:143], v[132:133], v[146:147] op_sel:[0,0,1] op_sel_hi:[1,0,0]
	v_dual_mul_f32 v146, v145, v135 :: v_dual_mov_b32 v142, v145
	s_delay_alu instid0(VALU_DEP_2) | instskip(NEXT) | instid1(VALU_DEP_2)
	v_dual_mov_b32 v149, v143 :: v_dual_mov_b32 v143, v144
	v_pk_fma_f32 v[146:147], v[144:145], v[118:119], v[146:147] op_sel_hi:[1,1,0] neg_lo:[0,0,1] neg_hi:[0,0,1]
	v_mul_f32_e32 v144, v145, v132
	s_delay_alu instid0(VALU_DEP_3) | instskip(NEXT) | instid1(VALU_DEP_2)
	v_pk_add_f32 v[36:37], v[36:37], v[148:149] neg_lo:[0,1] neg_hi:[0,1]
	v_pk_fma_f32 v[142:143], v[142:143], v[118:119], v[144:145] op_sel_hi:[1,1,0]
	s_delay_alu instid0(VALU_DEP_1) | instskip(SKIP_4) | instid1(VALU_DEP_1)
	v_mov_b32_e32 v147, v143
	ds_load_2addr_b64 v[142:145], v136 offset0:40 offset1:41
	v_pk_add_f32 v[32:33], v[32:33], v[146:147] neg_lo:[0,1] neg_hi:[0,1]
	s_wait_dscnt 0x0
	v_pk_mul_f32 v[146:147], v[142:143], v[134:135] op_sel:[0,1]
	v_pk_fma_f32 v[148:149], v[142:143], v[132:133], v[146:147] op_sel:[0,0,1] op_sel_hi:[1,1,0] neg_lo:[0,0,1] neg_hi:[0,0,1]
	v_pk_fma_f32 v[142:143], v[142:143], v[132:133], v[146:147] op_sel:[0,0,1] op_sel_hi:[1,0,0]
	s_delay_alu instid0(VALU_DEP_1) | instskip(SKIP_1) | instid1(VALU_DEP_1)
	v_mov_b32_e32 v149, v143
	v_pk_mul_f32 v[142:143], v[144:145], v[134:135] op_sel:[0,1]
	v_pk_fma_f32 v[146:147], v[144:145], v[132:133], v[142:143] op_sel:[0,0,1] op_sel_hi:[1,1,0] neg_lo:[0,0,1] neg_hi:[0,0,1]
	v_pk_fma_f32 v[142:143], v[144:145], v[132:133], v[142:143] op_sel:[0,0,1] op_sel_hi:[1,0,0]
	s_delay_alu instid0(VALU_DEP_1)
	v_mov_b32_e32 v147, v143
	ds_load_2addr_b64 v[142:145], v136 offset0:42 offset1:43
	v_pk_add_f32 v[84:85], v[84:85], v[148:149] neg_lo:[0,1] neg_hi:[0,1]
	v_pk_add_f32 v[82:83], v[82:83], v[146:147] neg_lo:[0,1] neg_hi:[0,1]
	s_wait_dscnt 0x0
	v_pk_mul_f32 v[146:147], v[142:143], v[134:135] op_sel:[0,1]
	s_delay_alu instid0(VALU_DEP_1) | instskip(SKIP_1) | instid1(VALU_DEP_1)
	v_pk_fma_f32 v[148:149], v[142:143], v[132:133], v[146:147] op_sel:[0,0,1] op_sel_hi:[1,1,0] neg_lo:[0,0,1] neg_hi:[0,0,1]
	v_pk_fma_f32 v[142:143], v[142:143], v[132:133], v[146:147] op_sel:[0,0,1] op_sel_hi:[1,0,0]
	v_mov_b32_e32 v149, v143
	v_pk_mul_f32 v[142:143], v[144:145], v[134:135] op_sel:[0,1]
	s_delay_alu instid0(VALU_DEP_1) | instskip(SKIP_1) | instid1(VALU_DEP_1)
	v_pk_fma_f32 v[146:147], v[144:145], v[132:133], v[142:143] op_sel:[0,0,1] op_sel_hi:[1,1,0] neg_lo:[0,0,1] neg_hi:[0,0,1]
	v_pk_fma_f32 v[142:143], v[144:145], v[132:133], v[142:143] op_sel:[0,0,1] op_sel_hi:[1,0,0]
	v_mov_b32_e32 v147, v143
	ds_load_2addr_b64 v[142:145], v136 offset0:44 offset1:45
	v_pk_add_f32 v[24:25], v[24:25], v[148:149] neg_lo:[0,1] neg_hi:[0,1]
	v_pk_add_f32 v[22:23], v[22:23], v[146:147] neg_lo:[0,1] neg_hi:[0,1]
	s_wait_dscnt 0x0
	v_dual_mul_f32 v146, v143, v135 :: v_dual_mul_f32 v148, v143, v132
	s_delay_alu instid0(VALU_DEP_1) | instskip(NEXT) | instid1(VALU_DEP_2)
	v_pk_fma_f32 v[146:147], v[142:143], v[118:119], v[146:147] op_sel_hi:[1,1,0] neg_lo:[0,0,1] neg_hi:[0,0,1]
	v_pk_fma_f32 v[142:143], v[142:143], v[118:119], v[148:149] op_sel:[1,0,0] op_sel_hi:[0,1,0]
	s_delay_alu instid0(VALU_DEP_1) | instskip(SKIP_1) | instid1(VALU_DEP_2)
	v_mov_b32_e32 v147, v143
	v_pk_mul_f32 v[142:143], v[144:145], v[134:135] op_sel:[0,1]
	v_pk_add_f32 v[80:81], v[80:81], v[146:147] neg_lo:[0,1] neg_hi:[0,1]
	s_delay_alu instid0(VALU_DEP_2) | instskip(SKIP_1) | instid1(VALU_DEP_1)
	v_pk_fma_f32 v[146:147], v[144:145], v[132:133], v[142:143] op_sel:[0,0,1] op_sel_hi:[1,1,0] neg_lo:[0,0,1] neg_hi:[0,0,1]
	v_pk_fma_f32 v[142:143], v[144:145], v[132:133], v[142:143] op_sel:[0,0,1] op_sel_hi:[1,0,0]
	v_mov_b32_e32 v147, v143
	ds_load_2addr_b64 v[142:145], v136 offset0:46 offset1:47
	v_pk_add_f32 v[78:79], v[78:79], v[146:147] neg_lo:[0,1] neg_hi:[0,1]
	s_wait_dscnt 0x0
	v_pk_mul_f32 v[146:147], v[142:143], v[134:135] op_sel:[0,1]
	s_delay_alu instid0(VALU_DEP_1) | instskip(SKIP_1) | instid1(VALU_DEP_1)
	v_pk_fma_f32 v[148:149], v[142:143], v[132:133], v[146:147] op_sel:[0,0,1] op_sel_hi:[1,1,0] neg_lo:[0,0,1] neg_hi:[0,0,1]
	v_pk_fma_f32 v[142:143], v[142:143], v[132:133], v[146:147] op_sel:[0,0,1] op_sel_hi:[1,0,0]
	v_mov_b32_e32 v149, v143
	v_pk_mul_f32 v[142:143], v[144:145], v[134:135] op_sel:[0,1]
	s_delay_alu instid0(VALU_DEP_2) | instskip(NEXT) | instid1(VALU_DEP_2)
	v_pk_add_f32 v[20:21], v[20:21], v[148:149] neg_lo:[0,1] neg_hi:[0,1]
	v_pk_fma_f32 v[146:147], v[144:145], v[132:133], v[142:143] op_sel:[0,0,1] op_sel_hi:[1,1,0] neg_lo:[0,0,1] neg_hi:[0,0,1]
	v_pk_fma_f32 v[142:143], v[144:145], v[132:133], v[142:143] op_sel:[0,0,1] op_sel_hi:[1,0,0]
	s_delay_alu instid0(VALU_DEP_1) | instskip(SKIP_4) | instid1(VALU_DEP_1)
	v_mov_b32_e32 v147, v143
	ds_load_2addr_b64 v[142:145], v136 offset0:48 offset1:49
	v_pk_add_f32 v[18:19], v[18:19], v[146:147] neg_lo:[0,1] neg_hi:[0,1]
	s_wait_dscnt 0x0
	v_pk_mul_f32 v[146:147], v[142:143], v[134:135] op_sel:[0,1]
	v_pk_fma_f32 v[148:149], v[142:143], v[132:133], v[146:147] op_sel:[0,0,1] op_sel_hi:[1,1,0] neg_lo:[0,0,1] neg_hi:[0,0,1]
	v_pk_fma_f32 v[142:143], v[142:143], v[132:133], v[146:147] op_sel:[0,0,1] op_sel_hi:[1,0,0]
	v_dual_mul_f32 v146, v145, v135 :: v_dual_mov_b32 v142, v145
	s_delay_alu instid0(VALU_DEP_2) | instskip(NEXT) | instid1(VALU_DEP_2)
	v_dual_mov_b32 v149, v143 :: v_dual_mov_b32 v143, v144
	v_pk_fma_f32 v[146:147], v[144:145], v[118:119], v[146:147] op_sel_hi:[1,1,0] neg_lo:[0,0,1] neg_hi:[0,0,1]
	v_mul_f32_e32 v144, v145, v132
	s_delay_alu instid0(VALU_DEP_3) | instskip(NEXT) | instid1(VALU_DEP_2)
	v_pk_add_f32 v[76:77], v[76:77], v[148:149] neg_lo:[0,1] neg_hi:[0,1]
	v_pk_fma_f32 v[142:143], v[142:143], v[118:119], v[144:145] op_sel_hi:[1,1,0]
	s_delay_alu instid0(VALU_DEP_1) | instskip(SKIP_4) | instid1(VALU_DEP_1)
	v_mov_b32_e32 v147, v143
	ds_load_2addr_b64 v[142:145], v136 offset0:50 offset1:51
	v_pk_add_f32 v[74:75], v[74:75], v[146:147] neg_lo:[0,1] neg_hi:[0,1]
	s_wait_dscnt 0x0
	v_pk_mul_f32 v[146:147], v[142:143], v[134:135] op_sel:[0,1]
	v_pk_fma_f32 v[148:149], v[142:143], v[132:133], v[146:147] op_sel:[0,0,1] op_sel_hi:[1,1,0] neg_lo:[0,0,1] neg_hi:[0,0,1]
	v_pk_fma_f32 v[142:143], v[142:143], v[132:133], v[146:147] op_sel:[0,0,1] op_sel_hi:[1,0,0]
	s_delay_alu instid0(VALU_DEP_1) | instskip(SKIP_1) | instid1(VALU_DEP_1)
	v_mov_b32_e32 v149, v143
	v_pk_mul_f32 v[142:143], v[144:145], v[134:135] op_sel:[0,1]
	v_pk_fma_f32 v[146:147], v[144:145], v[132:133], v[142:143] op_sel:[0,0,1] op_sel_hi:[1,1,0] neg_lo:[0,0,1] neg_hi:[0,0,1]
	v_pk_fma_f32 v[142:143], v[144:145], v[132:133], v[142:143] op_sel:[0,0,1] op_sel_hi:[1,0,0]
	s_delay_alu instid0(VALU_DEP_1)
	v_mov_b32_e32 v147, v143
	ds_load_2addr_b64 v[142:145], v136 offset0:52 offset1:53
	v_pk_add_f32 v[16:17], v[16:17], v[148:149] neg_lo:[0,1] neg_hi:[0,1]
	v_pk_add_f32 v[28:29], v[28:29], v[146:147] neg_lo:[0,1] neg_hi:[0,1]
	s_wait_dscnt 0x0
	v_pk_mul_f32 v[146:147], v[142:143], v[134:135] op_sel:[0,1]
	s_delay_alu instid0(VALU_DEP_1) | instskip(SKIP_1) | instid1(VALU_DEP_1)
	v_pk_fma_f32 v[148:149], v[142:143], v[132:133], v[146:147] op_sel:[0,0,1] op_sel_hi:[1,1,0] neg_lo:[0,0,1] neg_hi:[0,0,1]
	v_pk_fma_f32 v[142:143], v[142:143], v[132:133], v[146:147] op_sel:[0,0,1] op_sel_hi:[1,0,0]
	v_mov_b32_e32 v149, v143
	v_pk_mul_f32 v[142:143], v[144:145], v[134:135] op_sel:[0,1]
	s_delay_alu instid0(VALU_DEP_1) | instskip(SKIP_1) | instid1(VALU_DEP_1)
	v_pk_fma_f32 v[146:147], v[144:145], v[132:133], v[142:143] op_sel:[0,0,1] op_sel_hi:[1,1,0] neg_lo:[0,0,1] neg_hi:[0,0,1]
	v_pk_fma_f32 v[142:143], v[144:145], v[132:133], v[142:143] op_sel:[0,0,1] op_sel_hi:[1,0,0]
	v_mov_b32_e32 v147, v143
	ds_load_2addr_b64 v[142:145], v136 offset0:54 offset1:55
	v_pk_add_f32 v[68:69], v[68:69], v[148:149] neg_lo:[0,1] neg_hi:[0,1]
	v_pk_add_f32 v[66:67], v[66:67], v[146:147] neg_lo:[0,1] neg_hi:[0,1]
	s_wait_dscnt 0x0
	v_dual_mul_f32 v146, v143, v135 :: v_dual_mul_f32 v148, v143, v132
	s_delay_alu instid0(VALU_DEP_1) | instskip(NEXT) | instid1(VALU_DEP_2)
	v_pk_fma_f32 v[146:147], v[142:143], v[118:119], v[146:147] op_sel_hi:[1,1,0] neg_lo:[0,0,1] neg_hi:[0,0,1]
	v_pk_fma_f32 v[142:143], v[142:143], v[118:119], v[148:149] op_sel:[1,0,0] op_sel_hi:[0,1,0]
	s_delay_alu instid0(VALU_DEP_1) | instskip(SKIP_1) | instid1(VALU_DEP_2)
	v_mov_b32_e32 v147, v143
	v_pk_mul_f32 v[142:143], v[144:145], v[134:135] op_sel:[0,1]
	v_pk_add_f32 v[10:11], v[10:11], v[146:147] neg_lo:[0,1] neg_hi:[0,1]
	s_delay_alu instid0(VALU_DEP_2) | instskip(SKIP_1) | instid1(VALU_DEP_1)
	v_pk_fma_f32 v[146:147], v[144:145], v[132:133], v[142:143] op_sel:[0,0,1] op_sel_hi:[1,1,0] neg_lo:[0,0,1] neg_hi:[0,0,1]
	v_pk_fma_f32 v[142:143], v[144:145], v[132:133], v[142:143] op_sel:[0,0,1] op_sel_hi:[1,0,0]
	v_mov_b32_e32 v147, v143
	ds_load_2addr_b64 v[142:145], v136 offset0:56 offset1:57
	v_pk_add_f32 v[8:9], v[8:9], v[146:147] neg_lo:[0,1] neg_hi:[0,1]
	s_wait_dscnt 0x0
	v_pk_mul_f32 v[146:147], v[142:143], v[134:135] op_sel:[0,1]
	s_delay_alu instid0(VALU_DEP_1) | instskip(SKIP_1) | instid1(VALU_DEP_1)
	v_pk_fma_f32 v[148:149], v[142:143], v[132:133], v[146:147] op_sel:[0,0,1] op_sel_hi:[1,1,0] neg_lo:[0,0,1] neg_hi:[0,0,1]
	v_pk_fma_f32 v[142:143], v[142:143], v[132:133], v[146:147] op_sel:[0,0,1] op_sel_hi:[1,0,0]
	v_mov_b32_e32 v149, v143
	v_pk_mul_f32 v[142:143], v[144:145], v[134:135] op_sel:[0,1]
	s_delay_alu instid0(VALU_DEP_2) | instskip(NEXT) | instid1(VALU_DEP_2)
	v_pk_add_f32 v[34:35], v[34:35], v[148:149] neg_lo:[0,1] neg_hi:[0,1]
	v_pk_fma_f32 v[146:147], v[144:145], v[132:133], v[142:143] op_sel:[0,0,1] op_sel_hi:[1,1,0] neg_lo:[0,0,1] neg_hi:[0,0,1]
	v_pk_fma_f32 v[142:143], v[144:145], v[132:133], v[142:143] op_sel:[0,0,1] op_sel_hi:[1,0,0]
	s_delay_alu instid0(VALU_DEP_1) | instskip(SKIP_4) | instid1(VALU_DEP_1)
	v_mov_b32_e32 v147, v143
	ds_load_2addr_b64 v[142:145], v136 offset0:58 offset1:59
	v_pk_add_f32 v[30:31], v[30:31], v[146:147] neg_lo:[0,1] neg_hi:[0,1]
	s_wait_dscnt 0x0
	v_pk_mul_f32 v[146:147], v[142:143], v[134:135] op_sel:[0,1]
	v_pk_fma_f32 v[148:149], v[142:143], v[132:133], v[146:147] op_sel:[0,0,1] op_sel_hi:[1,1,0] neg_lo:[0,0,1] neg_hi:[0,0,1]
	v_pk_fma_f32 v[142:143], v[142:143], v[132:133], v[146:147] op_sel:[0,0,1] op_sel_hi:[1,0,0]
	v_dual_mul_f32 v146, v145, v135 :: v_dual_mov_b32 v142, v145
	s_delay_alu instid0(VALU_DEP_2) | instskip(NEXT) | instid1(VALU_DEP_2)
	v_dual_mov_b32 v149, v143 :: v_dual_mov_b32 v143, v144
	v_pk_fma_f32 v[146:147], v[144:145], v[118:119], v[146:147] op_sel_hi:[1,1,0] neg_lo:[0,0,1] neg_hi:[0,0,1]
	v_mul_f32_e32 v144, v145, v132
	s_delay_alu instid0(VALU_DEP_3) | instskip(NEXT) | instid1(VALU_DEP_2)
	v_pk_add_f32 v[6:7], v[6:7], v[148:149] neg_lo:[0,1] neg_hi:[0,1]
	v_pk_fma_f32 v[142:143], v[142:143], v[118:119], v[144:145] op_sel_hi:[1,1,0]
	s_delay_alu instid0(VALU_DEP_1) | instskip(SKIP_4) | instid1(VALU_DEP_1)
	v_mov_b32_e32 v147, v143
	ds_load_2addr_b64 v[142:145], v136 offset0:60 offset1:61
	v_pk_add_f32 v[26:27], v[26:27], v[146:147] neg_lo:[0,1] neg_hi:[0,1]
	s_wait_dscnt 0x0
	v_pk_mul_f32 v[146:147], v[142:143], v[134:135] op_sel:[0,1]
	v_pk_fma_f32 v[148:149], v[142:143], v[132:133], v[146:147] op_sel:[0,0,1] op_sel_hi:[1,1,0] neg_lo:[0,0,1] neg_hi:[0,0,1]
	v_pk_fma_f32 v[142:143], v[142:143], v[132:133], v[146:147] op_sel:[0,0,1] op_sel_hi:[1,0,0]
	s_delay_alu instid0(VALU_DEP_1) | instskip(SKIP_1) | instid1(VALU_DEP_1)
	v_mov_b32_e32 v149, v143
	v_pk_mul_f32 v[142:143], v[144:145], v[134:135] op_sel:[0,1]
	v_pk_fma_f32 v[146:147], v[144:145], v[132:133], v[142:143] op_sel:[0,0,1] op_sel_hi:[1,1,0] neg_lo:[0,0,1] neg_hi:[0,0,1]
	v_pk_fma_f32 v[142:143], v[144:145], v[132:133], v[142:143] op_sel:[0,0,1] op_sel_hi:[1,0,0]
	s_delay_alu instid0(VALU_DEP_1)
	v_mov_b32_e32 v147, v143
	ds_load_b64 v[142:143], v136 offset:496
	v_pk_add_f32 v[14:15], v[14:15], v[148:149] neg_lo:[0,1] neg_hi:[0,1]
	v_pk_add_f32 v[12:13], v[12:13], v[146:147] neg_lo:[0,1] neg_hi:[0,1]
	s_wait_dscnt 0x0
	v_pk_mul_f32 v[134:135], v[142:143], v[134:135] op_sel:[0,1]
	s_delay_alu instid0(VALU_DEP_1) | instskip(SKIP_1) | instid1(VALU_DEP_1)
	v_pk_fma_f32 v[144:145], v[142:143], v[132:133], v[134:135] op_sel:[0,0,1] op_sel_hi:[1,1,0] neg_lo:[0,0,1] neg_hi:[0,0,1]
	v_pk_fma_f32 v[132:133], v[142:143], v[132:133], v[134:135] op_sel:[0,0,1] op_sel_hi:[1,0,0]
	v_mov_b32_e32 v145, v133
	s_delay_alu instid0(VALU_DEP_1)
	v_pk_add_f32 v[130:131], v[130:131], v[144:145] neg_lo:[0,1] neg_hi:[0,1]
.LBB124_125:
	s_or_b32 exec_lo, exec_lo, s0
	v_lshl_add_u32 v132, v140, 3, v136
	s_barrier_signal -1
	s_barrier_wait -1
	ds_store_b64 v132, v[72:73]
	s_wait_dscnt 0x0
	s_barrier_signal -1
	s_barrier_wait -1
	ds_load_b64 v[134:135], v136 offset:48
	v_mov_b32_e32 v132, 6
	s_cmp_lt_i32 s18, 8
	s_cbranch_scc1 .LBB124_128
; %bb.126:
	v_add3_u32 v133, v137, 0, 56
	v_mov_b32_e32 v132, 6
	s_mov_b32 s0, 7
.LBB124_127:                            ; =>This Inner Loop Header: Depth=1
	ds_load_b64 v[142:143], v133
	s_wait_dscnt 0x1
	v_cmp_gt_f32_e32 vcc_lo, 0, v134
	v_cndmask_b32_e64 v144, v134, -v134, vcc_lo
	v_cmp_gt_f32_e32 vcc_lo, 0, v135
	v_cndmask_b32_e64 v146, v135, -v135, vcc_lo
	s_wait_dscnt 0x0
	v_cmp_gt_f32_e32 vcc_lo, 0, v142
	v_cndmask_b32_e64 v145, v142, -v142, vcc_lo
	v_cmp_gt_f32_e32 vcc_lo, 0, v143
	v_cndmask_b32_e64 v147, v143, -v143, vcc_lo
	s_delay_alu instid0(VALU_DEP_1) | instskip(NEXT) | instid1(VALU_DEP_1)
	v_pk_add_f32 v[144:145], v[144:145], v[146:147]
	v_cmp_lt_f32_e32 vcc_lo, v144, v145
	v_dual_add_nc_u32 v133, 8, v133 :: v_dual_cndmask_b32 v135, v135, v143, vcc_lo
	v_cndmask_b32_e32 v134, v134, v142, vcc_lo
	v_cndmask_b32_e64 v132, v132, s0, vcc_lo
	s_add_co_i32 s0, s0, 1
	s_delay_alu instid0(SALU_CYCLE_1)
	s_cmp_lg_u32 s18, s0
	s_cbranch_scc1 .LBB124_127
.LBB124_128:
	s_wait_dscnt 0x0
	v_cmp_eq_f32_e32 vcc_lo, 0, v134
	v_cmp_eq_f32_e64 s0, 0, v135
	s_and_b32 s0, vcc_lo, s0
	s_delay_alu instid0(SALU_CYCLE_1) | instskip(NEXT) | instid1(SALU_CYCLE_1)
	s_and_saveexec_b32 s1, s0
	s_xor_b32 s0, exec_lo, s1
; %bb.129:
	v_cmp_ne_u32_e32 vcc_lo, 0, v138
	v_cndmask_b32_e32 v138, 7, v138, vcc_lo
; %bb.130:
	s_and_not1_saveexec_b32 s0, s0
	s_cbranch_execz .LBB124_136
; %bb.131:
	v_cmp_ngt_f32_e64 s1, |v134|, |v135|
	s_and_saveexec_b32 s12, s1
	s_delay_alu instid0(SALU_CYCLE_1)
	s_xor_b32 s1, exec_lo, s12
	s_cbranch_execz .LBB124_133
; %bb.132:
	v_div_scale_f32 v133, null, v135, v135, v134
	v_div_scale_f32 v143, vcc_lo, v134, v135, v134
	s_delay_alu instid0(VALU_DEP_2) | instskip(SKIP_1) | instid1(TRANS32_DEP_1)
	v_rcp_f32_e32 v141, v133
	v_nop
	v_fma_f32 v142, -v133, v141, 1.0
	s_delay_alu instid0(VALU_DEP_1) | instskip(NEXT) | instid1(VALU_DEP_1)
	v_fmac_f32_e32 v141, v142, v141
	v_mul_f32_e32 v142, v143, v141
	s_delay_alu instid0(VALU_DEP_1) | instskip(NEXT) | instid1(VALU_DEP_1)
	v_fma_f32 v144, -v133, v142, v143
	v_fmac_f32_e32 v142, v144, v141
	s_delay_alu instid0(VALU_DEP_1) | instskip(NEXT) | instid1(VALU_DEP_1)
	v_fma_f32 v133, -v133, v142, v143
	v_div_fmas_f32 v133, v133, v141, v142
	s_delay_alu instid0(VALU_DEP_1) | instskip(NEXT) | instid1(VALU_DEP_1)
	v_div_fixup_f32 v133, v133, v135, v134
	v_fmac_f32_e32 v135, v134, v133
	s_delay_alu instid0(VALU_DEP_1) | instskip(SKIP_1) | instid1(VALU_DEP_2)
	v_div_scale_f32 v134, null, v135, v135, 1.0
	v_div_scale_f32 v143, vcc_lo, 1.0, v135, 1.0
	v_rcp_f32_e32 v141, v134
	v_nop
	s_delay_alu instid0(TRANS32_DEP_1) | instskip(NEXT) | instid1(VALU_DEP_1)
	v_fma_f32 v142, -v134, v141, 1.0
	v_fmac_f32_e32 v141, v142, v141
	s_delay_alu instid0(VALU_DEP_1) | instskip(NEXT) | instid1(VALU_DEP_1)
	v_mul_f32_e32 v142, v143, v141
	v_fma_f32 v144, -v134, v142, v143
	s_delay_alu instid0(VALU_DEP_1) | instskip(NEXT) | instid1(VALU_DEP_1)
	v_fmac_f32_e32 v142, v144, v141
	v_fma_f32 v134, -v134, v142, v143
	s_delay_alu instid0(VALU_DEP_1) | instskip(NEXT) | instid1(VALU_DEP_1)
	v_div_fmas_f32 v134, v134, v141, v142
	v_div_fixup_f32 v135, v134, v135, 1.0
	s_delay_alu instid0(VALU_DEP_1)
	v_mul_f32_e32 v134, v133, v135
	v_xor_b32_e32 v135, 0x80000000, v135
.LBB124_133:
	s_and_not1_saveexec_b32 s1, s1
	s_cbranch_execz .LBB124_135
; %bb.134:
	s_delay_alu instid0(VALU_DEP_1) | instskip(SKIP_1) | instid1(VALU_DEP_2)
	v_div_scale_f32 v133, null, v134, v134, v135
	v_div_scale_f32 v143, vcc_lo, v135, v134, v135
	v_rcp_f32_e32 v141, v133
	v_nop
	s_delay_alu instid0(TRANS32_DEP_1) | instskip(NEXT) | instid1(VALU_DEP_1)
	v_fma_f32 v142, -v133, v141, 1.0
	v_fmac_f32_e32 v141, v142, v141
	s_delay_alu instid0(VALU_DEP_1) | instskip(NEXT) | instid1(VALU_DEP_1)
	v_mul_f32_e32 v142, v143, v141
	v_fma_f32 v144, -v133, v142, v143
	s_delay_alu instid0(VALU_DEP_1) | instskip(NEXT) | instid1(VALU_DEP_1)
	v_fmac_f32_e32 v142, v144, v141
	v_fma_f32 v133, -v133, v142, v143
	s_delay_alu instid0(VALU_DEP_1) | instskip(NEXT) | instid1(VALU_DEP_1)
	v_div_fmas_f32 v133, v133, v141, v142
	v_div_fixup_f32 v133, v133, v134, v135
	s_delay_alu instid0(VALU_DEP_1) | instskip(NEXT) | instid1(VALU_DEP_1)
	v_fmac_f32_e32 v134, v135, v133
	v_div_scale_f32 v135, null, v134, v134, 1.0
	s_delay_alu instid0(VALU_DEP_1) | instskip(SKIP_1) | instid1(TRANS32_DEP_1)
	v_rcp_f32_e32 v141, v135
	v_nop
	v_fma_f32 v142, -v135, v141, 1.0
	s_delay_alu instid0(VALU_DEP_1) | instskip(SKIP_1) | instid1(VALU_DEP_1)
	v_fmac_f32_e32 v141, v142, v141
	v_div_scale_f32 v142, vcc_lo, 1.0, v134, 1.0
	v_mul_f32_e32 v143, v142, v141
	s_delay_alu instid0(VALU_DEP_1) | instskip(NEXT) | instid1(VALU_DEP_1)
	v_fma_f32 v144, -v135, v143, v142
	v_fmac_f32_e32 v143, v144, v141
	s_delay_alu instid0(VALU_DEP_1) | instskip(NEXT) | instid1(VALU_DEP_1)
	v_fma_f32 v135, -v135, v143, v142
	v_div_fmas_f32 v135, v135, v141, v143
	s_delay_alu instid0(VALU_DEP_1) | instskip(NEXT) | instid1(VALU_DEP_1)
	v_div_fixup_f32 v134, v135, v134, 1.0
	v_mul_f32_e64 v135, v133, -v134
.LBB124_135:
	s_or_b32 exec_lo, exec_lo, s1
.LBB124_136:
	s_delay_alu instid0(SALU_CYCLE_1) | instskip(NEXT) | instid1(SALU_CYCLE_1)
	s_or_b32 exec_lo, exec_lo, s0
	s_mov_b32 s0, exec_lo
	v_cmpx_ne_u32_e64 v140, v132
	s_xor_b32 s0, exec_lo, s0
	s_cbranch_execz .LBB124_142
; %bb.137:
	s_mov_b32 s1, exec_lo
	v_cmpx_eq_u32_e32 6, v140
	s_cbranch_execz .LBB124_141
; %bb.138:
	v_cmp_ne_u32_e32 vcc_lo, 6, v132
	s_xor_b32 s12, s16, -1
	s_delay_alu instid0(SALU_CYCLE_1) | instskip(NEXT) | instid1(SALU_CYCLE_1)
	s_and_b32 s13, s12, vcc_lo
	s_and_saveexec_b32 s12, s13
	s_cbranch_execz .LBB124_140
; %bb.139:
	v_ashrrev_i32_e32 v133, 31, v132
	s_delay_alu instid0(VALU_DEP_1)
	v_lshl_add_u64 v[140:141], v[132:133], 2, v[4:5]
	s_clause 0x1
	global_load_b32 v133, v[140:141], off
	global_load_b32 v139, v[4:5], off offset:24
	s_wait_loadcnt 0x1
	global_store_b32 v[4:5], v133, off offset:24
	s_wait_loadcnt 0x0
	global_store_b32 v[140:141], v139, off
.LBB124_140:
	s_wait_xcnt 0x0
	s_or_b32 exec_lo, exec_lo, s12
	v_dual_mov_b32 v140, v132 :: v_dual_mov_b32 v139, v132
.LBB124_141:
	s_or_b32 exec_lo, exec_lo, s1
.LBB124_142:
	s_and_not1_saveexec_b32 s0, s0
	s_cbranch_execz .LBB124_144
; %bb.143:
	v_mov_b32_e32 v140, 6
	ds_store_2addr_b64 v136, v[70:71], v[116:117] offset0:7 offset1:8
	ds_store_2addr_b64 v136, v[114:115], v[64:65] offset0:9 offset1:10
	ds_store_2addr_b64 v136, v[62:63], v[112:113] offset0:11 offset1:12
	ds_store_2addr_b64 v136, v[110:111], v[60:61] offset0:13 offset1:14
	ds_store_2addr_b64 v136, v[58:59], v[108:109] offset0:15 offset1:16
	ds_store_2addr_b64 v136, v[106:107], v[56:57] offset0:17 offset1:18
	ds_store_2addr_b64 v136, v[54:55], v[104:105] offset0:19 offset1:20
	ds_store_2addr_b64 v136, v[102:103], v[52:53] offset0:21 offset1:22
	ds_store_2addr_b64 v136, v[50:51], v[100:101] offset0:23 offset1:24
	ds_store_2addr_b64 v136, v[98:99], v[48:49] offset0:25 offset1:26
	ds_store_2addr_b64 v136, v[46:47], v[96:97] offset0:27 offset1:28
	ds_store_2addr_b64 v136, v[94:95], v[44:45] offset0:29 offset1:30
	ds_store_2addr_b64 v136, v[42:43], v[92:93] offset0:31 offset1:32
	ds_store_2addr_b64 v136, v[90:91], v[40:41] offset0:33 offset1:34
	ds_store_2addr_b64 v136, v[38:39], v[88:89] offset0:35 offset1:36
	ds_store_2addr_b64 v136, v[86:87], v[36:37] offset0:37 offset1:38
	ds_store_2addr_b64 v136, v[32:33], v[84:85] offset0:39 offset1:40
	ds_store_2addr_b64 v136, v[82:83], v[24:25] offset0:41 offset1:42
	ds_store_2addr_b64 v136, v[22:23], v[80:81] offset0:43 offset1:44
	ds_store_2addr_b64 v136, v[78:79], v[20:21] offset0:45 offset1:46
	ds_store_2addr_b64 v136, v[18:19], v[76:77] offset0:47 offset1:48
	ds_store_2addr_b64 v136, v[74:75], v[16:17] offset0:49 offset1:50
	ds_store_2addr_b64 v136, v[28:29], v[68:69] offset0:51 offset1:52
	ds_store_2addr_b64 v136, v[66:67], v[10:11] offset0:53 offset1:54
	ds_store_2addr_b64 v136, v[8:9], v[34:35] offset0:55 offset1:56
	ds_store_2addr_b64 v136, v[30:31], v[6:7] offset0:57 offset1:58
	ds_store_2addr_b64 v136, v[26:27], v[14:15] offset0:59 offset1:60
	ds_store_2addr_b64 v136, v[12:13], v[130:131] offset0:61 offset1:62
.LBB124_144:
	s_or_b32 exec_lo, exec_lo, s0
	s_delay_alu instid0(SALU_CYCLE_1)
	s_mov_b32 s0, exec_lo
	s_wait_storecnt_dscnt 0x0
	s_barrier_signal -1
	s_barrier_wait -1
	v_cmpx_lt_i32_e32 6, v140
	s_cbranch_execz .LBB124_146
; %bb.145:
	v_pk_mul_f32 v[142:143], v[134:135], v[72:73] op_sel:[1,1] op_sel_hi:[0,1]
	s_delay_alu instid0(VALU_DEP_1)
	v_pk_fma_f32 v[132:133], v[134:135], v[72:73], v[142:143] op_sel_hi:[1,0,1] neg_lo:[0,0,1] neg_hi:[0,0,1]
	v_pk_fma_f32 v[134:135], v[134:135], v[72:73], v[142:143] op_sel_hi:[1,0,1]
	ds_load_2addr_b64 v[142:145], v136 offset0:7 offset1:8
	v_dual_mov_b32 v72, v132 :: v_dual_mov_b32 v73, v135
	s_wait_dscnt 0x0
	v_pk_mul_f32 v[146:147], v[142:143], v[134:135] op_sel:[0,1]
	s_delay_alu instid0(VALU_DEP_1) | instskip(SKIP_1) | instid1(VALU_DEP_1)
	v_pk_fma_f32 v[148:149], v[142:143], v[132:133], v[146:147] op_sel:[0,0,1] op_sel_hi:[1,1,0] neg_lo:[0,0,1] neg_hi:[0,0,1]
	v_pk_fma_f32 v[142:143], v[142:143], v[132:133], v[146:147] op_sel:[0,0,1] op_sel_hi:[1,0,0]
	v_mov_b32_e32 v149, v143
	v_pk_mul_f32 v[142:143], v[144:145], v[134:135] op_sel:[0,1]
	s_delay_alu instid0(VALU_DEP_1) | instskip(SKIP_1) | instid1(VALU_DEP_1)
	v_pk_fma_f32 v[146:147], v[144:145], v[132:133], v[142:143] op_sel:[0,0,1] op_sel_hi:[1,1,0] neg_lo:[0,0,1] neg_hi:[0,0,1]
	v_pk_fma_f32 v[142:143], v[144:145], v[132:133], v[142:143] op_sel:[0,0,1] op_sel_hi:[1,0,0]
	v_mov_b32_e32 v147, v143
	ds_load_2addr_b64 v[142:145], v136 offset0:9 offset1:10
	v_pk_add_f32 v[70:71], v[70:71], v[148:149] neg_lo:[0,1] neg_hi:[0,1]
	v_pk_add_f32 v[116:117], v[116:117], v[146:147] neg_lo:[0,1] neg_hi:[0,1]
	s_wait_dscnt 0x0
	v_pk_mul_f32 v[146:147], v[142:143], v[134:135] op_sel:[0,1]
	s_delay_alu instid0(VALU_DEP_1) | instskip(SKIP_2) | instid1(VALU_DEP_2)
	v_pk_fma_f32 v[148:149], v[142:143], v[132:133], v[146:147] op_sel:[0,0,1] op_sel_hi:[1,1,0] neg_lo:[0,0,1] neg_hi:[0,0,1]
	v_pk_fma_f32 v[142:143], v[142:143], v[132:133], v[146:147] op_sel:[0,0,1] op_sel_hi:[1,0,0]
	v_dual_mul_f32 v146, v145, v135 :: v_dual_mov_b32 v142, v145
	v_dual_mov_b32 v149, v143 :: v_dual_mov_b32 v143, v144
	s_delay_alu instid0(VALU_DEP_2) | instskip(SKIP_1) | instid1(VALU_DEP_3)
	v_pk_fma_f32 v[146:147], v[144:145], v[72:73], v[146:147] op_sel_hi:[1,1,0] neg_lo:[0,0,1] neg_hi:[0,0,1]
	v_mul_f32_e32 v144, v145, v132
	v_pk_add_f32 v[114:115], v[114:115], v[148:149] neg_lo:[0,1] neg_hi:[0,1]
	s_delay_alu instid0(VALU_DEP_2) | instskip(NEXT) | instid1(VALU_DEP_1)
	v_pk_fma_f32 v[142:143], v[142:143], v[72:73], v[144:145] op_sel_hi:[1,1,0]
	v_mov_b32_e32 v147, v143
	ds_load_2addr_b64 v[142:145], v136 offset0:11 offset1:12
	v_pk_add_f32 v[64:65], v[64:65], v[146:147] neg_lo:[0,1] neg_hi:[0,1]
	s_wait_dscnt 0x0
	v_pk_mul_f32 v[146:147], v[142:143], v[134:135] op_sel:[0,1]
	s_delay_alu instid0(VALU_DEP_1) | instskip(SKIP_1) | instid1(VALU_DEP_1)
	v_pk_fma_f32 v[148:149], v[142:143], v[132:133], v[146:147] op_sel:[0,0,1] op_sel_hi:[1,1,0] neg_lo:[0,0,1] neg_hi:[0,0,1]
	v_pk_fma_f32 v[142:143], v[142:143], v[132:133], v[146:147] op_sel:[0,0,1] op_sel_hi:[1,0,0]
	v_mov_b32_e32 v149, v143
	v_pk_mul_f32 v[142:143], v[144:145], v[134:135] op_sel:[0,1]
	s_delay_alu instid0(VALU_DEP_1) | instskip(SKIP_1) | instid1(VALU_DEP_1)
	v_pk_fma_f32 v[146:147], v[144:145], v[132:133], v[142:143] op_sel:[0,0,1] op_sel_hi:[1,1,0] neg_lo:[0,0,1] neg_hi:[0,0,1]
	v_pk_fma_f32 v[142:143], v[144:145], v[132:133], v[142:143] op_sel:[0,0,1] op_sel_hi:[1,0,0]
	v_mov_b32_e32 v147, v143
	ds_load_2addr_b64 v[142:145], v136 offset0:13 offset1:14
	v_pk_add_f32 v[62:63], v[62:63], v[148:149] neg_lo:[0,1] neg_hi:[0,1]
	v_pk_add_f32 v[112:113], v[112:113], v[146:147] neg_lo:[0,1] neg_hi:[0,1]
	s_wait_dscnt 0x0
	v_pk_mul_f32 v[146:147], v[142:143], v[134:135] op_sel:[0,1]
	s_delay_alu instid0(VALU_DEP_1) | instskip(SKIP_1) | instid1(VALU_DEP_1)
	v_pk_fma_f32 v[148:149], v[142:143], v[132:133], v[146:147] op_sel:[0,0,1] op_sel_hi:[1,1,0] neg_lo:[0,0,1] neg_hi:[0,0,1]
	v_pk_fma_f32 v[142:143], v[142:143], v[132:133], v[146:147] op_sel:[0,0,1] op_sel_hi:[1,0,0]
	v_mov_b32_e32 v149, v143
	v_pk_mul_f32 v[142:143], v[144:145], v[134:135] op_sel:[0,1]
	s_delay_alu instid0(VALU_DEP_1) | instskip(SKIP_1) | instid1(VALU_DEP_1)
	v_pk_fma_f32 v[146:147], v[144:145], v[132:133], v[142:143] op_sel:[0,0,1] op_sel_hi:[1,1,0] neg_lo:[0,0,1] neg_hi:[0,0,1]
	v_pk_fma_f32 v[142:143], v[144:145], v[132:133], v[142:143] op_sel:[0,0,1] op_sel_hi:[1,0,0]
	v_mov_b32_e32 v147, v143
	ds_load_2addr_b64 v[142:145], v136 offset0:15 offset1:16
	v_pk_add_f32 v[110:111], v[110:111], v[148:149] neg_lo:[0,1] neg_hi:[0,1]
	v_pk_add_f32 v[60:61], v[60:61], v[146:147] neg_lo:[0,1] neg_hi:[0,1]
	s_wait_dscnt 0x0
	v_dual_mul_f32 v146, v143, v135 :: v_dual_mul_f32 v148, v143, v132
	s_delay_alu instid0(VALU_DEP_1) | instskip(NEXT) | instid1(VALU_DEP_2)
	v_pk_fma_f32 v[146:147], v[142:143], v[72:73], v[146:147] op_sel_hi:[1,1,0] neg_lo:[0,0,1] neg_hi:[0,0,1]
	v_pk_fma_f32 v[142:143], v[142:143], v[72:73], v[148:149] op_sel:[1,0,0] op_sel_hi:[0,1,0]
	s_delay_alu instid0(VALU_DEP_1) | instskip(SKIP_1) | instid1(VALU_DEP_2)
	v_mov_b32_e32 v147, v143
	v_pk_mul_f32 v[142:143], v[144:145], v[134:135] op_sel:[0,1]
	v_pk_add_f32 v[58:59], v[58:59], v[146:147] neg_lo:[0,1] neg_hi:[0,1]
	s_delay_alu instid0(VALU_DEP_2) | instskip(SKIP_1) | instid1(VALU_DEP_1)
	v_pk_fma_f32 v[146:147], v[144:145], v[132:133], v[142:143] op_sel:[0,0,1] op_sel_hi:[1,1,0] neg_lo:[0,0,1] neg_hi:[0,0,1]
	v_pk_fma_f32 v[142:143], v[144:145], v[132:133], v[142:143] op_sel:[0,0,1] op_sel_hi:[1,0,0]
	v_mov_b32_e32 v147, v143
	ds_load_2addr_b64 v[142:145], v136 offset0:17 offset1:18
	v_pk_add_f32 v[108:109], v[108:109], v[146:147] neg_lo:[0,1] neg_hi:[0,1]
	s_wait_dscnt 0x0
	v_pk_mul_f32 v[146:147], v[142:143], v[134:135] op_sel:[0,1]
	s_delay_alu instid0(VALU_DEP_1) | instskip(SKIP_1) | instid1(VALU_DEP_1)
	v_pk_fma_f32 v[148:149], v[142:143], v[132:133], v[146:147] op_sel:[0,0,1] op_sel_hi:[1,1,0] neg_lo:[0,0,1] neg_hi:[0,0,1]
	v_pk_fma_f32 v[142:143], v[142:143], v[132:133], v[146:147] op_sel:[0,0,1] op_sel_hi:[1,0,0]
	v_mov_b32_e32 v149, v143
	v_pk_mul_f32 v[142:143], v[144:145], v[134:135] op_sel:[0,1]
	s_delay_alu instid0(VALU_DEP_2) | instskip(NEXT) | instid1(VALU_DEP_2)
	v_pk_add_f32 v[106:107], v[106:107], v[148:149] neg_lo:[0,1] neg_hi:[0,1]
	v_pk_fma_f32 v[146:147], v[144:145], v[132:133], v[142:143] op_sel:[0,0,1] op_sel_hi:[1,1,0] neg_lo:[0,0,1] neg_hi:[0,0,1]
	v_pk_fma_f32 v[142:143], v[144:145], v[132:133], v[142:143] op_sel:[0,0,1] op_sel_hi:[1,0,0]
	s_delay_alu instid0(VALU_DEP_1) | instskip(SKIP_4) | instid1(VALU_DEP_1)
	v_mov_b32_e32 v147, v143
	ds_load_2addr_b64 v[142:145], v136 offset0:19 offset1:20
	v_pk_add_f32 v[56:57], v[56:57], v[146:147] neg_lo:[0,1] neg_hi:[0,1]
	s_wait_dscnt 0x0
	v_pk_mul_f32 v[146:147], v[142:143], v[134:135] op_sel:[0,1]
	v_pk_fma_f32 v[148:149], v[142:143], v[132:133], v[146:147] op_sel:[0,0,1] op_sel_hi:[1,1,0] neg_lo:[0,0,1] neg_hi:[0,0,1]
	v_pk_fma_f32 v[142:143], v[142:143], v[132:133], v[146:147] op_sel:[0,0,1] op_sel_hi:[1,0,0]
	v_dual_mul_f32 v146, v145, v135 :: v_dual_mov_b32 v142, v145
	s_delay_alu instid0(VALU_DEP_2) | instskip(NEXT) | instid1(VALU_DEP_2)
	v_dual_mov_b32 v149, v143 :: v_dual_mov_b32 v143, v144
	v_pk_fma_f32 v[146:147], v[144:145], v[72:73], v[146:147] op_sel_hi:[1,1,0] neg_lo:[0,0,1] neg_hi:[0,0,1]
	v_mul_f32_e32 v144, v145, v132
	s_delay_alu instid0(VALU_DEP_3) | instskip(NEXT) | instid1(VALU_DEP_2)
	v_pk_add_f32 v[54:55], v[54:55], v[148:149] neg_lo:[0,1] neg_hi:[0,1]
	v_pk_fma_f32 v[142:143], v[142:143], v[72:73], v[144:145] op_sel_hi:[1,1,0]
	s_delay_alu instid0(VALU_DEP_1) | instskip(SKIP_4) | instid1(VALU_DEP_1)
	v_mov_b32_e32 v147, v143
	ds_load_2addr_b64 v[142:145], v136 offset0:21 offset1:22
	v_pk_add_f32 v[104:105], v[104:105], v[146:147] neg_lo:[0,1] neg_hi:[0,1]
	s_wait_dscnt 0x0
	v_pk_mul_f32 v[146:147], v[142:143], v[134:135] op_sel:[0,1]
	v_pk_fma_f32 v[148:149], v[142:143], v[132:133], v[146:147] op_sel:[0,0,1] op_sel_hi:[1,1,0] neg_lo:[0,0,1] neg_hi:[0,0,1]
	v_pk_fma_f32 v[142:143], v[142:143], v[132:133], v[146:147] op_sel:[0,0,1] op_sel_hi:[1,0,0]
	s_delay_alu instid0(VALU_DEP_1) | instskip(SKIP_1) | instid1(VALU_DEP_1)
	v_mov_b32_e32 v149, v143
	v_pk_mul_f32 v[142:143], v[144:145], v[134:135] op_sel:[0,1]
	v_pk_fma_f32 v[146:147], v[144:145], v[132:133], v[142:143] op_sel:[0,0,1] op_sel_hi:[1,1,0] neg_lo:[0,0,1] neg_hi:[0,0,1]
	v_pk_fma_f32 v[142:143], v[144:145], v[132:133], v[142:143] op_sel:[0,0,1] op_sel_hi:[1,0,0]
	s_delay_alu instid0(VALU_DEP_1)
	v_mov_b32_e32 v147, v143
	ds_load_2addr_b64 v[142:145], v136 offset0:23 offset1:24
	v_pk_add_f32 v[102:103], v[102:103], v[148:149] neg_lo:[0,1] neg_hi:[0,1]
	v_pk_add_f32 v[52:53], v[52:53], v[146:147] neg_lo:[0,1] neg_hi:[0,1]
	s_wait_dscnt 0x0
	v_pk_mul_f32 v[146:147], v[142:143], v[134:135] op_sel:[0,1]
	s_delay_alu instid0(VALU_DEP_1) | instskip(SKIP_1) | instid1(VALU_DEP_1)
	v_pk_fma_f32 v[148:149], v[142:143], v[132:133], v[146:147] op_sel:[0,0,1] op_sel_hi:[1,1,0] neg_lo:[0,0,1] neg_hi:[0,0,1]
	v_pk_fma_f32 v[142:143], v[142:143], v[132:133], v[146:147] op_sel:[0,0,1] op_sel_hi:[1,0,0]
	v_mov_b32_e32 v149, v143
	v_pk_mul_f32 v[142:143], v[144:145], v[134:135] op_sel:[0,1]
	s_delay_alu instid0(VALU_DEP_1) | instskip(SKIP_1) | instid1(VALU_DEP_1)
	v_pk_fma_f32 v[146:147], v[144:145], v[132:133], v[142:143] op_sel:[0,0,1] op_sel_hi:[1,1,0] neg_lo:[0,0,1] neg_hi:[0,0,1]
	v_pk_fma_f32 v[142:143], v[144:145], v[132:133], v[142:143] op_sel:[0,0,1] op_sel_hi:[1,0,0]
	v_mov_b32_e32 v147, v143
	ds_load_2addr_b64 v[142:145], v136 offset0:25 offset1:26
	v_pk_add_f32 v[50:51], v[50:51], v[148:149] neg_lo:[0,1] neg_hi:[0,1]
	v_pk_add_f32 v[100:101], v[100:101], v[146:147] neg_lo:[0,1] neg_hi:[0,1]
	s_wait_dscnt 0x0
	v_dual_mul_f32 v146, v143, v135 :: v_dual_mul_f32 v148, v143, v132
	s_delay_alu instid0(VALU_DEP_1) | instskip(NEXT) | instid1(VALU_DEP_2)
	v_pk_fma_f32 v[146:147], v[142:143], v[72:73], v[146:147] op_sel_hi:[1,1,0] neg_lo:[0,0,1] neg_hi:[0,0,1]
	v_pk_fma_f32 v[142:143], v[142:143], v[72:73], v[148:149] op_sel:[1,0,0] op_sel_hi:[0,1,0]
	s_delay_alu instid0(VALU_DEP_1) | instskip(SKIP_1) | instid1(VALU_DEP_2)
	v_mov_b32_e32 v147, v143
	v_pk_mul_f32 v[142:143], v[144:145], v[134:135] op_sel:[0,1]
	v_pk_add_f32 v[98:99], v[98:99], v[146:147] neg_lo:[0,1] neg_hi:[0,1]
	s_delay_alu instid0(VALU_DEP_2) | instskip(SKIP_1) | instid1(VALU_DEP_1)
	v_pk_fma_f32 v[146:147], v[144:145], v[132:133], v[142:143] op_sel:[0,0,1] op_sel_hi:[1,1,0] neg_lo:[0,0,1] neg_hi:[0,0,1]
	v_pk_fma_f32 v[142:143], v[144:145], v[132:133], v[142:143] op_sel:[0,0,1] op_sel_hi:[1,0,0]
	v_mov_b32_e32 v147, v143
	ds_load_2addr_b64 v[142:145], v136 offset0:27 offset1:28
	v_pk_add_f32 v[48:49], v[48:49], v[146:147] neg_lo:[0,1] neg_hi:[0,1]
	s_wait_dscnt 0x0
	v_pk_mul_f32 v[146:147], v[142:143], v[134:135] op_sel:[0,1]
	s_delay_alu instid0(VALU_DEP_1) | instskip(SKIP_1) | instid1(VALU_DEP_1)
	v_pk_fma_f32 v[148:149], v[142:143], v[132:133], v[146:147] op_sel:[0,0,1] op_sel_hi:[1,1,0] neg_lo:[0,0,1] neg_hi:[0,0,1]
	v_pk_fma_f32 v[142:143], v[142:143], v[132:133], v[146:147] op_sel:[0,0,1] op_sel_hi:[1,0,0]
	v_mov_b32_e32 v149, v143
	v_pk_mul_f32 v[142:143], v[144:145], v[134:135] op_sel:[0,1]
	s_delay_alu instid0(VALU_DEP_2) | instskip(NEXT) | instid1(VALU_DEP_2)
	v_pk_add_f32 v[46:47], v[46:47], v[148:149] neg_lo:[0,1] neg_hi:[0,1]
	v_pk_fma_f32 v[146:147], v[144:145], v[132:133], v[142:143] op_sel:[0,0,1] op_sel_hi:[1,1,0] neg_lo:[0,0,1] neg_hi:[0,0,1]
	v_pk_fma_f32 v[142:143], v[144:145], v[132:133], v[142:143] op_sel:[0,0,1] op_sel_hi:[1,0,0]
	s_delay_alu instid0(VALU_DEP_1) | instskip(SKIP_4) | instid1(VALU_DEP_1)
	v_mov_b32_e32 v147, v143
	ds_load_2addr_b64 v[142:145], v136 offset0:29 offset1:30
	v_pk_add_f32 v[96:97], v[96:97], v[146:147] neg_lo:[0,1] neg_hi:[0,1]
	s_wait_dscnt 0x0
	v_pk_mul_f32 v[146:147], v[142:143], v[134:135] op_sel:[0,1]
	v_pk_fma_f32 v[148:149], v[142:143], v[132:133], v[146:147] op_sel:[0,0,1] op_sel_hi:[1,1,0] neg_lo:[0,0,1] neg_hi:[0,0,1]
	v_pk_fma_f32 v[142:143], v[142:143], v[132:133], v[146:147] op_sel:[0,0,1] op_sel_hi:[1,0,0]
	v_dual_mul_f32 v146, v145, v135 :: v_dual_mov_b32 v142, v145
	s_delay_alu instid0(VALU_DEP_2) | instskip(NEXT) | instid1(VALU_DEP_2)
	v_dual_mov_b32 v149, v143 :: v_dual_mov_b32 v143, v144
	v_pk_fma_f32 v[146:147], v[144:145], v[72:73], v[146:147] op_sel_hi:[1,1,0] neg_lo:[0,0,1] neg_hi:[0,0,1]
	v_mul_f32_e32 v144, v145, v132
	s_delay_alu instid0(VALU_DEP_3) | instskip(NEXT) | instid1(VALU_DEP_2)
	v_pk_add_f32 v[94:95], v[94:95], v[148:149] neg_lo:[0,1] neg_hi:[0,1]
	v_pk_fma_f32 v[142:143], v[142:143], v[72:73], v[144:145] op_sel_hi:[1,1,0]
	s_delay_alu instid0(VALU_DEP_1) | instskip(SKIP_4) | instid1(VALU_DEP_1)
	v_mov_b32_e32 v147, v143
	ds_load_2addr_b64 v[142:145], v136 offset0:31 offset1:32
	v_pk_add_f32 v[44:45], v[44:45], v[146:147] neg_lo:[0,1] neg_hi:[0,1]
	s_wait_dscnt 0x0
	v_pk_mul_f32 v[146:147], v[142:143], v[134:135] op_sel:[0,1]
	v_pk_fma_f32 v[148:149], v[142:143], v[132:133], v[146:147] op_sel:[0,0,1] op_sel_hi:[1,1,0] neg_lo:[0,0,1] neg_hi:[0,0,1]
	v_pk_fma_f32 v[142:143], v[142:143], v[132:133], v[146:147] op_sel:[0,0,1] op_sel_hi:[1,0,0]
	s_delay_alu instid0(VALU_DEP_1) | instskip(SKIP_1) | instid1(VALU_DEP_1)
	v_mov_b32_e32 v149, v143
	v_pk_mul_f32 v[142:143], v[144:145], v[134:135] op_sel:[0,1]
	v_pk_fma_f32 v[146:147], v[144:145], v[132:133], v[142:143] op_sel:[0,0,1] op_sel_hi:[1,1,0] neg_lo:[0,0,1] neg_hi:[0,0,1]
	v_pk_fma_f32 v[142:143], v[144:145], v[132:133], v[142:143] op_sel:[0,0,1] op_sel_hi:[1,0,0]
	s_delay_alu instid0(VALU_DEP_1)
	v_mov_b32_e32 v147, v143
	ds_load_2addr_b64 v[142:145], v136 offset0:33 offset1:34
	v_pk_add_f32 v[42:43], v[42:43], v[148:149] neg_lo:[0,1] neg_hi:[0,1]
	v_pk_add_f32 v[92:93], v[92:93], v[146:147] neg_lo:[0,1] neg_hi:[0,1]
	s_wait_dscnt 0x0
	v_pk_mul_f32 v[146:147], v[142:143], v[134:135] op_sel:[0,1]
	s_delay_alu instid0(VALU_DEP_1) | instskip(SKIP_1) | instid1(VALU_DEP_1)
	v_pk_fma_f32 v[148:149], v[142:143], v[132:133], v[146:147] op_sel:[0,0,1] op_sel_hi:[1,1,0] neg_lo:[0,0,1] neg_hi:[0,0,1]
	v_pk_fma_f32 v[142:143], v[142:143], v[132:133], v[146:147] op_sel:[0,0,1] op_sel_hi:[1,0,0]
	v_mov_b32_e32 v149, v143
	v_pk_mul_f32 v[142:143], v[144:145], v[134:135] op_sel:[0,1]
	s_delay_alu instid0(VALU_DEP_1) | instskip(SKIP_1) | instid1(VALU_DEP_1)
	v_pk_fma_f32 v[146:147], v[144:145], v[132:133], v[142:143] op_sel:[0,0,1] op_sel_hi:[1,1,0] neg_lo:[0,0,1] neg_hi:[0,0,1]
	v_pk_fma_f32 v[142:143], v[144:145], v[132:133], v[142:143] op_sel:[0,0,1] op_sel_hi:[1,0,0]
	v_mov_b32_e32 v147, v143
	ds_load_2addr_b64 v[142:145], v136 offset0:35 offset1:36
	v_pk_add_f32 v[90:91], v[90:91], v[148:149] neg_lo:[0,1] neg_hi:[0,1]
	v_pk_add_f32 v[40:41], v[40:41], v[146:147] neg_lo:[0,1] neg_hi:[0,1]
	s_wait_dscnt 0x0
	v_dual_mul_f32 v146, v143, v135 :: v_dual_mul_f32 v148, v143, v132
	s_delay_alu instid0(VALU_DEP_1) | instskip(NEXT) | instid1(VALU_DEP_2)
	v_pk_fma_f32 v[146:147], v[142:143], v[72:73], v[146:147] op_sel_hi:[1,1,0] neg_lo:[0,0,1] neg_hi:[0,0,1]
	v_pk_fma_f32 v[142:143], v[142:143], v[72:73], v[148:149] op_sel:[1,0,0] op_sel_hi:[0,1,0]
	s_delay_alu instid0(VALU_DEP_1) | instskip(SKIP_1) | instid1(VALU_DEP_2)
	v_mov_b32_e32 v147, v143
	v_pk_mul_f32 v[142:143], v[144:145], v[134:135] op_sel:[0,1]
	v_pk_add_f32 v[38:39], v[38:39], v[146:147] neg_lo:[0,1] neg_hi:[0,1]
	s_delay_alu instid0(VALU_DEP_2) | instskip(SKIP_1) | instid1(VALU_DEP_1)
	v_pk_fma_f32 v[146:147], v[144:145], v[132:133], v[142:143] op_sel:[0,0,1] op_sel_hi:[1,1,0] neg_lo:[0,0,1] neg_hi:[0,0,1]
	v_pk_fma_f32 v[142:143], v[144:145], v[132:133], v[142:143] op_sel:[0,0,1] op_sel_hi:[1,0,0]
	v_mov_b32_e32 v147, v143
	ds_load_2addr_b64 v[142:145], v136 offset0:37 offset1:38
	v_pk_add_f32 v[88:89], v[88:89], v[146:147] neg_lo:[0,1] neg_hi:[0,1]
	s_wait_dscnt 0x0
	v_pk_mul_f32 v[146:147], v[142:143], v[134:135] op_sel:[0,1]
	s_delay_alu instid0(VALU_DEP_1) | instskip(SKIP_1) | instid1(VALU_DEP_1)
	v_pk_fma_f32 v[148:149], v[142:143], v[132:133], v[146:147] op_sel:[0,0,1] op_sel_hi:[1,1,0] neg_lo:[0,0,1] neg_hi:[0,0,1]
	v_pk_fma_f32 v[142:143], v[142:143], v[132:133], v[146:147] op_sel:[0,0,1] op_sel_hi:[1,0,0]
	v_mov_b32_e32 v149, v143
	v_pk_mul_f32 v[142:143], v[144:145], v[134:135] op_sel:[0,1]
	s_delay_alu instid0(VALU_DEP_2) | instskip(NEXT) | instid1(VALU_DEP_2)
	v_pk_add_f32 v[86:87], v[86:87], v[148:149] neg_lo:[0,1] neg_hi:[0,1]
	v_pk_fma_f32 v[146:147], v[144:145], v[132:133], v[142:143] op_sel:[0,0,1] op_sel_hi:[1,1,0] neg_lo:[0,0,1] neg_hi:[0,0,1]
	v_pk_fma_f32 v[142:143], v[144:145], v[132:133], v[142:143] op_sel:[0,0,1] op_sel_hi:[1,0,0]
	s_delay_alu instid0(VALU_DEP_1) | instskip(SKIP_4) | instid1(VALU_DEP_1)
	v_mov_b32_e32 v147, v143
	ds_load_2addr_b64 v[142:145], v136 offset0:39 offset1:40
	v_pk_add_f32 v[36:37], v[36:37], v[146:147] neg_lo:[0,1] neg_hi:[0,1]
	s_wait_dscnt 0x0
	v_pk_mul_f32 v[146:147], v[142:143], v[134:135] op_sel:[0,1]
	v_pk_fma_f32 v[148:149], v[142:143], v[132:133], v[146:147] op_sel:[0,0,1] op_sel_hi:[1,1,0] neg_lo:[0,0,1] neg_hi:[0,0,1]
	v_pk_fma_f32 v[142:143], v[142:143], v[132:133], v[146:147] op_sel:[0,0,1] op_sel_hi:[1,0,0]
	v_dual_mul_f32 v146, v145, v135 :: v_dual_mov_b32 v142, v145
	s_delay_alu instid0(VALU_DEP_2) | instskip(NEXT) | instid1(VALU_DEP_2)
	v_dual_mov_b32 v149, v143 :: v_dual_mov_b32 v143, v144
	v_pk_fma_f32 v[146:147], v[144:145], v[72:73], v[146:147] op_sel_hi:[1,1,0] neg_lo:[0,0,1] neg_hi:[0,0,1]
	v_mul_f32_e32 v144, v145, v132
	s_delay_alu instid0(VALU_DEP_3) | instskip(NEXT) | instid1(VALU_DEP_2)
	v_pk_add_f32 v[32:33], v[32:33], v[148:149] neg_lo:[0,1] neg_hi:[0,1]
	v_pk_fma_f32 v[142:143], v[142:143], v[72:73], v[144:145] op_sel_hi:[1,1,0]
	s_delay_alu instid0(VALU_DEP_1) | instskip(SKIP_4) | instid1(VALU_DEP_1)
	v_mov_b32_e32 v147, v143
	ds_load_2addr_b64 v[142:145], v136 offset0:41 offset1:42
	v_pk_add_f32 v[84:85], v[84:85], v[146:147] neg_lo:[0,1] neg_hi:[0,1]
	s_wait_dscnt 0x0
	v_pk_mul_f32 v[146:147], v[142:143], v[134:135] op_sel:[0,1]
	v_pk_fma_f32 v[148:149], v[142:143], v[132:133], v[146:147] op_sel:[0,0,1] op_sel_hi:[1,1,0] neg_lo:[0,0,1] neg_hi:[0,0,1]
	v_pk_fma_f32 v[142:143], v[142:143], v[132:133], v[146:147] op_sel:[0,0,1] op_sel_hi:[1,0,0]
	s_delay_alu instid0(VALU_DEP_1) | instskip(SKIP_1) | instid1(VALU_DEP_1)
	v_mov_b32_e32 v149, v143
	v_pk_mul_f32 v[142:143], v[144:145], v[134:135] op_sel:[0,1]
	v_pk_fma_f32 v[146:147], v[144:145], v[132:133], v[142:143] op_sel:[0,0,1] op_sel_hi:[1,1,0] neg_lo:[0,0,1] neg_hi:[0,0,1]
	v_pk_fma_f32 v[142:143], v[144:145], v[132:133], v[142:143] op_sel:[0,0,1] op_sel_hi:[1,0,0]
	s_delay_alu instid0(VALU_DEP_1)
	v_mov_b32_e32 v147, v143
	ds_load_2addr_b64 v[142:145], v136 offset0:43 offset1:44
	v_pk_add_f32 v[82:83], v[82:83], v[148:149] neg_lo:[0,1] neg_hi:[0,1]
	v_pk_add_f32 v[24:25], v[24:25], v[146:147] neg_lo:[0,1] neg_hi:[0,1]
	s_wait_dscnt 0x0
	v_pk_mul_f32 v[146:147], v[142:143], v[134:135] op_sel:[0,1]
	s_delay_alu instid0(VALU_DEP_1) | instskip(SKIP_1) | instid1(VALU_DEP_1)
	v_pk_fma_f32 v[148:149], v[142:143], v[132:133], v[146:147] op_sel:[0,0,1] op_sel_hi:[1,1,0] neg_lo:[0,0,1] neg_hi:[0,0,1]
	v_pk_fma_f32 v[142:143], v[142:143], v[132:133], v[146:147] op_sel:[0,0,1] op_sel_hi:[1,0,0]
	v_mov_b32_e32 v149, v143
	v_pk_mul_f32 v[142:143], v[144:145], v[134:135] op_sel:[0,1]
	s_delay_alu instid0(VALU_DEP_1) | instskip(SKIP_1) | instid1(VALU_DEP_1)
	v_pk_fma_f32 v[146:147], v[144:145], v[132:133], v[142:143] op_sel:[0,0,1] op_sel_hi:[1,1,0] neg_lo:[0,0,1] neg_hi:[0,0,1]
	v_pk_fma_f32 v[142:143], v[144:145], v[132:133], v[142:143] op_sel:[0,0,1] op_sel_hi:[1,0,0]
	v_mov_b32_e32 v147, v143
	ds_load_2addr_b64 v[142:145], v136 offset0:45 offset1:46
	v_pk_add_f32 v[22:23], v[22:23], v[148:149] neg_lo:[0,1] neg_hi:[0,1]
	v_pk_add_f32 v[80:81], v[80:81], v[146:147] neg_lo:[0,1] neg_hi:[0,1]
	s_wait_dscnt 0x0
	v_dual_mul_f32 v146, v143, v135 :: v_dual_mul_f32 v148, v143, v132
	s_delay_alu instid0(VALU_DEP_1) | instskip(NEXT) | instid1(VALU_DEP_2)
	v_pk_fma_f32 v[146:147], v[142:143], v[72:73], v[146:147] op_sel_hi:[1,1,0] neg_lo:[0,0,1] neg_hi:[0,0,1]
	v_pk_fma_f32 v[142:143], v[142:143], v[72:73], v[148:149] op_sel:[1,0,0] op_sel_hi:[0,1,0]
	s_delay_alu instid0(VALU_DEP_1) | instskip(SKIP_1) | instid1(VALU_DEP_2)
	v_mov_b32_e32 v147, v143
	v_pk_mul_f32 v[142:143], v[144:145], v[134:135] op_sel:[0,1]
	v_pk_add_f32 v[78:79], v[78:79], v[146:147] neg_lo:[0,1] neg_hi:[0,1]
	s_delay_alu instid0(VALU_DEP_2) | instskip(SKIP_1) | instid1(VALU_DEP_1)
	v_pk_fma_f32 v[146:147], v[144:145], v[132:133], v[142:143] op_sel:[0,0,1] op_sel_hi:[1,1,0] neg_lo:[0,0,1] neg_hi:[0,0,1]
	v_pk_fma_f32 v[142:143], v[144:145], v[132:133], v[142:143] op_sel:[0,0,1] op_sel_hi:[1,0,0]
	v_mov_b32_e32 v147, v143
	ds_load_2addr_b64 v[142:145], v136 offset0:47 offset1:48
	v_pk_add_f32 v[20:21], v[20:21], v[146:147] neg_lo:[0,1] neg_hi:[0,1]
	s_wait_dscnt 0x0
	v_pk_mul_f32 v[146:147], v[142:143], v[134:135] op_sel:[0,1]
	s_delay_alu instid0(VALU_DEP_1) | instskip(SKIP_1) | instid1(VALU_DEP_1)
	v_pk_fma_f32 v[148:149], v[142:143], v[132:133], v[146:147] op_sel:[0,0,1] op_sel_hi:[1,1,0] neg_lo:[0,0,1] neg_hi:[0,0,1]
	v_pk_fma_f32 v[142:143], v[142:143], v[132:133], v[146:147] op_sel:[0,0,1] op_sel_hi:[1,0,0]
	v_mov_b32_e32 v149, v143
	v_pk_mul_f32 v[142:143], v[144:145], v[134:135] op_sel:[0,1]
	s_delay_alu instid0(VALU_DEP_2) | instskip(NEXT) | instid1(VALU_DEP_2)
	v_pk_add_f32 v[18:19], v[18:19], v[148:149] neg_lo:[0,1] neg_hi:[0,1]
	v_pk_fma_f32 v[146:147], v[144:145], v[132:133], v[142:143] op_sel:[0,0,1] op_sel_hi:[1,1,0] neg_lo:[0,0,1] neg_hi:[0,0,1]
	v_pk_fma_f32 v[142:143], v[144:145], v[132:133], v[142:143] op_sel:[0,0,1] op_sel_hi:[1,0,0]
	s_delay_alu instid0(VALU_DEP_1) | instskip(SKIP_4) | instid1(VALU_DEP_1)
	v_mov_b32_e32 v147, v143
	ds_load_2addr_b64 v[142:145], v136 offset0:49 offset1:50
	v_pk_add_f32 v[76:77], v[76:77], v[146:147] neg_lo:[0,1] neg_hi:[0,1]
	s_wait_dscnt 0x0
	v_pk_mul_f32 v[146:147], v[142:143], v[134:135] op_sel:[0,1]
	v_pk_fma_f32 v[148:149], v[142:143], v[132:133], v[146:147] op_sel:[0,0,1] op_sel_hi:[1,1,0] neg_lo:[0,0,1] neg_hi:[0,0,1]
	v_pk_fma_f32 v[142:143], v[142:143], v[132:133], v[146:147] op_sel:[0,0,1] op_sel_hi:[1,0,0]
	v_dual_mul_f32 v146, v145, v135 :: v_dual_mov_b32 v142, v145
	s_delay_alu instid0(VALU_DEP_2) | instskip(NEXT) | instid1(VALU_DEP_2)
	v_dual_mov_b32 v149, v143 :: v_dual_mov_b32 v143, v144
	v_pk_fma_f32 v[146:147], v[144:145], v[72:73], v[146:147] op_sel_hi:[1,1,0] neg_lo:[0,0,1] neg_hi:[0,0,1]
	v_mul_f32_e32 v144, v145, v132
	s_delay_alu instid0(VALU_DEP_3) | instskip(NEXT) | instid1(VALU_DEP_2)
	v_pk_add_f32 v[74:75], v[74:75], v[148:149] neg_lo:[0,1] neg_hi:[0,1]
	v_pk_fma_f32 v[142:143], v[142:143], v[72:73], v[144:145] op_sel_hi:[1,1,0]
	s_delay_alu instid0(VALU_DEP_1) | instskip(SKIP_4) | instid1(VALU_DEP_1)
	v_mov_b32_e32 v147, v143
	ds_load_2addr_b64 v[142:145], v136 offset0:51 offset1:52
	v_pk_add_f32 v[16:17], v[16:17], v[146:147] neg_lo:[0,1] neg_hi:[0,1]
	s_wait_dscnt 0x0
	v_pk_mul_f32 v[146:147], v[142:143], v[134:135] op_sel:[0,1]
	v_pk_fma_f32 v[148:149], v[142:143], v[132:133], v[146:147] op_sel:[0,0,1] op_sel_hi:[1,1,0] neg_lo:[0,0,1] neg_hi:[0,0,1]
	v_pk_fma_f32 v[142:143], v[142:143], v[132:133], v[146:147] op_sel:[0,0,1] op_sel_hi:[1,0,0]
	s_delay_alu instid0(VALU_DEP_1) | instskip(SKIP_1) | instid1(VALU_DEP_1)
	v_mov_b32_e32 v149, v143
	v_pk_mul_f32 v[142:143], v[144:145], v[134:135] op_sel:[0,1]
	v_pk_fma_f32 v[146:147], v[144:145], v[132:133], v[142:143] op_sel:[0,0,1] op_sel_hi:[1,1,0] neg_lo:[0,0,1] neg_hi:[0,0,1]
	v_pk_fma_f32 v[142:143], v[144:145], v[132:133], v[142:143] op_sel:[0,0,1] op_sel_hi:[1,0,0]
	s_delay_alu instid0(VALU_DEP_1)
	v_mov_b32_e32 v147, v143
	ds_load_2addr_b64 v[142:145], v136 offset0:53 offset1:54
	v_pk_add_f32 v[28:29], v[28:29], v[148:149] neg_lo:[0,1] neg_hi:[0,1]
	v_pk_add_f32 v[68:69], v[68:69], v[146:147] neg_lo:[0,1] neg_hi:[0,1]
	s_wait_dscnt 0x0
	v_pk_mul_f32 v[146:147], v[142:143], v[134:135] op_sel:[0,1]
	s_delay_alu instid0(VALU_DEP_1) | instskip(SKIP_1) | instid1(VALU_DEP_1)
	v_pk_fma_f32 v[148:149], v[142:143], v[132:133], v[146:147] op_sel:[0,0,1] op_sel_hi:[1,1,0] neg_lo:[0,0,1] neg_hi:[0,0,1]
	v_pk_fma_f32 v[142:143], v[142:143], v[132:133], v[146:147] op_sel:[0,0,1] op_sel_hi:[1,0,0]
	v_mov_b32_e32 v149, v143
	v_pk_mul_f32 v[142:143], v[144:145], v[134:135] op_sel:[0,1]
	s_delay_alu instid0(VALU_DEP_1) | instskip(SKIP_1) | instid1(VALU_DEP_1)
	v_pk_fma_f32 v[146:147], v[144:145], v[132:133], v[142:143] op_sel:[0,0,1] op_sel_hi:[1,1,0] neg_lo:[0,0,1] neg_hi:[0,0,1]
	v_pk_fma_f32 v[142:143], v[144:145], v[132:133], v[142:143] op_sel:[0,0,1] op_sel_hi:[1,0,0]
	v_mov_b32_e32 v147, v143
	ds_load_2addr_b64 v[142:145], v136 offset0:55 offset1:56
	v_pk_add_f32 v[66:67], v[66:67], v[148:149] neg_lo:[0,1] neg_hi:[0,1]
	v_pk_add_f32 v[10:11], v[10:11], v[146:147] neg_lo:[0,1] neg_hi:[0,1]
	s_wait_dscnt 0x0
	v_dual_mul_f32 v146, v143, v135 :: v_dual_mul_f32 v148, v143, v132
	s_delay_alu instid0(VALU_DEP_1) | instskip(NEXT) | instid1(VALU_DEP_2)
	v_pk_fma_f32 v[146:147], v[142:143], v[72:73], v[146:147] op_sel_hi:[1,1,0] neg_lo:[0,0,1] neg_hi:[0,0,1]
	v_pk_fma_f32 v[142:143], v[142:143], v[72:73], v[148:149] op_sel:[1,0,0] op_sel_hi:[0,1,0]
	s_delay_alu instid0(VALU_DEP_1) | instskip(SKIP_1) | instid1(VALU_DEP_2)
	v_mov_b32_e32 v147, v143
	v_pk_mul_f32 v[142:143], v[144:145], v[134:135] op_sel:[0,1]
	v_pk_add_f32 v[8:9], v[8:9], v[146:147] neg_lo:[0,1] neg_hi:[0,1]
	s_delay_alu instid0(VALU_DEP_2) | instskip(SKIP_1) | instid1(VALU_DEP_1)
	v_pk_fma_f32 v[146:147], v[144:145], v[132:133], v[142:143] op_sel:[0,0,1] op_sel_hi:[1,1,0] neg_lo:[0,0,1] neg_hi:[0,0,1]
	v_pk_fma_f32 v[142:143], v[144:145], v[132:133], v[142:143] op_sel:[0,0,1] op_sel_hi:[1,0,0]
	v_mov_b32_e32 v147, v143
	ds_load_2addr_b64 v[142:145], v136 offset0:57 offset1:58
	v_pk_add_f32 v[34:35], v[34:35], v[146:147] neg_lo:[0,1] neg_hi:[0,1]
	s_wait_dscnt 0x0
	v_pk_mul_f32 v[146:147], v[142:143], v[134:135] op_sel:[0,1]
	s_delay_alu instid0(VALU_DEP_1) | instskip(SKIP_1) | instid1(VALU_DEP_1)
	v_pk_fma_f32 v[148:149], v[142:143], v[132:133], v[146:147] op_sel:[0,0,1] op_sel_hi:[1,1,0] neg_lo:[0,0,1] neg_hi:[0,0,1]
	v_pk_fma_f32 v[142:143], v[142:143], v[132:133], v[146:147] op_sel:[0,0,1] op_sel_hi:[1,0,0]
	v_mov_b32_e32 v149, v143
	v_pk_mul_f32 v[142:143], v[144:145], v[134:135] op_sel:[0,1]
	s_delay_alu instid0(VALU_DEP_2) | instskip(NEXT) | instid1(VALU_DEP_2)
	v_pk_add_f32 v[30:31], v[30:31], v[148:149] neg_lo:[0,1] neg_hi:[0,1]
	v_pk_fma_f32 v[146:147], v[144:145], v[132:133], v[142:143] op_sel:[0,0,1] op_sel_hi:[1,1,0] neg_lo:[0,0,1] neg_hi:[0,0,1]
	v_pk_fma_f32 v[142:143], v[144:145], v[132:133], v[142:143] op_sel:[0,0,1] op_sel_hi:[1,0,0]
	s_delay_alu instid0(VALU_DEP_1) | instskip(SKIP_4) | instid1(VALU_DEP_1)
	v_mov_b32_e32 v147, v143
	ds_load_2addr_b64 v[142:145], v136 offset0:59 offset1:60
	v_pk_add_f32 v[6:7], v[6:7], v[146:147] neg_lo:[0,1] neg_hi:[0,1]
	s_wait_dscnt 0x0
	v_pk_mul_f32 v[146:147], v[142:143], v[134:135] op_sel:[0,1]
	v_pk_fma_f32 v[148:149], v[142:143], v[132:133], v[146:147] op_sel:[0,0,1] op_sel_hi:[1,1,0] neg_lo:[0,0,1] neg_hi:[0,0,1]
	v_pk_fma_f32 v[142:143], v[142:143], v[132:133], v[146:147] op_sel:[0,0,1] op_sel_hi:[1,0,0]
	v_dual_mul_f32 v146, v145, v135 :: v_dual_mov_b32 v142, v145
	s_delay_alu instid0(VALU_DEP_2) | instskip(NEXT) | instid1(VALU_DEP_2)
	v_dual_mov_b32 v149, v143 :: v_dual_mov_b32 v143, v144
	v_pk_fma_f32 v[146:147], v[144:145], v[72:73], v[146:147] op_sel_hi:[1,1,0] neg_lo:[0,0,1] neg_hi:[0,0,1]
	v_mul_f32_e32 v144, v145, v132
	s_delay_alu instid0(VALU_DEP_3) | instskip(NEXT) | instid1(VALU_DEP_2)
	v_pk_add_f32 v[26:27], v[26:27], v[148:149] neg_lo:[0,1] neg_hi:[0,1]
	v_pk_fma_f32 v[142:143], v[142:143], v[72:73], v[144:145] op_sel_hi:[1,1,0]
	s_delay_alu instid0(VALU_DEP_1)
	v_mov_b32_e32 v147, v143
	ds_load_2addr_b64 v[142:145], v136 offset0:61 offset1:62
	v_pk_add_f32 v[14:15], v[14:15], v[146:147] neg_lo:[0,1] neg_hi:[0,1]
	s_wait_dscnt 0x0
	v_pk_mul_f32 v[146:147], v[142:143], v[134:135] op_sel:[0,1]
	v_pk_mul_f32 v[134:135], v[144:145], v[134:135] op_sel:[0,1]
	s_delay_alu instid0(VALU_DEP_2) | instskip(SKIP_1) | instid1(VALU_DEP_1)
	v_pk_fma_f32 v[148:149], v[142:143], v[132:133], v[146:147] op_sel:[0,0,1] op_sel_hi:[1,1,0] neg_lo:[0,0,1] neg_hi:[0,0,1]
	v_pk_fma_f32 v[142:143], v[142:143], v[132:133], v[146:147] op_sel:[0,0,1] op_sel_hi:[1,0,0]
	v_mov_b32_e32 v149, v143
	s_delay_alu instid0(VALU_DEP_4) | instskip(SKIP_1) | instid1(VALU_DEP_1)
	v_pk_fma_f32 v[142:143], v[144:145], v[132:133], v[134:135] op_sel:[0,0,1] op_sel_hi:[1,1,0] neg_lo:[0,0,1] neg_hi:[0,0,1]
	v_pk_fma_f32 v[132:133], v[144:145], v[132:133], v[134:135] op_sel:[0,0,1] op_sel_hi:[1,0,0]
	v_mov_b32_e32 v143, v133
	s_delay_alu instid0(VALU_DEP_4) | instskip(NEXT) | instid1(VALU_DEP_2)
	v_pk_add_f32 v[12:13], v[12:13], v[148:149] neg_lo:[0,1] neg_hi:[0,1]
	v_pk_add_f32 v[130:131], v[130:131], v[142:143] neg_lo:[0,1] neg_hi:[0,1]
.LBB124_146:
	s_or_b32 exec_lo, exec_lo, s0
	v_lshl_add_u32 v132, v140, 3, v136
	s_barrier_signal -1
	s_barrier_wait -1
	ds_store_b64 v132, v[70:71]
	s_wait_dscnt 0x0
	s_barrier_signal -1
	s_barrier_wait -1
	ds_load_b64 v[134:135], v136 offset:56
	v_mov_b32_e32 v132, 7
	s_cmp_lt_i32 s18, 9
	s_cbranch_scc1 .LBB124_149
; %bb.147:
	v_add3_u32 v133, v137, 0, 64
	v_mov_b32_e32 v132, 7
	s_mov_b32 s0, 8
.LBB124_148:                            ; =>This Inner Loop Header: Depth=1
	ds_load_b64 v[142:143], v133
	s_wait_dscnt 0x1
	v_cmp_gt_f32_e32 vcc_lo, 0, v134
	v_cndmask_b32_e64 v144, v134, -v134, vcc_lo
	v_cmp_gt_f32_e32 vcc_lo, 0, v135
	v_cndmask_b32_e64 v146, v135, -v135, vcc_lo
	s_wait_dscnt 0x0
	v_cmp_gt_f32_e32 vcc_lo, 0, v142
	v_cndmask_b32_e64 v145, v142, -v142, vcc_lo
	v_cmp_gt_f32_e32 vcc_lo, 0, v143
	v_cndmask_b32_e64 v147, v143, -v143, vcc_lo
	s_delay_alu instid0(VALU_DEP_1) | instskip(NEXT) | instid1(VALU_DEP_1)
	v_pk_add_f32 v[144:145], v[144:145], v[146:147]
	v_cmp_lt_f32_e32 vcc_lo, v144, v145
	v_dual_add_nc_u32 v133, 8, v133 :: v_dual_cndmask_b32 v135, v135, v143, vcc_lo
	v_cndmask_b32_e32 v134, v134, v142, vcc_lo
	v_cndmask_b32_e64 v132, v132, s0, vcc_lo
	s_add_co_i32 s0, s0, 1
	s_delay_alu instid0(SALU_CYCLE_1)
	s_cmp_lg_u32 s18, s0
	s_cbranch_scc1 .LBB124_148
.LBB124_149:
	s_wait_dscnt 0x0
	v_cmp_eq_f32_e32 vcc_lo, 0, v134
	v_cmp_eq_f32_e64 s0, 0, v135
	s_and_b32 s0, vcc_lo, s0
	s_delay_alu instid0(SALU_CYCLE_1) | instskip(NEXT) | instid1(SALU_CYCLE_1)
	s_and_saveexec_b32 s1, s0
	s_xor_b32 s0, exec_lo, s1
; %bb.150:
	v_cmp_ne_u32_e32 vcc_lo, 0, v138
	v_cndmask_b32_e32 v138, 8, v138, vcc_lo
; %bb.151:
	s_and_not1_saveexec_b32 s0, s0
	s_cbranch_execz .LBB124_157
; %bb.152:
	v_cmp_ngt_f32_e64 s1, |v134|, |v135|
	s_and_saveexec_b32 s12, s1
	s_delay_alu instid0(SALU_CYCLE_1)
	s_xor_b32 s1, exec_lo, s12
	s_cbranch_execz .LBB124_154
; %bb.153:
	v_div_scale_f32 v133, null, v135, v135, v134
	v_div_scale_f32 v143, vcc_lo, v134, v135, v134
	s_delay_alu instid0(VALU_DEP_2) | instskip(SKIP_1) | instid1(TRANS32_DEP_1)
	v_rcp_f32_e32 v141, v133
	v_nop
	v_fma_f32 v142, -v133, v141, 1.0
	s_delay_alu instid0(VALU_DEP_1) | instskip(NEXT) | instid1(VALU_DEP_1)
	v_fmac_f32_e32 v141, v142, v141
	v_mul_f32_e32 v142, v143, v141
	s_delay_alu instid0(VALU_DEP_1) | instskip(NEXT) | instid1(VALU_DEP_1)
	v_fma_f32 v144, -v133, v142, v143
	v_fmac_f32_e32 v142, v144, v141
	s_delay_alu instid0(VALU_DEP_1) | instskip(NEXT) | instid1(VALU_DEP_1)
	v_fma_f32 v133, -v133, v142, v143
	v_div_fmas_f32 v133, v133, v141, v142
	s_delay_alu instid0(VALU_DEP_1) | instskip(NEXT) | instid1(VALU_DEP_1)
	v_div_fixup_f32 v133, v133, v135, v134
	v_fmac_f32_e32 v135, v134, v133
	s_delay_alu instid0(VALU_DEP_1) | instskip(SKIP_1) | instid1(VALU_DEP_2)
	v_div_scale_f32 v134, null, v135, v135, 1.0
	v_div_scale_f32 v143, vcc_lo, 1.0, v135, 1.0
	v_rcp_f32_e32 v141, v134
	v_nop
	s_delay_alu instid0(TRANS32_DEP_1) | instskip(NEXT) | instid1(VALU_DEP_1)
	v_fma_f32 v142, -v134, v141, 1.0
	v_fmac_f32_e32 v141, v142, v141
	s_delay_alu instid0(VALU_DEP_1) | instskip(NEXT) | instid1(VALU_DEP_1)
	v_mul_f32_e32 v142, v143, v141
	v_fma_f32 v144, -v134, v142, v143
	s_delay_alu instid0(VALU_DEP_1) | instskip(NEXT) | instid1(VALU_DEP_1)
	v_fmac_f32_e32 v142, v144, v141
	v_fma_f32 v134, -v134, v142, v143
	s_delay_alu instid0(VALU_DEP_1) | instskip(NEXT) | instid1(VALU_DEP_1)
	v_div_fmas_f32 v134, v134, v141, v142
	v_div_fixup_f32 v135, v134, v135, 1.0
	s_delay_alu instid0(VALU_DEP_1)
	v_mul_f32_e32 v134, v133, v135
	v_xor_b32_e32 v135, 0x80000000, v135
.LBB124_154:
	s_and_not1_saveexec_b32 s1, s1
	s_cbranch_execz .LBB124_156
; %bb.155:
	s_delay_alu instid0(VALU_DEP_1) | instskip(SKIP_1) | instid1(VALU_DEP_2)
	v_div_scale_f32 v133, null, v134, v134, v135
	v_div_scale_f32 v143, vcc_lo, v135, v134, v135
	v_rcp_f32_e32 v141, v133
	v_nop
	s_delay_alu instid0(TRANS32_DEP_1) | instskip(NEXT) | instid1(VALU_DEP_1)
	v_fma_f32 v142, -v133, v141, 1.0
	v_fmac_f32_e32 v141, v142, v141
	s_delay_alu instid0(VALU_DEP_1) | instskip(NEXT) | instid1(VALU_DEP_1)
	v_mul_f32_e32 v142, v143, v141
	v_fma_f32 v144, -v133, v142, v143
	s_delay_alu instid0(VALU_DEP_1) | instskip(NEXT) | instid1(VALU_DEP_1)
	v_fmac_f32_e32 v142, v144, v141
	v_fma_f32 v133, -v133, v142, v143
	s_delay_alu instid0(VALU_DEP_1) | instskip(NEXT) | instid1(VALU_DEP_1)
	v_div_fmas_f32 v133, v133, v141, v142
	v_div_fixup_f32 v133, v133, v134, v135
	s_delay_alu instid0(VALU_DEP_1) | instskip(NEXT) | instid1(VALU_DEP_1)
	v_fmac_f32_e32 v134, v135, v133
	v_div_scale_f32 v135, null, v134, v134, 1.0
	s_delay_alu instid0(VALU_DEP_1) | instskip(SKIP_1) | instid1(TRANS32_DEP_1)
	v_rcp_f32_e32 v141, v135
	v_nop
	v_fma_f32 v142, -v135, v141, 1.0
	s_delay_alu instid0(VALU_DEP_1) | instskip(SKIP_1) | instid1(VALU_DEP_1)
	v_fmac_f32_e32 v141, v142, v141
	v_div_scale_f32 v142, vcc_lo, 1.0, v134, 1.0
	v_mul_f32_e32 v143, v142, v141
	s_delay_alu instid0(VALU_DEP_1) | instskip(NEXT) | instid1(VALU_DEP_1)
	v_fma_f32 v144, -v135, v143, v142
	v_fmac_f32_e32 v143, v144, v141
	s_delay_alu instid0(VALU_DEP_1) | instskip(NEXT) | instid1(VALU_DEP_1)
	v_fma_f32 v135, -v135, v143, v142
	v_div_fmas_f32 v135, v135, v141, v143
	s_delay_alu instid0(VALU_DEP_1) | instskip(NEXT) | instid1(VALU_DEP_1)
	v_div_fixup_f32 v134, v135, v134, 1.0
	v_mul_f32_e64 v135, v133, -v134
.LBB124_156:
	s_or_b32 exec_lo, exec_lo, s1
.LBB124_157:
	s_delay_alu instid0(SALU_CYCLE_1) | instskip(NEXT) | instid1(SALU_CYCLE_1)
	s_or_b32 exec_lo, exec_lo, s0
	s_mov_b32 s0, exec_lo
	v_cmpx_ne_u32_e64 v140, v132
	s_xor_b32 s0, exec_lo, s0
	s_cbranch_execz .LBB124_163
; %bb.158:
	s_mov_b32 s1, exec_lo
	v_cmpx_eq_u32_e32 7, v140
	s_cbranch_execz .LBB124_162
; %bb.159:
	v_cmp_ne_u32_e32 vcc_lo, 7, v132
	s_xor_b32 s12, s16, -1
	s_delay_alu instid0(SALU_CYCLE_1) | instskip(NEXT) | instid1(SALU_CYCLE_1)
	s_and_b32 s13, s12, vcc_lo
	s_and_saveexec_b32 s12, s13
	s_cbranch_execz .LBB124_161
; %bb.160:
	v_ashrrev_i32_e32 v133, 31, v132
	s_delay_alu instid0(VALU_DEP_1)
	v_lshl_add_u64 v[140:141], v[132:133], 2, v[4:5]
	s_clause 0x1
	global_load_b32 v133, v[140:141], off
	global_load_b32 v139, v[4:5], off offset:28
	s_wait_loadcnt 0x1
	global_store_b32 v[4:5], v133, off offset:28
	s_wait_loadcnt 0x0
	global_store_b32 v[140:141], v139, off
.LBB124_161:
	s_wait_xcnt 0x0
	s_or_b32 exec_lo, exec_lo, s12
	v_dual_mov_b32 v140, v132 :: v_dual_mov_b32 v139, v132
.LBB124_162:
	s_or_b32 exec_lo, exec_lo, s1
.LBB124_163:
	s_and_not1_saveexec_b32 s0, s0
	s_cbranch_execz .LBB124_165
; %bb.164:
	v_dual_mov_b32 v132, v116 :: v_dual_mov_b32 v133, v117
	v_dual_mov_b32 v140, v114 :: v_dual_mov_b32 v141, v115
	ds_store_2addr_b64 v136, v[132:133], v[140:141] offset0:8 offset1:9
	v_dual_mov_b32 v132, v64 :: v_dual_mov_b32 v133, v65
	v_dual_mov_b32 v140, v62 :: v_dual_mov_b32 v141, v63
	ds_store_2addr_b64 v136, v[132:133], v[140:141] offset0:10 offset1:11
	v_dual_mov_b32 v132, v112 :: v_dual_mov_b32 v133, v113
	v_dual_mov_b32 v140, v110 :: v_dual_mov_b32 v141, v111
	ds_store_2addr_b64 v136, v[132:133], v[140:141] offset0:12 offset1:13
	v_dual_mov_b32 v132, v60 :: v_dual_mov_b32 v133, v61
	v_dual_mov_b32 v140, v58 :: v_dual_mov_b32 v141, v59
	ds_store_2addr_b64 v136, v[132:133], v[140:141] offset0:14 offset1:15
	v_dual_mov_b32 v132, v108 :: v_dual_mov_b32 v133, v109
	v_dual_mov_b32 v140, v106 :: v_dual_mov_b32 v141, v107
	ds_store_2addr_b64 v136, v[132:133], v[140:141] offset0:16 offset1:17
	v_dual_mov_b32 v132, v56 :: v_dual_mov_b32 v133, v57
	v_dual_mov_b32 v140, v54 :: v_dual_mov_b32 v141, v55
	ds_store_2addr_b64 v136, v[132:133], v[140:141] offset0:18 offset1:19
	v_dual_mov_b32 v132, v104 :: v_dual_mov_b32 v133, v105
	v_dual_mov_b32 v140, v102 :: v_dual_mov_b32 v141, v103
	ds_store_2addr_b64 v136, v[132:133], v[140:141] offset0:20 offset1:21
	v_dual_mov_b32 v132, v52 :: v_dual_mov_b32 v133, v53
	v_dual_mov_b32 v140, v50 :: v_dual_mov_b32 v141, v51
	ds_store_2addr_b64 v136, v[132:133], v[140:141] offset0:22 offset1:23
	v_dual_mov_b32 v132, v100 :: v_dual_mov_b32 v133, v101
	v_dual_mov_b32 v140, v98 :: v_dual_mov_b32 v141, v99
	ds_store_2addr_b64 v136, v[132:133], v[140:141] offset0:24 offset1:25
	v_dual_mov_b32 v132, v48 :: v_dual_mov_b32 v133, v49
	v_dual_mov_b32 v140, v46 :: v_dual_mov_b32 v141, v47
	ds_store_2addr_b64 v136, v[132:133], v[140:141] offset0:26 offset1:27
	v_dual_mov_b32 v132, v96 :: v_dual_mov_b32 v133, v97
	v_dual_mov_b32 v140, v94 :: v_dual_mov_b32 v141, v95
	ds_store_2addr_b64 v136, v[132:133], v[140:141] offset0:28 offset1:29
	v_dual_mov_b32 v132, v44 :: v_dual_mov_b32 v133, v45
	v_dual_mov_b32 v140, v42 :: v_dual_mov_b32 v141, v43
	ds_store_2addr_b64 v136, v[132:133], v[140:141] offset0:30 offset1:31
	v_dual_mov_b32 v132, v92 :: v_dual_mov_b32 v133, v93
	v_dual_mov_b32 v140, v90 :: v_dual_mov_b32 v141, v91
	ds_store_2addr_b64 v136, v[132:133], v[140:141] offset0:32 offset1:33
	v_dual_mov_b32 v132, v40 :: v_dual_mov_b32 v133, v41
	v_dual_mov_b32 v140, v38 :: v_dual_mov_b32 v141, v39
	ds_store_2addr_b64 v136, v[132:133], v[140:141] offset0:34 offset1:35
	v_dual_mov_b32 v132, v88 :: v_dual_mov_b32 v133, v89
	v_dual_mov_b32 v140, v86 :: v_dual_mov_b32 v141, v87
	ds_store_2addr_b64 v136, v[132:133], v[140:141] offset0:36 offset1:37
	v_dual_mov_b32 v132, v36 :: v_dual_mov_b32 v133, v37
	v_dual_mov_b32 v140, v32 :: v_dual_mov_b32 v141, v33
	ds_store_2addr_b64 v136, v[132:133], v[140:141] offset0:38 offset1:39
	v_dual_mov_b32 v132, v84 :: v_dual_mov_b32 v133, v85
	v_dual_mov_b32 v140, v82 :: v_dual_mov_b32 v141, v83
	ds_store_2addr_b64 v136, v[132:133], v[140:141] offset0:40 offset1:41
	v_dual_mov_b32 v132, v24 :: v_dual_mov_b32 v133, v25
	v_dual_mov_b32 v140, v22 :: v_dual_mov_b32 v141, v23
	ds_store_2addr_b64 v136, v[132:133], v[140:141] offset0:42 offset1:43
	v_dual_mov_b32 v132, v80 :: v_dual_mov_b32 v133, v81
	v_dual_mov_b32 v140, v78 :: v_dual_mov_b32 v141, v79
	ds_store_2addr_b64 v136, v[132:133], v[140:141] offset0:44 offset1:45
	v_dual_mov_b32 v132, v20 :: v_dual_mov_b32 v133, v21
	v_dual_mov_b32 v140, v18 :: v_dual_mov_b32 v141, v19
	ds_store_2addr_b64 v136, v[132:133], v[140:141] offset0:46 offset1:47
	v_dual_mov_b32 v132, v76 :: v_dual_mov_b32 v133, v77
	v_dual_mov_b32 v140, v74 :: v_dual_mov_b32 v141, v75
	ds_store_2addr_b64 v136, v[132:133], v[140:141] offset0:48 offset1:49
	v_dual_mov_b32 v132, v16 :: v_dual_mov_b32 v133, v17
	v_dual_mov_b32 v140, v28 :: v_dual_mov_b32 v141, v29
	ds_store_2addr_b64 v136, v[132:133], v[140:141] offset0:50 offset1:51
	v_dual_mov_b32 v132, v68 :: v_dual_mov_b32 v133, v69
	v_dual_mov_b32 v140, v66 :: v_dual_mov_b32 v141, v67
	ds_store_2addr_b64 v136, v[132:133], v[140:141] offset0:52 offset1:53
	v_dual_mov_b32 v132, v10 :: v_dual_mov_b32 v133, v11
	v_dual_mov_b32 v140, v8 :: v_dual_mov_b32 v141, v9
	ds_store_2addr_b64 v136, v[132:133], v[140:141] offset0:54 offset1:55
	v_dual_mov_b32 v132, v34 :: v_dual_mov_b32 v133, v35
	v_dual_mov_b32 v140, v30 :: v_dual_mov_b32 v141, v31
	ds_store_2addr_b64 v136, v[132:133], v[140:141] offset0:56 offset1:57
	v_dual_mov_b32 v132, v6 :: v_dual_mov_b32 v133, v7
	v_dual_mov_b32 v140, v26 :: v_dual_mov_b32 v141, v27
	ds_store_2addr_b64 v136, v[132:133], v[140:141] offset0:58 offset1:59
	v_dual_mov_b32 v132, v14 :: v_dual_mov_b32 v133, v15
	v_dual_mov_b32 v140, v12 :: v_dual_mov_b32 v141, v13
	ds_store_2addr_b64 v136, v[132:133], v[140:141] offset0:60 offset1:61
	ds_store_b64 v136, v[130:131] offset:496
	v_mov_b32_e32 v140, 7
.LBB124_165:
	s_or_b32 exec_lo, exec_lo, s0
	s_delay_alu instid0(SALU_CYCLE_1)
	s_mov_b32 s0, exec_lo
	s_wait_storecnt_dscnt 0x0
	s_barrier_signal -1
	s_barrier_wait -1
	v_cmpx_lt_i32_e32 7, v140
	s_cbranch_execz .LBB124_167
; %bb.166:
	v_pk_mul_f32 v[142:143], v[134:135], v[70:71] op_sel:[1,1] op_sel_hi:[0,1]
	s_delay_alu instid0(VALU_DEP_1)
	v_pk_fma_f32 v[132:133], v[134:135], v[70:71], v[142:143] op_sel_hi:[1,0,1] neg_lo:[0,0,1] neg_hi:[0,0,1]
	v_pk_fma_f32 v[134:135], v[134:135], v[70:71], v[142:143] op_sel_hi:[1,0,1]
	ds_load_2addr_b64 v[142:145], v136 offset0:8 offset1:9
	v_dual_mov_b32 v70, v132 :: v_dual_mov_b32 v71, v135
	s_wait_dscnt 0x0
	v_pk_mul_f32 v[146:147], v[142:143], v[134:135] op_sel:[0,1]
	s_delay_alu instid0(VALU_DEP_1) | instskip(SKIP_1) | instid1(VALU_DEP_1)
	v_pk_fma_f32 v[148:149], v[142:143], v[132:133], v[146:147] op_sel:[0,0,1] op_sel_hi:[1,1,0] neg_lo:[0,0,1] neg_hi:[0,0,1]
	v_pk_fma_f32 v[142:143], v[142:143], v[132:133], v[146:147] op_sel:[0,0,1] op_sel_hi:[1,0,0]
	v_mov_b32_e32 v149, v143
	v_pk_mul_f32 v[142:143], v[144:145], v[134:135] op_sel:[0,1]
	s_delay_alu instid0(VALU_DEP_1) | instskip(SKIP_1) | instid1(VALU_DEP_1)
	v_pk_fma_f32 v[146:147], v[144:145], v[132:133], v[142:143] op_sel:[0,0,1] op_sel_hi:[1,1,0] neg_lo:[0,0,1] neg_hi:[0,0,1]
	v_pk_fma_f32 v[142:143], v[144:145], v[132:133], v[142:143] op_sel:[0,0,1] op_sel_hi:[1,0,0]
	v_mov_b32_e32 v147, v143
	ds_load_2addr_b64 v[142:145], v136 offset0:10 offset1:11
	v_pk_add_f32 v[116:117], v[116:117], v[148:149] neg_lo:[0,1] neg_hi:[0,1]
	v_pk_add_f32 v[114:115], v[114:115], v[146:147] neg_lo:[0,1] neg_hi:[0,1]
	s_wait_dscnt 0x0
	v_pk_mul_f32 v[146:147], v[142:143], v[134:135] op_sel:[0,1]
	s_delay_alu instid0(VALU_DEP_1) | instskip(SKIP_2) | instid1(VALU_DEP_2)
	v_pk_fma_f32 v[148:149], v[142:143], v[132:133], v[146:147] op_sel:[0,0,1] op_sel_hi:[1,1,0] neg_lo:[0,0,1] neg_hi:[0,0,1]
	v_pk_fma_f32 v[142:143], v[142:143], v[132:133], v[146:147] op_sel:[0,0,1] op_sel_hi:[1,0,0]
	v_dual_mul_f32 v146, v145, v135 :: v_dual_mov_b32 v142, v145
	v_dual_mov_b32 v149, v143 :: v_dual_mov_b32 v143, v144
	s_delay_alu instid0(VALU_DEP_2) | instskip(SKIP_1) | instid1(VALU_DEP_3)
	v_pk_fma_f32 v[146:147], v[144:145], v[70:71], v[146:147] op_sel_hi:[1,1,0] neg_lo:[0,0,1] neg_hi:[0,0,1]
	v_mul_f32_e32 v144, v145, v132
	v_pk_add_f32 v[64:65], v[64:65], v[148:149] neg_lo:[0,1] neg_hi:[0,1]
	s_delay_alu instid0(VALU_DEP_2) | instskip(NEXT) | instid1(VALU_DEP_1)
	v_pk_fma_f32 v[142:143], v[142:143], v[70:71], v[144:145] op_sel_hi:[1,1,0]
	v_mov_b32_e32 v147, v143
	ds_load_2addr_b64 v[142:145], v136 offset0:12 offset1:13
	v_pk_add_f32 v[62:63], v[62:63], v[146:147] neg_lo:[0,1] neg_hi:[0,1]
	s_wait_dscnt 0x0
	v_pk_mul_f32 v[146:147], v[142:143], v[134:135] op_sel:[0,1]
	s_delay_alu instid0(VALU_DEP_1) | instskip(SKIP_1) | instid1(VALU_DEP_1)
	v_pk_fma_f32 v[148:149], v[142:143], v[132:133], v[146:147] op_sel:[0,0,1] op_sel_hi:[1,1,0] neg_lo:[0,0,1] neg_hi:[0,0,1]
	v_pk_fma_f32 v[142:143], v[142:143], v[132:133], v[146:147] op_sel:[0,0,1] op_sel_hi:[1,0,0]
	v_mov_b32_e32 v149, v143
	v_pk_mul_f32 v[142:143], v[144:145], v[134:135] op_sel:[0,1]
	s_delay_alu instid0(VALU_DEP_1) | instskip(SKIP_1) | instid1(VALU_DEP_1)
	v_pk_fma_f32 v[146:147], v[144:145], v[132:133], v[142:143] op_sel:[0,0,1] op_sel_hi:[1,1,0] neg_lo:[0,0,1] neg_hi:[0,0,1]
	v_pk_fma_f32 v[142:143], v[144:145], v[132:133], v[142:143] op_sel:[0,0,1] op_sel_hi:[1,0,0]
	v_mov_b32_e32 v147, v143
	ds_load_2addr_b64 v[142:145], v136 offset0:14 offset1:15
	v_pk_add_f32 v[112:113], v[112:113], v[148:149] neg_lo:[0,1] neg_hi:[0,1]
	v_pk_add_f32 v[110:111], v[110:111], v[146:147] neg_lo:[0,1] neg_hi:[0,1]
	s_wait_dscnt 0x0
	v_pk_mul_f32 v[146:147], v[142:143], v[134:135] op_sel:[0,1]
	s_delay_alu instid0(VALU_DEP_1) | instskip(SKIP_1) | instid1(VALU_DEP_1)
	v_pk_fma_f32 v[148:149], v[142:143], v[132:133], v[146:147] op_sel:[0,0,1] op_sel_hi:[1,1,0] neg_lo:[0,0,1] neg_hi:[0,0,1]
	v_pk_fma_f32 v[142:143], v[142:143], v[132:133], v[146:147] op_sel:[0,0,1] op_sel_hi:[1,0,0]
	v_mov_b32_e32 v149, v143
	v_pk_mul_f32 v[142:143], v[144:145], v[134:135] op_sel:[0,1]
	s_delay_alu instid0(VALU_DEP_1) | instskip(SKIP_1) | instid1(VALU_DEP_1)
	v_pk_fma_f32 v[146:147], v[144:145], v[132:133], v[142:143] op_sel:[0,0,1] op_sel_hi:[1,1,0] neg_lo:[0,0,1] neg_hi:[0,0,1]
	v_pk_fma_f32 v[142:143], v[144:145], v[132:133], v[142:143] op_sel:[0,0,1] op_sel_hi:[1,0,0]
	v_mov_b32_e32 v147, v143
	ds_load_2addr_b64 v[142:145], v136 offset0:16 offset1:17
	v_pk_add_f32 v[60:61], v[60:61], v[148:149] neg_lo:[0,1] neg_hi:[0,1]
	v_pk_add_f32 v[58:59], v[58:59], v[146:147] neg_lo:[0,1] neg_hi:[0,1]
	s_wait_dscnt 0x0
	v_dual_mul_f32 v146, v143, v135 :: v_dual_mul_f32 v148, v143, v132
	s_delay_alu instid0(VALU_DEP_1) | instskip(NEXT) | instid1(VALU_DEP_2)
	v_pk_fma_f32 v[146:147], v[142:143], v[70:71], v[146:147] op_sel_hi:[1,1,0] neg_lo:[0,0,1] neg_hi:[0,0,1]
	v_pk_fma_f32 v[142:143], v[142:143], v[70:71], v[148:149] op_sel:[1,0,0] op_sel_hi:[0,1,0]
	s_delay_alu instid0(VALU_DEP_1) | instskip(SKIP_1) | instid1(VALU_DEP_2)
	v_mov_b32_e32 v147, v143
	v_pk_mul_f32 v[142:143], v[144:145], v[134:135] op_sel:[0,1]
	v_pk_add_f32 v[108:109], v[108:109], v[146:147] neg_lo:[0,1] neg_hi:[0,1]
	s_delay_alu instid0(VALU_DEP_2) | instskip(SKIP_1) | instid1(VALU_DEP_1)
	v_pk_fma_f32 v[146:147], v[144:145], v[132:133], v[142:143] op_sel:[0,0,1] op_sel_hi:[1,1,0] neg_lo:[0,0,1] neg_hi:[0,0,1]
	v_pk_fma_f32 v[142:143], v[144:145], v[132:133], v[142:143] op_sel:[0,0,1] op_sel_hi:[1,0,0]
	v_mov_b32_e32 v147, v143
	ds_load_2addr_b64 v[142:145], v136 offset0:18 offset1:19
	v_pk_add_f32 v[106:107], v[106:107], v[146:147] neg_lo:[0,1] neg_hi:[0,1]
	s_wait_dscnt 0x0
	v_pk_mul_f32 v[146:147], v[142:143], v[134:135] op_sel:[0,1]
	s_delay_alu instid0(VALU_DEP_1) | instskip(SKIP_1) | instid1(VALU_DEP_1)
	v_pk_fma_f32 v[148:149], v[142:143], v[132:133], v[146:147] op_sel:[0,0,1] op_sel_hi:[1,1,0] neg_lo:[0,0,1] neg_hi:[0,0,1]
	v_pk_fma_f32 v[142:143], v[142:143], v[132:133], v[146:147] op_sel:[0,0,1] op_sel_hi:[1,0,0]
	v_mov_b32_e32 v149, v143
	v_pk_mul_f32 v[142:143], v[144:145], v[134:135] op_sel:[0,1]
	s_delay_alu instid0(VALU_DEP_2) | instskip(NEXT) | instid1(VALU_DEP_2)
	v_pk_add_f32 v[56:57], v[56:57], v[148:149] neg_lo:[0,1] neg_hi:[0,1]
	v_pk_fma_f32 v[146:147], v[144:145], v[132:133], v[142:143] op_sel:[0,0,1] op_sel_hi:[1,1,0] neg_lo:[0,0,1] neg_hi:[0,0,1]
	v_pk_fma_f32 v[142:143], v[144:145], v[132:133], v[142:143] op_sel:[0,0,1] op_sel_hi:[1,0,0]
	s_delay_alu instid0(VALU_DEP_1) | instskip(SKIP_4) | instid1(VALU_DEP_1)
	v_mov_b32_e32 v147, v143
	ds_load_2addr_b64 v[142:145], v136 offset0:20 offset1:21
	v_pk_add_f32 v[54:55], v[54:55], v[146:147] neg_lo:[0,1] neg_hi:[0,1]
	s_wait_dscnt 0x0
	v_pk_mul_f32 v[146:147], v[142:143], v[134:135] op_sel:[0,1]
	v_pk_fma_f32 v[148:149], v[142:143], v[132:133], v[146:147] op_sel:[0,0,1] op_sel_hi:[1,1,0] neg_lo:[0,0,1] neg_hi:[0,0,1]
	v_pk_fma_f32 v[142:143], v[142:143], v[132:133], v[146:147] op_sel:[0,0,1] op_sel_hi:[1,0,0]
	v_dual_mul_f32 v146, v145, v135 :: v_dual_mov_b32 v142, v145
	s_delay_alu instid0(VALU_DEP_2) | instskip(NEXT) | instid1(VALU_DEP_2)
	v_dual_mov_b32 v149, v143 :: v_dual_mov_b32 v143, v144
	v_pk_fma_f32 v[146:147], v[144:145], v[70:71], v[146:147] op_sel_hi:[1,1,0] neg_lo:[0,0,1] neg_hi:[0,0,1]
	v_mul_f32_e32 v144, v145, v132
	s_delay_alu instid0(VALU_DEP_3) | instskip(NEXT) | instid1(VALU_DEP_2)
	v_pk_add_f32 v[104:105], v[104:105], v[148:149] neg_lo:[0,1] neg_hi:[0,1]
	v_pk_fma_f32 v[142:143], v[142:143], v[70:71], v[144:145] op_sel_hi:[1,1,0]
	s_delay_alu instid0(VALU_DEP_1) | instskip(SKIP_4) | instid1(VALU_DEP_1)
	v_mov_b32_e32 v147, v143
	ds_load_2addr_b64 v[142:145], v136 offset0:22 offset1:23
	v_pk_add_f32 v[102:103], v[102:103], v[146:147] neg_lo:[0,1] neg_hi:[0,1]
	s_wait_dscnt 0x0
	v_pk_mul_f32 v[146:147], v[142:143], v[134:135] op_sel:[0,1]
	v_pk_fma_f32 v[148:149], v[142:143], v[132:133], v[146:147] op_sel:[0,0,1] op_sel_hi:[1,1,0] neg_lo:[0,0,1] neg_hi:[0,0,1]
	v_pk_fma_f32 v[142:143], v[142:143], v[132:133], v[146:147] op_sel:[0,0,1] op_sel_hi:[1,0,0]
	s_delay_alu instid0(VALU_DEP_1) | instskip(SKIP_1) | instid1(VALU_DEP_1)
	v_mov_b32_e32 v149, v143
	v_pk_mul_f32 v[142:143], v[144:145], v[134:135] op_sel:[0,1]
	v_pk_fma_f32 v[146:147], v[144:145], v[132:133], v[142:143] op_sel:[0,0,1] op_sel_hi:[1,1,0] neg_lo:[0,0,1] neg_hi:[0,0,1]
	v_pk_fma_f32 v[142:143], v[144:145], v[132:133], v[142:143] op_sel:[0,0,1] op_sel_hi:[1,0,0]
	s_delay_alu instid0(VALU_DEP_1)
	v_mov_b32_e32 v147, v143
	ds_load_2addr_b64 v[142:145], v136 offset0:24 offset1:25
	v_pk_add_f32 v[52:53], v[52:53], v[148:149] neg_lo:[0,1] neg_hi:[0,1]
	v_pk_add_f32 v[50:51], v[50:51], v[146:147] neg_lo:[0,1] neg_hi:[0,1]
	s_wait_dscnt 0x0
	v_pk_mul_f32 v[146:147], v[142:143], v[134:135] op_sel:[0,1]
	s_delay_alu instid0(VALU_DEP_1) | instskip(SKIP_1) | instid1(VALU_DEP_1)
	v_pk_fma_f32 v[148:149], v[142:143], v[132:133], v[146:147] op_sel:[0,0,1] op_sel_hi:[1,1,0] neg_lo:[0,0,1] neg_hi:[0,0,1]
	v_pk_fma_f32 v[142:143], v[142:143], v[132:133], v[146:147] op_sel:[0,0,1] op_sel_hi:[1,0,0]
	v_mov_b32_e32 v149, v143
	v_pk_mul_f32 v[142:143], v[144:145], v[134:135] op_sel:[0,1]
	s_delay_alu instid0(VALU_DEP_1) | instskip(SKIP_1) | instid1(VALU_DEP_1)
	v_pk_fma_f32 v[146:147], v[144:145], v[132:133], v[142:143] op_sel:[0,0,1] op_sel_hi:[1,1,0] neg_lo:[0,0,1] neg_hi:[0,0,1]
	v_pk_fma_f32 v[142:143], v[144:145], v[132:133], v[142:143] op_sel:[0,0,1] op_sel_hi:[1,0,0]
	v_mov_b32_e32 v147, v143
	ds_load_2addr_b64 v[142:145], v136 offset0:26 offset1:27
	v_pk_add_f32 v[100:101], v[100:101], v[148:149] neg_lo:[0,1] neg_hi:[0,1]
	v_pk_add_f32 v[98:99], v[98:99], v[146:147] neg_lo:[0,1] neg_hi:[0,1]
	s_wait_dscnt 0x0
	v_dual_mul_f32 v146, v143, v135 :: v_dual_mul_f32 v148, v143, v132
	s_delay_alu instid0(VALU_DEP_1) | instskip(NEXT) | instid1(VALU_DEP_2)
	v_pk_fma_f32 v[146:147], v[142:143], v[70:71], v[146:147] op_sel_hi:[1,1,0] neg_lo:[0,0,1] neg_hi:[0,0,1]
	v_pk_fma_f32 v[142:143], v[142:143], v[70:71], v[148:149] op_sel:[1,0,0] op_sel_hi:[0,1,0]
	s_delay_alu instid0(VALU_DEP_1) | instskip(SKIP_1) | instid1(VALU_DEP_2)
	v_mov_b32_e32 v147, v143
	v_pk_mul_f32 v[142:143], v[144:145], v[134:135] op_sel:[0,1]
	v_pk_add_f32 v[48:49], v[48:49], v[146:147] neg_lo:[0,1] neg_hi:[0,1]
	s_delay_alu instid0(VALU_DEP_2) | instskip(SKIP_1) | instid1(VALU_DEP_1)
	v_pk_fma_f32 v[146:147], v[144:145], v[132:133], v[142:143] op_sel:[0,0,1] op_sel_hi:[1,1,0] neg_lo:[0,0,1] neg_hi:[0,0,1]
	v_pk_fma_f32 v[142:143], v[144:145], v[132:133], v[142:143] op_sel:[0,0,1] op_sel_hi:[1,0,0]
	v_mov_b32_e32 v147, v143
	ds_load_2addr_b64 v[142:145], v136 offset0:28 offset1:29
	v_pk_add_f32 v[46:47], v[46:47], v[146:147] neg_lo:[0,1] neg_hi:[0,1]
	s_wait_dscnt 0x0
	v_pk_mul_f32 v[146:147], v[142:143], v[134:135] op_sel:[0,1]
	s_delay_alu instid0(VALU_DEP_1) | instskip(SKIP_1) | instid1(VALU_DEP_1)
	v_pk_fma_f32 v[148:149], v[142:143], v[132:133], v[146:147] op_sel:[0,0,1] op_sel_hi:[1,1,0] neg_lo:[0,0,1] neg_hi:[0,0,1]
	v_pk_fma_f32 v[142:143], v[142:143], v[132:133], v[146:147] op_sel:[0,0,1] op_sel_hi:[1,0,0]
	v_mov_b32_e32 v149, v143
	v_pk_mul_f32 v[142:143], v[144:145], v[134:135] op_sel:[0,1]
	s_delay_alu instid0(VALU_DEP_2) | instskip(NEXT) | instid1(VALU_DEP_2)
	v_pk_add_f32 v[96:97], v[96:97], v[148:149] neg_lo:[0,1] neg_hi:[0,1]
	v_pk_fma_f32 v[146:147], v[144:145], v[132:133], v[142:143] op_sel:[0,0,1] op_sel_hi:[1,1,0] neg_lo:[0,0,1] neg_hi:[0,0,1]
	v_pk_fma_f32 v[142:143], v[144:145], v[132:133], v[142:143] op_sel:[0,0,1] op_sel_hi:[1,0,0]
	s_delay_alu instid0(VALU_DEP_1) | instskip(SKIP_4) | instid1(VALU_DEP_1)
	v_mov_b32_e32 v147, v143
	ds_load_2addr_b64 v[142:145], v136 offset0:30 offset1:31
	v_pk_add_f32 v[94:95], v[94:95], v[146:147] neg_lo:[0,1] neg_hi:[0,1]
	s_wait_dscnt 0x0
	v_pk_mul_f32 v[146:147], v[142:143], v[134:135] op_sel:[0,1]
	v_pk_fma_f32 v[148:149], v[142:143], v[132:133], v[146:147] op_sel:[0,0,1] op_sel_hi:[1,1,0] neg_lo:[0,0,1] neg_hi:[0,0,1]
	v_pk_fma_f32 v[142:143], v[142:143], v[132:133], v[146:147] op_sel:[0,0,1] op_sel_hi:[1,0,0]
	v_dual_mul_f32 v146, v145, v135 :: v_dual_mov_b32 v142, v145
	s_delay_alu instid0(VALU_DEP_2) | instskip(NEXT) | instid1(VALU_DEP_2)
	v_dual_mov_b32 v149, v143 :: v_dual_mov_b32 v143, v144
	v_pk_fma_f32 v[146:147], v[144:145], v[70:71], v[146:147] op_sel_hi:[1,1,0] neg_lo:[0,0,1] neg_hi:[0,0,1]
	v_mul_f32_e32 v144, v145, v132
	s_delay_alu instid0(VALU_DEP_3) | instskip(NEXT) | instid1(VALU_DEP_2)
	v_pk_add_f32 v[44:45], v[44:45], v[148:149] neg_lo:[0,1] neg_hi:[0,1]
	v_pk_fma_f32 v[142:143], v[142:143], v[70:71], v[144:145] op_sel_hi:[1,1,0]
	s_delay_alu instid0(VALU_DEP_1) | instskip(SKIP_4) | instid1(VALU_DEP_1)
	v_mov_b32_e32 v147, v143
	ds_load_2addr_b64 v[142:145], v136 offset0:32 offset1:33
	v_pk_add_f32 v[42:43], v[42:43], v[146:147] neg_lo:[0,1] neg_hi:[0,1]
	s_wait_dscnt 0x0
	v_pk_mul_f32 v[146:147], v[142:143], v[134:135] op_sel:[0,1]
	v_pk_fma_f32 v[148:149], v[142:143], v[132:133], v[146:147] op_sel:[0,0,1] op_sel_hi:[1,1,0] neg_lo:[0,0,1] neg_hi:[0,0,1]
	v_pk_fma_f32 v[142:143], v[142:143], v[132:133], v[146:147] op_sel:[0,0,1] op_sel_hi:[1,0,0]
	s_delay_alu instid0(VALU_DEP_1) | instskip(SKIP_1) | instid1(VALU_DEP_1)
	v_mov_b32_e32 v149, v143
	v_pk_mul_f32 v[142:143], v[144:145], v[134:135] op_sel:[0,1]
	v_pk_fma_f32 v[146:147], v[144:145], v[132:133], v[142:143] op_sel:[0,0,1] op_sel_hi:[1,1,0] neg_lo:[0,0,1] neg_hi:[0,0,1]
	v_pk_fma_f32 v[142:143], v[144:145], v[132:133], v[142:143] op_sel:[0,0,1] op_sel_hi:[1,0,0]
	s_delay_alu instid0(VALU_DEP_1)
	v_mov_b32_e32 v147, v143
	ds_load_2addr_b64 v[142:145], v136 offset0:34 offset1:35
	v_pk_add_f32 v[92:93], v[92:93], v[148:149] neg_lo:[0,1] neg_hi:[0,1]
	v_pk_add_f32 v[90:91], v[90:91], v[146:147] neg_lo:[0,1] neg_hi:[0,1]
	s_wait_dscnt 0x0
	v_pk_mul_f32 v[146:147], v[142:143], v[134:135] op_sel:[0,1]
	s_delay_alu instid0(VALU_DEP_1) | instskip(SKIP_1) | instid1(VALU_DEP_1)
	v_pk_fma_f32 v[148:149], v[142:143], v[132:133], v[146:147] op_sel:[0,0,1] op_sel_hi:[1,1,0] neg_lo:[0,0,1] neg_hi:[0,0,1]
	v_pk_fma_f32 v[142:143], v[142:143], v[132:133], v[146:147] op_sel:[0,0,1] op_sel_hi:[1,0,0]
	v_mov_b32_e32 v149, v143
	v_pk_mul_f32 v[142:143], v[144:145], v[134:135] op_sel:[0,1]
	s_delay_alu instid0(VALU_DEP_1) | instskip(SKIP_1) | instid1(VALU_DEP_1)
	v_pk_fma_f32 v[146:147], v[144:145], v[132:133], v[142:143] op_sel:[0,0,1] op_sel_hi:[1,1,0] neg_lo:[0,0,1] neg_hi:[0,0,1]
	v_pk_fma_f32 v[142:143], v[144:145], v[132:133], v[142:143] op_sel:[0,0,1] op_sel_hi:[1,0,0]
	v_mov_b32_e32 v147, v143
	ds_load_2addr_b64 v[142:145], v136 offset0:36 offset1:37
	v_pk_add_f32 v[40:41], v[40:41], v[148:149] neg_lo:[0,1] neg_hi:[0,1]
	v_pk_add_f32 v[38:39], v[38:39], v[146:147] neg_lo:[0,1] neg_hi:[0,1]
	s_wait_dscnt 0x0
	v_dual_mul_f32 v146, v143, v135 :: v_dual_mul_f32 v148, v143, v132
	s_delay_alu instid0(VALU_DEP_1) | instskip(NEXT) | instid1(VALU_DEP_2)
	v_pk_fma_f32 v[146:147], v[142:143], v[70:71], v[146:147] op_sel_hi:[1,1,0] neg_lo:[0,0,1] neg_hi:[0,0,1]
	v_pk_fma_f32 v[142:143], v[142:143], v[70:71], v[148:149] op_sel:[1,0,0] op_sel_hi:[0,1,0]
	s_delay_alu instid0(VALU_DEP_1) | instskip(SKIP_1) | instid1(VALU_DEP_2)
	v_mov_b32_e32 v147, v143
	v_pk_mul_f32 v[142:143], v[144:145], v[134:135] op_sel:[0,1]
	v_pk_add_f32 v[88:89], v[88:89], v[146:147] neg_lo:[0,1] neg_hi:[0,1]
	s_delay_alu instid0(VALU_DEP_2) | instskip(SKIP_1) | instid1(VALU_DEP_1)
	v_pk_fma_f32 v[146:147], v[144:145], v[132:133], v[142:143] op_sel:[0,0,1] op_sel_hi:[1,1,0] neg_lo:[0,0,1] neg_hi:[0,0,1]
	v_pk_fma_f32 v[142:143], v[144:145], v[132:133], v[142:143] op_sel:[0,0,1] op_sel_hi:[1,0,0]
	v_mov_b32_e32 v147, v143
	ds_load_2addr_b64 v[142:145], v136 offset0:38 offset1:39
	v_pk_add_f32 v[86:87], v[86:87], v[146:147] neg_lo:[0,1] neg_hi:[0,1]
	s_wait_dscnt 0x0
	v_pk_mul_f32 v[146:147], v[142:143], v[134:135] op_sel:[0,1]
	s_delay_alu instid0(VALU_DEP_1) | instskip(SKIP_1) | instid1(VALU_DEP_1)
	v_pk_fma_f32 v[148:149], v[142:143], v[132:133], v[146:147] op_sel:[0,0,1] op_sel_hi:[1,1,0] neg_lo:[0,0,1] neg_hi:[0,0,1]
	v_pk_fma_f32 v[142:143], v[142:143], v[132:133], v[146:147] op_sel:[0,0,1] op_sel_hi:[1,0,0]
	v_mov_b32_e32 v149, v143
	v_pk_mul_f32 v[142:143], v[144:145], v[134:135] op_sel:[0,1]
	s_delay_alu instid0(VALU_DEP_2) | instskip(NEXT) | instid1(VALU_DEP_2)
	v_pk_add_f32 v[36:37], v[36:37], v[148:149] neg_lo:[0,1] neg_hi:[0,1]
	v_pk_fma_f32 v[146:147], v[144:145], v[132:133], v[142:143] op_sel:[0,0,1] op_sel_hi:[1,1,0] neg_lo:[0,0,1] neg_hi:[0,0,1]
	v_pk_fma_f32 v[142:143], v[144:145], v[132:133], v[142:143] op_sel:[0,0,1] op_sel_hi:[1,0,0]
	s_delay_alu instid0(VALU_DEP_1) | instskip(SKIP_4) | instid1(VALU_DEP_1)
	v_mov_b32_e32 v147, v143
	ds_load_2addr_b64 v[142:145], v136 offset0:40 offset1:41
	v_pk_add_f32 v[32:33], v[32:33], v[146:147] neg_lo:[0,1] neg_hi:[0,1]
	s_wait_dscnt 0x0
	v_pk_mul_f32 v[146:147], v[142:143], v[134:135] op_sel:[0,1]
	v_pk_fma_f32 v[148:149], v[142:143], v[132:133], v[146:147] op_sel:[0,0,1] op_sel_hi:[1,1,0] neg_lo:[0,0,1] neg_hi:[0,0,1]
	v_pk_fma_f32 v[142:143], v[142:143], v[132:133], v[146:147] op_sel:[0,0,1] op_sel_hi:[1,0,0]
	v_dual_mul_f32 v146, v145, v135 :: v_dual_mov_b32 v142, v145
	s_delay_alu instid0(VALU_DEP_2) | instskip(NEXT) | instid1(VALU_DEP_2)
	v_dual_mov_b32 v149, v143 :: v_dual_mov_b32 v143, v144
	v_pk_fma_f32 v[146:147], v[144:145], v[70:71], v[146:147] op_sel_hi:[1,1,0] neg_lo:[0,0,1] neg_hi:[0,0,1]
	v_mul_f32_e32 v144, v145, v132
	s_delay_alu instid0(VALU_DEP_3) | instskip(NEXT) | instid1(VALU_DEP_2)
	v_pk_add_f32 v[84:85], v[84:85], v[148:149] neg_lo:[0,1] neg_hi:[0,1]
	v_pk_fma_f32 v[142:143], v[142:143], v[70:71], v[144:145] op_sel_hi:[1,1,0]
	s_delay_alu instid0(VALU_DEP_1) | instskip(SKIP_4) | instid1(VALU_DEP_1)
	v_mov_b32_e32 v147, v143
	ds_load_2addr_b64 v[142:145], v136 offset0:42 offset1:43
	v_pk_add_f32 v[82:83], v[82:83], v[146:147] neg_lo:[0,1] neg_hi:[0,1]
	s_wait_dscnt 0x0
	v_pk_mul_f32 v[146:147], v[142:143], v[134:135] op_sel:[0,1]
	v_pk_fma_f32 v[148:149], v[142:143], v[132:133], v[146:147] op_sel:[0,0,1] op_sel_hi:[1,1,0] neg_lo:[0,0,1] neg_hi:[0,0,1]
	v_pk_fma_f32 v[142:143], v[142:143], v[132:133], v[146:147] op_sel:[0,0,1] op_sel_hi:[1,0,0]
	s_delay_alu instid0(VALU_DEP_1) | instskip(SKIP_1) | instid1(VALU_DEP_1)
	v_mov_b32_e32 v149, v143
	v_pk_mul_f32 v[142:143], v[144:145], v[134:135] op_sel:[0,1]
	v_pk_fma_f32 v[146:147], v[144:145], v[132:133], v[142:143] op_sel:[0,0,1] op_sel_hi:[1,1,0] neg_lo:[0,0,1] neg_hi:[0,0,1]
	v_pk_fma_f32 v[142:143], v[144:145], v[132:133], v[142:143] op_sel:[0,0,1] op_sel_hi:[1,0,0]
	s_delay_alu instid0(VALU_DEP_1)
	v_mov_b32_e32 v147, v143
	ds_load_2addr_b64 v[142:145], v136 offset0:44 offset1:45
	v_pk_add_f32 v[24:25], v[24:25], v[148:149] neg_lo:[0,1] neg_hi:[0,1]
	v_pk_add_f32 v[22:23], v[22:23], v[146:147] neg_lo:[0,1] neg_hi:[0,1]
	s_wait_dscnt 0x0
	v_pk_mul_f32 v[146:147], v[142:143], v[134:135] op_sel:[0,1]
	s_delay_alu instid0(VALU_DEP_1) | instskip(SKIP_1) | instid1(VALU_DEP_1)
	v_pk_fma_f32 v[148:149], v[142:143], v[132:133], v[146:147] op_sel:[0,0,1] op_sel_hi:[1,1,0] neg_lo:[0,0,1] neg_hi:[0,0,1]
	v_pk_fma_f32 v[142:143], v[142:143], v[132:133], v[146:147] op_sel:[0,0,1] op_sel_hi:[1,0,0]
	v_mov_b32_e32 v149, v143
	v_pk_mul_f32 v[142:143], v[144:145], v[134:135] op_sel:[0,1]
	s_delay_alu instid0(VALU_DEP_1) | instskip(SKIP_1) | instid1(VALU_DEP_1)
	v_pk_fma_f32 v[146:147], v[144:145], v[132:133], v[142:143] op_sel:[0,0,1] op_sel_hi:[1,1,0] neg_lo:[0,0,1] neg_hi:[0,0,1]
	v_pk_fma_f32 v[142:143], v[144:145], v[132:133], v[142:143] op_sel:[0,0,1] op_sel_hi:[1,0,0]
	v_mov_b32_e32 v147, v143
	ds_load_2addr_b64 v[142:145], v136 offset0:46 offset1:47
	v_pk_add_f32 v[80:81], v[80:81], v[148:149] neg_lo:[0,1] neg_hi:[0,1]
	v_pk_add_f32 v[78:79], v[78:79], v[146:147] neg_lo:[0,1] neg_hi:[0,1]
	s_wait_dscnt 0x0
	v_dual_mul_f32 v146, v143, v135 :: v_dual_mul_f32 v148, v143, v132
	s_delay_alu instid0(VALU_DEP_1) | instskip(NEXT) | instid1(VALU_DEP_2)
	v_pk_fma_f32 v[146:147], v[142:143], v[70:71], v[146:147] op_sel_hi:[1,1,0] neg_lo:[0,0,1] neg_hi:[0,0,1]
	v_pk_fma_f32 v[142:143], v[142:143], v[70:71], v[148:149] op_sel:[1,0,0] op_sel_hi:[0,1,0]
	s_delay_alu instid0(VALU_DEP_1) | instskip(SKIP_1) | instid1(VALU_DEP_2)
	v_mov_b32_e32 v147, v143
	v_pk_mul_f32 v[142:143], v[144:145], v[134:135] op_sel:[0,1]
	v_pk_add_f32 v[20:21], v[20:21], v[146:147] neg_lo:[0,1] neg_hi:[0,1]
	s_delay_alu instid0(VALU_DEP_2) | instskip(SKIP_1) | instid1(VALU_DEP_1)
	v_pk_fma_f32 v[146:147], v[144:145], v[132:133], v[142:143] op_sel:[0,0,1] op_sel_hi:[1,1,0] neg_lo:[0,0,1] neg_hi:[0,0,1]
	v_pk_fma_f32 v[142:143], v[144:145], v[132:133], v[142:143] op_sel:[0,0,1] op_sel_hi:[1,0,0]
	v_mov_b32_e32 v147, v143
	ds_load_2addr_b64 v[142:145], v136 offset0:48 offset1:49
	v_pk_add_f32 v[18:19], v[18:19], v[146:147] neg_lo:[0,1] neg_hi:[0,1]
	s_wait_dscnt 0x0
	v_pk_mul_f32 v[146:147], v[142:143], v[134:135] op_sel:[0,1]
	s_delay_alu instid0(VALU_DEP_1) | instskip(SKIP_1) | instid1(VALU_DEP_1)
	v_pk_fma_f32 v[148:149], v[142:143], v[132:133], v[146:147] op_sel:[0,0,1] op_sel_hi:[1,1,0] neg_lo:[0,0,1] neg_hi:[0,0,1]
	v_pk_fma_f32 v[142:143], v[142:143], v[132:133], v[146:147] op_sel:[0,0,1] op_sel_hi:[1,0,0]
	v_mov_b32_e32 v149, v143
	v_pk_mul_f32 v[142:143], v[144:145], v[134:135] op_sel:[0,1]
	s_delay_alu instid0(VALU_DEP_2) | instskip(NEXT) | instid1(VALU_DEP_2)
	v_pk_add_f32 v[76:77], v[76:77], v[148:149] neg_lo:[0,1] neg_hi:[0,1]
	v_pk_fma_f32 v[146:147], v[144:145], v[132:133], v[142:143] op_sel:[0,0,1] op_sel_hi:[1,1,0] neg_lo:[0,0,1] neg_hi:[0,0,1]
	v_pk_fma_f32 v[142:143], v[144:145], v[132:133], v[142:143] op_sel:[0,0,1] op_sel_hi:[1,0,0]
	s_delay_alu instid0(VALU_DEP_1) | instskip(SKIP_4) | instid1(VALU_DEP_1)
	v_mov_b32_e32 v147, v143
	ds_load_2addr_b64 v[142:145], v136 offset0:50 offset1:51
	v_pk_add_f32 v[74:75], v[74:75], v[146:147] neg_lo:[0,1] neg_hi:[0,1]
	s_wait_dscnt 0x0
	v_pk_mul_f32 v[146:147], v[142:143], v[134:135] op_sel:[0,1]
	v_pk_fma_f32 v[148:149], v[142:143], v[132:133], v[146:147] op_sel:[0,0,1] op_sel_hi:[1,1,0] neg_lo:[0,0,1] neg_hi:[0,0,1]
	v_pk_fma_f32 v[142:143], v[142:143], v[132:133], v[146:147] op_sel:[0,0,1] op_sel_hi:[1,0,0]
	v_dual_mul_f32 v146, v145, v135 :: v_dual_mov_b32 v142, v145
	s_delay_alu instid0(VALU_DEP_2) | instskip(NEXT) | instid1(VALU_DEP_2)
	v_dual_mov_b32 v149, v143 :: v_dual_mov_b32 v143, v144
	v_pk_fma_f32 v[146:147], v[144:145], v[70:71], v[146:147] op_sel_hi:[1,1,0] neg_lo:[0,0,1] neg_hi:[0,0,1]
	v_mul_f32_e32 v144, v145, v132
	s_delay_alu instid0(VALU_DEP_3) | instskip(NEXT) | instid1(VALU_DEP_2)
	v_pk_add_f32 v[16:17], v[16:17], v[148:149] neg_lo:[0,1] neg_hi:[0,1]
	v_pk_fma_f32 v[142:143], v[142:143], v[70:71], v[144:145] op_sel_hi:[1,1,0]
	s_delay_alu instid0(VALU_DEP_1) | instskip(SKIP_4) | instid1(VALU_DEP_1)
	v_mov_b32_e32 v147, v143
	ds_load_2addr_b64 v[142:145], v136 offset0:52 offset1:53
	v_pk_add_f32 v[28:29], v[28:29], v[146:147] neg_lo:[0,1] neg_hi:[0,1]
	s_wait_dscnt 0x0
	v_pk_mul_f32 v[146:147], v[142:143], v[134:135] op_sel:[0,1]
	v_pk_fma_f32 v[148:149], v[142:143], v[132:133], v[146:147] op_sel:[0,0,1] op_sel_hi:[1,1,0] neg_lo:[0,0,1] neg_hi:[0,0,1]
	v_pk_fma_f32 v[142:143], v[142:143], v[132:133], v[146:147] op_sel:[0,0,1] op_sel_hi:[1,0,0]
	s_delay_alu instid0(VALU_DEP_1) | instskip(SKIP_1) | instid1(VALU_DEP_1)
	v_mov_b32_e32 v149, v143
	v_pk_mul_f32 v[142:143], v[144:145], v[134:135] op_sel:[0,1]
	v_pk_fma_f32 v[146:147], v[144:145], v[132:133], v[142:143] op_sel:[0,0,1] op_sel_hi:[1,1,0] neg_lo:[0,0,1] neg_hi:[0,0,1]
	v_pk_fma_f32 v[142:143], v[144:145], v[132:133], v[142:143] op_sel:[0,0,1] op_sel_hi:[1,0,0]
	s_delay_alu instid0(VALU_DEP_1)
	v_mov_b32_e32 v147, v143
	ds_load_2addr_b64 v[142:145], v136 offset0:54 offset1:55
	v_pk_add_f32 v[68:69], v[68:69], v[148:149] neg_lo:[0,1] neg_hi:[0,1]
	v_pk_add_f32 v[66:67], v[66:67], v[146:147] neg_lo:[0,1] neg_hi:[0,1]
	s_wait_dscnt 0x0
	v_pk_mul_f32 v[146:147], v[142:143], v[134:135] op_sel:[0,1]
	s_delay_alu instid0(VALU_DEP_1) | instskip(SKIP_1) | instid1(VALU_DEP_1)
	v_pk_fma_f32 v[148:149], v[142:143], v[132:133], v[146:147] op_sel:[0,0,1] op_sel_hi:[1,1,0] neg_lo:[0,0,1] neg_hi:[0,0,1]
	v_pk_fma_f32 v[142:143], v[142:143], v[132:133], v[146:147] op_sel:[0,0,1] op_sel_hi:[1,0,0]
	v_mov_b32_e32 v149, v143
	v_pk_mul_f32 v[142:143], v[144:145], v[134:135] op_sel:[0,1]
	s_delay_alu instid0(VALU_DEP_1) | instskip(SKIP_1) | instid1(VALU_DEP_1)
	v_pk_fma_f32 v[146:147], v[144:145], v[132:133], v[142:143] op_sel:[0,0,1] op_sel_hi:[1,1,0] neg_lo:[0,0,1] neg_hi:[0,0,1]
	v_pk_fma_f32 v[142:143], v[144:145], v[132:133], v[142:143] op_sel:[0,0,1] op_sel_hi:[1,0,0]
	v_mov_b32_e32 v147, v143
	ds_load_2addr_b64 v[142:145], v136 offset0:56 offset1:57
	v_pk_add_f32 v[10:11], v[10:11], v[148:149] neg_lo:[0,1] neg_hi:[0,1]
	v_pk_add_f32 v[8:9], v[8:9], v[146:147] neg_lo:[0,1] neg_hi:[0,1]
	s_wait_dscnt 0x0
	v_dual_mul_f32 v146, v143, v135 :: v_dual_mul_f32 v148, v143, v132
	s_delay_alu instid0(VALU_DEP_1) | instskip(NEXT) | instid1(VALU_DEP_2)
	v_pk_fma_f32 v[146:147], v[142:143], v[70:71], v[146:147] op_sel_hi:[1,1,0] neg_lo:[0,0,1] neg_hi:[0,0,1]
	v_pk_fma_f32 v[142:143], v[142:143], v[70:71], v[148:149] op_sel:[1,0,0] op_sel_hi:[0,1,0]
	s_delay_alu instid0(VALU_DEP_1) | instskip(SKIP_1) | instid1(VALU_DEP_2)
	v_mov_b32_e32 v147, v143
	v_pk_mul_f32 v[142:143], v[144:145], v[134:135] op_sel:[0,1]
	v_pk_add_f32 v[34:35], v[34:35], v[146:147] neg_lo:[0,1] neg_hi:[0,1]
	s_delay_alu instid0(VALU_DEP_2) | instskip(SKIP_1) | instid1(VALU_DEP_1)
	v_pk_fma_f32 v[146:147], v[144:145], v[132:133], v[142:143] op_sel:[0,0,1] op_sel_hi:[1,1,0] neg_lo:[0,0,1] neg_hi:[0,0,1]
	v_pk_fma_f32 v[142:143], v[144:145], v[132:133], v[142:143] op_sel:[0,0,1] op_sel_hi:[1,0,0]
	v_mov_b32_e32 v147, v143
	ds_load_2addr_b64 v[142:145], v136 offset0:58 offset1:59
	v_pk_add_f32 v[30:31], v[30:31], v[146:147] neg_lo:[0,1] neg_hi:[0,1]
	s_wait_dscnt 0x0
	v_pk_mul_f32 v[146:147], v[142:143], v[134:135] op_sel:[0,1]
	s_delay_alu instid0(VALU_DEP_1) | instskip(SKIP_1) | instid1(VALU_DEP_1)
	v_pk_fma_f32 v[148:149], v[142:143], v[132:133], v[146:147] op_sel:[0,0,1] op_sel_hi:[1,1,0] neg_lo:[0,0,1] neg_hi:[0,0,1]
	v_pk_fma_f32 v[142:143], v[142:143], v[132:133], v[146:147] op_sel:[0,0,1] op_sel_hi:[1,0,0]
	v_mov_b32_e32 v149, v143
	v_pk_mul_f32 v[142:143], v[144:145], v[134:135] op_sel:[0,1]
	s_delay_alu instid0(VALU_DEP_2) | instskip(NEXT) | instid1(VALU_DEP_2)
	v_pk_add_f32 v[6:7], v[6:7], v[148:149] neg_lo:[0,1] neg_hi:[0,1]
	v_pk_fma_f32 v[146:147], v[144:145], v[132:133], v[142:143] op_sel:[0,0,1] op_sel_hi:[1,1,0] neg_lo:[0,0,1] neg_hi:[0,0,1]
	v_pk_fma_f32 v[142:143], v[144:145], v[132:133], v[142:143] op_sel:[0,0,1] op_sel_hi:[1,0,0]
	s_delay_alu instid0(VALU_DEP_1) | instskip(SKIP_4) | instid1(VALU_DEP_1)
	v_mov_b32_e32 v147, v143
	ds_load_2addr_b64 v[142:145], v136 offset0:60 offset1:61
	v_pk_add_f32 v[26:27], v[26:27], v[146:147] neg_lo:[0,1] neg_hi:[0,1]
	s_wait_dscnt 0x0
	v_pk_mul_f32 v[146:147], v[142:143], v[134:135] op_sel:[0,1]
	v_pk_fma_f32 v[148:149], v[142:143], v[132:133], v[146:147] op_sel:[0,0,1] op_sel_hi:[1,1,0] neg_lo:[0,0,1] neg_hi:[0,0,1]
	v_pk_fma_f32 v[142:143], v[142:143], v[132:133], v[146:147] op_sel:[0,0,1] op_sel_hi:[1,0,0]
	v_dual_mul_f32 v146, v145, v135 :: v_dual_mov_b32 v142, v145
	s_delay_alu instid0(VALU_DEP_2) | instskip(NEXT) | instid1(VALU_DEP_2)
	v_dual_mov_b32 v149, v143 :: v_dual_mov_b32 v143, v144
	v_pk_fma_f32 v[146:147], v[144:145], v[70:71], v[146:147] op_sel_hi:[1,1,0] neg_lo:[0,0,1] neg_hi:[0,0,1]
	v_mul_f32_e32 v144, v145, v132
	s_delay_alu instid0(VALU_DEP_3) | instskip(NEXT) | instid1(VALU_DEP_2)
	v_pk_add_f32 v[14:15], v[14:15], v[148:149] neg_lo:[0,1] neg_hi:[0,1]
	v_pk_fma_f32 v[142:143], v[142:143], v[70:71], v[144:145] op_sel_hi:[1,1,0]
	s_delay_alu instid0(VALU_DEP_1) | instskip(SKIP_4) | instid1(VALU_DEP_1)
	v_mov_b32_e32 v147, v143
	ds_load_b64 v[142:143], v136 offset:496
	v_pk_add_f32 v[12:13], v[12:13], v[146:147] neg_lo:[0,1] neg_hi:[0,1]
	s_wait_dscnt 0x0
	v_pk_mul_f32 v[134:135], v[142:143], v[134:135] op_sel:[0,1]
	v_pk_fma_f32 v[144:145], v[142:143], v[132:133], v[134:135] op_sel:[0,0,1] op_sel_hi:[1,1,0] neg_lo:[0,0,1] neg_hi:[0,0,1]
	v_pk_fma_f32 v[132:133], v[142:143], v[132:133], v[134:135] op_sel:[0,0,1] op_sel_hi:[1,0,0]
	s_delay_alu instid0(VALU_DEP_1) | instskip(NEXT) | instid1(VALU_DEP_1)
	v_mov_b32_e32 v145, v133
	v_pk_add_f32 v[130:131], v[130:131], v[144:145] neg_lo:[0,1] neg_hi:[0,1]
.LBB124_167:
	s_or_b32 exec_lo, exec_lo, s0
	v_lshl_add_u32 v132, v140, 3, v136
	s_barrier_signal -1
	s_barrier_wait -1
	ds_store_b64 v132, v[116:117]
	s_wait_dscnt 0x0
	s_barrier_signal -1
	s_barrier_wait -1
	ds_load_b64 v[134:135], v136 offset:64
	v_mov_b32_e32 v132, 8
	s_cmp_lt_i32 s18, 10
	s_cbranch_scc1 .LBB124_170
; %bb.168:
	v_add3_u32 v133, v137, 0, 0x48
	v_mov_b32_e32 v132, 8
	s_mov_b32 s0, 9
.LBB124_169:                            ; =>This Inner Loop Header: Depth=1
	ds_load_b64 v[142:143], v133
	s_wait_dscnt 0x1
	v_cmp_gt_f32_e32 vcc_lo, 0, v134
	v_cndmask_b32_e64 v144, v134, -v134, vcc_lo
	v_cmp_gt_f32_e32 vcc_lo, 0, v135
	v_cndmask_b32_e64 v146, v135, -v135, vcc_lo
	s_wait_dscnt 0x0
	v_cmp_gt_f32_e32 vcc_lo, 0, v142
	v_cndmask_b32_e64 v145, v142, -v142, vcc_lo
	v_cmp_gt_f32_e32 vcc_lo, 0, v143
	v_cndmask_b32_e64 v147, v143, -v143, vcc_lo
	s_delay_alu instid0(VALU_DEP_1) | instskip(NEXT) | instid1(VALU_DEP_1)
	v_pk_add_f32 v[144:145], v[144:145], v[146:147]
	v_cmp_lt_f32_e32 vcc_lo, v144, v145
	v_dual_add_nc_u32 v133, 8, v133 :: v_dual_cndmask_b32 v135, v135, v143, vcc_lo
	v_cndmask_b32_e32 v134, v134, v142, vcc_lo
	v_cndmask_b32_e64 v132, v132, s0, vcc_lo
	s_add_co_i32 s0, s0, 1
	s_delay_alu instid0(SALU_CYCLE_1)
	s_cmp_lg_u32 s18, s0
	s_cbranch_scc1 .LBB124_169
.LBB124_170:
	s_wait_dscnt 0x0
	v_cmp_eq_f32_e32 vcc_lo, 0, v134
	v_cmp_eq_f32_e64 s0, 0, v135
	s_and_b32 s0, vcc_lo, s0
	s_delay_alu instid0(SALU_CYCLE_1) | instskip(NEXT) | instid1(SALU_CYCLE_1)
	s_and_saveexec_b32 s1, s0
	s_xor_b32 s0, exec_lo, s1
; %bb.171:
	v_cmp_ne_u32_e32 vcc_lo, 0, v138
	v_cndmask_b32_e32 v138, 9, v138, vcc_lo
; %bb.172:
	s_and_not1_saveexec_b32 s0, s0
	s_cbranch_execz .LBB124_178
; %bb.173:
	v_cmp_ngt_f32_e64 s1, |v134|, |v135|
	s_and_saveexec_b32 s12, s1
	s_delay_alu instid0(SALU_CYCLE_1)
	s_xor_b32 s1, exec_lo, s12
	s_cbranch_execz .LBB124_175
; %bb.174:
	v_div_scale_f32 v133, null, v135, v135, v134
	v_div_scale_f32 v143, vcc_lo, v134, v135, v134
	s_delay_alu instid0(VALU_DEP_2) | instskip(SKIP_1) | instid1(TRANS32_DEP_1)
	v_rcp_f32_e32 v141, v133
	v_nop
	v_fma_f32 v142, -v133, v141, 1.0
	s_delay_alu instid0(VALU_DEP_1) | instskip(NEXT) | instid1(VALU_DEP_1)
	v_fmac_f32_e32 v141, v142, v141
	v_mul_f32_e32 v142, v143, v141
	s_delay_alu instid0(VALU_DEP_1) | instskip(NEXT) | instid1(VALU_DEP_1)
	v_fma_f32 v144, -v133, v142, v143
	v_fmac_f32_e32 v142, v144, v141
	s_delay_alu instid0(VALU_DEP_1) | instskip(NEXT) | instid1(VALU_DEP_1)
	v_fma_f32 v133, -v133, v142, v143
	v_div_fmas_f32 v133, v133, v141, v142
	s_delay_alu instid0(VALU_DEP_1) | instskip(NEXT) | instid1(VALU_DEP_1)
	v_div_fixup_f32 v133, v133, v135, v134
	v_fmac_f32_e32 v135, v134, v133
	s_delay_alu instid0(VALU_DEP_1) | instskip(SKIP_1) | instid1(VALU_DEP_2)
	v_div_scale_f32 v134, null, v135, v135, 1.0
	v_div_scale_f32 v143, vcc_lo, 1.0, v135, 1.0
	v_rcp_f32_e32 v141, v134
	v_nop
	s_delay_alu instid0(TRANS32_DEP_1) | instskip(NEXT) | instid1(VALU_DEP_1)
	v_fma_f32 v142, -v134, v141, 1.0
	v_fmac_f32_e32 v141, v142, v141
	s_delay_alu instid0(VALU_DEP_1) | instskip(NEXT) | instid1(VALU_DEP_1)
	v_mul_f32_e32 v142, v143, v141
	v_fma_f32 v144, -v134, v142, v143
	s_delay_alu instid0(VALU_DEP_1) | instskip(NEXT) | instid1(VALU_DEP_1)
	v_fmac_f32_e32 v142, v144, v141
	v_fma_f32 v134, -v134, v142, v143
	s_delay_alu instid0(VALU_DEP_1) | instskip(NEXT) | instid1(VALU_DEP_1)
	v_div_fmas_f32 v134, v134, v141, v142
	v_div_fixup_f32 v135, v134, v135, 1.0
	s_delay_alu instid0(VALU_DEP_1)
	v_mul_f32_e32 v134, v133, v135
	v_xor_b32_e32 v135, 0x80000000, v135
.LBB124_175:
	s_and_not1_saveexec_b32 s1, s1
	s_cbranch_execz .LBB124_177
; %bb.176:
	s_delay_alu instid0(VALU_DEP_1) | instskip(SKIP_1) | instid1(VALU_DEP_2)
	v_div_scale_f32 v133, null, v134, v134, v135
	v_div_scale_f32 v143, vcc_lo, v135, v134, v135
	v_rcp_f32_e32 v141, v133
	v_nop
	s_delay_alu instid0(TRANS32_DEP_1) | instskip(NEXT) | instid1(VALU_DEP_1)
	v_fma_f32 v142, -v133, v141, 1.0
	v_fmac_f32_e32 v141, v142, v141
	s_delay_alu instid0(VALU_DEP_1) | instskip(NEXT) | instid1(VALU_DEP_1)
	v_mul_f32_e32 v142, v143, v141
	v_fma_f32 v144, -v133, v142, v143
	s_delay_alu instid0(VALU_DEP_1) | instskip(NEXT) | instid1(VALU_DEP_1)
	v_fmac_f32_e32 v142, v144, v141
	v_fma_f32 v133, -v133, v142, v143
	s_delay_alu instid0(VALU_DEP_1) | instskip(NEXT) | instid1(VALU_DEP_1)
	v_div_fmas_f32 v133, v133, v141, v142
	v_div_fixup_f32 v133, v133, v134, v135
	s_delay_alu instid0(VALU_DEP_1) | instskip(NEXT) | instid1(VALU_DEP_1)
	v_fmac_f32_e32 v134, v135, v133
	v_div_scale_f32 v135, null, v134, v134, 1.0
	s_delay_alu instid0(VALU_DEP_1) | instskip(SKIP_1) | instid1(TRANS32_DEP_1)
	v_rcp_f32_e32 v141, v135
	v_nop
	v_fma_f32 v142, -v135, v141, 1.0
	s_delay_alu instid0(VALU_DEP_1) | instskip(SKIP_1) | instid1(VALU_DEP_1)
	v_fmac_f32_e32 v141, v142, v141
	v_div_scale_f32 v142, vcc_lo, 1.0, v134, 1.0
	v_mul_f32_e32 v143, v142, v141
	s_delay_alu instid0(VALU_DEP_1) | instskip(NEXT) | instid1(VALU_DEP_1)
	v_fma_f32 v144, -v135, v143, v142
	v_fmac_f32_e32 v143, v144, v141
	s_delay_alu instid0(VALU_DEP_1) | instskip(NEXT) | instid1(VALU_DEP_1)
	v_fma_f32 v135, -v135, v143, v142
	v_div_fmas_f32 v135, v135, v141, v143
	s_delay_alu instid0(VALU_DEP_1) | instskip(NEXT) | instid1(VALU_DEP_1)
	v_div_fixup_f32 v134, v135, v134, 1.0
	v_mul_f32_e64 v135, v133, -v134
.LBB124_177:
	s_or_b32 exec_lo, exec_lo, s1
.LBB124_178:
	s_delay_alu instid0(SALU_CYCLE_1) | instskip(NEXT) | instid1(SALU_CYCLE_1)
	s_or_b32 exec_lo, exec_lo, s0
	s_mov_b32 s0, exec_lo
	v_cmpx_ne_u32_e64 v140, v132
	s_xor_b32 s0, exec_lo, s0
	s_cbranch_execz .LBB124_184
; %bb.179:
	s_mov_b32 s1, exec_lo
	v_cmpx_eq_u32_e32 8, v140
	s_cbranch_execz .LBB124_183
; %bb.180:
	v_cmp_ne_u32_e32 vcc_lo, 8, v132
	s_xor_b32 s12, s16, -1
	s_delay_alu instid0(SALU_CYCLE_1) | instskip(NEXT) | instid1(SALU_CYCLE_1)
	s_and_b32 s13, s12, vcc_lo
	s_and_saveexec_b32 s12, s13
	s_cbranch_execz .LBB124_182
; %bb.181:
	v_ashrrev_i32_e32 v133, 31, v132
	s_delay_alu instid0(VALU_DEP_1)
	v_lshl_add_u64 v[140:141], v[132:133], 2, v[4:5]
	s_clause 0x1
	global_load_b32 v133, v[140:141], off
	global_load_b32 v139, v[4:5], off offset:32
	s_wait_loadcnt 0x1
	global_store_b32 v[4:5], v133, off offset:32
	s_wait_loadcnt 0x0
	global_store_b32 v[140:141], v139, off
.LBB124_182:
	s_wait_xcnt 0x0
	s_or_b32 exec_lo, exec_lo, s12
	v_dual_mov_b32 v140, v132 :: v_dual_mov_b32 v139, v132
.LBB124_183:
	s_or_b32 exec_lo, exec_lo, s1
.LBB124_184:
	s_and_not1_saveexec_b32 s0, s0
	s_cbranch_execz .LBB124_186
; %bb.185:
	v_mov_b32_e32 v140, 8
	ds_store_2addr_b64 v136, v[114:115], v[64:65] offset0:9 offset1:10
	ds_store_2addr_b64 v136, v[62:63], v[112:113] offset0:11 offset1:12
	;; [unrolled: 1-line block ×27, first 2 shown]
.LBB124_186:
	s_or_b32 exec_lo, exec_lo, s0
	s_delay_alu instid0(SALU_CYCLE_1)
	s_mov_b32 s0, exec_lo
	s_wait_storecnt_dscnt 0x0
	s_barrier_signal -1
	s_barrier_wait -1
	v_cmpx_lt_i32_e32 8, v140
	s_cbranch_execz .LBB124_188
; %bb.187:
	v_pk_mul_f32 v[142:143], v[134:135], v[116:117] op_sel:[1,1] op_sel_hi:[0,1]
	s_delay_alu instid0(VALU_DEP_1)
	v_pk_fma_f32 v[132:133], v[134:135], v[116:117], v[142:143] op_sel_hi:[1,0,1] neg_lo:[0,0,1] neg_hi:[0,0,1]
	v_pk_fma_f32 v[134:135], v[134:135], v[116:117], v[142:143] op_sel_hi:[1,0,1]
	ds_load_2addr_b64 v[142:145], v136 offset0:9 offset1:10
	v_dual_mov_b32 v116, v132 :: v_dual_mov_b32 v117, v135
	s_wait_dscnt 0x0
	v_pk_mul_f32 v[146:147], v[142:143], v[134:135] op_sel:[0,1]
	s_delay_alu instid0(VALU_DEP_1) | instskip(SKIP_1) | instid1(VALU_DEP_1)
	v_pk_fma_f32 v[148:149], v[142:143], v[132:133], v[146:147] op_sel:[0,0,1] op_sel_hi:[1,1,0] neg_lo:[0,0,1] neg_hi:[0,0,1]
	v_pk_fma_f32 v[142:143], v[142:143], v[132:133], v[146:147] op_sel:[0,0,1] op_sel_hi:[1,0,0]
	v_mov_b32_e32 v149, v143
	v_pk_mul_f32 v[142:143], v[144:145], v[134:135] op_sel:[0,1]
	s_delay_alu instid0(VALU_DEP_1) | instskip(SKIP_1) | instid1(VALU_DEP_1)
	v_pk_fma_f32 v[146:147], v[144:145], v[132:133], v[142:143] op_sel:[0,0,1] op_sel_hi:[1,1,0] neg_lo:[0,0,1] neg_hi:[0,0,1]
	v_pk_fma_f32 v[142:143], v[144:145], v[132:133], v[142:143] op_sel:[0,0,1] op_sel_hi:[1,0,0]
	v_mov_b32_e32 v147, v143
	ds_load_2addr_b64 v[142:145], v136 offset0:11 offset1:12
	v_pk_add_f32 v[114:115], v[114:115], v[148:149] neg_lo:[0,1] neg_hi:[0,1]
	v_pk_add_f32 v[64:65], v[64:65], v[146:147] neg_lo:[0,1] neg_hi:[0,1]
	s_wait_dscnt 0x0
	v_pk_mul_f32 v[146:147], v[142:143], v[134:135] op_sel:[0,1]
	s_delay_alu instid0(VALU_DEP_1) | instskip(SKIP_2) | instid1(VALU_DEP_2)
	v_pk_fma_f32 v[148:149], v[142:143], v[132:133], v[146:147] op_sel:[0,0,1] op_sel_hi:[1,1,0] neg_lo:[0,0,1] neg_hi:[0,0,1]
	v_pk_fma_f32 v[142:143], v[142:143], v[132:133], v[146:147] op_sel:[0,0,1] op_sel_hi:[1,0,0]
	v_dual_mul_f32 v146, v145, v135 :: v_dual_mov_b32 v142, v145
	v_dual_mov_b32 v149, v143 :: v_dual_mov_b32 v143, v144
	s_delay_alu instid0(VALU_DEP_2) | instskip(SKIP_1) | instid1(VALU_DEP_3)
	v_pk_fma_f32 v[146:147], v[144:145], v[116:117], v[146:147] op_sel_hi:[1,1,0] neg_lo:[0,0,1] neg_hi:[0,0,1]
	v_mul_f32_e32 v144, v145, v132
	v_pk_add_f32 v[62:63], v[62:63], v[148:149] neg_lo:[0,1] neg_hi:[0,1]
	s_delay_alu instid0(VALU_DEP_2) | instskip(NEXT) | instid1(VALU_DEP_1)
	v_pk_fma_f32 v[142:143], v[142:143], v[116:117], v[144:145] op_sel_hi:[1,1,0]
	v_mov_b32_e32 v147, v143
	ds_load_2addr_b64 v[142:145], v136 offset0:13 offset1:14
	v_pk_add_f32 v[112:113], v[112:113], v[146:147] neg_lo:[0,1] neg_hi:[0,1]
	s_wait_dscnt 0x0
	v_pk_mul_f32 v[146:147], v[142:143], v[134:135] op_sel:[0,1]
	s_delay_alu instid0(VALU_DEP_1) | instskip(SKIP_1) | instid1(VALU_DEP_1)
	v_pk_fma_f32 v[148:149], v[142:143], v[132:133], v[146:147] op_sel:[0,0,1] op_sel_hi:[1,1,0] neg_lo:[0,0,1] neg_hi:[0,0,1]
	v_pk_fma_f32 v[142:143], v[142:143], v[132:133], v[146:147] op_sel:[0,0,1] op_sel_hi:[1,0,0]
	v_mov_b32_e32 v149, v143
	v_pk_mul_f32 v[142:143], v[144:145], v[134:135] op_sel:[0,1]
	s_delay_alu instid0(VALU_DEP_1) | instskip(SKIP_1) | instid1(VALU_DEP_1)
	v_pk_fma_f32 v[146:147], v[144:145], v[132:133], v[142:143] op_sel:[0,0,1] op_sel_hi:[1,1,0] neg_lo:[0,0,1] neg_hi:[0,0,1]
	v_pk_fma_f32 v[142:143], v[144:145], v[132:133], v[142:143] op_sel:[0,0,1] op_sel_hi:[1,0,0]
	v_mov_b32_e32 v147, v143
	ds_load_2addr_b64 v[142:145], v136 offset0:15 offset1:16
	v_pk_add_f32 v[110:111], v[110:111], v[148:149] neg_lo:[0,1] neg_hi:[0,1]
	v_pk_add_f32 v[60:61], v[60:61], v[146:147] neg_lo:[0,1] neg_hi:[0,1]
	s_wait_dscnt 0x0
	v_pk_mul_f32 v[146:147], v[142:143], v[134:135] op_sel:[0,1]
	s_delay_alu instid0(VALU_DEP_1) | instskip(SKIP_1) | instid1(VALU_DEP_1)
	v_pk_fma_f32 v[148:149], v[142:143], v[132:133], v[146:147] op_sel:[0,0,1] op_sel_hi:[1,1,0] neg_lo:[0,0,1] neg_hi:[0,0,1]
	v_pk_fma_f32 v[142:143], v[142:143], v[132:133], v[146:147] op_sel:[0,0,1] op_sel_hi:[1,0,0]
	v_mov_b32_e32 v149, v143
	v_pk_mul_f32 v[142:143], v[144:145], v[134:135] op_sel:[0,1]
	s_delay_alu instid0(VALU_DEP_1) | instskip(SKIP_1) | instid1(VALU_DEP_1)
	v_pk_fma_f32 v[146:147], v[144:145], v[132:133], v[142:143] op_sel:[0,0,1] op_sel_hi:[1,1,0] neg_lo:[0,0,1] neg_hi:[0,0,1]
	v_pk_fma_f32 v[142:143], v[144:145], v[132:133], v[142:143] op_sel:[0,0,1] op_sel_hi:[1,0,0]
	v_mov_b32_e32 v147, v143
	ds_load_2addr_b64 v[142:145], v136 offset0:17 offset1:18
	v_pk_add_f32 v[58:59], v[58:59], v[148:149] neg_lo:[0,1] neg_hi:[0,1]
	v_pk_add_f32 v[108:109], v[108:109], v[146:147] neg_lo:[0,1] neg_hi:[0,1]
	s_wait_dscnt 0x0
	v_dual_mul_f32 v146, v143, v135 :: v_dual_mul_f32 v148, v143, v132
	s_delay_alu instid0(VALU_DEP_1) | instskip(NEXT) | instid1(VALU_DEP_2)
	v_pk_fma_f32 v[146:147], v[142:143], v[116:117], v[146:147] op_sel_hi:[1,1,0] neg_lo:[0,0,1] neg_hi:[0,0,1]
	v_pk_fma_f32 v[142:143], v[142:143], v[116:117], v[148:149] op_sel:[1,0,0] op_sel_hi:[0,1,0]
	s_delay_alu instid0(VALU_DEP_1) | instskip(SKIP_1) | instid1(VALU_DEP_2)
	v_mov_b32_e32 v147, v143
	v_pk_mul_f32 v[142:143], v[144:145], v[134:135] op_sel:[0,1]
	v_pk_add_f32 v[106:107], v[106:107], v[146:147] neg_lo:[0,1] neg_hi:[0,1]
	s_delay_alu instid0(VALU_DEP_2) | instskip(SKIP_1) | instid1(VALU_DEP_1)
	v_pk_fma_f32 v[146:147], v[144:145], v[132:133], v[142:143] op_sel:[0,0,1] op_sel_hi:[1,1,0] neg_lo:[0,0,1] neg_hi:[0,0,1]
	v_pk_fma_f32 v[142:143], v[144:145], v[132:133], v[142:143] op_sel:[0,0,1] op_sel_hi:[1,0,0]
	v_mov_b32_e32 v147, v143
	ds_load_2addr_b64 v[142:145], v136 offset0:19 offset1:20
	v_pk_add_f32 v[56:57], v[56:57], v[146:147] neg_lo:[0,1] neg_hi:[0,1]
	s_wait_dscnt 0x0
	v_pk_mul_f32 v[146:147], v[142:143], v[134:135] op_sel:[0,1]
	s_delay_alu instid0(VALU_DEP_1) | instskip(SKIP_1) | instid1(VALU_DEP_1)
	v_pk_fma_f32 v[148:149], v[142:143], v[132:133], v[146:147] op_sel:[0,0,1] op_sel_hi:[1,1,0] neg_lo:[0,0,1] neg_hi:[0,0,1]
	v_pk_fma_f32 v[142:143], v[142:143], v[132:133], v[146:147] op_sel:[0,0,1] op_sel_hi:[1,0,0]
	v_mov_b32_e32 v149, v143
	v_pk_mul_f32 v[142:143], v[144:145], v[134:135] op_sel:[0,1]
	s_delay_alu instid0(VALU_DEP_2) | instskip(NEXT) | instid1(VALU_DEP_2)
	v_pk_add_f32 v[54:55], v[54:55], v[148:149] neg_lo:[0,1] neg_hi:[0,1]
	v_pk_fma_f32 v[146:147], v[144:145], v[132:133], v[142:143] op_sel:[0,0,1] op_sel_hi:[1,1,0] neg_lo:[0,0,1] neg_hi:[0,0,1]
	v_pk_fma_f32 v[142:143], v[144:145], v[132:133], v[142:143] op_sel:[0,0,1] op_sel_hi:[1,0,0]
	s_delay_alu instid0(VALU_DEP_1) | instskip(SKIP_4) | instid1(VALU_DEP_1)
	v_mov_b32_e32 v147, v143
	ds_load_2addr_b64 v[142:145], v136 offset0:21 offset1:22
	v_pk_add_f32 v[104:105], v[104:105], v[146:147] neg_lo:[0,1] neg_hi:[0,1]
	s_wait_dscnt 0x0
	v_pk_mul_f32 v[146:147], v[142:143], v[134:135] op_sel:[0,1]
	v_pk_fma_f32 v[148:149], v[142:143], v[132:133], v[146:147] op_sel:[0,0,1] op_sel_hi:[1,1,0] neg_lo:[0,0,1] neg_hi:[0,0,1]
	v_pk_fma_f32 v[142:143], v[142:143], v[132:133], v[146:147] op_sel:[0,0,1] op_sel_hi:[1,0,0]
	v_dual_mul_f32 v146, v145, v135 :: v_dual_mov_b32 v142, v145
	s_delay_alu instid0(VALU_DEP_2) | instskip(NEXT) | instid1(VALU_DEP_2)
	v_dual_mov_b32 v149, v143 :: v_dual_mov_b32 v143, v144
	v_pk_fma_f32 v[146:147], v[144:145], v[116:117], v[146:147] op_sel_hi:[1,1,0] neg_lo:[0,0,1] neg_hi:[0,0,1]
	v_mul_f32_e32 v144, v145, v132
	s_delay_alu instid0(VALU_DEP_3) | instskip(NEXT) | instid1(VALU_DEP_2)
	v_pk_add_f32 v[102:103], v[102:103], v[148:149] neg_lo:[0,1] neg_hi:[0,1]
	v_pk_fma_f32 v[142:143], v[142:143], v[116:117], v[144:145] op_sel_hi:[1,1,0]
	s_delay_alu instid0(VALU_DEP_1) | instskip(SKIP_4) | instid1(VALU_DEP_1)
	v_mov_b32_e32 v147, v143
	ds_load_2addr_b64 v[142:145], v136 offset0:23 offset1:24
	v_pk_add_f32 v[52:53], v[52:53], v[146:147] neg_lo:[0,1] neg_hi:[0,1]
	s_wait_dscnt 0x0
	v_pk_mul_f32 v[146:147], v[142:143], v[134:135] op_sel:[0,1]
	v_pk_fma_f32 v[148:149], v[142:143], v[132:133], v[146:147] op_sel:[0,0,1] op_sel_hi:[1,1,0] neg_lo:[0,0,1] neg_hi:[0,0,1]
	v_pk_fma_f32 v[142:143], v[142:143], v[132:133], v[146:147] op_sel:[0,0,1] op_sel_hi:[1,0,0]
	s_delay_alu instid0(VALU_DEP_1) | instskip(SKIP_1) | instid1(VALU_DEP_1)
	v_mov_b32_e32 v149, v143
	v_pk_mul_f32 v[142:143], v[144:145], v[134:135] op_sel:[0,1]
	v_pk_fma_f32 v[146:147], v[144:145], v[132:133], v[142:143] op_sel:[0,0,1] op_sel_hi:[1,1,0] neg_lo:[0,0,1] neg_hi:[0,0,1]
	v_pk_fma_f32 v[142:143], v[144:145], v[132:133], v[142:143] op_sel:[0,0,1] op_sel_hi:[1,0,0]
	s_delay_alu instid0(VALU_DEP_1)
	v_mov_b32_e32 v147, v143
	ds_load_2addr_b64 v[142:145], v136 offset0:25 offset1:26
	v_pk_add_f32 v[50:51], v[50:51], v[148:149] neg_lo:[0,1] neg_hi:[0,1]
	v_pk_add_f32 v[100:101], v[100:101], v[146:147] neg_lo:[0,1] neg_hi:[0,1]
	s_wait_dscnt 0x0
	v_pk_mul_f32 v[146:147], v[142:143], v[134:135] op_sel:[0,1]
	s_delay_alu instid0(VALU_DEP_1) | instskip(SKIP_1) | instid1(VALU_DEP_1)
	v_pk_fma_f32 v[148:149], v[142:143], v[132:133], v[146:147] op_sel:[0,0,1] op_sel_hi:[1,1,0] neg_lo:[0,0,1] neg_hi:[0,0,1]
	v_pk_fma_f32 v[142:143], v[142:143], v[132:133], v[146:147] op_sel:[0,0,1] op_sel_hi:[1,0,0]
	v_mov_b32_e32 v149, v143
	v_pk_mul_f32 v[142:143], v[144:145], v[134:135] op_sel:[0,1]
	s_delay_alu instid0(VALU_DEP_1) | instskip(SKIP_1) | instid1(VALU_DEP_1)
	v_pk_fma_f32 v[146:147], v[144:145], v[132:133], v[142:143] op_sel:[0,0,1] op_sel_hi:[1,1,0] neg_lo:[0,0,1] neg_hi:[0,0,1]
	v_pk_fma_f32 v[142:143], v[144:145], v[132:133], v[142:143] op_sel:[0,0,1] op_sel_hi:[1,0,0]
	v_mov_b32_e32 v147, v143
	ds_load_2addr_b64 v[142:145], v136 offset0:27 offset1:28
	v_pk_add_f32 v[98:99], v[98:99], v[148:149] neg_lo:[0,1] neg_hi:[0,1]
	v_pk_add_f32 v[48:49], v[48:49], v[146:147] neg_lo:[0,1] neg_hi:[0,1]
	s_wait_dscnt 0x0
	v_dual_mul_f32 v146, v143, v135 :: v_dual_mul_f32 v148, v143, v132
	s_delay_alu instid0(VALU_DEP_1) | instskip(NEXT) | instid1(VALU_DEP_2)
	v_pk_fma_f32 v[146:147], v[142:143], v[116:117], v[146:147] op_sel_hi:[1,1,0] neg_lo:[0,0,1] neg_hi:[0,0,1]
	v_pk_fma_f32 v[142:143], v[142:143], v[116:117], v[148:149] op_sel:[1,0,0] op_sel_hi:[0,1,0]
	s_delay_alu instid0(VALU_DEP_1) | instskip(SKIP_1) | instid1(VALU_DEP_2)
	v_mov_b32_e32 v147, v143
	v_pk_mul_f32 v[142:143], v[144:145], v[134:135] op_sel:[0,1]
	v_pk_add_f32 v[46:47], v[46:47], v[146:147] neg_lo:[0,1] neg_hi:[0,1]
	s_delay_alu instid0(VALU_DEP_2) | instskip(SKIP_1) | instid1(VALU_DEP_1)
	v_pk_fma_f32 v[146:147], v[144:145], v[132:133], v[142:143] op_sel:[0,0,1] op_sel_hi:[1,1,0] neg_lo:[0,0,1] neg_hi:[0,0,1]
	v_pk_fma_f32 v[142:143], v[144:145], v[132:133], v[142:143] op_sel:[0,0,1] op_sel_hi:[1,0,0]
	v_mov_b32_e32 v147, v143
	ds_load_2addr_b64 v[142:145], v136 offset0:29 offset1:30
	v_pk_add_f32 v[96:97], v[96:97], v[146:147] neg_lo:[0,1] neg_hi:[0,1]
	s_wait_dscnt 0x0
	v_pk_mul_f32 v[146:147], v[142:143], v[134:135] op_sel:[0,1]
	s_delay_alu instid0(VALU_DEP_1) | instskip(SKIP_1) | instid1(VALU_DEP_1)
	v_pk_fma_f32 v[148:149], v[142:143], v[132:133], v[146:147] op_sel:[0,0,1] op_sel_hi:[1,1,0] neg_lo:[0,0,1] neg_hi:[0,0,1]
	v_pk_fma_f32 v[142:143], v[142:143], v[132:133], v[146:147] op_sel:[0,0,1] op_sel_hi:[1,0,0]
	v_mov_b32_e32 v149, v143
	v_pk_mul_f32 v[142:143], v[144:145], v[134:135] op_sel:[0,1]
	s_delay_alu instid0(VALU_DEP_2) | instskip(NEXT) | instid1(VALU_DEP_2)
	v_pk_add_f32 v[94:95], v[94:95], v[148:149] neg_lo:[0,1] neg_hi:[0,1]
	v_pk_fma_f32 v[146:147], v[144:145], v[132:133], v[142:143] op_sel:[0,0,1] op_sel_hi:[1,1,0] neg_lo:[0,0,1] neg_hi:[0,0,1]
	v_pk_fma_f32 v[142:143], v[144:145], v[132:133], v[142:143] op_sel:[0,0,1] op_sel_hi:[1,0,0]
	s_delay_alu instid0(VALU_DEP_1) | instskip(SKIP_4) | instid1(VALU_DEP_1)
	v_mov_b32_e32 v147, v143
	ds_load_2addr_b64 v[142:145], v136 offset0:31 offset1:32
	v_pk_add_f32 v[44:45], v[44:45], v[146:147] neg_lo:[0,1] neg_hi:[0,1]
	s_wait_dscnt 0x0
	v_pk_mul_f32 v[146:147], v[142:143], v[134:135] op_sel:[0,1]
	v_pk_fma_f32 v[148:149], v[142:143], v[132:133], v[146:147] op_sel:[0,0,1] op_sel_hi:[1,1,0] neg_lo:[0,0,1] neg_hi:[0,0,1]
	v_pk_fma_f32 v[142:143], v[142:143], v[132:133], v[146:147] op_sel:[0,0,1] op_sel_hi:[1,0,0]
	v_dual_mul_f32 v146, v145, v135 :: v_dual_mov_b32 v142, v145
	s_delay_alu instid0(VALU_DEP_2) | instskip(NEXT) | instid1(VALU_DEP_2)
	v_dual_mov_b32 v149, v143 :: v_dual_mov_b32 v143, v144
	v_pk_fma_f32 v[146:147], v[144:145], v[116:117], v[146:147] op_sel_hi:[1,1,0] neg_lo:[0,0,1] neg_hi:[0,0,1]
	v_mul_f32_e32 v144, v145, v132
	s_delay_alu instid0(VALU_DEP_3) | instskip(NEXT) | instid1(VALU_DEP_2)
	v_pk_add_f32 v[42:43], v[42:43], v[148:149] neg_lo:[0,1] neg_hi:[0,1]
	v_pk_fma_f32 v[142:143], v[142:143], v[116:117], v[144:145] op_sel_hi:[1,1,0]
	s_delay_alu instid0(VALU_DEP_1) | instskip(SKIP_4) | instid1(VALU_DEP_1)
	v_mov_b32_e32 v147, v143
	ds_load_2addr_b64 v[142:145], v136 offset0:33 offset1:34
	v_pk_add_f32 v[92:93], v[92:93], v[146:147] neg_lo:[0,1] neg_hi:[0,1]
	s_wait_dscnt 0x0
	v_pk_mul_f32 v[146:147], v[142:143], v[134:135] op_sel:[0,1]
	v_pk_fma_f32 v[148:149], v[142:143], v[132:133], v[146:147] op_sel:[0,0,1] op_sel_hi:[1,1,0] neg_lo:[0,0,1] neg_hi:[0,0,1]
	v_pk_fma_f32 v[142:143], v[142:143], v[132:133], v[146:147] op_sel:[0,0,1] op_sel_hi:[1,0,0]
	s_delay_alu instid0(VALU_DEP_1) | instskip(SKIP_1) | instid1(VALU_DEP_1)
	v_mov_b32_e32 v149, v143
	v_pk_mul_f32 v[142:143], v[144:145], v[134:135] op_sel:[0,1]
	v_pk_fma_f32 v[146:147], v[144:145], v[132:133], v[142:143] op_sel:[0,0,1] op_sel_hi:[1,1,0] neg_lo:[0,0,1] neg_hi:[0,0,1]
	v_pk_fma_f32 v[142:143], v[144:145], v[132:133], v[142:143] op_sel:[0,0,1] op_sel_hi:[1,0,0]
	s_delay_alu instid0(VALU_DEP_1)
	v_mov_b32_e32 v147, v143
	ds_load_2addr_b64 v[142:145], v136 offset0:35 offset1:36
	v_pk_add_f32 v[90:91], v[90:91], v[148:149] neg_lo:[0,1] neg_hi:[0,1]
	v_pk_add_f32 v[40:41], v[40:41], v[146:147] neg_lo:[0,1] neg_hi:[0,1]
	s_wait_dscnt 0x0
	v_pk_mul_f32 v[146:147], v[142:143], v[134:135] op_sel:[0,1]
	s_delay_alu instid0(VALU_DEP_1) | instskip(SKIP_1) | instid1(VALU_DEP_1)
	v_pk_fma_f32 v[148:149], v[142:143], v[132:133], v[146:147] op_sel:[0,0,1] op_sel_hi:[1,1,0] neg_lo:[0,0,1] neg_hi:[0,0,1]
	v_pk_fma_f32 v[142:143], v[142:143], v[132:133], v[146:147] op_sel:[0,0,1] op_sel_hi:[1,0,0]
	v_mov_b32_e32 v149, v143
	v_pk_mul_f32 v[142:143], v[144:145], v[134:135] op_sel:[0,1]
	s_delay_alu instid0(VALU_DEP_1) | instskip(SKIP_1) | instid1(VALU_DEP_1)
	v_pk_fma_f32 v[146:147], v[144:145], v[132:133], v[142:143] op_sel:[0,0,1] op_sel_hi:[1,1,0] neg_lo:[0,0,1] neg_hi:[0,0,1]
	v_pk_fma_f32 v[142:143], v[144:145], v[132:133], v[142:143] op_sel:[0,0,1] op_sel_hi:[1,0,0]
	v_mov_b32_e32 v147, v143
	ds_load_2addr_b64 v[142:145], v136 offset0:37 offset1:38
	v_pk_add_f32 v[38:39], v[38:39], v[148:149] neg_lo:[0,1] neg_hi:[0,1]
	v_pk_add_f32 v[88:89], v[88:89], v[146:147] neg_lo:[0,1] neg_hi:[0,1]
	s_wait_dscnt 0x0
	v_dual_mul_f32 v146, v143, v135 :: v_dual_mul_f32 v148, v143, v132
	s_delay_alu instid0(VALU_DEP_1) | instskip(NEXT) | instid1(VALU_DEP_2)
	v_pk_fma_f32 v[146:147], v[142:143], v[116:117], v[146:147] op_sel_hi:[1,1,0] neg_lo:[0,0,1] neg_hi:[0,0,1]
	v_pk_fma_f32 v[142:143], v[142:143], v[116:117], v[148:149] op_sel:[1,0,0] op_sel_hi:[0,1,0]
	s_delay_alu instid0(VALU_DEP_1) | instskip(SKIP_1) | instid1(VALU_DEP_2)
	v_mov_b32_e32 v147, v143
	v_pk_mul_f32 v[142:143], v[144:145], v[134:135] op_sel:[0,1]
	v_pk_add_f32 v[86:87], v[86:87], v[146:147] neg_lo:[0,1] neg_hi:[0,1]
	s_delay_alu instid0(VALU_DEP_2) | instskip(SKIP_1) | instid1(VALU_DEP_1)
	v_pk_fma_f32 v[146:147], v[144:145], v[132:133], v[142:143] op_sel:[0,0,1] op_sel_hi:[1,1,0] neg_lo:[0,0,1] neg_hi:[0,0,1]
	v_pk_fma_f32 v[142:143], v[144:145], v[132:133], v[142:143] op_sel:[0,0,1] op_sel_hi:[1,0,0]
	v_mov_b32_e32 v147, v143
	ds_load_2addr_b64 v[142:145], v136 offset0:39 offset1:40
	v_pk_add_f32 v[36:37], v[36:37], v[146:147] neg_lo:[0,1] neg_hi:[0,1]
	s_wait_dscnt 0x0
	v_pk_mul_f32 v[146:147], v[142:143], v[134:135] op_sel:[0,1]
	s_delay_alu instid0(VALU_DEP_1) | instskip(SKIP_1) | instid1(VALU_DEP_1)
	v_pk_fma_f32 v[148:149], v[142:143], v[132:133], v[146:147] op_sel:[0,0,1] op_sel_hi:[1,1,0] neg_lo:[0,0,1] neg_hi:[0,0,1]
	v_pk_fma_f32 v[142:143], v[142:143], v[132:133], v[146:147] op_sel:[0,0,1] op_sel_hi:[1,0,0]
	v_mov_b32_e32 v149, v143
	v_pk_mul_f32 v[142:143], v[144:145], v[134:135] op_sel:[0,1]
	s_delay_alu instid0(VALU_DEP_2) | instskip(NEXT) | instid1(VALU_DEP_2)
	v_pk_add_f32 v[32:33], v[32:33], v[148:149] neg_lo:[0,1] neg_hi:[0,1]
	v_pk_fma_f32 v[146:147], v[144:145], v[132:133], v[142:143] op_sel:[0,0,1] op_sel_hi:[1,1,0] neg_lo:[0,0,1] neg_hi:[0,0,1]
	v_pk_fma_f32 v[142:143], v[144:145], v[132:133], v[142:143] op_sel:[0,0,1] op_sel_hi:[1,0,0]
	s_delay_alu instid0(VALU_DEP_1) | instskip(SKIP_4) | instid1(VALU_DEP_1)
	v_mov_b32_e32 v147, v143
	ds_load_2addr_b64 v[142:145], v136 offset0:41 offset1:42
	v_pk_add_f32 v[84:85], v[84:85], v[146:147] neg_lo:[0,1] neg_hi:[0,1]
	s_wait_dscnt 0x0
	v_pk_mul_f32 v[146:147], v[142:143], v[134:135] op_sel:[0,1]
	v_pk_fma_f32 v[148:149], v[142:143], v[132:133], v[146:147] op_sel:[0,0,1] op_sel_hi:[1,1,0] neg_lo:[0,0,1] neg_hi:[0,0,1]
	v_pk_fma_f32 v[142:143], v[142:143], v[132:133], v[146:147] op_sel:[0,0,1] op_sel_hi:[1,0,0]
	v_dual_mul_f32 v146, v145, v135 :: v_dual_mov_b32 v142, v145
	s_delay_alu instid0(VALU_DEP_2) | instskip(NEXT) | instid1(VALU_DEP_2)
	v_dual_mov_b32 v149, v143 :: v_dual_mov_b32 v143, v144
	v_pk_fma_f32 v[146:147], v[144:145], v[116:117], v[146:147] op_sel_hi:[1,1,0] neg_lo:[0,0,1] neg_hi:[0,0,1]
	v_mul_f32_e32 v144, v145, v132
	s_delay_alu instid0(VALU_DEP_3) | instskip(NEXT) | instid1(VALU_DEP_2)
	v_pk_add_f32 v[82:83], v[82:83], v[148:149] neg_lo:[0,1] neg_hi:[0,1]
	v_pk_fma_f32 v[142:143], v[142:143], v[116:117], v[144:145] op_sel_hi:[1,1,0]
	s_delay_alu instid0(VALU_DEP_1) | instskip(SKIP_4) | instid1(VALU_DEP_1)
	v_mov_b32_e32 v147, v143
	ds_load_2addr_b64 v[142:145], v136 offset0:43 offset1:44
	v_pk_add_f32 v[24:25], v[24:25], v[146:147] neg_lo:[0,1] neg_hi:[0,1]
	s_wait_dscnt 0x0
	v_pk_mul_f32 v[146:147], v[142:143], v[134:135] op_sel:[0,1]
	v_pk_fma_f32 v[148:149], v[142:143], v[132:133], v[146:147] op_sel:[0,0,1] op_sel_hi:[1,1,0] neg_lo:[0,0,1] neg_hi:[0,0,1]
	v_pk_fma_f32 v[142:143], v[142:143], v[132:133], v[146:147] op_sel:[0,0,1] op_sel_hi:[1,0,0]
	s_delay_alu instid0(VALU_DEP_1) | instskip(SKIP_1) | instid1(VALU_DEP_1)
	v_mov_b32_e32 v149, v143
	v_pk_mul_f32 v[142:143], v[144:145], v[134:135] op_sel:[0,1]
	v_pk_fma_f32 v[146:147], v[144:145], v[132:133], v[142:143] op_sel:[0,0,1] op_sel_hi:[1,1,0] neg_lo:[0,0,1] neg_hi:[0,0,1]
	v_pk_fma_f32 v[142:143], v[144:145], v[132:133], v[142:143] op_sel:[0,0,1] op_sel_hi:[1,0,0]
	s_delay_alu instid0(VALU_DEP_1)
	v_mov_b32_e32 v147, v143
	ds_load_2addr_b64 v[142:145], v136 offset0:45 offset1:46
	v_pk_add_f32 v[22:23], v[22:23], v[148:149] neg_lo:[0,1] neg_hi:[0,1]
	v_pk_add_f32 v[80:81], v[80:81], v[146:147] neg_lo:[0,1] neg_hi:[0,1]
	s_wait_dscnt 0x0
	v_pk_mul_f32 v[146:147], v[142:143], v[134:135] op_sel:[0,1]
	s_delay_alu instid0(VALU_DEP_1) | instskip(SKIP_1) | instid1(VALU_DEP_1)
	v_pk_fma_f32 v[148:149], v[142:143], v[132:133], v[146:147] op_sel:[0,0,1] op_sel_hi:[1,1,0] neg_lo:[0,0,1] neg_hi:[0,0,1]
	v_pk_fma_f32 v[142:143], v[142:143], v[132:133], v[146:147] op_sel:[0,0,1] op_sel_hi:[1,0,0]
	v_mov_b32_e32 v149, v143
	v_pk_mul_f32 v[142:143], v[144:145], v[134:135] op_sel:[0,1]
	s_delay_alu instid0(VALU_DEP_1) | instskip(SKIP_1) | instid1(VALU_DEP_1)
	v_pk_fma_f32 v[146:147], v[144:145], v[132:133], v[142:143] op_sel:[0,0,1] op_sel_hi:[1,1,0] neg_lo:[0,0,1] neg_hi:[0,0,1]
	v_pk_fma_f32 v[142:143], v[144:145], v[132:133], v[142:143] op_sel:[0,0,1] op_sel_hi:[1,0,0]
	v_mov_b32_e32 v147, v143
	ds_load_2addr_b64 v[142:145], v136 offset0:47 offset1:48
	v_pk_add_f32 v[78:79], v[78:79], v[148:149] neg_lo:[0,1] neg_hi:[0,1]
	v_pk_add_f32 v[20:21], v[20:21], v[146:147] neg_lo:[0,1] neg_hi:[0,1]
	s_wait_dscnt 0x0
	v_dual_mul_f32 v146, v143, v135 :: v_dual_mul_f32 v148, v143, v132
	s_delay_alu instid0(VALU_DEP_1) | instskip(NEXT) | instid1(VALU_DEP_2)
	v_pk_fma_f32 v[146:147], v[142:143], v[116:117], v[146:147] op_sel_hi:[1,1,0] neg_lo:[0,0,1] neg_hi:[0,0,1]
	v_pk_fma_f32 v[142:143], v[142:143], v[116:117], v[148:149] op_sel:[1,0,0] op_sel_hi:[0,1,0]
	s_delay_alu instid0(VALU_DEP_1) | instskip(SKIP_1) | instid1(VALU_DEP_2)
	v_mov_b32_e32 v147, v143
	v_pk_mul_f32 v[142:143], v[144:145], v[134:135] op_sel:[0,1]
	v_pk_add_f32 v[18:19], v[18:19], v[146:147] neg_lo:[0,1] neg_hi:[0,1]
	s_delay_alu instid0(VALU_DEP_2) | instskip(SKIP_1) | instid1(VALU_DEP_1)
	v_pk_fma_f32 v[146:147], v[144:145], v[132:133], v[142:143] op_sel:[0,0,1] op_sel_hi:[1,1,0] neg_lo:[0,0,1] neg_hi:[0,0,1]
	v_pk_fma_f32 v[142:143], v[144:145], v[132:133], v[142:143] op_sel:[0,0,1] op_sel_hi:[1,0,0]
	v_mov_b32_e32 v147, v143
	ds_load_2addr_b64 v[142:145], v136 offset0:49 offset1:50
	v_pk_add_f32 v[76:77], v[76:77], v[146:147] neg_lo:[0,1] neg_hi:[0,1]
	s_wait_dscnt 0x0
	v_pk_mul_f32 v[146:147], v[142:143], v[134:135] op_sel:[0,1]
	s_delay_alu instid0(VALU_DEP_1) | instskip(SKIP_1) | instid1(VALU_DEP_1)
	v_pk_fma_f32 v[148:149], v[142:143], v[132:133], v[146:147] op_sel:[0,0,1] op_sel_hi:[1,1,0] neg_lo:[0,0,1] neg_hi:[0,0,1]
	v_pk_fma_f32 v[142:143], v[142:143], v[132:133], v[146:147] op_sel:[0,0,1] op_sel_hi:[1,0,0]
	v_mov_b32_e32 v149, v143
	v_pk_mul_f32 v[142:143], v[144:145], v[134:135] op_sel:[0,1]
	s_delay_alu instid0(VALU_DEP_2) | instskip(NEXT) | instid1(VALU_DEP_2)
	v_pk_add_f32 v[74:75], v[74:75], v[148:149] neg_lo:[0,1] neg_hi:[0,1]
	v_pk_fma_f32 v[146:147], v[144:145], v[132:133], v[142:143] op_sel:[0,0,1] op_sel_hi:[1,1,0] neg_lo:[0,0,1] neg_hi:[0,0,1]
	v_pk_fma_f32 v[142:143], v[144:145], v[132:133], v[142:143] op_sel:[0,0,1] op_sel_hi:[1,0,0]
	s_delay_alu instid0(VALU_DEP_1) | instskip(SKIP_4) | instid1(VALU_DEP_1)
	v_mov_b32_e32 v147, v143
	ds_load_2addr_b64 v[142:145], v136 offset0:51 offset1:52
	v_pk_add_f32 v[16:17], v[16:17], v[146:147] neg_lo:[0,1] neg_hi:[0,1]
	s_wait_dscnt 0x0
	v_pk_mul_f32 v[146:147], v[142:143], v[134:135] op_sel:[0,1]
	v_pk_fma_f32 v[148:149], v[142:143], v[132:133], v[146:147] op_sel:[0,0,1] op_sel_hi:[1,1,0] neg_lo:[0,0,1] neg_hi:[0,0,1]
	v_pk_fma_f32 v[142:143], v[142:143], v[132:133], v[146:147] op_sel:[0,0,1] op_sel_hi:[1,0,0]
	v_dual_mul_f32 v146, v145, v135 :: v_dual_mov_b32 v142, v145
	s_delay_alu instid0(VALU_DEP_2) | instskip(NEXT) | instid1(VALU_DEP_2)
	v_dual_mov_b32 v149, v143 :: v_dual_mov_b32 v143, v144
	v_pk_fma_f32 v[146:147], v[144:145], v[116:117], v[146:147] op_sel_hi:[1,1,0] neg_lo:[0,0,1] neg_hi:[0,0,1]
	v_mul_f32_e32 v144, v145, v132
	s_delay_alu instid0(VALU_DEP_3) | instskip(NEXT) | instid1(VALU_DEP_2)
	v_pk_add_f32 v[28:29], v[28:29], v[148:149] neg_lo:[0,1] neg_hi:[0,1]
	v_pk_fma_f32 v[142:143], v[142:143], v[116:117], v[144:145] op_sel_hi:[1,1,0]
	s_delay_alu instid0(VALU_DEP_1) | instskip(SKIP_4) | instid1(VALU_DEP_1)
	v_mov_b32_e32 v147, v143
	ds_load_2addr_b64 v[142:145], v136 offset0:53 offset1:54
	v_pk_add_f32 v[68:69], v[68:69], v[146:147] neg_lo:[0,1] neg_hi:[0,1]
	s_wait_dscnt 0x0
	v_pk_mul_f32 v[146:147], v[142:143], v[134:135] op_sel:[0,1]
	v_pk_fma_f32 v[148:149], v[142:143], v[132:133], v[146:147] op_sel:[0,0,1] op_sel_hi:[1,1,0] neg_lo:[0,0,1] neg_hi:[0,0,1]
	v_pk_fma_f32 v[142:143], v[142:143], v[132:133], v[146:147] op_sel:[0,0,1] op_sel_hi:[1,0,0]
	s_delay_alu instid0(VALU_DEP_1) | instskip(SKIP_1) | instid1(VALU_DEP_1)
	v_mov_b32_e32 v149, v143
	v_pk_mul_f32 v[142:143], v[144:145], v[134:135] op_sel:[0,1]
	v_pk_fma_f32 v[146:147], v[144:145], v[132:133], v[142:143] op_sel:[0,0,1] op_sel_hi:[1,1,0] neg_lo:[0,0,1] neg_hi:[0,0,1]
	v_pk_fma_f32 v[142:143], v[144:145], v[132:133], v[142:143] op_sel:[0,0,1] op_sel_hi:[1,0,0]
	s_delay_alu instid0(VALU_DEP_1)
	v_mov_b32_e32 v147, v143
	ds_load_2addr_b64 v[142:145], v136 offset0:55 offset1:56
	v_pk_add_f32 v[66:67], v[66:67], v[148:149] neg_lo:[0,1] neg_hi:[0,1]
	v_pk_add_f32 v[10:11], v[10:11], v[146:147] neg_lo:[0,1] neg_hi:[0,1]
	s_wait_dscnt 0x0
	v_pk_mul_f32 v[146:147], v[142:143], v[134:135] op_sel:[0,1]
	s_delay_alu instid0(VALU_DEP_1) | instskip(SKIP_1) | instid1(VALU_DEP_1)
	v_pk_fma_f32 v[148:149], v[142:143], v[132:133], v[146:147] op_sel:[0,0,1] op_sel_hi:[1,1,0] neg_lo:[0,0,1] neg_hi:[0,0,1]
	v_pk_fma_f32 v[142:143], v[142:143], v[132:133], v[146:147] op_sel:[0,0,1] op_sel_hi:[1,0,0]
	v_mov_b32_e32 v149, v143
	v_pk_mul_f32 v[142:143], v[144:145], v[134:135] op_sel:[0,1]
	s_delay_alu instid0(VALU_DEP_1) | instskip(SKIP_1) | instid1(VALU_DEP_1)
	v_pk_fma_f32 v[146:147], v[144:145], v[132:133], v[142:143] op_sel:[0,0,1] op_sel_hi:[1,1,0] neg_lo:[0,0,1] neg_hi:[0,0,1]
	v_pk_fma_f32 v[142:143], v[144:145], v[132:133], v[142:143] op_sel:[0,0,1] op_sel_hi:[1,0,0]
	v_mov_b32_e32 v147, v143
	ds_load_2addr_b64 v[142:145], v136 offset0:57 offset1:58
	v_pk_add_f32 v[8:9], v[8:9], v[148:149] neg_lo:[0,1] neg_hi:[0,1]
	v_pk_add_f32 v[34:35], v[34:35], v[146:147] neg_lo:[0,1] neg_hi:[0,1]
	s_wait_dscnt 0x0
	v_dual_mul_f32 v146, v143, v135 :: v_dual_mul_f32 v148, v143, v132
	s_delay_alu instid0(VALU_DEP_1) | instskip(NEXT) | instid1(VALU_DEP_2)
	v_pk_fma_f32 v[146:147], v[142:143], v[116:117], v[146:147] op_sel_hi:[1,1,0] neg_lo:[0,0,1] neg_hi:[0,0,1]
	v_pk_fma_f32 v[142:143], v[142:143], v[116:117], v[148:149] op_sel:[1,0,0] op_sel_hi:[0,1,0]
	s_delay_alu instid0(VALU_DEP_1) | instskip(SKIP_1) | instid1(VALU_DEP_2)
	v_mov_b32_e32 v147, v143
	v_pk_mul_f32 v[142:143], v[144:145], v[134:135] op_sel:[0,1]
	v_pk_add_f32 v[30:31], v[30:31], v[146:147] neg_lo:[0,1] neg_hi:[0,1]
	s_delay_alu instid0(VALU_DEP_2) | instskip(SKIP_1) | instid1(VALU_DEP_1)
	v_pk_fma_f32 v[146:147], v[144:145], v[132:133], v[142:143] op_sel:[0,0,1] op_sel_hi:[1,1,0] neg_lo:[0,0,1] neg_hi:[0,0,1]
	v_pk_fma_f32 v[142:143], v[144:145], v[132:133], v[142:143] op_sel:[0,0,1] op_sel_hi:[1,0,0]
	v_mov_b32_e32 v147, v143
	ds_load_2addr_b64 v[142:145], v136 offset0:59 offset1:60
	v_pk_add_f32 v[6:7], v[6:7], v[146:147] neg_lo:[0,1] neg_hi:[0,1]
	s_wait_dscnt 0x0
	v_pk_mul_f32 v[146:147], v[142:143], v[134:135] op_sel:[0,1]
	s_delay_alu instid0(VALU_DEP_1) | instskip(SKIP_1) | instid1(VALU_DEP_1)
	v_pk_fma_f32 v[148:149], v[142:143], v[132:133], v[146:147] op_sel:[0,0,1] op_sel_hi:[1,1,0] neg_lo:[0,0,1] neg_hi:[0,0,1]
	v_pk_fma_f32 v[142:143], v[142:143], v[132:133], v[146:147] op_sel:[0,0,1] op_sel_hi:[1,0,0]
	v_mov_b32_e32 v149, v143
	v_pk_mul_f32 v[142:143], v[144:145], v[134:135] op_sel:[0,1]
	s_delay_alu instid0(VALU_DEP_2) | instskip(NEXT) | instid1(VALU_DEP_2)
	v_pk_add_f32 v[26:27], v[26:27], v[148:149] neg_lo:[0,1] neg_hi:[0,1]
	v_pk_fma_f32 v[146:147], v[144:145], v[132:133], v[142:143] op_sel:[0,0,1] op_sel_hi:[1,1,0] neg_lo:[0,0,1] neg_hi:[0,0,1]
	v_pk_fma_f32 v[142:143], v[144:145], v[132:133], v[142:143] op_sel:[0,0,1] op_sel_hi:[1,0,0]
	s_delay_alu instid0(VALU_DEP_1)
	v_mov_b32_e32 v147, v143
	ds_load_2addr_b64 v[142:145], v136 offset0:61 offset1:62
	v_pk_add_f32 v[14:15], v[14:15], v[146:147] neg_lo:[0,1] neg_hi:[0,1]
	s_wait_dscnt 0x0
	v_pk_mul_f32 v[146:147], v[142:143], v[134:135] op_sel:[0,1]
	v_mul_f32_e32 v134, v145, v135
	s_delay_alu instid0(VALU_DEP_2) | instskip(SKIP_2) | instid1(VALU_DEP_4)
	v_pk_fma_f32 v[148:149], v[142:143], v[132:133], v[146:147] op_sel:[0,0,1] op_sel_hi:[1,1,0] neg_lo:[0,0,1] neg_hi:[0,0,1]
	v_pk_fma_f32 v[142:143], v[142:143], v[132:133], v[146:147] op_sel:[0,0,1] op_sel_hi:[1,0,0]
	v_dual_mov_b32 v142, v145 :: v_dual_mul_f32 v132, v145, v132
	v_pk_fma_f32 v[134:135], v[144:145], v[116:117], v[134:135] op_sel_hi:[1,1,0] neg_lo:[0,0,1] neg_hi:[0,0,1]
	s_delay_alu instid0(VALU_DEP_3) | instskip(NEXT) | instid1(VALU_DEP_1)
	v_dual_mov_b32 v149, v143 :: v_dual_mov_b32 v143, v144
	v_pk_add_f32 v[12:13], v[12:13], v[148:149] neg_lo:[0,1] neg_hi:[0,1]
	s_delay_alu instid0(VALU_DEP_2) | instskip(NEXT) | instid1(VALU_DEP_1)
	v_pk_fma_f32 v[132:133], v[142:143], v[116:117], v[132:133] op_sel_hi:[1,1,0]
	v_mov_b32_e32 v135, v133
	s_delay_alu instid0(VALU_DEP_1)
	v_pk_add_f32 v[130:131], v[130:131], v[134:135] neg_lo:[0,1] neg_hi:[0,1]
.LBB124_188:
	s_or_b32 exec_lo, exec_lo, s0
	v_lshl_add_u32 v132, v140, 3, v136
	s_barrier_signal -1
	s_barrier_wait -1
	ds_store_b64 v132, v[114:115]
	s_wait_dscnt 0x0
	s_barrier_signal -1
	s_barrier_wait -1
	ds_load_b64 v[134:135], v136 offset:72
	v_mov_b32_e32 v132, 9
	s_cmp_lt_i32 s18, 11
	s_cbranch_scc1 .LBB124_191
; %bb.189:
	v_add3_u32 v133, v137, 0, 0x50
	v_mov_b32_e32 v132, 9
	s_mov_b32 s0, 10
.LBB124_190:                            ; =>This Inner Loop Header: Depth=1
	ds_load_b64 v[142:143], v133
	s_wait_dscnt 0x1
	v_cmp_gt_f32_e32 vcc_lo, 0, v134
	v_cndmask_b32_e64 v144, v134, -v134, vcc_lo
	v_cmp_gt_f32_e32 vcc_lo, 0, v135
	v_cndmask_b32_e64 v146, v135, -v135, vcc_lo
	s_wait_dscnt 0x0
	v_cmp_gt_f32_e32 vcc_lo, 0, v142
	v_cndmask_b32_e64 v145, v142, -v142, vcc_lo
	v_cmp_gt_f32_e32 vcc_lo, 0, v143
	v_cndmask_b32_e64 v147, v143, -v143, vcc_lo
	s_delay_alu instid0(VALU_DEP_1) | instskip(NEXT) | instid1(VALU_DEP_1)
	v_pk_add_f32 v[144:145], v[144:145], v[146:147]
	v_cmp_lt_f32_e32 vcc_lo, v144, v145
	v_dual_add_nc_u32 v133, 8, v133 :: v_dual_cndmask_b32 v135, v135, v143, vcc_lo
	v_cndmask_b32_e32 v134, v134, v142, vcc_lo
	v_cndmask_b32_e64 v132, v132, s0, vcc_lo
	s_add_co_i32 s0, s0, 1
	s_delay_alu instid0(SALU_CYCLE_1)
	s_cmp_lg_u32 s18, s0
	s_cbranch_scc1 .LBB124_190
.LBB124_191:
	s_wait_dscnt 0x0
	v_cmp_eq_f32_e32 vcc_lo, 0, v134
	v_cmp_eq_f32_e64 s0, 0, v135
	s_and_b32 s0, vcc_lo, s0
	s_delay_alu instid0(SALU_CYCLE_1) | instskip(NEXT) | instid1(SALU_CYCLE_1)
	s_and_saveexec_b32 s1, s0
	s_xor_b32 s0, exec_lo, s1
; %bb.192:
	v_cmp_ne_u32_e32 vcc_lo, 0, v138
	v_cndmask_b32_e32 v138, 10, v138, vcc_lo
; %bb.193:
	s_and_not1_saveexec_b32 s0, s0
	s_cbranch_execz .LBB124_199
; %bb.194:
	v_cmp_ngt_f32_e64 s1, |v134|, |v135|
	s_and_saveexec_b32 s12, s1
	s_delay_alu instid0(SALU_CYCLE_1)
	s_xor_b32 s1, exec_lo, s12
	s_cbranch_execz .LBB124_196
; %bb.195:
	v_div_scale_f32 v133, null, v135, v135, v134
	v_div_scale_f32 v143, vcc_lo, v134, v135, v134
	s_delay_alu instid0(VALU_DEP_2) | instskip(SKIP_1) | instid1(TRANS32_DEP_1)
	v_rcp_f32_e32 v141, v133
	v_nop
	v_fma_f32 v142, -v133, v141, 1.0
	s_delay_alu instid0(VALU_DEP_1) | instskip(NEXT) | instid1(VALU_DEP_1)
	v_fmac_f32_e32 v141, v142, v141
	v_mul_f32_e32 v142, v143, v141
	s_delay_alu instid0(VALU_DEP_1) | instskip(NEXT) | instid1(VALU_DEP_1)
	v_fma_f32 v144, -v133, v142, v143
	v_fmac_f32_e32 v142, v144, v141
	s_delay_alu instid0(VALU_DEP_1) | instskip(NEXT) | instid1(VALU_DEP_1)
	v_fma_f32 v133, -v133, v142, v143
	v_div_fmas_f32 v133, v133, v141, v142
	s_delay_alu instid0(VALU_DEP_1) | instskip(NEXT) | instid1(VALU_DEP_1)
	v_div_fixup_f32 v133, v133, v135, v134
	v_fmac_f32_e32 v135, v134, v133
	s_delay_alu instid0(VALU_DEP_1) | instskip(SKIP_1) | instid1(VALU_DEP_2)
	v_div_scale_f32 v134, null, v135, v135, 1.0
	v_div_scale_f32 v143, vcc_lo, 1.0, v135, 1.0
	v_rcp_f32_e32 v141, v134
	v_nop
	s_delay_alu instid0(TRANS32_DEP_1) | instskip(NEXT) | instid1(VALU_DEP_1)
	v_fma_f32 v142, -v134, v141, 1.0
	v_fmac_f32_e32 v141, v142, v141
	s_delay_alu instid0(VALU_DEP_1) | instskip(NEXT) | instid1(VALU_DEP_1)
	v_mul_f32_e32 v142, v143, v141
	v_fma_f32 v144, -v134, v142, v143
	s_delay_alu instid0(VALU_DEP_1) | instskip(NEXT) | instid1(VALU_DEP_1)
	v_fmac_f32_e32 v142, v144, v141
	v_fma_f32 v134, -v134, v142, v143
	s_delay_alu instid0(VALU_DEP_1) | instskip(NEXT) | instid1(VALU_DEP_1)
	v_div_fmas_f32 v134, v134, v141, v142
	v_div_fixup_f32 v135, v134, v135, 1.0
	s_delay_alu instid0(VALU_DEP_1)
	v_mul_f32_e32 v134, v133, v135
	v_xor_b32_e32 v135, 0x80000000, v135
.LBB124_196:
	s_and_not1_saveexec_b32 s1, s1
	s_cbranch_execz .LBB124_198
; %bb.197:
	s_delay_alu instid0(VALU_DEP_1) | instskip(SKIP_1) | instid1(VALU_DEP_2)
	v_div_scale_f32 v133, null, v134, v134, v135
	v_div_scale_f32 v143, vcc_lo, v135, v134, v135
	v_rcp_f32_e32 v141, v133
	v_nop
	s_delay_alu instid0(TRANS32_DEP_1) | instskip(NEXT) | instid1(VALU_DEP_1)
	v_fma_f32 v142, -v133, v141, 1.0
	v_fmac_f32_e32 v141, v142, v141
	s_delay_alu instid0(VALU_DEP_1) | instskip(NEXT) | instid1(VALU_DEP_1)
	v_mul_f32_e32 v142, v143, v141
	v_fma_f32 v144, -v133, v142, v143
	s_delay_alu instid0(VALU_DEP_1) | instskip(NEXT) | instid1(VALU_DEP_1)
	v_fmac_f32_e32 v142, v144, v141
	v_fma_f32 v133, -v133, v142, v143
	s_delay_alu instid0(VALU_DEP_1) | instskip(NEXT) | instid1(VALU_DEP_1)
	v_div_fmas_f32 v133, v133, v141, v142
	v_div_fixup_f32 v133, v133, v134, v135
	s_delay_alu instid0(VALU_DEP_1) | instskip(NEXT) | instid1(VALU_DEP_1)
	v_fmac_f32_e32 v134, v135, v133
	v_div_scale_f32 v135, null, v134, v134, 1.0
	s_delay_alu instid0(VALU_DEP_1) | instskip(SKIP_1) | instid1(TRANS32_DEP_1)
	v_rcp_f32_e32 v141, v135
	v_nop
	v_fma_f32 v142, -v135, v141, 1.0
	s_delay_alu instid0(VALU_DEP_1) | instskip(SKIP_1) | instid1(VALU_DEP_1)
	v_fmac_f32_e32 v141, v142, v141
	v_div_scale_f32 v142, vcc_lo, 1.0, v134, 1.0
	v_mul_f32_e32 v143, v142, v141
	s_delay_alu instid0(VALU_DEP_1) | instskip(NEXT) | instid1(VALU_DEP_1)
	v_fma_f32 v144, -v135, v143, v142
	v_fmac_f32_e32 v143, v144, v141
	s_delay_alu instid0(VALU_DEP_1) | instskip(NEXT) | instid1(VALU_DEP_1)
	v_fma_f32 v135, -v135, v143, v142
	v_div_fmas_f32 v135, v135, v141, v143
	s_delay_alu instid0(VALU_DEP_1) | instskip(NEXT) | instid1(VALU_DEP_1)
	v_div_fixup_f32 v134, v135, v134, 1.0
	v_mul_f32_e64 v135, v133, -v134
.LBB124_198:
	s_or_b32 exec_lo, exec_lo, s1
.LBB124_199:
	s_delay_alu instid0(SALU_CYCLE_1) | instskip(NEXT) | instid1(SALU_CYCLE_1)
	s_or_b32 exec_lo, exec_lo, s0
	s_mov_b32 s0, exec_lo
	v_cmpx_ne_u32_e64 v140, v132
	s_xor_b32 s0, exec_lo, s0
	s_cbranch_execz .LBB124_205
; %bb.200:
	s_mov_b32 s1, exec_lo
	v_cmpx_eq_u32_e32 9, v140
	s_cbranch_execz .LBB124_204
; %bb.201:
	v_cmp_ne_u32_e32 vcc_lo, 9, v132
	s_xor_b32 s12, s16, -1
	s_delay_alu instid0(SALU_CYCLE_1) | instskip(NEXT) | instid1(SALU_CYCLE_1)
	s_and_b32 s13, s12, vcc_lo
	s_and_saveexec_b32 s12, s13
	s_cbranch_execz .LBB124_203
; %bb.202:
	v_ashrrev_i32_e32 v133, 31, v132
	s_delay_alu instid0(VALU_DEP_1)
	v_lshl_add_u64 v[140:141], v[132:133], 2, v[4:5]
	s_clause 0x1
	global_load_b32 v133, v[140:141], off
	global_load_b32 v139, v[4:5], off offset:36
	s_wait_loadcnt 0x1
	global_store_b32 v[4:5], v133, off offset:36
	s_wait_loadcnt 0x0
	global_store_b32 v[140:141], v139, off
.LBB124_203:
	s_wait_xcnt 0x0
	s_or_b32 exec_lo, exec_lo, s12
	v_dual_mov_b32 v140, v132 :: v_dual_mov_b32 v139, v132
.LBB124_204:
	s_or_b32 exec_lo, exec_lo, s1
.LBB124_205:
	s_and_not1_saveexec_b32 s0, s0
	s_cbranch_execz .LBB124_207
; %bb.206:
	v_dual_mov_b32 v132, v64 :: v_dual_mov_b32 v133, v65
	v_dual_mov_b32 v140, v62 :: v_dual_mov_b32 v141, v63
	ds_store_2addr_b64 v136, v[132:133], v[140:141] offset0:10 offset1:11
	v_dual_mov_b32 v132, v112 :: v_dual_mov_b32 v133, v113
	v_dual_mov_b32 v140, v110 :: v_dual_mov_b32 v141, v111
	ds_store_2addr_b64 v136, v[132:133], v[140:141] offset0:12 offset1:13
	;; [unrolled: 3-line block ×26, first 2 shown]
	ds_store_b64 v136, v[130:131] offset:496
	v_mov_b32_e32 v140, 9
.LBB124_207:
	s_or_b32 exec_lo, exec_lo, s0
	s_delay_alu instid0(SALU_CYCLE_1)
	s_mov_b32 s0, exec_lo
	s_wait_storecnt_dscnt 0x0
	s_barrier_signal -1
	s_barrier_wait -1
	v_cmpx_lt_i32_e32 9, v140
	s_cbranch_execz .LBB124_209
; %bb.208:
	v_pk_mul_f32 v[142:143], v[134:135], v[114:115] op_sel:[1,1] op_sel_hi:[0,1]
	s_delay_alu instid0(VALU_DEP_1)
	v_pk_fma_f32 v[132:133], v[134:135], v[114:115], v[142:143] op_sel_hi:[1,0,1] neg_lo:[0,0,1] neg_hi:[0,0,1]
	v_pk_fma_f32 v[134:135], v[134:135], v[114:115], v[142:143] op_sel_hi:[1,0,1]
	ds_load_2addr_b64 v[142:145], v136 offset0:10 offset1:11
	v_dual_mov_b32 v114, v132 :: v_dual_mov_b32 v115, v135
	s_wait_dscnt 0x0
	v_pk_mul_f32 v[146:147], v[142:143], v[134:135] op_sel:[0,1]
	s_delay_alu instid0(VALU_DEP_1) | instskip(SKIP_1) | instid1(VALU_DEP_1)
	v_pk_fma_f32 v[148:149], v[142:143], v[132:133], v[146:147] op_sel:[0,0,1] op_sel_hi:[1,1,0] neg_lo:[0,0,1] neg_hi:[0,0,1]
	v_pk_fma_f32 v[142:143], v[142:143], v[132:133], v[146:147] op_sel:[0,0,1] op_sel_hi:[1,0,0]
	v_mov_b32_e32 v149, v143
	v_pk_mul_f32 v[142:143], v[144:145], v[134:135] op_sel:[0,1]
	s_delay_alu instid0(VALU_DEP_1) | instskip(SKIP_1) | instid1(VALU_DEP_1)
	v_pk_fma_f32 v[146:147], v[144:145], v[132:133], v[142:143] op_sel:[0,0,1] op_sel_hi:[1,1,0] neg_lo:[0,0,1] neg_hi:[0,0,1]
	v_pk_fma_f32 v[142:143], v[144:145], v[132:133], v[142:143] op_sel:[0,0,1] op_sel_hi:[1,0,0]
	v_mov_b32_e32 v147, v143
	ds_load_2addr_b64 v[142:145], v136 offset0:12 offset1:13
	v_pk_add_f32 v[64:65], v[64:65], v[148:149] neg_lo:[0,1] neg_hi:[0,1]
	v_pk_add_f32 v[62:63], v[62:63], v[146:147] neg_lo:[0,1] neg_hi:[0,1]
	s_wait_dscnt 0x0
	v_pk_mul_f32 v[146:147], v[142:143], v[134:135] op_sel:[0,1]
	s_delay_alu instid0(VALU_DEP_1) | instskip(SKIP_2) | instid1(VALU_DEP_2)
	v_pk_fma_f32 v[148:149], v[142:143], v[132:133], v[146:147] op_sel:[0,0,1] op_sel_hi:[1,1,0] neg_lo:[0,0,1] neg_hi:[0,0,1]
	v_pk_fma_f32 v[142:143], v[142:143], v[132:133], v[146:147] op_sel:[0,0,1] op_sel_hi:[1,0,0]
	v_dual_mul_f32 v146, v145, v135 :: v_dual_mov_b32 v142, v145
	v_dual_mov_b32 v149, v143 :: v_dual_mov_b32 v143, v144
	s_delay_alu instid0(VALU_DEP_2) | instskip(SKIP_1) | instid1(VALU_DEP_3)
	v_pk_fma_f32 v[146:147], v[144:145], v[114:115], v[146:147] op_sel_hi:[1,1,0] neg_lo:[0,0,1] neg_hi:[0,0,1]
	v_mul_f32_e32 v144, v145, v132
	v_pk_add_f32 v[112:113], v[112:113], v[148:149] neg_lo:[0,1] neg_hi:[0,1]
	s_delay_alu instid0(VALU_DEP_2) | instskip(NEXT) | instid1(VALU_DEP_1)
	v_pk_fma_f32 v[142:143], v[142:143], v[114:115], v[144:145] op_sel_hi:[1,1,0]
	v_mov_b32_e32 v147, v143
	ds_load_2addr_b64 v[142:145], v136 offset0:14 offset1:15
	v_pk_add_f32 v[110:111], v[110:111], v[146:147] neg_lo:[0,1] neg_hi:[0,1]
	s_wait_dscnt 0x0
	v_pk_mul_f32 v[146:147], v[142:143], v[134:135] op_sel:[0,1]
	s_delay_alu instid0(VALU_DEP_1) | instskip(SKIP_1) | instid1(VALU_DEP_1)
	v_pk_fma_f32 v[148:149], v[142:143], v[132:133], v[146:147] op_sel:[0,0,1] op_sel_hi:[1,1,0] neg_lo:[0,0,1] neg_hi:[0,0,1]
	v_pk_fma_f32 v[142:143], v[142:143], v[132:133], v[146:147] op_sel:[0,0,1] op_sel_hi:[1,0,0]
	v_mov_b32_e32 v149, v143
	v_pk_mul_f32 v[142:143], v[144:145], v[134:135] op_sel:[0,1]
	s_delay_alu instid0(VALU_DEP_1) | instskip(SKIP_1) | instid1(VALU_DEP_1)
	v_pk_fma_f32 v[146:147], v[144:145], v[132:133], v[142:143] op_sel:[0,0,1] op_sel_hi:[1,1,0] neg_lo:[0,0,1] neg_hi:[0,0,1]
	v_pk_fma_f32 v[142:143], v[144:145], v[132:133], v[142:143] op_sel:[0,0,1] op_sel_hi:[1,0,0]
	v_mov_b32_e32 v147, v143
	ds_load_2addr_b64 v[142:145], v136 offset0:16 offset1:17
	v_pk_add_f32 v[60:61], v[60:61], v[148:149] neg_lo:[0,1] neg_hi:[0,1]
	v_pk_add_f32 v[58:59], v[58:59], v[146:147] neg_lo:[0,1] neg_hi:[0,1]
	s_wait_dscnt 0x0
	v_pk_mul_f32 v[146:147], v[142:143], v[134:135] op_sel:[0,1]
	s_delay_alu instid0(VALU_DEP_1) | instskip(SKIP_1) | instid1(VALU_DEP_1)
	v_pk_fma_f32 v[148:149], v[142:143], v[132:133], v[146:147] op_sel:[0,0,1] op_sel_hi:[1,1,0] neg_lo:[0,0,1] neg_hi:[0,0,1]
	v_pk_fma_f32 v[142:143], v[142:143], v[132:133], v[146:147] op_sel:[0,0,1] op_sel_hi:[1,0,0]
	v_mov_b32_e32 v149, v143
	v_pk_mul_f32 v[142:143], v[144:145], v[134:135] op_sel:[0,1]
	s_delay_alu instid0(VALU_DEP_1) | instskip(SKIP_1) | instid1(VALU_DEP_1)
	v_pk_fma_f32 v[146:147], v[144:145], v[132:133], v[142:143] op_sel:[0,0,1] op_sel_hi:[1,1,0] neg_lo:[0,0,1] neg_hi:[0,0,1]
	v_pk_fma_f32 v[142:143], v[144:145], v[132:133], v[142:143] op_sel:[0,0,1] op_sel_hi:[1,0,0]
	v_mov_b32_e32 v147, v143
	ds_load_2addr_b64 v[142:145], v136 offset0:18 offset1:19
	v_pk_add_f32 v[108:109], v[108:109], v[148:149] neg_lo:[0,1] neg_hi:[0,1]
	v_pk_add_f32 v[106:107], v[106:107], v[146:147] neg_lo:[0,1] neg_hi:[0,1]
	s_wait_dscnt 0x0
	v_dual_mul_f32 v146, v143, v135 :: v_dual_mul_f32 v148, v143, v132
	s_delay_alu instid0(VALU_DEP_1) | instskip(NEXT) | instid1(VALU_DEP_2)
	v_pk_fma_f32 v[146:147], v[142:143], v[114:115], v[146:147] op_sel_hi:[1,1,0] neg_lo:[0,0,1] neg_hi:[0,0,1]
	v_pk_fma_f32 v[142:143], v[142:143], v[114:115], v[148:149] op_sel:[1,0,0] op_sel_hi:[0,1,0]
	s_delay_alu instid0(VALU_DEP_1) | instskip(SKIP_1) | instid1(VALU_DEP_2)
	v_mov_b32_e32 v147, v143
	v_pk_mul_f32 v[142:143], v[144:145], v[134:135] op_sel:[0,1]
	v_pk_add_f32 v[56:57], v[56:57], v[146:147] neg_lo:[0,1] neg_hi:[0,1]
	s_delay_alu instid0(VALU_DEP_2) | instskip(SKIP_1) | instid1(VALU_DEP_1)
	v_pk_fma_f32 v[146:147], v[144:145], v[132:133], v[142:143] op_sel:[0,0,1] op_sel_hi:[1,1,0] neg_lo:[0,0,1] neg_hi:[0,0,1]
	v_pk_fma_f32 v[142:143], v[144:145], v[132:133], v[142:143] op_sel:[0,0,1] op_sel_hi:[1,0,0]
	v_mov_b32_e32 v147, v143
	ds_load_2addr_b64 v[142:145], v136 offset0:20 offset1:21
	v_pk_add_f32 v[54:55], v[54:55], v[146:147] neg_lo:[0,1] neg_hi:[0,1]
	s_wait_dscnt 0x0
	v_pk_mul_f32 v[146:147], v[142:143], v[134:135] op_sel:[0,1]
	s_delay_alu instid0(VALU_DEP_1) | instskip(SKIP_1) | instid1(VALU_DEP_1)
	v_pk_fma_f32 v[148:149], v[142:143], v[132:133], v[146:147] op_sel:[0,0,1] op_sel_hi:[1,1,0] neg_lo:[0,0,1] neg_hi:[0,0,1]
	v_pk_fma_f32 v[142:143], v[142:143], v[132:133], v[146:147] op_sel:[0,0,1] op_sel_hi:[1,0,0]
	v_mov_b32_e32 v149, v143
	v_pk_mul_f32 v[142:143], v[144:145], v[134:135] op_sel:[0,1]
	s_delay_alu instid0(VALU_DEP_2) | instskip(NEXT) | instid1(VALU_DEP_2)
	v_pk_add_f32 v[104:105], v[104:105], v[148:149] neg_lo:[0,1] neg_hi:[0,1]
	v_pk_fma_f32 v[146:147], v[144:145], v[132:133], v[142:143] op_sel:[0,0,1] op_sel_hi:[1,1,0] neg_lo:[0,0,1] neg_hi:[0,0,1]
	v_pk_fma_f32 v[142:143], v[144:145], v[132:133], v[142:143] op_sel:[0,0,1] op_sel_hi:[1,0,0]
	s_delay_alu instid0(VALU_DEP_1) | instskip(SKIP_4) | instid1(VALU_DEP_1)
	v_mov_b32_e32 v147, v143
	ds_load_2addr_b64 v[142:145], v136 offset0:22 offset1:23
	v_pk_add_f32 v[102:103], v[102:103], v[146:147] neg_lo:[0,1] neg_hi:[0,1]
	s_wait_dscnt 0x0
	v_pk_mul_f32 v[146:147], v[142:143], v[134:135] op_sel:[0,1]
	v_pk_fma_f32 v[148:149], v[142:143], v[132:133], v[146:147] op_sel:[0,0,1] op_sel_hi:[1,1,0] neg_lo:[0,0,1] neg_hi:[0,0,1]
	v_pk_fma_f32 v[142:143], v[142:143], v[132:133], v[146:147] op_sel:[0,0,1] op_sel_hi:[1,0,0]
	v_dual_mul_f32 v146, v145, v135 :: v_dual_mov_b32 v142, v145
	s_delay_alu instid0(VALU_DEP_2) | instskip(NEXT) | instid1(VALU_DEP_2)
	v_dual_mov_b32 v149, v143 :: v_dual_mov_b32 v143, v144
	v_pk_fma_f32 v[146:147], v[144:145], v[114:115], v[146:147] op_sel_hi:[1,1,0] neg_lo:[0,0,1] neg_hi:[0,0,1]
	v_mul_f32_e32 v144, v145, v132
	s_delay_alu instid0(VALU_DEP_3) | instskip(NEXT) | instid1(VALU_DEP_2)
	v_pk_add_f32 v[52:53], v[52:53], v[148:149] neg_lo:[0,1] neg_hi:[0,1]
	v_pk_fma_f32 v[142:143], v[142:143], v[114:115], v[144:145] op_sel_hi:[1,1,0]
	s_delay_alu instid0(VALU_DEP_1) | instskip(SKIP_4) | instid1(VALU_DEP_1)
	v_mov_b32_e32 v147, v143
	ds_load_2addr_b64 v[142:145], v136 offset0:24 offset1:25
	v_pk_add_f32 v[50:51], v[50:51], v[146:147] neg_lo:[0,1] neg_hi:[0,1]
	s_wait_dscnt 0x0
	v_pk_mul_f32 v[146:147], v[142:143], v[134:135] op_sel:[0,1]
	v_pk_fma_f32 v[148:149], v[142:143], v[132:133], v[146:147] op_sel:[0,0,1] op_sel_hi:[1,1,0] neg_lo:[0,0,1] neg_hi:[0,0,1]
	v_pk_fma_f32 v[142:143], v[142:143], v[132:133], v[146:147] op_sel:[0,0,1] op_sel_hi:[1,0,0]
	s_delay_alu instid0(VALU_DEP_1) | instskip(SKIP_1) | instid1(VALU_DEP_1)
	v_mov_b32_e32 v149, v143
	v_pk_mul_f32 v[142:143], v[144:145], v[134:135] op_sel:[0,1]
	v_pk_fma_f32 v[146:147], v[144:145], v[132:133], v[142:143] op_sel:[0,0,1] op_sel_hi:[1,1,0] neg_lo:[0,0,1] neg_hi:[0,0,1]
	v_pk_fma_f32 v[142:143], v[144:145], v[132:133], v[142:143] op_sel:[0,0,1] op_sel_hi:[1,0,0]
	s_delay_alu instid0(VALU_DEP_1)
	v_mov_b32_e32 v147, v143
	ds_load_2addr_b64 v[142:145], v136 offset0:26 offset1:27
	v_pk_add_f32 v[100:101], v[100:101], v[148:149] neg_lo:[0,1] neg_hi:[0,1]
	v_pk_add_f32 v[98:99], v[98:99], v[146:147] neg_lo:[0,1] neg_hi:[0,1]
	s_wait_dscnt 0x0
	v_pk_mul_f32 v[146:147], v[142:143], v[134:135] op_sel:[0,1]
	s_delay_alu instid0(VALU_DEP_1) | instskip(SKIP_1) | instid1(VALU_DEP_1)
	v_pk_fma_f32 v[148:149], v[142:143], v[132:133], v[146:147] op_sel:[0,0,1] op_sel_hi:[1,1,0] neg_lo:[0,0,1] neg_hi:[0,0,1]
	v_pk_fma_f32 v[142:143], v[142:143], v[132:133], v[146:147] op_sel:[0,0,1] op_sel_hi:[1,0,0]
	v_mov_b32_e32 v149, v143
	v_pk_mul_f32 v[142:143], v[144:145], v[134:135] op_sel:[0,1]
	s_delay_alu instid0(VALU_DEP_1) | instskip(SKIP_1) | instid1(VALU_DEP_1)
	v_pk_fma_f32 v[146:147], v[144:145], v[132:133], v[142:143] op_sel:[0,0,1] op_sel_hi:[1,1,0] neg_lo:[0,0,1] neg_hi:[0,0,1]
	v_pk_fma_f32 v[142:143], v[144:145], v[132:133], v[142:143] op_sel:[0,0,1] op_sel_hi:[1,0,0]
	v_mov_b32_e32 v147, v143
	ds_load_2addr_b64 v[142:145], v136 offset0:28 offset1:29
	v_pk_add_f32 v[48:49], v[48:49], v[148:149] neg_lo:[0,1] neg_hi:[0,1]
	v_pk_add_f32 v[46:47], v[46:47], v[146:147] neg_lo:[0,1] neg_hi:[0,1]
	s_wait_dscnt 0x0
	v_dual_mul_f32 v146, v143, v135 :: v_dual_mul_f32 v148, v143, v132
	s_delay_alu instid0(VALU_DEP_1) | instskip(NEXT) | instid1(VALU_DEP_2)
	v_pk_fma_f32 v[146:147], v[142:143], v[114:115], v[146:147] op_sel_hi:[1,1,0] neg_lo:[0,0,1] neg_hi:[0,0,1]
	v_pk_fma_f32 v[142:143], v[142:143], v[114:115], v[148:149] op_sel:[1,0,0] op_sel_hi:[0,1,0]
	s_delay_alu instid0(VALU_DEP_1) | instskip(SKIP_1) | instid1(VALU_DEP_2)
	v_mov_b32_e32 v147, v143
	v_pk_mul_f32 v[142:143], v[144:145], v[134:135] op_sel:[0,1]
	v_pk_add_f32 v[96:97], v[96:97], v[146:147] neg_lo:[0,1] neg_hi:[0,1]
	s_delay_alu instid0(VALU_DEP_2) | instskip(SKIP_1) | instid1(VALU_DEP_1)
	v_pk_fma_f32 v[146:147], v[144:145], v[132:133], v[142:143] op_sel:[0,0,1] op_sel_hi:[1,1,0] neg_lo:[0,0,1] neg_hi:[0,0,1]
	v_pk_fma_f32 v[142:143], v[144:145], v[132:133], v[142:143] op_sel:[0,0,1] op_sel_hi:[1,0,0]
	v_mov_b32_e32 v147, v143
	ds_load_2addr_b64 v[142:145], v136 offset0:30 offset1:31
	v_pk_add_f32 v[94:95], v[94:95], v[146:147] neg_lo:[0,1] neg_hi:[0,1]
	s_wait_dscnt 0x0
	v_pk_mul_f32 v[146:147], v[142:143], v[134:135] op_sel:[0,1]
	s_delay_alu instid0(VALU_DEP_1) | instskip(SKIP_1) | instid1(VALU_DEP_1)
	v_pk_fma_f32 v[148:149], v[142:143], v[132:133], v[146:147] op_sel:[0,0,1] op_sel_hi:[1,1,0] neg_lo:[0,0,1] neg_hi:[0,0,1]
	v_pk_fma_f32 v[142:143], v[142:143], v[132:133], v[146:147] op_sel:[0,0,1] op_sel_hi:[1,0,0]
	v_mov_b32_e32 v149, v143
	v_pk_mul_f32 v[142:143], v[144:145], v[134:135] op_sel:[0,1]
	s_delay_alu instid0(VALU_DEP_2) | instskip(NEXT) | instid1(VALU_DEP_2)
	v_pk_add_f32 v[44:45], v[44:45], v[148:149] neg_lo:[0,1] neg_hi:[0,1]
	v_pk_fma_f32 v[146:147], v[144:145], v[132:133], v[142:143] op_sel:[0,0,1] op_sel_hi:[1,1,0] neg_lo:[0,0,1] neg_hi:[0,0,1]
	v_pk_fma_f32 v[142:143], v[144:145], v[132:133], v[142:143] op_sel:[0,0,1] op_sel_hi:[1,0,0]
	s_delay_alu instid0(VALU_DEP_1) | instskip(SKIP_4) | instid1(VALU_DEP_1)
	v_mov_b32_e32 v147, v143
	ds_load_2addr_b64 v[142:145], v136 offset0:32 offset1:33
	v_pk_add_f32 v[42:43], v[42:43], v[146:147] neg_lo:[0,1] neg_hi:[0,1]
	s_wait_dscnt 0x0
	v_pk_mul_f32 v[146:147], v[142:143], v[134:135] op_sel:[0,1]
	v_pk_fma_f32 v[148:149], v[142:143], v[132:133], v[146:147] op_sel:[0,0,1] op_sel_hi:[1,1,0] neg_lo:[0,0,1] neg_hi:[0,0,1]
	v_pk_fma_f32 v[142:143], v[142:143], v[132:133], v[146:147] op_sel:[0,0,1] op_sel_hi:[1,0,0]
	v_dual_mul_f32 v146, v145, v135 :: v_dual_mov_b32 v142, v145
	s_delay_alu instid0(VALU_DEP_2) | instskip(NEXT) | instid1(VALU_DEP_2)
	v_dual_mov_b32 v149, v143 :: v_dual_mov_b32 v143, v144
	v_pk_fma_f32 v[146:147], v[144:145], v[114:115], v[146:147] op_sel_hi:[1,1,0] neg_lo:[0,0,1] neg_hi:[0,0,1]
	v_mul_f32_e32 v144, v145, v132
	s_delay_alu instid0(VALU_DEP_3) | instskip(NEXT) | instid1(VALU_DEP_2)
	v_pk_add_f32 v[92:93], v[92:93], v[148:149] neg_lo:[0,1] neg_hi:[0,1]
	v_pk_fma_f32 v[142:143], v[142:143], v[114:115], v[144:145] op_sel_hi:[1,1,0]
	s_delay_alu instid0(VALU_DEP_1) | instskip(SKIP_4) | instid1(VALU_DEP_1)
	v_mov_b32_e32 v147, v143
	ds_load_2addr_b64 v[142:145], v136 offset0:34 offset1:35
	v_pk_add_f32 v[90:91], v[90:91], v[146:147] neg_lo:[0,1] neg_hi:[0,1]
	s_wait_dscnt 0x0
	v_pk_mul_f32 v[146:147], v[142:143], v[134:135] op_sel:[0,1]
	v_pk_fma_f32 v[148:149], v[142:143], v[132:133], v[146:147] op_sel:[0,0,1] op_sel_hi:[1,1,0] neg_lo:[0,0,1] neg_hi:[0,0,1]
	v_pk_fma_f32 v[142:143], v[142:143], v[132:133], v[146:147] op_sel:[0,0,1] op_sel_hi:[1,0,0]
	s_delay_alu instid0(VALU_DEP_1) | instskip(SKIP_1) | instid1(VALU_DEP_1)
	v_mov_b32_e32 v149, v143
	v_pk_mul_f32 v[142:143], v[144:145], v[134:135] op_sel:[0,1]
	v_pk_fma_f32 v[146:147], v[144:145], v[132:133], v[142:143] op_sel:[0,0,1] op_sel_hi:[1,1,0] neg_lo:[0,0,1] neg_hi:[0,0,1]
	v_pk_fma_f32 v[142:143], v[144:145], v[132:133], v[142:143] op_sel:[0,0,1] op_sel_hi:[1,0,0]
	s_delay_alu instid0(VALU_DEP_1)
	v_mov_b32_e32 v147, v143
	ds_load_2addr_b64 v[142:145], v136 offset0:36 offset1:37
	v_pk_add_f32 v[40:41], v[40:41], v[148:149] neg_lo:[0,1] neg_hi:[0,1]
	v_pk_add_f32 v[38:39], v[38:39], v[146:147] neg_lo:[0,1] neg_hi:[0,1]
	s_wait_dscnt 0x0
	v_pk_mul_f32 v[146:147], v[142:143], v[134:135] op_sel:[0,1]
	s_delay_alu instid0(VALU_DEP_1) | instskip(SKIP_1) | instid1(VALU_DEP_1)
	v_pk_fma_f32 v[148:149], v[142:143], v[132:133], v[146:147] op_sel:[0,0,1] op_sel_hi:[1,1,0] neg_lo:[0,0,1] neg_hi:[0,0,1]
	v_pk_fma_f32 v[142:143], v[142:143], v[132:133], v[146:147] op_sel:[0,0,1] op_sel_hi:[1,0,0]
	v_mov_b32_e32 v149, v143
	v_pk_mul_f32 v[142:143], v[144:145], v[134:135] op_sel:[0,1]
	s_delay_alu instid0(VALU_DEP_1) | instskip(SKIP_1) | instid1(VALU_DEP_1)
	v_pk_fma_f32 v[146:147], v[144:145], v[132:133], v[142:143] op_sel:[0,0,1] op_sel_hi:[1,1,0] neg_lo:[0,0,1] neg_hi:[0,0,1]
	v_pk_fma_f32 v[142:143], v[144:145], v[132:133], v[142:143] op_sel:[0,0,1] op_sel_hi:[1,0,0]
	v_mov_b32_e32 v147, v143
	ds_load_2addr_b64 v[142:145], v136 offset0:38 offset1:39
	v_pk_add_f32 v[88:89], v[88:89], v[148:149] neg_lo:[0,1] neg_hi:[0,1]
	v_pk_add_f32 v[86:87], v[86:87], v[146:147] neg_lo:[0,1] neg_hi:[0,1]
	s_wait_dscnt 0x0
	v_dual_mul_f32 v146, v143, v135 :: v_dual_mul_f32 v148, v143, v132
	s_delay_alu instid0(VALU_DEP_1) | instskip(NEXT) | instid1(VALU_DEP_2)
	v_pk_fma_f32 v[146:147], v[142:143], v[114:115], v[146:147] op_sel_hi:[1,1,0] neg_lo:[0,0,1] neg_hi:[0,0,1]
	v_pk_fma_f32 v[142:143], v[142:143], v[114:115], v[148:149] op_sel:[1,0,0] op_sel_hi:[0,1,0]
	s_delay_alu instid0(VALU_DEP_1) | instskip(SKIP_1) | instid1(VALU_DEP_2)
	v_mov_b32_e32 v147, v143
	v_pk_mul_f32 v[142:143], v[144:145], v[134:135] op_sel:[0,1]
	v_pk_add_f32 v[36:37], v[36:37], v[146:147] neg_lo:[0,1] neg_hi:[0,1]
	s_delay_alu instid0(VALU_DEP_2) | instskip(SKIP_1) | instid1(VALU_DEP_1)
	v_pk_fma_f32 v[146:147], v[144:145], v[132:133], v[142:143] op_sel:[0,0,1] op_sel_hi:[1,1,0] neg_lo:[0,0,1] neg_hi:[0,0,1]
	v_pk_fma_f32 v[142:143], v[144:145], v[132:133], v[142:143] op_sel:[0,0,1] op_sel_hi:[1,0,0]
	v_mov_b32_e32 v147, v143
	ds_load_2addr_b64 v[142:145], v136 offset0:40 offset1:41
	v_pk_add_f32 v[32:33], v[32:33], v[146:147] neg_lo:[0,1] neg_hi:[0,1]
	s_wait_dscnt 0x0
	v_pk_mul_f32 v[146:147], v[142:143], v[134:135] op_sel:[0,1]
	s_delay_alu instid0(VALU_DEP_1) | instskip(SKIP_1) | instid1(VALU_DEP_1)
	v_pk_fma_f32 v[148:149], v[142:143], v[132:133], v[146:147] op_sel:[0,0,1] op_sel_hi:[1,1,0] neg_lo:[0,0,1] neg_hi:[0,0,1]
	v_pk_fma_f32 v[142:143], v[142:143], v[132:133], v[146:147] op_sel:[0,0,1] op_sel_hi:[1,0,0]
	v_mov_b32_e32 v149, v143
	v_pk_mul_f32 v[142:143], v[144:145], v[134:135] op_sel:[0,1]
	s_delay_alu instid0(VALU_DEP_2) | instskip(NEXT) | instid1(VALU_DEP_2)
	v_pk_add_f32 v[84:85], v[84:85], v[148:149] neg_lo:[0,1] neg_hi:[0,1]
	v_pk_fma_f32 v[146:147], v[144:145], v[132:133], v[142:143] op_sel:[0,0,1] op_sel_hi:[1,1,0] neg_lo:[0,0,1] neg_hi:[0,0,1]
	v_pk_fma_f32 v[142:143], v[144:145], v[132:133], v[142:143] op_sel:[0,0,1] op_sel_hi:[1,0,0]
	s_delay_alu instid0(VALU_DEP_1) | instskip(SKIP_4) | instid1(VALU_DEP_1)
	v_mov_b32_e32 v147, v143
	ds_load_2addr_b64 v[142:145], v136 offset0:42 offset1:43
	v_pk_add_f32 v[82:83], v[82:83], v[146:147] neg_lo:[0,1] neg_hi:[0,1]
	s_wait_dscnt 0x0
	v_pk_mul_f32 v[146:147], v[142:143], v[134:135] op_sel:[0,1]
	v_pk_fma_f32 v[148:149], v[142:143], v[132:133], v[146:147] op_sel:[0,0,1] op_sel_hi:[1,1,0] neg_lo:[0,0,1] neg_hi:[0,0,1]
	v_pk_fma_f32 v[142:143], v[142:143], v[132:133], v[146:147] op_sel:[0,0,1] op_sel_hi:[1,0,0]
	v_dual_mul_f32 v146, v145, v135 :: v_dual_mov_b32 v142, v145
	s_delay_alu instid0(VALU_DEP_2) | instskip(NEXT) | instid1(VALU_DEP_2)
	v_dual_mov_b32 v149, v143 :: v_dual_mov_b32 v143, v144
	v_pk_fma_f32 v[146:147], v[144:145], v[114:115], v[146:147] op_sel_hi:[1,1,0] neg_lo:[0,0,1] neg_hi:[0,0,1]
	v_mul_f32_e32 v144, v145, v132
	s_delay_alu instid0(VALU_DEP_3) | instskip(NEXT) | instid1(VALU_DEP_2)
	v_pk_add_f32 v[24:25], v[24:25], v[148:149] neg_lo:[0,1] neg_hi:[0,1]
	v_pk_fma_f32 v[142:143], v[142:143], v[114:115], v[144:145] op_sel_hi:[1,1,0]
	s_delay_alu instid0(VALU_DEP_1) | instskip(SKIP_4) | instid1(VALU_DEP_1)
	v_mov_b32_e32 v147, v143
	ds_load_2addr_b64 v[142:145], v136 offset0:44 offset1:45
	v_pk_add_f32 v[22:23], v[22:23], v[146:147] neg_lo:[0,1] neg_hi:[0,1]
	s_wait_dscnt 0x0
	v_pk_mul_f32 v[146:147], v[142:143], v[134:135] op_sel:[0,1]
	v_pk_fma_f32 v[148:149], v[142:143], v[132:133], v[146:147] op_sel:[0,0,1] op_sel_hi:[1,1,0] neg_lo:[0,0,1] neg_hi:[0,0,1]
	v_pk_fma_f32 v[142:143], v[142:143], v[132:133], v[146:147] op_sel:[0,0,1] op_sel_hi:[1,0,0]
	s_delay_alu instid0(VALU_DEP_1) | instskip(SKIP_1) | instid1(VALU_DEP_1)
	v_mov_b32_e32 v149, v143
	v_pk_mul_f32 v[142:143], v[144:145], v[134:135] op_sel:[0,1]
	v_pk_fma_f32 v[146:147], v[144:145], v[132:133], v[142:143] op_sel:[0,0,1] op_sel_hi:[1,1,0] neg_lo:[0,0,1] neg_hi:[0,0,1]
	v_pk_fma_f32 v[142:143], v[144:145], v[132:133], v[142:143] op_sel:[0,0,1] op_sel_hi:[1,0,0]
	s_delay_alu instid0(VALU_DEP_1)
	v_mov_b32_e32 v147, v143
	ds_load_2addr_b64 v[142:145], v136 offset0:46 offset1:47
	v_pk_add_f32 v[80:81], v[80:81], v[148:149] neg_lo:[0,1] neg_hi:[0,1]
	v_pk_add_f32 v[78:79], v[78:79], v[146:147] neg_lo:[0,1] neg_hi:[0,1]
	s_wait_dscnt 0x0
	v_pk_mul_f32 v[146:147], v[142:143], v[134:135] op_sel:[0,1]
	s_delay_alu instid0(VALU_DEP_1) | instskip(SKIP_1) | instid1(VALU_DEP_1)
	v_pk_fma_f32 v[148:149], v[142:143], v[132:133], v[146:147] op_sel:[0,0,1] op_sel_hi:[1,1,0] neg_lo:[0,0,1] neg_hi:[0,0,1]
	v_pk_fma_f32 v[142:143], v[142:143], v[132:133], v[146:147] op_sel:[0,0,1] op_sel_hi:[1,0,0]
	v_mov_b32_e32 v149, v143
	v_pk_mul_f32 v[142:143], v[144:145], v[134:135] op_sel:[0,1]
	s_delay_alu instid0(VALU_DEP_1) | instskip(SKIP_1) | instid1(VALU_DEP_1)
	v_pk_fma_f32 v[146:147], v[144:145], v[132:133], v[142:143] op_sel:[0,0,1] op_sel_hi:[1,1,0] neg_lo:[0,0,1] neg_hi:[0,0,1]
	v_pk_fma_f32 v[142:143], v[144:145], v[132:133], v[142:143] op_sel:[0,0,1] op_sel_hi:[1,0,0]
	v_mov_b32_e32 v147, v143
	ds_load_2addr_b64 v[142:145], v136 offset0:48 offset1:49
	v_pk_add_f32 v[20:21], v[20:21], v[148:149] neg_lo:[0,1] neg_hi:[0,1]
	v_pk_add_f32 v[18:19], v[18:19], v[146:147] neg_lo:[0,1] neg_hi:[0,1]
	s_wait_dscnt 0x0
	v_dual_mul_f32 v146, v143, v135 :: v_dual_mul_f32 v148, v143, v132
	s_delay_alu instid0(VALU_DEP_1) | instskip(NEXT) | instid1(VALU_DEP_2)
	v_pk_fma_f32 v[146:147], v[142:143], v[114:115], v[146:147] op_sel_hi:[1,1,0] neg_lo:[0,0,1] neg_hi:[0,0,1]
	v_pk_fma_f32 v[142:143], v[142:143], v[114:115], v[148:149] op_sel:[1,0,0] op_sel_hi:[0,1,0]
	s_delay_alu instid0(VALU_DEP_1) | instskip(SKIP_1) | instid1(VALU_DEP_2)
	v_mov_b32_e32 v147, v143
	v_pk_mul_f32 v[142:143], v[144:145], v[134:135] op_sel:[0,1]
	v_pk_add_f32 v[76:77], v[76:77], v[146:147] neg_lo:[0,1] neg_hi:[0,1]
	s_delay_alu instid0(VALU_DEP_2) | instskip(SKIP_1) | instid1(VALU_DEP_1)
	v_pk_fma_f32 v[146:147], v[144:145], v[132:133], v[142:143] op_sel:[0,0,1] op_sel_hi:[1,1,0] neg_lo:[0,0,1] neg_hi:[0,0,1]
	v_pk_fma_f32 v[142:143], v[144:145], v[132:133], v[142:143] op_sel:[0,0,1] op_sel_hi:[1,0,0]
	v_mov_b32_e32 v147, v143
	ds_load_2addr_b64 v[142:145], v136 offset0:50 offset1:51
	v_pk_add_f32 v[74:75], v[74:75], v[146:147] neg_lo:[0,1] neg_hi:[0,1]
	s_wait_dscnt 0x0
	v_pk_mul_f32 v[146:147], v[142:143], v[134:135] op_sel:[0,1]
	s_delay_alu instid0(VALU_DEP_1) | instskip(SKIP_1) | instid1(VALU_DEP_1)
	v_pk_fma_f32 v[148:149], v[142:143], v[132:133], v[146:147] op_sel:[0,0,1] op_sel_hi:[1,1,0] neg_lo:[0,0,1] neg_hi:[0,0,1]
	v_pk_fma_f32 v[142:143], v[142:143], v[132:133], v[146:147] op_sel:[0,0,1] op_sel_hi:[1,0,0]
	v_mov_b32_e32 v149, v143
	v_pk_mul_f32 v[142:143], v[144:145], v[134:135] op_sel:[0,1]
	s_delay_alu instid0(VALU_DEP_2) | instskip(NEXT) | instid1(VALU_DEP_2)
	v_pk_add_f32 v[16:17], v[16:17], v[148:149] neg_lo:[0,1] neg_hi:[0,1]
	v_pk_fma_f32 v[146:147], v[144:145], v[132:133], v[142:143] op_sel:[0,0,1] op_sel_hi:[1,1,0] neg_lo:[0,0,1] neg_hi:[0,0,1]
	v_pk_fma_f32 v[142:143], v[144:145], v[132:133], v[142:143] op_sel:[0,0,1] op_sel_hi:[1,0,0]
	s_delay_alu instid0(VALU_DEP_1) | instskip(SKIP_4) | instid1(VALU_DEP_1)
	v_mov_b32_e32 v147, v143
	ds_load_2addr_b64 v[142:145], v136 offset0:52 offset1:53
	v_pk_add_f32 v[28:29], v[28:29], v[146:147] neg_lo:[0,1] neg_hi:[0,1]
	s_wait_dscnt 0x0
	v_pk_mul_f32 v[146:147], v[142:143], v[134:135] op_sel:[0,1]
	v_pk_fma_f32 v[148:149], v[142:143], v[132:133], v[146:147] op_sel:[0,0,1] op_sel_hi:[1,1,0] neg_lo:[0,0,1] neg_hi:[0,0,1]
	v_pk_fma_f32 v[142:143], v[142:143], v[132:133], v[146:147] op_sel:[0,0,1] op_sel_hi:[1,0,0]
	v_dual_mul_f32 v146, v145, v135 :: v_dual_mov_b32 v142, v145
	s_delay_alu instid0(VALU_DEP_2) | instskip(NEXT) | instid1(VALU_DEP_2)
	v_dual_mov_b32 v149, v143 :: v_dual_mov_b32 v143, v144
	v_pk_fma_f32 v[146:147], v[144:145], v[114:115], v[146:147] op_sel_hi:[1,1,0] neg_lo:[0,0,1] neg_hi:[0,0,1]
	v_mul_f32_e32 v144, v145, v132
	s_delay_alu instid0(VALU_DEP_3) | instskip(NEXT) | instid1(VALU_DEP_2)
	v_pk_add_f32 v[68:69], v[68:69], v[148:149] neg_lo:[0,1] neg_hi:[0,1]
	v_pk_fma_f32 v[142:143], v[142:143], v[114:115], v[144:145] op_sel_hi:[1,1,0]
	s_delay_alu instid0(VALU_DEP_1) | instskip(SKIP_4) | instid1(VALU_DEP_1)
	v_mov_b32_e32 v147, v143
	ds_load_2addr_b64 v[142:145], v136 offset0:54 offset1:55
	v_pk_add_f32 v[66:67], v[66:67], v[146:147] neg_lo:[0,1] neg_hi:[0,1]
	s_wait_dscnt 0x0
	v_pk_mul_f32 v[146:147], v[142:143], v[134:135] op_sel:[0,1]
	v_pk_fma_f32 v[148:149], v[142:143], v[132:133], v[146:147] op_sel:[0,0,1] op_sel_hi:[1,1,0] neg_lo:[0,0,1] neg_hi:[0,0,1]
	v_pk_fma_f32 v[142:143], v[142:143], v[132:133], v[146:147] op_sel:[0,0,1] op_sel_hi:[1,0,0]
	s_delay_alu instid0(VALU_DEP_1) | instskip(SKIP_1) | instid1(VALU_DEP_1)
	v_mov_b32_e32 v149, v143
	v_pk_mul_f32 v[142:143], v[144:145], v[134:135] op_sel:[0,1]
	v_pk_fma_f32 v[146:147], v[144:145], v[132:133], v[142:143] op_sel:[0,0,1] op_sel_hi:[1,1,0] neg_lo:[0,0,1] neg_hi:[0,0,1]
	v_pk_fma_f32 v[142:143], v[144:145], v[132:133], v[142:143] op_sel:[0,0,1] op_sel_hi:[1,0,0]
	s_delay_alu instid0(VALU_DEP_1)
	v_mov_b32_e32 v147, v143
	ds_load_2addr_b64 v[142:145], v136 offset0:56 offset1:57
	v_pk_add_f32 v[10:11], v[10:11], v[148:149] neg_lo:[0,1] neg_hi:[0,1]
	v_pk_add_f32 v[8:9], v[8:9], v[146:147] neg_lo:[0,1] neg_hi:[0,1]
	s_wait_dscnt 0x0
	v_pk_mul_f32 v[146:147], v[142:143], v[134:135] op_sel:[0,1]
	s_delay_alu instid0(VALU_DEP_1) | instskip(SKIP_1) | instid1(VALU_DEP_1)
	v_pk_fma_f32 v[148:149], v[142:143], v[132:133], v[146:147] op_sel:[0,0,1] op_sel_hi:[1,1,0] neg_lo:[0,0,1] neg_hi:[0,0,1]
	v_pk_fma_f32 v[142:143], v[142:143], v[132:133], v[146:147] op_sel:[0,0,1] op_sel_hi:[1,0,0]
	v_mov_b32_e32 v149, v143
	v_pk_mul_f32 v[142:143], v[144:145], v[134:135] op_sel:[0,1]
	s_delay_alu instid0(VALU_DEP_1) | instskip(SKIP_1) | instid1(VALU_DEP_1)
	v_pk_fma_f32 v[146:147], v[144:145], v[132:133], v[142:143] op_sel:[0,0,1] op_sel_hi:[1,1,0] neg_lo:[0,0,1] neg_hi:[0,0,1]
	v_pk_fma_f32 v[142:143], v[144:145], v[132:133], v[142:143] op_sel:[0,0,1] op_sel_hi:[1,0,0]
	v_mov_b32_e32 v147, v143
	ds_load_2addr_b64 v[142:145], v136 offset0:58 offset1:59
	v_pk_add_f32 v[34:35], v[34:35], v[148:149] neg_lo:[0,1] neg_hi:[0,1]
	v_pk_add_f32 v[30:31], v[30:31], v[146:147] neg_lo:[0,1] neg_hi:[0,1]
	s_wait_dscnt 0x0
	v_dual_mul_f32 v146, v143, v135 :: v_dual_mul_f32 v148, v143, v132
	s_delay_alu instid0(VALU_DEP_1) | instskip(NEXT) | instid1(VALU_DEP_2)
	v_pk_fma_f32 v[146:147], v[142:143], v[114:115], v[146:147] op_sel_hi:[1,1,0] neg_lo:[0,0,1] neg_hi:[0,0,1]
	v_pk_fma_f32 v[142:143], v[142:143], v[114:115], v[148:149] op_sel:[1,0,0] op_sel_hi:[0,1,0]
	s_delay_alu instid0(VALU_DEP_1) | instskip(SKIP_1) | instid1(VALU_DEP_2)
	v_mov_b32_e32 v147, v143
	v_pk_mul_f32 v[142:143], v[144:145], v[134:135] op_sel:[0,1]
	v_pk_add_f32 v[6:7], v[6:7], v[146:147] neg_lo:[0,1] neg_hi:[0,1]
	s_delay_alu instid0(VALU_DEP_2) | instskip(SKIP_1) | instid1(VALU_DEP_1)
	v_pk_fma_f32 v[146:147], v[144:145], v[132:133], v[142:143] op_sel:[0,0,1] op_sel_hi:[1,1,0] neg_lo:[0,0,1] neg_hi:[0,0,1]
	v_pk_fma_f32 v[142:143], v[144:145], v[132:133], v[142:143] op_sel:[0,0,1] op_sel_hi:[1,0,0]
	v_mov_b32_e32 v147, v143
	ds_load_2addr_b64 v[142:145], v136 offset0:60 offset1:61
	v_pk_add_f32 v[26:27], v[26:27], v[146:147] neg_lo:[0,1] neg_hi:[0,1]
	s_wait_dscnt 0x0
	v_pk_mul_f32 v[146:147], v[142:143], v[134:135] op_sel:[0,1]
	s_delay_alu instid0(VALU_DEP_1) | instskip(SKIP_1) | instid1(VALU_DEP_1)
	v_pk_fma_f32 v[148:149], v[142:143], v[132:133], v[146:147] op_sel:[0,0,1] op_sel_hi:[1,1,0] neg_lo:[0,0,1] neg_hi:[0,0,1]
	v_pk_fma_f32 v[142:143], v[142:143], v[132:133], v[146:147] op_sel:[0,0,1] op_sel_hi:[1,0,0]
	v_mov_b32_e32 v149, v143
	v_pk_mul_f32 v[142:143], v[144:145], v[134:135] op_sel:[0,1]
	s_delay_alu instid0(VALU_DEP_2) | instskip(NEXT) | instid1(VALU_DEP_2)
	v_pk_add_f32 v[14:15], v[14:15], v[148:149] neg_lo:[0,1] neg_hi:[0,1]
	v_pk_fma_f32 v[146:147], v[144:145], v[132:133], v[142:143] op_sel:[0,0,1] op_sel_hi:[1,1,0] neg_lo:[0,0,1] neg_hi:[0,0,1]
	v_pk_fma_f32 v[142:143], v[144:145], v[132:133], v[142:143] op_sel:[0,0,1] op_sel_hi:[1,0,0]
	s_delay_alu instid0(VALU_DEP_1) | instskip(SKIP_4) | instid1(VALU_DEP_1)
	v_mov_b32_e32 v147, v143
	ds_load_b64 v[142:143], v136 offset:496
	v_pk_add_f32 v[12:13], v[12:13], v[146:147] neg_lo:[0,1] neg_hi:[0,1]
	s_wait_dscnt 0x0
	v_pk_mul_f32 v[134:135], v[142:143], v[134:135] op_sel:[0,1]
	v_pk_fma_f32 v[144:145], v[142:143], v[132:133], v[134:135] op_sel:[0,0,1] op_sel_hi:[1,1,0] neg_lo:[0,0,1] neg_hi:[0,0,1]
	v_pk_fma_f32 v[132:133], v[142:143], v[132:133], v[134:135] op_sel:[0,0,1] op_sel_hi:[1,0,0]
	s_delay_alu instid0(VALU_DEP_1) | instskip(NEXT) | instid1(VALU_DEP_1)
	v_mov_b32_e32 v145, v133
	v_pk_add_f32 v[130:131], v[130:131], v[144:145] neg_lo:[0,1] neg_hi:[0,1]
.LBB124_209:
	s_or_b32 exec_lo, exec_lo, s0
	v_lshl_add_u32 v132, v140, 3, v136
	s_barrier_signal -1
	s_barrier_wait -1
	ds_store_b64 v132, v[64:65]
	s_wait_dscnt 0x0
	s_barrier_signal -1
	s_barrier_wait -1
	ds_load_b64 v[134:135], v136 offset:80
	v_mov_b32_e32 v132, 10
	s_cmp_lt_i32 s18, 12
	s_cbranch_scc1 .LBB124_212
; %bb.210:
	v_add3_u32 v133, v137, 0, 0x58
	v_mov_b32_e32 v132, 10
	s_mov_b32 s0, 11
.LBB124_211:                            ; =>This Inner Loop Header: Depth=1
	ds_load_b64 v[142:143], v133
	s_wait_dscnt 0x1
	v_cmp_gt_f32_e32 vcc_lo, 0, v134
	v_cndmask_b32_e64 v144, v134, -v134, vcc_lo
	v_cmp_gt_f32_e32 vcc_lo, 0, v135
	v_cndmask_b32_e64 v146, v135, -v135, vcc_lo
	s_wait_dscnt 0x0
	v_cmp_gt_f32_e32 vcc_lo, 0, v142
	v_cndmask_b32_e64 v145, v142, -v142, vcc_lo
	v_cmp_gt_f32_e32 vcc_lo, 0, v143
	v_cndmask_b32_e64 v147, v143, -v143, vcc_lo
	s_delay_alu instid0(VALU_DEP_1) | instskip(NEXT) | instid1(VALU_DEP_1)
	v_pk_add_f32 v[144:145], v[144:145], v[146:147]
	v_cmp_lt_f32_e32 vcc_lo, v144, v145
	v_dual_add_nc_u32 v133, 8, v133 :: v_dual_cndmask_b32 v135, v135, v143, vcc_lo
	v_cndmask_b32_e32 v134, v134, v142, vcc_lo
	v_cndmask_b32_e64 v132, v132, s0, vcc_lo
	s_add_co_i32 s0, s0, 1
	s_delay_alu instid0(SALU_CYCLE_1)
	s_cmp_lg_u32 s18, s0
	s_cbranch_scc1 .LBB124_211
.LBB124_212:
	s_wait_dscnt 0x0
	v_cmp_eq_f32_e32 vcc_lo, 0, v134
	v_cmp_eq_f32_e64 s0, 0, v135
	s_and_b32 s0, vcc_lo, s0
	s_delay_alu instid0(SALU_CYCLE_1) | instskip(NEXT) | instid1(SALU_CYCLE_1)
	s_and_saveexec_b32 s1, s0
	s_xor_b32 s0, exec_lo, s1
; %bb.213:
	v_cmp_ne_u32_e32 vcc_lo, 0, v138
	v_cndmask_b32_e32 v138, 11, v138, vcc_lo
; %bb.214:
	s_and_not1_saveexec_b32 s0, s0
	s_cbranch_execz .LBB124_220
; %bb.215:
	v_cmp_ngt_f32_e64 s1, |v134|, |v135|
	s_and_saveexec_b32 s12, s1
	s_delay_alu instid0(SALU_CYCLE_1)
	s_xor_b32 s1, exec_lo, s12
	s_cbranch_execz .LBB124_217
; %bb.216:
	v_div_scale_f32 v133, null, v135, v135, v134
	v_div_scale_f32 v143, vcc_lo, v134, v135, v134
	s_delay_alu instid0(VALU_DEP_2) | instskip(SKIP_1) | instid1(TRANS32_DEP_1)
	v_rcp_f32_e32 v141, v133
	v_nop
	v_fma_f32 v142, -v133, v141, 1.0
	s_delay_alu instid0(VALU_DEP_1) | instskip(NEXT) | instid1(VALU_DEP_1)
	v_fmac_f32_e32 v141, v142, v141
	v_mul_f32_e32 v142, v143, v141
	s_delay_alu instid0(VALU_DEP_1) | instskip(NEXT) | instid1(VALU_DEP_1)
	v_fma_f32 v144, -v133, v142, v143
	v_fmac_f32_e32 v142, v144, v141
	s_delay_alu instid0(VALU_DEP_1) | instskip(NEXT) | instid1(VALU_DEP_1)
	v_fma_f32 v133, -v133, v142, v143
	v_div_fmas_f32 v133, v133, v141, v142
	s_delay_alu instid0(VALU_DEP_1) | instskip(NEXT) | instid1(VALU_DEP_1)
	v_div_fixup_f32 v133, v133, v135, v134
	v_fmac_f32_e32 v135, v134, v133
	s_delay_alu instid0(VALU_DEP_1) | instskip(SKIP_1) | instid1(VALU_DEP_2)
	v_div_scale_f32 v134, null, v135, v135, 1.0
	v_div_scale_f32 v143, vcc_lo, 1.0, v135, 1.0
	v_rcp_f32_e32 v141, v134
	v_nop
	s_delay_alu instid0(TRANS32_DEP_1) | instskip(NEXT) | instid1(VALU_DEP_1)
	v_fma_f32 v142, -v134, v141, 1.0
	v_fmac_f32_e32 v141, v142, v141
	s_delay_alu instid0(VALU_DEP_1) | instskip(NEXT) | instid1(VALU_DEP_1)
	v_mul_f32_e32 v142, v143, v141
	v_fma_f32 v144, -v134, v142, v143
	s_delay_alu instid0(VALU_DEP_1) | instskip(NEXT) | instid1(VALU_DEP_1)
	v_fmac_f32_e32 v142, v144, v141
	v_fma_f32 v134, -v134, v142, v143
	s_delay_alu instid0(VALU_DEP_1) | instskip(NEXT) | instid1(VALU_DEP_1)
	v_div_fmas_f32 v134, v134, v141, v142
	v_div_fixup_f32 v135, v134, v135, 1.0
	s_delay_alu instid0(VALU_DEP_1)
	v_mul_f32_e32 v134, v133, v135
	v_xor_b32_e32 v135, 0x80000000, v135
.LBB124_217:
	s_and_not1_saveexec_b32 s1, s1
	s_cbranch_execz .LBB124_219
; %bb.218:
	s_delay_alu instid0(VALU_DEP_1) | instskip(SKIP_1) | instid1(VALU_DEP_2)
	v_div_scale_f32 v133, null, v134, v134, v135
	v_div_scale_f32 v143, vcc_lo, v135, v134, v135
	v_rcp_f32_e32 v141, v133
	v_nop
	s_delay_alu instid0(TRANS32_DEP_1) | instskip(NEXT) | instid1(VALU_DEP_1)
	v_fma_f32 v142, -v133, v141, 1.0
	v_fmac_f32_e32 v141, v142, v141
	s_delay_alu instid0(VALU_DEP_1) | instskip(NEXT) | instid1(VALU_DEP_1)
	v_mul_f32_e32 v142, v143, v141
	v_fma_f32 v144, -v133, v142, v143
	s_delay_alu instid0(VALU_DEP_1) | instskip(NEXT) | instid1(VALU_DEP_1)
	v_fmac_f32_e32 v142, v144, v141
	v_fma_f32 v133, -v133, v142, v143
	s_delay_alu instid0(VALU_DEP_1) | instskip(NEXT) | instid1(VALU_DEP_1)
	v_div_fmas_f32 v133, v133, v141, v142
	v_div_fixup_f32 v133, v133, v134, v135
	s_delay_alu instid0(VALU_DEP_1) | instskip(NEXT) | instid1(VALU_DEP_1)
	v_fmac_f32_e32 v134, v135, v133
	v_div_scale_f32 v135, null, v134, v134, 1.0
	s_delay_alu instid0(VALU_DEP_1) | instskip(SKIP_1) | instid1(TRANS32_DEP_1)
	v_rcp_f32_e32 v141, v135
	v_nop
	v_fma_f32 v142, -v135, v141, 1.0
	s_delay_alu instid0(VALU_DEP_1) | instskip(SKIP_1) | instid1(VALU_DEP_1)
	v_fmac_f32_e32 v141, v142, v141
	v_div_scale_f32 v142, vcc_lo, 1.0, v134, 1.0
	v_mul_f32_e32 v143, v142, v141
	s_delay_alu instid0(VALU_DEP_1) | instskip(NEXT) | instid1(VALU_DEP_1)
	v_fma_f32 v144, -v135, v143, v142
	v_fmac_f32_e32 v143, v144, v141
	s_delay_alu instid0(VALU_DEP_1) | instskip(NEXT) | instid1(VALU_DEP_1)
	v_fma_f32 v135, -v135, v143, v142
	v_div_fmas_f32 v135, v135, v141, v143
	s_delay_alu instid0(VALU_DEP_1) | instskip(NEXT) | instid1(VALU_DEP_1)
	v_div_fixup_f32 v134, v135, v134, 1.0
	v_mul_f32_e64 v135, v133, -v134
.LBB124_219:
	s_or_b32 exec_lo, exec_lo, s1
.LBB124_220:
	s_delay_alu instid0(SALU_CYCLE_1) | instskip(NEXT) | instid1(SALU_CYCLE_1)
	s_or_b32 exec_lo, exec_lo, s0
	s_mov_b32 s0, exec_lo
	v_cmpx_ne_u32_e64 v140, v132
	s_xor_b32 s0, exec_lo, s0
	s_cbranch_execz .LBB124_226
; %bb.221:
	s_mov_b32 s1, exec_lo
	v_cmpx_eq_u32_e32 10, v140
	s_cbranch_execz .LBB124_225
; %bb.222:
	v_cmp_ne_u32_e32 vcc_lo, 10, v132
	s_xor_b32 s12, s16, -1
	s_delay_alu instid0(SALU_CYCLE_1) | instskip(NEXT) | instid1(SALU_CYCLE_1)
	s_and_b32 s13, s12, vcc_lo
	s_and_saveexec_b32 s12, s13
	s_cbranch_execz .LBB124_224
; %bb.223:
	v_ashrrev_i32_e32 v133, 31, v132
	s_delay_alu instid0(VALU_DEP_1)
	v_lshl_add_u64 v[140:141], v[132:133], 2, v[4:5]
	s_clause 0x1
	global_load_b32 v133, v[140:141], off
	global_load_b32 v139, v[4:5], off offset:40
	s_wait_loadcnt 0x1
	global_store_b32 v[4:5], v133, off offset:40
	s_wait_loadcnt 0x0
	global_store_b32 v[140:141], v139, off
.LBB124_224:
	s_wait_xcnt 0x0
	s_or_b32 exec_lo, exec_lo, s12
	v_dual_mov_b32 v140, v132 :: v_dual_mov_b32 v139, v132
.LBB124_225:
	s_or_b32 exec_lo, exec_lo, s1
.LBB124_226:
	s_and_not1_saveexec_b32 s0, s0
	s_cbranch_execz .LBB124_228
; %bb.227:
	v_mov_b32_e32 v140, 10
	ds_store_2addr_b64 v136, v[62:63], v[112:113] offset0:11 offset1:12
	ds_store_2addr_b64 v136, v[110:111], v[60:61] offset0:13 offset1:14
	;; [unrolled: 1-line block ×26, first 2 shown]
.LBB124_228:
	s_or_b32 exec_lo, exec_lo, s0
	s_delay_alu instid0(SALU_CYCLE_1)
	s_mov_b32 s0, exec_lo
	s_wait_storecnt_dscnt 0x0
	s_barrier_signal -1
	s_barrier_wait -1
	v_cmpx_lt_i32_e32 10, v140
	s_cbranch_execz .LBB124_230
; %bb.229:
	v_pk_mul_f32 v[142:143], v[134:135], v[64:65] op_sel:[1,1] op_sel_hi:[0,1]
	s_delay_alu instid0(VALU_DEP_1)
	v_pk_fma_f32 v[132:133], v[134:135], v[64:65], v[142:143] op_sel_hi:[1,0,1] neg_lo:[0,0,1] neg_hi:[0,0,1]
	v_pk_fma_f32 v[134:135], v[134:135], v[64:65], v[142:143] op_sel_hi:[1,0,1]
	ds_load_2addr_b64 v[142:145], v136 offset0:11 offset1:12
	v_dual_mov_b32 v64, v132 :: v_dual_mov_b32 v65, v135
	s_wait_dscnt 0x0
	v_pk_mul_f32 v[146:147], v[142:143], v[134:135] op_sel:[0,1]
	s_delay_alu instid0(VALU_DEP_1) | instskip(SKIP_1) | instid1(VALU_DEP_1)
	v_pk_fma_f32 v[148:149], v[142:143], v[132:133], v[146:147] op_sel:[0,0,1] op_sel_hi:[1,1,0] neg_lo:[0,0,1] neg_hi:[0,0,1]
	v_pk_fma_f32 v[142:143], v[142:143], v[132:133], v[146:147] op_sel:[0,0,1] op_sel_hi:[1,0,0]
	v_mov_b32_e32 v149, v143
	v_pk_mul_f32 v[142:143], v[144:145], v[134:135] op_sel:[0,1]
	s_delay_alu instid0(VALU_DEP_1) | instskip(SKIP_1) | instid1(VALU_DEP_1)
	v_pk_fma_f32 v[146:147], v[144:145], v[132:133], v[142:143] op_sel:[0,0,1] op_sel_hi:[1,1,0] neg_lo:[0,0,1] neg_hi:[0,0,1]
	v_pk_fma_f32 v[142:143], v[144:145], v[132:133], v[142:143] op_sel:[0,0,1] op_sel_hi:[1,0,0]
	v_mov_b32_e32 v147, v143
	ds_load_2addr_b64 v[142:145], v136 offset0:13 offset1:14
	v_pk_add_f32 v[62:63], v[62:63], v[148:149] neg_lo:[0,1] neg_hi:[0,1]
	v_pk_add_f32 v[112:113], v[112:113], v[146:147] neg_lo:[0,1] neg_hi:[0,1]
	s_wait_dscnt 0x0
	v_pk_mul_f32 v[146:147], v[142:143], v[134:135] op_sel:[0,1]
	s_delay_alu instid0(VALU_DEP_1) | instskip(SKIP_2) | instid1(VALU_DEP_2)
	v_pk_fma_f32 v[148:149], v[142:143], v[132:133], v[146:147] op_sel:[0,0,1] op_sel_hi:[1,1,0] neg_lo:[0,0,1] neg_hi:[0,0,1]
	v_pk_fma_f32 v[142:143], v[142:143], v[132:133], v[146:147] op_sel:[0,0,1] op_sel_hi:[1,0,0]
	v_dual_mul_f32 v146, v145, v135 :: v_dual_mov_b32 v142, v145
	v_dual_mov_b32 v149, v143 :: v_dual_mov_b32 v143, v144
	s_delay_alu instid0(VALU_DEP_2) | instskip(SKIP_1) | instid1(VALU_DEP_3)
	v_pk_fma_f32 v[146:147], v[144:145], v[64:65], v[146:147] op_sel_hi:[1,1,0] neg_lo:[0,0,1] neg_hi:[0,0,1]
	v_mul_f32_e32 v144, v145, v132
	v_pk_add_f32 v[110:111], v[110:111], v[148:149] neg_lo:[0,1] neg_hi:[0,1]
	s_delay_alu instid0(VALU_DEP_2) | instskip(NEXT) | instid1(VALU_DEP_1)
	v_pk_fma_f32 v[142:143], v[142:143], v[64:65], v[144:145] op_sel_hi:[1,1,0]
	v_mov_b32_e32 v147, v143
	ds_load_2addr_b64 v[142:145], v136 offset0:15 offset1:16
	v_pk_add_f32 v[60:61], v[60:61], v[146:147] neg_lo:[0,1] neg_hi:[0,1]
	s_wait_dscnt 0x0
	v_pk_mul_f32 v[146:147], v[142:143], v[134:135] op_sel:[0,1]
	s_delay_alu instid0(VALU_DEP_1) | instskip(SKIP_1) | instid1(VALU_DEP_1)
	v_pk_fma_f32 v[148:149], v[142:143], v[132:133], v[146:147] op_sel:[0,0,1] op_sel_hi:[1,1,0] neg_lo:[0,0,1] neg_hi:[0,0,1]
	v_pk_fma_f32 v[142:143], v[142:143], v[132:133], v[146:147] op_sel:[0,0,1] op_sel_hi:[1,0,0]
	v_mov_b32_e32 v149, v143
	v_pk_mul_f32 v[142:143], v[144:145], v[134:135] op_sel:[0,1]
	s_delay_alu instid0(VALU_DEP_1) | instskip(SKIP_1) | instid1(VALU_DEP_1)
	v_pk_fma_f32 v[146:147], v[144:145], v[132:133], v[142:143] op_sel:[0,0,1] op_sel_hi:[1,1,0] neg_lo:[0,0,1] neg_hi:[0,0,1]
	v_pk_fma_f32 v[142:143], v[144:145], v[132:133], v[142:143] op_sel:[0,0,1] op_sel_hi:[1,0,0]
	v_mov_b32_e32 v147, v143
	ds_load_2addr_b64 v[142:145], v136 offset0:17 offset1:18
	v_pk_add_f32 v[58:59], v[58:59], v[148:149] neg_lo:[0,1] neg_hi:[0,1]
	v_pk_add_f32 v[108:109], v[108:109], v[146:147] neg_lo:[0,1] neg_hi:[0,1]
	s_wait_dscnt 0x0
	v_pk_mul_f32 v[146:147], v[142:143], v[134:135] op_sel:[0,1]
	s_delay_alu instid0(VALU_DEP_1) | instskip(SKIP_1) | instid1(VALU_DEP_1)
	v_pk_fma_f32 v[148:149], v[142:143], v[132:133], v[146:147] op_sel:[0,0,1] op_sel_hi:[1,1,0] neg_lo:[0,0,1] neg_hi:[0,0,1]
	v_pk_fma_f32 v[142:143], v[142:143], v[132:133], v[146:147] op_sel:[0,0,1] op_sel_hi:[1,0,0]
	v_mov_b32_e32 v149, v143
	v_pk_mul_f32 v[142:143], v[144:145], v[134:135] op_sel:[0,1]
	s_delay_alu instid0(VALU_DEP_1) | instskip(SKIP_1) | instid1(VALU_DEP_1)
	v_pk_fma_f32 v[146:147], v[144:145], v[132:133], v[142:143] op_sel:[0,0,1] op_sel_hi:[1,1,0] neg_lo:[0,0,1] neg_hi:[0,0,1]
	v_pk_fma_f32 v[142:143], v[144:145], v[132:133], v[142:143] op_sel:[0,0,1] op_sel_hi:[1,0,0]
	v_mov_b32_e32 v147, v143
	ds_load_2addr_b64 v[142:145], v136 offset0:19 offset1:20
	v_pk_add_f32 v[106:107], v[106:107], v[148:149] neg_lo:[0,1] neg_hi:[0,1]
	v_pk_add_f32 v[56:57], v[56:57], v[146:147] neg_lo:[0,1] neg_hi:[0,1]
	s_wait_dscnt 0x0
	v_dual_mul_f32 v146, v143, v135 :: v_dual_mul_f32 v148, v143, v132
	s_delay_alu instid0(VALU_DEP_1) | instskip(NEXT) | instid1(VALU_DEP_2)
	v_pk_fma_f32 v[146:147], v[142:143], v[64:65], v[146:147] op_sel_hi:[1,1,0] neg_lo:[0,0,1] neg_hi:[0,0,1]
	v_pk_fma_f32 v[142:143], v[142:143], v[64:65], v[148:149] op_sel:[1,0,0] op_sel_hi:[0,1,0]
	s_delay_alu instid0(VALU_DEP_1) | instskip(SKIP_1) | instid1(VALU_DEP_2)
	v_mov_b32_e32 v147, v143
	v_pk_mul_f32 v[142:143], v[144:145], v[134:135] op_sel:[0,1]
	v_pk_add_f32 v[54:55], v[54:55], v[146:147] neg_lo:[0,1] neg_hi:[0,1]
	s_delay_alu instid0(VALU_DEP_2) | instskip(SKIP_1) | instid1(VALU_DEP_1)
	v_pk_fma_f32 v[146:147], v[144:145], v[132:133], v[142:143] op_sel:[0,0,1] op_sel_hi:[1,1,0] neg_lo:[0,0,1] neg_hi:[0,0,1]
	v_pk_fma_f32 v[142:143], v[144:145], v[132:133], v[142:143] op_sel:[0,0,1] op_sel_hi:[1,0,0]
	v_mov_b32_e32 v147, v143
	ds_load_2addr_b64 v[142:145], v136 offset0:21 offset1:22
	v_pk_add_f32 v[104:105], v[104:105], v[146:147] neg_lo:[0,1] neg_hi:[0,1]
	s_wait_dscnt 0x0
	v_pk_mul_f32 v[146:147], v[142:143], v[134:135] op_sel:[0,1]
	s_delay_alu instid0(VALU_DEP_1) | instskip(SKIP_1) | instid1(VALU_DEP_1)
	v_pk_fma_f32 v[148:149], v[142:143], v[132:133], v[146:147] op_sel:[0,0,1] op_sel_hi:[1,1,0] neg_lo:[0,0,1] neg_hi:[0,0,1]
	v_pk_fma_f32 v[142:143], v[142:143], v[132:133], v[146:147] op_sel:[0,0,1] op_sel_hi:[1,0,0]
	v_mov_b32_e32 v149, v143
	v_pk_mul_f32 v[142:143], v[144:145], v[134:135] op_sel:[0,1]
	s_delay_alu instid0(VALU_DEP_2) | instskip(NEXT) | instid1(VALU_DEP_2)
	v_pk_add_f32 v[102:103], v[102:103], v[148:149] neg_lo:[0,1] neg_hi:[0,1]
	v_pk_fma_f32 v[146:147], v[144:145], v[132:133], v[142:143] op_sel:[0,0,1] op_sel_hi:[1,1,0] neg_lo:[0,0,1] neg_hi:[0,0,1]
	v_pk_fma_f32 v[142:143], v[144:145], v[132:133], v[142:143] op_sel:[0,0,1] op_sel_hi:[1,0,0]
	s_delay_alu instid0(VALU_DEP_1) | instskip(SKIP_4) | instid1(VALU_DEP_1)
	v_mov_b32_e32 v147, v143
	ds_load_2addr_b64 v[142:145], v136 offset0:23 offset1:24
	v_pk_add_f32 v[52:53], v[52:53], v[146:147] neg_lo:[0,1] neg_hi:[0,1]
	s_wait_dscnt 0x0
	v_pk_mul_f32 v[146:147], v[142:143], v[134:135] op_sel:[0,1]
	v_pk_fma_f32 v[148:149], v[142:143], v[132:133], v[146:147] op_sel:[0,0,1] op_sel_hi:[1,1,0] neg_lo:[0,0,1] neg_hi:[0,0,1]
	v_pk_fma_f32 v[142:143], v[142:143], v[132:133], v[146:147] op_sel:[0,0,1] op_sel_hi:[1,0,0]
	v_dual_mul_f32 v146, v145, v135 :: v_dual_mov_b32 v142, v145
	s_delay_alu instid0(VALU_DEP_2) | instskip(NEXT) | instid1(VALU_DEP_2)
	v_dual_mov_b32 v149, v143 :: v_dual_mov_b32 v143, v144
	v_pk_fma_f32 v[146:147], v[144:145], v[64:65], v[146:147] op_sel_hi:[1,1,0] neg_lo:[0,0,1] neg_hi:[0,0,1]
	v_mul_f32_e32 v144, v145, v132
	s_delay_alu instid0(VALU_DEP_3) | instskip(NEXT) | instid1(VALU_DEP_2)
	v_pk_add_f32 v[50:51], v[50:51], v[148:149] neg_lo:[0,1] neg_hi:[0,1]
	v_pk_fma_f32 v[142:143], v[142:143], v[64:65], v[144:145] op_sel_hi:[1,1,0]
	s_delay_alu instid0(VALU_DEP_1) | instskip(SKIP_4) | instid1(VALU_DEP_1)
	v_mov_b32_e32 v147, v143
	ds_load_2addr_b64 v[142:145], v136 offset0:25 offset1:26
	v_pk_add_f32 v[100:101], v[100:101], v[146:147] neg_lo:[0,1] neg_hi:[0,1]
	s_wait_dscnt 0x0
	v_pk_mul_f32 v[146:147], v[142:143], v[134:135] op_sel:[0,1]
	v_pk_fma_f32 v[148:149], v[142:143], v[132:133], v[146:147] op_sel:[0,0,1] op_sel_hi:[1,1,0] neg_lo:[0,0,1] neg_hi:[0,0,1]
	v_pk_fma_f32 v[142:143], v[142:143], v[132:133], v[146:147] op_sel:[0,0,1] op_sel_hi:[1,0,0]
	s_delay_alu instid0(VALU_DEP_1) | instskip(SKIP_1) | instid1(VALU_DEP_1)
	v_mov_b32_e32 v149, v143
	v_pk_mul_f32 v[142:143], v[144:145], v[134:135] op_sel:[0,1]
	v_pk_fma_f32 v[146:147], v[144:145], v[132:133], v[142:143] op_sel:[0,0,1] op_sel_hi:[1,1,0] neg_lo:[0,0,1] neg_hi:[0,0,1]
	v_pk_fma_f32 v[142:143], v[144:145], v[132:133], v[142:143] op_sel:[0,0,1] op_sel_hi:[1,0,0]
	s_delay_alu instid0(VALU_DEP_1)
	v_mov_b32_e32 v147, v143
	ds_load_2addr_b64 v[142:145], v136 offset0:27 offset1:28
	v_pk_add_f32 v[98:99], v[98:99], v[148:149] neg_lo:[0,1] neg_hi:[0,1]
	v_pk_add_f32 v[48:49], v[48:49], v[146:147] neg_lo:[0,1] neg_hi:[0,1]
	s_wait_dscnt 0x0
	v_pk_mul_f32 v[146:147], v[142:143], v[134:135] op_sel:[0,1]
	s_delay_alu instid0(VALU_DEP_1) | instskip(SKIP_1) | instid1(VALU_DEP_1)
	v_pk_fma_f32 v[148:149], v[142:143], v[132:133], v[146:147] op_sel:[0,0,1] op_sel_hi:[1,1,0] neg_lo:[0,0,1] neg_hi:[0,0,1]
	v_pk_fma_f32 v[142:143], v[142:143], v[132:133], v[146:147] op_sel:[0,0,1] op_sel_hi:[1,0,0]
	v_mov_b32_e32 v149, v143
	v_pk_mul_f32 v[142:143], v[144:145], v[134:135] op_sel:[0,1]
	s_delay_alu instid0(VALU_DEP_1) | instskip(SKIP_1) | instid1(VALU_DEP_1)
	v_pk_fma_f32 v[146:147], v[144:145], v[132:133], v[142:143] op_sel:[0,0,1] op_sel_hi:[1,1,0] neg_lo:[0,0,1] neg_hi:[0,0,1]
	v_pk_fma_f32 v[142:143], v[144:145], v[132:133], v[142:143] op_sel:[0,0,1] op_sel_hi:[1,0,0]
	v_mov_b32_e32 v147, v143
	ds_load_2addr_b64 v[142:145], v136 offset0:29 offset1:30
	v_pk_add_f32 v[46:47], v[46:47], v[148:149] neg_lo:[0,1] neg_hi:[0,1]
	v_pk_add_f32 v[96:97], v[96:97], v[146:147] neg_lo:[0,1] neg_hi:[0,1]
	s_wait_dscnt 0x0
	v_dual_mul_f32 v146, v143, v135 :: v_dual_mul_f32 v148, v143, v132
	s_delay_alu instid0(VALU_DEP_1) | instskip(NEXT) | instid1(VALU_DEP_2)
	v_pk_fma_f32 v[146:147], v[142:143], v[64:65], v[146:147] op_sel_hi:[1,1,0] neg_lo:[0,0,1] neg_hi:[0,0,1]
	v_pk_fma_f32 v[142:143], v[142:143], v[64:65], v[148:149] op_sel:[1,0,0] op_sel_hi:[0,1,0]
	s_delay_alu instid0(VALU_DEP_1) | instskip(SKIP_1) | instid1(VALU_DEP_2)
	v_mov_b32_e32 v147, v143
	v_pk_mul_f32 v[142:143], v[144:145], v[134:135] op_sel:[0,1]
	v_pk_add_f32 v[94:95], v[94:95], v[146:147] neg_lo:[0,1] neg_hi:[0,1]
	s_delay_alu instid0(VALU_DEP_2) | instskip(SKIP_1) | instid1(VALU_DEP_1)
	v_pk_fma_f32 v[146:147], v[144:145], v[132:133], v[142:143] op_sel:[0,0,1] op_sel_hi:[1,1,0] neg_lo:[0,0,1] neg_hi:[0,0,1]
	v_pk_fma_f32 v[142:143], v[144:145], v[132:133], v[142:143] op_sel:[0,0,1] op_sel_hi:[1,0,0]
	v_mov_b32_e32 v147, v143
	ds_load_2addr_b64 v[142:145], v136 offset0:31 offset1:32
	v_pk_add_f32 v[44:45], v[44:45], v[146:147] neg_lo:[0,1] neg_hi:[0,1]
	s_wait_dscnt 0x0
	v_pk_mul_f32 v[146:147], v[142:143], v[134:135] op_sel:[0,1]
	s_delay_alu instid0(VALU_DEP_1) | instskip(SKIP_1) | instid1(VALU_DEP_1)
	v_pk_fma_f32 v[148:149], v[142:143], v[132:133], v[146:147] op_sel:[0,0,1] op_sel_hi:[1,1,0] neg_lo:[0,0,1] neg_hi:[0,0,1]
	v_pk_fma_f32 v[142:143], v[142:143], v[132:133], v[146:147] op_sel:[0,0,1] op_sel_hi:[1,0,0]
	v_mov_b32_e32 v149, v143
	v_pk_mul_f32 v[142:143], v[144:145], v[134:135] op_sel:[0,1]
	s_delay_alu instid0(VALU_DEP_2) | instskip(NEXT) | instid1(VALU_DEP_2)
	v_pk_add_f32 v[42:43], v[42:43], v[148:149] neg_lo:[0,1] neg_hi:[0,1]
	v_pk_fma_f32 v[146:147], v[144:145], v[132:133], v[142:143] op_sel:[0,0,1] op_sel_hi:[1,1,0] neg_lo:[0,0,1] neg_hi:[0,0,1]
	v_pk_fma_f32 v[142:143], v[144:145], v[132:133], v[142:143] op_sel:[0,0,1] op_sel_hi:[1,0,0]
	s_delay_alu instid0(VALU_DEP_1) | instskip(SKIP_4) | instid1(VALU_DEP_1)
	v_mov_b32_e32 v147, v143
	ds_load_2addr_b64 v[142:145], v136 offset0:33 offset1:34
	v_pk_add_f32 v[92:93], v[92:93], v[146:147] neg_lo:[0,1] neg_hi:[0,1]
	s_wait_dscnt 0x0
	v_pk_mul_f32 v[146:147], v[142:143], v[134:135] op_sel:[0,1]
	v_pk_fma_f32 v[148:149], v[142:143], v[132:133], v[146:147] op_sel:[0,0,1] op_sel_hi:[1,1,0] neg_lo:[0,0,1] neg_hi:[0,0,1]
	v_pk_fma_f32 v[142:143], v[142:143], v[132:133], v[146:147] op_sel:[0,0,1] op_sel_hi:[1,0,0]
	v_dual_mul_f32 v146, v145, v135 :: v_dual_mov_b32 v142, v145
	s_delay_alu instid0(VALU_DEP_2) | instskip(NEXT) | instid1(VALU_DEP_2)
	v_dual_mov_b32 v149, v143 :: v_dual_mov_b32 v143, v144
	v_pk_fma_f32 v[146:147], v[144:145], v[64:65], v[146:147] op_sel_hi:[1,1,0] neg_lo:[0,0,1] neg_hi:[0,0,1]
	v_mul_f32_e32 v144, v145, v132
	s_delay_alu instid0(VALU_DEP_3) | instskip(NEXT) | instid1(VALU_DEP_2)
	v_pk_add_f32 v[90:91], v[90:91], v[148:149] neg_lo:[0,1] neg_hi:[0,1]
	v_pk_fma_f32 v[142:143], v[142:143], v[64:65], v[144:145] op_sel_hi:[1,1,0]
	s_delay_alu instid0(VALU_DEP_1) | instskip(SKIP_4) | instid1(VALU_DEP_1)
	v_mov_b32_e32 v147, v143
	ds_load_2addr_b64 v[142:145], v136 offset0:35 offset1:36
	v_pk_add_f32 v[40:41], v[40:41], v[146:147] neg_lo:[0,1] neg_hi:[0,1]
	s_wait_dscnt 0x0
	v_pk_mul_f32 v[146:147], v[142:143], v[134:135] op_sel:[0,1]
	v_pk_fma_f32 v[148:149], v[142:143], v[132:133], v[146:147] op_sel:[0,0,1] op_sel_hi:[1,1,0] neg_lo:[0,0,1] neg_hi:[0,0,1]
	v_pk_fma_f32 v[142:143], v[142:143], v[132:133], v[146:147] op_sel:[0,0,1] op_sel_hi:[1,0,0]
	s_delay_alu instid0(VALU_DEP_1) | instskip(SKIP_1) | instid1(VALU_DEP_1)
	v_mov_b32_e32 v149, v143
	v_pk_mul_f32 v[142:143], v[144:145], v[134:135] op_sel:[0,1]
	v_pk_fma_f32 v[146:147], v[144:145], v[132:133], v[142:143] op_sel:[0,0,1] op_sel_hi:[1,1,0] neg_lo:[0,0,1] neg_hi:[0,0,1]
	v_pk_fma_f32 v[142:143], v[144:145], v[132:133], v[142:143] op_sel:[0,0,1] op_sel_hi:[1,0,0]
	s_delay_alu instid0(VALU_DEP_1)
	v_mov_b32_e32 v147, v143
	ds_load_2addr_b64 v[142:145], v136 offset0:37 offset1:38
	v_pk_add_f32 v[38:39], v[38:39], v[148:149] neg_lo:[0,1] neg_hi:[0,1]
	v_pk_add_f32 v[88:89], v[88:89], v[146:147] neg_lo:[0,1] neg_hi:[0,1]
	s_wait_dscnt 0x0
	v_pk_mul_f32 v[146:147], v[142:143], v[134:135] op_sel:[0,1]
	s_delay_alu instid0(VALU_DEP_1) | instskip(SKIP_1) | instid1(VALU_DEP_1)
	v_pk_fma_f32 v[148:149], v[142:143], v[132:133], v[146:147] op_sel:[0,0,1] op_sel_hi:[1,1,0] neg_lo:[0,0,1] neg_hi:[0,0,1]
	v_pk_fma_f32 v[142:143], v[142:143], v[132:133], v[146:147] op_sel:[0,0,1] op_sel_hi:[1,0,0]
	v_mov_b32_e32 v149, v143
	v_pk_mul_f32 v[142:143], v[144:145], v[134:135] op_sel:[0,1]
	s_delay_alu instid0(VALU_DEP_1) | instskip(SKIP_1) | instid1(VALU_DEP_1)
	v_pk_fma_f32 v[146:147], v[144:145], v[132:133], v[142:143] op_sel:[0,0,1] op_sel_hi:[1,1,0] neg_lo:[0,0,1] neg_hi:[0,0,1]
	v_pk_fma_f32 v[142:143], v[144:145], v[132:133], v[142:143] op_sel:[0,0,1] op_sel_hi:[1,0,0]
	v_mov_b32_e32 v147, v143
	ds_load_2addr_b64 v[142:145], v136 offset0:39 offset1:40
	v_pk_add_f32 v[86:87], v[86:87], v[148:149] neg_lo:[0,1] neg_hi:[0,1]
	v_pk_add_f32 v[36:37], v[36:37], v[146:147] neg_lo:[0,1] neg_hi:[0,1]
	s_wait_dscnt 0x0
	v_dual_mul_f32 v146, v143, v135 :: v_dual_mul_f32 v148, v143, v132
	s_delay_alu instid0(VALU_DEP_1) | instskip(NEXT) | instid1(VALU_DEP_2)
	v_pk_fma_f32 v[146:147], v[142:143], v[64:65], v[146:147] op_sel_hi:[1,1,0] neg_lo:[0,0,1] neg_hi:[0,0,1]
	v_pk_fma_f32 v[142:143], v[142:143], v[64:65], v[148:149] op_sel:[1,0,0] op_sel_hi:[0,1,0]
	s_delay_alu instid0(VALU_DEP_1) | instskip(SKIP_1) | instid1(VALU_DEP_2)
	v_mov_b32_e32 v147, v143
	v_pk_mul_f32 v[142:143], v[144:145], v[134:135] op_sel:[0,1]
	v_pk_add_f32 v[32:33], v[32:33], v[146:147] neg_lo:[0,1] neg_hi:[0,1]
	s_delay_alu instid0(VALU_DEP_2) | instskip(SKIP_1) | instid1(VALU_DEP_1)
	v_pk_fma_f32 v[146:147], v[144:145], v[132:133], v[142:143] op_sel:[0,0,1] op_sel_hi:[1,1,0] neg_lo:[0,0,1] neg_hi:[0,0,1]
	v_pk_fma_f32 v[142:143], v[144:145], v[132:133], v[142:143] op_sel:[0,0,1] op_sel_hi:[1,0,0]
	v_mov_b32_e32 v147, v143
	ds_load_2addr_b64 v[142:145], v136 offset0:41 offset1:42
	v_pk_add_f32 v[84:85], v[84:85], v[146:147] neg_lo:[0,1] neg_hi:[0,1]
	s_wait_dscnt 0x0
	v_pk_mul_f32 v[146:147], v[142:143], v[134:135] op_sel:[0,1]
	s_delay_alu instid0(VALU_DEP_1) | instskip(SKIP_1) | instid1(VALU_DEP_1)
	v_pk_fma_f32 v[148:149], v[142:143], v[132:133], v[146:147] op_sel:[0,0,1] op_sel_hi:[1,1,0] neg_lo:[0,0,1] neg_hi:[0,0,1]
	v_pk_fma_f32 v[142:143], v[142:143], v[132:133], v[146:147] op_sel:[0,0,1] op_sel_hi:[1,0,0]
	v_mov_b32_e32 v149, v143
	v_pk_mul_f32 v[142:143], v[144:145], v[134:135] op_sel:[0,1]
	s_delay_alu instid0(VALU_DEP_2) | instskip(NEXT) | instid1(VALU_DEP_2)
	v_pk_add_f32 v[82:83], v[82:83], v[148:149] neg_lo:[0,1] neg_hi:[0,1]
	v_pk_fma_f32 v[146:147], v[144:145], v[132:133], v[142:143] op_sel:[0,0,1] op_sel_hi:[1,1,0] neg_lo:[0,0,1] neg_hi:[0,0,1]
	v_pk_fma_f32 v[142:143], v[144:145], v[132:133], v[142:143] op_sel:[0,0,1] op_sel_hi:[1,0,0]
	s_delay_alu instid0(VALU_DEP_1) | instskip(SKIP_4) | instid1(VALU_DEP_1)
	v_mov_b32_e32 v147, v143
	ds_load_2addr_b64 v[142:145], v136 offset0:43 offset1:44
	v_pk_add_f32 v[24:25], v[24:25], v[146:147] neg_lo:[0,1] neg_hi:[0,1]
	s_wait_dscnt 0x0
	v_pk_mul_f32 v[146:147], v[142:143], v[134:135] op_sel:[0,1]
	v_pk_fma_f32 v[148:149], v[142:143], v[132:133], v[146:147] op_sel:[0,0,1] op_sel_hi:[1,1,0] neg_lo:[0,0,1] neg_hi:[0,0,1]
	v_pk_fma_f32 v[142:143], v[142:143], v[132:133], v[146:147] op_sel:[0,0,1] op_sel_hi:[1,0,0]
	v_dual_mul_f32 v146, v145, v135 :: v_dual_mov_b32 v142, v145
	s_delay_alu instid0(VALU_DEP_2) | instskip(NEXT) | instid1(VALU_DEP_2)
	v_dual_mov_b32 v149, v143 :: v_dual_mov_b32 v143, v144
	v_pk_fma_f32 v[146:147], v[144:145], v[64:65], v[146:147] op_sel_hi:[1,1,0] neg_lo:[0,0,1] neg_hi:[0,0,1]
	v_mul_f32_e32 v144, v145, v132
	s_delay_alu instid0(VALU_DEP_3) | instskip(NEXT) | instid1(VALU_DEP_2)
	v_pk_add_f32 v[22:23], v[22:23], v[148:149] neg_lo:[0,1] neg_hi:[0,1]
	v_pk_fma_f32 v[142:143], v[142:143], v[64:65], v[144:145] op_sel_hi:[1,1,0]
	s_delay_alu instid0(VALU_DEP_1) | instskip(SKIP_4) | instid1(VALU_DEP_1)
	v_mov_b32_e32 v147, v143
	ds_load_2addr_b64 v[142:145], v136 offset0:45 offset1:46
	v_pk_add_f32 v[80:81], v[80:81], v[146:147] neg_lo:[0,1] neg_hi:[0,1]
	s_wait_dscnt 0x0
	v_pk_mul_f32 v[146:147], v[142:143], v[134:135] op_sel:[0,1]
	v_pk_fma_f32 v[148:149], v[142:143], v[132:133], v[146:147] op_sel:[0,0,1] op_sel_hi:[1,1,0] neg_lo:[0,0,1] neg_hi:[0,0,1]
	v_pk_fma_f32 v[142:143], v[142:143], v[132:133], v[146:147] op_sel:[0,0,1] op_sel_hi:[1,0,0]
	s_delay_alu instid0(VALU_DEP_1) | instskip(SKIP_1) | instid1(VALU_DEP_1)
	v_mov_b32_e32 v149, v143
	v_pk_mul_f32 v[142:143], v[144:145], v[134:135] op_sel:[0,1]
	v_pk_fma_f32 v[146:147], v[144:145], v[132:133], v[142:143] op_sel:[0,0,1] op_sel_hi:[1,1,0] neg_lo:[0,0,1] neg_hi:[0,0,1]
	v_pk_fma_f32 v[142:143], v[144:145], v[132:133], v[142:143] op_sel:[0,0,1] op_sel_hi:[1,0,0]
	s_delay_alu instid0(VALU_DEP_1)
	v_mov_b32_e32 v147, v143
	ds_load_2addr_b64 v[142:145], v136 offset0:47 offset1:48
	v_pk_add_f32 v[78:79], v[78:79], v[148:149] neg_lo:[0,1] neg_hi:[0,1]
	v_pk_add_f32 v[20:21], v[20:21], v[146:147] neg_lo:[0,1] neg_hi:[0,1]
	s_wait_dscnt 0x0
	v_pk_mul_f32 v[146:147], v[142:143], v[134:135] op_sel:[0,1]
	s_delay_alu instid0(VALU_DEP_1) | instskip(SKIP_1) | instid1(VALU_DEP_1)
	v_pk_fma_f32 v[148:149], v[142:143], v[132:133], v[146:147] op_sel:[0,0,1] op_sel_hi:[1,1,0] neg_lo:[0,0,1] neg_hi:[0,0,1]
	v_pk_fma_f32 v[142:143], v[142:143], v[132:133], v[146:147] op_sel:[0,0,1] op_sel_hi:[1,0,0]
	v_mov_b32_e32 v149, v143
	v_pk_mul_f32 v[142:143], v[144:145], v[134:135] op_sel:[0,1]
	s_delay_alu instid0(VALU_DEP_1) | instskip(SKIP_1) | instid1(VALU_DEP_1)
	v_pk_fma_f32 v[146:147], v[144:145], v[132:133], v[142:143] op_sel:[0,0,1] op_sel_hi:[1,1,0] neg_lo:[0,0,1] neg_hi:[0,0,1]
	v_pk_fma_f32 v[142:143], v[144:145], v[132:133], v[142:143] op_sel:[0,0,1] op_sel_hi:[1,0,0]
	v_mov_b32_e32 v147, v143
	ds_load_2addr_b64 v[142:145], v136 offset0:49 offset1:50
	v_pk_add_f32 v[18:19], v[18:19], v[148:149] neg_lo:[0,1] neg_hi:[0,1]
	v_pk_add_f32 v[76:77], v[76:77], v[146:147] neg_lo:[0,1] neg_hi:[0,1]
	s_wait_dscnt 0x0
	v_dual_mul_f32 v146, v143, v135 :: v_dual_mul_f32 v148, v143, v132
	s_delay_alu instid0(VALU_DEP_1) | instskip(NEXT) | instid1(VALU_DEP_2)
	v_pk_fma_f32 v[146:147], v[142:143], v[64:65], v[146:147] op_sel_hi:[1,1,0] neg_lo:[0,0,1] neg_hi:[0,0,1]
	v_pk_fma_f32 v[142:143], v[142:143], v[64:65], v[148:149] op_sel:[1,0,0] op_sel_hi:[0,1,0]
	s_delay_alu instid0(VALU_DEP_1) | instskip(SKIP_1) | instid1(VALU_DEP_2)
	v_mov_b32_e32 v147, v143
	v_pk_mul_f32 v[142:143], v[144:145], v[134:135] op_sel:[0,1]
	v_pk_add_f32 v[74:75], v[74:75], v[146:147] neg_lo:[0,1] neg_hi:[0,1]
	s_delay_alu instid0(VALU_DEP_2) | instskip(SKIP_1) | instid1(VALU_DEP_1)
	v_pk_fma_f32 v[146:147], v[144:145], v[132:133], v[142:143] op_sel:[0,0,1] op_sel_hi:[1,1,0] neg_lo:[0,0,1] neg_hi:[0,0,1]
	v_pk_fma_f32 v[142:143], v[144:145], v[132:133], v[142:143] op_sel:[0,0,1] op_sel_hi:[1,0,0]
	v_mov_b32_e32 v147, v143
	ds_load_2addr_b64 v[142:145], v136 offset0:51 offset1:52
	v_pk_add_f32 v[16:17], v[16:17], v[146:147] neg_lo:[0,1] neg_hi:[0,1]
	s_wait_dscnt 0x0
	v_pk_mul_f32 v[146:147], v[142:143], v[134:135] op_sel:[0,1]
	s_delay_alu instid0(VALU_DEP_1) | instskip(SKIP_1) | instid1(VALU_DEP_1)
	v_pk_fma_f32 v[148:149], v[142:143], v[132:133], v[146:147] op_sel:[0,0,1] op_sel_hi:[1,1,0] neg_lo:[0,0,1] neg_hi:[0,0,1]
	v_pk_fma_f32 v[142:143], v[142:143], v[132:133], v[146:147] op_sel:[0,0,1] op_sel_hi:[1,0,0]
	v_mov_b32_e32 v149, v143
	v_pk_mul_f32 v[142:143], v[144:145], v[134:135] op_sel:[0,1]
	s_delay_alu instid0(VALU_DEP_2) | instskip(NEXT) | instid1(VALU_DEP_2)
	v_pk_add_f32 v[28:29], v[28:29], v[148:149] neg_lo:[0,1] neg_hi:[0,1]
	v_pk_fma_f32 v[146:147], v[144:145], v[132:133], v[142:143] op_sel:[0,0,1] op_sel_hi:[1,1,0] neg_lo:[0,0,1] neg_hi:[0,0,1]
	v_pk_fma_f32 v[142:143], v[144:145], v[132:133], v[142:143] op_sel:[0,0,1] op_sel_hi:[1,0,0]
	s_delay_alu instid0(VALU_DEP_1) | instskip(SKIP_4) | instid1(VALU_DEP_1)
	v_mov_b32_e32 v147, v143
	ds_load_2addr_b64 v[142:145], v136 offset0:53 offset1:54
	v_pk_add_f32 v[68:69], v[68:69], v[146:147] neg_lo:[0,1] neg_hi:[0,1]
	s_wait_dscnt 0x0
	v_pk_mul_f32 v[146:147], v[142:143], v[134:135] op_sel:[0,1]
	v_pk_fma_f32 v[148:149], v[142:143], v[132:133], v[146:147] op_sel:[0,0,1] op_sel_hi:[1,1,0] neg_lo:[0,0,1] neg_hi:[0,0,1]
	v_pk_fma_f32 v[142:143], v[142:143], v[132:133], v[146:147] op_sel:[0,0,1] op_sel_hi:[1,0,0]
	v_dual_mul_f32 v146, v145, v135 :: v_dual_mov_b32 v142, v145
	s_delay_alu instid0(VALU_DEP_2) | instskip(NEXT) | instid1(VALU_DEP_2)
	v_dual_mov_b32 v149, v143 :: v_dual_mov_b32 v143, v144
	v_pk_fma_f32 v[146:147], v[144:145], v[64:65], v[146:147] op_sel_hi:[1,1,0] neg_lo:[0,0,1] neg_hi:[0,0,1]
	v_mul_f32_e32 v144, v145, v132
	s_delay_alu instid0(VALU_DEP_3) | instskip(NEXT) | instid1(VALU_DEP_2)
	v_pk_add_f32 v[66:67], v[66:67], v[148:149] neg_lo:[0,1] neg_hi:[0,1]
	v_pk_fma_f32 v[142:143], v[142:143], v[64:65], v[144:145] op_sel_hi:[1,1,0]
	s_delay_alu instid0(VALU_DEP_1) | instskip(SKIP_4) | instid1(VALU_DEP_1)
	v_mov_b32_e32 v147, v143
	ds_load_2addr_b64 v[142:145], v136 offset0:55 offset1:56
	v_pk_add_f32 v[10:11], v[10:11], v[146:147] neg_lo:[0,1] neg_hi:[0,1]
	s_wait_dscnt 0x0
	v_pk_mul_f32 v[146:147], v[142:143], v[134:135] op_sel:[0,1]
	v_pk_fma_f32 v[148:149], v[142:143], v[132:133], v[146:147] op_sel:[0,0,1] op_sel_hi:[1,1,0] neg_lo:[0,0,1] neg_hi:[0,0,1]
	v_pk_fma_f32 v[142:143], v[142:143], v[132:133], v[146:147] op_sel:[0,0,1] op_sel_hi:[1,0,0]
	s_delay_alu instid0(VALU_DEP_1) | instskip(SKIP_1) | instid1(VALU_DEP_1)
	v_mov_b32_e32 v149, v143
	v_pk_mul_f32 v[142:143], v[144:145], v[134:135] op_sel:[0,1]
	v_pk_fma_f32 v[146:147], v[144:145], v[132:133], v[142:143] op_sel:[0,0,1] op_sel_hi:[1,1,0] neg_lo:[0,0,1] neg_hi:[0,0,1]
	v_pk_fma_f32 v[142:143], v[144:145], v[132:133], v[142:143] op_sel:[0,0,1] op_sel_hi:[1,0,0]
	s_delay_alu instid0(VALU_DEP_1)
	v_mov_b32_e32 v147, v143
	ds_load_2addr_b64 v[142:145], v136 offset0:57 offset1:58
	v_pk_add_f32 v[8:9], v[8:9], v[148:149] neg_lo:[0,1] neg_hi:[0,1]
	v_pk_add_f32 v[34:35], v[34:35], v[146:147] neg_lo:[0,1] neg_hi:[0,1]
	s_wait_dscnt 0x0
	v_pk_mul_f32 v[146:147], v[142:143], v[134:135] op_sel:[0,1]
	s_delay_alu instid0(VALU_DEP_1) | instskip(SKIP_1) | instid1(VALU_DEP_1)
	v_pk_fma_f32 v[148:149], v[142:143], v[132:133], v[146:147] op_sel:[0,0,1] op_sel_hi:[1,1,0] neg_lo:[0,0,1] neg_hi:[0,0,1]
	v_pk_fma_f32 v[142:143], v[142:143], v[132:133], v[146:147] op_sel:[0,0,1] op_sel_hi:[1,0,0]
	v_mov_b32_e32 v149, v143
	v_pk_mul_f32 v[142:143], v[144:145], v[134:135] op_sel:[0,1]
	s_delay_alu instid0(VALU_DEP_1) | instskip(SKIP_1) | instid1(VALU_DEP_1)
	v_pk_fma_f32 v[146:147], v[144:145], v[132:133], v[142:143] op_sel:[0,0,1] op_sel_hi:[1,1,0] neg_lo:[0,0,1] neg_hi:[0,0,1]
	v_pk_fma_f32 v[142:143], v[144:145], v[132:133], v[142:143] op_sel:[0,0,1] op_sel_hi:[1,0,0]
	v_mov_b32_e32 v147, v143
	ds_load_2addr_b64 v[142:145], v136 offset0:59 offset1:60
	v_pk_add_f32 v[30:31], v[30:31], v[148:149] neg_lo:[0,1] neg_hi:[0,1]
	v_pk_add_f32 v[6:7], v[6:7], v[146:147] neg_lo:[0,1] neg_hi:[0,1]
	s_wait_dscnt 0x0
	v_dual_mul_f32 v146, v143, v135 :: v_dual_mul_f32 v148, v143, v132
	s_delay_alu instid0(VALU_DEP_1) | instskip(NEXT) | instid1(VALU_DEP_2)
	v_pk_fma_f32 v[146:147], v[142:143], v[64:65], v[146:147] op_sel_hi:[1,1,0] neg_lo:[0,0,1] neg_hi:[0,0,1]
	v_pk_fma_f32 v[142:143], v[142:143], v[64:65], v[148:149] op_sel:[1,0,0] op_sel_hi:[0,1,0]
	s_delay_alu instid0(VALU_DEP_1) | instskip(SKIP_1) | instid1(VALU_DEP_2)
	v_mov_b32_e32 v147, v143
	v_pk_mul_f32 v[142:143], v[144:145], v[134:135] op_sel:[0,1]
	v_pk_add_f32 v[26:27], v[26:27], v[146:147] neg_lo:[0,1] neg_hi:[0,1]
	s_delay_alu instid0(VALU_DEP_2) | instskip(SKIP_1) | instid1(VALU_DEP_1)
	v_pk_fma_f32 v[146:147], v[144:145], v[132:133], v[142:143] op_sel:[0,0,1] op_sel_hi:[1,1,0] neg_lo:[0,0,1] neg_hi:[0,0,1]
	v_pk_fma_f32 v[142:143], v[144:145], v[132:133], v[142:143] op_sel:[0,0,1] op_sel_hi:[1,0,0]
	v_mov_b32_e32 v147, v143
	ds_load_2addr_b64 v[142:145], v136 offset0:61 offset1:62
	v_pk_add_f32 v[14:15], v[14:15], v[146:147] neg_lo:[0,1] neg_hi:[0,1]
	s_wait_dscnt 0x0
	v_pk_mul_f32 v[146:147], v[142:143], v[134:135] op_sel:[0,1]
	v_pk_mul_f32 v[134:135], v[144:145], v[134:135] op_sel:[0,1]
	s_delay_alu instid0(VALU_DEP_2) | instskip(SKIP_1) | instid1(VALU_DEP_1)
	v_pk_fma_f32 v[148:149], v[142:143], v[132:133], v[146:147] op_sel:[0,0,1] op_sel_hi:[1,1,0] neg_lo:[0,0,1] neg_hi:[0,0,1]
	v_pk_fma_f32 v[142:143], v[142:143], v[132:133], v[146:147] op_sel:[0,0,1] op_sel_hi:[1,0,0]
	v_mov_b32_e32 v149, v143
	s_delay_alu instid0(VALU_DEP_4) | instskip(SKIP_1) | instid1(VALU_DEP_3)
	v_pk_fma_f32 v[142:143], v[144:145], v[132:133], v[134:135] op_sel:[0,0,1] op_sel_hi:[1,1,0] neg_lo:[0,0,1] neg_hi:[0,0,1]
	v_pk_fma_f32 v[132:133], v[144:145], v[132:133], v[134:135] op_sel:[0,0,1] op_sel_hi:[1,0,0]
	v_pk_add_f32 v[12:13], v[12:13], v[148:149] neg_lo:[0,1] neg_hi:[0,1]
	s_delay_alu instid0(VALU_DEP_2) | instskip(NEXT) | instid1(VALU_DEP_1)
	v_mov_b32_e32 v143, v133
	v_pk_add_f32 v[130:131], v[130:131], v[142:143] neg_lo:[0,1] neg_hi:[0,1]
.LBB124_230:
	s_or_b32 exec_lo, exec_lo, s0
	v_lshl_add_u32 v132, v140, 3, v136
	s_barrier_signal -1
	s_barrier_wait -1
	ds_store_b64 v132, v[62:63]
	s_wait_dscnt 0x0
	s_barrier_signal -1
	s_barrier_wait -1
	ds_load_b64 v[134:135], v136 offset:88
	v_mov_b32_e32 v132, 11
	s_cmp_lt_i32 s18, 13
	s_cbranch_scc1 .LBB124_233
; %bb.231:
	v_add3_u32 v133, v137, 0, 0x60
	v_mov_b32_e32 v132, 11
	s_mov_b32 s0, 12
.LBB124_232:                            ; =>This Inner Loop Header: Depth=1
	ds_load_b64 v[142:143], v133
	s_wait_dscnt 0x1
	v_cmp_gt_f32_e32 vcc_lo, 0, v134
	v_cndmask_b32_e64 v144, v134, -v134, vcc_lo
	v_cmp_gt_f32_e32 vcc_lo, 0, v135
	v_cndmask_b32_e64 v146, v135, -v135, vcc_lo
	s_wait_dscnt 0x0
	v_cmp_gt_f32_e32 vcc_lo, 0, v142
	v_cndmask_b32_e64 v145, v142, -v142, vcc_lo
	v_cmp_gt_f32_e32 vcc_lo, 0, v143
	v_cndmask_b32_e64 v147, v143, -v143, vcc_lo
	s_delay_alu instid0(VALU_DEP_1) | instskip(NEXT) | instid1(VALU_DEP_1)
	v_pk_add_f32 v[144:145], v[144:145], v[146:147]
	v_cmp_lt_f32_e32 vcc_lo, v144, v145
	v_dual_add_nc_u32 v133, 8, v133 :: v_dual_cndmask_b32 v135, v135, v143, vcc_lo
	v_cndmask_b32_e32 v134, v134, v142, vcc_lo
	v_cndmask_b32_e64 v132, v132, s0, vcc_lo
	s_add_co_i32 s0, s0, 1
	s_delay_alu instid0(SALU_CYCLE_1)
	s_cmp_lg_u32 s18, s0
	s_cbranch_scc1 .LBB124_232
.LBB124_233:
	s_wait_dscnt 0x0
	v_cmp_eq_f32_e32 vcc_lo, 0, v134
	v_cmp_eq_f32_e64 s0, 0, v135
	s_and_b32 s0, vcc_lo, s0
	s_delay_alu instid0(SALU_CYCLE_1) | instskip(NEXT) | instid1(SALU_CYCLE_1)
	s_and_saveexec_b32 s1, s0
	s_xor_b32 s0, exec_lo, s1
; %bb.234:
	v_cmp_ne_u32_e32 vcc_lo, 0, v138
	v_cndmask_b32_e32 v138, 12, v138, vcc_lo
; %bb.235:
	s_and_not1_saveexec_b32 s0, s0
	s_cbranch_execz .LBB124_241
; %bb.236:
	v_cmp_ngt_f32_e64 s1, |v134|, |v135|
	s_and_saveexec_b32 s12, s1
	s_delay_alu instid0(SALU_CYCLE_1)
	s_xor_b32 s1, exec_lo, s12
	s_cbranch_execz .LBB124_238
; %bb.237:
	v_div_scale_f32 v133, null, v135, v135, v134
	v_div_scale_f32 v143, vcc_lo, v134, v135, v134
	s_delay_alu instid0(VALU_DEP_2) | instskip(SKIP_1) | instid1(TRANS32_DEP_1)
	v_rcp_f32_e32 v141, v133
	v_nop
	v_fma_f32 v142, -v133, v141, 1.0
	s_delay_alu instid0(VALU_DEP_1) | instskip(NEXT) | instid1(VALU_DEP_1)
	v_fmac_f32_e32 v141, v142, v141
	v_mul_f32_e32 v142, v143, v141
	s_delay_alu instid0(VALU_DEP_1) | instskip(NEXT) | instid1(VALU_DEP_1)
	v_fma_f32 v144, -v133, v142, v143
	v_fmac_f32_e32 v142, v144, v141
	s_delay_alu instid0(VALU_DEP_1) | instskip(NEXT) | instid1(VALU_DEP_1)
	v_fma_f32 v133, -v133, v142, v143
	v_div_fmas_f32 v133, v133, v141, v142
	s_delay_alu instid0(VALU_DEP_1) | instskip(NEXT) | instid1(VALU_DEP_1)
	v_div_fixup_f32 v133, v133, v135, v134
	v_fmac_f32_e32 v135, v134, v133
	s_delay_alu instid0(VALU_DEP_1) | instskip(SKIP_1) | instid1(VALU_DEP_2)
	v_div_scale_f32 v134, null, v135, v135, 1.0
	v_div_scale_f32 v143, vcc_lo, 1.0, v135, 1.0
	v_rcp_f32_e32 v141, v134
	v_nop
	s_delay_alu instid0(TRANS32_DEP_1) | instskip(NEXT) | instid1(VALU_DEP_1)
	v_fma_f32 v142, -v134, v141, 1.0
	v_fmac_f32_e32 v141, v142, v141
	s_delay_alu instid0(VALU_DEP_1) | instskip(NEXT) | instid1(VALU_DEP_1)
	v_mul_f32_e32 v142, v143, v141
	v_fma_f32 v144, -v134, v142, v143
	s_delay_alu instid0(VALU_DEP_1) | instskip(NEXT) | instid1(VALU_DEP_1)
	v_fmac_f32_e32 v142, v144, v141
	v_fma_f32 v134, -v134, v142, v143
	s_delay_alu instid0(VALU_DEP_1) | instskip(NEXT) | instid1(VALU_DEP_1)
	v_div_fmas_f32 v134, v134, v141, v142
	v_div_fixup_f32 v135, v134, v135, 1.0
	s_delay_alu instid0(VALU_DEP_1)
	v_mul_f32_e32 v134, v133, v135
	v_xor_b32_e32 v135, 0x80000000, v135
.LBB124_238:
	s_and_not1_saveexec_b32 s1, s1
	s_cbranch_execz .LBB124_240
; %bb.239:
	s_delay_alu instid0(VALU_DEP_1) | instskip(SKIP_1) | instid1(VALU_DEP_2)
	v_div_scale_f32 v133, null, v134, v134, v135
	v_div_scale_f32 v143, vcc_lo, v135, v134, v135
	v_rcp_f32_e32 v141, v133
	v_nop
	s_delay_alu instid0(TRANS32_DEP_1) | instskip(NEXT) | instid1(VALU_DEP_1)
	v_fma_f32 v142, -v133, v141, 1.0
	v_fmac_f32_e32 v141, v142, v141
	s_delay_alu instid0(VALU_DEP_1) | instskip(NEXT) | instid1(VALU_DEP_1)
	v_mul_f32_e32 v142, v143, v141
	v_fma_f32 v144, -v133, v142, v143
	s_delay_alu instid0(VALU_DEP_1) | instskip(NEXT) | instid1(VALU_DEP_1)
	v_fmac_f32_e32 v142, v144, v141
	v_fma_f32 v133, -v133, v142, v143
	s_delay_alu instid0(VALU_DEP_1) | instskip(NEXT) | instid1(VALU_DEP_1)
	v_div_fmas_f32 v133, v133, v141, v142
	v_div_fixup_f32 v133, v133, v134, v135
	s_delay_alu instid0(VALU_DEP_1) | instskip(NEXT) | instid1(VALU_DEP_1)
	v_fmac_f32_e32 v134, v135, v133
	v_div_scale_f32 v135, null, v134, v134, 1.0
	s_delay_alu instid0(VALU_DEP_1) | instskip(SKIP_1) | instid1(TRANS32_DEP_1)
	v_rcp_f32_e32 v141, v135
	v_nop
	v_fma_f32 v142, -v135, v141, 1.0
	s_delay_alu instid0(VALU_DEP_1) | instskip(SKIP_1) | instid1(VALU_DEP_1)
	v_fmac_f32_e32 v141, v142, v141
	v_div_scale_f32 v142, vcc_lo, 1.0, v134, 1.0
	v_mul_f32_e32 v143, v142, v141
	s_delay_alu instid0(VALU_DEP_1) | instskip(NEXT) | instid1(VALU_DEP_1)
	v_fma_f32 v144, -v135, v143, v142
	v_fmac_f32_e32 v143, v144, v141
	s_delay_alu instid0(VALU_DEP_1) | instskip(NEXT) | instid1(VALU_DEP_1)
	v_fma_f32 v135, -v135, v143, v142
	v_div_fmas_f32 v135, v135, v141, v143
	s_delay_alu instid0(VALU_DEP_1) | instskip(NEXT) | instid1(VALU_DEP_1)
	v_div_fixup_f32 v134, v135, v134, 1.0
	v_mul_f32_e64 v135, v133, -v134
.LBB124_240:
	s_or_b32 exec_lo, exec_lo, s1
.LBB124_241:
	s_delay_alu instid0(SALU_CYCLE_1) | instskip(NEXT) | instid1(SALU_CYCLE_1)
	s_or_b32 exec_lo, exec_lo, s0
	s_mov_b32 s0, exec_lo
	v_cmpx_ne_u32_e64 v140, v132
	s_xor_b32 s0, exec_lo, s0
	s_cbranch_execz .LBB124_247
; %bb.242:
	s_mov_b32 s1, exec_lo
	v_cmpx_eq_u32_e32 11, v140
	s_cbranch_execz .LBB124_246
; %bb.243:
	v_cmp_ne_u32_e32 vcc_lo, 11, v132
	s_xor_b32 s12, s16, -1
	s_delay_alu instid0(SALU_CYCLE_1) | instskip(NEXT) | instid1(SALU_CYCLE_1)
	s_and_b32 s13, s12, vcc_lo
	s_and_saveexec_b32 s12, s13
	s_cbranch_execz .LBB124_245
; %bb.244:
	v_ashrrev_i32_e32 v133, 31, v132
	s_delay_alu instid0(VALU_DEP_1)
	v_lshl_add_u64 v[140:141], v[132:133], 2, v[4:5]
	s_clause 0x1
	global_load_b32 v133, v[140:141], off
	global_load_b32 v139, v[4:5], off offset:44
	s_wait_loadcnt 0x1
	global_store_b32 v[4:5], v133, off offset:44
	s_wait_loadcnt 0x0
	global_store_b32 v[140:141], v139, off
.LBB124_245:
	s_wait_xcnt 0x0
	s_or_b32 exec_lo, exec_lo, s12
	v_dual_mov_b32 v140, v132 :: v_dual_mov_b32 v139, v132
.LBB124_246:
	s_or_b32 exec_lo, exec_lo, s1
.LBB124_247:
	s_and_not1_saveexec_b32 s0, s0
	s_cbranch_execz .LBB124_249
; %bb.248:
	v_dual_mov_b32 v132, v112 :: v_dual_mov_b32 v133, v113
	v_dual_mov_b32 v140, v110 :: v_dual_mov_b32 v141, v111
	ds_store_2addr_b64 v136, v[132:133], v[140:141] offset0:12 offset1:13
	v_dual_mov_b32 v132, v60 :: v_dual_mov_b32 v133, v61
	v_dual_mov_b32 v140, v58 :: v_dual_mov_b32 v141, v59
	ds_store_2addr_b64 v136, v[132:133], v[140:141] offset0:14 offset1:15
	;; [unrolled: 3-line block ×25, first 2 shown]
	ds_store_b64 v136, v[130:131] offset:496
	v_mov_b32_e32 v140, 11
.LBB124_249:
	s_or_b32 exec_lo, exec_lo, s0
	s_delay_alu instid0(SALU_CYCLE_1)
	s_mov_b32 s0, exec_lo
	s_wait_storecnt_dscnt 0x0
	s_barrier_signal -1
	s_barrier_wait -1
	v_cmpx_lt_i32_e32 11, v140
	s_cbranch_execz .LBB124_251
; %bb.250:
	v_pk_mul_f32 v[142:143], v[134:135], v[62:63] op_sel:[1,1] op_sel_hi:[0,1]
	s_delay_alu instid0(VALU_DEP_1)
	v_pk_fma_f32 v[132:133], v[134:135], v[62:63], v[142:143] op_sel_hi:[1,0,1] neg_lo:[0,0,1] neg_hi:[0,0,1]
	v_pk_fma_f32 v[134:135], v[134:135], v[62:63], v[142:143] op_sel_hi:[1,0,1]
	ds_load_2addr_b64 v[142:145], v136 offset0:12 offset1:13
	v_dual_mov_b32 v62, v132 :: v_dual_mov_b32 v63, v135
	s_wait_dscnt 0x0
	v_pk_mul_f32 v[146:147], v[142:143], v[134:135] op_sel:[0,1]
	s_delay_alu instid0(VALU_DEP_1) | instskip(SKIP_1) | instid1(VALU_DEP_1)
	v_pk_fma_f32 v[148:149], v[142:143], v[132:133], v[146:147] op_sel:[0,0,1] op_sel_hi:[1,1,0] neg_lo:[0,0,1] neg_hi:[0,0,1]
	v_pk_fma_f32 v[142:143], v[142:143], v[132:133], v[146:147] op_sel:[0,0,1] op_sel_hi:[1,0,0]
	v_mov_b32_e32 v149, v143
	v_pk_mul_f32 v[142:143], v[144:145], v[134:135] op_sel:[0,1]
	s_delay_alu instid0(VALU_DEP_1) | instskip(SKIP_1) | instid1(VALU_DEP_1)
	v_pk_fma_f32 v[146:147], v[144:145], v[132:133], v[142:143] op_sel:[0,0,1] op_sel_hi:[1,1,0] neg_lo:[0,0,1] neg_hi:[0,0,1]
	v_pk_fma_f32 v[142:143], v[144:145], v[132:133], v[142:143] op_sel:[0,0,1] op_sel_hi:[1,0,0]
	v_mov_b32_e32 v147, v143
	ds_load_2addr_b64 v[142:145], v136 offset0:14 offset1:15
	v_pk_add_f32 v[112:113], v[112:113], v[148:149] neg_lo:[0,1] neg_hi:[0,1]
	v_pk_add_f32 v[110:111], v[110:111], v[146:147] neg_lo:[0,1] neg_hi:[0,1]
	s_wait_dscnt 0x0
	v_pk_mul_f32 v[146:147], v[142:143], v[134:135] op_sel:[0,1]
	s_delay_alu instid0(VALU_DEP_1) | instskip(SKIP_2) | instid1(VALU_DEP_2)
	v_pk_fma_f32 v[148:149], v[142:143], v[132:133], v[146:147] op_sel:[0,0,1] op_sel_hi:[1,1,0] neg_lo:[0,0,1] neg_hi:[0,0,1]
	v_pk_fma_f32 v[142:143], v[142:143], v[132:133], v[146:147] op_sel:[0,0,1] op_sel_hi:[1,0,0]
	v_dual_mul_f32 v146, v145, v135 :: v_dual_mov_b32 v142, v145
	v_dual_mov_b32 v149, v143 :: v_dual_mov_b32 v143, v144
	s_delay_alu instid0(VALU_DEP_2) | instskip(SKIP_1) | instid1(VALU_DEP_3)
	v_pk_fma_f32 v[146:147], v[144:145], v[62:63], v[146:147] op_sel_hi:[1,1,0] neg_lo:[0,0,1] neg_hi:[0,0,1]
	v_mul_f32_e32 v144, v145, v132
	v_pk_add_f32 v[60:61], v[60:61], v[148:149] neg_lo:[0,1] neg_hi:[0,1]
	s_delay_alu instid0(VALU_DEP_2) | instskip(NEXT) | instid1(VALU_DEP_1)
	v_pk_fma_f32 v[142:143], v[142:143], v[62:63], v[144:145] op_sel_hi:[1,1,0]
	v_mov_b32_e32 v147, v143
	ds_load_2addr_b64 v[142:145], v136 offset0:16 offset1:17
	v_pk_add_f32 v[58:59], v[58:59], v[146:147] neg_lo:[0,1] neg_hi:[0,1]
	s_wait_dscnt 0x0
	v_pk_mul_f32 v[146:147], v[142:143], v[134:135] op_sel:[0,1]
	s_delay_alu instid0(VALU_DEP_1) | instskip(SKIP_1) | instid1(VALU_DEP_1)
	v_pk_fma_f32 v[148:149], v[142:143], v[132:133], v[146:147] op_sel:[0,0,1] op_sel_hi:[1,1,0] neg_lo:[0,0,1] neg_hi:[0,0,1]
	v_pk_fma_f32 v[142:143], v[142:143], v[132:133], v[146:147] op_sel:[0,0,1] op_sel_hi:[1,0,0]
	v_mov_b32_e32 v149, v143
	v_pk_mul_f32 v[142:143], v[144:145], v[134:135] op_sel:[0,1]
	s_delay_alu instid0(VALU_DEP_1) | instskip(SKIP_1) | instid1(VALU_DEP_1)
	v_pk_fma_f32 v[146:147], v[144:145], v[132:133], v[142:143] op_sel:[0,0,1] op_sel_hi:[1,1,0] neg_lo:[0,0,1] neg_hi:[0,0,1]
	v_pk_fma_f32 v[142:143], v[144:145], v[132:133], v[142:143] op_sel:[0,0,1] op_sel_hi:[1,0,0]
	v_mov_b32_e32 v147, v143
	ds_load_2addr_b64 v[142:145], v136 offset0:18 offset1:19
	v_pk_add_f32 v[108:109], v[108:109], v[148:149] neg_lo:[0,1] neg_hi:[0,1]
	v_pk_add_f32 v[106:107], v[106:107], v[146:147] neg_lo:[0,1] neg_hi:[0,1]
	s_wait_dscnt 0x0
	v_pk_mul_f32 v[146:147], v[142:143], v[134:135] op_sel:[0,1]
	s_delay_alu instid0(VALU_DEP_1) | instskip(SKIP_1) | instid1(VALU_DEP_1)
	v_pk_fma_f32 v[148:149], v[142:143], v[132:133], v[146:147] op_sel:[0,0,1] op_sel_hi:[1,1,0] neg_lo:[0,0,1] neg_hi:[0,0,1]
	v_pk_fma_f32 v[142:143], v[142:143], v[132:133], v[146:147] op_sel:[0,0,1] op_sel_hi:[1,0,0]
	v_mov_b32_e32 v149, v143
	v_pk_mul_f32 v[142:143], v[144:145], v[134:135] op_sel:[0,1]
	s_delay_alu instid0(VALU_DEP_1) | instskip(SKIP_1) | instid1(VALU_DEP_1)
	v_pk_fma_f32 v[146:147], v[144:145], v[132:133], v[142:143] op_sel:[0,0,1] op_sel_hi:[1,1,0] neg_lo:[0,0,1] neg_hi:[0,0,1]
	v_pk_fma_f32 v[142:143], v[144:145], v[132:133], v[142:143] op_sel:[0,0,1] op_sel_hi:[1,0,0]
	v_mov_b32_e32 v147, v143
	ds_load_2addr_b64 v[142:145], v136 offset0:20 offset1:21
	v_pk_add_f32 v[56:57], v[56:57], v[148:149] neg_lo:[0,1] neg_hi:[0,1]
	v_pk_add_f32 v[54:55], v[54:55], v[146:147] neg_lo:[0,1] neg_hi:[0,1]
	s_wait_dscnt 0x0
	v_dual_mul_f32 v146, v143, v135 :: v_dual_mul_f32 v148, v143, v132
	s_delay_alu instid0(VALU_DEP_1) | instskip(NEXT) | instid1(VALU_DEP_2)
	v_pk_fma_f32 v[146:147], v[142:143], v[62:63], v[146:147] op_sel_hi:[1,1,0] neg_lo:[0,0,1] neg_hi:[0,0,1]
	v_pk_fma_f32 v[142:143], v[142:143], v[62:63], v[148:149] op_sel:[1,0,0] op_sel_hi:[0,1,0]
	s_delay_alu instid0(VALU_DEP_1) | instskip(SKIP_1) | instid1(VALU_DEP_2)
	v_mov_b32_e32 v147, v143
	v_pk_mul_f32 v[142:143], v[144:145], v[134:135] op_sel:[0,1]
	v_pk_add_f32 v[104:105], v[104:105], v[146:147] neg_lo:[0,1] neg_hi:[0,1]
	s_delay_alu instid0(VALU_DEP_2) | instskip(SKIP_1) | instid1(VALU_DEP_1)
	v_pk_fma_f32 v[146:147], v[144:145], v[132:133], v[142:143] op_sel:[0,0,1] op_sel_hi:[1,1,0] neg_lo:[0,0,1] neg_hi:[0,0,1]
	v_pk_fma_f32 v[142:143], v[144:145], v[132:133], v[142:143] op_sel:[0,0,1] op_sel_hi:[1,0,0]
	v_mov_b32_e32 v147, v143
	ds_load_2addr_b64 v[142:145], v136 offset0:22 offset1:23
	v_pk_add_f32 v[102:103], v[102:103], v[146:147] neg_lo:[0,1] neg_hi:[0,1]
	s_wait_dscnt 0x0
	v_pk_mul_f32 v[146:147], v[142:143], v[134:135] op_sel:[0,1]
	s_delay_alu instid0(VALU_DEP_1) | instskip(SKIP_1) | instid1(VALU_DEP_1)
	v_pk_fma_f32 v[148:149], v[142:143], v[132:133], v[146:147] op_sel:[0,0,1] op_sel_hi:[1,1,0] neg_lo:[0,0,1] neg_hi:[0,0,1]
	v_pk_fma_f32 v[142:143], v[142:143], v[132:133], v[146:147] op_sel:[0,0,1] op_sel_hi:[1,0,0]
	v_mov_b32_e32 v149, v143
	v_pk_mul_f32 v[142:143], v[144:145], v[134:135] op_sel:[0,1]
	s_delay_alu instid0(VALU_DEP_2) | instskip(NEXT) | instid1(VALU_DEP_2)
	v_pk_add_f32 v[52:53], v[52:53], v[148:149] neg_lo:[0,1] neg_hi:[0,1]
	v_pk_fma_f32 v[146:147], v[144:145], v[132:133], v[142:143] op_sel:[0,0,1] op_sel_hi:[1,1,0] neg_lo:[0,0,1] neg_hi:[0,0,1]
	v_pk_fma_f32 v[142:143], v[144:145], v[132:133], v[142:143] op_sel:[0,0,1] op_sel_hi:[1,0,0]
	s_delay_alu instid0(VALU_DEP_1) | instskip(SKIP_4) | instid1(VALU_DEP_1)
	v_mov_b32_e32 v147, v143
	ds_load_2addr_b64 v[142:145], v136 offset0:24 offset1:25
	v_pk_add_f32 v[50:51], v[50:51], v[146:147] neg_lo:[0,1] neg_hi:[0,1]
	s_wait_dscnt 0x0
	v_pk_mul_f32 v[146:147], v[142:143], v[134:135] op_sel:[0,1]
	v_pk_fma_f32 v[148:149], v[142:143], v[132:133], v[146:147] op_sel:[0,0,1] op_sel_hi:[1,1,0] neg_lo:[0,0,1] neg_hi:[0,0,1]
	v_pk_fma_f32 v[142:143], v[142:143], v[132:133], v[146:147] op_sel:[0,0,1] op_sel_hi:[1,0,0]
	v_dual_mul_f32 v146, v145, v135 :: v_dual_mov_b32 v142, v145
	s_delay_alu instid0(VALU_DEP_2) | instskip(NEXT) | instid1(VALU_DEP_2)
	v_dual_mov_b32 v149, v143 :: v_dual_mov_b32 v143, v144
	v_pk_fma_f32 v[146:147], v[144:145], v[62:63], v[146:147] op_sel_hi:[1,1,0] neg_lo:[0,0,1] neg_hi:[0,0,1]
	v_mul_f32_e32 v144, v145, v132
	s_delay_alu instid0(VALU_DEP_3) | instskip(NEXT) | instid1(VALU_DEP_2)
	v_pk_add_f32 v[100:101], v[100:101], v[148:149] neg_lo:[0,1] neg_hi:[0,1]
	v_pk_fma_f32 v[142:143], v[142:143], v[62:63], v[144:145] op_sel_hi:[1,1,0]
	s_delay_alu instid0(VALU_DEP_1) | instskip(SKIP_4) | instid1(VALU_DEP_1)
	v_mov_b32_e32 v147, v143
	ds_load_2addr_b64 v[142:145], v136 offset0:26 offset1:27
	v_pk_add_f32 v[98:99], v[98:99], v[146:147] neg_lo:[0,1] neg_hi:[0,1]
	s_wait_dscnt 0x0
	v_pk_mul_f32 v[146:147], v[142:143], v[134:135] op_sel:[0,1]
	v_pk_fma_f32 v[148:149], v[142:143], v[132:133], v[146:147] op_sel:[0,0,1] op_sel_hi:[1,1,0] neg_lo:[0,0,1] neg_hi:[0,0,1]
	v_pk_fma_f32 v[142:143], v[142:143], v[132:133], v[146:147] op_sel:[0,0,1] op_sel_hi:[1,0,0]
	s_delay_alu instid0(VALU_DEP_1) | instskip(SKIP_1) | instid1(VALU_DEP_1)
	v_mov_b32_e32 v149, v143
	v_pk_mul_f32 v[142:143], v[144:145], v[134:135] op_sel:[0,1]
	v_pk_fma_f32 v[146:147], v[144:145], v[132:133], v[142:143] op_sel:[0,0,1] op_sel_hi:[1,1,0] neg_lo:[0,0,1] neg_hi:[0,0,1]
	v_pk_fma_f32 v[142:143], v[144:145], v[132:133], v[142:143] op_sel:[0,0,1] op_sel_hi:[1,0,0]
	s_delay_alu instid0(VALU_DEP_1)
	v_mov_b32_e32 v147, v143
	ds_load_2addr_b64 v[142:145], v136 offset0:28 offset1:29
	v_pk_add_f32 v[48:49], v[48:49], v[148:149] neg_lo:[0,1] neg_hi:[0,1]
	v_pk_add_f32 v[46:47], v[46:47], v[146:147] neg_lo:[0,1] neg_hi:[0,1]
	s_wait_dscnt 0x0
	v_pk_mul_f32 v[146:147], v[142:143], v[134:135] op_sel:[0,1]
	s_delay_alu instid0(VALU_DEP_1) | instskip(SKIP_1) | instid1(VALU_DEP_1)
	v_pk_fma_f32 v[148:149], v[142:143], v[132:133], v[146:147] op_sel:[0,0,1] op_sel_hi:[1,1,0] neg_lo:[0,0,1] neg_hi:[0,0,1]
	v_pk_fma_f32 v[142:143], v[142:143], v[132:133], v[146:147] op_sel:[0,0,1] op_sel_hi:[1,0,0]
	v_mov_b32_e32 v149, v143
	v_pk_mul_f32 v[142:143], v[144:145], v[134:135] op_sel:[0,1]
	s_delay_alu instid0(VALU_DEP_1) | instskip(SKIP_1) | instid1(VALU_DEP_1)
	v_pk_fma_f32 v[146:147], v[144:145], v[132:133], v[142:143] op_sel:[0,0,1] op_sel_hi:[1,1,0] neg_lo:[0,0,1] neg_hi:[0,0,1]
	v_pk_fma_f32 v[142:143], v[144:145], v[132:133], v[142:143] op_sel:[0,0,1] op_sel_hi:[1,0,0]
	v_mov_b32_e32 v147, v143
	ds_load_2addr_b64 v[142:145], v136 offset0:30 offset1:31
	v_pk_add_f32 v[96:97], v[96:97], v[148:149] neg_lo:[0,1] neg_hi:[0,1]
	v_pk_add_f32 v[94:95], v[94:95], v[146:147] neg_lo:[0,1] neg_hi:[0,1]
	s_wait_dscnt 0x0
	v_dual_mul_f32 v146, v143, v135 :: v_dual_mul_f32 v148, v143, v132
	s_delay_alu instid0(VALU_DEP_1) | instskip(NEXT) | instid1(VALU_DEP_2)
	v_pk_fma_f32 v[146:147], v[142:143], v[62:63], v[146:147] op_sel_hi:[1,1,0] neg_lo:[0,0,1] neg_hi:[0,0,1]
	v_pk_fma_f32 v[142:143], v[142:143], v[62:63], v[148:149] op_sel:[1,0,0] op_sel_hi:[0,1,0]
	s_delay_alu instid0(VALU_DEP_1) | instskip(SKIP_1) | instid1(VALU_DEP_2)
	v_mov_b32_e32 v147, v143
	v_pk_mul_f32 v[142:143], v[144:145], v[134:135] op_sel:[0,1]
	v_pk_add_f32 v[44:45], v[44:45], v[146:147] neg_lo:[0,1] neg_hi:[0,1]
	s_delay_alu instid0(VALU_DEP_2) | instskip(SKIP_1) | instid1(VALU_DEP_1)
	v_pk_fma_f32 v[146:147], v[144:145], v[132:133], v[142:143] op_sel:[0,0,1] op_sel_hi:[1,1,0] neg_lo:[0,0,1] neg_hi:[0,0,1]
	v_pk_fma_f32 v[142:143], v[144:145], v[132:133], v[142:143] op_sel:[0,0,1] op_sel_hi:[1,0,0]
	v_mov_b32_e32 v147, v143
	ds_load_2addr_b64 v[142:145], v136 offset0:32 offset1:33
	v_pk_add_f32 v[42:43], v[42:43], v[146:147] neg_lo:[0,1] neg_hi:[0,1]
	s_wait_dscnt 0x0
	v_pk_mul_f32 v[146:147], v[142:143], v[134:135] op_sel:[0,1]
	s_delay_alu instid0(VALU_DEP_1) | instskip(SKIP_1) | instid1(VALU_DEP_1)
	v_pk_fma_f32 v[148:149], v[142:143], v[132:133], v[146:147] op_sel:[0,0,1] op_sel_hi:[1,1,0] neg_lo:[0,0,1] neg_hi:[0,0,1]
	v_pk_fma_f32 v[142:143], v[142:143], v[132:133], v[146:147] op_sel:[0,0,1] op_sel_hi:[1,0,0]
	v_mov_b32_e32 v149, v143
	v_pk_mul_f32 v[142:143], v[144:145], v[134:135] op_sel:[0,1]
	s_delay_alu instid0(VALU_DEP_2) | instskip(NEXT) | instid1(VALU_DEP_2)
	v_pk_add_f32 v[92:93], v[92:93], v[148:149] neg_lo:[0,1] neg_hi:[0,1]
	v_pk_fma_f32 v[146:147], v[144:145], v[132:133], v[142:143] op_sel:[0,0,1] op_sel_hi:[1,1,0] neg_lo:[0,0,1] neg_hi:[0,0,1]
	v_pk_fma_f32 v[142:143], v[144:145], v[132:133], v[142:143] op_sel:[0,0,1] op_sel_hi:[1,0,0]
	s_delay_alu instid0(VALU_DEP_1) | instskip(SKIP_4) | instid1(VALU_DEP_1)
	v_mov_b32_e32 v147, v143
	ds_load_2addr_b64 v[142:145], v136 offset0:34 offset1:35
	v_pk_add_f32 v[90:91], v[90:91], v[146:147] neg_lo:[0,1] neg_hi:[0,1]
	s_wait_dscnt 0x0
	v_pk_mul_f32 v[146:147], v[142:143], v[134:135] op_sel:[0,1]
	v_pk_fma_f32 v[148:149], v[142:143], v[132:133], v[146:147] op_sel:[0,0,1] op_sel_hi:[1,1,0] neg_lo:[0,0,1] neg_hi:[0,0,1]
	v_pk_fma_f32 v[142:143], v[142:143], v[132:133], v[146:147] op_sel:[0,0,1] op_sel_hi:[1,0,0]
	v_dual_mul_f32 v146, v145, v135 :: v_dual_mov_b32 v142, v145
	s_delay_alu instid0(VALU_DEP_2) | instskip(NEXT) | instid1(VALU_DEP_2)
	v_dual_mov_b32 v149, v143 :: v_dual_mov_b32 v143, v144
	v_pk_fma_f32 v[146:147], v[144:145], v[62:63], v[146:147] op_sel_hi:[1,1,0] neg_lo:[0,0,1] neg_hi:[0,0,1]
	v_mul_f32_e32 v144, v145, v132
	s_delay_alu instid0(VALU_DEP_3) | instskip(NEXT) | instid1(VALU_DEP_2)
	v_pk_add_f32 v[40:41], v[40:41], v[148:149] neg_lo:[0,1] neg_hi:[0,1]
	v_pk_fma_f32 v[142:143], v[142:143], v[62:63], v[144:145] op_sel_hi:[1,1,0]
	s_delay_alu instid0(VALU_DEP_1) | instskip(SKIP_4) | instid1(VALU_DEP_1)
	v_mov_b32_e32 v147, v143
	ds_load_2addr_b64 v[142:145], v136 offset0:36 offset1:37
	v_pk_add_f32 v[38:39], v[38:39], v[146:147] neg_lo:[0,1] neg_hi:[0,1]
	s_wait_dscnt 0x0
	v_pk_mul_f32 v[146:147], v[142:143], v[134:135] op_sel:[0,1]
	v_pk_fma_f32 v[148:149], v[142:143], v[132:133], v[146:147] op_sel:[0,0,1] op_sel_hi:[1,1,0] neg_lo:[0,0,1] neg_hi:[0,0,1]
	v_pk_fma_f32 v[142:143], v[142:143], v[132:133], v[146:147] op_sel:[0,0,1] op_sel_hi:[1,0,0]
	s_delay_alu instid0(VALU_DEP_1) | instskip(SKIP_1) | instid1(VALU_DEP_1)
	v_mov_b32_e32 v149, v143
	v_pk_mul_f32 v[142:143], v[144:145], v[134:135] op_sel:[0,1]
	v_pk_fma_f32 v[146:147], v[144:145], v[132:133], v[142:143] op_sel:[0,0,1] op_sel_hi:[1,1,0] neg_lo:[0,0,1] neg_hi:[0,0,1]
	v_pk_fma_f32 v[142:143], v[144:145], v[132:133], v[142:143] op_sel:[0,0,1] op_sel_hi:[1,0,0]
	s_delay_alu instid0(VALU_DEP_1)
	v_mov_b32_e32 v147, v143
	ds_load_2addr_b64 v[142:145], v136 offset0:38 offset1:39
	v_pk_add_f32 v[88:89], v[88:89], v[148:149] neg_lo:[0,1] neg_hi:[0,1]
	v_pk_add_f32 v[86:87], v[86:87], v[146:147] neg_lo:[0,1] neg_hi:[0,1]
	s_wait_dscnt 0x0
	v_pk_mul_f32 v[146:147], v[142:143], v[134:135] op_sel:[0,1]
	s_delay_alu instid0(VALU_DEP_1) | instskip(SKIP_1) | instid1(VALU_DEP_1)
	v_pk_fma_f32 v[148:149], v[142:143], v[132:133], v[146:147] op_sel:[0,0,1] op_sel_hi:[1,1,0] neg_lo:[0,0,1] neg_hi:[0,0,1]
	v_pk_fma_f32 v[142:143], v[142:143], v[132:133], v[146:147] op_sel:[0,0,1] op_sel_hi:[1,0,0]
	v_mov_b32_e32 v149, v143
	v_pk_mul_f32 v[142:143], v[144:145], v[134:135] op_sel:[0,1]
	s_delay_alu instid0(VALU_DEP_1) | instskip(SKIP_1) | instid1(VALU_DEP_1)
	v_pk_fma_f32 v[146:147], v[144:145], v[132:133], v[142:143] op_sel:[0,0,1] op_sel_hi:[1,1,0] neg_lo:[0,0,1] neg_hi:[0,0,1]
	v_pk_fma_f32 v[142:143], v[144:145], v[132:133], v[142:143] op_sel:[0,0,1] op_sel_hi:[1,0,0]
	v_mov_b32_e32 v147, v143
	ds_load_2addr_b64 v[142:145], v136 offset0:40 offset1:41
	v_pk_add_f32 v[36:37], v[36:37], v[148:149] neg_lo:[0,1] neg_hi:[0,1]
	v_pk_add_f32 v[32:33], v[32:33], v[146:147] neg_lo:[0,1] neg_hi:[0,1]
	s_wait_dscnt 0x0
	v_dual_mul_f32 v146, v143, v135 :: v_dual_mul_f32 v148, v143, v132
	s_delay_alu instid0(VALU_DEP_1) | instskip(NEXT) | instid1(VALU_DEP_2)
	v_pk_fma_f32 v[146:147], v[142:143], v[62:63], v[146:147] op_sel_hi:[1,1,0] neg_lo:[0,0,1] neg_hi:[0,0,1]
	v_pk_fma_f32 v[142:143], v[142:143], v[62:63], v[148:149] op_sel:[1,0,0] op_sel_hi:[0,1,0]
	s_delay_alu instid0(VALU_DEP_1) | instskip(SKIP_1) | instid1(VALU_DEP_2)
	v_mov_b32_e32 v147, v143
	v_pk_mul_f32 v[142:143], v[144:145], v[134:135] op_sel:[0,1]
	v_pk_add_f32 v[84:85], v[84:85], v[146:147] neg_lo:[0,1] neg_hi:[0,1]
	s_delay_alu instid0(VALU_DEP_2) | instskip(SKIP_1) | instid1(VALU_DEP_1)
	v_pk_fma_f32 v[146:147], v[144:145], v[132:133], v[142:143] op_sel:[0,0,1] op_sel_hi:[1,1,0] neg_lo:[0,0,1] neg_hi:[0,0,1]
	v_pk_fma_f32 v[142:143], v[144:145], v[132:133], v[142:143] op_sel:[0,0,1] op_sel_hi:[1,0,0]
	v_mov_b32_e32 v147, v143
	ds_load_2addr_b64 v[142:145], v136 offset0:42 offset1:43
	v_pk_add_f32 v[82:83], v[82:83], v[146:147] neg_lo:[0,1] neg_hi:[0,1]
	s_wait_dscnt 0x0
	v_pk_mul_f32 v[146:147], v[142:143], v[134:135] op_sel:[0,1]
	s_delay_alu instid0(VALU_DEP_1) | instskip(SKIP_1) | instid1(VALU_DEP_1)
	v_pk_fma_f32 v[148:149], v[142:143], v[132:133], v[146:147] op_sel:[0,0,1] op_sel_hi:[1,1,0] neg_lo:[0,0,1] neg_hi:[0,0,1]
	v_pk_fma_f32 v[142:143], v[142:143], v[132:133], v[146:147] op_sel:[0,0,1] op_sel_hi:[1,0,0]
	v_mov_b32_e32 v149, v143
	v_pk_mul_f32 v[142:143], v[144:145], v[134:135] op_sel:[0,1]
	s_delay_alu instid0(VALU_DEP_2) | instskip(NEXT) | instid1(VALU_DEP_2)
	v_pk_add_f32 v[24:25], v[24:25], v[148:149] neg_lo:[0,1] neg_hi:[0,1]
	v_pk_fma_f32 v[146:147], v[144:145], v[132:133], v[142:143] op_sel:[0,0,1] op_sel_hi:[1,1,0] neg_lo:[0,0,1] neg_hi:[0,0,1]
	v_pk_fma_f32 v[142:143], v[144:145], v[132:133], v[142:143] op_sel:[0,0,1] op_sel_hi:[1,0,0]
	s_delay_alu instid0(VALU_DEP_1) | instskip(SKIP_4) | instid1(VALU_DEP_1)
	v_mov_b32_e32 v147, v143
	ds_load_2addr_b64 v[142:145], v136 offset0:44 offset1:45
	v_pk_add_f32 v[22:23], v[22:23], v[146:147] neg_lo:[0,1] neg_hi:[0,1]
	s_wait_dscnt 0x0
	v_pk_mul_f32 v[146:147], v[142:143], v[134:135] op_sel:[0,1]
	v_pk_fma_f32 v[148:149], v[142:143], v[132:133], v[146:147] op_sel:[0,0,1] op_sel_hi:[1,1,0] neg_lo:[0,0,1] neg_hi:[0,0,1]
	v_pk_fma_f32 v[142:143], v[142:143], v[132:133], v[146:147] op_sel:[0,0,1] op_sel_hi:[1,0,0]
	v_dual_mul_f32 v146, v145, v135 :: v_dual_mov_b32 v142, v145
	s_delay_alu instid0(VALU_DEP_2) | instskip(NEXT) | instid1(VALU_DEP_2)
	v_dual_mov_b32 v149, v143 :: v_dual_mov_b32 v143, v144
	v_pk_fma_f32 v[146:147], v[144:145], v[62:63], v[146:147] op_sel_hi:[1,1,0] neg_lo:[0,0,1] neg_hi:[0,0,1]
	v_mul_f32_e32 v144, v145, v132
	s_delay_alu instid0(VALU_DEP_3) | instskip(NEXT) | instid1(VALU_DEP_2)
	v_pk_add_f32 v[80:81], v[80:81], v[148:149] neg_lo:[0,1] neg_hi:[0,1]
	v_pk_fma_f32 v[142:143], v[142:143], v[62:63], v[144:145] op_sel_hi:[1,1,0]
	s_delay_alu instid0(VALU_DEP_1) | instskip(SKIP_4) | instid1(VALU_DEP_1)
	v_mov_b32_e32 v147, v143
	ds_load_2addr_b64 v[142:145], v136 offset0:46 offset1:47
	v_pk_add_f32 v[78:79], v[78:79], v[146:147] neg_lo:[0,1] neg_hi:[0,1]
	s_wait_dscnt 0x0
	v_pk_mul_f32 v[146:147], v[142:143], v[134:135] op_sel:[0,1]
	v_pk_fma_f32 v[148:149], v[142:143], v[132:133], v[146:147] op_sel:[0,0,1] op_sel_hi:[1,1,0] neg_lo:[0,0,1] neg_hi:[0,0,1]
	v_pk_fma_f32 v[142:143], v[142:143], v[132:133], v[146:147] op_sel:[0,0,1] op_sel_hi:[1,0,0]
	s_delay_alu instid0(VALU_DEP_1) | instskip(SKIP_1) | instid1(VALU_DEP_1)
	v_mov_b32_e32 v149, v143
	v_pk_mul_f32 v[142:143], v[144:145], v[134:135] op_sel:[0,1]
	v_pk_fma_f32 v[146:147], v[144:145], v[132:133], v[142:143] op_sel:[0,0,1] op_sel_hi:[1,1,0] neg_lo:[0,0,1] neg_hi:[0,0,1]
	v_pk_fma_f32 v[142:143], v[144:145], v[132:133], v[142:143] op_sel:[0,0,1] op_sel_hi:[1,0,0]
	s_delay_alu instid0(VALU_DEP_1)
	v_mov_b32_e32 v147, v143
	ds_load_2addr_b64 v[142:145], v136 offset0:48 offset1:49
	v_pk_add_f32 v[20:21], v[20:21], v[148:149] neg_lo:[0,1] neg_hi:[0,1]
	v_pk_add_f32 v[18:19], v[18:19], v[146:147] neg_lo:[0,1] neg_hi:[0,1]
	s_wait_dscnt 0x0
	v_pk_mul_f32 v[146:147], v[142:143], v[134:135] op_sel:[0,1]
	s_delay_alu instid0(VALU_DEP_1) | instskip(SKIP_1) | instid1(VALU_DEP_1)
	v_pk_fma_f32 v[148:149], v[142:143], v[132:133], v[146:147] op_sel:[0,0,1] op_sel_hi:[1,1,0] neg_lo:[0,0,1] neg_hi:[0,0,1]
	v_pk_fma_f32 v[142:143], v[142:143], v[132:133], v[146:147] op_sel:[0,0,1] op_sel_hi:[1,0,0]
	v_mov_b32_e32 v149, v143
	v_pk_mul_f32 v[142:143], v[144:145], v[134:135] op_sel:[0,1]
	s_delay_alu instid0(VALU_DEP_1) | instskip(SKIP_1) | instid1(VALU_DEP_1)
	v_pk_fma_f32 v[146:147], v[144:145], v[132:133], v[142:143] op_sel:[0,0,1] op_sel_hi:[1,1,0] neg_lo:[0,0,1] neg_hi:[0,0,1]
	v_pk_fma_f32 v[142:143], v[144:145], v[132:133], v[142:143] op_sel:[0,0,1] op_sel_hi:[1,0,0]
	v_mov_b32_e32 v147, v143
	ds_load_2addr_b64 v[142:145], v136 offset0:50 offset1:51
	v_pk_add_f32 v[76:77], v[76:77], v[148:149] neg_lo:[0,1] neg_hi:[0,1]
	v_pk_add_f32 v[74:75], v[74:75], v[146:147] neg_lo:[0,1] neg_hi:[0,1]
	s_wait_dscnt 0x0
	v_dual_mul_f32 v146, v143, v135 :: v_dual_mul_f32 v148, v143, v132
	s_delay_alu instid0(VALU_DEP_1) | instskip(NEXT) | instid1(VALU_DEP_2)
	v_pk_fma_f32 v[146:147], v[142:143], v[62:63], v[146:147] op_sel_hi:[1,1,0] neg_lo:[0,0,1] neg_hi:[0,0,1]
	v_pk_fma_f32 v[142:143], v[142:143], v[62:63], v[148:149] op_sel:[1,0,0] op_sel_hi:[0,1,0]
	s_delay_alu instid0(VALU_DEP_1) | instskip(SKIP_1) | instid1(VALU_DEP_2)
	v_mov_b32_e32 v147, v143
	v_pk_mul_f32 v[142:143], v[144:145], v[134:135] op_sel:[0,1]
	v_pk_add_f32 v[16:17], v[16:17], v[146:147] neg_lo:[0,1] neg_hi:[0,1]
	s_delay_alu instid0(VALU_DEP_2) | instskip(SKIP_1) | instid1(VALU_DEP_1)
	v_pk_fma_f32 v[146:147], v[144:145], v[132:133], v[142:143] op_sel:[0,0,1] op_sel_hi:[1,1,0] neg_lo:[0,0,1] neg_hi:[0,0,1]
	v_pk_fma_f32 v[142:143], v[144:145], v[132:133], v[142:143] op_sel:[0,0,1] op_sel_hi:[1,0,0]
	v_mov_b32_e32 v147, v143
	ds_load_2addr_b64 v[142:145], v136 offset0:52 offset1:53
	v_pk_add_f32 v[28:29], v[28:29], v[146:147] neg_lo:[0,1] neg_hi:[0,1]
	s_wait_dscnt 0x0
	v_pk_mul_f32 v[146:147], v[142:143], v[134:135] op_sel:[0,1]
	s_delay_alu instid0(VALU_DEP_1) | instskip(SKIP_1) | instid1(VALU_DEP_1)
	v_pk_fma_f32 v[148:149], v[142:143], v[132:133], v[146:147] op_sel:[0,0,1] op_sel_hi:[1,1,0] neg_lo:[0,0,1] neg_hi:[0,0,1]
	v_pk_fma_f32 v[142:143], v[142:143], v[132:133], v[146:147] op_sel:[0,0,1] op_sel_hi:[1,0,0]
	v_mov_b32_e32 v149, v143
	v_pk_mul_f32 v[142:143], v[144:145], v[134:135] op_sel:[0,1]
	s_delay_alu instid0(VALU_DEP_2) | instskip(NEXT) | instid1(VALU_DEP_2)
	v_pk_add_f32 v[68:69], v[68:69], v[148:149] neg_lo:[0,1] neg_hi:[0,1]
	v_pk_fma_f32 v[146:147], v[144:145], v[132:133], v[142:143] op_sel:[0,0,1] op_sel_hi:[1,1,0] neg_lo:[0,0,1] neg_hi:[0,0,1]
	v_pk_fma_f32 v[142:143], v[144:145], v[132:133], v[142:143] op_sel:[0,0,1] op_sel_hi:[1,0,0]
	s_delay_alu instid0(VALU_DEP_1) | instskip(SKIP_4) | instid1(VALU_DEP_1)
	v_mov_b32_e32 v147, v143
	ds_load_2addr_b64 v[142:145], v136 offset0:54 offset1:55
	v_pk_add_f32 v[66:67], v[66:67], v[146:147] neg_lo:[0,1] neg_hi:[0,1]
	s_wait_dscnt 0x0
	v_pk_mul_f32 v[146:147], v[142:143], v[134:135] op_sel:[0,1]
	v_pk_fma_f32 v[148:149], v[142:143], v[132:133], v[146:147] op_sel:[0,0,1] op_sel_hi:[1,1,0] neg_lo:[0,0,1] neg_hi:[0,0,1]
	v_pk_fma_f32 v[142:143], v[142:143], v[132:133], v[146:147] op_sel:[0,0,1] op_sel_hi:[1,0,0]
	v_dual_mul_f32 v146, v145, v135 :: v_dual_mov_b32 v142, v145
	s_delay_alu instid0(VALU_DEP_2) | instskip(NEXT) | instid1(VALU_DEP_2)
	v_dual_mov_b32 v149, v143 :: v_dual_mov_b32 v143, v144
	v_pk_fma_f32 v[146:147], v[144:145], v[62:63], v[146:147] op_sel_hi:[1,1,0] neg_lo:[0,0,1] neg_hi:[0,0,1]
	v_mul_f32_e32 v144, v145, v132
	s_delay_alu instid0(VALU_DEP_3) | instskip(NEXT) | instid1(VALU_DEP_2)
	v_pk_add_f32 v[10:11], v[10:11], v[148:149] neg_lo:[0,1] neg_hi:[0,1]
	v_pk_fma_f32 v[142:143], v[142:143], v[62:63], v[144:145] op_sel_hi:[1,1,0]
	s_delay_alu instid0(VALU_DEP_1) | instskip(SKIP_4) | instid1(VALU_DEP_1)
	v_mov_b32_e32 v147, v143
	ds_load_2addr_b64 v[142:145], v136 offset0:56 offset1:57
	v_pk_add_f32 v[8:9], v[8:9], v[146:147] neg_lo:[0,1] neg_hi:[0,1]
	s_wait_dscnt 0x0
	v_pk_mul_f32 v[146:147], v[142:143], v[134:135] op_sel:[0,1]
	v_pk_fma_f32 v[148:149], v[142:143], v[132:133], v[146:147] op_sel:[0,0,1] op_sel_hi:[1,1,0] neg_lo:[0,0,1] neg_hi:[0,0,1]
	v_pk_fma_f32 v[142:143], v[142:143], v[132:133], v[146:147] op_sel:[0,0,1] op_sel_hi:[1,0,0]
	s_delay_alu instid0(VALU_DEP_1) | instskip(SKIP_1) | instid1(VALU_DEP_1)
	v_mov_b32_e32 v149, v143
	v_pk_mul_f32 v[142:143], v[144:145], v[134:135] op_sel:[0,1]
	v_pk_fma_f32 v[146:147], v[144:145], v[132:133], v[142:143] op_sel:[0,0,1] op_sel_hi:[1,1,0] neg_lo:[0,0,1] neg_hi:[0,0,1]
	v_pk_fma_f32 v[142:143], v[144:145], v[132:133], v[142:143] op_sel:[0,0,1] op_sel_hi:[1,0,0]
	s_delay_alu instid0(VALU_DEP_1)
	v_mov_b32_e32 v147, v143
	ds_load_2addr_b64 v[142:145], v136 offset0:58 offset1:59
	v_pk_add_f32 v[34:35], v[34:35], v[148:149] neg_lo:[0,1] neg_hi:[0,1]
	v_pk_add_f32 v[30:31], v[30:31], v[146:147] neg_lo:[0,1] neg_hi:[0,1]
	s_wait_dscnt 0x0
	v_pk_mul_f32 v[146:147], v[142:143], v[134:135] op_sel:[0,1]
	s_delay_alu instid0(VALU_DEP_1) | instskip(SKIP_1) | instid1(VALU_DEP_1)
	v_pk_fma_f32 v[148:149], v[142:143], v[132:133], v[146:147] op_sel:[0,0,1] op_sel_hi:[1,1,0] neg_lo:[0,0,1] neg_hi:[0,0,1]
	v_pk_fma_f32 v[142:143], v[142:143], v[132:133], v[146:147] op_sel:[0,0,1] op_sel_hi:[1,0,0]
	v_mov_b32_e32 v149, v143
	v_pk_mul_f32 v[142:143], v[144:145], v[134:135] op_sel:[0,1]
	s_delay_alu instid0(VALU_DEP_1) | instskip(SKIP_1) | instid1(VALU_DEP_1)
	v_pk_fma_f32 v[146:147], v[144:145], v[132:133], v[142:143] op_sel:[0,0,1] op_sel_hi:[1,1,0] neg_lo:[0,0,1] neg_hi:[0,0,1]
	v_pk_fma_f32 v[142:143], v[144:145], v[132:133], v[142:143] op_sel:[0,0,1] op_sel_hi:[1,0,0]
	v_mov_b32_e32 v147, v143
	ds_load_2addr_b64 v[142:145], v136 offset0:60 offset1:61
	v_pk_add_f32 v[6:7], v[6:7], v[148:149] neg_lo:[0,1] neg_hi:[0,1]
	v_pk_add_f32 v[26:27], v[26:27], v[146:147] neg_lo:[0,1] neg_hi:[0,1]
	s_wait_dscnt 0x0
	v_dual_mul_f32 v146, v143, v135 :: v_dual_mul_f32 v148, v143, v132
	s_delay_alu instid0(VALU_DEP_1) | instskip(NEXT) | instid1(VALU_DEP_2)
	v_pk_fma_f32 v[146:147], v[142:143], v[62:63], v[146:147] op_sel_hi:[1,1,0] neg_lo:[0,0,1] neg_hi:[0,0,1]
	v_pk_fma_f32 v[142:143], v[142:143], v[62:63], v[148:149] op_sel:[1,0,0] op_sel_hi:[0,1,0]
	s_delay_alu instid0(VALU_DEP_1) | instskip(SKIP_1) | instid1(VALU_DEP_2)
	v_mov_b32_e32 v147, v143
	v_pk_mul_f32 v[142:143], v[144:145], v[134:135] op_sel:[0,1]
	v_pk_add_f32 v[14:15], v[14:15], v[146:147] neg_lo:[0,1] neg_hi:[0,1]
	s_delay_alu instid0(VALU_DEP_2) | instskip(SKIP_1) | instid1(VALU_DEP_1)
	v_pk_fma_f32 v[146:147], v[144:145], v[132:133], v[142:143] op_sel:[0,0,1] op_sel_hi:[1,1,0] neg_lo:[0,0,1] neg_hi:[0,0,1]
	v_pk_fma_f32 v[142:143], v[144:145], v[132:133], v[142:143] op_sel:[0,0,1] op_sel_hi:[1,0,0]
	v_mov_b32_e32 v147, v143
	ds_load_b64 v[142:143], v136 offset:496
	v_pk_add_f32 v[12:13], v[12:13], v[146:147] neg_lo:[0,1] neg_hi:[0,1]
	s_wait_dscnt 0x0
	v_pk_mul_f32 v[134:135], v[142:143], v[134:135] op_sel:[0,1]
	s_delay_alu instid0(VALU_DEP_1) | instskip(SKIP_1) | instid1(VALU_DEP_1)
	v_pk_fma_f32 v[144:145], v[142:143], v[132:133], v[134:135] op_sel:[0,0,1] op_sel_hi:[1,1,0] neg_lo:[0,0,1] neg_hi:[0,0,1]
	v_pk_fma_f32 v[132:133], v[142:143], v[132:133], v[134:135] op_sel:[0,0,1] op_sel_hi:[1,0,0]
	v_mov_b32_e32 v145, v133
	s_delay_alu instid0(VALU_DEP_1)
	v_pk_add_f32 v[130:131], v[130:131], v[144:145] neg_lo:[0,1] neg_hi:[0,1]
.LBB124_251:
	s_or_b32 exec_lo, exec_lo, s0
	v_lshl_add_u32 v132, v140, 3, v136
	s_barrier_signal -1
	s_barrier_wait -1
	ds_store_b64 v132, v[112:113]
	s_wait_dscnt 0x0
	s_barrier_signal -1
	s_barrier_wait -1
	ds_load_b64 v[134:135], v136 offset:96
	v_mov_b32_e32 v132, 12
	s_cmp_lt_i32 s18, 14
	s_cbranch_scc1 .LBB124_254
; %bb.252:
	v_add3_u32 v133, v137, 0, 0x68
	v_mov_b32_e32 v132, 12
	s_mov_b32 s0, 13
.LBB124_253:                            ; =>This Inner Loop Header: Depth=1
	ds_load_b64 v[142:143], v133
	s_wait_dscnt 0x1
	v_cmp_gt_f32_e32 vcc_lo, 0, v134
	v_cndmask_b32_e64 v144, v134, -v134, vcc_lo
	v_cmp_gt_f32_e32 vcc_lo, 0, v135
	v_cndmask_b32_e64 v146, v135, -v135, vcc_lo
	s_wait_dscnt 0x0
	v_cmp_gt_f32_e32 vcc_lo, 0, v142
	v_cndmask_b32_e64 v145, v142, -v142, vcc_lo
	v_cmp_gt_f32_e32 vcc_lo, 0, v143
	v_cndmask_b32_e64 v147, v143, -v143, vcc_lo
	s_delay_alu instid0(VALU_DEP_1) | instskip(NEXT) | instid1(VALU_DEP_1)
	v_pk_add_f32 v[144:145], v[144:145], v[146:147]
	v_cmp_lt_f32_e32 vcc_lo, v144, v145
	v_dual_add_nc_u32 v133, 8, v133 :: v_dual_cndmask_b32 v135, v135, v143, vcc_lo
	v_cndmask_b32_e32 v134, v134, v142, vcc_lo
	v_cndmask_b32_e64 v132, v132, s0, vcc_lo
	s_add_co_i32 s0, s0, 1
	s_delay_alu instid0(SALU_CYCLE_1)
	s_cmp_lg_u32 s18, s0
	s_cbranch_scc1 .LBB124_253
.LBB124_254:
	s_wait_dscnt 0x0
	v_cmp_eq_f32_e32 vcc_lo, 0, v134
	v_cmp_eq_f32_e64 s0, 0, v135
	s_and_b32 s0, vcc_lo, s0
	s_delay_alu instid0(SALU_CYCLE_1) | instskip(NEXT) | instid1(SALU_CYCLE_1)
	s_and_saveexec_b32 s1, s0
	s_xor_b32 s0, exec_lo, s1
; %bb.255:
	v_cmp_ne_u32_e32 vcc_lo, 0, v138
	v_cndmask_b32_e32 v138, 13, v138, vcc_lo
; %bb.256:
	s_and_not1_saveexec_b32 s0, s0
	s_cbranch_execz .LBB124_262
; %bb.257:
	v_cmp_ngt_f32_e64 s1, |v134|, |v135|
	s_and_saveexec_b32 s12, s1
	s_delay_alu instid0(SALU_CYCLE_1)
	s_xor_b32 s1, exec_lo, s12
	s_cbranch_execz .LBB124_259
; %bb.258:
	v_div_scale_f32 v133, null, v135, v135, v134
	v_div_scale_f32 v143, vcc_lo, v134, v135, v134
	s_delay_alu instid0(VALU_DEP_2) | instskip(SKIP_1) | instid1(TRANS32_DEP_1)
	v_rcp_f32_e32 v141, v133
	v_nop
	v_fma_f32 v142, -v133, v141, 1.0
	s_delay_alu instid0(VALU_DEP_1) | instskip(NEXT) | instid1(VALU_DEP_1)
	v_fmac_f32_e32 v141, v142, v141
	v_mul_f32_e32 v142, v143, v141
	s_delay_alu instid0(VALU_DEP_1) | instskip(NEXT) | instid1(VALU_DEP_1)
	v_fma_f32 v144, -v133, v142, v143
	v_fmac_f32_e32 v142, v144, v141
	s_delay_alu instid0(VALU_DEP_1) | instskip(NEXT) | instid1(VALU_DEP_1)
	v_fma_f32 v133, -v133, v142, v143
	v_div_fmas_f32 v133, v133, v141, v142
	s_delay_alu instid0(VALU_DEP_1) | instskip(NEXT) | instid1(VALU_DEP_1)
	v_div_fixup_f32 v133, v133, v135, v134
	v_fmac_f32_e32 v135, v134, v133
	s_delay_alu instid0(VALU_DEP_1) | instskip(SKIP_1) | instid1(VALU_DEP_2)
	v_div_scale_f32 v134, null, v135, v135, 1.0
	v_div_scale_f32 v143, vcc_lo, 1.0, v135, 1.0
	v_rcp_f32_e32 v141, v134
	v_nop
	s_delay_alu instid0(TRANS32_DEP_1) | instskip(NEXT) | instid1(VALU_DEP_1)
	v_fma_f32 v142, -v134, v141, 1.0
	v_fmac_f32_e32 v141, v142, v141
	s_delay_alu instid0(VALU_DEP_1) | instskip(NEXT) | instid1(VALU_DEP_1)
	v_mul_f32_e32 v142, v143, v141
	v_fma_f32 v144, -v134, v142, v143
	s_delay_alu instid0(VALU_DEP_1) | instskip(NEXT) | instid1(VALU_DEP_1)
	v_fmac_f32_e32 v142, v144, v141
	v_fma_f32 v134, -v134, v142, v143
	s_delay_alu instid0(VALU_DEP_1) | instskip(NEXT) | instid1(VALU_DEP_1)
	v_div_fmas_f32 v134, v134, v141, v142
	v_div_fixup_f32 v135, v134, v135, 1.0
	s_delay_alu instid0(VALU_DEP_1)
	v_mul_f32_e32 v134, v133, v135
	v_xor_b32_e32 v135, 0x80000000, v135
.LBB124_259:
	s_and_not1_saveexec_b32 s1, s1
	s_cbranch_execz .LBB124_261
; %bb.260:
	s_delay_alu instid0(VALU_DEP_1) | instskip(SKIP_1) | instid1(VALU_DEP_2)
	v_div_scale_f32 v133, null, v134, v134, v135
	v_div_scale_f32 v143, vcc_lo, v135, v134, v135
	v_rcp_f32_e32 v141, v133
	v_nop
	s_delay_alu instid0(TRANS32_DEP_1) | instskip(NEXT) | instid1(VALU_DEP_1)
	v_fma_f32 v142, -v133, v141, 1.0
	v_fmac_f32_e32 v141, v142, v141
	s_delay_alu instid0(VALU_DEP_1) | instskip(NEXT) | instid1(VALU_DEP_1)
	v_mul_f32_e32 v142, v143, v141
	v_fma_f32 v144, -v133, v142, v143
	s_delay_alu instid0(VALU_DEP_1) | instskip(NEXT) | instid1(VALU_DEP_1)
	v_fmac_f32_e32 v142, v144, v141
	v_fma_f32 v133, -v133, v142, v143
	s_delay_alu instid0(VALU_DEP_1) | instskip(NEXT) | instid1(VALU_DEP_1)
	v_div_fmas_f32 v133, v133, v141, v142
	v_div_fixup_f32 v133, v133, v134, v135
	s_delay_alu instid0(VALU_DEP_1) | instskip(NEXT) | instid1(VALU_DEP_1)
	v_fmac_f32_e32 v134, v135, v133
	v_div_scale_f32 v135, null, v134, v134, 1.0
	s_delay_alu instid0(VALU_DEP_1) | instskip(SKIP_1) | instid1(TRANS32_DEP_1)
	v_rcp_f32_e32 v141, v135
	v_nop
	v_fma_f32 v142, -v135, v141, 1.0
	s_delay_alu instid0(VALU_DEP_1) | instskip(SKIP_1) | instid1(VALU_DEP_1)
	v_fmac_f32_e32 v141, v142, v141
	v_div_scale_f32 v142, vcc_lo, 1.0, v134, 1.0
	v_mul_f32_e32 v143, v142, v141
	s_delay_alu instid0(VALU_DEP_1) | instskip(NEXT) | instid1(VALU_DEP_1)
	v_fma_f32 v144, -v135, v143, v142
	v_fmac_f32_e32 v143, v144, v141
	s_delay_alu instid0(VALU_DEP_1) | instskip(NEXT) | instid1(VALU_DEP_1)
	v_fma_f32 v135, -v135, v143, v142
	v_div_fmas_f32 v135, v135, v141, v143
	s_delay_alu instid0(VALU_DEP_1) | instskip(NEXT) | instid1(VALU_DEP_1)
	v_div_fixup_f32 v134, v135, v134, 1.0
	v_mul_f32_e64 v135, v133, -v134
.LBB124_261:
	s_or_b32 exec_lo, exec_lo, s1
.LBB124_262:
	s_delay_alu instid0(SALU_CYCLE_1) | instskip(NEXT) | instid1(SALU_CYCLE_1)
	s_or_b32 exec_lo, exec_lo, s0
	s_mov_b32 s0, exec_lo
	v_cmpx_ne_u32_e64 v140, v132
	s_xor_b32 s0, exec_lo, s0
	s_cbranch_execz .LBB124_268
; %bb.263:
	s_mov_b32 s1, exec_lo
	v_cmpx_eq_u32_e32 12, v140
	s_cbranch_execz .LBB124_267
; %bb.264:
	v_cmp_ne_u32_e32 vcc_lo, 12, v132
	s_xor_b32 s12, s16, -1
	s_delay_alu instid0(SALU_CYCLE_1) | instskip(NEXT) | instid1(SALU_CYCLE_1)
	s_and_b32 s13, s12, vcc_lo
	s_and_saveexec_b32 s12, s13
	s_cbranch_execz .LBB124_266
; %bb.265:
	v_ashrrev_i32_e32 v133, 31, v132
	s_delay_alu instid0(VALU_DEP_1)
	v_lshl_add_u64 v[140:141], v[132:133], 2, v[4:5]
	s_clause 0x1
	global_load_b32 v133, v[140:141], off
	global_load_b32 v139, v[4:5], off offset:48
	s_wait_loadcnt 0x1
	global_store_b32 v[4:5], v133, off offset:48
	s_wait_loadcnt 0x0
	global_store_b32 v[140:141], v139, off
.LBB124_266:
	s_wait_xcnt 0x0
	s_or_b32 exec_lo, exec_lo, s12
	v_dual_mov_b32 v140, v132 :: v_dual_mov_b32 v139, v132
.LBB124_267:
	s_or_b32 exec_lo, exec_lo, s1
.LBB124_268:
	s_and_not1_saveexec_b32 s0, s0
	s_cbranch_execz .LBB124_270
; %bb.269:
	v_mov_b32_e32 v140, 12
	ds_store_2addr_b64 v136, v[110:111], v[60:61] offset0:13 offset1:14
	ds_store_2addr_b64 v136, v[58:59], v[108:109] offset0:15 offset1:16
	;; [unrolled: 1-line block ×25, first 2 shown]
.LBB124_270:
	s_or_b32 exec_lo, exec_lo, s0
	s_delay_alu instid0(SALU_CYCLE_1)
	s_mov_b32 s0, exec_lo
	s_wait_storecnt_dscnt 0x0
	s_barrier_signal -1
	s_barrier_wait -1
	v_cmpx_lt_i32_e32 12, v140
	s_cbranch_execz .LBB124_272
; %bb.271:
	v_pk_mul_f32 v[142:143], v[134:135], v[112:113] op_sel:[1,1] op_sel_hi:[0,1]
	s_delay_alu instid0(VALU_DEP_1)
	v_pk_fma_f32 v[132:133], v[134:135], v[112:113], v[142:143] op_sel_hi:[1,0,1] neg_lo:[0,0,1] neg_hi:[0,0,1]
	v_pk_fma_f32 v[134:135], v[134:135], v[112:113], v[142:143] op_sel_hi:[1,0,1]
	ds_load_2addr_b64 v[142:145], v136 offset0:13 offset1:14
	v_dual_mov_b32 v112, v132 :: v_dual_mov_b32 v113, v135
	s_wait_dscnt 0x0
	v_pk_mul_f32 v[146:147], v[142:143], v[134:135] op_sel:[0,1]
	s_delay_alu instid0(VALU_DEP_1) | instskip(SKIP_1) | instid1(VALU_DEP_1)
	v_pk_fma_f32 v[148:149], v[142:143], v[132:133], v[146:147] op_sel:[0,0,1] op_sel_hi:[1,1,0] neg_lo:[0,0,1] neg_hi:[0,0,1]
	v_pk_fma_f32 v[142:143], v[142:143], v[132:133], v[146:147] op_sel:[0,0,1] op_sel_hi:[1,0,0]
	v_mov_b32_e32 v149, v143
	v_pk_mul_f32 v[142:143], v[144:145], v[134:135] op_sel:[0,1]
	s_delay_alu instid0(VALU_DEP_1) | instskip(SKIP_1) | instid1(VALU_DEP_1)
	v_pk_fma_f32 v[146:147], v[144:145], v[132:133], v[142:143] op_sel:[0,0,1] op_sel_hi:[1,1,0] neg_lo:[0,0,1] neg_hi:[0,0,1]
	v_pk_fma_f32 v[142:143], v[144:145], v[132:133], v[142:143] op_sel:[0,0,1] op_sel_hi:[1,0,0]
	v_mov_b32_e32 v147, v143
	ds_load_2addr_b64 v[142:145], v136 offset0:15 offset1:16
	v_pk_add_f32 v[110:111], v[110:111], v[148:149] neg_lo:[0,1] neg_hi:[0,1]
	v_pk_add_f32 v[60:61], v[60:61], v[146:147] neg_lo:[0,1] neg_hi:[0,1]
	s_wait_dscnt 0x0
	v_pk_mul_f32 v[146:147], v[142:143], v[134:135] op_sel:[0,1]
	s_delay_alu instid0(VALU_DEP_1) | instskip(SKIP_2) | instid1(VALU_DEP_2)
	v_pk_fma_f32 v[148:149], v[142:143], v[132:133], v[146:147] op_sel:[0,0,1] op_sel_hi:[1,1,0] neg_lo:[0,0,1] neg_hi:[0,0,1]
	v_pk_fma_f32 v[142:143], v[142:143], v[132:133], v[146:147] op_sel:[0,0,1] op_sel_hi:[1,0,0]
	v_dual_mul_f32 v146, v145, v135 :: v_dual_mov_b32 v142, v145
	v_dual_mov_b32 v149, v143 :: v_dual_mov_b32 v143, v144
	s_delay_alu instid0(VALU_DEP_2) | instskip(SKIP_1) | instid1(VALU_DEP_3)
	v_pk_fma_f32 v[146:147], v[144:145], v[112:113], v[146:147] op_sel_hi:[1,1,0] neg_lo:[0,0,1] neg_hi:[0,0,1]
	v_mul_f32_e32 v144, v145, v132
	v_pk_add_f32 v[58:59], v[58:59], v[148:149] neg_lo:[0,1] neg_hi:[0,1]
	s_delay_alu instid0(VALU_DEP_2) | instskip(NEXT) | instid1(VALU_DEP_1)
	v_pk_fma_f32 v[142:143], v[142:143], v[112:113], v[144:145] op_sel_hi:[1,1,0]
	v_mov_b32_e32 v147, v143
	ds_load_2addr_b64 v[142:145], v136 offset0:17 offset1:18
	v_pk_add_f32 v[108:109], v[108:109], v[146:147] neg_lo:[0,1] neg_hi:[0,1]
	s_wait_dscnt 0x0
	v_pk_mul_f32 v[146:147], v[142:143], v[134:135] op_sel:[0,1]
	s_delay_alu instid0(VALU_DEP_1) | instskip(SKIP_1) | instid1(VALU_DEP_1)
	v_pk_fma_f32 v[148:149], v[142:143], v[132:133], v[146:147] op_sel:[0,0,1] op_sel_hi:[1,1,0] neg_lo:[0,0,1] neg_hi:[0,0,1]
	v_pk_fma_f32 v[142:143], v[142:143], v[132:133], v[146:147] op_sel:[0,0,1] op_sel_hi:[1,0,0]
	v_mov_b32_e32 v149, v143
	v_pk_mul_f32 v[142:143], v[144:145], v[134:135] op_sel:[0,1]
	s_delay_alu instid0(VALU_DEP_1) | instskip(SKIP_1) | instid1(VALU_DEP_1)
	v_pk_fma_f32 v[146:147], v[144:145], v[132:133], v[142:143] op_sel:[0,0,1] op_sel_hi:[1,1,0] neg_lo:[0,0,1] neg_hi:[0,0,1]
	v_pk_fma_f32 v[142:143], v[144:145], v[132:133], v[142:143] op_sel:[0,0,1] op_sel_hi:[1,0,0]
	v_mov_b32_e32 v147, v143
	ds_load_2addr_b64 v[142:145], v136 offset0:19 offset1:20
	v_pk_add_f32 v[106:107], v[106:107], v[148:149] neg_lo:[0,1] neg_hi:[0,1]
	v_pk_add_f32 v[56:57], v[56:57], v[146:147] neg_lo:[0,1] neg_hi:[0,1]
	s_wait_dscnt 0x0
	v_pk_mul_f32 v[146:147], v[142:143], v[134:135] op_sel:[0,1]
	s_delay_alu instid0(VALU_DEP_1) | instskip(SKIP_1) | instid1(VALU_DEP_1)
	v_pk_fma_f32 v[148:149], v[142:143], v[132:133], v[146:147] op_sel:[0,0,1] op_sel_hi:[1,1,0] neg_lo:[0,0,1] neg_hi:[0,0,1]
	v_pk_fma_f32 v[142:143], v[142:143], v[132:133], v[146:147] op_sel:[0,0,1] op_sel_hi:[1,0,0]
	v_mov_b32_e32 v149, v143
	v_pk_mul_f32 v[142:143], v[144:145], v[134:135] op_sel:[0,1]
	s_delay_alu instid0(VALU_DEP_1) | instskip(SKIP_1) | instid1(VALU_DEP_1)
	v_pk_fma_f32 v[146:147], v[144:145], v[132:133], v[142:143] op_sel:[0,0,1] op_sel_hi:[1,1,0] neg_lo:[0,0,1] neg_hi:[0,0,1]
	v_pk_fma_f32 v[142:143], v[144:145], v[132:133], v[142:143] op_sel:[0,0,1] op_sel_hi:[1,0,0]
	v_mov_b32_e32 v147, v143
	ds_load_2addr_b64 v[142:145], v136 offset0:21 offset1:22
	v_pk_add_f32 v[54:55], v[54:55], v[148:149] neg_lo:[0,1] neg_hi:[0,1]
	v_pk_add_f32 v[104:105], v[104:105], v[146:147] neg_lo:[0,1] neg_hi:[0,1]
	s_wait_dscnt 0x0
	v_dual_mul_f32 v146, v143, v135 :: v_dual_mul_f32 v148, v143, v132
	s_delay_alu instid0(VALU_DEP_1) | instskip(NEXT) | instid1(VALU_DEP_2)
	v_pk_fma_f32 v[146:147], v[142:143], v[112:113], v[146:147] op_sel_hi:[1,1,0] neg_lo:[0,0,1] neg_hi:[0,0,1]
	v_pk_fma_f32 v[142:143], v[142:143], v[112:113], v[148:149] op_sel:[1,0,0] op_sel_hi:[0,1,0]
	s_delay_alu instid0(VALU_DEP_1) | instskip(SKIP_1) | instid1(VALU_DEP_2)
	v_mov_b32_e32 v147, v143
	v_pk_mul_f32 v[142:143], v[144:145], v[134:135] op_sel:[0,1]
	v_pk_add_f32 v[102:103], v[102:103], v[146:147] neg_lo:[0,1] neg_hi:[0,1]
	s_delay_alu instid0(VALU_DEP_2) | instskip(SKIP_1) | instid1(VALU_DEP_1)
	v_pk_fma_f32 v[146:147], v[144:145], v[132:133], v[142:143] op_sel:[0,0,1] op_sel_hi:[1,1,0] neg_lo:[0,0,1] neg_hi:[0,0,1]
	v_pk_fma_f32 v[142:143], v[144:145], v[132:133], v[142:143] op_sel:[0,0,1] op_sel_hi:[1,0,0]
	v_mov_b32_e32 v147, v143
	ds_load_2addr_b64 v[142:145], v136 offset0:23 offset1:24
	v_pk_add_f32 v[52:53], v[52:53], v[146:147] neg_lo:[0,1] neg_hi:[0,1]
	s_wait_dscnt 0x0
	v_pk_mul_f32 v[146:147], v[142:143], v[134:135] op_sel:[0,1]
	s_delay_alu instid0(VALU_DEP_1) | instskip(SKIP_1) | instid1(VALU_DEP_1)
	v_pk_fma_f32 v[148:149], v[142:143], v[132:133], v[146:147] op_sel:[0,0,1] op_sel_hi:[1,1,0] neg_lo:[0,0,1] neg_hi:[0,0,1]
	v_pk_fma_f32 v[142:143], v[142:143], v[132:133], v[146:147] op_sel:[0,0,1] op_sel_hi:[1,0,0]
	v_mov_b32_e32 v149, v143
	v_pk_mul_f32 v[142:143], v[144:145], v[134:135] op_sel:[0,1]
	s_delay_alu instid0(VALU_DEP_2) | instskip(NEXT) | instid1(VALU_DEP_2)
	v_pk_add_f32 v[50:51], v[50:51], v[148:149] neg_lo:[0,1] neg_hi:[0,1]
	v_pk_fma_f32 v[146:147], v[144:145], v[132:133], v[142:143] op_sel:[0,0,1] op_sel_hi:[1,1,0] neg_lo:[0,0,1] neg_hi:[0,0,1]
	v_pk_fma_f32 v[142:143], v[144:145], v[132:133], v[142:143] op_sel:[0,0,1] op_sel_hi:[1,0,0]
	s_delay_alu instid0(VALU_DEP_1) | instskip(SKIP_4) | instid1(VALU_DEP_1)
	v_mov_b32_e32 v147, v143
	ds_load_2addr_b64 v[142:145], v136 offset0:25 offset1:26
	v_pk_add_f32 v[100:101], v[100:101], v[146:147] neg_lo:[0,1] neg_hi:[0,1]
	s_wait_dscnt 0x0
	v_pk_mul_f32 v[146:147], v[142:143], v[134:135] op_sel:[0,1]
	v_pk_fma_f32 v[148:149], v[142:143], v[132:133], v[146:147] op_sel:[0,0,1] op_sel_hi:[1,1,0] neg_lo:[0,0,1] neg_hi:[0,0,1]
	v_pk_fma_f32 v[142:143], v[142:143], v[132:133], v[146:147] op_sel:[0,0,1] op_sel_hi:[1,0,0]
	v_dual_mul_f32 v146, v145, v135 :: v_dual_mov_b32 v142, v145
	s_delay_alu instid0(VALU_DEP_2) | instskip(NEXT) | instid1(VALU_DEP_2)
	v_dual_mov_b32 v149, v143 :: v_dual_mov_b32 v143, v144
	v_pk_fma_f32 v[146:147], v[144:145], v[112:113], v[146:147] op_sel_hi:[1,1,0] neg_lo:[0,0,1] neg_hi:[0,0,1]
	v_mul_f32_e32 v144, v145, v132
	s_delay_alu instid0(VALU_DEP_3) | instskip(NEXT) | instid1(VALU_DEP_2)
	v_pk_add_f32 v[98:99], v[98:99], v[148:149] neg_lo:[0,1] neg_hi:[0,1]
	v_pk_fma_f32 v[142:143], v[142:143], v[112:113], v[144:145] op_sel_hi:[1,1,0]
	s_delay_alu instid0(VALU_DEP_1) | instskip(SKIP_4) | instid1(VALU_DEP_1)
	v_mov_b32_e32 v147, v143
	ds_load_2addr_b64 v[142:145], v136 offset0:27 offset1:28
	v_pk_add_f32 v[48:49], v[48:49], v[146:147] neg_lo:[0,1] neg_hi:[0,1]
	s_wait_dscnt 0x0
	v_pk_mul_f32 v[146:147], v[142:143], v[134:135] op_sel:[0,1]
	v_pk_fma_f32 v[148:149], v[142:143], v[132:133], v[146:147] op_sel:[0,0,1] op_sel_hi:[1,1,0] neg_lo:[0,0,1] neg_hi:[0,0,1]
	v_pk_fma_f32 v[142:143], v[142:143], v[132:133], v[146:147] op_sel:[0,0,1] op_sel_hi:[1,0,0]
	s_delay_alu instid0(VALU_DEP_1) | instskip(SKIP_1) | instid1(VALU_DEP_1)
	v_mov_b32_e32 v149, v143
	v_pk_mul_f32 v[142:143], v[144:145], v[134:135] op_sel:[0,1]
	v_pk_fma_f32 v[146:147], v[144:145], v[132:133], v[142:143] op_sel:[0,0,1] op_sel_hi:[1,1,0] neg_lo:[0,0,1] neg_hi:[0,0,1]
	v_pk_fma_f32 v[142:143], v[144:145], v[132:133], v[142:143] op_sel:[0,0,1] op_sel_hi:[1,0,0]
	s_delay_alu instid0(VALU_DEP_1)
	v_mov_b32_e32 v147, v143
	ds_load_2addr_b64 v[142:145], v136 offset0:29 offset1:30
	v_pk_add_f32 v[46:47], v[46:47], v[148:149] neg_lo:[0,1] neg_hi:[0,1]
	v_pk_add_f32 v[96:97], v[96:97], v[146:147] neg_lo:[0,1] neg_hi:[0,1]
	s_wait_dscnt 0x0
	v_pk_mul_f32 v[146:147], v[142:143], v[134:135] op_sel:[0,1]
	s_delay_alu instid0(VALU_DEP_1) | instskip(SKIP_1) | instid1(VALU_DEP_1)
	v_pk_fma_f32 v[148:149], v[142:143], v[132:133], v[146:147] op_sel:[0,0,1] op_sel_hi:[1,1,0] neg_lo:[0,0,1] neg_hi:[0,0,1]
	v_pk_fma_f32 v[142:143], v[142:143], v[132:133], v[146:147] op_sel:[0,0,1] op_sel_hi:[1,0,0]
	v_mov_b32_e32 v149, v143
	v_pk_mul_f32 v[142:143], v[144:145], v[134:135] op_sel:[0,1]
	s_delay_alu instid0(VALU_DEP_1) | instskip(SKIP_1) | instid1(VALU_DEP_1)
	v_pk_fma_f32 v[146:147], v[144:145], v[132:133], v[142:143] op_sel:[0,0,1] op_sel_hi:[1,1,0] neg_lo:[0,0,1] neg_hi:[0,0,1]
	v_pk_fma_f32 v[142:143], v[144:145], v[132:133], v[142:143] op_sel:[0,0,1] op_sel_hi:[1,0,0]
	v_mov_b32_e32 v147, v143
	ds_load_2addr_b64 v[142:145], v136 offset0:31 offset1:32
	v_pk_add_f32 v[94:95], v[94:95], v[148:149] neg_lo:[0,1] neg_hi:[0,1]
	v_pk_add_f32 v[44:45], v[44:45], v[146:147] neg_lo:[0,1] neg_hi:[0,1]
	s_wait_dscnt 0x0
	v_dual_mul_f32 v146, v143, v135 :: v_dual_mul_f32 v148, v143, v132
	s_delay_alu instid0(VALU_DEP_1) | instskip(NEXT) | instid1(VALU_DEP_2)
	v_pk_fma_f32 v[146:147], v[142:143], v[112:113], v[146:147] op_sel_hi:[1,1,0] neg_lo:[0,0,1] neg_hi:[0,0,1]
	v_pk_fma_f32 v[142:143], v[142:143], v[112:113], v[148:149] op_sel:[1,0,0] op_sel_hi:[0,1,0]
	s_delay_alu instid0(VALU_DEP_1) | instskip(SKIP_1) | instid1(VALU_DEP_2)
	v_mov_b32_e32 v147, v143
	v_pk_mul_f32 v[142:143], v[144:145], v[134:135] op_sel:[0,1]
	v_pk_add_f32 v[42:43], v[42:43], v[146:147] neg_lo:[0,1] neg_hi:[0,1]
	s_delay_alu instid0(VALU_DEP_2) | instskip(SKIP_1) | instid1(VALU_DEP_1)
	v_pk_fma_f32 v[146:147], v[144:145], v[132:133], v[142:143] op_sel:[0,0,1] op_sel_hi:[1,1,0] neg_lo:[0,0,1] neg_hi:[0,0,1]
	v_pk_fma_f32 v[142:143], v[144:145], v[132:133], v[142:143] op_sel:[0,0,1] op_sel_hi:[1,0,0]
	v_mov_b32_e32 v147, v143
	ds_load_2addr_b64 v[142:145], v136 offset0:33 offset1:34
	v_pk_add_f32 v[92:93], v[92:93], v[146:147] neg_lo:[0,1] neg_hi:[0,1]
	s_wait_dscnt 0x0
	v_pk_mul_f32 v[146:147], v[142:143], v[134:135] op_sel:[0,1]
	s_delay_alu instid0(VALU_DEP_1) | instskip(SKIP_1) | instid1(VALU_DEP_1)
	v_pk_fma_f32 v[148:149], v[142:143], v[132:133], v[146:147] op_sel:[0,0,1] op_sel_hi:[1,1,0] neg_lo:[0,0,1] neg_hi:[0,0,1]
	v_pk_fma_f32 v[142:143], v[142:143], v[132:133], v[146:147] op_sel:[0,0,1] op_sel_hi:[1,0,0]
	v_mov_b32_e32 v149, v143
	v_pk_mul_f32 v[142:143], v[144:145], v[134:135] op_sel:[0,1]
	s_delay_alu instid0(VALU_DEP_2) | instskip(NEXT) | instid1(VALU_DEP_2)
	v_pk_add_f32 v[90:91], v[90:91], v[148:149] neg_lo:[0,1] neg_hi:[0,1]
	v_pk_fma_f32 v[146:147], v[144:145], v[132:133], v[142:143] op_sel:[0,0,1] op_sel_hi:[1,1,0] neg_lo:[0,0,1] neg_hi:[0,0,1]
	v_pk_fma_f32 v[142:143], v[144:145], v[132:133], v[142:143] op_sel:[0,0,1] op_sel_hi:[1,0,0]
	s_delay_alu instid0(VALU_DEP_1) | instskip(SKIP_4) | instid1(VALU_DEP_1)
	v_mov_b32_e32 v147, v143
	ds_load_2addr_b64 v[142:145], v136 offset0:35 offset1:36
	v_pk_add_f32 v[40:41], v[40:41], v[146:147] neg_lo:[0,1] neg_hi:[0,1]
	s_wait_dscnt 0x0
	v_pk_mul_f32 v[146:147], v[142:143], v[134:135] op_sel:[0,1]
	v_pk_fma_f32 v[148:149], v[142:143], v[132:133], v[146:147] op_sel:[0,0,1] op_sel_hi:[1,1,0] neg_lo:[0,0,1] neg_hi:[0,0,1]
	v_pk_fma_f32 v[142:143], v[142:143], v[132:133], v[146:147] op_sel:[0,0,1] op_sel_hi:[1,0,0]
	v_dual_mul_f32 v146, v145, v135 :: v_dual_mov_b32 v142, v145
	s_delay_alu instid0(VALU_DEP_2) | instskip(NEXT) | instid1(VALU_DEP_2)
	v_dual_mov_b32 v149, v143 :: v_dual_mov_b32 v143, v144
	v_pk_fma_f32 v[146:147], v[144:145], v[112:113], v[146:147] op_sel_hi:[1,1,0] neg_lo:[0,0,1] neg_hi:[0,0,1]
	v_mul_f32_e32 v144, v145, v132
	s_delay_alu instid0(VALU_DEP_3) | instskip(NEXT) | instid1(VALU_DEP_2)
	v_pk_add_f32 v[38:39], v[38:39], v[148:149] neg_lo:[0,1] neg_hi:[0,1]
	v_pk_fma_f32 v[142:143], v[142:143], v[112:113], v[144:145] op_sel_hi:[1,1,0]
	s_delay_alu instid0(VALU_DEP_1) | instskip(SKIP_4) | instid1(VALU_DEP_1)
	v_mov_b32_e32 v147, v143
	ds_load_2addr_b64 v[142:145], v136 offset0:37 offset1:38
	v_pk_add_f32 v[88:89], v[88:89], v[146:147] neg_lo:[0,1] neg_hi:[0,1]
	s_wait_dscnt 0x0
	v_pk_mul_f32 v[146:147], v[142:143], v[134:135] op_sel:[0,1]
	v_pk_fma_f32 v[148:149], v[142:143], v[132:133], v[146:147] op_sel:[0,0,1] op_sel_hi:[1,1,0] neg_lo:[0,0,1] neg_hi:[0,0,1]
	v_pk_fma_f32 v[142:143], v[142:143], v[132:133], v[146:147] op_sel:[0,0,1] op_sel_hi:[1,0,0]
	s_delay_alu instid0(VALU_DEP_1) | instskip(SKIP_1) | instid1(VALU_DEP_1)
	v_mov_b32_e32 v149, v143
	v_pk_mul_f32 v[142:143], v[144:145], v[134:135] op_sel:[0,1]
	v_pk_fma_f32 v[146:147], v[144:145], v[132:133], v[142:143] op_sel:[0,0,1] op_sel_hi:[1,1,0] neg_lo:[0,0,1] neg_hi:[0,0,1]
	v_pk_fma_f32 v[142:143], v[144:145], v[132:133], v[142:143] op_sel:[0,0,1] op_sel_hi:[1,0,0]
	s_delay_alu instid0(VALU_DEP_1)
	v_mov_b32_e32 v147, v143
	ds_load_2addr_b64 v[142:145], v136 offset0:39 offset1:40
	v_pk_add_f32 v[86:87], v[86:87], v[148:149] neg_lo:[0,1] neg_hi:[0,1]
	v_pk_add_f32 v[36:37], v[36:37], v[146:147] neg_lo:[0,1] neg_hi:[0,1]
	s_wait_dscnt 0x0
	v_pk_mul_f32 v[146:147], v[142:143], v[134:135] op_sel:[0,1]
	s_delay_alu instid0(VALU_DEP_1) | instskip(SKIP_1) | instid1(VALU_DEP_1)
	v_pk_fma_f32 v[148:149], v[142:143], v[132:133], v[146:147] op_sel:[0,0,1] op_sel_hi:[1,1,0] neg_lo:[0,0,1] neg_hi:[0,0,1]
	v_pk_fma_f32 v[142:143], v[142:143], v[132:133], v[146:147] op_sel:[0,0,1] op_sel_hi:[1,0,0]
	v_mov_b32_e32 v149, v143
	v_pk_mul_f32 v[142:143], v[144:145], v[134:135] op_sel:[0,1]
	s_delay_alu instid0(VALU_DEP_1) | instskip(SKIP_1) | instid1(VALU_DEP_1)
	v_pk_fma_f32 v[146:147], v[144:145], v[132:133], v[142:143] op_sel:[0,0,1] op_sel_hi:[1,1,0] neg_lo:[0,0,1] neg_hi:[0,0,1]
	v_pk_fma_f32 v[142:143], v[144:145], v[132:133], v[142:143] op_sel:[0,0,1] op_sel_hi:[1,0,0]
	v_mov_b32_e32 v147, v143
	ds_load_2addr_b64 v[142:145], v136 offset0:41 offset1:42
	v_pk_add_f32 v[32:33], v[32:33], v[148:149] neg_lo:[0,1] neg_hi:[0,1]
	v_pk_add_f32 v[84:85], v[84:85], v[146:147] neg_lo:[0,1] neg_hi:[0,1]
	s_wait_dscnt 0x0
	v_dual_mul_f32 v146, v143, v135 :: v_dual_mul_f32 v148, v143, v132
	s_delay_alu instid0(VALU_DEP_1) | instskip(NEXT) | instid1(VALU_DEP_2)
	v_pk_fma_f32 v[146:147], v[142:143], v[112:113], v[146:147] op_sel_hi:[1,1,0] neg_lo:[0,0,1] neg_hi:[0,0,1]
	v_pk_fma_f32 v[142:143], v[142:143], v[112:113], v[148:149] op_sel:[1,0,0] op_sel_hi:[0,1,0]
	s_delay_alu instid0(VALU_DEP_1) | instskip(SKIP_1) | instid1(VALU_DEP_2)
	v_mov_b32_e32 v147, v143
	v_pk_mul_f32 v[142:143], v[144:145], v[134:135] op_sel:[0,1]
	v_pk_add_f32 v[82:83], v[82:83], v[146:147] neg_lo:[0,1] neg_hi:[0,1]
	s_delay_alu instid0(VALU_DEP_2) | instskip(SKIP_1) | instid1(VALU_DEP_1)
	v_pk_fma_f32 v[146:147], v[144:145], v[132:133], v[142:143] op_sel:[0,0,1] op_sel_hi:[1,1,0] neg_lo:[0,0,1] neg_hi:[0,0,1]
	v_pk_fma_f32 v[142:143], v[144:145], v[132:133], v[142:143] op_sel:[0,0,1] op_sel_hi:[1,0,0]
	v_mov_b32_e32 v147, v143
	ds_load_2addr_b64 v[142:145], v136 offset0:43 offset1:44
	v_pk_add_f32 v[24:25], v[24:25], v[146:147] neg_lo:[0,1] neg_hi:[0,1]
	s_wait_dscnt 0x0
	v_pk_mul_f32 v[146:147], v[142:143], v[134:135] op_sel:[0,1]
	s_delay_alu instid0(VALU_DEP_1) | instskip(SKIP_1) | instid1(VALU_DEP_1)
	v_pk_fma_f32 v[148:149], v[142:143], v[132:133], v[146:147] op_sel:[0,0,1] op_sel_hi:[1,1,0] neg_lo:[0,0,1] neg_hi:[0,0,1]
	v_pk_fma_f32 v[142:143], v[142:143], v[132:133], v[146:147] op_sel:[0,0,1] op_sel_hi:[1,0,0]
	v_mov_b32_e32 v149, v143
	v_pk_mul_f32 v[142:143], v[144:145], v[134:135] op_sel:[0,1]
	s_delay_alu instid0(VALU_DEP_2) | instskip(NEXT) | instid1(VALU_DEP_2)
	v_pk_add_f32 v[22:23], v[22:23], v[148:149] neg_lo:[0,1] neg_hi:[0,1]
	v_pk_fma_f32 v[146:147], v[144:145], v[132:133], v[142:143] op_sel:[0,0,1] op_sel_hi:[1,1,0] neg_lo:[0,0,1] neg_hi:[0,0,1]
	v_pk_fma_f32 v[142:143], v[144:145], v[132:133], v[142:143] op_sel:[0,0,1] op_sel_hi:[1,0,0]
	s_delay_alu instid0(VALU_DEP_1) | instskip(SKIP_4) | instid1(VALU_DEP_1)
	v_mov_b32_e32 v147, v143
	ds_load_2addr_b64 v[142:145], v136 offset0:45 offset1:46
	v_pk_add_f32 v[80:81], v[80:81], v[146:147] neg_lo:[0,1] neg_hi:[0,1]
	s_wait_dscnt 0x0
	v_pk_mul_f32 v[146:147], v[142:143], v[134:135] op_sel:[0,1]
	v_pk_fma_f32 v[148:149], v[142:143], v[132:133], v[146:147] op_sel:[0,0,1] op_sel_hi:[1,1,0] neg_lo:[0,0,1] neg_hi:[0,0,1]
	v_pk_fma_f32 v[142:143], v[142:143], v[132:133], v[146:147] op_sel:[0,0,1] op_sel_hi:[1,0,0]
	v_dual_mul_f32 v146, v145, v135 :: v_dual_mov_b32 v142, v145
	s_delay_alu instid0(VALU_DEP_2) | instskip(NEXT) | instid1(VALU_DEP_2)
	v_dual_mov_b32 v149, v143 :: v_dual_mov_b32 v143, v144
	v_pk_fma_f32 v[146:147], v[144:145], v[112:113], v[146:147] op_sel_hi:[1,1,0] neg_lo:[0,0,1] neg_hi:[0,0,1]
	v_mul_f32_e32 v144, v145, v132
	s_delay_alu instid0(VALU_DEP_3) | instskip(NEXT) | instid1(VALU_DEP_2)
	v_pk_add_f32 v[78:79], v[78:79], v[148:149] neg_lo:[0,1] neg_hi:[0,1]
	v_pk_fma_f32 v[142:143], v[142:143], v[112:113], v[144:145] op_sel_hi:[1,1,0]
	s_delay_alu instid0(VALU_DEP_1) | instskip(SKIP_4) | instid1(VALU_DEP_1)
	v_mov_b32_e32 v147, v143
	ds_load_2addr_b64 v[142:145], v136 offset0:47 offset1:48
	v_pk_add_f32 v[20:21], v[20:21], v[146:147] neg_lo:[0,1] neg_hi:[0,1]
	s_wait_dscnt 0x0
	v_pk_mul_f32 v[146:147], v[142:143], v[134:135] op_sel:[0,1]
	v_pk_fma_f32 v[148:149], v[142:143], v[132:133], v[146:147] op_sel:[0,0,1] op_sel_hi:[1,1,0] neg_lo:[0,0,1] neg_hi:[0,0,1]
	v_pk_fma_f32 v[142:143], v[142:143], v[132:133], v[146:147] op_sel:[0,0,1] op_sel_hi:[1,0,0]
	s_delay_alu instid0(VALU_DEP_1) | instskip(SKIP_1) | instid1(VALU_DEP_1)
	v_mov_b32_e32 v149, v143
	v_pk_mul_f32 v[142:143], v[144:145], v[134:135] op_sel:[0,1]
	v_pk_fma_f32 v[146:147], v[144:145], v[132:133], v[142:143] op_sel:[0,0,1] op_sel_hi:[1,1,0] neg_lo:[0,0,1] neg_hi:[0,0,1]
	v_pk_fma_f32 v[142:143], v[144:145], v[132:133], v[142:143] op_sel:[0,0,1] op_sel_hi:[1,0,0]
	s_delay_alu instid0(VALU_DEP_1)
	v_mov_b32_e32 v147, v143
	ds_load_2addr_b64 v[142:145], v136 offset0:49 offset1:50
	v_pk_add_f32 v[18:19], v[18:19], v[148:149] neg_lo:[0,1] neg_hi:[0,1]
	v_pk_add_f32 v[76:77], v[76:77], v[146:147] neg_lo:[0,1] neg_hi:[0,1]
	s_wait_dscnt 0x0
	v_pk_mul_f32 v[146:147], v[142:143], v[134:135] op_sel:[0,1]
	s_delay_alu instid0(VALU_DEP_1) | instskip(SKIP_1) | instid1(VALU_DEP_1)
	v_pk_fma_f32 v[148:149], v[142:143], v[132:133], v[146:147] op_sel:[0,0,1] op_sel_hi:[1,1,0] neg_lo:[0,0,1] neg_hi:[0,0,1]
	v_pk_fma_f32 v[142:143], v[142:143], v[132:133], v[146:147] op_sel:[0,0,1] op_sel_hi:[1,0,0]
	v_mov_b32_e32 v149, v143
	v_pk_mul_f32 v[142:143], v[144:145], v[134:135] op_sel:[0,1]
	s_delay_alu instid0(VALU_DEP_1) | instskip(SKIP_1) | instid1(VALU_DEP_1)
	v_pk_fma_f32 v[146:147], v[144:145], v[132:133], v[142:143] op_sel:[0,0,1] op_sel_hi:[1,1,0] neg_lo:[0,0,1] neg_hi:[0,0,1]
	v_pk_fma_f32 v[142:143], v[144:145], v[132:133], v[142:143] op_sel:[0,0,1] op_sel_hi:[1,0,0]
	v_mov_b32_e32 v147, v143
	ds_load_2addr_b64 v[142:145], v136 offset0:51 offset1:52
	v_pk_add_f32 v[74:75], v[74:75], v[148:149] neg_lo:[0,1] neg_hi:[0,1]
	v_pk_add_f32 v[16:17], v[16:17], v[146:147] neg_lo:[0,1] neg_hi:[0,1]
	s_wait_dscnt 0x0
	v_dual_mul_f32 v146, v143, v135 :: v_dual_mul_f32 v148, v143, v132
	s_delay_alu instid0(VALU_DEP_1) | instskip(NEXT) | instid1(VALU_DEP_2)
	v_pk_fma_f32 v[146:147], v[142:143], v[112:113], v[146:147] op_sel_hi:[1,1,0] neg_lo:[0,0,1] neg_hi:[0,0,1]
	v_pk_fma_f32 v[142:143], v[142:143], v[112:113], v[148:149] op_sel:[1,0,0] op_sel_hi:[0,1,0]
	s_delay_alu instid0(VALU_DEP_1) | instskip(SKIP_1) | instid1(VALU_DEP_2)
	v_mov_b32_e32 v147, v143
	v_pk_mul_f32 v[142:143], v[144:145], v[134:135] op_sel:[0,1]
	v_pk_add_f32 v[28:29], v[28:29], v[146:147] neg_lo:[0,1] neg_hi:[0,1]
	s_delay_alu instid0(VALU_DEP_2) | instskip(SKIP_1) | instid1(VALU_DEP_1)
	v_pk_fma_f32 v[146:147], v[144:145], v[132:133], v[142:143] op_sel:[0,0,1] op_sel_hi:[1,1,0] neg_lo:[0,0,1] neg_hi:[0,0,1]
	v_pk_fma_f32 v[142:143], v[144:145], v[132:133], v[142:143] op_sel:[0,0,1] op_sel_hi:[1,0,0]
	v_mov_b32_e32 v147, v143
	ds_load_2addr_b64 v[142:145], v136 offset0:53 offset1:54
	v_pk_add_f32 v[68:69], v[68:69], v[146:147] neg_lo:[0,1] neg_hi:[0,1]
	s_wait_dscnt 0x0
	v_pk_mul_f32 v[146:147], v[142:143], v[134:135] op_sel:[0,1]
	s_delay_alu instid0(VALU_DEP_1) | instskip(SKIP_1) | instid1(VALU_DEP_1)
	v_pk_fma_f32 v[148:149], v[142:143], v[132:133], v[146:147] op_sel:[0,0,1] op_sel_hi:[1,1,0] neg_lo:[0,0,1] neg_hi:[0,0,1]
	v_pk_fma_f32 v[142:143], v[142:143], v[132:133], v[146:147] op_sel:[0,0,1] op_sel_hi:[1,0,0]
	v_mov_b32_e32 v149, v143
	v_pk_mul_f32 v[142:143], v[144:145], v[134:135] op_sel:[0,1]
	s_delay_alu instid0(VALU_DEP_2) | instskip(NEXT) | instid1(VALU_DEP_2)
	v_pk_add_f32 v[66:67], v[66:67], v[148:149] neg_lo:[0,1] neg_hi:[0,1]
	v_pk_fma_f32 v[146:147], v[144:145], v[132:133], v[142:143] op_sel:[0,0,1] op_sel_hi:[1,1,0] neg_lo:[0,0,1] neg_hi:[0,0,1]
	v_pk_fma_f32 v[142:143], v[144:145], v[132:133], v[142:143] op_sel:[0,0,1] op_sel_hi:[1,0,0]
	s_delay_alu instid0(VALU_DEP_1) | instskip(SKIP_4) | instid1(VALU_DEP_1)
	v_mov_b32_e32 v147, v143
	ds_load_2addr_b64 v[142:145], v136 offset0:55 offset1:56
	v_pk_add_f32 v[10:11], v[10:11], v[146:147] neg_lo:[0,1] neg_hi:[0,1]
	s_wait_dscnt 0x0
	v_pk_mul_f32 v[146:147], v[142:143], v[134:135] op_sel:[0,1]
	v_pk_fma_f32 v[148:149], v[142:143], v[132:133], v[146:147] op_sel:[0,0,1] op_sel_hi:[1,1,0] neg_lo:[0,0,1] neg_hi:[0,0,1]
	v_pk_fma_f32 v[142:143], v[142:143], v[132:133], v[146:147] op_sel:[0,0,1] op_sel_hi:[1,0,0]
	v_dual_mul_f32 v146, v145, v135 :: v_dual_mov_b32 v142, v145
	s_delay_alu instid0(VALU_DEP_2) | instskip(NEXT) | instid1(VALU_DEP_2)
	v_dual_mov_b32 v149, v143 :: v_dual_mov_b32 v143, v144
	v_pk_fma_f32 v[146:147], v[144:145], v[112:113], v[146:147] op_sel_hi:[1,1,0] neg_lo:[0,0,1] neg_hi:[0,0,1]
	v_mul_f32_e32 v144, v145, v132
	s_delay_alu instid0(VALU_DEP_3) | instskip(NEXT) | instid1(VALU_DEP_2)
	v_pk_add_f32 v[8:9], v[8:9], v[148:149] neg_lo:[0,1] neg_hi:[0,1]
	v_pk_fma_f32 v[142:143], v[142:143], v[112:113], v[144:145] op_sel_hi:[1,1,0]
	s_delay_alu instid0(VALU_DEP_1) | instskip(SKIP_4) | instid1(VALU_DEP_1)
	v_mov_b32_e32 v147, v143
	ds_load_2addr_b64 v[142:145], v136 offset0:57 offset1:58
	v_pk_add_f32 v[34:35], v[34:35], v[146:147] neg_lo:[0,1] neg_hi:[0,1]
	s_wait_dscnt 0x0
	v_pk_mul_f32 v[146:147], v[142:143], v[134:135] op_sel:[0,1]
	v_pk_fma_f32 v[148:149], v[142:143], v[132:133], v[146:147] op_sel:[0,0,1] op_sel_hi:[1,1,0] neg_lo:[0,0,1] neg_hi:[0,0,1]
	v_pk_fma_f32 v[142:143], v[142:143], v[132:133], v[146:147] op_sel:[0,0,1] op_sel_hi:[1,0,0]
	s_delay_alu instid0(VALU_DEP_1) | instskip(SKIP_1) | instid1(VALU_DEP_1)
	v_mov_b32_e32 v149, v143
	v_pk_mul_f32 v[142:143], v[144:145], v[134:135] op_sel:[0,1]
	v_pk_fma_f32 v[146:147], v[144:145], v[132:133], v[142:143] op_sel:[0,0,1] op_sel_hi:[1,1,0] neg_lo:[0,0,1] neg_hi:[0,0,1]
	v_pk_fma_f32 v[142:143], v[144:145], v[132:133], v[142:143] op_sel:[0,0,1] op_sel_hi:[1,0,0]
	s_delay_alu instid0(VALU_DEP_1)
	v_mov_b32_e32 v147, v143
	ds_load_2addr_b64 v[142:145], v136 offset0:59 offset1:60
	v_pk_add_f32 v[30:31], v[30:31], v[148:149] neg_lo:[0,1] neg_hi:[0,1]
	v_pk_add_f32 v[6:7], v[6:7], v[146:147] neg_lo:[0,1] neg_hi:[0,1]
	s_wait_dscnt 0x0
	v_pk_mul_f32 v[146:147], v[142:143], v[134:135] op_sel:[0,1]
	s_delay_alu instid0(VALU_DEP_1) | instskip(SKIP_1) | instid1(VALU_DEP_1)
	v_pk_fma_f32 v[148:149], v[142:143], v[132:133], v[146:147] op_sel:[0,0,1] op_sel_hi:[1,1,0] neg_lo:[0,0,1] neg_hi:[0,0,1]
	v_pk_fma_f32 v[142:143], v[142:143], v[132:133], v[146:147] op_sel:[0,0,1] op_sel_hi:[1,0,0]
	v_mov_b32_e32 v149, v143
	v_pk_mul_f32 v[142:143], v[144:145], v[134:135] op_sel:[0,1]
	s_delay_alu instid0(VALU_DEP_1) | instskip(SKIP_1) | instid1(VALU_DEP_1)
	v_pk_fma_f32 v[146:147], v[144:145], v[132:133], v[142:143] op_sel:[0,0,1] op_sel_hi:[1,1,0] neg_lo:[0,0,1] neg_hi:[0,0,1]
	v_pk_fma_f32 v[142:143], v[144:145], v[132:133], v[142:143] op_sel:[0,0,1] op_sel_hi:[1,0,0]
	v_mov_b32_e32 v147, v143
	ds_load_2addr_b64 v[142:145], v136 offset0:61 offset1:62
	v_pk_add_f32 v[26:27], v[26:27], v[148:149] neg_lo:[0,1] neg_hi:[0,1]
	v_pk_add_f32 v[14:15], v[14:15], v[146:147] neg_lo:[0,1] neg_hi:[0,1]
	s_wait_dscnt 0x0
	v_dual_mul_f32 v146, v143, v135 :: v_dual_mul_f32 v148, v143, v132
	v_pk_mul_f32 v[134:135], v[144:145], v[134:135] op_sel:[0,1]
	s_delay_alu instid0(VALU_DEP_2) | instskip(NEXT) | instid1(VALU_DEP_3)
	v_pk_fma_f32 v[146:147], v[142:143], v[112:113], v[146:147] op_sel_hi:[1,1,0] neg_lo:[0,0,1] neg_hi:[0,0,1]
	v_pk_fma_f32 v[142:143], v[142:143], v[112:113], v[148:149] op_sel:[1,0,0] op_sel_hi:[0,1,0]
	s_delay_alu instid0(VALU_DEP_1) | instskip(NEXT) | instid1(VALU_DEP_4)
	v_mov_b32_e32 v147, v143
	v_pk_fma_f32 v[142:143], v[144:145], v[132:133], v[134:135] op_sel:[0,0,1] op_sel_hi:[1,1,0] neg_lo:[0,0,1] neg_hi:[0,0,1]
	v_pk_fma_f32 v[132:133], v[144:145], v[132:133], v[134:135] op_sel:[0,0,1] op_sel_hi:[1,0,0]
	s_delay_alu instid0(VALU_DEP_1) | instskip(NEXT) | instid1(VALU_DEP_4)
	v_mov_b32_e32 v143, v133
	v_pk_add_f32 v[12:13], v[12:13], v[146:147] neg_lo:[0,1] neg_hi:[0,1]
	s_delay_alu instid0(VALU_DEP_2)
	v_pk_add_f32 v[130:131], v[130:131], v[142:143] neg_lo:[0,1] neg_hi:[0,1]
.LBB124_272:
	s_or_b32 exec_lo, exec_lo, s0
	v_lshl_add_u32 v132, v140, 3, v136
	s_barrier_signal -1
	s_barrier_wait -1
	ds_store_b64 v132, v[110:111]
	s_wait_dscnt 0x0
	s_barrier_signal -1
	s_barrier_wait -1
	ds_load_b64 v[134:135], v136 offset:104
	v_mov_b32_e32 v132, 13
	s_cmp_lt_i32 s18, 15
	s_cbranch_scc1 .LBB124_275
; %bb.273:
	v_add3_u32 v133, v137, 0, 0x70
	v_mov_b32_e32 v132, 13
	s_mov_b32 s0, 14
.LBB124_274:                            ; =>This Inner Loop Header: Depth=1
	ds_load_b64 v[142:143], v133
	s_wait_dscnt 0x1
	v_cmp_gt_f32_e32 vcc_lo, 0, v134
	v_cndmask_b32_e64 v144, v134, -v134, vcc_lo
	v_cmp_gt_f32_e32 vcc_lo, 0, v135
	v_cndmask_b32_e64 v146, v135, -v135, vcc_lo
	s_wait_dscnt 0x0
	v_cmp_gt_f32_e32 vcc_lo, 0, v142
	v_cndmask_b32_e64 v145, v142, -v142, vcc_lo
	v_cmp_gt_f32_e32 vcc_lo, 0, v143
	v_cndmask_b32_e64 v147, v143, -v143, vcc_lo
	s_delay_alu instid0(VALU_DEP_1) | instskip(NEXT) | instid1(VALU_DEP_1)
	v_pk_add_f32 v[144:145], v[144:145], v[146:147]
	v_cmp_lt_f32_e32 vcc_lo, v144, v145
	v_dual_add_nc_u32 v133, 8, v133 :: v_dual_cndmask_b32 v135, v135, v143, vcc_lo
	v_cndmask_b32_e32 v134, v134, v142, vcc_lo
	v_cndmask_b32_e64 v132, v132, s0, vcc_lo
	s_add_co_i32 s0, s0, 1
	s_delay_alu instid0(SALU_CYCLE_1)
	s_cmp_lg_u32 s18, s0
	s_cbranch_scc1 .LBB124_274
.LBB124_275:
	s_wait_dscnt 0x0
	v_cmp_eq_f32_e32 vcc_lo, 0, v134
	v_cmp_eq_f32_e64 s0, 0, v135
	s_and_b32 s0, vcc_lo, s0
	s_delay_alu instid0(SALU_CYCLE_1) | instskip(NEXT) | instid1(SALU_CYCLE_1)
	s_and_saveexec_b32 s1, s0
	s_xor_b32 s0, exec_lo, s1
; %bb.276:
	v_cmp_ne_u32_e32 vcc_lo, 0, v138
	v_cndmask_b32_e32 v138, 14, v138, vcc_lo
; %bb.277:
	s_and_not1_saveexec_b32 s0, s0
	s_cbranch_execz .LBB124_283
; %bb.278:
	v_cmp_ngt_f32_e64 s1, |v134|, |v135|
	s_and_saveexec_b32 s12, s1
	s_delay_alu instid0(SALU_CYCLE_1)
	s_xor_b32 s1, exec_lo, s12
	s_cbranch_execz .LBB124_280
; %bb.279:
	v_div_scale_f32 v133, null, v135, v135, v134
	v_div_scale_f32 v143, vcc_lo, v134, v135, v134
	s_delay_alu instid0(VALU_DEP_2) | instskip(SKIP_1) | instid1(TRANS32_DEP_1)
	v_rcp_f32_e32 v141, v133
	v_nop
	v_fma_f32 v142, -v133, v141, 1.0
	s_delay_alu instid0(VALU_DEP_1) | instskip(NEXT) | instid1(VALU_DEP_1)
	v_fmac_f32_e32 v141, v142, v141
	v_mul_f32_e32 v142, v143, v141
	s_delay_alu instid0(VALU_DEP_1) | instskip(NEXT) | instid1(VALU_DEP_1)
	v_fma_f32 v144, -v133, v142, v143
	v_fmac_f32_e32 v142, v144, v141
	s_delay_alu instid0(VALU_DEP_1) | instskip(NEXT) | instid1(VALU_DEP_1)
	v_fma_f32 v133, -v133, v142, v143
	v_div_fmas_f32 v133, v133, v141, v142
	s_delay_alu instid0(VALU_DEP_1) | instskip(NEXT) | instid1(VALU_DEP_1)
	v_div_fixup_f32 v133, v133, v135, v134
	v_fmac_f32_e32 v135, v134, v133
	s_delay_alu instid0(VALU_DEP_1) | instskip(SKIP_1) | instid1(VALU_DEP_2)
	v_div_scale_f32 v134, null, v135, v135, 1.0
	v_div_scale_f32 v143, vcc_lo, 1.0, v135, 1.0
	v_rcp_f32_e32 v141, v134
	v_nop
	s_delay_alu instid0(TRANS32_DEP_1) | instskip(NEXT) | instid1(VALU_DEP_1)
	v_fma_f32 v142, -v134, v141, 1.0
	v_fmac_f32_e32 v141, v142, v141
	s_delay_alu instid0(VALU_DEP_1) | instskip(NEXT) | instid1(VALU_DEP_1)
	v_mul_f32_e32 v142, v143, v141
	v_fma_f32 v144, -v134, v142, v143
	s_delay_alu instid0(VALU_DEP_1) | instskip(NEXT) | instid1(VALU_DEP_1)
	v_fmac_f32_e32 v142, v144, v141
	v_fma_f32 v134, -v134, v142, v143
	s_delay_alu instid0(VALU_DEP_1) | instskip(NEXT) | instid1(VALU_DEP_1)
	v_div_fmas_f32 v134, v134, v141, v142
	v_div_fixup_f32 v135, v134, v135, 1.0
	s_delay_alu instid0(VALU_DEP_1)
	v_mul_f32_e32 v134, v133, v135
	v_xor_b32_e32 v135, 0x80000000, v135
.LBB124_280:
	s_and_not1_saveexec_b32 s1, s1
	s_cbranch_execz .LBB124_282
; %bb.281:
	s_delay_alu instid0(VALU_DEP_1) | instskip(SKIP_1) | instid1(VALU_DEP_2)
	v_div_scale_f32 v133, null, v134, v134, v135
	v_div_scale_f32 v143, vcc_lo, v135, v134, v135
	v_rcp_f32_e32 v141, v133
	v_nop
	s_delay_alu instid0(TRANS32_DEP_1) | instskip(NEXT) | instid1(VALU_DEP_1)
	v_fma_f32 v142, -v133, v141, 1.0
	v_fmac_f32_e32 v141, v142, v141
	s_delay_alu instid0(VALU_DEP_1) | instskip(NEXT) | instid1(VALU_DEP_1)
	v_mul_f32_e32 v142, v143, v141
	v_fma_f32 v144, -v133, v142, v143
	s_delay_alu instid0(VALU_DEP_1) | instskip(NEXT) | instid1(VALU_DEP_1)
	v_fmac_f32_e32 v142, v144, v141
	v_fma_f32 v133, -v133, v142, v143
	s_delay_alu instid0(VALU_DEP_1) | instskip(NEXT) | instid1(VALU_DEP_1)
	v_div_fmas_f32 v133, v133, v141, v142
	v_div_fixup_f32 v133, v133, v134, v135
	s_delay_alu instid0(VALU_DEP_1) | instskip(NEXT) | instid1(VALU_DEP_1)
	v_fmac_f32_e32 v134, v135, v133
	v_div_scale_f32 v135, null, v134, v134, 1.0
	s_delay_alu instid0(VALU_DEP_1) | instskip(SKIP_1) | instid1(TRANS32_DEP_1)
	v_rcp_f32_e32 v141, v135
	v_nop
	v_fma_f32 v142, -v135, v141, 1.0
	s_delay_alu instid0(VALU_DEP_1) | instskip(SKIP_1) | instid1(VALU_DEP_1)
	v_fmac_f32_e32 v141, v142, v141
	v_div_scale_f32 v142, vcc_lo, 1.0, v134, 1.0
	v_mul_f32_e32 v143, v142, v141
	s_delay_alu instid0(VALU_DEP_1) | instskip(NEXT) | instid1(VALU_DEP_1)
	v_fma_f32 v144, -v135, v143, v142
	v_fmac_f32_e32 v143, v144, v141
	s_delay_alu instid0(VALU_DEP_1) | instskip(NEXT) | instid1(VALU_DEP_1)
	v_fma_f32 v135, -v135, v143, v142
	v_div_fmas_f32 v135, v135, v141, v143
	s_delay_alu instid0(VALU_DEP_1) | instskip(NEXT) | instid1(VALU_DEP_1)
	v_div_fixup_f32 v134, v135, v134, 1.0
	v_mul_f32_e64 v135, v133, -v134
.LBB124_282:
	s_or_b32 exec_lo, exec_lo, s1
.LBB124_283:
	s_delay_alu instid0(SALU_CYCLE_1) | instskip(NEXT) | instid1(SALU_CYCLE_1)
	s_or_b32 exec_lo, exec_lo, s0
	s_mov_b32 s0, exec_lo
	v_cmpx_ne_u32_e64 v140, v132
	s_xor_b32 s0, exec_lo, s0
	s_cbranch_execz .LBB124_289
; %bb.284:
	s_mov_b32 s1, exec_lo
	v_cmpx_eq_u32_e32 13, v140
	s_cbranch_execz .LBB124_288
; %bb.285:
	v_cmp_ne_u32_e32 vcc_lo, 13, v132
	s_xor_b32 s12, s16, -1
	s_delay_alu instid0(SALU_CYCLE_1) | instskip(NEXT) | instid1(SALU_CYCLE_1)
	s_and_b32 s13, s12, vcc_lo
	s_and_saveexec_b32 s12, s13
	s_cbranch_execz .LBB124_287
; %bb.286:
	v_ashrrev_i32_e32 v133, 31, v132
	s_delay_alu instid0(VALU_DEP_1)
	v_lshl_add_u64 v[140:141], v[132:133], 2, v[4:5]
	s_clause 0x1
	global_load_b32 v133, v[140:141], off
	global_load_b32 v139, v[4:5], off offset:52
	s_wait_loadcnt 0x1
	global_store_b32 v[4:5], v133, off offset:52
	s_wait_loadcnt 0x0
	global_store_b32 v[140:141], v139, off
.LBB124_287:
	s_wait_xcnt 0x0
	s_or_b32 exec_lo, exec_lo, s12
	v_dual_mov_b32 v140, v132 :: v_dual_mov_b32 v139, v132
.LBB124_288:
	s_or_b32 exec_lo, exec_lo, s1
.LBB124_289:
	s_and_not1_saveexec_b32 s0, s0
	s_cbranch_execz .LBB124_291
; %bb.290:
	v_dual_mov_b32 v132, v60 :: v_dual_mov_b32 v133, v61
	v_dual_mov_b32 v140, v58 :: v_dual_mov_b32 v141, v59
	ds_store_2addr_b64 v136, v[132:133], v[140:141] offset0:14 offset1:15
	v_dual_mov_b32 v132, v108 :: v_dual_mov_b32 v133, v109
	v_dual_mov_b32 v140, v106 :: v_dual_mov_b32 v141, v107
	ds_store_2addr_b64 v136, v[132:133], v[140:141] offset0:16 offset1:17
	;; [unrolled: 3-line block ×24, first 2 shown]
	ds_store_b64 v136, v[130:131] offset:496
	v_mov_b32_e32 v140, 13
.LBB124_291:
	s_or_b32 exec_lo, exec_lo, s0
	s_delay_alu instid0(SALU_CYCLE_1)
	s_mov_b32 s0, exec_lo
	s_wait_storecnt_dscnt 0x0
	s_barrier_signal -1
	s_barrier_wait -1
	v_cmpx_lt_i32_e32 13, v140
	s_cbranch_execz .LBB124_293
; %bb.292:
	v_pk_mul_f32 v[142:143], v[134:135], v[110:111] op_sel:[1,1] op_sel_hi:[0,1]
	s_delay_alu instid0(VALU_DEP_1)
	v_pk_fma_f32 v[132:133], v[134:135], v[110:111], v[142:143] op_sel_hi:[1,0,1] neg_lo:[0,0,1] neg_hi:[0,0,1]
	v_pk_fma_f32 v[134:135], v[134:135], v[110:111], v[142:143] op_sel_hi:[1,0,1]
	ds_load_2addr_b64 v[142:145], v136 offset0:14 offset1:15
	v_dual_mov_b32 v110, v132 :: v_dual_mov_b32 v111, v135
	s_wait_dscnt 0x0
	v_pk_mul_f32 v[146:147], v[142:143], v[134:135] op_sel:[0,1]
	s_delay_alu instid0(VALU_DEP_1) | instskip(SKIP_1) | instid1(VALU_DEP_1)
	v_pk_fma_f32 v[148:149], v[142:143], v[132:133], v[146:147] op_sel:[0,0,1] op_sel_hi:[1,1,0] neg_lo:[0,0,1] neg_hi:[0,0,1]
	v_pk_fma_f32 v[142:143], v[142:143], v[132:133], v[146:147] op_sel:[0,0,1] op_sel_hi:[1,0,0]
	v_mov_b32_e32 v149, v143
	v_pk_mul_f32 v[142:143], v[144:145], v[134:135] op_sel:[0,1]
	s_delay_alu instid0(VALU_DEP_1) | instskip(SKIP_1) | instid1(VALU_DEP_1)
	v_pk_fma_f32 v[146:147], v[144:145], v[132:133], v[142:143] op_sel:[0,0,1] op_sel_hi:[1,1,0] neg_lo:[0,0,1] neg_hi:[0,0,1]
	v_pk_fma_f32 v[142:143], v[144:145], v[132:133], v[142:143] op_sel:[0,0,1] op_sel_hi:[1,0,0]
	v_mov_b32_e32 v147, v143
	ds_load_2addr_b64 v[142:145], v136 offset0:16 offset1:17
	v_pk_add_f32 v[60:61], v[60:61], v[148:149] neg_lo:[0,1] neg_hi:[0,1]
	v_pk_add_f32 v[58:59], v[58:59], v[146:147] neg_lo:[0,1] neg_hi:[0,1]
	s_wait_dscnt 0x0
	v_pk_mul_f32 v[146:147], v[142:143], v[134:135] op_sel:[0,1]
	s_delay_alu instid0(VALU_DEP_1) | instskip(SKIP_2) | instid1(VALU_DEP_2)
	v_pk_fma_f32 v[148:149], v[142:143], v[132:133], v[146:147] op_sel:[0,0,1] op_sel_hi:[1,1,0] neg_lo:[0,0,1] neg_hi:[0,0,1]
	v_pk_fma_f32 v[142:143], v[142:143], v[132:133], v[146:147] op_sel:[0,0,1] op_sel_hi:[1,0,0]
	v_dual_mul_f32 v146, v145, v135 :: v_dual_mov_b32 v142, v145
	v_dual_mov_b32 v149, v143 :: v_dual_mov_b32 v143, v144
	s_delay_alu instid0(VALU_DEP_2) | instskip(SKIP_1) | instid1(VALU_DEP_3)
	v_pk_fma_f32 v[146:147], v[144:145], v[110:111], v[146:147] op_sel_hi:[1,1,0] neg_lo:[0,0,1] neg_hi:[0,0,1]
	v_mul_f32_e32 v144, v145, v132
	v_pk_add_f32 v[108:109], v[108:109], v[148:149] neg_lo:[0,1] neg_hi:[0,1]
	s_delay_alu instid0(VALU_DEP_2) | instskip(NEXT) | instid1(VALU_DEP_1)
	v_pk_fma_f32 v[142:143], v[142:143], v[110:111], v[144:145] op_sel_hi:[1,1,0]
	v_mov_b32_e32 v147, v143
	ds_load_2addr_b64 v[142:145], v136 offset0:18 offset1:19
	v_pk_add_f32 v[106:107], v[106:107], v[146:147] neg_lo:[0,1] neg_hi:[0,1]
	s_wait_dscnt 0x0
	v_pk_mul_f32 v[146:147], v[142:143], v[134:135] op_sel:[0,1]
	s_delay_alu instid0(VALU_DEP_1) | instskip(SKIP_1) | instid1(VALU_DEP_1)
	v_pk_fma_f32 v[148:149], v[142:143], v[132:133], v[146:147] op_sel:[0,0,1] op_sel_hi:[1,1,0] neg_lo:[0,0,1] neg_hi:[0,0,1]
	v_pk_fma_f32 v[142:143], v[142:143], v[132:133], v[146:147] op_sel:[0,0,1] op_sel_hi:[1,0,0]
	v_mov_b32_e32 v149, v143
	v_pk_mul_f32 v[142:143], v[144:145], v[134:135] op_sel:[0,1]
	s_delay_alu instid0(VALU_DEP_1) | instskip(SKIP_1) | instid1(VALU_DEP_1)
	v_pk_fma_f32 v[146:147], v[144:145], v[132:133], v[142:143] op_sel:[0,0,1] op_sel_hi:[1,1,0] neg_lo:[0,0,1] neg_hi:[0,0,1]
	v_pk_fma_f32 v[142:143], v[144:145], v[132:133], v[142:143] op_sel:[0,0,1] op_sel_hi:[1,0,0]
	v_mov_b32_e32 v147, v143
	ds_load_2addr_b64 v[142:145], v136 offset0:20 offset1:21
	v_pk_add_f32 v[56:57], v[56:57], v[148:149] neg_lo:[0,1] neg_hi:[0,1]
	v_pk_add_f32 v[54:55], v[54:55], v[146:147] neg_lo:[0,1] neg_hi:[0,1]
	s_wait_dscnt 0x0
	v_pk_mul_f32 v[146:147], v[142:143], v[134:135] op_sel:[0,1]
	s_delay_alu instid0(VALU_DEP_1) | instskip(SKIP_1) | instid1(VALU_DEP_1)
	v_pk_fma_f32 v[148:149], v[142:143], v[132:133], v[146:147] op_sel:[0,0,1] op_sel_hi:[1,1,0] neg_lo:[0,0,1] neg_hi:[0,0,1]
	v_pk_fma_f32 v[142:143], v[142:143], v[132:133], v[146:147] op_sel:[0,0,1] op_sel_hi:[1,0,0]
	v_mov_b32_e32 v149, v143
	v_pk_mul_f32 v[142:143], v[144:145], v[134:135] op_sel:[0,1]
	s_delay_alu instid0(VALU_DEP_1) | instskip(SKIP_1) | instid1(VALU_DEP_1)
	v_pk_fma_f32 v[146:147], v[144:145], v[132:133], v[142:143] op_sel:[0,0,1] op_sel_hi:[1,1,0] neg_lo:[0,0,1] neg_hi:[0,0,1]
	v_pk_fma_f32 v[142:143], v[144:145], v[132:133], v[142:143] op_sel:[0,0,1] op_sel_hi:[1,0,0]
	v_mov_b32_e32 v147, v143
	ds_load_2addr_b64 v[142:145], v136 offset0:22 offset1:23
	v_pk_add_f32 v[104:105], v[104:105], v[148:149] neg_lo:[0,1] neg_hi:[0,1]
	v_pk_add_f32 v[102:103], v[102:103], v[146:147] neg_lo:[0,1] neg_hi:[0,1]
	s_wait_dscnt 0x0
	v_dual_mul_f32 v146, v143, v135 :: v_dual_mul_f32 v148, v143, v132
	s_delay_alu instid0(VALU_DEP_1) | instskip(NEXT) | instid1(VALU_DEP_2)
	v_pk_fma_f32 v[146:147], v[142:143], v[110:111], v[146:147] op_sel_hi:[1,1,0] neg_lo:[0,0,1] neg_hi:[0,0,1]
	v_pk_fma_f32 v[142:143], v[142:143], v[110:111], v[148:149] op_sel:[1,0,0] op_sel_hi:[0,1,0]
	s_delay_alu instid0(VALU_DEP_1) | instskip(SKIP_1) | instid1(VALU_DEP_2)
	v_mov_b32_e32 v147, v143
	v_pk_mul_f32 v[142:143], v[144:145], v[134:135] op_sel:[0,1]
	v_pk_add_f32 v[52:53], v[52:53], v[146:147] neg_lo:[0,1] neg_hi:[0,1]
	s_delay_alu instid0(VALU_DEP_2) | instskip(SKIP_1) | instid1(VALU_DEP_1)
	v_pk_fma_f32 v[146:147], v[144:145], v[132:133], v[142:143] op_sel:[0,0,1] op_sel_hi:[1,1,0] neg_lo:[0,0,1] neg_hi:[0,0,1]
	v_pk_fma_f32 v[142:143], v[144:145], v[132:133], v[142:143] op_sel:[0,0,1] op_sel_hi:[1,0,0]
	v_mov_b32_e32 v147, v143
	ds_load_2addr_b64 v[142:145], v136 offset0:24 offset1:25
	v_pk_add_f32 v[50:51], v[50:51], v[146:147] neg_lo:[0,1] neg_hi:[0,1]
	s_wait_dscnt 0x0
	v_pk_mul_f32 v[146:147], v[142:143], v[134:135] op_sel:[0,1]
	s_delay_alu instid0(VALU_DEP_1) | instskip(SKIP_1) | instid1(VALU_DEP_1)
	v_pk_fma_f32 v[148:149], v[142:143], v[132:133], v[146:147] op_sel:[0,0,1] op_sel_hi:[1,1,0] neg_lo:[0,0,1] neg_hi:[0,0,1]
	v_pk_fma_f32 v[142:143], v[142:143], v[132:133], v[146:147] op_sel:[0,0,1] op_sel_hi:[1,0,0]
	v_mov_b32_e32 v149, v143
	v_pk_mul_f32 v[142:143], v[144:145], v[134:135] op_sel:[0,1]
	s_delay_alu instid0(VALU_DEP_2) | instskip(NEXT) | instid1(VALU_DEP_2)
	v_pk_add_f32 v[100:101], v[100:101], v[148:149] neg_lo:[0,1] neg_hi:[0,1]
	v_pk_fma_f32 v[146:147], v[144:145], v[132:133], v[142:143] op_sel:[0,0,1] op_sel_hi:[1,1,0] neg_lo:[0,0,1] neg_hi:[0,0,1]
	v_pk_fma_f32 v[142:143], v[144:145], v[132:133], v[142:143] op_sel:[0,0,1] op_sel_hi:[1,0,0]
	s_delay_alu instid0(VALU_DEP_1) | instskip(SKIP_4) | instid1(VALU_DEP_1)
	v_mov_b32_e32 v147, v143
	ds_load_2addr_b64 v[142:145], v136 offset0:26 offset1:27
	v_pk_add_f32 v[98:99], v[98:99], v[146:147] neg_lo:[0,1] neg_hi:[0,1]
	s_wait_dscnt 0x0
	v_pk_mul_f32 v[146:147], v[142:143], v[134:135] op_sel:[0,1]
	v_pk_fma_f32 v[148:149], v[142:143], v[132:133], v[146:147] op_sel:[0,0,1] op_sel_hi:[1,1,0] neg_lo:[0,0,1] neg_hi:[0,0,1]
	v_pk_fma_f32 v[142:143], v[142:143], v[132:133], v[146:147] op_sel:[0,0,1] op_sel_hi:[1,0,0]
	v_dual_mul_f32 v146, v145, v135 :: v_dual_mov_b32 v142, v145
	s_delay_alu instid0(VALU_DEP_2) | instskip(NEXT) | instid1(VALU_DEP_2)
	v_dual_mov_b32 v149, v143 :: v_dual_mov_b32 v143, v144
	v_pk_fma_f32 v[146:147], v[144:145], v[110:111], v[146:147] op_sel_hi:[1,1,0] neg_lo:[0,0,1] neg_hi:[0,0,1]
	v_mul_f32_e32 v144, v145, v132
	s_delay_alu instid0(VALU_DEP_3) | instskip(NEXT) | instid1(VALU_DEP_2)
	v_pk_add_f32 v[48:49], v[48:49], v[148:149] neg_lo:[0,1] neg_hi:[0,1]
	v_pk_fma_f32 v[142:143], v[142:143], v[110:111], v[144:145] op_sel_hi:[1,1,0]
	s_delay_alu instid0(VALU_DEP_1) | instskip(SKIP_4) | instid1(VALU_DEP_1)
	v_mov_b32_e32 v147, v143
	ds_load_2addr_b64 v[142:145], v136 offset0:28 offset1:29
	v_pk_add_f32 v[46:47], v[46:47], v[146:147] neg_lo:[0,1] neg_hi:[0,1]
	s_wait_dscnt 0x0
	v_pk_mul_f32 v[146:147], v[142:143], v[134:135] op_sel:[0,1]
	v_pk_fma_f32 v[148:149], v[142:143], v[132:133], v[146:147] op_sel:[0,0,1] op_sel_hi:[1,1,0] neg_lo:[0,0,1] neg_hi:[0,0,1]
	v_pk_fma_f32 v[142:143], v[142:143], v[132:133], v[146:147] op_sel:[0,0,1] op_sel_hi:[1,0,0]
	s_delay_alu instid0(VALU_DEP_1) | instskip(SKIP_1) | instid1(VALU_DEP_1)
	v_mov_b32_e32 v149, v143
	v_pk_mul_f32 v[142:143], v[144:145], v[134:135] op_sel:[0,1]
	v_pk_fma_f32 v[146:147], v[144:145], v[132:133], v[142:143] op_sel:[0,0,1] op_sel_hi:[1,1,0] neg_lo:[0,0,1] neg_hi:[0,0,1]
	v_pk_fma_f32 v[142:143], v[144:145], v[132:133], v[142:143] op_sel:[0,0,1] op_sel_hi:[1,0,0]
	s_delay_alu instid0(VALU_DEP_1)
	v_mov_b32_e32 v147, v143
	ds_load_2addr_b64 v[142:145], v136 offset0:30 offset1:31
	v_pk_add_f32 v[96:97], v[96:97], v[148:149] neg_lo:[0,1] neg_hi:[0,1]
	v_pk_add_f32 v[94:95], v[94:95], v[146:147] neg_lo:[0,1] neg_hi:[0,1]
	s_wait_dscnt 0x0
	v_pk_mul_f32 v[146:147], v[142:143], v[134:135] op_sel:[0,1]
	s_delay_alu instid0(VALU_DEP_1) | instskip(SKIP_1) | instid1(VALU_DEP_1)
	v_pk_fma_f32 v[148:149], v[142:143], v[132:133], v[146:147] op_sel:[0,0,1] op_sel_hi:[1,1,0] neg_lo:[0,0,1] neg_hi:[0,0,1]
	v_pk_fma_f32 v[142:143], v[142:143], v[132:133], v[146:147] op_sel:[0,0,1] op_sel_hi:[1,0,0]
	v_mov_b32_e32 v149, v143
	v_pk_mul_f32 v[142:143], v[144:145], v[134:135] op_sel:[0,1]
	s_delay_alu instid0(VALU_DEP_1) | instskip(SKIP_1) | instid1(VALU_DEP_1)
	v_pk_fma_f32 v[146:147], v[144:145], v[132:133], v[142:143] op_sel:[0,0,1] op_sel_hi:[1,1,0] neg_lo:[0,0,1] neg_hi:[0,0,1]
	v_pk_fma_f32 v[142:143], v[144:145], v[132:133], v[142:143] op_sel:[0,0,1] op_sel_hi:[1,0,0]
	v_mov_b32_e32 v147, v143
	ds_load_2addr_b64 v[142:145], v136 offset0:32 offset1:33
	v_pk_add_f32 v[44:45], v[44:45], v[148:149] neg_lo:[0,1] neg_hi:[0,1]
	v_pk_add_f32 v[42:43], v[42:43], v[146:147] neg_lo:[0,1] neg_hi:[0,1]
	s_wait_dscnt 0x0
	v_dual_mul_f32 v146, v143, v135 :: v_dual_mul_f32 v148, v143, v132
	s_delay_alu instid0(VALU_DEP_1) | instskip(NEXT) | instid1(VALU_DEP_2)
	v_pk_fma_f32 v[146:147], v[142:143], v[110:111], v[146:147] op_sel_hi:[1,1,0] neg_lo:[0,0,1] neg_hi:[0,0,1]
	v_pk_fma_f32 v[142:143], v[142:143], v[110:111], v[148:149] op_sel:[1,0,0] op_sel_hi:[0,1,0]
	s_delay_alu instid0(VALU_DEP_1) | instskip(SKIP_1) | instid1(VALU_DEP_2)
	v_mov_b32_e32 v147, v143
	v_pk_mul_f32 v[142:143], v[144:145], v[134:135] op_sel:[0,1]
	v_pk_add_f32 v[92:93], v[92:93], v[146:147] neg_lo:[0,1] neg_hi:[0,1]
	s_delay_alu instid0(VALU_DEP_2) | instskip(SKIP_1) | instid1(VALU_DEP_1)
	v_pk_fma_f32 v[146:147], v[144:145], v[132:133], v[142:143] op_sel:[0,0,1] op_sel_hi:[1,1,0] neg_lo:[0,0,1] neg_hi:[0,0,1]
	v_pk_fma_f32 v[142:143], v[144:145], v[132:133], v[142:143] op_sel:[0,0,1] op_sel_hi:[1,0,0]
	v_mov_b32_e32 v147, v143
	ds_load_2addr_b64 v[142:145], v136 offset0:34 offset1:35
	v_pk_add_f32 v[90:91], v[90:91], v[146:147] neg_lo:[0,1] neg_hi:[0,1]
	s_wait_dscnt 0x0
	v_pk_mul_f32 v[146:147], v[142:143], v[134:135] op_sel:[0,1]
	s_delay_alu instid0(VALU_DEP_1) | instskip(SKIP_1) | instid1(VALU_DEP_1)
	v_pk_fma_f32 v[148:149], v[142:143], v[132:133], v[146:147] op_sel:[0,0,1] op_sel_hi:[1,1,0] neg_lo:[0,0,1] neg_hi:[0,0,1]
	v_pk_fma_f32 v[142:143], v[142:143], v[132:133], v[146:147] op_sel:[0,0,1] op_sel_hi:[1,0,0]
	v_mov_b32_e32 v149, v143
	v_pk_mul_f32 v[142:143], v[144:145], v[134:135] op_sel:[0,1]
	s_delay_alu instid0(VALU_DEP_2) | instskip(NEXT) | instid1(VALU_DEP_2)
	v_pk_add_f32 v[40:41], v[40:41], v[148:149] neg_lo:[0,1] neg_hi:[0,1]
	v_pk_fma_f32 v[146:147], v[144:145], v[132:133], v[142:143] op_sel:[0,0,1] op_sel_hi:[1,1,0] neg_lo:[0,0,1] neg_hi:[0,0,1]
	v_pk_fma_f32 v[142:143], v[144:145], v[132:133], v[142:143] op_sel:[0,0,1] op_sel_hi:[1,0,0]
	s_delay_alu instid0(VALU_DEP_1) | instskip(SKIP_4) | instid1(VALU_DEP_1)
	v_mov_b32_e32 v147, v143
	ds_load_2addr_b64 v[142:145], v136 offset0:36 offset1:37
	v_pk_add_f32 v[38:39], v[38:39], v[146:147] neg_lo:[0,1] neg_hi:[0,1]
	s_wait_dscnt 0x0
	v_pk_mul_f32 v[146:147], v[142:143], v[134:135] op_sel:[0,1]
	v_pk_fma_f32 v[148:149], v[142:143], v[132:133], v[146:147] op_sel:[0,0,1] op_sel_hi:[1,1,0] neg_lo:[0,0,1] neg_hi:[0,0,1]
	v_pk_fma_f32 v[142:143], v[142:143], v[132:133], v[146:147] op_sel:[0,0,1] op_sel_hi:[1,0,0]
	v_dual_mul_f32 v146, v145, v135 :: v_dual_mov_b32 v142, v145
	s_delay_alu instid0(VALU_DEP_2) | instskip(NEXT) | instid1(VALU_DEP_2)
	v_dual_mov_b32 v149, v143 :: v_dual_mov_b32 v143, v144
	v_pk_fma_f32 v[146:147], v[144:145], v[110:111], v[146:147] op_sel_hi:[1,1,0] neg_lo:[0,0,1] neg_hi:[0,0,1]
	v_mul_f32_e32 v144, v145, v132
	s_delay_alu instid0(VALU_DEP_3) | instskip(NEXT) | instid1(VALU_DEP_2)
	v_pk_add_f32 v[88:89], v[88:89], v[148:149] neg_lo:[0,1] neg_hi:[0,1]
	v_pk_fma_f32 v[142:143], v[142:143], v[110:111], v[144:145] op_sel_hi:[1,1,0]
	s_delay_alu instid0(VALU_DEP_1) | instskip(SKIP_4) | instid1(VALU_DEP_1)
	v_mov_b32_e32 v147, v143
	ds_load_2addr_b64 v[142:145], v136 offset0:38 offset1:39
	v_pk_add_f32 v[86:87], v[86:87], v[146:147] neg_lo:[0,1] neg_hi:[0,1]
	s_wait_dscnt 0x0
	v_pk_mul_f32 v[146:147], v[142:143], v[134:135] op_sel:[0,1]
	v_pk_fma_f32 v[148:149], v[142:143], v[132:133], v[146:147] op_sel:[0,0,1] op_sel_hi:[1,1,0] neg_lo:[0,0,1] neg_hi:[0,0,1]
	v_pk_fma_f32 v[142:143], v[142:143], v[132:133], v[146:147] op_sel:[0,0,1] op_sel_hi:[1,0,0]
	s_delay_alu instid0(VALU_DEP_1) | instskip(SKIP_1) | instid1(VALU_DEP_1)
	v_mov_b32_e32 v149, v143
	v_pk_mul_f32 v[142:143], v[144:145], v[134:135] op_sel:[0,1]
	v_pk_fma_f32 v[146:147], v[144:145], v[132:133], v[142:143] op_sel:[0,0,1] op_sel_hi:[1,1,0] neg_lo:[0,0,1] neg_hi:[0,0,1]
	v_pk_fma_f32 v[142:143], v[144:145], v[132:133], v[142:143] op_sel:[0,0,1] op_sel_hi:[1,0,0]
	s_delay_alu instid0(VALU_DEP_1)
	v_mov_b32_e32 v147, v143
	ds_load_2addr_b64 v[142:145], v136 offset0:40 offset1:41
	v_pk_add_f32 v[36:37], v[36:37], v[148:149] neg_lo:[0,1] neg_hi:[0,1]
	v_pk_add_f32 v[32:33], v[32:33], v[146:147] neg_lo:[0,1] neg_hi:[0,1]
	s_wait_dscnt 0x0
	v_pk_mul_f32 v[146:147], v[142:143], v[134:135] op_sel:[0,1]
	s_delay_alu instid0(VALU_DEP_1) | instskip(SKIP_1) | instid1(VALU_DEP_1)
	v_pk_fma_f32 v[148:149], v[142:143], v[132:133], v[146:147] op_sel:[0,0,1] op_sel_hi:[1,1,0] neg_lo:[0,0,1] neg_hi:[0,0,1]
	v_pk_fma_f32 v[142:143], v[142:143], v[132:133], v[146:147] op_sel:[0,0,1] op_sel_hi:[1,0,0]
	v_mov_b32_e32 v149, v143
	v_pk_mul_f32 v[142:143], v[144:145], v[134:135] op_sel:[0,1]
	s_delay_alu instid0(VALU_DEP_1) | instskip(SKIP_1) | instid1(VALU_DEP_1)
	v_pk_fma_f32 v[146:147], v[144:145], v[132:133], v[142:143] op_sel:[0,0,1] op_sel_hi:[1,1,0] neg_lo:[0,0,1] neg_hi:[0,0,1]
	v_pk_fma_f32 v[142:143], v[144:145], v[132:133], v[142:143] op_sel:[0,0,1] op_sel_hi:[1,0,0]
	v_mov_b32_e32 v147, v143
	ds_load_2addr_b64 v[142:145], v136 offset0:42 offset1:43
	v_pk_add_f32 v[84:85], v[84:85], v[148:149] neg_lo:[0,1] neg_hi:[0,1]
	v_pk_add_f32 v[82:83], v[82:83], v[146:147] neg_lo:[0,1] neg_hi:[0,1]
	s_wait_dscnt 0x0
	v_dual_mul_f32 v146, v143, v135 :: v_dual_mul_f32 v148, v143, v132
	s_delay_alu instid0(VALU_DEP_1) | instskip(NEXT) | instid1(VALU_DEP_2)
	v_pk_fma_f32 v[146:147], v[142:143], v[110:111], v[146:147] op_sel_hi:[1,1,0] neg_lo:[0,0,1] neg_hi:[0,0,1]
	v_pk_fma_f32 v[142:143], v[142:143], v[110:111], v[148:149] op_sel:[1,0,0] op_sel_hi:[0,1,0]
	s_delay_alu instid0(VALU_DEP_1) | instskip(SKIP_1) | instid1(VALU_DEP_2)
	v_mov_b32_e32 v147, v143
	v_pk_mul_f32 v[142:143], v[144:145], v[134:135] op_sel:[0,1]
	v_pk_add_f32 v[24:25], v[24:25], v[146:147] neg_lo:[0,1] neg_hi:[0,1]
	s_delay_alu instid0(VALU_DEP_2) | instskip(SKIP_1) | instid1(VALU_DEP_1)
	v_pk_fma_f32 v[146:147], v[144:145], v[132:133], v[142:143] op_sel:[0,0,1] op_sel_hi:[1,1,0] neg_lo:[0,0,1] neg_hi:[0,0,1]
	v_pk_fma_f32 v[142:143], v[144:145], v[132:133], v[142:143] op_sel:[0,0,1] op_sel_hi:[1,0,0]
	v_mov_b32_e32 v147, v143
	ds_load_2addr_b64 v[142:145], v136 offset0:44 offset1:45
	v_pk_add_f32 v[22:23], v[22:23], v[146:147] neg_lo:[0,1] neg_hi:[0,1]
	s_wait_dscnt 0x0
	v_pk_mul_f32 v[146:147], v[142:143], v[134:135] op_sel:[0,1]
	s_delay_alu instid0(VALU_DEP_1) | instskip(SKIP_1) | instid1(VALU_DEP_1)
	v_pk_fma_f32 v[148:149], v[142:143], v[132:133], v[146:147] op_sel:[0,0,1] op_sel_hi:[1,1,0] neg_lo:[0,0,1] neg_hi:[0,0,1]
	v_pk_fma_f32 v[142:143], v[142:143], v[132:133], v[146:147] op_sel:[0,0,1] op_sel_hi:[1,0,0]
	v_mov_b32_e32 v149, v143
	v_pk_mul_f32 v[142:143], v[144:145], v[134:135] op_sel:[0,1]
	s_delay_alu instid0(VALU_DEP_2) | instskip(NEXT) | instid1(VALU_DEP_2)
	v_pk_add_f32 v[80:81], v[80:81], v[148:149] neg_lo:[0,1] neg_hi:[0,1]
	v_pk_fma_f32 v[146:147], v[144:145], v[132:133], v[142:143] op_sel:[0,0,1] op_sel_hi:[1,1,0] neg_lo:[0,0,1] neg_hi:[0,0,1]
	v_pk_fma_f32 v[142:143], v[144:145], v[132:133], v[142:143] op_sel:[0,0,1] op_sel_hi:[1,0,0]
	s_delay_alu instid0(VALU_DEP_1) | instskip(SKIP_4) | instid1(VALU_DEP_1)
	v_mov_b32_e32 v147, v143
	ds_load_2addr_b64 v[142:145], v136 offset0:46 offset1:47
	v_pk_add_f32 v[78:79], v[78:79], v[146:147] neg_lo:[0,1] neg_hi:[0,1]
	s_wait_dscnt 0x0
	v_pk_mul_f32 v[146:147], v[142:143], v[134:135] op_sel:[0,1]
	v_pk_fma_f32 v[148:149], v[142:143], v[132:133], v[146:147] op_sel:[0,0,1] op_sel_hi:[1,1,0] neg_lo:[0,0,1] neg_hi:[0,0,1]
	v_pk_fma_f32 v[142:143], v[142:143], v[132:133], v[146:147] op_sel:[0,0,1] op_sel_hi:[1,0,0]
	v_dual_mul_f32 v146, v145, v135 :: v_dual_mov_b32 v142, v145
	s_delay_alu instid0(VALU_DEP_2) | instskip(NEXT) | instid1(VALU_DEP_2)
	v_dual_mov_b32 v149, v143 :: v_dual_mov_b32 v143, v144
	v_pk_fma_f32 v[146:147], v[144:145], v[110:111], v[146:147] op_sel_hi:[1,1,0] neg_lo:[0,0,1] neg_hi:[0,0,1]
	v_mul_f32_e32 v144, v145, v132
	s_delay_alu instid0(VALU_DEP_3) | instskip(NEXT) | instid1(VALU_DEP_2)
	v_pk_add_f32 v[20:21], v[20:21], v[148:149] neg_lo:[0,1] neg_hi:[0,1]
	v_pk_fma_f32 v[142:143], v[142:143], v[110:111], v[144:145] op_sel_hi:[1,1,0]
	s_delay_alu instid0(VALU_DEP_1) | instskip(SKIP_4) | instid1(VALU_DEP_1)
	v_mov_b32_e32 v147, v143
	ds_load_2addr_b64 v[142:145], v136 offset0:48 offset1:49
	v_pk_add_f32 v[18:19], v[18:19], v[146:147] neg_lo:[0,1] neg_hi:[0,1]
	s_wait_dscnt 0x0
	v_pk_mul_f32 v[146:147], v[142:143], v[134:135] op_sel:[0,1]
	v_pk_fma_f32 v[148:149], v[142:143], v[132:133], v[146:147] op_sel:[0,0,1] op_sel_hi:[1,1,0] neg_lo:[0,0,1] neg_hi:[0,0,1]
	v_pk_fma_f32 v[142:143], v[142:143], v[132:133], v[146:147] op_sel:[0,0,1] op_sel_hi:[1,0,0]
	s_delay_alu instid0(VALU_DEP_1) | instskip(SKIP_1) | instid1(VALU_DEP_1)
	v_mov_b32_e32 v149, v143
	v_pk_mul_f32 v[142:143], v[144:145], v[134:135] op_sel:[0,1]
	v_pk_fma_f32 v[146:147], v[144:145], v[132:133], v[142:143] op_sel:[0,0,1] op_sel_hi:[1,1,0] neg_lo:[0,0,1] neg_hi:[0,0,1]
	v_pk_fma_f32 v[142:143], v[144:145], v[132:133], v[142:143] op_sel:[0,0,1] op_sel_hi:[1,0,0]
	s_delay_alu instid0(VALU_DEP_1)
	v_mov_b32_e32 v147, v143
	ds_load_2addr_b64 v[142:145], v136 offset0:50 offset1:51
	v_pk_add_f32 v[76:77], v[76:77], v[148:149] neg_lo:[0,1] neg_hi:[0,1]
	v_pk_add_f32 v[74:75], v[74:75], v[146:147] neg_lo:[0,1] neg_hi:[0,1]
	s_wait_dscnt 0x0
	v_pk_mul_f32 v[146:147], v[142:143], v[134:135] op_sel:[0,1]
	s_delay_alu instid0(VALU_DEP_1) | instskip(SKIP_1) | instid1(VALU_DEP_1)
	v_pk_fma_f32 v[148:149], v[142:143], v[132:133], v[146:147] op_sel:[0,0,1] op_sel_hi:[1,1,0] neg_lo:[0,0,1] neg_hi:[0,0,1]
	v_pk_fma_f32 v[142:143], v[142:143], v[132:133], v[146:147] op_sel:[0,0,1] op_sel_hi:[1,0,0]
	v_mov_b32_e32 v149, v143
	v_pk_mul_f32 v[142:143], v[144:145], v[134:135] op_sel:[0,1]
	s_delay_alu instid0(VALU_DEP_1) | instskip(SKIP_1) | instid1(VALU_DEP_1)
	v_pk_fma_f32 v[146:147], v[144:145], v[132:133], v[142:143] op_sel:[0,0,1] op_sel_hi:[1,1,0] neg_lo:[0,0,1] neg_hi:[0,0,1]
	v_pk_fma_f32 v[142:143], v[144:145], v[132:133], v[142:143] op_sel:[0,0,1] op_sel_hi:[1,0,0]
	v_mov_b32_e32 v147, v143
	ds_load_2addr_b64 v[142:145], v136 offset0:52 offset1:53
	v_pk_add_f32 v[16:17], v[16:17], v[148:149] neg_lo:[0,1] neg_hi:[0,1]
	v_pk_add_f32 v[28:29], v[28:29], v[146:147] neg_lo:[0,1] neg_hi:[0,1]
	s_wait_dscnt 0x0
	v_dual_mul_f32 v146, v143, v135 :: v_dual_mul_f32 v148, v143, v132
	s_delay_alu instid0(VALU_DEP_1) | instskip(NEXT) | instid1(VALU_DEP_2)
	v_pk_fma_f32 v[146:147], v[142:143], v[110:111], v[146:147] op_sel_hi:[1,1,0] neg_lo:[0,0,1] neg_hi:[0,0,1]
	v_pk_fma_f32 v[142:143], v[142:143], v[110:111], v[148:149] op_sel:[1,0,0] op_sel_hi:[0,1,0]
	s_delay_alu instid0(VALU_DEP_1) | instskip(SKIP_1) | instid1(VALU_DEP_2)
	v_mov_b32_e32 v147, v143
	v_pk_mul_f32 v[142:143], v[144:145], v[134:135] op_sel:[0,1]
	v_pk_add_f32 v[68:69], v[68:69], v[146:147] neg_lo:[0,1] neg_hi:[0,1]
	s_delay_alu instid0(VALU_DEP_2) | instskip(SKIP_1) | instid1(VALU_DEP_1)
	v_pk_fma_f32 v[146:147], v[144:145], v[132:133], v[142:143] op_sel:[0,0,1] op_sel_hi:[1,1,0] neg_lo:[0,0,1] neg_hi:[0,0,1]
	v_pk_fma_f32 v[142:143], v[144:145], v[132:133], v[142:143] op_sel:[0,0,1] op_sel_hi:[1,0,0]
	v_mov_b32_e32 v147, v143
	ds_load_2addr_b64 v[142:145], v136 offset0:54 offset1:55
	v_pk_add_f32 v[66:67], v[66:67], v[146:147] neg_lo:[0,1] neg_hi:[0,1]
	s_wait_dscnt 0x0
	v_pk_mul_f32 v[146:147], v[142:143], v[134:135] op_sel:[0,1]
	s_delay_alu instid0(VALU_DEP_1) | instskip(SKIP_1) | instid1(VALU_DEP_1)
	v_pk_fma_f32 v[148:149], v[142:143], v[132:133], v[146:147] op_sel:[0,0,1] op_sel_hi:[1,1,0] neg_lo:[0,0,1] neg_hi:[0,0,1]
	v_pk_fma_f32 v[142:143], v[142:143], v[132:133], v[146:147] op_sel:[0,0,1] op_sel_hi:[1,0,0]
	v_mov_b32_e32 v149, v143
	v_pk_mul_f32 v[142:143], v[144:145], v[134:135] op_sel:[0,1]
	s_delay_alu instid0(VALU_DEP_2) | instskip(NEXT) | instid1(VALU_DEP_2)
	v_pk_add_f32 v[10:11], v[10:11], v[148:149] neg_lo:[0,1] neg_hi:[0,1]
	v_pk_fma_f32 v[146:147], v[144:145], v[132:133], v[142:143] op_sel:[0,0,1] op_sel_hi:[1,1,0] neg_lo:[0,0,1] neg_hi:[0,0,1]
	v_pk_fma_f32 v[142:143], v[144:145], v[132:133], v[142:143] op_sel:[0,0,1] op_sel_hi:[1,0,0]
	s_delay_alu instid0(VALU_DEP_1) | instskip(SKIP_4) | instid1(VALU_DEP_1)
	v_mov_b32_e32 v147, v143
	ds_load_2addr_b64 v[142:145], v136 offset0:56 offset1:57
	v_pk_add_f32 v[8:9], v[8:9], v[146:147] neg_lo:[0,1] neg_hi:[0,1]
	s_wait_dscnt 0x0
	v_pk_mul_f32 v[146:147], v[142:143], v[134:135] op_sel:[0,1]
	v_pk_fma_f32 v[148:149], v[142:143], v[132:133], v[146:147] op_sel:[0,0,1] op_sel_hi:[1,1,0] neg_lo:[0,0,1] neg_hi:[0,0,1]
	v_pk_fma_f32 v[142:143], v[142:143], v[132:133], v[146:147] op_sel:[0,0,1] op_sel_hi:[1,0,0]
	v_dual_mul_f32 v146, v145, v135 :: v_dual_mov_b32 v142, v145
	s_delay_alu instid0(VALU_DEP_2) | instskip(NEXT) | instid1(VALU_DEP_2)
	v_dual_mov_b32 v149, v143 :: v_dual_mov_b32 v143, v144
	v_pk_fma_f32 v[146:147], v[144:145], v[110:111], v[146:147] op_sel_hi:[1,1,0] neg_lo:[0,0,1] neg_hi:[0,0,1]
	v_mul_f32_e32 v144, v145, v132
	s_delay_alu instid0(VALU_DEP_3) | instskip(NEXT) | instid1(VALU_DEP_2)
	v_pk_add_f32 v[34:35], v[34:35], v[148:149] neg_lo:[0,1] neg_hi:[0,1]
	v_pk_fma_f32 v[142:143], v[142:143], v[110:111], v[144:145] op_sel_hi:[1,1,0]
	s_delay_alu instid0(VALU_DEP_1) | instskip(SKIP_4) | instid1(VALU_DEP_1)
	v_mov_b32_e32 v147, v143
	ds_load_2addr_b64 v[142:145], v136 offset0:58 offset1:59
	v_pk_add_f32 v[30:31], v[30:31], v[146:147] neg_lo:[0,1] neg_hi:[0,1]
	s_wait_dscnt 0x0
	v_pk_mul_f32 v[146:147], v[142:143], v[134:135] op_sel:[0,1]
	v_pk_fma_f32 v[148:149], v[142:143], v[132:133], v[146:147] op_sel:[0,0,1] op_sel_hi:[1,1,0] neg_lo:[0,0,1] neg_hi:[0,0,1]
	v_pk_fma_f32 v[142:143], v[142:143], v[132:133], v[146:147] op_sel:[0,0,1] op_sel_hi:[1,0,0]
	s_delay_alu instid0(VALU_DEP_1) | instskip(SKIP_1) | instid1(VALU_DEP_1)
	v_mov_b32_e32 v149, v143
	v_pk_mul_f32 v[142:143], v[144:145], v[134:135] op_sel:[0,1]
	v_pk_fma_f32 v[146:147], v[144:145], v[132:133], v[142:143] op_sel:[0,0,1] op_sel_hi:[1,1,0] neg_lo:[0,0,1] neg_hi:[0,0,1]
	v_pk_fma_f32 v[142:143], v[144:145], v[132:133], v[142:143] op_sel:[0,0,1] op_sel_hi:[1,0,0]
	s_delay_alu instid0(VALU_DEP_1)
	v_mov_b32_e32 v147, v143
	ds_load_2addr_b64 v[142:145], v136 offset0:60 offset1:61
	v_pk_add_f32 v[6:7], v[6:7], v[148:149] neg_lo:[0,1] neg_hi:[0,1]
	v_pk_add_f32 v[26:27], v[26:27], v[146:147] neg_lo:[0,1] neg_hi:[0,1]
	s_wait_dscnt 0x0
	v_pk_mul_f32 v[146:147], v[142:143], v[134:135] op_sel:[0,1]
	s_delay_alu instid0(VALU_DEP_1) | instskip(SKIP_1) | instid1(VALU_DEP_1)
	v_pk_fma_f32 v[148:149], v[142:143], v[132:133], v[146:147] op_sel:[0,0,1] op_sel_hi:[1,1,0] neg_lo:[0,0,1] neg_hi:[0,0,1]
	v_pk_fma_f32 v[142:143], v[142:143], v[132:133], v[146:147] op_sel:[0,0,1] op_sel_hi:[1,0,0]
	v_mov_b32_e32 v149, v143
	v_pk_mul_f32 v[142:143], v[144:145], v[134:135] op_sel:[0,1]
	s_delay_alu instid0(VALU_DEP_1) | instskip(SKIP_1) | instid1(VALU_DEP_1)
	v_pk_fma_f32 v[146:147], v[144:145], v[132:133], v[142:143] op_sel:[0,0,1] op_sel_hi:[1,1,0] neg_lo:[0,0,1] neg_hi:[0,0,1]
	v_pk_fma_f32 v[142:143], v[144:145], v[132:133], v[142:143] op_sel:[0,0,1] op_sel_hi:[1,0,0]
	v_mov_b32_e32 v147, v143
	ds_load_b64 v[142:143], v136 offset:496
	v_pk_add_f32 v[14:15], v[14:15], v[148:149] neg_lo:[0,1] neg_hi:[0,1]
	v_pk_add_f32 v[12:13], v[12:13], v[146:147] neg_lo:[0,1] neg_hi:[0,1]
	s_wait_dscnt 0x0
	v_pk_mul_f32 v[134:135], v[142:143], v[134:135] op_sel:[0,1]
	s_delay_alu instid0(VALU_DEP_1) | instskip(SKIP_1) | instid1(VALU_DEP_1)
	v_pk_fma_f32 v[144:145], v[142:143], v[132:133], v[134:135] op_sel:[0,0,1] op_sel_hi:[1,1,0] neg_lo:[0,0,1] neg_hi:[0,0,1]
	v_pk_fma_f32 v[132:133], v[142:143], v[132:133], v[134:135] op_sel:[0,0,1] op_sel_hi:[1,0,0]
	v_mov_b32_e32 v145, v133
	s_delay_alu instid0(VALU_DEP_1)
	v_pk_add_f32 v[130:131], v[130:131], v[144:145] neg_lo:[0,1] neg_hi:[0,1]
.LBB124_293:
	s_or_b32 exec_lo, exec_lo, s0
	v_lshl_add_u32 v132, v140, 3, v136
	s_barrier_signal -1
	s_barrier_wait -1
	ds_store_b64 v132, v[60:61]
	s_wait_dscnt 0x0
	s_barrier_signal -1
	s_barrier_wait -1
	ds_load_b64 v[134:135], v136 offset:112
	v_mov_b32_e32 v132, 14
	s_cmp_lt_i32 s18, 16
	s_cbranch_scc1 .LBB124_296
; %bb.294:
	v_add3_u32 v133, v137, 0, 0x78
	v_mov_b32_e32 v132, 14
	s_mov_b32 s0, 15
.LBB124_295:                            ; =>This Inner Loop Header: Depth=1
	ds_load_b64 v[142:143], v133
	s_wait_dscnt 0x1
	v_cmp_gt_f32_e32 vcc_lo, 0, v134
	v_cndmask_b32_e64 v144, v134, -v134, vcc_lo
	v_cmp_gt_f32_e32 vcc_lo, 0, v135
	v_cndmask_b32_e64 v146, v135, -v135, vcc_lo
	s_wait_dscnt 0x0
	v_cmp_gt_f32_e32 vcc_lo, 0, v142
	v_cndmask_b32_e64 v145, v142, -v142, vcc_lo
	v_cmp_gt_f32_e32 vcc_lo, 0, v143
	v_cndmask_b32_e64 v147, v143, -v143, vcc_lo
	s_delay_alu instid0(VALU_DEP_1) | instskip(NEXT) | instid1(VALU_DEP_1)
	v_pk_add_f32 v[144:145], v[144:145], v[146:147]
	v_cmp_lt_f32_e32 vcc_lo, v144, v145
	v_dual_add_nc_u32 v133, 8, v133 :: v_dual_cndmask_b32 v135, v135, v143, vcc_lo
	v_cndmask_b32_e32 v134, v134, v142, vcc_lo
	v_cndmask_b32_e64 v132, v132, s0, vcc_lo
	s_add_co_i32 s0, s0, 1
	s_delay_alu instid0(SALU_CYCLE_1)
	s_cmp_lg_u32 s18, s0
	s_cbranch_scc1 .LBB124_295
.LBB124_296:
	s_wait_dscnt 0x0
	v_cmp_eq_f32_e32 vcc_lo, 0, v134
	v_cmp_eq_f32_e64 s0, 0, v135
	s_and_b32 s0, vcc_lo, s0
	s_delay_alu instid0(SALU_CYCLE_1) | instskip(NEXT) | instid1(SALU_CYCLE_1)
	s_and_saveexec_b32 s1, s0
	s_xor_b32 s0, exec_lo, s1
; %bb.297:
	v_cmp_ne_u32_e32 vcc_lo, 0, v138
	v_cndmask_b32_e32 v138, 15, v138, vcc_lo
; %bb.298:
	s_and_not1_saveexec_b32 s0, s0
	s_cbranch_execz .LBB124_304
; %bb.299:
	v_cmp_ngt_f32_e64 s1, |v134|, |v135|
	s_and_saveexec_b32 s12, s1
	s_delay_alu instid0(SALU_CYCLE_1)
	s_xor_b32 s1, exec_lo, s12
	s_cbranch_execz .LBB124_301
; %bb.300:
	v_div_scale_f32 v133, null, v135, v135, v134
	v_div_scale_f32 v143, vcc_lo, v134, v135, v134
	s_delay_alu instid0(VALU_DEP_2) | instskip(SKIP_1) | instid1(TRANS32_DEP_1)
	v_rcp_f32_e32 v141, v133
	v_nop
	v_fma_f32 v142, -v133, v141, 1.0
	s_delay_alu instid0(VALU_DEP_1) | instskip(NEXT) | instid1(VALU_DEP_1)
	v_fmac_f32_e32 v141, v142, v141
	v_mul_f32_e32 v142, v143, v141
	s_delay_alu instid0(VALU_DEP_1) | instskip(NEXT) | instid1(VALU_DEP_1)
	v_fma_f32 v144, -v133, v142, v143
	v_fmac_f32_e32 v142, v144, v141
	s_delay_alu instid0(VALU_DEP_1) | instskip(NEXT) | instid1(VALU_DEP_1)
	v_fma_f32 v133, -v133, v142, v143
	v_div_fmas_f32 v133, v133, v141, v142
	s_delay_alu instid0(VALU_DEP_1) | instskip(NEXT) | instid1(VALU_DEP_1)
	v_div_fixup_f32 v133, v133, v135, v134
	v_fmac_f32_e32 v135, v134, v133
	s_delay_alu instid0(VALU_DEP_1) | instskip(SKIP_1) | instid1(VALU_DEP_2)
	v_div_scale_f32 v134, null, v135, v135, 1.0
	v_div_scale_f32 v143, vcc_lo, 1.0, v135, 1.0
	v_rcp_f32_e32 v141, v134
	v_nop
	s_delay_alu instid0(TRANS32_DEP_1) | instskip(NEXT) | instid1(VALU_DEP_1)
	v_fma_f32 v142, -v134, v141, 1.0
	v_fmac_f32_e32 v141, v142, v141
	s_delay_alu instid0(VALU_DEP_1) | instskip(NEXT) | instid1(VALU_DEP_1)
	v_mul_f32_e32 v142, v143, v141
	v_fma_f32 v144, -v134, v142, v143
	s_delay_alu instid0(VALU_DEP_1) | instskip(NEXT) | instid1(VALU_DEP_1)
	v_fmac_f32_e32 v142, v144, v141
	v_fma_f32 v134, -v134, v142, v143
	s_delay_alu instid0(VALU_DEP_1) | instskip(NEXT) | instid1(VALU_DEP_1)
	v_div_fmas_f32 v134, v134, v141, v142
	v_div_fixup_f32 v135, v134, v135, 1.0
	s_delay_alu instid0(VALU_DEP_1)
	v_mul_f32_e32 v134, v133, v135
	v_xor_b32_e32 v135, 0x80000000, v135
.LBB124_301:
	s_and_not1_saveexec_b32 s1, s1
	s_cbranch_execz .LBB124_303
; %bb.302:
	s_delay_alu instid0(VALU_DEP_1) | instskip(SKIP_1) | instid1(VALU_DEP_2)
	v_div_scale_f32 v133, null, v134, v134, v135
	v_div_scale_f32 v143, vcc_lo, v135, v134, v135
	v_rcp_f32_e32 v141, v133
	v_nop
	s_delay_alu instid0(TRANS32_DEP_1) | instskip(NEXT) | instid1(VALU_DEP_1)
	v_fma_f32 v142, -v133, v141, 1.0
	v_fmac_f32_e32 v141, v142, v141
	s_delay_alu instid0(VALU_DEP_1) | instskip(NEXT) | instid1(VALU_DEP_1)
	v_mul_f32_e32 v142, v143, v141
	v_fma_f32 v144, -v133, v142, v143
	s_delay_alu instid0(VALU_DEP_1) | instskip(NEXT) | instid1(VALU_DEP_1)
	v_fmac_f32_e32 v142, v144, v141
	v_fma_f32 v133, -v133, v142, v143
	s_delay_alu instid0(VALU_DEP_1) | instskip(NEXT) | instid1(VALU_DEP_1)
	v_div_fmas_f32 v133, v133, v141, v142
	v_div_fixup_f32 v133, v133, v134, v135
	s_delay_alu instid0(VALU_DEP_1) | instskip(NEXT) | instid1(VALU_DEP_1)
	v_fmac_f32_e32 v134, v135, v133
	v_div_scale_f32 v135, null, v134, v134, 1.0
	s_delay_alu instid0(VALU_DEP_1) | instskip(SKIP_1) | instid1(TRANS32_DEP_1)
	v_rcp_f32_e32 v141, v135
	v_nop
	v_fma_f32 v142, -v135, v141, 1.0
	s_delay_alu instid0(VALU_DEP_1) | instskip(SKIP_1) | instid1(VALU_DEP_1)
	v_fmac_f32_e32 v141, v142, v141
	v_div_scale_f32 v142, vcc_lo, 1.0, v134, 1.0
	v_mul_f32_e32 v143, v142, v141
	s_delay_alu instid0(VALU_DEP_1) | instskip(NEXT) | instid1(VALU_DEP_1)
	v_fma_f32 v144, -v135, v143, v142
	v_fmac_f32_e32 v143, v144, v141
	s_delay_alu instid0(VALU_DEP_1) | instskip(NEXT) | instid1(VALU_DEP_1)
	v_fma_f32 v135, -v135, v143, v142
	v_div_fmas_f32 v135, v135, v141, v143
	s_delay_alu instid0(VALU_DEP_1) | instskip(NEXT) | instid1(VALU_DEP_1)
	v_div_fixup_f32 v134, v135, v134, 1.0
	v_mul_f32_e64 v135, v133, -v134
.LBB124_303:
	s_or_b32 exec_lo, exec_lo, s1
.LBB124_304:
	s_delay_alu instid0(SALU_CYCLE_1) | instskip(NEXT) | instid1(SALU_CYCLE_1)
	s_or_b32 exec_lo, exec_lo, s0
	s_mov_b32 s0, exec_lo
	v_cmpx_ne_u32_e64 v140, v132
	s_xor_b32 s0, exec_lo, s0
	s_cbranch_execz .LBB124_310
; %bb.305:
	s_mov_b32 s1, exec_lo
	v_cmpx_eq_u32_e32 14, v140
	s_cbranch_execz .LBB124_309
; %bb.306:
	v_cmp_ne_u32_e32 vcc_lo, 14, v132
	s_xor_b32 s12, s16, -1
	s_delay_alu instid0(SALU_CYCLE_1) | instskip(NEXT) | instid1(SALU_CYCLE_1)
	s_and_b32 s13, s12, vcc_lo
	s_and_saveexec_b32 s12, s13
	s_cbranch_execz .LBB124_308
; %bb.307:
	v_ashrrev_i32_e32 v133, 31, v132
	s_delay_alu instid0(VALU_DEP_1)
	v_lshl_add_u64 v[140:141], v[132:133], 2, v[4:5]
	s_clause 0x1
	global_load_b32 v133, v[140:141], off
	global_load_b32 v139, v[4:5], off offset:56
	s_wait_loadcnt 0x1
	global_store_b32 v[4:5], v133, off offset:56
	s_wait_loadcnt 0x0
	global_store_b32 v[140:141], v139, off
.LBB124_308:
	s_wait_xcnt 0x0
	s_or_b32 exec_lo, exec_lo, s12
	v_dual_mov_b32 v140, v132 :: v_dual_mov_b32 v139, v132
.LBB124_309:
	s_or_b32 exec_lo, exec_lo, s1
.LBB124_310:
	s_and_not1_saveexec_b32 s0, s0
	s_cbranch_execz .LBB124_312
; %bb.311:
	v_mov_b32_e32 v140, 14
	ds_store_2addr_b64 v136, v[58:59], v[108:109] offset0:15 offset1:16
	ds_store_2addr_b64 v136, v[106:107], v[56:57] offset0:17 offset1:18
	;; [unrolled: 1-line block ×24, first 2 shown]
.LBB124_312:
	s_or_b32 exec_lo, exec_lo, s0
	s_delay_alu instid0(SALU_CYCLE_1)
	s_mov_b32 s0, exec_lo
	s_wait_storecnt_dscnt 0x0
	s_barrier_signal -1
	s_barrier_wait -1
	v_cmpx_lt_i32_e32 14, v140
	s_cbranch_execz .LBB124_314
; %bb.313:
	v_pk_mul_f32 v[142:143], v[134:135], v[60:61] op_sel:[1,1] op_sel_hi:[0,1]
	s_delay_alu instid0(VALU_DEP_1)
	v_pk_fma_f32 v[132:133], v[134:135], v[60:61], v[142:143] op_sel_hi:[1,0,1] neg_lo:[0,0,1] neg_hi:[0,0,1]
	v_pk_fma_f32 v[134:135], v[134:135], v[60:61], v[142:143] op_sel_hi:[1,0,1]
	ds_load_2addr_b64 v[142:145], v136 offset0:15 offset1:16
	v_dual_mov_b32 v60, v132 :: v_dual_mov_b32 v61, v135
	s_wait_dscnt 0x0
	v_pk_mul_f32 v[146:147], v[142:143], v[134:135] op_sel:[0,1]
	s_delay_alu instid0(VALU_DEP_1) | instskip(SKIP_1) | instid1(VALU_DEP_1)
	v_pk_fma_f32 v[148:149], v[142:143], v[132:133], v[146:147] op_sel:[0,0,1] op_sel_hi:[1,1,0] neg_lo:[0,0,1] neg_hi:[0,0,1]
	v_pk_fma_f32 v[142:143], v[142:143], v[132:133], v[146:147] op_sel:[0,0,1] op_sel_hi:[1,0,0]
	v_mov_b32_e32 v149, v143
	v_pk_mul_f32 v[142:143], v[144:145], v[134:135] op_sel:[0,1]
	s_delay_alu instid0(VALU_DEP_1) | instskip(SKIP_1) | instid1(VALU_DEP_1)
	v_pk_fma_f32 v[146:147], v[144:145], v[132:133], v[142:143] op_sel:[0,0,1] op_sel_hi:[1,1,0] neg_lo:[0,0,1] neg_hi:[0,0,1]
	v_pk_fma_f32 v[142:143], v[144:145], v[132:133], v[142:143] op_sel:[0,0,1] op_sel_hi:[1,0,0]
	v_mov_b32_e32 v147, v143
	ds_load_2addr_b64 v[142:145], v136 offset0:17 offset1:18
	v_pk_add_f32 v[58:59], v[58:59], v[148:149] neg_lo:[0,1] neg_hi:[0,1]
	v_pk_add_f32 v[108:109], v[108:109], v[146:147] neg_lo:[0,1] neg_hi:[0,1]
	s_wait_dscnt 0x0
	v_pk_mul_f32 v[146:147], v[142:143], v[134:135] op_sel:[0,1]
	s_delay_alu instid0(VALU_DEP_1) | instskip(SKIP_2) | instid1(VALU_DEP_2)
	v_pk_fma_f32 v[148:149], v[142:143], v[132:133], v[146:147] op_sel:[0,0,1] op_sel_hi:[1,1,0] neg_lo:[0,0,1] neg_hi:[0,0,1]
	v_pk_fma_f32 v[142:143], v[142:143], v[132:133], v[146:147] op_sel:[0,0,1] op_sel_hi:[1,0,0]
	v_dual_mul_f32 v146, v145, v135 :: v_dual_mov_b32 v142, v145
	v_dual_mov_b32 v149, v143 :: v_dual_mov_b32 v143, v144
	s_delay_alu instid0(VALU_DEP_2) | instskip(SKIP_1) | instid1(VALU_DEP_3)
	v_pk_fma_f32 v[146:147], v[144:145], v[60:61], v[146:147] op_sel_hi:[1,1,0] neg_lo:[0,0,1] neg_hi:[0,0,1]
	v_mul_f32_e32 v144, v145, v132
	v_pk_add_f32 v[106:107], v[106:107], v[148:149] neg_lo:[0,1] neg_hi:[0,1]
	s_delay_alu instid0(VALU_DEP_2) | instskip(NEXT) | instid1(VALU_DEP_1)
	v_pk_fma_f32 v[142:143], v[142:143], v[60:61], v[144:145] op_sel_hi:[1,1,0]
	v_mov_b32_e32 v147, v143
	ds_load_2addr_b64 v[142:145], v136 offset0:19 offset1:20
	v_pk_add_f32 v[56:57], v[56:57], v[146:147] neg_lo:[0,1] neg_hi:[0,1]
	s_wait_dscnt 0x0
	v_pk_mul_f32 v[146:147], v[142:143], v[134:135] op_sel:[0,1]
	s_delay_alu instid0(VALU_DEP_1) | instskip(SKIP_1) | instid1(VALU_DEP_1)
	v_pk_fma_f32 v[148:149], v[142:143], v[132:133], v[146:147] op_sel:[0,0,1] op_sel_hi:[1,1,0] neg_lo:[0,0,1] neg_hi:[0,0,1]
	v_pk_fma_f32 v[142:143], v[142:143], v[132:133], v[146:147] op_sel:[0,0,1] op_sel_hi:[1,0,0]
	v_mov_b32_e32 v149, v143
	v_pk_mul_f32 v[142:143], v[144:145], v[134:135] op_sel:[0,1]
	s_delay_alu instid0(VALU_DEP_1) | instskip(SKIP_1) | instid1(VALU_DEP_1)
	v_pk_fma_f32 v[146:147], v[144:145], v[132:133], v[142:143] op_sel:[0,0,1] op_sel_hi:[1,1,0] neg_lo:[0,0,1] neg_hi:[0,0,1]
	v_pk_fma_f32 v[142:143], v[144:145], v[132:133], v[142:143] op_sel:[0,0,1] op_sel_hi:[1,0,0]
	v_mov_b32_e32 v147, v143
	ds_load_2addr_b64 v[142:145], v136 offset0:21 offset1:22
	v_pk_add_f32 v[54:55], v[54:55], v[148:149] neg_lo:[0,1] neg_hi:[0,1]
	v_pk_add_f32 v[104:105], v[104:105], v[146:147] neg_lo:[0,1] neg_hi:[0,1]
	s_wait_dscnt 0x0
	v_pk_mul_f32 v[146:147], v[142:143], v[134:135] op_sel:[0,1]
	s_delay_alu instid0(VALU_DEP_1) | instskip(SKIP_1) | instid1(VALU_DEP_1)
	v_pk_fma_f32 v[148:149], v[142:143], v[132:133], v[146:147] op_sel:[0,0,1] op_sel_hi:[1,1,0] neg_lo:[0,0,1] neg_hi:[0,0,1]
	v_pk_fma_f32 v[142:143], v[142:143], v[132:133], v[146:147] op_sel:[0,0,1] op_sel_hi:[1,0,0]
	v_mov_b32_e32 v149, v143
	v_pk_mul_f32 v[142:143], v[144:145], v[134:135] op_sel:[0,1]
	s_delay_alu instid0(VALU_DEP_1) | instskip(SKIP_1) | instid1(VALU_DEP_1)
	v_pk_fma_f32 v[146:147], v[144:145], v[132:133], v[142:143] op_sel:[0,0,1] op_sel_hi:[1,1,0] neg_lo:[0,0,1] neg_hi:[0,0,1]
	v_pk_fma_f32 v[142:143], v[144:145], v[132:133], v[142:143] op_sel:[0,0,1] op_sel_hi:[1,0,0]
	v_mov_b32_e32 v147, v143
	ds_load_2addr_b64 v[142:145], v136 offset0:23 offset1:24
	v_pk_add_f32 v[102:103], v[102:103], v[148:149] neg_lo:[0,1] neg_hi:[0,1]
	v_pk_add_f32 v[52:53], v[52:53], v[146:147] neg_lo:[0,1] neg_hi:[0,1]
	s_wait_dscnt 0x0
	v_dual_mul_f32 v146, v143, v135 :: v_dual_mul_f32 v148, v143, v132
	s_delay_alu instid0(VALU_DEP_1) | instskip(NEXT) | instid1(VALU_DEP_2)
	v_pk_fma_f32 v[146:147], v[142:143], v[60:61], v[146:147] op_sel_hi:[1,1,0] neg_lo:[0,0,1] neg_hi:[0,0,1]
	v_pk_fma_f32 v[142:143], v[142:143], v[60:61], v[148:149] op_sel:[1,0,0] op_sel_hi:[0,1,0]
	s_delay_alu instid0(VALU_DEP_1) | instskip(SKIP_1) | instid1(VALU_DEP_2)
	v_mov_b32_e32 v147, v143
	v_pk_mul_f32 v[142:143], v[144:145], v[134:135] op_sel:[0,1]
	v_pk_add_f32 v[50:51], v[50:51], v[146:147] neg_lo:[0,1] neg_hi:[0,1]
	s_delay_alu instid0(VALU_DEP_2) | instskip(SKIP_1) | instid1(VALU_DEP_1)
	v_pk_fma_f32 v[146:147], v[144:145], v[132:133], v[142:143] op_sel:[0,0,1] op_sel_hi:[1,1,0] neg_lo:[0,0,1] neg_hi:[0,0,1]
	v_pk_fma_f32 v[142:143], v[144:145], v[132:133], v[142:143] op_sel:[0,0,1] op_sel_hi:[1,0,0]
	v_mov_b32_e32 v147, v143
	ds_load_2addr_b64 v[142:145], v136 offset0:25 offset1:26
	v_pk_add_f32 v[100:101], v[100:101], v[146:147] neg_lo:[0,1] neg_hi:[0,1]
	s_wait_dscnt 0x0
	v_pk_mul_f32 v[146:147], v[142:143], v[134:135] op_sel:[0,1]
	s_delay_alu instid0(VALU_DEP_1) | instskip(SKIP_1) | instid1(VALU_DEP_1)
	v_pk_fma_f32 v[148:149], v[142:143], v[132:133], v[146:147] op_sel:[0,0,1] op_sel_hi:[1,1,0] neg_lo:[0,0,1] neg_hi:[0,0,1]
	v_pk_fma_f32 v[142:143], v[142:143], v[132:133], v[146:147] op_sel:[0,0,1] op_sel_hi:[1,0,0]
	v_mov_b32_e32 v149, v143
	v_pk_mul_f32 v[142:143], v[144:145], v[134:135] op_sel:[0,1]
	s_delay_alu instid0(VALU_DEP_2) | instskip(NEXT) | instid1(VALU_DEP_2)
	v_pk_add_f32 v[98:99], v[98:99], v[148:149] neg_lo:[0,1] neg_hi:[0,1]
	v_pk_fma_f32 v[146:147], v[144:145], v[132:133], v[142:143] op_sel:[0,0,1] op_sel_hi:[1,1,0] neg_lo:[0,0,1] neg_hi:[0,0,1]
	v_pk_fma_f32 v[142:143], v[144:145], v[132:133], v[142:143] op_sel:[0,0,1] op_sel_hi:[1,0,0]
	s_delay_alu instid0(VALU_DEP_1) | instskip(SKIP_4) | instid1(VALU_DEP_1)
	v_mov_b32_e32 v147, v143
	ds_load_2addr_b64 v[142:145], v136 offset0:27 offset1:28
	v_pk_add_f32 v[48:49], v[48:49], v[146:147] neg_lo:[0,1] neg_hi:[0,1]
	s_wait_dscnt 0x0
	v_pk_mul_f32 v[146:147], v[142:143], v[134:135] op_sel:[0,1]
	v_pk_fma_f32 v[148:149], v[142:143], v[132:133], v[146:147] op_sel:[0,0,1] op_sel_hi:[1,1,0] neg_lo:[0,0,1] neg_hi:[0,0,1]
	v_pk_fma_f32 v[142:143], v[142:143], v[132:133], v[146:147] op_sel:[0,0,1] op_sel_hi:[1,0,0]
	v_dual_mul_f32 v146, v145, v135 :: v_dual_mov_b32 v142, v145
	s_delay_alu instid0(VALU_DEP_2) | instskip(NEXT) | instid1(VALU_DEP_2)
	v_dual_mov_b32 v149, v143 :: v_dual_mov_b32 v143, v144
	v_pk_fma_f32 v[146:147], v[144:145], v[60:61], v[146:147] op_sel_hi:[1,1,0] neg_lo:[0,0,1] neg_hi:[0,0,1]
	v_mul_f32_e32 v144, v145, v132
	s_delay_alu instid0(VALU_DEP_3) | instskip(NEXT) | instid1(VALU_DEP_2)
	v_pk_add_f32 v[46:47], v[46:47], v[148:149] neg_lo:[0,1] neg_hi:[0,1]
	v_pk_fma_f32 v[142:143], v[142:143], v[60:61], v[144:145] op_sel_hi:[1,1,0]
	s_delay_alu instid0(VALU_DEP_1) | instskip(SKIP_4) | instid1(VALU_DEP_1)
	v_mov_b32_e32 v147, v143
	ds_load_2addr_b64 v[142:145], v136 offset0:29 offset1:30
	v_pk_add_f32 v[96:97], v[96:97], v[146:147] neg_lo:[0,1] neg_hi:[0,1]
	s_wait_dscnt 0x0
	v_pk_mul_f32 v[146:147], v[142:143], v[134:135] op_sel:[0,1]
	v_pk_fma_f32 v[148:149], v[142:143], v[132:133], v[146:147] op_sel:[0,0,1] op_sel_hi:[1,1,0] neg_lo:[0,0,1] neg_hi:[0,0,1]
	v_pk_fma_f32 v[142:143], v[142:143], v[132:133], v[146:147] op_sel:[0,0,1] op_sel_hi:[1,0,0]
	s_delay_alu instid0(VALU_DEP_1) | instskip(SKIP_1) | instid1(VALU_DEP_1)
	v_mov_b32_e32 v149, v143
	v_pk_mul_f32 v[142:143], v[144:145], v[134:135] op_sel:[0,1]
	v_pk_fma_f32 v[146:147], v[144:145], v[132:133], v[142:143] op_sel:[0,0,1] op_sel_hi:[1,1,0] neg_lo:[0,0,1] neg_hi:[0,0,1]
	v_pk_fma_f32 v[142:143], v[144:145], v[132:133], v[142:143] op_sel:[0,0,1] op_sel_hi:[1,0,0]
	s_delay_alu instid0(VALU_DEP_1)
	v_mov_b32_e32 v147, v143
	ds_load_2addr_b64 v[142:145], v136 offset0:31 offset1:32
	v_pk_add_f32 v[94:95], v[94:95], v[148:149] neg_lo:[0,1] neg_hi:[0,1]
	v_pk_add_f32 v[44:45], v[44:45], v[146:147] neg_lo:[0,1] neg_hi:[0,1]
	s_wait_dscnt 0x0
	v_pk_mul_f32 v[146:147], v[142:143], v[134:135] op_sel:[0,1]
	s_delay_alu instid0(VALU_DEP_1) | instskip(SKIP_1) | instid1(VALU_DEP_1)
	v_pk_fma_f32 v[148:149], v[142:143], v[132:133], v[146:147] op_sel:[0,0,1] op_sel_hi:[1,1,0] neg_lo:[0,0,1] neg_hi:[0,0,1]
	v_pk_fma_f32 v[142:143], v[142:143], v[132:133], v[146:147] op_sel:[0,0,1] op_sel_hi:[1,0,0]
	v_mov_b32_e32 v149, v143
	v_pk_mul_f32 v[142:143], v[144:145], v[134:135] op_sel:[0,1]
	s_delay_alu instid0(VALU_DEP_1) | instskip(SKIP_1) | instid1(VALU_DEP_1)
	v_pk_fma_f32 v[146:147], v[144:145], v[132:133], v[142:143] op_sel:[0,0,1] op_sel_hi:[1,1,0] neg_lo:[0,0,1] neg_hi:[0,0,1]
	v_pk_fma_f32 v[142:143], v[144:145], v[132:133], v[142:143] op_sel:[0,0,1] op_sel_hi:[1,0,0]
	v_mov_b32_e32 v147, v143
	ds_load_2addr_b64 v[142:145], v136 offset0:33 offset1:34
	v_pk_add_f32 v[42:43], v[42:43], v[148:149] neg_lo:[0,1] neg_hi:[0,1]
	v_pk_add_f32 v[92:93], v[92:93], v[146:147] neg_lo:[0,1] neg_hi:[0,1]
	s_wait_dscnt 0x0
	v_dual_mul_f32 v146, v143, v135 :: v_dual_mul_f32 v148, v143, v132
	s_delay_alu instid0(VALU_DEP_1) | instskip(NEXT) | instid1(VALU_DEP_2)
	v_pk_fma_f32 v[146:147], v[142:143], v[60:61], v[146:147] op_sel_hi:[1,1,0] neg_lo:[0,0,1] neg_hi:[0,0,1]
	v_pk_fma_f32 v[142:143], v[142:143], v[60:61], v[148:149] op_sel:[1,0,0] op_sel_hi:[0,1,0]
	s_delay_alu instid0(VALU_DEP_1) | instskip(SKIP_1) | instid1(VALU_DEP_2)
	v_mov_b32_e32 v147, v143
	v_pk_mul_f32 v[142:143], v[144:145], v[134:135] op_sel:[0,1]
	v_pk_add_f32 v[90:91], v[90:91], v[146:147] neg_lo:[0,1] neg_hi:[0,1]
	s_delay_alu instid0(VALU_DEP_2) | instskip(SKIP_1) | instid1(VALU_DEP_1)
	v_pk_fma_f32 v[146:147], v[144:145], v[132:133], v[142:143] op_sel:[0,0,1] op_sel_hi:[1,1,0] neg_lo:[0,0,1] neg_hi:[0,0,1]
	v_pk_fma_f32 v[142:143], v[144:145], v[132:133], v[142:143] op_sel:[0,0,1] op_sel_hi:[1,0,0]
	v_mov_b32_e32 v147, v143
	ds_load_2addr_b64 v[142:145], v136 offset0:35 offset1:36
	v_pk_add_f32 v[40:41], v[40:41], v[146:147] neg_lo:[0,1] neg_hi:[0,1]
	s_wait_dscnt 0x0
	v_pk_mul_f32 v[146:147], v[142:143], v[134:135] op_sel:[0,1]
	s_delay_alu instid0(VALU_DEP_1) | instskip(SKIP_1) | instid1(VALU_DEP_1)
	v_pk_fma_f32 v[148:149], v[142:143], v[132:133], v[146:147] op_sel:[0,0,1] op_sel_hi:[1,1,0] neg_lo:[0,0,1] neg_hi:[0,0,1]
	v_pk_fma_f32 v[142:143], v[142:143], v[132:133], v[146:147] op_sel:[0,0,1] op_sel_hi:[1,0,0]
	v_mov_b32_e32 v149, v143
	v_pk_mul_f32 v[142:143], v[144:145], v[134:135] op_sel:[0,1]
	s_delay_alu instid0(VALU_DEP_2) | instskip(NEXT) | instid1(VALU_DEP_2)
	v_pk_add_f32 v[38:39], v[38:39], v[148:149] neg_lo:[0,1] neg_hi:[0,1]
	v_pk_fma_f32 v[146:147], v[144:145], v[132:133], v[142:143] op_sel:[0,0,1] op_sel_hi:[1,1,0] neg_lo:[0,0,1] neg_hi:[0,0,1]
	v_pk_fma_f32 v[142:143], v[144:145], v[132:133], v[142:143] op_sel:[0,0,1] op_sel_hi:[1,0,0]
	s_delay_alu instid0(VALU_DEP_1) | instskip(SKIP_4) | instid1(VALU_DEP_1)
	v_mov_b32_e32 v147, v143
	ds_load_2addr_b64 v[142:145], v136 offset0:37 offset1:38
	v_pk_add_f32 v[88:89], v[88:89], v[146:147] neg_lo:[0,1] neg_hi:[0,1]
	s_wait_dscnt 0x0
	v_pk_mul_f32 v[146:147], v[142:143], v[134:135] op_sel:[0,1]
	v_pk_fma_f32 v[148:149], v[142:143], v[132:133], v[146:147] op_sel:[0,0,1] op_sel_hi:[1,1,0] neg_lo:[0,0,1] neg_hi:[0,0,1]
	v_pk_fma_f32 v[142:143], v[142:143], v[132:133], v[146:147] op_sel:[0,0,1] op_sel_hi:[1,0,0]
	v_dual_mul_f32 v146, v145, v135 :: v_dual_mov_b32 v142, v145
	s_delay_alu instid0(VALU_DEP_2) | instskip(NEXT) | instid1(VALU_DEP_2)
	v_dual_mov_b32 v149, v143 :: v_dual_mov_b32 v143, v144
	v_pk_fma_f32 v[146:147], v[144:145], v[60:61], v[146:147] op_sel_hi:[1,1,0] neg_lo:[0,0,1] neg_hi:[0,0,1]
	v_mul_f32_e32 v144, v145, v132
	s_delay_alu instid0(VALU_DEP_3) | instskip(NEXT) | instid1(VALU_DEP_2)
	v_pk_add_f32 v[86:87], v[86:87], v[148:149] neg_lo:[0,1] neg_hi:[0,1]
	v_pk_fma_f32 v[142:143], v[142:143], v[60:61], v[144:145] op_sel_hi:[1,1,0]
	s_delay_alu instid0(VALU_DEP_1) | instskip(SKIP_4) | instid1(VALU_DEP_1)
	v_mov_b32_e32 v147, v143
	ds_load_2addr_b64 v[142:145], v136 offset0:39 offset1:40
	v_pk_add_f32 v[36:37], v[36:37], v[146:147] neg_lo:[0,1] neg_hi:[0,1]
	s_wait_dscnt 0x0
	v_pk_mul_f32 v[146:147], v[142:143], v[134:135] op_sel:[0,1]
	v_pk_fma_f32 v[148:149], v[142:143], v[132:133], v[146:147] op_sel:[0,0,1] op_sel_hi:[1,1,0] neg_lo:[0,0,1] neg_hi:[0,0,1]
	v_pk_fma_f32 v[142:143], v[142:143], v[132:133], v[146:147] op_sel:[0,0,1] op_sel_hi:[1,0,0]
	s_delay_alu instid0(VALU_DEP_1) | instskip(SKIP_1) | instid1(VALU_DEP_1)
	v_mov_b32_e32 v149, v143
	v_pk_mul_f32 v[142:143], v[144:145], v[134:135] op_sel:[0,1]
	v_pk_fma_f32 v[146:147], v[144:145], v[132:133], v[142:143] op_sel:[0,0,1] op_sel_hi:[1,1,0] neg_lo:[0,0,1] neg_hi:[0,0,1]
	v_pk_fma_f32 v[142:143], v[144:145], v[132:133], v[142:143] op_sel:[0,0,1] op_sel_hi:[1,0,0]
	s_delay_alu instid0(VALU_DEP_1)
	v_mov_b32_e32 v147, v143
	ds_load_2addr_b64 v[142:145], v136 offset0:41 offset1:42
	v_pk_add_f32 v[32:33], v[32:33], v[148:149] neg_lo:[0,1] neg_hi:[0,1]
	v_pk_add_f32 v[84:85], v[84:85], v[146:147] neg_lo:[0,1] neg_hi:[0,1]
	s_wait_dscnt 0x0
	v_pk_mul_f32 v[146:147], v[142:143], v[134:135] op_sel:[0,1]
	s_delay_alu instid0(VALU_DEP_1) | instskip(SKIP_1) | instid1(VALU_DEP_1)
	v_pk_fma_f32 v[148:149], v[142:143], v[132:133], v[146:147] op_sel:[0,0,1] op_sel_hi:[1,1,0] neg_lo:[0,0,1] neg_hi:[0,0,1]
	v_pk_fma_f32 v[142:143], v[142:143], v[132:133], v[146:147] op_sel:[0,0,1] op_sel_hi:[1,0,0]
	v_mov_b32_e32 v149, v143
	v_pk_mul_f32 v[142:143], v[144:145], v[134:135] op_sel:[0,1]
	s_delay_alu instid0(VALU_DEP_1) | instskip(SKIP_1) | instid1(VALU_DEP_1)
	v_pk_fma_f32 v[146:147], v[144:145], v[132:133], v[142:143] op_sel:[0,0,1] op_sel_hi:[1,1,0] neg_lo:[0,0,1] neg_hi:[0,0,1]
	v_pk_fma_f32 v[142:143], v[144:145], v[132:133], v[142:143] op_sel:[0,0,1] op_sel_hi:[1,0,0]
	v_mov_b32_e32 v147, v143
	ds_load_2addr_b64 v[142:145], v136 offset0:43 offset1:44
	v_pk_add_f32 v[82:83], v[82:83], v[148:149] neg_lo:[0,1] neg_hi:[0,1]
	v_pk_add_f32 v[24:25], v[24:25], v[146:147] neg_lo:[0,1] neg_hi:[0,1]
	s_wait_dscnt 0x0
	v_dual_mul_f32 v146, v143, v135 :: v_dual_mul_f32 v148, v143, v132
	s_delay_alu instid0(VALU_DEP_1) | instskip(NEXT) | instid1(VALU_DEP_2)
	v_pk_fma_f32 v[146:147], v[142:143], v[60:61], v[146:147] op_sel_hi:[1,1,0] neg_lo:[0,0,1] neg_hi:[0,0,1]
	v_pk_fma_f32 v[142:143], v[142:143], v[60:61], v[148:149] op_sel:[1,0,0] op_sel_hi:[0,1,0]
	s_delay_alu instid0(VALU_DEP_1) | instskip(SKIP_1) | instid1(VALU_DEP_2)
	v_mov_b32_e32 v147, v143
	v_pk_mul_f32 v[142:143], v[144:145], v[134:135] op_sel:[0,1]
	v_pk_add_f32 v[22:23], v[22:23], v[146:147] neg_lo:[0,1] neg_hi:[0,1]
	s_delay_alu instid0(VALU_DEP_2) | instskip(SKIP_1) | instid1(VALU_DEP_1)
	v_pk_fma_f32 v[146:147], v[144:145], v[132:133], v[142:143] op_sel:[0,0,1] op_sel_hi:[1,1,0] neg_lo:[0,0,1] neg_hi:[0,0,1]
	v_pk_fma_f32 v[142:143], v[144:145], v[132:133], v[142:143] op_sel:[0,0,1] op_sel_hi:[1,0,0]
	v_mov_b32_e32 v147, v143
	ds_load_2addr_b64 v[142:145], v136 offset0:45 offset1:46
	v_pk_add_f32 v[80:81], v[80:81], v[146:147] neg_lo:[0,1] neg_hi:[0,1]
	s_wait_dscnt 0x0
	v_pk_mul_f32 v[146:147], v[142:143], v[134:135] op_sel:[0,1]
	s_delay_alu instid0(VALU_DEP_1) | instskip(SKIP_1) | instid1(VALU_DEP_1)
	v_pk_fma_f32 v[148:149], v[142:143], v[132:133], v[146:147] op_sel:[0,0,1] op_sel_hi:[1,1,0] neg_lo:[0,0,1] neg_hi:[0,0,1]
	v_pk_fma_f32 v[142:143], v[142:143], v[132:133], v[146:147] op_sel:[0,0,1] op_sel_hi:[1,0,0]
	v_mov_b32_e32 v149, v143
	v_pk_mul_f32 v[142:143], v[144:145], v[134:135] op_sel:[0,1]
	s_delay_alu instid0(VALU_DEP_2) | instskip(NEXT) | instid1(VALU_DEP_2)
	v_pk_add_f32 v[78:79], v[78:79], v[148:149] neg_lo:[0,1] neg_hi:[0,1]
	v_pk_fma_f32 v[146:147], v[144:145], v[132:133], v[142:143] op_sel:[0,0,1] op_sel_hi:[1,1,0] neg_lo:[0,0,1] neg_hi:[0,0,1]
	v_pk_fma_f32 v[142:143], v[144:145], v[132:133], v[142:143] op_sel:[0,0,1] op_sel_hi:[1,0,0]
	s_delay_alu instid0(VALU_DEP_1) | instskip(SKIP_4) | instid1(VALU_DEP_1)
	v_mov_b32_e32 v147, v143
	ds_load_2addr_b64 v[142:145], v136 offset0:47 offset1:48
	v_pk_add_f32 v[20:21], v[20:21], v[146:147] neg_lo:[0,1] neg_hi:[0,1]
	s_wait_dscnt 0x0
	v_pk_mul_f32 v[146:147], v[142:143], v[134:135] op_sel:[0,1]
	v_pk_fma_f32 v[148:149], v[142:143], v[132:133], v[146:147] op_sel:[0,0,1] op_sel_hi:[1,1,0] neg_lo:[0,0,1] neg_hi:[0,0,1]
	v_pk_fma_f32 v[142:143], v[142:143], v[132:133], v[146:147] op_sel:[0,0,1] op_sel_hi:[1,0,0]
	v_dual_mul_f32 v146, v145, v135 :: v_dual_mov_b32 v142, v145
	s_delay_alu instid0(VALU_DEP_2) | instskip(NEXT) | instid1(VALU_DEP_2)
	v_dual_mov_b32 v149, v143 :: v_dual_mov_b32 v143, v144
	v_pk_fma_f32 v[146:147], v[144:145], v[60:61], v[146:147] op_sel_hi:[1,1,0] neg_lo:[0,0,1] neg_hi:[0,0,1]
	v_mul_f32_e32 v144, v145, v132
	s_delay_alu instid0(VALU_DEP_3) | instskip(NEXT) | instid1(VALU_DEP_2)
	v_pk_add_f32 v[18:19], v[18:19], v[148:149] neg_lo:[0,1] neg_hi:[0,1]
	v_pk_fma_f32 v[142:143], v[142:143], v[60:61], v[144:145] op_sel_hi:[1,1,0]
	s_delay_alu instid0(VALU_DEP_1) | instskip(SKIP_4) | instid1(VALU_DEP_1)
	v_mov_b32_e32 v147, v143
	ds_load_2addr_b64 v[142:145], v136 offset0:49 offset1:50
	v_pk_add_f32 v[76:77], v[76:77], v[146:147] neg_lo:[0,1] neg_hi:[0,1]
	s_wait_dscnt 0x0
	v_pk_mul_f32 v[146:147], v[142:143], v[134:135] op_sel:[0,1]
	v_pk_fma_f32 v[148:149], v[142:143], v[132:133], v[146:147] op_sel:[0,0,1] op_sel_hi:[1,1,0] neg_lo:[0,0,1] neg_hi:[0,0,1]
	v_pk_fma_f32 v[142:143], v[142:143], v[132:133], v[146:147] op_sel:[0,0,1] op_sel_hi:[1,0,0]
	s_delay_alu instid0(VALU_DEP_1) | instskip(SKIP_1) | instid1(VALU_DEP_1)
	v_mov_b32_e32 v149, v143
	v_pk_mul_f32 v[142:143], v[144:145], v[134:135] op_sel:[0,1]
	v_pk_fma_f32 v[146:147], v[144:145], v[132:133], v[142:143] op_sel:[0,0,1] op_sel_hi:[1,1,0] neg_lo:[0,0,1] neg_hi:[0,0,1]
	v_pk_fma_f32 v[142:143], v[144:145], v[132:133], v[142:143] op_sel:[0,0,1] op_sel_hi:[1,0,0]
	s_delay_alu instid0(VALU_DEP_1)
	v_mov_b32_e32 v147, v143
	ds_load_2addr_b64 v[142:145], v136 offset0:51 offset1:52
	v_pk_add_f32 v[74:75], v[74:75], v[148:149] neg_lo:[0,1] neg_hi:[0,1]
	v_pk_add_f32 v[16:17], v[16:17], v[146:147] neg_lo:[0,1] neg_hi:[0,1]
	s_wait_dscnt 0x0
	v_pk_mul_f32 v[146:147], v[142:143], v[134:135] op_sel:[0,1]
	s_delay_alu instid0(VALU_DEP_1) | instskip(SKIP_1) | instid1(VALU_DEP_1)
	v_pk_fma_f32 v[148:149], v[142:143], v[132:133], v[146:147] op_sel:[0,0,1] op_sel_hi:[1,1,0] neg_lo:[0,0,1] neg_hi:[0,0,1]
	v_pk_fma_f32 v[142:143], v[142:143], v[132:133], v[146:147] op_sel:[0,0,1] op_sel_hi:[1,0,0]
	v_mov_b32_e32 v149, v143
	v_pk_mul_f32 v[142:143], v[144:145], v[134:135] op_sel:[0,1]
	s_delay_alu instid0(VALU_DEP_1) | instskip(SKIP_1) | instid1(VALU_DEP_1)
	v_pk_fma_f32 v[146:147], v[144:145], v[132:133], v[142:143] op_sel:[0,0,1] op_sel_hi:[1,1,0] neg_lo:[0,0,1] neg_hi:[0,0,1]
	v_pk_fma_f32 v[142:143], v[144:145], v[132:133], v[142:143] op_sel:[0,0,1] op_sel_hi:[1,0,0]
	v_mov_b32_e32 v147, v143
	ds_load_2addr_b64 v[142:145], v136 offset0:53 offset1:54
	v_pk_add_f32 v[28:29], v[28:29], v[148:149] neg_lo:[0,1] neg_hi:[0,1]
	v_pk_add_f32 v[68:69], v[68:69], v[146:147] neg_lo:[0,1] neg_hi:[0,1]
	s_wait_dscnt 0x0
	v_dual_mul_f32 v146, v143, v135 :: v_dual_mul_f32 v148, v143, v132
	s_delay_alu instid0(VALU_DEP_1) | instskip(NEXT) | instid1(VALU_DEP_2)
	v_pk_fma_f32 v[146:147], v[142:143], v[60:61], v[146:147] op_sel_hi:[1,1,0] neg_lo:[0,0,1] neg_hi:[0,0,1]
	v_pk_fma_f32 v[142:143], v[142:143], v[60:61], v[148:149] op_sel:[1,0,0] op_sel_hi:[0,1,0]
	s_delay_alu instid0(VALU_DEP_1) | instskip(SKIP_1) | instid1(VALU_DEP_2)
	v_mov_b32_e32 v147, v143
	v_pk_mul_f32 v[142:143], v[144:145], v[134:135] op_sel:[0,1]
	v_pk_add_f32 v[66:67], v[66:67], v[146:147] neg_lo:[0,1] neg_hi:[0,1]
	s_delay_alu instid0(VALU_DEP_2) | instskip(SKIP_1) | instid1(VALU_DEP_1)
	v_pk_fma_f32 v[146:147], v[144:145], v[132:133], v[142:143] op_sel:[0,0,1] op_sel_hi:[1,1,0] neg_lo:[0,0,1] neg_hi:[0,0,1]
	v_pk_fma_f32 v[142:143], v[144:145], v[132:133], v[142:143] op_sel:[0,0,1] op_sel_hi:[1,0,0]
	v_mov_b32_e32 v147, v143
	ds_load_2addr_b64 v[142:145], v136 offset0:55 offset1:56
	v_pk_add_f32 v[10:11], v[10:11], v[146:147] neg_lo:[0,1] neg_hi:[0,1]
	s_wait_dscnt 0x0
	v_pk_mul_f32 v[146:147], v[142:143], v[134:135] op_sel:[0,1]
	s_delay_alu instid0(VALU_DEP_1) | instskip(SKIP_1) | instid1(VALU_DEP_1)
	v_pk_fma_f32 v[148:149], v[142:143], v[132:133], v[146:147] op_sel:[0,0,1] op_sel_hi:[1,1,0] neg_lo:[0,0,1] neg_hi:[0,0,1]
	v_pk_fma_f32 v[142:143], v[142:143], v[132:133], v[146:147] op_sel:[0,0,1] op_sel_hi:[1,0,0]
	v_mov_b32_e32 v149, v143
	v_pk_mul_f32 v[142:143], v[144:145], v[134:135] op_sel:[0,1]
	s_delay_alu instid0(VALU_DEP_2) | instskip(NEXT) | instid1(VALU_DEP_2)
	v_pk_add_f32 v[8:9], v[8:9], v[148:149] neg_lo:[0,1] neg_hi:[0,1]
	v_pk_fma_f32 v[146:147], v[144:145], v[132:133], v[142:143] op_sel:[0,0,1] op_sel_hi:[1,1,0] neg_lo:[0,0,1] neg_hi:[0,0,1]
	v_pk_fma_f32 v[142:143], v[144:145], v[132:133], v[142:143] op_sel:[0,0,1] op_sel_hi:[1,0,0]
	s_delay_alu instid0(VALU_DEP_1) | instskip(SKIP_4) | instid1(VALU_DEP_1)
	v_mov_b32_e32 v147, v143
	ds_load_2addr_b64 v[142:145], v136 offset0:57 offset1:58
	v_pk_add_f32 v[34:35], v[34:35], v[146:147] neg_lo:[0,1] neg_hi:[0,1]
	s_wait_dscnt 0x0
	v_pk_mul_f32 v[146:147], v[142:143], v[134:135] op_sel:[0,1]
	v_pk_fma_f32 v[148:149], v[142:143], v[132:133], v[146:147] op_sel:[0,0,1] op_sel_hi:[1,1,0] neg_lo:[0,0,1] neg_hi:[0,0,1]
	v_pk_fma_f32 v[142:143], v[142:143], v[132:133], v[146:147] op_sel:[0,0,1] op_sel_hi:[1,0,0]
	v_dual_mul_f32 v146, v145, v135 :: v_dual_mov_b32 v142, v145
	s_delay_alu instid0(VALU_DEP_2) | instskip(NEXT) | instid1(VALU_DEP_2)
	v_dual_mov_b32 v149, v143 :: v_dual_mov_b32 v143, v144
	v_pk_fma_f32 v[146:147], v[144:145], v[60:61], v[146:147] op_sel_hi:[1,1,0] neg_lo:[0,0,1] neg_hi:[0,0,1]
	v_mul_f32_e32 v144, v145, v132
	s_delay_alu instid0(VALU_DEP_3) | instskip(NEXT) | instid1(VALU_DEP_2)
	v_pk_add_f32 v[30:31], v[30:31], v[148:149] neg_lo:[0,1] neg_hi:[0,1]
	v_pk_fma_f32 v[142:143], v[142:143], v[60:61], v[144:145] op_sel_hi:[1,1,0]
	s_delay_alu instid0(VALU_DEP_1) | instskip(SKIP_4) | instid1(VALU_DEP_1)
	v_mov_b32_e32 v147, v143
	ds_load_2addr_b64 v[142:145], v136 offset0:59 offset1:60
	v_pk_add_f32 v[6:7], v[6:7], v[146:147] neg_lo:[0,1] neg_hi:[0,1]
	s_wait_dscnt 0x0
	v_pk_mul_f32 v[146:147], v[142:143], v[134:135] op_sel:[0,1]
	v_pk_fma_f32 v[148:149], v[142:143], v[132:133], v[146:147] op_sel:[0,0,1] op_sel_hi:[1,1,0] neg_lo:[0,0,1] neg_hi:[0,0,1]
	v_pk_fma_f32 v[142:143], v[142:143], v[132:133], v[146:147] op_sel:[0,0,1] op_sel_hi:[1,0,0]
	s_delay_alu instid0(VALU_DEP_1) | instskip(SKIP_1) | instid1(VALU_DEP_1)
	v_mov_b32_e32 v149, v143
	v_pk_mul_f32 v[142:143], v[144:145], v[134:135] op_sel:[0,1]
	v_pk_fma_f32 v[146:147], v[144:145], v[132:133], v[142:143] op_sel:[0,0,1] op_sel_hi:[1,1,0] neg_lo:[0,0,1] neg_hi:[0,0,1]
	v_pk_fma_f32 v[142:143], v[144:145], v[132:133], v[142:143] op_sel:[0,0,1] op_sel_hi:[1,0,0]
	s_delay_alu instid0(VALU_DEP_1)
	v_mov_b32_e32 v147, v143
	ds_load_2addr_b64 v[142:145], v136 offset0:61 offset1:62
	v_pk_add_f32 v[26:27], v[26:27], v[148:149] neg_lo:[0,1] neg_hi:[0,1]
	v_pk_add_f32 v[14:15], v[14:15], v[146:147] neg_lo:[0,1] neg_hi:[0,1]
	s_wait_dscnt 0x0
	v_pk_mul_f32 v[146:147], v[142:143], v[134:135] op_sel:[0,1]
	v_mul_f32_e32 v134, v145, v135
	s_delay_alu instid0(VALU_DEP_2) | instskip(SKIP_2) | instid1(VALU_DEP_4)
	v_pk_fma_f32 v[148:149], v[142:143], v[132:133], v[146:147] op_sel:[0,0,1] op_sel_hi:[1,1,0] neg_lo:[0,0,1] neg_hi:[0,0,1]
	v_pk_fma_f32 v[142:143], v[142:143], v[132:133], v[146:147] op_sel:[0,0,1] op_sel_hi:[1,0,0]
	v_dual_mov_b32 v142, v145 :: v_dual_mul_f32 v132, v145, v132
	v_pk_fma_f32 v[134:135], v[144:145], v[60:61], v[134:135] op_sel_hi:[1,1,0] neg_lo:[0,0,1] neg_hi:[0,0,1]
	s_delay_alu instid0(VALU_DEP_3) | instskip(NEXT) | instid1(VALU_DEP_1)
	v_dual_mov_b32 v149, v143 :: v_dual_mov_b32 v143, v144
	v_pk_add_f32 v[12:13], v[12:13], v[148:149] neg_lo:[0,1] neg_hi:[0,1]
	s_delay_alu instid0(VALU_DEP_2) | instskip(NEXT) | instid1(VALU_DEP_1)
	v_pk_fma_f32 v[132:133], v[142:143], v[60:61], v[132:133] op_sel_hi:[1,1,0]
	v_mov_b32_e32 v135, v133
	s_delay_alu instid0(VALU_DEP_1)
	v_pk_add_f32 v[130:131], v[130:131], v[134:135] neg_lo:[0,1] neg_hi:[0,1]
.LBB124_314:
	s_or_b32 exec_lo, exec_lo, s0
	v_lshl_add_u32 v132, v140, 3, v136
	s_barrier_signal -1
	s_barrier_wait -1
	ds_store_b64 v132, v[58:59]
	s_wait_dscnt 0x0
	s_barrier_signal -1
	s_barrier_wait -1
	ds_load_b64 v[134:135], v136 offset:120
	v_mov_b32_e32 v132, 15
	s_cmp_lt_i32 s18, 17
	s_cbranch_scc1 .LBB124_317
; %bb.315:
	v_add3_u32 v133, v137, 0, 0x80
	v_mov_b32_e32 v132, 15
	s_mov_b32 s0, 16
.LBB124_316:                            ; =>This Inner Loop Header: Depth=1
	ds_load_b64 v[142:143], v133
	s_wait_dscnt 0x1
	v_cmp_gt_f32_e32 vcc_lo, 0, v134
	v_cndmask_b32_e64 v144, v134, -v134, vcc_lo
	v_cmp_gt_f32_e32 vcc_lo, 0, v135
	v_cndmask_b32_e64 v146, v135, -v135, vcc_lo
	s_wait_dscnt 0x0
	v_cmp_gt_f32_e32 vcc_lo, 0, v142
	v_cndmask_b32_e64 v145, v142, -v142, vcc_lo
	v_cmp_gt_f32_e32 vcc_lo, 0, v143
	v_cndmask_b32_e64 v147, v143, -v143, vcc_lo
	s_delay_alu instid0(VALU_DEP_1) | instskip(NEXT) | instid1(VALU_DEP_1)
	v_pk_add_f32 v[144:145], v[144:145], v[146:147]
	v_cmp_lt_f32_e32 vcc_lo, v144, v145
	v_dual_add_nc_u32 v133, 8, v133 :: v_dual_cndmask_b32 v135, v135, v143, vcc_lo
	v_cndmask_b32_e32 v134, v134, v142, vcc_lo
	v_cndmask_b32_e64 v132, v132, s0, vcc_lo
	s_add_co_i32 s0, s0, 1
	s_delay_alu instid0(SALU_CYCLE_1)
	s_cmp_lg_u32 s18, s0
	s_cbranch_scc1 .LBB124_316
.LBB124_317:
	s_wait_dscnt 0x0
	v_cmp_eq_f32_e32 vcc_lo, 0, v134
	v_cmp_eq_f32_e64 s0, 0, v135
	s_and_b32 s0, vcc_lo, s0
	s_delay_alu instid0(SALU_CYCLE_1) | instskip(NEXT) | instid1(SALU_CYCLE_1)
	s_and_saveexec_b32 s1, s0
	s_xor_b32 s0, exec_lo, s1
; %bb.318:
	v_cmp_ne_u32_e32 vcc_lo, 0, v138
	v_cndmask_b32_e32 v138, 16, v138, vcc_lo
; %bb.319:
	s_and_not1_saveexec_b32 s0, s0
	s_cbranch_execz .LBB124_325
; %bb.320:
	v_cmp_ngt_f32_e64 s1, |v134|, |v135|
	s_and_saveexec_b32 s12, s1
	s_delay_alu instid0(SALU_CYCLE_1)
	s_xor_b32 s1, exec_lo, s12
	s_cbranch_execz .LBB124_322
; %bb.321:
	v_div_scale_f32 v133, null, v135, v135, v134
	v_div_scale_f32 v143, vcc_lo, v134, v135, v134
	s_delay_alu instid0(VALU_DEP_2) | instskip(SKIP_1) | instid1(TRANS32_DEP_1)
	v_rcp_f32_e32 v141, v133
	v_nop
	v_fma_f32 v142, -v133, v141, 1.0
	s_delay_alu instid0(VALU_DEP_1) | instskip(NEXT) | instid1(VALU_DEP_1)
	v_fmac_f32_e32 v141, v142, v141
	v_mul_f32_e32 v142, v143, v141
	s_delay_alu instid0(VALU_DEP_1) | instskip(NEXT) | instid1(VALU_DEP_1)
	v_fma_f32 v144, -v133, v142, v143
	v_fmac_f32_e32 v142, v144, v141
	s_delay_alu instid0(VALU_DEP_1) | instskip(NEXT) | instid1(VALU_DEP_1)
	v_fma_f32 v133, -v133, v142, v143
	v_div_fmas_f32 v133, v133, v141, v142
	s_delay_alu instid0(VALU_DEP_1) | instskip(NEXT) | instid1(VALU_DEP_1)
	v_div_fixup_f32 v133, v133, v135, v134
	v_fmac_f32_e32 v135, v134, v133
	s_delay_alu instid0(VALU_DEP_1) | instskip(SKIP_1) | instid1(VALU_DEP_2)
	v_div_scale_f32 v134, null, v135, v135, 1.0
	v_div_scale_f32 v143, vcc_lo, 1.0, v135, 1.0
	v_rcp_f32_e32 v141, v134
	v_nop
	s_delay_alu instid0(TRANS32_DEP_1) | instskip(NEXT) | instid1(VALU_DEP_1)
	v_fma_f32 v142, -v134, v141, 1.0
	v_fmac_f32_e32 v141, v142, v141
	s_delay_alu instid0(VALU_DEP_1) | instskip(NEXT) | instid1(VALU_DEP_1)
	v_mul_f32_e32 v142, v143, v141
	v_fma_f32 v144, -v134, v142, v143
	s_delay_alu instid0(VALU_DEP_1) | instskip(NEXT) | instid1(VALU_DEP_1)
	v_fmac_f32_e32 v142, v144, v141
	v_fma_f32 v134, -v134, v142, v143
	s_delay_alu instid0(VALU_DEP_1) | instskip(NEXT) | instid1(VALU_DEP_1)
	v_div_fmas_f32 v134, v134, v141, v142
	v_div_fixup_f32 v135, v134, v135, 1.0
	s_delay_alu instid0(VALU_DEP_1)
	v_mul_f32_e32 v134, v133, v135
	v_xor_b32_e32 v135, 0x80000000, v135
.LBB124_322:
	s_and_not1_saveexec_b32 s1, s1
	s_cbranch_execz .LBB124_324
; %bb.323:
	s_delay_alu instid0(VALU_DEP_1) | instskip(SKIP_1) | instid1(VALU_DEP_2)
	v_div_scale_f32 v133, null, v134, v134, v135
	v_div_scale_f32 v143, vcc_lo, v135, v134, v135
	v_rcp_f32_e32 v141, v133
	v_nop
	s_delay_alu instid0(TRANS32_DEP_1) | instskip(NEXT) | instid1(VALU_DEP_1)
	v_fma_f32 v142, -v133, v141, 1.0
	v_fmac_f32_e32 v141, v142, v141
	s_delay_alu instid0(VALU_DEP_1) | instskip(NEXT) | instid1(VALU_DEP_1)
	v_mul_f32_e32 v142, v143, v141
	v_fma_f32 v144, -v133, v142, v143
	s_delay_alu instid0(VALU_DEP_1) | instskip(NEXT) | instid1(VALU_DEP_1)
	v_fmac_f32_e32 v142, v144, v141
	v_fma_f32 v133, -v133, v142, v143
	s_delay_alu instid0(VALU_DEP_1) | instskip(NEXT) | instid1(VALU_DEP_1)
	v_div_fmas_f32 v133, v133, v141, v142
	v_div_fixup_f32 v133, v133, v134, v135
	s_delay_alu instid0(VALU_DEP_1) | instskip(NEXT) | instid1(VALU_DEP_1)
	v_fmac_f32_e32 v134, v135, v133
	v_div_scale_f32 v135, null, v134, v134, 1.0
	s_delay_alu instid0(VALU_DEP_1) | instskip(SKIP_1) | instid1(TRANS32_DEP_1)
	v_rcp_f32_e32 v141, v135
	v_nop
	v_fma_f32 v142, -v135, v141, 1.0
	s_delay_alu instid0(VALU_DEP_1) | instskip(SKIP_1) | instid1(VALU_DEP_1)
	v_fmac_f32_e32 v141, v142, v141
	v_div_scale_f32 v142, vcc_lo, 1.0, v134, 1.0
	v_mul_f32_e32 v143, v142, v141
	s_delay_alu instid0(VALU_DEP_1) | instskip(NEXT) | instid1(VALU_DEP_1)
	v_fma_f32 v144, -v135, v143, v142
	v_fmac_f32_e32 v143, v144, v141
	s_delay_alu instid0(VALU_DEP_1) | instskip(NEXT) | instid1(VALU_DEP_1)
	v_fma_f32 v135, -v135, v143, v142
	v_div_fmas_f32 v135, v135, v141, v143
	s_delay_alu instid0(VALU_DEP_1) | instskip(NEXT) | instid1(VALU_DEP_1)
	v_div_fixup_f32 v134, v135, v134, 1.0
	v_mul_f32_e64 v135, v133, -v134
.LBB124_324:
	s_or_b32 exec_lo, exec_lo, s1
.LBB124_325:
	s_delay_alu instid0(SALU_CYCLE_1) | instskip(NEXT) | instid1(SALU_CYCLE_1)
	s_or_b32 exec_lo, exec_lo, s0
	s_mov_b32 s0, exec_lo
	v_cmpx_ne_u32_e64 v140, v132
	s_xor_b32 s0, exec_lo, s0
	s_cbranch_execz .LBB124_331
; %bb.326:
	s_mov_b32 s1, exec_lo
	v_cmpx_eq_u32_e32 15, v140
	s_cbranch_execz .LBB124_330
; %bb.327:
	v_cmp_ne_u32_e32 vcc_lo, 15, v132
	s_xor_b32 s12, s16, -1
	s_delay_alu instid0(SALU_CYCLE_1) | instskip(NEXT) | instid1(SALU_CYCLE_1)
	s_and_b32 s13, s12, vcc_lo
	s_and_saveexec_b32 s12, s13
	s_cbranch_execz .LBB124_329
; %bb.328:
	v_ashrrev_i32_e32 v133, 31, v132
	s_delay_alu instid0(VALU_DEP_1)
	v_lshl_add_u64 v[140:141], v[132:133], 2, v[4:5]
	s_clause 0x1
	global_load_b32 v133, v[140:141], off
	global_load_b32 v139, v[4:5], off offset:60
	s_wait_loadcnt 0x1
	global_store_b32 v[4:5], v133, off offset:60
	s_wait_loadcnt 0x0
	global_store_b32 v[140:141], v139, off
.LBB124_329:
	s_wait_xcnt 0x0
	s_or_b32 exec_lo, exec_lo, s12
	v_dual_mov_b32 v140, v132 :: v_dual_mov_b32 v139, v132
.LBB124_330:
	s_or_b32 exec_lo, exec_lo, s1
.LBB124_331:
	s_and_not1_saveexec_b32 s0, s0
	s_cbranch_execz .LBB124_333
; %bb.332:
	v_dual_mov_b32 v132, v108 :: v_dual_mov_b32 v133, v109
	v_dual_mov_b32 v140, v106 :: v_dual_mov_b32 v141, v107
	ds_store_2addr_b64 v136, v[132:133], v[140:141] offset0:16 offset1:17
	v_dual_mov_b32 v132, v56 :: v_dual_mov_b32 v133, v57
	v_dual_mov_b32 v140, v54 :: v_dual_mov_b32 v141, v55
	ds_store_2addr_b64 v136, v[132:133], v[140:141] offset0:18 offset1:19
	;; [unrolled: 3-line block ×23, first 2 shown]
	ds_store_b64 v136, v[130:131] offset:496
	v_mov_b32_e32 v140, 15
.LBB124_333:
	s_or_b32 exec_lo, exec_lo, s0
	s_delay_alu instid0(SALU_CYCLE_1)
	s_mov_b32 s0, exec_lo
	s_wait_storecnt_dscnt 0x0
	s_barrier_signal -1
	s_barrier_wait -1
	v_cmpx_lt_i32_e32 15, v140
	s_cbranch_execz .LBB124_335
; %bb.334:
	v_pk_mul_f32 v[142:143], v[134:135], v[58:59] op_sel:[1,1] op_sel_hi:[0,1]
	s_delay_alu instid0(VALU_DEP_1)
	v_pk_fma_f32 v[132:133], v[134:135], v[58:59], v[142:143] op_sel_hi:[1,0,1] neg_lo:[0,0,1] neg_hi:[0,0,1]
	v_pk_fma_f32 v[134:135], v[134:135], v[58:59], v[142:143] op_sel_hi:[1,0,1]
	ds_load_2addr_b64 v[142:145], v136 offset0:16 offset1:17
	v_dual_mov_b32 v58, v132 :: v_dual_mov_b32 v59, v135
	s_wait_dscnt 0x0
	v_pk_mul_f32 v[146:147], v[142:143], v[134:135] op_sel:[0,1]
	s_delay_alu instid0(VALU_DEP_1) | instskip(SKIP_1) | instid1(VALU_DEP_1)
	v_pk_fma_f32 v[148:149], v[142:143], v[132:133], v[146:147] op_sel:[0,0,1] op_sel_hi:[1,1,0] neg_lo:[0,0,1] neg_hi:[0,0,1]
	v_pk_fma_f32 v[142:143], v[142:143], v[132:133], v[146:147] op_sel:[0,0,1] op_sel_hi:[1,0,0]
	v_mov_b32_e32 v149, v143
	v_pk_mul_f32 v[142:143], v[144:145], v[134:135] op_sel:[0,1]
	s_delay_alu instid0(VALU_DEP_1) | instskip(SKIP_1) | instid1(VALU_DEP_1)
	v_pk_fma_f32 v[146:147], v[144:145], v[132:133], v[142:143] op_sel:[0,0,1] op_sel_hi:[1,1,0] neg_lo:[0,0,1] neg_hi:[0,0,1]
	v_pk_fma_f32 v[142:143], v[144:145], v[132:133], v[142:143] op_sel:[0,0,1] op_sel_hi:[1,0,0]
	v_mov_b32_e32 v147, v143
	ds_load_2addr_b64 v[142:145], v136 offset0:18 offset1:19
	v_pk_add_f32 v[108:109], v[108:109], v[148:149] neg_lo:[0,1] neg_hi:[0,1]
	v_pk_add_f32 v[106:107], v[106:107], v[146:147] neg_lo:[0,1] neg_hi:[0,1]
	s_wait_dscnt 0x0
	v_pk_mul_f32 v[146:147], v[142:143], v[134:135] op_sel:[0,1]
	s_delay_alu instid0(VALU_DEP_1) | instskip(SKIP_2) | instid1(VALU_DEP_2)
	v_pk_fma_f32 v[148:149], v[142:143], v[132:133], v[146:147] op_sel:[0,0,1] op_sel_hi:[1,1,0] neg_lo:[0,0,1] neg_hi:[0,0,1]
	v_pk_fma_f32 v[142:143], v[142:143], v[132:133], v[146:147] op_sel:[0,0,1] op_sel_hi:[1,0,0]
	v_dual_mul_f32 v146, v145, v135 :: v_dual_mov_b32 v142, v145
	v_dual_mov_b32 v149, v143 :: v_dual_mov_b32 v143, v144
	s_delay_alu instid0(VALU_DEP_2) | instskip(SKIP_1) | instid1(VALU_DEP_3)
	v_pk_fma_f32 v[146:147], v[144:145], v[58:59], v[146:147] op_sel_hi:[1,1,0] neg_lo:[0,0,1] neg_hi:[0,0,1]
	v_mul_f32_e32 v144, v145, v132
	v_pk_add_f32 v[56:57], v[56:57], v[148:149] neg_lo:[0,1] neg_hi:[0,1]
	s_delay_alu instid0(VALU_DEP_2) | instskip(NEXT) | instid1(VALU_DEP_1)
	v_pk_fma_f32 v[142:143], v[142:143], v[58:59], v[144:145] op_sel_hi:[1,1,0]
	v_mov_b32_e32 v147, v143
	ds_load_2addr_b64 v[142:145], v136 offset0:20 offset1:21
	v_pk_add_f32 v[54:55], v[54:55], v[146:147] neg_lo:[0,1] neg_hi:[0,1]
	s_wait_dscnt 0x0
	v_pk_mul_f32 v[146:147], v[142:143], v[134:135] op_sel:[0,1]
	s_delay_alu instid0(VALU_DEP_1) | instskip(SKIP_1) | instid1(VALU_DEP_1)
	v_pk_fma_f32 v[148:149], v[142:143], v[132:133], v[146:147] op_sel:[0,0,1] op_sel_hi:[1,1,0] neg_lo:[0,0,1] neg_hi:[0,0,1]
	v_pk_fma_f32 v[142:143], v[142:143], v[132:133], v[146:147] op_sel:[0,0,1] op_sel_hi:[1,0,0]
	v_mov_b32_e32 v149, v143
	v_pk_mul_f32 v[142:143], v[144:145], v[134:135] op_sel:[0,1]
	s_delay_alu instid0(VALU_DEP_1) | instskip(SKIP_1) | instid1(VALU_DEP_1)
	v_pk_fma_f32 v[146:147], v[144:145], v[132:133], v[142:143] op_sel:[0,0,1] op_sel_hi:[1,1,0] neg_lo:[0,0,1] neg_hi:[0,0,1]
	v_pk_fma_f32 v[142:143], v[144:145], v[132:133], v[142:143] op_sel:[0,0,1] op_sel_hi:[1,0,0]
	v_mov_b32_e32 v147, v143
	ds_load_2addr_b64 v[142:145], v136 offset0:22 offset1:23
	v_pk_add_f32 v[104:105], v[104:105], v[148:149] neg_lo:[0,1] neg_hi:[0,1]
	v_pk_add_f32 v[102:103], v[102:103], v[146:147] neg_lo:[0,1] neg_hi:[0,1]
	s_wait_dscnt 0x0
	v_pk_mul_f32 v[146:147], v[142:143], v[134:135] op_sel:[0,1]
	s_delay_alu instid0(VALU_DEP_1) | instskip(SKIP_1) | instid1(VALU_DEP_1)
	v_pk_fma_f32 v[148:149], v[142:143], v[132:133], v[146:147] op_sel:[0,0,1] op_sel_hi:[1,1,0] neg_lo:[0,0,1] neg_hi:[0,0,1]
	v_pk_fma_f32 v[142:143], v[142:143], v[132:133], v[146:147] op_sel:[0,0,1] op_sel_hi:[1,0,0]
	v_mov_b32_e32 v149, v143
	v_pk_mul_f32 v[142:143], v[144:145], v[134:135] op_sel:[0,1]
	s_delay_alu instid0(VALU_DEP_1) | instskip(SKIP_1) | instid1(VALU_DEP_1)
	v_pk_fma_f32 v[146:147], v[144:145], v[132:133], v[142:143] op_sel:[0,0,1] op_sel_hi:[1,1,0] neg_lo:[0,0,1] neg_hi:[0,0,1]
	v_pk_fma_f32 v[142:143], v[144:145], v[132:133], v[142:143] op_sel:[0,0,1] op_sel_hi:[1,0,0]
	v_mov_b32_e32 v147, v143
	ds_load_2addr_b64 v[142:145], v136 offset0:24 offset1:25
	v_pk_add_f32 v[52:53], v[52:53], v[148:149] neg_lo:[0,1] neg_hi:[0,1]
	v_pk_add_f32 v[50:51], v[50:51], v[146:147] neg_lo:[0,1] neg_hi:[0,1]
	s_wait_dscnt 0x0
	v_dual_mul_f32 v146, v143, v135 :: v_dual_mul_f32 v148, v143, v132
	s_delay_alu instid0(VALU_DEP_1) | instskip(NEXT) | instid1(VALU_DEP_2)
	v_pk_fma_f32 v[146:147], v[142:143], v[58:59], v[146:147] op_sel_hi:[1,1,0] neg_lo:[0,0,1] neg_hi:[0,0,1]
	v_pk_fma_f32 v[142:143], v[142:143], v[58:59], v[148:149] op_sel:[1,0,0] op_sel_hi:[0,1,0]
	s_delay_alu instid0(VALU_DEP_1) | instskip(SKIP_1) | instid1(VALU_DEP_2)
	v_mov_b32_e32 v147, v143
	v_pk_mul_f32 v[142:143], v[144:145], v[134:135] op_sel:[0,1]
	v_pk_add_f32 v[100:101], v[100:101], v[146:147] neg_lo:[0,1] neg_hi:[0,1]
	s_delay_alu instid0(VALU_DEP_2) | instskip(SKIP_1) | instid1(VALU_DEP_1)
	v_pk_fma_f32 v[146:147], v[144:145], v[132:133], v[142:143] op_sel:[0,0,1] op_sel_hi:[1,1,0] neg_lo:[0,0,1] neg_hi:[0,0,1]
	v_pk_fma_f32 v[142:143], v[144:145], v[132:133], v[142:143] op_sel:[0,0,1] op_sel_hi:[1,0,0]
	v_mov_b32_e32 v147, v143
	ds_load_2addr_b64 v[142:145], v136 offset0:26 offset1:27
	v_pk_add_f32 v[98:99], v[98:99], v[146:147] neg_lo:[0,1] neg_hi:[0,1]
	s_wait_dscnt 0x0
	v_pk_mul_f32 v[146:147], v[142:143], v[134:135] op_sel:[0,1]
	s_delay_alu instid0(VALU_DEP_1) | instskip(SKIP_1) | instid1(VALU_DEP_1)
	v_pk_fma_f32 v[148:149], v[142:143], v[132:133], v[146:147] op_sel:[0,0,1] op_sel_hi:[1,1,0] neg_lo:[0,0,1] neg_hi:[0,0,1]
	v_pk_fma_f32 v[142:143], v[142:143], v[132:133], v[146:147] op_sel:[0,0,1] op_sel_hi:[1,0,0]
	v_mov_b32_e32 v149, v143
	v_pk_mul_f32 v[142:143], v[144:145], v[134:135] op_sel:[0,1]
	s_delay_alu instid0(VALU_DEP_2) | instskip(NEXT) | instid1(VALU_DEP_2)
	v_pk_add_f32 v[48:49], v[48:49], v[148:149] neg_lo:[0,1] neg_hi:[0,1]
	v_pk_fma_f32 v[146:147], v[144:145], v[132:133], v[142:143] op_sel:[0,0,1] op_sel_hi:[1,1,0] neg_lo:[0,0,1] neg_hi:[0,0,1]
	v_pk_fma_f32 v[142:143], v[144:145], v[132:133], v[142:143] op_sel:[0,0,1] op_sel_hi:[1,0,0]
	s_delay_alu instid0(VALU_DEP_1) | instskip(SKIP_4) | instid1(VALU_DEP_1)
	v_mov_b32_e32 v147, v143
	ds_load_2addr_b64 v[142:145], v136 offset0:28 offset1:29
	v_pk_add_f32 v[46:47], v[46:47], v[146:147] neg_lo:[0,1] neg_hi:[0,1]
	s_wait_dscnt 0x0
	v_pk_mul_f32 v[146:147], v[142:143], v[134:135] op_sel:[0,1]
	v_pk_fma_f32 v[148:149], v[142:143], v[132:133], v[146:147] op_sel:[0,0,1] op_sel_hi:[1,1,0] neg_lo:[0,0,1] neg_hi:[0,0,1]
	v_pk_fma_f32 v[142:143], v[142:143], v[132:133], v[146:147] op_sel:[0,0,1] op_sel_hi:[1,0,0]
	v_dual_mul_f32 v146, v145, v135 :: v_dual_mov_b32 v142, v145
	s_delay_alu instid0(VALU_DEP_2) | instskip(NEXT) | instid1(VALU_DEP_2)
	v_dual_mov_b32 v149, v143 :: v_dual_mov_b32 v143, v144
	v_pk_fma_f32 v[146:147], v[144:145], v[58:59], v[146:147] op_sel_hi:[1,1,0] neg_lo:[0,0,1] neg_hi:[0,0,1]
	v_mul_f32_e32 v144, v145, v132
	s_delay_alu instid0(VALU_DEP_3) | instskip(NEXT) | instid1(VALU_DEP_2)
	v_pk_add_f32 v[96:97], v[96:97], v[148:149] neg_lo:[0,1] neg_hi:[0,1]
	v_pk_fma_f32 v[142:143], v[142:143], v[58:59], v[144:145] op_sel_hi:[1,1,0]
	s_delay_alu instid0(VALU_DEP_1) | instskip(SKIP_4) | instid1(VALU_DEP_1)
	v_mov_b32_e32 v147, v143
	ds_load_2addr_b64 v[142:145], v136 offset0:30 offset1:31
	v_pk_add_f32 v[94:95], v[94:95], v[146:147] neg_lo:[0,1] neg_hi:[0,1]
	s_wait_dscnt 0x0
	v_pk_mul_f32 v[146:147], v[142:143], v[134:135] op_sel:[0,1]
	v_pk_fma_f32 v[148:149], v[142:143], v[132:133], v[146:147] op_sel:[0,0,1] op_sel_hi:[1,1,0] neg_lo:[0,0,1] neg_hi:[0,0,1]
	v_pk_fma_f32 v[142:143], v[142:143], v[132:133], v[146:147] op_sel:[0,0,1] op_sel_hi:[1,0,0]
	s_delay_alu instid0(VALU_DEP_1) | instskip(SKIP_1) | instid1(VALU_DEP_1)
	v_mov_b32_e32 v149, v143
	v_pk_mul_f32 v[142:143], v[144:145], v[134:135] op_sel:[0,1]
	v_pk_fma_f32 v[146:147], v[144:145], v[132:133], v[142:143] op_sel:[0,0,1] op_sel_hi:[1,1,0] neg_lo:[0,0,1] neg_hi:[0,0,1]
	v_pk_fma_f32 v[142:143], v[144:145], v[132:133], v[142:143] op_sel:[0,0,1] op_sel_hi:[1,0,0]
	s_delay_alu instid0(VALU_DEP_1)
	v_mov_b32_e32 v147, v143
	ds_load_2addr_b64 v[142:145], v136 offset0:32 offset1:33
	v_pk_add_f32 v[44:45], v[44:45], v[148:149] neg_lo:[0,1] neg_hi:[0,1]
	v_pk_add_f32 v[42:43], v[42:43], v[146:147] neg_lo:[0,1] neg_hi:[0,1]
	s_wait_dscnt 0x0
	v_pk_mul_f32 v[146:147], v[142:143], v[134:135] op_sel:[0,1]
	s_delay_alu instid0(VALU_DEP_1) | instskip(SKIP_1) | instid1(VALU_DEP_1)
	v_pk_fma_f32 v[148:149], v[142:143], v[132:133], v[146:147] op_sel:[0,0,1] op_sel_hi:[1,1,0] neg_lo:[0,0,1] neg_hi:[0,0,1]
	v_pk_fma_f32 v[142:143], v[142:143], v[132:133], v[146:147] op_sel:[0,0,1] op_sel_hi:[1,0,0]
	v_mov_b32_e32 v149, v143
	v_pk_mul_f32 v[142:143], v[144:145], v[134:135] op_sel:[0,1]
	s_delay_alu instid0(VALU_DEP_1) | instskip(SKIP_1) | instid1(VALU_DEP_1)
	v_pk_fma_f32 v[146:147], v[144:145], v[132:133], v[142:143] op_sel:[0,0,1] op_sel_hi:[1,1,0] neg_lo:[0,0,1] neg_hi:[0,0,1]
	v_pk_fma_f32 v[142:143], v[144:145], v[132:133], v[142:143] op_sel:[0,0,1] op_sel_hi:[1,0,0]
	v_mov_b32_e32 v147, v143
	ds_load_2addr_b64 v[142:145], v136 offset0:34 offset1:35
	v_pk_add_f32 v[92:93], v[92:93], v[148:149] neg_lo:[0,1] neg_hi:[0,1]
	v_pk_add_f32 v[90:91], v[90:91], v[146:147] neg_lo:[0,1] neg_hi:[0,1]
	s_wait_dscnt 0x0
	v_dual_mul_f32 v146, v143, v135 :: v_dual_mul_f32 v148, v143, v132
	s_delay_alu instid0(VALU_DEP_1) | instskip(NEXT) | instid1(VALU_DEP_2)
	v_pk_fma_f32 v[146:147], v[142:143], v[58:59], v[146:147] op_sel_hi:[1,1,0] neg_lo:[0,0,1] neg_hi:[0,0,1]
	v_pk_fma_f32 v[142:143], v[142:143], v[58:59], v[148:149] op_sel:[1,0,0] op_sel_hi:[0,1,0]
	s_delay_alu instid0(VALU_DEP_1) | instskip(SKIP_1) | instid1(VALU_DEP_2)
	v_mov_b32_e32 v147, v143
	v_pk_mul_f32 v[142:143], v[144:145], v[134:135] op_sel:[0,1]
	v_pk_add_f32 v[40:41], v[40:41], v[146:147] neg_lo:[0,1] neg_hi:[0,1]
	s_delay_alu instid0(VALU_DEP_2) | instskip(SKIP_1) | instid1(VALU_DEP_1)
	v_pk_fma_f32 v[146:147], v[144:145], v[132:133], v[142:143] op_sel:[0,0,1] op_sel_hi:[1,1,0] neg_lo:[0,0,1] neg_hi:[0,0,1]
	v_pk_fma_f32 v[142:143], v[144:145], v[132:133], v[142:143] op_sel:[0,0,1] op_sel_hi:[1,0,0]
	v_mov_b32_e32 v147, v143
	ds_load_2addr_b64 v[142:145], v136 offset0:36 offset1:37
	v_pk_add_f32 v[38:39], v[38:39], v[146:147] neg_lo:[0,1] neg_hi:[0,1]
	s_wait_dscnt 0x0
	v_pk_mul_f32 v[146:147], v[142:143], v[134:135] op_sel:[0,1]
	s_delay_alu instid0(VALU_DEP_1) | instskip(SKIP_1) | instid1(VALU_DEP_1)
	v_pk_fma_f32 v[148:149], v[142:143], v[132:133], v[146:147] op_sel:[0,0,1] op_sel_hi:[1,1,0] neg_lo:[0,0,1] neg_hi:[0,0,1]
	v_pk_fma_f32 v[142:143], v[142:143], v[132:133], v[146:147] op_sel:[0,0,1] op_sel_hi:[1,0,0]
	v_mov_b32_e32 v149, v143
	v_pk_mul_f32 v[142:143], v[144:145], v[134:135] op_sel:[0,1]
	s_delay_alu instid0(VALU_DEP_2) | instskip(NEXT) | instid1(VALU_DEP_2)
	v_pk_add_f32 v[88:89], v[88:89], v[148:149] neg_lo:[0,1] neg_hi:[0,1]
	v_pk_fma_f32 v[146:147], v[144:145], v[132:133], v[142:143] op_sel:[0,0,1] op_sel_hi:[1,1,0] neg_lo:[0,0,1] neg_hi:[0,0,1]
	v_pk_fma_f32 v[142:143], v[144:145], v[132:133], v[142:143] op_sel:[0,0,1] op_sel_hi:[1,0,0]
	s_delay_alu instid0(VALU_DEP_1) | instskip(SKIP_4) | instid1(VALU_DEP_1)
	v_mov_b32_e32 v147, v143
	ds_load_2addr_b64 v[142:145], v136 offset0:38 offset1:39
	v_pk_add_f32 v[86:87], v[86:87], v[146:147] neg_lo:[0,1] neg_hi:[0,1]
	s_wait_dscnt 0x0
	v_pk_mul_f32 v[146:147], v[142:143], v[134:135] op_sel:[0,1]
	v_pk_fma_f32 v[148:149], v[142:143], v[132:133], v[146:147] op_sel:[0,0,1] op_sel_hi:[1,1,0] neg_lo:[0,0,1] neg_hi:[0,0,1]
	v_pk_fma_f32 v[142:143], v[142:143], v[132:133], v[146:147] op_sel:[0,0,1] op_sel_hi:[1,0,0]
	v_dual_mul_f32 v146, v145, v135 :: v_dual_mov_b32 v142, v145
	s_delay_alu instid0(VALU_DEP_2) | instskip(NEXT) | instid1(VALU_DEP_2)
	v_dual_mov_b32 v149, v143 :: v_dual_mov_b32 v143, v144
	v_pk_fma_f32 v[146:147], v[144:145], v[58:59], v[146:147] op_sel_hi:[1,1,0] neg_lo:[0,0,1] neg_hi:[0,0,1]
	v_mul_f32_e32 v144, v145, v132
	s_delay_alu instid0(VALU_DEP_3) | instskip(NEXT) | instid1(VALU_DEP_2)
	v_pk_add_f32 v[36:37], v[36:37], v[148:149] neg_lo:[0,1] neg_hi:[0,1]
	v_pk_fma_f32 v[142:143], v[142:143], v[58:59], v[144:145] op_sel_hi:[1,1,0]
	s_delay_alu instid0(VALU_DEP_1) | instskip(SKIP_4) | instid1(VALU_DEP_1)
	v_mov_b32_e32 v147, v143
	ds_load_2addr_b64 v[142:145], v136 offset0:40 offset1:41
	v_pk_add_f32 v[32:33], v[32:33], v[146:147] neg_lo:[0,1] neg_hi:[0,1]
	s_wait_dscnt 0x0
	v_pk_mul_f32 v[146:147], v[142:143], v[134:135] op_sel:[0,1]
	v_pk_fma_f32 v[148:149], v[142:143], v[132:133], v[146:147] op_sel:[0,0,1] op_sel_hi:[1,1,0] neg_lo:[0,0,1] neg_hi:[0,0,1]
	v_pk_fma_f32 v[142:143], v[142:143], v[132:133], v[146:147] op_sel:[0,0,1] op_sel_hi:[1,0,0]
	s_delay_alu instid0(VALU_DEP_1) | instskip(SKIP_1) | instid1(VALU_DEP_1)
	v_mov_b32_e32 v149, v143
	v_pk_mul_f32 v[142:143], v[144:145], v[134:135] op_sel:[0,1]
	v_pk_fma_f32 v[146:147], v[144:145], v[132:133], v[142:143] op_sel:[0,0,1] op_sel_hi:[1,1,0] neg_lo:[0,0,1] neg_hi:[0,0,1]
	v_pk_fma_f32 v[142:143], v[144:145], v[132:133], v[142:143] op_sel:[0,0,1] op_sel_hi:[1,0,0]
	s_delay_alu instid0(VALU_DEP_1)
	v_mov_b32_e32 v147, v143
	ds_load_2addr_b64 v[142:145], v136 offset0:42 offset1:43
	v_pk_add_f32 v[84:85], v[84:85], v[148:149] neg_lo:[0,1] neg_hi:[0,1]
	v_pk_add_f32 v[82:83], v[82:83], v[146:147] neg_lo:[0,1] neg_hi:[0,1]
	s_wait_dscnt 0x0
	v_pk_mul_f32 v[146:147], v[142:143], v[134:135] op_sel:[0,1]
	s_delay_alu instid0(VALU_DEP_1) | instskip(SKIP_1) | instid1(VALU_DEP_1)
	v_pk_fma_f32 v[148:149], v[142:143], v[132:133], v[146:147] op_sel:[0,0,1] op_sel_hi:[1,1,0] neg_lo:[0,0,1] neg_hi:[0,0,1]
	v_pk_fma_f32 v[142:143], v[142:143], v[132:133], v[146:147] op_sel:[0,0,1] op_sel_hi:[1,0,0]
	v_mov_b32_e32 v149, v143
	v_pk_mul_f32 v[142:143], v[144:145], v[134:135] op_sel:[0,1]
	s_delay_alu instid0(VALU_DEP_1) | instskip(SKIP_1) | instid1(VALU_DEP_1)
	v_pk_fma_f32 v[146:147], v[144:145], v[132:133], v[142:143] op_sel:[0,0,1] op_sel_hi:[1,1,0] neg_lo:[0,0,1] neg_hi:[0,0,1]
	v_pk_fma_f32 v[142:143], v[144:145], v[132:133], v[142:143] op_sel:[0,0,1] op_sel_hi:[1,0,0]
	v_mov_b32_e32 v147, v143
	ds_load_2addr_b64 v[142:145], v136 offset0:44 offset1:45
	v_pk_add_f32 v[24:25], v[24:25], v[148:149] neg_lo:[0,1] neg_hi:[0,1]
	v_pk_add_f32 v[22:23], v[22:23], v[146:147] neg_lo:[0,1] neg_hi:[0,1]
	s_wait_dscnt 0x0
	v_dual_mul_f32 v146, v143, v135 :: v_dual_mul_f32 v148, v143, v132
	s_delay_alu instid0(VALU_DEP_1) | instskip(NEXT) | instid1(VALU_DEP_2)
	v_pk_fma_f32 v[146:147], v[142:143], v[58:59], v[146:147] op_sel_hi:[1,1,0] neg_lo:[0,0,1] neg_hi:[0,0,1]
	v_pk_fma_f32 v[142:143], v[142:143], v[58:59], v[148:149] op_sel:[1,0,0] op_sel_hi:[0,1,0]
	s_delay_alu instid0(VALU_DEP_1) | instskip(SKIP_1) | instid1(VALU_DEP_2)
	v_mov_b32_e32 v147, v143
	v_pk_mul_f32 v[142:143], v[144:145], v[134:135] op_sel:[0,1]
	v_pk_add_f32 v[80:81], v[80:81], v[146:147] neg_lo:[0,1] neg_hi:[0,1]
	s_delay_alu instid0(VALU_DEP_2) | instskip(SKIP_1) | instid1(VALU_DEP_1)
	v_pk_fma_f32 v[146:147], v[144:145], v[132:133], v[142:143] op_sel:[0,0,1] op_sel_hi:[1,1,0] neg_lo:[0,0,1] neg_hi:[0,0,1]
	v_pk_fma_f32 v[142:143], v[144:145], v[132:133], v[142:143] op_sel:[0,0,1] op_sel_hi:[1,0,0]
	v_mov_b32_e32 v147, v143
	ds_load_2addr_b64 v[142:145], v136 offset0:46 offset1:47
	v_pk_add_f32 v[78:79], v[78:79], v[146:147] neg_lo:[0,1] neg_hi:[0,1]
	s_wait_dscnt 0x0
	v_pk_mul_f32 v[146:147], v[142:143], v[134:135] op_sel:[0,1]
	s_delay_alu instid0(VALU_DEP_1) | instskip(SKIP_1) | instid1(VALU_DEP_1)
	v_pk_fma_f32 v[148:149], v[142:143], v[132:133], v[146:147] op_sel:[0,0,1] op_sel_hi:[1,1,0] neg_lo:[0,0,1] neg_hi:[0,0,1]
	v_pk_fma_f32 v[142:143], v[142:143], v[132:133], v[146:147] op_sel:[0,0,1] op_sel_hi:[1,0,0]
	v_mov_b32_e32 v149, v143
	v_pk_mul_f32 v[142:143], v[144:145], v[134:135] op_sel:[0,1]
	s_delay_alu instid0(VALU_DEP_2) | instskip(NEXT) | instid1(VALU_DEP_2)
	v_pk_add_f32 v[20:21], v[20:21], v[148:149] neg_lo:[0,1] neg_hi:[0,1]
	v_pk_fma_f32 v[146:147], v[144:145], v[132:133], v[142:143] op_sel:[0,0,1] op_sel_hi:[1,1,0] neg_lo:[0,0,1] neg_hi:[0,0,1]
	v_pk_fma_f32 v[142:143], v[144:145], v[132:133], v[142:143] op_sel:[0,0,1] op_sel_hi:[1,0,0]
	s_delay_alu instid0(VALU_DEP_1) | instskip(SKIP_4) | instid1(VALU_DEP_1)
	v_mov_b32_e32 v147, v143
	ds_load_2addr_b64 v[142:145], v136 offset0:48 offset1:49
	v_pk_add_f32 v[18:19], v[18:19], v[146:147] neg_lo:[0,1] neg_hi:[0,1]
	s_wait_dscnt 0x0
	v_pk_mul_f32 v[146:147], v[142:143], v[134:135] op_sel:[0,1]
	v_pk_fma_f32 v[148:149], v[142:143], v[132:133], v[146:147] op_sel:[0,0,1] op_sel_hi:[1,1,0] neg_lo:[0,0,1] neg_hi:[0,0,1]
	v_pk_fma_f32 v[142:143], v[142:143], v[132:133], v[146:147] op_sel:[0,0,1] op_sel_hi:[1,0,0]
	v_dual_mul_f32 v146, v145, v135 :: v_dual_mov_b32 v142, v145
	s_delay_alu instid0(VALU_DEP_2) | instskip(NEXT) | instid1(VALU_DEP_2)
	v_dual_mov_b32 v149, v143 :: v_dual_mov_b32 v143, v144
	v_pk_fma_f32 v[146:147], v[144:145], v[58:59], v[146:147] op_sel_hi:[1,1,0] neg_lo:[0,0,1] neg_hi:[0,0,1]
	v_mul_f32_e32 v144, v145, v132
	s_delay_alu instid0(VALU_DEP_3) | instskip(NEXT) | instid1(VALU_DEP_2)
	v_pk_add_f32 v[76:77], v[76:77], v[148:149] neg_lo:[0,1] neg_hi:[0,1]
	v_pk_fma_f32 v[142:143], v[142:143], v[58:59], v[144:145] op_sel_hi:[1,1,0]
	s_delay_alu instid0(VALU_DEP_1) | instskip(SKIP_4) | instid1(VALU_DEP_1)
	v_mov_b32_e32 v147, v143
	ds_load_2addr_b64 v[142:145], v136 offset0:50 offset1:51
	v_pk_add_f32 v[74:75], v[74:75], v[146:147] neg_lo:[0,1] neg_hi:[0,1]
	s_wait_dscnt 0x0
	v_pk_mul_f32 v[146:147], v[142:143], v[134:135] op_sel:[0,1]
	v_pk_fma_f32 v[148:149], v[142:143], v[132:133], v[146:147] op_sel:[0,0,1] op_sel_hi:[1,1,0] neg_lo:[0,0,1] neg_hi:[0,0,1]
	v_pk_fma_f32 v[142:143], v[142:143], v[132:133], v[146:147] op_sel:[0,0,1] op_sel_hi:[1,0,0]
	s_delay_alu instid0(VALU_DEP_1) | instskip(SKIP_1) | instid1(VALU_DEP_1)
	v_mov_b32_e32 v149, v143
	v_pk_mul_f32 v[142:143], v[144:145], v[134:135] op_sel:[0,1]
	v_pk_fma_f32 v[146:147], v[144:145], v[132:133], v[142:143] op_sel:[0,0,1] op_sel_hi:[1,1,0] neg_lo:[0,0,1] neg_hi:[0,0,1]
	v_pk_fma_f32 v[142:143], v[144:145], v[132:133], v[142:143] op_sel:[0,0,1] op_sel_hi:[1,0,0]
	s_delay_alu instid0(VALU_DEP_1)
	v_mov_b32_e32 v147, v143
	ds_load_2addr_b64 v[142:145], v136 offset0:52 offset1:53
	v_pk_add_f32 v[16:17], v[16:17], v[148:149] neg_lo:[0,1] neg_hi:[0,1]
	v_pk_add_f32 v[28:29], v[28:29], v[146:147] neg_lo:[0,1] neg_hi:[0,1]
	s_wait_dscnt 0x0
	v_pk_mul_f32 v[146:147], v[142:143], v[134:135] op_sel:[0,1]
	s_delay_alu instid0(VALU_DEP_1) | instskip(SKIP_1) | instid1(VALU_DEP_1)
	v_pk_fma_f32 v[148:149], v[142:143], v[132:133], v[146:147] op_sel:[0,0,1] op_sel_hi:[1,1,0] neg_lo:[0,0,1] neg_hi:[0,0,1]
	v_pk_fma_f32 v[142:143], v[142:143], v[132:133], v[146:147] op_sel:[0,0,1] op_sel_hi:[1,0,0]
	v_mov_b32_e32 v149, v143
	v_pk_mul_f32 v[142:143], v[144:145], v[134:135] op_sel:[0,1]
	s_delay_alu instid0(VALU_DEP_1) | instskip(SKIP_1) | instid1(VALU_DEP_1)
	v_pk_fma_f32 v[146:147], v[144:145], v[132:133], v[142:143] op_sel:[0,0,1] op_sel_hi:[1,1,0] neg_lo:[0,0,1] neg_hi:[0,0,1]
	v_pk_fma_f32 v[142:143], v[144:145], v[132:133], v[142:143] op_sel:[0,0,1] op_sel_hi:[1,0,0]
	v_mov_b32_e32 v147, v143
	ds_load_2addr_b64 v[142:145], v136 offset0:54 offset1:55
	v_pk_add_f32 v[68:69], v[68:69], v[148:149] neg_lo:[0,1] neg_hi:[0,1]
	v_pk_add_f32 v[66:67], v[66:67], v[146:147] neg_lo:[0,1] neg_hi:[0,1]
	s_wait_dscnt 0x0
	v_dual_mul_f32 v146, v143, v135 :: v_dual_mul_f32 v148, v143, v132
	s_delay_alu instid0(VALU_DEP_1) | instskip(NEXT) | instid1(VALU_DEP_2)
	v_pk_fma_f32 v[146:147], v[142:143], v[58:59], v[146:147] op_sel_hi:[1,1,0] neg_lo:[0,0,1] neg_hi:[0,0,1]
	v_pk_fma_f32 v[142:143], v[142:143], v[58:59], v[148:149] op_sel:[1,0,0] op_sel_hi:[0,1,0]
	s_delay_alu instid0(VALU_DEP_1) | instskip(SKIP_1) | instid1(VALU_DEP_2)
	v_mov_b32_e32 v147, v143
	v_pk_mul_f32 v[142:143], v[144:145], v[134:135] op_sel:[0,1]
	v_pk_add_f32 v[10:11], v[10:11], v[146:147] neg_lo:[0,1] neg_hi:[0,1]
	s_delay_alu instid0(VALU_DEP_2) | instskip(SKIP_1) | instid1(VALU_DEP_1)
	v_pk_fma_f32 v[146:147], v[144:145], v[132:133], v[142:143] op_sel:[0,0,1] op_sel_hi:[1,1,0] neg_lo:[0,0,1] neg_hi:[0,0,1]
	v_pk_fma_f32 v[142:143], v[144:145], v[132:133], v[142:143] op_sel:[0,0,1] op_sel_hi:[1,0,0]
	v_mov_b32_e32 v147, v143
	ds_load_2addr_b64 v[142:145], v136 offset0:56 offset1:57
	v_pk_add_f32 v[8:9], v[8:9], v[146:147] neg_lo:[0,1] neg_hi:[0,1]
	s_wait_dscnt 0x0
	v_pk_mul_f32 v[146:147], v[142:143], v[134:135] op_sel:[0,1]
	s_delay_alu instid0(VALU_DEP_1) | instskip(SKIP_1) | instid1(VALU_DEP_1)
	v_pk_fma_f32 v[148:149], v[142:143], v[132:133], v[146:147] op_sel:[0,0,1] op_sel_hi:[1,1,0] neg_lo:[0,0,1] neg_hi:[0,0,1]
	v_pk_fma_f32 v[142:143], v[142:143], v[132:133], v[146:147] op_sel:[0,0,1] op_sel_hi:[1,0,0]
	v_mov_b32_e32 v149, v143
	v_pk_mul_f32 v[142:143], v[144:145], v[134:135] op_sel:[0,1]
	s_delay_alu instid0(VALU_DEP_2) | instskip(NEXT) | instid1(VALU_DEP_2)
	v_pk_add_f32 v[34:35], v[34:35], v[148:149] neg_lo:[0,1] neg_hi:[0,1]
	v_pk_fma_f32 v[146:147], v[144:145], v[132:133], v[142:143] op_sel:[0,0,1] op_sel_hi:[1,1,0] neg_lo:[0,0,1] neg_hi:[0,0,1]
	v_pk_fma_f32 v[142:143], v[144:145], v[132:133], v[142:143] op_sel:[0,0,1] op_sel_hi:[1,0,0]
	s_delay_alu instid0(VALU_DEP_1) | instskip(SKIP_4) | instid1(VALU_DEP_1)
	v_mov_b32_e32 v147, v143
	ds_load_2addr_b64 v[142:145], v136 offset0:58 offset1:59
	v_pk_add_f32 v[30:31], v[30:31], v[146:147] neg_lo:[0,1] neg_hi:[0,1]
	s_wait_dscnt 0x0
	v_pk_mul_f32 v[146:147], v[142:143], v[134:135] op_sel:[0,1]
	v_pk_fma_f32 v[148:149], v[142:143], v[132:133], v[146:147] op_sel:[0,0,1] op_sel_hi:[1,1,0] neg_lo:[0,0,1] neg_hi:[0,0,1]
	v_pk_fma_f32 v[142:143], v[142:143], v[132:133], v[146:147] op_sel:[0,0,1] op_sel_hi:[1,0,0]
	v_dual_mul_f32 v146, v145, v135 :: v_dual_mov_b32 v142, v145
	s_delay_alu instid0(VALU_DEP_2) | instskip(NEXT) | instid1(VALU_DEP_2)
	v_dual_mov_b32 v149, v143 :: v_dual_mov_b32 v143, v144
	v_pk_fma_f32 v[146:147], v[144:145], v[58:59], v[146:147] op_sel_hi:[1,1,0] neg_lo:[0,0,1] neg_hi:[0,0,1]
	v_mul_f32_e32 v144, v145, v132
	s_delay_alu instid0(VALU_DEP_3) | instskip(NEXT) | instid1(VALU_DEP_2)
	v_pk_add_f32 v[6:7], v[6:7], v[148:149] neg_lo:[0,1] neg_hi:[0,1]
	v_pk_fma_f32 v[142:143], v[142:143], v[58:59], v[144:145] op_sel_hi:[1,1,0]
	s_delay_alu instid0(VALU_DEP_1) | instskip(SKIP_4) | instid1(VALU_DEP_1)
	v_mov_b32_e32 v147, v143
	ds_load_2addr_b64 v[142:145], v136 offset0:60 offset1:61
	v_pk_add_f32 v[26:27], v[26:27], v[146:147] neg_lo:[0,1] neg_hi:[0,1]
	s_wait_dscnt 0x0
	v_pk_mul_f32 v[146:147], v[142:143], v[134:135] op_sel:[0,1]
	v_pk_fma_f32 v[148:149], v[142:143], v[132:133], v[146:147] op_sel:[0,0,1] op_sel_hi:[1,1,0] neg_lo:[0,0,1] neg_hi:[0,0,1]
	v_pk_fma_f32 v[142:143], v[142:143], v[132:133], v[146:147] op_sel:[0,0,1] op_sel_hi:[1,0,0]
	s_delay_alu instid0(VALU_DEP_1) | instskip(SKIP_1) | instid1(VALU_DEP_1)
	v_mov_b32_e32 v149, v143
	v_pk_mul_f32 v[142:143], v[144:145], v[134:135] op_sel:[0,1]
	v_pk_fma_f32 v[146:147], v[144:145], v[132:133], v[142:143] op_sel:[0,0,1] op_sel_hi:[1,1,0] neg_lo:[0,0,1] neg_hi:[0,0,1]
	v_pk_fma_f32 v[142:143], v[144:145], v[132:133], v[142:143] op_sel:[0,0,1] op_sel_hi:[1,0,0]
	s_delay_alu instid0(VALU_DEP_1)
	v_mov_b32_e32 v147, v143
	ds_load_b64 v[142:143], v136 offset:496
	v_pk_add_f32 v[14:15], v[14:15], v[148:149] neg_lo:[0,1] neg_hi:[0,1]
	v_pk_add_f32 v[12:13], v[12:13], v[146:147] neg_lo:[0,1] neg_hi:[0,1]
	s_wait_dscnt 0x0
	v_pk_mul_f32 v[134:135], v[142:143], v[134:135] op_sel:[0,1]
	s_delay_alu instid0(VALU_DEP_1) | instskip(SKIP_1) | instid1(VALU_DEP_1)
	v_pk_fma_f32 v[144:145], v[142:143], v[132:133], v[134:135] op_sel:[0,0,1] op_sel_hi:[1,1,0] neg_lo:[0,0,1] neg_hi:[0,0,1]
	v_pk_fma_f32 v[132:133], v[142:143], v[132:133], v[134:135] op_sel:[0,0,1] op_sel_hi:[1,0,0]
	v_mov_b32_e32 v145, v133
	s_delay_alu instid0(VALU_DEP_1)
	v_pk_add_f32 v[130:131], v[130:131], v[144:145] neg_lo:[0,1] neg_hi:[0,1]
.LBB124_335:
	s_or_b32 exec_lo, exec_lo, s0
	v_lshl_add_u32 v132, v140, 3, v136
	s_barrier_signal -1
	s_barrier_wait -1
	ds_store_b64 v132, v[108:109]
	s_wait_dscnt 0x0
	s_barrier_signal -1
	s_barrier_wait -1
	ds_load_b64 v[134:135], v136 offset:128
	v_mov_b32_e32 v132, 16
	s_cmp_lt_i32 s18, 18
	s_cbranch_scc1 .LBB124_338
; %bb.336:
	v_add3_u32 v133, v137, 0, 0x88
	v_mov_b32_e32 v132, 16
	s_mov_b32 s0, 17
.LBB124_337:                            ; =>This Inner Loop Header: Depth=1
	ds_load_b64 v[142:143], v133
	s_wait_dscnt 0x1
	v_cmp_gt_f32_e32 vcc_lo, 0, v134
	v_cndmask_b32_e64 v144, v134, -v134, vcc_lo
	v_cmp_gt_f32_e32 vcc_lo, 0, v135
	v_cndmask_b32_e64 v146, v135, -v135, vcc_lo
	s_wait_dscnt 0x0
	v_cmp_gt_f32_e32 vcc_lo, 0, v142
	v_cndmask_b32_e64 v145, v142, -v142, vcc_lo
	v_cmp_gt_f32_e32 vcc_lo, 0, v143
	v_cndmask_b32_e64 v147, v143, -v143, vcc_lo
	s_delay_alu instid0(VALU_DEP_1) | instskip(NEXT) | instid1(VALU_DEP_1)
	v_pk_add_f32 v[144:145], v[144:145], v[146:147]
	v_cmp_lt_f32_e32 vcc_lo, v144, v145
	v_dual_add_nc_u32 v133, 8, v133 :: v_dual_cndmask_b32 v135, v135, v143, vcc_lo
	v_cndmask_b32_e32 v134, v134, v142, vcc_lo
	v_cndmask_b32_e64 v132, v132, s0, vcc_lo
	s_add_co_i32 s0, s0, 1
	s_delay_alu instid0(SALU_CYCLE_1)
	s_cmp_lg_u32 s18, s0
	s_cbranch_scc1 .LBB124_337
.LBB124_338:
	s_wait_dscnt 0x0
	v_cmp_eq_f32_e32 vcc_lo, 0, v134
	v_cmp_eq_f32_e64 s0, 0, v135
	s_and_b32 s0, vcc_lo, s0
	s_delay_alu instid0(SALU_CYCLE_1) | instskip(NEXT) | instid1(SALU_CYCLE_1)
	s_and_saveexec_b32 s1, s0
	s_xor_b32 s0, exec_lo, s1
; %bb.339:
	v_cmp_ne_u32_e32 vcc_lo, 0, v138
	v_cndmask_b32_e32 v138, 17, v138, vcc_lo
; %bb.340:
	s_and_not1_saveexec_b32 s0, s0
	s_cbranch_execz .LBB124_346
; %bb.341:
	v_cmp_ngt_f32_e64 s1, |v134|, |v135|
	s_and_saveexec_b32 s12, s1
	s_delay_alu instid0(SALU_CYCLE_1)
	s_xor_b32 s1, exec_lo, s12
	s_cbranch_execz .LBB124_343
; %bb.342:
	v_div_scale_f32 v133, null, v135, v135, v134
	v_div_scale_f32 v143, vcc_lo, v134, v135, v134
	s_delay_alu instid0(VALU_DEP_2) | instskip(SKIP_1) | instid1(TRANS32_DEP_1)
	v_rcp_f32_e32 v141, v133
	v_nop
	v_fma_f32 v142, -v133, v141, 1.0
	s_delay_alu instid0(VALU_DEP_1) | instskip(NEXT) | instid1(VALU_DEP_1)
	v_fmac_f32_e32 v141, v142, v141
	v_mul_f32_e32 v142, v143, v141
	s_delay_alu instid0(VALU_DEP_1) | instskip(NEXT) | instid1(VALU_DEP_1)
	v_fma_f32 v144, -v133, v142, v143
	v_fmac_f32_e32 v142, v144, v141
	s_delay_alu instid0(VALU_DEP_1) | instskip(NEXT) | instid1(VALU_DEP_1)
	v_fma_f32 v133, -v133, v142, v143
	v_div_fmas_f32 v133, v133, v141, v142
	s_delay_alu instid0(VALU_DEP_1) | instskip(NEXT) | instid1(VALU_DEP_1)
	v_div_fixup_f32 v133, v133, v135, v134
	v_fmac_f32_e32 v135, v134, v133
	s_delay_alu instid0(VALU_DEP_1) | instskip(SKIP_1) | instid1(VALU_DEP_2)
	v_div_scale_f32 v134, null, v135, v135, 1.0
	v_div_scale_f32 v143, vcc_lo, 1.0, v135, 1.0
	v_rcp_f32_e32 v141, v134
	v_nop
	s_delay_alu instid0(TRANS32_DEP_1) | instskip(NEXT) | instid1(VALU_DEP_1)
	v_fma_f32 v142, -v134, v141, 1.0
	v_fmac_f32_e32 v141, v142, v141
	s_delay_alu instid0(VALU_DEP_1) | instskip(NEXT) | instid1(VALU_DEP_1)
	v_mul_f32_e32 v142, v143, v141
	v_fma_f32 v144, -v134, v142, v143
	s_delay_alu instid0(VALU_DEP_1) | instskip(NEXT) | instid1(VALU_DEP_1)
	v_fmac_f32_e32 v142, v144, v141
	v_fma_f32 v134, -v134, v142, v143
	s_delay_alu instid0(VALU_DEP_1) | instskip(NEXT) | instid1(VALU_DEP_1)
	v_div_fmas_f32 v134, v134, v141, v142
	v_div_fixup_f32 v135, v134, v135, 1.0
	s_delay_alu instid0(VALU_DEP_1)
	v_mul_f32_e32 v134, v133, v135
	v_xor_b32_e32 v135, 0x80000000, v135
.LBB124_343:
	s_and_not1_saveexec_b32 s1, s1
	s_cbranch_execz .LBB124_345
; %bb.344:
	s_delay_alu instid0(VALU_DEP_1) | instskip(SKIP_1) | instid1(VALU_DEP_2)
	v_div_scale_f32 v133, null, v134, v134, v135
	v_div_scale_f32 v143, vcc_lo, v135, v134, v135
	v_rcp_f32_e32 v141, v133
	v_nop
	s_delay_alu instid0(TRANS32_DEP_1) | instskip(NEXT) | instid1(VALU_DEP_1)
	v_fma_f32 v142, -v133, v141, 1.0
	v_fmac_f32_e32 v141, v142, v141
	s_delay_alu instid0(VALU_DEP_1) | instskip(NEXT) | instid1(VALU_DEP_1)
	v_mul_f32_e32 v142, v143, v141
	v_fma_f32 v144, -v133, v142, v143
	s_delay_alu instid0(VALU_DEP_1) | instskip(NEXT) | instid1(VALU_DEP_1)
	v_fmac_f32_e32 v142, v144, v141
	v_fma_f32 v133, -v133, v142, v143
	s_delay_alu instid0(VALU_DEP_1) | instskip(NEXT) | instid1(VALU_DEP_1)
	v_div_fmas_f32 v133, v133, v141, v142
	v_div_fixup_f32 v133, v133, v134, v135
	s_delay_alu instid0(VALU_DEP_1) | instskip(NEXT) | instid1(VALU_DEP_1)
	v_fmac_f32_e32 v134, v135, v133
	v_div_scale_f32 v135, null, v134, v134, 1.0
	s_delay_alu instid0(VALU_DEP_1) | instskip(SKIP_1) | instid1(TRANS32_DEP_1)
	v_rcp_f32_e32 v141, v135
	v_nop
	v_fma_f32 v142, -v135, v141, 1.0
	s_delay_alu instid0(VALU_DEP_1) | instskip(SKIP_1) | instid1(VALU_DEP_1)
	v_fmac_f32_e32 v141, v142, v141
	v_div_scale_f32 v142, vcc_lo, 1.0, v134, 1.0
	v_mul_f32_e32 v143, v142, v141
	s_delay_alu instid0(VALU_DEP_1) | instskip(NEXT) | instid1(VALU_DEP_1)
	v_fma_f32 v144, -v135, v143, v142
	v_fmac_f32_e32 v143, v144, v141
	s_delay_alu instid0(VALU_DEP_1) | instskip(NEXT) | instid1(VALU_DEP_1)
	v_fma_f32 v135, -v135, v143, v142
	v_div_fmas_f32 v135, v135, v141, v143
	s_delay_alu instid0(VALU_DEP_1) | instskip(NEXT) | instid1(VALU_DEP_1)
	v_div_fixup_f32 v134, v135, v134, 1.0
	v_mul_f32_e64 v135, v133, -v134
.LBB124_345:
	s_or_b32 exec_lo, exec_lo, s1
.LBB124_346:
	s_delay_alu instid0(SALU_CYCLE_1) | instskip(NEXT) | instid1(SALU_CYCLE_1)
	s_or_b32 exec_lo, exec_lo, s0
	s_mov_b32 s0, exec_lo
	v_cmpx_ne_u32_e64 v140, v132
	s_xor_b32 s0, exec_lo, s0
	s_cbranch_execz .LBB124_352
; %bb.347:
	s_mov_b32 s1, exec_lo
	v_cmpx_eq_u32_e32 16, v140
	s_cbranch_execz .LBB124_351
; %bb.348:
	v_cmp_ne_u32_e32 vcc_lo, 16, v132
	s_xor_b32 s12, s16, -1
	s_delay_alu instid0(SALU_CYCLE_1) | instskip(NEXT) | instid1(SALU_CYCLE_1)
	s_and_b32 s13, s12, vcc_lo
	s_and_saveexec_b32 s12, s13
	s_cbranch_execz .LBB124_350
; %bb.349:
	v_ashrrev_i32_e32 v133, 31, v132
	s_delay_alu instid0(VALU_DEP_1)
	v_lshl_add_u64 v[140:141], v[132:133], 2, v[4:5]
	s_clause 0x1
	global_load_b32 v133, v[140:141], off
	global_load_b32 v139, v[4:5], off offset:64
	s_wait_loadcnt 0x1
	global_store_b32 v[4:5], v133, off offset:64
	s_wait_loadcnt 0x0
	global_store_b32 v[140:141], v139, off
.LBB124_350:
	s_wait_xcnt 0x0
	s_or_b32 exec_lo, exec_lo, s12
	v_dual_mov_b32 v140, v132 :: v_dual_mov_b32 v139, v132
.LBB124_351:
	s_or_b32 exec_lo, exec_lo, s1
.LBB124_352:
	s_and_not1_saveexec_b32 s0, s0
	s_cbranch_execz .LBB124_354
; %bb.353:
	v_mov_b32_e32 v140, 16
	ds_store_2addr_b64 v136, v[106:107], v[56:57] offset0:17 offset1:18
	ds_store_2addr_b64 v136, v[54:55], v[104:105] offset0:19 offset1:20
	;; [unrolled: 1-line block ×23, first 2 shown]
.LBB124_354:
	s_or_b32 exec_lo, exec_lo, s0
	s_delay_alu instid0(SALU_CYCLE_1)
	s_mov_b32 s0, exec_lo
	s_wait_storecnt_dscnt 0x0
	s_barrier_signal -1
	s_barrier_wait -1
	v_cmpx_lt_i32_e32 16, v140
	s_cbranch_execz .LBB124_356
; %bb.355:
	v_pk_mul_f32 v[142:143], v[134:135], v[108:109] op_sel:[1,1] op_sel_hi:[0,1]
	s_delay_alu instid0(VALU_DEP_1)
	v_pk_fma_f32 v[132:133], v[134:135], v[108:109], v[142:143] op_sel_hi:[1,0,1] neg_lo:[0,0,1] neg_hi:[0,0,1]
	v_pk_fma_f32 v[134:135], v[134:135], v[108:109], v[142:143] op_sel_hi:[1,0,1]
	ds_load_2addr_b64 v[142:145], v136 offset0:17 offset1:18
	v_dual_mov_b32 v108, v132 :: v_dual_mov_b32 v109, v135
	s_wait_dscnt 0x0
	v_pk_mul_f32 v[146:147], v[142:143], v[134:135] op_sel:[0,1]
	s_delay_alu instid0(VALU_DEP_1) | instskip(SKIP_1) | instid1(VALU_DEP_1)
	v_pk_fma_f32 v[148:149], v[142:143], v[132:133], v[146:147] op_sel:[0,0,1] op_sel_hi:[1,1,0] neg_lo:[0,0,1] neg_hi:[0,0,1]
	v_pk_fma_f32 v[142:143], v[142:143], v[132:133], v[146:147] op_sel:[0,0,1] op_sel_hi:[1,0,0]
	v_mov_b32_e32 v149, v143
	v_pk_mul_f32 v[142:143], v[144:145], v[134:135] op_sel:[0,1]
	s_delay_alu instid0(VALU_DEP_1) | instskip(SKIP_1) | instid1(VALU_DEP_1)
	v_pk_fma_f32 v[146:147], v[144:145], v[132:133], v[142:143] op_sel:[0,0,1] op_sel_hi:[1,1,0] neg_lo:[0,0,1] neg_hi:[0,0,1]
	v_pk_fma_f32 v[142:143], v[144:145], v[132:133], v[142:143] op_sel:[0,0,1] op_sel_hi:[1,0,0]
	v_mov_b32_e32 v147, v143
	ds_load_2addr_b64 v[142:145], v136 offset0:19 offset1:20
	v_pk_add_f32 v[106:107], v[106:107], v[148:149] neg_lo:[0,1] neg_hi:[0,1]
	v_pk_add_f32 v[56:57], v[56:57], v[146:147] neg_lo:[0,1] neg_hi:[0,1]
	s_wait_dscnt 0x0
	v_pk_mul_f32 v[146:147], v[142:143], v[134:135] op_sel:[0,1]
	s_delay_alu instid0(VALU_DEP_1) | instskip(SKIP_2) | instid1(VALU_DEP_2)
	v_pk_fma_f32 v[148:149], v[142:143], v[132:133], v[146:147] op_sel:[0,0,1] op_sel_hi:[1,1,0] neg_lo:[0,0,1] neg_hi:[0,0,1]
	v_pk_fma_f32 v[142:143], v[142:143], v[132:133], v[146:147] op_sel:[0,0,1] op_sel_hi:[1,0,0]
	v_dual_mul_f32 v146, v145, v135 :: v_dual_mov_b32 v142, v145
	v_dual_mov_b32 v149, v143 :: v_dual_mov_b32 v143, v144
	s_delay_alu instid0(VALU_DEP_2) | instskip(SKIP_1) | instid1(VALU_DEP_3)
	v_pk_fma_f32 v[146:147], v[144:145], v[108:109], v[146:147] op_sel_hi:[1,1,0] neg_lo:[0,0,1] neg_hi:[0,0,1]
	v_mul_f32_e32 v144, v145, v132
	v_pk_add_f32 v[54:55], v[54:55], v[148:149] neg_lo:[0,1] neg_hi:[0,1]
	s_delay_alu instid0(VALU_DEP_2) | instskip(NEXT) | instid1(VALU_DEP_1)
	v_pk_fma_f32 v[142:143], v[142:143], v[108:109], v[144:145] op_sel_hi:[1,1,0]
	v_mov_b32_e32 v147, v143
	ds_load_2addr_b64 v[142:145], v136 offset0:21 offset1:22
	v_pk_add_f32 v[104:105], v[104:105], v[146:147] neg_lo:[0,1] neg_hi:[0,1]
	s_wait_dscnt 0x0
	v_pk_mul_f32 v[146:147], v[142:143], v[134:135] op_sel:[0,1]
	s_delay_alu instid0(VALU_DEP_1) | instskip(SKIP_1) | instid1(VALU_DEP_1)
	v_pk_fma_f32 v[148:149], v[142:143], v[132:133], v[146:147] op_sel:[0,0,1] op_sel_hi:[1,1,0] neg_lo:[0,0,1] neg_hi:[0,0,1]
	v_pk_fma_f32 v[142:143], v[142:143], v[132:133], v[146:147] op_sel:[0,0,1] op_sel_hi:[1,0,0]
	v_mov_b32_e32 v149, v143
	v_pk_mul_f32 v[142:143], v[144:145], v[134:135] op_sel:[0,1]
	s_delay_alu instid0(VALU_DEP_1) | instskip(SKIP_1) | instid1(VALU_DEP_1)
	v_pk_fma_f32 v[146:147], v[144:145], v[132:133], v[142:143] op_sel:[0,0,1] op_sel_hi:[1,1,0] neg_lo:[0,0,1] neg_hi:[0,0,1]
	v_pk_fma_f32 v[142:143], v[144:145], v[132:133], v[142:143] op_sel:[0,0,1] op_sel_hi:[1,0,0]
	v_mov_b32_e32 v147, v143
	ds_load_2addr_b64 v[142:145], v136 offset0:23 offset1:24
	v_pk_add_f32 v[102:103], v[102:103], v[148:149] neg_lo:[0,1] neg_hi:[0,1]
	v_pk_add_f32 v[52:53], v[52:53], v[146:147] neg_lo:[0,1] neg_hi:[0,1]
	s_wait_dscnt 0x0
	v_pk_mul_f32 v[146:147], v[142:143], v[134:135] op_sel:[0,1]
	s_delay_alu instid0(VALU_DEP_1) | instskip(SKIP_1) | instid1(VALU_DEP_1)
	v_pk_fma_f32 v[148:149], v[142:143], v[132:133], v[146:147] op_sel:[0,0,1] op_sel_hi:[1,1,0] neg_lo:[0,0,1] neg_hi:[0,0,1]
	v_pk_fma_f32 v[142:143], v[142:143], v[132:133], v[146:147] op_sel:[0,0,1] op_sel_hi:[1,0,0]
	v_mov_b32_e32 v149, v143
	v_pk_mul_f32 v[142:143], v[144:145], v[134:135] op_sel:[0,1]
	s_delay_alu instid0(VALU_DEP_1) | instskip(SKIP_1) | instid1(VALU_DEP_1)
	v_pk_fma_f32 v[146:147], v[144:145], v[132:133], v[142:143] op_sel:[0,0,1] op_sel_hi:[1,1,0] neg_lo:[0,0,1] neg_hi:[0,0,1]
	v_pk_fma_f32 v[142:143], v[144:145], v[132:133], v[142:143] op_sel:[0,0,1] op_sel_hi:[1,0,0]
	v_mov_b32_e32 v147, v143
	ds_load_2addr_b64 v[142:145], v136 offset0:25 offset1:26
	v_pk_add_f32 v[50:51], v[50:51], v[148:149] neg_lo:[0,1] neg_hi:[0,1]
	v_pk_add_f32 v[100:101], v[100:101], v[146:147] neg_lo:[0,1] neg_hi:[0,1]
	s_wait_dscnt 0x0
	v_dual_mul_f32 v146, v143, v135 :: v_dual_mul_f32 v148, v143, v132
	s_delay_alu instid0(VALU_DEP_1) | instskip(NEXT) | instid1(VALU_DEP_2)
	v_pk_fma_f32 v[146:147], v[142:143], v[108:109], v[146:147] op_sel_hi:[1,1,0] neg_lo:[0,0,1] neg_hi:[0,0,1]
	v_pk_fma_f32 v[142:143], v[142:143], v[108:109], v[148:149] op_sel:[1,0,0] op_sel_hi:[0,1,0]
	s_delay_alu instid0(VALU_DEP_1) | instskip(SKIP_1) | instid1(VALU_DEP_2)
	v_mov_b32_e32 v147, v143
	v_pk_mul_f32 v[142:143], v[144:145], v[134:135] op_sel:[0,1]
	v_pk_add_f32 v[98:99], v[98:99], v[146:147] neg_lo:[0,1] neg_hi:[0,1]
	s_delay_alu instid0(VALU_DEP_2) | instskip(SKIP_1) | instid1(VALU_DEP_1)
	v_pk_fma_f32 v[146:147], v[144:145], v[132:133], v[142:143] op_sel:[0,0,1] op_sel_hi:[1,1,0] neg_lo:[0,0,1] neg_hi:[0,0,1]
	v_pk_fma_f32 v[142:143], v[144:145], v[132:133], v[142:143] op_sel:[0,0,1] op_sel_hi:[1,0,0]
	v_mov_b32_e32 v147, v143
	ds_load_2addr_b64 v[142:145], v136 offset0:27 offset1:28
	v_pk_add_f32 v[48:49], v[48:49], v[146:147] neg_lo:[0,1] neg_hi:[0,1]
	s_wait_dscnt 0x0
	v_pk_mul_f32 v[146:147], v[142:143], v[134:135] op_sel:[0,1]
	s_delay_alu instid0(VALU_DEP_1) | instskip(SKIP_1) | instid1(VALU_DEP_1)
	v_pk_fma_f32 v[148:149], v[142:143], v[132:133], v[146:147] op_sel:[0,0,1] op_sel_hi:[1,1,0] neg_lo:[0,0,1] neg_hi:[0,0,1]
	v_pk_fma_f32 v[142:143], v[142:143], v[132:133], v[146:147] op_sel:[0,0,1] op_sel_hi:[1,0,0]
	v_mov_b32_e32 v149, v143
	v_pk_mul_f32 v[142:143], v[144:145], v[134:135] op_sel:[0,1]
	s_delay_alu instid0(VALU_DEP_2) | instskip(NEXT) | instid1(VALU_DEP_2)
	v_pk_add_f32 v[46:47], v[46:47], v[148:149] neg_lo:[0,1] neg_hi:[0,1]
	v_pk_fma_f32 v[146:147], v[144:145], v[132:133], v[142:143] op_sel:[0,0,1] op_sel_hi:[1,1,0] neg_lo:[0,0,1] neg_hi:[0,0,1]
	v_pk_fma_f32 v[142:143], v[144:145], v[132:133], v[142:143] op_sel:[0,0,1] op_sel_hi:[1,0,0]
	s_delay_alu instid0(VALU_DEP_1) | instskip(SKIP_4) | instid1(VALU_DEP_1)
	v_mov_b32_e32 v147, v143
	ds_load_2addr_b64 v[142:145], v136 offset0:29 offset1:30
	v_pk_add_f32 v[96:97], v[96:97], v[146:147] neg_lo:[0,1] neg_hi:[0,1]
	s_wait_dscnt 0x0
	v_pk_mul_f32 v[146:147], v[142:143], v[134:135] op_sel:[0,1]
	v_pk_fma_f32 v[148:149], v[142:143], v[132:133], v[146:147] op_sel:[0,0,1] op_sel_hi:[1,1,0] neg_lo:[0,0,1] neg_hi:[0,0,1]
	v_pk_fma_f32 v[142:143], v[142:143], v[132:133], v[146:147] op_sel:[0,0,1] op_sel_hi:[1,0,0]
	v_dual_mul_f32 v146, v145, v135 :: v_dual_mov_b32 v142, v145
	s_delay_alu instid0(VALU_DEP_2) | instskip(NEXT) | instid1(VALU_DEP_2)
	v_dual_mov_b32 v149, v143 :: v_dual_mov_b32 v143, v144
	v_pk_fma_f32 v[146:147], v[144:145], v[108:109], v[146:147] op_sel_hi:[1,1,0] neg_lo:[0,0,1] neg_hi:[0,0,1]
	v_mul_f32_e32 v144, v145, v132
	s_delay_alu instid0(VALU_DEP_3) | instskip(NEXT) | instid1(VALU_DEP_2)
	v_pk_add_f32 v[94:95], v[94:95], v[148:149] neg_lo:[0,1] neg_hi:[0,1]
	v_pk_fma_f32 v[142:143], v[142:143], v[108:109], v[144:145] op_sel_hi:[1,1,0]
	s_delay_alu instid0(VALU_DEP_1) | instskip(SKIP_4) | instid1(VALU_DEP_1)
	v_mov_b32_e32 v147, v143
	ds_load_2addr_b64 v[142:145], v136 offset0:31 offset1:32
	v_pk_add_f32 v[44:45], v[44:45], v[146:147] neg_lo:[0,1] neg_hi:[0,1]
	s_wait_dscnt 0x0
	v_pk_mul_f32 v[146:147], v[142:143], v[134:135] op_sel:[0,1]
	v_pk_fma_f32 v[148:149], v[142:143], v[132:133], v[146:147] op_sel:[0,0,1] op_sel_hi:[1,1,0] neg_lo:[0,0,1] neg_hi:[0,0,1]
	v_pk_fma_f32 v[142:143], v[142:143], v[132:133], v[146:147] op_sel:[0,0,1] op_sel_hi:[1,0,0]
	s_delay_alu instid0(VALU_DEP_1) | instskip(SKIP_1) | instid1(VALU_DEP_1)
	v_mov_b32_e32 v149, v143
	v_pk_mul_f32 v[142:143], v[144:145], v[134:135] op_sel:[0,1]
	v_pk_fma_f32 v[146:147], v[144:145], v[132:133], v[142:143] op_sel:[0,0,1] op_sel_hi:[1,1,0] neg_lo:[0,0,1] neg_hi:[0,0,1]
	v_pk_fma_f32 v[142:143], v[144:145], v[132:133], v[142:143] op_sel:[0,0,1] op_sel_hi:[1,0,0]
	s_delay_alu instid0(VALU_DEP_1)
	v_mov_b32_e32 v147, v143
	ds_load_2addr_b64 v[142:145], v136 offset0:33 offset1:34
	v_pk_add_f32 v[42:43], v[42:43], v[148:149] neg_lo:[0,1] neg_hi:[0,1]
	v_pk_add_f32 v[92:93], v[92:93], v[146:147] neg_lo:[0,1] neg_hi:[0,1]
	s_wait_dscnt 0x0
	v_pk_mul_f32 v[146:147], v[142:143], v[134:135] op_sel:[0,1]
	s_delay_alu instid0(VALU_DEP_1) | instskip(SKIP_1) | instid1(VALU_DEP_1)
	v_pk_fma_f32 v[148:149], v[142:143], v[132:133], v[146:147] op_sel:[0,0,1] op_sel_hi:[1,1,0] neg_lo:[0,0,1] neg_hi:[0,0,1]
	v_pk_fma_f32 v[142:143], v[142:143], v[132:133], v[146:147] op_sel:[0,0,1] op_sel_hi:[1,0,0]
	v_mov_b32_e32 v149, v143
	v_pk_mul_f32 v[142:143], v[144:145], v[134:135] op_sel:[0,1]
	s_delay_alu instid0(VALU_DEP_1) | instskip(SKIP_1) | instid1(VALU_DEP_1)
	v_pk_fma_f32 v[146:147], v[144:145], v[132:133], v[142:143] op_sel:[0,0,1] op_sel_hi:[1,1,0] neg_lo:[0,0,1] neg_hi:[0,0,1]
	v_pk_fma_f32 v[142:143], v[144:145], v[132:133], v[142:143] op_sel:[0,0,1] op_sel_hi:[1,0,0]
	v_mov_b32_e32 v147, v143
	ds_load_2addr_b64 v[142:145], v136 offset0:35 offset1:36
	v_pk_add_f32 v[90:91], v[90:91], v[148:149] neg_lo:[0,1] neg_hi:[0,1]
	v_pk_add_f32 v[40:41], v[40:41], v[146:147] neg_lo:[0,1] neg_hi:[0,1]
	s_wait_dscnt 0x0
	v_dual_mul_f32 v146, v143, v135 :: v_dual_mul_f32 v148, v143, v132
	s_delay_alu instid0(VALU_DEP_1) | instskip(NEXT) | instid1(VALU_DEP_2)
	v_pk_fma_f32 v[146:147], v[142:143], v[108:109], v[146:147] op_sel_hi:[1,1,0] neg_lo:[0,0,1] neg_hi:[0,0,1]
	v_pk_fma_f32 v[142:143], v[142:143], v[108:109], v[148:149] op_sel:[1,0,0] op_sel_hi:[0,1,0]
	s_delay_alu instid0(VALU_DEP_1) | instskip(SKIP_1) | instid1(VALU_DEP_2)
	v_mov_b32_e32 v147, v143
	v_pk_mul_f32 v[142:143], v[144:145], v[134:135] op_sel:[0,1]
	v_pk_add_f32 v[38:39], v[38:39], v[146:147] neg_lo:[0,1] neg_hi:[0,1]
	s_delay_alu instid0(VALU_DEP_2) | instskip(SKIP_1) | instid1(VALU_DEP_1)
	v_pk_fma_f32 v[146:147], v[144:145], v[132:133], v[142:143] op_sel:[0,0,1] op_sel_hi:[1,1,0] neg_lo:[0,0,1] neg_hi:[0,0,1]
	v_pk_fma_f32 v[142:143], v[144:145], v[132:133], v[142:143] op_sel:[0,0,1] op_sel_hi:[1,0,0]
	v_mov_b32_e32 v147, v143
	ds_load_2addr_b64 v[142:145], v136 offset0:37 offset1:38
	v_pk_add_f32 v[88:89], v[88:89], v[146:147] neg_lo:[0,1] neg_hi:[0,1]
	s_wait_dscnt 0x0
	v_pk_mul_f32 v[146:147], v[142:143], v[134:135] op_sel:[0,1]
	s_delay_alu instid0(VALU_DEP_1) | instskip(SKIP_1) | instid1(VALU_DEP_1)
	v_pk_fma_f32 v[148:149], v[142:143], v[132:133], v[146:147] op_sel:[0,0,1] op_sel_hi:[1,1,0] neg_lo:[0,0,1] neg_hi:[0,0,1]
	v_pk_fma_f32 v[142:143], v[142:143], v[132:133], v[146:147] op_sel:[0,0,1] op_sel_hi:[1,0,0]
	v_mov_b32_e32 v149, v143
	v_pk_mul_f32 v[142:143], v[144:145], v[134:135] op_sel:[0,1]
	s_delay_alu instid0(VALU_DEP_2) | instskip(NEXT) | instid1(VALU_DEP_2)
	v_pk_add_f32 v[86:87], v[86:87], v[148:149] neg_lo:[0,1] neg_hi:[0,1]
	v_pk_fma_f32 v[146:147], v[144:145], v[132:133], v[142:143] op_sel:[0,0,1] op_sel_hi:[1,1,0] neg_lo:[0,0,1] neg_hi:[0,0,1]
	v_pk_fma_f32 v[142:143], v[144:145], v[132:133], v[142:143] op_sel:[0,0,1] op_sel_hi:[1,0,0]
	s_delay_alu instid0(VALU_DEP_1) | instskip(SKIP_4) | instid1(VALU_DEP_1)
	v_mov_b32_e32 v147, v143
	ds_load_2addr_b64 v[142:145], v136 offset0:39 offset1:40
	v_pk_add_f32 v[36:37], v[36:37], v[146:147] neg_lo:[0,1] neg_hi:[0,1]
	s_wait_dscnt 0x0
	v_pk_mul_f32 v[146:147], v[142:143], v[134:135] op_sel:[0,1]
	v_pk_fma_f32 v[148:149], v[142:143], v[132:133], v[146:147] op_sel:[0,0,1] op_sel_hi:[1,1,0] neg_lo:[0,0,1] neg_hi:[0,0,1]
	v_pk_fma_f32 v[142:143], v[142:143], v[132:133], v[146:147] op_sel:[0,0,1] op_sel_hi:[1,0,0]
	v_dual_mul_f32 v146, v145, v135 :: v_dual_mov_b32 v142, v145
	s_delay_alu instid0(VALU_DEP_2) | instskip(NEXT) | instid1(VALU_DEP_2)
	v_dual_mov_b32 v149, v143 :: v_dual_mov_b32 v143, v144
	v_pk_fma_f32 v[146:147], v[144:145], v[108:109], v[146:147] op_sel_hi:[1,1,0] neg_lo:[0,0,1] neg_hi:[0,0,1]
	v_mul_f32_e32 v144, v145, v132
	s_delay_alu instid0(VALU_DEP_3) | instskip(NEXT) | instid1(VALU_DEP_2)
	v_pk_add_f32 v[32:33], v[32:33], v[148:149] neg_lo:[0,1] neg_hi:[0,1]
	v_pk_fma_f32 v[142:143], v[142:143], v[108:109], v[144:145] op_sel_hi:[1,1,0]
	s_delay_alu instid0(VALU_DEP_1) | instskip(SKIP_4) | instid1(VALU_DEP_1)
	v_mov_b32_e32 v147, v143
	ds_load_2addr_b64 v[142:145], v136 offset0:41 offset1:42
	v_pk_add_f32 v[84:85], v[84:85], v[146:147] neg_lo:[0,1] neg_hi:[0,1]
	s_wait_dscnt 0x0
	v_pk_mul_f32 v[146:147], v[142:143], v[134:135] op_sel:[0,1]
	v_pk_fma_f32 v[148:149], v[142:143], v[132:133], v[146:147] op_sel:[0,0,1] op_sel_hi:[1,1,0] neg_lo:[0,0,1] neg_hi:[0,0,1]
	v_pk_fma_f32 v[142:143], v[142:143], v[132:133], v[146:147] op_sel:[0,0,1] op_sel_hi:[1,0,0]
	s_delay_alu instid0(VALU_DEP_1) | instskip(SKIP_1) | instid1(VALU_DEP_1)
	v_mov_b32_e32 v149, v143
	v_pk_mul_f32 v[142:143], v[144:145], v[134:135] op_sel:[0,1]
	v_pk_fma_f32 v[146:147], v[144:145], v[132:133], v[142:143] op_sel:[0,0,1] op_sel_hi:[1,1,0] neg_lo:[0,0,1] neg_hi:[0,0,1]
	v_pk_fma_f32 v[142:143], v[144:145], v[132:133], v[142:143] op_sel:[0,0,1] op_sel_hi:[1,0,0]
	s_delay_alu instid0(VALU_DEP_1)
	v_mov_b32_e32 v147, v143
	ds_load_2addr_b64 v[142:145], v136 offset0:43 offset1:44
	v_pk_add_f32 v[82:83], v[82:83], v[148:149] neg_lo:[0,1] neg_hi:[0,1]
	v_pk_add_f32 v[24:25], v[24:25], v[146:147] neg_lo:[0,1] neg_hi:[0,1]
	s_wait_dscnt 0x0
	v_pk_mul_f32 v[146:147], v[142:143], v[134:135] op_sel:[0,1]
	s_delay_alu instid0(VALU_DEP_1) | instskip(SKIP_1) | instid1(VALU_DEP_1)
	v_pk_fma_f32 v[148:149], v[142:143], v[132:133], v[146:147] op_sel:[0,0,1] op_sel_hi:[1,1,0] neg_lo:[0,0,1] neg_hi:[0,0,1]
	v_pk_fma_f32 v[142:143], v[142:143], v[132:133], v[146:147] op_sel:[0,0,1] op_sel_hi:[1,0,0]
	v_mov_b32_e32 v149, v143
	v_pk_mul_f32 v[142:143], v[144:145], v[134:135] op_sel:[0,1]
	s_delay_alu instid0(VALU_DEP_1) | instskip(SKIP_1) | instid1(VALU_DEP_1)
	v_pk_fma_f32 v[146:147], v[144:145], v[132:133], v[142:143] op_sel:[0,0,1] op_sel_hi:[1,1,0] neg_lo:[0,0,1] neg_hi:[0,0,1]
	v_pk_fma_f32 v[142:143], v[144:145], v[132:133], v[142:143] op_sel:[0,0,1] op_sel_hi:[1,0,0]
	v_mov_b32_e32 v147, v143
	ds_load_2addr_b64 v[142:145], v136 offset0:45 offset1:46
	v_pk_add_f32 v[22:23], v[22:23], v[148:149] neg_lo:[0,1] neg_hi:[0,1]
	v_pk_add_f32 v[80:81], v[80:81], v[146:147] neg_lo:[0,1] neg_hi:[0,1]
	s_wait_dscnt 0x0
	v_dual_mul_f32 v146, v143, v135 :: v_dual_mul_f32 v148, v143, v132
	s_delay_alu instid0(VALU_DEP_1) | instskip(NEXT) | instid1(VALU_DEP_2)
	v_pk_fma_f32 v[146:147], v[142:143], v[108:109], v[146:147] op_sel_hi:[1,1,0] neg_lo:[0,0,1] neg_hi:[0,0,1]
	v_pk_fma_f32 v[142:143], v[142:143], v[108:109], v[148:149] op_sel:[1,0,0] op_sel_hi:[0,1,0]
	s_delay_alu instid0(VALU_DEP_1) | instskip(SKIP_1) | instid1(VALU_DEP_2)
	v_mov_b32_e32 v147, v143
	v_pk_mul_f32 v[142:143], v[144:145], v[134:135] op_sel:[0,1]
	v_pk_add_f32 v[78:79], v[78:79], v[146:147] neg_lo:[0,1] neg_hi:[0,1]
	s_delay_alu instid0(VALU_DEP_2) | instskip(SKIP_1) | instid1(VALU_DEP_1)
	v_pk_fma_f32 v[146:147], v[144:145], v[132:133], v[142:143] op_sel:[0,0,1] op_sel_hi:[1,1,0] neg_lo:[0,0,1] neg_hi:[0,0,1]
	v_pk_fma_f32 v[142:143], v[144:145], v[132:133], v[142:143] op_sel:[0,0,1] op_sel_hi:[1,0,0]
	v_mov_b32_e32 v147, v143
	ds_load_2addr_b64 v[142:145], v136 offset0:47 offset1:48
	v_pk_add_f32 v[20:21], v[20:21], v[146:147] neg_lo:[0,1] neg_hi:[0,1]
	s_wait_dscnt 0x0
	v_pk_mul_f32 v[146:147], v[142:143], v[134:135] op_sel:[0,1]
	s_delay_alu instid0(VALU_DEP_1) | instskip(SKIP_1) | instid1(VALU_DEP_1)
	v_pk_fma_f32 v[148:149], v[142:143], v[132:133], v[146:147] op_sel:[0,0,1] op_sel_hi:[1,1,0] neg_lo:[0,0,1] neg_hi:[0,0,1]
	v_pk_fma_f32 v[142:143], v[142:143], v[132:133], v[146:147] op_sel:[0,0,1] op_sel_hi:[1,0,0]
	v_mov_b32_e32 v149, v143
	v_pk_mul_f32 v[142:143], v[144:145], v[134:135] op_sel:[0,1]
	s_delay_alu instid0(VALU_DEP_2) | instskip(NEXT) | instid1(VALU_DEP_2)
	v_pk_add_f32 v[18:19], v[18:19], v[148:149] neg_lo:[0,1] neg_hi:[0,1]
	v_pk_fma_f32 v[146:147], v[144:145], v[132:133], v[142:143] op_sel:[0,0,1] op_sel_hi:[1,1,0] neg_lo:[0,0,1] neg_hi:[0,0,1]
	v_pk_fma_f32 v[142:143], v[144:145], v[132:133], v[142:143] op_sel:[0,0,1] op_sel_hi:[1,0,0]
	s_delay_alu instid0(VALU_DEP_1) | instskip(SKIP_4) | instid1(VALU_DEP_1)
	v_mov_b32_e32 v147, v143
	ds_load_2addr_b64 v[142:145], v136 offset0:49 offset1:50
	v_pk_add_f32 v[76:77], v[76:77], v[146:147] neg_lo:[0,1] neg_hi:[0,1]
	s_wait_dscnt 0x0
	v_pk_mul_f32 v[146:147], v[142:143], v[134:135] op_sel:[0,1]
	v_pk_fma_f32 v[148:149], v[142:143], v[132:133], v[146:147] op_sel:[0,0,1] op_sel_hi:[1,1,0] neg_lo:[0,0,1] neg_hi:[0,0,1]
	v_pk_fma_f32 v[142:143], v[142:143], v[132:133], v[146:147] op_sel:[0,0,1] op_sel_hi:[1,0,0]
	v_dual_mul_f32 v146, v145, v135 :: v_dual_mov_b32 v142, v145
	s_delay_alu instid0(VALU_DEP_2) | instskip(NEXT) | instid1(VALU_DEP_2)
	v_dual_mov_b32 v149, v143 :: v_dual_mov_b32 v143, v144
	v_pk_fma_f32 v[146:147], v[144:145], v[108:109], v[146:147] op_sel_hi:[1,1,0] neg_lo:[0,0,1] neg_hi:[0,0,1]
	v_mul_f32_e32 v144, v145, v132
	s_delay_alu instid0(VALU_DEP_3) | instskip(NEXT) | instid1(VALU_DEP_2)
	v_pk_add_f32 v[74:75], v[74:75], v[148:149] neg_lo:[0,1] neg_hi:[0,1]
	v_pk_fma_f32 v[142:143], v[142:143], v[108:109], v[144:145] op_sel_hi:[1,1,0]
	s_delay_alu instid0(VALU_DEP_1) | instskip(SKIP_4) | instid1(VALU_DEP_1)
	v_mov_b32_e32 v147, v143
	ds_load_2addr_b64 v[142:145], v136 offset0:51 offset1:52
	v_pk_add_f32 v[16:17], v[16:17], v[146:147] neg_lo:[0,1] neg_hi:[0,1]
	s_wait_dscnt 0x0
	v_pk_mul_f32 v[146:147], v[142:143], v[134:135] op_sel:[0,1]
	v_pk_fma_f32 v[148:149], v[142:143], v[132:133], v[146:147] op_sel:[0,0,1] op_sel_hi:[1,1,0] neg_lo:[0,0,1] neg_hi:[0,0,1]
	v_pk_fma_f32 v[142:143], v[142:143], v[132:133], v[146:147] op_sel:[0,0,1] op_sel_hi:[1,0,0]
	s_delay_alu instid0(VALU_DEP_1) | instskip(SKIP_1) | instid1(VALU_DEP_1)
	v_mov_b32_e32 v149, v143
	v_pk_mul_f32 v[142:143], v[144:145], v[134:135] op_sel:[0,1]
	v_pk_fma_f32 v[146:147], v[144:145], v[132:133], v[142:143] op_sel:[0,0,1] op_sel_hi:[1,1,0] neg_lo:[0,0,1] neg_hi:[0,0,1]
	v_pk_fma_f32 v[142:143], v[144:145], v[132:133], v[142:143] op_sel:[0,0,1] op_sel_hi:[1,0,0]
	s_delay_alu instid0(VALU_DEP_1)
	v_mov_b32_e32 v147, v143
	ds_load_2addr_b64 v[142:145], v136 offset0:53 offset1:54
	v_pk_add_f32 v[28:29], v[28:29], v[148:149] neg_lo:[0,1] neg_hi:[0,1]
	v_pk_add_f32 v[68:69], v[68:69], v[146:147] neg_lo:[0,1] neg_hi:[0,1]
	s_wait_dscnt 0x0
	v_pk_mul_f32 v[146:147], v[142:143], v[134:135] op_sel:[0,1]
	s_delay_alu instid0(VALU_DEP_1) | instskip(SKIP_1) | instid1(VALU_DEP_1)
	v_pk_fma_f32 v[148:149], v[142:143], v[132:133], v[146:147] op_sel:[0,0,1] op_sel_hi:[1,1,0] neg_lo:[0,0,1] neg_hi:[0,0,1]
	v_pk_fma_f32 v[142:143], v[142:143], v[132:133], v[146:147] op_sel:[0,0,1] op_sel_hi:[1,0,0]
	v_mov_b32_e32 v149, v143
	v_pk_mul_f32 v[142:143], v[144:145], v[134:135] op_sel:[0,1]
	s_delay_alu instid0(VALU_DEP_1) | instskip(SKIP_1) | instid1(VALU_DEP_1)
	v_pk_fma_f32 v[146:147], v[144:145], v[132:133], v[142:143] op_sel:[0,0,1] op_sel_hi:[1,1,0] neg_lo:[0,0,1] neg_hi:[0,0,1]
	v_pk_fma_f32 v[142:143], v[144:145], v[132:133], v[142:143] op_sel:[0,0,1] op_sel_hi:[1,0,0]
	v_mov_b32_e32 v147, v143
	ds_load_2addr_b64 v[142:145], v136 offset0:55 offset1:56
	v_pk_add_f32 v[66:67], v[66:67], v[148:149] neg_lo:[0,1] neg_hi:[0,1]
	v_pk_add_f32 v[10:11], v[10:11], v[146:147] neg_lo:[0,1] neg_hi:[0,1]
	s_wait_dscnt 0x0
	v_dual_mul_f32 v146, v143, v135 :: v_dual_mul_f32 v148, v143, v132
	s_delay_alu instid0(VALU_DEP_1) | instskip(NEXT) | instid1(VALU_DEP_2)
	v_pk_fma_f32 v[146:147], v[142:143], v[108:109], v[146:147] op_sel_hi:[1,1,0] neg_lo:[0,0,1] neg_hi:[0,0,1]
	v_pk_fma_f32 v[142:143], v[142:143], v[108:109], v[148:149] op_sel:[1,0,0] op_sel_hi:[0,1,0]
	s_delay_alu instid0(VALU_DEP_1) | instskip(SKIP_1) | instid1(VALU_DEP_2)
	v_mov_b32_e32 v147, v143
	v_pk_mul_f32 v[142:143], v[144:145], v[134:135] op_sel:[0,1]
	v_pk_add_f32 v[8:9], v[8:9], v[146:147] neg_lo:[0,1] neg_hi:[0,1]
	s_delay_alu instid0(VALU_DEP_2) | instskip(SKIP_1) | instid1(VALU_DEP_1)
	v_pk_fma_f32 v[146:147], v[144:145], v[132:133], v[142:143] op_sel:[0,0,1] op_sel_hi:[1,1,0] neg_lo:[0,0,1] neg_hi:[0,0,1]
	v_pk_fma_f32 v[142:143], v[144:145], v[132:133], v[142:143] op_sel:[0,0,1] op_sel_hi:[1,0,0]
	v_mov_b32_e32 v147, v143
	ds_load_2addr_b64 v[142:145], v136 offset0:57 offset1:58
	v_pk_add_f32 v[34:35], v[34:35], v[146:147] neg_lo:[0,1] neg_hi:[0,1]
	s_wait_dscnt 0x0
	v_pk_mul_f32 v[146:147], v[142:143], v[134:135] op_sel:[0,1]
	s_delay_alu instid0(VALU_DEP_1) | instskip(SKIP_1) | instid1(VALU_DEP_1)
	v_pk_fma_f32 v[148:149], v[142:143], v[132:133], v[146:147] op_sel:[0,0,1] op_sel_hi:[1,1,0] neg_lo:[0,0,1] neg_hi:[0,0,1]
	v_pk_fma_f32 v[142:143], v[142:143], v[132:133], v[146:147] op_sel:[0,0,1] op_sel_hi:[1,0,0]
	v_mov_b32_e32 v149, v143
	v_pk_mul_f32 v[142:143], v[144:145], v[134:135] op_sel:[0,1]
	s_delay_alu instid0(VALU_DEP_2) | instskip(NEXT) | instid1(VALU_DEP_2)
	v_pk_add_f32 v[30:31], v[30:31], v[148:149] neg_lo:[0,1] neg_hi:[0,1]
	v_pk_fma_f32 v[146:147], v[144:145], v[132:133], v[142:143] op_sel:[0,0,1] op_sel_hi:[1,1,0] neg_lo:[0,0,1] neg_hi:[0,0,1]
	v_pk_fma_f32 v[142:143], v[144:145], v[132:133], v[142:143] op_sel:[0,0,1] op_sel_hi:[1,0,0]
	s_delay_alu instid0(VALU_DEP_1) | instskip(SKIP_4) | instid1(VALU_DEP_1)
	v_mov_b32_e32 v147, v143
	ds_load_2addr_b64 v[142:145], v136 offset0:59 offset1:60
	v_pk_add_f32 v[6:7], v[6:7], v[146:147] neg_lo:[0,1] neg_hi:[0,1]
	s_wait_dscnt 0x0
	v_pk_mul_f32 v[146:147], v[142:143], v[134:135] op_sel:[0,1]
	v_pk_fma_f32 v[148:149], v[142:143], v[132:133], v[146:147] op_sel:[0,0,1] op_sel_hi:[1,1,0] neg_lo:[0,0,1] neg_hi:[0,0,1]
	v_pk_fma_f32 v[142:143], v[142:143], v[132:133], v[146:147] op_sel:[0,0,1] op_sel_hi:[1,0,0]
	v_dual_mul_f32 v146, v145, v135 :: v_dual_mov_b32 v142, v145
	s_delay_alu instid0(VALU_DEP_2) | instskip(NEXT) | instid1(VALU_DEP_2)
	v_dual_mov_b32 v149, v143 :: v_dual_mov_b32 v143, v144
	v_pk_fma_f32 v[146:147], v[144:145], v[108:109], v[146:147] op_sel_hi:[1,1,0] neg_lo:[0,0,1] neg_hi:[0,0,1]
	v_mul_f32_e32 v144, v145, v132
	s_delay_alu instid0(VALU_DEP_3) | instskip(NEXT) | instid1(VALU_DEP_2)
	v_pk_add_f32 v[26:27], v[26:27], v[148:149] neg_lo:[0,1] neg_hi:[0,1]
	v_pk_fma_f32 v[142:143], v[142:143], v[108:109], v[144:145] op_sel_hi:[1,1,0]
	s_delay_alu instid0(VALU_DEP_1)
	v_mov_b32_e32 v147, v143
	ds_load_2addr_b64 v[142:145], v136 offset0:61 offset1:62
	v_pk_add_f32 v[14:15], v[14:15], v[146:147] neg_lo:[0,1] neg_hi:[0,1]
	s_wait_dscnt 0x0
	v_pk_mul_f32 v[146:147], v[142:143], v[134:135] op_sel:[0,1]
	v_pk_mul_f32 v[134:135], v[144:145], v[134:135] op_sel:[0,1]
	s_delay_alu instid0(VALU_DEP_2) | instskip(SKIP_1) | instid1(VALU_DEP_1)
	v_pk_fma_f32 v[148:149], v[142:143], v[132:133], v[146:147] op_sel:[0,0,1] op_sel_hi:[1,1,0] neg_lo:[0,0,1] neg_hi:[0,0,1]
	v_pk_fma_f32 v[142:143], v[142:143], v[132:133], v[146:147] op_sel:[0,0,1] op_sel_hi:[1,0,0]
	v_mov_b32_e32 v149, v143
	s_delay_alu instid0(VALU_DEP_4) | instskip(SKIP_1) | instid1(VALU_DEP_1)
	v_pk_fma_f32 v[142:143], v[144:145], v[132:133], v[134:135] op_sel:[0,0,1] op_sel_hi:[1,1,0] neg_lo:[0,0,1] neg_hi:[0,0,1]
	v_pk_fma_f32 v[132:133], v[144:145], v[132:133], v[134:135] op_sel:[0,0,1] op_sel_hi:[1,0,0]
	v_mov_b32_e32 v143, v133
	s_delay_alu instid0(VALU_DEP_4) | instskip(NEXT) | instid1(VALU_DEP_2)
	v_pk_add_f32 v[12:13], v[12:13], v[148:149] neg_lo:[0,1] neg_hi:[0,1]
	v_pk_add_f32 v[130:131], v[130:131], v[142:143] neg_lo:[0,1] neg_hi:[0,1]
.LBB124_356:
	s_or_b32 exec_lo, exec_lo, s0
	v_lshl_add_u32 v132, v140, 3, v136
	s_barrier_signal -1
	s_barrier_wait -1
	ds_store_b64 v132, v[106:107]
	s_wait_dscnt 0x0
	s_barrier_signal -1
	s_barrier_wait -1
	ds_load_b64 v[134:135], v136 offset:136
	v_mov_b32_e32 v132, 17
	s_cmp_lt_i32 s18, 19
	s_cbranch_scc1 .LBB124_359
; %bb.357:
	v_add3_u32 v133, v137, 0, 0x90
	v_mov_b32_e32 v132, 17
	s_mov_b32 s0, 18
.LBB124_358:                            ; =>This Inner Loop Header: Depth=1
	ds_load_b64 v[142:143], v133
	s_wait_dscnt 0x1
	v_cmp_gt_f32_e32 vcc_lo, 0, v134
	v_cndmask_b32_e64 v144, v134, -v134, vcc_lo
	v_cmp_gt_f32_e32 vcc_lo, 0, v135
	v_cndmask_b32_e64 v146, v135, -v135, vcc_lo
	s_wait_dscnt 0x0
	v_cmp_gt_f32_e32 vcc_lo, 0, v142
	v_cndmask_b32_e64 v145, v142, -v142, vcc_lo
	v_cmp_gt_f32_e32 vcc_lo, 0, v143
	v_cndmask_b32_e64 v147, v143, -v143, vcc_lo
	s_delay_alu instid0(VALU_DEP_1) | instskip(NEXT) | instid1(VALU_DEP_1)
	v_pk_add_f32 v[144:145], v[144:145], v[146:147]
	v_cmp_lt_f32_e32 vcc_lo, v144, v145
	v_dual_add_nc_u32 v133, 8, v133 :: v_dual_cndmask_b32 v135, v135, v143, vcc_lo
	v_cndmask_b32_e32 v134, v134, v142, vcc_lo
	v_cndmask_b32_e64 v132, v132, s0, vcc_lo
	s_add_co_i32 s0, s0, 1
	s_delay_alu instid0(SALU_CYCLE_1)
	s_cmp_lg_u32 s18, s0
	s_cbranch_scc1 .LBB124_358
.LBB124_359:
	s_wait_dscnt 0x0
	v_cmp_eq_f32_e32 vcc_lo, 0, v134
	v_cmp_eq_f32_e64 s0, 0, v135
	s_and_b32 s0, vcc_lo, s0
	s_delay_alu instid0(SALU_CYCLE_1) | instskip(NEXT) | instid1(SALU_CYCLE_1)
	s_and_saveexec_b32 s1, s0
	s_xor_b32 s0, exec_lo, s1
; %bb.360:
	v_cmp_ne_u32_e32 vcc_lo, 0, v138
	v_cndmask_b32_e32 v138, 18, v138, vcc_lo
; %bb.361:
	s_and_not1_saveexec_b32 s0, s0
	s_cbranch_execz .LBB124_367
; %bb.362:
	v_cmp_ngt_f32_e64 s1, |v134|, |v135|
	s_and_saveexec_b32 s12, s1
	s_delay_alu instid0(SALU_CYCLE_1)
	s_xor_b32 s1, exec_lo, s12
	s_cbranch_execz .LBB124_364
; %bb.363:
	v_div_scale_f32 v133, null, v135, v135, v134
	v_div_scale_f32 v143, vcc_lo, v134, v135, v134
	s_delay_alu instid0(VALU_DEP_2) | instskip(SKIP_1) | instid1(TRANS32_DEP_1)
	v_rcp_f32_e32 v141, v133
	v_nop
	v_fma_f32 v142, -v133, v141, 1.0
	s_delay_alu instid0(VALU_DEP_1) | instskip(NEXT) | instid1(VALU_DEP_1)
	v_fmac_f32_e32 v141, v142, v141
	v_mul_f32_e32 v142, v143, v141
	s_delay_alu instid0(VALU_DEP_1) | instskip(NEXT) | instid1(VALU_DEP_1)
	v_fma_f32 v144, -v133, v142, v143
	v_fmac_f32_e32 v142, v144, v141
	s_delay_alu instid0(VALU_DEP_1) | instskip(NEXT) | instid1(VALU_DEP_1)
	v_fma_f32 v133, -v133, v142, v143
	v_div_fmas_f32 v133, v133, v141, v142
	s_delay_alu instid0(VALU_DEP_1) | instskip(NEXT) | instid1(VALU_DEP_1)
	v_div_fixup_f32 v133, v133, v135, v134
	v_fmac_f32_e32 v135, v134, v133
	s_delay_alu instid0(VALU_DEP_1) | instskip(SKIP_1) | instid1(VALU_DEP_2)
	v_div_scale_f32 v134, null, v135, v135, 1.0
	v_div_scale_f32 v143, vcc_lo, 1.0, v135, 1.0
	v_rcp_f32_e32 v141, v134
	v_nop
	s_delay_alu instid0(TRANS32_DEP_1) | instskip(NEXT) | instid1(VALU_DEP_1)
	v_fma_f32 v142, -v134, v141, 1.0
	v_fmac_f32_e32 v141, v142, v141
	s_delay_alu instid0(VALU_DEP_1) | instskip(NEXT) | instid1(VALU_DEP_1)
	v_mul_f32_e32 v142, v143, v141
	v_fma_f32 v144, -v134, v142, v143
	s_delay_alu instid0(VALU_DEP_1) | instskip(NEXT) | instid1(VALU_DEP_1)
	v_fmac_f32_e32 v142, v144, v141
	v_fma_f32 v134, -v134, v142, v143
	s_delay_alu instid0(VALU_DEP_1) | instskip(NEXT) | instid1(VALU_DEP_1)
	v_div_fmas_f32 v134, v134, v141, v142
	v_div_fixup_f32 v135, v134, v135, 1.0
	s_delay_alu instid0(VALU_DEP_1)
	v_mul_f32_e32 v134, v133, v135
	v_xor_b32_e32 v135, 0x80000000, v135
.LBB124_364:
	s_and_not1_saveexec_b32 s1, s1
	s_cbranch_execz .LBB124_366
; %bb.365:
	s_delay_alu instid0(VALU_DEP_1) | instskip(SKIP_1) | instid1(VALU_DEP_2)
	v_div_scale_f32 v133, null, v134, v134, v135
	v_div_scale_f32 v143, vcc_lo, v135, v134, v135
	v_rcp_f32_e32 v141, v133
	v_nop
	s_delay_alu instid0(TRANS32_DEP_1) | instskip(NEXT) | instid1(VALU_DEP_1)
	v_fma_f32 v142, -v133, v141, 1.0
	v_fmac_f32_e32 v141, v142, v141
	s_delay_alu instid0(VALU_DEP_1) | instskip(NEXT) | instid1(VALU_DEP_1)
	v_mul_f32_e32 v142, v143, v141
	v_fma_f32 v144, -v133, v142, v143
	s_delay_alu instid0(VALU_DEP_1) | instskip(NEXT) | instid1(VALU_DEP_1)
	v_fmac_f32_e32 v142, v144, v141
	v_fma_f32 v133, -v133, v142, v143
	s_delay_alu instid0(VALU_DEP_1) | instskip(NEXT) | instid1(VALU_DEP_1)
	v_div_fmas_f32 v133, v133, v141, v142
	v_div_fixup_f32 v133, v133, v134, v135
	s_delay_alu instid0(VALU_DEP_1) | instskip(NEXT) | instid1(VALU_DEP_1)
	v_fmac_f32_e32 v134, v135, v133
	v_div_scale_f32 v135, null, v134, v134, 1.0
	s_delay_alu instid0(VALU_DEP_1) | instskip(SKIP_1) | instid1(TRANS32_DEP_1)
	v_rcp_f32_e32 v141, v135
	v_nop
	v_fma_f32 v142, -v135, v141, 1.0
	s_delay_alu instid0(VALU_DEP_1) | instskip(SKIP_1) | instid1(VALU_DEP_1)
	v_fmac_f32_e32 v141, v142, v141
	v_div_scale_f32 v142, vcc_lo, 1.0, v134, 1.0
	v_mul_f32_e32 v143, v142, v141
	s_delay_alu instid0(VALU_DEP_1) | instskip(NEXT) | instid1(VALU_DEP_1)
	v_fma_f32 v144, -v135, v143, v142
	v_fmac_f32_e32 v143, v144, v141
	s_delay_alu instid0(VALU_DEP_1) | instskip(NEXT) | instid1(VALU_DEP_1)
	v_fma_f32 v135, -v135, v143, v142
	v_div_fmas_f32 v135, v135, v141, v143
	s_delay_alu instid0(VALU_DEP_1) | instskip(NEXT) | instid1(VALU_DEP_1)
	v_div_fixup_f32 v134, v135, v134, 1.0
	v_mul_f32_e64 v135, v133, -v134
.LBB124_366:
	s_or_b32 exec_lo, exec_lo, s1
.LBB124_367:
	s_delay_alu instid0(SALU_CYCLE_1) | instskip(NEXT) | instid1(SALU_CYCLE_1)
	s_or_b32 exec_lo, exec_lo, s0
	s_mov_b32 s0, exec_lo
	v_cmpx_ne_u32_e64 v140, v132
	s_xor_b32 s0, exec_lo, s0
	s_cbranch_execz .LBB124_373
; %bb.368:
	s_mov_b32 s1, exec_lo
	v_cmpx_eq_u32_e32 17, v140
	s_cbranch_execz .LBB124_372
; %bb.369:
	v_cmp_ne_u32_e32 vcc_lo, 17, v132
	s_xor_b32 s12, s16, -1
	s_delay_alu instid0(SALU_CYCLE_1) | instskip(NEXT) | instid1(SALU_CYCLE_1)
	s_and_b32 s13, s12, vcc_lo
	s_and_saveexec_b32 s12, s13
	s_cbranch_execz .LBB124_371
; %bb.370:
	v_ashrrev_i32_e32 v133, 31, v132
	s_delay_alu instid0(VALU_DEP_1)
	v_lshl_add_u64 v[140:141], v[132:133], 2, v[4:5]
	s_clause 0x1
	global_load_b32 v133, v[140:141], off
	global_load_b32 v139, v[4:5], off offset:68
	s_wait_loadcnt 0x1
	global_store_b32 v[4:5], v133, off offset:68
	s_wait_loadcnt 0x0
	global_store_b32 v[140:141], v139, off
.LBB124_371:
	s_wait_xcnt 0x0
	s_or_b32 exec_lo, exec_lo, s12
	v_dual_mov_b32 v140, v132 :: v_dual_mov_b32 v139, v132
.LBB124_372:
	s_or_b32 exec_lo, exec_lo, s1
.LBB124_373:
	s_and_not1_saveexec_b32 s0, s0
	s_cbranch_execz .LBB124_375
; %bb.374:
	v_dual_mov_b32 v132, v56 :: v_dual_mov_b32 v133, v57
	v_dual_mov_b32 v140, v54 :: v_dual_mov_b32 v141, v55
	ds_store_2addr_b64 v136, v[132:133], v[140:141] offset0:18 offset1:19
	v_dual_mov_b32 v132, v104 :: v_dual_mov_b32 v133, v105
	v_dual_mov_b32 v140, v102 :: v_dual_mov_b32 v141, v103
	ds_store_2addr_b64 v136, v[132:133], v[140:141] offset0:20 offset1:21
	;; [unrolled: 3-line block ×22, first 2 shown]
	ds_store_b64 v136, v[130:131] offset:496
	v_mov_b32_e32 v140, 17
.LBB124_375:
	s_or_b32 exec_lo, exec_lo, s0
	s_delay_alu instid0(SALU_CYCLE_1)
	s_mov_b32 s0, exec_lo
	s_wait_storecnt_dscnt 0x0
	s_barrier_signal -1
	s_barrier_wait -1
	v_cmpx_lt_i32_e32 17, v140
	s_cbranch_execz .LBB124_377
; %bb.376:
	v_pk_mul_f32 v[142:143], v[134:135], v[106:107] op_sel:[1,1] op_sel_hi:[0,1]
	s_delay_alu instid0(VALU_DEP_1)
	v_pk_fma_f32 v[132:133], v[134:135], v[106:107], v[142:143] op_sel_hi:[1,0,1] neg_lo:[0,0,1] neg_hi:[0,0,1]
	v_pk_fma_f32 v[134:135], v[134:135], v[106:107], v[142:143] op_sel_hi:[1,0,1]
	ds_load_2addr_b64 v[142:145], v136 offset0:18 offset1:19
	v_dual_mov_b32 v106, v132 :: v_dual_mov_b32 v107, v135
	s_wait_dscnt 0x0
	v_pk_mul_f32 v[146:147], v[142:143], v[134:135] op_sel:[0,1]
	s_delay_alu instid0(VALU_DEP_1) | instskip(SKIP_1) | instid1(VALU_DEP_1)
	v_pk_fma_f32 v[148:149], v[142:143], v[132:133], v[146:147] op_sel:[0,0,1] op_sel_hi:[1,1,0] neg_lo:[0,0,1] neg_hi:[0,0,1]
	v_pk_fma_f32 v[142:143], v[142:143], v[132:133], v[146:147] op_sel:[0,0,1] op_sel_hi:[1,0,0]
	v_mov_b32_e32 v149, v143
	v_pk_mul_f32 v[142:143], v[144:145], v[134:135] op_sel:[0,1]
	s_delay_alu instid0(VALU_DEP_1) | instskip(SKIP_1) | instid1(VALU_DEP_1)
	v_pk_fma_f32 v[146:147], v[144:145], v[132:133], v[142:143] op_sel:[0,0,1] op_sel_hi:[1,1,0] neg_lo:[0,0,1] neg_hi:[0,0,1]
	v_pk_fma_f32 v[142:143], v[144:145], v[132:133], v[142:143] op_sel:[0,0,1] op_sel_hi:[1,0,0]
	v_mov_b32_e32 v147, v143
	ds_load_2addr_b64 v[142:145], v136 offset0:20 offset1:21
	v_pk_add_f32 v[56:57], v[56:57], v[148:149] neg_lo:[0,1] neg_hi:[0,1]
	v_pk_add_f32 v[54:55], v[54:55], v[146:147] neg_lo:[0,1] neg_hi:[0,1]
	s_wait_dscnt 0x0
	v_pk_mul_f32 v[146:147], v[142:143], v[134:135] op_sel:[0,1]
	s_delay_alu instid0(VALU_DEP_1) | instskip(SKIP_2) | instid1(VALU_DEP_2)
	v_pk_fma_f32 v[148:149], v[142:143], v[132:133], v[146:147] op_sel:[0,0,1] op_sel_hi:[1,1,0] neg_lo:[0,0,1] neg_hi:[0,0,1]
	v_pk_fma_f32 v[142:143], v[142:143], v[132:133], v[146:147] op_sel:[0,0,1] op_sel_hi:[1,0,0]
	v_dual_mul_f32 v146, v145, v135 :: v_dual_mov_b32 v142, v145
	v_dual_mov_b32 v149, v143 :: v_dual_mov_b32 v143, v144
	s_delay_alu instid0(VALU_DEP_2) | instskip(SKIP_1) | instid1(VALU_DEP_3)
	v_pk_fma_f32 v[146:147], v[144:145], v[106:107], v[146:147] op_sel_hi:[1,1,0] neg_lo:[0,0,1] neg_hi:[0,0,1]
	v_mul_f32_e32 v144, v145, v132
	v_pk_add_f32 v[104:105], v[104:105], v[148:149] neg_lo:[0,1] neg_hi:[0,1]
	s_delay_alu instid0(VALU_DEP_2) | instskip(NEXT) | instid1(VALU_DEP_1)
	v_pk_fma_f32 v[142:143], v[142:143], v[106:107], v[144:145] op_sel_hi:[1,1,0]
	v_mov_b32_e32 v147, v143
	ds_load_2addr_b64 v[142:145], v136 offset0:22 offset1:23
	v_pk_add_f32 v[102:103], v[102:103], v[146:147] neg_lo:[0,1] neg_hi:[0,1]
	s_wait_dscnt 0x0
	v_pk_mul_f32 v[146:147], v[142:143], v[134:135] op_sel:[0,1]
	s_delay_alu instid0(VALU_DEP_1) | instskip(SKIP_1) | instid1(VALU_DEP_1)
	v_pk_fma_f32 v[148:149], v[142:143], v[132:133], v[146:147] op_sel:[0,0,1] op_sel_hi:[1,1,0] neg_lo:[0,0,1] neg_hi:[0,0,1]
	v_pk_fma_f32 v[142:143], v[142:143], v[132:133], v[146:147] op_sel:[0,0,1] op_sel_hi:[1,0,0]
	v_mov_b32_e32 v149, v143
	v_pk_mul_f32 v[142:143], v[144:145], v[134:135] op_sel:[0,1]
	s_delay_alu instid0(VALU_DEP_1) | instskip(SKIP_1) | instid1(VALU_DEP_1)
	v_pk_fma_f32 v[146:147], v[144:145], v[132:133], v[142:143] op_sel:[0,0,1] op_sel_hi:[1,1,0] neg_lo:[0,0,1] neg_hi:[0,0,1]
	v_pk_fma_f32 v[142:143], v[144:145], v[132:133], v[142:143] op_sel:[0,0,1] op_sel_hi:[1,0,0]
	v_mov_b32_e32 v147, v143
	ds_load_2addr_b64 v[142:145], v136 offset0:24 offset1:25
	v_pk_add_f32 v[52:53], v[52:53], v[148:149] neg_lo:[0,1] neg_hi:[0,1]
	v_pk_add_f32 v[50:51], v[50:51], v[146:147] neg_lo:[0,1] neg_hi:[0,1]
	s_wait_dscnt 0x0
	v_pk_mul_f32 v[146:147], v[142:143], v[134:135] op_sel:[0,1]
	s_delay_alu instid0(VALU_DEP_1) | instskip(SKIP_1) | instid1(VALU_DEP_1)
	v_pk_fma_f32 v[148:149], v[142:143], v[132:133], v[146:147] op_sel:[0,0,1] op_sel_hi:[1,1,0] neg_lo:[0,0,1] neg_hi:[0,0,1]
	v_pk_fma_f32 v[142:143], v[142:143], v[132:133], v[146:147] op_sel:[0,0,1] op_sel_hi:[1,0,0]
	v_mov_b32_e32 v149, v143
	v_pk_mul_f32 v[142:143], v[144:145], v[134:135] op_sel:[0,1]
	s_delay_alu instid0(VALU_DEP_1) | instskip(SKIP_1) | instid1(VALU_DEP_1)
	v_pk_fma_f32 v[146:147], v[144:145], v[132:133], v[142:143] op_sel:[0,0,1] op_sel_hi:[1,1,0] neg_lo:[0,0,1] neg_hi:[0,0,1]
	v_pk_fma_f32 v[142:143], v[144:145], v[132:133], v[142:143] op_sel:[0,0,1] op_sel_hi:[1,0,0]
	v_mov_b32_e32 v147, v143
	ds_load_2addr_b64 v[142:145], v136 offset0:26 offset1:27
	v_pk_add_f32 v[100:101], v[100:101], v[148:149] neg_lo:[0,1] neg_hi:[0,1]
	v_pk_add_f32 v[98:99], v[98:99], v[146:147] neg_lo:[0,1] neg_hi:[0,1]
	s_wait_dscnt 0x0
	v_dual_mul_f32 v146, v143, v135 :: v_dual_mul_f32 v148, v143, v132
	s_delay_alu instid0(VALU_DEP_1) | instskip(NEXT) | instid1(VALU_DEP_2)
	v_pk_fma_f32 v[146:147], v[142:143], v[106:107], v[146:147] op_sel_hi:[1,1,0] neg_lo:[0,0,1] neg_hi:[0,0,1]
	v_pk_fma_f32 v[142:143], v[142:143], v[106:107], v[148:149] op_sel:[1,0,0] op_sel_hi:[0,1,0]
	s_delay_alu instid0(VALU_DEP_1) | instskip(SKIP_1) | instid1(VALU_DEP_2)
	v_mov_b32_e32 v147, v143
	v_pk_mul_f32 v[142:143], v[144:145], v[134:135] op_sel:[0,1]
	v_pk_add_f32 v[48:49], v[48:49], v[146:147] neg_lo:[0,1] neg_hi:[0,1]
	s_delay_alu instid0(VALU_DEP_2) | instskip(SKIP_1) | instid1(VALU_DEP_1)
	v_pk_fma_f32 v[146:147], v[144:145], v[132:133], v[142:143] op_sel:[0,0,1] op_sel_hi:[1,1,0] neg_lo:[0,0,1] neg_hi:[0,0,1]
	v_pk_fma_f32 v[142:143], v[144:145], v[132:133], v[142:143] op_sel:[0,0,1] op_sel_hi:[1,0,0]
	v_mov_b32_e32 v147, v143
	ds_load_2addr_b64 v[142:145], v136 offset0:28 offset1:29
	v_pk_add_f32 v[46:47], v[46:47], v[146:147] neg_lo:[0,1] neg_hi:[0,1]
	s_wait_dscnt 0x0
	v_pk_mul_f32 v[146:147], v[142:143], v[134:135] op_sel:[0,1]
	s_delay_alu instid0(VALU_DEP_1) | instskip(SKIP_1) | instid1(VALU_DEP_1)
	v_pk_fma_f32 v[148:149], v[142:143], v[132:133], v[146:147] op_sel:[0,0,1] op_sel_hi:[1,1,0] neg_lo:[0,0,1] neg_hi:[0,0,1]
	v_pk_fma_f32 v[142:143], v[142:143], v[132:133], v[146:147] op_sel:[0,0,1] op_sel_hi:[1,0,0]
	v_mov_b32_e32 v149, v143
	v_pk_mul_f32 v[142:143], v[144:145], v[134:135] op_sel:[0,1]
	s_delay_alu instid0(VALU_DEP_2) | instskip(NEXT) | instid1(VALU_DEP_2)
	v_pk_add_f32 v[96:97], v[96:97], v[148:149] neg_lo:[0,1] neg_hi:[0,1]
	v_pk_fma_f32 v[146:147], v[144:145], v[132:133], v[142:143] op_sel:[0,0,1] op_sel_hi:[1,1,0] neg_lo:[0,0,1] neg_hi:[0,0,1]
	v_pk_fma_f32 v[142:143], v[144:145], v[132:133], v[142:143] op_sel:[0,0,1] op_sel_hi:[1,0,0]
	s_delay_alu instid0(VALU_DEP_1) | instskip(SKIP_4) | instid1(VALU_DEP_1)
	v_mov_b32_e32 v147, v143
	ds_load_2addr_b64 v[142:145], v136 offset0:30 offset1:31
	v_pk_add_f32 v[94:95], v[94:95], v[146:147] neg_lo:[0,1] neg_hi:[0,1]
	s_wait_dscnt 0x0
	v_pk_mul_f32 v[146:147], v[142:143], v[134:135] op_sel:[0,1]
	v_pk_fma_f32 v[148:149], v[142:143], v[132:133], v[146:147] op_sel:[0,0,1] op_sel_hi:[1,1,0] neg_lo:[0,0,1] neg_hi:[0,0,1]
	v_pk_fma_f32 v[142:143], v[142:143], v[132:133], v[146:147] op_sel:[0,0,1] op_sel_hi:[1,0,0]
	v_dual_mul_f32 v146, v145, v135 :: v_dual_mov_b32 v142, v145
	s_delay_alu instid0(VALU_DEP_2) | instskip(NEXT) | instid1(VALU_DEP_2)
	v_dual_mov_b32 v149, v143 :: v_dual_mov_b32 v143, v144
	v_pk_fma_f32 v[146:147], v[144:145], v[106:107], v[146:147] op_sel_hi:[1,1,0] neg_lo:[0,0,1] neg_hi:[0,0,1]
	v_mul_f32_e32 v144, v145, v132
	s_delay_alu instid0(VALU_DEP_3) | instskip(NEXT) | instid1(VALU_DEP_2)
	v_pk_add_f32 v[44:45], v[44:45], v[148:149] neg_lo:[0,1] neg_hi:[0,1]
	v_pk_fma_f32 v[142:143], v[142:143], v[106:107], v[144:145] op_sel_hi:[1,1,0]
	s_delay_alu instid0(VALU_DEP_1) | instskip(SKIP_4) | instid1(VALU_DEP_1)
	v_mov_b32_e32 v147, v143
	ds_load_2addr_b64 v[142:145], v136 offset0:32 offset1:33
	v_pk_add_f32 v[42:43], v[42:43], v[146:147] neg_lo:[0,1] neg_hi:[0,1]
	s_wait_dscnt 0x0
	v_pk_mul_f32 v[146:147], v[142:143], v[134:135] op_sel:[0,1]
	v_pk_fma_f32 v[148:149], v[142:143], v[132:133], v[146:147] op_sel:[0,0,1] op_sel_hi:[1,1,0] neg_lo:[0,0,1] neg_hi:[0,0,1]
	v_pk_fma_f32 v[142:143], v[142:143], v[132:133], v[146:147] op_sel:[0,0,1] op_sel_hi:[1,0,0]
	s_delay_alu instid0(VALU_DEP_1) | instskip(SKIP_1) | instid1(VALU_DEP_1)
	v_mov_b32_e32 v149, v143
	v_pk_mul_f32 v[142:143], v[144:145], v[134:135] op_sel:[0,1]
	v_pk_fma_f32 v[146:147], v[144:145], v[132:133], v[142:143] op_sel:[0,0,1] op_sel_hi:[1,1,0] neg_lo:[0,0,1] neg_hi:[0,0,1]
	v_pk_fma_f32 v[142:143], v[144:145], v[132:133], v[142:143] op_sel:[0,0,1] op_sel_hi:[1,0,0]
	s_delay_alu instid0(VALU_DEP_1)
	v_mov_b32_e32 v147, v143
	ds_load_2addr_b64 v[142:145], v136 offset0:34 offset1:35
	v_pk_add_f32 v[92:93], v[92:93], v[148:149] neg_lo:[0,1] neg_hi:[0,1]
	v_pk_add_f32 v[90:91], v[90:91], v[146:147] neg_lo:[0,1] neg_hi:[0,1]
	s_wait_dscnt 0x0
	v_pk_mul_f32 v[146:147], v[142:143], v[134:135] op_sel:[0,1]
	s_delay_alu instid0(VALU_DEP_1) | instskip(SKIP_1) | instid1(VALU_DEP_1)
	v_pk_fma_f32 v[148:149], v[142:143], v[132:133], v[146:147] op_sel:[0,0,1] op_sel_hi:[1,1,0] neg_lo:[0,0,1] neg_hi:[0,0,1]
	v_pk_fma_f32 v[142:143], v[142:143], v[132:133], v[146:147] op_sel:[0,0,1] op_sel_hi:[1,0,0]
	v_mov_b32_e32 v149, v143
	v_pk_mul_f32 v[142:143], v[144:145], v[134:135] op_sel:[0,1]
	s_delay_alu instid0(VALU_DEP_1) | instskip(SKIP_1) | instid1(VALU_DEP_1)
	v_pk_fma_f32 v[146:147], v[144:145], v[132:133], v[142:143] op_sel:[0,0,1] op_sel_hi:[1,1,0] neg_lo:[0,0,1] neg_hi:[0,0,1]
	v_pk_fma_f32 v[142:143], v[144:145], v[132:133], v[142:143] op_sel:[0,0,1] op_sel_hi:[1,0,0]
	v_mov_b32_e32 v147, v143
	ds_load_2addr_b64 v[142:145], v136 offset0:36 offset1:37
	v_pk_add_f32 v[40:41], v[40:41], v[148:149] neg_lo:[0,1] neg_hi:[0,1]
	v_pk_add_f32 v[38:39], v[38:39], v[146:147] neg_lo:[0,1] neg_hi:[0,1]
	s_wait_dscnt 0x0
	v_dual_mul_f32 v146, v143, v135 :: v_dual_mul_f32 v148, v143, v132
	s_delay_alu instid0(VALU_DEP_1) | instskip(NEXT) | instid1(VALU_DEP_2)
	v_pk_fma_f32 v[146:147], v[142:143], v[106:107], v[146:147] op_sel_hi:[1,1,0] neg_lo:[0,0,1] neg_hi:[0,0,1]
	v_pk_fma_f32 v[142:143], v[142:143], v[106:107], v[148:149] op_sel:[1,0,0] op_sel_hi:[0,1,0]
	s_delay_alu instid0(VALU_DEP_1) | instskip(SKIP_1) | instid1(VALU_DEP_2)
	v_mov_b32_e32 v147, v143
	v_pk_mul_f32 v[142:143], v[144:145], v[134:135] op_sel:[0,1]
	v_pk_add_f32 v[88:89], v[88:89], v[146:147] neg_lo:[0,1] neg_hi:[0,1]
	s_delay_alu instid0(VALU_DEP_2) | instskip(SKIP_1) | instid1(VALU_DEP_1)
	v_pk_fma_f32 v[146:147], v[144:145], v[132:133], v[142:143] op_sel:[0,0,1] op_sel_hi:[1,1,0] neg_lo:[0,0,1] neg_hi:[0,0,1]
	v_pk_fma_f32 v[142:143], v[144:145], v[132:133], v[142:143] op_sel:[0,0,1] op_sel_hi:[1,0,0]
	v_mov_b32_e32 v147, v143
	ds_load_2addr_b64 v[142:145], v136 offset0:38 offset1:39
	v_pk_add_f32 v[86:87], v[86:87], v[146:147] neg_lo:[0,1] neg_hi:[0,1]
	s_wait_dscnt 0x0
	v_pk_mul_f32 v[146:147], v[142:143], v[134:135] op_sel:[0,1]
	s_delay_alu instid0(VALU_DEP_1) | instskip(SKIP_1) | instid1(VALU_DEP_1)
	v_pk_fma_f32 v[148:149], v[142:143], v[132:133], v[146:147] op_sel:[0,0,1] op_sel_hi:[1,1,0] neg_lo:[0,0,1] neg_hi:[0,0,1]
	v_pk_fma_f32 v[142:143], v[142:143], v[132:133], v[146:147] op_sel:[0,0,1] op_sel_hi:[1,0,0]
	v_mov_b32_e32 v149, v143
	v_pk_mul_f32 v[142:143], v[144:145], v[134:135] op_sel:[0,1]
	s_delay_alu instid0(VALU_DEP_2) | instskip(NEXT) | instid1(VALU_DEP_2)
	v_pk_add_f32 v[36:37], v[36:37], v[148:149] neg_lo:[0,1] neg_hi:[0,1]
	v_pk_fma_f32 v[146:147], v[144:145], v[132:133], v[142:143] op_sel:[0,0,1] op_sel_hi:[1,1,0] neg_lo:[0,0,1] neg_hi:[0,0,1]
	v_pk_fma_f32 v[142:143], v[144:145], v[132:133], v[142:143] op_sel:[0,0,1] op_sel_hi:[1,0,0]
	s_delay_alu instid0(VALU_DEP_1) | instskip(SKIP_4) | instid1(VALU_DEP_1)
	v_mov_b32_e32 v147, v143
	ds_load_2addr_b64 v[142:145], v136 offset0:40 offset1:41
	v_pk_add_f32 v[32:33], v[32:33], v[146:147] neg_lo:[0,1] neg_hi:[0,1]
	s_wait_dscnt 0x0
	v_pk_mul_f32 v[146:147], v[142:143], v[134:135] op_sel:[0,1]
	v_pk_fma_f32 v[148:149], v[142:143], v[132:133], v[146:147] op_sel:[0,0,1] op_sel_hi:[1,1,0] neg_lo:[0,0,1] neg_hi:[0,0,1]
	v_pk_fma_f32 v[142:143], v[142:143], v[132:133], v[146:147] op_sel:[0,0,1] op_sel_hi:[1,0,0]
	v_dual_mul_f32 v146, v145, v135 :: v_dual_mov_b32 v142, v145
	s_delay_alu instid0(VALU_DEP_2) | instskip(NEXT) | instid1(VALU_DEP_2)
	v_dual_mov_b32 v149, v143 :: v_dual_mov_b32 v143, v144
	v_pk_fma_f32 v[146:147], v[144:145], v[106:107], v[146:147] op_sel_hi:[1,1,0] neg_lo:[0,0,1] neg_hi:[0,0,1]
	v_mul_f32_e32 v144, v145, v132
	s_delay_alu instid0(VALU_DEP_3) | instskip(NEXT) | instid1(VALU_DEP_2)
	v_pk_add_f32 v[84:85], v[84:85], v[148:149] neg_lo:[0,1] neg_hi:[0,1]
	v_pk_fma_f32 v[142:143], v[142:143], v[106:107], v[144:145] op_sel_hi:[1,1,0]
	s_delay_alu instid0(VALU_DEP_1) | instskip(SKIP_4) | instid1(VALU_DEP_1)
	v_mov_b32_e32 v147, v143
	ds_load_2addr_b64 v[142:145], v136 offset0:42 offset1:43
	v_pk_add_f32 v[82:83], v[82:83], v[146:147] neg_lo:[0,1] neg_hi:[0,1]
	s_wait_dscnt 0x0
	v_pk_mul_f32 v[146:147], v[142:143], v[134:135] op_sel:[0,1]
	v_pk_fma_f32 v[148:149], v[142:143], v[132:133], v[146:147] op_sel:[0,0,1] op_sel_hi:[1,1,0] neg_lo:[0,0,1] neg_hi:[0,0,1]
	v_pk_fma_f32 v[142:143], v[142:143], v[132:133], v[146:147] op_sel:[0,0,1] op_sel_hi:[1,0,0]
	s_delay_alu instid0(VALU_DEP_1) | instskip(SKIP_1) | instid1(VALU_DEP_1)
	v_mov_b32_e32 v149, v143
	v_pk_mul_f32 v[142:143], v[144:145], v[134:135] op_sel:[0,1]
	v_pk_fma_f32 v[146:147], v[144:145], v[132:133], v[142:143] op_sel:[0,0,1] op_sel_hi:[1,1,0] neg_lo:[0,0,1] neg_hi:[0,0,1]
	v_pk_fma_f32 v[142:143], v[144:145], v[132:133], v[142:143] op_sel:[0,0,1] op_sel_hi:[1,0,0]
	s_delay_alu instid0(VALU_DEP_1)
	v_mov_b32_e32 v147, v143
	ds_load_2addr_b64 v[142:145], v136 offset0:44 offset1:45
	v_pk_add_f32 v[24:25], v[24:25], v[148:149] neg_lo:[0,1] neg_hi:[0,1]
	v_pk_add_f32 v[22:23], v[22:23], v[146:147] neg_lo:[0,1] neg_hi:[0,1]
	s_wait_dscnt 0x0
	v_pk_mul_f32 v[146:147], v[142:143], v[134:135] op_sel:[0,1]
	s_delay_alu instid0(VALU_DEP_1) | instskip(SKIP_1) | instid1(VALU_DEP_1)
	v_pk_fma_f32 v[148:149], v[142:143], v[132:133], v[146:147] op_sel:[0,0,1] op_sel_hi:[1,1,0] neg_lo:[0,0,1] neg_hi:[0,0,1]
	v_pk_fma_f32 v[142:143], v[142:143], v[132:133], v[146:147] op_sel:[0,0,1] op_sel_hi:[1,0,0]
	v_mov_b32_e32 v149, v143
	v_pk_mul_f32 v[142:143], v[144:145], v[134:135] op_sel:[0,1]
	s_delay_alu instid0(VALU_DEP_1) | instskip(SKIP_1) | instid1(VALU_DEP_1)
	v_pk_fma_f32 v[146:147], v[144:145], v[132:133], v[142:143] op_sel:[0,0,1] op_sel_hi:[1,1,0] neg_lo:[0,0,1] neg_hi:[0,0,1]
	v_pk_fma_f32 v[142:143], v[144:145], v[132:133], v[142:143] op_sel:[0,0,1] op_sel_hi:[1,0,0]
	v_mov_b32_e32 v147, v143
	ds_load_2addr_b64 v[142:145], v136 offset0:46 offset1:47
	v_pk_add_f32 v[80:81], v[80:81], v[148:149] neg_lo:[0,1] neg_hi:[0,1]
	v_pk_add_f32 v[78:79], v[78:79], v[146:147] neg_lo:[0,1] neg_hi:[0,1]
	s_wait_dscnt 0x0
	v_dual_mul_f32 v146, v143, v135 :: v_dual_mul_f32 v148, v143, v132
	s_delay_alu instid0(VALU_DEP_1) | instskip(NEXT) | instid1(VALU_DEP_2)
	v_pk_fma_f32 v[146:147], v[142:143], v[106:107], v[146:147] op_sel_hi:[1,1,0] neg_lo:[0,0,1] neg_hi:[0,0,1]
	v_pk_fma_f32 v[142:143], v[142:143], v[106:107], v[148:149] op_sel:[1,0,0] op_sel_hi:[0,1,0]
	s_delay_alu instid0(VALU_DEP_1) | instskip(SKIP_1) | instid1(VALU_DEP_2)
	v_mov_b32_e32 v147, v143
	v_pk_mul_f32 v[142:143], v[144:145], v[134:135] op_sel:[0,1]
	v_pk_add_f32 v[20:21], v[20:21], v[146:147] neg_lo:[0,1] neg_hi:[0,1]
	s_delay_alu instid0(VALU_DEP_2) | instskip(SKIP_1) | instid1(VALU_DEP_1)
	v_pk_fma_f32 v[146:147], v[144:145], v[132:133], v[142:143] op_sel:[0,0,1] op_sel_hi:[1,1,0] neg_lo:[0,0,1] neg_hi:[0,0,1]
	v_pk_fma_f32 v[142:143], v[144:145], v[132:133], v[142:143] op_sel:[0,0,1] op_sel_hi:[1,0,0]
	v_mov_b32_e32 v147, v143
	ds_load_2addr_b64 v[142:145], v136 offset0:48 offset1:49
	v_pk_add_f32 v[18:19], v[18:19], v[146:147] neg_lo:[0,1] neg_hi:[0,1]
	s_wait_dscnt 0x0
	v_pk_mul_f32 v[146:147], v[142:143], v[134:135] op_sel:[0,1]
	s_delay_alu instid0(VALU_DEP_1) | instskip(SKIP_1) | instid1(VALU_DEP_1)
	v_pk_fma_f32 v[148:149], v[142:143], v[132:133], v[146:147] op_sel:[0,0,1] op_sel_hi:[1,1,0] neg_lo:[0,0,1] neg_hi:[0,0,1]
	v_pk_fma_f32 v[142:143], v[142:143], v[132:133], v[146:147] op_sel:[0,0,1] op_sel_hi:[1,0,0]
	v_mov_b32_e32 v149, v143
	v_pk_mul_f32 v[142:143], v[144:145], v[134:135] op_sel:[0,1]
	s_delay_alu instid0(VALU_DEP_2) | instskip(NEXT) | instid1(VALU_DEP_2)
	v_pk_add_f32 v[76:77], v[76:77], v[148:149] neg_lo:[0,1] neg_hi:[0,1]
	v_pk_fma_f32 v[146:147], v[144:145], v[132:133], v[142:143] op_sel:[0,0,1] op_sel_hi:[1,1,0] neg_lo:[0,0,1] neg_hi:[0,0,1]
	v_pk_fma_f32 v[142:143], v[144:145], v[132:133], v[142:143] op_sel:[0,0,1] op_sel_hi:[1,0,0]
	s_delay_alu instid0(VALU_DEP_1) | instskip(SKIP_4) | instid1(VALU_DEP_1)
	v_mov_b32_e32 v147, v143
	ds_load_2addr_b64 v[142:145], v136 offset0:50 offset1:51
	v_pk_add_f32 v[74:75], v[74:75], v[146:147] neg_lo:[0,1] neg_hi:[0,1]
	s_wait_dscnt 0x0
	v_pk_mul_f32 v[146:147], v[142:143], v[134:135] op_sel:[0,1]
	v_pk_fma_f32 v[148:149], v[142:143], v[132:133], v[146:147] op_sel:[0,0,1] op_sel_hi:[1,1,0] neg_lo:[0,0,1] neg_hi:[0,0,1]
	v_pk_fma_f32 v[142:143], v[142:143], v[132:133], v[146:147] op_sel:[0,0,1] op_sel_hi:[1,0,0]
	v_dual_mul_f32 v146, v145, v135 :: v_dual_mov_b32 v142, v145
	s_delay_alu instid0(VALU_DEP_2) | instskip(NEXT) | instid1(VALU_DEP_2)
	v_dual_mov_b32 v149, v143 :: v_dual_mov_b32 v143, v144
	v_pk_fma_f32 v[146:147], v[144:145], v[106:107], v[146:147] op_sel_hi:[1,1,0] neg_lo:[0,0,1] neg_hi:[0,0,1]
	v_mul_f32_e32 v144, v145, v132
	s_delay_alu instid0(VALU_DEP_3) | instskip(NEXT) | instid1(VALU_DEP_2)
	v_pk_add_f32 v[16:17], v[16:17], v[148:149] neg_lo:[0,1] neg_hi:[0,1]
	v_pk_fma_f32 v[142:143], v[142:143], v[106:107], v[144:145] op_sel_hi:[1,1,0]
	s_delay_alu instid0(VALU_DEP_1) | instskip(SKIP_4) | instid1(VALU_DEP_1)
	v_mov_b32_e32 v147, v143
	ds_load_2addr_b64 v[142:145], v136 offset0:52 offset1:53
	v_pk_add_f32 v[28:29], v[28:29], v[146:147] neg_lo:[0,1] neg_hi:[0,1]
	s_wait_dscnt 0x0
	v_pk_mul_f32 v[146:147], v[142:143], v[134:135] op_sel:[0,1]
	v_pk_fma_f32 v[148:149], v[142:143], v[132:133], v[146:147] op_sel:[0,0,1] op_sel_hi:[1,1,0] neg_lo:[0,0,1] neg_hi:[0,0,1]
	v_pk_fma_f32 v[142:143], v[142:143], v[132:133], v[146:147] op_sel:[0,0,1] op_sel_hi:[1,0,0]
	s_delay_alu instid0(VALU_DEP_1) | instskip(SKIP_1) | instid1(VALU_DEP_1)
	v_mov_b32_e32 v149, v143
	v_pk_mul_f32 v[142:143], v[144:145], v[134:135] op_sel:[0,1]
	v_pk_fma_f32 v[146:147], v[144:145], v[132:133], v[142:143] op_sel:[0,0,1] op_sel_hi:[1,1,0] neg_lo:[0,0,1] neg_hi:[0,0,1]
	v_pk_fma_f32 v[142:143], v[144:145], v[132:133], v[142:143] op_sel:[0,0,1] op_sel_hi:[1,0,0]
	s_delay_alu instid0(VALU_DEP_1)
	v_mov_b32_e32 v147, v143
	ds_load_2addr_b64 v[142:145], v136 offset0:54 offset1:55
	v_pk_add_f32 v[68:69], v[68:69], v[148:149] neg_lo:[0,1] neg_hi:[0,1]
	v_pk_add_f32 v[66:67], v[66:67], v[146:147] neg_lo:[0,1] neg_hi:[0,1]
	s_wait_dscnt 0x0
	v_pk_mul_f32 v[146:147], v[142:143], v[134:135] op_sel:[0,1]
	s_delay_alu instid0(VALU_DEP_1) | instskip(SKIP_1) | instid1(VALU_DEP_1)
	v_pk_fma_f32 v[148:149], v[142:143], v[132:133], v[146:147] op_sel:[0,0,1] op_sel_hi:[1,1,0] neg_lo:[0,0,1] neg_hi:[0,0,1]
	v_pk_fma_f32 v[142:143], v[142:143], v[132:133], v[146:147] op_sel:[0,0,1] op_sel_hi:[1,0,0]
	v_mov_b32_e32 v149, v143
	v_pk_mul_f32 v[142:143], v[144:145], v[134:135] op_sel:[0,1]
	s_delay_alu instid0(VALU_DEP_1) | instskip(SKIP_1) | instid1(VALU_DEP_1)
	v_pk_fma_f32 v[146:147], v[144:145], v[132:133], v[142:143] op_sel:[0,0,1] op_sel_hi:[1,1,0] neg_lo:[0,0,1] neg_hi:[0,0,1]
	v_pk_fma_f32 v[142:143], v[144:145], v[132:133], v[142:143] op_sel:[0,0,1] op_sel_hi:[1,0,0]
	v_mov_b32_e32 v147, v143
	ds_load_2addr_b64 v[142:145], v136 offset0:56 offset1:57
	v_pk_add_f32 v[10:11], v[10:11], v[148:149] neg_lo:[0,1] neg_hi:[0,1]
	v_pk_add_f32 v[8:9], v[8:9], v[146:147] neg_lo:[0,1] neg_hi:[0,1]
	s_wait_dscnt 0x0
	v_dual_mul_f32 v146, v143, v135 :: v_dual_mul_f32 v148, v143, v132
	s_delay_alu instid0(VALU_DEP_1) | instskip(NEXT) | instid1(VALU_DEP_2)
	v_pk_fma_f32 v[146:147], v[142:143], v[106:107], v[146:147] op_sel_hi:[1,1,0] neg_lo:[0,0,1] neg_hi:[0,0,1]
	v_pk_fma_f32 v[142:143], v[142:143], v[106:107], v[148:149] op_sel:[1,0,0] op_sel_hi:[0,1,0]
	s_delay_alu instid0(VALU_DEP_1) | instskip(SKIP_1) | instid1(VALU_DEP_2)
	v_mov_b32_e32 v147, v143
	v_pk_mul_f32 v[142:143], v[144:145], v[134:135] op_sel:[0,1]
	v_pk_add_f32 v[34:35], v[34:35], v[146:147] neg_lo:[0,1] neg_hi:[0,1]
	s_delay_alu instid0(VALU_DEP_2) | instskip(SKIP_1) | instid1(VALU_DEP_1)
	v_pk_fma_f32 v[146:147], v[144:145], v[132:133], v[142:143] op_sel:[0,0,1] op_sel_hi:[1,1,0] neg_lo:[0,0,1] neg_hi:[0,0,1]
	v_pk_fma_f32 v[142:143], v[144:145], v[132:133], v[142:143] op_sel:[0,0,1] op_sel_hi:[1,0,0]
	v_mov_b32_e32 v147, v143
	ds_load_2addr_b64 v[142:145], v136 offset0:58 offset1:59
	v_pk_add_f32 v[30:31], v[30:31], v[146:147] neg_lo:[0,1] neg_hi:[0,1]
	s_wait_dscnt 0x0
	v_pk_mul_f32 v[146:147], v[142:143], v[134:135] op_sel:[0,1]
	s_delay_alu instid0(VALU_DEP_1) | instskip(SKIP_1) | instid1(VALU_DEP_1)
	v_pk_fma_f32 v[148:149], v[142:143], v[132:133], v[146:147] op_sel:[0,0,1] op_sel_hi:[1,1,0] neg_lo:[0,0,1] neg_hi:[0,0,1]
	v_pk_fma_f32 v[142:143], v[142:143], v[132:133], v[146:147] op_sel:[0,0,1] op_sel_hi:[1,0,0]
	v_mov_b32_e32 v149, v143
	v_pk_mul_f32 v[142:143], v[144:145], v[134:135] op_sel:[0,1]
	s_delay_alu instid0(VALU_DEP_2) | instskip(NEXT) | instid1(VALU_DEP_2)
	v_pk_add_f32 v[6:7], v[6:7], v[148:149] neg_lo:[0,1] neg_hi:[0,1]
	v_pk_fma_f32 v[146:147], v[144:145], v[132:133], v[142:143] op_sel:[0,0,1] op_sel_hi:[1,1,0] neg_lo:[0,0,1] neg_hi:[0,0,1]
	v_pk_fma_f32 v[142:143], v[144:145], v[132:133], v[142:143] op_sel:[0,0,1] op_sel_hi:[1,0,0]
	s_delay_alu instid0(VALU_DEP_1) | instskip(SKIP_4) | instid1(VALU_DEP_1)
	v_mov_b32_e32 v147, v143
	ds_load_2addr_b64 v[142:145], v136 offset0:60 offset1:61
	v_pk_add_f32 v[26:27], v[26:27], v[146:147] neg_lo:[0,1] neg_hi:[0,1]
	s_wait_dscnt 0x0
	v_pk_mul_f32 v[146:147], v[142:143], v[134:135] op_sel:[0,1]
	v_pk_fma_f32 v[148:149], v[142:143], v[132:133], v[146:147] op_sel:[0,0,1] op_sel_hi:[1,1,0] neg_lo:[0,0,1] neg_hi:[0,0,1]
	v_pk_fma_f32 v[142:143], v[142:143], v[132:133], v[146:147] op_sel:[0,0,1] op_sel_hi:[1,0,0]
	v_dual_mul_f32 v146, v145, v135 :: v_dual_mov_b32 v142, v145
	s_delay_alu instid0(VALU_DEP_2) | instskip(NEXT) | instid1(VALU_DEP_2)
	v_dual_mov_b32 v149, v143 :: v_dual_mov_b32 v143, v144
	v_pk_fma_f32 v[146:147], v[144:145], v[106:107], v[146:147] op_sel_hi:[1,1,0] neg_lo:[0,0,1] neg_hi:[0,0,1]
	v_mul_f32_e32 v144, v145, v132
	s_delay_alu instid0(VALU_DEP_3) | instskip(NEXT) | instid1(VALU_DEP_2)
	v_pk_add_f32 v[14:15], v[14:15], v[148:149] neg_lo:[0,1] neg_hi:[0,1]
	v_pk_fma_f32 v[142:143], v[142:143], v[106:107], v[144:145] op_sel_hi:[1,1,0]
	s_delay_alu instid0(VALU_DEP_1) | instskip(SKIP_4) | instid1(VALU_DEP_1)
	v_mov_b32_e32 v147, v143
	ds_load_b64 v[142:143], v136 offset:496
	v_pk_add_f32 v[12:13], v[12:13], v[146:147] neg_lo:[0,1] neg_hi:[0,1]
	s_wait_dscnt 0x0
	v_pk_mul_f32 v[134:135], v[142:143], v[134:135] op_sel:[0,1]
	v_pk_fma_f32 v[144:145], v[142:143], v[132:133], v[134:135] op_sel:[0,0,1] op_sel_hi:[1,1,0] neg_lo:[0,0,1] neg_hi:[0,0,1]
	v_pk_fma_f32 v[132:133], v[142:143], v[132:133], v[134:135] op_sel:[0,0,1] op_sel_hi:[1,0,0]
	s_delay_alu instid0(VALU_DEP_1) | instskip(NEXT) | instid1(VALU_DEP_1)
	v_mov_b32_e32 v145, v133
	v_pk_add_f32 v[130:131], v[130:131], v[144:145] neg_lo:[0,1] neg_hi:[0,1]
.LBB124_377:
	s_or_b32 exec_lo, exec_lo, s0
	v_lshl_add_u32 v132, v140, 3, v136
	s_barrier_signal -1
	s_barrier_wait -1
	ds_store_b64 v132, v[56:57]
	s_wait_dscnt 0x0
	s_barrier_signal -1
	s_barrier_wait -1
	ds_load_b64 v[134:135], v136 offset:144
	v_mov_b32_e32 v132, 18
	s_cmp_lt_i32 s18, 20
	s_cbranch_scc1 .LBB124_380
; %bb.378:
	v_add3_u32 v133, v137, 0, 0x98
	v_mov_b32_e32 v132, 18
	s_mov_b32 s0, 19
.LBB124_379:                            ; =>This Inner Loop Header: Depth=1
	ds_load_b64 v[142:143], v133
	s_wait_dscnt 0x1
	v_cmp_gt_f32_e32 vcc_lo, 0, v134
	v_cndmask_b32_e64 v144, v134, -v134, vcc_lo
	v_cmp_gt_f32_e32 vcc_lo, 0, v135
	v_cndmask_b32_e64 v146, v135, -v135, vcc_lo
	s_wait_dscnt 0x0
	v_cmp_gt_f32_e32 vcc_lo, 0, v142
	v_cndmask_b32_e64 v145, v142, -v142, vcc_lo
	v_cmp_gt_f32_e32 vcc_lo, 0, v143
	v_cndmask_b32_e64 v147, v143, -v143, vcc_lo
	s_delay_alu instid0(VALU_DEP_1) | instskip(NEXT) | instid1(VALU_DEP_1)
	v_pk_add_f32 v[144:145], v[144:145], v[146:147]
	v_cmp_lt_f32_e32 vcc_lo, v144, v145
	v_dual_add_nc_u32 v133, 8, v133 :: v_dual_cndmask_b32 v135, v135, v143, vcc_lo
	v_cndmask_b32_e32 v134, v134, v142, vcc_lo
	v_cndmask_b32_e64 v132, v132, s0, vcc_lo
	s_add_co_i32 s0, s0, 1
	s_delay_alu instid0(SALU_CYCLE_1)
	s_cmp_lg_u32 s18, s0
	s_cbranch_scc1 .LBB124_379
.LBB124_380:
	s_wait_dscnt 0x0
	v_cmp_eq_f32_e32 vcc_lo, 0, v134
	v_cmp_eq_f32_e64 s0, 0, v135
	s_and_b32 s0, vcc_lo, s0
	s_delay_alu instid0(SALU_CYCLE_1) | instskip(NEXT) | instid1(SALU_CYCLE_1)
	s_and_saveexec_b32 s1, s0
	s_xor_b32 s0, exec_lo, s1
; %bb.381:
	v_cmp_ne_u32_e32 vcc_lo, 0, v138
	v_cndmask_b32_e32 v138, 19, v138, vcc_lo
; %bb.382:
	s_and_not1_saveexec_b32 s0, s0
	s_cbranch_execz .LBB124_388
; %bb.383:
	v_cmp_ngt_f32_e64 s1, |v134|, |v135|
	s_and_saveexec_b32 s12, s1
	s_delay_alu instid0(SALU_CYCLE_1)
	s_xor_b32 s1, exec_lo, s12
	s_cbranch_execz .LBB124_385
; %bb.384:
	v_div_scale_f32 v133, null, v135, v135, v134
	v_div_scale_f32 v143, vcc_lo, v134, v135, v134
	s_delay_alu instid0(VALU_DEP_2) | instskip(SKIP_1) | instid1(TRANS32_DEP_1)
	v_rcp_f32_e32 v141, v133
	v_nop
	v_fma_f32 v142, -v133, v141, 1.0
	s_delay_alu instid0(VALU_DEP_1) | instskip(NEXT) | instid1(VALU_DEP_1)
	v_fmac_f32_e32 v141, v142, v141
	v_mul_f32_e32 v142, v143, v141
	s_delay_alu instid0(VALU_DEP_1) | instskip(NEXT) | instid1(VALU_DEP_1)
	v_fma_f32 v144, -v133, v142, v143
	v_fmac_f32_e32 v142, v144, v141
	s_delay_alu instid0(VALU_DEP_1) | instskip(NEXT) | instid1(VALU_DEP_1)
	v_fma_f32 v133, -v133, v142, v143
	v_div_fmas_f32 v133, v133, v141, v142
	s_delay_alu instid0(VALU_DEP_1) | instskip(NEXT) | instid1(VALU_DEP_1)
	v_div_fixup_f32 v133, v133, v135, v134
	v_fmac_f32_e32 v135, v134, v133
	s_delay_alu instid0(VALU_DEP_1) | instskip(SKIP_1) | instid1(VALU_DEP_2)
	v_div_scale_f32 v134, null, v135, v135, 1.0
	v_div_scale_f32 v143, vcc_lo, 1.0, v135, 1.0
	v_rcp_f32_e32 v141, v134
	v_nop
	s_delay_alu instid0(TRANS32_DEP_1) | instskip(NEXT) | instid1(VALU_DEP_1)
	v_fma_f32 v142, -v134, v141, 1.0
	v_fmac_f32_e32 v141, v142, v141
	s_delay_alu instid0(VALU_DEP_1) | instskip(NEXT) | instid1(VALU_DEP_1)
	v_mul_f32_e32 v142, v143, v141
	v_fma_f32 v144, -v134, v142, v143
	s_delay_alu instid0(VALU_DEP_1) | instskip(NEXT) | instid1(VALU_DEP_1)
	v_fmac_f32_e32 v142, v144, v141
	v_fma_f32 v134, -v134, v142, v143
	s_delay_alu instid0(VALU_DEP_1) | instskip(NEXT) | instid1(VALU_DEP_1)
	v_div_fmas_f32 v134, v134, v141, v142
	v_div_fixup_f32 v135, v134, v135, 1.0
	s_delay_alu instid0(VALU_DEP_1)
	v_mul_f32_e32 v134, v133, v135
	v_xor_b32_e32 v135, 0x80000000, v135
.LBB124_385:
	s_and_not1_saveexec_b32 s1, s1
	s_cbranch_execz .LBB124_387
; %bb.386:
	s_delay_alu instid0(VALU_DEP_1) | instskip(SKIP_1) | instid1(VALU_DEP_2)
	v_div_scale_f32 v133, null, v134, v134, v135
	v_div_scale_f32 v143, vcc_lo, v135, v134, v135
	v_rcp_f32_e32 v141, v133
	v_nop
	s_delay_alu instid0(TRANS32_DEP_1) | instskip(NEXT) | instid1(VALU_DEP_1)
	v_fma_f32 v142, -v133, v141, 1.0
	v_fmac_f32_e32 v141, v142, v141
	s_delay_alu instid0(VALU_DEP_1) | instskip(NEXT) | instid1(VALU_DEP_1)
	v_mul_f32_e32 v142, v143, v141
	v_fma_f32 v144, -v133, v142, v143
	s_delay_alu instid0(VALU_DEP_1) | instskip(NEXT) | instid1(VALU_DEP_1)
	v_fmac_f32_e32 v142, v144, v141
	v_fma_f32 v133, -v133, v142, v143
	s_delay_alu instid0(VALU_DEP_1) | instskip(NEXT) | instid1(VALU_DEP_1)
	v_div_fmas_f32 v133, v133, v141, v142
	v_div_fixup_f32 v133, v133, v134, v135
	s_delay_alu instid0(VALU_DEP_1) | instskip(NEXT) | instid1(VALU_DEP_1)
	v_fmac_f32_e32 v134, v135, v133
	v_div_scale_f32 v135, null, v134, v134, 1.0
	s_delay_alu instid0(VALU_DEP_1) | instskip(SKIP_1) | instid1(TRANS32_DEP_1)
	v_rcp_f32_e32 v141, v135
	v_nop
	v_fma_f32 v142, -v135, v141, 1.0
	s_delay_alu instid0(VALU_DEP_1) | instskip(SKIP_1) | instid1(VALU_DEP_1)
	v_fmac_f32_e32 v141, v142, v141
	v_div_scale_f32 v142, vcc_lo, 1.0, v134, 1.0
	v_mul_f32_e32 v143, v142, v141
	s_delay_alu instid0(VALU_DEP_1) | instskip(NEXT) | instid1(VALU_DEP_1)
	v_fma_f32 v144, -v135, v143, v142
	v_fmac_f32_e32 v143, v144, v141
	s_delay_alu instid0(VALU_DEP_1) | instskip(NEXT) | instid1(VALU_DEP_1)
	v_fma_f32 v135, -v135, v143, v142
	v_div_fmas_f32 v135, v135, v141, v143
	s_delay_alu instid0(VALU_DEP_1) | instskip(NEXT) | instid1(VALU_DEP_1)
	v_div_fixup_f32 v134, v135, v134, 1.0
	v_mul_f32_e64 v135, v133, -v134
.LBB124_387:
	s_or_b32 exec_lo, exec_lo, s1
.LBB124_388:
	s_delay_alu instid0(SALU_CYCLE_1) | instskip(NEXT) | instid1(SALU_CYCLE_1)
	s_or_b32 exec_lo, exec_lo, s0
	s_mov_b32 s0, exec_lo
	v_cmpx_ne_u32_e64 v140, v132
	s_xor_b32 s0, exec_lo, s0
	s_cbranch_execz .LBB124_394
; %bb.389:
	s_mov_b32 s1, exec_lo
	v_cmpx_eq_u32_e32 18, v140
	s_cbranch_execz .LBB124_393
; %bb.390:
	v_cmp_ne_u32_e32 vcc_lo, 18, v132
	s_xor_b32 s12, s16, -1
	s_delay_alu instid0(SALU_CYCLE_1) | instskip(NEXT) | instid1(SALU_CYCLE_1)
	s_and_b32 s13, s12, vcc_lo
	s_and_saveexec_b32 s12, s13
	s_cbranch_execz .LBB124_392
; %bb.391:
	v_ashrrev_i32_e32 v133, 31, v132
	s_delay_alu instid0(VALU_DEP_1)
	v_lshl_add_u64 v[140:141], v[132:133], 2, v[4:5]
	s_clause 0x1
	global_load_b32 v133, v[140:141], off
	global_load_b32 v139, v[4:5], off offset:72
	s_wait_loadcnt 0x1
	global_store_b32 v[4:5], v133, off offset:72
	s_wait_loadcnt 0x0
	global_store_b32 v[140:141], v139, off
.LBB124_392:
	s_wait_xcnt 0x0
	s_or_b32 exec_lo, exec_lo, s12
	v_dual_mov_b32 v140, v132 :: v_dual_mov_b32 v139, v132
.LBB124_393:
	s_or_b32 exec_lo, exec_lo, s1
.LBB124_394:
	s_and_not1_saveexec_b32 s0, s0
	s_cbranch_execz .LBB124_396
; %bb.395:
	v_mov_b32_e32 v140, 18
	ds_store_2addr_b64 v136, v[54:55], v[104:105] offset0:19 offset1:20
	ds_store_2addr_b64 v136, v[102:103], v[52:53] offset0:21 offset1:22
	;; [unrolled: 1-line block ×22, first 2 shown]
.LBB124_396:
	s_or_b32 exec_lo, exec_lo, s0
	s_delay_alu instid0(SALU_CYCLE_1)
	s_mov_b32 s0, exec_lo
	s_wait_storecnt_dscnt 0x0
	s_barrier_signal -1
	s_barrier_wait -1
	v_cmpx_lt_i32_e32 18, v140
	s_cbranch_execz .LBB124_398
; %bb.397:
	v_pk_mul_f32 v[142:143], v[134:135], v[56:57] op_sel:[1,1] op_sel_hi:[0,1]
	s_delay_alu instid0(VALU_DEP_1)
	v_pk_fma_f32 v[132:133], v[134:135], v[56:57], v[142:143] op_sel_hi:[1,0,1] neg_lo:[0,0,1] neg_hi:[0,0,1]
	v_pk_fma_f32 v[134:135], v[134:135], v[56:57], v[142:143] op_sel_hi:[1,0,1]
	ds_load_2addr_b64 v[142:145], v136 offset0:19 offset1:20
	v_dual_mov_b32 v56, v132 :: v_dual_mov_b32 v57, v135
	s_wait_dscnt 0x0
	v_pk_mul_f32 v[146:147], v[142:143], v[134:135] op_sel:[0,1]
	s_delay_alu instid0(VALU_DEP_1) | instskip(SKIP_1) | instid1(VALU_DEP_1)
	v_pk_fma_f32 v[148:149], v[142:143], v[132:133], v[146:147] op_sel:[0,0,1] op_sel_hi:[1,1,0] neg_lo:[0,0,1] neg_hi:[0,0,1]
	v_pk_fma_f32 v[142:143], v[142:143], v[132:133], v[146:147] op_sel:[0,0,1] op_sel_hi:[1,0,0]
	v_mov_b32_e32 v149, v143
	v_pk_mul_f32 v[142:143], v[144:145], v[134:135] op_sel:[0,1]
	s_delay_alu instid0(VALU_DEP_1) | instskip(SKIP_1) | instid1(VALU_DEP_1)
	v_pk_fma_f32 v[146:147], v[144:145], v[132:133], v[142:143] op_sel:[0,0,1] op_sel_hi:[1,1,0] neg_lo:[0,0,1] neg_hi:[0,0,1]
	v_pk_fma_f32 v[142:143], v[144:145], v[132:133], v[142:143] op_sel:[0,0,1] op_sel_hi:[1,0,0]
	v_mov_b32_e32 v147, v143
	ds_load_2addr_b64 v[142:145], v136 offset0:21 offset1:22
	v_pk_add_f32 v[54:55], v[54:55], v[148:149] neg_lo:[0,1] neg_hi:[0,1]
	v_pk_add_f32 v[104:105], v[104:105], v[146:147] neg_lo:[0,1] neg_hi:[0,1]
	s_wait_dscnt 0x0
	v_pk_mul_f32 v[146:147], v[142:143], v[134:135] op_sel:[0,1]
	s_delay_alu instid0(VALU_DEP_1) | instskip(SKIP_2) | instid1(VALU_DEP_2)
	v_pk_fma_f32 v[148:149], v[142:143], v[132:133], v[146:147] op_sel:[0,0,1] op_sel_hi:[1,1,0] neg_lo:[0,0,1] neg_hi:[0,0,1]
	v_pk_fma_f32 v[142:143], v[142:143], v[132:133], v[146:147] op_sel:[0,0,1] op_sel_hi:[1,0,0]
	v_dual_mul_f32 v146, v145, v135 :: v_dual_mov_b32 v142, v145
	v_dual_mov_b32 v149, v143 :: v_dual_mov_b32 v143, v144
	s_delay_alu instid0(VALU_DEP_2) | instskip(SKIP_1) | instid1(VALU_DEP_3)
	v_pk_fma_f32 v[146:147], v[144:145], v[56:57], v[146:147] op_sel_hi:[1,1,0] neg_lo:[0,0,1] neg_hi:[0,0,1]
	v_mul_f32_e32 v144, v145, v132
	v_pk_add_f32 v[102:103], v[102:103], v[148:149] neg_lo:[0,1] neg_hi:[0,1]
	s_delay_alu instid0(VALU_DEP_2) | instskip(NEXT) | instid1(VALU_DEP_1)
	v_pk_fma_f32 v[142:143], v[142:143], v[56:57], v[144:145] op_sel_hi:[1,1,0]
	v_mov_b32_e32 v147, v143
	ds_load_2addr_b64 v[142:145], v136 offset0:23 offset1:24
	v_pk_add_f32 v[52:53], v[52:53], v[146:147] neg_lo:[0,1] neg_hi:[0,1]
	s_wait_dscnt 0x0
	v_pk_mul_f32 v[146:147], v[142:143], v[134:135] op_sel:[0,1]
	s_delay_alu instid0(VALU_DEP_1) | instskip(SKIP_1) | instid1(VALU_DEP_1)
	v_pk_fma_f32 v[148:149], v[142:143], v[132:133], v[146:147] op_sel:[0,0,1] op_sel_hi:[1,1,0] neg_lo:[0,0,1] neg_hi:[0,0,1]
	v_pk_fma_f32 v[142:143], v[142:143], v[132:133], v[146:147] op_sel:[0,0,1] op_sel_hi:[1,0,0]
	v_mov_b32_e32 v149, v143
	v_pk_mul_f32 v[142:143], v[144:145], v[134:135] op_sel:[0,1]
	s_delay_alu instid0(VALU_DEP_1) | instskip(SKIP_1) | instid1(VALU_DEP_1)
	v_pk_fma_f32 v[146:147], v[144:145], v[132:133], v[142:143] op_sel:[0,0,1] op_sel_hi:[1,1,0] neg_lo:[0,0,1] neg_hi:[0,0,1]
	v_pk_fma_f32 v[142:143], v[144:145], v[132:133], v[142:143] op_sel:[0,0,1] op_sel_hi:[1,0,0]
	v_mov_b32_e32 v147, v143
	ds_load_2addr_b64 v[142:145], v136 offset0:25 offset1:26
	v_pk_add_f32 v[50:51], v[50:51], v[148:149] neg_lo:[0,1] neg_hi:[0,1]
	v_pk_add_f32 v[100:101], v[100:101], v[146:147] neg_lo:[0,1] neg_hi:[0,1]
	s_wait_dscnt 0x0
	v_pk_mul_f32 v[146:147], v[142:143], v[134:135] op_sel:[0,1]
	s_delay_alu instid0(VALU_DEP_1) | instskip(SKIP_1) | instid1(VALU_DEP_1)
	v_pk_fma_f32 v[148:149], v[142:143], v[132:133], v[146:147] op_sel:[0,0,1] op_sel_hi:[1,1,0] neg_lo:[0,0,1] neg_hi:[0,0,1]
	v_pk_fma_f32 v[142:143], v[142:143], v[132:133], v[146:147] op_sel:[0,0,1] op_sel_hi:[1,0,0]
	v_mov_b32_e32 v149, v143
	v_pk_mul_f32 v[142:143], v[144:145], v[134:135] op_sel:[0,1]
	s_delay_alu instid0(VALU_DEP_1) | instskip(SKIP_1) | instid1(VALU_DEP_1)
	v_pk_fma_f32 v[146:147], v[144:145], v[132:133], v[142:143] op_sel:[0,0,1] op_sel_hi:[1,1,0] neg_lo:[0,0,1] neg_hi:[0,0,1]
	v_pk_fma_f32 v[142:143], v[144:145], v[132:133], v[142:143] op_sel:[0,0,1] op_sel_hi:[1,0,0]
	v_mov_b32_e32 v147, v143
	ds_load_2addr_b64 v[142:145], v136 offset0:27 offset1:28
	v_pk_add_f32 v[98:99], v[98:99], v[148:149] neg_lo:[0,1] neg_hi:[0,1]
	v_pk_add_f32 v[48:49], v[48:49], v[146:147] neg_lo:[0,1] neg_hi:[0,1]
	s_wait_dscnt 0x0
	v_dual_mul_f32 v146, v143, v135 :: v_dual_mul_f32 v148, v143, v132
	s_delay_alu instid0(VALU_DEP_1) | instskip(NEXT) | instid1(VALU_DEP_2)
	v_pk_fma_f32 v[146:147], v[142:143], v[56:57], v[146:147] op_sel_hi:[1,1,0] neg_lo:[0,0,1] neg_hi:[0,0,1]
	v_pk_fma_f32 v[142:143], v[142:143], v[56:57], v[148:149] op_sel:[1,0,0] op_sel_hi:[0,1,0]
	s_delay_alu instid0(VALU_DEP_1) | instskip(SKIP_1) | instid1(VALU_DEP_2)
	v_mov_b32_e32 v147, v143
	v_pk_mul_f32 v[142:143], v[144:145], v[134:135] op_sel:[0,1]
	v_pk_add_f32 v[46:47], v[46:47], v[146:147] neg_lo:[0,1] neg_hi:[0,1]
	s_delay_alu instid0(VALU_DEP_2) | instskip(SKIP_1) | instid1(VALU_DEP_1)
	v_pk_fma_f32 v[146:147], v[144:145], v[132:133], v[142:143] op_sel:[0,0,1] op_sel_hi:[1,1,0] neg_lo:[0,0,1] neg_hi:[0,0,1]
	v_pk_fma_f32 v[142:143], v[144:145], v[132:133], v[142:143] op_sel:[0,0,1] op_sel_hi:[1,0,0]
	v_mov_b32_e32 v147, v143
	ds_load_2addr_b64 v[142:145], v136 offset0:29 offset1:30
	v_pk_add_f32 v[96:97], v[96:97], v[146:147] neg_lo:[0,1] neg_hi:[0,1]
	s_wait_dscnt 0x0
	v_pk_mul_f32 v[146:147], v[142:143], v[134:135] op_sel:[0,1]
	s_delay_alu instid0(VALU_DEP_1) | instskip(SKIP_1) | instid1(VALU_DEP_1)
	v_pk_fma_f32 v[148:149], v[142:143], v[132:133], v[146:147] op_sel:[0,0,1] op_sel_hi:[1,1,0] neg_lo:[0,0,1] neg_hi:[0,0,1]
	v_pk_fma_f32 v[142:143], v[142:143], v[132:133], v[146:147] op_sel:[0,0,1] op_sel_hi:[1,0,0]
	v_mov_b32_e32 v149, v143
	v_pk_mul_f32 v[142:143], v[144:145], v[134:135] op_sel:[0,1]
	s_delay_alu instid0(VALU_DEP_2) | instskip(NEXT) | instid1(VALU_DEP_2)
	v_pk_add_f32 v[94:95], v[94:95], v[148:149] neg_lo:[0,1] neg_hi:[0,1]
	v_pk_fma_f32 v[146:147], v[144:145], v[132:133], v[142:143] op_sel:[0,0,1] op_sel_hi:[1,1,0] neg_lo:[0,0,1] neg_hi:[0,0,1]
	v_pk_fma_f32 v[142:143], v[144:145], v[132:133], v[142:143] op_sel:[0,0,1] op_sel_hi:[1,0,0]
	s_delay_alu instid0(VALU_DEP_1) | instskip(SKIP_4) | instid1(VALU_DEP_1)
	v_mov_b32_e32 v147, v143
	ds_load_2addr_b64 v[142:145], v136 offset0:31 offset1:32
	v_pk_add_f32 v[44:45], v[44:45], v[146:147] neg_lo:[0,1] neg_hi:[0,1]
	s_wait_dscnt 0x0
	v_pk_mul_f32 v[146:147], v[142:143], v[134:135] op_sel:[0,1]
	v_pk_fma_f32 v[148:149], v[142:143], v[132:133], v[146:147] op_sel:[0,0,1] op_sel_hi:[1,1,0] neg_lo:[0,0,1] neg_hi:[0,0,1]
	v_pk_fma_f32 v[142:143], v[142:143], v[132:133], v[146:147] op_sel:[0,0,1] op_sel_hi:[1,0,0]
	v_dual_mul_f32 v146, v145, v135 :: v_dual_mov_b32 v142, v145
	s_delay_alu instid0(VALU_DEP_2) | instskip(NEXT) | instid1(VALU_DEP_2)
	v_dual_mov_b32 v149, v143 :: v_dual_mov_b32 v143, v144
	v_pk_fma_f32 v[146:147], v[144:145], v[56:57], v[146:147] op_sel_hi:[1,1,0] neg_lo:[0,0,1] neg_hi:[0,0,1]
	v_mul_f32_e32 v144, v145, v132
	s_delay_alu instid0(VALU_DEP_3) | instskip(NEXT) | instid1(VALU_DEP_2)
	v_pk_add_f32 v[42:43], v[42:43], v[148:149] neg_lo:[0,1] neg_hi:[0,1]
	v_pk_fma_f32 v[142:143], v[142:143], v[56:57], v[144:145] op_sel_hi:[1,1,0]
	s_delay_alu instid0(VALU_DEP_1) | instskip(SKIP_4) | instid1(VALU_DEP_1)
	v_mov_b32_e32 v147, v143
	ds_load_2addr_b64 v[142:145], v136 offset0:33 offset1:34
	v_pk_add_f32 v[92:93], v[92:93], v[146:147] neg_lo:[0,1] neg_hi:[0,1]
	s_wait_dscnt 0x0
	v_pk_mul_f32 v[146:147], v[142:143], v[134:135] op_sel:[0,1]
	v_pk_fma_f32 v[148:149], v[142:143], v[132:133], v[146:147] op_sel:[0,0,1] op_sel_hi:[1,1,0] neg_lo:[0,0,1] neg_hi:[0,0,1]
	v_pk_fma_f32 v[142:143], v[142:143], v[132:133], v[146:147] op_sel:[0,0,1] op_sel_hi:[1,0,0]
	s_delay_alu instid0(VALU_DEP_1) | instskip(SKIP_1) | instid1(VALU_DEP_1)
	v_mov_b32_e32 v149, v143
	v_pk_mul_f32 v[142:143], v[144:145], v[134:135] op_sel:[0,1]
	v_pk_fma_f32 v[146:147], v[144:145], v[132:133], v[142:143] op_sel:[0,0,1] op_sel_hi:[1,1,0] neg_lo:[0,0,1] neg_hi:[0,0,1]
	v_pk_fma_f32 v[142:143], v[144:145], v[132:133], v[142:143] op_sel:[0,0,1] op_sel_hi:[1,0,0]
	s_delay_alu instid0(VALU_DEP_1)
	v_mov_b32_e32 v147, v143
	ds_load_2addr_b64 v[142:145], v136 offset0:35 offset1:36
	v_pk_add_f32 v[90:91], v[90:91], v[148:149] neg_lo:[0,1] neg_hi:[0,1]
	v_pk_add_f32 v[40:41], v[40:41], v[146:147] neg_lo:[0,1] neg_hi:[0,1]
	s_wait_dscnt 0x0
	v_pk_mul_f32 v[146:147], v[142:143], v[134:135] op_sel:[0,1]
	s_delay_alu instid0(VALU_DEP_1) | instskip(SKIP_1) | instid1(VALU_DEP_1)
	v_pk_fma_f32 v[148:149], v[142:143], v[132:133], v[146:147] op_sel:[0,0,1] op_sel_hi:[1,1,0] neg_lo:[0,0,1] neg_hi:[0,0,1]
	v_pk_fma_f32 v[142:143], v[142:143], v[132:133], v[146:147] op_sel:[0,0,1] op_sel_hi:[1,0,0]
	v_mov_b32_e32 v149, v143
	v_pk_mul_f32 v[142:143], v[144:145], v[134:135] op_sel:[0,1]
	s_delay_alu instid0(VALU_DEP_1) | instskip(SKIP_1) | instid1(VALU_DEP_1)
	v_pk_fma_f32 v[146:147], v[144:145], v[132:133], v[142:143] op_sel:[0,0,1] op_sel_hi:[1,1,0] neg_lo:[0,0,1] neg_hi:[0,0,1]
	v_pk_fma_f32 v[142:143], v[144:145], v[132:133], v[142:143] op_sel:[0,0,1] op_sel_hi:[1,0,0]
	v_mov_b32_e32 v147, v143
	ds_load_2addr_b64 v[142:145], v136 offset0:37 offset1:38
	v_pk_add_f32 v[38:39], v[38:39], v[148:149] neg_lo:[0,1] neg_hi:[0,1]
	v_pk_add_f32 v[88:89], v[88:89], v[146:147] neg_lo:[0,1] neg_hi:[0,1]
	s_wait_dscnt 0x0
	v_dual_mul_f32 v146, v143, v135 :: v_dual_mul_f32 v148, v143, v132
	s_delay_alu instid0(VALU_DEP_1) | instskip(NEXT) | instid1(VALU_DEP_2)
	v_pk_fma_f32 v[146:147], v[142:143], v[56:57], v[146:147] op_sel_hi:[1,1,0] neg_lo:[0,0,1] neg_hi:[0,0,1]
	v_pk_fma_f32 v[142:143], v[142:143], v[56:57], v[148:149] op_sel:[1,0,0] op_sel_hi:[0,1,0]
	s_delay_alu instid0(VALU_DEP_1) | instskip(SKIP_1) | instid1(VALU_DEP_2)
	v_mov_b32_e32 v147, v143
	v_pk_mul_f32 v[142:143], v[144:145], v[134:135] op_sel:[0,1]
	v_pk_add_f32 v[86:87], v[86:87], v[146:147] neg_lo:[0,1] neg_hi:[0,1]
	s_delay_alu instid0(VALU_DEP_2) | instskip(SKIP_1) | instid1(VALU_DEP_1)
	v_pk_fma_f32 v[146:147], v[144:145], v[132:133], v[142:143] op_sel:[0,0,1] op_sel_hi:[1,1,0] neg_lo:[0,0,1] neg_hi:[0,0,1]
	v_pk_fma_f32 v[142:143], v[144:145], v[132:133], v[142:143] op_sel:[0,0,1] op_sel_hi:[1,0,0]
	v_mov_b32_e32 v147, v143
	ds_load_2addr_b64 v[142:145], v136 offset0:39 offset1:40
	v_pk_add_f32 v[36:37], v[36:37], v[146:147] neg_lo:[0,1] neg_hi:[0,1]
	s_wait_dscnt 0x0
	v_pk_mul_f32 v[146:147], v[142:143], v[134:135] op_sel:[0,1]
	s_delay_alu instid0(VALU_DEP_1) | instskip(SKIP_1) | instid1(VALU_DEP_1)
	v_pk_fma_f32 v[148:149], v[142:143], v[132:133], v[146:147] op_sel:[0,0,1] op_sel_hi:[1,1,0] neg_lo:[0,0,1] neg_hi:[0,0,1]
	v_pk_fma_f32 v[142:143], v[142:143], v[132:133], v[146:147] op_sel:[0,0,1] op_sel_hi:[1,0,0]
	v_mov_b32_e32 v149, v143
	v_pk_mul_f32 v[142:143], v[144:145], v[134:135] op_sel:[0,1]
	s_delay_alu instid0(VALU_DEP_2) | instskip(NEXT) | instid1(VALU_DEP_2)
	v_pk_add_f32 v[32:33], v[32:33], v[148:149] neg_lo:[0,1] neg_hi:[0,1]
	v_pk_fma_f32 v[146:147], v[144:145], v[132:133], v[142:143] op_sel:[0,0,1] op_sel_hi:[1,1,0] neg_lo:[0,0,1] neg_hi:[0,0,1]
	v_pk_fma_f32 v[142:143], v[144:145], v[132:133], v[142:143] op_sel:[0,0,1] op_sel_hi:[1,0,0]
	s_delay_alu instid0(VALU_DEP_1) | instskip(SKIP_4) | instid1(VALU_DEP_1)
	v_mov_b32_e32 v147, v143
	ds_load_2addr_b64 v[142:145], v136 offset0:41 offset1:42
	v_pk_add_f32 v[84:85], v[84:85], v[146:147] neg_lo:[0,1] neg_hi:[0,1]
	s_wait_dscnt 0x0
	v_pk_mul_f32 v[146:147], v[142:143], v[134:135] op_sel:[0,1]
	v_pk_fma_f32 v[148:149], v[142:143], v[132:133], v[146:147] op_sel:[0,0,1] op_sel_hi:[1,1,0] neg_lo:[0,0,1] neg_hi:[0,0,1]
	v_pk_fma_f32 v[142:143], v[142:143], v[132:133], v[146:147] op_sel:[0,0,1] op_sel_hi:[1,0,0]
	v_dual_mul_f32 v146, v145, v135 :: v_dual_mov_b32 v142, v145
	s_delay_alu instid0(VALU_DEP_2) | instskip(NEXT) | instid1(VALU_DEP_2)
	v_dual_mov_b32 v149, v143 :: v_dual_mov_b32 v143, v144
	v_pk_fma_f32 v[146:147], v[144:145], v[56:57], v[146:147] op_sel_hi:[1,1,0] neg_lo:[0,0,1] neg_hi:[0,0,1]
	v_mul_f32_e32 v144, v145, v132
	s_delay_alu instid0(VALU_DEP_3) | instskip(NEXT) | instid1(VALU_DEP_2)
	v_pk_add_f32 v[82:83], v[82:83], v[148:149] neg_lo:[0,1] neg_hi:[0,1]
	v_pk_fma_f32 v[142:143], v[142:143], v[56:57], v[144:145] op_sel_hi:[1,1,0]
	s_delay_alu instid0(VALU_DEP_1) | instskip(SKIP_4) | instid1(VALU_DEP_1)
	v_mov_b32_e32 v147, v143
	ds_load_2addr_b64 v[142:145], v136 offset0:43 offset1:44
	v_pk_add_f32 v[24:25], v[24:25], v[146:147] neg_lo:[0,1] neg_hi:[0,1]
	s_wait_dscnt 0x0
	v_pk_mul_f32 v[146:147], v[142:143], v[134:135] op_sel:[0,1]
	v_pk_fma_f32 v[148:149], v[142:143], v[132:133], v[146:147] op_sel:[0,0,1] op_sel_hi:[1,1,0] neg_lo:[0,0,1] neg_hi:[0,0,1]
	v_pk_fma_f32 v[142:143], v[142:143], v[132:133], v[146:147] op_sel:[0,0,1] op_sel_hi:[1,0,0]
	s_delay_alu instid0(VALU_DEP_1) | instskip(SKIP_1) | instid1(VALU_DEP_1)
	v_mov_b32_e32 v149, v143
	v_pk_mul_f32 v[142:143], v[144:145], v[134:135] op_sel:[0,1]
	v_pk_fma_f32 v[146:147], v[144:145], v[132:133], v[142:143] op_sel:[0,0,1] op_sel_hi:[1,1,0] neg_lo:[0,0,1] neg_hi:[0,0,1]
	v_pk_fma_f32 v[142:143], v[144:145], v[132:133], v[142:143] op_sel:[0,0,1] op_sel_hi:[1,0,0]
	s_delay_alu instid0(VALU_DEP_1)
	v_mov_b32_e32 v147, v143
	ds_load_2addr_b64 v[142:145], v136 offset0:45 offset1:46
	v_pk_add_f32 v[22:23], v[22:23], v[148:149] neg_lo:[0,1] neg_hi:[0,1]
	v_pk_add_f32 v[80:81], v[80:81], v[146:147] neg_lo:[0,1] neg_hi:[0,1]
	s_wait_dscnt 0x0
	v_pk_mul_f32 v[146:147], v[142:143], v[134:135] op_sel:[0,1]
	s_delay_alu instid0(VALU_DEP_1) | instskip(SKIP_1) | instid1(VALU_DEP_1)
	v_pk_fma_f32 v[148:149], v[142:143], v[132:133], v[146:147] op_sel:[0,0,1] op_sel_hi:[1,1,0] neg_lo:[0,0,1] neg_hi:[0,0,1]
	v_pk_fma_f32 v[142:143], v[142:143], v[132:133], v[146:147] op_sel:[0,0,1] op_sel_hi:[1,0,0]
	v_mov_b32_e32 v149, v143
	v_pk_mul_f32 v[142:143], v[144:145], v[134:135] op_sel:[0,1]
	s_delay_alu instid0(VALU_DEP_1) | instskip(SKIP_1) | instid1(VALU_DEP_1)
	v_pk_fma_f32 v[146:147], v[144:145], v[132:133], v[142:143] op_sel:[0,0,1] op_sel_hi:[1,1,0] neg_lo:[0,0,1] neg_hi:[0,0,1]
	v_pk_fma_f32 v[142:143], v[144:145], v[132:133], v[142:143] op_sel:[0,0,1] op_sel_hi:[1,0,0]
	v_mov_b32_e32 v147, v143
	ds_load_2addr_b64 v[142:145], v136 offset0:47 offset1:48
	v_pk_add_f32 v[78:79], v[78:79], v[148:149] neg_lo:[0,1] neg_hi:[0,1]
	v_pk_add_f32 v[20:21], v[20:21], v[146:147] neg_lo:[0,1] neg_hi:[0,1]
	s_wait_dscnt 0x0
	v_dual_mul_f32 v146, v143, v135 :: v_dual_mul_f32 v148, v143, v132
	s_delay_alu instid0(VALU_DEP_1) | instskip(NEXT) | instid1(VALU_DEP_2)
	v_pk_fma_f32 v[146:147], v[142:143], v[56:57], v[146:147] op_sel_hi:[1,1,0] neg_lo:[0,0,1] neg_hi:[0,0,1]
	v_pk_fma_f32 v[142:143], v[142:143], v[56:57], v[148:149] op_sel:[1,0,0] op_sel_hi:[0,1,0]
	s_delay_alu instid0(VALU_DEP_1) | instskip(SKIP_1) | instid1(VALU_DEP_2)
	v_mov_b32_e32 v147, v143
	v_pk_mul_f32 v[142:143], v[144:145], v[134:135] op_sel:[0,1]
	v_pk_add_f32 v[18:19], v[18:19], v[146:147] neg_lo:[0,1] neg_hi:[0,1]
	s_delay_alu instid0(VALU_DEP_2) | instskip(SKIP_1) | instid1(VALU_DEP_1)
	v_pk_fma_f32 v[146:147], v[144:145], v[132:133], v[142:143] op_sel:[0,0,1] op_sel_hi:[1,1,0] neg_lo:[0,0,1] neg_hi:[0,0,1]
	v_pk_fma_f32 v[142:143], v[144:145], v[132:133], v[142:143] op_sel:[0,0,1] op_sel_hi:[1,0,0]
	v_mov_b32_e32 v147, v143
	ds_load_2addr_b64 v[142:145], v136 offset0:49 offset1:50
	v_pk_add_f32 v[76:77], v[76:77], v[146:147] neg_lo:[0,1] neg_hi:[0,1]
	s_wait_dscnt 0x0
	v_pk_mul_f32 v[146:147], v[142:143], v[134:135] op_sel:[0,1]
	s_delay_alu instid0(VALU_DEP_1) | instskip(SKIP_1) | instid1(VALU_DEP_1)
	v_pk_fma_f32 v[148:149], v[142:143], v[132:133], v[146:147] op_sel:[0,0,1] op_sel_hi:[1,1,0] neg_lo:[0,0,1] neg_hi:[0,0,1]
	v_pk_fma_f32 v[142:143], v[142:143], v[132:133], v[146:147] op_sel:[0,0,1] op_sel_hi:[1,0,0]
	v_mov_b32_e32 v149, v143
	v_pk_mul_f32 v[142:143], v[144:145], v[134:135] op_sel:[0,1]
	s_delay_alu instid0(VALU_DEP_2) | instskip(NEXT) | instid1(VALU_DEP_2)
	v_pk_add_f32 v[74:75], v[74:75], v[148:149] neg_lo:[0,1] neg_hi:[0,1]
	v_pk_fma_f32 v[146:147], v[144:145], v[132:133], v[142:143] op_sel:[0,0,1] op_sel_hi:[1,1,0] neg_lo:[0,0,1] neg_hi:[0,0,1]
	v_pk_fma_f32 v[142:143], v[144:145], v[132:133], v[142:143] op_sel:[0,0,1] op_sel_hi:[1,0,0]
	s_delay_alu instid0(VALU_DEP_1) | instskip(SKIP_4) | instid1(VALU_DEP_1)
	v_mov_b32_e32 v147, v143
	ds_load_2addr_b64 v[142:145], v136 offset0:51 offset1:52
	v_pk_add_f32 v[16:17], v[16:17], v[146:147] neg_lo:[0,1] neg_hi:[0,1]
	s_wait_dscnt 0x0
	v_pk_mul_f32 v[146:147], v[142:143], v[134:135] op_sel:[0,1]
	v_pk_fma_f32 v[148:149], v[142:143], v[132:133], v[146:147] op_sel:[0,0,1] op_sel_hi:[1,1,0] neg_lo:[0,0,1] neg_hi:[0,0,1]
	v_pk_fma_f32 v[142:143], v[142:143], v[132:133], v[146:147] op_sel:[0,0,1] op_sel_hi:[1,0,0]
	v_dual_mul_f32 v146, v145, v135 :: v_dual_mov_b32 v142, v145
	s_delay_alu instid0(VALU_DEP_2) | instskip(NEXT) | instid1(VALU_DEP_2)
	v_dual_mov_b32 v149, v143 :: v_dual_mov_b32 v143, v144
	v_pk_fma_f32 v[146:147], v[144:145], v[56:57], v[146:147] op_sel_hi:[1,1,0] neg_lo:[0,0,1] neg_hi:[0,0,1]
	v_mul_f32_e32 v144, v145, v132
	s_delay_alu instid0(VALU_DEP_3) | instskip(NEXT) | instid1(VALU_DEP_2)
	v_pk_add_f32 v[28:29], v[28:29], v[148:149] neg_lo:[0,1] neg_hi:[0,1]
	v_pk_fma_f32 v[142:143], v[142:143], v[56:57], v[144:145] op_sel_hi:[1,1,0]
	s_delay_alu instid0(VALU_DEP_1) | instskip(SKIP_4) | instid1(VALU_DEP_1)
	v_mov_b32_e32 v147, v143
	ds_load_2addr_b64 v[142:145], v136 offset0:53 offset1:54
	v_pk_add_f32 v[68:69], v[68:69], v[146:147] neg_lo:[0,1] neg_hi:[0,1]
	s_wait_dscnt 0x0
	v_pk_mul_f32 v[146:147], v[142:143], v[134:135] op_sel:[0,1]
	v_pk_fma_f32 v[148:149], v[142:143], v[132:133], v[146:147] op_sel:[0,0,1] op_sel_hi:[1,1,0] neg_lo:[0,0,1] neg_hi:[0,0,1]
	v_pk_fma_f32 v[142:143], v[142:143], v[132:133], v[146:147] op_sel:[0,0,1] op_sel_hi:[1,0,0]
	s_delay_alu instid0(VALU_DEP_1) | instskip(SKIP_1) | instid1(VALU_DEP_1)
	v_mov_b32_e32 v149, v143
	v_pk_mul_f32 v[142:143], v[144:145], v[134:135] op_sel:[0,1]
	v_pk_fma_f32 v[146:147], v[144:145], v[132:133], v[142:143] op_sel:[0,0,1] op_sel_hi:[1,1,0] neg_lo:[0,0,1] neg_hi:[0,0,1]
	v_pk_fma_f32 v[142:143], v[144:145], v[132:133], v[142:143] op_sel:[0,0,1] op_sel_hi:[1,0,0]
	s_delay_alu instid0(VALU_DEP_1)
	v_mov_b32_e32 v147, v143
	ds_load_2addr_b64 v[142:145], v136 offset0:55 offset1:56
	v_pk_add_f32 v[66:67], v[66:67], v[148:149] neg_lo:[0,1] neg_hi:[0,1]
	v_pk_add_f32 v[10:11], v[10:11], v[146:147] neg_lo:[0,1] neg_hi:[0,1]
	s_wait_dscnt 0x0
	v_pk_mul_f32 v[146:147], v[142:143], v[134:135] op_sel:[0,1]
	s_delay_alu instid0(VALU_DEP_1) | instskip(SKIP_1) | instid1(VALU_DEP_1)
	v_pk_fma_f32 v[148:149], v[142:143], v[132:133], v[146:147] op_sel:[0,0,1] op_sel_hi:[1,1,0] neg_lo:[0,0,1] neg_hi:[0,0,1]
	v_pk_fma_f32 v[142:143], v[142:143], v[132:133], v[146:147] op_sel:[0,0,1] op_sel_hi:[1,0,0]
	v_mov_b32_e32 v149, v143
	v_pk_mul_f32 v[142:143], v[144:145], v[134:135] op_sel:[0,1]
	s_delay_alu instid0(VALU_DEP_1) | instskip(SKIP_1) | instid1(VALU_DEP_1)
	v_pk_fma_f32 v[146:147], v[144:145], v[132:133], v[142:143] op_sel:[0,0,1] op_sel_hi:[1,1,0] neg_lo:[0,0,1] neg_hi:[0,0,1]
	v_pk_fma_f32 v[142:143], v[144:145], v[132:133], v[142:143] op_sel:[0,0,1] op_sel_hi:[1,0,0]
	v_mov_b32_e32 v147, v143
	ds_load_2addr_b64 v[142:145], v136 offset0:57 offset1:58
	v_pk_add_f32 v[8:9], v[8:9], v[148:149] neg_lo:[0,1] neg_hi:[0,1]
	v_pk_add_f32 v[34:35], v[34:35], v[146:147] neg_lo:[0,1] neg_hi:[0,1]
	s_wait_dscnt 0x0
	v_dual_mul_f32 v146, v143, v135 :: v_dual_mul_f32 v148, v143, v132
	s_delay_alu instid0(VALU_DEP_1) | instskip(NEXT) | instid1(VALU_DEP_2)
	v_pk_fma_f32 v[146:147], v[142:143], v[56:57], v[146:147] op_sel_hi:[1,1,0] neg_lo:[0,0,1] neg_hi:[0,0,1]
	v_pk_fma_f32 v[142:143], v[142:143], v[56:57], v[148:149] op_sel:[1,0,0] op_sel_hi:[0,1,0]
	s_delay_alu instid0(VALU_DEP_1) | instskip(SKIP_1) | instid1(VALU_DEP_2)
	v_mov_b32_e32 v147, v143
	v_pk_mul_f32 v[142:143], v[144:145], v[134:135] op_sel:[0,1]
	v_pk_add_f32 v[30:31], v[30:31], v[146:147] neg_lo:[0,1] neg_hi:[0,1]
	s_delay_alu instid0(VALU_DEP_2) | instskip(SKIP_1) | instid1(VALU_DEP_1)
	v_pk_fma_f32 v[146:147], v[144:145], v[132:133], v[142:143] op_sel:[0,0,1] op_sel_hi:[1,1,0] neg_lo:[0,0,1] neg_hi:[0,0,1]
	v_pk_fma_f32 v[142:143], v[144:145], v[132:133], v[142:143] op_sel:[0,0,1] op_sel_hi:[1,0,0]
	v_mov_b32_e32 v147, v143
	ds_load_2addr_b64 v[142:145], v136 offset0:59 offset1:60
	v_pk_add_f32 v[6:7], v[6:7], v[146:147] neg_lo:[0,1] neg_hi:[0,1]
	s_wait_dscnt 0x0
	v_pk_mul_f32 v[146:147], v[142:143], v[134:135] op_sel:[0,1]
	s_delay_alu instid0(VALU_DEP_1) | instskip(SKIP_1) | instid1(VALU_DEP_1)
	v_pk_fma_f32 v[148:149], v[142:143], v[132:133], v[146:147] op_sel:[0,0,1] op_sel_hi:[1,1,0] neg_lo:[0,0,1] neg_hi:[0,0,1]
	v_pk_fma_f32 v[142:143], v[142:143], v[132:133], v[146:147] op_sel:[0,0,1] op_sel_hi:[1,0,0]
	v_mov_b32_e32 v149, v143
	v_pk_mul_f32 v[142:143], v[144:145], v[134:135] op_sel:[0,1]
	s_delay_alu instid0(VALU_DEP_2) | instskip(NEXT) | instid1(VALU_DEP_2)
	v_pk_add_f32 v[26:27], v[26:27], v[148:149] neg_lo:[0,1] neg_hi:[0,1]
	v_pk_fma_f32 v[146:147], v[144:145], v[132:133], v[142:143] op_sel:[0,0,1] op_sel_hi:[1,1,0] neg_lo:[0,0,1] neg_hi:[0,0,1]
	v_pk_fma_f32 v[142:143], v[144:145], v[132:133], v[142:143] op_sel:[0,0,1] op_sel_hi:[1,0,0]
	s_delay_alu instid0(VALU_DEP_1)
	v_mov_b32_e32 v147, v143
	ds_load_2addr_b64 v[142:145], v136 offset0:61 offset1:62
	v_pk_add_f32 v[14:15], v[14:15], v[146:147] neg_lo:[0,1] neg_hi:[0,1]
	s_wait_dscnt 0x0
	v_pk_mul_f32 v[146:147], v[142:143], v[134:135] op_sel:[0,1]
	v_pk_mul_f32 v[134:135], v[144:145], v[134:135] op_sel:[0,1]
	s_delay_alu instid0(VALU_DEP_2) | instskip(SKIP_1) | instid1(VALU_DEP_1)
	v_pk_fma_f32 v[148:149], v[142:143], v[132:133], v[146:147] op_sel:[0,0,1] op_sel_hi:[1,1,0] neg_lo:[0,0,1] neg_hi:[0,0,1]
	v_pk_fma_f32 v[142:143], v[142:143], v[132:133], v[146:147] op_sel:[0,0,1] op_sel_hi:[1,0,0]
	v_mov_b32_e32 v149, v143
	s_delay_alu instid0(VALU_DEP_4) | instskip(SKIP_1) | instid1(VALU_DEP_3)
	v_pk_fma_f32 v[142:143], v[144:145], v[132:133], v[134:135] op_sel:[0,0,1] op_sel_hi:[1,1,0] neg_lo:[0,0,1] neg_hi:[0,0,1]
	v_pk_fma_f32 v[132:133], v[144:145], v[132:133], v[134:135] op_sel:[0,0,1] op_sel_hi:[1,0,0]
	v_pk_add_f32 v[12:13], v[12:13], v[148:149] neg_lo:[0,1] neg_hi:[0,1]
	s_delay_alu instid0(VALU_DEP_2) | instskip(NEXT) | instid1(VALU_DEP_1)
	v_mov_b32_e32 v143, v133
	v_pk_add_f32 v[130:131], v[130:131], v[142:143] neg_lo:[0,1] neg_hi:[0,1]
.LBB124_398:
	s_or_b32 exec_lo, exec_lo, s0
	v_lshl_add_u32 v132, v140, 3, v136
	s_barrier_signal -1
	s_barrier_wait -1
	ds_store_b64 v132, v[54:55]
	s_wait_dscnt 0x0
	s_barrier_signal -1
	s_barrier_wait -1
	ds_load_b64 v[134:135], v136 offset:152
	v_mov_b32_e32 v132, 19
	s_cmp_lt_i32 s18, 21
	s_cbranch_scc1 .LBB124_401
; %bb.399:
	v_add3_u32 v133, v137, 0, 0xa0
	v_mov_b32_e32 v132, 19
	s_mov_b32 s0, 20
.LBB124_400:                            ; =>This Inner Loop Header: Depth=1
	ds_load_b64 v[142:143], v133
	s_wait_dscnt 0x1
	v_cmp_gt_f32_e32 vcc_lo, 0, v134
	v_cndmask_b32_e64 v144, v134, -v134, vcc_lo
	v_cmp_gt_f32_e32 vcc_lo, 0, v135
	v_cndmask_b32_e64 v146, v135, -v135, vcc_lo
	s_wait_dscnt 0x0
	v_cmp_gt_f32_e32 vcc_lo, 0, v142
	v_cndmask_b32_e64 v145, v142, -v142, vcc_lo
	v_cmp_gt_f32_e32 vcc_lo, 0, v143
	v_cndmask_b32_e64 v147, v143, -v143, vcc_lo
	s_delay_alu instid0(VALU_DEP_1) | instskip(NEXT) | instid1(VALU_DEP_1)
	v_pk_add_f32 v[144:145], v[144:145], v[146:147]
	v_cmp_lt_f32_e32 vcc_lo, v144, v145
	v_dual_add_nc_u32 v133, 8, v133 :: v_dual_cndmask_b32 v135, v135, v143, vcc_lo
	v_cndmask_b32_e32 v134, v134, v142, vcc_lo
	v_cndmask_b32_e64 v132, v132, s0, vcc_lo
	s_add_co_i32 s0, s0, 1
	s_delay_alu instid0(SALU_CYCLE_1)
	s_cmp_lg_u32 s18, s0
	s_cbranch_scc1 .LBB124_400
.LBB124_401:
	s_wait_dscnt 0x0
	v_cmp_eq_f32_e32 vcc_lo, 0, v134
	v_cmp_eq_f32_e64 s0, 0, v135
	s_and_b32 s0, vcc_lo, s0
	s_delay_alu instid0(SALU_CYCLE_1) | instskip(NEXT) | instid1(SALU_CYCLE_1)
	s_and_saveexec_b32 s1, s0
	s_xor_b32 s0, exec_lo, s1
; %bb.402:
	v_cmp_ne_u32_e32 vcc_lo, 0, v138
	v_cndmask_b32_e32 v138, 20, v138, vcc_lo
; %bb.403:
	s_and_not1_saveexec_b32 s0, s0
	s_cbranch_execz .LBB124_409
; %bb.404:
	v_cmp_ngt_f32_e64 s1, |v134|, |v135|
	s_and_saveexec_b32 s12, s1
	s_delay_alu instid0(SALU_CYCLE_1)
	s_xor_b32 s1, exec_lo, s12
	s_cbranch_execz .LBB124_406
; %bb.405:
	v_div_scale_f32 v133, null, v135, v135, v134
	v_div_scale_f32 v143, vcc_lo, v134, v135, v134
	s_delay_alu instid0(VALU_DEP_2) | instskip(SKIP_1) | instid1(TRANS32_DEP_1)
	v_rcp_f32_e32 v141, v133
	v_nop
	v_fma_f32 v142, -v133, v141, 1.0
	s_delay_alu instid0(VALU_DEP_1) | instskip(NEXT) | instid1(VALU_DEP_1)
	v_fmac_f32_e32 v141, v142, v141
	v_mul_f32_e32 v142, v143, v141
	s_delay_alu instid0(VALU_DEP_1) | instskip(NEXT) | instid1(VALU_DEP_1)
	v_fma_f32 v144, -v133, v142, v143
	v_fmac_f32_e32 v142, v144, v141
	s_delay_alu instid0(VALU_DEP_1) | instskip(NEXT) | instid1(VALU_DEP_1)
	v_fma_f32 v133, -v133, v142, v143
	v_div_fmas_f32 v133, v133, v141, v142
	s_delay_alu instid0(VALU_DEP_1) | instskip(NEXT) | instid1(VALU_DEP_1)
	v_div_fixup_f32 v133, v133, v135, v134
	v_fmac_f32_e32 v135, v134, v133
	s_delay_alu instid0(VALU_DEP_1) | instskip(SKIP_1) | instid1(VALU_DEP_2)
	v_div_scale_f32 v134, null, v135, v135, 1.0
	v_div_scale_f32 v143, vcc_lo, 1.0, v135, 1.0
	v_rcp_f32_e32 v141, v134
	v_nop
	s_delay_alu instid0(TRANS32_DEP_1) | instskip(NEXT) | instid1(VALU_DEP_1)
	v_fma_f32 v142, -v134, v141, 1.0
	v_fmac_f32_e32 v141, v142, v141
	s_delay_alu instid0(VALU_DEP_1) | instskip(NEXT) | instid1(VALU_DEP_1)
	v_mul_f32_e32 v142, v143, v141
	v_fma_f32 v144, -v134, v142, v143
	s_delay_alu instid0(VALU_DEP_1) | instskip(NEXT) | instid1(VALU_DEP_1)
	v_fmac_f32_e32 v142, v144, v141
	v_fma_f32 v134, -v134, v142, v143
	s_delay_alu instid0(VALU_DEP_1) | instskip(NEXT) | instid1(VALU_DEP_1)
	v_div_fmas_f32 v134, v134, v141, v142
	v_div_fixup_f32 v135, v134, v135, 1.0
	s_delay_alu instid0(VALU_DEP_1)
	v_mul_f32_e32 v134, v133, v135
	v_xor_b32_e32 v135, 0x80000000, v135
.LBB124_406:
	s_and_not1_saveexec_b32 s1, s1
	s_cbranch_execz .LBB124_408
; %bb.407:
	s_delay_alu instid0(VALU_DEP_1) | instskip(SKIP_1) | instid1(VALU_DEP_2)
	v_div_scale_f32 v133, null, v134, v134, v135
	v_div_scale_f32 v143, vcc_lo, v135, v134, v135
	v_rcp_f32_e32 v141, v133
	v_nop
	s_delay_alu instid0(TRANS32_DEP_1) | instskip(NEXT) | instid1(VALU_DEP_1)
	v_fma_f32 v142, -v133, v141, 1.0
	v_fmac_f32_e32 v141, v142, v141
	s_delay_alu instid0(VALU_DEP_1) | instskip(NEXT) | instid1(VALU_DEP_1)
	v_mul_f32_e32 v142, v143, v141
	v_fma_f32 v144, -v133, v142, v143
	s_delay_alu instid0(VALU_DEP_1) | instskip(NEXT) | instid1(VALU_DEP_1)
	v_fmac_f32_e32 v142, v144, v141
	v_fma_f32 v133, -v133, v142, v143
	s_delay_alu instid0(VALU_DEP_1) | instskip(NEXT) | instid1(VALU_DEP_1)
	v_div_fmas_f32 v133, v133, v141, v142
	v_div_fixup_f32 v133, v133, v134, v135
	s_delay_alu instid0(VALU_DEP_1) | instskip(NEXT) | instid1(VALU_DEP_1)
	v_fmac_f32_e32 v134, v135, v133
	v_div_scale_f32 v135, null, v134, v134, 1.0
	s_delay_alu instid0(VALU_DEP_1) | instskip(SKIP_1) | instid1(TRANS32_DEP_1)
	v_rcp_f32_e32 v141, v135
	v_nop
	v_fma_f32 v142, -v135, v141, 1.0
	s_delay_alu instid0(VALU_DEP_1) | instskip(SKIP_1) | instid1(VALU_DEP_1)
	v_fmac_f32_e32 v141, v142, v141
	v_div_scale_f32 v142, vcc_lo, 1.0, v134, 1.0
	v_mul_f32_e32 v143, v142, v141
	s_delay_alu instid0(VALU_DEP_1) | instskip(NEXT) | instid1(VALU_DEP_1)
	v_fma_f32 v144, -v135, v143, v142
	v_fmac_f32_e32 v143, v144, v141
	s_delay_alu instid0(VALU_DEP_1) | instskip(NEXT) | instid1(VALU_DEP_1)
	v_fma_f32 v135, -v135, v143, v142
	v_div_fmas_f32 v135, v135, v141, v143
	s_delay_alu instid0(VALU_DEP_1) | instskip(NEXT) | instid1(VALU_DEP_1)
	v_div_fixup_f32 v134, v135, v134, 1.0
	v_mul_f32_e64 v135, v133, -v134
.LBB124_408:
	s_or_b32 exec_lo, exec_lo, s1
.LBB124_409:
	s_delay_alu instid0(SALU_CYCLE_1) | instskip(NEXT) | instid1(SALU_CYCLE_1)
	s_or_b32 exec_lo, exec_lo, s0
	s_mov_b32 s0, exec_lo
	v_cmpx_ne_u32_e64 v140, v132
	s_xor_b32 s0, exec_lo, s0
	s_cbranch_execz .LBB124_415
; %bb.410:
	s_mov_b32 s1, exec_lo
	v_cmpx_eq_u32_e32 19, v140
	s_cbranch_execz .LBB124_414
; %bb.411:
	v_cmp_ne_u32_e32 vcc_lo, 19, v132
	s_xor_b32 s12, s16, -1
	s_delay_alu instid0(SALU_CYCLE_1) | instskip(NEXT) | instid1(SALU_CYCLE_1)
	s_and_b32 s13, s12, vcc_lo
	s_and_saveexec_b32 s12, s13
	s_cbranch_execz .LBB124_413
; %bb.412:
	v_ashrrev_i32_e32 v133, 31, v132
	s_delay_alu instid0(VALU_DEP_1)
	v_lshl_add_u64 v[140:141], v[132:133], 2, v[4:5]
	s_clause 0x1
	global_load_b32 v133, v[140:141], off
	global_load_b32 v139, v[4:5], off offset:76
	s_wait_loadcnt 0x1
	global_store_b32 v[4:5], v133, off offset:76
	s_wait_loadcnt 0x0
	global_store_b32 v[140:141], v139, off
.LBB124_413:
	s_wait_xcnt 0x0
	s_or_b32 exec_lo, exec_lo, s12
	v_dual_mov_b32 v140, v132 :: v_dual_mov_b32 v139, v132
.LBB124_414:
	s_or_b32 exec_lo, exec_lo, s1
.LBB124_415:
	s_and_not1_saveexec_b32 s0, s0
	s_cbranch_execz .LBB124_417
; %bb.416:
	v_dual_mov_b32 v132, v104 :: v_dual_mov_b32 v133, v105
	v_dual_mov_b32 v140, v102 :: v_dual_mov_b32 v141, v103
	ds_store_2addr_b64 v136, v[132:133], v[140:141] offset0:20 offset1:21
	v_dual_mov_b32 v132, v52 :: v_dual_mov_b32 v133, v53
	v_dual_mov_b32 v140, v50 :: v_dual_mov_b32 v141, v51
	ds_store_2addr_b64 v136, v[132:133], v[140:141] offset0:22 offset1:23
	;; [unrolled: 3-line block ×21, first 2 shown]
	ds_store_b64 v136, v[130:131] offset:496
	v_mov_b32_e32 v140, 19
.LBB124_417:
	s_or_b32 exec_lo, exec_lo, s0
	s_delay_alu instid0(SALU_CYCLE_1)
	s_mov_b32 s0, exec_lo
	s_wait_storecnt_dscnt 0x0
	s_barrier_signal -1
	s_barrier_wait -1
	v_cmpx_lt_i32_e32 19, v140
	s_cbranch_execz .LBB124_419
; %bb.418:
	v_pk_mul_f32 v[142:143], v[134:135], v[54:55] op_sel:[1,1] op_sel_hi:[0,1]
	s_delay_alu instid0(VALU_DEP_1)
	v_pk_fma_f32 v[132:133], v[134:135], v[54:55], v[142:143] op_sel_hi:[1,0,1] neg_lo:[0,0,1] neg_hi:[0,0,1]
	v_pk_fma_f32 v[134:135], v[134:135], v[54:55], v[142:143] op_sel_hi:[1,0,1]
	ds_load_2addr_b64 v[142:145], v136 offset0:20 offset1:21
	v_dual_mov_b32 v54, v132 :: v_dual_mov_b32 v55, v135
	s_wait_dscnt 0x0
	v_pk_mul_f32 v[146:147], v[142:143], v[134:135] op_sel:[0,1]
	s_delay_alu instid0(VALU_DEP_1) | instskip(SKIP_1) | instid1(VALU_DEP_1)
	v_pk_fma_f32 v[148:149], v[142:143], v[132:133], v[146:147] op_sel:[0,0,1] op_sel_hi:[1,1,0] neg_lo:[0,0,1] neg_hi:[0,0,1]
	v_pk_fma_f32 v[142:143], v[142:143], v[132:133], v[146:147] op_sel:[0,0,1] op_sel_hi:[1,0,0]
	v_mov_b32_e32 v149, v143
	v_pk_mul_f32 v[142:143], v[144:145], v[134:135] op_sel:[0,1]
	s_delay_alu instid0(VALU_DEP_1) | instskip(SKIP_1) | instid1(VALU_DEP_1)
	v_pk_fma_f32 v[146:147], v[144:145], v[132:133], v[142:143] op_sel:[0,0,1] op_sel_hi:[1,1,0] neg_lo:[0,0,1] neg_hi:[0,0,1]
	v_pk_fma_f32 v[142:143], v[144:145], v[132:133], v[142:143] op_sel:[0,0,1] op_sel_hi:[1,0,0]
	v_mov_b32_e32 v147, v143
	ds_load_2addr_b64 v[142:145], v136 offset0:22 offset1:23
	v_pk_add_f32 v[104:105], v[104:105], v[148:149] neg_lo:[0,1] neg_hi:[0,1]
	v_pk_add_f32 v[102:103], v[102:103], v[146:147] neg_lo:[0,1] neg_hi:[0,1]
	s_wait_dscnt 0x0
	v_pk_mul_f32 v[146:147], v[142:143], v[134:135] op_sel:[0,1]
	s_delay_alu instid0(VALU_DEP_1) | instskip(SKIP_2) | instid1(VALU_DEP_2)
	v_pk_fma_f32 v[148:149], v[142:143], v[132:133], v[146:147] op_sel:[0,0,1] op_sel_hi:[1,1,0] neg_lo:[0,0,1] neg_hi:[0,0,1]
	v_pk_fma_f32 v[142:143], v[142:143], v[132:133], v[146:147] op_sel:[0,0,1] op_sel_hi:[1,0,0]
	v_dual_mul_f32 v146, v145, v135 :: v_dual_mov_b32 v142, v145
	v_dual_mov_b32 v149, v143 :: v_dual_mov_b32 v143, v144
	s_delay_alu instid0(VALU_DEP_2) | instskip(SKIP_1) | instid1(VALU_DEP_3)
	v_pk_fma_f32 v[146:147], v[144:145], v[54:55], v[146:147] op_sel_hi:[1,1,0] neg_lo:[0,0,1] neg_hi:[0,0,1]
	v_mul_f32_e32 v144, v145, v132
	v_pk_add_f32 v[52:53], v[52:53], v[148:149] neg_lo:[0,1] neg_hi:[0,1]
	s_delay_alu instid0(VALU_DEP_2) | instskip(NEXT) | instid1(VALU_DEP_1)
	v_pk_fma_f32 v[142:143], v[142:143], v[54:55], v[144:145] op_sel_hi:[1,1,0]
	v_mov_b32_e32 v147, v143
	ds_load_2addr_b64 v[142:145], v136 offset0:24 offset1:25
	v_pk_add_f32 v[50:51], v[50:51], v[146:147] neg_lo:[0,1] neg_hi:[0,1]
	s_wait_dscnt 0x0
	v_pk_mul_f32 v[146:147], v[142:143], v[134:135] op_sel:[0,1]
	s_delay_alu instid0(VALU_DEP_1) | instskip(SKIP_1) | instid1(VALU_DEP_1)
	v_pk_fma_f32 v[148:149], v[142:143], v[132:133], v[146:147] op_sel:[0,0,1] op_sel_hi:[1,1,0] neg_lo:[0,0,1] neg_hi:[0,0,1]
	v_pk_fma_f32 v[142:143], v[142:143], v[132:133], v[146:147] op_sel:[0,0,1] op_sel_hi:[1,0,0]
	v_mov_b32_e32 v149, v143
	v_pk_mul_f32 v[142:143], v[144:145], v[134:135] op_sel:[0,1]
	s_delay_alu instid0(VALU_DEP_1) | instskip(SKIP_1) | instid1(VALU_DEP_1)
	v_pk_fma_f32 v[146:147], v[144:145], v[132:133], v[142:143] op_sel:[0,0,1] op_sel_hi:[1,1,0] neg_lo:[0,0,1] neg_hi:[0,0,1]
	v_pk_fma_f32 v[142:143], v[144:145], v[132:133], v[142:143] op_sel:[0,0,1] op_sel_hi:[1,0,0]
	v_mov_b32_e32 v147, v143
	ds_load_2addr_b64 v[142:145], v136 offset0:26 offset1:27
	v_pk_add_f32 v[100:101], v[100:101], v[148:149] neg_lo:[0,1] neg_hi:[0,1]
	v_pk_add_f32 v[98:99], v[98:99], v[146:147] neg_lo:[0,1] neg_hi:[0,1]
	s_wait_dscnt 0x0
	v_pk_mul_f32 v[146:147], v[142:143], v[134:135] op_sel:[0,1]
	s_delay_alu instid0(VALU_DEP_1) | instskip(SKIP_1) | instid1(VALU_DEP_1)
	v_pk_fma_f32 v[148:149], v[142:143], v[132:133], v[146:147] op_sel:[0,0,1] op_sel_hi:[1,1,0] neg_lo:[0,0,1] neg_hi:[0,0,1]
	v_pk_fma_f32 v[142:143], v[142:143], v[132:133], v[146:147] op_sel:[0,0,1] op_sel_hi:[1,0,0]
	v_mov_b32_e32 v149, v143
	v_pk_mul_f32 v[142:143], v[144:145], v[134:135] op_sel:[0,1]
	s_delay_alu instid0(VALU_DEP_1) | instskip(SKIP_1) | instid1(VALU_DEP_1)
	v_pk_fma_f32 v[146:147], v[144:145], v[132:133], v[142:143] op_sel:[0,0,1] op_sel_hi:[1,1,0] neg_lo:[0,0,1] neg_hi:[0,0,1]
	v_pk_fma_f32 v[142:143], v[144:145], v[132:133], v[142:143] op_sel:[0,0,1] op_sel_hi:[1,0,0]
	v_mov_b32_e32 v147, v143
	ds_load_2addr_b64 v[142:145], v136 offset0:28 offset1:29
	v_pk_add_f32 v[48:49], v[48:49], v[148:149] neg_lo:[0,1] neg_hi:[0,1]
	v_pk_add_f32 v[46:47], v[46:47], v[146:147] neg_lo:[0,1] neg_hi:[0,1]
	s_wait_dscnt 0x0
	v_dual_mul_f32 v146, v143, v135 :: v_dual_mul_f32 v148, v143, v132
	s_delay_alu instid0(VALU_DEP_1) | instskip(NEXT) | instid1(VALU_DEP_2)
	v_pk_fma_f32 v[146:147], v[142:143], v[54:55], v[146:147] op_sel_hi:[1,1,0] neg_lo:[0,0,1] neg_hi:[0,0,1]
	v_pk_fma_f32 v[142:143], v[142:143], v[54:55], v[148:149] op_sel:[1,0,0] op_sel_hi:[0,1,0]
	s_delay_alu instid0(VALU_DEP_1) | instskip(SKIP_1) | instid1(VALU_DEP_2)
	v_mov_b32_e32 v147, v143
	v_pk_mul_f32 v[142:143], v[144:145], v[134:135] op_sel:[0,1]
	v_pk_add_f32 v[96:97], v[96:97], v[146:147] neg_lo:[0,1] neg_hi:[0,1]
	s_delay_alu instid0(VALU_DEP_2) | instskip(SKIP_1) | instid1(VALU_DEP_1)
	v_pk_fma_f32 v[146:147], v[144:145], v[132:133], v[142:143] op_sel:[0,0,1] op_sel_hi:[1,1,0] neg_lo:[0,0,1] neg_hi:[0,0,1]
	v_pk_fma_f32 v[142:143], v[144:145], v[132:133], v[142:143] op_sel:[0,0,1] op_sel_hi:[1,0,0]
	v_mov_b32_e32 v147, v143
	ds_load_2addr_b64 v[142:145], v136 offset0:30 offset1:31
	v_pk_add_f32 v[94:95], v[94:95], v[146:147] neg_lo:[0,1] neg_hi:[0,1]
	s_wait_dscnt 0x0
	v_pk_mul_f32 v[146:147], v[142:143], v[134:135] op_sel:[0,1]
	s_delay_alu instid0(VALU_DEP_1) | instskip(SKIP_1) | instid1(VALU_DEP_1)
	v_pk_fma_f32 v[148:149], v[142:143], v[132:133], v[146:147] op_sel:[0,0,1] op_sel_hi:[1,1,0] neg_lo:[0,0,1] neg_hi:[0,0,1]
	v_pk_fma_f32 v[142:143], v[142:143], v[132:133], v[146:147] op_sel:[0,0,1] op_sel_hi:[1,0,0]
	v_mov_b32_e32 v149, v143
	v_pk_mul_f32 v[142:143], v[144:145], v[134:135] op_sel:[0,1]
	s_delay_alu instid0(VALU_DEP_2) | instskip(NEXT) | instid1(VALU_DEP_2)
	v_pk_add_f32 v[44:45], v[44:45], v[148:149] neg_lo:[0,1] neg_hi:[0,1]
	v_pk_fma_f32 v[146:147], v[144:145], v[132:133], v[142:143] op_sel:[0,0,1] op_sel_hi:[1,1,0] neg_lo:[0,0,1] neg_hi:[0,0,1]
	v_pk_fma_f32 v[142:143], v[144:145], v[132:133], v[142:143] op_sel:[0,0,1] op_sel_hi:[1,0,0]
	s_delay_alu instid0(VALU_DEP_1) | instskip(SKIP_4) | instid1(VALU_DEP_1)
	v_mov_b32_e32 v147, v143
	ds_load_2addr_b64 v[142:145], v136 offset0:32 offset1:33
	v_pk_add_f32 v[42:43], v[42:43], v[146:147] neg_lo:[0,1] neg_hi:[0,1]
	s_wait_dscnt 0x0
	v_pk_mul_f32 v[146:147], v[142:143], v[134:135] op_sel:[0,1]
	v_pk_fma_f32 v[148:149], v[142:143], v[132:133], v[146:147] op_sel:[0,0,1] op_sel_hi:[1,1,0] neg_lo:[0,0,1] neg_hi:[0,0,1]
	v_pk_fma_f32 v[142:143], v[142:143], v[132:133], v[146:147] op_sel:[0,0,1] op_sel_hi:[1,0,0]
	v_dual_mul_f32 v146, v145, v135 :: v_dual_mov_b32 v142, v145
	s_delay_alu instid0(VALU_DEP_2) | instskip(NEXT) | instid1(VALU_DEP_2)
	v_dual_mov_b32 v149, v143 :: v_dual_mov_b32 v143, v144
	v_pk_fma_f32 v[146:147], v[144:145], v[54:55], v[146:147] op_sel_hi:[1,1,0] neg_lo:[0,0,1] neg_hi:[0,0,1]
	v_mul_f32_e32 v144, v145, v132
	s_delay_alu instid0(VALU_DEP_3) | instskip(NEXT) | instid1(VALU_DEP_2)
	v_pk_add_f32 v[92:93], v[92:93], v[148:149] neg_lo:[0,1] neg_hi:[0,1]
	v_pk_fma_f32 v[142:143], v[142:143], v[54:55], v[144:145] op_sel_hi:[1,1,0]
	s_delay_alu instid0(VALU_DEP_1) | instskip(SKIP_4) | instid1(VALU_DEP_1)
	v_mov_b32_e32 v147, v143
	ds_load_2addr_b64 v[142:145], v136 offset0:34 offset1:35
	v_pk_add_f32 v[90:91], v[90:91], v[146:147] neg_lo:[0,1] neg_hi:[0,1]
	s_wait_dscnt 0x0
	v_pk_mul_f32 v[146:147], v[142:143], v[134:135] op_sel:[0,1]
	v_pk_fma_f32 v[148:149], v[142:143], v[132:133], v[146:147] op_sel:[0,0,1] op_sel_hi:[1,1,0] neg_lo:[0,0,1] neg_hi:[0,0,1]
	v_pk_fma_f32 v[142:143], v[142:143], v[132:133], v[146:147] op_sel:[0,0,1] op_sel_hi:[1,0,0]
	s_delay_alu instid0(VALU_DEP_1) | instskip(SKIP_1) | instid1(VALU_DEP_1)
	v_mov_b32_e32 v149, v143
	v_pk_mul_f32 v[142:143], v[144:145], v[134:135] op_sel:[0,1]
	v_pk_fma_f32 v[146:147], v[144:145], v[132:133], v[142:143] op_sel:[0,0,1] op_sel_hi:[1,1,0] neg_lo:[0,0,1] neg_hi:[0,0,1]
	v_pk_fma_f32 v[142:143], v[144:145], v[132:133], v[142:143] op_sel:[0,0,1] op_sel_hi:[1,0,0]
	s_delay_alu instid0(VALU_DEP_1)
	v_mov_b32_e32 v147, v143
	ds_load_2addr_b64 v[142:145], v136 offset0:36 offset1:37
	v_pk_add_f32 v[40:41], v[40:41], v[148:149] neg_lo:[0,1] neg_hi:[0,1]
	v_pk_add_f32 v[38:39], v[38:39], v[146:147] neg_lo:[0,1] neg_hi:[0,1]
	s_wait_dscnt 0x0
	v_pk_mul_f32 v[146:147], v[142:143], v[134:135] op_sel:[0,1]
	s_delay_alu instid0(VALU_DEP_1) | instskip(SKIP_1) | instid1(VALU_DEP_1)
	v_pk_fma_f32 v[148:149], v[142:143], v[132:133], v[146:147] op_sel:[0,0,1] op_sel_hi:[1,1,0] neg_lo:[0,0,1] neg_hi:[0,0,1]
	v_pk_fma_f32 v[142:143], v[142:143], v[132:133], v[146:147] op_sel:[0,0,1] op_sel_hi:[1,0,0]
	v_mov_b32_e32 v149, v143
	v_pk_mul_f32 v[142:143], v[144:145], v[134:135] op_sel:[0,1]
	s_delay_alu instid0(VALU_DEP_1) | instskip(SKIP_1) | instid1(VALU_DEP_1)
	v_pk_fma_f32 v[146:147], v[144:145], v[132:133], v[142:143] op_sel:[0,0,1] op_sel_hi:[1,1,0] neg_lo:[0,0,1] neg_hi:[0,0,1]
	v_pk_fma_f32 v[142:143], v[144:145], v[132:133], v[142:143] op_sel:[0,0,1] op_sel_hi:[1,0,0]
	v_mov_b32_e32 v147, v143
	ds_load_2addr_b64 v[142:145], v136 offset0:38 offset1:39
	v_pk_add_f32 v[88:89], v[88:89], v[148:149] neg_lo:[0,1] neg_hi:[0,1]
	v_pk_add_f32 v[86:87], v[86:87], v[146:147] neg_lo:[0,1] neg_hi:[0,1]
	s_wait_dscnt 0x0
	v_dual_mul_f32 v146, v143, v135 :: v_dual_mul_f32 v148, v143, v132
	s_delay_alu instid0(VALU_DEP_1) | instskip(NEXT) | instid1(VALU_DEP_2)
	v_pk_fma_f32 v[146:147], v[142:143], v[54:55], v[146:147] op_sel_hi:[1,1,0] neg_lo:[0,0,1] neg_hi:[0,0,1]
	v_pk_fma_f32 v[142:143], v[142:143], v[54:55], v[148:149] op_sel:[1,0,0] op_sel_hi:[0,1,0]
	s_delay_alu instid0(VALU_DEP_1) | instskip(SKIP_1) | instid1(VALU_DEP_2)
	v_mov_b32_e32 v147, v143
	v_pk_mul_f32 v[142:143], v[144:145], v[134:135] op_sel:[0,1]
	v_pk_add_f32 v[36:37], v[36:37], v[146:147] neg_lo:[0,1] neg_hi:[0,1]
	s_delay_alu instid0(VALU_DEP_2) | instskip(SKIP_1) | instid1(VALU_DEP_1)
	v_pk_fma_f32 v[146:147], v[144:145], v[132:133], v[142:143] op_sel:[0,0,1] op_sel_hi:[1,1,0] neg_lo:[0,0,1] neg_hi:[0,0,1]
	v_pk_fma_f32 v[142:143], v[144:145], v[132:133], v[142:143] op_sel:[0,0,1] op_sel_hi:[1,0,0]
	v_mov_b32_e32 v147, v143
	ds_load_2addr_b64 v[142:145], v136 offset0:40 offset1:41
	v_pk_add_f32 v[32:33], v[32:33], v[146:147] neg_lo:[0,1] neg_hi:[0,1]
	s_wait_dscnt 0x0
	v_pk_mul_f32 v[146:147], v[142:143], v[134:135] op_sel:[0,1]
	s_delay_alu instid0(VALU_DEP_1) | instskip(SKIP_1) | instid1(VALU_DEP_1)
	v_pk_fma_f32 v[148:149], v[142:143], v[132:133], v[146:147] op_sel:[0,0,1] op_sel_hi:[1,1,0] neg_lo:[0,0,1] neg_hi:[0,0,1]
	v_pk_fma_f32 v[142:143], v[142:143], v[132:133], v[146:147] op_sel:[0,0,1] op_sel_hi:[1,0,0]
	v_mov_b32_e32 v149, v143
	v_pk_mul_f32 v[142:143], v[144:145], v[134:135] op_sel:[0,1]
	s_delay_alu instid0(VALU_DEP_2) | instskip(NEXT) | instid1(VALU_DEP_2)
	v_pk_add_f32 v[84:85], v[84:85], v[148:149] neg_lo:[0,1] neg_hi:[0,1]
	v_pk_fma_f32 v[146:147], v[144:145], v[132:133], v[142:143] op_sel:[0,0,1] op_sel_hi:[1,1,0] neg_lo:[0,0,1] neg_hi:[0,0,1]
	v_pk_fma_f32 v[142:143], v[144:145], v[132:133], v[142:143] op_sel:[0,0,1] op_sel_hi:[1,0,0]
	s_delay_alu instid0(VALU_DEP_1) | instskip(SKIP_4) | instid1(VALU_DEP_1)
	v_mov_b32_e32 v147, v143
	ds_load_2addr_b64 v[142:145], v136 offset0:42 offset1:43
	v_pk_add_f32 v[82:83], v[82:83], v[146:147] neg_lo:[0,1] neg_hi:[0,1]
	s_wait_dscnt 0x0
	v_pk_mul_f32 v[146:147], v[142:143], v[134:135] op_sel:[0,1]
	v_pk_fma_f32 v[148:149], v[142:143], v[132:133], v[146:147] op_sel:[0,0,1] op_sel_hi:[1,1,0] neg_lo:[0,0,1] neg_hi:[0,0,1]
	v_pk_fma_f32 v[142:143], v[142:143], v[132:133], v[146:147] op_sel:[0,0,1] op_sel_hi:[1,0,0]
	v_dual_mul_f32 v146, v145, v135 :: v_dual_mov_b32 v142, v145
	s_delay_alu instid0(VALU_DEP_2) | instskip(NEXT) | instid1(VALU_DEP_2)
	v_dual_mov_b32 v149, v143 :: v_dual_mov_b32 v143, v144
	v_pk_fma_f32 v[146:147], v[144:145], v[54:55], v[146:147] op_sel_hi:[1,1,0] neg_lo:[0,0,1] neg_hi:[0,0,1]
	v_mul_f32_e32 v144, v145, v132
	s_delay_alu instid0(VALU_DEP_3) | instskip(NEXT) | instid1(VALU_DEP_2)
	v_pk_add_f32 v[24:25], v[24:25], v[148:149] neg_lo:[0,1] neg_hi:[0,1]
	v_pk_fma_f32 v[142:143], v[142:143], v[54:55], v[144:145] op_sel_hi:[1,1,0]
	s_delay_alu instid0(VALU_DEP_1) | instskip(SKIP_4) | instid1(VALU_DEP_1)
	v_mov_b32_e32 v147, v143
	ds_load_2addr_b64 v[142:145], v136 offset0:44 offset1:45
	v_pk_add_f32 v[22:23], v[22:23], v[146:147] neg_lo:[0,1] neg_hi:[0,1]
	s_wait_dscnt 0x0
	v_pk_mul_f32 v[146:147], v[142:143], v[134:135] op_sel:[0,1]
	v_pk_fma_f32 v[148:149], v[142:143], v[132:133], v[146:147] op_sel:[0,0,1] op_sel_hi:[1,1,0] neg_lo:[0,0,1] neg_hi:[0,0,1]
	v_pk_fma_f32 v[142:143], v[142:143], v[132:133], v[146:147] op_sel:[0,0,1] op_sel_hi:[1,0,0]
	s_delay_alu instid0(VALU_DEP_1) | instskip(SKIP_1) | instid1(VALU_DEP_1)
	v_mov_b32_e32 v149, v143
	v_pk_mul_f32 v[142:143], v[144:145], v[134:135] op_sel:[0,1]
	v_pk_fma_f32 v[146:147], v[144:145], v[132:133], v[142:143] op_sel:[0,0,1] op_sel_hi:[1,1,0] neg_lo:[0,0,1] neg_hi:[0,0,1]
	v_pk_fma_f32 v[142:143], v[144:145], v[132:133], v[142:143] op_sel:[0,0,1] op_sel_hi:[1,0,0]
	s_delay_alu instid0(VALU_DEP_1)
	v_mov_b32_e32 v147, v143
	ds_load_2addr_b64 v[142:145], v136 offset0:46 offset1:47
	v_pk_add_f32 v[80:81], v[80:81], v[148:149] neg_lo:[0,1] neg_hi:[0,1]
	v_pk_add_f32 v[78:79], v[78:79], v[146:147] neg_lo:[0,1] neg_hi:[0,1]
	s_wait_dscnt 0x0
	v_pk_mul_f32 v[146:147], v[142:143], v[134:135] op_sel:[0,1]
	s_delay_alu instid0(VALU_DEP_1) | instskip(SKIP_1) | instid1(VALU_DEP_1)
	v_pk_fma_f32 v[148:149], v[142:143], v[132:133], v[146:147] op_sel:[0,0,1] op_sel_hi:[1,1,0] neg_lo:[0,0,1] neg_hi:[0,0,1]
	v_pk_fma_f32 v[142:143], v[142:143], v[132:133], v[146:147] op_sel:[0,0,1] op_sel_hi:[1,0,0]
	v_mov_b32_e32 v149, v143
	v_pk_mul_f32 v[142:143], v[144:145], v[134:135] op_sel:[0,1]
	s_delay_alu instid0(VALU_DEP_1) | instskip(SKIP_1) | instid1(VALU_DEP_1)
	v_pk_fma_f32 v[146:147], v[144:145], v[132:133], v[142:143] op_sel:[0,0,1] op_sel_hi:[1,1,0] neg_lo:[0,0,1] neg_hi:[0,0,1]
	v_pk_fma_f32 v[142:143], v[144:145], v[132:133], v[142:143] op_sel:[0,0,1] op_sel_hi:[1,0,0]
	v_mov_b32_e32 v147, v143
	ds_load_2addr_b64 v[142:145], v136 offset0:48 offset1:49
	v_pk_add_f32 v[20:21], v[20:21], v[148:149] neg_lo:[0,1] neg_hi:[0,1]
	v_pk_add_f32 v[18:19], v[18:19], v[146:147] neg_lo:[0,1] neg_hi:[0,1]
	s_wait_dscnt 0x0
	v_dual_mul_f32 v146, v143, v135 :: v_dual_mul_f32 v148, v143, v132
	s_delay_alu instid0(VALU_DEP_1) | instskip(NEXT) | instid1(VALU_DEP_2)
	v_pk_fma_f32 v[146:147], v[142:143], v[54:55], v[146:147] op_sel_hi:[1,1,0] neg_lo:[0,0,1] neg_hi:[0,0,1]
	v_pk_fma_f32 v[142:143], v[142:143], v[54:55], v[148:149] op_sel:[1,0,0] op_sel_hi:[0,1,0]
	s_delay_alu instid0(VALU_DEP_1) | instskip(SKIP_1) | instid1(VALU_DEP_2)
	v_mov_b32_e32 v147, v143
	v_pk_mul_f32 v[142:143], v[144:145], v[134:135] op_sel:[0,1]
	v_pk_add_f32 v[76:77], v[76:77], v[146:147] neg_lo:[0,1] neg_hi:[0,1]
	s_delay_alu instid0(VALU_DEP_2) | instskip(SKIP_1) | instid1(VALU_DEP_1)
	v_pk_fma_f32 v[146:147], v[144:145], v[132:133], v[142:143] op_sel:[0,0,1] op_sel_hi:[1,1,0] neg_lo:[0,0,1] neg_hi:[0,0,1]
	v_pk_fma_f32 v[142:143], v[144:145], v[132:133], v[142:143] op_sel:[0,0,1] op_sel_hi:[1,0,0]
	v_mov_b32_e32 v147, v143
	ds_load_2addr_b64 v[142:145], v136 offset0:50 offset1:51
	v_pk_add_f32 v[74:75], v[74:75], v[146:147] neg_lo:[0,1] neg_hi:[0,1]
	s_wait_dscnt 0x0
	v_pk_mul_f32 v[146:147], v[142:143], v[134:135] op_sel:[0,1]
	s_delay_alu instid0(VALU_DEP_1) | instskip(SKIP_1) | instid1(VALU_DEP_1)
	v_pk_fma_f32 v[148:149], v[142:143], v[132:133], v[146:147] op_sel:[0,0,1] op_sel_hi:[1,1,0] neg_lo:[0,0,1] neg_hi:[0,0,1]
	v_pk_fma_f32 v[142:143], v[142:143], v[132:133], v[146:147] op_sel:[0,0,1] op_sel_hi:[1,0,0]
	v_mov_b32_e32 v149, v143
	v_pk_mul_f32 v[142:143], v[144:145], v[134:135] op_sel:[0,1]
	s_delay_alu instid0(VALU_DEP_2) | instskip(NEXT) | instid1(VALU_DEP_2)
	v_pk_add_f32 v[16:17], v[16:17], v[148:149] neg_lo:[0,1] neg_hi:[0,1]
	v_pk_fma_f32 v[146:147], v[144:145], v[132:133], v[142:143] op_sel:[0,0,1] op_sel_hi:[1,1,0] neg_lo:[0,0,1] neg_hi:[0,0,1]
	v_pk_fma_f32 v[142:143], v[144:145], v[132:133], v[142:143] op_sel:[0,0,1] op_sel_hi:[1,0,0]
	s_delay_alu instid0(VALU_DEP_1) | instskip(SKIP_4) | instid1(VALU_DEP_1)
	v_mov_b32_e32 v147, v143
	ds_load_2addr_b64 v[142:145], v136 offset0:52 offset1:53
	v_pk_add_f32 v[28:29], v[28:29], v[146:147] neg_lo:[0,1] neg_hi:[0,1]
	s_wait_dscnt 0x0
	v_pk_mul_f32 v[146:147], v[142:143], v[134:135] op_sel:[0,1]
	v_pk_fma_f32 v[148:149], v[142:143], v[132:133], v[146:147] op_sel:[0,0,1] op_sel_hi:[1,1,0] neg_lo:[0,0,1] neg_hi:[0,0,1]
	v_pk_fma_f32 v[142:143], v[142:143], v[132:133], v[146:147] op_sel:[0,0,1] op_sel_hi:[1,0,0]
	v_dual_mul_f32 v146, v145, v135 :: v_dual_mov_b32 v142, v145
	s_delay_alu instid0(VALU_DEP_2) | instskip(NEXT) | instid1(VALU_DEP_2)
	v_dual_mov_b32 v149, v143 :: v_dual_mov_b32 v143, v144
	v_pk_fma_f32 v[146:147], v[144:145], v[54:55], v[146:147] op_sel_hi:[1,1,0] neg_lo:[0,0,1] neg_hi:[0,0,1]
	v_mul_f32_e32 v144, v145, v132
	s_delay_alu instid0(VALU_DEP_3) | instskip(NEXT) | instid1(VALU_DEP_2)
	v_pk_add_f32 v[68:69], v[68:69], v[148:149] neg_lo:[0,1] neg_hi:[0,1]
	v_pk_fma_f32 v[142:143], v[142:143], v[54:55], v[144:145] op_sel_hi:[1,1,0]
	s_delay_alu instid0(VALU_DEP_1) | instskip(SKIP_4) | instid1(VALU_DEP_1)
	v_mov_b32_e32 v147, v143
	ds_load_2addr_b64 v[142:145], v136 offset0:54 offset1:55
	v_pk_add_f32 v[66:67], v[66:67], v[146:147] neg_lo:[0,1] neg_hi:[0,1]
	s_wait_dscnt 0x0
	v_pk_mul_f32 v[146:147], v[142:143], v[134:135] op_sel:[0,1]
	v_pk_fma_f32 v[148:149], v[142:143], v[132:133], v[146:147] op_sel:[0,0,1] op_sel_hi:[1,1,0] neg_lo:[0,0,1] neg_hi:[0,0,1]
	v_pk_fma_f32 v[142:143], v[142:143], v[132:133], v[146:147] op_sel:[0,0,1] op_sel_hi:[1,0,0]
	s_delay_alu instid0(VALU_DEP_1) | instskip(SKIP_1) | instid1(VALU_DEP_1)
	v_mov_b32_e32 v149, v143
	v_pk_mul_f32 v[142:143], v[144:145], v[134:135] op_sel:[0,1]
	v_pk_fma_f32 v[146:147], v[144:145], v[132:133], v[142:143] op_sel:[0,0,1] op_sel_hi:[1,1,0] neg_lo:[0,0,1] neg_hi:[0,0,1]
	v_pk_fma_f32 v[142:143], v[144:145], v[132:133], v[142:143] op_sel:[0,0,1] op_sel_hi:[1,0,0]
	s_delay_alu instid0(VALU_DEP_1)
	v_mov_b32_e32 v147, v143
	ds_load_2addr_b64 v[142:145], v136 offset0:56 offset1:57
	v_pk_add_f32 v[10:11], v[10:11], v[148:149] neg_lo:[0,1] neg_hi:[0,1]
	v_pk_add_f32 v[8:9], v[8:9], v[146:147] neg_lo:[0,1] neg_hi:[0,1]
	s_wait_dscnt 0x0
	v_pk_mul_f32 v[146:147], v[142:143], v[134:135] op_sel:[0,1]
	s_delay_alu instid0(VALU_DEP_1) | instskip(SKIP_1) | instid1(VALU_DEP_1)
	v_pk_fma_f32 v[148:149], v[142:143], v[132:133], v[146:147] op_sel:[0,0,1] op_sel_hi:[1,1,0] neg_lo:[0,0,1] neg_hi:[0,0,1]
	v_pk_fma_f32 v[142:143], v[142:143], v[132:133], v[146:147] op_sel:[0,0,1] op_sel_hi:[1,0,0]
	v_mov_b32_e32 v149, v143
	v_pk_mul_f32 v[142:143], v[144:145], v[134:135] op_sel:[0,1]
	s_delay_alu instid0(VALU_DEP_1) | instskip(SKIP_1) | instid1(VALU_DEP_1)
	v_pk_fma_f32 v[146:147], v[144:145], v[132:133], v[142:143] op_sel:[0,0,1] op_sel_hi:[1,1,0] neg_lo:[0,0,1] neg_hi:[0,0,1]
	v_pk_fma_f32 v[142:143], v[144:145], v[132:133], v[142:143] op_sel:[0,0,1] op_sel_hi:[1,0,0]
	v_mov_b32_e32 v147, v143
	ds_load_2addr_b64 v[142:145], v136 offset0:58 offset1:59
	v_pk_add_f32 v[34:35], v[34:35], v[148:149] neg_lo:[0,1] neg_hi:[0,1]
	v_pk_add_f32 v[30:31], v[30:31], v[146:147] neg_lo:[0,1] neg_hi:[0,1]
	s_wait_dscnt 0x0
	v_dual_mul_f32 v146, v143, v135 :: v_dual_mul_f32 v148, v143, v132
	s_delay_alu instid0(VALU_DEP_1) | instskip(NEXT) | instid1(VALU_DEP_2)
	v_pk_fma_f32 v[146:147], v[142:143], v[54:55], v[146:147] op_sel_hi:[1,1,0] neg_lo:[0,0,1] neg_hi:[0,0,1]
	v_pk_fma_f32 v[142:143], v[142:143], v[54:55], v[148:149] op_sel:[1,0,0] op_sel_hi:[0,1,0]
	s_delay_alu instid0(VALU_DEP_1) | instskip(SKIP_1) | instid1(VALU_DEP_2)
	v_mov_b32_e32 v147, v143
	v_pk_mul_f32 v[142:143], v[144:145], v[134:135] op_sel:[0,1]
	v_pk_add_f32 v[6:7], v[6:7], v[146:147] neg_lo:[0,1] neg_hi:[0,1]
	s_delay_alu instid0(VALU_DEP_2) | instskip(SKIP_1) | instid1(VALU_DEP_1)
	v_pk_fma_f32 v[146:147], v[144:145], v[132:133], v[142:143] op_sel:[0,0,1] op_sel_hi:[1,1,0] neg_lo:[0,0,1] neg_hi:[0,0,1]
	v_pk_fma_f32 v[142:143], v[144:145], v[132:133], v[142:143] op_sel:[0,0,1] op_sel_hi:[1,0,0]
	v_mov_b32_e32 v147, v143
	ds_load_2addr_b64 v[142:145], v136 offset0:60 offset1:61
	v_pk_add_f32 v[26:27], v[26:27], v[146:147] neg_lo:[0,1] neg_hi:[0,1]
	s_wait_dscnt 0x0
	v_pk_mul_f32 v[146:147], v[142:143], v[134:135] op_sel:[0,1]
	s_delay_alu instid0(VALU_DEP_1) | instskip(SKIP_1) | instid1(VALU_DEP_1)
	v_pk_fma_f32 v[148:149], v[142:143], v[132:133], v[146:147] op_sel:[0,0,1] op_sel_hi:[1,1,0] neg_lo:[0,0,1] neg_hi:[0,0,1]
	v_pk_fma_f32 v[142:143], v[142:143], v[132:133], v[146:147] op_sel:[0,0,1] op_sel_hi:[1,0,0]
	v_mov_b32_e32 v149, v143
	v_pk_mul_f32 v[142:143], v[144:145], v[134:135] op_sel:[0,1]
	s_delay_alu instid0(VALU_DEP_2) | instskip(NEXT) | instid1(VALU_DEP_2)
	v_pk_add_f32 v[14:15], v[14:15], v[148:149] neg_lo:[0,1] neg_hi:[0,1]
	v_pk_fma_f32 v[146:147], v[144:145], v[132:133], v[142:143] op_sel:[0,0,1] op_sel_hi:[1,1,0] neg_lo:[0,0,1] neg_hi:[0,0,1]
	v_pk_fma_f32 v[142:143], v[144:145], v[132:133], v[142:143] op_sel:[0,0,1] op_sel_hi:[1,0,0]
	s_delay_alu instid0(VALU_DEP_1) | instskip(SKIP_4) | instid1(VALU_DEP_1)
	v_mov_b32_e32 v147, v143
	ds_load_b64 v[142:143], v136 offset:496
	v_pk_add_f32 v[12:13], v[12:13], v[146:147] neg_lo:[0,1] neg_hi:[0,1]
	s_wait_dscnt 0x0
	v_pk_mul_f32 v[134:135], v[142:143], v[134:135] op_sel:[0,1]
	v_pk_fma_f32 v[144:145], v[142:143], v[132:133], v[134:135] op_sel:[0,0,1] op_sel_hi:[1,1,0] neg_lo:[0,0,1] neg_hi:[0,0,1]
	v_pk_fma_f32 v[132:133], v[142:143], v[132:133], v[134:135] op_sel:[0,0,1] op_sel_hi:[1,0,0]
	s_delay_alu instid0(VALU_DEP_1) | instskip(NEXT) | instid1(VALU_DEP_1)
	v_mov_b32_e32 v145, v133
	v_pk_add_f32 v[130:131], v[130:131], v[144:145] neg_lo:[0,1] neg_hi:[0,1]
.LBB124_419:
	s_or_b32 exec_lo, exec_lo, s0
	v_lshl_add_u32 v132, v140, 3, v136
	s_barrier_signal -1
	s_barrier_wait -1
	ds_store_b64 v132, v[104:105]
	s_wait_dscnt 0x0
	s_barrier_signal -1
	s_barrier_wait -1
	ds_load_b64 v[134:135], v136 offset:160
	v_mov_b32_e32 v132, 20
	s_cmp_lt_i32 s18, 22
	s_cbranch_scc1 .LBB124_422
; %bb.420:
	v_add3_u32 v133, v137, 0, 0xa8
	v_mov_b32_e32 v132, 20
	s_mov_b32 s0, 21
.LBB124_421:                            ; =>This Inner Loop Header: Depth=1
	ds_load_b64 v[142:143], v133
	s_wait_dscnt 0x1
	v_cmp_gt_f32_e32 vcc_lo, 0, v134
	v_cndmask_b32_e64 v144, v134, -v134, vcc_lo
	v_cmp_gt_f32_e32 vcc_lo, 0, v135
	v_cndmask_b32_e64 v146, v135, -v135, vcc_lo
	s_wait_dscnt 0x0
	v_cmp_gt_f32_e32 vcc_lo, 0, v142
	v_cndmask_b32_e64 v145, v142, -v142, vcc_lo
	v_cmp_gt_f32_e32 vcc_lo, 0, v143
	v_cndmask_b32_e64 v147, v143, -v143, vcc_lo
	s_delay_alu instid0(VALU_DEP_1) | instskip(NEXT) | instid1(VALU_DEP_1)
	v_pk_add_f32 v[144:145], v[144:145], v[146:147]
	v_cmp_lt_f32_e32 vcc_lo, v144, v145
	v_dual_add_nc_u32 v133, 8, v133 :: v_dual_cndmask_b32 v135, v135, v143, vcc_lo
	v_cndmask_b32_e32 v134, v134, v142, vcc_lo
	v_cndmask_b32_e64 v132, v132, s0, vcc_lo
	s_add_co_i32 s0, s0, 1
	s_delay_alu instid0(SALU_CYCLE_1)
	s_cmp_lg_u32 s18, s0
	s_cbranch_scc1 .LBB124_421
.LBB124_422:
	s_wait_dscnt 0x0
	v_cmp_eq_f32_e32 vcc_lo, 0, v134
	v_cmp_eq_f32_e64 s0, 0, v135
	s_and_b32 s0, vcc_lo, s0
	s_delay_alu instid0(SALU_CYCLE_1) | instskip(NEXT) | instid1(SALU_CYCLE_1)
	s_and_saveexec_b32 s1, s0
	s_xor_b32 s0, exec_lo, s1
; %bb.423:
	v_cmp_ne_u32_e32 vcc_lo, 0, v138
	v_cndmask_b32_e32 v138, 21, v138, vcc_lo
; %bb.424:
	s_and_not1_saveexec_b32 s0, s0
	s_cbranch_execz .LBB124_430
; %bb.425:
	v_cmp_ngt_f32_e64 s1, |v134|, |v135|
	s_and_saveexec_b32 s12, s1
	s_delay_alu instid0(SALU_CYCLE_1)
	s_xor_b32 s1, exec_lo, s12
	s_cbranch_execz .LBB124_427
; %bb.426:
	v_div_scale_f32 v133, null, v135, v135, v134
	v_div_scale_f32 v143, vcc_lo, v134, v135, v134
	s_delay_alu instid0(VALU_DEP_2) | instskip(SKIP_1) | instid1(TRANS32_DEP_1)
	v_rcp_f32_e32 v141, v133
	v_nop
	v_fma_f32 v142, -v133, v141, 1.0
	s_delay_alu instid0(VALU_DEP_1) | instskip(NEXT) | instid1(VALU_DEP_1)
	v_fmac_f32_e32 v141, v142, v141
	v_mul_f32_e32 v142, v143, v141
	s_delay_alu instid0(VALU_DEP_1) | instskip(NEXT) | instid1(VALU_DEP_1)
	v_fma_f32 v144, -v133, v142, v143
	v_fmac_f32_e32 v142, v144, v141
	s_delay_alu instid0(VALU_DEP_1) | instskip(NEXT) | instid1(VALU_DEP_1)
	v_fma_f32 v133, -v133, v142, v143
	v_div_fmas_f32 v133, v133, v141, v142
	s_delay_alu instid0(VALU_DEP_1) | instskip(NEXT) | instid1(VALU_DEP_1)
	v_div_fixup_f32 v133, v133, v135, v134
	v_fmac_f32_e32 v135, v134, v133
	s_delay_alu instid0(VALU_DEP_1) | instskip(SKIP_1) | instid1(VALU_DEP_2)
	v_div_scale_f32 v134, null, v135, v135, 1.0
	v_div_scale_f32 v143, vcc_lo, 1.0, v135, 1.0
	v_rcp_f32_e32 v141, v134
	v_nop
	s_delay_alu instid0(TRANS32_DEP_1) | instskip(NEXT) | instid1(VALU_DEP_1)
	v_fma_f32 v142, -v134, v141, 1.0
	v_fmac_f32_e32 v141, v142, v141
	s_delay_alu instid0(VALU_DEP_1) | instskip(NEXT) | instid1(VALU_DEP_1)
	v_mul_f32_e32 v142, v143, v141
	v_fma_f32 v144, -v134, v142, v143
	s_delay_alu instid0(VALU_DEP_1) | instskip(NEXT) | instid1(VALU_DEP_1)
	v_fmac_f32_e32 v142, v144, v141
	v_fma_f32 v134, -v134, v142, v143
	s_delay_alu instid0(VALU_DEP_1) | instskip(NEXT) | instid1(VALU_DEP_1)
	v_div_fmas_f32 v134, v134, v141, v142
	v_div_fixup_f32 v135, v134, v135, 1.0
	s_delay_alu instid0(VALU_DEP_1)
	v_mul_f32_e32 v134, v133, v135
	v_xor_b32_e32 v135, 0x80000000, v135
.LBB124_427:
	s_and_not1_saveexec_b32 s1, s1
	s_cbranch_execz .LBB124_429
; %bb.428:
	s_delay_alu instid0(VALU_DEP_1) | instskip(SKIP_1) | instid1(VALU_DEP_2)
	v_div_scale_f32 v133, null, v134, v134, v135
	v_div_scale_f32 v143, vcc_lo, v135, v134, v135
	v_rcp_f32_e32 v141, v133
	v_nop
	s_delay_alu instid0(TRANS32_DEP_1) | instskip(NEXT) | instid1(VALU_DEP_1)
	v_fma_f32 v142, -v133, v141, 1.0
	v_fmac_f32_e32 v141, v142, v141
	s_delay_alu instid0(VALU_DEP_1) | instskip(NEXT) | instid1(VALU_DEP_1)
	v_mul_f32_e32 v142, v143, v141
	v_fma_f32 v144, -v133, v142, v143
	s_delay_alu instid0(VALU_DEP_1) | instskip(NEXT) | instid1(VALU_DEP_1)
	v_fmac_f32_e32 v142, v144, v141
	v_fma_f32 v133, -v133, v142, v143
	s_delay_alu instid0(VALU_DEP_1) | instskip(NEXT) | instid1(VALU_DEP_1)
	v_div_fmas_f32 v133, v133, v141, v142
	v_div_fixup_f32 v133, v133, v134, v135
	s_delay_alu instid0(VALU_DEP_1) | instskip(NEXT) | instid1(VALU_DEP_1)
	v_fmac_f32_e32 v134, v135, v133
	v_div_scale_f32 v135, null, v134, v134, 1.0
	s_delay_alu instid0(VALU_DEP_1) | instskip(SKIP_1) | instid1(TRANS32_DEP_1)
	v_rcp_f32_e32 v141, v135
	v_nop
	v_fma_f32 v142, -v135, v141, 1.0
	s_delay_alu instid0(VALU_DEP_1) | instskip(SKIP_1) | instid1(VALU_DEP_1)
	v_fmac_f32_e32 v141, v142, v141
	v_div_scale_f32 v142, vcc_lo, 1.0, v134, 1.0
	v_mul_f32_e32 v143, v142, v141
	s_delay_alu instid0(VALU_DEP_1) | instskip(NEXT) | instid1(VALU_DEP_1)
	v_fma_f32 v144, -v135, v143, v142
	v_fmac_f32_e32 v143, v144, v141
	s_delay_alu instid0(VALU_DEP_1) | instskip(NEXT) | instid1(VALU_DEP_1)
	v_fma_f32 v135, -v135, v143, v142
	v_div_fmas_f32 v135, v135, v141, v143
	s_delay_alu instid0(VALU_DEP_1) | instskip(NEXT) | instid1(VALU_DEP_1)
	v_div_fixup_f32 v134, v135, v134, 1.0
	v_mul_f32_e64 v135, v133, -v134
.LBB124_429:
	s_or_b32 exec_lo, exec_lo, s1
.LBB124_430:
	s_delay_alu instid0(SALU_CYCLE_1) | instskip(NEXT) | instid1(SALU_CYCLE_1)
	s_or_b32 exec_lo, exec_lo, s0
	s_mov_b32 s0, exec_lo
	v_cmpx_ne_u32_e64 v140, v132
	s_xor_b32 s0, exec_lo, s0
	s_cbranch_execz .LBB124_436
; %bb.431:
	s_mov_b32 s1, exec_lo
	v_cmpx_eq_u32_e32 20, v140
	s_cbranch_execz .LBB124_435
; %bb.432:
	v_cmp_ne_u32_e32 vcc_lo, 20, v132
	s_xor_b32 s12, s16, -1
	s_delay_alu instid0(SALU_CYCLE_1) | instskip(NEXT) | instid1(SALU_CYCLE_1)
	s_and_b32 s13, s12, vcc_lo
	s_and_saveexec_b32 s12, s13
	s_cbranch_execz .LBB124_434
; %bb.433:
	v_ashrrev_i32_e32 v133, 31, v132
	s_delay_alu instid0(VALU_DEP_1)
	v_lshl_add_u64 v[140:141], v[132:133], 2, v[4:5]
	s_clause 0x1
	global_load_b32 v133, v[140:141], off
	global_load_b32 v139, v[4:5], off offset:80
	s_wait_loadcnt 0x1
	global_store_b32 v[4:5], v133, off offset:80
	s_wait_loadcnt 0x0
	global_store_b32 v[140:141], v139, off
.LBB124_434:
	s_wait_xcnt 0x0
	s_or_b32 exec_lo, exec_lo, s12
	v_dual_mov_b32 v140, v132 :: v_dual_mov_b32 v139, v132
.LBB124_435:
	s_or_b32 exec_lo, exec_lo, s1
.LBB124_436:
	s_and_not1_saveexec_b32 s0, s0
	s_cbranch_execz .LBB124_438
; %bb.437:
	v_mov_b32_e32 v140, 20
	ds_store_2addr_b64 v136, v[102:103], v[52:53] offset0:21 offset1:22
	ds_store_2addr_b64 v136, v[50:51], v[100:101] offset0:23 offset1:24
	;; [unrolled: 1-line block ×21, first 2 shown]
.LBB124_438:
	s_or_b32 exec_lo, exec_lo, s0
	s_delay_alu instid0(SALU_CYCLE_1)
	s_mov_b32 s0, exec_lo
	s_wait_storecnt_dscnt 0x0
	s_barrier_signal -1
	s_barrier_wait -1
	v_cmpx_lt_i32_e32 20, v140
	s_cbranch_execz .LBB124_440
; %bb.439:
	v_pk_mul_f32 v[142:143], v[134:135], v[104:105] op_sel:[1,1] op_sel_hi:[0,1]
	s_delay_alu instid0(VALU_DEP_1)
	v_pk_fma_f32 v[132:133], v[134:135], v[104:105], v[142:143] op_sel_hi:[1,0,1] neg_lo:[0,0,1] neg_hi:[0,0,1]
	v_pk_fma_f32 v[134:135], v[134:135], v[104:105], v[142:143] op_sel_hi:[1,0,1]
	ds_load_2addr_b64 v[142:145], v136 offset0:21 offset1:22
	v_dual_mov_b32 v104, v132 :: v_dual_mov_b32 v105, v135
	s_wait_dscnt 0x0
	v_pk_mul_f32 v[146:147], v[142:143], v[134:135] op_sel:[0,1]
	s_delay_alu instid0(VALU_DEP_1) | instskip(SKIP_1) | instid1(VALU_DEP_1)
	v_pk_fma_f32 v[148:149], v[142:143], v[132:133], v[146:147] op_sel:[0,0,1] op_sel_hi:[1,1,0] neg_lo:[0,0,1] neg_hi:[0,0,1]
	v_pk_fma_f32 v[142:143], v[142:143], v[132:133], v[146:147] op_sel:[0,0,1] op_sel_hi:[1,0,0]
	v_mov_b32_e32 v149, v143
	v_pk_mul_f32 v[142:143], v[144:145], v[134:135] op_sel:[0,1]
	s_delay_alu instid0(VALU_DEP_1) | instskip(SKIP_1) | instid1(VALU_DEP_1)
	v_pk_fma_f32 v[146:147], v[144:145], v[132:133], v[142:143] op_sel:[0,0,1] op_sel_hi:[1,1,0] neg_lo:[0,0,1] neg_hi:[0,0,1]
	v_pk_fma_f32 v[142:143], v[144:145], v[132:133], v[142:143] op_sel:[0,0,1] op_sel_hi:[1,0,0]
	v_mov_b32_e32 v147, v143
	ds_load_2addr_b64 v[142:145], v136 offset0:23 offset1:24
	v_pk_add_f32 v[102:103], v[102:103], v[148:149] neg_lo:[0,1] neg_hi:[0,1]
	v_pk_add_f32 v[52:53], v[52:53], v[146:147] neg_lo:[0,1] neg_hi:[0,1]
	s_wait_dscnt 0x0
	v_pk_mul_f32 v[146:147], v[142:143], v[134:135] op_sel:[0,1]
	s_delay_alu instid0(VALU_DEP_1) | instskip(SKIP_2) | instid1(VALU_DEP_2)
	v_pk_fma_f32 v[148:149], v[142:143], v[132:133], v[146:147] op_sel:[0,0,1] op_sel_hi:[1,1,0] neg_lo:[0,0,1] neg_hi:[0,0,1]
	v_pk_fma_f32 v[142:143], v[142:143], v[132:133], v[146:147] op_sel:[0,0,1] op_sel_hi:[1,0,0]
	v_dual_mul_f32 v146, v145, v135 :: v_dual_mov_b32 v142, v145
	v_dual_mov_b32 v149, v143 :: v_dual_mov_b32 v143, v144
	s_delay_alu instid0(VALU_DEP_2) | instskip(SKIP_1) | instid1(VALU_DEP_3)
	v_pk_fma_f32 v[146:147], v[144:145], v[104:105], v[146:147] op_sel_hi:[1,1,0] neg_lo:[0,0,1] neg_hi:[0,0,1]
	v_mul_f32_e32 v144, v145, v132
	v_pk_add_f32 v[50:51], v[50:51], v[148:149] neg_lo:[0,1] neg_hi:[0,1]
	s_delay_alu instid0(VALU_DEP_2) | instskip(NEXT) | instid1(VALU_DEP_1)
	v_pk_fma_f32 v[142:143], v[142:143], v[104:105], v[144:145] op_sel_hi:[1,1,0]
	v_mov_b32_e32 v147, v143
	ds_load_2addr_b64 v[142:145], v136 offset0:25 offset1:26
	v_pk_add_f32 v[100:101], v[100:101], v[146:147] neg_lo:[0,1] neg_hi:[0,1]
	s_wait_dscnt 0x0
	v_pk_mul_f32 v[146:147], v[142:143], v[134:135] op_sel:[0,1]
	s_delay_alu instid0(VALU_DEP_1) | instskip(SKIP_1) | instid1(VALU_DEP_1)
	v_pk_fma_f32 v[148:149], v[142:143], v[132:133], v[146:147] op_sel:[0,0,1] op_sel_hi:[1,1,0] neg_lo:[0,0,1] neg_hi:[0,0,1]
	v_pk_fma_f32 v[142:143], v[142:143], v[132:133], v[146:147] op_sel:[0,0,1] op_sel_hi:[1,0,0]
	v_mov_b32_e32 v149, v143
	v_pk_mul_f32 v[142:143], v[144:145], v[134:135] op_sel:[0,1]
	s_delay_alu instid0(VALU_DEP_1) | instskip(SKIP_1) | instid1(VALU_DEP_1)
	v_pk_fma_f32 v[146:147], v[144:145], v[132:133], v[142:143] op_sel:[0,0,1] op_sel_hi:[1,1,0] neg_lo:[0,0,1] neg_hi:[0,0,1]
	v_pk_fma_f32 v[142:143], v[144:145], v[132:133], v[142:143] op_sel:[0,0,1] op_sel_hi:[1,0,0]
	v_mov_b32_e32 v147, v143
	ds_load_2addr_b64 v[142:145], v136 offset0:27 offset1:28
	v_pk_add_f32 v[98:99], v[98:99], v[148:149] neg_lo:[0,1] neg_hi:[0,1]
	v_pk_add_f32 v[48:49], v[48:49], v[146:147] neg_lo:[0,1] neg_hi:[0,1]
	s_wait_dscnt 0x0
	v_pk_mul_f32 v[146:147], v[142:143], v[134:135] op_sel:[0,1]
	s_delay_alu instid0(VALU_DEP_1) | instskip(SKIP_1) | instid1(VALU_DEP_1)
	v_pk_fma_f32 v[148:149], v[142:143], v[132:133], v[146:147] op_sel:[0,0,1] op_sel_hi:[1,1,0] neg_lo:[0,0,1] neg_hi:[0,0,1]
	v_pk_fma_f32 v[142:143], v[142:143], v[132:133], v[146:147] op_sel:[0,0,1] op_sel_hi:[1,0,0]
	v_mov_b32_e32 v149, v143
	v_pk_mul_f32 v[142:143], v[144:145], v[134:135] op_sel:[0,1]
	s_delay_alu instid0(VALU_DEP_1) | instskip(SKIP_1) | instid1(VALU_DEP_1)
	v_pk_fma_f32 v[146:147], v[144:145], v[132:133], v[142:143] op_sel:[0,0,1] op_sel_hi:[1,1,0] neg_lo:[0,0,1] neg_hi:[0,0,1]
	v_pk_fma_f32 v[142:143], v[144:145], v[132:133], v[142:143] op_sel:[0,0,1] op_sel_hi:[1,0,0]
	v_mov_b32_e32 v147, v143
	ds_load_2addr_b64 v[142:145], v136 offset0:29 offset1:30
	v_pk_add_f32 v[46:47], v[46:47], v[148:149] neg_lo:[0,1] neg_hi:[0,1]
	v_pk_add_f32 v[96:97], v[96:97], v[146:147] neg_lo:[0,1] neg_hi:[0,1]
	s_wait_dscnt 0x0
	v_dual_mul_f32 v146, v143, v135 :: v_dual_mul_f32 v148, v143, v132
	s_delay_alu instid0(VALU_DEP_1) | instskip(NEXT) | instid1(VALU_DEP_2)
	v_pk_fma_f32 v[146:147], v[142:143], v[104:105], v[146:147] op_sel_hi:[1,1,0] neg_lo:[0,0,1] neg_hi:[0,0,1]
	v_pk_fma_f32 v[142:143], v[142:143], v[104:105], v[148:149] op_sel:[1,0,0] op_sel_hi:[0,1,0]
	s_delay_alu instid0(VALU_DEP_1) | instskip(SKIP_1) | instid1(VALU_DEP_2)
	v_mov_b32_e32 v147, v143
	v_pk_mul_f32 v[142:143], v[144:145], v[134:135] op_sel:[0,1]
	v_pk_add_f32 v[94:95], v[94:95], v[146:147] neg_lo:[0,1] neg_hi:[0,1]
	s_delay_alu instid0(VALU_DEP_2) | instskip(SKIP_1) | instid1(VALU_DEP_1)
	v_pk_fma_f32 v[146:147], v[144:145], v[132:133], v[142:143] op_sel:[0,0,1] op_sel_hi:[1,1,0] neg_lo:[0,0,1] neg_hi:[0,0,1]
	v_pk_fma_f32 v[142:143], v[144:145], v[132:133], v[142:143] op_sel:[0,0,1] op_sel_hi:[1,0,0]
	v_mov_b32_e32 v147, v143
	ds_load_2addr_b64 v[142:145], v136 offset0:31 offset1:32
	v_pk_add_f32 v[44:45], v[44:45], v[146:147] neg_lo:[0,1] neg_hi:[0,1]
	s_wait_dscnt 0x0
	v_pk_mul_f32 v[146:147], v[142:143], v[134:135] op_sel:[0,1]
	s_delay_alu instid0(VALU_DEP_1) | instskip(SKIP_1) | instid1(VALU_DEP_1)
	v_pk_fma_f32 v[148:149], v[142:143], v[132:133], v[146:147] op_sel:[0,0,1] op_sel_hi:[1,1,0] neg_lo:[0,0,1] neg_hi:[0,0,1]
	v_pk_fma_f32 v[142:143], v[142:143], v[132:133], v[146:147] op_sel:[0,0,1] op_sel_hi:[1,0,0]
	v_mov_b32_e32 v149, v143
	v_pk_mul_f32 v[142:143], v[144:145], v[134:135] op_sel:[0,1]
	s_delay_alu instid0(VALU_DEP_2) | instskip(NEXT) | instid1(VALU_DEP_2)
	v_pk_add_f32 v[42:43], v[42:43], v[148:149] neg_lo:[0,1] neg_hi:[0,1]
	v_pk_fma_f32 v[146:147], v[144:145], v[132:133], v[142:143] op_sel:[0,0,1] op_sel_hi:[1,1,0] neg_lo:[0,0,1] neg_hi:[0,0,1]
	v_pk_fma_f32 v[142:143], v[144:145], v[132:133], v[142:143] op_sel:[0,0,1] op_sel_hi:[1,0,0]
	s_delay_alu instid0(VALU_DEP_1) | instskip(SKIP_4) | instid1(VALU_DEP_1)
	v_mov_b32_e32 v147, v143
	ds_load_2addr_b64 v[142:145], v136 offset0:33 offset1:34
	v_pk_add_f32 v[92:93], v[92:93], v[146:147] neg_lo:[0,1] neg_hi:[0,1]
	s_wait_dscnt 0x0
	v_pk_mul_f32 v[146:147], v[142:143], v[134:135] op_sel:[0,1]
	v_pk_fma_f32 v[148:149], v[142:143], v[132:133], v[146:147] op_sel:[0,0,1] op_sel_hi:[1,1,0] neg_lo:[0,0,1] neg_hi:[0,0,1]
	v_pk_fma_f32 v[142:143], v[142:143], v[132:133], v[146:147] op_sel:[0,0,1] op_sel_hi:[1,0,0]
	v_dual_mul_f32 v146, v145, v135 :: v_dual_mov_b32 v142, v145
	s_delay_alu instid0(VALU_DEP_2) | instskip(NEXT) | instid1(VALU_DEP_2)
	v_dual_mov_b32 v149, v143 :: v_dual_mov_b32 v143, v144
	v_pk_fma_f32 v[146:147], v[144:145], v[104:105], v[146:147] op_sel_hi:[1,1,0] neg_lo:[0,0,1] neg_hi:[0,0,1]
	v_mul_f32_e32 v144, v145, v132
	s_delay_alu instid0(VALU_DEP_3) | instskip(NEXT) | instid1(VALU_DEP_2)
	v_pk_add_f32 v[90:91], v[90:91], v[148:149] neg_lo:[0,1] neg_hi:[0,1]
	v_pk_fma_f32 v[142:143], v[142:143], v[104:105], v[144:145] op_sel_hi:[1,1,0]
	s_delay_alu instid0(VALU_DEP_1) | instskip(SKIP_4) | instid1(VALU_DEP_1)
	v_mov_b32_e32 v147, v143
	ds_load_2addr_b64 v[142:145], v136 offset0:35 offset1:36
	v_pk_add_f32 v[40:41], v[40:41], v[146:147] neg_lo:[0,1] neg_hi:[0,1]
	s_wait_dscnt 0x0
	v_pk_mul_f32 v[146:147], v[142:143], v[134:135] op_sel:[0,1]
	v_pk_fma_f32 v[148:149], v[142:143], v[132:133], v[146:147] op_sel:[0,0,1] op_sel_hi:[1,1,0] neg_lo:[0,0,1] neg_hi:[0,0,1]
	v_pk_fma_f32 v[142:143], v[142:143], v[132:133], v[146:147] op_sel:[0,0,1] op_sel_hi:[1,0,0]
	s_delay_alu instid0(VALU_DEP_1) | instskip(SKIP_1) | instid1(VALU_DEP_1)
	v_mov_b32_e32 v149, v143
	v_pk_mul_f32 v[142:143], v[144:145], v[134:135] op_sel:[0,1]
	v_pk_fma_f32 v[146:147], v[144:145], v[132:133], v[142:143] op_sel:[0,0,1] op_sel_hi:[1,1,0] neg_lo:[0,0,1] neg_hi:[0,0,1]
	v_pk_fma_f32 v[142:143], v[144:145], v[132:133], v[142:143] op_sel:[0,0,1] op_sel_hi:[1,0,0]
	s_delay_alu instid0(VALU_DEP_1)
	v_mov_b32_e32 v147, v143
	ds_load_2addr_b64 v[142:145], v136 offset0:37 offset1:38
	v_pk_add_f32 v[38:39], v[38:39], v[148:149] neg_lo:[0,1] neg_hi:[0,1]
	v_pk_add_f32 v[88:89], v[88:89], v[146:147] neg_lo:[0,1] neg_hi:[0,1]
	s_wait_dscnt 0x0
	v_pk_mul_f32 v[146:147], v[142:143], v[134:135] op_sel:[0,1]
	s_delay_alu instid0(VALU_DEP_1) | instskip(SKIP_1) | instid1(VALU_DEP_1)
	v_pk_fma_f32 v[148:149], v[142:143], v[132:133], v[146:147] op_sel:[0,0,1] op_sel_hi:[1,1,0] neg_lo:[0,0,1] neg_hi:[0,0,1]
	v_pk_fma_f32 v[142:143], v[142:143], v[132:133], v[146:147] op_sel:[0,0,1] op_sel_hi:[1,0,0]
	v_mov_b32_e32 v149, v143
	v_pk_mul_f32 v[142:143], v[144:145], v[134:135] op_sel:[0,1]
	s_delay_alu instid0(VALU_DEP_1) | instskip(SKIP_1) | instid1(VALU_DEP_1)
	v_pk_fma_f32 v[146:147], v[144:145], v[132:133], v[142:143] op_sel:[0,0,1] op_sel_hi:[1,1,0] neg_lo:[0,0,1] neg_hi:[0,0,1]
	v_pk_fma_f32 v[142:143], v[144:145], v[132:133], v[142:143] op_sel:[0,0,1] op_sel_hi:[1,0,0]
	v_mov_b32_e32 v147, v143
	ds_load_2addr_b64 v[142:145], v136 offset0:39 offset1:40
	v_pk_add_f32 v[86:87], v[86:87], v[148:149] neg_lo:[0,1] neg_hi:[0,1]
	v_pk_add_f32 v[36:37], v[36:37], v[146:147] neg_lo:[0,1] neg_hi:[0,1]
	s_wait_dscnt 0x0
	v_dual_mul_f32 v146, v143, v135 :: v_dual_mul_f32 v148, v143, v132
	s_delay_alu instid0(VALU_DEP_1) | instskip(NEXT) | instid1(VALU_DEP_2)
	v_pk_fma_f32 v[146:147], v[142:143], v[104:105], v[146:147] op_sel_hi:[1,1,0] neg_lo:[0,0,1] neg_hi:[0,0,1]
	v_pk_fma_f32 v[142:143], v[142:143], v[104:105], v[148:149] op_sel:[1,0,0] op_sel_hi:[0,1,0]
	s_delay_alu instid0(VALU_DEP_1) | instskip(SKIP_1) | instid1(VALU_DEP_2)
	v_mov_b32_e32 v147, v143
	v_pk_mul_f32 v[142:143], v[144:145], v[134:135] op_sel:[0,1]
	v_pk_add_f32 v[32:33], v[32:33], v[146:147] neg_lo:[0,1] neg_hi:[0,1]
	s_delay_alu instid0(VALU_DEP_2) | instskip(SKIP_1) | instid1(VALU_DEP_1)
	v_pk_fma_f32 v[146:147], v[144:145], v[132:133], v[142:143] op_sel:[0,0,1] op_sel_hi:[1,1,0] neg_lo:[0,0,1] neg_hi:[0,0,1]
	v_pk_fma_f32 v[142:143], v[144:145], v[132:133], v[142:143] op_sel:[0,0,1] op_sel_hi:[1,0,0]
	v_mov_b32_e32 v147, v143
	ds_load_2addr_b64 v[142:145], v136 offset0:41 offset1:42
	v_pk_add_f32 v[84:85], v[84:85], v[146:147] neg_lo:[0,1] neg_hi:[0,1]
	s_wait_dscnt 0x0
	v_pk_mul_f32 v[146:147], v[142:143], v[134:135] op_sel:[0,1]
	s_delay_alu instid0(VALU_DEP_1) | instskip(SKIP_1) | instid1(VALU_DEP_1)
	v_pk_fma_f32 v[148:149], v[142:143], v[132:133], v[146:147] op_sel:[0,0,1] op_sel_hi:[1,1,0] neg_lo:[0,0,1] neg_hi:[0,0,1]
	v_pk_fma_f32 v[142:143], v[142:143], v[132:133], v[146:147] op_sel:[0,0,1] op_sel_hi:[1,0,0]
	v_mov_b32_e32 v149, v143
	v_pk_mul_f32 v[142:143], v[144:145], v[134:135] op_sel:[0,1]
	s_delay_alu instid0(VALU_DEP_2) | instskip(NEXT) | instid1(VALU_DEP_2)
	v_pk_add_f32 v[82:83], v[82:83], v[148:149] neg_lo:[0,1] neg_hi:[0,1]
	v_pk_fma_f32 v[146:147], v[144:145], v[132:133], v[142:143] op_sel:[0,0,1] op_sel_hi:[1,1,0] neg_lo:[0,0,1] neg_hi:[0,0,1]
	v_pk_fma_f32 v[142:143], v[144:145], v[132:133], v[142:143] op_sel:[0,0,1] op_sel_hi:[1,0,0]
	s_delay_alu instid0(VALU_DEP_1) | instskip(SKIP_4) | instid1(VALU_DEP_1)
	v_mov_b32_e32 v147, v143
	ds_load_2addr_b64 v[142:145], v136 offset0:43 offset1:44
	v_pk_add_f32 v[24:25], v[24:25], v[146:147] neg_lo:[0,1] neg_hi:[0,1]
	s_wait_dscnt 0x0
	v_pk_mul_f32 v[146:147], v[142:143], v[134:135] op_sel:[0,1]
	v_pk_fma_f32 v[148:149], v[142:143], v[132:133], v[146:147] op_sel:[0,0,1] op_sel_hi:[1,1,0] neg_lo:[0,0,1] neg_hi:[0,0,1]
	v_pk_fma_f32 v[142:143], v[142:143], v[132:133], v[146:147] op_sel:[0,0,1] op_sel_hi:[1,0,0]
	v_dual_mul_f32 v146, v145, v135 :: v_dual_mov_b32 v142, v145
	s_delay_alu instid0(VALU_DEP_2) | instskip(NEXT) | instid1(VALU_DEP_2)
	v_dual_mov_b32 v149, v143 :: v_dual_mov_b32 v143, v144
	v_pk_fma_f32 v[146:147], v[144:145], v[104:105], v[146:147] op_sel_hi:[1,1,0] neg_lo:[0,0,1] neg_hi:[0,0,1]
	v_mul_f32_e32 v144, v145, v132
	s_delay_alu instid0(VALU_DEP_3) | instskip(NEXT) | instid1(VALU_DEP_2)
	v_pk_add_f32 v[22:23], v[22:23], v[148:149] neg_lo:[0,1] neg_hi:[0,1]
	v_pk_fma_f32 v[142:143], v[142:143], v[104:105], v[144:145] op_sel_hi:[1,1,0]
	s_delay_alu instid0(VALU_DEP_1) | instskip(SKIP_4) | instid1(VALU_DEP_1)
	v_mov_b32_e32 v147, v143
	ds_load_2addr_b64 v[142:145], v136 offset0:45 offset1:46
	v_pk_add_f32 v[80:81], v[80:81], v[146:147] neg_lo:[0,1] neg_hi:[0,1]
	s_wait_dscnt 0x0
	v_pk_mul_f32 v[146:147], v[142:143], v[134:135] op_sel:[0,1]
	v_pk_fma_f32 v[148:149], v[142:143], v[132:133], v[146:147] op_sel:[0,0,1] op_sel_hi:[1,1,0] neg_lo:[0,0,1] neg_hi:[0,0,1]
	v_pk_fma_f32 v[142:143], v[142:143], v[132:133], v[146:147] op_sel:[0,0,1] op_sel_hi:[1,0,0]
	s_delay_alu instid0(VALU_DEP_1) | instskip(SKIP_1) | instid1(VALU_DEP_1)
	v_mov_b32_e32 v149, v143
	v_pk_mul_f32 v[142:143], v[144:145], v[134:135] op_sel:[0,1]
	v_pk_fma_f32 v[146:147], v[144:145], v[132:133], v[142:143] op_sel:[0,0,1] op_sel_hi:[1,1,0] neg_lo:[0,0,1] neg_hi:[0,0,1]
	v_pk_fma_f32 v[142:143], v[144:145], v[132:133], v[142:143] op_sel:[0,0,1] op_sel_hi:[1,0,0]
	s_delay_alu instid0(VALU_DEP_1)
	v_mov_b32_e32 v147, v143
	ds_load_2addr_b64 v[142:145], v136 offset0:47 offset1:48
	v_pk_add_f32 v[78:79], v[78:79], v[148:149] neg_lo:[0,1] neg_hi:[0,1]
	v_pk_add_f32 v[20:21], v[20:21], v[146:147] neg_lo:[0,1] neg_hi:[0,1]
	s_wait_dscnt 0x0
	v_pk_mul_f32 v[146:147], v[142:143], v[134:135] op_sel:[0,1]
	s_delay_alu instid0(VALU_DEP_1) | instskip(SKIP_1) | instid1(VALU_DEP_1)
	v_pk_fma_f32 v[148:149], v[142:143], v[132:133], v[146:147] op_sel:[0,0,1] op_sel_hi:[1,1,0] neg_lo:[0,0,1] neg_hi:[0,0,1]
	v_pk_fma_f32 v[142:143], v[142:143], v[132:133], v[146:147] op_sel:[0,0,1] op_sel_hi:[1,0,0]
	v_mov_b32_e32 v149, v143
	v_pk_mul_f32 v[142:143], v[144:145], v[134:135] op_sel:[0,1]
	s_delay_alu instid0(VALU_DEP_1) | instskip(SKIP_1) | instid1(VALU_DEP_1)
	v_pk_fma_f32 v[146:147], v[144:145], v[132:133], v[142:143] op_sel:[0,0,1] op_sel_hi:[1,1,0] neg_lo:[0,0,1] neg_hi:[0,0,1]
	v_pk_fma_f32 v[142:143], v[144:145], v[132:133], v[142:143] op_sel:[0,0,1] op_sel_hi:[1,0,0]
	v_mov_b32_e32 v147, v143
	ds_load_2addr_b64 v[142:145], v136 offset0:49 offset1:50
	v_pk_add_f32 v[18:19], v[18:19], v[148:149] neg_lo:[0,1] neg_hi:[0,1]
	v_pk_add_f32 v[76:77], v[76:77], v[146:147] neg_lo:[0,1] neg_hi:[0,1]
	s_wait_dscnt 0x0
	v_dual_mul_f32 v146, v143, v135 :: v_dual_mul_f32 v148, v143, v132
	s_delay_alu instid0(VALU_DEP_1) | instskip(NEXT) | instid1(VALU_DEP_2)
	v_pk_fma_f32 v[146:147], v[142:143], v[104:105], v[146:147] op_sel_hi:[1,1,0] neg_lo:[0,0,1] neg_hi:[0,0,1]
	v_pk_fma_f32 v[142:143], v[142:143], v[104:105], v[148:149] op_sel:[1,0,0] op_sel_hi:[0,1,0]
	s_delay_alu instid0(VALU_DEP_1) | instskip(SKIP_1) | instid1(VALU_DEP_2)
	v_mov_b32_e32 v147, v143
	v_pk_mul_f32 v[142:143], v[144:145], v[134:135] op_sel:[0,1]
	v_pk_add_f32 v[74:75], v[74:75], v[146:147] neg_lo:[0,1] neg_hi:[0,1]
	s_delay_alu instid0(VALU_DEP_2) | instskip(SKIP_1) | instid1(VALU_DEP_1)
	v_pk_fma_f32 v[146:147], v[144:145], v[132:133], v[142:143] op_sel:[0,0,1] op_sel_hi:[1,1,0] neg_lo:[0,0,1] neg_hi:[0,0,1]
	v_pk_fma_f32 v[142:143], v[144:145], v[132:133], v[142:143] op_sel:[0,0,1] op_sel_hi:[1,0,0]
	v_mov_b32_e32 v147, v143
	ds_load_2addr_b64 v[142:145], v136 offset0:51 offset1:52
	v_pk_add_f32 v[16:17], v[16:17], v[146:147] neg_lo:[0,1] neg_hi:[0,1]
	s_wait_dscnt 0x0
	v_pk_mul_f32 v[146:147], v[142:143], v[134:135] op_sel:[0,1]
	s_delay_alu instid0(VALU_DEP_1) | instskip(SKIP_1) | instid1(VALU_DEP_1)
	v_pk_fma_f32 v[148:149], v[142:143], v[132:133], v[146:147] op_sel:[0,0,1] op_sel_hi:[1,1,0] neg_lo:[0,0,1] neg_hi:[0,0,1]
	v_pk_fma_f32 v[142:143], v[142:143], v[132:133], v[146:147] op_sel:[0,0,1] op_sel_hi:[1,0,0]
	v_mov_b32_e32 v149, v143
	v_pk_mul_f32 v[142:143], v[144:145], v[134:135] op_sel:[0,1]
	s_delay_alu instid0(VALU_DEP_2) | instskip(NEXT) | instid1(VALU_DEP_2)
	v_pk_add_f32 v[28:29], v[28:29], v[148:149] neg_lo:[0,1] neg_hi:[0,1]
	v_pk_fma_f32 v[146:147], v[144:145], v[132:133], v[142:143] op_sel:[0,0,1] op_sel_hi:[1,1,0] neg_lo:[0,0,1] neg_hi:[0,0,1]
	v_pk_fma_f32 v[142:143], v[144:145], v[132:133], v[142:143] op_sel:[0,0,1] op_sel_hi:[1,0,0]
	s_delay_alu instid0(VALU_DEP_1) | instskip(SKIP_4) | instid1(VALU_DEP_1)
	v_mov_b32_e32 v147, v143
	ds_load_2addr_b64 v[142:145], v136 offset0:53 offset1:54
	v_pk_add_f32 v[68:69], v[68:69], v[146:147] neg_lo:[0,1] neg_hi:[0,1]
	s_wait_dscnt 0x0
	v_pk_mul_f32 v[146:147], v[142:143], v[134:135] op_sel:[0,1]
	v_pk_fma_f32 v[148:149], v[142:143], v[132:133], v[146:147] op_sel:[0,0,1] op_sel_hi:[1,1,0] neg_lo:[0,0,1] neg_hi:[0,0,1]
	v_pk_fma_f32 v[142:143], v[142:143], v[132:133], v[146:147] op_sel:[0,0,1] op_sel_hi:[1,0,0]
	v_dual_mul_f32 v146, v145, v135 :: v_dual_mov_b32 v142, v145
	s_delay_alu instid0(VALU_DEP_2) | instskip(NEXT) | instid1(VALU_DEP_2)
	v_dual_mov_b32 v149, v143 :: v_dual_mov_b32 v143, v144
	v_pk_fma_f32 v[146:147], v[144:145], v[104:105], v[146:147] op_sel_hi:[1,1,0] neg_lo:[0,0,1] neg_hi:[0,0,1]
	v_mul_f32_e32 v144, v145, v132
	s_delay_alu instid0(VALU_DEP_3) | instskip(NEXT) | instid1(VALU_DEP_2)
	v_pk_add_f32 v[66:67], v[66:67], v[148:149] neg_lo:[0,1] neg_hi:[0,1]
	v_pk_fma_f32 v[142:143], v[142:143], v[104:105], v[144:145] op_sel_hi:[1,1,0]
	s_delay_alu instid0(VALU_DEP_1) | instskip(SKIP_4) | instid1(VALU_DEP_1)
	v_mov_b32_e32 v147, v143
	ds_load_2addr_b64 v[142:145], v136 offset0:55 offset1:56
	v_pk_add_f32 v[10:11], v[10:11], v[146:147] neg_lo:[0,1] neg_hi:[0,1]
	s_wait_dscnt 0x0
	v_pk_mul_f32 v[146:147], v[142:143], v[134:135] op_sel:[0,1]
	v_pk_fma_f32 v[148:149], v[142:143], v[132:133], v[146:147] op_sel:[0,0,1] op_sel_hi:[1,1,0] neg_lo:[0,0,1] neg_hi:[0,0,1]
	v_pk_fma_f32 v[142:143], v[142:143], v[132:133], v[146:147] op_sel:[0,0,1] op_sel_hi:[1,0,0]
	s_delay_alu instid0(VALU_DEP_1) | instskip(SKIP_1) | instid1(VALU_DEP_1)
	v_mov_b32_e32 v149, v143
	v_pk_mul_f32 v[142:143], v[144:145], v[134:135] op_sel:[0,1]
	v_pk_fma_f32 v[146:147], v[144:145], v[132:133], v[142:143] op_sel:[0,0,1] op_sel_hi:[1,1,0] neg_lo:[0,0,1] neg_hi:[0,0,1]
	v_pk_fma_f32 v[142:143], v[144:145], v[132:133], v[142:143] op_sel:[0,0,1] op_sel_hi:[1,0,0]
	s_delay_alu instid0(VALU_DEP_1)
	v_mov_b32_e32 v147, v143
	ds_load_2addr_b64 v[142:145], v136 offset0:57 offset1:58
	v_pk_add_f32 v[8:9], v[8:9], v[148:149] neg_lo:[0,1] neg_hi:[0,1]
	v_pk_add_f32 v[34:35], v[34:35], v[146:147] neg_lo:[0,1] neg_hi:[0,1]
	s_wait_dscnt 0x0
	v_pk_mul_f32 v[146:147], v[142:143], v[134:135] op_sel:[0,1]
	s_delay_alu instid0(VALU_DEP_1) | instskip(SKIP_1) | instid1(VALU_DEP_1)
	v_pk_fma_f32 v[148:149], v[142:143], v[132:133], v[146:147] op_sel:[0,0,1] op_sel_hi:[1,1,0] neg_lo:[0,0,1] neg_hi:[0,0,1]
	v_pk_fma_f32 v[142:143], v[142:143], v[132:133], v[146:147] op_sel:[0,0,1] op_sel_hi:[1,0,0]
	v_mov_b32_e32 v149, v143
	v_pk_mul_f32 v[142:143], v[144:145], v[134:135] op_sel:[0,1]
	s_delay_alu instid0(VALU_DEP_1) | instskip(SKIP_1) | instid1(VALU_DEP_1)
	v_pk_fma_f32 v[146:147], v[144:145], v[132:133], v[142:143] op_sel:[0,0,1] op_sel_hi:[1,1,0] neg_lo:[0,0,1] neg_hi:[0,0,1]
	v_pk_fma_f32 v[142:143], v[144:145], v[132:133], v[142:143] op_sel:[0,0,1] op_sel_hi:[1,0,0]
	v_mov_b32_e32 v147, v143
	ds_load_2addr_b64 v[142:145], v136 offset0:59 offset1:60
	v_pk_add_f32 v[30:31], v[30:31], v[148:149] neg_lo:[0,1] neg_hi:[0,1]
	v_pk_add_f32 v[6:7], v[6:7], v[146:147] neg_lo:[0,1] neg_hi:[0,1]
	s_wait_dscnt 0x0
	v_dual_mul_f32 v146, v143, v135 :: v_dual_mul_f32 v148, v143, v132
	s_delay_alu instid0(VALU_DEP_1) | instskip(NEXT) | instid1(VALU_DEP_2)
	v_pk_fma_f32 v[146:147], v[142:143], v[104:105], v[146:147] op_sel_hi:[1,1,0] neg_lo:[0,0,1] neg_hi:[0,0,1]
	v_pk_fma_f32 v[142:143], v[142:143], v[104:105], v[148:149] op_sel:[1,0,0] op_sel_hi:[0,1,0]
	s_delay_alu instid0(VALU_DEP_1) | instskip(SKIP_1) | instid1(VALU_DEP_2)
	v_mov_b32_e32 v147, v143
	v_pk_mul_f32 v[142:143], v[144:145], v[134:135] op_sel:[0,1]
	v_pk_add_f32 v[26:27], v[26:27], v[146:147] neg_lo:[0,1] neg_hi:[0,1]
	s_delay_alu instid0(VALU_DEP_2) | instskip(SKIP_1) | instid1(VALU_DEP_1)
	v_pk_fma_f32 v[146:147], v[144:145], v[132:133], v[142:143] op_sel:[0,0,1] op_sel_hi:[1,1,0] neg_lo:[0,0,1] neg_hi:[0,0,1]
	v_pk_fma_f32 v[142:143], v[144:145], v[132:133], v[142:143] op_sel:[0,0,1] op_sel_hi:[1,0,0]
	v_mov_b32_e32 v147, v143
	ds_load_2addr_b64 v[142:145], v136 offset0:61 offset1:62
	v_pk_add_f32 v[14:15], v[14:15], v[146:147] neg_lo:[0,1] neg_hi:[0,1]
	s_wait_dscnt 0x0
	v_pk_mul_f32 v[146:147], v[142:143], v[134:135] op_sel:[0,1]
	v_mul_f32_e32 v134, v145, v135
	s_delay_alu instid0(VALU_DEP_2) | instskip(SKIP_2) | instid1(VALU_DEP_4)
	v_pk_fma_f32 v[148:149], v[142:143], v[132:133], v[146:147] op_sel:[0,0,1] op_sel_hi:[1,1,0] neg_lo:[0,0,1] neg_hi:[0,0,1]
	v_pk_fma_f32 v[142:143], v[142:143], v[132:133], v[146:147] op_sel:[0,0,1] op_sel_hi:[1,0,0]
	v_dual_mov_b32 v142, v145 :: v_dual_mul_f32 v132, v145, v132
	v_pk_fma_f32 v[134:135], v[144:145], v[104:105], v[134:135] op_sel_hi:[1,1,0] neg_lo:[0,0,1] neg_hi:[0,0,1]
	s_delay_alu instid0(VALU_DEP_3) | instskip(NEXT) | instid1(VALU_DEP_1)
	v_dual_mov_b32 v149, v143 :: v_dual_mov_b32 v143, v144
	v_pk_add_f32 v[12:13], v[12:13], v[148:149] neg_lo:[0,1] neg_hi:[0,1]
	s_delay_alu instid0(VALU_DEP_2) | instskip(NEXT) | instid1(VALU_DEP_1)
	v_pk_fma_f32 v[132:133], v[142:143], v[104:105], v[132:133] op_sel_hi:[1,1,0]
	v_mov_b32_e32 v135, v133
	s_delay_alu instid0(VALU_DEP_1)
	v_pk_add_f32 v[130:131], v[130:131], v[134:135] neg_lo:[0,1] neg_hi:[0,1]
.LBB124_440:
	s_or_b32 exec_lo, exec_lo, s0
	v_lshl_add_u32 v132, v140, 3, v136
	s_barrier_signal -1
	s_barrier_wait -1
	ds_store_b64 v132, v[102:103]
	s_wait_dscnt 0x0
	s_barrier_signal -1
	s_barrier_wait -1
	ds_load_b64 v[134:135], v136 offset:168
	v_mov_b32_e32 v132, 21
	s_cmp_lt_i32 s18, 23
	s_cbranch_scc1 .LBB124_443
; %bb.441:
	v_add3_u32 v133, v137, 0, 0xb0
	v_mov_b32_e32 v132, 21
	s_mov_b32 s0, 22
.LBB124_442:                            ; =>This Inner Loop Header: Depth=1
	ds_load_b64 v[142:143], v133
	s_wait_dscnt 0x1
	v_cmp_gt_f32_e32 vcc_lo, 0, v134
	v_cndmask_b32_e64 v144, v134, -v134, vcc_lo
	v_cmp_gt_f32_e32 vcc_lo, 0, v135
	v_cndmask_b32_e64 v146, v135, -v135, vcc_lo
	s_wait_dscnt 0x0
	v_cmp_gt_f32_e32 vcc_lo, 0, v142
	v_cndmask_b32_e64 v145, v142, -v142, vcc_lo
	v_cmp_gt_f32_e32 vcc_lo, 0, v143
	v_cndmask_b32_e64 v147, v143, -v143, vcc_lo
	s_delay_alu instid0(VALU_DEP_1) | instskip(NEXT) | instid1(VALU_DEP_1)
	v_pk_add_f32 v[144:145], v[144:145], v[146:147]
	v_cmp_lt_f32_e32 vcc_lo, v144, v145
	v_dual_add_nc_u32 v133, 8, v133 :: v_dual_cndmask_b32 v135, v135, v143, vcc_lo
	v_cndmask_b32_e32 v134, v134, v142, vcc_lo
	v_cndmask_b32_e64 v132, v132, s0, vcc_lo
	s_add_co_i32 s0, s0, 1
	s_delay_alu instid0(SALU_CYCLE_1)
	s_cmp_lg_u32 s18, s0
	s_cbranch_scc1 .LBB124_442
.LBB124_443:
	s_wait_dscnt 0x0
	v_cmp_eq_f32_e32 vcc_lo, 0, v134
	v_cmp_eq_f32_e64 s0, 0, v135
	s_and_b32 s0, vcc_lo, s0
	s_delay_alu instid0(SALU_CYCLE_1) | instskip(NEXT) | instid1(SALU_CYCLE_1)
	s_and_saveexec_b32 s1, s0
	s_xor_b32 s0, exec_lo, s1
; %bb.444:
	v_cmp_ne_u32_e32 vcc_lo, 0, v138
	v_cndmask_b32_e32 v138, 22, v138, vcc_lo
; %bb.445:
	s_and_not1_saveexec_b32 s0, s0
	s_cbranch_execz .LBB124_451
; %bb.446:
	v_cmp_ngt_f32_e64 s1, |v134|, |v135|
	s_and_saveexec_b32 s12, s1
	s_delay_alu instid0(SALU_CYCLE_1)
	s_xor_b32 s1, exec_lo, s12
	s_cbranch_execz .LBB124_448
; %bb.447:
	v_div_scale_f32 v133, null, v135, v135, v134
	v_div_scale_f32 v143, vcc_lo, v134, v135, v134
	s_delay_alu instid0(VALU_DEP_2) | instskip(SKIP_1) | instid1(TRANS32_DEP_1)
	v_rcp_f32_e32 v141, v133
	v_nop
	v_fma_f32 v142, -v133, v141, 1.0
	s_delay_alu instid0(VALU_DEP_1) | instskip(NEXT) | instid1(VALU_DEP_1)
	v_fmac_f32_e32 v141, v142, v141
	v_mul_f32_e32 v142, v143, v141
	s_delay_alu instid0(VALU_DEP_1) | instskip(NEXT) | instid1(VALU_DEP_1)
	v_fma_f32 v144, -v133, v142, v143
	v_fmac_f32_e32 v142, v144, v141
	s_delay_alu instid0(VALU_DEP_1) | instskip(NEXT) | instid1(VALU_DEP_1)
	v_fma_f32 v133, -v133, v142, v143
	v_div_fmas_f32 v133, v133, v141, v142
	s_delay_alu instid0(VALU_DEP_1) | instskip(NEXT) | instid1(VALU_DEP_1)
	v_div_fixup_f32 v133, v133, v135, v134
	v_fmac_f32_e32 v135, v134, v133
	s_delay_alu instid0(VALU_DEP_1) | instskip(SKIP_1) | instid1(VALU_DEP_2)
	v_div_scale_f32 v134, null, v135, v135, 1.0
	v_div_scale_f32 v143, vcc_lo, 1.0, v135, 1.0
	v_rcp_f32_e32 v141, v134
	v_nop
	s_delay_alu instid0(TRANS32_DEP_1) | instskip(NEXT) | instid1(VALU_DEP_1)
	v_fma_f32 v142, -v134, v141, 1.0
	v_fmac_f32_e32 v141, v142, v141
	s_delay_alu instid0(VALU_DEP_1) | instskip(NEXT) | instid1(VALU_DEP_1)
	v_mul_f32_e32 v142, v143, v141
	v_fma_f32 v144, -v134, v142, v143
	s_delay_alu instid0(VALU_DEP_1) | instskip(NEXT) | instid1(VALU_DEP_1)
	v_fmac_f32_e32 v142, v144, v141
	v_fma_f32 v134, -v134, v142, v143
	s_delay_alu instid0(VALU_DEP_1) | instskip(NEXT) | instid1(VALU_DEP_1)
	v_div_fmas_f32 v134, v134, v141, v142
	v_div_fixup_f32 v135, v134, v135, 1.0
	s_delay_alu instid0(VALU_DEP_1)
	v_mul_f32_e32 v134, v133, v135
	v_xor_b32_e32 v135, 0x80000000, v135
.LBB124_448:
	s_and_not1_saveexec_b32 s1, s1
	s_cbranch_execz .LBB124_450
; %bb.449:
	s_delay_alu instid0(VALU_DEP_1) | instskip(SKIP_1) | instid1(VALU_DEP_2)
	v_div_scale_f32 v133, null, v134, v134, v135
	v_div_scale_f32 v143, vcc_lo, v135, v134, v135
	v_rcp_f32_e32 v141, v133
	v_nop
	s_delay_alu instid0(TRANS32_DEP_1) | instskip(NEXT) | instid1(VALU_DEP_1)
	v_fma_f32 v142, -v133, v141, 1.0
	v_fmac_f32_e32 v141, v142, v141
	s_delay_alu instid0(VALU_DEP_1) | instskip(NEXT) | instid1(VALU_DEP_1)
	v_mul_f32_e32 v142, v143, v141
	v_fma_f32 v144, -v133, v142, v143
	s_delay_alu instid0(VALU_DEP_1) | instskip(NEXT) | instid1(VALU_DEP_1)
	v_fmac_f32_e32 v142, v144, v141
	v_fma_f32 v133, -v133, v142, v143
	s_delay_alu instid0(VALU_DEP_1) | instskip(NEXT) | instid1(VALU_DEP_1)
	v_div_fmas_f32 v133, v133, v141, v142
	v_div_fixup_f32 v133, v133, v134, v135
	s_delay_alu instid0(VALU_DEP_1) | instskip(NEXT) | instid1(VALU_DEP_1)
	v_fmac_f32_e32 v134, v135, v133
	v_div_scale_f32 v135, null, v134, v134, 1.0
	s_delay_alu instid0(VALU_DEP_1) | instskip(SKIP_1) | instid1(TRANS32_DEP_1)
	v_rcp_f32_e32 v141, v135
	v_nop
	v_fma_f32 v142, -v135, v141, 1.0
	s_delay_alu instid0(VALU_DEP_1) | instskip(SKIP_1) | instid1(VALU_DEP_1)
	v_fmac_f32_e32 v141, v142, v141
	v_div_scale_f32 v142, vcc_lo, 1.0, v134, 1.0
	v_mul_f32_e32 v143, v142, v141
	s_delay_alu instid0(VALU_DEP_1) | instskip(NEXT) | instid1(VALU_DEP_1)
	v_fma_f32 v144, -v135, v143, v142
	v_fmac_f32_e32 v143, v144, v141
	s_delay_alu instid0(VALU_DEP_1) | instskip(NEXT) | instid1(VALU_DEP_1)
	v_fma_f32 v135, -v135, v143, v142
	v_div_fmas_f32 v135, v135, v141, v143
	s_delay_alu instid0(VALU_DEP_1) | instskip(NEXT) | instid1(VALU_DEP_1)
	v_div_fixup_f32 v134, v135, v134, 1.0
	v_mul_f32_e64 v135, v133, -v134
.LBB124_450:
	s_or_b32 exec_lo, exec_lo, s1
.LBB124_451:
	s_delay_alu instid0(SALU_CYCLE_1) | instskip(NEXT) | instid1(SALU_CYCLE_1)
	s_or_b32 exec_lo, exec_lo, s0
	s_mov_b32 s0, exec_lo
	v_cmpx_ne_u32_e64 v140, v132
	s_xor_b32 s0, exec_lo, s0
	s_cbranch_execz .LBB124_457
; %bb.452:
	s_mov_b32 s1, exec_lo
	v_cmpx_eq_u32_e32 21, v140
	s_cbranch_execz .LBB124_456
; %bb.453:
	v_cmp_ne_u32_e32 vcc_lo, 21, v132
	s_xor_b32 s12, s16, -1
	s_delay_alu instid0(SALU_CYCLE_1) | instskip(NEXT) | instid1(SALU_CYCLE_1)
	s_and_b32 s13, s12, vcc_lo
	s_and_saveexec_b32 s12, s13
	s_cbranch_execz .LBB124_455
; %bb.454:
	v_ashrrev_i32_e32 v133, 31, v132
	s_delay_alu instid0(VALU_DEP_1)
	v_lshl_add_u64 v[140:141], v[132:133], 2, v[4:5]
	s_clause 0x1
	global_load_b32 v133, v[140:141], off
	global_load_b32 v139, v[4:5], off offset:84
	s_wait_loadcnt 0x1
	global_store_b32 v[4:5], v133, off offset:84
	s_wait_loadcnt 0x0
	global_store_b32 v[140:141], v139, off
.LBB124_455:
	s_wait_xcnt 0x0
	s_or_b32 exec_lo, exec_lo, s12
	v_dual_mov_b32 v140, v132 :: v_dual_mov_b32 v139, v132
.LBB124_456:
	s_or_b32 exec_lo, exec_lo, s1
.LBB124_457:
	s_and_not1_saveexec_b32 s0, s0
	s_cbranch_execz .LBB124_459
; %bb.458:
	v_dual_mov_b32 v132, v52 :: v_dual_mov_b32 v133, v53
	v_dual_mov_b32 v140, v50 :: v_dual_mov_b32 v141, v51
	ds_store_2addr_b64 v136, v[132:133], v[140:141] offset0:22 offset1:23
	v_dual_mov_b32 v132, v100 :: v_dual_mov_b32 v133, v101
	v_dual_mov_b32 v140, v98 :: v_dual_mov_b32 v141, v99
	ds_store_2addr_b64 v136, v[132:133], v[140:141] offset0:24 offset1:25
	;; [unrolled: 3-line block ×20, first 2 shown]
	ds_store_b64 v136, v[130:131] offset:496
	v_mov_b32_e32 v140, 21
.LBB124_459:
	s_or_b32 exec_lo, exec_lo, s0
	s_delay_alu instid0(SALU_CYCLE_1)
	s_mov_b32 s0, exec_lo
	s_wait_storecnt_dscnt 0x0
	s_barrier_signal -1
	s_barrier_wait -1
	v_cmpx_lt_i32_e32 21, v140
	s_cbranch_execz .LBB124_461
; %bb.460:
	v_pk_mul_f32 v[142:143], v[134:135], v[102:103] op_sel:[1,1] op_sel_hi:[0,1]
	s_delay_alu instid0(VALU_DEP_1)
	v_pk_fma_f32 v[132:133], v[134:135], v[102:103], v[142:143] op_sel_hi:[1,0,1] neg_lo:[0,0,1] neg_hi:[0,0,1]
	v_pk_fma_f32 v[134:135], v[134:135], v[102:103], v[142:143] op_sel_hi:[1,0,1]
	ds_load_2addr_b64 v[142:145], v136 offset0:22 offset1:23
	v_dual_mov_b32 v102, v132 :: v_dual_mov_b32 v103, v135
	s_wait_dscnt 0x0
	v_pk_mul_f32 v[146:147], v[142:143], v[134:135] op_sel:[0,1]
	s_delay_alu instid0(VALU_DEP_1) | instskip(SKIP_1) | instid1(VALU_DEP_1)
	v_pk_fma_f32 v[148:149], v[142:143], v[132:133], v[146:147] op_sel:[0,0,1] op_sel_hi:[1,1,0] neg_lo:[0,0,1] neg_hi:[0,0,1]
	v_pk_fma_f32 v[142:143], v[142:143], v[132:133], v[146:147] op_sel:[0,0,1] op_sel_hi:[1,0,0]
	v_mov_b32_e32 v149, v143
	v_pk_mul_f32 v[142:143], v[144:145], v[134:135] op_sel:[0,1]
	s_delay_alu instid0(VALU_DEP_1) | instskip(SKIP_1) | instid1(VALU_DEP_1)
	v_pk_fma_f32 v[146:147], v[144:145], v[132:133], v[142:143] op_sel:[0,0,1] op_sel_hi:[1,1,0] neg_lo:[0,0,1] neg_hi:[0,0,1]
	v_pk_fma_f32 v[142:143], v[144:145], v[132:133], v[142:143] op_sel:[0,0,1] op_sel_hi:[1,0,0]
	v_mov_b32_e32 v147, v143
	ds_load_2addr_b64 v[142:145], v136 offset0:24 offset1:25
	v_pk_add_f32 v[52:53], v[52:53], v[148:149] neg_lo:[0,1] neg_hi:[0,1]
	v_pk_add_f32 v[50:51], v[50:51], v[146:147] neg_lo:[0,1] neg_hi:[0,1]
	s_wait_dscnt 0x0
	v_pk_mul_f32 v[146:147], v[142:143], v[134:135] op_sel:[0,1]
	s_delay_alu instid0(VALU_DEP_1) | instskip(SKIP_2) | instid1(VALU_DEP_2)
	v_pk_fma_f32 v[148:149], v[142:143], v[132:133], v[146:147] op_sel:[0,0,1] op_sel_hi:[1,1,0] neg_lo:[0,0,1] neg_hi:[0,0,1]
	v_pk_fma_f32 v[142:143], v[142:143], v[132:133], v[146:147] op_sel:[0,0,1] op_sel_hi:[1,0,0]
	v_dual_mul_f32 v146, v145, v135 :: v_dual_mov_b32 v142, v145
	v_dual_mov_b32 v149, v143 :: v_dual_mov_b32 v143, v144
	s_delay_alu instid0(VALU_DEP_2) | instskip(SKIP_1) | instid1(VALU_DEP_3)
	v_pk_fma_f32 v[146:147], v[144:145], v[102:103], v[146:147] op_sel_hi:[1,1,0] neg_lo:[0,0,1] neg_hi:[0,0,1]
	v_mul_f32_e32 v144, v145, v132
	v_pk_add_f32 v[100:101], v[100:101], v[148:149] neg_lo:[0,1] neg_hi:[0,1]
	s_delay_alu instid0(VALU_DEP_2) | instskip(NEXT) | instid1(VALU_DEP_1)
	v_pk_fma_f32 v[142:143], v[142:143], v[102:103], v[144:145] op_sel_hi:[1,1,0]
	v_mov_b32_e32 v147, v143
	ds_load_2addr_b64 v[142:145], v136 offset0:26 offset1:27
	v_pk_add_f32 v[98:99], v[98:99], v[146:147] neg_lo:[0,1] neg_hi:[0,1]
	s_wait_dscnt 0x0
	v_pk_mul_f32 v[146:147], v[142:143], v[134:135] op_sel:[0,1]
	s_delay_alu instid0(VALU_DEP_1) | instskip(SKIP_1) | instid1(VALU_DEP_1)
	v_pk_fma_f32 v[148:149], v[142:143], v[132:133], v[146:147] op_sel:[0,0,1] op_sel_hi:[1,1,0] neg_lo:[0,0,1] neg_hi:[0,0,1]
	v_pk_fma_f32 v[142:143], v[142:143], v[132:133], v[146:147] op_sel:[0,0,1] op_sel_hi:[1,0,0]
	v_mov_b32_e32 v149, v143
	v_pk_mul_f32 v[142:143], v[144:145], v[134:135] op_sel:[0,1]
	s_delay_alu instid0(VALU_DEP_1) | instskip(SKIP_1) | instid1(VALU_DEP_1)
	v_pk_fma_f32 v[146:147], v[144:145], v[132:133], v[142:143] op_sel:[0,0,1] op_sel_hi:[1,1,0] neg_lo:[0,0,1] neg_hi:[0,0,1]
	v_pk_fma_f32 v[142:143], v[144:145], v[132:133], v[142:143] op_sel:[0,0,1] op_sel_hi:[1,0,0]
	v_mov_b32_e32 v147, v143
	ds_load_2addr_b64 v[142:145], v136 offset0:28 offset1:29
	v_pk_add_f32 v[48:49], v[48:49], v[148:149] neg_lo:[0,1] neg_hi:[0,1]
	v_pk_add_f32 v[46:47], v[46:47], v[146:147] neg_lo:[0,1] neg_hi:[0,1]
	s_wait_dscnt 0x0
	v_pk_mul_f32 v[146:147], v[142:143], v[134:135] op_sel:[0,1]
	s_delay_alu instid0(VALU_DEP_1) | instskip(SKIP_1) | instid1(VALU_DEP_1)
	v_pk_fma_f32 v[148:149], v[142:143], v[132:133], v[146:147] op_sel:[0,0,1] op_sel_hi:[1,1,0] neg_lo:[0,0,1] neg_hi:[0,0,1]
	v_pk_fma_f32 v[142:143], v[142:143], v[132:133], v[146:147] op_sel:[0,0,1] op_sel_hi:[1,0,0]
	v_mov_b32_e32 v149, v143
	v_pk_mul_f32 v[142:143], v[144:145], v[134:135] op_sel:[0,1]
	s_delay_alu instid0(VALU_DEP_1) | instskip(SKIP_1) | instid1(VALU_DEP_1)
	v_pk_fma_f32 v[146:147], v[144:145], v[132:133], v[142:143] op_sel:[0,0,1] op_sel_hi:[1,1,0] neg_lo:[0,0,1] neg_hi:[0,0,1]
	v_pk_fma_f32 v[142:143], v[144:145], v[132:133], v[142:143] op_sel:[0,0,1] op_sel_hi:[1,0,0]
	v_mov_b32_e32 v147, v143
	ds_load_2addr_b64 v[142:145], v136 offset0:30 offset1:31
	v_pk_add_f32 v[96:97], v[96:97], v[148:149] neg_lo:[0,1] neg_hi:[0,1]
	v_pk_add_f32 v[94:95], v[94:95], v[146:147] neg_lo:[0,1] neg_hi:[0,1]
	s_wait_dscnt 0x0
	v_dual_mul_f32 v146, v143, v135 :: v_dual_mul_f32 v148, v143, v132
	s_delay_alu instid0(VALU_DEP_1) | instskip(NEXT) | instid1(VALU_DEP_2)
	v_pk_fma_f32 v[146:147], v[142:143], v[102:103], v[146:147] op_sel_hi:[1,1,0] neg_lo:[0,0,1] neg_hi:[0,0,1]
	v_pk_fma_f32 v[142:143], v[142:143], v[102:103], v[148:149] op_sel:[1,0,0] op_sel_hi:[0,1,0]
	s_delay_alu instid0(VALU_DEP_1) | instskip(SKIP_1) | instid1(VALU_DEP_2)
	v_mov_b32_e32 v147, v143
	v_pk_mul_f32 v[142:143], v[144:145], v[134:135] op_sel:[0,1]
	v_pk_add_f32 v[44:45], v[44:45], v[146:147] neg_lo:[0,1] neg_hi:[0,1]
	s_delay_alu instid0(VALU_DEP_2) | instskip(SKIP_1) | instid1(VALU_DEP_1)
	v_pk_fma_f32 v[146:147], v[144:145], v[132:133], v[142:143] op_sel:[0,0,1] op_sel_hi:[1,1,0] neg_lo:[0,0,1] neg_hi:[0,0,1]
	v_pk_fma_f32 v[142:143], v[144:145], v[132:133], v[142:143] op_sel:[0,0,1] op_sel_hi:[1,0,0]
	v_mov_b32_e32 v147, v143
	ds_load_2addr_b64 v[142:145], v136 offset0:32 offset1:33
	v_pk_add_f32 v[42:43], v[42:43], v[146:147] neg_lo:[0,1] neg_hi:[0,1]
	s_wait_dscnt 0x0
	v_pk_mul_f32 v[146:147], v[142:143], v[134:135] op_sel:[0,1]
	s_delay_alu instid0(VALU_DEP_1) | instskip(SKIP_1) | instid1(VALU_DEP_1)
	v_pk_fma_f32 v[148:149], v[142:143], v[132:133], v[146:147] op_sel:[0,0,1] op_sel_hi:[1,1,0] neg_lo:[0,0,1] neg_hi:[0,0,1]
	v_pk_fma_f32 v[142:143], v[142:143], v[132:133], v[146:147] op_sel:[0,0,1] op_sel_hi:[1,0,0]
	v_mov_b32_e32 v149, v143
	v_pk_mul_f32 v[142:143], v[144:145], v[134:135] op_sel:[0,1]
	s_delay_alu instid0(VALU_DEP_2) | instskip(NEXT) | instid1(VALU_DEP_2)
	v_pk_add_f32 v[92:93], v[92:93], v[148:149] neg_lo:[0,1] neg_hi:[0,1]
	v_pk_fma_f32 v[146:147], v[144:145], v[132:133], v[142:143] op_sel:[0,0,1] op_sel_hi:[1,1,0] neg_lo:[0,0,1] neg_hi:[0,0,1]
	v_pk_fma_f32 v[142:143], v[144:145], v[132:133], v[142:143] op_sel:[0,0,1] op_sel_hi:[1,0,0]
	s_delay_alu instid0(VALU_DEP_1) | instskip(SKIP_4) | instid1(VALU_DEP_1)
	v_mov_b32_e32 v147, v143
	ds_load_2addr_b64 v[142:145], v136 offset0:34 offset1:35
	v_pk_add_f32 v[90:91], v[90:91], v[146:147] neg_lo:[0,1] neg_hi:[0,1]
	s_wait_dscnt 0x0
	v_pk_mul_f32 v[146:147], v[142:143], v[134:135] op_sel:[0,1]
	v_pk_fma_f32 v[148:149], v[142:143], v[132:133], v[146:147] op_sel:[0,0,1] op_sel_hi:[1,1,0] neg_lo:[0,0,1] neg_hi:[0,0,1]
	v_pk_fma_f32 v[142:143], v[142:143], v[132:133], v[146:147] op_sel:[0,0,1] op_sel_hi:[1,0,0]
	v_dual_mul_f32 v146, v145, v135 :: v_dual_mov_b32 v142, v145
	s_delay_alu instid0(VALU_DEP_2) | instskip(NEXT) | instid1(VALU_DEP_2)
	v_dual_mov_b32 v149, v143 :: v_dual_mov_b32 v143, v144
	v_pk_fma_f32 v[146:147], v[144:145], v[102:103], v[146:147] op_sel_hi:[1,1,0] neg_lo:[0,0,1] neg_hi:[0,0,1]
	v_mul_f32_e32 v144, v145, v132
	s_delay_alu instid0(VALU_DEP_3) | instskip(NEXT) | instid1(VALU_DEP_2)
	v_pk_add_f32 v[40:41], v[40:41], v[148:149] neg_lo:[0,1] neg_hi:[0,1]
	v_pk_fma_f32 v[142:143], v[142:143], v[102:103], v[144:145] op_sel_hi:[1,1,0]
	s_delay_alu instid0(VALU_DEP_1) | instskip(SKIP_4) | instid1(VALU_DEP_1)
	v_mov_b32_e32 v147, v143
	ds_load_2addr_b64 v[142:145], v136 offset0:36 offset1:37
	v_pk_add_f32 v[38:39], v[38:39], v[146:147] neg_lo:[0,1] neg_hi:[0,1]
	s_wait_dscnt 0x0
	v_pk_mul_f32 v[146:147], v[142:143], v[134:135] op_sel:[0,1]
	v_pk_fma_f32 v[148:149], v[142:143], v[132:133], v[146:147] op_sel:[0,0,1] op_sel_hi:[1,1,0] neg_lo:[0,0,1] neg_hi:[0,0,1]
	v_pk_fma_f32 v[142:143], v[142:143], v[132:133], v[146:147] op_sel:[0,0,1] op_sel_hi:[1,0,0]
	s_delay_alu instid0(VALU_DEP_1) | instskip(SKIP_1) | instid1(VALU_DEP_1)
	v_mov_b32_e32 v149, v143
	v_pk_mul_f32 v[142:143], v[144:145], v[134:135] op_sel:[0,1]
	v_pk_fma_f32 v[146:147], v[144:145], v[132:133], v[142:143] op_sel:[0,0,1] op_sel_hi:[1,1,0] neg_lo:[0,0,1] neg_hi:[0,0,1]
	v_pk_fma_f32 v[142:143], v[144:145], v[132:133], v[142:143] op_sel:[0,0,1] op_sel_hi:[1,0,0]
	s_delay_alu instid0(VALU_DEP_1)
	v_mov_b32_e32 v147, v143
	ds_load_2addr_b64 v[142:145], v136 offset0:38 offset1:39
	v_pk_add_f32 v[88:89], v[88:89], v[148:149] neg_lo:[0,1] neg_hi:[0,1]
	v_pk_add_f32 v[86:87], v[86:87], v[146:147] neg_lo:[0,1] neg_hi:[0,1]
	s_wait_dscnt 0x0
	v_pk_mul_f32 v[146:147], v[142:143], v[134:135] op_sel:[0,1]
	s_delay_alu instid0(VALU_DEP_1) | instskip(SKIP_1) | instid1(VALU_DEP_1)
	v_pk_fma_f32 v[148:149], v[142:143], v[132:133], v[146:147] op_sel:[0,0,1] op_sel_hi:[1,1,0] neg_lo:[0,0,1] neg_hi:[0,0,1]
	v_pk_fma_f32 v[142:143], v[142:143], v[132:133], v[146:147] op_sel:[0,0,1] op_sel_hi:[1,0,0]
	v_mov_b32_e32 v149, v143
	v_pk_mul_f32 v[142:143], v[144:145], v[134:135] op_sel:[0,1]
	s_delay_alu instid0(VALU_DEP_1) | instskip(SKIP_1) | instid1(VALU_DEP_1)
	v_pk_fma_f32 v[146:147], v[144:145], v[132:133], v[142:143] op_sel:[0,0,1] op_sel_hi:[1,1,0] neg_lo:[0,0,1] neg_hi:[0,0,1]
	v_pk_fma_f32 v[142:143], v[144:145], v[132:133], v[142:143] op_sel:[0,0,1] op_sel_hi:[1,0,0]
	v_mov_b32_e32 v147, v143
	ds_load_2addr_b64 v[142:145], v136 offset0:40 offset1:41
	v_pk_add_f32 v[36:37], v[36:37], v[148:149] neg_lo:[0,1] neg_hi:[0,1]
	v_pk_add_f32 v[32:33], v[32:33], v[146:147] neg_lo:[0,1] neg_hi:[0,1]
	s_wait_dscnt 0x0
	v_dual_mul_f32 v146, v143, v135 :: v_dual_mul_f32 v148, v143, v132
	s_delay_alu instid0(VALU_DEP_1) | instskip(NEXT) | instid1(VALU_DEP_2)
	v_pk_fma_f32 v[146:147], v[142:143], v[102:103], v[146:147] op_sel_hi:[1,1,0] neg_lo:[0,0,1] neg_hi:[0,0,1]
	v_pk_fma_f32 v[142:143], v[142:143], v[102:103], v[148:149] op_sel:[1,0,0] op_sel_hi:[0,1,0]
	s_delay_alu instid0(VALU_DEP_1) | instskip(SKIP_1) | instid1(VALU_DEP_2)
	v_mov_b32_e32 v147, v143
	v_pk_mul_f32 v[142:143], v[144:145], v[134:135] op_sel:[0,1]
	v_pk_add_f32 v[84:85], v[84:85], v[146:147] neg_lo:[0,1] neg_hi:[0,1]
	s_delay_alu instid0(VALU_DEP_2) | instskip(SKIP_1) | instid1(VALU_DEP_1)
	v_pk_fma_f32 v[146:147], v[144:145], v[132:133], v[142:143] op_sel:[0,0,1] op_sel_hi:[1,1,0] neg_lo:[0,0,1] neg_hi:[0,0,1]
	v_pk_fma_f32 v[142:143], v[144:145], v[132:133], v[142:143] op_sel:[0,0,1] op_sel_hi:[1,0,0]
	v_mov_b32_e32 v147, v143
	ds_load_2addr_b64 v[142:145], v136 offset0:42 offset1:43
	v_pk_add_f32 v[82:83], v[82:83], v[146:147] neg_lo:[0,1] neg_hi:[0,1]
	s_wait_dscnt 0x0
	v_pk_mul_f32 v[146:147], v[142:143], v[134:135] op_sel:[0,1]
	s_delay_alu instid0(VALU_DEP_1) | instskip(SKIP_1) | instid1(VALU_DEP_1)
	v_pk_fma_f32 v[148:149], v[142:143], v[132:133], v[146:147] op_sel:[0,0,1] op_sel_hi:[1,1,0] neg_lo:[0,0,1] neg_hi:[0,0,1]
	v_pk_fma_f32 v[142:143], v[142:143], v[132:133], v[146:147] op_sel:[0,0,1] op_sel_hi:[1,0,0]
	v_mov_b32_e32 v149, v143
	v_pk_mul_f32 v[142:143], v[144:145], v[134:135] op_sel:[0,1]
	s_delay_alu instid0(VALU_DEP_2) | instskip(NEXT) | instid1(VALU_DEP_2)
	v_pk_add_f32 v[24:25], v[24:25], v[148:149] neg_lo:[0,1] neg_hi:[0,1]
	v_pk_fma_f32 v[146:147], v[144:145], v[132:133], v[142:143] op_sel:[0,0,1] op_sel_hi:[1,1,0] neg_lo:[0,0,1] neg_hi:[0,0,1]
	v_pk_fma_f32 v[142:143], v[144:145], v[132:133], v[142:143] op_sel:[0,0,1] op_sel_hi:[1,0,0]
	s_delay_alu instid0(VALU_DEP_1) | instskip(SKIP_4) | instid1(VALU_DEP_1)
	v_mov_b32_e32 v147, v143
	ds_load_2addr_b64 v[142:145], v136 offset0:44 offset1:45
	v_pk_add_f32 v[22:23], v[22:23], v[146:147] neg_lo:[0,1] neg_hi:[0,1]
	s_wait_dscnt 0x0
	v_pk_mul_f32 v[146:147], v[142:143], v[134:135] op_sel:[0,1]
	v_pk_fma_f32 v[148:149], v[142:143], v[132:133], v[146:147] op_sel:[0,0,1] op_sel_hi:[1,1,0] neg_lo:[0,0,1] neg_hi:[0,0,1]
	v_pk_fma_f32 v[142:143], v[142:143], v[132:133], v[146:147] op_sel:[0,0,1] op_sel_hi:[1,0,0]
	v_dual_mul_f32 v146, v145, v135 :: v_dual_mov_b32 v142, v145
	s_delay_alu instid0(VALU_DEP_2) | instskip(NEXT) | instid1(VALU_DEP_2)
	v_dual_mov_b32 v149, v143 :: v_dual_mov_b32 v143, v144
	v_pk_fma_f32 v[146:147], v[144:145], v[102:103], v[146:147] op_sel_hi:[1,1,0] neg_lo:[0,0,1] neg_hi:[0,0,1]
	v_mul_f32_e32 v144, v145, v132
	s_delay_alu instid0(VALU_DEP_3) | instskip(NEXT) | instid1(VALU_DEP_2)
	v_pk_add_f32 v[80:81], v[80:81], v[148:149] neg_lo:[0,1] neg_hi:[0,1]
	v_pk_fma_f32 v[142:143], v[142:143], v[102:103], v[144:145] op_sel_hi:[1,1,0]
	s_delay_alu instid0(VALU_DEP_1) | instskip(SKIP_4) | instid1(VALU_DEP_1)
	v_mov_b32_e32 v147, v143
	ds_load_2addr_b64 v[142:145], v136 offset0:46 offset1:47
	v_pk_add_f32 v[78:79], v[78:79], v[146:147] neg_lo:[0,1] neg_hi:[0,1]
	s_wait_dscnt 0x0
	v_pk_mul_f32 v[146:147], v[142:143], v[134:135] op_sel:[0,1]
	v_pk_fma_f32 v[148:149], v[142:143], v[132:133], v[146:147] op_sel:[0,0,1] op_sel_hi:[1,1,0] neg_lo:[0,0,1] neg_hi:[0,0,1]
	v_pk_fma_f32 v[142:143], v[142:143], v[132:133], v[146:147] op_sel:[0,0,1] op_sel_hi:[1,0,0]
	s_delay_alu instid0(VALU_DEP_1) | instskip(SKIP_1) | instid1(VALU_DEP_1)
	v_mov_b32_e32 v149, v143
	v_pk_mul_f32 v[142:143], v[144:145], v[134:135] op_sel:[0,1]
	v_pk_fma_f32 v[146:147], v[144:145], v[132:133], v[142:143] op_sel:[0,0,1] op_sel_hi:[1,1,0] neg_lo:[0,0,1] neg_hi:[0,0,1]
	v_pk_fma_f32 v[142:143], v[144:145], v[132:133], v[142:143] op_sel:[0,0,1] op_sel_hi:[1,0,0]
	s_delay_alu instid0(VALU_DEP_1)
	v_mov_b32_e32 v147, v143
	ds_load_2addr_b64 v[142:145], v136 offset0:48 offset1:49
	v_pk_add_f32 v[20:21], v[20:21], v[148:149] neg_lo:[0,1] neg_hi:[0,1]
	v_pk_add_f32 v[18:19], v[18:19], v[146:147] neg_lo:[0,1] neg_hi:[0,1]
	s_wait_dscnt 0x0
	v_pk_mul_f32 v[146:147], v[142:143], v[134:135] op_sel:[0,1]
	s_delay_alu instid0(VALU_DEP_1) | instskip(SKIP_1) | instid1(VALU_DEP_1)
	v_pk_fma_f32 v[148:149], v[142:143], v[132:133], v[146:147] op_sel:[0,0,1] op_sel_hi:[1,1,0] neg_lo:[0,0,1] neg_hi:[0,0,1]
	v_pk_fma_f32 v[142:143], v[142:143], v[132:133], v[146:147] op_sel:[0,0,1] op_sel_hi:[1,0,0]
	v_mov_b32_e32 v149, v143
	v_pk_mul_f32 v[142:143], v[144:145], v[134:135] op_sel:[0,1]
	s_delay_alu instid0(VALU_DEP_1) | instskip(SKIP_1) | instid1(VALU_DEP_1)
	v_pk_fma_f32 v[146:147], v[144:145], v[132:133], v[142:143] op_sel:[0,0,1] op_sel_hi:[1,1,0] neg_lo:[0,0,1] neg_hi:[0,0,1]
	v_pk_fma_f32 v[142:143], v[144:145], v[132:133], v[142:143] op_sel:[0,0,1] op_sel_hi:[1,0,0]
	v_mov_b32_e32 v147, v143
	ds_load_2addr_b64 v[142:145], v136 offset0:50 offset1:51
	v_pk_add_f32 v[76:77], v[76:77], v[148:149] neg_lo:[0,1] neg_hi:[0,1]
	v_pk_add_f32 v[74:75], v[74:75], v[146:147] neg_lo:[0,1] neg_hi:[0,1]
	s_wait_dscnt 0x0
	v_dual_mul_f32 v146, v143, v135 :: v_dual_mul_f32 v148, v143, v132
	s_delay_alu instid0(VALU_DEP_1) | instskip(NEXT) | instid1(VALU_DEP_2)
	v_pk_fma_f32 v[146:147], v[142:143], v[102:103], v[146:147] op_sel_hi:[1,1,0] neg_lo:[0,0,1] neg_hi:[0,0,1]
	v_pk_fma_f32 v[142:143], v[142:143], v[102:103], v[148:149] op_sel:[1,0,0] op_sel_hi:[0,1,0]
	s_delay_alu instid0(VALU_DEP_1) | instskip(SKIP_1) | instid1(VALU_DEP_2)
	v_mov_b32_e32 v147, v143
	v_pk_mul_f32 v[142:143], v[144:145], v[134:135] op_sel:[0,1]
	v_pk_add_f32 v[16:17], v[16:17], v[146:147] neg_lo:[0,1] neg_hi:[0,1]
	s_delay_alu instid0(VALU_DEP_2) | instskip(SKIP_1) | instid1(VALU_DEP_1)
	v_pk_fma_f32 v[146:147], v[144:145], v[132:133], v[142:143] op_sel:[0,0,1] op_sel_hi:[1,1,0] neg_lo:[0,0,1] neg_hi:[0,0,1]
	v_pk_fma_f32 v[142:143], v[144:145], v[132:133], v[142:143] op_sel:[0,0,1] op_sel_hi:[1,0,0]
	v_mov_b32_e32 v147, v143
	ds_load_2addr_b64 v[142:145], v136 offset0:52 offset1:53
	v_pk_add_f32 v[28:29], v[28:29], v[146:147] neg_lo:[0,1] neg_hi:[0,1]
	s_wait_dscnt 0x0
	v_pk_mul_f32 v[146:147], v[142:143], v[134:135] op_sel:[0,1]
	s_delay_alu instid0(VALU_DEP_1) | instskip(SKIP_1) | instid1(VALU_DEP_1)
	v_pk_fma_f32 v[148:149], v[142:143], v[132:133], v[146:147] op_sel:[0,0,1] op_sel_hi:[1,1,0] neg_lo:[0,0,1] neg_hi:[0,0,1]
	v_pk_fma_f32 v[142:143], v[142:143], v[132:133], v[146:147] op_sel:[0,0,1] op_sel_hi:[1,0,0]
	v_mov_b32_e32 v149, v143
	v_pk_mul_f32 v[142:143], v[144:145], v[134:135] op_sel:[0,1]
	s_delay_alu instid0(VALU_DEP_2) | instskip(NEXT) | instid1(VALU_DEP_2)
	v_pk_add_f32 v[68:69], v[68:69], v[148:149] neg_lo:[0,1] neg_hi:[0,1]
	v_pk_fma_f32 v[146:147], v[144:145], v[132:133], v[142:143] op_sel:[0,0,1] op_sel_hi:[1,1,0] neg_lo:[0,0,1] neg_hi:[0,0,1]
	v_pk_fma_f32 v[142:143], v[144:145], v[132:133], v[142:143] op_sel:[0,0,1] op_sel_hi:[1,0,0]
	s_delay_alu instid0(VALU_DEP_1) | instskip(SKIP_4) | instid1(VALU_DEP_1)
	v_mov_b32_e32 v147, v143
	ds_load_2addr_b64 v[142:145], v136 offset0:54 offset1:55
	v_pk_add_f32 v[66:67], v[66:67], v[146:147] neg_lo:[0,1] neg_hi:[0,1]
	s_wait_dscnt 0x0
	v_pk_mul_f32 v[146:147], v[142:143], v[134:135] op_sel:[0,1]
	v_pk_fma_f32 v[148:149], v[142:143], v[132:133], v[146:147] op_sel:[0,0,1] op_sel_hi:[1,1,0] neg_lo:[0,0,1] neg_hi:[0,0,1]
	v_pk_fma_f32 v[142:143], v[142:143], v[132:133], v[146:147] op_sel:[0,0,1] op_sel_hi:[1,0,0]
	v_dual_mul_f32 v146, v145, v135 :: v_dual_mov_b32 v142, v145
	s_delay_alu instid0(VALU_DEP_2) | instskip(NEXT) | instid1(VALU_DEP_2)
	v_dual_mov_b32 v149, v143 :: v_dual_mov_b32 v143, v144
	v_pk_fma_f32 v[146:147], v[144:145], v[102:103], v[146:147] op_sel_hi:[1,1,0] neg_lo:[0,0,1] neg_hi:[0,0,1]
	v_mul_f32_e32 v144, v145, v132
	s_delay_alu instid0(VALU_DEP_3) | instskip(NEXT) | instid1(VALU_DEP_2)
	v_pk_add_f32 v[10:11], v[10:11], v[148:149] neg_lo:[0,1] neg_hi:[0,1]
	v_pk_fma_f32 v[142:143], v[142:143], v[102:103], v[144:145] op_sel_hi:[1,1,0]
	s_delay_alu instid0(VALU_DEP_1) | instskip(SKIP_4) | instid1(VALU_DEP_1)
	v_mov_b32_e32 v147, v143
	ds_load_2addr_b64 v[142:145], v136 offset0:56 offset1:57
	v_pk_add_f32 v[8:9], v[8:9], v[146:147] neg_lo:[0,1] neg_hi:[0,1]
	s_wait_dscnt 0x0
	v_pk_mul_f32 v[146:147], v[142:143], v[134:135] op_sel:[0,1]
	v_pk_fma_f32 v[148:149], v[142:143], v[132:133], v[146:147] op_sel:[0,0,1] op_sel_hi:[1,1,0] neg_lo:[0,0,1] neg_hi:[0,0,1]
	v_pk_fma_f32 v[142:143], v[142:143], v[132:133], v[146:147] op_sel:[0,0,1] op_sel_hi:[1,0,0]
	s_delay_alu instid0(VALU_DEP_1) | instskip(SKIP_1) | instid1(VALU_DEP_1)
	v_mov_b32_e32 v149, v143
	v_pk_mul_f32 v[142:143], v[144:145], v[134:135] op_sel:[0,1]
	v_pk_fma_f32 v[146:147], v[144:145], v[132:133], v[142:143] op_sel:[0,0,1] op_sel_hi:[1,1,0] neg_lo:[0,0,1] neg_hi:[0,0,1]
	v_pk_fma_f32 v[142:143], v[144:145], v[132:133], v[142:143] op_sel:[0,0,1] op_sel_hi:[1,0,0]
	s_delay_alu instid0(VALU_DEP_1)
	v_mov_b32_e32 v147, v143
	ds_load_2addr_b64 v[142:145], v136 offset0:58 offset1:59
	v_pk_add_f32 v[34:35], v[34:35], v[148:149] neg_lo:[0,1] neg_hi:[0,1]
	v_pk_add_f32 v[30:31], v[30:31], v[146:147] neg_lo:[0,1] neg_hi:[0,1]
	s_wait_dscnt 0x0
	v_pk_mul_f32 v[146:147], v[142:143], v[134:135] op_sel:[0,1]
	s_delay_alu instid0(VALU_DEP_1) | instskip(SKIP_1) | instid1(VALU_DEP_1)
	v_pk_fma_f32 v[148:149], v[142:143], v[132:133], v[146:147] op_sel:[0,0,1] op_sel_hi:[1,1,0] neg_lo:[0,0,1] neg_hi:[0,0,1]
	v_pk_fma_f32 v[142:143], v[142:143], v[132:133], v[146:147] op_sel:[0,0,1] op_sel_hi:[1,0,0]
	v_mov_b32_e32 v149, v143
	v_pk_mul_f32 v[142:143], v[144:145], v[134:135] op_sel:[0,1]
	s_delay_alu instid0(VALU_DEP_1) | instskip(SKIP_1) | instid1(VALU_DEP_1)
	v_pk_fma_f32 v[146:147], v[144:145], v[132:133], v[142:143] op_sel:[0,0,1] op_sel_hi:[1,1,0] neg_lo:[0,0,1] neg_hi:[0,0,1]
	v_pk_fma_f32 v[142:143], v[144:145], v[132:133], v[142:143] op_sel:[0,0,1] op_sel_hi:[1,0,0]
	v_mov_b32_e32 v147, v143
	ds_load_2addr_b64 v[142:145], v136 offset0:60 offset1:61
	v_pk_add_f32 v[6:7], v[6:7], v[148:149] neg_lo:[0,1] neg_hi:[0,1]
	v_pk_add_f32 v[26:27], v[26:27], v[146:147] neg_lo:[0,1] neg_hi:[0,1]
	s_wait_dscnt 0x0
	v_dual_mul_f32 v146, v143, v135 :: v_dual_mul_f32 v148, v143, v132
	s_delay_alu instid0(VALU_DEP_1) | instskip(NEXT) | instid1(VALU_DEP_2)
	v_pk_fma_f32 v[146:147], v[142:143], v[102:103], v[146:147] op_sel_hi:[1,1,0] neg_lo:[0,0,1] neg_hi:[0,0,1]
	v_pk_fma_f32 v[142:143], v[142:143], v[102:103], v[148:149] op_sel:[1,0,0] op_sel_hi:[0,1,0]
	s_delay_alu instid0(VALU_DEP_1) | instskip(SKIP_1) | instid1(VALU_DEP_2)
	v_mov_b32_e32 v147, v143
	v_pk_mul_f32 v[142:143], v[144:145], v[134:135] op_sel:[0,1]
	v_pk_add_f32 v[14:15], v[14:15], v[146:147] neg_lo:[0,1] neg_hi:[0,1]
	s_delay_alu instid0(VALU_DEP_2) | instskip(SKIP_1) | instid1(VALU_DEP_1)
	v_pk_fma_f32 v[146:147], v[144:145], v[132:133], v[142:143] op_sel:[0,0,1] op_sel_hi:[1,1,0] neg_lo:[0,0,1] neg_hi:[0,0,1]
	v_pk_fma_f32 v[142:143], v[144:145], v[132:133], v[142:143] op_sel:[0,0,1] op_sel_hi:[1,0,0]
	v_mov_b32_e32 v147, v143
	ds_load_b64 v[142:143], v136 offset:496
	v_pk_add_f32 v[12:13], v[12:13], v[146:147] neg_lo:[0,1] neg_hi:[0,1]
	s_wait_dscnt 0x0
	v_pk_mul_f32 v[134:135], v[142:143], v[134:135] op_sel:[0,1]
	s_delay_alu instid0(VALU_DEP_1) | instskip(SKIP_1) | instid1(VALU_DEP_1)
	v_pk_fma_f32 v[144:145], v[142:143], v[132:133], v[134:135] op_sel:[0,0,1] op_sel_hi:[1,1,0] neg_lo:[0,0,1] neg_hi:[0,0,1]
	v_pk_fma_f32 v[132:133], v[142:143], v[132:133], v[134:135] op_sel:[0,0,1] op_sel_hi:[1,0,0]
	v_mov_b32_e32 v145, v133
	s_delay_alu instid0(VALU_DEP_1)
	v_pk_add_f32 v[130:131], v[130:131], v[144:145] neg_lo:[0,1] neg_hi:[0,1]
.LBB124_461:
	s_or_b32 exec_lo, exec_lo, s0
	v_lshl_add_u32 v132, v140, 3, v136
	s_barrier_signal -1
	s_barrier_wait -1
	ds_store_b64 v132, v[52:53]
	s_wait_dscnt 0x0
	s_barrier_signal -1
	s_barrier_wait -1
	ds_load_b64 v[134:135], v136 offset:176
	v_mov_b32_e32 v132, 22
	s_cmp_lt_i32 s18, 24
	s_cbranch_scc1 .LBB124_464
; %bb.462:
	v_add3_u32 v133, v137, 0, 0xb8
	v_mov_b32_e32 v132, 22
	s_mov_b32 s0, 23
.LBB124_463:                            ; =>This Inner Loop Header: Depth=1
	ds_load_b64 v[142:143], v133
	s_wait_dscnt 0x1
	v_cmp_gt_f32_e32 vcc_lo, 0, v134
	v_cndmask_b32_e64 v144, v134, -v134, vcc_lo
	v_cmp_gt_f32_e32 vcc_lo, 0, v135
	v_cndmask_b32_e64 v146, v135, -v135, vcc_lo
	s_wait_dscnt 0x0
	v_cmp_gt_f32_e32 vcc_lo, 0, v142
	v_cndmask_b32_e64 v145, v142, -v142, vcc_lo
	v_cmp_gt_f32_e32 vcc_lo, 0, v143
	v_cndmask_b32_e64 v147, v143, -v143, vcc_lo
	s_delay_alu instid0(VALU_DEP_1) | instskip(NEXT) | instid1(VALU_DEP_1)
	v_pk_add_f32 v[144:145], v[144:145], v[146:147]
	v_cmp_lt_f32_e32 vcc_lo, v144, v145
	v_dual_add_nc_u32 v133, 8, v133 :: v_dual_cndmask_b32 v135, v135, v143, vcc_lo
	v_cndmask_b32_e32 v134, v134, v142, vcc_lo
	v_cndmask_b32_e64 v132, v132, s0, vcc_lo
	s_add_co_i32 s0, s0, 1
	s_delay_alu instid0(SALU_CYCLE_1)
	s_cmp_lg_u32 s18, s0
	s_cbranch_scc1 .LBB124_463
.LBB124_464:
	s_wait_dscnt 0x0
	v_cmp_eq_f32_e32 vcc_lo, 0, v134
	v_cmp_eq_f32_e64 s0, 0, v135
	s_and_b32 s0, vcc_lo, s0
	s_delay_alu instid0(SALU_CYCLE_1) | instskip(NEXT) | instid1(SALU_CYCLE_1)
	s_and_saveexec_b32 s1, s0
	s_xor_b32 s0, exec_lo, s1
; %bb.465:
	v_cmp_ne_u32_e32 vcc_lo, 0, v138
	v_cndmask_b32_e32 v138, 23, v138, vcc_lo
; %bb.466:
	s_and_not1_saveexec_b32 s0, s0
	s_cbranch_execz .LBB124_472
; %bb.467:
	v_cmp_ngt_f32_e64 s1, |v134|, |v135|
	s_and_saveexec_b32 s12, s1
	s_delay_alu instid0(SALU_CYCLE_1)
	s_xor_b32 s1, exec_lo, s12
	s_cbranch_execz .LBB124_469
; %bb.468:
	v_div_scale_f32 v133, null, v135, v135, v134
	v_div_scale_f32 v143, vcc_lo, v134, v135, v134
	s_delay_alu instid0(VALU_DEP_2) | instskip(SKIP_1) | instid1(TRANS32_DEP_1)
	v_rcp_f32_e32 v141, v133
	v_nop
	v_fma_f32 v142, -v133, v141, 1.0
	s_delay_alu instid0(VALU_DEP_1) | instskip(NEXT) | instid1(VALU_DEP_1)
	v_fmac_f32_e32 v141, v142, v141
	v_mul_f32_e32 v142, v143, v141
	s_delay_alu instid0(VALU_DEP_1) | instskip(NEXT) | instid1(VALU_DEP_1)
	v_fma_f32 v144, -v133, v142, v143
	v_fmac_f32_e32 v142, v144, v141
	s_delay_alu instid0(VALU_DEP_1) | instskip(NEXT) | instid1(VALU_DEP_1)
	v_fma_f32 v133, -v133, v142, v143
	v_div_fmas_f32 v133, v133, v141, v142
	s_delay_alu instid0(VALU_DEP_1) | instskip(NEXT) | instid1(VALU_DEP_1)
	v_div_fixup_f32 v133, v133, v135, v134
	v_fmac_f32_e32 v135, v134, v133
	s_delay_alu instid0(VALU_DEP_1) | instskip(SKIP_1) | instid1(VALU_DEP_2)
	v_div_scale_f32 v134, null, v135, v135, 1.0
	v_div_scale_f32 v143, vcc_lo, 1.0, v135, 1.0
	v_rcp_f32_e32 v141, v134
	v_nop
	s_delay_alu instid0(TRANS32_DEP_1) | instskip(NEXT) | instid1(VALU_DEP_1)
	v_fma_f32 v142, -v134, v141, 1.0
	v_fmac_f32_e32 v141, v142, v141
	s_delay_alu instid0(VALU_DEP_1) | instskip(NEXT) | instid1(VALU_DEP_1)
	v_mul_f32_e32 v142, v143, v141
	v_fma_f32 v144, -v134, v142, v143
	s_delay_alu instid0(VALU_DEP_1) | instskip(NEXT) | instid1(VALU_DEP_1)
	v_fmac_f32_e32 v142, v144, v141
	v_fma_f32 v134, -v134, v142, v143
	s_delay_alu instid0(VALU_DEP_1) | instskip(NEXT) | instid1(VALU_DEP_1)
	v_div_fmas_f32 v134, v134, v141, v142
	v_div_fixup_f32 v135, v134, v135, 1.0
	s_delay_alu instid0(VALU_DEP_1)
	v_mul_f32_e32 v134, v133, v135
	v_xor_b32_e32 v135, 0x80000000, v135
.LBB124_469:
	s_and_not1_saveexec_b32 s1, s1
	s_cbranch_execz .LBB124_471
; %bb.470:
	s_delay_alu instid0(VALU_DEP_1) | instskip(SKIP_1) | instid1(VALU_DEP_2)
	v_div_scale_f32 v133, null, v134, v134, v135
	v_div_scale_f32 v143, vcc_lo, v135, v134, v135
	v_rcp_f32_e32 v141, v133
	v_nop
	s_delay_alu instid0(TRANS32_DEP_1) | instskip(NEXT) | instid1(VALU_DEP_1)
	v_fma_f32 v142, -v133, v141, 1.0
	v_fmac_f32_e32 v141, v142, v141
	s_delay_alu instid0(VALU_DEP_1) | instskip(NEXT) | instid1(VALU_DEP_1)
	v_mul_f32_e32 v142, v143, v141
	v_fma_f32 v144, -v133, v142, v143
	s_delay_alu instid0(VALU_DEP_1) | instskip(NEXT) | instid1(VALU_DEP_1)
	v_fmac_f32_e32 v142, v144, v141
	v_fma_f32 v133, -v133, v142, v143
	s_delay_alu instid0(VALU_DEP_1) | instskip(NEXT) | instid1(VALU_DEP_1)
	v_div_fmas_f32 v133, v133, v141, v142
	v_div_fixup_f32 v133, v133, v134, v135
	s_delay_alu instid0(VALU_DEP_1) | instskip(NEXT) | instid1(VALU_DEP_1)
	v_fmac_f32_e32 v134, v135, v133
	v_div_scale_f32 v135, null, v134, v134, 1.0
	s_delay_alu instid0(VALU_DEP_1) | instskip(SKIP_1) | instid1(TRANS32_DEP_1)
	v_rcp_f32_e32 v141, v135
	v_nop
	v_fma_f32 v142, -v135, v141, 1.0
	s_delay_alu instid0(VALU_DEP_1) | instskip(SKIP_1) | instid1(VALU_DEP_1)
	v_fmac_f32_e32 v141, v142, v141
	v_div_scale_f32 v142, vcc_lo, 1.0, v134, 1.0
	v_mul_f32_e32 v143, v142, v141
	s_delay_alu instid0(VALU_DEP_1) | instskip(NEXT) | instid1(VALU_DEP_1)
	v_fma_f32 v144, -v135, v143, v142
	v_fmac_f32_e32 v143, v144, v141
	s_delay_alu instid0(VALU_DEP_1) | instskip(NEXT) | instid1(VALU_DEP_1)
	v_fma_f32 v135, -v135, v143, v142
	v_div_fmas_f32 v135, v135, v141, v143
	s_delay_alu instid0(VALU_DEP_1) | instskip(NEXT) | instid1(VALU_DEP_1)
	v_div_fixup_f32 v134, v135, v134, 1.0
	v_mul_f32_e64 v135, v133, -v134
.LBB124_471:
	s_or_b32 exec_lo, exec_lo, s1
.LBB124_472:
	s_delay_alu instid0(SALU_CYCLE_1) | instskip(NEXT) | instid1(SALU_CYCLE_1)
	s_or_b32 exec_lo, exec_lo, s0
	s_mov_b32 s0, exec_lo
	v_cmpx_ne_u32_e64 v140, v132
	s_xor_b32 s0, exec_lo, s0
	s_cbranch_execz .LBB124_478
; %bb.473:
	s_mov_b32 s1, exec_lo
	v_cmpx_eq_u32_e32 22, v140
	s_cbranch_execz .LBB124_477
; %bb.474:
	v_cmp_ne_u32_e32 vcc_lo, 22, v132
	s_xor_b32 s12, s16, -1
	s_delay_alu instid0(SALU_CYCLE_1) | instskip(NEXT) | instid1(SALU_CYCLE_1)
	s_and_b32 s13, s12, vcc_lo
	s_and_saveexec_b32 s12, s13
	s_cbranch_execz .LBB124_476
; %bb.475:
	v_ashrrev_i32_e32 v133, 31, v132
	s_delay_alu instid0(VALU_DEP_1)
	v_lshl_add_u64 v[140:141], v[132:133], 2, v[4:5]
	s_clause 0x1
	global_load_b32 v133, v[140:141], off
	global_load_b32 v139, v[4:5], off offset:88
	s_wait_loadcnt 0x1
	global_store_b32 v[4:5], v133, off offset:88
	s_wait_loadcnt 0x0
	global_store_b32 v[140:141], v139, off
.LBB124_476:
	s_wait_xcnt 0x0
	s_or_b32 exec_lo, exec_lo, s12
	v_dual_mov_b32 v140, v132 :: v_dual_mov_b32 v139, v132
.LBB124_477:
	s_or_b32 exec_lo, exec_lo, s1
.LBB124_478:
	s_and_not1_saveexec_b32 s0, s0
	s_cbranch_execz .LBB124_480
; %bb.479:
	v_mov_b32_e32 v140, 22
	ds_store_2addr_b64 v136, v[50:51], v[100:101] offset0:23 offset1:24
	ds_store_2addr_b64 v136, v[98:99], v[48:49] offset0:25 offset1:26
	ds_store_2addr_b64 v136, v[46:47], v[96:97] offset0:27 offset1:28
	ds_store_2addr_b64 v136, v[94:95], v[44:45] offset0:29 offset1:30
	ds_store_2addr_b64 v136, v[42:43], v[92:93] offset0:31 offset1:32
	ds_store_2addr_b64 v136, v[90:91], v[40:41] offset0:33 offset1:34
	ds_store_2addr_b64 v136, v[38:39], v[88:89] offset0:35 offset1:36
	ds_store_2addr_b64 v136, v[86:87], v[36:37] offset0:37 offset1:38
	ds_store_2addr_b64 v136, v[32:33], v[84:85] offset0:39 offset1:40
	ds_store_2addr_b64 v136, v[82:83], v[24:25] offset0:41 offset1:42
	ds_store_2addr_b64 v136, v[22:23], v[80:81] offset0:43 offset1:44
	ds_store_2addr_b64 v136, v[78:79], v[20:21] offset0:45 offset1:46
	ds_store_2addr_b64 v136, v[18:19], v[76:77] offset0:47 offset1:48
	ds_store_2addr_b64 v136, v[74:75], v[16:17] offset0:49 offset1:50
	ds_store_2addr_b64 v136, v[28:29], v[68:69] offset0:51 offset1:52
	ds_store_2addr_b64 v136, v[66:67], v[10:11] offset0:53 offset1:54
	ds_store_2addr_b64 v136, v[8:9], v[34:35] offset0:55 offset1:56
	ds_store_2addr_b64 v136, v[30:31], v[6:7] offset0:57 offset1:58
	ds_store_2addr_b64 v136, v[26:27], v[14:15] offset0:59 offset1:60
	ds_store_2addr_b64 v136, v[12:13], v[130:131] offset0:61 offset1:62
.LBB124_480:
	s_or_b32 exec_lo, exec_lo, s0
	s_delay_alu instid0(SALU_CYCLE_1)
	s_mov_b32 s0, exec_lo
	s_wait_storecnt_dscnt 0x0
	s_barrier_signal -1
	s_barrier_wait -1
	v_cmpx_lt_i32_e32 22, v140
	s_cbranch_execz .LBB124_482
; %bb.481:
	v_pk_mul_f32 v[142:143], v[134:135], v[52:53] op_sel:[1,1] op_sel_hi:[0,1]
	s_delay_alu instid0(VALU_DEP_1)
	v_pk_fma_f32 v[132:133], v[134:135], v[52:53], v[142:143] op_sel_hi:[1,0,1] neg_lo:[0,0,1] neg_hi:[0,0,1]
	v_pk_fma_f32 v[134:135], v[134:135], v[52:53], v[142:143] op_sel_hi:[1,0,1]
	ds_load_2addr_b64 v[142:145], v136 offset0:23 offset1:24
	v_dual_mov_b32 v52, v132 :: v_dual_mov_b32 v53, v135
	s_wait_dscnt 0x0
	v_pk_mul_f32 v[146:147], v[142:143], v[134:135] op_sel:[0,1]
	s_delay_alu instid0(VALU_DEP_1) | instskip(SKIP_1) | instid1(VALU_DEP_1)
	v_pk_fma_f32 v[148:149], v[142:143], v[132:133], v[146:147] op_sel:[0,0,1] op_sel_hi:[1,1,0] neg_lo:[0,0,1] neg_hi:[0,0,1]
	v_pk_fma_f32 v[142:143], v[142:143], v[132:133], v[146:147] op_sel:[0,0,1] op_sel_hi:[1,0,0]
	v_mov_b32_e32 v149, v143
	v_pk_mul_f32 v[142:143], v[144:145], v[134:135] op_sel:[0,1]
	s_delay_alu instid0(VALU_DEP_1) | instskip(SKIP_1) | instid1(VALU_DEP_1)
	v_pk_fma_f32 v[146:147], v[144:145], v[132:133], v[142:143] op_sel:[0,0,1] op_sel_hi:[1,1,0] neg_lo:[0,0,1] neg_hi:[0,0,1]
	v_pk_fma_f32 v[142:143], v[144:145], v[132:133], v[142:143] op_sel:[0,0,1] op_sel_hi:[1,0,0]
	v_mov_b32_e32 v147, v143
	ds_load_2addr_b64 v[142:145], v136 offset0:25 offset1:26
	v_pk_add_f32 v[50:51], v[50:51], v[148:149] neg_lo:[0,1] neg_hi:[0,1]
	v_pk_add_f32 v[100:101], v[100:101], v[146:147] neg_lo:[0,1] neg_hi:[0,1]
	s_wait_dscnt 0x0
	v_pk_mul_f32 v[146:147], v[142:143], v[134:135] op_sel:[0,1]
	s_delay_alu instid0(VALU_DEP_1) | instskip(SKIP_2) | instid1(VALU_DEP_2)
	v_pk_fma_f32 v[148:149], v[142:143], v[132:133], v[146:147] op_sel:[0,0,1] op_sel_hi:[1,1,0] neg_lo:[0,0,1] neg_hi:[0,0,1]
	v_pk_fma_f32 v[142:143], v[142:143], v[132:133], v[146:147] op_sel:[0,0,1] op_sel_hi:[1,0,0]
	v_dual_mul_f32 v146, v145, v135 :: v_dual_mov_b32 v142, v145
	v_dual_mov_b32 v149, v143 :: v_dual_mov_b32 v143, v144
	s_delay_alu instid0(VALU_DEP_2) | instskip(SKIP_1) | instid1(VALU_DEP_3)
	v_pk_fma_f32 v[146:147], v[144:145], v[52:53], v[146:147] op_sel_hi:[1,1,0] neg_lo:[0,0,1] neg_hi:[0,0,1]
	v_mul_f32_e32 v144, v145, v132
	v_pk_add_f32 v[98:99], v[98:99], v[148:149] neg_lo:[0,1] neg_hi:[0,1]
	s_delay_alu instid0(VALU_DEP_2) | instskip(NEXT) | instid1(VALU_DEP_1)
	v_pk_fma_f32 v[142:143], v[142:143], v[52:53], v[144:145] op_sel_hi:[1,1,0]
	v_mov_b32_e32 v147, v143
	ds_load_2addr_b64 v[142:145], v136 offset0:27 offset1:28
	v_pk_add_f32 v[48:49], v[48:49], v[146:147] neg_lo:[0,1] neg_hi:[0,1]
	s_wait_dscnt 0x0
	v_pk_mul_f32 v[146:147], v[142:143], v[134:135] op_sel:[0,1]
	s_delay_alu instid0(VALU_DEP_1) | instskip(SKIP_1) | instid1(VALU_DEP_1)
	v_pk_fma_f32 v[148:149], v[142:143], v[132:133], v[146:147] op_sel:[0,0,1] op_sel_hi:[1,1,0] neg_lo:[0,0,1] neg_hi:[0,0,1]
	v_pk_fma_f32 v[142:143], v[142:143], v[132:133], v[146:147] op_sel:[0,0,1] op_sel_hi:[1,0,0]
	v_mov_b32_e32 v149, v143
	v_pk_mul_f32 v[142:143], v[144:145], v[134:135] op_sel:[0,1]
	s_delay_alu instid0(VALU_DEP_1) | instskip(SKIP_1) | instid1(VALU_DEP_1)
	v_pk_fma_f32 v[146:147], v[144:145], v[132:133], v[142:143] op_sel:[0,0,1] op_sel_hi:[1,1,0] neg_lo:[0,0,1] neg_hi:[0,0,1]
	v_pk_fma_f32 v[142:143], v[144:145], v[132:133], v[142:143] op_sel:[0,0,1] op_sel_hi:[1,0,0]
	v_mov_b32_e32 v147, v143
	ds_load_2addr_b64 v[142:145], v136 offset0:29 offset1:30
	v_pk_add_f32 v[46:47], v[46:47], v[148:149] neg_lo:[0,1] neg_hi:[0,1]
	v_pk_add_f32 v[96:97], v[96:97], v[146:147] neg_lo:[0,1] neg_hi:[0,1]
	s_wait_dscnt 0x0
	v_pk_mul_f32 v[146:147], v[142:143], v[134:135] op_sel:[0,1]
	s_delay_alu instid0(VALU_DEP_1) | instskip(SKIP_1) | instid1(VALU_DEP_1)
	v_pk_fma_f32 v[148:149], v[142:143], v[132:133], v[146:147] op_sel:[0,0,1] op_sel_hi:[1,1,0] neg_lo:[0,0,1] neg_hi:[0,0,1]
	v_pk_fma_f32 v[142:143], v[142:143], v[132:133], v[146:147] op_sel:[0,0,1] op_sel_hi:[1,0,0]
	v_mov_b32_e32 v149, v143
	v_pk_mul_f32 v[142:143], v[144:145], v[134:135] op_sel:[0,1]
	s_delay_alu instid0(VALU_DEP_1) | instskip(SKIP_1) | instid1(VALU_DEP_1)
	v_pk_fma_f32 v[146:147], v[144:145], v[132:133], v[142:143] op_sel:[0,0,1] op_sel_hi:[1,1,0] neg_lo:[0,0,1] neg_hi:[0,0,1]
	v_pk_fma_f32 v[142:143], v[144:145], v[132:133], v[142:143] op_sel:[0,0,1] op_sel_hi:[1,0,0]
	v_mov_b32_e32 v147, v143
	ds_load_2addr_b64 v[142:145], v136 offset0:31 offset1:32
	v_pk_add_f32 v[94:95], v[94:95], v[148:149] neg_lo:[0,1] neg_hi:[0,1]
	v_pk_add_f32 v[44:45], v[44:45], v[146:147] neg_lo:[0,1] neg_hi:[0,1]
	s_wait_dscnt 0x0
	v_dual_mul_f32 v146, v143, v135 :: v_dual_mul_f32 v148, v143, v132
	s_delay_alu instid0(VALU_DEP_1) | instskip(NEXT) | instid1(VALU_DEP_2)
	v_pk_fma_f32 v[146:147], v[142:143], v[52:53], v[146:147] op_sel_hi:[1,1,0] neg_lo:[0,0,1] neg_hi:[0,0,1]
	v_pk_fma_f32 v[142:143], v[142:143], v[52:53], v[148:149] op_sel:[1,0,0] op_sel_hi:[0,1,0]
	s_delay_alu instid0(VALU_DEP_1) | instskip(SKIP_1) | instid1(VALU_DEP_2)
	v_mov_b32_e32 v147, v143
	v_pk_mul_f32 v[142:143], v[144:145], v[134:135] op_sel:[0,1]
	v_pk_add_f32 v[42:43], v[42:43], v[146:147] neg_lo:[0,1] neg_hi:[0,1]
	s_delay_alu instid0(VALU_DEP_2) | instskip(SKIP_1) | instid1(VALU_DEP_1)
	v_pk_fma_f32 v[146:147], v[144:145], v[132:133], v[142:143] op_sel:[0,0,1] op_sel_hi:[1,1,0] neg_lo:[0,0,1] neg_hi:[0,0,1]
	v_pk_fma_f32 v[142:143], v[144:145], v[132:133], v[142:143] op_sel:[0,0,1] op_sel_hi:[1,0,0]
	v_mov_b32_e32 v147, v143
	ds_load_2addr_b64 v[142:145], v136 offset0:33 offset1:34
	v_pk_add_f32 v[92:93], v[92:93], v[146:147] neg_lo:[0,1] neg_hi:[0,1]
	s_wait_dscnt 0x0
	v_pk_mul_f32 v[146:147], v[142:143], v[134:135] op_sel:[0,1]
	s_delay_alu instid0(VALU_DEP_1) | instskip(SKIP_1) | instid1(VALU_DEP_1)
	v_pk_fma_f32 v[148:149], v[142:143], v[132:133], v[146:147] op_sel:[0,0,1] op_sel_hi:[1,1,0] neg_lo:[0,0,1] neg_hi:[0,0,1]
	v_pk_fma_f32 v[142:143], v[142:143], v[132:133], v[146:147] op_sel:[0,0,1] op_sel_hi:[1,0,0]
	v_mov_b32_e32 v149, v143
	v_pk_mul_f32 v[142:143], v[144:145], v[134:135] op_sel:[0,1]
	s_delay_alu instid0(VALU_DEP_2) | instskip(NEXT) | instid1(VALU_DEP_2)
	v_pk_add_f32 v[90:91], v[90:91], v[148:149] neg_lo:[0,1] neg_hi:[0,1]
	v_pk_fma_f32 v[146:147], v[144:145], v[132:133], v[142:143] op_sel:[0,0,1] op_sel_hi:[1,1,0] neg_lo:[0,0,1] neg_hi:[0,0,1]
	v_pk_fma_f32 v[142:143], v[144:145], v[132:133], v[142:143] op_sel:[0,0,1] op_sel_hi:[1,0,0]
	s_delay_alu instid0(VALU_DEP_1) | instskip(SKIP_4) | instid1(VALU_DEP_1)
	v_mov_b32_e32 v147, v143
	ds_load_2addr_b64 v[142:145], v136 offset0:35 offset1:36
	v_pk_add_f32 v[40:41], v[40:41], v[146:147] neg_lo:[0,1] neg_hi:[0,1]
	s_wait_dscnt 0x0
	v_pk_mul_f32 v[146:147], v[142:143], v[134:135] op_sel:[0,1]
	v_pk_fma_f32 v[148:149], v[142:143], v[132:133], v[146:147] op_sel:[0,0,1] op_sel_hi:[1,1,0] neg_lo:[0,0,1] neg_hi:[0,0,1]
	v_pk_fma_f32 v[142:143], v[142:143], v[132:133], v[146:147] op_sel:[0,0,1] op_sel_hi:[1,0,0]
	v_dual_mul_f32 v146, v145, v135 :: v_dual_mov_b32 v142, v145
	s_delay_alu instid0(VALU_DEP_2) | instskip(NEXT) | instid1(VALU_DEP_2)
	v_dual_mov_b32 v149, v143 :: v_dual_mov_b32 v143, v144
	v_pk_fma_f32 v[146:147], v[144:145], v[52:53], v[146:147] op_sel_hi:[1,1,0] neg_lo:[0,0,1] neg_hi:[0,0,1]
	v_mul_f32_e32 v144, v145, v132
	s_delay_alu instid0(VALU_DEP_3) | instskip(NEXT) | instid1(VALU_DEP_2)
	v_pk_add_f32 v[38:39], v[38:39], v[148:149] neg_lo:[0,1] neg_hi:[0,1]
	v_pk_fma_f32 v[142:143], v[142:143], v[52:53], v[144:145] op_sel_hi:[1,1,0]
	s_delay_alu instid0(VALU_DEP_1) | instskip(SKIP_4) | instid1(VALU_DEP_1)
	v_mov_b32_e32 v147, v143
	ds_load_2addr_b64 v[142:145], v136 offset0:37 offset1:38
	v_pk_add_f32 v[88:89], v[88:89], v[146:147] neg_lo:[0,1] neg_hi:[0,1]
	s_wait_dscnt 0x0
	v_pk_mul_f32 v[146:147], v[142:143], v[134:135] op_sel:[0,1]
	v_pk_fma_f32 v[148:149], v[142:143], v[132:133], v[146:147] op_sel:[0,0,1] op_sel_hi:[1,1,0] neg_lo:[0,0,1] neg_hi:[0,0,1]
	v_pk_fma_f32 v[142:143], v[142:143], v[132:133], v[146:147] op_sel:[0,0,1] op_sel_hi:[1,0,0]
	s_delay_alu instid0(VALU_DEP_1) | instskip(SKIP_1) | instid1(VALU_DEP_1)
	v_mov_b32_e32 v149, v143
	v_pk_mul_f32 v[142:143], v[144:145], v[134:135] op_sel:[0,1]
	v_pk_fma_f32 v[146:147], v[144:145], v[132:133], v[142:143] op_sel:[0,0,1] op_sel_hi:[1,1,0] neg_lo:[0,0,1] neg_hi:[0,0,1]
	v_pk_fma_f32 v[142:143], v[144:145], v[132:133], v[142:143] op_sel:[0,0,1] op_sel_hi:[1,0,0]
	s_delay_alu instid0(VALU_DEP_1)
	v_mov_b32_e32 v147, v143
	ds_load_2addr_b64 v[142:145], v136 offset0:39 offset1:40
	v_pk_add_f32 v[86:87], v[86:87], v[148:149] neg_lo:[0,1] neg_hi:[0,1]
	v_pk_add_f32 v[36:37], v[36:37], v[146:147] neg_lo:[0,1] neg_hi:[0,1]
	s_wait_dscnt 0x0
	v_pk_mul_f32 v[146:147], v[142:143], v[134:135] op_sel:[0,1]
	s_delay_alu instid0(VALU_DEP_1) | instskip(SKIP_1) | instid1(VALU_DEP_1)
	v_pk_fma_f32 v[148:149], v[142:143], v[132:133], v[146:147] op_sel:[0,0,1] op_sel_hi:[1,1,0] neg_lo:[0,0,1] neg_hi:[0,0,1]
	v_pk_fma_f32 v[142:143], v[142:143], v[132:133], v[146:147] op_sel:[0,0,1] op_sel_hi:[1,0,0]
	v_mov_b32_e32 v149, v143
	v_pk_mul_f32 v[142:143], v[144:145], v[134:135] op_sel:[0,1]
	s_delay_alu instid0(VALU_DEP_1) | instskip(SKIP_1) | instid1(VALU_DEP_1)
	v_pk_fma_f32 v[146:147], v[144:145], v[132:133], v[142:143] op_sel:[0,0,1] op_sel_hi:[1,1,0] neg_lo:[0,0,1] neg_hi:[0,0,1]
	v_pk_fma_f32 v[142:143], v[144:145], v[132:133], v[142:143] op_sel:[0,0,1] op_sel_hi:[1,0,0]
	v_mov_b32_e32 v147, v143
	ds_load_2addr_b64 v[142:145], v136 offset0:41 offset1:42
	v_pk_add_f32 v[32:33], v[32:33], v[148:149] neg_lo:[0,1] neg_hi:[0,1]
	v_pk_add_f32 v[84:85], v[84:85], v[146:147] neg_lo:[0,1] neg_hi:[0,1]
	s_wait_dscnt 0x0
	v_dual_mul_f32 v146, v143, v135 :: v_dual_mul_f32 v148, v143, v132
	s_delay_alu instid0(VALU_DEP_1) | instskip(NEXT) | instid1(VALU_DEP_2)
	v_pk_fma_f32 v[146:147], v[142:143], v[52:53], v[146:147] op_sel_hi:[1,1,0] neg_lo:[0,0,1] neg_hi:[0,0,1]
	v_pk_fma_f32 v[142:143], v[142:143], v[52:53], v[148:149] op_sel:[1,0,0] op_sel_hi:[0,1,0]
	s_delay_alu instid0(VALU_DEP_1) | instskip(SKIP_1) | instid1(VALU_DEP_2)
	v_mov_b32_e32 v147, v143
	v_pk_mul_f32 v[142:143], v[144:145], v[134:135] op_sel:[0,1]
	v_pk_add_f32 v[82:83], v[82:83], v[146:147] neg_lo:[0,1] neg_hi:[0,1]
	s_delay_alu instid0(VALU_DEP_2) | instskip(SKIP_1) | instid1(VALU_DEP_1)
	v_pk_fma_f32 v[146:147], v[144:145], v[132:133], v[142:143] op_sel:[0,0,1] op_sel_hi:[1,1,0] neg_lo:[0,0,1] neg_hi:[0,0,1]
	v_pk_fma_f32 v[142:143], v[144:145], v[132:133], v[142:143] op_sel:[0,0,1] op_sel_hi:[1,0,0]
	v_mov_b32_e32 v147, v143
	ds_load_2addr_b64 v[142:145], v136 offset0:43 offset1:44
	v_pk_add_f32 v[24:25], v[24:25], v[146:147] neg_lo:[0,1] neg_hi:[0,1]
	s_wait_dscnt 0x0
	v_pk_mul_f32 v[146:147], v[142:143], v[134:135] op_sel:[0,1]
	s_delay_alu instid0(VALU_DEP_1) | instskip(SKIP_1) | instid1(VALU_DEP_1)
	v_pk_fma_f32 v[148:149], v[142:143], v[132:133], v[146:147] op_sel:[0,0,1] op_sel_hi:[1,1,0] neg_lo:[0,0,1] neg_hi:[0,0,1]
	v_pk_fma_f32 v[142:143], v[142:143], v[132:133], v[146:147] op_sel:[0,0,1] op_sel_hi:[1,0,0]
	v_mov_b32_e32 v149, v143
	v_pk_mul_f32 v[142:143], v[144:145], v[134:135] op_sel:[0,1]
	s_delay_alu instid0(VALU_DEP_2) | instskip(NEXT) | instid1(VALU_DEP_2)
	v_pk_add_f32 v[22:23], v[22:23], v[148:149] neg_lo:[0,1] neg_hi:[0,1]
	v_pk_fma_f32 v[146:147], v[144:145], v[132:133], v[142:143] op_sel:[0,0,1] op_sel_hi:[1,1,0] neg_lo:[0,0,1] neg_hi:[0,0,1]
	v_pk_fma_f32 v[142:143], v[144:145], v[132:133], v[142:143] op_sel:[0,0,1] op_sel_hi:[1,0,0]
	s_delay_alu instid0(VALU_DEP_1) | instskip(SKIP_4) | instid1(VALU_DEP_1)
	v_mov_b32_e32 v147, v143
	ds_load_2addr_b64 v[142:145], v136 offset0:45 offset1:46
	v_pk_add_f32 v[80:81], v[80:81], v[146:147] neg_lo:[0,1] neg_hi:[0,1]
	s_wait_dscnt 0x0
	v_pk_mul_f32 v[146:147], v[142:143], v[134:135] op_sel:[0,1]
	v_pk_fma_f32 v[148:149], v[142:143], v[132:133], v[146:147] op_sel:[0,0,1] op_sel_hi:[1,1,0] neg_lo:[0,0,1] neg_hi:[0,0,1]
	v_pk_fma_f32 v[142:143], v[142:143], v[132:133], v[146:147] op_sel:[0,0,1] op_sel_hi:[1,0,0]
	v_dual_mul_f32 v146, v145, v135 :: v_dual_mov_b32 v142, v145
	s_delay_alu instid0(VALU_DEP_2) | instskip(NEXT) | instid1(VALU_DEP_2)
	v_dual_mov_b32 v149, v143 :: v_dual_mov_b32 v143, v144
	v_pk_fma_f32 v[146:147], v[144:145], v[52:53], v[146:147] op_sel_hi:[1,1,0] neg_lo:[0,0,1] neg_hi:[0,0,1]
	v_mul_f32_e32 v144, v145, v132
	s_delay_alu instid0(VALU_DEP_3) | instskip(NEXT) | instid1(VALU_DEP_2)
	v_pk_add_f32 v[78:79], v[78:79], v[148:149] neg_lo:[0,1] neg_hi:[0,1]
	v_pk_fma_f32 v[142:143], v[142:143], v[52:53], v[144:145] op_sel_hi:[1,1,0]
	s_delay_alu instid0(VALU_DEP_1) | instskip(SKIP_4) | instid1(VALU_DEP_1)
	v_mov_b32_e32 v147, v143
	ds_load_2addr_b64 v[142:145], v136 offset0:47 offset1:48
	v_pk_add_f32 v[20:21], v[20:21], v[146:147] neg_lo:[0,1] neg_hi:[0,1]
	s_wait_dscnt 0x0
	v_pk_mul_f32 v[146:147], v[142:143], v[134:135] op_sel:[0,1]
	v_pk_fma_f32 v[148:149], v[142:143], v[132:133], v[146:147] op_sel:[0,0,1] op_sel_hi:[1,1,0] neg_lo:[0,0,1] neg_hi:[0,0,1]
	v_pk_fma_f32 v[142:143], v[142:143], v[132:133], v[146:147] op_sel:[0,0,1] op_sel_hi:[1,0,0]
	s_delay_alu instid0(VALU_DEP_1) | instskip(SKIP_1) | instid1(VALU_DEP_1)
	v_mov_b32_e32 v149, v143
	v_pk_mul_f32 v[142:143], v[144:145], v[134:135] op_sel:[0,1]
	v_pk_fma_f32 v[146:147], v[144:145], v[132:133], v[142:143] op_sel:[0,0,1] op_sel_hi:[1,1,0] neg_lo:[0,0,1] neg_hi:[0,0,1]
	v_pk_fma_f32 v[142:143], v[144:145], v[132:133], v[142:143] op_sel:[0,0,1] op_sel_hi:[1,0,0]
	s_delay_alu instid0(VALU_DEP_1)
	v_mov_b32_e32 v147, v143
	ds_load_2addr_b64 v[142:145], v136 offset0:49 offset1:50
	v_pk_add_f32 v[18:19], v[18:19], v[148:149] neg_lo:[0,1] neg_hi:[0,1]
	v_pk_add_f32 v[76:77], v[76:77], v[146:147] neg_lo:[0,1] neg_hi:[0,1]
	s_wait_dscnt 0x0
	v_pk_mul_f32 v[146:147], v[142:143], v[134:135] op_sel:[0,1]
	s_delay_alu instid0(VALU_DEP_1) | instskip(SKIP_1) | instid1(VALU_DEP_1)
	v_pk_fma_f32 v[148:149], v[142:143], v[132:133], v[146:147] op_sel:[0,0,1] op_sel_hi:[1,1,0] neg_lo:[0,0,1] neg_hi:[0,0,1]
	v_pk_fma_f32 v[142:143], v[142:143], v[132:133], v[146:147] op_sel:[0,0,1] op_sel_hi:[1,0,0]
	v_mov_b32_e32 v149, v143
	v_pk_mul_f32 v[142:143], v[144:145], v[134:135] op_sel:[0,1]
	s_delay_alu instid0(VALU_DEP_1) | instskip(SKIP_1) | instid1(VALU_DEP_1)
	v_pk_fma_f32 v[146:147], v[144:145], v[132:133], v[142:143] op_sel:[0,0,1] op_sel_hi:[1,1,0] neg_lo:[0,0,1] neg_hi:[0,0,1]
	v_pk_fma_f32 v[142:143], v[144:145], v[132:133], v[142:143] op_sel:[0,0,1] op_sel_hi:[1,0,0]
	v_mov_b32_e32 v147, v143
	ds_load_2addr_b64 v[142:145], v136 offset0:51 offset1:52
	v_pk_add_f32 v[74:75], v[74:75], v[148:149] neg_lo:[0,1] neg_hi:[0,1]
	v_pk_add_f32 v[16:17], v[16:17], v[146:147] neg_lo:[0,1] neg_hi:[0,1]
	s_wait_dscnt 0x0
	v_dual_mul_f32 v146, v143, v135 :: v_dual_mul_f32 v148, v143, v132
	s_delay_alu instid0(VALU_DEP_1) | instskip(NEXT) | instid1(VALU_DEP_2)
	v_pk_fma_f32 v[146:147], v[142:143], v[52:53], v[146:147] op_sel_hi:[1,1,0] neg_lo:[0,0,1] neg_hi:[0,0,1]
	v_pk_fma_f32 v[142:143], v[142:143], v[52:53], v[148:149] op_sel:[1,0,0] op_sel_hi:[0,1,0]
	s_delay_alu instid0(VALU_DEP_1) | instskip(SKIP_1) | instid1(VALU_DEP_2)
	v_mov_b32_e32 v147, v143
	v_pk_mul_f32 v[142:143], v[144:145], v[134:135] op_sel:[0,1]
	v_pk_add_f32 v[28:29], v[28:29], v[146:147] neg_lo:[0,1] neg_hi:[0,1]
	s_delay_alu instid0(VALU_DEP_2) | instskip(SKIP_1) | instid1(VALU_DEP_1)
	v_pk_fma_f32 v[146:147], v[144:145], v[132:133], v[142:143] op_sel:[0,0,1] op_sel_hi:[1,1,0] neg_lo:[0,0,1] neg_hi:[0,0,1]
	v_pk_fma_f32 v[142:143], v[144:145], v[132:133], v[142:143] op_sel:[0,0,1] op_sel_hi:[1,0,0]
	v_mov_b32_e32 v147, v143
	ds_load_2addr_b64 v[142:145], v136 offset0:53 offset1:54
	v_pk_add_f32 v[68:69], v[68:69], v[146:147] neg_lo:[0,1] neg_hi:[0,1]
	s_wait_dscnt 0x0
	v_pk_mul_f32 v[146:147], v[142:143], v[134:135] op_sel:[0,1]
	s_delay_alu instid0(VALU_DEP_1) | instskip(SKIP_1) | instid1(VALU_DEP_1)
	v_pk_fma_f32 v[148:149], v[142:143], v[132:133], v[146:147] op_sel:[0,0,1] op_sel_hi:[1,1,0] neg_lo:[0,0,1] neg_hi:[0,0,1]
	v_pk_fma_f32 v[142:143], v[142:143], v[132:133], v[146:147] op_sel:[0,0,1] op_sel_hi:[1,0,0]
	v_mov_b32_e32 v149, v143
	v_pk_mul_f32 v[142:143], v[144:145], v[134:135] op_sel:[0,1]
	s_delay_alu instid0(VALU_DEP_2) | instskip(NEXT) | instid1(VALU_DEP_2)
	v_pk_add_f32 v[66:67], v[66:67], v[148:149] neg_lo:[0,1] neg_hi:[0,1]
	v_pk_fma_f32 v[146:147], v[144:145], v[132:133], v[142:143] op_sel:[0,0,1] op_sel_hi:[1,1,0] neg_lo:[0,0,1] neg_hi:[0,0,1]
	v_pk_fma_f32 v[142:143], v[144:145], v[132:133], v[142:143] op_sel:[0,0,1] op_sel_hi:[1,0,0]
	s_delay_alu instid0(VALU_DEP_1) | instskip(SKIP_4) | instid1(VALU_DEP_1)
	v_mov_b32_e32 v147, v143
	ds_load_2addr_b64 v[142:145], v136 offset0:55 offset1:56
	v_pk_add_f32 v[10:11], v[10:11], v[146:147] neg_lo:[0,1] neg_hi:[0,1]
	s_wait_dscnt 0x0
	v_pk_mul_f32 v[146:147], v[142:143], v[134:135] op_sel:[0,1]
	v_pk_fma_f32 v[148:149], v[142:143], v[132:133], v[146:147] op_sel:[0,0,1] op_sel_hi:[1,1,0] neg_lo:[0,0,1] neg_hi:[0,0,1]
	v_pk_fma_f32 v[142:143], v[142:143], v[132:133], v[146:147] op_sel:[0,0,1] op_sel_hi:[1,0,0]
	v_dual_mul_f32 v146, v145, v135 :: v_dual_mov_b32 v142, v145
	s_delay_alu instid0(VALU_DEP_2) | instskip(NEXT) | instid1(VALU_DEP_2)
	v_dual_mov_b32 v149, v143 :: v_dual_mov_b32 v143, v144
	v_pk_fma_f32 v[146:147], v[144:145], v[52:53], v[146:147] op_sel_hi:[1,1,0] neg_lo:[0,0,1] neg_hi:[0,0,1]
	v_mul_f32_e32 v144, v145, v132
	s_delay_alu instid0(VALU_DEP_3) | instskip(NEXT) | instid1(VALU_DEP_2)
	v_pk_add_f32 v[8:9], v[8:9], v[148:149] neg_lo:[0,1] neg_hi:[0,1]
	v_pk_fma_f32 v[142:143], v[142:143], v[52:53], v[144:145] op_sel_hi:[1,1,0]
	s_delay_alu instid0(VALU_DEP_1) | instskip(SKIP_4) | instid1(VALU_DEP_1)
	v_mov_b32_e32 v147, v143
	ds_load_2addr_b64 v[142:145], v136 offset0:57 offset1:58
	v_pk_add_f32 v[34:35], v[34:35], v[146:147] neg_lo:[0,1] neg_hi:[0,1]
	s_wait_dscnt 0x0
	v_pk_mul_f32 v[146:147], v[142:143], v[134:135] op_sel:[0,1]
	v_pk_fma_f32 v[148:149], v[142:143], v[132:133], v[146:147] op_sel:[0,0,1] op_sel_hi:[1,1,0] neg_lo:[0,0,1] neg_hi:[0,0,1]
	v_pk_fma_f32 v[142:143], v[142:143], v[132:133], v[146:147] op_sel:[0,0,1] op_sel_hi:[1,0,0]
	s_delay_alu instid0(VALU_DEP_1) | instskip(SKIP_1) | instid1(VALU_DEP_1)
	v_mov_b32_e32 v149, v143
	v_pk_mul_f32 v[142:143], v[144:145], v[134:135] op_sel:[0,1]
	v_pk_fma_f32 v[146:147], v[144:145], v[132:133], v[142:143] op_sel:[0,0,1] op_sel_hi:[1,1,0] neg_lo:[0,0,1] neg_hi:[0,0,1]
	v_pk_fma_f32 v[142:143], v[144:145], v[132:133], v[142:143] op_sel:[0,0,1] op_sel_hi:[1,0,0]
	s_delay_alu instid0(VALU_DEP_1)
	v_mov_b32_e32 v147, v143
	ds_load_2addr_b64 v[142:145], v136 offset0:59 offset1:60
	v_pk_add_f32 v[30:31], v[30:31], v[148:149] neg_lo:[0,1] neg_hi:[0,1]
	v_pk_add_f32 v[6:7], v[6:7], v[146:147] neg_lo:[0,1] neg_hi:[0,1]
	s_wait_dscnt 0x0
	v_pk_mul_f32 v[146:147], v[142:143], v[134:135] op_sel:[0,1]
	s_delay_alu instid0(VALU_DEP_1) | instskip(SKIP_1) | instid1(VALU_DEP_1)
	v_pk_fma_f32 v[148:149], v[142:143], v[132:133], v[146:147] op_sel:[0,0,1] op_sel_hi:[1,1,0] neg_lo:[0,0,1] neg_hi:[0,0,1]
	v_pk_fma_f32 v[142:143], v[142:143], v[132:133], v[146:147] op_sel:[0,0,1] op_sel_hi:[1,0,0]
	v_mov_b32_e32 v149, v143
	v_pk_mul_f32 v[142:143], v[144:145], v[134:135] op_sel:[0,1]
	s_delay_alu instid0(VALU_DEP_1) | instskip(SKIP_1) | instid1(VALU_DEP_1)
	v_pk_fma_f32 v[146:147], v[144:145], v[132:133], v[142:143] op_sel:[0,0,1] op_sel_hi:[1,1,0] neg_lo:[0,0,1] neg_hi:[0,0,1]
	v_pk_fma_f32 v[142:143], v[144:145], v[132:133], v[142:143] op_sel:[0,0,1] op_sel_hi:[1,0,0]
	v_mov_b32_e32 v147, v143
	ds_load_2addr_b64 v[142:145], v136 offset0:61 offset1:62
	v_pk_add_f32 v[26:27], v[26:27], v[148:149] neg_lo:[0,1] neg_hi:[0,1]
	v_pk_add_f32 v[14:15], v[14:15], v[146:147] neg_lo:[0,1] neg_hi:[0,1]
	s_wait_dscnt 0x0
	v_dual_mul_f32 v146, v143, v135 :: v_dual_mul_f32 v148, v143, v132
	v_pk_mul_f32 v[134:135], v[144:145], v[134:135] op_sel:[0,1]
	s_delay_alu instid0(VALU_DEP_2) | instskip(NEXT) | instid1(VALU_DEP_3)
	v_pk_fma_f32 v[146:147], v[142:143], v[52:53], v[146:147] op_sel_hi:[1,1,0] neg_lo:[0,0,1] neg_hi:[0,0,1]
	v_pk_fma_f32 v[142:143], v[142:143], v[52:53], v[148:149] op_sel:[1,0,0] op_sel_hi:[0,1,0]
	s_delay_alu instid0(VALU_DEP_1) | instskip(NEXT) | instid1(VALU_DEP_4)
	v_mov_b32_e32 v147, v143
	v_pk_fma_f32 v[142:143], v[144:145], v[132:133], v[134:135] op_sel:[0,0,1] op_sel_hi:[1,1,0] neg_lo:[0,0,1] neg_hi:[0,0,1]
	v_pk_fma_f32 v[132:133], v[144:145], v[132:133], v[134:135] op_sel:[0,0,1] op_sel_hi:[1,0,0]
	s_delay_alu instid0(VALU_DEP_1) | instskip(NEXT) | instid1(VALU_DEP_4)
	v_mov_b32_e32 v143, v133
	v_pk_add_f32 v[12:13], v[12:13], v[146:147] neg_lo:[0,1] neg_hi:[0,1]
	s_delay_alu instid0(VALU_DEP_2)
	v_pk_add_f32 v[130:131], v[130:131], v[142:143] neg_lo:[0,1] neg_hi:[0,1]
.LBB124_482:
	s_or_b32 exec_lo, exec_lo, s0
	v_lshl_add_u32 v132, v140, 3, v136
	s_barrier_signal -1
	s_barrier_wait -1
	ds_store_b64 v132, v[50:51]
	s_wait_dscnt 0x0
	s_barrier_signal -1
	s_barrier_wait -1
	ds_load_b64 v[134:135], v136 offset:184
	v_mov_b32_e32 v132, 23
	s_cmp_lt_i32 s18, 25
	s_cbranch_scc1 .LBB124_485
; %bb.483:
	v_add3_u32 v133, v137, 0, 0xc0
	v_mov_b32_e32 v132, 23
	s_mov_b32 s0, 24
.LBB124_484:                            ; =>This Inner Loop Header: Depth=1
	ds_load_b64 v[142:143], v133
	s_wait_dscnt 0x1
	v_cmp_gt_f32_e32 vcc_lo, 0, v134
	v_cndmask_b32_e64 v144, v134, -v134, vcc_lo
	v_cmp_gt_f32_e32 vcc_lo, 0, v135
	v_cndmask_b32_e64 v146, v135, -v135, vcc_lo
	s_wait_dscnt 0x0
	v_cmp_gt_f32_e32 vcc_lo, 0, v142
	v_cndmask_b32_e64 v145, v142, -v142, vcc_lo
	v_cmp_gt_f32_e32 vcc_lo, 0, v143
	v_cndmask_b32_e64 v147, v143, -v143, vcc_lo
	s_delay_alu instid0(VALU_DEP_1) | instskip(NEXT) | instid1(VALU_DEP_1)
	v_pk_add_f32 v[144:145], v[144:145], v[146:147]
	v_cmp_lt_f32_e32 vcc_lo, v144, v145
	v_dual_add_nc_u32 v133, 8, v133 :: v_dual_cndmask_b32 v135, v135, v143, vcc_lo
	v_cndmask_b32_e32 v134, v134, v142, vcc_lo
	v_cndmask_b32_e64 v132, v132, s0, vcc_lo
	s_add_co_i32 s0, s0, 1
	s_delay_alu instid0(SALU_CYCLE_1)
	s_cmp_lg_u32 s18, s0
	s_cbranch_scc1 .LBB124_484
.LBB124_485:
	s_wait_dscnt 0x0
	v_cmp_eq_f32_e32 vcc_lo, 0, v134
	v_cmp_eq_f32_e64 s0, 0, v135
	s_and_b32 s0, vcc_lo, s0
	s_delay_alu instid0(SALU_CYCLE_1) | instskip(NEXT) | instid1(SALU_CYCLE_1)
	s_and_saveexec_b32 s1, s0
	s_xor_b32 s0, exec_lo, s1
; %bb.486:
	v_cmp_ne_u32_e32 vcc_lo, 0, v138
	v_cndmask_b32_e32 v138, 24, v138, vcc_lo
; %bb.487:
	s_and_not1_saveexec_b32 s0, s0
	s_cbranch_execz .LBB124_493
; %bb.488:
	v_cmp_ngt_f32_e64 s1, |v134|, |v135|
	s_and_saveexec_b32 s12, s1
	s_delay_alu instid0(SALU_CYCLE_1)
	s_xor_b32 s1, exec_lo, s12
	s_cbranch_execz .LBB124_490
; %bb.489:
	v_div_scale_f32 v133, null, v135, v135, v134
	v_div_scale_f32 v143, vcc_lo, v134, v135, v134
	s_delay_alu instid0(VALU_DEP_2) | instskip(SKIP_1) | instid1(TRANS32_DEP_1)
	v_rcp_f32_e32 v141, v133
	v_nop
	v_fma_f32 v142, -v133, v141, 1.0
	s_delay_alu instid0(VALU_DEP_1) | instskip(NEXT) | instid1(VALU_DEP_1)
	v_fmac_f32_e32 v141, v142, v141
	v_mul_f32_e32 v142, v143, v141
	s_delay_alu instid0(VALU_DEP_1) | instskip(NEXT) | instid1(VALU_DEP_1)
	v_fma_f32 v144, -v133, v142, v143
	v_fmac_f32_e32 v142, v144, v141
	s_delay_alu instid0(VALU_DEP_1) | instskip(NEXT) | instid1(VALU_DEP_1)
	v_fma_f32 v133, -v133, v142, v143
	v_div_fmas_f32 v133, v133, v141, v142
	s_delay_alu instid0(VALU_DEP_1) | instskip(NEXT) | instid1(VALU_DEP_1)
	v_div_fixup_f32 v133, v133, v135, v134
	v_fmac_f32_e32 v135, v134, v133
	s_delay_alu instid0(VALU_DEP_1) | instskip(SKIP_1) | instid1(VALU_DEP_2)
	v_div_scale_f32 v134, null, v135, v135, 1.0
	v_div_scale_f32 v143, vcc_lo, 1.0, v135, 1.0
	v_rcp_f32_e32 v141, v134
	v_nop
	s_delay_alu instid0(TRANS32_DEP_1) | instskip(NEXT) | instid1(VALU_DEP_1)
	v_fma_f32 v142, -v134, v141, 1.0
	v_fmac_f32_e32 v141, v142, v141
	s_delay_alu instid0(VALU_DEP_1) | instskip(NEXT) | instid1(VALU_DEP_1)
	v_mul_f32_e32 v142, v143, v141
	v_fma_f32 v144, -v134, v142, v143
	s_delay_alu instid0(VALU_DEP_1) | instskip(NEXT) | instid1(VALU_DEP_1)
	v_fmac_f32_e32 v142, v144, v141
	v_fma_f32 v134, -v134, v142, v143
	s_delay_alu instid0(VALU_DEP_1) | instskip(NEXT) | instid1(VALU_DEP_1)
	v_div_fmas_f32 v134, v134, v141, v142
	v_div_fixup_f32 v135, v134, v135, 1.0
	s_delay_alu instid0(VALU_DEP_1)
	v_mul_f32_e32 v134, v133, v135
	v_xor_b32_e32 v135, 0x80000000, v135
.LBB124_490:
	s_and_not1_saveexec_b32 s1, s1
	s_cbranch_execz .LBB124_492
; %bb.491:
	s_delay_alu instid0(VALU_DEP_1) | instskip(SKIP_1) | instid1(VALU_DEP_2)
	v_div_scale_f32 v133, null, v134, v134, v135
	v_div_scale_f32 v143, vcc_lo, v135, v134, v135
	v_rcp_f32_e32 v141, v133
	v_nop
	s_delay_alu instid0(TRANS32_DEP_1) | instskip(NEXT) | instid1(VALU_DEP_1)
	v_fma_f32 v142, -v133, v141, 1.0
	v_fmac_f32_e32 v141, v142, v141
	s_delay_alu instid0(VALU_DEP_1) | instskip(NEXT) | instid1(VALU_DEP_1)
	v_mul_f32_e32 v142, v143, v141
	v_fma_f32 v144, -v133, v142, v143
	s_delay_alu instid0(VALU_DEP_1) | instskip(NEXT) | instid1(VALU_DEP_1)
	v_fmac_f32_e32 v142, v144, v141
	v_fma_f32 v133, -v133, v142, v143
	s_delay_alu instid0(VALU_DEP_1) | instskip(NEXT) | instid1(VALU_DEP_1)
	v_div_fmas_f32 v133, v133, v141, v142
	v_div_fixup_f32 v133, v133, v134, v135
	s_delay_alu instid0(VALU_DEP_1) | instskip(NEXT) | instid1(VALU_DEP_1)
	v_fmac_f32_e32 v134, v135, v133
	v_div_scale_f32 v135, null, v134, v134, 1.0
	s_delay_alu instid0(VALU_DEP_1) | instskip(SKIP_1) | instid1(TRANS32_DEP_1)
	v_rcp_f32_e32 v141, v135
	v_nop
	v_fma_f32 v142, -v135, v141, 1.0
	s_delay_alu instid0(VALU_DEP_1) | instskip(SKIP_1) | instid1(VALU_DEP_1)
	v_fmac_f32_e32 v141, v142, v141
	v_div_scale_f32 v142, vcc_lo, 1.0, v134, 1.0
	v_mul_f32_e32 v143, v142, v141
	s_delay_alu instid0(VALU_DEP_1) | instskip(NEXT) | instid1(VALU_DEP_1)
	v_fma_f32 v144, -v135, v143, v142
	v_fmac_f32_e32 v143, v144, v141
	s_delay_alu instid0(VALU_DEP_1) | instskip(NEXT) | instid1(VALU_DEP_1)
	v_fma_f32 v135, -v135, v143, v142
	v_div_fmas_f32 v135, v135, v141, v143
	s_delay_alu instid0(VALU_DEP_1) | instskip(NEXT) | instid1(VALU_DEP_1)
	v_div_fixup_f32 v134, v135, v134, 1.0
	v_mul_f32_e64 v135, v133, -v134
.LBB124_492:
	s_or_b32 exec_lo, exec_lo, s1
.LBB124_493:
	s_delay_alu instid0(SALU_CYCLE_1) | instskip(NEXT) | instid1(SALU_CYCLE_1)
	s_or_b32 exec_lo, exec_lo, s0
	s_mov_b32 s0, exec_lo
	v_cmpx_ne_u32_e64 v140, v132
	s_xor_b32 s0, exec_lo, s0
	s_cbranch_execz .LBB124_499
; %bb.494:
	s_mov_b32 s1, exec_lo
	v_cmpx_eq_u32_e32 23, v140
	s_cbranch_execz .LBB124_498
; %bb.495:
	v_cmp_ne_u32_e32 vcc_lo, 23, v132
	s_xor_b32 s12, s16, -1
	s_delay_alu instid0(SALU_CYCLE_1) | instskip(NEXT) | instid1(SALU_CYCLE_1)
	s_and_b32 s13, s12, vcc_lo
	s_and_saveexec_b32 s12, s13
	s_cbranch_execz .LBB124_497
; %bb.496:
	v_ashrrev_i32_e32 v133, 31, v132
	s_delay_alu instid0(VALU_DEP_1)
	v_lshl_add_u64 v[140:141], v[132:133], 2, v[4:5]
	s_clause 0x1
	global_load_b32 v133, v[140:141], off
	global_load_b32 v139, v[4:5], off offset:92
	s_wait_loadcnt 0x1
	global_store_b32 v[4:5], v133, off offset:92
	s_wait_loadcnt 0x0
	global_store_b32 v[140:141], v139, off
.LBB124_497:
	s_wait_xcnt 0x0
	s_or_b32 exec_lo, exec_lo, s12
	v_dual_mov_b32 v140, v132 :: v_dual_mov_b32 v139, v132
.LBB124_498:
	s_or_b32 exec_lo, exec_lo, s1
.LBB124_499:
	s_and_not1_saveexec_b32 s0, s0
	s_cbranch_execz .LBB124_501
; %bb.500:
	v_dual_mov_b32 v132, v100 :: v_dual_mov_b32 v133, v101
	v_dual_mov_b32 v140, v98 :: v_dual_mov_b32 v141, v99
	ds_store_2addr_b64 v136, v[132:133], v[140:141] offset0:24 offset1:25
	v_dual_mov_b32 v132, v48 :: v_dual_mov_b32 v133, v49
	v_dual_mov_b32 v140, v46 :: v_dual_mov_b32 v141, v47
	ds_store_2addr_b64 v136, v[132:133], v[140:141] offset0:26 offset1:27
	;; [unrolled: 3-line block ×19, first 2 shown]
	ds_store_b64 v136, v[130:131] offset:496
	v_mov_b32_e32 v140, 23
.LBB124_501:
	s_or_b32 exec_lo, exec_lo, s0
	s_delay_alu instid0(SALU_CYCLE_1)
	s_mov_b32 s0, exec_lo
	s_wait_storecnt_dscnt 0x0
	s_barrier_signal -1
	s_barrier_wait -1
	v_cmpx_lt_i32_e32 23, v140
	s_cbranch_execz .LBB124_503
; %bb.502:
	v_pk_mul_f32 v[142:143], v[134:135], v[50:51] op_sel:[1,1] op_sel_hi:[0,1]
	s_delay_alu instid0(VALU_DEP_1)
	v_pk_fma_f32 v[132:133], v[134:135], v[50:51], v[142:143] op_sel_hi:[1,0,1] neg_lo:[0,0,1] neg_hi:[0,0,1]
	v_pk_fma_f32 v[134:135], v[134:135], v[50:51], v[142:143] op_sel_hi:[1,0,1]
	ds_load_2addr_b64 v[142:145], v136 offset0:24 offset1:25
	v_dual_mov_b32 v50, v132 :: v_dual_mov_b32 v51, v135
	s_wait_dscnt 0x0
	v_pk_mul_f32 v[146:147], v[142:143], v[134:135] op_sel:[0,1]
	s_delay_alu instid0(VALU_DEP_1) | instskip(SKIP_1) | instid1(VALU_DEP_1)
	v_pk_fma_f32 v[148:149], v[142:143], v[132:133], v[146:147] op_sel:[0,0,1] op_sel_hi:[1,1,0] neg_lo:[0,0,1] neg_hi:[0,0,1]
	v_pk_fma_f32 v[142:143], v[142:143], v[132:133], v[146:147] op_sel:[0,0,1] op_sel_hi:[1,0,0]
	v_mov_b32_e32 v149, v143
	v_pk_mul_f32 v[142:143], v[144:145], v[134:135] op_sel:[0,1]
	s_delay_alu instid0(VALU_DEP_1) | instskip(SKIP_1) | instid1(VALU_DEP_1)
	v_pk_fma_f32 v[146:147], v[144:145], v[132:133], v[142:143] op_sel:[0,0,1] op_sel_hi:[1,1,0] neg_lo:[0,0,1] neg_hi:[0,0,1]
	v_pk_fma_f32 v[142:143], v[144:145], v[132:133], v[142:143] op_sel:[0,0,1] op_sel_hi:[1,0,0]
	v_mov_b32_e32 v147, v143
	ds_load_2addr_b64 v[142:145], v136 offset0:26 offset1:27
	v_pk_add_f32 v[100:101], v[100:101], v[148:149] neg_lo:[0,1] neg_hi:[0,1]
	v_pk_add_f32 v[98:99], v[98:99], v[146:147] neg_lo:[0,1] neg_hi:[0,1]
	s_wait_dscnt 0x0
	v_pk_mul_f32 v[146:147], v[142:143], v[134:135] op_sel:[0,1]
	s_delay_alu instid0(VALU_DEP_1) | instskip(SKIP_2) | instid1(VALU_DEP_2)
	v_pk_fma_f32 v[148:149], v[142:143], v[132:133], v[146:147] op_sel:[0,0,1] op_sel_hi:[1,1,0] neg_lo:[0,0,1] neg_hi:[0,0,1]
	v_pk_fma_f32 v[142:143], v[142:143], v[132:133], v[146:147] op_sel:[0,0,1] op_sel_hi:[1,0,0]
	v_dual_mul_f32 v146, v145, v135 :: v_dual_mov_b32 v142, v145
	v_dual_mov_b32 v149, v143 :: v_dual_mov_b32 v143, v144
	s_delay_alu instid0(VALU_DEP_2) | instskip(SKIP_1) | instid1(VALU_DEP_3)
	v_pk_fma_f32 v[146:147], v[144:145], v[50:51], v[146:147] op_sel_hi:[1,1,0] neg_lo:[0,0,1] neg_hi:[0,0,1]
	v_mul_f32_e32 v144, v145, v132
	v_pk_add_f32 v[48:49], v[48:49], v[148:149] neg_lo:[0,1] neg_hi:[0,1]
	s_delay_alu instid0(VALU_DEP_2) | instskip(NEXT) | instid1(VALU_DEP_1)
	v_pk_fma_f32 v[142:143], v[142:143], v[50:51], v[144:145] op_sel_hi:[1,1,0]
	v_mov_b32_e32 v147, v143
	ds_load_2addr_b64 v[142:145], v136 offset0:28 offset1:29
	v_pk_add_f32 v[46:47], v[46:47], v[146:147] neg_lo:[0,1] neg_hi:[0,1]
	s_wait_dscnt 0x0
	v_pk_mul_f32 v[146:147], v[142:143], v[134:135] op_sel:[0,1]
	s_delay_alu instid0(VALU_DEP_1) | instskip(SKIP_1) | instid1(VALU_DEP_1)
	v_pk_fma_f32 v[148:149], v[142:143], v[132:133], v[146:147] op_sel:[0,0,1] op_sel_hi:[1,1,0] neg_lo:[0,0,1] neg_hi:[0,0,1]
	v_pk_fma_f32 v[142:143], v[142:143], v[132:133], v[146:147] op_sel:[0,0,1] op_sel_hi:[1,0,0]
	v_mov_b32_e32 v149, v143
	v_pk_mul_f32 v[142:143], v[144:145], v[134:135] op_sel:[0,1]
	s_delay_alu instid0(VALU_DEP_1) | instskip(SKIP_1) | instid1(VALU_DEP_1)
	v_pk_fma_f32 v[146:147], v[144:145], v[132:133], v[142:143] op_sel:[0,0,1] op_sel_hi:[1,1,0] neg_lo:[0,0,1] neg_hi:[0,0,1]
	v_pk_fma_f32 v[142:143], v[144:145], v[132:133], v[142:143] op_sel:[0,0,1] op_sel_hi:[1,0,0]
	v_mov_b32_e32 v147, v143
	ds_load_2addr_b64 v[142:145], v136 offset0:30 offset1:31
	v_pk_add_f32 v[96:97], v[96:97], v[148:149] neg_lo:[0,1] neg_hi:[0,1]
	v_pk_add_f32 v[94:95], v[94:95], v[146:147] neg_lo:[0,1] neg_hi:[0,1]
	s_wait_dscnt 0x0
	v_pk_mul_f32 v[146:147], v[142:143], v[134:135] op_sel:[0,1]
	s_delay_alu instid0(VALU_DEP_1) | instskip(SKIP_1) | instid1(VALU_DEP_1)
	v_pk_fma_f32 v[148:149], v[142:143], v[132:133], v[146:147] op_sel:[0,0,1] op_sel_hi:[1,1,0] neg_lo:[0,0,1] neg_hi:[0,0,1]
	v_pk_fma_f32 v[142:143], v[142:143], v[132:133], v[146:147] op_sel:[0,0,1] op_sel_hi:[1,0,0]
	v_mov_b32_e32 v149, v143
	v_pk_mul_f32 v[142:143], v[144:145], v[134:135] op_sel:[0,1]
	s_delay_alu instid0(VALU_DEP_1) | instskip(SKIP_1) | instid1(VALU_DEP_1)
	v_pk_fma_f32 v[146:147], v[144:145], v[132:133], v[142:143] op_sel:[0,0,1] op_sel_hi:[1,1,0] neg_lo:[0,0,1] neg_hi:[0,0,1]
	v_pk_fma_f32 v[142:143], v[144:145], v[132:133], v[142:143] op_sel:[0,0,1] op_sel_hi:[1,0,0]
	v_mov_b32_e32 v147, v143
	ds_load_2addr_b64 v[142:145], v136 offset0:32 offset1:33
	v_pk_add_f32 v[44:45], v[44:45], v[148:149] neg_lo:[0,1] neg_hi:[0,1]
	v_pk_add_f32 v[42:43], v[42:43], v[146:147] neg_lo:[0,1] neg_hi:[0,1]
	s_wait_dscnt 0x0
	v_dual_mul_f32 v146, v143, v135 :: v_dual_mul_f32 v148, v143, v132
	s_delay_alu instid0(VALU_DEP_1) | instskip(NEXT) | instid1(VALU_DEP_2)
	v_pk_fma_f32 v[146:147], v[142:143], v[50:51], v[146:147] op_sel_hi:[1,1,0] neg_lo:[0,0,1] neg_hi:[0,0,1]
	v_pk_fma_f32 v[142:143], v[142:143], v[50:51], v[148:149] op_sel:[1,0,0] op_sel_hi:[0,1,0]
	s_delay_alu instid0(VALU_DEP_1) | instskip(SKIP_1) | instid1(VALU_DEP_2)
	v_mov_b32_e32 v147, v143
	v_pk_mul_f32 v[142:143], v[144:145], v[134:135] op_sel:[0,1]
	v_pk_add_f32 v[92:93], v[92:93], v[146:147] neg_lo:[0,1] neg_hi:[0,1]
	s_delay_alu instid0(VALU_DEP_2) | instskip(SKIP_1) | instid1(VALU_DEP_1)
	v_pk_fma_f32 v[146:147], v[144:145], v[132:133], v[142:143] op_sel:[0,0,1] op_sel_hi:[1,1,0] neg_lo:[0,0,1] neg_hi:[0,0,1]
	v_pk_fma_f32 v[142:143], v[144:145], v[132:133], v[142:143] op_sel:[0,0,1] op_sel_hi:[1,0,0]
	v_mov_b32_e32 v147, v143
	ds_load_2addr_b64 v[142:145], v136 offset0:34 offset1:35
	v_pk_add_f32 v[90:91], v[90:91], v[146:147] neg_lo:[0,1] neg_hi:[0,1]
	s_wait_dscnt 0x0
	v_pk_mul_f32 v[146:147], v[142:143], v[134:135] op_sel:[0,1]
	s_delay_alu instid0(VALU_DEP_1) | instskip(SKIP_1) | instid1(VALU_DEP_1)
	v_pk_fma_f32 v[148:149], v[142:143], v[132:133], v[146:147] op_sel:[0,0,1] op_sel_hi:[1,1,0] neg_lo:[0,0,1] neg_hi:[0,0,1]
	v_pk_fma_f32 v[142:143], v[142:143], v[132:133], v[146:147] op_sel:[0,0,1] op_sel_hi:[1,0,0]
	v_mov_b32_e32 v149, v143
	v_pk_mul_f32 v[142:143], v[144:145], v[134:135] op_sel:[0,1]
	s_delay_alu instid0(VALU_DEP_2) | instskip(NEXT) | instid1(VALU_DEP_2)
	v_pk_add_f32 v[40:41], v[40:41], v[148:149] neg_lo:[0,1] neg_hi:[0,1]
	v_pk_fma_f32 v[146:147], v[144:145], v[132:133], v[142:143] op_sel:[0,0,1] op_sel_hi:[1,1,0] neg_lo:[0,0,1] neg_hi:[0,0,1]
	v_pk_fma_f32 v[142:143], v[144:145], v[132:133], v[142:143] op_sel:[0,0,1] op_sel_hi:[1,0,0]
	s_delay_alu instid0(VALU_DEP_1) | instskip(SKIP_4) | instid1(VALU_DEP_1)
	v_mov_b32_e32 v147, v143
	ds_load_2addr_b64 v[142:145], v136 offset0:36 offset1:37
	v_pk_add_f32 v[38:39], v[38:39], v[146:147] neg_lo:[0,1] neg_hi:[0,1]
	s_wait_dscnt 0x0
	v_pk_mul_f32 v[146:147], v[142:143], v[134:135] op_sel:[0,1]
	v_pk_fma_f32 v[148:149], v[142:143], v[132:133], v[146:147] op_sel:[0,0,1] op_sel_hi:[1,1,0] neg_lo:[0,0,1] neg_hi:[0,0,1]
	v_pk_fma_f32 v[142:143], v[142:143], v[132:133], v[146:147] op_sel:[0,0,1] op_sel_hi:[1,0,0]
	v_dual_mul_f32 v146, v145, v135 :: v_dual_mov_b32 v142, v145
	s_delay_alu instid0(VALU_DEP_2) | instskip(NEXT) | instid1(VALU_DEP_2)
	v_dual_mov_b32 v149, v143 :: v_dual_mov_b32 v143, v144
	v_pk_fma_f32 v[146:147], v[144:145], v[50:51], v[146:147] op_sel_hi:[1,1,0] neg_lo:[0,0,1] neg_hi:[0,0,1]
	v_mul_f32_e32 v144, v145, v132
	s_delay_alu instid0(VALU_DEP_3) | instskip(NEXT) | instid1(VALU_DEP_2)
	v_pk_add_f32 v[88:89], v[88:89], v[148:149] neg_lo:[0,1] neg_hi:[0,1]
	v_pk_fma_f32 v[142:143], v[142:143], v[50:51], v[144:145] op_sel_hi:[1,1,0]
	s_delay_alu instid0(VALU_DEP_1) | instskip(SKIP_4) | instid1(VALU_DEP_1)
	v_mov_b32_e32 v147, v143
	ds_load_2addr_b64 v[142:145], v136 offset0:38 offset1:39
	v_pk_add_f32 v[86:87], v[86:87], v[146:147] neg_lo:[0,1] neg_hi:[0,1]
	s_wait_dscnt 0x0
	v_pk_mul_f32 v[146:147], v[142:143], v[134:135] op_sel:[0,1]
	v_pk_fma_f32 v[148:149], v[142:143], v[132:133], v[146:147] op_sel:[0,0,1] op_sel_hi:[1,1,0] neg_lo:[0,0,1] neg_hi:[0,0,1]
	v_pk_fma_f32 v[142:143], v[142:143], v[132:133], v[146:147] op_sel:[0,0,1] op_sel_hi:[1,0,0]
	s_delay_alu instid0(VALU_DEP_1) | instskip(SKIP_1) | instid1(VALU_DEP_1)
	v_mov_b32_e32 v149, v143
	v_pk_mul_f32 v[142:143], v[144:145], v[134:135] op_sel:[0,1]
	v_pk_fma_f32 v[146:147], v[144:145], v[132:133], v[142:143] op_sel:[0,0,1] op_sel_hi:[1,1,0] neg_lo:[0,0,1] neg_hi:[0,0,1]
	v_pk_fma_f32 v[142:143], v[144:145], v[132:133], v[142:143] op_sel:[0,0,1] op_sel_hi:[1,0,0]
	s_delay_alu instid0(VALU_DEP_1)
	v_mov_b32_e32 v147, v143
	ds_load_2addr_b64 v[142:145], v136 offset0:40 offset1:41
	v_pk_add_f32 v[36:37], v[36:37], v[148:149] neg_lo:[0,1] neg_hi:[0,1]
	v_pk_add_f32 v[32:33], v[32:33], v[146:147] neg_lo:[0,1] neg_hi:[0,1]
	s_wait_dscnt 0x0
	v_pk_mul_f32 v[146:147], v[142:143], v[134:135] op_sel:[0,1]
	s_delay_alu instid0(VALU_DEP_1) | instskip(SKIP_1) | instid1(VALU_DEP_1)
	v_pk_fma_f32 v[148:149], v[142:143], v[132:133], v[146:147] op_sel:[0,0,1] op_sel_hi:[1,1,0] neg_lo:[0,0,1] neg_hi:[0,0,1]
	v_pk_fma_f32 v[142:143], v[142:143], v[132:133], v[146:147] op_sel:[0,0,1] op_sel_hi:[1,0,0]
	v_mov_b32_e32 v149, v143
	v_pk_mul_f32 v[142:143], v[144:145], v[134:135] op_sel:[0,1]
	s_delay_alu instid0(VALU_DEP_1) | instskip(SKIP_1) | instid1(VALU_DEP_1)
	v_pk_fma_f32 v[146:147], v[144:145], v[132:133], v[142:143] op_sel:[0,0,1] op_sel_hi:[1,1,0] neg_lo:[0,0,1] neg_hi:[0,0,1]
	v_pk_fma_f32 v[142:143], v[144:145], v[132:133], v[142:143] op_sel:[0,0,1] op_sel_hi:[1,0,0]
	v_mov_b32_e32 v147, v143
	ds_load_2addr_b64 v[142:145], v136 offset0:42 offset1:43
	v_pk_add_f32 v[84:85], v[84:85], v[148:149] neg_lo:[0,1] neg_hi:[0,1]
	v_pk_add_f32 v[82:83], v[82:83], v[146:147] neg_lo:[0,1] neg_hi:[0,1]
	s_wait_dscnt 0x0
	v_dual_mul_f32 v146, v143, v135 :: v_dual_mul_f32 v148, v143, v132
	s_delay_alu instid0(VALU_DEP_1) | instskip(NEXT) | instid1(VALU_DEP_2)
	v_pk_fma_f32 v[146:147], v[142:143], v[50:51], v[146:147] op_sel_hi:[1,1,0] neg_lo:[0,0,1] neg_hi:[0,0,1]
	v_pk_fma_f32 v[142:143], v[142:143], v[50:51], v[148:149] op_sel:[1,0,0] op_sel_hi:[0,1,0]
	s_delay_alu instid0(VALU_DEP_1) | instskip(SKIP_1) | instid1(VALU_DEP_2)
	v_mov_b32_e32 v147, v143
	v_pk_mul_f32 v[142:143], v[144:145], v[134:135] op_sel:[0,1]
	v_pk_add_f32 v[24:25], v[24:25], v[146:147] neg_lo:[0,1] neg_hi:[0,1]
	s_delay_alu instid0(VALU_DEP_2) | instskip(SKIP_1) | instid1(VALU_DEP_1)
	v_pk_fma_f32 v[146:147], v[144:145], v[132:133], v[142:143] op_sel:[0,0,1] op_sel_hi:[1,1,0] neg_lo:[0,0,1] neg_hi:[0,0,1]
	v_pk_fma_f32 v[142:143], v[144:145], v[132:133], v[142:143] op_sel:[0,0,1] op_sel_hi:[1,0,0]
	v_mov_b32_e32 v147, v143
	ds_load_2addr_b64 v[142:145], v136 offset0:44 offset1:45
	v_pk_add_f32 v[22:23], v[22:23], v[146:147] neg_lo:[0,1] neg_hi:[0,1]
	s_wait_dscnt 0x0
	v_pk_mul_f32 v[146:147], v[142:143], v[134:135] op_sel:[0,1]
	s_delay_alu instid0(VALU_DEP_1) | instskip(SKIP_1) | instid1(VALU_DEP_1)
	v_pk_fma_f32 v[148:149], v[142:143], v[132:133], v[146:147] op_sel:[0,0,1] op_sel_hi:[1,1,0] neg_lo:[0,0,1] neg_hi:[0,0,1]
	v_pk_fma_f32 v[142:143], v[142:143], v[132:133], v[146:147] op_sel:[0,0,1] op_sel_hi:[1,0,0]
	v_mov_b32_e32 v149, v143
	v_pk_mul_f32 v[142:143], v[144:145], v[134:135] op_sel:[0,1]
	s_delay_alu instid0(VALU_DEP_2) | instskip(NEXT) | instid1(VALU_DEP_2)
	v_pk_add_f32 v[80:81], v[80:81], v[148:149] neg_lo:[0,1] neg_hi:[0,1]
	v_pk_fma_f32 v[146:147], v[144:145], v[132:133], v[142:143] op_sel:[0,0,1] op_sel_hi:[1,1,0] neg_lo:[0,0,1] neg_hi:[0,0,1]
	v_pk_fma_f32 v[142:143], v[144:145], v[132:133], v[142:143] op_sel:[0,0,1] op_sel_hi:[1,0,0]
	s_delay_alu instid0(VALU_DEP_1) | instskip(SKIP_4) | instid1(VALU_DEP_1)
	v_mov_b32_e32 v147, v143
	ds_load_2addr_b64 v[142:145], v136 offset0:46 offset1:47
	v_pk_add_f32 v[78:79], v[78:79], v[146:147] neg_lo:[0,1] neg_hi:[0,1]
	s_wait_dscnt 0x0
	v_pk_mul_f32 v[146:147], v[142:143], v[134:135] op_sel:[0,1]
	v_pk_fma_f32 v[148:149], v[142:143], v[132:133], v[146:147] op_sel:[0,0,1] op_sel_hi:[1,1,0] neg_lo:[0,0,1] neg_hi:[0,0,1]
	v_pk_fma_f32 v[142:143], v[142:143], v[132:133], v[146:147] op_sel:[0,0,1] op_sel_hi:[1,0,0]
	v_dual_mul_f32 v146, v145, v135 :: v_dual_mov_b32 v142, v145
	s_delay_alu instid0(VALU_DEP_2) | instskip(NEXT) | instid1(VALU_DEP_2)
	v_dual_mov_b32 v149, v143 :: v_dual_mov_b32 v143, v144
	v_pk_fma_f32 v[146:147], v[144:145], v[50:51], v[146:147] op_sel_hi:[1,1,0] neg_lo:[0,0,1] neg_hi:[0,0,1]
	v_mul_f32_e32 v144, v145, v132
	s_delay_alu instid0(VALU_DEP_3) | instskip(NEXT) | instid1(VALU_DEP_2)
	v_pk_add_f32 v[20:21], v[20:21], v[148:149] neg_lo:[0,1] neg_hi:[0,1]
	v_pk_fma_f32 v[142:143], v[142:143], v[50:51], v[144:145] op_sel_hi:[1,1,0]
	s_delay_alu instid0(VALU_DEP_1) | instskip(SKIP_4) | instid1(VALU_DEP_1)
	v_mov_b32_e32 v147, v143
	ds_load_2addr_b64 v[142:145], v136 offset0:48 offset1:49
	v_pk_add_f32 v[18:19], v[18:19], v[146:147] neg_lo:[0,1] neg_hi:[0,1]
	s_wait_dscnt 0x0
	v_pk_mul_f32 v[146:147], v[142:143], v[134:135] op_sel:[0,1]
	v_pk_fma_f32 v[148:149], v[142:143], v[132:133], v[146:147] op_sel:[0,0,1] op_sel_hi:[1,1,0] neg_lo:[0,0,1] neg_hi:[0,0,1]
	v_pk_fma_f32 v[142:143], v[142:143], v[132:133], v[146:147] op_sel:[0,0,1] op_sel_hi:[1,0,0]
	s_delay_alu instid0(VALU_DEP_1) | instskip(SKIP_1) | instid1(VALU_DEP_1)
	v_mov_b32_e32 v149, v143
	v_pk_mul_f32 v[142:143], v[144:145], v[134:135] op_sel:[0,1]
	v_pk_fma_f32 v[146:147], v[144:145], v[132:133], v[142:143] op_sel:[0,0,1] op_sel_hi:[1,1,0] neg_lo:[0,0,1] neg_hi:[0,0,1]
	v_pk_fma_f32 v[142:143], v[144:145], v[132:133], v[142:143] op_sel:[0,0,1] op_sel_hi:[1,0,0]
	s_delay_alu instid0(VALU_DEP_1)
	v_mov_b32_e32 v147, v143
	ds_load_2addr_b64 v[142:145], v136 offset0:50 offset1:51
	v_pk_add_f32 v[76:77], v[76:77], v[148:149] neg_lo:[0,1] neg_hi:[0,1]
	v_pk_add_f32 v[74:75], v[74:75], v[146:147] neg_lo:[0,1] neg_hi:[0,1]
	s_wait_dscnt 0x0
	v_pk_mul_f32 v[146:147], v[142:143], v[134:135] op_sel:[0,1]
	s_delay_alu instid0(VALU_DEP_1) | instskip(SKIP_1) | instid1(VALU_DEP_1)
	v_pk_fma_f32 v[148:149], v[142:143], v[132:133], v[146:147] op_sel:[0,0,1] op_sel_hi:[1,1,0] neg_lo:[0,0,1] neg_hi:[0,0,1]
	v_pk_fma_f32 v[142:143], v[142:143], v[132:133], v[146:147] op_sel:[0,0,1] op_sel_hi:[1,0,0]
	v_mov_b32_e32 v149, v143
	v_pk_mul_f32 v[142:143], v[144:145], v[134:135] op_sel:[0,1]
	s_delay_alu instid0(VALU_DEP_1) | instskip(SKIP_1) | instid1(VALU_DEP_1)
	v_pk_fma_f32 v[146:147], v[144:145], v[132:133], v[142:143] op_sel:[0,0,1] op_sel_hi:[1,1,0] neg_lo:[0,0,1] neg_hi:[0,0,1]
	v_pk_fma_f32 v[142:143], v[144:145], v[132:133], v[142:143] op_sel:[0,0,1] op_sel_hi:[1,0,0]
	v_mov_b32_e32 v147, v143
	ds_load_2addr_b64 v[142:145], v136 offset0:52 offset1:53
	v_pk_add_f32 v[16:17], v[16:17], v[148:149] neg_lo:[0,1] neg_hi:[0,1]
	v_pk_add_f32 v[28:29], v[28:29], v[146:147] neg_lo:[0,1] neg_hi:[0,1]
	s_wait_dscnt 0x0
	v_dual_mul_f32 v146, v143, v135 :: v_dual_mul_f32 v148, v143, v132
	s_delay_alu instid0(VALU_DEP_1) | instskip(NEXT) | instid1(VALU_DEP_2)
	v_pk_fma_f32 v[146:147], v[142:143], v[50:51], v[146:147] op_sel_hi:[1,1,0] neg_lo:[0,0,1] neg_hi:[0,0,1]
	v_pk_fma_f32 v[142:143], v[142:143], v[50:51], v[148:149] op_sel:[1,0,0] op_sel_hi:[0,1,0]
	s_delay_alu instid0(VALU_DEP_1) | instskip(SKIP_1) | instid1(VALU_DEP_2)
	v_mov_b32_e32 v147, v143
	v_pk_mul_f32 v[142:143], v[144:145], v[134:135] op_sel:[0,1]
	v_pk_add_f32 v[68:69], v[68:69], v[146:147] neg_lo:[0,1] neg_hi:[0,1]
	s_delay_alu instid0(VALU_DEP_2) | instskip(SKIP_1) | instid1(VALU_DEP_1)
	v_pk_fma_f32 v[146:147], v[144:145], v[132:133], v[142:143] op_sel:[0,0,1] op_sel_hi:[1,1,0] neg_lo:[0,0,1] neg_hi:[0,0,1]
	v_pk_fma_f32 v[142:143], v[144:145], v[132:133], v[142:143] op_sel:[0,0,1] op_sel_hi:[1,0,0]
	v_mov_b32_e32 v147, v143
	ds_load_2addr_b64 v[142:145], v136 offset0:54 offset1:55
	v_pk_add_f32 v[66:67], v[66:67], v[146:147] neg_lo:[0,1] neg_hi:[0,1]
	s_wait_dscnt 0x0
	v_pk_mul_f32 v[146:147], v[142:143], v[134:135] op_sel:[0,1]
	s_delay_alu instid0(VALU_DEP_1) | instskip(SKIP_1) | instid1(VALU_DEP_1)
	v_pk_fma_f32 v[148:149], v[142:143], v[132:133], v[146:147] op_sel:[0,0,1] op_sel_hi:[1,1,0] neg_lo:[0,0,1] neg_hi:[0,0,1]
	v_pk_fma_f32 v[142:143], v[142:143], v[132:133], v[146:147] op_sel:[0,0,1] op_sel_hi:[1,0,0]
	v_mov_b32_e32 v149, v143
	v_pk_mul_f32 v[142:143], v[144:145], v[134:135] op_sel:[0,1]
	s_delay_alu instid0(VALU_DEP_2) | instskip(NEXT) | instid1(VALU_DEP_2)
	v_pk_add_f32 v[10:11], v[10:11], v[148:149] neg_lo:[0,1] neg_hi:[0,1]
	v_pk_fma_f32 v[146:147], v[144:145], v[132:133], v[142:143] op_sel:[0,0,1] op_sel_hi:[1,1,0] neg_lo:[0,0,1] neg_hi:[0,0,1]
	v_pk_fma_f32 v[142:143], v[144:145], v[132:133], v[142:143] op_sel:[0,0,1] op_sel_hi:[1,0,0]
	s_delay_alu instid0(VALU_DEP_1) | instskip(SKIP_4) | instid1(VALU_DEP_1)
	v_mov_b32_e32 v147, v143
	ds_load_2addr_b64 v[142:145], v136 offset0:56 offset1:57
	v_pk_add_f32 v[8:9], v[8:9], v[146:147] neg_lo:[0,1] neg_hi:[0,1]
	s_wait_dscnt 0x0
	v_pk_mul_f32 v[146:147], v[142:143], v[134:135] op_sel:[0,1]
	v_pk_fma_f32 v[148:149], v[142:143], v[132:133], v[146:147] op_sel:[0,0,1] op_sel_hi:[1,1,0] neg_lo:[0,0,1] neg_hi:[0,0,1]
	v_pk_fma_f32 v[142:143], v[142:143], v[132:133], v[146:147] op_sel:[0,0,1] op_sel_hi:[1,0,0]
	v_dual_mul_f32 v146, v145, v135 :: v_dual_mov_b32 v142, v145
	s_delay_alu instid0(VALU_DEP_2) | instskip(NEXT) | instid1(VALU_DEP_2)
	v_dual_mov_b32 v149, v143 :: v_dual_mov_b32 v143, v144
	v_pk_fma_f32 v[146:147], v[144:145], v[50:51], v[146:147] op_sel_hi:[1,1,0] neg_lo:[0,0,1] neg_hi:[0,0,1]
	v_mul_f32_e32 v144, v145, v132
	s_delay_alu instid0(VALU_DEP_3) | instskip(NEXT) | instid1(VALU_DEP_2)
	v_pk_add_f32 v[34:35], v[34:35], v[148:149] neg_lo:[0,1] neg_hi:[0,1]
	v_pk_fma_f32 v[142:143], v[142:143], v[50:51], v[144:145] op_sel_hi:[1,1,0]
	s_delay_alu instid0(VALU_DEP_1) | instskip(SKIP_4) | instid1(VALU_DEP_1)
	v_mov_b32_e32 v147, v143
	ds_load_2addr_b64 v[142:145], v136 offset0:58 offset1:59
	v_pk_add_f32 v[30:31], v[30:31], v[146:147] neg_lo:[0,1] neg_hi:[0,1]
	s_wait_dscnt 0x0
	v_pk_mul_f32 v[146:147], v[142:143], v[134:135] op_sel:[0,1]
	v_pk_fma_f32 v[148:149], v[142:143], v[132:133], v[146:147] op_sel:[0,0,1] op_sel_hi:[1,1,0] neg_lo:[0,0,1] neg_hi:[0,0,1]
	v_pk_fma_f32 v[142:143], v[142:143], v[132:133], v[146:147] op_sel:[0,0,1] op_sel_hi:[1,0,0]
	s_delay_alu instid0(VALU_DEP_1) | instskip(SKIP_1) | instid1(VALU_DEP_1)
	v_mov_b32_e32 v149, v143
	v_pk_mul_f32 v[142:143], v[144:145], v[134:135] op_sel:[0,1]
	v_pk_fma_f32 v[146:147], v[144:145], v[132:133], v[142:143] op_sel:[0,0,1] op_sel_hi:[1,1,0] neg_lo:[0,0,1] neg_hi:[0,0,1]
	v_pk_fma_f32 v[142:143], v[144:145], v[132:133], v[142:143] op_sel:[0,0,1] op_sel_hi:[1,0,0]
	s_delay_alu instid0(VALU_DEP_1)
	v_mov_b32_e32 v147, v143
	ds_load_2addr_b64 v[142:145], v136 offset0:60 offset1:61
	v_pk_add_f32 v[6:7], v[6:7], v[148:149] neg_lo:[0,1] neg_hi:[0,1]
	v_pk_add_f32 v[26:27], v[26:27], v[146:147] neg_lo:[0,1] neg_hi:[0,1]
	s_wait_dscnt 0x0
	v_pk_mul_f32 v[146:147], v[142:143], v[134:135] op_sel:[0,1]
	s_delay_alu instid0(VALU_DEP_1) | instskip(SKIP_1) | instid1(VALU_DEP_1)
	v_pk_fma_f32 v[148:149], v[142:143], v[132:133], v[146:147] op_sel:[0,0,1] op_sel_hi:[1,1,0] neg_lo:[0,0,1] neg_hi:[0,0,1]
	v_pk_fma_f32 v[142:143], v[142:143], v[132:133], v[146:147] op_sel:[0,0,1] op_sel_hi:[1,0,0]
	v_mov_b32_e32 v149, v143
	v_pk_mul_f32 v[142:143], v[144:145], v[134:135] op_sel:[0,1]
	s_delay_alu instid0(VALU_DEP_1) | instskip(SKIP_1) | instid1(VALU_DEP_1)
	v_pk_fma_f32 v[146:147], v[144:145], v[132:133], v[142:143] op_sel:[0,0,1] op_sel_hi:[1,1,0] neg_lo:[0,0,1] neg_hi:[0,0,1]
	v_pk_fma_f32 v[142:143], v[144:145], v[132:133], v[142:143] op_sel:[0,0,1] op_sel_hi:[1,0,0]
	v_mov_b32_e32 v147, v143
	ds_load_b64 v[142:143], v136 offset:496
	v_pk_add_f32 v[14:15], v[14:15], v[148:149] neg_lo:[0,1] neg_hi:[0,1]
	v_pk_add_f32 v[12:13], v[12:13], v[146:147] neg_lo:[0,1] neg_hi:[0,1]
	s_wait_dscnt 0x0
	v_pk_mul_f32 v[134:135], v[142:143], v[134:135] op_sel:[0,1]
	s_delay_alu instid0(VALU_DEP_1) | instskip(SKIP_1) | instid1(VALU_DEP_1)
	v_pk_fma_f32 v[144:145], v[142:143], v[132:133], v[134:135] op_sel:[0,0,1] op_sel_hi:[1,1,0] neg_lo:[0,0,1] neg_hi:[0,0,1]
	v_pk_fma_f32 v[132:133], v[142:143], v[132:133], v[134:135] op_sel:[0,0,1] op_sel_hi:[1,0,0]
	v_mov_b32_e32 v145, v133
	s_delay_alu instid0(VALU_DEP_1)
	v_pk_add_f32 v[130:131], v[130:131], v[144:145] neg_lo:[0,1] neg_hi:[0,1]
.LBB124_503:
	s_or_b32 exec_lo, exec_lo, s0
	v_lshl_add_u32 v132, v140, 3, v136
	s_barrier_signal -1
	s_barrier_wait -1
	ds_store_b64 v132, v[100:101]
	s_wait_dscnt 0x0
	s_barrier_signal -1
	s_barrier_wait -1
	ds_load_b64 v[134:135], v136 offset:192
	v_mov_b32_e32 v132, 24
	s_cmp_lt_i32 s18, 26
	s_cbranch_scc1 .LBB124_506
; %bb.504:
	v_add3_u32 v133, v137, 0, 0xc8
	v_mov_b32_e32 v132, 24
	s_mov_b32 s0, 25
.LBB124_505:                            ; =>This Inner Loop Header: Depth=1
	ds_load_b64 v[142:143], v133
	s_wait_dscnt 0x1
	v_cmp_gt_f32_e32 vcc_lo, 0, v134
	v_cndmask_b32_e64 v144, v134, -v134, vcc_lo
	v_cmp_gt_f32_e32 vcc_lo, 0, v135
	v_cndmask_b32_e64 v146, v135, -v135, vcc_lo
	s_wait_dscnt 0x0
	v_cmp_gt_f32_e32 vcc_lo, 0, v142
	v_cndmask_b32_e64 v145, v142, -v142, vcc_lo
	v_cmp_gt_f32_e32 vcc_lo, 0, v143
	v_cndmask_b32_e64 v147, v143, -v143, vcc_lo
	s_delay_alu instid0(VALU_DEP_1) | instskip(NEXT) | instid1(VALU_DEP_1)
	v_pk_add_f32 v[144:145], v[144:145], v[146:147]
	v_cmp_lt_f32_e32 vcc_lo, v144, v145
	v_dual_add_nc_u32 v133, 8, v133 :: v_dual_cndmask_b32 v135, v135, v143, vcc_lo
	v_cndmask_b32_e32 v134, v134, v142, vcc_lo
	v_cndmask_b32_e64 v132, v132, s0, vcc_lo
	s_add_co_i32 s0, s0, 1
	s_delay_alu instid0(SALU_CYCLE_1)
	s_cmp_lg_u32 s18, s0
	s_cbranch_scc1 .LBB124_505
.LBB124_506:
	s_wait_dscnt 0x0
	v_cmp_eq_f32_e32 vcc_lo, 0, v134
	v_cmp_eq_f32_e64 s0, 0, v135
	s_and_b32 s0, vcc_lo, s0
	s_delay_alu instid0(SALU_CYCLE_1) | instskip(NEXT) | instid1(SALU_CYCLE_1)
	s_and_saveexec_b32 s1, s0
	s_xor_b32 s0, exec_lo, s1
; %bb.507:
	v_cmp_ne_u32_e32 vcc_lo, 0, v138
	v_cndmask_b32_e32 v138, 25, v138, vcc_lo
; %bb.508:
	s_and_not1_saveexec_b32 s0, s0
	s_cbranch_execz .LBB124_514
; %bb.509:
	v_cmp_ngt_f32_e64 s1, |v134|, |v135|
	s_and_saveexec_b32 s12, s1
	s_delay_alu instid0(SALU_CYCLE_1)
	s_xor_b32 s1, exec_lo, s12
	s_cbranch_execz .LBB124_511
; %bb.510:
	v_div_scale_f32 v133, null, v135, v135, v134
	v_div_scale_f32 v143, vcc_lo, v134, v135, v134
	s_delay_alu instid0(VALU_DEP_2) | instskip(SKIP_1) | instid1(TRANS32_DEP_1)
	v_rcp_f32_e32 v141, v133
	v_nop
	v_fma_f32 v142, -v133, v141, 1.0
	s_delay_alu instid0(VALU_DEP_1) | instskip(NEXT) | instid1(VALU_DEP_1)
	v_fmac_f32_e32 v141, v142, v141
	v_mul_f32_e32 v142, v143, v141
	s_delay_alu instid0(VALU_DEP_1) | instskip(NEXT) | instid1(VALU_DEP_1)
	v_fma_f32 v144, -v133, v142, v143
	v_fmac_f32_e32 v142, v144, v141
	s_delay_alu instid0(VALU_DEP_1) | instskip(NEXT) | instid1(VALU_DEP_1)
	v_fma_f32 v133, -v133, v142, v143
	v_div_fmas_f32 v133, v133, v141, v142
	s_delay_alu instid0(VALU_DEP_1) | instskip(NEXT) | instid1(VALU_DEP_1)
	v_div_fixup_f32 v133, v133, v135, v134
	v_fmac_f32_e32 v135, v134, v133
	s_delay_alu instid0(VALU_DEP_1) | instskip(SKIP_1) | instid1(VALU_DEP_2)
	v_div_scale_f32 v134, null, v135, v135, 1.0
	v_div_scale_f32 v143, vcc_lo, 1.0, v135, 1.0
	v_rcp_f32_e32 v141, v134
	v_nop
	s_delay_alu instid0(TRANS32_DEP_1) | instskip(NEXT) | instid1(VALU_DEP_1)
	v_fma_f32 v142, -v134, v141, 1.0
	v_fmac_f32_e32 v141, v142, v141
	s_delay_alu instid0(VALU_DEP_1) | instskip(NEXT) | instid1(VALU_DEP_1)
	v_mul_f32_e32 v142, v143, v141
	v_fma_f32 v144, -v134, v142, v143
	s_delay_alu instid0(VALU_DEP_1) | instskip(NEXT) | instid1(VALU_DEP_1)
	v_fmac_f32_e32 v142, v144, v141
	v_fma_f32 v134, -v134, v142, v143
	s_delay_alu instid0(VALU_DEP_1) | instskip(NEXT) | instid1(VALU_DEP_1)
	v_div_fmas_f32 v134, v134, v141, v142
	v_div_fixup_f32 v135, v134, v135, 1.0
	s_delay_alu instid0(VALU_DEP_1)
	v_mul_f32_e32 v134, v133, v135
	v_xor_b32_e32 v135, 0x80000000, v135
.LBB124_511:
	s_and_not1_saveexec_b32 s1, s1
	s_cbranch_execz .LBB124_513
; %bb.512:
	s_delay_alu instid0(VALU_DEP_1) | instskip(SKIP_1) | instid1(VALU_DEP_2)
	v_div_scale_f32 v133, null, v134, v134, v135
	v_div_scale_f32 v143, vcc_lo, v135, v134, v135
	v_rcp_f32_e32 v141, v133
	v_nop
	s_delay_alu instid0(TRANS32_DEP_1) | instskip(NEXT) | instid1(VALU_DEP_1)
	v_fma_f32 v142, -v133, v141, 1.0
	v_fmac_f32_e32 v141, v142, v141
	s_delay_alu instid0(VALU_DEP_1) | instskip(NEXT) | instid1(VALU_DEP_1)
	v_mul_f32_e32 v142, v143, v141
	v_fma_f32 v144, -v133, v142, v143
	s_delay_alu instid0(VALU_DEP_1) | instskip(NEXT) | instid1(VALU_DEP_1)
	v_fmac_f32_e32 v142, v144, v141
	v_fma_f32 v133, -v133, v142, v143
	s_delay_alu instid0(VALU_DEP_1) | instskip(NEXT) | instid1(VALU_DEP_1)
	v_div_fmas_f32 v133, v133, v141, v142
	v_div_fixup_f32 v133, v133, v134, v135
	s_delay_alu instid0(VALU_DEP_1) | instskip(NEXT) | instid1(VALU_DEP_1)
	v_fmac_f32_e32 v134, v135, v133
	v_div_scale_f32 v135, null, v134, v134, 1.0
	s_delay_alu instid0(VALU_DEP_1) | instskip(SKIP_1) | instid1(TRANS32_DEP_1)
	v_rcp_f32_e32 v141, v135
	v_nop
	v_fma_f32 v142, -v135, v141, 1.0
	s_delay_alu instid0(VALU_DEP_1) | instskip(SKIP_1) | instid1(VALU_DEP_1)
	v_fmac_f32_e32 v141, v142, v141
	v_div_scale_f32 v142, vcc_lo, 1.0, v134, 1.0
	v_mul_f32_e32 v143, v142, v141
	s_delay_alu instid0(VALU_DEP_1) | instskip(NEXT) | instid1(VALU_DEP_1)
	v_fma_f32 v144, -v135, v143, v142
	v_fmac_f32_e32 v143, v144, v141
	s_delay_alu instid0(VALU_DEP_1) | instskip(NEXT) | instid1(VALU_DEP_1)
	v_fma_f32 v135, -v135, v143, v142
	v_div_fmas_f32 v135, v135, v141, v143
	s_delay_alu instid0(VALU_DEP_1) | instskip(NEXT) | instid1(VALU_DEP_1)
	v_div_fixup_f32 v134, v135, v134, 1.0
	v_mul_f32_e64 v135, v133, -v134
.LBB124_513:
	s_or_b32 exec_lo, exec_lo, s1
.LBB124_514:
	s_delay_alu instid0(SALU_CYCLE_1) | instskip(NEXT) | instid1(SALU_CYCLE_1)
	s_or_b32 exec_lo, exec_lo, s0
	s_mov_b32 s0, exec_lo
	v_cmpx_ne_u32_e64 v140, v132
	s_xor_b32 s0, exec_lo, s0
	s_cbranch_execz .LBB124_520
; %bb.515:
	s_mov_b32 s1, exec_lo
	v_cmpx_eq_u32_e32 24, v140
	s_cbranch_execz .LBB124_519
; %bb.516:
	v_cmp_ne_u32_e32 vcc_lo, 24, v132
	s_xor_b32 s12, s16, -1
	s_delay_alu instid0(SALU_CYCLE_1) | instskip(NEXT) | instid1(SALU_CYCLE_1)
	s_and_b32 s13, s12, vcc_lo
	s_and_saveexec_b32 s12, s13
	s_cbranch_execz .LBB124_518
; %bb.517:
	v_ashrrev_i32_e32 v133, 31, v132
	s_delay_alu instid0(VALU_DEP_1)
	v_lshl_add_u64 v[140:141], v[132:133], 2, v[4:5]
	s_clause 0x1
	global_load_b32 v133, v[140:141], off
	global_load_b32 v139, v[4:5], off offset:96
	s_wait_loadcnt 0x1
	global_store_b32 v[4:5], v133, off offset:96
	s_wait_loadcnt 0x0
	global_store_b32 v[140:141], v139, off
.LBB124_518:
	s_wait_xcnt 0x0
	s_or_b32 exec_lo, exec_lo, s12
	v_dual_mov_b32 v140, v132 :: v_dual_mov_b32 v139, v132
.LBB124_519:
	s_or_b32 exec_lo, exec_lo, s1
.LBB124_520:
	s_and_not1_saveexec_b32 s0, s0
	s_cbranch_execz .LBB124_522
; %bb.521:
	v_mov_b32_e32 v140, 24
	ds_store_2addr_b64 v136, v[98:99], v[48:49] offset0:25 offset1:26
	ds_store_2addr_b64 v136, v[46:47], v[96:97] offset0:27 offset1:28
	;; [unrolled: 1-line block ×19, first 2 shown]
.LBB124_522:
	s_or_b32 exec_lo, exec_lo, s0
	s_delay_alu instid0(SALU_CYCLE_1)
	s_mov_b32 s0, exec_lo
	s_wait_storecnt_dscnt 0x0
	s_barrier_signal -1
	s_barrier_wait -1
	v_cmpx_lt_i32_e32 24, v140
	s_cbranch_execz .LBB124_524
; %bb.523:
	v_pk_mul_f32 v[142:143], v[134:135], v[100:101] op_sel:[1,1] op_sel_hi:[0,1]
	s_delay_alu instid0(VALU_DEP_1)
	v_pk_fma_f32 v[132:133], v[134:135], v[100:101], v[142:143] op_sel_hi:[1,0,1] neg_lo:[0,0,1] neg_hi:[0,0,1]
	v_pk_fma_f32 v[134:135], v[134:135], v[100:101], v[142:143] op_sel_hi:[1,0,1]
	ds_load_2addr_b64 v[142:145], v136 offset0:25 offset1:26
	v_dual_mov_b32 v100, v132 :: v_dual_mov_b32 v101, v135
	s_wait_dscnt 0x0
	v_pk_mul_f32 v[146:147], v[142:143], v[134:135] op_sel:[0,1]
	s_delay_alu instid0(VALU_DEP_1) | instskip(SKIP_1) | instid1(VALU_DEP_1)
	v_pk_fma_f32 v[148:149], v[142:143], v[132:133], v[146:147] op_sel:[0,0,1] op_sel_hi:[1,1,0] neg_lo:[0,0,1] neg_hi:[0,0,1]
	v_pk_fma_f32 v[142:143], v[142:143], v[132:133], v[146:147] op_sel:[0,0,1] op_sel_hi:[1,0,0]
	v_mov_b32_e32 v149, v143
	v_pk_mul_f32 v[142:143], v[144:145], v[134:135] op_sel:[0,1]
	s_delay_alu instid0(VALU_DEP_1) | instskip(SKIP_1) | instid1(VALU_DEP_1)
	v_pk_fma_f32 v[146:147], v[144:145], v[132:133], v[142:143] op_sel:[0,0,1] op_sel_hi:[1,1,0] neg_lo:[0,0,1] neg_hi:[0,0,1]
	v_pk_fma_f32 v[142:143], v[144:145], v[132:133], v[142:143] op_sel:[0,0,1] op_sel_hi:[1,0,0]
	v_mov_b32_e32 v147, v143
	ds_load_2addr_b64 v[142:145], v136 offset0:27 offset1:28
	v_pk_add_f32 v[98:99], v[98:99], v[148:149] neg_lo:[0,1] neg_hi:[0,1]
	v_pk_add_f32 v[48:49], v[48:49], v[146:147] neg_lo:[0,1] neg_hi:[0,1]
	s_wait_dscnt 0x0
	v_pk_mul_f32 v[146:147], v[142:143], v[134:135] op_sel:[0,1]
	s_delay_alu instid0(VALU_DEP_1) | instskip(SKIP_2) | instid1(VALU_DEP_2)
	v_pk_fma_f32 v[148:149], v[142:143], v[132:133], v[146:147] op_sel:[0,0,1] op_sel_hi:[1,1,0] neg_lo:[0,0,1] neg_hi:[0,0,1]
	v_pk_fma_f32 v[142:143], v[142:143], v[132:133], v[146:147] op_sel:[0,0,1] op_sel_hi:[1,0,0]
	v_dual_mul_f32 v146, v145, v135 :: v_dual_mov_b32 v142, v145
	v_dual_mov_b32 v149, v143 :: v_dual_mov_b32 v143, v144
	s_delay_alu instid0(VALU_DEP_2) | instskip(SKIP_1) | instid1(VALU_DEP_3)
	v_pk_fma_f32 v[146:147], v[144:145], v[100:101], v[146:147] op_sel_hi:[1,1,0] neg_lo:[0,0,1] neg_hi:[0,0,1]
	v_mul_f32_e32 v144, v145, v132
	v_pk_add_f32 v[46:47], v[46:47], v[148:149] neg_lo:[0,1] neg_hi:[0,1]
	s_delay_alu instid0(VALU_DEP_2) | instskip(NEXT) | instid1(VALU_DEP_1)
	v_pk_fma_f32 v[142:143], v[142:143], v[100:101], v[144:145] op_sel_hi:[1,1,0]
	v_mov_b32_e32 v147, v143
	ds_load_2addr_b64 v[142:145], v136 offset0:29 offset1:30
	v_pk_add_f32 v[96:97], v[96:97], v[146:147] neg_lo:[0,1] neg_hi:[0,1]
	s_wait_dscnt 0x0
	v_pk_mul_f32 v[146:147], v[142:143], v[134:135] op_sel:[0,1]
	s_delay_alu instid0(VALU_DEP_1) | instskip(SKIP_1) | instid1(VALU_DEP_1)
	v_pk_fma_f32 v[148:149], v[142:143], v[132:133], v[146:147] op_sel:[0,0,1] op_sel_hi:[1,1,0] neg_lo:[0,0,1] neg_hi:[0,0,1]
	v_pk_fma_f32 v[142:143], v[142:143], v[132:133], v[146:147] op_sel:[0,0,1] op_sel_hi:[1,0,0]
	v_mov_b32_e32 v149, v143
	v_pk_mul_f32 v[142:143], v[144:145], v[134:135] op_sel:[0,1]
	s_delay_alu instid0(VALU_DEP_1) | instskip(SKIP_1) | instid1(VALU_DEP_1)
	v_pk_fma_f32 v[146:147], v[144:145], v[132:133], v[142:143] op_sel:[0,0,1] op_sel_hi:[1,1,0] neg_lo:[0,0,1] neg_hi:[0,0,1]
	v_pk_fma_f32 v[142:143], v[144:145], v[132:133], v[142:143] op_sel:[0,0,1] op_sel_hi:[1,0,0]
	v_mov_b32_e32 v147, v143
	ds_load_2addr_b64 v[142:145], v136 offset0:31 offset1:32
	v_pk_add_f32 v[94:95], v[94:95], v[148:149] neg_lo:[0,1] neg_hi:[0,1]
	v_pk_add_f32 v[44:45], v[44:45], v[146:147] neg_lo:[0,1] neg_hi:[0,1]
	s_wait_dscnt 0x0
	v_pk_mul_f32 v[146:147], v[142:143], v[134:135] op_sel:[0,1]
	s_delay_alu instid0(VALU_DEP_1) | instskip(SKIP_1) | instid1(VALU_DEP_1)
	v_pk_fma_f32 v[148:149], v[142:143], v[132:133], v[146:147] op_sel:[0,0,1] op_sel_hi:[1,1,0] neg_lo:[0,0,1] neg_hi:[0,0,1]
	v_pk_fma_f32 v[142:143], v[142:143], v[132:133], v[146:147] op_sel:[0,0,1] op_sel_hi:[1,0,0]
	v_mov_b32_e32 v149, v143
	v_pk_mul_f32 v[142:143], v[144:145], v[134:135] op_sel:[0,1]
	s_delay_alu instid0(VALU_DEP_1) | instskip(SKIP_1) | instid1(VALU_DEP_1)
	v_pk_fma_f32 v[146:147], v[144:145], v[132:133], v[142:143] op_sel:[0,0,1] op_sel_hi:[1,1,0] neg_lo:[0,0,1] neg_hi:[0,0,1]
	v_pk_fma_f32 v[142:143], v[144:145], v[132:133], v[142:143] op_sel:[0,0,1] op_sel_hi:[1,0,0]
	v_mov_b32_e32 v147, v143
	ds_load_2addr_b64 v[142:145], v136 offset0:33 offset1:34
	v_pk_add_f32 v[42:43], v[42:43], v[148:149] neg_lo:[0,1] neg_hi:[0,1]
	v_pk_add_f32 v[92:93], v[92:93], v[146:147] neg_lo:[0,1] neg_hi:[0,1]
	s_wait_dscnt 0x0
	v_dual_mul_f32 v146, v143, v135 :: v_dual_mul_f32 v148, v143, v132
	s_delay_alu instid0(VALU_DEP_1) | instskip(NEXT) | instid1(VALU_DEP_2)
	v_pk_fma_f32 v[146:147], v[142:143], v[100:101], v[146:147] op_sel_hi:[1,1,0] neg_lo:[0,0,1] neg_hi:[0,0,1]
	v_pk_fma_f32 v[142:143], v[142:143], v[100:101], v[148:149] op_sel:[1,0,0] op_sel_hi:[0,1,0]
	s_delay_alu instid0(VALU_DEP_1) | instskip(SKIP_1) | instid1(VALU_DEP_2)
	v_mov_b32_e32 v147, v143
	v_pk_mul_f32 v[142:143], v[144:145], v[134:135] op_sel:[0,1]
	v_pk_add_f32 v[90:91], v[90:91], v[146:147] neg_lo:[0,1] neg_hi:[0,1]
	s_delay_alu instid0(VALU_DEP_2) | instskip(SKIP_1) | instid1(VALU_DEP_1)
	v_pk_fma_f32 v[146:147], v[144:145], v[132:133], v[142:143] op_sel:[0,0,1] op_sel_hi:[1,1,0] neg_lo:[0,0,1] neg_hi:[0,0,1]
	v_pk_fma_f32 v[142:143], v[144:145], v[132:133], v[142:143] op_sel:[0,0,1] op_sel_hi:[1,0,0]
	v_mov_b32_e32 v147, v143
	ds_load_2addr_b64 v[142:145], v136 offset0:35 offset1:36
	v_pk_add_f32 v[40:41], v[40:41], v[146:147] neg_lo:[0,1] neg_hi:[0,1]
	s_wait_dscnt 0x0
	v_pk_mul_f32 v[146:147], v[142:143], v[134:135] op_sel:[0,1]
	s_delay_alu instid0(VALU_DEP_1) | instskip(SKIP_1) | instid1(VALU_DEP_1)
	v_pk_fma_f32 v[148:149], v[142:143], v[132:133], v[146:147] op_sel:[0,0,1] op_sel_hi:[1,1,0] neg_lo:[0,0,1] neg_hi:[0,0,1]
	v_pk_fma_f32 v[142:143], v[142:143], v[132:133], v[146:147] op_sel:[0,0,1] op_sel_hi:[1,0,0]
	v_mov_b32_e32 v149, v143
	v_pk_mul_f32 v[142:143], v[144:145], v[134:135] op_sel:[0,1]
	s_delay_alu instid0(VALU_DEP_2) | instskip(NEXT) | instid1(VALU_DEP_2)
	v_pk_add_f32 v[38:39], v[38:39], v[148:149] neg_lo:[0,1] neg_hi:[0,1]
	v_pk_fma_f32 v[146:147], v[144:145], v[132:133], v[142:143] op_sel:[0,0,1] op_sel_hi:[1,1,0] neg_lo:[0,0,1] neg_hi:[0,0,1]
	v_pk_fma_f32 v[142:143], v[144:145], v[132:133], v[142:143] op_sel:[0,0,1] op_sel_hi:[1,0,0]
	s_delay_alu instid0(VALU_DEP_1) | instskip(SKIP_4) | instid1(VALU_DEP_1)
	v_mov_b32_e32 v147, v143
	ds_load_2addr_b64 v[142:145], v136 offset0:37 offset1:38
	v_pk_add_f32 v[88:89], v[88:89], v[146:147] neg_lo:[0,1] neg_hi:[0,1]
	s_wait_dscnt 0x0
	v_pk_mul_f32 v[146:147], v[142:143], v[134:135] op_sel:[0,1]
	v_pk_fma_f32 v[148:149], v[142:143], v[132:133], v[146:147] op_sel:[0,0,1] op_sel_hi:[1,1,0] neg_lo:[0,0,1] neg_hi:[0,0,1]
	v_pk_fma_f32 v[142:143], v[142:143], v[132:133], v[146:147] op_sel:[0,0,1] op_sel_hi:[1,0,0]
	v_dual_mul_f32 v146, v145, v135 :: v_dual_mov_b32 v142, v145
	s_delay_alu instid0(VALU_DEP_2) | instskip(NEXT) | instid1(VALU_DEP_2)
	v_dual_mov_b32 v149, v143 :: v_dual_mov_b32 v143, v144
	v_pk_fma_f32 v[146:147], v[144:145], v[100:101], v[146:147] op_sel_hi:[1,1,0] neg_lo:[0,0,1] neg_hi:[0,0,1]
	v_mul_f32_e32 v144, v145, v132
	s_delay_alu instid0(VALU_DEP_3) | instskip(NEXT) | instid1(VALU_DEP_2)
	v_pk_add_f32 v[86:87], v[86:87], v[148:149] neg_lo:[0,1] neg_hi:[0,1]
	v_pk_fma_f32 v[142:143], v[142:143], v[100:101], v[144:145] op_sel_hi:[1,1,0]
	s_delay_alu instid0(VALU_DEP_1) | instskip(SKIP_4) | instid1(VALU_DEP_1)
	v_mov_b32_e32 v147, v143
	ds_load_2addr_b64 v[142:145], v136 offset0:39 offset1:40
	v_pk_add_f32 v[36:37], v[36:37], v[146:147] neg_lo:[0,1] neg_hi:[0,1]
	s_wait_dscnt 0x0
	v_pk_mul_f32 v[146:147], v[142:143], v[134:135] op_sel:[0,1]
	v_pk_fma_f32 v[148:149], v[142:143], v[132:133], v[146:147] op_sel:[0,0,1] op_sel_hi:[1,1,0] neg_lo:[0,0,1] neg_hi:[0,0,1]
	v_pk_fma_f32 v[142:143], v[142:143], v[132:133], v[146:147] op_sel:[0,0,1] op_sel_hi:[1,0,0]
	s_delay_alu instid0(VALU_DEP_1) | instskip(SKIP_1) | instid1(VALU_DEP_1)
	v_mov_b32_e32 v149, v143
	v_pk_mul_f32 v[142:143], v[144:145], v[134:135] op_sel:[0,1]
	v_pk_fma_f32 v[146:147], v[144:145], v[132:133], v[142:143] op_sel:[0,0,1] op_sel_hi:[1,1,0] neg_lo:[0,0,1] neg_hi:[0,0,1]
	v_pk_fma_f32 v[142:143], v[144:145], v[132:133], v[142:143] op_sel:[0,0,1] op_sel_hi:[1,0,0]
	s_delay_alu instid0(VALU_DEP_1)
	v_mov_b32_e32 v147, v143
	ds_load_2addr_b64 v[142:145], v136 offset0:41 offset1:42
	v_pk_add_f32 v[32:33], v[32:33], v[148:149] neg_lo:[0,1] neg_hi:[0,1]
	v_pk_add_f32 v[84:85], v[84:85], v[146:147] neg_lo:[0,1] neg_hi:[0,1]
	s_wait_dscnt 0x0
	v_pk_mul_f32 v[146:147], v[142:143], v[134:135] op_sel:[0,1]
	s_delay_alu instid0(VALU_DEP_1) | instskip(SKIP_1) | instid1(VALU_DEP_1)
	v_pk_fma_f32 v[148:149], v[142:143], v[132:133], v[146:147] op_sel:[0,0,1] op_sel_hi:[1,1,0] neg_lo:[0,0,1] neg_hi:[0,0,1]
	v_pk_fma_f32 v[142:143], v[142:143], v[132:133], v[146:147] op_sel:[0,0,1] op_sel_hi:[1,0,0]
	v_mov_b32_e32 v149, v143
	v_pk_mul_f32 v[142:143], v[144:145], v[134:135] op_sel:[0,1]
	s_delay_alu instid0(VALU_DEP_1) | instskip(SKIP_1) | instid1(VALU_DEP_1)
	v_pk_fma_f32 v[146:147], v[144:145], v[132:133], v[142:143] op_sel:[0,0,1] op_sel_hi:[1,1,0] neg_lo:[0,0,1] neg_hi:[0,0,1]
	v_pk_fma_f32 v[142:143], v[144:145], v[132:133], v[142:143] op_sel:[0,0,1] op_sel_hi:[1,0,0]
	v_mov_b32_e32 v147, v143
	ds_load_2addr_b64 v[142:145], v136 offset0:43 offset1:44
	v_pk_add_f32 v[82:83], v[82:83], v[148:149] neg_lo:[0,1] neg_hi:[0,1]
	v_pk_add_f32 v[24:25], v[24:25], v[146:147] neg_lo:[0,1] neg_hi:[0,1]
	s_wait_dscnt 0x0
	v_dual_mul_f32 v146, v143, v135 :: v_dual_mul_f32 v148, v143, v132
	s_delay_alu instid0(VALU_DEP_1) | instskip(NEXT) | instid1(VALU_DEP_2)
	v_pk_fma_f32 v[146:147], v[142:143], v[100:101], v[146:147] op_sel_hi:[1,1,0] neg_lo:[0,0,1] neg_hi:[0,0,1]
	v_pk_fma_f32 v[142:143], v[142:143], v[100:101], v[148:149] op_sel:[1,0,0] op_sel_hi:[0,1,0]
	s_delay_alu instid0(VALU_DEP_1) | instskip(SKIP_1) | instid1(VALU_DEP_2)
	v_mov_b32_e32 v147, v143
	v_pk_mul_f32 v[142:143], v[144:145], v[134:135] op_sel:[0,1]
	v_pk_add_f32 v[22:23], v[22:23], v[146:147] neg_lo:[0,1] neg_hi:[0,1]
	s_delay_alu instid0(VALU_DEP_2) | instskip(SKIP_1) | instid1(VALU_DEP_1)
	v_pk_fma_f32 v[146:147], v[144:145], v[132:133], v[142:143] op_sel:[0,0,1] op_sel_hi:[1,1,0] neg_lo:[0,0,1] neg_hi:[0,0,1]
	v_pk_fma_f32 v[142:143], v[144:145], v[132:133], v[142:143] op_sel:[0,0,1] op_sel_hi:[1,0,0]
	v_mov_b32_e32 v147, v143
	ds_load_2addr_b64 v[142:145], v136 offset0:45 offset1:46
	v_pk_add_f32 v[80:81], v[80:81], v[146:147] neg_lo:[0,1] neg_hi:[0,1]
	s_wait_dscnt 0x0
	v_pk_mul_f32 v[146:147], v[142:143], v[134:135] op_sel:[0,1]
	s_delay_alu instid0(VALU_DEP_1) | instskip(SKIP_1) | instid1(VALU_DEP_1)
	v_pk_fma_f32 v[148:149], v[142:143], v[132:133], v[146:147] op_sel:[0,0,1] op_sel_hi:[1,1,0] neg_lo:[0,0,1] neg_hi:[0,0,1]
	v_pk_fma_f32 v[142:143], v[142:143], v[132:133], v[146:147] op_sel:[0,0,1] op_sel_hi:[1,0,0]
	v_mov_b32_e32 v149, v143
	v_pk_mul_f32 v[142:143], v[144:145], v[134:135] op_sel:[0,1]
	s_delay_alu instid0(VALU_DEP_2) | instskip(NEXT) | instid1(VALU_DEP_2)
	v_pk_add_f32 v[78:79], v[78:79], v[148:149] neg_lo:[0,1] neg_hi:[0,1]
	v_pk_fma_f32 v[146:147], v[144:145], v[132:133], v[142:143] op_sel:[0,0,1] op_sel_hi:[1,1,0] neg_lo:[0,0,1] neg_hi:[0,0,1]
	v_pk_fma_f32 v[142:143], v[144:145], v[132:133], v[142:143] op_sel:[0,0,1] op_sel_hi:[1,0,0]
	s_delay_alu instid0(VALU_DEP_1) | instskip(SKIP_4) | instid1(VALU_DEP_1)
	v_mov_b32_e32 v147, v143
	ds_load_2addr_b64 v[142:145], v136 offset0:47 offset1:48
	v_pk_add_f32 v[20:21], v[20:21], v[146:147] neg_lo:[0,1] neg_hi:[0,1]
	s_wait_dscnt 0x0
	v_pk_mul_f32 v[146:147], v[142:143], v[134:135] op_sel:[0,1]
	v_pk_fma_f32 v[148:149], v[142:143], v[132:133], v[146:147] op_sel:[0,0,1] op_sel_hi:[1,1,0] neg_lo:[0,0,1] neg_hi:[0,0,1]
	v_pk_fma_f32 v[142:143], v[142:143], v[132:133], v[146:147] op_sel:[0,0,1] op_sel_hi:[1,0,0]
	v_dual_mul_f32 v146, v145, v135 :: v_dual_mov_b32 v142, v145
	s_delay_alu instid0(VALU_DEP_2) | instskip(NEXT) | instid1(VALU_DEP_2)
	v_dual_mov_b32 v149, v143 :: v_dual_mov_b32 v143, v144
	v_pk_fma_f32 v[146:147], v[144:145], v[100:101], v[146:147] op_sel_hi:[1,1,0] neg_lo:[0,0,1] neg_hi:[0,0,1]
	v_mul_f32_e32 v144, v145, v132
	s_delay_alu instid0(VALU_DEP_3) | instskip(NEXT) | instid1(VALU_DEP_2)
	v_pk_add_f32 v[18:19], v[18:19], v[148:149] neg_lo:[0,1] neg_hi:[0,1]
	v_pk_fma_f32 v[142:143], v[142:143], v[100:101], v[144:145] op_sel_hi:[1,1,0]
	s_delay_alu instid0(VALU_DEP_1) | instskip(SKIP_4) | instid1(VALU_DEP_1)
	v_mov_b32_e32 v147, v143
	ds_load_2addr_b64 v[142:145], v136 offset0:49 offset1:50
	v_pk_add_f32 v[76:77], v[76:77], v[146:147] neg_lo:[0,1] neg_hi:[0,1]
	s_wait_dscnt 0x0
	v_pk_mul_f32 v[146:147], v[142:143], v[134:135] op_sel:[0,1]
	v_pk_fma_f32 v[148:149], v[142:143], v[132:133], v[146:147] op_sel:[0,0,1] op_sel_hi:[1,1,0] neg_lo:[0,0,1] neg_hi:[0,0,1]
	v_pk_fma_f32 v[142:143], v[142:143], v[132:133], v[146:147] op_sel:[0,0,1] op_sel_hi:[1,0,0]
	s_delay_alu instid0(VALU_DEP_1) | instskip(SKIP_1) | instid1(VALU_DEP_1)
	v_mov_b32_e32 v149, v143
	v_pk_mul_f32 v[142:143], v[144:145], v[134:135] op_sel:[0,1]
	v_pk_fma_f32 v[146:147], v[144:145], v[132:133], v[142:143] op_sel:[0,0,1] op_sel_hi:[1,1,0] neg_lo:[0,0,1] neg_hi:[0,0,1]
	v_pk_fma_f32 v[142:143], v[144:145], v[132:133], v[142:143] op_sel:[0,0,1] op_sel_hi:[1,0,0]
	s_delay_alu instid0(VALU_DEP_1)
	v_mov_b32_e32 v147, v143
	ds_load_2addr_b64 v[142:145], v136 offset0:51 offset1:52
	v_pk_add_f32 v[74:75], v[74:75], v[148:149] neg_lo:[0,1] neg_hi:[0,1]
	v_pk_add_f32 v[16:17], v[16:17], v[146:147] neg_lo:[0,1] neg_hi:[0,1]
	s_wait_dscnt 0x0
	v_pk_mul_f32 v[146:147], v[142:143], v[134:135] op_sel:[0,1]
	s_delay_alu instid0(VALU_DEP_1) | instskip(SKIP_1) | instid1(VALU_DEP_1)
	v_pk_fma_f32 v[148:149], v[142:143], v[132:133], v[146:147] op_sel:[0,0,1] op_sel_hi:[1,1,0] neg_lo:[0,0,1] neg_hi:[0,0,1]
	v_pk_fma_f32 v[142:143], v[142:143], v[132:133], v[146:147] op_sel:[0,0,1] op_sel_hi:[1,0,0]
	v_mov_b32_e32 v149, v143
	v_pk_mul_f32 v[142:143], v[144:145], v[134:135] op_sel:[0,1]
	s_delay_alu instid0(VALU_DEP_1) | instskip(SKIP_1) | instid1(VALU_DEP_1)
	v_pk_fma_f32 v[146:147], v[144:145], v[132:133], v[142:143] op_sel:[0,0,1] op_sel_hi:[1,1,0] neg_lo:[0,0,1] neg_hi:[0,0,1]
	v_pk_fma_f32 v[142:143], v[144:145], v[132:133], v[142:143] op_sel:[0,0,1] op_sel_hi:[1,0,0]
	v_mov_b32_e32 v147, v143
	ds_load_2addr_b64 v[142:145], v136 offset0:53 offset1:54
	v_pk_add_f32 v[28:29], v[28:29], v[148:149] neg_lo:[0,1] neg_hi:[0,1]
	v_pk_add_f32 v[68:69], v[68:69], v[146:147] neg_lo:[0,1] neg_hi:[0,1]
	s_wait_dscnt 0x0
	v_dual_mul_f32 v146, v143, v135 :: v_dual_mul_f32 v148, v143, v132
	s_delay_alu instid0(VALU_DEP_1) | instskip(NEXT) | instid1(VALU_DEP_2)
	v_pk_fma_f32 v[146:147], v[142:143], v[100:101], v[146:147] op_sel_hi:[1,1,0] neg_lo:[0,0,1] neg_hi:[0,0,1]
	v_pk_fma_f32 v[142:143], v[142:143], v[100:101], v[148:149] op_sel:[1,0,0] op_sel_hi:[0,1,0]
	s_delay_alu instid0(VALU_DEP_1) | instskip(SKIP_1) | instid1(VALU_DEP_2)
	v_mov_b32_e32 v147, v143
	v_pk_mul_f32 v[142:143], v[144:145], v[134:135] op_sel:[0,1]
	v_pk_add_f32 v[66:67], v[66:67], v[146:147] neg_lo:[0,1] neg_hi:[0,1]
	s_delay_alu instid0(VALU_DEP_2) | instskip(SKIP_1) | instid1(VALU_DEP_1)
	v_pk_fma_f32 v[146:147], v[144:145], v[132:133], v[142:143] op_sel:[0,0,1] op_sel_hi:[1,1,0] neg_lo:[0,0,1] neg_hi:[0,0,1]
	v_pk_fma_f32 v[142:143], v[144:145], v[132:133], v[142:143] op_sel:[0,0,1] op_sel_hi:[1,0,0]
	v_mov_b32_e32 v147, v143
	ds_load_2addr_b64 v[142:145], v136 offset0:55 offset1:56
	v_pk_add_f32 v[10:11], v[10:11], v[146:147] neg_lo:[0,1] neg_hi:[0,1]
	s_wait_dscnt 0x0
	v_pk_mul_f32 v[146:147], v[142:143], v[134:135] op_sel:[0,1]
	s_delay_alu instid0(VALU_DEP_1) | instskip(SKIP_1) | instid1(VALU_DEP_1)
	v_pk_fma_f32 v[148:149], v[142:143], v[132:133], v[146:147] op_sel:[0,0,1] op_sel_hi:[1,1,0] neg_lo:[0,0,1] neg_hi:[0,0,1]
	v_pk_fma_f32 v[142:143], v[142:143], v[132:133], v[146:147] op_sel:[0,0,1] op_sel_hi:[1,0,0]
	v_mov_b32_e32 v149, v143
	v_pk_mul_f32 v[142:143], v[144:145], v[134:135] op_sel:[0,1]
	s_delay_alu instid0(VALU_DEP_2) | instskip(NEXT) | instid1(VALU_DEP_2)
	v_pk_add_f32 v[8:9], v[8:9], v[148:149] neg_lo:[0,1] neg_hi:[0,1]
	v_pk_fma_f32 v[146:147], v[144:145], v[132:133], v[142:143] op_sel:[0,0,1] op_sel_hi:[1,1,0] neg_lo:[0,0,1] neg_hi:[0,0,1]
	v_pk_fma_f32 v[142:143], v[144:145], v[132:133], v[142:143] op_sel:[0,0,1] op_sel_hi:[1,0,0]
	s_delay_alu instid0(VALU_DEP_1) | instskip(SKIP_4) | instid1(VALU_DEP_1)
	v_mov_b32_e32 v147, v143
	ds_load_2addr_b64 v[142:145], v136 offset0:57 offset1:58
	v_pk_add_f32 v[34:35], v[34:35], v[146:147] neg_lo:[0,1] neg_hi:[0,1]
	s_wait_dscnt 0x0
	v_pk_mul_f32 v[146:147], v[142:143], v[134:135] op_sel:[0,1]
	v_pk_fma_f32 v[148:149], v[142:143], v[132:133], v[146:147] op_sel:[0,0,1] op_sel_hi:[1,1,0] neg_lo:[0,0,1] neg_hi:[0,0,1]
	v_pk_fma_f32 v[142:143], v[142:143], v[132:133], v[146:147] op_sel:[0,0,1] op_sel_hi:[1,0,0]
	v_dual_mul_f32 v146, v145, v135 :: v_dual_mov_b32 v142, v145
	s_delay_alu instid0(VALU_DEP_2) | instskip(NEXT) | instid1(VALU_DEP_2)
	v_dual_mov_b32 v149, v143 :: v_dual_mov_b32 v143, v144
	v_pk_fma_f32 v[146:147], v[144:145], v[100:101], v[146:147] op_sel_hi:[1,1,0] neg_lo:[0,0,1] neg_hi:[0,0,1]
	v_mul_f32_e32 v144, v145, v132
	s_delay_alu instid0(VALU_DEP_3) | instskip(NEXT) | instid1(VALU_DEP_2)
	v_pk_add_f32 v[30:31], v[30:31], v[148:149] neg_lo:[0,1] neg_hi:[0,1]
	v_pk_fma_f32 v[142:143], v[142:143], v[100:101], v[144:145] op_sel_hi:[1,1,0]
	s_delay_alu instid0(VALU_DEP_1) | instskip(SKIP_4) | instid1(VALU_DEP_1)
	v_mov_b32_e32 v147, v143
	ds_load_2addr_b64 v[142:145], v136 offset0:59 offset1:60
	v_pk_add_f32 v[6:7], v[6:7], v[146:147] neg_lo:[0,1] neg_hi:[0,1]
	s_wait_dscnt 0x0
	v_pk_mul_f32 v[146:147], v[142:143], v[134:135] op_sel:[0,1]
	v_pk_fma_f32 v[148:149], v[142:143], v[132:133], v[146:147] op_sel:[0,0,1] op_sel_hi:[1,1,0] neg_lo:[0,0,1] neg_hi:[0,0,1]
	v_pk_fma_f32 v[142:143], v[142:143], v[132:133], v[146:147] op_sel:[0,0,1] op_sel_hi:[1,0,0]
	s_delay_alu instid0(VALU_DEP_1) | instskip(SKIP_1) | instid1(VALU_DEP_1)
	v_mov_b32_e32 v149, v143
	v_pk_mul_f32 v[142:143], v[144:145], v[134:135] op_sel:[0,1]
	v_pk_fma_f32 v[146:147], v[144:145], v[132:133], v[142:143] op_sel:[0,0,1] op_sel_hi:[1,1,0] neg_lo:[0,0,1] neg_hi:[0,0,1]
	v_pk_fma_f32 v[142:143], v[144:145], v[132:133], v[142:143] op_sel:[0,0,1] op_sel_hi:[1,0,0]
	s_delay_alu instid0(VALU_DEP_1)
	v_mov_b32_e32 v147, v143
	ds_load_2addr_b64 v[142:145], v136 offset0:61 offset1:62
	v_pk_add_f32 v[26:27], v[26:27], v[148:149] neg_lo:[0,1] neg_hi:[0,1]
	v_pk_add_f32 v[14:15], v[14:15], v[146:147] neg_lo:[0,1] neg_hi:[0,1]
	s_wait_dscnt 0x0
	v_pk_mul_f32 v[146:147], v[142:143], v[134:135] op_sel:[0,1]
	v_pk_mul_f32 v[134:135], v[144:145], v[134:135] op_sel:[0,1]
	s_delay_alu instid0(VALU_DEP_2) | instskip(SKIP_1) | instid1(VALU_DEP_1)
	v_pk_fma_f32 v[148:149], v[142:143], v[132:133], v[146:147] op_sel:[0,0,1] op_sel_hi:[1,1,0] neg_lo:[0,0,1] neg_hi:[0,0,1]
	v_pk_fma_f32 v[142:143], v[142:143], v[132:133], v[146:147] op_sel:[0,0,1] op_sel_hi:[1,0,0]
	v_mov_b32_e32 v149, v143
	s_delay_alu instid0(VALU_DEP_4) | instskip(SKIP_1) | instid1(VALU_DEP_1)
	v_pk_fma_f32 v[142:143], v[144:145], v[132:133], v[134:135] op_sel:[0,0,1] op_sel_hi:[1,1,0] neg_lo:[0,0,1] neg_hi:[0,0,1]
	v_pk_fma_f32 v[132:133], v[144:145], v[132:133], v[134:135] op_sel:[0,0,1] op_sel_hi:[1,0,0]
	v_mov_b32_e32 v143, v133
	s_delay_alu instid0(VALU_DEP_4) | instskip(NEXT) | instid1(VALU_DEP_2)
	v_pk_add_f32 v[12:13], v[12:13], v[148:149] neg_lo:[0,1] neg_hi:[0,1]
	v_pk_add_f32 v[130:131], v[130:131], v[142:143] neg_lo:[0,1] neg_hi:[0,1]
.LBB124_524:
	s_or_b32 exec_lo, exec_lo, s0
	v_lshl_add_u32 v132, v140, 3, v136
	s_barrier_signal -1
	s_barrier_wait -1
	ds_store_b64 v132, v[98:99]
	s_wait_dscnt 0x0
	s_barrier_signal -1
	s_barrier_wait -1
	ds_load_b64 v[134:135], v136 offset:200
	v_mov_b32_e32 v132, 25
	s_cmp_lt_i32 s18, 27
	s_cbranch_scc1 .LBB124_527
; %bb.525:
	v_add3_u32 v133, v137, 0, 0xd0
	v_mov_b32_e32 v132, 25
	s_mov_b32 s0, 26
.LBB124_526:                            ; =>This Inner Loop Header: Depth=1
	ds_load_b64 v[142:143], v133
	s_wait_dscnt 0x1
	v_cmp_gt_f32_e32 vcc_lo, 0, v134
	v_cndmask_b32_e64 v144, v134, -v134, vcc_lo
	v_cmp_gt_f32_e32 vcc_lo, 0, v135
	v_cndmask_b32_e64 v146, v135, -v135, vcc_lo
	s_wait_dscnt 0x0
	v_cmp_gt_f32_e32 vcc_lo, 0, v142
	v_cndmask_b32_e64 v145, v142, -v142, vcc_lo
	v_cmp_gt_f32_e32 vcc_lo, 0, v143
	v_cndmask_b32_e64 v147, v143, -v143, vcc_lo
	s_delay_alu instid0(VALU_DEP_1) | instskip(NEXT) | instid1(VALU_DEP_1)
	v_pk_add_f32 v[144:145], v[144:145], v[146:147]
	v_cmp_lt_f32_e32 vcc_lo, v144, v145
	v_dual_add_nc_u32 v133, 8, v133 :: v_dual_cndmask_b32 v135, v135, v143, vcc_lo
	v_cndmask_b32_e32 v134, v134, v142, vcc_lo
	v_cndmask_b32_e64 v132, v132, s0, vcc_lo
	s_add_co_i32 s0, s0, 1
	s_delay_alu instid0(SALU_CYCLE_1)
	s_cmp_lg_u32 s18, s0
	s_cbranch_scc1 .LBB124_526
.LBB124_527:
	s_wait_dscnt 0x0
	v_cmp_eq_f32_e32 vcc_lo, 0, v134
	v_cmp_eq_f32_e64 s0, 0, v135
	s_and_b32 s0, vcc_lo, s0
	s_delay_alu instid0(SALU_CYCLE_1) | instskip(NEXT) | instid1(SALU_CYCLE_1)
	s_and_saveexec_b32 s1, s0
	s_xor_b32 s0, exec_lo, s1
; %bb.528:
	v_cmp_ne_u32_e32 vcc_lo, 0, v138
	v_cndmask_b32_e32 v138, 26, v138, vcc_lo
; %bb.529:
	s_and_not1_saveexec_b32 s0, s0
	s_cbranch_execz .LBB124_535
; %bb.530:
	v_cmp_ngt_f32_e64 s1, |v134|, |v135|
	s_and_saveexec_b32 s12, s1
	s_delay_alu instid0(SALU_CYCLE_1)
	s_xor_b32 s1, exec_lo, s12
	s_cbranch_execz .LBB124_532
; %bb.531:
	v_div_scale_f32 v133, null, v135, v135, v134
	v_div_scale_f32 v143, vcc_lo, v134, v135, v134
	s_delay_alu instid0(VALU_DEP_2) | instskip(SKIP_1) | instid1(TRANS32_DEP_1)
	v_rcp_f32_e32 v141, v133
	v_nop
	v_fma_f32 v142, -v133, v141, 1.0
	s_delay_alu instid0(VALU_DEP_1) | instskip(NEXT) | instid1(VALU_DEP_1)
	v_fmac_f32_e32 v141, v142, v141
	v_mul_f32_e32 v142, v143, v141
	s_delay_alu instid0(VALU_DEP_1) | instskip(NEXT) | instid1(VALU_DEP_1)
	v_fma_f32 v144, -v133, v142, v143
	v_fmac_f32_e32 v142, v144, v141
	s_delay_alu instid0(VALU_DEP_1) | instskip(NEXT) | instid1(VALU_DEP_1)
	v_fma_f32 v133, -v133, v142, v143
	v_div_fmas_f32 v133, v133, v141, v142
	s_delay_alu instid0(VALU_DEP_1) | instskip(NEXT) | instid1(VALU_DEP_1)
	v_div_fixup_f32 v133, v133, v135, v134
	v_fmac_f32_e32 v135, v134, v133
	s_delay_alu instid0(VALU_DEP_1) | instskip(SKIP_1) | instid1(VALU_DEP_2)
	v_div_scale_f32 v134, null, v135, v135, 1.0
	v_div_scale_f32 v143, vcc_lo, 1.0, v135, 1.0
	v_rcp_f32_e32 v141, v134
	v_nop
	s_delay_alu instid0(TRANS32_DEP_1) | instskip(NEXT) | instid1(VALU_DEP_1)
	v_fma_f32 v142, -v134, v141, 1.0
	v_fmac_f32_e32 v141, v142, v141
	s_delay_alu instid0(VALU_DEP_1) | instskip(NEXT) | instid1(VALU_DEP_1)
	v_mul_f32_e32 v142, v143, v141
	v_fma_f32 v144, -v134, v142, v143
	s_delay_alu instid0(VALU_DEP_1) | instskip(NEXT) | instid1(VALU_DEP_1)
	v_fmac_f32_e32 v142, v144, v141
	v_fma_f32 v134, -v134, v142, v143
	s_delay_alu instid0(VALU_DEP_1) | instskip(NEXT) | instid1(VALU_DEP_1)
	v_div_fmas_f32 v134, v134, v141, v142
	v_div_fixup_f32 v135, v134, v135, 1.0
	s_delay_alu instid0(VALU_DEP_1)
	v_mul_f32_e32 v134, v133, v135
	v_xor_b32_e32 v135, 0x80000000, v135
.LBB124_532:
	s_and_not1_saveexec_b32 s1, s1
	s_cbranch_execz .LBB124_534
; %bb.533:
	s_delay_alu instid0(VALU_DEP_1) | instskip(SKIP_1) | instid1(VALU_DEP_2)
	v_div_scale_f32 v133, null, v134, v134, v135
	v_div_scale_f32 v143, vcc_lo, v135, v134, v135
	v_rcp_f32_e32 v141, v133
	v_nop
	s_delay_alu instid0(TRANS32_DEP_1) | instskip(NEXT) | instid1(VALU_DEP_1)
	v_fma_f32 v142, -v133, v141, 1.0
	v_fmac_f32_e32 v141, v142, v141
	s_delay_alu instid0(VALU_DEP_1) | instskip(NEXT) | instid1(VALU_DEP_1)
	v_mul_f32_e32 v142, v143, v141
	v_fma_f32 v144, -v133, v142, v143
	s_delay_alu instid0(VALU_DEP_1) | instskip(NEXT) | instid1(VALU_DEP_1)
	v_fmac_f32_e32 v142, v144, v141
	v_fma_f32 v133, -v133, v142, v143
	s_delay_alu instid0(VALU_DEP_1) | instskip(NEXT) | instid1(VALU_DEP_1)
	v_div_fmas_f32 v133, v133, v141, v142
	v_div_fixup_f32 v133, v133, v134, v135
	s_delay_alu instid0(VALU_DEP_1) | instskip(NEXT) | instid1(VALU_DEP_1)
	v_fmac_f32_e32 v134, v135, v133
	v_div_scale_f32 v135, null, v134, v134, 1.0
	s_delay_alu instid0(VALU_DEP_1) | instskip(SKIP_1) | instid1(TRANS32_DEP_1)
	v_rcp_f32_e32 v141, v135
	v_nop
	v_fma_f32 v142, -v135, v141, 1.0
	s_delay_alu instid0(VALU_DEP_1) | instskip(SKIP_1) | instid1(VALU_DEP_1)
	v_fmac_f32_e32 v141, v142, v141
	v_div_scale_f32 v142, vcc_lo, 1.0, v134, 1.0
	v_mul_f32_e32 v143, v142, v141
	s_delay_alu instid0(VALU_DEP_1) | instskip(NEXT) | instid1(VALU_DEP_1)
	v_fma_f32 v144, -v135, v143, v142
	v_fmac_f32_e32 v143, v144, v141
	s_delay_alu instid0(VALU_DEP_1) | instskip(NEXT) | instid1(VALU_DEP_1)
	v_fma_f32 v135, -v135, v143, v142
	v_div_fmas_f32 v135, v135, v141, v143
	s_delay_alu instid0(VALU_DEP_1) | instskip(NEXT) | instid1(VALU_DEP_1)
	v_div_fixup_f32 v134, v135, v134, 1.0
	v_mul_f32_e64 v135, v133, -v134
.LBB124_534:
	s_or_b32 exec_lo, exec_lo, s1
.LBB124_535:
	s_delay_alu instid0(SALU_CYCLE_1) | instskip(NEXT) | instid1(SALU_CYCLE_1)
	s_or_b32 exec_lo, exec_lo, s0
	s_mov_b32 s0, exec_lo
	v_cmpx_ne_u32_e64 v140, v132
	s_xor_b32 s0, exec_lo, s0
	s_cbranch_execz .LBB124_541
; %bb.536:
	s_mov_b32 s1, exec_lo
	v_cmpx_eq_u32_e32 25, v140
	s_cbranch_execz .LBB124_540
; %bb.537:
	v_cmp_ne_u32_e32 vcc_lo, 25, v132
	s_xor_b32 s12, s16, -1
	s_delay_alu instid0(SALU_CYCLE_1) | instskip(NEXT) | instid1(SALU_CYCLE_1)
	s_and_b32 s13, s12, vcc_lo
	s_and_saveexec_b32 s12, s13
	s_cbranch_execz .LBB124_539
; %bb.538:
	v_ashrrev_i32_e32 v133, 31, v132
	s_delay_alu instid0(VALU_DEP_1)
	v_lshl_add_u64 v[140:141], v[132:133], 2, v[4:5]
	s_clause 0x1
	global_load_b32 v133, v[140:141], off
	global_load_b32 v139, v[4:5], off offset:100
	s_wait_loadcnt 0x1
	global_store_b32 v[4:5], v133, off offset:100
	s_wait_loadcnt 0x0
	global_store_b32 v[140:141], v139, off
.LBB124_539:
	s_wait_xcnt 0x0
	s_or_b32 exec_lo, exec_lo, s12
	v_dual_mov_b32 v140, v132 :: v_dual_mov_b32 v139, v132
.LBB124_540:
	s_or_b32 exec_lo, exec_lo, s1
.LBB124_541:
	s_and_not1_saveexec_b32 s0, s0
	s_cbranch_execz .LBB124_543
; %bb.542:
	v_dual_mov_b32 v132, v48 :: v_dual_mov_b32 v133, v49
	v_dual_mov_b32 v140, v46 :: v_dual_mov_b32 v141, v47
	ds_store_2addr_b64 v136, v[132:133], v[140:141] offset0:26 offset1:27
	v_dual_mov_b32 v132, v96 :: v_dual_mov_b32 v133, v97
	v_dual_mov_b32 v140, v94 :: v_dual_mov_b32 v141, v95
	ds_store_2addr_b64 v136, v[132:133], v[140:141] offset0:28 offset1:29
	;; [unrolled: 3-line block ×18, first 2 shown]
	ds_store_b64 v136, v[130:131] offset:496
	v_mov_b32_e32 v140, 25
.LBB124_543:
	s_or_b32 exec_lo, exec_lo, s0
	s_delay_alu instid0(SALU_CYCLE_1)
	s_mov_b32 s0, exec_lo
	s_wait_storecnt_dscnt 0x0
	s_barrier_signal -1
	s_barrier_wait -1
	v_cmpx_lt_i32_e32 25, v140
	s_cbranch_execz .LBB124_545
; %bb.544:
	v_pk_mul_f32 v[142:143], v[134:135], v[98:99] op_sel:[1,1] op_sel_hi:[0,1]
	s_delay_alu instid0(VALU_DEP_1)
	v_pk_fma_f32 v[132:133], v[134:135], v[98:99], v[142:143] op_sel_hi:[1,0,1] neg_lo:[0,0,1] neg_hi:[0,0,1]
	v_pk_fma_f32 v[134:135], v[134:135], v[98:99], v[142:143] op_sel_hi:[1,0,1]
	ds_load_2addr_b64 v[142:145], v136 offset0:26 offset1:27
	v_dual_mov_b32 v98, v132 :: v_dual_mov_b32 v99, v135
	s_wait_dscnt 0x0
	v_pk_mul_f32 v[146:147], v[142:143], v[134:135] op_sel:[0,1]
	s_delay_alu instid0(VALU_DEP_1) | instskip(SKIP_1) | instid1(VALU_DEP_1)
	v_pk_fma_f32 v[148:149], v[142:143], v[132:133], v[146:147] op_sel:[0,0,1] op_sel_hi:[1,1,0] neg_lo:[0,0,1] neg_hi:[0,0,1]
	v_pk_fma_f32 v[142:143], v[142:143], v[132:133], v[146:147] op_sel:[0,0,1] op_sel_hi:[1,0,0]
	v_mov_b32_e32 v149, v143
	v_pk_mul_f32 v[142:143], v[144:145], v[134:135] op_sel:[0,1]
	s_delay_alu instid0(VALU_DEP_1) | instskip(SKIP_1) | instid1(VALU_DEP_1)
	v_pk_fma_f32 v[146:147], v[144:145], v[132:133], v[142:143] op_sel:[0,0,1] op_sel_hi:[1,1,0] neg_lo:[0,0,1] neg_hi:[0,0,1]
	v_pk_fma_f32 v[142:143], v[144:145], v[132:133], v[142:143] op_sel:[0,0,1] op_sel_hi:[1,0,0]
	v_mov_b32_e32 v147, v143
	ds_load_2addr_b64 v[142:145], v136 offset0:28 offset1:29
	v_pk_add_f32 v[48:49], v[48:49], v[148:149] neg_lo:[0,1] neg_hi:[0,1]
	v_pk_add_f32 v[46:47], v[46:47], v[146:147] neg_lo:[0,1] neg_hi:[0,1]
	s_wait_dscnt 0x0
	v_pk_mul_f32 v[146:147], v[142:143], v[134:135] op_sel:[0,1]
	s_delay_alu instid0(VALU_DEP_1) | instskip(SKIP_2) | instid1(VALU_DEP_2)
	v_pk_fma_f32 v[148:149], v[142:143], v[132:133], v[146:147] op_sel:[0,0,1] op_sel_hi:[1,1,0] neg_lo:[0,0,1] neg_hi:[0,0,1]
	v_pk_fma_f32 v[142:143], v[142:143], v[132:133], v[146:147] op_sel:[0,0,1] op_sel_hi:[1,0,0]
	v_dual_mul_f32 v146, v145, v135 :: v_dual_mov_b32 v142, v145
	v_dual_mov_b32 v149, v143 :: v_dual_mov_b32 v143, v144
	s_delay_alu instid0(VALU_DEP_2) | instskip(SKIP_1) | instid1(VALU_DEP_3)
	v_pk_fma_f32 v[146:147], v[144:145], v[98:99], v[146:147] op_sel_hi:[1,1,0] neg_lo:[0,0,1] neg_hi:[0,0,1]
	v_mul_f32_e32 v144, v145, v132
	v_pk_add_f32 v[96:97], v[96:97], v[148:149] neg_lo:[0,1] neg_hi:[0,1]
	s_delay_alu instid0(VALU_DEP_2) | instskip(NEXT) | instid1(VALU_DEP_1)
	v_pk_fma_f32 v[142:143], v[142:143], v[98:99], v[144:145] op_sel_hi:[1,1,0]
	v_mov_b32_e32 v147, v143
	ds_load_2addr_b64 v[142:145], v136 offset0:30 offset1:31
	v_pk_add_f32 v[94:95], v[94:95], v[146:147] neg_lo:[0,1] neg_hi:[0,1]
	s_wait_dscnt 0x0
	v_pk_mul_f32 v[146:147], v[142:143], v[134:135] op_sel:[0,1]
	s_delay_alu instid0(VALU_DEP_1) | instskip(SKIP_1) | instid1(VALU_DEP_1)
	v_pk_fma_f32 v[148:149], v[142:143], v[132:133], v[146:147] op_sel:[0,0,1] op_sel_hi:[1,1,0] neg_lo:[0,0,1] neg_hi:[0,0,1]
	v_pk_fma_f32 v[142:143], v[142:143], v[132:133], v[146:147] op_sel:[0,0,1] op_sel_hi:[1,0,0]
	v_mov_b32_e32 v149, v143
	v_pk_mul_f32 v[142:143], v[144:145], v[134:135] op_sel:[0,1]
	s_delay_alu instid0(VALU_DEP_1) | instskip(SKIP_1) | instid1(VALU_DEP_1)
	v_pk_fma_f32 v[146:147], v[144:145], v[132:133], v[142:143] op_sel:[0,0,1] op_sel_hi:[1,1,0] neg_lo:[0,0,1] neg_hi:[0,0,1]
	v_pk_fma_f32 v[142:143], v[144:145], v[132:133], v[142:143] op_sel:[0,0,1] op_sel_hi:[1,0,0]
	v_mov_b32_e32 v147, v143
	ds_load_2addr_b64 v[142:145], v136 offset0:32 offset1:33
	v_pk_add_f32 v[44:45], v[44:45], v[148:149] neg_lo:[0,1] neg_hi:[0,1]
	v_pk_add_f32 v[42:43], v[42:43], v[146:147] neg_lo:[0,1] neg_hi:[0,1]
	s_wait_dscnt 0x0
	v_pk_mul_f32 v[146:147], v[142:143], v[134:135] op_sel:[0,1]
	s_delay_alu instid0(VALU_DEP_1) | instskip(SKIP_1) | instid1(VALU_DEP_1)
	v_pk_fma_f32 v[148:149], v[142:143], v[132:133], v[146:147] op_sel:[0,0,1] op_sel_hi:[1,1,0] neg_lo:[0,0,1] neg_hi:[0,0,1]
	v_pk_fma_f32 v[142:143], v[142:143], v[132:133], v[146:147] op_sel:[0,0,1] op_sel_hi:[1,0,0]
	v_mov_b32_e32 v149, v143
	v_pk_mul_f32 v[142:143], v[144:145], v[134:135] op_sel:[0,1]
	s_delay_alu instid0(VALU_DEP_1) | instskip(SKIP_1) | instid1(VALU_DEP_1)
	v_pk_fma_f32 v[146:147], v[144:145], v[132:133], v[142:143] op_sel:[0,0,1] op_sel_hi:[1,1,0] neg_lo:[0,0,1] neg_hi:[0,0,1]
	v_pk_fma_f32 v[142:143], v[144:145], v[132:133], v[142:143] op_sel:[0,0,1] op_sel_hi:[1,0,0]
	v_mov_b32_e32 v147, v143
	ds_load_2addr_b64 v[142:145], v136 offset0:34 offset1:35
	v_pk_add_f32 v[92:93], v[92:93], v[148:149] neg_lo:[0,1] neg_hi:[0,1]
	v_pk_add_f32 v[90:91], v[90:91], v[146:147] neg_lo:[0,1] neg_hi:[0,1]
	s_wait_dscnt 0x0
	v_dual_mul_f32 v146, v143, v135 :: v_dual_mul_f32 v148, v143, v132
	s_delay_alu instid0(VALU_DEP_1) | instskip(NEXT) | instid1(VALU_DEP_2)
	v_pk_fma_f32 v[146:147], v[142:143], v[98:99], v[146:147] op_sel_hi:[1,1,0] neg_lo:[0,0,1] neg_hi:[0,0,1]
	v_pk_fma_f32 v[142:143], v[142:143], v[98:99], v[148:149] op_sel:[1,0,0] op_sel_hi:[0,1,0]
	s_delay_alu instid0(VALU_DEP_1) | instskip(SKIP_1) | instid1(VALU_DEP_2)
	v_mov_b32_e32 v147, v143
	v_pk_mul_f32 v[142:143], v[144:145], v[134:135] op_sel:[0,1]
	v_pk_add_f32 v[40:41], v[40:41], v[146:147] neg_lo:[0,1] neg_hi:[0,1]
	s_delay_alu instid0(VALU_DEP_2) | instskip(SKIP_1) | instid1(VALU_DEP_1)
	v_pk_fma_f32 v[146:147], v[144:145], v[132:133], v[142:143] op_sel:[0,0,1] op_sel_hi:[1,1,0] neg_lo:[0,0,1] neg_hi:[0,0,1]
	v_pk_fma_f32 v[142:143], v[144:145], v[132:133], v[142:143] op_sel:[0,0,1] op_sel_hi:[1,0,0]
	v_mov_b32_e32 v147, v143
	ds_load_2addr_b64 v[142:145], v136 offset0:36 offset1:37
	v_pk_add_f32 v[38:39], v[38:39], v[146:147] neg_lo:[0,1] neg_hi:[0,1]
	s_wait_dscnt 0x0
	v_pk_mul_f32 v[146:147], v[142:143], v[134:135] op_sel:[0,1]
	s_delay_alu instid0(VALU_DEP_1) | instskip(SKIP_1) | instid1(VALU_DEP_1)
	v_pk_fma_f32 v[148:149], v[142:143], v[132:133], v[146:147] op_sel:[0,0,1] op_sel_hi:[1,1,0] neg_lo:[0,0,1] neg_hi:[0,0,1]
	v_pk_fma_f32 v[142:143], v[142:143], v[132:133], v[146:147] op_sel:[0,0,1] op_sel_hi:[1,0,0]
	v_mov_b32_e32 v149, v143
	v_pk_mul_f32 v[142:143], v[144:145], v[134:135] op_sel:[0,1]
	s_delay_alu instid0(VALU_DEP_2) | instskip(NEXT) | instid1(VALU_DEP_2)
	v_pk_add_f32 v[88:89], v[88:89], v[148:149] neg_lo:[0,1] neg_hi:[0,1]
	v_pk_fma_f32 v[146:147], v[144:145], v[132:133], v[142:143] op_sel:[0,0,1] op_sel_hi:[1,1,0] neg_lo:[0,0,1] neg_hi:[0,0,1]
	v_pk_fma_f32 v[142:143], v[144:145], v[132:133], v[142:143] op_sel:[0,0,1] op_sel_hi:[1,0,0]
	s_delay_alu instid0(VALU_DEP_1) | instskip(SKIP_4) | instid1(VALU_DEP_1)
	v_mov_b32_e32 v147, v143
	ds_load_2addr_b64 v[142:145], v136 offset0:38 offset1:39
	v_pk_add_f32 v[86:87], v[86:87], v[146:147] neg_lo:[0,1] neg_hi:[0,1]
	s_wait_dscnt 0x0
	v_pk_mul_f32 v[146:147], v[142:143], v[134:135] op_sel:[0,1]
	v_pk_fma_f32 v[148:149], v[142:143], v[132:133], v[146:147] op_sel:[0,0,1] op_sel_hi:[1,1,0] neg_lo:[0,0,1] neg_hi:[0,0,1]
	v_pk_fma_f32 v[142:143], v[142:143], v[132:133], v[146:147] op_sel:[0,0,1] op_sel_hi:[1,0,0]
	v_dual_mul_f32 v146, v145, v135 :: v_dual_mov_b32 v142, v145
	s_delay_alu instid0(VALU_DEP_2) | instskip(NEXT) | instid1(VALU_DEP_2)
	v_dual_mov_b32 v149, v143 :: v_dual_mov_b32 v143, v144
	v_pk_fma_f32 v[146:147], v[144:145], v[98:99], v[146:147] op_sel_hi:[1,1,0] neg_lo:[0,0,1] neg_hi:[0,0,1]
	v_mul_f32_e32 v144, v145, v132
	s_delay_alu instid0(VALU_DEP_3) | instskip(NEXT) | instid1(VALU_DEP_2)
	v_pk_add_f32 v[36:37], v[36:37], v[148:149] neg_lo:[0,1] neg_hi:[0,1]
	v_pk_fma_f32 v[142:143], v[142:143], v[98:99], v[144:145] op_sel_hi:[1,1,0]
	s_delay_alu instid0(VALU_DEP_1) | instskip(SKIP_4) | instid1(VALU_DEP_1)
	v_mov_b32_e32 v147, v143
	ds_load_2addr_b64 v[142:145], v136 offset0:40 offset1:41
	v_pk_add_f32 v[32:33], v[32:33], v[146:147] neg_lo:[0,1] neg_hi:[0,1]
	s_wait_dscnt 0x0
	v_pk_mul_f32 v[146:147], v[142:143], v[134:135] op_sel:[0,1]
	v_pk_fma_f32 v[148:149], v[142:143], v[132:133], v[146:147] op_sel:[0,0,1] op_sel_hi:[1,1,0] neg_lo:[0,0,1] neg_hi:[0,0,1]
	v_pk_fma_f32 v[142:143], v[142:143], v[132:133], v[146:147] op_sel:[0,0,1] op_sel_hi:[1,0,0]
	s_delay_alu instid0(VALU_DEP_1) | instskip(SKIP_1) | instid1(VALU_DEP_1)
	v_mov_b32_e32 v149, v143
	v_pk_mul_f32 v[142:143], v[144:145], v[134:135] op_sel:[0,1]
	v_pk_fma_f32 v[146:147], v[144:145], v[132:133], v[142:143] op_sel:[0,0,1] op_sel_hi:[1,1,0] neg_lo:[0,0,1] neg_hi:[0,0,1]
	v_pk_fma_f32 v[142:143], v[144:145], v[132:133], v[142:143] op_sel:[0,0,1] op_sel_hi:[1,0,0]
	s_delay_alu instid0(VALU_DEP_1)
	v_mov_b32_e32 v147, v143
	ds_load_2addr_b64 v[142:145], v136 offset0:42 offset1:43
	v_pk_add_f32 v[84:85], v[84:85], v[148:149] neg_lo:[0,1] neg_hi:[0,1]
	v_pk_add_f32 v[82:83], v[82:83], v[146:147] neg_lo:[0,1] neg_hi:[0,1]
	s_wait_dscnt 0x0
	v_pk_mul_f32 v[146:147], v[142:143], v[134:135] op_sel:[0,1]
	s_delay_alu instid0(VALU_DEP_1) | instskip(SKIP_1) | instid1(VALU_DEP_1)
	v_pk_fma_f32 v[148:149], v[142:143], v[132:133], v[146:147] op_sel:[0,0,1] op_sel_hi:[1,1,0] neg_lo:[0,0,1] neg_hi:[0,0,1]
	v_pk_fma_f32 v[142:143], v[142:143], v[132:133], v[146:147] op_sel:[0,0,1] op_sel_hi:[1,0,0]
	v_mov_b32_e32 v149, v143
	v_pk_mul_f32 v[142:143], v[144:145], v[134:135] op_sel:[0,1]
	s_delay_alu instid0(VALU_DEP_1) | instskip(SKIP_1) | instid1(VALU_DEP_1)
	v_pk_fma_f32 v[146:147], v[144:145], v[132:133], v[142:143] op_sel:[0,0,1] op_sel_hi:[1,1,0] neg_lo:[0,0,1] neg_hi:[0,0,1]
	v_pk_fma_f32 v[142:143], v[144:145], v[132:133], v[142:143] op_sel:[0,0,1] op_sel_hi:[1,0,0]
	v_mov_b32_e32 v147, v143
	ds_load_2addr_b64 v[142:145], v136 offset0:44 offset1:45
	v_pk_add_f32 v[24:25], v[24:25], v[148:149] neg_lo:[0,1] neg_hi:[0,1]
	v_pk_add_f32 v[22:23], v[22:23], v[146:147] neg_lo:[0,1] neg_hi:[0,1]
	s_wait_dscnt 0x0
	v_dual_mul_f32 v146, v143, v135 :: v_dual_mul_f32 v148, v143, v132
	s_delay_alu instid0(VALU_DEP_1) | instskip(NEXT) | instid1(VALU_DEP_2)
	v_pk_fma_f32 v[146:147], v[142:143], v[98:99], v[146:147] op_sel_hi:[1,1,0] neg_lo:[0,0,1] neg_hi:[0,0,1]
	v_pk_fma_f32 v[142:143], v[142:143], v[98:99], v[148:149] op_sel:[1,0,0] op_sel_hi:[0,1,0]
	s_delay_alu instid0(VALU_DEP_1) | instskip(SKIP_1) | instid1(VALU_DEP_2)
	v_mov_b32_e32 v147, v143
	v_pk_mul_f32 v[142:143], v[144:145], v[134:135] op_sel:[0,1]
	v_pk_add_f32 v[80:81], v[80:81], v[146:147] neg_lo:[0,1] neg_hi:[0,1]
	s_delay_alu instid0(VALU_DEP_2) | instskip(SKIP_1) | instid1(VALU_DEP_1)
	v_pk_fma_f32 v[146:147], v[144:145], v[132:133], v[142:143] op_sel:[0,0,1] op_sel_hi:[1,1,0] neg_lo:[0,0,1] neg_hi:[0,0,1]
	v_pk_fma_f32 v[142:143], v[144:145], v[132:133], v[142:143] op_sel:[0,0,1] op_sel_hi:[1,0,0]
	v_mov_b32_e32 v147, v143
	ds_load_2addr_b64 v[142:145], v136 offset0:46 offset1:47
	v_pk_add_f32 v[78:79], v[78:79], v[146:147] neg_lo:[0,1] neg_hi:[0,1]
	s_wait_dscnt 0x0
	v_pk_mul_f32 v[146:147], v[142:143], v[134:135] op_sel:[0,1]
	s_delay_alu instid0(VALU_DEP_1) | instskip(SKIP_1) | instid1(VALU_DEP_1)
	v_pk_fma_f32 v[148:149], v[142:143], v[132:133], v[146:147] op_sel:[0,0,1] op_sel_hi:[1,1,0] neg_lo:[0,0,1] neg_hi:[0,0,1]
	v_pk_fma_f32 v[142:143], v[142:143], v[132:133], v[146:147] op_sel:[0,0,1] op_sel_hi:[1,0,0]
	v_mov_b32_e32 v149, v143
	v_pk_mul_f32 v[142:143], v[144:145], v[134:135] op_sel:[0,1]
	s_delay_alu instid0(VALU_DEP_2) | instskip(NEXT) | instid1(VALU_DEP_2)
	v_pk_add_f32 v[20:21], v[20:21], v[148:149] neg_lo:[0,1] neg_hi:[0,1]
	v_pk_fma_f32 v[146:147], v[144:145], v[132:133], v[142:143] op_sel:[0,0,1] op_sel_hi:[1,1,0] neg_lo:[0,0,1] neg_hi:[0,0,1]
	v_pk_fma_f32 v[142:143], v[144:145], v[132:133], v[142:143] op_sel:[0,0,1] op_sel_hi:[1,0,0]
	s_delay_alu instid0(VALU_DEP_1) | instskip(SKIP_4) | instid1(VALU_DEP_1)
	v_mov_b32_e32 v147, v143
	ds_load_2addr_b64 v[142:145], v136 offset0:48 offset1:49
	v_pk_add_f32 v[18:19], v[18:19], v[146:147] neg_lo:[0,1] neg_hi:[0,1]
	s_wait_dscnt 0x0
	v_pk_mul_f32 v[146:147], v[142:143], v[134:135] op_sel:[0,1]
	v_pk_fma_f32 v[148:149], v[142:143], v[132:133], v[146:147] op_sel:[0,0,1] op_sel_hi:[1,1,0] neg_lo:[0,0,1] neg_hi:[0,0,1]
	v_pk_fma_f32 v[142:143], v[142:143], v[132:133], v[146:147] op_sel:[0,0,1] op_sel_hi:[1,0,0]
	v_dual_mul_f32 v146, v145, v135 :: v_dual_mov_b32 v142, v145
	s_delay_alu instid0(VALU_DEP_2) | instskip(NEXT) | instid1(VALU_DEP_2)
	v_dual_mov_b32 v149, v143 :: v_dual_mov_b32 v143, v144
	v_pk_fma_f32 v[146:147], v[144:145], v[98:99], v[146:147] op_sel_hi:[1,1,0] neg_lo:[0,0,1] neg_hi:[0,0,1]
	v_mul_f32_e32 v144, v145, v132
	s_delay_alu instid0(VALU_DEP_3) | instskip(NEXT) | instid1(VALU_DEP_2)
	v_pk_add_f32 v[76:77], v[76:77], v[148:149] neg_lo:[0,1] neg_hi:[0,1]
	v_pk_fma_f32 v[142:143], v[142:143], v[98:99], v[144:145] op_sel_hi:[1,1,0]
	s_delay_alu instid0(VALU_DEP_1) | instskip(SKIP_4) | instid1(VALU_DEP_1)
	v_mov_b32_e32 v147, v143
	ds_load_2addr_b64 v[142:145], v136 offset0:50 offset1:51
	v_pk_add_f32 v[74:75], v[74:75], v[146:147] neg_lo:[0,1] neg_hi:[0,1]
	s_wait_dscnt 0x0
	v_pk_mul_f32 v[146:147], v[142:143], v[134:135] op_sel:[0,1]
	v_pk_fma_f32 v[148:149], v[142:143], v[132:133], v[146:147] op_sel:[0,0,1] op_sel_hi:[1,1,0] neg_lo:[0,0,1] neg_hi:[0,0,1]
	v_pk_fma_f32 v[142:143], v[142:143], v[132:133], v[146:147] op_sel:[0,0,1] op_sel_hi:[1,0,0]
	s_delay_alu instid0(VALU_DEP_1) | instskip(SKIP_1) | instid1(VALU_DEP_1)
	v_mov_b32_e32 v149, v143
	v_pk_mul_f32 v[142:143], v[144:145], v[134:135] op_sel:[0,1]
	v_pk_fma_f32 v[146:147], v[144:145], v[132:133], v[142:143] op_sel:[0,0,1] op_sel_hi:[1,1,0] neg_lo:[0,0,1] neg_hi:[0,0,1]
	v_pk_fma_f32 v[142:143], v[144:145], v[132:133], v[142:143] op_sel:[0,0,1] op_sel_hi:[1,0,0]
	s_delay_alu instid0(VALU_DEP_1)
	v_mov_b32_e32 v147, v143
	ds_load_2addr_b64 v[142:145], v136 offset0:52 offset1:53
	v_pk_add_f32 v[16:17], v[16:17], v[148:149] neg_lo:[0,1] neg_hi:[0,1]
	v_pk_add_f32 v[28:29], v[28:29], v[146:147] neg_lo:[0,1] neg_hi:[0,1]
	s_wait_dscnt 0x0
	v_pk_mul_f32 v[146:147], v[142:143], v[134:135] op_sel:[0,1]
	s_delay_alu instid0(VALU_DEP_1) | instskip(SKIP_1) | instid1(VALU_DEP_1)
	v_pk_fma_f32 v[148:149], v[142:143], v[132:133], v[146:147] op_sel:[0,0,1] op_sel_hi:[1,1,0] neg_lo:[0,0,1] neg_hi:[0,0,1]
	v_pk_fma_f32 v[142:143], v[142:143], v[132:133], v[146:147] op_sel:[0,0,1] op_sel_hi:[1,0,0]
	v_mov_b32_e32 v149, v143
	v_pk_mul_f32 v[142:143], v[144:145], v[134:135] op_sel:[0,1]
	s_delay_alu instid0(VALU_DEP_1) | instskip(SKIP_1) | instid1(VALU_DEP_1)
	v_pk_fma_f32 v[146:147], v[144:145], v[132:133], v[142:143] op_sel:[0,0,1] op_sel_hi:[1,1,0] neg_lo:[0,0,1] neg_hi:[0,0,1]
	v_pk_fma_f32 v[142:143], v[144:145], v[132:133], v[142:143] op_sel:[0,0,1] op_sel_hi:[1,0,0]
	v_mov_b32_e32 v147, v143
	ds_load_2addr_b64 v[142:145], v136 offset0:54 offset1:55
	v_pk_add_f32 v[68:69], v[68:69], v[148:149] neg_lo:[0,1] neg_hi:[0,1]
	v_pk_add_f32 v[66:67], v[66:67], v[146:147] neg_lo:[0,1] neg_hi:[0,1]
	s_wait_dscnt 0x0
	v_dual_mul_f32 v146, v143, v135 :: v_dual_mul_f32 v148, v143, v132
	s_delay_alu instid0(VALU_DEP_1) | instskip(NEXT) | instid1(VALU_DEP_2)
	v_pk_fma_f32 v[146:147], v[142:143], v[98:99], v[146:147] op_sel_hi:[1,1,0] neg_lo:[0,0,1] neg_hi:[0,0,1]
	v_pk_fma_f32 v[142:143], v[142:143], v[98:99], v[148:149] op_sel:[1,0,0] op_sel_hi:[0,1,0]
	s_delay_alu instid0(VALU_DEP_1) | instskip(SKIP_1) | instid1(VALU_DEP_2)
	v_mov_b32_e32 v147, v143
	v_pk_mul_f32 v[142:143], v[144:145], v[134:135] op_sel:[0,1]
	v_pk_add_f32 v[10:11], v[10:11], v[146:147] neg_lo:[0,1] neg_hi:[0,1]
	s_delay_alu instid0(VALU_DEP_2) | instskip(SKIP_1) | instid1(VALU_DEP_1)
	v_pk_fma_f32 v[146:147], v[144:145], v[132:133], v[142:143] op_sel:[0,0,1] op_sel_hi:[1,1,0] neg_lo:[0,0,1] neg_hi:[0,0,1]
	v_pk_fma_f32 v[142:143], v[144:145], v[132:133], v[142:143] op_sel:[0,0,1] op_sel_hi:[1,0,0]
	v_mov_b32_e32 v147, v143
	ds_load_2addr_b64 v[142:145], v136 offset0:56 offset1:57
	v_pk_add_f32 v[8:9], v[8:9], v[146:147] neg_lo:[0,1] neg_hi:[0,1]
	s_wait_dscnt 0x0
	v_pk_mul_f32 v[146:147], v[142:143], v[134:135] op_sel:[0,1]
	s_delay_alu instid0(VALU_DEP_1) | instskip(SKIP_1) | instid1(VALU_DEP_1)
	v_pk_fma_f32 v[148:149], v[142:143], v[132:133], v[146:147] op_sel:[0,0,1] op_sel_hi:[1,1,0] neg_lo:[0,0,1] neg_hi:[0,0,1]
	v_pk_fma_f32 v[142:143], v[142:143], v[132:133], v[146:147] op_sel:[0,0,1] op_sel_hi:[1,0,0]
	v_mov_b32_e32 v149, v143
	v_pk_mul_f32 v[142:143], v[144:145], v[134:135] op_sel:[0,1]
	s_delay_alu instid0(VALU_DEP_2) | instskip(NEXT) | instid1(VALU_DEP_2)
	v_pk_add_f32 v[34:35], v[34:35], v[148:149] neg_lo:[0,1] neg_hi:[0,1]
	v_pk_fma_f32 v[146:147], v[144:145], v[132:133], v[142:143] op_sel:[0,0,1] op_sel_hi:[1,1,0] neg_lo:[0,0,1] neg_hi:[0,0,1]
	v_pk_fma_f32 v[142:143], v[144:145], v[132:133], v[142:143] op_sel:[0,0,1] op_sel_hi:[1,0,0]
	s_delay_alu instid0(VALU_DEP_1) | instskip(SKIP_4) | instid1(VALU_DEP_1)
	v_mov_b32_e32 v147, v143
	ds_load_2addr_b64 v[142:145], v136 offset0:58 offset1:59
	v_pk_add_f32 v[30:31], v[30:31], v[146:147] neg_lo:[0,1] neg_hi:[0,1]
	s_wait_dscnt 0x0
	v_pk_mul_f32 v[146:147], v[142:143], v[134:135] op_sel:[0,1]
	v_pk_fma_f32 v[148:149], v[142:143], v[132:133], v[146:147] op_sel:[0,0,1] op_sel_hi:[1,1,0] neg_lo:[0,0,1] neg_hi:[0,0,1]
	v_pk_fma_f32 v[142:143], v[142:143], v[132:133], v[146:147] op_sel:[0,0,1] op_sel_hi:[1,0,0]
	v_dual_mul_f32 v146, v145, v135 :: v_dual_mov_b32 v142, v145
	s_delay_alu instid0(VALU_DEP_2) | instskip(NEXT) | instid1(VALU_DEP_2)
	v_dual_mov_b32 v149, v143 :: v_dual_mov_b32 v143, v144
	v_pk_fma_f32 v[146:147], v[144:145], v[98:99], v[146:147] op_sel_hi:[1,1,0] neg_lo:[0,0,1] neg_hi:[0,0,1]
	v_mul_f32_e32 v144, v145, v132
	s_delay_alu instid0(VALU_DEP_3) | instskip(NEXT) | instid1(VALU_DEP_2)
	v_pk_add_f32 v[6:7], v[6:7], v[148:149] neg_lo:[0,1] neg_hi:[0,1]
	v_pk_fma_f32 v[142:143], v[142:143], v[98:99], v[144:145] op_sel_hi:[1,1,0]
	s_delay_alu instid0(VALU_DEP_1) | instskip(SKIP_4) | instid1(VALU_DEP_1)
	v_mov_b32_e32 v147, v143
	ds_load_2addr_b64 v[142:145], v136 offset0:60 offset1:61
	v_pk_add_f32 v[26:27], v[26:27], v[146:147] neg_lo:[0,1] neg_hi:[0,1]
	s_wait_dscnt 0x0
	v_pk_mul_f32 v[146:147], v[142:143], v[134:135] op_sel:[0,1]
	v_pk_fma_f32 v[148:149], v[142:143], v[132:133], v[146:147] op_sel:[0,0,1] op_sel_hi:[1,1,0] neg_lo:[0,0,1] neg_hi:[0,0,1]
	v_pk_fma_f32 v[142:143], v[142:143], v[132:133], v[146:147] op_sel:[0,0,1] op_sel_hi:[1,0,0]
	s_delay_alu instid0(VALU_DEP_1) | instskip(SKIP_1) | instid1(VALU_DEP_1)
	v_mov_b32_e32 v149, v143
	v_pk_mul_f32 v[142:143], v[144:145], v[134:135] op_sel:[0,1]
	v_pk_fma_f32 v[146:147], v[144:145], v[132:133], v[142:143] op_sel:[0,0,1] op_sel_hi:[1,1,0] neg_lo:[0,0,1] neg_hi:[0,0,1]
	v_pk_fma_f32 v[142:143], v[144:145], v[132:133], v[142:143] op_sel:[0,0,1] op_sel_hi:[1,0,0]
	s_delay_alu instid0(VALU_DEP_1)
	v_mov_b32_e32 v147, v143
	ds_load_b64 v[142:143], v136 offset:496
	v_pk_add_f32 v[14:15], v[14:15], v[148:149] neg_lo:[0,1] neg_hi:[0,1]
	v_pk_add_f32 v[12:13], v[12:13], v[146:147] neg_lo:[0,1] neg_hi:[0,1]
	s_wait_dscnt 0x0
	v_pk_mul_f32 v[134:135], v[142:143], v[134:135] op_sel:[0,1]
	s_delay_alu instid0(VALU_DEP_1) | instskip(SKIP_1) | instid1(VALU_DEP_1)
	v_pk_fma_f32 v[144:145], v[142:143], v[132:133], v[134:135] op_sel:[0,0,1] op_sel_hi:[1,1,0] neg_lo:[0,0,1] neg_hi:[0,0,1]
	v_pk_fma_f32 v[132:133], v[142:143], v[132:133], v[134:135] op_sel:[0,0,1] op_sel_hi:[1,0,0]
	v_mov_b32_e32 v145, v133
	s_delay_alu instid0(VALU_DEP_1)
	v_pk_add_f32 v[130:131], v[130:131], v[144:145] neg_lo:[0,1] neg_hi:[0,1]
.LBB124_545:
	s_or_b32 exec_lo, exec_lo, s0
	v_lshl_add_u32 v132, v140, 3, v136
	s_barrier_signal -1
	s_barrier_wait -1
	ds_store_b64 v132, v[48:49]
	s_wait_dscnt 0x0
	s_barrier_signal -1
	s_barrier_wait -1
	ds_load_b64 v[134:135], v136 offset:208
	v_mov_b32_e32 v132, 26
	s_cmp_lt_i32 s18, 28
	s_cbranch_scc1 .LBB124_548
; %bb.546:
	v_add3_u32 v133, v137, 0, 0xd8
	v_mov_b32_e32 v132, 26
	s_mov_b32 s0, 27
.LBB124_547:                            ; =>This Inner Loop Header: Depth=1
	ds_load_b64 v[142:143], v133
	s_wait_dscnt 0x1
	v_cmp_gt_f32_e32 vcc_lo, 0, v134
	v_cndmask_b32_e64 v144, v134, -v134, vcc_lo
	v_cmp_gt_f32_e32 vcc_lo, 0, v135
	v_cndmask_b32_e64 v146, v135, -v135, vcc_lo
	s_wait_dscnt 0x0
	v_cmp_gt_f32_e32 vcc_lo, 0, v142
	v_cndmask_b32_e64 v145, v142, -v142, vcc_lo
	v_cmp_gt_f32_e32 vcc_lo, 0, v143
	v_cndmask_b32_e64 v147, v143, -v143, vcc_lo
	s_delay_alu instid0(VALU_DEP_1) | instskip(NEXT) | instid1(VALU_DEP_1)
	v_pk_add_f32 v[144:145], v[144:145], v[146:147]
	v_cmp_lt_f32_e32 vcc_lo, v144, v145
	v_dual_add_nc_u32 v133, 8, v133 :: v_dual_cndmask_b32 v135, v135, v143, vcc_lo
	v_cndmask_b32_e32 v134, v134, v142, vcc_lo
	v_cndmask_b32_e64 v132, v132, s0, vcc_lo
	s_add_co_i32 s0, s0, 1
	s_delay_alu instid0(SALU_CYCLE_1)
	s_cmp_lg_u32 s18, s0
	s_cbranch_scc1 .LBB124_547
.LBB124_548:
	s_wait_dscnt 0x0
	v_cmp_eq_f32_e32 vcc_lo, 0, v134
	v_cmp_eq_f32_e64 s0, 0, v135
	s_and_b32 s0, vcc_lo, s0
	s_delay_alu instid0(SALU_CYCLE_1) | instskip(NEXT) | instid1(SALU_CYCLE_1)
	s_and_saveexec_b32 s1, s0
	s_xor_b32 s0, exec_lo, s1
; %bb.549:
	v_cmp_ne_u32_e32 vcc_lo, 0, v138
	v_cndmask_b32_e32 v138, 27, v138, vcc_lo
; %bb.550:
	s_and_not1_saveexec_b32 s0, s0
	s_cbranch_execz .LBB124_556
; %bb.551:
	v_cmp_ngt_f32_e64 s1, |v134|, |v135|
	s_and_saveexec_b32 s12, s1
	s_delay_alu instid0(SALU_CYCLE_1)
	s_xor_b32 s1, exec_lo, s12
	s_cbranch_execz .LBB124_553
; %bb.552:
	v_div_scale_f32 v133, null, v135, v135, v134
	v_div_scale_f32 v143, vcc_lo, v134, v135, v134
	s_delay_alu instid0(VALU_DEP_2) | instskip(SKIP_1) | instid1(TRANS32_DEP_1)
	v_rcp_f32_e32 v141, v133
	v_nop
	v_fma_f32 v142, -v133, v141, 1.0
	s_delay_alu instid0(VALU_DEP_1) | instskip(NEXT) | instid1(VALU_DEP_1)
	v_fmac_f32_e32 v141, v142, v141
	v_mul_f32_e32 v142, v143, v141
	s_delay_alu instid0(VALU_DEP_1) | instskip(NEXT) | instid1(VALU_DEP_1)
	v_fma_f32 v144, -v133, v142, v143
	v_fmac_f32_e32 v142, v144, v141
	s_delay_alu instid0(VALU_DEP_1) | instskip(NEXT) | instid1(VALU_DEP_1)
	v_fma_f32 v133, -v133, v142, v143
	v_div_fmas_f32 v133, v133, v141, v142
	s_delay_alu instid0(VALU_DEP_1) | instskip(NEXT) | instid1(VALU_DEP_1)
	v_div_fixup_f32 v133, v133, v135, v134
	v_fmac_f32_e32 v135, v134, v133
	s_delay_alu instid0(VALU_DEP_1) | instskip(SKIP_1) | instid1(VALU_DEP_2)
	v_div_scale_f32 v134, null, v135, v135, 1.0
	v_div_scale_f32 v143, vcc_lo, 1.0, v135, 1.0
	v_rcp_f32_e32 v141, v134
	v_nop
	s_delay_alu instid0(TRANS32_DEP_1) | instskip(NEXT) | instid1(VALU_DEP_1)
	v_fma_f32 v142, -v134, v141, 1.0
	v_fmac_f32_e32 v141, v142, v141
	s_delay_alu instid0(VALU_DEP_1) | instskip(NEXT) | instid1(VALU_DEP_1)
	v_mul_f32_e32 v142, v143, v141
	v_fma_f32 v144, -v134, v142, v143
	s_delay_alu instid0(VALU_DEP_1) | instskip(NEXT) | instid1(VALU_DEP_1)
	v_fmac_f32_e32 v142, v144, v141
	v_fma_f32 v134, -v134, v142, v143
	s_delay_alu instid0(VALU_DEP_1) | instskip(NEXT) | instid1(VALU_DEP_1)
	v_div_fmas_f32 v134, v134, v141, v142
	v_div_fixup_f32 v135, v134, v135, 1.0
	s_delay_alu instid0(VALU_DEP_1)
	v_mul_f32_e32 v134, v133, v135
	v_xor_b32_e32 v135, 0x80000000, v135
.LBB124_553:
	s_and_not1_saveexec_b32 s1, s1
	s_cbranch_execz .LBB124_555
; %bb.554:
	s_delay_alu instid0(VALU_DEP_1) | instskip(SKIP_1) | instid1(VALU_DEP_2)
	v_div_scale_f32 v133, null, v134, v134, v135
	v_div_scale_f32 v143, vcc_lo, v135, v134, v135
	v_rcp_f32_e32 v141, v133
	v_nop
	s_delay_alu instid0(TRANS32_DEP_1) | instskip(NEXT) | instid1(VALU_DEP_1)
	v_fma_f32 v142, -v133, v141, 1.0
	v_fmac_f32_e32 v141, v142, v141
	s_delay_alu instid0(VALU_DEP_1) | instskip(NEXT) | instid1(VALU_DEP_1)
	v_mul_f32_e32 v142, v143, v141
	v_fma_f32 v144, -v133, v142, v143
	s_delay_alu instid0(VALU_DEP_1) | instskip(NEXT) | instid1(VALU_DEP_1)
	v_fmac_f32_e32 v142, v144, v141
	v_fma_f32 v133, -v133, v142, v143
	s_delay_alu instid0(VALU_DEP_1) | instskip(NEXT) | instid1(VALU_DEP_1)
	v_div_fmas_f32 v133, v133, v141, v142
	v_div_fixup_f32 v133, v133, v134, v135
	s_delay_alu instid0(VALU_DEP_1) | instskip(NEXT) | instid1(VALU_DEP_1)
	v_fmac_f32_e32 v134, v135, v133
	v_div_scale_f32 v135, null, v134, v134, 1.0
	s_delay_alu instid0(VALU_DEP_1) | instskip(SKIP_1) | instid1(TRANS32_DEP_1)
	v_rcp_f32_e32 v141, v135
	v_nop
	v_fma_f32 v142, -v135, v141, 1.0
	s_delay_alu instid0(VALU_DEP_1) | instskip(SKIP_1) | instid1(VALU_DEP_1)
	v_fmac_f32_e32 v141, v142, v141
	v_div_scale_f32 v142, vcc_lo, 1.0, v134, 1.0
	v_mul_f32_e32 v143, v142, v141
	s_delay_alu instid0(VALU_DEP_1) | instskip(NEXT) | instid1(VALU_DEP_1)
	v_fma_f32 v144, -v135, v143, v142
	v_fmac_f32_e32 v143, v144, v141
	s_delay_alu instid0(VALU_DEP_1) | instskip(NEXT) | instid1(VALU_DEP_1)
	v_fma_f32 v135, -v135, v143, v142
	v_div_fmas_f32 v135, v135, v141, v143
	s_delay_alu instid0(VALU_DEP_1) | instskip(NEXT) | instid1(VALU_DEP_1)
	v_div_fixup_f32 v134, v135, v134, 1.0
	v_mul_f32_e64 v135, v133, -v134
.LBB124_555:
	s_or_b32 exec_lo, exec_lo, s1
.LBB124_556:
	s_delay_alu instid0(SALU_CYCLE_1) | instskip(NEXT) | instid1(SALU_CYCLE_1)
	s_or_b32 exec_lo, exec_lo, s0
	s_mov_b32 s0, exec_lo
	v_cmpx_ne_u32_e64 v140, v132
	s_xor_b32 s0, exec_lo, s0
	s_cbranch_execz .LBB124_562
; %bb.557:
	s_mov_b32 s1, exec_lo
	v_cmpx_eq_u32_e32 26, v140
	s_cbranch_execz .LBB124_561
; %bb.558:
	v_cmp_ne_u32_e32 vcc_lo, 26, v132
	s_xor_b32 s12, s16, -1
	s_delay_alu instid0(SALU_CYCLE_1) | instskip(NEXT) | instid1(SALU_CYCLE_1)
	s_and_b32 s13, s12, vcc_lo
	s_and_saveexec_b32 s12, s13
	s_cbranch_execz .LBB124_560
; %bb.559:
	v_ashrrev_i32_e32 v133, 31, v132
	s_delay_alu instid0(VALU_DEP_1)
	v_lshl_add_u64 v[140:141], v[132:133], 2, v[4:5]
	s_clause 0x1
	global_load_b32 v133, v[140:141], off
	global_load_b32 v139, v[4:5], off offset:104
	s_wait_loadcnt 0x1
	global_store_b32 v[4:5], v133, off offset:104
	s_wait_loadcnt 0x0
	global_store_b32 v[140:141], v139, off
.LBB124_560:
	s_wait_xcnt 0x0
	s_or_b32 exec_lo, exec_lo, s12
	v_dual_mov_b32 v140, v132 :: v_dual_mov_b32 v139, v132
.LBB124_561:
	s_or_b32 exec_lo, exec_lo, s1
.LBB124_562:
	s_and_not1_saveexec_b32 s0, s0
	s_cbranch_execz .LBB124_564
; %bb.563:
	v_mov_b32_e32 v140, 26
	ds_store_2addr_b64 v136, v[46:47], v[96:97] offset0:27 offset1:28
	ds_store_2addr_b64 v136, v[94:95], v[44:45] offset0:29 offset1:30
	;; [unrolled: 1-line block ×18, first 2 shown]
.LBB124_564:
	s_or_b32 exec_lo, exec_lo, s0
	s_delay_alu instid0(SALU_CYCLE_1)
	s_mov_b32 s0, exec_lo
	s_wait_storecnt_dscnt 0x0
	s_barrier_signal -1
	s_barrier_wait -1
	v_cmpx_lt_i32_e32 26, v140
	s_cbranch_execz .LBB124_566
; %bb.565:
	v_pk_mul_f32 v[142:143], v[134:135], v[48:49] op_sel:[1,1] op_sel_hi:[0,1]
	s_delay_alu instid0(VALU_DEP_1)
	v_pk_fma_f32 v[132:133], v[134:135], v[48:49], v[142:143] op_sel_hi:[1,0,1] neg_lo:[0,0,1] neg_hi:[0,0,1]
	v_pk_fma_f32 v[134:135], v[134:135], v[48:49], v[142:143] op_sel_hi:[1,0,1]
	ds_load_2addr_b64 v[142:145], v136 offset0:27 offset1:28
	v_dual_mov_b32 v48, v132 :: v_dual_mov_b32 v49, v135
	s_wait_dscnt 0x0
	v_pk_mul_f32 v[146:147], v[142:143], v[134:135] op_sel:[0,1]
	s_delay_alu instid0(VALU_DEP_1) | instskip(SKIP_1) | instid1(VALU_DEP_1)
	v_pk_fma_f32 v[148:149], v[142:143], v[132:133], v[146:147] op_sel:[0,0,1] op_sel_hi:[1,1,0] neg_lo:[0,0,1] neg_hi:[0,0,1]
	v_pk_fma_f32 v[142:143], v[142:143], v[132:133], v[146:147] op_sel:[0,0,1] op_sel_hi:[1,0,0]
	v_mov_b32_e32 v149, v143
	v_pk_mul_f32 v[142:143], v[144:145], v[134:135] op_sel:[0,1]
	s_delay_alu instid0(VALU_DEP_1) | instskip(SKIP_1) | instid1(VALU_DEP_1)
	v_pk_fma_f32 v[146:147], v[144:145], v[132:133], v[142:143] op_sel:[0,0,1] op_sel_hi:[1,1,0] neg_lo:[0,0,1] neg_hi:[0,0,1]
	v_pk_fma_f32 v[142:143], v[144:145], v[132:133], v[142:143] op_sel:[0,0,1] op_sel_hi:[1,0,0]
	v_mov_b32_e32 v147, v143
	ds_load_2addr_b64 v[142:145], v136 offset0:29 offset1:30
	v_pk_add_f32 v[46:47], v[46:47], v[148:149] neg_lo:[0,1] neg_hi:[0,1]
	v_pk_add_f32 v[96:97], v[96:97], v[146:147] neg_lo:[0,1] neg_hi:[0,1]
	s_wait_dscnt 0x0
	v_pk_mul_f32 v[146:147], v[142:143], v[134:135] op_sel:[0,1]
	s_delay_alu instid0(VALU_DEP_1) | instskip(SKIP_2) | instid1(VALU_DEP_2)
	v_pk_fma_f32 v[148:149], v[142:143], v[132:133], v[146:147] op_sel:[0,0,1] op_sel_hi:[1,1,0] neg_lo:[0,0,1] neg_hi:[0,0,1]
	v_pk_fma_f32 v[142:143], v[142:143], v[132:133], v[146:147] op_sel:[0,0,1] op_sel_hi:[1,0,0]
	v_dual_mul_f32 v146, v145, v135 :: v_dual_mov_b32 v142, v145
	v_dual_mov_b32 v149, v143 :: v_dual_mov_b32 v143, v144
	s_delay_alu instid0(VALU_DEP_2) | instskip(SKIP_1) | instid1(VALU_DEP_3)
	v_pk_fma_f32 v[146:147], v[144:145], v[48:49], v[146:147] op_sel_hi:[1,1,0] neg_lo:[0,0,1] neg_hi:[0,0,1]
	v_mul_f32_e32 v144, v145, v132
	v_pk_add_f32 v[94:95], v[94:95], v[148:149] neg_lo:[0,1] neg_hi:[0,1]
	s_delay_alu instid0(VALU_DEP_2) | instskip(NEXT) | instid1(VALU_DEP_1)
	v_pk_fma_f32 v[142:143], v[142:143], v[48:49], v[144:145] op_sel_hi:[1,1,0]
	v_mov_b32_e32 v147, v143
	ds_load_2addr_b64 v[142:145], v136 offset0:31 offset1:32
	v_pk_add_f32 v[44:45], v[44:45], v[146:147] neg_lo:[0,1] neg_hi:[0,1]
	s_wait_dscnt 0x0
	v_pk_mul_f32 v[146:147], v[142:143], v[134:135] op_sel:[0,1]
	s_delay_alu instid0(VALU_DEP_1) | instskip(SKIP_1) | instid1(VALU_DEP_1)
	v_pk_fma_f32 v[148:149], v[142:143], v[132:133], v[146:147] op_sel:[0,0,1] op_sel_hi:[1,1,0] neg_lo:[0,0,1] neg_hi:[0,0,1]
	v_pk_fma_f32 v[142:143], v[142:143], v[132:133], v[146:147] op_sel:[0,0,1] op_sel_hi:[1,0,0]
	v_mov_b32_e32 v149, v143
	v_pk_mul_f32 v[142:143], v[144:145], v[134:135] op_sel:[0,1]
	s_delay_alu instid0(VALU_DEP_1) | instskip(SKIP_1) | instid1(VALU_DEP_1)
	v_pk_fma_f32 v[146:147], v[144:145], v[132:133], v[142:143] op_sel:[0,0,1] op_sel_hi:[1,1,0] neg_lo:[0,0,1] neg_hi:[0,0,1]
	v_pk_fma_f32 v[142:143], v[144:145], v[132:133], v[142:143] op_sel:[0,0,1] op_sel_hi:[1,0,0]
	v_mov_b32_e32 v147, v143
	ds_load_2addr_b64 v[142:145], v136 offset0:33 offset1:34
	v_pk_add_f32 v[42:43], v[42:43], v[148:149] neg_lo:[0,1] neg_hi:[0,1]
	v_pk_add_f32 v[92:93], v[92:93], v[146:147] neg_lo:[0,1] neg_hi:[0,1]
	s_wait_dscnt 0x0
	v_pk_mul_f32 v[146:147], v[142:143], v[134:135] op_sel:[0,1]
	s_delay_alu instid0(VALU_DEP_1) | instskip(SKIP_1) | instid1(VALU_DEP_1)
	v_pk_fma_f32 v[148:149], v[142:143], v[132:133], v[146:147] op_sel:[0,0,1] op_sel_hi:[1,1,0] neg_lo:[0,0,1] neg_hi:[0,0,1]
	v_pk_fma_f32 v[142:143], v[142:143], v[132:133], v[146:147] op_sel:[0,0,1] op_sel_hi:[1,0,0]
	v_mov_b32_e32 v149, v143
	v_pk_mul_f32 v[142:143], v[144:145], v[134:135] op_sel:[0,1]
	s_delay_alu instid0(VALU_DEP_1) | instskip(SKIP_1) | instid1(VALU_DEP_1)
	v_pk_fma_f32 v[146:147], v[144:145], v[132:133], v[142:143] op_sel:[0,0,1] op_sel_hi:[1,1,0] neg_lo:[0,0,1] neg_hi:[0,0,1]
	v_pk_fma_f32 v[142:143], v[144:145], v[132:133], v[142:143] op_sel:[0,0,1] op_sel_hi:[1,0,0]
	v_mov_b32_e32 v147, v143
	ds_load_2addr_b64 v[142:145], v136 offset0:35 offset1:36
	v_pk_add_f32 v[90:91], v[90:91], v[148:149] neg_lo:[0,1] neg_hi:[0,1]
	v_pk_add_f32 v[40:41], v[40:41], v[146:147] neg_lo:[0,1] neg_hi:[0,1]
	s_wait_dscnt 0x0
	v_dual_mul_f32 v146, v143, v135 :: v_dual_mul_f32 v148, v143, v132
	s_delay_alu instid0(VALU_DEP_1) | instskip(NEXT) | instid1(VALU_DEP_2)
	v_pk_fma_f32 v[146:147], v[142:143], v[48:49], v[146:147] op_sel_hi:[1,1,0] neg_lo:[0,0,1] neg_hi:[0,0,1]
	v_pk_fma_f32 v[142:143], v[142:143], v[48:49], v[148:149] op_sel:[1,0,0] op_sel_hi:[0,1,0]
	s_delay_alu instid0(VALU_DEP_1) | instskip(SKIP_1) | instid1(VALU_DEP_2)
	v_mov_b32_e32 v147, v143
	v_pk_mul_f32 v[142:143], v[144:145], v[134:135] op_sel:[0,1]
	v_pk_add_f32 v[38:39], v[38:39], v[146:147] neg_lo:[0,1] neg_hi:[0,1]
	s_delay_alu instid0(VALU_DEP_2) | instskip(SKIP_1) | instid1(VALU_DEP_1)
	v_pk_fma_f32 v[146:147], v[144:145], v[132:133], v[142:143] op_sel:[0,0,1] op_sel_hi:[1,1,0] neg_lo:[0,0,1] neg_hi:[0,0,1]
	v_pk_fma_f32 v[142:143], v[144:145], v[132:133], v[142:143] op_sel:[0,0,1] op_sel_hi:[1,0,0]
	v_mov_b32_e32 v147, v143
	ds_load_2addr_b64 v[142:145], v136 offset0:37 offset1:38
	v_pk_add_f32 v[88:89], v[88:89], v[146:147] neg_lo:[0,1] neg_hi:[0,1]
	s_wait_dscnt 0x0
	v_pk_mul_f32 v[146:147], v[142:143], v[134:135] op_sel:[0,1]
	s_delay_alu instid0(VALU_DEP_1) | instskip(SKIP_1) | instid1(VALU_DEP_1)
	v_pk_fma_f32 v[148:149], v[142:143], v[132:133], v[146:147] op_sel:[0,0,1] op_sel_hi:[1,1,0] neg_lo:[0,0,1] neg_hi:[0,0,1]
	v_pk_fma_f32 v[142:143], v[142:143], v[132:133], v[146:147] op_sel:[0,0,1] op_sel_hi:[1,0,0]
	v_mov_b32_e32 v149, v143
	v_pk_mul_f32 v[142:143], v[144:145], v[134:135] op_sel:[0,1]
	s_delay_alu instid0(VALU_DEP_2) | instskip(NEXT) | instid1(VALU_DEP_2)
	v_pk_add_f32 v[86:87], v[86:87], v[148:149] neg_lo:[0,1] neg_hi:[0,1]
	v_pk_fma_f32 v[146:147], v[144:145], v[132:133], v[142:143] op_sel:[0,0,1] op_sel_hi:[1,1,0] neg_lo:[0,0,1] neg_hi:[0,0,1]
	v_pk_fma_f32 v[142:143], v[144:145], v[132:133], v[142:143] op_sel:[0,0,1] op_sel_hi:[1,0,0]
	s_delay_alu instid0(VALU_DEP_1) | instskip(SKIP_4) | instid1(VALU_DEP_1)
	v_mov_b32_e32 v147, v143
	ds_load_2addr_b64 v[142:145], v136 offset0:39 offset1:40
	v_pk_add_f32 v[36:37], v[36:37], v[146:147] neg_lo:[0,1] neg_hi:[0,1]
	s_wait_dscnt 0x0
	v_pk_mul_f32 v[146:147], v[142:143], v[134:135] op_sel:[0,1]
	v_pk_fma_f32 v[148:149], v[142:143], v[132:133], v[146:147] op_sel:[0,0,1] op_sel_hi:[1,1,0] neg_lo:[0,0,1] neg_hi:[0,0,1]
	v_pk_fma_f32 v[142:143], v[142:143], v[132:133], v[146:147] op_sel:[0,0,1] op_sel_hi:[1,0,0]
	v_dual_mul_f32 v146, v145, v135 :: v_dual_mov_b32 v142, v145
	s_delay_alu instid0(VALU_DEP_2) | instskip(NEXT) | instid1(VALU_DEP_2)
	v_dual_mov_b32 v149, v143 :: v_dual_mov_b32 v143, v144
	v_pk_fma_f32 v[146:147], v[144:145], v[48:49], v[146:147] op_sel_hi:[1,1,0] neg_lo:[0,0,1] neg_hi:[0,0,1]
	v_mul_f32_e32 v144, v145, v132
	s_delay_alu instid0(VALU_DEP_3) | instskip(NEXT) | instid1(VALU_DEP_2)
	v_pk_add_f32 v[32:33], v[32:33], v[148:149] neg_lo:[0,1] neg_hi:[0,1]
	v_pk_fma_f32 v[142:143], v[142:143], v[48:49], v[144:145] op_sel_hi:[1,1,0]
	s_delay_alu instid0(VALU_DEP_1) | instskip(SKIP_4) | instid1(VALU_DEP_1)
	v_mov_b32_e32 v147, v143
	ds_load_2addr_b64 v[142:145], v136 offset0:41 offset1:42
	v_pk_add_f32 v[84:85], v[84:85], v[146:147] neg_lo:[0,1] neg_hi:[0,1]
	s_wait_dscnt 0x0
	v_pk_mul_f32 v[146:147], v[142:143], v[134:135] op_sel:[0,1]
	v_pk_fma_f32 v[148:149], v[142:143], v[132:133], v[146:147] op_sel:[0,0,1] op_sel_hi:[1,1,0] neg_lo:[0,0,1] neg_hi:[0,0,1]
	v_pk_fma_f32 v[142:143], v[142:143], v[132:133], v[146:147] op_sel:[0,0,1] op_sel_hi:[1,0,0]
	s_delay_alu instid0(VALU_DEP_1) | instskip(SKIP_1) | instid1(VALU_DEP_1)
	v_mov_b32_e32 v149, v143
	v_pk_mul_f32 v[142:143], v[144:145], v[134:135] op_sel:[0,1]
	v_pk_fma_f32 v[146:147], v[144:145], v[132:133], v[142:143] op_sel:[0,0,1] op_sel_hi:[1,1,0] neg_lo:[0,0,1] neg_hi:[0,0,1]
	v_pk_fma_f32 v[142:143], v[144:145], v[132:133], v[142:143] op_sel:[0,0,1] op_sel_hi:[1,0,0]
	s_delay_alu instid0(VALU_DEP_1)
	v_mov_b32_e32 v147, v143
	ds_load_2addr_b64 v[142:145], v136 offset0:43 offset1:44
	v_pk_add_f32 v[82:83], v[82:83], v[148:149] neg_lo:[0,1] neg_hi:[0,1]
	v_pk_add_f32 v[24:25], v[24:25], v[146:147] neg_lo:[0,1] neg_hi:[0,1]
	s_wait_dscnt 0x0
	v_pk_mul_f32 v[146:147], v[142:143], v[134:135] op_sel:[0,1]
	s_delay_alu instid0(VALU_DEP_1) | instskip(SKIP_1) | instid1(VALU_DEP_1)
	v_pk_fma_f32 v[148:149], v[142:143], v[132:133], v[146:147] op_sel:[0,0,1] op_sel_hi:[1,1,0] neg_lo:[0,0,1] neg_hi:[0,0,1]
	v_pk_fma_f32 v[142:143], v[142:143], v[132:133], v[146:147] op_sel:[0,0,1] op_sel_hi:[1,0,0]
	v_mov_b32_e32 v149, v143
	v_pk_mul_f32 v[142:143], v[144:145], v[134:135] op_sel:[0,1]
	s_delay_alu instid0(VALU_DEP_1) | instskip(SKIP_1) | instid1(VALU_DEP_1)
	v_pk_fma_f32 v[146:147], v[144:145], v[132:133], v[142:143] op_sel:[0,0,1] op_sel_hi:[1,1,0] neg_lo:[0,0,1] neg_hi:[0,0,1]
	v_pk_fma_f32 v[142:143], v[144:145], v[132:133], v[142:143] op_sel:[0,0,1] op_sel_hi:[1,0,0]
	v_mov_b32_e32 v147, v143
	ds_load_2addr_b64 v[142:145], v136 offset0:45 offset1:46
	v_pk_add_f32 v[22:23], v[22:23], v[148:149] neg_lo:[0,1] neg_hi:[0,1]
	v_pk_add_f32 v[80:81], v[80:81], v[146:147] neg_lo:[0,1] neg_hi:[0,1]
	s_wait_dscnt 0x0
	v_dual_mul_f32 v146, v143, v135 :: v_dual_mul_f32 v148, v143, v132
	s_delay_alu instid0(VALU_DEP_1) | instskip(NEXT) | instid1(VALU_DEP_2)
	v_pk_fma_f32 v[146:147], v[142:143], v[48:49], v[146:147] op_sel_hi:[1,1,0] neg_lo:[0,0,1] neg_hi:[0,0,1]
	v_pk_fma_f32 v[142:143], v[142:143], v[48:49], v[148:149] op_sel:[1,0,0] op_sel_hi:[0,1,0]
	s_delay_alu instid0(VALU_DEP_1) | instskip(SKIP_1) | instid1(VALU_DEP_2)
	v_mov_b32_e32 v147, v143
	v_pk_mul_f32 v[142:143], v[144:145], v[134:135] op_sel:[0,1]
	v_pk_add_f32 v[78:79], v[78:79], v[146:147] neg_lo:[0,1] neg_hi:[0,1]
	s_delay_alu instid0(VALU_DEP_2) | instskip(SKIP_1) | instid1(VALU_DEP_1)
	v_pk_fma_f32 v[146:147], v[144:145], v[132:133], v[142:143] op_sel:[0,0,1] op_sel_hi:[1,1,0] neg_lo:[0,0,1] neg_hi:[0,0,1]
	v_pk_fma_f32 v[142:143], v[144:145], v[132:133], v[142:143] op_sel:[0,0,1] op_sel_hi:[1,0,0]
	v_mov_b32_e32 v147, v143
	ds_load_2addr_b64 v[142:145], v136 offset0:47 offset1:48
	v_pk_add_f32 v[20:21], v[20:21], v[146:147] neg_lo:[0,1] neg_hi:[0,1]
	s_wait_dscnt 0x0
	v_pk_mul_f32 v[146:147], v[142:143], v[134:135] op_sel:[0,1]
	s_delay_alu instid0(VALU_DEP_1) | instskip(SKIP_1) | instid1(VALU_DEP_1)
	v_pk_fma_f32 v[148:149], v[142:143], v[132:133], v[146:147] op_sel:[0,0,1] op_sel_hi:[1,1,0] neg_lo:[0,0,1] neg_hi:[0,0,1]
	v_pk_fma_f32 v[142:143], v[142:143], v[132:133], v[146:147] op_sel:[0,0,1] op_sel_hi:[1,0,0]
	v_mov_b32_e32 v149, v143
	v_pk_mul_f32 v[142:143], v[144:145], v[134:135] op_sel:[0,1]
	s_delay_alu instid0(VALU_DEP_2) | instskip(NEXT) | instid1(VALU_DEP_2)
	v_pk_add_f32 v[18:19], v[18:19], v[148:149] neg_lo:[0,1] neg_hi:[0,1]
	v_pk_fma_f32 v[146:147], v[144:145], v[132:133], v[142:143] op_sel:[0,0,1] op_sel_hi:[1,1,0] neg_lo:[0,0,1] neg_hi:[0,0,1]
	v_pk_fma_f32 v[142:143], v[144:145], v[132:133], v[142:143] op_sel:[0,0,1] op_sel_hi:[1,0,0]
	s_delay_alu instid0(VALU_DEP_1) | instskip(SKIP_4) | instid1(VALU_DEP_1)
	v_mov_b32_e32 v147, v143
	ds_load_2addr_b64 v[142:145], v136 offset0:49 offset1:50
	v_pk_add_f32 v[76:77], v[76:77], v[146:147] neg_lo:[0,1] neg_hi:[0,1]
	s_wait_dscnt 0x0
	v_pk_mul_f32 v[146:147], v[142:143], v[134:135] op_sel:[0,1]
	v_pk_fma_f32 v[148:149], v[142:143], v[132:133], v[146:147] op_sel:[0,0,1] op_sel_hi:[1,1,0] neg_lo:[0,0,1] neg_hi:[0,0,1]
	v_pk_fma_f32 v[142:143], v[142:143], v[132:133], v[146:147] op_sel:[0,0,1] op_sel_hi:[1,0,0]
	v_dual_mul_f32 v146, v145, v135 :: v_dual_mov_b32 v142, v145
	s_delay_alu instid0(VALU_DEP_2) | instskip(NEXT) | instid1(VALU_DEP_2)
	v_dual_mov_b32 v149, v143 :: v_dual_mov_b32 v143, v144
	v_pk_fma_f32 v[146:147], v[144:145], v[48:49], v[146:147] op_sel_hi:[1,1,0] neg_lo:[0,0,1] neg_hi:[0,0,1]
	v_mul_f32_e32 v144, v145, v132
	s_delay_alu instid0(VALU_DEP_3) | instskip(NEXT) | instid1(VALU_DEP_2)
	v_pk_add_f32 v[74:75], v[74:75], v[148:149] neg_lo:[0,1] neg_hi:[0,1]
	v_pk_fma_f32 v[142:143], v[142:143], v[48:49], v[144:145] op_sel_hi:[1,1,0]
	s_delay_alu instid0(VALU_DEP_1) | instskip(SKIP_4) | instid1(VALU_DEP_1)
	v_mov_b32_e32 v147, v143
	ds_load_2addr_b64 v[142:145], v136 offset0:51 offset1:52
	v_pk_add_f32 v[16:17], v[16:17], v[146:147] neg_lo:[0,1] neg_hi:[0,1]
	s_wait_dscnt 0x0
	v_pk_mul_f32 v[146:147], v[142:143], v[134:135] op_sel:[0,1]
	v_pk_fma_f32 v[148:149], v[142:143], v[132:133], v[146:147] op_sel:[0,0,1] op_sel_hi:[1,1,0] neg_lo:[0,0,1] neg_hi:[0,0,1]
	v_pk_fma_f32 v[142:143], v[142:143], v[132:133], v[146:147] op_sel:[0,0,1] op_sel_hi:[1,0,0]
	s_delay_alu instid0(VALU_DEP_1) | instskip(SKIP_1) | instid1(VALU_DEP_1)
	v_mov_b32_e32 v149, v143
	v_pk_mul_f32 v[142:143], v[144:145], v[134:135] op_sel:[0,1]
	v_pk_fma_f32 v[146:147], v[144:145], v[132:133], v[142:143] op_sel:[0,0,1] op_sel_hi:[1,1,0] neg_lo:[0,0,1] neg_hi:[0,0,1]
	v_pk_fma_f32 v[142:143], v[144:145], v[132:133], v[142:143] op_sel:[0,0,1] op_sel_hi:[1,0,0]
	s_delay_alu instid0(VALU_DEP_1)
	v_mov_b32_e32 v147, v143
	ds_load_2addr_b64 v[142:145], v136 offset0:53 offset1:54
	v_pk_add_f32 v[28:29], v[28:29], v[148:149] neg_lo:[0,1] neg_hi:[0,1]
	v_pk_add_f32 v[68:69], v[68:69], v[146:147] neg_lo:[0,1] neg_hi:[0,1]
	s_wait_dscnt 0x0
	v_pk_mul_f32 v[146:147], v[142:143], v[134:135] op_sel:[0,1]
	s_delay_alu instid0(VALU_DEP_1) | instskip(SKIP_1) | instid1(VALU_DEP_1)
	v_pk_fma_f32 v[148:149], v[142:143], v[132:133], v[146:147] op_sel:[0,0,1] op_sel_hi:[1,1,0] neg_lo:[0,0,1] neg_hi:[0,0,1]
	v_pk_fma_f32 v[142:143], v[142:143], v[132:133], v[146:147] op_sel:[0,0,1] op_sel_hi:[1,0,0]
	v_mov_b32_e32 v149, v143
	v_pk_mul_f32 v[142:143], v[144:145], v[134:135] op_sel:[0,1]
	s_delay_alu instid0(VALU_DEP_1) | instskip(SKIP_1) | instid1(VALU_DEP_1)
	v_pk_fma_f32 v[146:147], v[144:145], v[132:133], v[142:143] op_sel:[0,0,1] op_sel_hi:[1,1,0] neg_lo:[0,0,1] neg_hi:[0,0,1]
	v_pk_fma_f32 v[142:143], v[144:145], v[132:133], v[142:143] op_sel:[0,0,1] op_sel_hi:[1,0,0]
	v_mov_b32_e32 v147, v143
	ds_load_2addr_b64 v[142:145], v136 offset0:55 offset1:56
	v_pk_add_f32 v[66:67], v[66:67], v[148:149] neg_lo:[0,1] neg_hi:[0,1]
	v_pk_add_f32 v[10:11], v[10:11], v[146:147] neg_lo:[0,1] neg_hi:[0,1]
	s_wait_dscnt 0x0
	v_dual_mul_f32 v146, v143, v135 :: v_dual_mul_f32 v148, v143, v132
	s_delay_alu instid0(VALU_DEP_1) | instskip(NEXT) | instid1(VALU_DEP_2)
	v_pk_fma_f32 v[146:147], v[142:143], v[48:49], v[146:147] op_sel_hi:[1,1,0] neg_lo:[0,0,1] neg_hi:[0,0,1]
	v_pk_fma_f32 v[142:143], v[142:143], v[48:49], v[148:149] op_sel:[1,0,0] op_sel_hi:[0,1,0]
	s_delay_alu instid0(VALU_DEP_1) | instskip(SKIP_1) | instid1(VALU_DEP_2)
	v_mov_b32_e32 v147, v143
	v_pk_mul_f32 v[142:143], v[144:145], v[134:135] op_sel:[0,1]
	v_pk_add_f32 v[8:9], v[8:9], v[146:147] neg_lo:[0,1] neg_hi:[0,1]
	s_delay_alu instid0(VALU_DEP_2) | instskip(SKIP_1) | instid1(VALU_DEP_1)
	v_pk_fma_f32 v[146:147], v[144:145], v[132:133], v[142:143] op_sel:[0,0,1] op_sel_hi:[1,1,0] neg_lo:[0,0,1] neg_hi:[0,0,1]
	v_pk_fma_f32 v[142:143], v[144:145], v[132:133], v[142:143] op_sel:[0,0,1] op_sel_hi:[1,0,0]
	v_mov_b32_e32 v147, v143
	ds_load_2addr_b64 v[142:145], v136 offset0:57 offset1:58
	v_pk_add_f32 v[34:35], v[34:35], v[146:147] neg_lo:[0,1] neg_hi:[0,1]
	s_wait_dscnt 0x0
	v_pk_mul_f32 v[146:147], v[142:143], v[134:135] op_sel:[0,1]
	s_delay_alu instid0(VALU_DEP_1) | instskip(SKIP_1) | instid1(VALU_DEP_1)
	v_pk_fma_f32 v[148:149], v[142:143], v[132:133], v[146:147] op_sel:[0,0,1] op_sel_hi:[1,1,0] neg_lo:[0,0,1] neg_hi:[0,0,1]
	v_pk_fma_f32 v[142:143], v[142:143], v[132:133], v[146:147] op_sel:[0,0,1] op_sel_hi:[1,0,0]
	v_mov_b32_e32 v149, v143
	v_pk_mul_f32 v[142:143], v[144:145], v[134:135] op_sel:[0,1]
	s_delay_alu instid0(VALU_DEP_2) | instskip(NEXT) | instid1(VALU_DEP_2)
	v_pk_add_f32 v[30:31], v[30:31], v[148:149] neg_lo:[0,1] neg_hi:[0,1]
	v_pk_fma_f32 v[146:147], v[144:145], v[132:133], v[142:143] op_sel:[0,0,1] op_sel_hi:[1,1,0] neg_lo:[0,0,1] neg_hi:[0,0,1]
	v_pk_fma_f32 v[142:143], v[144:145], v[132:133], v[142:143] op_sel:[0,0,1] op_sel_hi:[1,0,0]
	s_delay_alu instid0(VALU_DEP_1) | instskip(SKIP_4) | instid1(VALU_DEP_1)
	v_mov_b32_e32 v147, v143
	ds_load_2addr_b64 v[142:145], v136 offset0:59 offset1:60
	v_pk_add_f32 v[6:7], v[6:7], v[146:147] neg_lo:[0,1] neg_hi:[0,1]
	s_wait_dscnt 0x0
	v_pk_mul_f32 v[146:147], v[142:143], v[134:135] op_sel:[0,1]
	v_pk_fma_f32 v[148:149], v[142:143], v[132:133], v[146:147] op_sel:[0,0,1] op_sel_hi:[1,1,0] neg_lo:[0,0,1] neg_hi:[0,0,1]
	v_pk_fma_f32 v[142:143], v[142:143], v[132:133], v[146:147] op_sel:[0,0,1] op_sel_hi:[1,0,0]
	v_dual_mul_f32 v146, v145, v135 :: v_dual_mov_b32 v142, v145
	s_delay_alu instid0(VALU_DEP_2) | instskip(NEXT) | instid1(VALU_DEP_2)
	v_dual_mov_b32 v149, v143 :: v_dual_mov_b32 v143, v144
	v_pk_fma_f32 v[146:147], v[144:145], v[48:49], v[146:147] op_sel_hi:[1,1,0] neg_lo:[0,0,1] neg_hi:[0,0,1]
	v_mul_f32_e32 v144, v145, v132
	s_delay_alu instid0(VALU_DEP_3) | instskip(NEXT) | instid1(VALU_DEP_2)
	v_pk_add_f32 v[26:27], v[26:27], v[148:149] neg_lo:[0,1] neg_hi:[0,1]
	v_pk_fma_f32 v[142:143], v[142:143], v[48:49], v[144:145] op_sel_hi:[1,1,0]
	s_delay_alu instid0(VALU_DEP_1)
	v_mov_b32_e32 v147, v143
	ds_load_2addr_b64 v[142:145], v136 offset0:61 offset1:62
	v_pk_add_f32 v[14:15], v[14:15], v[146:147] neg_lo:[0,1] neg_hi:[0,1]
	s_wait_dscnt 0x0
	v_pk_mul_f32 v[146:147], v[142:143], v[134:135] op_sel:[0,1]
	v_mul_f32_e32 v134, v145, v135
	s_delay_alu instid0(VALU_DEP_2) | instskip(SKIP_2) | instid1(VALU_DEP_4)
	v_pk_fma_f32 v[148:149], v[142:143], v[132:133], v[146:147] op_sel:[0,0,1] op_sel_hi:[1,1,0] neg_lo:[0,0,1] neg_hi:[0,0,1]
	v_pk_fma_f32 v[142:143], v[142:143], v[132:133], v[146:147] op_sel:[0,0,1] op_sel_hi:[1,0,0]
	v_dual_mov_b32 v142, v145 :: v_dual_mul_f32 v132, v145, v132
	v_pk_fma_f32 v[134:135], v[144:145], v[48:49], v[134:135] op_sel_hi:[1,1,0] neg_lo:[0,0,1] neg_hi:[0,0,1]
	s_delay_alu instid0(VALU_DEP_3) | instskip(NEXT) | instid1(VALU_DEP_1)
	v_dual_mov_b32 v149, v143 :: v_dual_mov_b32 v143, v144
	v_pk_add_f32 v[12:13], v[12:13], v[148:149] neg_lo:[0,1] neg_hi:[0,1]
	s_delay_alu instid0(VALU_DEP_2) | instskip(NEXT) | instid1(VALU_DEP_1)
	v_pk_fma_f32 v[132:133], v[142:143], v[48:49], v[132:133] op_sel_hi:[1,1,0]
	v_mov_b32_e32 v135, v133
	s_delay_alu instid0(VALU_DEP_1)
	v_pk_add_f32 v[130:131], v[130:131], v[134:135] neg_lo:[0,1] neg_hi:[0,1]
.LBB124_566:
	s_or_b32 exec_lo, exec_lo, s0
	v_lshl_add_u32 v132, v140, 3, v136
	s_barrier_signal -1
	s_barrier_wait -1
	ds_store_b64 v132, v[46:47]
	s_wait_dscnt 0x0
	s_barrier_signal -1
	s_barrier_wait -1
	ds_load_b64 v[134:135], v136 offset:216
	v_mov_b32_e32 v132, 27
	s_cmp_lt_i32 s18, 29
	s_cbranch_scc1 .LBB124_569
; %bb.567:
	v_add3_u32 v133, v137, 0, 0xe0
	v_mov_b32_e32 v132, 27
	s_mov_b32 s0, 28
.LBB124_568:                            ; =>This Inner Loop Header: Depth=1
	ds_load_b64 v[142:143], v133
	s_wait_dscnt 0x1
	v_cmp_gt_f32_e32 vcc_lo, 0, v134
	v_cndmask_b32_e64 v144, v134, -v134, vcc_lo
	v_cmp_gt_f32_e32 vcc_lo, 0, v135
	v_cndmask_b32_e64 v146, v135, -v135, vcc_lo
	s_wait_dscnt 0x0
	v_cmp_gt_f32_e32 vcc_lo, 0, v142
	v_cndmask_b32_e64 v145, v142, -v142, vcc_lo
	v_cmp_gt_f32_e32 vcc_lo, 0, v143
	v_cndmask_b32_e64 v147, v143, -v143, vcc_lo
	s_delay_alu instid0(VALU_DEP_1) | instskip(NEXT) | instid1(VALU_DEP_1)
	v_pk_add_f32 v[144:145], v[144:145], v[146:147]
	v_cmp_lt_f32_e32 vcc_lo, v144, v145
	v_dual_add_nc_u32 v133, 8, v133 :: v_dual_cndmask_b32 v135, v135, v143, vcc_lo
	v_cndmask_b32_e32 v134, v134, v142, vcc_lo
	v_cndmask_b32_e64 v132, v132, s0, vcc_lo
	s_add_co_i32 s0, s0, 1
	s_delay_alu instid0(SALU_CYCLE_1)
	s_cmp_lg_u32 s18, s0
	s_cbranch_scc1 .LBB124_568
.LBB124_569:
	s_wait_dscnt 0x0
	v_cmp_eq_f32_e32 vcc_lo, 0, v134
	v_cmp_eq_f32_e64 s0, 0, v135
	s_and_b32 s0, vcc_lo, s0
	s_delay_alu instid0(SALU_CYCLE_1) | instskip(NEXT) | instid1(SALU_CYCLE_1)
	s_and_saveexec_b32 s1, s0
	s_xor_b32 s0, exec_lo, s1
; %bb.570:
	v_cmp_ne_u32_e32 vcc_lo, 0, v138
	v_cndmask_b32_e32 v138, 28, v138, vcc_lo
; %bb.571:
	s_and_not1_saveexec_b32 s0, s0
	s_cbranch_execz .LBB124_577
; %bb.572:
	v_cmp_ngt_f32_e64 s1, |v134|, |v135|
	s_and_saveexec_b32 s12, s1
	s_delay_alu instid0(SALU_CYCLE_1)
	s_xor_b32 s1, exec_lo, s12
	s_cbranch_execz .LBB124_574
; %bb.573:
	v_div_scale_f32 v133, null, v135, v135, v134
	v_div_scale_f32 v143, vcc_lo, v134, v135, v134
	s_delay_alu instid0(VALU_DEP_2) | instskip(SKIP_1) | instid1(TRANS32_DEP_1)
	v_rcp_f32_e32 v141, v133
	v_nop
	v_fma_f32 v142, -v133, v141, 1.0
	s_delay_alu instid0(VALU_DEP_1) | instskip(NEXT) | instid1(VALU_DEP_1)
	v_fmac_f32_e32 v141, v142, v141
	v_mul_f32_e32 v142, v143, v141
	s_delay_alu instid0(VALU_DEP_1) | instskip(NEXT) | instid1(VALU_DEP_1)
	v_fma_f32 v144, -v133, v142, v143
	v_fmac_f32_e32 v142, v144, v141
	s_delay_alu instid0(VALU_DEP_1) | instskip(NEXT) | instid1(VALU_DEP_1)
	v_fma_f32 v133, -v133, v142, v143
	v_div_fmas_f32 v133, v133, v141, v142
	s_delay_alu instid0(VALU_DEP_1) | instskip(NEXT) | instid1(VALU_DEP_1)
	v_div_fixup_f32 v133, v133, v135, v134
	v_fmac_f32_e32 v135, v134, v133
	s_delay_alu instid0(VALU_DEP_1) | instskip(SKIP_1) | instid1(VALU_DEP_2)
	v_div_scale_f32 v134, null, v135, v135, 1.0
	v_div_scale_f32 v143, vcc_lo, 1.0, v135, 1.0
	v_rcp_f32_e32 v141, v134
	v_nop
	s_delay_alu instid0(TRANS32_DEP_1) | instskip(NEXT) | instid1(VALU_DEP_1)
	v_fma_f32 v142, -v134, v141, 1.0
	v_fmac_f32_e32 v141, v142, v141
	s_delay_alu instid0(VALU_DEP_1) | instskip(NEXT) | instid1(VALU_DEP_1)
	v_mul_f32_e32 v142, v143, v141
	v_fma_f32 v144, -v134, v142, v143
	s_delay_alu instid0(VALU_DEP_1) | instskip(NEXT) | instid1(VALU_DEP_1)
	v_fmac_f32_e32 v142, v144, v141
	v_fma_f32 v134, -v134, v142, v143
	s_delay_alu instid0(VALU_DEP_1) | instskip(NEXT) | instid1(VALU_DEP_1)
	v_div_fmas_f32 v134, v134, v141, v142
	v_div_fixup_f32 v135, v134, v135, 1.0
	s_delay_alu instid0(VALU_DEP_1)
	v_mul_f32_e32 v134, v133, v135
	v_xor_b32_e32 v135, 0x80000000, v135
.LBB124_574:
	s_and_not1_saveexec_b32 s1, s1
	s_cbranch_execz .LBB124_576
; %bb.575:
	s_delay_alu instid0(VALU_DEP_1) | instskip(SKIP_1) | instid1(VALU_DEP_2)
	v_div_scale_f32 v133, null, v134, v134, v135
	v_div_scale_f32 v143, vcc_lo, v135, v134, v135
	v_rcp_f32_e32 v141, v133
	v_nop
	s_delay_alu instid0(TRANS32_DEP_1) | instskip(NEXT) | instid1(VALU_DEP_1)
	v_fma_f32 v142, -v133, v141, 1.0
	v_fmac_f32_e32 v141, v142, v141
	s_delay_alu instid0(VALU_DEP_1) | instskip(NEXT) | instid1(VALU_DEP_1)
	v_mul_f32_e32 v142, v143, v141
	v_fma_f32 v144, -v133, v142, v143
	s_delay_alu instid0(VALU_DEP_1) | instskip(NEXT) | instid1(VALU_DEP_1)
	v_fmac_f32_e32 v142, v144, v141
	v_fma_f32 v133, -v133, v142, v143
	s_delay_alu instid0(VALU_DEP_1) | instskip(NEXT) | instid1(VALU_DEP_1)
	v_div_fmas_f32 v133, v133, v141, v142
	v_div_fixup_f32 v133, v133, v134, v135
	s_delay_alu instid0(VALU_DEP_1) | instskip(NEXT) | instid1(VALU_DEP_1)
	v_fmac_f32_e32 v134, v135, v133
	v_div_scale_f32 v135, null, v134, v134, 1.0
	s_delay_alu instid0(VALU_DEP_1) | instskip(SKIP_1) | instid1(TRANS32_DEP_1)
	v_rcp_f32_e32 v141, v135
	v_nop
	v_fma_f32 v142, -v135, v141, 1.0
	s_delay_alu instid0(VALU_DEP_1) | instskip(SKIP_1) | instid1(VALU_DEP_1)
	v_fmac_f32_e32 v141, v142, v141
	v_div_scale_f32 v142, vcc_lo, 1.0, v134, 1.0
	v_mul_f32_e32 v143, v142, v141
	s_delay_alu instid0(VALU_DEP_1) | instskip(NEXT) | instid1(VALU_DEP_1)
	v_fma_f32 v144, -v135, v143, v142
	v_fmac_f32_e32 v143, v144, v141
	s_delay_alu instid0(VALU_DEP_1) | instskip(NEXT) | instid1(VALU_DEP_1)
	v_fma_f32 v135, -v135, v143, v142
	v_div_fmas_f32 v135, v135, v141, v143
	s_delay_alu instid0(VALU_DEP_1) | instskip(NEXT) | instid1(VALU_DEP_1)
	v_div_fixup_f32 v134, v135, v134, 1.0
	v_mul_f32_e64 v135, v133, -v134
.LBB124_576:
	s_or_b32 exec_lo, exec_lo, s1
.LBB124_577:
	s_delay_alu instid0(SALU_CYCLE_1) | instskip(NEXT) | instid1(SALU_CYCLE_1)
	s_or_b32 exec_lo, exec_lo, s0
	s_mov_b32 s0, exec_lo
	v_cmpx_ne_u32_e64 v140, v132
	s_xor_b32 s0, exec_lo, s0
	s_cbranch_execz .LBB124_583
; %bb.578:
	s_mov_b32 s1, exec_lo
	v_cmpx_eq_u32_e32 27, v140
	s_cbranch_execz .LBB124_582
; %bb.579:
	v_cmp_ne_u32_e32 vcc_lo, 27, v132
	s_xor_b32 s12, s16, -1
	s_delay_alu instid0(SALU_CYCLE_1) | instskip(NEXT) | instid1(SALU_CYCLE_1)
	s_and_b32 s13, s12, vcc_lo
	s_and_saveexec_b32 s12, s13
	s_cbranch_execz .LBB124_581
; %bb.580:
	v_ashrrev_i32_e32 v133, 31, v132
	s_delay_alu instid0(VALU_DEP_1)
	v_lshl_add_u64 v[140:141], v[132:133], 2, v[4:5]
	s_clause 0x1
	global_load_b32 v133, v[140:141], off
	global_load_b32 v139, v[4:5], off offset:108
	s_wait_loadcnt 0x1
	global_store_b32 v[4:5], v133, off offset:108
	s_wait_loadcnt 0x0
	global_store_b32 v[140:141], v139, off
.LBB124_581:
	s_wait_xcnt 0x0
	s_or_b32 exec_lo, exec_lo, s12
	v_dual_mov_b32 v140, v132 :: v_dual_mov_b32 v139, v132
.LBB124_582:
	s_or_b32 exec_lo, exec_lo, s1
.LBB124_583:
	s_and_not1_saveexec_b32 s0, s0
	s_cbranch_execz .LBB124_585
; %bb.584:
	v_dual_mov_b32 v132, v96 :: v_dual_mov_b32 v133, v97
	v_dual_mov_b32 v140, v94 :: v_dual_mov_b32 v141, v95
	ds_store_2addr_b64 v136, v[132:133], v[140:141] offset0:28 offset1:29
	v_dual_mov_b32 v132, v44 :: v_dual_mov_b32 v133, v45
	v_dual_mov_b32 v140, v42 :: v_dual_mov_b32 v141, v43
	ds_store_2addr_b64 v136, v[132:133], v[140:141] offset0:30 offset1:31
	;; [unrolled: 3-line block ×17, first 2 shown]
	ds_store_b64 v136, v[130:131] offset:496
	v_mov_b32_e32 v140, 27
.LBB124_585:
	s_or_b32 exec_lo, exec_lo, s0
	s_delay_alu instid0(SALU_CYCLE_1)
	s_mov_b32 s0, exec_lo
	s_wait_storecnt_dscnt 0x0
	s_barrier_signal -1
	s_barrier_wait -1
	v_cmpx_lt_i32_e32 27, v140
	s_cbranch_execz .LBB124_587
; %bb.586:
	v_pk_mul_f32 v[142:143], v[134:135], v[46:47] op_sel:[1,1] op_sel_hi:[0,1]
	s_delay_alu instid0(VALU_DEP_1)
	v_pk_fma_f32 v[132:133], v[134:135], v[46:47], v[142:143] op_sel_hi:[1,0,1] neg_lo:[0,0,1] neg_hi:[0,0,1]
	v_pk_fma_f32 v[134:135], v[134:135], v[46:47], v[142:143] op_sel_hi:[1,0,1]
	ds_load_2addr_b64 v[142:145], v136 offset0:28 offset1:29
	v_dual_mov_b32 v46, v132 :: v_dual_mov_b32 v47, v135
	s_wait_dscnt 0x0
	v_pk_mul_f32 v[146:147], v[142:143], v[134:135] op_sel:[0,1]
	s_delay_alu instid0(VALU_DEP_1) | instskip(SKIP_1) | instid1(VALU_DEP_1)
	v_pk_fma_f32 v[148:149], v[142:143], v[132:133], v[146:147] op_sel:[0,0,1] op_sel_hi:[1,1,0] neg_lo:[0,0,1] neg_hi:[0,0,1]
	v_pk_fma_f32 v[142:143], v[142:143], v[132:133], v[146:147] op_sel:[0,0,1] op_sel_hi:[1,0,0]
	v_mov_b32_e32 v149, v143
	v_pk_mul_f32 v[142:143], v[144:145], v[134:135] op_sel:[0,1]
	s_delay_alu instid0(VALU_DEP_1) | instskip(SKIP_1) | instid1(VALU_DEP_1)
	v_pk_fma_f32 v[146:147], v[144:145], v[132:133], v[142:143] op_sel:[0,0,1] op_sel_hi:[1,1,0] neg_lo:[0,0,1] neg_hi:[0,0,1]
	v_pk_fma_f32 v[142:143], v[144:145], v[132:133], v[142:143] op_sel:[0,0,1] op_sel_hi:[1,0,0]
	v_mov_b32_e32 v147, v143
	ds_load_2addr_b64 v[142:145], v136 offset0:30 offset1:31
	v_pk_add_f32 v[96:97], v[96:97], v[148:149] neg_lo:[0,1] neg_hi:[0,1]
	v_pk_add_f32 v[94:95], v[94:95], v[146:147] neg_lo:[0,1] neg_hi:[0,1]
	s_wait_dscnt 0x0
	v_pk_mul_f32 v[146:147], v[142:143], v[134:135] op_sel:[0,1]
	s_delay_alu instid0(VALU_DEP_1) | instskip(SKIP_2) | instid1(VALU_DEP_2)
	v_pk_fma_f32 v[148:149], v[142:143], v[132:133], v[146:147] op_sel:[0,0,1] op_sel_hi:[1,1,0] neg_lo:[0,0,1] neg_hi:[0,0,1]
	v_pk_fma_f32 v[142:143], v[142:143], v[132:133], v[146:147] op_sel:[0,0,1] op_sel_hi:[1,0,0]
	v_dual_mul_f32 v146, v145, v135 :: v_dual_mov_b32 v142, v145
	v_dual_mov_b32 v149, v143 :: v_dual_mov_b32 v143, v144
	s_delay_alu instid0(VALU_DEP_2) | instskip(SKIP_1) | instid1(VALU_DEP_3)
	v_pk_fma_f32 v[146:147], v[144:145], v[46:47], v[146:147] op_sel_hi:[1,1,0] neg_lo:[0,0,1] neg_hi:[0,0,1]
	v_mul_f32_e32 v144, v145, v132
	v_pk_add_f32 v[44:45], v[44:45], v[148:149] neg_lo:[0,1] neg_hi:[0,1]
	s_delay_alu instid0(VALU_DEP_2) | instskip(NEXT) | instid1(VALU_DEP_1)
	v_pk_fma_f32 v[142:143], v[142:143], v[46:47], v[144:145] op_sel_hi:[1,1,0]
	v_mov_b32_e32 v147, v143
	ds_load_2addr_b64 v[142:145], v136 offset0:32 offset1:33
	v_pk_add_f32 v[42:43], v[42:43], v[146:147] neg_lo:[0,1] neg_hi:[0,1]
	s_wait_dscnt 0x0
	v_pk_mul_f32 v[146:147], v[142:143], v[134:135] op_sel:[0,1]
	s_delay_alu instid0(VALU_DEP_1) | instskip(SKIP_1) | instid1(VALU_DEP_1)
	v_pk_fma_f32 v[148:149], v[142:143], v[132:133], v[146:147] op_sel:[0,0,1] op_sel_hi:[1,1,0] neg_lo:[0,0,1] neg_hi:[0,0,1]
	v_pk_fma_f32 v[142:143], v[142:143], v[132:133], v[146:147] op_sel:[0,0,1] op_sel_hi:[1,0,0]
	v_mov_b32_e32 v149, v143
	v_pk_mul_f32 v[142:143], v[144:145], v[134:135] op_sel:[0,1]
	s_delay_alu instid0(VALU_DEP_1) | instskip(SKIP_1) | instid1(VALU_DEP_1)
	v_pk_fma_f32 v[146:147], v[144:145], v[132:133], v[142:143] op_sel:[0,0,1] op_sel_hi:[1,1,0] neg_lo:[0,0,1] neg_hi:[0,0,1]
	v_pk_fma_f32 v[142:143], v[144:145], v[132:133], v[142:143] op_sel:[0,0,1] op_sel_hi:[1,0,0]
	v_mov_b32_e32 v147, v143
	ds_load_2addr_b64 v[142:145], v136 offset0:34 offset1:35
	v_pk_add_f32 v[92:93], v[92:93], v[148:149] neg_lo:[0,1] neg_hi:[0,1]
	v_pk_add_f32 v[90:91], v[90:91], v[146:147] neg_lo:[0,1] neg_hi:[0,1]
	s_wait_dscnt 0x0
	v_pk_mul_f32 v[146:147], v[142:143], v[134:135] op_sel:[0,1]
	s_delay_alu instid0(VALU_DEP_1) | instskip(SKIP_1) | instid1(VALU_DEP_1)
	v_pk_fma_f32 v[148:149], v[142:143], v[132:133], v[146:147] op_sel:[0,0,1] op_sel_hi:[1,1,0] neg_lo:[0,0,1] neg_hi:[0,0,1]
	v_pk_fma_f32 v[142:143], v[142:143], v[132:133], v[146:147] op_sel:[0,0,1] op_sel_hi:[1,0,0]
	v_mov_b32_e32 v149, v143
	v_pk_mul_f32 v[142:143], v[144:145], v[134:135] op_sel:[0,1]
	s_delay_alu instid0(VALU_DEP_1) | instskip(SKIP_1) | instid1(VALU_DEP_1)
	v_pk_fma_f32 v[146:147], v[144:145], v[132:133], v[142:143] op_sel:[0,0,1] op_sel_hi:[1,1,0] neg_lo:[0,0,1] neg_hi:[0,0,1]
	v_pk_fma_f32 v[142:143], v[144:145], v[132:133], v[142:143] op_sel:[0,0,1] op_sel_hi:[1,0,0]
	v_mov_b32_e32 v147, v143
	ds_load_2addr_b64 v[142:145], v136 offset0:36 offset1:37
	v_pk_add_f32 v[40:41], v[40:41], v[148:149] neg_lo:[0,1] neg_hi:[0,1]
	v_pk_add_f32 v[38:39], v[38:39], v[146:147] neg_lo:[0,1] neg_hi:[0,1]
	s_wait_dscnt 0x0
	v_dual_mul_f32 v146, v143, v135 :: v_dual_mul_f32 v148, v143, v132
	s_delay_alu instid0(VALU_DEP_1) | instskip(NEXT) | instid1(VALU_DEP_2)
	v_pk_fma_f32 v[146:147], v[142:143], v[46:47], v[146:147] op_sel_hi:[1,1,0] neg_lo:[0,0,1] neg_hi:[0,0,1]
	v_pk_fma_f32 v[142:143], v[142:143], v[46:47], v[148:149] op_sel:[1,0,0] op_sel_hi:[0,1,0]
	s_delay_alu instid0(VALU_DEP_1) | instskip(SKIP_1) | instid1(VALU_DEP_2)
	v_mov_b32_e32 v147, v143
	v_pk_mul_f32 v[142:143], v[144:145], v[134:135] op_sel:[0,1]
	v_pk_add_f32 v[88:89], v[88:89], v[146:147] neg_lo:[0,1] neg_hi:[0,1]
	s_delay_alu instid0(VALU_DEP_2) | instskip(SKIP_1) | instid1(VALU_DEP_1)
	v_pk_fma_f32 v[146:147], v[144:145], v[132:133], v[142:143] op_sel:[0,0,1] op_sel_hi:[1,1,0] neg_lo:[0,0,1] neg_hi:[0,0,1]
	v_pk_fma_f32 v[142:143], v[144:145], v[132:133], v[142:143] op_sel:[0,0,1] op_sel_hi:[1,0,0]
	v_mov_b32_e32 v147, v143
	ds_load_2addr_b64 v[142:145], v136 offset0:38 offset1:39
	v_pk_add_f32 v[86:87], v[86:87], v[146:147] neg_lo:[0,1] neg_hi:[0,1]
	s_wait_dscnt 0x0
	v_pk_mul_f32 v[146:147], v[142:143], v[134:135] op_sel:[0,1]
	s_delay_alu instid0(VALU_DEP_1) | instskip(SKIP_1) | instid1(VALU_DEP_1)
	v_pk_fma_f32 v[148:149], v[142:143], v[132:133], v[146:147] op_sel:[0,0,1] op_sel_hi:[1,1,0] neg_lo:[0,0,1] neg_hi:[0,0,1]
	v_pk_fma_f32 v[142:143], v[142:143], v[132:133], v[146:147] op_sel:[0,0,1] op_sel_hi:[1,0,0]
	v_mov_b32_e32 v149, v143
	v_pk_mul_f32 v[142:143], v[144:145], v[134:135] op_sel:[0,1]
	s_delay_alu instid0(VALU_DEP_2) | instskip(NEXT) | instid1(VALU_DEP_2)
	v_pk_add_f32 v[36:37], v[36:37], v[148:149] neg_lo:[0,1] neg_hi:[0,1]
	v_pk_fma_f32 v[146:147], v[144:145], v[132:133], v[142:143] op_sel:[0,0,1] op_sel_hi:[1,1,0] neg_lo:[0,0,1] neg_hi:[0,0,1]
	v_pk_fma_f32 v[142:143], v[144:145], v[132:133], v[142:143] op_sel:[0,0,1] op_sel_hi:[1,0,0]
	s_delay_alu instid0(VALU_DEP_1) | instskip(SKIP_4) | instid1(VALU_DEP_1)
	v_mov_b32_e32 v147, v143
	ds_load_2addr_b64 v[142:145], v136 offset0:40 offset1:41
	v_pk_add_f32 v[32:33], v[32:33], v[146:147] neg_lo:[0,1] neg_hi:[0,1]
	s_wait_dscnt 0x0
	v_pk_mul_f32 v[146:147], v[142:143], v[134:135] op_sel:[0,1]
	v_pk_fma_f32 v[148:149], v[142:143], v[132:133], v[146:147] op_sel:[0,0,1] op_sel_hi:[1,1,0] neg_lo:[0,0,1] neg_hi:[0,0,1]
	v_pk_fma_f32 v[142:143], v[142:143], v[132:133], v[146:147] op_sel:[0,0,1] op_sel_hi:[1,0,0]
	v_dual_mul_f32 v146, v145, v135 :: v_dual_mov_b32 v142, v145
	s_delay_alu instid0(VALU_DEP_2) | instskip(NEXT) | instid1(VALU_DEP_2)
	v_dual_mov_b32 v149, v143 :: v_dual_mov_b32 v143, v144
	v_pk_fma_f32 v[146:147], v[144:145], v[46:47], v[146:147] op_sel_hi:[1,1,0] neg_lo:[0,0,1] neg_hi:[0,0,1]
	v_mul_f32_e32 v144, v145, v132
	s_delay_alu instid0(VALU_DEP_3) | instskip(NEXT) | instid1(VALU_DEP_2)
	v_pk_add_f32 v[84:85], v[84:85], v[148:149] neg_lo:[0,1] neg_hi:[0,1]
	v_pk_fma_f32 v[142:143], v[142:143], v[46:47], v[144:145] op_sel_hi:[1,1,0]
	s_delay_alu instid0(VALU_DEP_1) | instskip(SKIP_4) | instid1(VALU_DEP_1)
	v_mov_b32_e32 v147, v143
	ds_load_2addr_b64 v[142:145], v136 offset0:42 offset1:43
	v_pk_add_f32 v[82:83], v[82:83], v[146:147] neg_lo:[0,1] neg_hi:[0,1]
	s_wait_dscnt 0x0
	v_pk_mul_f32 v[146:147], v[142:143], v[134:135] op_sel:[0,1]
	v_pk_fma_f32 v[148:149], v[142:143], v[132:133], v[146:147] op_sel:[0,0,1] op_sel_hi:[1,1,0] neg_lo:[0,0,1] neg_hi:[0,0,1]
	v_pk_fma_f32 v[142:143], v[142:143], v[132:133], v[146:147] op_sel:[0,0,1] op_sel_hi:[1,0,0]
	s_delay_alu instid0(VALU_DEP_1) | instskip(SKIP_1) | instid1(VALU_DEP_1)
	v_mov_b32_e32 v149, v143
	v_pk_mul_f32 v[142:143], v[144:145], v[134:135] op_sel:[0,1]
	v_pk_fma_f32 v[146:147], v[144:145], v[132:133], v[142:143] op_sel:[0,0,1] op_sel_hi:[1,1,0] neg_lo:[0,0,1] neg_hi:[0,0,1]
	v_pk_fma_f32 v[142:143], v[144:145], v[132:133], v[142:143] op_sel:[0,0,1] op_sel_hi:[1,0,0]
	s_delay_alu instid0(VALU_DEP_1)
	v_mov_b32_e32 v147, v143
	ds_load_2addr_b64 v[142:145], v136 offset0:44 offset1:45
	v_pk_add_f32 v[24:25], v[24:25], v[148:149] neg_lo:[0,1] neg_hi:[0,1]
	v_pk_add_f32 v[22:23], v[22:23], v[146:147] neg_lo:[0,1] neg_hi:[0,1]
	s_wait_dscnt 0x0
	v_pk_mul_f32 v[146:147], v[142:143], v[134:135] op_sel:[0,1]
	s_delay_alu instid0(VALU_DEP_1) | instskip(SKIP_1) | instid1(VALU_DEP_1)
	v_pk_fma_f32 v[148:149], v[142:143], v[132:133], v[146:147] op_sel:[0,0,1] op_sel_hi:[1,1,0] neg_lo:[0,0,1] neg_hi:[0,0,1]
	v_pk_fma_f32 v[142:143], v[142:143], v[132:133], v[146:147] op_sel:[0,0,1] op_sel_hi:[1,0,0]
	v_mov_b32_e32 v149, v143
	v_pk_mul_f32 v[142:143], v[144:145], v[134:135] op_sel:[0,1]
	s_delay_alu instid0(VALU_DEP_1) | instskip(SKIP_1) | instid1(VALU_DEP_1)
	v_pk_fma_f32 v[146:147], v[144:145], v[132:133], v[142:143] op_sel:[0,0,1] op_sel_hi:[1,1,0] neg_lo:[0,0,1] neg_hi:[0,0,1]
	v_pk_fma_f32 v[142:143], v[144:145], v[132:133], v[142:143] op_sel:[0,0,1] op_sel_hi:[1,0,0]
	v_mov_b32_e32 v147, v143
	ds_load_2addr_b64 v[142:145], v136 offset0:46 offset1:47
	v_pk_add_f32 v[80:81], v[80:81], v[148:149] neg_lo:[0,1] neg_hi:[0,1]
	v_pk_add_f32 v[78:79], v[78:79], v[146:147] neg_lo:[0,1] neg_hi:[0,1]
	s_wait_dscnt 0x0
	v_dual_mul_f32 v146, v143, v135 :: v_dual_mul_f32 v148, v143, v132
	s_delay_alu instid0(VALU_DEP_1) | instskip(NEXT) | instid1(VALU_DEP_2)
	v_pk_fma_f32 v[146:147], v[142:143], v[46:47], v[146:147] op_sel_hi:[1,1,0] neg_lo:[0,0,1] neg_hi:[0,0,1]
	v_pk_fma_f32 v[142:143], v[142:143], v[46:47], v[148:149] op_sel:[1,0,0] op_sel_hi:[0,1,0]
	s_delay_alu instid0(VALU_DEP_1) | instskip(SKIP_1) | instid1(VALU_DEP_2)
	v_mov_b32_e32 v147, v143
	v_pk_mul_f32 v[142:143], v[144:145], v[134:135] op_sel:[0,1]
	v_pk_add_f32 v[20:21], v[20:21], v[146:147] neg_lo:[0,1] neg_hi:[0,1]
	s_delay_alu instid0(VALU_DEP_2) | instskip(SKIP_1) | instid1(VALU_DEP_1)
	v_pk_fma_f32 v[146:147], v[144:145], v[132:133], v[142:143] op_sel:[0,0,1] op_sel_hi:[1,1,0] neg_lo:[0,0,1] neg_hi:[0,0,1]
	v_pk_fma_f32 v[142:143], v[144:145], v[132:133], v[142:143] op_sel:[0,0,1] op_sel_hi:[1,0,0]
	v_mov_b32_e32 v147, v143
	ds_load_2addr_b64 v[142:145], v136 offset0:48 offset1:49
	v_pk_add_f32 v[18:19], v[18:19], v[146:147] neg_lo:[0,1] neg_hi:[0,1]
	s_wait_dscnt 0x0
	v_pk_mul_f32 v[146:147], v[142:143], v[134:135] op_sel:[0,1]
	s_delay_alu instid0(VALU_DEP_1) | instskip(SKIP_1) | instid1(VALU_DEP_1)
	v_pk_fma_f32 v[148:149], v[142:143], v[132:133], v[146:147] op_sel:[0,0,1] op_sel_hi:[1,1,0] neg_lo:[0,0,1] neg_hi:[0,0,1]
	v_pk_fma_f32 v[142:143], v[142:143], v[132:133], v[146:147] op_sel:[0,0,1] op_sel_hi:[1,0,0]
	v_mov_b32_e32 v149, v143
	v_pk_mul_f32 v[142:143], v[144:145], v[134:135] op_sel:[0,1]
	s_delay_alu instid0(VALU_DEP_2) | instskip(NEXT) | instid1(VALU_DEP_2)
	v_pk_add_f32 v[76:77], v[76:77], v[148:149] neg_lo:[0,1] neg_hi:[0,1]
	v_pk_fma_f32 v[146:147], v[144:145], v[132:133], v[142:143] op_sel:[0,0,1] op_sel_hi:[1,1,0] neg_lo:[0,0,1] neg_hi:[0,0,1]
	v_pk_fma_f32 v[142:143], v[144:145], v[132:133], v[142:143] op_sel:[0,0,1] op_sel_hi:[1,0,0]
	s_delay_alu instid0(VALU_DEP_1) | instskip(SKIP_4) | instid1(VALU_DEP_1)
	v_mov_b32_e32 v147, v143
	ds_load_2addr_b64 v[142:145], v136 offset0:50 offset1:51
	v_pk_add_f32 v[74:75], v[74:75], v[146:147] neg_lo:[0,1] neg_hi:[0,1]
	s_wait_dscnt 0x0
	v_pk_mul_f32 v[146:147], v[142:143], v[134:135] op_sel:[0,1]
	v_pk_fma_f32 v[148:149], v[142:143], v[132:133], v[146:147] op_sel:[0,0,1] op_sel_hi:[1,1,0] neg_lo:[0,0,1] neg_hi:[0,0,1]
	v_pk_fma_f32 v[142:143], v[142:143], v[132:133], v[146:147] op_sel:[0,0,1] op_sel_hi:[1,0,0]
	v_dual_mul_f32 v146, v145, v135 :: v_dual_mov_b32 v142, v145
	s_delay_alu instid0(VALU_DEP_2) | instskip(NEXT) | instid1(VALU_DEP_2)
	v_dual_mov_b32 v149, v143 :: v_dual_mov_b32 v143, v144
	v_pk_fma_f32 v[146:147], v[144:145], v[46:47], v[146:147] op_sel_hi:[1,1,0] neg_lo:[0,0,1] neg_hi:[0,0,1]
	v_mul_f32_e32 v144, v145, v132
	s_delay_alu instid0(VALU_DEP_3) | instskip(NEXT) | instid1(VALU_DEP_2)
	v_pk_add_f32 v[16:17], v[16:17], v[148:149] neg_lo:[0,1] neg_hi:[0,1]
	v_pk_fma_f32 v[142:143], v[142:143], v[46:47], v[144:145] op_sel_hi:[1,1,0]
	s_delay_alu instid0(VALU_DEP_1) | instskip(SKIP_4) | instid1(VALU_DEP_1)
	v_mov_b32_e32 v147, v143
	ds_load_2addr_b64 v[142:145], v136 offset0:52 offset1:53
	v_pk_add_f32 v[28:29], v[28:29], v[146:147] neg_lo:[0,1] neg_hi:[0,1]
	s_wait_dscnt 0x0
	v_pk_mul_f32 v[146:147], v[142:143], v[134:135] op_sel:[0,1]
	v_pk_fma_f32 v[148:149], v[142:143], v[132:133], v[146:147] op_sel:[0,0,1] op_sel_hi:[1,1,0] neg_lo:[0,0,1] neg_hi:[0,0,1]
	v_pk_fma_f32 v[142:143], v[142:143], v[132:133], v[146:147] op_sel:[0,0,1] op_sel_hi:[1,0,0]
	s_delay_alu instid0(VALU_DEP_1) | instskip(SKIP_1) | instid1(VALU_DEP_1)
	v_mov_b32_e32 v149, v143
	v_pk_mul_f32 v[142:143], v[144:145], v[134:135] op_sel:[0,1]
	v_pk_fma_f32 v[146:147], v[144:145], v[132:133], v[142:143] op_sel:[0,0,1] op_sel_hi:[1,1,0] neg_lo:[0,0,1] neg_hi:[0,0,1]
	v_pk_fma_f32 v[142:143], v[144:145], v[132:133], v[142:143] op_sel:[0,0,1] op_sel_hi:[1,0,0]
	s_delay_alu instid0(VALU_DEP_1)
	v_mov_b32_e32 v147, v143
	ds_load_2addr_b64 v[142:145], v136 offset0:54 offset1:55
	v_pk_add_f32 v[68:69], v[68:69], v[148:149] neg_lo:[0,1] neg_hi:[0,1]
	v_pk_add_f32 v[66:67], v[66:67], v[146:147] neg_lo:[0,1] neg_hi:[0,1]
	s_wait_dscnt 0x0
	v_pk_mul_f32 v[146:147], v[142:143], v[134:135] op_sel:[0,1]
	s_delay_alu instid0(VALU_DEP_1) | instskip(SKIP_1) | instid1(VALU_DEP_1)
	v_pk_fma_f32 v[148:149], v[142:143], v[132:133], v[146:147] op_sel:[0,0,1] op_sel_hi:[1,1,0] neg_lo:[0,0,1] neg_hi:[0,0,1]
	v_pk_fma_f32 v[142:143], v[142:143], v[132:133], v[146:147] op_sel:[0,0,1] op_sel_hi:[1,0,0]
	v_mov_b32_e32 v149, v143
	v_pk_mul_f32 v[142:143], v[144:145], v[134:135] op_sel:[0,1]
	s_delay_alu instid0(VALU_DEP_1) | instskip(SKIP_1) | instid1(VALU_DEP_1)
	v_pk_fma_f32 v[146:147], v[144:145], v[132:133], v[142:143] op_sel:[0,0,1] op_sel_hi:[1,1,0] neg_lo:[0,0,1] neg_hi:[0,0,1]
	v_pk_fma_f32 v[142:143], v[144:145], v[132:133], v[142:143] op_sel:[0,0,1] op_sel_hi:[1,0,0]
	v_mov_b32_e32 v147, v143
	ds_load_2addr_b64 v[142:145], v136 offset0:56 offset1:57
	v_pk_add_f32 v[10:11], v[10:11], v[148:149] neg_lo:[0,1] neg_hi:[0,1]
	v_pk_add_f32 v[8:9], v[8:9], v[146:147] neg_lo:[0,1] neg_hi:[0,1]
	s_wait_dscnt 0x0
	v_dual_mul_f32 v146, v143, v135 :: v_dual_mul_f32 v148, v143, v132
	s_delay_alu instid0(VALU_DEP_1) | instskip(NEXT) | instid1(VALU_DEP_2)
	v_pk_fma_f32 v[146:147], v[142:143], v[46:47], v[146:147] op_sel_hi:[1,1,0] neg_lo:[0,0,1] neg_hi:[0,0,1]
	v_pk_fma_f32 v[142:143], v[142:143], v[46:47], v[148:149] op_sel:[1,0,0] op_sel_hi:[0,1,0]
	s_delay_alu instid0(VALU_DEP_1) | instskip(SKIP_1) | instid1(VALU_DEP_2)
	v_mov_b32_e32 v147, v143
	v_pk_mul_f32 v[142:143], v[144:145], v[134:135] op_sel:[0,1]
	v_pk_add_f32 v[34:35], v[34:35], v[146:147] neg_lo:[0,1] neg_hi:[0,1]
	s_delay_alu instid0(VALU_DEP_2) | instskip(SKIP_1) | instid1(VALU_DEP_1)
	v_pk_fma_f32 v[146:147], v[144:145], v[132:133], v[142:143] op_sel:[0,0,1] op_sel_hi:[1,1,0] neg_lo:[0,0,1] neg_hi:[0,0,1]
	v_pk_fma_f32 v[142:143], v[144:145], v[132:133], v[142:143] op_sel:[0,0,1] op_sel_hi:[1,0,0]
	v_mov_b32_e32 v147, v143
	ds_load_2addr_b64 v[142:145], v136 offset0:58 offset1:59
	v_pk_add_f32 v[30:31], v[30:31], v[146:147] neg_lo:[0,1] neg_hi:[0,1]
	s_wait_dscnt 0x0
	v_pk_mul_f32 v[146:147], v[142:143], v[134:135] op_sel:[0,1]
	s_delay_alu instid0(VALU_DEP_1) | instskip(SKIP_1) | instid1(VALU_DEP_1)
	v_pk_fma_f32 v[148:149], v[142:143], v[132:133], v[146:147] op_sel:[0,0,1] op_sel_hi:[1,1,0] neg_lo:[0,0,1] neg_hi:[0,0,1]
	v_pk_fma_f32 v[142:143], v[142:143], v[132:133], v[146:147] op_sel:[0,0,1] op_sel_hi:[1,0,0]
	v_mov_b32_e32 v149, v143
	v_pk_mul_f32 v[142:143], v[144:145], v[134:135] op_sel:[0,1]
	s_delay_alu instid0(VALU_DEP_2) | instskip(NEXT) | instid1(VALU_DEP_2)
	v_pk_add_f32 v[6:7], v[6:7], v[148:149] neg_lo:[0,1] neg_hi:[0,1]
	v_pk_fma_f32 v[146:147], v[144:145], v[132:133], v[142:143] op_sel:[0,0,1] op_sel_hi:[1,1,0] neg_lo:[0,0,1] neg_hi:[0,0,1]
	v_pk_fma_f32 v[142:143], v[144:145], v[132:133], v[142:143] op_sel:[0,0,1] op_sel_hi:[1,0,0]
	s_delay_alu instid0(VALU_DEP_1) | instskip(SKIP_4) | instid1(VALU_DEP_1)
	v_mov_b32_e32 v147, v143
	ds_load_2addr_b64 v[142:145], v136 offset0:60 offset1:61
	v_pk_add_f32 v[26:27], v[26:27], v[146:147] neg_lo:[0,1] neg_hi:[0,1]
	s_wait_dscnt 0x0
	v_pk_mul_f32 v[146:147], v[142:143], v[134:135] op_sel:[0,1]
	v_pk_fma_f32 v[148:149], v[142:143], v[132:133], v[146:147] op_sel:[0,0,1] op_sel_hi:[1,1,0] neg_lo:[0,0,1] neg_hi:[0,0,1]
	v_pk_fma_f32 v[142:143], v[142:143], v[132:133], v[146:147] op_sel:[0,0,1] op_sel_hi:[1,0,0]
	v_dual_mul_f32 v146, v145, v135 :: v_dual_mov_b32 v142, v145
	s_delay_alu instid0(VALU_DEP_2) | instskip(NEXT) | instid1(VALU_DEP_2)
	v_dual_mov_b32 v149, v143 :: v_dual_mov_b32 v143, v144
	v_pk_fma_f32 v[146:147], v[144:145], v[46:47], v[146:147] op_sel_hi:[1,1,0] neg_lo:[0,0,1] neg_hi:[0,0,1]
	v_mul_f32_e32 v144, v145, v132
	s_delay_alu instid0(VALU_DEP_3) | instskip(NEXT) | instid1(VALU_DEP_2)
	v_pk_add_f32 v[14:15], v[14:15], v[148:149] neg_lo:[0,1] neg_hi:[0,1]
	v_pk_fma_f32 v[142:143], v[142:143], v[46:47], v[144:145] op_sel_hi:[1,1,0]
	s_delay_alu instid0(VALU_DEP_1) | instskip(SKIP_4) | instid1(VALU_DEP_1)
	v_mov_b32_e32 v147, v143
	ds_load_b64 v[142:143], v136 offset:496
	v_pk_add_f32 v[12:13], v[12:13], v[146:147] neg_lo:[0,1] neg_hi:[0,1]
	s_wait_dscnt 0x0
	v_pk_mul_f32 v[134:135], v[142:143], v[134:135] op_sel:[0,1]
	v_pk_fma_f32 v[144:145], v[142:143], v[132:133], v[134:135] op_sel:[0,0,1] op_sel_hi:[1,1,0] neg_lo:[0,0,1] neg_hi:[0,0,1]
	v_pk_fma_f32 v[132:133], v[142:143], v[132:133], v[134:135] op_sel:[0,0,1] op_sel_hi:[1,0,0]
	s_delay_alu instid0(VALU_DEP_1) | instskip(NEXT) | instid1(VALU_DEP_1)
	v_mov_b32_e32 v145, v133
	v_pk_add_f32 v[130:131], v[130:131], v[144:145] neg_lo:[0,1] neg_hi:[0,1]
.LBB124_587:
	s_or_b32 exec_lo, exec_lo, s0
	v_lshl_add_u32 v132, v140, 3, v136
	s_barrier_signal -1
	s_barrier_wait -1
	ds_store_b64 v132, v[96:97]
	s_wait_dscnt 0x0
	s_barrier_signal -1
	s_barrier_wait -1
	ds_load_b64 v[134:135], v136 offset:224
	v_mov_b32_e32 v132, 28
	s_cmp_lt_i32 s18, 30
	s_cbranch_scc1 .LBB124_590
; %bb.588:
	v_add3_u32 v133, v137, 0, 0xe8
	v_mov_b32_e32 v132, 28
	s_mov_b32 s0, 29
.LBB124_589:                            ; =>This Inner Loop Header: Depth=1
	ds_load_b64 v[142:143], v133
	s_wait_dscnt 0x1
	v_cmp_gt_f32_e32 vcc_lo, 0, v134
	v_cndmask_b32_e64 v144, v134, -v134, vcc_lo
	v_cmp_gt_f32_e32 vcc_lo, 0, v135
	v_cndmask_b32_e64 v146, v135, -v135, vcc_lo
	s_wait_dscnt 0x0
	v_cmp_gt_f32_e32 vcc_lo, 0, v142
	v_cndmask_b32_e64 v145, v142, -v142, vcc_lo
	v_cmp_gt_f32_e32 vcc_lo, 0, v143
	v_cndmask_b32_e64 v147, v143, -v143, vcc_lo
	s_delay_alu instid0(VALU_DEP_1) | instskip(NEXT) | instid1(VALU_DEP_1)
	v_pk_add_f32 v[144:145], v[144:145], v[146:147]
	v_cmp_lt_f32_e32 vcc_lo, v144, v145
	v_dual_add_nc_u32 v133, 8, v133 :: v_dual_cndmask_b32 v135, v135, v143, vcc_lo
	v_cndmask_b32_e32 v134, v134, v142, vcc_lo
	v_cndmask_b32_e64 v132, v132, s0, vcc_lo
	s_add_co_i32 s0, s0, 1
	s_delay_alu instid0(SALU_CYCLE_1)
	s_cmp_lg_u32 s18, s0
	s_cbranch_scc1 .LBB124_589
.LBB124_590:
	s_wait_dscnt 0x0
	v_cmp_eq_f32_e32 vcc_lo, 0, v134
	v_cmp_eq_f32_e64 s0, 0, v135
	s_and_b32 s0, vcc_lo, s0
	s_delay_alu instid0(SALU_CYCLE_1) | instskip(NEXT) | instid1(SALU_CYCLE_1)
	s_and_saveexec_b32 s1, s0
	s_xor_b32 s0, exec_lo, s1
; %bb.591:
	v_cmp_ne_u32_e32 vcc_lo, 0, v138
	v_cndmask_b32_e32 v138, 29, v138, vcc_lo
; %bb.592:
	s_and_not1_saveexec_b32 s0, s0
	s_cbranch_execz .LBB124_598
; %bb.593:
	v_cmp_ngt_f32_e64 s1, |v134|, |v135|
	s_and_saveexec_b32 s12, s1
	s_delay_alu instid0(SALU_CYCLE_1)
	s_xor_b32 s1, exec_lo, s12
	s_cbranch_execz .LBB124_595
; %bb.594:
	v_div_scale_f32 v133, null, v135, v135, v134
	v_div_scale_f32 v143, vcc_lo, v134, v135, v134
	s_delay_alu instid0(VALU_DEP_2) | instskip(SKIP_1) | instid1(TRANS32_DEP_1)
	v_rcp_f32_e32 v141, v133
	v_nop
	v_fma_f32 v142, -v133, v141, 1.0
	s_delay_alu instid0(VALU_DEP_1) | instskip(NEXT) | instid1(VALU_DEP_1)
	v_fmac_f32_e32 v141, v142, v141
	v_mul_f32_e32 v142, v143, v141
	s_delay_alu instid0(VALU_DEP_1) | instskip(NEXT) | instid1(VALU_DEP_1)
	v_fma_f32 v144, -v133, v142, v143
	v_fmac_f32_e32 v142, v144, v141
	s_delay_alu instid0(VALU_DEP_1) | instskip(NEXT) | instid1(VALU_DEP_1)
	v_fma_f32 v133, -v133, v142, v143
	v_div_fmas_f32 v133, v133, v141, v142
	s_delay_alu instid0(VALU_DEP_1) | instskip(NEXT) | instid1(VALU_DEP_1)
	v_div_fixup_f32 v133, v133, v135, v134
	v_fmac_f32_e32 v135, v134, v133
	s_delay_alu instid0(VALU_DEP_1) | instskip(SKIP_1) | instid1(VALU_DEP_2)
	v_div_scale_f32 v134, null, v135, v135, 1.0
	v_div_scale_f32 v143, vcc_lo, 1.0, v135, 1.0
	v_rcp_f32_e32 v141, v134
	v_nop
	s_delay_alu instid0(TRANS32_DEP_1) | instskip(NEXT) | instid1(VALU_DEP_1)
	v_fma_f32 v142, -v134, v141, 1.0
	v_fmac_f32_e32 v141, v142, v141
	s_delay_alu instid0(VALU_DEP_1) | instskip(NEXT) | instid1(VALU_DEP_1)
	v_mul_f32_e32 v142, v143, v141
	v_fma_f32 v144, -v134, v142, v143
	s_delay_alu instid0(VALU_DEP_1) | instskip(NEXT) | instid1(VALU_DEP_1)
	v_fmac_f32_e32 v142, v144, v141
	v_fma_f32 v134, -v134, v142, v143
	s_delay_alu instid0(VALU_DEP_1) | instskip(NEXT) | instid1(VALU_DEP_1)
	v_div_fmas_f32 v134, v134, v141, v142
	v_div_fixup_f32 v135, v134, v135, 1.0
	s_delay_alu instid0(VALU_DEP_1)
	v_mul_f32_e32 v134, v133, v135
	v_xor_b32_e32 v135, 0x80000000, v135
.LBB124_595:
	s_and_not1_saveexec_b32 s1, s1
	s_cbranch_execz .LBB124_597
; %bb.596:
	s_delay_alu instid0(VALU_DEP_1) | instskip(SKIP_1) | instid1(VALU_DEP_2)
	v_div_scale_f32 v133, null, v134, v134, v135
	v_div_scale_f32 v143, vcc_lo, v135, v134, v135
	v_rcp_f32_e32 v141, v133
	v_nop
	s_delay_alu instid0(TRANS32_DEP_1) | instskip(NEXT) | instid1(VALU_DEP_1)
	v_fma_f32 v142, -v133, v141, 1.0
	v_fmac_f32_e32 v141, v142, v141
	s_delay_alu instid0(VALU_DEP_1) | instskip(NEXT) | instid1(VALU_DEP_1)
	v_mul_f32_e32 v142, v143, v141
	v_fma_f32 v144, -v133, v142, v143
	s_delay_alu instid0(VALU_DEP_1) | instskip(NEXT) | instid1(VALU_DEP_1)
	v_fmac_f32_e32 v142, v144, v141
	v_fma_f32 v133, -v133, v142, v143
	s_delay_alu instid0(VALU_DEP_1) | instskip(NEXT) | instid1(VALU_DEP_1)
	v_div_fmas_f32 v133, v133, v141, v142
	v_div_fixup_f32 v133, v133, v134, v135
	s_delay_alu instid0(VALU_DEP_1) | instskip(NEXT) | instid1(VALU_DEP_1)
	v_fmac_f32_e32 v134, v135, v133
	v_div_scale_f32 v135, null, v134, v134, 1.0
	s_delay_alu instid0(VALU_DEP_1) | instskip(SKIP_1) | instid1(TRANS32_DEP_1)
	v_rcp_f32_e32 v141, v135
	v_nop
	v_fma_f32 v142, -v135, v141, 1.0
	s_delay_alu instid0(VALU_DEP_1) | instskip(SKIP_1) | instid1(VALU_DEP_1)
	v_fmac_f32_e32 v141, v142, v141
	v_div_scale_f32 v142, vcc_lo, 1.0, v134, 1.0
	v_mul_f32_e32 v143, v142, v141
	s_delay_alu instid0(VALU_DEP_1) | instskip(NEXT) | instid1(VALU_DEP_1)
	v_fma_f32 v144, -v135, v143, v142
	v_fmac_f32_e32 v143, v144, v141
	s_delay_alu instid0(VALU_DEP_1) | instskip(NEXT) | instid1(VALU_DEP_1)
	v_fma_f32 v135, -v135, v143, v142
	v_div_fmas_f32 v135, v135, v141, v143
	s_delay_alu instid0(VALU_DEP_1) | instskip(NEXT) | instid1(VALU_DEP_1)
	v_div_fixup_f32 v134, v135, v134, 1.0
	v_mul_f32_e64 v135, v133, -v134
.LBB124_597:
	s_or_b32 exec_lo, exec_lo, s1
.LBB124_598:
	s_delay_alu instid0(SALU_CYCLE_1) | instskip(NEXT) | instid1(SALU_CYCLE_1)
	s_or_b32 exec_lo, exec_lo, s0
	s_mov_b32 s0, exec_lo
	v_cmpx_ne_u32_e64 v140, v132
	s_xor_b32 s0, exec_lo, s0
	s_cbranch_execz .LBB124_604
; %bb.599:
	s_mov_b32 s1, exec_lo
	v_cmpx_eq_u32_e32 28, v140
	s_cbranch_execz .LBB124_603
; %bb.600:
	v_cmp_ne_u32_e32 vcc_lo, 28, v132
	s_xor_b32 s12, s16, -1
	s_delay_alu instid0(SALU_CYCLE_1) | instskip(NEXT) | instid1(SALU_CYCLE_1)
	s_and_b32 s13, s12, vcc_lo
	s_and_saveexec_b32 s12, s13
	s_cbranch_execz .LBB124_602
; %bb.601:
	v_ashrrev_i32_e32 v133, 31, v132
	s_delay_alu instid0(VALU_DEP_1)
	v_lshl_add_u64 v[140:141], v[132:133], 2, v[4:5]
	s_clause 0x1
	global_load_b32 v133, v[140:141], off
	global_load_b32 v139, v[4:5], off offset:112
	s_wait_loadcnt 0x1
	global_store_b32 v[4:5], v133, off offset:112
	s_wait_loadcnt 0x0
	global_store_b32 v[140:141], v139, off
.LBB124_602:
	s_wait_xcnt 0x0
	s_or_b32 exec_lo, exec_lo, s12
	v_dual_mov_b32 v140, v132 :: v_dual_mov_b32 v139, v132
.LBB124_603:
	s_or_b32 exec_lo, exec_lo, s1
.LBB124_604:
	s_and_not1_saveexec_b32 s0, s0
	s_cbranch_execz .LBB124_606
; %bb.605:
	v_mov_b32_e32 v140, 28
	ds_store_2addr_b64 v136, v[94:95], v[44:45] offset0:29 offset1:30
	ds_store_2addr_b64 v136, v[42:43], v[92:93] offset0:31 offset1:32
	;; [unrolled: 1-line block ×17, first 2 shown]
.LBB124_606:
	s_or_b32 exec_lo, exec_lo, s0
	s_delay_alu instid0(SALU_CYCLE_1)
	s_mov_b32 s0, exec_lo
	s_wait_storecnt_dscnt 0x0
	s_barrier_signal -1
	s_barrier_wait -1
	v_cmpx_lt_i32_e32 28, v140
	s_cbranch_execz .LBB124_608
; %bb.607:
	v_pk_mul_f32 v[142:143], v[134:135], v[96:97] op_sel:[1,1] op_sel_hi:[0,1]
	s_delay_alu instid0(VALU_DEP_1)
	v_pk_fma_f32 v[132:133], v[134:135], v[96:97], v[142:143] op_sel_hi:[1,0,1] neg_lo:[0,0,1] neg_hi:[0,0,1]
	v_pk_fma_f32 v[134:135], v[134:135], v[96:97], v[142:143] op_sel_hi:[1,0,1]
	ds_load_2addr_b64 v[142:145], v136 offset0:29 offset1:30
	v_dual_mov_b32 v96, v132 :: v_dual_mov_b32 v97, v135
	s_wait_dscnt 0x0
	v_pk_mul_f32 v[146:147], v[142:143], v[134:135] op_sel:[0,1]
	s_delay_alu instid0(VALU_DEP_1) | instskip(SKIP_1) | instid1(VALU_DEP_1)
	v_pk_fma_f32 v[148:149], v[142:143], v[132:133], v[146:147] op_sel:[0,0,1] op_sel_hi:[1,1,0] neg_lo:[0,0,1] neg_hi:[0,0,1]
	v_pk_fma_f32 v[142:143], v[142:143], v[132:133], v[146:147] op_sel:[0,0,1] op_sel_hi:[1,0,0]
	v_mov_b32_e32 v149, v143
	v_pk_mul_f32 v[142:143], v[144:145], v[134:135] op_sel:[0,1]
	s_delay_alu instid0(VALU_DEP_1) | instskip(SKIP_1) | instid1(VALU_DEP_1)
	v_pk_fma_f32 v[146:147], v[144:145], v[132:133], v[142:143] op_sel:[0,0,1] op_sel_hi:[1,1,0] neg_lo:[0,0,1] neg_hi:[0,0,1]
	v_pk_fma_f32 v[142:143], v[144:145], v[132:133], v[142:143] op_sel:[0,0,1] op_sel_hi:[1,0,0]
	v_mov_b32_e32 v147, v143
	ds_load_2addr_b64 v[142:145], v136 offset0:31 offset1:32
	v_pk_add_f32 v[94:95], v[94:95], v[148:149] neg_lo:[0,1] neg_hi:[0,1]
	v_pk_add_f32 v[44:45], v[44:45], v[146:147] neg_lo:[0,1] neg_hi:[0,1]
	s_wait_dscnt 0x0
	v_pk_mul_f32 v[146:147], v[142:143], v[134:135] op_sel:[0,1]
	s_delay_alu instid0(VALU_DEP_1) | instskip(SKIP_2) | instid1(VALU_DEP_2)
	v_pk_fma_f32 v[148:149], v[142:143], v[132:133], v[146:147] op_sel:[0,0,1] op_sel_hi:[1,1,0] neg_lo:[0,0,1] neg_hi:[0,0,1]
	v_pk_fma_f32 v[142:143], v[142:143], v[132:133], v[146:147] op_sel:[0,0,1] op_sel_hi:[1,0,0]
	v_dual_mul_f32 v146, v145, v135 :: v_dual_mov_b32 v142, v145
	v_dual_mov_b32 v149, v143 :: v_dual_mov_b32 v143, v144
	s_delay_alu instid0(VALU_DEP_2) | instskip(SKIP_1) | instid1(VALU_DEP_3)
	v_pk_fma_f32 v[146:147], v[144:145], v[96:97], v[146:147] op_sel_hi:[1,1,0] neg_lo:[0,0,1] neg_hi:[0,0,1]
	v_mul_f32_e32 v144, v145, v132
	v_pk_add_f32 v[42:43], v[42:43], v[148:149] neg_lo:[0,1] neg_hi:[0,1]
	s_delay_alu instid0(VALU_DEP_2) | instskip(NEXT) | instid1(VALU_DEP_1)
	v_pk_fma_f32 v[142:143], v[142:143], v[96:97], v[144:145] op_sel_hi:[1,1,0]
	v_mov_b32_e32 v147, v143
	ds_load_2addr_b64 v[142:145], v136 offset0:33 offset1:34
	v_pk_add_f32 v[92:93], v[92:93], v[146:147] neg_lo:[0,1] neg_hi:[0,1]
	s_wait_dscnt 0x0
	v_pk_mul_f32 v[146:147], v[142:143], v[134:135] op_sel:[0,1]
	s_delay_alu instid0(VALU_DEP_1) | instskip(SKIP_1) | instid1(VALU_DEP_1)
	v_pk_fma_f32 v[148:149], v[142:143], v[132:133], v[146:147] op_sel:[0,0,1] op_sel_hi:[1,1,0] neg_lo:[0,0,1] neg_hi:[0,0,1]
	v_pk_fma_f32 v[142:143], v[142:143], v[132:133], v[146:147] op_sel:[0,0,1] op_sel_hi:[1,0,0]
	v_mov_b32_e32 v149, v143
	v_pk_mul_f32 v[142:143], v[144:145], v[134:135] op_sel:[0,1]
	s_delay_alu instid0(VALU_DEP_1) | instskip(SKIP_1) | instid1(VALU_DEP_1)
	v_pk_fma_f32 v[146:147], v[144:145], v[132:133], v[142:143] op_sel:[0,0,1] op_sel_hi:[1,1,0] neg_lo:[0,0,1] neg_hi:[0,0,1]
	v_pk_fma_f32 v[142:143], v[144:145], v[132:133], v[142:143] op_sel:[0,0,1] op_sel_hi:[1,0,0]
	v_mov_b32_e32 v147, v143
	ds_load_2addr_b64 v[142:145], v136 offset0:35 offset1:36
	v_pk_add_f32 v[90:91], v[90:91], v[148:149] neg_lo:[0,1] neg_hi:[0,1]
	v_pk_add_f32 v[40:41], v[40:41], v[146:147] neg_lo:[0,1] neg_hi:[0,1]
	s_wait_dscnt 0x0
	v_pk_mul_f32 v[146:147], v[142:143], v[134:135] op_sel:[0,1]
	s_delay_alu instid0(VALU_DEP_1) | instskip(SKIP_1) | instid1(VALU_DEP_1)
	v_pk_fma_f32 v[148:149], v[142:143], v[132:133], v[146:147] op_sel:[0,0,1] op_sel_hi:[1,1,0] neg_lo:[0,0,1] neg_hi:[0,0,1]
	v_pk_fma_f32 v[142:143], v[142:143], v[132:133], v[146:147] op_sel:[0,0,1] op_sel_hi:[1,0,0]
	v_mov_b32_e32 v149, v143
	v_pk_mul_f32 v[142:143], v[144:145], v[134:135] op_sel:[0,1]
	s_delay_alu instid0(VALU_DEP_1) | instskip(SKIP_1) | instid1(VALU_DEP_1)
	v_pk_fma_f32 v[146:147], v[144:145], v[132:133], v[142:143] op_sel:[0,0,1] op_sel_hi:[1,1,0] neg_lo:[0,0,1] neg_hi:[0,0,1]
	v_pk_fma_f32 v[142:143], v[144:145], v[132:133], v[142:143] op_sel:[0,0,1] op_sel_hi:[1,0,0]
	v_mov_b32_e32 v147, v143
	ds_load_2addr_b64 v[142:145], v136 offset0:37 offset1:38
	v_pk_add_f32 v[38:39], v[38:39], v[148:149] neg_lo:[0,1] neg_hi:[0,1]
	v_pk_add_f32 v[88:89], v[88:89], v[146:147] neg_lo:[0,1] neg_hi:[0,1]
	s_wait_dscnt 0x0
	v_dual_mul_f32 v146, v143, v135 :: v_dual_mul_f32 v148, v143, v132
	s_delay_alu instid0(VALU_DEP_1) | instskip(NEXT) | instid1(VALU_DEP_2)
	v_pk_fma_f32 v[146:147], v[142:143], v[96:97], v[146:147] op_sel_hi:[1,1,0] neg_lo:[0,0,1] neg_hi:[0,0,1]
	v_pk_fma_f32 v[142:143], v[142:143], v[96:97], v[148:149] op_sel:[1,0,0] op_sel_hi:[0,1,0]
	s_delay_alu instid0(VALU_DEP_1) | instskip(SKIP_1) | instid1(VALU_DEP_2)
	v_mov_b32_e32 v147, v143
	v_pk_mul_f32 v[142:143], v[144:145], v[134:135] op_sel:[0,1]
	v_pk_add_f32 v[86:87], v[86:87], v[146:147] neg_lo:[0,1] neg_hi:[0,1]
	s_delay_alu instid0(VALU_DEP_2) | instskip(SKIP_1) | instid1(VALU_DEP_1)
	v_pk_fma_f32 v[146:147], v[144:145], v[132:133], v[142:143] op_sel:[0,0,1] op_sel_hi:[1,1,0] neg_lo:[0,0,1] neg_hi:[0,0,1]
	v_pk_fma_f32 v[142:143], v[144:145], v[132:133], v[142:143] op_sel:[0,0,1] op_sel_hi:[1,0,0]
	v_mov_b32_e32 v147, v143
	ds_load_2addr_b64 v[142:145], v136 offset0:39 offset1:40
	v_pk_add_f32 v[36:37], v[36:37], v[146:147] neg_lo:[0,1] neg_hi:[0,1]
	s_wait_dscnt 0x0
	v_pk_mul_f32 v[146:147], v[142:143], v[134:135] op_sel:[0,1]
	s_delay_alu instid0(VALU_DEP_1) | instskip(SKIP_1) | instid1(VALU_DEP_1)
	v_pk_fma_f32 v[148:149], v[142:143], v[132:133], v[146:147] op_sel:[0,0,1] op_sel_hi:[1,1,0] neg_lo:[0,0,1] neg_hi:[0,0,1]
	v_pk_fma_f32 v[142:143], v[142:143], v[132:133], v[146:147] op_sel:[0,0,1] op_sel_hi:[1,0,0]
	v_mov_b32_e32 v149, v143
	v_pk_mul_f32 v[142:143], v[144:145], v[134:135] op_sel:[0,1]
	s_delay_alu instid0(VALU_DEP_2) | instskip(NEXT) | instid1(VALU_DEP_2)
	v_pk_add_f32 v[32:33], v[32:33], v[148:149] neg_lo:[0,1] neg_hi:[0,1]
	v_pk_fma_f32 v[146:147], v[144:145], v[132:133], v[142:143] op_sel:[0,0,1] op_sel_hi:[1,1,0] neg_lo:[0,0,1] neg_hi:[0,0,1]
	v_pk_fma_f32 v[142:143], v[144:145], v[132:133], v[142:143] op_sel:[0,0,1] op_sel_hi:[1,0,0]
	s_delay_alu instid0(VALU_DEP_1) | instskip(SKIP_4) | instid1(VALU_DEP_1)
	v_mov_b32_e32 v147, v143
	ds_load_2addr_b64 v[142:145], v136 offset0:41 offset1:42
	v_pk_add_f32 v[84:85], v[84:85], v[146:147] neg_lo:[0,1] neg_hi:[0,1]
	s_wait_dscnt 0x0
	v_pk_mul_f32 v[146:147], v[142:143], v[134:135] op_sel:[0,1]
	v_pk_fma_f32 v[148:149], v[142:143], v[132:133], v[146:147] op_sel:[0,0,1] op_sel_hi:[1,1,0] neg_lo:[0,0,1] neg_hi:[0,0,1]
	v_pk_fma_f32 v[142:143], v[142:143], v[132:133], v[146:147] op_sel:[0,0,1] op_sel_hi:[1,0,0]
	v_dual_mul_f32 v146, v145, v135 :: v_dual_mov_b32 v142, v145
	s_delay_alu instid0(VALU_DEP_2) | instskip(NEXT) | instid1(VALU_DEP_2)
	v_dual_mov_b32 v149, v143 :: v_dual_mov_b32 v143, v144
	v_pk_fma_f32 v[146:147], v[144:145], v[96:97], v[146:147] op_sel_hi:[1,1,0] neg_lo:[0,0,1] neg_hi:[0,0,1]
	v_mul_f32_e32 v144, v145, v132
	s_delay_alu instid0(VALU_DEP_3) | instskip(NEXT) | instid1(VALU_DEP_2)
	v_pk_add_f32 v[82:83], v[82:83], v[148:149] neg_lo:[0,1] neg_hi:[0,1]
	v_pk_fma_f32 v[142:143], v[142:143], v[96:97], v[144:145] op_sel_hi:[1,1,0]
	s_delay_alu instid0(VALU_DEP_1) | instskip(SKIP_4) | instid1(VALU_DEP_1)
	v_mov_b32_e32 v147, v143
	ds_load_2addr_b64 v[142:145], v136 offset0:43 offset1:44
	v_pk_add_f32 v[24:25], v[24:25], v[146:147] neg_lo:[0,1] neg_hi:[0,1]
	s_wait_dscnt 0x0
	v_pk_mul_f32 v[146:147], v[142:143], v[134:135] op_sel:[0,1]
	v_pk_fma_f32 v[148:149], v[142:143], v[132:133], v[146:147] op_sel:[0,0,1] op_sel_hi:[1,1,0] neg_lo:[0,0,1] neg_hi:[0,0,1]
	v_pk_fma_f32 v[142:143], v[142:143], v[132:133], v[146:147] op_sel:[0,0,1] op_sel_hi:[1,0,0]
	s_delay_alu instid0(VALU_DEP_1) | instskip(SKIP_1) | instid1(VALU_DEP_1)
	v_mov_b32_e32 v149, v143
	v_pk_mul_f32 v[142:143], v[144:145], v[134:135] op_sel:[0,1]
	v_pk_fma_f32 v[146:147], v[144:145], v[132:133], v[142:143] op_sel:[0,0,1] op_sel_hi:[1,1,0] neg_lo:[0,0,1] neg_hi:[0,0,1]
	v_pk_fma_f32 v[142:143], v[144:145], v[132:133], v[142:143] op_sel:[0,0,1] op_sel_hi:[1,0,0]
	s_delay_alu instid0(VALU_DEP_1)
	v_mov_b32_e32 v147, v143
	ds_load_2addr_b64 v[142:145], v136 offset0:45 offset1:46
	v_pk_add_f32 v[22:23], v[22:23], v[148:149] neg_lo:[0,1] neg_hi:[0,1]
	v_pk_add_f32 v[80:81], v[80:81], v[146:147] neg_lo:[0,1] neg_hi:[0,1]
	s_wait_dscnt 0x0
	v_pk_mul_f32 v[146:147], v[142:143], v[134:135] op_sel:[0,1]
	s_delay_alu instid0(VALU_DEP_1) | instskip(SKIP_1) | instid1(VALU_DEP_1)
	v_pk_fma_f32 v[148:149], v[142:143], v[132:133], v[146:147] op_sel:[0,0,1] op_sel_hi:[1,1,0] neg_lo:[0,0,1] neg_hi:[0,0,1]
	v_pk_fma_f32 v[142:143], v[142:143], v[132:133], v[146:147] op_sel:[0,0,1] op_sel_hi:[1,0,0]
	v_mov_b32_e32 v149, v143
	v_pk_mul_f32 v[142:143], v[144:145], v[134:135] op_sel:[0,1]
	s_delay_alu instid0(VALU_DEP_1) | instskip(SKIP_1) | instid1(VALU_DEP_1)
	v_pk_fma_f32 v[146:147], v[144:145], v[132:133], v[142:143] op_sel:[0,0,1] op_sel_hi:[1,1,0] neg_lo:[0,0,1] neg_hi:[0,0,1]
	v_pk_fma_f32 v[142:143], v[144:145], v[132:133], v[142:143] op_sel:[0,0,1] op_sel_hi:[1,0,0]
	v_mov_b32_e32 v147, v143
	ds_load_2addr_b64 v[142:145], v136 offset0:47 offset1:48
	v_pk_add_f32 v[78:79], v[78:79], v[148:149] neg_lo:[0,1] neg_hi:[0,1]
	v_pk_add_f32 v[20:21], v[20:21], v[146:147] neg_lo:[0,1] neg_hi:[0,1]
	s_wait_dscnt 0x0
	v_dual_mul_f32 v146, v143, v135 :: v_dual_mul_f32 v148, v143, v132
	s_delay_alu instid0(VALU_DEP_1) | instskip(NEXT) | instid1(VALU_DEP_2)
	v_pk_fma_f32 v[146:147], v[142:143], v[96:97], v[146:147] op_sel_hi:[1,1,0] neg_lo:[0,0,1] neg_hi:[0,0,1]
	v_pk_fma_f32 v[142:143], v[142:143], v[96:97], v[148:149] op_sel:[1,0,0] op_sel_hi:[0,1,0]
	s_delay_alu instid0(VALU_DEP_1) | instskip(SKIP_1) | instid1(VALU_DEP_2)
	v_mov_b32_e32 v147, v143
	v_pk_mul_f32 v[142:143], v[144:145], v[134:135] op_sel:[0,1]
	v_pk_add_f32 v[18:19], v[18:19], v[146:147] neg_lo:[0,1] neg_hi:[0,1]
	s_delay_alu instid0(VALU_DEP_2) | instskip(SKIP_1) | instid1(VALU_DEP_1)
	v_pk_fma_f32 v[146:147], v[144:145], v[132:133], v[142:143] op_sel:[0,0,1] op_sel_hi:[1,1,0] neg_lo:[0,0,1] neg_hi:[0,0,1]
	v_pk_fma_f32 v[142:143], v[144:145], v[132:133], v[142:143] op_sel:[0,0,1] op_sel_hi:[1,0,0]
	v_mov_b32_e32 v147, v143
	ds_load_2addr_b64 v[142:145], v136 offset0:49 offset1:50
	v_pk_add_f32 v[76:77], v[76:77], v[146:147] neg_lo:[0,1] neg_hi:[0,1]
	s_wait_dscnt 0x0
	v_pk_mul_f32 v[146:147], v[142:143], v[134:135] op_sel:[0,1]
	s_delay_alu instid0(VALU_DEP_1) | instskip(SKIP_1) | instid1(VALU_DEP_1)
	v_pk_fma_f32 v[148:149], v[142:143], v[132:133], v[146:147] op_sel:[0,0,1] op_sel_hi:[1,1,0] neg_lo:[0,0,1] neg_hi:[0,0,1]
	v_pk_fma_f32 v[142:143], v[142:143], v[132:133], v[146:147] op_sel:[0,0,1] op_sel_hi:[1,0,0]
	v_mov_b32_e32 v149, v143
	v_pk_mul_f32 v[142:143], v[144:145], v[134:135] op_sel:[0,1]
	s_delay_alu instid0(VALU_DEP_2) | instskip(NEXT) | instid1(VALU_DEP_2)
	v_pk_add_f32 v[74:75], v[74:75], v[148:149] neg_lo:[0,1] neg_hi:[0,1]
	v_pk_fma_f32 v[146:147], v[144:145], v[132:133], v[142:143] op_sel:[0,0,1] op_sel_hi:[1,1,0] neg_lo:[0,0,1] neg_hi:[0,0,1]
	v_pk_fma_f32 v[142:143], v[144:145], v[132:133], v[142:143] op_sel:[0,0,1] op_sel_hi:[1,0,0]
	s_delay_alu instid0(VALU_DEP_1) | instskip(SKIP_4) | instid1(VALU_DEP_1)
	v_mov_b32_e32 v147, v143
	ds_load_2addr_b64 v[142:145], v136 offset0:51 offset1:52
	v_pk_add_f32 v[16:17], v[16:17], v[146:147] neg_lo:[0,1] neg_hi:[0,1]
	s_wait_dscnt 0x0
	v_pk_mul_f32 v[146:147], v[142:143], v[134:135] op_sel:[0,1]
	v_pk_fma_f32 v[148:149], v[142:143], v[132:133], v[146:147] op_sel:[0,0,1] op_sel_hi:[1,1,0] neg_lo:[0,0,1] neg_hi:[0,0,1]
	v_pk_fma_f32 v[142:143], v[142:143], v[132:133], v[146:147] op_sel:[0,0,1] op_sel_hi:[1,0,0]
	v_dual_mul_f32 v146, v145, v135 :: v_dual_mov_b32 v142, v145
	s_delay_alu instid0(VALU_DEP_2) | instskip(NEXT) | instid1(VALU_DEP_2)
	v_dual_mov_b32 v149, v143 :: v_dual_mov_b32 v143, v144
	v_pk_fma_f32 v[146:147], v[144:145], v[96:97], v[146:147] op_sel_hi:[1,1,0] neg_lo:[0,0,1] neg_hi:[0,0,1]
	v_mul_f32_e32 v144, v145, v132
	s_delay_alu instid0(VALU_DEP_3) | instskip(NEXT) | instid1(VALU_DEP_2)
	v_pk_add_f32 v[28:29], v[28:29], v[148:149] neg_lo:[0,1] neg_hi:[0,1]
	v_pk_fma_f32 v[142:143], v[142:143], v[96:97], v[144:145] op_sel_hi:[1,1,0]
	s_delay_alu instid0(VALU_DEP_1) | instskip(SKIP_4) | instid1(VALU_DEP_1)
	v_mov_b32_e32 v147, v143
	ds_load_2addr_b64 v[142:145], v136 offset0:53 offset1:54
	v_pk_add_f32 v[68:69], v[68:69], v[146:147] neg_lo:[0,1] neg_hi:[0,1]
	s_wait_dscnt 0x0
	v_pk_mul_f32 v[146:147], v[142:143], v[134:135] op_sel:[0,1]
	v_pk_fma_f32 v[148:149], v[142:143], v[132:133], v[146:147] op_sel:[0,0,1] op_sel_hi:[1,1,0] neg_lo:[0,0,1] neg_hi:[0,0,1]
	v_pk_fma_f32 v[142:143], v[142:143], v[132:133], v[146:147] op_sel:[0,0,1] op_sel_hi:[1,0,0]
	s_delay_alu instid0(VALU_DEP_1) | instskip(SKIP_1) | instid1(VALU_DEP_1)
	v_mov_b32_e32 v149, v143
	v_pk_mul_f32 v[142:143], v[144:145], v[134:135] op_sel:[0,1]
	v_pk_fma_f32 v[146:147], v[144:145], v[132:133], v[142:143] op_sel:[0,0,1] op_sel_hi:[1,1,0] neg_lo:[0,0,1] neg_hi:[0,0,1]
	v_pk_fma_f32 v[142:143], v[144:145], v[132:133], v[142:143] op_sel:[0,0,1] op_sel_hi:[1,0,0]
	s_delay_alu instid0(VALU_DEP_1)
	v_mov_b32_e32 v147, v143
	ds_load_2addr_b64 v[142:145], v136 offset0:55 offset1:56
	v_pk_add_f32 v[66:67], v[66:67], v[148:149] neg_lo:[0,1] neg_hi:[0,1]
	v_pk_add_f32 v[10:11], v[10:11], v[146:147] neg_lo:[0,1] neg_hi:[0,1]
	s_wait_dscnt 0x0
	v_pk_mul_f32 v[146:147], v[142:143], v[134:135] op_sel:[0,1]
	s_delay_alu instid0(VALU_DEP_1) | instskip(SKIP_1) | instid1(VALU_DEP_1)
	v_pk_fma_f32 v[148:149], v[142:143], v[132:133], v[146:147] op_sel:[0,0,1] op_sel_hi:[1,1,0] neg_lo:[0,0,1] neg_hi:[0,0,1]
	v_pk_fma_f32 v[142:143], v[142:143], v[132:133], v[146:147] op_sel:[0,0,1] op_sel_hi:[1,0,0]
	v_mov_b32_e32 v149, v143
	v_pk_mul_f32 v[142:143], v[144:145], v[134:135] op_sel:[0,1]
	s_delay_alu instid0(VALU_DEP_1) | instskip(SKIP_1) | instid1(VALU_DEP_1)
	v_pk_fma_f32 v[146:147], v[144:145], v[132:133], v[142:143] op_sel:[0,0,1] op_sel_hi:[1,1,0] neg_lo:[0,0,1] neg_hi:[0,0,1]
	v_pk_fma_f32 v[142:143], v[144:145], v[132:133], v[142:143] op_sel:[0,0,1] op_sel_hi:[1,0,0]
	v_mov_b32_e32 v147, v143
	ds_load_2addr_b64 v[142:145], v136 offset0:57 offset1:58
	v_pk_add_f32 v[8:9], v[8:9], v[148:149] neg_lo:[0,1] neg_hi:[0,1]
	v_pk_add_f32 v[34:35], v[34:35], v[146:147] neg_lo:[0,1] neg_hi:[0,1]
	s_wait_dscnt 0x0
	v_dual_mul_f32 v146, v143, v135 :: v_dual_mul_f32 v148, v143, v132
	s_delay_alu instid0(VALU_DEP_1) | instskip(NEXT) | instid1(VALU_DEP_2)
	v_pk_fma_f32 v[146:147], v[142:143], v[96:97], v[146:147] op_sel_hi:[1,1,0] neg_lo:[0,0,1] neg_hi:[0,0,1]
	v_pk_fma_f32 v[142:143], v[142:143], v[96:97], v[148:149] op_sel:[1,0,0] op_sel_hi:[0,1,0]
	s_delay_alu instid0(VALU_DEP_1) | instskip(SKIP_1) | instid1(VALU_DEP_2)
	v_mov_b32_e32 v147, v143
	v_pk_mul_f32 v[142:143], v[144:145], v[134:135] op_sel:[0,1]
	v_pk_add_f32 v[30:31], v[30:31], v[146:147] neg_lo:[0,1] neg_hi:[0,1]
	s_delay_alu instid0(VALU_DEP_2) | instskip(SKIP_1) | instid1(VALU_DEP_1)
	v_pk_fma_f32 v[146:147], v[144:145], v[132:133], v[142:143] op_sel:[0,0,1] op_sel_hi:[1,1,0] neg_lo:[0,0,1] neg_hi:[0,0,1]
	v_pk_fma_f32 v[142:143], v[144:145], v[132:133], v[142:143] op_sel:[0,0,1] op_sel_hi:[1,0,0]
	v_mov_b32_e32 v147, v143
	ds_load_2addr_b64 v[142:145], v136 offset0:59 offset1:60
	v_pk_add_f32 v[6:7], v[6:7], v[146:147] neg_lo:[0,1] neg_hi:[0,1]
	s_wait_dscnt 0x0
	v_pk_mul_f32 v[146:147], v[142:143], v[134:135] op_sel:[0,1]
	s_delay_alu instid0(VALU_DEP_1) | instskip(SKIP_1) | instid1(VALU_DEP_1)
	v_pk_fma_f32 v[148:149], v[142:143], v[132:133], v[146:147] op_sel:[0,0,1] op_sel_hi:[1,1,0] neg_lo:[0,0,1] neg_hi:[0,0,1]
	v_pk_fma_f32 v[142:143], v[142:143], v[132:133], v[146:147] op_sel:[0,0,1] op_sel_hi:[1,0,0]
	v_mov_b32_e32 v149, v143
	v_pk_mul_f32 v[142:143], v[144:145], v[134:135] op_sel:[0,1]
	s_delay_alu instid0(VALU_DEP_2) | instskip(NEXT) | instid1(VALU_DEP_2)
	v_pk_add_f32 v[26:27], v[26:27], v[148:149] neg_lo:[0,1] neg_hi:[0,1]
	v_pk_fma_f32 v[146:147], v[144:145], v[132:133], v[142:143] op_sel:[0,0,1] op_sel_hi:[1,1,0] neg_lo:[0,0,1] neg_hi:[0,0,1]
	v_pk_fma_f32 v[142:143], v[144:145], v[132:133], v[142:143] op_sel:[0,0,1] op_sel_hi:[1,0,0]
	s_delay_alu instid0(VALU_DEP_1)
	v_mov_b32_e32 v147, v143
	ds_load_2addr_b64 v[142:145], v136 offset0:61 offset1:62
	v_pk_add_f32 v[14:15], v[14:15], v[146:147] neg_lo:[0,1] neg_hi:[0,1]
	s_wait_dscnt 0x0
	v_pk_mul_f32 v[146:147], v[142:143], v[134:135] op_sel:[0,1]
	v_pk_mul_f32 v[134:135], v[144:145], v[134:135] op_sel:[0,1]
	s_delay_alu instid0(VALU_DEP_2) | instskip(SKIP_1) | instid1(VALU_DEP_1)
	v_pk_fma_f32 v[148:149], v[142:143], v[132:133], v[146:147] op_sel:[0,0,1] op_sel_hi:[1,1,0] neg_lo:[0,0,1] neg_hi:[0,0,1]
	v_pk_fma_f32 v[142:143], v[142:143], v[132:133], v[146:147] op_sel:[0,0,1] op_sel_hi:[1,0,0]
	v_mov_b32_e32 v149, v143
	s_delay_alu instid0(VALU_DEP_4) | instskip(SKIP_1) | instid1(VALU_DEP_3)
	v_pk_fma_f32 v[142:143], v[144:145], v[132:133], v[134:135] op_sel:[0,0,1] op_sel_hi:[1,1,0] neg_lo:[0,0,1] neg_hi:[0,0,1]
	v_pk_fma_f32 v[132:133], v[144:145], v[132:133], v[134:135] op_sel:[0,0,1] op_sel_hi:[1,0,0]
	v_pk_add_f32 v[12:13], v[12:13], v[148:149] neg_lo:[0,1] neg_hi:[0,1]
	s_delay_alu instid0(VALU_DEP_2) | instskip(NEXT) | instid1(VALU_DEP_1)
	v_mov_b32_e32 v143, v133
	v_pk_add_f32 v[130:131], v[130:131], v[142:143] neg_lo:[0,1] neg_hi:[0,1]
.LBB124_608:
	s_or_b32 exec_lo, exec_lo, s0
	v_lshl_add_u32 v132, v140, 3, v136
	s_barrier_signal -1
	s_barrier_wait -1
	ds_store_b64 v132, v[94:95]
	s_wait_dscnt 0x0
	s_barrier_signal -1
	s_barrier_wait -1
	ds_load_b64 v[134:135], v136 offset:232
	v_mov_b32_e32 v132, 29
	s_cmp_lt_i32 s18, 31
	s_cbranch_scc1 .LBB124_611
; %bb.609:
	v_add3_u32 v133, v137, 0, 0xf0
	v_mov_b32_e32 v132, 29
	s_mov_b32 s0, 30
.LBB124_610:                            ; =>This Inner Loop Header: Depth=1
	ds_load_b64 v[142:143], v133
	s_wait_dscnt 0x1
	v_cmp_gt_f32_e32 vcc_lo, 0, v134
	v_cndmask_b32_e64 v144, v134, -v134, vcc_lo
	v_cmp_gt_f32_e32 vcc_lo, 0, v135
	v_cndmask_b32_e64 v146, v135, -v135, vcc_lo
	s_wait_dscnt 0x0
	v_cmp_gt_f32_e32 vcc_lo, 0, v142
	v_cndmask_b32_e64 v145, v142, -v142, vcc_lo
	v_cmp_gt_f32_e32 vcc_lo, 0, v143
	v_cndmask_b32_e64 v147, v143, -v143, vcc_lo
	s_delay_alu instid0(VALU_DEP_1) | instskip(NEXT) | instid1(VALU_DEP_1)
	v_pk_add_f32 v[144:145], v[144:145], v[146:147]
	v_cmp_lt_f32_e32 vcc_lo, v144, v145
	v_dual_add_nc_u32 v133, 8, v133 :: v_dual_cndmask_b32 v135, v135, v143, vcc_lo
	v_cndmask_b32_e32 v134, v134, v142, vcc_lo
	v_cndmask_b32_e64 v132, v132, s0, vcc_lo
	s_add_co_i32 s0, s0, 1
	s_delay_alu instid0(SALU_CYCLE_1)
	s_cmp_lg_u32 s18, s0
	s_cbranch_scc1 .LBB124_610
.LBB124_611:
	s_wait_dscnt 0x0
	v_cmp_eq_f32_e32 vcc_lo, 0, v134
	v_cmp_eq_f32_e64 s0, 0, v135
	s_and_b32 s0, vcc_lo, s0
	s_delay_alu instid0(SALU_CYCLE_1) | instskip(NEXT) | instid1(SALU_CYCLE_1)
	s_and_saveexec_b32 s1, s0
	s_xor_b32 s0, exec_lo, s1
; %bb.612:
	v_cmp_ne_u32_e32 vcc_lo, 0, v138
	v_cndmask_b32_e32 v138, 30, v138, vcc_lo
; %bb.613:
	s_and_not1_saveexec_b32 s0, s0
	s_cbranch_execz .LBB124_619
; %bb.614:
	v_cmp_ngt_f32_e64 s1, |v134|, |v135|
	s_and_saveexec_b32 s12, s1
	s_delay_alu instid0(SALU_CYCLE_1)
	s_xor_b32 s1, exec_lo, s12
	s_cbranch_execz .LBB124_616
; %bb.615:
	v_div_scale_f32 v133, null, v135, v135, v134
	v_div_scale_f32 v143, vcc_lo, v134, v135, v134
	s_delay_alu instid0(VALU_DEP_2) | instskip(SKIP_1) | instid1(TRANS32_DEP_1)
	v_rcp_f32_e32 v141, v133
	v_nop
	v_fma_f32 v142, -v133, v141, 1.0
	s_delay_alu instid0(VALU_DEP_1) | instskip(NEXT) | instid1(VALU_DEP_1)
	v_fmac_f32_e32 v141, v142, v141
	v_mul_f32_e32 v142, v143, v141
	s_delay_alu instid0(VALU_DEP_1) | instskip(NEXT) | instid1(VALU_DEP_1)
	v_fma_f32 v144, -v133, v142, v143
	v_fmac_f32_e32 v142, v144, v141
	s_delay_alu instid0(VALU_DEP_1) | instskip(NEXT) | instid1(VALU_DEP_1)
	v_fma_f32 v133, -v133, v142, v143
	v_div_fmas_f32 v133, v133, v141, v142
	s_delay_alu instid0(VALU_DEP_1) | instskip(NEXT) | instid1(VALU_DEP_1)
	v_div_fixup_f32 v133, v133, v135, v134
	v_fmac_f32_e32 v135, v134, v133
	s_delay_alu instid0(VALU_DEP_1) | instskip(SKIP_1) | instid1(VALU_DEP_2)
	v_div_scale_f32 v134, null, v135, v135, 1.0
	v_div_scale_f32 v143, vcc_lo, 1.0, v135, 1.0
	v_rcp_f32_e32 v141, v134
	v_nop
	s_delay_alu instid0(TRANS32_DEP_1) | instskip(NEXT) | instid1(VALU_DEP_1)
	v_fma_f32 v142, -v134, v141, 1.0
	v_fmac_f32_e32 v141, v142, v141
	s_delay_alu instid0(VALU_DEP_1) | instskip(NEXT) | instid1(VALU_DEP_1)
	v_mul_f32_e32 v142, v143, v141
	v_fma_f32 v144, -v134, v142, v143
	s_delay_alu instid0(VALU_DEP_1) | instskip(NEXT) | instid1(VALU_DEP_1)
	v_fmac_f32_e32 v142, v144, v141
	v_fma_f32 v134, -v134, v142, v143
	s_delay_alu instid0(VALU_DEP_1) | instskip(NEXT) | instid1(VALU_DEP_1)
	v_div_fmas_f32 v134, v134, v141, v142
	v_div_fixup_f32 v135, v134, v135, 1.0
	s_delay_alu instid0(VALU_DEP_1)
	v_mul_f32_e32 v134, v133, v135
	v_xor_b32_e32 v135, 0x80000000, v135
.LBB124_616:
	s_and_not1_saveexec_b32 s1, s1
	s_cbranch_execz .LBB124_618
; %bb.617:
	s_delay_alu instid0(VALU_DEP_1) | instskip(SKIP_1) | instid1(VALU_DEP_2)
	v_div_scale_f32 v133, null, v134, v134, v135
	v_div_scale_f32 v143, vcc_lo, v135, v134, v135
	v_rcp_f32_e32 v141, v133
	v_nop
	s_delay_alu instid0(TRANS32_DEP_1) | instskip(NEXT) | instid1(VALU_DEP_1)
	v_fma_f32 v142, -v133, v141, 1.0
	v_fmac_f32_e32 v141, v142, v141
	s_delay_alu instid0(VALU_DEP_1) | instskip(NEXT) | instid1(VALU_DEP_1)
	v_mul_f32_e32 v142, v143, v141
	v_fma_f32 v144, -v133, v142, v143
	s_delay_alu instid0(VALU_DEP_1) | instskip(NEXT) | instid1(VALU_DEP_1)
	v_fmac_f32_e32 v142, v144, v141
	v_fma_f32 v133, -v133, v142, v143
	s_delay_alu instid0(VALU_DEP_1) | instskip(NEXT) | instid1(VALU_DEP_1)
	v_div_fmas_f32 v133, v133, v141, v142
	v_div_fixup_f32 v133, v133, v134, v135
	s_delay_alu instid0(VALU_DEP_1) | instskip(NEXT) | instid1(VALU_DEP_1)
	v_fmac_f32_e32 v134, v135, v133
	v_div_scale_f32 v135, null, v134, v134, 1.0
	s_delay_alu instid0(VALU_DEP_1) | instskip(SKIP_1) | instid1(TRANS32_DEP_1)
	v_rcp_f32_e32 v141, v135
	v_nop
	v_fma_f32 v142, -v135, v141, 1.0
	s_delay_alu instid0(VALU_DEP_1) | instskip(SKIP_1) | instid1(VALU_DEP_1)
	v_fmac_f32_e32 v141, v142, v141
	v_div_scale_f32 v142, vcc_lo, 1.0, v134, 1.0
	v_mul_f32_e32 v143, v142, v141
	s_delay_alu instid0(VALU_DEP_1) | instskip(NEXT) | instid1(VALU_DEP_1)
	v_fma_f32 v144, -v135, v143, v142
	v_fmac_f32_e32 v143, v144, v141
	s_delay_alu instid0(VALU_DEP_1) | instskip(NEXT) | instid1(VALU_DEP_1)
	v_fma_f32 v135, -v135, v143, v142
	v_div_fmas_f32 v135, v135, v141, v143
	s_delay_alu instid0(VALU_DEP_1) | instskip(NEXT) | instid1(VALU_DEP_1)
	v_div_fixup_f32 v134, v135, v134, 1.0
	v_mul_f32_e64 v135, v133, -v134
.LBB124_618:
	s_or_b32 exec_lo, exec_lo, s1
.LBB124_619:
	s_delay_alu instid0(SALU_CYCLE_1) | instskip(NEXT) | instid1(SALU_CYCLE_1)
	s_or_b32 exec_lo, exec_lo, s0
	s_mov_b32 s0, exec_lo
	v_cmpx_ne_u32_e64 v140, v132
	s_xor_b32 s0, exec_lo, s0
	s_cbranch_execz .LBB124_625
; %bb.620:
	s_mov_b32 s1, exec_lo
	v_cmpx_eq_u32_e32 29, v140
	s_cbranch_execz .LBB124_624
; %bb.621:
	v_cmp_ne_u32_e32 vcc_lo, 29, v132
	s_xor_b32 s12, s16, -1
	s_delay_alu instid0(SALU_CYCLE_1) | instskip(NEXT) | instid1(SALU_CYCLE_1)
	s_and_b32 s13, s12, vcc_lo
	s_and_saveexec_b32 s12, s13
	s_cbranch_execz .LBB124_623
; %bb.622:
	v_ashrrev_i32_e32 v133, 31, v132
	s_delay_alu instid0(VALU_DEP_1)
	v_lshl_add_u64 v[140:141], v[132:133], 2, v[4:5]
	s_clause 0x1
	global_load_b32 v133, v[140:141], off
	global_load_b32 v139, v[4:5], off offset:116
	s_wait_loadcnt 0x1
	global_store_b32 v[4:5], v133, off offset:116
	s_wait_loadcnt 0x0
	global_store_b32 v[140:141], v139, off
.LBB124_623:
	s_wait_xcnt 0x0
	s_or_b32 exec_lo, exec_lo, s12
	v_dual_mov_b32 v140, v132 :: v_dual_mov_b32 v139, v132
.LBB124_624:
	s_or_b32 exec_lo, exec_lo, s1
.LBB124_625:
	s_and_not1_saveexec_b32 s0, s0
	s_cbranch_execz .LBB124_627
; %bb.626:
	v_dual_mov_b32 v132, v44 :: v_dual_mov_b32 v133, v45
	v_dual_mov_b32 v140, v42 :: v_dual_mov_b32 v141, v43
	ds_store_2addr_b64 v136, v[132:133], v[140:141] offset0:30 offset1:31
	v_dual_mov_b32 v132, v92 :: v_dual_mov_b32 v133, v93
	v_dual_mov_b32 v140, v90 :: v_dual_mov_b32 v141, v91
	ds_store_2addr_b64 v136, v[132:133], v[140:141] offset0:32 offset1:33
	;; [unrolled: 3-line block ×16, first 2 shown]
	ds_store_b64 v136, v[130:131] offset:496
	v_mov_b32_e32 v140, 29
.LBB124_627:
	s_or_b32 exec_lo, exec_lo, s0
	s_delay_alu instid0(SALU_CYCLE_1)
	s_mov_b32 s0, exec_lo
	s_wait_storecnt_dscnt 0x0
	s_barrier_signal -1
	s_barrier_wait -1
	v_cmpx_lt_i32_e32 29, v140
	s_cbranch_execz .LBB124_629
; %bb.628:
	v_pk_mul_f32 v[142:143], v[134:135], v[94:95] op_sel:[1,1] op_sel_hi:[0,1]
	s_delay_alu instid0(VALU_DEP_1)
	v_pk_fma_f32 v[132:133], v[134:135], v[94:95], v[142:143] op_sel_hi:[1,0,1] neg_lo:[0,0,1] neg_hi:[0,0,1]
	v_pk_fma_f32 v[134:135], v[134:135], v[94:95], v[142:143] op_sel_hi:[1,0,1]
	ds_load_2addr_b64 v[142:145], v136 offset0:30 offset1:31
	v_dual_mov_b32 v94, v132 :: v_dual_mov_b32 v95, v135
	s_wait_dscnt 0x0
	v_pk_mul_f32 v[146:147], v[142:143], v[134:135] op_sel:[0,1]
	s_delay_alu instid0(VALU_DEP_1) | instskip(SKIP_1) | instid1(VALU_DEP_1)
	v_pk_fma_f32 v[148:149], v[142:143], v[132:133], v[146:147] op_sel:[0,0,1] op_sel_hi:[1,1,0] neg_lo:[0,0,1] neg_hi:[0,0,1]
	v_pk_fma_f32 v[142:143], v[142:143], v[132:133], v[146:147] op_sel:[0,0,1] op_sel_hi:[1,0,0]
	v_mov_b32_e32 v149, v143
	v_pk_mul_f32 v[142:143], v[144:145], v[134:135] op_sel:[0,1]
	s_delay_alu instid0(VALU_DEP_1) | instskip(SKIP_1) | instid1(VALU_DEP_1)
	v_pk_fma_f32 v[146:147], v[144:145], v[132:133], v[142:143] op_sel:[0,0,1] op_sel_hi:[1,1,0] neg_lo:[0,0,1] neg_hi:[0,0,1]
	v_pk_fma_f32 v[142:143], v[144:145], v[132:133], v[142:143] op_sel:[0,0,1] op_sel_hi:[1,0,0]
	v_mov_b32_e32 v147, v143
	ds_load_2addr_b64 v[142:145], v136 offset0:32 offset1:33
	v_pk_add_f32 v[44:45], v[44:45], v[148:149] neg_lo:[0,1] neg_hi:[0,1]
	v_pk_add_f32 v[42:43], v[42:43], v[146:147] neg_lo:[0,1] neg_hi:[0,1]
	s_wait_dscnt 0x0
	v_pk_mul_f32 v[146:147], v[142:143], v[134:135] op_sel:[0,1]
	s_delay_alu instid0(VALU_DEP_1) | instskip(SKIP_2) | instid1(VALU_DEP_2)
	v_pk_fma_f32 v[148:149], v[142:143], v[132:133], v[146:147] op_sel:[0,0,1] op_sel_hi:[1,1,0] neg_lo:[0,0,1] neg_hi:[0,0,1]
	v_pk_fma_f32 v[142:143], v[142:143], v[132:133], v[146:147] op_sel:[0,0,1] op_sel_hi:[1,0,0]
	v_dual_mul_f32 v146, v145, v135 :: v_dual_mov_b32 v142, v145
	v_dual_mov_b32 v149, v143 :: v_dual_mov_b32 v143, v144
	s_delay_alu instid0(VALU_DEP_2) | instskip(SKIP_1) | instid1(VALU_DEP_3)
	v_pk_fma_f32 v[146:147], v[144:145], v[94:95], v[146:147] op_sel_hi:[1,1,0] neg_lo:[0,0,1] neg_hi:[0,0,1]
	v_mul_f32_e32 v144, v145, v132
	v_pk_add_f32 v[92:93], v[92:93], v[148:149] neg_lo:[0,1] neg_hi:[0,1]
	s_delay_alu instid0(VALU_DEP_2) | instskip(NEXT) | instid1(VALU_DEP_1)
	v_pk_fma_f32 v[142:143], v[142:143], v[94:95], v[144:145] op_sel_hi:[1,1,0]
	v_mov_b32_e32 v147, v143
	ds_load_2addr_b64 v[142:145], v136 offset0:34 offset1:35
	v_pk_add_f32 v[90:91], v[90:91], v[146:147] neg_lo:[0,1] neg_hi:[0,1]
	s_wait_dscnt 0x0
	v_pk_mul_f32 v[146:147], v[142:143], v[134:135] op_sel:[0,1]
	s_delay_alu instid0(VALU_DEP_1) | instskip(SKIP_1) | instid1(VALU_DEP_1)
	v_pk_fma_f32 v[148:149], v[142:143], v[132:133], v[146:147] op_sel:[0,0,1] op_sel_hi:[1,1,0] neg_lo:[0,0,1] neg_hi:[0,0,1]
	v_pk_fma_f32 v[142:143], v[142:143], v[132:133], v[146:147] op_sel:[0,0,1] op_sel_hi:[1,0,0]
	v_mov_b32_e32 v149, v143
	v_pk_mul_f32 v[142:143], v[144:145], v[134:135] op_sel:[0,1]
	s_delay_alu instid0(VALU_DEP_1) | instskip(SKIP_1) | instid1(VALU_DEP_1)
	v_pk_fma_f32 v[146:147], v[144:145], v[132:133], v[142:143] op_sel:[0,0,1] op_sel_hi:[1,1,0] neg_lo:[0,0,1] neg_hi:[0,0,1]
	v_pk_fma_f32 v[142:143], v[144:145], v[132:133], v[142:143] op_sel:[0,0,1] op_sel_hi:[1,0,0]
	v_mov_b32_e32 v147, v143
	ds_load_2addr_b64 v[142:145], v136 offset0:36 offset1:37
	v_pk_add_f32 v[40:41], v[40:41], v[148:149] neg_lo:[0,1] neg_hi:[0,1]
	v_pk_add_f32 v[38:39], v[38:39], v[146:147] neg_lo:[0,1] neg_hi:[0,1]
	s_wait_dscnt 0x0
	v_pk_mul_f32 v[146:147], v[142:143], v[134:135] op_sel:[0,1]
	s_delay_alu instid0(VALU_DEP_1) | instskip(SKIP_1) | instid1(VALU_DEP_1)
	v_pk_fma_f32 v[148:149], v[142:143], v[132:133], v[146:147] op_sel:[0,0,1] op_sel_hi:[1,1,0] neg_lo:[0,0,1] neg_hi:[0,0,1]
	v_pk_fma_f32 v[142:143], v[142:143], v[132:133], v[146:147] op_sel:[0,0,1] op_sel_hi:[1,0,0]
	v_mov_b32_e32 v149, v143
	v_pk_mul_f32 v[142:143], v[144:145], v[134:135] op_sel:[0,1]
	s_delay_alu instid0(VALU_DEP_1) | instskip(SKIP_1) | instid1(VALU_DEP_1)
	v_pk_fma_f32 v[146:147], v[144:145], v[132:133], v[142:143] op_sel:[0,0,1] op_sel_hi:[1,1,0] neg_lo:[0,0,1] neg_hi:[0,0,1]
	v_pk_fma_f32 v[142:143], v[144:145], v[132:133], v[142:143] op_sel:[0,0,1] op_sel_hi:[1,0,0]
	v_mov_b32_e32 v147, v143
	ds_load_2addr_b64 v[142:145], v136 offset0:38 offset1:39
	v_pk_add_f32 v[88:89], v[88:89], v[148:149] neg_lo:[0,1] neg_hi:[0,1]
	v_pk_add_f32 v[86:87], v[86:87], v[146:147] neg_lo:[0,1] neg_hi:[0,1]
	s_wait_dscnt 0x0
	v_dual_mul_f32 v146, v143, v135 :: v_dual_mul_f32 v148, v143, v132
	s_delay_alu instid0(VALU_DEP_1) | instskip(NEXT) | instid1(VALU_DEP_2)
	v_pk_fma_f32 v[146:147], v[142:143], v[94:95], v[146:147] op_sel_hi:[1,1,0] neg_lo:[0,0,1] neg_hi:[0,0,1]
	v_pk_fma_f32 v[142:143], v[142:143], v[94:95], v[148:149] op_sel:[1,0,0] op_sel_hi:[0,1,0]
	s_delay_alu instid0(VALU_DEP_1) | instskip(SKIP_1) | instid1(VALU_DEP_2)
	v_mov_b32_e32 v147, v143
	v_pk_mul_f32 v[142:143], v[144:145], v[134:135] op_sel:[0,1]
	v_pk_add_f32 v[36:37], v[36:37], v[146:147] neg_lo:[0,1] neg_hi:[0,1]
	s_delay_alu instid0(VALU_DEP_2) | instskip(SKIP_1) | instid1(VALU_DEP_1)
	v_pk_fma_f32 v[146:147], v[144:145], v[132:133], v[142:143] op_sel:[0,0,1] op_sel_hi:[1,1,0] neg_lo:[0,0,1] neg_hi:[0,0,1]
	v_pk_fma_f32 v[142:143], v[144:145], v[132:133], v[142:143] op_sel:[0,0,1] op_sel_hi:[1,0,0]
	v_mov_b32_e32 v147, v143
	ds_load_2addr_b64 v[142:145], v136 offset0:40 offset1:41
	v_pk_add_f32 v[32:33], v[32:33], v[146:147] neg_lo:[0,1] neg_hi:[0,1]
	s_wait_dscnt 0x0
	v_pk_mul_f32 v[146:147], v[142:143], v[134:135] op_sel:[0,1]
	s_delay_alu instid0(VALU_DEP_1) | instskip(SKIP_1) | instid1(VALU_DEP_1)
	v_pk_fma_f32 v[148:149], v[142:143], v[132:133], v[146:147] op_sel:[0,0,1] op_sel_hi:[1,1,0] neg_lo:[0,0,1] neg_hi:[0,0,1]
	v_pk_fma_f32 v[142:143], v[142:143], v[132:133], v[146:147] op_sel:[0,0,1] op_sel_hi:[1,0,0]
	v_mov_b32_e32 v149, v143
	v_pk_mul_f32 v[142:143], v[144:145], v[134:135] op_sel:[0,1]
	s_delay_alu instid0(VALU_DEP_2) | instskip(NEXT) | instid1(VALU_DEP_2)
	v_pk_add_f32 v[84:85], v[84:85], v[148:149] neg_lo:[0,1] neg_hi:[0,1]
	v_pk_fma_f32 v[146:147], v[144:145], v[132:133], v[142:143] op_sel:[0,0,1] op_sel_hi:[1,1,0] neg_lo:[0,0,1] neg_hi:[0,0,1]
	v_pk_fma_f32 v[142:143], v[144:145], v[132:133], v[142:143] op_sel:[0,0,1] op_sel_hi:[1,0,0]
	s_delay_alu instid0(VALU_DEP_1) | instskip(SKIP_4) | instid1(VALU_DEP_1)
	v_mov_b32_e32 v147, v143
	ds_load_2addr_b64 v[142:145], v136 offset0:42 offset1:43
	v_pk_add_f32 v[82:83], v[82:83], v[146:147] neg_lo:[0,1] neg_hi:[0,1]
	s_wait_dscnt 0x0
	v_pk_mul_f32 v[146:147], v[142:143], v[134:135] op_sel:[0,1]
	v_pk_fma_f32 v[148:149], v[142:143], v[132:133], v[146:147] op_sel:[0,0,1] op_sel_hi:[1,1,0] neg_lo:[0,0,1] neg_hi:[0,0,1]
	v_pk_fma_f32 v[142:143], v[142:143], v[132:133], v[146:147] op_sel:[0,0,1] op_sel_hi:[1,0,0]
	v_dual_mul_f32 v146, v145, v135 :: v_dual_mov_b32 v142, v145
	s_delay_alu instid0(VALU_DEP_2) | instskip(NEXT) | instid1(VALU_DEP_2)
	v_dual_mov_b32 v149, v143 :: v_dual_mov_b32 v143, v144
	v_pk_fma_f32 v[146:147], v[144:145], v[94:95], v[146:147] op_sel_hi:[1,1,0] neg_lo:[0,0,1] neg_hi:[0,0,1]
	v_mul_f32_e32 v144, v145, v132
	s_delay_alu instid0(VALU_DEP_3) | instskip(NEXT) | instid1(VALU_DEP_2)
	v_pk_add_f32 v[24:25], v[24:25], v[148:149] neg_lo:[0,1] neg_hi:[0,1]
	v_pk_fma_f32 v[142:143], v[142:143], v[94:95], v[144:145] op_sel_hi:[1,1,0]
	s_delay_alu instid0(VALU_DEP_1) | instskip(SKIP_4) | instid1(VALU_DEP_1)
	v_mov_b32_e32 v147, v143
	ds_load_2addr_b64 v[142:145], v136 offset0:44 offset1:45
	v_pk_add_f32 v[22:23], v[22:23], v[146:147] neg_lo:[0,1] neg_hi:[0,1]
	s_wait_dscnt 0x0
	v_pk_mul_f32 v[146:147], v[142:143], v[134:135] op_sel:[0,1]
	v_pk_fma_f32 v[148:149], v[142:143], v[132:133], v[146:147] op_sel:[0,0,1] op_sel_hi:[1,1,0] neg_lo:[0,0,1] neg_hi:[0,0,1]
	v_pk_fma_f32 v[142:143], v[142:143], v[132:133], v[146:147] op_sel:[0,0,1] op_sel_hi:[1,0,0]
	s_delay_alu instid0(VALU_DEP_1) | instskip(SKIP_1) | instid1(VALU_DEP_1)
	v_mov_b32_e32 v149, v143
	v_pk_mul_f32 v[142:143], v[144:145], v[134:135] op_sel:[0,1]
	v_pk_fma_f32 v[146:147], v[144:145], v[132:133], v[142:143] op_sel:[0,0,1] op_sel_hi:[1,1,0] neg_lo:[0,0,1] neg_hi:[0,0,1]
	v_pk_fma_f32 v[142:143], v[144:145], v[132:133], v[142:143] op_sel:[0,0,1] op_sel_hi:[1,0,0]
	s_delay_alu instid0(VALU_DEP_1)
	v_mov_b32_e32 v147, v143
	ds_load_2addr_b64 v[142:145], v136 offset0:46 offset1:47
	v_pk_add_f32 v[80:81], v[80:81], v[148:149] neg_lo:[0,1] neg_hi:[0,1]
	v_pk_add_f32 v[78:79], v[78:79], v[146:147] neg_lo:[0,1] neg_hi:[0,1]
	s_wait_dscnt 0x0
	v_pk_mul_f32 v[146:147], v[142:143], v[134:135] op_sel:[0,1]
	s_delay_alu instid0(VALU_DEP_1) | instskip(SKIP_1) | instid1(VALU_DEP_1)
	v_pk_fma_f32 v[148:149], v[142:143], v[132:133], v[146:147] op_sel:[0,0,1] op_sel_hi:[1,1,0] neg_lo:[0,0,1] neg_hi:[0,0,1]
	v_pk_fma_f32 v[142:143], v[142:143], v[132:133], v[146:147] op_sel:[0,0,1] op_sel_hi:[1,0,0]
	v_mov_b32_e32 v149, v143
	v_pk_mul_f32 v[142:143], v[144:145], v[134:135] op_sel:[0,1]
	s_delay_alu instid0(VALU_DEP_1) | instskip(SKIP_1) | instid1(VALU_DEP_1)
	v_pk_fma_f32 v[146:147], v[144:145], v[132:133], v[142:143] op_sel:[0,0,1] op_sel_hi:[1,1,0] neg_lo:[0,0,1] neg_hi:[0,0,1]
	v_pk_fma_f32 v[142:143], v[144:145], v[132:133], v[142:143] op_sel:[0,0,1] op_sel_hi:[1,0,0]
	v_mov_b32_e32 v147, v143
	ds_load_2addr_b64 v[142:145], v136 offset0:48 offset1:49
	v_pk_add_f32 v[20:21], v[20:21], v[148:149] neg_lo:[0,1] neg_hi:[0,1]
	v_pk_add_f32 v[18:19], v[18:19], v[146:147] neg_lo:[0,1] neg_hi:[0,1]
	s_wait_dscnt 0x0
	v_dual_mul_f32 v146, v143, v135 :: v_dual_mul_f32 v148, v143, v132
	s_delay_alu instid0(VALU_DEP_1) | instskip(NEXT) | instid1(VALU_DEP_2)
	v_pk_fma_f32 v[146:147], v[142:143], v[94:95], v[146:147] op_sel_hi:[1,1,0] neg_lo:[0,0,1] neg_hi:[0,0,1]
	v_pk_fma_f32 v[142:143], v[142:143], v[94:95], v[148:149] op_sel:[1,0,0] op_sel_hi:[0,1,0]
	s_delay_alu instid0(VALU_DEP_1) | instskip(SKIP_1) | instid1(VALU_DEP_2)
	v_mov_b32_e32 v147, v143
	v_pk_mul_f32 v[142:143], v[144:145], v[134:135] op_sel:[0,1]
	v_pk_add_f32 v[76:77], v[76:77], v[146:147] neg_lo:[0,1] neg_hi:[0,1]
	s_delay_alu instid0(VALU_DEP_2) | instskip(SKIP_1) | instid1(VALU_DEP_1)
	v_pk_fma_f32 v[146:147], v[144:145], v[132:133], v[142:143] op_sel:[0,0,1] op_sel_hi:[1,1,0] neg_lo:[0,0,1] neg_hi:[0,0,1]
	v_pk_fma_f32 v[142:143], v[144:145], v[132:133], v[142:143] op_sel:[0,0,1] op_sel_hi:[1,0,0]
	v_mov_b32_e32 v147, v143
	ds_load_2addr_b64 v[142:145], v136 offset0:50 offset1:51
	v_pk_add_f32 v[74:75], v[74:75], v[146:147] neg_lo:[0,1] neg_hi:[0,1]
	s_wait_dscnt 0x0
	v_pk_mul_f32 v[146:147], v[142:143], v[134:135] op_sel:[0,1]
	s_delay_alu instid0(VALU_DEP_1) | instskip(SKIP_1) | instid1(VALU_DEP_1)
	v_pk_fma_f32 v[148:149], v[142:143], v[132:133], v[146:147] op_sel:[0,0,1] op_sel_hi:[1,1,0] neg_lo:[0,0,1] neg_hi:[0,0,1]
	v_pk_fma_f32 v[142:143], v[142:143], v[132:133], v[146:147] op_sel:[0,0,1] op_sel_hi:[1,0,0]
	v_mov_b32_e32 v149, v143
	v_pk_mul_f32 v[142:143], v[144:145], v[134:135] op_sel:[0,1]
	s_delay_alu instid0(VALU_DEP_2) | instskip(NEXT) | instid1(VALU_DEP_2)
	v_pk_add_f32 v[16:17], v[16:17], v[148:149] neg_lo:[0,1] neg_hi:[0,1]
	v_pk_fma_f32 v[146:147], v[144:145], v[132:133], v[142:143] op_sel:[0,0,1] op_sel_hi:[1,1,0] neg_lo:[0,0,1] neg_hi:[0,0,1]
	v_pk_fma_f32 v[142:143], v[144:145], v[132:133], v[142:143] op_sel:[0,0,1] op_sel_hi:[1,0,0]
	s_delay_alu instid0(VALU_DEP_1) | instskip(SKIP_4) | instid1(VALU_DEP_1)
	v_mov_b32_e32 v147, v143
	ds_load_2addr_b64 v[142:145], v136 offset0:52 offset1:53
	v_pk_add_f32 v[28:29], v[28:29], v[146:147] neg_lo:[0,1] neg_hi:[0,1]
	s_wait_dscnt 0x0
	v_pk_mul_f32 v[146:147], v[142:143], v[134:135] op_sel:[0,1]
	v_pk_fma_f32 v[148:149], v[142:143], v[132:133], v[146:147] op_sel:[0,0,1] op_sel_hi:[1,1,0] neg_lo:[0,0,1] neg_hi:[0,0,1]
	v_pk_fma_f32 v[142:143], v[142:143], v[132:133], v[146:147] op_sel:[0,0,1] op_sel_hi:[1,0,0]
	v_dual_mul_f32 v146, v145, v135 :: v_dual_mov_b32 v142, v145
	s_delay_alu instid0(VALU_DEP_2) | instskip(NEXT) | instid1(VALU_DEP_2)
	v_dual_mov_b32 v149, v143 :: v_dual_mov_b32 v143, v144
	v_pk_fma_f32 v[146:147], v[144:145], v[94:95], v[146:147] op_sel_hi:[1,1,0] neg_lo:[0,0,1] neg_hi:[0,0,1]
	v_mul_f32_e32 v144, v145, v132
	s_delay_alu instid0(VALU_DEP_3) | instskip(NEXT) | instid1(VALU_DEP_2)
	v_pk_add_f32 v[68:69], v[68:69], v[148:149] neg_lo:[0,1] neg_hi:[0,1]
	v_pk_fma_f32 v[142:143], v[142:143], v[94:95], v[144:145] op_sel_hi:[1,1,0]
	s_delay_alu instid0(VALU_DEP_1) | instskip(SKIP_4) | instid1(VALU_DEP_1)
	v_mov_b32_e32 v147, v143
	ds_load_2addr_b64 v[142:145], v136 offset0:54 offset1:55
	v_pk_add_f32 v[66:67], v[66:67], v[146:147] neg_lo:[0,1] neg_hi:[0,1]
	s_wait_dscnt 0x0
	v_pk_mul_f32 v[146:147], v[142:143], v[134:135] op_sel:[0,1]
	v_pk_fma_f32 v[148:149], v[142:143], v[132:133], v[146:147] op_sel:[0,0,1] op_sel_hi:[1,1,0] neg_lo:[0,0,1] neg_hi:[0,0,1]
	v_pk_fma_f32 v[142:143], v[142:143], v[132:133], v[146:147] op_sel:[0,0,1] op_sel_hi:[1,0,0]
	s_delay_alu instid0(VALU_DEP_1) | instskip(SKIP_1) | instid1(VALU_DEP_1)
	v_mov_b32_e32 v149, v143
	v_pk_mul_f32 v[142:143], v[144:145], v[134:135] op_sel:[0,1]
	v_pk_fma_f32 v[146:147], v[144:145], v[132:133], v[142:143] op_sel:[0,0,1] op_sel_hi:[1,1,0] neg_lo:[0,0,1] neg_hi:[0,0,1]
	v_pk_fma_f32 v[142:143], v[144:145], v[132:133], v[142:143] op_sel:[0,0,1] op_sel_hi:[1,0,0]
	s_delay_alu instid0(VALU_DEP_1)
	v_mov_b32_e32 v147, v143
	ds_load_2addr_b64 v[142:145], v136 offset0:56 offset1:57
	v_pk_add_f32 v[10:11], v[10:11], v[148:149] neg_lo:[0,1] neg_hi:[0,1]
	v_pk_add_f32 v[8:9], v[8:9], v[146:147] neg_lo:[0,1] neg_hi:[0,1]
	s_wait_dscnt 0x0
	v_pk_mul_f32 v[146:147], v[142:143], v[134:135] op_sel:[0,1]
	s_delay_alu instid0(VALU_DEP_1) | instskip(SKIP_1) | instid1(VALU_DEP_1)
	v_pk_fma_f32 v[148:149], v[142:143], v[132:133], v[146:147] op_sel:[0,0,1] op_sel_hi:[1,1,0] neg_lo:[0,0,1] neg_hi:[0,0,1]
	v_pk_fma_f32 v[142:143], v[142:143], v[132:133], v[146:147] op_sel:[0,0,1] op_sel_hi:[1,0,0]
	v_mov_b32_e32 v149, v143
	v_pk_mul_f32 v[142:143], v[144:145], v[134:135] op_sel:[0,1]
	s_delay_alu instid0(VALU_DEP_1) | instskip(SKIP_1) | instid1(VALU_DEP_1)
	v_pk_fma_f32 v[146:147], v[144:145], v[132:133], v[142:143] op_sel:[0,0,1] op_sel_hi:[1,1,0] neg_lo:[0,0,1] neg_hi:[0,0,1]
	v_pk_fma_f32 v[142:143], v[144:145], v[132:133], v[142:143] op_sel:[0,0,1] op_sel_hi:[1,0,0]
	v_mov_b32_e32 v147, v143
	ds_load_2addr_b64 v[142:145], v136 offset0:58 offset1:59
	v_pk_add_f32 v[34:35], v[34:35], v[148:149] neg_lo:[0,1] neg_hi:[0,1]
	v_pk_add_f32 v[30:31], v[30:31], v[146:147] neg_lo:[0,1] neg_hi:[0,1]
	s_wait_dscnt 0x0
	v_dual_mul_f32 v146, v143, v135 :: v_dual_mul_f32 v148, v143, v132
	s_delay_alu instid0(VALU_DEP_1) | instskip(NEXT) | instid1(VALU_DEP_2)
	v_pk_fma_f32 v[146:147], v[142:143], v[94:95], v[146:147] op_sel_hi:[1,1,0] neg_lo:[0,0,1] neg_hi:[0,0,1]
	v_pk_fma_f32 v[142:143], v[142:143], v[94:95], v[148:149] op_sel:[1,0,0] op_sel_hi:[0,1,0]
	s_delay_alu instid0(VALU_DEP_1) | instskip(SKIP_1) | instid1(VALU_DEP_2)
	v_mov_b32_e32 v147, v143
	v_pk_mul_f32 v[142:143], v[144:145], v[134:135] op_sel:[0,1]
	v_pk_add_f32 v[6:7], v[6:7], v[146:147] neg_lo:[0,1] neg_hi:[0,1]
	s_delay_alu instid0(VALU_DEP_2) | instskip(SKIP_1) | instid1(VALU_DEP_1)
	v_pk_fma_f32 v[146:147], v[144:145], v[132:133], v[142:143] op_sel:[0,0,1] op_sel_hi:[1,1,0] neg_lo:[0,0,1] neg_hi:[0,0,1]
	v_pk_fma_f32 v[142:143], v[144:145], v[132:133], v[142:143] op_sel:[0,0,1] op_sel_hi:[1,0,0]
	v_mov_b32_e32 v147, v143
	ds_load_2addr_b64 v[142:145], v136 offset0:60 offset1:61
	v_pk_add_f32 v[26:27], v[26:27], v[146:147] neg_lo:[0,1] neg_hi:[0,1]
	s_wait_dscnt 0x0
	v_pk_mul_f32 v[146:147], v[142:143], v[134:135] op_sel:[0,1]
	s_delay_alu instid0(VALU_DEP_1) | instskip(SKIP_1) | instid1(VALU_DEP_1)
	v_pk_fma_f32 v[148:149], v[142:143], v[132:133], v[146:147] op_sel:[0,0,1] op_sel_hi:[1,1,0] neg_lo:[0,0,1] neg_hi:[0,0,1]
	v_pk_fma_f32 v[142:143], v[142:143], v[132:133], v[146:147] op_sel:[0,0,1] op_sel_hi:[1,0,0]
	v_mov_b32_e32 v149, v143
	v_pk_mul_f32 v[142:143], v[144:145], v[134:135] op_sel:[0,1]
	s_delay_alu instid0(VALU_DEP_2) | instskip(NEXT) | instid1(VALU_DEP_2)
	v_pk_add_f32 v[14:15], v[14:15], v[148:149] neg_lo:[0,1] neg_hi:[0,1]
	v_pk_fma_f32 v[146:147], v[144:145], v[132:133], v[142:143] op_sel:[0,0,1] op_sel_hi:[1,1,0] neg_lo:[0,0,1] neg_hi:[0,0,1]
	v_pk_fma_f32 v[142:143], v[144:145], v[132:133], v[142:143] op_sel:[0,0,1] op_sel_hi:[1,0,0]
	s_delay_alu instid0(VALU_DEP_1) | instskip(SKIP_4) | instid1(VALU_DEP_1)
	v_mov_b32_e32 v147, v143
	ds_load_b64 v[142:143], v136 offset:496
	v_pk_add_f32 v[12:13], v[12:13], v[146:147] neg_lo:[0,1] neg_hi:[0,1]
	s_wait_dscnt 0x0
	v_pk_mul_f32 v[134:135], v[142:143], v[134:135] op_sel:[0,1]
	v_pk_fma_f32 v[144:145], v[142:143], v[132:133], v[134:135] op_sel:[0,0,1] op_sel_hi:[1,1,0] neg_lo:[0,0,1] neg_hi:[0,0,1]
	v_pk_fma_f32 v[132:133], v[142:143], v[132:133], v[134:135] op_sel:[0,0,1] op_sel_hi:[1,0,0]
	s_delay_alu instid0(VALU_DEP_1) | instskip(NEXT) | instid1(VALU_DEP_1)
	v_mov_b32_e32 v145, v133
	v_pk_add_f32 v[130:131], v[130:131], v[144:145] neg_lo:[0,1] neg_hi:[0,1]
.LBB124_629:
	s_or_b32 exec_lo, exec_lo, s0
	v_lshl_add_u32 v132, v140, 3, v136
	s_barrier_signal -1
	s_barrier_wait -1
	ds_store_b64 v132, v[44:45]
	s_wait_dscnt 0x0
	s_barrier_signal -1
	s_barrier_wait -1
	ds_load_b64 v[134:135], v136 offset:240
	v_mov_b32_e32 v132, 30
	s_cmp_lt_i32 s18, 32
	s_cbranch_scc1 .LBB124_632
; %bb.630:
	v_add3_u32 v133, v137, 0, 0xf8
	v_mov_b32_e32 v132, 30
	s_mov_b32 s0, 31
.LBB124_631:                            ; =>This Inner Loop Header: Depth=1
	ds_load_b64 v[142:143], v133
	s_wait_dscnt 0x1
	v_cmp_gt_f32_e32 vcc_lo, 0, v134
	v_cndmask_b32_e64 v144, v134, -v134, vcc_lo
	v_cmp_gt_f32_e32 vcc_lo, 0, v135
	v_cndmask_b32_e64 v146, v135, -v135, vcc_lo
	s_wait_dscnt 0x0
	v_cmp_gt_f32_e32 vcc_lo, 0, v142
	v_cndmask_b32_e64 v145, v142, -v142, vcc_lo
	v_cmp_gt_f32_e32 vcc_lo, 0, v143
	v_cndmask_b32_e64 v147, v143, -v143, vcc_lo
	s_delay_alu instid0(VALU_DEP_1) | instskip(NEXT) | instid1(VALU_DEP_1)
	v_pk_add_f32 v[144:145], v[144:145], v[146:147]
	v_cmp_lt_f32_e32 vcc_lo, v144, v145
	v_dual_add_nc_u32 v133, 8, v133 :: v_dual_cndmask_b32 v135, v135, v143, vcc_lo
	v_cndmask_b32_e32 v134, v134, v142, vcc_lo
	v_cndmask_b32_e64 v132, v132, s0, vcc_lo
	s_add_co_i32 s0, s0, 1
	s_delay_alu instid0(SALU_CYCLE_1)
	s_cmp_lg_u32 s18, s0
	s_cbranch_scc1 .LBB124_631
.LBB124_632:
	s_wait_dscnt 0x0
	v_cmp_eq_f32_e32 vcc_lo, 0, v134
	v_cmp_eq_f32_e64 s0, 0, v135
	s_and_b32 s0, vcc_lo, s0
	s_delay_alu instid0(SALU_CYCLE_1) | instskip(NEXT) | instid1(SALU_CYCLE_1)
	s_and_saveexec_b32 s1, s0
	s_xor_b32 s0, exec_lo, s1
; %bb.633:
	v_cmp_ne_u32_e32 vcc_lo, 0, v138
	v_cndmask_b32_e32 v138, 31, v138, vcc_lo
; %bb.634:
	s_and_not1_saveexec_b32 s0, s0
	s_cbranch_execz .LBB124_640
; %bb.635:
	v_cmp_ngt_f32_e64 s1, |v134|, |v135|
	s_and_saveexec_b32 s12, s1
	s_delay_alu instid0(SALU_CYCLE_1)
	s_xor_b32 s1, exec_lo, s12
	s_cbranch_execz .LBB124_637
; %bb.636:
	v_div_scale_f32 v133, null, v135, v135, v134
	v_div_scale_f32 v143, vcc_lo, v134, v135, v134
	s_delay_alu instid0(VALU_DEP_2) | instskip(SKIP_1) | instid1(TRANS32_DEP_1)
	v_rcp_f32_e32 v141, v133
	v_nop
	v_fma_f32 v142, -v133, v141, 1.0
	s_delay_alu instid0(VALU_DEP_1) | instskip(NEXT) | instid1(VALU_DEP_1)
	v_fmac_f32_e32 v141, v142, v141
	v_mul_f32_e32 v142, v143, v141
	s_delay_alu instid0(VALU_DEP_1) | instskip(NEXT) | instid1(VALU_DEP_1)
	v_fma_f32 v144, -v133, v142, v143
	v_fmac_f32_e32 v142, v144, v141
	s_delay_alu instid0(VALU_DEP_1) | instskip(NEXT) | instid1(VALU_DEP_1)
	v_fma_f32 v133, -v133, v142, v143
	v_div_fmas_f32 v133, v133, v141, v142
	s_delay_alu instid0(VALU_DEP_1) | instskip(NEXT) | instid1(VALU_DEP_1)
	v_div_fixup_f32 v133, v133, v135, v134
	v_fmac_f32_e32 v135, v134, v133
	s_delay_alu instid0(VALU_DEP_1) | instskip(SKIP_1) | instid1(VALU_DEP_2)
	v_div_scale_f32 v134, null, v135, v135, 1.0
	v_div_scale_f32 v143, vcc_lo, 1.0, v135, 1.0
	v_rcp_f32_e32 v141, v134
	v_nop
	s_delay_alu instid0(TRANS32_DEP_1) | instskip(NEXT) | instid1(VALU_DEP_1)
	v_fma_f32 v142, -v134, v141, 1.0
	v_fmac_f32_e32 v141, v142, v141
	s_delay_alu instid0(VALU_DEP_1) | instskip(NEXT) | instid1(VALU_DEP_1)
	v_mul_f32_e32 v142, v143, v141
	v_fma_f32 v144, -v134, v142, v143
	s_delay_alu instid0(VALU_DEP_1) | instskip(NEXT) | instid1(VALU_DEP_1)
	v_fmac_f32_e32 v142, v144, v141
	v_fma_f32 v134, -v134, v142, v143
	s_delay_alu instid0(VALU_DEP_1) | instskip(NEXT) | instid1(VALU_DEP_1)
	v_div_fmas_f32 v134, v134, v141, v142
	v_div_fixup_f32 v135, v134, v135, 1.0
	s_delay_alu instid0(VALU_DEP_1)
	v_mul_f32_e32 v134, v133, v135
	v_xor_b32_e32 v135, 0x80000000, v135
.LBB124_637:
	s_and_not1_saveexec_b32 s1, s1
	s_cbranch_execz .LBB124_639
; %bb.638:
	s_delay_alu instid0(VALU_DEP_1) | instskip(SKIP_1) | instid1(VALU_DEP_2)
	v_div_scale_f32 v133, null, v134, v134, v135
	v_div_scale_f32 v143, vcc_lo, v135, v134, v135
	v_rcp_f32_e32 v141, v133
	v_nop
	s_delay_alu instid0(TRANS32_DEP_1) | instskip(NEXT) | instid1(VALU_DEP_1)
	v_fma_f32 v142, -v133, v141, 1.0
	v_fmac_f32_e32 v141, v142, v141
	s_delay_alu instid0(VALU_DEP_1) | instskip(NEXT) | instid1(VALU_DEP_1)
	v_mul_f32_e32 v142, v143, v141
	v_fma_f32 v144, -v133, v142, v143
	s_delay_alu instid0(VALU_DEP_1) | instskip(NEXT) | instid1(VALU_DEP_1)
	v_fmac_f32_e32 v142, v144, v141
	v_fma_f32 v133, -v133, v142, v143
	s_delay_alu instid0(VALU_DEP_1) | instskip(NEXT) | instid1(VALU_DEP_1)
	v_div_fmas_f32 v133, v133, v141, v142
	v_div_fixup_f32 v133, v133, v134, v135
	s_delay_alu instid0(VALU_DEP_1) | instskip(NEXT) | instid1(VALU_DEP_1)
	v_fmac_f32_e32 v134, v135, v133
	v_div_scale_f32 v135, null, v134, v134, 1.0
	s_delay_alu instid0(VALU_DEP_1) | instskip(SKIP_1) | instid1(TRANS32_DEP_1)
	v_rcp_f32_e32 v141, v135
	v_nop
	v_fma_f32 v142, -v135, v141, 1.0
	s_delay_alu instid0(VALU_DEP_1) | instskip(SKIP_1) | instid1(VALU_DEP_1)
	v_fmac_f32_e32 v141, v142, v141
	v_div_scale_f32 v142, vcc_lo, 1.0, v134, 1.0
	v_mul_f32_e32 v143, v142, v141
	s_delay_alu instid0(VALU_DEP_1) | instskip(NEXT) | instid1(VALU_DEP_1)
	v_fma_f32 v144, -v135, v143, v142
	v_fmac_f32_e32 v143, v144, v141
	s_delay_alu instid0(VALU_DEP_1) | instskip(NEXT) | instid1(VALU_DEP_1)
	v_fma_f32 v135, -v135, v143, v142
	v_div_fmas_f32 v135, v135, v141, v143
	s_delay_alu instid0(VALU_DEP_1) | instskip(NEXT) | instid1(VALU_DEP_1)
	v_div_fixup_f32 v134, v135, v134, 1.0
	v_mul_f32_e64 v135, v133, -v134
.LBB124_639:
	s_or_b32 exec_lo, exec_lo, s1
.LBB124_640:
	s_delay_alu instid0(SALU_CYCLE_1) | instskip(NEXT) | instid1(SALU_CYCLE_1)
	s_or_b32 exec_lo, exec_lo, s0
	s_mov_b32 s0, exec_lo
	v_cmpx_ne_u32_e64 v140, v132
	s_xor_b32 s0, exec_lo, s0
	s_cbranch_execz .LBB124_646
; %bb.641:
	s_mov_b32 s1, exec_lo
	v_cmpx_eq_u32_e32 30, v140
	s_cbranch_execz .LBB124_645
; %bb.642:
	v_cmp_ne_u32_e32 vcc_lo, 30, v132
	s_xor_b32 s12, s16, -1
	s_delay_alu instid0(SALU_CYCLE_1) | instskip(NEXT) | instid1(SALU_CYCLE_1)
	s_and_b32 s13, s12, vcc_lo
	s_and_saveexec_b32 s12, s13
	s_cbranch_execz .LBB124_644
; %bb.643:
	v_ashrrev_i32_e32 v133, 31, v132
	s_delay_alu instid0(VALU_DEP_1)
	v_lshl_add_u64 v[140:141], v[132:133], 2, v[4:5]
	s_clause 0x1
	global_load_b32 v133, v[140:141], off
	global_load_b32 v139, v[4:5], off offset:120
	s_wait_loadcnt 0x1
	global_store_b32 v[4:5], v133, off offset:120
	s_wait_loadcnt 0x0
	global_store_b32 v[140:141], v139, off
.LBB124_644:
	s_wait_xcnt 0x0
	s_or_b32 exec_lo, exec_lo, s12
	v_dual_mov_b32 v140, v132 :: v_dual_mov_b32 v139, v132
.LBB124_645:
	s_or_b32 exec_lo, exec_lo, s1
.LBB124_646:
	s_and_not1_saveexec_b32 s0, s0
	s_cbranch_execz .LBB124_648
; %bb.647:
	v_mov_b32_e32 v140, 30
	ds_store_2addr_b64 v136, v[42:43], v[92:93] offset0:31 offset1:32
	ds_store_2addr_b64 v136, v[90:91], v[40:41] offset0:33 offset1:34
	;; [unrolled: 1-line block ×16, first 2 shown]
.LBB124_648:
	s_or_b32 exec_lo, exec_lo, s0
	s_delay_alu instid0(SALU_CYCLE_1)
	s_mov_b32 s0, exec_lo
	s_wait_storecnt_dscnt 0x0
	s_barrier_signal -1
	s_barrier_wait -1
	v_cmpx_lt_i32_e32 30, v140
	s_cbranch_execz .LBB124_650
; %bb.649:
	v_pk_mul_f32 v[142:143], v[134:135], v[44:45] op_sel:[1,1] op_sel_hi:[0,1]
	s_delay_alu instid0(VALU_DEP_1)
	v_pk_fma_f32 v[132:133], v[134:135], v[44:45], v[142:143] op_sel_hi:[1,0,1] neg_lo:[0,0,1] neg_hi:[0,0,1]
	v_pk_fma_f32 v[134:135], v[134:135], v[44:45], v[142:143] op_sel_hi:[1,0,1]
	ds_load_2addr_b64 v[142:145], v136 offset0:31 offset1:32
	v_dual_mov_b32 v44, v132 :: v_dual_mov_b32 v45, v135
	s_wait_dscnt 0x0
	v_pk_mul_f32 v[146:147], v[142:143], v[134:135] op_sel:[0,1]
	s_delay_alu instid0(VALU_DEP_1) | instskip(SKIP_1) | instid1(VALU_DEP_1)
	v_pk_fma_f32 v[148:149], v[142:143], v[132:133], v[146:147] op_sel:[0,0,1] op_sel_hi:[1,1,0] neg_lo:[0,0,1] neg_hi:[0,0,1]
	v_pk_fma_f32 v[142:143], v[142:143], v[132:133], v[146:147] op_sel:[0,0,1] op_sel_hi:[1,0,0]
	v_mov_b32_e32 v149, v143
	v_pk_mul_f32 v[142:143], v[144:145], v[134:135] op_sel:[0,1]
	s_delay_alu instid0(VALU_DEP_1) | instskip(SKIP_1) | instid1(VALU_DEP_1)
	v_pk_fma_f32 v[146:147], v[144:145], v[132:133], v[142:143] op_sel:[0,0,1] op_sel_hi:[1,1,0] neg_lo:[0,0,1] neg_hi:[0,0,1]
	v_pk_fma_f32 v[142:143], v[144:145], v[132:133], v[142:143] op_sel:[0,0,1] op_sel_hi:[1,0,0]
	v_mov_b32_e32 v147, v143
	ds_load_2addr_b64 v[142:145], v136 offset0:33 offset1:34
	v_pk_add_f32 v[42:43], v[42:43], v[148:149] neg_lo:[0,1] neg_hi:[0,1]
	v_pk_add_f32 v[92:93], v[92:93], v[146:147] neg_lo:[0,1] neg_hi:[0,1]
	s_wait_dscnt 0x0
	v_pk_mul_f32 v[146:147], v[142:143], v[134:135] op_sel:[0,1]
	s_delay_alu instid0(VALU_DEP_1) | instskip(SKIP_2) | instid1(VALU_DEP_2)
	v_pk_fma_f32 v[148:149], v[142:143], v[132:133], v[146:147] op_sel:[0,0,1] op_sel_hi:[1,1,0] neg_lo:[0,0,1] neg_hi:[0,0,1]
	v_pk_fma_f32 v[142:143], v[142:143], v[132:133], v[146:147] op_sel:[0,0,1] op_sel_hi:[1,0,0]
	v_dual_mul_f32 v146, v145, v135 :: v_dual_mov_b32 v142, v145
	v_dual_mov_b32 v149, v143 :: v_dual_mov_b32 v143, v144
	s_delay_alu instid0(VALU_DEP_2) | instskip(SKIP_1) | instid1(VALU_DEP_3)
	v_pk_fma_f32 v[146:147], v[144:145], v[44:45], v[146:147] op_sel_hi:[1,1,0] neg_lo:[0,0,1] neg_hi:[0,0,1]
	v_mul_f32_e32 v144, v145, v132
	v_pk_add_f32 v[90:91], v[90:91], v[148:149] neg_lo:[0,1] neg_hi:[0,1]
	s_delay_alu instid0(VALU_DEP_2) | instskip(NEXT) | instid1(VALU_DEP_1)
	v_pk_fma_f32 v[142:143], v[142:143], v[44:45], v[144:145] op_sel_hi:[1,1,0]
	v_mov_b32_e32 v147, v143
	ds_load_2addr_b64 v[142:145], v136 offset0:35 offset1:36
	v_pk_add_f32 v[40:41], v[40:41], v[146:147] neg_lo:[0,1] neg_hi:[0,1]
	s_wait_dscnt 0x0
	v_pk_mul_f32 v[146:147], v[142:143], v[134:135] op_sel:[0,1]
	s_delay_alu instid0(VALU_DEP_1) | instskip(SKIP_1) | instid1(VALU_DEP_1)
	v_pk_fma_f32 v[148:149], v[142:143], v[132:133], v[146:147] op_sel:[0,0,1] op_sel_hi:[1,1,0] neg_lo:[0,0,1] neg_hi:[0,0,1]
	v_pk_fma_f32 v[142:143], v[142:143], v[132:133], v[146:147] op_sel:[0,0,1] op_sel_hi:[1,0,0]
	v_mov_b32_e32 v149, v143
	v_pk_mul_f32 v[142:143], v[144:145], v[134:135] op_sel:[0,1]
	s_delay_alu instid0(VALU_DEP_1) | instskip(SKIP_1) | instid1(VALU_DEP_1)
	v_pk_fma_f32 v[146:147], v[144:145], v[132:133], v[142:143] op_sel:[0,0,1] op_sel_hi:[1,1,0] neg_lo:[0,0,1] neg_hi:[0,0,1]
	v_pk_fma_f32 v[142:143], v[144:145], v[132:133], v[142:143] op_sel:[0,0,1] op_sel_hi:[1,0,0]
	v_mov_b32_e32 v147, v143
	ds_load_2addr_b64 v[142:145], v136 offset0:37 offset1:38
	v_pk_add_f32 v[38:39], v[38:39], v[148:149] neg_lo:[0,1] neg_hi:[0,1]
	v_pk_add_f32 v[88:89], v[88:89], v[146:147] neg_lo:[0,1] neg_hi:[0,1]
	s_wait_dscnt 0x0
	v_pk_mul_f32 v[146:147], v[142:143], v[134:135] op_sel:[0,1]
	s_delay_alu instid0(VALU_DEP_1) | instskip(SKIP_1) | instid1(VALU_DEP_1)
	v_pk_fma_f32 v[148:149], v[142:143], v[132:133], v[146:147] op_sel:[0,0,1] op_sel_hi:[1,1,0] neg_lo:[0,0,1] neg_hi:[0,0,1]
	v_pk_fma_f32 v[142:143], v[142:143], v[132:133], v[146:147] op_sel:[0,0,1] op_sel_hi:[1,0,0]
	v_mov_b32_e32 v149, v143
	v_pk_mul_f32 v[142:143], v[144:145], v[134:135] op_sel:[0,1]
	s_delay_alu instid0(VALU_DEP_1) | instskip(SKIP_1) | instid1(VALU_DEP_1)
	v_pk_fma_f32 v[146:147], v[144:145], v[132:133], v[142:143] op_sel:[0,0,1] op_sel_hi:[1,1,0] neg_lo:[0,0,1] neg_hi:[0,0,1]
	v_pk_fma_f32 v[142:143], v[144:145], v[132:133], v[142:143] op_sel:[0,0,1] op_sel_hi:[1,0,0]
	v_mov_b32_e32 v147, v143
	ds_load_2addr_b64 v[142:145], v136 offset0:39 offset1:40
	v_pk_add_f32 v[86:87], v[86:87], v[148:149] neg_lo:[0,1] neg_hi:[0,1]
	v_pk_add_f32 v[36:37], v[36:37], v[146:147] neg_lo:[0,1] neg_hi:[0,1]
	s_wait_dscnt 0x0
	v_dual_mul_f32 v146, v143, v135 :: v_dual_mul_f32 v148, v143, v132
	s_delay_alu instid0(VALU_DEP_1) | instskip(NEXT) | instid1(VALU_DEP_2)
	v_pk_fma_f32 v[146:147], v[142:143], v[44:45], v[146:147] op_sel_hi:[1,1,0] neg_lo:[0,0,1] neg_hi:[0,0,1]
	v_pk_fma_f32 v[142:143], v[142:143], v[44:45], v[148:149] op_sel:[1,0,0] op_sel_hi:[0,1,0]
	s_delay_alu instid0(VALU_DEP_1) | instskip(SKIP_1) | instid1(VALU_DEP_2)
	v_mov_b32_e32 v147, v143
	v_pk_mul_f32 v[142:143], v[144:145], v[134:135] op_sel:[0,1]
	v_pk_add_f32 v[32:33], v[32:33], v[146:147] neg_lo:[0,1] neg_hi:[0,1]
	s_delay_alu instid0(VALU_DEP_2) | instskip(SKIP_1) | instid1(VALU_DEP_1)
	v_pk_fma_f32 v[146:147], v[144:145], v[132:133], v[142:143] op_sel:[0,0,1] op_sel_hi:[1,1,0] neg_lo:[0,0,1] neg_hi:[0,0,1]
	v_pk_fma_f32 v[142:143], v[144:145], v[132:133], v[142:143] op_sel:[0,0,1] op_sel_hi:[1,0,0]
	v_mov_b32_e32 v147, v143
	ds_load_2addr_b64 v[142:145], v136 offset0:41 offset1:42
	v_pk_add_f32 v[84:85], v[84:85], v[146:147] neg_lo:[0,1] neg_hi:[0,1]
	s_wait_dscnt 0x0
	v_pk_mul_f32 v[146:147], v[142:143], v[134:135] op_sel:[0,1]
	s_delay_alu instid0(VALU_DEP_1) | instskip(SKIP_1) | instid1(VALU_DEP_1)
	v_pk_fma_f32 v[148:149], v[142:143], v[132:133], v[146:147] op_sel:[0,0,1] op_sel_hi:[1,1,0] neg_lo:[0,0,1] neg_hi:[0,0,1]
	v_pk_fma_f32 v[142:143], v[142:143], v[132:133], v[146:147] op_sel:[0,0,1] op_sel_hi:[1,0,0]
	v_mov_b32_e32 v149, v143
	v_pk_mul_f32 v[142:143], v[144:145], v[134:135] op_sel:[0,1]
	s_delay_alu instid0(VALU_DEP_2) | instskip(NEXT) | instid1(VALU_DEP_2)
	v_pk_add_f32 v[82:83], v[82:83], v[148:149] neg_lo:[0,1] neg_hi:[0,1]
	v_pk_fma_f32 v[146:147], v[144:145], v[132:133], v[142:143] op_sel:[0,0,1] op_sel_hi:[1,1,0] neg_lo:[0,0,1] neg_hi:[0,0,1]
	v_pk_fma_f32 v[142:143], v[144:145], v[132:133], v[142:143] op_sel:[0,0,1] op_sel_hi:[1,0,0]
	s_delay_alu instid0(VALU_DEP_1) | instskip(SKIP_4) | instid1(VALU_DEP_1)
	v_mov_b32_e32 v147, v143
	ds_load_2addr_b64 v[142:145], v136 offset0:43 offset1:44
	v_pk_add_f32 v[24:25], v[24:25], v[146:147] neg_lo:[0,1] neg_hi:[0,1]
	s_wait_dscnt 0x0
	v_pk_mul_f32 v[146:147], v[142:143], v[134:135] op_sel:[0,1]
	v_pk_fma_f32 v[148:149], v[142:143], v[132:133], v[146:147] op_sel:[0,0,1] op_sel_hi:[1,1,0] neg_lo:[0,0,1] neg_hi:[0,0,1]
	v_pk_fma_f32 v[142:143], v[142:143], v[132:133], v[146:147] op_sel:[0,0,1] op_sel_hi:[1,0,0]
	v_dual_mul_f32 v146, v145, v135 :: v_dual_mov_b32 v142, v145
	s_delay_alu instid0(VALU_DEP_2) | instskip(NEXT) | instid1(VALU_DEP_2)
	v_dual_mov_b32 v149, v143 :: v_dual_mov_b32 v143, v144
	v_pk_fma_f32 v[146:147], v[144:145], v[44:45], v[146:147] op_sel_hi:[1,1,0] neg_lo:[0,0,1] neg_hi:[0,0,1]
	v_mul_f32_e32 v144, v145, v132
	s_delay_alu instid0(VALU_DEP_3) | instskip(NEXT) | instid1(VALU_DEP_2)
	v_pk_add_f32 v[22:23], v[22:23], v[148:149] neg_lo:[0,1] neg_hi:[0,1]
	v_pk_fma_f32 v[142:143], v[142:143], v[44:45], v[144:145] op_sel_hi:[1,1,0]
	s_delay_alu instid0(VALU_DEP_1) | instskip(SKIP_4) | instid1(VALU_DEP_1)
	v_mov_b32_e32 v147, v143
	ds_load_2addr_b64 v[142:145], v136 offset0:45 offset1:46
	v_pk_add_f32 v[80:81], v[80:81], v[146:147] neg_lo:[0,1] neg_hi:[0,1]
	s_wait_dscnt 0x0
	v_pk_mul_f32 v[146:147], v[142:143], v[134:135] op_sel:[0,1]
	v_pk_fma_f32 v[148:149], v[142:143], v[132:133], v[146:147] op_sel:[0,0,1] op_sel_hi:[1,1,0] neg_lo:[0,0,1] neg_hi:[0,0,1]
	v_pk_fma_f32 v[142:143], v[142:143], v[132:133], v[146:147] op_sel:[0,0,1] op_sel_hi:[1,0,0]
	s_delay_alu instid0(VALU_DEP_1) | instskip(SKIP_1) | instid1(VALU_DEP_1)
	v_mov_b32_e32 v149, v143
	v_pk_mul_f32 v[142:143], v[144:145], v[134:135] op_sel:[0,1]
	v_pk_fma_f32 v[146:147], v[144:145], v[132:133], v[142:143] op_sel:[0,0,1] op_sel_hi:[1,1,0] neg_lo:[0,0,1] neg_hi:[0,0,1]
	v_pk_fma_f32 v[142:143], v[144:145], v[132:133], v[142:143] op_sel:[0,0,1] op_sel_hi:[1,0,0]
	s_delay_alu instid0(VALU_DEP_1)
	v_mov_b32_e32 v147, v143
	ds_load_2addr_b64 v[142:145], v136 offset0:47 offset1:48
	v_pk_add_f32 v[78:79], v[78:79], v[148:149] neg_lo:[0,1] neg_hi:[0,1]
	v_pk_add_f32 v[20:21], v[20:21], v[146:147] neg_lo:[0,1] neg_hi:[0,1]
	s_wait_dscnt 0x0
	v_pk_mul_f32 v[146:147], v[142:143], v[134:135] op_sel:[0,1]
	s_delay_alu instid0(VALU_DEP_1) | instskip(SKIP_1) | instid1(VALU_DEP_1)
	v_pk_fma_f32 v[148:149], v[142:143], v[132:133], v[146:147] op_sel:[0,0,1] op_sel_hi:[1,1,0] neg_lo:[0,0,1] neg_hi:[0,0,1]
	v_pk_fma_f32 v[142:143], v[142:143], v[132:133], v[146:147] op_sel:[0,0,1] op_sel_hi:[1,0,0]
	v_mov_b32_e32 v149, v143
	v_pk_mul_f32 v[142:143], v[144:145], v[134:135] op_sel:[0,1]
	s_delay_alu instid0(VALU_DEP_1) | instskip(SKIP_1) | instid1(VALU_DEP_1)
	v_pk_fma_f32 v[146:147], v[144:145], v[132:133], v[142:143] op_sel:[0,0,1] op_sel_hi:[1,1,0] neg_lo:[0,0,1] neg_hi:[0,0,1]
	v_pk_fma_f32 v[142:143], v[144:145], v[132:133], v[142:143] op_sel:[0,0,1] op_sel_hi:[1,0,0]
	v_mov_b32_e32 v147, v143
	ds_load_2addr_b64 v[142:145], v136 offset0:49 offset1:50
	v_pk_add_f32 v[18:19], v[18:19], v[148:149] neg_lo:[0,1] neg_hi:[0,1]
	v_pk_add_f32 v[76:77], v[76:77], v[146:147] neg_lo:[0,1] neg_hi:[0,1]
	s_wait_dscnt 0x0
	v_dual_mul_f32 v146, v143, v135 :: v_dual_mul_f32 v148, v143, v132
	s_delay_alu instid0(VALU_DEP_1) | instskip(NEXT) | instid1(VALU_DEP_2)
	v_pk_fma_f32 v[146:147], v[142:143], v[44:45], v[146:147] op_sel_hi:[1,1,0] neg_lo:[0,0,1] neg_hi:[0,0,1]
	v_pk_fma_f32 v[142:143], v[142:143], v[44:45], v[148:149] op_sel:[1,0,0] op_sel_hi:[0,1,0]
	s_delay_alu instid0(VALU_DEP_1) | instskip(SKIP_1) | instid1(VALU_DEP_2)
	v_mov_b32_e32 v147, v143
	v_pk_mul_f32 v[142:143], v[144:145], v[134:135] op_sel:[0,1]
	v_pk_add_f32 v[74:75], v[74:75], v[146:147] neg_lo:[0,1] neg_hi:[0,1]
	s_delay_alu instid0(VALU_DEP_2) | instskip(SKIP_1) | instid1(VALU_DEP_1)
	v_pk_fma_f32 v[146:147], v[144:145], v[132:133], v[142:143] op_sel:[0,0,1] op_sel_hi:[1,1,0] neg_lo:[0,0,1] neg_hi:[0,0,1]
	v_pk_fma_f32 v[142:143], v[144:145], v[132:133], v[142:143] op_sel:[0,0,1] op_sel_hi:[1,0,0]
	v_mov_b32_e32 v147, v143
	ds_load_2addr_b64 v[142:145], v136 offset0:51 offset1:52
	v_pk_add_f32 v[16:17], v[16:17], v[146:147] neg_lo:[0,1] neg_hi:[0,1]
	s_wait_dscnt 0x0
	v_pk_mul_f32 v[146:147], v[142:143], v[134:135] op_sel:[0,1]
	s_delay_alu instid0(VALU_DEP_1) | instskip(SKIP_1) | instid1(VALU_DEP_1)
	v_pk_fma_f32 v[148:149], v[142:143], v[132:133], v[146:147] op_sel:[0,0,1] op_sel_hi:[1,1,0] neg_lo:[0,0,1] neg_hi:[0,0,1]
	v_pk_fma_f32 v[142:143], v[142:143], v[132:133], v[146:147] op_sel:[0,0,1] op_sel_hi:[1,0,0]
	v_mov_b32_e32 v149, v143
	v_pk_mul_f32 v[142:143], v[144:145], v[134:135] op_sel:[0,1]
	s_delay_alu instid0(VALU_DEP_2) | instskip(NEXT) | instid1(VALU_DEP_2)
	v_pk_add_f32 v[28:29], v[28:29], v[148:149] neg_lo:[0,1] neg_hi:[0,1]
	v_pk_fma_f32 v[146:147], v[144:145], v[132:133], v[142:143] op_sel:[0,0,1] op_sel_hi:[1,1,0] neg_lo:[0,0,1] neg_hi:[0,0,1]
	v_pk_fma_f32 v[142:143], v[144:145], v[132:133], v[142:143] op_sel:[0,0,1] op_sel_hi:[1,0,0]
	s_delay_alu instid0(VALU_DEP_1) | instskip(SKIP_4) | instid1(VALU_DEP_1)
	v_mov_b32_e32 v147, v143
	ds_load_2addr_b64 v[142:145], v136 offset0:53 offset1:54
	v_pk_add_f32 v[68:69], v[68:69], v[146:147] neg_lo:[0,1] neg_hi:[0,1]
	s_wait_dscnt 0x0
	v_pk_mul_f32 v[146:147], v[142:143], v[134:135] op_sel:[0,1]
	v_pk_fma_f32 v[148:149], v[142:143], v[132:133], v[146:147] op_sel:[0,0,1] op_sel_hi:[1,1,0] neg_lo:[0,0,1] neg_hi:[0,0,1]
	v_pk_fma_f32 v[142:143], v[142:143], v[132:133], v[146:147] op_sel:[0,0,1] op_sel_hi:[1,0,0]
	v_dual_mul_f32 v146, v145, v135 :: v_dual_mov_b32 v142, v145
	s_delay_alu instid0(VALU_DEP_2) | instskip(NEXT) | instid1(VALU_DEP_2)
	v_dual_mov_b32 v149, v143 :: v_dual_mov_b32 v143, v144
	v_pk_fma_f32 v[146:147], v[144:145], v[44:45], v[146:147] op_sel_hi:[1,1,0] neg_lo:[0,0,1] neg_hi:[0,0,1]
	v_mul_f32_e32 v144, v145, v132
	s_delay_alu instid0(VALU_DEP_3) | instskip(NEXT) | instid1(VALU_DEP_2)
	v_pk_add_f32 v[66:67], v[66:67], v[148:149] neg_lo:[0,1] neg_hi:[0,1]
	v_pk_fma_f32 v[142:143], v[142:143], v[44:45], v[144:145] op_sel_hi:[1,1,0]
	s_delay_alu instid0(VALU_DEP_1) | instskip(SKIP_4) | instid1(VALU_DEP_1)
	v_mov_b32_e32 v147, v143
	ds_load_2addr_b64 v[142:145], v136 offset0:55 offset1:56
	v_pk_add_f32 v[10:11], v[10:11], v[146:147] neg_lo:[0,1] neg_hi:[0,1]
	s_wait_dscnt 0x0
	v_pk_mul_f32 v[146:147], v[142:143], v[134:135] op_sel:[0,1]
	v_pk_fma_f32 v[148:149], v[142:143], v[132:133], v[146:147] op_sel:[0,0,1] op_sel_hi:[1,1,0] neg_lo:[0,0,1] neg_hi:[0,0,1]
	v_pk_fma_f32 v[142:143], v[142:143], v[132:133], v[146:147] op_sel:[0,0,1] op_sel_hi:[1,0,0]
	s_delay_alu instid0(VALU_DEP_1) | instskip(SKIP_1) | instid1(VALU_DEP_1)
	v_mov_b32_e32 v149, v143
	v_pk_mul_f32 v[142:143], v[144:145], v[134:135] op_sel:[0,1]
	v_pk_fma_f32 v[146:147], v[144:145], v[132:133], v[142:143] op_sel:[0,0,1] op_sel_hi:[1,1,0] neg_lo:[0,0,1] neg_hi:[0,0,1]
	v_pk_fma_f32 v[142:143], v[144:145], v[132:133], v[142:143] op_sel:[0,0,1] op_sel_hi:[1,0,0]
	s_delay_alu instid0(VALU_DEP_1)
	v_mov_b32_e32 v147, v143
	ds_load_2addr_b64 v[142:145], v136 offset0:57 offset1:58
	v_pk_add_f32 v[8:9], v[8:9], v[148:149] neg_lo:[0,1] neg_hi:[0,1]
	v_pk_add_f32 v[34:35], v[34:35], v[146:147] neg_lo:[0,1] neg_hi:[0,1]
	s_wait_dscnt 0x0
	v_pk_mul_f32 v[146:147], v[142:143], v[134:135] op_sel:[0,1]
	s_delay_alu instid0(VALU_DEP_1) | instskip(SKIP_1) | instid1(VALU_DEP_1)
	v_pk_fma_f32 v[148:149], v[142:143], v[132:133], v[146:147] op_sel:[0,0,1] op_sel_hi:[1,1,0] neg_lo:[0,0,1] neg_hi:[0,0,1]
	v_pk_fma_f32 v[142:143], v[142:143], v[132:133], v[146:147] op_sel:[0,0,1] op_sel_hi:[1,0,0]
	v_mov_b32_e32 v149, v143
	v_pk_mul_f32 v[142:143], v[144:145], v[134:135] op_sel:[0,1]
	s_delay_alu instid0(VALU_DEP_1) | instskip(SKIP_1) | instid1(VALU_DEP_1)
	v_pk_fma_f32 v[146:147], v[144:145], v[132:133], v[142:143] op_sel:[0,0,1] op_sel_hi:[1,1,0] neg_lo:[0,0,1] neg_hi:[0,0,1]
	v_pk_fma_f32 v[142:143], v[144:145], v[132:133], v[142:143] op_sel:[0,0,1] op_sel_hi:[1,0,0]
	v_mov_b32_e32 v147, v143
	ds_load_2addr_b64 v[142:145], v136 offset0:59 offset1:60
	v_pk_add_f32 v[30:31], v[30:31], v[148:149] neg_lo:[0,1] neg_hi:[0,1]
	v_pk_add_f32 v[6:7], v[6:7], v[146:147] neg_lo:[0,1] neg_hi:[0,1]
	s_wait_dscnt 0x0
	v_dual_mul_f32 v146, v143, v135 :: v_dual_mul_f32 v148, v143, v132
	s_delay_alu instid0(VALU_DEP_1) | instskip(NEXT) | instid1(VALU_DEP_2)
	v_pk_fma_f32 v[146:147], v[142:143], v[44:45], v[146:147] op_sel_hi:[1,1,0] neg_lo:[0,0,1] neg_hi:[0,0,1]
	v_pk_fma_f32 v[142:143], v[142:143], v[44:45], v[148:149] op_sel:[1,0,0] op_sel_hi:[0,1,0]
	s_delay_alu instid0(VALU_DEP_1) | instskip(SKIP_1) | instid1(VALU_DEP_2)
	v_mov_b32_e32 v147, v143
	v_pk_mul_f32 v[142:143], v[144:145], v[134:135] op_sel:[0,1]
	v_pk_add_f32 v[26:27], v[26:27], v[146:147] neg_lo:[0,1] neg_hi:[0,1]
	s_delay_alu instid0(VALU_DEP_2) | instskip(SKIP_1) | instid1(VALU_DEP_1)
	v_pk_fma_f32 v[146:147], v[144:145], v[132:133], v[142:143] op_sel:[0,0,1] op_sel_hi:[1,1,0] neg_lo:[0,0,1] neg_hi:[0,0,1]
	v_pk_fma_f32 v[142:143], v[144:145], v[132:133], v[142:143] op_sel:[0,0,1] op_sel_hi:[1,0,0]
	v_mov_b32_e32 v147, v143
	ds_load_2addr_b64 v[142:145], v136 offset0:61 offset1:62
	v_pk_add_f32 v[14:15], v[14:15], v[146:147] neg_lo:[0,1] neg_hi:[0,1]
	s_wait_dscnt 0x0
	v_pk_mul_f32 v[146:147], v[142:143], v[134:135] op_sel:[0,1]
	v_pk_mul_f32 v[134:135], v[144:145], v[134:135] op_sel:[0,1]
	s_delay_alu instid0(VALU_DEP_2) | instskip(SKIP_1) | instid1(VALU_DEP_1)
	v_pk_fma_f32 v[148:149], v[142:143], v[132:133], v[146:147] op_sel:[0,0,1] op_sel_hi:[1,1,0] neg_lo:[0,0,1] neg_hi:[0,0,1]
	v_pk_fma_f32 v[142:143], v[142:143], v[132:133], v[146:147] op_sel:[0,0,1] op_sel_hi:[1,0,0]
	v_mov_b32_e32 v149, v143
	s_delay_alu instid0(VALU_DEP_4) | instskip(SKIP_1) | instid1(VALU_DEP_3)
	v_pk_fma_f32 v[142:143], v[144:145], v[132:133], v[134:135] op_sel:[0,0,1] op_sel_hi:[1,1,0] neg_lo:[0,0,1] neg_hi:[0,0,1]
	v_pk_fma_f32 v[132:133], v[144:145], v[132:133], v[134:135] op_sel:[0,0,1] op_sel_hi:[1,0,0]
	v_pk_add_f32 v[12:13], v[12:13], v[148:149] neg_lo:[0,1] neg_hi:[0,1]
	s_delay_alu instid0(VALU_DEP_2) | instskip(NEXT) | instid1(VALU_DEP_1)
	v_mov_b32_e32 v143, v133
	v_pk_add_f32 v[130:131], v[130:131], v[142:143] neg_lo:[0,1] neg_hi:[0,1]
.LBB124_650:
	s_or_b32 exec_lo, exec_lo, s0
	v_lshl_add_u32 v132, v140, 3, v136
	s_barrier_signal -1
	s_barrier_wait -1
	ds_store_b64 v132, v[42:43]
	s_wait_dscnt 0x0
	s_barrier_signal -1
	s_barrier_wait -1
	ds_load_b64 v[134:135], v136 offset:248
	v_mov_b32_e32 v132, 31
	s_cmp_lt_i32 s18, 33
	s_cbranch_scc1 .LBB124_653
; %bb.651:
	v_add3_u32 v133, v137, 0, 0x100
	v_mov_b32_e32 v132, 31
	s_mov_b32 s0, 32
.LBB124_652:                            ; =>This Inner Loop Header: Depth=1
	ds_load_b64 v[142:143], v133
	s_wait_dscnt 0x1
	v_cmp_gt_f32_e32 vcc_lo, 0, v134
	v_cndmask_b32_e64 v144, v134, -v134, vcc_lo
	v_cmp_gt_f32_e32 vcc_lo, 0, v135
	v_cndmask_b32_e64 v146, v135, -v135, vcc_lo
	s_wait_dscnt 0x0
	v_cmp_gt_f32_e32 vcc_lo, 0, v142
	v_cndmask_b32_e64 v145, v142, -v142, vcc_lo
	v_cmp_gt_f32_e32 vcc_lo, 0, v143
	v_cndmask_b32_e64 v147, v143, -v143, vcc_lo
	s_delay_alu instid0(VALU_DEP_1) | instskip(NEXT) | instid1(VALU_DEP_1)
	v_pk_add_f32 v[144:145], v[144:145], v[146:147]
	v_cmp_lt_f32_e32 vcc_lo, v144, v145
	v_dual_add_nc_u32 v133, 8, v133 :: v_dual_cndmask_b32 v135, v135, v143, vcc_lo
	v_cndmask_b32_e32 v134, v134, v142, vcc_lo
	v_cndmask_b32_e64 v132, v132, s0, vcc_lo
	s_add_co_i32 s0, s0, 1
	s_delay_alu instid0(SALU_CYCLE_1)
	s_cmp_lg_u32 s18, s0
	s_cbranch_scc1 .LBB124_652
.LBB124_653:
	s_wait_dscnt 0x0
	v_cmp_eq_f32_e32 vcc_lo, 0, v134
	v_cmp_eq_f32_e64 s0, 0, v135
	s_and_b32 s0, vcc_lo, s0
	s_delay_alu instid0(SALU_CYCLE_1) | instskip(NEXT) | instid1(SALU_CYCLE_1)
	s_and_saveexec_b32 s1, s0
	s_xor_b32 s0, exec_lo, s1
; %bb.654:
	v_cmp_ne_u32_e32 vcc_lo, 0, v138
	v_cndmask_b32_e32 v138, 32, v138, vcc_lo
; %bb.655:
	s_and_not1_saveexec_b32 s0, s0
	s_cbranch_execz .LBB124_661
; %bb.656:
	v_cmp_ngt_f32_e64 s1, |v134|, |v135|
	s_and_saveexec_b32 s12, s1
	s_delay_alu instid0(SALU_CYCLE_1)
	s_xor_b32 s1, exec_lo, s12
	s_cbranch_execz .LBB124_658
; %bb.657:
	v_div_scale_f32 v133, null, v135, v135, v134
	v_div_scale_f32 v143, vcc_lo, v134, v135, v134
	s_delay_alu instid0(VALU_DEP_2) | instskip(SKIP_1) | instid1(TRANS32_DEP_1)
	v_rcp_f32_e32 v141, v133
	v_nop
	v_fma_f32 v142, -v133, v141, 1.0
	s_delay_alu instid0(VALU_DEP_1) | instskip(NEXT) | instid1(VALU_DEP_1)
	v_fmac_f32_e32 v141, v142, v141
	v_mul_f32_e32 v142, v143, v141
	s_delay_alu instid0(VALU_DEP_1) | instskip(NEXT) | instid1(VALU_DEP_1)
	v_fma_f32 v144, -v133, v142, v143
	v_fmac_f32_e32 v142, v144, v141
	s_delay_alu instid0(VALU_DEP_1) | instskip(NEXT) | instid1(VALU_DEP_1)
	v_fma_f32 v133, -v133, v142, v143
	v_div_fmas_f32 v133, v133, v141, v142
	s_delay_alu instid0(VALU_DEP_1) | instskip(NEXT) | instid1(VALU_DEP_1)
	v_div_fixup_f32 v133, v133, v135, v134
	v_fmac_f32_e32 v135, v134, v133
	s_delay_alu instid0(VALU_DEP_1) | instskip(SKIP_1) | instid1(VALU_DEP_2)
	v_div_scale_f32 v134, null, v135, v135, 1.0
	v_div_scale_f32 v143, vcc_lo, 1.0, v135, 1.0
	v_rcp_f32_e32 v141, v134
	v_nop
	s_delay_alu instid0(TRANS32_DEP_1) | instskip(NEXT) | instid1(VALU_DEP_1)
	v_fma_f32 v142, -v134, v141, 1.0
	v_fmac_f32_e32 v141, v142, v141
	s_delay_alu instid0(VALU_DEP_1) | instskip(NEXT) | instid1(VALU_DEP_1)
	v_mul_f32_e32 v142, v143, v141
	v_fma_f32 v144, -v134, v142, v143
	s_delay_alu instid0(VALU_DEP_1) | instskip(NEXT) | instid1(VALU_DEP_1)
	v_fmac_f32_e32 v142, v144, v141
	v_fma_f32 v134, -v134, v142, v143
	s_delay_alu instid0(VALU_DEP_1) | instskip(NEXT) | instid1(VALU_DEP_1)
	v_div_fmas_f32 v134, v134, v141, v142
	v_div_fixup_f32 v135, v134, v135, 1.0
	s_delay_alu instid0(VALU_DEP_1)
	v_mul_f32_e32 v134, v133, v135
	v_xor_b32_e32 v135, 0x80000000, v135
.LBB124_658:
	s_and_not1_saveexec_b32 s1, s1
	s_cbranch_execz .LBB124_660
; %bb.659:
	s_delay_alu instid0(VALU_DEP_1) | instskip(SKIP_1) | instid1(VALU_DEP_2)
	v_div_scale_f32 v133, null, v134, v134, v135
	v_div_scale_f32 v143, vcc_lo, v135, v134, v135
	v_rcp_f32_e32 v141, v133
	v_nop
	s_delay_alu instid0(TRANS32_DEP_1) | instskip(NEXT) | instid1(VALU_DEP_1)
	v_fma_f32 v142, -v133, v141, 1.0
	v_fmac_f32_e32 v141, v142, v141
	s_delay_alu instid0(VALU_DEP_1) | instskip(NEXT) | instid1(VALU_DEP_1)
	v_mul_f32_e32 v142, v143, v141
	v_fma_f32 v144, -v133, v142, v143
	s_delay_alu instid0(VALU_DEP_1) | instskip(NEXT) | instid1(VALU_DEP_1)
	v_fmac_f32_e32 v142, v144, v141
	v_fma_f32 v133, -v133, v142, v143
	s_delay_alu instid0(VALU_DEP_1) | instskip(NEXT) | instid1(VALU_DEP_1)
	v_div_fmas_f32 v133, v133, v141, v142
	v_div_fixup_f32 v133, v133, v134, v135
	s_delay_alu instid0(VALU_DEP_1) | instskip(NEXT) | instid1(VALU_DEP_1)
	v_fmac_f32_e32 v134, v135, v133
	v_div_scale_f32 v135, null, v134, v134, 1.0
	s_delay_alu instid0(VALU_DEP_1) | instskip(SKIP_1) | instid1(TRANS32_DEP_1)
	v_rcp_f32_e32 v141, v135
	v_nop
	v_fma_f32 v142, -v135, v141, 1.0
	s_delay_alu instid0(VALU_DEP_1) | instskip(SKIP_1) | instid1(VALU_DEP_1)
	v_fmac_f32_e32 v141, v142, v141
	v_div_scale_f32 v142, vcc_lo, 1.0, v134, 1.0
	v_mul_f32_e32 v143, v142, v141
	s_delay_alu instid0(VALU_DEP_1) | instskip(NEXT) | instid1(VALU_DEP_1)
	v_fma_f32 v144, -v135, v143, v142
	v_fmac_f32_e32 v143, v144, v141
	s_delay_alu instid0(VALU_DEP_1) | instskip(NEXT) | instid1(VALU_DEP_1)
	v_fma_f32 v135, -v135, v143, v142
	v_div_fmas_f32 v135, v135, v141, v143
	s_delay_alu instid0(VALU_DEP_1) | instskip(NEXT) | instid1(VALU_DEP_1)
	v_div_fixup_f32 v134, v135, v134, 1.0
	v_mul_f32_e64 v135, v133, -v134
.LBB124_660:
	s_or_b32 exec_lo, exec_lo, s1
.LBB124_661:
	s_delay_alu instid0(SALU_CYCLE_1) | instskip(NEXT) | instid1(SALU_CYCLE_1)
	s_or_b32 exec_lo, exec_lo, s0
	s_mov_b32 s0, exec_lo
	v_cmpx_ne_u32_e64 v140, v132
	s_xor_b32 s0, exec_lo, s0
	s_cbranch_execz .LBB124_667
; %bb.662:
	s_mov_b32 s1, exec_lo
	v_cmpx_eq_u32_e32 31, v140
	s_cbranch_execz .LBB124_666
; %bb.663:
	v_cmp_ne_u32_e32 vcc_lo, 31, v132
	s_xor_b32 s12, s16, -1
	s_delay_alu instid0(SALU_CYCLE_1) | instskip(NEXT) | instid1(SALU_CYCLE_1)
	s_and_b32 s13, s12, vcc_lo
	s_and_saveexec_b32 s12, s13
	s_cbranch_execz .LBB124_665
; %bb.664:
	v_ashrrev_i32_e32 v133, 31, v132
	s_delay_alu instid0(VALU_DEP_1)
	v_lshl_add_u64 v[140:141], v[132:133], 2, v[4:5]
	s_clause 0x1
	global_load_b32 v133, v[140:141], off
	global_load_b32 v139, v[4:5], off offset:124
	s_wait_loadcnt 0x1
	global_store_b32 v[4:5], v133, off offset:124
	s_wait_loadcnt 0x0
	global_store_b32 v[140:141], v139, off
.LBB124_665:
	s_wait_xcnt 0x0
	s_or_b32 exec_lo, exec_lo, s12
	v_dual_mov_b32 v140, v132 :: v_dual_mov_b32 v139, v132
.LBB124_666:
	s_or_b32 exec_lo, exec_lo, s1
.LBB124_667:
	s_and_not1_saveexec_b32 s0, s0
	s_cbranch_execz .LBB124_669
; %bb.668:
	v_dual_mov_b32 v132, v92 :: v_dual_mov_b32 v133, v93
	v_dual_mov_b32 v140, v90 :: v_dual_mov_b32 v141, v91
	ds_store_2addr_b64 v136, v[132:133], v[140:141] offset0:32 offset1:33
	v_dual_mov_b32 v132, v40 :: v_dual_mov_b32 v133, v41
	v_dual_mov_b32 v140, v38 :: v_dual_mov_b32 v141, v39
	ds_store_2addr_b64 v136, v[132:133], v[140:141] offset0:34 offset1:35
	;; [unrolled: 3-line block ×15, first 2 shown]
	ds_store_b64 v136, v[130:131] offset:496
	v_mov_b32_e32 v140, 31
.LBB124_669:
	s_or_b32 exec_lo, exec_lo, s0
	s_delay_alu instid0(SALU_CYCLE_1)
	s_mov_b32 s0, exec_lo
	s_wait_storecnt_dscnt 0x0
	s_barrier_signal -1
	s_barrier_wait -1
	v_cmpx_lt_i32_e32 31, v140
	s_cbranch_execz .LBB124_671
; %bb.670:
	v_pk_mul_f32 v[142:143], v[134:135], v[42:43] op_sel:[1,1] op_sel_hi:[0,1]
	s_delay_alu instid0(VALU_DEP_1)
	v_pk_fma_f32 v[132:133], v[134:135], v[42:43], v[142:143] op_sel_hi:[1,0,1] neg_lo:[0,0,1] neg_hi:[0,0,1]
	v_pk_fma_f32 v[134:135], v[134:135], v[42:43], v[142:143] op_sel_hi:[1,0,1]
	ds_load_2addr_b64 v[142:145], v136 offset0:32 offset1:33
	v_dual_mov_b32 v42, v132 :: v_dual_mov_b32 v43, v135
	s_wait_dscnt 0x0
	v_pk_mul_f32 v[146:147], v[142:143], v[134:135] op_sel:[0,1]
	s_delay_alu instid0(VALU_DEP_1) | instskip(SKIP_1) | instid1(VALU_DEP_1)
	v_pk_fma_f32 v[148:149], v[142:143], v[132:133], v[146:147] op_sel:[0,0,1] op_sel_hi:[1,1,0] neg_lo:[0,0,1] neg_hi:[0,0,1]
	v_pk_fma_f32 v[142:143], v[142:143], v[132:133], v[146:147] op_sel:[0,0,1] op_sel_hi:[1,0,0]
	v_mov_b32_e32 v149, v143
	v_pk_mul_f32 v[142:143], v[144:145], v[134:135] op_sel:[0,1]
	s_delay_alu instid0(VALU_DEP_1) | instskip(SKIP_1) | instid1(VALU_DEP_1)
	v_pk_fma_f32 v[146:147], v[144:145], v[132:133], v[142:143] op_sel:[0,0,1] op_sel_hi:[1,1,0] neg_lo:[0,0,1] neg_hi:[0,0,1]
	v_pk_fma_f32 v[142:143], v[144:145], v[132:133], v[142:143] op_sel:[0,0,1] op_sel_hi:[1,0,0]
	v_mov_b32_e32 v147, v143
	ds_load_2addr_b64 v[142:145], v136 offset0:34 offset1:35
	v_pk_add_f32 v[92:93], v[92:93], v[148:149] neg_lo:[0,1] neg_hi:[0,1]
	v_pk_add_f32 v[90:91], v[90:91], v[146:147] neg_lo:[0,1] neg_hi:[0,1]
	s_wait_dscnt 0x0
	v_pk_mul_f32 v[146:147], v[142:143], v[134:135] op_sel:[0,1]
	s_delay_alu instid0(VALU_DEP_1) | instskip(SKIP_2) | instid1(VALU_DEP_2)
	v_pk_fma_f32 v[148:149], v[142:143], v[132:133], v[146:147] op_sel:[0,0,1] op_sel_hi:[1,1,0] neg_lo:[0,0,1] neg_hi:[0,0,1]
	v_pk_fma_f32 v[142:143], v[142:143], v[132:133], v[146:147] op_sel:[0,0,1] op_sel_hi:[1,0,0]
	v_dual_mul_f32 v146, v145, v135 :: v_dual_mov_b32 v142, v145
	v_dual_mov_b32 v149, v143 :: v_dual_mov_b32 v143, v144
	s_delay_alu instid0(VALU_DEP_2) | instskip(SKIP_1) | instid1(VALU_DEP_3)
	v_pk_fma_f32 v[146:147], v[144:145], v[42:43], v[146:147] op_sel_hi:[1,1,0] neg_lo:[0,0,1] neg_hi:[0,0,1]
	v_mul_f32_e32 v144, v145, v132
	v_pk_add_f32 v[40:41], v[40:41], v[148:149] neg_lo:[0,1] neg_hi:[0,1]
	s_delay_alu instid0(VALU_DEP_2) | instskip(NEXT) | instid1(VALU_DEP_1)
	v_pk_fma_f32 v[142:143], v[142:143], v[42:43], v[144:145] op_sel_hi:[1,1,0]
	v_mov_b32_e32 v147, v143
	ds_load_2addr_b64 v[142:145], v136 offset0:36 offset1:37
	v_pk_add_f32 v[38:39], v[38:39], v[146:147] neg_lo:[0,1] neg_hi:[0,1]
	s_wait_dscnt 0x0
	v_pk_mul_f32 v[146:147], v[142:143], v[134:135] op_sel:[0,1]
	s_delay_alu instid0(VALU_DEP_1) | instskip(SKIP_1) | instid1(VALU_DEP_1)
	v_pk_fma_f32 v[148:149], v[142:143], v[132:133], v[146:147] op_sel:[0,0,1] op_sel_hi:[1,1,0] neg_lo:[0,0,1] neg_hi:[0,0,1]
	v_pk_fma_f32 v[142:143], v[142:143], v[132:133], v[146:147] op_sel:[0,0,1] op_sel_hi:[1,0,0]
	v_mov_b32_e32 v149, v143
	v_pk_mul_f32 v[142:143], v[144:145], v[134:135] op_sel:[0,1]
	s_delay_alu instid0(VALU_DEP_1) | instskip(SKIP_1) | instid1(VALU_DEP_1)
	v_pk_fma_f32 v[146:147], v[144:145], v[132:133], v[142:143] op_sel:[0,0,1] op_sel_hi:[1,1,0] neg_lo:[0,0,1] neg_hi:[0,0,1]
	v_pk_fma_f32 v[142:143], v[144:145], v[132:133], v[142:143] op_sel:[0,0,1] op_sel_hi:[1,0,0]
	v_mov_b32_e32 v147, v143
	ds_load_2addr_b64 v[142:145], v136 offset0:38 offset1:39
	v_pk_add_f32 v[88:89], v[88:89], v[148:149] neg_lo:[0,1] neg_hi:[0,1]
	v_pk_add_f32 v[86:87], v[86:87], v[146:147] neg_lo:[0,1] neg_hi:[0,1]
	s_wait_dscnt 0x0
	v_pk_mul_f32 v[146:147], v[142:143], v[134:135] op_sel:[0,1]
	s_delay_alu instid0(VALU_DEP_1) | instskip(SKIP_1) | instid1(VALU_DEP_1)
	v_pk_fma_f32 v[148:149], v[142:143], v[132:133], v[146:147] op_sel:[0,0,1] op_sel_hi:[1,1,0] neg_lo:[0,0,1] neg_hi:[0,0,1]
	v_pk_fma_f32 v[142:143], v[142:143], v[132:133], v[146:147] op_sel:[0,0,1] op_sel_hi:[1,0,0]
	v_mov_b32_e32 v149, v143
	v_pk_mul_f32 v[142:143], v[144:145], v[134:135] op_sel:[0,1]
	s_delay_alu instid0(VALU_DEP_1) | instskip(SKIP_1) | instid1(VALU_DEP_1)
	v_pk_fma_f32 v[146:147], v[144:145], v[132:133], v[142:143] op_sel:[0,0,1] op_sel_hi:[1,1,0] neg_lo:[0,0,1] neg_hi:[0,0,1]
	v_pk_fma_f32 v[142:143], v[144:145], v[132:133], v[142:143] op_sel:[0,0,1] op_sel_hi:[1,0,0]
	v_mov_b32_e32 v147, v143
	ds_load_2addr_b64 v[142:145], v136 offset0:40 offset1:41
	v_pk_add_f32 v[36:37], v[36:37], v[148:149] neg_lo:[0,1] neg_hi:[0,1]
	v_pk_add_f32 v[32:33], v[32:33], v[146:147] neg_lo:[0,1] neg_hi:[0,1]
	s_wait_dscnt 0x0
	v_dual_mul_f32 v146, v143, v135 :: v_dual_mul_f32 v148, v143, v132
	s_delay_alu instid0(VALU_DEP_1) | instskip(NEXT) | instid1(VALU_DEP_2)
	v_pk_fma_f32 v[146:147], v[142:143], v[42:43], v[146:147] op_sel_hi:[1,1,0] neg_lo:[0,0,1] neg_hi:[0,0,1]
	v_pk_fma_f32 v[142:143], v[142:143], v[42:43], v[148:149] op_sel:[1,0,0] op_sel_hi:[0,1,0]
	s_delay_alu instid0(VALU_DEP_1) | instskip(SKIP_1) | instid1(VALU_DEP_2)
	v_mov_b32_e32 v147, v143
	v_pk_mul_f32 v[142:143], v[144:145], v[134:135] op_sel:[0,1]
	v_pk_add_f32 v[84:85], v[84:85], v[146:147] neg_lo:[0,1] neg_hi:[0,1]
	s_delay_alu instid0(VALU_DEP_2) | instskip(SKIP_1) | instid1(VALU_DEP_1)
	v_pk_fma_f32 v[146:147], v[144:145], v[132:133], v[142:143] op_sel:[0,0,1] op_sel_hi:[1,1,0] neg_lo:[0,0,1] neg_hi:[0,0,1]
	v_pk_fma_f32 v[142:143], v[144:145], v[132:133], v[142:143] op_sel:[0,0,1] op_sel_hi:[1,0,0]
	v_mov_b32_e32 v147, v143
	ds_load_2addr_b64 v[142:145], v136 offset0:42 offset1:43
	v_pk_add_f32 v[82:83], v[82:83], v[146:147] neg_lo:[0,1] neg_hi:[0,1]
	s_wait_dscnt 0x0
	v_pk_mul_f32 v[146:147], v[142:143], v[134:135] op_sel:[0,1]
	s_delay_alu instid0(VALU_DEP_1) | instskip(SKIP_1) | instid1(VALU_DEP_1)
	v_pk_fma_f32 v[148:149], v[142:143], v[132:133], v[146:147] op_sel:[0,0,1] op_sel_hi:[1,1,0] neg_lo:[0,0,1] neg_hi:[0,0,1]
	v_pk_fma_f32 v[142:143], v[142:143], v[132:133], v[146:147] op_sel:[0,0,1] op_sel_hi:[1,0,0]
	v_mov_b32_e32 v149, v143
	v_pk_mul_f32 v[142:143], v[144:145], v[134:135] op_sel:[0,1]
	s_delay_alu instid0(VALU_DEP_2) | instskip(NEXT) | instid1(VALU_DEP_2)
	v_pk_add_f32 v[24:25], v[24:25], v[148:149] neg_lo:[0,1] neg_hi:[0,1]
	v_pk_fma_f32 v[146:147], v[144:145], v[132:133], v[142:143] op_sel:[0,0,1] op_sel_hi:[1,1,0] neg_lo:[0,0,1] neg_hi:[0,0,1]
	v_pk_fma_f32 v[142:143], v[144:145], v[132:133], v[142:143] op_sel:[0,0,1] op_sel_hi:[1,0,0]
	s_delay_alu instid0(VALU_DEP_1) | instskip(SKIP_4) | instid1(VALU_DEP_1)
	v_mov_b32_e32 v147, v143
	ds_load_2addr_b64 v[142:145], v136 offset0:44 offset1:45
	v_pk_add_f32 v[22:23], v[22:23], v[146:147] neg_lo:[0,1] neg_hi:[0,1]
	s_wait_dscnt 0x0
	v_pk_mul_f32 v[146:147], v[142:143], v[134:135] op_sel:[0,1]
	v_pk_fma_f32 v[148:149], v[142:143], v[132:133], v[146:147] op_sel:[0,0,1] op_sel_hi:[1,1,0] neg_lo:[0,0,1] neg_hi:[0,0,1]
	v_pk_fma_f32 v[142:143], v[142:143], v[132:133], v[146:147] op_sel:[0,0,1] op_sel_hi:[1,0,0]
	v_dual_mul_f32 v146, v145, v135 :: v_dual_mov_b32 v142, v145
	s_delay_alu instid0(VALU_DEP_2) | instskip(NEXT) | instid1(VALU_DEP_2)
	v_dual_mov_b32 v149, v143 :: v_dual_mov_b32 v143, v144
	v_pk_fma_f32 v[146:147], v[144:145], v[42:43], v[146:147] op_sel_hi:[1,1,0] neg_lo:[0,0,1] neg_hi:[0,0,1]
	v_mul_f32_e32 v144, v145, v132
	s_delay_alu instid0(VALU_DEP_3) | instskip(NEXT) | instid1(VALU_DEP_2)
	v_pk_add_f32 v[80:81], v[80:81], v[148:149] neg_lo:[0,1] neg_hi:[0,1]
	v_pk_fma_f32 v[142:143], v[142:143], v[42:43], v[144:145] op_sel_hi:[1,1,0]
	s_delay_alu instid0(VALU_DEP_1) | instskip(SKIP_4) | instid1(VALU_DEP_1)
	v_mov_b32_e32 v147, v143
	ds_load_2addr_b64 v[142:145], v136 offset0:46 offset1:47
	v_pk_add_f32 v[78:79], v[78:79], v[146:147] neg_lo:[0,1] neg_hi:[0,1]
	s_wait_dscnt 0x0
	v_pk_mul_f32 v[146:147], v[142:143], v[134:135] op_sel:[0,1]
	v_pk_fma_f32 v[148:149], v[142:143], v[132:133], v[146:147] op_sel:[0,0,1] op_sel_hi:[1,1,0] neg_lo:[0,0,1] neg_hi:[0,0,1]
	v_pk_fma_f32 v[142:143], v[142:143], v[132:133], v[146:147] op_sel:[0,0,1] op_sel_hi:[1,0,0]
	s_delay_alu instid0(VALU_DEP_1) | instskip(SKIP_1) | instid1(VALU_DEP_1)
	v_mov_b32_e32 v149, v143
	v_pk_mul_f32 v[142:143], v[144:145], v[134:135] op_sel:[0,1]
	v_pk_fma_f32 v[146:147], v[144:145], v[132:133], v[142:143] op_sel:[0,0,1] op_sel_hi:[1,1,0] neg_lo:[0,0,1] neg_hi:[0,0,1]
	v_pk_fma_f32 v[142:143], v[144:145], v[132:133], v[142:143] op_sel:[0,0,1] op_sel_hi:[1,0,0]
	s_delay_alu instid0(VALU_DEP_1)
	v_mov_b32_e32 v147, v143
	ds_load_2addr_b64 v[142:145], v136 offset0:48 offset1:49
	v_pk_add_f32 v[20:21], v[20:21], v[148:149] neg_lo:[0,1] neg_hi:[0,1]
	v_pk_add_f32 v[18:19], v[18:19], v[146:147] neg_lo:[0,1] neg_hi:[0,1]
	s_wait_dscnt 0x0
	v_pk_mul_f32 v[146:147], v[142:143], v[134:135] op_sel:[0,1]
	s_delay_alu instid0(VALU_DEP_1) | instskip(SKIP_1) | instid1(VALU_DEP_1)
	v_pk_fma_f32 v[148:149], v[142:143], v[132:133], v[146:147] op_sel:[0,0,1] op_sel_hi:[1,1,0] neg_lo:[0,0,1] neg_hi:[0,0,1]
	v_pk_fma_f32 v[142:143], v[142:143], v[132:133], v[146:147] op_sel:[0,0,1] op_sel_hi:[1,0,0]
	v_mov_b32_e32 v149, v143
	v_pk_mul_f32 v[142:143], v[144:145], v[134:135] op_sel:[0,1]
	s_delay_alu instid0(VALU_DEP_1) | instskip(SKIP_1) | instid1(VALU_DEP_1)
	v_pk_fma_f32 v[146:147], v[144:145], v[132:133], v[142:143] op_sel:[0,0,1] op_sel_hi:[1,1,0] neg_lo:[0,0,1] neg_hi:[0,0,1]
	v_pk_fma_f32 v[142:143], v[144:145], v[132:133], v[142:143] op_sel:[0,0,1] op_sel_hi:[1,0,0]
	v_mov_b32_e32 v147, v143
	ds_load_2addr_b64 v[142:145], v136 offset0:50 offset1:51
	v_pk_add_f32 v[76:77], v[76:77], v[148:149] neg_lo:[0,1] neg_hi:[0,1]
	v_pk_add_f32 v[74:75], v[74:75], v[146:147] neg_lo:[0,1] neg_hi:[0,1]
	s_wait_dscnt 0x0
	v_dual_mul_f32 v146, v143, v135 :: v_dual_mul_f32 v148, v143, v132
	s_delay_alu instid0(VALU_DEP_1) | instskip(NEXT) | instid1(VALU_DEP_2)
	v_pk_fma_f32 v[146:147], v[142:143], v[42:43], v[146:147] op_sel_hi:[1,1,0] neg_lo:[0,0,1] neg_hi:[0,0,1]
	v_pk_fma_f32 v[142:143], v[142:143], v[42:43], v[148:149] op_sel:[1,0,0] op_sel_hi:[0,1,0]
	s_delay_alu instid0(VALU_DEP_1) | instskip(SKIP_1) | instid1(VALU_DEP_2)
	v_mov_b32_e32 v147, v143
	v_pk_mul_f32 v[142:143], v[144:145], v[134:135] op_sel:[0,1]
	v_pk_add_f32 v[16:17], v[16:17], v[146:147] neg_lo:[0,1] neg_hi:[0,1]
	s_delay_alu instid0(VALU_DEP_2) | instskip(SKIP_1) | instid1(VALU_DEP_1)
	v_pk_fma_f32 v[146:147], v[144:145], v[132:133], v[142:143] op_sel:[0,0,1] op_sel_hi:[1,1,0] neg_lo:[0,0,1] neg_hi:[0,0,1]
	v_pk_fma_f32 v[142:143], v[144:145], v[132:133], v[142:143] op_sel:[0,0,1] op_sel_hi:[1,0,0]
	v_mov_b32_e32 v147, v143
	ds_load_2addr_b64 v[142:145], v136 offset0:52 offset1:53
	v_pk_add_f32 v[28:29], v[28:29], v[146:147] neg_lo:[0,1] neg_hi:[0,1]
	s_wait_dscnt 0x0
	v_pk_mul_f32 v[146:147], v[142:143], v[134:135] op_sel:[0,1]
	s_delay_alu instid0(VALU_DEP_1) | instskip(SKIP_1) | instid1(VALU_DEP_1)
	v_pk_fma_f32 v[148:149], v[142:143], v[132:133], v[146:147] op_sel:[0,0,1] op_sel_hi:[1,1,0] neg_lo:[0,0,1] neg_hi:[0,0,1]
	v_pk_fma_f32 v[142:143], v[142:143], v[132:133], v[146:147] op_sel:[0,0,1] op_sel_hi:[1,0,0]
	v_mov_b32_e32 v149, v143
	v_pk_mul_f32 v[142:143], v[144:145], v[134:135] op_sel:[0,1]
	s_delay_alu instid0(VALU_DEP_2) | instskip(NEXT) | instid1(VALU_DEP_2)
	v_pk_add_f32 v[68:69], v[68:69], v[148:149] neg_lo:[0,1] neg_hi:[0,1]
	v_pk_fma_f32 v[146:147], v[144:145], v[132:133], v[142:143] op_sel:[0,0,1] op_sel_hi:[1,1,0] neg_lo:[0,0,1] neg_hi:[0,0,1]
	v_pk_fma_f32 v[142:143], v[144:145], v[132:133], v[142:143] op_sel:[0,0,1] op_sel_hi:[1,0,0]
	s_delay_alu instid0(VALU_DEP_1) | instskip(SKIP_4) | instid1(VALU_DEP_1)
	v_mov_b32_e32 v147, v143
	ds_load_2addr_b64 v[142:145], v136 offset0:54 offset1:55
	v_pk_add_f32 v[66:67], v[66:67], v[146:147] neg_lo:[0,1] neg_hi:[0,1]
	s_wait_dscnt 0x0
	v_pk_mul_f32 v[146:147], v[142:143], v[134:135] op_sel:[0,1]
	v_pk_fma_f32 v[148:149], v[142:143], v[132:133], v[146:147] op_sel:[0,0,1] op_sel_hi:[1,1,0] neg_lo:[0,0,1] neg_hi:[0,0,1]
	v_pk_fma_f32 v[142:143], v[142:143], v[132:133], v[146:147] op_sel:[0,0,1] op_sel_hi:[1,0,0]
	v_dual_mul_f32 v146, v145, v135 :: v_dual_mov_b32 v142, v145
	s_delay_alu instid0(VALU_DEP_2) | instskip(NEXT) | instid1(VALU_DEP_2)
	v_dual_mov_b32 v149, v143 :: v_dual_mov_b32 v143, v144
	v_pk_fma_f32 v[146:147], v[144:145], v[42:43], v[146:147] op_sel_hi:[1,1,0] neg_lo:[0,0,1] neg_hi:[0,0,1]
	v_mul_f32_e32 v144, v145, v132
	s_delay_alu instid0(VALU_DEP_3) | instskip(NEXT) | instid1(VALU_DEP_2)
	v_pk_add_f32 v[10:11], v[10:11], v[148:149] neg_lo:[0,1] neg_hi:[0,1]
	v_pk_fma_f32 v[142:143], v[142:143], v[42:43], v[144:145] op_sel_hi:[1,1,0]
	s_delay_alu instid0(VALU_DEP_1) | instskip(SKIP_4) | instid1(VALU_DEP_1)
	v_mov_b32_e32 v147, v143
	ds_load_2addr_b64 v[142:145], v136 offset0:56 offset1:57
	v_pk_add_f32 v[8:9], v[8:9], v[146:147] neg_lo:[0,1] neg_hi:[0,1]
	s_wait_dscnt 0x0
	v_pk_mul_f32 v[146:147], v[142:143], v[134:135] op_sel:[0,1]
	v_pk_fma_f32 v[148:149], v[142:143], v[132:133], v[146:147] op_sel:[0,0,1] op_sel_hi:[1,1,0] neg_lo:[0,0,1] neg_hi:[0,0,1]
	v_pk_fma_f32 v[142:143], v[142:143], v[132:133], v[146:147] op_sel:[0,0,1] op_sel_hi:[1,0,0]
	s_delay_alu instid0(VALU_DEP_1) | instskip(SKIP_1) | instid1(VALU_DEP_1)
	v_mov_b32_e32 v149, v143
	v_pk_mul_f32 v[142:143], v[144:145], v[134:135] op_sel:[0,1]
	v_pk_fma_f32 v[146:147], v[144:145], v[132:133], v[142:143] op_sel:[0,0,1] op_sel_hi:[1,1,0] neg_lo:[0,0,1] neg_hi:[0,0,1]
	v_pk_fma_f32 v[142:143], v[144:145], v[132:133], v[142:143] op_sel:[0,0,1] op_sel_hi:[1,0,0]
	s_delay_alu instid0(VALU_DEP_1)
	v_mov_b32_e32 v147, v143
	ds_load_2addr_b64 v[142:145], v136 offset0:58 offset1:59
	v_pk_add_f32 v[34:35], v[34:35], v[148:149] neg_lo:[0,1] neg_hi:[0,1]
	v_pk_add_f32 v[30:31], v[30:31], v[146:147] neg_lo:[0,1] neg_hi:[0,1]
	s_wait_dscnt 0x0
	v_pk_mul_f32 v[146:147], v[142:143], v[134:135] op_sel:[0,1]
	s_delay_alu instid0(VALU_DEP_1) | instskip(SKIP_1) | instid1(VALU_DEP_1)
	v_pk_fma_f32 v[148:149], v[142:143], v[132:133], v[146:147] op_sel:[0,0,1] op_sel_hi:[1,1,0] neg_lo:[0,0,1] neg_hi:[0,0,1]
	v_pk_fma_f32 v[142:143], v[142:143], v[132:133], v[146:147] op_sel:[0,0,1] op_sel_hi:[1,0,0]
	v_mov_b32_e32 v149, v143
	v_pk_mul_f32 v[142:143], v[144:145], v[134:135] op_sel:[0,1]
	s_delay_alu instid0(VALU_DEP_1) | instskip(SKIP_1) | instid1(VALU_DEP_1)
	v_pk_fma_f32 v[146:147], v[144:145], v[132:133], v[142:143] op_sel:[0,0,1] op_sel_hi:[1,1,0] neg_lo:[0,0,1] neg_hi:[0,0,1]
	v_pk_fma_f32 v[142:143], v[144:145], v[132:133], v[142:143] op_sel:[0,0,1] op_sel_hi:[1,0,0]
	v_mov_b32_e32 v147, v143
	ds_load_2addr_b64 v[142:145], v136 offset0:60 offset1:61
	v_pk_add_f32 v[6:7], v[6:7], v[148:149] neg_lo:[0,1] neg_hi:[0,1]
	v_pk_add_f32 v[26:27], v[26:27], v[146:147] neg_lo:[0,1] neg_hi:[0,1]
	s_wait_dscnt 0x0
	v_dual_mul_f32 v146, v143, v135 :: v_dual_mul_f32 v148, v143, v132
	s_delay_alu instid0(VALU_DEP_1) | instskip(NEXT) | instid1(VALU_DEP_2)
	v_pk_fma_f32 v[146:147], v[142:143], v[42:43], v[146:147] op_sel_hi:[1,1,0] neg_lo:[0,0,1] neg_hi:[0,0,1]
	v_pk_fma_f32 v[142:143], v[142:143], v[42:43], v[148:149] op_sel:[1,0,0] op_sel_hi:[0,1,0]
	s_delay_alu instid0(VALU_DEP_1) | instskip(SKIP_1) | instid1(VALU_DEP_2)
	v_mov_b32_e32 v147, v143
	v_pk_mul_f32 v[142:143], v[144:145], v[134:135] op_sel:[0,1]
	v_pk_add_f32 v[14:15], v[14:15], v[146:147] neg_lo:[0,1] neg_hi:[0,1]
	s_delay_alu instid0(VALU_DEP_2) | instskip(SKIP_1) | instid1(VALU_DEP_1)
	v_pk_fma_f32 v[146:147], v[144:145], v[132:133], v[142:143] op_sel:[0,0,1] op_sel_hi:[1,1,0] neg_lo:[0,0,1] neg_hi:[0,0,1]
	v_pk_fma_f32 v[142:143], v[144:145], v[132:133], v[142:143] op_sel:[0,0,1] op_sel_hi:[1,0,0]
	v_mov_b32_e32 v147, v143
	ds_load_b64 v[142:143], v136 offset:496
	v_pk_add_f32 v[12:13], v[12:13], v[146:147] neg_lo:[0,1] neg_hi:[0,1]
	s_wait_dscnt 0x0
	v_pk_mul_f32 v[134:135], v[142:143], v[134:135] op_sel:[0,1]
	s_delay_alu instid0(VALU_DEP_1) | instskip(SKIP_1) | instid1(VALU_DEP_1)
	v_pk_fma_f32 v[144:145], v[142:143], v[132:133], v[134:135] op_sel:[0,0,1] op_sel_hi:[1,1,0] neg_lo:[0,0,1] neg_hi:[0,0,1]
	v_pk_fma_f32 v[132:133], v[142:143], v[132:133], v[134:135] op_sel:[0,0,1] op_sel_hi:[1,0,0]
	v_mov_b32_e32 v145, v133
	s_delay_alu instid0(VALU_DEP_1)
	v_pk_add_f32 v[130:131], v[130:131], v[144:145] neg_lo:[0,1] neg_hi:[0,1]
.LBB124_671:
	s_or_b32 exec_lo, exec_lo, s0
	v_lshl_add_u32 v132, v140, 3, v136
	s_barrier_signal -1
	s_barrier_wait -1
	ds_store_b64 v132, v[92:93]
	s_wait_dscnt 0x0
	s_barrier_signal -1
	s_barrier_wait -1
	ds_load_b64 v[134:135], v136 offset:256
	v_mov_b32_e32 v132, 32
	s_cmp_lt_i32 s18, 34
	s_cbranch_scc1 .LBB124_674
; %bb.672:
	v_add3_u32 v133, v137, 0, 0x108
	v_mov_b32_e32 v132, 32
	s_mov_b32 s0, 33
.LBB124_673:                            ; =>This Inner Loop Header: Depth=1
	ds_load_b64 v[142:143], v133
	s_wait_dscnt 0x1
	v_cmp_gt_f32_e32 vcc_lo, 0, v134
	v_cndmask_b32_e64 v144, v134, -v134, vcc_lo
	v_cmp_gt_f32_e32 vcc_lo, 0, v135
	v_cndmask_b32_e64 v146, v135, -v135, vcc_lo
	s_wait_dscnt 0x0
	v_cmp_gt_f32_e32 vcc_lo, 0, v142
	v_cndmask_b32_e64 v145, v142, -v142, vcc_lo
	v_cmp_gt_f32_e32 vcc_lo, 0, v143
	v_cndmask_b32_e64 v147, v143, -v143, vcc_lo
	s_delay_alu instid0(VALU_DEP_1) | instskip(NEXT) | instid1(VALU_DEP_1)
	v_pk_add_f32 v[144:145], v[144:145], v[146:147]
	v_cmp_lt_f32_e32 vcc_lo, v144, v145
	v_dual_add_nc_u32 v133, 8, v133 :: v_dual_cndmask_b32 v135, v135, v143, vcc_lo
	v_cndmask_b32_e32 v134, v134, v142, vcc_lo
	v_cndmask_b32_e64 v132, v132, s0, vcc_lo
	s_add_co_i32 s0, s0, 1
	s_delay_alu instid0(SALU_CYCLE_1)
	s_cmp_lg_u32 s18, s0
	s_cbranch_scc1 .LBB124_673
.LBB124_674:
	s_wait_dscnt 0x0
	v_cmp_eq_f32_e32 vcc_lo, 0, v134
	v_cmp_eq_f32_e64 s0, 0, v135
	s_and_b32 s0, vcc_lo, s0
	s_delay_alu instid0(SALU_CYCLE_1) | instskip(NEXT) | instid1(SALU_CYCLE_1)
	s_and_saveexec_b32 s1, s0
	s_xor_b32 s0, exec_lo, s1
; %bb.675:
	v_cmp_ne_u32_e32 vcc_lo, 0, v138
	v_cndmask_b32_e32 v138, 33, v138, vcc_lo
; %bb.676:
	s_and_not1_saveexec_b32 s0, s0
	s_cbranch_execz .LBB124_682
; %bb.677:
	v_cmp_ngt_f32_e64 s1, |v134|, |v135|
	s_and_saveexec_b32 s12, s1
	s_delay_alu instid0(SALU_CYCLE_1)
	s_xor_b32 s1, exec_lo, s12
	s_cbranch_execz .LBB124_679
; %bb.678:
	v_div_scale_f32 v133, null, v135, v135, v134
	v_div_scale_f32 v143, vcc_lo, v134, v135, v134
	s_delay_alu instid0(VALU_DEP_2) | instskip(SKIP_1) | instid1(TRANS32_DEP_1)
	v_rcp_f32_e32 v141, v133
	v_nop
	v_fma_f32 v142, -v133, v141, 1.0
	s_delay_alu instid0(VALU_DEP_1) | instskip(NEXT) | instid1(VALU_DEP_1)
	v_fmac_f32_e32 v141, v142, v141
	v_mul_f32_e32 v142, v143, v141
	s_delay_alu instid0(VALU_DEP_1) | instskip(NEXT) | instid1(VALU_DEP_1)
	v_fma_f32 v144, -v133, v142, v143
	v_fmac_f32_e32 v142, v144, v141
	s_delay_alu instid0(VALU_DEP_1) | instskip(NEXT) | instid1(VALU_DEP_1)
	v_fma_f32 v133, -v133, v142, v143
	v_div_fmas_f32 v133, v133, v141, v142
	s_delay_alu instid0(VALU_DEP_1) | instskip(NEXT) | instid1(VALU_DEP_1)
	v_div_fixup_f32 v133, v133, v135, v134
	v_fmac_f32_e32 v135, v134, v133
	s_delay_alu instid0(VALU_DEP_1) | instskip(SKIP_1) | instid1(VALU_DEP_2)
	v_div_scale_f32 v134, null, v135, v135, 1.0
	v_div_scale_f32 v143, vcc_lo, 1.0, v135, 1.0
	v_rcp_f32_e32 v141, v134
	v_nop
	s_delay_alu instid0(TRANS32_DEP_1) | instskip(NEXT) | instid1(VALU_DEP_1)
	v_fma_f32 v142, -v134, v141, 1.0
	v_fmac_f32_e32 v141, v142, v141
	s_delay_alu instid0(VALU_DEP_1) | instskip(NEXT) | instid1(VALU_DEP_1)
	v_mul_f32_e32 v142, v143, v141
	v_fma_f32 v144, -v134, v142, v143
	s_delay_alu instid0(VALU_DEP_1) | instskip(NEXT) | instid1(VALU_DEP_1)
	v_fmac_f32_e32 v142, v144, v141
	v_fma_f32 v134, -v134, v142, v143
	s_delay_alu instid0(VALU_DEP_1) | instskip(NEXT) | instid1(VALU_DEP_1)
	v_div_fmas_f32 v134, v134, v141, v142
	v_div_fixup_f32 v135, v134, v135, 1.0
	s_delay_alu instid0(VALU_DEP_1)
	v_mul_f32_e32 v134, v133, v135
	v_xor_b32_e32 v135, 0x80000000, v135
.LBB124_679:
	s_and_not1_saveexec_b32 s1, s1
	s_cbranch_execz .LBB124_681
; %bb.680:
	s_delay_alu instid0(VALU_DEP_1) | instskip(SKIP_1) | instid1(VALU_DEP_2)
	v_div_scale_f32 v133, null, v134, v134, v135
	v_div_scale_f32 v143, vcc_lo, v135, v134, v135
	v_rcp_f32_e32 v141, v133
	v_nop
	s_delay_alu instid0(TRANS32_DEP_1) | instskip(NEXT) | instid1(VALU_DEP_1)
	v_fma_f32 v142, -v133, v141, 1.0
	v_fmac_f32_e32 v141, v142, v141
	s_delay_alu instid0(VALU_DEP_1) | instskip(NEXT) | instid1(VALU_DEP_1)
	v_mul_f32_e32 v142, v143, v141
	v_fma_f32 v144, -v133, v142, v143
	s_delay_alu instid0(VALU_DEP_1) | instskip(NEXT) | instid1(VALU_DEP_1)
	v_fmac_f32_e32 v142, v144, v141
	v_fma_f32 v133, -v133, v142, v143
	s_delay_alu instid0(VALU_DEP_1) | instskip(NEXT) | instid1(VALU_DEP_1)
	v_div_fmas_f32 v133, v133, v141, v142
	v_div_fixup_f32 v133, v133, v134, v135
	s_delay_alu instid0(VALU_DEP_1) | instskip(NEXT) | instid1(VALU_DEP_1)
	v_fmac_f32_e32 v134, v135, v133
	v_div_scale_f32 v135, null, v134, v134, 1.0
	s_delay_alu instid0(VALU_DEP_1) | instskip(SKIP_1) | instid1(TRANS32_DEP_1)
	v_rcp_f32_e32 v141, v135
	v_nop
	v_fma_f32 v142, -v135, v141, 1.0
	s_delay_alu instid0(VALU_DEP_1) | instskip(SKIP_1) | instid1(VALU_DEP_1)
	v_fmac_f32_e32 v141, v142, v141
	v_div_scale_f32 v142, vcc_lo, 1.0, v134, 1.0
	v_mul_f32_e32 v143, v142, v141
	s_delay_alu instid0(VALU_DEP_1) | instskip(NEXT) | instid1(VALU_DEP_1)
	v_fma_f32 v144, -v135, v143, v142
	v_fmac_f32_e32 v143, v144, v141
	s_delay_alu instid0(VALU_DEP_1) | instskip(NEXT) | instid1(VALU_DEP_1)
	v_fma_f32 v135, -v135, v143, v142
	v_div_fmas_f32 v135, v135, v141, v143
	s_delay_alu instid0(VALU_DEP_1) | instskip(NEXT) | instid1(VALU_DEP_1)
	v_div_fixup_f32 v134, v135, v134, 1.0
	v_mul_f32_e64 v135, v133, -v134
.LBB124_681:
	s_or_b32 exec_lo, exec_lo, s1
.LBB124_682:
	s_delay_alu instid0(SALU_CYCLE_1) | instskip(NEXT) | instid1(SALU_CYCLE_1)
	s_or_b32 exec_lo, exec_lo, s0
	s_mov_b32 s0, exec_lo
	v_cmpx_ne_u32_e64 v140, v132
	s_xor_b32 s0, exec_lo, s0
	s_cbranch_execz .LBB124_688
; %bb.683:
	s_mov_b32 s1, exec_lo
	v_cmpx_eq_u32_e32 32, v140
	s_cbranch_execz .LBB124_687
; %bb.684:
	v_cmp_ne_u32_e32 vcc_lo, 32, v132
	s_xor_b32 s12, s16, -1
	s_delay_alu instid0(SALU_CYCLE_1) | instskip(NEXT) | instid1(SALU_CYCLE_1)
	s_and_b32 s13, s12, vcc_lo
	s_and_saveexec_b32 s12, s13
	s_cbranch_execz .LBB124_686
; %bb.685:
	v_ashrrev_i32_e32 v133, 31, v132
	s_delay_alu instid0(VALU_DEP_1)
	v_lshl_add_u64 v[140:141], v[132:133], 2, v[4:5]
	s_clause 0x1
	global_load_b32 v133, v[140:141], off
	global_load_b32 v139, v[4:5], off offset:128
	s_wait_loadcnt 0x1
	global_store_b32 v[4:5], v133, off offset:128
	s_wait_loadcnt 0x0
	global_store_b32 v[140:141], v139, off
.LBB124_686:
	s_wait_xcnt 0x0
	s_or_b32 exec_lo, exec_lo, s12
	v_dual_mov_b32 v140, v132 :: v_dual_mov_b32 v139, v132
.LBB124_687:
	s_or_b32 exec_lo, exec_lo, s1
.LBB124_688:
	s_and_not1_saveexec_b32 s0, s0
	s_cbranch_execz .LBB124_690
; %bb.689:
	v_mov_b32_e32 v140, 32
	ds_store_2addr_b64 v136, v[90:91], v[40:41] offset0:33 offset1:34
	ds_store_2addr_b64 v136, v[38:39], v[88:89] offset0:35 offset1:36
	;; [unrolled: 1-line block ×15, first 2 shown]
.LBB124_690:
	s_or_b32 exec_lo, exec_lo, s0
	s_delay_alu instid0(SALU_CYCLE_1)
	s_mov_b32 s0, exec_lo
	s_wait_storecnt_dscnt 0x0
	s_barrier_signal -1
	s_barrier_wait -1
	v_cmpx_lt_i32_e32 32, v140
	s_cbranch_execz .LBB124_692
; %bb.691:
	v_pk_mul_f32 v[142:143], v[134:135], v[92:93] op_sel:[1,1] op_sel_hi:[0,1]
	s_delay_alu instid0(VALU_DEP_1)
	v_pk_fma_f32 v[132:133], v[134:135], v[92:93], v[142:143] op_sel_hi:[1,0,1] neg_lo:[0,0,1] neg_hi:[0,0,1]
	v_pk_fma_f32 v[134:135], v[134:135], v[92:93], v[142:143] op_sel_hi:[1,0,1]
	ds_load_2addr_b64 v[142:145], v136 offset0:33 offset1:34
	v_dual_mov_b32 v92, v132 :: v_dual_mov_b32 v93, v135
	s_wait_dscnt 0x0
	v_pk_mul_f32 v[146:147], v[142:143], v[134:135] op_sel:[0,1]
	s_delay_alu instid0(VALU_DEP_1) | instskip(SKIP_1) | instid1(VALU_DEP_1)
	v_pk_fma_f32 v[148:149], v[142:143], v[132:133], v[146:147] op_sel:[0,0,1] op_sel_hi:[1,1,0] neg_lo:[0,0,1] neg_hi:[0,0,1]
	v_pk_fma_f32 v[142:143], v[142:143], v[132:133], v[146:147] op_sel:[0,0,1] op_sel_hi:[1,0,0]
	v_mov_b32_e32 v149, v143
	v_pk_mul_f32 v[142:143], v[144:145], v[134:135] op_sel:[0,1]
	s_delay_alu instid0(VALU_DEP_1) | instskip(SKIP_1) | instid1(VALU_DEP_1)
	v_pk_fma_f32 v[146:147], v[144:145], v[132:133], v[142:143] op_sel:[0,0,1] op_sel_hi:[1,1,0] neg_lo:[0,0,1] neg_hi:[0,0,1]
	v_pk_fma_f32 v[142:143], v[144:145], v[132:133], v[142:143] op_sel:[0,0,1] op_sel_hi:[1,0,0]
	v_mov_b32_e32 v147, v143
	ds_load_2addr_b64 v[142:145], v136 offset0:35 offset1:36
	v_pk_add_f32 v[90:91], v[90:91], v[148:149] neg_lo:[0,1] neg_hi:[0,1]
	v_pk_add_f32 v[40:41], v[40:41], v[146:147] neg_lo:[0,1] neg_hi:[0,1]
	s_wait_dscnt 0x0
	v_pk_mul_f32 v[146:147], v[142:143], v[134:135] op_sel:[0,1]
	s_delay_alu instid0(VALU_DEP_1) | instskip(SKIP_2) | instid1(VALU_DEP_2)
	v_pk_fma_f32 v[148:149], v[142:143], v[132:133], v[146:147] op_sel:[0,0,1] op_sel_hi:[1,1,0] neg_lo:[0,0,1] neg_hi:[0,0,1]
	v_pk_fma_f32 v[142:143], v[142:143], v[132:133], v[146:147] op_sel:[0,0,1] op_sel_hi:[1,0,0]
	v_dual_mul_f32 v146, v145, v135 :: v_dual_mov_b32 v142, v145
	v_dual_mov_b32 v149, v143 :: v_dual_mov_b32 v143, v144
	s_delay_alu instid0(VALU_DEP_2) | instskip(SKIP_1) | instid1(VALU_DEP_3)
	v_pk_fma_f32 v[146:147], v[144:145], v[92:93], v[146:147] op_sel_hi:[1,1,0] neg_lo:[0,0,1] neg_hi:[0,0,1]
	v_mul_f32_e32 v144, v145, v132
	v_pk_add_f32 v[38:39], v[38:39], v[148:149] neg_lo:[0,1] neg_hi:[0,1]
	s_delay_alu instid0(VALU_DEP_2) | instskip(NEXT) | instid1(VALU_DEP_1)
	v_pk_fma_f32 v[142:143], v[142:143], v[92:93], v[144:145] op_sel_hi:[1,1,0]
	v_mov_b32_e32 v147, v143
	ds_load_2addr_b64 v[142:145], v136 offset0:37 offset1:38
	v_pk_add_f32 v[88:89], v[88:89], v[146:147] neg_lo:[0,1] neg_hi:[0,1]
	s_wait_dscnt 0x0
	v_pk_mul_f32 v[146:147], v[142:143], v[134:135] op_sel:[0,1]
	s_delay_alu instid0(VALU_DEP_1) | instskip(SKIP_1) | instid1(VALU_DEP_1)
	v_pk_fma_f32 v[148:149], v[142:143], v[132:133], v[146:147] op_sel:[0,0,1] op_sel_hi:[1,1,0] neg_lo:[0,0,1] neg_hi:[0,0,1]
	v_pk_fma_f32 v[142:143], v[142:143], v[132:133], v[146:147] op_sel:[0,0,1] op_sel_hi:[1,0,0]
	v_mov_b32_e32 v149, v143
	v_pk_mul_f32 v[142:143], v[144:145], v[134:135] op_sel:[0,1]
	s_delay_alu instid0(VALU_DEP_1) | instskip(SKIP_1) | instid1(VALU_DEP_1)
	v_pk_fma_f32 v[146:147], v[144:145], v[132:133], v[142:143] op_sel:[0,0,1] op_sel_hi:[1,1,0] neg_lo:[0,0,1] neg_hi:[0,0,1]
	v_pk_fma_f32 v[142:143], v[144:145], v[132:133], v[142:143] op_sel:[0,0,1] op_sel_hi:[1,0,0]
	v_mov_b32_e32 v147, v143
	ds_load_2addr_b64 v[142:145], v136 offset0:39 offset1:40
	v_pk_add_f32 v[86:87], v[86:87], v[148:149] neg_lo:[0,1] neg_hi:[0,1]
	v_pk_add_f32 v[36:37], v[36:37], v[146:147] neg_lo:[0,1] neg_hi:[0,1]
	s_wait_dscnt 0x0
	v_pk_mul_f32 v[146:147], v[142:143], v[134:135] op_sel:[0,1]
	s_delay_alu instid0(VALU_DEP_1) | instskip(SKIP_1) | instid1(VALU_DEP_1)
	v_pk_fma_f32 v[148:149], v[142:143], v[132:133], v[146:147] op_sel:[0,0,1] op_sel_hi:[1,1,0] neg_lo:[0,0,1] neg_hi:[0,0,1]
	v_pk_fma_f32 v[142:143], v[142:143], v[132:133], v[146:147] op_sel:[0,0,1] op_sel_hi:[1,0,0]
	v_mov_b32_e32 v149, v143
	v_pk_mul_f32 v[142:143], v[144:145], v[134:135] op_sel:[0,1]
	s_delay_alu instid0(VALU_DEP_1) | instskip(SKIP_1) | instid1(VALU_DEP_1)
	v_pk_fma_f32 v[146:147], v[144:145], v[132:133], v[142:143] op_sel:[0,0,1] op_sel_hi:[1,1,0] neg_lo:[0,0,1] neg_hi:[0,0,1]
	v_pk_fma_f32 v[142:143], v[144:145], v[132:133], v[142:143] op_sel:[0,0,1] op_sel_hi:[1,0,0]
	v_mov_b32_e32 v147, v143
	ds_load_2addr_b64 v[142:145], v136 offset0:41 offset1:42
	v_pk_add_f32 v[32:33], v[32:33], v[148:149] neg_lo:[0,1] neg_hi:[0,1]
	v_pk_add_f32 v[84:85], v[84:85], v[146:147] neg_lo:[0,1] neg_hi:[0,1]
	s_wait_dscnt 0x0
	v_dual_mul_f32 v146, v143, v135 :: v_dual_mul_f32 v148, v143, v132
	s_delay_alu instid0(VALU_DEP_1) | instskip(NEXT) | instid1(VALU_DEP_2)
	v_pk_fma_f32 v[146:147], v[142:143], v[92:93], v[146:147] op_sel_hi:[1,1,0] neg_lo:[0,0,1] neg_hi:[0,0,1]
	v_pk_fma_f32 v[142:143], v[142:143], v[92:93], v[148:149] op_sel:[1,0,0] op_sel_hi:[0,1,0]
	s_delay_alu instid0(VALU_DEP_1) | instskip(SKIP_1) | instid1(VALU_DEP_2)
	v_mov_b32_e32 v147, v143
	v_pk_mul_f32 v[142:143], v[144:145], v[134:135] op_sel:[0,1]
	v_pk_add_f32 v[82:83], v[82:83], v[146:147] neg_lo:[0,1] neg_hi:[0,1]
	s_delay_alu instid0(VALU_DEP_2) | instskip(SKIP_1) | instid1(VALU_DEP_1)
	v_pk_fma_f32 v[146:147], v[144:145], v[132:133], v[142:143] op_sel:[0,0,1] op_sel_hi:[1,1,0] neg_lo:[0,0,1] neg_hi:[0,0,1]
	v_pk_fma_f32 v[142:143], v[144:145], v[132:133], v[142:143] op_sel:[0,0,1] op_sel_hi:[1,0,0]
	v_mov_b32_e32 v147, v143
	ds_load_2addr_b64 v[142:145], v136 offset0:43 offset1:44
	v_pk_add_f32 v[24:25], v[24:25], v[146:147] neg_lo:[0,1] neg_hi:[0,1]
	s_wait_dscnt 0x0
	v_pk_mul_f32 v[146:147], v[142:143], v[134:135] op_sel:[0,1]
	s_delay_alu instid0(VALU_DEP_1) | instskip(SKIP_1) | instid1(VALU_DEP_1)
	v_pk_fma_f32 v[148:149], v[142:143], v[132:133], v[146:147] op_sel:[0,0,1] op_sel_hi:[1,1,0] neg_lo:[0,0,1] neg_hi:[0,0,1]
	v_pk_fma_f32 v[142:143], v[142:143], v[132:133], v[146:147] op_sel:[0,0,1] op_sel_hi:[1,0,0]
	v_mov_b32_e32 v149, v143
	v_pk_mul_f32 v[142:143], v[144:145], v[134:135] op_sel:[0,1]
	s_delay_alu instid0(VALU_DEP_2) | instskip(NEXT) | instid1(VALU_DEP_2)
	v_pk_add_f32 v[22:23], v[22:23], v[148:149] neg_lo:[0,1] neg_hi:[0,1]
	v_pk_fma_f32 v[146:147], v[144:145], v[132:133], v[142:143] op_sel:[0,0,1] op_sel_hi:[1,1,0] neg_lo:[0,0,1] neg_hi:[0,0,1]
	v_pk_fma_f32 v[142:143], v[144:145], v[132:133], v[142:143] op_sel:[0,0,1] op_sel_hi:[1,0,0]
	s_delay_alu instid0(VALU_DEP_1) | instskip(SKIP_4) | instid1(VALU_DEP_1)
	v_mov_b32_e32 v147, v143
	ds_load_2addr_b64 v[142:145], v136 offset0:45 offset1:46
	v_pk_add_f32 v[80:81], v[80:81], v[146:147] neg_lo:[0,1] neg_hi:[0,1]
	s_wait_dscnt 0x0
	v_pk_mul_f32 v[146:147], v[142:143], v[134:135] op_sel:[0,1]
	v_pk_fma_f32 v[148:149], v[142:143], v[132:133], v[146:147] op_sel:[0,0,1] op_sel_hi:[1,1,0] neg_lo:[0,0,1] neg_hi:[0,0,1]
	v_pk_fma_f32 v[142:143], v[142:143], v[132:133], v[146:147] op_sel:[0,0,1] op_sel_hi:[1,0,0]
	v_dual_mul_f32 v146, v145, v135 :: v_dual_mov_b32 v142, v145
	s_delay_alu instid0(VALU_DEP_2) | instskip(NEXT) | instid1(VALU_DEP_2)
	v_dual_mov_b32 v149, v143 :: v_dual_mov_b32 v143, v144
	v_pk_fma_f32 v[146:147], v[144:145], v[92:93], v[146:147] op_sel_hi:[1,1,0] neg_lo:[0,0,1] neg_hi:[0,0,1]
	v_mul_f32_e32 v144, v145, v132
	s_delay_alu instid0(VALU_DEP_3) | instskip(NEXT) | instid1(VALU_DEP_2)
	v_pk_add_f32 v[78:79], v[78:79], v[148:149] neg_lo:[0,1] neg_hi:[0,1]
	v_pk_fma_f32 v[142:143], v[142:143], v[92:93], v[144:145] op_sel_hi:[1,1,0]
	s_delay_alu instid0(VALU_DEP_1) | instskip(SKIP_4) | instid1(VALU_DEP_1)
	v_mov_b32_e32 v147, v143
	ds_load_2addr_b64 v[142:145], v136 offset0:47 offset1:48
	v_pk_add_f32 v[20:21], v[20:21], v[146:147] neg_lo:[0,1] neg_hi:[0,1]
	s_wait_dscnt 0x0
	v_pk_mul_f32 v[146:147], v[142:143], v[134:135] op_sel:[0,1]
	v_pk_fma_f32 v[148:149], v[142:143], v[132:133], v[146:147] op_sel:[0,0,1] op_sel_hi:[1,1,0] neg_lo:[0,0,1] neg_hi:[0,0,1]
	v_pk_fma_f32 v[142:143], v[142:143], v[132:133], v[146:147] op_sel:[0,0,1] op_sel_hi:[1,0,0]
	s_delay_alu instid0(VALU_DEP_1) | instskip(SKIP_1) | instid1(VALU_DEP_1)
	v_mov_b32_e32 v149, v143
	v_pk_mul_f32 v[142:143], v[144:145], v[134:135] op_sel:[0,1]
	v_pk_fma_f32 v[146:147], v[144:145], v[132:133], v[142:143] op_sel:[0,0,1] op_sel_hi:[1,1,0] neg_lo:[0,0,1] neg_hi:[0,0,1]
	v_pk_fma_f32 v[142:143], v[144:145], v[132:133], v[142:143] op_sel:[0,0,1] op_sel_hi:[1,0,0]
	s_delay_alu instid0(VALU_DEP_1)
	v_mov_b32_e32 v147, v143
	ds_load_2addr_b64 v[142:145], v136 offset0:49 offset1:50
	v_pk_add_f32 v[18:19], v[18:19], v[148:149] neg_lo:[0,1] neg_hi:[0,1]
	v_pk_add_f32 v[76:77], v[76:77], v[146:147] neg_lo:[0,1] neg_hi:[0,1]
	s_wait_dscnt 0x0
	v_pk_mul_f32 v[146:147], v[142:143], v[134:135] op_sel:[0,1]
	s_delay_alu instid0(VALU_DEP_1) | instskip(SKIP_1) | instid1(VALU_DEP_1)
	v_pk_fma_f32 v[148:149], v[142:143], v[132:133], v[146:147] op_sel:[0,0,1] op_sel_hi:[1,1,0] neg_lo:[0,0,1] neg_hi:[0,0,1]
	v_pk_fma_f32 v[142:143], v[142:143], v[132:133], v[146:147] op_sel:[0,0,1] op_sel_hi:[1,0,0]
	v_mov_b32_e32 v149, v143
	v_pk_mul_f32 v[142:143], v[144:145], v[134:135] op_sel:[0,1]
	s_delay_alu instid0(VALU_DEP_1) | instskip(SKIP_1) | instid1(VALU_DEP_1)
	v_pk_fma_f32 v[146:147], v[144:145], v[132:133], v[142:143] op_sel:[0,0,1] op_sel_hi:[1,1,0] neg_lo:[0,0,1] neg_hi:[0,0,1]
	v_pk_fma_f32 v[142:143], v[144:145], v[132:133], v[142:143] op_sel:[0,0,1] op_sel_hi:[1,0,0]
	v_mov_b32_e32 v147, v143
	ds_load_2addr_b64 v[142:145], v136 offset0:51 offset1:52
	v_pk_add_f32 v[74:75], v[74:75], v[148:149] neg_lo:[0,1] neg_hi:[0,1]
	v_pk_add_f32 v[16:17], v[16:17], v[146:147] neg_lo:[0,1] neg_hi:[0,1]
	s_wait_dscnt 0x0
	v_dual_mul_f32 v146, v143, v135 :: v_dual_mul_f32 v148, v143, v132
	s_delay_alu instid0(VALU_DEP_1) | instskip(NEXT) | instid1(VALU_DEP_2)
	v_pk_fma_f32 v[146:147], v[142:143], v[92:93], v[146:147] op_sel_hi:[1,1,0] neg_lo:[0,0,1] neg_hi:[0,0,1]
	v_pk_fma_f32 v[142:143], v[142:143], v[92:93], v[148:149] op_sel:[1,0,0] op_sel_hi:[0,1,0]
	s_delay_alu instid0(VALU_DEP_1) | instskip(SKIP_1) | instid1(VALU_DEP_2)
	v_mov_b32_e32 v147, v143
	v_pk_mul_f32 v[142:143], v[144:145], v[134:135] op_sel:[0,1]
	v_pk_add_f32 v[28:29], v[28:29], v[146:147] neg_lo:[0,1] neg_hi:[0,1]
	s_delay_alu instid0(VALU_DEP_2) | instskip(SKIP_1) | instid1(VALU_DEP_1)
	v_pk_fma_f32 v[146:147], v[144:145], v[132:133], v[142:143] op_sel:[0,0,1] op_sel_hi:[1,1,0] neg_lo:[0,0,1] neg_hi:[0,0,1]
	v_pk_fma_f32 v[142:143], v[144:145], v[132:133], v[142:143] op_sel:[0,0,1] op_sel_hi:[1,0,0]
	v_mov_b32_e32 v147, v143
	ds_load_2addr_b64 v[142:145], v136 offset0:53 offset1:54
	v_pk_add_f32 v[68:69], v[68:69], v[146:147] neg_lo:[0,1] neg_hi:[0,1]
	s_wait_dscnt 0x0
	v_pk_mul_f32 v[146:147], v[142:143], v[134:135] op_sel:[0,1]
	s_delay_alu instid0(VALU_DEP_1) | instskip(SKIP_1) | instid1(VALU_DEP_1)
	v_pk_fma_f32 v[148:149], v[142:143], v[132:133], v[146:147] op_sel:[0,0,1] op_sel_hi:[1,1,0] neg_lo:[0,0,1] neg_hi:[0,0,1]
	v_pk_fma_f32 v[142:143], v[142:143], v[132:133], v[146:147] op_sel:[0,0,1] op_sel_hi:[1,0,0]
	v_mov_b32_e32 v149, v143
	v_pk_mul_f32 v[142:143], v[144:145], v[134:135] op_sel:[0,1]
	s_delay_alu instid0(VALU_DEP_2) | instskip(NEXT) | instid1(VALU_DEP_2)
	v_pk_add_f32 v[66:67], v[66:67], v[148:149] neg_lo:[0,1] neg_hi:[0,1]
	v_pk_fma_f32 v[146:147], v[144:145], v[132:133], v[142:143] op_sel:[0,0,1] op_sel_hi:[1,1,0] neg_lo:[0,0,1] neg_hi:[0,0,1]
	v_pk_fma_f32 v[142:143], v[144:145], v[132:133], v[142:143] op_sel:[0,0,1] op_sel_hi:[1,0,0]
	s_delay_alu instid0(VALU_DEP_1) | instskip(SKIP_4) | instid1(VALU_DEP_1)
	v_mov_b32_e32 v147, v143
	ds_load_2addr_b64 v[142:145], v136 offset0:55 offset1:56
	v_pk_add_f32 v[10:11], v[10:11], v[146:147] neg_lo:[0,1] neg_hi:[0,1]
	s_wait_dscnt 0x0
	v_pk_mul_f32 v[146:147], v[142:143], v[134:135] op_sel:[0,1]
	v_pk_fma_f32 v[148:149], v[142:143], v[132:133], v[146:147] op_sel:[0,0,1] op_sel_hi:[1,1,0] neg_lo:[0,0,1] neg_hi:[0,0,1]
	v_pk_fma_f32 v[142:143], v[142:143], v[132:133], v[146:147] op_sel:[0,0,1] op_sel_hi:[1,0,0]
	v_dual_mul_f32 v146, v145, v135 :: v_dual_mov_b32 v142, v145
	s_delay_alu instid0(VALU_DEP_2) | instskip(NEXT) | instid1(VALU_DEP_2)
	v_dual_mov_b32 v149, v143 :: v_dual_mov_b32 v143, v144
	v_pk_fma_f32 v[146:147], v[144:145], v[92:93], v[146:147] op_sel_hi:[1,1,0] neg_lo:[0,0,1] neg_hi:[0,0,1]
	v_mul_f32_e32 v144, v145, v132
	s_delay_alu instid0(VALU_DEP_3) | instskip(NEXT) | instid1(VALU_DEP_2)
	v_pk_add_f32 v[8:9], v[8:9], v[148:149] neg_lo:[0,1] neg_hi:[0,1]
	v_pk_fma_f32 v[142:143], v[142:143], v[92:93], v[144:145] op_sel_hi:[1,1,0]
	s_delay_alu instid0(VALU_DEP_1) | instskip(SKIP_4) | instid1(VALU_DEP_1)
	v_mov_b32_e32 v147, v143
	ds_load_2addr_b64 v[142:145], v136 offset0:57 offset1:58
	v_pk_add_f32 v[34:35], v[34:35], v[146:147] neg_lo:[0,1] neg_hi:[0,1]
	s_wait_dscnt 0x0
	v_pk_mul_f32 v[146:147], v[142:143], v[134:135] op_sel:[0,1]
	v_pk_fma_f32 v[148:149], v[142:143], v[132:133], v[146:147] op_sel:[0,0,1] op_sel_hi:[1,1,0] neg_lo:[0,0,1] neg_hi:[0,0,1]
	v_pk_fma_f32 v[142:143], v[142:143], v[132:133], v[146:147] op_sel:[0,0,1] op_sel_hi:[1,0,0]
	s_delay_alu instid0(VALU_DEP_1) | instskip(SKIP_1) | instid1(VALU_DEP_1)
	v_mov_b32_e32 v149, v143
	v_pk_mul_f32 v[142:143], v[144:145], v[134:135] op_sel:[0,1]
	v_pk_fma_f32 v[146:147], v[144:145], v[132:133], v[142:143] op_sel:[0,0,1] op_sel_hi:[1,1,0] neg_lo:[0,0,1] neg_hi:[0,0,1]
	v_pk_fma_f32 v[142:143], v[144:145], v[132:133], v[142:143] op_sel:[0,0,1] op_sel_hi:[1,0,0]
	s_delay_alu instid0(VALU_DEP_1)
	v_mov_b32_e32 v147, v143
	ds_load_2addr_b64 v[142:145], v136 offset0:59 offset1:60
	v_pk_add_f32 v[30:31], v[30:31], v[148:149] neg_lo:[0,1] neg_hi:[0,1]
	v_pk_add_f32 v[6:7], v[6:7], v[146:147] neg_lo:[0,1] neg_hi:[0,1]
	s_wait_dscnt 0x0
	v_pk_mul_f32 v[146:147], v[142:143], v[134:135] op_sel:[0,1]
	s_delay_alu instid0(VALU_DEP_1) | instskip(SKIP_1) | instid1(VALU_DEP_1)
	v_pk_fma_f32 v[148:149], v[142:143], v[132:133], v[146:147] op_sel:[0,0,1] op_sel_hi:[1,1,0] neg_lo:[0,0,1] neg_hi:[0,0,1]
	v_pk_fma_f32 v[142:143], v[142:143], v[132:133], v[146:147] op_sel:[0,0,1] op_sel_hi:[1,0,0]
	v_mov_b32_e32 v149, v143
	v_pk_mul_f32 v[142:143], v[144:145], v[134:135] op_sel:[0,1]
	s_delay_alu instid0(VALU_DEP_1) | instskip(SKIP_1) | instid1(VALU_DEP_1)
	v_pk_fma_f32 v[146:147], v[144:145], v[132:133], v[142:143] op_sel:[0,0,1] op_sel_hi:[1,1,0] neg_lo:[0,0,1] neg_hi:[0,0,1]
	v_pk_fma_f32 v[142:143], v[144:145], v[132:133], v[142:143] op_sel:[0,0,1] op_sel_hi:[1,0,0]
	v_mov_b32_e32 v147, v143
	ds_load_2addr_b64 v[142:145], v136 offset0:61 offset1:62
	v_pk_add_f32 v[26:27], v[26:27], v[148:149] neg_lo:[0,1] neg_hi:[0,1]
	v_pk_add_f32 v[14:15], v[14:15], v[146:147] neg_lo:[0,1] neg_hi:[0,1]
	s_wait_dscnt 0x0
	v_mul_f32_e32 v134, v143, v135
	s_delay_alu instid0(VALU_DEP_1) | instskip(SKIP_1) | instid1(VALU_DEP_1)
	v_pk_fma_f32 v[146:147], v[142:143], v[92:93], v[134:135] op_sel_hi:[1,1,0] neg_lo:[0,0,1] neg_hi:[0,0,1]
	v_dual_mul_f32 v134, v143, v132 :: v_dual_mul_f32 v132, v145, v132
	v_pk_fma_f32 v[142:143], v[142:143], v[92:93], v[134:135] op_sel:[1,0,0] op_sel_hi:[0,1,0]
	v_dual_mov_b32 v142, v145 :: v_dual_mul_f32 v134, v145, v135
	s_delay_alu instid0(VALU_DEP_2) | instskip(NEXT) | instid1(VALU_DEP_2)
	v_dual_mov_b32 v147, v143 :: v_dual_mov_b32 v143, v144
	v_pk_fma_f32 v[134:135], v[144:145], v[92:93], v[134:135] op_sel_hi:[1,1,0] neg_lo:[0,0,1] neg_hi:[0,0,1]
	s_delay_alu instid0(VALU_DEP_2) | instskip(NEXT) | instid1(VALU_DEP_3)
	v_pk_add_f32 v[12:13], v[12:13], v[146:147] neg_lo:[0,1] neg_hi:[0,1]
	v_pk_fma_f32 v[132:133], v[142:143], v[92:93], v[132:133] op_sel_hi:[1,1,0]
	s_delay_alu instid0(VALU_DEP_1) | instskip(NEXT) | instid1(VALU_DEP_1)
	v_mov_b32_e32 v135, v133
	v_pk_add_f32 v[130:131], v[130:131], v[134:135] neg_lo:[0,1] neg_hi:[0,1]
.LBB124_692:
	s_or_b32 exec_lo, exec_lo, s0
	v_lshl_add_u32 v132, v140, 3, v136
	s_barrier_signal -1
	s_barrier_wait -1
	ds_store_b64 v132, v[90:91]
	s_wait_dscnt 0x0
	s_barrier_signal -1
	s_barrier_wait -1
	ds_load_b64 v[134:135], v136 offset:264
	v_mov_b32_e32 v132, 33
	s_cmp_lt_i32 s18, 35
	s_cbranch_scc1 .LBB124_695
; %bb.693:
	v_add3_u32 v133, v137, 0, 0x110
	v_mov_b32_e32 v132, 33
	s_mov_b32 s0, 34
.LBB124_694:                            ; =>This Inner Loop Header: Depth=1
	ds_load_b64 v[142:143], v133
	s_wait_dscnt 0x1
	v_cmp_gt_f32_e32 vcc_lo, 0, v134
	v_cndmask_b32_e64 v144, v134, -v134, vcc_lo
	v_cmp_gt_f32_e32 vcc_lo, 0, v135
	v_cndmask_b32_e64 v146, v135, -v135, vcc_lo
	s_wait_dscnt 0x0
	v_cmp_gt_f32_e32 vcc_lo, 0, v142
	v_cndmask_b32_e64 v145, v142, -v142, vcc_lo
	v_cmp_gt_f32_e32 vcc_lo, 0, v143
	v_cndmask_b32_e64 v147, v143, -v143, vcc_lo
	s_delay_alu instid0(VALU_DEP_1) | instskip(NEXT) | instid1(VALU_DEP_1)
	v_pk_add_f32 v[144:145], v[144:145], v[146:147]
	v_cmp_lt_f32_e32 vcc_lo, v144, v145
	v_dual_add_nc_u32 v133, 8, v133 :: v_dual_cndmask_b32 v135, v135, v143, vcc_lo
	v_cndmask_b32_e32 v134, v134, v142, vcc_lo
	v_cndmask_b32_e64 v132, v132, s0, vcc_lo
	s_add_co_i32 s0, s0, 1
	s_delay_alu instid0(SALU_CYCLE_1)
	s_cmp_lg_u32 s18, s0
	s_cbranch_scc1 .LBB124_694
.LBB124_695:
	s_wait_dscnt 0x0
	v_cmp_eq_f32_e32 vcc_lo, 0, v134
	v_cmp_eq_f32_e64 s0, 0, v135
	s_and_b32 s0, vcc_lo, s0
	s_delay_alu instid0(SALU_CYCLE_1) | instskip(NEXT) | instid1(SALU_CYCLE_1)
	s_and_saveexec_b32 s1, s0
	s_xor_b32 s0, exec_lo, s1
; %bb.696:
	v_cmp_ne_u32_e32 vcc_lo, 0, v138
	v_cndmask_b32_e32 v138, 34, v138, vcc_lo
; %bb.697:
	s_and_not1_saveexec_b32 s0, s0
	s_cbranch_execz .LBB124_703
; %bb.698:
	v_cmp_ngt_f32_e64 s1, |v134|, |v135|
	s_and_saveexec_b32 s12, s1
	s_delay_alu instid0(SALU_CYCLE_1)
	s_xor_b32 s1, exec_lo, s12
	s_cbranch_execz .LBB124_700
; %bb.699:
	v_div_scale_f32 v133, null, v135, v135, v134
	v_div_scale_f32 v143, vcc_lo, v134, v135, v134
	s_delay_alu instid0(VALU_DEP_2) | instskip(SKIP_1) | instid1(TRANS32_DEP_1)
	v_rcp_f32_e32 v141, v133
	v_nop
	v_fma_f32 v142, -v133, v141, 1.0
	s_delay_alu instid0(VALU_DEP_1) | instskip(NEXT) | instid1(VALU_DEP_1)
	v_fmac_f32_e32 v141, v142, v141
	v_mul_f32_e32 v142, v143, v141
	s_delay_alu instid0(VALU_DEP_1) | instskip(NEXT) | instid1(VALU_DEP_1)
	v_fma_f32 v144, -v133, v142, v143
	v_fmac_f32_e32 v142, v144, v141
	s_delay_alu instid0(VALU_DEP_1) | instskip(NEXT) | instid1(VALU_DEP_1)
	v_fma_f32 v133, -v133, v142, v143
	v_div_fmas_f32 v133, v133, v141, v142
	s_delay_alu instid0(VALU_DEP_1) | instskip(NEXT) | instid1(VALU_DEP_1)
	v_div_fixup_f32 v133, v133, v135, v134
	v_fmac_f32_e32 v135, v134, v133
	s_delay_alu instid0(VALU_DEP_1) | instskip(SKIP_1) | instid1(VALU_DEP_2)
	v_div_scale_f32 v134, null, v135, v135, 1.0
	v_div_scale_f32 v143, vcc_lo, 1.0, v135, 1.0
	v_rcp_f32_e32 v141, v134
	v_nop
	s_delay_alu instid0(TRANS32_DEP_1) | instskip(NEXT) | instid1(VALU_DEP_1)
	v_fma_f32 v142, -v134, v141, 1.0
	v_fmac_f32_e32 v141, v142, v141
	s_delay_alu instid0(VALU_DEP_1) | instskip(NEXT) | instid1(VALU_DEP_1)
	v_mul_f32_e32 v142, v143, v141
	v_fma_f32 v144, -v134, v142, v143
	s_delay_alu instid0(VALU_DEP_1) | instskip(NEXT) | instid1(VALU_DEP_1)
	v_fmac_f32_e32 v142, v144, v141
	v_fma_f32 v134, -v134, v142, v143
	s_delay_alu instid0(VALU_DEP_1) | instskip(NEXT) | instid1(VALU_DEP_1)
	v_div_fmas_f32 v134, v134, v141, v142
	v_div_fixup_f32 v135, v134, v135, 1.0
	s_delay_alu instid0(VALU_DEP_1)
	v_mul_f32_e32 v134, v133, v135
	v_xor_b32_e32 v135, 0x80000000, v135
.LBB124_700:
	s_and_not1_saveexec_b32 s1, s1
	s_cbranch_execz .LBB124_702
; %bb.701:
	s_delay_alu instid0(VALU_DEP_1) | instskip(SKIP_1) | instid1(VALU_DEP_2)
	v_div_scale_f32 v133, null, v134, v134, v135
	v_div_scale_f32 v143, vcc_lo, v135, v134, v135
	v_rcp_f32_e32 v141, v133
	v_nop
	s_delay_alu instid0(TRANS32_DEP_1) | instskip(NEXT) | instid1(VALU_DEP_1)
	v_fma_f32 v142, -v133, v141, 1.0
	v_fmac_f32_e32 v141, v142, v141
	s_delay_alu instid0(VALU_DEP_1) | instskip(NEXT) | instid1(VALU_DEP_1)
	v_mul_f32_e32 v142, v143, v141
	v_fma_f32 v144, -v133, v142, v143
	s_delay_alu instid0(VALU_DEP_1) | instskip(NEXT) | instid1(VALU_DEP_1)
	v_fmac_f32_e32 v142, v144, v141
	v_fma_f32 v133, -v133, v142, v143
	s_delay_alu instid0(VALU_DEP_1) | instskip(NEXT) | instid1(VALU_DEP_1)
	v_div_fmas_f32 v133, v133, v141, v142
	v_div_fixup_f32 v133, v133, v134, v135
	s_delay_alu instid0(VALU_DEP_1) | instskip(NEXT) | instid1(VALU_DEP_1)
	v_fmac_f32_e32 v134, v135, v133
	v_div_scale_f32 v135, null, v134, v134, 1.0
	s_delay_alu instid0(VALU_DEP_1) | instskip(SKIP_1) | instid1(TRANS32_DEP_1)
	v_rcp_f32_e32 v141, v135
	v_nop
	v_fma_f32 v142, -v135, v141, 1.0
	s_delay_alu instid0(VALU_DEP_1) | instskip(SKIP_1) | instid1(VALU_DEP_1)
	v_fmac_f32_e32 v141, v142, v141
	v_div_scale_f32 v142, vcc_lo, 1.0, v134, 1.0
	v_mul_f32_e32 v143, v142, v141
	s_delay_alu instid0(VALU_DEP_1) | instskip(NEXT) | instid1(VALU_DEP_1)
	v_fma_f32 v144, -v135, v143, v142
	v_fmac_f32_e32 v143, v144, v141
	s_delay_alu instid0(VALU_DEP_1) | instskip(NEXT) | instid1(VALU_DEP_1)
	v_fma_f32 v135, -v135, v143, v142
	v_div_fmas_f32 v135, v135, v141, v143
	s_delay_alu instid0(VALU_DEP_1) | instskip(NEXT) | instid1(VALU_DEP_1)
	v_div_fixup_f32 v134, v135, v134, 1.0
	v_mul_f32_e64 v135, v133, -v134
.LBB124_702:
	s_or_b32 exec_lo, exec_lo, s1
.LBB124_703:
	s_delay_alu instid0(SALU_CYCLE_1) | instskip(NEXT) | instid1(SALU_CYCLE_1)
	s_or_b32 exec_lo, exec_lo, s0
	s_mov_b32 s0, exec_lo
	v_cmpx_ne_u32_e64 v140, v132
	s_xor_b32 s0, exec_lo, s0
	s_cbranch_execz .LBB124_709
; %bb.704:
	s_mov_b32 s1, exec_lo
	v_cmpx_eq_u32_e32 33, v140
	s_cbranch_execz .LBB124_708
; %bb.705:
	v_cmp_ne_u32_e32 vcc_lo, 33, v132
	s_xor_b32 s12, s16, -1
	s_delay_alu instid0(SALU_CYCLE_1) | instskip(NEXT) | instid1(SALU_CYCLE_1)
	s_and_b32 s13, s12, vcc_lo
	s_and_saveexec_b32 s12, s13
	s_cbranch_execz .LBB124_707
; %bb.706:
	v_ashrrev_i32_e32 v133, 31, v132
	s_delay_alu instid0(VALU_DEP_1)
	v_lshl_add_u64 v[140:141], v[132:133], 2, v[4:5]
	s_clause 0x1
	global_load_b32 v133, v[140:141], off
	global_load_b32 v139, v[4:5], off offset:132
	s_wait_loadcnt 0x1
	global_store_b32 v[4:5], v133, off offset:132
	s_wait_loadcnt 0x0
	global_store_b32 v[140:141], v139, off
.LBB124_707:
	s_wait_xcnt 0x0
	s_or_b32 exec_lo, exec_lo, s12
	v_dual_mov_b32 v140, v132 :: v_dual_mov_b32 v139, v132
.LBB124_708:
	s_or_b32 exec_lo, exec_lo, s1
.LBB124_709:
	s_and_not1_saveexec_b32 s0, s0
	s_cbranch_execz .LBB124_711
; %bb.710:
	v_dual_mov_b32 v132, v40 :: v_dual_mov_b32 v133, v41
	v_dual_mov_b32 v140, v38 :: v_dual_mov_b32 v141, v39
	ds_store_2addr_b64 v136, v[132:133], v[140:141] offset0:34 offset1:35
	v_dual_mov_b32 v132, v88 :: v_dual_mov_b32 v133, v89
	v_dual_mov_b32 v140, v86 :: v_dual_mov_b32 v141, v87
	ds_store_2addr_b64 v136, v[132:133], v[140:141] offset0:36 offset1:37
	;; [unrolled: 3-line block ×14, first 2 shown]
	ds_store_b64 v136, v[130:131] offset:496
	v_mov_b32_e32 v140, 33
.LBB124_711:
	s_or_b32 exec_lo, exec_lo, s0
	s_delay_alu instid0(SALU_CYCLE_1)
	s_mov_b32 s0, exec_lo
	s_wait_storecnt_dscnt 0x0
	s_barrier_signal -1
	s_barrier_wait -1
	v_cmpx_lt_i32_e32 33, v140
	s_cbranch_execz .LBB124_713
; %bb.712:
	v_pk_mul_f32 v[142:143], v[134:135], v[90:91] op_sel:[1,1] op_sel_hi:[0,1]
	s_delay_alu instid0(VALU_DEP_1)
	v_pk_fma_f32 v[132:133], v[134:135], v[90:91], v[142:143] op_sel_hi:[1,0,1] neg_lo:[0,0,1] neg_hi:[0,0,1]
	v_pk_fma_f32 v[134:135], v[134:135], v[90:91], v[142:143] op_sel_hi:[1,0,1]
	ds_load_2addr_b64 v[142:145], v136 offset0:34 offset1:35
	v_dual_mov_b32 v90, v132 :: v_dual_mov_b32 v91, v135
	s_wait_dscnt 0x0
	v_pk_mul_f32 v[146:147], v[142:143], v[134:135] op_sel:[0,1]
	s_delay_alu instid0(VALU_DEP_1) | instskip(SKIP_1) | instid1(VALU_DEP_1)
	v_pk_fma_f32 v[148:149], v[142:143], v[132:133], v[146:147] op_sel:[0,0,1] op_sel_hi:[1,1,0] neg_lo:[0,0,1] neg_hi:[0,0,1]
	v_pk_fma_f32 v[142:143], v[142:143], v[132:133], v[146:147] op_sel:[0,0,1] op_sel_hi:[1,0,0]
	v_mov_b32_e32 v149, v143
	v_pk_mul_f32 v[142:143], v[144:145], v[134:135] op_sel:[0,1]
	s_delay_alu instid0(VALU_DEP_1) | instskip(SKIP_1) | instid1(VALU_DEP_1)
	v_pk_fma_f32 v[146:147], v[144:145], v[132:133], v[142:143] op_sel:[0,0,1] op_sel_hi:[1,1,0] neg_lo:[0,0,1] neg_hi:[0,0,1]
	v_pk_fma_f32 v[142:143], v[144:145], v[132:133], v[142:143] op_sel:[0,0,1] op_sel_hi:[1,0,0]
	v_mov_b32_e32 v147, v143
	ds_load_2addr_b64 v[142:145], v136 offset0:36 offset1:37
	v_pk_add_f32 v[40:41], v[40:41], v[148:149] neg_lo:[0,1] neg_hi:[0,1]
	v_pk_add_f32 v[38:39], v[38:39], v[146:147] neg_lo:[0,1] neg_hi:[0,1]
	s_wait_dscnt 0x0
	v_pk_mul_f32 v[146:147], v[142:143], v[134:135] op_sel:[0,1]
	s_delay_alu instid0(VALU_DEP_1) | instskip(SKIP_2) | instid1(VALU_DEP_2)
	v_pk_fma_f32 v[148:149], v[142:143], v[132:133], v[146:147] op_sel:[0,0,1] op_sel_hi:[1,1,0] neg_lo:[0,0,1] neg_hi:[0,0,1]
	v_pk_fma_f32 v[142:143], v[142:143], v[132:133], v[146:147] op_sel:[0,0,1] op_sel_hi:[1,0,0]
	v_dual_mul_f32 v146, v145, v135 :: v_dual_mov_b32 v142, v145
	v_dual_mov_b32 v149, v143 :: v_dual_mov_b32 v143, v144
	s_delay_alu instid0(VALU_DEP_2) | instskip(SKIP_1) | instid1(VALU_DEP_3)
	v_pk_fma_f32 v[146:147], v[144:145], v[90:91], v[146:147] op_sel_hi:[1,1,0] neg_lo:[0,0,1] neg_hi:[0,0,1]
	v_mul_f32_e32 v144, v145, v132
	v_pk_add_f32 v[88:89], v[88:89], v[148:149] neg_lo:[0,1] neg_hi:[0,1]
	s_delay_alu instid0(VALU_DEP_2) | instskip(NEXT) | instid1(VALU_DEP_1)
	v_pk_fma_f32 v[142:143], v[142:143], v[90:91], v[144:145] op_sel_hi:[1,1,0]
	v_mov_b32_e32 v147, v143
	ds_load_2addr_b64 v[142:145], v136 offset0:38 offset1:39
	v_pk_add_f32 v[86:87], v[86:87], v[146:147] neg_lo:[0,1] neg_hi:[0,1]
	s_wait_dscnt 0x0
	v_pk_mul_f32 v[146:147], v[142:143], v[134:135] op_sel:[0,1]
	s_delay_alu instid0(VALU_DEP_1) | instskip(SKIP_1) | instid1(VALU_DEP_1)
	v_pk_fma_f32 v[148:149], v[142:143], v[132:133], v[146:147] op_sel:[0,0,1] op_sel_hi:[1,1,0] neg_lo:[0,0,1] neg_hi:[0,0,1]
	v_pk_fma_f32 v[142:143], v[142:143], v[132:133], v[146:147] op_sel:[0,0,1] op_sel_hi:[1,0,0]
	v_mov_b32_e32 v149, v143
	v_pk_mul_f32 v[142:143], v[144:145], v[134:135] op_sel:[0,1]
	s_delay_alu instid0(VALU_DEP_1) | instskip(SKIP_1) | instid1(VALU_DEP_1)
	v_pk_fma_f32 v[146:147], v[144:145], v[132:133], v[142:143] op_sel:[0,0,1] op_sel_hi:[1,1,0] neg_lo:[0,0,1] neg_hi:[0,0,1]
	v_pk_fma_f32 v[142:143], v[144:145], v[132:133], v[142:143] op_sel:[0,0,1] op_sel_hi:[1,0,0]
	v_mov_b32_e32 v147, v143
	ds_load_2addr_b64 v[142:145], v136 offset0:40 offset1:41
	v_pk_add_f32 v[36:37], v[36:37], v[148:149] neg_lo:[0,1] neg_hi:[0,1]
	v_pk_add_f32 v[32:33], v[32:33], v[146:147] neg_lo:[0,1] neg_hi:[0,1]
	s_wait_dscnt 0x0
	v_pk_mul_f32 v[146:147], v[142:143], v[134:135] op_sel:[0,1]
	s_delay_alu instid0(VALU_DEP_1) | instskip(SKIP_1) | instid1(VALU_DEP_1)
	v_pk_fma_f32 v[148:149], v[142:143], v[132:133], v[146:147] op_sel:[0,0,1] op_sel_hi:[1,1,0] neg_lo:[0,0,1] neg_hi:[0,0,1]
	v_pk_fma_f32 v[142:143], v[142:143], v[132:133], v[146:147] op_sel:[0,0,1] op_sel_hi:[1,0,0]
	v_mov_b32_e32 v149, v143
	v_pk_mul_f32 v[142:143], v[144:145], v[134:135] op_sel:[0,1]
	s_delay_alu instid0(VALU_DEP_1) | instskip(SKIP_1) | instid1(VALU_DEP_1)
	v_pk_fma_f32 v[146:147], v[144:145], v[132:133], v[142:143] op_sel:[0,0,1] op_sel_hi:[1,1,0] neg_lo:[0,0,1] neg_hi:[0,0,1]
	v_pk_fma_f32 v[142:143], v[144:145], v[132:133], v[142:143] op_sel:[0,0,1] op_sel_hi:[1,0,0]
	v_mov_b32_e32 v147, v143
	ds_load_2addr_b64 v[142:145], v136 offset0:42 offset1:43
	v_pk_add_f32 v[84:85], v[84:85], v[148:149] neg_lo:[0,1] neg_hi:[0,1]
	v_pk_add_f32 v[82:83], v[82:83], v[146:147] neg_lo:[0,1] neg_hi:[0,1]
	s_wait_dscnt 0x0
	v_dual_mul_f32 v146, v143, v135 :: v_dual_mul_f32 v148, v143, v132
	s_delay_alu instid0(VALU_DEP_1) | instskip(NEXT) | instid1(VALU_DEP_2)
	v_pk_fma_f32 v[146:147], v[142:143], v[90:91], v[146:147] op_sel_hi:[1,1,0] neg_lo:[0,0,1] neg_hi:[0,0,1]
	v_pk_fma_f32 v[142:143], v[142:143], v[90:91], v[148:149] op_sel:[1,0,0] op_sel_hi:[0,1,0]
	s_delay_alu instid0(VALU_DEP_1) | instskip(SKIP_1) | instid1(VALU_DEP_2)
	v_mov_b32_e32 v147, v143
	v_pk_mul_f32 v[142:143], v[144:145], v[134:135] op_sel:[0,1]
	v_pk_add_f32 v[24:25], v[24:25], v[146:147] neg_lo:[0,1] neg_hi:[0,1]
	s_delay_alu instid0(VALU_DEP_2) | instskip(SKIP_1) | instid1(VALU_DEP_1)
	v_pk_fma_f32 v[146:147], v[144:145], v[132:133], v[142:143] op_sel:[0,0,1] op_sel_hi:[1,1,0] neg_lo:[0,0,1] neg_hi:[0,0,1]
	v_pk_fma_f32 v[142:143], v[144:145], v[132:133], v[142:143] op_sel:[0,0,1] op_sel_hi:[1,0,0]
	v_mov_b32_e32 v147, v143
	ds_load_2addr_b64 v[142:145], v136 offset0:44 offset1:45
	v_pk_add_f32 v[22:23], v[22:23], v[146:147] neg_lo:[0,1] neg_hi:[0,1]
	s_wait_dscnt 0x0
	v_pk_mul_f32 v[146:147], v[142:143], v[134:135] op_sel:[0,1]
	s_delay_alu instid0(VALU_DEP_1) | instskip(SKIP_1) | instid1(VALU_DEP_1)
	v_pk_fma_f32 v[148:149], v[142:143], v[132:133], v[146:147] op_sel:[0,0,1] op_sel_hi:[1,1,0] neg_lo:[0,0,1] neg_hi:[0,0,1]
	v_pk_fma_f32 v[142:143], v[142:143], v[132:133], v[146:147] op_sel:[0,0,1] op_sel_hi:[1,0,0]
	v_mov_b32_e32 v149, v143
	v_pk_mul_f32 v[142:143], v[144:145], v[134:135] op_sel:[0,1]
	s_delay_alu instid0(VALU_DEP_2) | instskip(NEXT) | instid1(VALU_DEP_2)
	v_pk_add_f32 v[80:81], v[80:81], v[148:149] neg_lo:[0,1] neg_hi:[0,1]
	v_pk_fma_f32 v[146:147], v[144:145], v[132:133], v[142:143] op_sel:[0,0,1] op_sel_hi:[1,1,0] neg_lo:[0,0,1] neg_hi:[0,0,1]
	v_pk_fma_f32 v[142:143], v[144:145], v[132:133], v[142:143] op_sel:[0,0,1] op_sel_hi:[1,0,0]
	s_delay_alu instid0(VALU_DEP_1) | instskip(SKIP_4) | instid1(VALU_DEP_1)
	v_mov_b32_e32 v147, v143
	ds_load_2addr_b64 v[142:145], v136 offset0:46 offset1:47
	v_pk_add_f32 v[78:79], v[78:79], v[146:147] neg_lo:[0,1] neg_hi:[0,1]
	s_wait_dscnt 0x0
	v_pk_mul_f32 v[146:147], v[142:143], v[134:135] op_sel:[0,1]
	v_pk_fma_f32 v[148:149], v[142:143], v[132:133], v[146:147] op_sel:[0,0,1] op_sel_hi:[1,1,0] neg_lo:[0,0,1] neg_hi:[0,0,1]
	v_pk_fma_f32 v[142:143], v[142:143], v[132:133], v[146:147] op_sel:[0,0,1] op_sel_hi:[1,0,0]
	v_dual_mul_f32 v146, v145, v135 :: v_dual_mov_b32 v142, v145
	s_delay_alu instid0(VALU_DEP_2) | instskip(NEXT) | instid1(VALU_DEP_2)
	v_dual_mov_b32 v149, v143 :: v_dual_mov_b32 v143, v144
	v_pk_fma_f32 v[146:147], v[144:145], v[90:91], v[146:147] op_sel_hi:[1,1,0] neg_lo:[0,0,1] neg_hi:[0,0,1]
	v_mul_f32_e32 v144, v145, v132
	s_delay_alu instid0(VALU_DEP_3) | instskip(NEXT) | instid1(VALU_DEP_2)
	v_pk_add_f32 v[20:21], v[20:21], v[148:149] neg_lo:[0,1] neg_hi:[0,1]
	v_pk_fma_f32 v[142:143], v[142:143], v[90:91], v[144:145] op_sel_hi:[1,1,0]
	s_delay_alu instid0(VALU_DEP_1) | instskip(SKIP_4) | instid1(VALU_DEP_1)
	v_mov_b32_e32 v147, v143
	ds_load_2addr_b64 v[142:145], v136 offset0:48 offset1:49
	v_pk_add_f32 v[18:19], v[18:19], v[146:147] neg_lo:[0,1] neg_hi:[0,1]
	s_wait_dscnt 0x0
	v_pk_mul_f32 v[146:147], v[142:143], v[134:135] op_sel:[0,1]
	v_pk_fma_f32 v[148:149], v[142:143], v[132:133], v[146:147] op_sel:[0,0,1] op_sel_hi:[1,1,0] neg_lo:[0,0,1] neg_hi:[0,0,1]
	v_pk_fma_f32 v[142:143], v[142:143], v[132:133], v[146:147] op_sel:[0,0,1] op_sel_hi:[1,0,0]
	s_delay_alu instid0(VALU_DEP_1) | instskip(SKIP_1) | instid1(VALU_DEP_1)
	v_mov_b32_e32 v149, v143
	v_pk_mul_f32 v[142:143], v[144:145], v[134:135] op_sel:[0,1]
	v_pk_fma_f32 v[146:147], v[144:145], v[132:133], v[142:143] op_sel:[0,0,1] op_sel_hi:[1,1,0] neg_lo:[0,0,1] neg_hi:[0,0,1]
	v_pk_fma_f32 v[142:143], v[144:145], v[132:133], v[142:143] op_sel:[0,0,1] op_sel_hi:[1,0,0]
	s_delay_alu instid0(VALU_DEP_1)
	v_mov_b32_e32 v147, v143
	ds_load_2addr_b64 v[142:145], v136 offset0:50 offset1:51
	v_pk_add_f32 v[76:77], v[76:77], v[148:149] neg_lo:[0,1] neg_hi:[0,1]
	v_pk_add_f32 v[74:75], v[74:75], v[146:147] neg_lo:[0,1] neg_hi:[0,1]
	s_wait_dscnt 0x0
	v_pk_mul_f32 v[146:147], v[142:143], v[134:135] op_sel:[0,1]
	s_delay_alu instid0(VALU_DEP_1) | instskip(SKIP_1) | instid1(VALU_DEP_1)
	v_pk_fma_f32 v[148:149], v[142:143], v[132:133], v[146:147] op_sel:[0,0,1] op_sel_hi:[1,1,0] neg_lo:[0,0,1] neg_hi:[0,0,1]
	v_pk_fma_f32 v[142:143], v[142:143], v[132:133], v[146:147] op_sel:[0,0,1] op_sel_hi:[1,0,0]
	v_mov_b32_e32 v149, v143
	v_pk_mul_f32 v[142:143], v[144:145], v[134:135] op_sel:[0,1]
	s_delay_alu instid0(VALU_DEP_1) | instskip(SKIP_1) | instid1(VALU_DEP_1)
	v_pk_fma_f32 v[146:147], v[144:145], v[132:133], v[142:143] op_sel:[0,0,1] op_sel_hi:[1,1,0] neg_lo:[0,0,1] neg_hi:[0,0,1]
	v_pk_fma_f32 v[142:143], v[144:145], v[132:133], v[142:143] op_sel:[0,0,1] op_sel_hi:[1,0,0]
	v_mov_b32_e32 v147, v143
	ds_load_2addr_b64 v[142:145], v136 offset0:52 offset1:53
	v_pk_add_f32 v[16:17], v[16:17], v[148:149] neg_lo:[0,1] neg_hi:[0,1]
	v_pk_add_f32 v[28:29], v[28:29], v[146:147] neg_lo:[0,1] neg_hi:[0,1]
	s_wait_dscnt 0x0
	v_dual_mul_f32 v146, v143, v135 :: v_dual_mul_f32 v148, v143, v132
	s_delay_alu instid0(VALU_DEP_1) | instskip(NEXT) | instid1(VALU_DEP_2)
	v_pk_fma_f32 v[146:147], v[142:143], v[90:91], v[146:147] op_sel_hi:[1,1,0] neg_lo:[0,0,1] neg_hi:[0,0,1]
	v_pk_fma_f32 v[142:143], v[142:143], v[90:91], v[148:149] op_sel:[1,0,0] op_sel_hi:[0,1,0]
	s_delay_alu instid0(VALU_DEP_1) | instskip(SKIP_1) | instid1(VALU_DEP_2)
	v_mov_b32_e32 v147, v143
	v_pk_mul_f32 v[142:143], v[144:145], v[134:135] op_sel:[0,1]
	v_pk_add_f32 v[68:69], v[68:69], v[146:147] neg_lo:[0,1] neg_hi:[0,1]
	s_delay_alu instid0(VALU_DEP_2) | instskip(SKIP_1) | instid1(VALU_DEP_1)
	v_pk_fma_f32 v[146:147], v[144:145], v[132:133], v[142:143] op_sel:[0,0,1] op_sel_hi:[1,1,0] neg_lo:[0,0,1] neg_hi:[0,0,1]
	v_pk_fma_f32 v[142:143], v[144:145], v[132:133], v[142:143] op_sel:[0,0,1] op_sel_hi:[1,0,0]
	v_mov_b32_e32 v147, v143
	ds_load_2addr_b64 v[142:145], v136 offset0:54 offset1:55
	v_pk_add_f32 v[66:67], v[66:67], v[146:147] neg_lo:[0,1] neg_hi:[0,1]
	s_wait_dscnt 0x0
	v_pk_mul_f32 v[146:147], v[142:143], v[134:135] op_sel:[0,1]
	s_delay_alu instid0(VALU_DEP_1) | instskip(SKIP_1) | instid1(VALU_DEP_1)
	v_pk_fma_f32 v[148:149], v[142:143], v[132:133], v[146:147] op_sel:[0,0,1] op_sel_hi:[1,1,0] neg_lo:[0,0,1] neg_hi:[0,0,1]
	v_pk_fma_f32 v[142:143], v[142:143], v[132:133], v[146:147] op_sel:[0,0,1] op_sel_hi:[1,0,0]
	v_mov_b32_e32 v149, v143
	v_pk_mul_f32 v[142:143], v[144:145], v[134:135] op_sel:[0,1]
	s_delay_alu instid0(VALU_DEP_2) | instskip(NEXT) | instid1(VALU_DEP_2)
	v_pk_add_f32 v[10:11], v[10:11], v[148:149] neg_lo:[0,1] neg_hi:[0,1]
	v_pk_fma_f32 v[146:147], v[144:145], v[132:133], v[142:143] op_sel:[0,0,1] op_sel_hi:[1,1,0] neg_lo:[0,0,1] neg_hi:[0,0,1]
	v_pk_fma_f32 v[142:143], v[144:145], v[132:133], v[142:143] op_sel:[0,0,1] op_sel_hi:[1,0,0]
	s_delay_alu instid0(VALU_DEP_1) | instskip(SKIP_4) | instid1(VALU_DEP_1)
	v_mov_b32_e32 v147, v143
	ds_load_2addr_b64 v[142:145], v136 offset0:56 offset1:57
	v_pk_add_f32 v[8:9], v[8:9], v[146:147] neg_lo:[0,1] neg_hi:[0,1]
	s_wait_dscnt 0x0
	v_pk_mul_f32 v[146:147], v[142:143], v[134:135] op_sel:[0,1]
	v_pk_fma_f32 v[148:149], v[142:143], v[132:133], v[146:147] op_sel:[0,0,1] op_sel_hi:[1,1,0] neg_lo:[0,0,1] neg_hi:[0,0,1]
	v_pk_fma_f32 v[142:143], v[142:143], v[132:133], v[146:147] op_sel:[0,0,1] op_sel_hi:[1,0,0]
	v_dual_mul_f32 v146, v145, v135 :: v_dual_mov_b32 v142, v145
	s_delay_alu instid0(VALU_DEP_2) | instskip(NEXT) | instid1(VALU_DEP_2)
	v_dual_mov_b32 v149, v143 :: v_dual_mov_b32 v143, v144
	v_pk_fma_f32 v[146:147], v[144:145], v[90:91], v[146:147] op_sel_hi:[1,1,0] neg_lo:[0,0,1] neg_hi:[0,0,1]
	v_mul_f32_e32 v144, v145, v132
	s_delay_alu instid0(VALU_DEP_3) | instskip(NEXT) | instid1(VALU_DEP_2)
	v_pk_add_f32 v[34:35], v[34:35], v[148:149] neg_lo:[0,1] neg_hi:[0,1]
	v_pk_fma_f32 v[142:143], v[142:143], v[90:91], v[144:145] op_sel_hi:[1,1,0]
	s_delay_alu instid0(VALU_DEP_1) | instskip(SKIP_4) | instid1(VALU_DEP_1)
	v_mov_b32_e32 v147, v143
	ds_load_2addr_b64 v[142:145], v136 offset0:58 offset1:59
	v_pk_add_f32 v[30:31], v[30:31], v[146:147] neg_lo:[0,1] neg_hi:[0,1]
	s_wait_dscnt 0x0
	v_pk_mul_f32 v[146:147], v[142:143], v[134:135] op_sel:[0,1]
	v_pk_fma_f32 v[148:149], v[142:143], v[132:133], v[146:147] op_sel:[0,0,1] op_sel_hi:[1,1,0] neg_lo:[0,0,1] neg_hi:[0,0,1]
	v_pk_fma_f32 v[142:143], v[142:143], v[132:133], v[146:147] op_sel:[0,0,1] op_sel_hi:[1,0,0]
	s_delay_alu instid0(VALU_DEP_1) | instskip(SKIP_1) | instid1(VALU_DEP_1)
	v_mov_b32_e32 v149, v143
	v_pk_mul_f32 v[142:143], v[144:145], v[134:135] op_sel:[0,1]
	v_pk_fma_f32 v[146:147], v[144:145], v[132:133], v[142:143] op_sel:[0,0,1] op_sel_hi:[1,1,0] neg_lo:[0,0,1] neg_hi:[0,0,1]
	v_pk_fma_f32 v[142:143], v[144:145], v[132:133], v[142:143] op_sel:[0,0,1] op_sel_hi:[1,0,0]
	s_delay_alu instid0(VALU_DEP_1)
	v_mov_b32_e32 v147, v143
	ds_load_2addr_b64 v[142:145], v136 offset0:60 offset1:61
	v_pk_add_f32 v[6:7], v[6:7], v[148:149] neg_lo:[0,1] neg_hi:[0,1]
	v_pk_add_f32 v[26:27], v[26:27], v[146:147] neg_lo:[0,1] neg_hi:[0,1]
	s_wait_dscnt 0x0
	v_pk_mul_f32 v[146:147], v[142:143], v[134:135] op_sel:[0,1]
	s_delay_alu instid0(VALU_DEP_1) | instskip(SKIP_1) | instid1(VALU_DEP_1)
	v_pk_fma_f32 v[148:149], v[142:143], v[132:133], v[146:147] op_sel:[0,0,1] op_sel_hi:[1,1,0] neg_lo:[0,0,1] neg_hi:[0,0,1]
	v_pk_fma_f32 v[142:143], v[142:143], v[132:133], v[146:147] op_sel:[0,0,1] op_sel_hi:[1,0,0]
	v_mov_b32_e32 v149, v143
	v_pk_mul_f32 v[142:143], v[144:145], v[134:135] op_sel:[0,1]
	s_delay_alu instid0(VALU_DEP_1) | instskip(SKIP_1) | instid1(VALU_DEP_1)
	v_pk_fma_f32 v[146:147], v[144:145], v[132:133], v[142:143] op_sel:[0,0,1] op_sel_hi:[1,1,0] neg_lo:[0,0,1] neg_hi:[0,0,1]
	v_pk_fma_f32 v[142:143], v[144:145], v[132:133], v[142:143] op_sel:[0,0,1] op_sel_hi:[1,0,0]
	v_mov_b32_e32 v147, v143
	ds_load_b64 v[142:143], v136 offset:496
	v_pk_add_f32 v[14:15], v[14:15], v[148:149] neg_lo:[0,1] neg_hi:[0,1]
	v_pk_add_f32 v[12:13], v[12:13], v[146:147] neg_lo:[0,1] neg_hi:[0,1]
	s_wait_dscnt 0x0
	v_pk_mul_f32 v[134:135], v[142:143], v[134:135] op_sel:[0,1]
	s_delay_alu instid0(VALU_DEP_1) | instskip(SKIP_1) | instid1(VALU_DEP_1)
	v_pk_fma_f32 v[144:145], v[142:143], v[132:133], v[134:135] op_sel:[0,0,1] op_sel_hi:[1,1,0] neg_lo:[0,0,1] neg_hi:[0,0,1]
	v_pk_fma_f32 v[132:133], v[142:143], v[132:133], v[134:135] op_sel:[0,0,1] op_sel_hi:[1,0,0]
	v_mov_b32_e32 v145, v133
	s_delay_alu instid0(VALU_DEP_1)
	v_pk_add_f32 v[130:131], v[130:131], v[144:145] neg_lo:[0,1] neg_hi:[0,1]
.LBB124_713:
	s_or_b32 exec_lo, exec_lo, s0
	v_lshl_add_u32 v132, v140, 3, v136
	s_barrier_signal -1
	s_barrier_wait -1
	ds_store_b64 v132, v[40:41]
	s_wait_dscnt 0x0
	s_barrier_signal -1
	s_barrier_wait -1
	ds_load_b64 v[134:135], v136 offset:272
	v_mov_b32_e32 v132, 34
	s_cmp_lt_i32 s18, 36
	s_cbranch_scc1 .LBB124_716
; %bb.714:
	v_add3_u32 v133, v137, 0, 0x118
	v_mov_b32_e32 v132, 34
	s_mov_b32 s0, 35
.LBB124_715:                            ; =>This Inner Loop Header: Depth=1
	ds_load_b64 v[142:143], v133
	s_wait_dscnt 0x1
	v_cmp_gt_f32_e32 vcc_lo, 0, v134
	v_cndmask_b32_e64 v144, v134, -v134, vcc_lo
	v_cmp_gt_f32_e32 vcc_lo, 0, v135
	v_cndmask_b32_e64 v146, v135, -v135, vcc_lo
	s_wait_dscnt 0x0
	v_cmp_gt_f32_e32 vcc_lo, 0, v142
	v_cndmask_b32_e64 v145, v142, -v142, vcc_lo
	v_cmp_gt_f32_e32 vcc_lo, 0, v143
	v_cndmask_b32_e64 v147, v143, -v143, vcc_lo
	s_delay_alu instid0(VALU_DEP_1) | instskip(NEXT) | instid1(VALU_DEP_1)
	v_pk_add_f32 v[144:145], v[144:145], v[146:147]
	v_cmp_lt_f32_e32 vcc_lo, v144, v145
	v_dual_add_nc_u32 v133, 8, v133 :: v_dual_cndmask_b32 v135, v135, v143, vcc_lo
	v_cndmask_b32_e32 v134, v134, v142, vcc_lo
	v_cndmask_b32_e64 v132, v132, s0, vcc_lo
	s_add_co_i32 s0, s0, 1
	s_delay_alu instid0(SALU_CYCLE_1)
	s_cmp_lg_u32 s18, s0
	s_cbranch_scc1 .LBB124_715
.LBB124_716:
	s_wait_dscnt 0x0
	v_cmp_eq_f32_e32 vcc_lo, 0, v134
	v_cmp_eq_f32_e64 s0, 0, v135
	s_and_b32 s0, vcc_lo, s0
	s_delay_alu instid0(SALU_CYCLE_1) | instskip(NEXT) | instid1(SALU_CYCLE_1)
	s_and_saveexec_b32 s1, s0
	s_xor_b32 s0, exec_lo, s1
; %bb.717:
	v_cmp_ne_u32_e32 vcc_lo, 0, v138
	v_cndmask_b32_e32 v138, 35, v138, vcc_lo
; %bb.718:
	s_and_not1_saveexec_b32 s0, s0
	s_cbranch_execz .LBB124_724
; %bb.719:
	v_cmp_ngt_f32_e64 s1, |v134|, |v135|
	s_and_saveexec_b32 s12, s1
	s_delay_alu instid0(SALU_CYCLE_1)
	s_xor_b32 s1, exec_lo, s12
	s_cbranch_execz .LBB124_721
; %bb.720:
	v_div_scale_f32 v133, null, v135, v135, v134
	v_div_scale_f32 v143, vcc_lo, v134, v135, v134
	s_delay_alu instid0(VALU_DEP_2) | instskip(SKIP_1) | instid1(TRANS32_DEP_1)
	v_rcp_f32_e32 v141, v133
	v_nop
	v_fma_f32 v142, -v133, v141, 1.0
	s_delay_alu instid0(VALU_DEP_1) | instskip(NEXT) | instid1(VALU_DEP_1)
	v_fmac_f32_e32 v141, v142, v141
	v_mul_f32_e32 v142, v143, v141
	s_delay_alu instid0(VALU_DEP_1) | instskip(NEXT) | instid1(VALU_DEP_1)
	v_fma_f32 v144, -v133, v142, v143
	v_fmac_f32_e32 v142, v144, v141
	s_delay_alu instid0(VALU_DEP_1) | instskip(NEXT) | instid1(VALU_DEP_1)
	v_fma_f32 v133, -v133, v142, v143
	v_div_fmas_f32 v133, v133, v141, v142
	s_delay_alu instid0(VALU_DEP_1) | instskip(NEXT) | instid1(VALU_DEP_1)
	v_div_fixup_f32 v133, v133, v135, v134
	v_fmac_f32_e32 v135, v134, v133
	s_delay_alu instid0(VALU_DEP_1) | instskip(SKIP_1) | instid1(VALU_DEP_2)
	v_div_scale_f32 v134, null, v135, v135, 1.0
	v_div_scale_f32 v143, vcc_lo, 1.0, v135, 1.0
	v_rcp_f32_e32 v141, v134
	v_nop
	s_delay_alu instid0(TRANS32_DEP_1) | instskip(NEXT) | instid1(VALU_DEP_1)
	v_fma_f32 v142, -v134, v141, 1.0
	v_fmac_f32_e32 v141, v142, v141
	s_delay_alu instid0(VALU_DEP_1) | instskip(NEXT) | instid1(VALU_DEP_1)
	v_mul_f32_e32 v142, v143, v141
	v_fma_f32 v144, -v134, v142, v143
	s_delay_alu instid0(VALU_DEP_1) | instskip(NEXT) | instid1(VALU_DEP_1)
	v_fmac_f32_e32 v142, v144, v141
	v_fma_f32 v134, -v134, v142, v143
	s_delay_alu instid0(VALU_DEP_1) | instskip(NEXT) | instid1(VALU_DEP_1)
	v_div_fmas_f32 v134, v134, v141, v142
	v_div_fixup_f32 v135, v134, v135, 1.0
	s_delay_alu instid0(VALU_DEP_1)
	v_mul_f32_e32 v134, v133, v135
	v_xor_b32_e32 v135, 0x80000000, v135
.LBB124_721:
	s_and_not1_saveexec_b32 s1, s1
	s_cbranch_execz .LBB124_723
; %bb.722:
	s_delay_alu instid0(VALU_DEP_1) | instskip(SKIP_1) | instid1(VALU_DEP_2)
	v_div_scale_f32 v133, null, v134, v134, v135
	v_div_scale_f32 v143, vcc_lo, v135, v134, v135
	v_rcp_f32_e32 v141, v133
	v_nop
	s_delay_alu instid0(TRANS32_DEP_1) | instskip(NEXT) | instid1(VALU_DEP_1)
	v_fma_f32 v142, -v133, v141, 1.0
	v_fmac_f32_e32 v141, v142, v141
	s_delay_alu instid0(VALU_DEP_1) | instskip(NEXT) | instid1(VALU_DEP_1)
	v_mul_f32_e32 v142, v143, v141
	v_fma_f32 v144, -v133, v142, v143
	s_delay_alu instid0(VALU_DEP_1) | instskip(NEXT) | instid1(VALU_DEP_1)
	v_fmac_f32_e32 v142, v144, v141
	v_fma_f32 v133, -v133, v142, v143
	s_delay_alu instid0(VALU_DEP_1) | instskip(NEXT) | instid1(VALU_DEP_1)
	v_div_fmas_f32 v133, v133, v141, v142
	v_div_fixup_f32 v133, v133, v134, v135
	s_delay_alu instid0(VALU_DEP_1) | instskip(NEXT) | instid1(VALU_DEP_1)
	v_fmac_f32_e32 v134, v135, v133
	v_div_scale_f32 v135, null, v134, v134, 1.0
	s_delay_alu instid0(VALU_DEP_1) | instskip(SKIP_1) | instid1(TRANS32_DEP_1)
	v_rcp_f32_e32 v141, v135
	v_nop
	v_fma_f32 v142, -v135, v141, 1.0
	s_delay_alu instid0(VALU_DEP_1) | instskip(SKIP_1) | instid1(VALU_DEP_1)
	v_fmac_f32_e32 v141, v142, v141
	v_div_scale_f32 v142, vcc_lo, 1.0, v134, 1.0
	v_mul_f32_e32 v143, v142, v141
	s_delay_alu instid0(VALU_DEP_1) | instskip(NEXT) | instid1(VALU_DEP_1)
	v_fma_f32 v144, -v135, v143, v142
	v_fmac_f32_e32 v143, v144, v141
	s_delay_alu instid0(VALU_DEP_1) | instskip(NEXT) | instid1(VALU_DEP_1)
	v_fma_f32 v135, -v135, v143, v142
	v_div_fmas_f32 v135, v135, v141, v143
	s_delay_alu instid0(VALU_DEP_1) | instskip(NEXT) | instid1(VALU_DEP_1)
	v_div_fixup_f32 v134, v135, v134, 1.0
	v_mul_f32_e64 v135, v133, -v134
.LBB124_723:
	s_or_b32 exec_lo, exec_lo, s1
.LBB124_724:
	s_delay_alu instid0(SALU_CYCLE_1) | instskip(NEXT) | instid1(SALU_CYCLE_1)
	s_or_b32 exec_lo, exec_lo, s0
	s_mov_b32 s0, exec_lo
	v_cmpx_ne_u32_e64 v140, v132
	s_xor_b32 s0, exec_lo, s0
	s_cbranch_execz .LBB124_730
; %bb.725:
	s_mov_b32 s1, exec_lo
	v_cmpx_eq_u32_e32 34, v140
	s_cbranch_execz .LBB124_729
; %bb.726:
	v_cmp_ne_u32_e32 vcc_lo, 34, v132
	s_xor_b32 s12, s16, -1
	s_delay_alu instid0(SALU_CYCLE_1) | instskip(NEXT) | instid1(SALU_CYCLE_1)
	s_and_b32 s13, s12, vcc_lo
	s_and_saveexec_b32 s12, s13
	s_cbranch_execz .LBB124_728
; %bb.727:
	v_ashrrev_i32_e32 v133, 31, v132
	s_delay_alu instid0(VALU_DEP_1)
	v_lshl_add_u64 v[140:141], v[132:133], 2, v[4:5]
	s_clause 0x1
	global_load_b32 v133, v[140:141], off
	global_load_b32 v139, v[4:5], off offset:136
	s_wait_loadcnt 0x1
	global_store_b32 v[4:5], v133, off offset:136
	s_wait_loadcnt 0x0
	global_store_b32 v[140:141], v139, off
.LBB124_728:
	s_wait_xcnt 0x0
	s_or_b32 exec_lo, exec_lo, s12
	v_dual_mov_b32 v140, v132 :: v_dual_mov_b32 v139, v132
.LBB124_729:
	s_or_b32 exec_lo, exec_lo, s1
.LBB124_730:
	s_and_not1_saveexec_b32 s0, s0
	s_cbranch_execz .LBB124_732
; %bb.731:
	v_mov_b32_e32 v140, 34
	ds_store_2addr_b64 v136, v[38:39], v[88:89] offset0:35 offset1:36
	ds_store_2addr_b64 v136, v[86:87], v[36:37] offset0:37 offset1:38
	ds_store_2addr_b64 v136, v[32:33], v[84:85] offset0:39 offset1:40
	ds_store_2addr_b64 v136, v[82:83], v[24:25] offset0:41 offset1:42
	ds_store_2addr_b64 v136, v[22:23], v[80:81] offset0:43 offset1:44
	ds_store_2addr_b64 v136, v[78:79], v[20:21] offset0:45 offset1:46
	ds_store_2addr_b64 v136, v[18:19], v[76:77] offset0:47 offset1:48
	ds_store_2addr_b64 v136, v[74:75], v[16:17] offset0:49 offset1:50
	ds_store_2addr_b64 v136, v[28:29], v[68:69] offset0:51 offset1:52
	ds_store_2addr_b64 v136, v[66:67], v[10:11] offset0:53 offset1:54
	ds_store_2addr_b64 v136, v[8:9], v[34:35] offset0:55 offset1:56
	ds_store_2addr_b64 v136, v[30:31], v[6:7] offset0:57 offset1:58
	ds_store_2addr_b64 v136, v[26:27], v[14:15] offset0:59 offset1:60
	ds_store_2addr_b64 v136, v[12:13], v[130:131] offset0:61 offset1:62
.LBB124_732:
	s_or_b32 exec_lo, exec_lo, s0
	s_delay_alu instid0(SALU_CYCLE_1)
	s_mov_b32 s0, exec_lo
	s_wait_storecnt_dscnt 0x0
	s_barrier_signal -1
	s_barrier_wait -1
	v_cmpx_lt_i32_e32 34, v140
	s_cbranch_execz .LBB124_734
; %bb.733:
	v_pk_mul_f32 v[142:143], v[134:135], v[40:41] op_sel:[1,1] op_sel_hi:[0,1]
	s_delay_alu instid0(VALU_DEP_1)
	v_pk_fma_f32 v[132:133], v[134:135], v[40:41], v[142:143] op_sel_hi:[1,0,1] neg_lo:[0,0,1] neg_hi:[0,0,1]
	v_pk_fma_f32 v[134:135], v[134:135], v[40:41], v[142:143] op_sel_hi:[1,0,1]
	ds_load_2addr_b64 v[142:145], v136 offset0:35 offset1:36
	v_dual_mov_b32 v40, v132 :: v_dual_mov_b32 v41, v135
	s_wait_dscnt 0x0
	v_pk_mul_f32 v[146:147], v[142:143], v[134:135] op_sel:[0,1]
	s_delay_alu instid0(VALU_DEP_1) | instskip(SKIP_1) | instid1(VALU_DEP_1)
	v_pk_fma_f32 v[148:149], v[142:143], v[132:133], v[146:147] op_sel:[0,0,1] op_sel_hi:[1,1,0] neg_lo:[0,0,1] neg_hi:[0,0,1]
	v_pk_fma_f32 v[142:143], v[142:143], v[132:133], v[146:147] op_sel:[0,0,1] op_sel_hi:[1,0,0]
	v_mov_b32_e32 v149, v143
	v_pk_mul_f32 v[142:143], v[144:145], v[134:135] op_sel:[0,1]
	s_delay_alu instid0(VALU_DEP_1) | instskip(SKIP_1) | instid1(VALU_DEP_1)
	v_pk_fma_f32 v[146:147], v[144:145], v[132:133], v[142:143] op_sel:[0,0,1] op_sel_hi:[1,1,0] neg_lo:[0,0,1] neg_hi:[0,0,1]
	v_pk_fma_f32 v[142:143], v[144:145], v[132:133], v[142:143] op_sel:[0,0,1] op_sel_hi:[1,0,0]
	v_mov_b32_e32 v147, v143
	ds_load_2addr_b64 v[142:145], v136 offset0:37 offset1:38
	v_pk_add_f32 v[38:39], v[38:39], v[148:149] neg_lo:[0,1] neg_hi:[0,1]
	v_pk_add_f32 v[88:89], v[88:89], v[146:147] neg_lo:[0,1] neg_hi:[0,1]
	s_wait_dscnt 0x0
	v_pk_mul_f32 v[146:147], v[142:143], v[134:135] op_sel:[0,1]
	s_delay_alu instid0(VALU_DEP_1) | instskip(SKIP_2) | instid1(VALU_DEP_2)
	v_pk_fma_f32 v[148:149], v[142:143], v[132:133], v[146:147] op_sel:[0,0,1] op_sel_hi:[1,1,0] neg_lo:[0,0,1] neg_hi:[0,0,1]
	v_pk_fma_f32 v[142:143], v[142:143], v[132:133], v[146:147] op_sel:[0,0,1] op_sel_hi:[1,0,0]
	v_dual_mul_f32 v146, v145, v135 :: v_dual_mov_b32 v142, v145
	v_dual_mov_b32 v149, v143 :: v_dual_mov_b32 v143, v144
	s_delay_alu instid0(VALU_DEP_2) | instskip(SKIP_1) | instid1(VALU_DEP_3)
	v_pk_fma_f32 v[146:147], v[144:145], v[40:41], v[146:147] op_sel_hi:[1,1,0] neg_lo:[0,0,1] neg_hi:[0,0,1]
	v_mul_f32_e32 v144, v145, v132
	v_pk_add_f32 v[86:87], v[86:87], v[148:149] neg_lo:[0,1] neg_hi:[0,1]
	s_delay_alu instid0(VALU_DEP_2) | instskip(NEXT) | instid1(VALU_DEP_1)
	v_pk_fma_f32 v[142:143], v[142:143], v[40:41], v[144:145] op_sel_hi:[1,1,0]
	v_mov_b32_e32 v147, v143
	ds_load_2addr_b64 v[142:145], v136 offset0:39 offset1:40
	v_pk_add_f32 v[36:37], v[36:37], v[146:147] neg_lo:[0,1] neg_hi:[0,1]
	s_wait_dscnt 0x0
	v_pk_mul_f32 v[146:147], v[142:143], v[134:135] op_sel:[0,1]
	s_delay_alu instid0(VALU_DEP_1) | instskip(SKIP_1) | instid1(VALU_DEP_1)
	v_pk_fma_f32 v[148:149], v[142:143], v[132:133], v[146:147] op_sel:[0,0,1] op_sel_hi:[1,1,0] neg_lo:[0,0,1] neg_hi:[0,0,1]
	v_pk_fma_f32 v[142:143], v[142:143], v[132:133], v[146:147] op_sel:[0,0,1] op_sel_hi:[1,0,0]
	v_mov_b32_e32 v149, v143
	v_pk_mul_f32 v[142:143], v[144:145], v[134:135] op_sel:[0,1]
	s_delay_alu instid0(VALU_DEP_1) | instskip(SKIP_1) | instid1(VALU_DEP_1)
	v_pk_fma_f32 v[146:147], v[144:145], v[132:133], v[142:143] op_sel:[0,0,1] op_sel_hi:[1,1,0] neg_lo:[0,0,1] neg_hi:[0,0,1]
	v_pk_fma_f32 v[142:143], v[144:145], v[132:133], v[142:143] op_sel:[0,0,1] op_sel_hi:[1,0,0]
	v_mov_b32_e32 v147, v143
	ds_load_2addr_b64 v[142:145], v136 offset0:41 offset1:42
	v_pk_add_f32 v[32:33], v[32:33], v[148:149] neg_lo:[0,1] neg_hi:[0,1]
	v_pk_add_f32 v[84:85], v[84:85], v[146:147] neg_lo:[0,1] neg_hi:[0,1]
	s_wait_dscnt 0x0
	v_pk_mul_f32 v[146:147], v[142:143], v[134:135] op_sel:[0,1]
	s_delay_alu instid0(VALU_DEP_1) | instskip(SKIP_1) | instid1(VALU_DEP_1)
	v_pk_fma_f32 v[148:149], v[142:143], v[132:133], v[146:147] op_sel:[0,0,1] op_sel_hi:[1,1,0] neg_lo:[0,0,1] neg_hi:[0,0,1]
	v_pk_fma_f32 v[142:143], v[142:143], v[132:133], v[146:147] op_sel:[0,0,1] op_sel_hi:[1,0,0]
	v_mov_b32_e32 v149, v143
	v_pk_mul_f32 v[142:143], v[144:145], v[134:135] op_sel:[0,1]
	s_delay_alu instid0(VALU_DEP_1) | instskip(SKIP_1) | instid1(VALU_DEP_1)
	v_pk_fma_f32 v[146:147], v[144:145], v[132:133], v[142:143] op_sel:[0,0,1] op_sel_hi:[1,1,0] neg_lo:[0,0,1] neg_hi:[0,0,1]
	v_pk_fma_f32 v[142:143], v[144:145], v[132:133], v[142:143] op_sel:[0,0,1] op_sel_hi:[1,0,0]
	v_mov_b32_e32 v147, v143
	ds_load_2addr_b64 v[142:145], v136 offset0:43 offset1:44
	v_pk_add_f32 v[82:83], v[82:83], v[148:149] neg_lo:[0,1] neg_hi:[0,1]
	v_pk_add_f32 v[24:25], v[24:25], v[146:147] neg_lo:[0,1] neg_hi:[0,1]
	s_wait_dscnt 0x0
	v_dual_mul_f32 v146, v143, v135 :: v_dual_mul_f32 v148, v143, v132
	s_delay_alu instid0(VALU_DEP_1) | instskip(NEXT) | instid1(VALU_DEP_2)
	v_pk_fma_f32 v[146:147], v[142:143], v[40:41], v[146:147] op_sel_hi:[1,1,0] neg_lo:[0,0,1] neg_hi:[0,0,1]
	v_pk_fma_f32 v[142:143], v[142:143], v[40:41], v[148:149] op_sel:[1,0,0] op_sel_hi:[0,1,0]
	s_delay_alu instid0(VALU_DEP_1) | instskip(SKIP_1) | instid1(VALU_DEP_2)
	v_mov_b32_e32 v147, v143
	v_pk_mul_f32 v[142:143], v[144:145], v[134:135] op_sel:[0,1]
	v_pk_add_f32 v[22:23], v[22:23], v[146:147] neg_lo:[0,1] neg_hi:[0,1]
	s_delay_alu instid0(VALU_DEP_2) | instskip(SKIP_1) | instid1(VALU_DEP_1)
	v_pk_fma_f32 v[146:147], v[144:145], v[132:133], v[142:143] op_sel:[0,0,1] op_sel_hi:[1,1,0] neg_lo:[0,0,1] neg_hi:[0,0,1]
	v_pk_fma_f32 v[142:143], v[144:145], v[132:133], v[142:143] op_sel:[0,0,1] op_sel_hi:[1,0,0]
	v_mov_b32_e32 v147, v143
	ds_load_2addr_b64 v[142:145], v136 offset0:45 offset1:46
	v_pk_add_f32 v[80:81], v[80:81], v[146:147] neg_lo:[0,1] neg_hi:[0,1]
	s_wait_dscnt 0x0
	v_pk_mul_f32 v[146:147], v[142:143], v[134:135] op_sel:[0,1]
	s_delay_alu instid0(VALU_DEP_1) | instskip(SKIP_1) | instid1(VALU_DEP_1)
	v_pk_fma_f32 v[148:149], v[142:143], v[132:133], v[146:147] op_sel:[0,0,1] op_sel_hi:[1,1,0] neg_lo:[0,0,1] neg_hi:[0,0,1]
	v_pk_fma_f32 v[142:143], v[142:143], v[132:133], v[146:147] op_sel:[0,0,1] op_sel_hi:[1,0,0]
	v_mov_b32_e32 v149, v143
	v_pk_mul_f32 v[142:143], v[144:145], v[134:135] op_sel:[0,1]
	s_delay_alu instid0(VALU_DEP_2) | instskip(NEXT) | instid1(VALU_DEP_2)
	v_pk_add_f32 v[78:79], v[78:79], v[148:149] neg_lo:[0,1] neg_hi:[0,1]
	v_pk_fma_f32 v[146:147], v[144:145], v[132:133], v[142:143] op_sel:[0,0,1] op_sel_hi:[1,1,0] neg_lo:[0,0,1] neg_hi:[0,0,1]
	v_pk_fma_f32 v[142:143], v[144:145], v[132:133], v[142:143] op_sel:[0,0,1] op_sel_hi:[1,0,0]
	s_delay_alu instid0(VALU_DEP_1) | instskip(SKIP_4) | instid1(VALU_DEP_1)
	v_mov_b32_e32 v147, v143
	ds_load_2addr_b64 v[142:145], v136 offset0:47 offset1:48
	v_pk_add_f32 v[20:21], v[20:21], v[146:147] neg_lo:[0,1] neg_hi:[0,1]
	s_wait_dscnt 0x0
	v_pk_mul_f32 v[146:147], v[142:143], v[134:135] op_sel:[0,1]
	v_pk_fma_f32 v[148:149], v[142:143], v[132:133], v[146:147] op_sel:[0,0,1] op_sel_hi:[1,1,0] neg_lo:[0,0,1] neg_hi:[0,0,1]
	v_pk_fma_f32 v[142:143], v[142:143], v[132:133], v[146:147] op_sel:[0,0,1] op_sel_hi:[1,0,0]
	v_dual_mul_f32 v146, v145, v135 :: v_dual_mov_b32 v142, v145
	s_delay_alu instid0(VALU_DEP_2) | instskip(NEXT) | instid1(VALU_DEP_2)
	v_dual_mov_b32 v149, v143 :: v_dual_mov_b32 v143, v144
	v_pk_fma_f32 v[146:147], v[144:145], v[40:41], v[146:147] op_sel_hi:[1,1,0] neg_lo:[0,0,1] neg_hi:[0,0,1]
	v_mul_f32_e32 v144, v145, v132
	s_delay_alu instid0(VALU_DEP_3) | instskip(NEXT) | instid1(VALU_DEP_2)
	v_pk_add_f32 v[18:19], v[18:19], v[148:149] neg_lo:[0,1] neg_hi:[0,1]
	v_pk_fma_f32 v[142:143], v[142:143], v[40:41], v[144:145] op_sel_hi:[1,1,0]
	s_delay_alu instid0(VALU_DEP_1) | instskip(SKIP_4) | instid1(VALU_DEP_1)
	v_mov_b32_e32 v147, v143
	ds_load_2addr_b64 v[142:145], v136 offset0:49 offset1:50
	v_pk_add_f32 v[76:77], v[76:77], v[146:147] neg_lo:[0,1] neg_hi:[0,1]
	s_wait_dscnt 0x0
	v_pk_mul_f32 v[146:147], v[142:143], v[134:135] op_sel:[0,1]
	v_pk_fma_f32 v[148:149], v[142:143], v[132:133], v[146:147] op_sel:[0,0,1] op_sel_hi:[1,1,0] neg_lo:[0,0,1] neg_hi:[0,0,1]
	v_pk_fma_f32 v[142:143], v[142:143], v[132:133], v[146:147] op_sel:[0,0,1] op_sel_hi:[1,0,0]
	s_delay_alu instid0(VALU_DEP_1) | instskip(SKIP_1) | instid1(VALU_DEP_1)
	v_mov_b32_e32 v149, v143
	v_pk_mul_f32 v[142:143], v[144:145], v[134:135] op_sel:[0,1]
	v_pk_fma_f32 v[146:147], v[144:145], v[132:133], v[142:143] op_sel:[0,0,1] op_sel_hi:[1,1,0] neg_lo:[0,0,1] neg_hi:[0,0,1]
	v_pk_fma_f32 v[142:143], v[144:145], v[132:133], v[142:143] op_sel:[0,0,1] op_sel_hi:[1,0,0]
	s_delay_alu instid0(VALU_DEP_1)
	v_mov_b32_e32 v147, v143
	ds_load_2addr_b64 v[142:145], v136 offset0:51 offset1:52
	v_pk_add_f32 v[74:75], v[74:75], v[148:149] neg_lo:[0,1] neg_hi:[0,1]
	v_pk_add_f32 v[16:17], v[16:17], v[146:147] neg_lo:[0,1] neg_hi:[0,1]
	s_wait_dscnt 0x0
	v_pk_mul_f32 v[146:147], v[142:143], v[134:135] op_sel:[0,1]
	s_delay_alu instid0(VALU_DEP_1) | instskip(SKIP_1) | instid1(VALU_DEP_1)
	v_pk_fma_f32 v[148:149], v[142:143], v[132:133], v[146:147] op_sel:[0,0,1] op_sel_hi:[1,1,0] neg_lo:[0,0,1] neg_hi:[0,0,1]
	v_pk_fma_f32 v[142:143], v[142:143], v[132:133], v[146:147] op_sel:[0,0,1] op_sel_hi:[1,0,0]
	v_mov_b32_e32 v149, v143
	v_pk_mul_f32 v[142:143], v[144:145], v[134:135] op_sel:[0,1]
	s_delay_alu instid0(VALU_DEP_1) | instskip(SKIP_1) | instid1(VALU_DEP_1)
	v_pk_fma_f32 v[146:147], v[144:145], v[132:133], v[142:143] op_sel:[0,0,1] op_sel_hi:[1,1,0] neg_lo:[0,0,1] neg_hi:[0,0,1]
	v_pk_fma_f32 v[142:143], v[144:145], v[132:133], v[142:143] op_sel:[0,0,1] op_sel_hi:[1,0,0]
	v_mov_b32_e32 v147, v143
	ds_load_2addr_b64 v[142:145], v136 offset0:53 offset1:54
	v_pk_add_f32 v[28:29], v[28:29], v[148:149] neg_lo:[0,1] neg_hi:[0,1]
	v_pk_add_f32 v[68:69], v[68:69], v[146:147] neg_lo:[0,1] neg_hi:[0,1]
	s_wait_dscnt 0x0
	v_dual_mul_f32 v146, v143, v135 :: v_dual_mul_f32 v148, v143, v132
	s_delay_alu instid0(VALU_DEP_1) | instskip(NEXT) | instid1(VALU_DEP_2)
	v_pk_fma_f32 v[146:147], v[142:143], v[40:41], v[146:147] op_sel_hi:[1,1,0] neg_lo:[0,0,1] neg_hi:[0,0,1]
	v_pk_fma_f32 v[142:143], v[142:143], v[40:41], v[148:149] op_sel:[1,0,0] op_sel_hi:[0,1,0]
	s_delay_alu instid0(VALU_DEP_1) | instskip(SKIP_1) | instid1(VALU_DEP_2)
	v_mov_b32_e32 v147, v143
	v_pk_mul_f32 v[142:143], v[144:145], v[134:135] op_sel:[0,1]
	v_pk_add_f32 v[66:67], v[66:67], v[146:147] neg_lo:[0,1] neg_hi:[0,1]
	s_delay_alu instid0(VALU_DEP_2) | instskip(SKIP_1) | instid1(VALU_DEP_1)
	v_pk_fma_f32 v[146:147], v[144:145], v[132:133], v[142:143] op_sel:[0,0,1] op_sel_hi:[1,1,0] neg_lo:[0,0,1] neg_hi:[0,0,1]
	v_pk_fma_f32 v[142:143], v[144:145], v[132:133], v[142:143] op_sel:[0,0,1] op_sel_hi:[1,0,0]
	v_mov_b32_e32 v147, v143
	ds_load_2addr_b64 v[142:145], v136 offset0:55 offset1:56
	v_pk_add_f32 v[10:11], v[10:11], v[146:147] neg_lo:[0,1] neg_hi:[0,1]
	s_wait_dscnt 0x0
	v_pk_mul_f32 v[146:147], v[142:143], v[134:135] op_sel:[0,1]
	s_delay_alu instid0(VALU_DEP_1) | instskip(SKIP_1) | instid1(VALU_DEP_1)
	v_pk_fma_f32 v[148:149], v[142:143], v[132:133], v[146:147] op_sel:[0,0,1] op_sel_hi:[1,1,0] neg_lo:[0,0,1] neg_hi:[0,0,1]
	v_pk_fma_f32 v[142:143], v[142:143], v[132:133], v[146:147] op_sel:[0,0,1] op_sel_hi:[1,0,0]
	v_mov_b32_e32 v149, v143
	v_pk_mul_f32 v[142:143], v[144:145], v[134:135] op_sel:[0,1]
	s_delay_alu instid0(VALU_DEP_2) | instskip(NEXT) | instid1(VALU_DEP_2)
	v_pk_add_f32 v[8:9], v[8:9], v[148:149] neg_lo:[0,1] neg_hi:[0,1]
	v_pk_fma_f32 v[146:147], v[144:145], v[132:133], v[142:143] op_sel:[0,0,1] op_sel_hi:[1,1,0] neg_lo:[0,0,1] neg_hi:[0,0,1]
	v_pk_fma_f32 v[142:143], v[144:145], v[132:133], v[142:143] op_sel:[0,0,1] op_sel_hi:[1,0,0]
	s_delay_alu instid0(VALU_DEP_1) | instskip(SKIP_4) | instid1(VALU_DEP_1)
	v_mov_b32_e32 v147, v143
	ds_load_2addr_b64 v[142:145], v136 offset0:57 offset1:58
	v_pk_add_f32 v[34:35], v[34:35], v[146:147] neg_lo:[0,1] neg_hi:[0,1]
	s_wait_dscnt 0x0
	v_pk_mul_f32 v[146:147], v[142:143], v[134:135] op_sel:[0,1]
	v_pk_fma_f32 v[148:149], v[142:143], v[132:133], v[146:147] op_sel:[0,0,1] op_sel_hi:[1,1,0] neg_lo:[0,0,1] neg_hi:[0,0,1]
	v_pk_fma_f32 v[142:143], v[142:143], v[132:133], v[146:147] op_sel:[0,0,1] op_sel_hi:[1,0,0]
	v_dual_mul_f32 v146, v145, v135 :: v_dual_mov_b32 v142, v145
	s_delay_alu instid0(VALU_DEP_2) | instskip(NEXT) | instid1(VALU_DEP_2)
	v_dual_mov_b32 v149, v143 :: v_dual_mov_b32 v143, v144
	v_pk_fma_f32 v[146:147], v[144:145], v[40:41], v[146:147] op_sel_hi:[1,1,0] neg_lo:[0,0,1] neg_hi:[0,0,1]
	v_mul_f32_e32 v144, v145, v132
	s_delay_alu instid0(VALU_DEP_3) | instskip(NEXT) | instid1(VALU_DEP_2)
	v_pk_add_f32 v[30:31], v[30:31], v[148:149] neg_lo:[0,1] neg_hi:[0,1]
	v_pk_fma_f32 v[142:143], v[142:143], v[40:41], v[144:145] op_sel_hi:[1,1,0]
	s_delay_alu instid0(VALU_DEP_1) | instskip(SKIP_4) | instid1(VALU_DEP_1)
	v_mov_b32_e32 v147, v143
	ds_load_2addr_b64 v[142:145], v136 offset0:59 offset1:60
	v_pk_add_f32 v[6:7], v[6:7], v[146:147] neg_lo:[0,1] neg_hi:[0,1]
	s_wait_dscnt 0x0
	v_pk_mul_f32 v[146:147], v[142:143], v[134:135] op_sel:[0,1]
	v_pk_fma_f32 v[148:149], v[142:143], v[132:133], v[146:147] op_sel:[0,0,1] op_sel_hi:[1,1,0] neg_lo:[0,0,1] neg_hi:[0,0,1]
	v_pk_fma_f32 v[142:143], v[142:143], v[132:133], v[146:147] op_sel:[0,0,1] op_sel_hi:[1,0,0]
	s_delay_alu instid0(VALU_DEP_1) | instskip(SKIP_1) | instid1(VALU_DEP_1)
	v_mov_b32_e32 v149, v143
	v_pk_mul_f32 v[142:143], v[144:145], v[134:135] op_sel:[0,1]
	v_pk_fma_f32 v[146:147], v[144:145], v[132:133], v[142:143] op_sel:[0,0,1] op_sel_hi:[1,1,0] neg_lo:[0,0,1] neg_hi:[0,0,1]
	v_pk_fma_f32 v[142:143], v[144:145], v[132:133], v[142:143] op_sel:[0,0,1] op_sel_hi:[1,0,0]
	s_delay_alu instid0(VALU_DEP_1)
	v_mov_b32_e32 v147, v143
	ds_load_2addr_b64 v[142:145], v136 offset0:61 offset1:62
	v_pk_add_f32 v[26:27], v[26:27], v[148:149] neg_lo:[0,1] neg_hi:[0,1]
	v_pk_add_f32 v[14:15], v[14:15], v[146:147] neg_lo:[0,1] neg_hi:[0,1]
	s_wait_dscnt 0x0
	v_pk_mul_f32 v[146:147], v[142:143], v[134:135] op_sel:[0,1]
	v_pk_mul_f32 v[134:135], v[144:145], v[134:135] op_sel:[0,1]
	s_delay_alu instid0(VALU_DEP_2) | instskip(SKIP_1) | instid1(VALU_DEP_1)
	v_pk_fma_f32 v[148:149], v[142:143], v[132:133], v[146:147] op_sel:[0,0,1] op_sel_hi:[1,1,0] neg_lo:[0,0,1] neg_hi:[0,0,1]
	v_pk_fma_f32 v[142:143], v[142:143], v[132:133], v[146:147] op_sel:[0,0,1] op_sel_hi:[1,0,0]
	v_mov_b32_e32 v149, v143
	s_delay_alu instid0(VALU_DEP_4) | instskip(SKIP_1) | instid1(VALU_DEP_1)
	v_pk_fma_f32 v[142:143], v[144:145], v[132:133], v[134:135] op_sel:[0,0,1] op_sel_hi:[1,1,0] neg_lo:[0,0,1] neg_hi:[0,0,1]
	v_pk_fma_f32 v[132:133], v[144:145], v[132:133], v[134:135] op_sel:[0,0,1] op_sel_hi:[1,0,0]
	v_mov_b32_e32 v143, v133
	s_delay_alu instid0(VALU_DEP_4) | instskip(NEXT) | instid1(VALU_DEP_2)
	v_pk_add_f32 v[12:13], v[12:13], v[148:149] neg_lo:[0,1] neg_hi:[0,1]
	v_pk_add_f32 v[130:131], v[130:131], v[142:143] neg_lo:[0,1] neg_hi:[0,1]
.LBB124_734:
	s_or_b32 exec_lo, exec_lo, s0
	v_lshl_add_u32 v132, v140, 3, v136
	s_barrier_signal -1
	s_barrier_wait -1
	ds_store_b64 v132, v[38:39]
	s_wait_dscnt 0x0
	s_barrier_signal -1
	s_barrier_wait -1
	ds_load_b64 v[134:135], v136 offset:280
	v_mov_b32_e32 v132, 35
	s_cmp_lt_i32 s18, 37
	s_cbranch_scc1 .LBB124_737
; %bb.735:
	v_add3_u32 v133, v137, 0, 0x120
	v_mov_b32_e32 v132, 35
	s_mov_b32 s0, 36
.LBB124_736:                            ; =>This Inner Loop Header: Depth=1
	ds_load_b64 v[142:143], v133
	s_wait_dscnt 0x1
	v_cmp_gt_f32_e32 vcc_lo, 0, v134
	v_cndmask_b32_e64 v144, v134, -v134, vcc_lo
	v_cmp_gt_f32_e32 vcc_lo, 0, v135
	v_cndmask_b32_e64 v146, v135, -v135, vcc_lo
	s_wait_dscnt 0x0
	v_cmp_gt_f32_e32 vcc_lo, 0, v142
	v_cndmask_b32_e64 v145, v142, -v142, vcc_lo
	v_cmp_gt_f32_e32 vcc_lo, 0, v143
	v_cndmask_b32_e64 v147, v143, -v143, vcc_lo
	s_delay_alu instid0(VALU_DEP_1) | instskip(NEXT) | instid1(VALU_DEP_1)
	v_pk_add_f32 v[144:145], v[144:145], v[146:147]
	v_cmp_lt_f32_e32 vcc_lo, v144, v145
	v_dual_add_nc_u32 v133, 8, v133 :: v_dual_cndmask_b32 v135, v135, v143, vcc_lo
	v_cndmask_b32_e32 v134, v134, v142, vcc_lo
	v_cndmask_b32_e64 v132, v132, s0, vcc_lo
	s_add_co_i32 s0, s0, 1
	s_delay_alu instid0(SALU_CYCLE_1)
	s_cmp_lg_u32 s18, s0
	s_cbranch_scc1 .LBB124_736
.LBB124_737:
	s_wait_dscnt 0x0
	v_cmp_eq_f32_e32 vcc_lo, 0, v134
	v_cmp_eq_f32_e64 s0, 0, v135
	s_and_b32 s0, vcc_lo, s0
	s_delay_alu instid0(SALU_CYCLE_1) | instskip(NEXT) | instid1(SALU_CYCLE_1)
	s_and_saveexec_b32 s1, s0
	s_xor_b32 s0, exec_lo, s1
; %bb.738:
	v_cmp_ne_u32_e32 vcc_lo, 0, v138
	v_cndmask_b32_e32 v138, 36, v138, vcc_lo
; %bb.739:
	s_and_not1_saveexec_b32 s0, s0
	s_cbranch_execz .LBB124_745
; %bb.740:
	v_cmp_ngt_f32_e64 s1, |v134|, |v135|
	s_and_saveexec_b32 s12, s1
	s_delay_alu instid0(SALU_CYCLE_1)
	s_xor_b32 s1, exec_lo, s12
	s_cbranch_execz .LBB124_742
; %bb.741:
	v_div_scale_f32 v133, null, v135, v135, v134
	v_div_scale_f32 v143, vcc_lo, v134, v135, v134
	s_delay_alu instid0(VALU_DEP_2) | instskip(SKIP_1) | instid1(TRANS32_DEP_1)
	v_rcp_f32_e32 v141, v133
	v_nop
	v_fma_f32 v142, -v133, v141, 1.0
	s_delay_alu instid0(VALU_DEP_1) | instskip(NEXT) | instid1(VALU_DEP_1)
	v_fmac_f32_e32 v141, v142, v141
	v_mul_f32_e32 v142, v143, v141
	s_delay_alu instid0(VALU_DEP_1) | instskip(NEXT) | instid1(VALU_DEP_1)
	v_fma_f32 v144, -v133, v142, v143
	v_fmac_f32_e32 v142, v144, v141
	s_delay_alu instid0(VALU_DEP_1) | instskip(NEXT) | instid1(VALU_DEP_1)
	v_fma_f32 v133, -v133, v142, v143
	v_div_fmas_f32 v133, v133, v141, v142
	s_delay_alu instid0(VALU_DEP_1) | instskip(NEXT) | instid1(VALU_DEP_1)
	v_div_fixup_f32 v133, v133, v135, v134
	v_fmac_f32_e32 v135, v134, v133
	s_delay_alu instid0(VALU_DEP_1) | instskip(SKIP_1) | instid1(VALU_DEP_2)
	v_div_scale_f32 v134, null, v135, v135, 1.0
	v_div_scale_f32 v143, vcc_lo, 1.0, v135, 1.0
	v_rcp_f32_e32 v141, v134
	v_nop
	s_delay_alu instid0(TRANS32_DEP_1) | instskip(NEXT) | instid1(VALU_DEP_1)
	v_fma_f32 v142, -v134, v141, 1.0
	v_fmac_f32_e32 v141, v142, v141
	s_delay_alu instid0(VALU_DEP_1) | instskip(NEXT) | instid1(VALU_DEP_1)
	v_mul_f32_e32 v142, v143, v141
	v_fma_f32 v144, -v134, v142, v143
	s_delay_alu instid0(VALU_DEP_1) | instskip(NEXT) | instid1(VALU_DEP_1)
	v_fmac_f32_e32 v142, v144, v141
	v_fma_f32 v134, -v134, v142, v143
	s_delay_alu instid0(VALU_DEP_1) | instskip(NEXT) | instid1(VALU_DEP_1)
	v_div_fmas_f32 v134, v134, v141, v142
	v_div_fixup_f32 v135, v134, v135, 1.0
	s_delay_alu instid0(VALU_DEP_1)
	v_mul_f32_e32 v134, v133, v135
	v_xor_b32_e32 v135, 0x80000000, v135
.LBB124_742:
	s_and_not1_saveexec_b32 s1, s1
	s_cbranch_execz .LBB124_744
; %bb.743:
	s_delay_alu instid0(VALU_DEP_1) | instskip(SKIP_1) | instid1(VALU_DEP_2)
	v_div_scale_f32 v133, null, v134, v134, v135
	v_div_scale_f32 v143, vcc_lo, v135, v134, v135
	v_rcp_f32_e32 v141, v133
	v_nop
	s_delay_alu instid0(TRANS32_DEP_1) | instskip(NEXT) | instid1(VALU_DEP_1)
	v_fma_f32 v142, -v133, v141, 1.0
	v_fmac_f32_e32 v141, v142, v141
	s_delay_alu instid0(VALU_DEP_1) | instskip(NEXT) | instid1(VALU_DEP_1)
	v_mul_f32_e32 v142, v143, v141
	v_fma_f32 v144, -v133, v142, v143
	s_delay_alu instid0(VALU_DEP_1) | instskip(NEXT) | instid1(VALU_DEP_1)
	v_fmac_f32_e32 v142, v144, v141
	v_fma_f32 v133, -v133, v142, v143
	s_delay_alu instid0(VALU_DEP_1) | instskip(NEXT) | instid1(VALU_DEP_1)
	v_div_fmas_f32 v133, v133, v141, v142
	v_div_fixup_f32 v133, v133, v134, v135
	s_delay_alu instid0(VALU_DEP_1) | instskip(NEXT) | instid1(VALU_DEP_1)
	v_fmac_f32_e32 v134, v135, v133
	v_div_scale_f32 v135, null, v134, v134, 1.0
	s_delay_alu instid0(VALU_DEP_1) | instskip(SKIP_1) | instid1(TRANS32_DEP_1)
	v_rcp_f32_e32 v141, v135
	v_nop
	v_fma_f32 v142, -v135, v141, 1.0
	s_delay_alu instid0(VALU_DEP_1) | instskip(SKIP_1) | instid1(VALU_DEP_1)
	v_fmac_f32_e32 v141, v142, v141
	v_div_scale_f32 v142, vcc_lo, 1.0, v134, 1.0
	v_mul_f32_e32 v143, v142, v141
	s_delay_alu instid0(VALU_DEP_1) | instskip(NEXT) | instid1(VALU_DEP_1)
	v_fma_f32 v144, -v135, v143, v142
	v_fmac_f32_e32 v143, v144, v141
	s_delay_alu instid0(VALU_DEP_1) | instskip(NEXT) | instid1(VALU_DEP_1)
	v_fma_f32 v135, -v135, v143, v142
	v_div_fmas_f32 v135, v135, v141, v143
	s_delay_alu instid0(VALU_DEP_1) | instskip(NEXT) | instid1(VALU_DEP_1)
	v_div_fixup_f32 v134, v135, v134, 1.0
	v_mul_f32_e64 v135, v133, -v134
.LBB124_744:
	s_or_b32 exec_lo, exec_lo, s1
.LBB124_745:
	s_delay_alu instid0(SALU_CYCLE_1) | instskip(NEXT) | instid1(SALU_CYCLE_1)
	s_or_b32 exec_lo, exec_lo, s0
	s_mov_b32 s0, exec_lo
	v_cmpx_ne_u32_e64 v140, v132
	s_xor_b32 s0, exec_lo, s0
	s_cbranch_execz .LBB124_751
; %bb.746:
	s_mov_b32 s1, exec_lo
	v_cmpx_eq_u32_e32 35, v140
	s_cbranch_execz .LBB124_750
; %bb.747:
	v_cmp_ne_u32_e32 vcc_lo, 35, v132
	s_xor_b32 s12, s16, -1
	s_delay_alu instid0(SALU_CYCLE_1) | instskip(NEXT) | instid1(SALU_CYCLE_1)
	s_and_b32 s13, s12, vcc_lo
	s_and_saveexec_b32 s12, s13
	s_cbranch_execz .LBB124_749
; %bb.748:
	v_ashrrev_i32_e32 v133, 31, v132
	s_delay_alu instid0(VALU_DEP_1)
	v_lshl_add_u64 v[140:141], v[132:133], 2, v[4:5]
	s_clause 0x1
	global_load_b32 v133, v[140:141], off
	global_load_b32 v139, v[4:5], off offset:140
	s_wait_loadcnt 0x1
	global_store_b32 v[4:5], v133, off offset:140
	s_wait_loadcnt 0x0
	global_store_b32 v[140:141], v139, off
.LBB124_749:
	s_wait_xcnt 0x0
	s_or_b32 exec_lo, exec_lo, s12
	v_dual_mov_b32 v140, v132 :: v_dual_mov_b32 v139, v132
.LBB124_750:
	s_or_b32 exec_lo, exec_lo, s1
.LBB124_751:
	s_and_not1_saveexec_b32 s0, s0
	s_cbranch_execz .LBB124_753
; %bb.752:
	v_dual_mov_b32 v132, v88 :: v_dual_mov_b32 v133, v89
	v_dual_mov_b32 v140, v86 :: v_dual_mov_b32 v141, v87
	ds_store_2addr_b64 v136, v[132:133], v[140:141] offset0:36 offset1:37
	v_dual_mov_b32 v132, v36 :: v_dual_mov_b32 v133, v37
	v_dual_mov_b32 v140, v32 :: v_dual_mov_b32 v141, v33
	ds_store_2addr_b64 v136, v[132:133], v[140:141] offset0:38 offset1:39
	;; [unrolled: 3-line block ×13, first 2 shown]
	ds_store_b64 v136, v[130:131] offset:496
	v_mov_b32_e32 v140, 35
.LBB124_753:
	s_or_b32 exec_lo, exec_lo, s0
	s_delay_alu instid0(SALU_CYCLE_1)
	s_mov_b32 s0, exec_lo
	s_wait_storecnt_dscnt 0x0
	s_barrier_signal -1
	s_barrier_wait -1
	v_cmpx_lt_i32_e32 35, v140
	s_cbranch_execz .LBB124_755
; %bb.754:
	v_pk_mul_f32 v[142:143], v[134:135], v[38:39] op_sel:[1,1] op_sel_hi:[0,1]
	s_delay_alu instid0(VALU_DEP_1)
	v_pk_fma_f32 v[132:133], v[134:135], v[38:39], v[142:143] op_sel_hi:[1,0,1] neg_lo:[0,0,1] neg_hi:[0,0,1]
	v_pk_fma_f32 v[134:135], v[134:135], v[38:39], v[142:143] op_sel_hi:[1,0,1]
	ds_load_2addr_b64 v[142:145], v136 offset0:36 offset1:37
	v_dual_mov_b32 v38, v132 :: v_dual_mov_b32 v39, v135
	s_wait_dscnt 0x0
	v_pk_mul_f32 v[146:147], v[142:143], v[134:135] op_sel:[0,1]
	s_delay_alu instid0(VALU_DEP_1) | instskip(SKIP_1) | instid1(VALU_DEP_1)
	v_pk_fma_f32 v[148:149], v[142:143], v[132:133], v[146:147] op_sel:[0,0,1] op_sel_hi:[1,1,0] neg_lo:[0,0,1] neg_hi:[0,0,1]
	v_pk_fma_f32 v[142:143], v[142:143], v[132:133], v[146:147] op_sel:[0,0,1] op_sel_hi:[1,0,0]
	v_mov_b32_e32 v149, v143
	v_pk_mul_f32 v[142:143], v[144:145], v[134:135] op_sel:[0,1]
	s_delay_alu instid0(VALU_DEP_1) | instskip(SKIP_1) | instid1(VALU_DEP_1)
	v_pk_fma_f32 v[146:147], v[144:145], v[132:133], v[142:143] op_sel:[0,0,1] op_sel_hi:[1,1,0] neg_lo:[0,0,1] neg_hi:[0,0,1]
	v_pk_fma_f32 v[142:143], v[144:145], v[132:133], v[142:143] op_sel:[0,0,1] op_sel_hi:[1,0,0]
	v_mov_b32_e32 v147, v143
	ds_load_2addr_b64 v[142:145], v136 offset0:38 offset1:39
	v_pk_add_f32 v[88:89], v[88:89], v[148:149] neg_lo:[0,1] neg_hi:[0,1]
	v_pk_add_f32 v[86:87], v[86:87], v[146:147] neg_lo:[0,1] neg_hi:[0,1]
	s_wait_dscnt 0x0
	v_pk_mul_f32 v[146:147], v[142:143], v[134:135] op_sel:[0,1]
	s_delay_alu instid0(VALU_DEP_1) | instskip(SKIP_2) | instid1(VALU_DEP_2)
	v_pk_fma_f32 v[148:149], v[142:143], v[132:133], v[146:147] op_sel:[0,0,1] op_sel_hi:[1,1,0] neg_lo:[0,0,1] neg_hi:[0,0,1]
	v_pk_fma_f32 v[142:143], v[142:143], v[132:133], v[146:147] op_sel:[0,0,1] op_sel_hi:[1,0,0]
	v_dual_mul_f32 v146, v145, v135 :: v_dual_mov_b32 v142, v145
	v_dual_mov_b32 v149, v143 :: v_dual_mov_b32 v143, v144
	s_delay_alu instid0(VALU_DEP_2) | instskip(SKIP_1) | instid1(VALU_DEP_3)
	v_pk_fma_f32 v[146:147], v[144:145], v[38:39], v[146:147] op_sel_hi:[1,1,0] neg_lo:[0,0,1] neg_hi:[0,0,1]
	v_mul_f32_e32 v144, v145, v132
	v_pk_add_f32 v[36:37], v[36:37], v[148:149] neg_lo:[0,1] neg_hi:[0,1]
	s_delay_alu instid0(VALU_DEP_2) | instskip(NEXT) | instid1(VALU_DEP_1)
	v_pk_fma_f32 v[142:143], v[142:143], v[38:39], v[144:145] op_sel_hi:[1,1,0]
	v_mov_b32_e32 v147, v143
	ds_load_2addr_b64 v[142:145], v136 offset0:40 offset1:41
	v_pk_add_f32 v[32:33], v[32:33], v[146:147] neg_lo:[0,1] neg_hi:[0,1]
	s_wait_dscnt 0x0
	v_pk_mul_f32 v[146:147], v[142:143], v[134:135] op_sel:[0,1]
	s_delay_alu instid0(VALU_DEP_1) | instskip(SKIP_1) | instid1(VALU_DEP_1)
	v_pk_fma_f32 v[148:149], v[142:143], v[132:133], v[146:147] op_sel:[0,0,1] op_sel_hi:[1,1,0] neg_lo:[0,0,1] neg_hi:[0,0,1]
	v_pk_fma_f32 v[142:143], v[142:143], v[132:133], v[146:147] op_sel:[0,0,1] op_sel_hi:[1,0,0]
	v_mov_b32_e32 v149, v143
	v_pk_mul_f32 v[142:143], v[144:145], v[134:135] op_sel:[0,1]
	s_delay_alu instid0(VALU_DEP_1) | instskip(SKIP_1) | instid1(VALU_DEP_1)
	v_pk_fma_f32 v[146:147], v[144:145], v[132:133], v[142:143] op_sel:[0,0,1] op_sel_hi:[1,1,0] neg_lo:[0,0,1] neg_hi:[0,0,1]
	v_pk_fma_f32 v[142:143], v[144:145], v[132:133], v[142:143] op_sel:[0,0,1] op_sel_hi:[1,0,0]
	v_mov_b32_e32 v147, v143
	ds_load_2addr_b64 v[142:145], v136 offset0:42 offset1:43
	v_pk_add_f32 v[84:85], v[84:85], v[148:149] neg_lo:[0,1] neg_hi:[0,1]
	v_pk_add_f32 v[82:83], v[82:83], v[146:147] neg_lo:[0,1] neg_hi:[0,1]
	s_wait_dscnt 0x0
	v_pk_mul_f32 v[146:147], v[142:143], v[134:135] op_sel:[0,1]
	s_delay_alu instid0(VALU_DEP_1) | instskip(SKIP_1) | instid1(VALU_DEP_1)
	v_pk_fma_f32 v[148:149], v[142:143], v[132:133], v[146:147] op_sel:[0,0,1] op_sel_hi:[1,1,0] neg_lo:[0,0,1] neg_hi:[0,0,1]
	v_pk_fma_f32 v[142:143], v[142:143], v[132:133], v[146:147] op_sel:[0,0,1] op_sel_hi:[1,0,0]
	v_mov_b32_e32 v149, v143
	v_pk_mul_f32 v[142:143], v[144:145], v[134:135] op_sel:[0,1]
	s_delay_alu instid0(VALU_DEP_1) | instskip(SKIP_1) | instid1(VALU_DEP_1)
	v_pk_fma_f32 v[146:147], v[144:145], v[132:133], v[142:143] op_sel:[0,0,1] op_sel_hi:[1,1,0] neg_lo:[0,0,1] neg_hi:[0,0,1]
	v_pk_fma_f32 v[142:143], v[144:145], v[132:133], v[142:143] op_sel:[0,0,1] op_sel_hi:[1,0,0]
	v_mov_b32_e32 v147, v143
	ds_load_2addr_b64 v[142:145], v136 offset0:44 offset1:45
	v_pk_add_f32 v[24:25], v[24:25], v[148:149] neg_lo:[0,1] neg_hi:[0,1]
	v_pk_add_f32 v[22:23], v[22:23], v[146:147] neg_lo:[0,1] neg_hi:[0,1]
	s_wait_dscnt 0x0
	v_dual_mul_f32 v146, v143, v135 :: v_dual_mul_f32 v148, v143, v132
	s_delay_alu instid0(VALU_DEP_1) | instskip(NEXT) | instid1(VALU_DEP_2)
	v_pk_fma_f32 v[146:147], v[142:143], v[38:39], v[146:147] op_sel_hi:[1,1,0] neg_lo:[0,0,1] neg_hi:[0,0,1]
	v_pk_fma_f32 v[142:143], v[142:143], v[38:39], v[148:149] op_sel:[1,0,0] op_sel_hi:[0,1,0]
	s_delay_alu instid0(VALU_DEP_1) | instskip(SKIP_1) | instid1(VALU_DEP_2)
	v_mov_b32_e32 v147, v143
	v_pk_mul_f32 v[142:143], v[144:145], v[134:135] op_sel:[0,1]
	v_pk_add_f32 v[80:81], v[80:81], v[146:147] neg_lo:[0,1] neg_hi:[0,1]
	s_delay_alu instid0(VALU_DEP_2) | instskip(SKIP_1) | instid1(VALU_DEP_1)
	v_pk_fma_f32 v[146:147], v[144:145], v[132:133], v[142:143] op_sel:[0,0,1] op_sel_hi:[1,1,0] neg_lo:[0,0,1] neg_hi:[0,0,1]
	v_pk_fma_f32 v[142:143], v[144:145], v[132:133], v[142:143] op_sel:[0,0,1] op_sel_hi:[1,0,0]
	v_mov_b32_e32 v147, v143
	ds_load_2addr_b64 v[142:145], v136 offset0:46 offset1:47
	v_pk_add_f32 v[78:79], v[78:79], v[146:147] neg_lo:[0,1] neg_hi:[0,1]
	s_wait_dscnt 0x0
	v_pk_mul_f32 v[146:147], v[142:143], v[134:135] op_sel:[0,1]
	s_delay_alu instid0(VALU_DEP_1) | instskip(SKIP_1) | instid1(VALU_DEP_1)
	v_pk_fma_f32 v[148:149], v[142:143], v[132:133], v[146:147] op_sel:[0,0,1] op_sel_hi:[1,1,0] neg_lo:[0,0,1] neg_hi:[0,0,1]
	v_pk_fma_f32 v[142:143], v[142:143], v[132:133], v[146:147] op_sel:[0,0,1] op_sel_hi:[1,0,0]
	v_mov_b32_e32 v149, v143
	v_pk_mul_f32 v[142:143], v[144:145], v[134:135] op_sel:[0,1]
	s_delay_alu instid0(VALU_DEP_2) | instskip(NEXT) | instid1(VALU_DEP_2)
	v_pk_add_f32 v[20:21], v[20:21], v[148:149] neg_lo:[0,1] neg_hi:[0,1]
	v_pk_fma_f32 v[146:147], v[144:145], v[132:133], v[142:143] op_sel:[0,0,1] op_sel_hi:[1,1,0] neg_lo:[0,0,1] neg_hi:[0,0,1]
	v_pk_fma_f32 v[142:143], v[144:145], v[132:133], v[142:143] op_sel:[0,0,1] op_sel_hi:[1,0,0]
	s_delay_alu instid0(VALU_DEP_1) | instskip(SKIP_4) | instid1(VALU_DEP_1)
	v_mov_b32_e32 v147, v143
	ds_load_2addr_b64 v[142:145], v136 offset0:48 offset1:49
	v_pk_add_f32 v[18:19], v[18:19], v[146:147] neg_lo:[0,1] neg_hi:[0,1]
	s_wait_dscnt 0x0
	v_pk_mul_f32 v[146:147], v[142:143], v[134:135] op_sel:[0,1]
	v_pk_fma_f32 v[148:149], v[142:143], v[132:133], v[146:147] op_sel:[0,0,1] op_sel_hi:[1,1,0] neg_lo:[0,0,1] neg_hi:[0,0,1]
	v_pk_fma_f32 v[142:143], v[142:143], v[132:133], v[146:147] op_sel:[0,0,1] op_sel_hi:[1,0,0]
	v_dual_mul_f32 v146, v145, v135 :: v_dual_mov_b32 v142, v145
	s_delay_alu instid0(VALU_DEP_2) | instskip(NEXT) | instid1(VALU_DEP_2)
	v_dual_mov_b32 v149, v143 :: v_dual_mov_b32 v143, v144
	v_pk_fma_f32 v[146:147], v[144:145], v[38:39], v[146:147] op_sel_hi:[1,1,0] neg_lo:[0,0,1] neg_hi:[0,0,1]
	v_mul_f32_e32 v144, v145, v132
	s_delay_alu instid0(VALU_DEP_3) | instskip(NEXT) | instid1(VALU_DEP_2)
	v_pk_add_f32 v[76:77], v[76:77], v[148:149] neg_lo:[0,1] neg_hi:[0,1]
	v_pk_fma_f32 v[142:143], v[142:143], v[38:39], v[144:145] op_sel_hi:[1,1,0]
	s_delay_alu instid0(VALU_DEP_1) | instskip(SKIP_4) | instid1(VALU_DEP_1)
	v_mov_b32_e32 v147, v143
	ds_load_2addr_b64 v[142:145], v136 offset0:50 offset1:51
	v_pk_add_f32 v[74:75], v[74:75], v[146:147] neg_lo:[0,1] neg_hi:[0,1]
	s_wait_dscnt 0x0
	v_pk_mul_f32 v[146:147], v[142:143], v[134:135] op_sel:[0,1]
	v_pk_fma_f32 v[148:149], v[142:143], v[132:133], v[146:147] op_sel:[0,0,1] op_sel_hi:[1,1,0] neg_lo:[0,0,1] neg_hi:[0,0,1]
	v_pk_fma_f32 v[142:143], v[142:143], v[132:133], v[146:147] op_sel:[0,0,1] op_sel_hi:[1,0,0]
	s_delay_alu instid0(VALU_DEP_1) | instskip(SKIP_1) | instid1(VALU_DEP_1)
	v_mov_b32_e32 v149, v143
	v_pk_mul_f32 v[142:143], v[144:145], v[134:135] op_sel:[0,1]
	v_pk_fma_f32 v[146:147], v[144:145], v[132:133], v[142:143] op_sel:[0,0,1] op_sel_hi:[1,1,0] neg_lo:[0,0,1] neg_hi:[0,0,1]
	v_pk_fma_f32 v[142:143], v[144:145], v[132:133], v[142:143] op_sel:[0,0,1] op_sel_hi:[1,0,0]
	s_delay_alu instid0(VALU_DEP_1)
	v_mov_b32_e32 v147, v143
	ds_load_2addr_b64 v[142:145], v136 offset0:52 offset1:53
	v_pk_add_f32 v[16:17], v[16:17], v[148:149] neg_lo:[0,1] neg_hi:[0,1]
	v_pk_add_f32 v[28:29], v[28:29], v[146:147] neg_lo:[0,1] neg_hi:[0,1]
	s_wait_dscnt 0x0
	v_pk_mul_f32 v[146:147], v[142:143], v[134:135] op_sel:[0,1]
	s_delay_alu instid0(VALU_DEP_1) | instskip(SKIP_1) | instid1(VALU_DEP_1)
	v_pk_fma_f32 v[148:149], v[142:143], v[132:133], v[146:147] op_sel:[0,0,1] op_sel_hi:[1,1,0] neg_lo:[0,0,1] neg_hi:[0,0,1]
	v_pk_fma_f32 v[142:143], v[142:143], v[132:133], v[146:147] op_sel:[0,0,1] op_sel_hi:[1,0,0]
	v_mov_b32_e32 v149, v143
	v_pk_mul_f32 v[142:143], v[144:145], v[134:135] op_sel:[0,1]
	s_delay_alu instid0(VALU_DEP_1) | instskip(SKIP_1) | instid1(VALU_DEP_1)
	v_pk_fma_f32 v[146:147], v[144:145], v[132:133], v[142:143] op_sel:[0,0,1] op_sel_hi:[1,1,0] neg_lo:[0,0,1] neg_hi:[0,0,1]
	v_pk_fma_f32 v[142:143], v[144:145], v[132:133], v[142:143] op_sel:[0,0,1] op_sel_hi:[1,0,0]
	v_mov_b32_e32 v147, v143
	ds_load_2addr_b64 v[142:145], v136 offset0:54 offset1:55
	v_pk_add_f32 v[68:69], v[68:69], v[148:149] neg_lo:[0,1] neg_hi:[0,1]
	v_pk_add_f32 v[66:67], v[66:67], v[146:147] neg_lo:[0,1] neg_hi:[0,1]
	s_wait_dscnt 0x0
	v_dual_mul_f32 v146, v143, v135 :: v_dual_mul_f32 v148, v143, v132
	s_delay_alu instid0(VALU_DEP_1) | instskip(NEXT) | instid1(VALU_DEP_2)
	v_pk_fma_f32 v[146:147], v[142:143], v[38:39], v[146:147] op_sel_hi:[1,1,0] neg_lo:[0,0,1] neg_hi:[0,0,1]
	v_pk_fma_f32 v[142:143], v[142:143], v[38:39], v[148:149] op_sel:[1,0,0] op_sel_hi:[0,1,0]
	s_delay_alu instid0(VALU_DEP_1) | instskip(SKIP_1) | instid1(VALU_DEP_2)
	v_mov_b32_e32 v147, v143
	v_pk_mul_f32 v[142:143], v[144:145], v[134:135] op_sel:[0,1]
	v_pk_add_f32 v[10:11], v[10:11], v[146:147] neg_lo:[0,1] neg_hi:[0,1]
	s_delay_alu instid0(VALU_DEP_2) | instskip(SKIP_1) | instid1(VALU_DEP_1)
	v_pk_fma_f32 v[146:147], v[144:145], v[132:133], v[142:143] op_sel:[0,0,1] op_sel_hi:[1,1,0] neg_lo:[0,0,1] neg_hi:[0,0,1]
	v_pk_fma_f32 v[142:143], v[144:145], v[132:133], v[142:143] op_sel:[0,0,1] op_sel_hi:[1,0,0]
	v_mov_b32_e32 v147, v143
	ds_load_2addr_b64 v[142:145], v136 offset0:56 offset1:57
	v_pk_add_f32 v[8:9], v[8:9], v[146:147] neg_lo:[0,1] neg_hi:[0,1]
	s_wait_dscnt 0x0
	v_pk_mul_f32 v[146:147], v[142:143], v[134:135] op_sel:[0,1]
	s_delay_alu instid0(VALU_DEP_1) | instskip(SKIP_1) | instid1(VALU_DEP_1)
	v_pk_fma_f32 v[148:149], v[142:143], v[132:133], v[146:147] op_sel:[0,0,1] op_sel_hi:[1,1,0] neg_lo:[0,0,1] neg_hi:[0,0,1]
	v_pk_fma_f32 v[142:143], v[142:143], v[132:133], v[146:147] op_sel:[0,0,1] op_sel_hi:[1,0,0]
	v_mov_b32_e32 v149, v143
	v_pk_mul_f32 v[142:143], v[144:145], v[134:135] op_sel:[0,1]
	s_delay_alu instid0(VALU_DEP_2) | instskip(NEXT) | instid1(VALU_DEP_2)
	v_pk_add_f32 v[34:35], v[34:35], v[148:149] neg_lo:[0,1] neg_hi:[0,1]
	v_pk_fma_f32 v[146:147], v[144:145], v[132:133], v[142:143] op_sel:[0,0,1] op_sel_hi:[1,1,0] neg_lo:[0,0,1] neg_hi:[0,0,1]
	v_pk_fma_f32 v[142:143], v[144:145], v[132:133], v[142:143] op_sel:[0,0,1] op_sel_hi:[1,0,0]
	s_delay_alu instid0(VALU_DEP_1) | instskip(SKIP_4) | instid1(VALU_DEP_1)
	v_mov_b32_e32 v147, v143
	ds_load_2addr_b64 v[142:145], v136 offset0:58 offset1:59
	v_pk_add_f32 v[30:31], v[30:31], v[146:147] neg_lo:[0,1] neg_hi:[0,1]
	s_wait_dscnt 0x0
	v_pk_mul_f32 v[146:147], v[142:143], v[134:135] op_sel:[0,1]
	v_pk_fma_f32 v[148:149], v[142:143], v[132:133], v[146:147] op_sel:[0,0,1] op_sel_hi:[1,1,0] neg_lo:[0,0,1] neg_hi:[0,0,1]
	v_pk_fma_f32 v[142:143], v[142:143], v[132:133], v[146:147] op_sel:[0,0,1] op_sel_hi:[1,0,0]
	v_dual_mul_f32 v146, v145, v135 :: v_dual_mov_b32 v142, v145
	s_delay_alu instid0(VALU_DEP_2) | instskip(NEXT) | instid1(VALU_DEP_2)
	v_dual_mov_b32 v149, v143 :: v_dual_mov_b32 v143, v144
	v_pk_fma_f32 v[146:147], v[144:145], v[38:39], v[146:147] op_sel_hi:[1,1,0] neg_lo:[0,0,1] neg_hi:[0,0,1]
	v_mul_f32_e32 v144, v145, v132
	s_delay_alu instid0(VALU_DEP_3) | instskip(NEXT) | instid1(VALU_DEP_2)
	v_pk_add_f32 v[6:7], v[6:7], v[148:149] neg_lo:[0,1] neg_hi:[0,1]
	v_pk_fma_f32 v[142:143], v[142:143], v[38:39], v[144:145] op_sel_hi:[1,1,0]
	s_delay_alu instid0(VALU_DEP_1) | instskip(SKIP_4) | instid1(VALU_DEP_1)
	v_mov_b32_e32 v147, v143
	ds_load_2addr_b64 v[142:145], v136 offset0:60 offset1:61
	v_pk_add_f32 v[26:27], v[26:27], v[146:147] neg_lo:[0,1] neg_hi:[0,1]
	s_wait_dscnt 0x0
	v_pk_mul_f32 v[146:147], v[142:143], v[134:135] op_sel:[0,1]
	v_pk_fma_f32 v[148:149], v[142:143], v[132:133], v[146:147] op_sel:[0,0,1] op_sel_hi:[1,1,0] neg_lo:[0,0,1] neg_hi:[0,0,1]
	v_pk_fma_f32 v[142:143], v[142:143], v[132:133], v[146:147] op_sel:[0,0,1] op_sel_hi:[1,0,0]
	s_delay_alu instid0(VALU_DEP_1) | instskip(SKIP_1) | instid1(VALU_DEP_1)
	v_mov_b32_e32 v149, v143
	v_pk_mul_f32 v[142:143], v[144:145], v[134:135] op_sel:[0,1]
	v_pk_fma_f32 v[146:147], v[144:145], v[132:133], v[142:143] op_sel:[0,0,1] op_sel_hi:[1,1,0] neg_lo:[0,0,1] neg_hi:[0,0,1]
	v_pk_fma_f32 v[142:143], v[144:145], v[132:133], v[142:143] op_sel:[0,0,1] op_sel_hi:[1,0,0]
	s_delay_alu instid0(VALU_DEP_1)
	v_mov_b32_e32 v147, v143
	ds_load_b64 v[142:143], v136 offset:496
	v_pk_add_f32 v[14:15], v[14:15], v[148:149] neg_lo:[0,1] neg_hi:[0,1]
	v_pk_add_f32 v[12:13], v[12:13], v[146:147] neg_lo:[0,1] neg_hi:[0,1]
	s_wait_dscnt 0x0
	v_pk_mul_f32 v[134:135], v[142:143], v[134:135] op_sel:[0,1]
	s_delay_alu instid0(VALU_DEP_1) | instskip(SKIP_1) | instid1(VALU_DEP_1)
	v_pk_fma_f32 v[144:145], v[142:143], v[132:133], v[134:135] op_sel:[0,0,1] op_sel_hi:[1,1,0] neg_lo:[0,0,1] neg_hi:[0,0,1]
	v_pk_fma_f32 v[132:133], v[142:143], v[132:133], v[134:135] op_sel:[0,0,1] op_sel_hi:[1,0,0]
	v_mov_b32_e32 v145, v133
	s_delay_alu instid0(VALU_DEP_1)
	v_pk_add_f32 v[130:131], v[130:131], v[144:145] neg_lo:[0,1] neg_hi:[0,1]
.LBB124_755:
	s_or_b32 exec_lo, exec_lo, s0
	v_lshl_add_u32 v132, v140, 3, v136
	s_barrier_signal -1
	s_barrier_wait -1
	ds_store_b64 v132, v[88:89]
	s_wait_dscnt 0x0
	s_barrier_signal -1
	s_barrier_wait -1
	ds_load_b64 v[134:135], v136 offset:288
	v_mov_b32_e32 v132, 36
	s_cmp_lt_i32 s18, 38
	s_cbranch_scc1 .LBB124_758
; %bb.756:
	v_add3_u32 v133, v137, 0, 0x128
	v_mov_b32_e32 v132, 36
	s_mov_b32 s0, 37
.LBB124_757:                            ; =>This Inner Loop Header: Depth=1
	ds_load_b64 v[142:143], v133
	s_wait_dscnt 0x1
	v_cmp_gt_f32_e32 vcc_lo, 0, v134
	v_cndmask_b32_e64 v144, v134, -v134, vcc_lo
	v_cmp_gt_f32_e32 vcc_lo, 0, v135
	v_cndmask_b32_e64 v146, v135, -v135, vcc_lo
	s_wait_dscnt 0x0
	v_cmp_gt_f32_e32 vcc_lo, 0, v142
	v_cndmask_b32_e64 v145, v142, -v142, vcc_lo
	v_cmp_gt_f32_e32 vcc_lo, 0, v143
	v_cndmask_b32_e64 v147, v143, -v143, vcc_lo
	s_delay_alu instid0(VALU_DEP_1) | instskip(NEXT) | instid1(VALU_DEP_1)
	v_pk_add_f32 v[144:145], v[144:145], v[146:147]
	v_cmp_lt_f32_e32 vcc_lo, v144, v145
	v_dual_add_nc_u32 v133, 8, v133 :: v_dual_cndmask_b32 v135, v135, v143, vcc_lo
	v_cndmask_b32_e32 v134, v134, v142, vcc_lo
	v_cndmask_b32_e64 v132, v132, s0, vcc_lo
	s_add_co_i32 s0, s0, 1
	s_delay_alu instid0(SALU_CYCLE_1)
	s_cmp_lg_u32 s18, s0
	s_cbranch_scc1 .LBB124_757
.LBB124_758:
	s_wait_dscnt 0x0
	v_cmp_eq_f32_e32 vcc_lo, 0, v134
	v_cmp_eq_f32_e64 s0, 0, v135
	s_and_b32 s0, vcc_lo, s0
	s_delay_alu instid0(SALU_CYCLE_1) | instskip(NEXT) | instid1(SALU_CYCLE_1)
	s_and_saveexec_b32 s1, s0
	s_xor_b32 s0, exec_lo, s1
; %bb.759:
	v_cmp_ne_u32_e32 vcc_lo, 0, v138
	v_cndmask_b32_e32 v138, 37, v138, vcc_lo
; %bb.760:
	s_and_not1_saveexec_b32 s0, s0
	s_cbranch_execz .LBB124_766
; %bb.761:
	v_cmp_ngt_f32_e64 s1, |v134|, |v135|
	s_and_saveexec_b32 s12, s1
	s_delay_alu instid0(SALU_CYCLE_1)
	s_xor_b32 s1, exec_lo, s12
	s_cbranch_execz .LBB124_763
; %bb.762:
	v_div_scale_f32 v133, null, v135, v135, v134
	v_div_scale_f32 v143, vcc_lo, v134, v135, v134
	s_delay_alu instid0(VALU_DEP_2) | instskip(SKIP_1) | instid1(TRANS32_DEP_1)
	v_rcp_f32_e32 v141, v133
	v_nop
	v_fma_f32 v142, -v133, v141, 1.0
	s_delay_alu instid0(VALU_DEP_1) | instskip(NEXT) | instid1(VALU_DEP_1)
	v_fmac_f32_e32 v141, v142, v141
	v_mul_f32_e32 v142, v143, v141
	s_delay_alu instid0(VALU_DEP_1) | instskip(NEXT) | instid1(VALU_DEP_1)
	v_fma_f32 v144, -v133, v142, v143
	v_fmac_f32_e32 v142, v144, v141
	s_delay_alu instid0(VALU_DEP_1) | instskip(NEXT) | instid1(VALU_DEP_1)
	v_fma_f32 v133, -v133, v142, v143
	v_div_fmas_f32 v133, v133, v141, v142
	s_delay_alu instid0(VALU_DEP_1) | instskip(NEXT) | instid1(VALU_DEP_1)
	v_div_fixup_f32 v133, v133, v135, v134
	v_fmac_f32_e32 v135, v134, v133
	s_delay_alu instid0(VALU_DEP_1) | instskip(SKIP_1) | instid1(VALU_DEP_2)
	v_div_scale_f32 v134, null, v135, v135, 1.0
	v_div_scale_f32 v143, vcc_lo, 1.0, v135, 1.0
	v_rcp_f32_e32 v141, v134
	v_nop
	s_delay_alu instid0(TRANS32_DEP_1) | instskip(NEXT) | instid1(VALU_DEP_1)
	v_fma_f32 v142, -v134, v141, 1.0
	v_fmac_f32_e32 v141, v142, v141
	s_delay_alu instid0(VALU_DEP_1) | instskip(NEXT) | instid1(VALU_DEP_1)
	v_mul_f32_e32 v142, v143, v141
	v_fma_f32 v144, -v134, v142, v143
	s_delay_alu instid0(VALU_DEP_1) | instskip(NEXT) | instid1(VALU_DEP_1)
	v_fmac_f32_e32 v142, v144, v141
	v_fma_f32 v134, -v134, v142, v143
	s_delay_alu instid0(VALU_DEP_1) | instskip(NEXT) | instid1(VALU_DEP_1)
	v_div_fmas_f32 v134, v134, v141, v142
	v_div_fixup_f32 v135, v134, v135, 1.0
	s_delay_alu instid0(VALU_DEP_1)
	v_mul_f32_e32 v134, v133, v135
	v_xor_b32_e32 v135, 0x80000000, v135
.LBB124_763:
	s_and_not1_saveexec_b32 s1, s1
	s_cbranch_execz .LBB124_765
; %bb.764:
	s_delay_alu instid0(VALU_DEP_1) | instskip(SKIP_1) | instid1(VALU_DEP_2)
	v_div_scale_f32 v133, null, v134, v134, v135
	v_div_scale_f32 v143, vcc_lo, v135, v134, v135
	v_rcp_f32_e32 v141, v133
	v_nop
	s_delay_alu instid0(TRANS32_DEP_1) | instskip(NEXT) | instid1(VALU_DEP_1)
	v_fma_f32 v142, -v133, v141, 1.0
	v_fmac_f32_e32 v141, v142, v141
	s_delay_alu instid0(VALU_DEP_1) | instskip(NEXT) | instid1(VALU_DEP_1)
	v_mul_f32_e32 v142, v143, v141
	v_fma_f32 v144, -v133, v142, v143
	s_delay_alu instid0(VALU_DEP_1) | instskip(NEXT) | instid1(VALU_DEP_1)
	v_fmac_f32_e32 v142, v144, v141
	v_fma_f32 v133, -v133, v142, v143
	s_delay_alu instid0(VALU_DEP_1) | instskip(NEXT) | instid1(VALU_DEP_1)
	v_div_fmas_f32 v133, v133, v141, v142
	v_div_fixup_f32 v133, v133, v134, v135
	s_delay_alu instid0(VALU_DEP_1) | instskip(NEXT) | instid1(VALU_DEP_1)
	v_fmac_f32_e32 v134, v135, v133
	v_div_scale_f32 v135, null, v134, v134, 1.0
	s_delay_alu instid0(VALU_DEP_1) | instskip(SKIP_1) | instid1(TRANS32_DEP_1)
	v_rcp_f32_e32 v141, v135
	v_nop
	v_fma_f32 v142, -v135, v141, 1.0
	s_delay_alu instid0(VALU_DEP_1) | instskip(SKIP_1) | instid1(VALU_DEP_1)
	v_fmac_f32_e32 v141, v142, v141
	v_div_scale_f32 v142, vcc_lo, 1.0, v134, 1.0
	v_mul_f32_e32 v143, v142, v141
	s_delay_alu instid0(VALU_DEP_1) | instskip(NEXT) | instid1(VALU_DEP_1)
	v_fma_f32 v144, -v135, v143, v142
	v_fmac_f32_e32 v143, v144, v141
	s_delay_alu instid0(VALU_DEP_1) | instskip(NEXT) | instid1(VALU_DEP_1)
	v_fma_f32 v135, -v135, v143, v142
	v_div_fmas_f32 v135, v135, v141, v143
	s_delay_alu instid0(VALU_DEP_1) | instskip(NEXT) | instid1(VALU_DEP_1)
	v_div_fixup_f32 v134, v135, v134, 1.0
	v_mul_f32_e64 v135, v133, -v134
.LBB124_765:
	s_or_b32 exec_lo, exec_lo, s1
.LBB124_766:
	s_delay_alu instid0(SALU_CYCLE_1) | instskip(NEXT) | instid1(SALU_CYCLE_1)
	s_or_b32 exec_lo, exec_lo, s0
	s_mov_b32 s0, exec_lo
	v_cmpx_ne_u32_e64 v140, v132
	s_xor_b32 s0, exec_lo, s0
	s_cbranch_execz .LBB124_772
; %bb.767:
	s_mov_b32 s1, exec_lo
	v_cmpx_eq_u32_e32 36, v140
	s_cbranch_execz .LBB124_771
; %bb.768:
	v_cmp_ne_u32_e32 vcc_lo, 36, v132
	s_xor_b32 s12, s16, -1
	s_delay_alu instid0(SALU_CYCLE_1) | instskip(NEXT) | instid1(SALU_CYCLE_1)
	s_and_b32 s13, s12, vcc_lo
	s_and_saveexec_b32 s12, s13
	s_cbranch_execz .LBB124_770
; %bb.769:
	v_ashrrev_i32_e32 v133, 31, v132
	s_delay_alu instid0(VALU_DEP_1)
	v_lshl_add_u64 v[140:141], v[132:133], 2, v[4:5]
	s_clause 0x1
	global_load_b32 v133, v[140:141], off
	global_load_b32 v139, v[4:5], off offset:144
	s_wait_loadcnt 0x1
	global_store_b32 v[4:5], v133, off offset:144
	s_wait_loadcnt 0x0
	global_store_b32 v[140:141], v139, off
.LBB124_770:
	s_wait_xcnt 0x0
	s_or_b32 exec_lo, exec_lo, s12
	v_dual_mov_b32 v140, v132 :: v_dual_mov_b32 v139, v132
.LBB124_771:
	s_or_b32 exec_lo, exec_lo, s1
.LBB124_772:
	s_and_not1_saveexec_b32 s0, s0
	s_cbranch_execz .LBB124_774
; %bb.773:
	v_mov_b32_e32 v140, 36
	ds_store_2addr_b64 v136, v[86:87], v[36:37] offset0:37 offset1:38
	ds_store_2addr_b64 v136, v[32:33], v[84:85] offset0:39 offset1:40
	;; [unrolled: 1-line block ×13, first 2 shown]
.LBB124_774:
	s_or_b32 exec_lo, exec_lo, s0
	s_delay_alu instid0(SALU_CYCLE_1)
	s_mov_b32 s0, exec_lo
	s_wait_storecnt_dscnt 0x0
	s_barrier_signal -1
	s_barrier_wait -1
	v_cmpx_lt_i32_e32 36, v140
	s_cbranch_execz .LBB124_776
; %bb.775:
	v_pk_mul_f32 v[142:143], v[134:135], v[88:89] op_sel:[1,1] op_sel_hi:[0,1]
	s_delay_alu instid0(VALU_DEP_1)
	v_pk_fma_f32 v[132:133], v[134:135], v[88:89], v[142:143] op_sel_hi:[1,0,1] neg_lo:[0,0,1] neg_hi:[0,0,1]
	v_pk_fma_f32 v[134:135], v[134:135], v[88:89], v[142:143] op_sel_hi:[1,0,1]
	ds_load_2addr_b64 v[142:145], v136 offset0:37 offset1:38
	v_dual_mov_b32 v88, v132 :: v_dual_mov_b32 v89, v135
	s_wait_dscnt 0x0
	v_pk_mul_f32 v[146:147], v[142:143], v[134:135] op_sel:[0,1]
	s_delay_alu instid0(VALU_DEP_1) | instskip(SKIP_1) | instid1(VALU_DEP_1)
	v_pk_fma_f32 v[148:149], v[142:143], v[132:133], v[146:147] op_sel:[0,0,1] op_sel_hi:[1,1,0] neg_lo:[0,0,1] neg_hi:[0,0,1]
	v_pk_fma_f32 v[142:143], v[142:143], v[132:133], v[146:147] op_sel:[0,0,1] op_sel_hi:[1,0,0]
	v_mov_b32_e32 v149, v143
	v_pk_mul_f32 v[142:143], v[144:145], v[134:135] op_sel:[0,1]
	s_delay_alu instid0(VALU_DEP_1) | instskip(SKIP_1) | instid1(VALU_DEP_1)
	v_pk_fma_f32 v[146:147], v[144:145], v[132:133], v[142:143] op_sel:[0,0,1] op_sel_hi:[1,1,0] neg_lo:[0,0,1] neg_hi:[0,0,1]
	v_pk_fma_f32 v[142:143], v[144:145], v[132:133], v[142:143] op_sel:[0,0,1] op_sel_hi:[1,0,0]
	v_mov_b32_e32 v147, v143
	ds_load_2addr_b64 v[142:145], v136 offset0:39 offset1:40
	v_pk_add_f32 v[86:87], v[86:87], v[148:149] neg_lo:[0,1] neg_hi:[0,1]
	v_pk_add_f32 v[36:37], v[36:37], v[146:147] neg_lo:[0,1] neg_hi:[0,1]
	s_wait_dscnt 0x0
	v_pk_mul_f32 v[146:147], v[142:143], v[134:135] op_sel:[0,1]
	s_delay_alu instid0(VALU_DEP_1) | instskip(SKIP_2) | instid1(VALU_DEP_2)
	v_pk_fma_f32 v[148:149], v[142:143], v[132:133], v[146:147] op_sel:[0,0,1] op_sel_hi:[1,1,0] neg_lo:[0,0,1] neg_hi:[0,0,1]
	v_pk_fma_f32 v[142:143], v[142:143], v[132:133], v[146:147] op_sel:[0,0,1] op_sel_hi:[1,0,0]
	v_dual_mul_f32 v146, v145, v135 :: v_dual_mov_b32 v142, v145
	v_dual_mov_b32 v149, v143 :: v_dual_mov_b32 v143, v144
	s_delay_alu instid0(VALU_DEP_2) | instskip(SKIP_1) | instid1(VALU_DEP_3)
	v_pk_fma_f32 v[146:147], v[144:145], v[88:89], v[146:147] op_sel_hi:[1,1,0] neg_lo:[0,0,1] neg_hi:[0,0,1]
	v_mul_f32_e32 v144, v145, v132
	v_pk_add_f32 v[32:33], v[32:33], v[148:149] neg_lo:[0,1] neg_hi:[0,1]
	s_delay_alu instid0(VALU_DEP_2) | instskip(NEXT) | instid1(VALU_DEP_1)
	v_pk_fma_f32 v[142:143], v[142:143], v[88:89], v[144:145] op_sel_hi:[1,1,0]
	v_mov_b32_e32 v147, v143
	ds_load_2addr_b64 v[142:145], v136 offset0:41 offset1:42
	v_pk_add_f32 v[84:85], v[84:85], v[146:147] neg_lo:[0,1] neg_hi:[0,1]
	s_wait_dscnt 0x0
	v_pk_mul_f32 v[146:147], v[142:143], v[134:135] op_sel:[0,1]
	s_delay_alu instid0(VALU_DEP_1) | instskip(SKIP_1) | instid1(VALU_DEP_1)
	v_pk_fma_f32 v[148:149], v[142:143], v[132:133], v[146:147] op_sel:[0,0,1] op_sel_hi:[1,1,0] neg_lo:[0,0,1] neg_hi:[0,0,1]
	v_pk_fma_f32 v[142:143], v[142:143], v[132:133], v[146:147] op_sel:[0,0,1] op_sel_hi:[1,0,0]
	v_mov_b32_e32 v149, v143
	v_pk_mul_f32 v[142:143], v[144:145], v[134:135] op_sel:[0,1]
	s_delay_alu instid0(VALU_DEP_1) | instskip(SKIP_1) | instid1(VALU_DEP_1)
	v_pk_fma_f32 v[146:147], v[144:145], v[132:133], v[142:143] op_sel:[0,0,1] op_sel_hi:[1,1,0] neg_lo:[0,0,1] neg_hi:[0,0,1]
	v_pk_fma_f32 v[142:143], v[144:145], v[132:133], v[142:143] op_sel:[0,0,1] op_sel_hi:[1,0,0]
	v_mov_b32_e32 v147, v143
	ds_load_2addr_b64 v[142:145], v136 offset0:43 offset1:44
	v_pk_add_f32 v[82:83], v[82:83], v[148:149] neg_lo:[0,1] neg_hi:[0,1]
	v_pk_add_f32 v[24:25], v[24:25], v[146:147] neg_lo:[0,1] neg_hi:[0,1]
	s_wait_dscnt 0x0
	v_pk_mul_f32 v[146:147], v[142:143], v[134:135] op_sel:[0,1]
	s_delay_alu instid0(VALU_DEP_1) | instskip(SKIP_1) | instid1(VALU_DEP_1)
	v_pk_fma_f32 v[148:149], v[142:143], v[132:133], v[146:147] op_sel:[0,0,1] op_sel_hi:[1,1,0] neg_lo:[0,0,1] neg_hi:[0,0,1]
	v_pk_fma_f32 v[142:143], v[142:143], v[132:133], v[146:147] op_sel:[0,0,1] op_sel_hi:[1,0,0]
	v_mov_b32_e32 v149, v143
	v_pk_mul_f32 v[142:143], v[144:145], v[134:135] op_sel:[0,1]
	s_delay_alu instid0(VALU_DEP_1) | instskip(SKIP_1) | instid1(VALU_DEP_1)
	v_pk_fma_f32 v[146:147], v[144:145], v[132:133], v[142:143] op_sel:[0,0,1] op_sel_hi:[1,1,0] neg_lo:[0,0,1] neg_hi:[0,0,1]
	v_pk_fma_f32 v[142:143], v[144:145], v[132:133], v[142:143] op_sel:[0,0,1] op_sel_hi:[1,0,0]
	v_mov_b32_e32 v147, v143
	ds_load_2addr_b64 v[142:145], v136 offset0:45 offset1:46
	v_pk_add_f32 v[22:23], v[22:23], v[148:149] neg_lo:[0,1] neg_hi:[0,1]
	v_pk_add_f32 v[80:81], v[80:81], v[146:147] neg_lo:[0,1] neg_hi:[0,1]
	s_wait_dscnt 0x0
	v_dual_mul_f32 v146, v143, v135 :: v_dual_mul_f32 v148, v143, v132
	s_delay_alu instid0(VALU_DEP_1) | instskip(NEXT) | instid1(VALU_DEP_2)
	v_pk_fma_f32 v[146:147], v[142:143], v[88:89], v[146:147] op_sel_hi:[1,1,0] neg_lo:[0,0,1] neg_hi:[0,0,1]
	v_pk_fma_f32 v[142:143], v[142:143], v[88:89], v[148:149] op_sel:[1,0,0] op_sel_hi:[0,1,0]
	s_delay_alu instid0(VALU_DEP_1) | instskip(SKIP_1) | instid1(VALU_DEP_2)
	v_mov_b32_e32 v147, v143
	v_pk_mul_f32 v[142:143], v[144:145], v[134:135] op_sel:[0,1]
	v_pk_add_f32 v[78:79], v[78:79], v[146:147] neg_lo:[0,1] neg_hi:[0,1]
	s_delay_alu instid0(VALU_DEP_2) | instskip(SKIP_1) | instid1(VALU_DEP_1)
	v_pk_fma_f32 v[146:147], v[144:145], v[132:133], v[142:143] op_sel:[0,0,1] op_sel_hi:[1,1,0] neg_lo:[0,0,1] neg_hi:[0,0,1]
	v_pk_fma_f32 v[142:143], v[144:145], v[132:133], v[142:143] op_sel:[0,0,1] op_sel_hi:[1,0,0]
	v_mov_b32_e32 v147, v143
	ds_load_2addr_b64 v[142:145], v136 offset0:47 offset1:48
	v_pk_add_f32 v[20:21], v[20:21], v[146:147] neg_lo:[0,1] neg_hi:[0,1]
	s_wait_dscnt 0x0
	v_pk_mul_f32 v[146:147], v[142:143], v[134:135] op_sel:[0,1]
	s_delay_alu instid0(VALU_DEP_1) | instskip(SKIP_1) | instid1(VALU_DEP_1)
	v_pk_fma_f32 v[148:149], v[142:143], v[132:133], v[146:147] op_sel:[0,0,1] op_sel_hi:[1,1,0] neg_lo:[0,0,1] neg_hi:[0,0,1]
	v_pk_fma_f32 v[142:143], v[142:143], v[132:133], v[146:147] op_sel:[0,0,1] op_sel_hi:[1,0,0]
	v_mov_b32_e32 v149, v143
	v_pk_mul_f32 v[142:143], v[144:145], v[134:135] op_sel:[0,1]
	s_delay_alu instid0(VALU_DEP_2) | instskip(NEXT) | instid1(VALU_DEP_2)
	v_pk_add_f32 v[18:19], v[18:19], v[148:149] neg_lo:[0,1] neg_hi:[0,1]
	v_pk_fma_f32 v[146:147], v[144:145], v[132:133], v[142:143] op_sel:[0,0,1] op_sel_hi:[1,1,0] neg_lo:[0,0,1] neg_hi:[0,0,1]
	v_pk_fma_f32 v[142:143], v[144:145], v[132:133], v[142:143] op_sel:[0,0,1] op_sel_hi:[1,0,0]
	s_delay_alu instid0(VALU_DEP_1) | instskip(SKIP_4) | instid1(VALU_DEP_1)
	v_mov_b32_e32 v147, v143
	ds_load_2addr_b64 v[142:145], v136 offset0:49 offset1:50
	v_pk_add_f32 v[76:77], v[76:77], v[146:147] neg_lo:[0,1] neg_hi:[0,1]
	s_wait_dscnt 0x0
	v_pk_mul_f32 v[146:147], v[142:143], v[134:135] op_sel:[0,1]
	v_pk_fma_f32 v[148:149], v[142:143], v[132:133], v[146:147] op_sel:[0,0,1] op_sel_hi:[1,1,0] neg_lo:[0,0,1] neg_hi:[0,0,1]
	v_pk_fma_f32 v[142:143], v[142:143], v[132:133], v[146:147] op_sel:[0,0,1] op_sel_hi:[1,0,0]
	v_dual_mul_f32 v146, v145, v135 :: v_dual_mov_b32 v142, v145
	s_delay_alu instid0(VALU_DEP_2) | instskip(NEXT) | instid1(VALU_DEP_2)
	v_dual_mov_b32 v149, v143 :: v_dual_mov_b32 v143, v144
	v_pk_fma_f32 v[146:147], v[144:145], v[88:89], v[146:147] op_sel_hi:[1,1,0] neg_lo:[0,0,1] neg_hi:[0,0,1]
	v_mul_f32_e32 v144, v145, v132
	s_delay_alu instid0(VALU_DEP_3) | instskip(NEXT) | instid1(VALU_DEP_2)
	v_pk_add_f32 v[74:75], v[74:75], v[148:149] neg_lo:[0,1] neg_hi:[0,1]
	v_pk_fma_f32 v[142:143], v[142:143], v[88:89], v[144:145] op_sel_hi:[1,1,0]
	s_delay_alu instid0(VALU_DEP_1) | instskip(SKIP_4) | instid1(VALU_DEP_1)
	v_mov_b32_e32 v147, v143
	ds_load_2addr_b64 v[142:145], v136 offset0:51 offset1:52
	v_pk_add_f32 v[16:17], v[16:17], v[146:147] neg_lo:[0,1] neg_hi:[0,1]
	s_wait_dscnt 0x0
	v_pk_mul_f32 v[146:147], v[142:143], v[134:135] op_sel:[0,1]
	v_pk_fma_f32 v[148:149], v[142:143], v[132:133], v[146:147] op_sel:[0,0,1] op_sel_hi:[1,1,0] neg_lo:[0,0,1] neg_hi:[0,0,1]
	v_pk_fma_f32 v[142:143], v[142:143], v[132:133], v[146:147] op_sel:[0,0,1] op_sel_hi:[1,0,0]
	s_delay_alu instid0(VALU_DEP_1) | instskip(SKIP_1) | instid1(VALU_DEP_1)
	v_mov_b32_e32 v149, v143
	v_pk_mul_f32 v[142:143], v[144:145], v[134:135] op_sel:[0,1]
	v_pk_fma_f32 v[146:147], v[144:145], v[132:133], v[142:143] op_sel:[0,0,1] op_sel_hi:[1,1,0] neg_lo:[0,0,1] neg_hi:[0,0,1]
	v_pk_fma_f32 v[142:143], v[144:145], v[132:133], v[142:143] op_sel:[0,0,1] op_sel_hi:[1,0,0]
	s_delay_alu instid0(VALU_DEP_1)
	v_mov_b32_e32 v147, v143
	ds_load_2addr_b64 v[142:145], v136 offset0:53 offset1:54
	v_pk_add_f32 v[28:29], v[28:29], v[148:149] neg_lo:[0,1] neg_hi:[0,1]
	v_pk_add_f32 v[68:69], v[68:69], v[146:147] neg_lo:[0,1] neg_hi:[0,1]
	s_wait_dscnt 0x0
	v_pk_mul_f32 v[146:147], v[142:143], v[134:135] op_sel:[0,1]
	s_delay_alu instid0(VALU_DEP_1) | instskip(SKIP_1) | instid1(VALU_DEP_1)
	v_pk_fma_f32 v[148:149], v[142:143], v[132:133], v[146:147] op_sel:[0,0,1] op_sel_hi:[1,1,0] neg_lo:[0,0,1] neg_hi:[0,0,1]
	v_pk_fma_f32 v[142:143], v[142:143], v[132:133], v[146:147] op_sel:[0,0,1] op_sel_hi:[1,0,0]
	v_mov_b32_e32 v149, v143
	v_pk_mul_f32 v[142:143], v[144:145], v[134:135] op_sel:[0,1]
	s_delay_alu instid0(VALU_DEP_1) | instskip(SKIP_1) | instid1(VALU_DEP_1)
	v_pk_fma_f32 v[146:147], v[144:145], v[132:133], v[142:143] op_sel:[0,0,1] op_sel_hi:[1,1,0] neg_lo:[0,0,1] neg_hi:[0,0,1]
	v_pk_fma_f32 v[142:143], v[144:145], v[132:133], v[142:143] op_sel:[0,0,1] op_sel_hi:[1,0,0]
	v_mov_b32_e32 v147, v143
	ds_load_2addr_b64 v[142:145], v136 offset0:55 offset1:56
	v_pk_add_f32 v[66:67], v[66:67], v[148:149] neg_lo:[0,1] neg_hi:[0,1]
	v_pk_add_f32 v[10:11], v[10:11], v[146:147] neg_lo:[0,1] neg_hi:[0,1]
	s_wait_dscnt 0x0
	v_dual_mul_f32 v146, v143, v135 :: v_dual_mul_f32 v148, v143, v132
	s_delay_alu instid0(VALU_DEP_1) | instskip(NEXT) | instid1(VALU_DEP_2)
	v_pk_fma_f32 v[146:147], v[142:143], v[88:89], v[146:147] op_sel_hi:[1,1,0] neg_lo:[0,0,1] neg_hi:[0,0,1]
	v_pk_fma_f32 v[142:143], v[142:143], v[88:89], v[148:149] op_sel:[1,0,0] op_sel_hi:[0,1,0]
	s_delay_alu instid0(VALU_DEP_1) | instskip(SKIP_1) | instid1(VALU_DEP_2)
	v_mov_b32_e32 v147, v143
	v_pk_mul_f32 v[142:143], v[144:145], v[134:135] op_sel:[0,1]
	v_pk_add_f32 v[8:9], v[8:9], v[146:147] neg_lo:[0,1] neg_hi:[0,1]
	s_delay_alu instid0(VALU_DEP_2) | instskip(SKIP_1) | instid1(VALU_DEP_1)
	v_pk_fma_f32 v[146:147], v[144:145], v[132:133], v[142:143] op_sel:[0,0,1] op_sel_hi:[1,1,0] neg_lo:[0,0,1] neg_hi:[0,0,1]
	v_pk_fma_f32 v[142:143], v[144:145], v[132:133], v[142:143] op_sel:[0,0,1] op_sel_hi:[1,0,0]
	v_mov_b32_e32 v147, v143
	ds_load_2addr_b64 v[142:145], v136 offset0:57 offset1:58
	v_pk_add_f32 v[34:35], v[34:35], v[146:147] neg_lo:[0,1] neg_hi:[0,1]
	s_wait_dscnt 0x0
	v_pk_mul_f32 v[146:147], v[142:143], v[134:135] op_sel:[0,1]
	s_delay_alu instid0(VALU_DEP_1) | instskip(SKIP_1) | instid1(VALU_DEP_1)
	v_pk_fma_f32 v[148:149], v[142:143], v[132:133], v[146:147] op_sel:[0,0,1] op_sel_hi:[1,1,0] neg_lo:[0,0,1] neg_hi:[0,0,1]
	v_pk_fma_f32 v[142:143], v[142:143], v[132:133], v[146:147] op_sel:[0,0,1] op_sel_hi:[1,0,0]
	v_mov_b32_e32 v149, v143
	v_pk_mul_f32 v[142:143], v[144:145], v[134:135] op_sel:[0,1]
	s_delay_alu instid0(VALU_DEP_2) | instskip(NEXT) | instid1(VALU_DEP_2)
	v_pk_add_f32 v[30:31], v[30:31], v[148:149] neg_lo:[0,1] neg_hi:[0,1]
	v_pk_fma_f32 v[146:147], v[144:145], v[132:133], v[142:143] op_sel:[0,0,1] op_sel_hi:[1,1,0] neg_lo:[0,0,1] neg_hi:[0,0,1]
	v_pk_fma_f32 v[142:143], v[144:145], v[132:133], v[142:143] op_sel:[0,0,1] op_sel_hi:[1,0,0]
	s_delay_alu instid0(VALU_DEP_1) | instskip(SKIP_4) | instid1(VALU_DEP_1)
	v_mov_b32_e32 v147, v143
	ds_load_2addr_b64 v[142:145], v136 offset0:59 offset1:60
	v_pk_add_f32 v[6:7], v[6:7], v[146:147] neg_lo:[0,1] neg_hi:[0,1]
	s_wait_dscnt 0x0
	v_pk_mul_f32 v[146:147], v[142:143], v[134:135] op_sel:[0,1]
	v_pk_fma_f32 v[148:149], v[142:143], v[132:133], v[146:147] op_sel:[0,0,1] op_sel_hi:[1,1,0] neg_lo:[0,0,1] neg_hi:[0,0,1]
	v_pk_fma_f32 v[142:143], v[142:143], v[132:133], v[146:147] op_sel:[0,0,1] op_sel_hi:[1,0,0]
	v_dual_mul_f32 v146, v145, v135 :: v_dual_mov_b32 v142, v145
	s_delay_alu instid0(VALU_DEP_2) | instskip(NEXT) | instid1(VALU_DEP_2)
	v_dual_mov_b32 v149, v143 :: v_dual_mov_b32 v143, v144
	v_pk_fma_f32 v[146:147], v[144:145], v[88:89], v[146:147] op_sel_hi:[1,1,0] neg_lo:[0,0,1] neg_hi:[0,0,1]
	v_mul_f32_e32 v144, v145, v132
	s_delay_alu instid0(VALU_DEP_3) | instskip(NEXT) | instid1(VALU_DEP_2)
	v_pk_add_f32 v[26:27], v[26:27], v[148:149] neg_lo:[0,1] neg_hi:[0,1]
	v_pk_fma_f32 v[142:143], v[142:143], v[88:89], v[144:145] op_sel_hi:[1,1,0]
	s_delay_alu instid0(VALU_DEP_1)
	v_mov_b32_e32 v147, v143
	ds_load_2addr_b64 v[142:145], v136 offset0:61 offset1:62
	v_pk_add_f32 v[14:15], v[14:15], v[146:147] neg_lo:[0,1] neg_hi:[0,1]
	s_wait_dscnt 0x0
	v_pk_mul_f32 v[146:147], v[142:143], v[134:135] op_sel:[0,1]
	v_pk_mul_f32 v[134:135], v[144:145], v[134:135] op_sel:[0,1]
	s_delay_alu instid0(VALU_DEP_2) | instskip(SKIP_1) | instid1(VALU_DEP_1)
	v_pk_fma_f32 v[148:149], v[142:143], v[132:133], v[146:147] op_sel:[0,0,1] op_sel_hi:[1,1,0] neg_lo:[0,0,1] neg_hi:[0,0,1]
	v_pk_fma_f32 v[142:143], v[142:143], v[132:133], v[146:147] op_sel:[0,0,1] op_sel_hi:[1,0,0]
	v_mov_b32_e32 v149, v143
	s_delay_alu instid0(VALU_DEP_4) | instskip(SKIP_1) | instid1(VALU_DEP_1)
	v_pk_fma_f32 v[142:143], v[144:145], v[132:133], v[134:135] op_sel:[0,0,1] op_sel_hi:[1,1,0] neg_lo:[0,0,1] neg_hi:[0,0,1]
	v_pk_fma_f32 v[132:133], v[144:145], v[132:133], v[134:135] op_sel:[0,0,1] op_sel_hi:[1,0,0]
	v_mov_b32_e32 v143, v133
	s_delay_alu instid0(VALU_DEP_4) | instskip(NEXT) | instid1(VALU_DEP_2)
	v_pk_add_f32 v[12:13], v[12:13], v[148:149] neg_lo:[0,1] neg_hi:[0,1]
	v_pk_add_f32 v[130:131], v[130:131], v[142:143] neg_lo:[0,1] neg_hi:[0,1]
.LBB124_776:
	s_or_b32 exec_lo, exec_lo, s0
	v_lshl_add_u32 v132, v140, 3, v136
	s_barrier_signal -1
	s_barrier_wait -1
	ds_store_b64 v132, v[86:87]
	s_wait_dscnt 0x0
	s_barrier_signal -1
	s_barrier_wait -1
	ds_load_b64 v[134:135], v136 offset:296
	v_mov_b32_e32 v132, 37
	s_cmp_lt_i32 s18, 39
	s_cbranch_scc1 .LBB124_779
; %bb.777:
	v_add3_u32 v133, v137, 0, 0x130
	v_mov_b32_e32 v132, 37
	s_mov_b32 s0, 38
.LBB124_778:                            ; =>This Inner Loop Header: Depth=1
	ds_load_b64 v[142:143], v133
	s_wait_dscnt 0x1
	v_cmp_gt_f32_e32 vcc_lo, 0, v134
	v_cndmask_b32_e64 v144, v134, -v134, vcc_lo
	v_cmp_gt_f32_e32 vcc_lo, 0, v135
	v_cndmask_b32_e64 v146, v135, -v135, vcc_lo
	s_wait_dscnt 0x0
	v_cmp_gt_f32_e32 vcc_lo, 0, v142
	v_cndmask_b32_e64 v145, v142, -v142, vcc_lo
	v_cmp_gt_f32_e32 vcc_lo, 0, v143
	v_cndmask_b32_e64 v147, v143, -v143, vcc_lo
	s_delay_alu instid0(VALU_DEP_1) | instskip(NEXT) | instid1(VALU_DEP_1)
	v_pk_add_f32 v[144:145], v[144:145], v[146:147]
	v_cmp_lt_f32_e32 vcc_lo, v144, v145
	v_dual_add_nc_u32 v133, 8, v133 :: v_dual_cndmask_b32 v135, v135, v143, vcc_lo
	v_cndmask_b32_e32 v134, v134, v142, vcc_lo
	v_cndmask_b32_e64 v132, v132, s0, vcc_lo
	s_add_co_i32 s0, s0, 1
	s_delay_alu instid0(SALU_CYCLE_1)
	s_cmp_lg_u32 s18, s0
	s_cbranch_scc1 .LBB124_778
.LBB124_779:
	s_wait_dscnt 0x0
	v_cmp_eq_f32_e32 vcc_lo, 0, v134
	v_cmp_eq_f32_e64 s0, 0, v135
	s_and_b32 s0, vcc_lo, s0
	s_delay_alu instid0(SALU_CYCLE_1) | instskip(NEXT) | instid1(SALU_CYCLE_1)
	s_and_saveexec_b32 s1, s0
	s_xor_b32 s0, exec_lo, s1
; %bb.780:
	v_cmp_ne_u32_e32 vcc_lo, 0, v138
	v_cndmask_b32_e32 v138, 38, v138, vcc_lo
; %bb.781:
	s_and_not1_saveexec_b32 s0, s0
	s_cbranch_execz .LBB124_787
; %bb.782:
	v_cmp_ngt_f32_e64 s1, |v134|, |v135|
	s_and_saveexec_b32 s12, s1
	s_delay_alu instid0(SALU_CYCLE_1)
	s_xor_b32 s1, exec_lo, s12
	s_cbranch_execz .LBB124_784
; %bb.783:
	v_div_scale_f32 v133, null, v135, v135, v134
	v_div_scale_f32 v143, vcc_lo, v134, v135, v134
	s_delay_alu instid0(VALU_DEP_2) | instskip(SKIP_1) | instid1(TRANS32_DEP_1)
	v_rcp_f32_e32 v141, v133
	v_nop
	v_fma_f32 v142, -v133, v141, 1.0
	s_delay_alu instid0(VALU_DEP_1) | instskip(NEXT) | instid1(VALU_DEP_1)
	v_fmac_f32_e32 v141, v142, v141
	v_mul_f32_e32 v142, v143, v141
	s_delay_alu instid0(VALU_DEP_1) | instskip(NEXT) | instid1(VALU_DEP_1)
	v_fma_f32 v144, -v133, v142, v143
	v_fmac_f32_e32 v142, v144, v141
	s_delay_alu instid0(VALU_DEP_1) | instskip(NEXT) | instid1(VALU_DEP_1)
	v_fma_f32 v133, -v133, v142, v143
	v_div_fmas_f32 v133, v133, v141, v142
	s_delay_alu instid0(VALU_DEP_1) | instskip(NEXT) | instid1(VALU_DEP_1)
	v_div_fixup_f32 v133, v133, v135, v134
	v_fmac_f32_e32 v135, v134, v133
	s_delay_alu instid0(VALU_DEP_1) | instskip(SKIP_1) | instid1(VALU_DEP_2)
	v_div_scale_f32 v134, null, v135, v135, 1.0
	v_div_scale_f32 v143, vcc_lo, 1.0, v135, 1.0
	v_rcp_f32_e32 v141, v134
	v_nop
	s_delay_alu instid0(TRANS32_DEP_1) | instskip(NEXT) | instid1(VALU_DEP_1)
	v_fma_f32 v142, -v134, v141, 1.0
	v_fmac_f32_e32 v141, v142, v141
	s_delay_alu instid0(VALU_DEP_1) | instskip(NEXT) | instid1(VALU_DEP_1)
	v_mul_f32_e32 v142, v143, v141
	v_fma_f32 v144, -v134, v142, v143
	s_delay_alu instid0(VALU_DEP_1) | instskip(NEXT) | instid1(VALU_DEP_1)
	v_fmac_f32_e32 v142, v144, v141
	v_fma_f32 v134, -v134, v142, v143
	s_delay_alu instid0(VALU_DEP_1) | instskip(NEXT) | instid1(VALU_DEP_1)
	v_div_fmas_f32 v134, v134, v141, v142
	v_div_fixup_f32 v135, v134, v135, 1.0
	s_delay_alu instid0(VALU_DEP_1)
	v_mul_f32_e32 v134, v133, v135
	v_xor_b32_e32 v135, 0x80000000, v135
.LBB124_784:
	s_and_not1_saveexec_b32 s1, s1
	s_cbranch_execz .LBB124_786
; %bb.785:
	s_delay_alu instid0(VALU_DEP_1) | instskip(SKIP_1) | instid1(VALU_DEP_2)
	v_div_scale_f32 v133, null, v134, v134, v135
	v_div_scale_f32 v143, vcc_lo, v135, v134, v135
	v_rcp_f32_e32 v141, v133
	v_nop
	s_delay_alu instid0(TRANS32_DEP_1) | instskip(NEXT) | instid1(VALU_DEP_1)
	v_fma_f32 v142, -v133, v141, 1.0
	v_fmac_f32_e32 v141, v142, v141
	s_delay_alu instid0(VALU_DEP_1) | instskip(NEXT) | instid1(VALU_DEP_1)
	v_mul_f32_e32 v142, v143, v141
	v_fma_f32 v144, -v133, v142, v143
	s_delay_alu instid0(VALU_DEP_1) | instskip(NEXT) | instid1(VALU_DEP_1)
	v_fmac_f32_e32 v142, v144, v141
	v_fma_f32 v133, -v133, v142, v143
	s_delay_alu instid0(VALU_DEP_1) | instskip(NEXT) | instid1(VALU_DEP_1)
	v_div_fmas_f32 v133, v133, v141, v142
	v_div_fixup_f32 v133, v133, v134, v135
	s_delay_alu instid0(VALU_DEP_1) | instskip(NEXT) | instid1(VALU_DEP_1)
	v_fmac_f32_e32 v134, v135, v133
	v_div_scale_f32 v135, null, v134, v134, 1.0
	s_delay_alu instid0(VALU_DEP_1) | instskip(SKIP_1) | instid1(TRANS32_DEP_1)
	v_rcp_f32_e32 v141, v135
	v_nop
	v_fma_f32 v142, -v135, v141, 1.0
	s_delay_alu instid0(VALU_DEP_1) | instskip(SKIP_1) | instid1(VALU_DEP_1)
	v_fmac_f32_e32 v141, v142, v141
	v_div_scale_f32 v142, vcc_lo, 1.0, v134, 1.0
	v_mul_f32_e32 v143, v142, v141
	s_delay_alu instid0(VALU_DEP_1) | instskip(NEXT) | instid1(VALU_DEP_1)
	v_fma_f32 v144, -v135, v143, v142
	v_fmac_f32_e32 v143, v144, v141
	s_delay_alu instid0(VALU_DEP_1) | instskip(NEXT) | instid1(VALU_DEP_1)
	v_fma_f32 v135, -v135, v143, v142
	v_div_fmas_f32 v135, v135, v141, v143
	s_delay_alu instid0(VALU_DEP_1) | instskip(NEXT) | instid1(VALU_DEP_1)
	v_div_fixup_f32 v134, v135, v134, 1.0
	v_mul_f32_e64 v135, v133, -v134
.LBB124_786:
	s_or_b32 exec_lo, exec_lo, s1
.LBB124_787:
	s_delay_alu instid0(SALU_CYCLE_1) | instskip(NEXT) | instid1(SALU_CYCLE_1)
	s_or_b32 exec_lo, exec_lo, s0
	s_mov_b32 s0, exec_lo
	v_cmpx_ne_u32_e64 v140, v132
	s_xor_b32 s0, exec_lo, s0
	s_cbranch_execz .LBB124_793
; %bb.788:
	s_mov_b32 s1, exec_lo
	v_cmpx_eq_u32_e32 37, v140
	s_cbranch_execz .LBB124_792
; %bb.789:
	v_cmp_ne_u32_e32 vcc_lo, 37, v132
	s_xor_b32 s12, s16, -1
	s_delay_alu instid0(SALU_CYCLE_1) | instskip(NEXT) | instid1(SALU_CYCLE_1)
	s_and_b32 s13, s12, vcc_lo
	s_and_saveexec_b32 s12, s13
	s_cbranch_execz .LBB124_791
; %bb.790:
	v_ashrrev_i32_e32 v133, 31, v132
	s_delay_alu instid0(VALU_DEP_1)
	v_lshl_add_u64 v[140:141], v[132:133], 2, v[4:5]
	s_clause 0x1
	global_load_b32 v133, v[140:141], off
	global_load_b32 v139, v[4:5], off offset:148
	s_wait_loadcnt 0x1
	global_store_b32 v[4:5], v133, off offset:148
	s_wait_loadcnt 0x0
	global_store_b32 v[140:141], v139, off
.LBB124_791:
	s_wait_xcnt 0x0
	s_or_b32 exec_lo, exec_lo, s12
	v_dual_mov_b32 v140, v132 :: v_dual_mov_b32 v139, v132
.LBB124_792:
	s_or_b32 exec_lo, exec_lo, s1
.LBB124_793:
	s_and_not1_saveexec_b32 s0, s0
	s_cbranch_execz .LBB124_795
; %bb.794:
	v_dual_mov_b32 v132, v36 :: v_dual_mov_b32 v133, v37
	v_dual_mov_b32 v140, v32 :: v_dual_mov_b32 v141, v33
	ds_store_2addr_b64 v136, v[132:133], v[140:141] offset0:38 offset1:39
	v_dual_mov_b32 v132, v84 :: v_dual_mov_b32 v133, v85
	v_dual_mov_b32 v140, v82 :: v_dual_mov_b32 v141, v83
	ds_store_2addr_b64 v136, v[132:133], v[140:141] offset0:40 offset1:41
	;; [unrolled: 3-line block ×12, first 2 shown]
	ds_store_b64 v136, v[130:131] offset:496
	v_mov_b32_e32 v140, 37
.LBB124_795:
	s_or_b32 exec_lo, exec_lo, s0
	s_delay_alu instid0(SALU_CYCLE_1)
	s_mov_b32 s0, exec_lo
	s_wait_storecnt_dscnt 0x0
	s_barrier_signal -1
	s_barrier_wait -1
	v_cmpx_lt_i32_e32 37, v140
	s_cbranch_execz .LBB124_797
; %bb.796:
	v_pk_mul_f32 v[142:143], v[134:135], v[86:87] op_sel:[1,1] op_sel_hi:[0,1]
	s_delay_alu instid0(VALU_DEP_1)
	v_pk_fma_f32 v[132:133], v[134:135], v[86:87], v[142:143] op_sel_hi:[1,0,1] neg_lo:[0,0,1] neg_hi:[0,0,1]
	v_pk_fma_f32 v[134:135], v[134:135], v[86:87], v[142:143] op_sel_hi:[1,0,1]
	ds_load_2addr_b64 v[142:145], v136 offset0:38 offset1:39
	v_dual_mov_b32 v86, v132 :: v_dual_mov_b32 v87, v135
	s_wait_dscnt 0x0
	v_pk_mul_f32 v[146:147], v[142:143], v[134:135] op_sel:[0,1]
	s_delay_alu instid0(VALU_DEP_1) | instskip(SKIP_1) | instid1(VALU_DEP_1)
	v_pk_fma_f32 v[148:149], v[142:143], v[132:133], v[146:147] op_sel:[0,0,1] op_sel_hi:[1,1,0] neg_lo:[0,0,1] neg_hi:[0,0,1]
	v_pk_fma_f32 v[142:143], v[142:143], v[132:133], v[146:147] op_sel:[0,0,1] op_sel_hi:[1,0,0]
	v_mov_b32_e32 v149, v143
	v_pk_mul_f32 v[142:143], v[144:145], v[134:135] op_sel:[0,1]
	s_delay_alu instid0(VALU_DEP_1) | instskip(SKIP_1) | instid1(VALU_DEP_1)
	v_pk_fma_f32 v[146:147], v[144:145], v[132:133], v[142:143] op_sel:[0,0,1] op_sel_hi:[1,1,0] neg_lo:[0,0,1] neg_hi:[0,0,1]
	v_pk_fma_f32 v[142:143], v[144:145], v[132:133], v[142:143] op_sel:[0,0,1] op_sel_hi:[1,0,0]
	v_mov_b32_e32 v147, v143
	ds_load_2addr_b64 v[142:145], v136 offset0:40 offset1:41
	v_pk_add_f32 v[36:37], v[36:37], v[148:149] neg_lo:[0,1] neg_hi:[0,1]
	v_pk_add_f32 v[32:33], v[32:33], v[146:147] neg_lo:[0,1] neg_hi:[0,1]
	s_wait_dscnt 0x0
	v_pk_mul_f32 v[146:147], v[142:143], v[134:135] op_sel:[0,1]
	s_delay_alu instid0(VALU_DEP_1) | instskip(SKIP_2) | instid1(VALU_DEP_2)
	v_pk_fma_f32 v[148:149], v[142:143], v[132:133], v[146:147] op_sel:[0,0,1] op_sel_hi:[1,1,0] neg_lo:[0,0,1] neg_hi:[0,0,1]
	v_pk_fma_f32 v[142:143], v[142:143], v[132:133], v[146:147] op_sel:[0,0,1] op_sel_hi:[1,0,0]
	v_dual_mul_f32 v146, v145, v135 :: v_dual_mov_b32 v142, v145
	v_dual_mov_b32 v149, v143 :: v_dual_mov_b32 v143, v144
	s_delay_alu instid0(VALU_DEP_2) | instskip(SKIP_1) | instid1(VALU_DEP_3)
	v_pk_fma_f32 v[146:147], v[144:145], v[86:87], v[146:147] op_sel_hi:[1,1,0] neg_lo:[0,0,1] neg_hi:[0,0,1]
	v_mul_f32_e32 v144, v145, v132
	v_pk_add_f32 v[84:85], v[84:85], v[148:149] neg_lo:[0,1] neg_hi:[0,1]
	s_delay_alu instid0(VALU_DEP_2) | instskip(NEXT) | instid1(VALU_DEP_1)
	v_pk_fma_f32 v[142:143], v[142:143], v[86:87], v[144:145] op_sel_hi:[1,1,0]
	v_mov_b32_e32 v147, v143
	ds_load_2addr_b64 v[142:145], v136 offset0:42 offset1:43
	v_pk_add_f32 v[82:83], v[82:83], v[146:147] neg_lo:[0,1] neg_hi:[0,1]
	s_wait_dscnt 0x0
	v_pk_mul_f32 v[146:147], v[142:143], v[134:135] op_sel:[0,1]
	s_delay_alu instid0(VALU_DEP_1) | instskip(SKIP_1) | instid1(VALU_DEP_1)
	v_pk_fma_f32 v[148:149], v[142:143], v[132:133], v[146:147] op_sel:[0,0,1] op_sel_hi:[1,1,0] neg_lo:[0,0,1] neg_hi:[0,0,1]
	v_pk_fma_f32 v[142:143], v[142:143], v[132:133], v[146:147] op_sel:[0,0,1] op_sel_hi:[1,0,0]
	v_mov_b32_e32 v149, v143
	v_pk_mul_f32 v[142:143], v[144:145], v[134:135] op_sel:[0,1]
	s_delay_alu instid0(VALU_DEP_1) | instskip(SKIP_1) | instid1(VALU_DEP_1)
	v_pk_fma_f32 v[146:147], v[144:145], v[132:133], v[142:143] op_sel:[0,0,1] op_sel_hi:[1,1,0] neg_lo:[0,0,1] neg_hi:[0,0,1]
	v_pk_fma_f32 v[142:143], v[144:145], v[132:133], v[142:143] op_sel:[0,0,1] op_sel_hi:[1,0,0]
	v_mov_b32_e32 v147, v143
	ds_load_2addr_b64 v[142:145], v136 offset0:44 offset1:45
	v_pk_add_f32 v[24:25], v[24:25], v[148:149] neg_lo:[0,1] neg_hi:[0,1]
	v_pk_add_f32 v[22:23], v[22:23], v[146:147] neg_lo:[0,1] neg_hi:[0,1]
	s_wait_dscnt 0x0
	v_pk_mul_f32 v[146:147], v[142:143], v[134:135] op_sel:[0,1]
	s_delay_alu instid0(VALU_DEP_1) | instskip(SKIP_1) | instid1(VALU_DEP_1)
	v_pk_fma_f32 v[148:149], v[142:143], v[132:133], v[146:147] op_sel:[0,0,1] op_sel_hi:[1,1,0] neg_lo:[0,0,1] neg_hi:[0,0,1]
	v_pk_fma_f32 v[142:143], v[142:143], v[132:133], v[146:147] op_sel:[0,0,1] op_sel_hi:[1,0,0]
	v_mov_b32_e32 v149, v143
	v_pk_mul_f32 v[142:143], v[144:145], v[134:135] op_sel:[0,1]
	s_delay_alu instid0(VALU_DEP_1) | instskip(SKIP_1) | instid1(VALU_DEP_1)
	v_pk_fma_f32 v[146:147], v[144:145], v[132:133], v[142:143] op_sel:[0,0,1] op_sel_hi:[1,1,0] neg_lo:[0,0,1] neg_hi:[0,0,1]
	v_pk_fma_f32 v[142:143], v[144:145], v[132:133], v[142:143] op_sel:[0,0,1] op_sel_hi:[1,0,0]
	v_mov_b32_e32 v147, v143
	ds_load_2addr_b64 v[142:145], v136 offset0:46 offset1:47
	v_pk_add_f32 v[80:81], v[80:81], v[148:149] neg_lo:[0,1] neg_hi:[0,1]
	v_pk_add_f32 v[78:79], v[78:79], v[146:147] neg_lo:[0,1] neg_hi:[0,1]
	s_wait_dscnt 0x0
	v_dual_mul_f32 v146, v143, v135 :: v_dual_mul_f32 v148, v143, v132
	s_delay_alu instid0(VALU_DEP_1) | instskip(NEXT) | instid1(VALU_DEP_2)
	v_pk_fma_f32 v[146:147], v[142:143], v[86:87], v[146:147] op_sel_hi:[1,1,0] neg_lo:[0,0,1] neg_hi:[0,0,1]
	v_pk_fma_f32 v[142:143], v[142:143], v[86:87], v[148:149] op_sel:[1,0,0] op_sel_hi:[0,1,0]
	s_delay_alu instid0(VALU_DEP_1) | instskip(SKIP_1) | instid1(VALU_DEP_2)
	v_mov_b32_e32 v147, v143
	v_pk_mul_f32 v[142:143], v[144:145], v[134:135] op_sel:[0,1]
	v_pk_add_f32 v[20:21], v[20:21], v[146:147] neg_lo:[0,1] neg_hi:[0,1]
	s_delay_alu instid0(VALU_DEP_2) | instskip(SKIP_1) | instid1(VALU_DEP_1)
	v_pk_fma_f32 v[146:147], v[144:145], v[132:133], v[142:143] op_sel:[0,0,1] op_sel_hi:[1,1,0] neg_lo:[0,0,1] neg_hi:[0,0,1]
	v_pk_fma_f32 v[142:143], v[144:145], v[132:133], v[142:143] op_sel:[0,0,1] op_sel_hi:[1,0,0]
	v_mov_b32_e32 v147, v143
	ds_load_2addr_b64 v[142:145], v136 offset0:48 offset1:49
	v_pk_add_f32 v[18:19], v[18:19], v[146:147] neg_lo:[0,1] neg_hi:[0,1]
	s_wait_dscnt 0x0
	v_pk_mul_f32 v[146:147], v[142:143], v[134:135] op_sel:[0,1]
	s_delay_alu instid0(VALU_DEP_1) | instskip(SKIP_1) | instid1(VALU_DEP_1)
	v_pk_fma_f32 v[148:149], v[142:143], v[132:133], v[146:147] op_sel:[0,0,1] op_sel_hi:[1,1,0] neg_lo:[0,0,1] neg_hi:[0,0,1]
	v_pk_fma_f32 v[142:143], v[142:143], v[132:133], v[146:147] op_sel:[0,0,1] op_sel_hi:[1,0,0]
	v_mov_b32_e32 v149, v143
	v_pk_mul_f32 v[142:143], v[144:145], v[134:135] op_sel:[0,1]
	s_delay_alu instid0(VALU_DEP_2) | instskip(NEXT) | instid1(VALU_DEP_2)
	v_pk_add_f32 v[76:77], v[76:77], v[148:149] neg_lo:[0,1] neg_hi:[0,1]
	v_pk_fma_f32 v[146:147], v[144:145], v[132:133], v[142:143] op_sel:[0,0,1] op_sel_hi:[1,1,0] neg_lo:[0,0,1] neg_hi:[0,0,1]
	v_pk_fma_f32 v[142:143], v[144:145], v[132:133], v[142:143] op_sel:[0,0,1] op_sel_hi:[1,0,0]
	s_delay_alu instid0(VALU_DEP_1) | instskip(SKIP_4) | instid1(VALU_DEP_1)
	v_mov_b32_e32 v147, v143
	ds_load_2addr_b64 v[142:145], v136 offset0:50 offset1:51
	v_pk_add_f32 v[74:75], v[74:75], v[146:147] neg_lo:[0,1] neg_hi:[0,1]
	s_wait_dscnt 0x0
	v_pk_mul_f32 v[146:147], v[142:143], v[134:135] op_sel:[0,1]
	v_pk_fma_f32 v[148:149], v[142:143], v[132:133], v[146:147] op_sel:[0,0,1] op_sel_hi:[1,1,0] neg_lo:[0,0,1] neg_hi:[0,0,1]
	v_pk_fma_f32 v[142:143], v[142:143], v[132:133], v[146:147] op_sel:[0,0,1] op_sel_hi:[1,0,0]
	v_dual_mul_f32 v146, v145, v135 :: v_dual_mov_b32 v142, v145
	s_delay_alu instid0(VALU_DEP_2) | instskip(NEXT) | instid1(VALU_DEP_2)
	v_dual_mov_b32 v149, v143 :: v_dual_mov_b32 v143, v144
	v_pk_fma_f32 v[146:147], v[144:145], v[86:87], v[146:147] op_sel_hi:[1,1,0] neg_lo:[0,0,1] neg_hi:[0,0,1]
	v_mul_f32_e32 v144, v145, v132
	s_delay_alu instid0(VALU_DEP_3) | instskip(NEXT) | instid1(VALU_DEP_2)
	v_pk_add_f32 v[16:17], v[16:17], v[148:149] neg_lo:[0,1] neg_hi:[0,1]
	v_pk_fma_f32 v[142:143], v[142:143], v[86:87], v[144:145] op_sel_hi:[1,1,0]
	s_delay_alu instid0(VALU_DEP_1) | instskip(SKIP_4) | instid1(VALU_DEP_1)
	v_mov_b32_e32 v147, v143
	ds_load_2addr_b64 v[142:145], v136 offset0:52 offset1:53
	v_pk_add_f32 v[28:29], v[28:29], v[146:147] neg_lo:[0,1] neg_hi:[0,1]
	s_wait_dscnt 0x0
	v_pk_mul_f32 v[146:147], v[142:143], v[134:135] op_sel:[0,1]
	v_pk_fma_f32 v[148:149], v[142:143], v[132:133], v[146:147] op_sel:[0,0,1] op_sel_hi:[1,1,0] neg_lo:[0,0,1] neg_hi:[0,0,1]
	v_pk_fma_f32 v[142:143], v[142:143], v[132:133], v[146:147] op_sel:[0,0,1] op_sel_hi:[1,0,0]
	s_delay_alu instid0(VALU_DEP_1) | instskip(SKIP_1) | instid1(VALU_DEP_1)
	v_mov_b32_e32 v149, v143
	v_pk_mul_f32 v[142:143], v[144:145], v[134:135] op_sel:[0,1]
	v_pk_fma_f32 v[146:147], v[144:145], v[132:133], v[142:143] op_sel:[0,0,1] op_sel_hi:[1,1,0] neg_lo:[0,0,1] neg_hi:[0,0,1]
	v_pk_fma_f32 v[142:143], v[144:145], v[132:133], v[142:143] op_sel:[0,0,1] op_sel_hi:[1,0,0]
	s_delay_alu instid0(VALU_DEP_1)
	v_mov_b32_e32 v147, v143
	ds_load_2addr_b64 v[142:145], v136 offset0:54 offset1:55
	v_pk_add_f32 v[68:69], v[68:69], v[148:149] neg_lo:[0,1] neg_hi:[0,1]
	v_pk_add_f32 v[66:67], v[66:67], v[146:147] neg_lo:[0,1] neg_hi:[0,1]
	s_wait_dscnt 0x0
	v_pk_mul_f32 v[146:147], v[142:143], v[134:135] op_sel:[0,1]
	s_delay_alu instid0(VALU_DEP_1) | instskip(SKIP_1) | instid1(VALU_DEP_1)
	v_pk_fma_f32 v[148:149], v[142:143], v[132:133], v[146:147] op_sel:[0,0,1] op_sel_hi:[1,1,0] neg_lo:[0,0,1] neg_hi:[0,0,1]
	v_pk_fma_f32 v[142:143], v[142:143], v[132:133], v[146:147] op_sel:[0,0,1] op_sel_hi:[1,0,0]
	v_mov_b32_e32 v149, v143
	v_pk_mul_f32 v[142:143], v[144:145], v[134:135] op_sel:[0,1]
	s_delay_alu instid0(VALU_DEP_1) | instskip(SKIP_1) | instid1(VALU_DEP_1)
	v_pk_fma_f32 v[146:147], v[144:145], v[132:133], v[142:143] op_sel:[0,0,1] op_sel_hi:[1,1,0] neg_lo:[0,0,1] neg_hi:[0,0,1]
	v_pk_fma_f32 v[142:143], v[144:145], v[132:133], v[142:143] op_sel:[0,0,1] op_sel_hi:[1,0,0]
	v_mov_b32_e32 v147, v143
	ds_load_2addr_b64 v[142:145], v136 offset0:56 offset1:57
	v_pk_add_f32 v[10:11], v[10:11], v[148:149] neg_lo:[0,1] neg_hi:[0,1]
	v_pk_add_f32 v[8:9], v[8:9], v[146:147] neg_lo:[0,1] neg_hi:[0,1]
	s_wait_dscnt 0x0
	v_dual_mul_f32 v146, v143, v135 :: v_dual_mul_f32 v148, v143, v132
	s_delay_alu instid0(VALU_DEP_1) | instskip(NEXT) | instid1(VALU_DEP_2)
	v_pk_fma_f32 v[146:147], v[142:143], v[86:87], v[146:147] op_sel_hi:[1,1,0] neg_lo:[0,0,1] neg_hi:[0,0,1]
	v_pk_fma_f32 v[142:143], v[142:143], v[86:87], v[148:149] op_sel:[1,0,0] op_sel_hi:[0,1,0]
	s_delay_alu instid0(VALU_DEP_1) | instskip(SKIP_1) | instid1(VALU_DEP_2)
	v_mov_b32_e32 v147, v143
	v_pk_mul_f32 v[142:143], v[144:145], v[134:135] op_sel:[0,1]
	v_pk_add_f32 v[34:35], v[34:35], v[146:147] neg_lo:[0,1] neg_hi:[0,1]
	s_delay_alu instid0(VALU_DEP_2) | instskip(SKIP_1) | instid1(VALU_DEP_1)
	v_pk_fma_f32 v[146:147], v[144:145], v[132:133], v[142:143] op_sel:[0,0,1] op_sel_hi:[1,1,0] neg_lo:[0,0,1] neg_hi:[0,0,1]
	v_pk_fma_f32 v[142:143], v[144:145], v[132:133], v[142:143] op_sel:[0,0,1] op_sel_hi:[1,0,0]
	v_mov_b32_e32 v147, v143
	ds_load_2addr_b64 v[142:145], v136 offset0:58 offset1:59
	v_pk_add_f32 v[30:31], v[30:31], v[146:147] neg_lo:[0,1] neg_hi:[0,1]
	s_wait_dscnt 0x0
	v_pk_mul_f32 v[146:147], v[142:143], v[134:135] op_sel:[0,1]
	s_delay_alu instid0(VALU_DEP_1) | instskip(SKIP_1) | instid1(VALU_DEP_1)
	v_pk_fma_f32 v[148:149], v[142:143], v[132:133], v[146:147] op_sel:[0,0,1] op_sel_hi:[1,1,0] neg_lo:[0,0,1] neg_hi:[0,0,1]
	v_pk_fma_f32 v[142:143], v[142:143], v[132:133], v[146:147] op_sel:[0,0,1] op_sel_hi:[1,0,0]
	v_mov_b32_e32 v149, v143
	v_pk_mul_f32 v[142:143], v[144:145], v[134:135] op_sel:[0,1]
	s_delay_alu instid0(VALU_DEP_2) | instskip(NEXT) | instid1(VALU_DEP_2)
	v_pk_add_f32 v[6:7], v[6:7], v[148:149] neg_lo:[0,1] neg_hi:[0,1]
	v_pk_fma_f32 v[146:147], v[144:145], v[132:133], v[142:143] op_sel:[0,0,1] op_sel_hi:[1,1,0] neg_lo:[0,0,1] neg_hi:[0,0,1]
	v_pk_fma_f32 v[142:143], v[144:145], v[132:133], v[142:143] op_sel:[0,0,1] op_sel_hi:[1,0,0]
	s_delay_alu instid0(VALU_DEP_1) | instskip(SKIP_4) | instid1(VALU_DEP_1)
	v_mov_b32_e32 v147, v143
	ds_load_2addr_b64 v[142:145], v136 offset0:60 offset1:61
	v_pk_add_f32 v[26:27], v[26:27], v[146:147] neg_lo:[0,1] neg_hi:[0,1]
	s_wait_dscnt 0x0
	v_pk_mul_f32 v[146:147], v[142:143], v[134:135] op_sel:[0,1]
	v_pk_fma_f32 v[148:149], v[142:143], v[132:133], v[146:147] op_sel:[0,0,1] op_sel_hi:[1,1,0] neg_lo:[0,0,1] neg_hi:[0,0,1]
	v_pk_fma_f32 v[142:143], v[142:143], v[132:133], v[146:147] op_sel:[0,0,1] op_sel_hi:[1,0,0]
	v_dual_mul_f32 v146, v145, v135 :: v_dual_mov_b32 v142, v145
	s_delay_alu instid0(VALU_DEP_2) | instskip(NEXT) | instid1(VALU_DEP_2)
	v_dual_mov_b32 v149, v143 :: v_dual_mov_b32 v143, v144
	v_pk_fma_f32 v[146:147], v[144:145], v[86:87], v[146:147] op_sel_hi:[1,1,0] neg_lo:[0,0,1] neg_hi:[0,0,1]
	v_mul_f32_e32 v144, v145, v132
	s_delay_alu instid0(VALU_DEP_3) | instskip(NEXT) | instid1(VALU_DEP_2)
	v_pk_add_f32 v[14:15], v[14:15], v[148:149] neg_lo:[0,1] neg_hi:[0,1]
	v_pk_fma_f32 v[142:143], v[142:143], v[86:87], v[144:145] op_sel_hi:[1,1,0]
	s_delay_alu instid0(VALU_DEP_1) | instskip(SKIP_4) | instid1(VALU_DEP_1)
	v_mov_b32_e32 v147, v143
	ds_load_b64 v[142:143], v136 offset:496
	v_pk_add_f32 v[12:13], v[12:13], v[146:147] neg_lo:[0,1] neg_hi:[0,1]
	s_wait_dscnt 0x0
	v_pk_mul_f32 v[134:135], v[142:143], v[134:135] op_sel:[0,1]
	v_pk_fma_f32 v[144:145], v[142:143], v[132:133], v[134:135] op_sel:[0,0,1] op_sel_hi:[1,1,0] neg_lo:[0,0,1] neg_hi:[0,0,1]
	v_pk_fma_f32 v[132:133], v[142:143], v[132:133], v[134:135] op_sel:[0,0,1] op_sel_hi:[1,0,0]
	s_delay_alu instid0(VALU_DEP_1) | instskip(NEXT) | instid1(VALU_DEP_1)
	v_mov_b32_e32 v145, v133
	v_pk_add_f32 v[130:131], v[130:131], v[144:145] neg_lo:[0,1] neg_hi:[0,1]
.LBB124_797:
	s_or_b32 exec_lo, exec_lo, s0
	v_lshl_add_u32 v132, v140, 3, v136
	s_barrier_signal -1
	s_barrier_wait -1
	ds_store_b64 v132, v[36:37]
	s_wait_dscnt 0x0
	s_barrier_signal -1
	s_barrier_wait -1
	ds_load_b64 v[134:135], v136 offset:304
	v_mov_b32_e32 v132, 38
	s_cmp_lt_i32 s18, 40
	s_cbranch_scc1 .LBB124_800
; %bb.798:
	v_add3_u32 v133, v137, 0, 0x138
	v_mov_b32_e32 v132, 38
	s_mov_b32 s0, 39
.LBB124_799:                            ; =>This Inner Loop Header: Depth=1
	ds_load_b64 v[142:143], v133
	s_wait_dscnt 0x1
	v_cmp_gt_f32_e32 vcc_lo, 0, v134
	v_cndmask_b32_e64 v144, v134, -v134, vcc_lo
	v_cmp_gt_f32_e32 vcc_lo, 0, v135
	v_cndmask_b32_e64 v146, v135, -v135, vcc_lo
	s_wait_dscnt 0x0
	v_cmp_gt_f32_e32 vcc_lo, 0, v142
	v_cndmask_b32_e64 v145, v142, -v142, vcc_lo
	v_cmp_gt_f32_e32 vcc_lo, 0, v143
	v_cndmask_b32_e64 v147, v143, -v143, vcc_lo
	s_delay_alu instid0(VALU_DEP_1) | instskip(NEXT) | instid1(VALU_DEP_1)
	v_pk_add_f32 v[144:145], v[144:145], v[146:147]
	v_cmp_lt_f32_e32 vcc_lo, v144, v145
	v_dual_add_nc_u32 v133, 8, v133 :: v_dual_cndmask_b32 v135, v135, v143, vcc_lo
	v_cndmask_b32_e32 v134, v134, v142, vcc_lo
	v_cndmask_b32_e64 v132, v132, s0, vcc_lo
	s_add_co_i32 s0, s0, 1
	s_delay_alu instid0(SALU_CYCLE_1)
	s_cmp_lg_u32 s18, s0
	s_cbranch_scc1 .LBB124_799
.LBB124_800:
	s_wait_dscnt 0x0
	v_cmp_eq_f32_e32 vcc_lo, 0, v134
	v_cmp_eq_f32_e64 s0, 0, v135
	s_and_b32 s0, vcc_lo, s0
	s_delay_alu instid0(SALU_CYCLE_1) | instskip(NEXT) | instid1(SALU_CYCLE_1)
	s_and_saveexec_b32 s1, s0
	s_xor_b32 s0, exec_lo, s1
; %bb.801:
	v_cmp_ne_u32_e32 vcc_lo, 0, v138
	v_cndmask_b32_e32 v138, 39, v138, vcc_lo
; %bb.802:
	s_and_not1_saveexec_b32 s0, s0
	s_cbranch_execz .LBB124_808
; %bb.803:
	v_cmp_ngt_f32_e64 s1, |v134|, |v135|
	s_and_saveexec_b32 s12, s1
	s_delay_alu instid0(SALU_CYCLE_1)
	s_xor_b32 s1, exec_lo, s12
	s_cbranch_execz .LBB124_805
; %bb.804:
	v_div_scale_f32 v133, null, v135, v135, v134
	v_div_scale_f32 v143, vcc_lo, v134, v135, v134
	s_delay_alu instid0(VALU_DEP_2) | instskip(SKIP_1) | instid1(TRANS32_DEP_1)
	v_rcp_f32_e32 v141, v133
	v_nop
	v_fma_f32 v142, -v133, v141, 1.0
	s_delay_alu instid0(VALU_DEP_1) | instskip(NEXT) | instid1(VALU_DEP_1)
	v_fmac_f32_e32 v141, v142, v141
	v_mul_f32_e32 v142, v143, v141
	s_delay_alu instid0(VALU_DEP_1) | instskip(NEXT) | instid1(VALU_DEP_1)
	v_fma_f32 v144, -v133, v142, v143
	v_fmac_f32_e32 v142, v144, v141
	s_delay_alu instid0(VALU_DEP_1) | instskip(NEXT) | instid1(VALU_DEP_1)
	v_fma_f32 v133, -v133, v142, v143
	v_div_fmas_f32 v133, v133, v141, v142
	s_delay_alu instid0(VALU_DEP_1) | instskip(NEXT) | instid1(VALU_DEP_1)
	v_div_fixup_f32 v133, v133, v135, v134
	v_fmac_f32_e32 v135, v134, v133
	s_delay_alu instid0(VALU_DEP_1) | instskip(SKIP_1) | instid1(VALU_DEP_2)
	v_div_scale_f32 v134, null, v135, v135, 1.0
	v_div_scale_f32 v143, vcc_lo, 1.0, v135, 1.0
	v_rcp_f32_e32 v141, v134
	v_nop
	s_delay_alu instid0(TRANS32_DEP_1) | instskip(NEXT) | instid1(VALU_DEP_1)
	v_fma_f32 v142, -v134, v141, 1.0
	v_fmac_f32_e32 v141, v142, v141
	s_delay_alu instid0(VALU_DEP_1) | instskip(NEXT) | instid1(VALU_DEP_1)
	v_mul_f32_e32 v142, v143, v141
	v_fma_f32 v144, -v134, v142, v143
	s_delay_alu instid0(VALU_DEP_1) | instskip(NEXT) | instid1(VALU_DEP_1)
	v_fmac_f32_e32 v142, v144, v141
	v_fma_f32 v134, -v134, v142, v143
	s_delay_alu instid0(VALU_DEP_1) | instskip(NEXT) | instid1(VALU_DEP_1)
	v_div_fmas_f32 v134, v134, v141, v142
	v_div_fixup_f32 v135, v134, v135, 1.0
	s_delay_alu instid0(VALU_DEP_1)
	v_mul_f32_e32 v134, v133, v135
	v_xor_b32_e32 v135, 0x80000000, v135
.LBB124_805:
	s_and_not1_saveexec_b32 s1, s1
	s_cbranch_execz .LBB124_807
; %bb.806:
	s_delay_alu instid0(VALU_DEP_1) | instskip(SKIP_1) | instid1(VALU_DEP_2)
	v_div_scale_f32 v133, null, v134, v134, v135
	v_div_scale_f32 v143, vcc_lo, v135, v134, v135
	v_rcp_f32_e32 v141, v133
	v_nop
	s_delay_alu instid0(TRANS32_DEP_1) | instskip(NEXT) | instid1(VALU_DEP_1)
	v_fma_f32 v142, -v133, v141, 1.0
	v_fmac_f32_e32 v141, v142, v141
	s_delay_alu instid0(VALU_DEP_1) | instskip(NEXT) | instid1(VALU_DEP_1)
	v_mul_f32_e32 v142, v143, v141
	v_fma_f32 v144, -v133, v142, v143
	s_delay_alu instid0(VALU_DEP_1) | instskip(NEXT) | instid1(VALU_DEP_1)
	v_fmac_f32_e32 v142, v144, v141
	v_fma_f32 v133, -v133, v142, v143
	s_delay_alu instid0(VALU_DEP_1) | instskip(NEXT) | instid1(VALU_DEP_1)
	v_div_fmas_f32 v133, v133, v141, v142
	v_div_fixup_f32 v133, v133, v134, v135
	s_delay_alu instid0(VALU_DEP_1) | instskip(NEXT) | instid1(VALU_DEP_1)
	v_fmac_f32_e32 v134, v135, v133
	v_div_scale_f32 v135, null, v134, v134, 1.0
	s_delay_alu instid0(VALU_DEP_1) | instskip(SKIP_1) | instid1(TRANS32_DEP_1)
	v_rcp_f32_e32 v141, v135
	v_nop
	v_fma_f32 v142, -v135, v141, 1.0
	s_delay_alu instid0(VALU_DEP_1) | instskip(SKIP_1) | instid1(VALU_DEP_1)
	v_fmac_f32_e32 v141, v142, v141
	v_div_scale_f32 v142, vcc_lo, 1.0, v134, 1.0
	v_mul_f32_e32 v143, v142, v141
	s_delay_alu instid0(VALU_DEP_1) | instskip(NEXT) | instid1(VALU_DEP_1)
	v_fma_f32 v144, -v135, v143, v142
	v_fmac_f32_e32 v143, v144, v141
	s_delay_alu instid0(VALU_DEP_1) | instskip(NEXT) | instid1(VALU_DEP_1)
	v_fma_f32 v135, -v135, v143, v142
	v_div_fmas_f32 v135, v135, v141, v143
	s_delay_alu instid0(VALU_DEP_1) | instskip(NEXT) | instid1(VALU_DEP_1)
	v_div_fixup_f32 v134, v135, v134, 1.0
	v_mul_f32_e64 v135, v133, -v134
.LBB124_807:
	s_or_b32 exec_lo, exec_lo, s1
.LBB124_808:
	s_delay_alu instid0(SALU_CYCLE_1) | instskip(NEXT) | instid1(SALU_CYCLE_1)
	s_or_b32 exec_lo, exec_lo, s0
	s_mov_b32 s0, exec_lo
	v_cmpx_ne_u32_e64 v140, v132
	s_xor_b32 s0, exec_lo, s0
	s_cbranch_execz .LBB124_814
; %bb.809:
	s_mov_b32 s1, exec_lo
	v_cmpx_eq_u32_e32 38, v140
	s_cbranch_execz .LBB124_813
; %bb.810:
	v_cmp_ne_u32_e32 vcc_lo, 38, v132
	s_xor_b32 s12, s16, -1
	s_delay_alu instid0(SALU_CYCLE_1) | instskip(NEXT) | instid1(SALU_CYCLE_1)
	s_and_b32 s13, s12, vcc_lo
	s_and_saveexec_b32 s12, s13
	s_cbranch_execz .LBB124_812
; %bb.811:
	v_ashrrev_i32_e32 v133, 31, v132
	s_delay_alu instid0(VALU_DEP_1)
	v_lshl_add_u64 v[140:141], v[132:133], 2, v[4:5]
	s_clause 0x1
	global_load_b32 v133, v[140:141], off
	global_load_b32 v139, v[4:5], off offset:152
	s_wait_loadcnt 0x1
	global_store_b32 v[4:5], v133, off offset:152
	s_wait_loadcnt 0x0
	global_store_b32 v[140:141], v139, off
.LBB124_812:
	s_wait_xcnt 0x0
	s_or_b32 exec_lo, exec_lo, s12
	v_dual_mov_b32 v140, v132 :: v_dual_mov_b32 v139, v132
.LBB124_813:
	s_or_b32 exec_lo, exec_lo, s1
.LBB124_814:
	s_and_not1_saveexec_b32 s0, s0
	s_cbranch_execz .LBB124_816
; %bb.815:
	v_mov_b32_e32 v140, 38
	ds_store_2addr_b64 v136, v[32:33], v[84:85] offset0:39 offset1:40
	ds_store_2addr_b64 v136, v[82:83], v[24:25] offset0:41 offset1:42
	;; [unrolled: 1-line block ×12, first 2 shown]
.LBB124_816:
	s_or_b32 exec_lo, exec_lo, s0
	s_delay_alu instid0(SALU_CYCLE_1)
	s_mov_b32 s0, exec_lo
	s_wait_storecnt_dscnt 0x0
	s_barrier_signal -1
	s_barrier_wait -1
	v_cmpx_lt_i32_e32 38, v140
	s_cbranch_execz .LBB124_818
; %bb.817:
	v_pk_mul_f32 v[142:143], v[134:135], v[36:37] op_sel:[1,1] op_sel_hi:[0,1]
	s_delay_alu instid0(VALU_DEP_1)
	v_pk_fma_f32 v[132:133], v[134:135], v[36:37], v[142:143] op_sel_hi:[1,0,1] neg_lo:[0,0,1] neg_hi:[0,0,1]
	v_pk_fma_f32 v[134:135], v[134:135], v[36:37], v[142:143] op_sel_hi:[1,0,1]
	ds_load_2addr_b64 v[142:145], v136 offset0:39 offset1:40
	v_dual_mov_b32 v36, v132 :: v_dual_mov_b32 v37, v135
	s_wait_dscnt 0x0
	v_pk_mul_f32 v[146:147], v[142:143], v[134:135] op_sel:[0,1]
	s_delay_alu instid0(VALU_DEP_1) | instskip(SKIP_1) | instid1(VALU_DEP_1)
	v_pk_fma_f32 v[148:149], v[142:143], v[132:133], v[146:147] op_sel:[0,0,1] op_sel_hi:[1,1,0] neg_lo:[0,0,1] neg_hi:[0,0,1]
	v_pk_fma_f32 v[142:143], v[142:143], v[132:133], v[146:147] op_sel:[0,0,1] op_sel_hi:[1,0,0]
	v_mov_b32_e32 v149, v143
	v_pk_mul_f32 v[142:143], v[144:145], v[134:135] op_sel:[0,1]
	s_delay_alu instid0(VALU_DEP_1) | instskip(SKIP_1) | instid1(VALU_DEP_1)
	v_pk_fma_f32 v[146:147], v[144:145], v[132:133], v[142:143] op_sel:[0,0,1] op_sel_hi:[1,1,0] neg_lo:[0,0,1] neg_hi:[0,0,1]
	v_pk_fma_f32 v[142:143], v[144:145], v[132:133], v[142:143] op_sel:[0,0,1] op_sel_hi:[1,0,0]
	v_mov_b32_e32 v147, v143
	ds_load_2addr_b64 v[142:145], v136 offset0:41 offset1:42
	v_pk_add_f32 v[32:33], v[32:33], v[148:149] neg_lo:[0,1] neg_hi:[0,1]
	v_pk_add_f32 v[84:85], v[84:85], v[146:147] neg_lo:[0,1] neg_hi:[0,1]
	s_wait_dscnt 0x0
	v_pk_mul_f32 v[146:147], v[142:143], v[134:135] op_sel:[0,1]
	s_delay_alu instid0(VALU_DEP_1) | instskip(SKIP_2) | instid1(VALU_DEP_2)
	v_pk_fma_f32 v[148:149], v[142:143], v[132:133], v[146:147] op_sel:[0,0,1] op_sel_hi:[1,1,0] neg_lo:[0,0,1] neg_hi:[0,0,1]
	v_pk_fma_f32 v[142:143], v[142:143], v[132:133], v[146:147] op_sel:[0,0,1] op_sel_hi:[1,0,0]
	v_dual_mul_f32 v146, v145, v135 :: v_dual_mov_b32 v142, v145
	v_dual_mov_b32 v149, v143 :: v_dual_mov_b32 v143, v144
	s_delay_alu instid0(VALU_DEP_2) | instskip(SKIP_1) | instid1(VALU_DEP_3)
	v_pk_fma_f32 v[146:147], v[144:145], v[36:37], v[146:147] op_sel_hi:[1,1,0] neg_lo:[0,0,1] neg_hi:[0,0,1]
	v_mul_f32_e32 v144, v145, v132
	v_pk_add_f32 v[82:83], v[82:83], v[148:149] neg_lo:[0,1] neg_hi:[0,1]
	s_delay_alu instid0(VALU_DEP_2) | instskip(NEXT) | instid1(VALU_DEP_1)
	v_pk_fma_f32 v[142:143], v[142:143], v[36:37], v[144:145] op_sel_hi:[1,1,0]
	v_mov_b32_e32 v147, v143
	ds_load_2addr_b64 v[142:145], v136 offset0:43 offset1:44
	v_pk_add_f32 v[24:25], v[24:25], v[146:147] neg_lo:[0,1] neg_hi:[0,1]
	s_wait_dscnt 0x0
	v_pk_mul_f32 v[146:147], v[142:143], v[134:135] op_sel:[0,1]
	s_delay_alu instid0(VALU_DEP_1) | instskip(SKIP_1) | instid1(VALU_DEP_1)
	v_pk_fma_f32 v[148:149], v[142:143], v[132:133], v[146:147] op_sel:[0,0,1] op_sel_hi:[1,1,0] neg_lo:[0,0,1] neg_hi:[0,0,1]
	v_pk_fma_f32 v[142:143], v[142:143], v[132:133], v[146:147] op_sel:[0,0,1] op_sel_hi:[1,0,0]
	v_mov_b32_e32 v149, v143
	v_pk_mul_f32 v[142:143], v[144:145], v[134:135] op_sel:[0,1]
	s_delay_alu instid0(VALU_DEP_1) | instskip(SKIP_1) | instid1(VALU_DEP_1)
	v_pk_fma_f32 v[146:147], v[144:145], v[132:133], v[142:143] op_sel:[0,0,1] op_sel_hi:[1,1,0] neg_lo:[0,0,1] neg_hi:[0,0,1]
	v_pk_fma_f32 v[142:143], v[144:145], v[132:133], v[142:143] op_sel:[0,0,1] op_sel_hi:[1,0,0]
	v_mov_b32_e32 v147, v143
	ds_load_2addr_b64 v[142:145], v136 offset0:45 offset1:46
	v_pk_add_f32 v[22:23], v[22:23], v[148:149] neg_lo:[0,1] neg_hi:[0,1]
	v_pk_add_f32 v[80:81], v[80:81], v[146:147] neg_lo:[0,1] neg_hi:[0,1]
	s_wait_dscnt 0x0
	v_pk_mul_f32 v[146:147], v[142:143], v[134:135] op_sel:[0,1]
	s_delay_alu instid0(VALU_DEP_1) | instskip(SKIP_1) | instid1(VALU_DEP_1)
	v_pk_fma_f32 v[148:149], v[142:143], v[132:133], v[146:147] op_sel:[0,0,1] op_sel_hi:[1,1,0] neg_lo:[0,0,1] neg_hi:[0,0,1]
	v_pk_fma_f32 v[142:143], v[142:143], v[132:133], v[146:147] op_sel:[0,0,1] op_sel_hi:[1,0,0]
	v_mov_b32_e32 v149, v143
	v_pk_mul_f32 v[142:143], v[144:145], v[134:135] op_sel:[0,1]
	s_delay_alu instid0(VALU_DEP_1) | instskip(SKIP_1) | instid1(VALU_DEP_1)
	v_pk_fma_f32 v[146:147], v[144:145], v[132:133], v[142:143] op_sel:[0,0,1] op_sel_hi:[1,1,0] neg_lo:[0,0,1] neg_hi:[0,0,1]
	v_pk_fma_f32 v[142:143], v[144:145], v[132:133], v[142:143] op_sel:[0,0,1] op_sel_hi:[1,0,0]
	v_mov_b32_e32 v147, v143
	ds_load_2addr_b64 v[142:145], v136 offset0:47 offset1:48
	v_pk_add_f32 v[78:79], v[78:79], v[148:149] neg_lo:[0,1] neg_hi:[0,1]
	v_pk_add_f32 v[20:21], v[20:21], v[146:147] neg_lo:[0,1] neg_hi:[0,1]
	s_wait_dscnt 0x0
	v_dual_mul_f32 v146, v143, v135 :: v_dual_mul_f32 v148, v143, v132
	s_delay_alu instid0(VALU_DEP_1) | instskip(NEXT) | instid1(VALU_DEP_2)
	v_pk_fma_f32 v[146:147], v[142:143], v[36:37], v[146:147] op_sel_hi:[1,1,0] neg_lo:[0,0,1] neg_hi:[0,0,1]
	v_pk_fma_f32 v[142:143], v[142:143], v[36:37], v[148:149] op_sel:[1,0,0] op_sel_hi:[0,1,0]
	s_delay_alu instid0(VALU_DEP_1) | instskip(SKIP_1) | instid1(VALU_DEP_2)
	v_mov_b32_e32 v147, v143
	v_pk_mul_f32 v[142:143], v[144:145], v[134:135] op_sel:[0,1]
	v_pk_add_f32 v[18:19], v[18:19], v[146:147] neg_lo:[0,1] neg_hi:[0,1]
	s_delay_alu instid0(VALU_DEP_2) | instskip(SKIP_1) | instid1(VALU_DEP_1)
	v_pk_fma_f32 v[146:147], v[144:145], v[132:133], v[142:143] op_sel:[0,0,1] op_sel_hi:[1,1,0] neg_lo:[0,0,1] neg_hi:[0,0,1]
	v_pk_fma_f32 v[142:143], v[144:145], v[132:133], v[142:143] op_sel:[0,0,1] op_sel_hi:[1,0,0]
	v_mov_b32_e32 v147, v143
	ds_load_2addr_b64 v[142:145], v136 offset0:49 offset1:50
	v_pk_add_f32 v[76:77], v[76:77], v[146:147] neg_lo:[0,1] neg_hi:[0,1]
	s_wait_dscnt 0x0
	v_pk_mul_f32 v[146:147], v[142:143], v[134:135] op_sel:[0,1]
	s_delay_alu instid0(VALU_DEP_1) | instskip(SKIP_1) | instid1(VALU_DEP_1)
	v_pk_fma_f32 v[148:149], v[142:143], v[132:133], v[146:147] op_sel:[0,0,1] op_sel_hi:[1,1,0] neg_lo:[0,0,1] neg_hi:[0,0,1]
	v_pk_fma_f32 v[142:143], v[142:143], v[132:133], v[146:147] op_sel:[0,0,1] op_sel_hi:[1,0,0]
	v_mov_b32_e32 v149, v143
	v_pk_mul_f32 v[142:143], v[144:145], v[134:135] op_sel:[0,1]
	s_delay_alu instid0(VALU_DEP_2) | instskip(NEXT) | instid1(VALU_DEP_2)
	v_pk_add_f32 v[74:75], v[74:75], v[148:149] neg_lo:[0,1] neg_hi:[0,1]
	v_pk_fma_f32 v[146:147], v[144:145], v[132:133], v[142:143] op_sel:[0,0,1] op_sel_hi:[1,1,0] neg_lo:[0,0,1] neg_hi:[0,0,1]
	v_pk_fma_f32 v[142:143], v[144:145], v[132:133], v[142:143] op_sel:[0,0,1] op_sel_hi:[1,0,0]
	s_delay_alu instid0(VALU_DEP_1) | instskip(SKIP_4) | instid1(VALU_DEP_1)
	v_mov_b32_e32 v147, v143
	ds_load_2addr_b64 v[142:145], v136 offset0:51 offset1:52
	v_pk_add_f32 v[16:17], v[16:17], v[146:147] neg_lo:[0,1] neg_hi:[0,1]
	s_wait_dscnt 0x0
	v_pk_mul_f32 v[146:147], v[142:143], v[134:135] op_sel:[0,1]
	v_pk_fma_f32 v[148:149], v[142:143], v[132:133], v[146:147] op_sel:[0,0,1] op_sel_hi:[1,1,0] neg_lo:[0,0,1] neg_hi:[0,0,1]
	v_pk_fma_f32 v[142:143], v[142:143], v[132:133], v[146:147] op_sel:[0,0,1] op_sel_hi:[1,0,0]
	v_dual_mul_f32 v146, v145, v135 :: v_dual_mov_b32 v142, v145
	s_delay_alu instid0(VALU_DEP_2) | instskip(NEXT) | instid1(VALU_DEP_2)
	v_dual_mov_b32 v149, v143 :: v_dual_mov_b32 v143, v144
	v_pk_fma_f32 v[146:147], v[144:145], v[36:37], v[146:147] op_sel_hi:[1,1,0] neg_lo:[0,0,1] neg_hi:[0,0,1]
	v_mul_f32_e32 v144, v145, v132
	s_delay_alu instid0(VALU_DEP_3) | instskip(NEXT) | instid1(VALU_DEP_2)
	v_pk_add_f32 v[28:29], v[28:29], v[148:149] neg_lo:[0,1] neg_hi:[0,1]
	v_pk_fma_f32 v[142:143], v[142:143], v[36:37], v[144:145] op_sel_hi:[1,1,0]
	s_delay_alu instid0(VALU_DEP_1) | instskip(SKIP_4) | instid1(VALU_DEP_1)
	v_mov_b32_e32 v147, v143
	ds_load_2addr_b64 v[142:145], v136 offset0:53 offset1:54
	v_pk_add_f32 v[68:69], v[68:69], v[146:147] neg_lo:[0,1] neg_hi:[0,1]
	s_wait_dscnt 0x0
	v_pk_mul_f32 v[146:147], v[142:143], v[134:135] op_sel:[0,1]
	v_pk_fma_f32 v[148:149], v[142:143], v[132:133], v[146:147] op_sel:[0,0,1] op_sel_hi:[1,1,0] neg_lo:[0,0,1] neg_hi:[0,0,1]
	v_pk_fma_f32 v[142:143], v[142:143], v[132:133], v[146:147] op_sel:[0,0,1] op_sel_hi:[1,0,0]
	s_delay_alu instid0(VALU_DEP_1) | instskip(SKIP_1) | instid1(VALU_DEP_1)
	v_mov_b32_e32 v149, v143
	v_pk_mul_f32 v[142:143], v[144:145], v[134:135] op_sel:[0,1]
	v_pk_fma_f32 v[146:147], v[144:145], v[132:133], v[142:143] op_sel:[0,0,1] op_sel_hi:[1,1,0] neg_lo:[0,0,1] neg_hi:[0,0,1]
	v_pk_fma_f32 v[142:143], v[144:145], v[132:133], v[142:143] op_sel:[0,0,1] op_sel_hi:[1,0,0]
	s_delay_alu instid0(VALU_DEP_1)
	v_mov_b32_e32 v147, v143
	ds_load_2addr_b64 v[142:145], v136 offset0:55 offset1:56
	v_pk_add_f32 v[66:67], v[66:67], v[148:149] neg_lo:[0,1] neg_hi:[0,1]
	v_pk_add_f32 v[10:11], v[10:11], v[146:147] neg_lo:[0,1] neg_hi:[0,1]
	s_wait_dscnt 0x0
	v_pk_mul_f32 v[146:147], v[142:143], v[134:135] op_sel:[0,1]
	s_delay_alu instid0(VALU_DEP_1) | instskip(SKIP_1) | instid1(VALU_DEP_1)
	v_pk_fma_f32 v[148:149], v[142:143], v[132:133], v[146:147] op_sel:[0,0,1] op_sel_hi:[1,1,0] neg_lo:[0,0,1] neg_hi:[0,0,1]
	v_pk_fma_f32 v[142:143], v[142:143], v[132:133], v[146:147] op_sel:[0,0,1] op_sel_hi:[1,0,0]
	v_mov_b32_e32 v149, v143
	v_pk_mul_f32 v[142:143], v[144:145], v[134:135] op_sel:[0,1]
	s_delay_alu instid0(VALU_DEP_1) | instskip(SKIP_1) | instid1(VALU_DEP_1)
	v_pk_fma_f32 v[146:147], v[144:145], v[132:133], v[142:143] op_sel:[0,0,1] op_sel_hi:[1,1,0] neg_lo:[0,0,1] neg_hi:[0,0,1]
	v_pk_fma_f32 v[142:143], v[144:145], v[132:133], v[142:143] op_sel:[0,0,1] op_sel_hi:[1,0,0]
	v_mov_b32_e32 v147, v143
	ds_load_2addr_b64 v[142:145], v136 offset0:57 offset1:58
	v_pk_add_f32 v[8:9], v[8:9], v[148:149] neg_lo:[0,1] neg_hi:[0,1]
	v_pk_add_f32 v[34:35], v[34:35], v[146:147] neg_lo:[0,1] neg_hi:[0,1]
	s_wait_dscnt 0x0
	v_dual_mul_f32 v146, v143, v135 :: v_dual_mul_f32 v148, v143, v132
	s_delay_alu instid0(VALU_DEP_1) | instskip(NEXT) | instid1(VALU_DEP_2)
	v_pk_fma_f32 v[146:147], v[142:143], v[36:37], v[146:147] op_sel_hi:[1,1,0] neg_lo:[0,0,1] neg_hi:[0,0,1]
	v_pk_fma_f32 v[142:143], v[142:143], v[36:37], v[148:149] op_sel:[1,0,0] op_sel_hi:[0,1,0]
	s_delay_alu instid0(VALU_DEP_1) | instskip(SKIP_1) | instid1(VALU_DEP_2)
	v_mov_b32_e32 v147, v143
	v_pk_mul_f32 v[142:143], v[144:145], v[134:135] op_sel:[0,1]
	v_pk_add_f32 v[30:31], v[30:31], v[146:147] neg_lo:[0,1] neg_hi:[0,1]
	s_delay_alu instid0(VALU_DEP_2) | instskip(SKIP_1) | instid1(VALU_DEP_1)
	v_pk_fma_f32 v[146:147], v[144:145], v[132:133], v[142:143] op_sel:[0,0,1] op_sel_hi:[1,1,0] neg_lo:[0,0,1] neg_hi:[0,0,1]
	v_pk_fma_f32 v[142:143], v[144:145], v[132:133], v[142:143] op_sel:[0,0,1] op_sel_hi:[1,0,0]
	v_mov_b32_e32 v147, v143
	ds_load_2addr_b64 v[142:145], v136 offset0:59 offset1:60
	v_pk_add_f32 v[6:7], v[6:7], v[146:147] neg_lo:[0,1] neg_hi:[0,1]
	s_wait_dscnt 0x0
	v_pk_mul_f32 v[146:147], v[142:143], v[134:135] op_sel:[0,1]
	s_delay_alu instid0(VALU_DEP_1) | instskip(SKIP_1) | instid1(VALU_DEP_1)
	v_pk_fma_f32 v[148:149], v[142:143], v[132:133], v[146:147] op_sel:[0,0,1] op_sel_hi:[1,1,0] neg_lo:[0,0,1] neg_hi:[0,0,1]
	v_pk_fma_f32 v[142:143], v[142:143], v[132:133], v[146:147] op_sel:[0,0,1] op_sel_hi:[1,0,0]
	v_mov_b32_e32 v149, v143
	v_pk_mul_f32 v[142:143], v[144:145], v[134:135] op_sel:[0,1]
	s_delay_alu instid0(VALU_DEP_2) | instskip(NEXT) | instid1(VALU_DEP_2)
	v_pk_add_f32 v[26:27], v[26:27], v[148:149] neg_lo:[0,1] neg_hi:[0,1]
	v_pk_fma_f32 v[146:147], v[144:145], v[132:133], v[142:143] op_sel:[0,0,1] op_sel_hi:[1,1,0] neg_lo:[0,0,1] neg_hi:[0,0,1]
	v_pk_fma_f32 v[142:143], v[144:145], v[132:133], v[142:143] op_sel:[0,0,1] op_sel_hi:[1,0,0]
	s_delay_alu instid0(VALU_DEP_1)
	v_mov_b32_e32 v147, v143
	ds_load_2addr_b64 v[142:145], v136 offset0:61 offset1:62
	v_pk_add_f32 v[14:15], v[14:15], v[146:147] neg_lo:[0,1] neg_hi:[0,1]
	s_wait_dscnt 0x0
	v_pk_mul_f32 v[146:147], v[142:143], v[134:135] op_sel:[0,1]
	v_mul_f32_e32 v134, v145, v135
	s_delay_alu instid0(VALU_DEP_2) | instskip(SKIP_2) | instid1(VALU_DEP_4)
	v_pk_fma_f32 v[148:149], v[142:143], v[132:133], v[146:147] op_sel:[0,0,1] op_sel_hi:[1,1,0] neg_lo:[0,0,1] neg_hi:[0,0,1]
	v_pk_fma_f32 v[142:143], v[142:143], v[132:133], v[146:147] op_sel:[0,0,1] op_sel_hi:[1,0,0]
	v_dual_mov_b32 v142, v145 :: v_dual_mul_f32 v132, v145, v132
	v_pk_fma_f32 v[134:135], v[144:145], v[36:37], v[134:135] op_sel_hi:[1,1,0] neg_lo:[0,0,1] neg_hi:[0,0,1]
	s_delay_alu instid0(VALU_DEP_3) | instskip(NEXT) | instid1(VALU_DEP_1)
	v_dual_mov_b32 v149, v143 :: v_dual_mov_b32 v143, v144
	v_pk_add_f32 v[12:13], v[12:13], v[148:149] neg_lo:[0,1] neg_hi:[0,1]
	s_delay_alu instid0(VALU_DEP_2) | instskip(NEXT) | instid1(VALU_DEP_1)
	v_pk_fma_f32 v[132:133], v[142:143], v[36:37], v[132:133] op_sel_hi:[1,1,0]
	v_mov_b32_e32 v135, v133
	s_delay_alu instid0(VALU_DEP_1)
	v_pk_add_f32 v[130:131], v[130:131], v[134:135] neg_lo:[0,1] neg_hi:[0,1]
.LBB124_818:
	s_or_b32 exec_lo, exec_lo, s0
	v_lshl_add_u32 v132, v140, 3, v136
	s_barrier_signal -1
	s_barrier_wait -1
	ds_store_b64 v132, v[32:33]
	s_wait_dscnt 0x0
	s_barrier_signal -1
	s_barrier_wait -1
	ds_load_b64 v[134:135], v136 offset:312
	v_mov_b32_e32 v132, 39
	s_cmp_lt_i32 s18, 41
	s_cbranch_scc1 .LBB124_821
; %bb.819:
	v_add3_u32 v133, v137, 0, 0x140
	v_mov_b32_e32 v132, 39
	s_mov_b32 s0, 40
.LBB124_820:                            ; =>This Inner Loop Header: Depth=1
	ds_load_b64 v[142:143], v133
	s_wait_dscnt 0x1
	v_cmp_gt_f32_e32 vcc_lo, 0, v134
	v_cndmask_b32_e64 v144, v134, -v134, vcc_lo
	v_cmp_gt_f32_e32 vcc_lo, 0, v135
	v_cndmask_b32_e64 v146, v135, -v135, vcc_lo
	s_wait_dscnt 0x0
	v_cmp_gt_f32_e32 vcc_lo, 0, v142
	v_cndmask_b32_e64 v145, v142, -v142, vcc_lo
	v_cmp_gt_f32_e32 vcc_lo, 0, v143
	v_cndmask_b32_e64 v147, v143, -v143, vcc_lo
	s_delay_alu instid0(VALU_DEP_1) | instskip(NEXT) | instid1(VALU_DEP_1)
	v_pk_add_f32 v[144:145], v[144:145], v[146:147]
	v_cmp_lt_f32_e32 vcc_lo, v144, v145
	v_dual_add_nc_u32 v133, 8, v133 :: v_dual_cndmask_b32 v135, v135, v143, vcc_lo
	v_cndmask_b32_e32 v134, v134, v142, vcc_lo
	v_cndmask_b32_e64 v132, v132, s0, vcc_lo
	s_add_co_i32 s0, s0, 1
	s_delay_alu instid0(SALU_CYCLE_1)
	s_cmp_lg_u32 s18, s0
	s_cbranch_scc1 .LBB124_820
.LBB124_821:
	s_wait_dscnt 0x0
	v_cmp_eq_f32_e32 vcc_lo, 0, v134
	v_cmp_eq_f32_e64 s0, 0, v135
	s_and_b32 s0, vcc_lo, s0
	s_delay_alu instid0(SALU_CYCLE_1) | instskip(NEXT) | instid1(SALU_CYCLE_1)
	s_and_saveexec_b32 s1, s0
	s_xor_b32 s0, exec_lo, s1
; %bb.822:
	v_cmp_ne_u32_e32 vcc_lo, 0, v138
	v_cndmask_b32_e32 v138, 40, v138, vcc_lo
; %bb.823:
	s_and_not1_saveexec_b32 s0, s0
	s_cbranch_execz .LBB124_829
; %bb.824:
	v_cmp_ngt_f32_e64 s1, |v134|, |v135|
	s_and_saveexec_b32 s12, s1
	s_delay_alu instid0(SALU_CYCLE_1)
	s_xor_b32 s1, exec_lo, s12
	s_cbranch_execz .LBB124_826
; %bb.825:
	v_div_scale_f32 v133, null, v135, v135, v134
	v_div_scale_f32 v143, vcc_lo, v134, v135, v134
	s_delay_alu instid0(VALU_DEP_2) | instskip(SKIP_1) | instid1(TRANS32_DEP_1)
	v_rcp_f32_e32 v141, v133
	v_nop
	v_fma_f32 v142, -v133, v141, 1.0
	s_delay_alu instid0(VALU_DEP_1) | instskip(NEXT) | instid1(VALU_DEP_1)
	v_fmac_f32_e32 v141, v142, v141
	v_mul_f32_e32 v142, v143, v141
	s_delay_alu instid0(VALU_DEP_1) | instskip(NEXT) | instid1(VALU_DEP_1)
	v_fma_f32 v144, -v133, v142, v143
	v_fmac_f32_e32 v142, v144, v141
	s_delay_alu instid0(VALU_DEP_1) | instskip(NEXT) | instid1(VALU_DEP_1)
	v_fma_f32 v133, -v133, v142, v143
	v_div_fmas_f32 v133, v133, v141, v142
	s_delay_alu instid0(VALU_DEP_1) | instskip(NEXT) | instid1(VALU_DEP_1)
	v_div_fixup_f32 v133, v133, v135, v134
	v_fmac_f32_e32 v135, v134, v133
	s_delay_alu instid0(VALU_DEP_1) | instskip(SKIP_1) | instid1(VALU_DEP_2)
	v_div_scale_f32 v134, null, v135, v135, 1.0
	v_div_scale_f32 v143, vcc_lo, 1.0, v135, 1.0
	v_rcp_f32_e32 v141, v134
	v_nop
	s_delay_alu instid0(TRANS32_DEP_1) | instskip(NEXT) | instid1(VALU_DEP_1)
	v_fma_f32 v142, -v134, v141, 1.0
	v_fmac_f32_e32 v141, v142, v141
	s_delay_alu instid0(VALU_DEP_1) | instskip(NEXT) | instid1(VALU_DEP_1)
	v_mul_f32_e32 v142, v143, v141
	v_fma_f32 v144, -v134, v142, v143
	s_delay_alu instid0(VALU_DEP_1) | instskip(NEXT) | instid1(VALU_DEP_1)
	v_fmac_f32_e32 v142, v144, v141
	v_fma_f32 v134, -v134, v142, v143
	s_delay_alu instid0(VALU_DEP_1) | instskip(NEXT) | instid1(VALU_DEP_1)
	v_div_fmas_f32 v134, v134, v141, v142
	v_div_fixup_f32 v135, v134, v135, 1.0
	s_delay_alu instid0(VALU_DEP_1)
	v_mul_f32_e32 v134, v133, v135
	v_xor_b32_e32 v135, 0x80000000, v135
.LBB124_826:
	s_and_not1_saveexec_b32 s1, s1
	s_cbranch_execz .LBB124_828
; %bb.827:
	s_delay_alu instid0(VALU_DEP_1) | instskip(SKIP_1) | instid1(VALU_DEP_2)
	v_div_scale_f32 v133, null, v134, v134, v135
	v_div_scale_f32 v143, vcc_lo, v135, v134, v135
	v_rcp_f32_e32 v141, v133
	v_nop
	s_delay_alu instid0(TRANS32_DEP_1) | instskip(NEXT) | instid1(VALU_DEP_1)
	v_fma_f32 v142, -v133, v141, 1.0
	v_fmac_f32_e32 v141, v142, v141
	s_delay_alu instid0(VALU_DEP_1) | instskip(NEXT) | instid1(VALU_DEP_1)
	v_mul_f32_e32 v142, v143, v141
	v_fma_f32 v144, -v133, v142, v143
	s_delay_alu instid0(VALU_DEP_1) | instskip(NEXT) | instid1(VALU_DEP_1)
	v_fmac_f32_e32 v142, v144, v141
	v_fma_f32 v133, -v133, v142, v143
	s_delay_alu instid0(VALU_DEP_1) | instskip(NEXT) | instid1(VALU_DEP_1)
	v_div_fmas_f32 v133, v133, v141, v142
	v_div_fixup_f32 v133, v133, v134, v135
	s_delay_alu instid0(VALU_DEP_1) | instskip(NEXT) | instid1(VALU_DEP_1)
	v_fmac_f32_e32 v134, v135, v133
	v_div_scale_f32 v135, null, v134, v134, 1.0
	s_delay_alu instid0(VALU_DEP_1) | instskip(SKIP_1) | instid1(TRANS32_DEP_1)
	v_rcp_f32_e32 v141, v135
	v_nop
	v_fma_f32 v142, -v135, v141, 1.0
	s_delay_alu instid0(VALU_DEP_1) | instskip(SKIP_1) | instid1(VALU_DEP_1)
	v_fmac_f32_e32 v141, v142, v141
	v_div_scale_f32 v142, vcc_lo, 1.0, v134, 1.0
	v_mul_f32_e32 v143, v142, v141
	s_delay_alu instid0(VALU_DEP_1) | instskip(NEXT) | instid1(VALU_DEP_1)
	v_fma_f32 v144, -v135, v143, v142
	v_fmac_f32_e32 v143, v144, v141
	s_delay_alu instid0(VALU_DEP_1) | instskip(NEXT) | instid1(VALU_DEP_1)
	v_fma_f32 v135, -v135, v143, v142
	v_div_fmas_f32 v135, v135, v141, v143
	s_delay_alu instid0(VALU_DEP_1) | instskip(NEXT) | instid1(VALU_DEP_1)
	v_div_fixup_f32 v134, v135, v134, 1.0
	v_mul_f32_e64 v135, v133, -v134
.LBB124_828:
	s_or_b32 exec_lo, exec_lo, s1
.LBB124_829:
	s_delay_alu instid0(SALU_CYCLE_1) | instskip(NEXT) | instid1(SALU_CYCLE_1)
	s_or_b32 exec_lo, exec_lo, s0
	s_mov_b32 s0, exec_lo
	v_cmpx_ne_u32_e64 v140, v132
	s_xor_b32 s0, exec_lo, s0
	s_cbranch_execz .LBB124_835
; %bb.830:
	s_mov_b32 s1, exec_lo
	v_cmpx_eq_u32_e32 39, v140
	s_cbranch_execz .LBB124_834
; %bb.831:
	v_cmp_ne_u32_e32 vcc_lo, 39, v132
	s_xor_b32 s12, s16, -1
	s_delay_alu instid0(SALU_CYCLE_1) | instskip(NEXT) | instid1(SALU_CYCLE_1)
	s_and_b32 s13, s12, vcc_lo
	s_and_saveexec_b32 s12, s13
	s_cbranch_execz .LBB124_833
; %bb.832:
	v_ashrrev_i32_e32 v133, 31, v132
	s_delay_alu instid0(VALU_DEP_1)
	v_lshl_add_u64 v[140:141], v[132:133], 2, v[4:5]
	s_clause 0x1
	global_load_b32 v133, v[140:141], off
	global_load_b32 v139, v[4:5], off offset:156
	s_wait_loadcnt 0x1
	global_store_b32 v[4:5], v133, off offset:156
	s_wait_loadcnt 0x0
	global_store_b32 v[140:141], v139, off
.LBB124_833:
	s_wait_xcnt 0x0
	s_or_b32 exec_lo, exec_lo, s12
	v_dual_mov_b32 v140, v132 :: v_dual_mov_b32 v139, v132
.LBB124_834:
	s_or_b32 exec_lo, exec_lo, s1
.LBB124_835:
	s_and_not1_saveexec_b32 s0, s0
	s_cbranch_execz .LBB124_837
; %bb.836:
	v_dual_mov_b32 v132, v84 :: v_dual_mov_b32 v133, v85
	v_dual_mov_b32 v140, v82 :: v_dual_mov_b32 v141, v83
	ds_store_2addr_b64 v136, v[132:133], v[140:141] offset0:40 offset1:41
	v_dual_mov_b32 v132, v24 :: v_dual_mov_b32 v133, v25
	v_dual_mov_b32 v140, v22 :: v_dual_mov_b32 v141, v23
	ds_store_2addr_b64 v136, v[132:133], v[140:141] offset0:42 offset1:43
	;; [unrolled: 3-line block ×11, first 2 shown]
	ds_store_b64 v136, v[130:131] offset:496
	v_mov_b32_e32 v140, 39
.LBB124_837:
	s_or_b32 exec_lo, exec_lo, s0
	s_delay_alu instid0(SALU_CYCLE_1)
	s_mov_b32 s0, exec_lo
	s_wait_storecnt_dscnt 0x0
	s_barrier_signal -1
	s_barrier_wait -1
	v_cmpx_lt_i32_e32 39, v140
	s_cbranch_execz .LBB124_839
; %bb.838:
	v_pk_mul_f32 v[142:143], v[134:135], v[32:33] op_sel:[1,1] op_sel_hi:[0,1]
	s_delay_alu instid0(VALU_DEP_1)
	v_pk_fma_f32 v[132:133], v[134:135], v[32:33], v[142:143] op_sel_hi:[1,0,1] neg_lo:[0,0,1] neg_hi:[0,0,1]
	v_pk_fma_f32 v[134:135], v[134:135], v[32:33], v[142:143] op_sel_hi:[1,0,1]
	ds_load_2addr_b64 v[142:145], v136 offset0:40 offset1:41
	v_dual_mov_b32 v32, v132 :: v_dual_mov_b32 v33, v135
	s_wait_dscnt 0x0
	v_pk_mul_f32 v[146:147], v[142:143], v[134:135] op_sel:[0,1]
	s_delay_alu instid0(VALU_DEP_1) | instskip(SKIP_1) | instid1(VALU_DEP_1)
	v_pk_fma_f32 v[148:149], v[142:143], v[132:133], v[146:147] op_sel:[0,0,1] op_sel_hi:[1,1,0] neg_lo:[0,0,1] neg_hi:[0,0,1]
	v_pk_fma_f32 v[142:143], v[142:143], v[132:133], v[146:147] op_sel:[0,0,1] op_sel_hi:[1,0,0]
	v_mov_b32_e32 v149, v143
	v_pk_mul_f32 v[142:143], v[144:145], v[134:135] op_sel:[0,1]
	s_delay_alu instid0(VALU_DEP_1) | instskip(SKIP_1) | instid1(VALU_DEP_1)
	v_pk_fma_f32 v[146:147], v[144:145], v[132:133], v[142:143] op_sel:[0,0,1] op_sel_hi:[1,1,0] neg_lo:[0,0,1] neg_hi:[0,0,1]
	v_pk_fma_f32 v[142:143], v[144:145], v[132:133], v[142:143] op_sel:[0,0,1] op_sel_hi:[1,0,0]
	v_mov_b32_e32 v147, v143
	ds_load_2addr_b64 v[142:145], v136 offset0:42 offset1:43
	v_pk_add_f32 v[84:85], v[84:85], v[148:149] neg_lo:[0,1] neg_hi:[0,1]
	v_pk_add_f32 v[82:83], v[82:83], v[146:147] neg_lo:[0,1] neg_hi:[0,1]
	s_wait_dscnt 0x0
	v_pk_mul_f32 v[146:147], v[142:143], v[134:135] op_sel:[0,1]
	s_delay_alu instid0(VALU_DEP_1) | instskip(SKIP_2) | instid1(VALU_DEP_2)
	v_pk_fma_f32 v[148:149], v[142:143], v[132:133], v[146:147] op_sel:[0,0,1] op_sel_hi:[1,1,0] neg_lo:[0,0,1] neg_hi:[0,0,1]
	v_pk_fma_f32 v[142:143], v[142:143], v[132:133], v[146:147] op_sel:[0,0,1] op_sel_hi:[1,0,0]
	v_dual_mul_f32 v146, v145, v135 :: v_dual_mov_b32 v142, v145
	v_dual_mov_b32 v149, v143 :: v_dual_mov_b32 v143, v144
	s_delay_alu instid0(VALU_DEP_2) | instskip(SKIP_1) | instid1(VALU_DEP_3)
	v_pk_fma_f32 v[146:147], v[144:145], v[32:33], v[146:147] op_sel_hi:[1,1,0] neg_lo:[0,0,1] neg_hi:[0,0,1]
	v_mul_f32_e32 v144, v145, v132
	v_pk_add_f32 v[24:25], v[24:25], v[148:149] neg_lo:[0,1] neg_hi:[0,1]
	s_delay_alu instid0(VALU_DEP_2) | instskip(NEXT) | instid1(VALU_DEP_1)
	v_pk_fma_f32 v[142:143], v[142:143], v[32:33], v[144:145] op_sel_hi:[1,1,0]
	v_mov_b32_e32 v147, v143
	ds_load_2addr_b64 v[142:145], v136 offset0:44 offset1:45
	v_pk_add_f32 v[22:23], v[22:23], v[146:147] neg_lo:[0,1] neg_hi:[0,1]
	s_wait_dscnt 0x0
	v_pk_mul_f32 v[146:147], v[142:143], v[134:135] op_sel:[0,1]
	s_delay_alu instid0(VALU_DEP_1) | instskip(SKIP_1) | instid1(VALU_DEP_1)
	v_pk_fma_f32 v[148:149], v[142:143], v[132:133], v[146:147] op_sel:[0,0,1] op_sel_hi:[1,1,0] neg_lo:[0,0,1] neg_hi:[0,0,1]
	v_pk_fma_f32 v[142:143], v[142:143], v[132:133], v[146:147] op_sel:[0,0,1] op_sel_hi:[1,0,0]
	v_mov_b32_e32 v149, v143
	v_pk_mul_f32 v[142:143], v[144:145], v[134:135] op_sel:[0,1]
	s_delay_alu instid0(VALU_DEP_1) | instskip(SKIP_1) | instid1(VALU_DEP_1)
	v_pk_fma_f32 v[146:147], v[144:145], v[132:133], v[142:143] op_sel:[0,0,1] op_sel_hi:[1,1,0] neg_lo:[0,0,1] neg_hi:[0,0,1]
	v_pk_fma_f32 v[142:143], v[144:145], v[132:133], v[142:143] op_sel:[0,0,1] op_sel_hi:[1,0,0]
	v_mov_b32_e32 v147, v143
	ds_load_2addr_b64 v[142:145], v136 offset0:46 offset1:47
	v_pk_add_f32 v[80:81], v[80:81], v[148:149] neg_lo:[0,1] neg_hi:[0,1]
	v_pk_add_f32 v[78:79], v[78:79], v[146:147] neg_lo:[0,1] neg_hi:[0,1]
	s_wait_dscnt 0x0
	v_pk_mul_f32 v[146:147], v[142:143], v[134:135] op_sel:[0,1]
	s_delay_alu instid0(VALU_DEP_1) | instskip(SKIP_1) | instid1(VALU_DEP_1)
	v_pk_fma_f32 v[148:149], v[142:143], v[132:133], v[146:147] op_sel:[0,0,1] op_sel_hi:[1,1,0] neg_lo:[0,0,1] neg_hi:[0,0,1]
	v_pk_fma_f32 v[142:143], v[142:143], v[132:133], v[146:147] op_sel:[0,0,1] op_sel_hi:[1,0,0]
	v_mov_b32_e32 v149, v143
	v_pk_mul_f32 v[142:143], v[144:145], v[134:135] op_sel:[0,1]
	s_delay_alu instid0(VALU_DEP_1) | instskip(SKIP_1) | instid1(VALU_DEP_1)
	v_pk_fma_f32 v[146:147], v[144:145], v[132:133], v[142:143] op_sel:[0,0,1] op_sel_hi:[1,1,0] neg_lo:[0,0,1] neg_hi:[0,0,1]
	v_pk_fma_f32 v[142:143], v[144:145], v[132:133], v[142:143] op_sel:[0,0,1] op_sel_hi:[1,0,0]
	v_mov_b32_e32 v147, v143
	ds_load_2addr_b64 v[142:145], v136 offset0:48 offset1:49
	v_pk_add_f32 v[20:21], v[20:21], v[148:149] neg_lo:[0,1] neg_hi:[0,1]
	v_pk_add_f32 v[18:19], v[18:19], v[146:147] neg_lo:[0,1] neg_hi:[0,1]
	s_wait_dscnt 0x0
	v_dual_mul_f32 v146, v143, v135 :: v_dual_mul_f32 v148, v143, v132
	s_delay_alu instid0(VALU_DEP_1) | instskip(NEXT) | instid1(VALU_DEP_2)
	v_pk_fma_f32 v[146:147], v[142:143], v[32:33], v[146:147] op_sel_hi:[1,1,0] neg_lo:[0,0,1] neg_hi:[0,0,1]
	v_pk_fma_f32 v[142:143], v[142:143], v[32:33], v[148:149] op_sel:[1,0,0] op_sel_hi:[0,1,0]
	s_delay_alu instid0(VALU_DEP_1) | instskip(SKIP_1) | instid1(VALU_DEP_2)
	v_mov_b32_e32 v147, v143
	v_pk_mul_f32 v[142:143], v[144:145], v[134:135] op_sel:[0,1]
	v_pk_add_f32 v[76:77], v[76:77], v[146:147] neg_lo:[0,1] neg_hi:[0,1]
	s_delay_alu instid0(VALU_DEP_2) | instskip(SKIP_1) | instid1(VALU_DEP_1)
	v_pk_fma_f32 v[146:147], v[144:145], v[132:133], v[142:143] op_sel:[0,0,1] op_sel_hi:[1,1,0] neg_lo:[0,0,1] neg_hi:[0,0,1]
	v_pk_fma_f32 v[142:143], v[144:145], v[132:133], v[142:143] op_sel:[0,0,1] op_sel_hi:[1,0,0]
	v_mov_b32_e32 v147, v143
	ds_load_2addr_b64 v[142:145], v136 offset0:50 offset1:51
	v_pk_add_f32 v[74:75], v[74:75], v[146:147] neg_lo:[0,1] neg_hi:[0,1]
	s_wait_dscnt 0x0
	v_pk_mul_f32 v[146:147], v[142:143], v[134:135] op_sel:[0,1]
	s_delay_alu instid0(VALU_DEP_1) | instskip(SKIP_1) | instid1(VALU_DEP_1)
	v_pk_fma_f32 v[148:149], v[142:143], v[132:133], v[146:147] op_sel:[0,0,1] op_sel_hi:[1,1,0] neg_lo:[0,0,1] neg_hi:[0,0,1]
	v_pk_fma_f32 v[142:143], v[142:143], v[132:133], v[146:147] op_sel:[0,0,1] op_sel_hi:[1,0,0]
	v_mov_b32_e32 v149, v143
	v_pk_mul_f32 v[142:143], v[144:145], v[134:135] op_sel:[0,1]
	s_delay_alu instid0(VALU_DEP_2) | instskip(NEXT) | instid1(VALU_DEP_2)
	v_pk_add_f32 v[16:17], v[16:17], v[148:149] neg_lo:[0,1] neg_hi:[0,1]
	v_pk_fma_f32 v[146:147], v[144:145], v[132:133], v[142:143] op_sel:[0,0,1] op_sel_hi:[1,1,0] neg_lo:[0,0,1] neg_hi:[0,0,1]
	v_pk_fma_f32 v[142:143], v[144:145], v[132:133], v[142:143] op_sel:[0,0,1] op_sel_hi:[1,0,0]
	s_delay_alu instid0(VALU_DEP_1) | instskip(SKIP_4) | instid1(VALU_DEP_1)
	v_mov_b32_e32 v147, v143
	ds_load_2addr_b64 v[142:145], v136 offset0:52 offset1:53
	v_pk_add_f32 v[28:29], v[28:29], v[146:147] neg_lo:[0,1] neg_hi:[0,1]
	s_wait_dscnt 0x0
	v_pk_mul_f32 v[146:147], v[142:143], v[134:135] op_sel:[0,1]
	v_pk_fma_f32 v[148:149], v[142:143], v[132:133], v[146:147] op_sel:[0,0,1] op_sel_hi:[1,1,0] neg_lo:[0,0,1] neg_hi:[0,0,1]
	v_pk_fma_f32 v[142:143], v[142:143], v[132:133], v[146:147] op_sel:[0,0,1] op_sel_hi:[1,0,0]
	v_dual_mul_f32 v146, v145, v135 :: v_dual_mov_b32 v142, v145
	s_delay_alu instid0(VALU_DEP_2) | instskip(NEXT) | instid1(VALU_DEP_2)
	v_dual_mov_b32 v149, v143 :: v_dual_mov_b32 v143, v144
	v_pk_fma_f32 v[146:147], v[144:145], v[32:33], v[146:147] op_sel_hi:[1,1,0] neg_lo:[0,0,1] neg_hi:[0,0,1]
	v_mul_f32_e32 v144, v145, v132
	s_delay_alu instid0(VALU_DEP_3) | instskip(NEXT) | instid1(VALU_DEP_2)
	v_pk_add_f32 v[68:69], v[68:69], v[148:149] neg_lo:[0,1] neg_hi:[0,1]
	v_pk_fma_f32 v[142:143], v[142:143], v[32:33], v[144:145] op_sel_hi:[1,1,0]
	s_delay_alu instid0(VALU_DEP_1) | instskip(SKIP_4) | instid1(VALU_DEP_1)
	v_mov_b32_e32 v147, v143
	ds_load_2addr_b64 v[142:145], v136 offset0:54 offset1:55
	v_pk_add_f32 v[66:67], v[66:67], v[146:147] neg_lo:[0,1] neg_hi:[0,1]
	s_wait_dscnt 0x0
	v_pk_mul_f32 v[146:147], v[142:143], v[134:135] op_sel:[0,1]
	v_pk_fma_f32 v[148:149], v[142:143], v[132:133], v[146:147] op_sel:[0,0,1] op_sel_hi:[1,1,0] neg_lo:[0,0,1] neg_hi:[0,0,1]
	v_pk_fma_f32 v[142:143], v[142:143], v[132:133], v[146:147] op_sel:[0,0,1] op_sel_hi:[1,0,0]
	s_delay_alu instid0(VALU_DEP_1) | instskip(SKIP_1) | instid1(VALU_DEP_1)
	v_mov_b32_e32 v149, v143
	v_pk_mul_f32 v[142:143], v[144:145], v[134:135] op_sel:[0,1]
	v_pk_fma_f32 v[146:147], v[144:145], v[132:133], v[142:143] op_sel:[0,0,1] op_sel_hi:[1,1,0] neg_lo:[0,0,1] neg_hi:[0,0,1]
	v_pk_fma_f32 v[142:143], v[144:145], v[132:133], v[142:143] op_sel:[0,0,1] op_sel_hi:[1,0,0]
	s_delay_alu instid0(VALU_DEP_1)
	v_mov_b32_e32 v147, v143
	ds_load_2addr_b64 v[142:145], v136 offset0:56 offset1:57
	v_pk_add_f32 v[10:11], v[10:11], v[148:149] neg_lo:[0,1] neg_hi:[0,1]
	v_pk_add_f32 v[8:9], v[8:9], v[146:147] neg_lo:[0,1] neg_hi:[0,1]
	s_wait_dscnt 0x0
	v_pk_mul_f32 v[146:147], v[142:143], v[134:135] op_sel:[0,1]
	s_delay_alu instid0(VALU_DEP_1) | instskip(SKIP_1) | instid1(VALU_DEP_1)
	v_pk_fma_f32 v[148:149], v[142:143], v[132:133], v[146:147] op_sel:[0,0,1] op_sel_hi:[1,1,0] neg_lo:[0,0,1] neg_hi:[0,0,1]
	v_pk_fma_f32 v[142:143], v[142:143], v[132:133], v[146:147] op_sel:[0,0,1] op_sel_hi:[1,0,0]
	v_mov_b32_e32 v149, v143
	v_pk_mul_f32 v[142:143], v[144:145], v[134:135] op_sel:[0,1]
	s_delay_alu instid0(VALU_DEP_1) | instskip(SKIP_1) | instid1(VALU_DEP_1)
	v_pk_fma_f32 v[146:147], v[144:145], v[132:133], v[142:143] op_sel:[0,0,1] op_sel_hi:[1,1,0] neg_lo:[0,0,1] neg_hi:[0,0,1]
	v_pk_fma_f32 v[142:143], v[144:145], v[132:133], v[142:143] op_sel:[0,0,1] op_sel_hi:[1,0,0]
	v_mov_b32_e32 v147, v143
	ds_load_2addr_b64 v[142:145], v136 offset0:58 offset1:59
	v_pk_add_f32 v[34:35], v[34:35], v[148:149] neg_lo:[0,1] neg_hi:[0,1]
	v_pk_add_f32 v[30:31], v[30:31], v[146:147] neg_lo:[0,1] neg_hi:[0,1]
	s_wait_dscnt 0x0
	v_dual_mul_f32 v146, v143, v135 :: v_dual_mul_f32 v148, v143, v132
	s_delay_alu instid0(VALU_DEP_1) | instskip(NEXT) | instid1(VALU_DEP_2)
	v_pk_fma_f32 v[146:147], v[142:143], v[32:33], v[146:147] op_sel_hi:[1,1,0] neg_lo:[0,0,1] neg_hi:[0,0,1]
	v_pk_fma_f32 v[142:143], v[142:143], v[32:33], v[148:149] op_sel:[1,0,0] op_sel_hi:[0,1,0]
	s_delay_alu instid0(VALU_DEP_1) | instskip(SKIP_1) | instid1(VALU_DEP_2)
	v_mov_b32_e32 v147, v143
	v_pk_mul_f32 v[142:143], v[144:145], v[134:135] op_sel:[0,1]
	v_pk_add_f32 v[6:7], v[6:7], v[146:147] neg_lo:[0,1] neg_hi:[0,1]
	s_delay_alu instid0(VALU_DEP_2) | instskip(SKIP_1) | instid1(VALU_DEP_1)
	v_pk_fma_f32 v[146:147], v[144:145], v[132:133], v[142:143] op_sel:[0,0,1] op_sel_hi:[1,1,0] neg_lo:[0,0,1] neg_hi:[0,0,1]
	v_pk_fma_f32 v[142:143], v[144:145], v[132:133], v[142:143] op_sel:[0,0,1] op_sel_hi:[1,0,0]
	v_mov_b32_e32 v147, v143
	ds_load_2addr_b64 v[142:145], v136 offset0:60 offset1:61
	v_pk_add_f32 v[26:27], v[26:27], v[146:147] neg_lo:[0,1] neg_hi:[0,1]
	s_wait_dscnt 0x0
	v_pk_mul_f32 v[146:147], v[142:143], v[134:135] op_sel:[0,1]
	s_delay_alu instid0(VALU_DEP_1) | instskip(SKIP_1) | instid1(VALU_DEP_1)
	v_pk_fma_f32 v[148:149], v[142:143], v[132:133], v[146:147] op_sel:[0,0,1] op_sel_hi:[1,1,0] neg_lo:[0,0,1] neg_hi:[0,0,1]
	v_pk_fma_f32 v[142:143], v[142:143], v[132:133], v[146:147] op_sel:[0,0,1] op_sel_hi:[1,0,0]
	v_mov_b32_e32 v149, v143
	v_pk_mul_f32 v[142:143], v[144:145], v[134:135] op_sel:[0,1]
	s_delay_alu instid0(VALU_DEP_2) | instskip(NEXT) | instid1(VALU_DEP_2)
	v_pk_add_f32 v[14:15], v[14:15], v[148:149] neg_lo:[0,1] neg_hi:[0,1]
	v_pk_fma_f32 v[146:147], v[144:145], v[132:133], v[142:143] op_sel:[0,0,1] op_sel_hi:[1,1,0] neg_lo:[0,0,1] neg_hi:[0,0,1]
	v_pk_fma_f32 v[142:143], v[144:145], v[132:133], v[142:143] op_sel:[0,0,1] op_sel_hi:[1,0,0]
	s_delay_alu instid0(VALU_DEP_1) | instskip(SKIP_4) | instid1(VALU_DEP_1)
	v_mov_b32_e32 v147, v143
	ds_load_b64 v[142:143], v136 offset:496
	v_pk_add_f32 v[12:13], v[12:13], v[146:147] neg_lo:[0,1] neg_hi:[0,1]
	s_wait_dscnt 0x0
	v_pk_mul_f32 v[134:135], v[142:143], v[134:135] op_sel:[0,1]
	v_pk_fma_f32 v[144:145], v[142:143], v[132:133], v[134:135] op_sel:[0,0,1] op_sel_hi:[1,1,0] neg_lo:[0,0,1] neg_hi:[0,0,1]
	v_pk_fma_f32 v[132:133], v[142:143], v[132:133], v[134:135] op_sel:[0,0,1] op_sel_hi:[1,0,0]
	s_delay_alu instid0(VALU_DEP_1) | instskip(NEXT) | instid1(VALU_DEP_1)
	v_mov_b32_e32 v145, v133
	v_pk_add_f32 v[130:131], v[130:131], v[144:145] neg_lo:[0,1] neg_hi:[0,1]
.LBB124_839:
	s_or_b32 exec_lo, exec_lo, s0
	v_lshl_add_u32 v132, v140, 3, v136
	s_barrier_signal -1
	s_barrier_wait -1
	ds_store_b64 v132, v[84:85]
	s_wait_dscnt 0x0
	s_barrier_signal -1
	s_barrier_wait -1
	ds_load_b64 v[134:135], v136 offset:320
	v_mov_b32_e32 v132, 40
	s_cmp_lt_i32 s18, 42
	s_cbranch_scc1 .LBB124_842
; %bb.840:
	v_add3_u32 v133, v137, 0, 0x148
	v_mov_b32_e32 v132, 40
	s_mov_b32 s0, 41
.LBB124_841:                            ; =>This Inner Loop Header: Depth=1
	ds_load_b64 v[142:143], v133
	s_wait_dscnt 0x1
	v_cmp_gt_f32_e32 vcc_lo, 0, v134
	v_cndmask_b32_e64 v144, v134, -v134, vcc_lo
	v_cmp_gt_f32_e32 vcc_lo, 0, v135
	v_cndmask_b32_e64 v146, v135, -v135, vcc_lo
	s_wait_dscnt 0x0
	v_cmp_gt_f32_e32 vcc_lo, 0, v142
	v_cndmask_b32_e64 v145, v142, -v142, vcc_lo
	v_cmp_gt_f32_e32 vcc_lo, 0, v143
	v_cndmask_b32_e64 v147, v143, -v143, vcc_lo
	s_delay_alu instid0(VALU_DEP_1) | instskip(NEXT) | instid1(VALU_DEP_1)
	v_pk_add_f32 v[144:145], v[144:145], v[146:147]
	v_cmp_lt_f32_e32 vcc_lo, v144, v145
	v_dual_add_nc_u32 v133, 8, v133 :: v_dual_cndmask_b32 v135, v135, v143, vcc_lo
	v_cndmask_b32_e32 v134, v134, v142, vcc_lo
	v_cndmask_b32_e64 v132, v132, s0, vcc_lo
	s_add_co_i32 s0, s0, 1
	s_delay_alu instid0(SALU_CYCLE_1)
	s_cmp_lg_u32 s18, s0
	s_cbranch_scc1 .LBB124_841
.LBB124_842:
	s_wait_dscnt 0x0
	v_cmp_eq_f32_e32 vcc_lo, 0, v134
	v_cmp_eq_f32_e64 s0, 0, v135
	s_and_b32 s0, vcc_lo, s0
	s_delay_alu instid0(SALU_CYCLE_1) | instskip(NEXT) | instid1(SALU_CYCLE_1)
	s_and_saveexec_b32 s1, s0
	s_xor_b32 s0, exec_lo, s1
; %bb.843:
	v_cmp_ne_u32_e32 vcc_lo, 0, v138
	v_cndmask_b32_e32 v138, 41, v138, vcc_lo
; %bb.844:
	s_and_not1_saveexec_b32 s0, s0
	s_cbranch_execz .LBB124_850
; %bb.845:
	v_cmp_ngt_f32_e64 s1, |v134|, |v135|
	s_and_saveexec_b32 s12, s1
	s_delay_alu instid0(SALU_CYCLE_1)
	s_xor_b32 s1, exec_lo, s12
	s_cbranch_execz .LBB124_847
; %bb.846:
	v_div_scale_f32 v133, null, v135, v135, v134
	v_div_scale_f32 v143, vcc_lo, v134, v135, v134
	s_delay_alu instid0(VALU_DEP_2) | instskip(SKIP_1) | instid1(TRANS32_DEP_1)
	v_rcp_f32_e32 v141, v133
	v_nop
	v_fma_f32 v142, -v133, v141, 1.0
	s_delay_alu instid0(VALU_DEP_1) | instskip(NEXT) | instid1(VALU_DEP_1)
	v_fmac_f32_e32 v141, v142, v141
	v_mul_f32_e32 v142, v143, v141
	s_delay_alu instid0(VALU_DEP_1) | instskip(NEXT) | instid1(VALU_DEP_1)
	v_fma_f32 v144, -v133, v142, v143
	v_fmac_f32_e32 v142, v144, v141
	s_delay_alu instid0(VALU_DEP_1) | instskip(NEXT) | instid1(VALU_DEP_1)
	v_fma_f32 v133, -v133, v142, v143
	v_div_fmas_f32 v133, v133, v141, v142
	s_delay_alu instid0(VALU_DEP_1) | instskip(NEXT) | instid1(VALU_DEP_1)
	v_div_fixup_f32 v133, v133, v135, v134
	v_fmac_f32_e32 v135, v134, v133
	s_delay_alu instid0(VALU_DEP_1) | instskip(SKIP_1) | instid1(VALU_DEP_2)
	v_div_scale_f32 v134, null, v135, v135, 1.0
	v_div_scale_f32 v143, vcc_lo, 1.0, v135, 1.0
	v_rcp_f32_e32 v141, v134
	v_nop
	s_delay_alu instid0(TRANS32_DEP_1) | instskip(NEXT) | instid1(VALU_DEP_1)
	v_fma_f32 v142, -v134, v141, 1.0
	v_fmac_f32_e32 v141, v142, v141
	s_delay_alu instid0(VALU_DEP_1) | instskip(NEXT) | instid1(VALU_DEP_1)
	v_mul_f32_e32 v142, v143, v141
	v_fma_f32 v144, -v134, v142, v143
	s_delay_alu instid0(VALU_DEP_1) | instskip(NEXT) | instid1(VALU_DEP_1)
	v_fmac_f32_e32 v142, v144, v141
	v_fma_f32 v134, -v134, v142, v143
	s_delay_alu instid0(VALU_DEP_1) | instskip(NEXT) | instid1(VALU_DEP_1)
	v_div_fmas_f32 v134, v134, v141, v142
	v_div_fixup_f32 v135, v134, v135, 1.0
	s_delay_alu instid0(VALU_DEP_1)
	v_mul_f32_e32 v134, v133, v135
	v_xor_b32_e32 v135, 0x80000000, v135
.LBB124_847:
	s_and_not1_saveexec_b32 s1, s1
	s_cbranch_execz .LBB124_849
; %bb.848:
	s_delay_alu instid0(VALU_DEP_1) | instskip(SKIP_1) | instid1(VALU_DEP_2)
	v_div_scale_f32 v133, null, v134, v134, v135
	v_div_scale_f32 v143, vcc_lo, v135, v134, v135
	v_rcp_f32_e32 v141, v133
	v_nop
	s_delay_alu instid0(TRANS32_DEP_1) | instskip(NEXT) | instid1(VALU_DEP_1)
	v_fma_f32 v142, -v133, v141, 1.0
	v_fmac_f32_e32 v141, v142, v141
	s_delay_alu instid0(VALU_DEP_1) | instskip(NEXT) | instid1(VALU_DEP_1)
	v_mul_f32_e32 v142, v143, v141
	v_fma_f32 v144, -v133, v142, v143
	s_delay_alu instid0(VALU_DEP_1) | instskip(NEXT) | instid1(VALU_DEP_1)
	v_fmac_f32_e32 v142, v144, v141
	v_fma_f32 v133, -v133, v142, v143
	s_delay_alu instid0(VALU_DEP_1) | instskip(NEXT) | instid1(VALU_DEP_1)
	v_div_fmas_f32 v133, v133, v141, v142
	v_div_fixup_f32 v133, v133, v134, v135
	s_delay_alu instid0(VALU_DEP_1) | instskip(NEXT) | instid1(VALU_DEP_1)
	v_fmac_f32_e32 v134, v135, v133
	v_div_scale_f32 v135, null, v134, v134, 1.0
	s_delay_alu instid0(VALU_DEP_1) | instskip(SKIP_1) | instid1(TRANS32_DEP_1)
	v_rcp_f32_e32 v141, v135
	v_nop
	v_fma_f32 v142, -v135, v141, 1.0
	s_delay_alu instid0(VALU_DEP_1) | instskip(SKIP_1) | instid1(VALU_DEP_1)
	v_fmac_f32_e32 v141, v142, v141
	v_div_scale_f32 v142, vcc_lo, 1.0, v134, 1.0
	v_mul_f32_e32 v143, v142, v141
	s_delay_alu instid0(VALU_DEP_1) | instskip(NEXT) | instid1(VALU_DEP_1)
	v_fma_f32 v144, -v135, v143, v142
	v_fmac_f32_e32 v143, v144, v141
	s_delay_alu instid0(VALU_DEP_1) | instskip(NEXT) | instid1(VALU_DEP_1)
	v_fma_f32 v135, -v135, v143, v142
	v_div_fmas_f32 v135, v135, v141, v143
	s_delay_alu instid0(VALU_DEP_1) | instskip(NEXT) | instid1(VALU_DEP_1)
	v_div_fixup_f32 v134, v135, v134, 1.0
	v_mul_f32_e64 v135, v133, -v134
.LBB124_849:
	s_or_b32 exec_lo, exec_lo, s1
.LBB124_850:
	s_delay_alu instid0(SALU_CYCLE_1) | instskip(NEXT) | instid1(SALU_CYCLE_1)
	s_or_b32 exec_lo, exec_lo, s0
	s_mov_b32 s0, exec_lo
	v_cmpx_ne_u32_e64 v140, v132
	s_xor_b32 s0, exec_lo, s0
	s_cbranch_execz .LBB124_856
; %bb.851:
	s_mov_b32 s1, exec_lo
	v_cmpx_eq_u32_e32 40, v140
	s_cbranch_execz .LBB124_855
; %bb.852:
	v_cmp_ne_u32_e32 vcc_lo, 40, v132
	s_xor_b32 s12, s16, -1
	s_delay_alu instid0(SALU_CYCLE_1) | instskip(NEXT) | instid1(SALU_CYCLE_1)
	s_and_b32 s13, s12, vcc_lo
	s_and_saveexec_b32 s12, s13
	s_cbranch_execz .LBB124_854
; %bb.853:
	v_ashrrev_i32_e32 v133, 31, v132
	s_delay_alu instid0(VALU_DEP_1)
	v_lshl_add_u64 v[140:141], v[132:133], 2, v[4:5]
	s_clause 0x1
	global_load_b32 v133, v[140:141], off
	global_load_b32 v139, v[4:5], off offset:160
	s_wait_loadcnt 0x1
	global_store_b32 v[4:5], v133, off offset:160
	s_wait_loadcnt 0x0
	global_store_b32 v[140:141], v139, off
.LBB124_854:
	s_wait_xcnt 0x0
	s_or_b32 exec_lo, exec_lo, s12
	v_dual_mov_b32 v140, v132 :: v_dual_mov_b32 v139, v132
.LBB124_855:
	s_or_b32 exec_lo, exec_lo, s1
.LBB124_856:
	s_and_not1_saveexec_b32 s0, s0
	s_cbranch_execz .LBB124_858
; %bb.857:
	v_mov_b32_e32 v140, 40
	ds_store_2addr_b64 v136, v[82:83], v[24:25] offset0:41 offset1:42
	ds_store_2addr_b64 v136, v[22:23], v[80:81] offset0:43 offset1:44
	;; [unrolled: 1-line block ×11, first 2 shown]
.LBB124_858:
	s_or_b32 exec_lo, exec_lo, s0
	s_delay_alu instid0(SALU_CYCLE_1)
	s_mov_b32 s0, exec_lo
	s_wait_storecnt_dscnt 0x0
	s_barrier_signal -1
	s_barrier_wait -1
	v_cmpx_lt_i32_e32 40, v140
	s_cbranch_execz .LBB124_860
; %bb.859:
	v_pk_mul_f32 v[142:143], v[134:135], v[84:85] op_sel:[1,1] op_sel_hi:[0,1]
	s_delay_alu instid0(VALU_DEP_1)
	v_pk_fma_f32 v[132:133], v[134:135], v[84:85], v[142:143] op_sel_hi:[1,0,1] neg_lo:[0,0,1] neg_hi:[0,0,1]
	v_pk_fma_f32 v[134:135], v[134:135], v[84:85], v[142:143] op_sel_hi:[1,0,1]
	ds_load_2addr_b64 v[142:145], v136 offset0:41 offset1:42
	v_dual_mov_b32 v84, v132 :: v_dual_mov_b32 v85, v135
	s_wait_dscnt 0x0
	v_pk_mul_f32 v[146:147], v[142:143], v[134:135] op_sel:[0,1]
	s_delay_alu instid0(VALU_DEP_1) | instskip(SKIP_1) | instid1(VALU_DEP_1)
	v_pk_fma_f32 v[148:149], v[142:143], v[132:133], v[146:147] op_sel:[0,0,1] op_sel_hi:[1,1,0] neg_lo:[0,0,1] neg_hi:[0,0,1]
	v_pk_fma_f32 v[142:143], v[142:143], v[132:133], v[146:147] op_sel:[0,0,1] op_sel_hi:[1,0,0]
	v_mov_b32_e32 v149, v143
	v_pk_mul_f32 v[142:143], v[144:145], v[134:135] op_sel:[0,1]
	s_delay_alu instid0(VALU_DEP_1) | instskip(SKIP_1) | instid1(VALU_DEP_1)
	v_pk_fma_f32 v[146:147], v[144:145], v[132:133], v[142:143] op_sel:[0,0,1] op_sel_hi:[1,1,0] neg_lo:[0,0,1] neg_hi:[0,0,1]
	v_pk_fma_f32 v[142:143], v[144:145], v[132:133], v[142:143] op_sel:[0,0,1] op_sel_hi:[1,0,0]
	v_mov_b32_e32 v147, v143
	ds_load_2addr_b64 v[142:145], v136 offset0:43 offset1:44
	v_pk_add_f32 v[82:83], v[82:83], v[148:149] neg_lo:[0,1] neg_hi:[0,1]
	v_pk_add_f32 v[24:25], v[24:25], v[146:147] neg_lo:[0,1] neg_hi:[0,1]
	s_wait_dscnt 0x0
	v_pk_mul_f32 v[146:147], v[142:143], v[134:135] op_sel:[0,1]
	s_delay_alu instid0(VALU_DEP_1) | instskip(SKIP_2) | instid1(VALU_DEP_2)
	v_pk_fma_f32 v[148:149], v[142:143], v[132:133], v[146:147] op_sel:[0,0,1] op_sel_hi:[1,1,0] neg_lo:[0,0,1] neg_hi:[0,0,1]
	v_pk_fma_f32 v[142:143], v[142:143], v[132:133], v[146:147] op_sel:[0,0,1] op_sel_hi:[1,0,0]
	v_dual_mul_f32 v146, v145, v135 :: v_dual_mov_b32 v142, v145
	v_dual_mov_b32 v149, v143 :: v_dual_mov_b32 v143, v144
	s_delay_alu instid0(VALU_DEP_2) | instskip(SKIP_1) | instid1(VALU_DEP_3)
	v_pk_fma_f32 v[146:147], v[144:145], v[84:85], v[146:147] op_sel_hi:[1,1,0] neg_lo:[0,0,1] neg_hi:[0,0,1]
	v_mul_f32_e32 v144, v145, v132
	v_pk_add_f32 v[22:23], v[22:23], v[148:149] neg_lo:[0,1] neg_hi:[0,1]
	s_delay_alu instid0(VALU_DEP_2) | instskip(NEXT) | instid1(VALU_DEP_1)
	v_pk_fma_f32 v[142:143], v[142:143], v[84:85], v[144:145] op_sel_hi:[1,1,0]
	v_mov_b32_e32 v147, v143
	ds_load_2addr_b64 v[142:145], v136 offset0:45 offset1:46
	v_pk_add_f32 v[80:81], v[80:81], v[146:147] neg_lo:[0,1] neg_hi:[0,1]
	s_wait_dscnt 0x0
	v_pk_mul_f32 v[146:147], v[142:143], v[134:135] op_sel:[0,1]
	s_delay_alu instid0(VALU_DEP_1) | instskip(SKIP_1) | instid1(VALU_DEP_1)
	v_pk_fma_f32 v[148:149], v[142:143], v[132:133], v[146:147] op_sel:[0,0,1] op_sel_hi:[1,1,0] neg_lo:[0,0,1] neg_hi:[0,0,1]
	v_pk_fma_f32 v[142:143], v[142:143], v[132:133], v[146:147] op_sel:[0,0,1] op_sel_hi:[1,0,0]
	v_mov_b32_e32 v149, v143
	v_pk_mul_f32 v[142:143], v[144:145], v[134:135] op_sel:[0,1]
	s_delay_alu instid0(VALU_DEP_1) | instskip(SKIP_1) | instid1(VALU_DEP_1)
	v_pk_fma_f32 v[146:147], v[144:145], v[132:133], v[142:143] op_sel:[0,0,1] op_sel_hi:[1,1,0] neg_lo:[0,0,1] neg_hi:[0,0,1]
	v_pk_fma_f32 v[142:143], v[144:145], v[132:133], v[142:143] op_sel:[0,0,1] op_sel_hi:[1,0,0]
	v_mov_b32_e32 v147, v143
	ds_load_2addr_b64 v[142:145], v136 offset0:47 offset1:48
	v_pk_add_f32 v[78:79], v[78:79], v[148:149] neg_lo:[0,1] neg_hi:[0,1]
	v_pk_add_f32 v[20:21], v[20:21], v[146:147] neg_lo:[0,1] neg_hi:[0,1]
	s_wait_dscnt 0x0
	v_pk_mul_f32 v[146:147], v[142:143], v[134:135] op_sel:[0,1]
	s_delay_alu instid0(VALU_DEP_1) | instskip(SKIP_1) | instid1(VALU_DEP_1)
	v_pk_fma_f32 v[148:149], v[142:143], v[132:133], v[146:147] op_sel:[0,0,1] op_sel_hi:[1,1,0] neg_lo:[0,0,1] neg_hi:[0,0,1]
	v_pk_fma_f32 v[142:143], v[142:143], v[132:133], v[146:147] op_sel:[0,0,1] op_sel_hi:[1,0,0]
	v_mov_b32_e32 v149, v143
	v_pk_mul_f32 v[142:143], v[144:145], v[134:135] op_sel:[0,1]
	s_delay_alu instid0(VALU_DEP_1) | instskip(SKIP_1) | instid1(VALU_DEP_1)
	v_pk_fma_f32 v[146:147], v[144:145], v[132:133], v[142:143] op_sel:[0,0,1] op_sel_hi:[1,1,0] neg_lo:[0,0,1] neg_hi:[0,0,1]
	v_pk_fma_f32 v[142:143], v[144:145], v[132:133], v[142:143] op_sel:[0,0,1] op_sel_hi:[1,0,0]
	v_mov_b32_e32 v147, v143
	ds_load_2addr_b64 v[142:145], v136 offset0:49 offset1:50
	v_pk_add_f32 v[18:19], v[18:19], v[148:149] neg_lo:[0,1] neg_hi:[0,1]
	v_pk_add_f32 v[76:77], v[76:77], v[146:147] neg_lo:[0,1] neg_hi:[0,1]
	s_wait_dscnt 0x0
	v_dual_mul_f32 v146, v143, v135 :: v_dual_mul_f32 v148, v143, v132
	s_delay_alu instid0(VALU_DEP_1) | instskip(NEXT) | instid1(VALU_DEP_2)
	v_pk_fma_f32 v[146:147], v[142:143], v[84:85], v[146:147] op_sel_hi:[1,1,0] neg_lo:[0,0,1] neg_hi:[0,0,1]
	v_pk_fma_f32 v[142:143], v[142:143], v[84:85], v[148:149] op_sel:[1,0,0] op_sel_hi:[0,1,0]
	s_delay_alu instid0(VALU_DEP_1) | instskip(SKIP_1) | instid1(VALU_DEP_2)
	v_mov_b32_e32 v147, v143
	v_pk_mul_f32 v[142:143], v[144:145], v[134:135] op_sel:[0,1]
	v_pk_add_f32 v[74:75], v[74:75], v[146:147] neg_lo:[0,1] neg_hi:[0,1]
	s_delay_alu instid0(VALU_DEP_2) | instskip(SKIP_1) | instid1(VALU_DEP_1)
	v_pk_fma_f32 v[146:147], v[144:145], v[132:133], v[142:143] op_sel:[0,0,1] op_sel_hi:[1,1,0] neg_lo:[0,0,1] neg_hi:[0,0,1]
	v_pk_fma_f32 v[142:143], v[144:145], v[132:133], v[142:143] op_sel:[0,0,1] op_sel_hi:[1,0,0]
	v_mov_b32_e32 v147, v143
	ds_load_2addr_b64 v[142:145], v136 offset0:51 offset1:52
	v_pk_add_f32 v[16:17], v[16:17], v[146:147] neg_lo:[0,1] neg_hi:[0,1]
	s_wait_dscnt 0x0
	v_pk_mul_f32 v[146:147], v[142:143], v[134:135] op_sel:[0,1]
	s_delay_alu instid0(VALU_DEP_1) | instskip(SKIP_1) | instid1(VALU_DEP_1)
	v_pk_fma_f32 v[148:149], v[142:143], v[132:133], v[146:147] op_sel:[0,0,1] op_sel_hi:[1,1,0] neg_lo:[0,0,1] neg_hi:[0,0,1]
	v_pk_fma_f32 v[142:143], v[142:143], v[132:133], v[146:147] op_sel:[0,0,1] op_sel_hi:[1,0,0]
	v_mov_b32_e32 v149, v143
	v_pk_mul_f32 v[142:143], v[144:145], v[134:135] op_sel:[0,1]
	s_delay_alu instid0(VALU_DEP_2) | instskip(NEXT) | instid1(VALU_DEP_2)
	v_pk_add_f32 v[28:29], v[28:29], v[148:149] neg_lo:[0,1] neg_hi:[0,1]
	v_pk_fma_f32 v[146:147], v[144:145], v[132:133], v[142:143] op_sel:[0,0,1] op_sel_hi:[1,1,0] neg_lo:[0,0,1] neg_hi:[0,0,1]
	v_pk_fma_f32 v[142:143], v[144:145], v[132:133], v[142:143] op_sel:[0,0,1] op_sel_hi:[1,0,0]
	s_delay_alu instid0(VALU_DEP_1) | instskip(SKIP_4) | instid1(VALU_DEP_1)
	v_mov_b32_e32 v147, v143
	ds_load_2addr_b64 v[142:145], v136 offset0:53 offset1:54
	v_pk_add_f32 v[68:69], v[68:69], v[146:147] neg_lo:[0,1] neg_hi:[0,1]
	s_wait_dscnt 0x0
	v_pk_mul_f32 v[146:147], v[142:143], v[134:135] op_sel:[0,1]
	v_pk_fma_f32 v[148:149], v[142:143], v[132:133], v[146:147] op_sel:[0,0,1] op_sel_hi:[1,1,0] neg_lo:[0,0,1] neg_hi:[0,0,1]
	v_pk_fma_f32 v[142:143], v[142:143], v[132:133], v[146:147] op_sel:[0,0,1] op_sel_hi:[1,0,0]
	v_dual_mul_f32 v146, v145, v135 :: v_dual_mov_b32 v142, v145
	s_delay_alu instid0(VALU_DEP_2) | instskip(NEXT) | instid1(VALU_DEP_2)
	v_dual_mov_b32 v149, v143 :: v_dual_mov_b32 v143, v144
	v_pk_fma_f32 v[146:147], v[144:145], v[84:85], v[146:147] op_sel_hi:[1,1,0] neg_lo:[0,0,1] neg_hi:[0,0,1]
	v_mul_f32_e32 v144, v145, v132
	s_delay_alu instid0(VALU_DEP_3) | instskip(NEXT) | instid1(VALU_DEP_2)
	v_pk_add_f32 v[66:67], v[66:67], v[148:149] neg_lo:[0,1] neg_hi:[0,1]
	v_pk_fma_f32 v[142:143], v[142:143], v[84:85], v[144:145] op_sel_hi:[1,1,0]
	s_delay_alu instid0(VALU_DEP_1) | instskip(SKIP_4) | instid1(VALU_DEP_1)
	v_mov_b32_e32 v147, v143
	ds_load_2addr_b64 v[142:145], v136 offset0:55 offset1:56
	v_pk_add_f32 v[10:11], v[10:11], v[146:147] neg_lo:[0,1] neg_hi:[0,1]
	s_wait_dscnt 0x0
	v_pk_mul_f32 v[146:147], v[142:143], v[134:135] op_sel:[0,1]
	v_pk_fma_f32 v[148:149], v[142:143], v[132:133], v[146:147] op_sel:[0,0,1] op_sel_hi:[1,1,0] neg_lo:[0,0,1] neg_hi:[0,0,1]
	v_pk_fma_f32 v[142:143], v[142:143], v[132:133], v[146:147] op_sel:[0,0,1] op_sel_hi:[1,0,0]
	s_delay_alu instid0(VALU_DEP_1) | instskip(SKIP_1) | instid1(VALU_DEP_1)
	v_mov_b32_e32 v149, v143
	v_pk_mul_f32 v[142:143], v[144:145], v[134:135] op_sel:[0,1]
	v_pk_fma_f32 v[146:147], v[144:145], v[132:133], v[142:143] op_sel:[0,0,1] op_sel_hi:[1,1,0] neg_lo:[0,0,1] neg_hi:[0,0,1]
	v_pk_fma_f32 v[142:143], v[144:145], v[132:133], v[142:143] op_sel:[0,0,1] op_sel_hi:[1,0,0]
	s_delay_alu instid0(VALU_DEP_1)
	v_mov_b32_e32 v147, v143
	ds_load_2addr_b64 v[142:145], v136 offset0:57 offset1:58
	v_pk_add_f32 v[8:9], v[8:9], v[148:149] neg_lo:[0,1] neg_hi:[0,1]
	v_pk_add_f32 v[34:35], v[34:35], v[146:147] neg_lo:[0,1] neg_hi:[0,1]
	s_wait_dscnt 0x0
	v_pk_mul_f32 v[146:147], v[142:143], v[134:135] op_sel:[0,1]
	s_delay_alu instid0(VALU_DEP_1) | instskip(SKIP_1) | instid1(VALU_DEP_1)
	v_pk_fma_f32 v[148:149], v[142:143], v[132:133], v[146:147] op_sel:[0,0,1] op_sel_hi:[1,1,0] neg_lo:[0,0,1] neg_hi:[0,0,1]
	v_pk_fma_f32 v[142:143], v[142:143], v[132:133], v[146:147] op_sel:[0,0,1] op_sel_hi:[1,0,0]
	v_mov_b32_e32 v149, v143
	v_pk_mul_f32 v[142:143], v[144:145], v[134:135] op_sel:[0,1]
	s_delay_alu instid0(VALU_DEP_1) | instskip(SKIP_1) | instid1(VALU_DEP_1)
	v_pk_fma_f32 v[146:147], v[144:145], v[132:133], v[142:143] op_sel:[0,0,1] op_sel_hi:[1,1,0] neg_lo:[0,0,1] neg_hi:[0,0,1]
	v_pk_fma_f32 v[142:143], v[144:145], v[132:133], v[142:143] op_sel:[0,0,1] op_sel_hi:[1,0,0]
	v_mov_b32_e32 v147, v143
	ds_load_2addr_b64 v[142:145], v136 offset0:59 offset1:60
	v_pk_add_f32 v[30:31], v[30:31], v[148:149] neg_lo:[0,1] neg_hi:[0,1]
	v_pk_add_f32 v[6:7], v[6:7], v[146:147] neg_lo:[0,1] neg_hi:[0,1]
	s_wait_dscnt 0x0
	v_dual_mul_f32 v146, v143, v135 :: v_dual_mul_f32 v148, v143, v132
	s_delay_alu instid0(VALU_DEP_1) | instskip(NEXT) | instid1(VALU_DEP_2)
	v_pk_fma_f32 v[146:147], v[142:143], v[84:85], v[146:147] op_sel_hi:[1,1,0] neg_lo:[0,0,1] neg_hi:[0,0,1]
	v_pk_fma_f32 v[142:143], v[142:143], v[84:85], v[148:149] op_sel:[1,0,0] op_sel_hi:[0,1,0]
	s_delay_alu instid0(VALU_DEP_1) | instskip(SKIP_1) | instid1(VALU_DEP_2)
	v_mov_b32_e32 v147, v143
	v_pk_mul_f32 v[142:143], v[144:145], v[134:135] op_sel:[0,1]
	v_pk_add_f32 v[26:27], v[26:27], v[146:147] neg_lo:[0,1] neg_hi:[0,1]
	s_delay_alu instid0(VALU_DEP_2) | instskip(SKIP_1) | instid1(VALU_DEP_1)
	v_pk_fma_f32 v[146:147], v[144:145], v[132:133], v[142:143] op_sel:[0,0,1] op_sel_hi:[1,1,0] neg_lo:[0,0,1] neg_hi:[0,0,1]
	v_pk_fma_f32 v[142:143], v[144:145], v[132:133], v[142:143] op_sel:[0,0,1] op_sel_hi:[1,0,0]
	v_mov_b32_e32 v147, v143
	ds_load_2addr_b64 v[142:145], v136 offset0:61 offset1:62
	v_pk_add_f32 v[14:15], v[14:15], v[146:147] neg_lo:[0,1] neg_hi:[0,1]
	s_wait_dscnt 0x0
	v_pk_mul_f32 v[146:147], v[142:143], v[134:135] op_sel:[0,1]
	v_pk_mul_f32 v[134:135], v[144:145], v[134:135] op_sel:[0,1]
	s_delay_alu instid0(VALU_DEP_2) | instskip(SKIP_1) | instid1(VALU_DEP_1)
	v_pk_fma_f32 v[148:149], v[142:143], v[132:133], v[146:147] op_sel:[0,0,1] op_sel_hi:[1,1,0] neg_lo:[0,0,1] neg_hi:[0,0,1]
	v_pk_fma_f32 v[142:143], v[142:143], v[132:133], v[146:147] op_sel:[0,0,1] op_sel_hi:[1,0,0]
	v_mov_b32_e32 v149, v143
	s_delay_alu instid0(VALU_DEP_4) | instskip(SKIP_1) | instid1(VALU_DEP_3)
	v_pk_fma_f32 v[142:143], v[144:145], v[132:133], v[134:135] op_sel:[0,0,1] op_sel_hi:[1,1,0] neg_lo:[0,0,1] neg_hi:[0,0,1]
	v_pk_fma_f32 v[132:133], v[144:145], v[132:133], v[134:135] op_sel:[0,0,1] op_sel_hi:[1,0,0]
	v_pk_add_f32 v[12:13], v[12:13], v[148:149] neg_lo:[0,1] neg_hi:[0,1]
	s_delay_alu instid0(VALU_DEP_2) | instskip(NEXT) | instid1(VALU_DEP_1)
	v_mov_b32_e32 v143, v133
	v_pk_add_f32 v[130:131], v[130:131], v[142:143] neg_lo:[0,1] neg_hi:[0,1]
.LBB124_860:
	s_or_b32 exec_lo, exec_lo, s0
	v_lshl_add_u32 v132, v140, 3, v136
	s_barrier_signal -1
	s_barrier_wait -1
	ds_store_b64 v132, v[82:83]
	s_wait_dscnt 0x0
	s_barrier_signal -1
	s_barrier_wait -1
	ds_load_b64 v[134:135], v136 offset:328
	v_mov_b32_e32 v132, 41
	s_cmp_lt_i32 s18, 43
	s_cbranch_scc1 .LBB124_863
; %bb.861:
	v_add3_u32 v133, v137, 0, 0x150
	v_mov_b32_e32 v132, 41
	s_mov_b32 s0, 42
.LBB124_862:                            ; =>This Inner Loop Header: Depth=1
	ds_load_b64 v[142:143], v133
	s_wait_dscnt 0x1
	v_cmp_gt_f32_e32 vcc_lo, 0, v134
	v_cndmask_b32_e64 v144, v134, -v134, vcc_lo
	v_cmp_gt_f32_e32 vcc_lo, 0, v135
	v_cndmask_b32_e64 v146, v135, -v135, vcc_lo
	s_wait_dscnt 0x0
	v_cmp_gt_f32_e32 vcc_lo, 0, v142
	v_cndmask_b32_e64 v145, v142, -v142, vcc_lo
	v_cmp_gt_f32_e32 vcc_lo, 0, v143
	v_cndmask_b32_e64 v147, v143, -v143, vcc_lo
	s_delay_alu instid0(VALU_DEP_1) | instskip(NEXT) | instid1(VALU_DEP_1)
	v_pk_add_f32 v[144:145], v[144:145], v[146:147]
	v_cmp_lt_f32_e32 vcc_lo, v144, v145
	v_dual_add_nc_u32 v133, 8, v133 :: v_dual_cndmask_b32 v135, v135, v143, vcc_lo
	v_cndmask_b32_e32 v134, v134, v142, vcc_lo
	v_cndmask_b32_e64 v132, v132, s0, vcc_lo
	s_add_co_i32 s0, s0, 1
	s_delay_alu instid0(SALU_CYCLE_1)
	s_cmp_lg_u32 s18, s0
	s_cbranch_scc1 .LBB124_862
.LBB124_863:
	s_wait_dscnt 0x0
	v_cmp_eq_f32_e32 vcc_lo, 0, v134
	v_cmp_eq_f32_e64 s0, 0, v135
	s_and_b32 s0, vcc_lo, s0
	s_delay_alu instid0(SALU_CYCLE_1) | instskip(NEXT) | instid1(SALU_CYCLE_1)
	s_and_saveexec_b32 s1, s0
	s_xor_b32 s0, exec_lo, s1
; %bb.864:
	v_cmp_ne_u32_e32 vcc_lo, 0, v138
	v_cndmask_b32_e32 v138, 42, v138, vcc_lo
; %bb.865:
	s_and_not1_saveexec_b32 s0, s0
	s_cbranch_execz .LBB124_871
; %bb.866:
	v_cmp_ngt_f32_e64 s1, |v134|, |v135|
	s_and_saveexec_b32 s12, s1
	s_delay_alu instid0(SALU_CYCLE_1)
	s_xor_b32 s1, exec_lo, s12
	s_cbranch_execz .LBB124_868
; %bb.867:
	v_div_scale_f32 v133, null, v135, v135, v134
	v_div_scale_f32 v143, vcc_lo, v134, v135, v134
	s_delay_alu instid0(VALU_DEP_2) | instskip(SKIP_1) | instid1(TRANS32_DEP_1)
	v_rcp_f32_e32 v141, v133
	v_nop
	v_fma_f32 v142, -v133, v141, 1.0
	s_delay_alu instid0(VALU_DEP_1) | instskip(NEXT) | instid1(VALU_DEP_1)
	v_fmac_f32_e32 v141, v142, v141
	v_mul_f32_e32 v142, v143, v141
	s_delay_alu instid0(VALU_DEP_1) | instskip(NEXT) | instid1(VALU_DEP_1)
	v_fma_f32 v144, -v133, v142, v143
	v_fmac_f32_e32 v142, v144, v141
	s_delay_alu instid0(VALU_DEP_1) | instskip(NEXT) | instid1(VALU_DEP_1)
	v_fma_f32 v133, -v133, v142, v143
	v_div_fmas_f32 v133, v133, v141, v142
	s_delay_alu instid0(VALU_DEP_1) | instskip(NEXT) | instid1(VALU_DEP_1)
	v_div_fixup_f32 v133, v133, v135, v134
	v_fmac_f32_e32 v135, v134, v133
	s_delay_alu instid0(VALU_DEP_1) | instskip(SKIP_1) | instid1(VALU_DEP_2)
	v_div_scale_f32 v134, null, v135, v135, 1.0
	v_div_scale_f32 v143, vcc_lo, 1.0, v135, 1.0
	v_rcp_f32_e32 v141, v134
	v_nop
	s_delay_alu instid0(TRANS32_DEP_1) | instskip(NEXT) | instid1(VALU_DEP_1)
	v_fma_f32 v142, -v134, v141, 1.0
	v_fmac_f32_e32 v141, v142, v141
	s_delay_alu instid0(VALU_DEP_1) | instskip(NEXT) | instid1(VALU_DEP_1)
	v_mul_f32_e32 v142, v143, v141
	v_fma_f32 v144, -v134, v142, v143
	s_delay_alu instid0(VALU_DEP_1) | instskip(NEXT) | instid1(VALU_DEP_1)
	v_fmac_f32_e32 v142, v144, v141
	v_fma_f32 v134, -v134, v142, v143
	s_delay_alu instid0(VALU_DEP_1) | instskip(NEXT) | instid1(VALU_DEP_1)
	v_div_fmas_f32 v134, v134, v141, v142
	v_div_fixup_f32 v135, v134, v135, 1.0
	s_delay_alu instid0(VALU_DEP_1)
	v_mul_f32_e32 v134, v133, v135
	v_xor_b32_e32 v135, 0x80000000, v135
.LBB124_868:
	s_and_not1_saveexec_b32 s1, s1
	s_cbranch_execz .LBB124_870
; %bb.869:
	s_delay_alu instid0(VALU_DEP_1) | instskip(SKIP_1) | instid1(VALU_DEP_2)
	v_div_scale_f32 v133, null, v134, v134, v135
	v_div_scale_f32 v143, vcc_lo, v135, v134, v135
	v_rcp_f32_e32 v141, v133
	v_nop
	s_delay_alu instid0(TRANS32_DEP_1) | instskip(NEXT) | instid1(VALU_DEP_1)
	v_fma_f32 v142, -v133, v141, 1.0
	v_fmac_f32_e32 v141, v142, v141
	s_delay_alu instid0(VALU_DEP_1) | instskip(NEXT) | instid1(VALU_DEP_1)
	v_mul_f32_e32 v142, v143, v141
	v_fma_f32 v144, -v133, v142, v143
	s_delay_alu instid0(VALU_DEP_1) | instskip(NEXT) | instid1(VALU_DEP_1)
	v_fmac_f32_e32 v142, v144, v141
	v_fma_f32 v133, -v133, v142, v143
	s_delay_alu instid0(VALU_DEP_1) | instskip(NEXT) | instid1(VALU_DEP_1)
	v_div_fmas_f32 v133, v133, v141, v142
	v_div_fixup_f32 v133, v133, v134, v135
	s_delay_alu instid0(VALU_DEP_1) | instskip(NEXT) | instid1(VALU_DEP_1)
	v_fmac_f32_e32 v134, v135, v133
	v_div_scale_f32 v135, null, v134, v134, 1.0
	s_delay_alu instid0(VALU_DEP_1) | instskip(SKIP_1) | instid1(TRANS32_DEP_1)
	v_rcp_f32_e32 v141, v135
	v_nop
	v_fma_f32 v142, -v135, v141, 1.0
	s_delay_alu instid0(VALU_DEP_1) | instskip(SKIP_1) | instid1(VALU_DEP_1)
	v_fmac_f32_e32 v141, v142, v141
	v_div_scale_f32 v142, vcc_lo, 1.0, v134, 1.0
	v_mul_f32_e32 v143, v142, v141
	s_delay_alu instid0(VALU_DEP_1) | instskip(NEXT) | instid1(VALU_DEP_1)
	v_fma_f32 v144, -v135, v143, v142
	v_fmac_f32_e32 v143, v144, v141
	s_delay_alu instid0(VALU_DEP_1) | instskip(NEXT) | instid1(VALU_DEP_1)
	v_fma_f32 v135, -v135, v143, v142
	v_div_fmas_f32 v135, v135, v141, v143
	s_delay_alu instid0(VALU_DEP_1) | instskip(NEXT) | instid1(VALU_DEP_1)
	v_div_fixup_f32 v134, v135, v134, 1.0
	v_mul_f32_e64 v135, v133, -v134
.LBB124_870:
	s_or_b32 exec_lo, exec_lo, s1
.LBB124_871:
	s_delay_alu instid0(SALU_CYCLE_1) | instskip(NEXT) | instid1(SALU_CYCLE_1)
	s_or_b32 exec_lo, exec_lo, s0
	s_mov_b32 s0, exec_lo
	v_cmpx_ne_u32_e64 v140, v132
	s_xor_b32 s0, exec_lo, s0
	s_cbranch_execz .LBB124_877
; %bb.872:
	s_mov_b32 s1, exec_lo
	v_cmpx_eq_u32_e32 41, v140
	s_cbranch_execz .LBB124_876
; %bb.873:
	v_cmp_ne_u32_e32 vcc_lo, 41, v132
	s_xor_b32 s12, s16, -1
	s_delay_alu instid0(SALU_CYCLE_1) | instskip(NEXT) | instid1(SALU_CYCLE_1)
	s_and_b32 s13, s12, vcc_lo
	s_and_saveexec_b32 s12, s13
	s_cbranch_execz .LBB124_875
; %bb.874:
	v_ashrrev_i32_e32 v133, 31, v132
	s_delay_alu instid0(VALU_DEP_1)
	v_lshl_add_u64 v[140:141], v[132:133], 2, v[4:5]
	s_clause 0x1
	global_load_b32 v133, v[140:141], off
	global_load_b32 v139, v[4:5], off offset:164
	s_wait_loadcnt 0x1
	global_store_b32 v[4:5], v133, off offset:164
	s_wait_loadcnt 0x0
	global_store_b32 v[140:141], v139, off
.LBB124_875:
	s_wait_xcnt 0x0
	s_or_b32 exec_lo, exec_lo, s12
	v_dual_mov_b32 v140, v132 :: v_dual_mov_b32 v139, v132
.LBB124_876:
	s_or_b32 exec_lo, exec_lo, s1
.LBB124_877:
	s_and_not1_saveexec_b32 s0, s0
	s_cbranch_execz .LBB124_879
; %bb.878:
	v_dual_mov_b32 v132, v24 :: v_dual_mov_b32 v133, v25
	v_dual_mov_b32 v140, v22 :: v_dual_mov_b32 v141, v23
	ds_store_2addr_b64 v136, v[132:133], v[140:141] offset0:42 offset1:43
	v_dual_mov_b32 v132, v80 :: v_dual_mov_b32 v133, v81
	v_dual_mov_b32 v140, v78 :: v_dual_mov_b32 v141, v79
	ds_store_2addr_b64 v136, v[132:133], v[140:141] offset0:44 offset1:45
	;; [unrolled: 3-line block ×10, first 2 shown]
	ds_store_b64 v136, v[130:131] offset:496
	v_mov_b32_e32 v140, 41
.LBB124_879:
	s_or_b32 exec_lo, exec_lo, s0
	s_delay_alu instid0(SALU_CYCLE_1)
	s_mov_b32 s0, exec_lo
	s_wait_storecnt_dscnt 0x0
	s_barrier_signal -1
	s_barrier_wait -1
	v_cmpx_lt_i32_e32 41, v140
	s_cbranch_execz .LBB124_881
; %bb.880:
	v_pk_mul_f32 v[142:143], v[134:135], v[82:83] op_sel:[1,1] op_sel_hi:[0,1]
	s_delay_alu instid0(VALU_DEP_1)
	v_pk_fma_f32 v[132:133], v[134:135], v[82:83], v[142:143] op_sel_hi:[1,0,1] neg_lo:[0,0,1] neg_hi:[0,0,1]
	v_pk_fma_f32 v[134:135], v[134:135], v[82:83], v[142:143] op_sel_hi:[1,0,1]
	ds_load_2addr_b64 v[142:145], v136 offset0:42 offset1:43
	v_dual_mov_b32 v82, v132 :: v_dual_mov_b32 v83, v135
	s_wait_dscnt 0x0
	v_pk_mul_f32 v[146:147], v[142:143], v[134:135] op_sel:[0,1]
	s_delay_alu instid0(VALU_DEP_1) | instskip(SKIP_1) | instid1(VALU_DEP_1)
	v_pk_fma_f32 v[148:149], v[142:143], v[132:133], v[146:147] op_sel:[0,0,1] op_sel_hi:[1,1,0] neg_lo:[0,0,1] neg_hi:[0,0,1]
	v_pk_fma_f32 v[142:143], v[142:143], v[132:133], v[146:147] op_sel:[0,0,1] op_sel_hi:[1,0,0]
	v_mov_b32_e32 v149, v143
	v_pk_mul_f32 v[142:143], v[144:145], v[134:135] op_sel:[0,1]
	s_delay_alu instid0(VALU_DEP_1) | instskip(SKIP_1) | instid1(VALU_DEP_1)
	v_pk_fma_f32 v[146:147], v[144:145], v[132:133], v[142:143] op_sel:[0,0,1] op_sel_hi:[1,1,0] neg_lo:[0,0,1] neg_hi:[0,0,1]
	v_pk_fma_f32 v[142:143], v[144:145], v[132:133], v[142:143] op_sel:[0,0,1] op_sel_hi:[1,0,0]
	v_mov_b32_e32 v147, v143
	ds_load_2addr_b64 v[142:145], v136 offset0:44 offset1:45
	v_pk_add_f32 v[24:25], v[24:25], v[148:149] neg_lo:[0,1] neg_hi:[0,1]
	v_pk_add_f32 v[22:23], v[22:23], v[146:147] neg_lo:[0,1] neg_hi:[0,1]
	s_wait_dscnt 0x0
	v_pk_mul_f32 v[146:147], v[142:143], v[134:135] op_sel:[0,1]
	s_delay_alu instid0(VALU_DEP_1) | instskip(SKIP_2) | instid1(VALU_DEP_2)
	v_pk_fma_f32 v[148:149], v[142:143], v[132:133], v[146:147] op_sel:[0,0,1] op_sel_hi:[1,1,0] neg_lo:[0,0,1] neg_hi:[0,0,1]
	v_pk_fma_f32 v[142:143], v[142:143], v[132:133], v[146:147] op_sel:[0,0,1] op_sel_hi:[1,0,0]
	v_dual_mul_f32 v146, v145, v135 :: v_dual_mov_b32 v142, v145
	v_dual_mov_b32 v149, v143 :: v_dual_mov_b32 v143, v144
	s_delay_alu instid0(VALU_DEP_2) | instskip(SKIP_1) | instid1(VALU_DEP_3)
	v_pk_fma_f32 v[146:147], v[144:145], v[82:83], v[146:147] op_sel_hi:[1,1,0] neg_lo:[0,0,1] neg_hi:[0,0,1]
	v_mul_f32_e32 v144, v145, v132
	v_pk_add_f32 v[80:81], v[80:81], v[148:149] neg_lo:[0,1] neg_hi:[0,1]
	s_delay_alu instid0(VALU_DEP_2) | instskip(NEXT) | instid1(VALU_DEP_1)
	v_pk_fma_f32 v[142:143], v[142:143], v[82:83], v[144:145] op_sel_hi:[1,1,0]
	v_mov_b32_e32 v147, v143
	ds_load_2addr_b64 v[142:145], v136 offset0:46 offset1:47
	v_pk_add_f32 v[78:79], v[78:79], v[146:147] neg_lo:[0,1] neg_hi:[0,1]
	s_wait_dscnt 0x0
	v_pk_mul_f32 v[146:147], v[142:143], v[134:135] op_sel:[0,1]
	s_delay_alu instid0(VALU_DEP_1) | instskip(SKIP_1) | instid1(VALU_DEP_1)
	v_pk_fma_f32 v[148:149], v[142:143], v[132:133], v[146:147] op_sel:[0,0,1] op_sel_hi:[1,1,0] neg_lo:[0,0,1] neg_hi:[0,0,1]
	v_pk_fma_f32 v[142:143], v[142:143], v[132:133], v[146:147] op_sel:[0,0,1] op_sel_hi:[1,0,0]
	v_mov_b32_e32 v149, v143
	v_pk_mul_f32 v[142:143], v[144:145], v[134:135] op_sel:[0,1]
	s_delay_alu instid0(VALU_DEP_1) | instskip(SKIP_1) | instid1(VALU_DEP_1)
	v_pk_fma_f32 v[146:147], v[144:145], v[132:133], v[142:143] op_sel:[0,0,1] op_sel_hi:[1,1,0] neg_lo:[0,0,1] neg_hi:[0,0,1]
	v_pk_fma_f32 v[142:143], v[144:145], v[132:133], v[142:143] op_sel:[0,0,1] op_sel_hi:[1,0,0]
	v_mov_b32_e32 v147, v143
	ds_load_2addr_b64 v[142:145], v136 offset0:48 offset1:49
	v_pk_add_f32 v[20:21], v[20:21], v[148:149] neg_lo:[0,1] neg_hi:[0,1]
	v_pk_add_f32 v[18:19], v[18:19], v[146:147] neg_lo:[0,1] neg_hi:[0,1]
	s_wait_dscnt 0x0
	v_pk_mul_f32 v[146:147], v[142:143], v[134:135] op_sel:[0,1]
	s_delay_alu instid0(VALU_DEP_1) | instskip(SKIP_1) | instid1(VALU_DEP_1)
	v_pk_fma_f32 v[148:149], v[142:143], v[132:133], v[146:147] op_sel:[0,0,1] op_sel_hi:[1,1,0] neg_lo:[0,0,1] neg_hi:[0,0,1]
	v_pk_fma_f32 v[142:143], v[142:143], v[132:133], v[146:147] op_sel:[0,0,1] op_sel_hi:[1,0,0]
	v_mov_b32_e32 v149, v143
	v_pk_mul_f32 v[142:143], v[144:145], v[134:135] op_sel:[0,1]
	s_delay_alu instid0(VALU_DEP_1) | instskip(SKIP_1) | instid1(VALU_DEP_1)
	v_pk_fma_f32 v[146:147], v[144:145], v[132:133], v[142:143] op_sel:[0,0,1] op_sel_hi:[1,1,0] neg_lo:[0,0,1] neg_hi:[0,0,1]
	v_pk_fma_f32 v[142:143], v[144:145], v[132:133], v[142:143] op_sel:[0,0,1] op_sel_hi:[1,0,0]
	v_mov_b32_e32 v147, v143
	ds_load_2addr_b64 v[142:145], v136 offset0:50 offset1:51
	v_pk_add_f32 v[76:77], v[76:77], v[148:149] neg_lo:[0,1] neg_hi:[0,1]
	v_pk_add_f32 v[74:75], v[74:75], v[146:147] neg_lo:[0,1] neg_hi:[0,1]
	s_wait_dscnt 0x0
	v_dual_mul_f32 v146, v143, v135 :: v_dual_mul_f32 v148, v143, v132
	s_delay_alu instid0(VALU_DEP_1) | instskip(NEXT) | instid1(VALU_DEP_2)
	v_pk_fma_f32 v[146:147], v[142:143], v[82:83], v[146:147] op_sel_hi:[1,1,0] neg_lo:[0,0,1] neg_hi:[0,0,1]
	v_pk_fma_f32 v[142:143], v[142:143], v[82:83], v[148:149] op_sel:[1,0,0] op_sel_hi:[0,1,0]
	s_delay_alu instid0(VALU_DEP_1) | instskip(SKIP_1) | instid1(VALU_DEP_2)
	v_mov_b32_e32 v147, v143
	v_pk_mul_f32 v[142:143], v[144:145], v[134:135] op_sel:[0,1]
	v_pk_add_f32 v[16:17], v[16:17], v[146:147] neg_lo:[0,1] neg_hi:[0,1]
	s_delay_alu instid0(VALU_DEP_2) | instskip(SKIP_1) | instid1(VALU_DEP_1)
	v_pk_fma_f32 v[146:147], v[144:145], v[132:133], v[142:143] op_sel:[0,0,1] op_sel_hi:[1,1,0] neg_lo:[0,0,1] neg_hi:[0,0,1]
	v_pk_fma_f32 v[142:143], v[144:145], v[132:133], v[142:143] op_sel:[0,0,1] op_sel_hi:[1,0,0]
	v_mov_b32_e32 v147, v143
	ds_load_2addr_b64 v[142:145], v136 offset0:52 offset1:53
	v_pk_add_f32 v[28:29], v[28:29], v[146:147] neg_lo:[0,1] neg_hi:[0,1]
	s_wait_dscnt 0x0
	v_pk_mul_f32 v[146:147], v[142:143], v[134:135] op_sel:[0,1]
	s_delay_alu instid0(VALU_DEP_1) | instskip(SKIP_1) | instid1(VALU_DEP_1)
	v_pk_fma_f32 v[148:149], v[142:143], v[132:133], v[146:147] op_sel:[0,0,1] op_sel_hi:[1,1,0] neg_lo:[0,0,1] neg_hi:[0,0,1]
	v_pk_fma_f32 v[142:143], v[142:143], v[132:133], v[146:147] op_sel:[0,0,1] op_sel_hi:[1,0,0]
	v_mov_b32_e32 v149, v143
	v_pk_mul_f32 v[142:143], v[144:145], v[134:135] op_sel:[0,1]
	s_delay_alu instid0(VALU_DEP_2) | instskip(NEXT) | instid1(VALU_DEP_2)
	v_pk_add_f32 v[68:69], v[68:69], v[148:149] neg_lo:[0,1] neg_hi:[0,1]
	v_pk_fma_f32 v[146:147], v[144:145], v[132:133], v[142:143] op_sel:[0,0,1] op_sel_hi:[1,1,0] neg_lo:[0,0,1] neg_hi:[0,0,1]
	v_pk_fma_f32 v[142:143], v[144:145], v[132:133], v[142:143] op_sel:[0,0,1] op_sel_hi:[1,0,0]
	s_delay_alu instid0(VALU_DEP_1) | instskip(SKIP_4) | instid1(VALU_DEP_1)
	v_mov_b32_e32 v147, v143
	ds_load_2addr_b64 v[142:145], v136 offset0:54 offset1:55
	v_pk_add_f32 v[66:67], v[66:67], v[146:147] neg_lo:[0,1] neg_hi:[0,1]
	s_wait_dscnt 0x0
	v_pk_mul_f32 v[146:147], v[142:143], v[134:135] op_sel:[0,1]
	v_pk_fma_f32 v[148:149], v[142:143], v[132:133], v[146:147] op_sel:[0,0,1] op_sel_hi:[1,1,0] neg_lo:[0,0,1] neg_hi:[0,0,1]
	v_pk_fma_f32 v[142:143], v[142:143], v[132:133], v[146:147] op_sel:[0,0,1] op_sel_hi:[1,0,0]
	v_dual_mul_f32 v146, v145, v135 :: v_dual_mov_b32 v142, v145
	s_delay_alu instid0(VALU_DEP_2) | instskip(NEXT) | instid1(VALU_DEP_2)
	v_dual_mov_b32 v149, v143 :: v_dual_mov_b32 v143, v144
	v_pk_fma_f32 v[146:147], v[144:145], v[82:83], v[146:147] op_sel_hi:[1,1,0] neg_lo:[0,0,1] neg_hi:[0,0,1]
	v_mul_f32_e32 v144, v145, v132
	s_delay_alu instid0(VALU_DEP_3) | instskip(NEXT) | instid1(VALU_DEP_2)
	v_pk_add_f32 v[10:11], v[10:11], v[148:149] neg_lo:[0,1] neg_hi:[0,1]
	v_pk_fma_f32 v[142:143], v[142:143], v[82:83], v[144:145] op_sel_hi:[1,1,0]
	s_delay_alu instid0(VALU_DEP_1) | instskip(SKIP_4) | instid1(VALU_DEP_1)
	v_mov_b32_e32 v147, v143
	ds_load_2addr_b64 v[142:145], v136 offset0:56 offset1:57
	v_pk_add_f32 v[8:9], v[8:9], v[146:147] neg_lo:[0,1] neg_hi:[0,1]
	s_wait_dscnt 0x0
	v_pk_mul_f32 v[146:147], v[142:143], v[134:135] op_sel:[0,1]
	v_pk_fma_f32 v[148:149], v[142:143], v[132:133], v[146:147] op_sel:[0,0,1] op_sel_hi:[1,1,0] neg_lo:[0,0,1] neg_hi:[0,0,1]
	v_pk_fma_f32 v[142:143], v[142:143], v[132:133], v[146:147] op_sel:[0,0,1] op_sel_hi:[1,0,0]
	s_delay_alu instid0(VALU_DEP_1) | instskip(SKIP_1) | instid1(VALU_DEP_1)
	v_mov_b32_e32 v149, v143
	v_pk_mul_f32 v[142:143], v[144:145], v[134:135] op_sel:[0,1]
	v_pk_fma_f32 v[146:147], v[144:145], v[132:133], v[142:143] op_sel:[0,0,1] op_sel_hi:[1,1,0] neg_lo:[0,0,1] neg_hi:[0,0,1]
	v_pk_fma_f32 v[142:143], v[144:145], v[132:133], v[142:143] op_sel:[0,0,1] op_sel_hi:[1,0,0]
	s_delay_alu instid0(VALU_DEP_1)
	v_mov_b32_e32 v147, v143
	ds_load_2addr_b64 v[142:145], v136 offset0:58 offset1:59
	v_pk_add_f32 v[34:35], v[34:35], v[148:149] neg_lo:[0,1] neg_hi:[0,1]
	v_pk_add_f32 v[30:31], v[30:31], v[146:147] neg_lo:[0,1] neg_hi:[0,1]
	s_wait_dscnt 0x0
	v_pk_mul_f32 v[146:147], v[142:143], v[134:135] op_sel:[0,1]
	s_delay_alu instid0(VALU_DEP_1) | instskip(SKIP_1) | instid1(VALU_DEP_1)
	v_pk_fma_f32 v[148:149], v[142:143], v[132:133], v[146:147] op_sel:[0,0,1] op_sel_hi:[1,1,0] neg_lo:[0,0,1] neg_hi:[0,0,1]
	v_pk_fma_f32 v[142:143], v[142:143], v[132:133], v[146:147] op_sel:[0,0,1] op_sel_hi:[1,0,0]
	v_mov_b32_e32 v149, v143
	v_pk_mul_f32 v[142:143], v[144:145], v[134:135] op_sel:[0,1]
	s_delay_alu instid0(VALU_DEP_1) | instskip(SKIP_1) | instid1(VALU_DEP_1)
	v_pk_fma_f32 v[146:147], v[144:145], v[132:133], v[142:143] op_sel:[0,0,1] op_sel_hi:[1,1,0] neg_lo:[0,0,1] neg_hi:[0,0,1]
	v_pk_fma_f32 v[142:143], v[144:145], v[132:133], v[142:143] op_sel:[0,0,1] op_sel_hi:[1,0,0]
	v_mov_b32_e32 v147, v143
	ds_load_2addr_b64 v[142:145], v136 offset0:60 offset1:61
	v_pk_add_f32 v[6:7], v[6:7], v[148:149] neg_lo:[0,1] neg_hi:[0,1]
	v_pk_add_f32 v[26:27], v[26:27], v[146:147] neg_lo:[0,1] neg_hi:[0,1]
	s_wait_dscnt 0x0
	v_dual_mul_f32 v146, v143, v135 :: v_dual_mul_f32 v148, v143, v132
	s_delay_alu instid0(VALU_DEP_1) | instskip(NEXT) | instid1(VALU_DEP_2)
	v_pk_fma_f32 v[146:147], v[142:143], v[82:83], v[146:147] op_sel_hi:[1,1,0] neg_lo:[0,0,1] neg_hi:[0,0,1]
	v_pk_fma_f32 v[142:143], v[142:143], v[82:83], v[148:149] op_sel:[1,0,0] op_sel_hi:[0,1,0]
	s_delay_alu instid0(VALU_DEP_1) | instskip(SKIP_1) | instid1(VALU_DEP_2)
	v_mov_b32_e32 v147, v143
	v_pk_mul_f32 v[142:143], v[144:145], v[134:135] op_sel:[0,1]
	v_pk_add_f32 v[14:15], v[14:15], v[146:147] neg_lo:[0,1] neg_hi:[0,1]
	s_delay_alu instid0(VALU_DEP_2) | instskip(SKIP_1) | instid1(VALU_DEP_1)
	v_pk_fma_f32 v[146:147], v[144:145], v[132:133], v[142:143] op_sel:[0,0,1] op_sel_hi:[1,1,0] neg_lo:[0,0,1] neg_hi:[0,0,1]
	v_pk_fma_f32 v[142:143], v[144:145], v[132:133], v[142:143] op_sel:[0,0,1] op_sel_hi:[1,0,0]
	v_mov_b32_e32 v147, v143
	ds_load_b64 v[142:143], v136 offset:496
	v_pk_add_f32 v[12:13], v[12:13], v[146:147] neg_lo:[0,1] neg_hi:[0,1]
	s_wait_dscnt 0x0
	v_pk_mul_f32 v[134:135], v[142:143], v[134:135] op_sel:[0,1]
	s_delay_alu instid0(VALU_DEP_1) | instskip(SKIP_1) | instid1(VALU_DEP_1)
	v_pk_fma_f32 v[144:145], v[142:143], v[132:133], v[134:135] op_sel:[0,0,1] op_sel_hi:[1,1,0] neg_lo:[0,0,1] neg_hi:[0,0,1]
	v_pk_fma_f32 v[132:133], v[142:143], v[132:133], v[134:135] op_sel:[0,0,1] op_sel_hi:[1,0,0]
	v_mov_b32_e32 v145, v133
	s_delay_alu instid0(VALU_DEP_1)
	v_pk_add_f32 v[130:131], v[130:131], v[144:145] neg_lo:[0,1] neg_hi:[0,1]
.LBB124_881:
	s_or_b32 exec_lo, exec_lo, s0
	v_lshl_add_u32 v132, v140, 3, v136
	s_barrier_signal -1
	s_barrier_wait -1
	ds_store_b64 v132, v[24:25]
	s_wait_dscnt 0x0
	s_barrier_signal -1
	s_barrier_wait -1
	ds_load_b64 v[134:135], v136 offset:336
	v_mov_b32_e32 v132, 42
	s_cmp_lt_i32 s18, 44
	s_cbranch_scc1 .LBB124_884
; %bb.882:
	v_add3_u32 v133, v137, 0, 0x158
	v_mov_b32_e32 v132, 42
	s_mov_b32 s0, 43
.LBB124_883:                            ; =>This Inner Loop Header: Depth=1
	ds_load_b64 v[142:143], v133
	s_wait_dscnt 0x1
	v_cmp_gt_f32_e32 vcc_lo, 0, v134
	v_cndmask_b32_e64 v144, v134, -v134, vcc_lo
	v_cmp_gt_f32_e32 vcc_lo, 0, v135
	v_cndmask_b32_e64 v146, v135, -v135, vcc_lo
	s_wait_dscnt 0x0
	v_cmp_gt_f32_e32 vcc_lo, 0, v142
	v_cndmask_b32_e64 v145, v142, -v142, vcc_lo
	v_cmp_gt_f32_e32 vcc_lo, 0, v143
	v_cndmask_b32_e64 v147, v143, -v143, vcc_lo
	s_delay_alu instid0(VALU_DEP_1) | instskip(NEXT) | instid1(VALU_DEP_1)
	v_pk_add_f32 v[144:145], v[144:145], v[146:147]
	v_cmp_lt_f32_e32 vcc_lo, v144, v145
	v_dual_add_nc_u32 v133, 8, v133 :: v_dual_cndmask_b32 v135, v135, v143, vcc_lo
	v_cndmask_b32_e32 v134, v134, v142, vcc_lo
	v_cndmask_b32_e64 v132, v132, s0, vcc_lo
	s_add_co_i32 s0, s0, 1
	s_delay_alu instid0(SALU_CYCLE_1)
	s_cmp_lg_u32 s18, s0
	s_cbranch_scc1 .LBB124_883
.LBB124_884:
	s_wait_dscnt 0x0
	v_cmp_eq_f32_e32 vcc_lo, 0, v134
	v_cmp_eq_f32_e64 s0, 0, v135
	s_and_b32 s0, vcc_lo, s0
	s_delay_alu instid0(SALU_CYCLE_1) | instskip(NEXT) | instid1(SALU_CYCLE_1)
	s_and_saveexec_b32 s1, s0
	s_xor_b32 s0, exec_lo, s1
; %bb.885:
	v_cmp_ne_u32_e32 vcc_lo, 0, v138
	v_cndmask_b32_e32 v138, 43, v138, vcc_lo
; %bb.886:
	s_and_not1_saveexec_b32 s0, s0
	s_cbranch_execz .LBB124_892
; %bb.887:
	v_cmp_ngt_f32_e64 s1, |v134|, |v135|
	s_and_saveexec_b32 s12, s1
	s_delay_alu instid0(SALU_CYCLE_1)
	s_xor_b32 s1, exec_lo, s12
	s_cbranch_execz .LBB124_889
; %bb.888:
	v_div_scale_f32 v133, null, v135, v135, v134
	v_div_scale_f32 v143, vcc_lo, v134, v135, v134
	s_delay_alu instid0(VALU_DEP_2) | instskip(SKIP_1) | instid1(TRANS32_DEP_1)
	v_rcp_f32_e32 v141, v133
	v_nop
	v_fma_f32 v142, -v133, v141, 1.0
	s_delay_alu instid0(VALU_DEP_1) | instskip(NEXT) | instid1(VALU_DEP_1)
	v_fmac_f32_e32 v141, v142, v141
	v_mul_f32_e32 v142, v143, v141
	s_delay_alu instid0(VALU_DEP_1) | instskip(NEXT) | instid1(VALU_DEP_1)
	v_fma_f32 v144, -v133, v142, v143
	v_fmac_f32_e32 v142, v144, v141
	s_delay_alu instid0(VALU_DEP_1) | instskip(NEXT) | instid1(VALU_DEP_1)
	v_fma_f32 v133, -v133, v142, v143
	v_div_fmas_f32 v133, v133, v141, v142
	s_delay_alu instid0(VALU_DEP_1) | instskip(NEXT) | instid1(VALU_DEP_1)
	v_div_fixup_f32 v133, v133, v135, v134
	v_fmac_f32_e32 v135, v134, v133
	s_delay_alu instid0(VALU_DEP_1) | instskip(SKIP_1) | instid1(VALU_DEP_2)
	v_div_scale_f32 v134, null, v135, v135, 1.0
	v_div_scale_f32 v143, vcc_lo, 1.0, v135, 1.0
	v_rcp_f32_e32 v141, v134
	v_nop
	s_delay_alu instid0(TRANS32_DEP_1) | instskip(NEXT) | instid1(VALU_DEP_1)
	v_fma_f32 v142, -v134, v141, 1.0
	v_fmac_f32_e32 v141, v142, v141
	s_delay_alu instid0(VALU_DEP_1) | instskip(NEXT) | instid1(VALU_DEP_1)
	v_mul_f32_e32 v142, v143, v141
	v_fma_f32 v144, -v134, v142, v143
	s_delay_alu instid0(VALU_DEP_1) | instskip(NEXT) | instid1(VALU_DEP_1)
	v_fmac_f32_e32 v142, v144, v141
	v_fma_f32 v134, -v134, v142, v143
	s_delay_alu instid0(VALU_DEP_1) | instskip(NEXT) | instid1(VALU_DEP_1)
	v_div_fmas_f32 v134, v134, v141, v142
	v_div_fixup_f32 v135, v134, v135, 1.0
	s_delay_alu instid0(VALU_DEP_1)
	v_mul_f32_e32 v134, v133, v135
	v_xor_b32_e32 v135, 0x80000000, v135
.LBB124_889:
	s_and_not1_saveexec_b32 s1, s1
	s_cbranch_execz .LBB124_891
; %bb.890:
	s_delay_alu instid0(VALU_DEP_1) | instskip(SKIP_1) | instid1(VALU_DEP_2)
	v_div_scale_f32 v133, null, v134, v134, v135
	v_div_scale_f32 v143, vcc_lo, v135, v134, v135
	v_rcp_f32_e32 v141, v133
	v_nop
	s_delay_alu instid0(TRANS32_DEP_1) | instskip(NEXT) | instid1(VALU_DEP_1)
	v_fma_f32 v142, -v133, v141, 1.0
	v_fmac_f32_e32 v141, v142, v141
	s_delay_alu instid0(VALU_DEP_1) | instskip(NEXT) | instid1(VALU_DEP_1)
	v_mul_f32_e32 v142, v143, v141
	v_fma_f32 v144, -v133, v142, v143
	s_delay_alu instid0(VALU_DEP_1) | instskip(NEXT) | instid1(VALU_DEP_1)
	v_fmac_f32_e32 v142, v144, v141
	v_fma_f32 v133, -v133, v142, v143
	s_delay_alu instid0(VALU_DEP_1) | instskip(NEXT) | instid1(VALU_DEP_1)
	v_div_fmas_f32 v133, v133, v141, v142
	v_div_fixup_f32 v133, v133, v134, v135
	s_delay_alu instid0(VALU_DEP_1) | instskip(NEXT) | instid1(VALU_DEP_1)
	v_fmac_f32_e32 v134, v135, v133
	v_div_scale_f32 v135, null, v134, v134, 1.0
	s_delay_alu instid0(VALU_DEP_1) | instskip(SKIP_1) | instid1(TRANS32_DEP_1)
	v_rcp_f32_e32 v141, v135
	v_nop
	v_fma_f32 v142, -v135, v141, 1.0
	s_delay_alu instid0(VALU_DEP_1) | instskip(SKIP_1) | instid1(VALU_DEP_1)
	v_fmac_f32_e32 v141, v142, v141
	v_div_scale_f32 v142, vcc_lo, 1.0, v134, 1.0
	v_mul_f32_e32 v143, v142, v141
	s_delay_alu instid0(VALU_DEP_1) | instskip(NEXT) | instid1(VALU_DEP_1)
	v_fma_f32 v144, -v135, v143, v142
	v_fmac_f32_e32 v143, v144, v141
	s_delay_alu instid0(VALU_DEP_1) | instskip(NEXT) | instid1(VALU_DEP_1)
	v_fma_f32 v135, -v135, v143, v142
	v_div_fmas_f32 v135, v135, v141, v143
	s_delay_alu instid0(VALU_DEP_1) | instskip(NEXT) | instid1(VALU_DEP_1)
	v_div_fixup_f32 v134, v135, v134, 1.0
	v_mul_f32_e64 v135, v133, -v134
.LBB124_891:
	s_or_b32 exec_lo, exec_lo, s1
.LBB124_892:
	s_delay_alu instid0(SALU_CYCLE_1) | instskip(NEXT) | instid1(SALU_CYCLE_1)
	s_or_b32 exec_lo, exec_lo, s0
	s_mov_b32 s0, exec_lo
	v_cmpx_ne_u32_e64 v140, v132
	s_xor_b32 s0, exec_lo, s0
	s_cbranch_execz .LBB124_898
; %bb.893:
	s_mov_b32 s1, exec_lo
	v_cmpx_eq_u32_e32 42, v140
	s_cbranch_execz .LBB124_897
; %bb.894:
	v_cmp_ne_u32_e32 vcc_lo, 42, v132
	s_xor_b32 s12, s16, -1
	s_delay_alu instid0(SALU_CYCLE_1) | instskip(NEXT) | instid1(SALU_CYCLE_1)
	s_and_b32 s13, s12, vcc_lo
	s_and_saveexec_b32 s12, s13
	s_cbranch_execz .LBB124_896
; %bb.895:
	v_ashrrev_i32_e32 v133, 31, v132
	s_delay_alu instid0(VALU_DEP_1)
	v_lshl_add_u64 v[140:141], v[132:133], 2, v[4:5]
	s_clause 0x1
	global_load_b32 v133, v[140:141], off
	global_load_b32 v139, v[4:5], off offset:168
	s_wait_loadcnt 0x1
	global_store_b32 v[4:5], v133, off offset:168
	s_wait_loadcnt 0x0
	global_store_b32 v[140:141], v139, off
.LBB124_896:
	s_wait_xcnt 0x0
	s_or_b32 exec_lo, exec_lo, s12
	v_dual_mov_b32 v140, v132 :: v_dual_mov_b32 v139, v132
.LBB124_897:
	s_or_b32 exec_lo, exec_lo, s1
.LBB124_898:
	s_and_not1_saveexec_b32 s0, s0
	s_cbranch_execz .LBB124_900
; %bb.899:
	v_mov_b32_e32 v140, 42
	ds_store_2addr_b64 v136, v[22:23], v[80:81] offset0:43 offset1:44
	ds_store_2addr_b64 v136, v[78:79], v[20:21] offset0:45 offset1:46
	;; [unrolled: 1-line block ×10, first 2 shown]
.LBB124_900:
	s_or_b32 exec_lo, exec_lo, s0
	s_delay_alu instid0(SALU_CYCLE_1)
	s_mov_b32 s0, exec_lo
	s_wait_storecnt_dscnt 0x0
	s_barrier_signal -1
	s_barrier_wait -1
	v_cmpx_lt_i32_e32 42, v140
	s_cbranch_execz .LBB124_902
; %bb.901:
	v_pk_mul_f32 v[142:143], v[134:135], v[24:25] op_sel:[1,1] op_sel_hi:[0,1]
	s_delay_alu instid0(VALU_DEP_1)
	v_pk_fma_f32 v[132:133], v[134:135], v[24:25], v[142:143] op_sel_hi:[1,0,1] neg_lo:[0,0,1] neg_hi:[0,0,1]
	v_pk_fma_f32 v[134:135], v[134:135], v[24:25], v[142:143] op_sel_hi:[1,0,1]
	ds_load_2addr_b64 v[142:145], v136 offset0:43 offset1:44
	v_dual_mov_b32 v24, v132 :: v_dual_mov_b32 v25, v135
	s_wait_dscnt 0x0
	v_pk_mul_f32 v[146:147], v[142:143], v[134:135] op_sel:[0,1]
	s_delay_alu instid0(VALU_DEP_1) | instskip(SKIP_1) | instid1(VALU_DEP_1)
	v_pk_fma_f32 v[148:149], v[142:143], v[132:133], v[146:147] op_sel:[0,0,1] op_sel_hi:[1,1,0] neg_lo:[0,0,1] neg_hi:[0,0,1]
	v_pk_fma_f32 v[142:143], v[142:143], v[132:133], v[146:147] op_sel:[0,0,1] op_sel_hi:[1,0,0]
	v_mov_b32_e32 v149, v143
	v_pk_mul_f32 v[142:143], v[144:145], v[134:135] op_sel:[0,1]
	s_delay_alu instid0(VALU_DEP_1) | instskip(SKIP_1) | instid1(VALU_DEP_1)
	v_pk_fma_f32 v[146:147], v[144:145], v[132:133], v[142:143] op_sel:[0,0,1] op_sel_hi:[1,1,0] neg_lo:[0,0,1] neg_hi:[0,0,1]
	v_pk_fma_f32 v[142:143], v[144:145], v[132:133], v[142:143] op_sel:[0,0,1] op_sel_hi:[1,0,0]
	v_mov_b32_e32 v147, v143
	ds_load_2addr_b64 v[142:145], v136 offset0:45 offset1:46
	v_pk_add_f32 v[22:23], v[22:23], v[148:149] neg_lo:[0,1] neg_hi:[0,1]
	v_pk_add_f32 v[80:81], v[80:81], v[146:147] neg_lo:[0,1] neg_hi:[0,1]
	s_wait_dscnt 0x0
	v_pk_mul_f32 v[146:147], v[142:143], v[134:135] op_sel:[0,1]
	s_delay_alu instid0(VALU_DEP_1) | instskip(SKIP_2) | instid1(VALU_DEP_2)
	v_pk_fma_f32 v[148:149], v[142:143], v[132:133], v[146:147] op_sel:[0,0,1] op_sel_hi:[1,1,0] neg_lo:[0,0,1] neg_hi:[0,0,1]
	v_pk_fma_f32 v[142:143], v[142:143], v[132:133], v[146:147] op_sel:[0,0,1] op_sel_hi:[1,0,0]
	v_dual_mul_f32 v146, v145, v135 :: v_dual_mov_b32 v142, v145
	v_dual_mov_b32 v149, v143 :: v_dual_mov_b32 v143, v144
	s_delay_alu instid0(VALU_DEP_2) | instskip(SKIP_1) | instid1(VALU_DEP_3)
	v_pk_fma_f32 v[146:147], v[144:145], v[24:25], v[146:147] op_sel_hi:[1,1,0] neg_lo:[0,0,1] neg_hi:[0,0,1]
	v_mul_f32_e32 v144, v145, v132
	v_pk_add_f32 v[78:79], v[78:79], v[148:149] neg_lo:[0,1] neg_hi:[0,1]
	s_delay_alu instid0(VALU_DEP_2) | instskip(NEXT) | instid1(VALU_DEP_1)
	v_pk_fma_f32 v[142:143], v[142:143], v[24:25], v[144:145] op_sel_hi:[1,1,0]
	v_mov_b32_e32 v147, v143
	ds_load_2addr_b64 v[142:145], v136 offset0:47 offset1:48
	v_pk_add_f32 v[20:21], v[20:21], v[146:147] neg_lo:[0,1] neg_hi:[0,1]
	s_wait_dscnt 0x0
	v_pk_mul_f32 v[146:147], v[142:143], v[134:135] op_sel:[0,1]
	s_delay_alu instid0(VALU_DEP_1) | instskip(SKIP_1) | instid1(VALU_DEP_1)
	v_pk_fma_f32 v[148:149], v[142:143], v[132:133], v[146:147] op_sel:[0,0,1] op_sel_hi:[1,1,0] neg_lo:[0,0,1] neg_hi:[0,0,1]
	v_pk_fma_f32 v[142:143], v[142:143], v[132:133], v[146:147] op_sel:[0,0,1] op_sel_hi:[1,0,0]
	v_mov_b32_e32 v149, v143
	v_pk_mul_f32 v[142:143], v[144:145], v[134:135] op_sel:[0,1]
	s_delay_alu instid0(VALU_DEP_1) | instskip(SKIP_1) | instid1(VALU_DEP_1)
	v_pk_fma_f32 v[146:147], v[144:145], v[132:133], v[142:143] op_sel:[0,0,1] op_sel_hi:[1,1,0] neg_lo:[0,0,1] neg_hi:[0,0,1]
	v_pk_fma_f32 v[142:143], v[144:145], v[132:133], v[142:143] op_sel:[0,0,1] op_sel_hi:[1,0,0]
	v_mov_b32_e32 v147, v143
	ds_load_2addr_b64 v[142:145], v136 offset0:49 offset1:50
	v_pk_add_f32 v[18:19], v[18:19], v[148:149] neg_lo:[0,1] neg_hi:[0,1]
	v_pk_add_f32 v[76:77], v[76:77], v[146:147] neg_lo:[0,1] neg_hi:[0,1]
	s_wait_dscnt 0x0
	v_pk_mul_f32 v[146:147], v[142:143], v[134:135] op_sel:[0,1]
	s_delay_alu instid0(VALU_DEP_1) | instskip(SKIP_1) | instid1(VALU_DEP_1)
	v_pk_fma_f32 v[148:149], v[142:143], v[132:133], v[146:147] op_sel:[0,0,1] op_sel_hi:[1,1,0] neg_lo:[0,0,1] neg_hi:[0,0,1]
	v_pk_fma_f32 v[142:143], v[142:143], v[132:133], v[146:147] op_sel:[0,0,1] op_sel_hi:[1,0,0]
	v_mov_b32_e32 v149, v143
	v_pk_mul_f32 v[142:143], v[144:145], v[134:135] op_sel:[0,1]
	s_delay_alu instid0(VALU_DEP_1) | instskip(SKIP_1) | instid1(VALU_DEP_1)
	v_pk_fma_f32 v[146:147], v[144:145], v[132:133], v[142:143] op_sel:[0,0,1] op_sel_hi:[1,1,0] neg_lo:[0,0,1] neg_hi:[0,0,1]
	v_pk_fma_f32 v[142:143], v[144:145], v[132:133], v[142:143] op_sel:[0,0,1] op_sel_hi:[1,0,0]
	v_mov_b32_e32 v147, v143
	ds_load_2addr_b64 v[142:145], v136 offset0:51 offset1:52
	v_pk_add_f32 v[74:75], v[74:75], v[148:149] neg_lo:[0,1] neg_hi:[0,1]
	v_pk_add_f32 v[16:17], v[16:17], v[146:147] neg_lo:[0,1] neg_hi:[0,1]
	s_wait_dscnt 0x0
	v_dual_mul_f32 v146, v143, v135 :: v_dual_mul_f32 v148, v143, v132
	s_delay_alu instid0(VALU_DEP_1) | instskip(NEXT) | instid1(VALU_DEP_2)
	v_pk_fma_f32 v[146:147], v[142:143], v[24:25], v[146:147] op_sel_hi:[1,1,0] neg_lo:[0,0,1] neg_hi:[0,0,1]
	v_pk_fma_f32 v[142:143], v[142:143], v[24:25], v[148:149] op_sel:[1,0,0] op_sel_hi:[0,1,0]
	s_delay_alu instid0(VALU_DEP_1) | instskip(SKIP_1) | instid1(VALU_DEP_2)
	v_mov_b32_e32 v147, v143
	v_pk_mul_f32 v[142:143], v[144:145], v[134:135] op_sel:[0,1]
	v_pk_add_f32 v[28:29], v[28:29], v[146:147] neg_lo:[0,1] neg_hi:[0,1]
	s_delay_alu instid0(VALU_DEP_2) | instskip(SKIP_1) | instid1(VALU_DEP_1)
	v_pk_fma_f32 v[146:147], v[144:145], v[132:133], v[142:143] op_sel:[0,0,1] op_sel_hi:[1,1,0] neg_lo:[0,0,1] neg_hi:[0,0,1]
	v_pk_fma_f32 v[142:143], v[144:145], v[132:133], v[142:143] op_sel:[0,0,1] op_sel_hi:[1,0,0]
	v_mov_b32_e32 v147, v143
	ds_load_2addr_b64 v[142:145], v136 offset0:53 offset1:54
	v_pk_add_f32 v[68:69], v[68:69], v[146:147] neg_lo:[0,1] neg_hi:[0,1]
	s_wait_dscnt 0x0
	v_pk_mul_f32 v[146:147], v[142:143], v[134:135] op_sel:[0,1]
	s_delay_alu instid0(VALU_DEP_1) | instskip(SKIP_1) | instid1(VALU_DEP_1)
	v_pk_fma_f32 v[148:149], v[142:143], v[132:133], v[146:147] op_sel:[0,0,1] op_sel_hi:[1,1,0] neg_lo:[0,0,1] neg_hi:[0,0,1]
	v_pk_fma_f32 v[142:143], v[142:143], v[132:133], v[146:147] op_sel:[0,0,1] op_sel_hi:[1,0,0]
	v_mov_b32_e32 v149, v143
	v_pk_mul_f32 v[142:143], v[144:145], v[134:135] op_sel:[0,1]
	s_delay_alu instid0(VALU_DEP_2) | instskip(NEXT) | instid1(VALU_DEP_2)
	v_pk_add_f32 v[66:67], v[66:67], v[148:149] neg_lo:[0,1] neg_hi:[0,1]
	v_pk_fma_f32 v[146:147], v[144:145], v[132:133], v[142:143] op_sel:[0,0,1] op_sel_hi:[1,1,0] neg_lo:[0,0,1] neg_hi:[0,0,1]
	v_pk_fma_f32 v[142:143], v[144:145], v[132:133], v[142:143] op_sel:[0,0,1] op_sel_hi:[1,0,0]
	s_delay_alu instid0(VALU_DEP_1) | instskip(SKIP_4) | instid1(VALU_DEP_1)
	v_mov_b32_e32 v147, v143
	ds_load_2addr_b64 v[142:145], v136 offset0:55 offset1:56
	v_pk_add_f32 v[10:11], v[10:11], v[146:147] neg_lo:[0,1] neg_hi:[0,1]
	s_wait_dscnt 0x0
	v_pk_mul_f32 v[146:147], v[142:143], v[134:135] op_sel:[0,1]
	v_pk_fma_f32 v[148:149], v[142:143], v[132:133], v[146:147] op_sel:[0,0,1] op_sel_hi:[1,1,0] neg_lo:[0,0,1] neg_hi:[0,0,1]
	v_pk_fma_f32 v[142:143], v[142:143], v[132:133], v[146:147] op_sel:[0,0,1] op_sel_hi:[1,0,0]
	v_dual_mul_f32 v146, v145, v135 :: v_dual_mov_b32 v142, v145
	s_delay_alu instid0(VALU_DEP_2) | instskip(NEXT) | instid1(VALU_DEP_2)
	v_dual_mov_b32 v149, v143 :: v_dual_mov_b32 v143, v144
	v_pk_fma_f32 v[146:147], v[144:145], v[24:25], v[146:147] op_sel_hi:[1,1,0] neg_lo:[0,0,1] neg_hi:[0,0,1]
	v_mul_f32_e32 v144, v145, v132
	s_delay_alu instid0(VALU_DEP_3) | instskip(NEXT) | instid1(VALU_DEP_2)
	v_pk_add_f32 v[8:9], v[8:9], v[148:149] neg_lo:[0,1] neg_hi:[0,1]
	v_pk_fma_f32 v[142:143], v[142:143], v[24:25], v[144:145] op_sel_hi:[1,1,0]
	s_delay_alu instid0(VALU_DEP_1) | instskip(SKIP_4) | instid1(VALU_DEP_1)
	v_mov_b32_e32 v147, v143
	ds_load_2addr_b64 v[142:145], v136 offset0:57 offset1:58
	v_pk_add_f32 v[34:35], v[34:35], v[146:147] neg_lo:[0,1] neg_hi:[0,1]
	s_wait_dscnt 0x0
	v_pk_mul_f32 v[146:147], v[142:143], v[134:135] op_sel:[0,1]
	v_pk_fma_f32 v[148:149], v[142:143], v[132:133], v[146:147] op_sel:[0,0,1] op_sel_hi:[1,1,0] neg_lo:[0,0,1] neg_hi:[0,0,1]
	v_pk_fma_f32 v[142:143], v[142:143], v[132:133], v[146:147] op_sel:[0,0,1] op_sel_hi:[1,0,0]
	s_delay_alu instid0(VALU_DEP_1) | instskip(SKIP_1) | instid1(VALU_DEP_1)
	v_mov_b32_e32 v149, v143
	v_pk_mul_f32 v[142:143], v[144:145], v[134:135] op_sel:[0,1]
	v_pk_fma_f32 v[146:147], v[144:145], v[132:133], v[142:143] op_sel:[0,0,1] op_sel_hi:[1,1,0] neg_lo:[0,0,1] neg_hi:[0,0,1]
	v_pk_fma_f32 v[142:143], v[144:145], v[132:133], v[142:143] op_sel:[0,0,1] op_sel_hi:[1,0,0]
	s_delay_alu instid0(VALU_DEP_1)
	v_mov_b32_e32 v147, v143
	ds_load_2addr_b64 v[142:145], v136 offset0:59 offset1:60
	v_pk_add_f32 v[30:31], v[30:31], v[148:149] neg_lo:[0,1] neg_hi:[0,1]
	v_pk_add_f32 v[6:7], v[6:7], v[146:147] neg_lo:[0,1] neg_hi:[0,1]
	s_wait_dscnt 0x0
	v_pk_mul_f32 v[146:147], v[142:143], v[134:135] op_sel:[0,1]
	s_delay_alu instid0(VALU_DEP_1) | instskip(SKIP_1) | instid1(VALU_DEP_1)
	v_pk_fma_f32 v[148:149], v[142:143], v[132:133], v[146:147] op_sel:[0,0,1] op_sel_hi:[1,1,0] neg_lo:[0,0,1] neg_hi:[0,0,1]
	v_pk_fma_f32 v[142:143], v[142:143], v[132:133], v[146:147] op_sel:[0,0,1] op_sel_hi:[1,0,0]
	v_mov_b32_e32 v149, v143
	v_pk_mul_f32 v[142:143], v[144:145], v[134:135] op_sel:[0,1]
	s_delay_alu instid0(VALU_DEP_1) | instskip(SKIP_1) | instid1(VALU_DEP_1)
	v_pk_fma_f32 v[146:147], v[144:145], v[132:133], v[142:143] op_sel:[0,0,1] op_sel_hi:[1,1,0] neg_lo:[0,0,1] neg_hi:[0,0,1]
	v_pk_fma_f32 v[142:143], v[144:145], v[132:133], v[142:143] op_sel:[0,0,1] op_sel_hi:[1,0,0]
	v_mov_b32_e32 v147, v143
	ds_load_2addr_b64 v[142:145], v136 offset0:61 offset1:62
	v_pk_add_f32 v[26:27], v[26:27], v[148:149] neg_lo:[0,1] neg_hi:[0,1]
	v_pk_add_f32 v[14:15], v[14:15], v[146:147] neg_lo:[0,1] neg_hi:[0,1]
	s_wait_dscnt 0x0
	v_dual_mul_f32 v146, v143, v135 :: v_dual_mul_f32 v148, v143, v132
	v_pk_mul_f32 v[134:135], v[144:145], v[134:135] op_sel:[0,1]
	s_delay_alu instid0(VALU_DEP_2) | instskip(NEXT) | instid1(VALU_DEP_3)
	v_pk_fma_f32 v[146:147], v[142:143], v[24:25], v[146:147] op_sel_hi:[1,1,0] neg_lo:[0,0,1] neg_hi:[0,0,1]
	v_pk_fma_f32 v[142:143], v[142:143], v[24:25], v[148:149] op_sel:[1,0,0] op_sel_hi:[0,1,0]
	s_delay_alu instid0(VALU_DEP_1) | instskip(NEXT) | instid1(VALU_DEP_4)
	v_mov_b32_e32 v147, v143
	v_pk_fma_f32 v[142:143], v[144:145], v[132:133], v[134:135] op_sel:[0,0,1] op_sel_hi:[1,1,0] neg_lo:[0,0,1] neg_hi:[0,0,1]
	v_pk_fma_f32 v[132:133], v[144:145], v[132:133], v[134:135] op_sel:[0,0,1] op_sel_hi:[1,0,0]
	s_delay_alu instid0(VALU_DEP_1) | instskip(NEXT) | instid1(VALU_DEP_4)
	v_mov_b32_e32 v143, v133
	v_pk_add_f32 v[12:13], v[12:13], v[146:147] neg_lo:[0,1] neg_hi:[0,1]
	s_delay_alu instid0(VALU_DEP_2)
	v_pk_add_f32 v[130:131], v[130:131], v[142:143] neg_lo:[0,1] neg_hi:[0,1]
.LBB124_902:
	s_or_b32 exec_lo, exec_lo, s0
	v_lshl_add_u32 v132, v140, 3, v136
	s_barrier_signal -1
	s_barrier_wait -1
	ds_store_b64 v132, v[22:23]
	s_wait_dscnt 0x0
	s_barrier_signal -1
	s_barrier_wait -1
	ds_load_b64 v[132:133], v136 offset:344
	v_mov_b32_e32 v134, 43
	s_cmp_lt_i32 s18, 45
	s_cbranch_scc1 .LBB124_905
; %bb.903:
	v_add3_u32 v135, v137, 0, 0x160
	v_mov_b32_e32 v134, 43
	s_mov_b32 s0, 44
.LBB124_904:                            ; =>This Inner Loop Header: Depth=1
	ds_load_b64 v[142:143], v135
	s_wait_dscnt 0x1
	v_cmp_gt_f32_e32 vcc_lo, 0, v132
	v_cndmask_b32_e64 v144, v132, -v132, vcc_lo
	v_cmp_gt_f32_e32 vcc_lo, 0, v133
	v_cndmask_b32_e64 v146, v133, -v133, vcc_lo
	s_wait_dscnt 0x0
	v_cmp_gt_f32_e32 vcc_lo, 0, v142
	v_cndmask_b32_e64 v145, v142, -v142, vcc_lo
	v_cmp_gt_f32_e32 vcc_lo, 0, v143
	v_cndmask_b32_e64 v147, v143, -v143, vcc_lo
	s_delay_alu instid0(VALU_DEP_1) | instskip(NEXT) | instid1(VALU_DEP_1)
	v_pk_add_f32 v[144:145], v[144:145], v[146:147]
	v_cmp_lt_f32_e32 vcc_lo, v144, v145
	v_dual_cndmask_b32 v132, v132, v142 :: v_dual_add_nc_u32 v135, 8, v135
	v_cndmask_b32_e32 v133, v133, v143, vcc_lo
	v_cndmask_b32_e64 v134, v134, s0, vcc_lo
	s_add_co_i32 s0, s0, 1
	s_delay_alu instid0(SALU_CYCLE_1)
	s_cmp_lg_u32 s18, s0
	s_cbranch_scc1 .LBB124_904
.LBB124_905:
	s_wait_dscnt 0x0
	v_cmp_eq_f32_e32 vcc_lo, 0, v132
	v_cmp_eq_f32_e64 s0, 0, v133
	s_and_b32 s0, vcc_lo, s0
	s_delay_alu instid0(SALU_CYCLE_1) | instskip(NEXT) | instid1(SALU_CYCLE_1)
	s_and_saveexec_b32 s1, s0
	s_xor_b32 s0, exec_lo, s1
; %bb.906:
	v_cmp_ne_u32_e32 vcc_lo, 0, v138
	v_cndmask_b32_e32 v138, 44, v138, vcc_lo
; %bb.907:
	s_and_not1_saveexec_b32 s0, s0
	s_cbranch_execz .LBB124_913
; %bb.908:
	v_cmp_ngt_f32_e64 s1, |v132|, |v133|
	s_and_saveexec_b32 s12, s1
	s_delay_alu instid0(SALU_CYCLE_1)
	s_xor_b32 s1, exec_lo, s12
	s_cbranch_execz .LBB124_910
; %bb.909:
	v_div_scale_f32 v135, null, v133, v133, v132
	v_div_scale_f32 v143, vcc_lo, v132, v133, v132
	s_delay_alu instid0(VALU_DEP_2) | instskip(SKIP_1) | instid1(TRANS32_DEP_1)
	v_rcp_f32_e32 v141, v135
	v_nop
	v_fma_f32 v142, -v135, v141, 1.0
	s_delay_alu instid0(VALU_DEP_1) | instskip(NEXT) | instid1(VALU_DEP_1)
	v_fmac_f32_e32 v141, v142, v141
	v_mul_f32_e32 v142, v143, v141
	s_delay_alu instid0(VALU_DEP_1) | instskip(NEXT) | instid1(VALU_DEP_1)
	v_fma_f32 v144, -v135, v142, v143
	v_fmac_f32_e32 v142, v144, v141
	s_delay_alu instid0(VALU_DEP_1) | instskip(NEXT) | instid1(VALU_DEP_1)
	v_fma_f32 v135, -v135, v142, v143
	v_div_fmas_f32 v135, v135, v141, v142
	s_delay_alu instid0(VALU_DEP_1) | instskip(NEXT) | instid1(VALU_DEP_1)
	v_div_fixup_f32 v135, v135, v133, v132
	v_fmac_f32_e32 v133, v132, v135
	s_delay_alu instid0(VALU_DEP_1) | instskip(SKIP_1) | instid1(VALU_DEP_2)
	v_div_scale_f32 v132, null, v133, v133, 1.0
	v_div_scale_f32 v143, vcc_lo, 1.0, v133, 1.0
	v_rcp_f32_e32 v141, v132
	v_nop
	s_delay_alu instid0(TRANS32_DEP_1) | instskip(NEXT) | instid1(VALU_DEP_1)
	v_fma_f32 v142, -v132, v141, 1.0
	v_fmac_f32_e32 v141, v142, v141
	s_delay_alu instid0(VALU_DEP_1) | instskip(NEXT) | instid1(VALU_DEP_1)
	v_mul_f32_e32 v142, v143, v141
	v_fma_f32 v144, -v132, v142, v143
	s_delay_alu instid0(VALU_DEP_1) | instskip(NEXT) | instid1(VALU_DEP_1)
	v_fmac_f32_e32 v142, v144, v141
	v_fma_f32 v132, -v132, v142, v143
	s_delay_alu instid0(VALU_DEP_1) | instskip(NEXT) | instid1(VALU_DEP_1)
	v_div_fmas_f32 v132, v132, v141, v142
	v_div_fixup_f32 v133, v132, v133, 1.0
	s_delay_alu instid0(VALU_DEP_1)
	v_mul_f32_e32 v132, v135, v133
	v_xor_b32_e32 v133, 0x80000000, v133
.LBB124_910:
	s_and_not1_saveexec_b32 s1, s1
	s_cbranch_execz .LBB124_912
; %bb.911:
	s_delay_alu instid0(VALU_DEP_1) | instskip(SKIP_1) | instid1(VALU_DEP_2)
	v_div_scale_f32 v135, null, v132, v132, v133
	v_div_scale_f32 v143, vcc_lo, v133, v132, v133
	v_rcp_f32_e32 v141, v135
	v_nop
	s_delay_alu instid0(TRANS32_DEP_1) | instskip(NEXT) | instid1(VALU_DEP_1)
	v_fma_f32 v142, -v135, v141, 1.0
	v_fmac_f32_e32 v141, v142, v141
	s_delay_alu instid0(VALU_DEP_1) | instskip(NEXT) | instid1(VALU_DEP_1)
	v_mul_f32_e32 v142, v143, v141
	v_fma_f32 v144, -v135, v142, v143
	s_delay_alu instid0(VALU_DEP_1) | instskip(NEXT) | instid1(VALU_DEP_1)
	v_fmac_f32_e32 v142, v144, v141
	v_fma_f32 v135, -v135, v142, v143
	s_delay_alu instid0(VALU_DEP_1) | instskip(NEXT) | instid1(VALU_DEP_1)
	v_div_fmas_f32 v135, v135, v141, v142
	v_div_fixup_f32 v135, v135, v132, v133
	s_delay_alu instid0(VALU_DEP_1) | instskip(NEXT) | instid1(VALU_DEP_1)
	v_fmac_f32_e32 v132, v133, v135
	v_div_scale_f32 v133, null, v132, v132, 1.0
	s_delay_alu instid0(VALU_DEP_1) | instskip(SKIP_1) | instid1(TRANS32_DEP_1)
	v_rcp_f32_e32 v141, v133
	v_nop
	v_fma_f32 v142, -v133, v141, 1.0
	s_delay_alu instid0(VALU_DEP_1) | instskip(SKIP_1) | instid1(VALU_DEP_1)
	v_fmac_f32_e32 v141, v142, v141
	v_div_scale_f32 v142, vcc_lo, 1.0, v132, 1.0
	v_mul_f32_e32 v143, v142, v141
	s_delay_alu instid0(VALU_DEP_1) | instskip(NEXT) | instid1(VALU_DEP_1)
	v_fma_f32 v144, -v133, v143, v142
	v_fmac_f32_e32 v143, v144, v141
	s_delay_alu instid0(VALU_DEP_1) | instskip(NEXT) | instid1(VALU_DEP_1)
	v_fma_f32 v133, -v133, v143, v142
	v_div_fmas_f32 v133, v133, v141, v143
	s_delay_alu instid0(VALU_DEP_1) | instskip(NEXT) | instid1(VALU_DEP_1)
	v_div_fixup_f32 v132, v133, v132, 1.0
	v_mul_f32_e64 v133, v135, -v132
.LBB124_912:
	s_or_b32 exec_lo, exec_lo, s1
.LBB124_913:
	s_delay_alu instid0(SALU_CYCLE_1) | instskip(NEXT) | instid1(SALU_CYCLE_1)
	s_or_b32 exec_lo, exec_lo, s0
	s_mov_b32 s0, exec_lo
	v_cmpx_ne_u32_e64 v140, v134
	s_xor_b32 s0, exec_lo, s0
	s_cbranch_execz .LBB124_919
; %bb.914:
	s_mov_b32 s1, exec_lo
	v_cmpx_eq_u32_e32 43, v140
	s_cbranch_execz .LBB124_918
; %bb.915:
	v_cmp_ne_u32_e32 vcc_lo, 43, v134
	s_xor_b32 s12, s16, -1
	s_delay_alu instid0(SALU_CYCLE_1) | instskip(NEXT) | instid1(SALU_CYCLE_1)
	s_and_b32 s13, s12, vcc_lo
	s_and_saveexec_b32 s12, s13
	s_cbranch_execz .LBB124_917
; %bb.916:
	v_ashrrev_i32_e32 v135, 31, v134
	s_delay_alu instid0(VALU_DEP_1)
	v_lshl_add_u64 v[140:141], v[134:135], 2, v[4:5]
	s_clause 0x1
	global_load_b32 v135, v[140:141], off
	global_load_b32 v139, v[4:5], off offset:172
	s_wait_loadcnt 0x1
	global_store_b32 v[4:5], v135, off offset:172
	s_wait_loadcnt 0x0
	global_store_b32 v[140:141], v139, off
.LBB124_917:
	s_wait_xcnt 0x0
	s_or_b32 exec_lo, exec_lo, s12
	v_dual_mov_b32 v140, v134 :: v_dual_mov_b32 v139, v134
.LBB124_918:
	s_or_b32 exec_lo, exec_lo, s1
.LBB124_919:
	s_and_not1_saveexec_b32 s0, s0
	s_cbranch_execz .LBB124_921
; %bb.920:
	v_dual_mov_b32 v134, v80 :: v_dual_mov_b32 v135, v81
	v_dual_mov_b32 v140, v78 :: v_dual_mov_b32 v141, v79
	;; [unrolled: 1-line block ×8, first 2 shown]
	ds_store_2addr_b64 v136, v[134:135], v[140:141] offset0:44 offset1:45
	ds_store_2addr_b64 v136, v[142:143], v[144:145] offset0:46 offset1:47
	;; [unrolled: 1-line block ×4, first 2 shown]
	v_dual_mov_b32 v134, v68 :: v_dual_mov_b32 v135, v69
	v_dual_mov_b32 v140, v66 :: v_dual_mov_b32 v141, v67
	;; [unrolled: 1-line block ×6, first 2 shown]
	ds_store_2addr_b64 v136, v[134:135], v[140:141] offset0:52 offset1:53
	ds_store_2addr_b64 v136, v[142:143], v[144:145] offset0:54 offset1:55
	v_dual_mov_b32 v140, 43 :: v_dual_mov_b32 v150, v6
	v_dual_mov_b32 v151, v7 :: v_dual_mov_b32 v152, v26
	v_dual_mov_b32 v153, v27 :: v_dual_mov_b32 v154, v14
	v_dual_mov_b32 v155, v15 :: v_dual_mov_b32 v156, v12
	v_mov_b32_e32 v157, v13
	ds_store_2addr_b64 v136, v[146:147], v[148:149] offset0:56 offset1:57
	ds_store_2addr_b64 v136, v[150:151], v[152:153] offset0:58 offset1:59
	;; [unrolled: 1-line block ×3, first 2 shown]
	ds_store_b64 v136, v[130:131] offset:496
.LBB124_921:
	s_or_b32 exec_lo, exec_lo, s0
	s_delay_alu instid0(SALU_CYCLE_1)
	s_mov_b32 s0, exec_lo
	s_wait_storecnt_dscnt 0x0
	s_barrier_signal -1
	s_barrier_wait -1
	v_cmpx_lt_i32_e32 43, v140
	s_cbranch_execz .LBB124_923
; %bb.922:
	v_pk_mul_f32 v[142:143], v[132:133], v[22:23] op_sel:[1,1] op_sel_hi:[0,1]
	s_delay_alu instid0(VALU_DEP_1)
	v_pk_fma_f32 v[134:135], v[132:133], v[22:23], v[142:143] op_sel_hi:[1,0,1] neg_lo:[0,0,1] neg_hi:[0,0,1]
	v_pk_fma_f32 v[132:133], v[132:133], v[22:23], v[142:143] op_sel_hi:[1,0,1]
	ds_load_2addr_b64 v[142:145], v136 offset0:44 offset1:45
	v_dual_mov_b32 v22, v134 :: v_dual_mov_b32 v23, v133
	s_wait_dscnt 0x0
	v_pk_mul_f32 v[146:147], v[142:143], v[132:133] op_sel:[0,1]
	s_delay_alu instid0(VALU_DEP_1) | instskip(SKIP_1) | instid1(VALU_DEP_1)
	v_pk_fma_f32 v[148:149], v[142:143], v[134:135], v[146:147] op_sel:[0,0,1] op_sel_hi:[1,1,0] neg_lo:[0,0,1] neg_hi:[0,0,1]
	v_pk_fma_f32 v[142:143], v[142:143], v[134:135], v[146:147] op_sel:[0,0,1] op_sel_hi:[1,0,0]
	v_mov_b32_e32 v149, v143
	v_pk_mul_f32 v[142:143], v[144:145], v[132:133] op_sel:[0,1]
	s_delay_alu instid0(VALU_DEP_1) | instskip(SKIP_1) | instid1(VALU_DEP_1)
	v_pk_fma_f32 v[146:147], v[144:145], v[134:135], v[142:143] op_sel:[0,0,1] op_sel_hi:[1,1,0] neg_lo:[0,0,1] neg_hi:[0,0,1]
	v_pk_fma_f32 v[142:143], v[144:145], v[134:135], v[142:143] op_sel:[0,0,1] op_sel_hi:[1,0,0]
	v_mov_b32_e32 v147, v143
	ds_load_2addr_b64 v[142:145], v136 offset0:46 offset1:47
	v_pk_add_f32 v[80:81], v[80:81], v[148:149] neg_lo:[0,1] neg_hi:[0,1]
	v_pk_add_f32 v[78:79], v[78:79], v[146:147] neg_lo:[0,1] neg_hi:[0,1]
	s_wait_dscnt 0x0
	v_pk_mul_f32 v[146:147], v[142:143], v[132:133] op_sel:[0,1]
	s_delay_alu instid0(VALU_DEP_1) | instskip(SKIP_2) | instid1(VALU_DEP_2)
	v_pk_fma_f32 v[148:149], v[142:143], v[134:135], v[146:147] op_sel:[0,0,1] op_sel_hi:[1,1,0] neg_lo:[0,0,1] neg_hi:[0,0,1]
	v_pk_fma_f32 v[142:143], v[142:143], v[134:135], v[146:147] op_sel:[0,0,1] op_sel_hi:[1,0,0]
	v_dual_mul_f32 v146, v145, v133 :: v_dual_mov_b32 v142, v145
	v_dual_mov_b32 v149, v143 :: v_dual_mov_b32 v143, v144
	s_delay_alu instid0(VALU_DEP_2) | instskip(SKIP_1) | instid1(VALU_DEP_3)
	v_pk_fma_f32 v[146:147], v[144:145], v[22:23], v[146:147] op_sel_hi:[1,1,0] neg_lo:[0,0,1] neg_hi:[0,0,1]
	v_mul_f32_e32 v144, v145, v134
	v_pk_add_f32 v[20:21], v[20:21], v[148:149] neg_lo:[0,1] neg_hi:[0,1]
	s_delay_alu instid0(VALU_DEP_2) | instskip(NEXT) | instid1(VALU_DEP_1)
	v_pk_fma_f32 v[142:143], v[142:143], v[22:23], v[144:145] op_sel_hi:[1,1,0]
	v_mov_b32_e32 v147, v143
	ds_load_2addr_b64 v[142:145], v136 offset0:48 offset1:49
	v_pk_add_f32 v[18:19], v[18:19], v[146:147] neg_lo:[0,1] neg_hi:[0,1]
	s_wait_dscnt 0x0
	v_pk_mul_f32 v[146:147], v[142:143], v[132:133] op_sel:[0,1]
	s_delay_alu instid0(VALU_DEP_1) | instskip(SKIP_1) | instid1(VALU_DEP_1)
	v_pk_fma_f32 v[148:149], v[142:143], v[134:135], v[146:147] op_sel:[0,0,1] op_sel_hi:[1,1,0] neg_lo:[0,0,1] neg_hi:[0,0,1]
	v_pk_fma_f32 v[142:143], v[142:143], v[134:135], v[146:147] op_sel:[0,0,1] op_sel_hi:[1,0,0]
	v_mov_b32_e32 v149, v143
	v_pk_mul_f32 v[142:143], v[144:145], v[132:133] op_sel:[0,1]
	s_delay_alu instid0(VALU_DEP_1) | instskip(SKIP_1) | instid1(VALU_DEP_1)
	v_pk_fma_f32 v[146:147], v[144:145], v[134:135], v[142:143] op_sel:[0,0,1] op_sel_hi:[1,1,0] neg_lo:[0,0,1] neg_hi:[0,0,1]
	v_pk_fma_f32 v[142:143], v[144:145], v[134:135], v[142:143] op_sel:[0,0,1] op_sel_hi:[1,0,0]
	v_mov_b32_e32 v147, v143
	ds_load_2addr_b64 v[142:145], v136 offset0:50 offset1:51
	v_pk_add_f32 v[76:77], v[76:77], v[148:149] neg_lo:[0,1] neg_hi:[0,1]
	v_pk_add_f32 v[74:75], v[74:75], v[146:147] neg_lo:[0,1] neg_hi:[0,1]
	s_wait_dscnt 0x0
	v_pk_mul_f32 v[146:147], v[142:143], v[132:133] op_sel:[0,1]
	s_delay_alu instid0(VALU_DEP_1) | instskip(SKIP_1) | instid1(VALU_DEP_1)
	v_pk_fma_f32 v[148:149], v[142:143], v[134:135], v[146:147] op_sel:[0,0,1] op_sel_hi:[1,1,0] neg_lo:[0,0,1] neg_hi:[0,0,1]
	v_pk_fma_f32 v[142:143], v[142:143], v[134:135], v[146:147] op_sel:[0,0,1] op_sel_hi:[1,0,0]
	v_mov_b32_e32 v149, v143
	v_pk_mul_f32 v[142:143], v[144:145], v[132:133] op_sel:[0,1]
	s_delay_alu instid0(VALU_DEP_1) | instskip(SKIP_1) | instid1(VALU_DEP_1)
	v_pk_fma_f32 v[146:147], v[144:145], v[134:135], v[142:143] op_sel:[0,0,1] op_sel_hi:[1,1,0] neg_lo:[0,0,1] neg_hi:[0,0,1]
	v_pk_fma_f32 v[142:143], v[144:145], v[134:135], v[142:143] op_sel:[0,0,1] op_sel_hi:[1,0,0]
	v_mov_b32_e32 v147, v143
	ds_load_2addr_b64 v[142:145], v136 offset0:52 offset1:53
	v_pk_add_f32 v[16:17], v[16:17], v[148:149] neg_lo:[0,1] neg_hi:[0,1]
	v_pk_add_f32 v[28:29], v[28:29], v[146:147] neg_lo:[0,1] neg_hi:[0,1]
	s_wait_dscnt 0x0
	v_dual_mul_f32 v146, v143, v133 :: v_dual_mul_f32 v148, v143, v134
	s_delay_alu instid0(VALU_DEP_1) | instskip(NEXT) | instid1(VALU_DEP_2)
	v_pk_fma_f32 v[146:147], v[142:143], v[22:23], v[146:147] op_sel_hi:[1,1,0] neg_lo:[0,0,1] neg_hi:[0,0,1]
	v_pk_fma_f32 v[142:143], v[142:143], v[22:23], v[148:149] op_sel:[1,0,0] op_sel_hi:[0,1,0]
	s_delay_alu instid0(VALU_DEP_1) | instskip(SKIP_1) | instid1(VALU_DEP_2)
	v_mov_b32_e32 v147, v143
	v_pk_mul_f32 v[142:143], v[144:145], v[132:133] op_sel:[0,1]
	v_pk_add_f32 v[68:69], v[68:69], v[146:147] neg_lo:[0,1] neg_hi:[0,1]
	s_delay_alu instid0(VALU_DEP_2) | instskip(SKIP_1) | instid1(VALU_DEP_1)
	v_pk_fma_f32 v[146:147], v[144:145], v[134:135], v[142:143] op_sel:[0,0,1] op_sel_hi:[1,1,0] neg_lo:[0,0,1] neg_hi:[0,0,1]
	v_pk_fma_f32 v[142:143], v[144:145], v[134:135], v[142:143] op_sel:[0,0,1] op_sel_hi:[1,0,0]
	v_mov_b32_e32 v147, v143
	ds_load_2addr_b64 v[142:145], v136 offset0:54 offset1:55
	v_pk_add_f32 v[66:67], v[66:67], v[146:147] neg_lo:[0,1] neg_hi:[0,1]
	s_wait_dscnt 0x0
	v_pk_mul_f32 v[146:147], v[142:143], v[132:133] op_sel:[0,1]
	s_delay_alu instid0(VALU_DEP_1) | instskip(SKIP_1) | instid1(VALU_DEP_1)
	v_pk_fma_f32 v[148:149], v[142:143], v[134:135], v[146:147] op_sel:[0,0,1] op_sel_hi:[1,1,0] neg_lo:[0,0,1] neg_hi:[0,0,1]
	v_pk_fma_f32 v[142:143], v[142:143], v[134:135], v[146:147] op_sel:[0,0,1] op_sel_hi:[1,0,0]
	v_mov_b32_e32 v149, v143
	v_pk_mul_f32 v[142:143], v[144:145], v[132:133] op_sel:[0,1]
	s_delay_alu instid0(VALU_DEP_2) | instskip(NEXT) | instid1(VALU_DEP_2)
	v_pk_add_f32 v[10:11], v[10:11], v[148:149] neg_lo:[0,1] neg_hi:[0,1]
	v_pk_fma_f32 v[146:147], v[144:145], v[134:135], v[142:143] op_sel:[0,0,1] op_sel_hi:[1,1,0] neg_lo:[0,0,1] neg_hi:[0,0,1]
	v_pk_fma_f32 v[142:143], v[144:145], v[134:135], v[142:143] op_sel:[0,0,1] op_sel_hi:[1,0,0]
	s_delay_alu instid0(VALU_DEP_1) | instskip(SKIP_4) | instid1(VALU_DEP_1)
	v_mov_b32_e32 v147, v143
	ds_load_2addr_b64 v[142:145], v136 offset0:56 offset1:57
	v_pk_add_f32 v[8:9], v[8:9], v[146:147] neg_lo:[0,1] neg_hi:[0,1]
	s_wait_dscnt 0x0
	v_pk_mul_f32 v[146:147], v[142:143], v[132:133] op_sel:[0,1]
	v_pk_fma_f32 v[148:149], v[142:143], v[134:135], v[146:147] op_sel:[0,0,1] op_sel_hi:[1,1,0] neg_lo:[0,0,1] neg_hi:[0,0,1]
	v_pk_fma_f32 v[142:143], v[142:143], v[134:135], v[146:147] op_sel:[0,0,1] op_sel_hi:[1,0,0]
	v_dual_mul_f32 v146, v145, v133 :: v_dual_mov_b32 v142, v145
	s_delay_alu instid0(VALU_DEP_2) | instskip(NEXT) | instid1(VALU_DEP_2)
	v_dual_mov_b32 v149, v143 :: v_dual_mov_b32 v143, v144
	v_pk_fma_f32 v[146:147], v[144:145], v[22:23], v[146:147] op_sel_hi:[1,1,0] neg_lo:[0,0,1] neg_hi:[0,0,1]
	v_mul_f32_e32 v144, v145, v134
	s_delay_alu instid0(VALU_DEP_3) | instskip(NEXT) | instid1(VALU_DEP_2)
	v_pk_add_f32 v[34:35], v[34:35], v[148:149] neg_lo:[0,1] neg_hi:[0,1]
	v_pk_fma_f32 v[142:143], v[142:143], v[22:23], v[144:145] op_sel_hi:[1,1,0]
	s_delay_alu instid0(VALU_DEP_1) | instskip(SKIP_4) | instid1(VALU_DEP_1)
	v_mov_b32_e32 v147, v143
	ds_load_2addr_b64 v[142:145], v136 offset0:58 offset1:59
	v_pk_add_f32 v[30:31], v[30:31], v[146:147] neg_lo:[0,1] neg_hi:[0,1]
	s_wait_dscnt 0x0
	v_pk_mul_f32 v[146:147], v[142:143], v[132:133] op_sel:[0,1]
	v_pk_fma_f32 v[148:149], v[142:143], v[134:135], v[146:147] op_sel:[0,0,1] op_sel_hi:[1,1,0] neg_lo:[0,0,1] neg_hi:[0,0,1]
	v_pk_fma_f32 v[142:143], v[142:143], v[134:135], v[146:147] op_sel:[0,0,1] op_sel_hi:[1,0,0]
	s_delay_alu instid0(VALU_DEP_1) | instskip(SKIP_1) | instid1(VALU_DEP_1)
	v_mov_b32_e32 v149, v143
	v_pk_mul_f32 v[142:143], v[144:145], v[132:133] op_sel:[0,1]
	v_pk_fma_f32 v[146:147], v[144:145], v[134:135], v[142:143] op_sel:[0,0,1] op_sel_hi:[1,1,0] neg_lo:[0,0,1] neg_hi:[0,0,1]
	v_pk_fma_f32 v[142:143], v[144:145], v[134:135], v[142:143] op_sel:[0,0,1] op_sel_hi:[1,0,0]
	s_delay_alu instid0(VALU_DEP_1)
	v_mov_b32_e32 v147, v143
	ds_load_2addr_b64 v[142:145], v136 offset0:60 offset1:61
	v_pk_add_f32 v[6:7], v[6:7], v[148:149] neg_lo:[0,1] neg_hi:[0,1]
	v_pk_add_f32 v[26:27], v[26:27], v[146:147] neg_lo:[0,1] neg_hi:[0,1]
	s_wait_dscnt 0x0
	v_pk_mul_f32 v[146:147], v[142:143], v[132:133] op_sel:[0,1]
	s_delay_alu instid0(VALU_DEP_1) | instskip(SKIP_1) | instid1(VALU_DEP_1)
	v_pk_fma_f32 v[148:149], v[142:143], v[134:135], v[146:147] op_sel:[0,0,1] op_sel_hi:[1,1,0] neg_lo:[0,0,1] neg_hi:[0,0,1]
	v_pk_fma_f32 v[142:143], v[142:143], v[134:135], v[146:147] op_sel:[0,0,1] op_sel_hi:[1,0,0]
	v_mov_b32_e32 v149, v143
	v_pk_mul_f32 v[142:143], v[144:145], v[132:133] op_sel:[0,1]
	s_delay_alu instid0(VALU_DEP_1) | instskip(SKIP_1) | instid1(VALU_DEP_1)
	v_pk_fma_f32 v[146:147], v[144:145], v[134:135], v[142:143] op_sel:[0,0,1] op_sel_hi:[1,1,0] neg_lo:[0,0,1] neg_hi:[0,0,1]
	v_pk_fma_f32 v[142:143], v[144:145], v[134:135], v[142:143] op_sel:[0,0,1] op_sel_hi:[1,0,0]
	v_mov_b32_e32 v147, v143
	ds_load_b64 v[142:143], v136 offset:496
	v_pk_add_f32 v[14:15], v[14:15], v[148:149] neg_lo:[0,1] neg_hi:[0,1]
	v_pk_add_f32 v[12:13], v[12:13], v[146:147] neg_lo:[0,1] neg_hi:[0,1]
	s_wait_dscnt 0x0
	v_pk_mul_f32 v[132:133], v[142:143], v[132:133] op_sel:[0,1]
	s_delay_alu instid0(VALU_DEP_1) | instskip(SKIP_1) | instid1(VALU_DEP_1)
	v_pk_fma_f32 v[144:145], v[142:143], v[134:135], v[132:133] op_sel:[0,0,1] op_sel_hi:[1,1,0] neg_lo:[0,0,1] neg_hi:[0,0,1]
	v_pk_fma_f32 v[132:133], v[142:143], v[134:135], v[132:133] op_sel:[0,0,1] op_sel_hi:[1,0,0]
	v_mov_b32_e32 v145, v133
	s_delay_alu instid0(VALU_DEP_1)
	v_pk_add_f32 v[130:131], v[130:131], v[144:145] neg_lo:[0,1] neg_hi:[0,1]
.LBB124_923:
	s_or_b32 exec_lo, exec_lo, s0
	v_lshl_add_u32 v132, v140, 3, v136
	s_barrier_signal -1
	s_barrier_wait -1
	ds_store_b64 v132, v[80:81]
	s_wait_dscnt 0x0
	s_barrier_signal -1
	s_barrier_wait -1
	ds_load_b64 v[132:133], v136 offset:352
	v_mov_b32_e32 v134, 44
	s_cmp_lt_i32 s18, 46
	s_cbranch_scc1 .LBB124_926
; %bb.924:
	v_add3_u32 v135, v137, 0, 0x168
	v_mov_b32_e32 v134, 44
	s_mov_b32 s0, 45
.LBB124_925:                            ; =>This Inner Loop Header: Depth=1
	ds_load_b64 v[142:143], v135
	s_wait_dscnt 0x1
	v_cmp_gt_f32_e32 vcc_lo, 0, v132
	v_cndmask_b32_e64 v144, v132, -v132, vcc_lo
	v_cmp_gt_f32_e32 vcc_lo, 0, v133
	v_cndmask_b32_e64 v146, v133, -v133, vcc_lo
	s_wait_dscnt 0x0
	v_cmp_gt_f32_e32 vcc_lo, 0, v142
	v_cndmask_b32_e64 v145, v142, -v142, vcc_lo
	v_cmp_gt_f32_e32 vcc_lo, 0, v143
	v_cndmask_b32_e64 v147, v143, -v143, vcc_lo
	s_delay_alu instid0(VALU_DEP_1) | instskip(NEXT) | instid1(VALU_DEP_1)
	v_pk_add_f32 v[144:145], v[144:145], v[146:147]
	v_cmp_lt_f32_e32 vcc_lo, v144, v145
	v_dual_cndmask_b32 v132, v132, v142 :: v_dual_add_nc_u32 v135, 8, v135
	v_cndmask_b32_e32 v133, v133, v143, vcc_lo
	v_cndmask_b32_e64 v134, v134, s0, vcc_lo
	s_add_co_i32 s0, s0, 1
	s_delay_alu instid0(SALU_CYCLE_1)
	s_cmp_lg_u32 s18, s0
	s_cbranch_scc1 .LBB124_925
.LBB124_926:
	s_wait_dscnt 0x0
	v_cmp_eq_f32_e32 vcc_lo, 0, v132
	v_cmp_eq_f32_e64 s0, 0, v133
	s_and_b32 s0, vcc_lo, s0
	s_delay_alu instid0(SALU_CYCLE_1) | instskip(NEXT) | instid1(SALU_CYCLE_1)
	s_and_saveexec_b32 s1, s0
	s_xor_b32 s0, exec_lo, s1
; %bb.927:
	v_cmp_ne_u32_e32 vcc_lo, 0, v138
	v_cndmask_b32_e32 v138, 45, v138, vcc_lo
; %bb.928:
	s_and_not1_saveexec_b32 s0, s0
	s_cbranch_execz .LBB124_934
; %bb.929:
	v_cmp_ngt_f32_e64 s1, |v132|, |v133|
	s_and_saveexec_b32 s12, s1
	s_delay_alu instid0(SALU_CYCLE_1)
	s_xor_b32 s1, exec_lo, s12
	s_cbranch_execz .LBB124_931
; %bb.930:
	v_div_scale_f32 v135, null, v133, v133, v132
	v_div_scale_f32 v143, vcc_lo, v132, v133, v132
	s_delay_alu instid0(VALU_DEP_2) | instskip(SKIP_1) | instid1(TRANS32_DEP_1)
	v_rcp_f32_e32 v141, v135
	v_nop
	v_fma_f32 v142, -v135, v141, 1.0
	s_delay_alu instid0(VALU_DEP_1) | instskip(NEXT) | instid1(VALU_DEP_1)
	v_fmac_f32_e32 v141, v142, v141
	v_mul_f32_e32 v142, v143, v141
	s_delay_alu instid0(VALU_DEP_1) | instskip(NEXT) | instid1(VALU_DEP_1)
	v_fma_f32 v144, -v135, v142, v143
	v_fmac_f32_e32 v142, v144, v141
	s_delay_alu instid0(VALU_DEP_1) | instskip(NEXT) | instid1(VALU_DEP_1)
	v_fma_f32 v135, -v135, v142, v143
	v_div_fmas_f32 v135, v135, v141, v142
	s_delay_alu instid0(VALU_DEP_1) | instskip(NEXT) | instid1(VALU_DEP_1)
	v_div_fixup_f32 v135, v135, v133, v132
	v_fmac_f32_e32 v133, v132, v135
	s_delay_alu instid0(VALU_DEP_1) | instskip(SKIP_1) | instid1(VALU_DEP_2)
	v_div_scale_f32 v132, null, v133, v133, 1.0
	v_div_scale_f32 v143, vcc_lo, 1.0, v133, 1.0
	v_rcp_f32_e32 v141, v132
	v_nop
	s_delay_alu instid0(TRANS32_DEP_1) | instskip(NEXT) | instid1(VALU_DEP_1)
	v_fma_f32 v142, -v132, v141, 1.0
	v_fmac_f32_e32 v141, v142, v141
	s_delay_alu instid0(VALU_DEP_1) | instskip(NEXT) | instid1(VALU_DEP_1)
	v_mul_f32_e32 v142, v143, v141
	v_fma_f32 v144, -v132, v142, v143
	s_delay_alu instid0(VALU_DEP_1) | instskip(NEXT) | instid1(VALU_DEP_1)
	v_fmac_f32_e32 v142, v144, v141
	v_fma_f32 v132, -v132, v142, v143
	s_delay_alu instid0(VALU_DEP_1) | instskip(NEXT) | instid1(VALU_DEP_1)
	v_div_fmas_f32 v132, v132, v141, v142
	v_div_fixup_f32 v133, v132, v133, 1.0
	s_delay_alu instid0(VALU_DEP_1)
	v_mul_f32_e32 v132, v135, v133
	v_xor_b32_e32 v133, 0x80000000, v133
.LBB124_931:
	s_and_not1_saveexec_b32 s1, s1
	s_cbranch_execz .LBB124_933
; %bb.932:
	s_delay_alu instid0(VALU_DEP_1) | instskip(SKIP_1) | instid1(VALU_DEP_2)
	v_div_scale_f32 v135, null, v132, v132, v133
	v_div_scale_f32 v143, vcc_lo, v133, v132, v133
	v_rcp_f32_e32 v141, v135
	v_nop
	s_delay_alu instid0(TRANS32_DEP_1) | instskip(NEXT) | instid1(VALU_DEP_1)
	v_fma_f32 v142, -v135, v141, 1.0
	v_fmac_f32_e32 v141, v142, v141
	s_delay_alu instid0(VALU_DEP_1) | instskip(NEXT) | instid1(VALU_DEP_1)
	v_mul_f32_e32 v142, v143, v141
	v_fma_f32 v144, -v135, v142, v143
	s_delay_alu instid0(VALU_DEP_1) | instskip(NEXT) | instid1(VALU_DEP_1)
	v_fmac_f32_e32 v142, v144, v141
	v_fma_f32 v135, -v135, v142, v143
	s_delay_alu instid0(VALU_DEP_1) | instskip(NEXT) | instid1(VALU_DEP_1)
	v_div_fmas_f32 v135, v135, v141, v142
	v_div_fixup_f32 v135, v135, v132, v133
	s_delay_alu instid0(VALU_DEP_1) | instskip(NEXT) | instid1(VALU_DEP_1)
	v_fmac_f32_e32 v132, v133, v135
	v_div_scale_f32 v133, null, v132, v132, 1.0
	s_delay_alu instid0(VALU_DEP_1) | instskip(SKIP_1) | instid1(TRANS32_DEP_1)
	v_rcp_f32_e32 v141, v133
	v_nop
	v_fma_f32 v142, -v133, v141, 1.0
	s_delay_alu instid0(VALU_DEP_1) | instskip(SKIP_1) | instid1(VALU_DEP_1)
	v_fmac_f32_e32 v141, v142, v141
	v_div_scale_f32 v142, vcc_lo, 1.0, v132, 1.0
	v_mul_f32_e32 v143, v142, v141
	s_delay_alu instid0(VALU_DEP_1) | instskip(NEXT) | instid1(VALU_DEP_1)
	v_fma_f32 v144, -v133, v143, v142
	v_fmac_f32_e32 v143, v144, v141
	s_delay_alu instid0(VALU_DEP_1) | instskip(NEXT) | instid1(VALU_DEP_1)
	v_fma_f32 v133, -v133, v143, v142
	v_div_fmas_f32 v133, v133, v141, v143
	s_delay_alu instid0(VALU_DEP_1) | instskip(NEXT) | instid1(VALU_DEP_1)
	v_div_fixup_f32 v132, v133, v132, 1.0
	v_mul_f32_e64 v133, v135, -v132
.LBB124_933:
	s_or_b32 exec_lo, exec_lo, s1
.LBB124_934:
	s_delay_alu instid0(SALU_CYCLE_1) | instskip(NEXT) | instid1(SALU_CYCLE_1)
	s_or_b32 exec_lo, exec_lo, s0
	s_mov_b32 s0, exec_lo
	v_cmpx_ne_u32_e64 v140, v134
	s_xor_b32 s0, exec_lo, s0
	s_cbranch_execz .LBB124_940
; %bb.935:
	s_mov_b32 s1, exec_lo
	v_cmpx_eq_u32_e32 44, v140
	s_cbranch_execz .LBB124_939
; %bb.936:
	v_cmp_ne_u32_e32 vcc_lo, 44, v134
	s_xor_b32 s12, s16, -1
	s_delay_alu instid0(SALU_CYCLE_1) | instskip(NEXT) | instid1(SALU_CYCLE_1)
	s_and_b32 s13, s12, vcc_lo
	s_and_saveexec_b32 s12, s13
	s_cbranch_execz .LBB124_938
; %bb.937:
	v_ashrrev_i32_e32 v135, 31, v134
	s_delay_alu instid0(VALU_DEP_1)
	v_lshl_add_u64 v[140:141], v[134:135], 2, v[4:5]
	s_clause 0x1
	global_load_b32 v135, v[140:141], off
	global_load_b32 v139, v[4:5], off offset:176
	s_wait_loadcnt 0x1
	global_store_b32 v[4:5], v135, off offset:176
	s_wait_loadcnt 0x0
	global_store_b32 v[140:141], v139, off
.LBB124_938:
	s_wait_xcnt 0x0
	s_or_b32 exec_lo, exec_lo, s12
	v_dual_mov_b32 v140, v134 :: v_dual_mov_b32 v139, v134
.LBB124_939:
	s_or_b32 exec_lo, exec_lo, s1
.LBB124_940:
	s_and_not1_saveexec_b32 s0, s0
	s_cbranch_execz .LBB124_942
; %bb.941:
	v_mov_b32_e32 v140, 44
	ds_store_2addr_b64 v136, v[78:79], v[20:21] offset0:45 offset1:46
	ds_store_2addr_b64 v136, v[18:19], v[76:77] offset0:47 offset1:48
	;; [unrolled: 1-line block ×9, first 2 shown]
.LBB124_942:
	s_or_b32 exec_lo, exec_lo, s0
	s_delay_alu instid0(SALU_CYCLE_1)
	s_mov_b32 s0, exec_lo
	s_wait_storecnt_dscnt 0x0
	s_barrier_signal -1
	s_barrier_wait -1
	v_cmpx_lt_i32_e32 44, v140
	s_cbranch_execz .LBB124_944
; %bb.943:
	v_pk_mul_f32 v[142:143], v[132:133], v[80:81] op_sel:[1,1] op_sel_hi:[0,1]
	s_delay_alu instid0(VALU_DEP_1)
	v_pk_fma_f32 v[134:135], v[132:133], v[80:81], v[142:143] op_sel_hi:[1,0,1] neg_lo:[0,0,1] neg_hi:[0,0,1]
	v_pk_fma_f32 v[132:133], v[132:133], v[80:81], v[142:143] op_sel_hi:[1,0,1]
	ds_load_2addr_b64 v[142:145], v136 offset0:45 offset1:46
	v_dual_mov_b32 v80, v134 :: v_dual_mov_b32 v81, v133
	s_wait_dscnt 0x0
	v_pk_mul_f32 v[146:147], v[142:143], v[132:133] op_sel:[0,1]
	s_delay_alu instid0(VALU_DEP_1) | instskip(SKIP_1) | instid1(VALU_DEP_1)
	v_pk_fma_f32 v[148:149], v[142:143], v[134:135], v[146:147] op_sel:[0,0,1] op_sel_hi:[1,1,0] neg_lo:[0,0,1] neg_hi:[0,0,1]
	v_pk_fma_f32 v[142:143], v[142:143], v[134:135], v[146:147] op_sel:[0,0,1] op_sel_hi:[1,0,0]
	v_mov_b32_e32 v149, v143
	v_pk_mul_f32 v[142:143], v[144:145], v[132:133] op_sel:[0,1]
	s_delay_alu instid0(VALU_DEP_1) | instskip(SKIP_1) | instid1(VALU_DEP_1)
	v_pk_fma_f32 v[146:147], v[144:145], v[134:135], v[142:143] op_sel:[0,0,1] op_sel_hi:[1,1,0] neg_lo:[0,0,1] neg_hi:[0,0,1]
	v_pk_fma_f32 v[142:143], v[144:145], v[134:135], v[142:143] op_sel:[0,0,1] op_sel_hi:[1,0,0]
	v_mov_b32_e32 v147, v143
	ds_load_2addr_b64 v[142:145], v136 offset0:47 offset1:48
	v_pk_add_f32 v[78:79], v[78:79], v[148:149] neg_lo:[0,1] neg_hi:[0,1]
	v_pk_add_f32 v[20:21], v[20:21], v[146:147] neg_lo:[0,1] neg_hi:[0,1]
	s_wait_dscnt 0x0
	v_pk_mul_f32 v[146:147], v[142:143], v[132:133] op_sel:[0,1]
	s_delay_alu instid0(VALU_DEP_1) | instskip(SKIP_2) | instid1(VALU_DEP_2)
	v_pk_fma_f32 v[148:149], v[142:143], v[134:135], v[146:147] op_sel:[0,0,1] op_sel_hi:[1,1,0] neg_lo:[0,0,1] neg_hi:[0,0,1]
	v_pk_fma_f32 v[142:143], v[142:143], v[134:135], v[146:147] op_sel:[0,0,1] op_sel_hi:[1,0,0]
	v_dual_mul_f32 v146, v145, v133 :: v_dual_mov_b32 v142, v145
	v_dual_mov_b32 v149, v143 :: v_dual_mov_b32 v143, v144
	s_delay_alu instid0(VALU_DEP_2) | instskip(SKIP_1) | instid1(VALU_DEP_3)
	v_pk_fma_f32 v[146:147], v[144:145], v[80:81], v[146:147] op_sel_hi:[1,1,0] neg_lo:[0,0,1] neg_hi:[0,0,1]
	v_mul_f32_e32 v144, v145, v134
	v_pk_add_f32 v[18:19], v[18:19], v[148:149] neg_lo:[0,1] neg_hi:[0,1]
	s_delay_alu instid0(VALU_DEP_2) | instskip(NEXT) | instid1(VALU_DEP_1)
	v_pk_fma_f32 v[142:143], v[142:143], v[80:81], v[144:145] op_sel_hi:[1,1,0]
	v_mov_b32_e32 v147, v143
	ds_load_2addr_b64 v[142:145], v136 offset0:49 offset1:50
	v_pk_add_f32 v[76:77], v[76:77], v[146:147] neg_lo:[0,1] neg_hi:[0,1]
	s_wait_dscnt 0x0
	v_pk_mul_f32 v[146:147], v[142:143], v[132:133] op_sel:[0,1]
	s_delay_alu instid0(VALU_DEP_1) | instskip(SKIP_1) | instid1(VALU_DEP_1)
	v_pk_fma_f32 v[148:149], v[142:143], v[134:135], v[146:147] op_sel:[0,0,1] op_sel_hi:[1,1,0] neg_lo:[0,0,1] neg_hi:[0,0,1]
	v_pk_fma_f32 v[142:143], v[142:143], v[134:135], v[146:147] op_sel:[0,0,1] op_sel_hi:[1,0,0]
	v_mov_b32_e32 v149, v143
	v_pk_mul_f32 v[142:143], v[144:145], v[132:133] op_sel:[0,1]
	s_delay_alu instid0(VALU_DEP_1) | instskip(SKIP_1) | instid1(VALU_DEP_1)
	v_pk_fma_f32 v[146:147], v[144:145], v[134:135], v[142:143] op_sel:[0,0,1] op_sel_hi:[1,1,0] neg_lo:[0,0,1] neg_hi:[0,0,1]
	v_pk_fma_f32 v[142:143], v[144:145], v[134:135], v[142:143] op_sel:[0,0,1] op_sel_hi:[1,0,0]
	v_mov_b32_e32 v147, v143
	ds_load_2addr_b64 v[142:145], v136 offset0:51 offset1:52
	v_pk_add_f32 v[74:75], v[74:75], v[148:149] neg_lo:[0,1] neg_hi:[0,1]
	v_pk_add_f32 v[16:17], v[16:17], v[146:147] neg_lo:[0,1] neg_hi:[0,1]
	s_wait_dscnt 0x0
	v_pk_mul_f32 v[146:147], v[142:143], v[132:133] op_sel:[0,1]
	s_delay_alu instid0(VALU_DEP_1) | instskip(SKIP_1) | instid1(VALU_DEP_1)
	v_pk_fma_f32 v[148:149], v[142:143], v[134:135], v[146:147] op_sel:[0,0,1] op_sel_hi:[1,1,0] neg_lo:[0,0,1] neg_hi:[0,0,1]
	v_pk_fma_f32 v[142:143], v[142:143], v[134:135], v[146:147] op_sel:[0,0,1] op_sel_hi:[1,0,0]
	v_mov_b32_e32 v149, v143
	v_pk_mul_f32 v[142:143], v[144:145], v[132:133] op_sel:[0,1]
	s_delay_alu instid0(VALU_DEP_1) | instskip(SKIP_1) | instid1(VALU_DEP_1)
	v_pk_fma_f32 v[146:147], v[144:145], v[134:135], v[142:143] op_sel:[0,0,1] op_sel_hi:[1,1,0] neg_lo:[0,0,1] neg_hi:[0,0,1]
	v_pk_fma_f32 v[142:143], v[144:145], v[134:135], v[142:143] op_sel:[0,0,1] op_sel_hi:[1,0,0]
	v_mov_b32_e32 v147, v143
	ds_load_2addr_b64 v[142:145], v136 offset0:53 offset1:54
	v_pk_add_f32 v[28:29], v[28:29], v[148:149] neg_lo:[0,1] neg_hi:[0,1]
	v_pk_add_f32 v[68:69], v[68:69], v[146:147] neg_lo:[0,1] neg_hi:[0,1]
	s_wait_dscnt 0x0
	v_dual_mul_f32 v146, v143, v133 :: v_dual_mul_f32 v148, v143, v134
	s_delay_alu instid0(VALU_DEP_1) | instskip(NEXT) | instid1(VALU_DEP_2)
	v_pk_fma_f32 v[146:147], v[142:143], v[80:81], v[146:147] op_sel_hi:[1,1,0] neg_lo:[0,0,1] neg_hi:[0,0,1]
	v_pk_fma_f32 v[142:143], v[142:143], v[80:81], v[148:149] op_sel:[1,0,0] op_sel_hi:[0,1,0]
	s_delay_alu instid0(VALU_DEP_1) | instskip(SKIP_1) | instid1(VALU_DEP_2)
	v_mov_b32_e32 v147, v143
	v_pk_mul_f32 v[142:143], v[144:145], v[132:133] op_sel:[0,1]
	v_pk_add_f32 v[66:67], v[66:67], v[146:147] neg_lo:[0,1] neg_hi:[0,1]
	s_delay_alu instid0(VALU_DEP_2) | instskip(SKIP_1) | instid1(VALU_DEP_1)
	v_pk_fma_f32 v[146:147], v[144:145], v[134:135], v[142:143] op_sel:[0,0,1] op_sel_hi:[1,1,0] neg_lo:[0,0,1] neg_hi:[0,0,1]
	v_pk_fma_f32 v[142:143], v[144:145], v[134:135], v[142:143] op_sel:[0,0,1] op_sel_hi:[1,0,0]
	v_mov_b32_e32 v147, v143
	ds_load_2addr_b64 v[142:145], v136 offset0:55 offset1:56
	v_pk_add_f32 v[10:11], v[10:11], v[146:147] neg_lo:[0,1] neg_hi:[0,1]
	s_wait_dscnt 0x0
	v_pk_mul_f32 v[146:147], v[142:143], v[132:133] op_sel:[0,1]
	s_delay_alu instid0(VALU_DEP_1) | instskip(SKIP_1) | instid1(VALU_DEP_1)
	v_pk_fma_f32 v[148:149], v[142:143], v[134:135], v[146:147] op_sel:[0,0,1] op_sel_hi:[1,1,0] neg_lo:[0,0,1] neg_hi:[0,0,1]
	v_pk_fma_f32 v[142:143], v[142:143], v[134:135], v[146:147] op_sel:[0,0,1] op_sel_hi:[1,0,0]
	v_mov_b32_e32 v149, v143
	v_pk_mul_f32 v[142:143], v[144:145], v[132:133] op_sel:[0,1]
	s_delay_alu instid0(VALU_DEP_2) | instskip(NEXT) | instid1(VALU_DEP_2)
	v_pk_add_f32 v[8:9], v[8:9], v[148:149] neg_lo:[0,1] neg_hi:[0,1]
	v_pk_fma_f32 v[146:147], v[144:145], v[134:135], v[142:143] op_sel:[0,0,1] op_sel_hi:[1,1,0] neg_lo:[0,0,1] neg_hi:[0,0,1]
	v_pk_fma_f32 v[142:143], v[144:145], v[134:135], v[142:143] op_sel:[0,0,1] op_sel_hi:[1,0,0]
	s_delay_alu instid0(VALU_DEP_1) | instskip(SKIP_4) | instid1(VALU_DEP_1)
	v_mov_b32_e32 v147, v143
	ds_load_2addr_b64 v[142:145], v136 offset0:57 offset1:58
	v_pk_add_f32 v[34:35], v[34:35], v[146:147] neg_lo:[0,1] neg_hi:[0,1]
	s_wait_dscnt 0x0
	v_pk_mul_f32 v[146:147], v[142:143], v[132:133] op_sel:[0,1]
	v_pk_fma_f32 v[148:149], v[142:143], v[134:135], v[146:147] op_sel:[0,0,1] op_sel_hi:[1,1,0] neg_lo:[0,0,1] neg_hi:[0,0,1]
	v_pk_fma_f32 v[142:143], v[142:143], v[134:135], v[146:147] op_sel:[0,0,1] op_sel_hi:[1,0,0]
	v_dual_mul_f32 v146, v145, v133 :: v_dual_mov_b32 v142, v145
	s_delay_alu instid0(VALU_DEP_2) | instskip(NEXT) | instid1(VALU_DEP_2)
	v_dual_mov_b32 v149, v143 :: v_dual_mov_b32 v143, v144
	v_pk_fma_f32 v[146:147], v[144:145], v[80:81], v[146:147] op_sel_hi:[1,1,0] neg_lo:[0,0,1] neg_hi:[0,0,1]
	v_mul_f32_e32 v144, v145, v134
	s_delay_alu instid0(VALU_DEP_3) | instskip(NEXT) | instid1(VALU_DEP_2)
	v_pk_add_f32 v[30:31], v[30:31], v[148:149] neg_lo:[0,1] neg_hi:[0,1]
	v_pk_fma_f32 v[142:143], v[142:143], v[80:81], v[144:145] op_sel_hi:[1,1,0]
	s_delay_alu instid0(VALU_DEP_1) | instskip(SKIP_4) | instid1(VALU_DEP_1)
	v_mov_b32_e32 v147, v143
	ds_load_2addr_b64 v[142:145], v136 offset0:59 offset1:60
	v_pk_add_f32 v[6:7], v[6:7], v[146:147] neg_lo:[0,1] neg_hi:[0,1]
	s_wait_dscnt 0x0
	v_pk_mul_f32 v[146:147], v[142:143], v[132:133] op_sel:[0,1]
	v_pk_fma_f32 v[148:149], v[142:143], v[134:135], v[146:147] op_sel:[0,0,1] op_sel_hi:[1,1,0] neg_lo:[0,0,1] neg_hi:[0,0,1]
	v_pk_fma_f32 v[142:143], v[142:143], v[134:135], v[146:147] op_sel:[0,0,1] op_sel_hi:[1,0,0]
	s_delay_alu instid0(VALU_DEP_1) | instskip(SKIP_1) | instid1(VALU_DEP_1)
	v_mov_b32_e32 v149, v143
	v_pk_mul_f32 v[142:143], v[144:145], v[132:133] op_sel:[0,1]
	v_pk_fma_f32 v[146:147], v[144:145], v[134:135], v[142:143] op_sel:[0,0,1] op_sel_hi:[1,1,0] neg_lo:[0,0,1] neg_hi:[0,0,1]
	v_pk_fma_f32 v[142:143], v[144:145], v[134:135], v[142:143] op_sel:[0,0,1] op_sel_hi:[1,0,0]
	s_delay_alu instid0(VALU_DEP_1)
	v_mov_b32_e32 v147, v143
	ds_load_2addr_b64 v[142:145], v136 offset0:61 offset1:62
	v_pk_add_f32 v[26:27], v[26:27], v[148:149] neg_lo:[0,1] neg_hi:[0,1]
	v_pk_add_f32 v[14:15], v[14:15], v[146:147] neg_lo:[0,1] neg_hi:[0,1]
	s_wait_dscnt 0x0
	v_pk_mul_f32 v[146:147], v[142:143], v[132:133] op_sel:[0,1]
	v_mul_f32_e32 v132, v145, v133
	s_delay_alu instid0(VALU_DEP_2) | instskip(SKIP_2) | instid1(VALU_DEP_4)
	v_pk_fma_f32 v[148:149], v[142:143], v[134:135], v[146:147] op_sel:[0,0,1] op_sel_hi:[1,1,0] neg_lo:[0,0,1] neg_hi:[0,0,1]
	v_pk_fma_f32 v[142:143], v[142:143], v[134:135], v[146:147] op_sel:[0,0,1] op_sel_hi:[1,0,0]
	v_dual_mov_b32 v142, v145 :: v_dual_mul_f32 v134, v145, v134
	v_pk_fma_f32 v[132:133], v[144:145], v[80:81], v[132:133] op_sel_hi:[1,1,0] neg_lo:[0,0,1] neg_hi:[0,0,1]
	s_delay_alu instid0(VALU_DEP_3) | instskip(NEXT) | instid1(VALU_DEP_1)
	v_dual_mov_b32 v149, v143 :: v_dual_mov_b32 v143, v144
	v_pk_add_f32 v[12:13], v[12:13], v[148:149] neg_lo:[0,1] neg_hi:[0,1]
	s_delay_alu instid0(VALU_DEP_2) | instskip(NEXT) | instid1(VALU_DEP_1)
	v_pk_fma_f32 v[134:135], v[142:143], v[80:81], v[134:135] op_sel_hi:[1,1,0]
	v_mov_b32_e32 v133, v135
	s_delay_alu instid0(VALU_DEP_1)
	v_pk_add_f32 v[130:131], v[130:131], v[132:133] neg_lo:[0,1] neg_hi:[0,1]
.LBB124_944:
	s_or_b32 exec_lo, exec_lo, s0
	v_lshl_add_u32 v132, v140, 3, v136
	s_barrier_signal -1
	s_barrier_wait -1
	ds_store_b64 v132, v[78:79]
	s_wait_dscnt 0x0
	s_barrier_signal -1
	s_barrier_wait -1
	ds_load_b64 v[132:133], v136 offset:360
	v_mov_b32_e32 v134, 45
	s_cmp_lt_i32 s18, 47
	s_cbranch_scc1 .LBB124_947
; %bb.945:
	v_add3_u32 v135, v137, 0, 0x170
	v_mov_b32_e32 v134, 45
	s_mov_b32 s0, 46
.LBB124_946:                            ; =>This Inner Loop Header: Depth=1
	ds_load_b64 v[142:143], v135
	s_wait_dscnt 0x1
	v_cmp_gt_f32_e32 vcc_lo, 0, v132
	v_cndmask_b32_e64 v144, v132, -v132, vcc_lo
	v_cmp_gt_f32_e32 vcc_lo, 0, v133
	v_cndmask_b32_e64 v146, v133, -v133, vcc_lo
	s_wait_dscnt 0x0
	v_cmp_gt_f32_e32 vcc_lo, 0, v142
	v_cndmask_b32_e64 v145, v142, -v142, vcc_lo
	v_cmp_gt_f32_e32 vcc_lo, 0, v143
	v_cndmask_b32_e64 v147, v143, -v143, vcc_lo
	s_delay_alu instid0(VALU_DEP_1) | instskip(NEXT) | instid1(VALU_DEP_1)
	v_pk_add_f32 v[144:145], v[144:145], v[146:147]
	v_cmp_lt_f32_e32 vcc_lo, v144, v145
	v_dual_cndmask_b32 v132, v132, v142 :: v_dual_add_nc_u32 v135, 8, v135
	v_cndmask_b32_e32 v133, v133, v143, vcc_lo
	v_cndmask_b32_e64 v134, v134, s0, vcc_lo
	s_add_co_i32 s0, s0, 1
	s_delay_alu instid0(SALU_CYCLE_1)
	s_cmp_lg_u32 s18, s0
	s_cbranch_scc1 .LBB124_946
.LBB124_947:
	s_wait_dscnt 0x0
	v_cmp_eq_f32_e32 vcc_lo, 0, v132
	v_cmp_eq_f32_e64 s0, 0, v133
	s_and_b32 s0, vcc_lo, s0
	s_delay_alu instid0(SALU_CYCLE_1) | instskip(NEXT) | instid1(SALU_CYCLE_1)
	s_and_saveexec_b32 s1, s0
	s_xor_b32 s0, exec_lo, s1
; %bb.948:
	v_cmp_ne_u32_e32 vcc_lo, 0, v138
	v_cndmask_b32_e32 v138, 46, v138, vcc_lo
; %bb.949:
	s_and_not1_saveexec_b32 s0, s0
	s_cbranch_execz .LBB124_955
; %bb.950:
	v_cmp_ngt_f32_e64 s1, |v132|, |v133|
	s_and_saveexec_b32 s12, s1
	s_delay_alu instid0(SALU_CYCLE_1)
	s_xor_b32 s1, exec_lo, s12
	s_cbranch_execz .LBB124_952
; %bb.951:
	v_div_scale_f32 v135, null, v133, v133, v132
	v_div_scale_f32 v143, vcc_lo, v132, v133, v132
	s_delay_alu instid0(VALU_DEP_2) | instskip(SKIP_1) | instid1(TRANS32_DEP_1)
	v_rcp_f32_e32 v141, v135
	v_nop
	v_fma_f32 v142, -v135, v141, 1.0
	s_delay_alu instid0(VALU_DEP_1) | instskip(NEXT) | instid1(VALU_DEP_1)
	v_fmac_f32_e32 v141, v142, v141
	v_mul_f32_e32 v142, v143, v141
	s_delay_alu instid0(VALU_DEP_1) | instskip(NEXT) | instid1(VALU_DEP_1)
	v_fma_f32 v144, -v135, v142, v143
	v_fmac_f32_e32 v142, v144, v141
	s_delay_alu instid0(VALU_DEP_1) | instskip(NEXT) | instid1(VALU_DEP_1)
	v_fma_f32 v135, -v135, v142, v143
	v_div_fmas_f32 v135, v135, v141, v142
	s_delay_alu instid0(VALU_DEP_1) | instskip(NEXT) | instid1(VALU_DEP_1)
	v_div_fixup_f32 v135, v135, v133, v132
	v_fmac_f32_e32 v133, v132, v135
	s_delay_alu instid0(VALU_DEP_1) | instskip(SKIP_1) | instid1(VALU_DEP_2)
	v_div_scale_f32 v132, null, v133, v133, 1.0
	v_div_scale_f32 v143, vcc_lo, 1.0, v133, 1.0
	v_rcp_f32_e32 v141, v132
	v_nop
	s_delay_alu instid0(TRANS32_DEP_1) | instskip(NEXT) | instid1(VALU_DEP_1)
	v_fma_f32 v142, -v132, v141, 1.0
	v_fmac_f32_e32 v141, v142, v141
	s_delay_alu instid0(VALU_DEP_1) | instskip(NEXT) | instid1(VALU_DEP_1)
	v_mul_f32_e32 v142, v143, v141
	v_fma_f32 v144, -v132, v142, v143
	s_delay_alu instid0(VALU_DEP_1) | instskip(NEXT) | instid1(VALU_DEP_1)
	v_fmac_f32_e32 v142, v144, v141
	v_fma_f32 v132, -v132, v142, v143
	s_delay_alu instid0(VALU_DEP_1) | instskip(NEXT) | instid1(VALU_DEP_1)
	v_div_fmas_f32 v132, v132, v141, v142
	v_div_fixup_f32 v133, v132, v133, 1.0
	s_delay_alu instid0(VALU_DEP_1)
	v_mul_f32_e32 v132, v135, v133
	v_xor_b32_e32 v133, 0x80000000, v133
.LBB124_952:
	s_and_not1_saveexec_b32 s1, s1
	s_cbranch_execz .LBB124_954
; %bb.953:
	s_delay_alu instid0(VALU_DEP_1) | instskip(SKIP_1) | instid1(VALU_DEP_2)
	v_div_scale_f32 v135, null, v132, v132, v133
	v_div_scale_f32 v143, vcc_lo, v133, v132, v133
	v_rcp_f32_e32 v141, v135
	v_nop
	s_delay_alu instid0(TRANS32_DEP_1) | instskip(NEXT) | instid1(VALU_DEP_1)
	v_fma_f32 v142, -v135, v141, 1.0
	v_fmac_f32_e32 v141, v142, v141
	s_delay_alu instid0(VALU_DEP_1) | instskip(NEXT) | instid1(VALU_DEP_1)
	v_mul_f32_e32 v142, v143, v141
	v_fma_f32 v144, -v135, v142, v143
	s_delay_alu instid0(VALU_DEP_1) | instskip(NEXT) | instid1(VALU_DEP_1)
	v_fmac_f32_e32 v142, v144, v141
	v_fma_f32 v135, -v135, v142, v143
	s_delay_alu instid0(VALU_DEP_1) | instskip(NEXT) | instid1(VALU_DEP_1)
	v_div_fmas_f32 v135, v135, v141, v142
	v_div_fixup_f32 v135, v135, v132, v133
	s_delay_alu instid0(VALU_DEP_1) | instskip(NEXT) | instid1(VALU_DEP_1)
	v_fmac_f32_e32 v132, v133, v135
	v_div_scale_f32 v133, null, v132, v132, 1.0
	s_delay_alu instid0(VALU_DEP_1) | instskip(SKIP_1) | instid1(TRANS32_DEP_1)
	v_rcp_f32_e32 v141, v133
	v_nop
	v_fma_f32 v142, -v133, v141, 1.0
	s_delay_alu instid0(VALU_DEP_1) | instskip(SKIP_1) | instid1(VALU_DEP_1)
	v_fmac_f32_e32 v141, v142, v141
	v_div_scale_f32 v142, vcc_lo, 1.0, v132, 1.0
	v_mul_f32_e32 v143, v142, v141
	s_delay_alu instid0(VALU_DEP_1) | instskip(NEXT) | instid1(VALU_DEP_1)
	v_fma_f32 v144, -v133, v143, v142
	v_fmac_f32_e32 v143, v144, v141
	s_delay_alu instid0(VALU_DEP_1) | instskip(NEXT) | instid1(VALU_DEP_1)
	v_fma_f32 v133, -v133, v143, v142
	v_div_fmas_f32 v133, v133, v141, v143
	s_delay_alu instid0(VALU_DEP_1) | instskip(NEXT) | instid1(VALU_DEP_1)
	v_div_fixup_f32 v132, v133, v132, 1.0
	v_mul_f32_e64 v133, v135, -v132
.LBB124_954:
	s_or_b32 exec_lo, exec_lo, s1
.LBB124_955:
	s_delay_alu instid0(SALU_CYCLE_1) | instskip(NEXT) | instid1(SALU_CYCLE_1)
	s_or_b32 exec_lo, exec_lo, s0
	s_mov_b32 s0, exec_lo
	v_cmpx_ne_u32_e64 v140, v134
	s_xor_b32 s0, exec_lo, s0
	s_cbranch_execz .LBB124_961
; %bb.956:
	s_mov_b32 s1, exec_lo
	v_cmpx_eq_u32_e32 45, v140
	s_cbranch_execz .LBB124_960
; %bb.957:
	v_cmp_ne_u32_e32 vcc_lo, 45, v134
	s_xor_b32 s12, s16, -1
	s_delay_alu instid0(SALU_CYCLE_1) | instskip(NEXT) | instid1(SALU_CYCLE_1)
	s_and_b32 s13, s12, vcc_lo
	s_and_saveexec_b32 s12, s13
	s_cbranch_execz .LBB124_959
; %bb.958:
	v_ashrrev_i32_e32 v135, 31, v134
	s_delay_alu instid0(VALU_DEP_1)
	v_lshl_add_u64 v[140:141], v[134:135], 2, v[4:5]
	s_clause 0x1
	global_load_b32 v135, v[140:141], off
	global_load_b32 v139, v[4:5], off offset:180
	s_wait_loadcnt 0x1
	global_store_b32 v[4:5], v135, off offset:180
	s_wait_loadcnt 0x0
	global_store_b32 v[140:141], v139, off
.LBB124_959:
	s_wait_xcnt 0x0
	s_or_b32 exec_lo, exec_lo, s12
	v_dual_mov_b32 v140, v134 :: v_dual_mov_b32 v139, v134
.LBB124_960:
	s_or_b32 exec_lo, exec_lo, s1
.LBB124_961:
	s_and_not1_saveexec_b32 s0, s0
	s_cbranch_execz .LBB124_963
; %bb.962:
	v_dual_mov_b32 v134, v20 :: v_dual_mov_b32 v135, v21
	v_dual_mov_b32 v140, v18 :: v_dual_mov_b32 v141, v19
	;; [unrolled: 1-line block ×8, first 2 shown]
	ds_store_2addr_b64 v136, v[134:135], v[140:141] offset0:46 offset1:47
	ds_store_2addr_b64 v136, v[142:143], v[144:145] offset0:48 offset1:49
	;; [unrolled: 1-line block ×4, first 2 shown]
	v_dual_mov_b32 v134, v10 :: v_dual_mov_b32 v135, v11
	v_dual_mov_b32 v142, v8 :: v_dual_mov_b32 v143, v9
	;; [unrolled: 1-line block ×8, first 2 shown]
	v_mov_b32_e32 v155, v13
	ds_store_2addr_b64 v136, v[134:135], v[142:143] offset0:54 offset1:55
	ds_store_2addr_b64 v136, v[144:145], v[146:147] offset0:56 offset1:57
	;; [unrolled: 1-line block ×4, first 2 shown]
	ds_store_b64 v136, v[130:131] offset:496
.LBB124_963:
	s_or_b32 exec_lo, exec_lo, s0
	s_delay_alu instid0(SALU_CYCLE_1)
	s_mov_b32 s0, exec_lo
	s_wait_storecnt_dscnt 0x0
	s_barrier_signal -1
	s_barrier_wait -1
	v_cmpx_lt_i32_e32 45, v140
	s_cbranch_execz .LBB124_965
; %bb.964:
	v_pk_mul_f32 v[142:143], v[132:133], v[78:79] op_sel:[1,1] op_sel_hi:[0,1]
	s_delay_alu instid0(VALU_DEP_1)
	v_pk_fma_f32 v[134:135], v[132:133], v[78:79], v[142:143] op_sel_hi:[1,0,1] neg_lo:[0,0,1] neg_hi:[0,0,1]
	v_pk_fma_f32 v[132:133], v[132:133], v[78:79], v[142:143] op_sel_hi:[1,0,1]
	ds_load_2addr_b64 v[142:145], v136 offset0:46 offset1:47
	v_dual_mov_b32 v78, v134 :: v_dual_mov_b32 v79, v133
	s_wait_dscnt 0x0
	v_pk_mul_f32 v[146:147], v[142:143], v[132:133] op_sel:[0,1]
	s_delay_alu instid0(VALU_DEP_1) | instskip(SKIP_1) | instid1(VALU_DEP_1)
	v_pk_fma_f32 v[148:149], v[142:143], v[134:135], v[146:147] op_sel:[0,0,1] op_sel_hi:[1,1,0] neg_lo:[0,0,1] neg_hi:[0,0,1]
	v_pk_fma_f32 v[142:143], v[142:143], v[134:135], v[146:147] op_sel:[0,0,1] op_sel_hi:[1,0,0]
	v_mov_b32_e32 v149, v143
	v_pk_mul_f32 v[142:143], v[144:145], v[132:133] op_sel:[0,1]
	s_delay_alu instid0(VALU_DEP_1) | instskip(SKIP_1) | instid1(VALU_DEP_1)
	v_pk_fma_f32 v[146:147], v[144:145], v[134:135], v[142:143] op_sel:[0,0,1] op_sel_hi:[1,1,0] neg_lo:[0,0,1] neg_hi:[0,0,1]
	v_pk_fma_f32 v[142:143], v[144:145], v[134:135], v[142:143] op_sel:[0,0,1] op_sel_hi:[1,0,0]
	v_mov_b32_e32 v147, v143
	ds_load_2addr_b64 v[142:145], v136 offset0:48 offset1:49
	v_pk_add_f32 v[20:21], v[20:21], v[148:149] neg_lo:[0,1] neg_hi:[0,1]
	v_pk_add_f32 v[18:19], v[18:19], v[146:147] neg_lo:[0,1] neg_hi:[0,1]
	s_wait_dscnt 0x0
	v_pk_mul_f32 v[146:147], v[142:143], v[132:133] op_sel:[0,1]
	s_delay_alu instid0(VALU_DEP_1) | instskip(SKIP_2) | instid1(VALU_DEP_2)
	v_pk_fma_f32 v[148:149], v[142:143], v[134:135], v[146:147] op_sel:[0,0,1] op_sel_hi:[1,1,0] neg_lo:[0,0,1] neg_hi:[0,0,1]
	v_pk_fma_f32 v[142:143], v[142:143], v[134:135], v[146:147] op_sel:[0,0,1] op_sel_hi:[1,0,0]
	v_dual_mul_f32 v146, v145, v133 :: v_dual_mov_b32 v142, v145
	v_dual_mov_b32 v149, v143 :: v_dual_mov_b32 v143, v144
	s_delay_alu instid0(VALU_DEP_2) | instskip(SKIP_1) | instid1(VALU_DEP_3)
	v_pk_fma_f32 v[146:147], v[144:145], v[78:79], v[146:147] op_sel_hi:[1,1,0] neg_lo:[0,0,1] neg_hi:[0,0,1]
	v_mul_f32_e32 v144, v145, v134
	v_pk_add_f32 v[76:77], v[76:77], v[148:149] neg_lo:[0,1] neg_hi:[0,1]
	s_delay_alu instid0(VALU_DEP_2) | instskip(NEXT) | instid1(VALU_DEP_1)
	v_pk_fma_f32 v[142:143], v[142:143], v[78:79], v[144:145] op_sel_hi:[1,1,0]
	v_mov_b32_e32 v147, v143
	ds_load_2addr_b64 v[142:145], v136 offset0:50 offset1:51
	v_pk_add_f32 v[74:75], v[74:75], v[146:147] neg_lo:[0,1] neg_hi:[0,1]
	s_wait_dscnt 0x0
	v_pk_mul_f32 v[146:147], v[142:143], v[132:133] op_sel:[0,1]
	s_delay_alu instid0(VALU_DEP_1) | instskip(SKIP_1) | instid1(VALU_DEP_1)
	v_pk_fma_f32 v[148:149], v[142:143], v[134:135], v[146:147] op_sel:[0,0,1] op_sel_hi:[1,1,0] neg_lo:[0,0,1] neg_hi:[0,0,1]
	v_pk_fma_f32 v[142:143], v[142:143], v[134:135], v[146:147] op_sel:[0,0,1] op_sel_hi:[1,0,0]
	v_mov_b32_e32 v149, v143
	v_pk_mul_f32 v[142:143], v[144:145], v[132:133] op_sel:[0,1]
	s_delay_alu instid0(VALU_DEP_1) | instskip(SKIP_1) | instid1(VALU_DEP_1)
	v_pk_fma_f32 v[146:147], v[144:145], v[134:135], v[142:143] op_sel:[0,0,1] op_sel_hi:[1,1,0] neg_lo:[0,0,1] neg_hi:[0,0,1]
	v_pk_fma_f32 v[142:143], v[144:145], v[134:135], v[142:143] op_sel:[0,0,1] op_sel_hi:[1,0,0]
	v_mov_b32_e32 v147, v143
	ds_load_2addr_b64 v[142:145], v136 offset0:52 offset1:53
	v_pk_add_f32 v[16:17], v[16:17], v[148:149] neg_lo:[0,1] neg_hi:[0,1]
	v_pk_add_f32 v[28:29], v[28:29], v[146:147] neg_lo:[0,1] neg_hi:[0,1]
	s_wait_dscnt 0x0
	v_pk_mul_f32 v[146:147], v[142:143], v[132:133] op_sel:[0,1]
	s_delay_alu instid0(VALU_DEP_1) | instskip(SKIP_1) | instid1(VALU_DEP_1)
	v_pk_fma_f32 v[148:149], v[142:143], v[134:135], v[146:147] op_sel:[0,0,1] op_sel_hi:[1,1,0] neg_lo:[0,0,1] neg_hi:[0,0,1]
	v_pk_fma_f32 v[142:143], v[142:143], v[134:135], v[146:147] op_sel:[0,0,1] op_sel_hi:[1,0,0]
	v_mov_b32_e32 v149, v143
	v_pk_mul_f32 v[142:143], v[144:145], v[132:133] op_sel:[0,1]
	s_delay_alu instid0(VALU_DEP_1) | instskip(SKIP_1) | instid1(VALU_DEP_1)
	v_pk_fma_f32 v[146:147], v[144:145], v[134:135], v[142:143] op_sel:[0,0,1] op_sel_hi:[1,1,0] neg_lo:[0,0,1] neg_hi:[0,0,1]
	v_pk_fma_f32 v[142:143], v[144:145], v[134:135], v[142:143] op_sel:[0,0,1] op_sel_hi:[1,0,0]
	v_mov_b32_e32 v147, v143
	ds_load_2addr_b64 v[142:145], v136 offset0:54 offset1:55
	v_pk_add_f32 v[68:69], v[68:69], v[148:149] neg_lo:[0,1] neg_hi:[0,1]
	v_pk_add_f32 v[66:67], v[66:67], v[146:147] neg_lo:[0,1] neg_hi:[0,1]
	s_wait_dscnt 0x0
	v_dual_mul_f32 v146, v143, v133 :: v_dual_mul_f32 v148, v143, v134
	s_delay_alu instid0(VALU_DEP_1) | instskip(NEXT) | instid1(VALU_DEP_2)
	v_pk_fma_f32 v[146:147], v[142:143], v[78:79], v[146:147] op_sel_hi:[1,1,0] neg_lo:[0,0,1] neg_hi:[0,0,1]
	v_pk_fma_f32 v[142:143], v[142:143], v[78:79], v[148:149] op_sel:[1,0,0] op_sel_hi:[0,1,0]
	s_delay_alu instid0(VALU_DEP_1) | instskip(SKIP_1) | instid1(VALU_DEP_2)
	v_mov_b32_e32 v147, v143
	v_pk_mul_f32 v[142:143], v[144:145], v[132:133] op_sel:[0,1]
	v_pk_add_f32 v[10:11], v[10:11], v[146:147] neg_lo:[0,1] neg_hi:[0,1]
	s_delay_alu instid0(VALU_DEP_2) | instskip(SKIP_1) | instid1(VALU_DEP_1)
	v_pk_fma_f32 v[146:147], v[144:145], v[134:135], v[142:143] op_sel:[0,0,1] op_sel_hi:[1,1,0] neg_lo:[0,0,1] neg_hi:[0,0,1]
	v_pk_fma_f32 v[142:143], v[144:145], v[134:135], v[142:143] op_sel:[0,0,1] op_sel_hi:[1,0,0]
	v_mov_b32_e32 v147, v143
	ds_load_2addr_b64 v[142:145], v136 offset0:56 offset1:57
	v_pk_add_f32 v[8:9], v[8:9], v[146:147] neg_lo:[0,1] neg_hi:[0,1]
	s_wait_dscnt 0x0
	v_pk_mul_f32 v[146:147], v[142:143], v[132:133] op_sel:[0,1]
	s_delay_alu instid0(VALU_DEP_1) | instskip(SKIP_1) | instid1(VALU_DEP_1)
	v_pk_fma_f32 v[148:149], v[142:143], v[134:135], v[146:147] op_sel:[0,0,1] op_sel_hi:[1,1,0] neg_lo:[0,0,1] neg_hi:[0,0,1]
	v_pk_fma_f32 v[142:143], v[142:143], v[134:135], v[146:147] op_sel:[0,0,1] op_sel_hi:[1,0,0]
	v_mov_b32_e32 v149, v143
	v_pk_mul_f32 v[142:143], v[144:145], v[132:133] op_sel:[0,1]
	s_delay_alu instid0(VALU_DEP_2) | instskip(NEXT) | instid1(VALU_DEP_2)
	v_pk_add_f32 v[34:35], v[34:35], v[148:149] neg_lo:[0,1] neg_hi:[0,1]
	v_pk_fma_f32 v[146:147], v[144:145], v[134:135], v[142:143] op_sel:[0,0,1] op_sel_hi:[1,1,0] neg_lo:[0,0,1] neg_hi:[0,0,1]
	v_pk_fma_f32 v[142:143], v[144:145], v[134:135], v[142:143] op_sel:[0,0,1] op_sel_hi:[1,0,0]
	s_delay_alu instid0(VALU_DEP_1) | instskip(SKIP_4) | instid1(VALU_DEP_1)
	v_mov_b32_e32 v147, v143
	ds_load_2addr_b64 v[142:145], v136 offset0:58 offset1:59
	v_pk_add_f32 v[30:31], v[30:31], v[146:147] neg_lo:[0,1] neg_hi:[0,1]
	s_wait_dscnt 0x0
	v_pk_mul_f32 v[146:147], v[142:143], v[132:133] op_sel:[0,1]
	v_pk_fma_f32 v[148:149], v[142:143], v[134:135], v[146:147] op_sel:[0,0,1] op_sel_hi:[1,1,0] neg_lo:[0,0,1] neg_hi:[0,0,1]
	v_pk_fma_f32 v[142:143], v[142:143], v[134:135], v[146:147] op_sel:[0,0,1] op_sel_hi:[1,0,0]
	v_dual_mul_f32 v146, v145, v133 :: v_dual_mov_b32 v142, v145
	s_delay_alu instid0(VALU_DEP_2) | instskip(NEXT) | instid1(VALU_DEP_2)
	v_dual_mov_b32 v149, v143 :: v_dual_mov_b32 v143, v144
	v_pk_fma_f32 v[146:147], v[144:145], v[78:79], v[146:147] op_sel_hi:[1,1,0] neg_lo:[0,0,1] neg_hi:[0,0,1]
	v_mul_f32_e32 v144, v145, v134
	s_delay_alu instid0(VALU_DEP_3) | instskip(NEXT) | instid1(VALU_DEP_2)
	v_pk_add_f32 v[6:7], v[6:7], v[148:149] neg_lo:[0,1] neg_hi:[0,1]
	v_pk_fma_f32 v[142:143], v[142:143], v[78:79], v[144:145] op_sel_hi:[1,1,0]
	s_delay_alu instid0(VALU_DEP_1) | instskip(SKIP_4) | instid1(VALU_DEP_1)
	v_mov_b32_e32 v147, v143
	ds_load_2addr_b64 v[142:145], v136 offset0:60 offset1:61
	v_pk_add_f32 v[26:27], v[26:27], v[146:147] neg_lo:[0,1] neg_hi:[0,1]
	s_wait_dscnt 0x0
	v_pk_mul_f32 v[146:147], v[142:143], v[132:133] op_sel:[0,1]
	v_pk_fma_f32 v[148:149], v[142:143], v[134:135], v[146:147] op_sel:[0,0,1] op_sel_hi:[1,1,0] neg_lo:[0,0,1] neg_hi:[0,0,1]
	v_pk_fma_f32 v[142:143], v[142:143], v[134:135], v[146:147] op_sel:[0,0,1] op_sel_hi:[1,0,0]
	s_delay_alu instid0(VALU_DEP_1) | instskip(SKIP_1) | instid1(VALU_DEP_1)
	v_mov_b32_e32 v149, v143
	v_pk_mul_f32 v[142:143], v[144:145], v[132:133] op_sel:[0,1]
	v_pk_fma_f32 v[146:147], v[144:145], v[134:135], v[142:143] op_sel:[0,0,1] op_sel_hi:[1,1,0] neg_lo:[0,0,1] neg_hi:[0,0,1]
	v_pk_fma_f32 v[142:143], v[144:145], v[134:135], v[142:143] op_sel:[0,0,1] op_sel_hi:[1,0,0]
	s_delay_alu instid0(VALU_DEP_1)
	v_mov_b32_e32 v147, v143
	ds_load_b64 v[142:143], v136 offset:496
	v_pk_add_f32 v[14:15], v[14:15], v[148:149] neg_lo:[0,1] neg_hi:[0,1]
	v_pk_add_f32 v[12:13], v[12:13], v[146:147] neg_lo:[0,1] neg_hi:[0,1]
	s_wait_dscnt 0x0
	v_pk_mul_f32 v[132:133], v[142:143], v[132:133] op_sel:[0,1]
	s_delay_alu instid0(VALU_DEP_1) | instskip(SKIP_1) | instid1(VALU_DEP_1)
	v_pk_fma_f32 v[144:145], v[142:143], v[134:135], v[132:133] op_sel:[0,0,1] op_sel_hi:[1,1,0] neg_lo:[0,0,1] neg_hi:[0,0,1]
	v_pk_fma_f32 v[132:133], v[142:143], v[134:135], v[132:133] op_sel:[0,0,1] op_sel_hi:[1,0,0]
	v_mov_b32_e32 v145, v133
	s_delay_alu instid0(VALU_DEP_1)
	v_pk_add_f32 v[130:131], v[130:131], v[144:145] neg_lo:[0,1] neg_hi:[0,1]
.LBB124_965:
	s_or_b32 exec_lo, exec_lo, s0
	v_lshl_add_u32 v132, v140, 3, v136
	s_barrier_signal -1
	s_barrier_wait -1
	ds_store_b64 v132, v[20:21]
	s_wait_dscnt 0x0
	s_barrier_signal -1
	s_barrier_wait -1
	ds_load_b64 v[132:133], v136 offset:368
	v_mov_b32_e32 v134, 46
	s_cmp_lt_i32 s18, 48
	s_cbranch_scc1 .LBB124_968
; %bb.966:
	v_add3_u32 v135, v137, 0, 0x178
	v_mov_b32_e32 v134, 46
	s_mov_b32 s0, 47
.LBB124_967:                            ; =>This Inner Loop Header: Depth=1
	ds_load_b64 v[142:143], v135
	s_wait_dscnt 0x1
	v_cmp_gt_f32_e32 vcc_lo, 0, v132
	v_cndmask_b32_e64 v144, v132, -v132, vcc_lo
	v_cmp_gt_f32_e32 vcc_lo, 0, v133
	v_cndmask_b32_e64 v146, v133, -v133, vcc_lo
	s_wait_dscnt 0x0
	v_cmp_gt_f32_e32 vcc_lo, 0, v142
	v_cndmask_b32_e64 v145, v142, -v142, vcc_lo
	v_cmp_gt_f32_e32 vcc_lo, 0, v143
	v_cndmask_b32_e64 v147, v143, -v143, vcc_lo
	s_delay_alu instid0(VALU_DEP_1) | instskip(NEXT) | instid1(VALU_DEP_1)
	v_pk_add_f32 v[144:145], v[144:145], v[146:147]
	v_cmp_lt_f32_e32 vcc_lo, v144, v145
	v_dual_cndmask_b32 v132, v132, v142 :: v_dual_add_nc_u32 v135, 8, v135
	v_cndmask_b32_e32 v133, v133, v143, vcc_lo
	v_cndmask_b32_e64 v134, v134, s0, vcc_lo
	s_add_co_i32 s0, s0, 1
	s_delay_alu instid0(SALU_CYCLE_1)
	s_cmp_lg_u32 s18, s0
	s_cbranch_scc1 .LBB124_967
.LBB124_968:
	s_wait_dscnt 0x0
	v_cmp_eq_f32_e32 vcc_lo, 0, v132
	v_cmp_eq_f32_e64 s0, 0, v133
	s_and_b32 s0, vcc_lo, s0
	s_delay_alu instid0(SALU_CYCLE_1) | instskip(NEXT) | instid1(SALU_CYCLE_1)
	s_and_saveexec_b32 s1, s0
	s_xor_b32 s0, exec_lo, s1
; %bb.969:
	v_cmp_ne_u32_e32 vcc_lo, 0, v138
	v_cndmask_b32_e32 v138, 47, v138, vcc_lo
; %bb.970:
	s_and_not1_saveexec_b32 s0, s0
	s_cbranch_execz .LBB124_976
; %bb.971:
	v_cmp_ngt_f32_e64 s1, |v132|, |v133|
	s_and_saveexec_b32 s12, s1
	s_delay_alu instid0(SALU_CYCLE_1)
	s_xor_b32 s1, exec_lo, s12
	s_cbranch_execz .LBB124_973
; %bb.972:
	v_div_scale_f32 v135, null, v133, v133, v132
	v_div_scale_f32 v143, vcc_lo, v132, v133, v132
	s_delay_alu instid0(VALU_DEP_2) | instskip(SKIP_1) | instid1(TRANS32_DEP_1)
	v_rcp_f32_e32 v141, v135
	v_nop
	v_fma_f32 v142, -v135, v141, 1.0
	s_delay_alu instid0(VALU_DEP_1) | instskip(NEXT) | instid1(VALU_DEP_1)
	v_fmac_f32_e32 v141, v142, v141
	v_mul_f32_e32 v142, v143, v141
	s_delay_alu instid0(VALU_DEP_1) | instskip(NEXT) | instid1(VALU_DEP_1)
	v_fma_f32 v144, -v135, v142, v143
	v_fmac_f32_e32 v142, v144, v141
	s_delay_alu instid0(VALU_DEP_1) | instskip(NEXT) | instid1(VALU_DEP_1)
	v_fma_f32 v135, -v135, v142, v143
	v_div_fmas_f32 v135, v135, v141, v142
	s_delay_alu instid0(VALU_DEP_1) | instskip(NEXT) | instid1(VALU_DEP_1)
	v_div_fixup_f32 v135, v135, v133, v132
	v_fmac_f32_e32 v133, v132, v135
	s_delay_alu instid0(VALU_DEP_1) | instskip(SKIP_1) | instid1(VALU_DEP_2)
	v_div_scale_f32 v132, null, v133, v133, 1.0
	v_div_scale_f32 v143, vcc_lo, 1.0, v133, 1.0
	v_rcp_f32_e32 v141, v132
	v_nop
	s_delay_alu instid0(TRANS32_DEP_1) | instskip(NEXT) | instid1(VALU_DEP_1)
	v_fma_f32 v142, -v132, v141, 1.0
	v_fmac_f32_e32 v141, v142, v141
	s_delay_alu instid0(VALU_DEP_1) | instskip(NEXT) | instid1(VALU_DEP_1)
	v_mul_f32_e32 v142, v143, v141
	v_fma_f32 v144, -v132, v142, v143
	s_delay_alu instid0(VALU_DEP_1) | instskip(NEXT) | instid1(VALU_DEP_1)
	v_fmac_f32_e32 v142, v144, v141
	v_fma_f32 v132, -v132, v142, v143
	s_delay_alu instid0(VALU_DEP_1) | instskip(NEXT) | instid1(VALU_DEP_1)
	v_div_fmas_f32 v132, v132, v141, v142
	v_div_fixup_f32 v133, v132, v133, 1.0
	s_delay_alu instid0(VALU_DEP_1)
	v_mul_f32_e32 v132, v135, v133
	v_xor_b32_e32 v133, 0x80000000, v133
.LBB124_973:
	s_and_not1_saveexec_b32 s1, s1
	s_cbranch_execz .LBB124_975
; %bb.974:
	s_delay_alu instid0(VALU_DEP_1) | instskip(SKIP_1) | instid1(VALU_DEP_2)
	v_div_scale_f32 v135, null, v132, v132, v133
	v_div_scale_f32 v143, vcc_lo, v133, v132, v133
	v_rcp_f32_e32 v141, v135
	v_nop
	s_delay_alu instid0(TRANS32_DEP_1) | instskip(NEXT) | instid1(VALU_DEP_1)
	v_fma_f32 v142, -v135, v141, 1.0
	v_fmac_f32_e32 v141, v142, v141
	s_delay_alu instid0(VALU_DEP_1) | instskip(NEXT) | instid1(VALU_DEP_1)
	v_mul_f32_e32 v142, v143, v141
	v_fma_f32 v144, -v135, v142, v143
	s_delay_alu instid0(VALU_DEP_1) | instskip(NEXT) | instid1(VALU_DEP_1)
	v_fmac_f32_e32 v142, v144, v141
	v_fma_f32 v135, -v135, v142, v143
	s_delay_alu instid0(VALU_DEP_1) | instskip(NEXT) | instid1(VALU_DEP_1)
	v_div_fmas_f32 v135, v135, v141, v142
	v_div_fixup_f32 v135, v135, v132, v133
	s_delay_alu instid0(VALU_DEP_1) | instskip(NEXT) | instid1(VALU_DEP_1)
	v_fmac_f32_e32 v132, v133, v135
	v_div_scale_f32 v133, null, v132, v132, 1.0
	s_delay_alu instid0(VALU_DEP_1) | instskip(SKIP_1) | instid1(TRANS32_DEP_1)
	v_rcp_f32_e32 v141, v133
	v_nop
	v_fma_f32 v142, -v133, v141, 1.0
	s_delay_alu instid0(VALU_DEP_1) | instskip(SKIP_1) | instid1(VALU_DEP_1)
	v_fmac_f32_e32 v141, v142, v141
	v_div_scale_f32 v142, vcc_lo, 1.0, v132, 1.0
	v_mul_f32_e32 v143, v142, v141
	s_delay_alu instid0(VALU_DEP_1) | instskip(NEXT) | instid1(VALU_DEP_1)
	v_fma_f32 v144, -v133, v143, v142
	v_fmac_f32_e32 v143, v144, v141
	s_delay_alu instid0(VALU_DEP_1) | instskip(NEXT) | instid1(VALU_DEP_1)
	v_fma_f32 v133, -v133, v143, v142
	v_div_fmas_f32 v133, v133, v141, v143
	s_delay_alu instid0(VALU_DEP_1) | instskip(NEXT) | instid1(VALU_DEP_1)
	v_div_fixup_f32 v132, v133, v132, 1.0
	v_mul_f32_e64 v133, v135, -v132
.LBB124_975:
	s_or_b32 exec_lo, exec_lo, s1
.LBB124_976:
	s_delay_alu instid0(SALU_CYCLE_1) | instskip(NEXT) | instid1(SALU_CYCLE_1)
	s_or_b32 exec_lo, exec_lo, s0
	s_mov_b32 s0, exec_lo
	v_cmpx_ne_u32_e64 v140, v134
	s_xor_b32 s0, exec_lo, s0
	s_cbranch_execz .LBB124_982
; %bb.977:
	s_mov_b32 s1, exec_lo
	v_cmpx_eq_u32_e32 46, v140
	s_cbranch_execz .LBB124_981
; %bb.978:
	v_cmp_ne_u32_e32 vcc_lo, 46, v134
	s_xor_b32 s12, s16, -1
	s_delay_alu instid0(SALU_CYCLE_1) | instskip(NEXT) | instid1(SALU_CYCLE_1)
	s_and_b32 s13, s12, vcc_lo
	s_and_saveexec_b32 s12, s13
	s_cbranch_execz .LBB124_980
; %bb.979:
	v_ashrrev_i32_e32 v135, 31, v134
	s_delay_alu instid0(VALU_DEP_1)
	v_lshl_add_u64 v[140:141], v[134:135], 2, v[4:5]
	s_clause 0x1
	global_load_b32 v135, v[140:141], off
	global_load_b32 v139, v[4:5], off offset:184
	s_wait_loadcnt 0x1
	global_store_b32 v[4:5], v135, off offset:184
	s_wait_loadcnt 0x0
	global_store_b32 v[140:141], v139, off
.LBB124_980:
	s_wait_xcnt 0x0
	s_or_b32 exec_lo, exec_lo, s12
	v_dual_mov_b32 v140, v134 :: v_dual_mov_b32 v139, v134
.LBB124_981:
	s_or_b32 exec_lo, exec_lo, s1
.LBB124_982:
	s_and_not1_saveexec_b32 s0, s0
	s_cbranch_execz .LBB124_984
; %bb.983:
	v_mov_b32_e32 v140, 46
	ds_store_2addr_b64 v136, v[18:19], v[76:77] offset0:47 offset1:48
	ds_store_2addr_b64 v136, v[74:75], v[16:17] offset0:49 offset1:50
	;; [unrolled: 1-line block ×8, first 2 shown]
.LBB124_984:
	s_or_b32 exec_lo, exec_lo, s0
	s_delay_alu instid0(SALU_CYCLE_1)
	s_mov_b32 s0, exec_lo
	s_wait_storecnt_dscnt 0x0
	s_barrier_signal -1
	s_barrier_wait -1
	v_cmpx_lt_i32_e32 46, v140
	s_cbranch_execz .LBB124_986
; %bb.985:
	v_pk_mul_f32 v[142:143], v[132:133], v[20:21] op_sel:[1,1] op_sel_hi:[0,1]
	s_delay_alu instid0(VALU_DEP_1)
	v_pk_fma_f32 v[134:135], v[132:133], v[20:21], v[142:143] op_sel_hi:[1,0,1] neg_lo:[0,0,1] neg_hi:[0,0,1]
	v_pk_fma_f32 v[132:133], v[132:133], v[20:21], v[142:143] op_sel_hi:[1,0,1]
	ds_load_2addr_b64 v[142:145], v136 offset0:47 offset1:48
	v_dual_mov_b32 v20, v134 :: v_dual_mov_b32 v21, v133
	s_wait_dscnt 0x0
	v_pk_mul_f32 v[146:147], v[142:143], v[132:133] op_sel:[0,1]
	s_delay_alu instid0(VALU_DEP_1) | instskip(SKIP_1) | instid1(VALU_DEP_1)
	v_pk_fma_f32 v[148:149], v[142:143], v[134:135], v[146:147] op_sel:[0,0,1] op_sel_hi:[1,1,0] neg_lo:[0,0,1] neg_hi:[0,0,1]
	v_pk_fma_f32 v[142:143], v[142:143], v[134:135], v[146:147] op_sel:[0,0,1] op_sel_hi:[1,0,0]
	v_mov_b32_e32 v149, v143
	v_pk_mul_f32 v[142:143], v[144:145], v[132:133] op_sel:[0,1]
	s_delay_alu instid0(VALU_DEP_1) | instskip(SKIP_1) | instid1(VALU_DEP_1)
	v_pk_fma_f32 v[146:147], v[144:145], v[134:135], v[142:143] op_sel:[0,0,1] op_sel_hi:[1,1,0] neg_lo:[0,0,1] neg_hi:[0,0,1]
	v_pk_fma_f32 v[142:143], v[144:145], v[134:135], v[142:143] op_sel:[0,0,1] op_sel_hi:[1,0,0]
	v_mov_b32_e32 v147, v143
	ds_load_2addr_b64 v[142:145], v136 offset0:49 offset1:50
	v_pk_add_f32 v[18:19], v[18:19], v[148:149] neg_lo:[0,1] neg_hi:[0,1]
	v_pk_add_f32 v[76:77], v[76:77], v[146:147] neg_lo:[0,1] neg_hi:[0,1]
	s_wait_dscnt 0x0
	v_pk_mul_f32 v[146:147], v[142:143], v[132:133] op_sel:[0,1]
	s_delay_alu instid0(VALU_DEP_1) | instskip(SKIP_2) | instid1(VALU_DEP_2)
	v_pk_fma_f32 v[148:149], v[142:143], v[134:135], v[146:147] op_sel:[0,0,1] op_sel_hi:[1,1,0] neg_lo:[0,0,1] neg_hi:[0,0,1]
	v_pk_fma_f32 v[142:143], v[142:143], v[134:135], v[146:147] op_sel:[0,0,1] op_sel_hi:[1,0,0]
	v_dual_mul_f32 v146, v145, v133 :: v_dual_mov_b32 v142, v145
	v_dual_mov_b32 v149, v143 :: v_dual_mov_b32 v143, v144
	s_delay_alu instid0(VALU_DEP_2) | instskip(SKIP_1) | instid1(VALU_DEP_3)
	v_pk_fma_f32 v[146:147], v[144:145], v[20:21], v[146:147] op_sel_hi:[1,1,0] neg_lo:[0,0,1] neg_hi:[0,0,1]
	v_mul_f32_e32 v144, v145, v134
	v_pk_add_f32 v[74:75], v[74:75], v[148:149] neg_lo:[0,1] neg_hi:[0,1]
	s_delay_alu instid0(VALU_DEP_2) | instskip(NEXT) | instid1(VALU_DEP_1)
	v_pk_fma_f32 v[142:143], v[142:143], v[20:21], v[144:145] op_sel_hi:[1,1,0]
	v_mov_b32_e32 v147, v143
	ds_load_2addr_b64 v[142:145], v136 offset0:51 offset1:52
	v_pk_add_f32 v[16:17], v[16:17], v[146:147] neg_lo:[0,1] neg_hi:[0,1]
	s_wait_dscnt 0x0
	v_pk_mul_f32 v[146:147], v[142:143], v[132:133] op_sel:[0,1]
	s_delay_alu instid0(VALU_DEP_1) | instskip(SKIP_1) | instid1(VALU_DEP_1)
	v_pk_fma_f32 v[148:149], v[142:143], v[134:135], v[146:147] op_sel:[0,0,1] op_sel_hi:[1,1,0] neg_lo:[0,0,1] neg_hi:[0,0,1]
	v_pk_fma_f32 v[142:143], v[142:143], v[134:135], v[146:147] op_sel:[0,0,1] op_sel_hi:[1,0,0]
	v_mov_b32_e32 v149, v143
	v_pk_mul_f32 v[142:143], v[144:145], v[132:133] op_sel:[0,1]
	s_delay_alu instid0(VALU_DEP_1) | instskip(SKIP_1) | instid1(VALU_DEP_1)
	v_pk_fma_f32 v[146:147], v[144:145], v[134:135], v[142:143] op_sel:[0,0,1] op_sel_hi:[1,1,0] neg_lo:[0,0,1] neg_hi:[0,0,1]
	v_pk_fma_f32 v[142:143], v[144:145], v[134:135], v[142:143] op_sel:[0,0,1] op_sel_hi:[1,0,0]
	v_mov_b32_e32 v147, v143
	ds_load_2addr_b64 v[142:145], v136 offset0:53 offset1:54
	v_pk_add_f32 v[28:29], v[28:29], v[148:149] neg_lo:[0,1] neg_hi:[0,1]
	v_pk_add_f32 v[68:69], v[68:69], v[146:147] neg_lo:[0,1] neg_hi:[0,1]
	s_wait_dscnt 0x0
	v_pk_mul_f32 v[146:147], v[142:143], v[132:133] op_sel:[0,1]
	s_delay_alu instid0(VALU_DEP_1) | instskip(SKIP_1) | instid1(VALU_DEP_1)
	v_pk_fma_f32 v[148:149], v[142:143], v[134:135], v[146:147] op_sel:[0,0,1] op_sel_hi:[1,1,0] neg_lo:[0,0,1] neg_hi:[0,0,1]
	v_pk_fma_f32 v[142:143], v[142:143], v[134:135], v[146:147] op_sel:[0,0,1] op_sel_hi:[1,0,0]
	v_mov_b32_e32 v149, v143
	v_pk_mul_f32 v[142:143], v[144:145], v[132:133] op_sel:[0,1]
	s_delay_alu instid0(VALU_DEP_1) | instskip(SKIP_1) | instid1(VALU_DEP_1)
	v_pk_fma_f32 v[146:147], v[144:145], v[134:135], v[142:143] op_sel:[0,0,1] op_sel_hi:[1,1,0] neg_lo:[0,0,1] neg_hi:[0,0,1]
	v_pk_fma_f32 v[142:143], v[144:145], v[134:135], v[142:143] op_sel:[0,0,1] op_sel_hi:[1,0,0]
	v_mov_b32_e32 v147, v143
	ds_load_2addr_b64 v[142:145], v136 offset0:55 offset1:56
	v_pk_add_f32 v[66:67], v[66:67], v[148:149] neg_lo:[0,1] neg_hi:[0,1]
	v_pk_add_f32 v[10:11], v[10:11], v[146:147] neg_lo:[0,1] neg_hi:[0,1]
	s_wait_dscnt 0x0
	v_dual_mul_f32 v146, v143, v133 :: v_dual_mul_f32 v148, v143, v134
	s_delay_alu instid0(VALU_DEP_1) | instskip(NEXT) | instid1(VALU_DEP_2)
	v_pk_fma_f32 v[146:147], v[142:143], v[20:21], v[146:147] op_sel_hi:[1,1,0] neg_lo:[0,0,1] neg_hi:[0,0,1]
	v_pk_fma_f32 v[142:143], v[142:143], v[20:21], v[148:149] op_sel:[1,0,0] op_sel_hi:[0,1,0]
	s_delay_alu instid0(VALU_DEP_1) | instskip(SKIP_1) | instid1(VALU_DEP_2)
	v_mov_b32_e32 v147, v143
	v_pk_mul_f32 v[142:143], v[144:145], v[132:133] op_sel:[0,1]
	v_pk_add_f32 v[8:9], v[8:9], v[146:147] neg_lo:[0,1] neg_hi:[0,1]
	s_delay_alu instid0(VALU_DEP_2) | instskip(SKIP_1) | instid1(VALU_DEP_1)
	v_pk_fma_f32 v[146:147], v[144:145], v[134:135], v[142:143] op_sel:[0,0,1] op_sel_hi:[1,1,0] neg_lo:[0,0,1] neg_hi:[0,0,1]
	v_pk_fma_f32 v[142:143], v[144:145], v[134:135], v[142:143] op_sel:[0,0,1] op_sel_hi:[1,0,0]
	v_mov_b32_e32 v147, v143
	ds_load_2addr_b64 v[142:145], v136 offset0:57 offset1:58
	v_pk_add_f32 v[34:35], v[34:35], v[146:147] neg_lo:[0,1] neg_hi:[0,1]
	s_wait_dscnt 0x0
	v_pk_mul_f32 v[146:147], v[142:143], v[132:133] op_sel:[0,1]
	s_delay_alu instid0(VALU_DEP_1) | instskip(SKIP_1) | instid1(VALU_DEP_1)
	v_pk_fma_f32 v[148:149], v[142:143], v[134:135], v[146:147] op_sel:[0,0,1] op_sel_hi:[1,1,0] neg_lo:[0,0,1] neg_hi:[0,0,1]
	v_pk_fma_f32 v[142:143], v[142:143], v[134:135], v[146:147] op_sel:[0,0,1] op_sel_hi:[1,0,0]
	v_mov_b32_e32 v149, v143
	v_pk_mul_f32 v[142:143], v[144:145], v[132:133] op_sel:[0,1]
	s_delay_alu instid0(VALU_DEP_2) | instskip(NEXT) | instid1(VALU_DEP_2)
	v_pk_add_f32 v[30:31], v[30:31], v[148:149] neg_lo:[0,1] neg_hi:[0,1]
	v_pk_fma_f32 v[146:147], v[144:145], v[134:135], v[142:143] op_sel:[0,0,1] op_sel_hi:[1,1,0] neg_lo:[0,0,1] neg_hi:[0,0,1]
	v_pk_fma_f32 v[142:143], v[144:145], v[134:135], v[142:143] op_sel:[0,0,1] op_sel_hi:[1,0,0]
	s_delay_alu instid0(VALU_DEP_1) | instskip(SKIP_4) | instid1(VALU_DEP_1)
	v_mov_b32_e32 v147, v143
	ds_load_2addr_b64 v[142:145], v136 offset0:59 offset1:60
	v_pk_add_f32 v[6:7], v[6:7], v[146:147] neg_lo:[0,1] neg_hi:[0,1]
	s_wait_dscnt 0x0
	v_pk_mul_f32 v[146:147], v[142:143], v[132:133] op_sel:[0,1]
	v_pk_fma_f32 v[148:149], v[142:143], v[134:135], v[146:147] op_sel:[0,0,1] op_sel_hi:[1,1,0] neg_lo:[0,0,1] neg_hi:[0,0,1]
	v_pk_fma_f32 v[142:143], v[142:143], v[134:135], v[146:147] op_sel:[0,0,1] op_sel_hi:[1,0,0]
	v_dual_mul_f32 v146, v145, v133 :: v_dual_mov_b32 v142, v145
	s_delay_alu instid0(VALU_DEP_2) | instskip(NEXT) | instid1(VALU_DEP_2)
	v_dual_mov_b32 v149, v143 :: v_dual_mov_b32 v143, v144
	v_pk_fma_f32 v[146:147], v[144:145], v[20:21], v[146:147] op_sel_hi:[1,1,0] neg_lo:[0,0,1] neg_hi:[0,0,1]
	v_mul_f32_e32 v144, v145, v134
	s_delay_alu instid0(VALU_DEP_3) | instskip(NEXT) | instid1(VALU_DEP_2)
	v_pk_add_f32 v[26:27], v[26:27], v[148:149] neg_lo:[0,1] neg_hi:[0,1]
	v_pk_fma_f32 v[142:143], v[142:143], v[20:21], v[144:145] op_sel_hi:[1,1,0]
	s_delay_alu instid0(VALU_DEP_1)
	v_mov_b32_e32 v147, v143
	ds_load_2addr_b64 v[142:145], v136 offset0:61 offset1:62
	v_pk_add_f32 v[14:15], v[14:15], v[146:147] neg_lo:[0,1] neg_hi:[0,1]
	s_wait_dscnt 0x0
	v_pk_mul_f32 v[146:147], v[142:143], v[132:133] op_sel:[0,1]
	v_pk_mul_f32 v[132:133], v[144:145], v[132:133] op_sel:[0,1]
	s_delay_alu instid0(VALU_DEP_2) | instskip(SKIP_1) | instid1(VALU_DEP_1)
	v_pk_fma_f32 v[148:149], v[142:143], v[134:135], v[146:147] op_sel:[0,0,1] op_sel_hi:[1,1,0] neg_lo:[0,0,1] neg_hi:[0,0,1]
	v_pk_fma_f32 v[142:143], v[142:143], v[134:135], v[146:147] op_sel:[0,0,1] op_sel_hi:[1,0,0]
	v_mov_b32_e32 v149, v143
	s_delay_alu instid0(VALU_DEP_4) | instskip(SKIP_1) | instid1(VALU_DEP_1)
	v_pk_fma_f32 v[142:143], v[144:145], v[134:135], v[132:133] op_sel:[0,0,1] op_sel_hi:[1,1,0] neg_lo:[0,0,1] neg_hi:[0,0,1]
	v_pk_fma_f32 v[132:133], v[144:145], v[134:135], v[132:133] op_sel:[0,0,1] op_sel_hi:[1,0,0]
	v_mov_b32_e32 v143, v133
	s_delay_alu instid0(VALU_DEP_4) | instskip(NEXT) | instid1(VALU_DEP_2)
	v_pk_add_f32 v[12:13], v[12:13], v[148:149] neg_lo:[0,1] neg_hi:[0,1]
	v_pk_add_f32 v[130:131], v[130:131], v[142:143] neg_lo:[0,1] neg_hi:[0,1]
.LBB124_986:
	s_or_b32 exec_lo, exec_lo, s0
	v_lshl_add_u32 v132, v140, 3, v136
	s_barrier_signal -1
	s_barrier_wait -1
	ds_store_b64 v132, v[18:19]
	s_wait_dscnt 0x0
	s_barrier_signal -1
	s_barrier_wait -1
	ds_load_b64 v[132:133], v136 offset:376
	v_mov_b32_e32 v134, 47
	s_cmp_lt_i32 s18, 49
	s_cbranch_scc1 .LBB124_989
; %bb.987:
	v_add3_u32 v135, v137, 0, 0x180
	v_mov_b32_e32 v134, 47
	s_mov_b32 s0, 48
.LBB124_988:                            ; =>This Inner Loop Header: Depth=1
	ds_load_b64 v[142:143], v135
	s_wait_dscnt 0x1
	v_cmp_gt_f32_e32 vcc_lo, 0, v132
	v_cndmask_b32_e64 v144, v132, -v132, vcc_lo
	v_cmp_gt_f32_e32 vcc_lo, 0, v133
	v_cndmask_b32_e64 v146, v133, -v133, vcc_lo
	s_wait_dscnt 0x0
	v_cmp_gt_f32_e32 vcc_lo, 0, v142
	v_cndmask_b32_e64 v145, v142, -v142, vcc_lo
	v_cmp_gt_f32_e32 vcc_lo, 0, v143
	v_cndmask_b32_e64 v147, v143, -v143, vcc_lo
	s_delay_alu instid0(VALU_DEP_1) | instskip(NEXT) | instid1(VALU_DEP_1)
	v_pk_add_f32 v[144:145], v[144:145], v[146:147]
	v_cmp_lt_f32_e32 vcc_lo, v144, v145
	v_dual_cndmask_b32 v132, v132, v142 :: v_dual_add_nc_u32 v135, 8, v135
	v_cndmask_b32_e32 v133, v133, v143, vcc_lo
	v_cndmask_b32_e64 v134, v134, s0, vcc_lo
	s_add_co_i32 s0, s0, 1
	s_delay_alu instid0(SALU_CYCLE_1)
	s_cmp_lg_u32 s18, s0
	s_cbranch_scc1 .LBB124_988
.LBB124_989:
	s_wait_dscnt 0x0
	v_cmp_eq_f32_e32 vcc_lo, 0, v132
	v_cmp_eq_f32_e64 s0, 0, v133
	s_and_b32 s0, vcc_lo, s0
	s_delay_alu instid0(SALU_CYCLE_1) | instskip(NEXT) | instid1(SALU_CYCLE_1)
	s_and_saveexec_b32 s1, s0
	s_xor_b32 s0, exec_lo, s1
; %bb.990:
	v_cmp_ne_u32_e32 vcc_lo, 0, v138
	v_cndmask_b32_e32 v138, 48, v138, vcc_lo
; %bb.991:
	s_and_not1_saveexec_b32 s0, s0
	s_cbranch_execz .LBB124_997
; %bb.992:
	v_cmp_ngt_f32_e64 s1, |v132|, |v133|
	s_and_saveexec_b32 s12, s1
	s_delay_alu instid0(SALU_CYCLE_1)
	s_xor_b32 s1, exec_lo, s12
	s_cbranch_execz .LBB124_994
; %bb.993:
	v_div_scale_f32 v135, null, v133, v133, v132
	v_div_scale_f32 v143, vcc_lo, v132, v133, v132
	s_delay_alu instid0(VALU_DEP_2) | instskip(SKIP_1) | instid1(TRANS32_DEP_1)
	v_rcp_f32_e32 v141, v135
	v_nop
	v_fma_f32 v142, -v135, v141, 1.0
	s_delay_alu instid0(VALU_DEP_1) | instskip(NEXT) | instid1(VALU_DEP_1)
	v_fmac_f32_e32 v141, v142, v141
	v_mul_f32_e32 v142, v143, v141
	s_delay_alu instid0(VALU_DEP_1) | instskip(NEXT) | instid1(VALU_DEP_1)
	v_fma_f32 v144, -v135, v142, v143
	v_fmac_f32_e32 v142, v144, v141
	s_delay_alu instid0(VALU_DEP_1) | instskip(NEXT) | instid1(VALU_DEP_1)
	v_fma_f32 v135, -v135, v142, v143
	v_div_fmas_f32 v135, v135, v141, v142
	s_delay_alu instid0(VALU_DEP_1) | instskip(NEXT) | instid1(VALU_DEP_1)
	v_div_fixup_f32 v135, v135, v133, v132
	v_fmac_f32_e32 v133, v132, v135
	s_delay_alu instid0(VALU_DEP_1) | instskip(SKIP_1) | instid1(VALU_DEP_2)
	v_div_scale_f32 v132, null, v133, v133, 1.0
	v_div_scale_f32 v143, vcc_lo, 1.0, v133, 1.0
	v_rcp_f32_e32 v141, v132
	v_nop
	s_delay_alu instid0(TRANS32_DEP_1) | instskip(NEXT) | instid1(VALU_DEP_1)
	v_fma_f32 v142, -v132, v141, 1.0
	v_fmac_f32_e32 v141, v142, v141
	s_delay_alu instid0(VALU_DEP_1) | instskip(NEXT) | instid1(VALU_DEP_1)
	v_mul_f32_e32 v142, v143, v141
	v_fma_f32 v144, -v132, v142, v143
	s_delay_alu instid0(VALU_DEP_1) | instskip(NEXT) | instid1(VALU_DEP_1)
	v_fmac_f32_e32 v142, v144, v141
	v_fma_f32 v132, -v132, v142, v143
	s_delay_alu instid0(VALU_DEP_1) | instskip(NEXT) | instid1(VALU_DEP_1)
	v_div_fmas_f32 v132, v132, v141, v142
	v_div_fixup_f32 v133, v132, v133, 1.0
	s_delay_alu instid0(VALU_DEP_1)
	v_mul_f32_e32 v132, v135, v133
	v_xor_b32_e32 v133, 0x80000000, v133
.LBB124_994:
	s_and_not1_saveexec_b32 s1, s1
	s_cbranch_execz .LBB124_996
; %bb.995:
	s_delay_alu instid0(VALU_DEP_1) | instskip(SKIP_1) | instid1(VALU_DEP_2)
	v_div_scale_f32 v135, null, v132, v132, v133
	v_div_scale_f32 v143, vcc_lo, v133, v132, v133
	v_rcp_f32_e32 v141, v135
	v_nop
	s_delay_alu instid0(TRANS32_DEP_1) | instskip(NEXT) | instid1(VALU_DEP_1)
	v_fma_f32 v142, -v135, v141, 1.0
	v_fmac_f32_e32 v141, v142, v141
	s_delay_alu instid0(VALU_DEP_1) | instskip(NEXT) | instid1(VALU_DEP_1)
	v_mul_f32_e32 v142, v143, v141
	v_fma_f32 v144, -v135, v142, v143
	s_delay_alu instid0(VALU_DEP_1) | instskip(NEXT) | instid1(VALU_DEP_1)
	v_fmac_f32_e32 v142, v144, v141
	v_fma_f32 v135, -v135, v142, v143
	s_delay_alu instid0(VALU_DEP_1) | instskip(NEXT) | instid1(VALU_DEP_1)
	v_div_fmas_f32 v135, v135, v141, v142
	v_div_fixup_f32 v135, v135, v132, v133
	s_delay_alu instid0(VALU_DEP_1) | instskip(NEXT) | instid1(VALU_DEP_1)
	v_fmac_f32_e32 v132, v133, v135
	v_div_scale_f32 v133, null, v132, v132, 1.0
	s_delay_alu instid0(VALU_DEP_1) | instskip(SKIP_1) | instid1(TRANS32_DEP_1)
	v_rcp_f32_e32 v141, v133
	v_nop
	v_fma_f32 v142, -v133, v141, 1.0
	s_delay_alu instid0(VALU_DEP_1) | instskip(SKIP_1) | instid1(VALU_DEP_1)
	v_fmac_f32_e32 v141, v142, v141
	v_div_scale_f32 v142, vcc_lo, 1.0, v132, 1.0
	v_mul_f32_e32 v143, v142, v141
	s_delay_alu instid0(VALU_DEP_1) | instskip(NEXT) | instid1(VALU_DEP_1)
	v_fma_f32 v144, -v133, v143, v142
	v_fmac_f32_e32 v143, v144, v141
	s_delay_alu instid0(VALU_DEP_1) | instskip(NEXT) | instid1(VALU_DEP_1)
	v_fma_f32 v133, -v133, v143, v142
	v_div_fmas_f32 v133, v133, v141, v143
	s_delay_alu instid0(VALU_DEP_1) | instskip(NEXT) | instid1(VALU_DEP_1)
	v_div_fixup_f32 v132, v133, v132, 1.0
	v_mul_f32_e64 v133, v135, -v132
.LBB124_996:
	s_or_b32 exec_lo, exec_lo, s1
.LBB124_997:
	s_delay_alu instid0(SALU_CYCLE_1) | instskip(NEXT) | instid1(SALU_CYCLE_1)
	s_or_b32 exec_lo, exec_lo, s0
	s_mov_b32 s0, exec_lo
	v_cmpx_ne_u32_e64 v140, v134
	s_xor_b32 s0, exec_lo, s0
	s_cbranch_execz .LBB124_1003
; %bb.998:
	s_mov_b32 s1, exec_lo
	v_cmpx_eq_u32_e32 47, v140
	s_cbranch_execz .LBB124_1002
; %bb.999:
	v_cmp_ne_u32_e32 vcc_lo, 47, v134
	s_xor_b32 s12, s16, -1
	s_delay_alu instid0(SALU_CYCLE_1) | instskip(NEXT) | instid1(SALU_CYCLE_1)
	s_and_b32 s13, s12, vcc_lo
	s_and_saveexec_b32 s12, s13
	s_cbranch_execz .LBB124_1001
; %bb.1000:
	v_ashrrev_i32_e32 v135, 31, v134
	s_delay_alu instid0(VALU_DEP_1)
	v_lshl_add_u64 v[140:141], v[134:135], 2, v[4:5]
	s_clause 0x1
	global_load_b32 v135, v[140:141], off
	global_load_b32 v139, v[4:5], off offset:188
	s_wait_loadcnt 0x1
	global_store_b32 v[4:5], v135, off offset:188
	s_wait_loadcnt 0x0
	global_store_b32 v[140:141], v139, off
.LBB124_1001:
	s_wait_xcnt 0x0
	s_or_b32 exec_lo, exec_lo, s12
	v_dual_mov_b32 v140, v134 :: v_dual_mov_b32 v139, v134
.LBB124_1002:
	s_or_b32 exec_lo, exec_lo, s1
.LBB124_1003:
	s_and_not1_saveexec_b32 s0, s0
	s_cbranch_execz .LBB124_1005
; %bb.1004:
	v_dual_mov_b32 v134, v76 :: v_dual_mov_b32 v135, v77
	v_dual_mov_b32 v140, v74 :: v_dual_mov_b32 v141, v75
	;; [unrolled: 1-line block ×4, first 2 shown]
	ds_store_2addr_b64 v136, v[134:135], v[140:141] offset0:48 offset1:49
	ds_store_2addr_b64 v136, v[142:143], v[144:145] offset0:50 offset1:51
	v_dual_mov_b32 v134, v68 :: v_dual_mov_b32 v135, v69
	v_dual_mov_b32 v140, v66 :: v_dual_mov_b32 v141, v67
	;; [unrolled: 1-line block ×6, first 2 shown]
	ds_store_2addr_b64 v136, v[134:135], v[140:141] offset0:52 offset1:53
	ds_store_2addr_b64 v136, v[142:143], v[144:145] offset0:54 offset1:55
	v_dual_mov_b32 v140, 47 :: v_dual_mov_b32 v150, v6
	v_dual_mov_b32 v151, v7 :: v_dual_mov_b32 v152, v26
	;; [unrolled: 1-line block ×4, first 2 shown]
	v_mov_b32_e32 v157, v13
	ds_store_2addr_b64 v136, v[146:147], v[148:149] offset0:56 offset1:57
	ds_store_2addr_b64 v136, v[150:151], v[152:153] offset0:58 offset1:59
	;; [unrolled: 1-line block ×3, first 2 shown]
	ds_store_b64 v136, v[130:131] offset:496
.LBB124_1005:
	s_or_b32 exec_lo, exec_lo, s0
	s_delay_alu instid0(SALU_CYCLE_1)
	s_mov_b32 s0, exec_lo
	s_wait_storecnt_dscnt 0x0
	s_barrier_signal -1
	s_barrier_wait -1
	v_cmpx_lt_i32_e32 47, v140
	s_cbranch_execz .LBB124_1007
; %bb.1006:
	v_pk_mul_f32 v[142:143], v[132:133], v[18:19] op_sel:[1,1] op_sel_hi:[0,1]
	s_delay_alu instid0(VALU_DEP_1)
	v_pk_fma_f32 v[134:135], v[132:133], v[18:19], v[142:143] op_sel_hi:[1,0,1] neg_lo:[0,0,1] neg_hi:[0,0,1]
	v_pk_fma_f32 v[132:133], v[132:133], v[18:19], v[142:143] op_sel_hi:[1,0,1]
	ds_load_2addr_b64 v[142:145], v136 offset0:48 offset1:49
	v_dual_mov_b32 v18, v134 :: v_dual_mov_b32 v19, v133
	s_wait_dscnt 0x0
	v_pk_mul_f32 v[146:147], v[142:143], v[132:133] op_sel:[0,1]
	s_delay_alu instid0(VALU_DEP_1) | instskip(SKIP_1) | instid1(VALU_DEP_1)
	v_pk_fma_f32 v[148:149], v[142:143], v[134:135], v[146:147] op_sel:[0,0,1] op_sel_hi:[1,1,0] neg_lo:[0,0,1] neg_hi:[0,0,1]
	v_pk_fma_f32 v[142:143], v[142:143], v[134:135], v[146:147] op_sel:[0,0,1] op_sel_hi:[1,0,0]
	v_mov_b32_e32 v149, v143
	v_pk_mul_f32 v[142:143], v[144:145], v[132:133] op_sel:[0,1]
	s_delay_alu instid0(VALU_DEP_1) | instskip(SKIP_1) | instid1(VALU_DEP_1)
	v_pk_fma_f32 v[146:147], v[144:145], v[134:135], v[142:143] op_sel:[0,0,1] op_sel_hi:[1,1,0] neg_lo:[0,0,1] neg_hi:[0,0,1]
	v_pk_fma_f32 v[142:143], v[144:145], v[134:135], v[142:143] op_sel:[0,0,1] op_sel_hi:[1,0,0]
	v_mov_b32_e32 v147, v143
	ds_load_2addr_b64 v[142:145], v136 offset0:50 offset1:51
	v_pk_add_f32 v[76:77], v[76:77], v[148:149] neg_lo:[0,1] neg_hi:[0,1]
	v_pk_add_f32 v[74:75], v[74:75], v[146:147] neg_lo:[0,1] neg_hi:[0,1]
	s_wait_dscnt 0x0
	v_pk_mul_f32 v[146:147], v[142:143], v[132:133] op_sel:[0,1]
	s_delay_alu instid0(VALU_DEP_1) | instskip(SKIP_2) | instid1(VALU_DEP_2)
	v_pk_fma_f32 v[148:149], v[142:143], v[134:135], v[146:147] op_sel:[0,0,1] op_sel_hi:[1,1,0] neg_lo:[0,0,1] neg_hi:[0,0,1]
	v_pk_fma_f32 v[142:143], v[142:143], v[134:135], v[146:147] op_sel:[0,0,1] op_sel_hi:[1,0,0]
	v_dual_mul_f32 v146, v145, v133 :: v_dual_mov_b32 v142, v145
	v_dual_mov_b32 v149, v143 :: v_dual_mov_b32 v143, v144
	s_delay_alu instid0(VALU_DEP_2) | instskip(SKIP_1) | instid1(VALU_DEP_3)
	v_pk_fma_f32 v[146:147], v[144:145], v[18:19], v[146:147] op_sel_hi:[1,1,0] neg_lo:[0,0,1] neg_hi:[0,0,1]
	v_mul_f32_e32 v144, v145, v134
	v_pk_add_f32 v[16:17], v[16:17], v[148:149] neg_lo:[0,1] neg_hi:[0,1]
	s_delay_alu instid0(VALU_DEP_2) | instskip(NEXT) | instid1(VALU_DEP_1)
	v_pk_fma_f32 v[142:143], v[142:143], v[18:19], v[144:145] op_sel_hi:[1,1,0]
	v_mov_b32_e32 v147, v143
	ds_load_2addr_b64 v[142:145], v136 offset0:52 offset1:53
	v_pk_add_f32 v[28:29], v[28:29], v[146:147] neg_lo:[0,1] neg_hi:[0,1]
	s_wait_dscnt 0x0
	v_pk_mul_f32 v[146:147], v[142:143], v[132:133] op_sel:[0,1]
	s_delay_alu instid0(VALU_DEP_1) | instskip(SKIP_1) | instid1(VALU_DEP_1)
	v_pk_fma_f32 v[148:149], v[142:143], v[134:135], v[146:147] op_sel:[0,0,1] op_sel_hi:[1,1,0] neg_lo:[0,0,1] neg_hi:[0,0,1]
	v_pk_fma_f32 v[142:143], v[142:143], v[134:135], v[146:147] op_sel:[0,0,1] op_sel_hi:[1,0,0]
	v_mov_b32_e32 v149, v143
	v_pk_mul_f32 v[142:143], v[144:145], v[132:133] op_sel:[0,1]
	s_delay_alu instid0(VALU_DEP_1) | instskip(SKIP_1) | instid1(VALU_DEP_1)
	v_pk_fma_f32 v[146:147], v[144:145], v[134:135], v[142:143] op_sel:[0,0,1] op_sel_hi:[1,1,0] neg_lo:[0,0,1] neg_hi:[0,0,1]
	v_pk_fma_f32 v[142:143], v[144:145], v[134:135], v[142:143] op_sel:[0,0,1] op_sel_hi:[1,0,0]
	v_mov_b32_e32 v147, v143
	ds_load_2addr_b64 v[142:145], v136 offset0:54 offset1:55
	v_pk_add_f32 v[68:69], v[68:69], v[148:149] neg_lo:[0,1] neg_hi:[0,1]
	v_pk_add_f32 v[66:67], v[66:67], v[146:147] neg_lo:[0,1] neg_hi:[0,1]
	s_wait_dscnt 0x0
	v_pk_mul_f32 v[146:147], v[142:143], v[132:133] op_sel:[0,1]
	s_delay_alu instid0(VALU_DEP_1) | instskip(SKIP_1) | instid1(VALU_DEP_1)
	v_pk_fma_f32 v[148:149], v[142:143], v[134:135], v[146:147] op_sel:[0,0,1] op_sel_hi:[1,1,0] neg_lo:[0,0,1] neg_hi:[0,0,1]
	v_pk_fma_f32 v[142:143], v[142:143], v[134:135], v[146:147] op_sel:[0,0,1] op_sel_hi:[1,0,0]
	v_mov_b32_e32 v149, v143
	v_pk_mul_f32 v[142:143], v[144:145], v[132:133] op_sel:[0,1]
	s_delay_alu instid0(VALU_DEP_1) | instskip(SKIP_1) | instid1(VALU_DEP_1)
	v_pk_fma_f32 v[146:147], v[144:145], v[134:135], v[142:143] op_sel:[0,0,1] op_sel_hi:[1,1,0] neg_lo:[0,0,1] neg_hi:[0,0,1]
	v_pk_fma_f32 v[142:143], v[144:145], v[134:135], v[142:143] op_sel:[0,0,1] op_sel_hi:[1,0,0]
	v_mov_b32_e32 v147, v143
	ds_load_2addr_b64 v[142:145], v136 offset0:56 offset1:57
	v_pk_add_f32 v[10:11], v[10:11], v[148:149] neg_lo:[0,1] neg_hi:[0,1]
	v_pk_add_f32 v[8:9], v[8:9], v[146:147] neg_lo:[0,1] neg_hi:[0,1]
	s_wait_dscnt 0x0
	v_dual_mul_f32 v146, v143, v133 :: v_dual_mul_f32 v148, v143, v134
	s_delay_alu instid0(VALU_DEP_1) | instskip(NEXT) | instid1(VALU_DEP_2)
	v_pk_fma_f32 v[146:147], v[142:143], v[18:19], v[146:147] op_sel_hi:[1,1,0] neg_lo:[0,0,1] neg_hi:[0,0,1]
	v_pk_fma_f32 v[142:143], v[142:143], v[18:19], v[148:149] op_sel:[1,0,0] op_sel_hi:[0,1,0]
	s_delay_alu instid0(VALU_DEP_1) | instskip(SKIP_1) | instid1(VALU_DEP_2)
	v_mov_b32_e32 v147, v143
	v_pk_mul_f32 v[142:143], v[144:145], v[132:133] op_sel:[0,1]
	v_pk_add_f32 v[34:35], v[34:35], v[146:147] neg_lo:[0,1] neg_hi:[0,1]
	s_delay_alu instid0(VALU_DEP_2) | instskip(SKIP_1) | instid1(VALU_DEP_1)
	v_pk_fma_f32 v[146:147], v[144:145], v[134:135], v[142:143] op_sel:[0,0,1] op_sel_hi:[1,1,0] neg_lo:[0,0,1] neg_hi:[0,0,1]
	v_pk_fma_f32 v[142:143], v[144:145], v[134:135], v[142:143] op_sel:[0,0,1] op_sel_hi:[1,0,0]
	v_mov_b32_e32 v147, v143
	ds_load_2addr_b64 v[142:145], v136 offset0:58 offset1:59
	v_pk_add_f32 v[30:31], v[30:31], v[146:147] neg_lo:[0,1] neg_hi:[0,1]
	s_wait_dscnt 0x0
	v_pk_mul_f32 v[146:147], v[142:143], v[132:133] op_sel:[0,1]
	s_delay_alu instid0(VALU_DEP_1) | instskip(SKIP_1) | instid1(VALU_DEP_1)
	v_pk_fma_f32 v[148:149], v[142:143], v[134:135], v[146:147] op_sel:[0,0,1] op_sel_hi:[1,1,0] neg_lo:[0,0,1] neg_hi:[0,0,1]
	v_pk_fma_f32 v[142:143], v[142:143], v[134:135], v[146:147] op_sel:[0,0,1] op_sel_hi:[1,0,0]
	v_mov_b32_e32 v149, v143
	v_pk_mul_f32 v[142:143], v[144:145], v[132:133] op_sel:[0,1]
	s_delay_alu instid0(VALU_DEP_2) | instskip(NEXT) | instid1(VALU_DEP_2)
	v_pk_add_f32 v[6:7], v[6:7], v[148:149] neg_lo:[0,1] neg_hi:[0,1]
	v_pk_fma_f32 v[146:147], v[144:145], v[134:135], v[142:143] op_sel:[0,0,1] op_sel_hi:[1,1,0] neg_lo:[0,0,1] neg_hi:[0,0,1]
	v_pk_fma_f32 v[142:143], v[144:145], v[134:135], v[142:143] op_sel:[0,0,1] op_sel_hi:[1,0,0]
	s_delay_alu instid0(VALU_DEP_1) | instskip(SKIP_4) | instid1(VALU_DEP_1)
	v_mov_b32_e32 v147, v143
	ds_load_2addr_b64 v[142:145], v136 offset0:60 offset1:61
	v_pk_add_f32 v[26:27], v[26:27], v[146:147] neg_lo:[0,1] neg_hi:[0,1]
	s_wait_dscnt 0x0
	v_pk_mul_f32 v[146:147], v[142:143], v[132:133] op_sel:[0,1]
	v_pk_fma_f32 v[148:149], v[142:143], v[134:135], v[146:147] op_sel:[0,0,1] op_sel_hi:[1,1,0] neg_lo:[0,0,1] neg_hi:[0,0,1]
	v_pk_fma_f32 v[142:143], v[142:143], v[134:135], v[146:147] op_sel:[0,0,1] op_sel_hi:[1,0,0]
	v_dual_mul_f32 v146, v145, v133 :: v_dual_mov_b32 v142, v145
	s_delay_alu instid0(VALU_DEP_2) | instskip(NEXT) | instid1(VALU_DEP_2)
	v_dual_mov_b32 v149, v143 :: v_dual_mov_b32 v143, v144
	v_pk_fma_f32 v[146:147], v[144:145], v[18:19], v[146:147] op_sel_hi:[1,1,0] neg_lo:[0,0,1] neg_hi:[0,0,1]
	v_mul_f32_e32 v144, v145, v134
	s_delay_alu instid0(VALU_DEP_3) | instskip(NEXT) | instid1(VALU_DEP_2)
	v_pk_add_f32 v[14:15], v[14:15], v[148:149] neg_lo:[0,1] neg_hi:[0,1]
	v_pk_fma_f32 v[142:143], v[142:143], v[18:19], v[144:145] op_sel_hi:[1,1,0]
	s_delay_alu instid0(VALU_DEP_1) | instskip(SKIP_4) | instid1(VALU_DEP_1)
	v_mov_b32_e32 v147, v143
	ds_load_b64 v[142:143], v136 offset:496
	v_pk_add_f32 v[12:13], v[12:13], v[146:147] neg_lo:[0,1] neg_hi:[0,1]
	s_wait_dscnt 0x0
	v_pk_mul_f32 v[132:133], v[142:143], v[132:133] op_sel:[0,1]
	v_pk_fma_f32 v[144:145], v[142:143], v[134:135], v[132:133] op_sel:[0,0,1] op_sel_hi:[1,1,0] neg_lo:[0,0,1] neg_hi:[0,0,1]
	v_pk_fma_f32 v[132:133], v[142:143], v[134:135], v[132:133] op_sel:[0,0,1] op_sel_hi:[1,0,0]
	s_delay_alu instid0(VALU_DEP_1) | instskip(NEXT) | instid1(VALU_DEP_1)
	v_mov_b32_e32 v145, v133
	v_pk_add_f32 v[130:131], v[130:131], v[144:145] neg_lo:[0,1] neg_hi:[0,1]
.LBB124_1007:
	s_or_b32 exec_lo, exec_lo, s0
	v_lshl_add_u32 v132, v140, 3, v136
	s_barrier_signal -1
	s_barrier_wait -1
	ds_store_b64 v132, v[76:77]
	s_wait_dscnt 0x0
	s_barrier_signal -1
	s_barrier_wait -1
	ds_load_b64 v[132:133], v136 offset:384
	v_mov_b32_e32 v134, 48
	s_cmp_lt_i32 s18, 50
	s_cbranch_scc1 .LBB124_1010
; %bb.1008:
	v_add3_u32 v135, v137, 0, 0x188
	v_mov_b32_e32 v134, 48
	s_mov_b32 s0, 49
.LBB124_1009:                           ; =>This Inner Loop Header: Depth=1
	ds_load_b64 v[142:143], v135
	s_wait_dscnt 0x1
	v_cmp_gt_f32_e32 vcc_lo, 0, v132
	v_cndmask_b32_e64 v144, v132, -v132, vcc_lo
	v_cmp_gt_f32_e32 vcc_lo, 0, v133
	v_cndmask_b32_e64 v146, v133, -v133, vcc_lo
	s_wait_dscnt 0x0
	v_cmp_gt_f32_e32 vcc_lo, 0, v142
	v_cndmask_b32_e64 v145, v142, -v142, vcc_lo
	v_cmp_gt_f32_e32 vcc_lo, 0, v143
	v_cndmask_b32_e64 v147, v143, -v143, vcc_lo
	s_delay_alu instid0(VALU_DEP_1) | instskip(NEXT) | instid1(VALU_DEP_1)
	v_pk_add_f32 v[144:145], v[144:145], v[146:147]
	v_cmp_lt_f32_e32 vcc_lo, v144, v145
	v_dual_cndmask_b32 v132, v132, v142 :: v_dual_add_nc_u32 v135, 8, v135
	v_cndmask_b32_e32 v133, v133, v143, vcc_lo
	v_cndmask_b32_e64 v134, v134, s0, vcc_lo
	s_add_co_i32 s0, s0, 1
	s_delay_alu instid0(SALU_CYCLE_1)
	s_cmp_lg_u32 s18, s0
	s_cbranch_scc1 .LBB124_1009
.LBB124_1010:
	s_wait_dscnt 0x0
	v_cmp_eq_f32_e32 vcc_lo, 0, v132
	v_cmp_eq_f32_e64 s0, 0, v133
	s_and_b32 s0, vcc_lo, s0
	s_delay_alu instid0(SALU_CYCLE_1) | instskip(NEXT) | instid1(SALU_CYCLE_1)
	s_and_saveexec_b32 s1, s0
	s_xor_b32 s0, exec_lo, s1
; %bb.1011:
	v_cmp_ne_u32_e32 vcc_lo, 0, v138
	v_cndmask_b32_e32 v138, 49, v138, vcc_lo
; %bb.1012:
	s_and_not1_saveexec_b32 s0, s0
	s_cbranch_execz .LBB124_1018
; %bb.1013:
	v_cmp_ngt_f32_e64 s1, |v132|, |v133|
	s_and_saveexec_b32 s12, s1
	s_delay_alu instid0(SALU_CYCLE_1)
	s_xor_b32 s1, exec_lo, s12
	s_cbranch_execz .LBB124_1015
; %bb.1014:
	v_div_scale_f32 v135, null, v133, v133, v132
	v_div_scale_f32 v143, vcc_lo, v132, v133, v132
	s_delay_alu instid0(VALU_DEP_2) | instskip(SKIP_1) | instid1(TRANS32_DEP_1)
	v_rcp_f32_e32 v141, v135
	v_nop
	v_fma_f32 v142, -v135, v141, 1.0
	s_delay_alu instid0(VALU_DEP_1) | instskip(NEXT) | instid1(VALU_DEP_1)
	v_fmac_f32_e32 v141, v142, v141
	v_mul_f32_e32 v142, v143, v141
	s_delay_alu instid0(VALU_DEP_1) | instskip(NEXT) | instid1(VALU_DEP_1)
	v_fma_f32 v144, -v135, v142, v143
	v_fmac_f32_e32 v142, v144, v141
	s_delay_alu instid0(VALU_DEP_1) | instskip(NEXT) | instid1(VALU_DEP_1)
	v_fma_f32 v135, -v135, v142, v143
	v_div_fmas_f32 v135, v135, v141, v142
	s_delay_alu instid0(VALU_DEP_1) | instskip(NEXT) | instid1(VALU_DEP_1)
	v_div_fixup_f32 v135, v135, v133, v132
	v_fmac_f32_e32 v133, v132, v135
	s_delay_alu instid0(VALU_DEP_1) | instskip(SKIP_1) | instid1(VALU_DEP_2)
	v_div_scale_f32 v132, null, v133, v133, 1.0
	v_div_scale_f32 v143, vcc_lo, 1.0, v133, 1.0
	v_rcp_f32_e32 v141, v132
	v_nop
	s_delay_alu instid0(TRANS32_DEP_1) | instskip(NEXT) | instid1(VALU_DEP_1)
	v_fma_f32 v142, -v132, v141, 1.0
	v_fmac_f32_e32 v141, v142, v141
	s_delay_alu instid0(VALU_DEP_1) | instskip(NEXT) | instid1(VALU_DEP_1)
	v_mul_f32_e32 v142, v143, v141
	v_fma_f32 v144, -v132, v142, v143
	s_delay_alu instid0(VALU_DEP_1) | instskip(NEXT) | instid1(VALU_DEP_1)
	v_fmac_f32_e32 v142, v144, v141
	v_fma_f32 v132, -v132, v142, v143
	s_delay_alu instid0(VALU_DEP_1) | instskip(NEXT) | instid1(VALU_DEP_1)
	v_div_fmas_f32 v132, v132, v141, v142
	v_div_fixup_f32 v133, v132, v133, 1.0
	s_delay_alu instid0(VALU_DEP_1)
	v_mul_f32_e32 v132, v135, v133
	v_xor_b32_e32 v133, 0x80000000, v133
.LBB124_1015:
	s_and_not1_saveexec_b32 s1, s1
	s_cbranch_execz .LBB124_1017
; %bb.1016:
	s_delay_alu instid0(VALU_DEP_1) | instskip(SKIP_1) | instid1(VALU_DEP_2)
	v_div_scale_f32 v135, null, v132, v132, v133
	v_div_scale_f32 v143, vcc_lo, v133, v132, v133
	v_rcp_f32_e32 v141, v135
	v_nop
	s_delay_alu instid0(TRANS32_DEP_1) | instskip(NEXT) | instid1(VALU_DEP_1)
	v_fma_f32 v142, -v135, v141, 1.0
	v_fmac_f32_e32 v141, v142, v141
	s_delay_alu instid0(VALU_DEP_1) | instskip(NEXT) | instid1(VALU_DEP_1)
	v_mul_f32_e32 v142, v143, v141
	v_fma_f32 v144, -v135, v142, v143
	s_delay_alu instid0(VALU_DEP_1) | instskip(NEXT) | instid1(VALU_DEP_1)
	v_fmac_f32_e32 v142, v144, v141
	v_fma_f32 v135, -v135, v142, v143
	s_delay_alu instid0(VALU_DEP_1) | instskip(NEXT) | instid1(VALU_DEP_1)
	v_div_fmas_f32 v135, v135, v141, v142
	v_div_fixup_f32 v135, v135, v132, v133
	s_delay_alu instid0(VALU_DEP_1) | instskip(NEXT) | instid1(VALU_DEP_1)
	v_fmac_f32_e32 v132, v133, v135
	v_div_scale_f32 v133, null, v132, v132, 1.0
	s_delay_alu instid0(VALU_DEP_1) | instskip(SKIP_1) | instid1(TRANS32_DEP_1)
	v_rcp_f32_e32 v141, v133
	v_nop
	v_fma_f32 v142, -v133, v141, 1.0
	s_delay_alu instid0(VALU_DEP_1) | instskip(SKIP_1) | instid1(VALU_DEP_1)
	v_fmac_f32_e32 v141, v142, v141
	v_div_scale_f32 v142, vcc_lo, 1.0, v132, 1.0
	v_mul_f32_e32 v143, v142, v141
	s_delay_alu instid0(VALU_DEP_1) | instskip(NEXT) | instid1(VALU_DEP_1)
	v_fma_f32 v144, -v133, v143, v142
	v_fmac_f32_e32 v143, v144, v141
	s_delay_alu instid0(VALU_DEP_1) | instskip(NEXT) | instid1(VALU_DEP_1)
	v_fma_f32 v133, -v133, v143, v142
	v_div_fmas_f32 v133, v133, v141, v143
	s_delay_alu instid0(VALU_DEP_1) | instskip(NEXT) | instid1(VALU_DEP_1)
	v_div_fixup_f32 v132, v133, v132, 1.0
	v_mul_f32_e64 v133, v135, -v132
.LBB124_1017:
	s_or_b32 exec_lo, exec_lo, s1
.LBB124_1018:
	s_delay_alu instid0(SALU_CYCLE_1) | instskip(NEXT) | instid1(SALU_CYCLE_1)
	s_or_b32 exec_lo, exec_lo, s0
	s_mov_b32 s0, exec_lo
	v_cmpx_ne_u32_e64 v140, v134
	s_xor_b32 s0, exec_lo, s0
	s_cbranch_execz .LBB124_1024
; %bb.1019:
	s_mov_b32 s1, exec_lo
	v_cmpx_eq_u32_e32 48, v140
	s_cbranch_execz .LBB124_1023
; %bb.1020:
	v_cmp_ne_u32_e32 vcc_lo, 48, v134
	s_xor_b32 s12, s16, -1
	s_delay_alu instid0(SALU_CYCLE_1) | instskip(NEXT) | instid1(SALU_CYCLE_1)
	s_and_b32 s13, s12, vcc_lo
	s_and_saveexec_b32 s12, s13
	s_cbranch_execz .LBB124_1022
; %bb.1021:
	v_ashrrev_i32_e32 v135, 31, v134
	s_delay_alu instid0(VALU_DEP_1)
	v_lshl_add_u64 v[140:141], v[134:135], 2, v[4:5]
	s_clause 0x1
	global_load_b32 v135, v[140:141], off
	global_load_b32 v139, v[4:5], off offset:192
	s_wait_loadcnt 0x1
	global_store_b32 v[4:5], v135, off offset:192
	s_wait_loadcnt 0x0
	global_store_b32 v[140:141], v139, off
.LBB124_1022:
	s_wait_xcnt 0x0
	s_or_b32 exec_lo, exec_lo, s12
	v_dual_mov_b32 v140, v134 :: v_dual_mov_b32 v139, v134
.LBB124_1023:
	s_or_b32 exec_lo, exec_lo, s1
.LBB124_1024:
	s_and_not1_saveexec_b32 s0, s0
	s_cbranch_execz .LBB124_1026
; %bb.1025:
	v_mov_b32_e32 v140, 48
	ds_store_2addr_b64 v136, v[74:75], v[16:17] offset0:49 offset1:50
	ds_store_2addr_b64 v136, v[28:29], v[68:69] offset0:51 offset1:52
	ds_store_2addr_b64 v136, v[66:67], v[10:11] offset0:53 offset1:54
	ds_store_2addr_b64 v136, v[8:9], v[34:35] offset0:55 offset1:56
	ds_store_2addr_b64 v136, v[30:31], v[6:7] offset0:57 offset1:58
	ds_store_2addr_b64 v136, v[26:27], v[14:15] offset0:59 offset1:60
	ds_store_2addr_b64 v136, v[12:13], v[130:131] offset0:61 offset1:62
.LBB124_1026:
	s_or_b32 exec_lo, exec_lo, s0
	s_delay_alu instid0(SALU_CYCLE_1)
	s_mov_b32 s0, exec_lo
	s_wait_storecnt_dscnt 0x0
	s_barrier_signal -1
	s_barrier_wait -1
	v_cmpx_lt_i32_e32 48, v140
	s_cbranch_execz .LBB124_1028
; %bb.1027:
	v_pk_mul_f32 v[134:135], v[132:133], v[76:77] op_sel:[1,1] op_sel_hi:[0,1]
	s_delay_alu instid0(VALU_DEP_1)
	v_pk_fma_f32 v[142:143], v[132:133], v[76:77], v[134:135] op_sel_hi:[1,0,1] neg_lo:[0,0,1] neg_hi:[0,0,1]
	v_pk_fma_f32 v[144:145], v[132:133], v[76:77], v[134:135] op_sel_hi:[1,0,1]
	ds_load_2addr_b64 v[132:135], v136 offset0:49 offset1:50
	v_dual_mov_b32 v76, v142 :: v_dual_mov_b32 v77, v145
	s_wait_dscnt 0x0
	v_pk_mul_f32 v[146:147], v[132:133], v[144:145] op_sel:[0,1]
	s_delay_alu instid0(VALU_DEP_1) | instskip(SKIP_1) | instid1(VALU_DEP_1)
	v_pk_fma_f32 v[148:149], v[132:133], v[142:143], v[146:147] op_sel:[0,0,1] op_sel_hi:[1,1,0] neg_lo:[0,0,1] neg_hi:[0,0,1]
	v_pk_fma_f32 v[132:133], v[132:133], v[142:143], v[146:147] op_sel:[0,0,1] op_sel_hi:[1,0,0]
	v_mov_b32_e32 v149, v133
	v_pk_mul_f32 v[132:133], v[134:135], v[144:145] op_sel:[0,1]
	s_delay_alu instid0(VALU_DEP_1) | instskip(SKIP_1) | instid1(VALU_DEP_1)
	v_pk_fma_f32 v[146:147], v[134:135], v[142:143], v[132:133] op_sel:[0,0,1] op_sel_hi:[1,1,0] neg_lo:[0,0,1] neg_hi:[0,0,1]
	v_pk_fma_f32 v[132:133], v[134:135], v[142:143], v[132:133] op_sel:[0,0,1] op_sel_hi:[1,0,0]
	v_mov_b32_e32 v147, v133
	ds_load_2addr_b64 v[132:135], v136 offset0:51 offset1:52
	v_pk_add_f32 v[74:75], v[74:75], v[148:149] neg_lo:[0,1] neg_hi:[0,1]
	v_pk_add_f32 v[16:17], v[16:17], v[146:147] neg_lo:[0,1] neg_hi:[0,1]
	s_wait_dscnt 0x0
	v_pk_mul_f32 v[146:147], v[132:133], v[144:145] op_sel:[0,1]
	s_delay_alu instid0(VALU_DEP_1) | instskip(SKIP_2) | instid1(VALU_DEP_2)
	v_pk_fma_f32 v[148:149], v[132:133], v[142:143], v[146:147] op_sel:[0,0,1] op_sel_hi:[1,1,0] neg_lo:[0,0,1] neg_hi:[0,0,1]
	v_pk_fma_f32 v[132:133], v[132:133], v[142:143], v[146:147] op_sel:[0,0,1] op_sel_hi:[1,0,0]
	v_dual_mul_f32 v146, v135, v145 :: v_dual_mov_b32 v132, v135
	v_dual_mov_b32 v149, v133 :: v_dual_mov_b32 v133, v134
	s_delay_alu instid0(VALU_DEP_2) | instskip(SKIP_1) | instid1(VALU_DEP_3)
	v_pk_fma_f32 v[146:147], v[134:135], v[76:77], v[146:147] op_sel_hi:[1,1,0] neg_lo:[0,0,1] neg_hi:[0,0,1]
	v_mul_f32_e32 v134, v135, v142
	v_pk_add_f32 v[28:29], v[28:29], v[148:149] neg_lo:[0,1] neg_hi:[0,1]
	s_delay_alu instid0(VALU_DEP_2) | instskip(NEXT) | instid1(VALU_DEP_1)
	v_pk_fma_f32 v[132:133], v[132:133], v[76:77], v[134:135] op_sel_hi:[1,1,0]
	v_mov_b32_e32 v147, v133
	ds_load_2addr_b64 v[132:135], v136 offset0:53 offset1:54
	v_pk_add_f32 v[68:69], v[68:69], v[146:147] neg_lo:[0,1] neg_hi:[0,1]
	s_wait_dscnt 0x0
	v_pk_mul_f32 v[146:147], v[132:133], v[144:145] op_sel:[0,1]
	s_delay_alu instid0(VALU_DEP_1) | instskip(SKIP_1) | instid1(VALU_DEP_1)
	v_pk_fma_f32 v[148:149], v[132:133], v[142:143], v[146:147] op_sel:[0,0,1] op_sel_hi:[1,1,0] neg_lo:[0,0,1] neg_hi:[0,0,1]
	v_pk_fma_f32 v[132:133], v[132:133], v[142:143], v[146:147] op_sel:[0,0,1] op_sel_hi:[1,0,0]
	v_mov_b32_e32 v149, v133
	v_pk_mul_f32 v[132:133], v[134:135], v[144:145] op_sel:[0,1]
	s_delay_alu instid0(VALU_DEP_1) | instskip(SKIP_1) | instid1(VALU_DEP_1)
	v_pk_fma_f32 v[146:147], v[134:135], v[142:143], v[132:133] op_sel:[0,0,1] op_sel_hi:[1,1,0] neg_lo:[0,0,1] neg_hi:[0,0,1]
	v_pk_fma_f32 v[132:133], v[134:135], v[142:143], v[132:133] op_sel:[0,0,1] op_sel_hi:[1,0,0]
	v_mov_b32_e32 v147, v133
	ds_load_2addr_b64 v[132:135], v136 offset0:55 offset1:56
	v_pk_add_f32 v[66:67], v[66:67], v[148:149] neg_lo:[0,1] neg_hi:[0,1]
	v_pk_add_f32 v[10:11], v[10:11], v[146:147] neg_lo:[0,1] neg_hi:[0,1]
	s_wait_dscnt 0x0
	v_pk_mul_f32 v[146:147], v[132:133], v[144:145] op_sel:[0,1]
	s_delay_alu instid0(VALU_DEP_1) | instskip(SKIP_1) | instid1(VALU_DEP_1)
	v_pk_fma_f32 v[148:149], v[132:133], v[142:143], v[146:147] op_sel:[0,0,1] op_sel_hi:[1,1,0] neg_lo:[0,0,1] neg_hi:[0,0,1]
	v_pk_fma_f32 v[132:133], v[132:133], v[142:143], v[146:147] op_sel:[0,0,1] op_sel_hi:[1,0,0]
	v_mov_b32_e32 v149, v133
	v_pk_mul_f32 v[132:133], v[134:135], v[144:145] op_sel:[0,1]
	s_delay_alu instid0(VALU_DEP_1) | instskip(SKIP_1) | instid1(VALU_DEP_1)
	v_pk_fma_f32 v[146:147], v[134:135], v[142:143], v[132:133] op_sel:[0,0,1] op_sel_hi:[1,1,0] neg_lo:[0,0,1] neg_hi:[0,0,1]
	v_pk_fma_f32 v[132:133], v[134:135], v[142:143], v[132:133] op_sel:[0,0,1] op_sel_hi:[1,0,0]
	v_mov_b32_e32 v147, v133
	ds_load_2addr_b64 v[132:135], v136 offset0:57 offset1:58
	v_pk_add_f32 v[8:9], v[8:9], v[148:149] neg_lo:[0,1] neg_hi:[0,1]
	v_pk_add_f32 v[34:35], v[34:35], v[146:147] neg_lo:[0,1] neg_hi:[0,1]
	s_wait_dscnt 0x0
	v_dual_mul_f32 v146, v133, v145 :: v_dual_mul_f32 v148, v133, v142
	s_delay_alu instid0(VALU_DEP_1) | instskip(NEXT) | instid1(VALU_DEP_2)
	v_pk_fma_f32 v[146:147], v[132:133], v[76:77], v[146:147] op_sel_hi:[1,1,0] neg_lo:[0,0,1] neg_hi:[0,0,1]
	v_pk_fma_f32 v[132:133], v[132:133], v[76:77], v[148:149] op_sel:[1,0,0] op_sel_hi:[0,1,0]
	s_delay_alu instid0(VALU_DEP_1) | instskip(SKIP_1) | instid1(VALU_DEP_2)
	v_mov_b32_e32 v147, v133
	v_pk_mul_f32 v[132:133], v[134:135], v[144:145] op_sel:[0,1]
	v_pk_add_f32 v[30:31], v[30:31], v[146:147] neg_lo:[0,1] neg_hi:[0,1]
	s_delay_alu instid0(VALU_DEP_2) | instskip(SKIP_1) | instid1(VALU_DEP_1)
	v_pk_fma_f32 v[146:147], v[134:135], v[142:143], v[132:133] op_sel:[0,0,1] op_sel_hi:[1,1,0] neg_lo:[0,0,1] neg_hi:[0,0,1]
	v_pk_fma_f32 v[132:133], v[134:135], v[142:143], v[132:133] op_sel:[0,0,1] op_sel_hi:[1,0,0]
	v_mov_b32_e32 v147, v133
	ds_load_2addr_b64 v[132:135], v136 offset0:59 offset1:60
	v_pk_add_f32 v[6:7], v[6:7], v[146:147] neg_lo:[0,1] neg_hi:[0,1]
	s_wait_dscnt 0x0
	v_pk_mul_f32 v[146:147], v[132:133], v[144:145] op_sel:[0,1]
	s_delay_alu instid0(VALU_DEP_1) | instskip(SKIP_1) | instid1(VALU_DEP_1)
	v_pk_fma_f32 v[148:149], v[132:133], v[142:143], v[146:147] op_sel:[0,0,1] op_sel_hi:[1,1,0] neg_lo:[0,0,1] neg_hi:[0,0,1]
	v_pk_fma_f32 v[132:133], v[132:133], v[142:143], v[146:147] op_sel:[0,0,1] op_sel_hi:[1,0,0]
	v_mov_b32_e32 v149, v133
	v_pk_mul_f32 v[132:133], v[134:135], v[144:145] op_sel:[0,1]
	s_delay_alu instid0(VALU_DEP_2) | instskip(NEXT) | instid1(VALU_DEP_2)
	v_pk_add_f32 v[26:27], v[26:27], v[148:149] neg_lo:[0,1] neg_hi:[0,1]
	v_pk_fma_f32 v[146:147], v[134:135], v[142:143], v[132:133] op_sel:[0,0,1] op_sel_hi:[1,1,0] neg_lo:[0,0,1] neg_hi:[0,0,1]
	v_pk_fma_f32 v[132:133], v[134:135], v[142:143], v[132:133] op_sel:[0,0,1] op_sel_hi:[1,0,0]
	s_delay_alu instid0(VALU_DEP_1) | instskip(SKIP_4) | instid1(VALU_DEP_1)
	v_mov_b32_e32 v147, v133
	ds_load_2addr_b64 v[132:135], v136 offset0:61 offset1:62
	v_pk_add_f32 v[14:15], v[14:15], v[146:147] neg_lo:[0,1] neg_hi:[0,1]
	s_wait_dscnt 0x0
	v_pk_mul_f32 v[146:147], v[132:133], v[144:145] op_sel:[0,1]
	v_pk_fma_f32 v[148:149], v[132:133], v[142:143], v[146:147] op_sel:[0,0,1] op_sel_hi:[1,1,0] neg_lo:[0,0,1] neg_hi:[0,0,1]
	v_pk_fma_f32 v[132:133], v[132:133], v[142:143], v[146:147] op_sel:[0,0,1] op_sel_hi:[1,0,0]
	s_delay_alu instid0(VALU_DEP_1) | instskip(SKIP_1) | instid1(VALU_DEP_2)
	v_mov_b32_e32 v149, v133
	v_pk_mul_f32 v[132:133], v[134:135], v[144:145] op_sel:[0,1]
	v_pk_add_f32 v[12:13], v[12:13], v[148:149] neg_lo:[0,1] neg_hi:[0,1]
	s_delay_alu instid0(VALU_DEP_2) | instskip(SKIP_1) | instid1(VALU_DEP_1)
	v_pk_fma_f32 v[144:145], v[134:135], v[142:143], v[132:133] op_sel:[0,0,1] op_sel_hi:[1,1,0] neg_lo:[0,0,1] neg_hi:[0,0,1]
	v_pk_fma_f32 v[132:133], v[134:135], v[142:143], v[132:133] op_sel:[0,0,1] op_sel_hi:[1,0,0]
	v_mov_b32_e32 v145, v133
	s_delay_alu instid0(VALU_DEP_1)
	v_pk_add_f32 v[130:131], v[130:131], v[144:145] neg_lo:[0,1] neg_hi:[0,1]
.LBB124_1028:
	s_or_b32 exec_lo, exec_lo, s0
	v_lshl_add_u32 v132, v140, 3, v136
	s_barrier_signal -1
	s_barrier_wait -1
	ds_store_b64 v132, v[74:75]
	s_wait_dscnt 0x0
	s_barrier_signal -1
	s_barrier_wait -1
	ds_load_b64 v[132:133], v136 offset:392
	v_mov_b32_e32 v134, 49
	s_cmp_lt_i32 s18, 51
	s_cbranch_scc1 .LBB124_1031
; %bb.1029:
	v_add3_u32 v135, v137, 0, 0x190
	v_mov_b32_e32 v134, 49
	s_mov_b32 s0, 50
.LBB124_1030:                           ; =>This Inner Loop Header: Depth=1
	ds_load_b64 v[142:143], v135
	s_wait_dscnt 0x1
	v_cmp_gt_f32_e32 vcc_lo, 0, v132
	v_cndmask_b32_e64 v144, v132, -v132, vcc_lo
	v_cmp_gt_f32_e32 vcc_lo, 0, v133
	v_cndmask_b32_e64 v146, v133, -v133, vcc_lo
	s_wait_dscnt 0x0
	v_cmp_gt_f32_e32 vcc_lo, 0, v142
	v_cndmask_b32_e64 v145, v142, -v142, vcc_lo
	v_cmp_gt_f32_e32 vcc_lo, 0, v143
	v_cndmask_b32_e64 v147, v143, -v143, vcc_lo
	s_delay_alu instid0(VALU_DEP_1) | instskip(NEXT) | instid1(VALU_DEP_1)
	v_pk_add_f32 v[144:145], v[144:145], v[146:147]
	v_cmp_lt_f32_e32 vcc_lo, v144, v145
	v_dual_cndmask_b32 v132, v132, v142 :: v_dual_add_nc_u32 v135, 8, v135
	v_cndmask_b32_e32 v133, v133, v143, vcc_lo
	v_cndmask_b32_e64 v134, v134, s0, vcc_lo
	s_add_co_i32 s0, s0, 1
	s_delay_alu instid0(SALU_CYCLE_1)
	s_cmp_lg_u32 s18, s0
	s_cbranch_scc1 .LBB124_1030
.LBB124_1031:
	s_wait_dscnt 0x0
	v_cmp_eq_f32_e32 vcc_lo, 0, v132
	v_cmp_eq_f32_e64 s0, 0, v133
	s_and_b32 s0, vcc_lo, s0
	s_delay_alu instid0(SALU_CYCLE_1) | instskip(NEXT) | instid1(SALU_CYCLE_1)
	s_and_saveexec_b32 s1, s0
	s_xor_b32 s0, exec_lo, s1
; %bb.1032:
	v_cmp_ne_u32_e32 vcc_lo, 0, v138
	v_cndmask_b32_e32 v138, 50, v138, vcc_lo
; %bb.1033:
	s_and_not1_saveexec_b32 s0, s0
	s_cbranch_execz .LBB124_1039
; %bb.1034:
	v_cmp_ngt_f32_e64 s1, |v132|, |v133|
	s_and_saveexec_b32 s12, s1
	s_delay_alu instid0(SALU_CYCLE_1)
	s_xor_b32 s1, exec_lo, s12
	s_cbranch_execz .LBB124_1036
; %bb.1035:
	v_div_scale_f32 v135, null, v133, v133, v132
	v_div_scale_f32 v143, vcc_lo, v132, v133, v132
	s_delay_alu instid0(VALU_DEP_2) | instskip(SKIP_1) | instid1(TRANS32_DEP_1)
	v_rcp_f32_e32 v141, v135
	v_nop
	v_fma_f32 v142, -v135, v141, 1.0
	s_delay_alu instid0(VALU_DEP_1) | instskip(NEXT) | instid1(VALU_DEP_1)
	v_fmac_f32_e32 v141, v142, v141
	v_mul_f32_e32 v142, v143, v141
	s_delay_alu instid0(VALU_DEP_1) | instskip(NEXT) | instid1(VALU_DEP_1)
	v_fma_f32 v144, -v135, v142, v143
	v_fmac_f32_e32 v142, v144, v141
	s_delay_alu instid0(VALU_DEP_1) | instskip(NEXT) | instid1(VALU_DEP_1)
	v_fma_f32 v135, -v135, v142, v143
	v_div_fmas_f32 v135, v135, v141, v142
	s_delay_alu instid0(VALU_DEP_1) | instskip(NEXT) | instid1(VALU_DEP_1)
	v_div_fixup_f32 v135, v135, v133, v132
	v_fmac_f32_e32 v133, v132, v135
	s_delay_alu instid0(VALU_DEP_1) | instskip(SKIP_1) | instid1(VALU_DEP_2)
	v_div_scale_f32 v132, null, v133, v133, 1.0
	v_div_scale_f32 v143, vcc_lo, 1.0, v133, 1.0
	v_rcp_f32_e32 v141, v132
	v_nop
	s_delay_alu instid0(TRANS32_DEP_1) | instskip(NEXT) | instid1(VALU_DEP_1)
	v_fma_f32 v142, -v132, v141, 1.0
	v_fmac_f32_e32 v141, v142, v141
	s_delay_alu instid0(VALU_DEP_1) | instskip(NEXT) | instid1(VALU_DEP_1)
	v_mul_f32_e32 v142, v143, v141
	v_fma_f32 v144, -v132, v142, v143
	s_delay_alu instid0(VALU_DEP_1) | instskip(NEXT) | instid1(VALU_DEP_1)
	v_fmac_f32_e32 v142, v144, v141
	v_fma_f32 v132, -v132, v142, v143
	s_delay_alu instid0(VALU_DEP_1) | instskip(NEXT) | instid1(VALU_DEP_1)
	v_div_fmas_f32 v132, v132, v141, v142
	v_div_fixup_f32 v133, v132, v133, 1.0
	s_delay_alu instid0(VALU_DEP_1)
	v_mul_f32_e32 v132, v135, v133
	v_xor_b32_e32 v133, 0x80000000, v133
.LBB124_1036:
	s_and_not1_saveexec_b32 s1, s1
	s_cbranch_execz .LBB124_1038
; %bb.1037:
	s_delay_alu instid0(VALU_DEP_1) | instskip(SKIP_1) | instid1(VALU_DEP_2)
	v_div_scale_f32 v135, null, v132, v132, v133
	v_div_scale_f32 v143, vcc_lo, v133, v132, v133
	v_rcp_f32_e32 v141, v135
	v_nop
	s_delay_alu instid0(TRANS32_DEP_1) | instskip(NEXT) | instid1(VALU_DEP_1)
	v_fma_f32 v142, -v135, v141, 1.0
	v_fmac_f32_e32 v141, v142, v141
	s_delay_alu instid0(VALU_DEP_1) | instskip(NEXT) | instid1(VALU_DEP_1)
	v_mul_f32_e32 v142, v143, v141
	v_fma_f32 v144, -v135, v142, v143
	s_delay_alu instid0(VALU_DEP_1) | instskip(NEXT) | instid1(VALU_DEP_1)
	v_fmac_f32_e32 v142, v144, v141
	v_fma_f32 v135, -v135, v142, v143
	s_delay_alu instid0(VALU_DEP_1) | instskip(NEXT) | instid1(VALU_DEP_1)
	v_div_fmas_f32 v135, v135, v141, v142
	v_div_fixup_f32 v135, v135, v132, v133
	s_delay_alu instid0(VALU_DEP_1) | instskip(NEXT) | instid1(VALU_DEP_1)
	v_fmac_f32_e32 v132, v133, v135
	v_div_scale_f32 v133, null, v132, v132, 1.0
	s_delay_alu instid0(VALU_DEP_1) | instskip(SKIP_1) | instid1(TRANS32_DEP_1)
	v_rcp_f32_e32 v141, v133
	v_nop
	v_fma_f32 v142, -v133, v141, 1.0
	s_delay_alu instid0(VALU_DEP_1) | instskip(SKIP_1) | instid1(VALU_DEP_1)
	v_fmac_f32_e32 v141, v142, v141
	v_div_scale_f32 v142, vcc_lo, 1.0, v132, 1.0
	v_mul_f32_e32 v143, v142, v141
	s_delay_alu instid0(VALU_DEP_1) | instskip(NEXT) | instid1(VALU_DEP_1)
	v_fma_f32 v144, -v133, v143, v142
	v_fmac_f32_e32 v143, v144, v141
	s_delay_alu instid0(VALU_DEP_1) | instskip(NEXT) | instid1(VALU_DEP_1)
	v_fma_f32 v133, -v133, v143, v142
	v_div_fmas_f32 v133, v133, v141, v143
	s_delay_alu instid0(VALU_DEP_1) | instskip(NEXT) | instid1(VALU_DEP_1)
	v_div_fixup_f32 v132, v133, v132, 1.0
	v_mul_f32_e64 v133, v135, -v132
.LBB124_1038:
	s_or_b32 exec_lo, exec_lo, s1
.LBB124_1039:
	s_delay_alu instid0(SALU_CYCLE_1) | instskip(NEXT) | instid1(SALU_CYCLE_1)
	s_or_b32 exec_lo, exec_lo, s0
	s_mov_b32 s0, exec_lo
	v_cmpx_ne_u32_e64 v140, v134
	s_xor_b32 s0, exec_lo, s0
	s_cbranch_execz .LBB124_1045
; %bb.1040:
	s_mov_b32 s1, exec_lo
	v_cmpx_eq_u32_e32 49, v140
	s_cbranch_execz .LBB124_1044
; %bb.1041:
	v_cmp_ne_u32_e32 vcc_lo, 49, v134
	s_xor_b32 s12, s16, -1
	s_delay_alu instid0(SALU_CYCLE_1) | instskip(NEXT) | instid1(SALU_CYCLE_1)
	s_and_b32 s13, s12, vcc_lo
	s_and_saveexec_b32 s12, s13
	s_cbranch_execz .LBB124_1043
; %bb.1042:
	v_ashrrev_i32_e32 v135, 31, v134
	s_delay_alu instid0(VALU_DEP_1)
	v_lshl_add_u64 v[140:141], v[134:135], 2, v[4:5]
	s_clause 0x1
	global_load_b32 v135, v[140:141], off
	global_load_b32 v139, v[4:5], off offset:196
	s_wait_loadcnt 0x1
	global_store_b32 v[4:5], v135, off offset:196
	s_wait_loadcnt 0x0
	global_store_b32 v[140:141], v139, off
.LBB124_1043:
	s_wait_xcnt 0x0
	s_or_b32 exec_lo, exec_lo, s12
	v_dual_mov_b32 v140, v134 :: v_dual_mov_b32 v139, v134
.LBB124_1044:
	s_or_b32 exec_lo, exec_lo, s1
.LBB124_1045:
	s_and_not1_saveexec_b32 s0, s0
	s_cbranch_execz .LBB124_1047
; %bb.1046:
	v_dual_mov_b32 v134, v16 :: v_dual_mov_b32 v135, v17
	v_dual_mov_b32 v140, v28 :: v_dual_mov_b32 v141, v29
	;; [unrolled: 1-line block ×4, first 2 shown]
	ds_store_2addr_b64 v136, v[134:135], v[140:141] offset0:50 offset1:51
	ds_store_2addr_b64 v136, v[142:143], v[144:145] offset0:52 offset1:53
	v_dual_mov_b32 v134, v10 :: v_dual_mov_b32 v135, v11
	v_dual_mov_b32 v142, v8 :: v_dual_mov_b32 v143, v9
	v_dual_mov_b32 v140, 49 :: v_dual_mov_b32 v144, v34
	v_dual_mov_b32 v145, v35 :: v_dual_mov_b32 v146, v30
	v_dual_mov_b32 v147, v31 :: v_dual_mov_b32 v148, v6
	v_dual_mov_b32 v149, v7 :: v_dual_mov_b32 v150, v26
	v_dual_mov_b32 v151, v27 :: v_dual_mov_b32 v152, v14
	v_dual_mov_b32 v153, v15 :: v_dual_mov_b32 v154, v12
	v_mov_b32_e32 v155, v13
	ds_store_2addr_b64 v136, v[134:135], v[142:143] offset0:54 offset1:55
	ds_store_2addr_b64 v136, v[144:145], v[146:147] offset0:56 offset1:57
	;; [unrolled: 1-line block ×4, first 2 shown]
	ds_store_b64 v136, v[130:131] offset:496
.LBB124_1047:
	s_or_b32 exec_lo, exec_lo, s0
	s_delay_alu instid0(SALU_CYCLE_1)
	s_mov_b32 s0, exec_lo
	s_wait_storecnt_dscnt 0x0
	s_barrier_signal -1
	s_barrier_wait -1
	v_cmpx_lt_i32_e32 49, v140
	s_cbranch_execz .LBB124_1049
; %bb.1048:
	v_pk_mul_f32 v[134:135], v[132:133], v[74:75] op_sel:[1,1] op_sel_hi:[0,1]
	s_delay_alu instid0(VALU_DEP_1)
	v_pk_fma_f32 v[142:143], v[132:133], v[74:75], v[134:135] op_sel_hi:[1,0,1] neg_lo:[0,0,1] neg_hi:[0,0,1]
	v_pk_fma_f32 v[144:145], v[132:133], v[74:75], v[134:135] op_sel_hi:[1,0,1]
	ds_load_2addr_b64 v[132:135], v136 offset0:50 offset1:51
	v_dual_mov_b32 v74, v142 :: v_dual_mov_b32 v75, v145
	s_wait_dscnt 0x0
	v_pk_mul_f32 v[146:147], v[132:133], v[144:145] op_sel:[0,1]
	s_delay_alu instid0(VALU_DEP_1) | instskip(SKIP_1) | instid1(VALU_DEP_1)
	v_pk_fma_f32 v[148:149], v[132:133], v[142:143], v[146:147] op_sel:[0,0,1] op_sel_hi:[1,1,0] neg_lo:[0,0,1] neg_hi:[0,0,1]
	v_pk_fma_f32 v[132:133], v[132:133], v[142:143], v[146:147] op_sel:[0,0,1] op_sel_hi:[1,0,0]
	v_mov_b32_e32 v149, v133
	v_pk_mul_f32 v[132:133], v[134:135], v[144:145] op_sel:[0,1]
	s_delay_alu instid0(VALU_DEP_1) | instskip(SKIP_1) | instid1(VALU_DEP_1)
	v_pk_fma_f32 v[146:147], v[134:135], v[142:143], v[132:133] op_sel:[0,0,1] op_sel_hi:[1,1,0] neg_lo:[0,0,1] neg_hi:[0,0,1]
	v_pk_fma_f32 v[132:133], v[134:135], v[142:143], v[132:133] op_sel:[0,0,1] op_sel_hi:[1,0,0]
	v_mov_b32_e32 v147, v133
	ds_load_2addr_b64 v[132:135], v136 offset0:52 offset1:53
	v_pk_add_f32 v[16:17], v[16:17], v[148:149] neg_lo:[0,1] neg_hi:[0,1]
	v_pk_add_f32 v[28:29], v[28:29], v[146:147] neg_lo:[0,1] neg_hi:[0,1]
	s_wait_dscnt 0x0
	v_pk_mul_f32 v[146:147], v[132:133], v[144:145] op_sel:[0,1]
	s_delay_alu instid0(VALU_DEP_1) | instskip(SKIP_2) | instid1(VALU_DEP_2)
	v_pk_fma_f32 v[148:149], v[132:133], v[142:143], v[146:147] op_sel:[0,0,1] op_sel_hi:[1,1,0] neg_lo:[0,0,1] neg_hi:[0,0,1]
	v_pk_fma_f32 v[132:133], v[132:133], v[142:143], v[146:147] op_sel:[0,0,1] op_sel_hi:[1,0,0]
	v_dual_mul_f32 v146, v135, v145 :: v_dual_mov_b32 v132, v135
	v_dual_mov_b32 v149, v133 :: v_dual_mov_b32 v133, v134
	s_delay_alu instid0(VALU_DEP_2) | instskip(SKIP_1) | instid1(VALU_DEP_3)
	v_pk_fma_f32 v[146:147], v[134:135], v[74:75], v[146:147] op_sel_hi:[1,1,0] neg_lo:[0,0,1] neg_hi:[0,0,1]
	v_mul_f32_e32 v134, v135, v142
	v_pk_add_f32 v[68:69], v[68:69], v[148:149] neg_lo:[0,1] neg_hi:[0,1]
	s_delay_alu instid0(VALU_DEP_2) | instskip(NEXT) | instid1(VALU_DEP_1)
	v_pk_fma_f32 v[132:133], v[132:133], v[74:75], v[134:135] op_sel_hi:[1,1,0]
	v_mov_b32_e32 v147, v133
	ds_load_2addr_b64 v[132:135], v136 offset0:54 offset1:55
	v_pk_add_f32 v[66:67], v[66:67], v[146:147] neg_lo:[0,1] neg_hi:[0,1]
	s_wait_dscnt 0x0
	v_pk_mul_f32 v[146:147], v[132:133], v[144:145] op_sel:[0,1]
	s_delay_alu instid0(VALU_DEP_1) | instskip(SKIP_1) | instid1(VALU_DEP_1)
	v_pk_fma_f32 v[148:149], v[132:133], v[142:143], v[146:147] op_sel:[0,0,1] op_sel_hi:[1,1,0] neg_lo:[0,0,1] neg_hi:[0,0,1]
	v_pk_fma_f32 v[132:133], v[132:133], v[142:143], v[146:147] op_sel:[0,0,1] op_sel_hi:[1,0,0]
	v_mov_b32_e32 v149, v133
	v_pk_mul_f32 v[132:133], v[134:135], v[144:145] op_sel:[0,1]
	s_delay_alu instid0(VALU_DEP_1) | instskip(SKIP_1) | instid1(VALU_DEP_1)
	v_pk_fma_f32 v[146:147], v[134:135], v[142:143], v[132:133] op_sel:[0,0,1] op_sel_hi:[1,1,0] neg_lo:[0,0,1] neg_hi:[0,0,1]
	v_pk_fma_f32 v[132:133], v[134:135], v[142:143], v[132:133] op_sel:[0,0,1] op_sel_hi:[1,0,0]
	v_mov_b32_e32 v147, v133
	ds_load_2addr_b64 v[132:135], v136 offset0:56 offset1:57
	v_pk_add_f32 v[10:11], v[10:11], v[148:149] neg_lo:[0,1] neg_hi:[0,1]
	v_pk_add_f32 v[8:9], v[8:9], v[146:147] neg_lo:[0,1] neg_hi:[0,1]
	s_wait_dscnt 0x0
	v_pk_mul_f32 v[146:147], v[132:133], v[144:145] op_sel:[0,1]
	s_delay_alu instid0(VALU_DEP_1) | instskip(SKIP_1) | instid1(VALU_DEP_1)
	v_pk_fma_f32 v[148:149], v[132:133], v[142:143], v[146:147] op_sel:[0,0,1] op_sel_hi:[1,1,0] neg_lo:[0,0,1] neg_hi:[0,0,1]
	v_pk_fma_f32 v[132:133], v[132:133], v[142:143], v[146:147] op_sel:[0,0,1] op_sel_hi:[1,0,0]
	v_mov_b32_e32 v149, v133
	v_pk_mul_f32 v[132:133], v[134:135], v[144:145] op_sel:[0,1]
	s_delay_alu instid0(VALU_DEP_1) | instskip(SKIP_1) | instid1(VALU_DEP_1)
	v_pk_fma_f32 v[146:147], v[134:135], v[142:143], v[132:133] op_sel:[0,0,1] op_sel_hi:[1,1,0] neg_lo:[0,0,1] neg_hi:[0,0,1]
	v_pk_fma_f32 v[132:133], v[134:135], v[142:143], v[132:133] op_sel:[0,0,1] op_sel_hi:[1,0,0]
	v_mov_b32_e32 v147, v133
	ds_load_2addr_b64 v[132:135], v136 offset0:58 offset1:59
	v_pk_add_f32 v[34:35], v[34:35], v[148:149] neg_lo:[0,1] neg_hi:[0,1]
	v_pk_add_f32 v[30:31], v[30:31], v[146:147] neg_lo:[0,1] neg_hi:[0,1]
	s_wait_dscnt 0x0
	v_dual_mul_f32 v146, v133, v145 :: v_dual_mul_f32 v148, v133, v142
	s_delay_alu instid0(VALU_DEP_1) | instskip(NEXT) | instid1(VALU_DEP_2)
	v_pk_fma_f32 v[146:147], v[132:133], v[74:75], v[146:147] op_sel_hi:[1,1,0] neg_lo:[0,0,1] neg_hi:[0,0,1]
	v_pk_fma_f32 v[132:133], v[132:133], v[74:75], v[148:149] op_sel:[1,0,0] op_sel_hi:[0,1,0]
	s_delay_alu instid0(VALU_DEP_1) | instskip(SKIP_1) | instid1(VALU_DEP_2)
	v_mov_b32_e32 v147, v133
	v_pk_mul_f32 v[132:133], v[134:135], v[144:145] op_sel:[0,1]
	v_pk_add_f32 v[6:7], v[6:7], v[146:147] neg_lo:[0,1] neg_hi:[0,1]
	s_delay_alu instid0(VALU_DEP_2) | instskip(SKIP_1) | instid1(VALU_DEP_1)
	v_pk_fma_f32 v[146:147], v[134:135], v[142:143], v[132:133] op_sel:[0,0,1] op_sel_hi:[1,1,0] neg_lo:[0,0,1] neg_hi:[0,0,1]
	v_pk_fma_f32 v[132:133], v[134:135], v[142:143], v[132:133] op_sel:[0,0,1] op_sel_hi:[1,0,0]
	v_mov_b32_e32 v147, v133
	ds_load_2addr_b64 v[132:135], v136 offset0:60 offset1:61
	v_pk_add_f32 v[26:27], v[26:27], v[146:147] neg_lo:[0,1] neg_hi:[0,1]
	s_wait_dscnt 0x0
	v_pk_mul_f32 v[146:147], v[132:133], v[144:145] op_sel:[0,1]
	s_delay_alu instid0(VALU_DEP_1) | instskip(SKIP_1) | instid1(VALU_DEP_1)
	v_pk_fma_f32 v[148:149], v[132:133], v[142:143], v[146:147] op_sel:[0,0,1] op_sel_hi:[1,1,0] neg_lo:[0,0,1] neg_hi:[0,0,1]
	v_pk_fma_f32 v[132:133], v[132:133], v[142:143], v[146:147] op_sel:[0,0,1] op_sel_hi:[1,0,0]
	v_mov_b32_e32 v149, v133
	v_pk_mul_f32 v[132:133], v[134:135], v[144:145] op_sel:[0,1]
	s_delay_alu instid0(VALU_DEP_2) | instskip(NEXT) | instid1(VALU_DEP_2)
	v_pk_add_f32 v[14:15], v[14:15], v[148:149] neg_lo:[0,1] neg_hi:[0,1]
	v_pk_fma_f32 v[146:147], v[134:135], v[142:143], v[132:133] op_sel:[0,0,1] op_sel_hi:[1,1,0] neg_lo:[0,0,1] neg_hi:[0,0,1]
	v_pk_fma_f32 v[132:133], v[134:135], v[142:143], v[132:133] op_sel:[0,0,1] op_sel_hi:[1,0,0]
	s_delay_alu instid0(VALU_DEP_1) | instskip(SKIP_4) | instid1(VALU_DEP_1)
	v_mov_b32_e32 v147, v133
	ds_load_b64 v[132:133], v136 offset:496
	v_pk_add_f32 v[12:13], v[12:13], v[146:147] neg_lo:[0,1] neg_hi:[0,1]
	s_wait_dscnt 0x0
	v_pk_mul_f32 v[134:135], v[132:133], v[144:145] op_sel:[0,1]
	v_pk_fma_f32 v[144:145], v[132:133], v[142:143], v[134:135] op_sel:[0,0,1] op_sel_hi:[1,1,0] neg_lo:[0,0,1] neg_hi:[0,0,1]
	v_pk_fma_f32 v[132:133], v[132:133], v[142:143], v[134:135] op_sel:[0,0,1] op_sel_hi:[1,0,0]
	s_delay_alu instid0(VALU_DEP_1) | instskip(NEXT) | instid1(VALU_DEP_1)
	v_mov_b32_e32 v145, v133
	v_pk_add_f32 v[130:131], v[130:131], v[144:145] neg_lo:[0,1] neg_hi:[0,1]
.LBB124_1049:
	s_or_b32 exec_lo, exec_lo, s0
	v_lshl_add_u32 v132, v140, 3, v136
	s_barrier_signal -1
	s_barrier_wait -1
	ds_store_b64 v132, v[16:17]
	s_wait_dscnt 0x0
	s_barrier_signal -1
	s_barrier_wait -1
	ds_load_b64 v[132:133], v136 offset:400
	v_mov_b32_e32 v134, 50
	s_cmp_lt_i32 s18, 52
	s_cbranch_scc1 .LBB124_1052
; %bb.1050:
	v_add3_u32 v135, v137, 0, 0x198
	v_mov_b32_e32 v134, 50
	s_mov_b32 s0, 51
.LBB124_1051:                           ; =>This Inner Loop Header: Depth=1
	ds_load_b64 v[142:143], v135
	s_wait_dscnt 0x1
	v_cmp_gt_f32_e32 vcc_lo, 0, v132
	v_cndmask_b32_e64 v144, v132, -v132, vcc_lo
	v_cmp_gt_f32_e32 vcc_lo, 0, v133
	v_cndmask_b32_e64 v146, v133, -v133, vcc_lo
	s_wait_dscnt 0x0
	v_cmp_gt_f32_e32 vcc_lo, 0, v142
	v_cndmask_b32_e64 v145, v142, -v142, vcc_lo
	v_cmp_gt_f32_e32 vcc_lo, 0, v143
	v_cndmask_b32_e64 v147, v143, -v143, vcc_lo
	s_delay_alu instid0(VALU_DEP_1) | instskip(NEXT) | instid1(VALU_DEP_1)
	v_pk_add_f32 v[144:145], v[144:145], v[146:147]
	v_cmp_lt_f32_e32 vcc_lo, v144, v145
	v_dual_cndmask_b32 v132, v132, v142 :: v_dual_add_nc_u32 v135, 8, v135
	v_cndmask_b32_e32 v133, v133, v143, vcc_lo
	v_cndmask_b32_e64 v134, v134, s0, vcc_lo
	s_add_co_i32 s0, s0, 1
	s_delay_alu instid0(SALU_CYCLE_1)
	s_cmp_lg_u32 s18, s0
	s_cbranch_scc1 .LBB124_1051
.LBB124_1052:
	s_wait_dscnt 0x0
	v_cmp_eq_f32_e32 vcc_lo, 0, v132
	v_cmp_eq_f32_e64 s0, 0, v133
	s_and_b32 s0, vcc_lo, s0
	s_delay_alu instid0(SALU_CYCLE_1) | instskip(NEXT) | instid1(SALU_CYCLE_1)
	s_and_saveexec_b32 s1, s0
	s_xor_b32 s0, exec_lo, s1
; %bb.1053:
	v_cmp_ne_u32_e32 vcc_lo, 0, v138
	v_cndmask_b32_e32 v138, 51, v138, vcc_lo
; %bb.1054:
	s_and_not1_saveexec_b32 s0, s0
	s_cbranch_execz .LBB124_1060
; %bb.1055:
	v_cmp_ngt_f32_e64 s1, |v132|, |v133|
	s_and_saveexec_b32 s12, s1
	s_delay_alu instid0(SALU_CYCLE_1)
	s_xor_b32 s1, exec_lo, s12
	s_cbranch_execz .LBB124_1057
; %bb.1056:
	v_div_scale_f32 v135, null, v133, v133, v132
	v_div_scale_f32 v143, vcc_lo, v132, v133, v132
	s_delay_alu instid0(VALU_DEP_2) | instskip(SKIP_1) | instid1(TRANS32_DEP_1)
	v_rcp_f32_e32 v141, v135
	v_nop
	v_fma_f32 v142, -v135, v141, 1.0
	s_delay_alu instid0(VALU_DEP_1) | instskip(NEXT) | instid1(VALU_DEP_1)
	v_fmac_f32_e32 v141, v142, v141
	v_mul_f32_e32 v142, v143, v141
	s_delay_alu instid0(VALU_DEP_1) | instskip(NEXT) | instid1(VALU_DEP_1)
	v_fma_f32 v144, -v135, v142, v143
	v_fmac_f32_e32 v142, v144, v141
	s_delay_alu instid0(VALU_DEP_1) | instskip(NEXT) | instid1(VALU_DEP_1)
	v_fma_f32 v135, -v135, v142, v143
	v_div_fmas_f32 v135, v135, v141, v142
	s_delay_alu instid0(VALU_DEP_1) | instskip(NEXT) | instid1(VALU_DEP_1)
	v_div_fixup_f32 v135, v135, v133, v132
	v_fmac_f32_e32 v133, v132, v135
	s_delay_alu instid0(VALU_DEP_1) | instskip(SKIP_1) | instid1(VALU_DEP_2)
	v_div_scale_f32 v132, null, v133, v133, 1.0
	v_div_scale_f32 v143, vcc_lo, 1.0, v133, 1.0
	v_rcp_f32_e32 v141, v132
	v_nop
	s_delay_alu instid0(TRANS32_DEP_1) | instskip(NEXT) | instid1(VALU_DEP_1)
	v_fma_f32 v142, -v132, v141, 1.0
	v_fmac_f32_e32 v141, v142, v141
	s_delay_alu instid0(VALU_DEP_1) | instskip(NEXT) | instid1(VALU_DEP_1)
	v_mul_f32_e32 v142, v143, v141
	v_fma_f32 v144, -v132, v142, v143
	s_delay_alu instid0(VALU_DEP_1) | instskip(NEXT) | instid1(VALU_DEP_1)
	v_fmac_f32_e32 v142, v144, v141
	v_fma_f32 v132, -v132, v142, v143
	s_delay_alu instid0(VALU_DEP_1) | instskip(NEXT) | instid1(VALU_DEP_1)
	v_div_fmas_f32 v132, v132, v141, v142
	v_div_fixup_f32 v133, v132, v133, 1.0
	s_delay_alu instid0(VALU_DEP_1)
	v_mul_f32_e32 v132, v135, v133
	v_xor_b32_e32 v133, 0x80000000, v133
.LBB124_1057:
	s_and_not1_saveexec_b32 s1, s1
	s_cbranch_execz .LBB124_1059
; %bb.1058:
	s_delay_alu instid0(VALU_DEP_1) | instskip(SKIP_1) | instid1(VALU_DEP_2)
	v_div_scale_f32 v135, null, v132, v132, v133
	v_div_scale_f32 v143, vcc_lo, v133, v132, v133
	v_rcp_f32_e32 v141, v135
	v_nop
	s_delay_alu instid0(TRANS32_DEP_1) | instskip(NEXT) | instid1(VALU_DEP_1)
	v_fma_f32 v142, -v135, v141, 1.0
	v_fmac_f32_e32 v141, v142, v141
	s_delay_alu instid0(VALU_DEP_1) | instskip(NEXT) | instid1(VALU_DEP_1)
	v_mul_f32_e32 v142, v143, v141
	v_fma_f32 v144, -v135, v142, v143
	s_delay_alu instid0(VALU_DEP_1) | instskip(NEXT) | instid1(VALU_DEP_1)
	v_fmac_f32_e32 v142, v144, v141
	v_fma_f32 v135, -v135, v142, v143
	s_delay_alu instid0(VALU_DEP_1) | instskip(NEXT) | instid1(VALU_DEP_1)
	v_div_fmas_f32 v135, v135, v141, v142
	v_div_fixup_f32 v135, v135, v132, v133
	s_delay_alu instid0(VALU_DEP_1) | instskip(NEXT) | instid1(VALU_DEP_1)
	v_fmac_f32_e32 v132, v133, v135
	v_div_scale_f32 v133, null, v132, v132, 1.0
	s_delay_alu instid0(VALU_DEP_1) | instskip(SKIP_1) | instid1(TRANS32_DEP_1)
	v_rcp_f32_e32 v141, v133
	v_nop
	v_fma_f32 v142, -v133, v141, 1.0
	s_delay_alu instid0(VALU_DEP_1) | instskip(SKIP_1) | instid1(VALU_DEP_1)
	v_fmac_f32_e32 v141, v142, v141
	v_div_scale_f32 v142, vcc_lo, 1.0, v132, 1.0
	v_mul_f32_e32 v143, v142, v141
	s_delay_alu instid0(VALU_DEP_1) | instskip(NEXT) | instid1(VALU_DEP_1)
	v_fma_f32 v144, -v133, v143, v142
	v_fmac_f32_e32 v143, v144, v141
	s_delay_alu instid0(VALU_DEP_1) | instskip(NEXT) | instid1(VALU_DEP_1)
	v_fma_f32 v133, -v133, v143, v142
	v_div_fmas_f32 v133, v133, v141, v143
	s_delay_alu instid0(VALU_DEP_1) | instskip(NEXT) | instid1(VALU_DEP_1)
	v_div_fixup_f32 v132, v133, v132, 1.0
	v_mul_f32_e64 v133, v135, -v132
.LBB124_1059:
	s_or_b32 exec_lo, exec_lo, s1
.LBB124_1060:
	s_delay_alu instid0(SALU_CYCLE_1) | instskip(NEXT) | instid1(SALU_CYCLE_1)
	s_or_b32 exec_lo, exec_lo, s0
	s_mov_b32 s0, exec_lo
	v_cmpx_ne_u32_e64 v140, v134
	s_xor_b32 s0, exec_lo, s0
	s_cbranch_execz .LBB124_1066
; %bb.1061:
	s_mov_b32 s1, exec_lo
	v_cmpx_eq_u32_e32 50, v140
	s_cbranch_execz .LBB124_1065
; %bb.1062:
	v_cmp_ne_u32_e32 vcc_lo, 50, v134
	s_xor_b32 s12, s16, -1
	s_delay_alu instid0(SALU_CYCLE_1) | instskip(NEXT) | instid1(SALU_CYCLE_1)
	s_and_b32 s13, s12, vcc_lo
	s_and_saveexec_b32 s12, s13
	s_cbranch_execz .LBB124_1064
; %bb.1063:
	v_ashrrev_i32_e32 v135, 31, v134
	s_delay_alu instid0(VALU_DEP_1)
	v_lshl_add_u64 v[140:141], v[134:135], 2, v[4:5]
	s_clause 0x1
	global_load_b32 v135, v[140:141], off
	global_load_b32 v139, v[4:5], off offset:200
	s_wait_loadcnt 0x1
	global_store_b32 v[4:5], v135, off offset:200
	s_wait_loadcnt 0x0
	global_store_b32 v[140:141], v139, off
.LBB124_1064:
	s_wait_xcnt 0x0
	s_or_b32 exec_lo, exec_lo, s12
	v_dual_mov_b32 v140, v134 :: v_dual_mov_b32 v139, v134
.LBB124_1065:
	s_or_b32 exec_lo, exec_lo, s1
.LBB124_1066:
	s_and_not1_saveexec_b32 s0, s0
	s_cbranch_execz .LBB124_1068
; %bb.1067:
	v_mov_b32_e32 v140, 50
	ds_store_2addr_b64 v136, v[28:29], v[68:69] offset0:51 offset1:52
	ds_store_2addr_b64 v136, v[66:67], v[10:11] offset0:53 offset1:54
	;; [unrolled: 1-line block ×6, first 2 shown]
.LBB124_1068:
	s_or_b32 exec_lo, exec_lo, s0
	s_delay_alu instid0(SALU_CYCLE_1)
	s_mov_b32 s0, exec_lo
	s_wait_storecnt_dscnt 0x0
	s_barrier_signal -1
	s_barrier_wait -1
	v_cmpx_lt_i32_e32 50, v140
	s_cbranch_execz .LBB124_1070
; %bb.1069:
	v_pk_mul_f32 v[134:135], v[132:133], v[16:17] op_sel:[1,1] op_sel_hi:[0,1]
	s_delay_alu instid0(VALU_DEP_1)
	v_pk_fma_f32 v[142:143], v[132:133], v[16:17], v[134:135] op_sel_hi:[1,0,1] neg_lo:[0,0,1] neg_hi:[0,0,1]
	v_pk_fma_f32 v[144:145], v[132:133], v[16:17], v[134:135] op_sel_hi:[1,0,1]
	ds_load_2addr_b64 v[132:135], v136 offset0:51 offset1:52
	v_dual_mov_b32 v16, v142 :: v_dual_mov_b32 v17, v145
	s_wait_dscnt 0x0
	v_pk_mul_f32 v[146:147], v[132:133], v[144:145] op_sel:[0,1]
	s_delay_alu instid0(VALU_DEP_1) | instskip(SKIP_1) | instid1(VALU_DEP_1)
	v_pk_fma_f32 v[148:149], v[132:133], v[142:143], v[146:147] op_sel:[0,0,1] op_sel_hi:[1,1,0] neg_lo:[0,0,1] neg_hi:[0,0,1]
	v_pk_fma_f32 v[132:133], v[132:133], v[142:143], v[146:147] op_sel:[0,0,1] op_sel_hi:[1,0,0]
	v_mov_b32_e32 v149, v133
	v_pk_mul_f32 v[132:133], v[134:135], v[144:145] op_sel:[0,1]
	s_delay_alu instid0(VALU_DEP_1) | instskip(SKIP_1) | instid1(VALU_DEP_1)
	v_pk_fma_f32 v[146:147], v[134:135], v[142:143], v[132:133] op_sel:[0,0,1] op_sel_hi:[1,1,0] neg_lo:[0,0,1] neg_hi:[0,0,1]
	v_pk_fma_f32 v[132:133], v[134:135], v[142:143], v[132:133] op_sel:[0,0,1] op_sel_hi:[1,0,0]
	v_mov_b32_e32 v147, v133
	ds_load_2addr_b64 v[132:135], v136 offset0:53 offset1:54
	v_pk_add_f32 v[28:29], v[28:29], v[148:149] neg_lo:[0,1] neg_hi:[0,1]
	v_pk_add_f32 v[68:69], v[68:69], v[146:147] neg_lo:[0,1] neg_hi:[0,1]
	s_wait_dscnt 0x0
	v_pk_mul_f32 v[146:147], v[132:133], v[144:145] op_sel:[0,1]
	s_delay_alu instid0(VALU_DEP_1) | instskip(SKIP_2) | instid1(VALU_DEP_2)
	v_pk_fma_f32 v[148:149], v[132:133], v[142:143], v[146:147] op_sel:[0,0,1] op_sel_hi:[1,1,0] neg_lo:[0,0,1] neg_hi:[0,0,1]
	v_pk_fma_f32 v[132:133], v[132:133], v[142:143], v[146:147] op_sel:[0,0,1] op_sel_hi:[1,0,0]
	v_dual_mul_f32 v146, v135, v145 :: v_dual_mov_b32 v132, v135
	v_dual_mov_b32 v149, v133 :: v_dual_mov_b32 v133, v134
	s_delay_alu instid0(VALU_DEP_2) | instskip(SKIP_1) | instid1(VALU_DEP_3)
	v_pk_fma_f32 v[146:147], v[134:135], v[16:17], v[146:147] op_sel_hi:[1,1,0] neg_lo:[0,0,1] neg_hi:[0,0,1]
	v_mul_f32_e32 v134, v135, v142
	v_pk_add_f32 v[66:67], v[66:67], v[148:149] neg_lo:[0,1] neg_hi:[0,1]
	s_delay_alu instid0(VALU_DEP_2) | instskip(NEXT) | instid1(VALU_DEP_1)
	v_pk_fma_f32 v[132:133], v[132:133], v[16:17], v[134:135] op_sel_hi:[1,1,0]
	v_mov_b32_e32 v147, v133
	ds_load_2addr_b64 v[132:135], v136 offset0:55 offset1:56
	v_pk_add_f32 v[10:11], v[10:11], v[146:147] neg_lo:[0,1] neg_hi:[0,1]
	s_wait_dscnt 0x0
	v_pk_mul_f32 v[146:147], v[132:133], v[144:145] op_sel:[0,1]
	s_delay_alu instid0(VALU_DEP_1) | instskip(SKIP_1) | instid1(VALU_DEP_1)
	v_pk_fma_f32 v[148:149], v[132:133], v[142:143], v[146:147] op_sel:[0,0,1] op_sel_hi:[1,1,0] neg_lo:[0,0,1] neg_hi:[0,0,1]
	v_pk_fma_f32 v[132:133], v[132:133], v[142:143], v[146:147] op_sel:[0,0,1] op_sel_hi:[1,0,0]
	v_mov_b32_e32 v149, v133
	v_pk_mul_f32 v[132:133], v[134:135], v[144:145] op_sel:[0,1]
	s_delay_alu instid0(VALU_DEP_1) | instskip(SKIP_1) | instid1(VALU_DEP_1)
	v_pk_fma_f32 v[146:147], v[134:135], v[142:143], v[132:133] op_sel:[0,0,1] op_sel_hi:[1,1,0] neg_lo:[0,0,1] neg_hi:[0,0,1]
	v_pk_fma_f32 v[132:133], v[134:135], v[142:143], v[132:133] op_sel:[0,0,1] op_sel_hi:[1,0,0]
	v_mov_b32_e32 v147, v133
	ds_load_2addr_b64 v[132:135], v136 offset0:57 offset1:58
	v_pk_add_f32 v[8:9], v[8:9], v[148:149] neg_lo:[0,1] neg_hi:[0,1]
	v_pk_add_f32 v[34:35], v[34:35], v[146:147] neg_lo:[0,1] neg_hi:[0,1]
	s_wait_dscnt 0x0
	v_pk_mul_f32 v[146:147], v[132:133], v[144:145] op_sel:[0,1]
	s_delay_alu instid0(VALU_DEP_1) | instskip(SKIP_1) | instid1(VALU_DEP_1)
	v_pk_fma_f32 v[148:149], v[132:133], v[142:143], v[146:147] op_sel:[0,0,1] op_sel_hi:[1,1,0] neg_lo:[0,0,1] neg_hi:[0,0,1]
	v_pk_fma_f32 v[132:133], v[132:133], v[142:143], v[146:147] op_sel:[0,0,1] op_sel_hi:[1,0,0]
	v_mov_b32_e32 v149, v133
	v_pk_mul_f32 v[132:133], v[134:135], v[144:145] op_sel:[0,1]
	s_delay_alu instid0(VALU_DEP_1) | instskip(SKIP_1) | instid1(VALU_DEP_1)
	v_pk_fma_f32 v[146:147], v[134:135], v[142:143], v[132:133] op_sel:[0,0,1] op_sel_hi:[1,1,0] neg_lo:[0,0,1] neg_hi:[0,0,1]
	v_pk_fma_f32 v[132:133], v[134:135], v[142:143], v[132:133] op_sel:[0,0,1] op_sel_hi:[1,0,0]
	v_mov_b32_e32 v147, v133
	ds_load_2addr_b64 v[132:135], v136 offset0:59 offset1:60
	v_pk_add_f32 v[30:31], v[30:31], v[148:149] neg_lo:[0,1] neg_hi:[0,1]
	v_pk_add_f32 v[6:7], v[6:7], v[146:147] neg_lo:[0,1] neg_hi:[0,1]
	s_wait_dscnt 0x0
	v_dual_mul_f32 v146, v133, v145 :: v_dual_mul_f32 v148, v133, v142
	s_delay_alu instid0(VALU_DEP_1) | instskip(NEXT) | instid1(VALU_DEP_2)
	v_pk_fma_f32 v[146:147], v[132:133], v[16:17], v[146:147] op_sel_hi:[1,1,0] neg_lo:[0,0,1] neg_hi:[0,0,1]
	v_pk_fma_f32 v[132:133], v[132:133], v[16:17], v[148:149] op_sel:[1,0,0] op_sel_hi:[0,1,0]
	s_delay_alu instid0(VALU_DEP_1) | instskip(SKIP_1) | instid1(VALU_DEP_2)
	v_mov_b32_e32 v147, v133
	v_pk_mul_f32 v[132:133], v[134:135], v[144:145] op_sel:[0,1]
	v_pk_add_f32 v[26:27], v[26:27], v[146:147] neg_lo:[0,1] neg_hi:[0,1]
	s_delay_alu instid0(VALU_DEP_2) | instskip(SKIP_1) | instid1(VALU_DEP_1)
	v_pk_fma_f32 v[146:147], v[134:135], v[142:143], v[132:133] op_sel:[0,0,1] op_sel_hi:[1,1,0] neg_lo:[0,0,1] neg_hi:[0,0,1]
	v_pk_fma_f32 v[132:133], v[134:135], v[142:143], v[132:133] op_sel:[0,0,1] op_sel_hi:[1,0,0]
	v_mov_b32_e32 v147, v133
	ds_load_2addr_b64 v[132:135], v136 offset0:61 offset1:62
	v_pk_add_f32 v[14:15], v[14:15], v[146:147] neg_lo:[0,1] neg_hi:[0,1]
	s_wait_dscnt 0x0
	v_pk_mul_f32 v[146:147], v[132:133], v[144:145] op_sel:[0,1]
	v_mul_f32_e32 v144, v135, v145
	s_delay_alu instid0(VALU_DEP_2) | instskip(SKIP_2) | instid1(VALU_DEP_4)
	v_pk_fma_f32 v[148:149], v[132:133], v[142:143], v[146:147] op_sel:[0,0,1] op_sel_hi:[1,1,0] neg_lo:[0,0,1] neg_hi:[0,0,1]
	v_pk_fma_f32 v[132:133], v[132:133], v[142:143], v[146:147] op_sel:[0,0,1] op_sel_hi:[1,0,0]
	v_mov_b32_e32 v132, v135
	v_pk_fma_f32 v[144:145], v[134:135], v[16:17], v[144:145] op_sel_hi:[1,1,0] neg_lo:[0,0,1] neg_hi:[0,0,1]
	s_delay_alu instid0(VALU_DEP_3) | instskip(SKIP_1) | instid1(VALU_DEP_2)
	v_dual_mov_b32 v149, v133 :: v_dual_mov_b32 v133, v134
	v_mul_f32_e32 v134, v135, v142
	v_pk_add_f32 v[12:13], v[12:13], v[148:149] neg_lo:[0,1] neg_hi:[0,1]
	s_delay_alu instid0(VALU_DEP_2) | instskip(NEXT) | instid1(VALU_DEP_1)
	v_pk_fma_f32 v[132:133], v[132:133], v[16:17], v[134:135] op_sel_hi:[1,1,0]
	v_mov_b32_e32 v145, v133
	s_delay_alu instid0(VALU_DEP_1)
	v_pk_add_f32 v[130:131], v[130:131], v[144:145] neg_lo:[0,1] neg_hi:[0,1]
.LBB124_1070:
	s_or_b32 exec_lo, exec_lo, s0
	v_lshl_add_u32 v132, v140, 3, v136
	s_barrier_signal -1
	s_barrier_wait -1
	ds_store_b64 v132, v[28:29]
	s_wait_dscnt 0x0
	s_barrier_signal -1
	s_barrier_wait -1
	ds_load_b64 v[132:133], v136 offset:408
	v_mov_b32_e32 v134, 51
	s_cmp_lt_i32 s18, 53
	s_cbranch_scc1 .LBB124_1073
; %bb.1071:
	v_add3_u32 v135, v137, 0, 0x1a0
	v_mov_b32_e32 v134, 51
	s_mov_b32 s0, 52
.LBB124_1072:                           ; =>This Inner Loop Header: Depth=1
	ds_load_b64 v[142:143], v135
	s_wait_dscnt 0x1
	v_cmp_gt_f32_e32 vcc_lo, 0, v132
	v_cndmask_b32_e64 v144, v132, -v132, vcc_lo
	v_cmp_gt_f32_e32 vcc_lo, 0, v133
	v_cndmask_b32_e64 v146, v133, -v133, vcc_lo
	s_wait_dscnt 0x0
	v_cmp_gt_f32_e32 vcc_lo, 0, v142
	v_cndmask_b32_e64 v145, v142, -v142, vcc_lo
	v_cmp_gt_f32_e32 vcc_lo, 0, v143
	v_cndmask_b32_e64 v147, v143, -v143, vcc_lo
	s_delay_alu instid0(VALU_DEP_1) | instskip(NEXT) | instid1(VALU_DEP_1)
	v_pk_add_f32 v[144:145], v[144:145], v[146:147]
	v_cmp_lt_f32_e32 vcc_lo, v144, v145
	v_dual_cndmask_b32 v132, v132, v142 :: v_dual_add_nc_u32 v135, 8, v135
	v_cndmask_b32_e32 v133, v133, v143, vcc_lo
	v_cndmask_b32_e64 v134, v134, s0, vcc_lo
	s_add_co_i32 s0, s0, 1
	s_delay_alu instid0(SALU_CYCLE_1)
	s_cmp_lg_u32 s18, s0
	s_cbranch_scc1 .LBB124_1072
.LBB124_1073:
	s_wait_dscnt 0x0
	v_cmp_eq_f32_e32 vcc_lo, 0, v132
	v_cmp_eq_f32_e64 s0, 0, v133
	s_and_b32 s0, vcc_lo, s0
	s_delay_alu instid0(SALU_CYCLE_1) | instskip(NEXT) | instid1(SALU_CYCLE_1)
	s_and_saveexec_b32 s1, s0
	s_xor_b32 s0, exec_lo, s1
; %bb.1074:
	v_cmp_ne_u32_e32 vcc_lo, 0, v138
	v_cndmask_b32_e32 v138, 52, v138, vcc_lo
; %bb.1075:
	s_and_not1_saveexec_b32 s0, s0
	s_cbranch_execz .LBB124_1081
; %bb.1076:
	v_cmp_ngt_f32_e64 s1, |v132|, |v133|
	s_and_saveexec_b32 s12, s1
	s_delay_alu instid0(SALU_CYCLE_1)
	s_xor_b32 s1, exec_lo, s12
	s_cbranch_execz .LBB124_1078
; %bb.1077:
	v_div_scale_f32 v135, null, v133, v133, v132
	v_div_scale_f32 v143, vcc_lo, v132, v133, v132
	s_delay_alu instid0(VALU_DEP_2) | instskip(SKIP_1) | instid1(TRANS32_DEP_1)
	v_rcp_f32_e32 v141, v135
	v_nop
	v_fma_f32 v142, -v135, v141, 1.0
	s_delay_alu instid0(VALU_DEP_1) | instskip(NEXT) | instid1(VALU_DEP_1)
	v_fmac_f32_e32 v141, v142, v141
	v_mul_f32_e32 v142, v143, v141
	s_delay_alu instid0(VALU_DEP_1) | instskip(NEXT) | instid1(VALU_DEP_1)
	v_fma_f32 v144, -v135, v142, v143
	v_fmac_f32_e32 v142, v144, v141
	s_delay_alu instid0(VALU_DEP_1) | instskip(NEXT) | instid1(VALU_DEP_1)
	v_fma_f32 v135, -v135, v142, v143
	v_div_fmas_f32 v135, v135, v141, v142
	s_delay_alu instid0(VALU_DEP_1) | instskip(NEXT) | instid1(VALU_DEP_1)
	v_div_fixup_f32 v135, v135, v133, v132
	v_fmac_f32_e32 v133, v132, v135
	s_delay_alu instid0(VALU_DEP_1) | instskip(SKIP_1) | instid1(VALU_DEP_2)
	v_div_scale_f32 v132, null, v133, v133, 1.0
	v_div_scale_f32 v143, vcc_lo, 1.0, v133, 1.0
	v_rcp_f32_e32 v141, v132
	v_nop
	s_delay_alu instid0(TRANS32_DEP_1) | instskip(NEXT) | instid1(VALU_DEP_1)
	v_fma_f32 v142, -v132, v141, 1.0
	v_fmac_f32_e32 v141, v142, v141
	s_delay_alu instid0(VALU_DEP_1) | instskip(NEXT) | instid1(VALU_DEP_1)
	v_mul_f32_e32 v142, v143, v141
	v_fma_f32 v144, -v132, v142, v143
	s_delay_alu instid0(VALU_DEP_1) | instskip(NEXT) | instid1(VALU_DEP_1)
	v_fmac_f32_e32 v142, v144, v141
	v_fma_f32 v132, -v132, v142, v143
	s_delay_alu instid0(VALU_DEP_1) | instskip(NEXT) | instid1(VALU_DEP_1)
	v_div_fmas_f32 v132, v132, v141, v142
	v_div_fixup_f32 v133, v132, v133, 1.0
	s_delay_alu instid0(VALU_DEP_1)
	v_mul_f32_e32 v132, v135, v133
	v_xor_b32_e32 v133, 0x80000000, v133
.LBB124_1078:
	s_and_not1_saveexec_b32 s1, s1
	s_cbranch_execz .LBB124_1080
; %bb.1079:
	s_delay_alu instid0(VALU_DEP_1) | instskip(SKIP_1) | instid1(VALU_DEP_2)
	v_div_scale_f32 v135, null, v132, v132, v133
	v_div_scale_f32 v143, vcc_lo, v133, v132, v133
	v_rcp_f32_e32 v141, v135
	v_nop
	s_delay_alu instid0(TRANS32_DEP_1) | instskip(NEXT) | instid1(VALU_DEP_1)
	v_fma_f32 v142, -v135, v141, 1.0
	v_fmac_f32_e32 v141, v142, v141
	s_delay_alu instid0(VALU_DEP_1) | instskip(NEXT) | instid1(VALU_DEP_1)
	v_mul_f32_e32 v142, v143, v141
	v_fma_f32 v144, -v135, v142, v143
	s_delay_alu instid0(VALU_DEP_1) | instskip(NEXT) | instid1(VALU_DEP_1)
	v_fmac_f32_e32 v142, v144, v141
	v_fma_f32 v135, -v135, v142, v143
	s_delay_alu instid0(VALU_DEP_1) | instskip(NEXT) | instid1(VALU_DEP_1)
	v_div_fmas_f32 v135, v135, v141, v142
	v_div_fixup_f32 v135, v135, v132, v133
	s_delay_alu instid0(VALU_DEP_1) | instskip(NEXT) | instid1(VALU_DEP_1)
	v_fmac_f32_e32 v132, v133, v135
	v_div_scale_f32 v133, null, v132, v132, 1.0
	s_delay_alu instid0(VALU_DEP_1) | instskip(SKIP_1) | instid1(TRANS32_DEP_1)
	v_rcp_f32_e32 v141, v133
	v_nop
	v_fma_f32 v142, -v133, v141, 1.0
	s_delay_alu instid0(VALU_DEP_1) | instskip(SKIP_1) | instid1(VALU_DEP_1)
	v_fmac_f32_e32 v141, v142, v141
	v_div_scale_f32 v142, vcc_lo, 1.0, v132, 1.0
	v_mul_f32_e32 v143, v142, v141
	s_delay_alu instid0(VALU_DEP_1) | instskip(NEXT) | instid1(VALU_DEP_1)
	v_fma_f32 v144, -v133, v143, v142
	v_fmac_f32_e32 v143, v144, v141
	s_delay_alu instid0(VALU_DEP_1) | instskip(NEXT) | instid1(VALU_DEP_1)
	v_fma_f32 v133, -v133, v143, v142
	v_div_fmas_f32 v133, v133, v141, v143
	s_delay_alu instid0(VALU_DEP_1) | instskip(NEXT) | instid1(VALU_DEP_1)
	v_div_fixup_f32 v132, v133, v132, 1.0
	v_mul_f32_e64 v133, v135, -v132
.LBB124_1080:
	s_or_b32 exec_lo, exec_lo, s1
.LBB124_1081:
	s_delay_alu instid0(SALU_CYCLE_1) | instskip(NEXT) | instid1(SALU_CYCLE_1)
	s_or_b32 exec_lo, exec_lo, s0
	s_mov_b32 s0, exec_lo
	v_cmpx_ne_u32_e64 v140, v134
	s_xor_b32 s0, exec_lo, s0
	s_cbranch_execz .LBB124_1087
; %bb.1082:
	s_mov_b32 s1, exec_lo
	v_cmpx_eq_u32_e32 51, v140
	s_cbranch_execz .LBB124_1086
; %bb.1083:
	v_cmp_ne_u32_e32 vcc_lo, 51, v134
	s_xor_b32 s12, s16, -1
	s_delay_alu instid0(SALU_CYCLE_1) | instskip(NEXT) | instid1(SALU_CYCLE_1)
	s_and_b32 s13, s12, vcc_lo
	s_and_saveexec_b32 s12, s13
	s_cbranch_execz .LBB124_1085
; %bb.1084:
	v_ashrrev_i32_e32 v135, 31, v134
	s_delay_alu instid0(VALU_DEP_1)
	v_lshl_add_u64 v[140:141], v[134:135], 2, v[4:5]
	s_clause 0x1
	global_load_b32 v135, v[140:141], off
	global_load_b32 v139, v[4:5], off offset:204
	s_wait_loadcnt 0x1
	global_store_b32 v[4:5], v135, off offset:204
	s_wait_loadcnt 0x0
	global_store_b32 v[140:141], v139, off
.LBB124_1085:
	s_wait_xcnt 0x0
	s_or_b32 exec_lo, exec_lo, s12
	v_dual_mov_b32 v140, v134 :: v_dual_mov_b32 v139, v134
.LBB124_1086:
	s_or_b32 exec_lo, exec_lo, s1
.LBB124_1087:
	s_and_not1_saveexec_b32 s0, s0
	s_cbranch_execz .LBB124_1089
; %bb.1088:
	v_dual_mov_b32 v134, v68 :: v_dual_mov_b32 v135, v69
	v_dual_mov_b32 v140, v66 :: v_dual_mov_b32 v141, v67
	;; [unrolled: 1-line block ×6, first 2 shown]
	ds_store_2addr_b64 v136, v[134:135], v[140:141] offset0:52 offset1:53
	ds_store_2addr_b64 v136, v[142:143], v[144:145] offset0:54 offset1:55
	v_dual_mov_b32 v140, 51 :: v_dual_mov_b32 v150, v6
	v_dual_mov_b32 v151, v7 :: v_dual_mov_b32 v152, v26
	;; [unrolled: 1-line block ×4, first 2 shown]
	v_mov_b32_e32 v157, v13
	ds_store_2addr_b64 v136, v[146:147], v[148:149] offset0:56 offset1:57
	ds_store_2addr_b64 v136, v[150:151], v[152:153] offset0:58 offset1:59
	;; [unrolled: 1-line block ×3, first 2 shown]
	ds_store_b64 v136, v[130:131] offset:496
.LBB124_1089:
	s_or_b32 exec_lo, exec_lo, s0
	s_delay_alu instid0(SALU_CYCLE_1)
	s_mov_b32 s0, exec_lo
	s_wait_storecnt_dscnt 0x0
	s_barrier_signal -1
	s_barrier_wait -1
	v_cmpx_lt_i32_e32 51, v140
	s_cbranch_execz .LBB124_1091
; %bb.1090:
	v_pk_mul_f32 v[134:135], v[132:133], v[28:29] op_sel:[1,1] op_sel_hi:[0,1]
	s_delay_alu instid0(VALU_DEP_1)
	v_pk_fma_f32 v[142:143], v[132:133], v[28:29], v[134:135] op_sel_hi:[1,0,1] neg_lo:[0,0,1] neg_hi:[0,0,1]
	v_pk_fma_f32 v[144:145], v[132:133], v[28:29], v[134:135] op_sel_hi:[1,0,1]
	ds_load_2addr_b64 v[132:135], v136 offset0:52 offset1:53
	v_dual_mov_b32 v28, v142 :: v_dual_mov_b32 v29, v145
	s_wait_dscnt 0x0
	v_pk_mul_f32 v[146:147], v[132:133], v[144:145] op_sel:[0,1]
	s_delay_alu instid0(VALU_DEP_1) | instskip(SKIP_1) | instid1(VALU_DEP_1)
	v_pk_fma_f32 v[148:149], v[132:133], v[142:143], v[146:147] op_sel:[0,0,1] op_sel_hi:[1,1,0] neg_lo:[0,0,1] neg_hi:[0,0,1]
	v_pk_fma_f32 v[132:133], v[132:133], v[142:143], v[146:147] op_sel:[0,0,1] op_sel_hi:[1,0,0]
	v_mov_b32_e32 v149, v133
	v_pk_mul_f32 v[132:133], v[134:135], v[144:145] op_sel:[0,1]
	s_delay_alu instid0(VALU_DEP_1) | instskip(SKIP_1) | instid1(VALU_DEP_1)
	v_pk_fma_f32 v[146:147], v[134:135], v[142:143], v[132:133] op_sel:[0,0,1] op_sel_hi:[1,1,0] neg_lo:[0,0,1] neg_hi:[0,0,1]
	v_pk_fma_f32 v[132:133], v[134:135], v[142:143], v[132:133] op_sel:[0,0,1] op_sel_hi:[1,0,0]
	v_mov_b32_e32 v147, v133
	ds_load_2addr_b64 v[132:135], v136 offset0:54 offset1:55
	v_pk_add_f32 v[68:69], v[68:69], v[148:149] neg_lo:[0,1] neg_hi:[0,1]
	v_pk_add_f32 v[66:67], v[66:67], v[146:147] neg_lo:[0,1] neg_hi:[0,1]
	s_wait_dscnt 0x0
	v_pk_mul_f32 v[146:147], v[132:133], v[144:145] op_sel:[0,1]
	s_delay_alu instid0(VALU_DEP_1) | instskip(SKIP_2) | instid1(VALU_DEP_2)
	v_pk_fma_f32 v[148:149], v[132:133], v[142:143], v[146:147] op_sel:[0,0,1] op_sel_hi:[1,1,0] neg_lo:[0,0,1] neg_hi:[0,0,1]
	v_pk_fma_f32 v[132:133], v[132:133], v[142:143], v[146:147] op_sel:[0,0,1] op_sel_hi:[1,0,0]
	v_dual_mul_f32 v146, v135, v145 :: v_dual_mov_b32 v132, v135
	v_dual_mov_b32 v149, v133 :: v_dual_mov_b32 v133, v134
	s_delay_alu instid0(VALU_DEP_2) | instskip(SKIP_1) | instid1(VALU_DEP_3)
	v_pk_fma_f32 v[146:147], v[134:135], v[28:29], v[146:147] op_sel_hi:[1,1,0] neg_lo:[0,0,1] neg_hi:[0,0,1]
	v_mul_f32_e32 v134, v135, v142
	v_pk_add_f32 v[10:11], v[10:11], v[148:149] neg_lo:[0,1] neg_hi:[0,1]
	s_delay_alu instid0(VALU_DEP_2) | instskip(NEXT) | instid1(VALU_DEP_1)
	v_pk_fma_f32 v[132:133], v[132:133], v[28:29], v[134:135] op_sel_hi:[1,1,0]
	v_mov_b32_e32 v147, v133
	ds_load_2addr_b64 v[132:135], v136 offset0:56 offset1:57
	v_pk_add_f32 v[8:9], v[8:9], v[146:147] neg_lo:[0,1] neg_hi:[0,1]
	s_wait_dscnt 0x0
	v_pk_mul_f32 v[146:147], v[132:133], v[144:145] op_sel:[0,1]
	s_delay_alu instid0(VALU_DEP_1) | instskip(SKIP_1) | instid1(VALU_DEP_1)
	v_pk_fma_f32 v[148:149], v[132:133], v[142:143], v[146:147] op_sel:[0,0,1] op_sel_hi:[1,1,0] neg_lo:[0,0,1] neg_hi:[0,0,1]
	v_pk_fma_f32 v[132:133], v[132:133], v[142:143], v[146:147] op_sel:[0,0,1] op_sel_hi:[1,0,0]
	v_mov_b32_e32 v149, v133
	v_pk_mul_f32 v[132:133], v[134:135], v[144:145] op_sel:[0,1]
	s_delay_alu instid0(VALU_DEP_1) | instskip(SKIP_1) | instid1(VALU_DEP_1)
	v_pk_fma_f32 v[146:147], v[134:135], v[142:143], v[132:133] op_sel:[0,0,1] op_sel_hi:[1,1,0] neg_lo:[0,0,1] neg_hi:[0,0,1]
	v_pk_fma_f32 v[132:133], v[134:135], v[142:143], v[132:133] op_sel:[0,0,1] op_sel_hi:[1,0,0]
	v_mov_b32_e32 v147, v133
	ds_load_2addr_b64 v[132:135], v136 offset0:58 offset1:59
	v_pk_add_f32 v[34:35], v[34:35], v[148:149] neg_lo:[0,1] neg_hi:[0,1]
	v_pk_add_f32 v[30:31], v[30:31], v[146:147] neg_lo:[0,1] neg_hi:[0,1]
	s_wait_dscnt 0x0
	v_pk_mul_f32 v[146:147], v[132:133], v[144:145] op_sel:[0,1]
	s_delay_alu instid0(VALU_DEP_1) | instskip(SKIP_1) | instid1(VALU_DEP_1)
	v_pk_fma_f32 v[148:149], v[132:133], v[142:143], v[146:147] op_sel:[0,0,1] op_sel_hi:[1,1,0] neg_lo:[0,0,1] neg_hi:[0,0,1]
	v_pk_fma_f32 v[132:133], v[132:133], v[142:143], v[146:147] op_sel:[0,0,1] op_sel_hi:[1,0,0]
	v_mov_b32_e32 v149, v133
	v_pk_mul_f32 v[132:133], v[134:135], v[144:145] op_sel:[0,1]
	s_delay_alu instid0(VALU_DEP_1) | instskip(SKIP_1) | instid1(VALU_DEP_1)
	v_pk_fma_f32 v[146:147], v[134:135], v[142:143], v[132:133] op_sel:[0,0,1] op_sel_hi:[1,1,0] neg_lo:[0,0,1] neg_hi:[0,0,1]
	v_pk_fma_f32 v[132:133], v[134:135], v[142:143], v[132:133] op_sel:[0,0,1] op_sel_hi:[1,0,0]
	v_mov_b32_e32 v147, v133
	ds_load_2addr_b64 v[132:135], v136 offset0:60 offset1:61
	v_pk_add_f32 v[6:7], v[6:7], v[148:149] neg_lo:[0,1] neg_hi:[0,1]
	v_pk_add_f32 v[26:27], v[26:27], v[146:147] neg_lo:[0,1] neg_hi:[0,1]
	s_wait_dscnt 0x0
	v_dual_mul_f32 v146, v133, v145 :: v_dual_mul_f32 v148, v133, v142
	s_delay_alu instid0(VALU_DEP_1) | instskip(NEXT) | instid1(VALU_DEP_2)
	v_pk_fma_f32 v[146:147], v[132:133], v[28:29], v[146:147] op_sel_hi:[1,1,0] neg_lo:[0,0,1] neg_hi:[0,0,1]
	v_pk_fma_f32 v[132:133], v[132:133], v[28:29], v[148:149] op_sel:[1,0,0] op_sel_hi:[0,1,0]
	s_delay_alu instid0(VALU_DEP_1) | instskip(SKIP_1) | instid1(VALU_DEP_2)
	v_mov_b32_e32 v147, v133
	v_pk_mul_f32 v[132:133], v[134:135], v[144:145] op_sel:[0,1]
	v_pk_add_f32 v[14:15], v[14:15], v[146:147] neg_lo:[0,1] neg_hi:[0,1]
	s_delay_alu instid0(VALU_DEP_2) | instskip(SKIP_1) | instid1(VALU_DEP_1)
	v_pk_fma_f32 v[146:147], v[134:135], v[142:143], v[132:133] op_sel:[0,0,1] op_sel_hi:[1,1,0] neg_lo:[0,0,1] neg_hi:[0,0,1]
	v_pk_fma_f32 v[132:133], v[134:135], v[142:143], v[132:133] op_sel:[0,0,1] op_sel_hi:[1,0,0]
	v_mov_b32_e32 v147, v133
	ds_load_b64 v[132:133], v136 offset:496
	v_pk_add_f32 v[12:13], v[12:13], v[146:147] neg_lo:[0,1] neg_hi:[0,1]
	s_wait_dscnt 0x0
	v_pk_mul_f32 v[134:135], v[132:133], v[144:145] op_sel:[0,1]
	s_delay_alu instid0(VALU_DEP_1) | instskip(SKIP_1) | instid1(VALU_DEP_1)
	v_pk_fma_f32 v[144:145], v[132:133], v[142:143], v[134:135] op_sel:[0,0,1] op_sel_hi:[1,1,0] neg_lo:[0,0,1] neg_hi:[0,0,1]
	v_pk_fma_f32 v[132:133], v[132:133], v[142:143], v[134:135] op_sel:[0,0,1] op_sel_hi:[1,0,0]
	v_mov_b32_e32 v145, v133
	s_delay_alu instid0(VALU_DEP_1)
	v_pk_add_f32 v[130:131], v[130:131], v[144:145] neg_lo:[0,1] neg_hi:[0,1]
.LBB124_1091:
	s_or_b32 exec_lo, exec_lo, s0
	v_lshl_add_u32 v132, v140, 3, v136
	s_barrier_signal -1
	s_barrier_wait -1
	ds_store_b64 v132, v[68:69]
	s_wait_dscnt 0x0
	s_barrier_signal -1
	s_barrier_wait -1
	ds_load_b64 v[132:133], v136 offset:416
	v_mov_b32_e32 v134, 52
	s_cmp_lt_i32 s18, 54
	s_cbranch_scc1 .LBB124_1094
; %bb.1092:
	v_add3_u32 v135, v137, 0, 0x1a8
	v_mov_b32_e32 v134, 52
	s_mov_b32 s0, 53
.LBB124_1093:                           ; =>This Inner Loop Header: Depth=1
	ds_load_b64 v[142:143], v135
	s_wait_dscnt 0x1
	v_cmp_gt_f32_e32 vcc_lo, 0, v132
	v_cndmask_b32_e64 v144, v132, -v132, vcc_lo
	v_cmp_gt_f32_e32 vcc_lo, 0, v133
	v_cndmask_b32_e64 v146, v133, -v133, vcc_lo
	s_wait_dscnt 0x0
	v_cmp_gt_f32_e32 vcc_lo, 0, v142
	v_cndmask_b32_e64 v145, v142, -v142, vcc_lo
	v_cmp_gt_f32_e32 vcc_lo, 0, v143
	v_cndmask_b32_e64 v147, v143, -v143, vcc_lo
	s_delay_alu instid0(VALU_DEP_1) | instskip(NEXT) | instid1(VALU_DEP_1)
	v_pk_add_f32 v[144:145], v[144:145], v[146:147]
	v_cmp_lt_f32_e32 vcc_lo, v144, v145
	v_dual_cndmask_b32 v132, v132, v142 :: v_dual_add_nc_u32 v135, 8, v135
	v_cndmask_b32_e32 v133, v133, v143, vcc_lo
	v_cndmask_b32_e64 v134, v134, s0, vcc_lo
	s_add_co_i32 s0, s0, 1
	s_delay_alu instid0(SALU_CYCLE_1)
	s_cmp_lg_u32 s18, s0
	s_cbranch_scc1 .LBB124_1093
.LBB124_1094:
	s_wait_dscnt 0x0
	v_cmp_eq_f32_e32 vcc_lo, 0, v132
	v_cmp_eq_f32_e64 s0, 0, v133
	s_and_b32 s0, vcc_lo, s0
	s_delay_alu instid0(SALU_CYCLE_1) | instskip(NEXT) | instid1(SALU_CYCLE_1)
	s_and_saveexec_b32 s1, s0
	s_xor_b32 s0, exec_lo, s1
; %bb.1095:
	v_cmp_ne_u32_e32 vcc_lo, 0, v138
	v_cndmask_b32_e32 v138, 53, v138, vcc_lo
; %bb.1096:
	s_and_not1_saveexec_b32 s0, s0
	s_cbranch_execz .LBB124_1102
; %bb.1097:
	v_cmp_ngt_f32_e64 s1, |v132|, |v133|
	s_and_saveexec_b32 s12, s1
	s_delay_alu instid0(SALU_CYCLE_1)
	s_xor_b32 s1, exec_lo, s12
	s_cbranch_execz .LBB124_1099
; %bb.1098:
	v_div_scale_f32 v135, null, v133, v133, v132
	v_div_scale_f32 v143, vcc_lo, v132, v133, v132
	s_delay_alu instid0(VALU_DEP_2) | instskip(SKIP_1) | instid1(TRANS32_DEP_1)
	v_rcp_f32_e32 v141, v135
	v_nop
	v_fma_f32 v142, -v135, v141, 1.0
	s_delay_alu instid0(VALU_DEP_1) | instskip(NEXT) | instid1(VALU_DEP_1)
	v_fmac_f32_e32 v141, v142, v141
	v_mul_f32_e32 v142, v143, v141
	s_delay_alu instid0(VALU_DEP_1) | instskip(NEXT) | instid1(VALU_DEP_1)
	v_fma_f32 v144, -v135, v142, v143
	v_fmac_f32_e32 v142, v144, v141
	s_delay_alu instid0(VALU_DEP_1) | instskip(NEXT) | instid1(VALU_DEP_1)
	v_fma_f32 v135, -v135, v142, v143
	v_div_fmas_f32 v135, v135, v141, v142
	s_delay_alu instid0(VALU_DEP_1) | instskip(NEXT) | instid1(VALU_DEP_1)
	v_div_fixup_f32 v135, v135, v133, v132
	v_fmac_f32_e32 v133, v132, v135
	s_delay_alu instid0(VALU_DEP_1) | instskip(SKIP_1) | instid1(VALU_DEP_2)
	v_div_scale_f32 v132, null, v133, v133, 1.0
	v_div_scale_f32 v143, vcc_lo, 1.0, v133, 1.0
	v_rcp_f32_e32 v141, v132
	v_nop
	s_delay_alu instid0(TRANS32_DEP_1) | instskip(NEXT) | instid1(VALU_DEP_1)
	v_fma_f32 v142, -v132, v141, 1.0
	v_fmac_f32_e32 v141, v142, v141
	s_delay_alu instid0(VALU_DEP_1) | instskip(NEXT) | instid1(VALU_DEP_1)
	v_mul_f32_e32 v142, v143, v141
	v_fma_f32 v144, -v132, v142, v143
	s_delay_alu instid0(VALU_DEP_1) | instskip(NEXT) | instid1(VALU_DEP_1)
	v_fmac_f32_e32 v142, v144, v141
	v_fma_f32 v132, -v132, v142, v143
	s_delay_alu instid0(VALU_DEP_1) | instskip(NEXT) | instid1(VALU_DEP_1)
	v_div_fmas_f32 v132, v132, v141, v142
	v_div_fixup_f32 v133, v132, v133, 1.0
	s_delay_alu instid0(VALU_DEP_1)
	v_mul_f32_e32 v132, v135, v133
	v_xor_b32_e32 v133, 0x80000000, v133
.LBB124_1099:
	s_and_not1_saveexec_b32 s1, s1
	s_cbranch_execz .LBB124_1101
; %bb.1100:
	s_delay_alu instid0(VALU_DEP_1) | instskip(SKIP_1) | instid1(VALU_DEP_2)
	v_div_scale_f32 v135, null, v132, v132, v133
	v_div_scale_f32 v143, vcc_lo, v133, v132, v133
	v_rcp_f32_e32 v141, v135
	v_nop
	s_delay_alu instid0(TRANS32_DEP_1) | instskip(NEXT) | instid1(VALU_DEP_1)
	v_fma_f32 v142, -v135, v141, 1.0
	v_fmac_f32_e32 v141, v142, v141
	s_delay_alu instid0(VALU_DEP_1) | instskip(NEXT) | instid1(VALU_DEP_1)
	v_mul_f32_e32 v142, v143, v141
	v_fma_f32 v144, -v135, v142, v143
	s_delay_alu instid0(VALU_DEP_1) | instskip(NEXT) | instid1(VALU_DEP_1)
	v_fmac_f32_e32 v142, v144, v141
	v_fma_f32 v135, -v135, v142, v143
	s_delay_alu instid0(VALU_DEP_1) | instskip(NEXT) | instid1(VALU_DEP_1)
	v_div_fmas_f32 v135, v135, v141, v142
	v_div_fixup_f32 v135, v135, v132, v133
	s_delay_alu instid0(VALU_DEP_1) | instskip(NEXT) | instid1(VALU_DEP_1)
	v_fmac_f32_e32 v132, v133, v135
	v_div_scale_f32 v133, null, v132, v132, 1.0
	s_delay_alu instid0(VALU_DEP_1) | instskip(SKIP_1) | instid1(TRANS32_DEP_1)
	v_rcp_f32_e32 v141, v133
	v_nop
	v_fma_f32 v142, -v133, v141, 1.0
	s_delay_alu instid0(VALU_DEP_1) | instskip(SKIP_1) | instid1(VALU_DEP_1)
	v_fmac_f32_e32 v141, v142, v141
	v_div_scale_f32 v142, vcc_lo, 1.0, v132, 1.0
	v_mul_f32_e32 v143, v142, v141
	s_delay_alu instid0(VALU_DEP_1) | instskip(NEXT) | instid1(VALU_DEP_1)
	v_fma_f32 v144, -v133, v143, v142
	v_fmac_f32_e32 v143, v144, v141
	s_delay_alu instid0(VALU_DEP_1) | instskip(NEXT) | instid1(VALU_DEP_1)
	v_fma_f32 v133, -v133, v143, v142
	v_div_fmas_f32 v133, v133, v141, v143
	s_delay_alu instid0(VALU_DEP_1) | instskip(NEXT) | instid1(VALU_DEP_1)
	v_div_fixup_f32 v132, v133, v132, 1.0
	v_mul_f32_e64 v133, v135, -v132
.LBB124_1101:
	s_or_b32 exec_lo, exec_lo, s1
.LBB124_1102:
	s_delay_alu instid0(SALU_CYCLE_1) | instskip(NEXT) | instid1(SALU_CYCLE_1)
	s_or_b32 exec_lo, exec_lo, s0
	s_mov_b32 s0, exec_lo
	v_cmpx_ne_u32_e64 v140, v134
	s_xor_b32 s0, exec_lo, s0
	s_cbranch_execz .LBB124_1108
; %bb.1103:
	s_mov_b32 s1, exec_lo
	v_cmpx_eq_u32_e32 52, v140
	s_cbranch_execz .LBB124_1107
; %bb.1104:
	v_cmp_ne_u32_e32 vcc_lo, 52, v134
	s_xor_b32 s12, s16, -1
	s_delay_alu instid0(SALU_CYCLE_1) | instskip(NEXT) | instid1(SALU_CYCLE_1)
	s_and_b32 s13, s12, vcc_lo
	s_and_saveexec_b32 s12, s13
	s_cbranch_execz .LBB124_1106
; %bb.1105:
	v_ashrrev_i32_e32 v135, 31, v134
	s_delay_alu instid0(VALU_DEP_1)
	v_lshl_add_u64 v[140:141], v[134:135], 2, v[4:5]
	s_clause 0x1
	global_load_b32 v135, v[140:141], off
	global_load_b32 v139, v[4:5], off offset:208
	s_wait_loadcnt 0x1
	global_store_b32 v[4:5], v135, off offset:208
	s_wait_loadcnt 0x0
	global_store_b32 v[140:141], v139, off
.LBB124_1106:
	s_wait_xcnt 0x0
	s_or_b32 exec_lo, exec_lo, s12
	v_dual_mov_b32 v140, v134 :: v_dual_mov_b32 v139, v134
.LBB124_1107:
	s_or_b32 exec_lo, exec_lo, s1
.LBB124_1108:
	s_and_not1_saveexec_b32 s0, s0
	s_cbranch_execz .LBB124_1110
; %bb.1109:
	v_mov_b32_e32 v140, 52
	ds_store_2addr_b64 v136, v[66:67], v[10:11] offset0:53 offset1:54
	ds_store_2addr_b64 v136, v[8:9], v[34:35] offset0:55 offset1:56
	;; [unrolled: 1-line block ×5, first 2 shown]
.LBB124_1110:
	s_or_b32 exec_lo, exec_lo, s0
	s_delay_alu instid0(SALU_CYCLE_1)
	s_mov_b32 s0, exec_lo
	s_wait_storecnt_dscnt 0x0
	s_barrier_signal -1
	s_barrier_wait -1
	v_cmpx_lt_i32_e32 52, v140
	s_cbranch_execz .LBB124_1112
; %bb.1111:
	v_pk_mul_f32 v[134:135], v[132:133], v[68:69] op_sel:[1,1] op_sel_hi:[0,1]
	s_delay_alu instid0(VALU_DEP_1)
	v_pk_fma_f32 v[142:143], v[132:133], v[68:69], v[134:135] op_sel_hi:[1,0,1] neg_lo:[0,0,1] neg_hi:[0,0,1]
	v_pk_fma_f32 v[144:145], v[132:133], v[68:69], v[134:135] op_sel_hi:[1,0,1]
	ds_load_2addr_b64 v[132:135], v136 offset0:53 offset1:54
	v_dual_mov_b32 v68, v142 :: v_dual_mov_b32 v69, v145
	s_wait_dscnt 0x0
	v_pk_mul_f32 v[146:147], v[132:133], v[144:145] op_sel:[0,1]
	s_delay_alu instid0(VALU_DEP_1) | instskip(SKIP_1) | instid1(VALU_DEP_1)
	v_pk_fma_f32 v[148:149], v[132:133], v[142:143], v[146:147] op_sel:[0,0,1] op_sel_hi:[1,1,0] neg_lo:[0,0,1] neg_hi:[0,0,1]
	v_pk_fma_f32 v[132:133], v[132:133], v[142:143], v[146:147] op_sel:[0,0,1] op_sel_hi:[1,0,0]
	v_mov_b32_e32 v149, v133
	v_pk_mul_f32 v[132:133], v[134:135], v[144:145] op_sel:[0,1]
	s_delay_alu instid0(VALU_DEP_1) | instskip(SKIP_1) | instid1(VALU_DEP_1)
	v_pk_fma_f32 v[146:147], v[134:135], v[142:143], v[132:133] op_sel:[0,0,1] op_sel_hi:[1,1,0] neg_lo:[0,0,1] neg_hi:[0,0,1]
	v_pk_fma_f32 v[132:133], v[134:135], v[142:143], v[132:133] op_sel:[0,0,1] op_sel_hi:[1,0,0]
	v_mov_b32_e32 v147, v133
	ds_load_2addr_b64 v[132:135], v136 offset0:55 offset1:56
	v_pk_add_f32 v[66:67], v[66:67], v[148:149] neg_lo:[0,1] neg_hi:[0,1]
	v_pk_add_f32 v[10:11], v[10:11], v[146:147] neg_lo:[0,1] neg_hi:[0,1]
	s_wait_dscnt 0x0
	v_pk_mul_f32 v[146:147], v[132:133], v[144:145] op_sel:[0,1]
	s_delay_alu instid0(VALU_DEP_1) | instskip(SKIP_2) | instid1(VALU_DEP_2)
	v_pk_fma_f32 v[148:149], v[132:133], v[142:143], v[146:147] op_sel:[0,0,1] op_sel_hi:[1,1,0] neg_lo:[0,0,1] neg_hi:[0,0,1]
	v_pk_fma_f32 v[132:133], v[132:133], v[142:143], v[146:147] op_sel:[0,0,1] op_sel_hi:[1,0,0]
	v_dual_mul_f32 v146, v135, v145 :: v_dual_mov_b32 v132, v135
	v_dual_mov_b32 v149, v133 :: v_dual_mov_b32 v133, v134
	s_delay_alu instid0(VALU_DEP_2) | instskip(SKIP_1) | instid1(VALU_DEP_3)
	v_pk_fma_f32 v[146:147], v[134:135], v[68:69], v[146:147] op_sel_hi:[1,1,0] neg_lo:[0,0,1] neg_hi:[0,0,1]
	v_mul_f32_e32 v134, v135, v142
	v_pk_add_f32 v[8:9], v[8:9], v[148:149] neg_lo:[0,1] neg_hi:[0,1]
	s_delay_alu instid0(VALU_DEP_2) | instskip(NEXT) | instid1(VALU_DEP_1)
	v_pk_fma_f32 v[132:133], v[132:133], v[68:69], v[134:135] op_sel_hi:[1,1,0]
	v_mov_b32_e32 v147, v133
	ds_load_2addr_b64 v[132:135], v136 offset0:57 offset1:58
	v_pk_add_f32 v[34:35], v[34:35], v[146:147] neg_lo:[0,1] neg_hi:[0,1]
	s_wait_dscnt 0x0
	v_pk_mul_f32 v[146:147], v[132:133], v[144:145] op_sel:[0,1]
	s_delay_alu instid0(VALU_DEP_1) | instskip(SKIP_1) | instid1(VALU_DEP_1)
	v_pk_fma_f32 v[148:149], v[132:133], v[142:143], v[146:147] op_sel:[0,0,1] op_sel_hi:[1,1,0] neg_lo:[0,0,1] neg_hi:[0,0,1]
	v_pk_fma_f32 v[132:133], v[132:133], v[142:143], v[146:147] op_sel:[0,0,1] op_sel_hi:[1,0,0]
	v_mov_b32_e32 v149, v133
	v_pk_mul_f32 v[132:133], v[134:135], v[144:145] op_sel:[0,1]
	s_delay_alu instid0(VALU_DEP_1) | instskip(SKIP_1) | instid1(VALU_DEP_1)
	v_pk_fma_f32 v[146:147], v[134:135], v[142:143], v[132:133] op_sel:[0,0,1] op_sel_hi:[1,1,0] neg_lo:[0,0,1] neg_hi:[0,0,1]
	v_pk_fma_f32 v[132:133], v[134:135], v[142:143], v[132:133] op_sel:[0,0,1] op_sel_hi:[1,0,0]
	v_mov_b32_e32 v147, v133
	ds_load_2addr_b64 v[132:135], v136 offset0:59 offset1:60
	v_pk_add_f32 v[30:31], v[30:31], v[148:149] neg_lo:[0,1] neg_hi:[0,1]
	v_pk_add_f32 v[6:7], v[6:7], v[146:147] neg_lo:[0,1] neg_hi:[0,1]
	s_wait_dscnt 0x0
	v_pk_mul_f32 v[146:147], v[132:133], v[144:145] op_sel:[0,1]
	s_delay_alu instid0(VALU_DEP_1) | instskip(SKIP_1) | instid1(VALU_DEP_1)
	v_pk_fma_f32 v[148:149], v[132:133], v[142:143], v[146:147] op_sel:[0,0,1] op_sel_hi:[1,1,0] neg_lo:[0,0,1] neg_hi:[0,0,1]
	v_pk_fma_f32 v[132:133], v[132:133], v[142:143], v[146:147] op_sel:[0,0,1] op_sel_hi:[1,0,0]
	v_mov_b32_e32 v149, v133
	v_pk_mul_f32 v[132:133], v[134:135], v[144:145] op_sel:[0,1]
	s_delay_alu instid0(VALU_DEP_1) | instskip(SKIP_1) | instid1(VALU_DEP_1)
	v_pk_fma_f32 v[146:147], v[134:135], v[142:143], v[132:133] op_sel:[0,0,1] op_sel_hi:[1,1,0] neg_lo:[0,0,1] neg_hi:[0,0,1]
	v_pk_fma_f32 v[132:133], v[134:135], v[142:143], v[132:133] op_sel:[0,0,1] op_sel_hi:[1,0,0]
	v_mov_b32_e32 v147, v133
	ds_load_2addr_b64 v[132:135], v136 offset0:61 offset1:62
	v_pk_add_f32 v[26:27], v[26:27], v[148:149] neg_lo:[0,1] neg_hi:[0,1]
	v_pk_add_f32 v[14:15], v[14:15], v[146:147] neg_lo:[0,1] neg_hi:[0,1]
	s_wait_dscnt 0x0
	v_dual_mul_f32 v146, v133, v145 :: v_dual_mul_f32 v148, v133, v142
	s_delay_alu instid0(VALU_DEP_1) | instskip(NEXT) | instid1(VALU_DEP_2)
	v_pk_fma_f32 v[146:147], v[132:133], v[68:69], v[146:147] op_sel_hi:[1,1,0] neg_lo:[0,0,1] neg_hi:[0,0,1]
	v_pk_fma_f32 v[132:133], v[132:133], v[68:69], v[148:149] op_sel:[1,0,0] op_sel_hi:[0,1,0]
	s_delay_alu instid0(VALU_DEP_1) | instskip(SKIP_1) | instid1(VALU_DEP_1)
	v_mov_b32_e32 v147, v133
	v_pk_mul_f32 v[132:133], v[134:135], v[144:145] op_sel:[0,1]
	v_pk_fma_f32 v[144:145], v[134:135], v[142:143], v[132:133] op_sel:[0,0,1] op_sel_hi:[1,1,0] neg_lo:[0,0,1] neg_hi:[0,0,1]
	v_pk_fma_f32 v[132:133], v[134:135], v[142:143], v[132:133] op_sel:[0,0,1] op_sel_hi:[1,0,0]
	s_delay_alu instid0(VALU_DEP_1) | instskip(SKIP_1) | instid1(VALU_DEP_2)
	v_mov_b32_e32 v145, v133
	v_pk_add_f32 v[12:13], v[12:13], v[146:147] neg_lo:[0,1] neg_hi:[0,1]
	v_pk_add_f32 v[130:131], v[130:131], v[144:145] neg_lo:[0,1] neg_hi:[0,1]
.LBB124_1112:
	s_or_b32 exec_lo, exec_lo, s0
	v_lshl_add_u32 v132, v140, 3, v136
	s_barrier_signal -1
	s_barrier_wait -1
	ds_store_b64 v132, v[66:67]
	s_wait_dscnt 0x0
	s_barrier_signal -1
	s_barrier_wait -1
	ds_load_b64 v[132:133], v136 offset:424
	v_mov_b32_e32 v134, 53
	s_cmp_lt_i32 s18, 55
	s_cbranch_scc1 .LBB124_1115
; %bb.1113:
	v_add3_u32 v135, v137, 0, 0x1b0
	v_mov_b32_e32 v134, 53
	s_mov_b32 s0, 54
.LBB124_1114:                           ; =>This Inner Loop Header: Depth=1
	ds_load_b64 v[142:143], v135
	s_wait_dscnt 0x1
	v_cmp_gt_f32_e32 vcc_lo, 0, v132
	v_cndmask_b32_e64 v144, v132, -v132, vcc_lo
	v_cmp_gt_f32_e32 vcc_lo, 0, v133
	v_cndmask_b32_e64 v146, v133, -v133, vcc_lo
	s_wait_dscnt 0x0
	v_cmp_gt_f32_e32 vcc_lo, 0, v142
	v_cndmask_b32_e64 v145, v142, -v142, vcc_lo
	v_cmp_gt_f32_e32 vcc_lo, 0, v143
	v_cndmask_b32_e64 v147, v143, -v143, vcc_lo
	s_delay_alu instid0(VALU_DEP_1) | instskip(NEXT) | instid1(VALU_DEP_1)
	v_pk_add_f32 v[144:145], v[144:145], v[146:147]
	v_cmp_lt_f32_e32 vcc_lo, v144, v145
	v_dual_cndmask_b32 v132, v132, v142 :: v_dual_add_nc_u32 v135, 8, v135
	v_cndmask_b32_e32 v133, v133, v143, vcc_lo
	v_cndmask_b32_e64 v134, v134, s0, vcc_lo
	s_add_co_i32 s0, s0, 1
	s_delay_alu instid0(SALU_CYCLE_1)
	s_cmp_lg_u32 s18, s0
	s_cbranch_scc1 .LBB124_1114
.LBB124_1115:
	s_wait_dscnt 0x0
	v_cmp_eq_f32_e32 vcc_lo, 0, v132
	v_cmp_eq_f32_e64 s0, 0, v133
	s_and_b32 s0, vcc_lo, s0
	s_delay_alu instid0(SALU_CYCLE_1) | instskip(NEXT) | instid1(SALU_CYCLE_1)
	s_and_saveexec_b32 s1, s0
	s_xor_b32 s0, exec_lo, s1
; %bb.1116:
	v_cmp_ne_u32_e32 vcc_lo, 0, v138
	v_cndmask_b32_e32 v138, 54, v138, vcc_lo
; %bb.1117:
	s_and_not1_saveexec_b32 s0, s0
	s_cbranch_execz .LBB124_1123
; %bb.1118:
	v_cmp_ngt_f32_e64 s1, |v132|, |v133|
	s_and_saveexec_b32 s12, s1
	s_delay_alu instid0(SALU_CYCLE_1)
	s_xor_b32 s1, exec_lo, s12
	s_cbranch_execz .LBB124_1120
; %bb.1119:
	v_div_scale_f32 v135, null, v133, v133, v132
	v_div_scale_f32 v143, vcc_lo, v132, v133, v132
	s_delay_alu instid0(VALU_DEP_2) | instskip(SKIP_1) | instid1(TRANS32_DEP_1)
	v_rcp_f32_e32 v141, v135
	v_nop
	v_fma_f32 v142, -v135, v141, 1.0
	s_delay_alu instid0(VALU_DEP_1) | instskip(NEXT) | instid1(VALU_DEP_1)
	v_fmac_f32_e32 v141, v142, v141
	v_mul_f32_e32 v142, v143, v141
	s_delay_alu instid0(VALU_DEP_1) | instskip(NEXT) | instid1(VALU_DEP_1)
	v_fma_f32 v144, -v135, v142, v143
	v_fmac_f32_e32 v142, v144, v141
	s_delay_alu instid0(VALU_DEP_1) | instskip(NEXT) | instid1(VALU_DEP_1)
	v_fma_f32 v135, -v135, v142, v143
	v_div_fmas_f32 v135, v135, v141, v142
	s_delay_alu instid0(VALU_DEP_1) | instskip(NEXT) | instid1(VALU_DEP_1)
	v_div_fixup_f32 v135, v135, v133, v132
	v_fmac_f32_e32 v133, v132, v135
	s_delay_alu instid0(VALU_DEP_1) | instskip(SKIP_1) | instid1(VALU_DEP_2)
	v_div_scale_f32 v132, null, v133, v133, 1.0
	v_div_scale_f32 v143, vcc_lo, 1.0, v133, 1.0
	v_rcp_f32_e32 v141, v132
	v_nop
	s_delay_alu instid0(TRANS32_DEP_1) | instskip(NEXT) | instid1(VALU_DEP_1)
	v_fma_f32 v142, -v132, v141, 1.0
	v_fmac_f32_e32 v141, v142, v141
	s_delay_alu instid0(VALU_DEP_1) | instskip(NEXT) | instid1(VALU_DEP_1)
	v_mul_f32_e32 v142, v143, v141
	v_fma_f32 v144, -v132, v142, v143
	s_delay_alu instid0(VALU_DEP_1) | instskip(NEXT) | instid1(VALU_DEP_1)
	v_fmac_f32_e32 v142, v144, v141
	v_fma_f32 v132, -v132, v142, v143
	s_delay_alu instid0(VALU_DEP_1) | instskip(NEXT) | instid1(VALU_DEP_1)
	v_div_fmas_f32 v132, v132, v141, v142
	v_div_fixup_f32 v133, v132, v133, 1.0
	s_delay_alu instid0(VALU_DEP_1)
	v_mul_f32_e32 v132, v135, v133
	v_xor_b32_e32 v133, 0x80000000, v133
.LBB124_1120:
	s_and_not1_saveexec_b32 s1, s1
	s_cbranch_execz .LBB124_1122
; %bb.1121:
	s_delay_alu instid0(VALU_DEP_1) | instskip(SKIP_1) | instid1(VALU_DEP_2)
	v_div_scale_f32 v135, null, v132, v132, v133
	v_div_scale_f32 v143, vcc_lo, v133, v132, v133
	v_rcp_f32_e32 v141, v135
	v_nop
	s_delay_alu instid0(TRANS32_DEP_1) | instskip(NEXT) | instid1(VALU_DEP_1)
	v_fma_f32 v142, -v135, v141, 1.0
	v_fmac_f32_e32 v141, v142, v141
	s_delay_alu instid0(VALU_DEP_1) | instskip(NEXT) | instid1(VALU_DEP_1)
	v_mul_f32_e32 v142, v143, v141
	v_fma_f32 v144, -v135, v142, v143
	s_delay_alu instid0(VALU_DEP_1) | instskip(NEXT) | instid1(VALU_DEP_1)
	v_fmac_f32_e32 v142, v144, v141
	v_fma_f32 v135, -v135, v142, v143
	s_delay_alu instid0(VALU_DEP_1) | instskip(NEXT) | instid1(VALU_DEP_1)
	v_div_fmas_f32 v135, v135, v141, v142
	v_div_fixup_f32 v135, v135, v132, v133
	s_delay_alu instid0(VALU_DEP_1) | instskip(NEXT) | instid1(VALU_DEP_1)
	v_fmac_f32_e32 v132, v133, v135
	v_div_scale_f32 v133, null, v132, v132, 1.0
	s_delay_alu instid0(VALU_DEP_1) | instskip(SKIP_1) | instid1(TRANS32_DEP_1)
	v_rcp_f32_e32 v141, v133
	v_nop
	v_fma_f32 v142, -v133, v141, 1.0
	s_delay_alu instid0(VALU_DEP_1) | instskip(SKIP_1) | instid1(VALU_DEP_1)
	v_fmac_f32_e32 v141, v142, v141
	v_div_scale_f32 v142, vcc_lo, 1.0, v132, 1.0
	v_mul_f32_e32 v143, v142, v141
	s_delay_alu instid0(VALU_DEP_1) | instskip(NEXT) | instid1(VALU_DEP_1)
	v_fma_f32 v144, -v133, v143, v142
	v_fmac_f32_e32 v143, v144, v141
	s_delay_alu instid0(VALU_DEP_1) | instskip(NEXT) | instid1(VALU_DEP_1)
	v_fma_f32 v133, -v133, v143, v142
	v_div_fmas_f32 v133, v133, v141, v143
	s_delay_alu instid0(VALU_DEP_1) | instskip(NEXT) | instid1(VALU_DEP_1)
	v_div_fixup_f32 v132, v133, v132, 1.0
	v_mul_f32_e64 v133, v135, -v132
.LBB124_1122:
	s_or_b32 exec_lo, exec_lo, s1
.LBB124_1123:
	s_delay_alu instid0(SALU_CYCLE_1) | instskip(NEXT) | instid1(SALU_CYCLE_1)
	s_or_b32 exec_lo, exec_lo, s0
	s_mov_b32 s0, exec_lo
	v_cmpx_ne_u32_e64 v140, v134
	s_xor_b32 s0, exec_lo, s0
	s_cbranch_execz .LBB124_1129
; %bb.1124:
	s_mov_b32 s1, exec_lo
	v_cmpx_eq_u32_e32 53, v140
	s_cbranch_execz .LBB124_1128
; %bb.1125:
	v_cmp_ne_u32_e32 vcc_lo, 53, v134
	s_xor_b32 s12, s16, -1
	s_delay_alu instid0(SALU_CYCLE_1) | instskip(NEXT) | instid1(SALU_CYCLE_1)
	s_and_b32 s13, s12, vcc_lo
	s_and_saveexec_b32 s12, s13
	s_cbranch_execz .LBB124_1127
; %bb.1126:
	v_ashrrev_i32_e32 v135, 31, v134
	s_delay_alu instid0(VALU_DEP_1)
	v_lshl_add_u64 v[140:141], v[134:135], 2, v[4:5]
	s_clause 0x1
	global_load_b32 v135, v[140:141], off
	global_load_b32 v139, v[4:5], off offset:212
	s_wait_loadcnt 0x1
	global_store_b32 v[4:5], v135, off offset:212
	s_wait_loadcnt 0x0
	global_store_b32 v[140:141], v139, off
.LBB124_1127:
	s_wait_xcnt 0x0
	s_or_b32 exec_lo, exec_lo, s12
	v_dual_mov_b32 v140, v134 :: v_dual_mov_b32 v139, v134
.LBB124_1128:
	s_or_b32 exec_lo, exec_lo, s1
.LBB124_1129:
	s_and_not1_saveexec_b32 s0, s0
	s_cbranch_execz .LBB124_1131
; %bb.1130:
	v_dual_mov_b32 v134, v10 :: v_dual_mov_b32 v135, v11
	v_dual_mov_b32 v142, v8 :: v_dual_mov_b32 v143, v9
	;; [unrolled: 1-line block ×8, first 2 shown]
	v_mov_b32_e32 v155, v13
	ds_store_2addr_b64 v136, v[134:135], v[142:143] offset0:54 offset1:55
	ds_store_2addr_b64 v136, v[144:145], v[146:147] offset0:56 offset1:57
	;; [unrolled: 1-line block ×4, first 2 shown]
	ds_store_b64 v136, v[130:131] offset:496
.LBB124_1131:
	s_or_b32 exec_lo, exec_lo, s0
	s_delay_alu instid0(SALU_CYCLE_1)
	s_mov_b32 s0, exec_lo
	s_wait_storecnt_dscnt 0x0
	s_barrier_signal -1
	s_barrier_wait -1
	v_cmpx_lt_i32_e32 53, v140
	s_cbranch_execz .LBB124_1133
; %bb.1132:
	v_pk_mul_f32 v[134:135], v[132:133], v[66:67] op_sel:[1,1] op_sel_hi:[0,1]
	s_delay_alu instid0(VALU_DEP_1)
	v_pk_fma_f32 v[142:143], v[132:133], v[66:67], v[134:135] op_sel_hi:[1,0,1] neg_lo:[0,0,1] neg_hi:[0,0,1]
	v_pk_fma_f32 v[144:145], v[132:133], v[66:67], v[134:135] op_sel_hi:[1,0,1]
	ds_load_2addr_b64 v[132:135], v136 offset0:54 offset1:55
	v_dual_mov_b32 v66, v142 :: v_dual_mov_b32 v67, v145
	s_wait_dscnt 0x0
	v_pk_mul_f32 v[146:147], v[132:133], v[144:145] op_sel:[0,1]
	s_delay_alu instid0(VALU_DEP_1) | instskip(SKIP_1) | instid1(VALU_DEP_1)
	v_pk_fma_f32 v[148:149], v[132:133], v[142:143], v[146:147] op_sel:[0,0,1] op_sel_hi:[1,1,0] neg_lo:[0,0,1] neg_hi:[0,0,1]
	v_pk_fma_f32 v[132:133], v[132:133], v[142:143], v[146:147] op_sel:[0,0,1] op_sel_hi:[1,0,0]
	v_mov_b32_e32 v149, v133
	v_pk_mul_f32 v[132:133], v[134:135], v[144:145] op_sel:[0,1]
	s_delay_alu instid0(VALU_DEP_1) | instskip(SKIP_1) | instid1(VALU_DEP_1)
	v_pk_fma_f32 v[146:147], v[134:135], v[142:143], v[132:133] op_sel:[0,0,1] op_sel_hi:[1,1,0] neg_lo:[0,0,1] neg_hi:[0,0,1]
	v_pk_fma_f32 v[132:133], v[134:135], v[142:143], v[132:133] op_sel:[0,0,1] op_sel_hi:[1,0,0]
	v_mov_b32_e32 v147, v133
	ds_load_2addr_b64 v[132:135], v136 offset0:56 offset1:57
	v_pk_add_f32 v[10:11], v[10:11], v[148:149] neg_lo:[0,1] neg_hi:[0,1]
	v_pk_add_f32 v[8:9], v[8:9], v[146:147] neg_lo:[0,1] neg_hi:[0,1]
	s_wait_dscnt 0x0
	v_pk_mul_f32 v[146:147], v[132:133], v[144:145] op_sel:[0,1]
	s_delay_alu instid0(VALU_DEP_1) | instskip(SKIP_2) | instid1(VALU_DEP_2)
	v_pk_fma_f32 v[148:149], v[132:133], v[142:143], v[146:147] op_sel:[0,0,1] op_sel_hi:[1,1,0] neg_lo:[0,0,1] neg_hi:[0,0,1]
	v_pk_fma_f32 v[132:133], v[132:133], v[142:143], v[146:147] op_sel:[0,0,1] op_sel_hi:[1,0,0]
	v_dual_mul_f32 v146, v135, v145 :: v_dual_mov_b32 v132, v135
	v_dual_mov_b32 v149, v133 :: v_dual_mov_b32 v133, v134
	s_delay_alu instid0(VALU_DEP_2) | instskip(SKIP_1) | instid1(VALU_DEP_3)
	v_pk_fma_f32 v[146:147], v[134:135], v[66:67], v[146:147] op_sel_hi:[1,1,0] neg_lo:[0,0,1] neg_hi:[0,0,1]
	v_mul_f32_e32 v134, v135, v142
	v_pk_add_f32 v[34:35], v[34:35], v[148:149] neg_lo:[0,1] neg_hi:[0,1]
	s_delay_alu instid0(VALU_DEP_2) | instskip(NEXT) | instid1(VALU_DEP_1)
	v_pk_fma_f32 v[132:133], v[132:133], v[66:67], v[134:135] op_sel_hi:[1,1,0]
	v_mov_b32_e32 v147, v133
	ds_load_2addr_b64 v[132:135], v136 offset0:58 offset1:59
	v_pk_add_f32 v[30:31], v[30:31], v[146:147] neg_lo:[0,1] neg_hi:[0,1]
	s_wait_dscnt 0x0
	v_pk_mul_f32 v[146:147], v[132:133], v[144:145] op_sel:[0,1]
	s_delay_alu instid0(VALU_DEP_1) | instskip(SKIP_1) | instid1(VALU_DEP_1)
	v_pk_fma_f32 v[148:149], v[132:133], v[142:143], v[146:147] op_sel:[0,0,1] op_sel_hi:[1,1,0] neg_lo:[0,0,1] neg_hi:[0,0,1]
	v_pk_fma_f32 v[132:133], v[132:133], v[142:143], v[146:147] op_sel:[0,0,1] op_sel_hi:[1,0,0]
	v_mov_b32_e32 v149, v133
	v_pk_mul_f32 v[132:133], v[134:135], v[144:145] op_sel:[0,1]
	s_delay_alu instid0(VALU_DEP_1) | instskip(SKIP_1) | instid1(VALU_DEP_1)
	v_pk_fma_f32 v[146:147], v[134:135], v[142:143], v[132:133] op_sel:[0,0,1] op_sel_hi:[1,1,0] neg_lo:[0,0,1] neg_hi:[0,0,1]
	v_pk_fma_f32 v[132:133], v[134:135], v[142:143], v[132:133] op_sel:[0,0,1] op_sel_hi:[1,0,0]
	v_mov_b32_e32 v147, v133
	ds_load_2addr_b64 v[132:135], v136 offset0:60 offset1:61
	v_pk_add_f32 v[6:7], v[6:7], v[148:149] neg_lo:[0,1] neg_hi:[0,1]
	v_pk_add_f32 v[26:27], v[26:27], v[146:147] neg_lo:[0,1] neg_hi:[0,1]
	s_wait_dscnt 0x0
	v_pk_mul_f32 v[146:147], v[132:133], v[144:145] op_sel:[0,1]
	s_delay_alu instid0(VALU_DEP_1) | instskip(SKIP_1) | instid1(VALU_DEP_1)
	v_pk_fma_f32 v[148:149], v[132:133], v[142:143], v[146:147] op_sel:[0,0,1] op_sel_hi:[1,1,0] neg_lo:[0,0,1] neg_hi:[0,0,1]
	v_pk_fma_f32 v[132:133], v[132:133], v[142:143], v[146:147] op_sel:[0,0,1] op_sel_hi:[1,0,0]
	v_mov_b32_e32 v149, v133
	v_pk_mul_f32 v[132:133], v[134:135], v[144:145] op_sel:[0,1]
	s_delay_alu instid0(VALU_DEP_1) | instskip(SKIP_1) | instid1(VALU_DEP_1)
	v_pk_fma_f32 v[146:147], v[134:135], v[142:143], v[132:133] op_sel:[0,0,1] op_sel_hi:[1,1,0] neg_lo:[0,0,1] neg_hi:[0,0,1]
	v_pk_fma_f32 v[132:133], v[134:135], v[142:143], v[132:133] op_sel:[0,0,1] op_sel_hi:[1,0,0]
	v_mov_b32_e32 v147, v133
	ds_load_b64 v[132:133], v136 offset:496
	v_pk_add_f32 v[14:15], v[14:15], v[148:149] neg_lo:[0,1] neg_hi:[0,1]
	v_pk_add_f32 v[12:13], v[12:13], v[146:147] neg_lo:[0,1] neg_hi:[0,1]
	s_wait_dscnt 0x0
	v_pk_mul_f32 v[134:135], v[132:133], v[144:145] op_sel:[0,1]
	s_delay_alu instid0(VALU_DEP_1) | instskip(SKIP_1) | instid1(VALU_DEP_1)
	v_pk_fma_f32 v[144:145], v[132:133], v[142:143], v[134:135] op_sel:[0,0,1] op_sel_hi:[1,1,0] neg_lo:[0,0,1] neg_hi:[0,0,1]
	v_pk_fma_f32 v[132:133], v[132:133], v[142:143], v[134:135] op_sel:[0,0,1] op_sel_hi:[1,0,0]
	v_mov_b32_e32 v145, v133
	s_delay_alu instid0(VALU_DEP_1)
	v_pk_add_f32 v[130:131], v[130:131], v[144:145] neg_lo:[0,1] neg_hi:[0,1]
.LBB124_1133:
	s_or_b32 exec_lo, exec_lo, s0
	v_lshl_add_u32 v132, v140, 3, v136
	s_barrier_signal -1
	s_barrier_wait -1
	ds_store_b64 v132, v[10:11]
	s_wait_dscnt 0x0
	s_barrier_signal -1
	s_barrier_wait -1
	ds_load_b64 v[132:133], v136 offset:432
	v_mov_b32_e32 v134, 54
	s_cmp_lt_i32 s18, 56
	s_cbranch_scc1 .LBB124_1136
; %bb.1134:
	v_add3_u32 v135, v137, 0, 0x1b8
	v_mov_b32_e32 v134, 54
	s_mov_b32 s0, 55
.LBB124_1135:                           ; =>This Inner Loop Header: Depth=1
	ds_load_b64 v[142:143], v135
	s_wait_dscnt 0x1
	v_cmp_gt_f32_e32 vcc_lo, 0, v132
	v_cndmask_b32_e64 v144, v132, -v132, vcc_lo
	v_cmp_gt_f32_e32 vcc_lo, 0, v133
	v_cndmask_b32_e64 v146, v133, -v133, vcc_lo
	s_wait_dscnt 0x0
	v_cmp_gt_f32_e32 vcc_lo, 0, v142
	v_cndmask_b32_e64 v145, v142, -v142, vcc_lo
	v_cmp_gt_f32_e32 vcc_lo, 0, v143
	v_cndmask_b32_e64 v147, v143, -v143, vcc_lo
	s_delay_alu instid0(VALU_DEP_1) | instskip(NEXT) | instid1(VALU_DEP_1)
	v_pk_add_f32 v[144:145], v[144:145], v[146:147]
	v_cmp_lt_f32_e32 vcc_lo, v144, v145
	v_dual_cndmask_b32 v132, v132, v142 :: v_dual_add_nc_u32 v135, 8, v135
	v_cndmask_b32_e32 v133, v133, v143, vcc_lo
	v_cndmask_b32_e64 v134, v134, s0, vcc_lo
	s_add_co_i32 s0, s0, 1
	s_delay_alu instid0(SALU_CYCLE_1)
	s_cmp_lg_u32 s18, s0
	s_cbranch_scc1 .LBB124_1135
.LBB124_1136:
	s_wait_dscnt 0x0
	v_cmp_eq_f32_e32 vcc_lo, 0, v132
	v_cmp_eq_f32_e64 s0, 0, v133
	s_and_b32 s0, vcc_lo, s0
	s_delay_alu instid0(SALU_CYCLE_1) | instskip(NEXT) | instid1(SALU_CYCLE_1)
	s_and_saveexec_b32 s1, s0
	s_xor_b32 s0, exec_lo, s1
; %bb.1137:
	v_cmp_ne_u32_e32 vcc_lo, 0, v138
	v_cndmask_b32_e32 v138, 55, v138, vcc_lo
; %bb.1138:
	s_and_not1_saveexec_b32 s0, s0
	s_cbranch_execz .LBB124_1144
; %bb.1139:
	v_cmp_ngt_f32_e64 s1, |v132|, |v133|
	s_and_saveexec_b32 s12, s1
	s_delay_alu instid0(SALU_CYCLE_1)
	s_xor_b32 s1, exec_lo, s12
	s_cbranch_execz .LBB124_1141
; %bb.1140:
	v_div_scale_f32 v135, null, v133, v133, v132
	v_div_scale_f32 v143, vcc_lo, v132, v133, v132
	s_delay_alu instid0(VALU_DEP_2) | instskip(SKIP_1) | instid1(TRANS32_DEP_1)
	v_rcp_f32_e32 v141, v135
	v_nop
	v_fma_f32 v142, -v135, v141, 1.0
	s_delay_alu instid0(VALU_DEP_1) | instskip(NEXT) | instid1(VALU_DEP_1)
	v_fmac_f32_e32 v141, v142, v141
	v_mul_f32_e32 v142, v143, v141
	s_delay_alu instid0(VALU_DEP_1) | instskip(NEXT) | instid1(VALU_DEP_1)
	v_fma_f32 v144, -v135, v142, v143
	v_fmac_f32_e32 v142, v144, v141
	s_delay_alu instid0(VALU_DEP_1) | instskip(NEXT) | instid1(VALU_DEP_1)
	v_fma_f32 v135, -v135, v142, v143
	v_div_fmas_f32 v135, v135, v141, v142
	s_delay_alu instid0(VALU_DEP_1) | instskip(NEXT) | instid1(VALU_DEP_1)
	v_div_fixup_f32 v135, v135, v133, v132
	v_fmac_f32_e32 v133, v132, v135
	s_delay_alu instid0(VALU_DEP_1) | instskip(SKIP_1) | instid1(VALU_DEP_2)
	v_div_scale_f32 v132, null, v133, v133, 1.0
	v_div_scale_f32 v143, vcc_lo, 1.0, v133, 1.0
	v_rcp_f32_e32 v141, v132
	v_nop
	s_delay_alu instid0(TRANS32_DEP_1) | instskip(NEXT) | instid1(VALU_DEP_1)
	v_fma_f32 v142, -v132, v141, 1.0
	v_fmac_f32_e32 v141, v142, v141
	s_delay_alu instid0(VALU_DEP_1) | instskip(NEXT) | instid1(VALU_DEP_1)
	v_mul_f32_e32 v142, v143, v141
	v_fma_f32 v144, -v132, v142, v143
	s_delay_alu instid0(VALU_DEP_1) | instskip(NEXT) | instid1(VALU_DEP_1)
	v_fmac_f32_e32 v142, v144, v141
	v_fma_f32 v132, -v132, v142, v143
	s_delay_alu instid0(VALU_DEP_1) | instskip(NEXT) | instid1(VALU_DEP_1)
	v_div_fmas_f32 v132, v132, v141, v142
	v_div_fixup_f32 v133, v132, v133, 1.0
	s_delay_alu instid0(VALU_DEP_1)
	v_mul_f32_e32 v132, v135, v133
	v_xor_b32_e32 v133, 0x80000000, v133
.LBB124_1141:
	s_and_not1_saveexec_b32 s1, s1
	s_cbranch_execz .LBB124_1143
; %bb.1142:
	s_delay_alu instid0(VALU_DEP_1) | instskip(SKIP_1) | instid1(VALU_DEP_2)
	v_div_scale_f32 v135, null, v132, v132, v133
	v_div_scale_f32 v143, vcc_lo, v133, v132, v133
	v_rcp_f32_e32 v141, v135
	v_nop
	s_delay_alu instid0(TRANS32_DEP_1) | instskip(NEXT) | instid1(VALU_DEP_1)
	v_fma_f32 v142, -v135, v141, 1.0
	v_fmac_f32_e32 v141, v142, v141
	s_delay_alu instid0(VALU_DEP_1) | instskip(NEXT) | instid1(VALU_DEP_1)
	v_mul_f32_e32 v142, v143, v141
	v_fma_f32 v144, -v135, v142, v143
	s_delay_alu instid0(VALU_DEP_1) | instskip(NEXT) | instid1(VALU_DEP_1)
	v_fmac_f32_e32 v142, v144, v141
	v_fma_f32 v135, -v135, v142, v143
	s_delay_alu instid0(VALU_DEP_1) | instskip(NEXT) | instid1(VALU_DEP_1)
	v_div_fmas_f32 v135, v135, v141, v142
	v_div_fixup_f32 v135, v135, v132, v133
	s_delay_alu instid0(VALU_DEP_1) | instskip(NEXT) | instid1(VALU_DEP_1)
	v_fmac_f32_e32 v132, v133, v135
	v_div_scale_f32 v133, null, v132, v132, 1.0
	s_delay_alu instid0(VALU_DEP_1) | instskip(SKIP_1) | instid1(TRANS32_DEP_1)
	v_rcp_f32_e32 v141, v133
	v_nop
	v_fma_f32 v142, -v133, v141, 1.0
	s_delay_alu instid0(VALU_DEP_1) | instskip(SKIP_1) | instid1(VALU_DEP_1)
	v_fmac_f32_e32 v141, v142, v141
	v_div_scale_f32 v142, vcc_lo, 1.0, v132, 1.0
	v_mul_f32_e32 v143, v142, v141
	s_delay_alu instid0(VALU_DEP_1) | instskip(NEXT) | instid1(VALU_DEP_1)
	v_fma_f32 v144, -v133, v143, v142
	v_fmac_f32_e32 v143, v144, v141
	s_delay_alu instid0(VALU_DEP_1) | instskip(NEXT) | instid1(VALU_DEP_1)
	v_fma_f32 v133, -v133, v143, v142
	v_div_fmas_f32 v133, v133, v141, v143
	s_delay_alu instid0(VALU_DEP_1) | instskip(NEXT) | instid1(VALU_DEP_1)
	v_div_fixup_f32 v132, v133, v132, 1.0
	v_mul_f32_e64 v133, v135, -v132
.LBB124_1143:
	s_or_b32 exec_lo, exec_lo, s1
.LBB124_1144:
	s_delay_alu instid0(SALU_CYCLE_1) | instskip(NEXT) | instid1(SALU_CYCLE_1)
	s_or_b32 exec_lo, exec_lo, s0
	s_mov_b32 s0, exec_lo
	v_cmpx_ne_u32_e64 v140, v134
	s_xor_b32 s0, exec_lo, s0
	s_cbranch_execz .LBB124_1150
; %bb.1145:
	s_mov_b32 s1, exec_lo
	v_cmpx_eq_u32_e32 54, v140
	s_cbranch_execz .LBB124_1149
; %bb.1146:
	v_cmp_ne_u32_e32 vcc_lo, 54, v134
	s_xor_b32 s12, s16, -1
	s_delay_alu instid0(SALU_CYCLE_1) | instskip(NEXT) | instid1(SALU_CYCLE_1)
	s_and_b32 s13, s12, vcc_lo
	s_and_saveexec_b32 s12, s13
	s_cbranch_execz .LBB124_1148
; %bb.1147:
	v_ashrrev_i32_e32 v135, 31, v134
	s_delay_alu instid0(VALU_DEP_1)
	v_lshl_add_u64 v[140:141], v[134:135], 2, v[4:5]
	s_clause 0x1
	global_load_b32 v135, v[140:141], off
	global_load_b32 v139, v[4:5], off offset:216
	s_wait_loadcnt 0x1
	global_store_b32 v[4:5], v135, off offset:216
	s_wait_loadcnt 0x0
	global_store_b32 v[140:141], v139, off
.LBB124_1148:
	s_wait_xcnt 0x0
	s_or_b32 exec_lo, exec_lo, s12
	v_dual_mov_b32 v140, v134 :: v_dual_mov_b32 v139, v134
.LBB124_1149:
	s_or_b32 exec_lo, exec_lo, s1
.LBB124_1150:
	s_and_not1_saveexec_b32 s0, s0
	s_cbranch_execz .LBB124_1152
; %bb.1151:
	v_mov_b32_e32 v140, 54
	ds_store_2addr_b64 v136, v[8:9], v[34:35] offset0:55 offset1:56
	ds_store_2addr_b64 v136, v[30:31], v[6:7] offset0:57 offset1:58
	;; [unrolled: 1-line block ×4, first 2 shown]
.LBB124_1152:
	s_or_b32 exec_lo, exec_lo, s0
	s_delay_alu instid0(SALU_CYCLE_1)
	s_mov_b32 s0, exec_lo
	s_wait_storecnt_dscnt 0x0
	s_barrier_signal -1
	s_barrier_wait -1
	v_cmpx_lt_i32_e32 54, v140
	s_cbranch_execz .LBB124_1154
; %bb.1153:
	v_pk_mul_f32 v[134:135], v[132:133], v[10:11] op_sel:[1,1] op_sel_hi:[0,1]
	s_delay_alu instid0(VALU_DEP_1)
	v_pk_fma_f32 v[142:143], v[132:133], v[10:11], v[134:135] op_sel_hi:[1,0,1] neg_lo:[0,0,1] neg_hi:[0,0,1]
	v_pk_fma_f32 v[144:145], v[132:133], v[10:11], v[134:135] op_sel_hi:[1,0,1]
	ds_load_2addr_b64 v[132:135], v136 offset0:55 offset1:56
	v_dual_mov_b32 v10, v142 :: v_dual_mov_b32 v11, v145
	s_wait_dscnt 0x0
	v_pk_mul_f32 v[146:147], v[132:133], v[144:145] op_sel:[0,1]
	s_delay_alu instid0(VALU_DEP_1) | instskip(SKIP_1) | instid1(VALU_DEP_1)
	v_pk_fma_f32 v[148:149], v[132:133], v[142:143], v[146:147] op_sel:[0,0,1] op_sel_hi:[1,1,0] neg_lo:[0,0,1] neg_hi:[0,0,1]
	v_pk_fma_f32 v[132:133], v[132:133], v[142:143], v[146:147] op_sel:[0,0,1] op_sel_hi:[1,0,0]
	v_mov_b32_e32 v149, v133
	v_pk_mul_f32 v[132:133], v[134:135], v[144:145] op_sel:[0,1]
	s_delay_alu instid0(VALU_DEP_1) | instskip(SKIP_1) | instid1(VALU_DEP_1)
	v_pk_fma_f32 v[146:147], v[134:135], v[142:143], v[132:133] op_sel:[0,0,1] op_sel_hi:[1,1,0] neg_lo:[0,0,1] neg_hi:[0,0,1]
	v_pk_fma_f32 v[132:133], v[134:135], v[142:143], v[132:133] op_sel:[0,0,1] op_sel_hi:[1,0,0]
	v_mov_b32_e32 v147, v133
	ds_load_2addr_b64 v[132:135], v136 offset0:57 offset1:58
	v_pk_add_f32 v[8:9], v[8:9], v[148:149] neg_lo:[0,1] neg_hi:[0,1]
	v_pk_add_f32 v[34:35], v[34:35], v[146:147] neg_lo:[0,1] neg_hi:[0,1]
	s_wait_dscnt 0x0
	v_pk_mul_f32 v[146:147], v[132:133], v[144:145] op_sel:[0,1]
	s_delay_alu instid0(VALU_DEP_1) | instskip(SKIP_2) | instid1(VALU_DEP_2)
	v_pk_fma_f32 v[148:149], v[132:133], v[142:143], v[146:147] op_sel:[0,0,1] op_sel_hi:[1,1,0] neg_lo:[0,0,1] neg_hi:[0,0,1]
	v_pk_fma_f32 v[132:133], v[132:133], v[142:143], v[146:147] op_sel:[0,0,1] op_sel_hi:[1,0,0]
	v_dual_mul_f32 v146, v135, v145 :: v_dual_mov_b32 v132, v135
	v_dual_mov_b32 v149, v133 :: v_dual_mov_b32 v133, v134
	s_delay_alu instid0(VALU_DEP_2) | instskip(SKIP_1) | instid1(VALU_DEP_3)
	v_pk_fma_f32 v[146:147], v[134:135], v[10:11], v[146:147] op_sel_hi:[1,1,0] neg_lo:[0,0,1] neg_hi:[0,0,1]
	v_mul_f32_e32 v134, v135, v142
	v_pk_add_f32 v[30:31], v[30:31], v[148:149] neg_lo:[0,1] neg_hi:[0,1]
	s_delay_alu instid0(VALU_DEP_2) | instskip(NEXT) | instid1(VALU_DEP_1)
	v_pk_fma_f32 v[132:133], v[132:133], v[10:11], v[134:135] op_sel_hi:[1,1,0]
	v_mov_b32_e32 v147, v133
	ds_load_2addr_b64 v[132:135], v136 offset0:59 offset1:60
	v_pk_add_f32 v[6:7], v[6:7], v[146:147] neg_lo:[0,1] neg_hi:[0,1]
	s_wait_dscnt 0x0
	v_pk_mul_f32 v[146:147], v[132:133], v[144:145] op_sel:[0,1]
	s_delay_alu instid0(VALU_DEP_1) | instskip(SKIP_1) | instid1(VALU_DEP_1)
	v_pk_fma_f32 v[148:149], v[132:133], v[142:143], v[146:147] op_sel:[0,0,1] op_sel_hi:[1,1,0] neg_lo:[0,0,1] neg_hi:[0,0,1]
	v_pk_fma_f32 v[132:133], v[132:133], v[142:143], v[146:147] op_sel:[0,0,1] op_sel_hi:[1,0,0]
	v_mov_b32_e32 v149, v133
	v_pk_mul_f32 v[132:133], v[134:135], v[144:145] op_sel:[0,1]
	s_delay_alu instid0(VALU_DEP_1) | instskip(SKIP_1) | instid1(VALU_DEP_1)
	v_pk_fma_f32 v[146:147], v[134:135], v[142:143], v[132:133] op_sel:[0,0,1] op_sel_hi:[1,1,0] neg_lo:[0,0,1] neg_hi:[0,0,1]
	v_pk_fma_f32 v[132:133], v[134:135], v[142:143], v[132:133] op_sel:[0,0,1] op_sel_hi:[1,0,0]
	v_mov_b32_e32 v147, v133
	ds_load_2addr_b64 v[132:135], v136 offset0:61 offset1:62
	v_pk_add_f32 v[26:27], v[26:27], v[148:149] neg_lo:[0,1] neg_hi:[0,1]
	v_pk_add_f32 v[14:15], v[14:15], v[146:147] neg_lo:[0,1] neg_hi:[0,1]
	s_wait_dscnt 0x0
	v_pk_mul_f32 v[146:147], v[132:133], v[144:145] op_sel:[0,1]
	s_delay_alu instid0(VALU_DEP_1) | instskip(SKIP_1) | instid1(VALU_DEP_1)
	v_pk_fma_f32 v[148:149], v[132:133], v[142:143], v[146:147] op_sel:[0,0,1] op_sel_hi:[1,1,0] neg_lo:[0,0,1] neg_hi:[0,0,1]
	v_pk_fma_f32 v[132:133], v[132:133], v[142:143], v[146:147] op_sel:[0,0,1] op_sel_hi:[1,0,0]
	v_mov_b32_e32 v149, v133
	v_pk_mul_f32 v[132:133], v[134:135], v[144:145] op_sel:[0,1]
	s_delay_alu instid0(VALU_DEP_1) | instskip(SKIP_1) | instid1(VALU_DEP_1)
	v_pk_fma_f32 v[144:145], v[134:135], v[142:143], v[132:133] op_sel:[0,0,1] op_sel_hi:[1,1,0] neg_lo:[0,0,1] neg_hi:[0,0,1]
	v_pk_fma_f32 v[132:133], v[134:135], v[142:143], v[132:133] op_sel:[0,0,1] op_sel_hi:[1,0,0]
	v_mov_b32_e32 v145, v133
	v_pk_add_f32 v[12:13], v[12:13], v[148:149] neg_lo:[0,1] neg_hi:[0,1]
	s_delay_alu instid0(VALU_DEP_2)
	v_pk_add_f32 v[130:131], v[130:131], v[144:145] neg_lo:[0,1] neg_hi:[0,1]
.LBB124_1154:
	s_or_b32 exec_lo, exec_lo, s0
	v_lshl_add_u32 v132, v140, 3, v136
	s_barrier_signal -1
	s_barrier_wait -1
	ds_store_b64 v132, v[8:9]
	s_wait_dscnt 0x0
	s_barrier_signal -1
	s_barrier_wait -1
	ds_load_b64 v[132:133], v136 offset:440
	v_mov_b32_e32 v134, 55
	s_cmp_lt_i32 s18, 57
	s_cbranch_scc1 .LBB124_1157
; %bb.1155:
	v_add3_u32 v135, v137, 0, 0x1c0
	v_mov_b32_e32 v134, 55
	s_mov_b32 s0, 56
.LBB124_1156:                           ; =>This Inner Loop Header: Depth=1
	ds_load_b64 v[142:143], v135
	s_wait_dscnt 0x1
	v_cmp_gt_f32_e32 vcc_lo, 0, v132
	v_cndmask_b32_e64 v144, v132, -v132, vcc_lo
	v_cmp_gt_f32_e32 vcc_lo, 0, v133
	v_cndmask_b32_e64 v146, v133, -v133, vcc_lo
	s_wait_dscnt 0x0
	v_cmp_gt_f32_e32 vcc_lo, 0, v142
	v_cndmask_b32_e64 v145, v142, -v142, vcc_lo
	v_cmp_gt_f32_e32 vcc_lo, 0, v143
	v_cndmask_b32_e64 v147, v143, -v143, vcc_lo
	s_delay_alu instid0(VALU_DEP_1) | instskip(NEXT) | instid1(VALU_DEP_1)
	v_pk_add_f32 v[144:145], v[144:145], v[146:147]
	v_cmp_lt_f32_e32 vcc_lo, v144, v145
	v_dual_cndmask_b32 v132, v132, v142 :: v_dual_add_nc_u32 v135, 8, v135
	v_cndmask_b32_e32 v133, v133, v143, vcc_lo
	v_cndmask_b32_e64 v134, v134, s0, vcc_lo
	s_add_co_i32 s0, s0, 1
	s_delay_alu instid0(SALU_CYCLE_1)
	s_cmp_lg_u32 s18, s0
	s_cbranch_scc1 .LBB124_1156
.LBB124_1157:
	s_wait_dscnt 0x0
	v_cmp_eq_f32_e32 vcc_lo, 0, v132
	v_cmp_eq_f32_e64 s0, 0, v133
	s_and_b32 s0, vcc_lo, s0
	s_delay_alu instid0(SALU_CYCLE_1) | instskip(NEXT) | instid1(SALU_CYCLE_1)
	s_and_saveexec_b32 s1, s0
	s_xor_b32 s0, exec_lo, s1
; %bb.1158:
	v_cmp_ne_u32_e32 vcc_lo, 0, v138
	v_cndmask_b32_e32 v138, 56, v138, vcc_lo
; %bb.1159:
	s_and_not1_saveexec_b32 s0, s0
	s_cbranch_execz .LBB124_1165
; %bb.1160:
	v_cmp_ngt_f32_e64 s1, |v132|, |v133|
	s_and_saveexec_b32 s12, s1
	s_delay_alu instid0(SALU_CYCLE_1)
	s_xor_b32 s1, exec_lo, s12
	s_cbranch_execz .LBB124_1162
; %bb.1161:
	v_div_scale_f32 v135, null, v133, v133, v132
	v_div_scale_f32 v143, vcc_lo, v132, v133, v132
	s_delay_alu instid0(VALU_DEP_2) | instskip(SKIP_1) | instid1(TRANS32_DEP_1)
	v_rcp_f32_e32 v141, v135
	v_nop
	v_fma_f32 v142, -v135, v141, 1.0
	s_delay_alu instid0(VALU_DEP_1) | instskip(NEXT) | instid1(VALU_DEP_1)
	v_fmac_f32_e32 v141, v142, v141
	v_mul_f32_e32 v142, v143, v141
	s_delay_alu instid0(VALU_DEP_1) | instskip(NEXT) | instid1(VALU_DEP_1)
	v_fma_f32 v144, -v135, v142, v143
	v_fmac_f32_e32 v142, v144, v141
	s_delay_alu instid0(VALU_DEP_1) | instskip(NEXT) | instid1(VALU_DEP_1)
	v_fma_f32 v135, -v135, v142, v143
	v_div_fmas_f32 v135, v135, v141, v142
	s_delay_alu instid0(VALU_DEP_1) | instskip(NEXT) | instid1(VALU_DEP_1)
	v_div_fixup_f32 v135, v135, v133, v132
	v_fmac_f32_e32 v133, v132, v135
	s_delay_alu instid0(VALU_DEP_1) | instskip(SKIP_1) | instid1(VALU_DEP_2)
	v_div_scale_f32 v132, null, v133, v133, 1.0
	v_div_scale_f32 v143, vcc_lo, 1.0, v133, 1.0
	v_rcp_f32_e32 v141, v132
	v_nop
	s_delay_alu instid0(TRANS32_DEP_1) | instskip(NEXT) | instid1(VALU_DEP_1)
	v_fma_f32 v142, -v132, v141, 1.0
	v_fmac_f32_e32 v141, v142, v141
	s_delay_alu instid0(VALU_DEP_1) | instskip(NEXT) | instid1(VALU_DEP_1)
	v_mul_f32_e32 v142, v143, v141
	v_fma_f32 v144, -v132, v142, v143
	s_delay_alu instid0(VALU_DEP_1) | instskip(NEXT) | instid1(VALU_DEP_1)
	v_fmac_f32_e32 v142, v144, v141
	v_fma_f32 v132, -v132, v142, v143
	s_delay_alu instid0(VALU_DEP_1) | instskip(NEXT) | instid1(VALU_DEP_1)
	v_div_fmas_f32 v132, v132, v141, v142
	v_div_fixup_f32 v133, v132, v133, 1.0
	s_delay_alu instid0(VALU_DEP_1)
	v_mul_f32_e32 v132, v135, v133
	v_xor_b32_e32 v133, 0x80000000, v133
.LBB124_1162:
	s_and_not1_saveexec_b32 s1, s1
	s_cbranch_execz .LBB124_1164
; %bb.1163:
	s_delay_alu instid0(VALU_DEP_1) | instskip(SKIP_1) | instid1(VALU_DEP_2)
	v_div_scale_f32 v135, null, v132, v132, v133
	v_div_scale_f32 v143, vcc_lo, v133, v132, v133
	v_rcp_f32_e32 v141, v135
	v_nop
	s_delay_alu instid0(TRANS32_DEP_1) | instskip(NEXT) | instid1(VALU_DEP_1)
	v_fma_f32 v142, -v135, v141, 1.0
	v_fmac_f32_e32 v141, v142, v141
	s_delay_alu instid0(VALU_DEP_1) | instskip(NEXT) | instid1(VALU_DEP_1)
	v_mul_f32_e32 v142, v143, v141
	v_fma_f32 v144, -v135, v142, v143
	s_delay_alu instid0(VALU_DEP_1) | instskip(NEXT) | instid1(VALU_DEP_1)
	v_fmac_f32_e32 v142, v144, v141
	v_fma_f32 v135, -v135, v142, v143
	s_delay_alu instid0(VALU_DEP_1) | instskip(NEXT) | instid1(VALU_DEP_1)
	v_div_fmas_f32 v135, v135, v141, v142
	v_div_fixup_f32 v135, v135, v132, v133
	s_delay_alu instid0(VALU_DEP_1) | instskip(NEXT) | instid1(VALU_DEP_1)
	v_fmac_f32_e32 v132, v133, v135
	v_div_scale_f32 v133, null, v132, v132, 1.0
	s_delay_alu instid0(VALU_DEP_1) | instskip(SKIP_1) | instid1(TRANS32_DEP_1)
	v_rcp_f32_e32 v141, v133
	v_nop
	v_fma_f32 v142, -v133, v141, 1.0
	s_delay_alu instid0(VALU_DEP_1) | instskip(SKIP_1) | instid1(VALU_DEP_1)
	v_fmac_f32_e32 v141, v142, v141
	v_div_scale_f32 v142, vcc_lo, 1.0, v132, 1.0
	v_mul_f32_e32 v143, v142, v141
	s_delay_alu instid0(VALU_DEP_1) | instskip(NEXT) | instid1(VALU_DEP_1)
	v_fma_f32 v144, -v133, v143, v142
	v_fmac_f32_e32 v143, v144, v141
	s_delay_alu instid0(VALU_DEP_1) | instskip(NEXT) | instid1(VALU_DEP_1)
	v_fma_f32 v133, -v133, v143, v142
	v_div_fmas_f32 v133, v133, v141, v143
	s_delay_alu instid0(VALU_DEP_1) | instskip(NEXT) | instid1(VALU_DEP_1)
	v_div_fixup_f32 v132, v133, v132, 1.0
	v_mul_f32_e64 v133, v135, -v132
.LBB124_1164:
	s_or_b32 exec_lo, exec_lo, s1
.LBB124_1165:
	s_delay_alu instid0(SALU_CYCLE_1) | instskip(NEXT) | instid1(SALU_CYCLE_1)
	s_or_b32 exec_lo, exec_lo, s0
	s_mov_b32 s0, exec_lo
	v_cmpx_ne_u32_e64 v140, v134
	s_xor_b32 s0, exec_lo, s0
	s_cbranch_execz .LBB124_1171
; %bb.1166:
	s_mov_b32 s1, exec_lo
	v_cmpx_eq_u32_e32 55, v140
	s_cbranch_execz .LBB124_1170
; %bb.1167:
	v_cmp_ne_u32_e32 vcc_lo, 55, v134
	s_xor_b32 s12, s16, -1
	s_delay_alu instid0(SALU_CYCLE_1) | instskip(NEXT) | instid1(SALU_CYCLE_1)
	s_and_b32 s13, s12, vcc_lo
	s_and_saveexec_b32 s12, s13
	s_cbranch_execz .LBB124_1169
; %bb.1168:
	v_ashrrev_i32_e32 v135, 31, v134
	s_delay_alu instid0(VALU_DEP_1)
	v_lshl_add_u64 v[140:141], v[134:135], 2, v[4:5]
	s_clause 0x1
	global_load_b32 v135, v[140:141], off
	global_load_b32 v139, v[4:5], off offset:220
	s_wait_loadcnt 0x1
	global_store_b32 v[4:5], v135, off offset:220
	s_wait_loadcnt 0x0
	global_store_b32 v[140:141], v139, off
.LBB124_1169:
	s_wait_xcnt 0x0
	s_or_b32 exec_lo, exec_lo, s12
	v_dual_mov_b32 v140, v134 :: v_dual_mov_b32 v139, v134
.LBB124_1170:
	s_or_b32 exec_lo, exec_lo, s1
.LBB124_1171:
	s_and_not1_saveexec_b32 s0, s0
	s_cbranch_execz .LBB124_1173
; %bb.1172:
	v_dual_mov_b32 v134, v34 :: v_dual_mov_b32 v135, v35
	v_dual_mov_b32 v142, v30 :: v_dual_mov_b32 v143, v31
	;; [unrolled: 1-line block ×6, first 2 shown]
	v_mov_b32_e32 v151, v13
	ds_store_2addr_b64 v136, v[134:135], v[142:143] offset0:56 offset1:57
	ds_store_2addr_b64 v136, v[144:145], v[146:147] offset0:58 offset1:59
	;; [unrolled: 1-line block ×3, first 2 shown]
	ds_store_b64 v136, v[130:131] offset:496
.LBB124_1173:
	s_or_b32 exec_lo, exec_lo, s0
	s_delay_alu instid0(SALU_CYCLE_1)
	s_mov_b32 s0, exec_lo
	s_wait_storecnt_dscnt 0x0
	s_barrier_signal -1
	s_barrier_wait -1
	v_cmpx_lt_i32_e32 55, v140
	s_cbranch_execz .LBB124_1175
; %bb.1174:
	v_pk_mul_f32 v[134:135], v[132:133], v[8:9] op_sel:[1,1] op_sel_hi:[0,1]
	s_delay_alu instid0(VALU_DEP_1)
	v_pk_fma_f32 v[142:143], v[132:133], v[8:9], v[134:135] op_sel_hi:[1,0,1] neg_lo:[0,0,1] neg_hi:[0,0,1]
	v_pk_fma_f32 v[144:145], v[132:133], v[8:9], v[134:135] op_sel_hi:[1,0,1]
	ds_load_2addr_b64 v[132:135], v136 offset0:56 offset1:57
	v_dual_mov_b32 v8, v142 :: v_dual_mov_b32 v9, v145
	s_wait_dscnt 0x0
	v_pk_mul_f32 v[146:147], v[132:133], v[144:145] op_sel:[0,1]
	s_delay_alu instid0(VALU_DEP_1) | instskip(SKIP_1) | instid1(VALU_DEP_1)
	v_pk_fma_f32 v[148:149], v[132:133], v[142:143], v[146:147] op_sel:[0,0,1] op_sel_hi:[1,1,0] neg_lo:[0,0,1] neg_hi:[0,0,1]
	v_pk_fma_f32 v[132:133], v[132:133], v[142:143], v[146:147] op_sel:[0,0,1] op_sel_hi:[1,0,0]
	v_mov_b32_e32 v149, v133
	v_pk_mul_f32 v[132:133], v[134:135], v[144:145] op_sel:[0,1]
	s_delay_alu instid0(VALU_DEP_1) | instskip(SKIP_1) | instid1(VALU_DEP_1)
	v_pk_fma_f32 v[146:147], v[134:135], v[142:143], v[132:133] op_sel:[0,0,1] op_sel_hi:[1,1,0] neg_lo:[0,0,1] neg_hi:[0,0,1]
	v_pk_fma_f32 v[132:133], v[134:135], v[142:143], v[132:133] op_sel:[0,0,1] op_sel_hi:[1,0,0]
	v_mov_b32_e32 v147, v133
	ds_load_2addr_b64 v[132:135], v136 offset0:58 offset1:59
	v_pk_add_f32 v[34:35], v[34:35], v[148:149] neg_lo:[0,1] neg_hi:[0,1]
	v_pk_add_f32 v[30:31], v[30:31], v[146:147] neg_lo:[0,1] neg_hi:[0,1]
	s_wait_dscnt 0x0
	v_pk_mul_f32 v[146:147], v[132:133], v[144:145] op_sel:[0,1]
	s_delay_alu instid0(VALU_DEP_1) | instskip(SKIP_2) | instid1(VALU_DEP_2)
	v_pk_fma_f32 v[148:149], v[132:133], v[142:143], v[146:147] op_sel:[0,0,1] op_sel_hi:[1,1,0] neg_lo:[0,0,1] neg_hi:[0,0,1]
	v_pk_fma_f32 v[132:133], v[132:133], v[142:143], v[146:147] op_sel:[0,0,1] op_sel_hi:[1,0,0]
	v_dual_mul_f32 v146, v135, v145 :: v_dual_mov_b32 v132, v135
	v_dual_mov_b32 v149, v133 :: v_dual_mov_b32 v133, v134
	s_delay_alu instid0(VALU_DEP_2) | instskip(SKIP_1) | instid1(VALU_DEP_3)
	v_pk_fma_f32 v[146:147], v[134:135], v[8:9], v[146:147] op_sel_hi:[1,1,0] neg_lo:[0,0,1] neg_hi:[0,0,1]
	v_mul_f32_e32 v134, v135, v142
	v_pk_add_f32 v[6:7], v[6:7], v[148:149] neg_lo:[0,1] neg_hi:[0,1]
	s_delay_alu instid0(VALU_DEP_2) | instskip(NEXT) | instid1(VALU_DEP_1)
	v_pk_fma_f32 v[132:133], v[132:133], v[8:9], v[134:135] op_sel_hi:[1,1,0]
	v_mov_b32_e32 v147, v133
	ds_load_2addr_b64 v[132:135], v136 offset0:60 offset1:61
	v_pk_add_f32 v[26:27], v[26:27], v[146:147] neg_lo:[0,1] neg_hi:[0,1]
	s_wait_dscnt 0x0
	v_pk_mul_f32 v[146:147], v[132:133], v[144:145] op_sel:[0,1]
	s_delay_alu instid0(VALU_DEP_1) | instskip(SKIP_1) | instid1(VALU_DEP_1)
	v_pk_fma_f32 v[148:149], v[132:133], v[142:143], v[146:147] op_sel:[0,0,1] op_sel_hi:[1,1,0] neg_lo:[0,0,1] neg_hi:[0,0,1]
	v_pk_fma_f32 v[132:133], v[132:133], v[142:143], v[146:147] op_sel:[0,0,1] op_sel_hi:[1,0,0]
	v_mov_b32_e32 v149, v133
	v_pk_mul_f32 v[132:133], v[134:135], v[144:145] op_sel:[0,1]
	s_delay_alu instid0(VALU_DEP_1) | instskip(SKIP_1) | instid1(VALU_DEP_1)
	v_pk_fma_f32 v[146:147], v[134:135], v[142:143], v[132:133] op_sel:[0,0,1] op_sel_hi:[1,1,0] neg_lo:[0,0,1] neg_hi:[0,0,1]
	v_pk_fma_f32 v[132:133], v[134:135], v[142:143], v[132:133] op_sel:[0,0,1] op_sel_hi:[1,0,0]
	v_mov_b32_e32 v147, v133
	ds_load_b64 v[132:133], v136 offset:496
	v_pk_add_f32 v[14:15], v[14:15], v[148:149] neg_lo:[0,1] neg_hi:[0,1]
	v_pk_add_f32 v[12:13], v[12:13], v[146:147] neg_lo:[0,1] neg_hi:[0,1]
	s_wait_dscnt 0x0
	v_pk_mul_f32 v[134:135], v[132:133], v[144:145] op_sel:[0,1]
	s_delay_alu instid0(VALU_DEP_1) | instskip(SKIP_1) | instid1(VALU_DEP_1)
	v_pk_fma_f32 v[144:145], v[132:133], v[142:143], v[134:135] op_sel:[0,0,1] op_sel_hi:[1,1,0] neg_lo:[0,0,1] neg_hi:[0,0,1]
	v_pk_fma_f32 v[132:133], v[132:133], v[142:143], v[134:135] op_sel:[0,0,1] op_sel_hi:[1,0,0]
	v_mov_b32_e32 v145, v133
	s_delay_alu instid0(VALU_DEP_1)
	v_pk_add_f32 v[130:131], v[130:131], v[144:145] neg_lo:[0,1] neg_hi:[0,1]
.LBB124_1175:
	s_or_b32 exec_lo, exec_lo, s0
	v_lshl_add_u32 v132, v140, 3, v136
	s_barrier_signal -1
	s_barrier_wait -1
	ds_store_b64 v132, v[34:35]
	s_wait_dscnt 0x0
	s_barrier_signal -1
	s_barrier_wait -1
	ds_load_b64 v[132:133], v136 offset:448
	v_mov_b32_e32 v134, 56
	s_cmp_lt_i32 s18, 58
	s_cbranch_scc1 .LBB124_1178
; %bb.1176:
	v_add3_u32 v135, v137, 0, 0x1c8
	v_mov_b32_e32 v134, 56
	s_mov_b32 s0, 57
.LBB124_1177:                           ; =>This Inner Loop Header: Depth=1
	ds_load_b64 v[142:143], v135
	s_wait_dscnt 0x1
	v_cmp_gt_f32_e32 vcc_lo, 0, v132
	v_cndmask_b32_e64 v144, v132, -v132, vcc_lo
	v_cmp_gt_f32_e32 vcc_lo, 0, v133
	v_cndmask_b32_e64 v146, v133, -v133, vcc_lo
	s_wait_dscnt 0x0
	v_cmp_gt_f32_e32 vcc_lo, 0, v142
	v_cndmask_b32_e64 v145, v142, -v142, vcc_lo
	v_cmp_gt_f32_e32 vcc_lo, 0, v143
	v_cndmask_b32_e64 v147, v143, -v143, vcc_lo
	s_delay_alu instid0(VALU_DEP_1) | instskip(NEXT) | instid1(VALU_DEP_1)
	v_pk_add_f32 v[144:145], v[144:145], v[146:147]
	v_cmp_lt_f32_e32 vcc_lo, v144, v145
	v_dual_cndmask_b32 v132, v132, v142 :: v_dual_add_nc_u32 v135, 8, v135
	v_cndmask_b32_e32 v133, v133, v143, vcc_lo
	v_cndmask_b32_e64 v134, v134, s0, vcc_lo
	s_add_co_i32 s0, s0, 1
	s_delay_alu instid0(SALU_CYCLE_1)
	s_cmp_lg_u32 s18, s0
	s_cbranch_scc1 .LBB124_1177
.LBB124_1178:
	s_wait_dscnt 0x0
	v_cmp_eq_f32_e32 vcc_lo, 0, v132
	v_cmp_eq_f32_e64 s0, 0, v133
	s_and_b32 s0, vcc_lo, s0
	s_delay_alu instid0(SALU_CYCLE_1) | instskip(NEXT) | instid1(SALU_CYCLE_1)
	s_and_saveexec_b32 s1, s0
	s_xor_b32 s0, exec_lo, s1
; %bb.1179:
	v_cmp_ne_u32_e32 vcc_lo, 0, v138
	v_cndmask_b32_e32 v138, 57, v138, vcc_lo
; %bb.1180:
	s_and_not1_saveexec_b32 s0, s0
	s_cbranch_execz .LBB124_1186
; %bb.1181:
	v_cmp_ngt_f32_e64 s1, |v132|, |v133|
	s_and_saveexec_b32 s12, s1
	s_delay_alu instid0(SALU_CYCLE_1)
	s_xor_b32 s1, exec_lo, s12
	s_cbranch_execz .LBB124_1183
; %bb.1182:
	v_div_scale_f32 v135, null, v133, v133, v132
	v_div_scale_f32 v143, vcc_lo, v132, v133, v132
	s_delay_alu instid0(VALU_DEP_2) | instskip(SKIP_1) | instid1(TRANS32_DEP_1)
	v_rcp_f32_e32 v141, v135
	v_nop
	v_fma_f32 v142, -v135, v141, 1.0
	s_delay_alu instid0(VALU_DEP_1) | instskip(NEXT) | instid1(VALU_DEP_1)
	v_fmac_f32_e32 v141, v142, v141
	v_mul_f32_e32 v142, v143, v141
	s_delay_alu instid0(VALU_DEP_1) | instskip(NEXT) | instid1(VALU_DEP_1)
	v_fma_f32 v144, -v135, v142, v143
	v_fmac_f32_e32 v142, v144, v141
	s_delay_alu instid0(VALU_DEP_1) | instskip(NEXT) | instid1(VALU_DEP_1)
	v_fma_f32 v135, -v135, v142, v143
	v_div_fmas_f32 v135, v135, v141, v142
	s_delay_alu instid0(VALU_DEP_1) | instskip(NEXT) | instid1(VALU_DEP_1)
	v_div_fixup_f32 v135, v135, v133, v132
	v_fmac_f32_e32 v133, v132, v135
	s_delay_alu instid0(VALU_DEP_1) | instskip(SKIP_1) | instid1(VALU_DEP_2)
	v_div_scale_f32 v132, null, v133, v133, 1.0
	v_div_scale_f32 v143, vcc_lo, 1.0, v133, 1.0
	v_rcp_f32_e32 v141, v132
	v_nop
	s_delay_alu instid0(TRANS32_DEP_1) | instskip(NEXT) | instid1(VALU_DEP_1)
	v_fma_f32 v142, -v132, v141, 1.0
	v_fmac_f32_e32 v141, v142, v141
	s_delay_alu instid0(VALU_DEP_1) | instskip(NEXT) | instid1(VALU_DEP_1)
	v_mul_f32_e32 v142, v143, v141
	v_fma_f32 v144, -v132, v142, v143
	s_delay_alu instid0(VALU_DEP_1) | instskip(NEXT) | instid1(VALU_DEP_1)
	v_fmac_f32_e32 v142, v144, v141
	v_fma_f32 v132, -v132, v142, v143
	s_delay_alu instid0(VALU_DEP_1) | instskip(NEXT) | instid1(VALU_DEP_1)
	v_div_fmas_f32 v132, v132, v141, v142
	v_div_fixup_f32 v133, v132, v133, 1.0
	s_delay_alu instid0(VALU_DEP_1)
	v_mul_f32_e32 v132, v135, v133
	v_xor_b32_e32 v133, 0x80000000, v133
.LBB124_1183:
	s_and_not1_saveexec_b32 s1, s1
	s_cbranch_execz .LBB124_1185
; %bb.1184:
	s_delay_alu instid0(VALU_DEP_1) | instskip(SKIP_1) | instid1(VALU_DEP_2)
	v_div_scale_f32 v135, null, v132, v132, v133
	v_div_scale_f32 v143, vcc_lo, v133, v132, v133
	v_rcp_f32_e32 v141, v135
	v_nop
	s_delay_alu instid0(TRANS32_DEP_1) | instskip(NEXT) | instid1(VALU_DEP_1)
	v_fma_f32 v142, -v135, v141, 1.0
	v_fmac_f32_e32 v141, v142, v141
	s_delay_alu instid0(VALU_DEP_1) | instskip(NEXT) | instid1(VALU_DEP_1)
	v_mul_f32_e32 v142, v143, v141
	v_fma_f32 v144, -v135, v142, v143
	s_delay_alu instid0(VALU_DEP_1) | instskip(NEXT) | instid1(VALU_DEP_1)
	v_fmac_f32_e32 v142, v144, v141
	v_fma_f32 v135, -v135, v142, v143
	s_delay_alu instid0(VALU_DEP_1) | instskip(NEXT) | instid1(VALU_DEP_1)
	v_div_fmas_f32 v135, v135, v141, v142
	v_div_fixup_f32 v135, v135, v132, v133
	s_delay_alu instid0(VALU_DEP_1) | instskip(NEXT) | instid1(VALU_DEP_1)
	v_fmac_f32_e32 v132, v133, v135
	v_div_scale_f32 v133, null, v132, v132, 1.0
	s_delay_alu instid0(VALU_DEP_1) | instskip(SKIP_1) | instid1(TRANS32_DEP_1)
	v_rcp_f32_e32 v141, v133
	v_nop
	v_fma_f32 v142, -v133, v141, 1.0
	s_delay_alu instid0(VALU_DEP_1) | instskip(SKIP_1) | instid1(VALU_DEP_1)
	v_fmac_f32_e32 v141, v142, v141
	v_div_scale_f32 v142, vcc_lo, 1.0, v132, 1.0
	v_mul_f32_e32 v143, v142, v141
	s_delay_alu instid0(VALU_DEP_1) | instskip(NEXT) | instid1(VALU_DEP_1)
	v_fma_f32 v144, -v133, v143, v142
	v_fmac_f32_e32 v143, v144, v141
	s_delay_alu instid0(VALU_DEP_1) | instskip(NEXT) | instid1(VALU_DEP_1)
	v_fma_f32 v133, -v133, v143, v142
	v_div_fmas_f32 v133, v133, v141, v143
	s_delay_alu instid0(VALU_DEP_1) | instskip(NEXT) | instid1(VALU_DEP_1)
	v_div_fixup_f32 v132, v133, v132, 1.0
	v_mul_f32_e64 v133, v135, -v132
.LBB124_1185:
	s_or_b32 exec_lo, exec_lo, s1
.LBB124_1186:
	s_delay_alu instid0(SALU_CYCLE_1) | instskip(NEXT) | instid1(SALU_CYCLE_1)
	s_or_b32 exec_lo, exec_lo, s0
	s_mov_b32 s0, exec_lo
	v_cmpx_ne_u32_e64 v140, v134
	s_xor_b32 s0, exec_lo, s0
	s_cbranch_execz .LBB124_1192
; %bb.1187:
	s_mov_b32 s1, exec_lo
	v_cmpx_eq_u32_e32 56, v140
	s_cbranch_execz .LBB124_1191
; %bb.1188:
	v_cmp_ne_u32_e32 vcc_lo, 56, v134
	s_xor_b32 s12, s16, -1
	s_delay_alu instid0(SALU_CYCLE_1) | instskip(NEXT) | instid1(SALU_CYCLE_1)
	s_and_b32 s13, s12, vcc_lo
	s_and_saveexec_b32 s12, s13
	s_cbranch_execz .LBB124_1190
; %bb.1189:
	v_ashrrev_i32_e32 v135, 31, v134
	s_delay_alu instid0(VALU_DEP_1)
	v_lshl_add_u64 v[140:141], v[134:135], 2, v[4:5]
	s_clause 0x1
	global_load_b32 v135, v[140:141], off
	global_load_b32 v139, v[4:5], off offset:224
	s_wait_loadcnt 0x1
	global_store_b32 v[4:5], v135, off offset:224
	s_wait_loadcnt 0x0
	global_store_b32 v[140:141], v139, off
.LBB124_1190:
	s_wait_xcnt 0x0
	s_or_b32 exec_lo, exec_lo, s12
	v_dual_mov_b32 v140, v134 :: v_dual_mov_b32 v139, v134
.LBB124_1191:
	s_or_b32 exec_lo, exec_lo, s1
.LBB124_1192:
	s_and_not1_saveexec_b32 s0, s0
	s_cbranch_execz .LBB124_1194
; %bb.1193:
	v_mov_b32_e32 v140, 56
	ds_store_2addr_b64 v136, v[30:31], v[6:7] offset0:57 offset1:58
	ds_store_2addr_b64 v136, v[26:27], v[14:15] offset0:59 offset1:60
	ds_store_2addr_b64 v136, v[12:13], v[130:131] offset0:61 offset1:62
.LBB124_1194:
	s_or_b32 exec_lo, exec_lo, s0
	s_delay_alu instid0(SALU_CYCLE_1)
	s_mov_b32 s0, exec_lo
	s_wait_storecnt_dscnt 0x0
	s_barrier_signal -1
	s_barrier_wait -1
	v_cmpx_lt_i32_e32 56, v140
	s_cbranch_execz .LBB124_1196
; %bb.1195:
	v_pk_mul_f32 v[134:135], v[132:133], v[34:35] op_sel:[1,1] op_sel_hi:[0,1]
	s_delay_alu instid0(VALU_DEP_1)
	v_pk_fma_f32 v[142:143], v[132:133], v[34:35], v[134:135] op_sel_hi:[1,0,1] neg_lo:[0,0,1] neg_hi:[0,0,1]
	v_pk_fma_f32 v[144:145], v[132:133], v[34:35], v[134:135] op_sel_hi:[1,0,1]
	ds_load_2addr_b64 v[132:135], v136 offset0:57 offset1:58
	v_dual_mov_b32 v34, v142 :: v_dual_mov_b32 v35, v145
	s_wait_dscnt 0x0
	v_pk_mul_f32 v[146:147], v[132:133], v[144:145] op_sel:[0,1]
	s_delay_alu instid0(VALU_DEP_1) | instskip(SKIP_1) | instid1(VALU_DEP_1)
	v_pk_fma_f32 v[148:149], v[132:133], v[142:143], v[146:147] op_sel:[0,0,1] op_sel_hi:[1,1,0] neg_lo:[0,0,1] neg_hi:[0,0,1]
	v_pk_fma_f32 v[132:133], v[132:133], v[142:143], v[146:147] op_sel:[0,0,1] op_sel_hi:[1,0,0]
	v_mov_b32_e32 v149, v133
	v_pk_mul_f32 v[132:133], v[134:135], v[144:145] op_sel:[0,1]
	s_delay_alu instid0(VALU_DEP_1) | instskip(SKIP_1) | instid1(VALU_DEP_1)
	v_pk_fma_f32 v[146:147], v[134:135], v[142:143], v[132:133] op_sel:[0,0,1] op_sel_hi:[1,1,0] neg_lo:[0,0,1] neg_hi:[0,0,1]
	v_pk_fma_f32 v[132:133], v[134:135], v[142:143], v[132:133] op_sel:[0,0,1] op_sel_hi:[1,0,0]
	v_mov_b32_e32 v147, v133
	ds_load_2addr_b64 v[132:135], v136 offset0:59 offset1:60
	v_pk_add_f32 v[30:31], v[30:31], v[148:149] neg_lo:[0,1] neg_hi:[0,1]
	v_pk_add_f32 v[6:7], v[6:7], v[146:147] neg_lo:[0,1] neg_hi:[0,1]
	s_wait_dscnt 0x0
	v_pk_mul_f32 v[146:147], v[132:133], v[144:145] op_sel:[0,1]
	s_delay_alu instid0(VALU_DEP_1) | instskip(SKIP_2) | instid1(VALU_DEP_2)
	v_pk_fma_f32 v[148:149], v[132:133], v[142:143], v[146:147] op_sel:[0,0,1] op_sel_hi:[1,1,0] neg_lo:[0,0,1] neg_hi:[0,0,1]
	v_pk_fma_f32 v[132:133], v[132:133], v[142:143], v[146:147] op_sel:[0,0,1] op_sel_hi:[1,0,0]
	v_dual_mul_f32 v146, v135, v145 :: v_dual_mov_b32 v132, v135
	v_dual_mov_b32 v149, v133 :: v_dual_mov_b32 v133, v134
	s_delay_alu instid0(VALU_DEP_2) | instskip(SKIP_1) | instid1(VALU_DEP_3)
	v_pk_fma_f32 v[146:147], v[134:135], v[34:35], v[146:147] op_sel_hi:[1,1,0] neg_lo:[0,0,1] neg_hi:[0,0,1]
	v_mul_f32_e32 v134, v135, v142
	v_pk_add_f32 v[26:27], v[26:27], v[148:149] neg_lo:[0,1] neg_hi:[0,1]
	s_delay_alu instid0(VALU_DEP_2) | instskip(NEXT) | instid1(VALU_DEP_1)
	v_pk_fma_f32 v[132:133], v[132:133], v[34:35], v[134:135] op_sel_hi:[1,1,0]
	v_mov_b32_e32 v147, v133
	ds_load_2addr_b64 v[132:135], v136 offset0:61 offset1:62
	v_pk_add_f32 v[14:15], v[14:15], v[146:147] neg_lo:[0,1] neg_hi:[0,1]
	s_wait_dscnt 0x0
	v_pk_mul_f32 v[146:147], v[132:133], v[144:145] op_sel:[0,1]
	v_mul_f32_e32 v144, v135, v145
	s_delay_alu instid0(VALU_DEP_2) | instskip(SKIP_2) | instid1(VALU_DEP_4)
	v_pk_fma_f32 v[148:149], v[132:133], v[142:143], v[146:147] op_sel:[0,0,1] op_sel_hi:[1,1,0] neg_lo:[0,0,1] neg_hi:[0,0,1]
	v_pk_fma_f32 v[132:133], v[132:133], v[142:143], v[146:147] op_sel:[0,0,1] op_sel_hi:[1,0,0]
	v_mov_b32_e32 v132, v135
	v_pk_fma_f32 v[144:145], v[134:135], v[34:35], v[144:145] op_sel_hi:[1,1,0] neg_lo:[0,0,1] neg_hi:[0,0,1]
	s_delay_alu instid0(VALU_DEP_3) | instskip(SKIP_1) | instid1(VALU_DEP_2)
	v_dual_mov_b32 v149, v133 :: v_dual_mov_b32 v133, v134
	v_mul_f32_e32 v134, v135, v142
	v_pk_add_f32 v[12:13], v[12:13], v[148:149] neg_lo:[0,1] neg_hi:[0,1]
	s_delay_alu instid0(VALU_DEP_2) | instskip(NEXT) | instid1(VALU_DEP_1)
	v_pk_fma_f32 v[132:133], v[132:133], v[34:35], v[134:135] op_sel_hi:[1,1,0]
	v_mov_b32_e32 v145, v133
	s_delay_alu instid0(VALU_DEP_1)
	v_pk_add_f32 v[130:131], v[130:131], v[144:145] neg_lo:[0,1] neg_hi:[0,1]
.LBB124_1196:
	s_or_b32 exec_lo, exec_lo, s0
	v_lshl_add_u32 v132, v140, 3, v136
	s_barrier_signal -1
	s_barrier_wait -1
	ds_store_b64 v132, v[30:31]
	s_wait_dscnt 0x0
	s_barrier_signal -1
	s_barrier_wait -1
	ds_load_b64 v[132:133], v136 offset:456
	v_mov_b32_e32 v134, 57
	s_cmp_lt_i32 s18, 59
	s_cbranch_scc1 .LBB124_1199
; %bb.1197:
	v_add3_u32 v135, v137, 0, 0x1d0
	v_mov_b32_e32 v134, 57
	s_mov_b32 s0, 58
.LBB124_1198:                           ; =>This Inner Loop Header: Depth=1
	ds_load_b64 v[142:143], v135
	s_wait_dscnt 0x1
	v_cmp_gt_f32_e32 vcc_lo, 0, v132
	v_cndmask_b32_e64 v144, v132, -v132, vcc_lo
	v_cmp_gt_f32_e32 vcc_lo, 0, v133
	v_cndmask_b32_e64 v146, v133, -v133, vcc_lo
	s_wait_dscnt 0x0
	v_cmp_gt_f32_e32 vcc_lo, 0, v142
	v_cndmask_b32_e64 v145, v142, -v142, vcc_lo
	v_cmp_gt_f32_e32 vcc_lo, 0, v143
	v_cndmask_b32_e64 v147, v143, -v143, vcc_lo
	s_delay_alu instid0(VALU_DEP_1) | instskip(NEXT) | instid1(VALU_DEP_1)
	v_pk_add_f32 v[144:145], v[144:145], v[146:147]
	v_cmp_lt_f32_e32 vcc_lo, v144, v145
	v_dual_cndmask_b32 v132, v132, v142 :: v_dual_add_nc_u32 v135, 8, v135
	v_cndmask_b32_e32 v133, v133, v143, vcc_lo
	v_cndmask_b32_e64 v134, v134, s0, vcc_lo
	s_add_co_i32 s0, s0, 1
	s_delay_alu instid0(SALU_CYCLE_1)
	s_cmp_lg_u32 s18, s0
	s_cbranch_scc1 .LBB124_1198
.LBB124_1199:
	s_wait_dscnt 0x0
	v_cmp_eq_f32_e32 vcc_lo, 0, v132
	v_cmp_eq_f32_e64 s0, 0, v133
	s_and_b32 s0, vcc_lo, s0
	s_delay_alu instid0(SALU_CYCLE_1) | instskip(NEXT) | instid1(SALU_CYCLE_1)
	s_and_saveexec_b32 s1, s0
	s_xor_b32 s0, exec_lo, s1
; %bb.1200:
	v_cmp_ne_u32_e32 vcc_lo, 0, v138
	v_cndmask_b32_e32 v138, 58, v138, vcc_lo
; %bb.1201:
	s_and_not1_saveexec_b32 s0, s0
	s_cbranch_execz .LBB124_1207
; %bb.1202:
	v_cmp_ngt_f32_e64 s1, |v132|, |v133|
	s_and_saveexec_b32 s12, s1
	s_delay_alu instid0(SALU_CYCLE_1)
	s_xor_b32 s1, exec_lo, s12
	s_cbranch_execz .LBB124_1204
; %bb.1203:
	v_div_scale_f32 v135, null, v133, v133, v132
	v_div_scale_f32 v143, vcc_lo, v132, v133, v132
	s_delay_alu instid0(VALU_DEP_2) | instskip(SKIP_1) | instid1(TRANS32_DEP_1)
	v_rcp_f32_e32 v141, v135
	v_nop
	v_fma_f32 v142, -v135, v141, 1.0
	s_delay_alu instid0(VALU_DEP_1) | instskip(NEXT) | instid1(VALU_DEP_1)
	v_fmac_f32_e32 v141, v142, v141
	v_mul_f32_e32 v142, v143, v141
	s_delay_alu instid0(VALU_DEP_1) | instskip(NEXT) | instid1(VALU_DEP_1)
	v_fma_f32 v144, -v135, v142, v143
	v_fmac_f32_e32 v142, v144, v141
	s_delay_alu instid0(VALU_DEP_1) | instskip(NEXT) | instid1(VALU_DEP_1)
	v_fma_f32 v135, -v135, v142, v143
	v_div_fmas_f32 v135, v135, v141, v142
	s_delay_alu instid0(VALU_DEP_1) | instskip(NEXT) | instid1(VALU_DEP_1)
	v_div_fixup_f32 v135, v135, v133, v132
	v_fmac_f32_e32 v133, v132, v135
	s_delay_alu instid0(VALU_DEP_1) | instskip(SKIP_1) | instid1(VALU_DEP_2)
	v_div_scale_f32 v132, null, v133, v133, 1.0
	v_div_scale_f32 v143, vcc_lo, 1.0, v133, 1.0
	v_rcp_f32_e32 v141, v132
	v_nop
	s_delay_alu instid0(TRANS32_DEP_1) | instskip(NEXT) | instid1(VALU_DEP_1)
	v_fma_f32 v142, -v132, v141, 1.0
	v_fmac_f32_e32 v141, v142, v141
	s_delay_alu instid0(VALU_DEP_1) | instskip(NEXT) | instid1(VALU_DEP_1)
	v_mul_f32_e32 v142, v143, v141
	v_fma_f32 v144, -v132, v142, v143
	s_delay_alu instid0(VALU_DEP_1) | instskip(NEXT) | instid1(VALU_DEP_1)
	v_fmac_f32_e32 v142, v144, v141
	v_fma_f32 v132, -v132, v142, v143
	s_delay_alu instid0(VALU_DEP_1) | instskip(NEXT) | instid1(VALU_DEP_1)
	v_div_fmas_f32 v132, v132, v141, v142
	v_div_fixup_f32 v133, v132, v133, 1.0
	s_delay_alu instid0(VALU_DEP_1)
	v_mul_f32_e32 v132, v135, v133
	v_xor_b32_e32 v133, 0x80000000, v133
.LBB124_1204:
	s_and_not1_saveexec_b32 s1, s1
	s_cbranch_execz .LBB124_1206
; %bb.1205:
	s_delay_alu instid0(VALU_DEP_1) | instskip(SKIP_1) | instid1(VALU_DEP_2)
	v_div_scale_f32 v135, null, v132, v132, v133
	v_div_scale_f32 v143, vcc_lo, v133, v132, v133
	v_rcp_f32_e32 v141, v135
	v_nop
	s_delay_alu instid0(TRANS32_DEP_1) | instskip(NEXT) | instid1(VALU_DEP_1)
	v_fma_f32 v142, -v135, v141, 1.0
	v_fmac_f32_e32 v141, v142, v141
	s_delay_alu instid0(VALU_DEP_1) | instskip(NEXT) | instid1(VALU_DEP_1)
	v_mul_f32_e32 v142, v143, v141
	v_fma_f32 v144, -v135, v142, v143
	s_delay_alu instid0(VALU_DEP_1) | instskip(NEXT) | instid1(VALU_DEP_1)
	v_fmac_f32_e32 v142, v144, v141
	v_fma_f32 v135, -v135, v142, v143
	s_delay_alu instid0(VALU_DEP_1) | instskip(NEXT) | instid1(VALU_DEP_1)
	v_div_fmas_f32 v135, v135, v141, v142
	v_div_fixup_f32 v135, v135, v132, v133
	s_delay_alu instid0(VALU_DEP_1) | instskip(NEXT) | instid1(VALU_DEP_1)
	v_fmac_f32_e32 v132, v133, v135
	v_div_scale_f32 v133, null, v132, v132, 1.0
	s_delay_alu instid0(VALU_DEP_1) | instskip(SKIP_1) | instid1(TRANS32_DEP_1)
	v_rcp_f32_e32 v141, v133
	v_nop
	v_fma_f32 v142, -v133, v141, 1.0
	s_delay_alu instid0(VALU_DEP_1) | instskip(SKIP_1) | instid1(VALU_DEP_1)
	v_fmac_f32_e32 v141, v142, v141
	v_div_scale_f32 v142, vcc_lo, 1.0, v132, 1.0
	v_mul_f32_e32 v143, v142, v141
	s_delay_alu instid0(VALU_DEP_1) | instskip(NEXT) | instid1(VALU_DEP_1)
	v_fma_f32 v144, -v133, v143, v142
	v_fmac_f32_e32 v143, v144, v141
	s_delay_alu instid0(VALU_DEP_1) | instskip(NEXT) | instid1(VALU_DEP_1)
	v_fma_f32 v133, -v133, v143, v142
	v_div_fmas_f32 v133, v133, v141, v143
	s_delay_alu instid0(VALU_DEP_1) | instskip(NEXT) | instid1(VALU_DEP_1)
	v_div_fixup_f32 v132, v133, v132, 1.0
	v_mul_f32_e64 v133, v135, -v132
.LBB124_1206:
	s_or_b32 exec_lo, exec_lo, s1
.LBB124_1207:
	s_delay_alu instid0(SALU_CYCLE_1) | instskip(NEXT) | instid1(SALU_CYCLE_1)
	s_or_b32 exec_lo, exec_lo, s0
	s_mov_b32 s0, exec_lo
	v_cmpx_ne_u32_e64 v140, v134
	s_xor_b32 s0, exec_lo, s0
	s_cbranch_execz .LBB124_1213
; %bb.1208:
	s_mov_b32 s1, exec_lo
	v_cmpx_eq_u32_e32 57, v140
	s_cbranch_execz .LBB124_1212
; %bb.1209:
	v_cmp_ne_u32_e32 vcc_lo, 57, v134
	s_xor_b32 s12, s16, -1
	s_delay_alu instid0(SALU_CYCLE_1) | instskip(NEXT) | instid1(SALU_CYCLE_1)
	s_and_b32 s13, s12, vcc_lo
	s_and_saveexec_b32 s12, s13
	s_cbranch_execz .LBB124_1211
; %bb.1210:
	v_ashrrev_i32_e32 v135, 31, v134
	s_delay_alu instid0(VALU_DEP_1)
	v_lshl_add_u64 v[140:141], v[134:135], 2, v[4:5]
	s_clause 0x1
	global_load_b32 v135, v[140:141], off
	global_load_b32 v139, v[4:5], off offset:228
	s_wait_loadcnt 0x1
	global_store_b32 v[4:5], v135, off offset:228
	s_wait_loadcnt 0x0
	global_store_b32 v[140:141], v139, off
.LBB124_1211:
	s_wait_xcnt 0x0
	s_or_b32 exec_lo, exec_lo, s12
	v_dual_mov_b32 v140, v134 :: v_dual_mov_b32 v139, v134
.LBB124_1212:
	s_or_b32 exec_lo, exec_lo, s1
.LBB124_1213:
	s_and_not1_saveexec_b32 s0, s0
	s_cbranch_execz .LBB124_1215
; %bb.1214:
	v_dual_mov_b32 v134, v6 :: v_dual_mov_b32 v135, v7
	v_dual_mov_b32 v142, v26 :: v_dual_mov_b32 v143, v27
	;; [unrolled: 1-line block ×4, first 2 shown]
	v_mov_b32_e32 v147, v13
	ds_store_2addr_b64 v136, v[134:135], v[142:143] offset0:58 offset1:59
	ds_store_2addr_b64 v136, v[144:145], v[146:147] offset0:60 offset1:61
	ds_store_b64 v136, v[130:131] offset:496
.LBB124_1215:
	s_or_b32 exec_lo, exec_lo, s0
	s_delay_alu instid0(SALU_CYCLE_1)
	s_mov_b32 s0, exec_lo
	s_wait_storecnt_dscnt 0x0
	s_barrier_signal -1
	s_barrier_wait -1
	v_cmpx_lt_i32_e32 57, v140
	s_cbranch_execz .LBB124_1217
; %bb.1216:
	v_pk_mul_f32 v[134:135], v[132:133], v[30:31] op_sel:[1,1] op_sel_hi:[0,1]
	s_delay_alu instid0(VALU_DEP_1)
	v_pk_fma_f32 v[142:143], v[132:133], v[30:31], v[134:135] op_sel_hi:[1,0,1] neg_lo:[0,0,1] neg_hi:[0,0,1]
	v_pk_fma_f32 v[144:145], v[132:133], v[30:31], v[134:135] op_sel_hi:[1,0,1]
	ds_load_2addr_b64 v[132:135], v136 offset0:58 offset1:59
	v_dual_mov_b32 v30, v142 :: v_dual_mov_b32 v31, v145
	s_wait_dscnt 0x0
	v_pk_mul_f32 v[146:147], v[132:133], v[144:145] op_sel:[0,1]
	s_delay_alu instid0(VALU_DEP_1) | instskip(SKIP_1) | instid1(VALU_DEP_1)
	v_pk_fma_f32 v[148:149], v[132:133], v[142:143], v[146:147] op_sel:[0,0,1] op_sel_hi:[1,1,0] neg_lo:[0,0,1] neg_hi:[0,0,1]
	v_pk_fma_f32 v[132:133], v[132:133], v[142:143], v[146:147] op_sel:[0,0,1] op_sel_hi:[1,0,0]
	v_mov_b32_e32 v149, v133
	v_pk_mul_f32 v[132:133], v[134:135], v[144:145] op_sel:[0,1]
	s_delay_alu instid0(VALU_DEP_1) | instskip(SKIP_1) | instid1(VALU_DEP_1)
	v_pk_fma_f32 v[146:147], v[134:135], v[142:143], v[132:133] op_sel:[0,0,1] op_sel_hi:[1,1,0] neg_lo:[0,0,1] neg_hi:[0,0,1]
	v_pk_fma_f32 v[132:133], v[134:135], v[142:143], v[132:133] op_sel:[0,0,1] op_sel_hi:[1,0,0]
	v_mov_b32_e32 v147, v133
	ds_load_2addr_b64 v[132:135], v136 offset0:60 offset1:61
	v_pk_add_f32 v[6:7], v[6:7], v[148:149] neg_lo:[0,1] neg_hi:[0,1]
	v_pk_add_f32 v[26:27], v[26:27], v[146:147] neg_lo:[0,1] neg_hi:[0,1]
	s_wait_dscnt 0x0
	v_pk_mul_f32 v[146:147], v[132:133], v[144:145] op_sel:[0,1]
	s_delay_alu instid0(VALU_DEP_1) | instskip(SKIP_2) | instid1(VALU_DEP_2)
	v_pk_fma_f32 v[148:149], v[132:133], v[142:143], v[146:147] op_sel:[0,0,1] op_sel_hi:[1,1,0] neg_lo:[0,0,1] neg_hi:[0,0,1]
	v_pk_fma_f32 v[132:133], v[132:133], v[142:143], v[146:147] op_sel:[0,0,1] op_sel_hi:[1,0,0]
	v_dual_mul_f32 v146, v135, v145 :: v_dual_mov_b32 v132, v135
	v_dual_mov_b32 v149, v133 :: v_dual_mov_b32 v133, v134
	s_delay_alu instid0(VALU_DEP_2) | instskip(SKIP_1) | instid1(VALU_DEP_3)
	v_pk_fma_f32 v[146:147], v[134:135], v[30:31], v[146:147] op_sel_hi:[1,1,0] neg_lo:[0,0,1] neg_hi:[0,0,1]
	v_mul_f32_e32 v134, v135, v142
	v_pk_add_f32 v[14:15], v[14:15], v[148:149] neg_lo:[0,1] neg_hi:[0,1]
	s_delay_alu instid0(VALU_DEP_2) | instskip(NEXT) | instid1(VALU_DEP_1)
	v_pk_fma_f32 v[132:133], v[132:133], v[30:31], v[134:135] op_sel_hi:[1,1,0]
	v_mov_b32_e32 v147, v133
	ds_load_b64 v[132:133], v136 offset:496
	v_pk_add_f32 v[12:13], v[12:13], v[146:147] neg_lo:[0,1] neg_hi:[0,1]
	s_wait_dscnt 0x0
	v_pk_mul_f32 v[134:135], v[132:133], v[144:145] op_sel:[0,1]
	s_delay_alu instid0(VALU_DEP_1) | instskip(SKIP_1) | instid1(VALU_DEP_1)
	v_pk_fma_f32 v[144:145], v[132:133], v[142:143], v[134:135] op_sel:[0,0,1] op_sel_hi:[1,1,0] neg_lo:[0,0,1] neg_hi:[0,0,1]
	v_pk_fma_f32 v[132:133], v[132:133], v[142:143], v[134:135] op_sel:[0,0,1] op_sel_hi:[1,0,0]
	v_mov_b32_e32 v145, v133
	s_delay_alu instid0(VALU_DEP_1)
	v_pk_add_f32 v[130:131], v[130:131], v[144:145] neg_lo:[0,1] neg_hi:[0,1]
.LBB124_1217:
	s_or_b32 exec_lo, exec_lo, s0
	v_lshl_add_u32 v132, v140, 3, v136
	s_barrier_signal -1
	s_barrier_wait -1
	ds_store_b64 v132, v[6:7]
	s_wait_dscnt 0x0
	s_barrier_signal -1
	s_barrier_wait -1
	ds_load_b64 v[132:133], v136 offset:464
	v_mov_b32_e32 v134, 58
	s_cmp_lt_i32 s18, 60
	s_cbranch_scc1 .LBB124_1220
; %bb.1218:
	v_add3_u32 v135, v137, 0, 0x1d8
	v_mov_b32_e32 v134, 58
	s_mov_b32 s0, 59
.LBB124_1219:                           ; =>This Inner Loop Header: Depth=1
	ds_load_b64 v[142:143], v135
	s_wait_dscnt 0x1
	v_cmp_gt_f32_e32 vcc_lo, 0, v132
	v_cndmask_b32_e64 v144, v132, -v132, vcc_lo
	v_cmp_gt_f32_e32 vcc_lo, 0, v133
	v_cndmask_b32_e64 v146, v133, -v133, vcc_lo
	s_wait_dscnt 0x0
	v_cmp_gt_f32_e32 vcc_lo, 0, v142
	v_cndmask_b32_e64 v145, v142, -v142, vcc_lo
	v_cmp_gt_f32_e32 vcc_lo, 0, v143
	v_cndmask_b32_e64 v147, v143, -v143, vcc_lo
	s_delay_alu instid0(VALU_DEP_1) | instskip(NEXT) | instid1(VALU_DEP_1)
	v_pk_add_f32 v[144:145], v[144:145], v[146:147]
	v_cmp_lt_f32_e32 vcc_lo, v144, v145
	v_dual_cndmask_b32 v132, v132, v142 :: v_dual_add_nc_u32 v135, 8, v135
	v_cndmask_b32_e32 v133, v133, v143, vcc_lo
	v_cndmask_b32_e64 v134, v134, s0, vcc_lo
	s_add_co_i32 s0, s0, 1
	s_delay_alu instid0(SALU_CYCLE_1)
	s_cmp_lg_u32 s18, s0
	s_cbranch_scc1 .LBB124_1219
.LBB124_1220:
	s_wait_dscnt 0x0
	v_cmp_eq_f32_e32 vcc_lo, 0, v132
	v_cmp_eq_f32_e64 s0, 0, v133
	s_and_b32 s0, vcc_lo, s0
	s_delay_alu instid0(SALU_CYCLE_1) | instskip(NEXT) | instid1(SALU_CYCLE_1)
	s_and_saveexec_b32 s1, s0
	s_xor_b32 s0, exec_lo, s1
; %bb.1221:
	v_cmp_ne_u32_e32 vcc_lo, 0, v138
	v_cndmask_b32_e32 v138, 59, v138, vcc_lo
; %bb.1222:
	s_and_not1_saveexec_b32 s0, s0
	s_cbranch_execz .LBB124_1228
; %bb.1223:
	v_cmp_ngt_f32_e64 s1, |v132|, |v133|
	s_and_saveexec_b32 s12, s1
	s_delay_alu instid0(SALU_CYCLE_1)
	s_xor_b32 s1, exec_lo, s12
	s_cbranch_execz .LBB124_1225
; %bb.1224:
	v_div_scale_f32 v135, null, v133, v133, v132
	v_div_scale_f32 v143, vcc_lo, v132, v133, v132
	s_delay_alu instid0(VALU_DEP_2) | instskip(SKIP_1) | instid1(TRANS32_DEP_1)
	v_rcp_f32_e32 v141, v135
	v_nop
	v_fma_f32 v142, -v135, v141, 1.0
	s_delay_alu instid0(VALU_DEP_1) | instskip(NEXT) | instid1(VALU_DEP_1)
	v_fmac_f32_e32 v141, v142, v141
	v_mul_f32_e32 v142, v143, v141
	s_delay_alu instid0(VALU_DEP_1) | instskip(NEXT) | instid1(VALU_DEP_1)
	v_fma_f32 v144, -v135, v142, v143
	v_fmac_f32_e32 v142, v144, v141
	s_delay_alu instid0(VALU_DEP_1) | instskip(NEXT) | instid1(VALU_DEP_1)
	v_fma_f32 v135, -v135, v142, v143
	v_div_fmas_f32 v135, v135, v141, v142
	s_delay_alu instid0(VALU_DEP_1) | instskip(NEXT) | instid1(VALU_DEP_1)
	v_div_fixup_f32 v135, v135, v133, v132
	v_fmac_f32_e32 v133, v132, v135
	s_delay_alu instid0(VALU_DEP_1) | instskip(SKIP_1) | instid1(VALU_DEP_2)
	v_div_scale_f32 v132, null, v133, v133, 1.0
	v_div_scale_f32 v143, vcc_lo, 1.0, v133, 1.0
	v_rcp_f32_e32 v141, v132
	v_nop
	s_delay_alu instid0(TRANS32_DEP_1) | instskip(NEXT) | instid1(VALU_DEP_1)
	v_fma_f32 v142, -v132, v141, 1.0
	v_fmac_f32_e32 v141, v142, v141
	s_delay_alu instid0(VALU_DEP_1) | instskip(NEXT) | instid1(VALU_DEP_1)
	v_mul_f32_e32 v142, v143, v141
	v_fma_f32 v144, -v132, v142, v143
	s_delay_alu instid0(VALU_DEP_1) | instskip(NEXT) | instid1(VALU_DEP_1)
	v_fmac_f32_e32 v142, v144, v141
	v_fma_f32 v132, -v132, v142, v143
	s_delay_alu instid0(VALU_DEP_1) | instskip(NEXT) | instid1(VALU_DEP_1)
	v_div_fmas_f32 v132, v132, v141, v142
	v_div_fixup_f32 v133, v132, v133, 1.0
	s_delay_alu instid0(VALU_DEP_1)
	v_mul_f32_e32 v132, v135, v133
	v_xor_b32_e32 v133, 0x80000000, v133
.LBB124_1225:
	s_and_not1_saveexec_b32 s1, s1
	s_cbranch_execz .LBB124_1227
; %bb.1226:
	s_delay_alu instid0(VALU_DEP_1) | instskip(SKIP_1) | instid1(VALU_DEP_2)
	v_div_scale_f32 v135, null, v132, v132, v133
	v_div_scale_f32 v143, vcc_lo, v133, v132, v133
	v_rcp_f32_e32 v141, v135
	v_nop
	s_delay_alu instid0(TRANS32_DEP_1) | instskip(NEXT) | instid1(VALU_DEP_1)
	v_fma_f32 v142, -v135, v141, 1.0
	v_fmac_f32_e32 v141, v142, v141
	s_delay_alu instid0(VALU_DEP_1) | instskip(NEXT) | instid1(VALU_DEP_1)
	v_mul_f32_e32 v142, v143, v141
	v_fma_f32 v144, -v135, v142, v143
	s_delay_alu instid0(VALU_DEP_1) | instskip(NEXT) | instid1(VALU_DEP_1)
	v_fmac_f32_e32 v142, v144, v141
	v_fma_f32 v135, -v135, v142, v143
	s_delay_alu instid0(VALU_DEP_1) | instskip(NEXT) | instid1(VALU_DEP_1)
	v_div_fmas_f32 v135, v135, v141, v142
	v_div_fixup_f32 v135, v135, v132, v133
	s_delay_alu instid0(VALU_DEP_1) | instskip(NEXT) | instid1(VALU_DEP_1)
	v_fmac_f32_e32 v132, v133, v135
	v_div_scale_f32 v133, null, v132, v132, 1.0
	s_delay_alu instid0(VALU_DEP_1) | instskip(SKIP_1) | instid1(TRANS32_DEP_1)
	v_rcp_f32_e32 v141, v133
	v_nop
	v_fma_f32 v142, -v133, v141, 1.0
	s_delay_alu instid0(VALU_DEP_1) | instskip(SKIP_1) | instid1(VALU_DEP_1)
	v_fmac_f32_e32 v141, v142, v141
	v_div_scale_f32 v142, vcc_lo, 1.0, v132, 1.0
	v_mul_f32_e32 v143, v142, v141
	s_delay_alu instid0(VALU_DEP_1) | instskip(NEXT) | instid1(VALU_DEP_1)
	v_fma_f32 v144, -v133, v143, v142
	v_fmac_f32_e32 v143, v144, v141
	s_delay_alu instid0(VALU_DEP_1) | instskip(NEXT) | instid1(VALU_DEP_1)
	v_fma_f32 v133, -v133, v143, v142
	v_div_fmas_f32 v133, v133, v141, v143
	s_delay_alu instid0(VALU_DEP_1) | instskip(NEXT) | instid1(VALU_DEP_1)
	v_div_fixup_f32 v132, v133, v132, 1.0
	v_mul_f32_e64 v133, v135, -v132
.LBB124_1227:
	s_or_b32 exec_lo, exec_lo, s1
.LBB124_1228:
	s_delay_alu instid0(SALU_CYCLE_1) | instskip(NEXT) | instid1(SALU_CYCLE_1)
	s_or_b32 exec_lo, exec_lo, s0
	s_mov_b32 s0, exec_lo
	v_cmpx_ne_u32_e64 v140, v134
	s_xor_b32 s0, exec_lo, s0
	s_cbranch_execz .LBB124_1234
; %bb.1229:
	s_mov_b32 s1, exec_lo
	v_cmpx_eq_u32_e32 58, v140
	s_cbranch_execz .LBB124_1233
; %bb.1230:
	v_cmp_ne_u32_e32 vcc_lo, 58, v134
	s_xor_b32 s12, s16, -1
	s_delay_alu instid0(SALU_CYCLE_1) | instskip(NEXT) | instid1(SALU_CYCLE_1)
	s_and_b32 s13, s12, vcc_lo
	s_and_saveexec_b32 s12, s13
	s_cbranch_execz .LBB124_1232
; %bb.1231:
	v_ashrrev_i32_e32 v135, 31, v134
	s_delay_alu instid0(VALU_DEP_1)
	v_lshl_add_u64 v[140:141], v[134:135], 2, v[4:5]
	s_clause 0x1
	global_load_b32 v135, v[140:141], off
	global_load_b32 v139, v[4:5], off offset:232
	s_wait_loadcnt 0x1
	global_store_b32 v[4:5], v135, off offset:232
	s_wait_loadcnt 0x0
	global_store_b32 v[140:141], v139, off
.LBB124_1232:
	s_wait_xcnt 0x0
	s_or_b32 exec_lo, exec_lo, s12
	v_dual_mov_b32 v140, v134 :: v_dual_mov_b32 v139, v134
.LBB124_1233:
	s_or_b32 exec_lo, exec_lo, s1
.LBB124_1234:
	s_and_not1_saveexec_b32 s0, s0
	s_cbranch_execz .LBB124_1236
; %bb.1235:
	v_mov_b32_e32 v140, 58
	ds_store_2addr_b64 v136, v[26:27], v[14:15] offset0:59 offset1:60
	ds_store_2addr_b64 v136, v[12:13], v[130:131] offset0:61 offset1:62
.LBB124_1236:
	s_or_b32 exec_lo, exec_lo, s0
	s_delay_alu instid0(SALU_CYCLE_1)
	s_mov_b32 s0, exec_lo
	s_wait_storecnt_dscnt 0x0
	s_barrier_signal -1
	s_barrier_wait -1
	v_cmpx_lt_i32_e32 58, v140
	s_cbranch_execz .LBB124_1238
; %bb.1237:
	ds_load_2addr_b64 v[142:145], v136 offset0:59 offset1:60
	ds_load_2addr_b64 v[146:149], v136 offset0:61 offset1:62
	v_pk_mul_f32 v[134:135], v[132:133], v[6:7] op_sel:[1,1] op_sel_hi:[0,1]
	s_delay_alu instid0(VALU_DEP_1) | instskip(SKIP_1) | instid1(VALU_DEP_1)
	v_pk_fma_f32 v[150:151], v[132:133], v[6:7], v[134:135] op_sel_hi:[1,0,1] neg_lo:[0,0,1] neg_hi:[0,0,1]
	v_pk_fma_f32 v[132:133], v[132:133], v[6:7], v[134:135] op_sel_hi:[1,0,1]
	v_dual_mov_b32 v6, v150 :: v_dual_mov_b32 v7, v133
	s_wait_dscnt 0x1
	s_delay_alu instid0(VALU_DEP_2)
	v_pk_mul_f32 v[134:135], v[142:143], v[132:133] op_sel:[0,1]
	s_wait_dscnt 0x0
	v_mov_b32_e32 v152, v149
	v_pk_mul_f32 v[154:155], v[144:145], v[132:133] op_sel:[0,1]
	v_pk_mul_f32 v[156:157], v[146:147], v[132:133] op_sel:[0,1]
	v_pk_fma_f32 v[158:159], v[142:143], v[150:151], v[134:135] op_sel:[0,0,1] op_sel_hi:[1,1,0] neg_lo:[0,0,1] neg_hi:[0,0,1]
	v_pk_fma_f32 v[134:135], v[142:143], v[150:151], v[134:135] op_sel:[0,0,1] op_sel_hi:[1,0,0]
	s_delay_alu instid0(VALU_DEP_1) | instskip(NEXT) | instid1(VALU_DEP_1)
	v_dual_mov_b32 v153, v148 :: v_dual_mov_b32 v159, v135
	v_pk_mul_f32 v[142:143], v[152:153], v[132:133] op_sel:[0,1]
	v_pk_fma_f32 v[152:153], v[144:145], v[150:151], v[154:155] op_sel:[0,0,1] op_sel_hi:[1,0,0]
	v_pk_fma_f32 v[144:145], v[144:145], v[150:151], v[154:155] op_sel:[0,0,1] op_sel_hi:[1,1,0] neg_lo:[0,0,1] neg_hi:[0,0,1]
	v_pk_fma_f32 v[154:155], v[146:147], v[150:151], v[156:157] op_sel:[0,0,1] op_sel_hi:[1,0,0]
	v_pk_fma_f32 v[146:147], v[146:147], v[150:151], v[156:157] op_sel:[0,0,1] op_sel_hi:[1,1,0] neg_lo:[0,0,1] neg_hi:[0,0,1]
	v_pk_fma_f32 v[134:135], v[148:149], v[150:151], v[142:143] op_sel_hi:[1,0,1]
	v_pk_fma_f32 v[142:143], v[148:149], v[150:151], v[142:143] neg_lo:[0,0,1] neg_hi:[0,0,1]
	s_delay_alu instid0(VALU_DEP_4) | instskip(SKIP_1) | instid1(VALU_DEP_4)
	v_dual_mov_b32 v145, v153 :: v_dual_mov_b32 v147, v155
	v_pk_add_f32 v[26:27], v[26:27], v[158:159] neg_lo:[0,1] neg_hi:[0,1]
	v_mov_b32_e32 v143, v135
	s_delay_alu instid0(VALU_DEP_3) | instskip(NEXT) | instid1(VALU_DEP_4)
	v_pk_add_f32 v[14:15], v[14:15], v[144:145] neg_lo:[0,1] neg_hi:[0,1]
	v_pk_add_f32 v[12:13], v[12:13], v[146:147] neg_lo:[0,1] neg_hi:[0,1]
	s_delay_alu instid0(VALU_DEP_3)
	v_pk_add_f32 v[130:131], v[130:131], v[142:143] neg_lo:[0,1] neg_hi:[0,1]
.LBB124_1238:
	s_or_b32 exec_lo, exec_lo, s0
	v_lshl_add_u32 v132, v140, 3, v136
	s_barrier_signal -1
	s_barrier_wait -1
	ds_store_b64 v132, v[26:27]
	s_wait_dscnt 0x0
	s_barrier_signal -1
	s_barrier_wait -1
	ds_load_b64 v[132:133], v136 offset:472
	v_mov_b32_e32 v134, 59
	s_cmp_lt_i32 s18, 61
	s_cbranch_scc1 .LBB124_1241
; %bb.1239:
	v_add3_u32 v135, v137, 0, 0x1e0
	v_mov_b32_e32 v134, 59
	s_mov_b32 s0, 60
.LBB124_1240:                           ; =>This Inner Loop Header: Depth=1
	ds_load_b64 v[142:143], v135
	s_wait_dscnt 0x1
	v_cmp_gt_f32_e32 vcc_lo, 0, v132
	v_cndmask_b32_e64 v144, v132, -v132, vcc_lo
	v_cmp_gt_f32_e32 vcc_lo, 0, v133
	v_cndmask_b32_e64 v146, v133, -v133, vcc_lo
	s_wait_dscnt 0x0
	v_cmp_gt_f32_e32 vcc_lo, 0, v142
	v_cndmask_b32_e64 v145, v142, -v142, vcc_lo
	v_cmp_gt_f32_e32 vcc_lo, 0, v143
	v_cndmask_b32_e64 v147, v143, -v143, vcc_lo
	s_delay_alu instid0(VALU_DEP_1) | instskip(NEXT) | instid1(VALU_DEP_1)
	v_pk_add_f32 v[144:145], v[144:145], v[146:147]
	v_cmp_lt_f32_e32 vcc_lo, v144, v145
	v_dual_cndmask_b32 v132, v132, v142 :: v_dual_add_nc_u32 v135, 8, v135
	v_cndmask_b32_e32 v133, v133, v143, vcc_lo
	v_cndmask_b32_e64 v134, v134, s0, vcc_lo
	s_add_co_i32 s0, s0, 1
	s_delay_alu instid0(SALU_CYCLE_1)
	s_cmp_lg_u32 s18, s0
	s_cbranch_scc1 .LBB124_1240
.LBB124_1241:
	s_wait_dscnt 0x0
	v_cmp_eq_f32_e32 vcc_lo, 0, v132
	v_cmp_eq_f32_e64 s0, 0, v133
	s_and_b32 s0, vcc_lo, s0
	s_delay_alu instid0(SALU_CYCLE_1) | instskip(NEXT) | instid1(SALU_CYCLE_1)
	s_and_saveexec_b32 s1, s0
	s_xor_b32 s0, exec_lo, s1
; %bb.1242:
	v_cmp_ne_u32_e32 vcc_lo, 0, v138
	v_cndmask_b32_e32 v138, 60, v138, vcc_lo
; %bb.1243:
	s_and_not1_saveexec_b32 s0, s0
	s_cbranch_execz .LBB124_1249
; %bb.1244:
	v_cmp_ngt_f32_e64 s1, |v132|, |v133|
	s_and_saveexec_b32 s12, s1
	s_delay_alu instid0(SALU_CYCLE_1)
	s_xor_b32 s1, exec_lo, s12
	s_cbranch_execz .LBB124_1246
; %bb.1245:
	v_div_scale_f32 v135, null, v133, v133, v132
	v_div_scale_f32 v143, vcc_lo, v132, v133, v132
	s_delay_alu instid0(VALU_DEP_2) | instskip(SKIP_1) | instid1(TRANS32_DEP_1)
	v_rcp_f32_e32 v141, v135
	v_nop
	v_fma_f32 v142, -v135, v141, 1.0
	s_delay_alu instid0(VALU_DEP_1) | instskip(NEXT) | instid1(VALU_DEP_1)
	v_fmac_f32_e32 v141, v142, v141
	v_mul_f32_e32 v142, v143, v141
	s_delay_alu instid0(VALU_DEP_1) | instskip(NEXT) | instid1(VALU_DEP_1)
	v_fma_f32 v144, -v135, v142, v143
	v_fmac_f32_e32 v142, v144, v141
	s_delay_alu instid0(VALU_DEP_1) | instskip(NEXT) | instid1(VALU_DEP_1)
	v_fma_f32 v135, -v135, v142, v143
	v_div_fmas_f32 v135, v135, v141, v142
	s_delay_alu instid0(VALU_DEP_1) | instskip(NEXT) | instid1(VALU_DEP_1)
	v_div_fixup_f32 v135, v135, v133, v132
	v_fmac_f32_e32 v133, v132, v135
	s_delay_alu instid0(VALU_DEP_1) | instskip(SKIP_1) | instid1(VALU_DEP_2)
	v_div_scale_f32 v132, null, v133, v133, 1.0
	v_div_scale_f32 v143, vcc_lo, 1.0, v133, 1.0
	v_rcp_f32_e32 v141, v132
	v_nop
	s_delay_alu instid0(TRANS32_DEP_1) | instskip(NEXT) | instid1(VALU_DEP_1)
	v_fma_f32 v142, -v132, v141, 1.0
	v_fmac_f32_e32 v141, v142, v141
	s_delay_alu instid0(VALU_DEP_1) | instskip(NEXT) | instid1(VALU_DEP_1)
	v_mul_f32_e32 v142, v143, v141
	v_fma_f32 v144, -v132, v142, v143
	s_delay_alu instid0(VALU_DEP_1) | instskip(NEXT) | instid1(VALU_DEP_1)
	v_fmac_f32_e32 v142, v144, v141
	v_fma_f32 v132, -v132, v142, v143
	s_delay_alu instid0(VALU_DEP_1) | instskip(NEXT) | instid1(VALU_DEP_1)
	v_div_fmas_f32 v132, v132, v141, v142
	v_div_fixup_f32 v133, v132, v133, 1.0
	s_delay_alu instid0(VALU_DEP_1)
	v_mul_f32_e32 v132, v135, v133
	v_xor_b32_e32 v133, 0x80000000, v133
.LBB124_1246:
	s_and_not1_saveexec_b32 s1, s1
	s_cbranch_execz .LBB124_1248
; %bb.1247:
	s_delay_alu instid0(VALU_DEP_1) | instskip(SKIP_1) | instid1(VALU_DEP_2)
	v_div_scale_f32 v135, null, v132, v132, v133
	v_div_scale_f32 v143, vcc_lo, v133, v132, v133
	v_rcp_f32_e32 v141, v135
	v_nop
	s_delay_alu instid0(TRANS32_DEP_1) | instskip(NEXT) | instid1(VALU_DEP_1)
	v_fma_f32 v142, -v135, v141, 1.0
	v_fmac_f32_e32 v141, v142, v141
	s_delay_alu instid0(VALU_DEP_1) | instskip(NEXT) | instid1(VALU_DEP_1)
	v_mul_f32_e32 v142, v143, v141
	v_fma_f32 v144, -v135, v142, v143
	s_delay_alu instid0(VALU_DEP_1) | instskip(NEXT) | instid1(VALU_DEP_1)
	v_fmac_f32_e32 v142, v144, v141
	v_fma_f32 v135, -v135, v142, v143
	s_delay_alu instid0(VALU_DEP_1) | instskip(NEXT) | instid1(VALU_DEP_1)
	v_div_fmas_f32 v135, v135, v141, v142
	v_div_fixup_f32 v135, v135, v132, v133
	s_delay_alu instid0(VALU_DEP_1) | instskip(NEXT) | instid1(VALU_DEP_1)
	v_fmac_f32_e32 v132, v133, v135
	v_div_scale_f32 v133, null, v132, v132, 1.0
	s_delay_alu instid0(VALU_DEP_1) | instskip(SKIP_1) | instid1(TRANS32_DEP_1)
	v_rcp_f32_e32 v141, v133
	v_nop
	v_fma_f32 v142, -v133, v141, 1.0
	s_delay_alu instid0(VALU_DEP_1) | instskip(SKIP_1) | instid1(VALU_DEP_1)
	v_fmac_f32_e32 v141, v142, v141
	v_div_scale_f32 v142, vcc_lo, 1.0, v132, 1.0
	v_mul_f32_e32 v143, v142, v141
	s_delay_alu instid0(VALU_DEP_1) | instskip(NEXT) | instid1(VALU_DEP_1)
	v_fma_f32 v144, -v133, v143, v142
	v_fmac_f32_e32 v143, v144, v141
	s_delay_alu instid0(VALU_DEP_1) | instskip(NEXT) | instid1(VALU_DEP_1)
	v_fma_f32 v133, -v133, v143, v142
	v_div_fmas_f32 v133, v133, v141, v143
	s_delay_alu instid0(VALU_DEP_1) | instskip(NEXT) | instid1(VALU_DEP_1)
	v_div_fixup_f32 v132, v133, v132, 1.0
	v_mul_f32_e64 v133, v135, -v132
.LBB124_1248:
	s_or_b32 exec_lo, exec_lo, s1
.LBB124_1249:
	s_delay_alu instid0(SALU_CYCLE_1) | instskip(NEXT) | instid1(SALU_CYCLE_1)
	s_or_b32 exec_lo, exec_lo, s0
	s_mov_b32 s0, exec_lo
	v_cmpx_ne_u32_e64 v140, v134
	s_xor_b32 s0, exec_lo, s0
	s_cbranch_execz .LBB124_1255
; %bb.1250:
	s_mov_b32 s1, exec_lo
	v_cmpx_eq_u32_e32 59, v140
	s_cbranch_execz .LBB124_1254
; %bb.1251:
	v_cmp_ne_u32_e32 vcc_lo, 59, v134
	s_xor_b32 s12, s16, -1
	s_delay_alu instid0(SALU_CYCLE_1) | instskip(NEXT) | instid1(SALU_CYCLE_1)
	s_and_b32 s13, s12, vcc_lo
	s_and_saveexec_b32 s12, s13
	s_cbranch_execz .LBB124_1253
; %bb.1252:
	v_ashrrev_i32_e32 v135, 31, v134
	s_delay_alu instid0(VALU_DEP_1)
	v_lshl_add_u64 v[140:141], v[134:135], 2, v[4:5]
	s_clause 0x1
	global_load_b32 v135, v[140:141], off
	global_load_b32 v139, v[4:5], off offset:236
	s_wait_loadcnt 0x1
	global_store_b32 v[4:5], v135, off offset:236
	s_wait_loadcnt 0x0
	global_store_b32 v[140:141], v139, off
.LBB124_1253:
	s_wait_xcnt 0x0
	s_or_b32 exec_lo, exec_lo, s12
	v_dual_mov_b32 v140, v134 :: v_dual_mov_b32 v139, v134
.LBB124_1254:
	s_or_b32 exec_lo, exec_lo, s1
.LBB124_1255:
	s_and_not1_saveexec_b32 s0, s0
	s_cbranch_execz .LBB124_1257
; %bb.1256:
	v_dual_mov_b32 v134, v14 :: v_dual_mov_b32 v135, v15
	v_dual_mov_b32 v142, v12 :: v_dual_mov_b32 v143, v13
	v_mov_b32_e32 v140, 59
	ds_store_2addr_b64 v136, v[134:135], v[142:143] offset0:60 offset1:61
	ds_store_b64 v136, v[130:131] offset:496
.LBB124_1257:
	s_or_b32 exec_lo, exec_lo, s0
	s_delay_alu instid0(SALU_CYCLE_1)
	s_mov_b32 s0, exec_lo
	s_wait_storecnt_dscnt 0x0
	s_barrier_signal -1
	s_barrier_wait -1
	v_cmpx_lt_i32_e32 59, v140
	s_cbranch_execz .LBB124_1259
; %bb.1258:
	ds_load_2addr_b64 v[142:145], v136 offset0:60 offset1:61
	ds_load_b64 v[134:135], v136 offset:496
	v_pk_mul_f32 v[146:147], v[132:133], v[26:27] op_sel:[1,1] op_sel_hi:[0,1]
	s_delay_alu instid0(VALU_DEP_1) | instskip(SKIP_2) | instid1(VALU_DEP_2)
	v_pk_fma_f32 v[148:149], v[132:133], v[26:27], v[146:147] op_sel_hi:[1,0,1]
	v_pk_fma_f32 v[26:27], v[132:133], v[26:27], v[146:147] op_sel_hi:[1,0,1] neg_lo:[0,0,1] neg_hi:[0,0,1]
	s_wait_dscnt 0x1
	v_pk_mul_f32 v[132:133], v[142:143], v[148:149] op_sel:[0,1]
	v_pk_mul_f32 v[146:147], v[144:145], v[148:149] op_sel:[0,1]
	s_wait_dscnt 0x0
	v_pk_mul_f32 v[150:151], v[134:135], v[148:149] op_sel:[1,1] op_sel_hi:[0,1]
	s_delay_alu instid0(VALU_DEP_3) | instskip(SKIP_2) | instid1(VALU_DEP_4)
	v_pk_fma_f32 v[152:153], v[142:143], v[26:27], v[132:133] op_sel:[0,0,1] op_sel_hi:[1,1,0] neg_lo:[0,0,1] neg_hi:[0,0,1]
	v_pk_fma_f32 v[132:133], v[142:143], v[26:27], v[132:133] op_sel:[0,0,1] op_sel_hi:[1,0,0]
	v_pk_fma_f32 v[142:143], v[144:145], v[26:27], v[146:147] op_sel:[0,0,1] op_sel_hi:[1,0,0]
	v_pk_fma_f32 v[154:155], v[134:135], v[26:27], v[150:151] op_sel_hi:[1,0,1]
	v_pk_fma_f32 v[144:145], v[144:145], v[26:27], v[146:147] op_sel:[0,0,1] op_sel_hi:[1,1,0] neg_lo:[0,0,1] neg_hi:[0,0,1]
	v_pk_fma_f32 v[134:135], v[134:135], v[26:27], v[150:151] neg_lo:[0,0,1] neg_hi:[0,0,1]
	s_delay_alu instid0(VALU_DEP_4) | instskip(NEXT) | instid1(VALU_DEP_4)
	v_dual_mov_b32 v153, v133 :: v_dual_mov_b32 v145, v143
	v_dual_mov_b32 v135, v155 :: v_dual_mov_b32 v27, v149
	s_delay_alu instid0(VALU_DEP_2) | instskip(NEXT) | instid1(VALU_DEP_3)
	v_pk_add_f32 v[14:15], v[14:15], v[152:153] neg_lo:[0,1] neg_hi:[0,1]
	v_pk_add_f32 v[12:13], v[12:13], v[144:145] neg_lo:[0,1] neg_hi:[0,1]
	s_delay_alu instid0(VALU_DEP_3)
	v_pk_add_f32 v[130:131], v[130:131], v[134:135] neg_lo:[0,1] neg_hi:[0,1]
.LBB124_1259:
	s_or_b32 exec_lo, exec_lo, s0
	v_lshl_add_u32 v132, v140, 3, v136
	s_barrier_signal -1
	s_barrier_wait -1
	ds_store_b64 v132, v[14:15]
	s_wait_dscnt 0x0
	s_barrier_signal -1
	s_barrier_wait -1
	ds_load_b64 v[132:133], v136 offset:480
	v_mov_b32_e32 v134, 60
	s_cmp_lt_i32 s18, 62
	s_cbranch_scc1 .LBB124_1262
; %bb.1260:
	v_add3_u32 v135, v137, 0, 0x1e8
	v_mov_b32_e32 v134, 60
	s_mov_b32 s0, 61
.LBB124_1261:                           ; =>This Inner Loop Header: Depth=1
	ds_load_b64 v[142:143], v135
	s_wait_dscnt 0x1
	v_cmp_gt_f32_e32 vcc_lo, 0, v132
	v_cndmask_b32_e64 v144, v132, -v132, vcc_lo
	v_cmp_gt_f32_e32 vcc_lo, 0, v133
	v_cndmask_b32_e64 v146, v133, -v133, vcc_lo
	s_wait_dscnt 0x0
	v_cmp_gt_f32_e32 vcc_lo, 0, v142
	v_cndmask_b32_e64 v145, v142, -v142, vcc_lo
	v_cmp_gt_f32_e32 vcc_lo, 0, v143
	v_cndmask_b32_e64 v147, v143, -v143, vcc_lo
	s_delay_alu instid0(VALU_DEP_1) | instskip(NEXT) | instid1(VALU_DEP_1)
	v_pk_add_f32 v[144:145], v[144:145], v[146:147]
	v_cmp_lt_f32_e32 vcc_lo, v144, v145
	v_dual_cndmask_b32 v132, v132, v142 :: v_dual_add_nc_u32 v135, 8, v135
	v_cndmask_b32_e32 v133, v133, v143, vcc_lo
	v_cndmask_b32_e64 v134, v134, s0, vcc_lo
	s_add_co_i32 s0, s0, 1
	s_delay_alu instid0(SALU_CYCLE_1)
	s_cmp_lg_u32 s18, s0
	s_cbranch_scc1 .LBB124_1261
.LBB124_1262:
	s_wait_dscnt 0x0
	v_cmp_eq_f32_e32 vcc_lo, 0, v132
	v_cmp_eq_f32_e64 s0, 0, v133
	s_and_b32 s0, vcc_lo, s0
	s_delay_alu instid0(SALU_CYCLE_1) | instskip(NEXT) | instid1(SALU_CYCLE_1)
	s_and_saveexec_b32 s1, s0
	s_xor_b32 s0, exec_lo, s1
; %bb.1263:
	v_cmp_ne_u32_e32 vcc_lo, 0, v138
	v_cndmask_b32_e32 v138, 61, v138, vcc_lo
; %bb.1264:
	s_and_not1_saveexec_b32 s0, s0
	s_cbranch_execz .LBB124_1270
; %bb.1265:
	v_cmp_ngt_f32_e64 s1, |v132|, |v133|
	s_and_saveexec_b32 s12, s1
	s_delay_alu instid0(SALU_CYCLE_1)
	s_xor_b32 s1, exec_lo, s12
	s_cbranch_execz .LBB124_1267
; %bb.1266:
	v_div_scale_f32 v135, null, v133, v133, v132
	v_div_scale_f32 v143, vcc_lo, v132, v133, v132
	s_delay_alu instid0(VALU_DEP_2) | instskip(SKIP_1) | instid1(TRANS32_DEP_1)
	v_rcp_f32_e32 v141, v135
	v_nop
	v_fma_f32 v142, -v135, v141, 1.0
	s_delay_alu instid0(VALU_DEP_1) | instskip(NEXT) | instid1(VALU_DEP_1)
	v_fmac_f32_e32 v141, v142, v141
	v_mul_f32_e32 v142, v143, v141
	s_delay_alu instid0(VALU_DEP_1) | instskip(NEXT) | instid1(VALU_DEP_1)
	v_fma_f32 v144, -v135, v142, v143
	v_fmac_f32_e32 v142, v144, v141
	s_delay_alu instid0(VALU_DEP_1) | instskip(NEXT) | instid1(VALU_DEP_1)
	v_fma_f32 v135, -v135, v142, v143
	v_div_fmas_f32 v135, v135, v141, v142
	s_delay_alu instid0(VALU_DEP_1) | instskip(NEXT) | instid1(VALU_DEP_1)
	v_div_fixup_f32 v135, v135, v133, v132
	v_fmac_f32_e32 v133, v132, v135
	s_delay_alu instid0(VALU_DEP_1) | instskip(SKIP_1) | instid1(VALU_DEP_2)
	v_div_scale_f32 v132, null, v133, v133, 1.0
	v_div_scale_f32 v143, vcc_lo, 1.0, v133, 1.0
	v_rcp_f32_e32 v141, v132
	v_nop
	s_delay_alu instid0(TRANS32_DEP_1) | instskip(NEXT) | instid1(VALU_DEP_1)
	v_fma_f32 v142, -v132, v141, 1.0
	v_fmac_f32_e32 v141, v142, v141
	s_delay_alu instid0(VALU_DEP_1) | instskip(NEXT) | instid1(VALU_DEP_1)
	v_mul_f32_e32 v142, v143, v141
	v_fma_f32 v144, -v132, v142, v143
	s_delay_alu instid0(VALU_DEP_1) | instskip(NEXT) | instid1(VALU_DEP_1)
	v_fmac_f32_e32 v142, v144, v141
	v_fma_f32 v132, -v132, v142, v143
	s_delay_alu instid0(VALU_DEP_1) | instskip(NEXT) | instid1(VALU_DEP_1)
	v_div_fmas_f32 v132, v132, v141, v142
	v_div_fixup_f32 v133, v132, v133, 1.0
	s_delay_alu instid0(VALU_DEP_1)
	v_mul_f32_e32 v132, v135, v133
	v_xor_b32_e32 v133, 0x80000000, v133
.LBB124_1267:
	s_and_not1_saveexec_b32 s1, s1
	s_cbranch_execz .LBB124_1269
; %bb.1268:
	s_delay_alu instid0(VALU_DEP_1) | instskip(SKIP_1) | instid1(VALU_DEP_2)
	v_div_scale_f32 v135, null, v132, v132, v133
	v_div_scale_f32 v143, vcc_lo, v133, v132, v133
	v_rcp_f32_e32 v141, v135
	v_nop
	s_delay_alu instid0(TRANS32_DEP_1) | instskip(NEXT) | instid1(VALU_DEP_1)
	v_fma_f32 v142, -v135, v141, 1.0
	v_fmac_f32_e32 v141, v142, v141
	s_delay_alu instid0(VALU_DEP_1) | instskip(NEXT) | instid1(VALU_DEP_1)
	v_mul_f32_e32 v142, v143, v141
	v_fma_f32 v144, -v135, v142, v143
	s_delay_alu instid0(VALU_DEP_1) | instskip(NEXT) | instid1(VALU_DEP_1)
	v_fmac_f32_e32 v142, v144, v141
	v_fma_f32 v135, -v135, v142, v143
	s_delay_alu instid0(VALU_DEP_1) | instskip(NEXT) | instid1(VALU_DEP_1)
	v_div_fmas_f32 v135, v135, v141, v142
	v_div_fixup_f32 v135, v135, v132, v133
	s_delay_alu instid0(VALU_DEP_1) | instskip(NEXT) | instid1(VALU_DEP_1)
	v_fmac_f32_e32 v132, v133, v135
	v_div_scale_f32 v133, null, v132, v132, 1.0
	s_delay_alu instid0(VALU_DEP_1) | instskip(SKIP_1) | instid1(TRANS32_DEP_1)
	v_rcp_f32_e32 v141, v133
	v_nop
	v_fma_f32 v142, -v133, v141, 1.0
	s_delay_alu instid0(VALU_DEP_1) | instskip(SKIP_1) | instid1(VALU_DEP_1)
	v_fmac_f32_e32 v141, v142, v141
	v_div_scale_f32 v142, vcc_lo, 1.0, v132, 1.0
	v_mul_f32_e32 v143, v142, v141
	s_delay_alu instid0(VALU_DEP_1) | instskip(NEXT) | instid1(VALU_DEP_1)
	v_fma_f32 v144, -v133, v143, v142
	v_fmac_f32_e32 v143, v144, v141
	s_delay_alu instid0(VALU_DEP_1) | instskip(NEXT) | instid1(VALU_DEP_1)
	v_fma_f32 v133, -v133, v143, v142
	v_div_fmas_f32 v133, v133, v141, v143
	s_delay_alu instid0(VALU_DEP_1) | instskip(NEXT) | instid1(VALU_DEP_1)
	v_div_fixup_f32 v132, v133, v132, 1.0
	v_mul_f32_e64 v133, v135, -v132
.LBB124_1269:
	s_or_b32 exec_lo, exec_lo, s1
.LBB124_1270:
	s_delay_alu instid0(SALU_CYCLE_1) | instskip(NEXT) | instid1(SALU_CYCLE_1)
	s_or_b32 exec_lo, exec_lo, s0
	s_mov_b32 s0, exec_lo
	v_cmpx_ne_u32_e64 v140, v134
	s_xor_b32 s0, exec_lo, s0
	s_cbranch_execz .LBB124_1276
; %bb.1271:
	s_mov_b32 s1, exec_lo
	v_cmpx_eq_u32_e32 60, v140
	s_cbranch_execz .LBB124_1275
; %bb.1272:
	v_cmp_ne_u32_e32 vcc_lo, 60, v134
	s_xor_b32 s12, s16, -1
	s_delay_alu instid0(SALU_CYCLE_1) | instskip(NEXT) | instid1(SALU_CYCLE_1)
	s_and_b32 s13, s12, vcc_lo
	s_and_saveexec_b32 s12, s13
	s_cbranch_execz .LBB124_1274
; %bb.1273:
	v_ashrrev_i32_e32 v135, 31, v134
	s_delay_alu instid0(VALU_DEP_1)
	v_lshl_add_u64 v[140:141], v[134:135], 2, v[4:5]
	s_clause 0x1
	global_load_b32 v135, v[140:141], off
	global_load_b32 v139, v[4:5], off offset:240
	s_wait_loadcnt 0x1
	global_store_b32 v[4:5], v135, off offset:240
	s_wait_loadcnt 0x0
	global_store_b32 v[140:141], v139, off
.LBB124_1274:
	s_wait_xcnt 0x0
	s_or_b32 exec_lo, exec_lo, s12
	v_dual_mov_b32 v140, v134 :: v_dual_mov_b32 v139, v134
.LBB124_1275:
	s_or_b32 exec_lo, exec_lo, s1
.LBB124_1276:
	s_and_not1_saveexec_b32 s0, s0
; %bb.1277:
	v_mov_b32_e32 v140, 60
	ds_store_2addr_b64 v136, v[12:13], v[130:131] offset0:61 offset1:62
; %bb.1278:
	s_or_b32 exec_lo, exec_lo, s0
	s_delay_alu instid0(SALU_CYCLE_1)
	s_mov_b32 s0, exec_lo
	s_wait_storecnt_dscnt 0x0
	s_barrier_signal -1
	s_barrier_wait -1
	v_cmpx_lt_i32_e32 60, v140
	s_cbranch_execz .LBB124_1280
; %bb.1279:
	ds_load_2addr_b64 v[142:145], v136 offset0:61 offset1:62
	v_pk_mul_f32 v[134:135], v[132:133], v[14:15] op_sel:[1,1] op_sel_hi:[0,1]
	s_delay_alu instid0(VALU_DEP_1) | instskip(SKIP_3) | instid1(VALU_DEP_3)
	v_pk_fma_f32 v[146:147], v[132:133], v[14:15], v[134:135] op_sel_hi:[1,0,1]
	v_pk_fma_f32 v[14:15], v[132:133], v[14:15], v[134:135] op_sel_hi:[1,0,1] neg_lo:[0,0,1] neg_hi:[0,0,1]
	s_wait_dscnt 0x0
	v_dual_mov_b32 v148, v145 :: v_dual_mov_b32 v149, v144
	v_pk_mul_f32 v[132:133], v[142:143], v[146:147] op_sel:[0,1]
	s_delay_alu instid0(VALU_DEP_2) | instskip(NEXT) | instid1(VALU_DEP_2)
	v_pk_mul_f32 v[134:135], v[148:149], v[146:147] op_sel:[0,1]
	v_pk_fma_f32 v[148:149], v[142:143], v[14:15], v[132:133] op_sel:[0,0,1] op_sel_hi:[1,0,0]
	v_pk_fma_f32 v[132:133], v[142:143], v[14:15], v[132:133] op_sel:[0,0,1] op_sel_hi:[1,1,0] neg_lo:[0,0,1] neg_hi:[0,0,1]
	s_delay_alu instid0(VALU_DEP_3) | instskip(SKIP_1) | instid1(VALU_DEP_4)
	v_pk_fma_f32 v[150:151], v[144:145], v[14:15], v[134:135] op_sel_hi:[1,0,1]
	v_pk_fma_f32 v[134:135], v[144:145], v[14:15], v[134:135] neg_lo:[0,0,1] neg_hi:[0,0,1]
	v_dual_mov_b32 v133, v149 :: v_dual_mov_b32 v15, v147
	s_delay_alu instid0(VALU_DEP_3) | instskip(NEXT) | instid1(VALU_DEP_2)
	v_mov_b32_e32 v135, v151
	v_pk_add_f32 v[12:13], v[12:13], v[132:133] neg_lo:[0,1] neg_hi:[0,1]
	s_delay_alu instid0(VALU_DEP_2)
	v_pk_add_f32 v[130:131], v[130:131], v[134:135] neg_lo:[0,1] neg_hi:[0,1]
.LBB124_1280:
	s_or_b32 exec_lo, exec_lo, s0
	v_lshl_add_u32 v132, v140, 3, v136
	s_barrier_signal -1
	s_barrier_wait -1
	ds_store_b64 v132, v[12:13]
	s_wait_dscnt 0x0
	s_barrier_signal -1
	s_barrier_wait -1
	ds_load_b64 v[132:133], v136 offset:488
	v_mov_b32_e32 v134, 61
	s_cmp_lt_i32 s18, 63
	s_cbranch_scc1 .LBB124_1283
; %bb.1281:
	v_add3_u32 v135, v137, 0, 0x1f0
	v_mov_b32_e32 v134, 61
	s_mov_b32 s0, 62
.LBB124_1282:                           ; =>This Inner Loop Header: Depth=1
	ds_load_b64 v[142:143], v135
	s_wait_dscnt 0x1
	v_cmp_gt_f32_e32 vcc_lo, 0, v132
	v_cndmask_b32_e64 v144, v132, -v132, vcc_lo
	v_cmp_gt_f32_e32 vcc_lo, 0, v133
	v_cndmask_b32_e64 v146, v133, -v133, vcc_lo
	s_wait_dscnt 0x0
	v_cmp_gt_f32_e32 vcc_lo, 0, v142
	v_cndmask_b32_e64 v145, v142, -v142, vcc_lo
	v_cmp_gt_f32_e32 vcc_lo, 0, v143
	v_cndmask_b32_e64 v147, v143, -v143, vcc_lo
	s_delay_alu instid0(VALU_DEP_1) | instskip(NEXT) | instid1(VALU_DEP_1)
	v_pk_add_f32 v[144:145], v[144:145], v[146:147]
	v_cmp_lt_f32_e32 vcc_lo, v144, v145
	v_dual_cndmask_b32 v132, v132, v142 :: v_dual_add_nc_u32 v135, 8, v135
	v_cndmask_b32_e32 v133, v133, v143, vcc_lo
	v_cndmask_b32_e64 v134, v134, s0, vcc_lo
	s_add_co_i32 s0, s0, 1
	s_delay_alu instid0(SALU_CYCLE_1)
	s_cmp_lg_u32 s18, s0
	s_cbranch_scc1 .LBB124_1282
.LBB124_1283:
	s_wait_dscnt 0x0
	v_cmp_eq_f32_e32 vcc_lo, 0, v132
	v_cmp_eq_f32_e64 s0, 0, v133
	s_and_b32 s0, vcc_lo, s0
	s_delay_alu instid0(SALU_CYCLE_1) | instskip(NEXT) | instid1(SALU_CYCLE_1)
	s_and_saveexec_b32 s1, s0
	s_xor_b32 s0, exec_lo, s1
; %bb.1284:
	v_cmp_ne_u32_e32 vcc_lo, 0, v138
	v_cndmask_b32_e32 v138, 62, v138, vcc_lo
; %bb.1285:
	s_and_not1_saveexec_b32 s0, s0
	s_cbranch_execz .LBB124_1291
; %bb.1286:
	v_cmp_ngt_f32_e64 s1, |v132|, |v133|
	s_and_saveexec_b32 s12, s1
	s_delay_alu instid0(SALU_CYCLE_1)
	s_xor_b32 s1, exec_lo, s12
	s_cbranch_execz .LBB124_1288
; %bb.1287:
	v_div_scale_f32 v135, null, v133, v133, v132
	v_div_scale_f32 v143, vcc_lo, v132, v133, v132
	s_delay_alu instid0(VALU_DEP_2) | instskip(SKIP_1) | instid1(TRANS32_DEP_1)
	v_rcp_f32_e32 v141, v135
	v_nop
	v_fma_f32 v142, -v135, v141, 1.0
	s_delay_alu instid0(VALU_DEP_1) | instskip(NEXT) | instid1(VALU_DEP_1)
	v_fmac_f32_e32 v141, v142, v141
	v_mul_f32_e32 v142, v143, v141
	s_delay_alu instid0(VALU_DEP_1) | instskip(NEXT) | instid1(VALU_DEP_1)
	v_fma_f32 v144, -v135, v142, v143
	v_fmac_f32_e32 v142, v144, v141
	s_delay_alu instid0(VALU_DEP_1) | instskip(NEXT) | instid1(VALU_DEP_1)
	v_fma_f32 v135, -v135, v142, v143
	v_div_fmas_f32 v135, v135, v141, v142
	s_delay_alu instid0(VALU_DEP_1) | instskip(NEXT) | instid1(VALU_DEP_1)
	v_div_fixup_f32 v135, v135, v133, v132
	v_fmac_f32_e32 v133, v132, v135
	s_delay_alu instid0(VALU_DEP_1) | instskip(SKIP_1) | instid1(VALU_DEP_2)
	v_div_scale_f32 v132, null, v133, v133, 1.0
	v_div_scale_f32 v143, vcc_lo, 1.0, v133, 1.0
	v_rcp_f32_e32 v141, v132
	v_nop
	s_delay_alu instid0(TRANS32_DEP_1) | instskip(NEXT) | instid1(VALU_DEP_1)
	v_fma_f32 v142, -v132, v141, 1.0
	v_fmac_f32_e32 v141, v142, v141
	s_delay_alu instid0(VALU_DEP_1) | instskip(NEXT) | instid1(VALU_DEP_1)
	v_mul_f32_e32 v142, v143, v141
	v_fma_f32 v144, -v132, v142, v143
	s_delay_alu instid0(VALU_DEP_1) | instskip(NEXT) | instid1(VALU_DEP_1)
	v_fmac_f32_e32 v142, v144, v141
	v_fma_f32 v132, -v132, v142, v143
	s_delay_alu instid0(VALU_DEP_1) | instskip(NEXT) | instid1(VALU_DEP_1)
	v_div_fmas_f32 v132, v132, v141, v142
	v_div_fixup_f32 v133, v132, v133, 1.0
	s_delay_alu instid0(VALU_DEP_1)
	v_mul_f32_e32 v132, v135, v133
	v_xor_b32_e32 v133, 0x80000000, v133
.LBB124_1288:
	s_and_not1_saveexec_b32 s1, s1
	s_cbranch_execz .LBB124_1290
; %bb.1289:
	s_delay_alu instid0(VALU_DEP_1) | instskip(SKIP_1) | instid1(VALU_DEP_2)
	v_div_scale_f32 v135, null, v132, v132, v133
	v_div_scale_f32 v143, vcc_lo, v133, v132, v133
	v_rcp_f32_e32 v141, v135
	v_nop
	s_delay_alu instid0(TRANS32_DEP_1) | instskip(NEXT) | instid1(VALU_DEP_1)
	v_fma_f32 v142, -v135, v141, 1.0
	v_fmac_f32_e32 v141, v142, v141
	s_delay_alu instid0(VALU_DEP_1) | instskip(NEXT) | instid1(VALU_DEP_1)
	v_mul_f32_e32 v142, v143, v141
	v_fma_f32 v144, -v135, v142, v143
	s_delay_alu instid0(VALU_DEP_1) | instskip(NEXT) | instid1(VALU_DEP_1)
	v_fmac_f32_e32 v142, v144, v141
	v_fma_f32 v135, -v135, v142, v143
	s_delay_alu instid0(VALU_DEP_1) | instskip(NEXT) | instid1(VALU_DEP_1)
	v_div_fmas_f32 v135, v135, v141, v142
	v_div_fixup_f32 v135, v135, v132, v133
	s_delay_alu instid0(VALU_DEP_1) | instskip(NEXT) | instid1(VALU_DEP_1)
	v_fmac_f32_e32 v132, v133, v135
	v_div_scale_f32 v133, null, v132, v132, 1.0
	s_delay_alu instid0(VALU_DEP_1) | instskip(SKIP_1) | instid1(TRANS32_DEP_1)
	v_rcp_f32_e32 v141, v133
	v_nop
	v_fma_f32 v142, -v133, v141, 1.0
	s_delay_alu instid0(VALU_DEP_1) | instskip(SKIP_1) | instid1(VALU_DEP_1)
	v_fmac_f32_e32 v141, v142, v141
	v_div_scale_f32 v142, vcc_lo, 1.0, v132, 1.0
	v_mul_f32_e32 v143, v142, v141
	s_delay_alu instid0(VALU_DEP_1) | instskip(NEXT) | instid1(VALU_DEP_1)
	v_fma_f32 v144, -v133, v143, v142
	v_fmac_f32_e32 v143, v144, v141
	s_delay_alu instid0(VALU_DEP_1) | instskip(NEXT) | instid1(VALU_DEP_1)
	v_fma_f32 v133, -v133, v143, v142
	v_div_fmas_f32 v133, v133, v141, v143
	s_delay_alu instid0(VALU_DEP_1) | instskip(NEXT) | instid1(VALU_DEP_1)
	v_div_fixup_f32 v132, v133, v132, 1.0
	v_mul_f32_e64 v133, v135, -v132
.LBB124_1290:
	s_or_b32 exec_lo, exec_lo, s1
.LBB124_1291:
	s_delay_alu instid0(SALU_CYCLE_1) | instskip(NEXT) | instid1(SALU_CYCLE_1)
	s_or_b32 exec_lo, exec_lo, s0
	s_mov_b32 s0, exec_lo
	v_cmpx_ne_u32_e64 v140, v134
	s_xor_b32 s0, exec_lo, s0
	s_cbranch_execz .LBB124_1297
; %bb.1292:
	s_mov_b32 s1, exec_lo
	v_cmpx_eq_u32_e32 61, v140
	s_cbranch_execz .LBB124_1296
; %bb.1293:
	v_cmp_ne_u32_e32 vcc_lo, 61, v134
	s_xor_b32 s12, s16, -1
	s_delay_alu instid0(SALU_CYCLE_1) | instskip(NEXT) | instid1(SALU_CYCLE_1)
	s_and_b32 s13, s12, vcc_lo
	s_and_saveexec_b32 s12, s13
	s_cbranch_execz .LBB124_1295
; %bb.1294:
	v_ashrrev_i32_e32 v135, 31, v134
	s_delay_alu instid0(VALU_DEP_1)
	v_lshl_add_u64 v[140:141], v[134:135], 2, v[4:5]
	s_clause 0x1
	global_load_b32 v135, v[140:141], off
	global_load_b32 v139, v[4:5], off offset:244
	s_wait_loadcnt 0x1
	global_store_b32 v[4:5], v135, off offset:244
	s_wait_loadcnt 0x0
	global_store_b32 v[140:141], v139, off
.LBB124_1295:
	s_wait_xcnt 0x0
	s_or_b32 exec_lo, exec_lo, s12
	v_dual_mov_b32 v140, v134 :: v_dual_mov_b32 v139, v134
.LBB124_1296:
	s_or_b32 exec_lo, exec_lo, s1
.LBB124_1297:
	s_and_not1_saveexec_b32 s0, s0
; %bb.1298:
	v_mov_b32_e32 v140, 61
	ds_store_b64 v136, v[130:131] offset:496
; %bb.1299:
	s_or_b32 exec_lo, exec_lo, s0
	s_delay_alu instid0(SALU_CYCLE_1)
	s_mov_b32 s0, exec_lo
	s_wait_storecnt_dscnt 0x0
	s_barrier_signal -1
	s_barrier_wait -1
	v_cmpx_lt_i32_e32 61, v140
	s_cbranch_execz .LBB124_1301
; %bb.1300:
	ds_load_b64 v[134:135], v136 offset:496
	v_pk_mul_f32 v[142:143], v[132:133], v[12:13] op_sel:[1,1] op_sel_hi:[0,1]
	s_delay_alu instid0(VALU_DEP_1) | instskip(SKIP_2) | instid1(VALU_DEP_2)
	v_pk_fma_f32 v[144:145], v[132:133], v[12:13], v[142:143] op_sel_hi:[1,0,1]
	v_pk_fma_f32 v[12:13], v[132:133], v[12:13], v[142:143] op_sel_hi:[1,0,1] neg_lo:[0,0,1] neg_hi:[0,0,1]
	s_wait_dscnt 0x0
	v_pk_mul_f32 v[132:133], v[134:135], v[144:145] op_sel:[1,1] op_sel_hi:[0,1]
	s_delay_alu instid0(VALU_DEP_1) | instskip(SKIP_1) | instid1(VALU_DEP_2)
	v_pk_fma_f32 v[142:143], v[134:135], v[12:13], v[132:133] op_sel_hi:[1,0,1]
	v_pk_fma_f32 v[132:133], v[134:135], v[12:13], v[132:133] neg_lo:[0,0,1] neg_hi:[0,0,1]
	v_dual_mov_b32 v13, v145 :: v_dual_mov_b32 v133, v143
	s_delay_alu instid0(VALU_DEP_1)
	v_pk_add_f32 v[130:131], v[130:131], v[132:133] neg_lo:[0,1] neg_hi:[0,1]
.LBB124_1301:
	s_or_b32 exec_lo, exec_lo, s0
	v_lshl_add_u32 v132, v140, 3, v136
	s_barrier_signal -1
	s_barrier_wait -1
	ds_store_b64 v132, v[130:131]
	s_wait_dscnt 0x0
	s_barrier_signal -1
	s_barrier_wait -1
	ds_load_b64 v[132:133], v136 offset:496
	v_mov_b32_e32 v134, 62
	s_cmp_lt_i32 s18, 64
	s_cbranch_scc1 .LBB124_1304
; %bb.1302:
	v_add3_u32 v135, v137, 0, 0x1f8
	v_mov_b32_e32 v134, 62
	s_mov_b32 s0, 63
.LBB124_1303:                           ; =>This Inner Loop Header: Depth=1
	ds_load_b64 v[136:137], v135
	s_wait_dscnt 0x1
	v_cmp_gt_f32_e32 vcc_lo, 0, v132
	v_cndmask_b32_e64 v142, v132, -v132, vcc_lo
	v_cmp_gt_f32_e32 vcc_lo, 0, v133
	v_cndmask_b32_e64 v144, v133, -v133, vcc_lo
	s_wait_dscnt 0x0
	v_cmp_gt_f32_e32 vcc_lo, 0, v136
	v_cndmask_b32_e64 v143, v136, -v136, vcc_lo
	v_cmp_gt_f32_e32 vcc_lo, 0, v137
	v_cndmask_b32_e64 v145, v137, -v137, vcc_lo
	s_delay_alu instid0(VALU_DEP_1) | instskip(NEXT) | instid1(VALU_DEP_1)
	v_pk_add_f32 v[142:143], v[142:143], v[144:145]
	v_cmp_lt_f32_e32 vcc_lo, v142, v143
	v_dual_add_nc_u32 v135, 8, v135 :: v_dual_cndmask_b32 v133, v133, v137, vcc_lo
	v_cndmask_b32_e32 v132, v132, v136, vcc_lo
	v_cndmask_b32_e64 v134, v134, s0, vcc_lo
	s_add_co_i32 s0, s0, 1
	s_delay_alu instid0(SALU_CYCLE_1)
	s_cmp_lg_u32 s18, s0
	s_cbranch_scc1 .LBB124_1303
.LBB124_1304:
	s_wait_dscnt 0x0
	v_cmp_eq_f32_e32 vcc_lo, 0, v132
	v_cmp_eq_f32_e64 s0, 0, v133
	s_and_b32 s0, vcc_lo, s0
	s_delay_alu instid0(SALU_CYCLE_1) | instskip(NEXT) | instid1(SALU_CYCLE_1)
	s_and_saveexec_b32 s1, s0
	s_xor_b32 s0, exec_lo, s1
; %bb.1305:
	v_cmp_ne_u32_e32 vcc_lo, 0, v138
	v_cndmask_b32_e32 v138, 63, v138, vcc_lo
; %bb.1306:
	s_and_not1_saveexec_b32 s0, s0
	s_cbranch_execz .LBB124_1312
; %bb.1307:
	v_cmp_ngt_f32_e64 s1, |v132|, |v133|
	s_and_saveexec_b32 s12, s1
	s_delay_alu instid0(SALU_CYCLE_1)
	s_xor_b32 s1, exec_lo, s12
	s_cbranch_execz .LBB124_1309
; %bb.1308:
	v_div_scale_f32 v135, null, v133, v133, v132
	v_div_scale_f32 v141, vcc_lo, v132, v133, v132
	s_delay_alu instid0(VALU_DEP_2) | instskip(SKIP_1) | instid1(TRANS32_DEP_1)
	v_rcp_f32_e32 v136, v135
	v_nop
	v_fma_f32 v137, -v135, v136, 1.0
	s_delay_alu instid0(VALU_DEP_1) | instskip(NEXT) | instid1(VALU_DEP_1)
	v_fmac_f32_e32 v136, v137, v136
	v_mul_f32_e32 v137, v141, v136
	s_delay_alu instid0(VALU_DEP_1) | instskip(NEXT) | instid1(VALU_DEP_1)
	v_fma_f32 v142, -v135, v137, v141
	v_fmac_f32_e32 v137, v142, v136
	s_delay_alu instid0(VALU_DEP_1) | instskip(NEXT) | instid1(VALU_DEP_1)
	v_fma_f32 v135, -v135, v137, v141
	v_div_fmas_f32 v135, v135, v136, v137
	s_delay_alu instid0(VALU_DEP_1) | instskip(NEXT) | instid1(VALU_DEP_1)
	v_div_fixup_f32 v135, v135, v133, v132
	v_fmac_f32_e32 v133, v132, v135
	s_delay_alu instid0(VALU_DEP_1) | instskip(SKIP_1) | instid1(VALU_DEP_2)
	v_div_scale_f32 v132, null, v133, v133, 1.0
	v_div_scale_f32 v141, vcc_lo, 1.0, v133, 1.0
	v_rcp_f32_e32 v136, v132
	v_nop
	s_delay_alu instid0(TRANS32_DEP_1) | instskip(NEXT) | instid1(VALU_DEP_1)
	v_fma_f32 v137, -v132, v136, 1.0
	v_fmac_f32_e32 v136, v137, v136
	s_delay_alu instid0(VALU_DEP_1) | instskip(NEXT) | instid1(VALU_DEP_1)
	v_mul_f32_e32 v137, v141, v136
	v_fma_f32 v142, -v132, v137, v141
	s_delay_alu instid0(VALU_DEP_1) | instskip(NEXT) | instid1(VALU_DEP_1)
	v_fmac_f32_e32 v137, v142, v136
	v_fma_f32 v132, -v132, v137, v141
	s_delay_alu instid0(VALU_DEP_1) | instskip(NEXT) | instid1(VALU_DEP_1)
	v_div_fmas_f32 v132, v132, v136, v137
	v_div_fixup_f32 v133, v132, v133, 1.0
	s_delay_alu instid0(VALU_DEP_1)
	v_mul_f32_e32 v132, v135, v133
	v_xor_b32_e32 v133, 0x80000000, v133
.LBB124_1309:
	s_and_not1_saveexec_b32 s1, s1
	s_cbranch_execz .LBB124_1311
; %bb.1310:
	s_delay_alu instid0(VALU_DEP_1) | instskip(SKIP_1) | instid1(VALU_DEP_2)
	v_div_scale_f32 v135, null, v132, v132, v133
	v_div_scale_f32 v141, vcc_lo, v133, v132, v133
	v_rcp_f32_e32 v136, v135
	v_nop
	s_delay_alu instid0(TRANS32_DEP_1) | instskip(NEXT) | instid1(VALU_DEP_1)
	v_fma_f32 v137, -v135, v136, 1.0
	v_fmac_f32_e32 v136, v137, v136
	s_delay_alu instid0(VALU_DEP_1) | instskip(NEXT) | instid1(VALU_DEP_1)
	v_mul_f32_e32 v137, v141, v136
	v_fma_f32 v142, -v135, v137, v141
	s_delay_alu instid0(VALU_DEP_1) | instskip(NEXT) | instid1(VALU_DEP_1)
	v_fmac_f32_e32 v137, v142, v136
	v_fma_f32 v135, -v135, v137, v141
	s_delay_alu instid0(VALU_DEP_1) | instskip(NEXT) | instid1(VALU_DEP_1)
	v_div_fmas_f32 v135, v135, v136, v137
	v_div_fixup_f32 v135, v135, v132, v133
	s_delay_alu instid0(VALU_DEP_1) | instskip(NEXT) | instid1(VALU_DEP_1)
	v_fmac_f32_e32 v132, v133, v135
	v_div_scale_f32 v133, null, v132, v132, 1.0
	s_delay_alu instid0(VALU_DEP_1) | instskip(SKIP_1) | instid1(TRANS32_DEP_1)
	v_rcp_f32_e32 v136, v133
	v_nop
	v_fma_f32 v137, -v133, v136, 1.0
	s_delay_alu instid0(VALU_DEP_1) | instskip(SKIP_1) | instid1(VALU_DEP_1)
	v_fmac_f32_e32 v136, v137, v136
	v_div_scale_f32 v137, vcc_lo, 1.0, v132, 1.0
	v_mul_f32_e32 v141, v137, v136
	s_delay_alu instid0(VALU_DEP_1) | instskip(NEXT) | instid1(VALU_DEP_1)
	v_fma_f32 v142, -v133, v141, v137
	v_fmac_f32_e32 v141, v142, v136
	s_delay_alu instid0(VALU_DEP_1) | instskip(NEXT) | instid1(VALU_DEP_1)
	v_fma_f32 v133, -v133, v141, v137
	v_div_fmas_f32 v133, v133, v136, v141
	s_delay_alu instid0(VALU_DEP_1) | instskip(NEXT) | instid1(VALU_DEP_1)
	v_div_fixup_f32 v132, v133, v132, 1.0
	v_mul_f32_e64 v133, v135, -v132
.LBB124_1311:
	s_or_b32 exec_lo, exec_lo, s1
.LBB124_1312:
	s_delay_alu instid0(SALU_CYCLE_1)
	s_or_b32 exec_lo, exec_lo, s0
	v_mov_b32_e32 v136, 62
	s_mov_b32 s0, exec_lo
	v_cmpx_ne_u32_e64 v140, v134
	s_cbranch_execz .LBB124_1318
; %bb.1313:
	s_mov_b32 s1, exec_lo
	v_cmpx_eq_u32_e32 62, v140
	s_cbranch_execz .LBB124_1317
; %bb.1314:
	v_cmp_ne_u32_e32 vcc_lo, 62, v134
	s_xor_b32 s12, s16, -1
	s_delay_alu instid0(SALU_CYCLE_1) | instskip(NEXT) | instid1(SALU_CYCLE_1)
	s_and_b32 s13, s12, vcc_lo
	s_and_saveexec_b32 s12, s13
	s_cbranch_execz .LBB124_1316
; %bb.1315:
	v_ashrrev_i32_e32 v135, 31, v134
	s_delay_alu instid0(VALU_DEP_1)
	v_lshl_add_u64 v[136:137], v[134:135], 2, v[4:5]
	s_clause 0x1
	global_load_b32 v135, v[136:137], off
	global_load_b32 v139, v[4:5], off offset:248
	s_wait_loadcnt 0x1
	global_store_b32 v[4:5], v135, off offset:248
	s_wait_loadcnt 0x0
	global_store_b32 v[136:137], v139, off
.LBB124_1316:
	s_wait_xcnt 0x0
	s_or_b32 exec_lo, exec_lo, s12
	v_dual_mov_b32 v140, v134 :: v_dual_mov_b32 v139, v134
.LBB124_1317:
	s_or_b32 exec_lo, exec_lo, s1
	s_delay_alu instid0(VALU_DEP_1)
	v_mov_b32_e32 v136, v140
.LBB124_1318:
	s_or_b32 exec_lo, exec_lo, s0
	s_delay_alu instid0(VALU_DEP_1)
	v_ashrrev_i32_e32 v137, 31, v136
	s_mov_b32 s0, exec_lo
	s_wait_storecnt 0x0
	s_barrier_signal -1
	s_barrier_wait -1
	s_barrier_signal -1
	s_barrier_wait -1
	v_cmpx_gt_i32_e32 63, v136
	s_cbranch_execz .LBB124_1320
; %bb.1319:
	v_mul_u64_e32 v[4:5], s[10:11], v[2:3]
	v_add3_u32 v134, v139, s17, 1
	s_delay_alu instid0(VALU_DEP_2) | instskip(NEXT) | instid1(VALU_DEP_1)
	v_lshl_add_u64 v[4:5], v[4:5], 2, s[6:7]
	v_lshl_add_u64 v[4:5], s[8:9], 2, v[4:5]
	s_delay_alu instid0(VALU_DEP_1)
	v_lshl_add_u64 v[4:5], v[136:137], 2, v[4:5]
	global_store_b32 v[4:5], v134, off
.LBB124_1320:
	s_wait_xcnt 0x0
	s_or_b32 exec_lo, exec_lo, s0
	s_delay_alu instid0(SALU_CYCLE_1)
	s_mov_b32 s1, exec_lo
	v_cmpx_eq_u32_e32 0, v136
	s_cbranch_execz .LBB124_1323
; %bb.1321:
	s_wait_kmcnt 0x0
	v_lshl_add_u64 v[2:3], v[2:3], 2, s[4:5]
	v_cmp_ne_u32_e64 s0, 0, v138
	global_load_b32 v4, v[2:3], off
	s_wait_loadcnt 0x0
	v_cmp_eq_u32_e32 vcc_lo, 0, v4
	s_and_b32 s0, vcc_lo, s0
	s_wait_xcnt 0x0
	s_and_b32 exec_lo, exec_lo, s0
	s_cbranch_execz .LBB124_1323
; %bb.1322:
	v_add_nc_u32_e32 v4, s17, v138
	global_store_b32 v[2:3], v4, off
.LBB124_1323:
	s_wait_xcnt 0x0
	s_or_b32 exec_lo, exec_lo, s1
	v_add3_u32 v4, s2, s2, v136
	v_pk_mul_f32 v[2:3], v[132:133], v[130:131] op_sel:[1,1] op_sel_hi:[0,1]
	v_cmp_lt_i32_e32 vcc_lo, 62, v136
	v_lshl_add_u64 v[136:137], v[136:137], 3, v[0:1]
	s_delay_alu instid0(VALU_DEP_4) | instskip(NEXT) | instid1(VALU_DEP_4)
	v_add_nc_u32_e32 v134, s2, v4
	v_pk_fma_f32 v[154:155], v[132:133], v[130:131], v[2:3] op_sel_hi:[1,0,1]
	v_pk_fma_f32 v[2:3], v[132:133], v[130:131], v[2:3] neg_lo:[0,0,1] neg_hi:[0,0,1]
	global_store_b64 v[136:137], v[128:129], off
	s_wait_xcnt 0x0
	v_lshl_add_u64 v[128:129], s[2:3], 3, v[136:137]
	v_dual_cndmask_b32 v3, v131, v155 :: v_dual_add_nc_u32 v138, s2, v134
	v_dual_cndmask_b32 v2, v130, v2 :: v_dual_ashrrev_i32 v5, 31, v4
	global_store_b64 v[128:129], v[126:127], off
	v_add_nc_u32_e32 v140, s2, v138
	v_ashrrev_i32_e32 v135, 31, v134
	v_lshl_add_u64 v[4:5], v[4:5], 3, v[0:1]
	s_delay_alu instid0(VALU_DEP_3)
	v_dual_add_nc_u32 v142, s2, v140 :: v_dual_ashrrev_i32 v139, 31, v138
	v_ashrrev_i32_e32 v141, 31, v140
	global_store_b64 v[4:5], v[124:125], off
	s_wait_xcnt 0x0
	v_lshl_add_u64 v[124:125], v[134:135], 3, v[0:1]
	v_add_nc_u32_e32 v144, s2, v142
	global_store_b64 v[124:125], v[122:123], off
	v_add_nc_u32_e32 v146, s2, v144
	s_wait_xcnt 0x0
	v_lshl_add_u64 v[124:125], v[138:139], 3, v[0:1]
	s_delay_alu instid0(VALU_DEP_2)
	v_add_nc_u32_e32 v148, s2, v146
	global_store_b64 v[124:125], v[120:121], off
	s_wait_xcnt 0x0
	v_lshl_add_u64 v[120:121], v[140:141], 3, v[0:1]
	v_add_nc_u32_e32 v150, s2, v148
	v_ashrrev_i32_e32 v145, 31, v144
	global_store_b64 v[120:121], v[118:119], off
	v_dual_add_nc_u32 v152, s2, v150 :: v_dual_ashrrev_i32 v151, 31, v150
	s_delay_alu instid0(VALU_DEP_1) | instskip(SKIP_1) | instid1(VALU_DEP_2)
	v_dual_ashrrev_i32 v153, 31, v152 :: v_dual_add_nc_u32 v132, s2, v152
	v_dual_ashrrev_i32 v143, 31, v142 :: v_dual_ashrrev_i32 v149, 31, v148
	v_add_nc_u32_e32 v130, s2, v132
	s_delay_alu instid0(VALU_DEP_2) | instskip(SKIP_1) | instid1(VALU_DEP_3)
	v_lshl_add_u64 v[140:141], v[142:143], 3, v[0:1]
	v_lshl_add_u64 v[142:143], v[144:145], 3, v[0:1]
	v_add_nc_u32_e32 v154, s2, v130
	s_delay_alu instid0(VALU_DEP_1) | instskip(SKIP_1) | instid1(VALU_DEP_2)
	v_dual_add_nc_u32 v136, s2, v154 :: v_dual_ashrrev_i32 v133, 31, v132
	v_ashrrev_i32_e32 v131, 31, v130
	v_dual_ashrrev_i32 v155, 31, v154 :: v_dual_add_nc_u32 v126, s2, v136
	s_delay_alu instid0(VALU_DEP_3) | instskip(NEXT) | instid1(VALU_DEP_3)
	v_lshl_add_u64 v[132:133], v[132:133], 3, v[0:1]
	v_lshl_add_u64 v[130:131], v[130:131], 3, v[0:1]
	s_delay_alu instid0(VALU_DEP_3) | instskip(SKIP_1) | instid1(VALU_DEP_1)
	v_dual_ashrrev_i32 v137, 31, v136 :: v_dual_ashrrev_i32 v127, 31, v126
	v_add_nc_u32_e32 v128, s2, v126
	v_add_nc_u32_e32 v4, s2, v128
	s_delay_alu instid0(VALU_DEP_1) | instskip(NEXT) | instid1(VALU_DEP_1)
	v_dual_add_nc_u32 v134, s2, v4 :: v_dual_ashrrev_i32 v5, 31, v4
	v_dual_add_nc_u32 v122, s2, v134 :: v_dual_ashrrev_i32 v135, 31, v134
	s_delay_alu instid0(VALU_DEP_2) | instskip(NEXT) | instid1(VALU_DEP_2)
	v_lshl_add_u64 v[4:5], v[4:5], 3, v[0:1]
	v_add_nc_u32_e32 v138, s2, v122
	s_delay_alu instid0(VALU_DEP_1) | instskip(SKIP_1) | instid1(VALU_DEP_1)
	v_add_nc_u32_e32 v124, s2, v138
	s_wait_xcnt 0x0
	v_dual_add_nc_u32 v118, s2, v124 :: v_dual_ashrrev_i32 v125, 31, v124
	s_delay_alu instid0(VALU_DEP_1) | instskip(SKIP_1) | instid1(VALU_DEP_1)
	v_add_nc_u32_e32 v120, s2, v118
	v_ashrrev_i32_e32 v147, 31, v146
	v_lshl_add_u64 v[144:145], v[146:147], 3, v[0:1]
	v_lshl_add_u64 v[146:147], v[148:149], 3, v[0:1]
	s_delay_alu instid0(VALU_DEP_4)
	v_add_nc_u32_e32 v148, s2, v120
	s_clause 0x3
	global_store_b64 v[140:141], v[72:73], off
	global_store_b64 v[142:143], v[70:71], off
	;; [unrolled: 1-line block ×4, first 2 shown]
	s_wait_xcnt 0x0
	v_lshl_add_u64 v[114:115], v[150:151], 3, v[0:1]
	v_lshl_add_u64 v[116:117], v[152:153], 3, v[0:1]
	s_clause 0x3
	global_store_b64 v[114:115], v[64:65], off
	global_store_b64 v[116:117], v[62:63], off
	;; [unrolled: 1-line block ×4, first 2 shown]
	v_add_nc_u32_e32 v70, s2, v148
	s_wait_xcnt 0x0
	v_lshl_add_u64 v[110:111], v[154:155], 3, v[0:1]
	v_lshl_add_u64 v[114:115], v[126:127], 3, v[0:1]
	;; [unrolled: 1-line block ×3, first 2 shown]
	v_dual_ashrrev_i32 v119, 31, v118 :: v_dual_ashrrev_i32 v121, 31, v120
	v_dual_add_nc_u32 v72, s2, v70 :: v_dual_ashrrev_i32 v71, 31, v70
	s_delay_alu instid0(VALU_DEP_1) | instskip(NEXT) | instid1(VALU_DEP_1)
	v_add_nc_u32_e32 v140, s2, v72
	v_add_nc_u32_e32 v62, s2, v140
	s_delay_alu instid0(VALU_DEP_1) | instskip(NEXT) | instid1(VALU_DEP_1)
	v_dual_ashrrev_i32 v129, 31, v128 :: v_dual_add_nc_u32 v64, s2, v62
	v_lshl_add_u64 v[116:117], v[128:129], 3, v[0:1]
	s_clause 0x3
	global_store_b64 v[110:111], v[60:61], off
	global_store_b64 v[112:113], v[58:59], off
	;; [unrolled: 1-line block ×4, first 2 shown]
	s_wait_xcnt 0x0
	v_lshl_add_u64 v[106:107], v[134:135], 3, v[0:1]
	v_dual_add_nc_u32 v126, s2, v64 :: v_dual_ashrrev_i32 v63, 31, v62
	s_delay_alu instid0(VALU_DEP_1) | instskip(NEXT) | instid1(VALU_DEP_2)
	v_dual_add_nc_u32 v58, s2, v126 :: v_dual_ashrrev_i32 v65, 31, v64
	v_lshl_add_u64 v[62:63], v[62:63], 3, v[0:1]
	v_ashrrev_i32_e32 v127, 31, v126
	s_delay_alu instid0(VALU_DEP_3) | instskip(SKIP_1) | instid1(VALU_DEP_2)
	v_add_nc_u32_e32 v60, s2, v58
	v_ashrrev_i32_e32 v123, 31, v122
	v_dual_ashrrev_i32 v59, 31, v58 :: v_dual_add_nc_u32 v112, s2, v60
	v_ashrrev_i32_e32 v139, 31, v138
	s_delay_alu instid0(VALU_DEP_3) | instskip(NEXT) | instid1(VALU_DEP_3)
	v_lshl_add_u64 v[108:109], v[122:123], 3, v[0:1]
	v_lshl_add_u64 v[58:59], v[58:59], 3, v[0:1]
	s_delay_alu instid0(VALU_DEP_3)
	v_lshl_add_u64 v[110:111], v[138:139], 3, v[0:1]
	s_clause 0x3
	global_store_b64 v[4:5], v[56:57], off
	global_store_b64 v[106:107], v[54:55], off
	;; [unrolled: 1-line block ×4, first 2 shown]
	s_wait_xcnt 0x3
	v_add_nc_u32_e32 v4, s2, v112
	v_lshl_add_u64 v[56:57], v[124:125], 3, v[0:1]
	s_wait_xcnt 0x0
	v_lshl_add_u64 v[102:103], v[118:119], 3, v[0:1]
	v_lshl_add_u64 v[104:105], v[120:121], 3, v[0:1]
	v_add_nc_u32_e32 v54, s2, v4
	s_delay_alu instid0(VALU_DEP_1) | instskip(NEXT) | instid1(VALU_DEP_1)
	v_dual_ashrrev_i32 v149, 31, v148 :: v_dual_add_nc_u32 v108, s2, v54
	v_lshl_add_u64 v[106:107], v[148:149], 3, v[0:1]
	s_clause 0x3
	global_store_b64 v[56:57], v[52:53], off
	global_store_b64 v[102:103], v[50:51], off
	;; [unrolled: 1-line block ×4, first 2 shown]
	s_wait_xcnt 0x3
	v_lshl_add_u64 v[56:57], v[70:71], 3, v[0:1]
	s_wait_xcnt 0x2
	v_add_nc_u32_e32 v50, s2, v108
	v_dual_ashrrev_i32 v73, 31, v72 :: v_dual_ashrrev_i32 v55, 31, v54
	s_delay_alu instid0(VALU_DEP_2) | instskip(NEXT) | instid1(VALU_DEP_2)
	v_add_nc_u32_e32 v52, s2, v50
	v_lshl_add_u64 v[70:71], v[72:73], 3, v[0:1]
	v_ashrrev_i32_e32 v51, 31, v50
	s_delay_alu instid0(VALU_DEP_4) | instskip(SKIP_3) | instid1(VALU_DEP_2)
	v_lshl_add_u64 v[54:55], v[54:55], 3, v[0:1]
	s_wait_xcnt 0x0
	v_add_nc_u32_e32 v98, s2, v52
	v_ashrrev_i32_e32 v141, 31, v140
	v_dual_ashrrev_i32 v5, 31, v4 :: v_dual_ashrrev_i32 v99, 31, v98
	s_delay_alu instid0(VALU_DEP_2)
	v_lshl_add_u64 v[72:73], v[140:141], 3, v[0:1]
	s_clause 0x3
	global_store_b64 v[56:57], v[48:49], off
	global_store_b64 v[70:71], v[46:47], off
	;; [unrolled: 1-line block ×4, first 2 shown]
	s_wait_xcnt 0x2
	v_dual_add_nc_u32 v46, s2, v98 :: v_dual_ashrrev_i32 v61, 31, v60
	v_lshl_add_u64 v[56:57], v[64:65], 3, v[0:1]
	s_wait_xcnt 0x0
	v_lshl_add_u64 v[62:63], v[126:127], 3, v[0:1]
	s_delay_alu instid0(VALU_DEP_3)
	v_dual_ashrrev_i32 v109, 31, v108 :: v_dual_ashrrev_i32 v47, 31, v46
	v_add_nc_u32_e32 v48, s2, v46
	v_lshl_add_u64 v[60:61], v[60:61], 3, v[0:1]
	s_clause 0x3
	global_store_b64 v[56:57], v[44:45], off
	global_store_b64 v[62:63], v[42:43], off
	global_store_b64 v[58:59], v[92:93], off
	global_store_b64 v[60:61], v[90:91], off
	v_lshl_add_u64 v[4:5], v[4:5], 3, v[0:1]
	v_add_nc_u32_e32 v64, s2, v48
	s_wait_xcnt 0x1
	v_lshl_add_u64 v[58:59], v[108:109], 3, v[0:1]
	v_lshl_add_u64 v[46:47], v[46:47], 3, v[0:1]
	v_ashrrev_i32_e32 v49, 31, v48
	v_add_nc_u32_e32 v42, s2, v64
	v_ashrrev_i32_e32 v113, 31, v112
	s_delay_alu instid0(VALU_DEP_2) | instskip(SKIP_1) | instid1(VALU_DEP_3)
	v_dual_ashrrev_i32 v53, 31, v52 :: v_dual_ashrrev_i32 v43, 31, v42
	v_add_nc_u32_e32 v44, s2, v42
	v_lshl_add_u64 v[56:57], v[112:113], 3, v[0:1]
	s_clause 0x3
	global_store_b64 v[56:57], v[40:41], off
	global_store_b64 v[4:5], v[38:39], off
	;; [unrolled: 1-line block ×4, first 2 shown]
	s_wait_xcnt 0x4
	v_add_nc_u32_e32 v60, s2, v44
	s_wait_xcnt 0x3
	v_lshl_add_u64 v[40:41], v[50:51], 3, v[0:1]
	v_lshl_add_u64 v[50:51], v[52:53], 3, v[0:1]
	v_lshl_add_u64 v[52:53], v[98:99], 3, v[0:1]
	s_clause 0x3
	global_store_b64 v[40:41], v[36:37], off
	global_store_b64 v[50:51], v[32:33], off
	;; [unrolled: 1-line block ×4, first 2 shown]
	s_wait_xcnt 0x6
	v_add_nc_u32_e32 v4, s2, v60
	s_wait_xcnt 0x3
	v_lshl_add_u64 v[40:41], v[48:49], 3, v[0:1]
	v_lshl_add_u64 v[42:43], v[42:43], 3, v[0:1]
	s_delay_alu instid0(VALU_DEP_3) | instskip(NEXT) | instid1(VALU_DEP_1)
	v_add_nc_u32_e32 v38, s2, v4
	v_dual_add_nc_u32 v54, s2, v38 :: v_dual_ashrrev_i32 v45, 31, v44
	s_wait_xcnt 0x2
	s_delay_alu instid0(VALU_DEP_1) | instskip(SKIP_3) | instid1(VALU_DEP_4)
	v_dual_ashrrev_i32 v55, 31, v54 :: v_dual_add_nc_u32 v32, s2, v54
	v_ashrrev_i32_e32 v5, 31, v4
	v_dual_ashrrev_i32 v65, 31, v64 :: v_dual_ashrrev_i32 v39, 31, v38
	v_lshl_add_u64 v[44:45], v[44:45], 3, v[0:1]
	v_add_nc_u32_e32 v36, s2, v32
	s_delay_alu instid0(VALU_DEP_4)
	v_lshl_add_u64 v[4:5], v[4:5], 3, v[0:1]
	s_wait_xcnt 0x0
	v_lshl_add_u64 v[46:47], v[64:65], 3, v[0:1]
	s_clause 0x3
	global_store_b64 v[40:41], v[24:25], off
	global_store_b64 v[46:47], v[22:23], off
	;; [unrolled: 1-line block ×4, first 2 shown]
	v_add_nc_u32_e32 v48, s2, v36
	v_lshl_add_u64 v[38:39], v[38:39], 3, v[0:1]
	s_wait_xcnt 0x1
	v_lshl_add_u64 v[42:43], v[54:55], 3, v[0:1]
	s_delay_alu instid0(VALU_DEP_3) | instskip(NEXT) | instid1(VALU_DEP_1)
	v_add_nc_u32_e32 v22, s2, v48
	v_dual_ashrrev_i32 v61, 31, v60 :: v_dual_ashrrev_i32 v23, 31, v22
	v_add_nc_u32_e32 v24, s2, v22
	s_delay_alu instid0(VALU_DEP_2)
	v_lshl_add_u64 v[40:41], v[60:61], 3, v[0:1]
	s_clause 0x3
	global_store_b64 v[40:41], v[20:21], off
	global_store_b64 v[4:5], v[18:19], off
	;; [unrolled: 1-line block ×4, first 2 shown]
	s_wait_xcnt 0x4
	v_add_nc_u32_e32 v44, s2, v24
	v_ashrrev_i32_e32 v37, 31, v36
	v_lshl_add_u64 v[22:23], v[22:23], 3, v[0:1]
	v_ashrrev_i32_e32 v25, 31, v24
	s_wait_xcnt 0x2
	v_add_nc_u32_e32 v4, s2, v44
	s_delay_alu instid0(VALU_DEP_1) | instskip(NEXT) | instid1(VALU_DEP_1)
	v_add_nc_u32_e32 v18, s2, v4
	v_dual_ashrrev_i32 v33, 31, v32 :: v_dual_ashrrev_i32 v19, 31, v18
	s_wait_xcnt 0x1
	v_dual_add_nc_u32 v38, s2, v18 :: v_dual_ashrrev_i32 v49, 31, v48
	s_delay_alu instid0(VALU_DEP_2) | instskip(SKIP_1) | instid1(VALU_DEP_3)
	v_lshl_add_u64 v[20:21], v[32:33], 3, v[0:1]
	v_lshl_add_u64 v[32:33], v[36:37], 3, v[0:1]
	v_dual_ashrrev_i32 v45, 31, v44 :: v_dual_ashrrev_i32 v39, 31, v38
	s_delay_alu instid0(VALU_DEP_4)
	v_lshl_add_u64 v[36:37], v[48:49], 3, v[0:1]
	s_clause 0x3
	global_store_b64 v[20:21], v[16:17], off
	global_store_b64 v[32:33], v[28:29], off
	;; [unrolled: 1-line block ×4, first 2 shown]
	s_wait_xcnt 0x3
	v_dual_add_nc_u32 v16, s2, v38 :: v_dual_ashrrev_i32 v5, 31, v4
	s_wait_xcnt 0x0
	v_lshl_add_u64 v[22:23], v[24:25], 3, v[0:1]
	v_lshl_add_u64 v[24:25], v[44:45], 3, v[0:1]
	;; [unrolled: 1-line block ×3, first 2 shown]
	v_dual_add_nc_u32 v20, s2, v16 :: v_dual_ashrrev_i32 v17, 31, v16
	v_lshl_add_u64 v[4:5], v[4:5], 3, v[0:1]
	s_clause 0x3
	global_store_b64 v[22:23], v[10:11], off
	global_store_b64 v[24:25], v[8:9], off
	;; [unrolled: 1-line block ×4, first 2 shown]
	v_dual_add_nc_u32 v28, s2, v20 :: v_dual_ashrrev_i32 v21, 31, v20
	s_wait_xcnt 0x2
	v_lshl_add_u64 v[8:9], v[38:39], 3, v[0:1]
	v_lshl_add_u64 v[10:11], v[16:17], 3, v[0:1]
	s_wait_xcnt 0x1
	v_dual_add_nc_u32 v4, s2, v28 :: v_dual_ashrrev_i32 v29, 31, v28
	v_lshl_add_u64 v[16:17], v[20:21], 3, v[0:1]
	s_delay_alu instid0(VALU_DEP_2) | instskip(SKIP_1) | instid1(VALU_DEP_3)
	v_ashrrev_i32_e32 v5, 31, v4
	s_wait_xcnt 0x0
	v_lshl_add_u64 v[18:19], v[28:29], 3, v[0:1]
	s_delay_alu instid0(VALU_DEP_2)
	v_lshl_add_u64 v[0:1], v[4:5], 3, v[0:1]
	s_clause 0x4
	global_store_b64 v[8:9], v[6:7], off
	global_store_b64 v[10:11], v[26:27], off
	;; [unrolled: 1-line block ×5, first 2 shown]
.LBB124_1324:
	s_sendmsg sendmsg(MSG_DEALLOC_VGPRS)
	s_endpgm
	.section	.rodata,"a",@progbits
	.p2align	6, 0x0
	.amdhsa_kernel _ZN9rocsolver6v33100L18getf2_small_kernelILi63E19rocblas_complex_numIfEiiPS3_EEvT1_T3_lS5_lPS5_llPT2_S5_S5_S7_l
		.amdhsa_group_segment_fixed_size 0
		.amdhsa_private_segment_fixed_size 0
		.amdhsa_kernarg_size 352
		.amdhsa_user_sgpr_count 2
		.amdhsa_user_sgpr_dispatch_ptr 0
		.amdhsa_user_sgpr_queue_ptr 0
		.amdhsa_user_sgpr_kernarg_segment_ptr 1
		.amdhsa_user_sgpr_dispatch_id 0
		.amdhsa_user_sgpr_kernarg_preload_length 0
		.amdhsa_user_sgpr_kernarg_preload_offset 0
		.amdhsa_user_sgpr_private_segment_size 0
		.amdhsa_wavefront_size32 1
		.amdhsa_uses_dynamic_stack 0
		.amdhsa_enable_private_segment 0
		.amdhsa_system_sgpr_workgroup_id_x 1
		.amdhsa_system_sgpr_workgroup_id_y 1
		.amdhsa_system_sgpr_workgroup_id_z 0
		.amdhsa_system_sgpr_workgroup_info 0
		.amdhsa_system_vgpr_workitem_id 1
		.amdhsa_next_free_vgpr 160
		.amdhsa_next_free_sgpr 19
		.amdhsa_named_barrier_count 0
		.amdhsa_reserve_vcc 1
		.amdhsa_float_round_mode_32 0
		.amdhsa_float_round_mode_16_64 0
		.amdhsa_float_denorm_mode_32 3
		.amdhsa_float_denorm_mode_16_64 3
		.amdhsa_fp16_overflow 0
		.amdhsa_memory_ordered 1
		.amdhsa_forward_progress 1
		.amdhsa_inst_pref_size 255
		.amdhsa_round_robin_scheduling 0
		.amdhsa_exception_fp_ieee_invalid_op 0
		.amdhsa_exception_fp_denorm_src 0
		.amdhsa_exception_fp_ieee_div_zero 0
		.amdhsa_exception_fp_ieee_overflow 0
		.amdhsa_exception_fp_ieee_underflow 0
		.amdhsa_exception_fp_ieee_inexact 0
		.amdhsa_exception_int_div_zero 0
	.end_amdhsa_kernel
	.section	.text._ZN9rocsolver6v33100L18getf2_small_kernelILi63E19rocblas_complex_numIfEiiPS3_EEvT1_T3_lS5_lPS5_llPT2_S5_S5_S7_l,"axG",@progbits,_ZN9rocsolver6v33100L18getf2_small_kernelILi63E19rocblas_complex_numIfEiiPS3_EEvT1_T3_lS5_lPS5_llPT2_S5_S5_S7_l,comdat
.Lfunc_end124:
	.size	_ZN9rocsolver6v33100L18getf2_small_kernelILi63E19rocblas_complex_numIfEiiPS3_EEvT1_T3_lS5_lPS5_llPT2_S5_S5_S7_l, .Lfunc_end124-_ZN9rocsolver6v33100L18getf2_small_kernelILi63E19rocblas_complex_numIfEiiPS3_EEvT1_T3_lS5_lPS5_llPT2_S5_S5_S7_l
                                        ; -- End function
	.set _ZN9rocsolver6v33100L18getf2_small_kernelILi63E19rocblas_complex_numIfEiiPS3_EEvT1_T3_lS5_lPS5_llPT2_S5_S5_S7_l.num_vgpr, 160
	.set _ZN9rocsolver6v33100L18getf2_small_kernelILi63E19rocblas_complex_numIfEiiPS3_EEvT1_T3_lS5_lPS5_llPT2_S5_S5_S7_l.num_agpr, 0
	.set _ZN9rocsolver6v33100L18getf2_small_kernelILi63E19rocblas_complex_numIfEiiPS3_EEvT1_T3_lS5_lPS5_llPT2_S5_S5_S7_l.numbered_sgpr, 19
	.set _ZN9rocsolver6v33100L18getf2_small_kernelILi63E19rocblas_complex_numIfEiiPS3_EEvT1_T3_lS5_lPS5_llPT2_S5_S5_S7_l.num_named_barrier, 0
	.set _ZN9rocsolver6v33100L18getf2_small_kernelILi63E19rocblas_complex_numIfEiiPS3_EEvT1_T3_lS5_lPS5_llPT2_S5_S5_S7_l.private_seg_size, 0
	.set _ZN9rocsolver6v33100L18getf2_small_kernelILi63E19rocblas_complex_numIfEiiPS3_EEvT1_T3_lS5_lPS5_llPT2_S5_S5_S7_l.uses_vcc, 1
	.set _ZN9rocsolver6v33100L18getf2_small_kernelILi63E19rocblas_complex_numIfEiiPS3_EEvT1_T3_lS5_lPS5_llPT2_S5_S5_S7_l.uses_flat_scratch, 0
	.set _ZN9rocsolver6v33100L18getf2_small_kernelILi63E19rocblas_complex_numIfEiiPS3_EEvT1_T3_lS5_lPS5_llPT2_S5_S5_S7_l.has_dyn_sized_stack, 0
	.set _ZN9rocsolver6v33100L18getf2_small_kernelILi63E19rocblas_complex_numIfEiiPS3_EEvT1_T3_lS5_lPS5_llPT2_S5_S5_S7_l.has_recursion, 0
	.set _ZN9rocsolver6v33100L18getf2_small_kernelILi63E19rocblas_complex_numIfEiiPS3_EEvT1_T3_lS5_lPS5_llPT2_S5_S5_S7_l.has_indirect_call, 0
	.section	.AMDGPU.csdata,"",@progbits
; Kernel info:
; codeLenInByte = 175936
; TotalNumSgprs: 21
; NumVgprs: 160
; ScratchSize: 0
; MemoryBound: 0
; FloatMode: 240
; IeeeMode: 1
; LDSByteSize: 0 bytes/workgroup (compile time only)
; SGPRBlocks: 0
; VGPRBlocks: 9
; NumSGPRsForWavesPerEU: 21
; NumVGPRsForWavesPerEU: 160
; NamedBarCnt: 0
; Occupancy: 6
; WaveLimiterHint : 0
; COMPUTE_PGM_RSRC2:SCRATCH_EN: 0
; COMPUTE_PGM_RSRC2:USER_SGPR: 2
; COMPUTE_PGM_RSRC2:TRAP_HANDLER: 0
; COMPUTE_PGM_RSRC2:TGID_X_EN: 1
; COMPUTE_PGM_RSRC2:TGID_Y_EN: 1
; COMPUTE_PGM_RSRC2:TGID_Z_EN: 0
; COMPUTE_PGM_RSRC2:TIDIG_COMP_CNT: 1
	.section	.text._ZN9rocsolver6v33100L23getf2_npvt_small_kernelILi63E19rocblas_complex_numIfEiiPS3_EEvT1_T3_lS5_lPT2_S5_S5_,"axG",@progbits,_ZN9rocsolver6v33100L23getf2_npvt_small_kernelILi63E19rocblas_complex_numIfEiiPS3_EEvT1_T3_lS5_lPT2_S5_S5_,comdat
	.globl	_ZN9rocsolver6v33100L23getf2_npvt_small_kernelILi63E19rocblas_complex_numIfEiiPS3_EEvT1_T3_lS5_lPT2_S5_S5_ ; -- Begin function _ZN9rocsolver6v33100L23getf2_npvt_small_kernelILi63E19rocblas_complex_numIfEiiPS3_EEvT1_T3_lS5_lPT2_S5_S5_
	.p2align	8
	.type	_ZN9rocsolver6v33100L23getf2_npvt_small_kernelILi63E19rocblas_complex_numIfEiiPS3_EEvT1_T3_lS5_lPT2_S5_S5_,@function
_ZN9rocsolver6v33100L23getf2_npvt_small_kernelILi63E19rocblas_complex_numIfEiiPS3_EEvT1_T3_lS5_lPT2_S5_S5_: ; @_ZN9rocsolver6v33100L23getf2_npvt_small_kernelILi63E19rocblas_complex_numIfEiiPS3_EEvT1_T3_lS5_lPT2_S5_S5_
; %bb.0:
	s_clause 0x1
	s_load_u16 s13, s[0:1], 0x46
	s_load_b64 s[2:3], s[0:1], 0x30
	s_bfe_u32 s4, ttmp6, 0x40010
	s_bfe_u32 s5, ttmp6, 0x40004
	s_add_co_i32 s4, s4, 1
	s_getreg_b32 s6, hwreg(HW_REG_IB_STS2, 6, 4)
	s_mul_i32 s4, ttmp7, s4
	v_bfe_u32 v1, v0, 10, 10
	s_add_co_i32 s5, s5, s4
	s_cmp_eq_u32 s6, 0
	s_cselect_b32 s4, ttmp7, s5
	s_wait_kmcnt 0x0
	v_mad_u32 v124, s4, s13, v1
	s_delay_alu instid0(VALU_DEP_1)
	v_cmp_gt_i32_e32 vcc_lo, s2, v124
	s_and_saveexec_b32 s2, vcc_lo
	s_cbranch_execnz .LBB125_1
; %bb.571:
	s_add_pc_i64 .LBB125_570-.Lpost_addpc17
.Lpost_addpc17:
.LBB125_1:
	s_clause 0x1
	s_load_b32 s12, s[0:1], 0x18
	s_load_b128 s[8:11], s[0:1], 0x8
	v_and_b32_e32 v254, 0x3ff, v0
	s_load_b128 s[4:7], s[0:1], 0x20
	s_wait_xcnt 0x0
	s_mul_i32 s0, s13, 0x1f8
	v_dual_mov_b32 v31, 0 :: v_dual_lshlrev_b32 v0, 3, v1
	v_cmp_ne_u32_e64 s1, 0, v254
	s_delay_alu instid0(VALU_DEP_2) | instskip(SKIP_4) | instid1(VALU_DEP_1)
	v_add3_u32 v255, 0, s0, v0
	v_cmp_eq_u32_e64 s0, 0, v254
	s_wait_kmcnt 0x0
	v_add3_u32 v2, s12, s12, v254
	s_ashr_i32 s13, s12, 31
	v_add_nc_u32_e32 v4, s12, v2
	s_delay_alu instid0(VALU_DEP_1) | instskip(NEXT) | instid1(VALU_DEP_1)
	v_add_nc_u32_e32 v6, s12, v4
	v_add_nc_u32_e32 v8, s12, v6
	s_delay_alu instid0(VALU_DEP_1) | instskip(NEXT) | instid1(VALU_DEP_1)
	v_dual_add_nc_u32 v10, s12, v8 :: v_dual_ashrrev_i32 v3, 31, v2
	v_dual_ashrrev_i32 v5, 31, v4 :: v_dual_add_nc_u32 v12, s12, v10
	s_delay_alu instid0(VALU_DEP_1) | instskip(SKIP_1) | instid1(VALU_DEP_2)
	v_dual_ashrrev_i32 v11, 31, v10 :: v_dual_add_nc_u32 v14, s12, v12
	v_ashrrev_i32_e32 v125, 31, v124
	v_dual_ashrrev_i32 v9, 31, v8 :: v_dual_add_nc_u32 v16, s12, v14
	s_delay_alu instid0(VALU_DEP_2) | instskip(NEXT) | instid1(VALU_DEP_2)
	v_mul_u64_e32 v[18:19], s[4:5], v[124:125]
	v_dual_ashrrev_i32 v15, 31, v14 :: v_dual_ashrrev_i32 v17, 31, v16
	v_add_nc_u32_e32 v20, s12, v16
	s_delay_alu instid0(VALU_DEP_1) | instskip(NEXT) | instid1(VALU_DEP_1)
	v_add_nc_u32_e32 v22, s12, v20
	v_dual_add_nc_u32 v24, s12, v22 :: v_dual_ashrrev_i32 v21, 31, v20
	s_delay_alu instid0(VALU_DEP_1) | instskip(NEXT) | instid1(VALU_DEP_1)
	v_add_nc_u32_e32 v26, s12, v24
	v_add_nc_u32_e32 v28, s12, v26
	v_lshlrev_b32_e32 v30, 3, v254
	v_ashrrev_i32_e32 v23, 31, v22
	s_delay_alu instid0(VALU_DEP_3) | instskip(SKIP_2) | instid1(VALU_DEP_3)
	v_dual_ashrrev_i32 v27, 31, v26 :: v_dual_add_nc_u32 v32, s12, v28
	v_ashrrev_i32_e32 v7, 31, v6
	v_lshl_add_u64 v[18:19], v[18:19], 3, s[8:9]
	v_add_nc_u32_e32 v34, s12, v32
	v_ashrrev_i32_e32 v13, 31, v12
	s_delay_alu instid0(VALU_DEP_3) | instskip(NEXT) | instid1(VALU_DEP_3)
	v_lshl_add_u64 v[18:19], s[10:11], 3, v[18:19]
	v_dual_ashrrev_i32 v29, 31, v28 :: v_dual_ashrrev_i32 v35, 31, v34
	v_add_nc_u32_e32 v36, s12, v34
	s_delay_alu instid0(VALU_DEP_3)
	v_add_nc_u64_e32 v[42:43], v[18:19], v[30:31]
	v_lshl_add_u64 v[30:31], v[2:3], 3, v[18:19]
	v_lshl_add_u64 v[44:45], v[4:5], 3, v[18:19]
	;; [unrolled: 1-line block ×3, first 2 shown]
	v_add_nc_u32_e32 v2, s12, v36
	v_lshl_add_u64 v[38:39], v[8:9], 3, v[18:19]
	v_lshl_add_u64 v[40:41], v[10:11], 3, v[18:19]
	;; [unrolled: 1-line block ×4, first 2 shown]
	v_dual_add_nc_u32 v4, s12, v2 :: v_dual_ashrrev_i32 v3, 31, v2
	v_lshl_add_u64 v[16:17], v[16:17], 3, v[18:19]
	v_lshl_add_u64 v[20:21], v[20:21], 3, v[18:19]
	;; [unrolled: 1-line block ×3, first 2 shown]
	s_delay_alu instid0(VALU_DEP_4)
	v_add_nc_u32_e32 v6, s12, v4
	v_ashrrev_i32_e32 v25, 31, v24
	v_lshl_add_u64 v[52:53], v[2:3], 3, v[18:19]
	v_ashrrev_i32_e32 v37, 31, v36
	v_lshl_add_u64 v[26:27], v[26:27], 3, v[18:19]
	v_dual_add_nc_u32 v8, s12, v6 :: v_dual_ashrrev_i32 v7, 31, v6
	v_lshl_add_u64 v[24:25], v[24:25], 3, v[18:19]
	v_lshl_add_u64 v[28:29], v[28:29], 3, v[18:19]
	v_lshl_add_u64 v[34:35], v[34:35], 3, v[18:19]
	s_delay_alu instid0(VALU_DEP_4)
	v_add_nc_u32_e32 v10, s12, v8
	v_ashrrev_i32_e32 v33, 31, v32
	v_lshl_add_u64 v[56:57], v[6:7], 3, v[18:19]
	v_lshl_add_u64 v[36:37], v[36:37], 3, v[18:19]
	s_clause 0x3
	global_load_b64 v[134:135], v[46:47], off
	global_load_b64 v[128:129], v[48:49], off
	global_load_b64 v[136:137], v[50:51], off
	global_load_b64 v[164:165], v[52:53], off
	v_dual_add_nc_u32 v12, s12, v10 :: v_dual_ashrrev_i32 v11, 31, v10
	v_lshl_add_u64 v[32:33], v[32:33], 3, v[18:19]
	s_clause 0x3
	global_load_b64 v[130:131], v[38:39], off
	global_load_b64 v[132:133], v[40:41], off
	;; [unrolled: 1-line block ×4, first 2 shown]
	v_add_nc_u32_e32 v14, s12, v12
	v_ashrrev_i32_e32 v5, 31, v4
	v_lshl_add_u64 v[60:61], v[10:11], 3, v[18:19]
	v_ashrrev_i32_e32 v13, 31, v12
	s_clause 0x3
	global_load_b64 v[140:141], v[30:31], off
	global_load_b64 v[158:159], v[32:33], off
	;; [unrolled: 1-line block ×4, first 2 shown]
	v_dual_add_nc_u32 v2, s12, v14 :: v_dual_ashrrev_i32 v9, 31, v8
	v_lshl_add_u64 v[54:55], v[4:5], 3, v[18:19]
	v_ashrrev_i32_e32 v15, 31, v14
	v_lshl_add_u64 v[12:13], v[12:13], 3, v[18:19]
	s_delay_alu instid0(VALU_DEP_4) | instskip(SKIP_1) | instid1(VALU_DEP_4)
	v_dual_add_nc_u32 v4, s12, v2 :: v_dual_ashrrev_i32 v3, 31, v2
	v_lshl_add_u64 v[58:59], v[8:9], 3, v[18:19]
	v_lshl_add_u64 v[14:15], v[14:15], 3, v[18:19]
	s_clause 0x2
	global_load_b64 v[146:147], v[16:17], off
	global_load_b64 v[148:149], v[20:21], off
	;; [unrolled: 1-line block ×3, first 2 shown]
	v_dual_add_nc_u32 v6, s12, v4 :: v_dual_ashrrev_i32 v5, 31, v4
	v_lshl_add_u64 v[62:63], v[2:3], 3, v[18:19]
	s_clause 0x3
	global_load_b64 v[150:151], v[22:23], off
	global_load_b64 v[152:153], v[24:25], off
	;; [unrolled: 1-line block ×4, first 2 shown]
	v_add_nc_u32_e32 v2, s12, v6
	v_lshl_add_u64 v[64:65], v[4:5], 3, v[18:19]
	s_clause 0x3
	global_load_b64 v[166:167], v[54:55], off
	global_load_b64 v[168:169], v[56:57], off
	;; [unrolled: 1-line block ×4, first 2 shown]
	v_dual_ashrrev_i32 v3, 31, v2 :: v_dual_add_nc_u32 v4, s12, v2
	s_clause 0x2
	global_load_b64 v[176:177], v[14:15], off
	global_load_b64 v[178:179], v[62:63], off
	;; [unrolled: 1-line block ×3, first 2 shown]
	v_lshl_add_u64 v[68:69], v[2:3], 3, v[18:19]
	v_add_nc_u32_e32 v2, s12, v4
	s_clause 0x3
	scratch_store_b64 off, v[46:47], off offset:40
	scratch_store_b64 off, v[48:49], off offset:48
	;; [unrolled: 1-line block ×4, first 2 shown]
	v_ashrrev_i32_e32 v3, 31, v2
	v_dual_ashrrev_i32 v7, 31, v6 :: v_dual_ashrrev_i32 v5, 31, v4
	global_load_b64 v[184:185], v[68:69], off
	s_clause 0x3
	scratch_store_b64 off, v[38:39], off offset:8
	scratch_store_b64 off, v[40:41], off offset:16
	;; [unrolled: 1-line block ×3, first 2 shown]
	scratch_store_b64 off, v[30:31], off
	v_lshl_add_u64 v[70:71], v[4:5], 3, v[18:19]
	v_add_nc_u32_e32 v4, s12, v2
	v_lshl_add_u64 v[72:73], v[2:3], 3, v[18:19]
	v_lshl_add_u64 v[66:67], v[6:7], 3, v[18:19]
	s_clause 0x3
	scratch_store_b64 off, v[16:17], off offset:64
	scratch_store_b64 off, v[20:21], off offset:72
	scratch_store_b64 off, v[22:23], off offset:80
	scratch_store_b64 off, v[24:25], off offset:88
	v_add_nc_u32_e32 v2, s12, v4
	s_clause 0x2
	global_load_b64 v[182:183], v[66:67], off
	global_load_b64 v[186:187], v[70:71], off
	;; [unrolled: 1-line block ×3, first 2 shown]
	s_clause 0x3
	scratch_store_b64 off, v[26:27], off offset:96
	scratch_store_b64 off, v[28:29], off offset:104
	;; [unrolled: 1-line block ×4, first 2 shown]
	v_dual_ashrrev_i32 v3, 31, v2 :: v_dual_ashrrev_i32 v5, 31, v4
	s_clause 0x3
	scratch_store_b64 off, v[36:37], off offset:128
	scratch_store_b64 off, v[52:53], off offset:136
	;; [unrolled: 1-line block ×4, first 2 shown]
	v_lshl_add_u64 v[74:75], v[4:5], 3, v[18:19]
	v_add_nc_u32_e32 v4, s12, v2
	v_lshl_add_u64 v[76:77], v[2:3], 3, v[18:19]
	s_clause 0x3
	scratch_store_b64 off, v[58:59], off offset:160
	scratch_store_b64 off, v[60:61], off offset:168
	;; [unrolled: 1-line block ×4, first 2 shown]
	v_add_nc_u32_e32 v2, s12, v4
	s_clause 0x1
	global_load_b64 v[190:191], v[74:75], off
	global_load_b64 v[192:193], v[76:77], off
	s_clause 0x3
	scratch_store_b64 off, v[62:63], off offset:192
	scratch_store_b64 off, v[64:65], off offset:200
	;; [unrolled: 1-line block ×4, first 2 shown]
	v_dual_ashrrev_i32 v3, 31, v2 :: v_dual_ashrrev_i32 v5, 31, v4
	s_clause 0x3
	scratch_store_b64 off, v[70:71], off offset:224
	scratch_store_b64 off, v[72:73], off offset:232
	;; [unrolled: 1-line block ×4, first 2 shown]
	v_lshl_add_u64 v[78:79], v[4:5], 3, v[18:19]
	v_add_nc_u32_e32 v4, s12, v2
	v_lshl_add_u64 v[80:81], v[2:3], 3, v[18:19]
	global_load_b64 v[194:195], v[78:79], off
	v_add_nc_u32_e32 v2, s12, v4
	global_load_b64 v[196:197], v[80:81], off
	scratch_store_b64 off, v[78:79], off offset:256 ; 8-byte Folded Spill
	v_dual_ashrrev_i32 v3, 31, v2 :: v_dual_ashrrev_i32 v5, 31, v4
	s_delay_alu instid0(VALU_DEP_1) | instskip(NEXT) | instid1(VALU_DEP_2)
	v_lshl_add_u64 v[84:85], v[2:3], 3, v[18:19]
	v_lshl_add_u64 v[82:83], v[4:5], 3, v[18:19]
	v_add_nc_u32_e32 v4, s12, v2
	s_clause 0x2
	scratch_store_b64 off, v[80:81], off offset:264
	scratch_store_b64 off, v[84:85], off offset:280
	scratch_store_b64 off, v[82:83], off offset:272
	v_add_nc_u32_e32 v2, s12, v4
	s_clause 0x1
	global_load_b64 v[198:199], v[82:83], off
	global_load_b64 v[200:201], v[84:85], off
	v_dual_ashrrev_i32 v3, 31, v2 :: v_dual_ashrrev_i32 v5, 31, v4
	s_delay_alu instid0(VALU_DEP_1) | instskip(NEXT) | instid1(VALU_DEP_2)
	v_lshl_add_u64 v[88:89], v[2:3], 3, v[18:19]
	v_lshl_add_u64 v[86:87], v[4:5], 3, v[18:19]
	v_add_nc_u32_e32 v4, s12, v2
	s_clause 0x1
	global_load_b64 v[204:205], v[88:89], off
	global_load_b64 v[202:203], v[86:87], off
	v_add_nc_u32_e32 v2, s12, v4
	scratch_store_b64 off, v[86:87], off offset:288 ; 8-byte Folded Spill
	v_dual_ashrrev_i32 v3, 31, v2 :: v_dual_ashrrev_i32 v5, 31, v4
	s_delay_alu instid0(VALU_DEP_1) | instskip(NEXT) | instid1(VALU_DEP_2)
	v_lshl_add_u64 v[92:93], v[2:3], 3, v[18:19]
	v_lshl_add_u64 v[90:91], v[4:5], 3, v[18:19]
	v_add_nc_u32_e32 v4, s12, v2
	s_clause 0x2
	scratch_store_b64 off, v[88:89], off offset:296
	scratch_store_b64 off, v[92:93], off offset:312
	scratch_store_b64 off, v[90:91], off offset:304
	v_add_nc_u32_e32 v2, s12, v4
	s_clause 0x1
	global_load_b64 v[206:207], v[90:91], off
	global_load_b64 v[208:209], v[92:93], off
	v_dual_ashrrev_i32 v3, 31, v2 :: v_dual_ashrrev_i32 v5, 31, v4
	s_delay_alu instid0(VALU_DEP_1) | instskip(NEXT) | instid1(VALU_DEP_2)
	v_lshl_add_u64 v[96:97], v[2:3], 3, v[18:19]
	v_lshl_add_u64 v[94:95], v[4:5], 3, v[18:19]
	v_add_nc_u32_e32 v4, s12, v2
	s_clause 0x1
	global_load_b64 v[212:213], v[96:97], off
	global_load_b64 v[210:211], v[94:95], off
	v_add_nc_u32_e32 v2, s12, v4
	;; [unrolled: 23-line block ×5, first 2 shown]
	scratch_store_b64 off, v[118:119], off offset:416 ; 8-byte Folded Spill
	v_dual_ashrrev_i32 v3, 31, v2 :: v_dual_ashrrev_i32 v5, 31, v4
	s_delay_alu instid0(VALU_DEP_1) | instskip(NEXT) | instid1(VALU_DEP_2)
	v_lshl_add_u64 v[126:127], v[2:3], 3, v[18:19]
	v_lshl_add_u64 v[122:123], v[4:5], 3, v[18:19]
	v_add_nc_u32_e32 v4, s12, v2
	s_clause 0x2
	scratch_store_b64 off, v[120:121], off offset:424
	scratch_store_b64 off, v[126:127], off offset:440
	;; [unrolled: 1-line block ×3, first 2 shown]
	v_add_nc_u32_e32 v2, s12, v4
	s_clause 0x1
	global_load_b64 v[238:239], v[122:123], off
	global_load_b64 v[248:249], v[126:127], off
	v_dual_ashrrev_i32 v3, 31, v2 :: v_dual_ashrrev_i32 v5, 31, v4
	s_delay_alu instid0(VALU_DEP_1) | instskip(SKIP_4) | instid1(VALU_DEP_2)
	v_lshl_add_u64 v[240:241], v[4:5], 3, v[18:19]
	v_add_nc_u32_e32 v4, s12, v2
	global_load_b64 v[242:243], v[240:241], off
	v_add_nc_u32_e32 v6, s12, v4
	v_lshl_add_u64 v[244:245], v[2:3], 3, v[18:19]
	v_dual_ashrrev_i32 v7, 31, v6 :: v_dual_add_nc_u32 v8, s12, v6
	global_load_b64 v[246:247], v[244:245], off
	v_lshl_add_u64 v[250:251], v[6:7], 3, v[18:19]
	v_dual_add_nc_u32 v10, s12, v8 :: v_dual_ashrrev_i32 v9, 31, v8
	v_ashrrev_i32_e32 v5, 31, v4
	v_mad_u32_u24 v6, 0x1f8, v1, 0
	v_lshl_add_u64 v[0:1], s[12:13], 3, v[42:43]
	s_delay_alu instid0(VALU_DEP_4)
	v_ashrrev_i32_e32 v11, 31, v10
	v_lshl_add_u64 v[8:9], v[8:9], 3, v[18:19]
	v_lshl_add_u64 v[4:5], v[4:5], 3, v[18:19]
	s_clause 0x1
	scratch_store_b64 off, v[250:251], off offset:480
	scratch_store_b64 off, v[0:1], off offset:496
	v_lshl_add_u64 v[2:3], v[10:11], 3, v[18:19]
	global_load_b64 v[144:145], v[0:1], off
	s_clause 0x3
	scratch_store_b64 off, v[240:241], off offset:448
	scratch_store_b64 off, v[244:245], off offset:464
	;; [unrolled: 1-line block ×4, first 2 shown]
	s_clause 0x3
	global_load_b64 v[240:241], v[4:5], off
	global_load_b64 v[244:245], v[250:251], off
	;; [unrolled: 1-line block ×4, first 2 shown]
	scratch_store_b64 off, v[8:9], off offset:488 ; 8-byte Folded Spill
	s_wait_xcnt 0x0
	s_and_saveexec_b32 s4, s0
	s_cbranch_execz .LBB125_8
; %bb.2:
	s_wait_loadcnt 0x38
	ds_store_b64 v255, v[142:143]
	s_wait_loadcnt 0x4
	ds_store_2addr_b64 v6, v[144:145], v[140:141] offset0:1 offset1:2
	ds_store_2addr_b64 v6, v[138:139], v[134:135] offset0:3 offset1:4
	;; [unrolled: 1-line block ×29, first 2 shown]
	s_wait_loadcnt 0x2
	ds_store_2addr_b64 v6, v[240:241], v[244:245] offset0:59 offset1:60
	s_wait_loadcnt 0x0
	ds_store_2addr_b64 v6, v[250:251], v[252:253] offset0:61 offset1:62
	ds_load_b64 v[0:1], v255
	s_wait_dscnt 0x0
	v_cmp_neq_f32_e32 vcc_lo, 0, v0
	v_cmp_neq_f32_e64 s2, 0, v1
	s_or_b32 s2, vcc_lo, s2
	s_delay_alu instid0(SALU_CYCLE_1)
	s_and_b32 exec_lo, exec_lo, s2
	s_cbranch_execz .LBB125_8
; %bb.3:
	v_cmp_ngt_f32_e64 s2, |v0|, |v1|
                                        ; implicit-def: $vgpr2_vgpr3
	s_and_saveexec_b32 s5, s2
	s_delay_alu instid0(SALU_CYCLE_1)
	s_xor_b32 s2, exec_lo, s5
	s_cbranch_execz .LBB125_5
; %bb.4:
	v_div_scale_f32 v2, null, v1, v1, v0
	v_div_scale_f32 v5, vcc_lo, v0, v1, v0
	s_delay_alu instid0(VALU_DEP_2) | instskip(SKIP_1) | instid1(TRANS32_DEP_1)
	v_rcp_f32_e32 v3, v2
	v_nop
	v_fma_f32 v4, -v2, v3, 1.0
	s_delay_alu instid0(VALU_DEP_1) | instskip(NEXT) | instid1(VALU_DEP_1)
	v_fmac_f32_e32 v3, v4, v3
	v_mul_f32_e32 v4, v5, v3
	s_delay_alu instid0(VALU_DEP_1) | instskip(NEXT) | instid1(VALU_DEP_1)
	v_fma_f32 v7, -v2, v4, v5
	v_fmac_f32_e32 v4, v7, v3
	s_delay_alu instid0(VALU_DEP_1) | instskip(NEXT) | instid1(VALU_DEP_1)
	v_fma_f32 v2, -v2, v4, v5
	v_div_fmas_f32 v2, v2, v3, v4
	s_delay_alu instid0(VALU_DEP_1) | instskip(NEXT) | instid1(VALU_DEP_1)
	v_div_fixup_f32 v2, v2, v1, v0
	v_fmac_f32_e32 v1, v0, v2
	s_delay_alu instid0(VALU_DEP_1) | instskip(SKIP_1) | instid1(VALU_DEP_2)
	v_div_scale_f32 v0, null, v1, v1, 1.0
	v_div_scale_f32 v5, vcc_lo, 1.0, v1, 1.0
	v_rcp_f32_e32 v3, v0
	v_nop
	s_delay_alu instid0(TRANS32_DEP_1) | instskip(NEXT) | instid1(VALU_DEP_1)
	v_fma_f32 v4, -v0, v3, 1.0
	v_fmac_f32_e32 v3, v4, v3
	s_delay_alu instid0(VALU_DEP_1) | instskip(NEXT) | instid1(VALU_DEP_1)
	v_mul_f32_e32 v4, v5, v3
	v_fma_f32 v7, -v0, v4, v5
	s_delay_alu instid0(VALU_DEP_1) | instskip(NEXT) | instid1(VALU_DEP_1)
	v_fmac_f32_e32 v4, v7, v3
	v_fma_f32 v0, -v0, v4, v5
	s_delay_alu instid0(VALU_DEP_1) | instskip(NEXT) | instid1(VALU_DEP_1)
	v_div_fmas_f32 v0, v0, v3, v4
	v_div_fixup_f32 v0, v0, v1, 1.0
	s_delay_alu instid0(VALU_DEP_1)
	v_mul_f32_e32 v2, v2, v0
	v_xor_b32_e32 v3, 0x80000000, v0
                                        ; implicit-def: $vgpr0_vgpr1
.LBB125_5:
	s_and_not1_saveexec_b32 s2, s2
	s_cbranch_execz .LBB125_7
; %bb.6:
	v_div_scale_f32 v2, null, v0, v0, v1
	v_div_scale_f32 v5, vcc_lo, v1, v0, v1
	s_delay_alu instid0(VALU_DEP_2) | instskip(SKIP_1) | instid1(TRANS32_DEP_1)
	v_rcp_f32_e32 v3, v2
	v_nop
	v_fma_f32 v4, -v2, v3, 1.0
	s_delay_alu instid0(VALU_DEP_1) | instskip(NEXT) | instid1(VALU_DEP_1)
	v_fmac_f32_e32 v3, v4, v3
	v_mul_f32_e32 v4, v5, v3
	s_delay_alu instid0(VALU_DEP_1) | instskip(NEXT) | instid1(VALU_DEP_1)
	v_fma_f32 v7, -v2, v4, v5
	v_fmac_f32_e32 v4, v7, v3
	s_delay_alu instid0(VALU_DEP_1) | instskip(NEXT) | instid1(VALU_DEP_1)
	v_fma_f32 v2, -v2, v4, v5
	v_div_fmas_f32 v2, v2, v3, v4
	s_delay_alu instid0(VALU_DEP_1) | instskip(NEXT) | instid1(VALU_DEP_1)
	v_div_fixup_f32 v3, v2, v0, v1
	v_fmac_f32_e32 v0, v1, v3
	s_delay_alu instid0(VALU_DEP_1) | instskip(NEXT) | instid1(VALU_DEP_1)
	v_div_scale_f32 v1, null, v0, v0, 1.0
	v_rcp_f32_e32 v2, v1
	v_nop
	s_delay_alu instid0(TRANS32_DEP_1) | instskip(NEXT) | instid1(VALU_DEP_1)
	v_fma_f32 v4, -v1, v2, 1.0
	v_fmac_f32_e32 v2, v4, v2
	v_div_scale_f32 v4, vcc_lo, 1.0, v0, 1.0
	s_delay_alu instid0(VALU_DEP_1) | instskip(NEXT) | instid1(VALU_DEP_1)
	v_mul_f32_e32 v5, v4, v2
	v_fma_f32 v7, -v1, v5, v4
	s_delay_alu instid0(VALU_DEP_1) | instskip(NEXT) | instid1(VALU_DEP_1)
	v_fmac_f32_e32 v5, v7, v2
	v_fma_f32 v1, -v1, v5, v4
	s_delay_alu instid0(VALU_DEP_1) | instskip(NEXT) | instid1(VALU_DEP_1)
	v_div_fmas_f32 v1, v1, v2, v5
	v_div_fixup_f32 v2, v1, v0, 1.0
	s_delay_alu instid0(VALU_DEP_1)
	v_mul_f32_e64 v3, v3, -v2
.LBB125_7:
	s_or_b32 exec_lo, exec_lo, s2
	ds_store_b64 v255, v[2:3]
.LBB125_8:
	s_or_b32 exec_lo, exec_lo, s4
	s_wait_storecnt 0x0
	s_wait_loadcnt_dscnt 0x0
	s_barrier_signal -1
	s_barrier_wait -1
	ds_load_b64 v[0:1], v255
	s_wait_dscnt 0x0
	scratch_store_b64 off, v[0:1], off offset:504 ; 8-byte Folded Spill
	s_wait_xcnt 0x0
	s_and_saveexec_b32 s2, s1
	s_cbranch_execz .LBB125_10
; %bb.9:
	scratch_load_b64 v[4:5], off, off offset:504 ; 8-byte Folded Reload
	ds_load_2addr_b64 v[8:11], v6 offset0:1 offset1:2
	s_wait_loadcnt 0x0
	v_pk_mul_f32 v[2:3], v[4:5], v[142:143] op_sel:[1,1] op_sel_hi:[0,1]
	s_delay_alu instid0(VALU_DEP_1) | instskip(SKIP_1) | instid1(VALU_DEP_1)
	v_pk_fma_f32 v[0:1], v[4:5], v[142:143], v[2:3] op_sel_hi:[1,0,1] neg_lo:[0,0,1] neg_hi:[0,0,1]
	v_pk_fma_f32 v[2:3], v[4:5], v[142:143], v[2:3] op_sel_hi:[1,0,1]
	v_dual_mov_b32 v142, v0 :: v_dual_mov_b32 v143, v3
	s_wait_dscnt 0x0
	s_delay_alu instid0(VALU_DEP_2) | instskip(NEXT) | instid1(VALU_DEP_1)
	v_pk_mul_f32 v[4:5], v[8:9], v[2:3] op_sel:[0,1]
	v_pk_fma_f32 v[12:13], v[8:9], v[0:1], v[4:5] op_sel:[0,0,1] op_sel_hi:[1,1,0] neg_lo:[0,0,1] neg_hi:[0,0,1]
	v_pk_fma_f32 v[4:5], v[8:9], v[0:1], v[4:5] op_sel:[0,0,1] op_sel_hi:[1,0,0]
	s_delay_alu instid0(VALU_DEP_1) | instskip(SKIP_1) | instid1(VALU_DEP_1)
	v_mov_b32_e32 v13, v5
	v_pk_mul_f32 v[4:5], v[10:11], v[2:3] op_sel:[0,1]
	v_pk_fma_f32 v[8:9], v[10:11], v[0:1], v[4:5] op_sel:[0,0,1] op_sel_hi:[1,1,0] neg_lo:[0,0,1] neg_hi:[0,0,1]
	v_pk_fma_f32 v[4:5], v[10:11], v[0:1], v[4:5] op_sel:[0,0,1] op_sel_hi:[1,0,0]
	s_delay_alu instid0(VALU_DEP_1) | instskip(SKIP_1) | instid1(VALU_DEP_2)
	v_mov_b32_e32 v9, v5
	v_pk_add_f32 v[144:145], v[144:145], v[12:13] neg_lo:[0,1] neg_hi:[0,1]
	v_pk_add_f32 v[140:141], v[140:141], v[8:9] neg_lo:[0,1] neg_hi:[0,1]
	ds_load_2addr_b64 v[8:11], v6 offset0:3 offset1:4
	s_wait_dscnt 0x0
	v_pk_mul_f32 v[4:5], v[8:9], v[2:3] op_sel:[0,1]
	s_delay_alu instid0(VALU_DEP_1) | instskip(SKIP_2) | instid1(VALU_DEP_2)
	v_pk_fma_f32 v[12:13], v[8:9], v[0:1], v[4:5] op_sel:[0,0,1] op_sel_hi:[1,1,0] neg_lo:[0,0,1] neg_hi:[0,0,1]
	v_pk_fma_f32 v[4:5], v[8:9], v[0:1], v[4:5] op_sel:[0,0,1] op_sel_hi:[1,0,0]
	v_dual_mul_f32 v8, v11, v3 :: v_dual_mov_b32 v4, v11
	v_dual_mov_b32 v13, v5 :: v_dual_mov_b32 v5, v10
	s_delay_alu instid0(VALU_DEP_2) | instskip(SKIP_1) | instid1(VALU_DEP_3)
	v_pk_fma_f32 v[8:9], v[10:11], v[142:143], v[8:9] op_sel_hi:[1,1,0] neg_lo:[0,0,1] neg_hi:[0,0,1]
	v_mul_f32_e32 v10, v11, v0
	v_pk_add_f32 v[138:139], v[138:139], v[12:13] neg_lo:[0,1] neg_hi:[0,1]
	s_delay_alu instid0(VALU_DEP_2) | instskip(NEXT) | instid1(VALU_DEP_1)
	v_pk_fma_f32 v[4:5], v[4:5], v[142:143], v[10:11] op_sel_hi:[1,1,0]
	v_mov_b32_e32 v9, v5
	s_delay_alu instid0(VALU_DEP_1) | instskip(SKIP_3) | instid1(VALU_DEP_1)
	v_pk_add_f32 v[134:135], v[134:135], v[8:9] neg_lo:[0,1] neg_hi:[0,1]
	ds_load_2addr_b64 v[8:11], v6 offset0:5 offset1:6
	s_wait_dscnt 0x0
	v_pk_mul_f32 v[4:5], v[8:9], v[2:3] op_sel:[0,1]
	v_pk_fma_f32 v[12:13], v[8:9], v[0:1], v[4:5] op_sel:[0,0,1] op_sel_hi:[1,1,0] neg_lo:[0,0,1] neg_hi:[0,0,1]
	v_pk_fma_f32 v[4:5], v[8:9], v[0:1], v[4:5] op_sel:[0,0,1] op_sel_hi:[1,0,0]
	s_delay_alu instid0(VALU_DEP_1) | instskip(SKIP_1) | instid1(VALU_DEP_1)
	v_mov_b32_e32 v13, v5
	v_pk_mul_f32 v[4:5], v[10:11], v[2:3] op_sel:[0,1]
	v_pk_fma_f32 v[8:9], v[10:11], v[0:1], v[4:5] op_sel:[0,0,1] op_sel_hi:[1,1,0] neg_lo:[0,0,1] neg_hi:[0,0,1]
	v_pk_fma_f32 v[4:5], v[10:11], v[0:1], v[4:5] op_sel:[0,0,1] op_sel_hi:[1,0,0]
	s_delay_alu instid0(VALU_DEP_1) | instskip(SKIP_1) | instid1(VALU_DEP_2)
	v_mov_b32_e32 v9, v5
	v_pk_add_f32 v[130:131], v[130:131], v[12:13] neg_lo:[0,1] neg_hi:[0,1]
	v_pk_add_f32 v[132:133], v[132:133], v[8:9] neg_lo:[0,1] neg_hi:[0,1]
	ds_load_2addr_b64 v[8:11], v6 offset0:7 offset1:8
	s_wait_dscnt 0x0
	v_pk_mul_f32 v[4:5], v[8:9], v[2:3] op_sel:[0,1]
	s_delay_alu instid0(VALU_DEP_1) | instskip(SKIP_1) | instid1(VALU_DEP_1)
	v_pk_fma_f32 v[12:13], v[8:9], v[0:1], v[4:5] op_sel:[0,0,1] op_sel_hi:[1,1,0] neg_lo:[0,0,1] neg_hi:[0,0,1]
	v_pk_fma_f32 v[4:5], v[8:9], v[0:1], v[4:5] op_sel:[0,0,1] op_sel_hi:[1,0,0]
	v_mov_b32_e32 v13, v5
	v_pk_mul_f32 v[4:5], v[10:11], v[2:3] op_sel:[0,1]
	s_delay_alu instid0(VALU_DEP_1) | instskip(SKIP_1) | instid1(VALU_DEP_1)
	v_pk_fma_f32 v[8:9], v[10:11], v[0:1], v[4:5] op_sel:[0,0,1] op_sel_hi:[1,1,0] neg_lo:[0,0,1] neg_hi:[0,0,1]
	v_pk_fma_f32 v[4:5], v[10:11], v[0:1], v[4:5] op_sel:[0,0,1] op_sel_hi:[1,0,0]
	v_mov_b32_e32 v9, v5
	v_pk_add_f32 v[128:129], v[128:129], v[12:13] neg_lo:[0,1] neg_hi:[0,1]
	s_delay_alu instid0(VALU_DEP_2) | instskip(SKIP_3) | instid1(VALU_DEP_1)
	v_pk_add_f32 v[136:137], v[136:137], v[8:9] neg_lo:[0,1] neg_hi:[0,1]
	ds_load_2addr_b64 v[8:11], v6 offset0:9 offset1:10
	s_wait_dscnt 0x0
	v_dual_mul_f32 v4, v9, v3 :: v_dual_mul_f32 v12, v9, v0
	v_pk_fma_f32 v[4:5], v[8:9], v[142:143], v[4:5] op_sel_hi:[1,1,0] neg_lo:[0,0,1] neg_hi:[0,0,1]
	s_delay_alu instid0(VALU_DEP_2) | instskip(NEXT) | instid1(VALU_DEP_1)
	v_pk_fma_f32 v[8:9], v[8:9], v[142:143], v[12:13] op_sel:[1,0,0] op_sel_hi:[0,1,0]
	v_mov_b32_e32 v5, v9
	s_delay_alu instid0(VALU_DEP_1) | instskip(SKIP_1) | instid1(VALU_DEP_1)
	v_pk_add_f32 v[146:147], v[146:147], v[4:5] neg_lo:[0,1] neg_hi:[0,1]
	v_pk_mul_f32 v[4:5], v[10:11], v[2:3] op_sel:[0,1]
	v_pk_fma_f32 v[8:9], v[10:11], v[0:1], v[4:5] op_sel:[0,0,1] op_sel_hi:[1,1,0] neg_lo:[0,0,1] neg_hi:[0,0,1]
	v_pk_fma_f32 v[4:5], v[10:11], v[0:1], v[4:5] op_sel:[0,0,1] op_sel_hi:[1,0,0]
	s_delay_alu instid0(VALU_DEP_1) | instskip(NEXT) | instid1(VALU_DEP_1)
	v_mov_b32_e32 v9, v5
	v_pk_add_f32 v[148:149], v[148:149], v[8:9] neg_lo:[0,1] neg_hi:[0,1]
	ds_load_2addr_b64 v[8:11], v6 offset0:11 offset1:12
	s_wait_dscnt 0x0
	v_pk_mul_f32 v[4:5], v[8:9], v[2:3] op_sel:[0,1]
	s_delay_alu instid0(VALU_DEP_1) | instskip(SKIP_1) | instid1(VALU_DEP_1)
	v_pk_fma_f32 v[12:13], v[8:9], v[0:1], v[4:5] op_sel:[0,0,1] op_sel_hi:[1,1,0] neg_lo:[0,0,1] neg_hi:[0,0,1]
	v_pk_fma_f32 v[4:5], v[8:9], v[0:1], v[4:5] op_sel:[0,0,1] op_sel_hi:[1,0,0]
	v_mov_b32_e32 v13, v5
	v_pk_mul_f32 v[4:5], v[10:11], v[2:3] op_sel:[0,1]
	s_delay_alu instid0(VALU_DEP_2) | instskip(NEXT) | instid1(VALU_DEP_2)
	v_pk_add_f32 v[150:151], v[150:151], v[12:13] neg_lo:[0,1] neg_hi:[0,1]
	v_pk_fma_f32 v[8:9], v[10:11], v[0:1], v[4:5] op_sel:[0,0,1] op_sel_hi:[1,1,0] neg_lo:[0,0,1] neg_hi:[0,0,1]
	v_pk_fma_f32 v[4:5], v[10:11], v[0:1], v[4:5] op_sel:[0,0,1] op_sel_hi:[1,0,0]
	s_delay_alu instid0(VALU_DEP_1) | instskip(NEXT) | instid1(VALU_DEP_1)
	v_mov_b32_e32 v9, v5
	v_pk_add_f32 v[152:153], v[152:153], v[8:9] neg_lo:[0,1] neg_hi:[0,1]
	ds_load_2addr_b64 v[8:11], v6 offset0:13 offset1:14
	s_wait_dscnt 0x0
	v_pk_mul_f32 v[4:5], v[8:9], v[2:3] op_sel:[0,1]
	s_delay_alu instid0(VALU_DEP_1) | instskip(SKIP_2) | instid1(VALU_DEP_2)
	v_pk_fma_f32 v[12:13], v[8:9], v[0:1], v[4:5] op_sel:[0,0,1] op_sel_hi:[1,1,0] neg_lo:[0,0,1] neg_hi:[0,0,1]
	v_pk_fma_f32 v[4:5], v[8:9], v[0:1], v[4:5] op_sel:[0,0,1] op_sel_hi:[1,0,0]
	v_dual_mul_f32 v8, v11, v3 :: v_dual_mov_b32 v4, v11
	v_dual_mov_b32 v13, v5 :: v_dual_mov_b32 v5, v10
	s_delay_alu instid0(VALU_DEP_2) | instskip(SKIP_1) | instid1(VALU_DEP_3)
	v_pk_fma_f32 v[8:9], v[10:11], v[142:143], v[8:9] op_sel_hi:[1,1,0] neg_lo:[0,0,1] neg_hi:[0,0,1]
	v_mul_f32_e32 v10, v11, v0
	v_pk_add_f32 v[154:155], v[154:155], v[12:13] neg_lo:[0,1] neg_hi:[0,1]
	s_delay_alu instid0(VALU_DEP_2) | instskip(NEXT) | instid1(VALU_DEP_1)
	v_pk_fma_f32 v[4:5], v[4:5], v[142:143], v[10:11] op_sel_hi:[1,1,0]
	v_mov_b32_e32 v9, v5
	s_delay_alu instid0(VALU_DEP_1) | instskip(SKIP_3) | instid1(VALU_DEP_1)
	v_pk_add_f32 v[156:157], v[156:157], v[8:9] neg_lo:[0,1] neg_hi:[0,1]
	ds_load_2addr_b64 v[8:11], v6 offset0:15 offset1:16
	s_wait_dscnt 0x0
	v_pk_mul_f32 v[4:5], v[8:9], v[2:3] op_sel:[0,1]
	v_pk_fma_f32 v[12:13], v[8:9], v[0:1], v[4:5] op_sel:[0,0,1] op_sel_hi:[1,1,0] neg_lo:[0,0,1] neg_hi:[0,0,1]
	v_pk_fma_f32 v[4:5], v[8:9], v[0:1], v[4:5] op_sel:[0,0,1] op_sel_hi:[1,0,0]
	s_delay_alu instid0(VALU_DEP_1) | instskip(SKIP_1) | instid1(VALU_DEP_1)
	v_mov_b32_e32 v13, v5
	v_pk_mul_f32 v[4:5], v[10:11], v[2:3] op_sel:[0,1]
	v_pk_fma_f32 v[8:9], v[10:11], v[0:1], v[4:5] op_sel:[0,0,1] op_sel_hi:[1,1,0] neg_lo:[0,0,1] neg_hi:[0,0,1]
	v_pk_fma_f32 v[4:5], v[10:11], v[0:1], v[4:5] op_sel:[0,0,1] op_sel_hi:[1,0,0]
	s_delay_alu instid0(VALU_DEP_1) | instskip(SKIP_1) | instid1(VALU_DEP_2)
	v_mov_b32_e32 v9, v5
	v_pk_add_f32 v[158:159], v[158:159], v[12:13] neg_lo:[0,1] neg_hi:[0,1]
	v_pk_add_f32 v[160:161], v[160:161], v[8:9] neg_lo:[0,1] neg_hi:[0,1]
	ds_load_2addr_b64 v[8:11], v6 offset0:17 offset1:18
	s_wait_dscnt 0x0
	v_pk_mul_f32 v[4:5], v[8:9], v[2:3] op_sel:[0,1]
	s_delay_alu instid0(VALU_DEP_1) | instskip(SKIP_1) | instid1(VALU_DEP_1)
	v_pk_fma_f32 v[12:13], v[8:9], v[0:1], v[4:5] op_sel:[0,0,1] op_sel_hi:[1,1,0] neg_lo:[0,0,1] neg_hi:[0,0,1]
	v_pk_fma_f32 v[4:5], v[8:9], v[0:1], v[4:5] op_sel:[0,0,1] op_sel_hi:[1,0,0]
	v_mov_b32_e32 v13, v5
	v_pk_mul_f32 v[4:5], v[10:11], v[2:3] op_sel:[0,1]
	s_delay_alu instid0(VALU_DEP_1) | instskip(SKIP_1) | instid1(VALU_DEP_1)
	v_pk_fma_f32 v[8:9], v[10:11], v[0:1], v[4:5] op_sel:[0,0,1] op_sel_hi:[1,1,0] neg_lo:[0,0,1] neg_hi:[0,0,1]
	v_pk_fma_f32 v[4:5], v[10:11], v[0:1], v[4:5] op_sel:[0,0,1] op_sel_hi:[1,0,0]
	v_mov_b32_e32 v9, v5
	v_pk_add_f32 v[162:163], v[162:163], v[12:13] neg_lo:[0,1] neg_hi:[0,1]
	s_delay_alu instid0(VALU_DEP_2) | instskip(SKIP_3) | instid1(VALU_DEP_1)
	v_pk_add_f32 v[164:165], v[164:165], v[8:9] neg_lo:[0,1] neg_hi:[0,1]
	ds_load_2addr_b64 v[8:11], v6 offset0:19 offset1:20
	s_wait_dscnt 0x0
	v_dual_mul_f32 v4, v9, v3 :: v_dual_mul_f32 v12, v9, v0
	v_pk_fma_f32 v[4:5], v[8:9], v[142:143], v[4:5] op_sel_hi:[1,1,0] neg_lo:[0,0,1] neg_hi:[0,0,1]
	s_delay_alu instid0(VALU_DEP_2) | instskip(NEXT) | instid1(VALU_DEP_1)
	v_pk_fma_f32 v[8:9], v[8:9], v[142:143], v[12:13] op_sel:[1,0,0] op_sel_hi:[0,1,0]
	v_mov_b32_e32 v5, v9
	s_delay_alu instid0(VALU_DEP_1) | instskip(SKIP_1) | instid1(VALU_DEP_1)
	v_pk_add_f32 v[166:167], v[166:167], v[4:5] neg_lo:[0,1] neg_hi:[0,1]
	v_pk_mul_f32 v[4:5], v[10:11], v[2:3] op_sel:[0,1]
	v_pk_fma_f32 v[8:9], v[10:11], v[0:1], v[4:5] op_sel:[0,0,1] op_sel_hi:[1,1,0] neg_lo:[0,0,1] neg_hi:[0,0,1]
	v_pk_fma_f32 v[4:5], v[10:11], v[0:1], v[4:5] op_sel:[0,0,1] op_sel_hi:[1,0,0]
	s_delay_alu instid0(VALU_DEP_1) | instskip(NEXT) | instid1(VALU_DEP_1)
	v_mov_b32_e32 v9, v5
	v_pk_add_f32 v[168:169], v[168:169], v[8:9] neg_lo:[0,1] neg_hi:[0,1]
	ds_load_2addr_b64 v[8:11], v6 offset0:21 offset1:22
	s_wait_dscnt 0x0
	v_pk_mul_f32 v[4:5], v[8:9], v[2:3] op_sel:[0,1]
	s_delay_alu instid0(VALU_DEP_1) | instskip(SKIP_1) | instid1(VALU_DEP_1)
	v_pk_fma_f32 v[12:13], v[8:9], v[0:1], v[4:5] op_sel:[0,0,1] op_sel_hi:[1,1,0] neg_lo:[0,0,1] neg_hi:[0,0,1]
	v_pk_fma_f32 v[4:5], v[8:9], v[0:1], v[4:5] op_sel:[0,0,1] op_sel_hi:[1,0,0]
	v_mov_b32_e32 v13, v5
	v_pk_mul_f32 v[4:5], v[10:11], v[2:3] op_sel:[0,1]
	s_delay_alu instid0(VALU_DEP_2) | instskip(NEXT) | instid1(VALU_DEP_2)
	v_pk_add_f32 v[170:171], v[170:171], v[12:13] neg_lo:[0,1] neg_hi:[0,1]
	v_pk_fma_f32 v[8:9], v[10:11], v[0:1], v[4:5] op_sel:[0,0,1] op_sel_hi:[1,1,0] neg_lo:[0,0,1] neg_hi:[0,0,1]
	v_pk_fma_f32 v[4:5], v[10:11], v[0:1], v[4:5] op_sel:[0,0,1] op_sel_hi:[1,0,0]
	s_delay_alu instid0(VALU_DEP_1) | instskip(NEXT) | instid1(VALU_DEP_1)
	v_mov_b32_e32 v9, v5
	v_pk_add_f32 v[172:173], v[172:173], v[8:9] neg_lo:[0,1] neg_hi:[0,1]
	ds_load_2addr_b64 v[8:11], v6 offset0:23 offset1:24
	s_wait_dscnt 0x0
	v_pk_mul_f32 v[4:5], v[8:9], v[2:3] op_sel:[0,1]
	s_delay_alu instid0(VALU_DEP_1) | instskip(SKIP_2) | instid1(VALU_DEP_2)
	v_pk_fma_f32 v[12:13], v[8:9], v[0:1], v[4:5] op_sel:[0,0,1] op_sel_hi:[1,1,0] neg_lo:[0,0,1] neg_hi:[0,0,1]
	v_pk_fma_f32 v[4:5], v[8:9], v[0:1], v[4:5] op_sel:[0,0,1] op_sel_hi:[1,0,0]
	v_dual_mul_f32 v8, v11, v3 :: v_dual_mov_b32 v4, v11
	v_dual_mov_b32 v13, v5 :: v_dual_mov_b32 v5, v10
	s_delay_alu instid0(VALU_DEP_2) | instskip(SKIP_1) | instid1(VALU_DEP_3)
	v_pk_fma_f32 v[8:9], v[10:11], v[142:143], v[8:9] op_sel_hi:[1,1,0] neg_lo:[0,0,1] neg_hi:[0,0,1]
	v_mul_f32_e32 v10, v11, v0
	v_pk_add_f32 v[174:175], v[174:175], v[12:13] neg_lo:[0,1] neg_hi:[0,1]
	s_delay_alu instid0(VALU_DEP_2) | instskip(NEXT) | instid1(VALU_DEP_1)
	v_pk_fma_f32 v[4:5], v[4:5], v[142:143], v[10:11] op_sel_hi:[1,1,0]
	v_mov_b32_e32 v9, v5
	s_delay_alu instid0(VALU_DEP_1) | instskip(SKIP_3) | instid1(VALU_DEP_1)
	v_pk_add_f32 v[176:177], v[176:177], v[8:9] neg_lo:[0,1] neg_hi:[0,1]
	ds_load_2addr_b64 v[8:11], v6 offset0:25 offset1:26
	s_wait_dscnt 0x0
	v_pk_mul_f32 v[4:5], v[8:9], v[2:3] op_sel:[0,1]
	v_pk_fma_f32 v[12:13], v[8:9], v[0:1], v[4:5] op_sel:[0,0,1] op_sel_hi:[1,1,0] neg_lo:[0,0,1] neg_hi:[0,0,1]
	v_pk_fma_f32 v[4:5], v[8:9], v[0:1], v[4:5] op_sel:[0,0,1] op_sel_hi:[1,0,0]
	s_delay_alu instid0(VALU_DEP_1) | instskip(SKIP_1) | instid1(VALU_DEP_1)
	v_mov_b32_e32 v13, v5
	v_pk_mul_f32 v[4:5], v[10:11], v[2:3] op_sel:[0,1]
	v_pk_fma_f32 v[8:9], v[10:11], v[0:1], v[4:5] op_sel:[0,0,1] op_sel_hi:[1,1,0] neg_lo:[0,0,1] neg_hi:[0,0,1]
	v_pk_fma_f32 v[4:5], v[10:11], v[0:1], v[4:5] op_sel:[0,0,1] op_sel_hi:[1,0,0]
	s_delay_alu instid0(VALU_DEP_1) | instskip(SKIP_1) | instid1(VALU_DEP_2)
	v_mov_b32_e32 v9, v5
	v_pk_add_f32 v[178:179], v[178:179], v[12:13] neg_lo:[0,1] neg_hi:[0,1]
	v_pk_add_f32 v[180:181], v[180:181], v[8:9] neg_lo:[0,1] neg_hi:[0,1]
	ds_load_2addr_b64 v[8:11], v6 offset0:27 offset1:28
	s_wait_dscnt 0x0
	v_pk_mul_f32 v[4:5], v[8:9], v[2:3] op_sel:[0,1]
	s_delay_alu instid0(VALU_DEP_1) | instskip(SKIP_1) | instid1(VALU_DEP_1)
	v_pk_fma_f32 v[12:13], v[8:9], v[0:1], v[4:5] op_sel:[0,0,1] op_sel_hi:[1,1,0] neg_lo:[0,0,1] neg_hi:[0,0,1]
	v_pk_fma_f32 v[4:5], v[8:9], v[0:1], v[4:5] op_sel:[0,0,1] op_sel_hi:[1,0,0]
	v_mov_b32_e32 v13, v5
	v_pk_mul_f32 v[4:5], v[10:11], v[2:3] op_sel:[0,1]
	s_delay_alu instid0(VALU_DEP_1) | instskip(SKIP_1) | instid1(VALU_DEP_1)
	v_pk_fma_f32 v[8:9], v[10:11], v[0:1], v[4:5] op_sel:[0,0,1] op_sel_hi:[1,1,0] neg_lo:[0,0,1] neg_hi:[0,0,1]
	v_pk_fma_f32 v[4:5], v[10:11], v[0:1], v[4:5] op_sel:[0,0,1] op_sel_hi:[1,0,0]
	v_mov_b32_e32 v9, v5
	v_pk_add_f32 v[182:183], v[182:183], v[12:13] neg_lo:[0,1] neg_hi:[0,1]
	s_delay_alu instid0(VALU_DEP_2) | instskip(SKIP_3) | instid1(VALU_DEP_1)
	v_pk_add_f32 v[184:185], v[184:185], v[8:9] neg_lo:[0,1] neg_hi:[0,1]
	ds_load_2addr_b64 v[8:11], v6 offset0:29 offset1:30
	s_wait_dscnt 0x0
	v_dual_mul_f32 v4, v9, v3 :: v_dual_mul_f32 v12, v9, v0
	v_pk_fma_f32 v[4:5], v[8:9], v[142:143], v[4:5] op_sel_hi:[1,1,0] neg_lo:[0,0,1] neg_hi:[0,0,1]
	s_delay_alu instid0(VALU_DEP_2) | instskip(NEXT) | instid1(VALU_DEP_1)
	v_pk_fma_f32 v[8:9], v[8:9], v[142:143], v[12:13] op_sel:[1,0,0] op_sel_hi:[0,1,0]
	v_mov_b32_e32 v5, v9
	s_delay_alu instid0(VALU_DEP_1) | instskip(SKIP_1) | instid1(VALU_DEP_1)
	v_pk_add_f32 v[186:187], v[186:187], v[4:5] neg_lo:[0,1] neg_hi:[0,1]
	v_pk_mul_f32 v[4:5], v[10:11], v[2:3] op_sel:[0,1]
	v_pk_fma_f32 v[8:9], v[10:11], v[0:1], v[4:5] op_sel:[0,0,1] op_sel_hi:[1,1,0] neg_lo:[0,0,1] neg_hi:[0,0,1]
	v_pk_fma_f32 v[4:5], v[10:11], v[0:1], v[4:5] op_sel:[0,0,1] op_sel_hi:[1,0,0]
	s_delay_alu instid0(VALU_DEP_1) | instskip(NEXT) | instid1(VALU_DEP_1)
	v_mov_b32_e32 v9, v5
	v_pk_add_f32 v[188:189], v[188:189], v[8:9] neg_lo:[0,1] neg_hi:[0,1]
	ds_load_2addr_b64 v[8:11], v6 offset0:31 offset1:32
	s_wait_dscnt 0x0
	v_pk_mul_f32 v[4:5], v[8:9], v[2:3] op_sel:[0,1]
	s_delay_alu instid0(VALU_DEP_1) | instskip(SKIP_1) | instid1(VALU_DEP_1)
	v_pk_fma_f32 v[12:13], v[8:9], v[0:1], v[4:5] op_sel:[0,0,1] op_sel_hi:[1,1,0] neg_lo:[0,0,1] neg_hi:[0,0,1]
	v_pk_fma_f32 v[4:5], v[8:9], v[0:1], v[4:5] op_sel:[0,0,1] op_sel_hi:[1,0,0]
	v_mov_b32_e32 v13, v5
	v_pk_mul_f32 v[4:5], v[10:11], v[2:3] op_sel:[0,1]
	s_delay_alu instid0(VALU_DEP_2) | instskip(NEXT) | instid1(VALU_DEP_2)
	v_pk_add_f32 v[190:191], v[190:191], v[12:13] neg_lo:[0,1] neg_hi:[0,1]
	v_pk_fma_f32 v[8:9], v[10:11], v[0:1], v[4:5] op_sel:[0,0,1] op_sel_hi:[1,1,0] neg_lo:[0,0,1] neg_hi:[0,0,1]
	v_pk_fma_f32 v[4:5], v[10:11], v[0:1], v[4:5] op_sel:[0,0,1] op_sel_hi:[1,0,0]
	s_delay_alu instid0(VALU_DEP_1) | instskip(NEXT) | instid1(VALU_DEP_1)
	v_mov_b32_e32 v9, v5
	v_pk_add_f32 v[192:193], v[192:193], v[8:9] neg_lo:[0,1] neg_hi:[0,1]
	ds_load_2addr_b64 v[8:11], v6 offset0:33 offset1:34
	s_wait_dscnt 0x0
	v_pk_mul_f32 v[4:5], v[8:9], v[2:3] op_sel:[0,1]
	s_delay_alu instid0(VALU_DEP_1) | instskip(SKIP_2) | instid1(VALU_DEP_2)
	v_pk_fma_f32 v[12:13], v[8:9], v[0:1], v[4:5] op_sel:[0,0,1] op_sel_hi:[1,1,0] neg_lo:[0,0,1] neg_hi:[0,0,1]
	v_pk_fma_f32 v[4:5], v[8:9], v[0:1], v[4:5] op_sel:[0,0,1] op_sel_hi:[1,0,0]
	v_dual_mul_f32 v8, v11, v3 :: v_dual_mov_b32 v4, v11
	v_dual_mov_b32 v13, v5 :: v_dual_mov_b32 v5, v10
	s_delay_alu instid0(VALU_DEP_2) | instskip(SKIP_1) | instid1(VALU_DEP_3)
	v_pk_fma_f32 v[8:9], v[10:11], v[142:143], v[8:9] op_sel_hi:[1,1,0] neg_lo:[0,0,1] neg_hi:[0,0,1]
	v_mul_f32_e32 v10, v11, v0
	v_pk_add_f32 v[194:195], v[194:195], v[12:13] neg_lo:[0,1] neg_hi:[0,1]
	s_delay_alu instid0(VALU_DEP_2) | instskip(NEXT) | instid1(VALU_DEP_1)
	v_pk_fma_f32 v[4:5], v[4:5], v[142:143], v[10:11] op_sel_hi:[1,1,0]
	v_mov_b32_e32 v9, v5
	s_delay_alu instid0(VALU_DEP_1) | instskip(SKIP_3) | instid1(VALU_DEP_1)
	v_pk_add_f32 v[196:197], v[196:197], v[8:9] neg_lo:[0,1] neg_hi:[0,1]
	ds_load_2addr_b64 v[8:11], v6 offset0:35 offset1:36
	s_wait_dscnt 0x0
	v_pk_mul_f32 v[4:5], v[8:9], v[2:3] op_sel:[0,1]
	v_pk_fma_f32 v[12:13], v[8:9], v[0:1], v[4:5] op_sel:[0,0,1] op_sel_hi:[1,1,0] neg_lo:[0,0,1] neg_hi:[0,0,1]
	v_pk_fma_f32 v[4:5], v[8:9], v[0:1], v[4:5] op_sel:[0,0,1] op_sel_hi:[1,0,0]
	s_delay_alu instid0(VALU_DEP_1) | instskip(SKIP_1) | instid1(VALU_DEP_1)
	v_mov_b32_e32 v13, v5
	v_pk_mul_f32 v[4:5], v[10:11], v[2:3] op_sel:[0,1]
	v_pk_fma_f32 v[8:9], v[10:11], v[0:1], v[4:5] op_sel:[0,0,1] op_sel_hi:[1,1,0] neg_lo:[0,0,1] neg_hi:[0,0,1]
	v_pk_fma_f32 v[4:5], v[10:11], v[0:1], v[4:5] op_sel:[0,0,1] op_sel_hi:[1,0,0]
	s_delay_alu instid0(VALU_DEP_1) | instskip(SKIP_1) | instid1(VALU_DEP_2)
	v_mov_b32_e32 v9, v5
	v_pk_add_f32 v[198:199], v[198:199], v[12:13] neg_lo:[0,1] neg_hi:[0,1]
	v_pk_add_f32 v[200:201], v[200:201], v[8:9] neg_lo:[0,1] neg_hi:[0,1]
	ds_load_2addr_b64 v[8:11], v6 offset0:37 offset1:38
	s_wait_dscnt 0x0
	v_pk_mul_f32 v[4:5], v[8:9], v[2:3] op_sel:[0,1]
	s_delay_alu instid0(VALU_DEP_1) | instskip(SKIP_1) | instid1(VALU_DEP_1)
	v_pk_fma_f32 v[12:13], v[8:9], v[0:1], v[4:5] op_sel:[0,0,1] op_sel_hi:[1,1,0] neg_lo:[0,0,1] neg_hi:[0,0,1]
	v_pk_fma_f32 v[4:5], v[8:9], v[0:1], v[4:5] op_sel:[0,0,1] op_sel_hi:[1,0,0]
	v_mov_b32_e32 v13, v5
	v_pk_mul_f32 v[4:5], v[10:11], v[2:3] op_sel:[0,1]
	s_delay_alu instid0(VALU_DEP_1) | instskip(SKIP_1) | instid1(VALU_DEP_1)
	v_pk_fma_f32 v[8:9], v[10:11], v[0:1], v[4:5] op_sel:[0,0,1] op_sel_hi:[1,1,0] neg_lo:[0,0,1] neg_hi:[0,0,1]
	v_pk_fma_f32 v[4:5], v[10:11], v[0:1], v[4:5] op_sel:[0,0,1] op_sel_hi:[1,0,0]
	v_mov_b32_e32 v9, v5
	v_pk_add_f32 v[202:203], v[202:203], v[12:13] neg_lo:[0,1] neg_hi:[0,1]
	s_delay_alu instid0(VALU_DEP_2) | instskip(SKIP_3) | instid1(VALU_DEP_1)
	v_pk_add_f32 v[204:205], v[204:205], v[8:9] neg_lo:[0,1] neg_hi:[0,1]
	ds_load_2addr_b64 v[8:11], v6 offset0:39 offset1:40
	s_wait_dscnt 0x0
	v_dual_mul_f32 v4, v9, v3 :: v_dual_mul_f32 v12, v9, v0
	v_pk_fma_f32 v[4:5], v[8:9], v[142:143], v[4:5] op_sel_hi:[1,1,0] neg_lo:[0,0,1] neg_hi:[0,0,1]
	s_delay_alu instid0(VALU_DEP_2) | instskip(NEXT) | instid1(VALU_DEP_1)
	v_pk_fma_f32 v[8:9], v[8:9], v[142:143], v[12:13] op_sel:[1,0,0] op_sel_hi:[0,1,0]
	v_mov_b32_e32 v5, v9
	s_delay_alu instid0(VALU_DEP_1) | instskip(SKIP_1) | instid1(VALU_DEP_1)
	v_pk_add_f32 v[206:207], v[206:207], v[4:5] neg_lo:[0,1] neg_hi:[0,1]
	v_pk_mul_f32 v[4:5], v[10:11], v[2:3] op_sel:[0,1]
	v_pk_fma_f32 v[8:9], v[10:11], v[0:1], v[4:5] op_sel:[0,0,1] op_sel_hi:[1,1,0] neg_lo:[0,0,1] neg_hi:[0,0,1]
	v_pk_fma_f32 v[4:5], v[10:11], v[0:1], v[4:5] op_sel:[0,0,1] op_sel_hi:[1,0,0]
	s_delay_alu instid0(VALU_DEP_1) | instskip(NEXT) | instid1(VALU_DEP_1)
	v_mov_b32_e32 v9, v5
	v_pk_add_f32 v[208:209], v[208:209], v[8:9] neg_lo:[0,1] neg_hi:[0,1]
	ds_load_2addr_b64 v[8:11], v6 offset0:41 offset1:42
	s_wait_dscnt 0x0
	v_pk_mul_f32 v[4:5], v[8:9], v[2:3] op_sel:[0,1]
	s_delay_alu instid0(VALU_DEP_1) | instskip(SKIP_1) | instid1(VALU_DEP_1)
	v_pk_fma_f32 v[12:13], v[8:9], v[0:1], v[4:5] op_sel:[0,0,1] op_sel_hi:[1,1,0] neg_lo:[0,0,1] neg_hi:[0,0,1]
	v_pk_fma_f32 v[4:5], v[8:9], v[0:1], v[4:5] op_sel:[0,0,1] op_sel_hi:[1,0,0]
	v_mov_b32_e32 v13, v5
	v_pk_mul_f32 v[4:5], v[10:11], v[2:3] op_sel:[0,1]
	s_delay_alu instid0(VALU_DEP_2) | instskip(NEXT) | instid1(VALU_DEP_2)
	v_pk_add_f32 v[210:211], v[210:211], v[12:13] neg_lo:[0,1] neg_hi:[0,1]
	v_pk_fma_f32 v[8:9], v[10:11], v[0:1], v[4:5] op_sel:[0,0,1] op_sel_hi:[1,1,0] neg_lo:[0,0,1] neg_hi:[0,0,1]
	v_pk_fma_f32 v[4:5], v[10:11], v[0:1], v[4:5] op_sel:[0,0,1] op_sel_hi:[1,0,0]
	s_delay_alu instid0(VALU_DEP_1) | instskip(NEXT) | instid1(VALU_DEP_1)
	v_mov_b32_e32 v9, v5
	v_pk_add_f32 v[212:213], v[212:213], v[8:9] neg_lo:[0,1] neg_hi:[0,1]
	ds_load_2addr_b64 v[8:11], v6 offset0:43 offset1:44
	s_wait_dscnt 0x0
	v_pk_mul_f32 v[4:5], v[8:9], v[2:3] op_sel:[0,1]
	s_delay_alu instid0(VALU_DEP_1) | instskip(SKIP_2) | instid1(VALU_DEP_2)
	v_pk_fma_f32 v[12:13], v[8:9], v[0:1], v[4:5] op_sel:[0,0,1] op_sel_hi:[1,1,0] neg_lo:[0,0,1] neg_hi:[0,0,1]
	v_pk_fma_f32 v[4:5], v[8:9], v[0:1], v[4:5] op_sel:[0,0,1] op_sel_hi:[1,0,0]
	v_dual_mul_f32 v8, v11, v3 :: v_dual_mov_b32 v4, v11
	v_dual_mov_b32 v13, v5 :: v_dual_mov_b32 v5, v10
	s_delay_alu instid0(VALU_DEP_2) | instskip(SKIP_1) | instid1(VALU_DEP_3)
	v_pk_fma_f32 v[8:9], v[10:11], v[142:143], v[8:9] op_sel_hi:[1,1,0] neg_lo:[0,0,1] neg_hi:[0,0,1]
	v_mul_f32_e32 v10, v11, v0
	v_pk_add_f32 v[214:215], v[214:215], v[12:13] neg_lo:[0,1] neg_hi:[0,1]
	s_delay_alu instid0(VALU_DEP_2) | instskip(NEXT) | instid1(VALU_DEP_1)
	v_pk_fma_f32 v[4:5], v[4:5], v[142:143], v[10:11] op_sel_hi:[1,1,0]
	v_mov_b32_e32 v9, v5
	s_delay_alu instid0(VALU_DEP_1) | instskip(SKIP_3) | instid1(VALU_DEP_1)
	v_pk_add_f32 v[216:217], v[216:217], v[8:9] neg_lo:[0,1] neg_hi:[0,1]
	ds_load_2addr_b64 v[8:11], v6 offset0:45 offset1:46
	s_wait_dscnt 0x0
	v_pk_mul_f32 v[4:5], v[8:9], v[2:3] op_sel:[0,1]
	v_pk_fma_f32 v[12:13], v[8:9], v[0:1], v[4:5] op_sel:[0,0,1] op_sel_hi:[1,1,0] neg_lo:[0,0,1] neg_hi:[0,0,1]
	v_pk_fma_f32 v[4:5], v[8:9], v[0:1], v[4:5] op_sel:[0,0,1] op_sel_hi:[1,0,0]
	s_delay_alu instid0(VALU_DEP_1) | instskip(SKIP_1) | instid1(VALU_DEP_1)
	v_mov_b32_e32 v13, v5
	v_pk_mul_f32 v[4:5], v[10:11], v[2:3] op_sel:[0,1]
	v_pk_fma_f32 v[8:9], v[10:11], v[0:1], v[4:5] op_sel:[0,0,1] op_sel_hi:[1,1,0] neg_lo:[0,0,1] neg_hi:[0,0,1]
	v_pk_fma_f32 v[4:5], v[10:11], v[0:1], v[4:5] op_sel:[0,0,1] op_sel_hi:[1,0,0]
	s_delay_alu instid0(VALU_DEP_1) | instskip(SKIP_1) | instid1(VALU_DEP_2)
	v_mov_b32_e32 v9, v5
	v_pk_add_f32 v[218:219], v[218:219], v[12:13] neg_lo:[0,1] neg_hi:[0,1]
	v_pk_add_f32 v[220:221], v[220:221], v[8:9] neg_lo:[0,1] neg_hi:[0,1]
	ds_load_2addr_b64 v[8:11], v6 offset0:47 offset1:48
	s_wait_dscnt 0x0
	v_pk_mul_f32 v[4:5], v[8:9], v[2:3] op_sel:[0,1]
	s_delay_alu instid0(VALU_DEP_1) | instskip(SKIP_1) | instid1(VALU_DEP_1)
	v_pk_fma_f32 v[12:13], v[8:9], v[0:1], v[4:5] op_sel:[0,0,1] op_sel_hi:[1,1,0] neg_lo:[0,0,1] neg_hi:[0,0,1]
	v_pk_fma_f32 v[4:5], v[8:9], v[0:1], v[4:5] op_sel:[0,0,1] op_sel_hi:[1,0,0]
	v_mov_b32_e32 v13, v5
	v_pk_mul_f32 v[4:5], v[10:11], v[2:3] op_sel:[0,1]
	s_delay_alu instid0(VALU_DEP_1) | instskip(SKIP_1) | instid1(VALU_DEP_1)
	v_pk_fma_f32 v[8:9], v[10:11], v[0:1], v[4:5] op_sel:[0,0,1] op_sel_hi:[1,1,0] neg_lo:[0,0,1] neg_hi:[0,0,1]
	v_pk_fma_f32 v[4:5], v[10:11], v[0:1], v[4:5] op_sel:[0,0,1] op_sel_hi:[1,0,0]
	v_mov_b32_e32 v9, v5
	v_pk_add_f32 v[222:223], v[222:223], v[12:13] neg_lo:[0,1] neg_hi:[0,1]
	s_delay_alu instid0(VALU_DEP_2) | instskip(SKIP_3) | instid1(VALU_DEP_1)
	v_pk_add_f32 v[224:225], v[224:225], v[8:9] neg_lo:[0,1] neg_hi:[0,1]
	ds_load_2addr_b64 v[8:11], v6 offset0:49 offset1:50
	s_wait_dscnt 0x0
	v_dual_mul_f32 v4, v9, v3 :: v_dual_mul_f32 v12, v9, v0
	v_pk_fma_f32 v[4:5], v[8:9], v[142:143], v[4:5] op_sel_hi:[1,1,0] neg_lo:[0,0,1] neg_hi:[0,0,1]
	s_delay_alu instid0(VALU_DEP_2) | instskip(NEXT) | instid1(VALU_DEP_1)
	v_pk_fma_f32 v[8:9], v[8:9], v[142:143], v[12:13] op_sel:[1,0,0] op_sel_hi:[0,1,0]
	v_mov_b32_e32 v5, v9
	s_delay_alu instid0(VALU_DEP_1) | instskip(SKIP_1) | instid1(VALU_DEP_1)
	v_pk_add_f32 v[226:227], v[226:227], v[4:5] neg_lo:[0,1] neg_hi:[0,1]
	v_pk_mul_f32 v[4:5], v[10:11], v[2:3] op_sel:[0,1]
	v_pk_fma_f32 v[8:9], v[10:11], v[0:1], v[4:5] op_sel:[0,0,1] op_sel_hi:[1,1,0] neg_lo:[0,0,1] neg_hi:[0,0,1]
	v_pk_fma_f32 v[4:5], v[10:11], v[0:1], v[4:5] op_sel:[0,0,1] op_sel_hi:[1,0,0]
	s_delay_alu instid0(VALU_DEP_1) | instskip(NEXT) | instid1(VALU_DEP_1)
	v_mov_b32_e32 v9, v5
	v_pk_add_f32 v[228:229], v[228:229], v[8:9] neg_lo:[0,1] neg_hi:[0,1]
	ds_load_2addr_b64 v[8:11], v6 offset0:51 offset1:52
	s_wait_dscnt 0x0
	v_pk_mul_f32 v[4:5], v[8:9], v[2:3] op_sel:[0,1]
	s_delay_alu instid0(VALU_DEP_1) | instskip(SKIP_1) | instid1(VALU_DEP_1)
	v_pk_fma_f32 v[12:13], v[8:9], v[0:1], v[4:5] op_sel:[0,0,1] op_sel_hi:[1,1,0] neg_lo:[0,0,1] neg_hi:[0,0,1]
	v_pk_fma_f32 v[4:5], v[8:9], v[0:1], v[4:5] op_sel:[0,0,1] op_sel_hi:[1,0,0]
	v_mov_b32_e32 v13, v5
	v_pk_mul_f32 v[4:5], v[10:11], v[2:3] op_sel:[0,1]
	s_delay_alu instid0(VALU_DEP_2) | instskip(NEXT) | instid1(VALU_DEP_2)
	v_pk_add_f32 v[230:231], v[230:231], v[12:13] neg_lo:[0,1] neg_hi:[0,1]
	v_pk_fma_f32 v[8:9], v[10:11], v[0:1], v[4:5] op_sel:[0,0,1] op_sel_hi:[1,1,0] neg_lo:[0,0,1] neg_hi:[0,0,1]
	v_pk_fma_f32 v[4:5], v[10:11], v[0:1], v[4:5] op_sel:[0,0,1] op_sel_hi:[1,0,0]
	s_delay_alu instid0(VALU_DEP_1) | instskip(NEXT) | instid1(VALU_DEP_1)
	v_mov_b32_e32 v9, v5
	v_pk_add_f32 v[232:233], v[232:233], v[8:9] neg_lo:[0,1] neg_hi:[0,1]
	ds_load_2addr_b64 v[8:11], v6 offset0:53 offset1:54
	s_wait_dscnt 0x0
	v_pk_mul_f32 v[4:5], v[8:9], v[2:3] op_sel:[0,1]
	s_delay_alu instid0(VALU_DEP_1) | instskip(SKIP_2) | instid1(VALU_DEP_2)
	v_pk_fma_f32 v[12:13], v[8:9], v[0:1], v[4:5] op_sel:[0,0,1] op_sel_hi:[1,1,0] neg_lo:[0,0,1] neg_hi:[0,0,1]
	v_pk_fma_f32 v[4:5], v[8:9], v[0:1], v[4:5] op_sel:[0,0,1] op_sel_hi:[1,0,0]
	v_dual_mul_f32 v8, v11, v3 :: v_dual_mov_b32 v4, v11
	v_dual_mov_b32 v13, v5 :: v_dual_mov_b32 v5, v10
	s_delay_alu instid0(VALU_DEP_2) | instskip(SKIP_1) | instid1(VALU_DEP_3)
	v_pk_fma_f32 v[8:9], v[10:11], v[142:143], v[8:9] op_sel_hi:[1,1,0] neg_lo:[0,0,1] neg_hi:[0,0,1]
	v_mul_f32_e32 v10, v11, v0
	v_pk_add_f32 v[234:235], v[234:235], v[12:13] neg_lo:[0,1] neg_hi:[0,1]
	s_delay_alu instid0(VALU_DEP_2) | instskip(NEXT) | instid1(VALU_DEP_1)
	v_pk_fma_f32 v[4:5], v[4:5], v[142:143], v[10:11] op_sel_hi:[1,1,0]
	v_mov_b32_e32 v9, v5
	s_delay_alu instid0(VALU_DEP_1) | instskip(SKIP_3) | instid1(VALU_DEP_1)
	v_pk_add_f32 v[236:237], v[236:237], v[8:9] neg_lo:[0,1] neg_hi:[0,1]
	ds_load_2addr_b64 v[8:11], v6 offset0:55 offset1:56
	s_wait_dscnt 0x0
	v_pk_mul_f32 v[4:5], v[8:9], v[2:3] op_sel:[0,1]
	v_pk_fma_f32 v[12:13], v[8:9], v[0:1], v[4:5] op_sel:[0,0,1] op_sel_hi:[1,1,0] neg_lo:[0,0,1] neg_hi:[0,0,1]
	v_pk_fma_f32 v[4:5], v[8:9], v[0:1], v[4:5] op_sel:[0,0,1] op_sel_hi:[1,0,0]
	s_delay_alu instid0(VALU_DEP_1) | instskip(SKIP_1) | instid1(VALU_DEP_1)
	v_mov_b32_e32 v13, v5
	v_pk_mul_f32 v[4:5], v[10:11], v[2:3] op_sel:[0,1]
	v_pk_fma_f32 v[8:9], v[10:11], v[0:1], v[4:5] op_sel:[0,0,1] op_sel_hi:[1,1,0] neg_lo:[0,0,1] neg_hi:[0,0,1]
	v_pk_fma_f32 v[4:5], v[10:11], v[0:1], v[4:5] op_sel:[0,0,1] op_sel_hi:[1,0,0]
	s_delay_alu instid0(VALU_DEP_1) | instskip(SKIP_1) | instid1(VALU_DEP_2)
	v_mov_b32_e32 v9, v5
	v_pk_add_f32 v[238:239], v[238:239], v[12:13] neg_lo:[0,1] neg_hi:[0,1]
	v_pk_add_f32 v[248:249], v[248:249], v[8:9] neg_lo:[0,1] neg_hi:[0,1]
	ds_load_2addr_b64 v[8:11], v6 offset0:57 offset1:58
	s_wait_dscnt 0x0
	v_pk_mul_f32 v[4:5], v[8:9], v[2:3] op_sel:[0,1]
	s_delay_alu instid0(VALU_DEP_1) | instskip(SKIP_1) | instid1(VALU_DEP_1)
	v_pk_fma_f32 v[12:13], v[8:9], v[0:1], v[4:5] op_sel:[0,0,1] op_sel_hi:[1,1,0] neg_lo:[0,0,1] neg_hi:[0,0,1]
	v_pk_fma_f32 v[4:5], v[8:9], v[0:1], v[4:5] op_sel:[0,0,1] op_sel_hi:[1,0,0]
	v_mov_b32_e32 v13, v5
	v_pk_mul_f32 v[4:5], v[10:11], v[2:3] op_sel:[0,1]
	s_delay_alu instid0(VALU_DEP_1) | instskip(SKIP_1) | instid1(VALU_DEP_1)
	v_pk_fma_f32 v[8:9], v[10:11], v[0:1], v[4:5] op_sel:[0,0,1] op_sel_hi:[1,1,0] neg_lo:[0,0,1] neg_hi:[0,0,1]
	v_pk_fma_f32 v[4:5], v[10:11], v[0:1], v[4:5] op_sel:[0,0,1] op_sel_hi:[1,0,0]
	v_mov_b32_e32 v9, v5
	v_pk_add_f32 v[242:243], v[242:243], v[12:13] neg_lo:[0,1] neg_hi:[0,1]
	s_delay_alu instid0(VALU_DEP_2) | instskip(SKIP_3) | instid1(VALU_DEP_1)
	v_pk_add_f32 v[246:247], v[246:247], v[8:9] neg_lo:[0,1] neg_hi:[0,1]
	ds_load_2addr_b64 v[8:11], v6 offset0:59 offset1:60
	s_wait_dscnt 0x0
	v_dual_mul_f32 v4, v9, v3 :: v_dual_mul_f32 v12, v9, v0
	v_pk_fma_f32 v[4:5], v[8:9], v[142:143], v[4:5] op_sel_hi:[1,1,0] neg_lo:[0,0,1] neg_hi:[0,0,1]
	s_delay_alu instid0(VALU_DEP_2) | instskip(NEXT) | instid1(VALU_DEP_1)
	v_pk_fma_f32 v[8:9], v[8:9], v[142:143], v[12:13] op_sel:[1,0,0] op_sel_hi:[0,1,0]
	v_mov_b32_e32 v5, v9
	s_delay_alu instid0(VALU_DEP_1) | instskip(SKIP_1) | instid1(VALU_DEP_1)
	v_pk_add_f32 v[240:241], v[240:241], v[4:5] neg_lo:[0,1] neg_hi:[0,1]
	v_pk_mul_f32 v[4:5], v[10:11], v[2:3] op_sel:[0,1]
	v_pk_fma_f32 v[8:9], v[10:11], v[0:1], v[4:5] op_sel:[0,0,1] op_sel_hi:[1,1,0] neg_lo:[0,0,1] neg_hi:[0,0,1]
	v_pk_fma_f32 v[4:5], v[10:11], v[0:1], v[4:5] op_sel:[0,0,1] op_sel_hi:[1,0,0]
	s_delay_alu instid0(VALU_DEP_1) | instskip(NEXT) | instid1(VALU_DEP_1)
	v_mov_b32_e32 v9, v5
	v_pk_add_f32 v[244:245], v[244:245], v[8:9] neg_lo:[0,1] neg_hi:[0,1]
	ds_load_2addr_b64 v[8:11], v6 offset0:61 offset1:62
	s_wait_dscnt 0x0
	v_pk_mul_f32 v[4:5], v[8:9], v[2:3] op_sel:[0,1]
	v_pk_mul_f32 v[2:3], v[10:11], v[2:3] op_sel:[0,1]
	s_delay_alu instid0(VALU_DEP_2) | instskip(SKIP_1) | instid1(VALU_DEP_1)
	v_pk_fma_f32 v[12:13], v[8:9], v[0:1], v[4:5] op_sel:[0,0,1] op_sel_hi:[1,1,0] neg_lo:[0,0,1] neg_hi:[0,0,1]
	v_pk_fma_f32 v[4:5], v[8:9], v[0:1], v[4:5] op_sel:[0,0,1] op_sel_hi:[1,0,0]
	v_mov_b32_e32 v13, v5
	s_delay_alu instid0(VALU_DEP_4) | instskip(SKIP_1) | instid1(VALU_DEP_3)
	v_pk_fma_f32 v[4:5], v[10:11], v[0:1], v[2:3] op_sel:[0,0,1] op_sel_hi:[1,1,0] neg_lo:[0,0,1] neg_hi:[0,0,1]
	v_pk_fma_f32 v[0:1], v[10:11], v[0:1], v[2:3] op_sel:[0,0,1] op_sel_hi:[1,0,0]
	v_pk_add_f32 v[250:251], v[250:251], v[12:13] neg_lo:[0,1] neg_hi:[0,1]
	s_delay_alu instid0(VALU_DEP_2) | instskip(NEXT) | instid1(VALU_DEP_1)
	v_mov_b32_e32 v5, v1
	v_pk_add_f32 v[252:253], v[252:253], v[4:5] neg_lo:[0,1] neg_hi:[0,1]
.LBB125_10:
	s_wait_xcnt 0x0
	s_or_b32 exec_lo, exec_lo, s2
	s_delay_alu instid0(SALU_CYCLE_1)
	s_mov_b32 s2, exec_lo
	s_wait_storecnt 0x0
	s_barrier_signal -1
	s_barrier_wait -1
	v_cmpx_eq_u32_e32 1, v254
	s_cbranch_execz .LBB125_17
; %bb.11:
	v_dual_mov_b32 v0, v140 :: v_dual_mov_b32 v1, v141
	v_dual_mov_b32 v2, v138 :: v_dual_mov_b32 v3, v139
	ds_store_b64 v255, v[144:145]
	ds_store_2addr_b64 v6, v[0:1], v[2:3] offset0:2 offset1:3
	v_dual_mov_b32 v0, v134 :: v_dual_mov_b32 v1, v135
	v_dual_mov_b32 v2, v130 :: v_dual_mov_b32 v3, v131
	ds_store_2addr_b64 v6, v[0:1], v[2:3] offset0:4 offset1:5
	v_dual_mov_b32 v0, v132 :: v_dual_mov_b32 v1, v133
	v_dual_mov_b32 v2, v128 :: v_dual_mov_b32 v3, v129
	ds_store_2addr_b64 v6, v[0:1], v[2:3] offset0:6 offset1:7
	v_dual_mov_b32 v0, v136 :: v_dual_mov_b32 v1, v137
	v_dual_mov_b32 v2, v146 :: v_dual_mov_b32 v3, v147
	ds_store_2addr_b64 v6, v[0:1], v[2:3] offset0:8 offset1:9
	v_dual_mov_b32 v0, v148 :: v_dual_mov_b32 v1, v149
	v_dual_mov_b32 v2, v150 :: v_dual_mov_b32 v3, v151
	ds_store_2addr_b64 v6, v[0:1], v[2:3] offset0:10 offset1:11
	v_dual_mov_b32 v0, v152 :: v_dual_mov_b32 v1, v153
	v_dual_mov_b32 v2, v154 :: v_dual_mov_b32 v3, v155
	ds_store_2addr_b64 v6, v[0:1], v[2:3] offset0:12 offset1:13
	v_dual_mov_b32 v0, v156 :: v_dual_mov_b32 v1, v157
	v_dual_mov_b32 v2, v158 :: v_dual_mov_b32 v3, v159
	ds_store_2addr_b64 v6, v[0:1], v[2:3] offset0:14 offset1:15
	v_dual_mov_b32 v0, v160 :: v_dual_mov_b32 v1, v161
	v_dual_mov_b32 v2, v162 :: v_dual_mov_b32 v3, v163
	ds_store_2addr_b64 v6, v[0:1], v[2:3] offset0:16 offset1:17
	v_dual_mov_b32 v0, v164 :: v_dual_mov_b32 v1, v165
	v_dual_mov_b32 v2, v166 :: v_dual_mov_b32 v3, v167
	ds_store_2addr_b64 v6, v[0:1], v[2:3] offset0:18 offset1:19
	v_dual_mov_b32 v0, v168 :: v_dual_mov_b32 v1, v169
	v_dual_mov_b32 v2, v170 :: v_dual_mov_b32 v3, v171
	ds_store_2addr_b64 v6, v[0:1], v[2:3] offset0:20 offset1:21
	v_dual_mov_b32 v0, v172 :: v_dual_mov_b32 v1, v173
	v_dual_mov_b32 v2, v174 :: v_dual_mov_b32 v3, v175
	ds_store_2addr_b64 v6, v[0:1], v[2:3] offset0:22 offset1:23
	v_dual_mov_b32 v0, v176 :: v_dual_mov_b32 v1, v177
	v_dual_mov_b32 v2, v178 :: v_dual_mov_b32 v3, v179
	ds_store_2addr_b64 v6, v[0:1], v[2:3] offset0:24 offset1:25
	v_dual_mov_b32 v0, v180 :: v_dual_mov_b32 v1, v181
	v_dual_mov_b32 v2, v182 :: v_dual_mov_b32 v3, v183
	ds_store_2addr_b64 v6, v[0:1], v[2:3] offset0:26 offset1:27
	v_dual_mov_b32 v0, v184 :: v_dual_mov_b32 v1, v185
	v_dual_mov_b32 v2, v186 :: v_dual_mov_b32 v3, v187
	ds_store_2addr_b64 v6, v[0:1], v[2:3] offset0:28 offset1:29
	v_dual_mov_b32 v0, v188 :: v_dual_mov_b32 v1, v189
	v_dual_mov_b32 v2, v190 :: v_dual_mov_b32 v3, v191
	ds_store_2addr_b64 v6, v[0:1], v[2:3] offset0:30 offset1:31
	v_dual_mov_b32 v0, v192 :: v_dual_mov_b32 v1, v193
	v_dual_mov_b32 v2, v194 :: v_dual_mov_b32 v3, v195
	ds_store_2addr_b64 v6, v[0:1], v[2:3] offset0:32 offset1:33
	v_dual_mov_b32 v0, v196 :: v_dual_mov_b32 v1, v197
	v_dual_mov_b32 v2, v198 :: v_dual_mov_b32 v3, v199
	ds_store_2addr_b64 v6, v[0:1], v[2:3] offset0:34 offset1:35
	v_dual_mov_b32 v0, v200 :: v_dual_mov_b32 v1, v201
	v_dual_mov_b32 v2, v202 :: v_dual_mov_b32 v3, v203
	ds_store_2addr_b64 v6, v[0:1], v[2:3] offset0:36 offset1:37
	v_dual_mov_b32 v0, v204 :: v_dual_mov_b32 v1, v205
	v_dual_mov_b32 v2, v206 :: v_dual_mov_b32 v3, v207
	ds_store_2addr_b64 v6, v[0:1], v[2:3] offset0:38 offset1:39
	v_dual_mov_b32 v0, v208 :: v_dual_mov_b32 v1, v209
	v_dual_mov_b32 v2, v210 :: v_dual_mov_b32 v3, v211
	ds_store_2addr_b64 v6, v[0:1], v[2:3] offset0:40 offset1:41
	v_dual_mov_b32 v0, v212 :: v_dual_mov_b32 v1, v213
	v_dual_mov_b32 v2, v214 :: v_dual_mov_b32 v3, v215
	ds_store_2addr_b64 v6, v[0:1], v[2:3] offset0:42 offset1:43
	v_dual_mov_b32 v0, v216 :: v_dual_mov_b32 v1, v217
	v_dual_mov_b32 v2, v218 :: v_dual_mov_b32 v3, v219
	ds_store_2addr_b64 v6, v[0:1], v[2:3] offset0:44 offset1:45
	v_dual_mov_b32 v0, v220 :: v_dual_mov_b32 v1, v221
	v_dual_mov_b32 v2, v222 :: v_dual_mov_b32 v3, v223
	ds_store_2addr_b64 v6, v[0:1], v[2:3] offset0:46 offset1:47
	v_dual_mov_b32 v0, v224 :: v_dual_mov_b32 v1, v225
	v_dual_mov_b32 v2, v226 :: v_dual_mov_b32 v3, v227
	ds_store_2addr_b64 v6, v[0:1], v[2:3] offset0:48 offset1:49
	v_dual_mov_b32 v0, v228 :: v_dual_mov_b32 v1, v229
	v_dual_mov_b32 v2, v230 :: v_dual_mov_b32 v3, v231
	ds_store_2addr_b64 v6, v[0:1], v[2:3] offset0:50 offset1:51
	v_dual_mov_b32 v0, v232 :: v_dual_mov_b32 v1, v233
	v_dual_mov_b32 v2, v234 :: v_dual_mov_b32 v3, v235
	ds_store_2addr_b64 v6, v[0:1], v[2:3] offset0:52 offset1:53
	v_dual_mov_b32 v0, v236 :: v_dual_mov_b32 v1, v237
	v_dual_mov_b32 v2, v238 :: v_dual_mov_b32 v3, v239
	ds_store_2addr_b64 v6, v[0:1], v[2:3] offset0:54 offset1:55
	v_dual_mov_b32 v0, v248 :: v_dual_mov_b32 v1, v249
	v_dual_mov_b32 v2, v242 :: v_dual_mov_b32 v3, v243
	ds_store_2addr_b64 v6, v[0:1], v[2:3] offset0:56 offset1:57
	v_dual_mov_b32 v0, v246 :: v_dual_mov_b32 v1, v247
	v_dual_mov_b32 v2, v240 :: v_dual_mov_b32 v3, v241
	ds_store_2addr_b64 v6, v[0:1], v[2:3] offset0:58 offset1:59
	v_dual_mov_b32 v0, v244 :: v_dual_mov_b32 v1, v245
	v_dual_mov_b32 v2, v250 :: v_dual_mov_b32 v3, v251
	ds_store_2addr_b64 v6, v[0:1], v[2:3] offset0:60 offset1:61
	ds_store_b64 v6, v[252:253] offset:496
	ds_load_b64 v[0:1], v255
	s_wait_dscnt 0x0
	v_cmp_neq_f32_e32 vcc_lo, 0, v0
	v_cmp_neq_f32_e64 s1, 0, v1
	s_or_b32 s1, vcc_lo, s1
	s_delay_alu instid0(SALU_CYCLE_1)
	s_and_b32 exec_lo, exec_lo, s1
	s_cbranch_execz .LBB125_17
; %bb.12:
	v_cmp_ngt_f32_e64 s1, |v0|, |v1|
                                        ; implicit-def: $vgpr2_vgpr3
	s_and_saveexec_b32 s4, s1
	s_delay_alu instid0(SALU_CYCLE_1)
	s_xor_b32 s1, exec_lo, s4
	s_cbranch_execz .LBB125_14
; %bb.13:
	v_div_scale_f32 v2, null, v1, v1, v0
	v_div_scale_f32 v5, vcc_lo, v0, v1, v0
	s_delay_alu instid0(VALU_DEP_2) | instskip(SKIP_1) | instid1(TRANS32_DEP_1)
	v_rcp_f32_e32 v3, v2
	v_nop
	v_fma_f32 v4, -v2, v3, 1.0
	s_delay_alu instid0(VALU_DEP_1) | instskip(NEXT) | instid1(VALU_DEP_1)
	v_fmac_f32_e32 v3, v4, v3
	v_mul_f32_e32 v4, v5, v3
	s_delay_alu instid0(VALU_DEP_1) | instskip(NEXT) | instid1(VALU_DEP_1)
	v_fma_f32 v7, -v2, v4, v5
	v_fmac_f32_e32 v4, v7, v3
	s_delay_alu instid0(VALU_DEP_1) | instskip(NEXT) | instid1(VALU_DEP_1)
	v_fma_f32 v2, -v2, v4, v5
	v_div_fmas_f32 v2, v2, v3, v4
	s_delay_alu instid0(VALU_DEP_1) | instskip(NEXT) | instid1(VALU_DEP_1)
	v_div_fixup_f32 v2, v2, v1, v0
	v_fmac_f32_e32 v1, v0, v2
	s_delay_alu instid0(VALU_DEP_1) | instskip(SKIP_1) | instid1(VALU_DEP_2)
	v_div_scale_f32 v0, null, v1, v1, 1.0
	v_div_scale_f32 v5, vcc_lo, 1.0, v1, 1.0
	v_rcp_f32_e32 v3, v0
	v_nop
	s_delay_alu instid0(TRANS32_DEP_1) | instskip(NEXT) | instid1(VALU_DEP_1)
	v_fma_f32 v4, -v0, v3, 1.0
	v_fmac_f32_e32 v3, v4, v3
	s_delay_alu instid0(VALU_DEP_1) | instskip(NEXT) | instid1(VALU_DEP_1)
	v_mul_f32_e32 v4, v5, v3
	v_fma_f32 v7, -v0, v4, v5
	s_delay_alu instid0(VALU_DEP_1) | instskip(NEXT) | instid1(VALU_DEP_1)
	v_fmac_f32_e32 v4, v7, v3
	v_fma_f32 v0, -v0, v4, v5
	s_delay_alu instid0(VALU_DEP_1) | instskip(NEXT) | instid1(VALU_DEP_1)
	v_div_fmas_f32 v0, v0, v3, v4
	v_div_fixup_f32 v0, v0, v1, 1.0
	s_delay_alu instid0(VALU_DEP_1)
	v_mul_f32_e32 v2, v2, v0
	v_xor_b32_e32 v3, 0x80000000, v0
                                        ; implicit-def: $vgpr0_vgpr1
.LBB125_14:
	s_and_not1_saveexec_b32 s1, s1
	s_cbranch_execz .LBB125_16
; %bb.15:
	v_div_scale_f32 v2, null, v0, v0, v1
	v_div_scale_f32 v5, vcc_lo, v1, v0, v1
	s_delay_alu instid0(VALU_DEP_2) | instskip(SKIP_1) | instid1(TRANS32_DEP_1)
	v_rcp_f32_e32 v3, v2
	v_nop
	v_fma_f32 v4, -v2, v3, 1.0
	s_delay_alu instid0(VALU_DEP_1) | instskip(NEXT) | instid1(VALU_DEP_1)
	v_fmac_f32_e32 v3, v4, v3
	v_mul_f32_e32 v4, v5, v3
	s_delay_alu instid0(VALU_DEP_1) | instskip(NEXT) | instid1(VALU_DEP_1)
	v_fma_f32 v7, -v2, v4, v5
	v_fmac_f32_e32 v4, v7, v3
	s_delay_alu instid0(VALU_DEP_1) | instskip(NEXT) | instid1(VALU_DEP_1)
	v_fma_f32 v2, -v2, v4, v5
	v_div_fmas_f32 v2, v2, v3, v4
	s_delay_alu instid0(VALU_DEP_1) | instskip(NEXT) | instid1(VALU_DEP_1)
	v_div_fixup_f32 v3, v2, v0, v1
	v_fmac_f32_e32 v0, v1, v3
	s_delay_alu instid0(VALU_DEP_1) | instskip(NEXT) | instid1(VALU_DEP_1)
	v_div_scale_f32 v1, null, v0, v0, 1.0
	v_rcp_f32_e32 v2, v1
	v_nop
	s_delay_alu instid0(TRANS32_DEP_1) | instskip(NEXT) | instid1(VALU_DEP_1)
	v_fma_f32 v4, -v1, v2, 1.0
	v_fmac_f32_e32 v2, v4, v2
	v_div_scale_f32 v4, vcc_lo, 1.0, v0, 1.0
	s_delay_alu instid0(VALU_DEP_1) | instskip(NEXT) | instid1(VALU_DEP_1)
	v_mul_f32_e32 v5, v4, v2
	v_fma_f32 v7, -v1, v5, v4
	s_delay_alu instid0(VALU_DEP_1) | instskip(NEXT) | instid1(VALU_DEP_1)
	v_fmac_f32_e32 v5, v7, v2
	v_fma_f32 v1, -v1, v5, v4
	s_delay_alu instid0(VALU_DEP_1) | instskip(NEXT) | instid1(VALU_DEP_1)
	v_div_fmas_f32 v1, v1, v2, v5
	v_div_fixup_f32 v2, v1, v0, 1.0
	s_delay_alu instid0(VALU_DEP_1)
	v_mul_f32_e64 v3, v3, -v2
.LBB125_16:
	s_or_b32 exec_lo, exec_lo, s1
	ds_store_b64 v255, v[2:3]
.LBB125_17:
	s_or_b32 exec_lo, exec_lo, s2
	s_wait_dscnt 0x0
	s_barrier_signal -1
	s_barrier_wait -1
	ds_load_b64 v[0:1], v255
	s_mov_b32 s1, exec_lo
	s_wait_dscnt 0x0
	scratch_store_b64 off, v[0:1], off offset:512 ; 8-byte Folded Spill
	s_wait_xcnt 0x0
	v_cmpx_lt_u32_e32 1, v254
	s_cbranch_execz .LBB125_19
; %bb.18:
	scratch_load_b64 v[4:5], off, off offset:512 ; 8-byte Folded Reload
	ds_load_2addr_b64 v[8:11], v6 offset0:2 offset1:3
	s_wait_loadcnt 0x0
	v_pk_mul_f32 v[0:1], v[4:5], v[144:145] op_sel:[1,1] op_sel_hi:[0,1]
	s_delay_alu instid0(VALU_DEP_1) | instskip(SKIP_1) | instid1(VALU_DEP_1)
	v_pk_fma_f32 v[2:3], v[4:5], v[144:145], v[0:1] op_sel_hi:[1,0,1] neg_lo:[0,0,1] neg_hi:[0,0,1]
	v_pk_fma_f32 v[4:5], v[4:5], v[144:145], v[0:1] op_sel_hi:[1,0,1]
	v_dual_mov_b32 v144, v2 :: v_dual_mov_b32 v145, v5
	s_wait_dscnt 0x0
	s_delay_alu instid0(VALU_DEP_2) | instskip(NEXT) | instid1(VALU_DEP_1)
	v_pk_mul_f32 v[0:1], v[8:9], v[4:5] op_sel:[0,1]
	v_pk_fma_f32 v[12:13], v[8:9], v[2:3], v[0:1] op_sel:[0,0,1] op_sel_hi:[1,1,0] neg_lo:[0,0,1] neg_hi:[0,0,1]
	v_pk_fma_f32 v[0:1], v[8:9], v[2:3], v[0:1] op_sel:[0,0,1] op_sel_hi:[1,0,0]
	s_delay_alu instid0(VALU_DEP_1) | instskip(SKIP_1) | instid1(VALU_DEP_1)
	v_mov_b32_e32 v13, v1
	v_pk_mul_f32 v[0:1], v[10:11], v[4:5] op_sel:[0,1]
	v_pk_fma_f32 v[8:9], v[10:11], v[2:3], v[0:1] op_sel:[0,0,1] op_sel_hi:[1,1,0] neg_lo:[0,0,1] neg_hi:[0,0,1]
	v_pk_fma_f32 v[0:1], v[10:11], v[2:3], v[0:1] op_sel:[0,0,1] op_sel_hi:[1,0,0]
	s_delay_alu instid0(VALU_DEP_1) | instskip(SKIP_1) | instid1(VALU_DEP_2)
	v_mov_b32_e32 v9, v1
	v_pk_add_f32 v[140:141], v[140:141], v[12:13] neg_lo:[0,1] neg_hi:[0,1]
	v_pk_add_f32 v[138:139], v[138:139], v[8:9] neg_lo:[0,1] neg_hi:[0,1]
	ds_load_2addr_b64 v[8:11], v6 offset0:4 offset1:5
	s_wait_dscnt 0x0
	v_pk_mul_f32 v[0:1], v[8:9], v[4:5] op_sel:[0,1]
	s_delay_alu instid0(VALU_DEP_1) | instskip(SKIP_2) | instid1(VALU_DEP_2)
	v_pk_fma_f32 v[12:13], v[8:9], v[2:3], v[0:1] op_sel:[0,0,1] op_sel_hi:[1,1,0] neg_lo:[0,0,1] neg_hi:[0,0,1]
	v_pk_fma_f32 v[0:1], v[8:9], v[2:3], v[0:1] op_sel:[0,0,1] op_sel_hi:[1,0,0]
	v_dual_mul_f32 v8, v11, v5 :: v_dual_mov_b32 v0, v11
	v_dual_mov_b32 v13, v1 :: v_dual_mov_b32 v1, v10
	s_delay_alu instid0(VALU_DEP_2) | instskip(SKIP_1) | instid1(VALU_DEP_3)
	v_pk_fma_f32 v[8:9], v[10:11], v[144:145], v[8:9] op_sel_hi:[1,1,0] neg_lo:[0,0,1] neg_hi:[0,0,1]
	v_mul_f32_e32 v10, v11, v2
	v_pk_add_f32 v[134:135], v[134:135], v[12:13] neg_lo:[0,1] neg_hi:[0,1]
	s_delay_alu instid0(VALU_DEP_2) | instskip(NEXT) | instid1(VALU_DEP_1)
	v_pk_fma_f32 v[0:1], v[0:1], v[144:145], v[10:11] op_sel_hi:[1,1,0]
	v_mov_b32_e32 v9, v1
	s_delay_alu instid0(VALU_DEP_1) | instskip(SKIP_3) | instid1(VALU_DEP_1)
	v_pk_add_f32 v[130:131], v[130:131], v[8:9] neg_lo:[0,1] neg_hi:[0,1]
	ds_load_2addr_b64 v[8:11], v6 offset0:6 offset1:7
	s_wait_dscnt 0x0
	v_pk_mul_f32 v[0:1], v[8:9], v[4:5] op_sel:[0,1]
	v_pk_fma_f32 v[12:13], v[8:9], v[2:3], v[0:1] op_sel:[0,0,1] op_sel_hi:[1,1,0] neg_lo:[0,0,1] neg_hi:[0,0,1]
	v_pk_fma_f32 v[0:1], v[8:9], v[2:3], v[0:1] op_sel:[0,0,1] op_sel_hi:[1,0,0]
	s_delay_alu instid0(VALU_DEP_1) | instskip(SKIP_1) | instid1(VALU_DEP_1)
	v_mov_b32_e32 v13, v1
	v_pk_mul_f32 v[0:1], v[10:11], v[4:5] op_sel:[0,1]
	v_pk_fma_f32 v[8:9], v[10:11], v[2:3], v[0:1] op_sel:[0,0,1] op_sel_hi:[1,1,0] neg_lo:[0,0,1] neg_hi:[0,0,1]
	v_pk_fma_f32 v[0:1], v[10:11], v[2:3], v[0:1] op_sel:[0,0,1] op_sel_hi:[1,0,0]
	s_delay_alu instid0(VALU_DEP_1) | instskip(SKIP_1) | instid1(VALU_DEP_2)
	v_mov_b32_e32 v9, v1
	v_pk_add_f32 v[132:133], v[132:133], v[12:13] neg_lo:[0,1] neg_hi:[0,1]
	v_pk_add_f32 v[128:129], v[128:129], v[8:9] neg_lo:[0,1] neg_hi:[0,1]
	ds_load_2addr_b64 v[8:11], v6 offset0:8 offset1:9
	s_wait_dscnt 0x0
	v_pk_mul_f32 v[0:1], v[8:9], v[4:5] op_sel:[0,1]
	s_delay_alu instid0(VALU_DEP_1) | instskip(SKIP_1) | instid1(VALU_DEP_1)
	v_pk_fma_f32 v[12:13], v[8:9], v[2:3], v[0:1] op_sel:[0,0,1] op_sel_hi:[1,1,0] neg_lo:[0,0,1] neg_hi:[0,0,1]
	v_pk_fma_f32 v[0:1], v[8:9], v[2:3], v[0:1] op_sel:[0,0,1] op_sel_hi:[1,0,0]
	v_mov_b32_e32 v13, v1
	v_pk_mul_f32 v[0:1], v[10:11], v[4:5] op_sel:[0,1]
	s_delay_alu instid0(VALU_DEP_1) | instskip(SKIP_1) | instid1(VALU_DEP_1)
	v_pk_fma_f32 v[8:9], v[10:11], v[2:3], v[0:1] op_sel:[0,0,1] op_sel_hi:[1,1,0] neg_lo:[0,0,1] neg_hi:[0,0,1]
	v_pk_fma_f32 v[0:1], v[10:11], v[2:3], v[0:1] op_sel:[0,0,1] op_sel_hi:[1,0,0]
	v_mov_b32_e32 v9, v1
	v_pk_add_f32 v[136:137], v[136:137], v[12:13] neg_lo:[0,1] neg_hi:[0,1]
	s_delay_alu instid0(VALU_DEP_2) | instskip(SKIP_3) | instid1(VALU_DEP_1)
	v_pk_add_f32 v[146:147], v[146:147], v[8:9] neg_lo:[0,1] neg_hi:[0,1]
	ds_load_2addr_b64 v[8:11], v6 offset0:10 offset1:11
	s_wait_dscnt 0x0
	v_dual_mul_f32 v0, v9, v5 :: v_dual_mul_f32 v12, v9, v2
	v_pk_fma_f32 v[0:1], v[8:9], v[144:145], v[0:1] op_sel_hi:[1,1,0] neg_lo:[0,0,1] neg_hi:[0,0,1]
	s_delay_alu instid0(VALU_DEP_2) | instskip(NEXT) | instid1(VALU_DEP_1)
	v_pk_fma_f32 v[8:9], v[8:9], v[144:145], v[12:13] op_sel:[1,0,0] op_sel_hi:[0,1,0]
	v_mov_b32_e32 v1, v9
	s_delay_alu instid0(VALU_DEP_1) | instskip(SKIP_1) | instid1(VALU_DEP_1)
	v_pk_add_f32 v[148:149], v[148:149], v[0:1] neg_lo:[0,1] neg_hi:[0,1]
	v_pk_mul_f32 v[0:1], v[10:11], v[4:5] op_sel:[0,1]
	v_pk_fma_f32 v[8:9], v[10:11], v[2:3], v[0:1] op_sel:[0,0,1] op_sel_hi:[1,1,0] neg_lo:[0,0,1] neg_hi:[0,0,1]
	v_pk_fma_f32 v[0:1], v[10:11], v[2:3], v[0:1] op_sel:[0,0,1] op_sel_hi:[1,0,0]
	s_delay_alu instid0(VALU_DEP_1) | instskip(NEXT) | instid1(VALU_DEP_1)
	v_mov_b32_e32 v9, v1
	v_pk_add_f32 v[150:151], v[150:151], v[8:9] neg_lo:[0,1] neg_hi:[0,1]
	ds_load_2addr_b64 v[8:11], v6 offset0:12 offset1:13
	s_wait_dscnt 0x0
	v_pk_mul_f32 v[0:1], v[8:9], v[4:5] op_sel:[0,1]
	s_delay_alu instid0(VALU_DEP_1) | instskip(SKIP_1) | instid1(VALU_DEP_1)
	v_pk_fma_f32 v[12:13], v[8:9], v[2:3], v[0:1] op_sel:[0,0,1] op_sel_hi:[1,1,0] neg_lo:[0,0,1] neg_hi:[0,0,1]
	v_pk_fma_f32 v[0:1], v[8:9], v[2:3], v[0:1] op_sel:[0,0,1] op_sel_hi:[1,0,0]
	v_mov_b32_e32 v13, v1
	v_pk_mul_f32 v[0:1], v[10:11], v[4:5] op_sel:[0,1]
	s_delay_alu instid0(VALU_DEP_2) | instskip(NEXT) | instid1(VALU_DEP_2)
	v_pk_add_f32 v[152:153], v[152:153], v[12:13] neg_lo:[0,1] neg_hi:[0,1]
	v_pk_fma_f32 v[8:9], v[10:11], v[2:3], v[0:1] op_sel:[0,0,1] op_sel_hi:[1,1,0] neg_lo:[0,0,1] neg_hi:[0,0,1]
	v_pk_fma_f32 v[0:1], v[10:11], v[2:3], v[0:1] op_sel:[0,0,1] op_sel_hi:[1,0,0]
	s_delay_alu instid0(VALU_DEP_1) | instskip(NEXT) | instid1(VALU_DEP_1)
	v_mov_b32_e32 v9, v1
	v_pk_add_f32 v[154:155], v[154:155], v[8:9] neg_lo:[0,1] neg_hi:[0,1]
	ds_load_2addr_b64 v[8:11], v6 offset0:14 offset1:15
	s_wait_dscnt 0x0
	v_pk_mul_f32 v[0:1], v[8:9], v[4:5] op_sel:[0,1]
	s_delay_alu instid0(VALU_DEP_1) | instskip(SKIP_2) | instid1(VALU_DEP_2)
	v_pk_fma_f32 v[12:13], v[8:9], v[2:3], v[0:1] op_sel:[0,0,1] op_sel_hi:[1,1,0] neg_lo:[0,0,1] neg_hi:[0,0,1]
	v_pk_fma_f32 v[0:1], v[8:9], v[2:3], v[0:1] op_sel:[0,0,1] op_sel_hi:[1,0,0]
	v_dual_mul_f32 v8, v11, v5 :: v_dual_mov_b32 v0, v11
	v_dual_mov_b32 v13, v1 :: v_dual_mov_b32 v1, v10
	s_delay_alu instid0(VALU_DEP_2) | instskip(SKIP_1) | instid1(VALU_DEP_3)
	v_pk_fma_f32 v[8:9], v[10:11], v[144:145], v[8:9] op_sel_hi:[1,1,0] neg_lo:[0,0,1] neg_hi:[0,0,1]
	v_mul_f32_e32 v10, v11, v2
	v_pk_add_f32 v[156:157], v[156:157], v[12:13] neg_lo:[0,1] neg_hi:[0,1]
	s_delay_alu instid0(VALU_DEP_2) | instskip(NEXT) | instid1(VALU_DEP_1)
	v_pk_fma_f32 v[0:1], v[0:1], v[144:145], v[10:11] op_sel_hi:[1,1,0]
	v_mov_b32_e32 v9, v1
	s_delay_alu instid0(VALU_DEP_1) | instskip(SKIP_3) | instid1(VALU_DEP_1)
	v_pk_add_f32 v[158:159], v[158:159], v[8:9] neg_lo:[0,1] neg_hi:[0,1]
	ds_load_2addr_b64 v[8:11], v6 offset0:16 offset1:17
	s_wait_dscnt 0x0
	v_pk_mul_f32 v[0:1], v[8:9], v[4:5] op_sel:[0,1]
	v_pk_fma_f32 v[12:13], v[8:9], v[2:3], v[0:1] op_sel:[0,0,1] op_sel_hi:[1,1,0] neg_lo:[0,0,1] neg_hi:[0,0,1]
	v_pk_fma_f32 v[0:1], v[8:9], v[2:3], v[0:1] op_sel:[0,0,1] op_sel_hi:[1,0,0]
	s_delay_alu instid0(VALU_DEP_1) | instskip(SKIP_1) | instid1(VALU_DEP_1)
	v_mov_b32_e32 v13, v1
	v_pk_mul_f32 v[0:1], v[10:11], v[4:5] op_sel:[0,1]
	v_pk_fma_f32 v[8:9], v[10:11], v[2:3], v[0:1] op_sel:[0,0,1] op_sel_hi:[1,1,0] neg_lo:[0,0,1] neg_hi:[0,0,1]
	v_pk_fma_f32 v[0:1], v[10:11], v[2:3], v[0:1] op_sel:[0,0,1] op_sel_hi:[1,0,0]
	s_delay_alu instid0(VALU_DEP_1) | instskip(SKIP_1) | instid1(VALU_DEP_2)
	v_mov_b32_e32 v9, v1
	v_pk_add_f32 v[160:161], v[160:161], v[12:13] neg_lo:[0,1] neg_hi:[0,1]
	v_pk_add_f32 v[162:163], v[162:163], v[8:9] neg_lo:[0,1] neg_hi:[0,1]
	ds_load_2addr_b64 v[8:11], v6 offset0:18 offset1:19
	s_wait_dscnt 0x0
	v_pk_mul_f32 v[0:1], v[8:9], v[4:5] op_sel:[0,1]
	s_delay_alu instid0(VALU_DEP_1) | instskip(SKIP_1) | instid1(VALU_DEP_1)
	v_pk_fma_f32 v[12:13], v[8:9], v[2:3], v[0:1] op_sel:[0,0,1] op_sel_hi:[1,1,0] neg_lo:[0,0,1] neg_hi:[0,0,1]
	v_pk_fma_f32 v[0:1], v[8:9], v[2:3], v[0:1] op_sel:[0,0,1] op_sel_hi:[1,0,0]
	v_mov_b32_e32 v13, v1
	v_pk_mul_f32 v[0:1], v[10:11], v[4:5] op_sel:[0,1]
	s_delay_alu instid0(VALU_DEP_1) | instskip(SKIP_1) | instid1(VALU_DEP_1)
	v_pk_fma_f32 v[8:9], v[10:11], v[2:3], v[0:1] op_sel:[0,0,1] op_sel_hi:[1,1,0] neg_lo:[0,0,1] neg_hi:[0,0,1]
	v_pk_fma_f32 v[0:1], v[10:11], v[2:3], v[0:1] op_sel:[0,0,1] op_sel_hi:[1,0,0]
	v_mov_b32_e32 v9, v1
	v_pk_add_f32 v[164:165], v[164:165], v[12:13] neg_lo:[0,1] neg_hi:[0,1]
	s_delay_alu instid0(VALU_DEP_2) | instskip(SKIP_3) | instid1(VALU_DEP_1)
	v_pk_add_f32 v[166:167], v[166:167], v[8:9] neg_lo:[0,1] neg_hi:[0,1]
	ds_load_2addr_b64 v[8:11], v6 offset0:20 offset1:21
	s_wait_dscnt 0x0
	v_dual_mul_f32 v0, v9, v5 :: v_dual_mul_f32 v12, v9, v2
	v_pk_fma_f32 v[0:1], v[8:9], v[144:145], v[0:1] op_sel_hi:[1,1,0] neg_lo:[0,0,1] neg_hi:[0,0,1]
	s_delay_alu instid0(VALU_DEP_2) | instskip(NEXT) | instid1(VALU_DEP_1)
	v_pk_fma_f32 v[8:9], v[8:9], v[144:145], v[12:13] op_sel:[1,0,0] op_sel_hi:[0,1,0]
	v_mov_b32_e32 v1, v9
	s_delay_alu instid0(VALU_DEP_1) | instskip(SKIP_1) | instid1(VALU_DEP_1)
	v_pk_add_f32 v[168:169], v[168:169], v[0:1] neg_lo:[0,1] neg_hi:[0,1]
	v_pk_mul_f32 v[0:1], v[10:11], v[4:5] op_sel:[0,1]
	v_pk_fma_f32 v[8:9], v[10:11], v[2:3], v[0:1] op_sel:[0,0,1] op_sel_hi:[1,1,0] neg_lo:[0,0,1] neg_hi:[0,0,1]
	v_pk_fma_f32 v[0:1], v[10:11], v[2:3], v[0:1] op_sel:[0,0,1] op_sel_hi:[1,0,0]
	s_delay_alu instid0(VALU_DEP_1) | instskip(NEXT) | instid1(VALU_DEP_1)
	v_mov_b32_e32 v9, v1
	v_pk_add_f32 v[170:171], v[170:171], v[8:9] neg_lo:[0,1] neg_hi:[0,1]
	ds_load_2addr_b64 v[8:11], v6 offset0:22 offset1:23
	s_wait_dscnt 0x0
	v_pk_mul_f32 v[0:1], v[8:9], v[4:5] op_sel:[0,1]
	s_delay_alu instid0(VALU_DEP_1) | instskip(SKIP_1) | instid1(VALU_DEP_1)
	v_pk_fma_f32 v[12:13], v[8:9], v[2:3], v[0:1] op_sel:[0,0,1] op_sel_hi:[1,1,0] neg_lo:[0,0,1] neg_hi:[0,0,1]
	v_pk_fma_f32 v[0:1], v[8:9], v[2:3], v[0:1] op_sel:[0,0,1] op_sel_hi:[1,0,0]
	v_mov_b32_e32 v13, v1
	v_pk_mul_f32 v[0:1], v[10:11], v[4:5] op_sel:[0,1]
	s_delay_alu instid0(VALU_DEP_2) | instskip(NEXT) | instid1(VALU_DEP_2)
	v_pk_add_f32 v[172:173], v[172:173], v[12:13] neg_lo:[0,1] neg_hi:[0,1]
	v_pk_fma_f32 v[8:9], v[10:11], v[2:3], v[0:1] op_sel:[0,0,1] op_sel_hi:[1,1,0] neg_lo:[0,0,1] neg_hi:[0,0,1]
	v_pk_fma_f32 v[0:1], v[10:11], v[2:3], v[0:1] op_sel:[0,0,1] op_sel_hi:[1,0,0]
	s_delay_alu instid0(VALU_DEP_1) | instskip(NEXT) | instid1(VALU_DEP_1)
	v_mov_b32_e32 v9, v1
	v_pk_add_f32 v[174:175], v[174:175], v[8:9] neg_lo:[0,1] neg_hi:[0,1]
	ds_load_2addr_b64 v[8:11], v6 offset0:24 offset1:25
	s_wait_dscnt 0x0
	v_pk_mul_f32 v[0:1], v[8:9], v[4:5] op_sel:[0,1]
	s_delay_alu instid0(VALU_DEP_1) | instskip(SKIP_2) | instid1(VALU_DEP_2)
	v_pk_fma_f32 v[12:13], v[8:9], v[2:3], v[0:1] op_sel:[0,0,1] op_sel_hi:[1,1,0] neg_lo:[0,0,1] neg_hi:[0,0,1]
	v_pk_fma_f32 v[0:1], v[8:9], v[2:3], v[0:1] op_sel:[0,0,1] op_sel_hi:[1,0,0]
	v_dual_mul_f32 v8, v11, v5 :: v_dual_mov_b32 v0, v11
	v_dual_mov_b32 v13, v1 :: v_dual_mov_b32 v1, v10
	s_delay_alu instid0(VALU_DEP_2) | instskip(SKIP_1) | instid1(VALU_DEP_3)
	v_pk_fma_f32 v[8:9], v[10:11], v[144:145], v[8:9] op_sel_hi:[1,1,0] neg_lo:[0,0,1] neg_hi:[0,0,1]
	v_mul_f32_e32 v10, v11, v2
	v_pk_add_f32 v[176:177], v[176:177], v[12:13] neg_lo:[0,1] neg_hi:[0,1]
	s_delay_alu instid0(VALU_DEP_2) | instskip(NEXT) | instid1(VALU_DEP_1)
	v_pk_fma_f32 v[0:1], v[0:1], v[144:145], v[10:11] op_sel_hi:[1,1,0]
	v_mov_b32_e32 v9, v1
	s_delay_alu instid0(VALU_DEP_1) | instskip(SKIP_3) | instid1(VALU_DEP_1)
	v_pk_add_f32 v[178:179], v[178:179], v[8:9] neg_lo:[0,1] neg_hi:[0,1]
	ds_load_2addr_b64 v[8:11], v6 offset0:26 offset1:27
	s_wait_dscnt 0x0
	v_pk_mul_f32 v[0:1], v[8:9], v[4:5] op_sel:[0,1]
	v_pk_fma_f32 v[12:13], v[8:9], v[2:3], v[0:1] op_sel:[0,0,1] op_sel_hi:[1,1,0] neg_lo:[0,0,1] neg_hi:[0,0,1]
	v_pk_fma_f32 v[0:1], v[8:9], v[2:3], v[0:1] op_sel:[0,0,1] op_sel_hi:[1,0,0]
	s_delay_alu instid0(VALU_DEP_1) | instskip(SKIP_1) | instid1(VALU_DEP_1)
	v_mov_b32_e32 v13, v1
	v_pk_mul_f32 v[0:1], v[10:11], v[4:5] op_sel:[0,1]
	v_pk_fma_f32 v[8:9], v[10:11], v[2:3], v[0:1] op_sel:[0,0,1] op_sel_hi:[1,1,0] neg_lo:[0,0,1] neg_hi:[0,0,1]
	v_pk_fma_f32 v[0:1], v[10:11], v[2:3], v[0:1] op_sel:[0,0,1] op_sel_hi:[1,0,0]
	s_delay_alu instid0(VALU_DEP_1) | instskip(SKIP_1) | instid1(VALU_DEP_2)
	v_mov_b32_e32 v9, v1
	v_pk_add_f32 v[180:181], v[180:181], v[12:13] neg_lo:[0,1] neg_hi:[0,1]
	v_pk_add_f32 v[182:183], v[182:183], v[8:9] neg_lo:[0,1] neg_hi:[0,1]
	ds_load_2addr_b64 v[8:11], v6 offset0:28 offset1:29
	s_wait_dscnt 0x0
	v_pk_mul_f32 v[0:1], v[8:9], v[4:5] op_sel:[0,1]
	s_delay_alu instid0(VALU_DEP_1) | instskip(SKIP_1) | instid1(VALU_DEP_1)
	v_pk_fma_f32 v[12:13], v[8:9], v[2:3], v[0:1] op_sel:[0,0,1] op_sel_hi:[1,1,0] neg_lo:[0,0,1] neg_hi:[0,0,1]
	v_pk_fma_f32 v[0:1], v[8:9], v[2:3], v[0:1] op_sel:[0,0,1] op_sel_hi:[1,0,0]
	v_mov_b32_e32 v13, v1
	v_pk_mul_f32 v[0:1], v[10:11], v[4:5] op_sel:[0,1]
	s_delay_alu instid0(VALU_DEP_1) | instskip(SKIP_1) | instid1(VALU_DEP_1)
	v_pk_fma_f32 v[8:9], v[10:11], v[2:3], v[0:1] op_sel:[0,0,1] op_sel_hi:[1,1,0] neg_lo:[0,0,1] neg_hi:[0,0,1]
	v_pk_fma_f32 v[0:1], v[10:11], v[2:3], v[0:1] op_sel:[0,0,1] op_sel_hi:[1,0,0]
	v_mov_b32_e32 v9, v1
	v_pk_add_f32 v[184:185], v[184:185], v[12:13] neg_lo:[0,1] neg_hi:[0,1]
	s_delay_alu instid0(VALU_DEP_2) | instskip(SKIP_3) | instid1(VALU_DEP_1)
	v_pk_add_f32 v[186:187], v[186:187], v[8:9] neg_lo:[0,1] neg_hi:[0,1]
	ds_load_2addr_b64 v[8:11], v6 offset0:30 offset1:31
	s_wait_dscnt 0x0
	v_dual_mul_f32 v0, v9, v5 :: v_dual_mul_f32 v12, v9, v2
	v_pk_fma_f32 v[0:1], v[8:9], v[144:145], v[0:1] op_sel_hi:[1,1,0] neg_lo:[0,0,1] neg_hi:[0,0,1]
	s_delay_alu instid0(VALU_DEP_2) | instskip(NEXT) | instid1(VALU_DEP_1)
	v_pk_fma_f32 v[8:9], v[8:9], v[144:145], v[12:13] op_sel:[1,0,0] op_sel_hi:[0,1,0]
	v_mov_b32_e32 v1, v9
	s_delay_alu instid0(VALU_DEP_1) | instskip(SKIP_1) | instid1(VALU_DEP_1)
	v_pk_add_f32 v[188:189], v[188:189], v[0:1] neg_lo:[0,1] neg_hi:[0,1]
	v_pk_mul_f32 v[0:1], v[10:11], v[4:5] op_sel:[0,1]
	v_pk_fma_f32 v[8:9], v[10:11], v[2:3], v[0:1] op_sel:[0,0,1] op_sel_hi:[1,1,0] neg_lo:[0,0,1] neg_hi:[0,0,1]
	v_pk_fma_f32 v[0:1], v[10:11], v[2:3], v[0:1] op_sel:[0,0,1] op_sel_hi:[1,0,0]
	s_delay_alu instid0(VALU_DEP_1) | instskip(NEXT) | instid1(VALU_DEP_1)
	v_mov_b32_e32 v9, v1
	v_pk_add_f32 v[190:191], v[190:191], v[8:9] neg_lo:[0,1] neg_hi:[0,1]
	ds_load_2addr_b64 v[8:11], v6 offset0:32 offset1:33
	s_wait_dscnt 0x0
	v_pk_mul_f32 v[0:1], v[8:9], v[4:5] op_sel:[0,1]
	s_delay_alu instid0(VALU_DEP_1) | instskip(SKIP_1) | instid1(VALU_DEP_1)
	v_pk_fma_f32 v[12:13], v[8:9], v[2:3], v[0:1] op_sel:[0,0,1] op_sel_hi:[1,1,0] neg_lo:[0,0,1] neg_hi:[0,0,1]
	v_pk_fma_f32 v[0:1], v[8:9], v[2:3], v[0:1] op_sel:[0,0,1] op_sel_hi:[1,0,0]
	v_mov_b32_e32 v13, v1
	v_pk_mul_f32 v[0:1], v[10:11], v[4:5] op_sel:[0,1]
	s_delay_alu instid0(VALU_DEP_2) | instskip(NEXT) | instid1(VALU_DEP_2)
	v_pk_add_f32 v[192:193], v[192:193], v[12:13] neg_lo:[0,1] neg_hi:[0,1]
	v_pk_fma_f32 v[8:9], v[10:11], v[2:3], v[0:1] op_sel:[0,0,1] op_sel_hi:[1,1,0] neg_lo:[0,0,1] neg_hi:[0,0,1]
	v_pk_fma_f32 v[0:1], v[10:11], v[2:3], v[0:1] op_sel:[0,0,1] op_sel_hi:[1,0,0]
	s_delay_alu instid0(VALU_DEP_1) | instskip(NEXT) | instid1(VALU_DEP_1)
	v_mov_b32_e32 v9, v1
	v_pk_add_f32 v[194:195], v[194:195], v[8:9] neg_lo:[0,1] neg_hi:[0,1]
	ds_load_2addr_b64 v[8:11], v6 offset0:34 offset1:35
	s_wait_dscnt 0x0
	v_pk_mul_f32 v[0:1], v[8:9], v[4:5] op_sel:[0,1]
	s_delay_alu instid0(VALU_DEP_1) | instskip(SKIP_2) | instid1(VALU_DEP_2)
	v_pk_fma_f32 v[12:13], v[8:9], v[2:3], v[0:1] op_sel:[0,0,1] op_sel_hi:[1,1,0] neg_lo:[0,0,1] neg_hi:[0,0,1]
	v_pk_fma_f32 v[0:1], v[8:9], v[2:3], v[0:1] op_sel:[0,0,1] op_sel_hi:[1,0,0]
	v_dual_mul_f32 v8, v11, v5 :: v_dual_mov_b32 v0, v11
	v_dual_mov_b32 v13, v1 :: v_dual_mov_b32 v1, v10
	s_delay_alu instid0(VALU_DEP_2) | instskip(SKIP_1) | instid1(VALU_DEP_3)
	v_pk_fma_f32 v[8:9], v[10:11], v[144:145], v[8:9] op_sel_hi:[1,1,0] neg_lo:[0,0,1] neg_hi:[0,0,1]
	v_mul_f32_e32 v10, v11, v2
	v_pk_add_f32 v[196:197], v[196:197], v[12:13] neg_lo:[0,1] neg_hi:[0,1]
	s_delay_alu instid0(VALU_DEP_2) | instskip(NEXT) | instid1(VALU_DEP_1)
	v_pk_fma_f32 v[0:1], v[0:1], v[144:145], v[10:11] op_sel_hi:[1,1,0]
	v_mov_b32_e32 v9, v1
	s_delay_alu instid0(VALU_DEP_1) | instskip(SKIP_3) | instid1(VALU_DEP_1)
	v_pk_add_f32 v[198:199], v[198:199], v[8:9] neg_lo:[0,1] neg_hi:[0,1]
	ds_load_2addr_b64 v[8:11], v6 offset0:36 offset1:37
	s_wait_dscnt 0x0
	v_pk_mul_f32 v[0:1], v[8:9], v[4:5] op_sel:[0,1]
	v_pk_fma_f32 v[12:13], v[8:9], v[2:3], v[0:1] op_sel:[0,0,1] op_sel_hi:[1,1,0] neg_lo:[0,0,1] neg_hi:[0,0,1]
	v_pk_fma_f32 v[0:1], v[8:9], v[2:3], v[0:1] op_sel:[0,0,1] op_sel_hi:[1,0,0]
	s_delay_alu instid0(VALU_DEP_1) | instskip(SKIP_1) | instid1(VALU_DEP_1)
	v_mov_b32_e32 v13, v1
	v_pk_mul_f32 v[0:1], v[10:11], v[4:5] op_sel:[0,1]
	v_pk_fma_f32 v[8:9], v[10:11], v[2:3], v[0:1] op_sel:[0,0,1] op_sel_hi:[1,1,0] neg_lo:[0,0,1] neg_hi:[0,0,1]
	v_pk_fma_f32 v[0:1], v[10:11], v[2:3], v[0:1] op_sel:[0,0,1] op_sel_hi:[1,0,0]
	s_delay_alu instid0(VALU_DEP_1) | instskip(SKIP_1) | instid1(VALU_DEP_2)
	v_mov_b32_e32 v9, v1
	v_pk_add_f32 v[200:201], v[200:201], v[12:13] neg_lo:[0,1] neg_hi:[0,1]
	v_pk_add_f32 v[202:203], v[202:203], v[8:9] neg_lo:[0,1] neg_hi:[0,1]
	ds_load_2addr_b64 v[8:11], v6 offset0:38 offset1:39
	s_wait_dscnt 0x0
	v_pk_mul_f32 v[0:1], v[8:9], v[4:5] op_sel:[0,1]
	s_delay_alu instid0(VALU_DEP_1) | instskip(SKIP_1) | instid1(VALU_DEP_1)
	v_pk_fma_f32 v[12:13], v[8:9], v[2:3], v[0:1] op_sel:[0,0,1] op_sel_hi:[1,1,0] neg_lo:[0,0,1] neg_hi:[0,0,1]
	v_pk_fma_f32 v[0:1], v[8:9], v[2:3], v[0:1] op_sel:[0,0,1] op_sel_hi:[1,0,0]
	v_mov_b32_e32 v13, v1
	v_pk_mul_f32 v[0:1], v[10:11], v[4:5] op_sel:[0,1]
	s_delay_alu instid0(VALU_DEP_1) | instskip(SKIP_1) | instid1(VALU_DEP_1)
	v_pk_fma_f32 v[8:9], v[10:11], v[2:3], v[0:1] op_sel:[0,0,1] op_sel_hi:[1,1,0] neg_lo:[0,0,1] neg_hi:[0,0,1]
	v_pk_fma_f32 v[0:1], v[10:11], v[2:3], v[0:1] op_sel:[0,0,1] op_sel_hi:[1,0,0]
	v_mov_b32_e32 v9, v1
	v_pk_add_f32 v[204:205], v[204:205], v[12:13] neg_lo:[0,1] neg_hi:[0,1]
	s_delay_alu instid0(VALU_DEP_2) | instskip(SKIP_3) | instid1(VALU_DEP_1)
	v_pk_add_f32 v[206:207], v[206:207], v[8:9] neg_lo:[0,1] neg_hi:[0,1]
	ds_load_2addr_b64 v[8:11], v6 offset0:40 offset1:41
	s_wait_dscnt 0x0
	v_dual_mul_f32 v0, v9, v5 :: v_dual_mul_f32 v12, v9, v2
	v_pk_fma_f32 v[0:1], v[8:9], v[144:145], v[0:1] op_sel_hi:[1,1,0] neg_lo:[0,0,1] neg_hi:[0,0,1]
	s_delay_alu instid0(VALU_DEP_2) | instskip(NEXT) | instid1(VALU_DEP_1)
	v_pk_fma_f32 v[8:9], v[8:9], v[144:145], v[12:13] op_sel:[1,0,0] op_sel_hi:[0,1,0]
	v_mov_b32_e32 v1, v9
	s_delay_alu instid0(VALU_DEP_1) | instskip(SKIP_1) | instid1(VALU_DEP_1)
	v_pk_add_f32 v[208:209], v[208:209], v[0:1] neg_lo:[0,1] neg_hi:[0,1]
	v_pk_mul_f32 v[0:1], v[10:11], v[4:5] op_sel:[0,1]
	v_pk_fma_f32 v[8:9], v[10:11], v[2:3], v[0:1] op_sel:[0,0,1] op_sel_hi:[1,1,0] neg_lo:[0,0,1] neg_hi:[0,0,1]
	v_pk_fma_f32 v[0:1], v[10:11], v[2:3], v[0:1] op_sel:[0,0,1] op_sel_hi:[1,0,0]
	s_delay_alu instid0(VALU_DEP_1) | instskip(NEXT) | instid1(VALU_DEP_1)
	v_mov_b32_e32 v9, v1
	v_pk_add_f32 v[210:211], v[210:211], v[8:9] neg_lo:[0,1] neg_hi:[0,1]
	ds_load_2addr_b64 v[8:11], v6 offset0:42 offset1:43
	s_wait_dscnt 0x0
	v_pk_mul_f32 v[0:1], v[8:9], v[4:5] op_sel:[0,1]
	s_delay_alu instid0(VALU_DEP_1) | instskip(SKIP_1) | instid1(VALU_DEP_1)
	v_pk_fma_f32 v[12:13], v[8:9], v[2:3], v[0:1] op_sel:[0,0,1] op_sel_hi:[1,1,0] neg_lo:[0,0,1] neg_hi:[0,0,1]
	v_pk_fma_f32 v[0:1], v[8:9], v[2:3], v[0:1] op_sel:[0,0,1] op_sel_hi:[1,0,0]
	v_mov_b32_e32 v13, v1
	v_pk_mul_f32 v[0:1], v[10:11], v[4:5] op_sel:[0,1]
	s_delay_alu instid0(VALU_DEP_2) | instskip(NEXT) | instid1(VALU_DEP_2)
	v_pk_add_f32 v[212:213], v[212:213], v[12:13] neg_lo:[0,1] neg_hi:[0,1]
	v_pk_fma_f32 v[8:9], v[10:11], v[2:3], v[0:1] op_sel:[0,0,1] op_sel_hi:[1,1,0] neg_lo:[0,0,1] neg_hi:[0,0,1]
	v_pk_fma_f32 v[0:1], v[10:11], v[2:3], v[0:1] op_sel:[0,0,1] op_sel_hi:[1,0,0]
	s_delay_alu instid0(VALU_DEP_1) | instskip(NEXT) | instid1(VALU_DEP_1)
	v_mov_b32_e32 v9, v1
	v_pk_add_f32 v[214:215], v[214:215], v[8:9] neg_lo:[0,1] neg_hi:[0,1]
	ds_load_2addr_b64 v[8:11], v6 offset0:44 offset1:45
	s_wait_dscnt 0x0
	v_pk_mul_f32 v[0:1], v[8:9], v[4:5] op_sel:[0,1]
	s_delay_alu instid0(VALU_DEP_1) | instskip(SKIP_2) | instid1(VALU_DEP_2)
	v_pk_fma_f32 v[12:13], v[8:9], v[2:3], v[0:1] op_sel:[0,0,1] op_sel_hi:[1,1,0] neg_lo:[0,0,1] neg_hi:[0,0,1]
	v_pk_fma_f32 v[0:1], v[8:9], v[2:3], v[0:1] op_sel:[0,0,1] op_sel_hi:[1,0,0]
	v_dual_mul_f32 v8, v11, v5 :: v_dual_mov_b32 v0, v11
	v_dual_mov_b32 v13, v1 :: v_dual_mov_b32 v1, v10
	s_delay_alu instid0(VALU_DEP_2) | instskip(SKIP_1) | instid1(VALU_DEP_3)
	v_pk_fma_f32 v[8:9], v[10:11], v[144:145], v[8:9] op_sel_hi:[1,1,0] neg_lo:[0,0,1] neg_hi:[0,0,1]
	v_mul_f32_e32 v10, v11, v2
	v_pk_add_f32 v[216:217], v[216:217], v[12:13] neg_lo:[0,1] neg_hi:[0,1]
	s_delay_alu instid0(VALU_DEP_2) | instskip(NEXT) | instid1(VALU_DEP_1)
	v_pk_fma_f32 v[0:1], v[0:1], v[144:145], v[10:11] op_sel_hi:[1,1,0]
	v_mov_b32_e32 v9, v1
	s_delay_alu instid0(VALU_DEP_1) | instskip(SKIP_3) | instid1(VALU_DEP_1)
	v_pk_add_f32 v[218:219], v[218:219], v[8:9] neg_lo:[0,1] neg_hi:[0,1]
	ds_load_2addr_b64 v[8:11], v6 offset0:46 offset1:47
	s_wait_dscnt 0x0
	v_pk_mul_f32 v[0:1], v[8:9], v[4:5] op_sel:[0,1]
	v_pk_fma_f32 v[12:13], v[8:9], v[2:3], v[0:1] op_sel:[0,0,1] op_sel_hi:[1,1,0] neg_lo:[0,0,1] neg_hi:[0,0,1]
	v_pk_fma_f32 v[0:1], v[8:9], v[2:3], v[0:1] op_sel:[0,0,1] op_sel_hi:[1,0,0]
	s_delay_alu instid0(VALU_DEP_1) | instskip(SKIP_1) | instid1(VALU_DEP_1)
	v_mov_b32_e32 v13, v1
	v_pk_mul_f32 v[0:1], v[10:11], v[4:5] op_sel:[0,1]
	v_pk_fma_f32 v[8:9], v[10:11], v[2:3], v[0:1] op_sel:[0,0,1] op_sel_hi:[1,1,0] neg_lo:[0,0,1] neg_hi:[0,0,1]
	v_pk_fma_f32 v[0:1], v[10:11], v[2:3], v[0:1] op_sel:[0,0,1] op_sel_hi:[1,0,0]
	s_delay_alu instid0(VALU_DEP_1) | instskip(SKIP_1) | instid1(VALU_DEP_2)
	v_mov_b32_e32 v9, v1
	v_pk_add_f32 v[220:221], v[220:221], v[12:13] neg_lo:[0,1] neg_hi:[0,1]
	v_pk_add_f32 v[222:223], v[222:223], v[8:9] neg_lo:[0,1] neg_hi:[0,1]
	ds_load_2addr_b64 v[8:11], v6 offset0:48 offset1:49
	s_wait_dscnt 0x0
	v_pk_mul_f32 v[0:1], v[8:9], v[4:5] op_sel:[0,1]
	s_delay_alu instid0(VALU_DEP_1) | instskip(SKIP_1) | instid1(VALU_DEP_1)
	v_pk_fma_f32 v[12:13], v[8:9], v[2:3], v[0:1] op_sel:[0,0,1] op_sel_hi:[1,1,0] neg_lo:[0,0,1] neg_hi:[0,0,1]
	v_pk_fma_f32 v[0:1], v[8:9], v[2:3], v[0:1] op_sel:[0,0,1] op_sel_hi:[1,0,0]
	v_mov_b32_e32 v13, v1
	v_pk_mul_f32 v[0:1], v[10:11], v[4:5] op_sel:[0,1]
	s_delay_alu instid0(VALU_DEP_1) | instskip(SKIP_1) | instid1(VALU_DEP_1)
	v_pk_fma_f32 v[8:9], v[10:11], v[2:3], v[0:1] op_sel:[0,0,1] op_sel_hi:[1,1,0] neg_lo:[0,0,1] neg_hi:[0,0,1]
	v_pk_fma_f32 v[0:1], v[10:11], v[2:3], v[0:1] op_sel:[0,0,1] op_sel_hi:[1,0,0]
	v_mov_b32_e32 v9, v1
	v_pk_add_f32 v[224:225], v[224:225], v[12:13] neg_lo:[0,1] neg_hi:[0,1]
	s_delay_alu instid0(VALU_DEP_2) | instskip(SKIP_3) | instid1(VALU_DEP_1)
	v_pk_add_f32 v[226:227], v[226:227], v[8:9] neg_lo:[0,1] neg_hi:[0,1]
	ds_load_2addr_b64 v[8:11], v6 offset0:50 offset1:51
	s_wait_dscnt 0x0
	v_dual_mul_f32 v0, v9, v5 :: v_dual_mul_f32 v12, v9, v2
	v_pk_fma_f32 v[0:1], v[8:9], v[144:145], v[0:1] op_sel_hi:[1,1,0] neg_lo:[0,0,1] neg_hi:[0,0,1]
	s_delay_alu instid0(VALU_DEP_2) | instskip(NEXT) | instid1(VALU_DEP_1)
	v_pk_fma_f32 v[8:9], v[8:9], v[144:145], v[12:13] op_sel:[1,0,0] op_sel_hi:[0,1,0]
	v_mov_b32_e32 v1, v9
	s_delay_alu instid0(VALU_DEP_1) | instskip(SKIP_1) | instid1(VALU_DEP_1)
	v_pk_add_f32 v[228:229], v[228:229], v[0:1] neg_lo:[0,1] neg_hi:[0,1]
	v_pk_mul_f32 v[0:1], v[10:11], v[4:5] op_sel:[0,1]
	v_pk_fma_f32 v[8:9], v[10:11], v[2:3], v[0:1] op_sel:[0,0,1] op_sel_hi:[1,1,0] neg_lo:[0,0,1] neg_hi:[0,0,1]
	v_pk_fma_f32 v[0:1], v[10:11], v[2:3], v[0:1] op_sel:[0,0,1] op_sel_hi:[1,0,0]
	s_delay_alu instid0(VALU_DEP_1) | instskip(NEXT) | instid1(VALU_DEP_1)
	v_mov_b32_e32 v9, v1
	v_pk_add_f32 v[230:231], v[230:231], v[8:9] neg_lo:[0,1] neg_hi:[0,1]
	ds_load_2addr_b64 v[8:11], v6 offset0:52 offset1:53
	s_wait_dscnt 0x0
	v_pk_mul_f32 v[0:1], v[8:9], v[4:5] op_sel:[0,1]
	s_delay_alu instid0(VALU_DEP_1) | instskip(SKIP_1) | instid1(VALU_DEP_1)
	v_pk_fma_f32 v[12:13], v[8:9], v[2:3], v[0:1] op_sel:[0,0,1] op_sel_hi:[1,1,0] neg_lo:[0,0,1] neg_hi:[0,0,1]
	v_pk_fma_f32 v[0:1], v[8:9], v[2:3], v[0:1] op_sel:[0,0,1] op_sel_hi:[1,0,0]
	v_mov_b32_e32 v13, v1
	v_pk_mul_f32 v[0:1], v[10:11], v[4:5] op_sel:[0,1]
	s_delay_alu instid0(VALU_DEP_2) | instskip(NEXT) | instid1(VALU_DEP_2)
	v_pk_add_f32 v[232:233], v[232:233], v[12:13] neg_lo:[0,1] neg_hi:[0,1]
	v_pk_fma_f32 v[8:9], v[10:11], v[2:3], v[0:1] op_sel:[0,0,1] op_sel_hi:[1,1,0] neg_lo:[0,0,1] neg_hi:[0,0,1]
	v_pk_fma_f32 v[0:1], v[10:11], v[2:3], v[0:1] op_sel:[0,0,1] op_sel_hi:[1,0,0]
	s_delay_alu instid0(VALU_DEP_1) | instskip(NEXT) | instid1(VALU_DEP_1)
	v_mov_b32_e32 v9, v1
	v_pk_add_f32 v[234:235], v[234:235], v[8:9] neg_lo:[0,1] neg_hi:[0,1]
	ds_load_2addr_b64 v[8:11], v6 offset0:54 offset1:55
	s_wait_dscnt 0x0
	v_pk_mul_f32 v[0:1], v[8:9], v[4:5] op_sel:[0,1]
	s_delay_alu instid0(VALU_DEP_1) | instskip(SKIP_2) | instid1(VALU_DEP_2)
	v_pk_fma_f32 v[12:13], v[8:9], v[2:3], v[0:1] op_sel:[0,0,1] op_sel_hi:[1,1,0] neg_lo:[0,0,1] neg_hi:[0,0,1]
	v_pk_fma_f32 v[0:1], v[8:9], v[2:3], v[0:1] op_sel:[0,0,1] op_sel_hi:[1,0,0]
	v_dual_mul_f32 v8, v11, v5 :: v_dual_mov_b32 v0, v11
	v_dual_mov_b32 v13, v1 :: v_dual_mov_b32 v1, v10
	s_delay_alu instid0(VALU_DEP_2) | instskip(SKIP_1) | instid1(VALU_DEP_3)
	v_pk_fma_f32 v[8:9], v[10:11], v[144:145], v[8:9] op_sel_hi:[1,1,0] neg_lo:[0,0,1] neg_hi:[0,0,1]
	v_mul_f32_e32 v10, v11, v2
	v_pk_add_f32 v[236:237], v[236:237], v[12:13] neg_lo:[0,1] neg_hi:[0,1]
	s_delay_alu instid0(VALU_DEP_2) | instskip(NEXT) | instid1(VALU_DEP_1)
	v_pk_fma_f32 v[0:1], v[0:1], v[144:145], v[10:11] op_sel_hi:[1,1,0]
	v_mov_b32_e32 v9, v1
	s_delay_alu instid0(VALU_DEP_1) | instskip(SKIP_3) | instid1(VALU_DEP_1)
	v_pk_add_f32 v[238:239], v[238:239], v[8:9] neg_lo:[0,1] neg_hi:[0,1]
	ds_load_2addr_b64 v[8:11], v6 offset0:56 offset1:57
	s_wait_dscnt 0x0
	v_pk_mul_f32 v[0:1], v[8:9], v[4:5] op_sel:[0,1]
	v_pk_fma_f32 v[12:13], v[8:9], v[2:3], v[0:1] op_sel:[0,0,1] op_sel_hi:[1,1,0] neg_lo:[0,0,1] neg_hi:[0,0,1]
	v_pk_fma_f32 v[0:1], v[8:9], v[2:3], v[0:1] op_sel:[0,0,1] op_sel_hi:[1,0,0]
	s_delay_alu instid0(VALU_DEP_1) | instskip(SKIP_1) | instid1(VALU_DEP_1)
	v_mov_b32_e32 v13, v1
	v_pk_mul_f32 v[0:1], v[10:11], v[4:5] op_sel:[0,1]
	v_pk_fma_f32 v[8:9], v[10:11], v[2:3], v[0:1] op_sel:[0,0,1] op_sel_hi:[1,1,0] neg_lo:[0,0,1] neg_hi:[0,0,1]
	v_pk_fma_f32 v[0:1], v[10:11], v[2:3], v[0:1] op_sel:[0,0,1] op_sel_hi:[1,0,0]
	s_delay_alu instid0(VALU_DEP_1) | instskip(SKIP_1) | instid1(VALU_DEP_2)
	v_mov_b32_e32 v9, v1
	v_pk_add_f32 v[248:249], v[248:249], v[12:13] neg_lo:[0,1] neg_hi:[0,1]
	v_pk_add_f32 v[242:243], v[242:243], v[8:9] neg_lo:[0,1] neg_hi:[0,1]
	ds_load_2addr_b64 v[8:11], v6 offset0:58 offset1:59
	s_wait_dscnt 0x0
	v_pk_mul_f32 v[0:1], v[8:9], v[4:5] op_sel:[0,1]
	s_delay_alu instid0(VALU_DEP_1) | instskip(SKIP_1) | instid1(VALU_DEP_1)
	v_pk_fma_f32 v[12:13], v[8:9], v[2:3], v[0:1] op_sel:[0,0,1] op_sel_hi:[1,1,0] neg_lo:[0,0,1] neg_hi:[0,0,1]
	v_pk_fma_f32 v[0:1], v[8:9], v[2:3], v[0:1] op_sel:[0,0,1] op_sel_hi:[1,0,0]
	v_mov_b32_e32 v13, v1
	v_pk_mul_f32 v[0:1], v[10:11], v[4:5] op_sel:[0,1]
	s_delay_alu instid0(VALU_DEP_1) | instskip(SKIP_1) | instid1(VALU_DEP_1)
	v_pk_fma_f32 v[8:9], v[10:11], v[2:3], v[0:1] op_sel:[0,0,1] op_sel_hi:[1,1,0] neg_lo:[0,0,1] neg_hi:[0,0,1]
	v_pk_fma_f32 v[0:1], v[10:11], v[2:3], v[0:1] op_sel:[0,0,1] op_sel_hi:[1,0,0]
	v_mov_b32_e32 v9, v1
	v_pk_add_f32 v[246:247], v[246:247], v[12:13] neg_lo:[0,1] neg_hi:[0,1]
	s_delay_alu instid0(VALU_DEP_2) | instskip(SKIP_3) | instid1(VALU_DEP_1)
	v_pk_add_f32 v[240:241], v[240:241], v[8:9] neg_lo:[0,1] neg_hi:[0,1]
	ds_load_2addr_b64 v[8:11], v6 offset0:60 offset1:61
	s_wait_dscnt 0x0
	v_dual_mul_f32 v0, v9, v5 :: v_dual_mul_f32 v12, v9, v2
	v_pk_fma_f32 v[0:1], v[8:9], v[144:145], v[0:1] op_sel_hi:[1,1,0] neg_lo:[0,0,1] neg_hi:[0,0,1]
	s_delay_alu instid0(VALU_DEP_2) | instskip(NEXT) | instid1(VALU_DEP_1)
	v_pk_fma_f32 v[8:9], v[8:9], v[144:145], v[12:13] op_sel:[1,0,0] op_sel_hi:[0,1,0]
	v_mov_b32_e32 v1, v9
	s_delay_alu instid0(VALU_DEP_1) | instskip(SKIP_1) | instid1(VALU_DEP_1)
	v_pk_add_f32 v[244:245], v[244:245], v[0:1] neg_lo:[0,1] neg_hi:[0,1]
	v_pk_mul_f32 v[0:1], v[10:11], v[4:5] op_sel:[0,1]
	v_pk_fma_f32 v[8:9], v[10:11], v[2:3], v[0:1] op_sel:[0,0,1] op_sel_hi:[1,1,0] neg_lo:[0,0,1] neg_hi:[0,0,1]
	v_pk_fma_f32 v[0:1], v[10:11], v[2:3], v[0:1] op_sel:[0,0,1] op_sel_hi:[1,0,0]
	s_delay_alu instid0(VALU_DEP_1) | instskip(SKIP_4) | instid1(VALU_DEP_1)
	v_mov_b32_e32 v9, v1
	ds_load_b64 v[0:1], v6 offset:496
	v_pk_add_f32 v[250:251], v[250:251], v[8:9] neg_lo:[0,1] neg_hi:[0,1]
	s_wait_dscnt 0x0
	v_pk_mul_f32 v[4:5], v[0:1], v[4:5] op_sel:[0,1]
	v_pk_fma_f32 v[8:9], v[0:1], v[2:3], v[4:5] op_sel:[0,0,1] op_sel_hi:[1,1,0] neg_lo:[0,0,1] neg_hi:[0,0,1]
	v_pk_fma_f32 v[0:1], v[0:1], v[2:3], v[4:5] op_sel:[0,0,1] op_sel_hi:[1,0,0]
	s_delay_alu instid0(VALU_DEP_1) | instskip(NEXT) | instid1(VALU_DEP_1)
	v_mov_b32_e32 v9, v1
	v_pk_add_f32 v[252:253], v[252:253], v[8:9] neg_lo:[0,1] neg_hi:[0,1]
.LBB125_19:
	s_wait_xcnt 0x0
	s_or_b32 exec_lo, exec_lo, s1
	s_delay_alu instid0(SALU_CYCLE_1)
	s_mov_b32 s2, exec_lo
	s_wait_storecnt 0x0
	s_barrier_signal -1
	s_barrier_wait -1
	v_cmpx_eq_u32_e32 2, v254
	s_cbranch_execz .LBB125_26
; %bb.20:
	ds_store_b64 v255, v[140:141]
	ds_store_2addr_b64 v6, v[138:139], v[134:135] offset0:3 offset1:4
	ds_store_2addr_b64 v6, v[130:131], v[132:133] offset0:5 offset1:6
	;; [unrolled: 1-line block ×30, first 2 shown]
	ds_load_b64 v[2:3], v255
	s_wait_dscnt 0x0
	v_cmp_neq_f32_e32 vcc_lo, 0, v2
	v_cmp_neq_f32_e64 s1, 0, v3
	s_or_b32 s1, vcc_lo, s1
	s_delay_alu instid0(SALU_CYCLE_1)
	s_and_b32 exec_lo, exec_lo, s1
	s_cbranch_execz .LBB125_26
; %bb.21:
	v_cmp_ngt_f32_e64 s1, |v2|, |v3|
                                        ; implicit-def: $vgpr4_vgpr5
	s_and_saveexec_b32 s4, s1
	s_delay_alu instid0(SALU_CYCLE_1)
	s_xor_b32 s1, exec_lo, s4
	s_cbranch_execz .LBB125_23
; %bb.22:
	v_div_scale_f32 v0, null, v3, v3, v2
	v_div_scale_f32 v5, vcc_lo, v2, v3, v2
	s_delay_alu instid0(VALU_DEP_2) | instskip(SKIP_1) | instid1(TRANS32_DEP_1)
	v_rcp_f32_e32 v1, v0
	v_nop
	v_fma_f32 v4, -v0, v1, 1.0
	s_delay_alu instid0(VALU_DEP_1) | instskip(NEXT) | instid1(VALU_DEP_1)
	v_fmac_f32_e32 v1, v4, v1
	v_mul_f32_e32 v4, v5, v1
	s_delay_alu instid0(VALU_DEP_1) | instskip(NEXT) | instid1(VALU_DEP_1)
	v_fma_f32 v7, -v0, v4, v5
	v_fmac_f32_e32 v4, v7, v1
	s_delay_alu instid0(VALU_DEP_1) | instskip(NEXT) | instid1(VALU_DEP_1)
	v_fma_f32 v0, -v0, v4, v5
	v_div_fmas_f32 v0, v0, v1, v4
	s_delay_alu instid0(VALU_DEP_1) | instskip(NEXT) | instid1(VALU_DEP_1)
	v_div_fixup_f32 v0, v0, v3, v2
	v_fmac_f32_e32 v3, v2, v0
	s_delay_alu instid0(VALU_DEP_1) | instskip(SKIP_1) | instid1(VALU_DEP_2)
	v_div_scale_f32 v1, null, v3, v3, 1.0
	v_div_scale_f32 v5, vcc_lo, 1.0, v3, 1.0
	v_rcp_f32_e32 v2, v1
	v_nop
	s_delay_alu instid0(TRANS32_DEP_1) | instskip(NEXT) | instid1(VALU_DEP_1)
	v_fma_f32 v4, -v1, v2, 1.0
	v_fmac_f32_e32 v2, v4, v2
	s_delay_alu instid0(VALU_DEP_1) | instskip(NEXT) | instid1(VALU_DEP_1)
	v_mul_f32_e32 v4, v5, v2
	v_fma_f32 v7, -v1, v4, v5
	s_delay_alu instid0(VALU_DEP_1) | instskip(NEXT) | instid1(VALU_DEP_1)
	v_fmac_f32_e32 v4, v7, v2
	v_fma_f32 v1, -v1, v4, v5
	s_delay_alu instid0(VALU_DEP_1) | instskip(NEXT) | instid1(VALU_DEP_1)
	v_div_fmas_f32 v1, v1, v2, v4
	v_div_fixup_f32 v1, v1, v3, 1.0
                                        ; implicit-def: $vgpr2_vgpr3
	s_delay_alu instid0(VALU_DEP_1)
	v_mul_f32_e32 v4, v0, v1
	v_xor_b32_e32 v5, 0x80000000, v1
.LBB125_23:
	s_and_not1_saveexec_b32 s1, s1
	s_cbranch_execz .LBB125_25
; %bb.24:
	v_div_scale_f32 v0, null, v2, v2, v3
	v_div_scale_f32 v5, vcc_lo, v3, v2, v3
	s_delay_alu instid0(VALU_DEP_2) | instskip(SKIP_1) | instid1(TRANS32_DEP_1)
	v_rcp_f32_e32 v1, v0
	v_nop
	v_fma_f32 v4, -v0, v1, 1.0
	s_delay_alu instid0(VALU_DEP_1) | instskip(NEXT) | instid1(VALU_DEP_1)
	v_fmac_f32_e32 v1, v4, v1
	v_mul_f32_e32 v4, v5, v1
	s_delay_alu instid0(VALU_DEP_1) | instskip(NEXT) | instid1(VALU_DEP_1)
	v_fma_f32 v7, -v0, v4, v5
	v_fmac_f32_e32 v4, v7, v1
	s_delay_alu instid0(VALU_DEP_1) | instskip(NEXT) | instid1(VALU_DEP_1)
	v_fma_f32 v0, -v0, v4, v5
	v_div_fmas_f32 v0, v0, v1, v4
	s_delay_alu instid0(VALU_DEP_1) | instskip(NEXT) | instid1(VALU_DEP_1)
	v_div_fixup_f32 v0, v0, v2, v3
	v_fmac_f32_e32 v2, v3, v0
	s_delay_alu instid0(VALU_DEP_1) | instskip(NEXT) | instid1(VALU_DEP_1)
	v_div_scale_f32 v1, null, v2, v2, 1.0
	v_rcp_f32_e32 v3, v1
	v_nop
	s_delay_alu instid0(TRANS32_DEP_1) | instskip(NEXT) | instid1(VALU_DEP_1)
	v_fma_f32 v4, -v1, v3, 1.0
	v_fmac_f32_e32 v3, v4, v3
	v_div_scale_f32 v4, vcc_lo, 1.0, v2, 1.0
	s_delay_alu instid0(VALU_DEP_1) | instskip(NEXT) | instid1(VALU_DEP_1)
	v_mul_f32_e32 v5, v4, v3
	v_fma_f32 v7, -v1, v5, v4
	s_delay_alu instid0(VALU_DEP_1) | instskip(NEXT) | instid1(VALU_DEP_1)
	v_fmac_f32_e32 v5, v7, v3
	v_fma_f32 v1, -v1, v5, v4
	s_delay_alu instid0(VALU_DEP_1) | instskip(NEXT) | instid1(VALU_DEP_1)
	v_div_fmas_f32 v1, v1, v3, v5
	v_div_fixup_f32 v4, v1, v2, 1.0
	s_delay_alu instid0(VALU_DEP_1)
	v_mul_f32_e64 v5, v0, -v4
.LBB125_25:
	s_or_b32 exec_lo, exec_lo, s1
	ds_store_b64 v255, v[4:5]
.LBB125_26:
	s_or_b32 exec_lo, exec_lo, s2
	s_wait_dscnt 0x0
	s_barrier_signal -1
	s_barrier_wait -1
	ds_load_b64 v[0:1], v255
	s_mov_b32 s1, exec_lo
	s_wait_dscnt 0x0
	scratch_store_b64 off, v[0:1], off offset:520 ; 8-byte Folded Spill
	s_wait_xcnt 0x0
	v_cmpx_lt_u32_e32 2, v254
	s_cbranch_execz .LBB125_28
; %bb.27:
	scratch_load_b64 v[2:3], off, off offset:520 ; 8-byte Folded Reload
	ds_load_2addr_b64 v[10:13], v6 offset0:3 offset1:4
	s_wait_loadcnt 0x0
	v_pk_mul_f32 v[0:1], v[2:3], v[140:141] op_sel:[1,1] op_sel_hi:[0,1]
	s_delay_alu instid0(VALU_DEP_1) | instskip(SKIP_2) | instid1(VALU_DEP_2)
	v_pk_fma_f32 v[8:9], v[2:3], v[140:141], v[0:1] op_sel_hi:[1,0,1]
	v_pk_fma_f32 v[4:5], v[2:3], v[140:141], v[0:1] op_sel_hi:[1,0,1] neg_lo:[0,0,1] neg_hi:[0,0,1]
	s_wait_dscnt 0x0
	v_pk_mul_f32 v[0:1], v[10:11], v[8:9] op_sel:[0,1]
	s_delay_alu instid0(VALU_DEP_2) | instskip(NEXT) | instid1(VALU_DEP_2)
	v_dual_mov_b32 v140, v4 :: v_dual_mov_b32 v141, v9
	v_pk_fma_f32 v[2:3], v[10:11], v[4:5], v[0:1] op_sel:[0,0,1] op_sel_hi:[1,1,0] neg_lo:[0,0,1] neg_hi:[0,0,1]
	v_pk_fma_f32 v[0:1], v[10:11], v[4:5], v[0:1] op_sel:[0,0,1] op_sel_hi:[1,0,0]
	s_delay_alu instid0(VALU_DEP_1) | instskip(SKIP_1) | instid1(VALU_DEP_2)
	v_mov_b32_e32 v3, v1
	v_pk_mul_f32 v[0:1], v[12:13], v[8:9] op_sel:[0,1]
	v_pk_add_f32 v[138:139], v[138:139], v[2:3] neg_lo:[0,1] neg_hi:[0,1]
	s_delay_alu instid0(VALU_DEP_2) | instskip(SKIP_3) | instid1(VALU_DEP_1)
	v_pk_fma_f32 v[2:3], v[12:13], v[4:5], v[0:1] op_sel:[0,0,1] op_sel_hi:[1,1,0] neg_lo:[0,0,1] neg_hi:[0,0,1]
	v_pk_fma_f32 v[0:1], v[12:13], v[4:5], v[0:1] op_sel:[0,0,1] op_sel_hi:[1,0,0]
	ds_load_2addr_b64 v[10:13], v6 offset0:5 offset1:6
	v_mov_b32_e32 v3, v1
	v_pk_add_f32 v[134:135], v[134:135], v[2:3] neg_lo:[0,1] neg_hi:[0,1]
	s_wait_dscnt 0x0
	v_pk_mul_f32 v[0:1], v[10:11], v[8:9] op_sel:[0,1]
	s_delay_alu instid0(VALU_DEP_1) | instskip(SKIP_2) | instid1(VALU_DEP_2)
	v_pk_fma_f32 v[2:3], v[10:11], v[4:5], v[0:1] op_sel:[0,0,1] op_sel_hi:[1,1,0] neg_lo:[0,0,1] neg_hi:[0,0,1]
	v_pk_fma_f32 v[0:1], v[10:11], v[4:5], v[0:1] op_sel:[0,0,1] op_sel_hi:[1,0,0]
	v_dual_mov_b32 v0, v13 :: v_dual_mul_f32 v10, v13, v4
	v_dual_mov_b32 v3, v1 :: v_dual_mov_b32 v1, v12
	s_delay_alu instid0(VALU_DEP_1) | instskip(SKIP_1) | instid1(VALU_DEP_3)
	v_pk_add_f32 v[130:131], v[130:131], v[2:3] neg_lo:[0,1] neg_hi:[0,1]
	v_mul_f32_e32 v2, v13, v9
	v_pk_fma_f32 v[0:1], v[0:1], v[140:141], v[10:11] op_sel_hi:[1,1,0]
	s_delay_alu instid0(VALU_DEP_2) | instskip(SKIP_2) | instid1(VALU_DEP_1)
	v_pk_fma_f32 v[2:3], v[12:13], v[140:141], v[2:3] op_sel_hi:[1,1,0] neg_lo:[0,0,1] neg_hi:[0,0,1]
	ds_load_2addr_b64 v[10:13], v6 offset0:7 offset1:8
	v_mov_b32_e32 v3, v1
	v_pk_add_f32 v[132:133], v[132:133], v[2:3] neg_lo:[0,1] neg_hi:[0,1]
	s_wait_dscnt 0x0
	v_pk_mul_f32 v[0:1], v[10:11], v[8:9] op_sel:[0,1]
	s_delay_alu instid0(VALU_DEP_1) | instskip(SKIP_1) | instid1(VALU_DEP_1)
	v_pk_fma_f32 v[2:3], v[10:11], v[4:5], v[0:1] op_sel:[0,0,1] op_sel_hi:[1,1,0] neg_lo:[0,0,1] neg_hi:[0,0,1]
	v_pk_fma_f32 v[0:1], v[10:11], v[4:5], v[0:1] op_sel:[0,0,1] op_sel_hi:[1,0,0]
	v_mov_b32_e32 v3, v1
	v_pk_mul_f32 v[0:1], v[12:13], v[8:9] op_sel:[0,1]
	s_delay_alu instid0(VALU_DEP_2) | instskip(NEXT) | instid1(VALU_DEP_2)
	v_pk_add_f32 v[128:129], v[128:129], v[2:3] neg_lo:[0,1] neg_hi:[0,1]
	v_pk_fma_f32 v[2:3], v[12:13], v[4:5], v[0:1] op_sel:[0,0,1] op_sel_hi:[1,1,0] neg_lo:[0,0,1] neg_hi:[0,0,1]
	v_pk_fma_f32 v[0:1], v[12:13], v[4:5], v[0:1] op_sel:[0,0,1] op_sel_hi:[1,0,0]
	ds_load_2addr_b64 v[10:13], v6 offset0:9 offset1:10
	v_mov_b32_e32 v3, v1
	s_delay_alu instid0(VALU_DEP_1) | instskip(SKIP_2) | instid1(VALU_DEP_1)
	v_pk_add_f32 v[136:137], v[136:137], v[2:3] neg_lo:[0,1] neg_hi:[0,1]
	s_wait_dscnt 0x0
	v_pk_mul_f32 v[0:1], v[10:11], v[8:9] op_sel:[0,1]
	v_pk_fma_f32 v[2:3], v[10:11], v[4:5], v[0:1] op_sel:[0,0,1] op_sel_hi:[1,1,0] neg_lo:[0,0,1] neg_hi:[0,0,1]
	v_pk_fma_f32 v[0:1], v[10:11], v[4:5], v[0:1] op_sel:[0,0,1] op_sel_hi:[1,0,0]
	s_delay_alu instid0(VALU_DEP_1) | instskip(SKIP_1) | instid1(VALU_DEP_2)
	v_mov_b32_e32 v3, v1
	v_pk_mul_f32 v[0:1], v[12:13], v[8:9] op_sel:[0,1]
	v_pk_add_f32 v[146:147], v[146:147], v[2:3] neg_lo:[0,1] neg_hi:[0,1]
	s_delay_alu instid0(VALU_DEP_2) | instskip(SKIP_3) | instid1(VALU_DEP_1)
	v_pk_fma_f32 v[2:3], v[12:13], v[4:5], v[0:1] op_sel:[0,0,1] op_sel_hi:[1,1,0] neg_lo:[0,0,1] neg_hi:[0,0,1]
	v_pk_fma_f32 v[0:1], v[12:13], v[4:5], v[0:1] op_sel:[0,0,1] op_sel_hi:[1,0,0]
	ds_load_2addr_b64 v[10:13], v6 offset0:11 offset1:12
	v_mov_b32_e32 v3, v1
	v_pk_add_f32 v[148:149], v[148:149], v[2:3] neg_lo:[0,1] neg_hi:[0,1]
	s_wait_dscnt 0x0
	v_dual_mul_f32 v2, v11, v4 :: v_dual_mul_f32 v0, v11, v9
	s_delay_alu instid0(VALU_DEP_1) | instskip(NEXT) | instid1(VALU_DEP_2)
	v_pk_fma_f32 v[2:3], v[10:11], v[140:141], v[2:3] op_sel:[1,0,0] op_sel_hi:[0,1,0]
	v_pk_fma_f32 v[0:1], v[10:11], v[140:141], v[0:1] op_sel_hi:[1,1,0] neg_lo:[0,0,1] neg_hi:[0,0,1]
	s_delay_alu instid0(VALU_DEP_2) | instskip(NEXT) | instid1(VALU_DEP_1)
	v_mov_b32_e32 v1, v3
	v_pk_add_f32 v[150:151], v[150:151], v[0:1] neg_lo:[0,1] neg_hi:[0,1]
	v_pk_mul_f32 v[0:1], v[12:13], v[8:9] op_sel:[0,1]
	s_delay_alu instid0(VALU_DEP_1) | instskip(SKIP_3) | instid1(VALU_DEP_1)
	v_pk_fma_f32 v[2:3], v[12:13], v[4:5], v[0:1] op_sel:[0,0,1] op_sel_hi:[1,1,0] neg_lo:[0,0,1] neg_hi:[0,0,1]
	v_pk_fma_f32 v[0:1], v[12:13], v[4:5], v[0:1] op_sel:[0,0,1] op_sel_hi:[1,0,0]
	ds_load_2addr_b64 v[10:13], v6 offset0:13 offset1:14
	v_mov_b32_e32 v3, v1
	v_pk_add_f32 v[152:153], v[152:153], v[2:3] neg_lo:[0,1] neg_hi:[0,1]
	s_wait_dscnt 0x0
	v_pk_mul_f32 v[0:1], v[10:11], v[8:9] op_sel:[0,1]
	s_delay_alu instid0(VALU_DEP_1) | instskip(SKIP_1) | instid1(VALU_DEP_1)
	v_pk_fma_f32 v[2:3], v[10:11], v[4:5], v[0:1] op_sel:[0,0,1] op_sel_hi:[1,1,0] neg_lo:[0,0,1] neg_hi:[0,0,1]
	v_pk_fma_f32 v[0:1], v[10:11], v[4:5], v[0:1] op_sel:[0,0,1] op_sel_hi:[1,0,0]
	v_mov_b32_e32 v3, v1
	v_pk_mul_f32 v[0:1], v[12:13], v[8:9] op_sel:[0,1]
	s_delay_alu instid0(VALU_DEP_2) | instskip(NEXT) | instid1(VALU_DEP_2)
	v_pk_add_f32 v[154:155], v[154:155], v[2:3] neg_lo:[0,1] neg_hi:[0,1]
	v_pk_fma_f32 v[2:3], v[12:13], v[4:5], v[0:1] op_sel:[0,0,1] op_sel_hi:[1,1,0] neg_lo:[0,0,1] neg_hi:[0,0,1]
	v_pk_fma_f32 v[0:1], v[12:13], v[4:5], v[0:1] op_sel:[0,0,1] op_sel_hi:[1,0,0]
	ds_load_2addr_b64 v[10:13], v6 offset0:15 offset1:16
	v_mov_b32_e32 v3, v1
	s_delay_alu instid0(VALU_DEP_1) | instskip(SKIP_2) | instid1(VALU_DEP_1)
	v_pk_add_f32 v[156:157], v[156:157], v[2:3] neg_lo:[0,1] neg_hi:[0,1]
	s_wait_dscnt 0x0
	v_pk_mul_f32 v[0:1], v[10:11], v[8:9] op_sel:[0,1]
	v_pk_fma_f32 v[2:3], v[10:11], v[4:5], v[0:1] op_sel:[0,0,1] op_sel_hi:[1,1,0] neg_lo:[0,0,1] neg_hi:[0,0,1]
	v_pk_fma_f32 v[0:1], v[10:11], v[4:5], v[0:1] op_sel:[0,0,1] op_sel_hi:[1,0,0]
	v_dual_mov_b32 v0, v13 :: v_dual_mul_f32 v10, v13, v4
	s_delay_alu instid0(VALU_DEP_2) | instskip(NEXT) | instid1(VALU_DEP_1)
	v_dual_mov_b32 v3, v1 :: v_dual_mov_b32 v1, v12
	v_pk_add_f32 v[158:159], v[158:159], v[2:3] neg_lo:[0,1] neg_hi:[0,1]
	v_mul_f32_e32 v2, v13, v9
	s_delay_alu instid0(VALU_DEP_3) | instskip(NEXT) | instid1(VALU_DEP_2)
	v_pk_fma_f32 v[0:1], v[0:1], v[140:141], v[10:11] op_sel_hi:[1,1,0]
	v_pk_fma_f32 v[2:3], v[12:13], v[140:141], v[2:3] op_sel_hi:[1,1,0] neg_lo:[0,0,1] neg_hi:[0,0,1]
	ds_load_2addr_b64 v[10:13], v6 offset0:17 offset1:18
	v_mov_b32_e32 v3, v1
	s_delay_alu instid0(VALU_DEP_1) | instskip(SKIP_2) | instid1(VALU_DEP_1)
	v_pk_add_f32 v[160:161], v[160:161], v[2:3] neg_lo:[0,1] neg_hi:[0,1]
	s_wait_dscnt 0x0
	v_pk_mul_f32 v[0:1], v[10:11], v[8:9] op_sel:[0,1]
	v_pk_fma_f32 v[2:3], v[10:11], v[4:5], v[0:1] op_sel:[0,0,1] op_sel_hi:[1,1,0] neg_lo:[0,0,1] neg_hi:[0,0,1]
	v_pk_fma_f32 v[0:1], v[10:11], v[4:5], v[0:1] op_sel:[0,0,1] op_sel_hi:[1,0,0]
	s_delay_alu instid0(VALU_DEP_1) | instskip(SKIP_1) | instid1(VALU_DEP_2)
	v_mov_b32_e32 v3, v1
	v_pk_mul_f32 v[0:1], v[12:13], v[8:9] op_sel:[0,1]
	v_pk_add_f32 v[162:163], v[162:163], v[2:3] neg_lo:[0,1] neg_hi:[0,1]
	s_delay_alu instid0(VALU_DEP_2) | instskip(SKIP_3) | instid1(VALU_DEP_1)
	v_pk_fma_f32 v[2:3], v[12:13], v[4:5], v[0:1] op_sel:[0,0,1] op_sel_hi:[1,1,0] neg_lo:[0,0,1] neg_hi:[0,0,1]
	v_pk_fma_f32 v[0:1], v[12:13], v[4:5], v[0:1] op_sel:[0,0,1] op_sel_hi:[1,0,0]
	ds_load_2addr_b64 v[10:13], v6 offset0:19 offset1:20
	v_mov_b32_e32 v3, v1
	v_pk_add_f32 v[164:165], v[164:165], v[2:3] neg_lo:[0,1] neg_hi:[0,1]
	s_wait_dscnt 0x0
	v_pk_mul_f32 v[0:1], v[10:11], v[8:9] op_sel:[0,1]
	s_delay_alu instid0(VALU_DEP_1) | instskip(SKIP_1) | instid1(VALU_DEP_1)
	v_pk_fma_f32 v[2:3], v[10:11], v[4:5], v[0:1] op_sel:[0,0,1] op_sel_hi:[1,1,0] neg_lo:[0,0,1] neg_hi:[0,0,1]
	v_pk_fma_f32 v[0:1], v[10:11], v[4:5], v[0:1] op_sel:[0,0,1] op_sel_hi:[1,0,0]
	v_mov_b32_e32 v3, v1
	v_pk_mul_f32 v[0:1], v[12:13], v[8:9] op_sel:[0,1]
	s_delay_alu instid0(VALU_DEP_2) | instskip(NEXT) | instid1(VALU_DEP_2)
	v_pk_add_f32 v[166:167], v[166:167], v[2:3] neg_lo:[0,1] neg_hi:[0,1]
	v_pk_fma_f32 v[2:3], v[12:13], v[4:5], v[0:1] op_sel:[0,0,1] op_sel_hi:[1,1,0] neg_lo:[0,0,1] neg_hi:[0,0,1]
	v_pk_fma_f32 v[0:1], v[12:13], v[4:5], v[0:1] op_sel:[0,0,1] op_sel_hi:[1,0,0]
	ds_load_2addr_b64 v[10:13], v6 offset0:21 offset1:22
	v_mov_b32_e32 v3, v1
	s_delay_alu instid0(VALU_DEP_1) | instskip(SKIP_2) | instid1(VALU_DEP_1)
	v_pk_add_f32 v[168:169], v[168:169], v[2:3] neg_lo:[0,1] neg_hi:[0,1]
	s_wait_dscnt 0x0
	v_dual_mul_f32 v2, v11, v4 :: v_dual_mul_f32 v0, v11, v9
	v_pk_fma_f32 v[2:3], v[10:11], v[140:141], v[2:3] op_sel:[1,0,0] op_sel_hi:[0,1,0]
	s_delay_alu instid0(VALU_DEP_2) | instskip(NEXT) | instid1(VALU_DEP_2)
	v_pk_fma_f32 v[0:1], v[10:11], v[140:141], v[0:1] op_sel_hi:[1,1,0] neg_lo:[0,0,1] neg_hi:[0,0,1]
	v_mov_b32_e32 v1, v3
	s_delay_alu instid0(VALU_DEP_1) | instskip(SKIP_1) | instid1(VALU_DEP_1)
	v_pk_add_f32 v[170:171], v[170:171], v[0:1] neg_lo:[0,1] neg_hi:[0,1]
	v_pk_mul_f32 v[0:1], v[12:13], v[8:9] op_sel:[0,1]
	v_pk_fma_f32 v[2:3], v[12:13], v[4:5], v[0:1] op_sel:[0,0,1] op_sel_hi:[1,1,0] neg_lo:[0,0,1] neg_hi:[0,0,1]
	v_pk_fma_f32 v[0:1], v[12:13], v[4:5], v[0:1] op_sel:[0,0,1] op_sel_hi:[1,0,0]
	ds_load_2addr_b64 v[10:13], v6 offset0:23 offset1:24
	v_mov_b32_e32 v3, v1
	s_delay_alu instid0(VALU_DEP_1) | instskip(SKIP_2) | instid1(VALU_DEP_1)
	v_pk_add_f32 v[172:173], v[172:173], v[2:3] neg_lo:[0,1] neg_hi:[0,1]
	s_wait_dscnt 0x0
	v_pk_mul_f32 v[0:1], v[10:11], v[8:9] op_sel:[0,1]
	v_pk_fma_f32 v[2:3], v[10:11], v[4:5], v[0:1] op_sel:[0,0,1] op_sel_hi:[1,1,0] neg_lo:[0,0,1] neg_hi:[0,0,1]
	v_pk_fma_f32 v[0:1], v[10:11], v[4:5], v[0:1] op_sel:[0,0,1] op_sel_hi:[1,0,0]
	s_delay_alu instid0(VALU_DEP_1) | instskip(SKIP_1) | instid1(VALU_DEP_2)
	v_mov_b32_e32 v3, v1
	v_pk_mul_f32 v[0:1], v[12:13], v[8:9] op_sel:[0,1]
	v_pk_add_f32 v[174:175], v[174:175], v[2:3] neg_lo:[0,1] neg_hi:[0,1]
	s_delay_alu instid0(VALU_DEP_2) | instskip(SKIP_3) | instid1(VALU_DEP_1)
	v_pk_fma_f32 v[2:3], v[12:13], v[4:5], v[0:1] op_sel:[0,0,1] op_sel_hi:[1,1,0] neg_lo:[0,0,1] neg_hi:[0,0,1]
	v_pk_fma_f32 v[0:1], v[12:13], v[4:5], v[0:1] op_sel:[0,0,1] op_sel_hi:[1,0,0]
	ds_load_2addr_b64 v[10:13], v6 offset0:25 offset1:26
	v_mov_b32_e32 v3, v1
	v_pk_add_f32 v[176:177], v[176:177], v[2:3] neg_lo:[0,1] neg_hi:[0,1]
	s_wait_dscnt 0x0
	v_pk_mul_f32 v[0:1], v[10:11], v[8:9] op_sel:[0,1]
	s_delay_alu instid0(VALU_DEP_1) | instskip(SKIP_2) | instid1(VALU_DEP_2)
	v_pk_fma_f32 v[2:3], v[10:11], v[4:5], v[0:1] op_sel:[0,0,1] op_sel_hi:[1,1,0] neg_lo:[0,0,1] neg_hi:[0,0,1]
	v_pk_fma_f32 v[0:1], v[10:11], v[4:5], v[0:1] op_sel:[0,0,1] op_sel_hi:[1,0,0]
	v_dual_mov_b32 v0, v13 :: v_dual_mul_f32 v10, v13, v4
	v_dual_mov_b32 v3, v1 :: v_dual_mov_b32 v1, v12
	s_delay_alu instid0(VALU_DEP_1) | instskip(SKIP_1) | instid1(VALU_DEP_3)
	v_pk_add_f32 v[178:179], v[178:179], v[2:3] neg_lo:[0,1] neg_hi:[0,1]
	v_mul_f32_e32 v2, v13, v9
	v_pk_fma_f32 v[0:1], v[0:1], v[140:141], v[10:11] op_sel_hi:[1,1,0]
	s_delay_alu instid0(VALU_DEP_2) | instskip(SKIP_2) | instid1(VALU_DEP_1)
	v_pk_fma_f32 v[2:3], v[12:13], v[140:141], v[2:3] op_sel_hi:[1,1,0] neg_lo:[0,0,1] neg_hi:[0,0,1]
	ds_load_2addr_b64 v[10:13], v6 offset0:27 offset1:28
	v_mov_b32_e32 v3, v1
	v_pk_add_f32 v[180:181], v[180:181], v[2:3] neg_lo:[0,1] neg_hi:[0,1]
	s_wait_dscnt 0x0
	v_pk_mul_f32 v[0:1], v[10:11], v[8:9] op_sel:[0,1]
	s_delay_alu instid0(VALU_DEP_1) | instskip(SKIP_1) | instid1(VALU_DEP_1)
	v_pk_fma_f32 v[2:3], v[10:11], v[4:5], v[0:1] op_sel:[0,0,1] op_sel_hi:[1,1,0] neg_lo:[0,0,1] neg_hi:[0,0,1]
	v_pk_fma_f32 v[0:1], v[10:11], v[4:5], v[0:1] op_sel:[0,0,1] op_sel_hi:[1,0,0]
	v_mov_b32_e32 v3, v1
	v_pk_mul_f32 v[0:1], v[12:13], v[8:9] op_sel:[0,1]
	s_delay_alu instid0(VALU_DEP_2) | instskip(NEXT) | instid1(VALU_DEP_2)
	v_pk_add_f32 v[182:183], v[182:183], v[2:3] neg_lo:[0,1] neg_hi:[0,1]
	v_pk_fma_f32 v[2:3], v[12:13], v[4:5], v[0:1] op_sel:[0,0,1] op_sel_hi:[1,1,0] neg_lo:[0,0,1] neg_hi:[0,0,1]
	v_pk_fma_f32 v[0:1], v[12:13], v[4:5], v[0:1] op_sel:[0,0,1] op_sel_hi:[1,0,0]
	ds_load_2addr_b64 v[10:13], v6 offset0:29 offset1:30
	v_mov_b32_e32 v3, v1
	s_delay_alu instid0(VALU_DEP_1) | instskip(SKIP_2) | instid1(VALU_DEP_1)
	v_pk_add_f32 v[184:185], v[184:185], v[2:3] neg_lo:[0,1] neg_hi:[0,1]
	s_wait_dscnt 0x0
	v_pk_mul_f32 v[0:1], v[10:11], v[8:9] op_sel:[0,1]
	v_pk_fma_f32 v[2:3], v[10:11], v[4:5], v[0:1] op_sel:[0,0,1] op_sel_hi:[1,1,0] neg_lo:[0,0,1] neg_hi:[0,0,1]
	v_pk_fma_f32 v[0:1], v[10:11], v[4:5], v[0:1] op_sel:[0,0,1] op_sel_hi:[1,0,0]
	s_delay_alu instid0(VALU_DEP_1) | instskip(SKIP_1) | instid1(VALU_DEP_2)
	v_mov_b32_e32 v3, v1
	v_pk_mul_f32 v[0:1], v[12:13], v[8:9] op_sel:[0,1]
	v_pk_add_f32 v[186:187], v[186:187], v[2:3] neg_lo:[0,1] neg_hi:[0,1]
	s_delay_alu instid0(VALU_DEP_2) | instskip(SKIP_3) | instid1(VALU_DEP_1)
	v_pk_fma_f32 v[2:3], v[12:13], v[4:5], v[0:1] op_sel:[0,0,1] op_sel_hi:[1,1,0] neg_lo:[0,0,1] neg_hi:[0,0,1]
	v_pk_fma_f32 v[0:1], v[12:13], v[4:5], v[0:1] op_sel:[0,0,1] op_sel_hi:[1,0,0]
	ds_load_2addr_b64 v[10:13], v6 offset0:31 offset1:32
	v_mov_b32_e32 v3, v1
	v_pk_add_f32 v[188:189], v[188:189], v[2:3] neg_lo:[0,1] neg_hi:[0,1]
	s_wait_dscnt 0x0
	v_dual_mul_f32 v2, v11, v4 :: v_dual_mul_f32 v0, v11, v9
	s_delay_alu instid0(VALU_DEP_1) | instskip(NEXT) | instid1(VALU_DEP_2)
	v_pk_fma_f32 v[2:3], v[10:11], v[140:141], v[2:3] op_sel:[1,0,0] op_sel_hi:[0,1,0]
	v_pk_fma_f32 v[0:1], v[10:11], v[140:141], v[0:1] op_sel_hi:[1,1,0] neg_lo:[0,0,1] neg_hi:[0,0,1]
	s_delay_alu instid0(VALU_DEP_2) | instskip(NEXT) | instid1(VALU_DEP_1)
	v_mov_b32_e32 v1, v3
	v_pk_add_f32 v[190:191], v[190:191], v[0:1] neg_lo:[0,1] neg_hi:[0,1]
	v_pk_mul_f32 v[0:1], v[12:13], v[8:9] op_sel:[0,1]
	s_delay_alu instid0(VALU_DEP_1) | instskip(SKIP_3) | instid1(VALU_DEP_1)
	v_pk_fma_f32 v[2:3], v[12:13], v[4:5], v[0:1] op_sel:[0,0,1] op_sel_hi:[1,1,0] neg_lo:[0,0,1] neg_hi:[0,0,1]
	v_pk_fma_f32 v[0:1], v[12:13], v[4:5], v[0:1] op_sel:[0,0,1] op_sel_hi:[1,0,0]
	ds_load_2addr_b64 v[10:13], v6 offset0:33 offset1:34
	v_mov_b32_e32 v3, v1
	v_pk_add_f32 v[192:193], v[192:193], v[2:3] neg_lo:[0,1] neg_hi:[0,1]
	s_wait_dscnt 0x0
	v_pk_mul_f32 v[0:1], v[10:11], v[8:9] op_sel:[0,1]
	s_delay_alu instid0(VALU_DEP_1) | instskip(SKIP_1) | instid1(VALU_DEP_1)
	v_pk_fma_f32 v[2:3], v[10:11], v[4:5], v[0:1] op_sel:[0,0,1] op_sel_hi:[1,1,0] neg_lo:[0,0,1] neg_hi:[0,0,1]
	v_pk_fma_f32 v[0:1], v[10:11], v[4:5], v[0:1] op_sel:[0,0,1] op_sel_hi:[1,0,0]
	v_mov_b32_e32 v3, v1
	v_pk_mul_f32 v[0:1], v[12:13], v[8:9] op_sel:[0,1]
	s_delay_alu instid0(VALU_DEP_2) | instskip(NEXT) | instid1(VALU_DEP_2)
	v_pk_add_f32 v[194:195], v[194:195], v[2:3] neg_lo:[0,1] neg_hi:[0,1]
	v_pk_fma_f32 v[2:3], v[12:13], v[4:5], v[0:1] op_sel:[0,0,1] op_sel_hi:[1,1,0] neg_lo:[0,0,1] neg_hi:[0,0,1]
	v_pk_fma_f32 v[0:1], v[12:13], v[4:5], v[0:1] op_sel:[0,0,1] op_sel_hi:[1,0,0]
	ds_load_2addr_b64 v[10:13], v6 offset0:35 offset1:36
	v_mov_b32_e32 v3, v1
	s_delay_alu instid0(VALU_DEP_1) | instskip(SKIP_2) | instid1(VALU_DEP_1)
	v_pk_add_f32 v[196:197], v[196:197], v[2:3] neg_lo:[0,1] neg_hi:[0,1]
	s_wait_dscnt 0x0
	v_pk_mul_f32 v[0:1], v[10:11], v[8:9] op_sel:[0,1]
	v_pk_fma_f32 v[2:3], v[10:11], v[4:5], v[0:1] op_sel:[0,0,1] op_sel_hi:[1,1,0] neg_lo:[0,0,1] neg_hi:[0,0,1]
	v_pk_fma_f32 v[0:1], v[10:11], v[4:5], v[0:1] op_sel:[0,0,1] op_sel_hi:[1,0,0]
	v_dual_mov_b32 v0, v13 :: v_dual_mul_f32 v10, v13, v4
	s_delay_alu instid0(VALU_DEP_2) | instskip(NEXT) | instid1(VALU_DEP_1)
	v_dual_mov_b32 v3, v1 :: v_dual_mov_b32 v1, v12
	v_pk_add_f32 v[198:199], v[198:199], v[2:3] neg_lo:[0,1] neg_hi:[0,1]
	v_mul_f32_e32 v2, v13, v9
	s_delay_alu instid0(VALU_DEP_3) | instskip(NEXT) | instid1(VALU_DEP_2)
	v_pk_fma_f32 v[0:1], v[0:1], v[140:141], v[10:11] op_sel_hi:[1,1,0]
	v_pk_fma_f32 v[2:3], v[12:13], v[140:141], v[2:3] op_sel_hi:[1,1,0] neg_lo:[0,0,1] neg_hi:[0,0,1]
	ds_load_2addr_b64 v[10:13], v6 offset0:37 offset1:38
	v_mov_b32_e32 v3, v1
	s_delay_alu instid0(VALU_DEP_1) | instskip(SKIP_2) | instid1(VALU_DEP_1)
	v_pk_add_f32 v[200:201], v[200:201], v[2:3] neg_lo:[0,1] neg_hi:[0,1]
	s_wait_dscnt 0x0
	v_pk_mul_f32 v[0:1], v[10:11], v[8:9] op_sel:[0,1]
	v_pk_fma_f32 v[2:3], v[10:11], v[4:5], v[0:1] op_sel:[0,0,1] op_sel_hi:[1,1,0] neg_lo:[0,0,1] neg_hi:[0,0,1]
	v_pk_fma_f32 v[0:1], v[10:11], v[4:5], v[0:1] op_sel:[0,0,1] op_sel_hi:[1,0,0]
	s_delay_alu instid0(VALU_DEP_1) | instskip(SKIP_1) | instid1(VALU_DEP_2)
	v_mov_b32_e32 v3, v1
	v_pk_mul_f32 v[0:1], v[12:13], v[8:9] op_sel:[0,1]
	v_pk_add_f32 v[202:203], v[202:203], v[2:3] neg_lo:[0,1] neg_hi:[0,1]
	s_delay_alu instid0(VALU_DEP_2) | instskip(SKIP_3) | instid1(VALU_DEP_1)
	v_pk_fma_f32 v[2:3], v[12:13], v[4:5], v[0:1] op_sel:[0,0,1] op_sel_hi:[1,1,0] neg_lo:[0,0,1] neg_hi:[0,0,1]
	v_pk_fma_f32 v[0:1], v[12:13], v[4:5], v[0:1] op_sel:[0,0,1] op_sel_hi:[1,0,0]
	ds_load_2addr_b64 v[10:13], v6 offset0:39 offset1:40
	v_mov_b32_e32 v3, v1
	v_pk_add_f32 v[204:205], v[204:205], v[2:3] neg_lo:[0,1] neg_hi:[0,1]
	s_wait_dscnt 0x0
	v_pk_mul_f32 v[0:1], v[10:11], v[8:9] op_sel:[0,1]
	s_delay_alu instid0(VALU_DEP_1) | instskip(SKIP_1) | instid1(VALU_DEP_1)
	v_pk_fma_f32 v[2:3], v[10:11], v[4:5], v[0:1] op_sel:[0,0,1] op_sel_hi:[1,1,0] neg_lo:[0,0,1] neg_hi:[0,0,1]
	v_pk_fma_f32 v[0:1], v[10:11], v[4:5], v[0:1] op_sel:[0,0,1] op_sel_hi:[1,0,0]
	v_mov_b32_e32 v3, v1
	v_pk_mul_f32 v[0:1], v[12:13], v[8:9] op_sel:[0,1]
	s_delay_alu instid0(VALU_DEP_2) | instskip(NEXT) | instid1(VALU_DEP_2)
	v_pk_add_f32 v[206:207], v[206:207], v[2:3] neg_lo:[0,1] neg_hi:[0,1]
	v_pk_fma_f32 v[2:3], v[12:13], v[4:5], v[0:1] op_sel:[0,0,1] op_sel_hi:[1,1,0] neg_lo:[0,0,1] neg_hi:[0,0,1]
	v_pk_fma_f32 v[0:1], v[12:13], v[4:5], v[0:1] op_sel:[0,0,1] op_sel_hi:[1,0,0]
	ds_load_2addr_b64 v[10:13], v6 offset0:41 offset1:42
	v_mov_b32_e32 v3, v1
	s_delay_alu instid0(VALU_DEP_1) | instskip(SKIP_2) | instid1(VALU_DEP_1)
	v_pk_add_f32 v[208:209], v[208:209], v[2:3] neg_lo:[0,1] neg_hi:[0,1]
	s_wait_dscnt 0x0
	v_dual_mul_f32 v2, v11, v4 :: v_dual_mul_f32 v0, v11, v9
	v_pk_fma_f32 v[2:3], v[10:11], v[140:141], v[2:3] op_sel:[1,0,0] op_sel_hi:[0,1,0]
	s_delay_alu instid0(VALU_DEP_2) | instskip(NEXT) | instid1(VALU_DEP_2)
	v_pk_fma_f32 v[0:1], v[10:11], v[140:141], v[0:1] op_sel_hi:[1,1,0] neg_lo:[0,0,1] neg_hi:[0,0,1]
	v_mov_b32_e32 v1, v3
	s_delay_alu instid0(VALU_DEP_1) | instskip(SKIP_1) | instid1(VALU_DEP_1)
	v_pk_add_f32 v[210:211], v[210:211], v[0:1] neg_lo:[0,1] neg_hi:[0,1]
	v_pk_mul_f32 v[0:1], v[12:13], v[8:9] op_sel:[0,1]
	v_pk_fma_f32 v[2:3], v[12:13], v[4:5], v[0:1] op_sel:[0,0,1] op_sel_hi:[1,1,0] neg_lo:[0,0,1] neg_hi:[0,0,1]
	v_pk_fma_f32 v[0:1], v[12:13], v[4:5], v[0:1] op_sel:[0,0,1] op_sel_hi:[1,0,0]
	ds_load_2addr_b64 v[10:13], v6 offset0:43 offset1:44
	v_mov_b32_e32 v3, v1
	s_delay_alu instid0(VALU_DEP_1) | instskip(SKIP_2) | instid1(VALU_DEP_1)
	v_pk_add_f32 v[212:213], v[212:213], v[2:3] neg_lo:[0,1] neg_hi:[0,1]
	s_wait_dscnt 0x0
	v_pk_mul_f32 v[0:1], v[10:11], v[8:9] op_sel:[0,1]
	v_pk_fma_f32 v[2:3], v[10:11], v[4:5], v[0:1] op_sel:[0,0,1] op_sel_hi:[1,1,0] neg_lo:[0,0,1] neg_hi:[0,0,1]
	v_pk_fma_f32 v[0:1], v[10:11], v[4:5], v[0:1] op_sel:[0,0,1] op_sel_hi:[1,0,0]
	s_delay_alu instid0(VALU_DEP_1) | instskip(SKIP_1) | instid1(VALU_DEP_2)
	v_mov_b32_e32 v3, v1
	v_pk_mul_f32 v[0:1], v[12:13], v[8:9] op_sel:[0,1]
	v_pk_add_f32 v[214:215], v[214:215], v[2:3] neg_lo:[0,1] neg_hi:[0,1]
	s_delay_alu instid0(VALU_DEP_2) | instskip(SKIP_3) | instid1(VALU_DEP_1)
	v_pk_fma_f32 v[2:3], v[12:13], v[4:5], v[0:1] op_sel:[0,0,1] op_sel_hi:[1,1,0] neg_lo:[0,0,1] neg_hi:[0,0,1]
	v_pk_fma_f32 v[0:1], v[12:13], v[4:5], v[0:1] op_sel:[0,0,1] op_sel_hi:[1,0,0]
	ds_load_2addr_b64 v[10:13], v6 offset0:45 offset1:46
	v_mov_b32_e32 v3, v1
	v_pk_add_f32 v[216:217], v[216:217], v[2:3] neg_lo:[0,1] neg_hi:[0,1]
	s_wait_dscnt 0x0
	v_pk_mul_f32 v[0:1], v[10:11], v[8:9] op_sel:[0,1]
	s_delay_alu instid0(VALU_DEP_1) | instskip(SKIP_2) | instid1(VALU_DEP_2)
	v_pk_fma_f32 v[2:3], v[10:11], v[4:5], v[0:1] op_sel:[0,0,1] op_sel_hi:[1,1,0] neg_lo:[0,0,1] neg_hi:[0,0,1]
	v_pk_fma_f32 v[0:1], v[10:11], v[4:5], v[0:1] op_sel:[0,0,1] op_sel_hi:[1,0,0]
	v_dual_mov_b32 v0, v13 :: v_dual_mul_f32 v10, v13, v4
	v_dual_mov_b32 v3, v1 :: v_dual_mov_b32 v1, v12
	s_delay_alu instid0(VALU_DEP_1) | instskip(SKIP_1) | instid1(VALU_DEP_3)
	v_pk_add_f32 v[218:219], v[218:219], v[2:3] neg_lo:[0,1] neg_hi:[0,1]
	v_mul_f32_e32 v2, v13, v9
	v_pk_fma_f32 v[0:1], v[0:1], v[140:141], v[10:11] op_sel_hi:[1,1,0]
	s_delay_alu instid0(VALU_DEP_2) | instskip(SKIP_2) | instid1(VALU_DEP_1)
	v_pk_fma_f32 v[2:3], v[12:13], v[140:141], v[2:3] op_sel_hi:[1,1,0] neg_lo:[0,0,1] neg_hi:[0,0,1]
	ds_load_2addr_b64 v[10:13], v6 offset0:47 offset1:48
	v_mov_b32_e32 v3, v1
	v_pk_add_f32 v[220:221], v[220:221], v[2:3] neg_lo:[0,1] neg_hi:[0,1]
	s_wait_dscnt 0x0
	v_pk_mul_f32 v[0:1], v[10:11], v[8:9] op_sel:[0,1]
	s_delay_alu instid0(VALU_DEP_1) | instskip(SKIP_1) | instid1(VALU_DEP_1)
	v_pk_fma_f32 v[2:3], v[10:11], v[4:5], v[0:1] op_sel:[0,0,1] op_sel_hi:[1,1,0] neg_lo:[0,0,1] neg_hi:[0,0,1]
	v_pk_fma_f32 v[0:1], v[10:11], v[4:5], v[0:1] op_sel:[0,0,1] op_sel_hi:[1,0,0]
	v_mov_b32_e32 v3, v1
	v_pk_mul_f32 v[0:1], v[12:13], v[8:9] op_sel:[0,1]
	s_delay_alu instid0(VALU_DEP_2) | instskip(NEXT) | instid1(VALU_DEP_2)
	v_pk_add_f32 v[222:223], v[222:223], v[2:3] neg_lo:[0,1] neg_hi:[0,1]
	v_pk_fma_f32 v[2:3], v[12:13], v[4:5], v[0:1] op_sel:[0,0,1] op_sel_hi:[1,1,0] neg_lo:[0,0,1] neg_hi:[0,0,1]
	v_pk_fma_f32 v[0:1], v[12:13], v[4:5], v[0:1] op_sel:[0,0,1] op_sel_hi:[1,0,0]
	ds_load_2addr_b64 v[10:13], v6 offset0:49 offset1:50
	v_mov_b32_e32 v3, v1
	s_delay_alu instid0(VALU_DEP_1) | instskip(SKIP_2) | instid1(VALU_DEP_1)
	v_pk_add_f32 v[224:225], v[224:225], v[2:3] neg_lo:[0,1] neg_hi:[0,1]
	s_wait_dscnt 0x0
	v_pk_mul_f32 v[0:1], v[10:11], v[8:9] op_sel:[0,1]
	v_pk_fma_f32 v[2:3], v[10:11], v[4:5], v[0:1] op_sel:[0,0,1] op_sel_hi:[1,1,0] neg_lo:[0,0,1] neg_hi:[0,0,1]
	v_pk_fma_f32 v[0:1], v[10:11], v[4:5], v[0:1] op_sel:[0,0,1] op_sel_hi:[1,0,0]
	s_delay_alu instid0(VALU_DEP_1) | instskip(SKIP_1) | instid1(VALU_DEP_2)
	v_mov_b32_e32 v3, v1
	v_pk_mul_f32 v[0:1], v[12:13], v[8:9] op_sel:[0,1]
	v_pk_add_f32 v[226:227], v[226:227], v[2:3] neg_lo:[0,1] neg_hi:[0,1]
	s_delay_alu instid0(VALU_DEP_2) | instskip(SKIP_3) | instid1(VALU_DEP_1)
	v_pk_fma_f32 v[2:3], v[12:13], v[4:5], v[0:1] op_sel:[0,0,1] op_sel_hi:[1,1,0] neg_lo:[0,0,1] neg_hi:[0,0,1]
	v_pk_fma_f32 v[0:1], v[12:13], v[4:5], v[0:1] op_sel:[0,0,1] op_sel_hi:[1,0,0]
	ds_load_2addr_b64 v[10:13], v6 offset0:51 offset1:52
	v_mov_b32_e32 v3, v1
	v_pk_add_f32 v[228:229], v[228:229], v[2:3] neg_lo:[0,1] neg_hi:[0,1]
	s_wait_dscnt 0x0
	v_dual_mul_f32 v2, v11, v4 :: v_dual_mul_f32 v0, v11, v9
	s_delay_alu instid0(VALU_DEP_1) | instskip(NEXT) | instid1(VALU_DEP_2)
	v_pk_fma_f32 v[2:3], v[10:11], v[140:141], v[2:3] op_sel:[1,0,0] op_sel_hi:[0,1,0]
	v_pk_fma_f32 v[0:1], v[10:11], v[140:141], v[0:1] op_sel_hi:[1,1,0] neg_lo:[0,0,1] neg_hi:[0,0,1]
	s_delay_alu instid0(VALU_DEP_2) | instskip(NEXT) | instid1(VALU_DEP_1)
	v_mov_b32_e32 v1, v3
	v_pk_add_f32 v[230:231], v[230:231], v[0:1] neg_lo:[0,1] neg_hi:[0,1]
	v_pk_mul_f32 v[0:1], v[12:13], v[8:9] op_sel:[0,1]
	s_delay_alu instid0(VALU_DEP_1) | instskip(SKIP_3) | instid1(VALU_DEP_1)
	v_pk_fma_f32 v[2:3], v[12:13], v[4:5], v[0:1] op_sel:[0,0,1] op_sel_hi:[1,1,0] neg_lo:[0,0,1] neg_hi:[0,0,1]
	v_pk_fma_f32 v[0:1], v[12:13], v[4:5], v[0:1] op_sel:[0,0,1] op_sel_hi:[1,0,0]
	ds_load_2addr_b64 v[10:13], v6 offset0:53 offset1:54
	v_mov_b32_e32 v3, v1
	v_pk_add_f32 v[232:233], v[232:233], v[2:3] neg_lo:[0,1] neg_hi:[0,1]
	s_wait_dscnt 0x0
	v_pk_mul_f32 v[0:1], v[10:11], v[8:9] op_sel:[0,1]
	s_delay_alu instid0(VALU_DEP_1) | instskip(SKIP_1) | instid1(VALU_DEP_1)
	v_pk_fma_f32 v[2:3], v[10:11], v[4:5], v[0:1] op_sel:[0,0,1] op_sel_hi:[1,1,0] neg_lo:[0,0,1] neg_hi:[0,0,1]
	v_pk_fma_f32 v[0:1], v[10:11], v[4:5], v[0:1] op_sel:[0,0,1] op_sel_hi:[1,0,0]
	v_mov_b32_e32 v3, v1
	v_pk_mul_f32 v[0:1], v[12:13], v[8:9] op_sel:[0,1]
	s_delay_alu instid0(VALU_DEP_2) | instskip(NEXT) | instid1(VALU_DEP_2)
	v_pk_add_f32 v[234:235], v[234:235], v[2:3] neg_lo:[0,1] neg_hi:[0,1]
	v_pk_fma_f32 v[2:3], v[12:13], v[4:5], v[0:1] op_sel:[0,0,1] op_sel_hi:[1,1,0] neg_lo:[0,0,1] neg_hi:[0,0,1]
	v_pk_fma_f32 v[0:1], v[12:13], v[4:5], v[0:1] op_sel:[0,0,1] op_sel_hi:[1,0,0]
	ds_load_2addr_b64 v[10:13], v6 offset0:55 offset1:56
	v_mov_b32_e32 v3, v1
	s_delay_alu instid0(VALU_DEP_1) | instskip(SKIP_2) | instid1(VALU_DEP_1)
	v_pk_add_f32 v[236:237], v[236:237], v[2:3] neg_lo:[0,1] neg_hi:[0,1]
	s_wait_dscnt 0x0
	v_pk_mul_f32 v[0:1], v[10:11], v[8:9] op_sel:[0,1]
	v_pk_fma_f32 v[2:3], v[10:11], v[4:5], v[0:1] op_sel:[0,0,1] op_sel_hi:[1,1,0] neg_lo:[0,0,1] neg_hi:[0,0,1]
	v_pk_fma_f32 v[0:1], v[10:11], v[4:5], v[0:1] op_sel:[0,0,1] op_sel_hi:[1,0,0]
	v_dual_mov_b32 v0, v13 :: v_dual_mul_f32 v10, v13, v4
	s_delay_alu instid0(VALU_DEP_2) | instskip(NEXT) | instid1(VALU_DEP_1)
	v_dual_mov_b32 v3, v1 :: v_dual_mov_b32 v1, v12
	v_pk_add_f32 v[238:239], v[238:239], v[2:3] neg_lo:[0,1] neg_hi:[0,1]
	v_mul_f32_e32 v2, v13, v9
	s_delay_alu instid0(VALU_DEP_3) | instskip(NEXT) | instid1(VALU_DEP_2)
	v_pk_fma_f32 v[0:1], v[0:1], v[140:141], v[10:11] op_sel_hi:[1,1,0]
	v_pk_fma_f32 v[2:3], v[12:13], v[140:141], v[2:3] op_sel_hi:[1,1,0] neg_lo:[0,0,1] neg_hi:[0,0,1]
	ds_load_2addr_b64 v[10:13], v6 offset0:57 offset1:58
	v_mov_b32_e32 v3, v1
	s_delay_alu instid0(VALU_DEP_1) | instskip(SKIP_2) | instid1(VALU_DEP_1)
	v_pk_add_f32 v[248:249], v[248:249], v[2:3] neg_lo:[0,1] neg_hi:[0,1]
	s_wait_dscnt 0x0
	v_pk_mul_f32 v[0:1], v[10:11], v[8:9] op_sel:[0,1]
	v_pk_fma_f32 v[2:3], v[10:11], v[4:5], v[0:1] op_sel:[0,0,1] op_sel_hi:[1,1,0] neg_lo:[0,0,1] neg_hi:[0,0,1]
	v_pk_fma_f32 v[0:1], v[10:11], v[4:5], v[0:1] op_sel:[0,0,1] op_sel_hi:[1,0,0]
	s_delay_alu instid0(VALU_DEP_1) | instskip(SKIP_1) | instid1(VALU_DEP_2)
	v_mov_b32_e32 v3, v1
	v_pk_mul_f32 v[0:1], v[12:13], v[8:9] op_sel:[0,1]
	v_pk_add_f32 v[242:243], v[242:243], v[2:3] neg_lo:[0,1] neg_hi:[0,1]
	s_delay_alu instid0(VALU_DEP_2) | instskip(SKIP_3) | instid1(VALU_DEP_1)
	v_pk_fma_f32 v[2:3], v[12:13], v[4:5], v[0:1] op_sel:[0,0,1] op_sel_hi:[1,1,0] neg_lo:[0,0,1] neg_hi:[0,0,1]
	v_pk_fma_f32 v[0:1], v[12:13], v[4:5], v[0:1] op_sel:[0,0,1] op_sel_hi:[1,0,0]
	ds_load_2addr_b64 v[10:13], v6 offset0:59 offset1:60
	v_mov_b32_e32 v3, v1
	v_pk_add_f32 v[246:247], v[246:247], v[2:3] neg_lo:[0,1] neg_hi:[0,1]
	s_wait_dscnt 0x0
	v_pk_mul_f32 v[0:1], v[10:11], v[8:9] op_sel:[0,1]
	s_delay_alu instid0(VALU_DEP_1) | instskip(SKIP_1) | instid1(VALU_DEP_1)
	v_pk_fma_f32 v[2:3], v[10:11], v[4:5], v[0:1] op_sel:[0,0,1] op_sel_hi:[1,1,0] neg_lo:[0,0,1] neg_hi:[0,0,1]
	v_pk_fma_f32 v[0:1], v[10:11], v[4:5], v[0:1] op_sel:[0,0,1] op_sel_hi:[1,0,0]
	v_mov_b32_e32 v3, v1
	v_pk_mul_f32 v[0:1], v[12:13], v[8:9] op_sel:[0,1]
	s_delay_alu instid0(VALU_DEP_2) | instskip(NEXT) | instid1(VALU_DEP_2)
	v_pk_add_f32 v[240:241], v[240:241], v[2:3] neg_lo:[0,1] neg_hi:[0,1]
	v_pk_fma_f32 v[2:3], v[12:13], v[4:5], v[0:1] op_sel:[0,0,1] op_sel_hi:[1,1,0] neg_lo:[0,0,1] neg_hi:[0,0,1]
	v_pk_fma_f32 v[0:1], v[12:13], v[4:5], v[0:1] op_sel:[0,0,1] op_sel_hi:[1,0,0]
	ds_load_2addr_b64 v[10:13], v6 offset0:61 offset1:62
	v_mov_b32_e32 v3, v1
	s_delay_alu instid0(VALU_DEP_1) | instskip(SKIP_3) | instid1(VALU_DEP_2)
	v_pk_add_f32 v[244:245], v[244:245], v[2:3] neg_lo:[0,1] neg_hi:[0,1]
	s_wait_dscnt 0x0
	v_dual_mul_f32 v2, v11, v4 :: v_dual_mul_f32 v0, v11, v9
	v_mul_f32_e32 v4, v13, v4
	v_pk_fma_f32 v[2:3], v[10:11], v[140:141], v[2:3] op_sel:[1,0,0] op_sel_hi:[0,1,0]
	s_delay_alu instid0(VALU_DEP_3) | instskip(NEXT) | instid1(VALU_DEP_2)
	v_pk_fma_f32 v[0:1], v[10:11], v[140:141], v[0:1] op_sel_hi:[1,1,0] neg_lo:[0,0,1] neg_hi:[0,0,1]
	v_dual_mul_f32 v2, v13, v9 :: v_dual_mov_b32 v1, v3
	s_delay_alu instid0(VALU_DEP_1) | instskip(NEXT) | instid1(VALU_DEP_2)
	v_pk_fma_f32 v[2:3], v[12:13], v[140:141], v[2:3] op_sel_hi:[1,1,0] neg_lo:[0,0,1] neg_hi:[0,0,1]
	v_pk_add_f32 v[250:251], v[250:251], v[0:1] neg_lo:[0,1] neg_hi:[0,1]
	v_dual_mov_b32 v0, v13 :: v_dual_mov_b32 v1, v12
	s_delay_alu instid0(VALU_DEP_1) | instskip(NEXT) | instid1(VALU_DEP_1)
	v_pk_fma_f32 v[0:1], v[0:1], v[140:141], v[4:5] op_sel_hi:[1,1,0]
	v_mov_b32_e32 v3, v1
	s_delay_alu instid0(VALU_DEP_1)
	v_pk_add_f32 v[252:253], v[252:253], v[2:3] neg_lo:[0,1] neg_hi:[0,1]
.LBB125_28:
	s_wait_xcnt 0x0
	s_or_b32 exec_lo, exec_lo, s1
	s_delay_alu instid0(SALU_CYCLE_1)
	s_mov_b32 s2, exec_lo
	s_wait_storecnt 0x0
	s_barrier_signal -1
	s_barrier_wait -1
	v_cmpx_eq_u32_e32 3, v254
	s_cbranch_execz .LBB125_35
; %bb.29:
	v_dual_mov_b32 v0, v134 :: v_dual_mov_b32 v1, v135
	v_dual_mov_b32 v2, v130 :: v_dual_mov_b32 v3, v131
	ds_store_b64 v255, v[138:139]
	ds_store_2addr_b64 v6, v[0:1], v[2:3] offset0:4 offset1:5
	v_dual_mov_b32 v0, v132 :: v_dual_mov_b32 v1, v133
	v_dual_mov_b32 v2, v128 :: v_dual_mov_b32 v3, v129
	ds_store_2addr_b64 v6, v[0:1], v[2:3] offset0:6 offset1:7
	v_dual_mov_b32 v0, v136 :: v_dual_mov_b32 v1, v137
	v_dual_mov_b32 v2, v146 :: v_dual_mov_b32 v3, v147
	;; [unrolled: 3-line block ×28, first 2 shown]
	ds_store_2addr_b64 v6, v[0:1], v[2:3] offset0:60 offset1:61
	ds_store_b64 v6, v[252:253] offset:496
	ds_load_b64 v[4:5], v255
	s_wait_dscnt 0x0
	v_cmp_neq_f32_e32 vcc_lo, 0, v4
	v_cmp_neq_f32_e64 s1, 0, v5
	s_or_b32 s1, vcc_lo, s1
	s_delay_alu instid0(SALU_CYCLE_1)
	s_and_b32 exec_lo, exec_lo, s1
	s_cbranch_execz .LBB125_35
; %bb.30:
	v_cmp_ngt_f32_e64 s1, |v4|, |v5|
                                        ; implicit-def: $vgpr8_vgpr9
	s_and_saveexec_b32 s4, s1
	s_delay_alu instid0(SALU_CYCLE_1)
	s_xor_b32 s1, exec_lo, s4
	s_cbranch_execz .LBB125_32
; %bb.31:
	v_div_scale_f32 v0, null, v5, v5, v4
	v_div_scale_f32 v3, vcc_lo, v4, v5, v4
	s_delay_alu instid0(VALU_DEP_2) | instskip(SKIP_1) | instid1(TRANS32_DEP_1)
	v_rcp_f32_e32 v1, v0
	v_nop
	v_fma_f32 v2, -v0, v1, 1.0
	s_delay_alu instid0(VALU_DEP_1) | instskip(NEXT) | instid1(VALU_DEP_1)
	v_fmac_f32_e32 v1, v2, v1
	v_mul_f32_e32 v2, v3, v1
	s_delay_alu instid0(VALU_DEP_1) | instskip(NEXT) | instid1(VALU_DEP_1)
	v_fma_f32 v7, -v0, v2, v3
	v_fmac_f32_e32 v2, v7, v1
	s_delay_alu instid0(VALU_DEP_1) | instskip(NEXT) | instid1(VALU_DEP_1)
	v_fma_f32 v0, -v0, v2, v3
	v_div_fmas_f32 v0, v0, v1, v2
	s_delay_alu instid0(VALU_DEP_1) | instskip(NEXT) | instid1(VALU_DEP_1)
	v_div_fixup_f32 v0, v0, v5, v4
	v_fmac_f32_e32 v5, v4, v0
	s_delay_alu instid0(VALU_DEP_1) | instskip(SKIP_1) | instid1(VALU_DEP_2)
	v_div_scale_f32 v1, null, v5, v5, 1.0
	v_div_scale_f32 v4, vcc_lo, 1.0, v5, 1.0
	v_rcp_f32_e32 v2, v1
	v_nop
	s_delay_alu instid0(TRANS32_DEP_1) | instskip(NEXT) | instid1(VALU_DEP_1)
	v_fma_f32 v3, -v1, v2, 1.0
	v_fmac_f32_e32 v2, v3, v2
	s_delay_alu instid0(VALU_DEP_1) | instskip(NEXT) | instid1(VALU_DEP_1)
	v_mul_f32_e32 v3, v4, v2
	v_fma_f32 v7, -v1, v3, v4
	s_delay_alu instid0(VALU_DEP_1) | instskip(NEXT) | instid1(VALU_DEP_1)
	v_fmac_f32_e32 v3, v7, v2
	v_fma_f32 v1, -v1, v3, v4
	s_delay_alu instid0(VALU_DEP_1) | instskip(NEXT) | instid1(VALU_DEP_1)
	v_div_fmas_f32 v1, v1, v2, v3
	v_div_fixup_f32 v1, v1, v5, 1.0
                                        ; implicit-def: $vgpr4_vgpr5
	s_delay_alu instid0(VALU_DEP_1)
	v_mul_f32_e32 v8, v0, v1
	v_xor_b32_e32 v9, 0x80000000, v1
.LBB125_32:
	s_and_not1_saveexec_b32 s1, s1
	s_cbranch_execz .LBB125_34
; %bb.33:
	v_div_scale_f32 v0, null, v4, v4, v5
	v_div_scale_f32 v3, vcc_lo, v5, v4, v5
	s_delay_alu instid0(VALU_DEP_2) | instskip(SKIP_1) | instid1(TRANS32_DEP_1)
	v_rcp_f32_e32 v1, v0
	v_nop
	v_fma_f32 v2, -v0, v1, 1.0
	s_delay_alu instid0(VALU_DEP_1) | instskip(NEXT) | instid1(VALU_DEP_1)
	v_fmac_f32_e32 v1, v2, v1
	v_mul_f32_e32 v2, v3, v1
	s_delay_alu instid0(VALU_DEP_1) | instskip(NEXT) | instid1(VALU_DEP_1)
	v_fma_f32 v7, -v0, v2, v3
	v_fmac_f32_e32 v2, v7, v1
	s_delay_alu instid0(VALU_DEP_1) | instskip(NEXT) | instid1(VALU_DEP_1)
	v_fma_f32 v0, -v0, v2, v3
	v_div_fmas_f32 v0, v0, v1, v2
	s_delay_alu instid0(VALU_DEP_1) | instskip(NEXT) | instid1(VALU_DEP_1)
	v_div_fixup_f32 v0, v0, v4, v5
	v_fmac_f32_e32 v4, v5, v0
	s_delay_alu instid0(VALU_DEP_1) | instskip(NEXT) | instid1(VALU_DEP_1)
	v_div_scale_f32 v1, null, v4, v4, 1.0
	v_rcp_f32_e32 v2, v1
	v_nop
	s_delay_alu instid0(TRANS32_DEP_1) | instskip(NEXT) | instid1(VALU_DEP_1)
	v_fma_f32 v3, -v1, v2, 1.0
	v_fmac_f32_e32 v2, v3, v2
	v_div_scale_f32 v3, vcc_lo, 1.0, v4, 1.0
	s_delay_alu instid0(VALU_DEP_1) | instskip(NEXT) | instid1(VALU_DEP_1)
	v_mul_f32_e32 v5, v3, v2
	v_fma_f32 v7, -v1, v5, v3
	s_delay_alu instid0(VALU_DEP_1) | instskip(NEXT) | instid1(VALU_DEP_1)
	v_fmac_f32_e32 v5, v7, v2
	v_fma_f32 v1, -v1, v5, v3
	s_delay_alu instid0(VALU_DEP_1) | instskip(NEXT) | instid1(VALU_DEP_1)
	v_div_fmas_f32 v1, v1, v2, v5
	v_div_fixup_f32 v8, v1, v4, 1.0
	s_delay_alu instid0(VALU_DEP_1)
	v_mul_f32_e64 v9, v0, -v8
.LBB125_34:
	s_or_b32 exec_lo, exec_lo, s1
	ds_store_b64 v255, v[8:9]
.LBB125_35:
	s_or_b32 exec_lo, exec_lo, s2
	s_wait_dscnt 0x0
	s_barrier_signal -1
	s_barrier_wait -1
	ds_load_b64 v[0:1], v255
	s_mov_b32 s1, exec_lo
	s_wait_dscnt 0x0
	scratch_store_b64 off, v[0:1], off offset:528 ; 8-byte Folded Spill
	s_wait_xcnt 0x0
	v_cmpx_lt_u32_e32 3, v254
	s_cbranch_execz .LBB125_37
; %bb.36:
	scratch_load_b64 v[2:3], off, off offset:528 ; 8-byte Folded Reload
	ds_load_2addr_b64 v[12:15], v6 offset0:4 offset1:5
	s_wait_loadcnt 0x0
	v_pk_mul_f32 v[0:1], v[2:3], v[138:139] op_sel:[1,1] op_sel_hi:[0,1]
	s_delay_alu instid0(VALU_DEP_1) | instskip(SKIP_2) | instid1(VALU_DEP_2)
	v_pk_fma_f32 v[10:11], v[2:3], v[138:139], v[0:1] op_sel_hi:[1,0,1]
	v_pk_fma_f32 v[8:9], v[2:3], v[138:139], v[0:1] op_sel_hi:[1,0,1] neg_lo:[0,0,1] neg_hi:[0,0,1]
	s_wait_dscnt 0x0
	v_pk_mul_f32 v[0:1], v[12:13], v[10:11] op_sel:[0,1]
	s_delay_alu instid0(VALU_DEP_2) | instskip(NEXT) | instid1(VALU_DEP_2)
	v_dual_mov_b32 v138, v8 :: v_dual_mov_b32 v139, v11
	v_pk_fma_f32 v[2:3], v[12:13], v[8:9], v[0:1] op_sel:[0,0,1] op_sel_hi:[1,1,0] neg_lo:[0,0,1] neg_hi:[0,0,1]
	v_pk_fma_f32 v[0:1], v[12:13], v[8:9], v[0:1] op_sel:[0,0,1] op_sel_hi:[1,0,0]
	s_delay_alu instid0(VALU_DEP_1) | instskip(SKIP_1) | instid1(VALU_DEP_2)
	v_mov_b32_e32 v3, v1
	v_pk_mul_f32 v[0:1], v[14:15], v[10:11] op_sel:[0,1]
	v_pk_add_f32 v[134:135], v[134:135], v[2:3] neg_lo:[0,1] neg_hi:[0,1]
	s_delay_alu instid0(VALU_DEP_2) | instskip(SKIP_3) | instid1(VALU_DEP_1)
	v_pk_fma_f32 v[2:3], v[14:15], v[8:9], v[0:1] op_sel:[0,0,1] op_sel_hi:[1,1,0] neg_lo:[0,0,1] neg_hi:[0,0,1]
	v_pk_fma_f32 v[0:1], v[14:15], v[8:9], v[0:1] op_sel:[0,0,1] op_sel_hi:[1,0,0]
	ds_load_2addr_b64 v[12:15], v6 offset0:6 offset1:7
	v_mov_b32_e32 v3, v1
	v_pk_add_f32 v[130:131], v[130:131], v[2:3] neg_lo:[0,1] neg_hi:[0,1]
	s_wait_dscnt 0x0
	v_pk_mul_f32 v[0:1], v[12:13], v[10:11] op_sel:[0,1]
	s_delay_alu instid0(VALU_DEP_1) | instskip(SKIP_2) | instid1(VALU_DEP_2)
	v_pk_fma_f32 v[2:3], v[12:13], v[8:9], v[0:1] op_sel:[0,0,1] op_sel_hi:[1,1,0] neg_lo:[0,0,1] neg_hi:[0,0,1]
	v_pk_fma_f32 v[0:1], v[12:13], v[8:9], v[0:1] op_sel:[0,0,1] op_sel_hi:[1,0,0]
	v_dual_mov_b32 v0, v15 :: v_dual_mul_f32 v12, v15, v8
	v_dual_mov_b32 v3, v1 :: v_dual_mov_b32 v1, v14
	s_delay_alu instid0(VALU_DEP_1) | instskip(SKIP_1) | instid1(VALU_DEP_3)
	v_pk_add_f32 v[132:133], v[132:133], v[2:3] neg_lo:[0,1] neg_hi:[0,1]
	v_mul_f32_e32 v2, v15, v11
	v_pk_fma_f32 v[0:1], v[0:1], v[138:139], v[12:13] op_sel_hi:[1,1,0]
	s_delay_alu instid0(VALU_DEP_2) | instskip(SKIP_2) | instid1(VALU_DEP_1)
	v_pk_fma_f32 v[2:3], v[14:15], v[138:139], v[2:3] op_sel_hi:[1,1,0] neg_lo:[0,0,1] neg_hi:[0,0,1]
	ds_load_2addr_b64 v[12:15], v6 offset0:8 offset1:9
	v_mov_b32_e32 v3, v1
	v_pk_add_f32 v[128:129], v[128:129], v[2:3] neg_lo:[0,1] neg_hi:[0,1]
	s_wait_dscnt 0x0
	v_pk_mul_f32 v[0:1], v[12:13], v[10:11] op_sel:[0,1]
	s_delay_alu instid0(VALU_DEP_1) | instskip(SKIP_1) | instid1(VALU_DEP_1)
	v_pk_fma_f32 v[2:3], v[12:13], v[8:9], v[0:1] op_sel:[0,0,1] op_sel_hi:[1,1,0] neg_lo:[0,0,1] neg_hi:[0,0,1]
	v_pk_fma_f32 v[0:1], v[12:13], v[8:9], v[0:1] op_sel:[0,0,1] op_sel_hi:[1,0,0]
	v_mov_b32_e32 v3, v1
	v_pk_mul_f32 v[0:1], v[14:15], v[10:11] op_sel:[0,1]
	s_delay_alu instid0(VALU_DEP_2) | instskip(NEXT) | instid1(VALU_DEP_2)
	v_pk_add_f32 v[136:137], v[136:137], v[2:3] neg_lo:[0,1] neg_hi:[0,1]
	v_pk_fma_f32 v[2:3], v[14:15], v[8:9], v[0:1] op_sel:[0,0,1] op_sel_hi:[1,1,0] neg_lo:[0,0,1] neg_hi:[0,0,1]
	v_pk_fma_f32 v[0:1], v[14:15], v[8:9], v[0:1] op_sel:[0,0,1] op_sel_hi:[1,0,0]
	ds_load_2addr_b64 v[12:15], v6 offset0:10 offset1:11
	v_mov_b32_e32 v3, v1
	s_delay_alu instid0(VALU_DEP_1) | instskip(SKIP_2) | instid1(VALU_DEP_1)
	v_pk_add_f32 v[146:147], v[146:147], v[2:3] neg_lo:[0,1] neg_hi:[0,1]
	s_wait_dscnt 0x0
	v_pk_mul_f32 v[0:1], v[12:13], v[10:11] op_sel:[0,1]
	v_pk_fma_f32 v[2:3], v[12:13], v[8:9], v[0:1] op_sel:[0,0,1] op_sel_hi:[1,1,0] neg_lo:[0,0,1] neg_hi:[0,0,1]
	v_pk_fma_f32 v[0:1], v[12:13], v[8:9], v[0:1] op_sel:[0,0,1] op_sel_hi:[1,0,0]
	s_delay_alu instid0(VALU_DEP_1) | instskip(SKIP_1) | instid1(VALU_DEP_2)
	v_mov_b32_e32 v3, v1
	v_pk_mul_f32 v[0:1], v[14:15], v[10:11] op_sel:[0,1]
	v_pk_add_f32 v[148:149], v[148:149], v[2:3] neg_lo:[0,1] neg_hi:[0,1]
	s_delay_alu instid0(VALU_DEP_2) | instskip(SKIP_3) | instid1(VALU_DEP_1)
	v_pk_fma_f32 v[2:3], v[14:15], v[8:9], v[0:1] op_sel:[0,0,1] op_sel_hi:[1,1,0] neg_lo:[0,0,1] neg_hi:[0,0,1]
	v_pk_fma_f32 v[0:1], v[14:15], v[8:9], v[0:1] op_sel:[0,0,1] op_sel_hi:[1,0,0]
	ds_load_2addr_b64 v[12:15], v6 offset0:12 offset1:13
	v_mov_b32_e32 v3, v1
	v_pk_add_f32 v[150:151], v[150:151], v[2:3] neg_lo:[0,1] neg_hi:[0,1]
	s_wait_dscnt 0x0
	v_dual_mul_f32 v0, v13, v11 :: v_dual_mul_f32 v2, v13, v8
	s_delay_alu instid0(VALU_DEP_1) | instskip(NEXT) | instid1(VALU_DEP_2)
	v_pk_fma_f32 v[0:1], v[12:13], v[138:139], v[0:1] op_sel_hi:[1,1,0] neg_lo:[0,0,1] neg_hi:[0,0,1]
	v_pk_fma_f32 v[2:3], v[12:13], v[138:139], v[2:3] op_sel:[1,0,0] op_sel_hi:[0,1,0]
	s_delay_alu instid0(VALU_DEP_1) | instskip(NEXT) | instid1(VALU_DEP_1)
	v_mov_b32_e32 v1, v3
	v_pk_add_f32 v[152:153], v[152:153], v[0:1] neg_lo:[0,1] neg_hi:[0,1]
	v_pk_mul_f32 v[0:1], v[14:15], v[10:11] op_sel:[0,1]
	s_delay_alu instid0(VALU_DEP_1) | instskip(SKIP_3) | instid1(VALU_DEP_1)
	v_pk_fma_f32 v[2:3], v[14:15], v[8:9], v[0:1] op_sel:[0,0,1] op_sel_hi:[1,1,0] neg_lo:[0,0,1] neg_hi:[0,0,1]
	v_pk_fma_f32 v[0:1], v[14:15], v[8:9], v[0:1] op_sel:[0,0,1] op_sel_hi:[1,0,0]
	ds_load_2addr_b64 v[12:15], v6 offset0:14 offset1:15
	v_mov_b32_e32 v3, v1
	v_pk_add_f32 v[154:155], v[154:155], v[2:3] neg_lo:[0,1] neg_hi:[0,1]
	s_wait_dscnt 0x0
	v_pk_mul_f32 v[0:1], v[12:13], v[10:11] op_sel:[0,1]
	s_delay_alu instid0(VALU_DEP_1) | instskip(SKIP_1) | instid1(VALU_DEP_1)
	v_pk_fma_f32 v[2:3], v[12:13], v[8:9], v[0:1] op_sel:[0,0,1] op_sel_hi:[1,1,0] neg_lo:[0,0,1] neg_hi:[0,0,1]
	v_pk_fma_f32 v[0:1], v[12:13], v[8:9], v[0:1] op_sel:[0,0,1] op_sel_hi:[1,0,0]
	v_mov_b32_e32 v3, v1
	v_pk_mul_f32 v[0:1], v[14:15], v[10:11] op_sel:[0,1]
	s_delay_alu instid0(VALU_DEP_2) | instskip(NEXT) | instid1(VALU_DEP_2)
	v_pk_add_f32 v[156:157], v[156:157], v[2:3] neg_lo:[0,1] neg_hi:[0,1]
	v_pk_fma_f32 v[2:3], v[14:15], v[8:9], v[0:1] op_sel:[0,0,1] op_sel_hi:[1,1,0] neg_lo:[0,0,1] neg_hi:[0,0,1]
	v_pk_fma_f32 v[0:1], v[14:15], v[8:9], v[0:1] op_sel:[0,0,1] op_sel_hi:[1,0,0]
	ds_load_2addr_b64 v[12:15], v6 offset0:16 offset1:17
	v_mov_b32_e32 v3, v1
	s_delay_alu instid0(VALU_DEP_1) | instskip(SKIP_2) | instid1(VALU_DEP_1)
	v_pk_add_f32 v[158:159], v[158:159], v[2:3] neg_lo:[0,1] neg_hi:[0,1]
	s_wait_dscnt 0x0
	v_pk_mul_f32 v[0:1], v[12:13], v[10:11] op_sel:[0,1]
	v_pk_fma_f32 v[2:3], v[12:13], v[8:9], v[0:1] op_sel:[0,0,1] op_sel_hi:[1,1,0] neg_lo:[0,0,1] neg_hi:[0,0,1]
	v_pk_fma_f32 v[0:1], v[12:13], v[8:9], v[0:1] op_sel:[0,0,1] op_sel_hi:[1,0,0]
	v_dual_mov_b32 v0, v15 :: v_dual_mul_f32 v12, v15, v8
	s_delay_alu instid0(VALU_DEP_2) | instskip(NEXT) | instid1(VALU_DEP_1)
	v_dual_mov_b32 v3, v1 :: v_dual_mov_b32 v1, v14
	v_pk_add_f32 v[160:161], v[160:161], v[2:3] neg_lo:[0,1] neg_hi:[0,1]
	v_mul_f32_e32 v2, v15, v11
	s_delay_alu instid0(VALU_DEP_3) | instskip(NEXT) | instid1(VALU_DEP_2)
	v_pk_fma_f32 v[0:1], v[0:1], v[138:139], v[12:13] op_sel_hi:[1,1,0]
	v_pk_fma_f32 v[2:3], v[14:15], v[138:139], v[2:3] op_sel_hi:[1,1,0] neg_lo:[0,0,1] neg_hi:[0,0,1]
	ds_load_2addr_b64 v[12:15], v6 offset0:18 offset1:19
	v_mov_b32_e32 v3, v1
	s_delay_alu instid0(VALU_DEP_1) | instskip(SKIP_2) | instid1(VALU_DEP_1)
	v_pk_add_f32 v[162:163], v[162:163], v[2:3] neg_lo:[0,1] neg_hi:[0,1]
	s_wait_dscnt 0x0
	v_pk_mul_f32 v[0:1], v[12:13], v[10:11] op_sel:[0,1]
	v_pk_fma_f32 v[2:3], v[12:13], v[8:9], v[0:1] op_sel:[0,0,1] op_sel_hi:[1,1,0] neg_lo:[0,0,1] neg_hi:[0,0,1]
	v_pk_fma_f32 v[0:1], v[12:13], v[8:9], v[0:1] op_sel:[0,0,1] op_sel_hi:[1,0,0]
	s_delay_alu instid0(VALU_DEP_1) | instskip(SKIP_1) | instid1(VALU_DEP_2)
	v_mov_b32_e32 v3, v1
	v_pk_mul_f32 v[0:1], v[14:15], v[10:11] op_sel:[0,1]
	v_pk_add_f32 v[164:165], v[164:165], v[2:3] neg_lo:[0,1] neg_hi:[0,1]
	s_delay_alu instid0(VALU_DEP_2) | instskip(SKIP_3) | instid1(VALU_DEP_1)
	v_pk_fma_f32 v[2:3], v[14:15], v[8:9], v[0:1] op_sel:[0,0,1] op_sel_hi:[1,1,0] neg_lo:[0,0,1] neg_hi:[0,0,1]
	v_pk_fma_f32 v[0:1], v[14:15], v[8:9], v[0:1] op_sel:[0,0,1] op_sel_hi:[1,0,0]
	ds_load_2addr_b64 v[12:15], v6 offset0:20 offset1:21
	v_mov_b32_e32 v3, v1
	v_pk_add_f32 v[166:167], v[166:167], v[2:3] neg_lo:[0,1] neg_hi:[0,1]
	s_wait_dscnt 0x0
	v_pk_mul_f32 v[0:1], v[12:13], v[10:11] op_sel:[0,1]
	s_delay_alu instid0(VALU_DEP_1) | instskip(SKIP_1) | instid1(VALU_DEP_1)
	v_pk_fma_f32 v[2:3], v[12:13], v[8:9], v[0:1] op_sel:[0,0,1] op_sel_hi:[1,1,0] neg_lo:[0,0,1] neg_hi:[0,0,1]
	v_pk_fma_f32 v[0:1], v[12:13], v[8:9], v[0:1] op_sel:[0,0,1] op_sel_hi:[1,0,0]
	v_mov_b32_e32 v3, v1
	v_pk_mul_f32 v[0:1], v[14:15], v[10:11] op_sel:[0,1]
	s_delay_alu instid0(VALU_DEP_2) | instskip(NEXT) | instid1(VALU_DEP_2)
	v_pk_add_f32 v[168:169], v[168:169], v[2:3] neg_lo:[0,1] neg_hi:[0,1]
	v_pk_fma_f32 v[2:3], v[14:15], v[8:9], v[0:1] op_sel:[0,0,1] op_sel_hi:[1,1,0] neg_lo:[0,0,1] neg_hi:[0,0,1]
	v_pk_fma_f32 v[0:1], v[14:15], v[8:9], v[0:1] op_sel:[0,0,1] op_sel_hi:[1,0,0]
	ds_load_2addr_b64 v[12:15], v6 offset0:22 offset1:23
	v_mov_b32_e32 v3, v1
	s_delay_alu instid0(VALU_DEP_1) | instskip(SKIP_2) | instid1(VALU_DEP_1)
	v_pk_add_f32 v[170:171], v[170:171], v[2:3] neg_lo:[0,1] neg_hi:[0,1]
	s_wait_dscnt 0x0
	v_dual_mul_f32 v2, v13, v8 :: v_dual_mul_f32 v0, v13, v11
	v_pk_fma_f32 v[2:3], v[12:13], v[138:139], v[2:3] op_sel:[1,0,0] op_sel_hi:[0,1,0]
	s_delay_alu instid0(VALU_DEP_2) | instskip(NEXT) | instid1(VALU_DEP_2)
	v_pk_fma_f32 v[0:1], v[12:13], v[138:139], v[0:1] op_sel_hi:[1,1,0] neg_lo:[0,0,1] neg_hi:[0,0,1]
	v_mov_b32_e32 v1, v3
	s_delay_alu instid0(VALU_DEP_1) | instskip(SKIP_1) | instid1(VALU_DEP_1)
	v_pk_add_f32 v[172:173], v[172:173], v[0:1] neg_lo:[0,1] neg_hi:[0,1]
	v_pk_mul_f32 v[0:1], v[14:15], v[10:11] op_sel:[0,1]
	v_pk_fma_f32 v[2:3], v[14:15], v[8:9], v[0:1] op_sel:[0,0,1] op_sel_hi:[1,1,0] neg_lo:[0,0,1] neg_hi:[0,0,1]
	v_pk_fma_f32 v[0:1], v[14:15], v[8:9], v[0:1] op_sel:[0,0,1] op_sel_hi:[1,0,0]
	ds_load_2addr_b64 v[12:15], v6 offset0:24 offset1:25
	v_mov_b32_e32 v3, v1
	s_delay_alu instid0(VALU_DEP_1) | instskip(SKIP_2) | instid1(VALU_DEP_1)
	v_pk_add_f32 v[174:175], v[174:175], v[2:3] neg_lo:[0,1] neg_hi:[0,1]
	s_wait_dscnt 0x0
	v_pk_mul_f32 v[0:1], v[12:13], v[10:11] op_sel:[0,1]
	v_pk_fma_f32 v[2:3], v[12:13], v[8:9], v[0:1] op_sel:[0,0,1] op_sel_hi:[1,1,0] neg_lo:[0,0,1] neg_hi:[0,0,1]
	v_pk_fma_f32 v[0:1], v[12:13], v[8:9], v[0:1] op_sel:[0,0,1] op_sel_hi:[1,0,0]
	s_delay_alu instid0(VALU_DEP_1) | instskip(SKIP_1) | instid1(VALU_DEP_2)
	v_mov_b32_e32 v3, v1
	v_pk_mul_f32 v[0:1], v[14:15], v[10:11] op_sel:[0,1]
	v_pk_add_f32 v[176:177], v[176:177], v[2:3] neg_lo:[0,1] neg_hi:[0,1]
	s_delay_alu instid0(VALU_DEP_2) | instskip(SKIP_3) | instid1(VALU_DEP_1)
	v_pk_fma_f32 v[2:3], v[14:15], v[8:9], v[0:1] op_sel:[0,0,1] op_sel_hi:[1,1,0] neg_lo:[0,0,1] neg_hi:[0,0,1]
	v_pk_fma_f32 v[0:1], v[14:15], v[8:9], v[0:1] op_sel:[0,0,1] op_sel_hi:[1,0,0]
	ds_load_2addr_b64 v[12:15], v6 offset0:26 offset1:27
	v_mov_b32_e32 v3, v1
	v_pk_add_f32 v[178:179], v[178:179], v[2:3] neg_lo:[0,1] neg_hi:[0,1]
	s_wait_dscnt 0x0
	v_pk_mul_f32 v[0:1], v[12:13], v[10:11] op_sel:[0,1]
	s_delay_alu instid0(VALU_DEP_1) | instskip(SKIP_2) | instid1(VALU_DEP_2)
	v_pk_fma_f32 v[2:3], v[12:13], v[8:9], v[0:1] op_sel:[0,0,1] op_sel_hi:[1,1,0] neg_lo:[0,0,1] neg_hi:[0,0,1]
	v_pk_fma_f32 v[0:1], v[12:13], v[8:9], v[0:1] op_sel:[0,0,1] op_sel_hi:[1,0,0]
	v_dual_mov_b32 v0, v15 :: v_dual_mul_f32 v12, v15, v8
	v_dual_mov_b32 v3, v1 :: v_dual_mov_b32 v1, v14
	s_delay_alu instid0(VALU_DEP_1) | instskip(SKIP_1) | instid1(VALU_DEP_3)
	v_pk_add_f32 v[180:181], v[180:181], v[2:3] neg_lo:[0,1] neg_hi:[0,1]
	v_mul_f32_e32 v2, v15, v11
	v_pk_fma_f32 v[0:1], v[0:1], v[138:139], v[12:13] op_sel_hi:[1,1,0]
	s_delay_alu instid0(VALU_DEP_2) | instskip(SKIP_2) | instid1(VALU_DEP_1)
	v_pk_fma_f32 v[2:3], v[14:15], v[138:139], v[2:3] op_sel_hi:[1,1,0] neg_lo:[0,0,1] neg_hi:[0,0,1]
	ds_load_2addr_b64 v[12:15], v6 offset0:28 offset1:29
	v_mov_b32_e32 v3, v1
	v_pk_add_f32 v[182:183], v[182:183], v[2:3] neg_lo:[0,1] neg_hi:[0,1]
	s_wait_dscnt 0x0
	v_pk_mul_f32 v[0:1], v[12:13], v[10:11] op_sel:[0,1]
	s_delay_alu instid0(VALU_DEP_1) | instskip(SKIP_1) | instid1(VALU_DEP_1)
	v_pk_fma_f32 v[2:3], v[12:13], v[8:9], v[0:1] op_sel:[0,0,1] op_sel_hi:[1,1,0] neg_lo:[0,0,1] neg_hi:[0,0,1]
	v_pk_fma_f32 v[0:1], v[12:13], v[8:9], v[0:1] op_sel:[0,0,1] op_sel_hi:[1,0,0]
	v_mov_b32_e32 v3, v1
	v_pk_mul_f32 v[0:1], v[14:15], v[10:11] op_sel:[0,1]
	s_delay_alu instid0(VALU_DEP_2) | instskip(NEXT) | instid1(VALU_DEP_2)
	v_pk_add_f32 v[184:185], v[184:185], v[2:3] neg_lo:[0,1] neg_hi:[0,1]
	v_pk_fma_f32 v[2:3], v[14:15], v[8:9], v[0:1] op_sel:[0,0,1] op_sel_hi:[1,1,0] neg_lo:[0,0,1] neg_hi:[0,0,1]
	v_pk_fma_f32 v[0:1], v[14:15], v[8:9], v[0:1] op_sel:[0,0,1] op_sel_hi:[1,0,0]
	ds_load_2addr_b64 v[12:15], v6 offset0:30 offset1:31
	v_mov_b32_e32 v3, v1
	s_delay_alu instid0(VALU_DEP_1) | instskip(SKIP_2) | instid1(VALU_DEP_1)
	v_pk_add_f32 v[186:187], v[186:187], v[2:3] neg_lo:[0,1] neg_hi:[0,1]
	s_wait_dscnt 0x0
	v_pk_mul_f32 v[0:1], v[12:13], v[10:11] op_sel:[0,1]
	v_pk_fma_f32 v[2:3], v[12:13], v[8:9], v[0:1] op_sel:[0,0,1] op_sel_hi:[1,1,0] neg_lo:[0,0,1] neg_hi:[0,0,1]
	v_pk_fma_f32 v[0:1], v[12:13], v[8:9], v[0:1] op_sel:[0,0,1] op_sel_hi:[1,0,0]
	s_delay_alu instid0(VALU_DEP_1) | instskip(SKIP_1) | instid1(VALU_DEP_2)
	v_mov_b32_e32 v3, v1
	v_pk_mul_f32 v[0:1], v[14:15], v[10:11] op_sel:[0,1]
	v_pk_add_f32 v[188:189], v[188:189], v[2:3] neg_lo:[0,1] neg_hi:[0,1]
	s_delay_alu instid0(VALU_DEP_2) | instskip(SKIP_3) | instid1(VALU_DEP_1)
	v_pk_fma_f32 v[2:3], v[14:15], v[8:9], v[0:1] op_sel:[0,0,1] op_sel_hi:[1,1,0] neg_lo:[0,0,1] neg_hi:[0,0,1]
	v_pk_fma_f32 v[0:1], v[14:15], v[8:9], v[0:1] op_sel:[0,0,1] op_sel_hi:[1,0,0]
	ds_load_2addr_b64 v[12:15], v6 offset0:32 offset1:33
	v_mov_b32_e32 v3, v1
	v_pk_add_f32 v[190:191], v[190:191], v[2:3] neg_lo:[0,1] neg_hi:[0,1]
	s_wait_dscnt 0x0
	v_dual_mul_f32 v0, v13, v11 :: v_dual_mul_f32 v2, v13, v8
	s_delay_alu instid0(VALU_DEP_1) | instskip(NEXT) | instid1(VALU_DEP_2)
	v_pk_fma_f32 v[0:1], v[12:13], v[138:139], v[0:1] op_sel_hi:[1,1,0] neg_lo:[0,0,1] neg_hi:[0,0,1]
	v_pk_fma_f32 v[2:3], v[12:13], v[138:139], v[2:3] op_sel:[1,0,0] op_sel_hi:[0,1,0]
	s_delay_alu instid0(VALU_DEP_1) | instskip(NEXT) | instid1(VALU_DEP_1)
	v_mov_b32_e32 v1, v3
	v_pk_add_f32 v[192:193], v[192:193], v[0:1] neg_lo:[0,1] neg_hi:[0,1]
	v_pk_mul_f32 v[0:1], v[14:15], v[10:11] op_sel:[0,1]
	s_delay_alu instid0(VALU_DEP_1) | instskip(SKIP_3) | instid1(VALU_DEP_1)
	v_pk_fma_f32 v[2:3], v[14:15], v[8:9], v[0:1] op_sel:[0,0,1] op_sel_hi:[1,1,0] neg_lo:[0,0,1] neg_hi:[0,0,1]
	v_pk_fma_f32 v[0:1], v[14:15], v[8:9], v[0:1] op_sel:[0,0,1] op_sel_hi:[1,0,0]
	ds_load_2addr_b64 v[12:15], v6 offset0:34 offset1:35
	v_mov_b32_e32 v3, v1
	v_pk_add_f32 v[194:195], v[194:195], v[2:3] neg_lo:[0,1] neg_hi:[0,1]
	s_wait_dscnt 0x0
	v_pk_mul_f32 v[0:1], v[12:13], v[10:11] op_sel:[0,1]
	s_delay_alu instid0(VALU_DEP_1) | instskip(SKIP_1) | instid1(VALU_DEP_1)
	v_pk_fma_f32 v[2:3], v[12:13], v[8:9], v[0:1] op_sel:[0,0,1] op_sel_hi:[1,1,0] neg_lo:[0,0,1] neg_hi:[0,0,1]
	v_pk_fma_f32 v[0:1], v[12:13], v[8:9], v[0:1] op_sel:[0,0,1] op_sel_hi:[1,0,0]
	v_mov_b32_e32 v3, v1
	v_pk_mul_f32 v[0:1], v[14:15], v[10:11] op_sel:[0,1]
	s_delay_alu instid0(VALU_DEP_2) | instskip(NEXT) | instid1(VALU_DEP_2)
	v_pk_add_f32 v[196:197], v[196:197], v[2:3] neg_lo:[0,1] neg_hi:[0,1]
	v_pk_fma_f32 v[2:3], v[14:15], v[8:9], v[0:1] op_sel:[0,0,1] op_sel_hi:[1,1,0] neg_lo:[0,0,1] neg_hi:[0,0,1]
	v_pk_fma_f32 v[0:1], v[14:15], v[8:9], v[0:1] op_sel:[0,0,1] op_sel_hi:[1,0,0]
	ds_load_2addr_b64 v[12:15], v6 offset0:36 offset1:37
	v_mov_b32_e32 v3, v1
	s_delay_alu instid0(VALU_DEP_1) | instskip(SKIP_2) | instid1(VALU_DEP_1)
	v_pk_add_f32 v[198:199], v[198:199], v[2:3] neg_lo:[0,1] neg_hi:[0,1]
	s_wait_dscnt 0x0
	v_pk_mul_f32 v[0:1], v[12:13], v[10:11] op_sel:[0,1]
	v_pk_fma_f32 v[2:3], v[12:13], v[8:9], v[0:1] op_sel:[0,0,1] op_sel_hi:[1,1,0] neg_lo:[0,0,1] neg_hi:[0,0,1]
	v_pk_fma_f32 v[0:1], v[12:13], v[8:9], v[0:1] op_sel:[0,0,1] op_sel_hi:[1,0,0]
	v_dual_mov_b32 v0, v15 :: v_dual_mul_f32 v12, v15, v8
	s_delay_alu instid0(VALU_DEP_2) | instskip(NEXT) | instid1(VALU_DEP_1)
	v_dual_mov_b32 v3, v1 :: v_dual_mov_b32 v1, v14
	v_pk_add_f32 v[200:201], v[200:201], v[2:3] neg_lo:[0,1] neg_hi:[0,1]
	v_mul_f32_e32 v2, v15, v11
	s_delay_alu instid0(VALU_DEP_3) | instskip(NEXT) | instid1(VALU_DEP_2)
	v_pk_fma_f32 v[0:1], v[0:1], v[138:139], v[12:13] op_sel_hi:[1,1,0]
	v_pk_fma_f32 v[2:3], v[14:15], v[138:139], v[2:3] op_sel_hi:[1,1,0] neg_lo:[0,0,1] neg_hi:[0,0,1]
	ds_load_2addr_b64 v[12:15], v6 offset0:38 offset1:39
	v_mov_b32_e32 v3, v1
	s_delay_alu instid0(VALU_DEP_1) | instskip(SKIP_2) | instid1(VALU_DEP_1)
	v_pk_add_f32 v[202:203], v[202:203], v[2:3] neg_lo:[0,1] neg_hi:[0,1]
	s_wait_dscnt 0x0
	v_pk_mul_f32 v[0:1], v[12:13], v[10:11] op_sel:[0,1]
	v_pk_fma_f32 v[2:3], v[12:13], v[8:9], v[0:1] op_sel:[0,0,1] op_sel_hi:[1,1,0] neg_lo:[0,0,1] neg_hi:[0,0,1]
	v_pk_fma_f32 v[0:1], v[12:13], v[8:9], v[0:1] op_sel:[0,0,1] op_sel_hi:[1,0,0]
	s_delay_alu instid0(VALU_DEP_1) | instskip(SKIP_1) | instid1(VALU_DEP_2)
	v_mov_b32_e32 v3, v1
	v_pk_mul_f32 v[0:1], v[14:15], v[10:11] op_sel:[0,1]
	v_pk_add_f32 v[204:205], v[204:205], v[2:3] neg_lo:[0,1] neg_hi:[0,1]
	s_delay_alu instid0(VALU_DEP_2) | instskip(SKIP_3) | instid1(VALU_DEP_1)
	v_pk_fma_f32 v[2:3], v[14:15], v[8:9], v[0:1] op_sel:[0,0,1] op_sel_hi:[1,1,0] neg_lo:[0,0,1] neg_hi:[0,0,1]
	v_pk_fma_f32 v[0:1], v[14:15], v[8:9], v[0:1] op_sel:[0,0,1] op_sel_hi:[1,0,0]
	ds_load_2addr_b64 v[12:15], v6 offset0:40 offset1:41
	v_mov_b32_e32 v3, v1
	v_pk_add_f32 v[206:207], v[206:207], v[2:3] neg_lo:[0,1] neg_hi:[0,1]
	s_wait_dscnt 0x0
	v_pk_mul_f32 v[0:1], v[12:13], v[10:11] op_sel:[0,1]
	s_delay_alu instid0(VALU_DEP_1) | instskip(SKIP_1) | instid1(VALU_DEP_1)
	v_pk_fma_f32 v[2:3], v[12:13], v[8:9], v[0:1] op_sel:[0,0,1] op_sel_hi:[1,1,0] neg_lo:[0,0,1] neg_hi:[0,0,1]
	v_pk_fma_f32 v[0:1], v[12:13], v[8:9], v[0:1] op_sel:[0,0,1] op_sel_hi:[1,0,0]
	v_mov_b32_e32 v3, v1
	v_pk_mul_f32 v[0:1], v[14:15], v[10:11] op_sel:[0,1]
	s_delay_alu instid0(VALU_DEP_2) | instskip(NEXT) | instid1(VALU_DEP_2)
	v_pk_add_f32 v[208:209], v[208:209], v[2:3] neg_lo:[0,1] neg_hi:[0,1]
	v_pk_fma_f32 v[2:3], v[14:15], v[8:9], v[0:1] op_sel:[0,0,1] op_sel_hi:[1,1,0] neg_lo:[0,0,1] neg_hi:[0,0,1]
	v_pk_fma_f32 v[0:1], v[14:15], v[8:9], v[0:1] op_sel:[0,0,1] op_sel_hi:[1,0,0]
	ds_load_2addr_b64 v[12:15], v6 offset0:42 offset1:43
	v_mov_b32_e32 v3, v1
	s_delay_alu instid0(VALU_DEP_1) | instskip(SKIP_2) | instid1(VALU_DEP_1)
	v_pk_add_f32 v[210:211], v[210:211], v[2:3] neg_lo:[0,1] neg_hi:[0,1]
	s_wait_dscnt 0x0
	v_dual_mul_f32 v2, v13, v8 :: v_dual_mul_f32 v0, v13, v11
	v_pk_fma_f32 v[2:3], v[12:13], v[138:139], v[2:3] op_sel:[1,0,0] op_sel_hi:[0,1,0]
	s_delay_alu instid0(VALU_DEP_2) | instskip(NEXT) | instid1(VALU_DEP_2)
	v_pk_fma_f32 v[0:1], v[12:13], v[138:139], v[0:1] op_sel_hi:[1,1,0] neg_lo:[0,0,1] neg_hi:[0,0,1]
	v_mov_b32_e32 v1, v3
	s_delay_alu instid0(VALU_DEP_1) | instskip(SKIP_1) | instid1(VALU_DEP_1)
	v_pk_add_f32 v[212:213], v[212:213], v[0:1] neg_lo:[0,1] neg_hi:[0,1]
	v_pk_mul_f32 v[0:1], v[14:15], v[10:11] op_sel:[0,1]
	v_pk_fma_f32 v[2:3], v[14:15], v[8:9], v[0:1] op_sel:[0,0,1] op_sel_hi:[1,1,0] neg_lo:[0,0,1] neg_hi:[0,0,1]
	v_pk_fma_f32 v[0:1], v[14:15], v[8:9], v[0:1] op_sel:[0,0,1] op_sel_hi:[1,0,0]
	ds_load_2addr_b64 v[12:15], v6 offset0:44 offset1:45
	v_mov_b32_e32 v3, v1
	s_delay_alu instid0(VALU_DEP_1) | instskip(SKIP_2) | instid1(VALU_DEP_1)
	v_pk_add_f32 v[214:215], v[214:215], v[2:3] neg_lo:[0,1] neg_hi:[0,1]
	s_wait_dscnt 0x0
	v_pk_mul_f32 v[0:1], v[12:13], v[10:11] op_sel:[0,1]
	v_pk_fma_f32 v[2:3], v[12:13], v[8:9], v[0:1] op_sel:[0,0,1] op_sel_hi:[1,1,0] neg_lo:[0,0,1] neg_hi:[0,0,1]
	v_pk_fma_f32 v[0:1], v[12:13], v[8:9], v[0:1] op_sel:[0,0,1] op_sel_hi:[1,0,0]
	s_delay_alu instid0(VALU_DEP_1) | instskip(SKIP_1) | instid1(VALU_DEP_2)
	v_mov_b32_e32 v3, v1
	v_pk_mul_f32 v[0:1], v[14:15], v[10:11] op_sel:[0,1]
	v_pk_add_f32 v[216:217], v[216:217], v[2:3] neg_lo:[0,1] neg_hi:[0,1]
	s_delay_alu instid0(VALU_DEP_2) | instskip(SKIP_3) | instid1(VALU_DEP_1)
	v_pk_fma_f32 v[2:3], v[14:15], v[8:9], v[0:1] op_sel:[0,0,1] op_sel_hi:[1,1,0] neg_lo:[0,0,1] neg_hi:[0,0,1]
	v_pk_fma_f32 v[0:1], v[14:15], v[8:9], v[0:1] op_sel:[0,0,1] op_sel_hi:[1,0,0]
	ds_load_2addr_b64 v[12:15], v6 offset0:46 offset1:47
	v_mov_b32_e32 v3, v1
	v_pk_add_f32 v[218:219], v[218:219], v[2:3] neg_lo:[0,1] neg_hi:[0,1]
	s_wait_dscnt 0x0
	v_pk_mul_f32 v[0:1], v[12:13], v[10:11] op_sel:[0,1]
	s_delay_alu instid0(VALU_DEP_1) | instskip(SKIP_2) | instid1(VALU_DEP_2)
	v_pk_fma_f32 v[2:3], v[12:13], v[8:9], v[0:1] op_sel:[0,0,1] op_sel_hi:[1,1,0] neg_lo:[0,0,1] neg_hi:[0,0,1]
	v_pk_fma_f32 v[0:1], v[12:13], v[8:9], v[0:1] op_sel:[0,0,1] op_sel_hi:[1,0,0]
	v_dual_mov_b32 v0, v15 :: v_dual_mul_f32 v12, v15, v8
	v_dual_mov_b32 v3, v1 :: v_dual_mov_b32 v1, v14
	s_delay_alu instid0(VALU_DEP_1) | instskip(SKIP_1) | instid1(VALU_DEP_3)
	v_pk_add_f32 v[220:221], v[220:221], v[2:3] neg_lo:[0,1] neg_hi:[0,1]
	v_mul_f32_e32 v2, v15, v11
	v_pk_fma_f32 v[0:1], v[0:1], v[138:139], v[12:13] op_sel_hi:[1,1,0]
	s_delay_alu instid0(VALU_DEP_2) | instskip(SKIP_2) | instid1(VALU_DEP_1)
	v_pk_fma_f32 v[2:3], v[14:15], v[138:139], v[2:3] op_sel_hi:[1,1,0] neg_lo:[0,0,1] neg_hi:[0,0,1]
	ds_load_2addr_b64 v[12:15], v6 offset0:48 offset1:49
	v_mov_b32_e32 v3, v1
	v_pk_add_f32 v[222:223], v[222:223], v[2:3] neg_lo:[0,1] neg_hi:[0,1]
	s_wait_dscnt 0x0
	v_pk_mul_f32 v[0:1], v[12:13], v[10:11] op_sel:[0,1]
	s_delay_alu instid0(VALU_DEP_1) | instskip(SKIP_1) | instid1(VALU_DEP_1)
	v_pk_fma_f32 v[2:3], v[12:13], v[8:9], v[0:1] op_sel:[0,0,1] op_sel_hi:[1,1,0] neg_lo:[0,0,1] neg_hi:[0,0,1]
	v_pk_fma_f32 v[0:1], v[12:13], v[8:9], v[0:1] op_sel:[0,0,1] op_sel_hi:[1,0,0]
	v_mov_b32_e32 v3, v1
	v_pk_mul_f32 v[0:1], v[14:15], v[10:11] op_sel:[0,1]
	s_delay_alu instid0(VALU_DEP_2) | instskip(NEXT) | instid1(VALU_DEP_2)
	v_pk_add_f32 v[224:225], v[224:225], v[2:3] neg_lo:[0,1] neg_hi:[0,1]
	v_pk_fma_f32 v[2:3], v[14:15], v[8:9], v[0:1] op_sel:[0,0,1] op_sel_hi:[1,1,0] neg_lo:[0,0,1] neg_hi:[0,0,1]
	v_pk_fma_f32 v[0:1], v[14:15], v[8:9], v[0:1] op_sel:[0,0,1] op_sel_hi:[1,0,0]
	ds_load_2addr_b64 v[12:15], v6 offset0:50 offset1:51
	v_mov_b32_e32 v3, v1
	s_delay_alu instid0(VALU_DEP_1) | instskip(SKIP_2) | instid1(VALU_DEP_1)
	v_pk_add_f32 v[226:227], v[226:227], v[2:3] neg_lo:[0,1] neg_hi:[0,1]
	s_wait_dscnt 0x0
	v_pk_mul_f32 v[0:1], v[12:13], v[10:11] op_sel:[0,1]
	v_pk_fma_f32 v[2:3], v[12:13], v[8:9], v[0:1] op_sel:[0,0,1] op_sel_hi:[1,1,0] neg_lo:[0,0,1] neg_hi:[0,0,1]
	v_pk_fma_f32 v[0:1], v[12:13], v[8:9], v[0:1] op_sel:[0,0,1] op_sel_hi:[1,0,0]
	s_delay_alu instid0(VALU_DEP_1) | instskip(SKIP_1) | instid1(VALU_DEP_2)
	v_mov_b32_e32 v3, v1
	v_pk_mul_f32 v[0:1], v[14:15], v[10:11] op_sel:[0,1]
	v_pk_add_f32 v[228:229], v[228:229], v[2:3] neg_lo:[0,1] neg_hi:[0,1]
	s_delay_alu instid0(VALU_DEP_2) | instskip(SKIP_3) | instid1(VALU_DEP_1)
	v_pk_fma_f32 v[2:3], v[14:15], v[8:9], v[0:1] op_sel:[0,0,1] op_sel_hi:[1,1,0] neg_lo:[0,0,1] neg_hi:[0,0,1]
	v_pk_fma_f32 v[0:1], v[14:15], v[8:9], v[0:1] op_sel:[0,0,1] op_sel_hi:[1,0,0]
	ds_load_2addr_b64 v[12:15], v6 offset0:52 offset1:53
	v_mov_b32_e32 v3, v1
	v_pk_add_f32 v[230:231], v[230:231], v[2:3] neg_lo:[0,1] neg_hi:[0,1]
	s_wait_dscnt 0x0
	v_dual_mul_f32 v0, v13, v11 :: v_dual_mul_f32 v2, v13, v8
	s_delay_alu instid0(VALU_DEP_1) | instskip(NEXT) | instid1(VALU_DEP_2)
	v_pk_fma_f32 v[0:1], v[12:13], v[138:139], v[0:1] op_sel_hi:[1,1,0] neg_lo:[0,0,1] neg_hi:[0,0,1]
	v_pk_fma_f32 v[2:3], v[12:13], v[138:139], v[2:3] op_sel:[1,0,0] op_sel_hi:[0,1,0]
	s_delay_alu instid0(VALU_DEP_1) | instskip(NEXT) | instid1(VALU_DEP_1)
	v_mov_b32_e32 v1, v3
	v_pk_add_f32 v[232:233], v[232:233], v[0:1] neg_lo:[0,1] neg_hi:[0,1]
	v_pk_mul_f32 v[0:1], v[14:15], v[10:11] op_sel:[0,1]
	s_delay_alu instid0(VALU_DEP_1) | instskip(SKIP_3) | instid1(VALU_DEP_1)
	v_pk_fma_f32 v[2:3], v[14:15], v[8:9], v[0:1] op_sel:[0,0,1] op_sel_hi:[1,1,0] neg_lo:[0,0,1] neg_hi:[0,0,1]
	v_pk_fma_f32 v[0:1], v[14:15], v[8:9], v[0:1] op_sel:[0,0,1] op_sel_hi:[1,0,0]
	ds_load_2addr_b64 v[12:15], v6 offset0:54 offset1:55
	v_mov_b32_e32 v3, v1
	v_pk_add_f32 v[234:235], v[234:235], v[2:3] neg_lo:[0,1] neg_hi:[0,1]
	s_wait_dscnt 0x0
	v_pk_mul_f32 v[0:1], v[12:13], v[10:11] op_sel:[0,1]
	s_delay_alu instid0(VALU_DEP_1) | instskip(SKIP_1) | instid1(VALU_DEP_1)
	v_pk_fma_f32 v[2:3], v[12:13], v[8:9], v[0:1] op_sel:[0,0,1] op_sel_hi:[1,1,0] neg_lo:[0,0,1] neg_hi:[0,0,1]
	v_pk_fma_f32 v[0:1], v[12:13], v[8:9], v[0:1] op_sel:[0,0,1] op_sel_hi:[1,0,0]
	v_mov_b32_e32 v3, v1
	v_pk_mul_f32 v[0:1], v[14:15], v[10:11] op_sel:[0,1]
	s_delay_alu instid0(VALU_DEP_2) | instskip(NEXT) | instid1(VALU_DEP_2)
	v_pk_add_f32 v[236:237], v[236:237], v[2:3] neg_lo:[0,1] neg_hi:[0,1]
	v_pk_fma_f32 v[2:3], v[14:15], v[8:9], v[0:1] op_sel:[0,0,1] op_sel_hi:[1,1,0] neg_lo:[0,0,1] neg_hi:[0,0,1]
	v_pk_fma_f32 v[0:1], v[14:15], v[8:9], v[0:1] op_sel:[0,0,1] op_sel_hi:[1,0,0]
	ds_load_2addr_b64 v[12:15], v6 offset0:56 offset1:57
	v_mov_b32_e32 v3, v1
	s_delay_alu instid0(VALU_DEP_1) | instskip(SKIP_2) | instid1(VALU_DEP_1)
	v_pk_add_f32 v[238:239], v[238:239], v[2:3] neg_lo:[0,1] neg_hi:[0,1]
	s_wait_dscnt 0x0
	v_pk_mul_f32 v[0:1], v[12:13], v[10:11] op_sel:[0,1]
	v_pk_fma_f32 v[2:3], v[12:13], v[8:9], v[0:1] op_sel:[0,0,1] op_sel_hi:[1,1,0] neg_lo:[0,0,1] neg_hi:[0,0,1]
	v_pk_fma_f32 v[0:1], v[12:13], v[8:9], v[0:1] op_sel:[0,0,1] op_sel_hi:[1,0,0]
	v_dual_mov_b32 v0, v15 :: v_dual_mul_f32 v12, v15, v8
	s_delay_alu instid0(VALU_DEP_2) | instskip(NEXT) | instid1(VALU_DEP_1)
	v_dual_mov_b32 v3, v1 :: v_dual_mov_b32 v1, v14
	v_pk_add_f32 v[248:249], v[248:249], v[2:3] neg_lo:[0,1] neg_hi:[0,1]
	v_mul_f32_e32 v2, v15, v11
	s_delay_alu instid0(VALU_DEP_3) | instskip(NEXT) | instid1(VALU_DEP_2)
	v_pk_fma_f32 v[0:1], v[0:1], v[138:139], v[12:13] op_sel_hi:[1,1,0]
	v_pk_fma_f32 v[2:3], v[14:15], v[138:139], v[2:3] op_sel_hi:[1,1,0] neg_lo:[0,0,1] neg_hi:[0,0,1]
	ds_load_2addr_b64 v[12:15], v6 offset0:58 offset1:59
	v_mov_b32_e32 v3, v1
	s_delay_alu instid0(VALU_DEP_1) | instskip(SKIP_2) | instid1(VALU_DEP_1)
	v_pk_add_f32 v[242:243], v[242:243], v[2:3] neg_lo:[0,1] neg_hi:[0,1]
	s_wait_dscnt 0x0
	v_pk_mul_f32 v[0:1], v[12:13], v[10:11] op_sel:[0,1]
	v_pk_fma_f32 v[2:3], v[12:13], v[8:9], v[0:1] op_sel:[0,0,1] op_sel_hi:[1,1,0] neg_lo:[0,0,1] neg_hi:[0,0,1]
	v_pk_fma_f32 v[0:1], v[12:13], v[8:9], v[0:1] op_sel:[0,0,1] op_sel_hi:[1,0,0]
	s_delay_alu instid0(VALU_DEP_1) | instskip(SKIP_1) | instid1(VALU_DEP_2)
	v_mov_b32_e32 v3, v1
	v_pk_mul_f32 v[0:1], v[14:15], v[10:11] op_sel:[0,1]
	v_pk_add_f32 v[246:247], v[246:247], v[2:3] neg_lo:[0,1] neg_hi:[0,1]
	s_delay_alu instid0(VALU_DEP_2) | instskip(SKIP_3) | instid1(VALU_DEP_1)
	v_pk_fma_f32 v[2:3], v[14:15], v[8:9], v[0:1] op_sel:[0,0,1] op_sel_hi:[1,1,0] neg_lo:[0,0,1] neg_hi:[0,0,1]
	v_pk_fma_f32 v[0:1], v[14:15], v[8:9], v[0:1] op_sel:[0,0,1] op_sel_hi:[1,0,0]
	ds_load_2addr_b64 v[12:15], v6 offset0:60 offset1:61
	v_mov_b32_e32 v3, v1
	v_pk_add_f32 v[240:241], v[240:241], v[2:3] neg_lo:[0,1] neg_hi:[0,1]
	s_wait_dscnt 0x0
	v_pk_mul_f32 v[0:1], v[12:13], v[10:11] op_sel:[0,1]
	s_delay_alu instid0(VALU_DEP_1) | instskip(SKIP_1) | instid1(VALU_DEP_1)
	v_pk_fma_f32 v[2:3], v[12:13], v[8:9], v[0:1] op_sel:[0,0,1] op_sel_hi:[1,1,0] neg_lo:[0,0,1] neg_hi:[0,0,1]
	v_pk_fma_f32 v[0:1], v[12:13], v[8:9], v[0:1] op_sel:[0,0,1] op_sel_hi:[1,0,0]
	v_mov_b32_e32 v3, v1
	v_pk_mul_f32 v[0:1], v[14:15], v[10:11] op_sel:[0,1]
	s_delay_alu instid0(VALU_DEP_2) | instskip(NEXT) | instid1(VALU_DEP_2)
	v_pk_add_f32 v[244:245], v[244:245], v[2:3] neg_lo:[0,1] neg_hi:[0,1]
	v_pk_fma_f32 v[2:3], v[14:15], v[8:9], v[0:1] op_sel:[0,0,1] op_sel_hi:[1,1,0] neg_lo:[0,0,1] neg_hi:[0,0,1]
	v_pk_fma_f32 v[0:1], v[14:15], v[8:9], v[0:1] op_sel:[0,0,1] op_sel_hi:[1,0,0]
	s_delay_alu instid0(VALU_DEP_1) | instskip(SKIP_4) | instid1(VALU_DEP_1)
	v_mov_b32_e32 v3, v1
	ds_load_b64 v[0:1], v6 offset:496
	v_pk_add_f32 v[250:251], v[250:251], v[2:3] neg_lo:[0,1] neg_hi:[0,1]
	s_wait_dscnt 0x0
	v_pk_mul_f32 v[2:3], v[0:1], v[10:11] op_sel:[0,1]
	v_pk_fma_f32 v[10:11], v[0:1], v[8:9], v[2:3] op_sel:[0,0,1] op_sel_hi:[1,1,0] neg_lo:[0,0,1] neg_hi:[0,0,1]
	v_pk_fma_f32 v[0:1], v[0:1], v[8:9], v[2:3] op_sel:[0,0,1] op_sel_hi:[1,0,0]
	s_delay_alu instid0(VALU_DEP_1) | instskip(NEXT) | instid1(VALU_DEP_1)
	v_mov_b32_e32 v11, v1
	v_pk_add_f32 v[252:253], v[252:253], v[10:11] neg_lo:[0,1] neg_hi:[0,1]
.LBB125_37:
	s_wait_xcnt 0x0
	s_or_b32 exec_lo, exec_lo, s1
	s_delay_alu instid0(SALU_CYCLE_1)
	s_mov_b32 s2, exec_lo
	s_wait_storecnt 0x0
	s_barrier_signal -1
	s_barrier_wait -1
	v_cmpx_eq_u32_e32 4, v254
	s_cbranch_execz .LBB125_44
; %bb.38:
	ds_store_b64 v255, v[134:135]
	ds_store_2addr_b64 v6, v[130:131], v[132:133] offset0:5 offset1:6
	ds_store_2addr_b64 v6, v[128:129], v[136:137] offset0:7 offset1:8
	;; [unrolled: 1-line block ×29, first 2 shown]
	ds_load_b64 v[8:9], v255
	s_wait_dscnt 0x0
	v_cmp_neq_f32_e32 vcc_lo, 0, v8
	v_cmp_neq_f32_e64 s1, 0, v9
	s_or_b32 s1, vcc_lo, s1
	s_delay_alu instid0(SALU_CYCLE_1)
	s_and_b32 exec_lo, exec_lo, s1
	s_cbranch_execz .LBB125_44
; %bb.39:
	v_cmp_ngt_f32_e64 s1, |v8|, |v9|
                                        ; implicit-def: $vgpr10_vgpr11
	s_and_saveexec_b32 s4, s1
	s_delay_alu instid0(SALU_CYCLE_1)
	s_xor_b32 s1, exec_lo, s4
	s_cbranch_execz .LBB125_41
; %bb.40:
	v_div_scale_f32 v0, null, v9, v9, v8
	v_div_scale_f32 v3, vcc_lo, v8, v9, v8
	s_delay_alu instid0(VALU_DEP_2) | instskip(SKIP_1) | instid1(TRANS32_DEP_1)
	v_rcp_f32_e32 v1, v0
	v_nop
	v_fma_f32 v2, -v0, v1, 1.0
	s_delay_alu instid0(VALU_DEP_1) | instskip(NEXT) | instid1(VALU_DEP_1)
	v_fmac_f32_e32 v1, v2, v1
	v_mul_f32_e32 v2, v3, v1
	s_delay_alu instid0(VALU_DEP_1) | instskip(NEXT) | instid1(VALU_DEP_1)
	v_fma_f32 v4, -v0, v2, v3
	v_fmac_f32_e32 v2, v4, v1
	s_delay_alu instid0(VALU_DEP_1) | instskip(NEXT) | instid1(VALU_DEP_1)
	v_fma_f32 v0, -v0, v2, v3
	v_div_fmas_f32 v0, v0, v1, v2
	s_delay_alu instid0(VALU_DEP_1) | instskip(NEXT) | instid1(VALU_DEP_1)
	v_div_fixup_f32 v0, v0, v9, v8
	v_fmac_f32_e32 v9, v8, v0
	s_delay_alu instid0(VALU_DEP_1) | instskip(SKIP_1) | instid1(VALU_DEP_2)
	v_div_scale_f32 v1, null, v9, v9, 1.0
	v_div_scale_f32 v4, vcc_lo, 1.0, v9, 1.0
	v_rcp_f32_e32 v2, v1
	v_nop
	s_delay_alu instid0(TRANS32_DEP_1) | instskip(NEXT) | instid1(VALU_DEP_1)
	v_fma_f32 v3, -v1, v2, 1.0
	v_fmac_f32_e32 v2, v3, v2
	s_delay_alu instid0(VALU_DEP_1) | instskip(NEXT) | instid1(VALU_DEP_1)
	v_mul_f32_e32 v3, v4, v2
	v_fma_f32 v5, -v1, v3, v4
	s_delay_alu instid0(VALU_DEP_1) | instskip(NEXT) | instid1(VALU_DEP_1)
	v_fmac_f32_e32 v3, v5, v2
	v_fma_f32 v1, -v1, v3, v4
	s_delay_alu instid0(VALU_DEP_1) | instskip(NEXT) | instid1(VALU_DEP_1)
	v_div_fmas_f32 v1, v1, v2, v3
	v_div_fixup_f32 v1, v1, v9, 1.0
                                        ; implicit-def: $vgpr8_vgpr9
	s_delay_alu instid0(VALU_DEP_1)
	v_mul_f32_e32 v10, v0, v1
	v_xor_b32_e32 v11, 0x80000000, v1
.LBB125_41:
	s_and_not1_saveexec_b32 s1, s1
	s_cbranch_execz .LBB125_43
; %bb.42:
	v_div_scale_f32 v0, null, v8, v8, v9
	v_div_scale_f32 v3, vcc_lo, v9, v8, v9
	s_delay_alu instid0(VALU_DEP_2) | instskip(SKIP_1) | instid1(TRANS32_DEP_1)
	v_rcp_f32_e32 v1, v0
	v_nop
	v_fma_f32 v2, -v0, v1, 1.0
	s_delay_alu instid0(VALU_DEP_1) | instskip(NEXT) | instid1(VALU_DEP_1)
	v_fmac_f32_e32 v1, v2, v1
	v_mul_f32_e32 v2, v3, v1
	s_delay_alu instid0(VALU_DEP_1) | instskip(NEXT) | instid1(VALU_DEP_1)
	v_fma_f32 v4, -v0, v2, v3
	v_fmac_f32_e32 v2, v4, v1
	s_delay_alu instid0(VALU_DEP_1) | instskip(NEXT) | instid1(VALU_DEP_1)
	v_fma_f32 v0, -v0, v2, v3
	v_div_fmas_f32 v0, v0, v1, v2
	s_delay_alu instid0(VALU_DEP_1) | instskip(NEXT) | instid1(VALU_DEP_1)
	v_div_fixup_f32 v0, v0, v8, v9
	v_fmac_f32_e32 v8, v9, v0
	s_delay_alu instid0(VALU_DEP_1) | instskip(NEXT) | instid1(VALU_DEP_1)
	v_div_scale_f32 v1, null, v8, v8, 1.0
	v_rcp_f32_e32 v2, v1
	v_nop
	s_delay_alu instid0(TRANS32_DEP_1) | instskip(NEXT) | instid1(VALU_DEP_1)
	v_fma_f32 v3, -v1, v2, 1.0
	v_fmac_f32_e32 v2, v3, v2
	v_div_scale_f32 v3, vcc_lo, 1.0, v8, 1.0
	s_delay_alu instid0(VALU_DEP_1) | instskip(NEXT) | instid1(VALU_DEP_1)
	v_mul_f32_e32 v4, v3, v2
	v_fma_f32 v5, -v1, v4, v3
	s_delay_alu instid0(VALU_DEP_1) | instskip(NEXT) | instid1(VALU_DEP_1)
	v_fmac_f32_e32 v4, v5, v2
	v_fma_f32 v1, -v1, v4, v3
	s_delay_alu instid0(VALU_DEP_1) | instskip(NEXT) | instid1(VALU_DEP_1)
	v_div_fmas_f32 v1, v1, v2, v4
	v_div_fixup_f32 v10, v1, v8, 1.0
	s_delay_alu instid0(VALU_DEP_1)
	v_mul_f32_e64 v11, v0, -v10
.LBB125_43:
	s_or_b32 exec_lo, exec_lo, s1
	ds_store_b64 v255, v[10:11]
.LBB125_44:
	s_or_b32 exec_lo, exec_lo, s2
	s_wait_dscnt 0x0
	s_barrier_signal -1
	s_barrier_wait -1
	ds_load_b64 v[8:9], v255
	s_mov_b32 s1, exec_lo
	v_cmpx_lt_u32_e32 4, v254
	s_cbranch_execz .LBB125_46
; %bb.45:
	ds_load_2addr_b64 v[14:17], v6 offset0:5 offset1:6
	s_wait_dscnt 0x1
	v_pk_mul_f32 v[0:1], v[8:9], v[134:135] op_sel:[1,1] op_sel_hi:[0,1]
	s_delay_alu instid0(VALU_DEP_1) | instskip(SKIP_1) | instid1(VALU_DEP_1)
	v_pk_fma_f32 v[12:13], v[8:9], v[134:135], v[0:1] op_sel_hi:[1,0,1]
	v_pk_fma_f32 v[10:11], v[8:9], v[134:135], v[0:1] op_sel_hi:[1,0,1] neg_lo:[0,0,1] neg_hi:[0,0,1]
	v_dual_mov_b32 v135, v13 :: v_dual_mov_b32 v134, v10
	s_wait_dscnt 0x0
	s_delay_alu instid0(VALU_DEP_3) | instskip(NEXT) | instid1(VALU_DEP_1)
	v_pk_mul_f32 v[0:1], v[14:15], v[12:13] op_sel:[0,1]
	v_pk_fma_f32 v[2:3], v[14:15], v[10:11], v[0:1] op_sel:[0,0,1] op_sel_hi:[1,1,0] neg_lo:[0,0,1] neg_hi:[0,0,1]
	v_pk_fma_f32 v[0:1], v[14:15], v[10:11], v[0:1] op_sel:[0,0,1] op_sel_hi:[1,0,0]
	s_delay_alu instid0(VALU_DEP_1) | instskip(SKIP_1) | instid1(VALU_DEP_2)
	v_mov_b32_e32 v3, v1
	v_pk_mul_f32 v[0:1], v[16:17], v[12:13] op_sel:[0,1]
	v_pk_add_f32 v[130:131], v[130:131], v[2:3] neg_lo:[0,1] neg_hi:[0,1]
	s_delay_alu instid0(VALU_DEP_2) | instskip(SKIP_3) | instid1(VALU_DEP_1)
	v_pk_fma_f32 v[2:3], v[16:17], v[10:11], v[0:1] op_sel:[0,0,1] op_sel_hi:[1,1,0] neg_lo:[0,0,1] neg_hi:[0,0,1]
	v_pk_fma_f32 v[0:1], v[16:17], v[10:11], v[0:1] op_sel:[0,0,1] op_sel_hi:[1,0,0]
	ds_load_2addr_b64 v[14:17], v6 offset0:7 offset1:8
	v_mov_b32_e32 v3, v1
	v_pk_add_f32 v[132:133], v[132:133], v[2:3] neg_lo:[0,1] neg_hi:[0,1]
	s_wait_dscnt 0x0
	v_pk_mul_f32 v[0:1], v[14:15], v[12:13] op_sel:[0,1]
	s_delay_alu instid0(VALU_DEP_1) | instskip(SKIP_2) | instid1(VALU_DEP_2)
	v_pk_fma_f32 v[2:3], v[14:15], v[10:11], v[0:1] op_sel:[0,0,1] op_sel_hi:[1,1,0] neg_lo:[0,0,1] neg_hi:[0,0,1]
	v_pk_fma_f32 v[0:1], v[14:15], v[10:11], v[0:1] op_sel:[0,0,1] op_sel_hi:[1,0,0]
	v_dual_mov_b32 v0, v17 :: v_dual_mul_f32 v14, v17, v10
	v_dual_mov_b32 v3, v1 :: v_dual_mov_b32 v1, v16
	s_delay_alu instid0(VALU_DEP_1) | instskip(SKIP_1) | instid1(VALU_DEP_3)
	v_pk_add_f32 v[128:129], v[128:129], v[2:3] neg_lo:[0,1] neg_hi:[0,1]
	v_mul_f32_e32 v2, v17, v13
	v_pk_fma_f32 v[0:1], v[0:1], v[134:135], v[14:15] op_sel_hi:[1,1,0]
	s_delay_alu instid0(VALU_DEP_2) | instskip(SKIP_2) | instid1(VALU_DEP_1)
	v_pk_fma_f32 v[2:3], v[16:17], v[134:135], v[2:3] op_sel_hi:[1,1,0] neg_lo:[0,0,1] neg_hi:[0,0,1]
	ds_load_2addr_b64 v[14:17], v6 offset0:9 offset1:10
	v_mov_b32_e32 v3, v1
	v_pk_add_f32 v[136:137], v[136:137], v[2:3] neg_lo:[0,1] neg_hi:[0,1]
	s_wait_dscnt 0x0
	v_pk_mul_f32 v[0:1], v[14:15], v[12:13] op_sel:[0,1]
	s_delay_alu instid0(VALU_DEP_1) | instskip(SKIP_1) | instid1(VALU_DEP_1)
	v_pk_fma_f32 v[2:3], v[14:15], v[10:11], v[0:1] op_sel:[0,0,1] op_sel_hi:[1,1,0] neg_lo:[0,0,1] neg_hi:[0,0,1]
	v_pk_fma_f32 v[0:1], v[14:15], v[10:11], v[0:1] op_sel:[0,0,1] op_sel_hi:[1,0,0]
	v_mov_b32_e32 v3, v1
	v_pk_mul_f32 v[0:1], v[16:17], v[12:13] op_sel:[0,1]
	s_delay_alu instid0(VALU_DEP_2) | instskip(NEXT) | instid1(VALU_DEP_2)
	v_pk_add_f32 v[146:147], v[146:147], v[2:3] neg_lo:[0,1] neg_hi:[0,1]
	v_pk_fma_f32 v[2:3], v[16:17], v[10:11], v[0:1] op_sel:[0,0,1] op_sel_hi:[1,1,0] neg_lo:[0,0,1] neg_hi:[0,0,1]
	v_pk_fma_f32 v[0:1], v[16:17], v[10:11], v[0:1] op_sel:[0,0,1] op_sel_hi:[1,0,0]
	ds_load_2addr_b64 v[14:17], v6 offset0:11 offset1:12
	v_mov_b32_e32 v3, v1
	s_delay_alu instid0(VALU_DEP_1) | instskip(SKIP_2) | instid1(VALU_DEP_1)
	v_pk_add_f32 v[148:149], v[148:149], v[2:3] neg_lo:[0,1] neg_hi:[0,1]
	s_wait_dscnt 0x0
	v_pk_mul_f32 v[0:1], v[14:15], v[12:13] op_sel:[0,1]
	v_pk_fma_f32 v[2:3], v[14:15], v[10:11], v[0:1] op_sel:[0,0,1] op_sel_hi:[1,1,0] neg_lo:[0,0,1] neg_hi:[0,0,1]
	v_pk_fma_f32 v[0:1], v[14:15], v[10:11], v[0:1] op_sel:[0,0,1] op_sel_hi:[1,0,0]
	s_delay_alu instid0(VALU_DEP_1) | instskip(SKIP_1) | instid1(VALU_DEP_2)
	v_mov_b32_e32 v3, v1
	v_pk_mul_f32 v[0:1], v[16:17], v[12:13] op_sel:[0,1]
	v_pk_add_f32 v[150:151], v[150:151], v[2:3] neg_lo:[0,1] neg_hi:[0,1]
	s_delay_alu instid0(VALU_DEP_2) | instskip(SKIP_3) | instid1(VALU_DEP_1)
	v_pk_fma_f32 v[2:3], v[16:17], v[10:11], v[0:1] op_sel:[0,0,1] op_sel_hi:[1,1,0] neg_lo:[0,0,1] neg_hi:[0,0,1]
	v_pk_fma_f32 v[0:1], v[16:17], v[10:11], v[0:1] op_sel:[0,0,1] op_sel_hi:[1,0,0]
	ds_load_2addr_b64 v[14:17], v6 offset0:13 offset1:14
	v_mov_b32_e32 v3, v1
	v_pk_add_f32 v[152:153], v[152:153], v[2:3] neg_lo:[0,1] neg_hi:[0,1]
	s_wait_dscnt 0x0
	v_dual_mul_f32 v2, v15, v10 :: v_dual_mul_f32 v0, v15, v13
	s_delay_alu instid0(VALU_DEP_1) | instskip(NEXT) | instid1(VALU_DEP_2)
	v_pk_fma_f32 v[2:3], v[14:15], v[134:135], v[2:3] op_sel:[1,0,0] op_sel_hi:[0,1,0]
	v_pk_fma_f32 v[0:1], v[14:15], v[134:135], v[0:1] op_sel_hi:[1,1,0] neg_lo:[0,0,1] neg_hi:[0,0,1]
	s_delay_alu instid0(VALU_DEP_2) | instskip(NEXT) | instid1(VALU_DEP_1)
	v_mov_b32_e32 v1, v3
	v_pk_add_f32 v[154:155], v[154:155], v[0:1] neg_lo:[0,1] neg_hi:[0,1]
	v_pk_mul_f32 v[0:1], v[16:17], v[12:13] op_sel:[0,1]
	s_delay_alu instid0(VALU_DEP_1) | instskip(SKIP_3) | instid1(VALU_DEP_1)
	v_pk_fma_f32 v[2:3], v[16:17], v[10:11], v[0:1] op_sel:[0,0,1] op_sel_hi:[1,1,0] neg_lo:[0,0,1] neg_hi:[0,0,1]
	v_pk_fma_f32 v[0:1], v[16:17], v[10:11], v[0:1] op_sel:[0,0,1] op_sel_hi:[1,0,0]
	ds_load_2addr_b64 v[14:17], v6 offset0:15 offset1:16
	v_mov_b32_e32 v3, v1
	v_pk_add_f32 v[156:157], v[156:157], v[2:3] neg_lo:[0,1] neg_hi:[0,1]
	s_wait_dscnt 0x0
	v_pk_mul_f32 v[0:1], v[14:15], v[12:13] op_sel:[0,1]
	s_delay_alu instid0(VALU_DEP_1) | instskip(SKIP_1) | instid1(VALU_DEP_1)
	v_pk_fma_f32 v[2:3], v[14:15], v[10:11], v[0:1] op_sel:[0,0,1] op_sel_hi:[1,1,0] neg_lo:[0,0,1] neg_hi:[0,0,1]
	v_pk_fma_f32 v[0:1], v[14:15], v[10:11], v[0:1] op_sel:[0,0,1] op_sel_hi:[1,0,0]
	v_mov_b32_e32 v3, v1
	v_pk_mul_f32 v[0:1], v[16:17], v[12:13] op_sel:[0,1]
	s_delay_alu instid0(VALU_DEP_2) | instskip(NEXT) | instid1(VALU_DEP_2)
	v_pk_add_f32 v[158:159], v[158:159], v[2:3] neg_lo:[0,1] neg_hi:[0,1]
	v_pk_fma_f32 v[2:3], v[16:17], v[10:11], v[0:1] op_sel:[0,0,1] op_sel_hi:[1,1,0] neg_lo:[0,0,1] neg_hi:[0,0,1]
	v_pk_fma_f32 v[0:1], v[16:17], v[10:11], v[0:1] op_sel:[0,0,1] op_sel_hi:[1,0,0]
	ds_load_2addr_b64 v[14:17], v6 offset0:17 offset1:18
	v_mov_b32_e32 v3, v1
	s_delay_alu instid0(VALU_DEP_1) | instskip(SKIP_2) | instid1(VALU_DEP_1)
	v_pk_add_f32 v[160:161], v[160:161], v[2:3] neg_lo:[0,1] neg_hi:[0,1]
	s_wait_dscnt 0x0
	v_pk_mul_f32 v[0:1], v[14:15], v[12:13] op_sel:[0,1]
	v_pk_fma_f32 v[2:3], v[14:15], v[10:11], v[0:1] op_sel:[0,0,1] op_sel_hi:[1,1,0] neg_lo:[0,0,1] neg_hi:[0,0,1]
	v_pk_fma_f32 v[0:1], v[14:15], v[10:11], v[0:1] op_sel:[0,0,1] op_sel_hi:[1,0,0]
	v_dual_mov_b32 v0, v17 :: v_dual_mul_f32 v14, v17, v10
	s_delay_alu instid0(VALU_DEP_2) | instskip(NEXT) | instid1(VALU_DEP_1)
	v_dual_mov_b32 v3, v1 :: v_dual_mov_b32 v1, v16
	v_pk_add_f32 v[162:163], v[162:163], v[2:3] neg_lo:[0,1] neg_hi:[0,1]
	v_mul_f32_e32 v2, v17, v13
	s_delay_alu instid0(VALU_DEP_3) | instskip(NEXT) | instid1(VALU_DEP_2)
	v_pk_fma_f32 v[0:1], v[0:1], v[134:135], v[14:15] op_sel_hi:[1,1,0]
	v_pk_fma_f32 v[2:3], v[16:17], v[134:135], v[2:3] op_sel_hi:[1,1,0] neg_lo:[0,0,1] neg_hi:[0,0,1]
	ds_load_2addr_b64 v[14:17], v6 offset0:19 offset1:20
	v_mov_b32_e32 v3, v1
	s_delay_alu instid0(VALU_DEP_1) | instskip(SKIP_2) | instid1(VALU_DEP_1)
	v_pk_add_f32 v[164:165], v[164:165], v[2:3] neg_lo:[0,1] neg_hi:[0,1]
	s_wait_dscnt 0x0
	v_pk_mul_f32 v[0:1], v[14:15], v[12:13] op_sel:[0,1]
	v_pk_fma_f32 v[2:3], v[14:15], v[10:11], v[0:1] op_sel:[0,0,1] op_sel_hi:[1,1,0] neg_lo:[0,0,1] neg_hi:[0,0,1]
	v_pk_fma_f32 v[0:1], v[14:15], v[10:11], v[0:1] op_sel:[0,0,1] op_sel_hi:[1,0,0]
	s_delay_alu instid0(VALU_DEP_1) | instskip(SKIP_1) | instid1(VALU_DEP_2)
	v_mov_b32_e32 v3, v1
	v_pk_mul_f32 v[0:1], v[16:17], v[12:13] op_sel:[0,1]
	v_pk_add_f32 v[166:167], v[166:167], v[2:3] neg_lo:[0,1] neg_hi:[0,1]
	s_delay_alu instid0(VALU_DEP_2) | instskip(SKIP_3) | instid1(VALU_DEP_1)
	v_pk_fma_f32 v[2:3], v[16:17], v[10:11], v[0:1] op_sel:[0,0,1] op_sel_hi:[1,1,0] neg_lo:[0,0,1] neg_hi:[0,0,1]
	v_pk_fma_f32 v[0:1], v[16:17], v[10:11], v[0:1] op_sel:[0,0,1] op_sel_hi:[1,0,0]
	ds_load_2addr_b64 v[14:17], v6 offset0:21 offset1:22
	v_mov_b32_e32 v3, v1
	v_pk_add_f32 v[168:169], v[168:169], v[2:3] neg_lo:[0,1] neg_hi:[0,1]
	s_wait_dscnt 0x0
	v_pk_mul_f32 v[0:1], v[14:15], v[12:13] op_sel:[0,1]
	s_delay_alu instid0(VALU_DEP_1) | instskip(SKIP_1) | instid1(VALU_DEP_1)
	v_pk_fma_f32 v[2:3], v[14:15], v[10:11], v[0:1] op_sel:[0,0,1] op_sel_hi:[1,1,0] neg_lo:[0,0,1] neg_hi:[0,0,1]
	v_pk_fma_f32 v[0:1], v[14:15], v[10:11], v[0:1] op_sel:[0,0,1] op_sel_hi:[1,0,0]
	v_mov_b32_e32 v3, v1
	v_pk_mul_f32 v[0:1], v[16:17], v[12:13] op_sel:[0,1]
	s_delay_alu instid0(VALU_DEP_2) | instskip(NEXT) | instid1(VALU_DEP_2)
	v_pk_add_f32 v[170:171], v[170:171], v[2:3] neg_lo:[0,1] neg_hi:[0,1]
	v_pk_fma_f32 v[2:3], v[16:17], v[10:11], v[0:1] op_sel:[0,0,1] op_sel_hi:[1,1,0] neg_lo:[0,0,1] neg_hi:[0,0,1]
	v_pk_fma_f32 v[0:1], v[16:17], v[10:11], v[0:1] op_sel:[0,0,1] op_sel_hi:[1,0,0]
	ds_load_2addr_b64 v[14:17], v6 offset0:23 offset1:24
	v_mov_b32_e32 v3, v1
	s_delay_alu instid0(VALU_DEP_1) | instskip(SKIP_2) | instid1(VALU_DEP_1)
	v_pk_add_f32 v[172:173], v[172:173], v[2:3] neg_lo:[0,1] neg_hi:[0,1]
	s_wait_dscnt 0x0
	v_dual_mul_f32 v2, v15, v10 :: v_dual_mul_f32 v0, v15, v13
	v_pk_fma_f32 v[2:3], v[14:15], v[134:135], v[2:3] op_sel:[1,0,0] op_sel_hi:[0,1,0]
	s_delay_alu instid0(VALU_DEP_2) | instskip(NEXT) | instid1(VALU_DEP_2)
	v_pk_fma_f32 v[0:1], v[14:15], v[134:135], v[0:1] op_sel_hi:[1,1,0] neg_lo:[0,0,1] neg_hi:[0,0,1]
	v_mov_b32_e32 v1, v3
	s_delay_alu instid0(VALU_DEP_1) | instskip(SKIP_1) | instid1(VALU_DEP_1)
	v_pk_add_f32 v[174:175], v[174:175], v[0:1] neg_lo:[0,1] neg_hi:[0,1]
	v_pk_mul_f32 v[0:1], v[16:17], v[12:13] op_sel:[0,1]
	v_pk_fma_f32 v[2:3], v[16:17], v[10:11], v[0:1] op_sel:[0,0,1] op_sel_hi:[1,1,0] neg_lo:[0,0,1] neg_hi:[0,0,1]
	v_pk_fma_f32 v[0:1], v[16:17], v[10:11], v[0:1] op_sel:[0,0,1] op_sel_hi:[1,0,0]
	ds_load_2addr_b64 v[14:17], v6 offset0:25 offset1:26
	v_mov_b32_e32 v3, v1
	s_delay_alu instid0(VALU_DEP_1) | instskip(SKIP_2) | instid1(VALU_DEP_1)
	v_pk_add_f32 v[176:177], v[176:177], v[2:3] neg_lo:[0,1] neg_hi:[0,1]
	s_wait_dscnt 0x0
	v_pk_mul_f32 v[0:1], v[14:15], v[12:13] op_sel:[0,1]
	v_pk_fma_f32 v[2:3], v[14:15], v[10:11], v[0:1] op_sel:[0,0,1] op_sel_hi:[1,1,0] neg_lo:[0,0,1] neg_hi:[0,0,1]
	v_pk_fma_f32 v[0:1], v[14:15], v[10:11], v[0:1] op_sel:[0,0,1] op_sel_hi:[1,0,0]
	s_delay_alu instid0(VALU_DEP_1) | instskip(SKIP_1) | instid1(VALU_DEP_2)
	v_mov_b32_e32 v3, v1
	v_pk_mul_f32 v[0:1], v[16:17], v[12:13] op_sel:[0,1]
	v_pk_add_f32 v[178:179], v[178:179], v[2:3] neg_lo:[0,1] neg_hi:[0,1]
	s_delay_alu instid0(VALU_DEP_2) | instskip(SKIP_3) | instid1(VALU_DEP_1)
	v_pk_fma_f32 v[2:3], v[16:17], v[10:11], v[0:1] op_sel:[0,0,1] op_sel_hi:[1,1,0] neg_lo:[0,0,1] neg_hi:[0,0,1]
	v_pk_fma_f32 v[0:1], v[16:17], v[10:11], v[0:1] op_sel:[0,0,1] op_sel_hi:[1,0,0]
	ds_load_2addr_b64 v[14:17], v6 offset0:27 offset1:28
	v_mov_b32_e32 v3, v1
	v_pk_add_f32 v[180:181], v[180:181], v[2:3] neg_lo:[0,1] neg_hi:[0,1]
	s_wait_dscnt 0x0
	v_pk_mul_f32 v[0:1], v[14:15], v[12:13] op_sel:[0,1]
	s_delay_alu instid0(VALU_DEP_1) | instskip(SKIP_2) | instid1(VALU_DEP_2)
	v_pk_fma_f32 v[2:3], v[14:15], v[10:11], v[0:1] op_sel:[0,0,1] op_sel_hi:[1,1,0] neg_lo:[0,0,1] neg_hi:[0,0,1]
	v_pk_fma_f32 v[0:1], v[14:15], v[10:11], v[0:1] op_sel:[0,0,1] op_sel_hi:[1,0,0]
	v_dual_mov_b32 v0, v17 :: v_dual_mul_f32 v14, v17, v10
	v_dual_mov_b32 v3, v1 :: v_dual_mov_b32 v1, v16
	s_delay_alu instid0(VALU_DEP_1) | instskip(SKIP_1) | instid1(VALU_DEP_3)
	v_pk_add_f32 v[182:183], v[182:183], v[2:3] neg_lo:[0,1] neg_hi:[0,1]
	v_mul_f32_e32 v2, v17, v13
	v_pk_fma_f32 v[0:1], v[0:1], v[134:135], v[14:15] op_sel_hi:[1,1,0]
	s_delay_alu instid0(VALU_DEP_2) | instskip(SKIP_2) | instid1(VALU_DEP_1)
	v_pk_fma_f32 v[2:3], v[16:17], v[134:135], v[2:3] op_sel_hi:[1,1,0] neg_lo:[0,0,1] neg_hi:[0,0,1]
	ds_load_2addr_b64 v[14:17], v6 offset0:29 offset1:30
	v_mov_b32_e32 v3, v1
	v_pk_add_f32 v[184:185], v[184:185], v[2:3] neg_lo:[0,1] neg_hi:[0,1]
	s_wait_dscnt 0x0
	v_pk_mul_f32 v[0:1], v[14:15], v[12:13] op_sel:[0,1]
	s_delay_alu instid0(VALU_DEP_1) | instskip(SKIP_1) | instid1(VALU_DEP_1)
	v_pk_fma_f32 v[2:3], v[14:15], v[10:11], v[0:1] op_sel:[0,0,1] op_sel_hi:[1,1,0] neg_lo:[0,0,1] neg_hi:[0,0,1]
	v_pk_fma_f32 v[0:1], v[14:15], v[10:11], v[0:1] op_sel:[0,0,1] op_sel_hi:[1,0,0]
	v_mov_b32_e32 v3, v1
	v_pk_mul_f32 v[0:1], v[16:17], v[12:13] op_sel:[0,1]
	s_delay_alu instid0(VALU_DEP_2) | instskip(NEXT) | instid1(VALU_DEP_2)
	v_pk_add_f32 v[186:187], v[186:187], v[2:3] neg_lo:[0,1] neg_hi:[0,1]
	v_pk_fma_f32 v[2:3], v[16:17], v[10:11], v[0:1] op_sel:[0,0,1] op_sel_hi:[1,1,0] neg_lo:[0,0,1] neg_hi:[0,0,1]
	v_pk_fma_f32 v[0:1], v[16:17], v[10:11], v[0:1] op_sel:[0,0,1] op_sel_hi:[1,0,0]
	ds_load_2addr_b64 v[14:17], v6 offset0:31 offset1:32
	v_mov_b32_e32 v3, v1
	s_delay_alu instid0(VALU_DEP_1) | instskip(SKIP_2) | instid1(VALU_DEP_1)
	v_pk_add_f32 v[188:189], v[188:189], v[2:3] neg_lo:[0,1] neg_hi:[0,1]
	s_wait_dscnt 0x0
	v_pk_mul_f32 v[0:1], v[14:15], v[12:13] op_sel:[0,1]
	v_pk_fma_f32 v[2:3], v[14:15], v[10:11], v[0:1] op_sel:[0,0,1] op_sel_hi:[1,1,0] neg_lo:[0,0,1] neg_hi:[0,0,1]
	v_pk_fma_f32 v[0:1], v[14:15], v[10:11], v[0:1] op_sel:[0,0,1] op_sel_hi:[1,0,0]
	s_delay_alu instid0(VALU_DEP_1) | instskip(SKIP_1) | instid1(VALU_DEP_2)
	v_mov_b32_e32 v3, v1
	v_pk_mul_f32 v[0:1], v[16:17], v[12:13] op_sel:[0,1]
	v_pk_add_f32 v[190:191], v[190:191], v[2:3] neg_lo:[0,1] neg_hi:[0,1]
	s_delay_alu instid0(VALU_DEP_2) | instskip(SKIP_3) | instid1(VALU_DEP_1)
	v_pk_fma_f32 v[2:3], v[16:17], v[10:11], v[0:1] op_sel:[0,0,1] op_sel_hi:[1,1,0] neg_lo:[0,0,1] neg_hi:[0,0,1]
	v_pk_fma_f32 v[0:1], v[16:17], v[10:11], v[0:1] op_sel:[0,0,1] op_sel_hi:[1,0,0]
	ds_load_2addr_b64 v[14:17], v6 offset0:33 offset1:34
	v_mov_b32_e32 v3, v1
	v_pk_add_f32 v[192:193], v[192:193], v[2:3] neg_lo:[0,1] neg_hi:[0,1]
	s_wait_dscnt 0x0
	v_dual_mul_f32 v2, v15, v10 :: v_dual_mul_f32 v0, v15, v13
	s_delay_alu instid0(VALU_DEP_1) | instskip(NEXT) | instid1(VALU_DEP_2)
	v_pk_fma_f32 v[2:3], v[14:15], v[134:135], v[2:3] op_sel:[1,0,0] op_sel_hi:[0,1,0]
	v_pk_fma_f32 v[0:1], v[14:15], v[134:135], v[0:1] op_sel_hi:[1,1,0] neg_lo:[0,0,1] neg_hi:[0,0,1]
	s_delay_alu instid0(VALU_DEP_2) | instskip(NEXT) | instid1(VALU_DEP_1)
	v_mov_b32_e32 v1, v3
	v_pk_add_f32 v[194:195], v[194:195], v[0:1] neg_lo:[0,1] neg_hi:[0,1]
	v_pk_mul_f32 v[0:1], v[16:17], v[12:13] op_sel:[0,1]
	s_delay_alu instid0(VALU_DEP_1) | instskip(SKIP_3) | instid1(VALU_DEP_1)
	v_pk_fma_f32 v[2:3], v[16:17], v[10:11], v[0:1] op_sel:[0,0,1] op_sel_hi:[1,1,0] neg_lo:[0,0,1] neg_hi:[0,0,1]
	v_pk_fma_f32 v[0:1], v[16:17], v[10:11], v[0:1] op_sel:[0,0,1] op_sel_hi:[1,0,0]
	ds_load_2addr_b64 v[14:17], v6 offset0:35 offset1:36
	v_mov_b32_e32 v3, v1
	v_pk_add_f32 v[196:197], v[196:197], v[2:3] neg_lo:[0,1] neg_hi:[0,1]
	s_wait_dscnt 0x0
	v_pk_mul_f32 v[0:1], v[14:15], v[12:13] op_sel:[0,1]
	s_delay_alu instid0(VALU_DEP_1) | instskip(SKIP_1) | instid1(VALU_DEP_1)
	v_pk_fma_f32 v[2:3], v[14:15], v[10:11], v[0:1] op_sel:[0,0,1] op_sel_hi:[1,1,0] neg_lo:[0,0,1] neg_hi:[0,0,1]
	v_pk_fma_f32 v[0:1], v[14:15], v[10:11], v[0:1] op_sel:[0,0,1] op_sel_hi:[1,0,0]
	v_mov_b32_e32 v3, v1
	v_pk_mul_f32 v[0:1], v[16:17], v[12:13] op_sel:[0,1]
	s_delay_alu instid0(VALU_DEP_2) | instskip(NEXT) | instid1(VALU_DEP_2)
	v_pk_add_f32 v[198:199], v[198:199], v[2:3] neg_lo:[0,1] neg_hi:[0,1]
	v_pk_fma_f32 v[2:3], v[16:17], v[10:11], v[0:1] op_sel:[0,0,1] op_sel_hi:[1,1,0] neg_lo:[0,0,1] neg_hi:[0,0,1]
	v_pk_fma_f32 v[0:1], v[16:17], v[10:11], v[0:1] op_sel:[0,0,1] op_sel_hi:[1,0,0]
	ds_load_2addr_b64 v[14:17], v6 offset0:37 offset1:38
	v_mov_b32_e32 v3, v1
	s_delay_alu instid0(VALU_DEP_1) | instskip(SKIP_2) | instid1(VALU_DEP_1)
	v_pk_add_f32 v[200:201], v[200:201], v[2:3] neg_lo:[0,1] neg_hi:[0,1]
	s_wait_dscnt 0x0
	v_pk_mul_f32 v[0:1], v[14:15], v[12:13] op_sel:[0,1]
	v_pk_fma_f32 v[2:3], v[14:15], v[10:11], v[0:1] op_sel:[0,0,1] op_sel_hi:[1,1,0] neg_lo:[0,0,1] neg_hi:[0,0,1]
	v_pk_fma_f32 v[0:1], v[14:15], v[10:11], v[0:1] op_sel:[0,0,1] op_sel_hi:[1,0,0]
	v_dual_mov_b32 v0, v17 :: v_dual_mul_f32 v14, v17, v10
	s_delay_alu instid0(VALU_DEP_2) | instskip(NEXT) | instid1(VALU_DEP_1)
	v_dual_mov_b32 v3, v1 :: v_dual_mov_b32 v1, v16
	v_pk_add_f32 v[202:203], v[202:203], v[2:3] neg_lo:[0,1] neg_hi:[0,1]
	v_mul_f32_e32 v2, v17, v13
	s_delay_alu instid0(VALU_DEP_3) | instskip(NEXT) | instid1(VALU_DEP_2)
	v_pk_fma_f32 v[0:1], v[0:1], v[134:135], v[14:15] op_sel_hi:[1,1,0]
	v_pk_fma_f32 v[2:3], v[16:17], v[134:135], v[2:3] op_sel_hi:[1,1,0] neg_lo:[0,0,1] neg_hi:[0,0,1]
	ds_load_2addr_b64 v[14:17], v6 offset0:39 offset1:40
	v_mov_b32_e32 v3, v1
	s_delay_alu instid0(VALU_DEP_1) | instskip(SKIP_2) | instid1(VALU_DEP_1)
	v_pk_add_f32 v[204:205], v[204:205], v[2:3] neg_lo:[0,1] neg_hi:[0,1]
	s_wait_dscnt 0x0
	v_pk_mul_f32 v[0:1], v[14:15], v[12:13] op_sel:[0,1]
	v_pk_fma_f32 v[2:3], v[14:15], v[10:11], v[0:1] op_sel:[0,0,1] op_sel_hi:[1,1,0] neg_lo:[0,0,1] neg_hi:[0,0,1]
	v_pk_fma_f32 v[0:1], v[14:15], v[10:11], v[0:1] op_sel:[0,0,1] op_sel_hi:[1,0,0]
	s_delay_alu instid0(VALU_DEP_1) | instskip(SKIP_1) | instid1(VALU_DEP_2)
	v_mov_b32_e32 v3, v1
	v_pk_mul_f32 v[0:1], v[16:17], v[12:13] op_sel:[0,1]
	v_pk_add_f32 v[206:207], v[206:207], v[2:3] neg_lo:[0,1] neg_hi:[0,1]
	s_delay_alu instid0(VALU_DEP_2) | instskip(SKIP_3) | instid1(VALU_DEP_1)
	v_pk_fma_f32 v[2:3], v[16:17], v[10:11], v[0:1] op_sel:[0,0,1] op_sel_hi:[1,1,0] neg_lo:[0,0,1] neg_hi:[0,0,1]
	v_pk_fma_f32 v[0:1], v[16:17], v[10:11], v[0:1] op_sel:[0,0,1] op_sel_hi:[1,0,0]
	ds_load_2addr_b64 v[14:17], v6 offset0:41 offset1:42
	v_mov_b32_e32 v3, v1
	v_pk_add_f32 v[208:209], v[208:209], v[2:3] neg_lo:[0,1] neg_hi:[0,1]
	s_wait_dscnt 0x0
	v_pk_mul_f32 v[0:1], v[14:15], v[12:13] op_sel:[0,1]
	s_delay_alu instid0(VALU_DEP_1) | instskip(SKIP_1) | instid1(VALU_DEP_1)
	v_pk_fma_f32 v[2:3], v[14:15], v[10:11], v[0:1] op_sel:[0,0,1] op_sel_hi:[1,1,0] neg_lo:[0,0,1] neg_hi:[0,0,1]
	v_pk_fma_f32 v[0:1], v[14:15], v[10:11], v[0:1] op_sel:[0,0,1] op_sel_hi:[1,0,0]
	v_mov_b32_e32 v3, v1
	v_pk_mul_f32 v[0:1], v[16:17], v[12:13] op_sel:[0,1]
	s_delay_alu instid0(VALU_DEP_2) | instskip(NEXT) | instid1(VALU_DEP_2)
	v_pk_add_f32 v[210:211], v[210:211], v[2:3] neg_lo:[0,1] neg_hi:[0,1]
	v_pk_fma_f32 v[2:3], v[16:17], v[10:11], v[0:1] op_sel:[0,0,1] op_sel_hi:[1,1,0] neg_lo:[0,0,1] neg_hi:[0,0,1]
	v_pk_fma_f32 v[0:1], v[16:17], v[10:11], v[0:1] op_sel:[0,0,1] op_sel_hi:[1,0,0]
	ds_load_2addr_b64 v[14:17], v6 offset0:43 offset1:44
	v_mov_b32_e32 v3, v1
	s_delay_alu instid0(VALU_DEP_1) | instskip(SKIP_2) | instid1(VALU_DEP_1)
	v_pk_add_f32 v[212:213], v[212:213], v[2:3] neg_lo:[0,1] neg_hi:[0,1]
	s_wait_dscnt 0x0
	v_dual_mul_f32 v2, v15, v10 :: v_dual_mul_f32 v0, v15, v13
	v_pk_fma_f32 v[2:3], v[14:15], v[134:135], v[2:3] op_sel:[1,0,0] op_sel_hi:[0,1,0]
	s_delay_alu instid0(VALU_DEP_2) | instskip(NEXT) | instid1(VALU_DEP_2)
	v_pk_fma_f32 v[0:1], v[14:15], v[134:135], v[0:1] op_sel_hi:[1,1,0] neg_lo:[0,0,1] neg_hi:[0,0,1]
	v_mov_b32_e32 v1, v3
	s_delay_alu instid0(VALU_DEP_1) | instskip(SKIP_1) | instid1(VALU_DEP_1)
	v_pk_add_f32 v[214:215], v[214:215], v[0:1] neg_lo:[0,1] neg_hi:[0,1]
	v_pk_mul_f32 v[0:1], v[16:17], v[12:13] op_sel:[0,1]
	v_pk_fma_f32 v[2:3], v[16:17], v[10:11], v[0:1] op_sel:[0,0,1] op_sel_hi:[1,1,0] neg_lo:[0,0,1] neg_hi:[0,0,1]
	v_pk_fma_f32 v[0:1], v[16:17], v[10:11], v[0:1] op_sel:[0,0,1] op_sel_hi:[1,0,0]
	ds_load_2addr_b64 v[14:17], v6 offset0:45 offset1:46
	v_mov_b32_e32 v3, v1
	s_delay_alu instid0(VALU_DEP_1) | instskip(SKIP_2) | instid1(VALU_DEP_1)
	v_pk_add_f32 v[216:217], v[216:217], v[2:3] neg_lo:[0,1] neg_hi:[0,1]
	s_wait_dscnt 0x0
	v_pk_mul_f32 v[0:1], v[14:15], v[12:13] op_sel:[0,1]
	v_pk_fma_f32 v[2:3], v[14:15], v[10:11], v[0:1] op_sel:[0,0,1] op_sel_hi:[1,1,0] neg_lo:[0,0,1] neg_hi:[0,0,1]
	v_pk_fma_f32 v[0:1], v[14:15], v[10:11], v[0:1] op_sel:[0,0,1] op_sel_hi:[1,0,0]
	s_delay_alu instid0(VALU_DEP_1) | instskip(SKIP_1) | instid1(VALU_DEP_2)
	v_mov_b32_e32 v3, v1
	v_pk_mul_f32 v[0:1], v[16:17], v[12:13] op_sel:[0,1]
	v_pk_add_f32 v[218:219], v[218:219], v[2:3] neg_lo:[0,1] neg_hi:[0,1]
	s_delay_alu instid0(VALU_DEP_2) | instskip(SKIP_3) | instid1(VALU_DEP_1)
	v_pk_fma_f32 v[2:3], v[16:17], v[10:11], v[0:1] op_sel:[0,0,1] op_sel_hi:[1,1,0] neg_lo:[0,0,1] neg_hi:[0,0,1]
	v_pk_fma_f32 v[0:1], v[16:17], v[10:11], v[0:1] op_sel:[0,0,1] op_sel_hi:[1,0,0]
	ds_load_2addr_b64 v[14:17], v6 offset0:47 offset1:48
	v_mov_b32_e32 v3, v1
	v_pk_add_f32 v[220:221], v[220:221], v[2:3] neg_lo:[0,1] neg_hi:[0,1]
	s_wait_dscnt 0x0
	v_pk_mul_f32 v[0:1], v[14:15], v[12:13] op_sel:[0,1]
	s_delay_alu instid0(VALU_DEP_1) | instskip(SKIP_2) | instid1(VALU_DEP_2)
	v_pk_fma_f32 v[2:3], v[14:15], v[10:11], v[0:1] op_sel:[0,0,1] op_sel_hi:[1,1,0] neg_lo:[0,0,1] neg_hi:[0,0,1]
	v_pk_fma_f32 v[0:1], v[14:15], v[10:11], v[0:1] op_sel:[0,0,1] op_sel_hi:[1,0,0]
	v_dual_mov_b32 v0, v17 :: v_dual_mul_f32 v14, v17, v10
	v_dual_mov_b32 v3, v1 :: v_dual_mov_b32 v1, v16
	s_delay_alu instid0(VALU_DEP_1) | instskip(SKIP_1) | instid1(VALU_DEP_3)
	v_pk_add_f32 v[222:223], v[222:223], v[2:3] neg_lo:[0,1] neg_hi:[0,1]
	v_mul_f32_e32 v2, v17, v13
	v_pk_fma_f32 v[0:1], v[0:1], v[134:135], v[14:15] op_sel_hi:[1,1,0]
	s_delay_alu instid0(VALU_DEP_2) | instskip(SKIP_2) | instid1(VALU_DEP_1)
	v_pk_fma_f32 v[2:3], v[16:17], v[134:135], v[2:3] op_sel_hi:[1,1,0] neg_lo:[0,0,1] neg_hi:[0,0,1]
	ds_load_2addr_b64 v[14:17], v6 offset0:49 offset1:50
	v_mov_b32_e32 v3, v1
	v_pk_add_f32 v[224:225], v[224:225], v[2:3] neg_lo:[0,1] neg_hi:[0,1]
	s_wait_dscnt 0x0
	v_pk_mul_f32 v[0:1], v[14:15], v[12:13] op_sel:[0,1]
	s_delay_alu instid0(VALU_DEP_1) | instskip(SKIP_1) | instid1(VALU_DEP_1)
	v_pk_fma_f32 v[2:3], v[14:15], v[10:11], v[0:1] op_sel:[0,0,1] op_sel_hi:[1,1,0] neg_lo:[0,0,1] neg_hi:[0,0,1]
	v_pk_fma_f32 v[0:1], v[14:15], v[10:11], v[0:1] op_sel:[0,0,1] op_sel_hi:[1,0,0]
	v_mov_b32_e32 v3, v1
	v_pk_mul_f32 v[0:1], v[16:17], v[12:13] op_sel:[0,1]
	s_delay_alu instid0(VALU_DEP_2) | instskip(NEXT) | instid1(VALU_DEP_2)
	v_pk_add_f32 v[226:227], v[226:227], v[2:3] neg_lo:[0,1] neg_hi:[0,1]
	v_pk_fma_f32 v[2:3], v[16:17], v[10:11], v[0:1] op_sel:[0,0,1] op_sel_hi:[1,1,0] neg_lo:[0,0,1] neg_hi:[0,0,1]
	v_pk_fma_f32 v[0:1], v[16:17], v[10:11], v[0:1] op_sel:[0,0,1] op_sel_hi:[1,0,0]
	ds_load_2addr_b64 v[14:17], v6 offset0:51 offset1:52
	v_mov_b32_e32 v3, v1
	s_delay_alu instid0(VALU_DEP_1) | instskip(SKIP_2) | instid1(VALU_DEP_1)
	v_pk_add_f32 v[228:229], v[228:229], v[2:3] neg_lo:[0,1] neg_hi:[0,1]
	s_wait_dscnt 0x0
	v_pk_mul_f32 v[0:1], v[14:15], v[12:13] op_sel:[0,1]
	v_pk_fma_f32 v[2:3], v[14:15], v[10:11], v[0:1] op_sel:[0,0,1] op_sel_hi:[1,1,0] neg_lo:[0,0,1] neg_hi:[0,0,1]
	v_pk_fma_f32 v[0:1], v[14:15], v[10:11], v[0:1] op_sel:[0,0,1] op_sel_hi:[1,0,0]
	s_delay_alu instid0(VALU_DEP_1) | instskip(SKIP_1) | instid1(VALU_DEP_2)
	v_mov_b32_e32 v3, v1
	v_pk_mul_f32 v[0:1], v[16:17], v[12:13] op_sel:[0,1]
	v_pk_add_f32 v[230:231], v[230:231], v[2:3] neg_lo:[0,1] neg_hi:[0,1]
	s_delay_alu instid0(VALU_DEP_2) | instskip(SKIP_3) | instid1(VALU_DEP_1)
	v_pk_fma_f32 v[2:3], v[16:17], v[10:11], v[0:1] op_sel:[0,0,1] op_sel_hi:[1,1,0] neg_lo:[0,0,1] neg_hi:[0,0,1]
	v_pk_fma_f32 v[0:1], v[16:17], v[10:11], v[0:1] op_sel:[0,0,1] op_sel_hi:[1,0,0]
	ds_load_2addr_b64 v[14:17], v6 offset0:53 offset1:54
	v_mov_b32_e32 v3, v1
	v_pk_add_f32 v[232:233], v[232:233], v[2:3] neg_lo:[0,1] neg_hi:[0,1]
	s_wait_dscnt 0x0
	v_dual_mul_f32 v2, v15, v10 :: v_dual_mul_f32 v0, v15, v13
	s_delay_alu instid0(VALU_DEP_1) | instskip(NEXT) | instid1(VALU_DEP_2)
	v_pk_fma_f32 v[2:3], v[14:15], v[134:135], v[2:3] op_sel:[1,0,0] op_sel_hi:[0,1,0]
	v_pk_fma_f32 v[0:1], v[14:15], v[134:135], v[0:1] op_sel_hi:[1,1,0] neg_lo:[0,0,1] neg_hi:[0,0,1]
	s_delay_alu instid0(VALU_DEP_2) | instskip(NEXT) | instid1(VALU_DEP_1)
	v_mov_b32_e32 v1, v3
	v_pk_add_f32 v[234:235], v[234:235], v[0:1] neg_lo:[0,1] neg_hi:[0,1]
	v_pk_mul_f32 v[0:1], v[16:17], v[12:13] op_sel:[0,1]
	s_delay_alu instid0(VALU_DEP_1) | instskip(SKIP_3) | instid1(VALU_DEP_1)
	v_pk_fma_f32 v[2:3], v[16:17], v[10:11], v[0:1] op_sel:[0,0,1] op_sel_hi:[1,1,0] neg_lo:[0,0,1] neg_hi:[0,0,1]
	v_pk_fma_f32 v[0:1], v[16:17], v[10:11], v[0:1] op_sel:[0,0,1] op_sel_hi:[1,0,0]
	ds_load_2addr_b64 v[14:17], v6 offset0:55 offset1:56
	v_mov_b32_e32 v3, v1
	v_pk_add_f32 v[236:237], v[236:237], v[2:3] neg_lo:[0,1] neg_hi:[0,1]
	s_wait_dscnt 0x0
	v_pk_mul_f32 v[0:1], v[14:15], v[12:13] op_sel:[0,1]
	s_delay_alu instid0(VALU_DEP_1) | instskip(SKIP_1) | instid1(VALU_DEP_1)
	v_pk_fma_f32 v[2:3], v[14:15], v[10:11], v[0:1] op_sel:[0,0,1] op_sel_hi:[1,1,0] neg_lo:[0,0,1] neg_hi:[0,0,1]
	v_pk_fma_f32 v[0:1], v[14:15], v[10:11], v[0:1] op_sel:[0,0,1] op_sel_hi:[1,0,0]
	v_mov_b32_e32 v3, v1
	v_pk_mul_f32 v[0:1], v[16:17], v[12:13] op_sel:[0,1]
	s_delay_alu instid0(VALU_DEP_2) | instskip(NEXT) | instid1(VALU_DEP_2)
	v_pk_add_f32 v[238:239], v[238:239], v[2:3] neg_lo:[0,1] neg_hi:[0,1]
	v_pk_fma_f32 v[2:3], v[16:17], v[10:11], v[0:1] op_sel:[0,0,1] op_sel_hi:[1,1,0] neg_lo:[0,0,1] neg_hi:[0,0,1]
	v_pk_fma_f32 v[0:1], v[16:17], v[10:11], v[0:1] op_sel:[0,0,1] op_sel_hi:[1,0,0]
	ds_load_2addr_b64 v[14:17], v6 offset0:57 offset1:58
	v_mov_b32_e32 v3, v1
	s_delay_alu instid0(VALU_DEP_1) | instskip(SKIP_2) | instid1(VALU_DEP_1)
	v_pk_add_f32 v[248:249], v[248:249], v[2:3] neg_lo:[0,1] neg_hi:[0,1]
	s_wait_dscnt 0x0
	v_pk_mul_f32 v[0:1], v[14:15], v[12:13] op_sel:[0,1]
	v_pk_fma_f32 v[2:3], v[14:15], v[10:11], v[0:1] op_sel:[0,0,1] op_sel_hi:[1,1,0] neg_lo:[0,0,1] neg_hi:[0,0,1]
	v_pk_fma_f32 v[0:1], v[14:15], v[10:11], v[0:1] op_sel:[0,0,1] op_sel_hi:[1,0,0]
	v_dual_mov_b32 v0, v17 :: v_dual_mul_f32 v14, v17, v10
	s_delay_alu instid0(VALU_DEP_2) | instskip(NEXT) | instid1(VALU_DEP_1)
	v_dual_mov_b32 v3, v1 :: v_dual_mov_b32 v1, v16
	v_pk_add_f32 v[242:243], v[242:243], v[2:3] neg_lo:[0,1] neg_hi:[0,1]
	v_mul_f32_e32 v2, v17, v13
	s_delay_alu instid0(VALU_DEP_3) | instskip(NEXT) | instid1(VALU_DEP_2)
	v_pk_fma_f32 v[0:1], v[0:1], v[134:135], v[14:15] op_sel_hi:[1,1,0]
	v_pk_fma_f32 v[2:3], v[16:17], v[134:135], v[2:3] op_sel_hi:[1,1,0] neg_lo:[0,0,1] neg_hi:[0,0,1]
	ds_load_2addr_b64 v[14:17], v6 offset0:59 offset1:60
	v_mov_b32_e32 v3, v1
	s_delay_alu instid0(VALU_DEP_1) | instskip(SKIP_2) | instid1(VALU_DEP_1)
	v_pk_add_f32 v[246:247], v[246:247], v[2:3] neg_lo:[0,1] neg_hi:[0,1]
	s_wait_dscnt 0x0
	v_pk_mul_f32 v[0:1], v[14:15], v[12:13] op_sel:[0,1]
	v_pk_fma_f32 v[2:3], v[14:15], v[10:11], v[0:1] op_sel:[0,0,1] op_sel_hi:[1,1,0] neg_lo:[0,0,1] neg_hi:[0,0,1]
	v_pk_fma_f32 v[0:1], v[14:15], v[10:11], v[0:1] op_sel:[0,0,1] op_sel_hi:[1,0,0]
	s_delay_alu instid0(VALU_DEP_1) | instskip(SKIP_1) | instid1(VALU_DEP_2)
	v_mov_b32_e32 v3, v1
	v_pk_mul_f32 v[0:1], v[16:17], v[12:13] op_sel:[0,1]
	v_pk_add_f32 v[240:241], v[240:241], v[2:3] neg_lo:[0,1] neg_hi:[0,1]
	s_delay_alu instid0(VALU_DEP_2) | instskip(SKIP_3) | instid1(VALU_DEP_1)
	v_pk_fma_f32 v[2:3], v[16:17], v[10:11], v[0:1] op_sel:[0,0,1] op_sel_hi:[1,1,0] neg_lo:[0,0,1] neg_hi:[0,0,1]
	v_pk_fma_f32 v[0:1], v[16:17], v[10:11], v[0:1] op_sel:[0,0,1] op_sel_hi:[1,0,0]
	ds_load_2addr_b64 v[14:17], v6 offset0:61 offset1:62
	v_mov_b32_e32 v3, v1
	v_pk_add_f32 v[244:245], v[244:245], v[2:3] neg_lo:[0,1] neg_hi:[0,1]
	s_wait_dscnt 0x0
	v_pk_mul_f32 v[0:1], v[14:15], v[12:13] op_sel:[0,1]
	s_delay_alu instid0(VALU_DEP_1) | instskip(SKIP_1) | instid1(VALU_DEP_1)
	v_pk_fma_f32 v[2:3], v[14:15], v[10:11], v[0:1] op_sel:[0,0,1] op_sel_hi:[1,1,0] neg_lo:[0,0,1] neg_hi:[0,0,1]
	v_pk_fma_f32 v[0:1], v[14:15], v[10:11], v[0:1] op_sel:[0,0,1] op_sel_hi:[1,0,0]
	v_mov_b32_e32 v3, v1
	v_pk_mul_f32 v[0:1], v[16:17], v[12:13] op_sel:[0,1]
	s_delay_alu instid0(VALU_DEP_2) | instskip(NEXT) | instid1(VALU_DEP_2)
	v_pk_add_f32 v[250:251], v[250:251], v[2:3] neg_lo:[0,1] neg_hi:[0,1]
	v_pk_fma_f32 v[2:3], v[16:17], v[10:11], v[0:1] op_sel:[0,0,1] op_sel_hi:[1,1,0] neg_lo:[0,0,1] neg_hi:[0,0,1]
	v_pk_fma_f32 v[0:1], v[16:17], v[10:11], v[0:1] op_sel:[0,0,1] op_sel_hi:[1,0,0]
	s_delay_alu instid0(VALU_DEP_1) | instskip(NEXT) | instid1(VALU_DEP_1)
	v_mov_b32_e32 v3, v1
	v_pk_add_f32 v[252:253], v[252:253], v[2:3] neg_lo:[0,1] neg_hi:[0,1]
.LBB125_46:
	s_or_b32 exec_lo, exec_lo, s1
	s_delay_alu instid0(SALU_CYCLE_1)
	s_mov_b32 s2, exec_lo
	s_wait_dscnt 0x0
	s_barrier_signal -1
	s_barrier_wait -1
	v_cmpx_eq_u32_e32 5, v254
	s_cbranch_execz .LBB125_53
; %bb.47:
	v_dual_mov_b32 v0, v132 :: v_dual_mov_b32 v1, v133
	v_dual_mov_b32 v2, v128 :: v_dual_mov_b32 v3, v129
	ds_store_b64 v255, v[130:131]
	ds_store_2addr_b64 v6, v[0:1], v[2:3] offset0:6 offset1:7
	v_dual_mov_b32 v0, v136 :: v_dual_mov_b32 v1, v137
	v_dual_mov_b32 v2, v146 :: v_dual_mov_b32 v3, v147
	ds_store_2addr_b64 v6, v[0:1], v[2:3] offset0:8 offset1:9
	v_dual_mov_b32 v0, v148 :: v_dual_mov_b32 v1, v149
	v_dual_mov_b32 v2, v150 :: v_dual_mov_b32 v3, v151
	;; [unrolled: 3-line block ×27, first 2 shown]
	ds_store_2addr_b64 v6, v[0:1], v[2:3] offset0:60 offset1:61
	ds_store_b64 v6, v[252:253] offset:496
	ds_load_b64 v[10:11], v255
	s_wait_dscnt 0x0
	v_cmp_neq_f32_e32 vcc_lo, 0, v10
	v_cmp_neq_f32_e64 s1, 0, v11
	s_or_b32 s1, vcc_lo, s1
	s_delay_alu instid0(SALU_CYCLE_1)
	s_and_b32 exec_lo, exec_lo, s1
	s_cbranch_execz .LBB125_53
; %bb.48:
	v_cmp_ngt_f32_e64 s1, |v10|, |v11|
                                        ; implicit-def: $vgpr12_vgpr13
	s_and_saveexec_b32 s4, s1
	s_delay_alu instid0(SALU_CYCLE_1)
	s_xor_b32 s1, exec_lo, s4
	s_cbranch_execz .LBB125_50
; %bb.49:
	v_div_scale_f32 v0, null, v11, v11, v10
	v_div_scale_f32 v3, vcc_lo, v10, v11, v10
	s_delay_alu instid0(VALU_DEP_2) | instskip(SKIP_1) | instid1(TRANS32_DEP_1)
	v_rcp_f32_e32 v1, v0
	v_nop
	v_fma_f32 v2, -v0, v1, 1.0
	s_delay_alu instid0(VALU_DEP_1) | instskip(NEXT) | instid1(VALU_DEP_1)
	v_fmac_f32_e32 v1, v2, v1
	v_mul_f32_e32 v2, v3, v1
	s_delay_alu instid0(VALU_DEP_1) | instskip(NEXT) | instid1(VALU_DEP_1)
	v_fma_f32 v4, -v0, v2, v3
	v_fmac_f32_e32 v2, v4, v1
	s_delay_alu instid0(VALU_DEP_1) | instskip(NEXT) | instid1(VALU_DEP_1)
	v_fma_f32 v0, -v0, v2, v3
	v_div_fmas_f32 v0, v0, v1, v2
	s_delay_alu instid0(VALU_DEP_1) | instskip(NEXT) | instid1(VALU_DEP_1)
	v_div_fixup_f32 v0, v0, v11, v10
	v_fmac_f32_e32 v11, v10, v0
	s_delay_alu instid0(VALU_DEP_1) | instskip(SKIP_1) | instid1(VALU_DEP_2)
	v_div_scale_f32 v1, null, v11, v11, 1.0
	v_div_scale_f32 v4, vcc_lo, 1.0, v11, 1.0
	v_rcp_f32_e32 v2, v1
	v_nop
	s_delay_alu instid0(TRANS32_DEP_1) | instskip(NEXT) | instid1(VALU_DEP_1)
	v_fma_f32 v3, -v1, v2, 1.0
	v_fmac_f32_e32 v2, v3, v2
	s_delay_alu instid0(VALU_DEP_1) | instskip(NEXT) | instid1(VALU_DEP_1)
	v_mul_f32_e32 v3, v4, v2
	v_fma_f32 v5, -v1, v3, v4
	s_delay_alu instid0(VALU_DEP_1) | instskip(NEXT) | instid1(VALU_DEP_1)
	v_fmac_f32_e32 v3, v5, v2
	v_fma_f32 v1, -v1, v3, v4
	s_delay_alu instid0(VALU_DEP_1) | instskip(NEXT) | instid1(VALU_DEP_1)
	v_div_fmas_f32 v1, v1, v2, v3
	v_div_fixup_f32 v1, v1, v11, 1.0
                                        ; implicit-def: $vgpr10_vgpr11
	s_delay_alu instid0(VALU_DEP_1)
	v_mul_f32_e32 v12, v0, v1
	v_xor_b32_e32 v13, 0x80000000, v1
.LBB125_50:
	s_and_not1_saveexec_b32 s1, s1
	s_cbranch_execz .LBB125_52
; %bb.51:
	v_div_scale_f32 v0, null, v10, v10, v11
	v_div_scale_f32 v3, vcc_lo, v11, v10, v11
	s_delay_alu instid0(VALU_DEP_2) | instskip(SKIP_1) | instid1(TRANS32_DEP_1)
	v_rcp_f32_e32 v1, v0
	v_nop
	v_fma_f32 v2, -v0, v1, 1.0
	s_delay_alu instid0(VALU_DEP_1) | instskip(NEXT) | instid1(VALU_DEP_1)
	v_fmac_f32_e32 v1, v2, v1
	v_mul_f32_e32 v2, v3, v1
	s_delay_alu instid0(VALU_DEP_1) | instskip(NEXT) | instid1(VALU_DEP_1)
	v_fma_f32 v4, -v0, v2, v3
	v_fmac_f32_e32 v2, v4, v1
	s_delay_alu instid0(VALU_DEP_1) | instskip(NEXT) | instid1(VALU_DEP_1)
	v_fma_f32 v0, -v0, v2, v3
	v_div_fmas_f32 v0, v0, v1, v2
	s_delay_alu instid0(VALU_DEP_1) | instskip(NEXT) | instid1(VALU_DEP_1)
	v_div_fixup_f32 v0, v0, v10, v11
	v_fmac_f32_e32 v10, v11, v0
	s_delay_alu instid0(VALU_DEP_1) | instskip(NEXT) | instid1(VALU_DEP_1)
	v_div_scale_f32 v1, null, v10, v10, 1.0
	v_rcp_f32_e32 v2, v1
	v_nop
	s_delay_alu instid0(TRANS32_DEP_1) | instskip(NEXT) | instid1(VALU_DEP_1)
	v_fma_f32 v3, -v1, v2, 1.0
	v_fmac_f32_e32 v2, v3, v2
	v_div_scale_f32 v3, vcc_lo, 1.0, v10, 1.0
	s_delay_alu instid0(VALU_DEP_1) | instskip(NEXT) | instid1(VALU_DEP_1)
	v_mul_f32_e32 v4, v3, v2
	v_fma_f32 v5, -v1, v4, v3
	s_delay_alu instid0(VALU_DEP_1) | instskip(NEXT) | instid1(VALU_DEP_1)
	v_fmac_f32_e32 v4, v5, v2
	v_fma_f32 v1, -v1, v4, v3
	s_delay_alu instid0(VALU_DEP_1) | instskip(NEXT) | instid1(VALU_DEP_1)
	v_div_fmas_f32 v1, v1, v2, v4
	v_div_fixup_f32 v12, v1, v10, 1.0
	s_delay_alu instid0(VALU_DEP_1)
	v_mul_f32_e64 v13, v0, -v12
.LBB125_52:
	s_or_b32 exec_lo, exec_lo, s1
	ds_store_b64 v255, v[12:13]
.LBB125_53:
	s_or_b32 exec_lo, exec_lo, s2
	s_wait_dscnt 0x0
	s_barrier_signal -1
	s_barrier_wait -1
	ds_load_b64 v[10:11], v255
	s_mov_b32 s1, exec_lo
	v_cmpx_lt_u32_e32 5, v254
	s_cbranch_execz .LBB125_55
; %bb.54:
	ds_load_2addr_b64 v[16:19], v6 offset0:6 offset1:7
	s_wait_dscnt 0x1
	v_pk_mul_f32 v[0:1], v[10:11], v[130:131] op_sel:[1,1] op_sel_hi:[0,1]
	s_delay_alu instid0(VALU_DEP_1) | instskip(SKIP_1) | instid1(VALU_DEP_1)
	v_pk_fma_f32 v[14:15], v[10:11], v[130:131], v[0:1] op_sel_hi:[1,0,1]
	v_pk_fma_f32 v[12:13], v[10:11], v[130:131], v[0:1] op_sel_hi:[1,0,1] neg_lo:[0,0,1] neg_hi:[0,0,1]
	v_dual_mov_b32 v131, v15 :: v_dual_mov_b32 v130, v12
	s_wait_dscnt 0x0
	s_delay_alu instid0(VALU_DEP_3) | instskip(NEXT) | instid1(VALU_DEP_1)
	v_pk_mul_f32 v[0:1], v[16:17], v[14:15] op_sel:[0,1]
	v_pk_fma_f32 v[2:3], v[16:17], v[12:13], v[0:1] op_sel:[0,0,1] op_sel_hi:[1,1,0] neg_lo:[0,0,1] neg_hi:[0,0,1]
	v_pk_fma_f32 v[0:1], v[16:17], v[12:13], v[0:1] op_sel:[0,0,1] op_sel_hi:[1,0,0]
	s_delay_alu instid0(VALU_DEP_1) | instskip(SKIP_1) | instid1(VALU_DEP_2)
	v_mov_b32_e32 v3, v1
	v_pk_mul_f32 v[0:1], v[18:19], v[14:15] op_sel:[0,1]
	v_pk_add_f32 v[132:133], v[132:133], v[2:3] neg_lo:[0,1] neg_hi:[0,1]
	s_delay_alu instid0(VALU_DEP_2) | instskip(SKIP_3) | instid1(VALU_DEP_1)
	v_pk_fma_f32 v[2:3], v[18:19], v[12:13], v[0:1] op_sel:[0,0,1] op_sel_hi:[1,1,0] neg_lo:[0,0,1] neg_hi:[0,0,1]
	v_pk_fma_f32 v[0:1], v[18:19], v[12:13], v[0:1] op_sel:[0,0,1] op_sel_hi:[1,0,0]
	ds_load_2addr_b64 v[16:19], v6 offset0:8 offset1:9
	v_mov_b32_e32 v3, v1
	v_pk_add_f32 v[128:129], v[128:129], v[2:3] neg_lo:[0,1] neg_hi:[0,1]
	s_wait_dscnt 0x0
	v_pk_mul_f32 v[0:1], v[16:17], v[14:15] op_sel:[0,1]
	s_delay_alu instid0(VALU_DEP_1) | instskip(SKIP_2) | instid1(VALU_DEP_2)
	v_pk_fma_f32 v[2:3], v[16:17], v[12:13], v[0:1] op_sel:[0,0,1] op_sel_hi:[1,1,0] neg_lo:[0,0,1] neg_hi:[0,0,1]
	v_pk_fma_f32 v[0:1], v[16:17], v[12:13], v[0:1] op_sel:[0,0,1] op_sel_hi:[1,0,0]
	v_dual_mov_b32 v0, v19 :: v_dual_mul_f32 v16, v19, v12
	v_dual_mov_b32 v3, v1 :: v_dual_mov_b32 v1, v18
	s_delay_alu instid0(VALU_DEP_1) | instskip(SKIP_1) | instid1(VALU_DEP_3)
	v_pk_add_f32 v[136:137], v[136:137], v[2:3] neg_lo:[0,1] neg_hi:[0,1]
	v_mul_f32_e32 v2, v19, v15
	v_pk_fma_f32 v[0:1], v[0:1], v[130:131], v[16:17] op_sel_hi:[1,1,0]
	s_delay_alu instid0(VALU_DEP_2) | instskip(SKIP_2) | instid1(VALU_DEP_1)
	v_pk_fma_f32 v[2:3], v[18:19], v[130:131], v[2:3] op_sel_hi:[1,1,0] neg_lo:[0,0,1] neg_hi:[0,0,1]
	ds_load_2addr_b64 v[16:19], v6 offset0:10 offset1:11
	v_mov_b32_e32 v3, v1
	v_pk_add_f32 v[146:147], v[146:147], v[2:3] neg_lo:[0,1] neg_hi:[0,1]
	s_wait_dscnt 0x0
	v_pk_mul_f32 v[0:1], v[16:17], v[14:15] op_sel:[0,1]
	s_delay_alu instid0(VALU_DEP_1) | instskip(SKIP_1) | instid1(VALU_DEP_1)
	v_pk_fma_f32 v[2:3], v[16:17], v[12:13], v[0:1] op_sel:[0,0,1] op_sel_hi:[1,1,0] neg_lo:[0,0,1] neg_hi:[0,0,1]
	v_pk_fma_f32 v[0:1], v[16:17], v[12:13], v[0:1] op_sel:[0,0,1] op_sel_hi:[1,0,0]
	v_mov_b32_e32 v3, v1
	v_pk_mul_f32 v[0:1], v[18:19], v[14:15] op_sel:[0,1]
	s_delay_alu instid0(VALU_DEP_2) | instskip(NEXT) | instid1(VALU_DEP_2)
	v_pk_add_f32 v[148:149], v[148:149], v[2:3] neg_lo:[0,1] neg_hi:[0,1]
	v_pk_fma_f32 v[2:3], v[18:19], v[12:13], v[0:1] op_sel:[0,0,1] op_sel_hi:[1,1,0] neg_lo:[0,0,1] neg_hi:[0,0,1]
	v_pk_fma_f32 v[0:1], v[18:19], v[12:13], v[0:1] op_sel:[0,0,1] op_sel_hi:[1,0,0]
	ds_load_2addr_b64 v[16:19], v6 offset0:12 offset1:13
	v_mov_b32_e32 v3, v1
	s_delay_alu instid0(VALU_DEP_1) | instskip(SKIP_2) | instid1(VALU_DEP_1)
	v_pk_add_f32 v[150:151], v[150:151], v[2:3] neg_lo:[0,1] neg_hi:[0,1]
	s_wait_dscnt 0x0
	v_pk_mul_f32 v[0:1], v[16:17], v[14:15] op_sel:[0,1]
	v_pk_fma_f32 v[2:3], v[16:17], v[12:13], v[0:1] op_sel:[0,0,1] op_sel_hi:[1,1,0] neg_lo:[0,0,1] neg_hi:[0,0,1]
	v_pk_fma_f32 v[0:1], v[16:17], v[12:13], v[0:1] op_sel:[0,0,1] op_sel_hi:[1,0,0]
	s_delay_alu instid0(VALU_DEP_1) | instskip(SKIP_1) | instid1(VALU_DEP_2)
	v_mov_b32_e32 v3, v1
	v_pk_mul_f32 v[0:1], v[18:19], v[14:15] op_sel:[0,1]
	v_pk_add_f32 v[152:153], v[152:153], v[2:3] neg_lo:[0,1] neg_hi:[0,1]
	s_delay_alu instid0(VALU_DEP_2) | instskip(SKIP_3) | instid1(VALU_DEP_1)
	v_pk_fma_f32 v[2:3], v[18:19], v[12:13], v[0:1] op_sel:[0,0,1] op_sel_hi:[1,1,0] neg_lo:[0,0,1] neg_hi:[0,0,1]
	v_pk_fma_f32 v[0:1], v[18:19], v[12:13], v[0:1] op_sel:[0,0,1] op_sel_hi:[1,0,0]
	ds_load_2addr_b64 v[16:19], v6 offset0:14 offset1:15
	v_mov_b32_e32 v3, v1
	v_pk_add_f32 v[154:155], v[154:155], v[2:3] neg_lo:[0,1] neg_hi:[0,1]
	s_wait_dscnt 0x0
	v_dual_mul_f32 v0, v17, v15 :: v_dual_mul_f32 v2, v17, v12
	s_delay_alu instid0(VALU_DEP_1) | instskip(NEXT) | instid1(VALU_DEP_2)
	v_pk_fma_f32 v[0:1], v[16:17], v[130:131], v[0:1] op_sel_hi:[1,1,0] neg_lo:[0,0,1] neg_hi:[0,0,1]
	v_pk_fma_f32 v[2:3], v[16:17], v[130:131], v[2:3] op_sel:[1,0,0] op_sel_hi:[0,1,0]
	s_delay_alu instid0(VALU_DEP_1) | instskip(NEXT) | instid1(VALU_DEP_1)
	v_mov_b32_e32 v1, v3
	v_pk_add_f32 v[156:157], v[156:157], v[0:1] neg_lo:[0,1] neg_hi:[0,1]
	v_pk_mul_f32 v[0:1], v[18:19], v[14:15] op_sel:[0,1]
	s_delay_alu instid0(VALU_DEP_1) | instskip(SKIP_3) | instid1(VALU_DEP_1)
	v_pk_fma_f32 v[2:3], v[18:19], v[12:13], v[0:1] op_sel:[0,0,1] op_sel_hi:[1,1,0] neg_lo:[0,0,1] neg_hi:[0,0,1]
	v_pk_fma_f32 v[0:1], v[18:19], v[12:13], v[0:1] op_sel:[0,0,1] op_sel_hi:[1,0,0]
	ds_load_2addr_b64 v[16:19], v6 offset0:16 offset1:17
	v_mov_b32_e32 v3, v1
	v_pk_add_f32 v[158:159], v[158:159], v[2:3] neg_lo:[0,1] neg_hi:[0,1]
	s_wait_dscnt 0x0
	v_pk_mul_f32 v[0:1], v[16:17], v[14:15] op_sel:[0,1]
	s_delay_alu instid0(VALU_DEP_1) | instskip(SKIP_1) | instid1(VALU_DEP_1)
	v_pk_fma_f32 v[2:3], v[16:17], v[12:13], v[0:1] op_sel:[0,0,1] op_sel_hi:[1,1,0] neg_lo:[0,0,1] neg_hi:[0,0,1]
	v_pk_fma_f32 v[0:1], v[16:17], v[12:13], v[0:1] op_sel:[0,0,1] op_sel_hi:[1,0,0]
	v_mov_b32_e32 v3, v1
	v_pk_mul_f32 v[0:1], v[18:19], v[14:15] op_sel:[0,1]
	s_delay_alu instid0(VALU_DEP_2) | instskip(NEXT) | instid1(VALU_DEP_2)
	v_pk_add_f32 v[160:161], v[160:161], v[2:3] neg_lo:[0,1] neg_hi:[0,1]
	v_pk_fma_f32 v[2:3], v[18:19], v[12:13], v[0:1] op_sel:[0,0,1] op_sel_hi:[1,1,0] neg_lo:[0,0,1] neg_hi:[0,0,1]
	v_pk_fma_f32 v[0:1], v[18:19], v[12:13], v[0:1] op_sel:[0,0,1] op_sel_hi:[1,0,0]
	ds_load_2addr_b64 v[16:19], v6 offset0:18 offset1:19
	v_mov_b32_e32 v3, v1
	s_delay_alu instid0(VALU_DEP_1) | instskip(SKIP_2) | instid1(VALU_DEP_1)
	v_pk_add_f32 v[162:163], v[162:163], v[2:3] neg_lo:[0,1] neg_hi:[0,1]
	s_wait_dscnt 0x0
	v_pk_mul_f32 v[0:1], v[16:17], v[14:15] op_sel:[0,1]
	v_pk_fma_f32 v[2:3], v[16:17], v[12:13], v[0:1] op_sel:[0,0,1] op_sel_hi:[1,1,0] neg_lo:[0,0,1] neg_hi:[0,0,1]
	v_pk_fma_f32 v[0:1], v[16:17], v[12:13], v[0:1] op_sel:[0,0,1] op_sel_hi:[1,0,0]
	v_dual_mov_b32 v0, v19 :: v_dual_mul_f32 v16, v19, v12
	s_delay_alu instid0(VALU_DEP_2) | instskip(NEXT) | instid1(VALU_DEP_1)
	v_dual_mov_b32 v3, v1 :: v_dual_mov_b32 v1, v18
	v_pk_add_f32 v[164:165], v[164:165], v[2:3] neg_lo:[0,1] neg_hi:[0,1]
	v_mul_f32_e32 v2, v19, v15
	s_delay_alu instid0(VALU_DEP_3) | instskip(NEXT) | instid1(VALU_DEP_2)
	v_pk_fma_f32 v[0:1], v[0:1], v[130:131], v[16:17] op_sel_hi:[1,1,0]
	v_pk_fma_f32 v[2:3], v[18:19], v[130:131], v[2:3] op_sel_hi:[1,1,0] neg_lo:[0,0,1] neg_hi:[0,0,1]
	ds_load_2addr_b64 v[16:19], v6 offset0:20 offset1:21
	v_mov_b32_e32 v3, v1
	s_delay_alu instid0(VALU_DEP_1) | instskip(SKIP_2) | instid1(VALU_DEP_1)
	v_pk_add_f32 v[166:167], v[166:167], v[2:3] neg_lo:[0,1] neg_hi:[0,1]
	s_wait_dscnt 0x0
	v_pk_mul_f32 v[0:1], v[16:17], v[14:15] op_sel:[0,1]
	v_pk_fma_f32 v[2:3], v[16:17], v[12:13], v[0:1] op_sel:[0,0,1] op_sel_hi:[1,1,0] neg_lo:[0,0,1] neg_hi:[0,0,1]
	v_pk_fma_f32 v[0:1], v[16:17], v[12:13], v[0:1] op_sel:[0,0,1] op_sel_hi:[1,0,0]
	s_delay_alu instid0(VALU_DEP_1) | instskip(SKIP_1) | instid1(VALU_DEP_2)
	v_mov_b32_e32 v3, v1
	v_pk_mul_f32 v[0:1], v[18:19], v[14:15] op_sel:[0,1]
	v_pk_add_f32 v[168:169], v[168:169], v[2:3] neg_lo:[0,1] neg_hi:[0,1]
	s_delay_alu instid0(VALU_DEP_2) | instskip(SKIP_3) | instid1(VALU_DEP_1)
	v_pk_fma_f32 v[2:3], v[18:19], v[12:13], v[0:1] op_sel:[0,0,1] op_sel_hi:[1,1,0] neg_lo:[0,0,1] neg_hi:[0,0,1]
	v_pk_fma_f32 v[0:1], v[18:19], v[12:13], v[0:1] op_sel:[0,0,1] op_sel_hi:[1,0,0]
	ds_load_2addr_b64 v[16:19], v6 offset0:22 offset1:23
	v_mov_b32_e32 v3, v1
	v_pk_add_f32 v[170:171], v[170:171], v[2:3] neg_lo:[0,1] neg_hi:[0,1]
	s_wait_dscnt 0x0
	v_pk_mul_f32 v[0:1], v[16:17], v[14:15] op_sel:[0,1]
	s_delay_alu instid0(VALU_DEP_1) | instskip(SKIP_1) | instid1(VALU_DEP_1)
	v_pk_fma_f32 v[2:3], v[16:17], v[12:13], v[0:1] op_sel:[0,0,1] op_sel_hi:[1,1,0] neg_lo:[0,0,1] neg_hi:[0,0,1]
	v_pk_fma_f32 v[0:1], v[16:17], v[12:13], v[0:1] op_sel:[0,0,1] op_sel_hi:[1,0,0]
	v_mov_b32_e32 v3, v1
	v_pk_mul_f32 v[0:1], v[18:19], v[14:15] op_sel:[0,1]
	s_delay_alu instid0(VALU_DEP_2) | instskip(NEXT) | instid1(VALU_DEP_2)
	v_pk_add_f32 v[172:173], v[172:173], v[2:3] neg_lo:[0,1] neg_hi:[0,1]
	v_pk_fma_f32 v[2:3], v[18:19], v[12:13], v[0:1] op_sel:[0,0,1] op_sel_hi:[1,1,0] neg_lo:[0,0,1] neg_hi:[0,0,1]
	v_pk_fma_f32 v[0:1], v[18:19], v[12:13], v[0:1] op_sel:[0,0,1] op_sel_hi:[1,0,0]
	ds_load_2addr_b64 v[16:19], v6 offset0:24 offset1:25
	v_mov_b32_e32 v3, v1
	s_delay_alu instid0(VALU_DEP_1) | instskip(SKIP_2) | instid1(VALU_DEP_1)
	v_pk_add_f32 v[174:175], v[174:175], v[2:3] neg_lo:[0,1] neg_hi:[0,1]
	s_wait_dscnt 0x0
	v_dual_mul_f32 v2, v17, v12 :: v_dual_mul_f32 v0, v17, v15
	v_pk_fma_f32 v[2:3], v[16:17], v[130:131], v[2:3] op_sel:[1,0,0] op_sel_hi:[0,1,0]
	s_delay_alu instid0(VALU_DEP_2) | instskip(NEXT) | instid1(VALU_DEP_2)
	v_pk_fma_f32 v[0:1], v[16:17], v[130:131], v[0:1] op_sel_hi:[1,1,0] neg_lo:[0,0,1] neg_hi:[0,0,1]
	v_mov_b32_e32 v1, v3
	s_delay_alu instid0(VALU_DEP_1) | instskip(SKIP_1) | instid1(VALU_DEP_1)
	v_pk_add_f32 v[176:177], v[176:177], v[0:1] neg_lo:[0,1] neg_hi:[0,1]
	v_pk_mul_f32 v[0:1], v[18:19], v[14:15] op_sel:[0,1]
	v_pk_fma_f32 v[2:3], v[18:19], v[12:13], v[0:1] op_sel:[0,0,1] op_sel_hi:[1,1,0] neg_lo:[0,0,1] neg_hi:[0,0,1]
	v_pk_fma_f32 v[0:1], v[18:19], v[12:13], v[0:1] op_sel:[0,0,1] op_sel_hi:[1,0,0]
	ds_load_2addr_b64 v[16:19], v6 offset0:26 offset1:27
	v_mov_b32_e32 v3, v1
	s_delay_alu instid0(VALU_DEP_1) | instskip(SKIP_2) | instid1(VALU_DEP_1)
	v_pk_add_f32 v[178:179], v[178:179], v[2:3] neg_lo:[0,1] neg_hi:[0,1]
	s_wait_dscnt 0x0
	v_pk_mul_f32 v[0:1], v[16:17], v[14:15] op_sel:[0,1]
	v_pk_fma_f32 v[2:3], v[16:17], v[12:13], v[0:1] op_sel:[0,0,1] op_sel_hi:[1,1,0] neg_lo:[0,0,1] neg_hi:[0,0,1]
	v_pk_fma_f32 v[0:1], v[16:17], v[12:13], v[0:1] op_sel:[0,0,1] op_sel_hi:[1,0,0]
	s_delay_alu instid0(VALU_DEP_1) | instskip(SKIP_1) | instid1(VALU_DEP_2)
	v_mov_b32_e32 v3, v1
	v_pk_mul_f32 v[0:1], v[18:19], v[14:15] op_sel:[0,1]
	v_pk_add_f32 v[180:181], v[180:181], v[2:3] neg_lo:[0,1] neg_hi:[0,1]
	s_delay_alu instid0(VALU_DEP_2) | instskip(SKIP_3) | instid1(VALU_DEP_1)
	v_pk_fma_f32 v[2:3], v[18:19], v[12:13], v[0:1] op_sel:[0,0,1] op_sel_hi:[1,1,0] neg_lo:[0,0,1] neg_hi:[0,0,1]
	v_pk_fma_f32 v[0:1], v[18:19], v[12:13], v[0:1] op_sel:[0,0,1] op_sel_hi:[1,0,0]
	ds_load_2addr_b64 v[16:19], v6 offset0:28 offset1:29
	v_mov_b32_e32 v3, v1
	v_pk_add_f32 v[182:183], v[182:183], v[2:3] neg_lo:[0,1] neg_hi:[0,1]
	s_wait_dscnt 0x0
	v_pk_mul_f32 v[0:1], v[16:17], v[14:15] op_sel:[0,1]
	s_delay_alu instid0(VALU_DEP_1) | instskip(SKIP_2) | instid1(VALU_DEP_2)
	v_pk_fma_f32 v[2:3], v[16:17], v[12:13], v[0:1] op_sel:[0,0,1] op_sel_hi:[1,1,0] neg_lo:[0,0,1] neg_hi:[0,0,1]
	v_pk_fma_f32 v[0:1], v[16:17], v[12:13], v[0:1] op_sel:[0,0,1] op_sel_hi:[1,0,0]
	v_dual_mov_b32 v0, v19 :: v_dual_mul_f32 v16, v19, v12
	v_dual_mov_b32 v3, v1 :: v_dual_mov_b32 v1, v18
	s_delay_alu instid0(VALU_DEP_1) | instskip(SKIP_1) | instid1(VALU_DEP_3)
	v_pk_add_f32 v[184:185], v[184:185], v[2:3] neg_lo:[0,1] neg_hi:[0,1]
	v_mul_f32_e32 v2, v19, v15
	v_pk_fma_f32 v[0:1], v[0:1], v[130:131], v[16:17] op_sel_hi:[1,1,0]
	s_delay_alu instid0(VALU_DEP_2) | instskip(SKIP_2) | instid1(VALU_DEP_1)
	v_pk_fma_f32 v[2:3], v[18:19], v[130:131], v[2:3] op_sel_hi:[1,1,0] neg_lo:[0,0,1] neg_hi:[0,0,1]
	ds_load_2addr_b64 v[16:19], v6 offset0:30 offset1:31
	v_mov_b32_e32 v3, v1
	v_pk_add_f32 v[186:187], v[186:187], v[2:3] neg_lo:[0,1] neg_hi:[0,1]
	s_wait_dscnt 0x0
	v_pk_mul_f32 v[0:1], v[16:17], v[14:15] op_sel:[0,1]
	s_delay_alu instid0(VALU_DEP_1) | instskip(SKIP_1) | instid1(VALU_DEP_1)
	v_pk_fma_f32 v[2:3], v[16:17], v[12:13], v[0:1] op_sel:[0,0,1] op_sel_hi:[1,1,0] neg_lo:[0,0,1] neg_hi:[0,0,1]
	v_pk_fma_f32 v[0:1], v[16:17], v[12:13], v[0:1] op_sel:[0,0,1] op_sel_hi:[1,0,0]
	v_mov_b32_e32 v3, v1
	v_pk_mul_f32 v[0:1], v[18:19], v[14:15] op_sel:[0,1]
	s_delay_alu instid0(VALU_DEP_2) | instskip(NEXT) | instid1(VALU_DEP_2)
	v_pk_add_f32 v[188:189], v[188:189], v[2:3] neg_lo:[0,1] neg_hi:[0,1]
	v_pk_fma_f32 v[2:3], v[18:19], v[12:13], v[0:1] op_sel:[0,0,1] op_sel_hi:[1,1,0] neg_lo:[0,0,1] neg_hi:[0,0,1]
	v_pk_fma_f32 v[0:1], v[18:19], v[12:13], v[0:1] op_sel:[0,0,1] op_sel_hi:[1,0,0]
	ds_load_2addr_b64 v[16:19], v6 offset0:32 offset1:33
	v_mov_b32_e32 v3, v1
	s_delay_alu instid0(VALU_DEP_1) | instskip(SKIP_2) | instid1(VALU_DEP_1)
	v_pk_add_f32 v[190:191], v[190:191], v[2:3] neg_lo:[0,1] neg_hi:[0,1]
	s_wait_dscnt 0x0
	v_pk_mul_f32 v[0:1], v[16:17], v[14:15] op_sel:[0,1]
	v_pk_fma_f32 v[2:3], v[16:17], v[12:13], v[0:1] op_sel:[0,0,1] op_sel_hi:[1,1,0] neg_lo:[0,0,1] neg_hi:[0,0,1]
	v_pk_fma_f32 v[0:1], v[16:17], v[12:13], v[0:1] op_sel:[0,0,1] op_sel_hi:[1,0,0]
	s_delay_alu instid0(VALU_DEP_1) | instskip(SKIP_1) | instid1(VALU_DEP_2)
	v_mov_b32_e32 v3, v1
	v_pk_mul_f32 v[0:1], v[18:19], v[14:15] op_sel:[0,1]
	v_pk_add_f32 v[192:193], v[192:193], v[2:3] neg_lo:[0,1] neg_hi:[0,1]
	s_delay_alu instid0(VALU_DEP_2) | instskip(SKIP_3) | instid1(VALU_DEP_1)
	v_pk_fma_f32 v[2:3], v[18:19], v[12:13], v[0:1] op_sel:[0,0,1] op_sel_hi:[1,1,0] neg_lo:[0,0,1] neg_hi:[0,0,1]
	v_pk_fma_f32 v[0:1], v[18:19], v[12:13], v[0:1] op_sel:[0,0,1] op_sel_hi:[1,0,0]
	ds_load_2addr_b64 v[16:19], v6 offset0:34 offset1:35
	v_mov_b32_e32 v3, v1
	v_pk_add_f32 v[194:195], v[194:195], v[2:3] neg_lo:[0,1] neg_hi:[0,1]
	s_wait_dscnt 0x0
	v_dual_mul_f32 v0, v17, v15 :: v_dual_mul_f32 v2, v17, v12
	s_delay_alu instid0(VALU_DEP_1) | instskip(NEXT) | instid1(VALU_DEP_2)
	v_pk_fma_f32 v[0:1], v[16:17], v[130:131], v[0:1] op_sel_hi:[1,1,0] neg_lo:[0,0,1] neg_hi:[0,0,1]
	v_pk_fma_f32 v[2:3], v[16:17], v[130:131], v[2:3] op_sel:[1,0,0] op_sel_hi:[0,1,0]
	s_delay_alu instid0(VALU_DEP_1) | instskip(NEXT) | instid1(VALU_DEP_1)
	v_mov_b32_e32 v1, v3
	v_pk_add_f32 v[196:197], v[196:197], v[0:1] neg_lo:[0,1] neg_hi:[0,1]
	v_pk_mul_f32 v[0:1], v[18:19], v[14:15] op_sel:[0,1]
	s_delay_alu instid0(VALU_DEP_1) | instskip(SKIP_3) | instid1(VALU_DEP_1)
	v_pk_fma_f32 v[2:3], v[18:19], v[12:13], v[0:1] op_sel:[0,0,1] op_sel_hi:[1,1,0] neg_lo:[0,0,1] neg_hi:[0,0,1]
	v_pk_fma_f32 v[0:1], v[18:19], v[12:13], v[0:1] op_sel:[0,0,1] op_sel_hi:[1,0,0]
	ds_load_2addr_b64 v[16:19], v6 offset0:36 offset1:37
	v_mov_b32_e32 v3, v1
	v_pk_add_f32 v[198:199], v[198:199], v[2:3] neg_lo:[0,1] neg_hi:[0,1]
	s_wait_dscnt 0x0
	v_pk_mul_f32 v[0:1], v[16:17], v[14:15] op_sel:[0,1]
	s_delay_alu instid0(VALU_DEP_1) | instskip(SKIP_1) | instid1(VALU_DEP_1)
	v_pk_fma_f32 v[2:3], v[16:17], v[12:13], v[0:1] op_sel:[0,0,1] op_sel_hi:[1,1,0] neg_lo:[0,0,1] neg_hi:[0,0,1]
	v_pk_fma_f32 v[0:1], v[16:17], v[12:13], v[0:1] op_sel:[0,0,1] op_sel_hi:[1,0,0]
	v_mov_b32_e32 v3, v1
	v_pk_mul_f32 v[0:1], v[18:19], v[14:15] op_sel:[0,1]
	s_delay_alu instid0(VALU_DEP_2) | instskip(NEXT) | instid1(VALU_DEP_2)
	v_pk_add_f32 v[200:201], v[200:201], v[2:3] neg_lo:[0,1] neg_hi:[0,1]
	v_pk_fma_f32 v[2:3], v[18:19], v[12:13], v[0:1] op_sel:[0,0,1] op_sel_hi:[1,1,0] neg_lo:[0,0,1] neg_hi:[0,0,1]
	v_pk_fma_f32 v[0:1], v[18:19], v[12:13], v[0:1] op_sel:[0,0,1] op_sel_hi:[1,0,0]
	ds_load_2addr_b64 v[16:19], v6 offset0:38 offset1:39
	v_mov_b32_e32 v3, v1
	s_delay_alu instid0(VALU_DEP_1) | instskip(SKIP_2) | instid1(VALU_DEP_1)
	v_pk_add_f32 v[202:203], v[202:203], v[2:3] neg_lo:[0,1] neg_hi:[0,1]
	s_wait_dscnt 0x0
	v_pk_mul_f32 v[0:1], v[16:17], v[14:15] op_sel:[0,1]
	v_pk_fma_f32 v[2:3], v[16:17], v[12:13], v[0:1] op_sel:[0,0,1] op_sel_hi:[1,1,0] neg_lo:[0,0,1] neg_hi:[0,0,1]
	v_pk_fma_f32 v[0:1], v[16:17], v[12:13], v[0:1] op_sel:[0,0,1] op_sel_hi:[1,0,0]
	v_dual_mov_b32 v0, v19 :: v_dual_mul_f32 v16, v19, v12
	s_delay_alu instid0(VALU_DEP_2) | instskip(NEXT) | instid1(VALU_DEP_1)
	v_dual_mov_b32 v3, v1 :: v_dual_mov_b32 v1, v18
	v_pk_add_f32 v[204:205], v[204:205], v[2:3] neg_lo:[0,1] neg_hi:[0,1]
	v_mul_f32_e32 v2, v19, v15
	s_delay_alu instid0(VALU_DEP_3) | instskip(NEXT) | instid1(VALU_DEP_2)
	v_pk_fma_f32 v[0:1], v[0:1], v[130:131], v[16:17] op_sel_hi:[1,1,0]
	v_pk_fma_f32 v[2:3], v[18:19], v[130:131], v[2:3] op_sel_hi:[1,1,0] neg_lo:[0,0,1] neg_hi:[0,0,1]
	ds_load_2addr_b64 v[16:19], v6 offset0:40 offset1:41
	v_mov_b32_e32 v3, v1
	s_delay_alu instid0(VALU_DEP_1) | instskip(SKIP_2) | instid1(VALU_DEP_1)
	v_pk_add_f32 v[206:207], v[206:207], v[2:3] neg_lo:[0,1] neg_hi:[0,1]
	s_wait_dscnt 0x0
	v_pk_mul_f32 v[0:1], v[16:17], v[14:15] op_sel:[0,1]
	v_pk_fma_f32 v[2:3], v[16:17], v[12:13], v[0:1] op_sel:[0,0,1] op_sel_hi:[1,1,0] neg_lo:[0,0,1] neg_hi:[0,0,1]
	v_pk_fma_f32 v[0:1], v[16:17], v[12:13], v[0:1] op_sel:[0,0,1] op_sel_hi:[1,0,0]
	s_delay_alu instid0(VALU_DEP_1) | instskip(SKIP_1) | instid1(VALU_DEP_2)
	v_mov_b32_e32 v3, v1
	v_pk_mul_f32 v[0:1], v[18:19], v[14:15] op_sel:[0,1]
	v_pk_add_f32 v[208:209], v[208:209], v[2:3] neg_lo:[0,1] neg_hi:[0,1]
	s_delay_alu instid0(VALU_DEP_2) | instskip(SKIP_3) | instid1(VALU_DEP_1)
	v_pk_fma_f32 v[2:3], v[18:19], v[12:13], v[0:1] op_sel:[0,0,1] op_sel_hi:[1,1,0] neg_lo:[0,0,1] neg_hi:[0,0,1]
	v_pk_fma_f32 v[0:1], v[18:19], v[12:13], v[0:1] op_sel:[0,0,1] op_sel_hi:[1,0,0]
	ds_load_2addr_b64 v[16:19], v6 offset0:42 offset1:43
	v_mov_b32_e32 v3, v1
	v_pk_add_f32 v[210:211], v[210:211], v[2:3] neg_lo:[0,1] neg_hi:[0,1]
	s_wait_dscnt 0x0
	v_pk_mul_f32 v[0:1], v[16:17], v[14:15] op_sel:[0,1]
	s_delay_alu instid0(VALU_DEP_1) | instskip(SKIP_1) | instid1(VALU_DEP_1)
	v_pk_fma_f32 v[2:3], v[16:17], v[12:13], v[0:1] op_sel:[0,0,1] op_sel_hi:[1,1,0] neg_lo:[0,0,1] neg_hi:[0,0,1]
	v_pk_fma_f32 v[0:1], v[16:17], v[12:13], v[0:1] op_sel:[0,0,1] op_sel_hi:[1,0,0]
	v_mov_b32_e32 v3, v1
	v_pk_mul_f32 v[0:1], v[18:19], v[14:15] op_sel:[0,1]
	s_delay_alu instid0(VALU_DEP_2) | instskip(NEXT) | instid1(VALU_DEP_2)
	v_pk_add_f32 v[212:213], v[212:213], v[2:3] neg_lo:[0,1] neg_hi:[0,1]
	v_pk_fma_f32 v[2:3], v[18:19], v[12:13], v[0:1] op_sel:[0,0,1] op_sel_hi:[1,1,0] neg_lo:[0,0,1] neg_hi:[0,0,1]
	v_pk_fma_f32 v[0:1], v[18:19], v[12:13], v[0:1] op_sel:[0,0,1] op_sel_hi:[1,0,0]
	ds_load_2addr_b64 v[16:19], v6 offset0:44 offset1:45
	v_mov_b32_e32 v3, v1
	s_delay_alu instid0(VALU_DEP_1) | instskip(SKIP_2) | instid1(VALU_DEP_1)
	v_pk_add_f32 v[214:215], v[214:215], v[2:3] neg_lo:[0,1] neg_hi:[0,1]
	s_wait_dscnt 0x0
	v_dual_mul_f32 v2, v17, v12 :: v_dual_mul_f32 v0, v17, v15
	v_pk_fma_f32 v[2:3], v[16:17], v[130:131], v[2:3] op_sel:[1,0,0] op_sel_hi:[0,1,0]
	s_delay_alu instid0(VALU_DEP_2) | instskip(NEXT) | instid1(VALU_DEP_2)
	v_pk_fma_f32 v[0:1], v[16:17], v[130:131], v[0:1] op_sel_hi:[1,1,0] neg_lo:[0,0,1] neg_hi:[0,0,1]
	v_mov_b32_e32 v1, v3
	s_delay_alu instid0(VALU_DEP_1) | instskip(SKIP_1) | instid1(VALU_DEP_1)
	v_pk_add_f32 v[216:217], v[216:217], v[0:1] neg_lo:[0,1] neg_hi:[0,1]
	v_pk_mul_f32 v[0:1], v[18:19], v[14:15] op_sel:[0,1]
	v_pk_fma_f32 v[2:3], v[18:19], v[12:13], v[0:1] op_sel:[0,0,1] op_sel_hi:[1,1,0] neg_lo:[0,0,1] neg_hi:[0,0,1]
	v_pk_fma_f32 v[0:1], v[18:19], v[12:13], v[0:1] op_sel:[0,0,1] op_sel_hi:[1,0,0]
	ds_load_2addr_b64 v[16:19], v6 offset0:46 offset1:47
	v_mov_b32_e32 v3, v1
	s_delay_alu instid0(VALU_DEP_1) | instskip(SKIP_2) | instid1(VALU_DEP_1)
	v_pk_add_f32 v[218:219], v[218:219], v[2:3] neg_lo:[0,1] neg_hi:[0,1]
	s_wait_dscnt 0x0
	v_pk_mul_f32 v[0:1], v[16:17], v[14:15] op_sel:[0,1]
	v_pk_fma_f32 v[2:3], v[16:17], v[12:13], v[0:1] op_sel:[0,0,1] op_sel_hi:[1,1,0] neg_lo:[0,0,1] neg_hi:[0,0,1]
	v_pk_fma_f32 v[0:1], v[16:17], v[12:13], v[0:1] op_sel:[0,0,1] op_sel_hi:[1,0,0]
	s_delay_alu instid0(VALU_DEP_1) | instskip(SKIP_1) | instid1(VALU_DEP_2)
	v_mov_b32_e32 v3, v1
	v_pk_mul_f32 v[0:1], v[18:19], v[14:15] op_sel:[0,1]
	v_pk_add_f32 v[220:221], v[220:221], v[2:3] neg_lo:[0,1] neg_hi:[0,1]
	s_delay_alu instid0(VALU_DEP_2) | instskip(SKIP_3) | instid1(VALU_DEP_1)
	v_pk_fma_f32 v[2:3], v[18:19], v[12:13], v[0:1] op_sel:[0,0,1] op_sel_hi:[1,1,0] neg_lo:[0,0,1] neg_hi:[0,0,1]
	v_pk_fma_f32 v[0:1], v[18:19], v[12:13], v[0:1] op_sel:[0,0,1] op_sel_hi:[1,0,0]
	ds_load_2addr_b64 v[16:19], v6 offset0:48 offset1:49
	v_mov_b32_e32 v3, v1
	v_pk_add_f32 v[222:223], v[222:223], v[2:3] neg_lo:[0,1] neg_hi:[0,1]
	s_wait_dscnt 0x0
	v_pk_mul_f32 v[0:1], v[16:17], v[14:15] op_sel:[0,1]
	s_delay_alu instid0(VALU_DEP_1) | instskip(SKIP_2) | instid1(VALU_DEP_2)
	v_pk_fma_f32 v[2:3], v[16:17], v[12:13], v[0:1] op_sel:[0,0,1] op_sel_hi:[1,1,0] neg_lo:[0,0,1] neg_hi:[0,0,1]
	v_pk_fma_f32 v[0:1], v[16:17], v[12:13], v[0:1] op_sel:[0,0,1] op_sel_hi:[1,0,0]
	v_dual_mov_b32 v0, v19 :: v_dual_mul_f32 v16, v19, v12
	v_dual_mov_b32 v3, v1 :: v_dual_mov_b32 v1, v18
	s_delay_alu instid0(VALU_DEP_1) | instskip(SKIP_1) | instid1(VALU_DEP_3)
	v_pk_add_f32 v[224:225], v[224:225], v[2:3] neg_lo:[0,1] neg_hi:[0,1]
	v_mul_f32_e32 v2, v19, v15
	v_pk_fma_f32 v[0:1], v[0:1], v[130:131], v[16:17] op_sel_hi:[1,1,0]
	s_delay_alu instid0(VALU_DEP_2) | instskip(SKIP_2) | instid1(VALU_DEP_1)
	v_pk_fma_f32 v[2:3], v[18:19], v[130:131], v[2:3] op_sel_hi:[1,1,0] neg_lo:[0,0,1] neg_hi:[0,0,1]
	ds_load_2addr_b64 v[16:19], v6 offset0:50 offset1:51
	v_mov_b32_e32 v3, v1
	v_pk_add_f32 v[226:227], v[226:227], v[2:3] neg_lo:[0,1] neg_hi:[0,1]
	s_wait_dscnt 0x0
	v_pk_mul_f32 v[0:1], v[16:17], v[14:15] op_sel:[0,1]
	s_delay_alu instid0(VALU_DEP_1) | instskip(SKIP_1) | instid1(VALU_DEP_1)
	v_pk_fma_f32 v[2:3], v[16:17], v[12:13], v[0:1] op_sel:[0,0,1] op_sel_hi:[1,1,0] neg_lo:[0,0,1] neg_hi:[0,0,1]
	v_pk_fma_f32 v[0:1], v[16:17], v[12:13], v[0:1] op_sel:[0,0,1] op_sel_hi:[1,0,0]
	v_mov_b32_e32 v3, v1
	v_pk_mul_f32 v[0:1], v[18:19], v[14:15] op_sel:[0,1]
	s_delay_alu instid0(VALU_DEP_2) | instskip(NEXT) | instid1(VALU_DEP_2)
	v_pk_add_f32 v[228:229], v[228:229], v[2:3] neg_lo:[0,1] neg_hi:[0,1]
	v_pk_fma_f32 v[2:3], v[18:19], v[12:13], v[0:1] op_sel:[0,0,1] op_sel_hi:[1,1,0] neg_lo:[0,0,1] neg_hi:[0,0,1]
	v_pk_fma_f32 v[0:1], v[18:19], v[12:13], v[0:1] op_sel:[0,0,1] op_sel_hi:[1,0,0]
	ds_load_2addr_b64 v[16:19], v6 offset0:52 offset1:53
	v_mov_b32_e32 v3, v1
	s_delay_alu instid0(VALU_DEP_1) | instskip(SKIP_2) | instid1(VALU_DEP_1)
	v_pk_add_f32 v[230:231], v[230:231], v[2:3] neg_lo:[0,1] neg_hi:[0,1]
	s_wait_dscnt 0x0
	v_pk_mul_f32 v[0:1], v[16:17], v[14:15] op_sel:[0,1]
	v_pk_fma_f32 v[2:3], v[16:17], v[12:13], v[0:1] op_sel:[0,0,1] op_sel_hi:[1,1,0] neg_lo:[0,0,1] neg_hi:[0,0,1]
	v_pk_fma_f32 v[0:1], v[16:17], v[12:13], v[0:1] op_sel:[0,0,1] op_sel_hi:[1,0,0]
	s_delay_alu instid0(VALU_DEP_1) | instskip(SKIP_1) | instid1(VALU_DEP_2)
	v_mov_b32_e32 v3, v1
	v_pk_mul_f32 v[0:1], v[18:19], v[14:15] op_sel:[0,1]
	v_pk_add_f32 v[232:233], v[232:233], v[2:3] neg_lo:[0,1] neg_hi:[0,1]
	s_delay_alu instid0(VALU_DEP_2) | instskip(SKIP_3) | instid1(VALU_DEP_1)
	v_pk_fma_f32 v[2:3], v[18:19], v[12:13], v[0:1] op_sel:[0,0,1] op_sel_hi:[1,1,0] neg_lo:[0,0,1] neg_hi:[0,0,1]
	v_pk_fma_f32 v[0:1], v[18:19], v[12:13], v[0:1] op_sel:[0,0,1] op_sel_hi:[1,0,0]
	ds_load_2addr_b64 v[16:19], v6 offset0:54 offset1:55
	v_mov_b32_e32 v3, v1
	v_pk_add_f32 v[234:235], v[234:235], v[2:3] neg_lo:[0,1] neg_hi:[0,1]
	s_wait_dscnt 0x0
	v_dual_mul_f32 v0, v17, v15 :: v_dual_mul_f32 v2, v17, v12
	s_delay_alu instid0(VALU_DEP_1) | instskip(NEXT) | instid1(VALU_DEP_2)
	v_pk_fma_f32 v[0:1], v[16:17], v[130:131], v[0:1] op_sel_hi:[1,1,0] neg_lo:[0,0,1] neg_hi:[0,0,1]
	v_pk_fma_f32 v[2:3], v[16:17], v[130:131], v[2:3] op_sel:[1,0,0] op_sel_hi:[0,1,0]
	s_delay_alu instid0(VALU_DEP_1) | instskip(NEXT) | instid1(VALU_DEP_1)
	v_mov_b32_e32 v1, v3
	v_pk_add_f32 v[236:237], v[236:237], v[0:1] neg_lo:[0,1] neg_hi:[0,1]
	v_pk_mul_f32 v[0:1], v[18:19], v[14:15] op_sel:[0,1]
	s_delay_alu instid0(VALU_DEP_1) | instskip(SKIP_3) | instid1(VALU_DEP_1)
	v_pk_fma_f32 v[2:3], v[18:19], v[12:13], v[0:1] op_sel:[0,0,1] op_sel_hi:[1,1,0] neg_lo:[0,0,1] neg_hi:[0,0,1]
	v_pk_fma_f32 v[0:1], v[18:19], v[12:13], v[0:1] op_sel:[0,0,1] op_sel_hi:[1,0,0]
	ds_load_2addr_b64 v[16:19], v6 offset0:56 offset1:57
	v_mov_b32_e32 v3, v1
	v_pk_add_f32 v[238:239], v[238:239], v[2:3] neg_lo:[0,1] neg_hi:[0,1]
	s_wait_dscnt 0x0
	v_pk_mul_f32 v[0:1], v[16:17], v[14:15] op_sel:[0,1]
	s_delay_alu instid0(VALU_DEP_1) | instskip(SKIP_1) | instid1(VALU_DEP_1)
	v_pk_fma_f32 v[2:3], v[16:17], v[12:13], v[0:1] op_sel:[0,0,1] op_sel_hi:[1,1,0] neg_lo:[0,0,1] neg_hi:[0,0,1]
	v_pk_fma_f32 v[0:1], v[16:17], v[12:13], v[0:1] op_sel:[0,0,1] op_sel_hi:[1,0,0]
	v_mov_b32_e32 v3, v1
	v_pk_mul_f32 v[0:1], v[18:19], v[14:15] op_sel:[0,1]
	s_delay_alu instid0(VALU_DEP_2) | instskip(NEXT) | instid1(VALU_DEP_2)
	v_pk_add_f32 v[248:249], v[248:249], v[2:3] neg_lo:[0,1] neg_hi:[0,1]
	v_pk_fma_f32 v[2:3], v[18:19], v[12:13], v[0:1] op_sel:[0,0,1] op_sel_hi:[1,1,0] neg_lo:[0,0,1] neg_hi:[0,0,1]
	v_pk_fma_f32 v[0:1], v[18:19], v[12:13], v[0:1] op_sel:[0,0,1] op_sel_hi:[1,0,0]
	ds_load_2addr_b64 v[16:19], v6 offset0:58 offset1:59
	v_mov_b32_e32 v3, v1
	s_delay_alu instid0(VALU_DEP_1) | instskip(SKIP_2) | instid1(VALU_DEP_1)
	v_pk_add_f32 v[242:243], v[242:243], v[2:3] neg_lo:[0,1] neg_hi:[0,1]
	s_wait_dscnt 0x0
	v_pk_mul_f32 v[0:1], v[16:17], v[14:15] op_sel:[0,1]
	v_pk_fma_f32 v[2:3], v[16:17], v[12:13], v[0:1] op_sel:[0,0,1] op_sel_hi:[1,1,0] neg_lo:[0,0,1] neg_hi:[0,0,1]
	v_pk_fma_f32 v[0:1], v[16:17], v[12:13], v[0:1] op_sel:[0,0,1] op_sel_hi:[1,0,0]
	v_dual_mov_b32 v0, v19 :: v_dual_mul_f32 v16, v19, v12
	s_delay_alu instid0(VALU_DEP_2) | instskip(NEXT) | instid1(VALU_DEP_1)
	v_dual_mov_b32 v3, v1 :: v_dual_mov_b32 v1, v18
	v_pk_add_f32 v[246:247], v[246:247], v[2:3] neg_lo:[0,1] neg_hi:[0,1]
	v_mul_f32_e32 v2, v19, v15
	s_delay_alu instid0(VALU_DEP_3) | instskip(NEXT) | instid1(VALU_DEP_2)
	v_pk_fma_f32 v[0:1], v[0:1], v[130:131], v[16:17] op_sel_hi:[1,1,0]
	v_pk_fma_f32 v[2:3], v[18:19], v[130:131], v[2:3] op_sel_hi:[1,1,0] neg_lo:[0,0,1] neg_hi:[0,0,1]
	ds_load_2addr_b64 v[16:19], v6 offset0:60 offset1:61
	v_mov_b32_e32 v3, v1
	s_delay_alu instid0(VALU_DEP_1) | instskip(SKIP_2) | instid1(VALU_DEP_1)
	v_pk_add_f32 v[240:241], v[240:241], v[2:3] neg_lo:[0,1] neg_hi:[0,1]
	s_wait_dscnt 0x0
	v_pk_mul_f32 v[0:1], v[16:17], v[14:15] op_sel:[0,1]
	v_pk_fma_f32 v[2:3], v[16:17], v[12:13], v[0:1] op_sel:[0,0,1] op_sel_hi:[1,1,0] neg_lo:[0,0,1] neg_hi:[0,0,1]
	v_pk_fma_f32 v[0:1], v[16:17], v[12:13], v[0:1] op_sel:[0,0,1] op_sel_hi:[1,0,0]
	s_delay_alu instid0(VALU_DEP_1) | instskip(SKIP_1) | instid1(VALU_DEP_2)
	v_mov_b32_e32 v3, v1
	v_pk_mul_f32 v[0:1], v[18:19], v[14:15] op_sel:[0,1]
	v_pk_add_f32 v[244:245], v[244:245], v[2:3] neg_lo:[0,1] neg_hi:[0,1]
	s_delay_alu instid0(VALU_DEP_2) | instskip(SKIP_1) | instid1(VALU_DEP_1)
	v_pk_fma_f32 v[2:3], v[18:19], v[12:13], v[0:1] op_sel:[0,0,1] op_sel_hi:[1,1,0] neg_lo:[0,0,1] neg_hi:[0,0,1]
	v_pk_fma_f32 v[0:1], v[18:19], v[12:13], v[0:1] op_sel:[0,0,1] op_sel_hi:[1,0,0]
	v_mov_b32_e32 v3, v1
	ds_load_b64 v[0:1], v6 offset:496
	v_pk_add_f32 v[250:251], v[250:251], v[2:3] neg_lo:[0,1] neg_hi:[0,1]
	s_wait_dscnt 0x0
	v_pk_mul_f32 v[2:3], v[0:1], v[14:15] op_sel:[0,1]
	s_delay_alu instid0(VALU_DEP_1) | instskip(SKIP_1) | instid1(VALU_DEP_1)
	v_pk_fma_f32 v[14:15], v[0:1], v[12:13], v[2:3] op_sel:[0,0,1] op_sel_hi:[1,1,0] neg_lo:[0,0,1] neg_hi:[0,0,1]
	v_pk_fma_f32 v[0:1], v[0:1], v[12:13], v[2:3] op_sel:[0,0,1] op_sel_hi:[1,0,0]
	v_mov_b32_e32 v15, v1
	s_delay_alu instid0(VALU_DEP_1)
	v_pk_add_f32 v[252:253], v[252:253], v[14:15] neg_lo:[0,1] neg_hi:[0,1]
.LBB125_55:
	s_or_b32 exec_lo, exec_lo, s1
	s_delay_alu instid0(SALU_CYCLE_1)
	s_mov_b32 s2, exec_lo
	s_wait_dscnt 0x0
	s_barrier_signal -1
	s_barrier_wait -1
	v_cmpx_eq_u32_e32 6, v254
	s_cbranch_execz .LBB125_62
; %bb.56:
	ds_store_b64 v255, v[132:133]
	ds_store_2addr_b64 v6, v[128:129], v[136:137] offset0:7 offset1:8
	ds_store_2addr_b64 v6, v[146:147], v[148:149] offset0:9 offset1:10
	;; [unrolled: 1-line block ×28, first 2 shown]
	ds_load_b64 v[12:13], v255
	s_wait_dscnt 0x0
	v_cmp_neq_f32_e32 vcc_lo, 0, v12
	v_cmp_neq_f32_e64 s1, 0, v13
	s_or_b32 s1, vcc_lo, s1
	s_delay_alu instid0(SALU_CYCLE_1)
	s_and_b32 exec_lo, exec_lo, s1
	s_cbranch_execz .LBB125_62
; %bb.57:
	v_cmp_ngt_f32_e64 s1, |v12|, |v13|
                                        ; implicit-def: $vgpr14_vgpr15
	s_and_saveexec_b32 s4, s1
	s_delay_alu instid0(SALU_CYCLE_1)
	s_xor_b32 s1, exec_lo, s4
	s_cbranch_execz .LBB125_59
; %bb.58:
	v_div_scale_f32 v0, null, v13, v13, v12
	v_div_scale_f32 v3, vcc_lo, v12, v13, v12
	s_delay_alu instid0(VALU_DEP_2) | instskip(SKIP_1) | instid1(TRANS32_DEP_1)
	v_rcp_f32_e32 v1, v0
	v_nop
	v_fma_f32 v2, -v0, v1, 1.0
	s_delay_alu instid0(VALU_DEP_1) | instskip(NEXT) | instid1(VALU_DEP_1)
	v_fmac_f32_e32 v1, v2, v1
	v_mul_f32_e32 v2, v3, v1
	s_delay_alu instid0(VALU_DEP_1) | instskip(NEXT) | instid1(VALU_DEP_1)
	v_fma_f32 v4, -v0, v2, v3
	v_fmac_f32_e32 v2, v4, v1
	s_delay_alu instid0(VALU_DEP_1) | instskip(NEXT) | instid1(VALU_DEP_1)
	v_fma_f32 v0, -v0, v2, v3
	v_div_fmas_f32 v0, v0, v1, v2
	s_delay_alu instid0(VALU_DEP_1) | instskip(NEXT) | instid1(VALU_DEP_1)
	v_div_fixup_f32 v0, v0, v13, v12
	v_fmac_f32_e32 v13, v12, v0
	s_delay_alu instid0(VALU_DEP_1) | instskip(SKIP_1) | instid1(VALU_DEP_2)
	v_div_scale_f32 v1, null, v13, v13, 1.0
	v_div_scale_f32 v4, vcc_lo, 1.0, v13, 1.0
	v_rcp_f32_e32 v2, v1
	v_nop
	s_delay_alu instid0(TRANS32_DEP_1) | instskip(NEXT) | instid1(VALU_DEP_1)
	v_fma_f32 v3, -v1, v2, 1.0
	v_fmac_f32_e32 v2, v3, v2
	s_delay_alu instid0(VALU_DEP_1) | instskip(NEXT) | instid1(VALU_DEP_1)
	v_mul_f32_e32 v3, v4, v2
	v_fma_f32 v5, -v1, v3, v4
	s_delay_alu instid0(VALU_DEP_1) | instskip(NEXT) | instid1(VALU_DEP_1)
	v_fmac_f32_e32 v3, v5, v2
	v_fma_f32 v1, -v1, v3, v4
	s_delay_alu instid0(VALU_DEP_1) | instskip(NEXT) | instid1(VALU_DEP_1)
	v_div_fmas_f32 v1, v1, v2, v3
	v_div_fixup_f32 v1, v1, v13, 1.0
                                        ; implicit-def: $vgpr12_vgpr13
	s_delay_alu instid0(VALU_DEP_1)
	v_mul_f32_e32 v14, v0, v1
	v_xor_b32_e32 v15, 0x80000000, v1
.LBB125_59:
	s_and_not1_saveexec_b32 s1, s1
	s_cbranch_execz .LBB125_61
; %bb.60:
	v_div_scale_f32 v0, null, v12, v12, v13
	v_div_scale_f32 v3, vcc_lo, v13, v12, v13
	s_delay_alu instid0(VALU_DEP_2) | instskip(SKIP_1) | instid1(TRANS32_DEP_1)
	v_rcp_f32_e32 v1, v0
	v_nop
	v_fma_f32 v2, -v0, v1, 1.0
	s_delay_alu instid0(VALU_DEP_1) | instskip(NEXT) | instid1(VALU_DEP_1)
	v_fmac_f32_e32 v1, v2, v1
	v_mul_f32_e32 v2, v3, v1
	s_delay_alu instid0(VALU_DEP_1) | instskip(NEXT) | instid1(VALU_DEP_1)
	v_fma_f32 v4, -v0, v2, v3
	v_fmac_f32_e32 v2, v4, v1
	s_delay_alu instid0(VALU_DEP_1) | instskip(NEXT) | instid1(VALU_DEP_1)
	v_fma_f32 v0, -v0, v2, v3
	v_div_fmas_f32 v0, v0, v1, v2
	s_delay_alu instid0(VALU_DEP_1) | instskip(NEXT) | instid1(VALU_DEP_1)
	v_div_fixup_f32 v0, v0, v12, v13
	v_fmac_f32_e32 v12, v13, v0
	s_delay_alu instid0(VALU_DEP_1) | instskip(NEXT) | instid1(VALU_DEP_1)
	v_div_scale_f32 v1, null, v12, v12, 1.0
	v_rcp_f32_e32 v2, v1
	v_nop
	s_delay_alu instid0(TRANS32_DEP_1) | instskip(NEXT) | instid1(VALU_DEP_1)
	v_fma_f32 v3, -v1, v2, 1.0
	v_fmac_f32_e32 v2, v3, v2
	v_div_scale_f32 v3, vcc_lo, 1.0, v12, 1.0
	s_delay_alu instid0(VALU_DEP_1) | instskip(NEXT) | instid1(VALU_DEP_1)
	v_mul_f32_e32 v4, v3, v2
	v_fma_f32 v5, -v1, v4, v3
	s_delay_alu instid0(VALU_DEP_1) | instskip(NEXT) | instid1(VALU_DEP_1)
	v_fmac_f32_e32 v4, v5, v2
	v_fma_f32 v1, -v1, v4, v3
	s_delay_alu instid0(VALU_DEP_1) | instskip(NEXT) | instid1(VALU_DEP_1)
	v_div_fmas_f32 v1, v1, v2, v4
	v_div_fixup_f32 v14, v1, v12, 1.0
	s_delay_alu instid0(VALU_DEP_1)
	v_mul_f32_e64 v15, v0, -v14
.LBB125_61:
	s_or_b32 exec_lo, exec_lo, s1
	ds_store_b64 v255, v[14:15]
.LBB125_62:
	s_or_b32 exec_lo, exec_lo, s2
	s_wait_dscnt 0x0
	s_barrier_signal -1
	s_barrier_wait -1
	ds_load_b64 v[12:13], v255
	s_mov_b32 s1, exec_lo
	v_cmpx_lt_u32_e32 6, v254
	s_cbranch_execz .LBB125_64
; %bb.63:
	ds_load_2addr_b64 v[18:21], v6 offset0:7 offset1:8
	s_wait_dscnt 0x1
	v_pk_mul_f32 v[0:1], v[12:13], v[132:133] op_sel:[1,1] op_sel_hi:[0,1]
	s_delay_alu instid0(VALU_DEP_1) | instskip(SKIP_1) | instid1(VALU_DEP_1)
	v_pk_fma_f32 v[16:17], v[12:13], v[132:133], v[0:1] op_sel_hi:[1,0,1]
	v_pk_fma_f32 v[14:15], v[12:13], v[132:133], v[0:1] op_sel_hi:[1,0,1] neg_lo:[0,0,1] neg_hi:[0,0,1]
	v_dual_mov_b32 v133, v17 :: v_dual_mov_b32 v132, v14
	s_wait_dscnt 0x0
	s_delay_alu instid0(VALU_DEP_3) | instskip(NEXT) | instid1(VALU_DEP_1)
	v_pk_mul_f32 v[0:1], v[18:19], v[16:17] op_sel:[0,1]
	v_pk_fma_f32 v[2:3], v[18:19], v[14:15], v[0:1] op_sel:[0,0,1] op_sel_hi:[1,1,0] neg_lo:[0,0,1] neg_hi:[0,0,1]
	v_pk_fma_f32 v[0:1], v[18:19], v[14:15], v[0:1] op_sel:[0,0,1] op_sel_hi:[1,0,0]
	s_delay_alu instid0(VALU_DEP_1) | instskip(SKIP_1) | instid1(VALU_DEP_2)
	v_mov_b32_e32 v3, v1
	v_pk_mul_f32 v[0:1], v[20:21], v[16:17] op_sel:[0,1]
	v_pk_add_f32 v[128:129], v[128:129], v[2:3] neg_lo:[0,1] neg_hi:[0,1]
	s_delay_alu instid0(VALU_DEP_2) | instskip(SKIP_3) | instid1(VALU_DEP_1)
	v_pk_fma_f32 v[2:3], v[20:21], v[14:15], v[0:1] op_sel:[0,0,1] op_sel_hi:[1,1,0] neg_lo:[0,0,1] neg_hi:[0,0,1]
	v_pk_fma_f32 v[0:1], v[20:21], v[14:15], v[0:1] op_sel:[0,0,1] op_sel_hi:[1,0,0]
	ds_load_2addr_b64 v[18:21], v6 offset0:9 offset1:10
	v_mov_b32_e32 v3, v1
	v_pk_add_f32 v[136:137], v[136:137], v[2:3] neg_lo:[0,1] neg_hi:[0,1]
	s_wait_dscnt 0x0
	v_pk_mul_f32 v[0:1], v[18:19], v[16:17] op_sel:[0,1]
	s_delay_alu instid0(VALU_DEP_1) | instskip(SKIP_2) | instid1(VALU_DEP_2)
	v_pk_fma_f32 v[2:3], v[18:19], v[14:15], v[0:1] op_sel:[0,0,1] op_sel_hi:[1,1,0] neg_lo:[0,0,1] neg_hi:[0,0,1]
	v_pk_fma_f32 v[0:1], v[18:19], v[14:15], v[0:1] op_sel:[0,0,1] op_sel_hi:[1,0,0]
	v_dual_mov_b32 v0, v21 :: v_dual_mul_f32 v18, v21, v14
	v_dual_mov_b32 v3, v1 :: v_dual_mov_b32 v1, v20
	s_delay_alu instid0(VALU_DEP_1) | instskip(SKIP_1) | instid1(VALU_DEP_3)
	v_pk_add_f32 v[146:147], v[146:147], v[2:3] neg_lo:[0,1] neg_hi:[0,1]
	v_mul_f32_e32 v2, v21, v17
	v_pk_fma_f32 v[0:1], v[0:1], v[132:133], v[18:19] op_sel_hi:[1,1,0]
	s_delay_alu instid0(VALU_DEP_2) | instskip(SKIP_2) | instid1(VALU_DEP_1)
	v_pk_fma_f32 v[2:3], v[20:21], v[132:133], v[2:3] op_sel_hi:[1,1,0] neg_lo:[0,0,1] neg_hi:[0,0,1]
	ds_load_2addr_b64 v[18:21], v6 offset0:11 offset1:12
	v_mov_b32_e32 v3, v1
	v_pk_add_f32 v[148:149], v[148:149], v[2:3] neg_lo:[0,1] neg_hi:[0,1]
	s_wait_dscnt 0x0
	v_pk_mul_f32 v[0:1], v[18:19], v[16:17] op_sel:[0,1]
	s_delay_alu instid0(VALU_DEP_1) | instskip(SKIP_1) | instid1(VALU_DEP_1)
	v_pk_fma_f32 v[2:3], v[18:19], v[14:15], v[0:1] op_sel:[0,0,1] op_sel_hi:[1,1,0] neg_lo:[0,0,1] neg_hi:[0,0,1]
	v_pk_fma_f32 v[0:1], v[18:19], v[14:15], v[0:1] op_sel:[0,0,1] op_sel_hi:[1,0,0]
	v_mov_b32_e32 v3, v1
	v_pk_mul_f32 v[0:1], v[20:21], v[16:17] op_sel:[0,1]
	s_delay_alu instid0(VALU_DEP_2) | instskip(NEXT) | instid1(VALU_DEP_2)
	v_pk_add_f32 v[150:151], v[150:151], v[2:3] neg_lo:[0,1] neg_hi:[0,1]
	v_pk_fma_f32 v[2:3], v[20:21], v[14:15], v[0:1] op_sel:[0,0,1] op_sel_hi:[1,1,0] neg_lo:[0,0,1] neg_hi:[0,0,1]
	v_pk_fma_f32 v[0:1], v[20:21], v[14:15], v[0:1] op_sel:[0,0,1] op_sel_hi:[1,0,0]
	ds_load_2addr_b64 v[18:21], v6 offset0:13 offset1:14
	v_mov_b32_e32 v3, v1
	s_delay_alu instid0(VALU_DEP_1) | instskip(SKIP_2) | instid1(VALU_DEP_1)
	v_pk_add_f32 v[152:153], v[152:153], v[2:3] neg_lo:[0,1] neg_hi:[0,1]
	s_wait_dscnt 0x0
	v_pk_mul_f32 v[0:1], v[18:19], v[16:17] op_sel:[0,1]
	v_pk_fma_f32 v[2:3], v[18:19], v[14:15], v[0:1] op_sel:[0,0,1] op_sel_hi:[1,1,0] neg_lo:[0,0,1] neg_hi:[0,0,1]
	v_pk_fma_f32 v[0:1], v[18:19], v[14:15], v[0:1] op_sel:[0,0,1] op_sel_hi:[1,0,0]
	s_delay_alu instid0(VALU_DEP_1) | instskip(SKIP_1) | instid1(VALU_DEP_2)
	v_mov_b32_e32 v3, v1
	v_pk_mul_f32 v[0:1], v[20:21], v[16:17] op_sel:[0,1]
	v_pk_add_f32 v[154:155], v[154:155], v[2:3] neg_lo:[0,1] neg_hi:[0,1]
	s_delay_alu instid0(VALU_DEP_2) | instskip(SKIP_3) | instid1(VALU_DEP_1)
	v_pk_fma_f32 v[2:3], v[20:21], v[14:15], v[0:1] op_sel:[0,0,1] op_sel_hi:[1,1,0] neg_lo:[0,0,1] neg_hi:[0,0,1]
	v_pk_fma_f32 v[0:1], v[20:21], v[14:15], v[0:1] op_sel:[0,0,1] op_sel_hi:[1,0,0]
	ds_load_2addr_b64 v[18:21], v6 offset0:15 offset1:16
	v_mov_b32_e32 v3, v1
	v_pk_add_f32 v[156:157], v[156:157], v[2:3] neg_lo:[0,1] neg_hi:[0,1]
	s_wait_dscnt 0x0
	v_dual_mul_f32 v2, v19, v14 :: v_dual_mul_f32 v0, v19, v17
	s_delay_alu instid0(VALU_DEP_1) | instskip(NEXT) | instid1(VALU_DEP_2)
	v_pk_fma_f32 v[2:3], v[18:19], v[132:133], v[2:3] op_sel:[1,0,0] op_sel_hi:[0,1,0]
	v_pk_fma_f32 v[0:1], v[18:19], v[132:133], v[0:1] op_sel_hi:[1,1,0] neg_lo:[0,0,1] neg_hi:[0,0,1]
	s_delay_alu instid0(VALU_DEP_2) | instskip(NEXT) | instid1(VALU_DEP_1)
	v_mov_b32_e32 v1, v3
	v_pk_add_f32 v[158:159], v[158:159], v[0:1] neg_lo:[0,1] neg_hi:[0,1]
	v_pk_mul_f32 v[0:1], v[20:21], v[16:17] op_sel:[0,1]
	s_delay_alu instid0(VALU_DEP_1) | instskip(SKIP_3) | instid1(VALU_DEP_1)
	v_pk_fma_f32 v[2:3], v[20:21], v[14:15], v[0:1] op_sel:[0,0,1] op_sel_hi:[1,1,0] neg_lo:[0,0,1] neg_hi:[0,0,1]
	v_pk_fma_f32 v[0:1], v[20:21], v[14:15], v[0:1] op_sel:[0,0,1] op_sel_hi:[1,0,0]
	ds_load_2addr_b64 v[18:21], v6 offset0:17 offset1:18
	v_mov_b32_e32 v3, v1
	v_pk_add_f32 v[160:161], v[160:161], v[2:3] neg_lo:[0,1] neg_hi:[0,1]
	s_wait_dscnt 0x0
	v_pk_mul_f32 v[0:1], v[18:19], v[16:17] op_sel:[0,1]
	s_delay_alu instid0(VALU_DEP_1) | instskip(SKIP_1) | instid1(VALU_DEP_1)
	v_pk_fma_f32 v[2:3], v[18:19], v[14:15], v[0:1] op_sel:[0,0,1] op_sel_hi:[1,1,0] neg_lo:[0,0,1] neg_hi:[0,0,1]
	v_pk_fma_f32 v[0:1], v[18:19], v[14:15], v[0:1] op_sel:[0,0,1] op_sel_hi:[1,0,0]
	v_mov_b32_e32 v3, v1
	v_pk_mul_f32 v[0:1], v[20:21], v[16:17] op_sel:[0,1]
	s_delay_alu instid0(VALU_DEP_2) | instskip(NEXT) | instid1(VALU_DEP_2)
	v_pk_add_f32 v[162:163], v[162:163], v[2:3] neg_lo:[0,1] neg_hi:[0,1]
	v_pk_fma_f32 v[2:3], v[20:21], v[14:15], v[0:1] op_sel:[0,0,1] op_sel_hi:[1,1,0] neg_lo:[0,0,1] neg_hi:[0,0,1]
	v_pk_fma_f32 v[0:1], v[20:21], v[14:15], v[0:1] op_sel:[0,0,1] op_sel_hi:[1,0,0]
	ds_load_2addr_b64 v[18:21], v6 offset0:19 offset1:20
	v_mov_b32_e32 v3, v1
	s_delay_alu instid0(VALU_DEP_1) | instskip(SKIP_2) | instid1(VALU_DEP_1)
	v_pk_add_f32 v[164:165], v[164:165], v[2:3] neg_lo:[0,1] neg_hi:[0,1]
	s_wait_dscnt 0x0
	v_pk_mul_f32 v[0:1], v[18:19], v[16:17] op_sel:[0,1]
	v_pk_fma_f32 v[2:3], v[18:19], v[14:15], v[0:1] op_sel:[0,0,1] op_sel_hi:[1,1,0] neg_lo:[0,0,1] neg_hi:[0,0,1]
	v_pk_fma_f32 v[0:1], v[18:19], v[14:15], v[0:1] op_sel:[0,0,1] op_sel_hi:[1,0,0]
	v_dual_mov_b32 v0, v21 :: v_dual_mul_f32 v18, v21, v14
	s_delay_alu instid0(VALU_DEP_2) | instskip(NEXT) | instid1(VALU_DEP_1)
	v_dual_mov_b32 v3, v1 :: v_dual_mov_b32 v1, v20
	v_pk_add_f32 v[166:167], v[166:167], v[2:3] neg_lo:[0,1] neg_hi:[0,1]
	v_mul_f32_e32 v2, v21, v17
	s_delay_alu instid0(VALU_DEP_3) | instskip(NEXT) | instid1(VALU_DEP_2)
	v_pk_fma_f32 v[0:1], v[0:1], v[132:133], v[18:19] op_sel_hi:[1,1,0]
	v_pk_fma_f32 v[2:3], v[20:21], v[132:133], v[2:3] op_sel_hi:[1,1,0] neg_lo:[0,0,1] neg_hi:[0,0,1]
	ds_load_2addr_b64 v[18:21], v6 offset0:21 offset1:22
	v_mov_b32_e32 v3, v1
	s_delay_alu instid0(VALU_DEP_1) | instskip(SKIP_2) | instid1(VALU_DEP_1)
	v_pk_add_f32 v[168:169], v[168:169], v[2:3] neg_lo:[0,1] neg_hi:[0,1]
	s_wait_dscnt 0x0
	v_pk_mul_f32 v[0:1], v[18:19], v[16:17] op_sel:[0,1]
	v_pk_fma_f32 v[2:3], v[18:19], v[14:15], v[0:1] op_sel:[0,0,1] op_sel_hi:[1,1,0] neg_lo:[0,0,1] neg_hi:[0,0,1]
	v_pk_fma_f32 v[0:1], v[18:19], v[14:15], v[0:1] op_sel:[0,0,1] op_sel_hi:[1,0,0]
	s_delay_alu instid0(VALU_DEP_1) | instskip(SKIP_1) | instid1(VALU_DEP_2)
	v_mov_b32_e32 v3, v1
	v_pk_mul_f32 v[0:1], v[20:21], v[16:17] op_sel:[0,1]
	v_pk_add_f32 v[170:171], v[170:171], v[2:3] neg_lo:[0,1] neg_hi:[0,1]
	s_delay_alu instid0(VALU_DEP_2) | instskip(SKIP_3) | instid1(VALU_DEP_1)
	v_pk_fma_f32 v[2:3], v[20:21], v[14:15], v[0:1] op_sel:[0,0,1] op_sel_hi:[1,1,0] neg_lo:[0,0,1] neg_hi:[0,0,1]
	v_pk_fma_f32 v[0:1], v[20:21], v[14:15], v[0:1] op_sel:[0,0,1] op_sel_hi:[1,0,0]
	ds_load_2addr_b64 v[18:21], v6 offset0:23 offset1:24
	v_mov_b32_e32 v3, v1
	v_pk_add_f32 v[172:173], v[172:173], v[2:3] neg_lo:[0,1] neg_hi:[0,1]
	s_wait_dscnt 0x0
	v_pk_mul_f32 v[0:1], v[18:19], v[16:17] op_sel:[0,1]
	s_delay_alu instid0(VALU_DEP_1) | instskip(SKIP_1) | instid1(VALU_DEP_1)
	v_pk_fma_f32 v[2:3], v[18:19], v[14:15], v[0:1] op_sel:[0,0,1] op_sel_hi:[1,1,0] neg_lo:[0,0,1] neg_hi:[0,0,1]
	v_pk_fma_f32 v[0:1], v[18:19], v[14:15], v[0:1] op_sel:[0,0,1] op_sel_hi:[1,0,0]
	v_mov_b32_e32 v3, v1
	v_pk_mul_f32 v[0:1], v[20:21], v[16:17] op_sel:[0,1]
	s_delay_alu instid0(VALU_DEP_2) | instskip(NEXT) | instid1(VALU_DEP_2)
	v_pk_add_f32 v[174:175], v[174:175], v[2:3] neg_lo:[0,1] neg_hi:[0,1]
	v_pk_fma_f32 v[2:3], v[20:21], v[14:15], v[0:1] op_sel:[0,0,1] op_sel_hi:[1,1,0] neg_lo:[0,0,1] neg_hi:[0,0,1]
	v_pk_fma_f32 v[0:1], v[20:21], v[14:15], v[0:1] op_sel:[0,0,1] op_sel_hi:[1,0,0]
	ds_load_2addr_b64 v[18:21], v6 offset0:25 offset1:26
	v_mov_b32_e32 v3, v1
	s_delay_alu instid0(VALU_DEP_1) | instskip(SKIP_2) | instid1(VALU_DEP_1)
	v_pk_add_f32 v[176:177], v[176:177], v[2:3] neg_lo:[0,1] neg_hi:[0,1]
	s_wait_dscnt 0x0
	v_dual_mul_f32 v2, v19, v14 :: v_dual_mul_f32 v0, v19, v17
	v_pk_fma_f32 v[2:3], v[18:19], v[132:133], v[2:3] op_sel:[1,0,0] op_sel_hi:[0,1,0]
	s_delay_alu instid0(VALU_DEP_2) | instskip(NEXT) | instid1(VALU_DEP_2)
	v_pk_fma_f32 v[0:1], v[18:19], v[132:133], v[0:1] op_sel_hi:[1,1,0] neg_lo:[0,0,1] neg_hi:[0,0,1]
	v_mov_b32_e32 v1, v3
	s_delay_alu instid0(VALU_DEP_1) | instskip(SKIP_1) | instid1(VALU_DEP_1)
	v_pk_add_f32 v[178:179], v[178:179], v[0:1] neg_lo:[0,1] neg_hi:[0,1]
	v_pk_mul_f32 v[0:1], v[20:21], v[16:17] op_sel:[0,1]
	v_pk_fma_f32 v[2:3], v[20:21], v[14:15], v[0:1] op_sel:[0,0,1] op_sel_hi:[1,1,0] neg_lo:[0,0,1] neg_hi:[0,0,1]
	v_pk_fma_f32 v[0:1], v[20:21], v[14:15], v[0:1] op_sel:[0,0,1] op_sel_hi:[1,0,0]
	ds_load_2addr_b64 v[18:21], v6 offset0:27 offset1:28
	v_mov_b32_e32 v3, v1
	s_delay_alu instid0(VALU_DEP_1) | instskip(SKIP_2) | instid1(VALU_DEP_1)
	v_pk_add_f32 v[180:181], v[180:181], v[2:3] neg_lo:[0,1] neg_hi:[0,1]
	s_wait_dscnt 0x0
	v_pk_mul_f32 v[0:1], v[18:19], v[16:17] op_sel:[0,1]
	v_pk_fma_f32 v[2:3], v[18:19], v[14:15], v[0:1] op_sel:[0,0,1] op_sel_hi:[1,1,0] neg_lo:[0,0,1] neg_hi:[0,0,1]
	v_pk_fma_f32 v[0:1], v[18:19], v[14:15], v[0:1] op_sel:[0,0,1] op_sel_hi:[1,0,0]
	s_delay_alu instid0(VALU_DEP_1) | instskip(SKIP_1) | instid1(VALU_DEP_2)
	v_mov_b32_e32 v3, v1
	v_pk_mul_f32 v[0:1], v[20:21], v[16:17] op_sel:[0,1]
	v_pk_add_f32 v[182:183], v[182:183], v[2:3] neg_lo:[0,1] neg_hi:[0,1]
	s_delay_alu instid0(VALU_DEP_2) | instskip(SKIP_3) | instid1(VALU_DEP_1)
	v_pk_fma_f32 v[2:3], v[20:21], v[14:15], v[0:1] op_sel:[0,0,1] op_sel_hi:[1,1,0] neg_lo:[0,0,1] neg_hi:[0,0,1]
	v_pk_fma_f32 v[0:1], v[20:21], v[14:15], v[0:1] op_sel:[0,0,1] op_sel_hi:[1,0,0]
	ds_load_2addr_b64 v[18:21], v6 offset0:29 offset1:30
	v_mov_b32_e32 v3, v1
	v_pk_add_f32 v[184:185], v[184:185], v[2:3] neg_lo:[0,1] neg_hi:[0,1]
	s_wait_dscnt 0x0
	v_pk_mul_f32 v[0:1], v[18:19], v[16:17] op_sel:[0,1]
	s_delay_alu instid0(VALU_DEP_1) | instskip(SKIP_2) | instid1(VALU_DEP_2)
	v_pk_fma_f32 v[2:3], v[18:19], v[14:15], v[0:1] op_sel:[0,0,1] op_sel_hi:[1,1,0] neg_lo:[0,0,1] neg_hi:[0,0,1]
	v_pk_fma_f32 v[0:1], v[18:19], v[14:15], v[0:1] op_sel:[0,0,1] op_sel_hi:[1,0,0]
	v_dual_mov_b32 v0, v21 :: v_dual_mul_f32 v18, v21, v14
	v_dual_mov_b32 v3, v1 :: v_dual_mov_b32 v1, v20
	s_delay_alu instid0(VALU_DEP_1) | instskip(SKIP_1) | instid1(VALU_DEP_3)
	v_pk_add_f32 v[186:187], v[186:187], v[2:3] neg_lo:[0,1] neg_hi:[0,1]
	v_mul_f32_e32 v2, v21, v17
	v_pk_fma_f32 v[0:1], v[0:1], v[132:133], v[18:19] op_sel_hi:[1,1,0]
	s_delay_alu instid0(VALU_DEP_2) | instskip(SKIP_2) | instid1(VALU_DEP_1)
	v_pk_fma_f32 v[2:3], v[20:21], v[132:133], v[2:3] op_sel_hi:[1,1,0] neg_lo:[0,0,1] neg_hi:[0,0,1]
	ds_load_2addr_b64 v[18:21], v6 offset0:31 offset1:32
	v_mov_b32_e32 v3, v1
	v_pk_add_f32 v[188:189], v[188:189], v[2:3] neg_lo:[0,1] neg_hi:[0,1]
	s_wait_dscnt 0x0
	v_pk_mul_f32 v[0:1], v[18:19], v[16:17] op_sel:[0,1]
	s_delay_alu instid0(VALU_DEP_1) | instskip(SKIP_1) | instid1(VALU_DEP_1)
	v_pk_fma_f32 v[2:3], v[18:19], v[14:15], v[0:1] op_sel:[0,0,1] op_sel_hi:[1,1,0] neg_lo:[0,0,1] neg_hi:[0,0,1]
	v_pk_fma_f32 v[0:1], v[18:19], v[14:15], v[0:1] op_sel:[0,0,1] op_sel_hi:[1,0,0]
	v_mov_b32_e32 v3, v1
	v_pk_mul_f32 v[0:1], v[20:21], v[16:17] op_sel:[0,1]
	s_delay_alu instid0(VALU_DEP_2) | instskip(NEXT) | instid1(VALU_DEP_2)
	v_pk_add_f32 v[190:191], v[190:191], v[2:3] neg_lo:[0,1] neg_hi:[0,1]
	v_pk_fma_f32 v[2:3], v[20:21], v[14:15], v[0:1] op_sel:[0,0,1] op_sel_hi:[1,1,0] neg_lo:[0,0,1] neg_hi:[0,0,1]
	v_pk_fma_f32 v[0:1], v[20:21], v[14:15], v[0:1] op_sel:[0,0,1] op_sel_hi:[1,0,0]
	ds_load_2addr_b64 v[18:21], v6 offset0:33 offset1:34
	v_mov_b32_e32 v3, v1
	s_delay_alu instid0(VALU_DEP_1) | instskip(SKIP_2) | instid1(VALU_DEP_1)
	v_pk_add_f32 v[192:193], v[192:193], v[2:3] neg_lo:[0,1] neg_hi:[0,1]
	s_wait_dscnt 0x0
	v_pk_mul_f32 v[0:1], v[18:19], v[16:17] op_sel:[0,1]
	v_pk_fma_f32 v[2:3], v[18:19], v[14:15], v[0:1] op_sel:[0,0,1] op_sel_hi:[1,1,0] neg_lo:[0,0,1] neg_hi:[0,0,1]
	v_pk_fma_f32 v[0:1], v[18:19], v[14:15], v[0:1] op_sel:[0,0,1] op_sel_hi:[1,0,0]
	s_delay_alu instid0(VALU_DEP_1) | instskip(SKIP_1) | instid1(VALU_DEP_2)
	v_mov_b32_e32 v3, v1
	v_pk_mul_f32 v[0:1], v[20:21], v[16:17] op_sel:[0,1]
	v_pk_add_f32 v[194:195], v[194:195], v[2:3] neg_lo:[0,1] neg_hi:[0,1]
	s_delay_alu instid0(VALU_DEP_2) | instskip(SKIP_3) | instid1(VALU_DEP_1)
	v_pk_fma_f32 v[2:3], v[20:21], v[14:15], v[0:1] op_sel:[0,0,1] op_sel_hi:[1,1,0] neg_lo:[0,0,1] neg_hi:[0,0,1]
	v_pk_fma_f32 v[0:1], v[20:21], v[14:15], v[0:1] op_sel:[0,0,1] op_sel_hi:[1,0,0]
	ds_load_2addr_b64 v[18:21], v6 offset0:35 offset1:36
	v_mov_b32_e32 v3, v1
	v_pk_add_f32 v[196:197], v[196:197], v[2:3] neg_lo:[0,1] neg_hi:[0,1]
	s_wait_dscnt 0x0
	v_dual_mul_f32 v2, v19, v14 :: v_dual_mul_f32 v0, v19, v17
	s_delay_alu instid0(VALU_DEP_1) | instskip(NEXT) | instid1(VALU_DEP_2)
	v_pk_fma_f32 v[2:3], v[18:19], v[132:133], v[2:3] op_sel:[1,0,0] op_sel_hi:[0,1,0]
	v_pk_fma_f32 v[0:1], v[18:19], v[132:133], v[0:1] op_sel_hi:[1,1,0] neg_lo:[0,0,1] neg_hi:[0,0,1]
	s_delay_alu instid0(VALU_DEP_2) | instskip(NEXT) | instid1(VALU_DEP_1)
	v_mov_b32_e32 v1, v3
	v_pk_add_f32 v[198:199], v[198:199], v[0:1] neg_lo:[0,1] neg_hi:[0,1]
	v_pk_mul_f32 v[0:1], v[20:21], v[16:17] op_sel:[0,1]
	s_delay_alu instid0(VALU_DEP_1) | instskip(SKIP_3) | instid1(VALU_DEP_1)
	v_pk_fma_f32 v[2:3], v[20:21], v[14:15], v[0:1] op_sel:[0,0,1] op_sel_hi:[1,1,0] neg_lo:[0,0,1] neg_hi:[0,0,1]
	v_pk_fma_f32 v[0:1], v[20:21], v[14:15], v[0:1] op_sel:[0,0,1] op_sel_hi:[1,0,0]
	ds_load_2addr_b64 v[18:21], v6 offset0:37 offset1:38
	v_mov_b32_e32 v3, v1
	v_pk_add_f32 v[200:201], v[200:201], v[2:3] neg_lo:[0,1] neg_hi:[0,1]
	s_wait_dscnt 0x0
	v_pk_mul_f32 v[0:1], v[18:19], v[16:17] op_sel:[0,1]
	s_delay_alu instid0(VALU_DEP_1) | instskip(SKIP_1) | instid1(VALU_DEP_1)
	v_pk_fma_f32 v[2:3], v[18:19], v[14:15], v[0:1] op_sel:[0,0,1] op_sel_hi:[1,1,0] neg_lo:[0,0,1] neg_hi:[0,0,1]
	v_pk_fma_f32 v[0:1], v[18:19], v[14:15], v[0:1] op_sel:[0,0,1] op_sel_hi:[1,0,0]
	v_mov_b32_e32 v3, v1
	v_pk_mul_f32 v[0:1], v[20:21], v[16:17] op_sel:[0,1]
	s_delay_alu instid0(VALU_DEP_2) | instskip(NEXT) | instid1(VALU_DEP_2)
	v_pk_add_f32 v[202:203], v[202:203], v[2:3] neg_lo:[0,1] neg_hi:[0,1]
	v_pk_fma_f32 v[2:3], v[20:21], v[14:15], v[0:1] op_sel:[0,0,1] op_sel_hi:[1,1,0] neg_lo:[0,0,1] neg_hi:[0,0,1]
	v_pk_fma_f32 v[0:1], v[20:21], v[14:15], v[0:1] op_sel:[0,0,1] op_sel_hi:[1,0,0]
	ds_load_2addr_b64 v[18:21], v6 offset0:39 offset1:40
	v_mov_b32_e32 v3, v1
	s_delay_alu instid0(VALU_DEP_1) | instskip(SKIP_2) | instid1(VALU_DEP_1)
	v_pk_add_f32 v[204:205], v[204:205], v[2:3] neg_lo:[0,1] neg_hi:[0,1]
	s_wait_dscnt 0x0
	v_pk_mul_f32 v[0:1], v[18:19], v[16:17] op_sel:[0,1]
	v_pk_fma_f32 v[2:3], v[18:19], v[14:15], v[0:1] op_sel:[0,0,1] op_sel_hi:[1,1,0] neg_lo:[0,0,1] neg_hi:[0,0,1]
	v_pk_fma_f32 v[0:1], v[18:19], v[14:15], v[0:1] op_sel:[0,0,1] op_sel_hi:[1,0,0]
	v_dual_mov_b32 v0, v21 :: v_dual_mul_f32 v18, v21, v14
	s_delay_alu instid0(VALU_DEP_2) | instskip(NEXT) | instid1(VALU_DEP_1)
	v_dual_mov_b32 v3, v1 :: v_dual_mov_b32 v1, v20
	v_pk_add_f32 v[206:207], v[206:207], v[2:3] neg_lo:[0,1] neg_hi:[0,1]
	v_mul_f32_e32 v2, v21, v17
	s_delay_alu instid0(VALU_DEP_3) | instskip(NEXT) | instid1(VALU_DEP_2)
	v_pk_fma_f32 v[0:1], v[0:1], v[132:133], v[18:19] op_sel_hi:[1,1,0]
	v_pk_fma_f32 v[2:3], v[20:21], v[132:133], v[2:3] op_sel_hi:[1,1,0] neg_lo:[0,0,1] neg_hi:[0,0,1]
	ds_load_2addr_b64 v[18:21], v6 offset0:41 offset1:42
	v_mov_b32_e32 v3, v1
	s_delay_alu instid0(VALU_DEP_1) | instskip(SKIP_2) | instid1(VALU_DEP_1)
	v_pk_add_f32 v[208:209], v[208:209], v[2:3] neg_lo:[0,1] neg_hi:[0,1]
	s_wait_dscnt 0x0
	v_pk_mul_f32 v[0:1], v[18:19], v[16:17] op_sel:[0,1]
	v_pk_fma_f32 v[2:3], v[18:19], v[14:15], v[0:1] op_sel:[0,0,1] op_sel_hi:[1,1,0] neg_lo:[0,0,1] neg_hi:[0,0,1]
	v_pk_fma_f32 v[0:1], v[18:19], v[14:15], v[0:1] op_sel:[0,0,1] op_sel_hi:[1,0,0]
	s_delay_alu instid0(VALU_DEP_1) | instskip(SKIP_1) | instid1(VALU_DEP_2)
	v_mov_b32_e32 v3, v1
	v_pk_mul_f32 v[0:1], v[20:21], v[16:17] op_sel:[0,1]
	v_pk_add_f32 v[210:211], v[210:211], v[2:3] neg_lo:[0,1] neg_hi:[0,1]
	s_delay_alu instid0(VALU_DEP_2) | instskip(SKIP_3) | instid1(VALU_DEP_1)
	v_pk_fma_f32 v[2:3], v[20:21], v[14:15], v[0:1] op_sel:[0,0,1] op_sel_hi:[1,1,0] neg_lo:[0,0,1] neg_hi:[0,0,1]
	v_pk_fma_f32 v[0:1], v[20:21], v[14:15], v[0:1] op_sel:[0,0,1] op_sel_hi:[1,0,0]
	ds_load_2addr_b64 v[18:21], v6 offset0:43 offset1:44
	v_mov_b32_e32 v3, v1
	v_pk_add_f32 v[212:213], v[212:213], v[2:3] neg_lo:[0,1] neg_hi:[0,1]
	s_wait_dscnt 0x0
	v_pk_mul_f32 v[0:1], v[18:19], v[16:17] op_sel:[0,1]
	s_delay_alu instid0(VALU_DEP_1) | instskip(SKIP_1) | instid1(VALU_DEP_1)
	v_pk_fma_f32 v[2:3], v[18:19], v[14:15], v[0:1] op_sel:[0,0,1] op_sel_hi:[1,1,0] neg_lo:[0,0,1] neg_hi:[0,0,1]
	v_pk_fma_f32 v[0:1], v[18:19], v[14:15], v[0:1] op_sel:[0,0,1] op_sel_hi:[1,0,0]
	v_mov_b32_e32 v3, v1
	v_pk_mul_f32 v[0:1], v[20:21], v[16:17] op_sel:[0,1]
	s_delay_alu instid0(VALU_DEP_2) | instskip(NEXT) | instid1(VALU_DEP_2)
	v_pk_add_f32 v[214:215], v[214:215], v[2:3] neg_lo:[0,1] neg_hi:[0,1]
	v_pk_fma_f32 v[2:3], v[20:21], v[14:15], v[0:1] op_sel:[0,0,1] op_sel_hi:[1,1,0] neg_lo:[0,0,1] neg_hi:[0,0,1]
	v_pk_fma_f32 v[0:1], v[20:21], v[14:15], v[0:1] op_sel:[0,0,1] op_sel_hi:[1,0,0]
	ds_load_2addr_b64 v[18:21], v6 offset0:45 offset1:46
	v_mov_b32_e32 v3, v1
	s_delay_alu instid0(VALU_DEP_1) | instskip(SKIP_2) | instid1(VALU_DEP_1)
	v_pk_add_f32 v[216:217], v[216:217], v[2:3] neg_lo:[0,1] neg_hi:[0,1]
	s_wait_dscnt 0x0
	v_dual_mul_f32 v2, v19, v14 :: v_dual_mul_f32 v0, v19, v17
	v_pk_fma_f32 v[2:3], v[18:19], v[132:133], v[2:3] op_sel:[1,0,0] op_sel_hi:[0,1,0]
	s_delay_alu instid0(VALU_DEP_2) | instskip(NEXT) | instid1(VALU_DEP_2)
	v_pk_fma_f32 v[0:1], v[18:19], v[132:133], v[0:1] op_sel_hi:[1,1,0] neg_lo:[0,0,1] neg_hi:[0,0,1]
	v_mov_b32_e32 v1, v3
	s_delay_alu instid0(VALU_DEP_1) | instskip(SKIP_1) | instid1(VALU_DEP_1)
	v_pk_add_f32 v[218:219], v[218:219], v[0:1] neg_lo:[0,1] neg_hi:[0,1]
	v_pk_mul_f32 v[0:1], v[20:21], v[16:17] op_sel:[0,1]
	v_pk_fma_f32 v[2:3], v[20:21], v[14:15], v[0:1] op_sel:[0,0,1] op_sel_hi:[1,1,0] neg_lo:[0,0,1] neg_hi:[0,0,1]
	v_pk_fma_f32 v[0:1], v[20:21], v[14:15], v[0:1] op_sel:[0,0,1] op_sel_hi:[1,0,0]
	ds_load_2addr_b64 v[18:21], v6 offset0:47 offset1:48
	v_mov_b32_e32 v3, v1
	s_delay_alu instid0(VALU_DEP_1) | instskip(SKIP_2) | instid1(VALU_DEP_1)
	v_pk_add_f32 v[220:221], v[220:221], v[2:3] neg_lo:[0,1] neg_hi:[0,1]
	s_wait_dscnt 0x0
	v_pk_mul_f32 v[0:1], v[18:19], v[16:17] op_sel:[0,1]
	v_pk_fma_f32 v[2:3], v[18:19], v[14:15], v[0:1] op_sel:[0,0,1] op_sel_hi:[1,1,0] neg_lo:[0,0,1] neg_hi:[0,0,1]
	v_pk_fma_f32 v[0:1], v[18:19], v[14:15], v[0:1] op_sel:[0,0,1] op_sel_hi:[1,0,0]
	s_delay_alu instid0(VALU_DEP_1) | instskip(SKIP_1) | instid1(VALU_DEP_2)
	v_mov_b32_e32 v3, v1
	v_pk_mul_f32 v[0:1], v[20:21], v[16:17] op_sel:[0,1]
	v_pk_add_f32 v[222:223], v[222:223], v[2:3] neg_lo:[0,1] neg_hi:[0,1]
	s_delay_alu instid0(VALU_DEP_2) | instskip(SKIP_3) | instid1(VALU_DEP_1)
	v_pk_fma_f32 v[2:3], v[20:21], v[14:15], v[0:1] op_sel:[0,0,1] op_sel_hi:[1,1,0] neg_lo:[0,0,1] neg_hi:[0,0,1]
	v_pk_fma_f32 v[0:1], v[20:21], v[14:15], v[0:1] op_sel:[0,0,1] op_sel_hi:[1,0,0]
	ds_load_2addr_b64 v[18:21], v6 offset0:49 offset1:50
	v_mov_b32_e32 v3, v1
	v_pk_add_f32 v[224:225], v[224:225], v[2:3] neg_lo:[0,1] neg_hi:[0,1]
	s_wait_dscnt 0x0
	v_pk_mul_f32 v[0:1], v[18:19], v[16:17] op_sel:[0,1]
	s_delay_alu instid0(VALU_DEP_1) | instskip(SKIP_2) | instid1(VALU_DEP_2)
	v_pk_fma_f32 v[2:3], v[18:19], v[14:15], v[0:1] op_sel:[0,0,1] op_sel_hi:[1,1,0] neg_lo:[0,0,1] neg_hi:[0,0,1]
	v_pk_fma_f32 v[0:1], v[18:19], v[14:15], v[0:1] op_sel:[0,0,1] op_sel_hi:[1,0,0]
	v_dual_mov_b32 v0, v21 :: v_dual_mul_f32 v18, v21, v14
	v_dual_mov_b32 v3, v1 :: v_dual_mov_b32 v1, v20
	s_delay_alu instid0(VALU_DEP_1) | instskip(SKIP_1) | instid1(VALU_DEP_3)
	v_pk_add_f32 v[226:227], v[226:227], v[2:3] neg_lo:[0,1] neg_hi:[0,1]
	v_mul_f32_e32 v2, v21, v17
	v_pk_fma_f32 v[0:1], v[0:1], v[132:133], v[18:19] op_sel_hi:[1,1,0]
	s_delay_alu instid0(VALU_DEP_2) | instskip(SKIP_2) | instid1(VALU_DEP_1)
	v_pk_fma_f32 v[2:3], v[20:21], v[132:133], v[2:3] op_sel_hi:[1,1,0] neg_lo:[0,0,1] neg_hi:[0,0,1]
	ds_load_2addr_b64 v[18:21], v6 offset0:51 offset1:52
	v_mov_b32_e32 v3, v1
	v_pk_add_f32 v[228:229], v[228:229], v[2:3] neg_lo:[0,1] neg_hi:[0,1]
	s_wait_dscnt 0x0
	v_pk_mul_f32 v[0:1], v[18:19], v[16:17] op_sel:[0,1]
	s_delay_alu instid0(VALU_DEP_1) | instskip(SKIP_1) | instid1(VALU_DEP_1)
	v_pk_fma_f32 v[2:3], v[18:19], v[14:15], v[0:1] op_sel:[0,0,1] op_sel_hi:[1,1,0] neg_lo:[0,0,1] neg_hi:[0,0,1]
	v_pk_fma_f32 v[0:1], v[18:19], v[14:15], v[0:1] op_sel:[0,0,1] op_sel_hi:[1,0,0]
	v_mov_b32_e32 v3, v1
	v_pk_mul_f32 v[0:1], v[20:21], v[16:17] op_sel:[0,1]
	s_delay_alu instid0(VALU_DEP_2) | instskip(NEXT) | instid1(VALU_DEP_2)
	v_pk_add_f32 v[230:231], v[230:231], v[2:3] neg_lo:[0,1] neg_hi:[0,1]
	v_pk_fma_f32 v[2:3], v[20:21], v[14:15], v[0:1] op_sel:[0,0,1] op_sel_hi:[1,1,0] neg_lo:[0,0,1] neg_hi:[0,0,1]
	v_pk_fma_f32 v[0:1], v[20:21], v[14:15], v[0:1] op_sel:[0,0,1] op_sel_hi:[1,0,0]
	ds_load_2addr_b64 v[18:21], v6 offset0:53 offset1:54
	v_mov_b32_e32 v3, v1
	s_delay_alu instid0(VALU_DEP_1) | instskip(SKIP_2) | instid1(VALU_DEP_1)
	v_pk_add_f32 v[232:233], v[232:233], v[2:3] neg_lo:[0,1] neg_hi:[0,1]
	s_wait_dscnt 0x0
	v_pk_mul_f32 v[0:1], v[18:19], v[16:17] op_sel:[0,1]
	v_pk_fma_f32 v[2:3], v[18:19], v[14:15], v[0:1] op_sel:[0,0,1] op_sel_hi:[1,1,0] neg_lo:[0,0,1] neg_hi:[0,0,1]
	v_pk_fma_f32 v[0:1], v[18:19], v[14:15], v[0:1] op_sel:[0,0,1] op_sel_hi:[1,0,0]
	s_delay_alu instid0(VALU_DEP_1) | instskip(SKIP_1) | instid1(VALU_DEP_2)
	v_mov_b32_e32 v3, v1
	v_pk_mul_f32 v[0:1], v[20:21], v[16:17] op_sel:[0,1]
	v_pk_add_f32 v[234:235], v[234:235], v[2:3] neg_lo:[0,1] neg_hi:[0,1]
	s_delay_alu instid0(VALU_DEP_2) | instskip(SKIP_3) | instid1(VALU_DEP_1)
	v_pk_fma_f32 v[2:3], v[20:21], v[14:15], v[0:1] op_sel:[0,0,1] op_sel_hi:[1,1,0] neg_lo:[0,0,1] neg_hi:[0,0,1]
	v_pk_fma_f32 v[0:1], v[20:21], v[14:15], v[0:1] op_sel:[0,0,1] op_sel_hi:[1,0,0]
	ds_load_2addr_b64 v[18:21], v6 offset0:55 offset1:56
	v_mov_b32_e32 v3, v1
	v_pk_add_f32 v[236:237], v[236:237], v[2:3] neg_lo:[0,1] neg_hi:[0,1]
	s_wait_dscnt 0x0
	v_dual_mul_f32 v2, v19, v14 :: v_dual_mul_f32 v0, v19, v17
	s_delay_alu instid0(VALU_DEP_1) | instskip(NEXT) | instid1(VALU_DEP_2)
	v_pk_fma_f32 v[2:3], v[18:19], v[132:133], v[2:3] op_sel:[1,0,0] op_sel_hi:[0,1,0]
	v_pk_fma_f32 v[0:1], v[18:19], v[132:133], v[0:1] op_sel_hi:[1,1,0] neg_lo:[0,0,1] neg_hi:[0,0,1]
	s_delay_alu instid0(VALU_DEP_2) | instskip(NEXT) | instid1(VALU_DEP_1)
	v_mov_b32_e32 v1, v3
	v_pk_add_f32 v[238:239], v[238:239], v[0:1] neg_lo:[0,1] neg_hi:[0,1]
	v_pk_mul_f32 v[0:1], v[20:21], v[16:17] op_sel:[0,1]
	s_delay_alu instid0(VALU_DEP_1) | instskip(SKIP_3) | instid1(VALU_DEP_1)
	v_pk_fma_f32 v[2:3], v[20:21], v[14:15], v[0:1] op_sel:[0,0,1] op_sel_hi:[1,1,0] neg_lo:[0,0,1] neg_hi:[0,0,1]
	v_pk_fma_f32 v[0:1], v[20:21], v[14:15], v[0:1] op_sel:[0,0,1] op_sel_hi:[1,0,0]
	ds_load_2addr_b64 v[18:21], v6 offset0:57 offset1:58
	v_mov_b32_e32 v3, v1
	v_pk_add_f32 v[248:249], v[248:249], v[2:3] neg_lo:[0,1] neg_hi:[0,1]
	s_wait_dscnt 0x0
	v_pk_mul_f32 v[0:1], v[18:19], v[16:17] op_sel:[0,1]
	s_delay_alu instid0(VALU_DEP_1) | instskip(SKIP_1) | instid1(VALU_DEP_1)
	v_pk_fma_f32 v[2:3], v[18:19], v[14:15], v[0:1] op_sel:[0,0,1] op_sel_hi:[1,1,0] neg_lo:[0,0,1] neg_hi:[0,0,1]
	v_pk_fma_f32 v[0:1], v[18:19], v[14:15], v[0:1] op_sel:[0,0,1] op_sel_hi:[1,0,0]
	v_mov_b32_e32 v3, v1
	v_pk_mul_f32 v[0:1], v[20:21], v[16:17] op_sel:[0,1]
	s_delay_alu instid0(VALU_DEP_2) | instskip(NEXT) | instid1(VALU_DEP_2)
	v_pk_add_f32 v[242:243], v[242:243], v[2:3] neg_lo:[0,1] neg_hi:[0,1]
	v_pk_fma_f32 v[2:3], v[20:21], v[14:15], v[0:1] op_sel:[0,0,1] op_sel_hi:[1,1,0] neg_lo:[0,0,1] neg_hi:[0,0,1]
	v_pk_fma_f32 v[0:1], v[20:21], v[14:15], v[0:1] op_sel:[0,0,1] op_sel_hi:[1,0,0]
	ds_load_2addr_b64 v[18:21], v6 offset0:59 offset1:60
	v_mov_b32_e32 v3, v1
	s_delay_alu instid0(VALU_DEP_1) | instskip(SKIP_2) | instid1(VALU_DEP_1)
	v_pk_add_f32 v[246:247], v[246:247], v[2:3] neg_lo:[0,1] neg_hi:[0,1]
	s_wait_dscnt 0x0
	v_pk_mul_f32 v[0:1], v[18:19], v[16:17] op_sel:[0,1]
	v_pk_fma_f32 v[2:3], v[18:19], v[14:15], v[0:1] op_sel:[0,0,1] op_sel_hi:[1,1,0] neg_lo:[0,0,1] neg_hi:[0,0,1]
	v_pk_fma_f32 v[0:1], v[18:19], v[14:15], v[0:1] op_sel:[0,0,1] op_sel_hi:[1,0,0]
	v_dual_mov_b32 v0, v21 :: v_dual_mul_f32 v18, v21, v14
	s_delay_alu instid0(VALU_DEP_2) | instskip(NEXT) | instid1(VALU_DEP_1)
	v_dual_mov_b32 v3, v1 :: v_dual_mov_b32 v1, v20
	v_pk_add_f32 v[240:241], v[240:241], v[2:3] neg_lo:[0,1] neg_hi:[0,1]
	v_mul_f32_e32 v2, v21, v17
	s_delay_alu instid0(VALU_DEP_3) | instskip(NEXT) | instid1(VALU_DEP_2)
	v_pk_fma_f32 v[0:1], v[0:1], v[132:133], v[18:19] op_sel_hi:[1,1,0]
	v_pk_fma_f32 v[2:3], v[20:21], v[132:133], v[2:3] op_sel_hi:[1,1,0] neg_lo:[0,0,1] neg_hi:[0,0,1]
	ds_load_2addr_b64 v[18:21], v6 offset0:61 offset1:62
	v_mov_b32_e32 v3, v1
	s_delay_alu instid0(VALU_DEP_1) | instskip(SKIP_2) | instid1(VALU_DEP_1)
	v_pk_add_f32 v[244:245], v[244:245], v[2:3] neg_lo:[0,1] neg_hi:[0,1]
	s_wait_dscnt 0x0
	v_pk_mul_f32 v[0:1], v[18:19], v[16:17] op_sel:[0,1]
	v_pk_fma_f32 v[2:3], v[18:19], v[14:15], v[0:1] op_sel:[0,0,1] op_sel_hi:[1,1,0] neg_lo:[0,0,1] neg_hi:[0,0,1]
	v_pk_fma_f32 v[0:1], v[18:19], v[14:15], v[0:1] op_sel:[0,0,1] op_sel_hi:[1,0,0]
	s_delay_alu instid0(VALU_DEP_1) | instskip(SKIP_1) | instid1(VALU_DEP_2)
	v_mov_b32_e32 v3, v1
	v_pk_mul_f32 v[0:1], v[20:21], v[16:17] op_sel:[0,1]
	v_pk_add_f32 v[250:251], v[250:251], v[2:3] neg_lo:[0,1] neg_hi:[0,1]
	s_delay_alu instid0(VALU_DEP_2) | instskip(SKIP_1) | instid1(VALU_DEP_1)
	v_pk_fma_f32 v[2:3], v[20:21], v[14:15], v[0:1] op_sel:[0,0,1] op_sel_hi:[1,1,0] neg_lo:[0,0,1] neg_hi:[0,0,1]
	v_pk_fma_f32 v[0:1], v[20:21], v[14:15], v[0:1] op_sel:[0,0,1] op_sel_hi:[1,0,0]
	v_mov_b32_e32 v3, v1
	s_delay_alu instid0(VALU_DEP_1)
	v_pk_add_f32 v[252:253], v[252:253], v[2:3] neg_lo:[0,1] neg_hi:[0,1]
.LBB125_64:
	s_or_b32 exec_lo, exec_lo, s1
	s_delay_alu instid0(SALU_CYCLE_1)
	s_mov_b32 s2, exec_lo
	s_wait_dscnt 0x0
	s_barrier_signal -1
	s_barrier_wait -1
	v_cmpx_eq_u32_e32 7, v254
	s_cbranch_execz .LBB125_71
; %bb.65:
	v_dual_mov_b32 v0, v136 :: v_dual_mov_b32 v1, v137
	v_dual_mov_b32 v2, v146 :: v_dual_mov_b32 v3, v147
	ds_store_b64 v255, v[128:129]
	ds_store_2addr_b64 v6, v[0:1], v[2:3] offset0:8 offset1:9
	v_dual_mov_b32 v0, v148 :: v_dual_mov_b32 v1, v149
	v_dual_mov_b32 v2, v150 :: v_dual_mov_b32 v3, v151
	ds_store_2addr_b64 v6, v[0:1], v[2:3] offset0:10 offset1:11
	v_dual_mov_b32 v0, v152 :: v_dual_mov_b32 v1, v153
	v_dual_mov_b32 v2, v154 :: v_dual_mov_b32 v3, v155
	;; [unrolled: 3-line block ×26, first 2 shown]
	ds_store_2addr_b64 v6, v[0:1], v[2:3] offset0:60 offset1:61
	ds_store_b64 v6, v[252:253] offset:496
	ds_load_b64 v[14:15], v255
	s_wait_dscnt 0x0
	v_cmp_neq_f32_e32 vcc_lo, 0, v14
	v_cmp_neq_f32_e64 s1, 0, v15
	s_or_b32 s1, vcc_lo, s1
	s_delay_alu instid0(SALU_CYCLE_1)
	s_and_b32 exec_lo, exec_lo, s1
	s_cbranch_execz .LBB125_71
; %bb.66:
	v_cmp_ngt_f32_e64 s1, |v14|, |v15|
                                        ; implicit-def: $vgpr16_vgpr17
	s_and_saveexec_b32 s4, s1
	s_delay_alu instid0(SALU_CYCLE_1)
	s_xor_b32 s1, exec_lo, s4
	s_cbranch_execz .LBB125_68
; %bb.67:
	v_div_scale_f32 v0, null, v15, v15, v14
	v_div_scale_f32 v3, vcc_lo, v14, v15, v14
	s_delay_alu instid0(VALU_DEP_2) | instskip(SKIP_1) | instid1(TRANS32_DEP_1)
	v_rcp_f32_e32 v1, v0
	v_nop
	v_fma_f32 v2, -v0, v1, 1.0
	s_delay_alu instid0(VALU_DEP_1) | instskip(NEXT) | instid1(VALU_DEP_1)
	v_fmac_f32_e32 v1, v2, v1
	v_mul_f32_e32 v2, v3, v1
	s_delay_alu instid0(VALU_DEP_1) | instskip(NEXT) | instid1(VALU_DEP_1)
	v_fma_f32 v4, -v0, v2, v3
	v_fmac_f32_e32 v2, v4, v1
	s_delay_alu instid0(VALU_DEP_1) | instskip(NEXT) | instid1(VALU_DEP_1)
	v_fma_f32 v0, -v0, v2, v3
	v_div_fmas_f32 v0, v0, v1, v2
	s_delay_alu instid0(VALU_DEP_1) | instskip(NEXT) | instid1(VALU_DEP_1)
	v_div_fixup_f32 v0, v0, v15, v14
	v_fmac_f32_e32 v15, v14, v0
	s_delay_alu instid0(VALU_DEP_1) | instskip(SKIP_1) | instid1(VALU_DEP_2)
	v_div_scale_f32 v1, null, v15, v15, 1.0
	v_div_scale_f32 v4, vcc_lo, 1.0, v15, 1.0
	v_rcp_f32_e32 v2, v1
	v_nop
	s_delay_alu instid0(TRANS32_DEP_1) | instskip(NEXT) | instid1(VALU_DEP_1)
	v_fma_f32 v3, -v1, v2, 1.0
	v_fmac_f32_e32 v2, v3, v2
	s_delay_alu instid0(VALU_DEP_1) | instskip(NEXT) | instid1(VALU_DEP_1)
	v_mul_f32_e32 v3, v4, v2
	v_fma_f32 v5, -v1, v3, v4
	s_delay_alu instid0(VALU_DEP_1) | instskip(NEXT) | instid1(VALU_DEP_1)
	v_fmac_f32_e32 v3, v5, v2
	v_fma_f32 v1, -v1, v3, v4
	s_delay_alu instid0(VALU_DEP_1) | instskip(NEXT) | instid1(VALU_DEP_1)
	v_div_fmas_f32 v1, v1, v2, v3
	v_div_fixup_f32 v1, v1, v15, 1.0
                                        ; implicit-def: $vgpr14_vgpr15
	s_delay_alu instid0(VALU_DEP_1)
	v_mul_f32_e32 v16, v0, v1
	v_xor_b32_e32 v17, 0x80000000, v1
.LBB125_68:
	s_and_not1_saveexec_b32 s1, s1
	s_cbranch_execz .LBB125_70
; %bb.69:
	v_div_scale_f32 v0, null, v14, v14, v15
	v_div_scale_f32 v3, vcc_lo, v15, v14, v15
	s_delay_alu instid0(VALU_DEP_2) | instskip(SKIP_1) | instid1(TRANS32_DEP_1)
	v_rcp_f32_e32 v1, v0
	v_nop
	v_fma_f32 v2, -v0, v1, 1.0
	s_delay_alu instid0(VALU_DEP_1) | instskip(NEXT) | instid1(VALU_DEP_1)
	v_fmac_f32_e32 v1, v2, v1
	v_mul_f32_e32 v2, v3, v1
	s_delay_alu instid0(VALU_DEP_1) | instskip(NEXT) | instid1(VALU_DEP_1)
	v_fma_f32 v4, -v0, v2, v3
	v_fmac_f32_e32 v2, v4, v1
	s_delay_alu instid0(VALU_DEP_1) | instskip(NEXT) | instid1(VALU_DEP_1)
	v_fma_f32 v0, -v0, v2, v3
	v_div_fmas_f32 v0, v0, v1, v2
	s_delay_alu instid0(VALU_DEP_1) | instskip(NEXT) | instid1(VALU_DEP_1)
	v_div_fixup_f32 v0, v0, v14, v15
	v_fmac_f32_e32 v14, v15, v0
	s_delay_alu instid0(VALU_DEP_1) | instskip(NEXT) | instid1(VALU_DEP_1)
	v_div_scale_f32 v1, null, v14, v14, 1.0
	v_rcp_f32_e32 v2, v1
	v_nop
	s_delay_alu instid0(TRANS32_DEP_1) | instskip(NEXT) | instid1(VALU_DEP_1)
	v_fma_f32 v3, -v1, v2, 1.0
	v_fmac_f32_e32 v2, v3, v2
	v_div_scale_f32 v3, vcc_lo, 1.0, v14, 1.0
	s_delay_alu instid0(VALU_DEP_1) | instskip(NEXT) | instid1(VALU_DEP_1)
	v_mul_f32_e32 v4, v3, v2
	v_fma_f32 v5, -v1, v4, v3
	s_delay_alu instid0(VALU_DEP_1) | instskip(NEXT) | instid1(VALU_DEP_1)
	v_fmac_f32_e32 v4, v5, v2
	v_fma_f32 v1, -v1, v4, v3
	s_delay_alu instid0(VALU_DEP_1) | instskip(NEXT) | instid1(VALU_DEP_1)
	v_div_fmas_f32 v1, v1, v2, v4
	v_div_fixup_f32 v16, v1, v14, 1.0
	s_delay_alu instid0(VALU_DEP_1)
	v_mul_f32_e64 v17, v0, -v16
.LBB125_70:
	s_or_b32 exec_lo, exec_lo, s1
	ds_store_b64 v255, v[16:17]
.LBB125_71:
	s_or_b32 exec_lo, exec_lo, s2
	s_wait_dscnt 0x0
	s_barrier_signal -1
	s_barrier_wait -1
	ds_load_b64 v[14:15], v255
	s_mov_b32 s1, exec_lo
	v_cmpx_lt_u32_e32 7, v254
	s_cbranch_execz .LBB125_73
; %bb.72:
	ds_load_2addr_b64 v[20:23], v6 offset0:8 offset1:9
	s_wait_dscnt 0x1
	v_pk_mul_f32 v[0:1], v[14:15], v[128:129] op_sel:[1,1] op_sel_hi:[0,1]
	s_delay_alu instid0(VALU_DEP_1) | instskip(SKIP_1) | instid1(VALU_DEP_1)
	v_pk_fma_f32 v[18:19], v[14:15], v[128:129], v[0:1] op_sel_hi:[1,0,1]
	v_pk_fma_f32 v[16:17], v[14:15], v[128:129], v[0:1] op_sel_hi:[1,0,1] neg_lo:[0,0,1] neg_hi:[0,0,1]
	v_dual_mov_b32 v129, v19 :: v_dual_mov_b32 v128, v16
	s_wait_dscnt 0x0
	s_delay_alu instid0(VALU_DEP_3) | instskip(NEXT) | instid1(VALU_DEP_1)
	v_pk_mul_f32 v[0:1], v[20:21], v[18:19] op_sel:[0,1]
	v_pk_fma_f32 v[2:3], v[20:21], v[16:17], v[0:1] op_sel:[0,0,1] op_sel_hi:[1,1,0] neg_lo:[0,0,1] neg_hi:[0,0,1]
	v_pk_fma_f32 v[0:1], v[20:21], v[16:17], v[0:1] op_sel:[0,0,1] op_sel_hi:[1,0,0]
	s_delay_alu instid0(VALU_DEP_1) | instskip(SKIP_1) | instid1(VALU_DEP_2)
	v_mov_b32_e32 v3, v1
	v_pk_mul_f32 v[0:1], v[22:23], v[18:19] op_sel:[0,1]
	v_pk_add_f32 v[136:137], v[136:137], v[2:3] neg_lo:[0,1] neg_hi:[0,1]
	s_delay_alu instid0(VALU_DEP_2) | instskip(SKIP_3) | instid1(VALU_DEP_1)
	v_pk_fma_f32 v[2:3], v[22:23], v[16:17], v[0:1] op_sel:[0,0,1] op_sel_hi:[1,1,0] neg_lo:[0,0,1] neg_hi:[0,0,1]
	v_pk_fma_f32 v[0:1], v[22:23], v[16:17], v[0:1] op_sel:[0,0,1] op_sel_hi:[1,0,0]
	ds_load_2addr_b64 v[20:23], v6 offset0:10 offset1:11
	v_mov_b32_e32 v3, v1
	v_pk_add_f32 v[146:147], v[146:147], v[2:3] neg_lo:[0,1] neg_hi:[0,1]
	s_wait_dscnt 0x0
	v_pk_mul_f32 v[0:1], v[20:21], v[18:19] op_sel:[0,1]
	s_delay_alu instid0(VALU_DEP_1) | instskip(SKIP_2) | instid1(VALU_DEP_2)
	v_pk_fma_f32 v[2:3], v[20:21], v[16:17], v[0:1] op_sel:[0,0,1] op_sel_hi:[1,1,0] neg_lo:[0,0,1] neg_hi:[0,0,1]
	v_pk_fma_f32 v[0:1], v[20:21], v[16:17], v[0:1] op_sel:[0,0,1] op_sel_hi:[1,0,0]
	v_dual_mov_b32 v0, v23 :: v_dual_mul_f32 v20, v23, v16
	v_dual_mov_b32 v3, v1 :: v_dual_mov_b32 v1, v22
	s_delay_alu instid0(VALU_DEP_1) | instskip(SKIP_1) | instid1(VALU_DEP_3)
	v_pk_add_f32 v[148:149], v[148:149], v[2:3] neg_lo:[0,1] neg_hi:[0,1]
	v_mul_f32_e32 v2, v23, v19
	v_pk_fma_f32 v[0:1], v[0:1], v[128:129], v[20:21] op_sel_hi:[1,1,0]
	s_delay_alu instid0(VALU_DEP_2) | instskip(SKIP_2) | instid1(VALU_DEP_1)
	v_pk_fma_f32 v[2:3], v[22:23], v[128:129], v[2:3] op_sel_hi:[1,1,0] neg_lo:[0,0,1] neg_hi:[0,0,1]
	ds_load_2addr_b64 v[20:23], v6 offset0:12 offset1:13
	v_mov_b32_e32 v3, v1
	v_pk_add_f32 v[150:151], v[150:151], v[2:3] neg_lo:[0,1] neg_hi:[0,1]
	s_wait_dscnt 0x0
	v_pk_mul_f32 v[0:1], v[20:21], v[18:19] op_sel:[0,1]
	s_delay_alu instid0(VALU_DEP_1) | instskip(SKIP_1) | instid1(VALU_DEP_1)
	v_pk_fma_f32 v[2:3], v[20:21], v[16:17], v[0:1] op_sel:[0,0,1] op_sel_hi:[1,1,0] neg_lo:[0,0,1] neg_hi:[0,0,1]
	v_pk_fma_f32 v[0:1], v[20:21], v[16:17], v[0:1] op_sel:[0,0,1] op_sel_hi:[1,0,0]
	v_mov_b32_e32 v3, v1
	v_pk_mul_f32 v[0:1], v[22:23], v[18:19] op_sel:[0,1]
	s_delay_alu instid0(VALU_DEP_2) | instskip(NEXT) | instid1(VALU_DEP_2)
	v_pk_add_f32 v[152:153], v[152:153], v[2:3] neg_lo:[0,1] neg_hi:[0,1]
	v_pk_fma_f32 v[2:3], v[22:23], v[16:17], v[0:1] op_sel:[0,0,1] op_sel_hi:[1,1,0] neg_lo:[0,0,1] neg_hi:[0,0,1]
	v_pk_fma_f32 v[0:1], v[22:23], v[16:17], v[0:1] op_sel:[0,0,1] op_sel_hi:[1,0,0]
	ds_load_2addr_b64 v[20:23], v6 offset0:14 offset1:15
	v_mov_b32_e32 v3, v1
	s_delay_alu instid0(VALU_DEP_1) | instskip(SKIP_2) | instid1(VALU_DEP_1)
	v_pk_add_f32 v[154:155], v[154:155], v[2:3] neg_lo:[0,1] neg_hi:[0,1]
	s_wait_dscnt 0x0
	v_pk_mul_f32 v[0:1], v[20:21], v[18:19] op_sel:[0,1]
	v_pk_fma_f32 v[2:3], v[20:21], v[16:17], v[0:1] op_sel:[0,0,1] op_sel_hi:[1,1,0] neg_lo:[0,0,1] neg_hi:[0,0,1]
	v_pk_fma_f32 v[0:1], v[20:21], v[16:17], v[0:1] op_sel:[0,0,1] op_sel_hi:[1,0,0]
	s_delay_alu instid0(VALU_DEP_1) | instskip(SKIP_1) | instid1(VALU_DEP_2)
	v_mov_b32_e32 v3, v1
	v_pk_mul_f32 v[0:1], v[22:23], v[18:19] op_sel:[0,1]
	v_pk_add_f32 v[156:157], v[156:157], v[2:3] neg_lo:[0,1] neg_hi:[0,1]
	s_delay_alu instid0(VALU_DEP_2) | instskip(SKIP_3) | instid1(VALU_DEP_1)
	v_pk_fma_f32 v[2:3], v[22:23], v[16:17], v[0:1] op_sel:[0,0,1] op_sel_hi:[1,1,0] neg_lo:[0,0,1] neg_hi:[0,0,1]
	v_pk_fma_f32 v[0:1], v[22:23], v[16:17], v[0:1] op_sel:[0,0,1] op_sel_hi:[1,0,0]
	ds_load_2addr_b64 v[20:23], v6 offset0:16 offset1:17
	v_mov_b32_e32 v3, v1
	v_pk_add_f32 v[158:159], v[158:159], v[2:3] neg_lo:[0,1] neg_hi:[0,1]
	s_wait_dscnt 0x0
	v_dual_mul_f32 v0, v21, v19 :: v_dual_mul_f32 v2, v21, v16
	s_delay_alu instid0(VALU_DEP_1) | instskip(NEXT) | instid1(VALU_DEP_2)
	v_pk_fma_f32 v[0:1], v[20:21], v[128:129], v[0:1] op_sel_hi:[1,1,0] neg_lo:[0,0,1] neg_hi:[0,0,1]
	v_pk_fma_f32 v[2:3], v[20:21], v[128:129], v[2:3] op_sel:[1,0,0] op_sel_hi:[0,1,0]
	s_delay_alu instid0(VALU_DEP_1) | instskip(NEXT) | instid1(VALU_DEP_1)
	v_mov_b32_e32 v1, v3
	v_pk_add_f32 v[160:161], v[160:161], v[0:1] neg_lo:[0,1] neg_hi:[0,1]
	v_pk_mul_f32 v[0:1], v[22:23], v[18:19] op_sel:[0,1]
	s_delay_alu instid0(VALU_DEP_1) | instskip(SKIP_3) | instid1(VALU_DEP_1)
	v_pk_fma_f32 v[2:3], v[22:23], v[16:17], v[0:1] op_sel:[0,0,1] op_sel_hi:[1,1,0] neg_lo:[0,0,1] neg_hi:[0,0,1]
	v_pk_fma_f32 v[0:1], v[22:23], v[16:17], v[0:1] op_sel:[0,0,1] op_sel_hi:[1,0,0]
	ds_load_2addr_b64 v[20:23], v6 offset0:18 offset1:19
	v_mov_b32_e32 v3, v1
	v_pk_add_f32 v[162:163], v[162:163], v[2:3] neg_lo:[0,1] neg_hi:[0,1]
	s_wait_dscnt 0x0
	v_pk_mul_f32 v[0:1], v[20:21], v[18:19] op_sel:[0,1]
	s_delay_alu instid0(VALU_DEP_1) | instskip(SKIP_1) | instid1(VALU_DEP_1)
	v_pk_fma_f32 v[2:3], v[20:21], v[16:17], v[0:1] op_sel:[0,0,1] op_sel_hi:[1,1,0] neg_lo:[0,0,1] neg_hi:[0,0,1]
	v_pk_fma_f32 v[0:1], v[20:21], v[16:17], v[0:1] op_sel:[0,0,1] op_sel_hi:[1,0,0]
	v_mov_b32_e32 v3, v1
	v_pk_mul_f32 v[0:1], v[22:23], v[18:19] op_sel:[0,1]
	s_delay_alu instid0(VALU_DEP_2) | instskip(NEXT) | instid1(VALU_DEP_2)
	v_pk_add_f32 v[164:165], v[164:165], v[2:3] neg_lo:[0,1] neg_hi:[0,1]
	v_pk_fma_f32 v[2:3], v[22:23], v[16:17], v[0:1] op_sel:[0,0,1] op_sel_hi:[1,1,0] neg_lo:[0,0,1] neg_hi:[0,0,1]
	v_pk_fma_f32 v[0:1], v[22:23], v[16:17], v[0:1] op_sel:[0,0,1] op_sel_hi:[1,0,0]
	ds_load_2addr_b64 v[20:23], v6 offset0:20 offset1:21
	v_mov_b32_e32 v3, v1
	s_delay_alu instid0(VALU_DEP_1) | instskip(SKIP_2) | instid1(VALU_DEP_1)
	v_pk_add_f32 v[166:167], v[166:167], v[2:3] neg_lo:[0,1] neg_hi:[0,1]
	s_wait_dscnt 0x0
	v_pk_mul_f32 v[0:1], v[20:21], v[18:19] op_sel:[0,1]
	v_pk_fma_f32 v[2:3], v[20:21], v[16:17], v[0:1] op_sel:[0,0,1] op_sel_hi:[1,1,0] neg_lo:[0,0,1] neg_hi:[0,0,1]
	v_pk_fma_f32 v[0:1], v[20:21], v[16:17], v[0:1] op_sel:[0,0,1] op_sel_hi:[1,0,0]
	v_dual_mov_b32 v0, v23 :: v_dual_mul_f32 v20, v23, v16
	s_delay_alu instid0(VALU_DEP_2) | instskip(NEXT) | instid1(VALU_DEP_1)
	v_dual_mov_b32 v3, v1 :: v_dual_mov_b32 v1, v22
	v_pk_add_f32 v[168:169], v[168:169], v[2:3] neg_lo:[0,1] neg_hi:[0,1]
	v_mul_f32_e32 v2, v23, v19
	s_delay_alu instid0(VALU_DEP_3) | instskip(NEXT) | instid1(VALU_DEP_2)
	v_pk_fma_f32 v[0:1], v[0:1], v[128:129], v[20:21] op_sel_hi:[1,1,0]
	v_pk_fma_f32 v[2:3], v[22:23], v[128:129], v[2:3] op_sel_hi:[1,1,0] neg_lo:[0,0,1] neg_hi:[0,0,1]
	ds_load_2addr_b64 v[20:23], v6 offset0:22 offset1:23
	v_mov_b32_e32 v3, v1
	s_delay_alu instid0(VALU_DEP_1) | instskip(SKIP_2) | instid1(VALU_DEP_1)
	v_pk_add_f32 v[170:171], v[170:171], v[2:3] neg_lo:[0,1] neg_hi:[0,1]
	s_wait_dscnt 0x0
	v_pk_mul_f32 v[0:1], v[20:21], v[18:19] op_sel:[0,1]
	v_pk_fma_f32 v[2:3], v[20:21], v[16:17], v[0:1] op_sel:[0,0,1] op_sel_hi:[1,1,0] neg_lo:[0,0,1] neg_hi:[0,0,1]
	v_pk_fma_f32 v[0:1], v[20:21], v[16:17], v[0:1] op_sel:[0,0,1] op_sel_hi:[1,0,0]
	s_delay_alu instid0(VALU_DEP_1) | instskip(SKIP_1) | instid1(VALU_DEP_2)
	v_mov_b32_e32 v3, v1
	v_pk_mul_f32 v[0:1], v[22:23], v[18:19] op_sel:[0,1]
	v_pk_add_f32 v[172:173], v[172:173], v[2:3] neg_lo:[0,1] neg_hi:[0,1]
	s_delay_alu instid0(VALU_DEP_2) | instskip(SKIP_3) | instid1(VALU_DEP_1)
	v_pk_fma_f32 v[2:3], v[22:23], v[16:17], v[0:1] op_sel:[0,0,1] op_sel_hi:[1,1,0] neg_lo:[0,0,1] neg_hi:[0,0,1]
	v_pk_fma_f32 v[0:1], v[22:23], v[16:17], v[0:1] op_sel:[0,0,1] op_sel_hi:[1,0,0]
	ds_load_2addr_b64 v[20:23], v6 offset0:24 offset1:25
	v_mov_b32_e32 v3, v1
	v_pk_add_f32 v[174:175], v[174:175], v[2:3] neg_lo:[0,1] neg_hi:[0,1]
	s_wait_dscnt 0x0
	v_pk_mul_f32 v[0:1], v[20:21], v[18:19] op_sel:[0,1]
	s_delay_alu instid0(VALU_DEP_1) | instskip(SKIP_1) | instid1(VALU_DEP_1)
	v_pk_fma_f32 v[2:3], v[20:21], v[16:17], v[0:1] op_sel:[0,0,1] op_sel_hi:[1,1,0] neg_lo:[0,0,1] neg_hi:[0,0,1]
	v_pk_fma_f32 v[0:1], v[20:21], v[16:17], v[0:1] op_sel:[0,0,1] op_sel_hi:[1,0,0]
	v_mov_b32_e32 v3, v1
	v_pk_mul_f32 v[0:1], v[22:23], v[18:19] op_sel:[0,1]
	s_delay_alu instid0(VALU_DEP_2) | instskip(NEXT) | instid1(VALU_DEP_2)
	v_pk_add_f32 v[176:177], v[176:177], v[2:3] neg_lo:[0,1] neg_hi:[0,1]
	v_pk_fma_f32 v[2:3], v[22:23], v[16:17], v[0:1] op_sel:[0,0,1] op_sel_hi:[1,1,0] neg_lo:[0,0,1] neg_hi:[0,0,1]
	v_pk_fma_f32 v[0:1], v[22:23], v[16:17], v[0:1] op_sel:[0,0,1] op_sel_hi:[1,0,0]
	ds_load_2addr_b64 v[20:23], v6 offset0:26 offset1:27
	v_mov_b32_e32 v3, v1
	s_delay_alu instid0(VALU_DEP_1) | instskip(SKIP_2) | instid1(VALU_DEP_1)
	v_pk_add_f32 v[178:179], v[178:179], v[2:3] neg_lo:[0,1] neg_hi:[0,1]
	s_wait_dscnt 0x0
	v_dual_mul_f32 v2, v21, v16 :: v_dual_mul_f32 v0, v21, v19
	v_pk_fma_f32 v[2:3], v[20:21], v[128:129], v[2:3] op_sel:[1,0,0] op_sel_hi:[0,1,0]
	s_delay_alu instid0(VALU_DEP_2) | instskip(NEXT) | instid1(VALU_DEP_2)
	v_pk_fma_f32 v[0:1], v[20:21], v[128:129], v[0:1] op_sel_hi:[1,1,0] neg_lo:[0,0,1] neg_hi:[0,0,1]
	v_mov_b32_e32 v1, v3
	s_delay_alu instid0(VALU_DEP_1) | instskip(SKIP_1) | instid1(VALU_DEP_1)
	v_pk_add_f32 v[180:181], v[180:181], v[0:1] neg_lo:[0,1] neg_hi:[0,1]
	v_pk_mul_f32 v[0:1], v[22:23], v[18:19] op_sel:[0,1]
	v_pk_fma_f32 v[2:3], v[22:23], v[16:17], v[0:1] op_sel:[0,0,1] op_sel_hi:[1,1,0] neg_lo:[0,0,1] neg_hi:[0,0,1]
	v_pk_fma_f32 v[0:1], v[22:23], v[16:17], v[0:1] op_sel:[0,0,1] op_sel_hi:[1,0,0]
	ds_load_2addr_b64 v[20:23], v6 offset0:28 offset1:29
	v_mov_b32_e32 v3, v1
	s_delay_alu instid0(VALU_DEP_1) | instskip(SKIP_2) | instid1(VALU_DEP_1)
	v_pk_add_f32 v[182:183], v[182:183], v[2:3] neg_lo:[0,1] neg_hi:[0,1]
	s_wait_dscnt 0x0
	v_pk_mul_f32 v[0:1], v[20:21], v[18:19] op_sel:[0,1]
	v_pk_fma_f32 v[2:3], v[20:21], v[16:17], v[0:1] op_sel:[0,0,1] op_sel_hi:[1,1,0] neg_lo:[0,0,1] neg_hi:[0,0,1]
	v_pk_fma_f32 v[0:1], v[20:21], v[16:17], v[0:1] op_sel:[0,0,1] op_sel_hi:[1,0,0]
	s_delay_alu instid0(VALU_DEP_1) | instskip(SKIP_1) | instid1(VALU_DEP_2)
	v_mov_b32_e32 v3, v1
	v_pk_mul_f32 v[0:1], v[22:23], v[18:19] op_sel:[0,1]
	v_pk_add_f32 v[184:185], v[184:185], v[2:3] neg_lo:[0,1] neg_hi:[0,1]
	s_delay_alu instid0(VALU_DEP_2) | instskip(SKIP_3) | instid1(VALU_DEP_1)
	v_pk_fma_f32 v[2:3], v[22:23], v[16:17], v[0:1] op_sel:[0,0,1] op_sel_hi:[1,1,0] neg_lo:[0,0,1] neg_hi:[0,0,1]
	v_pk_fma_f32 v[0:1], v[22:23], v[16:17], v[0:1] op_sel:[0,0,1] op_sel_hi:[1,0,0]
	ds_load_2addr_b64 v[20:23], v6 offset0:30 offset1:31
	v_mov_b32_e32 v3, v1
	v_pk_add_f32 v[186:187], v[186:187], v[2:3] neg_lo:[0,1] neg_hi:[0,1]
	s_wait_dscnt 0x0
	v_pk_mul_f32 v[0:1], v[20:21], v[18:19] op_sel:[0,1]
	s_delay_alu instid0(VALU_DEP_1) | instskip(SKIP_2) | instid1(VALU_DEP_2)
	v_pk_fma_f32 v[2:3], v[20:21], v[16:17], v[0:1] op_sel:[0,0,1] op_sel_hi:[1,1,0] neg_lo:[0,0,1] neg_hi:[0,0,1]
	v_pk_fma_f32 v[0:1], v[20:21], v[16:17], v[0:1] op_sel:[0,0,1] op_sel_hi:[1,0,0]
	v_dual_mov_b32 v0, v23 :: v_dual_mul_f32 v20, v23, v16
	v_dual_mov_b32 v3, v1 :: v_dual_mov_b32 v1, v22
	s_delay_alu instid0(VALU_DEP_1) | instskip(SKIP_1) | instid1(VALU_DEP_3)
	v_pk_add_f32 v[188:189], v[188:189], v[2:3] neg_lo:[0,1] neg_hi:[0,1]
	v_mul_f32_e32 v2, v23, v19
	v_pk_fma_f32 v[0:1], v[0:1], v[128:129], v[20:21] op_sel_hi:[1,1,0]
	s_delay_alu instid0(VALU_DEP_2) | instskip(SKIP_2) | instid1(VALU_DEP_1)
	v_pk_fma_f32 v[2:3], v[22:23], v[128:129], v[2:3] op_sel_hi:[1,1,0] neg_lo:[0,0,1] neg_hi:[0,0,1]
	ds_load_2addr_b64 v[20:23], v6 offset0:32 offset1:33
	v_mov_b32_e32 v3, v1
	v_pk_add_f32 v[190:191], v[190:191], v[2:3] neg_lo:[0,1] neg_hi:[0,1]
	s_wait_dscnt 0x0
	v_pk_mul_f32 v[0:1], v[20:21], v[18:19] op_sel:[0,1]
	s_delay_alu instid0(VALU_DEP_1) | instskip(SKIP_1) | instid1(VALU_DEP_1)
	v_pk_fma_f32 v[2:3], v[20:21], v[16:17], v[0:1] op_sel:[0,0,1] op_sel_hi:[1,1,0] neg_lo:[0,0,1] neg_hi:[0,0,1]
	v_pk_fma_f32 v[0:1], v[20:21], v[16:17], v[0:1] op_sel:[0,0,1] op_sel_hi:[1,0,0]
	v_mov_b32_e32 v3, v1
	v_pk_mul_f32 v[0:1], v[22:23], v[18:19] op_sel:[0,1]
	s_delay_alu instid0(VALU_DEP_2) | instskip(NEXT) | instid1(VALU_DEP_2)
	v_pk_add_f32 v[192:193], v[192:193], v[2:3] neg_lo:[0,1] neg_hi:[0,1]
	v_pk_fma_f32 v[2:3], v[22:23], v[16:17], v[0:1] op_sel:[0,0,1] op_sel_hi:[1,1,0] neg_lo:[0,0,1] neg_hi:[0,0,1]
	v_pk_fma_f32 v[0:1], v[22:23], v[16:17], v[0:1] op_sel:[0,0,1] op_sel_hi:[1,0,0]
	ds_load_2addr_b64 v[20:23], v6 offset0:34 offset1:35
	v_mov_b32_e32 v3, v1
	s_delay_alu instid0(VALU_DEP_1) | instskip(SKIP_2) | instid1(VALU_DEP_1)
	v_pk_add_f32 v[194:195], v[194:195], v[2:3] neg_lo:[0,1] neg_hi:[0,1]
	s_wait_dscnt 0x0
	v_pk_mul_f32 v[0:1], v[20:21], v[18:19] op_sel:[0,1]
	v_pk_fma_f32 v[2:3], v[20:21], v[16:17], v[0:1] op_sel:[0,0,1] op_sel_hi:[1,1,0] neg_lo:[0,0,1] neg_hi:[0,0,1]
	v_pk_fma_f32 v[0:1], v[20:21], v[16:17], v[0:1] op_sel:[0,0,1] op_sel_hi:[1,0,0]
	s_delay_alu instid0(VALU_DEP_1) | instskip(SKIP_1) | instid1(VALU_DEP_2)
	v_mov_b32_e32 v3, v1
	v_pk_mul_f32 v[0:1], v[22:23], v[18:19] op_sel:[0,1]
	v_pk_add_f32 v[196:197], v[196:197], v[2:3] neg_lo:[0,1] neg_hi:[0,1]
	s_delay_alu instid0(VALU_DEP_2) | instskip(SKIP_3) | instid1(VALU_DEP_1)
	v_pk_fma_f32 v[2:3], v[22:23], v[16:17], v[0:1] op_sel:[0,0,1] op_sel_hi:[1,1,0] neg_lo:[0,0,1] neg_hi:[0,0,1]
	v_pk_fma_f32 v[0:1], v[22:23], v[16:17], v[0:1] op_sel:[0,0,1] op_sel_hi:[1,0,0]
	ds_load_2addr_b64 v[20:23], v6 offset0:36 offset1:37
	v_mov_b32_e32 v3, v1
	v_pk_add_f32 v[198:199], v[198:199], v[2:3] neg_lo:[0,1] neg_hi:[0,1]
	s_wait_dscnt 0x0
	v_dual_mul_f32 v0, v21, v19 :: v_dual_mul_f32 v2, v21, v16
	s_delay_alu instid0(VALU_DEP_1) | instskip(NEXT) | instid1(VALU_DEP_2)
	v_pk_fma_f32 v[0:1], v[20:21], v[128:129], v[0:1] op_sel_hi:[1,1,0] neg_lo:[0,0,1] neg_hi:[0,0,1]
	v_pk_fma_f32 v[2:3], v[20:21], v[128:129], v[2:3] op_sel:[1,0,0] op_sel_hi:[0,1,0]
	s_delay_alu instid0(VALU_DEP_1) | instskip(NEXT) | instid1(VALU_DEP_1)
	v_mov_b32_e32 v1, v3
	v_pk_add_f32 v[200:201], v[200:201], v[0:1] neg_lo:[0,1] neg_hi:[0,1]
	v_pk_mul_f32 v[0:1], v[22:23], v[18:19] op_sel:[0,1]
	s_delay_alu instid0(VALU_DEP_1) | instskip(SKIP_3) | instid1(VALU_DEP_1)
	v_pk_fma_f32 v[2:3], v[22:23], v[16:17], v[0:1] op_sel:[0,0,1] op_sel_hi:[1,1,0] neg_lo:[0,0,1] neg_hi:[0,0,1]
	v_pk_fma_f32 v[0:1], v[22:23], v[16:17], v[0:1] op_sel:[0,0,1] op_sel_hi:[1,0,0]
	ds_load_2addr_b64 v[20:23], v6 offset0:38 offset1:39
	v_mov_b32_e32 v3, v1
	v_pk_add_f32 v[202:203], v[202:203], v[2:3] neg_lo:[0,1] neg_hi:[0,1]
	s_wait_dscnt 0x0
	v_pk_mul_f32 v[0:1], v[20:21], v[18:19] op_sel:[0,1]
	s_delay_alu instid0(VALU_DEP_1) | instskip(SKIP_1) | instid1(VALU_DEP_1)
	v_pk_fma_f32 v[2:3], v[20:21], v[16:17], v[0:1] op_sel:[0,0,1] op_sel_hi:[1,1,0] neg_lo:[0,0,1] neg_hi:[0,0,1]
	v_pk_fma_f32 v[0:1], v[20:21], v[16:17], v[0:1] op_sel:[0,0,1] op_sel_hi:[1,0,0]
	v_mov_b32_e32 v3, v1
	v_pk_mul_f32 v[0:1], v[22:23], v[18:19] op_sel:[0,1]
	s_delay_alu instid0(VALU_DEP_2) | instskip(NEXT) | instid1(VALU_DEP_2)
	v_pk_add_f32 v[204:205], v[204:205], v[2:3] neg_lo:[0,1] neg_hi:[0,1]
	v_pk_fma_f32 v[2:3], v[22:23], v[16:17], v[0:1] op_sel:[0,0,1] op_sel_hi:[1,1,0] neg_lo:[0,0,1] neg_hi:[0,0,1]
	v_pk_fma_f32 v[0:1], v[22:23], v[16:17], v[0:1] op_sel:[0,0,1] op_sel_hi:[1,0,0]
	ds_load_2addr_b64 v[20:23], v6 offset0:40 offset1:41
	v_mov_b32_e32 v3, v1
	s_delay_alu instid0(VALU_DEP_1) | instskip(SKIP_2) | instid1(VALU_DEP_1)
	v_pk_add_f32 v[206:207], v[206:207], v[2:3] neg_lo:[0,1] neg_hi:[0,1]
	s_wait_dscnt 0x0
	v_pk_mul_f32 v[0:1], v[20:21], v[18:19] op_sel:[0,1]
	v_pk_fma_f32 v[2:3], v[20:21], v[16:17], v[0:1] op_sel:[0,0,1] op_sel_hi:[1,1,0] neg_lo:[0,0,1] neg_hi:[0,0,1]
	v_pk_fma_f32 v[0:1], v[20:21], v[16:17], v[0:1] op_sel:[0,0,1] op_sel_hi:[1,0,0]
	v_dual_mov_b32 v0, v23 :: v_dual_mul_f32 v20, v23, v16
	s_delay_alu instid0(VALU_DEP_2) | instskip(NEXT) | instid1(VALU_DEP_1)
	v_dual_mov_b32 v3, v1 :: v_dual_mov_b32 v1, v22
	v_pk_add_f32 v[208:209], v[208:209], v[2:3] neg_lo:[0,1] neg_hi:[0,1]
	v_mul_f32_e32 v2, v23, v19
	s_delay_alu instid0(VALU_DEP_3) | instskip(NEXT) | instid1(VALU_DEP_2)
	v_pk_fma_f32 v[0:1], v[0:1], v[128:129], v[20:21] op_sel_hi:[1,1,0]
	v_pk_fma_f32 v[2:3], v[22:23], v[128:129], v[2:3] op_sel_hi:[1,1,0] neg_lo:[0,0,1] neg_hi:[0,0,1]
	ds_load_2addr_b64 v[20:23], v6 offset0:42 offset1:43
	v_mov_b32_e32 v3, v1
	s_delay_alu instid0(VALU_DEP_1) | instskip(SKIP_2) | instid1(VALU_DEP_1)
	v_pk_add_f32 v[210:211], v[210:211], v[2:3] neg_lo:[0,1] neg_hi:[0,1]
	s_wait_dscnt 0x0
	v_pk_mul_f32 v[0:1], v[20:21], v[18:19] op_sel:[0,1]
	v_pk_fma_f32 v[2:3], v[20:21], v[16:17], v[0:1] op_sel:[0,0,1] op_sel_hi:[1,1,0] neg_lo:[0,0,1] neg_hi:[0,0,1]
	v_pk_fma_f32 v[0:1], v[20:21], v[16:17], v[0:1] op_sel:[0,0,1] op_sel_hi:[1,0,0]
	s_delay_alu instid0(VALU_DEP_1) | instskip(SKIP_1) | instid1(VALU_DEP_2)
	v_mov_b32_e32 v3, v1
	v_pk_mul_f32 v[0:1], v[22:23], v[18:19] op_sel:[0,1]
	v_pk_add_f32 v[212:213], v[212:213], v[2:3] neg_lo:[0,1] neg_hi:[0,1]
	s_delay_alu instid0(VALU_DEP_2) | instskip(SKIP_3) | instid1(VALU_DEP_1)
	v_pk_fma_f32 v[2:3], v[22:23], v[16:17], v[0:1] op_sel:[0,0,1] op_sel_hi:[1,1,0] neg_lo:[0,0,1] neg_hi:[0,0,1]
	v_pk_fma_f32 v[0:1], v[22:23], v[16:17], v[0:1] op_sel:[0,0,1] op_sel_hi:[1,0,0]
	ds_load_2addr_b64 v[20:23], v6 offset0:44 offset1:45
	v_mov_b32_e32 v3, v1
	v_pk_add_f32 v[214:215], v[214:215], v[2:3] neg_lo:[0,1] neg_hi:[0,1]
	s_wait_dscnt 0x0
	v_pk_mul_f32 v[0:1], v[20:21], v[18:19] op_sel:[0,1]
	s_delay_alu instid0(VALU_DEP_1) | instskip(SKIP_1) | instid1(VALU_DEP_1)
	v_pk_fma_f32 v[2:3], v[20:21], v[16:17], v[0:1] op_sel:[0,0,1] op_sel_hi:[1,1,0] neg_lo:[0,0,1] neg_hi:[0,0,1]
	v_pk_fma_f32 v[0:1], v[20:21], v[16:17], v[0:1] op_sel:[0,0,1] op_sel_hi:[1,0,0]
	v_mov_b32_e32 v3, v1
	v_pk_mul_f32 v[0:1], v[22:23], v[18:19] op_sel:[0,1]
	s_delay_alu instid0(VALU_DEP_2) | instskip(NEXT) | instid1(VALU_DEP_2)
	v_pk_add_f32 v[216:217], v[216:217], v[2:3] neg_lo:[0,1] neg_hi:[0,1]
	v_pk_fma_f32 v[2:3], v[22:23], v[16:17], v[0:1] op_sel:[0,0,1] op_sel_hi:[1,1,0] neg_lo:[0,0,1] neg_hi:[0,0,1]
	v_pk_fma_f32 v[0:1], v[22:23], v[16:17], v[0:1] op_sel:[0,0,1] op_sel_hi:[1,0,0]
	ds_load_2addr_b64 v[20:23], v6 offset0:46 offset1:47
	v_mov_b32_e32 v3, v1
	s_delay_alu instid0(VALU_DEP_1) | instskip(SKIP_2) | instid1(VALU_DEP_1)
	v_pk_add_f32 v[218:219], v[218:219], v[2:3] neg_lo:[0,1] neg_hi:[0,1]
	s_wait_dscnt 0x0
	v_dual_mul_f32 v2, v21, v16 :: v_dual_mul_f32 v0, v21, v19
	v_pk_fma_f32 v[2:3], v[20:21], v[128:129], v[2:3] op_sel:[1,0,0] op_sel_hi:[0,1,0]
	s_delay_alu instid0(VALU_DEP_2) | instskip(NEXT) | instid1(VALU_DEP_2)
	v_pk_fma_f32 v[0:1], v[20:21], v[128:129], v[0:1] op_sel_hi:[1,1,0] neg_lo:[0,0,1] neg_hi:[0,0,1]
	v_mov_b32_e32 v1, v3
	s_delay_alu instid0(VALU_DEP_1) | instskip(SKIP_1) | instid1(VALU_DEP_1)
	v_pk_add_f32 v[220:221], v[220:221], v[0:1] neg_lo:[0,1] neg_hi:[0,1]
	v_pk_mul_f32 v[0:1], v[22:23], v[18:19] op_sel:[0,1]
	v_pk_fma_f32 v[2:3], v[22:23], v[16:17], v[0:1] op_sel:[0,0,1] op_sel_hi:[1,1,0] neg_lo:[0,0,1] neg_hi:[0,0,1]
	v_pk_fma_f32 v[0:1], v[22:23], v[16:17], v[0:1] op_sel:[0,0,1] op_sel_hi:[1,0,0]
	ds_load_2addr_b64 v[20:23], v6 offset0:48 offset1:49
	v_mov_b32_e32 v3, v1
	s_delay_alu instid0(VALU_DEP_1) | instskip(SKIP_2) | instid1(VALU_DEP_1)
	v_pk_add_f32 v[222:223], v[222:223], v[2:3] neg_lo:[0,1] neg_hi:[0,1]
	s_wait_dscnt 0x0
	v_pk_mul_f32 v[0:1], v[20:21], v[18:19] op_sel:[0,1]
	v_pk_fma_f32 v[2:3], v[20:21], v[16:17], v[0:1] op_sel:[0,0,1] op_sel_hi:[1,1,0] neg_lo:[0,0,1] neg_hi:[0,0,1]
	v_pk_fma_f32 v[0:1], v[20:21], v[16:17], v[0:1] op_sel:[0,0,1] op_sel_hi:[1,0,0]
	s_delay_alu instid0(VALU_DEP_1) | instskip(SKIP_1) | instid1(VALU_DEP_2)
	v_mov_b32_e32 v3, v1
	v_pk_mul_f32 v[0:1], v[22:23], v[18:19] op_sel:[0,1]
	v_pk_add_f32 v[224:225], v[224:225], v[2:3] neg_lo:[0,1] neg_hi:[0,1]
	s_delay_alu instid0(VALU_DEP_2) | instskip(SKIP_3) | instid1(VALU_DEP_1)
	v_pk_fma_f32 v[2:3], v[22:23], v[16:17], v[0:1] op_sel:[0,0,1] op_sel_hi:[1,1,0] neg_lo:[0,0,1] neg_hi:[0,0,1]
	v_pk_fma_f32 v[0:1], v[22:23], v[16:17], v[0:1] op_sel:[0,0,1] op_sel_hi:[1,0,0]
	ds_load_2addr_b64 v[20:23], v6 offset0:50 offset1:51
	v_mov_b32_e32 v3, v1
	v_pk_add_f32 v[226:227], v[226:227], v[2:3] neg_lo:[0,1] neg_hi:[0,1]
	s_wait_dscnt 0x0
	v_pk_mul_f32 v[0:1], v[20:21], v[18:19] op_sel:[0,1]
	s_delay_alu instid0(VALU_DEP_1) | instskip(SKIP_2) | instid1(VALU_DEP_2)
	v_pk_fma_f32 v[2:3], v[20:21], v[16:17], v[0:1] op_sel:[0,0,1] op_sel_hi:[1,1,0] neg_lo:[0,0,1] neg_hi:[0,0,1]
	v_pk_fma_f32 v[0:1], v[20:21], v[16:17], v[0:1] op_sel:[0,0,1] op_sel_hi:[1,0,0]
	v_dual_mov_b32 v0, v23 :: v_dual_mul_f32 v20, v23, v16
	v_dual_mov_b32 v3, v1 :: v_dual_mov_b32 v1, v22
	s_delay_alu instid0(VALU_DEP_1) | instskip(SKIP_1) | instid1(VALU_DEP_3)
	v_pk_add_f32 v[228:229], v[228:229], v[2:3] neg_lo:[0,1] neg_hi:[0,1]
	v_mul_f32_e32 v2, v23, v19
	v_pk_fma_f32 v[0:1], v[0:1], v[128:129], v[20:21] op_sel_hi:[1,1,0]
	s_delay_alu instid0(VALU_DEP_2) | instskip(SKIP_2) | instid1(VALU_DEP_1)
	v_pk_fma_f32 v[2:3], v[22:23], v[128:129], v[2:3] op_sel_hi:[1,1,0] neg_lo:[0,0,1] neg_hi:[0,0,1]
	ds_load_2addr_b64 v[20:23], v6 offset0:52 offset1:53
	v_mov_b32_e32 v3, v1
	v_pk_add_f32 v[230:231], v[230:231], v[2:3] neg_lo:[0,1] neg_hi:[0,1]
	s_wait_dscnt 0x0
	v_pk_mul_f32 v[0:1], v[20:21], v[18:19] op_sel:[0,1]
	s_delay_alu instid0(VALU_DEP_1) | instskip(SKIP_1) | instid1(VALU_DEP_1)
	v_pk_fma_f32 v[2:3], v[20:21], v[16:17], v[0:1] op_sel:[0,0,1] op_sel_hi:[1,1,0] neg_lo:[0,0,1] neg_hi:[0,0,1]
	v_pk_fma_f32 v[0:1], v[20:21], v[16:17], v[0:1] op_sel:[0,0,1] op_sel_hi:[1,0,0]
	v_mov_b32_e32 v3, v1
	v_pk_mul_f32 v[0:1], v[22:23], v[18:19] op_sel:[0,1]
	s_delay_alu instid0(VALU_DEP_2) | instskip(NEXT) | instid1(VALU_DEP_2)
	v_pk_add_f32 v[232:233], v[232:233], v[2:3] neg_lo:[0,1] neg_hi:[0,1]
	v_pk_fma_f32 v[2:3], v[22:23], v[16:17], v[0:1] op_sel:[0,0,1] op_sel_hi:[1,1,0] neg_lo:[0,0,1] neg_hi:[0,0,1]
	v_pk_fma_f32 v[0:1], v[22:23], v[16:17], v[0:1] op_sel:[0,0,1] op_sel_hi:[1,0,0]
	ds_load_2addr_b64 v[20:23], v6 offset0:54 offset1:55
	v_mov_b32_e32 v3, v1
	s_delay_alu instid0(VALU_DEP_1) | instskip(SKIP_2) | instid1(VALU_DEP_1)
	v_pk_add_f32 v[234:235], v[234:235], v[2:3] neg_lo:[0,1] neg_hi:[0,1]
	s_wait_dscnt 0x0
	v_pk_mul_f32 v[0:1], v[20:21], v[18:19] op_sel:[0,1]
	v_pk_fma_f32 v[2:3], v[20:21], v[16:17], v[0:1] op_sel:[0,0,1] op_sel_hi:[1,1,0] neg_lo:[0,0,1] neg_hi:[0,0,1]
	v_pk_fma_f32 v[0:1], v[20:21], v[16:17], v[0:1] op_sel:[0,0,1] op_sel_hi:[1,0,0]
	s_delay_alu instid0(VALU_DEP_1) | instskip(SKIP_1) | instid1(VALU_DEP_2)
	v_mov_b32_e32 v3, v1
	v_pk_mul_f32 v[0:1], v[22:23], v[18:19] op_sel:[0,1]
	v_pk_add_f32 v[236:237], v[236:237], v[2:3] neg_lo:[0,1] neg_hi:[0,1]
	s_delay_alu instid0(VALU_DEP_2) | instskip(SKIP_3) | instid1(VALU_DEP_1)
	v_pk_fma_f32 v[2:3], v[22:23], v[16:17], v[0:1] op_sel:[0,0,1] op_sel_hi:[1,1,0] neg_lo:[0,0,1] neg_hi:[0,0,1]
	v_pk_fma_f32 v[0:1], v[22:23], v[16:17], v[0:1] op_sel:[0,0,1] op_sel_hi:[1,0,0]
	ds_load_2addr_b64 v[20:23], v6 offset0:56 offset1:57
	v_mov_b32_e32 v3, v1
	v_pk_add_f32 v[238:239], v[238:239], v[2:3] neg_lo:[0,1] neg_hi:[0,1]
	s_wait_dscnt 0x0
	v_dual_mul_f32 v0, v21, v19 :: v_dual_mul_f32 v2, v21, v16
	s_delay_alu instid0(VALU_DEP_1) | instskip(NEXT) | instid1(VALU_DEP_2)
	v_pk_fma_f32 v[0:1], v[20:21], v[128:129], v[0:1] op_sel_hi:[1,1,0] neg_lo:[0,0,1] neg_hi:[0,0,1]
	v_pk_fma_f32 v[2:3], v[20:21], v[128:129], v[2:3] op_sel:[1,0,0] op_sel_hi:[0,1,0]
	s_delay_alu instid0(VALU_DEP_1) | instskip(NEXT) | instid1(VALU_DEP_1)
	v_mov_b32_e32 v1, v3
	v_pk_add_f32 v[248:249], v[248:249], v[0:1] neg_lo:[0,1] neg_hi:[0,1]
	v_pk_mul_f32 v[0:1], v[22:23], v[18:19] op_sel:[0,1]
	s_delay_alu instid0(VALU_DEP_1) | instskip(SKIP_3) | instid1(VALU_DEP_1)
	v_pk_fma_f32 v[2:3], v[22:23], v[16:17], v[0:1] op_sel:[0,0,1] op_sel_hi:[1,1,0] neg_lo:[0,0,1] neg_hi:[0,0,1]
	v_pk_fma_f32 v[0:1], v[22:23], v[16:17], v[0:1] op_sel:[0,0,1] op_sel_hi:[1,0,0]
	ds_load_2addr_b64 v[20:23], v6 offset0:58 offset1:59
	v_mov_b32_e32 v3, v1
	v_pk_add_f32 v[242:243], v[242:243], v[2:3] neg_lo:[0,1] neg_hi:[0,1]
	s_wait_dscnt 0x0
	v_pk_mul_f32 v[0:1], v[20:21], v[18:19] op_sel:[0,1]
	s_delay_alu instid0(VALU_DEP_1) | instskip(SKIP_1) | instid1(VALU_DEP_1)
	v_pk_fma_f32 v[2:3], v[20:21], v[16:17], v[0:1] op_sel:[0,0,1] op_sel_hi:[1,1,0] neg_lo:[0,0,1] neg_hi:[0,0,1]
	v_pk_fma_f32 v[0:1], v[20:21], v[16:17], v[0:1] op_sel:[0,0,1] op_sel_hi:[1,0,0]
	v_mov_b32_e32 v3, v1
	v_pk_mul_f32 v[0:1], v[22:23], v[18:19] op_sel:[0,1]
	s_delay_alu instid0(VALU_DEP_2) | instskip(NEXT) | instid1(VALU_DEP_2)
	v_pk_add_f32 v[246:247], v[246:247], v[2:3] neg_lo:[0,1] neg_hi:[0,1]
	v_pk_fma_f32 v[2:3], v[22:23], v[16:17], v[0:1] op_sel:[0,0,1] op_sel_hi:[1,1,0] neg_lo:[0,0,1] neg_hi:[0,0,1]
	v_pk_fma_f32 v[0:1], v[22:23], v[16:17], v[0:1] op_sel:[0,0,1] op_sel_hi:[1,0,0]
	ds_load_2addr_b64 v[20:23], v6 offset0:60 offset1:61
	v_mov_b32_e32 v3, v1
	s_delay_alu instid0(VALU_DEP_1) | instskip(SKIP_2) | instid1(VALU_DEP_1)
	v_pk_add_f32 v[240:241], v[240:241], v[2:3] neg_lo:[0,1] neg_hi:[0,1]
	s_wait_dscnt 0x0
	v_pk_mul_f32 v[0:1], v[20:21], v[18:19] op_sel:[0,1]
	v_pk_fma_f32 v[2:3], v[20:21], v[16:17], v[0:1] op_sel:[0,0,1] op_sel_hi:[1,1,0] neg_lo:[0,0,1] neg_hi:[0,0,1]
	v_pk_fma_f32 v[0:1], v[20:21], v[16:17], v[0:1] op_sel:[0,0,1] op_sel_hi:[1,0,0]
	v_dual_mov_b32 v0, v23 :: v_dual_mul_f32 v20, v23, v16
	s_delay_alu instid0(VALU_DEP_2) | instskip(NEXT) | instid1(VALU_DEP_1)
	v_dual_mov_b32 v3, v1 :: v_dual_mov_b32 v1, v22
	v_pk_add_f32 v[244:245], v[244:245], v[2:3] neg_lo:[0,1] neg_hi:[0,1]
	v_mul_f32_e32 v2, v23, v19
	s_delay_alu instid0(VALU_DEP_3) | instskip(NEXT) | instid1(VALU_DEP_2)
	v_pk_fma_f32 v[0:1], v[0:1], v[128:129], v[20:21] op_sel_hi:[1,1,0]
	v_pk_fma_f32 v[2:3], v[22:23], v[128:129], v[2:3] op_sel_hi:[1,1,0] neg_lo:[0,0,1] neg_hi:[0,0,1]
	s_delay_alu instid0(VALU_DEP_2) | instskip(SKIP_4) | instid1(VALU_DEP_1)
	v_mov_b32_e32 v3, v1
	ds_load_b64 v[0:1], v6 offset:496
	v_pk_add_f32 v[250:251], v[250:251], v[2:3] neg_lo:[0,1] neg_hi:[0,1]
	s_wait_dscnt 0x0
	v_pk_mul_f32 v[2:3], v[0:1], v[18:19] op_sel:[0,1]
	v_pk_fma_f32 v[18:19], v[0:1], v[16:17], v[2:3] op_sel:[0,0,1] op_sel_hi:[1,1,0] neg_lo:[0,0,1] neg_hi:[0,0,1]
	v_pk_fma_f32 v[0:1], v[0:1], v[16:17], v[2:3] op_sel:[0,0,1] op_sel_hi:[1,0,0]
	s_delay_alu instid0(VALU_DEP_1) | instskip(NEXT) | instid1(VALU_DEP_1)
	v_mov_b32_e32 v19, v1
	v_pk_add_f32 v[252:253], v[252:253], v[18:19] neg_lo:[0,1] neg_hi:[0,1]
.LBB125_73:
	s_or_b32 exec_lo, exec_lo, s1
	s_delay_alu instid0(SALU_CYCLE_1)
	s_mov_b32 s2, exec_lo
	s_wait_dscnt 0x0
	s_barrier_signal -1
	s_barrier_wait -1
	v_cmpx_eq_u32_e32 8, v254
	s_cbranch_execz .LBB125_80
; %bb.74:
	ds_store_b64 v255, v[136:137]
	ds_store_2addr_b64 v6, v[146:147], v[148:149] offset0:9 offset1:10
	ds_store_2addr_b64 v6, v[150:151], v[152:153] offset0:11 offset1:12
	;; [unrolled: 1-line block ×27, first 2 shown]
	ds_load_b64 v[16:17], v255
	s_wait_dscnt 0x0
	v_cmp_neq_f32_e32 vcc_lo, 0, v16
	v_cmp_neq_f32_e64 s1, 0, v17
	s_or_b32 s1, vcc_lo, s1
	s_delay_alu instid0(SALU_CYCLE_1)
	s_and_b32 exec_lo, exec_lo, s1
	s_cbranch_execz .LBB125_80
; %bb.75:
	v_cmp_ngt_f32_e64 s1, |v16|, |v17|
                                        ; implicit-def: $vgpr18_vgpr19
	s_and_saveexec_b32 s4, s1
	s_delay_alu instid0(SALU_CYCLE_1)
	s_xor_b32 s1, exec_lo, s4
	s_cbranch_execz .LBB125_77
; %bb.76:
	v_div_scale_f32 v0, null, v17, v17, v16
	v_div_scale_f32 v3, vcc_lo, v16, v17, v16
	s_delay_alu instid0(VALU_DEP_2) | instskip(SKIP_1) | instid1(TRANS32_DEP_1)
	v_rcp_f32_e32 v1, v0
	v_nop
	v_fma_f32 v2, -v0, v1, 1.0
	s_delay_alu instid0(VALU_DEP_1) | instskip(NEXT) | instid1(VALU_DEP_1)
	v_fmac_f32_e32 v1, v2, v1
	v_mul_f32_e32 v2, v3, v1
	s_delay_alu instid0(VALU_DEP_1) | instskip(NEXT) | instid1(VALU_DEP_1)
	v_fma_f32 v4, -v0, v2, v3
	v_fmac_f32_e32 v2, v4, v1
	s_delay_alu instid0(VALU_DEP_1) | instskip(NEXT) | instid1(VALU_DEP_1)
	v_fma_f32 v0, -v0, v2, v3
	v_div_fmas_f32 v0, v0, v1, v2
	s_delay_alu instid0(VALU_DEP_1) | instskip(NEXT) | instid1(VALU_DEP_1)
	v_div_fixup_f32 v0, v0, v17, v16
	v_fmac_f32_e32 v17, v16, v0
	s_delay_alu instid0(VALU_DEP_1) | instskip(SKIP_1) | instid1(VALU_DEP_2)
	v_div_scale_f32 v1, null, v17, v17, 1.0
	v_div_scale_f32 v4, vcc_lo, 1.0, v17, 1.0
	v_rcp_f32_e32 v2, v1
	v_nop
	s_delay_alu instid0(TRANS32_DEP_1) | instskip(NEXT) | instid1(VALU_DEP_1)
	v_fma_f32 v3, -v1, v2, 1.0
	v_fmac_f32_e32 v2, v3, v2
	s_delay_alu instid0(VALU_DEP_1) | instskip(NEXT) | instid1(VALU_DEP_1)
	v_mul_f32_e32 v3, v4, v2
	v_fma_f32 v5, -v1, v3, v4
	s_delay_alu instid0(VALU_DEP_1) | instskip(NEXT) | instid1(VALU_DEP_1)
	v_fmac_f32_e32 v3, v5, v2
	v_fma_f32 v1, -v1, v3, v4
	s_delay_alu instid0(VALU_DEP_1) | instskip(NEXT) | instid1(VALU_DEP_1)
	v_div_fmas_f32 v1, v1, v2, v3
	v_div_fixup_f32 v1, v1, v17, 1.0
                                        ; implicit-def: $vgpr16_vgpr17
	s_delay_alu instid0(VALU_DEP_1)
	v_mul_f32_e32 v18, v0, v1
	v_xor_b32_e32 v19, 0x80000000, v1
.LBB125_77:
	s_and_not1_saveexec_b32 s1, s1
	s_cbranch_execz .LBB125_79
; %bb.78:
	v_div_scale_f32 v0, null, v16, v16, v17
	v_div_scale_f32 v3, vcc_lo, v17, v16, v17
	s_delay_alu instid0(VALU_DEP_2) | instskip(SKIP_1) | instid1(TRANS32_DEP_1)
	v_rcp_f32_e32 v1, v0
	v_nop
	v_fma_f32 v2, -v0, v1, 1.0
	s_delay_alu instid0(VALU_DEP_1) | instskip(NEXT) | instid1(VALU_DEP_1)
	v_fmac_f32_e32 v1, v2, v1
	v_mul_f32_e32 v2, v3, v1
	s_delay_alu instid0(VALU_DEP_1) | instskip(NEXT) | instid1(VALU_DEP_1)
	v_fma_f32 v4, -v0, v2, v3
	v_fmac_f32_e32 v2, v4, v1
	s_delay_alu instid0(VALU_DEP_1) | instskip(NEXT) | instid1(VALU_DEP_1)
	v_fma_f32 v0, -v0, v2, v3
	v_div_fmas_f32 v0, v0, v1, v2
	s_delay_alu instid0(VALU_DEP_1) | instskip(NEXT) | instid1(VALU_DEP_1)
	v_div_fixup_f32 v0, v0, v16, v17
	v_fmac_f32_e32 v16, v17, v0
	s_delay_alu instid0(VALU_DEP_1) | instskip(NEXT) | instid1(VALU_DEP_1)
	v_div_scale_f32 v1, null, v16, v16, 1.0
	v_rcp_f32_e32 v2, v1
	v_nop
	s_delay_alu instid0(TRANS32_DEP_1) | instskip(NEXT) | instid1(VALU_DEP_1)
	v_fma_f32 v3, -v1, v2, 1.0
	v_fmac_f32_e32 v2, v3, v2
	v_div_scale_f32 v3, vcc_lo, 1.0, v16, 1.0
	s_delay_alu instid0(VALU_DEP_1) | instskip(NEXT) | instid1(VALU_DEP_1)
	v_mul_f32_e32 v4, v3, v2
	v_fma_f32 v5, -v1, v4, v3
	s_delay_alu instid0(VALU_DEP_1) | instskip(NEXT) | instid1(VALU_DEP_1)
	v_fmac_f32_e32 v4, v5, v2
	v_fma_f32 v1, -v1, v4, v3
	s_delay_alu instid0(VALU_DEP_1) | instskip(NEXT) | instid1(VALU_DEP_1)
	v_div_fmas_f32 v1, v1, v2, v4
	v_div_fixup_f32 v18, v1, v16, 1.0
	s_delay_alu instid0(VALU_DEP_1)
	v_mul_f32_e64 v19, v0, -v18
.LBB125_79:
	s_or_b32 exec_lo, exec_lo, s1
	ds_store_b64 v255, v[18:19]
.LBB125_80:
	s_or_b32 exec_lo, exec_lo, s2
	s_wait_dscnt 0x0
	s_barrier_signal -1
	s_barrier_wait -1
	ds_load_b64 v[16:17], v255
	s_mov_b32 s1, exec_lo
	v_cmpx_lt_u32_e32 8, v254
	s_cbranch_execz .LBB125_82
; %bb.81:
	ds_load_2addr_b64 v[22:25], v6 offset0:9 offset1:10
	s_wait_dscnt 0x1
	v_pk_mul_f32 v[0:1], v[16:17], v[136:137] op_sel:[1,1] op_sel_hi:[0,1]
	s_delay_alu instid0(VALU_DEP_1) | instskip(SKIP_1) | instid1(VALU_DEP_1)
	v_pk_fma_f32 v[20:21], v[16:17], v[136:137], v[0:1] op_sel_hi:[1,0,1]
	v_pk_fma_f32 v[18:19], v[16:17], v[136:137], v[0:1] op_sel_hi:[1,0,1] neg_lo:[0,0,1] neg_hi:[0,0,1]
	v_dual_mov_b32 v137, v21 :: v_dual_mov_b32 v136, v18
	s_wait_dscnt 0x0
	s_delay_alu instid0(VALU_DEP_3) | instskip(NEXT) | instid1(VALU_DEP_1)
	v_pk_mul_f32 v[0:1], v[22:23], v[20:21] op_sel:[0,1]
	v_pk_fma_f32 v[2:3], v[22:23], v[18:19], v[0:1] op_sel:[0,0,1] op_sel_hi:[1,1,0] neg_lo:[0,0,1] neg_hi:[0,0,1]
	v_pk_fma_f32 v[0:1], v[22:23], v[18:19], v[0:1] op_sel:[0,0,1] op_sel_hi:[1,0,0]
	s_delay_alu instid0(VALU_DEP_1) | instskip(SKIP_1) | instid1(VALU_DEP_2)
	v_mov_b32_e32 v3, v1
	v_pk_mul_f32 v[0:1], v[24:25], v[20:21] op_sel:[0,1]
	v_pk_add_f32 v[146:147], v[146:147], v[2:3] neg_lo:[0,1] neg_hi:[0,1]
	s_delay_alu instid0(VALU_DEP_2) | instskip(SKIP_3) | instid1(VALU_DEP_1)
	v_pk_fma_f32 v[2:3], v[24:25], v[18:19], v[0:1] op_sel:[0,0,1] op_sel_hi:[1,1,0] neg_lo:[0,0,1] neg_hi:[0,0,1]
	v_pk_fma_f32 v[0:1], v[24:25], v[18:19], v[0:1] op_sel:[0,0,1] op_sel_hi:[1,0,0]
	ds_load_2addr_b64 v[22:25], v6 offset0:11 offset1:12
	v_mov_b32_e32 v3, v1
	v_pk_add_f32 v[148:149], v[148:149], v[2:3] neg_lo:[0,1] neg_hi:[0,1]
	s_wait_dscnt 0x0
	v_pk_mul_f32 v[0:1], v[22:23], v[20:21] op_sel:[0,1]
	s_delay_alu instid0(VALU_DEP_1) | instskip(SKIP_2) | instid1(VALU_DEP_2)
	v_pk_fma_f32 v[2:3], v[22:23], v[18:19], v[0:1] op_sel:[0,0,1] op_sel_hi:[1,1,0] neg_lo:[0,0,1] neg_hi:[0,0,1]
	v_pk_fma_f32 v[0:1], v[22:23], v[18:19], v[0:1] op_sel:[0,0,1] op_sel_hi:[1,0,0]
	v_dual_mov_b32 v0, v25 :: v_dual_mul_f32 v22, v25, v18
	v_dual_mov_b32 v3, v1 :: v_dual_mov_b32 v1, v24
	s_delay_alu instid0(VALU_DEP_1) | instskip(SKIP_1) | instid1(VALU_DEP_3)
	v_pk_add_f32 v[150:151], v[150:151], v[2:3] neg_lo:[0,1] neg_hi:[0,1]
	v_mul_f32_e32 v2, v25, v21
	v_pk_fma_f32 v[0:1], v[0:1], v[136:137], v[22:23] op_sel_hi:[1,1,0]
	s_delay_alu instid0(VALU_DEP_2) | instskip(SKIP_2) | instid1(VALU_DEP_1)
	v_pk_fma_f32 v[2:3], v[24:25], v[136:137], v[2:3] op_sel_hi:[1,1,0] neg_lo:[0,0,1] neg_hi:[0,0,1]
	ds_load_2addr_b64 v[22:25], v6 offset0:13 offset1:14
	v_mov_b32_e32 v3, v1
	v_pk_add_f32 v[152:153], v[152:153], v[2:3] neg_lo:[0,1] neg_hi:[0,1]
	s_wait_dscnt 0x0
	v_pk_mul_f32 v[0:1], v[22:23], v[20:21] op_sel:[0,1]
	s_delay_alu instid0(VALU_DEP_1) | instskip(SKIP_1) | instid1(VALU_DEP_1)
	v_pk_fma_f32 v[2:3], v[22:23], v[18:19], v[0:1] op_sel:[0,0,1] op_sel_hi:[1,1,0] neg_lo:[0,0,1] neg_hi:[0,0,1]
	v_pk_fma_f32 v[0:1], v[22:23], v[18:19], v[0:1] op_sel:[0,0,1] op_sel_hi:[1,0,0]
	v_mov_b32_e32 v3, v1
	v_pk_mul_f32 v[0:1], v[24:25], v[20:21] op_sel:[0,1]
	s_delay_alu instid0(VALU_DEP_2) | instskip(NEXT) | instid1(VALU_DEP_2)
	v_pk_add_f32 v[154:155], v[154:155], v[2:3] neg_lo:[0,1] neg_hi:[0,1]
	v_pk_fma_f32 v[2:3], v[24:25], v[18:19], v[0:1] op_sel:[0,0,1] op_sel_hi:[1,1,0] neg_lo:[0,0,1] neg_hi:[0,0,1]
	v_pk_fma_f32 v[0:1], v[24:25], v[18:19], v[0:1] op_sel:[0,0,1] op_sel_hi:[1,0,0]
	ds_load_2addr_b64 v[22:25], v6 offset0:15 offset1:16
	v_mov_b32_e32 v3, v1
	s_delay_alu instid0(VALU_DEP_1) | instskip(SKIP_2) | instid1(VALU_DEP_1)
	v_pk_add_f32 v[156:157], v[156:157], v[2:3] neg_lo:[0,1] neg_hi:[0,1]
	s_wait_dscnt 0x0
	v_pk_mul_f32 v[0:1], v[22:23], v[20:21] op_sel:[0,1]
	v_pk_fma_f32 v[2:3], v[22:23], v[18:19], v[0:1] op_sel:[0,0,1] op_sel_hi:[1,1,0] neg_lo:[0,0,1] neg_hi:[0,0,1]
	v_pk_fma_f32 v[0:1], v[22:23], v[18:19], v[0:1] op_sel:[0,0,1] op_sel_hi:[1,0,0]
	s_delay_alu instid0(VALU_DEP_1) | instskip(SKIP_1) | instid1(VALU_DEP_2)
	v_mov_b32_e32 v3, v1
	v_pk_mul_f32 v[0:1], v[24:25], v[20:21] op_sel:[0,1]
	v_pk_add_f32 v[158:159], v[158:159], v[2:3] neg_lo:[0,1] neg_hi:[0,1]
	s_delay_alu instid0(VALU_DEP_2) | instskip(SKIP_3) | instid1(VALU_DEP_1)
	v_pk_fma_f32 v[2:3], v[24:25], v[18:19], v[0:1] op_sel:[0,0,1] op_sel_hi:[1,1,0] neg_lo:[0,0,1] neg_hi:[0,0,1]
	v_pk_fma_f32 v[0:1], v[24:25], v[18:19], v[0:1] op_sel:[0,0,1] op_sel_hi:[1,0,0]
	ds_load_2addr_b64 v[22:25], v6 offset0:17 offset1:18
	v_mov_b32_e32 v3, v1
	v_pk_add_f32 v[160:161], v[160:161], v[2:3] neg_lo:[0,1] neg_hi:[0,1]
	s_wait_dscnt 0x0
	v_dual_mul_f32 v2, v23, v18 :: v_dual_mul_f32 v0, v23, v21
	s_delay_alu instid0(VALU_DEP_1) | instskip(NEXT) | instid1(VALU_DEP_2)
	v_pk_fma_f32 v[2:3], v[22:23], v[136:137], v[2:3] op_sel:[1,0,0] op_sel_hi:[0,1,0]
	v_pk_fma_f32 v[0:1], v[22:23], v[136:137], v[0:1] op_sel_hi:[1,1,0] neg_lo:[0,0,1] neg_hi:[0,0,1]
	s_delay_alu instid0(VALU_DEP_2) | instskip(NEXT) | instid1(VALU_DEP_1)
	v_mov_b32_e32 v1, v3
	v_pk_add_f32 v[162:163], v[162:163], v[0:1] neg_lo:[0,1] neg_hi:[0,1]
	v_pk_mul_f32 v[0:1], v[24:25], v[20:21] op_sel:[0,1]
	s_delay_alu instid0(VALU_DEP_1) | instskip(SKIP_3) | instid1(VALU_DEP_1)
	v_pk_fma_f32 v[2:3], v[24:25], v[18:19], v[0:1] op_sel:[0,0,1] op_sel_hi:[1,1,0] neg_lo:[0,0,1] neg_hi:[0,0,1]
	v_pk_fma_f32 v[0:1], v[24:25], v[18:19], v[0:1] op_sel:[0,0,1] op_sel_hi:[1,0,0]
	ds_load_2addr_b64 v[22:25], v6 offset0:19 offset1:20
	v_mov_b32_e32 v3, v1
	v_pk_add_f32 v[164:165], v[164:165], v[2:3] neg_lo:[0,1] neg_hi:[0,1]
	s_wait_dscnt 0x0
	v_pk_mul_f32 v[0:1], v[22:23], v[20:21] op_sel:[0,1]
	s_delay_alu instid0(VALU_DEP_1) | instskip(SKIP_1) | instid1(VALU_DEP_1)
	v_pk_fma_f32 v[2:3], v[22:23], v[18:19], v[0:1] op_sel:[0,0,1] op_sel_hi:[1,1,0] neg_lo:[0,0,1] neg_hi:[0,0,1]
	v_pk_fma_f32 v[0:1], v[22:23], v[18:19], v[0:1] op_sel:[0,0,1] op_sel_hi:[1,0,0]
	v_mov_b32_e32 v3, v1
	v_pk_mul_f32 v[0:1], v[24:25], v[20:21] op_sel:[0,1]
	s_delay_alu instid0(VALU_DEP_2) | instskip(NEXT) | instid1(VALU_DEP_2)
	v_pk_add_f32 v[166:167], v[166:167], v[2:3] neg_lo:[0,1] neg_hi:[0,1]
	v_pk_fma_f32 v[2:3], v[24:25], v[18:19], v[0:1] op_sel:[0,0,1] op_sel_hi:[1,1,0] neg_lo:[0,0,1] neg_hi:[0,0,1]
	v_pk_fma_f32 v[0:1], v[24:25], v[18:19], v[0:1] op_sel:[0,0,1] op_sel_hi:[1,0,0]
	ds_load_2addr_b64 v[22:25], v6 offset0:21 offset1:22
	v_mov_b32_e32 v3, v1
	s_delay_alu instid0(VALU_DEP_1) | instskip(SKIP_2) | instid1(VALU_DEP_1)
	v_pk_add_f32 v[168:169], v[168:169], v[2:3] neg_lo:[0,1] neg_hi:[0,1]
	s_wait_dscnt 0x0
	v_pk_mul_f32 v[0:1], v[22:23], v[20:21] op_sel:[0,1]
	v_pk_fma_f32 v[2:3], v[22:23], v[18:19], v[0:1] op_sel:[0,0,1] op_sel_hi:[1,1,0] neg_lo:[0,0,1] neg_hi:[0,0,1]
	v_pk_fma_f32 v[0:1], v[22:23], v[18:19], v[0:1] op_sel:[0,0,1] op_sel_hi:[1,0,0]
	v_dual_mov_b32 v0, v25 :: v_dual_mul_f32 v22, v25, v18
	s_delay_alu instid0(VALU_DEP_2) | instskip(NEXT) | instid1(VALU_DEP_1)
	v_dual_mov_b32 v3, v1 :: v_dual_mov_b32 v1, v24
	v_pk_add_f32 v[170:171], v[170:171], v[2:3] neg_lo:[0,1] neg_hi:[0,1]
	v_mul_f32_e32 v2, v25, v21
	s_delay_alu instid0(VALU_DEP_3) | instskip(NEXT) | instid1(VALU_DEP_2)
	v_pk_fma_f32 v[0:1], v[0:1], v[136:137], v[22:23] op_sel_hi:[1,1,0]
	v_pk_fma_f32 v[2:3], v[24:25], v[136:137], v[2:3] op_sel_hi:[1,1,0] neg_lo:[0,0,1] neg_hi:[0,0,1]
	ds_load_2addr_b64 v[22:25], v6 offset0:23 offset1:24
	v_mov_b32_e32 v3, v1
	s_delay_alu instid0(VALU_DEP_1) | instskip(SKIP_2) | instid1(VALU_DEP_1)
	v_pk_add_f32 v[172:173], v[172:173], v[2:3] neg_lo:[0,1] neg_hi:[0,1]
	s_wait_dscnt 0x0
	v_pk_mul_f32 v[0:1], v[22:23], v[20:21] op_sel:[0,1]
	v_pk_fma_f32 v[2:3], v[22:23], v[18:19], v[0:1] op_sel:[0,0,1] op_sel_hi:[1,1,0] neg_lo:[0,0,1] neg_hi:[0,0,1]
	v_pk_fma_f32 v[0:1], v[22:23], v[18:19], v[0:1] op_sel:[0,0,1] op_sel_hi:[1,0,0]
	s_delay_alu instid0(VALU_DEP_1) | instskip(SKIP_1) | instid1(VALU_DEP_2)
	v_mov_b32_e32 v3, v1
	v_pk_mul_f32 v[0:1], v[24:25], v[20:21] op_sel:[0,1]
	v_pk_add_f32 v[174:175], v[174:175], v[2:3] neg_lo:[0,1] neg_hi:[0,1]
	s_delay_alu instid0(VALU_DEP_2) | instskip(SKIP_3) | instid1(VALU_DEP_1)
	v_pk_fma_f32 v[2:3], v[24:25], v[18:19], v[0:1] op_sel:[0,0,1] op_sel_hi:[1,1,0] neg_lo:[0,0,1] neg_hi:[0,0,1]
	v_pk_fma_f32 v[0:1], v[24:25], v[18:19], v[0:1] op_sel:[0,0,1] op_sel_hi:[1,0,0]
	ds_load_2addr_b64 v[22:25], v6 offset0:25 offset1:26
	v_mov_b32_e32 v3, v1
	v_pk_add_f32 v[176:177], v[176:177], v[2:3] neg_lo:[0,1] neg_hi:[0,1]
	s_wait_dscnt 0x0
	v_pk_mul_f32 v[0:1], v[22:23], v[20:21] op_sel:[0,1]
	s_delay_alu instid0(VALU_DEP_1) | instskip(SKIP_1) | instid1(VALU_DEP_1)
	v_pk_fma_f32 v[2:3], v[22:23], v[18:19], v[0:1] op_sel:[0,0,1] op_sel_hi:[1,1,0] neg_lo:[0,0,1] neg_hi:[0,0,1]
	v_pk_fma_f32 v[0:1], v[22:23], v[18:19], v[0:1] op_sel:[0,0,1] op_sel_hi:[1,0,0]
	v_mov_b32_e32 v3, v1
	v_pk_mul_f32 v[0:1], v[24:25], v[20:21] op_sel:[0,1]
	s_delay_alu instid0(VALU_DEP_2) | instskip(NEXT) | instid1(VALU_DEP_2)
	v_pk_add_f32 v[178:179], v[178:179], v[2:3] neg_lo:[0,1] neg_hi:[0,1]
	v_pk_fma_f32 v[2:3], v[24:25], v[18:19], v[0:1] op_sel:[0,0,1] op_sel_hi:[1,1,0] neg_lo:[0,0,1] neg_hi:[0,0,1]
	v_pk_fma_f32 v[0:1], v[24:25], v[18:19], v[0:1] op_sel:[0,0,1] op_sel_hi:[1,0,0]
	ds_load_2addr_b64 v[22:25], v6 offset0:27 offset1:28
	v_mov_b32_e32 v3, v1
	s_delay_alu instid0(VALU_DEP_1) | instskip(SKIP_2) | instid1(VALU_DEP_1)
	v_pk_add_f32 v[180:181], v[180:181], v[2:3] neg_lo:[0,1] neg_hi:[0,1]
	s_wait_dscnt 0x0
	v_dual_mul_f32 v2, v23, v18 :: v_dual_mul_f32 v0, v23, v21
	v_pk_fma_f32 v[2:3], v[22:23], v[136:137], v[2:3] op_sel:[1,0,0] op_sel_hi:[0,1,0]
	s_delay_alu instid0(VALU_DEP_2) | instskip(NEXT) | instid1(VALU_DEP_2)
	v_pk_fma_f32 v[0:1], v[22:23], v[136:137], v[0:1] op_sel_hi:[1,1,0] neg_lo:[0,0,1] neg_hi:[0,0,1]
	v_mov_b32_e32 v1, v3
	s_delay_alu instid0(VALU_DEP_1) | instskip(SKIP_1) | instid1(VALU_DEP_1)
	v_pk_add_f32 v[182:183], v[182:183], v[0:1] neg_lo:[0,1] neg_hi:[0,1]
	v_pk_mul_f32 v[0:1], v[24:25], v[20:21] op_sel:[0,1]
	v_pk_fma_f32 v[2:3], v[24:25], v[18:19], v[0:1] op_sel:[0,0,1] op_sel_hi:[1,1,0] neg_lo:[0,0,1] neg_hi:[0,0,1]
	v_pk_fma_f32 v[0:1], v[24:25], v[18:19], v[0:1] op_sel:[0,0,1] op_sel_hi:[1,0,0]
	ds_load_2addr_b64 v[22:25], v6 offset0:29 offset1:30
	v_mov_b32_e32 v3, v1
	s_delay_alu instid0(VALU_DEP_1) | instskip(SKIP_2) | instid1(VALU_DEP_1)
	v_pk_add_f32 v[184:185], v[184:185], v[2:3] neg_lo:[0,1] neg_hi:[0,1]
	s_wait_dscnt 0x0
	v_pk_mul_f32 v[0:1], v[22:23], v[20:21] op_sel:[0,1]
	v_pk_fma_f32 v[2:3], v[22:23], v[18:19], v[0:1] op_sel:[0,0,1] op_sel_hi:[1,1,0] neg_lo:[0,0,1] neg_hi:[0,0,1]
	v_pk_fma_f32 v[0:1], v[22:23], v[18:19], v[0:1] op_sel:[0,0,1] op_sel_hi:[1,0,0]
	s_delay_alu instid0(VALU_DEP_1) | instskip(SKIP_1) | instid1(VALU_DEP_2)
	v_mov_b32_e32 v3, v1
	v_pk_mul_f32 v[0:1], v[24:25], v[20:21] op_sel:[0,1]
	v_pk_add_f32 v[186:187], v[186:187], v[2:3] neg_lo:[0,1] neg_hi:[0,1]
	s_delay_alu instid0(VALU_DEP_2) | instskip(SKIP_3) | instid1(VALU_DEP_1)
	v_pk_fma_f32 v[2:3], v[24:25], v[18:19], v[0:1] op_sel:[0,0,1] op_sel_hi:[1,1,0] neg_lo:[0,0,1] neg_hi:[0,0,1]
	v_pk_fma_f32 v[0:1], v[24:25], v[18:19], v[0:1] op_sel:[0,0,1] op_sel_hi:[1,0,0]
	ds_load_2addr_b64 v[22:25], v6 offset0:31 offset1:32
	v_mov_b32_e32 v3, v1
	v_pk_add_f32 v[188:189], v[188:189], v[2:3] neg_lo:[0,1] neg_hi:[0,1]
	s_wait_dscnt 0x0
	v_pk_mul_f32 v[0:1], v[22:23], v[20:21] op_sel:[0,1]
	s_delay_alu instid0(VALU_DEP_1) | instskip(SKIP_2) | instid1(VALU_DEP_2)
	v_pk_fma_f32 v[2:3], v[22:23], v[18:19], v[0:1] op_sel:[0,0,1] op_sel_hi:[1,1,0] neg_lo:[0,0,1] neg_hi:[0,0,1]
	v_pk_fma_f32 v[0:1], v[22:23], v[18:19], v[0:1] op_sel:[0,0,1] op_sel_hi:[1,0,0]
	v_dual_mov_b32 v0, v25 :: v_dual_mul_f32 v22, v25, v18
	v_dual_mov_b32 v3, v1 :: v_dual_mov_b32 v1, v24
	s_delay_alu instid0(VALU_DEP_1) | instskip(SKIP_1) | instid1(VALU_DEP_3)
	v_pk_add_f32 v[190:191], v[190:191], v[2:3] neg_lo:[0,1] neg_hi:[0,1]
	v_mul_f32_e32 v2, v25, v21
	v_pk_fma_f32 v[0:1], v[0:1], v[136:137], v[22:23] op_sel_hi:[1,1,0]
	s_delay_alu instid0(VALU_DEP_2) | instskip(SKIP_2) | instid1(VALU_DEP_1)
	v_pk_fma_f32 v[2:3], v[24:25], v[136:137], v[2:3] op_sel_hi:[1,1,0] neg_lo:[0,0,1] neg_hi:[0,0,1]
	ds_load_2addr_b64 v[22:25], v6 offset0:33 offset1:34
	v_mov_b32_e32 v3, v1
	v_pk_add_f32 v[192:193], v[192:193], v[2:3] neg_lo:[0,1] neg_hi:[0,1]
	s_wait_dscnt 0x0
	v_pk_mul_f32 v[0:1], v[22:23], v[20:21] op_sel:[0,1]
	s_delay_alu instid0(VALU_DEP_1) | instskip(SKIP_1) | instid1(VALU_DEP_1)
	v_pk_fma_f32 v[2:3], v[22:23], v[18:19], v[0:1] op_sel:[0,0,1] op_sel_hi:[1,1,0] neg_lo:[0,0,1] neg_hi:[0,0,1]
	v_pk_fma_f32 v[0:1], v[22:23], v[18:19], v[0:1] op_sel:[0,0,1] op_sel_hi:[1,0,0]
	v_mov_b32_e32 v3, v1
	v_pk_mul_f32 v[0:1], v[24:25], v[20:21] op_sel:[0,1]
	s_delay_alu instid0(VALU_DEP_2) | instskip(NEXT) | instid1(VALU_DEP_2)
	v_pk_add_f32 v[194:195], v[194:195], v[2:3] neg_lo:[0,1] neg_hi:[0,1]
	v_pk_fma_f32 v[2:3], v[24:25], v[18:19], v[0:1] op_sel:[0,0,1] op_sel_hi:[1,1,0] neg_lo:[0,0,1] neg_hi:[0,0,1]
	v_pk_fma_f32 v[0:1], v[24:25], v[18:19], v[0:1] op_sel:[0,0,1] op_sel_hi:[1,0,0]
	ds_load_2addr_b64 v[22:25], v6 offset0:35 offset1:36
	v_mov_b32_e32 v3, v1
	s_delay_alu instid0(VALU_DEP_1) | instskip(SKIP_2) | instid1(VALU_DEP_1)
	v_pk_add_f32 v[196:197], v[196:197], v[2:3] neg_lo:[0,1] neg_hi:[0,1]
	s_wait_dscnt 0x0
	v_pk_mul_f32 v[0:1], v[22:23], v[20:21] op_sel:[0,1]
	v_pk_fma_f32 v[2:3], v[22:23], v[18:19], v[0:1] op_sel:[0,0,1] op_sel_hi:[1,1,0] neg_lo:[0,0,1] neg_hi:[0,0,1]
	v_pk_fma_f32 v[0:1], v[22:23], v[18:19], v[0:1] op_sel:[0,0,1] op_sel_hi:[1,0,0]
	s_delay_alu instid0(VALU_DEP_1) | instskip(SKIP_1) | instid1(VALU_DEP_2)
	v_mov_b32_e32 v3, v1
	v_pk_mul_f32 v[0:1], v[24:25], v[20:21] op_sel:[0,1]
	v_pk_add_f32 v[198:199], v[198:199], v[2:3] neg_lo:[0,1] neg_hi:[0,1]
	s_delay_alu instid0(VALU_DEP_2) | instskip(SKIP_3) | instid1(VALU_DEP_1)
	v_pk_fma_f32 v[2:3], v[24:25], v[18:19], v[0:1] op_sel:[0,0,1] op_sel_hi:[1,1,0] neg_lo:[0,0,1] neg_hi:[0,0,1]
	v_pk_fma_f32 v[0:1], v[24:25], v[18:19], v[0:1] op_sel:[0,0,1] op_sel_hi:[1,0,0]
	ds_load_2addr_b64 v[22:25], v6 offset0:37 offset1:38
	v_mov_b32_e32 v3, v1
	v_pk_add_f32 v[200:201], v[200:201], v[2:3] neg_lo:[0,1] neg_hi:[0,1]
	s_wait_dscnt 0x0
	v_dual_mul_f32 v2, v23, v18 :: v_dual_mul_f32 v0, v23, v21
	s_delay_alu instid0(VALU_DEP_1) | instskip(NEXT) | instid1(VALU_DEP_2)
	v_pk_fma_f32 v[2:3], v[22:23], v[136:137], v[2:3] op_sel:[1,0,0] op_sel_hi:[0,1,0]
	v_pk_fma_f32 v[0:1], v[22:23], v[136:137], v[0:1] op_sel_hi:[1,1,0] neg_lo:[0,0,1] neg_hi:[0,0,1]
	s_delay_alu instid0(VALU_DEP_2) | instskip(NEXT) | instid1(VALU_DEP_1)
	v_mov_b32_e32 v1, v3
	v_pk_add_f32 v[202:203], v[202:203], v[0:1] neg_lo:[0,1] neg_hi:[0,1]
	v_pk_mul_f32 v[0:1], v[24:25], v[20:21] op_sel:[0,1]
	s_delay_alu instid0(VALU_DEP_1) | instskip(SKIP_3) | instid1(VALU_DEP_1)
	v_pk_fma_f32 v[2:3], v[24:25], v[18:19], v[0:1] op_sel:[0,0,1] op_sel_hi:[1,1,0] neg_lo:[0,0,1] neg_hi:[0,0,1]
	v_pk_fma_f32 v[0:1], v[24:25], v[18:19], v[0:1] op_sel:[0,0,1] op_sel_hi:[1,0,0]
	ds_load_2addr_b64 v[22:25], v6 offset0:39 offset1:40
	v_mov_b32_e32 v3, v1
	v_pk_add_f32 v[204:205], v[204:205], v[2:3] neg_lo:[0,1] neg_hi:[0,1]
	s_wait_dscnt 0x0
	v_pk_mul_f32 v[0:1], v[22:23], v[20:21] op_sel:[0,1]
	s_delay_alu instid0(VALU_DEP_1) | instskip(SKIP_1) | instid1(VALU_DEP_1)
	v_pk_fma_f32 v[2:3], v[22:23], v[18:19], v[0:1] op_sel:[0,0,1] op_sel_hi:[1,1,0] neg_lo:[0,0,1] neg_hi:[0,0,1]
	v_pk_fma_f32 v[0:1], v[22:23], v[18:19], v[0:1] op_sel:[0,0,1] op_sel_hi:[1,0,0]
	v_mov_b32_e32 v3, v1
	v_pk_mul_f32 v[0:1], v[24:25], v[20:21] op_sel:[0,1]
	s_delay_alu instid0(VALU_DEP_2) | instskip(NEXT) | instid1(VALU_DEP_2)
	v_pk_add_f32 v[206:207], v[206:207], v[2:3] neg_lo:[0,1] neg_hi:[0,1]
	v_pk_fma_f32 v[2:3], v[24:25], v[18:19], v[0:1] op_sel:[0,0,1] op_sel_hi:[1,1,0] neg_lo:[0,0,1] neg_hi:[0,0,1]
	v_pk_fma_f32 v[0:1], v[24:25], v[18:19], v[0:1] op_sel:[0,0,1] op_sel_hi:[1,0,0]
	ds_load_2addr_b64 v[22:25], v6 offset0:41 offset1:42
	v_mov_b32_e32 v3, v1
	s_delay_alu instid0(VALU_DEP_1) | instskip(SKIP_2) | instid1(VALU_DEP_1)
	v_pk_add_f32 v[208:209], v[208:209], v[2:3] neg_lo:[0,1] neg_hi:[0,1]
	s_wait_dscnt 0x0
	v_pk_mul_f32 v[0:1], v[22:23], v[20:21] op_sel:[0,1]
	v_pk_fma_f32 v[2:3], v[22:23], v[18:19], v[0:1] op_sel:[0,0,1] op_sel_hi:[1,1,0] neg_lo:[0,0,1] neg_hi:[0,0,1]
	v_pk_fma_f32 v[0:1], v[22:23], v[18:19], v[0:1] op_sel:[0,0,1] op_sel_hi:[1,0,0]
	v_dual_mov_b32 v0, v25 :: v_dual_mul_f32 v22, v25, v18
	s_delay_alu instid0(VALU_DEP_2) | instskip(NEXT) | instid1(VALU_DEP_1)
	v_dual_mov_b32 v3, v1 :: v_dual_mov_b32 v1, v24
	v_pk_add_f32 v[210:211], v[210:211], v[2:3] neg_lo:[0,1] neg_hi:[0,1]
	v_mul_f32_e32 v2, v25, v21
	s_delay_alu instid0(VALU_DEP_3) | instskip(NEXT) | instid1(VALU_DEP_2)
	v_pk_fma_f32 v[0:1], v[0:1], v[136:137], v[22:23] op_sel_hi:[1,1,0]
	v_pk_fma_f32 v[2:3], v[24:25], v[136:137], v[2:3] op_sel_hi:[1,1,0] neg_lo:[0,0,1] neg_hi:[0,0,1]
	ds_load_2addr_b64 v[22:25], v6 offset0:43 offset1:44
	v_mov_b32_e32 v3, v1
	s_delay_alu instid0(VALU_DEP_1) | instskip(SKIP_2) | instid1(VALU_DEP_1)
	v_pk_add_f32 v[212:213], v[212:213], v[2:3] neg_lo:[0,1] neg_hi:[0,1]
	s_wait_dscnt 0x0
	v_pk_mul_f32 v[0:1], v[22:23], v[20:21] op_sel:[0,1]
	v_pk_fma_f32 v[2:3], v[22:23], v[18:19], v[0:1] op_sel:[0,0,1] op_sel_hi:[1,1,0] neg_lo:[0,0,1] neg_hi:[0,0,1]
	v_pk_fma_f32 v[0:1], v[22:23], v[18:19], v[0:1] op_sel:[0,0,1] op_sel_hi:[1,0,0]
	s_delay_alu instid0(VALU_DEP_1) | instskip(SKIP_1) | instid1(VALU_DEP_2)
	v_mov_b32_e32 v3, v1
	v_pk_mul_f32 v[0:1], v[24:25], v[20:21] op_sel:[0,1]
	v_pk_add_f32 v[214:215], v[214:215], v[2:3] neg_lo:[0,1] neg_hi:[0,1]
	s_delay_alu instid0(VALU_DEP_2) | instskip(SKIP_3) | instid1(VALU_DEP_1)
	v_pk_fma_f32 v[2:3], v[24:25], v[18:19], v[0:1] op_sel:[0,0,1] op_sel_hi:[1,1,0] neg_lo:[0,0,1] neg_hi:[0,0,1]
	v_pk_fma_f32 v[0:1], v[24:25], v[18:19], v[0:1] op_sel:[0,0,1] op_sel_hi:[1,0,0]
	ds_load_2addr_b64 v[22:25], v6 offset0:45 offset1:46
	v_mov_b32_e32 v3, v1
	v_pk_add_f32 v[216:217], v[216:217], v[2:3] neg_lo:[0,1] neg_hi:[0,1]
	s_wait_dscnt 0x0
	v_pk_mul_f32 v[0:1], v[22:23], v[20:21] op_sel:[0,1]
	s_delay_alu instid0(VALU_DEP_1) | instskip(SKIP_1) | instid1(VALU_DEP_1)
	v_pk_fma_f32 v[2:3], v[22:23], v[18:19], v[0:1] op_sel:[0,0,1] op_sel_hi:[1,1,0] neg_lo:[0,0,1] neg_hi:[0,0,1]
	v_pk_fma_f32 v[0:1], v[22:23], v[18:19], v[0:1] op_sel:[0,0,1] op_sel_hi:[1,0,0]
	v_mov_b32_e32 v3, v1
	v_pk_mul_f32 v[0:1], v[24:25], v[20:21] op_sel:[0,1]
	s_delay_alu instid0(VALU_DEP_2) | instskip(NEXT) | instid1(VALU_DEP_2)
	v_pk_add_f32 v[218:219], v[218:219], v[2:3] neg_lo:[0,1] neg_hi:[0,1]
	v_pk_fma_f32 v[2:3], v[24:25], v[18:19], v[0:1] op_sel:[0,0,1] op_sel_hi:[1,1,0] neg_lo:[0,0,1] neg_hi:[0,0,1]
	v_pk_fma_f32 v[0:1], v[24:25], v[18:19], v[0:1] op_sel:[0,0,1] op_sel_hi:[1,0,0]
	ds_load_2addr_b64 v[22:25], v6 offset0:47 offset1:48
	v_mov_b32_e32 v3, v1
	s_delay_alu instid0(VALU_DEP_1) | instskip(SKIP_2) | instid1(VALU_DEP_1)
	v_pk_add_f32 v[220:221], v[220:221], v[2:3] neg_lo:[0,1] neg_hi:[0,1]
	s_wait_dscnt 0x0
	v_dual_mul_f32 v2, v23, v18 :: v_dual_mul_f32 v0, v23, v21
	v_pk_fma_f32 v[2:3], v[22:23], v[136:137], v[2:3] op_sel:[1,0,0] op_sel_hi:[0,1,0]
	s_delay_alu instid0(VALU_DEP_2) | instskip(NEXT) | instid1(VALU_DEP_2)
	v_pk_fma_f32 v[0:1], v[22:23], v[136:137], v[0:1] op_sel_hi:[1,1,0] neg_lo:[0,0,1] neg_hi:[0,0,1]
	v_mov_b32_e32 v1, v3
	s_delay_alu instid0(VALU_DEP_1) | instskip(SKIP_1) | instid1(VALU_DEP_1)
	v_pk_add_f32 v[222:223], v[222:223], v[0:1] neg_lo:[0,1] neg_hi:[0,1]
	v_pk_mul_f32 v[0:1], v[24:25], v[20:21] op_sel:[0,1]
	v_pk_fma_f32 v[2:3], v[24:25], v[18:19], v[0:1] op_sel:[0,0,1] op_sel_hi:[1,1,0] neg_lo:[0,0,1] neg_hi:[0,0,1]
	v_pk_fma_f32 v[0:1], v[24:25], v[18:19], v[0:1] op_sel:[0,0,1] op_sel_hi:[1,0,0]
	ds_load_2addr_b64 v[22:25], v6 offset0:49 offset1:50
	v_mov_b32_e32 v3, v1
	s_delay_alu instid0(VALU_DEP_1) | instskip(SKIP_2) | instid1(VALU_DEP_1)
	v_pk_add_f32 v[224:225], v[224:225], v[2:3] neg_lo:[0,1] neg_hi:[0,1]
	s_wait_dscnt 0x0
	v_pk_mul_f32 v[0:1], v[22:23], v[20:21] op_sel:[0,1]
	v_pk_fma_f32 v[2:3], v[22:23], v[18:19], v[0:1] op_sel:[0,0,1] op_sel_hi:[1,1,0] neg_lo:[0,0,1] neg_hi:[0,0,1]
	v_pk_fma_f32 v[0:1], v[22:23], v[18:19], v[0:1] op_sel:[0,0,1] op_sel_hi:[1,0,0]
	s_delay_alu instid0(VALU_DEP_1) | instskip(SKIP_1) | instid1(VALU_DEP_2)
	v_mov_b32_e32 v3, v1
	v_pk_mul_f32 v[0:1], v[24:25], v[20:21] op_sel:[0,1]
	v_pk_add_f32 v[226:227], v[226:227], v[2:3] neg_lo:[0,1] neg_hi:[0,1]
	s_delay_alu instid0(VALU_DEP_2) | instskip(SKIP_3) | instid1(VALU_DEP_1)
	v_pk_fma_f32 v[2:3], v[24:25], v[18:19], v[0:1] op_sel:[0,0,1] op_sel_hi:[1,1,0] neg_lo:[0,0,1] neg_hi:[0,0,1]
	v_pk_fma_f32 v[0:1], v[24:25], v[18:19], v[0:1] op_sel:[0,0,1] op_sel_hi:[1,0,0]
	ds_load_2addr_b64 v[22:25], v6 offset0:51 offset1:52
	v_mov_b32_e32 v3, v1
	v_pk_add_f32 v[228:229], v[228:229], v[2:3] neg_lo:[0,1] neg_hi:[0,1]
	s_wait_dscnt 0x0
	v_pk_mul_f32 v[0:1], v[22:23], v[20:21] op_sel:[0,1]
	s_delay_alu instid0(VALU_DEP_1) | instskip(SKIP_2) | instid1(VALU_DEP_2)
	v_pk_fma_f32 v[2:3], v[22:23], v[18:19], v[0:1] op_sel:[0,0,1] op_sel_hi:[1,1,0] neg_lo:[0,0,1] neg_hi:[0,0,1]
	v_pk_fma_f32 v[0:1], v[22:23], v[18:19], v[0:1] op_sel:[0,0,1] op_sel_hi:[1,0,0]
	v_dual_mov_b32 v0, v25 :: v_dual_mul_f32 v22, v25, v18
	v_dual_mov_b32 v3, v1 :: v_dual_mov_b32 v1, v24
	s_delay_alu instid0(VALU_DEP_1) | instskip(SKIP_1) | instid1(VALU_DEP_3)
	v_pk_add_f32 v[230:231], v[230:231], v[2:3] neg_lo:[0,1] neg_hi:[0,1]
	v_mul_f32_e32 v2, v25, v21
	v_pk_fma_f32 v[0:1], v[0:1], v[136:137], v[22:23] op_sel_hi:[1,1,0]
	s_delay_alu instid0(VALU_DEP_2) | instskip(SKIP_2) | instid1(VALU_DEP_1)
	v_pk_fma_f32 v[2:3], v[24:25], v[136:137], v[2:3] op_sel_hi:[1,1,0] neg_lo:[0,0,1] neg_hi:[0,0,1]
	ds_load_2addr_b64 v[22:25], v6 offset0:53 offset1:54
	v_mov_b32_e32 v3, v1
	v_pk_add_f32 v[232:233], v[232:233], v[2:3] neg_lo:[0,1] neg_hi:[0,1]
	s_wait_dscnt 0x0
	v_pk_mul_f32 v[0:1], v[22:23], v[20:21] op_sel:[0,1]
	s_delay_alu instid0(VALU_DEP_1) | instskip(SKIP_1) | instid1(VALU_DEP_1)
	v_pk_fma_f32 v[2:3], v[22:23], v[18:19], v[0:1] op_sel:[0,0,1] op_sel_hi:[1,1,0] neg_lo:[0,0,1] neg_hi:[0,0,1]
	v_pk_fma_f32 v[0:1], v[22:23], v[18:19], v[0:1] op_sel:[0,0,1] op_sel_hi:[1,0,0]
	v_mov_b32_e32 v3, v1
	v_pk_mul_f32 v[0:1], v[24:25], v[20:21] op_sel:[0,1]
	s_delay_alu instid0(VALU_DEP_2) | instskip(NEXT) | instid1(VALU_DEP_2)
	v_pk_add_f32 v[234:235], v[234:235], v[2:3] neg_lo:[0,1] neg_hi:[0,1]
	v_pk_fma_f32 v[2:3], v[24:25], v[18:19], v[0:1] op_sel:[0,0,1] op_sel_hi:[1,1,0] neg_lo:[0,0,1] neg_hi:[0,0,1]
	v_pk_fma_f32 v[0:1], v[24:25], v[18:19], v[0:1] op_sel:[0,0,1] op_sel_hi:[1,0,0]
	ds_load_2addr_b64 v[22:25], v6 offset0:55 offset1:56
	v_mov_b32_e32 v3, v1
	s_delay_alu instid0(VALU_DEP_1) | instskip(SKIP_2) | instid1(VALU_DEP_1)
	v_pk_add_f32 v[236:237], v[236:237], v[2:3] neg_lo:[0,1] neg_hi:[0,1]
	s_wait_dscnt 0x0
	v_pk_mul_f32 v[0:1], v[22:23], v[20:21] op_sel:[0,1]
	v_pk_fma_f32 v[2:3], v[22:23], v[18:19], v[0:1] op_sel:[0,0,1] op_sel_hi:[1,1,0] neg_lo:[0,0,1] neg_hi:[0,0,1]
	v_pk_fma_f32 v[0:1], v[22:23], v[18:19], v[0:1] op_sel:[0,0,1] op_sel_hi:[1,0,0]
	s_delay_alu instid0(VALU_DEP_1) | instskip(SKIP_1) | instid1(VALU_DEP_2)
	v_mov_b32_e32 v3, v1
	v_pk_mul_f32 v[0:1], v[24:25], v[20:21] op_sel:[0,1]
	v_pk_add_f32 v[238:239], v[238:239], v[2:3] neg_lo:[0,1] neg_hi:[0,1]
	s_delay_alu instid0(VALU_DEP_2) | instskip(SKIP_3) | instid1(VALU_DEP_1)
	v_pk_fma_f32 v[2:3], v[24:25], v[18:19], v[0:1] op_sel:[0,0,1] op_sel_hi:[1,1,0] neg_lo:[0,0,1] neg_hi:[0,0,1]
	v_pk_fma_f32 v[0:1], v[24:25], v[18:19], v[0:1] op_sel:[0,0,1] op_sel_hi:[1,0,0]
	ds_load_2addr_b64 v[22:25], v6 offset0:57 offset1:58
	v_mov_b32_e32 v3, v1
	v_pk_add_f32 v[248:249], v[248:249], v[2:3] neg_lo:[0,1] neg_hi:[0,1]
	s_wait_dscnt 0x0
	v_dual_mul_f32 v2, v23, v18 :: v_dual_mul_f32 v0, v23, v21
	s_delay_alu instid0(VALU_DEP_1) | instskip(NEXT) | instid1(VALU_DEP_2)
	v_pk_fma_f32 v[2:3], v[22:23], v[136:137], v[2:3] op_sel:[1,0,0] op_sel_hi:[0,1,0]
	v_pk_fma_f32 v[0:1], v[22:23], v[136:137], v[0:1] op_sel_hi:[1,1,0] neg_lo:[0,0,1] neg_hi:[0,0,1]
	s_delay_alu instid0(VALU_DEP_2) | instskip(NEXT) | instid1(VALU_DEP_1)
	v_mov_b32_e32 v1, v3
	v_pk_add_f32 v[242:243], v[242:243], v[0:1] neg_lo:[0,1] neg_hi:[0,1]
	v_pk_mul_f32 v[0:1], v[24:25], v[20:21] op_sel:[0,1]
	s_delay_alu instid0(VALU_DEP_1) | instskip(SKIP_3) | instid1(VALU_DEP_1)
	v_pk_fma_f32 v[2:3], v[24:25], v[18:19], v[0:1] op_sel:[0,0,1] op_sel_hi:[1,1,0] neg_lo:[0,0,1] neg_hi:[0,0,1]
	v_pk_fma_f32 v[0:1], v[24:25], v[18:19], v[0:1] op_sel:[0,0,1] op_sel_hi:[1,0,0]
	ds_load_2addr_b64 v[22:25], v6 offset0:59 offset1:60
	v_mov_b32_e32 v3, v1
	v_pk_add_f32 v[246:247], v[246:247], v[2:3] neg_lo:[0,1] neg_hi:[0,1]
	s_wait_dscnt 0x0
	v_pk_mul_f32 v[0:1], v[22:23], v[20:21] op_sel:[0,1]
	s_delay_alu instid0(VALU_DEP_1) | instskip(SKIP_1) | instid1(VALU_DEP_1)
	v_pk_fma_f32 v[2:3], v[22:23], v[18:19], v[0:1] op_sel:[0,0,1] op_sel_hi:[1,1,0] neg_lo:[0,0,1] neg_hi:[0,0,1]
	v_pk_fma_f32 v[0:1], v[22:23], v[18:19], v[0:1] op_sel:[0,0,1] op_sel_hi:[1,0,0]
	v_mov_b32_e32 v3, v1
	v_pk_mul_f32 v[0:1], v[24:25], v[20:21] op_sel:[0,1]
	s_delay_alu instid0(VALU_DEP_2) | instskip(NEXT) | instid1(VALU_DEP_2)
	v_pk_add_f32 v[240:241], v[240:241], v[2:3] neg_lo:[0,1] neg_hi:[0,1]
	v_pk_fma_f32 v[2:3], v[24:25], v[18:19], v[0:1] op_sel:[0,0,1] op_sel_hi:[1,1,0] neg_lo:[0,0,1] neg_hi:[0,0,1]
	v_pk_fma_f32 v[0:1], v[24:25], v[18:19], v[0:1] op_sel:[0,0,1] op_sel_hi:[1,0,0]
	ds_load_2addr_b64 v[22:25], v6 offset0:61 offset1:62
	v_mov_b32_e32 v3, v1
	s_delay_alu instid0(VALU_DEP_1) | instskip(SKIP_2) | instid1(VALU_DEP_1)
	v_pk_add_f32 v[244:245], v[244:245], v[2:3] neg_lo:[0,1] neg_hi:[0,1]
	s_wait_dscnt 0x0
	v_pk_mul_f32 v[0:1], v[22:23], v[20:21] op_sel:[0,1]
	v_pk_fma_f32 v[2:3], v[22:23], v[18:19], v[0:1] op_sel:[0,0,1] op_sel_hi:[1,1,0] neg_lo:[0,0,1] neg_hi:[0,0,1]
	v_pk_fma_f32 v[0:1], v[22:23], v[18:19], v[0:1] op_sel:[0,0,1] op_sel_hi:[1,0,0]
	v_dual_mov_b32 v0, v25 :: v_dual_mul_f32 v18, v25, v18
	s_delay_alu instid0(VALU_DEP_2) | instskip(NEXT) | instid1(VALU_DEP_1)
	v_dual_mov_b32 v3, v1 :: v_dual_mov_b32 v1, v24
	v_pk_add_f32 v[250:251], v[250:251], v[2:3] neg_lo:[0,1] neg_hi:[0,1]
	v_mul_f32_e32 v2, v25, v21
	s_delay_alu instid0(VALU_DEP_3) | instskip(NEXT) | instid1(VALU_DEP_2)
	v_pk_fma_f32 v[0:1], v[0:1], v[136:137], v[18:19] op_sel_hi:[1,1,0]
	v_pk_fma_f32 v[2:3], v[24:25], v[136:137], v[2:3] op_sel_hi:[1,1,0] neg_lo:[0,0,1] neg_hi:[0,0,1]
	s_delay_alu instid0(VALU_DEP_2) | instskip(NEXT) | instid1(VALU_DEP_1)
	v_mov_b32_e32 v3, v1
	v_pk_add_f32 v[252:253], v[252:253], v[2:3] neg_lo:[0,1] neg_hi:[0,1]
.LBB125_82:
	s_or_b32 exec_lo, exec_lo, s1
	s_delay_alu instid0(SALU_CYCLE_1)
	s_mov_b32 s2, exec_lo
	s_wait_dscnt 0x0
	s_barrier_signal -1
	s_barrier_wait -1
	v_cmpx_eq_u32_e32 9, v254
	s_cbranch_execz .LBB125_89
; %bb.83:
	v_dual_mov_b32 v0, v148 :: v_dual_mov_b32 v1, v149
	v_dual_mov_b32 v2, v150 :: v_dual_mov_b32 v3, v151
	ds_store_b64 v255, v[146:147]
	ds_store_2addr_b64 v6, v[0:1], v[2:3] offset0:10 offset1:11
	v_dual_mov_b32 v0, v152 :: v_dual_mov_b32 v1, v153
	v_dual_mov_b32 v2, v154 :: v_dual_mov_b32 v3, v155
	ds_store_2addr_b64 v6, v[0:1], v[2:3] offset0:12 offset1:13
	v_dual_mov_b32 v0, v156 :: v_dual_mov_b32 v1, v157
	v_dual_mov_b32 v2, v158 :: v_dual_mov_b32 v3, v159
	;; [unrolled: 3-line block ×25, first 2 shown]
	ds_store_2addr_b64 v6, v[0:1], v[2:3] offset0:60 offset1:61
	ds_store_b64 v6, v[252:253] offset:496
	ds_load_b64 v[18:19], v255
	s_wait_dscnt 0x0
	v_cmp_neq_f32_e32 vcc_lo, 0, v18
	v_cmp_neq_f32_e64 s1, 0, v19
	s_or_b32 s1, vcc_lo, s1
	s_delay_alu instid0(SALU_CYCLE_1)
	s_and_b32 exec_lo, exec_lo, s1
	s_cbranch_execz .LBB125_89
; %bb.84:
	v_cmp_ngt_f32_e64 s1, |v18|, |v19|
                                        ; implicit-def: $vgpr20_vgpr21
	s_and_saveexec_b32 s4, s1
	s_delay_alu instid0(SALU_CYCLE_1)
	s_xor_b32 s1, exec_lo, s4
	s_cbranch_execz .LBB125_86
; %bb.85:
	v_div_scale_f32 v0, null, v19, v19, v18
	v_div_scale_f32 v3, vcc_lo, v18, v19, v18
	s_delay_alu instid0(VALU_DEP_2) | instskip(SKIP_1) | instid1(TRANS32_DEP_1)
	v_rcp_f32_e32 v1, v0
	v_nop
	v_fma_f32 v2, -v0, v1, 1.0
	s_delay_alu instid0(VALU_DEP_1) | instskip(NEXT) | instid1(VALU_DEP_1)
	v_fmac_f32_e32 v1, v2, v1
	v_mul_f32_e32 v2, v3, v1
	s_delay_alu instid0(VALU_DEP_1) | instskip(NEXT) | instid1(VALU_DEP_1)
	v_fma_f32 v4, -v0, v2, v3
	v_fmac_f32_e32 v2, v4, v1
	s_delay_alu instid0(VALU_DEP_1) | instskip(NEXT) | instid1(VALU_DEP_1)
	v_fma_f32 v0, -v0, v2, v3
	v_div_fmas_f32 v0, v0, v1, v2
	s_delay_alu instid0(VALU_DEP_1) | instskip(NEXT) | instid1(VALU_DEP_1)
	v_div_fixup_f32 v0, v0, v19, v18
	v_fmac_f32_e32 v19, v18, v0
	s_delay_alu instid0(VALU_DEP_1) | instskip(SKIP_1) | instid1(VALU_DEP_2)
	v_div_scale_f32 v1, null, v19, v19, 1.0
	v_div_scale_f32 v4, vcc_lo, 1.0, v19, 1.0
	v_rcp_f32_e32 v2, v1
	v_nop
	s_delay_alu instid0(TRANS32_DEP_1) | instskip(NEXT) | instid1(VALU_DEP_1)
	v_fma_f32 v3, -v1, v2, 1.0
	v_fmac_f32_e32 v2, v3, v2
	s_delay_alu instid0(VALU_DEP_1) | instskip(NEXT) | instid1(VALU_DEP_1)
	v_mul_f32_e32 v3, v4, v2
	v_fma_f32 v5, -v1, v3, v4
	s_delay_alu instid0(VALU_DEP_1) | instskip(NEXT) | instid1(VALU_DEP_1)
	v_fmac_f32_e32 v3, v5, v2
	v_fma_f32 v1, -v1, v3, v4
	s_delay_alu instid0(VALU_DEP_1) | instskip(NEXT) | instid1(VALU_DEP_1)
	v_div_fmas_f32 v1, v1, v2, v3
	v_div_fixup_f32 v1, v1, v19, 1.0
                                        ; implicit-def: $vgpr18_vgpr19
	s_delay_alu instid0(VALU_DEP_1)
	v_mul_f32_e32 v20, v0, v1
	v_xor_b32_e32 v21, 0x80000000, v1
.LBB125_86:
	s_and_not1_saveexec_b32 s1, s1
	s_cbranch_execz .LBB125_88
; %bb.87:
	v_div_scale_f32 v0, null, v18, v18, v19
	v_div_scale_f32 v3, vcc_lo, v19, v18, v19
	s_delay_alu instid0(VALU_DEP_2) | instskip(SKIP_1) | instid1(TRANS32_DEP_1)
	v_rcp_f32_e32 v1, v0
	v_nop
	v_fma_f32 v2, -v0, v1, 1.0
	s_delay_alu instid0(VALU_DEP_1) | instskip(NEXT) | instid1(VALU_DEP_1)
	v_fmac_f32_e32 v1, v2, v1
	v_mul_f32_e32 v2, v3, v1
	s_delay_alu instid0(VALU_DEP_1) | instskip(NEXT) | instid1(VALU_DEP_1)
	v_fma_f32 v4, -v0, v2, v3
	v_fmac_f32_e32 v2, v4, v1
	s_delay_alu instid0(VALU_DEP_1) | instskip(NEXT) | instid1(VALU_DEP_1)
	v_fma_f32 v0, -v0, v2, v3
	v_div_fmas_f32 v0, v0, v1, v2
	s_delay_alu instid0(VALU_DEP_1) | instskip(NEXT) | instid1(VALU_DEP_1)
	v_div_fixup_f32 v0, v0, v18, v19
	v_fmac_f32_e32 v18, v19, v0
	s_delay_alu instid0(VALU_DEP_1) | instskip(NEXT) | instid1(VALU_DEP_1)
	v_div_scale_f32 v1, null, v18, v18, 1.0
	v_rcp_f32_e32 v2, v1
	v_nop
	s_delay_alu instid0(TRANS32_DEP_1) | instskip(NEXT) | instid1(VALU_DEP_1)
	v_fma_f32 v3, -v1, v2, 1.0
	v_fmac_f32_e32 v2, v3, v2
	v_div_scale_f32 v3, vcc_lo, 1.0, v18, 1.0
	s_delay_alu instid0(VALU_DEP_1) | instskip(NEXT) | instid1(VALU_DEP_1)
	v_mul_f32_e32 v4, v3, v2
	v_fma_f32 v5, -v1, v4, v3
	s_delay_alu instid0(VALU_DEP_1) | instskip(NEXT) | instid1(VALU_DEP_1)
	v_fmac_f32_e32 v4, v5, v2
	v_fma_f32 v1, -v1, v4, v3
	s_delay_alu instid0(VALU_DEP_1) | instskip(NEXT) | instid1(VALU_DEP_1)
	v_div_fmas_f32 v1, v1, v2, v4
	v_div_fixup_f32 v20, v1, v18, 1.0
	s_delay_alu instid0(VALU_DEP_1)
	v_mul_f32_e64 v21, v0, -v20
.LBB125_88:
	s_or_b32 exec_lo, exec_lo, s1
	ds_store_b64 v255, v[20:21]
.LBB125_89:
	s_or_b32 exec_lo, exec_lo, s2
	s_wait_dscnt 0x0
	s_barrier_signal -1
	s_barrier_wait -1
	ds_load_b64 v[18:19], v255
	s_mov_b32 s1, exec_lo
	v_cmpx_lt_u32_e32 9, v254
	s_cbranch_execz .LBB125_91
; %bb.90:
	ds_load_2addr_b64 v[24:27], v6 offset0:10 offset1:11
	s_wait_dscnt 0x1
	v_pk_mul_f32 v[0:1], v[18:19], v[146:147] op_sel:[1,1] op_sel_hi:[0,1]
	s_delay_alu instid0(VALU_DEP_1) | instskip(SKIP_1) | instid1(VALU_DEP_1)
	v_pk_fma_f32 v[22:23], v[18:19], v[146:147], v[0:1] op_sel_hi:[1,0,1]
	v_pk_fma_f32 v[20:21], v[18:19], v[146:147], v[0:1] op_sel_hi:[1,0,1] neg_lo:[0,0,1] neg_hi:[0,0,1]
	v_dual_mov_b32 v147, v23 :: v_dual_mov_b32 v146, v20
	s_wait_dscnt 0x0
	s_delay_alu instid0(VALU_DEP_3) | instskip(NEXT) | instid1(VALU_DEP_1)
	v_pk_mul_f32 v[0:1], v[24:25], v[22:23] op_sel:[0,1]
	v_pk_fma_f32 v[2:3], v[24:25], v[20:21], v[0:1] op_sel:[0,0,1] op_sel_hi:[1,1,0] neg_lo:[0,0,1] neg_hi:[0,0,1]
	v_pk_fma_f32 v[0:1], v[24:25], v[20:21], v[0:1] op_sel:[0,0,1] op_sel_hi:[1,0,0]
	s_delay_alu instid0(VALU_DEP_1) | instskip(SKIP_1) | instid1(VALU_DEP_2)
	v_mov_b32_e32 v3, v1
	v_pk_mul_f32 v[0:1], v[26:27], v[22:23] op_sel:[0,1]
	v_pk_add_f32 v[148:149], v[148:149], v[2:3] neg_lo:[0,1] neg_hi:[0,1]
	s_delay_alu instid0(VALU_DEP_2) | instskip(SKIP_3) | instid1(VALU_DEP_1)
	v_pk_fma_f32 v[2:3], v[26:27], v[20:21], v[0:1] op_sel:[0,0,1] op_sel_hi:[1,1,0] neg_lo:[0,0,1] neg_hi:[0,0,1]
	v_pk_fma_f32 v[0:1], v[26:27], v[20:21], v[0:1] op_sel:[0,0,1] op_sel_hi:[1,0,0]
	ds_load_2addr_b64 v[24:27], v6 offset0:12 offset1:13
	v_mov_b32_e32 v3, v1
	v_pk_add_f32 v[150:151], v[150:151], v[2:3] neg_lo:[0,1] neg_hi:[0,1]
	s_wait_dscnt 0x0
	v_pk_mul_f32 v[0:1], v[24:25], v[22:23] op_sel:[0,1]
	s_delay_alu instid0(VALU_DEP_1) | instskip(SKIP_2) | instid1(VALU_DEP_2)
	v_pk_fma_f32 v[2:3], v[24:25], v[20:21], v[0:1] op_sel:[0,0,1] op_sel_hi:[1,1,0] neg_lo:[0,0,1] neg_hi:[0,0,1]
	v_pk_fma_f32 v[0:1], v[24:25], v[20:21], v[0:1] op_sel:[0,0,1] op_sel_hi:[1,0,0]
	v_dual_mov_b32 v0, v27 :: v_dual_mul_f32 v24, v27, v20
	v_dual_mov_b32 v3, v1 :: v_dual_mov_b32 v1, v26
	s_delay_alu instid0(VALU_DEP_1) | instskip(SKIP_1) | instid1(VALU_DEP_3)
	v_pk_add_f32 v[152:153], v[152:153], v[2:3] neg_lo:[0,1] neg_hi:[0,1]
	v_mul_f32_e32 v2, v27, v23
	v_pk_fma_f32 v[0:1], v[0:1], v[146:147], v[24:25] op_sel_hi:[1,1,0]
	s_delay_alu instid0(VALU_DEP_2) | instskip(SKIP_2) | instid1(VALU_DEP_1)
	v_pk_fma_f32 v[2:3], v[26:27], v[146:147], v[2:3] op_sel_hi:[1,1,0] neg_lo:[0,0,1] neg_hi:[0,0,1]
	ds_load_2addr_b64 v[24:27], v6 offset0:14 offset1:15
	v_mov_b32_e32 v3, v1
	v_pk_add_f32 v[154:155], v[154:155], v[2:3] neg_lo:[0,1] neg_hi:[0,1]
	s_wait_dscnt 0x0
	v_pk_mul_f32 v[0:1], v[24:25], v[22:23] op_sel:[0,1]
	s_delay_alu instid0(VALU_DEP_1) | instskip(SKIP_1) | instid1(VALU_DEP_1)
	v_pk_fma_f32 v[2:3], v[24:25], v[20:21], v[0:1] op_sel:[0,0,1] op_sel_hi:[1,1,0] neg_lo:[0,0,1] neg_hi:[0,0,1]
	v_pk_fma_f32 v[0:1], v[24:25], v[20:21], v[0:1] op_sel:[0,0,1] op_sel_hi:[1,0,0]
	v_mov_b32_e32 v3, v1
	v_pk_mul_f32 v[0:1], v[26:27], v[22:23] op_sel:[0,1]
	s_delay_alu instid0(VALU_DEP_2) | instskip(NEXT) | instid1(VALU_DEP_2)
	v_pk_add_f32 v[156:157], v[156:157], v[2:3] neg_lo:[0,1] neg_hi:[0,1]
	v_pk_fma_f32 v[2:3], v[26:27], v[20:21], v[0:1] op_sel:[0,0,1] op_sel_hi:[1,1,0] neg_lo:[0,0,1] neg_hi:[0,0,1]
	v_pk_fma_f32 v[0:1], v[26:27], v[20:21], v[0:1] op_sel:[0,0,1] op_sel_hi:[1,0,0]
	ds_load_2addr_b64 v[24:27], v6 offset0:16 offset1:17
	v_mov_b32_e32 v3, v1
	s_delay_alu instid0(VALU_DEP_1) | instskip(SKIP_2) | instid1(VALU_DEP_1)
	v_pk_add_f32 v[158:159], v[158:159], v[2:3] neg_lo:[0,1] neg_hi:[0,1]
	s_wait_dscnt 0x0
	v_pk_mul_f32 v[0:1], v[24:25], v[22:23] op_sel:[0,1]
	v_pk_fma_f32 v[2:3], v[24:25], v[20:21], v[0:1] op_sel:[0,0,1] op_sel_hi:[1,1,0] neg_lo:[0,0,1] neg_hi:[0,0,1]
	v_pk_fma_f32 v[0:1], v[24:25], v[20:21], v[0:1] op_sel:[0,0,1] op_sel_hi:[1,0,0]
	s_delay_alu instid0(VALU_DEP_1) | instskip(SKIP_1) | instid1(VALU_DEP_2)
	v_mov_b32_e32 v3, v1
	v_pk_mul_f32 v[0:1], v[26:27], v[22:23] op_sel:[0,1]
	v_pk_add_f32 v[160:161], v[160:161], v[2:3] neg_lo:[0,1] neg_hi:[0,1]
	s_delay_alu instid0(VALU_DEP_2) | instskip(SKIP_3) | instid1(VALU_DEP_1)
	v_pk_fma_f32 v[2:3], v[26:27], v[20:21], v[0:1] op_sel:[0,0,1] op_sel_hi:[1,1,0] neg_lo:[0,0,1] neg_hi:[0,0,1]
	v_pk_fma_f32 v[0:1], v[26:27], v[20:21], v[0:1] op_sel:[0,0,1] op_sel_hi:[1,0,0]
	ds_load_2addr_b64 v[24:27], v6 offset0:18 offset1:19
	v_mov_b32_e32 v3, v1
	v_pk_add_f32 v[162:163], v[162:163], v[2:3] neg_lo:[0,1] neg_hi:[0,1]
	s_wait_dscnt 0x0
	v_dual_mul_f32 v0, v25, v23 :: v_dual_mul_f32 v2, v25, v20
	s_delay_alu instid0(VALU_DEP_1) | instskip(NEXT) | instid1(VALU_DEP_2)
	v_pk_fma_f32 v[0:1], v[24:25], v[146:147], v[0:1] op_sel_hi:[1,1,0] neg_lo:[0,0,1] neg_hi:[0,0,1]
	v_pk_fma_f32 v[2:3], v[24:25], v[146:147], v[2:3] op_sel:[1,0,0] op_sel_hi:[0,1,0]
	s_delay_alu instid0(VALU_DEP_1) | instskip(NEXT) | instid1(VALU_DEP_1)
	v_mov_b32_e32 v1, v3
	v_pk_add_f32 v[164:165], v[164:165], v[0:1] neg_lo:[0,1] neg_hi:[0,1]
	v_pk_mul_f32 v[0:1], v[26:27], v[22:23] op_sel:[0,1]
	s_delay_alu instid0(VALU_DEP_1) | instskip(SKIP_3) | instid1(VALU_DEP_1)
	v_pk_fma_f32 v[2:3], v[26:27], v[20:21], v[0:1] op_sel:[0,0,1] op_sel_hi:[1,1,0] neg_lo:[0,0,1] neg_hi:[0,0,1]
	v_pk_fma_f32 v[0:1], v[26:27], v[20:21], v[0:1] op_sel:[0,0,1] op_sel_hi:[1,0,0]
	ds_load_2addr_b64 v[24:27], v6 offset0:20 offset1:21
	v_mov_b32_e32 v3, v1
	v_pk_add_f32 v[166:167], v[166:167], v[2:3] neg_lo:[0,1] neg_hi:[0,1]
	s_wait_dscnt 0x0
	v_pk_mul_f32 v[0:1], v[24:25], v[22:23] op_sel:[0,1]
	s_delay_alu instid0(VALU_DEP_1) | instskip(SKIP_1) | instid1(VALU_DEP_1)
	v_pk_fma_f32 v[2:3], v[24:25], v[20:21], v[0:1] op_sel:[0,0,1] op_sel_hi:[1,1,0] neg_lo:[0,0,1] neg_hi:[0,0,1]
	v_pk_fma_f32 v[0:1], v[24:25], v[20:21], v[0:1] op_sel:[0,0,1] op_sel_hi:[1,0,0]
	v_mov_b32_e32 v3, v1
	v_pk_mul_f32 v[0:1], v[26:27], v[22:23] op_sel:[0,1]
	s_delay_alu instid0(VALU_DEP_2) | instskip(NEXT) | instid1(VALU_DEP_2)
	v_pk_add_f32 v[168:169], v[168:169], v[2:3] neg_lo:[0,1] neg_hi:[0,1]
	v_pk_fma_f32 v[2:3], v[26:27], v[20:21], v[0:1] op_sel:[0,0,1] op_sel_hi:[1,1,0] neg_lo:[0,0,1] neg_hi:[0,0,1]
	v_pk_fma_f32 v[0:1], v[26:27], v[20:21], v[0:1] op_sel:[0,0,1] op_sel_hi:[1,0,0]
	ds_load_2addr_b64 v[24:27], v6 offset0:22 offset1:23
	v_mov_b32_e32 v3, v1
	s_delay_alu instid0(VALU_DEP_1) | instskip(SKIP_2) | instid1(VALU_DEP_1)
	v_pk_add_f32 v[170:171], v[170:171], v[2:3] neg_lo:[0,1] neg_hi:[0,1]
	s_wait_dscnt 0x0
	v_pk_mul_f32 v[0:1], v[24:25], v[22:23] op_sel:[0,1]
	v_pk_fma_f32 v[2:3], v[24:25], v[20:21], v[0:1] op_sel:[0,0,1] op_sel_hi:[1,1,0] neg_lo:[0,0,1] neg_hi:[0,0,1]
	v_pk_fma_f32 v[0:1], v[24:25], v[20:21], v[0:1] op_sel:[0,0,1] op_sel_hi:[1,0,0]
	v_dual_mov_b32 v0, v27 :: v_dual_mul_f32 v24, v27, v20
	s_delay_alu instid0(VALU_DEP_2) | instskip(NEXT) | instid1(VALU_DEP_1)
	v_dual_mov_b32 v3, v1 :: v_dual_mov_b32 v1, v26
	v_pk_add_f32 v[172:173], v[172:173], v[2:3] neg_lo:[0,1] neg_hi:[0,1]
	v_mul_f32_e32 v2, v27, v23
	s_delay_alu instid0(VALU_DEP_3) | instskip(NEXT) | instid1(VALU_DEP_2)
	v_pk_fma_f32 v[0:1], v[0:1], v[146:147], v[24:25] op_sel_hi:[1,1,0]
	v_pk_fma_f32 v[2:3], v[26:27], v[146:147], v[2:3] op_sel_hi:[1,1,0] neg_lo:[0,0,1] neg_hi:[0,0,1]
	ds_load_2addr_b64 v[24:27], v6 offset0:24 offset1:25
	v_mov_b32_e32 v3, v1
	s_delay_alu instid0(VALU_DEP_1) | instskip(SKIP_2) | instid1(VALU_DEP_1)
	v_pk_add_f32 v[174:175], v[174:175], v[2:3] neg_lo:[0,1] neg_hi:[0,1]
	s_wait_dscnt 0x0
	v_pk_mul_f32 v[0:1], v[24:25], v[22:23] op_sel:[0,1]
	v_pk_fma_f32 v[2:3], v[24:25], v[20:21], v[0:1] op_sel:[0,0,1] op_sel_hi:[1,1,0] neg_lo:[0,0,1] neg_hi:[0,0,1]
	v_pk_fma_f32 v[0:1], v[24:25], v[20:21], v[0:1] op_sel:[0,0,1] op_sel_hi:[1,0,0]
	s_delay_alu instid0(VALU_DEP_1) | instskip(SKIP_1) | instid1(VALU_DEP_2)
	v_mov_b32_e32 v3, v1
	v_pk_mul_f32 v[0:1], v[26:27], v[22:23] op_sel:[0,1]
	v_pk_add_f32 v[176:177], v[176:177], v[2:3] neg_lo:[0,1] neg_hi:[0,1]
	s_delay_alu instid0(VALU_DEP_2) | instskip(SKIP_3) | instid1(VALU_DEP_1)
	v_pk_fma_f32 v[2:3], v[26:27], v[20:21], v[0:1] op_sel:[0,0,1] op_sel_hi:[1,1,0] neg_lo:[0,0,1] neg_hi:[0,0,1]
	v_pk_fma_f32 v[0:1], v[26:27], v[20:21], v[0:1] op_sel:[0,0,1] op_sel_hi:[1,0,0]
	ds_load_2addr_b64 v[24:27], v6 offset0:26 offset1:27
	v_mov_b32_e32 v3, v1
	v_pk_add_f32 v[178:179], v[178:179], v[2:3] neg_lo:[0,1] neg_hi:[0,1]
	s_wait_dscnt 0x0
	v_pk_mul_f32 v[0:1], v[24:25], v[22:23] op_sel:[0,1]
	s_delay_alu instid0(VALU_DEP_1) | instskip(SKIP_1) | instid1(VALU_DEP_1)
	v_pk_fma_f32 v[2:3], v[24:25], v[20:21], v[0:1] op_sel:[0,0,1] op_sel_hi:[1,1,0] neg_lo:[0,0,1] neg_hi:[0,0,1]
	v_pk_fma_f32 v[0:1], v[24:25], v[20:21], v[0:1] op_sel:[0,0,1] op_sel_hi:[1,0,0]
	v_mov_b32_e32 v3, v1
	v_pk_mul_f32 v[0:1], v[26:27], v[22:23] op_sel:[0,1]
	s_delay_alu instid0(VALU_DEP_2) | instskip(NEXT) | instid1(VALU_DEP_2)
	v_pk_add_f32 v[180:181], v[180:181], v[2:3] neg_lo:[0,1] neg_hi:[0,1]
	v_pk_fma_f32 v[2:3], v[26:27], v[20:21], v[0:1] op_sel:[0,0,1] op_sel_hi:[1,1,0] neg_lo:[0,0,1] neg_hi:[0,0,1]
	v_pk_fma_f32 v[0:1], v[26:27], v[20:21], v[0:1] op_sel:[0,0,1] op_sel_hi:[1,0,0]
	ds_load_2addr_b64 v[24:27], v6 offset0:28 offset1:29
	v_mov_b32_e32 v3, v1
	s_delay_alu instid0(VALU_DEP_1) | instskip(SKIP_2) | instid1(VALU_DEP_1)
	v_pk_add_f32 v[182:183], v[182:183], v[2:3] neg_lo:[0,1] neg_hi:[0,1]
	s_wait_dscnt 0x0
	v_dual_mul_f32 v2, v25, v20 :: v_dual_mul_f32 v0, v25, v23
	v_pk_fma_f32 v[2:3], v[24:25], v[146:147], v[2:3] op_sel:[1,0,0] op_sel_hi:[0,1,0]
	s_delay_alu instid0(VALU_DEP_2) | instskip(NEXT) | instid1(VALU_DEP_2)
	v_pk_fma_f32 v[0:1], v[24:25], v[146:147], v[0:1] op_sel_hi:[1,1,0] neg_lo:[0,0,1] neg_hi:[0,0,1]
	v_mov_b32_e32 v1, v3
	s_delay_alu instid0(VALU_DEP_1) | instskip(SKIP_1) | instid1(VALU_DEP_1)
	v_pk_add_f32 v[184:185], v[184:185], v[0:1] neg_lo:[0,1] neg_hi:[0,1]
	v_pk_mul_f32 v[0:1], v[26:27], v[22:23] op_sel:[0,1]
	v_pk_fma_f32 v[2:3], v[26:27], v[20:21], v[0:1] op_sel:[0,0,1] op_sel_hi:[1,1,0] neg_lo:[0,0,1] neg_hi:[0,0,1]
	v_pk_fma_f32 v[0:1], v[26:27], v[20:21], v[0:1] op_sel:[0,0,1] op_sel_hi:[1,0,0]
	ds_load_2addr_b64 v[24:27], v6 offset0:30 offset1:31
	v_mov_b32_e32 v3, v1
	s_delay_alu instid0(VALU_DEP_1) | instskip(SKIP_2) | instid1(VALU_DEP_1)
	v_pk_add_f32 v[186:187], v[186:187], v[2:3] neg_lo:[0,1] neg_hi:[0,1]
	s_wait_dscnt 0x0
	v_pk_mul_f32 v[0:1], v[24:25], v[22:23] op_sel:[0,1]
	v_pk_fma_f32 v[2:3], v[24:25], v[20:21], v[0:1] op_sel:[0,0,1] op_sel_hi:[1,1,0] neg_lo:[0,0,1] neg_hi:[0,0,1]
	v_pk_fma_f32 v[0:1], v[24:25], v[20:21], v[0:1] op_sel:[0,0,1] op_sel_hi:[1,0,0]
	s_delay_alu instid0(VALU_DEP_1) | instskip(SKIP_1) | instid1(VALU_DEP_2)
	v_mov_b32_e32 v3, v1
	v_pk_mul_f32 v[0:1], v[26:27], v[22:23] op_sel:[0,1]
	v_pk_add_f32 v[188:189], v[188:189], v[2:3] neg_lo:[0,1] neg_hi:[0,1]
	s_delay_alu instid0(VALU_DEP_2) | instskip(SKIP_3) | instid1(VALU_DEP_1)
	v_pk_fma_f32 v[2:3], v[26:27], v[20:21], v[0:1] op_sel:[0,0,1] op_sel_hi:[1,1,0] neg_lo:[0,0,1] neg_hi:[0,0,1]
	v_pk_fma_f32 v[0:1], v[26:27], v[20:21], v[0:1] op_sel:[0,0,1] op_sel_hi:[1,0,0]
	ds_load_2addr_b64 v[24:27], v6 offset0:32 offset1:33
	v_mov_b32_e32 v3, v1
	v_pk_add_f32 v[190:191], v[190:191], v[2:3] neg_lo:[0,1] neg_hi:[0,1]
	s_wait_dscnt 0x0
	v_pk_mul_f32 v[0:1], v[24:25], v[22:23] op_sel:[0,1]
	s_delay_alu instid0(VALU_DEP_1) | instskip(SKIP_2) | instid1(VALU_DEP_2)
	v_pk_fma_f32 v[2:3], v[24:25], v[20:21], v[0:1] op_sel:[0,0,1] op_sel_hi:[1,1,0] neg_lo:[0,0,1] neg_hi:[0,0,1]
	v_pk_fma_f32 v[0:1], v[24:25], v[20:21], v[0:1] op_sel:[0,0,1] op_sel_hi:[1,0,0]
	v_dual_mov_b32 v0, v27 :: v_dual_mul_f32 v24, v27, v20
	v_dual_mov_b32 v3, v1 :: v_dual_mov_b32 v1, v26
	s_delay_alu instid0(VALU_DEP_1) | instskip(SKIP_1) | instid1(VALU_DEP_3)
	v_pk_add_f32 v[192:193], v[192:193], v[2:3] neg_lo:[0,1] neg_hi:[0,1]
	v_mul_f32_e32 v2, v27, v23
	v_pk_fma_f32 v[0:1], v[0:1], v[146:147], v[24:25] op_sel_hi:[1,1,0]
	s_delay_alu instid0(VALU_DEP_2) | instskip(SKIP_2) | instid1(VALU_DEP_1)
	v_pk_fma_f32 v[2:3], v[26:27], v[146:147], v[2:3] op_sel_hi:[1,1,0] neg_lo:[0,0,1] neg_hi:[0,0,1]
	ds_load_2addr_b64 v[24:27], v6 offset0:34 offset1:35
	v_mov_b32_e32 v3, v1
	v_pk_add_f32 v[194:195], v[194:195], v[2:3] neg_lo:[0,1] neg_hi:[0,1]
	s_wait_dscnt 0x0
	v_pk_mul_f32 v[0:1], v[24:25], v[22:23] op_sel:[0,1]
	s_delay_alu instid0(VALU_DEP_1) | instskip(SKIP_1) | instid1(VALU_DEP_1)
	v_pk_fma_f32 v[2:3], v[24:25], v[20:21], v[0:1] op_sel:[0,0,1] op_sel_hi:[1,1,0] neg_lo:[0,0,1] neg_hi:[0,0,1]
	v_pk_fma_f32 v[0:1], v[24:25], v[20:21], v[0:1] op_sel:[0,0,1] op_sel_hi:[1,0,0]
	v_mov_b32_e32 v3, v1
	v_pk_mul_f32 v[0:1], v[26:27], v[22:23] op_sel:[0,1]
	s_delay_alu instid0(VALU_DEP_2) | instskip(NEXT) | instid1(VALU_DEP_2)
	v_pk_add_f32 v[196:197], v[196:197], v[2:3] neg_lo:[0,1] neg_hi:[0,1]
	v_pk_fma_f32 v[2:3], v[26:27], v[20:21], v[0:1] op_sel:[0,0,1] op_sel_hi:[1,1,0] neg_lo:[0,0,1] neg_hi:[0,0,1]
	v_pk_fma_f32 v[0:1], v[26:27], v[20:21], v[0:1] op_sel:[0,0,1] op_sel_hi:[1,0,0]
	ds_load_2addr_b64 v[24:27], v6 offset0:36 offset1:37
	v_mov_b32_e32 v3, v1
	s_delay_alu instid0(VALU_DEP_1) | instskip(SKIP_2) | instid1(VALU_DEP_1)
	v_pk_add_f32 v[198:199], v[198:199], v[2:3] neg_lo:[0,1] neg_hi:[0,1]
	s_wait_dscnt 0x0
	v_pk_mul_f32 v[0:1], v[24:25], v[22:23] op_sel:[0,1]
	v_pk_fma_f32 v[2:3], v[24:25], v[20:21], v[0:1] op_sel:[0,0,1] op_sel_hi:[1,1,0] neg_lo:[0,0,1] neg_hi:[0,0,1]
	v_pk_fma_f32 v[0:1], v[24:25], v[20:21], v[0:1] op_sel:[0,0,1] op_sel_hi:[1,0,0]
	s_delay_alu instid0(VALU_DEP_1) | instskip(SKIP_1) | instid1(VALU_DEP_2)
	v_mov_b32_e32 v3, v1
	v_pk_mul_f32 v[0:1], v[26:27], v[22:23] op_sel:[0,1]
	v_pk_add_f32 v[200:201], v[200:201], v[2:3] neg_lo:[0,1] neg_hi:[0,1]
	s_delay_alu instid0(VALU_DEP_2) | instskip(SKIP_3) | instid1(VALU_DEP_1)
	v_pk_fma_f32 v[2:3], v[26:27], v[20:21], v[0:1] op_sel:[0,0,1] op_sel_hi:[1,1,0] neg_lo:[0,0,1] neg_hi:[0,0,1]
	v_pk_fma_f32 v[0:1], v[26:27], v[20:21], v[0:1] op_sel:[0,0,1] op_sel_hi:[1,0,0]
	ds_load_2addr_b64 v[24:27], v6 offset0:38 offset1:39
	v_mov_b32_e32 v3, v1
	v_pk_add_f32 v[202:203], v[202:203], v[2:3] neg_lo:[0,1] neg_hi:[0,1]
	s_wait_dscnt 0x0
	v_dual_mul_f32 v0, v25, v23 :: v_dual_mul_f32 v2, v25, v20
	s_delay_alu instid0(VALU_DEP_1) | instskip(NEXT) | instid1(VALU_DEP_2)
	v_pk_fma_f32 v[0:1], v[24:25], v[146:147], v[0:1] op_sel_hi:[1,1,0] neg_lo:[0,0,1] neg_hi:[0,0,1]
	v_pk_fma_f32 v[2:3], v[24:25], v[146:147], v[2:3] op_sel:[1,0,0] op_sel_hi:[0,1,0]
	s_delay_alu instid0(VALU_DEP_1) | instskip(NEXT) | instid1(VALU_DEP_1)
	v_mov_b32_e32 v1, v3
	v_pk_add_f32 v[204:205], v[204:205], v[0:1] neg_lo:[0,1] neg_hi:[0,1]
	v_pk_mul_f32 v[0:1], v[26:27], v[22:23] op_sel:[0,1]
	s_delay_alu instid0(VALU_DEP_1) | instskip(SKIP_3) | instid1(VALU_DEP_1)
	v_pk_fma_f32 v[2:3], v[26:27], v[20:21], v[0:1] op_sel:[0,0,1] op_sel_hi:[1,1,0] neg_lo:[0,0,1] neg_hi:[0,0,1]
	v_pk_fma_f32 v[0:1], v[26:27], v[20:21], v[0:1] op_sel:[0,0,1] op_sel_hi:[1,0,0]
	ds_load_2addr_b64 v[24:27], v6 offset0:40 offset1:41
	v_mov_b32_e32 v3, v1
	v_pk_add_f32 v[206:207], v[206:207], v[2:3] neg_lo:[0,1] neg_hi:[0,1]
	s_wait_dscnt 0x0
	v_pk_mul_f32 v[0:1], v[24:25], v[22:23] op_sel:[0,1]
	s_delay_alu instid0(VALU_DEP_1) | instskip(SKIP_1) | instid1(VALU_DEP_1)
	v_pk_fma_f32 v[2:3], v[24:25], v[20:21], v[0:1] op_sel:[0,0,1] op_sel_hi:[1,1,0] neg_lo:[0,0,1] neg_hi:[0,0,1]
	v_pk_fma_f32 v[0:1], v[24:25], v[20:21], v[0:1] op_sel:[0,0,1] op_sel_hi:[1,0,0]
	v_mov_b32_e32 v3, v1
	v_pk_mul_f32 v[0:1], v[26:27], v[22:23] op_sel:[0,1]
	s_delay_alu instid0(VALU_DEP_2) | instskip(NEXT) | instid1(VALU_DEP_2)
	v_pk_add_f32 v[208:209], v[208:209], v[2:3] neg_lo:[0,1] neg_hi:[0,1]
	v_pk_fma_f32 v[2:3], v[26:27], v[20:21], v[0:1] op_sel:[0,0,1] op_sel_hi:[1,1,0] neg_lo:[0,0,1] neg_hi:[0,0,1]
	v_pk_fma_f32 v[0:1], v[26:27], v[20:21], v[0:1] op_sel:[0,0,1] op_sel_hi:[1,0,0]
	ds_load_2addr_b64 v[24:27], v6 offset0:42 offset1:43
	v_mov_b32_e32 v3, v1
	s_delay_alu instid0(VALU_DEP_1) | instskip(SKIP_2) | instid1(VALU_DEP_1)
	v_pk_add_f32 v[210:211], v[210:211], v[2:3] neg_lo:[0,1] neg_hi:[0,1]
	s_wait_dscnt 0x0
	v_pk_mul_f32 v[0:1], v[24:25], v[22:23] op_sel:[0,1]
	v_pk_fma_f32 v[2:3], v[24:25], v[20:21], v[0:1] op_sel:[0,0,1] op_sel_hi:[1,1,0] neg_lo:[0,0,1] neg_hi:[0,0,1]
	v_pk_fma_f32 v[0:1], v[24:25], v[20:21], v[0:1] op_sel:[0,0,1] op_sel_hi:[1,0,0]
	v_dual_mov_b32 v0, v27 :: v_dual_mul_f32 v24, v27, v20
	s_delay_alu instid0(VALU_DEP_2) | instskip(NEXT) | instid1(VALU_DEP_1)
	v_dual_mov_b32 v3, v1 :: v_dual_mov_b32 v1, v26
	v_pk_add_f32 v[212:213], v[212:213], v[2:3] neg_lo:[0,1] neg_hi:[0,1]
	v_mul_f32_e32 v2, v27, v23
	s_delay_alu instid0(VALU_DEP_3) | instskip(NEXT) | instid1(VALU_DEP_2)
	v_pk_fma_f32 v[0:1], v[0:1], v[146:147], v[24:25] op_sel_hi:[1,1,0]
	v_pk_fma_f32 v[2:3], v[26:27], v[146:147], v[2:3] op_sel_hi:[1,1,0] neg_lo:[0,0,1] neg_hi:[0,0,1]
	ds_load_2addr_b64 v[24:27], v6 offset0:44 offset1:45
	v_mov_b32_e32 v3, v1
	s_delay_alu instid0(VALU_DEP_1) | instskip(SKIP_2) | instid1(VALU_DEP_1)
	v_pk_add_f32 v[214:215], v[214:215], v[2:3] neg_lo:[0,1] neg_hi:[0,1]
	s_wait_dscnt 0x0
	v_pk_mul_f32 v[0:1], v[24:25], v[22:23] op_sel:[0,1]
	v_pk_fma_f32 v[2:3], v[24:25], v[20:21], v[0:1] op_sel:[0,0,1] op_sel_hi:[1,1,0] neg_lo:[0,0,1] neg_hi:[0,0,1]
	v_pk_fma_f32 v[0:1], v[24:25], v[20:21], v[0:1] op_sel:[0,0,1] op_sel_hi:[1,0,0]
	s_delay_alu instid0(VALU_DEP_1) | instskip(SKIP_1) | instid1(VALU_DEP_2)
	v_mov_b32_e32 v3, v1
	v_pk_mul_f32 v[0:1], v[26:27], v[22:23] op_sel:[0,1]
	v_pk_add_f32 v[216:217], v[216:217], v[2:3] neg_lo:[0,1] neg_hi:[0,1]
	s_delay_alu instid0(VALU_DEP_2) | instskip(SKIP_3) | instid1(VALU_DEP_1)
	v_pk_fma_f32 v[2:3], v[26:27], v[20:21], v[0:1] op_sel:[0,0,1] op_sel_hi:[1,1,0] neg_lo:[0,0,1] neg_hi:[0,0,1]
	v_pk_fma_f32 v[0:1], v[26:27], v[20:21], v[0:1] op_sel:[0,0,1] op_sel_hi:[1,0,0]
	ds_load_2addr_b64 v[24:27], v6 offset0:46 offset1:47
	v_mov_b32_e32 v3, v1
	v_pk_add_f32 v[218:219], v[218:219], v[2:3] neg_lo:[0,1] neg_hi:[0,1]
	s_wait_dscnt 0x0
	v_pk_mul_f32 v[0:1], v[24:25], v[22:23] op_sel:[0,1]
	s_delay_alu instid0(VALU_DEP_1) | instskip(SKIP_1) | instid1(VALU_DEP_1)
	v_pk_fma_f32 v[2:3], v[24:25], v[20:21], v[0:1] op_sel:[0,0,1] op_sel_hi:[1,1,0] neg_lo:[0,0,1] neg_hi:[0,0,1]
	v_pk_fma_f32 v[0:1], v[24:25], v[20:21], v[0:1] op_sel:[0,0,1] op_sel_hi:[1,0,0]
	v_mov_b32_e32 v3, v1
	v_pk_mul_f32 v[0:1], v[26:27], v[22:23] op_sel:[0,1]
	s_delay_alu instid0(VALU_DEP_2) | instskip(NEXT) | instid1(VALU_DEP_2)
	v_pk_add_f32 v[220:221], v[220:221], v[2:3] neg_lo:[0,1] neg_hi:[0,1]
	v_pk_fma_f32 v[2:3], v[26:27], v[20:21], v[0:1] op_sel:[0,0,1] op_sel_hi:[1,1,0] neg_lo:[0,0,1] neg_hi:[0,0,1]
	v_pk_fma_f32 v[0:1], v[26:27], v[20:21], v[0:1] op_sel:[0,0,1] op_sel_hi:[1,0,0]
	ds_load_2addr_b64 v[24:27], v6 offset0:48 offset1:49
	v_mov_b32_e32 v3, v1
	s_delay_alu instid0(VALU_DEP_1) | instskip(SKIP_2) | instid1(VALU_DEP_1)
	v_pk_add_f32 v[222:223], v[222:223], v[2:3] neg_lo:[0,1] neg_hi:[0,1]
	s_wait_dscnt 0x0
	v_dual_mul_f32 v2, v25, v20 :: v_dual_mul_f32 v0, v25, v23
	v_pk_fma_f32 v[2:3], v[24:25], v[146:147], v[2:3] op_sel:[1,0,0] op_sel_hi:[0,1,0]
	s_delay_alu instid0(VALU_DEP_2) | instskip(NEXT) | instid1(VALU_DEP_2)
	v_pk_fma_f32 v[0:1], v[24:25], v[146:147], v[0:1] op_sel_hi:[1,1,0] neg_lo:[0,0,1] neg_hi:[0,0,1]
	v_mov_b32_e32 v1, v3
	s_delay_alu instid0(VALU_DEP_1) | instskip(SKIP_1) | instid1(VALU_DEP_1)
	v_pk_add_f32 v[224:225], v[224:225], v[0:1] neg_lo:[0,1] neg_hi:[0,1]
	v_pk_mul_f32 v[0:1], v[26:27], v[22:23] op_sel:[0,1]
	v_pk_fma_f32 v[2:3], v[26:27], v[20:21], v[0:1] op_sel:[0,0,1] op_sel_hi:[1,1,0] neg_lo:[0,0,1] neg_hi:[0,0,1]
	v_pk_fma_f32 v[0:1], v[26:27], v[20:21], v[0:1] op_sel:[0,0,1] op_sel_hi:[1,0,0]
	ds_load_2addr_b64 v[24:27], v6 offset0:50 offset1:51
	v_mov_b32_e32 v3, v1
	s_delay_alu instid0(VALU_DEP_1) | instskip(SKIP_2) | instid1(VALU_DEP_1)
	v_pk_add_f32 v[226:227], v[226:227], v[2:3] neg_lo:[0,1] neg_hi:[0,1]
	s_wait_dscnt 0x0
	v_pk_mul_f32 v[0:1], v[24:25], v[22:23] op_sel:[0,1]
	v_pk_fma_f32 v[2:3], v[24:25], v[20:21], v[0:1] op_sel:[0,0,1] op_sel_hi:[1,1,0] neg_lo:[0,0,1] neg_hi:[0,0,1]
	v_pk_fma_f32 v[0:1], v[24:25], v[20:21], v[0:1] op_sel:[0,0,1] op_sel_hi:[1,0,0]
	s_delay_alu instid0(VALU_DEP_1) | instskip(SKIP_1) | instid1(VALU_DEP_2)
	v_mov_b32_e32 v3, v1
	v_pk_mul_f32 v[0:1], v[26:27], v[22:23] op_sel:[0,1]
	v_pk_add_f32 v[228:229], v[228:229], v[2:3] neg_lo:[0,1] neg_hi:[0,1]
	s_delay_alu instid0(VALU_DEP_2) | instskip(SKIP_3) | instid1(VALU_DEP_1)
	v_pk_fma_f32 v[2:3], v[26:27], v[20:21], v[0:1] op_sel:[0,0,1] op_sel_hi:[1,1,0] neg_lo:[0,0,1] neg_hi:[0,0,1]
	v_pk_fma_f32 v[0:1], v[26:27], v[20:21], v[0:1] op_sel:[0,0,1] op_sel_hi:[1,0,0]
	ds_load_2addr_b64 v[24:27], v6 offset0:52 offset1:53
	v_mov_b32_e32 v3, v1
	v_pk_add_f32 v[230:231], v[230:231], v[2:3] neg_lo:[0,1] neg_hi:[0,1]
	s_wait_dscnt 0x0
	v_pk_mul_f32 v[0:1], v[24:25], v[22:23] op_sel:[0,1]
	s_delay_alu instid0(VALU_DEP_1) | instskip(SKIP_2) | instid1(VALU_DEP_2)
	v_pk_fma_f32 v[2:3], v[24:25], v[20:21], v[0:1] op_sel:[0,0,1] op_sel_hi:[1,1,0] neg_lo:[0,0,1] neg_hi:[0,0,1]
	v_pk_fma_f32 v[0:1], v[24:25], v[20:21], v[0:1] op_sel:[0,0,1] op_sel_hi:[1,0,0]
	v_dual_mov_b32 v0, v27 :: v_dual_mul_f32 v24, v27, v20
	v_dual_mov_b32 v3, v1 :: v_dual_mov_b32 v1, v26
	s_delay_alu instid0(VALU_DEP_1) | instskip(SKIP_1) | instid1(VALU_DEP_3)
	v_pk_add_f32 v[232:233], v[232:233], v[2:3] neg_lo:[0,1] neg_hi:[0,1]
	v_mul_f32_e32 v2, v27, v23
	v_pk_fma_f32 v[0:1], v[0:1], v[146:147], v[24:25] op_sel_hi:[1,1,0]
	s_delay_alu instid0(VALU_DEP_2) | instskip(SKIP_2) | instid1(VALU_DEP_1)
	v_pk_fma_f32 v[2:3], v[26:27], v[146:147], v[2:3] op_sel_hi:[1,1,0] neg_lo:[0,0,1] neg_hi:[0,0,1]
	ds_load_2addr_b64 v[24:27], v6 offset0:54 offset1:55
	v_mov_b32_e32 v3, v1
	v_pk_add_f32 v[234:235], v[234:235], v[2:3] neg_lo:[0,1] neg_hi:[0,1]
	s_wait_dscnt 0x0
	v_pk_mul_f32 v[0:1], v[24:25], v[22:23] op_sel:[0,1]
	s_delay_alu instid0(VALU_DEP_1) | instskip(SKIP_1) | instid1(VALU_DEP_1)
	v_pk_fma_f32 v[2:3], v[24:25], v[20:21], v[0:1] op_sel:[0,0,1] op_sel_hi:[1,1,0] neg_lo:[0,0,1] neg_hi:[0,0,1]
	v_pk_fma_f32 v[0:1], v[24:25], v[20:21], v[0:1] op_sel:[0,0,1] op_sel_hi:[1,0,0]
	v_mov_b32_e32 v3, v1
	v_pk_mul_f32 v[0:1], v[26:27], v[22:23] op_sel:[0,1]
	s_delay_alu instid0(VALU_DEP_2) | instskip(NEXT) | instid1(VALU_DEP_2)
	v_pk_add_f32 v[236:237], v[236:237], v[2:3] neg_lo:[0,1] neg_hi:[0,1]
	v_pk_fma_f32 v[2:3], v[26:27], v[20:21], v[0:1] op_sel:[0,0,1] op_sel_hi:[1,1,0] neg_lo:[0,0,1] neg_hi:[0,0,1]
	v_pk_fma_f32 v[0:1], v[26:27], v[20:21], v[0:1] op_sel:[0,0,1] op_sel_hi:[1,0,0]
	ds_load_2addr_b64 v[24:27], v6 offset0:56 offset1:57
	v_mov_b32_e32 v3, v1
	s_delay_alu instid0(VALU_DEP_1) | instskip(SKIP_2) | instid1(VALU_DEP_1)
	v_pk_add_f32 v[238:239], v[238:239], v[2:3] neg_lo:[0,1] neg_hi:[0,1]
	s_wait_dscnt 0x0
	v_pk_mul_f32 v[0:1], v[24:25], v[22:23] op_sel:[0,1]
	v_pk_fma_f32 v[2:3], v[24:25], v[20:21], v[0:1] op_sel:[0,0,1] op_sel_hi:[1,1,0] neg_lo:[0,0,1] neg_hi:[0,0,1]
	v_pk_fma_f32 v[0:1], v[24:25], v[20:21], v[0:1] op_sel:[0,0,1] op_sel_hi:[1,0,0]
	s_delay_alu instid0(VALU_DEP_1) | instskip(SKIP_1) | instid1(VALU_DEP_2)
	v_mov_b32_e32 v3, v1
	v_pk_mul_f32 v[0:1], v[26:27], v[22:23] op_sel:[0,1]
	v_pk_add_f32 v[248:249], v[248:249], v[2:3] neg_lo:[0,1] neg_hi:[0,1]
	s_delay_alu instid0(VALU_DEP_2) | instskip(SKIP_3) | instid1(VALU_DEP_1)
	v_pk_fma_f32 v[2:3], v[26:27], v[20:21], v[0:1] op_sel:[0,0,1] op_sel_hi:[1,1,0] neg_lo:[0,0,1] neg_hi:[0,0,1]
	v_pk_fma_f32 v[0:1], v[26:27], v[20:21], v[0:1] op_sel:[0,0,1] op_sel_hi:[1,0,0]
	ds_load_2addr_b64 v[24:27], v6 offset0:58 offset1:59
	v_mov_b32_e32 v3, v1
	v_pk_add_f32 v[242:243], v[242:243], v[2:3] neg_lo:[0,1] neg_hi:[0,1]
	s_wait_dscnt 0x0
	v_dual_mul_f32 v0, v25, v23 :: v_dual_mul_f32 v2, v25, v20
	s_delay_alu instid0(VALU_DEP_1) | instskip(NEXT) | instid1(VALU_DEP_2)
	v_pk_fma_f32 v[0:1], v[24:25], v[146:147], v[0:1] op_sel_hi:[1,1,0] neg_lo:[0,0,1] neg_hi:[0,0,1]
	v_pk_fma_f32 v[2:3], v[24:25], v[146:147], v[2:3] op_sel:[1,0,0] op_sel_hi:[0,1,0]
	s_delay_alu instid0(VALU_DEP_1) | instskip(NEXT) | instid1(VALU_DEP_1)
	v_mov_b32_e32 v1, v3
	v_pk_add_f32 v[246:247], v[246:247], v[0:1] neg_lo:[0,1] neg_hi:[0,1]
	v_pk_mul_f32 v[0:1], v[26:27], v[22:23] op_sel:[0,1]
	s_delay_alu instid0(VALU_DEP_1) | instskip(SKIP_3) | instid1(VALU_DEP_1)
	v_pk_fma_f32 v[2:3], v[26:27], v[20:21], v[0:1] op_sel:[0,0,1] op_sel_hi:[1,1,0] neg_lo:[0,0,1] neg_hi:[0,0,1]
	v_pk_fma_f32 v[0:1], v[26:27], v[20:21], v[0:1] op_sel:[0,0,1] op_sel_hi:[1,0,0]
	ds_load_2addr_b64 v[24:27], v6 offset0:60 offset1:61
	v_mov_b32_e32 v3, v1
	v_pk_add_f32 v[240:241], v[240:241], v[2:3] neg_lo:[0,1] neg_hi:[0,1]
	s_wait_dscnt 0x0
	v_pk_mul_f32 v[0:1], v[24:25], v[22:23] op_sel:[0,1]
	s_delay_alu instid0(VALU_DEP_1) | instskip(SKIP_1) | instid1(VALU_DEP_1)
	v_pk_fma_f32 v[2:3], v[24:25], v[20:21], v[0:1] op_sel:[0,0,1] op_sel_hi:[1,1,0] neg_lo:[0,0,1] neg_hi:[0,0,1]
	v_pk_fma_f32 v[0:1], v[24:25], v[20:21], v[0:1] op_sel:[0,0,1] op_sel_hi:[1,0,0]
	v_mov_b32_e32 v3, v1
	v_pk_mul_f32 v[0:1], v[26:27], v[22:23] op_sel:[0,1]
	s_delay_alu instid0(VALU_DEP_2) | instskip(NEXT) | instid1(VALU_DEP_2)
	v_pk_add_f32 v[244:245], v[244:245], v[2:3] neg_lo:[0,1] neg_hi:[0,1]
	v_pk_fma_f32 v[2:3], v[26:27], v[20:21], v[0:1] op_sel:[0,0,1] op_sel_hi:[1,1,0] neg_lo:[0,0,1] neg_hi:[0,0,1]
	v_pk_fma_f32 v[0:1], v[26:27], v[20:21], v[0:1] op_sel:[0,0,1] op_sel_hi:[1,0,0]
	s_delay_alu instid0(VALU_DEP_1) | instskip(SKIP_4) | instid1(VALU_DEP_1)
	v_mov_b32_e32 v3, v1
	ds_load_b64 v[0:1], v6 offset:496
	v_pk_add_f32 v[250:251], v[250:251], v[2:3] neg_lo:[0,1] neg_hi:[0,1]
	s_wait_dscnt 0x0
	v_pk_mul_f32 v[2:3], v[0:1], v[22:23] op_sel:[0,1]
	v_pk_fma_f32 v[22:23], v[0:1], v[20:21], v[2:3] op_sel:[0,0,1] op_sel_hi:[1,1,0] neg_lo:[0,0,1] neg_hi:[0,0,1]
	v_pk_fma_f32 v[0:1], v[0:1], v[20:21], v[2:3] op_sel:[0,0,1] op_sel_hi:[1,0,0]
	s_delay_alu instid0(VALU_DEP_1) | instskip(NEXT) | instid1(VALU_DEP_1)
	v_mov_b32_e32 v23, v1
	v_pk_add_f32 v[252:253], v[252:253], v[22:23] neg_lo:[0,1] neg_hi:[0,1]
.LBB125_91:
	s_or_b32 exec_lo, exec_lo, s1
	s_delay_alu instid0(SALU_CYCLE_1)
	s_mov_b32 s2, exec_lo
	s_wait_dscnt 0x0
	s_barrier_signal -1
	s_barrier_wait -1
	v_cmpx_eq_u32_e32 10, v254
	s_cbranch_execz .LBB125_98
; %bb.92:
	ds_store_b64 v255, v[148:149]
	ds_store_2addr_b64 v6, v[150:151], v[152:153] offset0:11 offset1:12
	ds_store_2addr_b64 v6, v[154:155], v[156:157] offset0:13 offset1:14
	;; [unrolled: 1-line block ×26, first 2 shown]
	ds_load_b64 v[20:21], v255
	s_wait_dscnt 0x0
	v_cmp_neq_f32_e32 vcc_lo, 0, v20
	v_cmp_neq_f32_e64 s1, 0, v21
	s_or_b32 s1, vcc_lo, s1
	s_delay_alu instid0(SALU_CYCLE_1)
	s_and_b32 exec_lo, exec_lo, s1
	s_cbranch_execz .LBB125_98
; %bb.93:
	v_cmp_ngt_f32_e64 s1, |v20|, |v21|
                                        ; implicit-def: $vgpr22_vgpr23
	s_and_saveexec_b32 s4, s1
	s_delay_alu instid0(SALU_CYCLE_1)
	s_xor_b32 s1, exec_lo, s4
	s_cbranch_execz .LBB125_95
; %bb.94:
	v_div_scale_f32 v0, null, v21, v21, v20
	v_div_scale_f32 v3, vcc_lo, v20, v21, v20
	s_delay_alu instid0(VALU_DEP_2) | instskip(SKIP_1) | instid1(TRANS32_DEP_1)
	v_rcp_f32_e32 v1, v0
	v_nop
	v_fma_f32 v2, -v0, v1, 1.0
	s_delay_alu instid0(VALU_DEP_1) | instskip(NEXT) | instid1(VALU_DEP_1)
	v_fmac_f32_e32 v1, v2, v1
	v_mul_f32_e32 v2, v3, v1
	s_delay_alu instid0(VALU_DEP_1) | instskip(NEXT) | instid1(VALU_DEP_1)
	v_fma_f32 v4, -v0, v2, v3
	v_fmac_f32_e32 v2, v4, v1
	s_delay_alu instid0(VALU_DEP_1) | instskip(NEXT) | instid1(VALU_DEP_1)
	v_fma_f32 v0, -v0, v2, v3
	v_div_fmas_f32 v0, v0, v1, v2
	s_delay_alu instid0(VALU_DEP_1) | instskip(NEXT) | instid1(VALU_DEP_1)
	v_div_fixup_f32 v0, v0, v21, v20
	v_fmac_f32_e32 v21, v20, v0
	s_delay_alu instid0(VALU_DEP_1) | instskip(SKIP_1) | instid1(VALU_DEP_2)
	v_div_scale_f32 v1, null, v21, v21, 1.0
	v_div_scale_f32 v4, vcc_lo, 1.0, v21, 1.0
	v_rcp_f32_e32 v2, v1
	v_nop
	s_delay_alu instid0(TRANS32_DEP_1) | instskip(NEXT) | instid1(VALU_DEP_1)
	v_fma_f32 v3, -v1, v2, 1.0
	v_fmac_f32_e32 v2, v3, v2
	s_delay_alu instid0(VALU_DEP_1) | instskip(NEXT) | instid1(VALU_DEP_1)
	v_mul_f32_e32 v3, v4, v2
	v_fma_f32 v5, -v1, v3, v4
	s_delay_alu instid0(VALU_DEP_1) | instskip(NEXT) | instid1(VALU_DEP_1)
	v_fmac_f32_e32 v3, v5, v2
	v_fma_f32 v1, -v1, v3, v4
	s_delay_alu instid0(VALU_DEP_1) | instskip(NEXT) | instid1(VALU_DEP_1)
	v_div_fmas_f32 v1, v1, v2, v3
	v_div_fixup_f32 v1, v1, v21, 1.0
                                        ; implicit-def: $vgpr20_vgpr21
	s_delay_alu instid0(VALU_DEP_1)
	v_mul_f32_e32 v22, v0, v1
	v_xor_b32_e32 v23, 0x80000000, v1
.LBB125_95:
	s_and_not1_saveexec_b32 s1, s1
	s_cbranch_execz .LBB125_97
; %bb.96:
	v_div_scale_f32 v0, null, v20, v20, v21
	v_div_scale_f32 v3, vcc_lo, v21, v20, v21
	s_delay_alu instid0(VALU_DEP_2) | instskip(SKIP_1) | instid1(TRANS32_DEP_1)
	v_rcp_f32_e32 v1, v0
	v_nop
	v_fma_f32 v2, -v0, v1, 1.0
	s_delay_alu instid0(VALU_DEP_1) | instskip(NEXT) | instid1(VALU_DEP_1)
	v_fmac_f32_e32 v1, v2, v1
	v_mul_f32_e32 v2, v3, v1
	s_delay_alu instid0(VALU_DEP_1) | instskip(NEXT) | instid1(VALU_DEP_1)
	v_fma_f32 v4, -v0, v2, v3
	v_fmac_f32_e32 v2, v4, v1
	s_delay_alu instid0(VALU_DEP_1) | instskip(NEXT) | instid1(VALU_DEP_1)
	v_fma_f32 v0, -v0, v2, v3
	v_div_fmas_f32 v0, v0, v1, v2
	s_delay_alu instid0(VALU_DEP_1) | instskip(NEXT) | instid1(VALU_DEP_1)
	v_div_fixup_f32 v0, v0, v20, v21
	v_fmac_f32_e32 v20, v21, v0
	s_delay_alu instid0(VALU_DEP_1) | instskip(NEXT) | instid1(VALU_DEP_1)
	v_div_scale_f32 v1, null, v20, v20, 1.0
	v_rcp_f32_e32 v2, v1
	v_nop
	s_delay_alu instid0(TRANS32_DEP_1) | instskip(NEXT) | instid1(VALU_DEP_1)
	v_fma_f32 v3, -v1, v2, 1.0
	v_fmac_f32_e32 v2, v3, v2
	v_div_scale_f32 v3, vcc_lo, 1.0, v20, 1.0
	s_delay_alu instid0(VALU_DEP_1) | instskip(NEXT) | instid1(VALU_DEP_1)
	v_mul_f32_e32 v4, v3, v2
	v_fma_f32 v5, -v1, v4, v3
	s_delay_alu instid0(VALU_DEP_1) | instskip(NEXT) | instid1(VALU_DEP_1)
	v_fmac_f32_e32 v4, v5, v2
	v_fma_f32 v1, -v1, v4, v3
	s_delay_alu instid0(VALU_DEP_1) | instskip(NEXT) | instid1(VALU_DEP_1)
	v_div_fmas_f32 v1, v1, v2, v4
	v_div_fixup_f32 v22, v1, v20, 1.0
	s_delay_alu instid0(VALU_DEP_1)
	v_mul_f32_e64 v23, v0, -v22
.LBB125_97:
	s_or_b32 exec_lo, exec_lo, s1
	ds_store_b64 v255, v[22:23]
.LBB125_98:
	s_or_b32 exec_lo, exec_lo, s2
	s_wait_dscnt 0x0
	s_barrier_signal -1
	s_barrier_wait -1
	ds_load_b64 v[20:21], v255
	s_mov_b32 s1, exec_lo
	v_cmpx_lt_u32_e32 10, v254
	s_cbranch_execz .LBB125_100
; %bb.99:
	ds_load_2addr_b64 v[26:29], v6 offset0:11 offset1:12
	s_wait_dscnt 0x1
	v_pk_mul_f32 v[0:1], v[20:21], v[148:149] op_sel:[1,1] op_sel_hi:[0,1]
	s_delay_alu instid0(VALU_DEP_1) | instskip(SKIP_1) | instid1(VALU_DEP_1)
	v_pk_fma_f32 v[24:25], v[20:21], v[148:149], v[0:1] op_sel_hi:[1,0,1]
	v_pk_fma_f32 v[22:23], v[20:21], v[148:149], v[0:1] op_sel_hi:[1,0,1] neg_lo:[0,0,1] neg_hi:[0,0,1]
	v_dual_mov_b32 v149, v25 :: v_dual_mov_b32 v148, v22
	s_wait_dscnt 0x0
	s_delay_alu instid0(VALU_DEP_3) | instskip(NEXT) | instid1(VALU_DEP_1)
	v_pk_mul_f32 v[0:1], v[26:27], v[24:25] op_sel:[0,1]
	v_pk_fma_f32 v[2:3], v[26:27], v[22:23], v[0:1] op_sel:[0,0,1] op_sel_hi:[1,1,0] neg_lo:[0,0,1] neg_hi:[0,0,1]
	v_pk_fma_f32 v[0:1], v[26:27], v[22:23], v[0:1] op_sel:[0,0,1] op_sel_hi:[1,0,0]
	s_delay_alu instid0(VALU_DEP_1) | instskip(SKIP_1) | instid1(VALU_DEP_2)
	v_mov_b32_e32 v3, v1
	v_pk_mul_f32 v[0:1], v[28:29], v[24:25] op_sel:[0,1]
	v_pk_add_f32 v[150:151], v[150:151], v[2:3] neg_lo:[0,1] neg_hi:[0,1]
	s_delay_alu instid0(VALU_DEP_2) | instskip(SKIP_3) | instid1(VALU_DEP_1)
	v_pk_fma_f32 v[2:3], v[28:29], v[22:23], v[0:1] op_sel:[0,0,1] op_sel_hi:[1,1,0] neg_lo:[0,0,1] neg_hi:[0,0,1]
	v_pk_fma_f32 v[0:1], v[28:29], v[22:23], v[0:1] op_sel:[0,0,1] op_sel_hi:[1,0,0]
	ds_load_2addr_b64 v[26:29], v6 offset0:13 offset1:14
	v_mov_b32_e32 v3, v1
	v_pk_add_f32 v[152:153], v[152:153], v[2:3] neg_lo:[0,1] neg_hi:[0,1]
	s_wait_dscnt 0x0
	v_pk_mul_f32 v[0:1], v[26:27], v[24:25] op_sel:[0,1]
	s_delay_alu instid0(VALU_DEP_1) | instskip(SKIP_2) | instid1(VALU_DEP_2)
	v_pk_fma_f32 v[2:3], v[26:27], v[22:23], v[0:1] op_sel:[0,0,1] op_sel_hi:[1,1,0] neg_lo:[0,0,1] neg_hi:[0,0,1]
	v_pk_fma_f32 v[0:1], v[26:27], v[22:23], v[0:1] op_sel:[0,0,1] op_sel_hi:[1,0,0]
	v_dual_mov_b32 v0, v29 :: v_dual_mul_f32 v26, v29, v22
	v_dual_mov_b32 v3, v1 :: v_dual_mov_b32 v1, v28
	s_delay_alu instid0(VALU_DEP_1) | instskip(SKIP_1) | instid1(VALU_DEP_3)
	v_pk_add_f32 v[154:155], v[154:155], v[2:3] neg_lo:[0,1] neg_hi:[0,1]
	v_mul_f32_e32 v2, v29, v25
	v_pk_fma_f32 v[0:1], v[0:1], v[148:149], v[26:27] op_sel_hi:[1,1,0]
	s_delay_alu instid0(VALU_DEP_2) | instskip(SKIP_2) | instid1(VALU_DEP_1)
	v_pk_fma_f32 v[2:3], v[28:29], v[148:149], v[2:3] op_sel_hi:[1,1,0] neg_lo:[0,0,1] neg_hi:[0,0,1]
	ds_load_2addr_b64 v[26:29], v6 offset0:15 offset1:16
	v_mov_b32_e32 v3, v1
	v_pk_add_f32 v[156:157], v[156:157], v[2:3] neg_lo:[0,1] neg_hi:[0,1]
	s_wait_dscnt 0x0
	v_pk_mul_f32 v[0:1], v[26:27], v[24:25] op_sel:[0,1]
	s_delay_alu instid0(VALU_DEP_1) | instskip(SKIP_1) | instid1(VALU_DEP_1)
	v_pk_fma_f32 v[2:3], v[26:27], v[22:23], v[0:1] op_sel:[0,0,1] op_sel_hi:[1,1,0] neg_lo:[0,0,1] neg_hi:[0,0,1]
	v_pk_fma_f32 v[0:1], v[26:27], v[22:23], v[0:1] op_sel:[0,0,1] op_sel_hi:[1,0,0]
	v_mov_b32_e32 v3, v1
	v_pk_mul_f32 v[0:1], v[28:29], v[24:25] op_sel:[0,1]
	s_delay_alu instid0(VALU_DEP_2) | instskip(NEXT) | instid1(VALU_DEP_2)
	v_pk_add_f32 v[158:159], v[158:159], v[2:3] neg_lo:[0,1] neg_hi:[0,1]
	v_pk_fma_f32 v[2:3], v[28:29], v[22:23], v[0:1] op_sel:[0,0,1] op_sel_hi:[1,1,0] neg_lo:[0,0,1] neg_hi:[0,0,1]
	v_pk_fma_f32 v[0:1], v[28:29], v[22:23], v[0:1] op_sel:[0,0,1] op_sel_hi:[1,0,0]
	ds_load_2addr_b64 v[26:29], v6 offset0:17 offset1:18
	v_mov_b32_e32 v3, v1
	s_delay_alu instid0(VALU_DEP_1) | instskip(SKIP_2) | instid1(VALU_DEP_1)
	v_pk_add_f32 v[160:161], v[160:161], v[2:3] neg_lo:[0,1] neg_hi:[0,1]
	s_wait_dscnt 0x0
	v_pk_mul_f32 v[0:1], v[26:27], v[24:25] op_sel:[0,1]
	v_pk_fma_f32 v[2:3], v[26:27], v[22:23], v[0:1] op_sel:[0,0,1] op_sel_hi:[1,1,0] neg_lo:[0,0,1] neg_hi:[0,0,1]
	v_pk_fma_f32 v[0:1], v[26:27], v[22:23], v[0:1] op_sel:[0,0,1] op_sel_hi:[1,0,0]
	s_delay_alu instid0(VALU_DEP_1) | instskip(SKIP_1) | instid1(VALU_DEP_2)
	v_mov_b32_e32 v3, v1
	v_pk_mul_f32 v[0:1], v[28:29], v[24:25] op_sel:[0,1]
	v_pk_add_f32 v[162:163], v[162:163], v[2:3] neg_lo:[0,1] neg_hi:[0,1]
	s_delay_alu instid0(VALU_DEP_2) | instskip(SKIP_3) | instid1(VALU_DEP_1)
	v_pk_fma_f32 v[2:3], v[28:29], v[22:23], v[0:1] op_sel:[0,0,1] op_sel_hi:[1,1,0] neg_lo:[0,0,1] neg_hi:[0,0,1]
	v_pk_fma_f32 v[0:1], v[28:29], v[22:23], v[0:1] op_sel:[0,0,1] op_sel_hi:[1,0,0]
	ds_load_2addr_b64 v[26:29], v6 offset0:19 offset1:20
	v_mov_b32_e32 v3, v1
	v_pk_add_f32 v[164:165], v[164:165], v[2:3] neg_lo:[0,1] neg_hi:[0,1]
	s_wait_dscnt 0x0
	v_dual_mul_f32 v2, v27, v22 :: v_dual_mul_f32 v0, v27, v25
	s_delay_alu instid0(VALU_DEP_1) | instskip(NEXT) | instid1(VALU_DEP_2)
	v_pk_fma_f32 v[2:3], v[26:27], v[148:149], v[2:3] op_sel:[1,0,0] op_sel_hi:[0,1,0]
	v_pk_fma_f32 v[0:1], v[26:27], v[148:149], v[0:1] op_sel_hi:[1,1,0] neg_lo:[0,0,1] neg_hi:[0,0,1]
	s_delay_alu instid0(VALU_DEP_2) | instskip(NEXT) | instid1(VALU_DEP_1)
	v_mov_b32_e32 v1, v3
	v_pk_add_f32 v[166:167], v[166:167], v[0:1] neg_lo:[0,1] neg_hi:[0,1]
	v_pk_mul_f32 v[0:1], v[28:29], v[24:25] op_sel:[0,1]
	s_delay_alu instid0(VALU_DEP_1) | instskip(SKIP_3) | instid1(VALU_DEP_1)
	v_pk_fma_f32 v[2:3], v[28:29], v[22:23], v[0:1] op_sel:[0,0,1] op_sel_hi:[1,1,0] neg_lo:[0,0,1] neg_hi:[0,0,1]
	v_pk_fma_f32 v[0:1], v[28:29], v[22:23], v[0:1] op_sel:[0,0,1] op_sel_hi:[1,0,0]
	ds_load_2addr_b64 v[26:29], v6 offset0:21 offset1:22
	v_mov_b32_e32 v3, v1
	v_pk_add_f32 v[168:169], v[168:169], v[2:3] neg_lo:[0,1] neg_hi:[0,1]
	s_wait_dscnt 0x0
	v_pk_mul_f32 v[0:1], v[26:27], v[24:25] op_sel:[0,1]
	s_delay_alu instid0(VALU_DEP_1) | instskip(SKIP_1) | instid1(VALU_DEP_1)
	v_pk_fma_f32 v[2:3], v[26:27], v[22:23], v[0:1] op_sel:[0,0,1] op_sel_hi:[1,1,0] neg_lo:[0,0,1] neg_hi:[0,0,1]
	v_pk_fma_f32 v[0:1], v[26:27], v[22:23], v[0:1] op_sel:[0,0,1] op_sel_hi:[1,0,0]
	v_mov_b32_e32 v3, v1
	v_pk_mul_f32 v[0:1], v[28:29], v[24:25] op_sel:[0,1]
	s_delay_alu instid0(VALU_DEP_2) | instskip(NEXT) | instid1(VALU_DEP_2)
	v_pk_add_f32 v[170:171], v[170:171], v[2:3] neg_lo:[0,1] neg_hi:[0,1]
	v_pk_fma_f32 v[2:3], v[28:29], v[22:23], v[0:1] op_sel:[0,0,1] op_sel_hi:[1,1,0] neg_lo:[0,0,1] neg_hi:[0,0,1]
	v_pk_fma_f32 v[0:1], v[28:29], v[22:23], v[0:1] op_sel:[0,0,1] op_sel_hi:[1,0,0]
	ds_load_2addr_b64 v[26:29], v6 offset0:23 offset1:24
	v_mov_b32_e32 v3, v1
	s_delay_alu instid0(VALU_DEP_1) | instskip(SKIP_2) | instid1(VALU_DEP_1)
	v_pk_add_f32 v[172:173], v[172:173], v[2:3] neg_lo:[0,1] neg_hi:[0,1]
	s_wait_dscnt 0x0
	v_pk_mul_f32 v[0:1], v[26:27], v[24:25] op_sel:[0,1]
	v_pk_fma_f32 v[2:3], v[26:27], v[22:23], v[0:1] op_sel:[0,0,1] op_sel_hi:[1,1,0] neg_lo:[0,0,1] neg_hi:[0,0,1]
	v_pk_fma_f32 v[0:1], v[26:27], v[22:23], v[0:1] op_sel:[0,0,1] op_sel_hi:[1,0,0]
	v_dual_mov_b32 v0, v29 :: v_dual_mul_f32 v26, v29, v22
	s_delay_alu instid0(VALU_DEP_2) | instskip(NEXT) | instid1(VALU_DEP_1)
	v_dual_mov_b32 v3, v1 :: v_dual_mov_b32 v1, v28
	v_pk_add_f32 v[174:175], v[174:175], v[2:3] neg_lo:[0,1] neg_hi:[0,1]
	v_mul_f32_e32 v2, v29, v25
	s_delay_alu instid0(VALU_DEP_3) | instskip(NEXT) | instid1(VALU_DEP_2)
	v_pk_fma_f32 v[0:1], v[0:1], v[148:149], v[26:27] op_sel_hi:[1,1,0]
	v_pk_fma_f32 v[2:3], v[28:29], v[148:149], v[2:3] op_sel_hi:[1,1,0] neg_lo:[0,0,1] neg_hi:[0,0,1]
	ds_load_2addr_b64 v[26:29], v6 offset0:25 offset1:26
	v_mov_b32_e32 v3, v1
	s_delay_alu instid0(VALU_DEP_1) | instskip(SKIP_2) | instid1(VALU_DEP_1)
	v_pk_add_f32 v[176:177], v[176:177], v[2:3] neg_lo:[0,1] neg_hi:[0,1]
	s_wait_dscnt 0x0
	v_pk_mul_f32 v[0:1], v[26:27], v[24:25] op_sel:[0,1]
	v_pk_fma_f32 v[2:3], v[26:27], v[22:23], v[0:1] op_sel:[0,0,1] op_sel_hi:[1,1,0] neg_lo:[0,0,1] neg_hi:[0,0,1]
	v_pk_fma_f32 v[0:1], v[26:27], v[22:23], v[0:1] op_sel:[0,0,1] op_sel_hi:[1,0,0]
	s_delay_alu instid0(VALU_DEP_1) | instskip(SKIP_1) | instid1(VALU_DEP_2)
	v_mov_b32_e32 v3, v1
	v_pk_mul_f32 v[0:1], v[28:29], v[24:25] op_sel:[0,1]
	v_pk_add_f32 v[178:179], v[178:179], v[2:3] neg_lo:[0,1] neg_hi:[0,1]
	s_delay_alu instid0(VALU_DEP_2) | instskip(SKIP_3) | instid1(VALU_DEP_1)
	v_pk_fma_f32 v[2:3], v[28:29], v[22:23], v[0:1] op_sel:[0,0,1] op_sel_hi:[1,1,0] neg_lo:[0,0,1] neg_hi:[0,0,1]
	v_pk_fma_f32 v[0:1], v[28:29], v[22:23], v[0:1] op_sel:[0,0,1] op_sel_hi:[1,0,0]
	ds_load_2addr_b64 v[26:29], v6 offset0:27 offset1:28
	v_mov_b32_e32 v3, v1
	v_pk_add_f32 v[180:181], v[180:181], v[2:3] neg_lo:[0,1] neg_hi:[0,1]
	s_wait_dscnt 0x0
	v_pk_mul_f32 v[0:1], v[26:27], v[24:25] op_sel:[0,1]
	s_delay_alu instid0(VALU_DEP_1) | instskip(SKIP_1) | instid1(VALU_DEP_1)
	v_pk_fma_f32 v[2:3], v[26:27], v[22:23], v[0:1] op_sel:[0,0,1] op_sel_hi:[1,1,0] neg_lo:[0,0,1] neg_hi:[0,0,1]
	v_pk_fma_f32 v[0:1], v[26:27], v[22:23], v[0:1] op_sel:[0,0,1] op_sel_hi:[1,0,0]
	v_mov_b32_e32 v3, v1
	v_pk_mul_f32 v[0:1], v[28:29], v[24:25] op_sel:[0,1]
	s_delay_alu instid0(VALU_DEP_2) | instskip(NEXT) | instid1(VALU_DEP_2)
	v_pk_add_f32 v[182:183], v[182:183], v[2:3] neg_lo:[0,1] neg_hi:[0,1]
	v_pk_fma_f32 v[2:3], v[28:29], v[22:23], v[0:1] op_sel:[0,0,1] op_sel_hi:[1,1,0] neg_lo:[0,0,1] neg_hi:[0,0,1]
	v_pk_fma_f32 v[0:1], v[28:29], v[22:23], v[0:1] op_sel:[0,0,1] op_sel_hi:[1,0,0]
	ds_load_2addr_b64 v[26:29], v6 offset0:29 offset1:30
	v_mov_b32_e32 v3, v1
	s_delay_alu instid0(VALU_DEP_1) | instskip(SKIP_2) | instid1(VALU_DEP_1)
	v_pk_add_f32 v[184:185], v[184:185], v[2:3] neg_lo:[0,1] neg_hi:[0,1]
	s_wait_dscnt 0x0
	v_dual_mul_f32 v2, v27, v22 :: v_dual_mul_f32 v0, v27, v25
	v_pk_fma_f32 v[2:3], v[26:27], v[148:149], v[2:3] op_sel:[1,0,0] op_sel_hi:[0,1,0]
	s_delay_alu instid0(VALU_DEP_2) | instskip(NEXT) | instid1(VALU_DEP_2)
	v_pk_fma_f32 v[0:1], v[26:27], v[148:149], v[0:1] op_sel_hi:[1,1,0] neg_lo:[0,0,1] neg_hi:[0,0,1]
	v_mov_b32_e32 v1, v3
	s_delay_alu instid0(VALU_DEP_1) | instskip(SKIP_1) | instid1(VALU_DEP_1)
	v_pk_add_f32 v[186:187], v[186:187], v[0:1] neg_lo:[0,1] neg_hi:[0,1]
	v_pk_mul_f32 v[0:1], v[28:29], v[24:25] op_sel:[0,1]
	v_pk_fma_f32 v[2:3], v[28:29], v[22:23], v[0:1] op_sel:[0,0,1] op_sel_hi:[1,1,0] neg_lo:[0,0,1] neg_hi:[0,0,1]
	v_pk_fma_f32 v[0:1], v[28:29], v[22:23], v[0:1] op_sel:[0,0,1] op_sel_hi:[1,0,0]
	ds_load_2addr_b64 v[26:29], v6 offset0:31 offset1:32
	v_mov_b32_e32 v3, v1
	s_delay_alu instid0(VALU_DEP_1) | instskip(SKIP_2) | instid1(VALU_DEP_1)
	v_pk_add_f32 v[188:189], v[188:189], v[2:3] neg_lo:[0,1] neg_hi:[0,1]
	s_wait_dscnt 0x0
	v_pk_mul_f32 v[0:1], v[26:27], v[24:25] op_sel:[0,1]
	v_pk_fma_f32 v[2:3], v[26:27], v[22:23], v[0:1] op_sel:[0,0,1] op_sel_hi:[1,1,0] neg_lo:[0,0,1] neg_hi:[0,0,1]
	v_pk_fma_f32 v[0:1], v[26:27], v[22:23], v[0:1] op_sel:[0,0,1] op_sel_hi:[1,0,0]
	s_delay_alu instid0(VALU_DEP_1) | instskip(SKIP_1) | instid1(VALU_DEP_2)
	v_mov_b32_e32 v3, v1
	v_pk_mul_f32 v[0:1], v[28:29], v[24:25] op_sel:[0,1]
	v_pk_add_f32 v[190:191], v[190:191], v[2:3] neg_lo:[0,1] neg_hi:[0,1]
	s_delay_alu instid0(VALU_DEP_2) | instskip(SKIP_3) | instid1(VALU_DEP_1)
	v_pk_fma_f32 v[2:3], v[28:29], v[22:23], v[0:1] op_sel:[0,0,1] op_sel_hi:[1,1,0] neg_lo:[0,0,1] neg_hi:[0,0,1]
	v_pk_fma_f32 v[0:1], v[28:29], v[22:23], v[0:1] op_sel:[0,0,1] op_sel_hi:[1,0,0]
	ds_load_2addr_b64 v[26:29], v6 offset0:33 offset1:34
	v_mov_b32_e32 v3, v1
	v_pk_add_f32 v[192:193], v[192:193], v[2:3] neg_lo:[0,1] neg_hi:[0,1]
	s_wait_dscnt 0x0
	v_pk_mul_f32 v[0:1], v[26:27], v[24:25] op_sel:[0,1]
	s_delay_alu instid0(VALU_DEP_1) | instskip(SKIP_2) | instid1(VALU_DEP_2)
	v_pk_fma_f32 v[2:3], v[26:27], v[22:23], v[0:1] op_sel:[0,0,1] op_sel_hi:[1,1,0] neg_lo:[0,0,1] neg_hi:[0,0,1]
	v_pk_fma_f32 v[0:1], v[26:27], v[22:23], v[0:1] op_sel:[0,0,1] op_sel_hi:[1,0,0]
	v_dual_mov_b32 v0, v29 :: v_dual_mul_f32 v26, v29, v22
	v_dual_mov_b32 v3, v1 :: v_dual_mov_b32 v1, v28
	s_delay_alu instid0(VALU_DEP_1) | instskip(SKIP_1) | instid1(VALU_DEP_3)
	v_pk_add_f32 v[194:195], v[194:195], v[2:3] neg_lo:[0,1] neg_hi:[0,1]
	v_mul_f32_e32 v2, v29, v25
	v_pk_fma_f32 v[0:1], v[0:1], v[148:149], v[26:27] op_sel_hi:[1,1,0]
	s_delay_alu instid0(VALU_DEP_2) | instskip(SKIP_2) | instid1(VALU_DEP_1)
	v_pk_fma_f32 v[2:3], v[28:29], v[148:149], v[2:3] op_sel_hi:[1,1,0] neg_lo:[0,0,1] neg_hi:[0,0,1]
	ds_load_2addr_b64 v[26:29], v6 offset0:35 offset1:36
	v_mov_b32_e32 v3, v1
	v_pk_add_f32 v[196:197], v[196:197], v[2:3] neg_lo:[0,1] neg_hi:[0,1]
	s_wait_dscnt 0x0
	v_pk_mul_f32 v[0:1], v[26:27], v[24:25] op_sel:[0,1]
	s_delay_alu instid0(VALU_DEP_1) | instskip(SKIP_1) | instid1(VALU_DEP_1)
	v_pk_fma_f32 v[2:3], v[26:27], v[22:23], v[0:1] op_sel:[0,0,1] op_sel_hi:[1,1,0] neg_lo:[0,0,1] neg_hi:[0,0,1]
	v_pk_fma_f32 v[0:1], v[26:27], v[22:23], v[0:1] op_sel:[0,0,1] op_sel_hi:[1,0,0]
	v_mov_b32_e32 v3, v1
	v_pk_mul_f32 v[0:1], v[28:29], v[24:25] op_sel:[0,1]
	s_delay_alu instid0(VALU_DEP_2) | instskip(NEXT) | instid1(VALU_DEP_2)
	v_pk_add_f32 v[198:199], v[198:199], v[2:3] neg_lo:[0,1] neg_hi:[0,1]
	v_pk_fma_f32 v[2:3], v[28:29], v[22:23], v[0:1] op_sel:[0,0,1] op_sel_hi:[1,1,0] neg_lo:[0,0,1] neg_hi:[0,0,1]
	v_pk_fma_f32 v[0:1], v[28:29], v[22:23], v[0:1] op_sel:[0,0,1] op_sel_hi:[1,0,0]
	ds_load_2addr_b64 v[26:29], v6 offset0:37 offset1:38
	v_mov_b32_e32 v3, v1
	s_delay_alu instid0(VALU_DEP_1) | instskip(SKIP_2) | instid1(VALU_DEP_1)
	v_pk_add_f32 v[200:201], v[200:201], v[2:3] neg_lo:[0,1] neg_hi:[0,1]
	s_wait_dscnt 0x0
	v_pk_mul_f32 v[0:1], v[26:27], v[24:25] op_sel:[0,1]
	v_pk_fma_f32 v[2:3], v[26:27], v[22:23], v[0:1] op_sel:[0,0,1] op_sel_hi:[1,1,0] neg_lo:[0,0,1] neg_hi:[0,0,1]
	v_pk_fma_f32 v[0:1], v[26:27], v[22:23], v[0:1] op_sel:[0,0,1] op_sel_hi:[1,0,0]
	s_delay_alu instid0(VALU_DEP_1) | instskip(SKIP_1) | instid1(VALU_DEP_2)
	v_mov_b32_e32 v3, v1
	v_pk_mul_f32 v[0:1], v[28:29], v[24:25] op_sel:[0,1]
	v_pk_add_f32 v[202:203], v[202:203], v[2:3] neg_lo:[0,1] neg_hi:[0,1]
	s_delay_alu instid0(VALU_DEP_2) | instskip(SKIP_3) | instid1(VALU_DEP_1)
	v_pk_fma_f32 v[2:3], v[28:29], v[22:23], v[0:1] op_sel:[0,0,1] op_sel_hi:[1,1,0] neg_lo:[0,0,1] neg_hi:[0,0,1]
	v_pk_fma_f32 v[0:1], v[28:29], v[22:23], v[0:1] op_sel:[0,0,1] op_sel_hi:[1,0,0]
	ds_load_2addr_b64 v[26:29], v6 offset0:39 offset1:40
	v_mov_b32_e32 v3, v1
	v_pk_add_f32 v[204:205], v[204:205], v[2:3] neg_lo:[0,1] neg_hi:[0,1]
	s_wait_dscnt 0x0
	v_dual_mul_f32 v2, v27, v22 :: v_dual_mul_f32 v0, v27, v25
	s_delay_alu instid0(VALU_DEP_1) | instskip(NEXT) | instid1(VALU_DEP_2)
	v_pk_fma_f32 v[2:3], v[26:27], v[148:149], v[2:3] op_sel:[1,0,0] op_sel_hi:[0,1,0]
	v_pk_fma_f32 v[0:1], v[26:27], v[148:149], v[0:1] op_sel_hi:[1,1,0] neg_lo:[0,0,1] neg_hi:[0,0,1]
	s_delay_alu instid0(VALU_DEP_2) | instskip(NEXT) | instid1(VALU_DEP_1)
	v_mov_b32_e32 v1, v3
	v_pk_add_f32 v[206:207], v[206:207], v[0:1] neg_lo:[0,1] neg_hi:[0,1]
	v_pk_mul_f32 v[0:1], v[28:29], v[24:25] op_sel:[0,1]
	s_delay_alu instid0(VALU_DEP_1) | instskip(SKIP_3) | instid1(VALU_DEP_1)
	v_pk_fma_f32 v[2:3], v[28:29], v[22:23], v[0:1] op_sel:[0,0,1] op_sel_hi:[1,1,0] neg_lo:[0,0,1] neg_hi:[0,0,1]
	v_pk_fma_f32 v[0:1], v[28:29], v[22:23], v[0:1] op_sel:[0,0,1] op_sel_hi:[1,0,0]
	ds_load_2addr_b64 v[26:29], v6 offset0:41 offset1:42
	v_mov_b32_e32 v3, v1
	v_pk_add_f32 v[208:209], v[208:209], v[2:3] neg_lo:[0,1] neg_hi:[0,1]
	s_wait_dscnt 0x0
	v_pk_mul_f32 v[0:1], v[26:27], v[24:25] op_sel:[0,1]
	s_delay_alu instid0(VALU_DEP_1) | instskip(SKIP_1) | instid1(VALU_DEP_1)
	v_pk_fma_f32 v[2:3], v[26:27], v[22:23], v[0:1] op_sel:[0,0,1] op_sel_hi:[1,1,0] neg_lo:[0,0,1] neg_hi:[0,0,1]
	v_pk_fma_f32 v[0:1], v[26:27], v[22:23], v[0:1] op_sel:[0,0,1] op_sel_hi:[1,0,0]
	v_mov_b32_e32 v3, v1
	v_pk_mul_f32 v[0:1], v[28:29], v[24:25] op_sel:[0,1]
	s_delay_alu instid0(VALU_DEP_2) | instskip(NEXT) | instid1(VALU_DEP_2)
	v_pk_add_f32 v[210:211], v[210:211], v[2:3] neg_lo:[0,1] neg_hi:[0,1]
	v_pk_fma_f32 v[2:3], v[28:29], v[22:23], v[0:1] op_sel:[0,0,1] op_sel_hi:[1,1,0] neg_lo:[0,0,1] neg_hi:[0,0,1]
	v_pk_fma_f32 v[0:1], v[28:29], v[22:23], v[0:1] op_sel:[0,0,1] op_sel_hi:[1,0,0]
	ds_load_2addr_b64 v[26:29], v6 offset0:43 offset1:44
	v_mov_b32_e32 v3, v1
	s_delay_alu instid0(VALU_DEP_1) | instskip(SKIP_2) | instid1(VALU_DEP_1)
	v_pk_add_f32 v[212:213], v[212:213], v[2:3] neg_lo:[0,1] neg_hi:[0,1]
	s_wait_dscnt 0x0
	v_pk_mul_f32 v[0:1], v[26:27], v[24:25] op_sel:[0,1]
	v_pk_fma_f32 v[2:3], v[26:27], v[22:23], v[0:1] op_sel:[0,0,1] op_sel_hi:[1,1,0] neg_lo:[0,0,1] neg_hi:[0,0,1]
	v_pk_fma_f32 v[0:1], v[26:27], v[22:23], v[0:1] op_sel:[0,0,1] op_sel_hi:[1,0,0]
	v_dual_mov_b32 v0, v29 :: v_dual_mul_f32 v26, v29, v22
	s_delay_alu instid0(VALU_DEP_2) | instskip(NEXT) | instid1(VALU_DEP_1)
	v_dual_mov_b32 v3, v1 :: v_dual_mov_b32 v1, v28
	v_pk_add_f32 v[214:215], v[214:215], v[2:3] neg_lo:[0,1] neg_hi:[0,1]
	v_mul_f32_e32 v2, v29, v25
	s_delay_alu instid0(VALU_DEP_3) | instskip(NEXT) | instid1(VALU_DEP_2)
	v_pk_fma_f32 v[0:1], v[0:1], v[148:149], v[26:27] op_sel_hi:[1,1,0]
	v_pk_fma_f32 v[2:3], v[28:29], v[148:149], v[2:3] op_sel_hi:[1,1,0] neg_lo:[0,0,1] neg_hi:[0,0,1]
	ds_load_2addr_b64 v[26:29], v6 offset0:45 offset1:46
	v_mov_b32_e32 v3, v1
	s_delay_alu instid0(VALU_DEP_1) | instskip(SKIP_2) | instid1(VALU_DEP_1)
	v_pk_add_f32 v[216:217], v[216:217], v[2:3] neg_lo:[0,1] neg_hi:[0,1]
	s_wait_dscnt 0x0
	v_pk_mul_f32 v[0:1], v[26:27], v[24:25] op_sel:[0,1]
	v_pk_fma_f32 v[2:3], v[26:27], v[22:23], v[0:1] op_sel:[0,0,1] op_sel_hi:[1,1,0] neg_lo:[0,0,1] neg_hi:[0,0,1]
	v_pk_fma_f32 v[0:1], v[26:27], v[22:23], v[0:1] op_sel:[0,0,1] op_sel_hi:[1,0,0]
	s_delay_alu instid0(VALU_DEP_1) | instskip(SKIP_1) | instid1(VALU_DEP_2)
	v_mov_b32_e32 v3, v1
	v_pk_mul_f32 v[0:1], v[28:29], v[24:25] op_sel:[0,1]
	v_pk_add_f32 v[218:219], v[218:219], v[2:3] neg_lo:[0,1] neg_hi:[0,1]
	s_delay_alu instid0(VALU_DEP_2) | instskip(SKIP_3) | instid1(VALU_DEP_1)
	v_pk_fma_f32 v[2:3], v[28:29], v[22:23], v[0:1] op_sel:[0,0,1] op_sel_hi:[1,1,0] neg_lo:[0,0,1] neg_hi:[0,0,1]
	v_pk_fma_f32 v[0:1], v[28:29], v[22:23], v[0:1] op_sel:[0,0,1] op_sel_hi:[1,0,0]
	ds_load_2addr_b64 v[26:29], v6 offset0:47 offset1:48
	v_mov_b32_e32 v3, v1
	v_pk_add_f32 v[220:221], v[220:221], v[2:3] neg_lo:[0,1] neg_hi:[0,1]
	s_wait_dscnt 0x0
	v_pk_mul_f32 v[0:1], v[26:27], v[24:25] op_sel:[0,1]
	s_delay_alu instid0(VALU_DEP_1) | instskip(SKIP_1) | instid1(VALU_DEP_1)
	v_pk_fma_f32 v[2:3], v[26:27], v[22:23], v[0:1] op_sel:[0,0,1] op_sel_hi:[1,1,0] neg_lo:[0,0,1] neg_hi:[0,0,1]
	v_pk_fma_f32 v[0:1], v[26:27], v[22:23], v[0:1] op_sel:[0,0,1] op_sel_hi:[1,0,0]
	v_mov_b32_e32 v3, v1
	v_pk_mul_f32 v[0:1], v[28:29], v[24:25] op_sel:[0,1]
	s_delay_alu instid0(VALU_DEP_2) | instskip(NEXT) | instid1(VALU_DEP_2)
	v_pk_add_f32 v[222:223], v[222:223], v[2:3] neg_lo:[0,1] neg_hi:[0,1]
	v_pk_fma_f32 v[2:3], v[28:29], v[22:23], v[0:1] op_sel:[0,0,1] op_sel_hi:[1,1,0] neg_lo:[0,0,1] neg_hi:[0,0,1]
	v_pk_fma_f32 v[0:1], v[28:29], v[22:23], v[0:1] op_sel:[0,0,1] op_sel_hi:[1,0,0]
	ds_load_2addr_b64 v[26:29], v6 offset0:49 offset1:50
	v_mov_b32_e32 v3, v1
	s_delay_alu instid0(VALU_DEP_1) | instskip(SKIP_2) | instid1(VALU_DEP_1)
	v_pk_add_f32 v[224:225], v[224:225], v[2:3] neg_lo:[0,1] neg_hi:[0,1]
	s_wait_dscnt 0x0
	v_dual_mul_f32 v2, v27, v22 :: v_dual_mul_f32 v0, v27, v25
	v_pk_fma_f32 v[2:3], v[26:27], v[148:149], v[2:3] op_sel:[1,0,0] op_sel_hi:[0,1,0]
	s_delay_alu instid0(VALU_DEP_2) | instskip(NEXT) | instid1(VALU_DEP_2)
	v_pk_fma_f32 v[0:1], v[26:27], v[148:149], v[0:1] op_sel_hi:[1,1,0] neg_lo:[0,0,1] neg_hi:[0,0,1]
	v_mov_b32_e32 v1, v3
	s_delay_alu instid0(VALU_DEP_1) | instskip(SKIP_1) | instid1(VALU_DEP_1)
	v_pk_add_f32 v[226:227], v[226:227], v[0:1] neg_lo:[0,1] neg_hi:[0,1]
	v_pk_mul_f32 v[0:1], v[28:29], v[24:25] op_sel:[0,1]
	v_pk_fma_f32 v[2:3], v[28:29], v[22:23], v[0:1] op_sel:[0,0,1] op_sel_hi:[1,1,0] neg_lo:[0,0,1] neg_hi:[0,0,1]
	v_pk_fma_f32 v[0:1], v[28:29], v[22:23], v[0:1] op_sel:[0,0,1] op_sel_hi:[1,0,0]
	ds_load_2addr_b64 v[26:29], v6 offset0:51 offset1:52
	v_mov_b32_e32 v3, v1
	s_delay_alu instid0(VALU_DEP_1) | instskip(SKIP_2) | instid1(VALU_DEP_1)
	v_pk_add_f32 v[228:229], v[228:229], v[2:3] neg_lo:[0,1] neg_hi:[0,1]
	s_wait_dscnt 0x0
	v_pk_mul_f32 v[0:1], v[26:27], v[24:25] op_sel:[0,1]
	v_pk_fma_f32 v[2:3], v[26:27], v[22:23], v[0:1] op_sel:[0,0,1] op_sel_hi:[1,1,0] neg_lo:[0,0,1] neg_hi:[0,0,1]
	v_pk_fma_f32 v[0:1], v[26:27], v[22:23], v[0:1] op_sel:[0,0,1] op_sel_hi:[1,0,0]
	s_delay_alu instid0(VALU_DEP_1) | instskip(SKIP_1) | instid1(VALU_DEP_2)
	v_mov_b32_e32 v3, v1
	v_pk_mul_f32 v[0:1], v[28:29], v[24:25] op_sel:[0,1]
	v_pk_add_f32 v[230:231], v[230:231], v[2:3] neg_lo:[0,1] neg_hi:[0,1]
	s_delay_alu instid0(VALU_DEP_2) | instskip(SKIP_3) | instid1(VALU_DEP_1)
	v_pk_fma_f32 v[2:3], v[28:29], v[22:23], v[0:1] op_sel:[0,0,1] op_sel_hi:[1,1,0] neg_lo:[0,0,1] neg_hi:[0,0,1]
	v_pk_fma_f32 v[0:1], v[28:29], v[22:23], v[0:1] op_sel:[0,0,1] op_sel_hi:[1,0,0]
	ds_load_2addr_b64 v[26:29], v6 offset0:53 offset1:54
	v_mov_b32_e32 v3, v1
	v_pk_add_f32 v[232:233], v[232:233], v[2:3] neg_lo:[0,1] neg_hi:[0,1]
	s_wait_dscnt 0x0
	v_pk_mul_f32 v[0:1], v[26:27], v[24:25] op_sel:[0,1]
	s_delay_alu instid0(VALU_DEP_1) | instskip(SKIP_2) | instid1(VALU_DEP_2)
	v_pk_fma_f32 v[2:3], v[26:27], v[22:23], v[0:1] op_sel:[0,0,1] op_sel_hi:[1,1,0] neg_lo:[0,0,1] neg_hi:[0,0,1]
	v_pk_fma_f32 v[0:1], v[26:27], v[22:23], v[0:1] op_sel:[0,0,1] op_sel_hi:[1,0,0]
	v_dual_mov_b32 v0, v29 :: v_dual_mul_f32 v26, v29, v22
	v_dual_mov_b32 v3, v1 :: v_dual_mov_b32 v1, v28
	s_delay_alu instid0(VALU_DEP_1) | instskip(SKIP_1) | instid1(VALU_DEP_3)
	v_pk_add_f32 v[234:235], v[234:235], v[2:3] neg_lo:[0,1] neg_hi:[0,1]
	v_mul_f32_e32 v2, v29, v25
	v_pk_fma_f32 v[0:1], v[0:1], v[148:149], v[26:27] op_sel_hi:[1,1,0]
	s_delay_alu instid0(VALU_DEP_2) | instskip(SKIP_2) | instid1(VALU_DEP_1)
	v_pk_fma_f32 v[2:3], v[28:29], v[148:149], v[2:3] op_sel_hi:[1,1,0] neg_lo:[0,0,1] neg_hi:[0,0,1]
	ds_load_2addr_b64 v[26:29], v6 offset0:55 offset1:56
	v_mov_b32_e32 v3, v1
	v_pk_add_f32 v[236:237], v[236:237], v[2:3] neg_lo:[0,1] neg_hi:[0,1]
	s_wait_dscnt 0x0
	v_pk_mul_f32 v[0:1], v[26:27], v[24:25] op_sel:[0,1]
	s_delay_alu instid0(VALU_DEP_1) | instskip(SKIP_1) | instid1(VALU_DEP_1)
	v_pk_fma_f32 v[2:3], v[26:27], v[22:23], v[0:1] op_sel:[0,0,1] op_sel_hi:[1,1,0] neg_lo:[0,0,1] neg_hi:[0,0,1]
	v_pk_fma_f32 v[0:1], v[26:27], v[22:23], v[0:1] op_sel:[0,0,1] op_sel_hi:[1,0,0]
	v_mov_b32_e32 v3, v1
	v_pk_mul_f32 v[0:1], v[28:29], v[24:25] op_sel:[0,1]
	s_delay_alu instid0(VALU_DEP_2) | instskip(NEXT) | instid1(VALU_DEP_2)
	v_pk_add_f32 v[238:239], v[238:239], v[2:3] neg_lo:[0,1] neg_hi:[0,1]
	v_pk_fma_f32 v[2:3], v[28:29], v[22:23], v[0:1] op_sel:[0,0,1] op_sel_hi:[1,1,0] neg_lo:[0,0,1] neg_hi:[0,0,1]
	v_pk_fma_f32 v[0:1], v[28:29], v[22:23], v[0:1] op_sel:[0,0,1] op_sel_hi:[1,0,0]
	ds_load_2addr_b64 v[26:29], v6 offset0:57 offset1:58
	v_mov_b32_e32 v3, v1
	s_delay_alu instid0(VALU_DEP_1) | instskip(SKIP_2) | instid1(VALU_DEP_1)
	v_pk_add_f32 v[248:249], v[248:249], v[2:3] neg_lo:[0,1] neg_hi:[0,1]
	s_wait_dscnt 0x0
	v_pk_mul_f32 v[0:1], v[26:27], v[24:25] op_sel:[0,1]
	v_pk_fma_f32 v[2:3], v[26:27], v[22:23], v[0:1] op_sel:[0,0,1] op_sel_hi:[1,1,0] neg_lo:[0,0,1] neg_hi:[0,0,1]
	v_pk_fma_f32 v[0:1], v[26:27], v[22:23], v[0:1] op_sel:[0,0,1] op_sel_hi:[1,0,0]
	s_delay_alu instid0(VALU_DEP_1) | instskip(SKIP_1) | instid1(VALU_DEP_2)
	v_mov_b32_e32 v3, v1
	v_pk_mul_f32 v[0:1], v[28:29], v[24:25] op_sel:[0,1]
	v_pk_add_f32 v[242:243], v[242:243], v[2:3] neg_lo:[0,1] neg_hi:[0,1]
	s_delay_alu instid0(VALU_DEP_2) | instskip(SKIP_3) | instid1(VALU_DEP_1)
	v_pk_fma_f32 v[2:3], v[28:29], v[22:23], v[0:1] op_sel:[0,0,1] op_sel_hi:[1,1,0] neg_lo:[0,0,1] neg_hi:[0,0,1]
	v_pk_fma_f32 v[0:1], v[28:29], v[22:23], v[0:1] op_sel:[0,0,1] op_sel_hi:[1,0,0]
	ds_load_2addr_b64 v[26:29], v6 offset0:59 offset1:60
	v_mov_b32_e32 v3, v1
	v_pk_add_f32 v[246:247], v[246:247], v[2:3] neg_lo:[0,1] neg_hi:[0,1]
	s_wait_dscnt 0x0
	v_dual_mul_f32 v2, v27, v22 :: v_dual_mul_f32 v0, v27, v25
	s_delay_alu instid0(VALU_DEP_1) | instskip(NEXT) | instid1(VALU_DEP_2)
	v_pk_fma_f32 v[2:3], v[26:27], v[148:149], v[2:3] op_sel:[1,0,0] op_sel_hi:[0,1,0]
	v_pk_fma_f32 v[0:1], v[26:27], v[148:149], v[0:1] op_sel_hi:[1,1,0] neg_lo:[0,0,1] neg_hi:[0,0,1]
	s_delay_alu instid0(VALU_DEP_2) | instskip(NEXT) | instid1(VALU_DEP_1)
	v_mov_b32_e32 v1, v3
	v_pk_add_f32 v[240:241], v[240:241], v[0:1] neg_lo:[0,1] neg_hi:[0,1]
	v_pk_mul_f32 v[0:1], v[28:29], v[24:25] op_sel:[0,1]
	s_delay_alu instid0(VALU_DEP_1) | instskip(SKIP_3) | instid1(VALU_DEP_1)
	v_pk_fma_f32 v[2:3], v[28:29], v[22:23], v[0:1] op_sel:[0,0,1] op_sel_hi:[1,1,0] neg_lo:[0,0,1] neg_hi:[0,0,1]
	v_pk_fma_f32 v[0:1], v[28:29], v[22:23], v[0:1] op_sel:[0,0,1] op_sel_hi:[1,0,0]
	ds_load_2addr_b64 v[26:29], v6 offset0:61 offset1:62
	v_mov_b32_e32 v3, v1
	v_pk_add_f32 v[244:245], v[244:245], v[2:3] neg_lo:[0,1] neg_hi:[0,1]
	s_wait_dscnt 0x0
	v_pk_mul_f32 v[0:1], v[26:27], v[24:25] op_sel:[0,1]
	s_delay_alu instid0(VALU_DEP_1) | instskip(SKIP_1) | instid1(VALU_DEP_1)
	v_pk_fma_f32 v[2:3], v[26:27], v[22:23], v[0:1] op_sel:[0,0,1] op_sel_hi:[1,1,0] neg_lo:[0,0,1] neg_hi:[0,0,1]
	v_pk_fma_f32 v[0:1], v[26:27], v[22:23], v[0:1] op_sel:[0,0,1] op_sel_hi:[1,0,0]
	v_mov_b32_e32 v3, v1
	v_pk_mul_f32 v[0:1], v[28:29], v[24:25] op_sel:[0,1]
	s_delay_alu instid0(VALU_DEP_2) | instskip(NEXT) | instid1(VALU_DEP_2)
	v_pk_add_f32 v[250:251], v[250:251], v[2:3] neg_lo:[0,1] neg_hi:[0,1]
	v_pk_fma_f32 v[2:3], v[28:29], v[22:23], v[0:1] op_sel:[0,0,1] op_sel_hi:[1,1,0] neg_lo:[0,0,1] neg_hi:[0,0,1]
	v_pk_fma_f32 v[0:1], v[28:29], v[22:23], v[0:1] op_sel:[0,0,1] op_sel_hi:[1,0,0]
	s_delay_alu instid0(VALU_DEP_1) | instskip(NEXT) | instid1(VALU_DEP_1)
	v_mov_b32_e32 v3, v1
	v_pk_add_f32 v[252:253], v[252:253], v[2:3] neg_lo:[0,1] neg_hi:[0,1]
.LBB125_100:
	s_or_b32 exec_lo, exec_lo, s1
	s_delay_alu instid0(SALU_CYCLE_1)
	s_mov_b32 s2, exec_lo
	s_wait_dscnt 0x0
	s_barrier_signal -1
	s_barrier_wait -1
	v_cmpx_eq_u32_e32 11, v254
	s_cbranch_execz .LBB125_107
; %bb.101:
	v_dual_mov_b32 v0, v152 :: v_dual_mov_b32 v1, v153
	v_dual_mov_b32 v2, v154 :: v_dual_mov_b32 v3, v155
	ds_store_b64 v255, v[150:151]
	ds_store_2addr_b64 v6, v[0:1], v[2:3] offset0:12 offset1:13
	v_dual_mov_b32 v0, v156 :: v_dual_mov_b32 v1, v157
	v_dual_mov_b32 v2, v158 :: v_dual_mov_b32 v3, v159
	ds_store_2addr_b64 v6, v[0:1], v[2:3] offset0:14 offset1:15
	v_dual_mov_b32 v0, v160 :: v_dual_mov_b32 v1, v161
	v_dual_mov_b32 v2, v162 :: v_dual_mov_b32 v3, v163
	;; [unrolled: 3-line block ×24, first 2 shown]
	ds_store_2addr_b64 v6, v[0:1], v[2:3] offset0:60 offset1:61
	ds_store_b64 v6, v[252:253] offset:496
	ds_load_b64 v[22:23], v255
	s_wait_dscnt 0x0
	v_cmp_neq_f32_e32 vcc_lo, 0, v22
	v_cmp_neq_f32_e64 s1, 0, v23
	s_or_b32 s1, vcc_lo, s1
	s_delay_alu instid0(SALU_CYCLE_1)
	s_and_b32 exec_lo, exec_lo, s1
	s_cbranch_execz .LBB125_107
; %bb.102:
	v_cmp_ngt_f32_e64 s1, |v22|, |v23|
                                        ; implicit-def: $vgpr24_vgpr25
	s_and_saveexec_b32 s4, s1
	s_delay_alu instid0(SALU_CYCLE_1)
	s_xor_b32 s1, exec_lo, s4
	s_cbranch_execz .LBB125_104
; %bb.103:
	v_div_scale_f32 v0, null, v23, v23, v22
	v_div_scale_f32 v3, vcc_lo, v22, v23, v22
	s_delay_alu instid0(VALU_DEP_2) | instskip(SKIP_1) | instid1(TRANS32_DEP_1)
	v_rcp_f32_e32 v1, v0
	v_nop
	v_fma_f32 v2, -v0, v1, 1.0
	s_delay_alu instid0(VALU_DEP_1) | instskip(NEXT) | instid1(VALU_DEP_1)
	v_fmac_f32_e32 v1, v2, v1
	v_mul_f32_e32 v2, v3, v1
	s_delay_alu instid0(VALU_DEP_1) | instskip(NEXT) | instid1(VALU_DEP_1)
	v_fma_f32 v4, -v0, v2, v3
	v_fmac_f32_e32 v2, v4, v1
	s_delay_alu instid0(VALU_DEP_1) | instskip(NEXT) | instid1(VALU_DEP_1)
	v_fma_f32 v0, -v0, v2, v3
	v_div_fmas_f32 v0, v0, v1, v2
	s_delay_alu instid0(VALU_DEP_1) | instskip(NEXT) | instid1(VALU_DEP_1)
	v_div_fixup_f32 v0, v0, v23, v22
	v_fmac_f32_e32 v23, v22, v0
	s_delay_alu instid0(VALU_DEP_1) | instskip(SKIP_1) | instid1(VALU_DEP_2)
	v_div_scale_f32 v1, null, v23, v23, 1.0
	v_div_scale_f32 v4, vcc_lo, 1.0, v23, 1.0
	v_rcp_f32_e32 v2, v1
	v_nop
	s_delay_alu instid0(TRANS32_DEP_1) | instskip(NEXT) | instid1(VALU_DEP_1)
	v_fma_f32 v3, -v1, v2, 1.0
	v_fmac_f32_e32 v2, v3, v2
	s_delay_alu instid0(VALU_DEP_1) | instskip(NEXT) | instid1(VALU_DEP_1)
	v_mul_f32_e32 v3, v4, v2
	v_fma_f32 v5, -v1, v3, v4
	s_delay_alu instid0(VALU_DEP_1) | instskip(NEXT) | instid1(VALU_DEP_1)
	v_fmac_f32_e32 v3, v5, v2
	v_fma_f32 v1, -v1, v3, v4
	s_delay_alu instid0(VALU_DEP_1) | instskip(NEXT) | instid1(VALU_DEP_1)
	v_div_fmas_f32 v1, v1, v2, v3
	v_div_fixup_f32 v1, v1, v23, 1.0
                                        ; implicit-def: $vgpr22_vgpr23
	s_delay_alu instid0(VALU_DEP_1)
	v_mul_f32_e32 v24, v0, v1
	v_xor_b32_e32 v25, 0x80000000, v1
.LBB125_104:
	s_and_not1_saveexec_b32 s1, s1
	s_cbranch_execz .LBB125_106
; %bb.105:
	v_div_scale_f32 v0, null, v22, v22, v23
	v_div_scale_f32 v3, vcc_lo, v23, v22, v23
	s_delay_alu instid0(VALU_DEP_2) | instskip(SKIP_1) | instid1(TRANS32_DEP_1)
	v_rcp_f32_e32 v1, v0
	v_nop
	v_fma_f32 v2, -v0, v1, 1.0
	s_delay_alu instid0(VALU_DEP_1) | instskip(NEXT) | instid1(VALU_DEP_1)
	v_fmac_f32_e32 v1, v2, v1
	v_mul_f32_e32 v2, v3, v1
	s_delay_alu instid0(VALU_DEP_1) | instskip(NEXT) | instid1(VALU_DEP_1)
	v_fma_f32 v4, -v0, v2, v3
	v_fmac_f32_e32 v2, v4, v1
	s_delay_alu instid0(VALU_DEP_1) | instskip(NEXT) | instid1(VALU_DEP_1)
	v_fma_f32 v0, -v0, v2, v3
	v_div_fmas_f32 v0, v0, v1, v2
	s_delay_alu instid0(VALU_DEP_1) | instskip(NEXT) | instid1(VALU_DEP_1)
	v_div_fixup_f32 v0, v0, v22, v23
	v_fmac_f32_e32 v22, v23, v0
	s_delay_alu instid0(VALU_DEP_1) | instskip(NEXT) | instid1(VALU_DEP_1)
	v_div_scale_f32 v1, null, v22, v22, 1.0
	v_rcp_f32_e32 v2, v1
	v_nop
	s_delay_alu instid0(TRANS32_DEP_1) | instskip(NEXT) | instid1(VALU_DEP_1)
	v_fma_f32 v3, -v1, v2, 1.0
	v_fmac_f32_e32 v2, v3, v2
	v_div_scale_f32 v3, vcc_lo, 1.0, v22, 1.0
	s_delay_alu instid0(VALU_DEP_1) | instskip(NEXT) | instid1(VALU_DEP_1)
	v_mul_f32_e32 v4, v3, v2
	v_fma_f32 v5, -v1, v4, v3
	s_delay_alu instid0(VALU_DEP_1) | instskip(NEXT) | instid1(VALU_DEP_1)
	v_fmac_f32_e32 v4, v5, v2
	v_fma_f32 v1, -v1, v4, v3
	s_delay_alu instid0(VALU_DEP_1) | instskip(NEXT) | instid1(VALU_DEP_1)
	v_div_fmas_f32 v1, v1, v2, v4
	v_div_fixup_f32 v24, v1, v22, 1.0
	s_delay_alu instid0(VALU_DEP_1)
	v_mul_f32_e64 v25, v0, -v24
.LBB125_106:
	s_or_b32 exec_lo, exec_lo, s1
	ds_store_b64 v255, v[24:25]
.LBB125_107:
	s_or_b32 exec_lo, exec_lo, s2
	s_wait_dscnt 0x0
	s_barrier_signal -1
	s_barrier_wait -1
	ds_load_b64 v[22:23], v255
	s_mov_b32 s1, exec_lo
	v_cmpx_lt_u32_e32 11, v254
	s_cbranch_execz .LBB125_109
; %bb.108:
	ds_load_2addr_b64 v[28:31], v6 offset0:12 offset1:13
	s_wait_dscnt 0x1
	v_pk_mul_f32 v[0:1], v[22:23], v[150:151] op_sel:[1,1] op_sel_hi:[0,1]
	s_delay_alu instid0(VALU_DEP_1) | instskip(SKIP_1) | instid1(VALU_DEP_1)
	v_pk_fma_f32 v[26:27], v[22:23], v[150:151], v[0:1] op_sel_hi:[1,0,1]
	v_pk_fma_f32 v[24:25], v[22:23], v[150:151], v[0:1] op_sel_hi:[1,0,1] neg_lo:[0,0,1] neg_hi:[0,0,1]
	v_dual_mov_b32 v151, v27 :: v_dual_mov_b32 v150, v24
	s_wait_dscnt 0x0
	s_delay_alu instid0(VALU_DEP_3) | instskip(NEXT) | instid1(VALU_DEP_1)
	v_pk_mul_f32 v[0:1], v[28:29], v[26:27] op_sel:[0,1]
	v_pk_fma_f32 v[2:3], v[28:29], v[24:25], v[0:1] op_sel:[0,0,1] op_sel_hi:[1,1,0] neg_lo:[0,0,1] neg_hi:[0,0,1]
	v_pk_fma_f32 v[0:1], v[28:29], v[24:25], v[0:1] op_sel:[0,0,1] op_sel_hi:[1,0,0]
	s_delay_alu instid0(VALU_DEP_1) | instskip(SKIP_1) | instid1(VALU_DEP_2)
	v_mov_b32_e32 v3, v1
	v_pk_mul_f32 v[0:1], v[30:31], v[26:27] op_sel:[0,1]
	v_pk_add_f32 v[152:153], v[152:153], v[2:3] neg_lo:[0,1] neg_hi:[0,1]
	s_delay_alu instid0(VALU_DEP_2) | instskip(SKIP_3) | instid1(VALU_DEP_1)
	v_pk_fma_f32 v[2:3], v[30:31], v[24:25], v[0:1] op_sel:[0,0,1] op_sel_hi:[1,1,0] neg_lo:[0,0,1] neg_hi:[0,0,1]
	v_pk_fma_f32 v[0:1], v[30:31], v[24:25], v[0:1] op_sel:[0,0,1] op_sel_hi:[1,0,0]
	ds_load_2addr_b64 v[28:31], v6 offset0:14 offset1:15
	v_mov_b32_e32 v3, v1
	v_pk_add_f32 v[154:155], v[154:155], v[2:3] neg_lo:[0,1] neg_hi:[0,1]
	s_wait_dscnt 0x0
	v_pk_mul_f32 v[0:1], v[28:29], v[26:27] op_sel:[0,1]
	s_delay_alu instid0(VALU_DEP_1) | instskip(SKIP_2) | instid1(VALU_DEP_2)
	v_pk_fma_f32 v[2:3], v[28:29], v[24:25], v[0:1] op_sel:[0,0,1] op_sel_hi:[1,1,0] neg_lo:[0,0,1] neg_hi:[0,0,1]
	v_pk_fma_f32 v[0:1], v[28:29], v[24:25], v[0:1] op_sel:[0,0,1] op_sel_hi:[1,0,0]
	v_dual_mov_b32 v0, v31 :: v_dual_mul_f32 v28, v31, v24
	v_dual_mov_b32 v3, v1 :: v_dual_mov_b32 v1, v30
	s_delay_alu instid0(VALU_DEP_1) | instskip(SKIP_1) | instid1(VALU_DEP_3)
	v_pk_add_f32 v[156:157], v[156:157], v[2:3] neg_lo:[0,1] neg_hi:[0,1]
	v_mul_f32_e32 v2, v31, v27
	v_pk_fma_f32 v[0:1], v[0:1], v[150:151], v[28:29] op_sel_hi:[1,1,0]
	s_delay_alu instid0(VALU_DEP_2) | instskip(SKIP_2) | instid1(VALU_DEP_1)
	v_pk_fma_f32 v[2:3], v[30:31], v[150:151], v[2:3] op_sel_hi:[1,1,0] neg_lo:[0,0,1] neg_hi:[0,0,1]
	ds_load_2addr_b64 v[28:31], v6 offset0:16 offset1:17
	v_mov_b32_e32 v3, v1
	v_pk_add_f32 v[158:159], v[158:159], v[2:3] neg_lo:[0,1] neg_hi:[0,1]
	s_wait_dscnt 0x0
	v_pk_mul_f32 v[0:1], v[28:29], v[26:27] op_sel:[0,1]
	s_delay_alu instid0(VALU_DEP_1) | instskip(SKIP_1) | instid1(VALU_DEP_1)
	v_pk_fma_f32 v[2:3], v[28:29], v[24:25], v[0:1] op_sel:[0,0,1] op_sel_hi:[1,1,0] neg_lo:[0,0,1] neg_hi:[0,0,1]
	v_pk_fma_f32 v[0:1], v[28:29], v[24:25], v[0:1] op_sel:[0,0,1] op_sel_hi:[1,0,0]
	v_mov_b32_e32 v3, v1
	v_pk_mul_f32 v[0:1], v[30:31], v[26:27] op_sel:[0,1]
	s_delay_alu instid0(VALU_DEP_2) | instskip(NEXT) | instid1(VALU_DEP_2)
	v_pk_add_f32 v[160:161], v[160:161], v[2:3] neg_lo:[0,1] neg_hi:[0,1]
	v_pk_fma_f32 v[2:3], v[30:31], v[24:25], v[0:1] op_sel:[0,0,1] op_sel_hi:[1,1,0] neg_lo:[0,0,1] neg_hi:[0,0,1]
	v_pk_fma_f32 v[0:1], v[30:31], v[24:25], v[0:1] op_sel:[0,0,1] op_sel_hi:[1,0,0]
	ds_load_2addr_b64 v[28:31], v6 offset0:18 offset1:19
	v_mov_b32_e32 v3, v1
	s_delay_alu instid0(VALU_DEP_1) | instskip(SKIP_2) | instid1(VALU_DEP_1)
	v_pk_add_f32 v[162:163], v[162:163], v[2:3] neg_lo:[0,1] neg_hi:[0,1]
	s_wait_dscnt 0x0
	v_pk_mul_f32 v[0:1], v[28:29], v[26:27] op_sel:[0,1]
	v_pk_fma_f32 v[2:3], v[28:29], v[24:25], v[0:1] op_sel:[0,0,1] op_sel_hi:[1,1,0] neg_lo:[0,0,1] neg_hi:[0,0,1]
	v_pk_fma_f32 v[0:1], v[28:29], v[24:25], v[0:1] op_sel:[0,0,1] op_sel_hi:[1,0,0]
	s_delay_alu instid0(VALU_DEP_1) | instskip(SKIP_1) | instid1(VALU_DEP_2)
	v_mov_b32_e32 v3, v1
	v_pk_mul_f32 v[0:1], v[30:31], v[26:27] op_sel:[0,1]
	v_pk_add_f32 v[164:165], v[164:165], v[2:3] neg_lo:[0,1] neg_hi:[0,1]
	s_delay_alu instid0(VALU_DEP_2) | instskip(SKIP_3) | instid1(VALU_DEP_1)
	v_pk_fma_f32 v[2:3], v[30:31], v[24:25], v[0:1] op_sel:[0,0,1] op_sel_hi:[1,1,0] neg_lo:[0,0,1] neg_hi:[0,0,1]
	v_pk_fma_f32 v[0:1], v[30:31], v[24:25], v[0:1] op_sel:[0,0,1] op_sel_hi:[1,0,0]
	ds_load_2addr_b64 v[28:31], v6 offset0:20 offset1:21
	v_mov_b32_e32 v3, v1
	v_pk_add_f32 v[166:167], v[166:167], v[2:3] neg_lo:[0,1] neg_hi:[0,1]
	s_wait_dscnt 0x0
	v_dual_mul_f32 v0, v29, v27 :: v_dual_mul_f32 v2, v29, v24
	s_delay_alu instid0(VALU_DEP_1) | instskip(NEXT) | instid1(VALU_DEP_2)
	v_pk_fma_f32 v[0:1], v[28:29], v[150:151], v[0:1] op_sel_hi:[1,1,0] neg_lo:[0,0,1] neg_hi:[0,0,1]
	v_pk_fma_f32 v[2:3], v[28:29], v[150:151], v[2:3] op_sel:[1,0,0] op_sel_hi:[0,1,0]
	s_delay_alu instid0(VALU_DEP_1) | instskip(NEXT) | instid1(VALU_DEP_1)
	v_mov_b32_e32 v1, v3
	v_pk_add_f32 v[168:169], v[168:169], v[0:1] neg_lo:[0,1] neg_hi:[0,1]
	v_pk_mul_f32 v[0:1], v[30:31], v[26:27] op_sel:[0,1]
	s_delay_alu instid0(VALU_DEP_1) | instskip(SKIP_3) | instid1(VALU_DEP_1)
	v_pk_fma_f32 v[2:3], v[30:31], v[24:25], v[0:1] op_sel:[0,0,1] op_sel_hi:[1,1,0] neg_lo:[0,0,1] neg_hi:[0,0,1]
	v_pk_fma_f32 v[0:1], v[30:31], v[24:25], v[0:1] op_sel:[0,0,1] op_sel_hi:[1,0,0]
	ds_load_2addr_b64 v[28:31], v6 offset0:22 offset1:23
	v_mov_b32_e32 v3, v1
	v_pk_add_f32 v[170:171], v[170:171], v[2:3] neg_lo:[0,1] neg_hi:[0,1]
	s_wait_dscnt 0x0
	v_pk_mul_f32 v[0:1], v[28:29], v[26:27] op_sel:[0,1]
	s_delay_alu instid0(VALU_DEP_1) | instskip(SKIP_1) | instid1(VALU_DEP_1)
	v_pk_fma_f32 v[2:3], v[28:29], v[24:25], v[0:1] op_sel:[0,0,1] op_sel_hi:[1,1,0] neg_lo:[0,0,1] neg_hi:[0,0,1]
	v_pk_fma_f32 v[0:1], v[28:29], v[24:25], v[0:1] op_sel:[0,0,1] op_sel_hi:[1,0,0]
	v_mov_b32_e32 v3, v1
	v_pk_mul_f32 v[0:1], v[30:31], v[26:27] op_sel:[0,1]
	s_delay_alu instid0(VALU_DEP_2) | instskip(NEXT) | instid1(VALU_DEP_2)
	v_pk_add_f32 v[172:173], v[172:173], v[2:3] neg_lo:[0,1] neg_hi:[0,1]
	v_pk_fma_f32 v[2:3], v[30:31], v[24:25], v[0:1] op_sel:[0,0,1] op_sel_hi:[1,1,0] neg_lo:[0,0,1] neg_hi:[0,0,1]
	v_pk_fma_f32 v[0:1], v[30:31], v[24:25], v[0:1] op_sel:[0,0,1] op_sel_hi:[1,0,0]
	ds_load_2addr_b64 v[28:31], v6 offset0:24 offset1:25
	v_mov_b32_e32 v3, v1
	s_delay_alu instid0(VALU_DEP_1) | instskip(SKIP_2) | instid1(VALU_DEP_1)
	v_pk_add_f32 v[174:175], v[174:175], v[2:3] neg_lo:[0,1] neg_hi:[0,1]
	s_wait_dscnt 0x0
	v_pk_mul_f32 v[0:1], v[28:29], v[26:27] op_sel:[0,1]
	v_pk_fma_f32 v[2:3], v[28:29], v[24:25], v[0:1] op_sel:[0,0,1] op_sel_hi:[1,1,0] neg_lo:[0,0,1] neg_hi:[0,0,1]
	v_pk_fma_f32 v[0:1], v[28:29], v[24:25], v[0:1] op_sel:[0,0,1] op_sel_hi:[1,0,0]
	v_dual_mov_b32 v0, v31 :: v_dual_mul_f32 v28, v31, v24
	s_delay_alu instid0(VALU_DEP_2) | instskip(NEXT) | instid1(VALU_DEP_1)
	v_dual_mov_b32 v3, v1 :: v_dual_mov_b32 v1, v30
	v_pk_add_f32 v[176:177], v[176:177], v[2:3] neg_lo:[0,1] neg_hi:[0,1]
	v_mul_f32_e32 v2, v31, v27
	s_delay_alu instid0(VALU_DEP_3) | instskip(NEXT) | instid1(VALU_DEP_2)
	v_pk_fma_f32 v[0:1], v[0:1], v[150:151], v[28:29] op_sel_hi:[1,1,0]
	v_pk_fma_f32 v[2:3], v[30:31], v[150:151], v[2:3] op_sel_hi:[1,1,0] neg_lo:[0,0,1] neg_hi:[0,0,1]
	ds_load_2addr_b64 v[28:31], v6 offset0:26 offset1:27
	v_mov_b32_e32 v3, v1
	s_delay_alu instid0(VALU_DEP_1) | instskip(SKIP_2) | instid1(VALU_DEP_1)
	v_pk_add_f32 v[178:179], v[178:179], v[2:3] neg_lo:[0,1] neg_hi:[0,1]
	s_wait_dscnt 0x0
	v_pk_mul_f32 v[0:1], v[28:29], v[26:27] op_sel:[0,1]
	v_pk_fma_f32 v[2:3], v[28:29], v[24:25], v[0:1] op_sel:[0,0,1] op_sel_hi:[1,1,0] neg_lo:[0,0,1] neg_hi:[0,0,1]
	v_pk_fma_f32 v[0:1], v[28:29], v[24:25], v[0:1] op_sel:[0,0,1] op_sel_hi:[1,0,0]
	s_delay_alu instid0(VALU_DEP_1) | instskip(SKIP_1) | instid1(VALU_DEP_2)
	v_mov_b32_e32 v3, v1
	v_pk_mul_f32 v[0:1], v[30:31], v[26:27] op_sel:[0,1]
	v_pk_add_f32 v[180:181], v[180:181], v[2:3] neg_lo:[0,1] neg_hi:[0,1]
	s_delay_alu instid0(VALU_DEP_2) | instskip(SKIP_3) | instid1(VALU_DEP_1)
	v_pk_fma_f32 v[2:3], v[30:31], v[24:25], v[0:1] op_sel:[0,0,1] op_sel_hi:[1,1,0] neg_lo:[0,0,1] neg_hi:[0,0,1]
	v_pk_fma_f32 v[0:1], v[30:31], v[24:25], v[0:1] op_sel:[0,0,1] op_sel_hi:[1,0,0]
	ds_load_2addr_b64 v[28:31], v6 offset0:28 offset1:29
	v_mov_b32_e32 v3, v1
	v_pk_add_f32 v[182:183], v[182:183], v[2:3] neg_lo:[0,1] neg_hi:[0,1]
	s_wait_dscnt 0x0
	v_pk_mul_f32 v[0:1], v[28:29], v[26:27] op_sel:[0,1]
	s_delay_alu instid0(VALU_DEP_1) | instskip(SKIP_1) | instid1(VALU_DEP_1)
	v_pk_fma_f32 v[2:3], v[28:29], v[24:25], v[0:1] op_sel:[0,0,1] op_sel_hi:[1,1,0] neg_lo:[0,0,1] neg_hi:[0,0,1]
	v_pk_fma_f32 v[0:1], v[28:29], v[24:25], v[0:1] op_sel:[0,0,1] op_sel_hi:[1,0,0]
	v_mov_b32_e32 v3, v1
	v_pk_mul_f32 v[0:1], v[30:31], v[26:27] op_sel:[0,1]
	s_delay_alu instid0(VALU_DEP_2) | instskip(NEXT) | instid1(VALU_DEP_2)
	v_pk_add_f32 v[184:185], v[184:185], v[2:3] neg_lo:[0,1] neg_hi:[0,1]
	v_pk_fma_f32 v[2:3], v[30:31], v[24:25], v[0:1] op_sel:[0,0,1] op_sel_hi:[1,1,0] neg_lo:[0,0,1] neg_hi:[0,0,1]
	v_pk_fma_f32 v[0:1], v[30:31], v[24:25], v[0:1] op_sel:[0,0,1] op_sel_hi:[1,0,0]
	ds_load_2addr_b64 v[28:31], v6 offset0:30 offset1:31
	v_mov_b32_e32 v3, v1
	s_delay_alu instid0(VALU_DEP_1) | instskip(SKIP_2) | instid1(VALU_DEP_1)
	v_pk_add_f32 v[186:187], v[186:187], v[2:3] neg_lo:[0,1] neg_hi:[0,1]
	s_wait_dscnt 0x0
	v_dual_mul_f32 v2, v29, v24 :: v_dual_mul_f32 v0, v29, v27
	v_pk_fma_f32 v[2:3], v[28:29], v[150:151], v[2:3] op_sel:[1,0,0] op_sel_hi:[0,1,0]
	s_delay_alu instid0(VALU_DEP_2) | instskip(NEXT) | instid1(VALU_DEP_2)
	v_pk_fma_f32 v[0:1], v[28:29], v[150:151], v[0:1] op_sel_hi:[1,1,0] neg_lo:[0,0,1] neg_hi:[0,0,1]
	v_mov_b32_e32 v1, v3
	s_delay_alu instid0(VALU_DEP_1) | instskip(SKIP_1) | instid1(VALU_DEP_1)
	v_pk_add_f32 v[188:189], v[188:189], v[0:1] neg_lo:[0,1] neg_hi:[0,1]
	v_pk_mul_f32 v[0:1], v[30:31], v[26:27] op_sel:[0,1]
	v_pk_fma_f32 v[2:3], v[30:31], v[24:25], v[0:1] op_sel:[0,0,1] op_sel_hi:[1,1,0] neg_lo:[0,0,1] neg_hi:[0,0,1]
	v_pk_fma_f32 v[0:1], v[30:31], v[24:25], v[0:1] op_sel:[0,0,1] op_sel_hi:[1,0,0]
	ds_load_2addr_b64 v[28:31], v6 offset0:32 offset1:33
	v_mov_b32_e32 v3, v1
	s_delay_alu instid0(VALU_DEP_1) | instskip(SKIP_2) | instid1(VALU_DEP_1)
	v_pk_add_f32 v[190:191], v[190:191], v[2:3] neg_lo:[0,1] neg_hi:[0,1]
	s_wait_dscnt 0x0
	v_pk_mul_f32 v[0:1], v[28:29], v[26:27] op_sel:[0,1]
	v_pk_fma_f32 v[2:3], v[28:29], v[24:25], v[0:1] op_sel:[0,0,1] op_sel_hi:[1,1,0] neg_lo:[0,0,1] neg_hi:[0,0,1]
	v_pk_fma_f32 v[0:1], v[28:29], v[24:25], v[0:1] op_sel:[0,0,1] op_sel_hi:[1,0,0]
	s_delay_alu instid0(VALU_DEP_1) | instskip(SKIP_1) | instid1(VALU_DEP_2)
	v_mov_b32_e32 v3, v1
	v_pk_mul_f32 v[0:1], v[30:31], v[26:27] op_sel:[0,1]
	v_pk_add_f32 v[192:193], v[192:193], v[2:3] neg_lo:[0,1] neg_hi:[0,1]
	s_delay_alu instid0(VALU_DEP_2) | instskip(SKIP_3) | instid1(VALU_DEP_1)
	v_pk_fma_f32 v[2:3], v[30:31], v[24:25], v[0:1] op_sel:[0,0,1] op_sel_hi:[1,1,0] neg_lo:[0,0,1] neg_hi:[0,0,1]
	v_pk_fma_f32 v[0:1], v[30:31], v[24:25], v[0:1] op_sel:[0,0,1] op_sel_hi:[1,0,0]
	ds_load_2addr_b64 v[28:31], v6 offset0:34 offset1:35
	v_mov_b32_e32 v3, v1
	v_pk_add_f32 v[194:195], v[194:195], v[2:3] neg_lo:[0,1] neg_hi:[0,1]
	s_wait_dscnt 0x0
	v_pk_mul_f32 v[0:1], v[28:29], v[26:27] op_sel:[0,1]
	s_delay_alu instid0(VALU_DEP_1) | instskip(SKIP_2) | instid1(VALU_DEP_2)
	v_pk_fma_f32 v[2:3], v[28:29], v[24:25], v[0:1] op_sel:[0,0,1] op_sel_hi:[1,1,0] neg_lo:[0,0,1] neg_hi:[0,0,1]
	v_pk_fma_f32 v[0:1], v[28:29], v[24:25], v[0:1] op_sel:[0,0,1] op_sel_hi:[1,0,0]
	v_dual_mov_b32 v0, v31 :: v_dual_mul_f32 v28, v31, v24
	v_dual_mov_b32 v3, v1 :: v_dual_mov_b32 v1, v30
	s_delay_alu instid0(VALU_DEP_1) | instskip(SKIP_1) | instid1(VALU_DEP_3)
	v_pk_add_f32 v[196:197], v[196:197], v[2:3] neg_lo:[0,1] neg_hi:[0,1]
	v_mul_f32_e32 v2, v31, v27
	v_pk_fma_f32 v[0:1], v[0:1], v[150:151], v[28:29] op_sel_hi:[1,1,0]
	s_delay_alu instid0(VALU_DEP_2) | instskip(SKIP_2) | instid1(VALU_DEP_1)
	v_pk_fma_f32 v[2:3], v[30:31], v[150:151], v[2:3] op_sel_hi:[1,1,0] neg_lo:[0,0,1] neg_hi:[0,0,1]
	ds_load_2addr_b64 v[28:31], v6 offset0:36 offset1:37
	v_mov_b32_e32 v3, v1
	v_pk_add_f32 v[198:199], v[198:199], v[2:3] neg_lo:[0,1] neg_hi:[0,1]
	s_wait_dscnt 0x0
	v_pk_mul_f32 v[0:1], v[28:29], v[26:27] op_sel:[0,1]
	s_delay_alu instid0(VALU_DEP_1) | instskip(SKIP_1) | instid1(VALU_DEP_1)
	v_pk_fma_f32 v[2:3], v[28:29], v[24:25], v[0:1] op_sel:[0,0,1] op_sel_hi:[1,1,0] neg_lo:[0,0,1] neg_hi:[0,0,1]
	v_pk_fma_f32 v[0:1], v[28:29], v[24:25], v[0:1] op_sel:[0,0,1] op_sel_hi:[1,0,0]
	v_mov_b32_e32 v3, v1
	v_pk_mul_f32 v[0:1], v[30:31], v[26:27] op_sel:[0,1]
	s_delay_alu instid0(VALU_DEP_2) | instskip(NEXT) | instid1(VALU_DEP_2)
	v_pk_add_f32 v[200:201], v[200:201], v[2:3] neg_lo:[0,1] neg_hi:[0,1]
	v_pk_fma_f32 v[2:3], v[30:31], v[24:25], v[0:1] op_sel:[0,0,1] op_sel_hi:[1,1,0] neg_lo:[0,0,1] neg_hi:[0,0,1]
	v_pk_fma_f32 v[0:1], v[30:31], v[24:25], v[0:1] op_sel:[0,0,1] op_sel_hi:[1,0,0]
	ds_load_2addr_b64 v[28:31], v6 offset0:38 offset1:39
	v_mov_b32_e32 v3, v1
	s_delay_alu instid0(VALU_DEP_1) | instskip(SKIP_2) | instid1(VALU_DEP_1)
	v_pk_add_f32 v[202:203], v[202:203], v[2:3] neg_lo:[0,1] neg_hi:[0,1]
	s_wait_dscnt 0x0
	v_pk_mul_f32 v[0:1], v[28:29], v[26:27] op_sel:[0,1]
	v_pk_fma_f32 v[2:3], v[28:29], v[24:25], v[0:1] op_sel:[0,0,1] op_sel_hi:[1,1,0] neg_lo:[0,0,1] neg_hi:[0,0,1]
	v_pk_fma_f32 v[0:1], v[28:29], v[24:25], v[0:1] op_sel:[0,0,1] op_sel_hi:[1,0,0]
	s_delay_alu instid0(VALU_DEP_1) | instskip(SKIP_1) | instid1(VALU_DEP_2)
	v_mov_b32_e32 v3, v1
	v_pk_mul_f32 v[0:1], v[30:31], v[26:27] op_sel:[0,1]
	v_pk_add_f32 v[204:205], v[204:205], v[2:3] neg_lo:[0,1] neg_hi:[0,1]
	s_delay_alu instid0(VALU_DEP_2) | instskip(SKIP_3) | instid1(VALU_DEP_1)
	v_pk_fma_f32 v[2:3], v[30:31], v[24:25], v[0:1] op_sel:[0,0,1] op_sel_hi:[1,1,0] neg_lo:[0,0,1] neg_hi:[0,0,1]
	v_pk_fma_f32 v[0:1], v[30:31], v[24:25], v[0:1] op_sel:[0,0,1] op_sel_hi:[1,0,0]
	ds_load_2addr_b64 v[28:31], v6 offset0:40 offset1:41
	v_mov_b32_e32 v3, v1
	v_pk_add_f32 v[206:207], v[206:207], v[2:3] neg_lo:[0,1] neg_hi:[0,1]
	s_wait_dscnt 0x0
	v_dual_mul_f32 v0, v29, v27 :: v_dual_mul_f32 v2, v29, v24
	s_delay_alu instid0(VALU_DEP_1) | instskip(NEXT) | instid1(VALU_DEP_2)
	v_pk_fma_f32 v[0:1], v[28:29], v[150:151], v[0:1] op_sel_hi:[1,1,0] neg_lo:[0,0,1] neg_hi:[0,0,1]
	v_pk_fma_f32 v[2:3], v[28:29], v[150:151], v[2:3] op_sel:[1,0,0] op_sel_hi:[0,1,0]
	s_delay_alu instid0(VALU_DEP_1) | instskip(NEXT) | instid1(VALU_DEP_1)
	v_mov_b32_e32 v1, v3
	v_pk_add_f32 v[208:209], v[208:209], v[0:1] neg_lo:[0,1] neg_hi:[0,1]
	v_pk_mul_f32 v[0:1], v[30:31], v[26:27] op_sel:[0,1]
	s_delay_alu instid0(VALU_DEP_1) | instskip(SKIP_3) | instid1(VALU_DEP_1)
	v_pk_fma_f32 v[2:3], v[30:31], v[24:25], v[0:1] op_sel:[0,0,1] op_sel_hi:[1,1,0] neg_lo:[0,0,1] neg_hi:[0,0,1]
	v_pk_fma_f32 v[0:1], v[30:31], v[24:25], v[0:1] op_sel:[0,0,1] op_sel_hi:[1,0,0]
	ds_load_2addr_b64 v[28:31], v6 offset0:42 offset1:43
	v_mov_b32_e32 v3, v1
	v_pk_add_f32 v[210:211], v[210:211], v[2:3] neg_lo:[0,1] neg_hi:[0,1]
	s_wait_dscnt 0x0
	v_pk_mul_f32 v[0:1], v[28:29], v[26:27] op_sel:[0,1]
	s_delay_alu instid0(VALU_DEP_1) | instskip(SKIP_1) | instid1(VALU_DEP_1)
	v_pk_fma_f32 v[2:3], v[28:29], v[24:25], v[0:1] op_sel:[0,0,1] op_sel_hi:[1,1,0] neg_lo:[0,0,1] neg_hi:[0,0,1]
	v_pk_fma_f32 v[0:1], v[28:29], v[24:25], v[0:1] op_sel:[0,0,1] op_sel_hi:[1,0,0]
	v_mov_b32_e32 v3, v1
	v_pk_mul_f32 v[0:1], v[30:31], v[26:27] op_sel:[0,1]
	s_delay_alu instid0(VALU_DEP_2) | instskip(NEXT) | instid1(VALU_DEP_2)
	v_pk_add_f32 v[212:213], v[212:213], v[2:3] neg_lo:[0,1] neg_hi:[0,1]
	v_pk_fma_f32 v[2:3], v[30:31], v[24:25], v[0:1] op_sel:[0,0,1] op_sel_hi:[1,1,0] neg_lo:[0,0,1] neg_hi:[0,0,1]
	v_pk_fma_f32 v[0:1], v[30:31], v[24:25], v[0:1] op_sel:[0,0,1] op_sel_hi:[1,0,0]
	ds_load_2addr_b64 v[28:31], v6 offset0:44 offset1:45
	v_mov_b32_e32 v3, v1
	s_delay_alu instid0(VALU_DEP_1) | instskip(SKIP_2) | instid1(VALU_DEP_1)
	v_pk_add_f32 v[214:215], v[214:215], v[2:3] neg_lo:[0,1] neg_hi:[0,1]
	s_wait_dscnt 0x0
	v_pk_mul_f32 v[0:1], v[28:29], v[26:27] op_sel:[0,1]
	v_pk_fma_f32 v[2:3], v[28:29], v[24:25], v[0:1] op_sel:[0,0,1] op_sel_hi:[1,1,0] neg_lo:[0,0,1] neg_hi:[0,0,1]
	v_pk_fma_f32 v[0:1], v[28:29], v[24:25], v[0:1] op_sel:[0,0,1] op_sel_hi:[1,0,0]
	v_dual_mov_b32 v0, v31 :: v_dual_mul_f32 v28, v31, v24
	s_delay_alu instid0(VALU_DEP_2) | instskip(NEXT) | instid1(VALU_DEP_1)
	v_dual_mov_b32 v3, v1 :: v_dual_mov_b32 v1, v30
	v_pk_add_f32 v[216:217], v[216:217], v[2:3] neg_lo:[0,1] neg_hi:[0,1]
	v_mul_f32_e32 v2, v31, v27
	s_delay_alu instid0(VALU_DEP_3) | instskip(NEXT) | instid1(VALU_DEP_2)
	v_pk_fma_f32 v[0:1], v[0:1], v[150:151], v[28:29] op_sel_hi:[1,1,0]
	v_pk_fma_f32 v[2:3], v[30:31], v[150:151], v[2:3] op_sel_hi:[1,1,0] neg_lo:[0,0,1] neg_hi:[0,0,1]
	ds_load_2addr_b64 v[28:31], v6 offset0:46 offset1:47
	v_mov_b32_e32 v3, v1
	s_delay_alu instid0(VALU_DEP_1) | instskip(SKIP_2) | instid1(VALU_DEP_1)
	v_pk_add_f32 v[218:219], v[218:219], v[2:3] neg_lo:[0,1] neg_hi:[0,1]
	s_wait_dscnt 0x0
	v_pk_mul_f32 v[0:1], v[28:29], v[26:27] op_sel:[0,1]
	v_pk_fma_f32 v[2:3], v[28:29], v[24:25], v[0:1] op_sel:[0,0,1] op_sel_hi:[1,1,0] neg_lo:[0,0,1] neg_hi:[0,0,1]
	v_pk_fma_f32 v[0:1], v[28:29], v[24:25], v[0:1] op_sel:[0,0,1] op_sel_hi:[1,0,0]
	s_delay_alu instid0(VALU_DEP_1) | instskip(SKIP_1) | instid1(VALU_DEP_2)
	v_mov_b32_e32 v3, v1
	v_pk_mul_f32 v[0:1], v[30:31], v[26:27] op_sel:[0,1]
	v_pk_add_f32 v[220:221], v[220:221], v[2:3] neg_lo:[0,1] neg_hi:[0,1]
	s_delay_alu instid0(VALU_DEP_2) | instskip(SKIP_3) | instid1(VALU_DEP_1)
	v_pk_fma_f32 v[2:3], v[30:31], v[24:25], v[0:1] op_sel:[0,0,1] op_sel_hi:[1,1,0] neg_lo:[0,0,1] neg_hi:[0,0,1]
	v_pk_fma_f32 v[0:1], v[30:31], v[24:25], v[0:1] op_sel:[0,0,1] op_sel_hi:[1,0,0]
	ds_load_2addr_b64 v[28:31], v6 offset0:48 offset1:49
	v_mov_b32_e32 v3, v1
	v_pk_add_f32 v[222:223], v[222:223], v[2:3] neg_lo:[0,1] neg_hi:[0,1]
	s_wait_dscnt 0x0
	v_pk_mul_f32 v[0:1], v[28:29], v[26:27] op_sel:[0,1]
	s_delay_alu instid0(VALU_DEP_1) | instskip(SKIP_1) | instid1(VALU_DEP_1)
	v_pk_fma_f32 v[2:3], v[28:29], v[24:25], v[0:1] op_sel:[0,0,1] op_sel_hi:[1,1,0] neg_lo:[0,0,1] neg_hi:[0,0,1]
	v_pk_fma_f32 v[0:1], v[28:29], v[24:25], v[0:1] op_sel:[0,0,1] op_sel_hi:[1,0,0]
	v_mov_b32_e32 v3, v1
	v_pk_mul_f32 v[0:1], v[30:31], v[26:27] op_sel:[0,1]
	s_delay_alu instid0(VALU_DEP_2) | instskip(NEXT) | instid1(VALU_DEP_2)
	v_pk_add_f32 v[224:225], v[224:225], v[2:3] neg_lo:[0,1] neg_hi:[0,1]
	v_pk_fma_f32 v[2:3], v[30:31], v[24:25], v[0:1] op_sel:[0,0,1] op_sel_hi:[1,1,0] neg_lo:[0,0,1] neg_hi:[0,0,1]
	v_pk_fma_f32 v[0:1], v[30:31], v[24:25], v[0:1] op_sel:[0,0,1] op_sel_hi:[1,0,0]
	ds_load_2addr_b64 v[28:31], v6 offset0:50 offset1:51
	v_mov_b32_e32 v3, v1
	s_delay_alu instid0(VALU_DEP_1) | instskip(SKIP_2) | instid1(VALU_DEP_1)
	v_pk_add_f32 v[226:227], v[226:227], v[2:3] neg_lo:[0,1] neg_hi:[0,1]
	s_wait_dscnt 0x0
	v_dual_mul_f32 v2, v29, v24 :: v_dual_mul_f32 v0, v29, v27
	v_pk_fma_f32 v[2:3], v[28:29], v[150:151], v[2:3] op_sel:[1,0,0] op_sel_hi:[0,1,0]
	s_delay_alu instid0(VALU_DEP_2) | instskip(NEXT) | instid1(VALU_DEP_2)
	v_pk_fma_f32 v[0:1], v[28:29], v[150:151], v[0:1] op_sel_hi:[1,1,0] neg_lo:[0,0,1] neg_hi:[0,0,1]
	v_mov_b32_e32 v1, v3
	s_delay_alu instid0(VALU_DEP_1) | instskip(SKIP_1) | instid1(VALU_DEP_1)
	v_pk_add_f32 v[228:229], v[228:229], v[0:1] neg_lo:[0,1] neg_hi:[0,1]
	v_pk_mul_f32 v[0:1], v[30:31], v[26:27] op_sel:[0,1]
	v_pk_fma_f32 v[2:3], v[30:31], v[24:25], v[0:1] op_sel:[0,0,1] op_sel_hi:[1,1,0] neg_lo:[0,0,1] neg_hi:[0,0,1]
	v_pk_fma_f32 v[0:1], v[30:31], v[24:25], v[0:1] op_sel:[0,0,1] op_sel_hi:[1,0,0]
	ds_load_2addr_b64 v[28:31], v6 offset0:52 offset1:53
	v_mov_b32_e32 v3, v1
	s_delay_alu instid0(VALU_DEP_1) | instskip(SKIP_2) | instid1(VALU_DEP_1)
	v_pk_add_f32 v[230:231], v[230:231], v[2:3] neg_lo:[0,1] neg_hi:[0,1]
	s_wait_dscnt 0x0
	v_pk_mul_f32 v[0:1], v[28:29], v[26:27] op_sel:[0,1]
	v_pk_fma_f32 v[2:3], v[28:29], v[24:25], v[0:1] op_sel:[0,0,1] op_sel_hi:[1,1,0] neg_lo:[0,0,1] neg_hi:[0,0,1]
	v_pk_fma_f32 v[0:1], v[28:29], v[24:25], v[0:1] op_sel:[0,0,1] op_sel_hi:[1,0,0]
	s_delay_alu instid0(VALU_DEP_1) | instskip(SKIP_1) | instid1(VALU_DEP_2)
	v_mov_b32_e32 v3, v1
	v_pk_mul_f32 v[0:1], v[30:31], v[26:27] op_sel:[0,1]
	v_pk_add_f32 v[232:233], v[232:233], v[2:3] neg_lo:[0,1] neg_hi:[0,1]
	s_delay_alu instid0(VALU_DEP_2) | instskip(SKIP_3) | instid1(VALU_DEP_1)
	v_pk_fma_f32 v[2:3], v[30:31], v[24:25], v[0:1] op_sel:[0,0,1] op_sel_hi:[1,1,0] neg_lo:[0,0,1] neg_hi:[0,0,1]
	v_pk_fma_f32 v[0:1], v[30:31], v[24:25], v[0:1] op_sel:[0,0,1] op_sel_hi:[1,0,0]
	ds_load_2addr_b64 v[28:31], v6 offset0:54 offset1:55
	v_mov_b32_e32 v3, v1
	v_pk_add_f32 v[234:235], v[234:235], v[2:3] neg_lo:[0,1] neg_hi:[0,1]
	s_wait_dscnt 0x0
	v_pk_mul_f32 v[0:1], v[28:29], v[26:27] op_sel:[0,1]
	s_delay_alu instid0(VALU_DEP_1) | instskip(SKIP_2) | instid1(VALU_DEP_2)
	v_pk_fma_f32 v[2:3], v[28:29], v[24:25], v[0:1] op_sel:[0,0,1] op_sel_hi:[1,1,0] neg_lo:[0,0,1] neg_hi:[0,0,1]
	v_pk_fma_f32 v[0:1], v[28:29], v[24:25], v[0:1] op_sel:[0,0,1] op_sel_hi:[1,0,0]
	v_dual_mov_b32 v0, v31 :: v_dual_mul_f32 v28, v31, v24
	v_dual_mov_b32 v3, v1 :: v_dual_mov_b32 v1, v30
	s_delay_alu instid0(VALU_DEP_1) | instskip(SKIP_1) | instid1(VALU_DEP_3)
	v_pk_add_f32 v[236:237], v[236:237], v[2:3] neg_lo:[0,1] neg_hi:[0,1]
	v_mul_f32_e32 v2, v31, v27
	v_pk_fma_f32 v[0:1], v[0:1], v[150:151], v[28:29] op_sel_hi:[1,1,0]
	s_delay_alu instid0(VALU_DEP_2) | instskip(SKIP_2) | instid1(VALU_DEP_1)
	v_pk_fma_f32 v[2:3], v[30:31], v[150:151], v[2:3] op_sel_hi:[1,1,0] neg_lo:[0,0,1] neg_hi:[0,0,1]
	ds_load_2addr_b64 v[28:31], v6 offset0:56 offset1:57
	v_mov_b32_e32 v3, v1
	v_pk_add_f32 v[238:239], v[238:239], v[2:3] neg_lo:[0,1] neg_hi:[0,1]
	s_wait_dscnt 0x0
	v_pk_mul_f32 v[0:1], v[28:29], v[26:27] op_sel:[0,1]
	s_delay_alu instid0(VALU_DEP_1) | instskip(SKIP_1) | instid1(VALU_DEP_1)
	v_pk_fma_f32 v[2:3], v[28:29], v[24:25], v[0:1] op_sel:[0,0,1] op_sel_hi:[1,1,0] neg_lo:[0,0,1] neg_hi:[0,0,1]
	v_pk_fma_f32 v[0:1], v[28:29], v[24:25], v[0:1] op_sel:[0,0,1] op_sel_hi:[1,0,0]
	v_mov_b32_e32 v3, v1
	v_pk_mul_f32 v[0:1], v[30:31], v[26:27] op_sel:[0,1]
	s_delay_alu instid0(VALU_DEP_2) | instskip(NEXT) | instid1(VALU_DEP_2)
	v_pk_add_f32 v[248:249], v[248:249], v[2:3] neg_lo:[0,1] neg_hi:[0,1]
	v_pk_fma_f32 v[2:3], v[30:31], v[24:25], v[0:1] op_sel:[0,0,1] op_sel_hi:[1,1,0] neg_lo:[0,0,1] neg_hi:[0,0,1]
	v_pk_fma_f32 v[0:1], v[30:31], v[24:25], v[0:1] op_sel:[0,0,1] op_sel_hi:[1,0,0]
	ds_load_2addr_b64 v[28:31], v6 offset0:58 offset1:59
	v_mov_b32_e32 v3, v1
	s_delay_alu instid0(VALU_DEP_1) | instskip(SKIP_2) | instid1(VALU_DEP_1)
	v_pk_add_f32 v[242:243], v[242:243], v[2:3] neg_lo:[0,1] neg_hi:[0,1]
	s_wait_dscnt 0x0
	v_pk_mul_f32 v[0:1], v[28:29], v[26:27] op_sel:[0,1]
	v_pk_fma_f32 v[2:3], v[28:29], v[24:25], v[0:1] op_sel:[0,0,1] op_sel_hi:[1,1,0] neg_lo:[0,0,1] neg_hi:[0,0,1]
	v_pk_fma_f32 v[0:1], v[28:29], v[24:25], v[0:1] op_sel:[0,0,1] op_sel_hi:[1,0,0]
	s_delay_alu instid0(VALU_DEP_1) | instskip(SKIP_1) | instid1(VALU_DEP_2)
	v_mov_b32_e32 v3, v1
	v_pk_mul_f32 v[0:1], v[30:31], v[26:27] op_sel:[0,1]
	v_pk_add_f32 v[246:247], v[246:247], v[2:3] neg_lo:[0,1] neg_hi:[0,1]
	s_delay_alu instid0(VALU_DEP_2) | instskip(SKIP_3) | instid1(VALU_DEP_1)
	v_pk_fma_f32 v[2:3], v[30:31], v[24:25], v[0:1] op_sel:[0,0,1] op_sel_hi:[1,1,0] neg_lo:[0,0,1] neg_hi:[0,0,1]
	v_pk_fma_f32 v[0:1], v[30:31], v[24:25], v[0:1] op_sel:[0,0,1] op_sel_hi:[1,0,0]
	ds_load_2addr_b64 v[28:31], v6 offset0:60 offset1:61
	v_mov_b32_e32 v3, v1
	v_pk_add_f32 v[240:241], v[240:241], v[2:3] neg_lo:[0,1] neg_hi:[0,1]
	s_wait_dscnt 0x0
	v_dual_mul_f32 v0, v29, v27 :: v_dual_mul_f32 v2, v29, v24
	s_delay_alu instid0(VALU_DEP_1) | instskip(NEXT) | instid1(VALU_DEP_2)
	v_pk_fma_f32 v[0:1], v[28:29], v[150:151], v[0:1] op_sel_hi:[1,1,0] neg_lo:[0,0,1] neg_hi:[0,0,1]
	v_pk_fma_f32 v[2:3], v[28:29], v[150:151], v[2:3] op_sel:[1,0,0] op_sel_hi:[0,1,0]
	s_delay_alu instid0(VALU_DEP_1) | instskip(NEXT) | instid1(VALU_DEP_1)
	v_mov_b32_e32 v1, v3
	v_pk_add_f32 v[244:245], v[244:245], v[0:1] neg_lo:[0,1] neg_hi:[0,1]
	v_pk_mul_f32 v[0:1], v[30:31], v[26:27] op_sel:[0,1]
	s_delay_alu instid0(VALU_DEP_1) | instskip(SKIP_1) | instid1(VALU_DEP_1)
	v_pk_fma_f32 v[2:3], v[30:31], v[24:25], v[0:1] op_sel:[0,0,1] op_sel_hi:[1,1,0] neg_lo:[0,0,1] neg_hi:[0,0,1]
	v_pk_fma_f32 v[0:1], v[30:31], v[24:25], v[0:1] op_sel:[0,0,1] op_sel_hi:[1,0,0]
	v_mov_b32_e32 v3, v1
	ds_load_b64 v[0:1], v6 offset:496
	v_pk_add_f32 v[250:251], v[250:251], v[2:3] neg_lo:[0,1] neg_hi:[0,1]
	s_wait_dscnt 0x0
	v_pk_mul_f32 v[2:3], v[0:1], v[26:27] op_sel:[0,1]
	s_delay_alu instid0(VALU_DEP_1) | instskip(SKIP_1) | instid1(VALU_DEP_1)
	v_pk_fma_f32 v[26:27], v[0:1], v[24:25], v[2:3] op_sel:[0,0,1] op_sel_hi:[1,1,0] neg_lo:[0,0,1] neg_hi:[0,0,1]
	v_pk_fma_f32 v[0:1], v[0:1], v[24:25], v[2:3] op_sel:[0,0,1] op_sel_hi:[1,0,0]
	v_mov_b32_e32 v27, v1
	s_delay_alu instid0(VALU_DEP_1)
	v_pk_add_f32 v[252:253], v[252:253], v[26:27] neg_lo:[0,1] neg_hi:[0,1]
.LBB125_109:
	s_or_b32 exec_lo, exec_lo, s1
	s_delay_alu instid0(SALU_CYCLE_1)
	s_mov_b32 s2, exec_lo
	s_wait_dscnt 0x0
	s_barrier_signal -1
	s_barrier_wait -1
	v_cmpx_eq_u32_e32 12, v254
	s_cbranch_execz .LBB125_116
; %bb.110:
	ds_store_b64 v255, v[152:153]
	ds_store_2addr_b64 v6, v[154:155], v[156:157] offset0:13 offset1:14
	ds_store_2addr_b64 v6, v[158:159], v[160:161] offset0:15 offset1:16
	;; [unrolled: 1-line block ×25, first 2 shown]
	ds_load_b64 v[24:25], v255
	s_wait_dscnt 0x0
	v_cmp_neq_f32_e32 vcc_lo, 0, v24
	v_cmp_neq_f32_e64 s1, 0, v25
	s_or_b32 s1, vcc_lo, s1
	s_delay_alu instid0(SALU_CYCLE_1)
	s_and_b32 exec_lo, exec_lo, s1
	s_cbranch_execz .LBB125_116
; %bb.111:
	v_cmp_ngt_f32_e64 s1, |v24|, |v25|
                                        ; implicit-def: $vgpr26_vgpr27
	s_and_saveexec_b32 s4, s1
	s_delay_alu instid0(SALU_CYCLE_1)
	s_xor_b32 s1, exec_lo, s4
	s_cbranch_execz .LBB125_113
; %bb.112:
	v_div_scale_f32 v0, null, v25, v25, v24
	v_div_scale_f32 v3, vcc_lo, v24, v25, v24
	s_delay_alu instid0(VALU_DEP_2) | instskip(SKIP_1) | instid1(TRANS32_DEP_1)
	v_rcp_f32_e32 v1, v0
	v_nop
	v_fma_f32 v2, -v0, v1, 1.0
	s_delay_alu instid0(VALU_DEP_1) | instskip(NEXT) | instid1(VALU_DEP_1)
	v_fmac_f32_e32 v1, v2, v1
	v_mul_f32_e32 v2, v3, v1
	s_delay_alu instid0(VALU_DEP_1) | instskip(NEXT) | instid1(VALU_DEP_1)
	v_fma_f32 v4, -v0, v2, v3
	v_fmac_f32_e32 v2, v4, v1
	s_delay_alu instid0(VALU_DEP_1) | instskip(NEXT) | instid1(VALU_DEP_1)
	v_fma_f32 v0, -v0, v2, v3
	v_div_fmas_f32 v0, v0, v1, v2
	s_delay_alu instid0(VALU_DEP_1) | instskip(NEXT) | instid1(VALU_DEP_1)
	v_div_fixup_f32 v0, v0, v25, v24
	v_fmac_f32_e32 v25, v24, v0
	s_delay_alu instid0(VALU_DEP_1) | instskip(SKIP_1) | instid1(VALU_DEP_2)
	v_div_scale_f32 v1, null, v25, v25, 1.0
	v_div_scale_f32 v4, vcc_lo, 1.0, v25, 1.0
	v_rcp_f32_e32 v2, v1
	v_nop
	s_delay_alu instid0(TRANS32_DEP_1) | instskip(NEXT) | instid1(VALU_DEP_1)
	v_fma_f32 v3, -v1, v2, 1.0
	v_fmac_f32_e32 v2, v3, v2
	s_delay_alu instid0(VALU_DEP_1) | instskip(NEXT) | instid1(VALU_DEP_1)
	v_mul_f32_e32 v3, v4, v2
	v_fma_f32 v5, -v1, v3, v4
	s_delay_alu instid0(VALU_DEP_1) | instskip(NEXT) | instid1(VALU_DEP_1)
	v_fmac_f32_e32 v3, v5, v2
	v_fma_f32 v1, -v1, v3, v4
	s_delay_alu instid0(VALU_DEP_1) | instskip(NEXT) | instid1(VALU_DEP_1)
	v_div_fmas_f32 v1, v1, v2, v3
	v_div_fixup_f32 v1, v1, v25, 1.0
                                        ; implicit-def: $vgpr24_vgpr25
	s_delay_alu instid0(VALU_DEP_1)
	v_mul_f32_e32 v26, v0, v1
	v_xor_b32_e32 v27, 0x80000000, v1
.LBB125_113:
	s_and_not1_saveexec_b32 s1, s1
	s_cbranch_execz .LBB125_115
; %bb.114:
	v_div_scale_f32 v0, null, v24, v24, v25
	v_div_scale_f32 v3, vcc_lo, v25, v24, v25
	s_delay_alu instid0(VALU_DEP_2) | instskip(SKIP_1) | instid1(TRANS32_DEP_1)
	v_rcp_f32_e32 v1, v0
	v_nop
	v_fma_f32 v2, -v0, v1, 1.0
	s_delay_alu instid0(VALU_DEP_1) | instskip(NEXT) | instid1(VALU_DEP_1)
	v_fmac_f32_e32 v1, v2, v1
	v_mul_f32_e32 v2, v3, v1
	s_delay_alu instid0(VALU_DEP_1) | instskip(NEXT) | instid1(VALU_DEP_1)
	v_fma_f32 v4, -v0, v2, v3
	v_fmac_f32_e32 v2, v4, v1
	s_delay_alu instid0(VALU_DEP_1) | instskip(NEXT) | instid1(VALU_DEP_1)
	v_fma_f32 v0, -v0, v2, v3
	v_div_fmas_f32 v0, v0, v1, v2
	s_delay_alu instid0(VALU_DEP_1) | instskip(NEXT) | instid1(VALU_DEP_1)
	v_div_fixup_f32 v0, v0, v24, v25
	v_fmac_f32_e32 v24, v25, v0
	s_delay_alu instid0(VALU_DEP_1) | instskip(NEXT) | instid1(VALU_DEP_1)
	v_div_scale_f32 v1, null, v24, v24, 1.0
	v_rcp_f32_e32 v2, v1
	v_nop
	s_delay_alu instid0(TRANS32_DEP_1) | instskip(NEXT) | instid1(VALU_DEP_1)
	v_fma_f32 v3, -v1, v2, 1.0
	v_fmac_f32_e32 v2, v3, v2
	v_div_scale_f32 v3, vcc_lo, 1.0, v24, 1.0
	s_delay_alu instid0(VALU_DEP_1) | instskip(NEXT) | instid1(VALU_DEP_1)
	v_mul_f32_e32 v4, v3, v2
	v_fma_f32 v5, -v1, v4, v3
	s_delay_alu instid0(VALU_DEP_1) | instskip(NEXT) | instid1(VALU_DEP_1)
	v_fmac_f32_e32 v4, v5, v2
	v_fma_f32 v1, -v1, v4, v3
	s_delay_alu instid0(VALU_DEP_1) | instskip(NEXT) | instid1(VALU_DEP_1)
	v_div_fmas_f32 v1, v1, v2, v4
	v_div_fixup_f32 v26, v1, v24, 1.0
	s_delay_alu instid0(VALU_DEP_1)
	v_mul_f32_e64 v27, v0, -v26
.LBB125_115:
	s_or_b32 exec_lo, exec_lo, s1
	ds_store_b64 v255, v[26:27]
.LBB125_116:
	s_or_b32 exec_lo, exec_lo, s2
	s_wait_dscnt 0x0
	s_barrier_signal -1
	s_barrier_wait -1
	ds_load_b64 v[24:25], v255
	s_mov_b32 s1, exec_lo
	v_cmpx_lt_u32_e32 12, v254
	s_cbranch_execz .LBB125_118
; %bb.117:
	ds_load_2addr_b64 v[30:33], v6 offset0:13 offset1:14
	s_wait_dscnt 0x1
	v_pk_mul_f32 v[0:1], v[24:25], v[152:153] op_sel:[1,1] op_sel_hi:[0,1]
	s_delay_alu instid0(VALU_DEP_1) | instskip(SKIP_1) | instid1(VALU_DEP_1)
	v_pk_fma_f32 v[28:29], v[24:25], v[152:153], v[0:1] op_sel_hi:[1,0,1]
	v_pk_fma_f32 v[26:27], v[24:25], v[152:153], v[0:1] op_sel_hi:[1,0,1] neg_lo:[0,0,1] neg_hi:[0,0,1]
	v_dual_mov_b32 v153, v29 :: v_dual_mov_b32 v152, v26
	s_wait_dscnt 0x0
	s_delay_alu instid0(VALU_DEP_3) | instskip(NEXT) | instid1(VALU_DEP_1)
	v_pk_mul_f32 v[0:1], v[30:31], v[28:29] op_sel:[0,1]
	v_pk_fma_f32 v[2:3], v[30:31], v[26:27], v[0:1] op_sel:[0,0,1] op_sel_hi:[1,1,0] neg_lo:[0,0,1] neg_hi:[0,0,1]
	v_pk_fma_f32 v[0:1], v[30:31], v[26:27], v[0:1] op_sel:[0,0,1] op_sel_hi:[1,0,0]
	s_delay_alu instid0(VALU_DEP_1) | instskip(SKIP_1) | instid1(VALU_DEP_2)
	v_mov_b32_e32 v3, v1
	v_pk_mul_f32 v[0:1], v[32:33], v[28:29] op_sel:[0,1]
	v_pk_add_f32 v[154:155], v[154:155], v[2:3] neg_lo:[0,1] neg_hi:[0,1]
	s_delay_alu instid0(VALU_DEP_2) | instskip(SKIP_3) | instid1(VALU_DEP_1)
	v_pk_fma_f32 v[2:3], v[32:33], v[26:27], v[0:1] op_sel:[0,0,1] op_sel_hi:[1,1,0] neg_lo:[0,0,1] neg_hi:[0,0,1]
	v_pk_fma_f32 v[0:1], v[32:33], v[26:27], v[0:1] op_sel:[0,0,1] op_sel_hi:[1,0,0]
	ds_load_2addr_b64 v[30:33], v6 offset0:15 offset1:16
	v_mov_b32_e32 v3, v1
	v_pk_add_f32 v[156:157], v[156:157], v[2:3] neg_lo:[0,1] neg_hi:[0,1]
	s_wait_dscnt 0x0
	v_pk_mul_f32 v[0:1], v[30:31], v[28:29] op_sel:[0,1]
	s_delay_alu instid0(VALU_DEP_1) | instskip(SKIP_2) | instid1(VALU_DEP_2)
	v_pk_fma_f32 v[2:3], v[30:31], v[26:27], v[0:1] op_sel:[0,0,1] op_sel_hi:[1,1,0] neg_lo:[0,0,1] neg_hi:[0,0,1]
	v_pk_fma_f32 v[0:1], v[30:31], v[26:27], v[0:1] op_sel:[0,0,1] op_sel_hi:[1,0,0]
	v_dual_mov_b32 v0, v33 :: v_dual_mul_f32 v30, v33, v26
	v_dual_mov_b32 v3, v1 :: v_dual_mov_b32 v1, v32
	s_delay_alu instid0(VALU_DEP_1) | instskip(SKIP_1) | instid1(VALU_DEP_3)
	v_pk_add_f32 v[158:159], v[158:159], v[2:3] neg_lo:[0,1] neg_hi:[0,1]
	v_mul_f32_e32 v2, v33, v29
	v_pk_fma_f32 v[0:1], v[0:1], v[152:153], v[30:31] op_sel_hi:[1,1,0]
	s_delay_alu instid0(VALU_DEP_2) | instskip(SKIP_2) | instid1(VALU_DEP_1)
	v_pk_fma_f32 v[2:3], v[32:33], v[152:153], v[2:3] op_sel_hi:[1,1,0] neg_lo:[0,0,1] neg_hi:[0,0,1]
	ds_load_2addr_b64 v[30:33], v6 offset0:17 offset1:18
	v_mov_b32_e32 v3, v1
	v_pk_add_f32 v[160:161], v[160:161], v[2:3] neg_lo:[0,1] neg_hi:[0,1]
	s_wait_dscnt 0x0
	v_pk_mul_f32 v[0:1], v[30:31], v[28:29] op_sel:[0,1]
	s_delay_alu instid0(VALU_DEP_1) | instskip(SKIP_1) | instid1(VALU_DEP_1)
	v_pk_fma_f32 v[2:3], v[30:31], v[26:27], v[0:1] op_sel:[0,0,1] op_sel_hi:[1,1,0] neg_lo:[0,0,1] neg_hi:[0,0,1]
	v_pk_fma_f32 v[0:1], v[30:31], v[26:27], v[0:1] op_sel:[0,0,1] op_sel_hi:[1,0,0]
	v_mov_b32_e32 v3, v1
	v_pk_mul_f32 v[0:1], v[32:33], v[28:29] op_sel:[0,1]
	s_delay_alu instid0(VALU_DEP_2) | instskip(NEXT) | instid1(VALU_DEP_2)
	v_pk_add_f32 v[162:163], v[162:163], v[2:3] neg_lo:[0,1] neg_hi:[0,1]
	v_pk_fma_f32 v[2:3], v[32:33], v[26:27], v[0:1] op_sel:[0,0,1] op_sel_hi:[1,1,0] neg_lo:[0,0,1] neg_hi:[0,0,1]
	v_pk_fma_f32 v[0:1], v[32:33], v[26:27], v[0:1] op_sel:[0,0,1] op_sel_hi:[1,0,0]
	ds_load_2addr_b64 v[30:33], v6 offset0:19 offset1:20
	v_mov_b32_e32 v3, v1
	s_delay_alu instid0(VALU_DEP_1) | instskip(SKIP_2) | instid1(VALU_DEP_1)
	v_pk_add_f32 v[164:165], v[164:165], v[2:3] neg_lo:[0,1] neg_hi:[0,1]
	s_wait_dscnt 0x0
	v_pk_mul_f32 v[0:1], v[30:31], v[28:29] op_sel:[0,1]
	v_pk_fma_f32 v[2:3], v[30:31], v[26:27], v[0:1] op_sel:[0,0,1] op_sel_hi:[1,1,0] neg_lo:[0,0,1] neg_hi:[0,0,1]
	v_pk_fma_f32 v[0:1], v[30:31], v[26:27], v[0:1] op_sel:[0,0,1] op_sel_hi:[1,0,0]
	s_delay_alu instid0(VALU_DEP_1) | instskip(SKIP_1) | instid1(VALU_DEP_2)
	v_mov_b32_e32 v3, v1
	v_pk_mul_f32 v[0:1], v[32:33], v[28:29] op_sel:[0,1]
	v_pk_add_f32 v[166:167], v[166:167], v[2:3] neg_lo:[0,1] neg_hi:[0,1]
	s_delay_alu instid0(VALU_DEP_2) | instskip(SKIP_3) | instid1(VALU_DEP_1)
	v_pk_fma_f32 v[2:3], v[32:33], v[26:27], v[0:1] op_sel:[0,0,1] op_sel_hi:[1,1,0] neg_lo:[0,0,1] neg_hi:[0,0,1]
	v_pk_fma_f32 v[0:1], v[32:33], v[26:27], v[0:1] op_sel:[0,0,1] op_sel_hi:[1,0,0]
	ds_load_2addr_b64 v[30:33], v6 offset0:21 offset1:22
	v_mov_b32_e32 v3, v1
	v_pk_add_f32 v[168:169], v[168:169], v[2:3] neg_lo:[0,1] neg_hi:[0,1]
	s_wait_dscnt 0x0
	v_dual_mul_f32 v2, v31, v26 :: v_dual_mul_f32 v0, v31, v29
	s_delay_alu instid0(VALU_DEP_1) | instskip(NEXT) | instid1(VALU_DEP_2)
	v_pk_fma_f32 v[2:3], v[30:31], v[152:153], v[2:3] op_sel:[1,0,0] op_sel_hi:[0,1,0]
	v_pk_fma_f32 v[0:1], v[30:31], v[152:153], v[0:1] op_sel_hi:[1,1,0] neg_lo:[0,0,1] neg_hi:[0,0,1]
	s_delay_alu instid0(VALU_DEP_2) | instskip(NEXT) | instid1(VALU_DEP_1)
	v_mov_b32_e32 v1, v3
	v_pk_add_f32 v[170:171], v[170:171], v[0:1] neg_lo:[0,1] neg_hi:[0,1]
	v_pk_mul_f32 v[0:1], v[32:33], v[28:29] op_sel:[0,1]
	s_delay_alu instid0(VALU_DEP_1) | instskip(SKIP_3) | instid1(VALU_DEP_1)
	v_pk_fma_f32 v[2:3], v[32:33], v[26:27], v[0:1] op_sel:[0,0,1] op_sel_hi:[1,1,0] neg_lo:[0,0,1] neg_hi:[0,0,1]
	v_pk_fma_f32 v[0:1], v[32:33], v[26:27], v[0:1] op_sel:[0,0,1] op_sel_hi:[1,0,0]
	ds_load_2addr_b64 v[30:33], v6 offset0:23 offset1:24
	v_mov_b32_e32 v3, v1
	v_pk_add_f32 v[172:173], v[172:173], v[2:3] neg_lo:[0,1] neg_hi:[0,1]
	s_wait_dscnt 0x0
	v_pk_mul_f32 v[0:1], v[30:31], v[28:29] op_sel:[0,1]
	s_delay_alu instid0(VALU_DEP_1) | instskip(SKIP_1) | instid1(VALU_DEP_1)
	v_pk_fma_f32 v[2:3], v[30:31], v[26:27], v[0:1] op_sel:[0,0,1] op_sel_hi:[1,1,0] neg_lo:[0,0,1] neg_hi:[0,0,1]
	v_pk_fma_f32 v[0:1], v[30:31], v[26:27], v[0:1] op_sel:[0,0,1] op_sel_hi:[1,0,0]
	v_mov_b32_e32 v3, v1
	v_pk_mul_f32 v[0:1], v[32:33], v[28:29] op_sel:[0,1]
	s_delay_alu instid0(VALU_DEP_2) | instskip(NEXT) | instid1(VALU_DEP_2)
	v_pk_add_f32 v[174:175], v[174:175], v[2:3] neg_lo:[0,1] neg_hi:[0,1]
	v_pk_fma_f32 v[2:3], v[32:33], v[26:27], v[0:1] op_sel:[0,0,1] op_sel_hi:[1,1,0] neg_lo:[0,0,1] neg_hi:[0,0,1]
	v_pk_fma_f32 v[0:1], v[32:33], v[26:27], v[0:1] op_sel:[0,0,1] op_sel_hi:[1,0,0]
	ds_load_2addr_b64 v[30:33], v6 offset0:25 offset1:26
	v_mov_b32_e32 v3, v1
	s_delay_alu instid0(VALU_DEP_1) | instskip(SKIP_2) | instid1(VALU_DEP_1)
	v_pk_add_f32 v[176:177], v[176:177], v[2:3] neg_lo:[0,1] neg_hi:[0,1]
	s_wait_dscnt 0x0
	v_pk_mul_f32 v[0:1], v[30:31], v[28:29] op_sel:[0,1]
	v_pk_fma_f32 v[2:3], v[30:31], v[26:27], v[0:1] op_sel:[0,0,1] op_sel_hi:[1,1,0] neg_lo:[0,0,1] neg_hi:[0,0,1]
	v_pk_fma_f32 v[0:1], v[30:31], v[26:27], v[0:1] op_sel:[0,0,1] op_sel_hi:[1,0,0]
	v_dual_mov_b32 v0, v33 :: v_dual_mul_f32 v30, v33, v26
	s_delay_alu instid0(VALU_DEP_2) | instskip(NEXT) | instid1(VALU_DEP_1)
	v_dual_mov_b32 v3, v1 :: v_dual_mov_b32 v1, v32
	v_pk_add_f32 v[178:179], v[178:179], v[2:3] neg_lo:[0,1] neg_hi:[0,1]
	v_mul_f32_e32 v2, v33, v29
	s_delay_alu instid0(VALU_DEP_3) | instskip(NEXT) | instid1(VALU_DEP_2)
	v_pk_fma_f32 v[0:1], v[0:1], v[152:153], v[30:31] op_sel_hi:[1,1,0]
	v_pk_fma_f32 v[2:3], v[32:33], v[152:153], v[2:3] op_sel_hi:[1,1,0] neg_lo:[0,0,1] neg_hi:[0,0,1]
	ds_load_2addr_b64 v[30:33], v6 offset0:27 offset1:28
	v_mov_b32_e32 v3, v1
	s_delay_alu instid0(VALU_DEP_1) | instskip(SKIP_2) | instid1(VALU_DEP_1)
	v_pk_add_f32 v[180:181], v[180:181], v[2:3] neg_lo:[0,1] neg_hi:[0,1]
	s_wait_dscnt 0x0
	v_pk_mul_f32 v[0:1], v[30:31], v[28:29] op_sel:[0,1]
	v_pk_fma_f32 v[2:3], v[30:31], v[26:27], v[0:1] op_sel:[0,0,1] op_sel_hi:[1,1,0] neg_lo:[0,0,1] neg_hi:[0,0,1]
	v_pk_fma_f32 v[0:1], v[30:31], v[26:27], v[0:1] op_sel:[0,0,1] op_sel_hi:[1,0,0]
	s_delay_alu instid0(VALU_DEP_1) | instskip(SKIP_1) | instid1(VALU_DEP_2)
	v_mov_b32_e32 v3, v1
	v_pk_mul_f32 v[0:1], v[32:33], v[28:29] op_sel:[0,1]
	v_pk_add_f32 v[182:183], v[182:183], v[2:3] neg_lo:[0,1] neg_hi:[0,1]
	s_delay_alu instid0(VALU_DEP_2) | instskip(SKIP_3) | instid1(VALU_DEP_1)
	v_pk_fma_f32 v[2:3], v[32:33], v[26:27], v[0:1] op_sel:[0,0,1] op_sel_hi:[1,1,0] neg_lo:[0,0,1] neg_hi:[0,0,1]
	v_pk_fma_f32 v[0:1], v[32:33], v[26:27], v[0:1] op_sel:[0,0,1] op_sel_hi:[1,0,0]
	ds_load_2addr_b64 v[30:33], v6 offset0:29 offset1:30
	v_mov_b32_e32 v3, v1
	v_pk_add_f32 v[184:185], v[184:185], v[2:3] neg_lo:[0,1] neg_hi:[0,1]
	s_wait_dscnt 0x0
	v_pk_mul_f32 v[0:1], v[30:31], v[28:29] op_sel:[0,1]
	s_delay_alu instid0(VALU_DEP_1) | instskip(SKIP_1) | instid1(VALU_DEP_1)
	v_pk_fma_f32 v[2:3], v[30:31], v[26:27], v[0:1] op_sel:[0,0,1] op_sel_hi:[1,1,0] neg_lo:[0,0,1] neg_hi:[0,0,1]
	v_pk_fma_f32 v[0:1], v[30:31], v[26:27], v[0:1] op_sel:[0,0,1] op_sel_hi:[1,0,0]
	v_mov_b32_e32 v3, v1
	v_pk_mul_f32 v[0:1], v[32:33], v[28:29] op_sel:[0,1]
	s_delay_alu instid0(VALU_DEP_2) | instskip(NEXT) | instid1(VALU_DEP_2)
	v_pk_add_f32 v[186:187], v[186:187], v[2:3] neg_lo:[0,1] neg_hi:[0,1]
	v_pk_fma_f32 v[2:3], v[32:33], v[26:27], v[0:1] op_sel:[0,0,1] op_sel_hi:[1,1,0] neg_lo:[0,0,1] neg_hi:[0,0,1]
	v_pk_fma_f32 v[0:1], v[32:33], v[26:27], v[0:1] op_sel:[0,0,1] op_sel_hi:[1,0,0]
	ds_load_2addr_b64 v[30:33], v6 offset0:31 offset1:32
	v_mov_b32_e32 v3, v1
	s_delay_alu instid0(VALU_DEP_1) | instskip(SKIP_2) | instid1(VALU_DEP_1)
	v_pk_add_f32 v[188:189], v[188:189], v[2:3] neg_lo:[0,1] neg_hi:[0,1]
	s_wait_dscnt 0x0
	v_dual_mul_f32 v2, v31, v26 :: v_dual_mul_f32 v0, v31, v29
	v_pk_fma_f32 v[2:3], v[30:31], v[152:153], v[2:3] op_sel:[1,0,0] op_sel_hi:[0,1,0]
	s_delay_alu instid0(VALU_DEP_2) | instskip(NEXT) | instid1(VALU_DEP_2)
	v_pk_fma_f32 v[0:1], v[30:31], v[152:153], v[0:1] op_sel_hi:[1,1,0] neg_lo:[0,0,1] neg_hi:[0,0,1]
	v_mov_b32_e32 v1, v3
	s_delay_alu instid0(VALU_DEP_1) | instskip(SKIP_1) | instid1(VALU_DEP_1)
	v_pk_add_f32 v[190:191], v[190:191], v[0:1] neg_lo:[0,1] neg_hi:[0,1]
	v_pk_mul_f32 v[0:1], v[32:33], v[28:29] op_sel:[0,1]
	v_pk_fma_f32 v[2:3], v[32:33], v[26:27], v[0:1] op_sel:[0,0,1] op_sel_hi:[1,1,0] neg_lo:[0,0,1] neg_hi:[0,0,1]
	v_pk_fma_f32 v[0:1], v[32:33], v[26:27], v[0:1] op_sel:[0,0,1] op_sel_hi:[1,0,0]
	ds_load_2addr_b64 v[30:33], v6 offset0:33 offset1:34
	v_mov_b32_e32 v3, v1
	s_delay_alu instid0(VALU_DEP_1) | instskip(SKIP_2) | instid1(VALU_DEP_1)
	v_pk_add_f32 v[192:193], v[192:193], v[2:3] neg_lo:[0,1] neg_hi:[0,1]
	s_wait_dscnt 0x0
	v_pk_mul_f32 v[0:1], v[30:31], v[28:29] op_sel:[0,1]
	v_pk_fma_f32 v[2:3], v[30:31], v[26:27], v[0:1] op_sel:[0,0,1] op_sel_hi:[1,1,0] neg_lo:[0,0,1] neg_hi:[0,0,1]
	v_pk_fma_f32 v[0:1], v[30:31], v[26:27], v[0:1] op_sel:[0,0,1] op_sel_hi:[1,0,0]
	s_delay_alu instid0(VALU_DEP_1) | instskip(SKIP_1) | instid1(VALU_DEP_2)
	v_mov_b32_e32 v3, v1
	v_pk_mul_f32 v[0:1], v[32:33], v[28:29] op_sel:[0,1]
	v_pk_add_f32 v[194:195], v[194:195], v[2:3] neg_lo:[0,1] neg_hi:[0,1]
	s_delay_alu instid0(VALU_DEP_2) | instskip(SKIP_3) | instid1(VALU_DEP_1)
	v_pk_fma_f32 v[2:3], v[32:33], v[26:27], v[0:1] op_sel:[0,0,1] op_sel_hi:[1,1,0] neg_lo:[0,0,1] neg_hi:[0,0,1]
	v_pk_fma_f32 v[0:1], v[32:33], v[26:27], v[0:1] op_sel:[0,0,1] op_sel_hi:[1,0,0]
	ds_load_2addr_b64 v[30:33], v6 offset0:35 offset1:36
	v_mov_b32_e32 v3, v1
	v_pk_add_f32 v[196:197], v[196:197], v[2:3] neg_lo:[0,1] neg_hi:[0,1]
	s_wait_dscnt 0x0
	v_pk_mul_f32 v[0:1], v[30:31], v[28:29] op_sel:[0,1]
	s_delay_alu instid0(VALU_DEP_1) | instskip(SKIP_2) | instid1(VALU_DEP_2)
	v_pk_fma_f32 v[2:3], v[30:31], v[26:27], v[0:1] op_sel:[0,0,1] op_sel_hi:[1,1,0] neg_lo:[0,0,1] neg_hi:[0,0,1]
	v_pk_fma_f32 v[0:1], v[30:31], v[26:27], v[0:1] op_sel:[0,0,1] op_sel_hi:[1,0,0]
	v_dual_mov_b32 v0, v33 :: v_dual_mul_f32 v30, v33, v26
	v_dual_mov_b32 v3, v1 :: v_dual_mov_b32 v1, v32
	s_delay_alu instid0(VALU_DEP_1) | instskip(SKIP_1) | instid1(VALU_DEP_3)
	v_pk_add_f32 v[198:199], v[198:199], v[2:3] neg_lo:[0,1] neg_hi:[0,1]
	v_mul_f32_e32 v2, v33, v29
	v_pk_fma_f32 v[0:1], v[0:1], v[152:153], v[30:31] op_sel_hi:[1,1,0]
	s_delay_alu instid0(VALU_DEP_2) | instskip(SKIP_2) | instid1(VALU_DEP_1)
	v_pk_fma_f32 v[2:3], v[32:33], v[152:153], v[2:3] op_sel_hi:[1,1,0] neg_lo:[0,0,1] neg_hi:[0,0,1]
	ds_load_2addr_b64 v[30:33], v6 offset0:37 offset1:38
	v_mov_b32_e32 v3, v1
	v_pk_add_f32 v[200:201], v[200:201], v[2:3] neg_lo:[0,1] neg_hi:[0,1]
	s_wait_dscnt 0x0
	v_pk_mul_f32 v[0:1], v[30:31], v[28:29] op_sel:[0,1]
	s_delay_alu instid0(VALU_DEP_1) | instskip(SKIP_1) | instid1(VALU_DEP_1)
	v_pk_fma_f32 v[2:3], v[30:31], v[26:27], v[0:1] op_sel:[0,0,1] op_sel_hi:[1,1,0] neg_lo:[0,0,1] neg_hi:[0,0,1]
	v_pk_fma_f32 v[0:1], v[30:31], v[26:27], v[0:1] op_sel:[0,0,1] op_sel_hi:[1,0,0]
	v_mov_b32_e32 v3, v1
	v_pk_mul_f32 v[0:1], v[32:33], v[28:29] op_sel:[0,1]
	s_delay_alu instid0(VALU_DEP_2) | instskip(NEXT) | instid1(VALU_DEP_2)
	v_pk_add_f32 v[202:203], v[202:203], v[2:3] neg_lo:[0,1] neg_hi:[0,1]
	v_pk_fma_f32 v[2:3], v[32:33], v[26:27], v[0:1] op_sel:[0,0,1] op_sel_hi:[1,1,0] neg_lo:[0,0,1] neg_hi:[0,0,1]
	v_pk_fma_f32 v[0:1], v[32:33], v[26:27], v[0:1] op_sel:[0,0,1] op_sel_hi:[1,0,0]
	ds_load_2addr_b64 v[30:33], v6 offset0:39 offset1:40
	v_mov_b32_e32 v3, v1
	s_delay_alu instid0(VALU_DEP_1) | instskip(SKIP_2) | instid1(VALU_DEP_1)
	v_pk_add_f32 v[204:205], v[204:205], v[2:3] neg_lo:[0,1] neg_hi:[0,1]
	s_wait_dscnt 0x0
	v_pk_mul_f32 v[0:1], v[30:31], v[28:29] op_sel:[0,1]
	v_pk_fma_f32 v[2:3], v[30:31], v[26:27], v[0:1] op_sel:[0,0,1] op_sel_hi:[1,1,0] neg_lo:[0,0,1] neg_hi:[0,0,1]
	v_pk_fma_f32 v[0:1], v[30:31], v[26:27], v[0:1] op_sel:[0,0,1] op_sel_hi:[1,0,0]
	s_delay_alu instid0(VALU_DEP_1) | instskip(SKIP_1) | instid1(VALU_DEP_2)
	v_mov_b32_e32 v3, v1
	v_pk_mul_f32 v[0:1], v[32:33], v[28:29] op_sel:[0,1]
	v_pk_add_f32 v[206:207], v[206:207], v[2:3] neg_lo:[0,1] neg_hi:[0,1]
	s_delay_alu instid0(VALU_DEP_2) | instskip(SKIP_3) | instid1(VALU_DEP_1)
	v_pk_fma_f32 v[2:3], v[32:33], v[26:27], v[0:1] op_sel:[0,0,1] op_sel_hi:[1,1,0] neg_lo:[0,0,1] neg_hi:[0,0,1]
	v_pk_fma_f32 v[0:1], v[32:33], v[26:27], v[0:1] op_sel:[0,0,1] op_sel_hi:[1,0,0]
	ds_load_2addr_b64 v[30:33], v6 offset0:41 offset1:42
	v_mov_b32_e32 v3, v1
	v_pk_add_f32 v[208:209], v[208:209], v[2:3] neg_lo:[0,1] neg_hi:[0,1]
	s_wait_dscnt 0x0
	v_dual_mul_f32 v2, v31, v26 :: v_dual_mul_f32 v0, v31, v29
	s_delay_alu instid0(VALU_DEP_1) | instskip(NEXT) | instid1(VALU_DEP_2)
	v_pk_fma_f32 v[2:3], v[30:31], v[152:153], v[2:3] op_sel:[1,0,0] op_sel_hi:[0,1,0]
	v_pk_fma_f32 v[0:1], v[30:31], v[152:153], v[0:1] op_sel_hi:[1,1,0] neg_lo:[0,0,1] neg_hi:[0,0,1]
	s_delay_alu instid0(VALU_DEP_2) | instskip(NEXT) | instid1(VALU_DEP_1)
	v_mov_b32_e32 v1, v3
	v_pk_add_f32 v[210:211], v[210:211], v[0:1] neg_lo:[0,1] neg_hi:[0,1]
	v_pk_mul_f32 v[0:1], v[32:33], v[28:29] op_sel:[0,1]
	s_delay_alu instid0(VALU_DEP_1) | instskip(SKIP_3) | instid1(VALU_DEP_1)
	v_pk_fma_f32 v[2:3], v[32:33], v[26:27], v[0:1] op_sel:[0,0,1] op_sel_hi:[1,1,0] neg_lo:[0,0,1] neg_hi:[0,0,1]
	v_pk_fma_f32 v[0:1], v[32:33], v[26:27], v[0:1] op_sel:[0,0,1] op_sel_hi:[1,0,0]
	ds_load_2addr_b64 v[30:33], v6 offset0:43 offset1:44
	v_mov_b32_e32 v3, v1
	v_pk_add_f32 v[212:213], v[212:213], v[2:3] neg_lo:[0,1] neg_hi:[0,1]
	s_wait_dscnt 0x0
	v_pk_mul_f32 v[0:1], v[30:31], v[28:29] op_sel:[0,1]
	s_delay_alu instid0(VALU_DEP_1) | instskip(SKIP_1) | instid1(VALU_DEP_1)
	v_pk_fma_f32 v[2:3], v[30:31], v[26:27], v[0:1] op_sel:[0,0,1] op_sel_hi:[1,1,0] neg_lo:[0,0,1] neg_hi:[0,0,1]
	v_pk_fma_f32 v[0:1], v[30:31], v[26:27], v[0:1] op_sel:[0,0,1] op_sel_hi:[1,0,0]
	v_mov_b32_e32 v3, v1
	v_pk_mul_f32 v[0:1], v[32:33], v[28:29] op_sel:[0,1]
	s_delay_alu instid0(VALU_DEP_2) | instskip(NEXT) | instid1(VALU_DEP_2)
	v_pk_add_f32 v[214:215], v[214:215], v[2:3] neg_lo:[0,1] neg_hi:[0,1]
	v_pk_fma_f32 v[2:3], v[32:33], v[26:27], v[0:1] op_sel:[0,0,1] op_sel_hi:[1,1,0] neg_lo:[0,0,1] neg_hi:[0,0,1]
	v_pk_fma_f32 v[0:1], v[32:33], v[26:27], v[0:1] op_sel:[0,0,1] op_sel_hi:[1,0,0]
	ds_load_2addr_b64 v[30:33], v6 offset0:45 offset1:46
	v_mov_b32_e32 v3, v1
	s_delay_alu instid0(VALU_DEP_1) | instskip(SKIP_2) | instid1(VALU_DEP_1)
	v_pk_add_f32 v[216:217], v[216:217], v[2:3] neg_lo:[0,1] neg_hi:[0,1]
	s_wait_dscnt 0x0
	v_pk_mul_f32 v[0:1], v[30:31], v[28:29] op_sel:[0,1]
	v_pk_fma_f32 v[2:3], v[30:31], v[26:27], v[0:1] op_sel:[0,0,1] op_sel_hi:[1,1,0] neg_lo:[0,0,1] neg_hi:[0,0,1]
	v_pk_fma_f32 v[0:1], v[30:31], v[26:27], v[0:1] op_sel:[0,0,1] op_sel_hi:[1,0,0]
	v_dual_mov_b32 v0, v33 :: v_dual_mul_f32 v30, v33, v26
	s_delay_alu instid0(VALU_DEP_2) | instskip(NEXT) | instid1(VALU_DEP_1)
	v_dual_mov_b32 v3, v1 :: v_dual_mov_b32 v1, v32
	v_pk_add_f32 v[218:219], v[218:219], v[2:3] neg_lo:[0,1] neg_hi:[0,1]
	v_mul_f32_e32 v2, v33, v29
	s_delay_alu instid0(VALU_DEP_3) | instskip(NEXT) | instid1(VALU_DEP_2)
	v_pk_fma_f32 v[0:1], v[0:1], v[152:153], v[30:31] op_sel_hi:[1,1,0]
	v_pk_fma_f32 v[2:3], v[32:33], v[152:153], v[2:3] op_sel_hi:[1,1,0] neg_lo:[0,0,1] neg_hi:[0,0,1]
	ds_load_2addr_b64 v[30:33], v6 offset0:47 offset1:48
	v_mov_b32_e32 v3, v1
	s_delay_alu instid0(VALU_DEP_1) | instskip(SKIP_2) | instid1(VALU_DEP_1)
	v_pk_add_f32 v[220:221], v[220:221], v[2:3] neg_lo:[0,1] neg_hi:[0,1]
	s_wait_dscnt 0x0
	v_pk_mul_f32 v[0:1], v[30:31], v[28:29] op_sel:[0,1]
	v_pk_fma_f32 v[2:3], v[30:31], v[26:27], v[0:1] op_sel:[0,0,1] op_sel_hi:[1,1,0] neg_lo:[0,0,1] neg_hi:[0,0,1]
	v_pk_fma_f32 v[0:1], v[30:31], v[26:27], v[0:1] op_sel:[0,0,1] op_sel_hi:[1,0,0]
	s_delay_alu instid0(VALU_DEP_1) | instskip(SKIP_1) | instid1(VALU_DEP_2)
	v_mov_b32_e32 v3, v1
	v_pk_mul_f32 v[0:1], v[32:33], v[28:29] op_sel:[0,1]
	v_pk_add_f32 v[222:223], v[222:223], v[2:3] neg_lo:[0,1] neg_hi:[0,1]
	s_delay_alu instid0(VALU_DEP_2) | instskip(SKIP_3) | instid1(VALU_DEP_1)
	v_pk_fma_f32 v[2:3], v[32:33], v[26:27], v[0:1] op_sel:[0,0,1] op_sel_hi:[1,1,0] neg_lo:[0,0,1] neg_hi:[0,0,1]
	v_pk_fma_f32 v[0:1], v[32:33], v[26:27], v[0:1] op_sel:[0,0,1] op_sel_hi:[1,0,0]
	ds_load_2addr_b64 v[30:33], v6 offset0:49 offset1:50
	v_mov_b32_e32 v3, v1
	v_pk_add_f32 v[224:225], v[224:225], v[2:3] neg_lo:[0,1] neg_hi:[0,1]
	s_wait_dscnt 0x0
	v_pk_mul_f32 v[0:1], v[30:31], v[28:29] op_sel:[0,1]
	s_delay_alu instid0(VALU_DEP_1) | instskip(SKIP_1) | instid1(VALU_DEP_1)
	v_pk_fma_f32 v[2:3], v[30:31], v[26:27], v[0:1] op_sel:[0,0,1] op_sel_hi:[1,1,0] neg_lo:[0,0,1] neg_hi:[0,0,1]
	v_pk_fma_f32 v[0:1], v[30:31], v[26:27], v[0:1] op_sel:[0,0,1] op_sel_hi:[1,0,0]
	v_mov_b32_e32 v3, v1
	v_pk_mul_f32 v[0:1], v[32:33], v[28:29] op_sel:[0,1]
	s_delay_alu instid0(VALU_DEP_2) | instskip(NEXT) | instid1(VALU_DEP_2)
	v_pk_add_f32 v[226:227], v[226:227], v[2:3] neg_lo:[0,1] neg_hi:[0,1]
	v_pk_fma_f32 v[2:3], v[32:33], v[26:27], v[0:1] op_sel:[0,0,1] op_sel_hi:[1,1,0] neg_lo:[0,0,1] neg_hi:[0,0,1]
	v_pk_fma_f32 v[0:1], v[32:33], v[26:27], v[0:1] op_sel:[0,0,1] op_sel_hi:[1,0,0]
	ds_load_2addr_b64 v[30:33], v6 offset0:51 offset1:52
	v_mov_b32_e32 v3, v1
	s_delay_alu instid0(VALU_DEP_1) | instskip(SKIP_2) | instid1(VALU_DEP_1)
	v_pk_add_f32 v[228:229], v[228:229], v[2:3] neg_lo:[0,1] neg_hi:[0,1]
	s_wait_dscnt 0x0
	v_dual_mul_f32 v2, v31, v26 :: v_dual_mul_f32 v0, v31, v29
	v_pk_fma_f32 v[2:3], v[30:31], v[152:153], v[2:3] op_sel:[1,0,0] op_sel_hi:[0,1,0]
	s_delay_alu instid0(VALU_DEP_2) | instskip(NEXT) | instid1(VALU_DEP_2)
	v_pk_fma_f32 v[0:1], v[30:31], v[152:153], v[0:1] op_sel_hi:[1,1,0] neg_lo:[0,0,1] neg_hi:[0,0,1]
	v_mov_b32_e32 v1, v3
	s_delay_alu instid0(VALU_DEP_1) | instskip(SKIP_1) | instid1(VALU_DEP_1)
	v_pk_add_f32 v[230:231], v[230:231], v[0:1] neg_lo:[0,1] neg_hi:[0,1]
	v_pk_mul_f32 v[0:1], v[32:33], v[28:29] op_sel:[0,1]
	v_pk_fma_f32 v[2:3], v[32:33], v[26:27], v[0:1] op_sel:[0,0,1] op_sel_hi:[1,1,0] neg_lo:[0,0,1] neg_hi:[0,0,1]
	v_pk_fma_f32 v[0:1], v[32:33], v[26:27], v[0:1] op_sel:[0,0,1] op_sel_hi:[1,0,0]
	ds_load_2addr_b64 v[30:33], v6 offset0:53 offset1:54
	v_mov_b32_e32 v3, v1
	s_delay_alu instid0(VALU_DEP_1) | instskip(SKIP_2) | instid1(VALU_DEP_1)
	v_pk_add_f32 v[232:233], v[232:233], v[2:3] neg_lo:[0,1] neg_hi:[0,1]
	s_wait_dscnt 0x0
	v_pk_mul_f32 v[0:1], v[30:31], v[28:29] op_sel:[0,1]
	v_pk_fma_f32 v[2:3], v[30:31], v[26:27], v[0:1] op_sel:[0,0,1] op_sel_hi:[1,1,0] neg_lo:[0,0,1] neg_hi:[0,0,1]
	v_pk_fma_f32 v[0:1], v[30:31], v[26:27], v[0:1] op_sel:[0,0,1] op_sel_hi:[1,0,0]
	s_delay_alu instid0(VALU_DEP_1) | instskip(SKIP_1) | instid1(VALU_DEP_2)
	v_mov_b32_e32 v3, v1
	v_pk_mul_f32 v[0:1], v[32:33], v[28:29] op_sel:[0,1]
	v_pk_add_f32 v[234:235], v[234:235], v[2:3] neg_lo:[0,1] neg_hi:[0,1]
	s_delay_alu instid0(VALU_DEP_2) | instskip(SKIP_3) | instid1(VALU_DEP_1)
	v_pk_fma_f32 v[2:3], v[32:33], v[26:27], v[0:1] op_sel:[0,0,1] op_sel_hi:[1,1,0] neg_lo:[0,0,1] neg_hi:[0,0,1]
	v_pk_fma_f32 v[0:1], v[32:33], v[26:27], v[0:1] op_sel:[0,0,1] op_sel_hi:[1,0,0]
	ds_load_2addr_b64 v[30:33], v6 offset0:55 offset1:56
	v_mov_b32_e32 v3, v1
	v_pk_add_f32 v[236:237], v[236:237], v[2:3] neg_lo:[0,1] neg_hi:[0,1]
	s_wait_dscnt 0x0
	v_pk_mul_f32 v[0:1], v[30:31], v[28:29] op_sel:[0,1]
	s_delay_alu instid0(VALU_DEP_1) | instskip(SKIP_2) | instid1(VALU_DEP_2)
	v_pk_fma_f32 v[2:3], v[30:31], v[26:27], v[0:1] op_sel:[0,0,1] op_sel_hi:[1,1,0] neg_lo:[0,0,1] neg_hi:[0,0,1]
	v_pk_fma_f32 v[0:1], v[30:31], v[26:27], v[0:1] op_sel:[0,0,1] op_sel_hi:[1,0,0]
	v_dual_mov_b32 v0, v33 :: v_dual_mul_f32 v30, v33, v26
	v_dual_mov_b32 v3, v1 :: v_dual_mov_b32 v1, v32
	s_delay_alu instid0(VALU_DEP_1) | instskip(SKIP_1) | instid1(VALU_DEP_3)
	v_pk_add_f32 v[238:239], v[238:239], v[2:3] neg_lo:[0,1] neg_hi:[0,1]
	v_mul_f32_e32 v2, v33, v29
	v_pk_fma_f32 v[0:1], v[0:1], v[152:153], v[30:31] op_sel_hi:[1,1,0]
	s_delay_alu instid0(VALU_DEP_2) | instskip(SKIP_2) | instid1(VALU_DEP_1)
	v_pk_fma_f32 v[2:3], v[32:33], v[152:153], v[2:3] op_sel_hi:[1,1,0] neg_lo:[0,0,1] neg_hi:[0,0,1]
	ds_load_2addr_b64 v[30:33], v6 offset0:57 offset1:58
	v_mov_b32_e32 v3, v1
	v_pk_add_f32 v[248:249], v[248:249], v[2:3] neg_lo:[0,1] neg_hi:[0,1]
	s_wait_dscnt 0x0
	v_pk_mul_f32 v[0:1], v[30:31], v[28:29] op_sel:[0,1]
	s_delay_alu instid0(VALU_DEP_1) | instskip(SKIP_1) | instid1(VALU_DEP_1)
	v_pk_fma_f32 v[2:3], v[30:31], v[26:27], v[0:1] op_sel:[0,0,1] op_sel_hi:[1,1,0] neg_lo:[0,0,1] neg_hi:[0,0,1]
	v_pk_fma_f32 v[0:1], v[30:31], v[26:27], v[0:1] op_sel:[0,0,1] op_sel_hi:[1,0,0]
	v_mov_b32_e32 v3, v1
	v_pk_mul_f32 v[0:1], v[32:33], v[28:29] op_sel:[0,1]
	s_delay_alu instid0(VALU_DEP_2) | instskip(NEXT) | instid1(VALU_DEP_2)
	v_pk_add_f32 v[242:243], v[242:243], v[2:3] neg_lo:[0,1] neg_hi:[0,1]
	v_pk_fma_f32 v[2:3], v[32:33], v[26:27], v[0:1] op_sel:[0,0,1] op_sel_hi:[1,1,0] neg_lo:[0,0,1] neg_hi:[0,0,1]
	v_pk_fma_f32 v[0:1], v[32:33], v[26:27], v[0:1] op_sel:[0,0,1] op_sel_hi:[1,0,0]
	ds_load_2addr_b64 v[30:33], v6 offset0:59 offset1:60
	v_mov_b32_e32 v3, v1
	s_delay_alu instid0(VALU_DEP_1) | instskip(SKIP_2) | instid1(VALU_DEP_1)
	v_pk_add_f32 v[246:247], v[246:247], v[2:3] neg_lo:[0,1] neg_hi:[0,1]
	s_wait_dscnt 0x0
	v_pk_mul_f32 v[0:1], v[30:31], v[28:29] op_sel:[0,1]
	v_pk_fma_f32 v[2:3], v[30:31], v[26:27], v[0:1] op_sel:[0,0,1] op_sel_hi:[1,1,0] neg_lo:[0,0,1] neg_hi:[0,0,1]
	v_pk_fma_f32 v[0:1], v[30:31], v[26:27], v[0:1] op_sel:[0,0,1] op_sel_hi:[1,0,0]
	s_delay_alu instid0(VALU_DEP_1) | instskip(SKIP_1) | instid1(VALU_DEP_2)
	v_mov_b32_e32 v3, v1
	v_pk_mul_f32 v[0:1], v[32:33], v[28:29] op_sel:[0,1]
	v_pk_add_f32 v[240:241], v[240:241], v[2:3] neg_lo:[0,1] neg_hi:[0,1]
	s_delay_alu instid0(VALU_DEP_2) | instskip(SKIP_3) | instid1(VALU_DEP_1)
	v_pk_fma_f32 v[2:3], v[32:33], v[26:27], v[0:1] op_sel:[0,0,1] op_sel_hi:[1,1,0] neg_lo:[0,0,1] neg_hi:[0,0,1]
	v_pk_fma_f32 v[0:1], v[32:33], v[26:27], v[0:1] op_sel:[0,0,1] op_sel_hi:[1,0,0]
	ds_load_2addr_b64 v[30:33], v6 offset0:61 offset1:62
	v_mov_b32_e32 v3, v1
	v_pk_add_f32 v[244:245], v[244:245], v[2:3] neg_lo:[0,1] neg_hi:[0,1]
	s_wait_dscnt 0x0
	v_dual_mul_f32 v2, v31, v26 :: v_dual_mul_f32 v0, v31, v29
	s_delay_alu instid0(VALU_DEP_1) | instskip(NEXT) | instid1(VALU_DEP_2)
	v_pk_fma_f32 v[2:3], v[30:31], v[152:153], v[2:3] op_sel:[1,0,0] op_sel_hi:[0,1,0]
	v_pk_fma_f32 v[0:1], v[30:31], v[152:153], v[0:1] op_sel_hi:[1,1,0] neg_lo:[0,0,1] neg_hi:[0,0,1]
	s_delay_alu instid0(VALU_DEP_2) | instskip(NEXT) | instid1(VALU_DEP_1)
	v_mov_b32_e32 v1, v3
	v_pk_add_f32 v[250:251], v[250:251], v[0:1] neg_lo:[0,1] neg_hi:[0,1]
	v_pk_mul_f32 v[0:1], v[32:33], v[28:29] op_sel:[0,1]
	s_delay_alu instid0(VALU_DEP_1) | instskip(SKIP_1) | instid1(VALU_DEP_1)
	v_pk_fma_f32 v[2:3], v[32:33], v[26:27], v[0:1] op_sel:[0,0,1] op_sel_hi:[1,1,0] neg_lo:[0,0,1] neg_hi:[0,0,1]
	v_pk_fma_f32 v[0:1], v[32:33], v[26:27], v[0:1] op_sel:[0,0,1] op_sel_hi:[1,0,0]
	v_mov_b32_e32 v3, v1
	s_delay_alu instid0(VALU_DEP_1)
	v_pk_add_f32 v[252:253], v[252:253], v[2:3] neg_lo:[0,1] neg_hi:[0,1]
.LBB125_118:
	s_or_b32 exec_lo, exec_lo, s1
	s_delay_alu instid0(SALU_CYCLE_1)
	s_mov_b32 s2, exec_lo
	s_wait_dscnt 0x0
	s_barrier_signal -1
	s_barrier_wait -1
	v_cmpx_eq_u32_e32 13, v254
	s_cbranch_execz .LBB125_125
; %bb.119:
	v_dual_mov_b32 v0, v156 :: v_dual_mov_b32 v1, v157
	v_dual_mov_b32 v2, v158 :: v_dual_mov_b32 v3, v159
	ds_store_b64 v255, v[154:155]
	ds_store_2addr_b64 v6, v[0:1], v[2:3] offset0:14 offset1:15
	v_dual_mov_b32 v0, v160 :: v_dual_mov_b32 v1, v161
	v_dual_mov_b32 v2, v162 :: v_dual_mov_b32 v3, v163
	ds_store_2addr_b64 v6, v[0:1], v[2:3] offset0:16 offset1:17
	v_dual_mov_b32 v0, v164 :: v_dual_mov_b32 v1, v165
	v_dual_mov_b32 v2, v166 :: v_dual_mov_b32 v3, v167
	;; [unrolled: 3-line block ×23, first 2 shown]
	ds_store_2addr_b64 v6, v[0:1], v[2:3] offset0:60 offset1:61
	ds_store_b64 v6, v[252:253] offset:496
	ds_load_b64 v[26:27], v255
	s_wait_dscnt 0x0
	v_cmp_neq_f32_e32 vcc_lo, 0, v26
	v_cmp_neq_f32_e64 s1, 0, v27
	s_or_b32 s1, vcc_lo, s1
	s_delay_alu instid0(SALU_CYCLE_1)
	s_and_b32 exec_lo, exec_lo, s1
	s_cbranch_execz .LBB125_125
; %bb.120:
	v_cmp_ngt_f32_e64 s1, |v26|, |v27|
                                        ; implicit-def: $vgpr28_vgpr29
	s_and_saveexec_b32 s4, s1
	s_delay_alu instid0(SALU_CYCLE_1)
	s_xor_b32 s1, exec_lo, s4
	s_cbranch_execz .LBB125_122
; %bb.121:
	v_div_scale_f32 v0, null, v27, v27, v26
	v_div_scale_f32 v3, vcc_lo, v26, v27, v26
	s_delay_alu instid0(VALU_DEP_2) | instskip(SKIP_1) | instid1(TRANS32_DEP_1)
	v_rcp_f32_e32 v1, v0
	v_nop
	v_fma_f32 v2, -v0, v1, 1.0
	s_delay_alu instid0(VALU_DEP_1) | instskip(NEXT) | instid1(VALU_DEP_1)
	v_fmac_f32_e32 v1, v2, v1
	v_mul_f32_e32 v2, v3, v1
	s_delay_alu instid0(VALU_DEP_1) | instskip(NEXT) | instid1(VALU_DEP_1)
	v_fma_f32 v4, -v0, v2, v3
	v_fmac_f32_e32 v2, v4, v1
	s_delay_alu instid0(VALU_DEP_1) | instskip(NEXT) | instid1(VALU_DEP_1)
	v_fma_f32 v0, -v0, v2, v3
	v_div_fmas_f32 v0, v0, v1, v2
	s_delay_alu instid0(VALU_DEP_1) | instskip(NEXT) | instid1(VALU_DEP_1)
	v_div_fixup_f32 v0, v0, v27, v26
	v_fmac_f32_e32 v27, v26, v0
	s_delay_alu instid0(VALU_DEP_1) | instskip(SKIP_1) | instid1(VALU_DEP_2)
	v_div_scale_f32 v1, null, v27, v27, 1.0
	v_div_scale_f32 v4, vcc_lo, 1.0, v27, 1.0
	v_rcp_f32_e32 v2, v1
	v_nop
	s_delay_alu instid0(TRANS32_DEP_1) | instskip(NEXT) | instid1(VALU_DEP_1)
	v_fma_f32 v3, -v1, v2, 1.0
	v_fmac_f32_e32 v2, v3, v2
	s_delay_alu instid0(VALU_DEP_1) | instskip(NEXT) | instid1(VALU_DEP_1)
	v_mul_f32_e32 v3, v4, v2
	v_fma_f32 v5, -v1, v3, v4
	s_delay_alu instid0(VALU_DEP_1) | instskip(NEXT) | instid1(VALU_DEP_1)
	v_fmac_f32_e32 v3, v5, v2
	v_fma_f32 v1, -v1, v3, v4
	s_delay_alu instid0(VALU_DEP_1) | instskip(NEXT) | instid1(VALU_DEP_1)
	v_div_fmas_f32 v1, v1, v2, v3
	v_div_fixup_f32 v1, v1, v27, 1.0
                                        ; implicit-def: $vgpr26_vgpr27
	s_delay_alu instid0(VALU_DEP_1)
	v_mul_f32_e32 v28, v0, v1
	v_xor_b32_e32 v29, 0x80000000, v1
.LBB125_122:
	s_and_not1_saveexec_b32 s1, s1
	s_cbranch_execz .LBB125_124
; %bb.123:
	v_div_scale_f32 v0, null, v26, v26, v27
	v_div_scale_f32 v3, vcc_lo, v27, v26, v27
	s_delay_alu instid0(VALU_DEP_2) | instskip(SKIP_1) | instid1(TRANS32_DEP_1)
	v_rcp_f32_e32 v1, v0
	v_nop
	v_fma_f32 v2, -v0, v1, 1.0
	s_delay_alu instid0(VALU_DEP_1) | instskip(NEXT) | instid1(VALU_DEP_1)
	v_fmac_f32_e32 v1, v2, v1
	v_mul_f32_e32 v2, v3, v1
	s_delay_alu instid0(VALU_DEP_1) | instskip(NEXT) | instid1(VALU_DEP_1)
	v_fma_f32 v4, -v0, v2, v3
	v_fmac_f32_e32 v2, v4, v1
	s_delay_alu instid0(VALU_DEP_1) | instskip(NEXT) | instid1(VALU_DEP_1)
	v_fma_f32 v0, -v0, v2, v3
	v_div_fmas_f32 v0, v0, v1, v2
	s_delay_alu instid0(VALU_DEP_1) | instskip(NEXT) | instid1(VALU_DEP_1)
	v_div_fixup_f32 v0, v0, v26, v27
	v_fmac_f32_e32 v26, v27, v0
	s_delay_alu instid0(VALU_DEP_1) | instskip(NEXT) | instid1(VALU_DEP_1)
	v_div_scale_f32 v1, null, v26, v26, 1.0
	v_rcp_f32_e32 v2, v1
	v_nop
	s_delay_alu instid0(TRANS32_DEP_1) | instskip(NEXT) | instid1(VALU_DEP_1)
	v_fma_f32 v3, -v1, v2, 1.0
	v_fmac_f32_e32 v2, v3, v2
	v_div_scale_f32 v3, vcc_lo, 1.0, v26, 1.0
	s_delay_alu instid0(VALU_DEP_1) | instskip(NEXT) | instid1(VALU_DEP_1)
	v_mul_f32_e32 v4, v3, v2
	v_fma_f32 v5, -v1, v4, v3
	s_delay_alu instid0(VALU_DEP_1) | instskip(NEXT) | instid1(VALU_DEP_1)
	v_fmac_f32_e32 v4, v5, v2
	v_fma_f32 v1, -v1, v4, v3
	s_delay_alu instid0(VALU_DEP_1) | instskip(NEXT) | instid1(VALU_DEP_1)
	v_div_fmas_f32 v1, v1, v2, v4
	v_div_fixup_f32 v28, v1, v26, 1.0
	s_delay_alu instid0(VALU_DEP_1)
	v_mul_f32_e64 v29, v0, -v28
.LBB125_124:
	s_or_b32 exec_lo, exec_lo, s1
	ds_store_b64 v255, v[28:29]
.LBB125_125:
	s_or_b32 exec_lo, exec_lo, s2
	s_wait_dscnt 0x0
	s_barrier_signal -1
	s_barrier_wait -1
	ds_load_b64 v[26:27], v255
	s_mov_b32 s1, exec_lo
	v_cmpx_lt_u32_e32 13, v254
	s_cbranch_execz .LBB125_127
; %bb.126:
	ds_load_2addr_b64 v[32:35], v6 offset0:14 offset1:15
	s_wait_dscnt 0x1
	v_pk_mul_f32 v[0:1], v[26:27], v[154:155] op_sel:[1,1] op_sel_hi:[0,1]
	s_delay_alu instid0(VALU_DEP_1) | instskip(SKIP_1) | instid1(VALU_DEP_1)
	v_pk_fma_f32 v[30:31], v[26:27], v[154:155], v[0:1] op_sel_hi:[1,0,1]
	v_pk_fma_f32 v[28:29], v[26:27], v[154:155], v[0:1] op_sel_hi:[1,0,1] neg_lo:[0,0,1] neg_hi:[0,0,1]
	v_dual_mov_b32 v155, v31 :: v_dual_mov_b32 v154, v28
	s_wait_dscnt 0x0
	s_delay_alu instid0(VALU_DEP_3) | instskip(NEXT) | instid1(VALU_DEP_1)
	v_pk_mul_f32 v[0:1], v[32:33], v[30:31] op_sel:[0,1]
	v_pk_fma_f32 v[2:3], v[32:33], v[28:29], v[0:1] op_sel:[0,0,1] op_sel_hi:[1,1,0] neg_lo:[0,0,1] neg_hi:[0,0,1]
	v_pk_fma_f32 v[0:1], v[32:33], v[28:29], v[0:1] op_sel:[0,0,1] op_sel_hi:[1,0,0]
	s_delay_alu instid0(VALU_DEP_1) | instskip(SKIP_1) | instid1(VALU_DEP_2)
	v_mov_b32_e32 v3, v1
	v_pk_mul_f32 v[0:1], v[34:35], v[30:31] op_sel:[0,1]
	v_pk_add_f32 v[156:157], v[156:157], v[2:3] neg_lo:[0,1] neg_hi:[0,1]
	s_delay_alu instid0(VALU_DEP_2) | instskip(SKIP_3) | instid1(VALU_DEP_1)
	v_pk_fma_f32 v[2:3], v[34:35], v[28:29], v[0:1] op_sel:[0,0,1] op_sel_hi:[1,1,0] neg_lo:[0,0,1] neg_hi:[0,0,1]
	v_pk_fma_f32 v[0:1], v[34:35], v[28:29], v[0:1] op_sel:[0,0,1] op_sel_hi:[1,0,0]
	ds_load_2addr_b64 v[32:35], v6 offset0:16 offset1:17
	v_mov_b32_e32 v3, v1
	v_pk_add_f32 v[158:159], v[158:159], v[2:3] neg_lo:[0,1] neg_hi:[0,1]
	s_wait_dscnt 0x0
	v_pk_mul_f32 v[0:1], v[32:33], v[30:31] op_sel:[0,1]
	s_delay_alu instid0(VALU_DEP_1) | instskip(SKIP_2) | instid1(VALU_DEP_2)
	v_pk_fma_f32 v[2:3], v[32:33], v[28:29], v[0:1] op_sel:[0,0,1] op_sel_hi:[1,1,0] neg_lo:[0,0,1] neg_hi:[0,0,1]
	v_pk_fma_f32 v[0:1], v[32:33], v[28:29], v[0:1] op_sel:[0,0,1] op_sel_hi:[1,0,0]
	v_dual_mov_b32 v0, v35 :: v_dual_mul_f32 v32, v35, v28
	v_dual_mov_b32 v3, v1 :: v_dual_mov_b32 v1, v34
	s_delay_alu instid0(VALU_DEP_1) | instskip(SKIP_1) | instid1(VALU_DEP_3)
	v_pk_add_f32 v[160:161], v[160:161], v[2:3] neg_lo:[0,1] neg_hi:[0,1]
	v_mul_f32_e32 v2, v35, v31
	v_pk_fma_f32 v[0:1], v[0:1], v[154:155], v[32:33] op_sel_hi:[1,1,0]
	s_delay_alu instid0(VALU_DEP_2) | instskip(SKIP_2) | instid1(VALU_DEP_1)
	v_pk_fma_f32 v[2:3], v[34:35], v[154:155], v[2:3] op_sel_hi:[1,1,0] neg_lo:[0,0,1] neg_hi:[0,0,1]
	ds_load_2addr_b64 v[32:35], v6 offset0:18 offset1:19
	v_mov_b32_e32 v3, v1
	v_pk_add_f32 v[162:163], v[162:163], v[2:3] neg_lo:[0,1] neg_hi:[0,1]
	s_wait_dscnt 0x0
	v_pk_mul_f32 v[0:1], v[32:33], v[30:31] op_sel:[0,1]
	s_delay_alu instid0(VALU_DEP_1) | instskip(SKIP_1) | instid1(VALU_DEP_1)
	v_pk_fma_f32 v[2:3], v[32:33], v[28:29], v[0:1] op_sel:[0,0,1] op_sel_hi:[1,1,0] neg_lo:[0,0,1] neg_hi:[0,0,1]
	v_pk_fma_f32 v[0:1], v[32:33], v[28:29], v[0:1] op_sel:[0,0,1] op_sel_hi:[1,0,0]
	v_mov_b32_e32 v3, v1
	v_pk_mul_f32 v[0:1], v[34:35], v[30:31] op_sel:[0,1]
	s_delay_alu instid0(VALU_DEP_2) | instskip(NEXT) | instid1(VALU_DEP_2)
	v_pk_add_f32 v[164:165], v[164:165], v[2:3] neg_lo:[0,1] neg_hi:[0,1]
	v_pk_fma_f32 v[2:3], v[34:35], v[28:29], v[0:1] op_sel:[0,0,1] op_sel_hi:[1,1,0] neg_lo:[0,0,1] neg_hi:[0,0,1]
	v_pk_fma_f32 v[0:1], v[34:35], v[28:29], v[0:1] op_sel:[0,0,1] op_sel_hi:[1,0,0]
	ds_load_2addr_b64 v[32:35], v6 offset0:20 offset1:21
	v_mov_b32_e32 v3, v1
	s_delay_alu instid0(VALU_DEP_1) | instskip(SKIP_2) | instid1(VALU_DEP_1)
	v_pk_add_f32 v[166:167], v[166:167], v[2:3] neg_lo:[0,1] neg_hi:[0,1]
	s_wait_dscnt 0x0
	v_pk_mul_f32 v[0:1], v[32:33], v[30:31] op_sel:[0,1]
	v_pk_fma_f32 v[2:3], v[32:33], v[28:29], v[0:1] op_sel:[0,0,1] op_sel_hi:[1,1,0] neg_lo:[0,0,1] neg_hi:[0,0,1]
	v_pk_fma_f32 v[0:1], v[32:33], v[28:29], v[0:1] op_sel:[0,0,1] op_sel_hi:[1,0,0]
	s_delay_alu instid0(VALU_DEP_1) | instskip(SKIP_1) | instid1(VALU_DEP_2)
	v_mov_b32_e32 v3, v1
	v_pk_mul_f32 v[0:1], v[34:35], v[30:31] op_sel:[0,1]
	v_pk_add_f32 v[168:169], v[168:169], v[2:3] neg_lo:[0,1] neg_hi:[0,1]
	s_delay_alu instid0(VALU_DEP_2) | instskip(SKIP_3) | instid1(VALU_DEP_1)
	v_pk_fma_f32 v[2:3], v[34:35], v[28:29], v[0:1] op_sel:[0,0,1] op_sel_hi:[1,1,0] neg_lo:[0,0,1] neg_hi:[0,0,1]
	v_pk_fma_f32 v[0:1], v[34:35], v[28:29], v[0:1] op_sel:[0,0,1] op_sel_hi:[1,0,0]
	ds_load_2addr_b64 v[32:35], v6 offset0:22 offset1:23
	v_mov_b32_e32 v3, v1
	v_pk_add_f32 v[170:171], v[170:171], v[2:3] neg_lo:[0,1] neg_hi:[0,1]
	s_wait_dscnt 0x0
	v_dual_mul_f32 v0, v33, v31 :: v_dual_mul_f32 v2, v33, v28
	s_delay_alu instid0(VALU_DEP_1) | instskip(NEXT) | instid1(VALU_DEP_2)
	v_pk_fma_f32 v[0:1], v[32:33], v[154:155], v[0:1] op_sel_hi:[1,1,0] neg_lo:[0,0,1] neg_hi:[0,0,1]
	v_pk_fma_f32 v[2:3], v[32:33], v[154:155], v[2:3] op_sel:[1,0,0] op_sel_hi:[0,1,0]
	s_delay_alu instid0(VALU_DEP_1) | instskip(NEXT) | instid1(VALU_DEP_1)
	v_mov_b32_e32 v1, v3
	v_pk_add_f32 v[172:173], v[172:173], v[0:1] neg_lo:[0,1] neg_hi:[0,1]
	v_pk_mul_f32 v[0:1], v[34:35], v[30:31] op_sel:[0,1]
	s_delay_alu instid0(VALU_DEP_1) | instskip(SKIP_3) | instid1(VALU_DEP_1)
	v_pk_fma_f32 v[2:3], v[34:35], v[28:29], v[0:1] op_sel:[0,0,1] op_sel_hi:[1,1,0] neg_lo:[0,0,1] neg_hi:[0,0,1]
	v_pk_fma_f32 v[0:1], v[34:35], v[28:29], v[0:1] op_sel:[0,0,1] op_sel_hi:[1,0,0]
	ds_load_2addr_b64 v[32:35], v6 offset0:24 offset1:25
	v_mov_b32_e32 v3, v1
	v_pk_add_f32 v[174:175], v[174:175], v[2:3] neg_lo:[0,1] neg_hi:[0,1]
	s_wait_dscnt 0x0
	v_pk_mul_f32 v[0:1], v[32:33], v[30:31] op_sel:[0,1]
	s_delay_alu instid0(VALU_DEP_1) | instskip(SKIP_1) | instid1(VALU_DEP_1)
	v_pk_fma_f32 v[2:3], v[32:33], v[28:29], v[0:1] op_sel:[0,0,1] op_sel_hi:[1,1,0] neg_lo:[0,0,1] neg_hi:[0,0,1]
	v_pk_fma_f32 v[0:1], v[32:33], v[28:29], v[0:1] op_sel:[0,0,1] op_sel_hi:[1,0,0]
	v_mov_b32_e32 v3, v1
	v_pk_mul_f32 v[0:1], v[34:35], v[30:31] op_sel:[0,1]
	s_delay_alu instid0(VALU_DEP_2) | instskip(NEXT) | instid1(VALU_DEP_2)
	v_pk_add_f32 v[176:177], v[176:177], v[2:3] neg_lo:[0,1] neg_hi:[0,1]
	v_pk_fma_f32 v[2:3], v[34:35], v[28:29], v[0:1] op_sel:[0,0,1] op_sel_hi:[1,1,0] neg_lo:[0,0,1] neg_hi:[0,0,1]
	v_pk_fma_f32 v[0:1], v[34:35], v[28:29], v[0:1] op_sel:[0,0,1] op_sel_hi:[1,0,0]
	ds_load_2addr_b64 v[32:35], v6 offset0:26 offset1:27
	v_mov_b32_e32 v3, v1
	s_delay_alu instid0(VALU_DEP_1) | instskip(SKIP_2) | instid1(VALU_DEP_1)
	v_pk_add_f32 v[178:179], v[178:179], v[2:3] neg_lo:[0,1] neg_hi:[0,1]
	s_wait_dscnt 0x0
	v_pk_mul_f32 v[0:1], v[32:33], v[30:31] op_sel:[0,1]
	v_pk_fma_f32 v[2:3], v[32:33], v[28:29], v[0:1] op_sel:[0,0,1] op_sel_hi:[1,1,0] neg_lo:[0,0,1] neg_hi:[0,0,1]
	v_pk_fma_f32 v[0:1], v[32:33], v[28:29], v[0:1] op_sel:[0,0,1] op_sel_hi:[1,0,0]
	v_dual_mov_b32 v0, v35 :: v_dual_mul_f32 v32, v35, v28
	s_delay_alu instid0(VALU_DEP_2) | instskip(NEXT) | instid1(VALU_DEP_1)
	v_dual_mov_b32 v3, v1 :: v_dual_mov_b32 v1, v34
	v_pk_add_f32 v[180:181], v[180:181], v[2:3] neg_lo:[0,1] neg_hi:[0,1]
	v_mul_f32_e32 v2, v35, v31
	s_delay_alu instid0(VALU_DEP_3) | instskip(NEXT) | instid1(VALU_DEP_2)
	v_pk_fma_f32 v[0:1], v[0:1], v[154:155], v[32:33] op_sel_hi:[1,1,0]
	v_pk_fma_f32 v[2:3], v[34:35], v[154:155], v[2:3] op_sel_hi:[1,1,0] neg_lo:[0,0,1] neg_hi:[0,0,1]
	ds_load_2addr_b64 v[32:35], v6 offset0:28 offset1:29
	v_mov_b32_e32 v3, v1
	s_delay_alu instid0(VALU_DEP_1) | instskip(SKIP_2) | instid1(VALU_DEP_1)
	v_pk_add_f32 v[182:183], v[182:183], v[2:3] neg_lo:[0,1] neg_hi:[0,1]
	s_wait_dscnt 0x0
	v_pk_mul_f32 v[0:1], v[32:33], v[30:31] op_sel:[0,1]
	v_pk_fma_f32 v[2:3], v[32:33], v[28:29], v[0:1] op_sel:[0,0,1] op_sel_hi:[1,1,0] neg_lo:[0,0,1] neg_hi:[0,0,1]
	v_pk_fma_f32 v[0:1], v[32:33], v[28:29], v[0:1] op_sel:[0,0,1] op_sel_hi:[1,0,0]
	s_delay_alu instid0(VALU_DEP_1) | instskip(SKIP_1) | instid1(VALU_DEP_2)
	v_mov_b32_e32 v3, v1
	v_pk_mul_f32 v[0:1], v[34:35], v[30:31] op_sel:[0,1]
	v_pk_add_f32 v[184:185], v[184:185], v[2:3] neg_lo:[0,1] neg_hi:[0,1]
	s_delay_alu instid0(VALU_DEP_2) | instskip(SKIP_3) | instid1(VALU_DEP_1)
	v_pk_fma_f32 v[2:3], v[34:35], v[28:29], v[0:1] op_sel:[0,0,1] op_sel_hi:[1,1,0] neg_lo:[0,0,1] neg_hi:[0,0,1]
	v_pk_fma_f32 v[0:1], v[34:35], v[28:29], v[0:1] op_sel:[0,0,1] op_sel_hi:[1,0,0]
	ds_load_2addr_b64 v[32:35], v6 offset0:30 offset1:31
	v_mov_b32_e32 v3, v1
	v_pk_add_f32 v[186:187], v[186:187], v[2:3] neg_lo:[0,1] neg_hi:[0,1]
	s_wait_dscnt 0x0
	v_pk_mul_f32 v[0:1], v[32:33], v[30:31] op_sel:[0,1]
	s_delay_alu instid0(VALU_DEP_1) | instskip(SKIP_1) | instid1(VALU_DEP_1)
	v_pk_fma_f32 v[2:3], v[32:33], v[28:29], v[0:1] op_sel:[0,0,1] op_sel_hi:[1,1,0] neg_lo:[0,0,1] neg_hi:[0,0,1]
	v_pk_fma_f32 v[0:1], v[32:33], v[28:29], v[0:1] op_sel:[0,0,1] op_sel_hi:[1,0,0]
	v_mov_b32_e32 v3, v1
	v_pk_mul_f32 v[0:1], v[34:35], v[30:31] op_sel:[0,1]
	s_delay_alu instid0(VALU_DEP_2) | instskip(NEXT) | instid1(VALU_DEP_2)
	v_pk_add_f32 v[188:189], v[188:189], v[2:3] neg_lo:[0,1] neg_hi:[0,1]
	v_pk_fma_f32 v[2:3], v[34:35], v[28:29], v[0:1] op_sel:[0,0,1] op_sel_hi:[1,1,0] neg_lo:[0,0,1] neg_hi:[0,0,1]
	v_pk_fma_f32 v[0:1], v[34:35], v[28:29], v[0:1] op_sel:[0,0,1] op_sel_hi:[1,0,0]
	ds_load_2addr_b64 v[32:35], v6 offset0:32 offset1:33
	v_mov_b32_e32 v3, v1
	s_delay_alu instid0(VALU_DEP_1) | instskip(SKIP_2) | instid1(VALU_DEP_1)
	v_pk_add_f32 v[190:191], v[190:191], v[2:3] neg_lo:[0,1] neg_hi:[0,1]
	s_wait_dscnt 0x0
	v_dual_mul_f32 v2, v33, v28 :: v_dual_mul_f32 v0, v33, v31
	v_pk_fma_f32 v[2:3], v[32:33], v[154:155], v[2:3] op_sel:[1,0,0] op_sel_hi:[0,1,0]
	s_delay_alu instid0(VALU_DEP_2) | instskip(NEXT) | instid1(VALU_DEP_2)
	v_pk_fma_f32 v[0:1], v[32:33], v[154:155], v[0:1] op_sel_hi:[1,1,0] neg_lo:[0,0,1] neg_hi:[0,0,1]
	v_mov_b32_e32 v1, v3
	s_delay_alu instid0(VALU_DEP_1) | instskip(SKIP_1) | instid1(VALU_DEP_1)
	v_pk_add_f32 v[192:193], v[192:193], v[0:1] neg_lo:[0,1] neg_hi:[0,1]
	v_pk_mul_f32 v[0:1], v[34:35], v[30:31] op_sel:[0,1]
	v_pk_fma_f32 v[2:3], v[34:35], v[28:29], v[0:1] op_sel:[0,0,1] op_sel_hi:[1,1,0] neg_lo:[0,0,1] neg_hi:[0,0,1]
	v_pk_fma_f32 v[0:1], v[34:35], v[28:29], v[0:1] op_sel:[0,0,1] op_sel_hi:[1,0,0]
	ds_load_2addr_b64 v[32:35], v6 offset0:34 offset1:35
	v_mov_b32_e32 v3, v1
	s_delay_alu instid0(VALU_DEP_1) | instskip(SKIP_2) | instid1(VALU_DEP_1)
	v_pk_add_f32 v[194:195], v[194:195], v[2:3] neg_lo:[0,1] neg_hi:[0,1]
	s_wait_dscnt 0x0
	v_pk_mul_f32 v[0:1], v[32:33], v[30:31] op_sel:[0,1]
	v_pk_fma_f32 v[2:3], v[32:33], v[28:29], v[0:1] op_sel:[0,0,1] op_sel_hi:[1,1,0] neg_lo:[0,0,1] neg_hi:[0,0,1]
	v_pk_fma_f32 v[0:1], v[32:33], v[28:29], v[0:1] op_sel:[0,0,1] op_sel_hi:[1,0,0]
	s_delay_alu instid0(VALU_DEP_1) | instskip(SKIP_1) | instid1(VALU_DEP_2)
	v_mov_b32_e32 v3, v1
	v_pk_mul_f32 v[0:1], v[34:35], v[30:31] op_sel:[0,1]
	v_pk_add_f32 v[196:197], v[196:197], v[2:3] neg_lo:[0,1] neg_hi:[0,1]
	s_delay_alu instid0(VALU_DEP_2) | instskip(SKIP_3) | instid1(VALU_DEP_1)
	v_pk_fma_f32 v[2:3], v[34:35], v[28:29], v[0:1] op_sel:[0,0,1] op_sel_hi:[1,1,0] neg_lo:[0,0,1] neg_hi:[0,0,1]
	v_pk_fma_f32 v[0:1], v[34:35], v[28:29], v[0:1] op_sel:[0,0,1] op_sel_hi:[1,0,0]
	ds_load_2addr_b64 v[32:35], v6 offset0:36 offset1:37
	v_mov_b32_e32 v3, v1
	v_pk_add_f32 v[198:199], v[198:199], v[2:3] neg_lo:[0,1] neg_hi:[0,1]
	s_wait_dscnt 0x0
	v_pk_mul_f32 v[0:1], v[32:33], v[30:31] op_sel:[0,1]
	s_delay_alu instid0(VALU_DEP_1) | instskip(SKIP_2) | instid1(VALU_DEP_2)
	v_pk_fma_f32 v[2:3], v[32:33], v[28:29], v[0:1] op_sel:[0,0,1] op_sel_hi:[1,1,0] neg_lo:[0,0,1] neg_hi:[0,0,1]
	v_pk_fma_f32 v[0:1], v[32:33], v[28:29], v[0:1] op_sel:[0,0,1] op_sel_hi:[1,0,0]
	v_dual_mov_b32 v0, v35 :: v_dual_mul_f32 v32, v35, v28
	v_dual_mov_b32 v3, v1 :: v_dual_mov_b32 v1, v34
	s_delay_alu instid0(VALU_DEP_1) | instskip(SKIP_1) | instid1(VALU_DEP_3)
	v_pk_add_f32 v[200:201], v[200:201], v[2:3] neg_lo:[0,1] neg_hi:[0,1]
	v_mul_f32_e32 v2, v35, v31
	v_pk_fma_f32 v[0:1], v[0:1], v[154:155], v[32:33] op_sel_hi:[1,1,0]
	s_delay_alu instid0(VALU_DEP_2) | instskip(SKIP_2) | instid1(VALU_DEP_1)
	v_pk_fma_f32 v[2:3], v[34:35], v[154:155], v[2:3] op_sel_hi:[1,1,0] neg_lo:[0,0,1] neg_hi:[0,0,1]
	ds_load_2addr_b64 v[32:35], v6 offset0:38 offset1:39
	v_mov_b32_e32 v3, v1
	v_pk_add_f32 v[202:203], v[202:203], v[2:3] neg_lo:[0,1] neg_hi:[0,1]
	s_wait_dscnt 0x0
	v_pk_mul_f32 v[0:1], v[32:33], v[30:31] op_sel:[0,1]
	s_delay_alu instid0(VALU_DEP_1) | instskip(SKIP_1) | instid1(VALU_DEP_1)
	v_pk_fma_f32 v[2:3], v[32:33], v[28:29], v[0:1] op_sel:[0,0,1] op_sel_hi:[1,1,0] neg_lo:[0,0,1] neg_hi:[0,0,1]
	v_pk_fma_f32 v[0:1], v[32:33], v[28:29], v[0:1] op_sel:[0,0,1] op_sel_hi:[1,0,0]
	v_mov_b32_e32 v3, v1
	v_pk_mul_f32 v[0:1], v[34:35], v[30:31] op_sel:[0,1]
	s_delay_alu instid0(VALU_DEP_2) | instskip(NEXT) | instid1(VALU_DEP_2)
	v_pk_add_f32 v[204:205], v[204:205], v[2:3] neg_lo:[0,1] neg_hi:[0,1]
	v_pk_fma_f32 v[2:3], v[34:35], v[28:29], v[0:1] op_sel:[0,0,1] op_sel_hi:[1,1,0] neg_lo:[0,0,1] neg_hi:[0,0,1]
	v_pk_fma_f32 v[0:1], v[34:35], v[28:29], v[0:1] op_sel:[0,0,1] op_sel_hi:[1,0,0]
	ds_load_2addr_b64 v[32:35], v6 offset0:40 offset1:41
	v_mov_b32_e32 v3, v1
	s_delay_alu instid0(VALU_DEP_1) | instskip(SKIP_2) | instid1(VALU_DEP_1)
	v_pk_add_f32 v[206:207], v[206:207], v[2:3] neg_lo:[0,1] neg_hi:[0,1]
	s_wait_dscnt 0x0
	v_pk_mul_f32 v[0:1], v[32:33], v[30:31] op_sel:[0,1]
	v_pk_fma_f32 v[2:3], v[32:33], v[28:29], v[0:1] op_sel:[0,0,1] op_sel_hi:[1,1,0] neg_lo:[0,0,1] neg_hi:[0,0,1]
	v_pk_fma_f32 v[0:1], v[32:33], v[28:29], v[0:1] op_sel:[0,0,1] op_sel_hi:[1,0,0]
	s_delay_alu instid0(VALU_DEP_1) | instskip(SKIP_1) | instid1(VALU_DEP_2)
	v_mov_b32_e32 v3, v1
	v_pk_mul_f32 v[0:1], v[34:35], v[30:31] op_sel:[0,1]
	v_pk_add_f32 v[208:209], v[208:209], v[2:3] neg_lo:[0,1] neg_hi:[0,1]
	s_delay_alu instid0(VALU_DEP_2) | instskip(SKIP_3) | instid1(VALU_DEP_1)
	v_pk_fma_f32 v[2:3], v[34:35], v[28:29], v[0:1] op_sel:[0,0,1] op_sel_hi:[1,1,0] neg_lo:[0,0,1] neg_hi:[0,0,1]
	v_pk_fma_f32 v[0:1], v[34:35], v[28:29], v[0:1] op_sel:[0,0,1] op_sel_hi:[1,0,0]
	ds_load_2addr_b64 v[32:35], v6 offset0:42 offset1:43
	v_mov_b32_e32 v3, v1
	v_pk_add_f32 v[210:211], v[210:211], v[2:3] neg_lo:[0,1] neg_hi:[0,1]
	s_wait_dscnt 0x0
	v_dual_mul_f32 v0, v33, v31 :: v_dual_mul_f32 v2, v33, v28
	s_delay_alu instid0(VALU_DEP_1) | instskip(NEXT) | instid1(VALU_DEP_2)
	v_pk_fma_f32 v[0:1], v[32:33], v[154:155], v[0:1] op_sel_hi:[1,1,0] neg_lo:[0,0,1] neg_hi:[0,0,1]
	v_pk_fma_f32 v[2:3], v[32:33], v[154:155], v[2:3] op_sel:[1,0,0] op_sel_hi:[0,1,0]
	s_delay_alu instid0(VALU_DEP_1) | instskip(NEXT) | instid1(VALU_DEP_1)
	v_mov_b32_e32 v1, v3
	v_pk_add_f32 v[212:213], v[212:213], v[0:1] neg_lo:[0,1] neg_hi:[0,1]
	v_pk_mul_f32 v[0:1], v[34:35], v[30:31] op_sel:[0,1]
	s_delay_alu instid0(VALU_DEP_1) | instskip(SKIP_3) | instid1(VALU_DEP_1)
	v_pk_fma_f32 v[2:3], v[34:35], v[28:29], v[0:1] op_sel:[0,0,1] op_sel_hi:[1,1,0] neg_lo:[0,0,1] neg_hi:[0,0,1]
	v_pk_fma_f32 v[0:1], v[34:35], v[28:29], v[0:1] op_sel:[0,0,1] op_sel_hi:[1,0,0]
	ds_load_2addr_b64 v[32:35], v6 offset0:44 offset1:45
	v_mov_b32_e32 v3, v1
	v_pk_add_f32 v[214:215], v[214:215], v[2:3] neg_lo:[0,1] neg_hi:[0,1]
	s_wait_dscnt 0x0
	v_pk_mul_f32 v[0:1], v[32:33], v[30:31] op_sel:[0,1]
	s_delay_alu instid0(VALU_DEP_1) | instskip(SKIP_1) | instid1(VALU_DEP_1)
	v_pk_fma_f32 v[2:3], v[32:33], v[28:29], v[0:1] op_sel:[0,0,1] op_sel_hi:[1,1,0] neg_lo:[0,0,1] neg_hi:[0,0,1]
	v_pk_fma_f32 v[0:1], v[32:33], v[28:29], v[0:1] op_sel:[0,0,1] op_sel_hi:[1,0,0]
	v_mov_b32_e32 v3, v1
	v_pk_mul_f32 v[0:1], v[34:35], v[30:31] op_sel:[0,1]
	s_delay_alu instid0(VALU_DEP_2) | instskip(NEXT) | instid1(VALU_DEP_2)
	v_pk_add_f32 v[216:217], v[216:217], v[2:3] neg_lo:[0,1] neg_hi:[0,1]
	v_pk_fma_f32 v[2:3], v[34:35], v[28:29], v[0:1] op_sel:[0,0,1] op_sel_hi:[1,1,0] neg_lo:[0,0,1] neg_hi:[0,0,1]
	v_pk_fma_f32 v[0:1], v[34:35], v[28:29], v[0:1] op_sel:[0,0,1] op_sel_hi:[1,0,0]
	ds_load_2addr_b64 v[32:35], v6 offset0:46 offset1:47
	v_mov_b32_e32 v3, v1
	s_delay_alu instid0(VALU_DEP_1) | instskip(SKIP_2) | instid1(VALU_DEP_1)
	v_pk_add_f32 v[218:219], v[218:219], v[2:3] neg_lo:[0,1] neg_hi:[0,1]
	s_wait_dscnt 0x0
	v_pk_mul_f32 v[0:1], v[32:33], v[30:31] op_sel:[0,1]
	v_pk_fma_f32 v[2:3], v[32:33], v[28:29], v[0:1] op_sel:[0,0,1] op_sel_hi:[1,1,0] neg_lo:[0,0,1] neg_hi:[0,0,1]
	v_pk_fma_f32 v[0:1], v[32:33], v[28:29], v[0:1] op_sel:[0,0,1] op_sel_hi:[1,0,0]
	v_dual_mov_b32 v0, v35 :: v_dual_mul_f32 v32, v35, v28
	s_delay_alu instid0(VALU_DEP_2) | instskip(NEXT) | instid1(VALU_DEP_1)
	v_dual_mov_b32 v3, v1 :: v_dual_mov_b32 v1, v34
	v_pk_add_f32 v[220:221], v[220:221], v[2:3] neg_lo:[0,1] neg_hi:[0,1]
	v_mul_f32_e32 v2, v35, v31
	s_delay_alu instid0(VALU_DEP_3) | instskip(NEXT) | instid1(VALU_DEP_2)
	v_pk_fma_f32 v[0:1], v[0:1], v[154:155], v[32:33] op_sel_hi:[1,1,0]
	v_pk_fma_f32 v[2:3], v[34:35], v[154:155], v[2:3] op_sel_hi:[1,1,0] neg_lo:[0,0,1] neg_hi:[0,0,1]
	ds_load_2addr_b64 v[32:35], v6 offset0:48 offset1:49
	v_mov_b32_e32 v3, v1
	s_delay_alu instid0(VALU_DEP_1) | instskip(SKIP_2) | instid1(VALU_DEP_1)
	v_pk_add_f32 v[222:223], v[222:223], v[2:3] neg_lo:[0,1] neg_hi:[0,1]
	s_wait_dscnt 0x0
	v_pk_mul_f32 v[0:1], v[32:33], v[30:31] op_sel:[0,1]
	v_pk_fma_f32 v[2:3], v[32:33], v[28:29], v[0:1] op_sel:[0,0,1] op_sel_hi:[1,1,0] neg_lo:[0,0,1] neg_hi:[0,0,1]
	v_pk_fma_f32 v[0:1], v[32:33], v[28:29], v[0:1] op_sel:[0,0,1] op_sel_hi:[1,0,0]
	s_delay_alu instid0(VALU_DEP_1) | instskip(SKIP_1) | instid1(VALU_DEP_2)
	v_mov_b32_e32 v3, v1
	v_pk_mul_f32 v[0:1], v[34:35], v[30:31] op_sel:[0,1]
	v_pk_add_f32 v[224:225], v[224:225], v[2:3] neg_lo:[0,1] neg_hi:[0,1]
	s_delay_alu instid0(VALU_DEP_2) | instskip(SKIP_3) | instid1(VALU_DEP_1)
	v_pk_fma_f32 v[2:3], v[34:35], v[28:29], v[0:1] op_sel:[0,0,1] op_sel_hi:[1,1,0] neg_lo:[0,0,1] neg_hi:[0,0,1]
	v_pk_fma_f32 v[0:1], v[34:35], v[28:29], v[0:1] op_sel:[0,0,1] op_sel_hi:[1,0,0]
	ds_load_2addr_b64 v[32:35], v6 offset0:50 offset1:51
	v_mov_b32_e32 v3, v1
	v_pk_add_f32 v[226:227], v[226:227], v[2:3] neg_lo:[0,1] neg_hi:[0,1]
	s_wait_dscnt 0x0
	v_pk_mul_f32 v[0:1], v[32:33], v[30:31] op_sel:[0,1]
	s_delay_alu instid0(VALU_DEP_1) | instskip(SKIP_1) | instid1(VALU_DEP_1)
	v_pk_fma_f32 v[2:3], v[32:33], v[28:29], v[0:1] op_sel:[0,0,1] op_sel_hi:[1,1,0] neg_lo:[0,0,1] neg_hi:[0,0,1]
	v_pk_fma_f32 v[0:1], v[32:33], v[28:29], v[0:1] op_sel:[0,0,1] op_sel_hi:[1,0,0]
	v_mov_b32_e32 v3, v1
	v_pk_mul_f32 v[0:1], v[34:35], v[30:31] op_sel:[0,1]
	s_delay_alu instid0(VALU_DEP_2) | instskip(NEXT) | instid1(VALU_DEP_2)
	v_pk_add_f32 v[228:229], v[228:229], v[2:3] neg_lo:[0,1] neg_hi:[0,1]
	v_pk_fma_f32 v[2:3], v[34:35], v[28:29], v[0:1] op_sel:[0,0,1] op_sel_hi:[1,1,0] neg_lo:[0,0,1] neg_hi:[0,0,1]
	v_pk_fma_f32 v[0:1], v[34:35], v[28:29], v[0:1] op_sel:[0,0,1] op_sel_hi:[1,0,0]
	ds_load_2addr_b64 v[32:35], v6 offset0:52 offset1:53
	v_mov_b32_e32 v3, v1
	s_delay_alu instid0(VALU_DEP_1) | instskip(SKIP_2) | instid1(VALU_DEP_1)
	v_pk_add_f32 v[230:231], v[230:231], v[2:3] neg_lo:[0,1] neg_hi:[0,1]
	s_wait_dscnt 0x0
	v_dual_mul_f32 v2, v33, v28 :: v_dual_mul_f32 v0, v33, v31
	v_pk_fma_f32 v[2:3], v[32:33], v[154:155], v[2:3] op_sel:[1,0,0] op_sel_hi:[0,1,0]
	s_delay_alu instid0(VALU_DEP_2) | instskip(NEXT) | instid1(VALU_DEP_2)
	v_pk_fma_f32 v[0:1], v[32:33], v[154:155], v[0:1] op_sel_hi:[1,1,0] neg_lo:[0,0,1] neg_hi:[0,0,1]
	v_mov_b32_e32 v1, v3
	s_delay_alu instid0(VALU_DEP_1) | instskip(SKIP_1) | instid1(VALU_DEP_1)
	v_pk_add_f32 v[232:233], v[232:233], v[0:1] neg_lo:[0,1] neg_hi:[0,1]
	v_pk_mul_f32 v[0:1], v[34:35], v[30:31] op_sel:[0,1]
	v_pk_fma_f32 v[2:3], v[34:35], v[28:29], v[0:1] op_sel:[0,0,1] op_sel_hi:[1,1,0] neg_lo:[0,0,1] neg_hi:[0,0,1]
	v_pk_fma_f32 v[0:1], v[34:35], v[28:29], v[0:1] op_sel:[0,0,1] op_sel_hi:[1,0,0]
	ds_load_2addr_b64 v[32:35], v6 offset0:54 offset1:55
	v_mov_b32_e32 v3, v1
	s_delay_alu instid0(VALU_DEP_1) | instskip(SKIP_2) | instid1(VALU_DEP_1)
	v_pk_add_f32 v[234:235], v[234:235], v[2:3] neg_lo:[0,1] neg_hi:[0,1]
	s_wait_dscnt 0x0
	v_pk_mul_f32 v[0:1], v[32:33], v[30:31] op_sel:[0,1]
	v_pk_fma_f32 v[2:3], v[32:33], v[28:29], v[0:1] op_sel:[0,0,1] op_sel_hi:[1,1,0] neg_lo:[0,0,1] neg_hi:[0,0,1]
	v_pk_fma_f32 v[0:1], v[32:33], v[28:29], v[0:1] op_sel:[0,0,1] op_sel_hi:[1,0,0]
	s_delay_alu instid0(VALU_DEP_1) | instskip(SKIP_1) | instid1(VALU_DEP_2)
	v_mov_b32_e32 v3, v1
	v_pk_mul_f32 v[0:1], v[34:35], v[30:31] op_sel:[0,1]
	v_pk_add_f32 v[236:237], v[236:237], v[2:3] neg_lo:[0,1] neg_hi:[0,1]
	s_delay_alu instid0(VALU_DEP_2) | instskip(SKIP_3) | instid1(VALU_DEP_1)
	v_pk_fma_f32 v[2:3], v[34:35], v[28:29], v[0:1] op_sel:[0,0,1] op_sel_hi:[1,1,0] neg_lo:[0,0,1] neg_hi:[0,0,1]
	v_pk_fma_f32 v[0:1], v[34:35], v[28:29], v[0:1] op_sel:[0,0,1] op_sel_hi:[1,0,0]
	ds_load_2addr_b64 v[32:35], v6 offset0:56 offset1:57
	v_mov_b32_e32 v3, v1
	v_pk_add_f32 v[238:239], v[238:239], v[2:3] neg_lo:[0,1] neg_hi:[0,1]
	s_wait_dscnt 0x0
	v_pk_mul_f32 v[0:1], v[32:33], v[30:31] op_sel:[0,1]
	s_delay_alu instid0(VALU_DEP_1) | instskip(SKIP_2) | instid1(VALU_DEP_2)
	v_pk_fma_f32 v[2:3], v[32:33], v[28:29], v[0:1] op_sel:[0,0,1] op_sel_hi:[1,1,0] neg_lo:[0,0,1] neg_hi:[0,0,1]
	v_pk_fma_f32 v[0:1], v[32:33], v[28:29], v[0:1] op_sel:[0,0,1] op_sel_hi:[1,0,0]
	v_dual_mov_b32 v0, v35 :: v_dual_mul_f32 v32, v35, v28
	v_dual_mov_b32 v3, v1 :: v_dual_mov_b32 v1, v34
	s_delay_alu instid0(VALU_DEP_1) | instskip(SKIP_1) | instid1(VALU_DEP_3)
	v_pk_add_f32 v[248:249], v[248:249], v[2:3] neg_lo:[0,1] neg_hi:[0,1]
	v_mul_f32_e32 v2, v35, v31
	v_pk_fma_f32 v[0:1], v[0:1], v[154:155], v[32:33] op_sel_hi:[1,1,0]
	s_delay_alu instid0(VALU_DEP_2) | instskip(SKIP_2) | instid1(VALU_DEP_1)
	v_pk_fma_f32 v[2:3], v[34:35], v[154:155], v[2:3] op_sel_hi:[1,1,0] neg_lo:[0,0,1] neg_hi:[0,0,1]
	ds_load_2addr_b64 v[32:35], v6 offset0:58 offset1:59
	v_mov_b32_e32 v3, v1
	v_pk_add_f32 v[242:243], v[242:243], v[2:3] neg_lo:[0,1] neg_hi:[0,1]
	s_wait_dscnt 0x0
	v_pk_mul_f32 v[0:1], v[32:33], v[30:31] op_sel:[0,1]
	s_delay_alu instid0(VALU_DEP_1) | instskip(SKIP_1) | instid1(VALU_DEP_1)
	v_pk_fma_f32 v[2:3], v[32:33], v[28:29], v[0:1] op_sel:[0,0,1] op_sel_hi:[1,1,0] neg_lo:[0,0,1] neg_hi:[0,0,1]
	v_pk_fma_f32 v[0:1], v[32:33], v[28:29], v[0:1] op_sel:[0,0,1] op_sel_hi:[1,0,0]
	v_mov_b32_e32 v3, v1
	v_pk_mul_f32 v[0:1], v[34:35], v[30:31] op_sel:[0,1]
	s_delay_alu instid0(VALU_DEP_2) | instskip(NEXT) | instid1(VALU_DEP_2)
	v_pk_add_f32 v[246:247], v[246:247], v[2:3] neg_lo:[0,1] neg_hi:[0,1]
	v_pk_fma_f32 v[2:3], v[34:35], v[28:29], v[0:1] op_sel:[0,0,1] op_sel_hi:[1,1,0] neg_lo:[0,0,1] neg_hi:[0,0,1]
	v_pk_fma_f32 v[0:1], v[34:35], v[28:29], v[0:1] op_sel:[0,0,1] op_sel_hi:[1,0,0]
	ds_load_2addr_b64 v[32:35], v6 offset0:60 offset1:61
	v_mov_b32_e32 v3, v1
	s_delay_alu instid0(VALU_DEP_1) | instskip(SKIP_2) | instid1(VALU_DEP_1)
	v_pk_add_f32 v[240:241], v[240:241], v[2:3] neg_lo:[0,1] neg_hi:[0,1]
	s_wait_dscnt 0x0
	v_pk_mul_f32 v[0:1], v[32:33], v[30:31] op_sel:[0,1]
	v_pk_fma_f32 v[2:3], v[32:33], v[28:29], v[0:1] op_sel:[0,0,1] op_sel_hi:[1,1,0] neg_lo:[0,0,1] neg_hi:[0,0,1]
	v_pk_fma_f32 v[0:1], v[32:33], v[28:29], v[0:1] op_sel:[0,0,1] op_sel_hi:[1,0,0]
	s_delay_alu instid0(VALU_DEP_1) | instskip(SKIP_1) | instid1(VALU_DEP_2)
	v_mov_b32_e32 v3, v1
	v_pk_mul_f32 v[0:1], v[34:35], v[30:31] op_sel:[0,1]
	v_pk_add_f32 v[244:245], v[244:245], v[2:3] neg_lo:[0,1] neg_hi:[0,1]
	s_delay_alu instid0(VALU_DEP_2) | instskip(SKIP_1) | instid1(VALU_DEP_1)
	v_pk_fma_f32 v[2:3], v[34:35], v[28:29], v[0:1] op_sel:[0,0,1] op_sel_hi:[1,1,0] neg_lo:[0,0,1] neg_hi:[0,0,1]
	v_pk_fma_f32 v[0:1], v[34:35], v[28:29], v[0:1] op_sel:[0,0,1] op_sel_hi:[1,0,0]
	v_mov_b32_e32 v3, v1
	ds_load_b64 v[0:1], v6 offset:496
	v_pk_add_f32 v[250:251], v[250:251], v[2:3] neg_lo:[0,1] neg_hi:[0,1]
	s_wait_dscnt 0x0
	v_pk_mul_f32 v[2:3], v[0:1], v[30:31] op_sel:[0,1]
	s_delay_alu instid0(VALU_DEP_1) | instskip(SKIP_1) | instid1(VALU_DEP_1)
	v_pk_fma_f32 v[30:31], v[0:1], v[28:29], v[2:3] op_sel:[0,0,1] op_sel_hi:[1,1,0] neg_lo:[0,0,1] neg_hi:[0,0,1]
	v_pk_fma_f32 v[0:1], v[0:1], v[28:29], v[2:3] op_sel:[0,0,1] op_sel_hi:[1,0,0]
	v_mov_b32_e32 v31, v1
	s_delay_alu instid0(VALU_DEP_1)
	v_pk_add_f32 v[252:253], v[252:253], v[30:31] neg_lo:[0,1] neg_hi:[0,1]
.LBB125_127:
	s_or_b32 exec_lo, exec_lo, s1
	s_delay_alu instid0(SALU_CYCLE_1)
	s_mov_b32 s2, exec_lo
	s_wait_dscnt 0x0
	s_barrier_signal -1
	s_barrier_wait -1
	v_cmpx_eq_u32_e32 14, v254
	s_cbranch_execz .LBB125_134
; %bb.128:
	ds_store_b64 v255, v[156:157]
	ds_store_2addr_b64 v6, v[158:159], v[160:161] offset0:15 offset1:16
	ds_store_2addr_b64 v6, v[162:163], v[164:165] offset0:17 offset1:18
	;; [unrolled: 1-line block ×24, first 2 shown]
	ds_load_b64 v[28:29], v255
	s_wait_dscnt 0x0
	v_cmp_neq_f32_e32 vcc_lo, 0, v28
	v_cmp_neq_f32_e64 s1, 0, v29
	s_or_b32 s1, vcc_lo, s1
	s_delay_alu instid0(SALU_CYCLE_1)
	s_and_b32 exec_lo, exec_lo, s1
	s_cbranch_execz .LBB125_134
; %bb.129:
	v_cmp_ngt_f32_e64 s1, |v28|, |v29|
                                        ; implicit-def: $vgpr30_vgpr31
	s_and_saveexec_b32 s4, s1
	s_delay_alu instid0(SALU_CYCLE_1)
	s_xor_b32 s1, exec_lo, s4
	s_cbranch_execz .LBB125_131
; %bb.130:
	v_div_scale_f32 v0, null, v29, v29, v28
	v_div_scale_f32 v3, vcc_lo, v28, v29, v28
	s_delay_alu instid0(VALU_DEP_2) | instskip(SKIP_1) | instid1(TRANS32_DEP_1)
	v_rcp_f32_e32 v1, v0
	v_nop
	v_fma_f32 v2, -v0, v1, 1.0
	s_delay_alu instid0(VALU_DEP_1) | instskip(NEXT) | instid1(VALU_DEP_1)
	v_fmac_f32_e32 v1, v2, v1
	v_mul_f32_e32 v2, v3, v1
	s_delay_alu instid0(VALU_DEP_1) | instskip(NEXT) | instid1(VALU_DEP_1)
	v_fma_f32 v4, -v0, v2, v3
	v_fmac_f32_e32 v2, v4, v1
	s_delay_alu instid0(VALU_DEP_1) | instskip(NEXT) | instid1(VALU_DEP_1)
	v_fma_f32 v0, -v0, v2, v3
	v_div_fmas_f32 v0, v0, v1, v2
	s_delay_alu instid0(VALU_DEP_1) | instskip(NEXT) | instid1(VALU_DEP_1)
	v_div_fixup_f32 v0, v0, v29, v28
	v_fmac_f32_e32 v29, v28, v0
	s_delay_alu instid0(VALU_DEP_1) | instskip(SKIP_1) | instid1(VALU_DEP_2)
	v_div_scale_f32 v1, null, v29, v29, 1.0
	v_div_scale_f32 v4, vcc_lo, 1.0, v29, 1.0
	v_rcp_f32_e32 v2, v1
	v_nop
	s_delay_alu instid0(TRANS32_DEP_1) | instskip(NEXT) | instid1(VALU_DEP_1)
	v_fma_f32 v3, -v1, v2, 1.0
	v_fmac_f32_e32 v2, v3, v2
	s_delay_alu instid0(VALU_DEP_1) | instskip(NEXT) | instid1(VALU_DEP_1)
	v_mul_f32_e32 v3, v4, v2
	v_fma_f32 v5, -v1, v3, v4
	s_delay_alu instid0(VALU_DEP_1) | instskip(NEXT) | instid1(VALU_DEP_1)
	v_fmac_f32_e32 v3, v5, v2
	v_fma_f32 v1, -v1, v3, v4
	s_delay_alu instid0(VALU_DEP_1) | instskip(NEXT) | instid1(VALU_DEP_1)
	v_div_fmas_f32 v1, v1, v2, v3
	v_div_fixup_f32 v1, v1, v29, 1.0
                                        ; implicit-def: $vgpr28_vgpr29
	s_delay_alu instid0(VALU_DEP_1)
	v_mul_f32_e32 v30, v0, v1
	v_xor_b32_e32 v31, 0x80000000, v1
.LBB125_131:
	s_and_not1_saveexec_b32 s1, s1
	s_cbranch_execz .LBB125_133
; %bb.132:
	v_div_scale_f32 v0, null, v28, v28, v29
	v_div_scale_f32 v3, vcc_lo, v29, v28, v29
	s_delay_alu instid0(VALU_DEP_2) | instskip(SKIP_1) | instid1(TRANS32_DEP_1)
	v_rcp_f32_e32 v1, v0
	v_nop
	v_fma_f32 v2, -v0, v1, 1.0
	s_delay_alu instid0(VALU_DEP_1) | instskip(NEXT) | instid1(VALU_DEP_1)
	v_fmac_f32_e32 v1, v2, v1
	v_mul_f32_e32 v2, v3, v1
	s_delay_alu instid0(VALU_DEP_1) | instskip(NEXT) | instid1(VALU_DEP_1)
	v_fma_f32 v4, -v0, v2, v3
	v_fmac_f32_e32 v2, v4, v1
	s_delay_alu instid0(VALU_DEP_1) | instskip(NEXT) | instid1(VALU_DEP_1)
	v_fma_f32 v0, -v0, v2, v3
	v_div_fmas_f32 v0, v0, v1, v2
	s_delay_alu instid0(VALU_DEP_1) | instskip(NEXT) | instid1(VALU_DEP_1)
	v_div_fixup_f32 v0, v0, v28, v29
	v_fmac_f32_e32 v28, v29, v0
	s_delay_alu instid0(VALU_DEP_1) | instskip(NEXT) | instid1(VALU_DEP_1)
	v_div_scale_f32 v1, null, v28, v28, 1.0
	v_rcp_f32_e32 v2, v1
	v_nop
	s_delay_alu instid0(TRANS32_DEP_1) | instskip(NEXT) | instid1(VALU_DEP_1)
	v_fma_f32 v3, -v1, v2, 1.0
	v_fmac_f32_e32 v2, v3, v2
	v_div_scale_f32 v3, vcc_lo, 1.0, v28, 1.0
	s_delay_alu instid0(VALU_DEP_1) | instskip(NEXT) | instid1(VALU_DEP_1)
	v_mul_f32_e32 v4, v3, v2
	v_fma_f32 v5, -v1, v4, v3
	s_delay_alu instid0(VALU_DEP_1) | instskip(NEXT) | instid1(VALU_DEP_1)
	v_fmac_f32_e32 v4, v5, v2
	v_fma_f32 v1, -v1, v4, v3
	s_delay_alu instid0(VALU_DEP_1) | instskip(NEXT) | instid1(VALU_DEP_1)
	v_div_fmas_f32 v1, v1, v2, v4
	v_div_fixup_f32 v30, v1, v28, 1.0
	s_delay_alu instid0(VALU_DEP_1)
	v_mul_f32_e64 v31, v0, -v30
.LBB125_133:
	s_or_b32 exec_lo, exec_lo, s1
	ds_store_b64 v255, v[30:31]
.LBB125_134:
	s_or_b32 exec_lo, exec_lo, s2
	s_wait_dscnt 0x0
	s_barrier_signal -1
	s_barrier_wait -1
	ds_load_b64 v[28:29], v255
	s_mov_b32 s1, exec_lo
	v_cmpx_lt_u32_e32 14, v254
	s_cbranch_execz .LBB125_136
; %bb.135:
	ds_load_2addr_b64 v[34:37], v6 offset0:15 offset1:16
	s_wait_dscnt 0x1
	v_pk_mul_f32 v[0:1], v[28:29], v[156:157] op_sel:[1,1] op_sel_hi:[0,1]
	s_delay_alu instid0(VALU_DEP_1) | instskip(SKIP_1) | instid1(VALU_DEP_1)
	v_pk_fma_f32 v[32:33], v[28:29], v[156:157], v[0:1] op_sel_hi:[1,0,1]
	v_pk_fma_f32 v[30:31], v[28:29], v[156:157], v[0:1] op_sel_hi:[1,0,1] neg_lo:[0,0,1] neg_hi:[0,0,1]
	v_dual_mov_b32 v157, v33 :: v_dual_mov_b32 v156, v30
	s_wait_dscnt 0x0
	s_delay_alu instid0(VALU_DEP_3) | instskip(NEXT) | instid1(VALU_DEP_1)
	v_pk_mul_f32 v[0:1], v[34:35], v[32:33] op_sel:[0,1]
	v_pk_fma_f32 v[2:3], v[34:35], v[30:31], v[0:1] op_sel:[0,0,1] op_sel_hi:[1,1,0] neg_lo:[0,0,1] neg_hi:[0,0,1]
	v_pk_fma_f32 v[0:1], v[34:35], v[30:31], v[0:1] op_sel:[0,0,1] op_sel_hi:[1,0,0]
	s_delay_alu instid0(VALU_DEP_1) | instskip(SKIP_1) | instid1(VALU_DEP_2)
	v_mov_b32_e32 v3, v1
	v_pk_mul_f32 v[0:1], v[36:37], v[32:33] op_sel:[0,1]
	v_pk_add_f32 v[158:159], v[158:159], v[2:3] neg_lo:[0,1] neg_hi:[0,1]
	s_delay_alu instid0(VALU_DEP_2) | instskip(SKIP_3) | instid1(VALU_DEP_1)
	v_pk_fma_f32 v[2:3], v[36:37], v[30:31], v[0:1] op_sel:[0,0,1] op_sel_hi:[1,1,0] neg_lo:[0,0,1] neg_hi:[0,0,1]
	v_pk_fma_f32 v[0:1], v[36:37], v[30:31], v[0:1] op_sel:[0,0,1] op_sel_hi:[1,0,0]
	ds_load_2addr_b64 v[34:37], v6 offset0:17 offset1:18
	v_mov_b32_e32 v3, v1
	v_pk_add_f32 v[160:161], v[160:161], v[2:3] neg_lo:[0,1] neg_hi:[0,1]
	s_wait_dscnt 0x0
	v_pk_mul_f32 v[0:1], v[34:35], v[32:33] op_sel:[0,1]
	s_delay_alu instid0(VALU_DEP_1) | instskip(SKIP_2) | instid1(VALU_DEP_2)
	v_pk_fma_f32 v[2:3], v[34:35], v[30:31], v[0:1] op_sel:[0,0,1] op_sel_hi:[1,1,0] neg_lo:[0,0,1] neg_hi:[0,0,1]
	v_pk_fma_f32 v[0:1], v[34:35], v[30:31], v[0:1] op_sel:[0,0,1] op_sel_hi:[1,0,0]
	v_dual_mov_b32 v0, v37 :: v_dual_mul_f32 v34, v37, v30
	v_dual_mov_b32 v3, v1 :: v_dual_mov_b32 v1, v36
	s_delay_alu instid0(VALU_DEP_1) | instskip(SKIP_1) | instid1(VALU_DEP_3)
	v_pk_add_f32 v[162:163], v[162:163], v[2:3] neg_lo:[0,1] neg_hi:[0,1]
	v_mul_f32_e32 v2, v37, v33
	v_pk_fma_f32 v[0:1], v[0:1], v[156:157], v[34:35] op_sel_hi:[1,1,0]
	s_delay_alu instid0(VALU_DEP_2) | instskip(SKIP_2) | instid1(VALU_DEP_1)
	v_pk_fma_f32 v[2:3], v[36:37], v[156:157], v[2:3] op_sel_hi:[1,1,0] neg_lo:[0,0,1] neg_hi:[0,0,1]
	ds_load_2addr_b64 v[34:37], v6 offset0:19 offset1:20
	v_mov_b32_e32 v3, v1
	v_pk_add_f32 v[164:165], v[164:165], v[2:3] neg_lo:[0,1] neg_hi:[0,1]
	s_wait_dscnt 0x0
	v_pk_mul_f32 v[0:1], v[34:35], v[32:33] op_sel:[0,1]
	s_delay_alu instid0(VALU_DEP_1) | instskip(SKIP_1) | instid1(VALU_DEP_1)
	v_pk_fma_f32 v[2:3], v[34:35], v[30:31], v[0:1] op_sel:[0,0,1] op_sel_hi:[1,1,0] neg_lo:[0,0,1] neg_hi:[0,0,1]
	v_pk_fma_f32 v[0:1], v[34:35], v[30:31], v[0:1] op_sel:[0,0,1] op_sel_hi:[1,0,0]
	v_mov_b32_e32 v3, v1
	v_pk_mul_f32 v[0:1], v[36:37], v[32:33] op_sel:[0,1]
	s_delay_alu instid0(VALU_DEP_2) | instskip(NEXT) | instid1(VALU_DEP_2)
	v_pk_add_f32 v[166:167], v[166:167], v[2:3] neg_lo:[0,1] neg_hi:[0,1]
	v_pk_fma_f32 v[2:3], v[36:37], v[30:31], v[0:1] op_sel:[0,0,1] op_sel_hi:[1,1,0] neg_lo:[0,0,1] neg_hi:[0,0,1]
	v_pk_fma_f32 v[0:1], v[36:37], v[30:31], v[0:1] op_sel:[0,0,1] op_sel_hi:[1,0,0]
	ds_load_2addr_b64 v[34:37], v6 offset0:21 offset1:22
	v_mov_b32_e32 v3, v1
	s_delay_alu instid0(VALU_DEP_1) | instskip(SKIP_2) | instid1(VALU_DEP_1)
	v_pk_add_f32 v[168:169], v[168:169], v[2:3] neg_lo:[0,1] neg_hi:[0,1]
	s_wait_dscnt 0x0
	v_pk_mul_f32 v[0:1], v[34:35], v[32:33] op_sel:[0,1]
	v_pk_fma_f32 v[2:3], v[34:35], v[30:31], v[0:1] op_sel:[0,0,1] op_sel_hi:[1,1,0] neg_lo:[0,0,1] neg_hi:[0,0,1]
	v_pk_fma_f32 v[0:1], v[34:35], v[30:31], v[0:1] op_sel:[0,0,1] op_sel_hi:[1,0,0]
	s_delay_alu instid0(VALU_DEP_1) | instskip(SKIP_1) | instid1(VALU_DEP_2)
	v_mov_b32_e32 v3, v1
	v_pk_mul_f32 v[0:1], v[36:37], v[32:33] op_sel:[0,1]
	v_pk_add_f32 v[170:171], v[170:171], v[2:3] neg_lo:[0,1] neg_hi:[0,1]
	s_delay_alu instid0(VALU_DEP_2) | instskip(SKIP_3) | instid1(VALU_DEP_1)
	v_pk_fma_f32 v[2:3], v[36:37], v[30:31], v[0:1] op_sel:[0,0,1] op_sel_hi:[1,1,0] neg_lo:[0,0,1] neg_hi:[0,0,1]
	v_pk_fma_f32 v[0:1], v[36:37], v[30:31], v[0:1] op_sel:[0,0,1] op_sel_hi:[1,0,0]
	ds_load_2addr_b64 v[34:37], v6 offset0:23 offset1:24
	v_mov_b32_e32 v3, v1
	v_pk_add_f32 v[172:173], v[172:173], v[2:3] neg_lo:[0,1] neg_hi:[0,1]
	s_wait_dscnt 0x0
	v_dual_mul_f32 v2, v35, v30 :: v_dual_mul_f32 v0, v35, v33
	s_delay_alu instid0(VALU_DEP_1) | instskip(NEXT) | instid1(VALU_DEP_2)
	v_pk_fma_f32 v[2:3], v[34:35], v[156:157], v[2:3] op_sel:[1,0,0] op_sel_hi:[0,1,0]
	v_pk_fma_f32 v[0:1], v[34:35], v[156:157], v[0:1] op_sel_hi:[1,1,0] neg_lo:[0,0,1] neg_hi:[0,0,1]
	s_delay_alu instid0(VALU_DEP_2) | instskip(NEXT) | instid1(VALU_DEP_1)
	v_mov_b32_e32 v1, v3
	v_pk_add_f32 v[174:175], v[174:175], v[0:1] neg_lo:[0,1] neg_hi:[0,1]
	v_pk_mul_f32 v[0:1], v[36:37], v[32:33] op_sel:[0,1]
	s_delay_alu instid0(VALU_DEP_1) | instskip(SKIP_3) | instid1(VALU_DEP_1)
	v_pk_fma_f32 v[2:3], v[36:37], v[30:31], v[0:1] op_sel:[0,0,1] op_sel_hi:[1,1,0] neg_lo:[0,0,1] neg_hi:[0,0,1]
	v_pk_fma_f32 v[0:1], v[36:37], v[30:31], v[0:1] op_sel:[0,0,1] op_sel_hi:[1,0,0]
	ds_load_2addr_b64 v[34:37], v6 offset0:25 offset1:26
	v_mov_b32_e32 v3, v1
	v_pk_add_f32 v[176:177], v[176:177], v[2:3] neg_lo:[0,1] neg_hi:[0,1]
	s_wait_dscnt 0x0
	v_pk_mul_f32 v[0:1], v[34:35], v[32:33] op_sel:[0,1]
	s_delay_alu instid0(VALU_DEP_1) | instskip(SKIP_1) | instid1(VALU_DEP_1)
	v_pk_fma_f32 v[2:3], v[34:35], v[30:31], v[0:1] op_sel:[0,0,1] op_sel_hi:[1,1,0] neg_lo:[0,0,1] neg_hi:[0,0,1]
	v_pk_fma_f32 v[0:1], v[34:35], v[30:31], v[0:1] op_sel:[0,0,1] op_sel_hi:[1,0,0]
	v_mov_b32_e32 v3, v1
	v_pk_mul_f32 v[0:1], v[36:37], v[32:33] op_sel:[0,1]
	s_delay_alu instid0(VALU_DEP_2) | instskip(NEXT) | instid1(VALU_DEP_2)
	v_pk_add_f32 v[178:179], v[178:179], v[2:3] neg_lo:[0,1] neg_hi:[0,1]
	v_pk_fma_f32 v[2:3], v[36:37], v[30:31], v[0:1] op_sel:[0,0,1] op_sel_hi:[1,1,0] neg_lo:[0,0,1] neg_hi:[0,0,1]
	v_pk_fma_f32 v[0:1], v[36:37], v[30:31], v[0:1] op_sel:[0,0,1] op_sel_hi:[1,0,0]
	ds_load_2addr_b64 v[34:37], v6 offset0:27 offset1:28
	v_mov_b32_e32 v3, v1
	s_delay_alu instid0(VALU_DEP_1) | instskip(SKIP_2) | instid1(VALU_DEP_1)
	v_pk_add_f32 v[180:181], v[180:181], v[2:3] neg_lo:[0,1] neg_hi:[0,1]
	s_wait_dscnt 0x0
	v_pk_mul_f32 v[0:1], v[34:35], v[32:33] op_sel:[0,1]
	v_pk_fma_f32 v[2:3], v[34:35], v[30:31], v[0:1] op_sel:[0,0,1] op_sel_hi:[1,1,0] neg_lo:[0,0,1] neg_hi:[0,0,1]
	v_pk_fma_f32 v[0:1], v[34:35], v[30:31], v[0:1] op_sel:[0,0,1] op_sel_hi:[1,0,0]
	v_dual_mov_b32 v0, v37 :: v_dual_mul_f32 v34, v37, v30
	s_delay_alu instid0(VALU_DEP_2) | instskip(NEXT) | instid1(VALU_DEP_1)
	v_dual_mov_b32 v3, v1 :: v_dual_mov_b32 v1, v36
	v_pk_add_f32 v[182:183], v[182:183], v[2:3] neg_lo:[0,1] neg_hi:[0,1]
	v_mul_f32_e32 v2, v37, v33
	s_delay_alu instid0(VALU_DEP_3) | instskip(NEXT) | instid1(VALU_DEP_2)
	v_pk_fma_f32 v[0:1], v[0:1], v[156:157], v[34:35] op_sel_hi:[1,1,0]
	v_pk_fma_f32 v[2:3], v[36:37], v[156:157], v[2:3] op_sel_hi:[1,1,0] neg_lo:[0,0,1] neg_hi:[0,0,1]
	ds_load_2addr_b64 v[34:37], v6 offset0:29 offset1:30
	v_mov_b32_e32 v3, v1
	s_delay_alu instid0(VALU_DEP_1) | instskip(SKIP_2) | instid1(VALU_DEP_1)
	v_pk_add_f32 v[184:185], v[184:185], v[2:3] neg_lo:[0,1] neg_hi:[0,1]
	s_wait_dscnt 0x0
	v_pk_mul_f32 v[0:1], v[34:35], v[32:33] op_sel:[0,1]
	v_pk_fma_f32 v[2:3], v[34:35], v[30:31], v[0:1] op_sel:[0,0,1] op_sel_hi:[1,1,0] neg_lo:[0,0,1] neg_hi:[0,0,1]
	v_pk_fma_f32 v[0:1], v[34:35], v[30:31], v[0:1] op_sel:[0,0,1] op_sel_hi:[1,0,0]
	s_delay_alu instid0(VALU_DEP_1) | instskip(SKIP_1) | instid1(VALU_DEP_2)
	v_mov_b32_e32 v3, v1
	v_pk_mul_f32 v[0:1], v[36:37], v[32:33] op_sel:[0,1]
	v_pk_add_f32 v[186:187], v[186:187], v[2:3] neg_lo:[0,1] neg_hi:[0,1]
	s_delay_alu instid0(VALU_DEP_2) | instskip(SKIP_3) | instid1(VALU_DEP_1)
	v_pk_fma_f32 v[2:3], v[36:37], v[30:31], v[0:1] op_sel:[0,0,1] op_sel_hi:[1,1,0] neg_lo:[0,0,1] neg_hi:[0,0,1]
	v_pk_fma_f32 v[0:1], v[36:37], v[30:31], v[0:1] op_sel:[0,0,1] op_sel_hi:[1,0,0]
	ds_load_2addr_b64 v[34:37], v6 offset0:31 offset1:32
	v_mov_b32_e32 v3, v1
	v_pk_add_f32 v[188:189], v[188:189], v[2:3] neg_lo:[0,1] neg_hi:[0,1]
	s_wait_dscnt 0x0
	v_pk_mul_f32 v[0:1], v[34:35], v[32:33] op_sel:[0,1]
	s_delay_alu instid0(VALU_DEP_1) | instskip(SKIP_1) | instid1(VALU_DEP_1)
	v_pk_fma_f32 v[2:3], v[34:35], v[30:31], v[0:1] op_sel:[0,0,1] op_sel_hi:[1,1,0] neg_lo:[0,0,1] neg_hi:[0,0,1]
	v_pk_fma_f32 v[0:1], v[34:35], v[30:31], v[0:1] op_sel:[0,0,1] op_sel_hi:[1,0,0]
	v_mov_b32_e32 v3, v1
	v_pk_mul_f32 v[0:1], v[36:37], v[32:33] op_sel:[0,1]
	s_delay_alu instid0(VALU_DEP_2) | instskip(NEXT) | instid1(VALU_DEP_2)
	v_pk_add_f32 v[190:191], v[190:191], v[2:3] neg_lo:[0,1] neg_hi:[0,1]
	v_pk_fma_f32 v[2:3], v[36:37], v[30:31], v[0:1] op_sel:[0,0,1] op_sel_hi:[1,1,0] neg_lo:[0,0,1] neg_hi:[0,0,1]
	v_pk_fma_f32 v[0:1], v[36:37], v[30:31], v[0:1] op_sel:[0,0,1] op_sel_hi:[1,0,0]
	ds_load_2addr_b64 v[34:37], v6 offset0:33 offset1:34
	v_mov_b32_e32 v3, v1
	s_delay_alu instid0(VALU_DEP_1) | instskip(SKIP_2) | instid1(VALU_DEP_1)
	v_pk_add_f32 v[192:193], v[192:193], v[2:3] neg_lo:[0,1] neg_hi:[0,1]
	s_wait_dscnt 0x0
	v_dual_mul_f32 v2, v35, v30 :: v_dual_mul_f32 v0, v35, v33
	v_pk_fma_f32 v[2:3], v[34:35], v[156:157], v[2:3] op_sel:[1,0,0] op_sel_hi:[0,1,0]
	s_delay_alu instid0(VALU_DEP_2) | instskip(NEXT) | instid1(VALU_DEP_2)
	v_pk_fma_f32 v[0:1], v[34:35], v[156:157], v[0:1] op_sel_hi:[1,1,0] neg_lo:[0,0,1] neg_hi:[0,0,1]
	v_mov_b32_e32 v1, v3
	s_delay_alu instid0(VALU_DEP_1) | instskip(SKIP_1) | instid1(VALU_DEP_1)
	v_pk_add_f32 v[194:195], v[194:195], v[0:1] neg_lo:[0,1] neg_hi:[0,1]
	v_pk_mul_f32 v[0:1], v[36:37], v[32:33] op_sel:[0,1]
	v_pk_fma_f32 v[2:3], v[36:37], v[30:31], v[0:1] op_sel:[0,0,1] op_sel_hi:[1,1,0] neg_lo:[0,0,1] neg_hi:[0,0,1]
	v_pk_fma_f32 v[0:1], v[36:37], v[30:31], v[0:1] op_sel:[0,0,1] op_sel_hi:[1,0,0]
	ds_load_2addr_b64 v[34:37], v6 offset0:35 offset1:36
	v_mov_b32_e32 v3, v1
	s_delay_alu instid0(VALU_DEP_1) | instskip(SKIP_2) | instid1(VALU_DEP_1)
	v_pk_add_f32 v[196:197], v[196:197], v[2:3] neg_lo:[0,1] neg_hi:[0,1]
	s_wait_dscnt 0x0
	v_pk_mul_f32 v[0:1], v[34:35], v[32:33] op_sel:[0,1]
	v_pk_fma_f32 v[2:3], v[34:35], v[30:31], v[0:1] op_sel:[0,0,1] op_sel_hi:[1,1,0] neg_lo:[0,0,1] neg_hi:[0,0,1]
	v_pk_fma_f32 v[0:1], v[34:35], v[30:31], v[0:1] op_sel:[0,0,1] op_sel_hi:[1,0,0]
	s_delay_alu instid0(VALU_DEP_1) | instskip(SKIP_1) | instid1(VALU_DEP_2)
	v_mov_b32_e32 v3, v1
	v_pk_mul_f32 v[0:1], v[36:37], v[32:33] op_sel:[0,1]
	v_pk_add_f32 v[198:199], v[198:199], v[2:3] neg_lo:[0,1] neg_hi:[0,1]
	s_delay_alu instid0(VALU_DEP_2) | instskip(SKIP_3) | instid1(VALU_DEP_1)
	v_pk_fma_f32 v[2:3], v[36:37], v[30:31], v[0:1] op_sel:[0,0,1] op_sel_hi:[1,1,0] neg_lo:[0,0,1] neg_hi:[0,0,1]
	v_pk_fma_f32 v[0:1], v[36:37], v[30:31], v[0:1] op_sel:[0,0,1] op_sel_hi:[1,0,0]
	ds_load_2addr_b64 v[34:37], v6 offset0:37 offset1:38
	v_mov_b32_e32 v3, v1
	v_pk_add_f32 v[200:201], v[200:201], v[2:3] neg_lo:[0,1] neg_hi:[0,1]
	s_wait_dscnt 0x0
	v_pk_mul_f32 v[0:1], v[34:35], v[32:33] op_sel:[0,1]
	s_delay_alu instid0(VALU_DEP_1) | instskip(SKIP_2) | instid1(VALU_DEP_2)
	v_pk_fma_f32 v[2:3], v[34:35], v[30:31], v[0:1] op_sel:[0,0,1] op_sel_hi:[1,1,0] neg_lo:[0,0,1] neg_hi:[0,0,1]
	v_pk_fma_f32 v[0:1], v[34:35], v[30:31], v[0:1] op_sel:[0,0,1] op_sel_hi:[1,0,0]
	v_dual_mov_b32 v0, v37 :: v_dual_mul_f32 v34, v37, v30
	v_dual_mov_b32 v3, v1 :: v_dual_mov_b32 v1, v36
	s_delay_alu instid0(VALU_DEP_1) | instskip(SKIP_1) | instid1(VALU_DEP_3)
	v_pk_add_f32 v[202:203], v[202:203], v[2:3] neg_lo:[0,1] neg_hi:[0,1]
	v_mul_f32_e32 v2, v37, v33
	v_pk_fma_f32 v[0:1], v[0:1], v[156:157], v[34:35] op_sel_hi:[1,1,0]
	s_delay_alu instid0(VALU_DEP_2) | instskip(SKIP_2) | instid1(VALU_DEP_1)
	v_pk_fma_f32 v[2:3], v[36:37], v[156:157], v[2:3] op_sel_hi:[1,1,0] neg_lo:[0,0,1] neg_hi:[0,0,1]
	ds_load_2addr_b64 v[34:37], v6 offset0:39 offset1:40
	v_mov_b32_e32 v3, v1
	v_pk_add_f32 v[204:205], v[204:205], v[2:3] neg_lo:[0,1] neg_hi:[0,1]
	s_wait_dscnt 0x0
	v_pk_mul_f32 v[0:1], v[34:35], v[32:33] op_sel:[0,1]
	s_delay_alu instid0(VALU_DEP_1) | instskip(SKIP_1) | instid1(VALU_DEP_1)
	v_pk_fma_f32 v[2:3], v[34:35], v[30:31], v[0:1] op_sel:[0,0,1] op_sel_hi:[1,1,0] neg_lo:[0,0,1] neg_hi:[0,0,1]
	v_pk_fma_f32 v[0:1], v[34:35], v[30:31], v[0:1] op_sel:[0,0,1] op_sel_hi:[1,0,0]
	v_mov_b32_e32 v3, v1
	v_pk_mul_f32 v[0:1], v[36:37], v[32:33] op_sel:[0,1]
	s_delay_alu instid0(VALU_DEP_2) | instskip(NEXT) | instid1(VALU_DEP_2)
	v_pk_add_f32 v[206:207], v[206:207], v[2:3] neg_lo:[0,1] neg_hi:[0,1]
	v_pk_fma_f32 v[2:3], v[36:37], v[30:31], v[0:1] op_sel:[0,0,1] op_sel_hi:[1,1,0] neg_lo:[0,0,1] neg_hi:[0,0,1]
	v_pk_fma_f32 v[0:1], v[36:37], v[30:31], v[0:1] op_sel:[0,0,1] op_sel_hi:[1,0,0]
	ds_load_2addr_b64 v[34:37], v6 offset0:41 offset1:42
	v_mov_b32_e32 v3, v1
	s_delay_alu instid0(VALU_DEP_1) | instskip(SKIP_2) | instid1(VALU_DEP_1)
	v_pk_add_f32 v[208:209], v[208:209], v[2:3] neg_lo:[0,1] neg_hi:[0,1]
	s_wait_dscnt 0x0
	v_pk_mul_f32 v[0:1], v[34:35], v[32:33] op_sel:[0,1]
	v_pk_fma_f32 v[2:3], v[34:35], v[30:31], v[0:1] op_sel:[0,0,1] op_sel_hi:[1,1,0] neg_lo:[0,0,1] neg_hi:[0,0,1]
	v_pk_fma_f32 v[0:1], v[34:35], v[30:31], v[0:1] op_sel:[0,0,1] op_sel_hi:[1,0,0]
	s_delay_alu instid0(VALU_DEP_1) | instskip(SKIP_1) | instid1(VALU_DEP_2)
	v_mov_b32_e32 v3, v1
	v_pk_mul_f32 v[0:1], v[36:37], v[32:33] op_sel:[0,1]
	v_pk_add_f32 v[210:211], v[210:211], v[2:3] neg_lo:[0,1] neg_hi:[0,1]
	s_delay_alu instid0(VALU_DEP_2) | instskip(SKIP_3) | instid1(VALU_DEP_1)
	v_pk_fma_f32 v[2:3], v[36:37], v[30:31], v[0:1] op_sel:[0,0,1] op_sel_hi:[1,1,0] neg_lo:[0,0,1] neg_hi:[0,0,1]
	v_pk_fma_f32 v[0:1], v[36:37], v[30:31], v[0:1] op_sel:[0,0,1] op_sel_hi:[1,0,0]
	ds_load_2addr_b64 v[34:37], v6 offset0:43 offset1:44
	v_mov_b32_e32 v3, v1
	v_pk_add_f32 v[212:213], v[212:213], v[2:3] neg_lo:[0,1] neg_hi:[0,1]
	s_wait_dscnt 0x0
	v_dual_mul_f32 v2, v35, v30 :: v_dual_mul_f32 v0, v35, v33
	s_delay_alu instid0(VALU_DEP_1) | instskip(NEXT) | instid1(VALU_DEP_2)
	v_pk_fma_f32 v[2:3], v[34:35], v[156:157], v[2:3] op_sel:[1,0,0] op_sel_hi:[0,1,0]
	v_pk_fma_f32 v[0:1], v[34:35], v[156:157], v[0:1] op_sel_hi:[1,1,0] neg_lo:[0,0,1] neg_hi:[0,0,1]
	s_delay_alu instid0(VALU_DEP_2) | instskip(NEXT) | instid1(VALU_DEP_1)
	v_mov_b32_e32 v1, v3
	v_pk_add_f32 v[214:215], v[214:215], v[0:1] neg_lo:[0,1] neg_hi:[0,1]
	v_pk_mul_f32 v[0:1], v[36:37], v[32:33] op_sel:[0,1]
	s_delay_alu instid0(VALU_DEP_1) | instskip(SKIP_3) | instid1(VALU_DEP_1)
	v_pk_fma_f32 v[2:3], v[36:37], v[30:31], v[0:1] op_sel:[0,0,1] op_sel_hi:[1,1,0] neg_lo:[0,0,1] neg_hi:[0,0,1]
	v_pk_fma_f32 v[0:1], v[36:37], v[30:31], v[0:1] op_sel:[0,0,1] op_sel_hi:[1,0,0]
	ds_load_2addr_b64 v[34:37], v6 offset0:45 offset1:46
	v_mov_b32_e32 v3, v1
	v_pk_add_f32 v[216:217], v[216:217], v[2:3] neg_lo:[0,1] neg_hi:[0,1]
	s_wait_dscnt 0x0
	v_pk_mul_f32 v[0:1], v[34:35], v[32:33] op_sel:[0,1]
	s_delay_alu instid0(VALU_DEP_1) | instskip(SKIP_1) | instid1(VALU_DEP_1)
	v_pk_fma_f32 v[2:3], v[34:35], v[30:31], v[0:1] op_sel:[0,0,1] op_sel_hi:[1,1,0] neg_lo:[0,0,1] neg_hi:[0,0,1]
	v_pk_fma_f32 v[0:1], v[34:35], v[30:31], v[0:1] op_sel:[0,0,1] op_sel_hi:[1,0,0]
	v_mov_b32_e32 v3, v1
	v_pk_mul_f32 v[0:1], v[36:37], v[32:33] op_sel:[0,1]
	s_delay_alu instid0(VALU_DEP_2) | instskip(NEXT) | instid1(VALU_DEP_2)
	v_pk_add_f32 v[218:219], v[218:219], v[2:3] neg_lo:[0,1] neg_hi:[0,1]
	v_pk_fma_f32 v[2:3], v[36:37], v[30:31], v[0:1] op_sel:[0,0,1] op_sel_hi:[1,1,0] neg_lo:[0,0,1] neg_hi:[0,0,1]
	v_pk_fma_f32 v[0:1], v[36:37], v[30:31], v[0:1] op_sel:[0,0,1] op_sel_hi:[1,0,0]
	ds_load_2addr_b64 v[34:37], v6 offset0:47 offset1:48
	v_mov_b32_e32 v3, v1
	s_delay_alu instid0(VALU_DEP_1) | instskip(SKIP_2) | instid1(VALU_DEP_1)
	v_pk_add_f32 v[220:221], v[220:221], v[2:3] neg_lo:[0,1] neg_hi:[0,1]
	s_wait_dscnt 0x0
	v_pk_mul_f32 v[0:1], v[34:35], v[32:33] op_sel:[0,1]
	v_pk_fma_f32 v[2:3], v[34:35], v[30:31], v[0:1] op_sel:[0,0,1] op_sel_hi:[1,1,0] neg_lo:[0,0,1] neg_hi:[0,0,1]
	v_pk_fma_f32 v[0:1], v[34:35], v[30:31], v[0:1] op_sel:[0,0,1] op_sel_hi:[1,0,0]
	v_dual_mov_b32 v0, v37 :: v_dual_mul_f32 v34, v37, v30
	s_delay_alu instid0(VALU_DEP_2) | instskip(NEXT) | instid1(VALU_DEP_1)
	v_dual_mov_b32 v3, v1 :: v_dual_mov_b32 v1, v36
	v_pk_add_f32 v[222:223], v[222:223], v[2:3] neg_lo:[0,1] neg_hi:[0,1]
	v_mul_f32_e32 v2, v37, v33
	s_delay_alu instid0(VALU_DEP_3) | instskip(NEXT) | instid1(VALU_DEP_2)
	v_pk_fma_f32 v[0:1], v[0:1], v[156:157], v[34:35] op_sel_hi:[1,1,0]
	v_pk_fma_f32 v[2:3], v[36:37], v[156:157], v[2:3] op_sel_hi:[1,1,0] neg_lo:[0,0,1] neg_hi:[0,0,1]
	ds_load_2addr_b64 v[34:37], v6 offset0:49 offset1:50
	v_mov_b32_e32 v3, v1
	s_delay_alu instid0(VALU_DEP_1) | instskip(SKIP_2) | instid1(VALU_DEP_1)
	v_pk_add_f32 v[224:225], v[224:225], v[2:3] neg_lo:[0,1] neg_hi:[0,1]
	s_wait_dscnt 0x0
	v_pk_mul_f32 v[0:1], v[34:35], v[32:33] op_sel:[0,1]
	v_pk_fma_f32 v[2:3], v[34:35], v[30:31], v[0:1] op_sel:[0,0,1] op_sel_hi:[1,1,0] neg_lo:[0,0,1] neg_hi:[0,0,1]
	v_pk_fma_f32 v[0:1], v[34:35], v[30:31], v[0:1] op_sel:[0,0,1] op_sel_hi:[1,0,0]
	s_delay_alu instid0(VALU_DEP_1) | instskip(SKIP_1) | instid1(VALU_DEP_2)
	v_mov_b32_e32 v3, v1
	v_pk_mul_f32 v[0:1], v[36:37], v[32:33] op_sel:[0,1]
	v_pk_add_f32 v[226:227], v[226:227], v[2:3] neg_lo:[0,1] neg_hi:[0,1]
	s_delay_alu instid0(VALU_DEP_2) | instskip(SKIP_3) | instid1(VALU_DEP_1)
	v_pk_fma_f32 v[2:3], v[36:37], v[30:31], v[0:1] op_sel:[0,0,1] op_sel_hi:[1,1,0] neg_lo:[0,0,1] neg_hi:[0,0,1]
	v_pk_fma_f32 v[0:1], v[36:37], v[30:31], v[0:1] op_sel:[0,0,1] op_sel_hi:[1,0,0]
	ds_load_2addr_b64 v[34:37], v6 offset0:51 offset1:52
	v_mov_b32_e32 v3, v1
	v_pk_add_f32 v[228:229], v[228:229], v[2:3] neg_lo:[0,1] neg_hi:[0,1]
	s_wait_dscnt 0x0
	v_pk_mul_f32 v[0:1], v[34:35], v[32:33] op_sel:[0,1]
	s_delay_alu instid0(VALU_DEP_1) | instskip(SKIP_1) | instid1(VALU_DEP_1)
	v_pk_fma_f32 v[2:3], v[34:35], v[30:31], v[0:1] op_sel:[0,0,1] op_sel_hi:[1,1,0] neg_lo:[0,0,1] neg_hi:[0,0,1]
	v_pk_fma_f32 v[0:1], v[34:35], v[30:31], v[0:1] op_sel:[0,0,1] op_sel_hi:[1,0,0]
	v_mov_b32_e32 v3, v1
	v_pk_mul_f32 v[0:1], v[36:37], v[32:33] op_sel:[0,1]
	s_delay_alu instid0(VALU_DEP_2) | instskip(NEXT) | instid1(VALU_DEP_2)
	v_pk_add_f32 v[230:231], v[230:231], v[2:3] neg_lo:[0,1] neg_hi:[0,1]
	v_pk_fma_f32 v[2:3], v[36:37], v[30:31], v[0:1] op_sel:[0,0,1] op_sel_hi:[1,1,0] neg_lo:[0,0,1] neg_hi:[0,0,1]
	v_pk_fma_f32 v[0:1], v[36:37], v[30:31], v[0:1] op_sel:[0,0,1] op_sel_hi:[1,0,0]
	ds_load_2addr_b64 v[34:37], v6 offset0:53 offset1:54
	v_mov_b32_e32 v3, v1
	s_delay_alu instid0(VALU_DEP_1) | instskip(SKIP_2) | instid1(VALU_DEP_1)
	v_pk_add_f32 v[232:233], v[232:233], v[2:3] neg_lo:[0,1] neg_hi:[0,1]
	s_wait_dscnt 0x0
	v_dual_mul_f32 v2, v35, v30 :: v_dual_mul_f32 v0, v35, v33
	v_pk_fma_f32 v[2:3], v[34:35], v[156:157], v[2:3] op_sel:[1,0,0] op_sel_hi:[0,1,0]
	s_delay_alu instid0(VALU_DEP_2) | instskip(NEXT) | instid1(VALU_DEP_2)
	v_pk_fma_f32 v[0:1], v[34:35], v[156:157], v[0:1] op_sel_hi:[1,1,0] neg_lo:[0,0,1] neg_hi:[0,0,1]
	v_mov_b32_e32 v1, v3
	s_delay_alu instid0(VALU_DEP_1) | instskip(SKIP_1) | instid1(VALU_DEP_1)
	v_pk_add_f32 v[234:235], v[234:235], v[0:1] neg_lo:[0,1] neg_hi:[0,1]
	v_pk_mul_f32 v[0:1], v[36:37], v[32:33] op_sel:[0,1]
	v_pk_fma_f32 v[2:3], v[36:37], v[30:31], v[0:1] op_sel:[0,0,1] op_sel_hi:[1,1,0] neg_lo:[0,0,1] neg_hi:[0,0,1]
	v_pk_fma_f32 v[0:1], v[36:37], v[30:31], v[0:1] op_sel:[0,0,1] op_sel_hi:[1,0,0]
	ds_load_2addr_b64 v[34:37], v6 offset0:55 offset1:56
	v_mov_b32_e32 v3, v1
	s_delay_alu instid0(VALU_DEP_1) | instskip(SKIP_2) | instid1(VALU_DEP_1)
	v_pk_add_f32 v[236:237], v[236:237], v[2:3] neg_lo:[0,1] neg_hi:[0,1]
	s_wait_dscnt 0x0
	v_pk_mul_f32 v[0:1], v[34:35], v[32:33] op_sel:[0,1]
	v_pk_fma_f32 v[2:3], v[34:35], v[30:31], v[0:1] op_sel:[0,0,1] op_sel_hi:[1,1,0] neg_lo:[0,0,1] neg_hi:[0,0,1]
	v_pk_fma_f32 v[0:1], v[34:35], v[30:31], v[0:1] op_sel:[0,0,1] op_sel_hi:[1,0,0]
	s_delay_alu instid0(VALU_DEP_1) | instskip(SKIP_1) | instid1(VALU_DEP_2)
	v_mov_b32_e32 v3, v1
	v_pk_mul_f32 v[0:1], v[36:37], v[32:33] op_sel:[0,1]
	v_pk_add_f32 v[238:239], v[238:239], v[2:3] neg_lo:[0,1] neg_hi:[0,1]
	s_delay_alu instid0(VALU_DEP_2) | instskip(SKIP_3) | instid1(VALU_DEP_1)
	v_pk_fma_f32 v[2:3], v[36:37], v[30:31], v[0:1] op_sel:[0,0,1] op_sel_hi:[1,1,0] neg_lo:[0,0,1] neg_hi:[0,0,1]
	v_pk_fma_f32 v[0:1], v[36:37], v[30:31], v[0:1] op_sel:[0,0,1] op_sel_hi:[1,0,0]
	ds_load_2addr_b64 v[34:37], v6 offset0:57 offset1:58
	v_mov_b32_e32 v3, v1
	v_pk_add_f32 v[248:249], v[248:249], v[2:3] neg_lo:[0,1] neg_hi:[0,1]
	s_wait_dscnt 0x0
	v_pk_mul_f32 v[0:1], v[34:35], v[32:33] op_sel:[0,1]
	s_delay_alu instid0(VALU_DEP_1) | instskip(SKIP_2) | instid1(VALU_DEP_2)
	v_pk_fma_f32 v[2:3], v[34:35], v[30:31], v[0:1] op_sel:[0,0,1] op_sel_hi:[1,1,0] neg_lo:[0,0,1] neg_hi:[0,0,1]
	v_pk_fma_f32 v[0:1], v[34:35], v[30:31], v[0:1] op_sel:[0,0,1] op_sel_hi:[1,0,0]
	v_dual_mov_b32 v0, v37 :: v_dual_mul_f32 v34, v37, v30
	v_dual_mov_b32 v3, v1 :: v_dual_mov_b32 v1, v36
	s_delay_alu instid0(VALU_DEP_1) | instskip(SKIP_1) | instid1(VALU_DEP_3)
	v_pk_add_f32 v[242:243], v[242:243], v[2:3] neg_lo:[0,1] neg_hi:[0,1]
	v_mul_f32_e32 v2, v37, v33
	v_pk_fma_f32 v[0:1], v[0:1], v[156:157], v[34:35] op_sel_hi:[1,1,0]
	s_delay_alu instid0(VALU_DEP_2) | instskip(SKIP_2) | instid1(VALU_DEP_1)
	v_pk_fma_f32 v[2:3], v[36:37], v[156:157], v[2:3] op_sel_hi:[1,1,0] neg_lo:[0,0,1] neg_hi:[0,0,1]
	ds_load_2addr_b64 v[34:37], v6 offset0:59 offset1:60
	v_mov_b32_e32 v3, v1
	v_pk_add_f32 v[246:247], v[246:247], v[2:3] neg_lo:[0,1] neg_hi:[0,1]
	s_wait_dscnt 0x0
	v_pk_mul_f32 v[0:1], v[34:35], v[32:33] op_sel:[0,1]
	s_delay_alu instid0(VALU_DEP_1) | instskip(SKIP_1) | instid1(VALU_DEP_1)
	v_pk_fma_f32 v[2:3], v[34:35], v[30:31], v[0:1] op_sel:[0,0,1] op_sel_hi:[1,1,0] neg_lo:[0,0,1] neg_hi:[0,0,1]
	v_pk_fma_f32 v[0:1], v[34:35], v[30:31], v[0:1] op_sel:[0,0,1] op_sel_hi:[1,0,0]
	v_mov_b32_e32 v3, v1
	v_pk_mul_f32 v[0:1], v[36:37], v[32:33] op_sel:[0,1]
	s_delay_alu instid0(VALU_DEP_2) | instskip(NEXT) | instid1(VALU_DEP_2)
	v_pk_add_f32 v[240:241], v[240:241], v[2:3] neg_lo:[0,1] neg_hi:[0,1]
	v_pk_fma_f32 v[2:3], v[36:37], v[30:31], v[0:1] op_sel:[0,0,1] op_sel_hi:[1,1,0] neg_lo:[0,0,1] neg_hi:[0,0,1]
	v_pk_fma_f32 v[0:1], v[36:37], v[30:31], v[0:1] op_sel:[0,0,1] op_sel_hi:[1,0,0]
	ds_load_2addr_b64 v[34:37], v6 offset0:61 offset1:62
	v_mov_b32_e32 v3, v1
	s_delay_alu instid0(VALU_DEP_1) | instskip(SKIP_2) | instid1(VALU_DEP_1)
	v_pk_add_f32 v[244:245], v[244:245], v[2:3] neg_lo:[0,1] neg_hi:[0,1]
	s_wait_dscnt 0x0
	v_pk_mul_f32 v[0:1], v[34:35], v[32:33] op_sel:[0,1]
	v_pk_fma_f32 v[2:3], v[34:35], v[30:31], v[0:1] op_sel:[0,0,1] op_sel_hi:[1,1,0] neg_lo:[0,0,1] neg_hi:[0,0,1]
	v_pk_fma_f32 v[0:1], v[34:35], v[30:31], v[0:1] op_sel:[0,0,1] op_sel_hi:[1,0,0]
	v_dual_mov_b32 v0, v37 :: v_dual_mul_f32 v30, v37, v30
	s_delay_alu instid0(VALU_DEP_2) | instskip(NEXT) | instid1(VALU_DEP_1)
	v_dual_mov_b32 v3, v1 :: v_dual_mov_b32 v1, v36
	v_pk_add_f32 v[250:251], v[250:251], v[2:3] neg_lo:[0,1] neg_hi:[0,1]
	v_mul_f32_e32 v2, v37, v33
	s_delay_alu instid0(VALU_DEP_3) | instskip(NEXT) | instid1(VALU_DEP_2)
	v_pk_fma_f32 v[0:1], v[0:1], v[156:157], v[30:31] op_sel_hi:[1,1,0]
	v_pk_fma_f32 v[2:3], v[36:37], v[156:157], v[2:3] op_sel_hi:[1,1,0] neg_lo:[0,0,1] neg_hi:[0,0,1]
	s_delay_alu instid0(VALU_DEP_2) | instskip(NEXT) | instid1(VALU_DEP_1)
	v_mov_b32_e32 v3, v1
	v_pk_add_f32 v[252:253], v[252:253], v[2:3] neg_lo:[0,1] neg_hi:[0,1]
.LBB125_136:
	s_or_b32 exec_lo, exec_lo, s1
	s_delay_alu instid0(SALU_CYCLE_1)
	s_mov_b32 s2, exec_lo
	s_wait_dscnt 0x0
	s_barrier_signal -1
	s_barrier_wait -1
	v_cmpx_eq_u32_e32 15, v254
	s_cbranch_execz .LBB125_143
; %bb.137:
	v_dual_mov_b32 v0, v160 :: v_dual_mov_b32 v1, v161
	v_dual_mov_b32 v2, v162 :: v_dual_mov_b32 v3, v163
	ds_store_b64 v255, v[158:159]
	ds_store_2addr_b64 v6, v[0:1], v[2:3] offset0:16 offset1:17
	v_dual_mov_b32 v0, v164 :: v_dual_mov_b32 v1, v165
	v_dual_mov_b32 v2, v166 :: v_dual_mov_b32 v3, v167
	ds_store_2addr_b64 v6, v[0:1], v[2:3] offset0:18 offset1:19
	v_dual_mov_b32 v0, v168 :: v_dual_mov_b32 v1, v169
	v_dual_mov_b32 v2, v170 :: v_dual_mov_b32 v3, v171
	;; [unrolled: 3-line block ×22, first 2 shown]
	ds_store_2addr_b64 v6, v[0:1], v[2:3] offset0:60 offset1:61
	ds_store_b64 v6, v[252:253] offset:496
	ds_load_b64 v[30:31], v255
	s_wait_dscnt 0x0
	v_cmp_neq_f32_e32 vcc_lo, 0, v30
	v_cmp_neq_f32_e64 s1, 0, v31
	s_or_b32 s1, vcc_lo, s1
	s_delay_alu instid0(SALU_CYCLE_1)
	s_and_b32 exec_lo, exec_lo, s1
	s_cbranch_execz .LBB125_143
; %bb.138:
	v_cmp_ngt_f32_e64 s1, |v30|, |v31|
                                        ; implicit-def: $vgpr32_vgpr33
	s_and_saveexec_b32 s4, s1
	s_delay_alu instid0(SALU_CYCLE_1)
	s_xor_b32 s1, exec_lo, s4
	s_cbranch_execz .LBB125_140
; %bb.139:
	v_div_scale_f32 v0, null, v31, v31, v30
	v_div_scale_f32 v3, vcc_lo, v30, v31, v30
	s_delay_alu instid0(VALU_DEP_2) | instskip(SKIP_1) | instid1(TRANS32_DEP_1)
	v_rcp_f32_e32 v1, v0
	v_nop
	v_fma_f32 v2, -v0, v1, 1.0
	s_delay_alu instid0(VALU_DEP_1) | instskip(NEXT) | instid1(VALU_DEP_1)
	v_fmac_f32_e32 v1, v2, v1
	v_mul_f32_e32 v2, v3, v1
	s_delay_alu instid0(VALU_DEP_1) | instskip(NEXT) | instid1(VALU_DEP_1)
	v_fma_f32 v4, -v0, v2, v3
	v_fmac_f32_e32 v2, v4, v1
	s_delay_alu instid0(VALU_DEP_1) | instskip(NEXT) | instid1(VALU_DEP_1)
	v_fma_f32 v0, -v0, v2, v3
	v_div_fmas_f32 v0, v0, v1, v2
	s_delay_alu instid0(VALU_DEP_1) | instskip(NEXT) | instid1(VALU_DEP_1)
	v_div_fixup_f32 v0, v0, v31, v30
	v_fmac_f32_e32 v31, v30, v0
	s_delay_alu instid0(VALU_DEP_1) | instskip(SKIP_1) | instid1(VALU_DEP_2)
	v_div_scale_f32 v1, null, v31, v31, 1.0
	v_div_scale_f32 v4, vcc_lo, 1.0, v31, 1.0
	v_rcp_f32_e32 v2, v1
	v_nop
	s_delay_alu instid0(TRANS32_DEP_1) | instskip(NEXT) | instid1(VALU_DEP_1)
	v_fma_f32 v3, -v1, v2, 1.0
	v_fmac_f32_e32 v2, v3, v2
	s_delay_alu instid0(VALU_DEP_1) | instskip(NEXT) | instid1(VALU_DEP_1)
	v_mul_f32_e32 v3, v4, v2
	v_fma_f32 v5, -v1, v3, v4
	s_delay_alu instid0(VALU_DEP_1) | instskip(NEXT) | instid1(VALU_DEP_1)
	v_fmac_f32_e32 v3, v5, v2
	v_fma_f32 v1, -v1, v3, v4
	s_delay_alu instid0(VALU_DEP_1) | instskip(NEXT) | instid1(VALU_DEP_1)
	v_div_fmas_f32 v1, v1, v2, v3
	v_div_fixup_f32 v1, v1, v31, 1.0
                                        ; implicit-def: $vgpr30_vgpr31
	s_delay_alu instid0(VALU_DEP_1)
	v_mul_f32_e32 v32, v0, v1
	v_xor_b32_e32 v33, 0x80000000, v1
.LBB125_140:
	s_and_not1_saveexec_b32 s1, s1
	s_cbranch_execz .LBB125_142
; %bb.141:
	v_div_scale_f32 v0, null, v30, v30, v31
	v_div_scale_f32 v3, vcc_lo, v31, v30, v31
	s_delay_alu instid0(VALU_DEP_2) | instskip(SKIP_1) | instid1(TRANS32_DEP_1)
	v_rcp_f32_e32 v1, v0
	v_nop
	v_fma_f32 v2, -v0, v1, 1.0
	s_delay_alu instid0(VALU_DEP_1) | instskip(NEXT) | instid1(VALU_DEP_1)
	v_fmac_f32_e32 v1, v2, v1
	v_mul_f32_e32 v2, v3, v1
	s_delay_alu instid0(VALU_DEP_1) | instskip(NEXT) | instid1(VALU_DEP_1)
	v_fma_f32 v4, -v0, v2, v3
	v_fmac_f32_e32 v2, v4, v1
	s_delay_alu instid0(VALU_DEP_1) | instskip(NEXT) | instid1(VALU_DEP_1)
	v_fma_f32 v0, -v0, v2, v3
	v_div_fmas_f32 v0, v0, v1, v2
	s_delay_alu instid0(VALU_DEP_1) | instskip(NEXT) | instid1(VALU_DEP_1)
	v_div_fixup_f32 v0, v0, v30, v31
	v_fmac_f32_e32 v30, v31, v0
	s_delay_alu instid0(VALU_DEP_1) | instskip(NEXT) | instid1(VALU_DEP_1)
	v_div_scale_f32 v1, null, v30, v30, 1.0
	v_rcp_f32_e32 v2, v1
	v_nop
	s_delay_alu instid0(TRANS32_DEP_1) | instskip(NEXT) | instid1(VALU_DEP_1)
	v_fma_f32 v3, -v1, v2, 1.0
	v_fmac_f32_e32 v2, v3, v2
	v_div_scale_f32 v3, vcc_lo, 1.0, v30, 1.0
	s_delay_alu instid0(VALU_DEP_1) | instskip(NEXT) | instid1(VALU_DEP_1)
	v_mul_f32_e32 v4, v3, v2
	v_fma_f32 v5, -v1, v4, v3
	s_delay_alu instid0(VALU_DEP_1) | instskip(NEXT) | instid1(VALU_DEP_1)
	v_fmac_f32_e32 v4, v5, v2
	v_fma_f32 v1, -v1, v4, v3
	s_delay_alu instid0(VALU_DEP_1) | instskip(NEXT) | instid1(VALU_DEP_1)
	v_div_fmas_f32 v1, v1, v2, v4
	v_div_fixup_f32 v32, v1, v30, 1.0
	s_delay_alu instid0(VALU_DEP_1)
	v_mul_f32_e64 v33, v0, -v32
.LBB125_142:
	s_or_b32 exec_lo, exec_lo, s1
	ds_store_b64 v255, v[32:33]
.LBB125_143:
	s_or_b32 exec_lo, exec_lo, s2
	s_wait_dscnt 0x0
	s_barrier_signal -1
	s_barrier_wait -1
	ds_load_b64 v[30:31], v255
	s_mov_b32 s1, exec_lo
	v_cmpx_lt_u32_e32 15, v254
	s_cbranch_execz .LBB125_145
; %bb.144:
	ds_load_2addr_b64 v[36:39], v6 offset0:16 offset1:17
	s_wait_dscnt 0x1
	v_pk_mul_f32 v[0:1], v[30:31], v[158:159] op_sel:[1,1] op_sel_hi:[0,1]
	s_delay_alu instid0(VALU_DEP_1) | instskip(SKIP_1) | instid1(VALU_DEP_1)
	v_pk_fma_f32 v[34:35], v[30:31], v[158:159], v[0:1] op_sel_hi:[1,0,1]
	v_pk_fma_f32 v[32:33], v[30:31], v[158:159], v[0:1] op_sel_hi:[1,0,1] neg_lo:[0,0,1] neg_hi:[0,0,1]
	v_dual_mov_b32 v159, v35 :: v_dual_mov_b32 v158, v32
	s_wait_dscnt 0x0
	s_delay_alu instid0(VALU_DEP_3) | instskip(NEXT) | instid1(VALU_DEP_1)
	v_pk_mul_f32 v[0:1], v[36:37], v[34:35] op_sel:[0,1]
	v_pk_fma_f32 v[2:3], v[36:37], v[32:33], v[0:1] op_sel:[0,0,1] op_sel_hi:[1,1,0] neg_lo:[0,0,1] neg_hi:[0,0,1]
	v_pk_fma_f32 v[0:1], v[36:37], v[32:33], v[0:1] op_sel:[0,0,1] op_sel_hi:[1,0,0]
	s_delay_alu instid0(VALU_DEP_1) | instskip(SKIP_1) | instid1(VALU_DEP_2)
	v_mov_b32_e32 v3, v1
	v_pk_mul_f32 v[0:1], v[38:39], v[34:35] op_sel:[0,1]
	v_pk_add_f32 v[160:161], v[160:161], v[2:3] neg_lo:[0,1] neg_hi:[0,1]
	s_delay_alu instid0(VALU_DEP_2) | instskip(SKIP_3) | instid1(VALU_DEP_1)
	v_pk_fma_f32 v[2:3], v[38:39], v[32:33], v[0:1] op_sel:[0,0,1] op_sel_hi:[1,1,0] neg_lo:[0,0,1] neg_hi:[0,0,1]
	v_pk_fma_f32 v[0:1], v[38:39], v[32:33], v[0:1] op_sel:[0,0,1] op_sel_hi:[1,0,0]
	ds_load_2addr_b64 v[36:39], v6 offset0:18 offset1:19
	v_mov_b32_e32 v3, v1
	v_pk_add_f32 v[162:163], v[162:163], v[2:3] neg_lo:[0,1] neg_hi:[0,1]
	s_wait_dscnt 0x0
	v_pk_mul_f32 v[0:1], v[36:37], v[34:35] op_sel:[0,1]
	s_delay_alu instid0(VALU_DEP_1) | instskip(SKIP_2) | instid1(VALU_DEP_2)
	v_pk_fma_f32 v[2:3], v[36:37], v[32:33], v[0:1] op_sel:[0,0,1] op_sel_hi:[1,1,0] neg_lo:[0,0,1] neg_hi:[0,0,1]
	v_pk_fma_f32 v[0:1], v[36:37], v[32:33], v[0:1] op_sel:[0,0,1] op_sel_hi:[1,0,0]
	v_dual_mov_b32 v0, v39 :: v_dual_mul_f32 v36, v39, v32
	v_dual_mov_b32 v3, v1 :: v_dual_mov_b32 v1, v38
	s_delay_alu instid0(VALU_DEP_1) | instskip(SKIP_1) | instid1(VALU_DEP_3)
	v_pk_add_f32 v[164:165], v[164:165], v[2:3] neg_lo:[0,1] neg_hi:[0,1]
	v_mul_f32_e32 v2, v39, v35
	v_pk_fma_f32 v[0:1], v[0:1], v[158:159], v[36:37] op_sel_hi:[1,1,0]
	s_delay_alu instid0(VALU_DEP_2) | instskip(SKIP_2) | instid1(VALU_DEP_1)
	v_pk_fma_f32 v[2:3], v[38:39], v[158:159], v[2:3] op_sel_hi:[1,1,0] neg_lo:[0,0,1] neg_hi:[0,0,1]
	ds_load_2addr_b64 v[36:39], v6 offset0:20 offset1:21
	v_mov_b32_e32 v3, v1
	v_pk_add_f32 v[166:167], v[166:167], v[2:3] neg_lo:[0,1] neg_hi:[0,1]
	s_wait_dscnt 0x0
	v_pk_mul_f32 v[0:1], v[36:37], v[34:35] op_sel:[0,1]
	s_delay_alu instid0(VALU_DEP_1) | instskip(SKIP_1) | instid1(VALU_DEP_1)
	v_pk_fma_f32 v[2:3], v[36:37], v[32:33], v[0:1] op_sel:[0,0,1] op_sel_hi:[1,1,0] neg_lo:[0,0,1] neg_hi:[0,0,1]
	v_pk_fma_f32 v[0:1], v[36:37], v[32:33], v[0:1] op_sel:[0,0,1] op_sel_hi:[1,0,0]
	v_mov_b32_e32 v3, v1
	v_pk_mul_f32 v[0:1], v[38:39], v[34:35] op_sel:[0,1]
	s_delay_alu instid0(VALU_DEP_2) | instskip(NEXT) | instid1(VALU_DEP_2)
	v_pk_add_f32 v[168:169], v[168:169], v[2:3] neg_lo:[0,1] neg_hi:[0,1]
	v_pk_fma_f32 v[2:3], v[38:39], v[32:33], v[0:1] op_sel:[0,0,1] op_sel_hi:[1,1,0] neg_lo:[0,0,1] neg_hi:[0,0,1]
	v_pk_fma_f32 v[0:1], v[38:39], v[32:33], v[0:1] op_sel:[0,0,1] op_sel_hi:[1,0,0]
	ds_load_2addr_b64 v[36:39], v6 offset0:22 offset1:23
	v_mov_b32_e32 v3, v1
	s_delay_alu instid0(VALU_DEP_1) | instskip(SKIP_2) | instid1(VALU_DEP_1)
	v_pk_add_f32 v[170:171], v[170:171], v[2:3] neg_lo:[0,1] neg_hi:[0,1]
	s_wait_dscnt 0x0
	v_pk_mul_f32 v[0:1], v[36:37], v[34:35] op_sel:[0,1]
	v_pk_fma_f32 v[2:3], v[36:37], v[32:33], v[0:1] op_sel:[0,0,1] op_sel_hi:[1,1,0] neg_lo:[0,0,1] neg_hi:[0,0,1]
	v_pk_fma_f32 v[0:1], v[36:37], v[32:33], v[0:1] op_sel:[0,0,1] op_sel_hi:[1,0,0]
	s_delay_alu instid0(VALU_DEP_1) | instskip(SKIP_1) | instid1(VALU_DEP_2)
	v_mov_b32_e32 v3, v1
	v_pk_mul_f32 v[0:1], v[38:39], v[34:35] op_sel:[0,1]
	v_pk_add_f32 v[172:173], v[172:173], v[2:3] neg_lo:[0,1] neg_hi:[0,1]
	s_delay_alu instid0(VALU_DEP_2) | instskip(SKIP_3) | instid1(VALU_DEP_1)
	v_pk_fma_f32 v[2:3], v[38:39], v[32:33], v[0:1] op_sel:[0,0,1] op_sel_hi:[1,1,0] neg_lo:[0,0,1] neg_hi:[0,0,1]
	v_pk_fma_f32 v[0:1], v[38:39], v[32:33], v[0:1] op_sel:[0,0,1] op_sel_hi:[1,0,0]
	ds_load_2addr_b64 v[36:39], v6 offset0:24 offset1:25
	v_mov_b32_e32 v3, v1
	v_pk_add_f32 v[174:175], v[174:175], v[2:3] neg_lo:[0,1] neg_hi:[0,1]
	s_wait_dscnt 0x0
	v_dual_mul_f32 v0, v37, v35 :: v_dual_mul_f32 v2, v37, v32
	s_delay_alu instid0(VALU_DEP_1) | instskip(NEXT) | instid1(VALU_DEP_2)
	v_pk_fma_f32 v[0:1], v[36:37], v[158:159], v[0:1] op_sel_hi:[1,1,0] neg_lo:[0,0,1] neg_hi:[0,0,1]
	v_pk_fma_f32 v[2:3], v[36:37], v[158:159], v[2:3] op_sel:[1,0,0] op_sel_hi:[0,1,0]
	s_delay_alu instid0(VALU_DEP_1) | instskip(NEXT) | instid1(VALU_DEP_1)
	v_mov_b32_e32 v1, v3
	v_pk_add_f32 v[176:177], v[176:177], v[0:1] neg_lo:[0,1] neg_hi:[0,1]
	v_pk_mul_f32 v[0:1], v[38:39], v[34:35] op_sel:[0,1]
	s_delay_alu instid0(VALU_DEP_1) | instskip(SKIP_3) | instid1(VALU_DEP_1)
	v_pk_fma_f32 v[2:3], v[38:39], v[32:33], v[0:1] op_sel:[0,0,1] op_sel_hi:[1,1,0] neg_lo:[0,0,1] neg_hi:[0,0,1]
	v_pk_fma_f32 v[0:1], v[38:39], v[32:33], v[0:1] op_sel:[0,0,1] op_sel_hi:[1,0,0]
	ds_load_2addr_b64 v[36:39], v6 offset0:26 offset1:27
	v_mov_b32_e32 v3, v1
	v_pk_add_f32 v[178:179], v[178:179], v[2:3] neg_lo:[0,1] neg_hi:[0,1]
	s_wait_dscnt 0x0
	v_pk_mul_f32 v[0:1], v[36:37], v[34:35] op_sel:[0,1]
	s_delay_alu instid0(VALU_DEP_1) | instskip(SKIP_1) | instid1(VALU_DEP_1)
	v_pk_fma_f32 v[2:3], v[36:37], v[32:33], v[0:1] op_sel:[0,0,1] op_sel_hi:[1,1,0] neg_lo:[0,0,1] neg_hi:[0,0,1]
	v_pk_fma_f32 v[0:1], v[36:37], v[32:33], v[0:1] op_sel:[0,0,1] op_sel_hi:[1,0,0]
	v_mov_b32_e32 v3, v1
	v_pk_mul_f32 v[0:1], v[38:39], v[34:35] op_sel:[0,1]
	s_delay_alu instid0(VALU_DEP_2) | instskip(NEXT) | instid1(VALU_DEP_2)
	v_pk_add_f32 v[180:181], v[180:181], v[2:3] neg_lo:[0,1] neg_hi:[0,1]
	v_pk_fma_f32 v[2:3], v[38:39], v[32:33], v[0:1] op_sel:[0,0,1] op_sel_hi:[1,1,0] neg_lo:[0,0,1] neg_hi:[0,0,1]
	v_pk_fma_f32 v[0:1], v[38:39], v[32:33], v[0:1] op_sel:[0,0,1] op_sel_hi:[1,0,0]
	ds_load_2addr_b64 v[36:39], v6 offset0:28 offset1:29
	v_mov_b32_e32 v3, v1
	s_delay_alu instid0(VALU_DEP_1) | instskip(SKIP_2) | instid1(VALU_DEP_1)
	v_pk_add_f32 v[182:183], v[182:183], v[2:3] neg_lo:[0,1] neg_hi:[0,1]
	s_wait_dscnt 0x0
	v_pk_mul_f32 v[0:1], v[36:37], v[34:35] op_sel:[0,1]
	v_pk_fma_f32 v[2:3], v[36:37], v[32:33], v[0:1] op_sel:[0,0,1] op_sel_hi:[1,1,0] neg_lo:[0,0,1] neg_hi:[0,0,1]
	v_pk_fma_f32 v[0:1], v[36:37], v[32:33], v[0:1] op_sel:[0,0,1] op_sel_hi:[1,0,0]
	v_dual_mov_b32 v0, v39 :: v_dual_mul_f32 v36, v39, v32
	s_delay_alu instid0(VALU_DEP_2) | instskip(NEXT) | instid1(VALU_DEP_1)
	v_dual_mov_b32 v3, v1 :: v_dual_mov_b32 v1, v38
	v_pk_add_f32 v[184:185], v[184:185], v[2:3] neg_lo:[0,1] neg_hi:[0,1]
	v_mul_f32_e32 v2, v39, v35
	s_delay_alu instid0(VALU_DEP_3) | instskip(NEXT) | instid1(VALU_DEP_2)
	v_pk_fma_f32 v[0:1], v[0:1], v[158:159], v[36:37] op_sel_hi:[1,1,0]
	v_pk_fma_f32 v[2:3], v[38:39], v[158:159], v[2:3] op_sel_hi:[1,1,0] neg_lo:[0,0,1] neg_hi:[0,0,1]
	ds_load_2addr_b64 v[36:39], v6 offset0:30 offset1:31
	v_mov_b32_e32 v3, v1
	s_delay_alu instid0(VALU_DEP_1) | instskip(SKIP_2) | instid1(VALU_DEP_1)
	v_pk_add_f32 v[186:187], v[186:187], v[2:3] neg_lo:[0,1] neg_hi:[0,1]
	s_wait_dscnt 0x0
	v_pk_mul_f32 v[0:1], v[36:37], v[34:35] op_sel:[0,1]
	v_pk_fma_f32 v[2:3], v[36:37], v[32:33], v[0:1] op_sel:[0,0,1] op_sel_hi:[1,1,0] neg_lo:[0,0,1] neg_hi:[0,0,1]
	v_pk_fma_f32 v[0:1], v[36:37], v[32:33], v[0:1] op_sel:[0,0,1] op_sel_hi:[1,0,0]
	s_delay_alu instid0(VALU_DEP_1) | instskip(SKIP_1) | instid1(VALU_DEP_2)
	v_mov_b32_e32 v3, v1
	v_pk_mul_f32 v[0:1], v[38:39], v[34:35] op_sel:[0,1]
	v_pk_add_f32 v[188:189], v[188:189], v[2:3] neg_lo:[0,1] neg_hi:[0,1]
	s_delay_alu instid0(VALU_DEP_2) | instskip(SKIP_3) | instid1(VALU_DEP_1)
	v_pk_fma_f32 v[2:3], v[38:39], v[32:33], v[0:1] op_sel:[0,0,1] op_sel_hi:[1,1,0] neg_lo:[0,0,1] neg_hi:[0,0,1]
	v_pk_fma_f32 v[0:1], v[38:39], v[32:33], v[0:1] op_sel:[0,0,1] op_sel_hi:[1,0,0]
	ds_load_2addr_b64 v[36:39], v6 offset0:32 offset1:33
	v_mov_b32_e32 v3, v1
	v_pk_add_f32 v[190:191], v[190:191], v[2:3] neg_lo:[0,1] neg_hi:[0,1]
	s_wait_dscnt 0x0
	v_pk_mul_f32 v[0:1], v[36:37], v[34:35] op_sel:[0,1]
	s_delay_alu instid0(VALU_DEP_1) | instskip(SKIP_1) | instid1(VALU_DEP_1)
	v_pk_fma_f32 v[2:3], v[36:37], v[32:33], v[0:1] op_sel:[0,0,1] op_sel_hi:[1,1,0] neg_lo:[0,0,1] neg_hi:[0,0,1]
	v_pk_fma_f32 v[0:1], v[36:37], v[32:33], v[0:1] op_sel:[0,0,1] op_sel_hi:[1,0,0]
	v_mov_b32_e32 v3, v1
	v_pk_mul_f32 v[0:1], v[38:39], v[34:35] op_sel:[0,1]
	s_delay_alu instid0(VALU_DEP_2) | instskip(NEXT) | instid1(VALU_DEP_2)
	v_pk_add_f32 v[192:193], v[192:193], v[2:3] neg_lo:[0,1] neg_hi:[0,1]
	v_pk_fma_f32 v[2:3], v[38:39], v[32:33], v[0:1] op_sel:[0,0,1] op_sel_hi:[1,1,0] neg_lo:[0,0,1] neg_hi:[0,0,1]
	v_pk_fma_f32 v[0:1], v[38:39], v[32:33], v[0:1] op_sel:[0,0,1] op_sel_hi:[1,0,0]
	ds_load_2addr_b64 v[36:39], v6 offset0:34 offset1:35
	v_mov_b32_e32 v3, v1
	s_delay_alu instid0(VALU_DEP_1) | instskip(SKIP_2) | instid1(VALU_DEP_1)
	v_pk_add_f32 v[194:195], v[194:195], v[2:3] neg_lo:[0,1] neg_hi:[0,1]
	s_wait_dscnt 0x0
	v_dual_mul_f32 v2, v37, v32 :: v_dual_mul_f32 v0, v37, v35
	v_pk_fma_f32 v[2:3], v[36:37], v[158:159], v[2:3] op_sel:[1,0,0] op_sel_hi:[0,1,0]
	s_delay_alu instid0(VALU_DEP_2) | instskip(NEXT) | instid1(VALU_DEP_2)
	v_pk_fma_f32 v[0:1], v[36:37], v[158:159], v[0:1] op_sel_hi:[1,1,0] neg_lo:[0,0,1] neg_hi:[0,0,1]
	v_mov_b32_e32 v1, v3
	s_delay_alu instid0(VALU_DEP_1) | instskip(SKIP_1) | instid1(VALU_DEP_1)
	v_pk_add_f32 v[196:197], v[196:197], v[0:1] neg_lo:[0,1] neg_hi:[0,1]
	v_pk_mul_f32 v[0:1], v[38:39], v[34:35] op_sel:[0,1]
	v_pk_fma_f32 v[2:3], v[38:39], v[32:33], v[0:1] op_sel:[0,0,1] op_sel_hi:[1,1,0] neg_lo:[0,0,1] neg_hi:[0,0,1]
	v_pk_fma_f32 v[0:1], v[38:39], v[32:33], v[0:1] op_sel:[0,0,1] op_sel_hi:[1,0,0]
	ds_load_2addr_b64 v[36:39], v6 offset0:36 offset1:37
	v_mov_b32_e32 v3, v1
	s_delay_alu instid0(VALU_DEP_1) | instskip(SKIP_2) | instid1(VALU_DEP_1)
	v_pk_add_f32 v[198:199], v[198:199], v[2:3] neg_lo:[0,1] neg_hi:[0,1]
	s_wait_dscnt 0x0
	v_pk_mul_f32 v[0:1], v[36:37], v[34:35] op_sel:[0,1]
	v_pk_fma_f32 v[2:3], v[36:37], v[32:33], v[0:1] op_sel:[0,0,1] op_sel_hi:[1,1,0] neg_lo:[0,0,1] neg_hi:[0,0,1]
	v_pk_fma_f32 v[0:1], v[36:37], v[32:33], v[0:1] op_sel:[0,0,1] op_sel_hi:[1,0,0]
	s_delay_alu instid0(VALU_DEP_1) | instskip(SKIP_1) | instid1(VALU_DEP_2)
	v_mov_b32_e32 v3, v1
	v_pk_mul_f32 v[0:1], v[38:39], v[34:35] op_sel:[0,1]
	v_pk_add_f32 v[200:201], v[200:201], v[2:3] neg_lo:[0,1] neg_hi:[0,1]
	s_delay_alu instid0(VALU_DEP_2) | instskip(SKIP_3) | instid1(VALU_DEP_1)
	v_pk_fma_f32 v[2:3], v[38:39], v[32:33], v[0:1] op_sel:[0,0,1] op_sel_hi:[1,1,0] neg_lo:[0,0,1] neg_hi:[0,0,1]
	v_pk_fma_f32 v[0:1], v[38:39], v[32:33], v[0:1] op_sel:[0,0,1] op_sel_hi:[1,0,0]
	ds_load_2addr_b64 v[36:39], v6 offset0:38 offset1:39
	v_mov_b32_e32 v3, v1
	v_pk_add_f32 v[202:203], v[202:203], v[2:3] neg_lo:[0,1] neg_hi:[0,1]
	s_wait_dscnt 0x0
	v_pk_mul_f32 v[0:1], v[36:37], v[34:35] op_sel:[0,1]
	s_delay_alu instid0(VALU_DEP_1) | instskip(SKIP_2) | instid1(VALU_DEP_2)
	v_pk_fma_f32 v[2:3], v[36:37], v[32:33], v[0:1] op_sel:[0,0,1] op_sel_hi:[1,1,0] neg_lo:[0,0,1] neg_hi:[0,0,1]
	v_pk_fma_f32 v[0:1], v[36:37], v[32:33], v[0:1] op_sel:[0,0,1] op_sel_hi:[1,0,0]
	v_dual_mov_b32 v0, v39 :: v_dual_mul_f32 v36, v39, v32
	v_dual_mov_b32 v3, v1 :: v_dual_mov_b32 v1, v38
	s_delay_alu instid0(VALU_DEP_1) | instskip(SKIP_1) | instid1(VALU_DEP_3)
	v_pk_add_f32 v[204:205], v[204:205], v[2:3] neg_lo:[0,1] neg_hi:[0,1]
	v_mul_f32_e32 v2, v39, v35
	v_pk_fma_f32 v[0:1], v[0:1], v[158:159], v[36:37] op_sel_hi:[1,1,0]
	s_delay_alu instid0(VALU_DEP_2) | instskip(SKIP_2) | instid1(VALU_DEP_1)
	v_pk_fma_f32 v[2:3], v[38:39], v[158:159], v[2:3] op_sel_hi:[1,1,0] neg_lo:[0,0,1] neg_hi:[0,0,1]
	ds_load_2addr_b64 v[36:39], v6 offset0:40 offset1:41
	v_mov_b32_e32 v3, v1
	v_pk_add_f32 v[206:207], v[206:207], v[2:3] neg_lo:[0,1] neg_hi:[0,1]
	s_wait_dscnt 0x0
	v_pk_mul_f32 v[0:1], v[36:37], v[34:35] op_sel:[0,1]
	s_delay_alu instid0(VALU_DEP_1) | instskip(SKIP_1) | instid1(VALU_DEP_1)
	v_pk_fma_f32 v[2:3], v[36:37], v[32:33], v[0:1] op_sel:[0,0,1] op_sel_hi:[1,1,0] neg_lo:[0,0,1] neg_hi:[0,0,1]
	v_pk_fma_f32 v[0:1], v[36:37], v[32:33], v[0:1] op_sel:[0,0,1] op_sel_hi:[1,0,0]
	v_mov_b32_e32 v3, v1
	v_pk_mul_f32 v[0:1], v[38:39], v[34:35] op_sel:[0,1]
	s_delay_alu instid0(VALU_DEP_2) | instskip(NEXT) | instid1(VALU_DEP_2)
	v_pk_add_f32 v[208:209], v[208:209], v[2:3] neg_lo:[0,1] neg_hi:[0,1]
	v_pk_fma_f32 v[2:3], v[38:39], v[32:33], v[0:1] op_sel:[0,0,1] op_sel_hi:[1,1,0] neg_lo:[0,0,1] neg_hi:[0,0,1]
	v_pk_fma_f32 v[0:1], v[38:39], v[32:33], v[0:1] op_sel:[0,0,1] op_sel_hi:[1,0,0]
	ds_load_2addr_b64 v[36:39], v6 offset0:42 offset1:43
	v_mov_b32_e32 v3, v1
	s_delay_alu instid0(VALU_DEP_1) | instskip(SKIP_2) | instid1(VALU_DEP_1)
	v_pk_add_f32 v[210:211], v[210:211], v[2:3] neg_lo:[0,1] neg_hi:[0,1]
	s_wait_dscnt 0x0
	v_pk_mul_f32 v[0:1], v[36:37], v[34:35] op_sel:[0,1]
	v_pk_fma_f32 v[2:3], v[36:37], v[32:33], v[0:1] op_sel:[0,0,1] op_sel_hi:[1,1,0] neg_lo:[0,0,1] neg_hi:[0,0,1]
	v_pk_fma_f32 v[0:1], v[36:37], v[32:33], v[0:1] op_sel:[0,0,1] op_sel_hi:[1,0,0]
	s_delay_alu instid0(VALU_DEP_1) | instskip(SKIP_1) | instid1(VALU_DEP_2)
	v_mov_b32_e32 v3, v1
	v_pk_mul_f32 v[0:1], v[38:39], v[34:35] op_sel:[0,1]
	v_pk_add_f32 v[212:213], v[212:213], v[2:3] neg_lo:[0,1] neg_hi:[0,1]
	s_delay_alu instid0(VALU_DEP_2) | instskip(SKIP_3) | instid1(VALU_DEP_1)
	v_pk_fma_f32 v[2:3], v[38:39], v[32:33], v[0:1] op_sel:[0,0,1] op_sel_hi:[1,1,0] neg_lo:[0,0,1] neg_hi:[0,0,1]
	v_pk_fma_f32 v[0:1], v[38:39], v[32:33], v[0:1] op_sel:[0,0,1] op_sel_hi:[1,0,0]
	ds_load_2addr_b64 v[36:39], v6 offset0:44 offset1:45
	v_mov_b32_e32 v3, v1
	v_pk_add_f32 v[214:215], v[214:215], v[2:3] neg_lo:[0,1] neg_hi:[0,1]
	s_wait_dscnt 0x0
	v_dual_mul_f32 v0, v37, v35 :: v_dual_mul_f32 v2, v37, v32
	s_delay_alu instid0(VALU_DEP_1) | instskip(NEXT) | instid1(VALU_DEP_2)
	v_pk_fma_f32 v[0:1], v[36:37], v[158:159], v[0:1] op_sel_hi:[1,1,0] neg_lo:[0,0,1] neg_hi:[0,0,1]
	v_pk_fma_f32 v[2:3], v[36:37], v[158:159], v[2:3] op_sel:[1,0,0] op_sel_hi:[0,1,0]
	s_delay_alu instid0(VALU_DEP_1) | instskip(NEXT) | instid1(VALU_DEP_1)
	v_mov_b32_e32 v1, v3
	v_pk_add_f32 v[216:217], v[216:217], v[0:1] neg_lo:[0,1] neg_hi:[0,1]
	v_pk_mul_f32 v[0:1], v[38:39], v[34:35] op_sel:[0,1]
	s_delay_alu instid0(VALU_DEP_1) | instskip(SKIP_3) | instid1(VALU_DEP_1)
	v_pk_fma_f32 v[2:3], v[38:39], v[32:33], v[0:1] op_sel:[0,0,1] op_sel_hi:[1,1,0] neg_lo:[0,0,1] neg_hi:[0,0,1]
	v_pk_fma_f32 v[0:1], v[38:39], v[32:33], v[0:1] op_sel:[0,0,1] op_sel_hi:[1,0,0]
	ds_load_2addr_b64 v[36:39], v6 offset0:46 offset1:47
	v_mov_b32_e32 v3, v1
	v_pk_add_f32 v[218:219], v[218:219], v[2:3] neg_lo:[0,1] neg_hi:[0,1]
	s_wait_dscnt 0x0
	v_pk_mul_f32 v[0:1], v[36:37], v[34:35] op_sel:[0,1]
	s_delay_alu instid0(VALU_DEP_1) | instskip(SKIP_1) | instid1(VALU_DEP_1)
	v_pk_fma_f32 v[2:3], v[36:37], v[32:33], v[0:1] op_sel:[0,0,1] op_sel_hi:[1,1,0] neg_lo:[0,0,1] neg_hi:[0,0,1]
	v_pk_fma_f32 v[0:1], v[36:37], v[32:33], v[0:1] op_sel:[0,0,1] op_sel_hi:[1,0,0]
	v_mov_b32_e32 v3, v1
	v_pk_mul_f32 v[0:1], v[38:39], v[34:35] op_sel:[0,1]
	s_delay_alu instid0(VALU_DEP_2) | instskip(NEXT) | instid1(VALU_DEP_2)
	v_pk_add_f32 v[220:221], v[220:221], v[2:3] neg_lo:[0,1] neg_hi:[0,1]
	v_pk_fma_f32 v[2:3], v[38:39], v[32:33], v[0:1] op_sel:[0,0,1] op_sel_hi:[1,1,0] neg_lo:[0,0,1] neg_hi:[0,0,1]
	v_pk_fma_f32 v[0:1], v[38:39], v[32:33], v[0:1] op_sel:[0,0,1] op_sel_hi:[1,0,0]
	ds_load_2addr_b64 v[36:39], v6 offset0:48 offset1:49
	v_mov_b32_e32 v3, v1
	s_delay_alu instid0(VALU_DEP_1) | instskip(SKIP_2) | instid1(VALU_DEP_1)
	v_pk_add_f32 v[222:223], v[222:223], v[2:3] neg_lo:[0,1] neg_hi:[0,1]
	s_wait_dscnt 0x0
	v_pk_mul_f32 v[0:1], v[36:37], v[34:35] op_sel:[0,1]
	v_pk_fma_f32 v[2:3], v[36:37], v[32:33], v[0:1] op_sel:[0,0,1] op_sel_hi:[1,1,0] neg_lo:[0,0,1] neg_hi:[0,0,1]
	v_pk_fma_f32 v[0:1], v[36:37], v[32:33], v[0:1] op_sel:[0,0,1] op_sel_hi:[1,0,0]
	v_dual_mov_b32 v0, v39 :: v_dual_mul_f32 v36, v39, v32
	s_delay_alu instid0(VALU_DEP_2) | instskip(NEXT) | instid1(VALU_DEP_1)
	v_dual_mov_b32 v3, v1 :: v_dual_mov_b32 v1, v38
	v_pk_add_f32 v[224:225], v[224:225], v[2:3] neg_lo:[0,1] neg_hi:[0,1]
	v_mul_f32_e32 v2, v39, v35
	s_delay_alu instid0(VALU_DEP_3) | instskip(NEXT) | instid1(VALU_DEP_2)
	v_pk_fma_f32 v[0:1], v[0:1], v[158:159], v[36:37] op_sel_hi:[1,1,0]
	v_pk_fma_f32 v[2:3], v[38:39], v[158:159], v[2:3] op_sel_hi:[1,1,0] neg_lo:[0,0,1] neg_hi:[0,0,1]
	ds_load_2addr_b64 v[36:39], v6 offset0:50 offset1:51
	v_mov_b32_e32 v3, v1
	s_delay_alu instid0(VALU_DEP_1) | instskip(SKIP_2) | instid1(VALU_DEP_1)
	v_pk_add_f32 v[226:227], v[226:227], v[2:3] neg_lo:[0,1] neg_hi:[0,1]
	s_wait_dscnt 0x0
	v_pk_mul_f32 v[0:1], v[36:37], v[34:35] op_sel:[0,1]
	v_pk_fma_f32 v[2:3], v[36:37], v[32:33], v[0:1] op_sel:[0,0,1] op_sel_hi:[1,1,0] neg_lo:[0,0,1] neg_hi:[0,0,1]
	v_pk_fma_f32 v[0:1], v[36:37], v[32:33], v[0:1] op_sel:[0,0,1] op_sel_hi:[1,0,0]
	s_delay_alu instid0(VALU_DEP_1) | instskip(SKIP_1) | instid1(VALU_DEP_2)
	v_mov_b32_e32 v3, v1
	v_pk_mul_f32 v[0:1], v[38:39], v[34:35] op_sel:[0,1]
	v_pk_add_f32 v[228:229], v[228:229], v[2:3] neg_lo:[0,1] neg_hi:[0,1]
	s_delay_alu instid0(VALU_DEP_2) | instskip(SKIP_3) | instid1(VALU_DEP_1)
	v_pk_fma_f32 v[2:3], v[38:39], v[32:33], v[0:1] op_sel:[0,0,1] op_sel_hi:[1,1,0] neg_lo:[0,0,1] neg_hi:[0,0,1]
	v_pk_fma_f32 v[0:1], v[38:39], v[32:33], v[0:1] op_sel:[0,0,1] op_sel_hi:[1,0,0]
	ds_load_2addr_b64 v[36:39], v6 offset0:52 offset1:53
	v_mov_b32_e32 v3, v1
	v_pk_add_f32 v[230:231], v[230:231], v[2:3] neg_lo:[0,1] neg_hi:[0,1]
	s_wait_dscnt 0x0
	v_pk_mul_f32 v[0:1], v[36:37], v[34:35] op_sel:[0,1]
	s_delay_alu instid0(VALU_DEP_1) | instskip(SKIP_1) | instid1(VALU_DEP_1)
	v_pk_fma_f32 v[2:3], v[36:37], v[32:33], v[0:1] op_sel:[0,0,1] op_sel_hi:[1,1,0] neg_lo:[0,0,1] neg_hi:[0,0,1]
	v_pk_fma_f32 v[0:1], v[36:37], v[32:33], v[0:1] op_sel:[0,0,1] op_sel_hi:[1,0,0]
	v_mov_b32_e32 v3, v1
	v_pk_mul_f32 v[0:1], v[38:39], v[34:35] op_sel:[0,1]
	s_delay_alu instid0(VALU_DEP_2) | instskip(NEXT) | instid1(VALU_DEP_2)
	v_pk_add_f32 v[232:233], v[232:233], v[2:3] neg_lo:[0,1] neg_hi:[0,1]
	v_pk_fma_f32 v[2:3], v[38:39], v[32:33], v[0:1] op_sel:[0,0,1] op_sel_hi:[1,1,0] neg_lo:[0,0,1] neg_hi:[0,0,1]
	v_pk_fma_f32 v[0:1], v[38:39], v[32:33], v[0:1] op_sel:[0,0,1] op_sel_hi:[1,0,0]
	ds_load_2addr_b64 v[36:39], v6 offset0:54 offset1:55
	v_mov_b32_e32 v3, v1
	s_delay_alu instid0(VALU_DEP_1) | instskip(SKIP_2) | instid1(VALU_DEP_1)
	v_pk_add_f32 v[234:235], v[234:235], v[2:3] neg_lo:[0,1] neg_hi:[0,1]
	s_wait_dscnt 0x0
	v_dual_mul_f32 v2, v37, v32 :: v_dual_mul_f32 v0, v37, v35
	v_pk_fma_f32 v[2:3], v[36:37], v[158:159], v[2:3] op_sel:[1,0,0] op_sel_hi:[0,1,0]
	s_delay_alu instid0(VALU_DEP_2) | instskip(NEXT) | instid1(VALU_DEP_2)
	v_pk_fma_f32 v[0:1], v[36:37], v[158:159], v[0:1] op_sel_hi:[1,1,0] neg_lo:[0,0,1] neg_hi:[0,0,1]
	v_mov_b32_e32 v1, v3
	s_delay_alu instid0(VALU_DEP_1) | instskip(SKIP_1) | instid1(VALU_DEP_1)
	v_pk_add_f32 v[236:237], v[236:237], v[0:1] neg_lo:[0,1] neg_hi:[0,1]
	v_pk_mul_f32 v[0:1], v[38:39], v[34:35] op_sel:[0,1]
	v_pk_fma_f32 v[2:3], v[38:39], v[32:33], v[0:1] op_sel:[0,0,1] op_sel_hi:[1,1,0] neg_lo:[0,0,1] neg_hi:[0,0,1]
	v_pk_fma_f32 v[0:1], v[38:39], v[32:33], v[0:1] op_sel:[0,0,1] op_sel_hi:[1,0,0]
	ds_load_2addr_b64 v[36:39], v6 offset0:56 offset1:57
	v_mov_b32_e32 v3, v1
	s_delay_alu instid0(VALU_DEP_1) | instskip(SKIP_2) | instid1(VALU_DEP_1)
	v_pk_add_f32 v[238:239], v[238:239], v[2:3] neg_lo:[0,1] neg_hi:[0,1]
	s_wait_dscnt 0x0
	v_pk_mul_f32 v[0:1], v[36:37], v[34:35] op_sel:[0,1]
	v_pk_fma_f32 v[2:3], v[36:37], v[32:33], v[0:1] op_sel:[0,0,1] op_sel_hi:[1,1,0] neg_lo:[0,0,1] neg_hi:[0,0,1]
	v_pk_fma_f32 v[0:1], v[36:37], v[32:33], v[0:1] op_sel:[0,0,1] op_sel_hi:[1,0,0]
	s_delay_alu instid0(VALU_DEP_1) | instskip(SKIP_1) | instid1(VALU_DEP_2)
	v_mov_b32_e32 v3, v1
	v_pk_mul_f32 v[0:1], v[38:39], v[34:35] op_sel:[0,1]
	v_pk_add_f32 v[248:249], v[248:249], v[2:3] neg_lo:[0,1] neg_hi:[0,1]
	s_delay_alu instid0(VALU_DEP_2) | instskip(SKIP_3) | instid1(VALU_DEP_1)
	v_pk_fma_f32 v[2:3], v[38:39], v[32:33], v[0:1] op_sel:[0,0,1] op_sel_hi:[1,1,0] neg_lo:[0,0,1] neg_hi:[0,0,1]
	v_pk_fma_f32 v[0:1], v[38:39], v[32:33], v[0:1] op_sel:[0,0,1] op_sel_hi:[1,0,0]
	ds_load_2addr_b64 v[36:39], v6 offset0:58 offset1:59
	v_mov_b32_e32 v3, v1
	v_pk_add_f32 v[242:243], v[242:243], v[2:3] neg_lo:[0,1] neg_hi:[0,1]
	s_wait_dscnt 0x0
	v_pk_mul_f32 v[0:1], v[36:37], v[34:35] op_sel:[0,1]
	s_delay_alu instid0(VALU_DEP_1) | instskip(SKIP_2) | instid1(VALU_DEP_2)
	v_pk_fma_f32 v[2:3], v[36:37], v[32:33], v[0:1] op_sel:[0,0,1] op_sel_hi:[1,1,0] neg_lo:[0,0,1] neg_hi:[0,0,1]
	v_pk_fma_f32 v[0:1], v[36:37], v[32:33], v[0:1] op_sel:[0,0,1] op_sel_hi:[1,0,0]
	v_dual_mov_b32 v0, v39 :: v_dual_mul_f32 v36, v39, v32
	v_dual_mov_b32 v3, v1 :: v_dual_mov_b32 v1, v38
	s_delay_alu instid0(VALU_DEP_1) | instskip(SKIP_1) | instid1(VALU_DEP_3)
	v_pk_add_f32 v[246:247], v[246:247], v[2:3] neg_lo:[0,1] neg_hi:[0,1]
	v_mul_f32_e32 v2, v39, v35
	v_pk_fma_f32 v[0:1], v[0:1], v[158:159], v[36:37] op_sel_hi:[1,1,0]
	s_delay_alu instid0(VALU_DEP_2) | instskip(SKIP_2) | instid1(VALU_DEP_1)
	v_pk_fma_f32 v[2:3], v[38:39], v[158:159], v[2:3] op_sel_hi:[1,1,0] neg_lo:[0,0,1] neg_hi:[0,0,1]
	ds_load_2addr_b64 v[36:39], v6 offset0:60 offset1:61
	v_mov_b32_e32 v3, v1
	v_pk_add_f32 v[240:241], v[240:241], v[2:3] neg_lo:[0,1] neg_hi:[0,1]
	s_wait_dscnt 0x0
	v_pk_mul_f32 v[0:1], v[36:37], v[34:35] op_sel:[0,1]
	s_delay_alu instid0(VALU_DEP_1) | instskip(SKIP_1) | instid1(VALU_DEP_1)
	v_pk_fma_f32 v[2:3], v[36:37], v[32:33], v[0:1] op_sel:[0,0,1] op_sel_hi:[1,1,0] neg_lo:[0,0,1] neg_hi:[0,0,1]
	v_pk_fma_f32 v[0:1], v[36:37], v[32:33], v[0:1] op_sel:[0,0,1] op_sel_hi:[1,0,0]
	v_mov_b32_e32 v3, v1
	v_pk_mul_f32 v[0:1], v[38:39], v[34:35] op_sel:[0,1]
	s_delay_alu instid0(VALU_DEP_2) | instskip(NEXT) | instid1(VALU_DEP_2)
	v_pk_add_f32 v[244:245], v[244:245], v[2:3] neg_lo:[0,1] neg_hi:[0,1]
	v_pk_fma_f32 v[2:3], v[38:39], v[32:33], v[0:1] op_sel:[0,0,1] op_sel_hi:[1,1,0] neg_lo:[0,0,1] neg_hi:[0,0,1]
	v_pk_fma_f32 v[0:1], v[38:39], v[32:33], v[0:1] op_sel:[0,0,1] op_sel_hi:[1,0,0]
	s_delay_alu instid0(VALU_DEP_1) | instskip(SKIP_4) | instid1(VALU_DEP_1)
	v_mov_b32_e32 v3, v1
	ds_load_b64 v[0:1], v6 offset:496
	v_pk_add_f32 v[250:251], v[250:251], v[2:3] neg_lo:[0,1] neg_hi:[0,1]
	s_wait_dscnt 0x0
	v_pk_mul_f32 v[2:3], v[0:1], v[34:35] op_sel:[0,1]
	v_pk_fma_f32 v[34:35], v[0:1], v[32:33], v[2:3] op_sel:[0,0,1] op_sel_hi:[1,1,0] neg_lo:[0,0,1] neg_hi:[0,0,1]
	v_pk_fma_f32 v[0:1], v[0:1], v[32:33], v[2:3] op_sel:[0,0,1] op_sel_hi:[1,0,0]
	s_delay_alu instid0(VALU_DEP_1) | instskip(NEXT) | instid1(VALU_DEP_1)
	v_mov_b32_e32 v35, v1
	v_pk_add_f32 v[252:253], v[252:253], v[34:35] neg_lo:[0,1] neg_hi:[0,1]
.LBB125_145:
	s_or_b32 exec_lo, exec_lo, s1
	s_delay_alu instid0(SALU_CYCLE_1)
	s_mov_b32 s2, exec_lo
	s_wait_dscnt 0x0
	s_barrier_signal -1
	s_barrier_wait -1
	v_cmpx_eq_u32_e32 16, v254
	s_cbranch_execz .LBB125_152
; %bb.146:
	ds_store_b64 v255, v[160:161]
	ds_store_2addr_b64 v6, v[162:163], v[164:165] offset0:17 offset1:18
	ds_store_2addr_b64 v6, v[166:167], v[168:169] offset0:19 offset1:20
	;; [unrolled: 1-line block ×23, first 2 shown]
	ds_load_b64 v[32:33], v255
	s_wait_dscnt 0x0
	v_cmp_neq_f32_e32 vcc_lo, 0, v32
	v_cmp_neq_f32_e64 s1, 0, v33
	s_or_b32 s1, vcc_lo, s1
	s_delay_alu instid0(SALU_CYCLE_1)
	s_and_b32 exec_lo, exec_lo, s1
	s_cbranch_execz .LBB125_152
; %bb.147:
	v_cmp_ngt_f32_e64 s1, |v32|, |v33|
                                        ; implicit-def: $vgpr34_vgpr35
	s_and_saveexec_b32 s4, s1
	s_delay_alu instid0(SALU_CYCLE_1)
	s_xor_b32 s1, exec_lo, s4
	s_cbranch_execz .LBB125_149
; %bb.148:
	v_div_scale_f32 v0, null, v33, v33, v32
	v_div_scale_f32 v3, vcc_lo, v32, v33, v32
	s_delay_alu instid0(VALU_DEP_2) | instskip(SKIP_1) | instid1(TRANS32_DEP_1)
	v_rcp_f32_e32 v1, v0
	v_nop
	v_fma_f32 v2, -v0, v1, 1.0
	s_delay_alu instid0(VALU_DEP_1) | instskip(NEXT) | instid1(VALU_DEP_1)
	v_fmac_f32_e32 v1, v2, v1
	v_mul_f32_e32 v2, v3, v1
	s_delay_alu instid0(VALU_DEP_1) | instskip(NEXT) | instid1(VALU_DEP_1)
	v_fma_f32 v4, -v0, v2, v3
	v_fmac_f32_e32 v2, v4, v1
	s_delay_alu instid0(VALU_DEP_1) | instskip(NEXT) | instid1(VALU_DEP_1)
	v_fma_f32 v0, -v0, v2, v3
	v_div_fmas_f32 v0, v0, v1, v2
	s_delay_alu instid0(VALU_DEP_1) | instskip(NEXT) | instid1(VALU_DEP_1)
	v_div_fixup_f32 v0, v0, v33, v32
	v_fmac_f32_e32 v33, v32, v0
	s_delay_alu instid0(VALU_DEP_1) | instskip(SKIP_1) | instid1(VALU_DEP_2)
	v_div_scale_f32 v1, null, v33, v33, 1.0
	v_div_scale_f32 v4, vcc_lo, 1.0, v33, 1.0
	v_rcp_f32_e32 v2, v1
	v_nop
	s_delay_alu instid0(TRANS32_DEP_1) | instskip(NEXT) | instid1(VALU_DEP_1)
	v_fma_f32 v3, -v1, v2, 1.0
	v_fmac_f32_e32 v2, v3, v2
	s_delay_alu instid0(VALU_DEP_1) | instskip(NEXT) | instid1(VALU_DEP_1)
	v_mul_f32_e32 v3, v4, v2
	v_fma_f32 v5, -v1, v3, v4
	s_delay_alu instid0(VALU_DEP_1) | instskip(NEXT) | instid1(VALU_DEP_1)
	v_fmac_f32_e32 v3, v5, v2
	v_fma_f32 v1, -v1, v3, v4
	s_delay_alu instid0(VALU_DEP_1) | instskip(NEXT) | instid1(VALU_DEP_1)
	v_div_fmas_f32 v1, v1, v2, v3
	v_div_fixup_f32 v1, v1, v33, 1.0
                                        ; implicit-def: $vgpr32_vgpr33
	s_delay_alu instid0(VALU_DEP_1)
	v_mul_f32_e32 v34, v0, v1
	v_xor_b32_e32 v35, 0x80000000, v1
.LBB125_149:
	s_and_not1_saveexec_b32 s1, s1
	s_cbranch_execz .LBB125_151
; %bb.150:
	v_div_scale_f32 v0, null, v32, v32, v33
	v_div_scale_f32 v3, vcc_lo, v33, v32, v33
	s_delay_alu instid0(VALU_DEP_2) | instskip(SKIP_1) | instid1(TRANS32_DEP_1)
	v_rcp_f32_e32 v1, v0
	v_nop
	v_fma_f32 v2, -v0, v1, 1.0
	s_delay_alu instid0(VALU_DEP_1) | instskip(NEXT) | instid1(VALU_DEP_1)
	v_fmac_f32_e32 v1, v2, v1
	v_mul_f32_e32 v2, v3, v1
	s_delay_alu instid0(VALU_DEP_1) | instskip(NEXT) | instid1(VALU_DEP_1)
	v_fma_f32 v4, -v0, v2, v3
	v_fmac_f32_e32 v2, v4, v1
	s_delay_alu instid0(VALU_DEP_1) | instskip(NEXT) | instid1(VALU_DEP_1)
	v_fma_f32 v0, -v0, v2, v3
	v_div_fmas_f32 v0, v0, v1, v2
	s_delay_alu instid0(VALU_DEP_1) | instskip(NEXT) | instid1(VALU_DEP_1)
	v_div_fixup_f32 v0, v0, v32, v33
	v_fmac_f32_e32 v32, v33, v0
	s_delay_alu instid0(VALU_DEP_1) | instskip(NEXT) | instid1(VALU_DEP_1)
	v_div_scale_f32 v1, null, v32, v32, 1.0
	v_rcp_f32_e32 v2, v1
	v_nop
	s_delay_alu instid0(TRANS32_DEP_1) | instskip(NEXT) | instid1(VALU_DEP_1)
	v_fma_f32 v3, -v1, v2, 1.0
	v_fmac_f32_e32 v2, v3, v2
	v_div_scale_f32 v3, vcc_lo, 1.0, v32, 1.0
	s_delay_alu instid0(VALU_DEP_1) | instskip(NEXT) | instid1(VALU_DEP_1)
	v_mul_f32_e32 v4, v3, v2
	v_fma_f32 v5, -v1, v4, v3
	s_delay_alu instid0(VALU_DEP_1) | instskip(NEXT) | instid1(VALU_DEP_1)
	v_fmac_f32_e32 v4, v5, v2
	v_fma_f32 v1, -v1, v4, v3
	s_delay_alu instid0(VALU_DEP_1) | instskip(NEXT) | instid1(VALU_DEP_1)
	v_div_fmas_f32 v1, v1, v2, v4
	v_div_fixup_f32 v34, v1, v32, 1.0
	s_delay_alu instid0(VALU_DEP_1)
	v_mul_f32_e64 v35, v0, -v34
.LBB125_151:
	s_or_b32 exec_lo, exec_lo, s1
	ds_store_b64 v255, v[34:35]
.LBB125_152:
	s_or_b32 exec_lo, exec_lo, s2
	s_wait_dscnt 0x0
	s_barrier_signal -1
	s_barrier_wait -1
	ds_load_b64 v[32:33], v255
	s_mov_b32 s1, exec_lo
	v_cmpx_lt_u32_e32 16, v254
	s_cbranch_execz .LBB125_154
; %bb.153:
	ds_load_2addr_b64 v[38:41], v6 offset0:17 offset1:18
	s_wait_dscnt 0x1
	v_pk_mul_f32 v[0:1], v[32:33], v[160:161] op_sel:[1,1] op_sel_hi:[0,1]
	s_delay_alu instid0(VALU_DEP_1) | instskip(SKIP_1) | instid1(VALU_DEP_1)
	v_pk_fma_f32 v[36:37], v[32:33], v[160:161], v[0:1] op_sel_hi:[1,0,1]
	v_pk_fma_f32 v[34:35], v[32:33], v[160:161], v[0:1] op_sel_hi:[1,0,1] neg_lo:[0,0,1] neg_hi:[0,0,1]
	v_dual_mov_b32 v161, v37 :: v_dual_mov_b32 v160, v34
	s_wait_dscnt 0x0
	s_delay_alu instid0(VALU_DEP_3) | instskip(NEXT) | instid1(VALU_DEP_1)
	v_pk_mul_f32 v[0:1], v[38:39], v[36:37] op_sel:[0,1]
	v_pk_fma_f32 v[2:3], v[38:39], v[34:35], v[0:1] op_sel:[0,0,1] op_sel_hi:[1,1,0] neg_lo:[0,0,1] neg_hi:[0,0,1]
	v_pk_fma_f32 v[0:1], v[38:39], v[34:35], v[0:1] op_sel:[0,0,1] op_sel_hi:[1,0,0]
	s_delay_alu instid0(VALU_DEP_1) | instskip(SKIP_1) | instid1(VALU_DEP_2)
	v_mov_b32_e32 v3, v1
	v_pk_mul_f32 v[0:1], v[40:41], v[36:37] op_sel:[0,1]
	v_pk_add_f32 v[162:163], v[162:163], v[2:3] neg_lo:[0,1] neg_hi:[0,1]
	s_delay_alu instid0(VALU_DEP_2) | instskip(SKIP_3) | instid1(VALU_DEP_1)
	v_pk_fma_f32 v[2:3], v[40:41], v[34:35], v[0:1] op_sel:[0,0,1] op_sel_hi:[1,1,0] neg_lo:[0,0,1] neg_hi:[0,0,1]
	v_pk_fma_f32 v[0:1], v[40:41], v[34:35], v[0:1] op_sel:[0,0,1] op_sel_hi:[1,0,0]
	ds_load_2addr_b64 v[38:41], v6 offset0:19 offset1:20
	v_mov_b32_e32 v3, v1
	v_pk_add_f32 v[164:165], v[164:165], v[2:3] neg_lo:[0,1] neg_hi:[0,1]
	s_wait_dscnt 0x0
	v_pk_mul_f32 v[0:1], v[38:39], v[36:37] op_sel:[0,1]
	s_delay_alu instid0(VALU_DEP_1) | instskip(SKIP_2) | instid1(VALU_DEP_2)
	v_pk_fma_f32 v[2:3], v[38:39], v[34:35], v[0:1] op_sel:[0,0,1] op_sel_hi:[1,1,0] neg_lo:[0,0,1] neg_hi:[0,0,1]
	v_pk_fma_f32 v[0:1], v[38:39], v[34:35], v[0:1] op_sel:[0,0,1] op_sel_hi:[1,0,0]
	v_dual_mov_b32 v0, v41 :: v_dual_mul_f32 v38, v41, v34
	v_dual_mov_b32 v3, v1 :: v_dual_mov_b32 v1, v40
	s_delay_alu instid0(VALU_DEP_1) | instskip(SKIP_1) | instid1(VALU_DEP_3)
	v_pk_add_f32 v[166:167], v[166:167], v[2:3] neg_lo:[0,1] neg_hi:[0,1]
	v_mul_f32_e32 v2, v41, v37
	v_pk_fma_f32 v[0:1], v[0:1], v[160:161], v[38:39] op_sel_hi:[1,1,0]
	s_delay_alu instid0(VALU_DEP_2) | instskip(SKIP_2) | instid1(VALU_DEP_1)
	v_pk_fma_f32 v[2:3], v[40:41], v[160:161], v[2:3] op_sel_hi:[1,1,0] neg_lo:[0,0,1] neg_hi:[0,0,1]
	ds_load_2addr_b64 v[38:41], v6 offset0:21 offset1:22
	v_mov_b32_e32 v3, v1
	v_pk_add_f32 v[168:169], v[168:169], v[2:3] neg_lo:[0,1] neg_hi:[0,1]
	s_wait_dscnt 0x0
	v_pk_mul_f32 v[0:1], v[38:39], v[36:37] op_sel:[0,1]
	s_delay_alu instid0(VALU_DEP_1) | instskip(SKIP_1) | instid1(VALU_DEP_1)
	v_pk_fma_f32 v[2:3], v[38:39], v[34:35], v[0:1] op_sel:[0,0,1] op_sel_hi:[1,1,0] neg_lo:[0,0,1] neg_hi:[0,0,1]
	v_pk_fma_f32 v[0:1], v[38:39], v[34:35], v[0:1] op_sel:[0,0,1] op_sel_hi:[1,0,0]
	v_mov_b32_e32 v3, v1
	v_pk_mul_f32 v[0:1], v[40:41], v[36:37] op_sel:[0,1]
	s_delay_alu instid0(VALU_DEP_2) | instskip(NEXT) | instid1(VALU_DEP_2)
	v_pk_add_f32 v[170:171], v[170:171], v[2:3] neg_lo:[0,1] neg_hi:[0,1]
	v_pk_fma_f32 v[2:3], v[40:41], v[34:35], v[0:1] op_sel:[0,0,1] op_sel_hi:[1,1,0] neg_lo:[0,0,1] neg_hi:[0,0,1]
	v_pk_fma_f32 v[0:1], v[40:41], v[34:35], v[0:1] op_sel:[0,0,1] op_sel_hi:[1,0,0]
	ds_load_2addr_b64 v[38:41], v6 offset0:23 offset1:24
	v_mov_b32_e32 v3, v1
	s_delay_alu instid0(VALU_DEP_1) | instskip(SKIP_2) | instid1(VALU_DEP_1)
	v_pk_add_f32 v[172:173], v[172:173], v[2:3] neg_lo:[0,1] neg_hi:[0,1]
	s_wait_dscnt 0x0
	v_pk_mul_f32 v[0:1], v[38:39], v[36:37] op_sel:[0,1]
	v_pk_fma_f32 v[2:3], v[38:39], v[34:35], v[0:1] op_sel:[0,0,1] op_sel_hi:[1,1,0] neg_lo:[0,0,1] neg_hi:[0,0,1]
	v_pk_fma_f32 v[0:1], v[38:39], v[34:35], v[0:1] op_sel:[0,0,1] op_sel_hi:[1,0,0]
	s_delay_alu instid0(VALU_DEP_1) | instskip(SKIP_1) | instid1(VALU_DEP_2)
	v_mov_b32_e32 v3, v1
	v_pk_mul_f32 v[0:1], v[40:41], v[36:37] op_sel:[0,1]
	v_pk_add_f32 v[174:175], v[174:175], v[2:3] neg_lo:[0,1] neg_hi:[0,1]
	s_delay_alu instid0(VALU_DEP_2) | instskip(SKIP_3) | instid1(VALU_DEP_1)
	v_pk_fma_f32 v[2:3], v[40:41], v[34:35], v[0:1] op_sel:[0,0,1] op_sel_hi:[1,1,0] neg_lo:[0,0,1] neg_hi:[0,0,1]
	v_pk_fma_f32 v[0:1], v[40:41], v[34:35], v[0:1] op_sel:[0,0,1] op_sel_hi:[1,0,0]
	ds_load_2addr_b64 v[38:41], v6 offset0:25 offset1:26
	v_mov_b32_e32 v3, v1
	v_pk_add_f32 v[176:177], v[176:177], v[2:3] neg_lo:[0,1] neg_hi:[0,1]
	s_wait_dscnt 0x0
	v_dual_mul_f32 v2, v39, v34 :: v_dual_mul_f32 v0, v39, v37
	s_delay_alu instid0(VALU_DEP_1) | instskip(NEXT) | instid1(VALU_DEP_2)
	v_pk_fma_f32 v[2:3], v[38:39], v[160:161], v[2:3] op_sel:[1,0,0] op_sel_hi:[0,1,0]
	v_pk_fma_f32 v[0:1], v[38:39], v[160:161], v[0:1] op_sel_hi:[1,1,0] neg_lo:[0,0,1] neg_hi:[0,0,1]
	s_delay_alu instid0(VALU_DEP_2) | instskip(NEXT) | instid1(VALU_DEP_1)
	v_mov_b32_e32 v1, v3
	v_pk_add_f32 v[178:179], v[178:179], v[0:1] neg_lo:[0,1] neg_hi:[0,1]
	v_pk_mul_f32 v[0:1], v[40:41], v[36:37] op_sel:[0,1]
	s_delay_alu instid0(VALU_DEP_1) | instskip(SKIP_3) | instid1(VALU_DEP_1)
	v_pk_fma_f32 v[2:3], v[40:41], v[34:35], v[0:1] op_sel:[0,0,1] op_sel_hi:[1,1,0] neg_lo:[0,0,1] neg_hi:[0,0,1]
	v_pk_fma_f32 v[0:1], v[40:41], v[34:35], v[0:1] op_sel:[0,0,1] op_sel_hi:[1,0,0]
	ds_load_2addr_b64 v[38:41], v6 offset0:27 offset1:28
	v_mov_b32_e32 v3, v1
	v_pk_add_f32 v[180:181], v[180:181], v[2:3] neg_lo:[0,1] neg_hi:[0,1]
	s_wait_dscnt 0x0
	v_pk_mul_f32 v[0:1], v[38:39], v[36:37] op_sel:[0,1]
	s_delay_alu instid0(VALU_DEP_1) | instskip(SKIP_1) | instid1(VALU_DEP_1)
	v_pk_fma_f32 v[2:3], v[38:39], v[34:35], v[0:1] op_sel:[0,0,1] op_sel_hi:[1,1,0] neg_lo:[0,0,1] neg_hi:[0,0,1]
	v_pk_fma_f32 v[0:1], v[38:39], v[34:35], v[0:1] op_sel:[0,0,1] op_sel_hi:[1,0,0]
	v_mov_b32_e32 v3, v1
	v_pk_mul_f32 v[0:1], v[40:41], v[36:37] op_sel:[0,1]
	s_delay_alu instid0(VALU_DEP_2) | instskip(NEXT) | instid1(VALU_DEP_2)
	v_pk_add_f32 v[182:183], v[182:183], v[2:3] neg_lo:[0,1] neg_hi:[0,1]
	v_pk_fma_f32 v[2:3], v[40:41], v[34:35], v[0:1] op_sel:[0,0,1] op_sel_hi:[1,1,0] neg_lo:[0,0,1] neg_hi:[0,0,1]
	v_pk_fma_f32 v[0:1], v[40:41], v[34:35], v[0:1] op_sel:[0,0,1] op_sel_hi:[1,0,0]
	ds_load_2addr_b64 v[38:41], v6 offset0:29 offset1:30
	v_mov_b32_e32 v3, v1
	s_delay_alu instid0(VALU_DEP_1) | instskip(SKIP_2) | instid1(VALU_DEP_1)
	v_pk_add_f32 v[184:185], v[184:185], v[2:3] neg_lo:[0,1] neg_hi:[0,1]
	s_wait_dscnt 0x0
	v_pk_mul_f32 v[0:1], v[38:39], v[36:37] op_sel:[0,1]
	v_pk_fma_f32 v[2:3], v[38:39], v[34:35], v[0:1] op_sel:[0,0,1] op_sel_hi:[1,1,0] neg_lo:[0,0,1] neg_hi:[0,0,1]
	v_pk_fma_f32 v[0:1], v[38:39], v[34:35], v[0:1] op_sel:[0,0,1] op_sel_hi:[1,0,0]
	v_dual_mov_b32 v0, v41 :: v_dual_mul_f32 v38, v41, v34
	s_delay_alu instid0(VALU_DEP_2) | instskip(NEXT) | instid1(VALU_DEP_1)
	v_dual_mov_b32 v3, v1 :: v_dual_mov_b32 v1, v40
	v_pk_add_f32 v[186:187], v[186:187], v[2:3] neg_lo:[0,1] neg_hi:[0,1]
	v_mul_f32_e32 v2, v41, v37
	s_delay_alu instid0(VALU_DEP_3) | instskip(NEXT) | instid1(VALU_DEP_2)
	v_pk_fma_f32 v[0:1], v[0:1], v[160:161], v[38:39] op_sel_hi:[1,1,0]
	v_pk_fma_f32 v[2:3], v[40:41], v[160:161], v[2:3] op_sel_hi:[1,1,0] neg_lo:[0,0,1] neg_hi:[0,0,1]
	ds_load_2addr_b64 v[38:41], v6 offset0:31 offset1:32
	v_mov_b32_e32 v3, v1
	s_delay_alu instid0(VALU_DEP_1) | instskip(SKIP_2) | instid1(VALU_DEP_1)
	v_pk_add_f32 v[188:189], v[188:189], v[2:3] neg_lo:[0,1] neg_hi:[0,1]
	s_wait_dscnt 0x0
	v_pk_mul_f32 v[0:1], v[38:39], v[36:37] op_sel:[0,1]
	v_pk_fma_f32 v[2:3], v[38:39], v[34:35], v[0:1] op_sel:[0,0,1] op_sel_hi:[1,1,0] neg_lo:[0,0,1] neg_hi:[0,0,1]
	v_pk_fma_f32 v[0:1], v[38:39], v[34:35], v[0:1] op_sel:[0,0,1] op_sel_hi:[1,0,0]
	s_delay_alu instid0(VALU_DEP_1) | instskip(SKIP_1) | instid1(VALU_DEP_2)
	v_mov_b32_e32 v3, v1
	v_pk_mul_f32 v[0:1], v[40:41], v[36:37] op_sel:[0,1]
	v_pk_add_f32 v[190:191], v[190:191], v[2:3] neg_lo:[0,1] neg_hi:[0,1]
	s_delay_alu instid0(VALU_DEP_2) | instskip(SKIP_3) | instid1(VALU_DEP_1)
	v_pk_fma_f32 v[2:3], v[40:41], v[34:35], v[0:1] op_sel:[0,0,1] op_sel_hi:[1,1,0] neg_lo:[0,0,1] neg_hi:[0,0,1]
	v_pk_fma_f32 v[0:1], v[40:41], v[34:35], v[0:1] op_sel:[0,0,1] op_sel_hi:[1,0,0]
	ds_load_2addr_b64 v[38:41], v6 offset0:33 offset1:34
	v_mov_b32_e32 v3, v1
	v_pk_add_f32 v[192:193], v[192:193], v[2:3] neg_lo:[0,1] neg_hi:[0,1]
	s_wait_dscnt 0x0
	v_pk_mul_f32 v[0:1], v[38:39], v[36:37] op_sel:[0,1]
	s_delay_alu instid0(VALU_DEP_1) | instskip(SKIP_1) | instid1(VALU_DEP_1)
	v_pk_fma_f32 v[2:3], v[38:39], v[34:35], v[0:1] op_sel:[0,0,1] op_sel_hi:[1,1,0] neg_lo:[0,0,1] neg_hi:[0,0,1]
	v_pk_fma_f32 v[0:1], v[38:39], v[34:35], v[0:1] op_sel:[0,0,1] op_sel_hi:[1,0,0]
	v_mov_b32_e32 v3, v1
	v_pk_mul_f32 v[0:1], v[40:41], v[36:37] op_sel:[0,1]
	s_delay_alu instid0(VALU_DEP_2) | instskip(NEXT) | instid1(VALU_DEP_2)
	v_pk_add_f32 v[194:195], v[194:195], v[2:3] neg_lo:[0,1] neg_hi:[0,1]
	v_pk_fma_f32 v[2:3], v[40:41], v[34:35], v[0:1] op_sel:[0,0,1] op_sel_hi:[1,1,0] neg_lo:[0,0,1] neg_hi:[0,0,1]
	v_pk_fma_f32 v[0:1], v[40:41], v[34:35], v[0:1] op_sel:[0,0,1] op_sel_hi:[1,0,0]
	ds_load_2addr_b64 v[38:41], v6 offset0:35 offset1:36
	v_mov_b32_e32 v3, v1
	s_delay_alu instid0(VALU_DEP_1) | instskip(SKIP_2) | instid1(VALU_DEP_1)
	v_pk_add_f32 v[196:197], v[196:197], v[2:3] neg_lo:[0,1] neg_hi:[0,1]
	s_wait_dscnt 0x0
	v_dual_mul_f32 v2, v39, v34 :: v_dual_mul_f32 v0, v39, v37
	v_pk_fma_f32 v[2:3], v[38:39], v[160:161], v[2:3] op_sel:[1,0,0] op_sel_hi:[0,1,0]
	s_delay_alu instid0(VALU_DEP_2) | instskip(NEXT) | instid1(VALU_DEP_2)
	v_pk_fma_f32 v[0:1], v[38:39], v[160:161], v[0:1] op_sel_hi:[1,1,0] neg_lo:[0,0,1] neg_hi:[0,0,1]
	v_mov_b32_e32 v1, v3
	s_delay_alu instid0(VALU_DEP_1) | instskip(SKIP_1) | instid1(VALU_DEP_1)
	v_pk_add_f32 v[198:199], v[198:199], v[0:1] neg_lo:[0,1] neg_hi:[0,1]
	v_pk_mul_f32 v[0:1], v[40:41], v[36:37] op_sel:[0,1]
	v_pk_fma_f32 v[2:3], v[40:41], v[34:35], v[0:1] op_sel:[0,0,1] op_sel_hi:[1,1,0] neg_lo:[0,0,1] neg_hi:[0,0,1]
	v_pk_fma_f32 v[0:1], v[40:41], v[34:35], v[0:1] op_sel:[0,0,1] op_sel_hi:[1,0,0]
	ds_load_2addr_b64 v[38:41], v6 offset0:37 offset1:38
	v_mov_b32_e32 v3, v1
	s_delay_alu instid0(VALU_DEP_1) | instskip(SKIP_2) | instid1(VALU_DEP_1)
	v_pk_add_f32 v[200:201], v[200:201], v[2:3] neg_lo:[0,1] neg_hi:[0,1]
	s_wait_dscnt 0x0
	v_pk_mul_f32 v[0:1], v[38:39], v[36:37] op_sel:[0,1]
	v_pk_fma_f32 v[2:3], v[38:39], v[34:35], v[0:1] op_sel:[0,0,1] op_sel_hi:[1,1,0] neg_lo:[0,0,1] neg_hi:[0,0,1]
	v_pk_fma_f32 v[0:1], v[38:39], v[34:35], v[0:1] op_sel:[0,0,1] op_sel_hi:[1,0,0]
	s_delay_alu instid0(VALU_DEP_1) | instskip(SKIP_1) | instid1(VALU_DEP_2)
	v_mov_b32_e32 v3, v1
	v_pk_mul_f32 v[0:1], v[40:41], v[36:37] op_sel:[0,1]
	v_pk_add_f32 v[202:203], v[202:203], v[2:3] neg_lo:[0,1] neg_hi:[0,1]
	s_delay_alu instid0(VALU_DEP_2) | instskip(SKIP_3) | instid1(VALU_DEP_1)
	v_pk_fma_f32 v[2:3], v[40:41], v[34:35], v[0:1] op_sel:[0,0,1] op_sel_hi:[1,1,0] neg_lo:[0,0,1] neg_hi:[0,0,1]
	v_pk_fma_f32 v[0:1], v[40:41], v[34:35], v[0:1] op_sel:[0,0,1] op_sel_hi:[1,0,0]
	ds_load_2addr_b64 v[38:41], v6 offset0:39 offset1:40
	v_mov_b32_e32 v3, v1
	v_pk_add_f32 v[204:205], v[204:205], v[2:3] neg_lo:[0,1] neg_hi:[0,1]
	s_wait_dscnt 0x0
	v_pk_mul_f32 v[0:1], v[38:39], v[36:37] op_sel:[0,1]
	s_delay_alu instid0(VALU_DEP_1) | instskip(SKIP_2) | instid1(VALU_DEP_2)
	v_pk_fma_f32 v[2:3], v[38:39], v[34:35], v[0:1] op_sel:[0,0,1] op_sel_hi:[1,1,0] neg_lo:[0,0,1] neg_hi:[0,0,1]
	v_pk_fma_f32 v[0:1], v[38:39], v[34:35], v[0:1] op_sel:[0,0,1] op_sel_hi:[1,0,0]
	v_dual_mov_b32 v0, v41 :: v_dual_mul_f32 v38, v41, v34
	v_dual_mov_b32 v3, v1 :: v_dual_mov_b32 v1, v40
	s_delay_alu instid0(VALU_DEP_1) | instskip(SKIP_1) | instid1(VALU_DEP_3)
	v_pk_add_f32 v[206:207], v[206:207], v[2:3] neg_lo:[0,1] neg_hi:[0,1]
	v_mul_f32_e32 v2, v41, v37
	v_pk_fma_f32 v[0:1], v[0:1], v[160:161], v[38:39] op_sel_hi:[1,1,0]
	s_delay_alu instid0(VALU_DEP_2) | instskip(SKIP_2) | instid1(VALU_DEP_1)
	v_pk_fma_f32 v[2:3], v[40:41], v[160:161], v[2:3] op_sel_hi:[1,1,0] neg_lo:[0,0,1] neg_hi:[0,0,1]
	ds_load_2addr_b64 v[38:41], v6 offset0:41 offset1:42
	v_mov_b32_e32 v3, v1
	v_pk_add_f32 v[208:209], v[208:209], v[2:3] neg_lo:[0,1] neg_hi:[0,1]
	s_wait_dscnt 0x0
	v_pk_mul_f32 v[0:1], v[38:39], v[36:37] op_sel:[0,1]
	s_delay_alu instid0(VALU_DEP_1) | instskip(SKIP_1) | instid1(VALU_DEP_1)
	v_pk_fma_f32 v[2:3], v[38:39], v[34:35], v[0:1] op_sel:[0,0,1] op_sel_hi:[1,1,0] neg_lo:[0,0,1] neg_hi:[0,0,1]
	v_pk_fma_f32 v[0:1], v[38:39], v[34:35], v[0:1] op_sel:[0,0,1] op_sel_hi:[1,0,0]
	v_mov_b32_e32 v3, v1
	v_pk_mul_f32 v[0:1], v[40:41], v[36:37] op_sel:[0,1]
	s_delay_alu instid0(VALU_DEP_2) | instskip(NEXT) | instid1(VALU_DEP_2)
	v_pk_add_f32 v[210:211], v[210:211], v[2:3] neg_lo:[0,1] neg_hi:[0,1]
	v_pk_fma_f32 v[2:3], v[40:41], v[34:35], v[0:1] op_sel:[0,0,1] op_sel_hi:[1,1,0] neg_lo:[0,0,1] neg_hi:[0,0,1]
	v_pk_fma_f32 v[0:1], v[40:41], v[34:35], v[0:1] op_sel:[0,0,1] op_sel_hi:[1,0,0]
	ds_load_2addr_b64 v[38:41], v6 offset0:43 offset1:44
	v_mov_b32_e32 v3, v1
	s_delay_alu instid0(VALU_DEP_1) | instskip(SKIP_2) | instid1(VALU_DEP_1)
	v_pk_add_f32 v[212:213], v[212:213], v[2:3] neg_lo:[0,1] neg_hi:[0,1]
	s_wait_dscnt 0x0
	v_pk_mul_f32 v[0:1], v[38:39], v[36:37] op_sel:[0,1]
	v_pk_fma_f32 v[2:3], v[38:39], v[34:35], v[0:1] op_sel:[0,0,1] op_sel_hi:[1,1,0] neg_lo:[0,0,1] neg_hi:[0,0,1]
	v_pk_fma_f32 v[0:1], v[38:39], v[34:35], v[0:1] op_sel:[0,0,1] op_sel_hi:[1,0,0]
	s_delay_alu instid0(VALU_DEP_1) | instskip(SKIP_1) | instid1(VALU_DEP_2)
	v_mov_b32_e32 v3, v1
	v_pk_mul_f32 v[0:1], v[40:41], v[36:37] op_sel:[0,1]
	v_pk_add_f32 v[214:215], v[214:215], v[2:3] neg_lo:[0,1] neg_hi:[0,1]
	s_delay_alu instid0(VALU_DEP_2) | instskip(SKIP_3) | instid1(VALU_DEP_1)
	v_pk_fma_f32 v[2:3], v[40:41], v[34:35], v[0:1] op_sel:[0,0,1] op_sel_hi:[1,1,0] neg_lo:[0,0,1] neg_hi:[0,0,1]
	v_pk_fma_f32 v[0:1], v[40:41], v[34:35], v[0:1] op_sel:[0,0,1] op_sel_hi:[1,0,0]
	ds_load_2addr_b64 v[38:41], v6 offset0:45 offset1:46
	v_mov_b32_e32 v3, v1
	v_pk_add_f32 v[216:217], v[216:217], v[2:3] neg_lo:[0,1] neg_hi:[0,1]
	s_wait_dscnt 0x0
	v_dual_mul_f32 v2, v39, v34 :: v_dual_mul_f32 v0, v39, v37
	s_delay_alu instid0(VALU_DEP_1) | instskip(NEXT) | instid1(VALU_DEP_2)
	v_pk_fma_f32 v[2:3], v[38:39], v[160:161], v[2:3] op_sel:[1,0,0] op_sel_hi:[0,1,0]
	v_pk_fma_f32 v[0:1], v[38:39], v[160:161], v[0:1] op_sel_hi:[1,1,0] neg_lo:[0,0,1] neg_hi:[0,0,1]
	s_delay_alu instid0(VALU_DEP_2) | instskip(NEXT) | instid1(VALU_DEP_1)
	v_mov_b32_e32 v1, v3
	v_pk_add_f32 v[218:219], v[218:219], v[0:1] neg_lo:[0,1] neg_hi:[0,1]
	v_pk_mul_f32 v[0:1], v[40:41], v[36:37] op_sel:[0,1]
	s_delay_alu instid0(VALU_DEP_1) | instskip(SKIP_3) | instid1(VALU_DEP_1)
	v_pk_fma_f32 v[2:3], v[40:41], v[34:35], v[0:1] op_sel:[0,0,1] op_sel_hi:[1,1,0] neg_lo:[0,0,1] neg_hi:[0,0,1]
	v_pk_fma_f32 v[0:1], v[40:41], v[34:35], v[0:1] op_sel:[0,0,1] op_sel_hi:[1,0,0]
	ds_load_2addr_b64 v[38:41], v6 offset0:47 offset1:48
	v_mov_b32_e32 v3, v1
	v_pk_add_f32 v[220:221], v[220:221], v[2:3] neg_lo:[0,1] neg_hi:[0,1]
	s_wait_dscnt 0x0
	v_pk_mul_f32 v[0:1], v[38:39], v[36:37] op_sel:[0,1]
	s_delay_alu instid0(VALU_DEP_1) | instskip(SKIP_1) | instid1(VALU_DEP_1)
	v_pk_fma_f32 v[2:3], v[38:39], v[34:35], v[0:1] op_sel:[0,0,1] op_sel_hi:[1,1,0] neg_lo:[0,0,1] neg_hi:[0,0,1]
	v_pk_fma_f32 v[0:1], v[38:39], v[34:35], v[0:1] op_sel:[0,0,1] op_sel_hi:[1,0,0]
	v_mov_b32_e32 v3, v1
	v_pk_mul_f32 v[0:1], v[40:41], v[36:37] op_sel:[0,1]
	s_delay_alu instid0(VALU_DEP_2) | instskip(NEXT) | instid1(VALU_DEP_2)
	v_pk_add_f32 v[222:223], v[222:223], v[2:3] neg_lo:[0,1] neg_hi:[0,1]
	v_pk_fma_f32 v[2:3], v[40:41], v[34:35], v[0:1] op_sel:[0,0,1] op_sel_hi:[1,1,0] neg_lo:[0,0,1] neg_hi:[0,0,1]
	v_pk_fma_f32 v[0:1], v[40:41], v[34:35], v[0:1] op_sel:[0,0,1] op_sel_hi:[1,0,0]
	ds_load_2addr_b64 v[38:41], v6 offset0:49 offset1:50
	v_mov_b32_e32 v3, v1
	s_delay_alu instid0(VALU_DEP_1) | instskip(SKIP_2) | instid1(VALU_DEP_1)
	v_pk_add_f32 v[224:225], v[224:225], v[2:3] neg_lo:[0,1] neg_hi:[0,1]
	s_wait_dscnt 0x0
	v_pk_mul_f32 v[0:1], v[38:39], v[36:37] op_sel:[0,1]
	v_pk_fma_f32 v[2:3], v[38:39], v[34:35], v[0:1] op_sel:[0,0,1] op_sel_hi:[1,1,0] neg_lo:[0,0,1] neg_hi:[0,0,1]
	v_pk_fma_f32 v[0:1], v[38:39], v[34:35], v[0:1] op_sel:[0,0,1] op_sel_hi:[1,0,0]
	v_dual_mov_b32 v0, v41 :: v_dual_mul_f32 v38, v41, v34
	s_delay_alu instid0(VALU_DEP_2) | instskip(NEXT) | instid1(VALU_DEP_1)
	v_dual_mov_b32 v3, v1 :: v_dual_mov_b32 v1, v40
	v_pk_add_f32 v[226:227], v[226:227], v[2:3] neg_lo:[0,1] neg_hi:[0,1]
	v_mul_f32_e32 v2, v41, v37
	s_delay_alu instid0(VALU_DEP_3) | instskip(NEXT) | instid1(VALU_DEP_2)
	v_pk_fma_f32 v[0:1], v[0:1], v[160:161], v[38:39] op_sel_hi:[1,1,0]
	v_pk_fma_f32 v[2:3], v[40:41], v[160:161], v[2:3] op_sel_hi:[1,1,0] neg_lo:[0,0,1] neg_hi:[0,0,1]
	ds_load_2addr_b64 v[38:41], v6 offset0:51 offset1:52
	v_mov_b32_e32 v3, v1
	s_delay_alu instid0(VALU_DEP_1) | instskip(SKIP_2) | instid1(VALU_DEP_1)
	v_pk_add_f32 v[228:229], v[228:229], v[2:3] neg_lo:[0,1] neg_hi:[0,1]
	s_wait_dscnt 0x0
	v_pk_mul_f32 v[0:1], v[38:39], v[36:37] op_sel:[0,1]
	v_pk_fma_f32 v[2:3], v[38:39], v[34:35], v[0:1] op_sel:[0,0,1] op_sel_hi:[1,1,0] neg_lo:[0,0,1] neg_hi:[0,0,1]
	v_pk_fma_f32 v[0:1], v[38:39], v[34:35], v[0:1] op_sel:[0,0,1] op_sel_hi:[1,0,0]
	s_delay_alu instid0(VALU_DEP_1) | instskip(SKIP_1) | instid1(VALU_DEP_2)
	v_mov_b32_e32 v3, v1
	v_pk_mul_f32 v[0:1], v[40:41], v[36:37] op_sel:[0,1]
	v_pk_add_f32 v[230:231], v[230:231], v[2:3] neg_lo:[0,1] neg_hi:[0,1]
	s_delay_alu instid0(VALU_DEP_2) | instskip(SKIP_3) | instid1(VALU_DEP_1)
	v_pk_fma_f32 v[2:3], v[40:41], v[34:35], v[0:1] op_sel:[0,0,1] op_sel_hi:[1,1,0] neg_lo:[0,0,1] neg_hi:[0,0,1]
	v_pk_fma_f32 v[0:1], v[40:41], v[34:35], v[0:1] op_sel:[0,0,1] op_sel_hi:[1,0,0]
	ds_load_2addr_b64 v[38:41], v6 offset0:53 offset1:54
	v_mov_b32_e32 v3, v1
	v_pk_add_f32 v[232:233], v[232:233], v[2:3] neg_lo:[0,1] neg_hi:[0,1]
	s_wait_dscnt 0x0
	v_pk_mul_f32 v[0:1], v[38:39], v[36:37] op_sel:[0,1]
	s_delay_alu instid0(VALU_DEP_1) | instskip(SKIP_1) | instid1(VALU_DEP_1)
	v_pk_fma_f32 v[2:3], v[38:39], v[34:35], v[0:1] op_sel:[0,0,1] op_sel_hi:[1,1,0] neg_lo:[0,0,1] neg_hi:[0,0,1]
	v_pk_fma_f32 v[0:1], v[38:39], v[34:35], v[0:1] op_sel:[0,0,1] op_sel_hi:[1,0,0]
	v_mov_b32_e32 v3, v1
	v_pk_mul_f32 v[0:1], v[40:41], v[36:37] op_sel:[0,1]
	s_delay_alu instid0(VALU_DEP_2) | instskip(NEXT) | instid1(VALU_DEP_2)
	v_pk_add_f32 v[234:235], v[234:235], v[2:3] neg_lo:[0,1] neg_hi:[0,1]
	v_pk_fma_f32 v[2:3], v[40:41], v[34:35], v[0:1] op_sel:[0,0,1] op_sel_hi:[1,1,0] neg_lo:[0,0,1] neg_hi:[0,0,1]
	v_pk_fma_f32 v[0:1], v[40:41], v[34:35], v[0:1] op_sel:[0,0,1] op_sel_hi:[1,0,0]
	ds_load_2addr_b64 v[38:41], v6 offset0:55 offset1:56
	v_mov_b32_e32 v3, v1
	s_delay_alu instid0(VALU_DEP_1) | instskip(SKIP_2) | instid1(VALU_DEP_1)
	v_pk_add_f32 v[236:237], v[236:237], v[2:3] neg_lo:[0,1] neg_hi:[0,1]
	s_wait_dscnt 0x0
	v_dual_mul_f32 v2, v39, v34 :: v_dual_mul_f32 v0, v39, v37
	v_pk_fma_f32 v[2:3], v[38:39], v[160:161], v[2:3] op_sel:[1,0,0] op_sel_hi:[0,1,0]
	s_delay_alu instid0(VALU_DEP_2) | instskip(NEXT) | instid1(VALU_DEP_2)
	v_pk_fma_f32 v[0:1], v[38:39], v[160:161], v[0:1] op_sel_hi:[1,1,0] neg_lo:[0,0,1] neg_hi:[0,0,1]
	v_mov_b32_e32 v1, v3
	s_delay_alu instid0(VALU_DEP_1) | instskip(SKIP_1) | instid1(VALU_DEP_1)
	v_pk_add_f32 v[238:239], v[238:239], v[0:1] neg_lo:[0,1] neg_hi:[0,1]
	v_pk_mul_f32 v[0:1], v[40:41], v[36:37] op_sel:[0,1]
	v_pk_fma_f32 v[2:3], v[40:41], v[34:35], v[0:1] op_sel:[0,0,1] op_sel_hi:[1,1,0] neg_lo:[0,0,1] neg_hi:[0,0,1]
	v_pk_fma_f32 v[0:1], v[40:41], v[34:35], v[0:1] op_sel:[0,0,1] op_sel_hi:[1,0,0]
	ds_load_2addr_b64 v[38:41], v6 offset0:57 offset1:58
	v_mov_b32_e32 v3, v1
	s_delay_alu instid0(VALU_DEP_1) | instskip(SKIP_2) | instid1(VALU_DEP_1)
	v_pk_add_f32 v[248:249], v[248:249], v[2:3] neg_lo:[0,1] neg_hi:[0,1]
	s_wait_dscnt 0x0
	v_pk_mul_f32 v[0:1], v[38:39], v[36:37] op_sel:[0,1]
	v_pk_fma_f32 v[2:3], v[38:39], v[34:35], v[0:1] op_sel:[0,0,1] op_sel_hi:[1,1,0] neg_lo:[0,0,1] neg_hi:[0,0,1]
	v_pk_fma_f32 v[0:1], v[38:39], v[34:35], v[0:1] op_sel:[0,0,1] op_sel_hi:[1,0,0]
	s_delay_alu instid0(VALU_DEP_1) | instskip(SKIP_1) | instid1(VALU_DEP_2)
	v_mov_b32_e32 v3, v1
	v_pk_mul_f32 v[0:1], v[40:41], v[36:37] op_sel:[0,1]
	v_pk_add_f32 v[242:243], v[242:243], v[2:3] neg_lo:[0,1] neg_hi:[0,1]
	s_delay_alu instid0(VALU_DEP_2) | instskip(SKIP_3) | instid1(VALU_DEP_1)
	v_pk_fma_f32 v[2:3], v[40:41], v[34:35], v[0:1] op_sel:[0,0,1] op_sel_hi:[1,1,0] neg_lo:[0,0,1] neg_hi:[0,0,1]
	v_pk_fma_f32 v[0:1], v[40:41], v[34:35], v[0:1] op_sel:[0,0,1] op_sel_hi:[1,0,0]
	ds_load_2addr_b64 v[38:41], v6 offset0:59 offset1:60
	v_mov_b32_e32 v3, v1
	v_pk_add_f32 v[246:247], v[246:247], v[2:3] neg_lo:[0,1] neg_hi:[0,1]
	s_wait_dscnt 0x0
	v_pk_mul_f32 v[0:1], v[38:39], v[36:37] op_sel:[0,1]
	s_delay_alu instid0(VALU_DEP_1) | instskip(SKIP_2) | instid1(VALU_DEP_2)
	v_pk_fma_f32 v[2:3], v[38:39], v[34:35], v[0:1] op_sel:[0,0,1] op_sel_hi:[1,1,0] neg_lo:[0,0,1] neg_hi:[0,0,1]
	v_pk_fma_f32 v[0:1], v[38:39], v[34:35], v[0:1] op_sel:[0,0,1] op_sel_hi:[1,0,0]
	v_dual_mov_b32 v0, v41 :: v_dual_mul_f32 v38, v41, v34
	v_dual_mov_b32 v3, v1 :: v_dual_mov_b32 v1, v40
	s_delay_alu instid0(VALU_DEP_1) | instskip(SKIP_1) | instid1(VALU_DEP_3)
	v_pk_add_f32 v[240:241], v[240:241], v[2:3] neg_lo:[0,1] neg_hi:[0,1]
	v_mul_f32_e32 v2, v41, v37
	v_pk_fma_f32 v[0:1], v[0:1], v[160:161], v[38:39] op_sel_hi:[1,1,0]
	s_delay_alu instid0(VALU_DEP_2) | instskip(SKIP_2) | instid1(VALU_DEP_1)
	v_pk_fma_f32 v[2:3], v[40:41], v[160:161], v[2:3] op_sel_hi:[1,1,0] neg_lo:[0,0,1] neg_hi:[0,0,1]
	ds_load_2addr_b64 v[38:41], v6 offset0:61 offset1:62
	v_mov_b32_e32 v3, v1
	v_pk_add_f32 v[244:245], v[244:245], v[2:3] neg_lo:[0,1] neg_hi:[0,1]
	s_wait_dscnt 0x0
	v_pk_mul_f32 v[0:1], v[38:39], v[36:37] op_sel:[0,1]
	s_delay_alu instid0(VALU_DEP_1) | instskip(SKIP_1) | instid1(VALU_DEP_1)
	v_pk_fma_f32 v[2:3], v[38:39], v[34:35], v[0:1] op_sel:[0,0,1] op_sel_hi:[1,1,0] neg_lo:[0,0,1] neg_hi:[0,0,1]
	v_pk_fma_f32 v[0:1], v[38:39], v[34:35], v[0:1] op_sel:[0,0,1] op_sel_hi:[1,0,0]
	v_mov_b32_e32 v3, v1
	v_pk_mul_f32 v[0:1], v[40:41], v[36:37] op_sel:[0,1]
	s_delay_alu instid0(VALU_DEP_2) | instskip(NEXT) | instid1(VALU_DEP_2)
	v_pk_add_f32 v[250:251], v[250:251], v[2:3] neg_lo:[0,1] neg_hi:[0,1]
	v_pk_fma_f32 v[2:3], v[40:41], v[34:35], v[0:1] op_sel:[0,0,1] op_sel_hi:[1,1,0] neg_lo:[0,0,1] neg_hi:[0,0,1]
	v_pk_fma_f32 v[0:1], v[40:41], v[34:35], v[0:1] op_sel:[0,0,1] op_sel_hi:[1,0,0]
	s_delay_alu instid0(VALU_DEP_1) | instskip(NEXT) | instid1(VALU_DEP_1)
	v_mov_b32_e32 v3, v1
	v_pk_add_f32 v[252:253], v[252:253], v[2:3] neg_lo:[0,1] neg_hi:[0,1]
.LBB125_154:
	s_or_b32 exec_lo, exec_lo, s1
	s_delay_alu instid0(SALU_CYCLE_1)
	s_mov_b32 s2, exec_lo
	s_wait_dscnt 0x0
	s_barrier_signal -1
	s_barrier_wait -1
	v_cmpx_eq_u32_e32 17, v254
	s_cbranch_execz .LBB125_161
; %bb.155:
	v_dual_mov_b32 v0, v164 :: v_dual_mov_b32 v1, v165
	v_dual_mov_b32 v2, v166 :: v_dual_mov_b32 v3, v167
	ds_store_b64 v255, v[162:163]
	ds_store_2addr_b64 v6, v[0:1], v[2:3] offset0:18 offset1:19
	v_dual_mov_b32 v0, v168 :: v_dual_mov_b32 v1, v169
	v_dual_mov_b32 v2, v170 :: v_dual_mov_b32 v3, v171
	ds_store_2addr_b64 v6, v[0:1], v[2:3] offset0:20 offset1:21
	v_dual_mov_b32 v0, v172 :: v_dual_mov_b32 v1, v173
	v_dual_mov_b32 v2, v174 :: v_dual_mov_b32 v3, v175
	;; [unrolled: 3-line block ×21, first 2 shown]
	ds_store_2addr_b64 v6, v[0:1], v[2:3] offset0:60 offset1:61
	ds_store_b64 v6, v[252:253] offset:496
	ds_load_b64 v[34:35], v255
	s_wait_dscnt 0x0
	v_cmp_neq_f32_e32 vcc_lo, 0, v34
	v_cmp_neq_f32_e64 s1, 0, v35
	s_or_b32 s1, vcc_lo, s1
	s_delay_alu instid0(SALU_CYCLE_1)
	s_and_b32 exec_lo, exec_lo, s1
	s_cbranch_execz .LBB125_161
; %bb.156:
	v_cmp_ngt_f32_e64 s1, |v34|, |v35|
                                        ; implicit-def: $vgpr36_vgpr37
	s_and_saveexec_b32 s4, s1
	s_delay_alu instid0(SALU_CYCLE_1)
	s_xor_b32 s1, exec_lo, s4
	s_cbranch_execz .LBB125_158
; %bb.157:
	v_div_scale_f32 v0, null, v35, v35, v34
	v_div_scale_f32 v3, vcc_lo, v34, v35, v34
	s_delay_alu instid0(VALU_DEP_2) | instskip(SKIP_1) | instid1(TRANS32_DEP_1)
	v_rcp_f32_e32 v1, v0
	v_nop
	v_fma_f32 v2, -v0, v1, 1.0
	s_delay_alu instid0(VALU_DEP_1) | instskip(NEXT) | instid1(VALU_DEP_1)
	v_fmac_f32_e32 v1, v2, v1
	v_mul_f32_e32 v2, v3, v1
	s_delay_alu instid0(VALU_DEP_1) | instskip(NEXT) | instid1(VALU_DEP_1)
	v_fma_f32 v4, -v0, v2, v3
	v_fmac_f32_e32 v2, v4, v1
	s_delay_alu instid0(VALU_DEP_1) | instskip(NEXT) | instid1(VALU_DEP_1)
	v_fma_f32 v0, -v0, v2, v3
	v_div_fmas_f32 v0, v0, v1, v2
	s_delay_alu instid0(VALU_DEP_1) | instskip(NEXT) | instid1(VALU_DEP_1)
	v_div_fixup_f32 v0, v0, v35, v34
	v_fmac_f32_e32 v35, v34, v0
	s_delay_alu instid0(VALU_DEP_1) | instskip(SKIP_1) | instid1(VALU_DEP_2)
	v_div_scale_f32 v1, null, v35, v35, 1.0
	v_div_scale_f32 v4, vcc_lo, 1.0, v35, 1.0
	v_rcp_f32_e32 v2, v1
	v_nop
	s_delay_alu instid0(TRANS32_DEP_1) | instskip(NEXT) | instid1(VALU_DEP_1)
	v_fma_f32 v3, -v1, v2, 1.0
	v_fmac_f32_e32 v2, v3, v2
	s_delay_alu instid0(VALU_DEP_1) | instskip(NEXT) | instid1(VALU_DEP_1)
	v_mul_f32_e32 v3, v4, v2
	v_fma_f32 v5, -v1, v3, v4
	s_delay_alu instid0(VALU_DEP_1) | instskip(NEXT) | instid1(VALU_DEP_1)
	v_fmac_f32_e32 v3, v5, v2
	v_fma_f32 v1, -v1, v3, v4
	s_delay_alu instid0(VALU_DEP_1) | instskip(NEXT) | instid1(VALU_DEP_1)
	v_div_fmas_f32 v1, v1, v2, v3
	v_div_fixup_f32 v1, v1, v35, 1.0
                                        ; implicit-def: $vgpr34_vgpr35
	s_delay_alu instid0(VALU_DEP_1)
	v_mul_f32_e32 v36, v0, v1
	v_xor_b32_e32 v37, 0x80000000, v1
.LBB125_158:
	s_and_not1_saveexec_b32 s1, s1
	s_cbranch_execz .LBB125_160
; %bb.159:
	v_div_scale_f32 v0, null, v34, v34, v35
	v_div_scale_f32 v3, vcc_lo, v35, v34, v35
	s_delay_alu instid0(VALU_DEP_2) | instskip(SKIP_1) | instid1(TRANS32_DEP_1)
	v_rcp_f32_e32 v1, v0
	v_nop
	v_fma_f32 v2, -v0, v1, 1.0
	s_delay_alu instid0(VALU_DEP_1) | instskip(NEXT) | instid1(VALU_DEP_1)
	v_fmac_f32_e32 v1, v2, v1
	v_mul_f32_e32 v2, v3, v1
	s_delay_alu instid0(VALU_DEP_1) | instskip(NEXT) | instid1(VALU_DEP_1)
	v_fma_f32 v4, -v0, v2, v3
	v_fmac_f32_e32 v2, v4, v1
	s_delay_alu instid0(VALU_DEP_1) | instskip(NEXT) | instid1(VALU_DEP_1)
	v_fma_f32 v0, -v0, v2, v3
	v_div_fmas_f32 v0, v0, v1, v2
	s_delay_alu instid0(VALU_DEP_1) | instskip(NEXT) | instid1(VALU_DEP_1)
	v_div_fixup_f32 v0, v0, v34, v35
	v_fmac_f32_e32 v34, v35, v0
	s_delay_alu instid0(VALU_DEP_1) | instskip(NEXT) | instid1(VALU_DEP_1)
	v_div_scale_f32 v1, null, v34, v34, 1.0
	v_rcp_f32_e32 v2, v1
	v_nop
	s_delay_alu instid0(TRANS32_DEP_1) | instskip(NEXT) | instid1(VALU_DEP_1)
	v_fma_f32 v3, -v1, v2, 1.0
	v_fmac_f32_e32 v2, v3, v2
	v_div_scale_f32 v3, vcc_lo, 1.0, v34, 1.0
	s_delay_alu instid0(VALU_DEP_1) | instskip(NEXT) | instid1(VALU_DEP_1)
	v_mul_f32_e32 v4, v3, v2
	v_fma_f32 v5, -v1, v4, v3
	s_delay_alu instid0(VALU_DEP_1) | instskip(NEXT) | instid1(VALU_DEP_1)
	v_fmac_f32_e32 v4, v5, v2
	v_fma_f32 v1, -v1, v4, v3
	s_delay_alu instid0(VALU_DEP_1) | instskip(NEXT) | instid1(VALU_DEP_1)
	v_div_fmas_f32 v1, v1, v2, v4
	v_div_fixup_f32 v36, v1, v34, 1.0
	s_delay_alu instid0(VALU_DEP_1)
	v_mul_f32_e64 v37, v0, -v36
.LBB125_160:
	s_or_b32 exec_lo, exec_lo, s1
	ds_store_b64 v255, v[36:37]
.LBB125_161:
	s_or_b32 exec_lo, exec_lo, s2
	s_wait_dscnt 0x0
	s_barrier_signal -1
	s_barrier_wait -1
	ds_load_b64 v[34:35], v255
	s_mov_b32 s1, exec_lo
	v_cmpx_lt_u32_e32 17, v254
	s_cbranch_execz .LBB125_163
; %bb.162:
	ds_load_2addr_b64 v[40:43], v6 offset0:18 offset1:19
	s_wait_dscnt 0x1
	v_pk_mul_f32 v[0:1], v[34:35], v[162:163] op_sel:[1,1] op_sel_hi:[0,1]
	s_delay_alu instid0(VALU_DEP_1) | instskip(SKIP_1) | instid1(VALU_DEP_1)
	v_pk_fma_f32 v[38:39], v[34:35], v[162:163], v[0:1] op_sel_hi:[1,0,1]
	v_pk_fma_f32 v[36:37], v[34:35], v[162:163], v[0:1] op_sel_hi:[1,0,1] neg_lo:[0,0,1] neg_hi:[0,0,1]
	v_dual_mov_b32 v163, v39 :: v_dual_mov_b32 v162, v36
	s_wait_dscnt 0x0
	s_delay_alu instid0(VALU_DEP_3) | instskip(NEXT) | instid1(VALU_DEP_1)
	v_pk_mul_f32 v[0:1], v[40:41], v[38:39] op_sel:[0,1]
	v_pk_fma_f32 v[2:3], v[40:41], v[36:37], v[0:1] op_sel:[0,0,1] op_sel_hi:[1,1,0] neg_lo:[0,0,1] neg_hi:[0,0,1]
	v_pk_fma_f32 v[0:1], v[40:41], v[36:37], v[0:1] op_sel:[0,0,1] op_sel_hi:[1,0,0]
	s_delay_alu instid0(VALU_DEP_1) | instskip(SKIP_1) | instid1(VALU_DEP_2)
	v_mov_b32_e32 v3, v1
	v_pk_mul_f32 v[0:1], v[42:43], v[38:39] op_sel:[0,1]
	v_pk_add_f32 v[164:165], v[164:165], v[2:3] neg_lo:[0,1] neg_hi:[0,1]
	s_delay_alu instid0(VALU_DEP_2) | instskip(SKIP_3) | instid1(VALU_DEP_1)
	v_pk_fma_f32 v[2:3], v[42:43], v[36:37], v[0:1] op_sel:[0,0,1] op_sel_hi:[1,1,0] neg_lo:[0,0,1] neg_hi:[0,0,1]
	v_pk_fma_f32 v[0:1], v[42:43], v[36:37], v[0:1] op_sel:[0,0,1] op_sel_hi:[1,0,0]
	ds_load_2addr_b64 v[40:43], v6 offset0:20 offset1:21
	v_mov_b32_e32 v3, v1
	v_pk_add_f32 v[166:167], v[166:167], v[2:3] neg_lo:[0,1] neg_hi:[0,1]
	s_wait_dscnt 0x0
	v_pk_mul_f32 v[0:1], v[40:41], v[38:39] op_sel:[0,1]
	s_delay_alu instid0(VALU_DEP_1) | instskip(SKIP_2) | instid1(VALU_DEP_2)
	v_pk_fma_f32 v[2:3], v[40:41], v[36:37], v[0:1] op_sel:[0,0,1] op_sel_hi:[1,1,0] neg_lo:[0,0,1] neg_hi:[0,0,1]
	v_pk_fma_f32 v[0:1], v[40:41], v[36:37], v[0:1] op_sel:[0,0,1] op_sel_hi:[1,0,0]
	v_dual_mov_b32 v0, v43 :: v_dual_mul_f32 v40, v43, v36
	v_dual_mov_b32 v3, v1 :: v_dual_mov_b32 v1, v42
	s_delay_alu instid0(VALU_DEP_1) | instskip(SKIP_1) | instid1(VALU_DEP_3)
	v_pk_add_f32 v[168:169], v[168:169], v[2:3] neg_lo:[0,1] neg_hi:[0,1]
	v_mul_f32_e32 v2, v43, v39
	v_pk_fma_f32 v[0:1], v[0:1], v[162:163], v[40:41] op_sel_hi:[1,1,0]
	s_delay_alu instid0(VALU_DEP_2) | instskip(SKIP_2) | instid1(VALU_DEP_1)
	v_pk_fma_f32 v[2:3], v[42:43], v[162:163], v[2:3] op_sel_hi:[1,1,0] neg_lo:[0,0,1] neg_hi:[0,0,1]
	ds_load_2addr_b64 v[40:43], v6 offset0:22 offset1:23
	v_mov_b32_e32 v3, v1
	v_pk_add_f32 v[170:171], v[170:171], v[2:3] neg_lo:[0,1] neg_hi:[0,1]
	s_wait_dscnt 0x0
	v_pk_mul_f32 v[0:1], v[40:41], v[38:39] op_sel:[0,1]
	s_delay_alu instid0(VALU_DEP_1) | instskip(SKIP_1) | instid1(VALU_DEP_1)
	v_pk_fma_f32 v[2:3], v[40:41], v[36:37], v[0:1] op_sel:[0,0,1] op_sel_hi:[1,1,0] neg_lo:[0,0,1] neg_hi:[0,0,1]
	v_pk_fma_f32 v[0:1], v[40:41], v[36:37], v[0:1] op_sel:[0,0,1] op_sel_hi:[1,0,0]
	v_mov_b32_e32 v3, v1
	v_pk_mul_f32 v[0:1], v[42:43], v[38:39] op_sel:[0,1]
	s_delay_alu instid0(VALU_DEP_2) | instskip(NEXT) | instid1(VALU_DEP_2)
	v_pk_add_f32 v[172:173], v[172:173], v[2:3] neg_lo:[0,1] neg_hi:[0,1]
	v_pk_fma_f32 v[2:3], v[42:43], v[36:37], v[0:1] op_sel:[0,0,1] op_sel_hi:[1,1,0] neg_lo:[0,0,1] neg_hi:[0,0,1]
	v_pk_fma_f32 v[0:1], v[42:43], v[36:37], v[0:1] op_sel:[0,0,1] op_sel_hi:[1,0,0]
	ds_load_2addr_b64 v[40:43], v6 offset0:24 offset1:25
	v_mov_b32_e32 v3, v1
	s_delay_alu instid0(VALU_DEP_1) | instskip(SKIP_2) | instid1(VALU_DEP_1)
	v_pk_add_f32 v[174:175], v[174:175], v[2:3] neg_lo:[0,1] neg_hi:[0,1]
	s_wait_dscnt 0x0
	v_pk_mul_f32 v[0:1], v[40:41], v[38:39] op_sel:[0,1]
	v_pk_fma_f32 v[2:3], v[40:41], v[36:37], v[0:1] op_sel:[0,0,1] op_sel_hi:[1,1,0] neg_lo:[0,0,1] neg_hi:[0,0,1]
	v_pk_fma_f32 v[0:1], v[40:41], v[36:37], v[0:1] op_sel:[0,0,1] op_sel_hi:[1,0,0]
	s_delay_alu instid0(VALU_DEP_1) | instskip(SKIP_1) | instid1(VALU_DEP_2)
	v_mov_b32_e32 v3, v1
	v_pk_mul_f32 v[0:1], v[42:43], v[38:39] op_sel:[0,1]
	v_pk_add_f32 v[176:177], v[176:177], v[2:3] neg_lo:[0,1] neg_hi:[0,1]
	s_delay_alu instid0(VALU_DEP_2) | instskip(SKIP_3) | instid1(VALU_DEP_1)
	v_pk_fma_f32 v[2:3], v[42:43], v[36:37], v[0:1] op_sel:[0,0,1] op_sel_hi:[1,1,0] neg_lo:[0,0,1] neg_hi:[0,0,1]
	v_pk_fma_f32 v[0:1], v[42:43], v[36:37], v[0:1] op_sel:[0,0,1] op_sel_hi:[1,0,0]
	ds_load_2addr_b64 v[40:43], v6 offset0:26 offset1:27
	v_mov_b32_e32 v3, v1
	v_pk_add_f32 v[178:179], v[178:179], v[2:3] neg_lo:[0,1] neg_hi:[0,1]
	s_wait_dscnt 0x0
	v_dual_mul_f32 v0, v41, v39 :: v_dual_mul_f32 v2, v41, v36
	s_delay_alu instid0(VALU_DEP_1) | instskip(NEXT) | instid1(VALU_DEP_2)
	v_pk_fma_f32 v[0:1], v[40:41], v[162:163], v[0:1] op_sel_hi:[1,1,0] neg_lo:[0,0,1] neg_hi:[0,0,1]
	v_pk_fma_f32 v[2:3], v[40:41], v[162:163], v[2:3] op_sel:[1,0,0] op_sel_hi:[0,1,0]
	s_delay_alu instid0(VALU_DEP_1) | instskip(NEXT) | instid1(VALU_DEP_1)
	v_mov_b32_e32 v1, v3
	v_pk_add_f32 v[180:181], v[180:181], v[0:1] neg_lo:[0,1] neg_hi:[0,1]
	v_pk_mul_f32 v[0:1], v[42:43], v[38:39] op_sel:[0,1]
	s_delay_alu instid0(VALU_DEP_1) | instskip(SKIP_3) | instid1(VALU_DEP_1)
	v_pk_fma_f32 v[2:3], v[42:43], v[36:37], v[0:1] op_sel:[0,0,1] op_sel_hi:[1,1,0] neg_lo:[0,0,1] neg_hi:[0,0,1]
	v_pk_fma_f32 v[0:1], v[42:43], v[36:37], v[0:1] op_sel:[0,0,1] op_sel_hi:[1,0,0]
	ds_load_2addr_b64 v[40:43], v6 offset0:28 offset1:29
	v_mov_b32_e32 v3, v1
	v_pk_add_f32 v[182:183], v[182:183], v[2:3] neg_lo:[0,1] neg_hi:[0,1]
	s_wait_dscnt 0x0
	v_pk_mul_f32 v[0:1], v[40:41], v[38:39] op_sel:[0,1]
	s_delay_alu instid0(VALU_DEP_1) | instskip(SKIP_1) | instid1(VALU_DEP_1)
	v_pk_fma_f32 v[2:3], v[40:41], v[36:37], v[0:1] op_sel:[0,0,1] op_sel_hi:[1,1,0] neg_lo:[0,0,1] neg_hi:[0,0,1]
	v_pk_fma_f32 v[0:1], v[40:41], v[36:37], v[0:1] op_sel:[0,0,1] op_sel_hi:[1,0,0]
	v_mov_b32_e32 v3, v1
	v_pk_mul_f32 v[0:1], v[42:43], v[38:39] op_sel:[0,1]
	s_delay_alu instid0(VALU_DEP_2) | instskip(NEXT) | instid1(VALU_DEP_2)
	v_pk_add_f32 v[184:185], v[184:185], v[2:3] neg_lo:[0,1] neg_hi:[0,1]
	v_pk_fma_f32 v[2:3], v[42:43], v[36:37], v[0:1] op_sel:[0,0,1] op_sel_hi:[1,1,0] neg_lo:[0,0,1] neg_hi:[0,0,1]
	v_pk_fma_f32 v[0:1], v[42:43], v[36:37], v[0:1] op_sel:[0,0,1] op_sel_hi:[1,0,0]
	ds_load_2addr_b64 v[40:43], v6 offset0:30 offset1:31
	v_mov_b32_e32 v3, v1
	s_delay_alu instid0(VALU_DEP_1) | instskip(SKIP_2) | instid1(VALU_DEP_1)
	v_pk_add_f32 v[186:187], v[186:187], v[2:3] neg_lo:[0,1] neg_hi:[0,1]
	s_wait_dscnt 0x0
	v_pk_mul_f32 v[0:1], v[40:41], v[38:39] op_sel:[0,1]
	v_pk_fma_f32 v[2:3], v[40:41], v[36:37], v[0:1] op_sel:[0,0,1] op_sel_hi:[1,1,0] neg_lo:[0,0,1] neg_hi:[0,0,1]
	v_pk_fma_f32 v[0:1], v[40:41], v[36:37], v[0:1] op_sel:[0,0,1] op_sel_hi:[1,0,0]
	v_dual_mov_b32 v0, v43 :: v_dual_mul_f32 v40, v43, v36
	s_delay_alu instid0(VALU_DEP_2) | instskip(NEXT) | instid1(VALU_DEP_1)
	v_dual_mov_b32 v3, v1 :: v_dual_mov_b32 v1, v42
	v_pk_add_f32 v[188:189], v[188:189], v[2:3] neg_lo:[0,1] neg_hi:[0,1]
	v_mul_f32_e32 v2, v43, v39
	s_delay_alu instid0(VALU_DEP_3) | instskip(NEXT) | instid1(VALU_DEP_2)
	v_pk_fma_f32 v[0:1], v[0:1], v[162:163], v[40:41] op_sel_hi:[1,1,0]
	v_pk_fma_f32 v[2:3], v[42:43], v[162:163], v[2:3] op_sel_hi:[1,1,0] neg_lo:[0,0,1] neg_hi:[0,0,1]
	ds_load_2addr_b64 v[40:43], v6 offset0:32 offset1:33
	v_mov_b32_e32 v3, v1
	s_delay_alu instid0(VALU_DEP_1) | instskip(SKIP_2) | instid1(VALU_DEP_1)
	v_pk_add_f32 v[190:191], v[190:191], v[2:3] neg_lo:[0,1] neg_hi:[0,1]
	s_wait_dscnt 0x0
	v_pk_mul_f32 v[0:1], v[40:41], v[38:39] op_sel:[0,1]
	v_pk_fma_f32 v[2:3], v[40:41], v[36:37], v[0:1] op_sel:[0,0,1] op_sel_hi:[1,1,0] neg_lo:[0,0,1] neg_hi:[0,0,1]
	v_pk_fma_f32 v[0:1], v[40:41], v[36:37], v[0:1] op_sel:[0,0,1] op_sel_hi:[1,0,0]
	s_delay_alu instid0(VALU_DEP_1) | instskip(SKIP_1) | instid1(VALU_DEP_2)
	v_mov_b32_e32 v3, v1
	v_pk_mul_f32 v[0:1], v[42:43], v[38:39] op_sel:[0,1]
	v_pk_add_f32 v[192:193], v[192:193], v[2:3] neg_lo:[0,1] neg_hi:[0,1]
	s_delay_alu instid0(VALU_DEP_2) | instskip(SKIP_3) | instid1(VALU_DEP_1)
	v_pk_fma_f32 v[2:3], v[42:43], v[36:37], v[0:1] op_sel:[0,0,1] op_sel_hi:[1,1,0] neg_lo:[0,0,1] neg_hi:[0,0,1]
	v_pk_fma_f32 v[0:1], v[42:43], v[36:37], v[0:1] op_sel:[0,0,1] op_sel_hi:[1,0,0]
	ds_load_2addr_b64 v[40:43], v6 offset0:34 offset1:35
	v_mov_b32_e32 v3, v1
	v_pk_add_f32 v[194:195], v[194:195], v[2:3] neg_lo:[0,1] neg_hi:[0,1]
	s_wait_dscnt 0x0
	v_pk_mul_f32 v[0:1], v[40:41], v[38:39] op_sel:[0,1]
	s_delay_alu instid0(VALU_DEP_1) | instskip(SKIP_1) | instid1(VALU_DEP_1)
	v_pk_fma_f32 v[2:3], v[40:41], v[36:37], v[0:1] op_sel:[0,0,1] op_sel_hi:[1,1,0] neg_lo:[0,0,1] neg_hi:[0,0,1]
	v_pk_fma_f32 v[0:1], v[40:41], v[36:37], v[0:1] op_sel:[0,0,1] op_sel_hi:[1,0,0]
	v_mov_b32_e32 v3, v1
	v_pk_mul_f32 v[0:1], v[42:43], v[38:39] op_sel:[0,1]
	s_delay_alu instid0(VALU_DEP_2) | instskip(NEXT) | instid1(VALU_DEP_2)
	v_pk_add_f32 v[196:197], v[196:197], v[2:3] neg_lo:[0,1] neg_hi:[0,1]
	v_pk_fma_f32 v[2:3], v[42:43], v[36:37], v[0:1] op_sel:[0,0,1] op_sel_hi:[1,1,0] neg_lo:[0,0,1] neg_hi:[0,0,1]
	v_pk_fma_f32 v[0:1], v[42:43], v[36:37], v[0:1] op_sel:[0,0,1] op_sel_hi:[1,0,0]
	ds_load_2addr_b64 v[40:43], v6 offset0:36 offset1:37
	v_mov_b32_e32 v3, v1
	s_delay_alu instid0(VALU_DEP_1) | instskip(SKIP_2) | instid1(VALU_DEP_1)
	v_pk_add_f32 v[198:199], v[198:199], v[2:3] neg_lo:[0,1] neg_hi:[0,1]
	s_wait_dscnt 0x0
	v_dual_mul_f32 v2, v41, v36 :: v_dual_mul_f32 v0, v41, v39
	v_pk_fma_f32 v[2:3], v[40:41], v[162:163], v[2:3] op_sel:[1,0,0] op_sel_hi:[0,1,0]
	s_delay_alu instid0(VALU_DEP_2) | instskip(NEXT) | instid1(VALU_DEP_2)
	v_pk_fma_f32 v[0:1], v[40:41], v[162:163], v[0:1] op_sel_hi:[1,1,0] neg_lo:[0,0,1] neg_hi:[0,0,1]
	v_mov_b32_e32 v1, v3
	s_delay_alu instid0(VALU_DEP_1) | instskip(SKIP_1) | instid1(VALU_DEP_1)
	v_pk_add_f32 v[200:201], v[200:201], v[0:1] neg_lo:[0,1] neg_hi:[0,1]
	v_pk_mul_f32 v[0:1], v[42:43], v[38:39] op_sel:[0,1]
	v_pk_fma_f32 v[2:3], v[42:43], v[36:37], v[0:1] op_sel:[0,0,1] op_sel_hi:[1,1,0] neg_lo:[0,0,1] neg_hi:[0,0,1]
	v_pk_fma_f32 v[0:1], v[42:43], v[36:37], v[0:1] op_sel:[0,0,1] op_sel_hi:[1,0,0]
	ds_load_2addr_b64 v[40:43], v6 offset0:38 offset1:39
	v_mov_b32_e32 v3, v1
	s_delay_alu instid0(VALU_DEP_1) | instskip(SKIP_2) | instid1(VALU_DEP_1)
	v_pk_add_f32 v[202:203], v[202:203], v[2:3] neg_lo:[0,1] neg_hi:[0,1]
	s_wait_dscnt 0x0
	v_pk_mul_f32 v[0:1], v[40:41], v[38:39] op_sel:[0,1]
	v_pk_fma_f32 v[2:3], v[40:41], v[36:37], v[0:1] op_sel:[0,0,1] op_sel_hi:[1,1,0] neg_lo:[0,0,1] neg_hi:[0,0,1]
	v_pk_fma_f32 v[0:1], v[40:41], v[36:37], v[0:1] op_sel:[0,0,1] op_sel_hi:[1,0,0]
	s_delay_alu instid0(VALU_DEP_1) | instskip(SKIP_1) | instid1(VALU_DEP_2)
	v_mov_b32_e32 v3, v1
	v_pk_mul_f32 v[0:1], v[42:43], v[38:39] op_sel:[0,1]
	v_pk_add_f32 v[204:205], v[204:205], v[2:3] neg_lo:[0,1] neg_hi:[0,1]
	s_delay_alu instid0(VALU_DEP_2) | instskip(SKIP_3) | instid1(VALU_DEP_1)
	v_pk_fma_f32 v[2:3], v[42:43], v[36:37], v[0:1] op_sel:[0,0,1] op_sel_hi:[1,1,0] neg_lo:[0,0,1] neg_hi:[0,0,1]
	v_pk_fma_f32 v[0:1], v[42:43], v[36:37], v[0:1] op_sel:[0,0,1] op_sel_hi:[1,0,0]
	ds_load_2addr_b64 v[40:43], v6 offset0:40 offset1:41
	v_mov_b32_e32 v3, v1
	v_pk_add_f32 v[206:207], v[206:207], v[2:3] neg_lo:[0,1] neg_hi:[0,1]
	s_wait_dscnt 0x0
	v_pk_mul_f32 v[0:1], v[40:41], v[38:39] op_sel:[0,1]
	s_delay_alu instid0(VALU_DEP_1) | instskip(SKIP_2) | instid1(VALU_DEP_2)
	v_pk_fma_f32 v[2:3], v[40:41], v[36:37], v[0:1] op_sel:[0,0,1] op_sel_hi:[1,1,0] neg_lo:[0,0,1] neg_hi:[0,0,1]
	v_pk_fma_f32 v[0:1], v[40:41], v[36:37], v[0:1] op_sel:[0,0,1] op_sel_hi:[1,0,0]
	v_dual_mov_b32 v0, v43 :: v_dual_mul_f32 v40, v43, v36
	v_dual_mov_b32 v3, v1 :: v_dual_mov_b32 v1, v42
	s_delay_alu instid0(VALU_DEP_1) | instskip(SKIP_1) | instid1(VALU_DEP_3)
	v_pk_add_f32 v[208:209], v[208:209], v[2:3] neg_lo:[0,1] neg_hi:[0,1]
	v_mul_f32_e32 v2, v43, v39
	v_pk_fma_f32 v[0:1], v[0:1], v[162:163], v[40:41] op_sel_hi:[1,1,0]
	s_delay_alu instid0(VALU_DEP_2) | instskip(SKIP_2) | instid1(VALU_DEP_1)
	v_pk_fma_f32 v[2:3], v[42:43], v[162:163], v[2:3] op_sel_hi:[1,1,0] neg_lo:[0,0,1] neg_hi:[0,0,1]
	ds_load_2addr_b64 v[40:43], v6 offset0:42 offset1:43
	v_mov_b32_e32 v3, v1
	v_pk_add_f32 v[210:211], v[210:211], v[2:3] neg_lo:[0,1] neg_hi:[0,1]
	s_wait_dscnt 0x0
	v_pk_mul_f32 v[0:1], v[40:41], v[38:39] op_sel:[0,1]
	s_delay_alu instid0(VALU_DEP_1) | instskip(SKIP_1) | instid1(VALU_DEP_1)
	v_pk_fma_f32 v[2:3], v[40:41], v[36:37], v[0:1] op_sel:[0,0,1] op_sel_hi:[1,1,0] neg_lo:[0,0,1] neg_hi:[0,0,1]
	v_pk_fma_f32 v[0:1], v[40:41], v[36:37], v[0:1] op_sel:[0,0,1] op_sel_hi:[1,0,0]
	v_mov_b32_e32 v3, v1
	v_pk_mul_f32 v[0:1], v[42:43], v[38:39] op_sel:[0,1]
	s_delay_alu instid0(VALU_DEP_2) | instskip(NEXT) | instid1(VALU_DEP_2)
	v_pk_add_f32 v[212:213], v[212:213], v[2:3] neg_lo:[0,1] neg_hi:[0,1]
	v_pk_fma_f32 v[2:3], v[42:43], v[36:37], v[0:1] op_sel:[0,0,1] op_sel_hi:[1,1,0] neg_lo:[0,0,1] neg_hi:[0,0,1]
	v_pk_fma_f32 v[0:1], v[42:43], v[36:37], v[0:1] op_sel:[0,0,1] op_sel_hi:[1,0,0]
	ds_load_2addr_b64 v[40:43], v6 offset0:44 offset1:45
	v_mov_b32_e32 v3, v1
	s_delay_alu instid0(VALU_DEP_1) | instskip(SKIP_2) | instid1(VALU_DEP_1)
	v_pk_add_f32 v[214:215], v[214:215], v[2:3] neg_lo:[0,1] neg_hi:[0,1]
	s_wait_dscnt 0x0
	v_pk_mul_f32 v[0:1], v[40:41], v[38:39] op_sel:[0,1]
	v_pk_fma_f32 v[2:3], v[40:41], v[36:37], v[0:1] op_sel:[0,0,1] op_sel_hi:[1,1,0] neg_lo:[0,0,1] neg_hi:[0,0,1]
	v_pk_fma_f32 v[0:1], v[40:41], v[36:37], v[0:1] op_sel:[0,0,1] op_sel_hi:[1,0,0]
	s_delay_alu instid0(VALU_DEP_1) | instskip(SKIP_1) | instid1(VALU_DEP_2)
	v_mov_b32_e32 v3, v1
	v_pk_mul_f32 v[0:1], v[42:43], v[38:39] op_sel:[0,1]
	v_pk_add_f32 v[216:217], v[216:217], v[2:3] neg_lo:[0,1] neg_hi:[0,1]
	s_delay_alu instid0(VALU_DEP_2) | instskip(SKIP_3) | instid1(VALU_DEP_1)
	v_pk_fma_f32 v[2:3], v[42:43], v[36:37], v[0:1] op_sel:[0,0,1] op_sel_hi:[1,1,0] neg_lo:[0,0,1] neg_hi:[0,0,1]
	v_pk_fma_f32 v[0:1], v[42:43], v[36:37], v[0:1] op_sel:[0,0,1] op_sel_hi:[1,0,0]
	ds_load_2addr_b64 v[40:43], v6 offset0:46 offset1:47
	v_mov_b32_e32 v3, v1
	v_pk_add_f32 v[218:219], v[218:219], v[2:3] neg_lo:[0,1] neg_hi:[0,1]
	s_wait_dscnt 0x0
	v_dual_mul_f32 v0, v41, v39 :: v_dual_mul_f32 v2, v41, v36
	s_delay_alu instid0(VALU_DEP_1) | instskip(NEXT) | instid1(VALU_DEP_2)
	v_pk_fma_f32 v[0:1], v[40:41], v[162:163], v[0:1] op_sel_hi:[1,1,0] neg_lo:[0,0,1] neg_hi:[0,0,1]
	v_pk_fma_f32 v[2:3], v[40:41], v[162:163], v[2:3] op_sel:[1,0,0] op_sel_hi:[0,1,0]
	s_delay_alu instid0(VALU_DEP_1) | instskip(NEXT) | instid1(VALU_DEP_1)
	v_mov_b32_e32 v1, v3
	v_pk_add_f32 v[220:221], v[220:221], v[0:1] neg_lo:[0,1] neg_hi:[0,1]
	v_pk_mul_f32 v[0:1], v[42:43], v[38:39] op_sel:[0,1]
	s_delay_alu instid0(VALU_DEP_1) | instskip(SKIP_3) | instid1(VALU_DEP_1)
	v_pk_fma_f32 v[2:3], v[42:43], v[36:37], v[0:1] op_sel:[0,0,1] op_sel_hi:[1,1,0] neg_lo:[0,0,1] neg_hi:[0,0,1]
	v_pk_fma_f32 v[0:1], v[42:43], v[36:37], v[0:1] op_sel:[0,0,1] op_sel_hi:[1,0,0]
	ds_load_2addr_b64 v[40:43], v6 offset0:48 offset1:49
	v_mov_b32_e32 v3, v1
	v_pk_add_f32 v[222:223], v[222:223], v[2:3] neg_lo:[0,1] neg_hi:[0,1]
	s_wait_dscnt 0x0
	v_pk_mul_f32 v[0:1], v[40:41], v[38:39] op_sel:[0,1]
	s_delay_alu instid0(VALU_DEP_1) | instskip(SKIP_1) | instid1(VALU_DEP_1)
	v_pk_fma_f32 v[2:3], v[40:41], v[36:37], v[0:1] op_sel:[0,0,1] op_sel_hi:[1,1,0] neg_lo:[0,0,1] neg_hi:[0,0,1]
	v_pk_fma_f32 v[0:1], v[40:41], v[36:37], v[0:1] op_sel:[0,0,1] op_sel_hi:[1,0,0]
	v_mov_b32_e32 v3, v1
	v_pk_mul_f32 v[0:1], v[42:43], v[38:39] op_sel:[0,1]
	s_delay_alu instid0(VALU_DEP_2) | instskip(NEXT) | instid1(VALU_DEP_2)
	v_pk_add_f32 v[224:225], v[224:225], v[2:3] neg_lo:[0,1] neg_hi:[0,1]
	v_pk_fma_f32 v[2:3], v[42:43], v[36:37], v[0:1] op_sel:[0,0,1] op_sel_hi:[1,1,0] neg_lo:[0,0,1] neg_hi:[0,0,1]
	v_pk_fma_f32 v[0:1], v[42:43], v[36:37], v[0:1] op_sel:[0,0,1] op_sel_hi:[1,0,0]
	ds_load_2addr_b64 v[40:43], v6 offset0:50 offset1:51
	v_mov_b32_e32 v3, v1
	s_delay_alu instid0(VALU_DEP_1) | instskip(SKIP_2) | instid1(VALU_DEP_1)
	v_pk_add_f32 v[226:227], v[226:227], v[2:3] neg_lo:[0,1] neg_hi:[0,1]
	s_wait_dscnt 0x0
	v_pk_mul_f32 v[0:1], v[40:41], v[38:39] op_sel:[0,1]
	v_pk_fma_f32 v[2:3], v[40:41], v[36:37], v[0:1] op_sel:[0,0,1] op_sel_hi:[1,1,0] neg_lo:[0,0,1] neg_hi:[0,0,1]
	v_pk_fma_f32 v[0:1], v[40:41], v[36:37], v[0:1] op_sel:[0,0,1] op_sel_hi:[1,0,0]
	v_dual_mov_b32 v0, v43 :: v_dual_mul_f32 v40, v43, v36
	s_delay_alu instid0(VALU_DEP_2) | instskip(NEXT) | instid1(VALU_DEP_1)
	v_dual_mov_b32 v3, v1 :: v_dual_mov_b32 v1, v42
	v_pk_add_f32 v[228:229], v[228:229], v[2:3] neg_lo:[0,1] neg_hi:[0,1]
	v_mul_f32_e32 v2, v43, v39
	s_delay_alu instid0(VALU_DEP_3) | instskip(NEXT) | instid1(VALU_DEP_2)
	v_pk_fma_f32 v[0:1], v[0:1], v[162:163], v[40:41] op_sel_hi:[1,1,0]
	v_pk_fma_f32 v[2:3], v[42:43], v[162:163], v[2:3] op_sel_hi:[1,1,0] neg_lo:[0,0,1] neg_hi:[0,0,1]
	ds_load_2addr_b64 v[40:43], v6 offset0:52 offset1:53
	v_mov_b32_e32 v3, v1
	s_delay_alu instid0(VALU_DEP_1) | instskip(SKIP_2) | instid1(VALU_DEP_1)
	v_pk_add_f32 v[230:231], v[230:231], v[2:3] neg_lo:[0,1] neg_hi:[0,1]
	s_wait_dscnt 0x0
	v_pk_mul_f32 v[0:1], v[40:41], v[38:39] op_sel:[0,1]
	v_pk_fma_f32 v[2:3], v[40:41], v[36:37], v[0:1] op_sel:[0,0,1] op_sel_hi:[1,1,0] neg_lo:[0,0,1] neg_hi:[0,0,1]
	v_pk_fma_f32 v[0:1], v[40:41], v[36:37], v[0:1] op_sel:[0,0,1] op_sel_hi:[1,0,0]
	s_delay_alu instid0(VALU_DEP_1) | instskip(SKIP_1) | instid1(VALU_DEP_2)
	v_mov_b32_e32 v3, v1
	v_pk_mul_f32 v[0:1], v[42:43], v[38:39] op_sel:[0,1]
	v_pk_add_f32 v[232:233], v[232:233], v[2:3] neg_lo:[0,1] neg_hi:[0,1]
	s_delay_alu instid0(VALU_DEP_2) | instskip(SKIP_3) | instid1(VALU_DEP_1)
	v_pk_fma_f32 v[2:3], v[42:43], v[36:37], v[0:1] op_sel:[0,0,1] op_sel_hi:[1,1,0] neg_lo:[0,0,1] neg_hi:[0,0,1]
	v_pk_fma_f32 v[0:1], v[42:43], v[36:37], v[0:1] op_sel:[0,0,1] op_sel_hi:[1,0,0]
	ds_load_2addr_b64 v[40:43], v6 offset0:54 offset1:55
	v_mov_b32_e32 v3, v1
	v_pk_add_f32 v[234:235], v[234:235], v[2:3] neg_lo:[0,1] neg_hi:[0,1]
	s_wait_dscnt 0x0
	v_pk_mul_f32 v[0:1], v[40:41], v[38:39] op_sel:[0,1]
	s_delay_alu instid0(VALU_DEP_1) | instskip(SKIP_1) | instid1(VALU_DEP_1)
	v_pk_fma_f32 v[2:3], v[40:41], v[36:37], v[0:1] op_sel:[0,0,1] op_sel_hi:[1,1,0] neg_lo:[0,0,1] neg_hi:[0,0,1]
	v_pk_fma_f32 v[0:1], v[40:41], v[36:37], v[0:1] op_sel:[0,0,1] op_sel_hi:[1,0,0]
	v_mov_b32_e32 v3, v1
	v_pk_mul_f32 v[0:1], v[42:43], v[38:39] op_sel:[0,1]
	s_delay_alu instid0(VALU_DEP_2) | instskip(NEXT) | instid1(VALU_DEP_2)
	v_pk_add_f32 v[236:237], v[236:237], v[2:3] neg_lo:[0,1] neg_hi:[0,1]
	v_pk_fma_f32 v[2:3], v[42:43], v[36:37], v[0:1] op_sel:[0,0,1] op_sel_hi:[1,1,0] neg_lo:[0,0,1] neg_hi:[0,0,1]
	v_pk_fma_f32 v[0:1], v[42:43], v[36:37], v[0:1] op_sel:[0,0,1] op_sel_hi:[1,0,0]
	ds_load_2addr_b64 v[40:43], v6 offset0:56 offset1:57
	v_mov_b32_e32 v3, v1
	s_delay_alu instid0(VALU_DEP_1) | instskip(SKIP_2) | instid1(VALU_DEP_1)
	v_pk_add_f32 v[238:239], v[238:239], v[2:3] neg_lo:[0,1] neg_hi:[0,1]
	s_wait_dscnt 0x0
	v_dual_mul_f32 v2, v41, v36 :: v_dual_mul_f32 v0, v41, v39
	v_pk_fma_f32 v[2:3], v[40:41], v[162:163], v[2:3] op_sel:[1,0,0] op_sel_hi:[0,1,0]
	s_delay_alu instid0(VALU_DEP_2) | instskip(NEXT) | instid1(VALU_DEP_2)
	v_pk_fma_f32 v[0:1], v[40:41], v[162:163], v[0:1] op_sel_hi:[1,1,0] neg_lo:[0,0,1] neg_hi:[0,0,1]
	v_mov_b32_e32 v1, v3
	s_delay_alu instid0(VALU_DEP_1) | instskip(SKIP_1) | instid1(VALU_DEP_1)
	v_pk_add_f32 v[248:249], v[248:249], v[0:1] neg_lo:[0,1] neg_hi:[0,1]
	v_pk_mul_f32 v[0:1], v[42:43], v[38:39] op_sel:[0,1]
	v_pk_fma_f32 v[2:3], v[42:43], v[36:37], v[0:1] op_sel:[0,0,1] op_sel_hi:[1,1,0] neg_lo:[0,0,1] neg_hi:[0,0,1]
	v_pk_fma_f32 v[0:1], v[42:43], v[36:37], v[0:1] op_sel:[0,0,1] op_sel_hi:[1,0,0]
	ds_load_2addr_b64 v[40:43], v6 offset0:58 offset1:59
	v_mov_b32_e32 v3, v1
	s_delay_alu instid0(VALU_DEP_1) | instskip(SKIP_2) | instid1(VALU_DEP_1)
	v_pk_add_f32 v[242:243], v[242:243], v[2:3] neg_lo:[0,1] neg_hi:[0,1]
	s_wait_dscnt 0x0
	v_pk_mul_f32 v[0:1], v[40:41], v[38:39] op_sel:[0,1]
	v_pk_fma_f32 v[2:3], v[40:41], v[36:37], v[0:1] op_sel:[0,0,1] op_sel_hi:[1,1,0] neg_lo:[0,0,1] neg_hi:[0,0,1]
	v_pk_fma_f32 v[0:1], v[40:41], v[36:37], v[0:1] op_sel:[0,0,1] op_sel_hi:[1,0,0]
	s_delay_alu instid0(VALU_DEP_1) | instskip(SKIP_1) | instid1(VALU_DEP_2)
	v_mov_b32_e32 v3, v1
	v_pk_mul_f32 v[0:1], v[42:43], v[38:39] op_sel:[0,1]
	v_pk_add_f32 v[246:247], v[246:247], v[2:3] neg_lo:[0,1] neg_hi:[0,1]
	s_delay_alu instid0(VALU_DEP_2) | instskip(SKIP_3) | instid1(VALU_DEP_1)
	v_pk_fma_f32 v[2:3], v[42:43], v[36:37], v[0:1] op_sel:[0,0,1] op_sel_hi:[1,1,0] neg_lo:[0,0,1] neg_hi:[0,0,1]
	v_pk_fma_f32 v[0:1], v[42:43], v[36:37], v[0:1] op_sel:[0,0,1] op_sel_hi:[1,0,0]
	ds_load_2addr_b64 v[40:43], v6 offset0:60 offset1:61
	v_mov_b32_e32 v3, v1
	v_pk_add_f32 v[240:241], v[240:241], v[2:3] neg_lo:[0,1] neg_hi:[0,1]
	s_wait_dscnt 0x0
	v_pk_mul_f32 v[0:1], v[40:41], v[38:39] op_sel:[0,1]
	s_delay_alu instid0(VALU_DEP_1) | instskip(SKIP_2) | instid1(VALU_DEP_2)
	v_pk_fma_f32 v[2:3], v[40:41], v[36:37], v[0:1] op_sel:[0,0,1] op_sel_hi:[1,1,0] neg_lo:[0,0,1] neg_hi:[0,0,1]
	v_pk_fma_f32 v[0:1], v[40:41], v[36:37], v[0:1] op_sel:[0,0,1] op_sel_hi:[1,0,0]
	v_dual_mov_b32 v0, v43 :: v_dual_mul_f32 v40, v43, v36
	v_dual_mov_b32 v3, v1 :: v_dual_mov_b32 v1, v42
	s_delay_alu instid0(VALU_DEP_1) | instskip(SKIP_1) | instid1(VALU_DEP_3)
	v_pk_add_f32 v[244:245], v[244:245], v[2:3] neg_lo:[0,1] neg_hi:[0,1]
	v_mul_f32_e32 v2, v43, v39
	v_pk_fma_f32 v[0:1], v[0:1], v[162:163], v[40:41] op_sel_hi:[1,1,0]
	s_delay_alu instid0(VALU_DEP_2) | instskip(NEXT) | instid1(VALU_DEP_2)
	v_pk_fma_f32 v[2:3], v[42:43], v[162:163], v[2:3] op_sel_hi:[1,1,0] neg_lo:[0,0,1] neg_hi:[0,0,1]
	v_mov_b32_e32 v3, v1
	ds_load_b64 v[0:1], v6 offset:496
	v_pk_add_f32 v[250:251], v[250:251], v[2:3] neg_lo:[0,1] neg_hi:[0,1]
	s_wait_dscnt 0x0
	v_pk_mul_f32 v[2:3], v[0:1], v[38:39] op_sel:[0,1]
	s_delay_alu instid0(VALU_DEP_1) | instskip(SKIP_1) | instid1(VALU_DEP_1)
	v_pk_fma_f32 v[38:39], v[0:1], v[36:37], v[2:3] op_sel:[0,0,1] op_sel_hi:[1,1,0] neg_lo:[0,0,1] neg_hi:[0,0,1]
	v_pk_fma_f32 v[0:1], v[0:1], v[36:37], v[2:3] op_sel:[0,0,1] op_sel_hi:[1,0,0]
	v_mov_b32_e32 v39, v1
	s_delay_alu instid0(VALU_DEP_1)
	v_pk_add_f32 v[252:253], v[252:253], v[38:39] neg_lo:[0,1] neg_hi:[0,1]
.LBB125_163:
	s_or_b32 exec_lo, exec_lo, s1
	s_delay_alu instid0(SALU_CYCLE_1)
	s_mov_b32 s2, exec_lo
	s_wait_dscnt 0x0
	s_barrier_signal -1
	s_barrier_wait -1
	v_cmpx_eq_u32_e32 18, v254
	s_cbranch_execz .LBB125_170
; %bb.164:
	ds_store_b64 v255, v[164:165]
	ds_store_2addr_b64 v6, v[166:167], v[168:169] offset0:19 offset1:20
	ds_store_2addr_b64 v6, v[170:171], v[172:173] offset0:21 offset1:22
	;; [unrolled: 1-line block ×22, first 2 shown]
	ds_load_b64 v[36:37], v255
	s_wait_dscnt 0x0
	v_cmp_neq_f32_e32 vcc_lo, 0, v36
	v_cmp_neq_f32_e64 s1, 0, v37
	s_or_b32 s1, vcc_lo, s1
	s_delay_alu instid0(SALU_CYCLE_1)
	s_and_b32 exec_lo, exec_lo, s1
	s_cbranch_execz .LBB125_170
; %bb.165:
	v_cmp_ngt_f32_e64 s1, |v36|, |v37|
                                        ; implicit-def: $vgpr38_vgpr39
	s_and_saveexec_b32 s4, s1
	s_delay_alu instid0(SALU_CYCLE_1)
	s_xor_b32 s1, exec_lo, s4
	s_cbranch_execz .LBB125_167
; %bb.166:
	v_div_scale_f32 v0, null, v37, v37, v36
	v_div_scale_f32 v3, vcc_lo, v36, v37, v36
	s_delay_alu instid0(VALU_DEP_2) | instskip(SKIP_1) | instid1(TRANS32_DEP_1)
	v_rcp_f32_e32 v1, v0
	v_nop
	v_fma_f32 v2, -v0, v1, 1.0
	s_delay_alu instid0(VALU_DEP_1) | instskip(NEXT) | instid1(VALU_DEP_1)
	v_fmac_f32_e32 v1, v2, v1
	v_mul_f32_e32 v2, v3, v1
	s_delay_alu instid0(VALU_DEP_1) | instskip(NEXT) | instid1(VALU_DEP_1)
	v_fma_f32 v4, -v0, v2, v3
	v_fmac_f32_e32 v2, v4, v1
	s_delay_alu instid0(VALU_DEP_1) | instskip(NEXT) | instid1(VALU_DEP_1)
	v_fma_f32 v0, -v0, v2, v3
	v_div_fmas_f32 v0, v0, v1, v2
	s_delay_alu instid0(VALU_DEP_1) | instskip(NEXT) | instid1(VALU_DEP_1)
	v_div_fixup_f32 v0, v0, v37, v36
	v_fmac_f32_e32 v37, v36, v0
	s_delay_alu instid0(VALU_DEP_1) | instskip(SKIP_1) | instid1(VALU_DEP_2)
	v_div_scale_f32 v1, null, v37, v37, 1.0
	v_div_scale_f32 v4, vcc_lo, 1.0, v37, 1.0
	v_rcp_f32_e32 v2, v1
	v_nop
	s_delay_alu instid0(TRANS32_DEP_1) | instskip(NEXT) | instid1(VALU_DEP_1)
	v_fma_f32 v3, -v1, v2, 1.0
	v_fmac_f32_e32 v2, v3, v2
	s_delay_alu instid0(VALU_DEP_1) | instskip(NEXT) | instid1(VALU_DEP_1)
	v_mul_f32_e32 v3, v4, v2
	v_fma_f32 v5, -v1, v3, v4
	s_delay_alu instid0(VALU_DEP_1) | instskip(NEXT) | instid1(VALU_DEP_1)
	v_fmac_f32_e32 v3, v5, v2
	v_fma_f32 v1, -v1, v3, v4
	s_delay_alu instid0(VALU_DEP_1) | instskip(NEXT) | instid1(VALU_DEP_1)
	v_div_fmas_f32 v1, v1, v2, v3
	v_div_fixup_f32 v1, v1, v37, 1.0
                                        ; implicit-def: $vgpr36_vgpr37
	s_delay_alu instid0(VALU_DEP_1)
	v_mul_f32_e32 v38, v0, v1
	v_xor_b32_e32 v39, 0x80000000, v1
.LBB125_167:
	s_and_not1_saveexec_b32 s1, s1
	s_cbranch_execz .LBB125_169
; %bb.168:
	v_div_scale_f32 v0, null, v36, v36, v37
	v_div_scale_f32 v3, vcc_lo, v37, v36, v37
	s_delay_alu instid0(VALU_DEP_2) | instskip(SKIP_1) | instid1(TRANS32_DEP_1)
	v_rcp_f32_e32 v1, v0
	v_nop
	v_fma_f32 v2, -v0, v1, 1.0
	s_delay_alu instid0(VALU_DEP_1) | instskip(NEXT) | instid1(VALU_DEP_1)
	v_fmac_f32_e32 v1, v2, v1
	v_mul_f32_e32 v2, v3, v1
	s_delay_alu instid0(VALU_DEP_1) | instskip(NEXT) | instid1(VALU_DEP_1)
	v_fma_f32 v4, -v0, v2, v3
	v_fmac_f32_e32 v2, v4, v1
	s_delay_alu instid0(VALU_DEP_1) | instskip(NEXT) | instid1(VALU_DEP_1)
	v_fma_f32 v0, -v0, v2, v3
	v_div_fmas_f32 v0, v0, v1, v2
	s_delay_alu instid0(VALU_DEP_1) | instskip(NEXT) | instid1(VALU_DEP_1)
	v_div_fixup_f32 v0, v0, v36, v37
	v_fmac_f32_e32 v36, v37, v0
	s_delay_alu instid0(VALU_DEP_1) | instskip(NEXT) | instid1(VALU_DEP_1)
	v_div_scale_f32 v1, null, v36, v36, 1.0
	v_rcp_f32_e32 v2, v1
	v_nop
	s_delay_alu instid0(TRANS32_DEP_1) | instskip(NEXT) | instid1(VALU_DEP_1)
	v_fma_f32 v3, -v1, v2, 1.0
	v_fmac_f32_e32 v2, v3, v2
	v_div_scale_f32 v3, vcc_lo, 1.0, v36, 1.0
	s_delay_alu instid0(VALU_DEP_1) | instskip(NEXT) | instid1(VALU_DEP_1)
	v_mul_f32_e32 v4, v3, v2
	v_fma_f32 v5, -v1, v4, v3
	s_delay_alu instid0(VALU_DEP_1) | instskip(NEXT) | instid1(VALU_DEP_1)
	v_fmac_f32_e32 v4, v5, v2
	v_fma_f32 v1, -v1, v4, v3
	s_delay_alu instid0(VALU_DEP_1) | instskip(NEXT) | instid1(VALU_DEP_1)
	v_div_fmas_f32 v1, v1, v2, v4
	v_div_fixup_f32 v38, v1, v36, 1.0
	s_delay_alu instid0(VALU_DEP_1)
	v_mul_f32_e64 v39, v0, -v38
.LBB125_169:
	s_or_b32 exec_lo, exec_lo, s1
	ds_store_b64 v255, v[38:39]
.LBB125_170:
	s_or_b32 exec_lo, exec_lo, s2
	s_wait_dscnt 0x0
	s_barrier_signal -1
	s_barrier_wait -1
	ds_load_b64 v[36:37], v255
	s_mov_b32 s1, exec_lo
	v_cmpx_lt_u32_e32 18, v254
	s_cbranch_execz .LBB125_172
; %bb.171:
	ds_load_2addr_b64 v[42:45], v6 offset0:19 offset1:20
	s_wait_dscnt 0x1
	v_pk_mul_f32 v[0:1], v[36:37], v[164:165] op_sel:[1,1] op_sel_hi:[0,1]
	s_delay_alu instid0(VALU_DEP_1) | instskip(SKIP_1) | instid1(VALU_DEP_1)
	v_pk_fma_f32 v[40:41], v[36:37], v[164:165], v[0:1] op_sel_hi:[1,0,1]
	v_pk_fma_f32 v[38:39], v[36:37], v[164:165], v[0:1] op_sel_hi:[1,0,1] neg_lo:[0,0,1] neg_hi:[0,0,1]
	v_dual_mov_b32 v165, v41 :: v_dual_mov_b32 v164, v38
	s_wait_dscnt 0x0
	s_delay_alu instid0(VALU_DEP_3) | instskip(NEXT) | instid1(VALU_DEP_1)
	v_pk_mul_f32 v[0:1], v[42:43], v[40:41] op_sel:[0,1]
	v_pk_fma_f32 v[2:3], v[42:43], v[38:39], v[0:1] op_sel:[0,0,1] op_sel_hi:[1,1,0] neg_lo:[0,0,1] neg_hi:[0,0,1]
	v_pk_fma_f32 v[0:1], v[42:43], v[38:39], v[0:1] op_sel:[0,0,1] op_sel_hi:[1,0,0]
	s_delay_alu instid0(VALU_DEP_1) | instskip(SKIP_1) | instid1(VALU_DEP_2)
	v_mov_b32_e32 v3, v1
	v_pk_mul_f32 v[0:1], v[44:45], v[40:41] op_sel:[0,1]
	v_pk_add_f32 v[166:167], v[166:167], v[2:3] neg_lo:[0,1] neg_hi:[0,1]
	s_delay_alu instid0(VALU_DEP_2) | instskip(SKIP_3) | instid1(VALU_DEP_1)
	v_pk_fma_f32 v[2:3], v[44:45], v[38:39], v[0:1] op_sel:[0,0,1] op_sel_hi:[1,1,0] neg_lo:[0,0,1] neg_hi:[0,0,1]
	v_pk_fma_f32 v[0:1], v[44:45], v[38:39], v[0:1] op_sel:[0,0,1] op_sel_hi:[1,0,0]
	ds_load_2addr_b64 v[42:45], v6 offset0:21 offset1:22
	v_mov_b32_e32 v3, v1
	v_pk_add_f32 v[168:169], v[168:169], v[2:3] neg_lo:[0,1] neg_hi:[0,1]
	s_wait_dscnt 0x0
	v_pk_mul_f32 v[0:1], v[42:43], v[40:41] op_sel:[0,1]
	s_delay_alu instid0(VALU_DEP_1) | instskip(SKIP_2) | instid1(VALU_DEP_2)
	v_pk_fma_f32 v[2:3], v[42:43], v[38:39], v[0:1] op_sel:[0,0,1] op_sel_hi:[1,1,0] neg_lo:[0,0,1] neg_hi:[0,0,1]
	v_pk_fma_f32 v[0:1], v[42:43], v[38:39], v[0:1] op_sel:[0,0,1] op_sel_hi:[1,0,0]
	v_dual_mov_b32 v0, v45 :: v_dual_mul_f32 v42, v45, v38
	v_dual_mov_b32 v3, v1 :: v_dual_mov_b32 v1, v44
	s_delay_alu instid0(VALU_DEP_1) | instskip(SKIP_1) | instid1(VALU_DEP_3)
	v_pk_add_f32 v[170:171], v[170:171], v[2:3] neg_lo:[0,1] neg_hi:[0,1]
	v_mul_f32_e32 v2, v45, v41
	v_pk_fma_f32 v[0:1], v[0:1], v[164:165], v[42:43] op_sel_hi:[1,1,0]
	s_delay_alu instid0(VALU_DEP_2) | instskip(SKIP_2) | instid1(VALU_DEP_1)
	v_pk_fma_f32 v[2:3], v[44:45], v[164:165], v[2:3] op_sel_hi:[1,1,0] neg_lo:[0,0,1] neg_hi:[0,0,1]
	ds_load_2addr_b64 v[42:45], v6 offset0:23 offset1:24
	v_mov_b32_e32 v3, v1
	v_pk_add_f32 v[172:173], v[172:173], v[2:3] neg_lo:[0,1] neg_hi:[0,1]
	s_wait_dscnt 0x0
	v_pk_mul_f32 v[0:1], v[42:43], v[40:41] op_sel:[0,1]
	s_delay_alu instid0(VALU_DEP_1) | instskip(SKIP_1) | instid1(VALU_DEP_1)
	v_pk_fma_f32 v[2:3], v[42:43], v[38:39], v[0:1] op_sel:[0,0,1] op_sel_hi:[1,1,0] neg_lo:[0,0,1] neg_hi:[0,0,1]
	v_pk_fma_f32 v[0:1], v[42:43], v[38:39], v[0:1] op_sel:[0,0,1] op_sel_hi:[1,0,0]
	v_mov_b32_e32 v3, v1
	v_pk_mul_f32 v[0:1], v[44:45], v[40:41] op_sel:[0,1]
	s_delay_alu instid0(VALU_DEP_2) | instskip(NEXT) | instid1(VALU_DEP_2)
	v_pk_add_f32 v[174:175], v[174:175], v[2:3] neg_lo:[0,1] neg_hi:[0,1]
	v_pk_fma_f32 v[2:3], v[44:45], v[38:39], v[0:1] op_sel:[0,0,1] op_sel_hi:[1,1,0] neg_lo:[0,0,1] neg_hi:[0,0,1]
	v_pk_fma_f32 v[0:1], v[44:45], v[38:39], v[0:1] op_sel:[0,0,1] op_sel_hi:[1,0,0]
	ds_load_2addr_b64 v[42:45], v6 offset0:25 offset1:26
	v_mov_b32_e32 v3, v1
	s_delay_alu instid0(VALU_DEP_1) | instskip(SKIP_2) | instid1(VALU_DEP_1)
	v_pk_add_f32 v[176:177], v[176:177], v[2:3] neg_lo:[0,1] neg_hi:[0,1]
	s_wait_dscnt 0x0
	v_pk_mul_f32 v[0:1], v[42:43], v[40:41] op_sel:[0,1]
	v_pk_fma_f32 v[2:3], v[42:43], v[38:39], v[0:1] op_sel:[0,0,1] op_sel_hi:[1,1,0] neg_lo:[0,0,1] neg_hi:[0,0,1]
	v_pk_fma_f32 v[0:1], v[42:43], v[38:39], v[0:1] op_sel:[0,0,1] op_sel_hi:[1,0,0]
	s_delay_alu instid0(VALU_DEP_1) | instskip(SKIP_1) | instid1(VALU_DEP_2)
	v_mov_b32_e32 v3, v1
	v_pk_mul_f32 v[0:1], v[44:45], v[40:41] op_sel:[0,1]
	v_pk_add_f32 v[178:179], v[178:179], v[2:3] neg_lo:[0,1] neg_hi:[0,1]
	s_delay_alu instid0(VALU_DEP_2) | instskip(SKIP_3) | instid1(VALU_DEP_1)
	v_pk_fma_f32 v[2:3], v[44:45], v[38:39], v[0:1] op_sel:[0,0,1] op_sel_hi:[1,1,0] neg_lo:[0,0,1] neg_hi:[0,0,1]
	v_pk_fma_f32 v[0:1], v[44:45], v[38:39], v[0:1] op_sel:[0,0,1] op_sel_hi:[1,0,0]
	ds_load_2addr_b64 v[42:45], v6 offset0:27 offset1:28
	v_mov_b32_e32 v3, v1
	v_pk_add_f32 v[180:181], v[180:181], v[2:3] neg_lo:[0,1] neg_hi:[0,1]
	s_wait_dscnt 0x0
	v_dual_mul_f32 v2, v43, v38 :: v_dual_mul_f32 v0, v43, v41
	s_delay_alu instid0(VALU_DEP_1) | instskip(NEXT) | instid1(VALU_DEP_2)
	v_pk_fma_f32 v[2:3], v[42:43], v[164:165], v[2:3] op_sel:[1,0,0] op_sel_hi:[0,1,0]
	v_pk_fma_f32 v[0:1], v[42:43], v[164:165], v[0:1] op_sel_hi:[1,1,0] neg_lo:[0,0,1] neg_hi:[0,0,1]
	s_delay_alu instid0(VALU_DEP_2) | instskip(NEXT) | instid1(VALU_DEP_1)
	v_mov_b32_e32 v1, v3
	v_pk_add_f32 v[182:183], v[182:183], v[0:1] neg_lo:[0,1] neg_hi:[0,1]
	v_pk_mul_f32 v[0:1], v[44:45], v[40:41] op_sel:[0,1]
	s_delay_alu instid0(VALU_DEP_1) | instskip(SKIP_3) | instid1(VALU_DEP_1)
	v_pk_fma_f32 v[2:3], v[44:45], v[38:39], v[0:1] op_sel:[0,0,1] op_sel_hi:[1,1,0] neg_lo:[0,0,1] neg_hi:[0,0,1]
	v_pk_fma_f32 v[0:1], v[44:45], v[38:39], v[0:1] op_sel:[0,0,1] op_sel_hi:[1,0,0]
	ds_load_2addr_b64 v[42:45], v6 offset0:29 offset1:30
	v_mov_b32_e32 v3, v1
	v_pk_add_f32 v[184:185], v[184:185], v[2:3] neg_lo:[0,1] neg_hi:[0,1]
	s_wait_dscnt 0x0
	v_pk_mul_f32 v[0:1], v[42:43], v[40:41] op_sel:[0,1]
	s_delay_alu instid0(VALU_DEP_1) | instskip(SKIP_1) | instid1(VALU_DEP_1)
	v_pk_fma_f32 v[2:3], v[42:43], v[38:39], v[0:1] op_sel:[0,0,1] op_sel_hi:[1,1,0] neg_lo:[0,0,1] neg_hi:[0,0,1]
	v_pk_fma_f32 v[0:1], v[42:43], v[38:39], v[0:1] op_sel:[0,0,1] op_sel_hi:[1,0,0]
	v_mov_b32_e32 v3, v1
	v_pk_mul_f32 v[0:1], v[44:45], v[40:41] op_sel:[0,1]
	s_delay_alu instid0(VALU_DEP_2) | instskip(NEXT) | instid1(VALU_DEP_2)
	v_pk_add_f32 v[186:187], v[186:187], v[2:3] neg_lo:[0,1] neg_hi:[0,1]
	v_pk_fma_f32 v[2:3], v[44:45], v[38:39], v[0:1] op_sel:[0,0,1] op_sel_hi:[1,1,0] neg_lo:[0,0,1] neg_hi:[0,0,1]
	v_pk_fma_f32 v[0:1], v[44:45], v[38:39], v[0:1] op_sel:[0,0,1] op_sel_hi:[1,0,0]
	ds_load_2addr_b64 v[42:45], v6 offset0:31 offset1:32
	v_mov_b32_e32 v3, v1
	s_delay_alu instid0(VALU_DEP_1) | instskip(SKIP_2) | instid1(VALU_DEP_1)
	v_pk_add_f32 v[188:189], v[188:189], v[2:3] neg_lo:[0,1] neg_hi:[0,1]
	s_wait_dscnt 0x0
	v_pk_mul_f32 v[0:1], v[42:43], v[40:41] op_sel:[0,1]
	v_pk_fma_f32 v[2:3], v[42:43], v[38:39], v[0:1] op_sel:[0,0,1] op_sel_hi:[1,1,0] neg_lo:[0,0,1] neg_hi:[0,0,1]
	v_pk_fma_f32 v[0:1], v[42:43], v[38:39], v[0:1] op_sel:[0,0,1] op_sel_hi:[1,0,0]
	v_dual_mov_b32 v0, v45 :: v_dual_mul_f32 v42, v45, v38
	s_delay_alu instid0(VALU_DEP_2) | instskip(NEXT) | instid1(VALU_DEP_1)
	v_dual_mov_b32 v3, v1 :: v_dual_mov_b32 v1, v44
	v_pk_add_f32 v[190:191], v[190:191], v[2:3] neg_lo:[0,1] neg_hi:[0,1]
	v_mul_f32_e32 v2, v45, v41
	s_delay_alu instid0(VALU_DEP_3) | instskip(NEXT) | instid1(VALU_DEP_2)
	v_pk_fma_f32 v[0:1], v[0:1], v[164:165], v[42:43] op_sel_hi:[1,1,0]
	v_pk_fma_f32 v[2:3], v[44:45], v[164:165], v[2:3] op_sel_hi:[1,1,0] neg_lo:[0,0,1] neg_hi:[0,0,1]
	ds_load_2addr_b64 v[42:45], v6 offset0:33 offset1:34
	v_mov_b32_e32 v3, v1
	s_delay_alu instid0(VALU_DEP_1) | instskip(SKIP_2) | instid1(VALU_DEP_1)
	v_pk_add_f32 v[192:193], v[192:193], v[2:3] neg_lo:[0,1] neg_hi:[0,1]
	s_wait_dscnt 0x0
	v_pk_mul_f32 v[0:1], v[42:43], v[40:41] op_sel:[0,1]
	v_pk_fma_f32 v[2:3], v[42:43], v[38:39], v[0:1] op_sel:[0,0,1] op_sel_hi:[1,1,0] neg_lo:[0,0,1] neg_hi:[0,0,1]
	v_pk_fma_f32 v[0:1], v[42:43], v[38:39], v[0:1] op_sel:[0,0,1] op_sel_hi:[1,0,0]
	s_delay_alu instid0(VALU_DEP_1) | instskip(SKIP_1) | instid1(VALU_DEP_2)
	v_mov_b32_e32 v3, v1
	v_pk_mul_f32 v[0:1], v[44:45], v[40:41] op_sel:[0,1]
	v_pk_add_f32 v[194:195], v[194:195], v[2:3] neg_lo:[0,1] neg_hi:[0,1]
	s_delay_alu instid0(VALU_DEP_2) | instskip(SKIP_3) | instid1(VALU_DEP_1)
	v_pk_fma_f32 v[2:3], v[44:45], v[38:39], v[0:1] op_sel:[0,0,1] op_sel_hi:[1,1,0] neg_lo:[0,0,1] neg_hi:[0,0,1]
	v_pk_fma_f32 v[0:1], v[44:45], v[38:39], v[0:1] op_sel:[0,0,1] op_sel_hi:[1,0,0]
	ds_load_2addr_b64 v[42:45], v6 offset0:35 offset1:36
	v_mov_b32_e32 v3, v1
	v_pk_add_f32 v[196:197], v[196:197], v[2:3] neg_lo:[0,1] neg_hi:[0,1]
	s_wait_dscnt 0x0
	v_pk_mul_f32 v[0:1], v[42:43], v[40:41] op_sel:[0,1]
	s_delay_alu instid0(VALU_DEP_1) | instskip(SKIP_1) | instid1(VALU_DEP_1)
	v_pk_fma_f32 v[2:3], v[42:43], v[38:39], v[0:1] op_sel:[0,0,1] op_sel_hi:[1,1,0] neg_lo:[0,0,1] neg_hi:[0,0,1]
	v_pk_fma_f32 v[0:1], v[42:43], v[38:39], v[0:1] op_sel:[0,0,1] op_sel_hi:[1,0,0]
	v_mov_b32_e32 v3, v1
	v_pk_mul_f32 v[0:1], v[44:45], v[40:41] op_sel:[0,1]
	s_delay_alu instid0(VALU_DEP_2) | instskip(NEXT) | instid1(VALU_DEP_2)
	v_pk_add_f32 v[198:199], v[198:199], v[2:3] neg_lo:[0,1] neg_hi:[0,1]
	v_pk_fma_f32 v[2:3], v[44:45], v[38:39], v[0:1] op_sel:[0,0,1] op_sel_hi:[1,1,0] neg_lo:[0,0,1] neg_hi:[0,0,1]
	v_pk_fma_f32 v[0:1], v[44:45], v[38:39], v[0:1] op_sel:[0,0,1] op_sel_hi:[1,0,0]
	ds_load_2addr_b64 v[42:45], v6 offset0:37 offset1:38
	v_mov_b32_e32 v3, v1
	s_delay_alu instid0(VALU_DEP_1) | instskip(SKIP_2) | instid1(VALU_DEP_1)
	v_pk_add_f32 v[200:201], v[200:201], v[2:3] neg_lo:[0,1] neg_hi:[0,1]
	s_wait_dscnt 0x0
	v_dual_mul_f32 v2, v43, v38 :: v_dual_mul_f32 v0, v43, v41
	v_pk_fma_f32 v[2:3], v[42:43], v[164:165], v[2:3] op_sel:[1,0,0] op_sel_hi:[0,1,0]
	s_delay_alu instid0(VALU_DEP_2) | instskip(NEXT) | instid1(VALU_DEP_2)
	v_pk_fma_f32 v[0:1], v[42:43], v[164:165], v[0:1] op_sel_hi:[1,1,0] neg_lo:[0,0,1] neg_hi:[0,0,1]
	v_mov_b32_e32 v1, v3
	s_delay_alu instid0(VALU_DEP_1) | instskip(SKIP_1) | instid1(VALU_DEP_1)
	v_pk_add_f32 v[202:203], v[202:203], v[0:1] neg_lo:[0,1] neg_hi:[0,1]
	v_pk_mul_f32 v[0:1], v[44:45], v[40:41] op_sel:[0,1]
	v_pk_fma_f32 v[2:3], v[44:45], v[38:39], v[0:1] op_sel:[0,0,1] op_sel_hi:[1,1,0] neg_lo:[0,0,1] neg_hi:[0,0,1]
	v_pk_fma_f32 v[0:1], v[44:45], v[38:39], v[0:1] op_sel:[0,0,1] op_sel_hi:[1,0,0]
	ds_load_2addr_b64 v[42:45], v6 offset0:39 offset1:40
	v_mov_b32_e32 v3, v1
	s_delay_alu instid0(VALU_DEP_1) | instskip(SKIP_2) | instid1(VALU_DEP_1)
	v_pk_add_f32 v[204:205], v[204:205], v[2:3] neg_lo:[0,1] neg_hi:[0,1]
	s_wait_dscnt 0x0
	v_pk_mul_f32 v[0:1], v[42:43], v[40:41] op_sel:[0,1]
	v_pk_fma_f32 v[2:3], v[42:43], v[38:39], v[0:1] op_sel:[0,0,1] op_sel_hi:[1,1,0] neg_lo:[0,0,1] neg_hi:[0,0,1]
	v_pk_fma_f32 v[0:1], v[42:43], v[38:39], v[0:1] op_sel:[0,0,1] op_sel_hi:[1,0,0]
	s_delay_alu instid0(VALU_DEP_1) | instskip(SKIP_1) | instid1(VALU_DEP_2)
	v_mov_b32_e32 v3, v1
	v_pk_mul_f32 v[0:1], v[44:45], v[40:41] op_sel:[0,1]
	v_pk_add_f32 v[206:207], v[206:207], v[2:3] neg_lo:[0,1] neg_hi:[0,1]
	s_delay_alu instid0(VALU_DEP_2) | instskip(SKIP_3) | instid1(VALU_DEP_1)
	v_pk_fma_f32 v[2:3], v[44:45], v[38:39], v[0:1] op_sel:[0,0,1] op_sel_hi:[1,1,0] neg_lo:[0,0,1] neg_hi:[0,0,1]
	v_pk_fma_f32 v[0:1], v[44:45], v[38:39], v[0:1] op_sel:[0,0,1] op_sel_hi:[1,0,0]
	ds_load_2addr_b64 v[42:45], v6 offset0:41 offset1:42
	v_mov_b32_e32 v3, v1
	v_pk_add_f32 v[208:209], v[208:209], v[2:3] neg_lo:[0,1] neg_hi:[0,1]
	s_wait_dscnt 0x0
	v_pk_mul_f32 v[0:1], v[42:43], v[40:41] op_sel:[0,1]
	s_delay_alu instid0(VALU_DEP_1) | instskip(SKIP_2) | instid1(VALU_DEP_2)
	v_pk_fma_f32 v[2:3], v[42:43], v[38:39], v[0:1] op_sel:[0,0,1] op_sel_hi:[1,1,0] neg_lo:[0,0,1] neg_hi:[0,0,1]
	v_pk_fma_f32 v[0:1], v[42:43], v[38:39], v[0:1] op_sel:[0,0,1] op_sel_hi:[1,0,0]
	v_dual_mov_b32 v0, v45 :: v_dual_mul_f32 v42, v45, v38
	v_dual_mov_b32 v3, v1 :: v_dual_mov_b32 v1, v44
	s_delay_alu instid0(VALU_DEP_1) | instskip(SKIP_1) | instid1(VALU_DEP_3)
	v_pk_add_f32 v[210:211], v[210:211], v[2:3] neg_lo:[0,1] neg_hi:[0,1]
	v_mul_f32_e32 v2, v45, v41
	v_pk_fma_f32 v[0:1], v[0:1], v[164:165], v[42:43] op_sel_hi:[1,1,0]
	s_delay_alu instid0(VALU_DEP_2) | instskip(SKIP_2) | instid1(VALU_DEP_1)
	v_pk_fma_f32 v[2:3], v[44:45], v[164:165], v[2:3] op_sel_hi:[1,1,0] neg_lo:[0,0,1] neg_hi:[0,0,1]
	ds_load_2addr_b64 v[42:45], v6 offset0:43 offset1:44
	v_mov_b32_e32 v3, v1
	v_pk_add_f32 v[212:213], v[212:213], v[2:3] neg_lo:[0,1] neg_hi:[0,1]
	s_wait_dscnt 0x0
	v_pk_mul_f32 v[0:1], v[42:43], v[40:41] op_sel:[0,1]
	s_delay_alu instid0(VALU_DEP_1) | instskip(SKIP_1) | instid1(VALU_DEP_1)
	v_pk_fma_f32 v[2:3], v[42:43], v[38:39], v[0:1] op_sel:[0,0,1] op_sel_hi:[1,1,0] neg_lo:[0,0,1] neg_hi:[0,0,1]
	v_pk_fma_f32 v[0:1], v[42:43], v[38:39], v[0:1] op_sel:[0,0,1] op_sel_hi:[1,0,0]
	v_mov_b32_e32 v3, v1
	v_pk_mul_f32 v[0:1], v[44:45], v[40:41] op_sel:[0,1]
	s_delay_alu instid0(VALU_DEP_2) | instskip(NEXT) | instid1(VALU_DEP_2)
	v_pk_add_f32 v[214:215], v[214:215], v[2:3] neg_lo:[0,1] neg_hi:[0,1]
	v_pk_fma_f32 v[2:3], v[44:45], v[38:39], v[0:1] op_sel:[0,0,1] op_sel_hi:[1,1,0] neg_lo:[0,0,1] neg_hi:[0,0,1]
	v_pk_fma_f32 v[0:1], v[44:45], v[38:39], v[0:1] op_sel:[0,0,1] op_sel_hi:[1,0,0]
	ds_load_2addr_b64 v[42:45], v6 offset0:45 offset1:46
	v_mov_b32_e32 v3, v1
	s_delay_alu instid0(VALU_DEP_1) | instskip(SKIP_2) | instid1(VALU_DEP_1)
	v_pk_add_f32 v[216:217], v[216:217], v[2:3] neg_lo:[0,1] neg_hi:[0,1]
	s_wait_dscnt 0x0
	v_pk_mul_f32 v[0:1], v[42:43], v[40:41] op_sel:[0,1]
	v_pk_fma_f32 v[2:3], v[42:43], v[38:39], v[0:1] op_sel:[0,0,1] op_sel_hi:[1,1,0] neg_lo:[0,0,1] neg_hi:[0,0,1]
	v_pk_fma_f32 v[0:1], v[42:43], v[38:39], v[0:1] op_sel:[0,0,1] op_sel_hi:[1,0,0]
	s_delay_alu instid0(VALU_DEP_1) | instskip(SKIP_1) | instid1(VALU_DEP_2)
	v_mov_b32_e32 v3, v1
	v_pk_mul_f32 v[0:1], v[44:45], v[40:41] op_sel:[0,1]
	v_pk_add_f32 v[218:219], v[218:219], v[2:3] neg_lo:[0,1] neg_hi:[0,1]
	s_delay_alu instid0(VALU_DEP_2) | instskip(SKIP_3) | instid1(VALU_DEP_1)
	v_pk_fma_f32 v[2:3], v[44:45], v[38:39], v[0:1] op_sel:[0,0,1] op_sel_hi:[1,1,0] neg_lo:[0,0,1] neg_hi:[0,0,1]
	v_pk_fma_f32 v[0:1], v[44:45], v[38:39], v[0:1] op_sel:[0,0,1] op_sel_hi:[1,0,0]
	ds_load_2addr_b64 v[42:45], v6 offset0:47 offset1:48
	v_mov_b32_e32 v3, v1
	v_pk_add_f32 v[220:221], v[220:221], v[2:3] neg_lo:[0,1] neg_hi:[0,1]
	s_wait_dscnt 0x0
	v_dual_mul_f32 v2, v43, v38 :: v_dual_mul_f32 v0, v43, v41
	s_delay_alu instid0(VALU_DEP_1) | instskip(NEXT) | instid1(VALU_DEP_2)
	v_pk_fma_f32 v[2:3], v[42:43], v[164:165], v[2:3] op_sel:[1,0,0] op_sel_hi:[0,1,0]
	v_pk_fma_f32 v[0:1], v[42:43], v[164:165], v[0:1] op_sel_hi:[1,1,0] neg_lo:[0,0,1] neg_hi:[0,0,1]
	s_delay_alu instid0(VALU_DEP_2) | instskip(NEXT) | instid1(VALU_DEP_1)
	v_mov_b32_e32 v1, v3
	v_pk_add_f32 v[222:223], v[222:223], v[0:1] neg_lo:[0,1] neg_hi:[0,1]
	v_pk_mul_f32 v[0:1], v[44:45], v[40:41] op_sel:[0,1]
	s_delay_alu instid0(VALU_DEP_1) | instskip(SKIP_3) | instid1(VALU_DEP_1)
	v_pk_fma_f32 v[2:3], v[44:45], v[38:39], v[0:1] op_sel:[0,0,1] op_sel_hi:[1,1,0] neg_lo:[0,0,1] neg_hi:[0,0,1]
	v_pk_fma_f32 v[0:1], v[44:45], v[38:39], v[0:1] op_sel:[0,0,1] op_sel_hi:[1,0,0]
	ds_load_2addr_b64 v[42:45], v6 offset0:49 offset1:50
	v_mov_b32_e32 v3, v1
	v_pk_add_f32 v[224:225], v[224:225], v[2:3] neg_lo:[0,1] neg_hi:[0,1]
	s_wait_dscnt 0x0
	v_pk_mul_f32 v[0:1], v[42:43], v[40:41] op_sel:[0,1]
	s_delay_alu instid0(VALU_DEP_1) | instskip(SKIP_1) | instid1(VALU_DEP_1)
	v_pk_fma_f32 v[2:3], v[42:43], v[38:39], v[0:1] op_sel:[0,0,1] op_sel_hi:[1,1,0] neg_lo:[0,0,1] neg_hi:[0,0,1]
	v_pk_fma_f32 v[0:1], v[42:43], v[38:39], v[0:1] op_sel:[0,0,1] op_sel_hi:[1,0,0]
	v_mov_b32_e32 v3, v1
	v_pk_mul_f32 v[0:1], v[44:45], v[40:41] op_sel:[0,1]
	s_delay_alu instid0(VALU_DEP_2) | instskip(NEXT) | instid1(VALU_DEP_2)
	v_pk_add_f32 v[226:227], v[226:227], v[2:3] neg_lo:[0,1] neg_hi:[0,1]
	v_pk_fma_f32 v[2:3], v[44:45], v[38:39], v[0:1] op_sel:[0,0,1] op_sel_hi:[1,1,0] neg_lo:[0,0,1] neg_hi:[0,0,1]
	v_pk_fma_f32 v[0:1], v[44:45], v[38:39], v[0:1] op_sel:[0,0,1] op_sel_hi:[1,0,0]
	ds_load_2addr_b64 v[42:45], v6 offset0:51 offset1:52
	v_mov_b32_e32 v3, v1
	s_delay_alu instid0(VALU_DEP_1) | instskip(SKIP_2) | instid1(VALU_DEP_1)
	v_pk_add_f32 v[228:229], v[228:229], v[2:3] neg_lo:[0,1] neg_hi:[0,1]
	s_wait_dscnt 0x0
	v_pk_mul_f32 v[0:1], v[42:43], v[40:41] op_sel:[0,1]
	v_pk_fma_f32 v[2:3], v[42:43], v[38:39], v[0:1] op_sel:[0,0,1] op_sel_hi:[1,1,0] neg_lo:[0,0,1] neg_hi:[0,0,1]
	v_pk_fma_f32 v[0:1], v[42:43], v[38:39], v[0:1] op_sel:[0,0,1] op_sel_hi:[1,0,0]
	v_dual_mov_b32 v0, v45 :: v_dual_mul_f32 v42, v45, v38
	s_delay_alu instid0(VALU_DEP_2) | instskip(NEXT) | instid1(VALU_DEP_1)
	v_dual_mov_b32 v3, v1 :: v_dual_mov_b32 v1, v44
	v_pk_add_f32 v[230:231], v[230:231], v[2:3] neg_lo:[0,1] neg_hi:[0,1]
	v_mul_f32_e32 v2, v45, v41
	s_delay_alu instid0(VALU_DEP_3) | instskip(NEXT) | instid1(VALU_DEP_2)
	v_pk_fma_f32 v[0:1], v[0:1], v[164:165], v[42:43] op_sel_hi:[1,1,0]
	v_pk_fma_f32 v[2:3], v[44:45], v[164:165], v[2:3] op_sel_hi:[1,1,0] neg_lo:[0,0,1] neg_hi:[0,0,1]
	ds_load_2addr_b64 v[42:45], v6 offset0:53 offset1:54
	v_mov_b32_e32 v3, v1
	s_delay_alu instid0(VALU_DEP_1) | instskip(SKIP_2) | instid1(VALU_DEP_1)
	v_pk_add_f32 v[232:233], v[232:233], v[2:3] neg_lo:[0,1] neg_hi:[0,1]
	s_wait_dscnt 0x0
	v_pk_mul_f32 v[0:1], v[42:43], v[40:41] op_sel:[0,1]
	v_pk_fma_f32 v[2:3], v[42:43], v[38:39], v[0:1] op_sel:[0,0,1] op_sel_hi:[1,1,0] neg_lo:[0,0,1] neg_hi:[0,0,1]
	v_pk_fma_f32 v[0:1], v[42:43], v[38:39], v[0:1] op_sel:[0,0,1] op_sel_hi:[1,0,0]
	s_delay_alu instid0(VALU_DEP_1) | instskip(SKIP_1) | instid1(VALU_DEP_2)
	v_mov_b32_e32 v3, v1
	v_pk_mul_f32 v[0:1], v[44:45], v[40:41] op_sel:[0,1]
	v_pk_add_f32 v[234:235], v[234:235], v[2:3] neg_lo:[0,1] neg_hi:[0,1]
	s_delay_alu instid0(VALU_DEP_2) | instskip(SKIP_3) | instid1(VALU_DEP_1)
	v_pk_fma_f32 v[2:3], v[44:45], v[38:39], v[0:1] op_sel:[0,0,1] op_sel_hi:[1,1,0] neg_lo:[0,0,1] neg_hi:[0,0,1]
	v_pk_fma_f32 v[0:1], v[44:45], v[38:39], v[0:1] op_sel:[0,0,1] op_sel_hi:[1,0,0]
	ds_load_2addr_b64 v[42:45], v6 offset0:55 offset1:56
	v_mov_b32_e32 v3, v1
	v_pk_add_f32 v[236:237], v[236:237], v[2:3] neg_lo:[0,1] neg_hi:[0,1]
	s_wait_dscnt 0x0
	v_pk_mul_f32 v[0:1], v[42:43], v[40:41] op_sel:[0,1]
	s_delay_alu instid0(VALU_DEP_1) | instskip(SKIP_1) | instid1(VALU_DEP_1)
	v_pk_fma_f32 v[2:3], v[42:43], v[38:39], v[0:1] op_sel:[0,0,1] op_sel_hi:[1,1,0] neg_lo:[0,0,1] neg_hi:[0,0,1]
	v_pk_fma_f32 v[0:1], v[42:43], v[38:39], v[0:1] op_sel:[0,0,1] op_sel_hi:[1,0,0]
	v_mov_b32_e32 v3, v1
	v_pk_mul_f32 v[0:1], v[44:45], v[40:41] op_sel:[0,1]
	s_delay_alu instid0(VALU_DEP_2) | instskip(NEXT) | instid1(VALU_DEP_2)
	v_pk_add_f32 v[238:239], v[238:239], v[2:3] neg_lo:[0,1] neg_hi:[0,1]
	v_pk_fma_f32 v[2:3], v[44:45], v[38:39], v[0:1] op_sel:[0,0,1] op_sel_hi:[1,1,0] neg_lo:[0,0,1] neg_hi:[0,0,1]
	v_pk_fma_f32 v[0:1], v[44:45], v[38:39], v[0:1] op_sel:[0,0,1] op_sel_hi:[1,0,0]
	ds_load_2addr_b64 v[42:45], v6 offset0:57 offset1:58
	v_mov_b32_e32 v3, v1
	s_delay_alu instid0(VALU_DEP_1) | instskip(SKIP_2) | instid1(VALU_DEP_1)
	v_pk_add_f32 v[248:249], v[248:249], v[2:3] neg_lo:[0,1] neg_hi:[0,1]
	s_wait_dscnt 0x0
	v_dual_mul_f32 v2, v43, v38 :: v_dual_mul_f32 v0, v43, v41
	v_pk_fma_f32 v[2:3], v[42:43], v[164:165], v[2:3] op_sel:[1,0,0] op_sel_hi:[0,1,0]
	s_delay_alu instid0(VALU_DEP_2) | instskip(NEXT) | instid1(VALU_DEP_2)
	v_pk_fma_f32 v[0:1], v[42:43], v[164:165], v[0:1] op_sel_hi:[1,1,0] neg_lo:[0,0,1] neg_hi:[0,0,1]
	v_mov_b32_e32 v1, v3
	s_delay_alu instid0(VALU_DEP_1) | instskip(SKIP_1) | instid1(VALU_DEP_1)
	v_pk_add_f32 v[242:243], v[242:243], v[0:1] neg_lo:[0,1] neg_hi:[0,1]
	v_pk_mul_f32 v[0:1], v[44:45], v[40:41] op_sel:[0,1]
	v_pk_fma_f32 v[2:3], v[44:45], v[38:39], v[0:1] op_sel:[0,0,1] op_sel_hi:[1,1,0] neg_lo:[0,0,1] neg_hi:[0,0,1]
	v_pk_fma_f32 v[0:1], v[44:45], v[38:39], v[0:1] op_sel:[0,0,1] op_sel_hi:[1,0,0]
	ds_load_2addr_b64 v[42:45], v6 offset0:59 offset1:60
	v_mov_b32_e32 v3, v1
	s_delay_alu instid0(VALU_DEP_1) | instskip(SKIP_2) | instid1(VALU_DEP_1)
	v_pk_add_f32 v[246:247], v[246:247], v[2:3] neg_lo:[0,1] neg_hi:[0,1]
	s_wait_dscnt 0x0
	v_pk_mul_f32 v[0:1], v[42:43], v[40:41] op_sel:[0,1]
	v_pk_fma_f32 v[2:3], v[42:43], v[38:39], v[0:1] op_sel:[0,0,1] op_sel_hi:[1,1,0] neg_lo:[0,0,1] neg_hi:[0,0,1]
	v_pk_fma_f32 v[0:1], v[42:43], v[38:39], v[0:1] op_sel:[0,0,1] op_sel_hi:[1,0,0]
	s_delay_alu instid0(VALU_DEP_1) | instskip(SKIP_1) | instid1(VALU_DEP_2)
	v_mov_b32_e32 v3, v1
	v_pk_mul_f32 v[0:1], v[44:45], v[40:41] op_sel:[0,1]
	v_pk_add_f32 v[240:241], v[240:241], v[2:3] neg_lo:[0,1] neg_hi:[0,1]
	s_delay_alu instid0(VALU_DEP_2) | instskip(SKIP_3) | instid1(VALU_DEP_1)
	v_pk_fma_f32 v[2:3], v[44:45], v[38:39], v[0:1] op_sel:[0,0,1] op_sel_hi:[1,1,0] neg_lo:[0,0,1] neg_hi:[0,0,1]
	v_pk_fma_f32 v[0:1], v[44:45], v[38:39], v[0:1] op_sel:[0,0,1] op_sel_hi:[1,0,0]
	ds_load_2addr_b64 v[42:45], v6 offset0:61 offset1:62
	v_mov_b32_e32 v3, v1
	v_pk_add_f32 v[244:245], v[244:245], v[2:3] neg_lo:[0,1] neg_hi:[0,1]
	s_wait_dscnt 0x0
	v_pk_mul_f32 v[0:1], v[42:43], v[40:41] op_sel:[0,1]
	s_delay_alu instid0(VALU_DEP_1) | instskip(SKIP_1) | instid1(VALU_DEP_1)
	v_pk_fma_f32 v[2:3], v[42:43], v[38:39], v[0:1] op_sel:[0,0,1] op_sel_hi:[1,1,0] neg_lo:[0,0,1] neg_hi:[0,0,1]
	v_pk_fma_f32 v[0:1], v[42:43], v[38:39], v[0:1] op_sel:[0,0,1] op_sel_hi:[1,0,0]
	v_mov_b32_e32 v3, v1
	v_pk_mul_f32 v[0:1], v[44:45], v[40:41] op_sel:[0,1]
	s_delay_alu instid0(VALU_DEP_2) | instskip(NEXT) | instid1(VALU_DEP_2)
	v_pk_add_f32 v[250:251], v[250:251], v[2:3] neg_lo:[0,1] neg_hi:[0,1]
	v_pk_fma_f32 v[2:3], v[44:45], v[38:39], v[0:1] op_sel:[0,0,1] op_sel_hi:[1,1,0] neg_lo:[0,0,1] neg_hi:[0,0,1]
	v_pk_fma_f32 v[0:1], v[44:45], v[38:39], v[0:1] op_sel:[0,0,1] op_sel_hi:[1,0,0]
	s_delay_alu instid0(VALU_DEP_1) | instskip(NEXT) | instid1(VALU_DEP_1)
	v_mov_b32_e32 v3, v1
	v_pk_add_f32 v[252:253], v[252:253], v[2:3] neg_lo:[0,1] neg_hi:[0,1]
.LBB125_172:
	s_or_b32 exec_lo, exec_lo, s1
	s_delay_alu instid0(SALU_CYCLE_1)
	s_mov_b32 s2, exec_lo
	s_wait_dscnt 0x0
	s_barrier_signal -1
	s_barrier_wait -1
	v_cmpx_eq_u32_e32 19, v254
	s_cbranch_execz .LBB125_179
; %bb.173:
	v_dual_mov_b32 v0, v168 :: v_dual_mov_b32 v1, v169
	v_dual_mov_b32 v2, v170 :: v_dual_mov_b32 v3, v171
	ds_store_b64 v255, v[166:167]
	ds_store_2addr_b64 v6, v[0:1], v[2:3] offset0:20 offset1:21
	v_dual_mov_b32 v0, v172 :: v_dual_mov_b32 v1, v173
	v_dual_mov_b32 v2, v174 :: v_dual_mov_b32 v3, v175
	ds_store_2addr_b64 v6, v[0:1], v[2:3] offset0:22 offset1:23
	v_dual_mov_b32 v0, v176 :: v_dual_mov_b32 v1, v177
	v_dual_mov_b32 v2, v178 :: v_dual_mov_b32 v3, v179
	;; [unrolled: 3-line block ×20, first 2 shown]
	ds_store_2addr_b64 v6, v[0:1], v[2:3] offset0:60 offset1:61
	ds_store_b64 v6, v[252:253] offset:496
	ds_load_b64 v[38:39], v255
	s_wait_dscnt 0x0
	v_cmp_neq_f32_e32 vcc_lo, 0, v38
	v_cmp_neq_f32_e64 s1, 0, v39
	s_or_b32 s1, vcc_lo, s1
	s_delay_alu instid0(SALU_CYCLE_1)
	s_and_b32 exec_lo, exec_lo, s1
	s_cbranch_execz .LBB125_179
; %bb.174:
	v_cmp_ngt_f32_e64 s1, |v38|, |v39|
                                        ; implicit-def: $vgpr40_vgpr41
	s_and_saveexec_b32 s4, s1
	s_delay_alu instid0(SALU_CYCLE_1)
	s_xor_b32 s1, exec_lo, s4
	s_cbranch_execz .LBB125_176
; %bb.175:
	v_div_scale_f32 v0, null, v39, v39, v38
	v_div_scale_f32 v3, vcc_lo, v38, v39, v38
	s_delay_alu instid0(VALU_DEP_2) | instskip(SKIP_1) | instid1(TRANS32_DEP_1)
	v_rcp_f32_e32 v1, v0
	v_nop
	v_fma_f32 v2, -v0, v1, 1.0
	s_delay_alu instid0(VALU_DEP_1) | instskip(NEXT) | instid1(VALU_DEP_1)
	v_fmac_f32_e32 v1, v2, v1
	v_mul_f32_e32 v2, v3, v1
	s_delay_alu instid0(VALU_DEP_1) | instskip(NEXT) | instid1(VALU_DEP_1)
	v_fma_f32 v4, -v0, v2, v3
	v_fmac_f32_e32 v2, v4, v1
	s_delay_alu instid0(VALU_DEP_1) | instskip(NEXT) | instid1(VALU_DEP_1)
	v_fma_f32 v0, -v0, v2, v3
	v_div_fmas_f32 v0, v0, v1, v2
	s_delay_alu instid0(VALU_DEP_1) | instskip(NEXT) | instid1(VALU_DEP_1)
	v_div_fixup_f32 v0, v0, v39, v38
	v_fmac_f32_e32 v39, v38, v0
	s_delay_alu instid0(VALU_DEP_1) | instskip(SKIP_1) | instid1(VALU_DEP_2)
	v_div_scale_f32 v1, null, v39, v39, 1.0
	v_div_scale_f32 v4, vcc_lo, 1.0, v39, 1.0
	v_rcp_f32_e32 v2, v1
	v_nop
	s_delay_alu instid0(TRANS32_DEP_1) | instskip(NEXT) | instid1(VALU_DEP_1)
	v_fma_f32 v3, -v1, v2, 1.0
	v_fmac_f32_e32 v2, v3, v2
	s_delay_alu instid0(VALU_DEP_1) | instskip(NEXT) | instid1(VALU_DEP_1)
	v_mul_f32_e32 v3, v4, v2
	v_fma_f32 v5, -v1, v3, v4
	s_delay_alu instid0(VALU_DEP_1) | instskip(NEXT) | instid1(VALU_DEP_1)
	v_fmac_f32_e32 v3, v5, v2
	v_fma_f32 v1, -v1, v3, v4
	s_delay_alu instid0(VALU_DEP_1) | instskip(NEXT) | instid1(VALU_DEP_1)
	v_div_fmas_f32 v1, v1, v2, v3
	v_div_fixup_f32 v1, v1, v39, 1.0
                                        ; implicit-def: $vgpr38_vgpr39
	s_delay_alu instid0(VALU_DEP_1)
	v_mul_f32_e32 v40, v0, v1
	v_xor_b32_e32 v41, 0x80000000, v1
.LBB125_176:
	s_and_not1_saveexec_b32 s1, s1
	s_cbranch_execz .LBB125_178
; %bb.177:
	v_div_scale_f32 v0, null, v38, v38, v39
	v_div_scale_f32 v3, vcc_lo, v39, v38, v39
	s_delay_alu instid0(VALU_DEP_2) | instskip(SKIP_1) | instid1(TRANS32_DEP_1)
	v_rcp_f32_e32 v1, v0
	v_nop
	v_fma_f32 v2, -v0, v1, 1.0
	s_delay_alu instid0(VALU_DEP_1) | instskip(NEXT) | instid1(VALU_DEP_1)
	v_fmac_f32_e32 v1, v2, v1
	v_mul_f32_e32 v2, v3, v1
	s_delay_alu instid0(VALU_DEP_1) | instskip(NEXT) | instid1(VALU_DEP_1)
	v_fma_f32 v4, -v0, v2, v3
	v_fmac_f32_e32 v2, v4, v1
	s_delay_alu instid0(VALU_DEP_1) | instskip(NEXT) | instid1(VALU_DEP_1)
	v_fma_f32 v0, -v0, v2, v3
	v_div_fmas_f32 v0, v0, v1, v2
	s_delay_alu instid0(VALU_DEP_1) | instskip(NEXT) | instid1(VALU_DEP_1)
	v_div_fixup_f32 v0, v0, v38, v39
	v_fmac_f32_e32 v38, v39, v0
	s_delay_alu instid0(VALU_DEP_1) | instskip(NEXT) | instid1(VALU_DEP_1)
	v_div_scale_f32 v1, null, v38, v38, 1.0
	v_rcp_f32_e32 v2, v1
	v_nop
	s_delay_alu instid0(TRANS32_DEP_1) | instskip(NEXT) | instid1(VALU_DEP_1)
	v_fma_f32 v3, -v1, v2, 1.0
	v_fmac_f32_e32 v2, v3, v2
	v_div_scale_f32 v3, vcc_lo, 1.0, v38, 1.0
	s_delay_alu instid0(VALU_DEP_1) | instskip(NEXT) | instid1(VALU_DEP_1)
	v_mul_f32_e32 v4, v3, v2
	v_fma_f32 v5, -v1, v4, v3
	s_delay_alu instid0(VALU_DEP_1) | instskip(NEXT) | instid1(VALU_DEP_1)
	v_fmac_f32_e32 v4, v5, v2
	v_fma_f32 v1, -v1, v4, v3
	s_delay_alu instid0(VALU_DEP_1) | instskip(NEXT) | instid1(VALU_DEP_1)
	v_div_fmas_f32 v1, v1, v2, v4
	v_div_fixup_f32 v40, v1, v38, 1.0
	s_delay_alu instid0(VALU_DEP_1)
	v_mul_f32_e64 v41, v0, -v40
.LBB125_178:
	s_or_b32 exec_lo, exec_lo, s1
	ds_store_b64 v255, v[40:41]
.LBB125_179:
	s_or_b32 exec_lo, exec_lo, s2
	s_wait_dscnt 0x0
	s_barrier_signal -1
	s_barrier_wait -1
	ds_load_b64 v[38:39], v255
	s_mov_b32 s1, exec_lo
	v_cmpx_lt_u32_e32 19, v254
	s_cbranch_execz .LBB125_181
; %bb.180:
	ds_load_2addr_b64 v[44:47], v6 offset0:20 offset1:21
	s_wait_dscnt 0x1
	v_pk_mul_f32 v[0:1], v[38:39], v[166:167] op_sel:[1,1] op_sel_hi:[0,1]
	s_delay_alu instid0(VALU_DEP_1) | instskip(SKIP_1) | instid1(VALU_DEP_1)
	v_pk_fma_f32 v[42:43], v[38:39], v[166:167], v[0:1] op_sel_hi:[1,0,1]
	v_pk_fma_f32 v[40:41], v[38:39], v[166:167], v[0:1] op_sel_hi:[1,0,1] neg_lo:[0,0,1] neg_hi:[0,0,1]
	v_dual_mov_b32 v167, v43 :: v_dual_mov_b32 v166, v40
	s_wait_dscnt 0x0
	s_delay_alu instid0(VALU_DEP_3) | instskip(NEXT) | instid1(VALU_DEP_1)
	v_pk_mul_f32 v[0:1], v[44:45], v[42:43] op_sel:[0,1]
	v_pk_fma_f32 v[2:3], v[44:45], v[40:41], v[0:1] op_sel:[0,0,1] op_sel_hi:[1,1,0] neg_lo:[0,0,1] neg_hi:[0,0,1]
	v_pk_fma_f32 v[0:1], v[44:45], v[40:41], v[0:1] op_sel:[0,0,1] op_sel_hi:[1,0,0]
	s_delay_alu instid0(VALU_DEP_1) | instskip(SKIP_1) | instid1(VALU_DEP_2)
	v_mov_b32_e32 v3, v1
	v_pk_mul_f32 v[0:1], v[46:47], v[42:43] op_sel:[0,1]
	v_pk_add_f32 v[168:169], v[168:169], v[2:3] neg_lo:[0,1] neg_hi:[0,1]
	s_delay_alu instid0(VALU_DEP_2) | instskip(SKIP_3) | instid1(VALU_DEP_1)
	v_pk_fma_f32 v[2:3], v[46:47], v[40:41], v[0:1] op_sel:[0,0,1] op_sel_hi:[1,1,0] neg_lo:[0,0,1] neg_hi:[0,0,1]
	v_pk_fma_f32 v[0:1], v[46:47], v[40:41], v[0:1] op_sel:[0,0,1] op_sel_hi:[1,0,0]
	ds_load_2addr_b64 v[44:47], v6 offset0:22 offset1:23
	v_mov_b32_e32 v3, v1
	v_pk_add_f32 v[170:171], v[170:171], v[2:3] neg_lo:[0,1] neg_hi:[0,1]
	s_wait_dscnt 0x0
	v_pk_mul_f32 v[0:1], v[44:45], v[42:43] op_sel:[0,1]
	s_delay_alu instid0(VALU_DEP_1) | instskip(SKIP_2) | instid1(VALU_DEP_2)
	v_pk_fma_f32 v[2:3], v[44:45], v[40:41], v[0:1] op_sel:[0,0,1] op_sel_hi:[1,1,0] neg_lo:[0,0,1] neg_hi:[0,0,1]
	v_pk_fma_f32 v[0:1], v[44:45], v[40:41], v[0:1] op_sel:[0,0,1] op_sel_hi:[1,0,0]
	v_dual_mov_b32 v0, v47 :: v_dual_mul_f32 v44, v47, v40
	v_dual_mov_b32 v3, v1 :: v_dual_mov_b32 v1, v46
	s_delay_alu instid0(VALU_DEP_1) | instskip(SKIP_1) | instid1(VALU_DEP_3)
	v_pk_add_f32 v[172:173], v[172:173], v[2:3] neg_lo:[0,1] neg_hi:[0,1]
	v_mul_f32_e32 v2, v47, v43
	v_pk_fma_f32 v[0:1], v[0:1], v[166:167], v[44:45] op_sel_hi:[1,1,0]
	s_delay_alu instid0(VALU_DEP_2) | instskip(SKIP_2) | instid1(VALU_DEP_1)
	v_pk_fma_f32 v[2:3], v[46:47], v[166:167], v[2:3] op_sel_hi:[1,1,0] neg_lo:[0,0,1] neg_hi:[0,0,1]
	ds_load_2addr_b64 v[44:47], v6 offset0:24 offset1:25
	v_mov_b32_e32 v3, v1
	v_pk_add_f32 v[174:175], v[174:175], v[2:3] neg_lo:[0,1] neg_hi:[0,1]
	s_wait_dscnt 0x0
	v_pk_mul_f32 v[0:1], v[44:45], v[42:43] op_sel:[0,1]
	s_delay_alu instid0(VALU_DEP_1) | instskip(SKIP_1) | instid1(VALU_DEP_1)
	v_pk_fma_f32 v[2:3], v[44:45], v[40:41], v[0:1] op_sel:[0,0,1] op_sel_hi:[1,1,0] neg_lo:[0,0,1] neg_hi:[0,0,1]
	v_pk_fma_f32 v[0:1], v[44:45], v[40:41], v[0:1] op_sel:[0,0,1] op_sel_hi:[1,0,0]
	v_mov_b32_e32 v3, v1
	v_pk_mul_f32 v[0:1], v[46:47], v[42:43] op_sel:[0,1]
	s_delay_alu instid0(VALU_DEP_2) | instskip(NEXT) | instid1(VALU_DEP_2)
	v_pk_add_f32 v[176:177], v[176:177], v[2:3] neg_lo:[0,1] neg_hi:[0,1]
	v_pk_fma_f32 v[2:3], v[46:47], v[40:41], v[0:1] op_sel:[0,0,1] op_sel_hi:[1,1,0] neg_lo:[0,0,1] neg_hi:[0,0,1]
	v_pk_fma_f32 v[0:1], v[46:47], v[40:41], v[0:1] op_sel:[0,0,1] op_sel_hi:[1,0,0]
	ds_load_2addr_b64 v[44:47], v6 offset0:26 offset1:27
	v_mov_b32_e32 v3, v1
	s_delay_alu instid0(VALU_DEP_1) | instskip(SKIP_2) | instid1(VALU_DEP_1)
	v_pk_add_f32 v[178:179], v[178:179], v[2:3] neg_lo:[0,1] neg_hi:[0,1]
	s_wait_dscnt 0x0
	v_pk_mul_f32 v[0:1], v[44:45], v[42:43] op_sel:[0,1]
	v_pk_fma_f32 v[2:3], v[44:45], v[40:41], v[0:1] op_sel:[0,0,1] op_sel_hi:[1,1,0] neg_lo:[0,0,1] neg_hi:[0,0,1]
	v_pk_fma_f32 v[0:1], v[44:45], v[40:41], v[0:1] op_sel:[0,0,1] op_sel_hi:[1,0,0]
	s_delay_alu instid0(VALU_DEP_1) | instskip(SKIP_1) | instid1(VALU_DEP_2)
	v_mov_b32_e32 v3, v1
	v_pk_mul_f32 v[0:1], v[46:47], v[42:43] op_sel:[0,1]
	v_pk_add_f32 v[180:181], v[180:181], v[2:3] neg_lo:[0,1] neg_hi:[0,1]
	s_delay_alu instid0(VALU_DEP_2) | instskip(SKIP_3) | instid1(VALU_DEP_1)
	v_pk_fma_f32 v[2:3], v[46:47], v[40:41], v[0:1] op_sel:[0,0,1] op_sel_hi:[1,1,0] neg_lo:[0,0,1] neg_hi:[0,0,1]
	v_pk_fma_f32 v[0:1], v[46:47], v[40:41], v[0:1] op_sel:[0,0,1] op_sel_hi:[1,0,0]
	ds_load_2addr_b64 v[44:47], v6 offset0:28 offset1:29
	v_mov_b32_e32 v3, v1
	v_pk_add_f32 v[182:183], v[182:183], v[2:3] neg_lo:[0,1] neg_hi:[0,1]
	s_wait_dscnt 0x0
	v_dual_mul_f32 v0, v45, v43 :: v_dual_mul_f32 v2, v45, v40
	s_delay_alu instid0(VALU_DEP_1) | instskip(NEXT) | instid1(VALU_DEP_2)
	v_pk_fma_f32 v[0:1], v[44:45], v[166:167], v[0:1] op_sel_hi:[1,1,0] neg_lo:[0,0,1] neg_hi:[0,0,1]
	v_pk_fma_f32 v[2:3], v[44:45], v[166:167], v[2:3] op_sel:[1,0,0] op_sel_hi:[0,1,0]
	s_delay_alu instid0(VALU_DEP_1) | instskip(NEXT) | instid1(VALU_DEP_1)
	v_mov_b32_e32 v1, v3
	v_pk_add_f32 v[184:185], v[184:185], v[0:1] neg_lo:[0,1] neg_hi:[0,1]
	v_pk_mul_f32 v[0:1], v[46:47], v[42:43] op_sel:[0,1]
	s_delay_alu instid0(VALU_DEP_1) | instskip(SKIP_3) | instid1(VALU_DEP_1)
	v_pk_fma_f32 v[2:3], v[46:47], v[40:41], v[0:1] op_sel:[0,0,1] op_sel_hi:[1,1,0] neg_lo:[0,0,1] neg_hi:[0,0,1]
	v_pk_fma_f32 v[0:1], v[46:47], v[40:41], v[0:1] op_sel:[0,0,1] op_sel_hi:[1,0,0]
	ds_load_2addr_b64 v[44:47], v6 offset0:30 offset1:31
	v_mov_b32_e32 v3, v1
	v_pk_add_f32 v[186:187], v[186:187], v[2:3] neg_lo:[0,1] neg_hi:[0,1]
	s_wait_dscnt 0x0
	v_pk_mul_f32 v[0:1], v[44:45], v[42:43] op_sel:[0,1]
	s_delay_alu instid0(VALU_DEP_1) | instskip(SKIP_1) | instid1(VALU_DEP_1)
	v_pk_fma_f32 v[2:3], v[44:45], v[40:41], v[0:1] op_sel:[0,0,1] op_sel_hi:[1,1,0] neg_lo:[0,0,1] neg_hi:[0,0,1]
	v_pk_fma_f32 v[0:1], v[44:45], v[40:41], v[0:1] op_sel:[0,0,1] op_sel_hi:[1,0,0]
	v_mov_b32_e32 v3, v1
	v_pk_mul_f32 v[0:1], v[46:47], v[42:43] op_sel:[0,1]
	s_delay_alu instid0(VALU_DEP_2) | instskip(NEXT) | instid1(VALU_DEP_2)
	v_pk_add_f32 v[188:189], v[188:189], v[2:3] neg_lo:[0,1] neg_hi:[0,1]
	v_pk_fma_f32 v[2:3], v[46:47], v[40:41], v[0:1] op_sel:[0,0,1] op_sel_hi:[1,1,0] neg_lo:[0,0,1] neg_hi:[0,0,1]
	v_pk_fma_f32 v[0:1], v[46:47], v[40:41], v[0:1] op_sel:[0,0,1] op_sel_hi:[1,0,0]
	ds_load_2addr_b64 v[44:47], v6 offset0:32 offset1:33
	v_mov_b32_e32 v3, v1
	s_delay_alu instid0(VALU_DEP_1) | instskip(SKIP_2) | instid1(VALU_DEP_1)
	v_pk_add_f32 v[190:191], v[190:191], v[2:3] neg_lo:[0,1] neg_hi:[0,1]
	s_wait_dscnt 0x0
	v_pk_mul_f32 v[0:1], v[44:45], v[42:43] op_sel:[0,1]
	v_pk_fma_f32 v[2:3], v[44:45], v[40:41], v[0:1] op_sel:[0,0,1] op_sel_hi:[1,1,0] neg_lo:[0,0,1] neg_hi:[0,0,1]
	v_pk_fma_f32 v[0:1], v[44:45], v[40:41], v[0:1] op_sel:[0,0,1] op_sel_hi:[1,0,0]
	v_dual_mov_b32 v0, v47 :: v_dual_mul_f32 v44, v47, v40
	s_delay_alu instid0(VALU_DEP_2) | instskip(NEXT) | instid1(VALU_DEP_1)
	v_dual_mov_b32 v3, v1 :: v_dual_mov_b32 v1, v46
	v_pk_add_f32 v[192:193], v[192:193], v[2:3] neg_lo:[0,1] neg_hi:[0,1]
	v_mul_f32_e32 v2, v47, v43
	s_delay_alu instid0(VALU_DEP_3) | instskip(NEXT) | instid1(VALU_DEP_2)
	v_pk_fma_f32 v[0:1], v[0:1], v[166:167], v[44:45] op_sel_hi:[1,1,0]
	v_pk_fma_f32 v[2:3], v[46:47], v[166:167], v[2:3] op_sel_hi:[1,1,0] neg_lo:[0,0,1] neg_hi:[0,0,1]
	ds_load_2addr_b64 v[44:47], v6 offset0:34 offset1:35
	v_mov_b32_e32 v3, v1
	s_delay_alu instid0(VALU_DEP_1) | instskip(SKIP_2) | instid1(VALU_DEP_1)
	v_pk_add_f32 v[194:195], v[194:195], v[2:3] neg_lo:[0,1] neg_hi:[0,1]
	s_wait_dscnt 0x0
	v_pk_mul_f32 v[0:1], v[44:45], v[42:43] op_sel:[0,1]
	v_pk_fma_f32 v[2:3], v[44:45], v[40:41], v[0:1] op_sel:[0,0,1] op_sel_hi:[1,1,0] neg_lo:[0,0,1] neg_hi:[0,0,1]
	v_pk_fma_f32 v[0:1], v[44:45], v[40:41], v[0:1] op_sel:[0,0,1] op_sel_hi:[1,0,0]
	s_delay_alu instid0(VALU_DEP_1) | instskip(SKIP_1) | instid1(VALU_DEP_2)
	v_mov_b32_e32 v3, v1
	v_pk_mul_f32 v[0:1], v[46:47], v[42:43] op_sel:[0,1]
	v_pk_add_f32 v[196:197], v[196:197], v[2:3] neg_lo:[0,1] neg_hi:[0,1]
	s_delay_alu instid0(VALU_DEP_2) | instskip(SKIP_3) | instid1(VALU_DEP_1)
	v_pk_fma_f32 v[2:3], v[46:47], v[40:41], v[0:1] op_sel:[0,0,1] op_sel_hi:[1,1,0] neg_lo:[0,0,1] neg_hi:[0,0,1]
	v_pk_fma_f32 v[0:1], v[46:47], v[40:41], v[0:1] op_sel:[0,0,1] op_sel_hi:[1,0,0]
	ds_load_2addr_b64 v[44:47], v6 offset0:36 offset1:37
	v_mov_b32_e32 v3, v1
	v_pk_add_f32 v[198:199], v[198:199], v[2:3] neg_lo:[0,1] neg_hi:[0,1]
	s_wait_dscnt 0x0
	v_pk_mul_f32 v[0:1], v[44:45], v[42:43] op_sel:[0,1]
	s_delay_alu instid0(VALU_DEP_1) | instskip(SKIP_1) | instid1(VALU_DEP_1)
	v_pk_fma_f32 v[2:3], v[44:45], v[40:41], v[0:1] op_sel:[0,0,1] op_sel_hi:[1,1,0] neg_lo:[0,0,1] neg_hi:[0,0,1]
	v_pk_fma_f32 v[0:1], v[44:45], v[40:41], v[0:1] op_sel:[0,0,1] op_sel_hi:[1,0,0]
	v_mov_b32_e32 v3, v1
	v_pk_mul_f32 v[0:1], v[46:47], v[42:43] op_sel:[0,1]
	s_delay_alu instid0(VALU_DEP_2) | instskip(NEXT) | instid1(VALU_DEP_2)
	v_pk_add_f32 v[200:201], v[200:201], v[2:3] neg_lo:[0,1] neg_hi:[0,1]
	v_pk_fma_f32 v[2:3], v[46:47], v[40:41], v[0:1] op_sel:[0,0,1] op_sel_hi:[1,1,0] neg_lo:[0,0,1] neg_hi:[0,0,1]
	v_pk_fma_f32 v[0:1], v[46:47], v[40:41], v[0:1] op_sel:[0,0,1] op_sel_hi:[1,0,0]
	ds_load_2addr_b64 v[44:47], v6 offset0:38 offset1:39
	v_mov_b32_e32 v3, v1
	s_delay_alu instid0(VALU_DEP_1) | instskip(SKIP_2) | instid1(VALU_DEP_1)
	v_pk_add_f32 v[202:203], v[202:203], v[2:3] neg_lo:[0,1] neg_hi:[0,1]
	s_wait_dscnt 0x0
	v_dual_mul_f32 v2, v45, v40 :: v_dual_mul_f32 v0, v45, v43
	v_pk_fma_f32 v[2:3], v[44:45], v[166:167], v[2:3] op_sel:[1,0,0] op_sel_hi:[0,1,0]
	s_delay_alu instid0(VALU_DEP_2) | instskip(NEXT) | instid1(VALU_DEP_2)
	v_pk_fma_f32 v[0:1], v[44:45], v[166:167], v[0:1] op_sel_hi:[1,1,0] neg_lo:[0,0,1] neg_hi:[0,0,1]
	v_mov_b32_e32 v1, v3
	s_delay_alu instid0(VALU_DEP_1) | instskip(SKIP_1) | instid1(VALU_DEP_1)
	v_pk_add_f32 v[204:205], v[204:205], v[0:1] neg_lo:[0,1] neg_hi:[0,1]
	v_pk_mul_f32 v[0:1], v[46:47], v[42:43] op_sel:[0,1]
	v_pk_fma_f32 v[2:3], v[46:47], v[40:41], v[0:1] op_sel:[0,0,1] op_sel_hi:[1,1,0] neg_lo:[0,0,1] neg_hi:[0,0,1]
	v_pk_fma_f32 v[0:1], v[46:47], v[40:41], v[0:1] op_sel:[0,0,1] op_sel_hi:[1,0,0]
	ds_load_2addr_b64 v[44:47], v6 offset0:40 offset1:41
	v_mov_b32_e32 v3, v1
	s_delay_alu instid0(VALU_DEP_1) | instskip(SKIP_2) | instid1(VALU_DEP_1)
	v_pk_add_f32 v[206:207], v[206:207], v[2:3] neg_lo:[0,1] neg_hi:[0,1]
	s_wait_dscnt 0x0
	v_pk_mul_f32 v[0:1], v[44:45], v[42:43] op_sel:[0,1]
	v_pk_fma_f32 v[2:3], v[44:45], v[40:41], v[0:1] op_sel:[0,0,1] op_sel_hi:[1,1,0] neg_lo:[0,0,1] neg_hi:[0,0,1]
	v_pk_fma_f32 v[0:1], v[44:45], v[40:41], v[0:1] op_sel:[0,0,1] op_sel_hi:[1,0,0]
	s_delay_alu instid0(VALU_DEP_1) | instskip(SKIP_1) | instid1(VALU_DEP_2)
	v_mov_b32_e32 v3, v1
	v_pk_mul_f32 v[0:1], v[46:47], v[42:43] op_sel:[0,1]
	v_pk_add_f32 v[208:209], v[208:209], v[2:3] neg_lo:[0,1] neg_hi:[0,1]
	s_delay_alu instid0(VALU_DEP_2) | instskip(SKIP_3) | instid1(VALU_DEP_1)
	v_pk_fma_f32 v[2:3], v[46:47], v[40:41], v[0:1] op_sel:[0,0,1] op_sel_hi:[1,1,0] neg_lo:[0,0,1] neg_hi:[0,0,1]
	v_pk_fma_f32 v[0:1], v[46:47], v[40:41], v[0:1] op_sel:[0,0,1] op_sel_hi:[1,0,0]
	ds_load_2addr_b64 v[44:47], v6 offset0:42 offset1:43
	v_mov_b32_e32 v3, v1
	v_pk_add_f32 v[210:211], v[210:211], v[2:3] neg_lo:[0,1] neg_hi:[0,1]
	s_wait_dscnt 0x0
	v_pk_mul_f32 v[0:1], v[44:45], v[42:43] op_sel:[0,1]
	s_delay_alu instid0(VALU_DEP_1) | instskip(SKIP_2) | instid1(VALU_DEP_2)
	v_pk_fma_f32 v[2:3], v[44:45], v[40:41], v[0:1] op_sel:[0,0,1] op_sel_hi:[1,1,0] neg_lo:[0,0,1] neg_hi:[0,0,1]
	v_pk_fma_f32 v[0:1], v[44:45], v[40:41], v[0:1] op_sel:[0,0,1] op_sel_hi:[1,0,0]
	v_dual_mov_b32 v0, v47 :: v_dual_mul_f32 v44, v47, v40
	v_dual_mov_b32 v3, v1 :: v_dual_mov_b32 v1, v46
	s_delay_alu instid0(VALU_DEP_1) | instskip(SKIP_1) | instid1(VALU_DEP_3)
	v_pk_add_f32 v[212:213], v[212:213], v[2:3] neg_lo:[0,1] neg_hi:[0,1]
	v_mul_f32_e32 v2, v47, v43
	v_pk_fma_f32 v[0:1], v[0:1], v[166:167], v[44:45] op_sel_hi:[1,1,0]
	s_delay_alu instid0(VALU_DEP_2) | instskip(SKIP_2) | instid1(VALU_DEP_1)
	v_pk_fma_f32 v[2:3], v[46:47], v[166:167], v[2:3] op_sel_hi:[1,1,0] neg_lo:[0,0,1] neg_hi:[0,0,1]
	ds_load_2addr_b64 v[44:47], v6 offset0:44 offset1:45
	v_mov_b32_e32 v3, v1
	v_pk_add_f32 v[214:215], v[214:215], v[2:3] neg_lo:[0,1] neg_hi:[0,1]
	s_wait_dscnt 0x0
	v_pk_mul_f32 v[0:1], v[44:45], v[42:43] op_sel:[0,1]
	s_delay_alu instid0(VALU_DEP_1) | instskip(SKIP_1) | instid1(VALU_DEP_1)
	v_pk_fma_f32 v[2:3], v[44:45], v[40:41], v[0:1] op_sel:[0,0,1] op_sel_hi:[1,1,0] neg_lo:[0,0,1] neg_hi:[0,0,1]
	v_pk_fma_f32 v[0:1], v[44:45], v[40:41], v[0:1] op_sel:[0,0,1] op_sel_hi:[1,0,0]
	v_mov_b32_e32 v3, v1
	v_pk_mul_f32 v[0:1], v[46:47], v[42:43] op_sel:[0,1]
	s_delay_alu instid0(VALU_DEP_2) | instskip(NEXT) | instid1(VALU_DEP_2)
	v_pk_add_f32 v[216:217], v[216:217], v[2:3] neg_lo:[0,1] neg_hi:[0,1]
	v_pk_fma_f32 v[2:3], v[46:47], v[40:41], v[0:1] op_sel:[0,0,1] op_sel_hi:[1,1,0] neg_lo:[0,0,1] neg_hi:[0,0,1]
	v_pk_fma_f32 v[0:1], v[46:47], v[40:41], v[0:1] op_sel:[0,0,1] op_sel_hi:[1,0,0]
	ds_load_2addr_b64 v[44:47], v6 offset0:46 offset1:47
	v_mov_b32_e32 v3, v1
	s_delay_alu instid0(VALU_DEP_1) | instskip(SKIP_2) | instid1(VALU_DEP_1)
	v_pk_add_f32 v[218:219], v[218:219], v[2:3] neg_lo:[0,1] neg_hi:[0,1]
	s_wait_dscnt 0x0
	v_pk_mul_f32 v[0:1], v[44:45], v[42:43] op_sel:[0,1]
	v_pk_fma_f32 v[2:3], v[44:45], v[40:41], v[0:1] op_sel:[0,0,1] op_sel_hi:[1,1,0] neg_lo:[0,0,1] neg_hi:[0,0,1]
	v_pk_fma_f32 v[0:1], v[44:45], v[40:41], v[0:1] op_sel:[0,0,1] op_sel_hi:[1,0,0]
	s_delay_alu instid0(VALU_DEP_1) | instskip(SKIP_1) | instid1(VALU_DEP_2)
	v_mov_b32_e32 v3, v1
	v_pk_mul_f32 v[0:1], v[46:47], v[42:43] op_sel:[0,1]
	v_pk_add_f32 v[220:221], v[220:221], v[2:3] neg_lo:[0,1] neg_hi:[0,1]
	s_delay_alu instid0(VALU_DEP_2) | instskip(SKIP_3) | instid1(VALU_DEP_1)
	v_pk_fma_f32 v[2:3], v[46:47], v[40:41], v[0:1] op_sel:[0,0,1] op_sel_hi:[1,1,0] neg_lo:[0,0,1] neg_hi:[0,0,1]
	v_pk_fma_f32 v[0:1], v[46:47], v[40:41], v[0:1] op_sel:[0,0,1] op_sel_hi:[1,0,0]
	ds_load_2addr_b64 v[44:47], v6 offset0:48 offset1:49
	v_mov_b32_e32 v3, v1
	v_pk_add_f32 v[222:223], v[222:223], v[2:3] neg_lo:[0,1] neg_hi:[0,1]
	s_wait_dscnt 0x0
	v_dual_mul_f32 v0, v45, v43 :: v_dual_mul_f32 v2, v45, v40
	s_delay_alu instid0(VALU_DEP_1) | instskip(NEXT) | instid1(VALU_DEP_2)
	v_pk_fma_f32 v[0:1], v[44:45], v[166:167], v[0:1] op_sel_hi:[1,1,0] neg_lo:[0,0,1] neg_hi:[0,0,1]
	v_pk_fma_f32 v[2:3], v[44:45], v[166:167], v[2:3] op_sel:[1,0,0] op_sel_hi:[0,1,0]
	s_delay_alu instid0(VALU_DEP_1) | instskip(NEXT) | instid1(VALU_DEP_1)
	v_mov_b32_e32 v1, v3
	v_pk_add_f32 v[224:225], v[224:225], v[0:1] neg_lo:[0,1] neg_hi:[0,1]
	v_pk_mul_f32 v[0:1], v[46:47], v[42:43] op_sel:[0,1]
	s_delay_alu instid0(VALU_DEP_1) | instskip(SKIP_3) | instid1(VALU_DEP_1)
	v_pk_fma_f32 v[2:3], v[46:47], v[40:41], v[0:1] op_sel:[0,0,1] op_sel_hi:[1,1,0] neg_lo:[0,0,1] neg_hi:[0,0,1]
	v_pk_fma_f32 v[0:1], v[46:47], v[40:41], v[0:1] op_sel:[0,0,1] op_sel_hi:[1,0,0]
	ds_load_2addr_b64 v[44:47], v6 offset0:50 offset1:51
	v_mov_b32_e32 v3, v1
	v_pk_add_f32 v[226:227], v[226:227], v[2:3] neg_lo:[0,1] neg_hi:[0,1]
	s_wait_dscnt 0x0
	v_pk_mul_f32 v[0:1], v[44:45], v[42:43] op_sel:[0,1]
	s_delay_alu instid0(VALU_DEP_1) | instskip(SKIP_1) | instid1(VALU_DEP_1)
	v_pk_fma_f32 v[2:3], v[44:45], v[40:41], v[0:1] op_sel:[0,0,1] op_sel_hi:[1,1,0] neg_lo:[0,0,1] neg_hi:[0,0,1]
	v_pk_fma_f32 v[0:1], v[44:45], v[40:41], v[0:1] op_sel:[0,0,1] op_sel_hi:[1,0,0]
	v_mov_b32_e32 v3, v1
	v_pk_mul_f32 v[0:1], v[46:47], v[42:43] op_sel:[0,1]
	s_delay_alu instid0(VALU_DEP_2) | instskip(NEXT) | instid1(VALU_DEP_2)
	v_pk_add_f32 v[228:229], v[228:229], v[2:3] neg_lo:[0,1] neg_hi:[0,1]
	v_pk_fma_f32 v[2:3], v[46:47], v[40:41], v[0:1] op_sel:[0,0,1] op_sel_hi:[1,1,0] neg_lo:[0,0,1] neg_hi:[0,0,1]
	v_pk_fma_f32 v[0:1], v[46:47], v[40:41], v[0:1] op_sel:[0,0,1] op_sel_hi:[1,0,0]
	ds_load_2addr_b64 v[44:47], v6 offset0:52 offset1:53
	v_mov_b32_e32 v3, v1
	s_delay_alu instid0(VALU_DEP_1) | instskip(SKIP_2) | instid1(VALU_DEP_1)
	v_pk_add_f32 v[230:231], v[230:231], v[2:3] neg_lo:[0,1] neg_hi:[0,1]
	s_wait_dscnt 0x0
	v_pk_mul_f32 v[0:1], v[44:45], v[42:43] op_sel:[0,1]
	v_pk_fma_f32 v[2:3], v[44:45], v[40:41], v[0:1] op_sel:[0,0,1] op_sel_hi:[1,1,0] neg_lo:[0,0,1] neg_hi:[0,0,1]
	v_pk_fma_f32 v[0:1], v[44:45], v[40:41], v[0:1] op_sel:[0,0,1] op_sel_hi:[1,0,0]
	v_dual_mov_b32 v0, v47 :: v_dual_mul_f32 v44, v47, v40
	s_delay_alu instid0(VALU_DEP_2) | instskip(NEXT) | instid1(VALU_DEP_1)
	v_dual_mov_b32 v3, v1 :: v_dual_mov_b32 v1, v46
	v_pk_add_f32 v[232:233], v[232:233], v[2:3] neg_lo:[0,1] neg_hi:[0,1]
	v_mul_f32_e32 v2, v47, v43
	s_delay_alu instid0(VALU_DEP_3) | instskip(NEXT) | instid1(VALU_DEP_2)
	v_pk_fma_f32 v[0:1], v[0:1], v[166:167], v[44:45] op_sel_hi:[1,1,0]
	v_pk_fma_f32 v[2:3], v[46:47], v[166:167], v[2:3] op_sel_hi:[1,1,0] neg_lo:[0,0,1] neg_hi:[0,0,1]
	ds_load_2addr_b64 v[44:47], v6 offset0:54 offset1:55
	v_mov_b32_e32 v3, v1
	s_delay_alu instid0(VALU_DEP_1) | instskip(SKIP_2) | instid1(VALU_DEP_1)
	v_pk_add_f32 v[234:235], v[234:235], v[2:3] neg_lo:[0,1] neg_hi:[0,1]
	s_wait_dscnt 0x0
	v_pk_mul_f32 v[0:1], v[44:45], v[42:43] op_sel:[0,1]
	v_pk_fma_f32 v[2:3], v[44:45], v[40:41], v[0:1] op_sel:[0,0,1] op_sel_hi:[1,1,0] neg_lo:[0,0,1] neg_hi:[0,0,1]
	v_pk_fma_f32 v[0:1], v[44:45], v[40:41], v[0:1] op_sel:[0,0,1] op_sel_hi:[1,0,0]
	s_delay_alu instid0(VALU_DEP_1) | instskip(SKIP_1) | instid1(VALU_DEP_2)
	v_mov_b32_e32 v3, v1
	v_pk_mul_f32 v[0:1], v[46:47], v[42:43] op_sel:[0,1]
	v_pk_add_f32 v[236:237], v[236:237], v[2:3] neg_lo:[0,1] neg_hi:[0,1]
	s_delay_alu instid0(VALU_DEP_2) | instskip(SKIP_3) | instid1(VALU_DEP_1)
	v_pk_fma_f32 v[2:3], v[46:47], v[40:41], v[0:1] op_sel:[0,0,1] op_sel_hi:[1,1,0] neg_lo:[0,0,1] neg_hi:[0,0,1]
	v_pk_fma_f32 v[0:1], v[46:47], v[40:41], v[0:1] op_sel:[0,0,1] op_sel_hi:[1,0,0]
	ds_load_2addr_b64 v[44:47], v6 offset0:56 offset1:57
	v_mov_b32_e32 v3, v1
	v_pk_add_f32 v[238:239], v[238:239], v[2:3] neg_lo:[0,1] neg_hi:[0,1]
	s_wait_dscnt 0x0
	v_pk_mul_f32 v[0:1], v[44:45], v[42:43] op_sel:[0,1]
	s_delay_alu instid0(VALU_DEP_1) | instskip(SKIP_1) | instid1(VALU_DEP_1)
	v_pk_fma_f32 v[2:3], v[44:45], v[40:41], v[0:1] op_sel:[0,0,1] op_sel_hi:[1,1,0] neg_lo:[0,0,1] neg_hi:[0,0,1]
	v_pk_fma_f32 v[0:1], v[44:45], v[40:41], v[0:1] op_sel:[0,0,1] op_sel_hi:[1,0,0]
	v_mov_b32_e32 v3, v1
	v_pk_mul_f32 v[0:1], v[46:47], v[42:43] op_sel:[0,1]
	s_delay_alu instid0(VALU_DEP_2) | instskip(NEXT) | instid1(VALU_DEP_2)
	v_pk_add_f32 v[248:249], v[248:249], v[2:3] neg_lo:[0,1] neg_hi:[0,1]
	v_pk_fma_f32 v[2:3], v[46:47], v[40:41], v[0:1] op_sel:[0,0,1] op_sel_hi:[1,1,0] neg_lo:[0,0,1] neg_hi:[0,0,1]
	v_pk_fma_f32 v[0:1], v[46:47], v[40:41], v[0:1] op_sel:[0,0,1] op_sel_hi:[1,0,0]
	ds_load_2addr_b64 v[44:47], v6 offset0:58 offset1:59
	v_mov_b32_e32 v3, v1
	s_delay_alu instid0(VALU_DEP_1) | instskip(SKIP_2) | instid1(VALU_DEP_1)
	v_pk_add_f32 v[242:243], v[242:243], v[2:3] neg_lo:[0,1] neg_hi:[0,1]
	s_wait_dscnt 0x0
	v_dual_mul_f32 v2, v45, v40 :: v_dual_mul_f32 v0, v45, v43
	v_pk_fma_f32 v[2:3], v[44:45], v[166:167], v[2:3] op_sel:[1,0,0] op_sel_hi:[0,1,0]
	s_delay_alu instid0(VALU_DEP_2) | instskip(NEXT) | instid1(VALU_DEP_2)
	v_pk_fma_f32 v[0:1], v[44:45], v[166:167], v[0:1] op_sel_hi:[1,1,0] neg_lo:[0,0,1] neg_hi:[0,0,1]
	v_mov_b32_e32 v1, v3
	s_delay_alu instid0(VALU_DEP_1) | instskip(SKIP_1) | instid1(VALU_DEP_1)
	v_pk_add_f32 v[246:247], v[246:247], v[0:1] neg_lo:[0,1] neg_hi:[0,1]
	v_pk_mul_f32 v[0:1], v[46:47], v[42:43] op_sel:[0,1]
	v_pk_fma_f32 v[2:3], v[46:47], v[40:41], v[0:1] op_sel:[0,0,1] op_sel_hi:[1,1,0] neg_lo:[0,0,1] neg_hi:[0,0,1]
	v_pk_fma_f32 v[0:1], v[46:47], v[40:41], v[0:1] op_sel:[0,0,1] op_sel_hi:[1,0,0]
	ds_load_2addr_b64 v[44:47], v6 offset0:60 offset1:61
	v_mov_b32_e32 v3, v1
	s_delay_alu instid0(VALU_DEP_1) | instskip(SKIP_2) | instid1(VALU_DEP_1)
	v_pk_add_f32 v[240:241], v[240:241], v[2:3] neg_lo:[0,1] neg_hi:[0,1]
	s_wait_dscnt 0x0
	v_pk_mul_f32 v[0:1], v[44:45], v[42:43] op_sel:[0,1]
	v_pk_fma_f32 v[2:3], v[44:45], v[40:41], v[0:1] op_sel:[0,0,1] op_sel_hi:[1,1,0] neg_lo:[0,0,1] neg_hi:[0,0,1]
	v_pk_fma_f32 v[0:1], v[44:45], v[40:41], v[0:1] op_sel:[0,0,1] op_sel_hi:[1,0,0]
	s_delay_alu instid0(VALU_DEP_1) | instskip(SKIP_1) | instid1(VALU_DEP_2)
	v_mov_b32_e32 v3, v1
	v_pk_mul_f32 v[0:1], v[46:47], v[42:43] op_sel:[0,1]
	v_pk_add_f32 v[244:245], v[244:245], v[2:3] neg_lo:[0,1] neg_hi:[0,1]
	s_delay_alu instid0(VALU_DEP_2) | instskip(SKIP_1) | instid1(VALU_DEP_1)
	v_pk_fma_f32 v[2:3], v[46:47], v[40:41], v[0:1] op_sel:[0,0,1] op_sel_hi:[1,1,0] neg_lo:[0,0,1] neg_hi:[0,0,1]
	v_pk_fma_f32 v[0:1], v[46:47], v[40:41], v[0:1] op_sel:[0,0,1] op_sel_hi:[1,0,0]
	v_mov_b32_e32 v3, v1
	ds_load_b64 v[0:1], v6 offset:496
	v_pk_add_f32 v[250:251], v[250:251], v[2:3] neg_lo:[0,1] neg_hi:[0,1]
	s_wait_dscnt 0x0
	v_pk_mul_f32 v[2:3], v[0:1], v[42:43] op_sel:[0,1]
	s_delay_alu instid0(VALU_DEP_1) | instskip(SKIP_1) | instid1(VALU_DEP_1)
	v_pk_fma_f32 v[42:43], v[0:1], v[40:41], v[2:3] op_sel:[0,0,1] op_sel_hi:[1,1,0] neg_lo:[0,0,1] neg_hi:[0,0,1]
	v_pk_fma_f32 v[0:1], v[0:1], v[40:41], v[2:3] op_sel:[0,0,1] op_sel_hi:[1,0,0]
	v_mov_b32_e32 v43, v1
	s_delay_alu instid0(VALU_DEP_1)
	v_pk_add_f32 v[252:253], v[252:253], v[42:43] neg_lo:[0,1] neg_hi:[0,1]
.LBB125_181:
	s_or_b32 exec_lo, exec_lo, s1
	s_delay_alu instid0(SALU_CYCLE_1)
	s_mov_b32 s2, exec_lo
	s_wait_dscnt 0x0
	s_barrier_signal -1
	s_barrier_wait -1
	v_cmpx_eq_u32_e32 20, v254
	s_cbranch_execz .LBB125_188
; %bb.182:
	ds_store_b64 v255, v[168:169]
	ds_store_2addr_b64 v6, v[170:171], v[172:173] offset0:21 offset1:22
	ds_store_2addr_b64 v6, v[174:175], v[176:177] offset0:23 offset1:24
	;; [unrolled: 1-line block ×21, first 2 shown]
	ds_load_b64 v[40:41], v255
	s_wait_dscnt 0x0
	v_cmp_neq_f32_e32 vcc_lo, 0, v40
	v_cmp_neq_f32_e64 s1, 0, v41
	s_or_b32 s1, vcc_lo, s1
	s_delay_alu instid0(SALU_CYCLE_1)
	s_and_b32 exec_lo, exec_lo, s1
	s_cbranch_execz .LBB125_188
; %bb.183:
	v_cmp_ngt_f32_e64 s1, |v40|, |v41|
                                        ; implicit-def: $vgpr42_vgpr43
	s_and_saveexec_b32 s4, s1
	s_delay_alu instid0(SALU_CYCLE_1)
	s_xor_b32 s1, exec_lo, s4
	s_cbranch_execz .LBB125_185
; %bb.184:
	v_div_scale_f32 v0, null, v41, v41, v40
	v_div_scale_f32 v3, vcc_lo, v40, v41, v40
	s_delay_alu instid0(VALU_DEP_2) | instskip(SKIP_1) | instid1(TRANS32_DEP_1)
	v_rcp_f32_e32 v1, v0
	v_nop
	v_fma_f32 v2, -v0, v1, 1.0
	s_delay_alu instid0(VALU_DEP_1) | instskip(NEXT) | instid1(VALU_DEP_1)
	v_fmac_f32_e32 v1, v2, v1
	v_mul_f32_e32 v2, v3, v1
	s_delay_alu instid0(VALU_DEP_1) | instskip(NEXT) | instid1(VALU_DEP_1)
	v_fma_f32 v4, -v0, v2, v3
	v_fmac_f32_e32 v2, v4, v1
	s_delay_alu instid0(VALU_DEP_1) | instskip(NEXT) | instid1(VALU_DEP_1)
	v_fma_f32 v0, -v0, v2, v3
	v_div_fmas_f32 v0, v0, v1, v2
	s_delay_alu instid0(VALU_DEP_1) | instskip(NEXT) | instid1(VALU_DEP_1)
	v_div_fixup_f32 v0, v0, v41, v40
	v_fmac_f32_e32 v41, v40, v0
	s_delay_alu instid0(VALU_DEP_1) | instskip(SKIP_1) | instid1(VALU_DEP_2)
	v_div_scale_f32 v1, null, v41, v41, 1.0
	v_div_scale_f32 v4, vcc_lo, 1.0, v41, 1.0
	v_rcp_f32_e32 v2, v1
	v_nop
	s_delay_alu instid0(TRANS32_DEP_1) | instskip(NEXT) | instid1(VALU_DEP_1)
	v_fma_f32 v3, -v1, v2, 1.0
	v_fmac_f32_e32 v2, v3, v2
	s_delay_alu instid0(VALU_DEP_1) | instskip(NEXT) | instid1(VALU_DEP_1)
	v_mul_f32_e32 v3, v4, v2
	v_fma_f32 v5, -v1, v3, v4
	s_delay_alu instid0(VALU_DEP_1) | instskip(NEXT) | instid1(VALU_DEP_1)
	v_fmac_f32_e32 v3, v5, v2
	v_fma_f32 v1, -v1, v3, v4
	s_delay_alu instid0(VALU_DEP_1) | instskip(NEXT) | instid1(VALU_DEP_1)
	v_div_fmas_f32 v1, v1, v2, v3
	v_div_fixup_f32 v1, v1, v41, 1.0
                                        ; implicit-def: $vgpr40_vgpr41
	s_delay_alu instid0(VALU_DEP_1)
	v_mul_f32_e32 v42, v0, v1
	v_xor_b32_e32 v43, 0x80000000, v1
.LBB125_185:
	s_and_not1_saveexec_b32 s1, s1
	s_cbranch_execz .LBB125_187
; %bb.186:
	v_div_scale_f32 v0, null, v40, v40, v41
	v_div_scale_f32 v3, vcc_lo, v41, v40, v41
	s_delay_alu instid0(VALU_DEP_2) | instskip(SKIP_1) | instid1(TRANS32_DEP_1)
	v_rcp_f32_e32 v1, v0
	v_nop
	v_fma_f32 v2, -v0, v1, 1.0
	s_delay_alu instid0(VALU_DEP_1) | instskip(NEXT) | instid1(VALU_DEP_1)
	v_fmac_f32_e32 v1, v2, v1
	v_mul_f32_e32 v2, v3, v1
	s_delay_alu instid0(VALU_DEP_1) | instskip(NEXT) | instid1(VALU_DEP_1)
	v_fma_f32 v4, -v0, v2, v3
	v_fmac_f32_e32 v2, v4, v1
	s_delay_alu instid0(VALU_DEP_1) | instskip(NEXT) | instid1(VALU_DEP_1)
	v_fma_f32 v0, -v0, v2, v3
	v_div_fmas_f32 v0, v0, v1, v2
	s_delay_alu instid0(VALU_DEP_1) | instskip(NEXT) | instid1(VALU_DEP_1)
	v_div_fixup_f32 v0, v0, v40, v41
	v_fmac_f32_e32 v40, v41, v0
	s_delay_alu instid0(VALU_DEP_1) | instskip(NEXT) | instid1(VALU_DEP_1)
	v_div_scale_f32 v1, null, v40, v40, 1.0
	v_rcp_f32_e32 v2, v1
	v_nop
	s_delay_alu instid0(TRANS32_DEP_1) | instskip(NEXT) | instid1(VALU_DEP_1)
	v_fma_f32 v3, -v1, v2, 1.0
	v_fmac_f32_e32 v2, v3, v2
	v_div_scale_f32 v3, vcc_lo, 1.0, v40, 1.0
	s_delay_alu instid0(VALU_DEP_1) | instskip(NEXT) | instid1(VALU_DEP_1)
	v_mul_f32_e32 v4, v3, v2
	v_fma_f32 v5, -v1, v4, v3
	s_delay_alu instid0(VALU_DEP_1) | instskip(NEXT) | instid1(VALU_DEP_1)
	v_fmac_f32_e32 v4, v5, v2
	v_fma_f32 v1, -v1, v4, v3
	s_delay_alu instid0(VALU_DEP_1) | instskip(NEXT) | instid1(VALU_DEP_1)
	v_div_fmas_f32 v1, v1, v2, v4
	v_div_fixup_f32 v42, v1, v40, 1.0
	s_delay_alu instid0(VALU_DEP_1)
	v_mul_f32_e64 v43, v0, -v42
.LBB125_187:
	s_or_b32 exec_lo, exec_lo, s1
	ds_store_b64 v255, v[42:43]
.LBB125_188:
	s_or_b32 exec_lo, exec_lo, s2
	s_wait_dscnt 0x0
	s_barrier_signal -1
	s_barrier_wait -1
	ds_load_b64 v[40:41], v255
	s_mov_b32 s1, exec_lo
	v_cmpx_lt_u32_e32 20, v254
	s_cbranch_execz .LBB125_190
; %bb.189:
	ds_load_2addr_b64 v[46:49], v6 offset0:21 offset1:22
	s_wait_dscnt 0x1
	v_pk_mul_f32 v[0:1], v[40:41], v[168:169] op_sel:[1,1] op_sel_hi:[0,1]
	s_delay_alu instid0(VALU_DEP_1) | instskip(SKIP_1) | instid1(VALU_DEP_1)
	v_pk_fma_f32 v[44:45], v[40:41], v[168:169], v[0:1] op_sel_hi:[1,0,1]
	v_pk_fma_f32 v[42:43], v[40:41], v[168:169], v[0:1] op_sel_hi:[1,0,1] neg_lo:[0,0,1] neg_hi:[0,0,1]
	v_dual_mov_b32 v169, v45 :: v_dual_mov_b32 v168, v42
	s_wait_dscnt 0x0
	s_delay_alu instid0(VALU_DEP_3) | instskip(NEXT) | instid1(VALU_DEP_1)
	v_pk_mul_f32 v[0:1], v[46:47], v[44:45] op_sel:[0,1]
	v_pk_fma_f32 v[2:3], v[46:47], v[42:43], v[0:1] op_sel:[0,0,1] op_sel_hi:[1,1,0] neg_lo:[0,0,1] neg_hi:[0,0,1]
	v_pk_fma_f32 v[0:1], v[46:47], v[42:43], v[0:1] op_sel:[0,0,1] op_sel_hi:[1,0,0]
	s_delay_alu instid0(VALU_DEP_1) | instskip(SKIP_1) | instid1(VALU_DEP_2)
	v_mov_b32_e32 v3, v1
	v_pk_mul_f32 v[0:1], v[48:49], v[44:45] op_sel:[0,1]
	v_pk_add_f32 v[170:171], v[170:171], v[2:3] neg_lo:[0,1] neg_hi:[0,1]
	s_delay_alu instid0(VALU_DEP_2) | instskip(SKIP_3) | instid1(VALU_DEP_1)
	v_pk_fma_f32 v[2:3], v[48:49], v[42:43], v[0:1] op_sel:[0,0,1] op_sel_hi:[1,1,0] neg_lo:[0,0,1] neg_hi:[0,0,1]
	v_pk_fma_f32 v[0:1], v[48:49], v[42:43], v[0:1] op_sel:[0,0,1] op_sel_hi:[1,0,0]
	ds_load_2addr_b64 v[46:49], v6 offset0:23 offset1:24
	v_mov_b32_e32 v3, v1
	v_pk_add_f32 v[172:173], v[172:173], v[2:3] neg_lo:[0,1] neg_hi:[0,1]
	s_wait_dscnt 0x0
	v_pk_mul_f32 v[0:1], v[46:47], v[44:45] op_sel:[0,1]
	s_delay_alu instid0(VALU_DEP_1) | instskip(SKIP_2) | instid1(VALU_DEP_2)
	v_pk_fma_f32 v[2:3], v[46:47], v[42:43], v[0:1] op_sel:[0,0,1] op_sel_hi:[1,1,0] neg_lo:[0,0,1] neg_hi:[0,0,1]
	v_pk_fma_f32 v[0:1], v[46:47], v[42:43], v[0:1] op_sel:[0,0,1] op_sel_hi:[1,0,0]
	v_dual_mov_b32 v0, v49 :: v_dual_mul_f32 v46, v49, v42
	v_dual_mov_b32 v3, v1 :: v_dual_mov_b32 v1, v48
	s_delay_alu instid0(VALU_DEP_1) | instskip(SKIP_1) | instid1(VALU_DEP_3)
	v_pk_add_f32 v[174:175], v[174:175], v[2:3] neg_lo:[0,1] neg_hi:[0,1]
	v_mul_f32_e32 v2, v49, v45
	v_pk_fma_f32 v[0:1], v[0:1], v[168:169], v[46:47] op_sel_hi:[1,1,0]
	s_delay_alu instid0(VALU_DEP_2) | instskip(SKIP_2) | instid1(VALU_DEP_1)
	v_pk_fma_f32 v[2:3], v[48:49], v[168:169], v[2:3] op_sel_hi:[1,1,0] neg_lo:[0,0,1] neg_hi:[0,0,1]
	ds_load_2addr_b64 v[46:49], v6 offset0:25 offset1:26
	v_mov_b32_e32 v3, v1
	v_pk_add_f32 v[176:177], v[176:177], v[2:3] neg_lo:[0,1] neg_hi:[0,1]
	s_wait_dscnt 0x0
	v_pk_mul_f32 v[0:1], v[46:47], v[44:45] op_sel:[0,1]
	s_delay_alu instid0(VALU_DEP_1) | instskip(SKIP_1) | instid1(VALU_DEP_1)
	v_pk_fma_f32 v[2:3], v[46:47], v[42:43], v[0:1] op_sel:[0,0,1] op_sel_hi:[1,1,0] neg_lo:[0,0,1] neg_hi:[0,0,1]
	v_pk_fma_f32 v[0:1], v[46:47], v[42:43], v[0:1] op_sel:[0,0,1] op_sel_hi:[1,0,0]
	v_mov_b32_e32 v3, v1
	v_pk_mul_f32 v[0:1], v[48:49], v[44:45] op_sel:[0,1]
	s_delay_alu instid0(VALU_DEP_2) | instskip(NEXT) | instid1(VALU_DEP_2)
	v_pk_add_f32 v[178:179], v[178:179], v[2:3] neg_lo:[0,1] neg_hi:[0,1]
	v_pk_fma_f32 v[2:3], v[48:49], v[42:43], v[0:1] op_sel:[0,0,1] op_sel_hi:[1,1,0] neg_lo:[0,0,1] neg_hi:[0,0,1]
	v_pk_fma_f32 v[0:1], v[48:49], v[42:43], v[0:1] op_sel:[0,0,1] op_sel_hi:[1,0,0]
	ds_load_2addr_b64 v[46:49], v6 offset0:27 offset1:28
	v_mov_b32_e32 v3, v1
	s_delay_alu instid0(VALU_DEP_1) | instskip(SKIP_2) | instid1(VALU_DEP_1)
	v_pk_add_f32 v[180:181], v[180:181], v[2:3] neg_lo:[0,1] neg_hi:[0,1]
	s_wait_dscnt 0x0
	v_pk_mul_f32 v[0:1], v[46:47], v[44:45] op_sel:[0,1]
	v_pk_fma_f32 v[2:3], v[46:47], v[42:43], v[0:1] op_sel:[0,0,1] op_sel_hi:[1,1,0] neg_lo:[0,0,1] neg_hi:[0,0,1]
	v_pk_fma_f32 v[0:1], v[46:47], v[42:43], v[0:1] op_sel:[0,0,1] op_sel_hi:[1,0,0]
	s_delay_alu instid0(VALU_DEP_1) | instskip(SKIP_1) | instid1(VALU_DEP_2)
	v_mov_b32_e32 v3, v1
	v_pk_mul_f32 v[0:1], v[48:49], v[44:45] op_sel:[0,1]
	v_pk_add_f32 v[182:183], v[182:183], v[2:3] neg_lo:[0,1] neg_hi:[0,1]
	s_delay_alu instid0(VALU_DEP_2) | instskip(SKIP_3) | instid1(VALU_DEP_1)
	v_pk_fma_f32 v[2:3], v[48:49], v[42:43], v[0:1] op_sel:[0,0,1] op_sel_hi:[1,1,0] neg_lo:[0,0,1] neg_hi:[0,0,1]
	v_pk_fma_f32 v[0:1], v[48:49], v[42:43], v[0:1] op_sel:[0,0,1] op_sel_hi:[1,0,0]
	ds_load_2addr_b64 v[46:49], v6 offset0:29 offset1:30
	v_mov_b32_e32 v3, v1
	v_pk_add_f32 v[184:185], v[184:185], v[2:3] neg_lo:[0,1] neg_hi:[0,1]
	s_wait_dscnt 0x0
	v_dual_mul_f32 v2, v47, v42 :: v_dual_mul_f32 v0, v47, v45
	s_delay_alu instid0(VALU_DEP_1) | instskip(NEXT) | instid1(VALU_DEP_2)
	v_pk_fma_f32 v[2:3], v[46:47], v[168:169], v[2:3] op_sel:[1,0,0] op_sel_hi:[0,1,0]
	v_pk_fma_f32 v[0:1], v[46:47], v[168:169], v[0:1] op_sel_hi:[1,1,0] neg_lo:[0,0,1] neg_hi:[0,0,1]
	s_delay_alu instid0(VALU_DEP_2) | instskip(NEXT) | instid1(VALU_DEP_1)
	v_mov_b32_e32 v1, v3
	v_pk_add_f32 v[186:187], v[186:187], v[0:1] neg_lo:[0,1] neg_hi:[0,1]
	v_pk_mul_f32 v[0:1], v[48:49], v[44:45] op_sel:[0,1]
	s_delay_alu instid0(VALU_DEP_1) | instskip(SKIP_3) | instid1(VALU_DEP_1)
	v_pk_fma_f32 v[2:3], v[48:49], v[42:43], v[0:1] op_sel:[0,0,1] op_sel_hi:[1,1,0] neg_lo:[0,0,1] neg_hi:[0,0,1]
	v_pk_fma_f32 v[0:1], v[48:49], v[42:43], v[0:1] op_sel:[0,0,1] op_sel_hi:[1,0,0]
	ds_load_2addr_b64 v[46:49], v6 offset0:31 offset1:32
	v_mov_b32_e32 v3, v1
	v_pk_add_f32 v[188:189], v[188:189], v[2:3] neg_lo:[0,1] neg_hi:[0,1]
	s_wait_dscnt 0x0
	v_pk_mul_f32 v[0:1], v[46:47], v[44:45] op_sel:[0,1]
	s_delay_alu instid0(VALU_DEP_1) | instskip(SKIP_1) | instid1(VALU_DEP_1)
	v_pk_fma_f32 v[2:3], v[46:47], v[42:43], v[0:1] op_sel:[0,0,1] op_sel_hi:[1,1,0] neg_lo:[0,0,1] neg_hi:[0,0,1]
	v_pk_fma_f32 v[0:1], v[46:47], v[42:43], v[0:1] op_sel:[0,0,1] op_sel_hi:[1,0,0]
	v_mov_b32_e32 v3, v1
	v_pk_mul_f32 v[0:1], v[48:49], v[44:45] op_sel:[0,1]
	s_delay_alu instid0(VALU_DEP_2) | instskip(NEXT) | instid1(VALU_DEP_2)
	v_pk_add_f32 v[190:191], v[190:191], v[2:3] neg_lo:[0,1] neg_hi:[0,1]
	v_pk_fma_f32 v[2:3], v[48:49], v[42:43], v[0:1] op_sel:[0,0,1] op_sel_hi:[1,1,0] neg_lo:[0,0,1] neg_hi:[0,0,1]
	v_pk_fma_f32 v[0:1], v[48:49], v[42:43], v[0:1] op_sel:[0,0,1] op_sel_hi:[1,0,0]
	ds_load_2addr_b64 v[46:49], v6 offset0:33 offset1:34
	v_mov_b32_e32 v3, v1
	s_delay_alu instid0(VALU_DEP_1) | instskip(SKIP_2) | instid1(VALU_DEP_1)
	v_pk_add_f32 v[192:193], v[192:193], v[2:3] neg_lo:[0,1] neg_hi:[0,1]
	s_wait_dscnt 0x0
	v_pk_mul_f32 v[0:1], v[46:47], v[44:45] op_sel:[0,1]
	v_pk_fma_f32 v[2:3], v[46:47], v[42:43], v[0:1] op_sel:[0,0,1] op_sel_hi:[1,1,0] neg_lo:[0,0,1] neg_hi:[0,0,1]
	v_pk_fma_f32 v[0:1], v[46:47], v[42:43], v[0:1] op_sel:[0,0,1] op_sel_hi:[1,0,0]
	v_dual_mov_b32 v0, v49 :: v_dual_mul_f32 v46, v49, v42
	s_delay_alu instid0(VALU_DEP_2) | instskip(NEXT) | instid1(VALU_DEP_1)
	v_dual_mov_b32 v3, v1 :: v_dual_mov_b32 v1, v48
	v_pk_add_f32 v[194:195], v[194:195], v[2:3] neg_lo:[0,1] neg_hi:[0,1]
	v_mul_f32_e32 v2, v49, v45
	s_delay_alu instid0(VALU_DEP_3) | instskip(NEXT) | instid1(VALU_DEP_2)
	v_pk_fma_f32 v[0:1], v[0:1], v[168:169], v[46:47] op_sel_hi:[1,1,0]
	v_pk_fma_f32 v[2:3], v[48:49], v[168:169], v[2:3] op_sel_hi:[1,1,0] neg_lo:[0,0,1] neg_hi:[0,0,1]
	ds_load_2addr_b64 v[46:49], v6 offset0:35 offset1:36
	v_mov_b32_e32 v3, v1
	s_delay_alu instid0(VALU_DEP_1) | instskip(SKIP_2) | instid1(VALU_DEP_1)
	v_pk_add_f32 v[196:197], v[196:197], v[2:3] neg_lo:[0,1] neg_hi:[0,1]
	s_wait_dscnt 0x0
	v_pk_mul_f32 v[0:1], v[46:47], v[44:45] op_sel:[0,1]
	v_pk_fma_f32 v[2:3], v[46:47], v[42:43], v[0:1] op_sel:[0,0,1] op_sel_hi:[1,1,0] neg_lo:[0,0,1] neg_hi:[0,0,1]
	v_pk_fma_f32 v[0:1], v[46:47], v[42:43], v[0:1] op_sel:[0,0,1] op_sel_hi:[1,0,0]
	s_delay_alu instid0(VALU_DEP_1) | instskip(SKIP_1) | instid1(VALU_DEP_2)
	v_mov_b32_e32 v3, v1
	v_pk_mul_f32 v[0:1], v[48:49], v[44:45] op_sel:[0,1]
	v_pk_add_f32 v[198:199], v[198:199], v[2:3] neg_lo:[0,1] neg_hi:[0,1]
	s_delay_alu instid0(VALU_DEP_2) | instskip(SKIP_3) | instid1(VALU_DEP_1)
	v_pk_fma_f32 v[2:3], v[48:49], v[42:43], v[0:1] op_sel:[0,0,1] op_sel_hi:[1,1,0] neg_lo:[0,0,1] neg_hi:[0,0,1]
	v_pk_fma_f32 v[0:1], v[48:49], v[42:43], v[0:1] op_sel:[0,0,1] op_sel_hi:[1,0,0]
	ds_load_2addr_b64 v[46:49], v6 offset0:37 offset1:38
	v_mov_b32_e32 v3, v1
	v_pk_add_f32 v[200:201], v[200:201], v[2:3] neg_lo:[0,1] neg_hi:[0,1]
	s_wait_dscnt 0x0
	v_pk_mul_f32 v[0:1], v[46:47], v[44:45] op_sel:[0,1]
	s_delay_alu instid0(VALU_DEP_1) | instskip(SKIP_1) | instid1(VALU_DEP_1)
	v_pk_fma_f32 v[2:3], v[46:47], v[42:43], v[0:1] op_sel:[0,0,1] op_sel_hi:[1,1,0] neg_lo:[0,0,1] neg_hi:[0,0,1]
	v_pk_fma_f32 v[0:1], v[46:47], v[42:43], v[0:1] op_sel:[0,0,1] op_sel_hi:[1,0,0]
	v_mov_b32_e32 v3, v1
	v_pk_mul_f32 v[0:1], v[48:49], v[44:45] op_sel:[0,1]
	s_delay_alu instid0(VALU_DEP_2) | instskip(NEXT) | instid1(VALU_DEP_2)
	v_pk_add_f32 v[202:203], v[202:203], v[2:3] neg_lo:[0,1] neg_hi:[0,1]
	v_pk_fma_f32 v[2:3], v[48:49], v[42:43], v[0:1] op_sel:[0,0,1] op_sel_hi:[1,1,0] neg_lo:[0,0,1] neg_hi:[0,0,1]
	v_pk_fma_f32 v[0:1], v[48:49], v[42:43], v[0:1] op_sel:[0,0,1] op_sel_hi:[1,0,0]
	ds_load_2addr_b64 v[46:49], v6 offset0:39 offset1:40
	v_mov_b32_e32 v3, v1
	s_delay_alu instid0(VALU_DEP_1) | instskip(SKIP_2) | instid1(VALU_DEP_1)
	v_pk_add_f32 v[204:205], v[204:205], v[2:3] neg_lo:[0,1] neg_hi:[0,1]
	s_wait_dscnt 0x0
	v_dual_mul_f32 v2, v47, v42 :: v_dual_mul_f32 v0, v47, v45
	v_pk_fma_f32 v[2:3], v[46:47], v[168:169], v[2:3] op_sel:[1,0,0] op_sel_hi:[0,1,0]
	s_delay_alu instid0(VALU_DEP_2) | instskip(NEXT) | instid1(VALU_DEP_2)
	v_pk_fma_f32 v[0:1], v[46:47], v[168:169], v[0:1] op_sel_hi:[1,1,0] neg_lo:[0,0,1] neg_hi:[0,0,1]
	v_mov_b32_e32 v1, v3
	s_delay_alu instid0(VALU_DEP_1) | instskip(SKIP_1) | instid1(VALU_DEP_1)
	v_pk_add_f32 v[206:207], v[206:207], v[0:1] neg_lo:[0,1] neg_hi:[0,1]
	v_pk_mul_f32 v[0:1], v[48:49], v[44:45] op_sel:[0,1]
	v_pk_fma_f32 v[2:3], v[48:49], v[42:43], v[0:1] op_sel:[0,0,1] op_sel_hi:[1,1,0] neg_lo:[0,0,1] neg_hi:[0,0,1]
	v_pk_fma_f32 v[0:1], v[48:49], v[42:43], v[0:1] op_sel:[0,0,1] op_sel_hi:[1,0,0]
	ds_load_2addr_b64 v[46:49], v6 offset0:41 offset1:42
	v_mov_b32_e32 v3, v1
	s_delay_alu instid0(VALU_DEP_1) | instskip(SKIP_2) | instid1(VALU_DEP_1)
	v_pk_add_f32 v[208:209], v[208:209], v[2:3] neg_lo:[0,1] neg_hi:[0,1]
	s_wait_dscnt 0x0
	v_pk_mul_f32 v[0:1], v[46:47], v[44:45] op_sel:[0,1]
	v_pk_fma_f32 v[2:3], v[46:47], v[42:43], v[0:1] op_sel:[0,0,1] op_sel_hi:[1,1,0] neg_lo:[0,0,1] neg_hi:[0,0,1]
	v_pk_fma_f32 v[0:1], v[46:47], v[42:43], v[0:1] op_sel:[0,0,1] op_sel_hi:[1,0,0]
	s_delay_alu instid0(VALU_DEP_1) | instskip(SKIP_1) | instid1(VALU_DEP_2)
	v_mov_b32_e32 v3, v1
	v_pk_mul_f32 v[0:1], v[48:49], v[44:45] op_sel:[0,1]
	v_pk_add_f32 v[210:211], v[210:211], v[2:3] neg_lo:[0,1] neg_hi:[0,1]
	s_delay_alu instid0(VALU_DEP_2) | instskip(SKIP_3) | instid1(VALU_DEP_1)
	v_pk_fma_f32 v[2:3], v[48:49], v[42:43], v[0:1] op_sel:[0,0,1] op_sel_hi:[1,1,0] neg_lo:[0,0,1] neg_hi:[0,0,1]
	v_pk_fma_f32 v[0:1], v[48:49], v[42:43], v[0:1] op_sel:[0,0,1] op_sel_hi:[1,0,0]
	ds_load_2addr_b64 v[46:49], v6 offset0:43 offset1:44
	v_mov_b32_e32 v3, v1
	v_pk_add_f32 v[212:213], v[212:213], v[2:3] neg_lo:[0,1] neg_hi:[0,1]
	s_wait_dscnt 0x0
	v_pk_mul_f32 v[0:1], v[46:47], v[44:45] op_sel:[0,1]
	s_delay_alu instid0(VALU_DEP_1) | instskip(SKIP_2) | instid1(VALU_DEP_2)
	v_pk_fma_f32 v[2:3], v[46:47], v[42:43], v[0:1] op_sel:[0,0,1] op_sel_hi:[1,1,0] neg_lo:[0,0,1] neg_hi:[0,0,1]
	v_pk_fma_f32 v[0:1], v[46:47], v[42:43], v[0:1] op_sel:[0,0,1] op_sel_hi:[1,0,0]
	v_dual_mov_b32 v0, v49 :: v_dual_mul_f32 v46, v49, v42
	v_dual_mov_b32 v3, v1 :: v_dual_mov_b32 v1, v48
	s_delay_alu instid0(VALU_DEP_1) | instskip(SKIP_1) | instid1(VALU_DEP_3)
	v_pk_add_f32 v[214:215], v[214:215], v[2:3] neg_lo:[0,1] neg_hi:[0,1]
	v_mul_f32_e32 v2, v49, v45
	v_pk_fma_f32 v[0:1], v[0:1], v[168:169], v[46:47] op_sel_hi:[1,1,0]
	s_delay_alu instid0(VALU_DEP_2) | instskip(SKIP_2) | instid1(VALU_DEP_1)
	v_pk_fma_f32 v[2:3], v[48:49], v[168:169], v[2:3] op_sel_hi:[1,1,0] neg_lo:[0,0,1] neg_hi:[0,0,1]
	ds_load_2addr_b64 v[46:49], v6 offset0:45 offset1:46
	v_mov_b32_e32 v3, v1
	v_pk_add_f32 v[216:217], v[216:217], v[2:3] neg_lo:[0,1] neg_hi:[0,1]
	s_wait_dscnt 0x0
	v_pk_mul_f32 v[0:1], v[46:47], v[44:45] op_sel:[0,1]
	s_delay_alu instid0(VALU_DEP_1) | instskip(SKIP_1) | instid1(VALU_DEP_1)
	v_pk_fma_f32 v[2:3], v[46:47], v[42:43], v[0:1] op_sel:[0,0,1] op_sel_hi:[1,1,0] neg_lo:[0,0,1] neg_hi:[0,0,1]
	v_pk_fma_f32 v[0:1], v[46:47], v[42:43], v[0:1] op_sel:[0,0,1] op_sel_hi:[1,0,0]
	v_mov_b32_e32 v3, v1
	v_pk_mul_f32 v[0:1], v[48:49], v[44:45] op_sel:[0,1]
	s_delay_alu instid0(VALU_DEP_2) | instskip(NEXT) | instid1(VALU_DEP_2)
	v_pk_add_f32 v[218:219], v[218:219], v[2:3] neg_lo:[0,1] neg_hi:[0,1]
	v_pk_fma_f32 v[2:3], v[48:49], v[42:43], v[0:1] op_sel:[0,0,1] op_sel_hi:[1,1,0] neg_lo:[0,0,1] neg_hi:[0,0,1]
	v_pk_fma_f32 v[0:1], v[48:49], v[42:43], v[0:1] op_sel:[0,0,1] op_sel_hi:[1,0,0]
	ds_load_2addr_b64 v[46:49], v6 offset0:47 offset1:48
	v_mov_b32_e32 v3, v1
	s_delay_alu instid0(VALU_DEP_1) | instskip(SKIP_2) | instid1(VALU_DEP_1)
	v_pk_add_f32 v[220:221], v[220:221], v[2:3] neg_lo:[0,1] neg_hi:[0,1]
	s_wait_dscnt 0x0
	v_pk_mul_f32 v[0:1], v[46:47], v[44:45] op_sel:[0,1]
	v_pk_fma_f32 v[2:3], v[46:47], v[42:43], v[0:1] op_sel:[0,0,1] op_sel_hi:[1,1,0] neg_lo:[0,0,1] neg_hi:[0,0,1]
	v_pk_fma_f32 v[0:1], v[46:47], v[42:43], v[0:1] op_sel:[0,0,1] op_sel_hi:[1,0,0]
	s_delay_alu instid0(VALU_DEP_1) | instskip(SKIP_1) | instid1(VALU_DEP_2)
	v_mov_b32_e32 v3, v1
	v_pk_mul_f32 v[0:1], v[48:49], v[44:45] op_sel:[0,1]
	v_pk_add_f32 v[222:223], v[222:223], v[2:3] neg_lo:[0,1] neg_hi:[0,1]
	s_delay_alu instid0(VALU_DEP_2) | instskip(SKIP_3) | instid1(VALU_DEP_1)
	v_pk_fma_f32 v[2:3], v[48:49], v[42:43], v[0:1] op_sel:[0,0,1] op_sel_hi:[1,1,0] neg_lo:[0,0,1] neg_hi:[0,0,1]
	v_pk_fma_f32 v[0:1], v[48:49], v[42:43], v[0:1] op_sel:[0,0,1] op_sel_hi:[1,0,0]
	ds_load_2addr_b64 v[46:49], v6 offset0:49 offset1:50
	v_mov_b32_e32 v3, v1
	v_pk_add_f32 v[224:225], v[224:225], v[2:3] neg_lo:[0,1] neg_hi:[0,1]
	s_wait_dscnt 0x0
	v_dual_mul_f32 v2, v47, v42 :: v_dual_mul_f32 v0, v47, v45
	s_delay_alu instid0(VALU_DEP_1) | instskip(NEXT) | instid1(VALU_DEP_2)
	v_pk_fma_f32 v[2:3], v[46:47], v[168:169], v[2:3] op_sel:[1,0,0] op_sel_hi:[0,1,0]
	v_pk_fma_f32 v[0:1], v[46:47], v[168:169], v[0:1] op_sel_hi:[1,1,0] neg_lo:[0,0,1] neg_hi:[0,0,1]
	s_delay_alu instid0(VALU_DEP_2) | instskip(NEXT) | instid1(VALU_DEP_1)
	v_mov_b32_e32 v1, v3
	v_pk_add_f32 v[226:227], v[226:227], v[0:1] neg_lo:[0,1] neg_hi:[0,1]
	v_pk_mul_f32 v[0:1], v[48:49], v[44:45] op_sel:[0,1]
	s_delay_alu instid0(VALU_DEP_1) | instskip(SKIP_3) | instid1(VALU_DEP_1)
	v_pk_fma_f32 v[2:3], v[48:49], v[42:43], v[0:1] op_sel:[0,0,1] op_sel_hi:[1,1,0] neg_lo:[0,0,1] neg_hi:[0,0,1]
	v_pk_fma_f32 v[0:1], v[48:49], v[42:43], v[0:1] op_sel:[0,0,1] op_sel_hi:[1,0,0]
	ds_load_2addr_b64 v[46:49], v6 offset0:51 offset1:52
	v_mov_b32_e32 v3, v1
	v_pk_add_f32 v[228:229], v[228:229], v[2:3] neg_lo:[0,1] neg_hi:[0,1]
	s_wait_dscnt 0x0
	v_pk_mul_f32 v[0:1], v[46:47], v[44:45] op_sel:[0,1]
	s_delay_alu instid0(VALU_DEP_1) | instskip(SKIP_1) | instid1(VALU_DEP_1)
	v_pk_fma_f32 v[2:3], v[46:47], v[42:43], v[0:1] op_sel:[0,0,1] op_sel_hi:[1,1,0] neg_lo:[0,0,1] neg_hi:[0,0,1]
	v_pk_fma_f32 v[0:1], v[46:47], v[42:43], v[0:1] op_sel:[0,0,1] op_sel_hi:[1,0,0]
	v_mov_b32_e32 v3, v1
	v_pk_mul_f32 v[0:1], v[48:49], v[44:45] op_sel:[0,1]
	s_delay_alu instid0(VALU_DEP_2) | instskip(NEXT) | instid1(VALU_DEP_2)
	v_pk_add_f32 v[230:231], v[230:231], v[2:3] neg_lo:[0,1] neg_hi:[0,1]
	v_pk_fma_f32 v[2:3], v[48:49], v[42:43], v[0:1] op_sel:[0,0,1] op_sel_hi:[1,1,0] neg_lo:[0,0,1] neg_hi:[0,0,1]
	v_pk_fma_f32 v[0:1], v[48:49], v[42:43], v[0:1] op_sel:[0,0,1] op_sel_hi:[1,0,0]
	ds_load_2addr_b64 v[46:49], v6 offset0:53 offset1:54
	v_mov_b32_e32 v3, v1
	s_delay_alu instid0(VALU_DEP_1) | instskip(SKIP_2) | instid1(VALU_DEP_1)
	v_pk_add_f32 v[232:233], v[232:233], v[2:3] neg_lo:[0,1] neg_hi:[0,1]
	s_wait_dscnt 0x0
	v_pk_mul_f32 v[0:1], v[46:47], v[44:45] op_sel:[0,1]
	v_pk_fma_f32 v[2:3], v[46:47], v[42:43], v[0:1] op_sel:[0,0,1] op_sel_hi:[1,1,0] neg_lo:[0,0,1] neg_hi:[0,0,1]
	v_pk_fma_f32 v[0:1], v[46:47], v[42:43], v[0:1] op_sel:[0,0,1] op_sel_hi:[1,0,0]
	v_dual_mov_b32 v0, v49 :: v_dual_mul_f32 v46, v49, v42
	s_delay_alu instid0(VALU_DEP_2) | instskip(NEXT) | instid1(VALU_DEP_1)
	v_dual_mov_b32 v3, v1 :: v_dual_mov_b32 v1, v48
	v_pk_add_f32 v[234:235], v[234:235], v[2:3] neg_lo:[0,1] neg_hi:[0,1]
	v_mul_f32_e32 v2, v49, v45
	s_delay_alu instid0(VALU_DEP_3) | instskip(NEXT) | instid1(VALU_DEP_2)
	v_pk_fma_f32 v[0:1], v[0:1], v[168:169], v[46:47] op_sel_hi:[1,1,0]
	v_pk_fma_f32 v[2:3], v[48:49], v[168:169], v[2:3] op_sel_hi:[1,1,0] neg_lo:[0,0,1] neg_hi:[0,0,1]
	ds_load_2addr_b64 v[46:49], v6 offset0:55 offset1:56
	v_mov_b32_e32 v3, v1
	s_delay_alu instid0(VALU_DEP_1) | instskip(SKIP_2) | instid1(VALU_DEP_1)
	v_pk_add_f32 v[236:237], v[236:237], v[2:3] neg_lo:[0,1] neg_hi:[0,1]
	s_wait_dscnt 0x0
	v_pk_mul_f32 v[0:1], v[46:47], v[44:45] op_sel:[0,1]
	v_pk_fma_f32 v[2:3], v[46:47], v[42:43], v[0:1] op_sel:[0,0,1] op_sel_hi:[1,1,0] neg_lo:[0,0,1] neg_hi:[0,0,1]
	v_pk_fma_f32 v[0:1], v[46:47], v[42:43], v[0:1] op_sel:[0,0,1] op_sel_hi:[1,0,0]
	s_delay_alu instid0(VALU_DEP_1) | instskip(SKIP_1) | instid1(VALU_DEP_2)
	v_mov_b32_e32 v3, v1
	v_pk_mul_f32 v[0:1], v[48:49], v[44:45] op_sel:[0,1]
	v_pk_add_f32 v[238:239], v[238:239], v[2:3] neg_lo:[0,1] neg_hi:[0,1]
	s_delay_alu instid0(VALU_DEP_2) | instskip(SKIP_3) | instid1(VALU_DEP_1)
	v_pk_fma_f32 v[2:3], v[48:49], v[42:43], v[0:1] op_sel:[0,0,1] op_sel_hi:[1,1,0] neg_lo:[0,0,1] neg_hi:[0,0,1]
	v_pk_fma_f32 v[0:1], v[48:49], v[42:43], v[0:1] op_sel:[0,0,1] op_sel_hi:[1,0,0]
	ds_load_2addr_b64 v[46:49], v6 offset0:57 offset1:58
	v_mov_b32_e32 v3, v1
	v_pk_add_f32 v[248:249], v[248:249], v[2:3] neg_lo:[0,1] neg_hi:[0,1]
	s_wait_dscnt 0x0
	v_pk_mul_f32 v[0:1], v[46:47], v[44:45] op_sel:[0,1]
	s_delay_alu instid0(VALU_DEP_1) | instskip(SKIP_1) | instid1(VALU_DEP_1)
	v_pk_fma_f32 v[2:3], v[46:47], v[42:43], v[0:1] op_sel:[0,0,1] op_sel_hi:[1,1,0] neg_lo:[0,0,1] neg_hi:[0,0,1]
	v_pk_fma_f32 v[0:1], v[46:47], v[42:43], v[0:1] op_sel:[0,0,1] op_sel_hi:[1,0,0]
	v_mov_b32_e32 v3, v1
	v_pk_mul_f32 v[0:1], v[48:49], v[44:45] op_sel:[0,1]
	s_delay_alu instid0(VALU_DEP_2) | instskip(NEXT) | instid1(VALU_DEP_2)
	v_pk_add_f32 v[242:243], v[242:243], v[2:3] neg_lo:[0,1] neg_hi:[0,1]
	v_pk_fma_f32 v[2:3], v[48:49], v[42:43], v[0:1] op_sel:[0,0,1] op_sel_hi:[1,1,0] neg_lo:[0,0,1] neg_hi:[0,0,1]
	v_pk_fma_f32 v[0:1], v[48:49], v[42:43], v[0:1] op_sel:[0,0,1] op_sel_hi:[1,0,0]
	ds_load_2addr_b64 v[46:49], v6 offset0:59 offset1:60
	v_mov_b32_e32 v3, v1
	s_delay_alu instid0(VALU_DEP_1) | instskip(SKIP_2) | instid1(VALU_DEP_1)
	v_pk_add_f32 v[246:247], v[246:247], v[2:3] neg_lo:[0,1] neg_hi:[0,1]
	s_wait_dscnt 0x0
	v_dual_mul_f32 v2, v47, v42 :: v_dual_mul_f32 v0, v47, v45
	v_pk_fma_f32 v[2:3], v[46:47], v[168:169], v[2:3] op_sel:[1,0,0] op_sel_hi:[0,1,0]
	s_delay_alu instid0(VALU_DEP_2) | instskip(NEXT) | instid1(VALU_DEP_2)
	v_pk_fma_f32 v[0:1], v[46:47], v[168:169], v[0:1] op_sel_hi:[1,1,0] neg_lo:[0,0,1] neg_hi:[0,0,1]
	v_mov_b32_e32 v1, v3
	s_delay_alu instid0(VALU_DEP_1) | instskip(SKIP_1) | instid1(VALU_DEP_1)
	v_pk_add_f32 v[240:241], v[240:241], v[0:1] neg_lo:[0,1] neg_hi:[0,1]
	v_pk_mul_f32 v[0:1], v[48:49], v[44:45] op_sel:[0,1]
	v_pk_fma_f32 v[2:3], v[48:49], v[42:43], v[0:1] op_sel:[0,0,1] op_sel_hi:[1,1,0] neg_lo:[0,0,1] neg_hi:[0,0,1]
	v_pk_fma_f32 v[0:1], v[48:49], v[42:43], v[0:1] op_sel:[0,0,1] op_sel_hi:[1,0,0]
	ds_load_2addr_b64 v[46:49], v6 offset0:61 offset1:62
	v_mov_b32_e32 v3, v1
	s_delay_alu instid0(VALU_DEP_1) | instskip(SKIP_2) | instid1(VALU_DEP_1)
	v_pk_add_f32 v[244:245], v[244:245], v[2:3] neg_lo:[0,1] neg_hi:[0,1]
	s_wait_dscnt 0x0
	v_pk_mul_f32 v[0:1], v[46:47], v[44:45] op_sel:[0,1]
	v_pk_fma_f32 v[2:3], v[46:47], v[42:43], v[0:1] op_sel:[0,0,1] op_sel_hi:[1,1,0] neg_lo:[0,0,1] neg_hi:[0,0,1]
	v_pk_fma_f32 v[0:1], v[46:47], v[42:43], v[0:1] op_sel:[0,0,1] op_sel_hi:[1,0,0]
	v_dual_mov_b32 v0, v49 :: v_dual_mul_f32 v42, v49, v42
	s_delay_alu instid0(VALU_DEP_2) | instskip(NEXT) | instid1(VALU_DEP_1)
	v_dual_mov_b32 v3, v1 :: v_dual_mov_b32 v1, v48
	v_pk_add_f32 v[250:251], v[250:251], v[2:3] neg_lo:[0,1] neg_hi:[0,1]
	v_mul_f32_e32 v2, v49, v45
	s_delay_alu instid0(VALU_DEP_3) | instskip(NEXT) | instid1(VALU_DEP_2)
	v_pk_fma_f32 v[0:1], v[0:1], v[168:169], v[42:43] op_sel_hi:[1,1,0]
	v_pk_fma_f32 v[2:3], v[48:49], v[168:169], v[2:3] op_sel_hi:[1,1,0] neg_lo:[0,0,1] neg_hi:[0,0,1]
	s_delay_alu instid0(VALU_DEP_2) | instskip(NEXT) | instid1(VALU_DEP_1)
	v_mov_b32_e32 v3, v1
	v_pk_add_f32 v[252:253], v[252:253], v[2:3] neg_lo:[0,1] neg_hi:[0,1]
.LBB125_190:
	s_or_b32 exec_lo, exec_lo, s1
	s_delay_alu instid0(SALU_CYCLE_1)
	s_mov_b32 s2, exec_lo
	s_wait_dscnt 0x0
	s_barrier_signal -1
	s_barrier_wait -1
	v_cmpx_eq_u32_e32 21, v254
	s_cbranch_execz .LBB125_197
; %bb.191:
	v_dual_mov_b32 v0, v172 :: v_dual_mov_b32 v1, v173
	v_dual_mov_b32 v2, v174 :: v_dual_mov_b32 v3, v175
	ds_store_b64 v255, v[170:171]
	ds_store_2addr_b64 v6, v[0:1], v[2:3] offset0:22 offset1:23
	v_dual_mov_b32 v0, v176 :: v_dual_mov_b32 v1, v177
	v_dual_mov_b32 v2, v178 :: v_dual_mov_b32 v3, v179
	ds_store_2addr_b64 v6, v[0:1], v[2:3] offset0:24 offset1:25
	v_dual_mov_b32 v0, v180 :: v_dual_mov_b32 v1, v181
	v_dual_mov_b32 v2, v182 :: v_dual_mov_b32 v3, v183
	;; [unrolled: 3-line block ×19, first 2 shown]
	ds_store_2addr_b64 v6, v[0:1], v[2:3] offset0:60 offset1:61
	ds_store_b64 v6, v[252:253] offset:496
	ds_load_b64 v[42:43], v255
	s_wait_dscnt 0x0
	v_cmp_neq_f32_e32 vcc_lo, 0, v42
	v_cmp_neq_f32_e64 s1, 0, v43
	s_or_b32 s1, vcc_lo, s1
	s_delay_alu instid0(SALU_CYCLE_1)
	s_and_b32 exec_lo, exec_lo, s1
	s_cbranch_execz .LBB125_197
; %bb.192:
	v_cmp_ngt_f32_e64 s1, |v42|, |v43|
                                        ; implicit-def: $vgpr44_vgpr45
	s_and_saveexec_b32 s4, s1
	s_delay_alu instid0(SALU_CYCLE_1)
	s_xor_b32 s1, exec_lo, s4
	s_cbranch_execz .LBB125_194
; %bb.193:
	v_div_scale_f32 v0, null, v43, v43, v42
	v_div_scale_f32 v3, vcc_lo, v42, v43, v42
	s_delay_alu instid0(VALU_DEP_2) | instskip(SKIP_1) | instid1(TRANS32_DEP_1)
	v_rcp_f32_e32 v1, v0
	v_nop
	v_fma_f32 v2, -v0, v1, 1.0
	s_delay_alu instid0(VALU_DEP_1) | instskip(NEXT) | instid1(VALU_DEP_1)
	v_fmac_f32_e32 v1, v2, v1
	v_mul_f32_e32 v2, v3, v1
	s_delay_alu instid0(VALU_DEP_1) | instskip(NEXT) | instid1(VALU_DEP_1)
	v_fma_f32 v4, -v0, v2, v3
	v_fmac_f32_e32 v2, v4, v1
	s_delay_alu instid0(VALU_DEP_1) | instskip(NEXT) | instid1(VALU_DEP_1)
	v_fma_f32 v0, -v0, v2, v3
	v_div_fmas_f32 v0, v0, v1, v2
	s_delay_alu instid0(VALU_DEP_1) | instskip(NEXT) | instid1(VALU_DEP_1)
	v_div_fixup_f32 v0, v0, v43, v42
	v_fmac_f32_e32 v43, v42, v0
	s_delay_alu instid0(VALU_DEP_1) | instskip(SKIP_1) | instid1(VALU_DEP_2)
	v_div_scale_f32 v1, null, v43, v43, 1.0
	v_div_scale_f32 v4, vcc_lo, 1.0, v43, 1.0
	v_rcp_f32_e32 v2, v1
	v_nop
	s_delay_alu instid0(TRANS32_DEP_1) | instskip(NEXT) | instid1(VALU_DEP_1)
	v_fma_f32 v3, -v1, v2, 1.0
	v_fmac_f32_e32 v2, v3, v2
	s_delay_alu instid0(VALU_DEP_1) | instskip(NEXT) | instid1(VALU_DEP_1)
	v_mul_f32_e32 v3, v4, v2
	v_fma_f32 v5, -v1, v3, v4
	s_delay_alu instid0(VALU_DEP_1) | instskip(NEXT) | instid1(VALU_DEP_1)
	v_fmac_f32_e32 v3, v5, v2
	v_fma_f32 v1, -v1, v3, v4
	s_delay_alu instid0(VALU_DEP_1) | instskip(NEXT) | instid1(VALU_DEP_1)
	v_div_fmas_f32 v1, v1, v2, v3
	v_div_fixup_f32 v1, v1, v43, 1.0
                                        ; implicit-def: $vgpr42_vgpr43
	s_delay_alu instid0(VALU_DEP_1)
	v_mul_f32_e32 v44, v0, v1
	v_xor_b32_e32 v45, 0x80000000, v1
.LBB125_194:
	s_and_not1_saveexec_b32 s1, s1
	s_cbranch_execz .LBB125_196
; %bb.195:
	v_div_scale_f32 v0, null, v42, v42, v43
	v_div_scale_f32 v3, vcc_lo, v43, v42, v43
	s_delay_alu instid0(VALU_DEP_2) | instskip(SKIP_1) | instid1(TRANS32_DEP_1)
	v_rcp_f32_e32 v1, v0
	v_nop
	v_fma_f32 v2, -v0, v1, 1.0
	s_delay_alu instid0(VALU_DEP_1) | instskip(NEXT) | instid1(VALU_DEP_1)
	v_fmac_f32_e32 v1, v2, v1
	v_mul_f32_e32 v2, v3, v1
	s_delay_alu instid0(VALU_DEP_1) | instskip(NEXT) | instid1(VALU_DEP_1)
	v_fma_f32 v4, -v0, v2, v3
	v_fmac_f32_e32 v2, v4, v1
	s_delay_alu instid0(VALU_DEP_1) | instskip(NEXT) | instid1(VALU_DEP_1)
	v_fma_f32 v0, -v0, v2, v3
	v_div_fmas_f32 v0, v0, v1, v2
	s_delay_alu instid0(VALU_DEP_1) | instskip(NEXT) | instid1(VALU_DEP_1)
	v_div_fixup_f32 v0, v0, v42, v43
	v_fmac_f32_e32 v42, v43, v0
	s_delay_alu instid0(VALU_DEP_1) | instskip(NEXT) | instid1(VALU_DEP_1)
	v_div_scale_f32 v1, null, v42, v42, 1.0
	v_rcp_f32_e32 v2, v1
	v_nop
	s_delay_alu instid0(TRANS32_DEP_1) | instskip(NEXT) | instid1(VALU_DEP_1)
	v_fma_f32 v3, -v1, v2, 1.0
	v_fmac_f32_e32 v2, v3, v2
	v_div_scale_f32 v3, vcc_lo, 1.0, v42, 1.0
	s_delay_alu instid0(VALU_DEP_1) | instskip(NEXT) | instid1(VALU_DEP_1)
	v_mul_f32_e32 v4, v3, v2
	v_fma_f32 v5, -v1, v4, v3
	s_delay_alu instid0(VALU_DEP_1) | instskip(NEXT) | instid1(VALU_DEP_1)
	v_fmac_f32_e32 v4, v5, v2
	v_fma_f32 v1, -v1, v4, v3
	s_delay_alu instid0(VALU_DEP_1) | instskip(NEXT) | instid1(VALU_DEP_1)
	v_div_fmas_f32 v1, v1, v2, v4
	v_div_fixup_f32 v44, v1, v42, 1.0
	s_delay_alu instid0(VALU_DEP_1)
	v_mul_f32_e64 v45, v0, -v44
.LBB125_196:
	s_or_b32 exec_lo, exec_lo, s1
	ds_store_b64 v255, v[44:45]
.LBB125_197:
	s_or_b32 exec_lo, exec_lo, s2
	s_wait_dscnt 0x0
	s_barrier_signal -1
	s_barrier_wait -1
	ds_load_b64 v[42:43], v255
	s_mov_b32 s1, exec_lo
	v_cmpx_lt_u32_e32 21, v254
	s_cbranch_execz .LBB125_199
; %bb.198:
	ds_load_2addr_b64 v[48:51], v6 offset0:22 offset1:23
	s_wait_dscnt 0x1
	v_pk_mul_f32 v[0:1], v[42:43], v[170:171] op_sel:[1,1] op_sel_hi:[0,1]
	s_delay_alu instid0(VALU_DEP_1) | instskip(SKIP_1) | instid1(VALU_DEP_1)
	v_pk_fma_f32 v[46:47], v[42:43], v[170:171], v[0:1] op_sel_hi:[1,0,1]
	v_pk_fma_f32 v[44:45], v[42:43], v[170:171], v[0:1] op_sel_hi:[1,0,1] neg_lo:[0,0,1] neg_hi:[0,0,1]
	v_dual_mov_b32 v171, v47 :: v_dual_mov_b32 v170, v44
	s_wait_dscnt 0x0
	s_delay_alu instid0(VALU_DEP_3) | instskip(NEXT) | instid1(VALU_DEP_1)
	v_pk_mul_f32 v[0:1], v[48:49], v[46:47] op_sel:[0,1]
	v_pk_fma_f32 v[2:3], v[48:49], v[44:45], v[0:1] op_sel:[0,0,1] op_sel_hi:[1,1,0] neg_lo:[0,0,1] neg_hi:[0,0,1]
	v_pk_fma_f32 v[0:1], v[48:49], v[44:45], v[0:1] op_sel:[0,0,1] op_sel_hi:[1,0,0]
	s_delay_alu instid0(VALU_DEP_1) | instskip(SKIP_1) | instid1(VALU_DEP_2)
	v_mov_b32_e32 v3, v1
	v_pk_mul_f32 v[0:1], v[50:51], v[46:47] op_sel:[0,1]
	v_pk_add_f32 v[172:173], v[172:173], v[2:3] neg_lo:[0,1] neg_hi:[0,1]
	s_delay_alu instid0(VALU_DEP_2) | instskip(SKIP_3) | instid1(VALU_DEP_1)
	v_pk_fma_f32 v[2:3], v[50:51], v[44:45], v[0:1] op_sel:[0,0,1] op_sel_hi:[1,1,0] neg_lo:[0,0,1] neg_hi:[0,0,1]
	v_pk_fma_f32 v[0:1], v[50:51], v[44:45], v[0:1] op_sel:[0,0,1] op_sel_hi:[1,0,0]
	ds_load_2addr_b64 v[48:51], v6 offset0:24 offset1:25
	v_mov_b32_e32 v3, v1
	v_pk_add_f32 v[174:175], v[174:175], v[2:3] neg_lo:[0,1] neg_hi:[0,1]
	s_wait_dscnt 0x0
	v_pk_mul_f32 v[0:1], v[48:49], v[46:47] op_sel:[0,1]
	s_delay_alu instid0(VALU_DEP_1) | instskip(SKIP_2) | instid1(VALU_DEP_2)
	v_pk_fma_f32 v[2:3], v[48:49], v[44:45], v[0:1] op_sel:[0,0,1] op_sel_hi:[1,1,0] neg_lo:[0,0,1] neg_hi:[0,0,1]
	v_pk_fma_f32 v[0:1], v[48:49], v[44:45], v[0:1] op_sel:[0,0,1] op_sel_hi:[1,0,0]
	v_dual_mov_b32 v0, v51 :: v_dual_mul_f32 v48, v51, v44
	v_dual_mov_b32 v3, v1 :: v_dual_mov_b32 v1, v50
	s_delay_alu instid0(VALU_DEP_1) | instskip(SKIP_1) | instid1(VALU_DEP_3)
	v_pk_add_f32 v[176:177], v[176:177], v[2:3] neg_lo:[0,1] neg_hi:[0,1]
	v_mul_f32_e32 v2, v51, v47
	v_pk_fma_f32 v[0:1], v[0:1], v[170:171], v[48:49] op_sel_hi:[1,1,0]
	s_delay_alu instid0(VALU_DEP_2) | instskip(SKIP_2) | instid1(VALU_DEP_1)
	v_pk_fma_f32 v[2:3], v[50:51], v[170:171], v[2:3] op_sel_hi:[1,1,0] neg_lo:[0,0,1] neg_hi:[0,0,1]
	ds_load_2addr_b64 v[48:51], v6 offset0:26 offset1:27
	v_mov_b32_e32 v3, v1
	v_pk_add_f32 v[178:179], v[178:179], v[2:3] neg_lo:[0,1] neg_hi:[0,1]
	s_wait_dscnt 0x0
	v_pk_mul_f32 v[0:1], v[48:49], v[46:47] op_sel:[0,1]
	s_delay_alu instid0(VALU_DEP_1) | instskip(SKIP_1) | instid1(VALU_DEP_1)
	v_pk_fma_f32 v[2:3], v[48:49], v[44:45], v[0:1] op_sel:[0,0,1] op_sel_hi:[1,1,0] neg_lo:[0,0,1] neg_hi:[0,0,1]
	v_pk_fma_f32 v[0:1], v[48:49], v[44:45], v[0:1] op_sel:[0,0,1] op_sel_hi:[1,0,0]
	v_mov_b32_e32 v3, v1
	v_pk_mul_f32 v[0:1], v[50:51], v[46:47] op_sel:[0,1]
	s_delay_alu instid0(VALU_DEP_2) | instskip(NEXT) | instid1(VALU_DEP_2)
	v_pk_add_f32 v[180:181], v[180:181], v[2:3] neg_lo:[0,1] neg_hi:[0,1]
	v_pk_fma_f32 v[2:3], v[50:51], v[44:45], v[0:1] op_sel:[0,0,1] op_sel_hi:[1,1,0] neg_lo:[0,0,1] neg_hi:[0,0,1]
	v_pk_fma_f32 v[0:1], v[50:51], v[44:45], v[0:1] op_sel:[0,0,1] op_sel_hi:[1,0,0]
	ds_load_2addr_b64 v[48:51], v6 offset0:28 offset1:29
	v_mov_b32_e32 v3, v1
	s_delay_alu instid0(VALU_DEP_1) | instskip(SKIP_2) | instid1(VALU_DEP_1)
	v_pk_add_f32 v[182:183], v[182:183], v[2:3] neg_lo:[0,1] neg_hi:[0,1]
	s_wait_dscnt 0x0
	v_pk_mul_f32 v[0:1], v[48:49], v[46:47] op_sel:[0,1]
	v_pk_fma_f32 v[2:3], v[48:49], v[44:45], v[0:1] op_sel:[0,0,1] op_sel_hi:[1,1,0] neg_lo:[0,0,1] neg_hi:[0,0,1]
	v_pk_fma_f32 v[0:1], v[48:49], v[44:45], v[0:1] op_sel:[0,0,1] op_sel_hi:[1,0,0]
	s_delay_alu instid0(VALU_DEP_1) | instskip(SKIP_1) | instid1(VALU_DEP_2)
	v_mov_b32_e32 v3, v1
	v_pk_mul_f32 v[0:1], v[50:51], v[46:47] op_sel:[0,1]
	v_pk_add_f32 v[184:185], v[184:185], v[2:3] neg_lo:[0,1] neg_hi:[0,1]
	s_delay_alu instid0(VALU_DEP_2) | instskip(SKIP_3) | instid1(VALU_DEP_1)
	v_pk_fma_f32 v[2:3], v[50:51], v[44:45], v[0:1] op_sel:[0,0,1] op_sel_hi:[1,1,0] neg_lo:[0,0,1] neg_hi:[0,0,1]
	v_pk_fma_f32 v[0:1], v[50:51], v[44:45], v[0:1] op_sel:[0,0,1] op_sel_hi:[1,0,0]
	ds_load_2addr_b64 v[48:51], v6 offset0:30 offset1:31
	v_mov_b32_e32 v3, v1
	v_pk_add_f32 v[186:187], v[186:187], v[2:3] neg_lo:[0,1] neg_hi:[0,1]
	s_wait_dscnt 0x0
	v_dual_mul_f32 v0, v49, v47 :: v_dual_mul_f32 v2, v49, v44
	s_delay_alu instid0(VALU_DEP_1) | instskip(NEXT) | instid1(VALU_DEP_2)
	v_pk_fma_f32 v[0:1], v[48:49], v[170:171], v[0:1] op_sel_hi:[1,1,0] neg_lo:[0,0,1] neg_hi:[0,0,1]
	v_pk_fma_f32 v[2:3], v[48:49], v[170:171], v[2:3] op_sel:[1,0,0] op_sel_hi:[0,1,0]
	s_delay_alu instid0(VALU_DEP_1) | instskip(NEXT) | instid1(VALU_DEP_1)
	v_mov_b32_e32 v1, v3
	v_pk_add_f32 v[188:189], v[188:189], v[0:1] neg_lo:[0,1] neg_hi:[0,1]
	v_pk_mul_f32 v[0:1], v[50:51], v[46:47] op_sel:[0,1]
	s_delay_alu instid0(VALU_DEP_1) | instskip(SKIP_3) | instid1(VALU_DEP_1)
	v_pk_fma_f32 v[2:3], v[50:51], v[44:45], v[0:1] op_sel:[0,0,1] op_sel_hi:[1,1,0] neg_lo:[0,0,1] neg_hi:[0,0,1]
	v_pk_fma_f32 v[0:1], v[50:51], v[44:45], v[0:1] op_sel:[0,0,1] op_sel_hi:[1,0,0]
	ds_load_2addr_b64 v[48:51], v6 offset0:32 offset1:33
	v_mov_b32_e32 v3, v1
	v_pk_add_f32 v[190:191], v[190:191], v[2:3] neg_lo:[0,1] neg_hi:[0,1]
	s_wait_dscnt 0x0
	v_pk_mul_f32 v[0:1], v[48:49], v[46:47] op_sel:[0,1]
	s_delay_alu instid0(VALU_DEP_1) | instskip(SKIP_1) | instid1(VALU_DEP_1)
	v_pk_fma_f32 v[2:3], v[48:49], v[44:45], v[0:1] op_sel:[0,0,1] op_sel_hi:[1,1,0] neg_lo:[0,0,1] neg_hi:[0,0,1]
	v_pk_fma_f32 v[0:1], v[48:49], v[44:45], v[0:1] op_sel:[0,0,1] op_sel_hi:[1,0,0]
	v_mov_b32_e32 v3, v1
	v_pk_mul_f32 v[0:1], v[50:51], v[46:47] op_sel:[0,1]
	s_delay_alu instid0(VALU_DEP_2) | instskip(NEXT) | instid1(VALU_DEP_2)
	v_pk_add_f32 v[192:193], v[192:193], v[2:3] neg_lo:[0,1] neg_hi:[0,1]
	v_pk_fma_f32 v[2:3], v[50:51], v[44:45], v[0:1] op_sel:[0,0,1] op_sel_hi:[1,1,0] neg_lo:[0,0,1] neg_hi:[0,0,1]
	v_pk_fma_f32 v[0:1], v[50:51], v[44:45], v[0:1] op_sel:[0,0,1] op_sel_hi:[1,0,0]
	ds_load_2addr_b64 v[48:51], v6 offset0:34 offset1:35
	v_mov_b32_e32 v3, v1
	s_delay_alu instid0(VALU_DEP_1) | instskip(SKIP_2) | instid1(VALU_DEP_1)
	v_pk_add_f32 v[194:195], v[194:195], v[2:3] neg_lo:[0,1] neg_hi:[0,1]
	s_wait_dscnt 0x0
	v_pk_mul_f32 v[0:1], v[48:49], v[46:47] op_sel:[0,1]
	v_pk_fma_f32 v[2:3], v[48:49], v[44:45], v[0:1] op_sel:[0,0,1] op_sel_hi:[1,1,0] neg_lo:[0,0,1] neg_hi:[0,0,1]
	v_pk_fma_f32 v[0:1], v[48:49], v[44:45], v[0:1] op_sel:[0,0,1] op_sel_hi:[1,0,0]
	v_dual_mov_b32 v0, v51 :: v_dual_mul_f32 v48, v51, v44
	s_delay_alu instid0(VALU_DEP_2) | instskip(NEXT) | instid1(VALU_DEP_1)
	v_dual_mov_b32 v3, v1 :: v_dual_mov_b32 v1, v50
	v_pk_add_f32 v[196:197], v[196:197], v[2:3] neg_lo:[0,1] neg_hi:[0,1]
	v_mul_f32_e32 v2, v51, v47
	s_delay_alu instid0(VALU_DEP_3) | instskip(NEXT) | instid1(VALU_DEP_2)
	v_pk_fma_f32 v[0:1], v[0:1], v[170:171], v[48:49] op_sel_hi:[1,1,0]
	v_pk_fma_f32 v[2:3], v[50:51], v[170:171], v[2:3] op_sel_hi:[1,1,0] neg_lo:[0,0,1] neg_hi:[0,0,1]
	ds_load_2addr_b64 v[48:51], v6 offset0:36 offset1:37
	v_mov_b32_e32 v3, v1
	s_delay_alu instid0(VALU_DEP_1) | instskip(SKIP_2) | instid1(VALU_DEP_1)
	v_pk_add_f32 v[198:199], v[198:199], v[2:3] neg_lo:[0,1] neg_hi:[0,1]
	s_wait_dscnt 0x0
	v_pk_mul_f32 v[0:1], v[48:49], v[46:47] op_sel:[0,1]
	v_pk_fma_f32 v[2:3], v[48:49], v[44:45], v[0:1] op_sel:[0,0,1] op_sel_hi:[1,1,0] neg_lo:[0,0,1] neg_hi:[0,0,1]
	v_pk_fma_f32 v[0:1], v[48:49], v[44:45], v[0:1] op_sel:[0,0,1] op_sel_hi:[1,0,0]
	s_delay_alu instid0(VALU_DEP_1) | instskip(SKIP_1) | instid1(VALU_DEP_2)
	v_mov_b32_e32 v3, v1
	v_pk_mul_f32 v[0:1], v[50:51], v[46:47] op_sel:[0,1]
	v_pk_add_f32 v[200:201], v[200:201], v[2:3] neg_lo:[0,1] neg_hi:[0,1]
	s_delay_alu instid0(VALU_DEP_2) | instskip(SKIP_3) | instid1(VALU_DEP_1)
	v_pk_fma_f32 v[2:3], v[50:51], v[44:45], v[0:1] op_sel:[0,0,1] op_sel_hi:[1,1,0] neg_lo:[0,0,1] neg_hi:[0,0,1]
	v_pk_fma_f32 v[0:1], v[50:51], v[44:45], v[0:1] op_sel:[0,0,1] op_sel_hi:[1,0,0]
	ds_load_2addr_b64 v[48:51], v6 offset0:38 offset1:39
	v_mov_b32_e32 v3, v1
	v_pk_add_f32 v[202:203], v[202:203], v[2:3] neg_lo:[0,1] neg_hi:[0,1]
	s_wait_dscnt 0x0
	v_pk_mul_f32 v[0:1], v[48:49], v[46:47] op_sel:[0,1]
	s_delay_alu instid0(VALU_DEP_1) | instskip(SKIP_1) | instid1(VALU_DEP_1)
	v_pk_fma_f32 v[2:3], v[48:49], v[44:45], v[0:1] op_sel:[0,0,1] op_sel_hi:[1,1,0] neg_lo:[0,0,1] neg_hi:[0,0,1]
	v_pk_fma_f32 v[0:1], v[48:49], v[44:45], v[0:1] op_sel:[0,0,1] op_sel_hi:[1,0,0]
	v_mov_b32_e32 v3, v1
	v_pk_mul_f32 v[0:1], v[50:51], v[46:47] op_sel:[0,1]
	s_delay_alu instid0(VALU_DEP_2) | instskip(NEXT) | instid1(VALU_DEP_2)
	v_pk_add_f32 v[204:205], v[204:205], v[2:3] neg_lo:[0,1] neg_hi:[0,1]
	v_pk_fma_f32 v[2:3], v[50:51], v[44:45], v[0:1] op_sel:[0,0,1] op_sel_hi:[1,1,0] neg_lo:[0,0,1] neg_hi:[0,0,1]
	v_pk_fma_f32 v[0:1], v[50:51], v[44:45], v[0:1] op_sel:[0,0,1] op_sel_hi:[1,0,0]
	ds_load_2addr_b64 v[48:51], v6 offset0:40 offset1:41
	v_mov_b32_e32 v3, v1
	s_delay_alu instid0(VALU_DEP_1) | instskip(SKIP_2) | instid1(VALU_DEP_1)
	v_pk_add_f32 v[206:207], v[206:207], v[2:3] neg_lo:[0,1] neg_hi:[0,1]
	s_wait_dscnt 0x0
	v_dual_mul_f32 v2, v49, v44 :: v_dual_mul_f32 v0, v49, v47
	v_pk_fma_f32 v[2:3], v[48:49], v[170:171], v[2:3] op_sel:[1,0,0] op_sel_hi:[0,1,0]
	s_delay_alu instid0(VALU_DEP_2) | instskip(NEXT) | instid1(VALU_DEP_2)
	v_pk_fma_f32 v[0:1], v[48:49], v[170:171], v[0:1] op_sel_hi:[1,1,0] neg_lo:[0,0,1] neg_hi:[0,0,1]
	v_mov_b32_e32 v1, v3
	s_delay_alu instid0(VALU_DEP_1) | instskip(SKIP_1) | instid1(VALU_DEP_1)
	v_pk_add_f32 v[208:209], v[208:209], v[0:1] neg_lo:[0,1] neg_hi:[0,1]
	v_pk_mul_f32 v[0:1], v[50:51], v[46:47] op_sel:[0,1]
	v_pk_fma_f32 v[2:3], v[50:51], v[44:45], v[0:1] op_sel:[0,0,1] op_sel_hi:[1,1,0] neg_lo:[0,0,1] neg_hi:[0,0,1]
	v_pk_fma_f32 v[0:1], v[50:51], v[44:45], v[0:1] op_sel:[0,0,1] op_sel_hi:[1,0,0]
	ds_load_2addr_b64 v[48:51], v6 offset0:42 offset1:43
	v_mov_b32_e32 v3, v1
	s_delay_alu instid0(VALU_DEP_1) | instskip(SKIP_2) | instid1(VALU_DEP_1)
	v_pk_add_f32 v[210:211], v[210:211], v[2:3] neg_lo:[0,1] neg_hi:[0,1]
	s_wait_dscnt 0x0
	v_pk_mul_f32 v[0:1], v[48:49], v[46:47] op_sel:[0,1]
	v_pk_fma_f32 v[2:3], v[48:49], v[44:45], v[0:1] op_sel:[0,0,1] op_sel_hi:[1,1,0] neg_lo:[0,0,1] neg_hi:[0,0,1]
	v_pk_fma_f32 v[0:1], v[48:49], v[44:45], v[0:1] op_sel:[0,0,1] op_sel_hi:[1,0,0]
	s_delay_alu instid0(VALU_DEP_1) | instskip(SKIP_1) | instid1(VALU_DEP_2)
	v_mov_b32_e32 v3, v1
	v_pk_mul_f32 v[0:1], v[50:51], v[46:47] op_sel:[0,1]
	v_pk_add_f32 v[212:213], v[212:213], v[2:3] neg_lo:[0,1] neg_hi:[0,1]
	s_delay_alu instid0(VALU_DEP_2) | instskip(SKIP_3) | instid1(VALU_DEP_1)
	v_pk_fma_f32 v[2:3], v[50:51], v[44:45], v[0:1] op_sel:[0,0,1] op_sel_hi:[1,1,0] neg_lo:[0,0,1] neg_hi:[0,0,1]
	v_pk_fma_f32 v[0:1], v[50:51], v[44:45], v[0:1] op_sel:[0,0,1] op_sel_hi:[1,0,0]
	ds_load_2addr_b64 v[48:51], v6 offset0:44 offset1:45
	v_mov_b32_e32 v3, v1
	v_pk_add_f32 v[214:215], v[214:215], v[2:3] neg_lo:[0,1] neg_hi:[0,1]
	s_wait_dscnt 0x0
	v_pk_mul_f32 v[0:1], v[48:49], v[46:47] op_sel:[0,1]
	s_delay_alu instid0(VALU_DEP_1) | instskip(SKIP_2) | instid1(VALU_DEP_2)
	v_pk_fma_f32 v[2:3], v[48:49], v[44:45], v[0:1] op_sel:[0,0,1] op_sel_hi:[1,1,0] neg_lo:[0,0,1] neg_hi:[0,0,1]
	v_pk_fma_f32 v[0:1], v[48:49], v[44:45], v[0:1] op_sel:[0,0,1] op_sel_hi:[1,0,0]
	v_dual_mov_b32 v0, v51 :: v_dual_mul_f32 v48, v51, v44
	v_dual_mov_b32 v3, v1 :: v_dual_mov_b32 v1, v50
	s_delay_alu instid0(VALU_DEP_1) | instskip(SKIP_1) | instid1(VALU_DEP_3)
	v_pk_add_f32 v[216:217], v[216:217], v[2:3] neg_lo:[0,1] neg_hi:[0,1]
	v_mul_f32_e32 v2, v51, v47
	v_pk_fma_f32 v[0:1], v[0:1], v[170:171], v[48:49] op_sel_hi:[1,1,0]
	s_delay_alu instid0(VALU_DEP_2) | instskip(SKIP_2) | instid1(VALU_DEP_1)
	v_pk_fma_f32 v[2:3], v[50:51], v[170:171], v[2:3] op_sel_hi:[1,1,0] neg_lo:[0,0,1] neg_hi:[0,0,1]
	ds_load_2addr_b64 v[48:51], v6 offset0:46 offset1:47
	v_mov_b32_e32 v3, v1
	v_pk_add_f32 v[218:219], v[218:219], v[2:3] neg_lo:[0,1] neg_hi:[0,1]
	s_wait_dscnt 0x0
	v_pk_mul_f32 v[0:1], v[48:49], v[46:47] op_sel:[0,1]
	s_delay_alu instid0(VALU_DEP_1) | instskip(SKIP_1) | instid1(VALU_DEP_1)
	v_pk_fma_f32 v[2:3], v[48:49], v[44:45], v[0:1] op_sel:[0,0,1] op_sel_hi:[1,1,0] neg_lo:[0,0,1] neg_hi:[0,0,1]
	v_pk_fma_f32 v[0:1], v[48:49], v[44:45], v[0:1] op_sel:[0,0,1] op_sel_hi:[1,0,0]
	v_mov_b32_e32 v3, v1
	v_pk_mul_f32 v[0:1], v[50:51], v[46:47] op_sel:[0,1]
	s_delay_alu instid0(VALU_DEP_2) | instskip(NEXT) | instid1(VALU_DEP_2)
	v_pk_add_f32 v[220:221], v[220:221], v[2:3] neg_lo:[0,1] neg_hi:[0,1]
	v_pk_fma_f32 v[2:3], v[50:51], v[44:45], v[0:1] op_sel:[0,0,1] op_sel_hi:[1,1,0] neg_lo:[0,0,1] neg_hi:[0,0,1]
	v_pk_fma_f32 v[0:1], v[50:51], v[44:45], v[0:1] op_sel:[0,0,1] op_sel_hi:[1,0,0]
	ds_load_2addr_b64 v[48:51], v6 offset0:48 offset1:49
	v_mov_b32_e32 v3, v1
	s_delay_alu instid0(VALU_DEP_1) | instskip(SKIP_2) | instid1(VALU_DEP_1)
	v_pk_add_f32 v[222:223], v[222:223], v[2:3] neg_lo:[0,1] neg_hi:[0,1]
	s_wait_dscnt 0x0
	v_pk_mul_f32 v[0:1], v[48:49], v[46:47] op_sel:[0,1]
	v_pk_fma_f32 v[2:3], v[48:49], v[44:45], v[0:1] op_sel:[0,0,1] op_sel_hi:[1,1,0] neg_lo:[0,0,1] neg_hi:[0,0,1]
	v_pk_fma_f32 v[0:1], v[48:49], v[44:45], v[0:1] op_sel:[0,0,1] op_sel_hi:[1,0,0]
	s_delay_alu instid0(VALU_DEP_1) | instskip(SKIP_1) | instid1(VALU_DEP_2)
	v_mov_b32_e32 v3, v1
	v_pk_mul_f32 v[0:1], v[50:51], v[46:47] op_sel:[0,1]
	v_pk_add_f32 v[224:225], v[224:225], v[2:3] neg_lo:[0,1] neg_hi:[0,1]
	s_delay_alu instid0(VALU_DEP_2) | instskip(SKIP_3) | instid1(VALU_DEP_1)
	v_pk_fma_f32 v[2:3], v[50:51], v[44:45], v[0:1] op_sel:[0,0,1] op_sel_hi:[1,1,0] neg_lo:[0,0,1] neg_hi:[0,0,1]
	v_pk_fma_f32 v[0:1], v[50:51], v[44:45], v[0:1] op_sel:[0,0,1] op_sel_hi:[1,0,0]
	ds_load_2addr_b64 v[48:51], v6 offset0:50 offset1:51
	v_mov_b32_e32 v3, v1
	v_pk_add_f32 v[226:227], v[226:227], v[2:3] neg_lo:[0,1] neg_hi:[0,1]
	s_wait_dscnt 0x0
	v_dual_mul_f32 v0, v49, v47 :: v_dual_mul_f32 v2, v49, v44
	s_delay_alu instid0(VALU_DEP_1) | instskip(NEXT) | instid1(VALU_DEP_2)
	v_pk_fma_f32 v[0:1], v[48:49], v[170:171], v[0:1] op_sel_hi:[1,1,0] neg_lo:[0,0,1] neg_hi:[0,0,1]
	v_pk_fma_f32 v[2:3], v[48:49], v[170:171], v[2:3] op_sel:[1,0,0] op_sel_hi:[0,1,0]
	s_delay_alu instid0(VALU_DEP_1) | instskip(NEXT) | instid1(VALU_DEP_1)
	v_mov_b32_e32 v1, v3
	v_pk_add_f32 v[228:229], v[228:229], v[0:1] neg_lo:[0,1] neg_hi:[0,1]
	v_pk_mul_f32 v[0:1], v[50:51], v[46:47] op_sel:[0,1]
	s_delay_alu instid0(VALU_DEP_1) | instskip(SKIP_3) | instid1(VALU_DEP_1)
	v_pk_fma_f32 v[2:3], v[50:51], v[44:45], v[0:1] op_sel:[0,0,1] op_sel_hi:[1,1,0] neg_lo:[0,0,1] neg_hi:[0,0,1]
	v_pk_fma_f32 v[0:1], v[50:51], v[44:45], v[0:1] op_sel:[0,0,1] op_sel_hi:[1,0,0]
	ds_load_2addr_b64 v[48:51], v6 offset0:52 offset1:53
	v_mov_b32_e32 v3, v1
	v_pk_add_f32 v[230:231], v[230:231], v[2:3] neg_lo:[0,1] neg_hi:[0,1]
	s_wait_dscnt 0x0
	v_pk_mul_f32 v[0:1], v[48:49], v[46:47] op_sel:[0,1]
	s_delay_alu instid0(VALU_DEP_1) | instskip(SKIP_1) | instid1(VALU_DEP_1)
	v_pk_fma_f32 v[2:3], v[48:49], v[44:45], v[0:1] op_sel:[0,0,1] op_sel_hi:[1,1,0] neg_lo:[0,0,1] neg_hi:[0,0,1]
	v_pk_fma_f32 v[0:1], v[48:49], v[44:45], v[0:1] op_sel:[0,0,1] op_sel_hi:[1,0,0]
	v_mov_b32_e32 v3, v1
	v_pk_mul_f32 v[0:1], v[50:51], v[46:47] op_sel:[0,1]
	s_delay_alu instid0(VALU_DEP_2) | instskip(NEXT) | instid1(VALU_DEP_2)
	v_pk_add_f32 v[232:233], v[232:233], v[2:3] neg_lo:[0,1] neg_hi:[0,1]
	v_pk_fma_f32 v[2:3], v[50:51], v[44:45], v[0:1] op_sel:[0,0,1] op_sel_hi:[1,1,0] neg_lo:[0,0,1] neg_hi:[0,0,1]
	v_pk_fma_f32 v[0:1], v[50:51], v[44:45], v[0:1] op_sel:[0,0,1] op_sel_hi:[1,0,0]
	ds_load_2addr_b64 v[48:51], v6 offset0:54 offset1:55
	v_mov_b32_e32 v3, v1
	s_delay_alu instid0(VALU_DEP_1) | instskip(SKIP_2) | instid1(VALU_DEP_1)
	v_pk_add_f32 v[234:235], v[234:235], v[2:3] neg_lo:[0,1] neg_hi:[0,1]
	s_wait_dscnt 0x0
	v_pk_mul_f32 v[0:1], v[48:49], v[46:47] op_sel:[0,1]
	v_pk_fma_f32 v[2:3], v[48:49], v[44:45], v[0:1] op_sel:[0,0,1] op_sel_hi:[1,1,0] neg_lo:[0,0,1] neg_hi:[0,0,1]
	v_pk_fma_f32 v[0:1], v[48:49], v[44:45], v[0:1] op_sel:[0,0,1] op_sel_hi:[1,0,0]
	v_dual_mov_b32 v0, v51 :: v_dual_mul_f32 v48, v51, v44
	s_delay_alu instid0(VALU_DEP_2) | instskip(NEXT) | instid1(VALU_DEP_1)
	v_dual_mov_b32 v3, v1 :: v_dual_mov_b32 v1, v50
	v_pk_add_f32 v[236:237], v[236:237], v[2:3] neg_lo:[0,1] neg_hi:[0,1]
	v_mul_f32_e32 v2, v51, v47
	s_delay_alu instid0(VALU_DEP_3) | instskip(NEXT) | instid1(VALU_DEP_2)
	v_pk_fma_f32 v[0:1], v[0:1], v[170:171], v[48:49] op_sel_hi:[1,1,0]
	v_pk_fma_f32 v[2:3], v[50:51], v[170:171], v[2:3] op_sel_hi:[1,1,0] neg_lo:[0,0,1] neg_hi:[0,0,1]
	ds_load_2addr_b64 v[48:51], v6 offset0:56 offset1:57
	v_mov_b32_e32 v3, v1
	s_delay_alu instid0(VALU_DEP_1) | instskip(SKIP_2) | instid1(VALU_DEP_1)
	v_pk_add_f32 v[238:239], v[238:239], v[2:3] neg_lo:[0,1] neg_hi:[0,1]
	s_wait_dscnt 0x0
	v_pk_mul_f32 v[0:1], v[48:49], v[46:47] op_sel:[0,1]
	v_pk_fma_f32 v[2:3], v[48:49], v[44:45], v[0:1] op_sel:[0,0,1] op_sel_hi:[1,1,0] neg_lo:[0,0,1] neg_hi:[0,0,1]
	v_pk_fma_f32 v[0:1], v[48:49], v[44:45], v[0:1] op_sel:[0,0,1] op_sel_hi:[1,0,0]
	s_delay_alu instid0(VALU_DEP_1) | instskip(SKIP_1) | instid1(VALU_DEP_2)
	v_mov_b32_e32 v3, v1
	v_pk_mul_f32 v[0:1], v[50:51], v[46:47] op_sel:[0,1]
	v_pk_add_f32 v[248:249], v[248:249], v[2:3] neg_lo:[0,1] neg_hi:[0,1]
	s_delay_alu instid0(VALU_DEP_2) | instskip(SKIP_3) | instid1(VALU_DEP_1)
	v_pk_fma_f32 v[2:3], v[50:51], v[44:45], v[0:1] op_sel:[0,0,1] op_sel_hi:[1,1,0] neg_lo:[0,0,1] neg_hi:[0,0,1]
	v_pk_fma_f32 v[0:1], v[50:51], v[44:45], v[0:1] op_sel:[0,0,1] op_sel_hi:[1,0,0]
	ds_load_2addr_b64 v[48:51], v6 offset0:58 offset1:59
	v_mov_b32_e32 v3, v1
	v_pk_add_f32 v[242:243], v[242:243], v[2:3] neg_lo:[0,1] neg_hi:[0,1]
	s_wait_dscnt 0x0
	v_pk_mul_f32 v[0:1], v[48:49], v[46:47] op_sel:[0,1]
	s_delay_alu instid0(VALU_DEP_1) | instskip(SKIP_1) | instid1(VALU_DEP_1)
	v_pk_fma_f32 v[2:3], v[48:49], v[44:45], v[0:1] op_sel:[0,0,1] op_sel_hi:[1,1,0] neg_lo:[0,0,1] neg_hi:[0,0,1]
	v_pk_fma_f32 v[0:1], v[48:49], v[44:45], v[0:1] op_sel:[0,0,1] op_sel_hi:[1,0,0]
	v_mov_b32_e32 v3, v1
	v_pk_mul_f32 v[0:1], v[50:51], v[46:47] op_sel:[0,1]
	s_delay_alu instid0(VALU_DEP_2) | instskip(NEXT) | instid1(VALU_DEP_2)
	v_pk_add_f32 v[246:247], v[246:247], v[2:3] neg_lo:[0,1] neg_hi:[0,1]
	v_pk_fma_f32 v[2:3], v[50:51], v[44:45], v[0:1] op_sel:[0,0,1] op_sel_hi:[1,1,0] neg_lo:[0,0,1] neg_hi:[0,0,1]
	v_pk_fma_f32 v[0:1], v[50:51], v[44:45], v[0:1] op_sel:[0,0,1] op_sel_hi:[1,0,0]
	ds_load_2addr_b64 v[48:51], v6 offset0:60 offset1:61
	v_mov_b32_e32 v3, v1
	s_delay_alu instid0(VALU_DEP_1) | instskip(SKIP_2) | instid1(VALU_DEP_1)
	v_pk_add_f32 v[240:241], v[240:241], v[2:3] neg_lo:[0,1] neg_hi:[0,1]
	s_wait_dscnt 0x0
	v_dual_mul_f32 v2, v49, v44 :: v_dual_mul_f32 v0, v49, v47
	v_pk_fma_f32 v[2:3], v[48:49], v[170:171], v[2:3] op_sel:[1,0,0] op_sel_hi:[0,1,0]
	s_delay_alu instid0(VALU_DEP_2) | instskip(NEXT) | instid1(VALU_DEP_2)
	v_pk_fma_f32 v[0:1], v[48:49], v[170:171], v[0:1] op_sel_hi:[1,1,0] neg_lo:[0,0,1] neg_hi:[0,0,1]
	v_mov_b32_e32 v1, v3
	s_delay_alu instid0(VALU_DEP_1) | instskip(SKIP_1) | instid1(VALU_DEP_1)
	v_pk_add_f32 v[244:245], v[244:245], v[0:1] neg_lo:[0,1] neg_hi:[0,1]
	v_pk_mul_f32 v[0:1], v[50:51], v[46:47] op_sel:[0,1]
	v_pk_fma_f32 v[2:3], v[50:51], v[44:45], v[0:1] op_sel:[0,0,1] op_sel_hi:[1,1,0] neg_lo:[0,0,1] neg_hi:[0,0,1]
	v_pk_fma_f32 v[0:1], v[50:51], v[44:45], v[0:1] op_sel:[0,0,1] op_sel_hi:[1,0,0]
	s_delay_alu instid0(VALU_DEP_1) | instskip(SKIP_4) | instid1(VALU_DEP_1)
	v_mov_b32_e32 v3, v1
	ds_load_b64 v[0:1], v6 offset:496
	v_pk_add_f32 v[250:251], v[250:251], v[2:3] neg_lo:[0,1] neg_hi:[0,1]
	s_wait_dscnt 0x0
	v_pk_mul_f32 v[2:3], v[0:1], v[46:47] op_sel:[0,1]
	v_pk_fma_f32 v[46:47], v[0:1], v[44:45], v[2:3] op_sel:[0,0,1] op_sel_hi:[1,1,0] neg_lo:[0,0,1] neg_hi:[0,0,1]
	v_pk_fma_f32 v[0:1], v[0:1], v[44:45], v[2:3] op_sel:[0,0,1] op_sel_hi:[1,0,0]
	s_delay_alu instid0(VALU_DEP_1) | instskip(NEXT) | instid1(VALU_DEP_1)
	v_mov_b32_e32 v47, v1
	v_pk_add_f32 v[252:253], v[252:253], v[46:47] neg_lo:[0,1] neg_hi:[0,1]
.LBB125_199:
	s_or_b32 exec_lo, exec_lo, s1
	s_delay_alu instid0(SALU_CYCLE_1)
	s_mov_b32 s2, exec_lo
	s_wait_dscnt 0x0
	s_barrier_signal -1
	s_barrier_wait -1
	v_cmpx_eq_u32_e32 22, v254
	s_cbranch_execz .LBB125_206
; %bb.200:
	ds_store_b64 v255, v[172:173]
	ds_store_2addr_b64 v6, v[174:175], v[176:177] offset0:23 offset1:24
	ds_store_2addr_b64 v6, v[178:179], v[180:181] offset0:25 offset1:26
	;; [unrolled: 1-line block ×20, first 2 shown]
	ds_load_b64 v[44:45], v255
	s_wait_dscnt 0x0
	v_cmp_neq_f32_e32 vcc_lo, 0, v44
	v_cmp_neq_f32_e64 s1, 0, v45
	s_or_b32 s1, vcc_lo, s1
	s_delay_alu instid0(SALU_CYCLE_1)
	s_and_b32 exec_lo, exec_lo, s1
	s_cbranch_execz .LBB125_206
; %bb.201:
	v_cmp_ngt_f32_e64 s1, |v44|, |v45|
                                        ; implicit-def: $vgpr46_vgpr47
	s_and_saveexec_b32 s4, s1
	s_delay_alu instid0(SALU_CYCLE_1)
	s_xor_b32 s1, exec_lo, s4
	s_cbranch_execz .LBB125_203
; %bb.202:
	v_div_scale_f32 v0, null, v45, v45, v44
	v_div_scale_f32 v3, vcc_lo, v44, v45, v44
	s_delay_alu instid0(VALU_DEP_2) | instskip(SKIP_1) | instid1(TRANS32_DEP_1)
	v_rcp_f32_e32 v1, v0
	v_nop
	v_fma_f32 v2, -v0, v1, 1.0
	s_delay_alu instid0(VALU_DEP_1) | instskip(NEXT) | instid1(VALU_DEP_1)
	v_fmac_f32_e32 v1, v2, v1
	v_mul_f32_e32 v2, v3, v1
	s_delay_alu instid0(VALU_DEP_1) | instskip(NEXT) | instid1(VALU_DEP_1)
	v_fma_f32 v4, -v0, v2, v3
	v_fmac_f32_e32 v2, v4, v1
	s_delay_alu instid0(VALU_DEP_1) | instskip(NEXT) | instid1(VALU_DEP_1)
	v_fma_f32 v0, -v0, v2, v3
	v_div_fmas_f32 v0, v0, v1, v2
	s_delay_alu instid0(VALU_DEP_1) | instskip(NEXT) | instid1(VALU_DEP_1)
	v_div_fixup_f32 v0, v0, v45, v44
	v_fmac_f32_e32 v45, v44, v0
	s_delay_alu instid0(VALU_DEP_1) | instskip(SKIP_1) | instid1(VALU_DEP_2)
	v_div_scale_f32 v1, null, v45, v45, 1.0
	v_div_scale_f32 v4, vcc_lo, 1.0, v45, 1.0
	v_rcp_f32_e32 v2, v1
	v_nop
	s_delay_alu instid0(TRANS32_DEP_1) | instskip(NEXT) | instid1(VALU_DEP_1)
	v_fma_f32 v3, -v1, v2, 1.0
	v_fmac_f32_e32 v2, v3, v2
	s_delay_alu instid0(VALU_DEP_1) | instskip(NEXT) | instid1(VALU_DEP_1)
	v_mul_f32_e32 v3, v4, v2
	v_fma_f32 v5, -v1, v3, v4
	s_delay_alu instid0(VALU_DEP_1) | instskip(NEXT) | instid1(VALU_DEP_1)
	v_fmac_f32_e32 v3, v5, v2
	v_fma_f32 v1, -v1, v3, v4
	s_delay_alu instid0(VALU_DEP_1) | instskip(NEXT) | instid1(VALU_DEP_1)
	v_div_fmas_f32 v1, v1, v2, v3
	v_div_fixup_f32 v1, v1, v45, 1.0
                                        ; implicit-def: $vgpr44_vgpr45
	s_delay_alu instid0(VALU_DEP_1)
	v_mul_f32_e32 v46, v0, v1
	v_xor_b32_e32 v47, 0x80000000, v1
.LBB125_203:
	s_and_not1_saveexec_b32 s1, s1
	s_cbranch_execz .LBB125_205
; %bb.204:
	v_div_scale_f32 v0, null, v44, v44, v45
	v_div_scale_f32 v3, vcc_lo, v45, v44, v45
	s_delay_alu instid0(VALU_DEP_2) | instskip(SKIP_1) | instid1(TRANS32_DEP_1)
	v_rcp_f32_e32 v1, v0
	v_nop
	v_fma_f32 v2, -v0, v1, 1.0
	s_delay_alu instid0(VALU_DEP_1) | instskip(NEXT) | instid1(VALU_DEP_1)
	v_fmac_f32_e32 v1, v2, v1
	v_mul_f32_e32 v2, v3, v1
	s_delay_alu instid0(VALU_DEP_1) | instskip(NEXT) | instid1(VALU_DEP_1)
	v_fma_f32 v4, -v0, v2, v3
	v_fmac_f32_e32 v2, v4, v1
	s_delay_alu instid0(VALU_DEP_1) | instskip(NEXT) | instid1(VALU_DEP_1)
	v_fma_f32 v0, -v0, v2, v3
	v_div_fmas_f32 v0, v0, v1, v2
	s_delay_alu instid0(VALU_DEP_1) | instskip(NEXT) | instid1(VALU_DEP_1)
	v_div_fixup_f32 v0, v0, v44, v45
	v_fmac_f32_e32 v44, v45, v0
	s_delay_alu instid0(VALU_DEP_1) | instskip(NEXT) | instid1(VALU_DEP_1)
	v_div_scale_f32 v1, null, v44, v44, 1.0
	v_rcp_f32_e32 v2, v1
	v_nop
	s_delay_alu instid0(TRANS32_DEP_1) | instskip(NEXT) | instid1(VALU_DEP_1)
	v_fma_f32 v3, -v1, v2, 1.0
	v_fmac_f32_e32 v2, v3, v2
	v_div_scale_f32 v3, vcc_lo, 1.0, v44, 1.0
	s_delay_alu instid0(VALU_DEP_1) | instskip(NEXT) | instid1(VALU_DEP_1)
	v_mul_f32_e32 v4, v3, v2
	v_fma_f32 v5, -v1, v4, v3
	s_delay_alu instid0(VALU_DEP_1) | instskip(NEXT) | instid1(VALU_DEP_1)
	v_fmac_f32_e32 v4, v5, v2
	v_fma_f32 v1, -v1, v4, v3
	s_delay_alu instid0(VALU_DEP_1) | instskip(NEXT) | instid1(VALU_DEP_1)
	v_div_fmas_f32 v1, v1, v2, v4
	v_div_fixup_f32 v46, v1, v44, 1.0
	s_delay_alu instid0(VALU_DEP_1)
	v_mul_f32_e64 v47, v0, -v46
.LBB125_205:
	s_or_b32 exec_lo, exec_lo, s1
	ds_store_b64 v255, v[46:47]
.LBB125_206:
	s_or_b32 exec_lo, exec_lo, s2
	s_wait_dscnt 0x0
	s_barrier_signal -1
	s_barrier_wait -1
	ds_load_b64 v[44:45], v255
	s_mov_b32 s1, exec_lo
	v_cmpx_lt_u32_e32 22, v254
	s_cbranch_execz .LBB125_208
; %bb.207:
	ds_load_2addr_b64 v[50:53], v6 offset0:23 offset1:24
	s_wait_dscnt 0x1
	v_pk_mul_f32 v[0:1], v[44:45], v[172:173] op_sel:[1,1] op_sel_hi:[0,1]
	s_delay_alu instid0(VALU_DEP_1) | instskip(SKIP_1) | instid1(VALU_DEP_1)
	v_pk_fma_f32 v[48:49], v[44:45], v[172:173], v[0:1] op_sel_hi:[1,0,1]
	v_pk_fma_f32 v[46:47], v[44:45], v[172:173], v[0:1] op_sel_hi:[1,0,1] neg_lo:[0,0,1] neg_hi:[0,0,1]
	v_dual_mov_b32 v173, v49 :: v_dual_mov_b32 v172, v46
	s_wait_dscnt 0x0
	s_delay_alu instid0(VALU_DEP_3) | instskip(NEXT) | instid1(VALU_DEP_1)
	v_pk_mul_f32 v[0:1], v[50:51], v[48:49] op_sel:[0,1]
	v_pk_fma_f32 v[2:3], v[50:51], v[46:47], v[0:1] op_sel:[0,0,1] op_sel_hi:[1,1,0] neg_lo:[0,0,1] neg_hi:[0,0,1]
	v_pk_fma_f32 v[0:1], v[50:51], v[46:47], v[0:1] op_sel:[0,0,1] op_sel_hi:[1,0,0]
	s_delay_alu instid0(VALU_DEP_1) | instskip(SKIP_1) | instid1(VALU_DEP_2)
	v_mov_b32_e32 v3, v1
	v_pk_mul_f32 v[0:1], v[52:53], v[48:49] op_sel:[0,1]
	v_pk_add_f32 v[174:175], v[174:175], v[2:3] neg_lo:[0,1] neg_hi:[0,1]
	s_delay_alu instid0(VALU_DEP_2) | instskip(SKIP_3) | instid1(VALU_DEP_1)
	v_pk_fma_f32 v[2:3], v[52:53], v[46:47], v[0:1] op_sel:[0,0,1] op_sel_hi:[1,1,0] neg_lo:[0,0,1] neg_hi:[0,0,1]
	v_pk_fma_f32 v[0:1], v[52:53], v[46:47], v[0:1] op_sel:[0,0,1] op_sel_hi:[1,0,0]
	ds_load_2addr_b64 v[50:53], v6 offset0:25 offset1:26
	v_mov_b32_e32 v3, v1
	v_pk_add_f32 v[176:177], v[176:177], v[2:3] neg_lo:[0,1] neg_hi:[0,1]
	s_wait_dscnt 0x0
	v_pk_mul_f32 v[0:1], v[50:51], v[48:49] op_sel:[0,1]
	s_delay_alu instid0(VALU_DEP_1) | instskip(SKIP_2) | instid1(VALU_DEP_2)
	v_pk_fma_f32 v[2:3], v[50:51], v[46:47], v[0:1] op_sel:[0,0,1] op_sel_hi:[1,1,0] neg_lo:[0,0,1] neg_hi:[0,0,1]
	v_pk_fma_f32 v[0:1], v[50:51], v[46:47], v[0:1] op_sel:[0,0,1] op_sel_hi:[1,0,0]
	v_dual_mov_b32 v0, v53 :: v_dual_mul_f32 v50, v53, v46
	v_dual_mov_b32 v3, v1 :: v_dual_mov_b32 v1, v52
	s_delay_alu instid0(VALU_DEP_1) | instskip(SKIP_1) | instid1(VALU_DEP_3)
	v_pk_add_f32 v[178:179], v[178:179], v[2:3] neg_lo:[0,1] neg_hi:[0,1]
	v_mul_f32_e32 v2, v53, v49
	v_pk_fma_f32 v[0:1], v[0:1], v[172:173], v[50:51] op_sel_hi:[1,1,0]
	s_delay_alu instid0(VALU_DEP_2) | instskip(SKIP_2) | instid1(VALU_DEP_1)
	v_pk_fma_f32 v[2:3], v[52:53], v[172:173], v[2:3] op_sel_hi:[1,1,0] neg_lo:[0,0,1] neg_hi:[0,0,1]
	ds_load_2addr_b64 v[50:53], v6 offset0:27 offset1:28
	v_mov_b32_e32 v3, v1
	v_pk_add_f32 v[180:181], v[180:181], v[2:3] neg_lo:[0,1] neg_hi:[0,1]
	s_wait_dscnt 0x0
	v_pk_mul_f32 v[0:1], v[50:51], v[48:49] op_sel:[0,1]
	s_delay_alu instid0(VALU_DEP_1) | instskip(SKIP_1) | instid1(VALU_DEP_1)
	v_pk_fma_f32 v[2:3], v[50:51], v[46:47], v[0:1] op_sel:[0,0,1] op_sel_hi:[1,1,0] neg_lo:[0,0,1] neg_hi:[0,0,1]
	v_pk_fma_f32 v[0:1], v[50:51], v[46:47], v[0:1] op_sel:[0,0,1] op_sel_hi:[1,0,0]
	v_mov_b32_e32 v3, v1
	v_pk_mul_f32 v[0:1], v[52:53], v[48:49] op_sel:[0,1]
	s_delay_alu instid0(VALU_DEP_2) | instskip(NEXT) | instid1(VALU_DEP_2)
	v_pk_add_f32 v[182:183], v[182:183], v[2:3] neg_lo:[0,1] neg_hi:[0,1]
	v_pk_fma_f32 v[2:3], v[52:53], v[46:47], v[0:1] op_sel:[0,0,1] op_sel_hi:[1,1,0] neg_lo:[0,0,1] neg_hi:[0,0,1]
	v_pk_fma_f32 v[0:1], v[52:53], v[46:47], v[0:1] op_sel:[0,0,1] op_sel_hi:[1,0,0]
	ds_load_2addr_b64 v[50:53], v6 offset0:29 offset1:30
	v_mov_b32_e32 v3, v1
	s_delay_alu instid0(VALU_DEP_1) | instskip(SKIP_2) | instid1(VALU_DEP_1)
	v_pk_add_f32 v[184:185], v[184:185], v[2:3] neg_lo:[0,1] neg_hi:[0,1]
	s_wait_dscnt 0x0
	v_pk_mul_f32 v[0:1], v[50:51], v[48:49] op_sel:[0,1]
	v_pk_fma_f32 v[2:3], v[50:51], v[46:47], v[0:1] op_sel:[0,0,1] op_sel_hi:[1,1,0] neg_lo:[0,0,1] neg_hi:[0,0,1]
	v_pk_fma_f32 v[0:1], v[50:51], v[46:47], v[0:1] op_sel:[0,0,1] op_sel_hi:[1,0,0]
	s_delay_alu instid0(VALU_DEP_1) | instskip(SKIP_1) | instid1(VALU_DEP_2)
	v_mov_b32_e32 v3, v1
	v_pk_mul_f32 v[0:1], v[52:53], v[48:49] op_sel:[0,1]
	v_pk_add_f32 v[186:187], v[186:187], v[2:3] neg_lo:[0,1] neg_hi:[0,1]
	s_delay_alu instid0(VALU_DEP_2) | instskip(SKIP_3) | instid1(VALU_DEP_1)
	v_pk_fma_f32 v[2:3], v[52:53], v[46:47], v[0:1] op_sel:[0,0,1] op_sel_hi:[1,1,0] neg_lo:[0,0,1] neg_hi:[0,0,1]
	v_pk_fma_f32 v[0:1], v[52:53], v[46:47], v[0:1] op_sel:[0,0,1] op_sel_hi:[1,0,0]
	ds_load_2addr_b64 v[50:53], v6 offset0:31 offset1:32
	v_mov_b32_e32 v3, v1
	v_pk_add_f32 v[188:189], v[188:189], v[2:3] neg_lo:[0,1] neg_hi:[0,1]
	s_wait_dscnt 0x0
	v_dual_mul_f32 v2, v51, v46 :: v_dual_mul_f32 v0, v51, v49
	s_delay_alu instid0(VALU_DEP_1) | instskip(NEXT) | instid1(VALU_DEP_2)
	v_pk_fma_f32 v[2:3], v[50:51], v[172:173], v[2:3] op_sel:[1,0,0] op_sel_hi:[0,1,0]
	v_pk_fma_f32 v[0:1], v[50:51], v[172:173], v[0:1] op_sel_hi:[1,1,0] neg_lo:[0,0,1] neg_hi:[0,0,1]
	s_delay_alu instid0(VALU_DEP_2) | instskip(NEXT) | instid1(VALU_DEP_1)
	v_mov_b32_e32 v1, v3
	v_pk_add_f32 v[190:191], v[190:191], v[0:1] neg_lo:[0,1] neg_hi:[0,1]
	v_pk_mul_f32 v[0:1], v[52:53], v[48:49] op_sel:[0,1]
	s_delay_alu instid0(VALU_DEP_1) | instskip(SKIP_3) | instid1(VALU_DEP_1)
	v_pk_fma_f32 v[2:3], v[52:53], v[46:47], v[0:1] op_sel:[0,0,1] op_sel_hi:[1,1,0] neg_lo:[0,0,1] neg_hi:[0,0,1]
	v_pk_fma_f32 v[0:1], v[52:53], v[46:47], v[0:1] op_sel:[0,0,1] op_sel_hi:[1,0,0]
	ds_load_2addr_b64 v[50:53], v6 offset0:33 offset1:34
	v_mov_b32_e32 v3, v1
	v_pk_add_f32 v[192:193], v[192:193], v[2:3] neg_lo:[0,1] neg_hi:[0,1]
	s_wait_dscnt 0x0
	v_pk_mul_f32 v[0:1], v[50:51], v[48:49] op_sel:[0,1]
	s_delay_alu instid0(VALU_DEP_1) | instskip(SKIP_1) | instid1(VALU_DEP_1)
	v_pk_fma_f32 v[2:3], v[50:51], v[46:47], v[0:1] op_sel:[0,0,1] op_sel_hi:[1,1,0] neg_lo:[0,0,1] neg_hi:[0,0,1]
	v_pk_fma_f32 v[0:1], v[50:51], v[46:47], v[0:1] op_sel:[0,0,1] op_sel_hi:[1,0,0]
	v_mov_b32_e32 v3, v1
	v_pk_mul_f32 v[0:1], v[52:53], v[48:49] op_sel:[0,1]
	s_delay_alu instid0(VALU_DEP_2) | instskip(NEXT) | instid1(VALU_DEP_2)
	v_pk_add_f32 v[194:195], v[194:195], v[2:3] neg_lo:[0,1] neg_hi:[0,1]
	v_pk_fma_f32 v[2:3], v[52:53], v[46:47], v[0:1] op_sel:[0,0,1] op_sel_hi:[1,1,0] neg_lo:[0,0,1] neg_hi:[0,0,1]
	v_pk_fma_f32 v[0:1], v[52:53], v[46:47], v[0:1] op_sel:[0,0,1] op_sel_hi:[1,0,0]
	ds_load_2addr_b64 v[50:53], v6 offset0:35 offset1:36
	v_mov_b32_e32 v3, v1
	s_delay_alu instid0(VALU_DEP_1) | instskip(SKIP_2) | instid1(VALU_DEP_1)
	v_pk_add_f32 v[196:197], v[196:197], v[2:3] neg_lo:[0,1] neg_hi:[0,1]
	s_wait_dscnt 0x0
	v_pk_mul_f32 v[0:1], v[50:51], v[48:49] op_sel:[0,1]
	v_pk_fma_f32 v[2:3], v[50:51], v[46:47], v[0:1] op_sel:[0,0,1] op_sel_hi:[1,1,0] neg_lo:[0,0,1] neg_hi:[0,0,1]
	v_pk_fma_f32 v[0:1], v[50:51], v[46:47], v[0:1] op_sel:[0,0,1] op_sel_hi:[1,0,0]
	v_dual_mov_b32 v0, v53 :: v_dual_mul_f32 v50, v53, v46
	s_delay_alu instid0(VALU_DEP_2) | instskip(NEXT) | instid1(VALU_DEP_1)
	v_dual_mov_b32 v3, v1 :: v_dual_mov_b32 v1, v52
	v_pk_add_f32 v[198:199], v[198:199], v[2:3] neg_lo:[0,1] neg_hi:[0,1]
	v_mul_f32_e32 v2, v53, v49
	s_delay_alu instid0(VALU_DEP_3) | instskip(NEXT) | instid1(VALU_DEP_2)
	v_pk_fma_f32 v[0:1], v[0:1], v[172:173], v[50:51] op_sel_hi:[1,1,0]
	v_pk_fma_f32 v[2:3], v[52:53], v[172:173], v[2:3] op_sel_hi:[1,1,0] neg_lo:[0,0,1] neg_hi:[0,0,1]
	ds_load_2addr_b64 v[50:53], v6 offset0:37 offset1:38
	v_mov_b32_e32 v3, v1
	s_delay_alu instid0(VALU_DEP_1) | instskip(SKIP_2) | instid1(VALU_DEP_1)
	v_pk_add_f32 v[200:201], v[200:201], v[2:3] neg_lo:[0,1] neg_hi:[0,1]
	s_wait_dscnt 0x0
	v_pk_mul_f32 v[0:1], v[50:51], v[48:49] op_sel:[0,1]
	v_pk_fma_f32 v[2:3], v[50:51], v[46:47], v[0:1] op_sel:[0,0,1] op_sel_hi:[1,1,0] neg_lo:[0,0,1] neg_hi:[0,0,1]
	v_pk_fma_f32 v[0:1], v[50:51], v[46:47], v[0:1] op_sel:[0,0,1] op_sel_hi:[1,0,0]
	s_delay_alu instid0(VALU_DEP_1) | instskip(SKIP_1) | instid1(VALU_DEP_2)
	v_mov_b32_e32 v3, v1
	v_pk_mul_f32 v[0:1], v[52:53], v[48:49] op_sel:[0,1]
	v_pk_add_f32 v[202:203], v[202:203], v[2:3] neg_lo:[0,1] neg_hi:[0,1]
	s_delay_alu instid0(VALU_DEP_2) | instskip(SKIP_3) | instid1(VALU_DEP_1)
	v_pk_fma_f32 v[2:3], v[52:53], v[46:47], v[0:1] op_sel:[0,0,1] op_sel_hi:[1,1,0] neg_lo:[0,0,1] neg_hi:[0,0,1]
	v_pk_fma_f32 v[0:1], v[52:53], v[46:47], v[0:1] op_sel:[0,0,1] op_sel_hi:[1,0,0]
	ds_load_2addr_b64 v[50:53], v6 offset0:39 offset1:40
	v_mov_b32_e32 v3, v1
	v_pk_add_f32 v[204:205], v[204:205], v[2:3] neg_lo:[0,1] neg_hi:[0,1]
	s_wait_dscnt 0x0
	v_pk_mul_f32 v[0:1], v[50:51], v[48:49] op_sel:[0,1]
	s_delay_alu instid0(VALU_DEP_1) | instskip(SKIP_1) | instid1(VALU_DEP_1)
	v_pk_fma_f32 v[2:3], v[50:51], v[46:47], v[0:1] op_sel:[0,0,1] op_sel_hi:[1,1,0] neg_lo:[0,0,1] neg_hi:[0,0,1]
	v_pk_fma_f32 v[0:1], v[50:51], v[46:47], v[0:1] op_sel:[0,0,1] op_sel_hi:[1,0,0]
	v_mov_b32_e32 v3, v1
	v_pk_mul_f32 v[0:1], v[52:53], v[48:49] op_sel:[0,1]
	s_delay_alu instid0(VALU_DEP_2) | instskip(NEXT) | instid1(VALU_DEP_2)
	v_pk_add_f32 v[206:207], v[206:207], v[2:3] neg_lo:[0,1] neg_hi:[0,1]
	v_pk_fma_f32 v[2:3], v[52:53], v[46:47], v[0:1] op_sel:[0,0,1] op_sel_hi:[1,1,0] neg_lo:[0,0,1] neg_hi:[0,0,1]
	v_pk_fma_f32 v[0:1], v[52:53], v[46:47], v[0:1] op_sel:[0,0,1] op_sel_hi:[1,0,0]
	ds_load_2addr_b64 v[50:53], v6 offset0:41 offset1:42
	v_mov_b32_e32 v3, v1
	s_delay_alu instid0(VALU_DEP_1) | instskip(SKIP_2) | instid1(VALU_DEP_1)
	v_pk_add_f32 v[208:209], v[208:209], v[2:3] neg_lo:[0,1] neg_hi:[0,1]
	s_wait_dscnt 0x0
	v_dual_mul_f32 v2, v51, v46 :: v_dual_mul_f32 v0, v51, v49
	v_pk_fma_f32 v[2:3], v[50:51], v[172:173], v[2:3] op_sel:[1,0,0] op_sel_hi:[0,1,0]
	s_delay_alu instid0(VALU_DEP_2) | instskip(NEXT) | instid1(VALU_DEP_2)
	v_pk_fma_f32 v[0:1], v[50:51], v[172:173], v[0:1] op_sel_hi:[1,1,0] neg_lo:[0,0,1] neg_hi:[0,0,1]
	v_mov_b32_e32 v1, v3
	s_delay_alu instid0(VALU_DEP_1) | instskip(SKIP_1) | instid1(VALU_DEP_1)
	v_pk_add_f32 v[210:211], v[210:211], v[0:1] neg_lo:[0,1] neg_hi:[0,1]
	v_pk_mul_f32 v[0:1], v[52:53], v[48:49] op_sel:[0,1]
	v_pk_fma_f32 v[2:3], v[52:53], v[46:47], v[0:1] op_sel:[0,0,1] op_sel_hi:[1,1,0] neg_lo:[0,0,1] neg_hi:[0,0,1]
	v_pk_fma_f32 v[0:1], v[52:53], v[46:47], v[0:1] op_sel:[0,0,1] op_sel_hi:[1,0,0]
	ds_load_2addr_b64 v[50:53], v6 offset0:43 offset1:44
	v_mov_b32_e32 v3, v1
	s_delay_alu instid0(VALU_DEP_1) | instskip(SKIP_2) | instid1(VALU_DEP_1)
	v_pk_add_f32 v[212:213], v[212:213], v[2:3] neg_lo:[0,1] neg_hi:[0,1]
	s_wait_dscnt 0x0
	v_pk_mul_f32 v[0:1], v[50:51], v[48:49] op_sel:[0,1]
	v_pk_fma_f32 v[2:3], v[50:51], v[46:47], v[0:1] op_sel:[0,0,1] op_sel_hi:[1,1,0] neg_lo:[0,0,1] neg_hi:[0,0,1]
	v_pk_fma_f32 v[0:1], v[50:51], v[46:47], v[0:1] op_sel:[0,0,1] op_sel_hi:[1,0,0]
	s_delay_alu instid0(VALU_DEP_1) | instskip(SKIP_1) | instid1(VALU_DEP_2)
	v_mov_b32_e32 v3, v1
	v_pk_mul_f32 v[0:1], v[52:53], v[48:49] op_sel:[0,1]
	v_pk_add_f32 v[214:215], v[214:215], v[2:3] neg_lo:[0,1] neg_hi:[0,1]
	s_delay_alu instid0(VALU_DEP_2) | instskip(SKIP_3) | instid1(VALU_DEP_1)
	v_pk_fma_f32 v[2:3], v[52:53], v[46:47], v[0:1] op_sel:[0,0,1] op_sel_hi:[1,1,0] neg_lo:[0,0,1] neg_hi:[0,0,1]
	v_pk_fma_f32 v[0:1], v[52:53], v[46:47], v[0:1] op_sel:[0,0,1] op_sel_hi:[1,0,0]
	ds_load_2addr_b64 v[50:53], v6 offset0:45 offset1:46
	v_mov_b32_e32 v3, v1
	v_pk_add_f32 v[216:217], v[216:217], v[2:3] neg_lo:[0,1] neg_hi:[0,1]
	s_wait_dscnt 0x0
	v_pk_mul_f32 v[0:1], v[50:51], v[48:49] op_sel:[0,1]
	s_delay_alu instid0(VALU_DEP_1) | instskip(SKIP_2) | instid1(VALU_DEP_2)
	v_pk_fma_f32 v[2:3], v[50:51], v[46:47], v[0:1] op_sel:[0,0,1] op_sel_hi:[1,1,0] neg_lo:[0,0,1] neg_hi:[0,0,1]
	v_pk_fma_f32 v[0:1], v[50:51], v[46:47], v[0:1] op_sel:[0,0,1] op_sel_hi:[1,0,0]
	v_dual_mov_b32 v0, v53 :: v_dual_mul_f32 v50, v53, v46
	v_dual_mov_b32 v3, v1 :: v_dual_mov_b32 v1, v52
	s_delay_alu instid0(VALU_DEP_1) | instskip(SKIP_1) | instid1(VALU_DEP_3)
	v_pk_add_f32 v[218:219], v[218:219], v[2:3] neg_lo:[0,1] neg_hi:[0,1]
	v_mul_f32_e32 v2, v53, v49
	v_pk_fma_f32 v[0:1], v[0:1], v[172:173], v[50:51] op_sel_hi:[1,1,0]
	s_delay_alu instid0(VALU_DEP_2) | instskip(SKIP_2) | instid1(VALU_DEP_1)
	v_pk_fma_f32 v[2:3], v[52:53], v[172:173], v[2:3] op_sel_hi:[1,1,0] neg_lo:[0,0,1] neg_hi:[0,0,1]
	ds_load_2addr_b64 v[50:53], v6 offset0:47 offset1:48
	v_mov_b32_e32 v3, v1
	v_pk_add_f32 v[220:221], v[220:221], v[2:3] neg_lo:[0,1] neg_hi:[0,1]
	s_wait_dscnt 0x0
	v_pk_mul_f32 v[0:1], v[50:51], v[48:49] op_sel:[0,1]
	s_delay_alu instid0(VALU_DEP_1) | instskip(SKIP_1) | instid1(VALU_DEP_1)
	v_pk_fma_f32 v[2:3], v[50:51], v[46:47], v[0:1] op_sel:[0,0,1] op_sel_hi:[1,1,0] neg_lo:[0,0,1] neg_hi:[0,0,1]
	v_pk_fma_f32 v[0:1], v[50:51], v[46:47], v[0:1] op_sel:[0,0,1] op_sel_hi:[1,0,0]
	v_mov_b32_e32 v3, v1
	v_pk_mul_f32 v[0:1], v[52:53], v[48:49] op_sel:[0,1]
	s_delay_alu instid0(VALU_DEP_2) | instskip(NEXT) | instid1(VALU_DEP_2)
	v_pk_add_f32 v[222:223], v[222:223], v[2:3] neg_lo:[0,1] neg_hi:[0,1]
	v_pk_fma_f32 v[2:3], v[52:53], v[46:47], v[0:1] op_sel:[0,0,1] op_sel_hi:[1,1,0] neg_lo:[0,0,1] neg_hi:[0,0,1]
	v_pk_fma_f32 v[0:1], v[52:53], v[46:47], v[0:1] op_sel:[0,0,1] op_sel_hi:[1,0,0]
	ds_load_2addr_b64 v[50:53], v6 offset0:49 offset1:50
	v_mov_b32_e32 v3, v1
	s_delay_alu instid0(VALU_DEP_1) | instskip(SKIP_2) | instid1(VALU_DEP_1)
	v_pk_add_f32 v[224:225], v[224:225], v[2:3] neg_lo:[0,1] neg_hi:[0,1]
	s_wait_dscnt 0x0
	v_pk_mul_f32 v[0:1], v[50:51], v[48:49] op_sel:[0,1]
	v_pk_fma_f32 v[2:3], v[50:51], v[46:47], v[0:1] op_sel:[0,0,1] op_sel_hi:[1,1,0] neg_lo:[0,0,1] neg_hi:[0,0,1]
	v_pk_fma_f32 v[0:1], v[50:51], v[46:47], v[0:1] op_sel:[0,0,1] op_sel_hi:[1,0,0]
	s_delay_alu instid0(VALU_DEP_1) | instskip(SKIP_1) | instid1(VALU_DEP_2)
	v_mov_b32_e32 v3, v1
	v_pk_mul_f32 v[0:1], v[52:53], v[48:49] op_sel:[0,1]
	v_pk_add_f32 v[226:227], v[226:227], v[2:3] neg_lo:[0,1] neg_hi:[0,1]
	s_delay_alu instid0(VALU_DEP_2) | instskip(SKIP_3) | instid1(VALU_DEP_1)
	v_pk_fma_f32 v[2:3], v[52:53], v[46:47], v[0:1] op_sel:[0,0,1] op_sel_hi:[1,1,0] neg_lo:[0,0,1] neg_hi:[0,0,1]
	v_pk_fma_f32 v[0:1], v[52:53], v[46:47], v[0:1] op_sel:[0,0,1] op_sel_hi:[1,0,0]
	ds_load_2addr_b64 v[50:53], v6 offset0:51 offset1:52
	v_mov_b32_e32 v3, v1
	v_pk_add_f32 v[228:229], v[228:229], v[2:3] neg_lo:[0,1] neg_hi:[0,1]
	s_wait_dscnt 0x0
	v_dual_mul_f32 v2, v51, v46 :: v_dual_mul_f32 v0, v51, v49
	s_delay_alu instid0(VALU_DEP_1) | instskip(NEXT) | instid1(VALU_DEP_2)
	v_pk_fma_f32 v[2:3], v[50:51], v[172:173], v[2:3] op_sel:[1,0,0] op_sel_hi:[0,1,0]
	v_pk_fma_f32 v[0:1], v[50:51], v[172:173], v[0:1] op_sel_hi:[1,1,0] neg_lo:[0,0,1] neg_hi:[0,0,1]
	s_delay_alu instid0(VALU_DEP_2) | instskip(NEXT) | instid1(VALU_DEP_1)
	v_mov_b32_e32 v1, v3
	v_pk_add_f32 v[230:231], v[230:231], v[0:1] neg_lo:[0,1] neg_hi:[0,1]
	v_pk_mul_f32 v[0:1], v[52:53], v[48:49] op_sel:[0,1]
	s_delay_alu instid0(VALU_DEP_1) | instskip(SKIP_3) | instid1(VALU_DEP_1)
	v_pk_fma_f32 v[2:3], v[52:53], v[46:47], v[0:1] op_sel:[0,0,1] op_sel_hi:[1,1,0] neg_lo:[0,0,1] neg_hi:[0,0,1]
	v_pk_fma_f32 v[0:1], v[52:53], v[46:47], v[0:1] op_sel:[0,0,1] op_sel_hi:[1,0,0]
	ds_load_2addr_b64 v[50:53], v6 offset0:53 offset1:54
	v_mov_b32_e32 v3, v1
	v_pk_add_f32 v[232:233], v[232:233], v[2:3] neg_lo:[0,1] neg_hi:[0,1]
	s_wait_dscnt 0x0
	v_pk_mul_f32 v[0:1], v[50:51], v[48:49] op_sel:[0,1]
	s_delay_alu instid0(VALU_DEP_1) | instskip(SKIP_1) | instid1(VALU_DEP_1)
	v_pk_fma_f32 v[2:3], v[50:51], v[46:47], v[0:1] op_sel:[0,0,1] op_sel_hi:[1,1,0] neg_lo:[0,0,1] neg_hi:[0,0,1]
	v_pk_fma_f32 v[0:1], v[50:51], v[46:47], v[0:1] op_sel:[0,0,1] op_sel_hi:[1,0,0]
	v_mov_b32_e32 v3, v1
	v_pk_mul_f32 v[0:1], v[52:53], v[48:49] op_sel:[0,1]
	s_delay_alu instid0(VALU_DEP_2) | instskip(NEXT) | instid1(VALU_DEP_2)
	v_pk_add_f32 v[234:235], v[234:235], v[2:3] neg_lo:[0,1] neg_hi:[0,1]
	v_pk_fma_f32 v[2:3], v[52:53], v[46:47], v[0:1] op_sel:[0,0,1] op_sel_hi:[1,1,0] neg_lo:[0,0,1] neg_hi:[0,0,1]
	v_pk_fma_f32 v[0:1], v[52:53], v[46:47], v[0:1] op_sel:[0,0,1] op_sel_hi:[1,0,0]
	ds_load_2addr_b64 v[50:53], v6 offset0:55 offset1:56
	v_mov_b32_e32 v3, v1
	s_delay_alu instid0(VALU_DEP_1) | instskip(SKIP_2) | instid1(VALU_DEP_1)
	v_pk_add_f32 v[236:237], v[236:237], v[2:3] neg_lo:[0,1] neg_hi:[0,1]
	s_wait_dscnt 0x0
	v_pk_mul_f32 v[0:1], v[50:51], v[48:49] op_sel:[0,1]
	v_pk_fma_f32 v[2:3], v[50:51], v[46:47], v[0:1] op_sel:[0,0,1] op_sel_hi:[1,1,0] neg_lo:[0,0,1] neg_hi:[0,0,1]
	v_pk_fma_f32 v[0:1], v[50:51], v[46:47], v[0:1] op_sel:[0,0,1] op_sel_hi:[1,0,0]
	v_dual_mov_b32 v0, v53 :: v_dual_mul_f32 v50, v53, v46
	s_delay_alu instid0(VALU_DEP_2) | instskip(NEXT) | instid1(VALU_DEP_1)
	v_dual_mov_b32 v3, v1 :: v_dual_mov_b32 v1, v52
	v_pk_add_f32 v[238:239], v[238:239], v[2:3] neg_lo:[0,1] neg_hi:[0,1]
	v_mul_f32_e32 v2, v53, v49
	s_delay_alu instid0(VALU_DEP_3) | instskip(NEXT) | instid1(VALU_DEP_2)
	v_pk_fma_f32 v[0:1], v[0:1], v[172:173], v[50:51] op_sel_hi:[1,1,0]
	v_pk_fma_f32 v[2:3], v[52:53], v[172:173], v[2:3] op_sel_hi:[1,1,0] neg_lo:[0,0,1] neg_hi:[0,0,1]
	ds_load_2addr_b64 v[50:53], v6 offset0:57 offset1:58
	v_mov_b32_e32 v3, v1
	s_delay_alu instid0(VALU_DEP_1) | instskip(SKIP_2) | instid1(VALU_DEP_1)
	v_pk_add_f32 v[248:249], v[248:249], v[2:3] neg_lo:[0,1] neg_hi:[0,1]
	s_wait_dscnt 0x0
	v_pk_mul_f32 v[0:1], v[50:51], v[48:49] op_sel:[0,1]
	v_pk_fma_f32 v[2:3], v[50:51], v[46:47], v[0:1] op_sel:[0,0,1] op_sel_hi:[1,1,0] neg_lo:[0,0,1] neg_hi:[0,0,1]
	v_pk_fma_f32 v[0:1], v[50:51], v[46:47], v[0:1] op_sel:[0,0,1] op_sel_hi:[1,0,0]
	s_delay_alu instid0(VALU_DEP_1) | instskip(SKIP_1) | instid1(VALU_DEP_2)
	v_mov_b32_e32 v3, v1
	v_pk_mul_f32 v[0:1], v[52:53], v[48:49] op_sel:[0,1]
	v_pk_add_f32 v[242:243], v[242:243], v[2:3] neg_lo:[0,1] neg_hi:[0,1]
	s_delay_alu instid0(VALU_DEP_2) | instskip(SKIP_3) | instid1(VALU_DEP_1)
	v_pk_fma_f32 v[2:3], v[52:53], v[46:47], v[0:1] op_sel:[0,0,1] op_sel_hi:[1,1,0] neg_lo:[0,0,1] neg_hi:[0,0,1]
	v_pk_fma_f32 v[0:1], v[52:53], v[46:47], v[0:1] op_sel:[0,0,1] op_sel_hi:[1,0,0]
	ds_load_2addr_b64 v[50:53], v6 offset0:59 offset1:60
	v_mov_b32_e32 v3, v1
	v_pk_add_f32 v[246:247], v[246:247], v[2:3] neg_lo:[0,1] neg_hi:[0,1]
	s_wait_dscnt 0x0
	v_pk_mul_f32 v[0:1], v[50:51], v[48:49] op_sel:[0,1]
	s_delay_alu instid0(VALU_DEP_1) | instskip(SKIP_1) | instid1(VALU_DEP_1)
	v_pk_fma_f32 v[2:3], v[50:51], v[46:47], v[0:1] op_sel:[0,0,1] op_sel_hi:[1,1,0] neg_lo:[0,0,1] neg_hi:[0,0,1]
	v_pk_fma_f32 v[0:1], v[50:51], v[46:47], v[0:1] op_sel:[0,0,1] op_sel_hi:[1,0,0]
	v_mov_b32_e32 v3, v1
	v_pk_mul_f32 v[0:1], v[52:53], v[48:49] op_sel:[0,1]
	s_delay_alu instid0(VALU_DEP_2) | instskip(NEXT) | instid1(VALU_DEP_2)
	v_pk_add_f32 v[240:241], v[240:241], v[2:3] neg_lo:[0,1] neg_hi:[0,1]
	v_pk_fma_f32 v[2:3], v[52:53], v[46:47], v[0:1] op_sel:[0,0,1] op_sel_hi:[1,1,0] neg_lo:[0,0,1] neg_hi:[0,0,1]
	v_pk_fma_f32 v[0:1], v[52:53], v[46:47], v[0:1] op_sel:[0,0,1] op_sel_hi:[1,0,0]
	ds_load_2addr_b64 v[50:53], v6 offset0:61 offset1:62
	v_mov_b32_e32 v3, v1
	s_delay_alu instid0(VALU_DEP_1) | instskip(SKIP_2) | instid1(VALU_DEP_1)
	v_pk_add_f32 v[244:245], v[244:245], v[2:3] neg_lo:[0,1] neg_hi:[0,1]
	s_wait_dscnt 0x0
	v_dual_mul_f32 v2, v51, v46 :: v_dual_mul_f32 v0, v51, v49
	v_pk_fma_f32 v[2:3], v[50:51], v[172:173], v[2:3] op_sel:[1,0,0] op_sel_hi:[0,1,0]
	s_delay_alu instid0(VALU_DEP_2) | instskip(NEXT) | instid1(VALU_DEP_2)
	v_pk_fma_f32 v[0:1], v[50:51], v[172:173], v[0:1] op_sel_hi:[1,1,0] neg_lo:[0,0,1] neg_hi:[0,0,1]
	v_mov_b32_e32 v1, v3
	s_delay_alu instid0(VALU_DEP_1) | instskip(SKIP_1) | instid1(VALU_DEP_1)
	v_pk_add_f32 v[250:251], v[250:251], v[0:1] neg_lo:[0,1] neg_hi:[0,1]
	v_pk_mul_f32 v[0:1], v[52:53], v[48:49] op_sel:[0,1]
	v_pk_fma_f32 v[2:3], v[52:53], v[46:47], v[0:1] op_sel:[0,0,1] op_sel_hi:[1,1,0] neg_lo:[0,0,1] neg_hi:[0,0,1]
	v_pk_fma_f32 v[0:1], v[52:53], v[46:47], v[0:1] op_sel:[0,0,1] op_sel_hi:[1,0,0]
	s_delay_alu instid0(VALU_DEP_1) | instskip(NEXT) | instid1(VALU_DEP_1)
	v_mov_b32_e32 v3, v1
	v_pk_add_f32 v[252:253], v[252:253], v[2:3] neg_lo:[0,1] neg_hi:[0,1]
.LBB125_208:
	s_or_b32 exec_lo, exec_lo, s1
	s_delay_alu instid0(SALU_CYCLE_1)
	s_mov_b32 s2, exec_lo
	s_wait_dscnt 0x0
	s_barrier_signal -1
	s_barrier_wait -1
	v_cmpx_eq_u32_e32 23, v254
	s_cbranch_execz .LBB125_215
; %bb.209:
	v_dual_mov_b32 v0, v176 :: v_dual_mov_b32 v1, v177
	v_dual_mov_b32 v2, v178 :: v_dual_mov_b32 v3, v179
	ds_store_b64 v255, v[174:175]
	ds_store_2addr_b64 v6, v[0:1], v[2:3] offset0:24 offset1:25
	v_dual_mov_b32 v0, v180 :: v_dual_mov_b32 v1, v181
	v_dual_mov_b32 v2, v182 :: v_dual_mov_b32 v3, v183
	ds_store_2addr_b64 v6, v[0:1], v[2:3] offset0:26 offset1:27
	v_dual_mov_b32 v0, v184 :: v_dual_mov_b32 v1, v185
	v_dual_mov_b32 v2, v186 :: v_dual_mov_b32 v3, v187
	;; [unrolled: 3-line block ×18, first 2 shown]
	ds_store_2addr_b64 v6, v[0:1], v[2:3] offset0:60 offset1:61
	ds_store_b64 v6, v[252:253] offset:496
	ds_load_b64 v[46:47], v255
	s_wait_dscnt 0x0
	v_cmp_neq_f32_e32 vcc_lo, 0, v46
	v_cmp_neq_f32_e64 s1, 0, v47
	s_or_b32 s1, vcc_lo, s1
	s_delay_alu instid0(SALU_CYCLE_1)
	s_and_b32 exec_lo, exec_lo, s1
	s_cbranch_execz .LBB125_215
; %bb.210:
	v_cmp_ngt_f32_e64 s1, |v46|, |v47|
                                        ; implicit-def: $vgpr48_vgpr49
	s_and_saveexec_b32 s4, s1
	s_delay_alu instid0(SALU_CYCLE_1)
	s_xor_b32 s1, exec_lo, s4
	s_cbranch_execz .LBB125_212
; %bb.211:
	v_div_scale_f32 v0, null, v47, v47, v46
	v_div_scale_f32 v3, vcc_lo, v46, v47, v46
	s_delay_alu instid0(VALU_DEP_2) | instskip(SKIP_1) | instid1(TRANS32_DEP_1)
	v_rcp_f32_e32 v1, v0
	v_nop
	v_fma_f32 v2, -v0, v1, 1.0
	s_delay_alu instid0(VALU_DEP_1) | instskip(NEXT) | instid1(VALU_DEP_1)
	v_fmac_f32_e32 v1, v2, v1
	v_mul_f32_e32 v2, v3, v1
	s_delay_alu instid0(VALU_DEP_1) | instskip(NEXT) | instid1(VALU_DEP_1)
	v_fma_f32 v4, -v0, v2, v3
	v_fmac_f32_e32 v2, v4, v1
	s_delay_alu instid0(VALU_DEP_1) | instskip(NEXT) | instid1(VALU_DEP_1)
	v_fma_f32 v0, -v0, v2, v3
	v_div_fmas_f32 v0, v0, v1, v2
	s_delay_alu instid0(VALU_DEP_1) | instskip(NEXT) | instid1(VALU_DEP_1)
	v_div_fixup_f32 v0, v0, v47, v46
	v_fmac_f32_e32 v47, v46, v0
	s_delay_alu instid0(VALU_DEP_1) | instskip(SKIP_1) | instid1(VALU_DEP_2)
	v_div_scale_f32 v1, null, v47, v47, 1.0
	v_div_scale_f32 v4, vcc_lo, 1.0, v47, 1.0
	v_rcp_f32_e32 v2, v1
	v_nop
	s_delay_alu instid0(TRANS32_DEP_1) | instskip(NEXT) | instid1(VALU_DEP_1)
	v_fma_f32 v3, -v1, v2, 1.0
	v_fmac_f32_e32 v2, v3, v2
	s_delay_alu instid0(VALU_DEP_1) | instskip(NEXT) | instid1(VALU_DEP_1)
	v_mul_f32_e32 v3, v4, v2
	v_fma_f32 v5, -v1, v3, v4
	s_delay_alu instid0(VALU_DEP_1) | instskip(NEXT) | instid1(VALU_DEP_1)
	v_fmac_f32_e32 v3, v5, v2
	v_fma_f32 v1, -v1, v3, v4
	s_delay_alu instid0(VALU_DEP_1) | instskip(NEXT) | instid1(VALU_DEP_1)
	v_div_fmas_f32 v1, v1, v2, v3
	v_div_fixup_f32 v1, v1, v47, 1.0
                                        ; implicit-def: $vgpr46_vgpr47
	s_delay_alu instid0(VALU_DEP_1)
	v_mul_f32_e32 v48, v0, v1
	v_xor_b32_e32 v49, 0x80000000, v1
.LBB125_212:
	s_and_not1_saveexec_b32 s1, s1
	s_cbranch_execz .LBB125_214
; %bb.213:
	v_div_scale_f32 v0, null, v46, v46, v47
	v_div_scale_f32 v3, vcc_lo, v47, v46, v47
	s_delay_alu instid0(VALU_DEP_2) | instskip(SKIP_1) | instid1(TRANS32_DEP_1)
	v_rcp_f32_e32 v1, v0
	v_nop
	v_fma_f32 v2, -v0, v1, 1.0
	s_delay_alu instid0(VALU_DEP_1) | instskip(NEXT) | instid1(VALU_DEP_1)
	v_fmac_f32_e32 v1, v2, v1
	v_mul_f32_e32 v2, v3, v1
	s_delay_alu instid0(VALU_DEP_1) | instskip(NEXT) | instid1(VALU_DEP_1)
	v_fma_f32 v4, -v0, v2, v3
	v_fmac_f32_e32 v2, v4, v1
	s_delay_alu instid0(VALU_DEP_1) | instskip(NEXT) | instid1(VALU_DEP_1)
	v_fma_f32 v0, -v0, v2, v3
	v_div_fmas_f32 v0, v0, v1, v2
	s_delay_alu instid0(VALU_DEP_1) | instskip(NEXT) | instid1(VALU_DEP_1)
	v_div_fixup_f32 v0, v0, v46, v47
	v_fmac_f32_e32 v46, v47, v0
	s_delay_alu instid0(VALU_DEP_1) | instskip(NEXT) | instid1(VALU_DEP_1)
	v_div_scale_f32 v1, null, v46, v46, 1.0
	v_rcp_f32_e32 v2, v1
	v_nop
	s_delay_alu instid0(TRANS32_DEP_1) | instskip(NEXT) | instid1(VALU_DEP_1)
	v_fma_f32 v3, -v1, v2, 1.0
	v_fmac_f32_e32 v2, v3, v2
	v_div_scale_f32 v3, vcc_lo, 1.0, v46, 1.0
	s_delay_alu instid0(VALU_DEP_1) | instskip(NEXT) | instid1(VALU_DEP_1)
	v_mul_f32_e32 v4, v3, v2
	v_fma_f32 v5, -v1, v4, v3
	s_delay_alu instid0(VALU_DEP_1) | instskip(NEXT) | instid1(VALU_DEP_1)
	v_fmac_f32_e32 v4, v5, v2
	v_fma_f32 v1, -v1, v4, v3
	s_delay_alu instid0(VALU_DEP_1) | instskip(NEXT) | instid1(VALU_DEP_1)
	v_div_fmas_f32 v1, v1, v2, v4
	v_div_fixup_f32 v48, v1, v46, 1.0
	s_delay_alu instid0(VALU_DEP_1)
	v_mul_f32_e64 v49, v0, -v48
.LBB125_214:
	s_or_b32 exec_lo, exec_lo, s1
	ds_store_b64 v255, v[48:49]
.LBB125_215:
	s_or_b32 exec_lo, exec_lo, s2
	s_wait_dscnt 0x0
	s_barrier_signal -1
	s_barrier_wait -1
	ds_load_b64 v[46:47], v255
	s_mov_b32 s1, exec_lo
	v_cmpx_lt_u32_e32 23, v254
	s_cbranch_execz .LBB125_217
; %bb.216:
	ds_load_2addr_b64 v[52:55], v6 offset0:24 offset1:25
	s_wait_dscnt 0x1
	v_pk_mul_f32 v[0:1], v[46:47], v[174:175] op_sel:[1,1] op_sel_hi:[0,1]
	s_delay_alu instid0(VALU_DEP_1) | instskip(SKIP_1) | instid1(VALU_DEP_1)
	v_pk_fma_f32 v[50:51], v[46:47], v[174:175], v[0:1] op_sel_hi:[1,0,1]
	v_pk_fma_f32 v[48:49], v[46:47], v[174:175], v[0:1] op_sel_hi:[1,0,1] neg_lo:[0,0,1] neg_hi:[0,0,1]
	v_dual_mov_b32 v175, v51 :: v_dual_mov_b32 v174, v48
	s_wait_dscnt 0x0
	s_delay_alu instid0(VALU_DEP_3) | instskip(NEXT) | instid1(VALU_DEP_1)
	v_pk_mul_f32 v[0:1], v[52:53], v[50:51] op_sel:[0,1]
	v_pk_fma_f32 v[2:3], v[52:53], v[48:49], v[0:1] op_sel:[0,0,1] op_sel_hi:[1,1,0] neg_lo:[0,0,1] neg_hi:[0,0,1]
	v_pk_fma_f32 v[0:1], v[52:53], v[48:49], v[0:1] op_sel:[0,0,1] op_sel_hi:[1,0,0]
	s_delay_alu instid0(VALU_DEP_1) | instskip(SKIP_1) | instid1(VALU_DEP_2)
	v_mov_b32_e32 v3, v1
	v_pk_mul_f32 v[0:1], v[54:55], v[50:51] op_sel:[0,1]
	v_pk_add_f32 v[176:177], v[176:177], v[2:3] neg_lo:[0,1] neg_hi:[0,1]
	s_delay_alu instid0(VALU_DEP_2) | instskip(SKIP_3) | instid1(VALU_DEP_1)
	v_pk_fma_f32 v[2:3], v[54:55], v[48:49], v[0:1] op_sel:[0,0,1] op_sel_hi:[1,1,0] neg_lo:[0,0,1] neg_hi:[0,0,1]
	v_pk_fma_f32 v[0:1], v[54:55], v[48:49], v[0:1] op_sel:[0,0,1] op_sel_hi:[1,0,0]
	ds_load_2addr_b64 v[52:55], v6 offset0:26 offset1:27
	v_mov_b32_e32 v3, v1
	v_pk_add_f32 v[178:179], v[178:179], v[2:3] neg_lo:[0,1] neg_hi:[0,1]
	s_wait_dscnt 0x0
	v_pk_mul_f32 v[0:1], v[52:53], v[50:51] op_sel:[0,1]
	s_delay_alu instid0(VALU_DEP_1) | instskip(SKIP_2) | instid1(VALU_DEP_2)
	v_pk_fma_f32 v[2:3], v[52:53], v[48:49], v[0:1] op_sel:[0,0,1] op_sel_hi:[1,1,0] neg_lo:[0,0,1] neg_hi:[0,0,1]
	v_pk_fma_f32 v[0:1], v[52:53], v[48:49], v[0:1] op_sel:[0,0,1] op_sel_hi:[1,0,0]
	v_dual_mov_b32 v0, v55 :: v_dual_mul_f32 v52, v55, v48
	v_dual_mov_b32 v3, v1 :: v_dual_mov_b32 v1, v54
	s_delay_alu instid0(VALU_DEP_1) | instskip(SKIP_1) | instid1(VALU_DEP_3)
	v_pk_add_f32 v[180:181], v[180:181], v[2:3] neg_lo:[0,1] neg_hi:[0,1]
	v_mul_f32_e32 v2, v55, v51
	v_pk_fma_f32 v[0:1], v[0:1], v[174:175], v[52:53] op_sel_hi:[1,1,0]
	s_delay_alu instid0(VALU_DEP_2) | instskip(SKIP_2) | instid1(VALU_DEP_1)
	v_pk_fma_f32 v[2:3], v[54:55], v[174:175], v[2:3] op_sel_hi:[1,1,0] neg_lo:[0,0,1] neg_hi:[0,0,1]
	ds_load_2addr_b64 v[52:55], v6 offset0:28 offset1:29
	v_mov_b32_e32 v3, v1
	v_pk_add_f32 v[182:183], v[182:183], v[2:3] neg_lo:[0,1] neg_hi:[0,1]
	s_wait_dscnt 0x0
	v_pk_mul_f32 v[0:1], v[52:53], v[50:51] op_sel:[0,1]
	s_delay_alu instid0(VALU_DEP_1) | instskip(SKIP_1) | instid1(VALU_DEP_1)
	v_pk_fma_f32 v[2:3], v[52:53], v[48:49], v[0:1] op_sel:[0,0,1] op_sel_hi:[1,1,0] neg_lo:[0,0,1] neg_hi:[0,0,1]
	v_pk_fma_f32 v[0:1], v[52:53], v[48:49], v[0:1] op_sel:[0,0,1] op_sel_hi:[1,0,0]
	v_mov_b32_e32 v3, v1
	v_pk_mul_f32 v[0:1], v[54:55], v[50:51] op_sel:[0,1]
	s_delay_alu instid0(VALU_DEP_2) | instskip(NEXT) | instid1(VALU_DEP_2)
	v_pk_add_f32 v[184:185], v[184:185], v[2:3] neg_lo:[0,1] neg_hi:[0,1]
	v_pk_fma_f32 v[2:3], v[54:55], v[48:49], v[0:1] op_sel:[0,0,1] op_sel_hi:[1,1,0] neg_lo:[0,0,1] neg_hi:[0,0,1]
	v_pk_fma_f32 v[0:1], v[54:55], v[48:49], v[0:1] op_sel:[0,0,1] op_sel_hi:[1,0,0]
	ds_load_2addr_b64 v[52:55], v6 offset0:30 offset1:31
	v_mov_b32_e32 v3, v1
	s_delay_alu instid0(VALU_DEP_1) | instskip(SKIP_2) | instid1(VALU_DEP_1)
	v_pk_add_f32 v[186:187], v[186:187], v[2:3] neg_lo:[0,1] neg_hi:[0,1]
	s_wait_dscnt 0x0
	v_pk_mul_f32 v[0:1], v[52:53], v[50:51] op_sel:[0,1]
	v_pk_fma_f32 v[2:3], v[52:53], v[48:49], v[0:1] op_sel:[0,0,1] op_sel_hi:[1,1,0] neg_lo:[0,0,1] neg_hi:[0,0,1]
	v_pk_fma_f32 v[0:1], v[52:53], v[48:49], v[0:1] op_sel:[0,0,1] op_sel_hi:[1,0,0]
	s_delay_alu instid0(VALU_DEP_1) | instskip(SKIP_1) | instid1(VALU_DEP_2)
	v_mov_b32_e32 v3, v1
	v_pk_mul_f32 v[0:1], v[54:55], v[50:51] op_sel:[0,1]
	v_pk_add_f32 v[188:189], v[188:189], v[2:3] neg_lo:[0,1] neg_hi:[0,1]
	s_delay_alu instid0(VALU_DEP_2) | instskip(SKIP_3) | instid1(VALU_DEP_1)
	v_pk_fma_f32 v[2:3], v[54:55], v[48:49], v[0:1] op_sel:[0,0,1] op_sel_hi:[1,1,0] neg_lo:[0,0,1] neg_hi:[0,0,1]
	v_pk_fma_f32 v[0:1], v[54:55], v[48:49], v[0:1] op_sel:[0,0,1] op_sel_hi:[1,0,0]
	ds_load_2addr_b64 v[52:55], v6 offset0:32 offset1:33
	v_mov_b32_e32 v3, v1
	v_pk_add_f32 v[190:191], v[190:191], v[2:3] neg_lo:[0,1] neg_hi:[0,1]
	s_wait_dscnt 0x0
	v_dual_mul_f32 v0, v53, v51 :: v_dual_mul_f32 v2, v53, v48
	s_delay_alu instid0(VALU_DEP_1) | instskip(NEXT) | instid1(VALU_DEP_2)
	v_pk_fma_f32 v[0:1], v[52:53], v[174:175], v[0:1] op_sel_hi:[1,1,0] neg_lo:[0,0,1] neg_hi:[0,0,1]
	v_pk_fma_f32 v[2:3], v[52:53], v[174:175], v[2:3] op_sel:[1,0,0] op_sel_hi:[0,1,0]
	s_delay_alu instid0(VALU_DEP_1) | instskip(NEXT) | instid1(VALU_DEP_1)
	v_mov_b32_e32 v1, v3
	v_pk_add_f32 v[192:193], v[192:193], v[0:1] neg_lo:[0,1] neg_hi:[0,1]
	v_pk_mul_f32 v[0:1], v[54:55], v[50:51] op_sel:[0,1]
	s_delay_alu instid0(VALU_DEP_1) | instskip(SKIP_3) | instid1(VALU_DEP_1)
	v_pk_fma_f32 v[2:3], v[54:55], v[48:49], v[0:1] op_sel:[0,0,1] op_sel_hi:[1,1,0] neg_lo:[0,0,1] neg_hi:[0,0,1]
	v_pk_fma_f32 v[0:1], v[54:55], v[48:49], v[0:1] op_sel:[0,0,1] op_sel_hi:[1,0,0]
	ds_load_2addr_b64 v[52:55], v6 offset0:34 offset1:35
	v_mov_b32_e32 v3, v1
	v_pk_add_f32 v[194:195], v[194:195], v[2:3] neg_lo:[0,1] neg_hi:[0,1]
	s_wait_dscnt 0x0
	v_pk_mul_f32 v[0:1], v[52:53], v[50:51] op_sel:[0,1]
	s_delay_alu instid0(VALU_DEP_1) | instskip(SKIP_1) | instid1(VALU_DEP_1)
	v_pk_fma_f32 v[2:3], v[52:53], v[48:49], v[0:1] op_sel:[0,0,1] op_sel_hi:[1,1,0] neg_lo:[0,0,1] neg_hi:[0,0,1]
	v_pk_fma_f32 v[0:1], v[52:53], v[48:49], v[0:1] op_sel:[0,0,1] op_sel_hi:[1,0,0]
	v_mov_b32_e32 v3, v1
	v_pk_mul_f32 v[0:1], v[54:55], v[50:51] op_sel:[0,1]
	s_delay_alu instid0(VALU_DEP_2) | instskip(NEXT) | instid1(VALU_DEP_2)
	v_pk_add_f32 v[196:197], v[196:197], v[2:3] neg_lo:[0,1] neg_hi:[0,1]
	v_pk_fma_f32 v[2:3], v[54:55], v[48:49], v[0:1] op_sel:[0,0,1] op_sel_hi:[1,1,0] neg_lo:[0,0,1] neg_hi:[0,0,1]
	v_pk_fma_f32 v[0:1], v[54:55], v[48:49], v[0:1] op_sel:[0,0,1] op_sel_hi:[1,0,0]
	ds_load_2addr_b64 v[52:55], v6 offset0:36 offset1:37
	v_mov_b32_e32 v3, v1
	s_delay_alu instid0(VALU_DEP_1) | instskip(SKIP_2) | instid1(VALU_DEP_1)
	v_pk_add_f32 v[198:199], v[198:199], v[2:3] neg_lo:[0,1] neg_hi:[0,1]
	s_wait_dscnt 0x0
	v_pk_mul_f32 v[0:1], v[52:53], v[50:51] op_sel:[0,1]
	v_pk_fma_f32 v[2:3], v[52:53], v[48:49], v[0:1] op_sel:[0,0,1] op_sel_hi:[1,1,0] neg_lo:[0,0,1] neg_hi:[0,0,1]
	v_pk_fma_f32 v[0:1], v[52:53], v[48:49], v[0:1] op_sel:[0,0,1] op_sel_hi:[1,0,0]
	v_dual_mov_b32 v0, v55 :: v_dual_mul_f32 v52, v55, v48
	s_delay_alu instid0(VALU_DEP_2) | instskip(NEXT) | instid1(VALU_DEP_1)
	v_dual_mov_b32 v3, v1 :: v_dual_mov_b32 v1, v54
	v_pk_add_f32 v[200:201], v[200:201], v[2:3] neg_lo:[0,1] neg_hi:[0,1]
	v_mul_f32_e32 v2, v55, v51
	s_delay_alu instid0(VALU_DEP_3) | instskip(NEXT) | instid1(VALU_DEP_2)
	v_pk_fma_f32 v[0:1], v[0:1], v[174:175], v[52:53] op_sel_hi:[1,1,0]
	v_pk_fma_f32 v[2:3], v[54:55], v[174:175], v[2:3] op_sel_hi:[1,1,0] neg_lo:[0,0,1] neg_hi:[0,0,1]
	ds_load_2addr_b64 v[52:55], v6 offset0:38 offset1:39
	v_mov_b32_e32 v3, v1
	s_delay_alu instid0(VALU_DEP_1) | instskip(SKIP_2) | instid1(VALU_DEP_1)
	v_pk_add_f32 v[202:203], v[202:203], v[2:3] neg_lo:[0,1] neg_hi:[0,1]
	s_wait_dscnt 0x0
	v_pk_mul_f32 v[0:1], v[52:53], v[50:51] op_sel:[0,1]
	v_pk_fma_f32 v[2:3], v[52:53], v[48:49], v[0:1] op_sel:[0,0,1] op_sel_hi:[1,1,0] neg_lo:[0,0,1] neg_hi:[0,0,1]
	v_pk_fma_f32 v[0:1], v[52:53], v[48:49], v[0:1] op_sel:[0,0,1] op_sel_hi:[1,0,0]
	s_delay_alu instid0(VALU_DEP_1) | instskip(SKIP_1) | instid1(VALU_DEP_2)
	v_mov_b32_e32 v3, v1
	v_pk_mul_f32 v[0:1], v[54:55], v[50:51] op_sel:[0,1]
	v_pk_add_f32 v[204:205], v[204:205], v[2:3] neg_lo:[0,1] neg_hi:[0,1]
	s_delay_alu instid0(VALU_DEP_2) | instskip(SKIP_3) | instid1(VALU_DEP_1)
	v_pk_fma_f32 v[2:3], v[54:55], v[48:49], v[0:1] op_sel:[0,0,1] op_sel_hi:[1,1,0] neg_lo:[0,0,1] neg_hi:[0,0,1]
	v_pk_fma_f32 v[0:1], v[54:55], v[48:49], v[0:1] op_sel:[0,0,1] op_sel_hi:[1,0,0]
	ds_load_2addr_b64 v[52:55], v6 offset0:40 offset1:41
	v_mov_b32_e32 v3, v1
	v_pk_add_f32 v[206:207], v[206:207], v[2:3] neg_lo:[0,1] neg_hi:[0,1]
	s_wait_dscnt 0x0
	v_pk_mul_f32 v[0:1], v[52:53], v[50:51] op_sel:[0,1]
	s_delay_alu instid0(VALU_DEP_1) | instskip(SKIP_1) | instid1(VALU_DEP_1)
	v_pk_fma_f32 v[2:3], v[52:53], v[48:49], v[0:1] op_sel:[0,0,1] op_sel_hi:[1,1,0] neg_lo:[0,0,1] neg_hi:[0,0,1]
	v_pk_fma_f32 v[0:1], v[52:53], v[48:49], v[0:1] op_sel:[0,0,1] op_sel_hi:[1,0,0]
	v_mov_b32_e32 v3, v1
	v_pk_mul_f32 v[0:1], v[54:55], v[50:51] op_sel:[0,1]
	s_delay_alu instid0(VALU_DEP_2) | instskip(NEXT) | instid1(VALU_DEP_2)
	v_pk_add_f32 v[208:209], v[208:209], v[2:3] neg_lo:[0,1] neg_hi:[0,1]
	v_pk_fma_f32 v[2:3], v[54:55], v[48:49], v[0:1] op_sel:[0,0,1] op_sel_hi:[1,1,0] neg_lo:[0,0,1] neg_hi:[0,0,1]
	v_pk_fma_f32 v[0:1], v[54:55], v[48:49], v[0:1] op_sel:[0,0,1] op_sel_hi:[1,0,0]
	ds_load_2addr_b64 v[52:55], v6 offset0:42 offset1:43
	v_mov_b32_e32 v3, v1
	s_delay_alu instid0(VALU_DEP_1) | instskip(SKIP_2) | instid1(VALU_DEP_1)
	v_pk_add_f32 v[210:211], v[210:211], v[2:3] neg_lo:[0,1] neg_hi:[0,1]
	s_wait_dscnt 0x0
	v_dual_mul_f32 v2, v53, v48 :: v_dual_mul_f32 v0, v53, v51
	v_pk_fma_f32 v[2:3], v[52:53], v[174:175], v[2:3] op_sel:[1,0,0] op_sel_hi:[0,1,0]
	s_delay_alu instid0(VALU_DEP_2) | instskip(NEXT) | instid1(VALU_DEP_2)
	v_pk_fma_f32 v[0:1], v[52:53], v[174:175], v[0:1] op_sel_hi:[1,1,0] neg_lo:[0,0,1] neg_hi:[0,0,1]
	v_mov_b32_e32 v1, v3
	s_delay_alu instid0(VALU_DEP_1) | instskip(SKIP_1) | instid1(VALU_DEP_1)
	v_pk_add_f32 v[212:213], v[212:213], v[0:1] neg_lo:[0,1] neg_hi:[0,1]
	v_pk_mul_f32 v[0:1], v[54:55], v[50:51] op_sel:[0,1]
	v_pk_fma_f32 v[2:3], v[54:55], v[48:49], v[0:1] op_sel:[0,0,1] op_sel_hi:[1,1,0] neg_lo:[0,0,1] neg_hi:[0,0,1]
	v_pk_fma_f32 v[0:1], v[54:55], v[48:49], v[0:1] op_sel:[0,0,1] op_sel_hi:[1,0,0]
	ds_load_2addr_b64 v[52:55], v6 offset0:44 offset1:45
	v_mov_b32_e32 v3, v1
	s_delay_alu instid0(VALU_DEP_1) | instskip(SKIP_2) | instid1(VALU_DEP_1)
	v_pk_add_f32 v[214:215], v[214:215], v[2:3] neg_lo:[0,1] neg_hi:[0,1]
	s_wait_dscnt 0x0
	v_pk_mul_f32 v[0:1], v[52:53], v[50:51] op_sel:[0,1]
	v_pk_fma_f32 v[2:3], v[52:53], v[48:49], v[0:1] op_sel:[0,0,1] op_sel_hi:[1,1,0] neg_lo:[0,0,1] neg_hi:[0,0,1]
	v_pk_fma_f32 v[0:1], v[52:53], v[48:49], v[0:1] op_sel:[0,0,1] op_sel_hi:[1,0,0]
	s_delay_alu instid0(VALU_DEP_1) | instskip(SKIP_1) | instid1(VALU_DEP_2)
	v_mov_b32_e32 v3, v1
	v_pk_mul_f32 v[0:1], v[54:55], v[50:51] op_sel:[0,1]
	v_pk_add_f32 v[216:217], v[216:217], v[2:3] neg_lo:[0,1] neg_hi:[0,1]
	s_delay_alu instid0(VALU_DEP_2) | instskip(SKIP_3) | instid1(VALU_DEP_1)
	v_pk_fma_f32 v[2:3], v[54:55], v[48:49], v[0:1] op_sel:[0,0,1] op_sel_hi:[1,1,0] neg_lo:[0,0,1] neg_hi:[0,0,1]
	v_pk_fma_f32 v[0:1], v[54:55], v[48:49], v[0:1] op_sel:[0,0,1] op_sel_hi:[1,0,0]
	ds_load_2addr_b64 v[52:55], v6 offset0:46 offset1:47
	v_mov_b32_e32 v3, v1
	v_pk_add_f32 v[218:219], v[218:219], v[2:3] neg_lo:[0,1] neg_hi:[0,1]
	s_wait_dscnt 0x0
	v_pk_mul_f32 v[0:1], v[52:53], v[50:51] op_sel:[0,1]
	s_delay_alu instid0(VALU_DEP_1) | instskip(SKIP_2) | instid1(VALU_DEP_2)
	v_pk_fma_f32 v[2:3], v[52:53], v[48:49], v[0:1] op_sel:[0,0,1] op_sel_hi:[1,1,0] neg_lo:[0,0,1] neg_hi:[0,0,1]
	v_pk_fma_f32 v[0:1], v[52:53], v[48:49], v[0:1] op_sel:[0,0,1] op_sel_hi:[1,0,0]
	v_dual_mov_b32 v0, v55 :: v_dual_mul_f32 v52, v55, v48
	v_dual_mov_b32 v3, v1 :: v_dual_mov_b32 v1, v54
	s_delay_alu instid0(VALU_DEP_1) | instskip(SKIP_1) | instid1(VALU_DEP_3)
	v_pk_add_f32 v[220:221], v[220:221], v[2:3] neg_lo:[0,1] neg_hi:[0,1]
	v_mul_f32_e32 v2, v55, v51
	v_pk_fma_f32 v[0:1], v[0:1], v[174:175], v[52:53] op_sel_hi:[1,1,0]
	s_delay_alu instid0(VALU_DEP_2) | instskip(SKIP_2) | instid1(VALU_DEP_1)
	v_pk_fma_f32 v[2:3], v[54:55], v[174:175], v[2:3] op_sel_hi:[1,1,0] neg_lo:[0,0,1] neg_hi:[0,0,1]
	ds_load_2addr_b64 v[52:55], v6 offset0:48 offset1:49
	v_mov_b32_e32 v3, v1
	v_pk_add_f32 v[222:223], v[222:223], v[2:3] neg_lo:[0,1] neg_hi:[0,1]
	s_wait_dscnt 0x0
	v_pk_mul_f32 v[0:1], v[52:53], v[50:51] op_sel:[0,1]
	s_delay_alu instid0(VALU_DEP_1) | instskip(SKIP_1) | instid1(VALU_DEP_1)
	v_pk_fma_f32 v[2:3], v[52:53], v[48:49], v[0:1] op_sel:[0,0,1] op_sel_hi:[1,1,0] neg_lo:[0,0,1] neg_hi:[0,0,1]
	v_pk_fma_f32 v[0:1], v[52:53], v[48:49], v[0:1] op_sel:[0,0,1] op_sel_hi:[1,0,0]
	v_mov_b32_e32 v3, v1
	v_pk_mul_f32 v[0:1], v[54:55], v[50:51] op_sel:[0,1]
	s_delay_alu instid0(VALU_DEP_2) | instskip(NEXT) | instid1(VALU_DEP_2)
	v_pk_add_f32 v[224:225], v[224:225], v[2:3] neg_lo:[0,1] neg_hi:[0,1]
	v_pk_fma_f32 v[2:3], v[54:55], v[48:49], v[0:1] op_sel:[0,0,1] op_sel_hi:[1,1,0] neg_lo:[0,0,1] neg_hi:[0,0,1]
	v_pk_fma_f32 v[0:1], v[54:55], v[48:49], v[0:1] op_sel:[0,0,1] op_sel_hi:[1,0,0]
	ds_load_2addr_b64 v[52:55], v6 offset0:50 offset1:51
	v_mov_b32_e32 v3, v1
	s_delay_alu instid0(VALU_DEP_1) | instskip(SKIP_2) | instid1(VALU_DEP_1)
	v_pk_add_f32 v[226:227], v[226:227], v[2:3] neg_lo:[0,1] neg_hi:[0,1]
	s_wait_dscnt 0x0
	v_pk_mul_f32 v[0:1], v[52:53], v[50:51] op_sel:[0,1]
	v_pk_fma_f32 v[2:3], v[52:53], v[48:49], v[0:1] op_sel:[0,0,1] op_sel_hi:[1,1,0] neg_lo:[0,0,1] neg_hi:[0,0,1]
	v_pk_fma_f32 v[0:1], v[52:53], v[48:49], v[0:1] op_sel:[0,0,1] op_sel_hi:[1,0,0]
	s_delay_alu instid0(VALU_DEP_1) | instskip(SKIP_1) | instid1(VALU_DEP_2)
	v_mov_b32_e32 v3, v1
	v_pk_mul_f32 v[0:1], v[54:55], v[50:51] op_sel:[0,1]
	v_pk_add_f32 v[228:229], v[228:229], v[2:3] neg_lo:[0,1] neg_hi:[0,1]
	s_delay_alu instid0(VALU_DEP_2) | instskip(SKIP_3) | instid1(VALU_DEP_1)
	v_pk_fma_f32 v[2:3], v[54:55], v[48:49], v[0:1] op_sel:[0,0,1] op_sel_hi:[1,1,0] neg_lo:[0,0,1] neg_hi:[0,0,1]
	v_pk_fma_f32 v[0:1], v[54:55], v[48:49], v[0:1] op_sel:[0,0,1] op_sel_hi:[1,0,0]
	ds_load_2addr_b64 v[52:55], v6 offset0:52 offset1:53
	v_mov_b32_e32 v3, v1
	v_pk_add_f32 v[230:231], v[230:231], v[2:3] neg_lo:[0,1] neg_hi:[0,1]
	s_wait_dscnt 0x0
	v_dual_mul_f32 v0, v53, v51 :: v_dual_mul_f32 v2, v53, v48
	s_delay_alu instid0(VALU_DEP_1) | instskip(NEXT) | instid1(VALU_DEP_2)
	v_pk_fma_f32 v[0:1], v[52:53], v[174:175], v[0:1] op_sel_hi:[1,1,0] neg_lo:[0,0,1] neg_hi:[0,0,1]
	v_pk_fma_f32 v[2:3], v[52:53], v[174:175], v[2:3] op_sel:[1,0,0] op_sel_hi:[0,1,0]
	s_delay_alu instid0(VALU_DEP_1) | instskip(NEXT) | instid1(VALU_DEP_1)
	v_mov_b32_e32 v1, v3
	v_pk_add_f32 v[232:233], v[232:233], v[0:1] neg_lo:[0,1] neg_hi:[0,1]
	v_pk_mul_f32 v[0:1], v[54:55], v[50:51] op_sel:[0,1]
	s_delay_alu instid0(VALU_DEP_1) | instskip(SKIP_3) | instid1(VALU_DEP_1)
	v_pk_fma_f32 v[2:3], v[54:55], v[48:49], v[0:1] op_sel:[0,0,1] op_sel_hi:[1,1,0] neg_lo:[0,0,1] neg_hi:[0,0,1]
	v_pk_fma_f32 v[0:1], v[54:55], v[48:49], v[0:1] op_sel:[0,0,1] op_sel_hi:[1,0,0]
	ds_load_2addr_b64 v[52:55], v6 offset0:54 offset1:55
	v_mov_b32_e32 v3, v1
	v_pk_add_f32 v[234:235], v[234:235], v[2:3] neg_lo:[0,1] neg_hi:[0,1]
	s_wait_dscnt 0x0
	v_pk_mul_f32 v[0:1], v[52:53], v[50:51] op_sel:[0,1]
	s_delay_alu instid0(VALU_DEP_1) | instskip(SKIP_1) | instid1(VALU_DEP_1)
	v_pk_fma_f32 v[2:3], v[52:53], v[48:49], v[0:1] op_sel:[0,0,1] op_sel_hi:[1,1,0] neg_lo:[0,0,1] neg_hi:[0,0,1]
	v_pk_fma_f32 v[0:1], v[52:53], v[48:49], v[0:1] op_sel:[0,0,1] op_sel_hi:[1,0,0]
	v_mov_b32_e32 v3, v1
	v_pk_mul_f32 v[0:1], v[54:55], v[50:51] op_sel:[0,1]
	s_delay_alu instid0(VALU_DEP_2) | instskip(NEXT) | instid1(VALU_DEP_2)
	v_pk_add_f32 v[236:237], v[236:237], v[2:3] neg_lo:[0,1] neg_hi:[0,1]
	v_pk_fma_f32 v[2:3], v[54:55], v[48:49], v[0:1] op_sel:[0,0,1] op_sel_hi:[1,1,0] neg_lo:[0,0,1] neg_hi:[0,0,1]
	v_pk_fma_f32 v[0:1], v[54:55], v[48:49], v[0:1] op_sel:[0,0,1] op_sel_hi:[1,0,0]
	ds_load_2addr_b64 v[52:55], v6 offset0:56 offset1:57
	v_mov_b32_e32 v3, v1
	s_delay_alu instid0(VALU_DEP_1) | instskip(SKIP_2) | instid1(VALU_DEP_1)
	v_pk_add_f32 v[238:239], v[238:239], v[2:3] neg_lo:[0,1] neg_hi:[0,1]
	s_wait_dscnt 0x0
	v_pk_mul_f32 v[0:1], v[52:53], v[50:51] op_sel:[0,1]
	v_pk_fma_f32 v[2:3], v[52:53], v[48:49], v[0:1] op_sel:[0,0,1] op_sel_hi:[1,1,0] neg_lo:[0,0,1] neg_hi:[0,0,1]
	v_pk_fma_f32 v[0:1], v[52:53], v[48:49], v[0:1] op_sel:[0,0,1] op_sel_hi:[1,0,0]
	v_dual_mov_b32 v0, v55 :: v_dual_mul_f32 v52, v55, v48
	s_delay_alu instid0(VALU_DEP_2) | instskip(NEXT) | instid1(VALU_DEP_1)
	v_dual_mov_b32 v3, v1 :: v_dual_mov_b32 v1, v54
	v_pk_add_f32 v[248:249], v[248:249], v[2:3] neg_lo:[0,1] neg_hi:[0,1]
	v_mul_f32_e32 v2, v55, v51
	s_delay_alu instid0(VALU_DEP_3) | instskip(NEXT) | instid1(VALU_DEP_2)
	v_pk_fma_f32 v[0:1], v[0:1], v[174:175], v[52:53] op_sel_hi:[1,1,0]
	v_pk_fma_f32 v[2:3], v[54:55], v[174:175], v[2:3] op_sel_hi:[1,1,0] neg_lo:[0,0,1] neg_hi:[0,0,1]
	ds_load_2addr_b64 v[52:55], v6 offset0:58 offset1:59
	v_mov_b32_e32 v3, v1
	s_delay_alu instid0(VALU_DEP_1) | instskip(SKIP_2) | instid1(VALU_DEP_1)
	v_pk_add_f32 v[242:243], v[242:243], v[2:3] neg_lo:[0,1] neg_hi:[0,1]
	s_wait_dscnt 0x0
	v_pk_mul_f32 v[0:1], v[52:53], v[50:51] op_sel:[0,1]
	v_pk_fma_f32 v[2:3], v[52:53], v[48:49], v[0:1] op_sel:[0,0,1] op_sel_hi:[1,1,0] neg_lo:[0,0,1] neg_hi:[0,0,1]
	v_pk_fma_f32 v[0:1], v[52:53], v[48:49], v[0:1] op_sel:[0,0,1] op_sel_hi:[1,0,0]
	s_delay_alu instid0(VALU_DEP_1) | instskip(SKIP_1) | instid1(VALU_DEP_2)
	v_mov_b32_e32 v3, v1
	v_pk_mul_f32 v[0:1], v[54:55], v[50:51] op_sel:[0,1]
	v_pk_add_f32 v[246:247], v[246:247], v[2:3] neg_lo:[0,1] neg_hi:[0,1]
	s_delay_alu instid0(VALU_DEP_2) | instskip(SKIP_3) | instid1(VALU_DEP_1)
	v_pk_fma_f32 v[2:3], v[54:55], v[48:49], v[0:1] op_sel:[0,0,1] op_sel_hi:[1,1,0] neg_lo:[0,0,1] neg_hi:[0,0,1]
	v_pk_fma_f32 v[0:1], v[54:55], v[48:49], v[0:1] op_sel:[0,0,1] op_sel_hi:[1,0,0]
	ds_load_2addr_b64 v[52:55], v6 offset0:60 offset1:61
	v_mov_b32_e32 v3, v1
	v_pk_add_f32 v[240:241], v[240:241], v[2:3] neg_lo:[0,1] neg_hi:[0,1]
	s_wait_dscnt 0x0
	v_pk_mul_f32 v[0:1], v[52:53], v[50:51] op_sel:[0,1]
	s_delay_alu instid0(VALU_DEP_1) | instskip(SKIP_1) | instid1(VALU_DEP_1)
	v_pk_fma_f32 v[2:3], v[52:53], v[48:49], v[0:1] op_sel:[0,0,1] op_sel_hi:[1,1,0] neg_lo:[0,0,1] neg_hi:[0,0,1]
	v_pk_fma_f32 v[0:1], v[52:53], v[48:49], v[0:1] op_sel:[0,0,1] op_sel_hi:[1,0,0]
	v_mov_b32_e32 v3, v1
	v_pk_mul_f32 v[0:1], v[54:55], v[50:51] op_sel:[0,1]
	s_delay_alu instid0(VALU_DEP_2) | instskip(NEXT) | instid1(VALU_DEP_2)
	v_pk_add_f32 v[244:245], v[244:245], v[2:3] neg_lo:[0,1] neg_hi:[0,1]
	v_pk_fma_f32 v[2:3], v[54:55], v[48:49], v[0:1] op_sel:[0,0,1] op_sel_hi:[1,1,0] neg_lo:[0,0,1] neg_hi:[0,0,1]
	v_pk_fma_f32 v[0:1], v[54:55], v[48:49], v[0:1] op_sel:[0,0,1] op_sel_hi:[1,0,0]
	s_delay_alu instid0(VALU_DEP_1) | instskip(SKIP_4) | instid1(VALU_DEP_1)
	v_mov_b32_e32 v3, v1
	ds_load_b64 v[0:1], v6 offset:496
	v_pk_add_f32 v[250:251], v[250:251], v[2:3] neg_lo:[0,1] neg_hi:[0,1]
	s_wait_dscnt 0x0
	v_pk_mul_f32 v[2:3], v[0:1], v[50:51] op_sel:[0,1]
	v_pk_fma_f32 v[50:51], v[0:1], v[48:49], v[2:3] op_sel:[0,0,1] op_sel_hi:[1,1,0] neg_lo:[0,0,1] neg_hi:[0,0,1]
	v_pk_fma_f32 v[0:1], v[0:1], v[48:49], v[2:3] op_sel:[0,0,1] op_sel_hi:[1,0,0]
	s_delay_alu instid0(VALU_DEP_1) | instskip(NEXT) | instid1(VALU_DEP_1)
	v_mov_b32_e32 v51, v1
	v_pk_add_f32 v[252:253], v[252:253], v[50:51] neg_lo:[0,1] neg_hi:[0,1]
.LBB125_217:
	s_or_b32 exec_lo, exec_lo, s1
	s_delay_alu instid0(SALU_CYCLE_1)
	s_mov_b32 s2, exec_lo
	s_wait_dscnt 0x0
	s_barrier_signal -1
	s_barrier_wait -1
	v_cmpx_eq_u32_e32 24, v254
	s_cbranch_execz .LBB125_224
; %bb.218:
	ds_store_b64 v255, v[176:177]
	ds_store_2addr_b64 v6, v[178:179], v[180:181] offset0:25 offset1:26
	ds_store_2addr_b64 v6, v[182:183], v[184:185] offset0:27 offset1:28
	;; [unrolled: 1-line block ×19, first 2 shown]
	ds_load_b64 v[48:49], v255
	s_wait_dscnt 0x0
	v_cmp_neq_f32_e32 vcc_lo, 0, v48
	v_cmp_neq_f32_e64 s1, 0, v49
	s_or_b32 s1, vcc_lo, s1
	s_delay_alu instid0(SALU_CYCLE_1)
	s_and_b32 exec_lo, exec_lo, s1
	s_cbranch_execz .LBB125_224
; %bb.219:
	v_cmp_ngt_f32_e64 s1, |v48|, |v49|
                                        ; implicit-def: $vgpr50_vgpr51
	s_and_saveexec_b32 s4, s1
	s_delay_alu instid0(SALU_CYCLE_1)
	s_xor_b32 s1, exec_lo, s4
	s_cbranch_execz .LBB125_221
; %bb.220:
	v_div_scale_f32 v0, null, v49, v49, v48
	v_div_scale_f32 v3, vcc_lo, v48, v49, v48
	s_delay_alu instid0(VALU_DEP_2) | instskip(SKIP_1) | instid1(TRANS32_DEP_1)
	v_rcp_f32_e32 v1, v0
	v_nop
	v_fma_f32 v2, -v0, v1, 1.0
	s_delay_alu instid0(VALU_DEP_1) | instskip(NEXT) | instid1(VALU_DEP_1)
	v_fmac_f32_e32 v1, v2, v1
	v_mul_f32_e32 v2, v3, v1
	s_delay_alu instid0(VALU_DEP_1) | instskip(NEXT) | instid1(VALU_DEP_1)
	v_fma_f32 v4, -v0, v2, v3
	v_fmac_f32_e32 v2, v4, v1
	s_delay_alu instid0(VALU_DEP_1) | instskip(NEXT) | instid1(VALU_DEP_1)
	v_fma_f32 v0, -v0, v2, v3
	v_div_fmas_f32 v0, v0, v1, v2
	s_delay_alu instid0(VALU_DEP_1) | instskip(NEXT) | instid1(VALU_DEP_1)
	v_div_fixup_f32 v0, v0, v49, v48
	v_fmac_f32_e32 v49, v48, v0
	s_delay_alu instid0(VALU_DEP_1) | instskip(SKIP_1) | instid1(VALU_DEP_2)
	v_div_scale_f32 v1, null, v49, v49, 1.0
	v_div_scale_f32 v4, vcc_lo, 1.0, v49, 1.0
	v_rcp_f32_e32 v2, v1
	v_nop
	s_delay_alu instid0(TRANS32_DEP_1) | instskip(NEXT) | instid1(VALU_DEP_1)
	v_fma_f32 v3, -v1, v2, 1.0
	v_fmac_f32_e32 v2, v3, v2
	s_delay_alu instid0(VALU_DEP_1) | instskip(NEXT) | instid1(VALU_DEP_1)
	v_mul_f32_e32 v3, v4, v2
	v_fma_f32 v5, -v1, v3, v4
	s_delay_alu instid0(VALU_DEP_1) | instskip(NEXT) | instid1(VALU_DEP_1)
	v_fmac_f32_e32 v3, v5, v2
	v_fma_f32 v1, -v1, v3, v4
	s_delay_alu instid0(VALU_DEP_1) | instskip(NEXT) | instid1(VALU_DEP_1)
	v_div_fmas_f32 v1, v1, v2, v3
	v_div_fixup_f32 v1, v1, v49, 1.0
                                        ; implicit-def: $vgpr48_vgpr49
	s_delay_alu instid0(VALU_DEP_1)
	v_mul_f32_e32 v50, v0, v1
	v_xor_b32_e32 v51, 0x80000000, v1
.LBB125_221:
	s_and_not1_saveexec_b32 s1, s1
	s_cbranch_execz .LBB125_223
; %bb.222:
	v_div_scale_f32 v0, null, v48, v48, v49
	v_div_scale_f32 v3, vcc_lo, v49, v48, v49
	s_delay_alu instid0(VALU_DEP_2) | instskip(SKIP_1) | instid1(TRANS32_DEP_1)
	v_rcp_f32_e32 v1, v0
	v_nop
	v_fma_f32 v2, -v0, v1, 1.0
	s_delay_alu instid0(VALU_DEP_1) | instskip(NEXT) | instid1(VALU_DEP_1)
	v_fmac_f32_e32 v1, v2, v1
	v_mul_f32_e32 v2, v3, v1
	s_delay_alu instid0(VALU_DEP_1) | instskip(NEXT) | instid1(VALU_DEP_1)
	v_fma_f32 v4, -v0, v2, v3
	v_fmac_f32_e32 v2, v4, v1
	s_delay_alu instid0(VALU_DEP_1) | instskip(NEXT) | instid1(VALU_DEP_1)
	v_fma_f32 v0, -v0, v2, v3
	v_div_fmas_f32 v0, v0, v1, v2
	s_delay_alu instid0(VALU_DEP_1) | instskip(NEXT) | instid1(VALU_DEP_1)
	v_div_fixup_f32 v0, v0, v48, v49
	v_fmac_f32_e32 v48, v49, v0
	s_delay_alu instid0(VALU_DEP_1) | instskip(NEXT) | instid1(VALU_DEP_1)
	v_div_scale_f32 v1, null, v48, v48, 1.0
	v_rcp_f32_e32 v2, v1
	v_nop
	s_delay_alu instid0(TRANS32_DEP_1) | instskip(NEXT) | instid1(VALU_DEP_1)
	v_fma_f32 v3, -v1, v2, 1.0
	v_fmac_f32_e32 v2, v3, v2
	v_div_scale_f32 v3, vcc_lo, 1.0, v48, 1.0
	s_delay_alu instid0(VALU_DEP_1) | instskip(NEXT) | instid1(VALU_DEP_1)
	v_mul_f32_e32 v4, v3, v2
	v_fma_f32 v5, -v1, v4, v3
	s_delay_alu instid0(VALU_DEP_1) | instskip(NEXT) | instid1(VALU_DEP_1)
	v_fmac_f32_e32 v4, v5, v2
	v_fma_f32 v1, -v1, v4, v3
	s_delay_alu instid0(VALU_DEP_1) | instskip(NEXT) | instid1(VALU_DEP_1)
	v_div_fmas_f32 v1, v1, v2, v4
	v_div_fixup_f32 v50, v1, v48, 1.0
	s_delay_alu instid0(VALU_DEP_1)
	v_mul_f32_e64 v51, v0, -v50
.LBB125_223:
	s_or_b32 exec_lo, exec_lo, s1
	ds_store_b64 v255, v[50:51]
.LBB125_224:
	s_or_b32 exec_lo, exec_lo, s2
	s_wait_dscnt 0x0
	s_barrier_signal -1
	s_barrier_wait -1
	ds_load_b64 v[48:49], v255
	s_mov_b32 s1, exec_lo
	v_cmpx_lt_u32_e32 24, v254
	s_cbranch_execz .LBB125_226
; %bb.225:
	ds_load_2addr_b64 v[54:57], v6 offset0:25 offset1:26
	s_wait_dscnt 0x1
	v_pk_mul_f32 v[0:1], v[48:49], v[176:177] op_sel:[1,1] op_sel_hi:[0,1]
	s_delay_alu instid0(VALU_DEP_1) | instskip(SKIP_1) | instid1(VALU_DEP_1)
	v_pk_fma_f32 v[52:53], v[48:49], v[176:177], v[0:1] op_sel_hi:[1,0,1]
	v_pk_fma_f32 v[50:51], v[48:49], v[176:177], v[0:1] op_sel_hi:[1,0,1] neg_lo:[0,0,1] neg_hi:[0,0,1]
	v_dual_mov_b32 v177, v53 :: v_dual_mov_b32 v176, v50
	s_wait_dscnt 0x0
	s_delay_alu instid0(VALU_DEP_3) | instskip(NEXT) | instid1(VALU_DEP_1)
	v_pk_mul_f32 v[0:1], v[54:55], v[52:53] op_sel:[0,1]
	v_pk_fma_f32 v[2:3], v[54:55], v[50:51], v[0:1] op_sel:[0,0,1] op_sel_hi:[1,1,0] neg_lo:[0,0,1] neg_hi:[0,0,1]
	v_pk_fma_f32 v[0:1], v[54:55], v[50:51], v[0:1] op_sel:[0,0,1] op_sel_hi:[1,0,0]
	s_delay_alu instid0(VALU_DEP_1) | instskip(SKIP_1) | instid1(VALU_DEP_2)
	v_mov_b32_e32 v3, v1
	v_pk_mul_f32 v[0:1], v[56:57], v[52:53] op_sel:[0,1]
	v_pk_add_f32 v[178:179], v[178:179], v[2:3] neg_lo:[0,1] neg_hi:[0,1]
	s_delay_alu instid0(VALU_DEP_2) | instskip(SKIP_3) | instid1(VALU_DEP_1)
	v_pk_fma_f32 v[2:3], v[56:57], v[50:51], v[0:1] op_sel:[0,0,1] op_sel_hi:[1,1,0] neg_lo:[0,0,1] neg_hi:[0,0,1]
	v_pk_fma_f32 v[0:1], v[56:57], v[50:51], v[0:1] op_sel:[0,0,1] op_sel_hi:[1,0,0]
	ds_load_2addr_b64 v[54:57], v6 offset0:27 offset1:28
	v_mov_b32_e32 v3, v1
	v_pk_add_f32 v[180:181], v[180:181], v[2:3] neg_lo:[0,1] neg_hi:[0,1]
	s_wait_dscnt 0x0
	v_pk_mul_f32 v[0:1], v[54:55], v[52:53] op_sel:[0,1]
	s_delay_alu instid0(VALU_DEP_1) | instskip(SKIP_2) | instid1(VALU_DEP_2)
	v_pk_fma_f32 v[2:3], v[54:55], v[50:51], v[0:1] op_sel:[0,0,1] op_sel_hi:[1,1,0] neg_lo:[0,0,1] neg_hi:[0,0,1]
	v_pk_fma_f32 v[0:1], v[54:55], v[50:51], v[0:1] op_sel:[0,0,1] op_sel_hi:[1,0,0]
	v_dual_mov_b32 v0, v57 :: v_dual_mul_f32 v54, v57, v50
	v_dual_mov_b32 v3, v1 :: v_dual_mov_b32 v1, v56
	s_delay_alu instid0(VALU_DEP_1) | instskip(SKIP_1) | instid1(VALU_DEP_3)
	v_pk_add_f32 v[182:183], v[182:183], v[2:3] neg_lo:[0,1] neg_hi:[0,1]
	v_mul_f32_e32 v2, v57, v53
	v_pk_fma_f32 v[0:1], v[0:1], v[176:177], v[54:55] op_sel_hi:[1,1,0]
	s_delay_alu instid0(VALU_DEP_2) | instskip(SKIP_2) | instid1(VALU_DEP_1)
	v_pk_fma_f32 v[2:3], v[56:57], v[176:177], v[2:3] op_sel_hi:[1,1,0] neg_lo:[0,0,1] neg_hi:[0,0,1]
	ds_load_2addr_b64 v[54:57], v6 offset0:29 offset1:30
	v_mov_b32_e32 v3, v1
	v_pk_add_f32 v[184:185], v[184:185], v[2:3] neg_lo:[0,1] neg_hi:[0,1]
	s_wait_dscnt 0x0
	v_pk_mul_f32 v[0:1], v[54:55], v[52:53] op_sel:[0,1]
	s_delay_alu instid0(VALU_DEP_1) | instskip(SKIP_1) | instid1(VALU_DEP_1)
	v_pk_fma_f32 v[2:3], v[54:55], v[50:51], v[0:1] op_sel:[0,0,1] op_sel_hi:[1,1,0] neg_lo:[0,0,1] neg_hi:[0,0,1]
	v_pk_fma_f32 v[0:1], v[54:55], v[50:51], v[0:1] op_sel:[0,0,1] op_sel_hi:[1,0,0]
	v_mov_b32_e32 v3, v1
	v_pk_mul_f32 v[0:1], v[56:57], v[52:53] op_sel:[0,1]
	s_delay_alu instid0(VALU_DEP_2) | instskip(NEXT) | instid1(VALU_DEP_2)
	v_pk_add_f32 v[186:187], v[186:187], v[2:3] neg_lo:[0,1] neg_hi:[0,1]
	v_pk_fma_f32 v[2:3], v[56:57], v[50:51], v[0:1] op_sel:[0,0,1] op_sel_hi:[1,1,0] neg_lo:[0,0,1] neg_hi:[0,0,1]
	v_pk_fma_f32 v[0:1], v[56:57], v[50:51], v[0:1] op_sel:[0,0,1] op_sel_hi:[1,0,0]
	ds_load_2addr_b64 v[54:57], v6 offset0:31 offset1:32
	v_mov_b32_e32 v3, v1
	s_delay_alu instid0(VALU_DEP_1) | instskip(SKIP_2) | instid1(VALU_DEP_1)
	v_pk_add_f32 v[188:189], v[188:189], v[2:3] neg_lo:[0,1] neg_hi:[0,1]
	s_wait_dscnt 0x0
	v_pk_mul_f32 v[0:1], v[54:55], v[52:53] op_sel:[0,1]
	v_pk_fma_f32 v[2:3], v[54:55], v[50:51], v[0:1] op_sel:[0,0,1] op_sel_hi:[1,1,0] neg_lo:[0,0,1] neg_hi:[0,0,1]
	v_pk_fma_f32 v[0:1], v[54:55], v[50:51], v[0:1] op_sel:[0,0,1] op_sel_hi:[1,0,0]
	s_delay_alu instid0(VALU_DEP_1) | instskip(SKIP_1) | instid1(VALU_DEP_2)
	v_mov_b32_e32 v3, v1
	v_pk_mul_f32 v[0:1], v[56:57], v[52:53] op_sel:[0,1]
	v_pk_add_f32 v[190:191], v[190:191], v[2:3] neg_lo:[0,1] neg_hi:[0,1]
	s_delay_alu instid0(VALU_DEP_2) | instskip(SKIP_3) | instid1(VALU_DEP_1)
	v_pk_fma_f32 v[2:3], v[56:57], v[50:51], v[0:1] op_sel:[0,0,1] op_sel_hi:[1,1,0] neg_lo:[0,0,1] neg_hi:[0,0,1]
	v_pk_fma_f32 v[0:1], v[56:57], v[50:51], v[0:1] op_sel:[0,0,1] op_sel_hi:[1,0,0]
	ds_load_2addr_b64 v[54:57], v6 offset0:33 offset1:34
	v_mov_b32_e32 v3, v1
	v_pk_add_f32 v[192:193], v[192:193], v[2:3] neg_lo:[0,1] neg_hi:[0,1]
	s_wait_dscnt 0x0
	v_dual_mul_f32 v2, v55, v50 :: v_dual_mul_f32 v0, v55, v53
	s_delay_alu instid0(VALU_DEP_1) | instskip(NEXT) | instid1(VALU_DEP_2)
	v_pk_fma_f32 v[2:3], v[54:55], v[176:177], v[2:3] op_sel:[1,0,0] op_sel_hi:[0,1,0]
	v_pk_fma_f32 v[0:1], v[54:55], v[176:177], v[0:1] op_sel_hi:[1,1,0] neg_lo:[0,0,1] neg_hi:[0,0,1]
	s_delay_alu instid0(VALU_DEP_2) | instskip(NEXT) | instid1(VALU_DEP_1)
	v_mov_b32_e32 v1, v3
	v_pk_add_f32 v[194:195], v[194:195], v[0:1] neg_lo:[0,1] neg_hi:[0,1]
	v_pk_mul_f32 v[0:1], v[56:57], v[52:53] op_sel:[0,1]
	s_delay_alu instid0(VALU_DEP_1) | instskip(SKIP_3) | instid1(VALU_DEP_1)
	v_pk_fma_f32 v[2:3], v[56:57], v[50:51], v[0:1] op_sel:[0,0,1] op_sel_hi:[1,1,0] neg_lo:[0,0,1] neg_hi:[0,0,1]
	v_pk_fma_f32 v[0:1], v[56:57], v[50:51], v[0:1] op_sel:[0,0,1] op_sel_hi:[1,0,0]
	ds_load_2addr_b64 v[54:57], v6 offset0:35 offset1:36
	v_mov_b32_e32 v3, v1
	v_pk_add_f32 v[196:197], v[196:197], v[2:3] neg_lo:[0,1] neg_hi:[0,1]
	s_wait_dscnt 0x0
	v_pk_mul_f32 v[0:1], v[54:55], v[52:53] op_sel:[0,1]
	s_delay_alu instid0(VALU_DEP_1) | instskip(SKIP_1) | instid1(VALU_DEP_1)
	v_pk_fma_f32 v[2:3], v[54:55], v[50:51], v[0:1] op_sel:[0,0,1] op_sel_hi:[1,1,0] neg_lo:[0,0,1] neg_hi:[0,0,1]
	v_pk_fma_f32 v[0:1], v[54:55], v[50:51], v[0:1] op_sel:[0,0,1] op_sel_hi:[1,0,0]
	v_mov_b32_e32 v3, v1
	v_pk_mul_f32 v[0:1], v[56:57], v[52:53] op_sel:[0,1]
	s_delay_alu instid0(VALU_DEP_2) | instskip(NEXT) | instid1(VALU_DEP_2)
	v_pk_add_f32 v[198:199], v[198:199], v[2:3] neg_lo:[0,1] neg_hi:[0,1]
	v_pk_fma_f32 v[2:3], v[56:57], v[50:51], v[0:1] op_sel:[0,0,1] op_sel_hi:[1,1,0] neg_lo:[0,0,1] neg_hi:[0,0,1]
	v_pk_fma_f32 v[0:1], v[56:57], v[50:51], v[0:1] op_sel:[0,0,1] op_sel_hi:[1,0,0]
	ds_load_2addr_b64 v[54:57], v6 offset0:37 offset1:38
	v_mov_b32_e32 v3, v1
	s_delay_alu instid0(VALU_DEP_1) | instskip(SKIP_2) | instid1(VALU_DEP_1)
	v_pk_add_f32 v[200:201], v[200:201], v[2:3] neg_lo:[0,1] neg_hi:[0,1]
	s_wait_dscnt 0x0
	v_pk_mul_f32 v[0:1], v[54:55], v[52:53] op_sel:[0,1]
	v_pk_fma_f32 v[2:3], v[54:55], v[50:51], v[0:1] op_sel:[0,0,1] op_sel_hi:[1,1,0] neg_lo:[0,0,1] neg_hi:[0,0,1]
	v_pk_fma_f32 v[0:1], v[54:55], v[50:51], v[0:1] op_sel:[0,0,1] op_sel_hi:[1,0,0]
	v_dual_mov_b32 v0, v57 :: v_dual_mul_f32 v54, v57, v50
	s_delay_alu instid0(VALU_DEP_2) | instskip(NEXT) | instid1(VALU_DEP_1)
	v_dual_mov_b32 v3, v1 :: v_dual_mov_b32 v1, v56
	v_pk_add_f32 v[202:203], v[202:203], v[2:3] neg_lo:[0,1] neg_hi:[0,1]
	v_mul_f32_e32 v2, v57, v53
	s_delay_alu instid0(VALU_DEP_3) | instskip(NEXT) | instid1(VALU_DEP_2)
	v_pk_fma_f32 v[0:1], v[0:1], v[176:177], v[54:55] op_sel_hi:[1,1,0]
	v_pk_fma_f32 v[2:3], v[56:57], v[176:177], v[2:3] op_sel_hi:[1,1,0] neg_lo:[0,0,1] neg_hi:[0,0,1]
	ds_load_2addr_b64 v[54:57], v6 offset0:39 offset1:40
	v_mov_b32_e32 v3, v1
	s_delay_alu instid0(VALU_DEP_1) | instskip(SKIP_2) | instid1(VALU_DEP_1)
	v_pk_add_f32 v[204:205], v[204:205], v[2:3] neg_lo:[0,1] neg_hi:[0,1]
	s_wait_dscnt 0x0
	v_pk_mul_f32 v[0:1], v[54:55], v[52:53] op_sel:[0,1]
	v_pk_fma_f32 v[2:3], v[54:55], v[50:51], v[0:1] op_sel:[0,0,1] op_sel_hi:[1,1,0] neg_lo:[0,0,1] neg_hi:[0,0,1]
	v_pk_fma_f32 v[0:1], v[54:55], v[50:51], v[0:1] op_sel:[0,0,1] op_sel_hi:[1,0,0]
	s_delay_alu instid0(VALU_DEP_1) | instskip(SKIP_1) | instid1(VALU_DEP_2)
	v_mov_b32_e32 v3, v1
	v_pk_mul_f32 v[0:1], v[56:57], v[52:53] op_sel:[0,1]
	v_pk_add_f32 v[206:207], v[206:207], v[2:3] neg_lo:[0,1] neg_hi:[0,1]
	s_delay_alu instid0(VALU_DEP_2) | instskip(SKIP_3) | instid1(VALU_DEP_1)
	v_pk_fma_f32 v[2:3], v[56:57], v[50:51], v[0:1] op_sel:[0,0,1] op_sel_hi:[1,1,0] neg_lo:[0,0,1] neg_hi:[0,0,1]
	v_pk_fma_f32 v[0:1], v[56:57], v[50:51], v[0:1] op_sel:[0,0,1] op_sel_hi:[1,0,0]
	ds_load_2addr_b64 v[54:57], v6 offset0:41 offset1:42
	v_mov_b32_e32 v3, v1
	v_pk_add_f32 v[208:209], v[208:209], v[2:3] neg_lo:[0,1] neg_hi:[0,1]
	s_wait_dscnt 0x0
	v_pk_mul_f32 v[0:1], v[54:55], v[52:53] op_sel:[0,1]
	s_delay_alu instid0(VALU_DEP_1) | instskip(SKIP_1) | instid1(VALU_DEP_1)
	v_pk_fma_f32 v[2:3], v[54:55], v[50:51], v[0:1] op_sel:[0,0,1] op_sel_hi:[1,1,0] neg_lo:[0,0,1] neg_hi:[0,0,1]
	v_pk_fma_f32 v[0:1], v[54:55], v[50:51], v[0:1] op_sel:[0,0,1] op_sel_hi:[1,0,0]
	v_mov_b32_e32 v3, v1
	v_pk_mul_f32 v[0:1], v[56:57], v[52:53] op_sel:[0,1]
	s_delay_alu instid0(VALU_DEP_2) | instskip(NEXT) | instid1(VALU_DEP_2)
	v_pk_add_f32 v[210:211], v[210:211], v[2:3] neg_lo:[0,1] neg_hi:[0,1]
	v_pk_fma_f32 v[2:3], v[56:57], v[50:51], v[0:1] op_sel:[0,0,1] op_sel_hi:[1,1,0] neg_lo:[0,0,1] neg_hi:[0,0,1]
	v_pk_fma_f32 v[0:1], v[56:57], v[50:51], v[0:1] op_sel:[0,0,1] op_sel_hi:[1,0,0]
	ds_load_2addr_b64 v[54:57], v6 offset0:43 offset1:44
	v_mov_b32_e32 v3, v1
	s_delay_alu instid0(VALU_DEP_1) | instskip(SKIP_2) | instid1(VALU_DEP_1)
	v_pk_add_f32 v[212:213], v[212:213], v[2:3] neg_lo:[0,1] neg_hi:[0,1]
	s_wait_dscnt 0x0
	v_dual_mul_f32 v2, v55, v50 :: v_dual_mul_f32 v0, v55, v53
	v_pk_fma_f32 v[2:3], v[54:55], v[176:177], v[2:3] op_sel:[1,0,0] op_sel_hi:[0,1,0]
	s_delay_alu instid0(VALU_DEP_2) | instskip(NEXT) | instid1(VALU_DEP_2)
	v_pk_fma_f32 v[0:1], v[54:55], v[176:177], v[0:1] op_sel_hi:[1,1,0] neg_lo:[0,0,1] neg_hi:[0,0,1]
	v_mov_b32_e32 v1, v3
	s_delay_alu instid0(VALU_DEP_1) | instskip(SKIP_1) | instid1(VALU_DEP_1)
	v_pk_add_f32 v[214:215], v[214:215], v[0:1] neg_lo:[0,1] neg_hi:[0,1]
	v_pk_mul_f32 v[0:1], v[56:57], v[52:53] op_sel:[0,1]
	v_pk_fma_f32 v[2:3], v[56:57], v[50:51], v[0:1] op_sel:[0,0,1] op_sel_hi:[1,1,0] neg_lo:[0,0,1] neg_hi:[0,0,1]
	v_pk_fma_f32 v[0:1], v[56:57], v[50:51], v[0:1] op_sel:[0,0,1] op_sel_hi:[1,0,0]
	ds_load_2addr_b64 v[54:57], v6 offset0:45 offset1:46
	v_mov_b32_e32 v3, v1
	s_delay_alu instid0(VALU_DEP_1) | instskip(SKIP_2) | instid1(VALU_DEP_1)
	v_pk_add_f32 v[216:217], v[216:217], v[2:3] neg_lo:[0,1] neg_hi:[0,1]
	s_wait_dscnt 0x0
	v_pk_mul_f32 v[0:1], v[54:55], v[52:53] op_sel:[0,1]
	v_pk_fma_f32 v[2:3], v[54:55], v[50:51], v[0:1] op_sel:[0,0,1] op_sel_hi:[1,1,0] neg_lo:[0,0,1] neg_hi:[0,0,1]
	v_pk_fma_f32 v[0:1], v[54:55], v[50:51], v[0:1] op_sel:[0,0,1] op_sel_hi:[1,0,0]
	s_delay_alu instid0(VALU_DEP_1) | instskip(SKIP_1) | instid1(VALU_DEP_2)
	v_mov_b32_e32 v3, v1
	v_pk_mul_f32 v[0:1], v[56:57], v[52:53] op_sel:[0,1]
	v_pk_add_f32 v[218:219], v[218:219], v[2:3] neg_lo:[0,1] neg_hi:[0,1]
	s_delay_alu instid0(VALU_DEP_2) | instskip(SKIP_3) | instid1(VALU_DEP_1)
	v_pk_fma_f32 v[2:3], v[56:57], v[50:51], v[0:1] op_sel:[0,0,1] op_sel_hi:[1,1,0] neg_lo:[0,0,1] neg_hi:[0,0,1]
	v_pk_fma_f32 v[0:1], v[56:57], v[50:51], v[0:1] op_sel:[0,0,1] op_sel_hi:[1,0,0]
	ds_load_2addr_b64 v[54:57], v6 offset0:47 offset1:48
	v_mov_b32_e32 v3, v1
	v_pk_add_f32 v[220:221], v[220:221], v[2:3] neg_lo:[0,1] neg_hi:[0,1]
	s_wait_dscnt 0x0
	v_pk_mul_f32 v[0:1], v[54:55], v[52:53] op_sel:[0,1]
	s_delay_alu instid0(VALU_DEP_1) | instskip(SKIP_2) | instid1(VALU_DEP_2)
	v_pk_fma_f32 v[2:3], v[54:55], v[50:51], v[0:1] op_sel:[0,0,1] op_sel_hi:[1,1,0] neg_lo:[0,0,1] neg_hi:[0,0,1]
	v_pk_fma_f32 v[0:1], v[54:55], v[50:51], v[0:1] op_sel:[0,0,1] op_sel_hi:[1,0,0]
	v_dual_mov_b32 v0, v57 :: v_dual_mul_f32 v54, v57, v50
	v_dual_mov_b32 v3, v1 :: v_dual_mov_b32 v1, v56
	s_delay_alu instid0(VALU_DEP_1) | instskip(SKIP_1) | instid1(VALU_DEP_3)
	v_pk_add_f32 v[222:223], v[222:223], v[2:3] neg_lo:[0,1] neg_hi:[0,1]
	v_mul_f32_e32 v2, v57, v53
	v_pk_fma_f32 v[0:1], v[0:1], v[176:177], v[54:55] op_sel_hi:[1,1,0]
	s_delay_alu instid0(VALU_DEP_2) | instskip(SKIP_2) | instid1(VALU_DEP_1)
	v_pk_fma_f32 v[2:3], v[56:57], v[176:177], v[2:3] op_sel_hi:[1,1,0] neg_lo:[0,0,1] neg_hi:[0,0,1]
	ds_load_2addr_b64 v[54:57], v6 offset0:49 offset1:50
	v_mov_b32_e32 v3, v1
	v_pk_add_f32 v[224:225], v[224:225], v[2:3] neg_lo:[0,1] neg_hi:[0,1]
	s_wait_dscnt 0x0
	v_pk_mul_f32 v[0:1], v[54:55], v[52:53] op_sel:[0,1]
	s_delay_alu instid0(VALU_DEP_1) | instskip(SKIP_1) | instid1(VALU_DEP_1)
	v_pk_fma_f32 v[2:3], v[54:55], v[50:51], v[0:1] op_sel:[0,0,1] op_sel_hi:[1,1,0] neg_lo:[0,0,1] neg_hi:[0,0,1]
	v_pk_fma_f32 v[0:1], v[54:55], v[50:51], v[0:1] op_sel:[0,0,1] op_sel_hi:[1,0,0]
	v_mov_b32_e32 v3, v1
	v_pk_mul_f32 v[0:1], v[56:57], v[52:53] op_sel:[0,1]
	s_delay_alu instid0(VALU_DEP_2) | instskip(NEXT) | instid1(VALU_DEP_2)
	v_pk_add_f32 v[226:227], v[226:227], v[2:3] neg_lo:[0,1] neg_hi:[0,1]
	v_pk_fma_f32 v[2:3], v[56:57], v[50:51], v[0:1] op_sel:[0,0,1] op_sel_hi:[1,1,0] neg_lo:[0,0,1] neg_hi:[0,0,1]
	v_pk_fma_f32 v[0:1], v[56:57], v[50:51], v[0:1] op_sel:[0,0,1] op_sel_hi:[1,0,0]
	ds_load_2addr_b64 v[54:57], v6 offset0:51 offset1:52
	v_mov_b32_e32 v3, v1
	s_delay_alu instid0(VALU_DEP_1) | instskip(SKIP_2) | instid1(VALU_DEP_1)
	v_pk_add_f32 v[228:229], v[228:229], v[2:3] neg_lo:[0,1] neg_hi:[0,1]
	s_wait_dscnt 0x0
	v_pk_mul_f32 v[0:1], v[54:55], v[52:53] op_sel:[0,1]
	v_pk_fma_f32 v[2:3], v[54:55], v[50:51], v[0:1] op_sel:[0,0,1] op_sel_hi:[1,1,0] neg_lo:[0,0,1] neg_hi:[0,0,1]
	v_pk_fma_f32 v[0:1], v[54:55], v[50:51], v[0:1] op_sel:[0,0,1] op_sel_hi:[1,0,0]
	s_delay_alu instid0(VALU_DEP_1) | instskip(SKIP_1) | instid1(VALU_DEP_2)
	v_mov_b32_e32 v3, v1
	v_pk_mul_f32 v[0:1], v[56:57], v[52:53] op_sel:[0,1]
	v_pk_add_f32 v[230:231], v[230:231], v[2:3] neg_lo:[0,1] neg_hi:[0,1]
	s_delay_alu instid0(VALU_DEP_2) | instskip(SKIP_3) | instid1(VALU_DEP_1)
	v_pk_fma_f32 v[2:3], v[56:57], v[50:51], v[0:1] op_sel:[0,0,1] op_sel_hi:[1,1,0] neg_lo:[0,0,1] neg_hi:[0,0,1]
	v_pk_fma_f32 v[0:1], v[56:57], v[50:51], v[0:1] op_sel:[0,0,1] op_sel_hi:[1,0,0]
	ds_load_2addr_b64 v[54:57], v6 offset0:53 offset1:54
	v_mov_b32_e32 v3, v1
	v_pk_add_f32 v[232:233], v[232:233], v[2:3] neg_lo:[0,1] neg_hi:[0,1]
	s_wait_dscnt 0x0
	v_dual_mul_f32 v2, v55, v50 :: v_dual_mul_f32 v0, v55, v53
	s_delay_alu instid0(VALU_DEP_1) | instskip(NEXT) | instid1(VALU_DEP_2)
	v_pk_fma_f32 v[2:3], v[54:55], v[176:177], v[2:3] op_sel:[1,0,0] op_sel_hi:[0,1,0]
	v_pk_fma_f32 v[0:1], v[54:55], v[176:177], v[0:1] op_sel_hi:[1,1,0] neg_lo:[0,0,1] neg_hi:[0,0,1]
	s_delay_alu instid0(VALU_DEP_2) | instskip(NEXT) | instid1(VALU_DEP_1)
	v_mov_b32_e32 v1, v3
	v_pk_add_f32 v[234:235], v[234:235], v[0:1] neg_lo:[0,1] neg_hi:[0,1]
	v_pk_mul_f32 v[0:1], v[56:57], v[52:53] op_sel:[0,1]
	s_delay_alu instid0(VALU_DEP_1) | instskip(SKIP_3) | instid1(VALU_DEP_1)
	v_pk_fma_f32 v[2:3], v[56:57], v[50:51], v[0:1] op_sel:[0,0,1] op_sel_hi:[1,1,0] neg_lo:[0,0,1] neg_hi:[0,0,1]
	v_pk_fma_f32 v[0:1], v[56:57], v[50:51], v[0:1] op_sel:[0,0,1] op_sel_hi:[1,0,0]
	ds_load_2addr_b64 v[54:57], v6 offset0:55 offset1:56
	v_mov_b32_e32 v3, v1
	v_pk_add_f32 v[236:237], v[236:237], v[2:3] neg_lo:[0,1] neg_hi:[0,1]
	s_wait_dscnt 0x0
	v_pk_mul_f32 v[0:1], v[54:55], v[52:53] op_sel:[0,1]
	s_delay_alu instid0(VALU_DEP_1) | instskip(SKIP_1) | instid1(VALU_DEP_1)
	v_pk_fma_f32 v[2:3], v[54:55], v[50:51], v[0:1] op_sel:[0,0,1] op_sel_hi:[1,1,0] neg_lo:[0,0,1] neg_hi:[0,0,1]
	v_pk_fma_f32 v[0:1], v[54:55], v[50:51], v[0:1] op_sel:[0,0,1] op_sel_hi:[1,0,0]
	v_mov_b32_e32 v3, v1
	v_pk_mul_f32 v[0:1], v[56:57], v[52:53] op_sel:[0,1]
	s_delay_alu instid0(VALU_DEP_2) | instskip(NEXT) | instid1(VALU_DEP_2)
	v_pk_add_f32 v[238:239], v[238:239], v[2:3] neg_lo:[0,1] neg_hi:[0,1]
	v_pk_fma_f32 v[2:3], v[56:57], v[50:51], v[0:1] op_sel:[0,0,1] op_sel_hi:[1,1,0] neg_lo:[0,0,1] neg_hi:[0,0,1]
	v_pk_fma_f32 v[0:1], v[56:57], v[50:51], v[0:1] op_sel:[0,0,1] op_sel_hi:[1,0,0]
	ds_load_2addr_b64 v[54:57], v6 offset0:57 offset1:58
	v_mov_b32_e32 v3, v1
	s_delay_alu instid0(VALU_DEP_1) | instskip(SKIP_2) | instid1(VALU_DEP_1)
	v_pk_add_f32 v[248:249], v[248:249], v[2:3] neg_lo:[0,1] neg_hi:[0,1]
	s_wait_dscnt 0x0
	v_pk_mul_f32 v[0:1], v[54:55], v[52:53] op_sel:[0,1]
	v_pk_fma_f32 v[2:3], v[54:55], v[50:51], v[0:1] op_sel:[0,0,1] op_sel_hi:[1,1,0] neg_lo:[0,0,1] neg_hi:[0,0,1]
	v_pk_fma_f32 v[0:1], v[54:55], v[50:51], v[0:1] op_sel:[0,0,1] op_sel_hi:[1,0,0]
	v_dual_mov_b32 v0, v57 :: v_dual_mul_f32 v54, v57, v50
	s_delay_alu instid0(VALU_DEP_2) | instskip(NEXT) | instid1(VALU_DEP_1)
	v_dual_mov_b32 v3, v1 :: v_dual_mov_b32 v1, v56
	v_pk_add_f32 v[242:243], v[242:243], v[2:3] neg_lo:[0,1] neg_hi:[0,1]
	v_mul_f32_e32 v2, v57, v53
	s_delay_alu instid0(VALU_DEP_3) | instskip(NEXT) | instid1(VALU_DEP_2)
	v_pk_fma_f32 v[0:1], v[0:1], v[176:177], v[54:55] op_sel_hi:[1,1,0]
	v_pk_fma_f32 v[2:3], v[56:57], v[176:177], v[2:3] op_sel_hi:[1,1,0] neg_lo:[0,0,1] neg_hi:[0,0,1]
	ds_load_2addr_b64 v[54:57], v6 offset0:59 offset1:60
	v_mov_b32_e32 v3, v1
	s_delay_alu instid0(VALU_DEP_1) | instskip(SKIP_2) | instid1(VALU_DEP_1)
	v_pk_add_f32 v[246:247], v[246:247], v[2:3] neg_lo:[0,1] neg_hi:[0,1]
	s_wait_dscnt 0x0
	v_pk_mul_f32 v[0:1], v[54:55], v[52:53] op_sel:[0,1]
	v_pk_fma_f32 v[2:3], v[54:55], v[50:51], v[0:1] op_sel:[0,0,1] op_sel_hi:[1,1,0] neg_lo:[0,0,1] neg_hi:[0,0,1]
	v_pk_fma_f32 v[0:1], v[54:55], v[50:51], v[0:1] op_sel:[0,0,1] op_sel_hi:[1,0,0]
	s_delay_alu instid0(VALU_DEP_1) | instskip(SKIP_1) | instid1(VALU_DEP_2)
	v_mov_b32_e32 v3, v1
	v_pk_mul_f32 v[0:1], v[56:57], v[52:53] op_sel:[0,1]
	v_pk_add_f32 v[240:241], v[240:241], v[2:3] neg_lo:[0,1] neg_hi:[0,1]
	s_delay_alu instid0(VALU_DEP_2) | instskip(SKIP_3) | instid1(VALU_DEP_1)
	v_pk_fma_f32 v[2:3], v[56:57], v[50:51], v[0:1] op_sel:[0,0,1] op_sel_hi:[1,1,0] neg_lo:[0,0,1] neg_hi:[0,0,1]
	v_pk_fma_f32 v[0:1], v[56:57], v[50:51], v[0:1] op_sel:[0,0,1] op_sel_hi:[1,0,0]
	ds_load_2addr_b64 v[54:57], v6 offset0:61 offset1:62
	v_mov_b32_e32 v3, v1
	v_pk_add_f32 v[244:245], v[244:245], v[2:3] neg_lo:[0,1] neg_hi:[0,1]
	s_wait_dscnt 0x0
	v_pk_mul_f32 v[0:1], v[54:55], v[52:53] op_sel:[0,1]
	s_delay_alu instid0(VALU_DEP_1) | instskip(SKIP_1) | instid1(VALU_DEP_1)
	v_pk_fma_f32 v[2:3], v[54:55], v[50:51], v[0:1] op_sel:[0,0,1] op_sel_hi:[1,1,0] neg_lo:[0,0,1] neg_hi:[0,0,1]
	v_pk_fma_f32 v[0:1], v[54:55], v[50:51], v[0:1] op_sel:[0,0,1] op_sel_hi:[1,0,0]
	v_mov_b32_e32 v3, v1
	v_pk_mul_f32 v[0:1], v[56:57], v[52:53] op_sel:[0,1]
	s_delay_alu instid0(VALU_DEP_2) | instskip(NEXT) | instid1(VALU_DEP_2)
	v_pk_add_f32 v[250:251], v[250:251], v[2:3] neg_lo:[0,1] neg_hi:[0,1]
	v_pk_fma_f32 v[2:3], v[56:57], v[50:51], v[0:1] op_sel:[0,0,1] op_sel_hi:[1,1,0] neg_lo:[0,0,1] neg_hi:[0,0,1]
	v_pk_fma_f32 v[0:1], v[56:57], v[50:51], v[0:1] op_sel:[0,0,1] op_sel_hi:[1,0,0]
	s_delay_alu instid0(VALU_DEP_1) | instskip(NEXT) | instid1(VALU_DEP_1)
	v_mov_b32_e32 v3, v1
	v_pk_add_f32 v[252:253], v[252:253], v[2:3] neg_lo:[0,1] neg_hi:[0,1]
.LBB125_226:
	s_or_b32 exec_lo, exec_lo, s1
	s_delay_alu instid0(SALU_CYCLE_1)
	s_mov_b32 s2, exec_lo
	s_wait_dscnt 0x0
	s_barrier_signal -1
	s_barrier_wait -1
	v_cmpx_eq_u32_e32 25, v254
	s_cbranch_execz .LBB125_233
; %bb.227:
	v_dual_mov_b32 v0, v180 :: v_dual_mov_b32 v1, v181
	v_dual_mov_b32 v2, v182 :: v_dual_mov_b32 v3, v183
	ds_store_b64 v255, v[178:179]
	ds_store_2addr_b64 v6, v[0:1], v[2:3] offset0:26 offset1:27
	v_dual_mov_b32 v0, v184 :: v_dual_mov_b32 v1, v185
	v_dual_mov_b32 v2, v186 :: v_dual_mov_b32 v3, v187
	ds_store_2addr_b64 v6, v[0:1], v[2:3] offset0:28 offset1:29
	v_dual_mov_b32 v0, v188 :: v_dual_mov_b32 v1, v189
	v_dual_mov_b32 v2, v190 :: v_dual_mov_b32 v3, v191
	;; [unrolled: 3-line block ×17, first 2 shown]
	ds_store_2addr_b64 v6, v[0:1], v[2:3] offset0:60 offset1:61
	ds_store_b64 v6, v[252:253] offset:496
	ds_load_b64 v[50:51], v255
	s_wait_dscnt 0x0
	v_cmp_neq_f32_e32 vcc_lo, 0, v50
	v_cmp_neq_f32_e64 s1, 0, v51
	s_or_b32 s1, vcc_lo, s1
	s_delay_alu instid0(SALU_CYCLE_1)
	s_and_b32 exec_lo, exec_lo, s1
	s_cbranch_execz .LBB125_233
; %bb.228:
	v_cmp_ngt_f32_e64 s1, |v50|, |v51|
                                        ; implicit-def: $vgpr52_vgpr53
	s_and_saveexec_b32 s4, s1
	s_delay_alu instid0(SALU_CYCLE_1)
	s_xor_b32 s1, exec_lo, s4
	s_cbranch_execz .LBB125_230
; %bb.229:
	v_div_scale_f32 v0, null, v51, v51, v50
	v_div_scale_f32 v3, vcc_lo, v50, v51, v50
	s_delay_alu instid0(VALU_DEP_2) | instskip(SKIP_1) | instid1(TRANS32_DEP_1)
	v_rcp_f32_e32 v1, v0
	v_nop
	v_fma_f32 v2, -v0, v1, 1.0
	s_delay_alu instid0(VALU_DEP_1) | instskip(NEXT) | instid1(VALU_DEP_1)
	v_fmac_f32_e32 v1, v2, v1
	v_mul_f32_e32 v2, v3, v1
	s_delay_alu instid0(VALU_DEP_1) | instskip(NEXT) | instid1(VALU_DEP_1)
	v_fma_f32 v4, -v0, v2, v3
	v_fmac_f32_e32 v2, v4, v1
	s_delay_alu instid0(VALU_DEP_1) | instskip(NEXT) | instid1(VALU_DEP_1)
	v_fma_f32 v0, -v0, v2, v3
	v_div_fmas_f32 v0, v0, v1, v2
	s_delay_alu instid0(VALU_DEP_1) | instskip(NEXT) | instid1(VALU_DEP_1)
	v_div_fixup_f32 v0, v0, v51, v50
	v_fmac_f32_e32 v51, v50, v0
	s_delay_alu instid0(VALU_DEP_1) | instskip(SKIP_1) | instid1(VALU_DEP_2)
	v_div_scale_f32 v1, null, v51, v51, 1.0
	v_div_scale_f32 v4, vcc_lo, 1.0, v51, 1.0
	v_rcp_f32_e32 v2, v1
	v_nop
	s_delay_alu instid0(TRANS32_DEP_1) | instskip(NEXT) | instid1(VALU_DEP_1)
	v_fma_f32 v3, -v1, v2, 1.0
	v_fmac_f32_e32 v2, v3, v2
	s_delay_alu instid0(VALU_DEP_1) | instskip(NEXT) | instid1(VALU_DEP_1)
	v_mul_f32_e32 v3, v4, v2
	v_fma_f32 v5, -v1, v3, v4
	s_delay_alu instid0(VALU_DEP_1) | instskip(NEXT) | instid1(VALU_DEP_1)
	v_fmac_f32_e32 v3, v5, v2
	v_fma_f32 v1, -v1, v3, v4
	s_delay_alu instid0(VALU_DEP_1) | instskip(NEXT) | instid1(VALU_DEP_1)
	v_div_fmas_f32 v1, v1, v2, v3
	v_div_fixup_f32 v1, v1, v51, 1.0
                                        ; implicit-def: $vgpr50_vgpr51
	s_delay_alu instid0(VALU_DEP_1)
	v_mul_f32_e32 v52, v0, v1
	v_xor_b32_e32 v53, 0x80000000, v1
.LBB125_230:
	s_and_not1_saveexec_b32 s1, s1
	s_cbranch_execz .LBB125_232
; %bb.231:
	v_div_scale_f32 v0, null, v50, v50, v51
	v_div_scale_f32 v3, vcc_lo, v51, v50, v51
	s_delay_alu instid0(VALU_DEP_2) | instskip(SKIP_1) | instid1(TRANS32_DEP_1)
	v_rcp_f32_e32 v1, v0
	v_nop
	v_fma_f32 v2, -v0, v1, 1.0
	s_delay_alu instid0(VALU_DEP_1) | instskip(NEXT) | instid1(VALU_DEP_1)
	v_fmac_f32_e32 v1, v2, v1
	v_mul_f32_e32 v2, v3, v1
	s_delay_alu instid0(VALU_DEP_1) | instskip(NEXT) | instid1(VALU_DEP_1)
	v_fma_f32 v4, -v0, v2, v3
	v_fmac_f32_e32 v2, v4, v1
	s_delay_alu instid0(VALU_DEP_1) | instskip(NEXT) | instid1(VALU_DEP_1)
	v_fma_f32 v0, -v0, v2, v3
	v_div_fmas_f32 v0, v0, v1, v2
	s_delay_alu instid0(VALU_DEP_1) | instskip(NEXT) | instid1(VALU_DEP_1)
	v_div_fixup_f32 v0, v0, v50, v51
	v_fmac_f32_e32 v50, v51, v0
	s_delay_alu instid0(VALU_DEP_1) | instskip(NEXT) | instid1(VALU_DEP_1)
	v_div_scale_f32 v1, null, v50, v50, 1.0
	v_rcp_f32_e32 v2, v1
	v_nop
	s_delay_alu instid0(TRANS32_DEP_1) | instskip(NEXT) | instid1(VALU_DEP_1)
	v_fma_f32 v3, -v1, v2, 1.0
	v_fmac_f32_e32 v2, v3, v2
	v_div_scale_f32 v3, vcc_lo, 1.0, v50, 1.0
	s_delay_alu instid0(VALU_DEP_1) | instskip(NEXT) | instid1(VALU_DEP_1)
	v_mul_f32_e32 v4, v3, v2
	v_fma_f32 v5, -v1, v4, v3
	s_delay_alu instid0(VALU_DEP_1) | instskip(NEXT) | instid1(VALU_DEP_1)
	v_fmac_f32_e32 v4, v5, v2
	v_fma_f32 v1, -v1, v4, v3
	s_delay_alu instid0(VALU_DEP_1) | instskip(NEXT) | instid1(VALU_DEP_1)
	v_div_fmas_f32 v1, v1, v2, v4
	v_div_fixup_f32 v52, v1, v50, 1.0
	s_delay_alu instid0(VALU_DEP_1)
	v_mul_f32_e64 v53, v0, -v52
.LBB125_232:
	s_or_b32 exec_lo, exec_lo, s1
	ds_store_b64 v255, v[52:53]
.LBB125_233:
	s_or_b32 exec_lo, exec_lo, s2
	s_wait_dscnt 0x0
	s_barrier_signal -1
	s_barrier_wait -1
	ds_load_b64 v[50:51], v255
	s_mov_b32 s1, exec_lo
	v_cmpx_lt_u32_e32 25, v254
	s_cbranch_execz .LBB125_235
; %bb.234:
	ds_load_2addr_b64 v[56:59], v6 offset0:26 offset1:27
	s_wait_dscnt 0x1
	v_pk_mul_f32 v[0:1], v[50:51], v[178:179] op_sel:[1,1] op_sel_hi:[0,1]
	s_delay_alu instid0(VALU_DEP_1) | instskip(SKIP_1) | instid1(VALU_DEP_1)
	v_pk_fma_f32 v[54:55], v[50:51], v[178:179], v[0:1] op_sel_hi:[1,0,1]
	v_pk_fma_f32 v[52:53], v[50:51], v[178:179], v[0:1] op_sel_hi:[1,0,1] neg_lo:[0,0,1] neg_hi:[0,0,1]
	v_dual_mov_b32 v179, v55 :: v_dual_mov_b32 v178, v52
	s_wait_dscnt 0x0
	s_delay_alu instid0(VALU_DEP_3) | instskip(NEXT) | instid1(VALU_DEP_1)
	v_pk_mul_f32 v[0:1], v[56:57], v[54:55] op_sel:[0,1]
	v_pk_fma_f32 v[2:3], v[56:57], v[52:53], v[0:1] op_sel:[0,0,1] op_sel_hi:[1,1,0] neg_lo:[0,0,1] neg_hi:[0,0,1]
	v_pk_fma_f32 v[0:1], v[56:57], v[52:53], v[0:1] op_sel:[0,0,1] op_sel_hi:[1,0,0]
	s_delay_alu instid0(VALU_DEP_1) | instskip(SKIP_1) | instid1(VALU_DEP_2)
	v_mov_b32_e32 v3, v1
	v_pk_mul_f32 v[0:1], v[58:59], v[54:55] op_sel:[0,1]
	v_pk_add_f32 v[180:181], v[180:181], v[2:3] neg_lo:[0,1] neg_hi:[0,1]
	s_delay_alu instid0(VALU_DEP_2) | instskip(SKIP_3) | instid1(VALU_DEP_1)
	v_pk_fma_f32 v[2:3], v[58:59], v[52:53], v[0:1] op_sel:[0,0,1] op_sel_hi:[1,1,0] neg_lo:[0,0,1] neg_hi:[0,0,1]
	v_pk_fma_f32 v[0:1], v[58:59], v[52:53], v[0:1] op_sel:[0,0,1] op_sel_hi:[1,0,0]
	ds_load_2addr_b64 v[56:59], v6 offset0:28 offset1:29
	v_mov_b32_e32 v3, v1
	v_pk_add_f32 v[182:183], v[182:183], v[2:3] neg_lo:[0,1] neg_hi:[0,1]
	s_wait_dscnt 0x0
	v_pk_mul_f32 v[0:1], v[56:57], v[54:55] op_sel:[0,1]
	s_delay_alu instid0(VALU_DEP_1) | instskip(SKIP_2) | instid1(VALU_DEP_2)
	v_pk_fma_f32 v[2:3], v[56:57], v[52:53], v[0:1] op_sel:[0,0,1] op_sel_hi:[1,1,0] neg_lo:[0,0,1] neg_hi:[0,0,1]
	v_pk_fma_f32 v[0:1], v[56:57], v[52:53], v[0:1] op_sel:[0,0,1] op_sel_hi:[1,0,0]
	v_dual_mov_b32 v0, v59 :: v_dual_mul_f32 v56, v59, v52
	v_dual_mov_b32 v3, v1 :: v_dual_mov_b32 v1, v58
	s_delay_alu instid0(VALU_DEP_1) | instskip(SKIP_1) | instid1(VALU_DEP_3)
	v_pk_add_f32 v[184:185], v[184:185], v[2:3] neg_lo:[0,1] neg_hi:[0,1]
	v_mul_f32_e32 v2, v59, v55
	v_pk_fma_f32 v[0:1], v[0:1], v[178:179], v[56:57] op_sel_hi:[1,1,0]
	s_delay_alu instid0(VALU_DEP_2) | instskip(SKIP_2) | instid1(VALU_DEP_1)
	v_pk_fma_f32 v[2:3], v[58:59], v[178:179], v[2:3] op_sel_hi:[1,1,0] neg_lo:[0,0,1] neg_hi:[0,0,1]
	ds_load_2addr_b64 v[56:59], v6 offset0:30 offset1:31
	v_mov_b32_e32 v3, v1
	v_pk_add_f32 v[186:187], v[186:187], v[2:3] neg_lo:[0,1] neg_hi:[0,1]
	s_wait_dscnt 0x0
	v_pk_mul_f32 v[0:1], v[56:57], v[54:55] op_sel:[0,1]
	s_delay_alu instid0(VALU_DEP_1) | instskip(SKIP_1) | instid1(VALU_DEP_1)
	v_pk_fma_f32 v[2:3], v[56:57], v[52:53], v[0:1] op_sel:[0,0,1] op_sel_hi:[1,1,0] neg_lo:[0,0,1] neg_hi:[0,0,1]
	v_pk_fma_f32 v[0:1], v[56:57], v[52:53], v[0:1] op_sel:[0,0,1] op_sel_hi:[1,0,0]
	v_mov_b32_e32 v3, v1
	v_pk_mul_f32 v[0:1], v[58:59], v[54:55] op_sel:[0,1]
	s_delay_alu instid0(VALU_DEP_2) | instskip(NEXT) | instid1(VALU_DEP_2)
	v_pk_add_f32 v[188:189], v[188:189], v[2:3] neg_lo:[0,1] neg_hi:[0,1]
	v_pk_fma_f32 v[2:3], v[58:59], v[52:53], v[0:1] op_sel:[0,0,1] op_sel_hi:[1,1,0] neg_lo:[0,0,1] neg_hi:[0,0,1]
	v_pk_fma_f32 v[0:1], v[58:59], v[52:53], v[0:1] op_sel:[0,0,1] op_sel_hi:[1,0,0]
	ds_load_2addr_b64 v[56:59], v6 offset0:32 offset1:33
	v_mov_b32_e32 v3, v1
	s_delay_alu instid0(VALU_DEP_1) | instskip(SKIP_2) | instid1(VALU_DEP_1)
	v_pk_add_f32 v[190:191], v[190:191], v[2:3] neg_lo:[0,1] neg_hi:[0,1]
	s_wait_dscnt 0x0
	v_pk_mul_f32 v[0:1], v[56:57], v[54:55] op_sel:[0,1]
	v_pk_fma_f32 v[2:3], v[56:57], v[52:53], v[0:1] op_sel:[0,0,1] op_sel_hi:[1,1,0] neg_lo:[0,0,1] neg_hi:[0,0,1]
	v_pk_fma_f32 v[0:1], v[56:57], v[52:53], v[0:1] op_sel:[0,0,1] op_sel_hi:[1,0,0]
	s_delay_alu instid0(VALU_DEP_1) | instskip(SKIP_1) | instid1(VALU_DEP_2)
	v_mov_b32_e32 v3, v1
	v_pk_mul_f32 v[0:1], v[58:59], v[54:55] op_sel:[0,1]
	v_pk_add_f32 v[192:193], v[192:193], v[2:3] neg_lo:[0,1] neg_hi:[0,1]
	s_delay_alu instid0(VALU_DEP_2) | instskip(SKIP_3) | instid1(VALU_DEP_1)
	v_pk_fma_f32 v[2:3], v[58:59], v[52:53], v[0:1] op_sel:[0,0,1] op_sel_hi:[1,1,0] neg_lo:[0,0,1] neg_hi:[0,0,1]
	v_pk_fma_f32 v[0:1], v[58:59], v[52:53], v[0:1] op_sel:[0,0,1] op_sel_hi:[1,0,0]
	ds_load_2addr_b64 v[56:59], v6 offset0:34 offset1:35
	v_mov_b32_e32 v3, v1
	v_pk_add_f32 v[194:195], v[194:195], v[2:3] neg_lo:[0,1] neg_hi:[0,1]
	s_wait_dscnt 0x0
	v_dual_mul_f32 v0, v57, v55 :: v_dual_mul_f32 v2, v57, v52
	s_delay_alu instid0(VALU_DEP_1) | instskip(NEXT) | instid1(VALU_DEP_2)
	v_pk_fma_f32 v[0:1], v[56:57], v[178:179], v[0:1] op_sel_hi:[1,1,0] neg_lo:[0,0,1] neg_hi:[0,0,1]
	v_pk_fma_f32 v[2:3], v[56:57], v[178:179], v[2:3] op_sel:[1,0,0] op_sel_hi:[0,1,0]
	s_delay_alu instid0(VALU_DEP_1) | instskip(NEXT) | instid1(VALU_DEP_1)
	v_mov_b32_e32 v1, v3
	v_pk_add_f32 v[196:197], v[196:197], v[0:1] neg_lo:[0,1] neg_hi:[0,1]
	v_pk_mul_f32 v[0:1], v[58:59], v[54:55] op_sel:[0,1]
	s_delay_alu instid0(VALU_DEP_1) | instskip(SKIP_3) | instid1(VALU_DEP_1)
	v_pk_fma_f32 v[2:3], v[58:59], v[52:53], v[0:1] op_sel:[0,0,1] op_sel_hi:[1,1,0] neg_lo:[0,0,1] neg_hi:[0,0,1]
	v_pk_fma_f32 v[0:1], v[58:59], v[52:53], v[0:1] op_sel:[0,0,1] op_sel_hi:[1,0,0]
	ds_load_2addr_b64 v[56:59], v6 offset0:36 offset1:37
	v_mov_b32_e32 v3, v1
	v_pk_add_f32 v[198:199], v[198:199], v[2:3] neg_lo:[0,1] neg_hi:[0,1]
	s_wait_dscnt 0x0
	v_pk_mul_f32 v[0:1], v[56:57], v[54:55] op_sel:[0,1]
	s_delay_alu instid0(VALU_DEP_1) | instskip(SKIP_1) | instid1(VALU_DEP_1)
	v_pk_fma_f32 v[2:3], v[56:57], v[52:53], v[0:1] op_sel:[0,0,1] op_sel_hi:[1,1,0] neg_lo:[0,0,1] neg_hi:[0,0,1]
	v_pk_fma_f32 v[0:1], v[56:57], v[52:53], v[0:1] op_sel:[0,0,1] op_sel_hi:[1,0,0]
	v_mov_b32_e32 v3, v1
	v_pk_mul_f32 v[0:1], v[58:59], v[54:55] op_sel:[0,1]
	s_delay_alu instid0(VALU_DEP_2) | instskip(NEXT) | instid1(VALU_DEP_2)
	v_pk_add_f32 v[200:201], v[200:201], v[2:3] neg_lo:[0,1] neg_hi:[0,1]
	v_pk_fma_f32 v[2:3], v[58:59], v[52:53], v[0:1] op_sel:[0,0,1] op_sel_hi:[1,1,0] neg_lo:[0,0,1] neg_hi:[0,0,1]
	v_pk_fma_f32 v[0:1], v[58:59], v[52:53], v[0:1] op_sel:[0,0,1] op_sel_hi:[1,0,0]
	ds_load_2addr_b64 v[56:59], v6 offset0:38 offset1:39
	v_mov_b32_e32 v3, v1
	s_delay_alu instid0(VALU_DEP_1) | instskip(SKIP_2) | instid1(VALU_DEP_1)
	v_pk_add_f32 v[202:203], v[202:203], v[2:3] neg_lo:[0,1] neg_hi:[0,1]
	s_wait_dscnt 0x0
	v_pk_mul_f32 v[0:1], v[56:57], v[54:55] op_sel:[0,1]
	v_pk_fma_f32 v[2:3], v[56:57], v[52:53], v[0:1] op_sel:[0,0,1] op_sel_hi:[1,1,0] neg_lo:[0,0,1] neg_hi:[0,0,1]
	v_pk_fma_f32 v[0:1], v[56:57], v[52:53], v[0:1] op_sel:[0,0,1] op_sel_hi:[1,0,0]
	v_dual_mov_b32 v0, v59 :: v_dual_mul_f32 v56, v59, v52
	s_delay_alu instid0(VALU_DEP_2) | instskip(NEXT) | instid1(VALU_DEP_1)
	v_dual_mov_b32 v3, v1 :: v_dual_mov_b32 v1, v58
	v_pk_add_f32 v[204:205], v[204:205], v[2:3] neg_lo:[0,1] neg_hi:[0,1]
	v_mul_f32_e32 v2, v59, v55
	s_delay_alu instid0(VALU_DEP_3) | instskip(NEXT) | instid1(VALU_DEP_2)
	v_pk_fma_f32 v[0:1], v[0:1], v[178:179], v[56:57] op_sel_hi:[1,1,0]
	v_pk_fma_f32 v[2:3], v[58:59], v[178:179], v[2:3] op_sel_hi:[1,1,0] neg_lo:[0,0,1] neg_hi:[0,0,1]
	ds_load_2addr_b64 v[56:59], v6 offset0:40 offset1:41
	v_mov_b32_e32 v3, v1
	s_delay_alu instid0(VALU_DEP_1) | instskip(SKIP_2) | instid1(VALU_DEP_1)
	v_pk_add_f32 v[206:207], v[206:207], v[2:3] neg_lo:[0,1] neg_hi:[0,1]
	s_wait_dscnt 0x0
	v_pk_mul_f32 v[0:1], v[56:57], v[54:55] op_sel:[0,1]
	v_pk_fma_f32 v[2:3], v[56:57], v[52:53], v[0:1] op_sel:[0,0,1] op_sel_hi:[1,1,0] neg_lo:[0,0,1] neg_hi:[0,0,1]
	v_pk_fma_f32 v[0:1], v[56:57], v[52:53], v[0:1] op_sel:[0,0,1] op_sel_hi:[1,0,0]
	s_delay_alu instid0(VALU_DEP_1) | instskip(SKIP_1) | instid1(VALU_DEP_2)
	v_mov_b32_e32 v3, v1
	v_pk_mul_f32 v[0:1], v[58:59], v[54:55] op_sel:[0,1]
	v_pk_add_f32 v[208:209], v[208:209], v[2:3] neg_lo:[0,1] neg_hi:[0,1]
	s_delay_alu instid0(VALU_DEP_2) | instskip(SKIP_3) | instid1(VALU_DEP_1)
	v_pk_fma_f32 v[2:3], v[58:59], v[52:53], v[0:1] op_sel:[0,0,1] op_sel_hi:[1,1,0] neg_lo:[0,0,1] neg_hi:[0,0,1]
	v_pk_fma_f32 v[0:1], v[58:59], v[52:53], v[0:1] op_sel:[0,0,1] op_sel_hi:[1,0,0]
	ds_load_2addr_b64 v[56:59], v6 offset0:42 offset1:43
	v_mov_b32_e32 v3, v1
	v_pk_add_f32 v[210:211], v[210:211], v[2:3] neg_lo:[0,1] neg_hi:[0,1]
	s_wait_dscnt 0x0
	v_pk_mul_f32 v[0:1], v[56:57], v[54:55] op_sel:[0,1]
	s_delay_alu instid0(VALU_DEP_1) | instskip(SKIP_1) | instid1(VALU_DEP_1)
	v_pk_fma_f32 v[2:3], v[56:57], v[52:53], v[0:1] op_sel:[0,0,1] op_sel_hi:[1,1,0] neg_lo:[0,0,1] neg_hi:[0,0,1]
	v_pk_fma_f32 v[0:1], v[56:57], v[52:53], v[0:1] op_sel:[0,0,1] op_sel_hi:[1,0,0]
	v_mov_b32_e32 v3, v1
	v_pk_mul_f32 v[0:1], v[58:59], v[54:55] op_sel:[0,1]
	s_delay_alu instid0(VALU_DEP_2) | instskip(NEXT) | instid1(VALU_DEP_2)
	v_pk_add_f32 v[212:213], v[212:213], v[2:3] neg_lo:[0,1] neg_hi:[0,1]
	v_pk_fma_f32 v[2:3], v[58:59], v[52:53], v[0:1] op_sel:[0,0,1] op_sel_hi:[1,1,0] neg_lo:[0,0,1] neg_hi:[0,0,1]
	v_pk_fma_f32 v[0:1], v[58:59], v[52:53], v[0:1] op_sel:[0,0,1] op_sel_hi:[1,0,0]
	ds_load_2addr_b64 v[56:59], v6 offset0:44 offset1:45
	v_mov_b32_e32 v3, v1
	s_delay_alu instid0(VALU_DEP_1) | instskip(SKIP_2) | instid1(VALU_DEP_1)
	v_pk_add_f32 v[214:215], v[214:215], v[2:3] neg_lo:[0,1] neg_hi:[0,1]
	s_wait_dscnt 0x0
	v_dual_mul_f32 v2, v57, v52 :: v_dual_mul_f32 v0, v57, v55
	v_pk_fma_f32 v[2:3], v[56:57], v[178:179], v[2:3] op_sel:[1,0,0] op_sel_hi:[0,1,0]
	s_delay_alu instid0(VALU_DEP_2) | instskip(NEXT) | instid1(VALU_DEP_2)
	v_pk_fma_f32 v[0:1], v[56:57], v[178:179], v[0:1] op_sel_hi:[1,1,0] neg_lo:[0,0,1] neg_hi:[0,0,1]
	v_mov_b32_e32 v1, v3
	s_delay_alu instid0(VALU_DEP_1) | instskip(SKIP_1) | instid1(VALU_DEP_1)
	v_pk_add_f32 v[216:217], v[216:217], v[0:1] neg_lo:[0,1] neg_hi:[0,1]
	v_pk_mul_f32 v[0:1], v[58:59], v[54:55] op_sel:[0,1]
	v_pk_fma_f32 v[2:3], v[58:59], v[52:53], v[0:1] op_sel:[0,0,1] op_sel_hi:[1,1,0] neg_lo:[0,0,1] neg_hi:[0,0,1]
	v_pk_fma_f32 v[0:1], v[58:59], v[52:53], v[0:1] op_sel:[0,0,1] op_sel_hi:[1,0,0]
	ds_load_2addr_b64 v[56:59], v6 offset0:46 offset1:47
	v_mov_b32_e32 v3, v1
	s_delay_alu instid0(VALU_DEP_1) | instskip(SKIP_2) | instid1(VALU_DEP_1)
	v_pk_add_f32 v[218:219], v[218:219], v[2:3] neg_lo:[0,1] neg_hi:[0,1]
	s_wait_dscnt 0x0
	v_pk_mul_f32 v[0:1], v[56:57], v[54:55] op_sel:[0,1]
	v_pk_fma_f32 v[2:3], v[56:57], v[52:53], v[0:1] op_sel:[0,0,1] op_sel_hi:[1,1,0] neg_lo:[0,0,1] neg_hi:[0,0,1]
	v_pk_fma_f32 v[0:1], v[56:57], v[52:53], v[0:1] op_sel:[0,0,1] op_sel_hi:[1,0,0]
	s_delay_alu instid0(VALU_DEP_1) | instskip(SKIP_1) | instid1(VALU_DEP_2)
	v_mov_b32_e32 v3, v1
	v_pk_mul_f32 v[0:1], v[58:59], v[54:55] op_sel:[0,1]
	v_pk_add_f32 v[220:221], v[220:221], v[2:3] neg_lo:[0,1] neg_hi:[0,1]
	s_delay_alu instid0(VALU_DEP_2) | instskip(SKIP_3) | instid1(VALU_DEP_1)
	v_pk_fma_f32 v[2:3], v[58:59], v[52:53], v[0:1] op_sel:[0,0,1] op_sel_hi:[1,1,0] neg_lo:[0,0,1] neg_hi:[0,0,1]
	v_pk_fma_f32 v[0:1], v[58:59], v[52:53], v[0:1] op_sel:[0,0,1] op_sel_hi:[1,0,0]
	ds_load_2addr_b64 v[56:59], v6 offset0:48 offset1:49
	v_mov_b32_e32 v3, v1
	v_pk_add_f32 v[222:223], v[222:223], v[2:3] neg_lo:[0,1] neg_hi:[0,1]
	s_wait_dscnt 0x0
	v_pk_mul_f32 v[0:1], v[56:57], v[54:55] op_sel:[0,1]
	s_delay_alu instid0(VALU_DEP_1) | instskip(SKIP_2) | instid1(VALU_DEP_2)
	v_pk_fma_f32 v[2:3], v[56:57], v[52:53], v[0:1] op_sel:[0,0,1] op_sel_hi:[1,1,0] neg_lo:[0,0,1] neg_hi:[0,0,1]
	v_pk_fma_f32 v[0:1], v[56:57], v[52:53], v[0:1] op_sel:[0,0,1] op_sel_hi:[1,0,0]
	v_dual_mov_b32 v0, v59 :: v_dual_mul_f32 v56, v59, v52
	v_dual_mov_b32 v3, v1 :: v_dual_mov_b32 v1, v58
	s_delay_alu instid0(VALU_DEP_1) | instskip(SKIP_1) | instid1(VALU_DEP_3)
	v_pk_add_f32 v[224:225], v[224:225], v[2:3] neg_lo:[0,1] neg_hi:[0,1]
	v_mul_f32_e32 v2, v59, v55
	v_pk_fma_f32 v[0:1], v[0:1], v[178:179], v[56:57] op_sel_hi:[1,1,0]
	s_delay_alu instid0(VALU_DEP_2) | instskip(SKIP_2) | instid1(VALU_DEP_1)
	v_pk_fma_f32 v[2:3], v[58:59], v[178:179], v[2:3] op_sel_hi:[1,1,0] neg_lo:[0,0,1] neg_hi:[0,0,1]
	ds_load_2addr_b64 v[56:59], v6 offset0:50 offset1:51
	v_mov_b32_e32 v3, v1
	v_pk_add_f32 v[226:227], v[226:227], v[2:3] neg_lo:[0,1] neg_hi:[0,1]
	s_wait_dscnt 0x0
	v_pk_mul_f32 v[0:1], v[56:57], v[54:55] op_sel:[0,1]
	s_delay_alu instid0(VALU_DEP_1) | instskip(SKIP_1) | instid1(VALU_DEP_1)
	v_pk_fma_f32 v[2:3], v[56:57], v[52:53], v[0:1] op_sel:[0,0,1] op_sel_hi:[1,1,0] neg_lo:[0,0,1] neg_hi:[0,0,1]
	v_pk_fma_f32 v[0:1], v[56:57], v[52:53], v[0:1] op_sel:[0,0,1] op_sel_hi:[1,0,0]
	v_mov_b32_e32 v3, v1
	v_pk_mul_f32 v[0:1], v[58:59], v[54:55] op_sel:[0,1]
	s_delay_alu instid0(VALU_DEP_2) | instskip(NEXT) | instid1(VALU_DEP_2)
	v_pk_add_f32 v[228:229], v[228:229], v[2:3] neg_lo:[0,1] neg_hi:[0,1]
	v_pk_fma_f32 v[2:3], v[58:59], v[52:53], v[0:1] op_sel:[0,0,1] op_sel_hi:[1,1,0] neg_lo:[0,0,1] neg_hi:[0,0,1]
	v_pk_fma_f32 v[0:1], v[58:59], v[52:53], v[0:1] op_sel:[0,0,1] op_sel_hi:[1,0,0]
	ds_load_2addr_b64 v[56:59], v6 offset0:52 offset1:53
	v_mov_b32_e32 v3, v1
	s_delay_alu instid0(VALU_DEP_1) | instskip(SKIP_2) | instid1(VALU_DEP_1)
	v_pk_add_f32 v[230:231], v[230:231], v[2:3] neg_lo:[0,1] neg_hi:[0,1]
	s_wait_dscnt 0x0
	v_pk_mul_f32 v[0:1], v[56:57], v[54:55] op_sel:[0,1]
	v_pk_fma_f32 v[2:3], v[56:57], v[52:53], v[0:1] op_sel:[0,0,1] op_sel_hi:[1,1,0] neg_lo:[0,0,1] neg_hi:[0,0,1]
	v_pk_fma_f32 v[0:1], v[56:57], v[52:53], v[0:1] op_sel:[0,0,1] op_sel_hi:[1,0,0]
	s_delay_alu instid0(VALU_DEP_1) | instskip(SKIP_1) | instid1(VALU_DEP_2)
	v_mov_b32_e32 v3, v1
	v_pk_mul_f32 v[0:1], v[58:59], v[54:55] op_sel:[0,1]
	v_pk_add_f32 v[232:233], v[232:233], v[2:3] neg_lo:[0,1] neg_hi:[0,1]
	s_delay_alu instid0(VALU_DEP_2) | instskip(SKIP_3) | instid1(VALU_DEP_1)
	v_pk_fma_f32 v[2:3], v[58:59], v[52:53], v[0:1] op_sel:[0,0,1] op_sel_hi:[1,1,0] neg_lo:[0,0,1] neg_hi:[0,0,1]
	v_pk_fma_f32 v[0:1], v[58:59], v[52:53], v[0:1] op_sel:[0,0,1] op_sel_hi:[1,0,0]
	ds_load_2addr_b64 v[56:59], v6 offset0:54 offset1:55
	v_mov_b32_e32 v3, v1
	v_pk_add_f32 v[234:235], v[234:235], v[2:3] neg_lo:[0,1] neg_hi:[0,1]
	s_wait_dscnt 0x0
	v_dual_mul_f32 v0, v57, v55 :: v_dual_mul_f32 v2, v57, v52
	s_delay_alu instid0(VALU_DEP_1) | instskip(NEXT) | instid1(VALU_DEP_2)
	v_pk_fma_f32 v[0:1], v[56:57], v[178:179], v[0:1] op_sel_hi:[1,1,0] neg_lo:[0,0,1] neg_hi:[0,0,1]
	v_pk_fma_f32 v[2:3], v[56:57], v[178:179], v[2:3] op_sel:[1,0,0] op_sel_hi:[0,1,0]
	s_delay_alu instid0(VALU_DEP_1) | instskip(NEXT) | instid1(VALU_DEP_1)
	v_mov_b32_e32 v1, v3
	v_pk_add_f32 v[236:237], v[236:237], v[0:1] neg_lo:[0,1] neg_hi:[0,1]
	v_pk_mul_f32 v[0:1], v[58:59], v[54:55] op_sel:[0,1]
	s_delay_alu instid0(VALU_DEP_1) | instskip(SKIP_3) | instid1(VALU_DEP_1)
	v_pk_fma_f32 v[2:3], v[58:59], v[52:53], v[0:1] op_sel:[0,0,1] op_sel_hi:[1,1,0] neg_lo:[0,0,1] neg_hi:[0,0,1]
	v_pk_fma_f32 v[0:1], v[58:59], v[52:53], v[0:1] op_sel:[0,0,1] op_sel_hi:[1,0,0]
	ds_load_2addr_b64 v[56:59], v6 offset0:56 offset1:57
	v_mov_b32_e32 v3, v1
	v_pk_add_f32 v[238:239], v[238:239], v[2:3] neg_lo:[0,1] neg_hi:[0,1]
	s_wait_dscnt 0x0
	v_pk_mul_f32 v[0:1], v[56:57], v[54:55] op_sel:[0,1]
	s_delay_alu instid0(VALU_DEP_1) | instskip(SKIP_1) | instid1(VALU_DEP_1)
	v_pk_fma_f32 v[2:3], v[56:57], v[52:53], v[0:1] op_sel:[0,0,1] op_sel_hi:[1,1,0] neg_lo:[0,0,1] neg_hi:[0,0,1]
	v_pk_fma_f32 v[0:1], v[56:57], v[52:53], v[0:1] op_sel:[0,0,1] op_sel_hi:[1,0,0]
	v_mov_b32_e32 v3, v1
	v_pk_mul_f32 v[0:1], v[58:59], v[54:55] op_sel:[0,1]
	s_delay_alu instid0(VALU_DEP_2) | instskip(NEXT) | instid1(VALU_DEP_2)
	v_pk_add_f32 v[248:249], v[248:249], v[2:3] neg_lo:[0,1] neg_hi:[0,1]
	v_pk_fma_f32 v[2:3], v[58:59], v[52:53], v[0:1] op_sel:[0,0,1] op_sel_hi:[1,1,0] neg_lo:[0,0,1] neg_hi:[0,0,1]
	v_pk_fma_f32 v[0:1], v[58:59], v[52:53], v[0:1] op_sel:[0,0,1] op_sel_hi:[1,0,0]
	ds_load_2addr_b64 v[56:59], v6 offset0:58 offset1:59
	v_mov_b32_e32 v3, v1
	s_delay_alu instid0(VALU_DEP_1) | instskip(SKIP_2) | instid1(VALU_DEP_1)
	v_pk_add_f32 v[242:243], v[242:243], v[2:3] neg_lo:[0,1] neg_hi:[0,1]
	s_wait_dscnt 0x0
	v_pk_mul_f32 v[0:1], v[56:57], v[54:55] op_sel:[0,1]
	v_pk_fma_f32 v[2:3], v[56:57], v[52:53], v[0:1] op_sel:[0,0,1] op_sel_hi:[1,1,0] neg_lo:[0,0,1] neg_hi:[0,0,1]
	v_pk_fma_f32 v[0:1], v[56:57], v[52:53], v[0:1] op_sel:[0,0,1] op_sel_hi:[1,0,0]
	v_dual_mov_b32 v0, v59 :: v_dual_mul_f32 v56, v59, v52
	s_delay_alu instid0(VALU_DEP_2) | instskip(NEXT) | instid1(VALU_DEP_1)
	v_dual_mov_b32 v3, v1 :: v_dual_mov_b32 v1, v58
	v_pk_add_f32 v[246:247], v[246:247], v[2:3] neg_lo:[0,1] neg_hi:[0,1]
	v_mul_f32_e32 v2, v59, v55
	s_delay_alu instid0(VALU_DEP_3) | instskip(NEXT) | instid1(VALU_DEP_2)
	v_pk_fma_f32 v[0:1], v[0:1], v[178:179], v[56:57] op_sel_hi:[1,1,0]
	v_pk_fma_f32 v[2:3], v[58:59], v[178:179], v[2:3] op_sel_hi:[1,1,0] neg_lo:[0,0,1] neg_hi:[0,0,1]
	ds_load_2addr_b64 v[56:59], v6 offset0:60 offset1:61
	v_mov_b32_e32 v3, v1
	s_delay_alu instid0(VALU_DEP_1) | instskip(SKIP_2) | instid1(VALU_DEP_1)
	v_pk_add_f32 v[240:241], v[240:241], v[2:3] neg_lo:[0,1] neg_hi:[0,1]
	s_wait_dscnt 0x0
	v_pk_mul_f32 v[0:1], v[56:57], v[54:55] op_sel:[0,1]
	v_pk_fma_f32 v[2:3], v[56:57], v[52:53], v[0:1] op_sel:[0,0,1] op_sel_hi:[1,1,0] neg_lo:[0,0,1] neg_hi:[0,0,1]
	v_pk_fma_f32 v[0:1], v[56:57], v[52:53], v[0:1] op_sel:[0,0,1] op_sel_hi:[1,0,0]
	s_delay_alu instid0(VALU_DEP_1) | instskip(SKIP_1) | instid1(VALU_DEP_2)
	v_mov_b32_e32 v3, v1
	v_pk_mul_f32 v[0:1], v[58:59], v[54:55] op_sel:[0,1]
	v_pk_add_f32 v[244:245], v[244:245], v[2:3] neg_lo:[0,1] neg_hi:[0,1]
	s_delay_alu instid0(VALU_DEP_2) | instskip(SKIP_1) | instid1(VALU_DEP_1)
	v_pk_fma_f32 v[2:3], v[58:59], v[52:53], v[0:1] op_sel:[0,0,1] op_sel_hi:[1,1,0] neg_lo:[0,0,1] neg_hi:[0,0,1]
	v_pk_fma_f32 v[0:1], v[58:59], v[52:53], v[0:1] op_sel:[0,0,1] op_sel_hi:[1,0,0]
	v_mov_b32_e32 v3, v1
	ds_load_b64 v[0:1], v6 offset:496
	v_pk_add_f32 v[250:251], v[250:251], v[2:3] neg_lo:[0,1] neg_hi:[0,1]
	s_wait_dscnt 0x0
	v_pk_mul_f32 v[2:3], v[0:1], v[54:55] op_sel:[0,1]
	s_delay_alu instid0(VALU_DEP_1) | instskip(SKIP_1) | instid1(VALU_DEP_1)
	v_pk_fma_f32 v[54:55], v[0:1], v[52:53], v[2:3] op_sel:[0,0,1] op_sel_hi:[1,1,0] neg_lo:[0,0,1] neg_hi:[0,0,1]
	v_pk_fma_f32 v[0:1], v[0:1], v[52:53], v[2:3] op_sel:[0,0,1] op_sel_hi:[1,0,0]
	v_mov_b32_e32 v55, v1
	s_delay_alu instid0(VALU_DEP_1)
	v_pk_add_f32 v[252:253], v[252:253], v[54:55] neg_lo:[0,1] neg_hi:[0,1]
.LBB125_235:
	s_or_b32 exec_lo, exec_lo, s1
	s_delay_alu instid0(SALU_CYCLE_1)
	s_mov_b32 s2, exec_lo
	s_wait_dscnt 0x0
	s_barrier_signal -1
	s_barrier_wait -1
	v_cmpx_eq_u32_e32 26, v254
	s_cbranch_execz .LBB125_242
; %bb.236:
	ds_store_b64 v255, v[180:181]
	ds_store_2addr_b64 v6, v[182:183], v[184:185] offset0:27 offset1:28
	ds_store_2addr_b64 v6, v[186:187], v[188:189] offset0:29 offset1:30
	;; [unrolled: 1-line block ×18, first 2 shown]
	ds_load_b64 v[52:53], v255
	s_wait_dscnt 0x0
	v_cmp_neq_f32_e32 vcc_lo, 0, v52
	v_cmp_neq_f32_e64 s1, 0, v53
	s_or_b32 s1, vcc_lo, s1
	s_delay_alu instid0(SALU_CYCLE_1)
	s_and_b32 exec_lo, exec_lo, s1
	s_cbranch_execz .LBB125_242
; %bb.237:
	v_cmp_ngt_f32_e64 s1, |v52|, |v53|
                                        ; implicit-def: $vgpr54_vgpr55
	s_and_saveexec_b32 s4, s1
	s_delay_alu instid0(SALU_CYCLE_1)
	s_xor_b32 s1, exec_lo, s4
	s_cbranch_execz .LBB125_239
; %bb.238:
	v_div_scale_f32 v0, null, v53, v53, v52
	v_div_scale_f32 v3, vcc_lo, v52, v53, v52
	s_delay_alu instid0(VALU_DEP_2) | instskip(SKIP_1) | instid1(TRANS32_DEP_1)
	v_rcp_f32_e32 v1, v0
	v_nop
	v_fma_f32 v2, -v0, v1, 1.0
	s_delay_alu instid0(VALU_DEP_1) | instskip(NEXT) | instid1(VALU_DEP_1)
	v_fmac_f32_e32 v1, v2, v1
	v_mul_f32_e32 v2, v3, v1
	s_delay_alu instid0(VALU_DEP_1) | instskip(NEXT) | instid1(VALU_DEP_1)
	v_fma_f32 v4, -v0, v2, v3
	v_fmac_f32_e32 v2, v4, v1
	s_delay_alu instid0(VALU_DEP_1) | instskip(NEXT) | instid1(VALU_DEP_1)
	v_fma_f32 v0, -v0, v2, v3
	v_div_fmas_f32 v0, v0, v1, v2
	s_delay_alu instid0(VALU_DEP_1) | instskip(NEXT) | instid1(VALU_DEP_1)
	v_div_fixup_f32 v0, v0, v53, v52
	v_fmac_f32_e32 v53, v52, v0
	s_delay_alu instid0(VALU_DEP_1) | instskip(SKIP_1) | instid1(VALU_DEP_2)
	v_div_scale_f32 v1, null, v53, v53, 1.0
	v_div_scale_f32 v4, vcc_lo, 1.0, v53, 1.0
	v_rcp_f32_e32 v2, v1
	v_nop
	s_delay_alu instid0(TRANS32_DEP_1) | instskip(NEXT) | instid1(VALU_DEP_1)
	v_fma_f32 v3, -v1, v2, 1.0
	v_fmac_f32_e32 v2, v3, v2
	s_delay_alu instid0(VALU_DEP_1) | instskip(NEXT) | instid1(VALU_DEP_1)
	v_mul_f32_e32 v3, v4, v2
	v_fma_f32 v5, -v1, v3, v4
	s_delay_alu instid0(VALU_DEP_1) | instskip(NEXT) | instid1(VALU_DEP_1)
	v_fmac_f32_e32 v3, v5, v2
	v_fma_f32 v1, -v1, v3, v4
	s_delay_alu instid0(VALU_DEP_1) | instskip(NEXT) | instid1(VALU_DEP_1)
	v_div_fmas_f32 v1, v1, v2, v3
	v_div_fixup_f32 v1, v1, v53, 1.0
                                        ; implicit-def: $vgpr52_vgpr53
	s_delay_alu instid0(VALU_DEP_1)
	v_mul_f32_e32 v54, v0, v1
	v_xor_b32_e32 v55, 0x80000000, v1
.LBB125_239:
	s_and_not1_saveexec_b32 s1, s1
	s_cbranch_execz .LBB125_241
; %bb.240:
	v_div_scale_f32 v0, null, v52, v52, v53
	v_div_scale_f32 v3, vcc_lo, v53, v52, v53
	s_delay_alu instid0(VALU_DEP_2) | instskip(SKIP_1) | instid1(TRANS32_DEP_1)
	v_rcp_f32_e32 v1, v0
	v_nop
	v_fma_f32 v2, -v0, v1, 1.0
	s_delay_alu instid0(VALU_DEP_1) | instskip(NEXT) | instid1(VALU_DEP_1)
	v_fmac_f32_e32 v1, v2, v1
	v_mul_f32_e32 v2, v3, v1
	s_delay_alu instid0(VALU_DEP_1) | instskip(NEXT) | instid1(VALU_DEP_1)
	v_fma_f32 v4, -v0, v2, v3
	v_fmac_f32_e32 v2, v4, v1
	s_delay_alu instid0(VALU_DEP_1) | instskip(NEXT) | instid1(VALU_DEP_1)
	v_fma_f32 v0, -v0, v2, v3
	v_div_fmas_f32 v0, v0, v1, v2
	s_delay_alu instid0(VALU_DEP_1) | instskip(NEXT) | instid1(VALU_DEP_1)
	v_div_fixup_f32 v0, v0, v52, v53
	v_fmac_f32_e32 v52, v53, v0
	s_delay_alu instid0(VALU_DEP_1) | instskip(NEXT) | instid1(VALU_DEP_1)
	v_div_scale_f32 v1, null, v52, v52, 1.0
	v_rcp_f32_e32 v2, v1
	v_nop
	s_delay_alu instid0(TRANS32_DEP_1) | instskip(NEXT) | instid1(VALU_DEP_1)
	v_fma_f32 v3, -v1, v2, 1.0
	v_fmac_f32_e32 v2, v3, v2
	v_div_scale_f32 v3, vcc_lo, 1.0, v52, 1.0
	s_delay_alu instid0(VALU_DEP_1) | instskip(NEXT) | instid1(VALU_DEP_1)
	v_mul_f32_e32 v4, v3, v2
	v_fma_f32 v5, -v1, v4, v3
	s_delay_alu instid0(VALU_DEP_1) | instskip(NEXT) | instid1(VALU_DEP_1)
	v_fmac_f32_e32 v4, v5, v2
	v_fma_f32 v1, -v1, v4, v3
	s_delay_alu instid0(VALU_DEP_1) | instskip(NEXT) | instid1(VALU_DEP_1)
	v_div_fmas_f32 v1, v1, v2, v4
	v_div_fixup_f32 v54, v1, v52, 1.0
	s_delay_alu instid0(VALU_DEP_1)
	v_mul_f32_e64 v55, v0, -v54
.LBB125_241:
	s_or_b32 exec_lo, exec_lo, s1
	ds_store_b64 v255, v[54:55]
.LBB125_242:
	s_or_b32 exec_lo, exec_lo, s2
	s_wait_dscnt 0x0
	s_barrier_signal -1
	s_barrier_wait -1
	ds_load_b64 v[52:53], v255
	s_mov_b32 s1, exec_lo
	v_cmpx_lt_u32_e32 26, v254
	s_cbranch_execz .LBB125_244
; %bb.243:
	ds_load_2addr_b64 v[58:61], v6 offset0:27 offset1:28
	s_wait_dscnt 0x1
	v_pk_mul_f32 v[0:1], v[52:53], v[180:181] op_sel:[1,1] op_sel_hi:[0,1]
	s_delay_alu instid0(VALU_DEP_1) | instskip(SKIP_1) | instid1(VALU_DEP_1)
	v_pk_fma_f32 v[56:57], v[52:53], v[180:181], v[0:1] op_sel_hi:[1,0,1]
	v_pk_fma_f32 v[54:55], v[52:53], v[180:181], v[0:1] op_sel_hi:[1,0,1] neg_lo:[0,0,1] neg_hi:[0,0,1]
	v_dual_mov_b32 v181, v57 :: v_dual_mov_b32 v180, v54
	s_wait_dscnt 0x0
	s_delay_alu instid0(VALU_DEP_3) | instskip(NEXT) | instid1(VALU_DEP_1)
	v_pk_mul_f32 v[0:1], v[58:59], v[56:57] op_sel:[0,1]
	v_pk_fma_f32 v[2:3], v[58:59], v[54:55], v[0:1] op_sel:[0,0,1] op_sel_hi:[1,1,0] neg_lo:[0,0,1] neg_hi:[0,0,1]
	v_pk_fma_f32 v[0:1], v[58:59], v[54:55], v[0:1] op_sel:[0,0,1] op_sel_hi:[1,0,0]
	s_delay_alu instid0(VALU_DEP_1) | instskip(SKIP_1) | instid1(VALU_DEP_2)
	v_mov_b32_e32 v3, v1
	v_pk_mul_f32 v[0:1], v[60:61], v[56:57] op_sel:[0,1]
	v_pk_add_f32 v[182:183], v[182:183], v[2:3] neg_lo:[0,1] neg_hi:[0,1]
	s_delay_alu instid0(VALU_DEP_2) | instskip(SKIP_3) | instid1(VALU_DEP_1)
	v_pk_fma_f32 v[2:3], v[60:61], v[54:55], v[0:1] op_sel:[0,0,1] op_sel_hi:[1,1,0] neg_lo:[0,0,1] neg_hi:[0,0,1]
	v_pk_fma_f32 v[0:1], v[60:61], v[54:55], v[0:1] op_sel:[0,0,1] op_sel_hi:[1,0,0]
	ds_load_2addr_b64 v[58:61], v6 offset0:29 offset1:30
	v_mov_b32_e32 v3, v1
	v_pk_add_f32 v[184:185], v[184:185], v[2:3] neg_lo:[0,1] neg_hi:[0,1]
	s_wait_dscnt 0x0
	v_pk_mul_f32 v[0:1], v[58:59], v[56:57] op_sel:[0,1]
	s_delay_alu instid0(VALU_DEP_1) | instskip(SKIP_2) | instid1(VALU_DEP_2)
	v_pk_fma_f32 v[2:3], v[58:59], v[54:55], v[0:1] op_sel:[0,0,1] op_sel_hi:[1,1,0] neg_lo:[0,0,1] neg_hi:[0,0,1]
	v_pk_fma_f32 v[0:1], v[58:59], v[54:55], v[0:1] op_sel:[0,0,1] op_sel_hi:[1,0,0]
	v_dual_mov_b32 v0, v61 :: v_dual_mul_f32 v58, v61, v54
	v_dual_mov_b32 v3, v1 :: v_dual_mov_b32 v1, v60
	s_delay_alu instid0(VALU_DEP_1) | instskip(SKIP_1) | instid1(VALU_DEP_3)
	v_pk_add_f32 v[186:187], v[186:187], v[2:3] neg_lo:[0,1] neg_hi:[0,1]
	v_mul_f32_e32 v2, v61, v57
	v_pk_fma_f32 v[0:1], v[0:1], v[180:181], v[58:59] op_sel_hi:[1,1,0]
	s_delay_alu instid0(VALU_DEP_2) | instskip(SKIP_2) | instid1(VALU_DEP_1)
	v_pk_fma_f32 v[2:3], v[60:61], v[180:181], v[2:3] op_sel_hi:[1,1,0] neg_lo:[0,0,1] neg_hi:[0,0,1]
	ds_load_2addr_b64 v[58:61], v6 offset0:31 offset1:32
	v_mov_b32_e32 v3, v1
	v_pk_add_f32 v[188:189], v[188:189], v[2:3] neg_lo:[0,1] neg_hi:[0,1]
	s_wait_dscnt 0x0
	v_pk_mul_f32 v[0:1], v[58:59], v[56:57] op_sel:[0,1]
	s_delay_alu instid0(VALU_DEP_1) | instskip(SKIP_1) | instid1(VALU_DEP_1)
	v_pk_fma_f32 v[2:3], v[58:59], v[54:55], v[0:1] op_sel:[0,0,1] op_sel_hi:[1,1,0] neg_lo:[0,0,1] neg_hi:[0,0,1]
	v_pk_fma_f32 v[0:1], v[58:59], v[54:55], v[0:1] op_sel:[0,0,1] op_sel_hi:[1,0,0]
	v_mov_b32_e32 v3, v1
	v_pk_mul_f32 v[0:1], v[60:61], v[56:57] op_sel:[0,1]
	s_delay_alu instid0(VALU_DEP_2) | instskip(NEXT) | instid1(VALU_DEP_2)
	v_pk_add_f32 v[190:191], v[190:191], v[2:3] neg_lo:[0,1] neg_hi:[0,1]
	v_pk_fma_f32 v[2:3], v[60:61], v[54:55], v[0:1] op_sel:[0,0,1] op_sel_hi:[1,1,0] neg_lo:[0,0,1] neg_hi:[0,0,1]
	v_pk_fma_f32 v[0:1], v[60:61], v[54:55], v[0:1] op_sel:[0,0,1] op_sel_hi:[1,0,0]
	ds_load_2addr_b64 v[58:61], v6 offset0:33 offset1:34
	v_mov_b32_e32 v3, v1
	s_delay_alu instid0(VALU_DEP_1) | instskip(SKIP_2) | instid1(VALU_DEP_1)
	v_pk_add_f32 v[192:193], v[192:193], v[2:3] neg_lo:[0,1] neg_hi:[0,1]
	s_wait_dscnt 0x0
	v_pk_mul_f32 v[0:1], v[58:59], v[56:57] op_sel:[0,1]
	v_pk_fma_f32 v[2:3], v[58:59], v[54:55], v[0:1] op_sel:[0,0,1] op_sel_hi:[1,1,0] neg_lo:[0,0,1] neg_hi:[0,0,1]
	v_pk_fma_f32 v[0:1], v[58:59], v[54:55], v[0:1] op_sel:[0,0,1] op_sel_hi:[1,0,0]
	s_delay_alu instid0(VALU_DEP_1) | instskip(SKIP_1) | instid1(VALU_DEP_2)
	v_mov_b32_e32 v3, v1
	v_pk_mul_f32 v[0:1], v[60:61], v[56:57] op_sel:[0,1]
	v_pk_add_f32 v[194:195], v[194:195], v[2:3] neg_lo:[0,1] neg_hi:[0,1]
	s_delay_alu instid0(VALU_DEP_2) | instskip(SKIP_3) | instid1(VALU_DEP_1)
	v_pk_fma_f32 v[2:3], v[60:61], v[54:55], v[0:1] op_sel:[0,0,1] op_sel_hi:[1,1,0] neg_lo:[0,0,1] neg_hi:[0,0,1]
	v_pk_fma_f32 v[0:1], v[60:61], v[54:55], v[0:1] op_sel:[0,0,1] op_sel_hi:[1,0,0]
	ds_load_2addr_b64 v[58:61], v6 offset0:35 offset1:36
	v_mov_b32_e32 v3, v1
	v_pk_add_f32 v[196:197], v[196:197], v[2:3] neg_lo:[0,1] neg_hi:[0,1]
	s_wait_dscnt 0x0
	v_dual_mul_f32 v2, v59, v54 :: v_dual_mul_f32 v0, v59, v57
	s_delay_alu instid0(VALU_DEP_1) | instskip(NEXT) | instid1(VALU_DEP_2)
	v_pk_fma_f32 v[2:3], v[58:59], v[180:181], v[2:3] op_sel:[1,0,0] op_sel_hi:[0,1,0]
	v_pk_fma_f32 v[0:1], v[58:59], v[180:181], v[0:1] op_sel_hi:[1,1,0] neg_lo:[0,0,1] neg_hi:[0,0,1]
	s_delay_alu instid0(VALU_DEP_2) | instskip(NEXT) | instid1(VALU_DEP_1)
	v_mov_b32_e32 v1, v3
	v_pk_add_f32 v[198:199], v[198:199], v[0:1] neg_lo:[0,1] neg_hi:[0,1]
	v_pk_mul_f32 v[0:1], v[60:61], v[56:57] op_sel:[0,1]
	s_delay_alu instid0(VALU_DEP_1) | instskip(SKIP_3) | instid1(VALU_DEP_1)
	v_pk_fma_f32 v[2:3], v[60:61], v[54:55], v[0:1] op_sel:[0,0,1] op_sel_hi:[1,1,0] neg_lo:[0,0,1] neg_hi:[0,0,1]
	v_pk_fma_f32 v[0:1], v[60:61], v[54:55], v[0:1] op_sel:[0,0,1] op_sel_hi:[1,0,0]
	ds_load_2addr_b64 v[58:61], v6 offset0:37 offset1:38
	v_mov_b32_e32 v3, v1
	v_pk_add_f32 v[200:201], v[200:201], v[2:3] neg_lo:[0,1] neg_hi:[0,1]
	s_wait_dscnt 0x0
	v_pk_mul_f32 v[0:1], v[58:59], v[56:57] op_sel:[0,1]
	s_delay_alu instid0(VALU_DEP_1) | instskip(SKIP_1) | instid1(VALU_DEP_1)
	v_pk_fma_f32 v[2:3], v[58:59], v[54:55], v[0:1] op_sel:[0,0,1] op_sel_hi:[1,1,0] neg_lo:[0,0,1] neg_hi:[0,0,1]
	v_pk_fma_f32 v[0:1], v[58:59], v[54:55], v[0:1] op_sel:[0,0,1] op_sel_hi:[1,0,0]
	v_mov_b32_e32 v3, v1
	v_pk_mul_f32 v[0:1], v[60:61], v[56:57] op_sel:[0,1]
	s_delay_alu instid0(VALU_DEP_2) | instskip(NEXT) | instid1(VALU_DEP_2)
	v_pk_add_f32 v[202:203], v[202:203], v[2:3] neg_lo:[0,1] neg_hi:[0,1]
	v_pk_fma_f32 v[2:3], v[60:61], v[54:55], v[0:1] op_sel:[0,0,1] op_sel_hi:[1,1,0] neg_lo:[0,0,1] neg_hi:[0,0,1]
	v_pk_fma_f32 v[0:1], v[60:61], v[54:55], v[0:1] op_sel:[0,0,1] op_sel_hi:[1,0,0]
	ds_load_2addr_b64 v[58:61], v6 offset0:39 offset1:40
	v_mov_b32_e32 v3, v1
	s_delay_alu instid0(VALU_DEP_1) | instskip(SKIP_2) | instid1(VALU_DEP_1)
	v_pk_add_f32 v[204:205], v[204:205], v[2:3] neg_lo:[0,1] neg_hi:[0,1]
	s_wait_dscnt 0x0
	v_pk_mul_f32 v[0:1], v[58:59], v[56:57] op_sel:[0,1]
	v_pk_fma_f32 v[2:3], v[58:59], v[54:55], v[0:1] op_sel:[0,0,1] op_sel_hi:[1,1,0] neg_lo:[0,0,1] neg_hi:[0,0,1]
	v_pk_fma_f32 v[0:1], v[58:59], v[54:55], v[0:1] op_sel:[0,0,1] op_sel_hi:[1,0,0]
	v_dual_mov_b32 v0, v61 :: v_dual_mul_f32 v58, v61, v54
	s_delay_alu instid0(VALU_DEP_2) | instskip(NEXT) | instid1(VALU_DEP_1)
	v_dual_mov_b32 v3, v1 :: v_dual_mov_b32 v1, v60
	v_pk_add_f32 v[206:207], v[206:207], v[2:3] neg_lo:[0,1] neg_hi:[0,1]
	v_mul_f32_e32 v2, v61, v57
	s_delay_alu instid0(VALU_DEP_3) | instskip(NEXT) | instid1(VALU_DEP_2)
	v_pk_fma_f32 v[0:1], v[0:1], v[180:181], v[58:59] op_sel_hi:[1,1,0]
	v_pk_fma_f32 v[2:3], v[60:61], v[180:181], v[2:3] op_sel_hi:[1,1,0] neg_lo:[0,0,1] neg_hi:[0,0,1]
	ds_load_2addr_b64 v[58:61], v6 offset0:41 offset1:42
	v_mov_b32_e32 v3, v1
	s_delay_alu instid0(VALU_DEP_1) | instskip(SKIP_2) | instid1(VALU_DEP_1)
	v_pk_add_f32 v[208:209], v[208:209], v[2:3] neg_lo:[0,1] neg_hi:[0,1]
	s_wait_dscnt 0x0
	v_pk_mul_f32 v[0:1], v[58:59], v[56:57] op_sel:[0,1]
	v_pk_fma_f32 v[2:3], v[58:59], v[54:55], v[0:1] op_sel:[0,0,1] op_sel_hi:[1,1,0] neg_lo:[0,0,1] neg_hi:[0,0,1]
	v_pk_fma_f32 v[0:1], v[58:59], v[54:55], v[0:1] op_sel:[0,0,1] op_sel_hi:[1,0,0]
	s_delay_alu instid0(VALU_DEP_1) | instskip(SKIP_1) | instid1(VALU_DEP_2)
	v_mov_b32_e32 v3, v1
	v_pk_mul_f32 v[0:1], v[60:61], v[56:57] op_sel:[0,1]
	v_pk_add_f32 v[210:211], v[210:211], v[2:3] neg_lo:[0,1] neg_hi:[0,1]
	s_delay_alu instid0(VALU_DEP_2) | instskip(SKIP_3) | instid1(VALU_DEP_1)
	v_pk_fma_f32 v[2:3], v[60:61], v[54:55], v[0:1] op_sel:[0,0,1] op_sel_hi:[1,1,0] neg_lo:[0,0,1] neg_hi:[0,0,1]
	v_pk_fma_f32 v[0:1], v[60:61], v[54:55], v[0:1] op_sel:[0,0,1] op_sel_hi:[1,0,0]
	ds_load_2addr_b64 v[58:61], v6 offset0:43 offset1:44
	v_mov_b32_e32 v3, v1
	v_pk_add_f32 v[212:213], v[212:213], v[2:3] neg_lo:[0,1] neg_hi:[0,1]
	s_wait_dscnt 0x0
	v_pk_mul_f32 v[0:1], v[58:59], v[56:57] op_sel:[0,1]
	s_delay_alu instid0(VALU_DEP_1) | instskip(SKIP_1) | instid1(VALU_DEP_1)
	v_pk_fma_f32 v[2:3], v[58:59], v[54:55], v[0:1] op_sel:[0,0,1] op_sel_hi:[1,1,0] neg_lo:[0,0,1] neg_hi:[0,0,1]
	v_pk_fma_f32 v[0:1], v[58:59], v[54:55], v[0:1] op_sel:[0,0,1] op_sel_hi:[1,0,0]
	v_mov_b32_e32 v3, v1
	v_pk_mul_f32 v[0:1], v[60:61], v[56:57] op_sel:[0,1]
	s_delay_alu instid0(VALU_DEP_2) | instskip(NEXT) | instid1(VALU_DEP_2)
	v_pk_add_f32 v[214:215], v[214:215], v[2:3] neg_lo:[0,1] neg_hi:[0,1]
	v_pk_fma_f32 v[2:3], v[60:61], v[54:55], v[0:1] op_sel:[0,0,1] op_sel_hi:[1,1,0] neg_lo:[0,0,1] neg_hi:[0,0,1]
	v_pk_fma_f32 v[0:1], v[60:61], v[54:55], v[0:1] op_sel:[0,0,1] op_sel_hi:[1,0,0]
	ds_load_2addr_b64 v[58:61], v6 offset0:45 offset1:46
	v_mov_b32_e32 v3, v1
	s_delay_alu instid0(VALU_DEP_1) | instskip(SKIP_2) | instid1(VALU_DEP_1)
	v_pk_add_f32 v[216:217], v[216:217], v[2:3] neg_lo:[0,1] neg_hi:[0,1]
	s_wait_dscnt 0x0
	v_dual_mul_f32 v2, v59, v54 :: v_dual_mul_f32 v0, v59, v57
	v_pk_fma_f32 v[2:3], v[58:59], v[180:181], v[2:3] op_sel:[1,0,0] op_sel_hi:[0,1,0]
	s_delay_alu instid0(VALU_DEP_2) | instskip(NEXT) | instid1(VALU_DEP_2)
	v_pk_fma_f32 v[0:1], v[58:59], v[180:181], v[0:1] op_sel_hi:[1,1,0] neg_lo:[0,0,1] neg_hi:[0,0,1]
	v_mov_b32_e32 v1, v3
	s_delay_alu instid0(VALU_DEP_1) | instskip(SKIP_1) | instid1(VALU_DEP_1)
	v_pk_add_f32 v[218:219], v[218:219], v[0:1] neg_lo:[0,1] neg_hi:[0,1]
	v_pk_mul_f32 v[0:1], v[60:61], v[56:57] op_sel:[0,1]
	v_pk_fma_f32 v[2:3], v[60:61], v[54:55], v[0:1] op_sel:[0,0,1] op_sel_hi:[1,1,0] neg_lo:[0,0,1] neg_hi:[0,0,1]
	v_pk_fma_f32 v[0:1], v[60:61], v[54:55], v[0:1] op_sel:[0,0,1] op_sel_hi:[1,0,0]
	ds_load_2addr_b64 v[58:61], v6 offset0:47 offset1:48
	v_mov_b32_e32 v3, v1
	s_delay_alu instid0(VALU_DEP_1) | instskip(SKIP_2) | instid1(VALU_DEP_1)
	v_pk_add_f32 v[220:221], v[220:221], v[2:3] neg_lo:[0,1] neg_hi:[0,1]
	s_wait_dscnt 0x0
	v_pk_mul_f32 v[0:1], v[58:59], v[56:57] op_sel:[0,1]
	v_pk_fma_f32 v[2:3], v[58:59], v[54:55], v[0:1] op_sel:[0,0,1] op_sel_hi:[1,1,0] neg_lo:[0,0,1] neg_hi:[0,0,1]
	v_pk_fma_f32 v[0:1], v[58:59], v[54:55], v[0:1] op_sel:[0,0,1] op_sel_hi:[1,0,0]
	s_delay_alu instid0(VALU_DEP_1) | instskip(SKIP_1) | instid1(VALU_DEP_2)
	v_mov_b32_e32 v3, v1
	v_pk_mul_f32 v[0:1], v[60:61], v[56:57] op_sel:[0,1]
	v_pk_add_f32 v[222:223], v[222:223], v[2:3] neg_lo:[0,1] neg_hi:[0,1]
	s_delay_alu instid0(VALU_DEP_2) | instskip(SKIP_3) | instid1(VALU_DEP_1)
	v_pk_fma_f32 v[2:3], v[60:61], v[54:55], v[0:1] op_sel:[0,0,1] op_sel_hi:[1,1,0] neg_lo:[0,0,1] neg_hi:[0,0,1]
	v_pk_fma_f32 v[0:1], v[60:61], v[54:55], v[0:1] op_sel:[0,0,1] op_sel_hi:[1,0,0]
	ds_load_2addr_b64 v[58:61], v6 offset0:49 offset1:50
	v_mov_b32_e32 v3, v1
	v_pk_add_f32 v[224:225], v[224:225], v[2:3] neg_lo:[0,1] neg_hi:[0,1]
	s_wait_dscnt 0x0
	v_pk_mul_f32 v[0:1], v[58:59], v[56:57] op_sel:[0,1]
	s_delay_alu instid0(VALU_DEP_1) | instskip(SKIP_2) | instid1(VALU_DEP_2)
	v_pk_fma_f32 v[2:3], v[58:59], v[54:55], v[0:1] op_sel:[0,0,1] op_sel_hi:[1,1,0] neg_lo:[0,0,1] neg_hi:[0,0,1]
	v_pk_fma_f32 v[0:1], v[58:59], v[54:55], v[0:1] op_sel:[0,0,1] op_sel_hi:[1,0,0]
	v_dual_mov_b32 v0, v61 :: v_dual_mul_f32 v58, v61, v54
	v_dual_mov_b32 v3, v1 :: v_dual_mov_b32 v1, v60
	s_delay_alu instid0(VALU_DEP_1) | instskip(SKIP_1) | instid1(VALU_DEP_3)
	v_pk_add_f32 v[226:227], v[226:227], v[2:3] neg_lo:[0,1] neg_hi:[0,1]
	v_mul_f32_e32 v2, v61, v57
	v_pk_fma_f32 v[0:1], v[0:1], v[180:181], v[58:59] op_sel_hi:[1,1,0]
	s_delay_alu instid0(VALU_DEP_2) | instskip(SKIP_2) | instid1(VALU_DEP_1)
	v_pk_fma_f32 v[2:3], v[60:61], v[180:181], v[2:3] op_sel_hi:[1,1,0] neg_lo:[0,0,1] neg_hi:[0,0,1]
	ds_load_2addr_b64 v[58:61], v6 offset0:51 offset1:52
	v_mov_b32_e32 v3, v1
	v_pk_add_f32 v[228:229], v[228:229], v[2:3] neg_lo:[0,1] neg_hi:[0,1]
	s_wait_dscnt 0x0
	v_pk_mul_f32 v[0:1], v[58:59], v[56:57] op_sel:[0,1]
	s_delay_alu instid0(VALU_DEP_1) | instskip(SKIP_1) | instid1(VALU_DEP_1)
	v_pk_fma_f32 v[2:3], v[58:59], v[54:55], v[0:1] op_sel:[0,0,1] op_sel_hi:[1,1,0] neg_lo:[0,0,1] neg_hi:[0,0,1]
	v_pk_fma_f32 v[0:1], v[58:59], v[54:55], v[0:1] op_sel:[0,0,1] op_sel_hi:[1,0,0]
	v_mov_b32_e32 v3, v1
	v_pk_mul_f32 v[0:1], v[60:61], v[56:57] op_sel:[0,1]
	s_delay_alu instid0(VALU_DEP_2) | instskip(NEXT) | instid1(VALU_DEP_2)
	v_pk_add_f32 v[230:231], v[230:231], v[2:3] neg_lo:[0,1] neg_hi:[0,1]
	v_pk_fma_f32 v[2:3], v[60:61], v[54:55], v[0:1] op_sel:[0,0,1] op_sel_hi:[1,1,0] neg_lo:[0,0,1] neg_hi:[0,0,1]
	v_pk_fma_f32 v[0:1], v[60:61], v[54:55], v[0:1] op_sel:[0,0,1] op_sel_hi:[1,0,0]
	ds_load_2addr_b64 v[58:61], v6 offset0:53 offset1:54
	v_mov_b32_e32 v3, v1
	s_delay_alu instid0(VALU_DEP_1) | instskip(SKIP_2) | instid1(VALU_DEP_1)
	v_pk_add_f32 v[232:233], v[232:233], v[2:3] neg_lo:[0,1] neg_hi:[0,1]
	s_wait_dscnt 0x0
	v_pk_mul_f32 v[0:1], v[58:59], v[56:57] op_sel:[0,1]
	v_pk_fma_f32 v[2:3], v[58:59], v[54:55], v[0:1] op_sel:[0,0,1] op_sel_hi:[1,1,0] neg_lo:[0,0,1] neg_hi:[0,0,1]
	v_pk_fma_f32 v[0:1], v[58:59], v[54:55], v[0:1] op_sel:[0,0,1] op_sel_hi:[1,0,0]
	s_delay_alu instid0(VALU_DEP_1) | instskip(SKIP_1) | instid1(VALU_DEP_2)
	v_mov_b32_e32 v3, v1
	v_pk_mul_f32 v[0:1], v[60:61], v[56:57] op_sel:[0,1]
	v_pk_add_f32 v[234:235], v[234:235], v[2:3] neg_lo:[0,1] neg_hi:[0,1]
	s_delay_alu instid0(VALU_DEP_2) | instskip(SKIP_3) | instid1(VALU_DEP_1)
	v_pk_fma_f32 v[2:3], v[60:61], v[54:55], v[0:1] op_sel:[0,0,1] op_sel_hi:[1,1,0] neg_lo:[0,0,1] neg_hi:[0,0,1]
	v_pk_fma_f32 v[0:1], v[60:61], v[54:55], v[0:1] op_sel:[0,0,1] op_sel_hi:[1,0,0]
	ds_load_2addr_b64 v[58:61], v6 offset0:55 offset1:56
	v_mov_b32_e32 v3, v1
	v_pk_add_f32 v[236:237], v[236:237], v[2:3] neg_lo:[0,1] neg_hi:[0,1]
	s_wait_dscnt 0x0
	v_dual_mul_f32 v2, v59, v54 :: v_dual_mul_f32 v0, v59, v57
	s_delay_alu instid0(VALU_DEP_1) | instskip(NEXT) | instid1(VALU_DEP_2)
	v_pk_fma_f32 v[2:3], v[58:59], v[180:181], v[2:3] op_sel:[1,0,0] op_sel_hi:[0,1,0]
	v_pk_fma_f32 v[0:1], v[58:59], v[180:181], v[0:1] op_sel_hi:[1,1,0] neg_lo:[0,0,1] neg_hi:[0,0,1]
	s_delay_alu instid0(VALU_DEP_2) | instskip(NEXT) | instid1(VALU_DEP_1)
	v_mov_b32_e32 v1, v3
	v_pk_add_f32 v[238:239], v[238:239], v[0:1] neg_lo:[0,1] neg_hi:[0,1]
	v_pk_mul_f32 v[0:1], v[60:61], v[56:57] op_sel:[0,1]
	s_delay_alu instid0(VALU_DEP_1) | instskip(SKIP_3) | instid1(VALU_DEP_1)
	v_pk_fma_f32 v[2:3], v[60:61], v[54:55], v[0:1] op_sel:[0,0,1] op_sel_hi:[1,1,0] neg_lo:[0,0,1] neg_hi:[0,0,1]
	v_pk_fma_f32 v[0:1], v[60:61], v[54:55], v[0:1] op_sel:[0,0,1] op_sel_hi:[1,0,0]
	ds_load_2addr_b64 v[58:61], v6 offset0:57 offset1:58
	v_mov_b32_e32 v3, v1
	v_pk_add_f32 v[248:249], v[248:249], v[2:3] neg_lo:[0,1] neg_hi:[0,1]
	s_wait_dscnt 0x0
	v_pk_mul_f32 v[0:1], v[58:59], v[56:57] op_sel:[0,1]
	s_delay_alu instid0(VALU_DEP_1) | instskip(SKIP_1) | instid1(VALU_DEP_1)
	v_pk_fma_f32 v[2:3], v[58:59], v[54:55], v[0:1] op_sel:[0,0,1] op_sel_hi:[1,1,0] neg_lo:[0,0,1] neg_hi:[0,0,1]
	v_pk_fma_f32 v[0:1], v[58:59], v[54:55], v[0:1] op_sel:[0,0,1] op_sel_hi:[1,0,0]
	v_mov_b32_e32 v3, v1
	v_pk_mul_f32 v[0:1], v[60:61], v[56:57] op_sel:[0,1]
	s_delay_alu instid0(VALU_DEP_2) | instskip(NEXT) | instid1(VALU_DEP_2)
	v_pk_add_f32 v[242:243], v[242:243], v[2:3] neg_lo:[0,1] neg_hi:[0,1]
	v_pk_fma_f32 v[2:3], v[60:61], v[54:55], v[0:1] op_sel:[0,0,1] op_sel_hi:[1,1,0] neg_lo:[0,0,1] neg_hi:[0,0,1]
	v_pk_fma_f32 v[0:1], v[60:61], v[54:55], v[0:1] op_sel:[0,0,1] op_sel_hi:[1,0,0]
	ds_load_2addr_b64 v[58:61], v6 offset0:59 offset1:60
	v_mov_b32_e32 v3, v1
	s_delay_alu instid0(VALU_DEP_1) | instskip(SKIP_2) | instid1(VALU_DEP_1)
	v_pk_add_f32 v[246:247], v[246:247], v[2:3] neg_lo:[0,1] neg_hi:[0,1]
	s_wait_dscnt 0x0
	v_pk_mul_f32 v[0:1], v[58:59], v[56:57] op_sel:[0,1]
	v_pk_fma_f32 v[2:3], v[58:59], v[54:55], v[0:1] op_sel:[0,0,1] op_sel_hi:[1,1,0] neg_lo:[0,0,1] neg_hi:[0,0,1]
	v_pk_fma_f32 v[0:1], v[58:59], v[54:55], v[0:1] op_sel:[0,0,1] op_sel_hi:[1,0,0]
	v_dual_mov_b32 v0, v61 :: v_dual_mul_f32 v58, v61, v54
	s_delay_alu instid0(VALU_DEP_2) | instskip(NEXT) | instid1(VALU_DEP_1)
	v_dual_mov_b32 v3, v1 :: v_dual_mov_b32 v1, v60
	v_pk_add_f32 v[240:241], v[240:241], v[2:3] neg_lo:[0,1] neg_hi:[0,1]
	v_mul_f32_e32 v2, v61, v57
	s_delay_alu instid0(VALU_DEP_3) | instskip(NEXT) | instid1(VALU_DEP_2)
	v_pk_fma_f32 v[0:1], v[0:1], v[180:181], v[58:59] op_sel_hi:[1,1,0]
	v_pk_fma_f32 v[2:3], v[60:61], v[180:181], v[2:3] op_sel_hi:[1,1,0] neg_lo:[0,0,1] neg_hi:[0,0,1]
	ds_load_2addr_b64 v[58:61], v6 offset0:61 offset1:62
	v_mov_b32_e32 v3, v1
	s_delay_alu instid0(VALU_DEP_1) | instskip(SKIP_2) | instid1(VALU_DEP_1)
	v_pk_add_f32 v[244:245], v[244:245], v[2:3] neg_lo:[0,1] neg_hi:[0,1]
	s_wait_dscnt 0x0
	v_pk_mul_f32 v[0:1], v[58:59], v[56:57] op_sel:[0,1]
	v_pk_fma_f32 v[2:3], v[58:59], v[54:55], v[0:1] op_sel:[0,0,1] op_sel_hi:[1,1,0] neg_lo:[0,0,1] neg_hi:[0,0,1]
	v_pk_fma_f32 v[0:1], v[58:59], v[54:55], v[0:1] op_sel:[0,0,1] op_sel_hi:[1,0,0]
	v_dual_mov_b32 v0, v61 :: v_dual_mul_f32 v54, v61, v54
	s_delay_alu instid0(VALU_DEP_2) | instskip(NEXT) | instid1(VALU_DEP_1)
	v_dual_mov_b32 v3, v1 :: v_dual_mov_b32 v1, v60
	v_pk_add_f32 v[250:251], v[250:251], v[2:3] neg_lo:[0,1] neg_hi:[0,1]
	v_mul_f32_e32 v2, v61, v57
	s_delay_alu instid0(VALU_DEP_3) | instskip(NEXT) | instid1(VALU_DEP_2)
	v_pk_fma_f32 v[0:1], v[0:1], v[180:181], v[54:55] op_sel_hi:[1,1,0]
	v_pk_fma_f32 v[2:3], v[60:61], v[180:181], v[2:3] op_sel_hi:[1,1,0] neg_lo:[0,0,1] neg_hi:[0,0,1]
	s_delay_alu instid0(VALU_DEP_2) | instskip(NEXT) | instid1(VALU_DEP_1)
	v_mov_b32_e32 v3, v1
	v_pk_add_f32 v[252:253], v[252:253], v[2:3] neg_lo:[0,1] neg_hi:[0,1]
.LBB125_244:
	s_or_b32 exec_lo, exec_lo, s1
	s_delay_alu instid0(SALU_CYCLE_1)
	s_mov_b32 s2, exec_lo
	s_wait_dscnt 0x0
	s_barrier_signal -1
	s_barrier_wait -1
	v_cmpx_eq_u32_e32 27, v254
	s_cbranch_execz .LBB125_251
; %bb.245:
	v_dual_mov_b32 v0, v184 :: v_dual_mov_b32 v1, v185
	v_dual_mov_b32 v2, v186 :: v_dual_mov_b32 v3, v187
	ds_store_b64 v255, v[182:183]
	ds_store_2addr_b64 v6, v[0:1], v[2:3] offset0:28 offset1:29
	v_dual_mov_b32 v0, v188 :: v_dual_mov_b32 v1, v189
	v_dual_mov_b32 v2, v190 :: v_dual_mov_b32 v3, v191
	ds_store_2addr_b64 v6, v[0:1], v[2:3] offset0:30 offset1:31
	v_dual_mov_b32 v0, v192 :: v_dual_mov_b32 v1, v193
	v_dual_mov_b32 v2, v194 :: v_dual_mov_b32 v3, v195
	;; [unrolled: 3-line block ×16, first 2 shown]
	ds_store_2addr_b64 v6, v[0:1], v[2:3] offset0:60 offset1:61
	ds_store_b64 v6, v[252:253] offset:496
	ds_load_b64 v[54:55], v255
	s_wait_dscnt 0x0
	v_cmp_neq_f32_e32 vcc_lo, 0, v54
	v_cmp_neq_f32_e64 s1, 0, v55
	s_or_b32 s1, vcc_lo, s1
	s_delay_alu instid0(SALU_CYCLE_1)
	s_and_b32 exec_lo, exec_lo, s1
	s_cbranch_execz .LBB125_251
; %bb.246:
	v_cmp_ngt_f32_e64 s1, |v54|, |v55|
                                        ; implicit-def: $vgpr56_vgpr57
	s_and_saveexec_b32 s4, s1
	s_delay_alu instid0(SALU_CYCLE_1)
	s_xor_b32 s1, exec_lo, s4
	s_cbranch_execz .LBB125_248
; %bb.247:
	v_div_scale_f32 v0, null, v55, v55, v54
	v_div_scale_f32 v3, vcc_lo, v54, v55, v54
	s_delay_alu instid0(VALU_DEP_2) | instskip(SKIP_1) | instid1(TRANS32_DEP_1)
	v_rcp_f32_e32 v1, v0
	v_nop
	v_fma_f32 v2, -v0, v1, 1.0
	s_delay_alu instid0(VALU_DEP_1) | instskip(NEXT) | instid1(VALU_DEP_1)
	v_fmac_f32_e32 v1, v2, v1
	v_mul_f32_e32 v2, v3, v1
	s_delay_alu instid0(VALU_DEP_1) | instskip(NEXT) | instid1(VALU_DEP_1)
	v_fma_f32 v4, -v0, v2, v3
	v_fmac_f32_e32 v2, v4, v1
	s_delay_alu instid0(VALU_DEP_1) | instskip(NEXT) | instid1(VALU_DEP_1)
	v_fma_f32 v0, -v0, v2, v3
	v_div_fmas_f32 v0, v0, v1, v2
	s_delay_alu instid0(VALU_DEP_1) | instskip(NEXT) | instid1(VALU_DEP_1)
	v_div_fixup_f32 v0, v0, v55, v54
	v_fmac_f32_e32 v55, v54, v0
	s_delay_alu instid0(VALU_DEP_1) | instskip(SKIP_1) | instid1(VALU_DEP_2)
	v_div_scale_f32 v1, null, v55, v55, 1.0
	v_div_scale_f32 v4, vcc_lo, 1.0, v55, 1.0
	v_rcp_f32_e32 v2, v1
	v_nop
	s_delay_alu instid0(TRANS32_DEP_1) | instskip(NEXT) | instid1(VALU_DEP_1)
	v_fma_f32 v3, -v1, v2, 1.0
	v_fmac_f32_e32 v2, v3, v2
	s_delay_alu instid0(VALU_DEP_1) | instskip(NEXT) | instid1(VALU_DEP_1)
	v_mul_f32_e32 v3, v4, v2
	v_fma_f32 v5, -v1, v3, v4
	s_delay_alu instid0(VALU_DEP_1) | instskip(NEXT) | instid1(VALU_DEP_1)
	v_fmac_f32_e32 v3, v5, v2
	v_fma_f32 v1, -v1, v3, v4
	s_delay_alu instid0(VALU_DEP_1) | instskip(NEXT) | instid1(VALU_DEP_1)
	v_div_fmas_f32 v1, v1, v2, v3
	v_div_fixup_f32 v1, v1, v55, 1.0
                                        ; implicit-def: $vgpr54_vgpr55
	s_delay_alu instid0(VALU_DEP_1)
	v_mul_f32_e32 v56, v0, v1
	v_xor_b32_e32 v57, 0x80000000, v1
.LBB125_248:
	s_and_not1_saveexec_b32 s1, s1
	s_cbranch_execz .LBB125_250
; %bb.249:
	v_div_scale_f32 v0, null, v54, v54, v55
	v_div_scale_f32 v3, vcc_lo, v55, v54, v55
	s_delay_alu instid0(VALU_DEP_2) | instskip(SKIP_1) | instid1(TRANS32_DEP_1)
	v_rcp_f32_e32 v1, v0
	v_nop
	v_fma_f32 v2, -v0, v1, 1.0
	s_delay_alu instid0(VALU_DEP_1) | instskip(NEXT) | instid1(VALU_DEP_1)
	v_fmac_f32_e32 v1, v2, v1
	v_mul_f32_e32 v2, v3, v1
	s_delay_alu instid0(VALU_DEP_1) | instskip(NEXT) | instid1(VALU_DEP_1)
	v_fma_f32 v4, -v0, v2, v3
	v_fmac_f32_e32 v2, v4, v1
	s_delay_alu instid0(VALU_DEP_1) | instskip(NEXT) | instid1(VALU_DEP_1)
	v_fma_f32 v0, -v0, v2, v3
	v_div_fmas_f32 v0, v0, v1, v2
	s_delay_alu instid0(VALU_DEP_1) | instskip(NEXT) | instid1(VALU_DEP_1)
	v_div_fixup_f32 v0, v0, v54, v55
	v_fmac_f32_e32 v54, v55, v0
	s_delay_alu instid0(VALU_DEP_1) | instskip(NEXT) | instid1(VALU_DEP_1)
	v_div_scale_f32 v1, null, v54, v54, 1.0
	v_rcp_f32_e32 v2, v1
	v_nop
	s_delay_alu instid0(TRANS32_DEP_1) | instskip(NEXT) | instid1(VALU_DEP_1)
	v_fma_f32 v3, -v1, v2, 1.0
	v_fmac_f32_e32 v2, v3, v2
	v_div_scale_f32 v3, vcc_lo, 1.0, v54, 1.0
	s_delay_alu instid0(VALU_DEP_1) | instskip(NEXT) | instid1(VALU_DEP_1)
	v_mul_f32_e32 v4, v3, v2
	v_fma_f32 v5, -v1, v4, v3
	s_delay_alu instid0(VALU_DEP_1) | instskip(NEXT) | instid1(VALU_DEP_1)
	v_fmac_f32_e32 v4, v5, v2
	v_fma_f32 v1, -v1, v4, v3
	s_delay_alu instid0(VALU_DEP_1) | instskip(NEXT) | instid1(VALU_DEP_1)
	v_div_fmas_f32 v1, v1, v2, v4
	v_div_fixup_f32 v56, v1, v54, 1.0
	s_delay_alu instid0(VALU_DEP_1)
	v_mul_f32_e64 v57, v0, -v56
.LBB125_250:
	s_or_b32 exec_lo, exec_lo, s1
	ds_store_b64 v255, v[56:57]
.LBB125_251:
	s_or_b32 exec_lo, exec_lo, s2
	s_wait_dscnt 0x0
	s_barrier_signal -1
	s_barrier_wait -1
	ds_load_b64 v[54:55], v255
	s_mov_b32 s1, exec_lo
	v_cmpx_lt_u32_e32 27, v254
	s_cbranch_execz .LBB125_253
; %bb.252:
	ds_load_2addr_b64 v[60:63], v6 offset0:28 offset1:29
	s_wait_dscnt 0x1
	v_pk_mul_f32 v[0:1], v[54:55], v[182:183] op_sel:[1,1] op_sel_hi:[0,1]
	s_delay_alu instid0(VALU_DEP_1) | instskip(SKIP_1) | instid1(VALU_DEP_1)
	v_pk_fma_f32 v[58:59], v[54:55], v[182:183], v[0:1] op_sel_hi:[1,0,1]
	v_pk_fma_f32 v[56:57], v[54:55], v[182:183], v[0:1] op_sel_hi:[1,0,1] neg_lo:[0,0,1] neg_hi:[0,0,1]
	v_dual_mov_b32 v183, v59 :: v_dual_mov_b32 v182, v56
	s_wait_dscnt 0x0
	s_delay_alu instid0(VALU_DEP_3) | instskip(NEXT) | instid1(VALU_DEP_1)
	v_pk_mul_f32 v[0:1], v[60:61], v[58:59] op_sel:[0,1]
	v_pk_fma_f32 v[2:3], v[60:61], v[56:57], v[0:1] op_sel:[0,0,1] op_sel_hi:[1,1,0] neg_lo:[0,0,1] neg_hi:[0,0,1]
	v_pk_fma_f32 v[0:1], v[60:61], v[56:57], v[0:1] op_sel:[0,0,1] op_sel_hi:[1,0,0]
	s_delay_alu instid0(VALU_DEP_1) | instskip(SKIP_1) | instid1(VALU_DEP_2)
	v_mov_b32_e32 v3, v1
	v_pk_mul_f32 v[0:1], v[62:63], v[58:59] op_sel:[0,1]
	v_pk_add_f32 v[184:185], v[184:185], v[2:3] neg_lo:[0,1] neg_hi:[0,1]
	s_delay_alu instid0(VALU_DEP_2) | instskip(SKIP_3) | instid1(VALU_DEP_1)
	v_pk_fma_f32 v[2:3], v[62:63], v[56:57], v[0:1] op_sel:[0,0,1] op_sel_hi:[1,1,0] neg_lo:[0,0,1] neg_hi:[0,0,1]
	v_pk_fma_f32 v[0:1], v[62:63], v[56:57], v[0:1] op_sel:[0,0,1] op_sel_hi:[1,0,0]
	ds_load_2addr_b64 v[60:63], v6 offset0:30 offset1:31
	v_mov_b32_e32 v3, v1
	v_pk_add_f32 v[186:187], v[186:187], v[2:3] neg_lo:[0,1] neg_hi:[0,1]
	s_wait_dscnt 0x0
	v_pk_mul_f32 v[0:1], v[60:61], v[58:59] op_sel:[0,1]
	s_delay_alu instid0(VALU_DEP_1) | instskip(SKIP_2) | instid1(VALU_DEP_2)
	v_pk_fma_f32 v[2:3], v[60:61], v[56:57], v[0:1] op_sel:[0,0,1] op_sel_hi:[1,1,0] neg_lo:[0,0,1] neg_hi:[0,0,1]
	v_pk_fma_f32 v[0:1], v[60:61], v[56:57], v[0:1] op_sel:[0,0,1] op_sel_hi:[1,0,0]
	v_dual_mov_b32 v0, v63 :: v_dual_mul_f32 v60, v63, v56
	v_dual_mov_b32 v3, v1 :: v_dual_mov_b32 v1, v62
	s_delay_alu instid0(VALU_DEP_1) | instskip(SKIP_1) | instid1(VALU_DEP_3)
	v_pk_add_f32 v[188:189], v[188:189], v[2:3] neg_lo:[0,1] neg_hi:[0,1]
	v_mul_f32_e32 v2, v63, v59
	v_pk_fma_f32 v[0:1], v[0:1], v[182:183], v[60:61] op_sel_hi:[1,1,0]
	s_delay_alu instid0(VALU_DEP_2) | instskip(SKIP_2) | instid1(VALU_DEP_1)
	v_pk_fma_f32 v[2:3], v[62:63], v[182:183], v[2:3] op_sel_hi:[1,1,0] neg_lo:[0,0,1] neg_hi:[0,0,1]
	ds_load_2addr_b64 v[60:63], v6 offset0:32 offset1:33
	v_mov_b32_e32 v3, v1
	v_pk_add_f32 v[190:191], v[190:191], v[2:3] neg_lo:[0,1] neg_hi:[0,1]
	s_wait_dscnt 0x0
	v_pk_mul_f32 v[0:1], v[60:61], v[58:59] op_sel:[0,1]
	s_delay_alu instid0(VALU_DEP_1) | instskip(SKIP_1) | instid1(VALU_DEP_1)
	v_pk_fma_f32 v[2:3], v[60:61], v[56:57], v[0:1] op_sel:[0,0,1] op_sel_hi:[1,1,0] neg_lo:[0,0,1] neg_hi:[0,0,1]
	v_pk_fma_f32 v[0:1], v[60:61], v[56:57], v[0:1] op_sel:[0,0,1] op_sel_hi:[1,0,0]
	v_mov_b32_e32 v3, v1
	v_pk_mul_f32 v[0:1], v[62:63], v[58:59] op_sel:[0,1]
	s_delay_alu instid0(VALU_DEP_2) | instskip(NEXT) | instid1(VALU_DEP_2)
	v_pk_add_f32 v[192:193], v[192:193], v[2:3] neg_lo:[0,1] neg_hi:[0,1]
	v_pk_fma_f32 v[2:3], v[62:63], v[56:57], v[0:1] op_sel:[0,0,1] op_sel_hi:[1,1,0] neg_lo:[0,0,1] neg_hi:[0,0,1]
	v_pk_fma_f32 v[0:1], v[62:63], v[56:57], v[0:1] op_sel:[0,0,1] op_sel_hi:[1,0,0]
	ds_load_2addr_b64 v[60:63], v6 offset0:34 offset1:35
	v_mov_b32_e32 v3, v1
	s_delay_alu instid0(VALU_DEP_1) | instskip(SKIP_2) | instid1(VALU_DEP_1)
	v_pk_add_f32 v[194:195], v[194:195], v[2:3] neg_lo:[0,1] neg_hi:[0,1]
	s_wait_dscnt 0x0
	v_pk_mul_f32 v[0:1], v[60:61], v[58:59] op_sel:[0,1]
	v_pk_fma_f32 v[2:3], v[60:61], v[56:57], v[0:1] op_sel:[0,0,1] op_sel_hi:[1,1,0] neg_lo:[0,0,1] neg_hi:[0,0,1]
	v_pk_fma_f32 v[0:1], v[60:61], v[56:57], v[0:1] op_sel:[0,0,1] op_sel_hi:[1,0,0]
	s_delay_alu instid0(VALU_DEP_1) | instskip(SKIP_1) | instid1(VALU_DEP_2)
	v_mov_b32_e32 v3, v1
	v_pk_mul_f32 v[0:1], v[62:63], v[58:59] op_sel:[0,1]
	v_pk_add_f32 v[196:197], v[196:197], v[2:3] neg_lo:[0,1] neg_hi:[0,1]
	s_delay_alu instid0(VALU_DEP_2) | instskip(SKIP_3) | instid1(VALU_DEP_1)
	v_pk_fma_f32 v[2:3], v[62:63], v[56:57], v[0:1] op_sel:[0,0,1] op_sel_hi:[1,1,0] neg_lo:[0,0,1] neg_hi:[0,0,1]
	v_pk_fma_f32 v[0:1], v[62:63], v[56:57], v[0:1] op_sel:[0,0,1] op_sel_hi:[1,0,0]
	ds_load_2addr_b64 v[60:63], v6 offset0:36 offset1:37
	v_mov_b32_e32 v3, v1
	v_pk_add_f32 v[198:199], v[198:199], v[2:3] neg_lo:[0,1] neg_hi:[0,1]
	s_wait_dscnt 0x0
	v_dual_mul_f32 v0, v61, v59 :: v_dual_mul_f32 v2, v61, v56
	s_delay_alu instid0(VALU_DEP_1) | instskip(NEXT) | instid1(VALU_DEP_2)
	v_pk_fma_f32 v[0:1], v[60:61], v[182:183], v[0:1] op_sel_hi:[1,1,0] neg_lo:[0,0,1] neg_hi:[0,0,1]
	v_pk_fma_f32 v[2:3], v[60:61], v[182:183], v[2:3] op_sel:[1,0,0] op_sel_hi:[0,1,0]
	s_delay_alu instid0(VALU_DEP_1) | instskip(NEXT) | instid1(VALU_DEP_1)
	v_mov_b32_e32 v1, v3
	v_pk_add_f32 v[200:201], v[200:201], v[0:1] neg_lo:[0,1] neg_hi:[0,1]
	v_pk_mul_f32 v[0:1], v[62:63], v[58:59] op_sel:[0,1]
	s_delay_alu instid0(VALU_DEP_1) | instskip(SKIP_3) | instid1(VALU_DEP_1)
	v_pk_fma_f32 v[2:3], v[62:63], v[56:57], v[0:1] op_sel:[0,0,1] op_sel_hi:[1,1,0] neg_lo:[0,0,1] neg_hi:[0,0,1]
	v_pk_fma_f32 v[0:1], v[62:63], v[56:57], v[0:1] op_sel:[0,0,1] op_sel_hi:[1,0,0]
	ds_load_2addr_b64 v[60:63], v6 offset0:38 offset1:39
	v_mov_b32_e32 v3, v1
	v_pk_add_f32 v[202:203], v[202:203], v[2:3] neg_lo:[0,1] neg_hi:[0,1]
	s_wait_dscnt 0x0
	v_pk_mul_f32 v[0:1], v[60:61], v[58:59] op_sel:[0,1]
	s_delay_alu instid0(VALU_DEP_1) | instskip(SKIP_1) | instid1(VALU_DEP_1)
	v_pk_fma_f32 v[2:3], v[60:61], v[56:57], v[0:1] op_sel:[0,0,1] op_sel_hi:[1,1,0] neg_lo:[0,0,1] neg_hi:[0,0,1]
	v_pk_fma_f32 v[0:1], v[60:61], v[56:57], v[0:1] op_sel:[0,0,1] op_sel_hi:[1,0,0]
	v_mov_b32_e32 v3, v1
	v_pk_mul_f32 v[0:1], v[62:63], v[58:59] op_sel:[0,1]
	s_delay_alu instid0(VALU_DEP_2) | instskip(NEXT) | instid1(VALU_DEP_2)
	v_pk_add_f32 v[204:205], v[204:205], v[2:3] neg_lo:[0,1] neg_hi:[0,1]
	v_pk_fma_f32 v[2:3], v[62:63], v[56:57], v[0:1] op_sel:[0,0,1] op_sel_hi:[1,1,0] neg_lo:[0,0,1] neg_hi:[0,0,1]
	v_pk_fma_f32 v[0:1], v[62:63], v[56:57], v[0:1] op_sel:[0,0,1] op_sel_hi:[1,0,0]
	ds_load_2addr_b64 v[60:63], v6 offset0:40 offset1:41
	v_mov_b32_e32 v3, v1
	s_delay_alu instid0(VALU_DEP_1) | instskip(SKIP_2) | instid1(VALU_DEP_1)
	v_pk_add_f32 v[206:207], v[206:207], v[2:3] neg_lo:[0,1] neg_hi:[0,1]
	s_wait_dscnt 0x0
	v_pk_mul_f32 v[0:1], v[60:61], v[58:59] op_sel:[0,1]
	v_pk_fma_f32 v[2:3], v[60:61], v[56:57], v[0:1] op_sel:[0,0,1] op_sel_hi:[1,1,0] neg_lo:[0,0,1] neg_hi:[0,0,1]
	v_pk_fma_f32 v[0:1], v[60:61], v[56:57], v[0:1] op_sel:[0,0,1] op_sel_hi:[1,0,0]
	v_dual_mov_b32 v0, v63 :: v_dual_mul_f32 v60, v63, v56
	s_delay_alu instid0(VALU_DEP_2) | instskip(NEXT) | instid1(VALU_DEP_1)
	v_dual_mov_b32 v3, v1 :: v_dual_mov_b32 v1, v62
	v_pk_add_f32 v[208:209], v[208:209], v[2:3] neg_lo:[0,1] neg_hi:[0,1]
	v_mul_f32_e32 v2, v63, v59
	s_delay_alu instid0(VALU_DEP_3) | instskip(NEXT) | instid1(VALU_DEP_2)
	v_pk_fma_f32 v[0:1], v[0:1], v[182:183], v[60:61] op_sel_hi:[1,1,0]
	v_pk_fma_f32 v[2:3], v[62:63], v[182:183], v[2:3] op_sel_hi:[1,1,0] neg_lo:[0,0,1] neg_hi:[0,0,1]
	ds_load_2addr_b64 v[60:63], v6 offset0:42 offset1:43
	v_mov_b32_e32 v3, v1
	s_delay_alu instid0(VALU_DEP_1) | instskip(SKIP_2) | instid1(VALU_DEP_1)
	v_pk_add_f32 v[210:211], v[210:211], v[2:3] neg_lo:[0,1] neg_hi:[0,1]
	s_wait_dscnt 0x0
	v_pk_mul_f32 v[0:1], v[60:61], v[58:59] op_sel:[0,1]
	v_pk_fma_f32 v[2:3], v[60:61], v[56:57], v[0:1] op_sel:[0,0,1] op_sel_hi:[1,1,0] neg_lo:[0,0,1] neg_hi:[0,0,1]
	v_pk_fma_f32 v[0:1], v[60:61], v[56:57], v[0:1] op_sel:[0,0,1] op_sel_hi:[1,0,0]
	s_delay_alu instid0(VALU_DEP_1) | instskip(SKIP_1) | instid1(VALU_DEP_2)
	v_mov_b32_e32 v3, v1
	v_pk_mul_f32 v[0:1], v[62:63], v[58:59] op_sel:[0,1]
	v_pk_add_f32 v[212:213], v[212:213], v[2:3] neg_lo:[0,1] neg_hi:[0,1]
	s_delay_alu instid0(VALU_DEP_2) | instskip(SKIP_3) | instid1(VALU_DEP_1)
	v_pk_fma_f32 v[2:3], v[62:63], v[56:57], v[0:1] op_sel:[0,0,1] op_sel_hi:[1,1,0] neg_lo:[0,0,1] neg_hi:[0,0,1]
	v_pk_fma_f32 v[0:1], v[62:63], v[56:57], v[0:1] op_sel:[0,0,1] op_sel_hi:[1,0,0]
	ds_load_2addr_b64 v[60:63], v6 offset0:44 offset1:45
	v_mov_b32_e32 v3, v1
	v_pk_add_f32 v[214:215], v[214:215], v[2:3] neg_lo:[0,1] neg_hi:[0,1]
	s_wait_dscnt 0x0
	v_pk_mul_f32 v[0:1], v[60:61], v[58:59] op_sel:[0,1]
	s_delay_alu instid0(VALU_DEP_1) | instskip(SKIP_1) | instid1(VALU_DEP_1)
	v_pk_fma_f32 v[2:3], v[60:61], v[56:57], v[0:1] op_sel:[0,0,1] op_sel_hi:[1,1,0] neg_lo:[0,0,1] neg_hi:[0,0,1]
	v_pk_fma_f32 v[0:1], v[60:61], v[56:57], v[0:1] op_sel:[0,0,1] op_sel_hi:[1,0,0]
	v_mov_b32_e32 v3, v1
	v_pk_mul_f32 v[0:1], v[62:63], v[58:59] op_sel:[0,1]
	s_delay_alu instid0(VALU_DEP_2) | instskip(NEXT) | instid1(VALU_DEP_2)
	v_pk_add_f32 v[216:217], v[216:217], v[2:3] neg_lo:[0,1] neg_hi:[0,1]
	v_pk_fma_f32 v[2:3], v[62:63], v[56:57], v[0:1] op_sel:[0,0,1] op_sel_hi:[1,1,0] neg_lo:[0,0,1] neg_hi:[0,0,1]
	v_pk_fma_f32 v[0:1], v[62:63], v[56:57], v[0:1] op_sel:[0,0,1] op_sel_hi:[1,0,0]
	ds_load_2addr_b64 v[60:63], v6 offset0:46 offset1:47
	v_mov_b32_e32 v3, v1
	s_delay_alu instid0(VALU_DEP_1) | instskip(SKIP_2) | instid1(VALU_DEP_1)
	v_pk_add_f32 v[218:219], v[218:219], v[2:3] neg_lo:[0,1] neg_hi:[0,1]
	s_wait_dscnt 0x0
	v_dual_mul_f32 v2, v61, v56 :: v_dual_mul_f32 v0, v61, v59
	v_pk_fma_f32 v[2:3], v[60:61], v[182:183], v[2:3] op_sel:[1,0,0] op_sel_hi:[0,1,0]
	s_delay_alu instid0(VALU_DEP_2) | instskip(NEXT) | instid1(VALU_DEP_2)
	v_pk_fma_f32 v[0:1], v[60:61], v[182:183], v[0:1] op_sel_hi:[1,1,0] neg_lo:[0,0,1] neg_hi:[0,0,1]
	v_mov_b32_e32 v1, v3
	s_delay_alu instid0(VALU_DEP_1) | instskip(SKIP_1) | instid1(VALU_DEP_1)
	v_pk_add_f32 v[220:221], v[220:221], v[0:1] neg_lo:[0,1] neg_hi:[0,1]
	v_pk_mul_f32 v[0:1], v[62:63], v[58:59] op_sel:[0,1]
	v_pk_fma_f32 v[2:3], v[62:63], v[56:57], v[0:1] op_sel:[0,0,1] op_sel_hi:[1,1,0] neg_lo:[0,0,1] neg_hi:[0,0,1]
	v_pk_fma_f32 v[0:1], v[62:63], v[56:57], v[0:1] op_sel:[0,0,1] op_sel_hi:[1,0,0]
	ds_load_2addr_b64 v[60:63], v6 offset0:48 offset1:49
	v_mov_b32_e32 v3, v1
	s_delay_alu instid0(VALU_DEP_1) | instskip(SKIP_2) | instid1(VALU_DEP_1)
	v_pk_add_f32 v[222:223], v[222:223], v[2:3] neg_lo:[0,1] neg_hi:[0,1]
	s_wait_dscnt 0x0
	v_pk_mul_f32 v[0:1], v[60:61], v[58:59] op_sel:[0,1]
	v_pk_fma_f32 v[2:3], v[60:61], v[56:57], v[0:1] op_sel:[0,0,1] op_sel_hi:[1,1,0] neg_lo:[0,0,1] neg_hi:[0,0,1]
	v_pk_fma_f32 v[0:1], v[60:61], v[56:57], v[0:1] op_sel:[0,0,1] op_sel_hi:[1,0,0]
	s_delay_alu instid0(VALU_DEP_1) | instskip(SKIP_1) | instid1(VALU_DEP_2)
	v_mov_b32_e32 v3, v1
	v_pk_mul_f32 v[0:1], v[62:63], v[58:59] op_sel:[0,1]
	v_pk_add_f32 v[224:225], v[224:225], v[2:3] neg_lo:[0,1] neg_hi:[0,1]
	s_delay_alu instid0(VALU_DEP_2) | instskip(SKIP_3) | instid1(VALU_DEP_1)
	v_pk_fma_f32 v[2:3], v[62:63], v[56:57], v[0:1] op_sel:[0,0,1] op_sel_hi:[1,1,0] neg_lo:[0,0,1] neg_hi:[0,0,1]
	v_pk_fma_f32 v[0:1], v[62:63], v[56:57], v[0:1] op_sel:[0,0,1] op_sel_hi:[1,0,0]
	ds_load_2addr_b64 v[60:63], v6 offset0:50 offset1:51
	v_mov_b32_e32 v3, v1
	v_pk_add_f32 v[226:227], v[226:227], v[2:3] neg_lo:[0,1] neg_hi:[0,1]
	s_wait_dscnt 0x0
	v_pk_mul_f32 v[0:1], v[60:61], v[58:59] op_sel:[0,1]
	s_delay_alu instid0(VALU_DEP_1) | instskip(SKIP_2) | instid1(VALU_DEP_2)
	v_pk_fma_f32 v[2:3], v[60:61], v[56:57], v[0:1] op_sel:[0,0,1] op_sel_hi:[1,1,0] neg_lo:[0,0,1] neg_hi:[0,0,1]
	v_pk_fma_f32 v[0:1], v[60:61], v[56:57], v[0:1] op_sel:[0,0,1] op_sel_hi:[1,0,0]
	v_dual_mov_b32 v0, v63 :: v_dual_mul_f32 v60, v63, v56
	v_dual_mov_b32 v3, v1 :: v_dual_mov_b32 v1, v62
	s_delay_alu instid0(VALU_DEP_1) | instskip(SKIP_1) | instid1(VALU_DEP_3)
	v_pk_add_f32 v[228:229], v[228:229], v[2:3] neg_lo:[0,1] neg_hi:[0,1]
	v_mul_f32_e32 v2, v63, v59
	v_pk_fma_f32 v[0:1], v[0:1], v[182:183], v[60:61] op_sel_hi:[1,1,0]
	s_delay_alu instid0(VALU_DEP_2) | instskip(SKIP_2) | instid1(VALU_DEP_1)
	v_pk_fma_f32 v[2:3], v[62:63], v[182:183], v[2:3] op_sel_hi:[1,1,0] neg_lo:[0,0,1] neg_hi:[0,0,1]
	ds_load_2addr_b64 v[60:63], v6 offset0:52 offset1:53
	v_mov_b32_e32 v3, v1
	v_pk_add_f32 v[230:231], v[230:231], v[2:3] neg_lo:[0,1] neg_hi:[0,1]
	s_wait_dscnt 0x0
	v_pk_mul_f32 v[0:1], v[60:61], v[58:59] op_sel:[0,1]
	s_delay_alu instid0(VALU_DEP_1) | instskip(SKIP_1) | instid1(VALU_DEP_1)
	v_pk_fma_f32 v[2:3], v[60:61], v[56:57], v[0:1] op_sel:[0,0,1] op_sel_hi:[1,1,0] neg_lo:[0,0,1] neg_hi:[0,0,1]
	v_pk_fma_f32 v[0:1], v[60:61], v[56:57], v[0:1] op_sel:[0,0,1] op_sel_hi:[1,0,0]
	v_mov_b32_e32 v3, v1
	v_pk_mul_f32 v[0:1], v[62:63], v[58:59] op_sel:[0,1]
	s_delay_alu instid0(VALU_DEP_2) | instskip(NEXT) | instid1(VALU_DEP_2)
	v_pk_add_f32 v[232:233], v[232:233], v[2:3] neg_lo:[0,1] neg_hi:[0,1]
	v_pk_fma_f32 v[2:3], v[62:63], v[56:57], v[0:1] op_sel:[0,0,1] op_sel_hi:[1,1,0] neg_lo:[0,0,1] neg_hi:[0,0,1]
	v_pk_fma_f32 v[0:1], v[62:63], v[56:57], v[0:1] op_sel:[0,0,1] op_sel_hi:[1,0,0]
	ds_load_2addr_b64 v[60:63], v6 offset0:54 offset1:55
	v_mov_b32_e32 v3, v1
	s_delay_alu instid0(VALU_DEP_1) | instskip(SKIP_2) | instid1(VALU_DEP_1)
	v_pk_add_f32 v[234:235], v[234:235], v[2:3] neg_lo:[0,1] neg_hi:[0,1]
	s_wait_dscnt 0x0
	v_pk_mul_f32 v[0:1], v[60:61], v[58:59] op_sel:[0,1]
	v_pk_fma_f32 v[2:3], v[60:61], v[56:57], v[0:1] op_sel:[0,0,1] op_sel_hi:[1,1,0] neg_lo:[0,0,1] neg_hi:[0,0,1]
	v_pk_fma_f32 v[0:1], v[60:61], v[56:57], v[0:1] op_sel:[0,0,1] op_sel_hi:[1,0,0]
	s_delay_alu instid0(VALU_DEP_1) | instskip(SKIP_1) | instid1(VALU_DEP_2)
	v_mov_b32_e32 v3, v1
	v_pk_mul_f32 v[0:1], v[62:63], v[58:59] op_sel:[0,1]
	v_pk_add_f32 v[236:237], v[236:237], v[2:3] neg_lo:[0,1] neg_hi:[0,1]
	s_delay_alu instid0(VALU_DEP_2) | instskip(SKIP_3) | instid1(VALU_DEP_1)
	v_pk_fma_f32 v[2:3], v[62:63], v[56:57], v[0:1] op_sel:[0,0,1] op_sel_hi:[1,1,0] neg_lo:[0,0,1] neg_hi:[0,0,1]
	v_pk_fma_f32 v[0:1], v[62:63], v[56:57], v[0:1] op_sel:[0,0,1] op_sel_hi:[1,0,0]
	ds_load_2addr_b64 v[60:63], v6 offset0:56 offset1:57
	v_mov_b32_e32 v3, v1
	v_pk_add_f32 v[238:239], v[238:239], v[2:3] neg_lo:[0,1] neg_hi:[0,1]
	s_wait_dscnt 0x0
	v_dual_mul_f32 v0, v61, v59 :: v_dual_mul_f32 v2, v61, v56
	s_delay_alu instid0(VALU_DEP_1) | instskip(NEXT) | instid1(VALU_DEP_2)
	v_pk_fma_f32 v[0:1], v[60:61], v[182:183], v[0:1] op_sel_hi:[1,1,0] neg_lo:[0,0,1] neg_hi:[0,0,1]
	v_pk_fma_f32 v[2:3], v[60:61], v[182:183], v[2:3] op_sel:[1,0,0] op_sel_hi:[0,1,0]
	s_delay_alu instid0(VALU_DEP_1) | instskip(NEXT) | instid1(VALU_DEP_1)
	v_mov_b32_e32 v1, v3
	v_pk_add_f32 v[248:249], v[248:249], v[0:1] neg_lo:[0,1] neg_hi:[0,1]
	v_pk_mul_f32 v[0:1], v[62:63], v[58:59] op_sel:[0,1]
	s_delay_alu instid0(VALU_DEP_1) | instskip(SKIP_3) | instid1(VALU_DEP_1)
	v_pk_fma_f32 v[2:3], v[62:63], v[56:57], v[0:1] op_sel:[0,0,1] op_sel_hi:[1,1,0] neg_lo:[0,0,1] neg_hi:[0,0,1]
	v_pk_fma_f32 v[0:1], v[62:63], v[56:57], v[0:1] op_sel:[0,0,1] op_sel_hi:[1,0,0]
	ds_load_2addr_b64 v[60:63], v6 offset0:58 offset1:59
	v_mov_b32_e32 v3, v1
	v_pk_add_f32 v[242:243], v[242:243], v[2:3] neg_lo:[0,1] neg_hi:[0,1]
	s_wait_dscnt 0x0
	v_pk_mul_f32 v[0:1], v[60:61], v[58:59] op_sel:[0,1]
	s_delay_alu instid0(VALU_DEP_1) | instskip(SKIP_1) | instid1(VALU_DEP_1)
	v_pk_fma_f32 v[2:3], v[60:61], v[56:57], v[0:1] op_sel:[0,0,1] op_sel_hi:[1,1,0] neg_lo:[0,0,1] neg_hi:[0,0,1]
	v_pk_fma_f32 v[0:1], v[60:61], v[56:57], v[0:1] op_sel:[0,0,1] op_sel_hi:[1,0,0]
	v_mov_b32_e32 v3, v1
	v_pk_mul_f32 v[0:1], v[62:63], v[58:59] op_sel:[0,1]
	s_delay_alu instid0(VALU_DEP_2) | instskip(NEXT) | instid1(VALU_DEP_2)
	v_pk_add_f32 v[246:247], v[246:247], v[2:3] neg_lo:[0,1] neg_hi:[0,1]
	v_pk_fma_f32 v[2:3], v[62:63], v[56:57], v[0:1] op_sel:[0,0,1] op_sel_hi:[1,1,0] neg_lo:[0,0,1] neg_hi:[0,0,1]
	v_pk_fma_f32 v[0:1], v[62:63], v[56:57], v[0:1] op_sel:[0,0,1] op_sel_hi:[1,0,0]
	ds_load_2addr_b64 v[60:63], v6 offset0:60 offset1:61
	v_mov_b32_e32 v3, v1
	s_delay_alu instid0(VALU_DEP_1) | instskip(SKIP_2) | instid1(VALU_DEP_1)
	v_pk_add_f32 v[240:241], v[240:241], v[2:3] neg_lo:[0,1] neg_hi:[0,1]
	s_wait_dscnt 0x0
	v_pk_mul_f32 v[0:1], v[60:61], v[58:59] op_sel:[0,1]
	v_pk_fma_f32 v[2:3], v[60:61], v[56:57], v[0:1] op_sel:[0,0,1] op_sel_hi:[1,1,0] neg_lo:[0,0,1] neg_hi:[0,0,1]
	v_pk_fma_f32 v[0:1], v[60:61], v[56:57], v[0:1] op_sel:[0,0,1] op_sel_hi:[1,0,0]
	v_dual_mov_b32 v0, v63 :: v_dual_mul_f32 v60, v63, v56
	s_delay_alu instid0(VALU_DEP_2) | instskip(NEXT) | instid1(VALU_DEP_1)
	v_dual_mov_b32 v3, v1 :: v_dual_mov_b32 v1, v62
	v_pk_add_f32 v[244:245], v[244:245], v[2:3] neg_lo:[0,1] neg_hi:[0,1]
	v_mul_f32_e32 v2, v63, v59
	s_delay_alu instid0(VALU_DEP_3) | instskip(NEXT) | instid1(VALU_DEP_2)
	v_pk_fma_f32 v[0:1], v[0:1], v[182:183], v[60:61] op_sel_hi:[1,1,0]
	v_pk_fma_f32 v[2:3], v[62:63], v[182:183], v[2:3] op_sel_hi:[1,1,0] neg_lo:[0,0,1] neg_hi:[0,0,1]
	s_delay_alu instid0(VALU_DEP_2) | instskip(SKIP_4) | instid1(VALU_DEP_1)
	v_mov_b32_e32 v3, v1
	ds_load_b64 v[0:1], v6 offset:496
	v_pk_add_f32 v[250:251], v[250:251], v[2:3] neg_lo:[0,1] neg_hi:[0,1]
	s_wait_dscnt 0x0
	v_pk_mul_f32 v[2:3], v[0:1], v[58:59] op_sel:[0,1]
	v_pk_fma_f32 v[58:59], v[0:1], v[56:57], v[2:3] op_sel:[0,0,1] op_sel_hi:[1,1,0] neg_lo:[0,0,1] neg_hi:[0,0,1]
	v_pk_fma_f32 v[0:1], v[0:1], v[56:57], v[2:3] op_sel:[0,0,1] op_sel_hi:[1,0,0]
	s_delay_alu instid0(VALU_DEP_1) | instskip(NEXT) | instid1(VALU_DEP_1)
	v_mov_b32_e32 v59, v1
	v_pk_add_f32 v[252:253], v[252:253], v[58:59] neg_lo:[0,1] neg_hi:[0,1]
.LBB125_253:
	s_or_b32 exec_lo, exec_lo, s1
	s_delay_alu instid0(SALU_CYCLE_1)
	s_mov_b32 s2, exec_lo
	s_wait_dscnt 0x0
	s_barrier_signal -1
	s_barrier_wait -1
	v_cmpx_eq_u32_e32 28, v254
	s_cbranch_execz .LBB125_260
; %bb.254:
	ds_store_b64 v255, v[184:185]
	ds_store_2addr_b64 v6, v[186:187], v[188:189] offset0:29 offset1:30
	ds_store_2addr_b64 v6, v[190:191], v[192:193] offset0:31 offset1:32
	;; [unrolled: 1-line block ×17, first 2 shown]
	ds_load_b64 v[56:57], v255
	s_wait_dscnt 0x0
	v_cmp_neq_f32_e32 vcc_lo, 0, v56
	v_cmp_neq_f32_e64 s1, 0, v57
	s_or_b32 s1, vcc_lo, s1
	s_delay_alu instid0(SALU_CYCLE_1)
	s_and_b32 exec_lo, exec_lo, s1
	s_cbranch_execz .LBB125_260
; %bb.255:
	v_cmp_ngt_f32_e64 s1, |v56|, |v57|
                                        ; implicit-def: $vgpr58_vgpr59
	s_and_saveexec_b32 s4, s1
	s_delay_alu instid0(SALU_CYCLE_1)
	s_xor_b32 s1, exec_lo, s4
	s_cbranch_execz .LBB125_257
; %bb.256:
	v_div_scale_f32 v0, null, v57, v57, v56
	v_div_scale_f32 v3, vcc_lo, v56, v57, v56
	s_delay_alu instid0(VALU_DEP_2) | instskip(SKIP_1) | instid1(TRANS32_DEP_1)
	v_rcp_f32_e32 v1, v0
	v_nop
	v_fma_f32 v2, -v0, v1, 1.0
	s_delay_alu instid0(VALU_DEP_1) | instskip(NEXT) | instid1(VALU_DEP_1)
	v_fmac_f32_e32 v1, v2, v1
	v_mul_f32_e32 v2, v3, v1
	s_delay_alu instid0(VALU_DEP_1) | instskip(NEXT) | instid1(VALU_DEP_1)
	v_fma_f32 v4, -v0, v2, v3
	v_fmac_f32_e32 v2, v4, v1
	s_delay_alu instid0(VALU_DEP_1) | instskip(NEXT) | instid1(VALU_DEP_1)
	v_fma_f32 v0, -v0, v2, v3
	v_div_fmas_f32 v0, v0, v1, v2
	s_delay_alu instid0(VALU_DEP_1) | instskip(NEXT) | instid1(VALU_DEP_1)
	v_div_fixup_f32 v0, v0, v57, v56
	v_fmac_f32_e32 v57, v56, v0
	s_delay_alu instid0(VALU_DEP_1) | instskip(SKIP_1) | instid1(VALU_DEP_2)
	v_div_scale_f32 v1, null, v57, v57, 1.0
	v_div_scale_f32 v4, vcc_lo, 1.0, v57, 1.0
	v_rcp_f32_e32 v2, v1
	v_nop
	s_delay_alu instid0(TRANS32_DEP_1) | instskip(NEXT) | instid1(VALU_DEP_1)
	v_fma_f32 v3, -v1, v2, 1.0
	v_fmac_f32_e32 v2, v3, v2
	s_delay_alu instid0(VALU_DEP_1) | instskip(NEXT) | instid1(VALU_DEP_1)
	v_mul_f32_e32 v3, v4, v2
	v_fma_f32 v5, -v1, v3, v4
	s_delay_alu instid0(VALU_DEP_1) | instskip(NEXT) | instid1(VALU_DEP_1)
	v_fmac_f32_e32 v3, v5, v2
	v_fma_f32 v1, -v1, v3, v4
	s_delay_alu instid0(VALU_DEP_1) | instskip(NEXT) | instid1(VALU_DEP_1)
	v_div_fmas_f32 v1, v1, v2, v3
	v_div_fixup_f32 v1, v1, v57, 1.0
                                        ; implicit-def: $vgpr56_vgpr57
	s_delay_alu instid0(VALU_DEP_1)
	v_mul_f32_e32 v58, v0, v1
	v_xor_b32_e32 v59, 0x80000000, v1
.LBB125_257:
	s_and_not1_saveexec_b32 s1, s1
	s_cbranch_execz .LBB125_259
; %bb.258:
	v_div_scale_f32 v0, null, v56, v56, v57
	v_div_scale_f32 v3, vcc_lo, v57, v56, v57
	s_delay_alu instid0(VALU_DEP_2) | instskip(SKIP_1) | instid1(TRANS32_DEP_1)
	v_rcp_f32_e32 v1, v0
	v_nop
	v_fma_f32 v2, -v0, v1, 1.0
	s_delay_alu instid0(VALU_DEP_1) | instskip(NEXT) | instid1(VALU_DEP_1)
	v_fmac_f32_e32 v1, v2, v1
	v_mul_f32_e32 v2, v3, v1
	s_delay_alu instid0(VALU_DEP_1) | instskip(NEXT) | instid1(VALU_DEP_1)
	v_fma_f32 v4, -v0, v2, v3
	v_fmac_f32_e32 v2, v4, v1
	s_delay_alu instid0(VALU_DEP_1) | instskip(NEXT) | instid1(VALU_DEP_1)
	v_fma_f32 v0, -v0, v2, v3
	v_div_fmas_f32 v0, v0, v1, v2
	s_delay_alu instid0(VALU_DEP_1) | instskip(NEXT) | instid1(VALU_DEP_1)
	v_div_fixup_f32 v0, v0, v56, v57
	v_fmac_f32_e32 v56, v57, v0
	s_delay_alu instid0(VALU_DEP_1) | instskip(NEXT) | instid1(VALU_DEP_1)
	v_div_scale_f32 v1, null, v56, v56, 1.0
	v_rcp_f32_e32 v2, v1
	v_nop
	s_delay_alu instid0(TRANS32_DEP_1) | instskip(NEXT) | instid1(VALU_DEP_1)
	v_fma_f32 v3, -v1, v2, 1.0
	v_fmac_f32_e32 v2, v3, v2
	v_div_scale_f32 v3, vcc_lo, 1.0, v56, 1.0
	s_delay_alu instid0(VALU_DEP_1) | instskip(NEXT) | instid1(VALU_DEP_1)
	v_mul_f32_e32 v4, v3, v2
	v_fma_f32 v5, -v1, v4, v3
	s_delay_alu instid0(VALU_DEP_1) | instskip(NEXT) | instid1(VALU_DEP_1)
	v_fmac_f32_e32 v4, v5, v2
	v_fma_f32 v1, -v1, v4, v3
	s_delay_alu instid0(VALU_DEP_1) | instskip(NEXT) | instid1(VALU_DEP_1)
	v_div_fmas_f32 v1, v1, v2, v4
	v_div_fixup_f32 v58, v1, v56, 1.0
	s_delay_alu instid0(VALU_DEP_1)
	v_mul_f32_e64 v59, v0, -v58
.LBB125_259:
	s_or_b32 exec_lo, exec_lo, s1
	ds_store_b64 v255, v[58:59]
.LBB125_260:
	s_or_b32 exec_lo, exec_lo, s2
	s_wait_dscnt 0x0
	s_barrier_signal -1
	s_barrier_wait -1
	ds_load_b64 v[56:57], v255
	s_mov_b32 s1, exec_lo
	v_cmpx_lt_u32_e32 28, v254
	s_cbranch_execz .LBB125_262
; %bb.261:
	ds_load_2addr_b64 v[62:65], v6 offset0:29 offset1:30
	s_wait_dscnt 0x1
	v_pk_mul_f32 v[0:1], v[56:57], v[184:185] op_sel:[1,1] op_sel_hi:[0,1]
	s_delay_alu instid0(VALU_DEP_1) | instskip(SKIP_1) | instid1(VALU_DEP_1)
	v_pk_fma_f32 v[60:61], v[56:57], v[184:185], v[0:1] op_sel_hi:[1,0,1]
	v_pk_fma_f32 v[58:59], v[56:57], v[184:185], v[0:1] op_sel_hi:[1,0,1] neg_lo:[0,0,1] neg_hi:[0,0,1]
	v_dual_mov_b32 v185, v61 :: v_dual_mov_b32 v184, v58
	s_wait_dscnt 0x0
	s_delay_alu instid0(VALU_DEP_3) | instskip(NEXT) | instid1(VALU_DEP_1)
	v_pk_mul_f32 v[0:1], v[62:63], v[60:61] op_sel:[0,1]
	v_pk_fma_f32 v[2:3], v[62:63], v[58:59], v[0:1] op_sel:[0,0,1] op_sel_hi:[1,1,0] neg_lo:[0,0,1] neg_hi:[0,0,1]
	v_pk_fma_f32 v[0:1], v[62:63], v[58:59], v[0:1] op_sel:[0,0,1] op_sel_hi:[1,0,0]
	s_delay_alu instid0(VALU_DEP_1) | instskip(SKIP_1) | instid1(VALU_DEP_2)
	v_mov_b32_e32 v3, v1
	v_pk_mul_f32 v[0:1], v[64:65], v[60:61] op_sel:[0,1]
	v_pk_add_f32 v[186:187], v[186:187], v[2:3] neg_lo:[0,1] neg_hi:[0,1]
	s_delay_alu instid0(VALU_DEP_2) | instskip(SKIP_3) | instid1(VALU_DEP_1)
	v_pk_fma_f32 v[2:3], v[64:65], v[58:59], v[0:1] op_sel:[0,0,1] op_sel_hi:[1,1,0] neg_lo:[0,0,1] neg_hi:[0,0,1]
	v_pk_fma_f32 v[0:1], v[64:65], v[58:59], v[0:1] op_sel:[0,0,1] op_sel_hi:[1,0,0]
	ds_load_2addr_b64 v[62:65], v6 offset0:31 offset1:32
	v_mov_b32_e32 v3, v1
	v_pk_add_f32 v[188:189], v[188:189], v[2:3] neg_lo:[0,1] neg_hi:[0,1]
	s_wait_dscnt 0x0
	v_pk_mul_f32 v[0:1], v[62:63], v[60:61] op_sel:[0,1]
	s_delay_alu instid0(VALU_DEP_1) | instskip(SKIP_2) | instid1(VALU_DEP_2)
	v_pk_fma_f32 v[2:3], v[62:63], v[58:59], v[0:1] op_sel:[0,0,1] op_sel_hi:[1,1,0] neg_lo:[0,0,1] neg_hi:[0,0,1]
	v_pk_fma_f32 v[0:1], v[62:63], v[58:59], v[0:1] op_sel:[0,0,1] op_sel_hi:[1,0,0]
	v_dual_mov_b32 v0, v65 :: v_dual_mul_f32 v62, v65, v58
	v_dual_mov_b32 v3, v1 :: v_dual_mov_b32 v1, v64
	s_delay_alu instid0(VALU_DEP_1) | instskip(SKIP_1) | instid1(VALU_DEP_3)
	v_pk_add_f32 v[190:191], v[190:191], v[2:3] neg_lo:[0,1] neg_hi:[0,1]
	v_mul_f32_e32 v2, v65, v61
	v_pk_fma_f32 v[0:1], v[0:1], v[184:185], v[62:63] op_sel_hi:[1,1,0]
	s_delay_alu instid0(VALU_DEP_2) | instskip(SKIP_2) | instid1(VALU_DEP_1)
	v_pk_fma_f32 v[2:3], v[64:65], v[184:185], v[2:3] op_sel_hi:[1,1,0] neg_lo:[0,0,1] neg_hi:[0,0,1]
	ds_load_2addr_b64 v[62:65], v6 offset0:33 offset1:34
	v_mov_b32_e32 v3, v1
	v_pk_add_f32 v[192:193], v[192:193], v[2:3] neg_lo:[0,1] neg_hi:[0,1]
	s_wait_dscnt 0x0
	v_pk_mul_f32 v[0:1], v[62:63], v[60:61] op_sel:[0,1]
	s_delay_alu instid0(VALU_DEP_1) | instskip(SKIP_1) | instid1(VALU_DEP_1)
	v_pk_fma_f32 v[2:3], v[62:63], v[58:59], v[0:1] op_sel:[0,0,1] op_sel_hi:[1,1,0] neg_lo:[0,0,1] neg_hi:[0,0,1]
	v_pk_fma_f32 v[0:1], v[62:63], v[58:59], v[0:1] op_sel:[0,0,1] op_sel_hi:[1,0,0]
	v_mov_b32_e32 v3, v1
	v_pk_mul_f32 v[0:1], v[64:65], v[60:61] op_sel:[0,1]
	s_delay_alu instid0(VALU_DEP_2) | instskip(NEXT) | instid1(VALU_DEP_2)
	v_pk_add_f32 v[194:195], v[194:195], v[2:3] neg_lo:[0,1] neg_hi:[0,1]
	v_pk_fma_f32 v[2:3], v[64:65], v[58:59], v[0:1] op_sel:[0,0,1] op_sel_hi:[1,1,0] neg_lo:[0,0,1] neg_hi:[0,0,1]
	v_pk_fma_f32 v[0:1], v[64:65], v[58:59], v[0:1] op_sel:[0,0,1] op_sel_hi:[1,0,0]
	ds_load_2addr_b64 v[62:65], v6 offset0:35 offset1:36
	v_mov_b32_e32 v3, v1
	s_delay_alu instid0(VALU_DEP_1) | instskip(SKIP_2) | instid1(VALU_DEP_1)
	v_pk_add_f32 v[196:197], v[196:197], v[2:3] neg_lo:[0,1] neg_hi:[0,1]
	s_wait_dscnt 0x0
	v_pk_mul_f32 v[0:1], v[62:63], v[60:61] op_sel:[0,1]
	v_pk_fma_f32 v[2:3], v[62:63], v[58:59], v[0:1] op_sel:[0,0,1] op_sel_hi:[1,1,0] neg_lo:[0,0,1] neg_hi:[0,0,1]
	v_pk_fma_f32 v[0:1], v[62:63], v[58:59], v[0:1] op_sel:[0,0,1] op_sel_hi:[1,0,0]
	s_delay_alu instid0(VALU_DEP_1) | instskip(SKIP_1) | instid1(VALU_DEP_2)
	v_mov_b32_e32 v3, v1
	v_pk_mul_f32 v[0:1], v[64:65], v[60:61] op_sel:[0,1]
	v_pk_add_f32 v[198:199], v[198:199], v[2:3] neg_lo:[0,1] neg_hi:[0,1]
	s_delay_alu instid0(VALU_DEP_2) | instskip(SKIP_3) | instid1(VALU_DEP_1)
	v_pk_fma_f32 v[2:3], v[64:65], v[58:59], v[0:1] op_sel:[0,0,1] op_sel_hi:[1,1,0] neg_lo:[0,0,1] neg_hi:[0,0,1]
	v_pk_fma_f32 v[0:1], v[64:65], v[58:59], v[0:1] op_sel:[0,0,1] op_sel_hi:[1,0,0]
	ds_load_2addr_b64 v[62:65], v6 offset0:37 offset1:38
	v_mov_b32_e32 v3, v1
	v_pk_add_f32 v[200:201], v[200:201], v[2:3] neg_lo:[0,1] neg_hi:[0,1]
	s_wait_dscnt 0x0
	v_dual_mul_f32 v2, v63, v58 :: v_dual_mul_f32 v0, v63, v61
	s_delay_alu instid0(VALU_DEP_1) | instskip(NEXT) | instid1(VALU_DEP_2)
	v_pk_fma_f32 v[2:3], v[62:63], v[184:185], v[2:3] op_sel:[1,0,0] op_sel_hi:[0,1,0]
	v_pk_fma_f32 v[0:1], v[62:63], v[184:185], v[0:1] op_sel_hi:[1,1,0] neg_lo:[0,0,1] neg_hi:[0,0,1]
	s_delay_alu instid0(VALU_DEP_2) | instskip(NEXT) | instid1(VALU_DEP_1)
	v_mov_b32_e32 v1, v3
	v_pk_add_f32 v[202:203], v[202:203], v[0:1] neg_lo:[0,1] neg_hi:[0,1]
	v_pk_mul_f32 v[0:1], v[64:65], v[60:61] op_sel:[0,1]
	s_delay_alu instid0(VALU_DEP_1) | instskip(SKIP_3) | instid1(VALU_DEP_1)
	v_pk_fma_f32 v[2:3], v[64:65], v[58:59], v[0:1] op_sel:[0,0,1] op_sel_hi:[1,1,0] neg_lo:[0,0,1] neg_hi:[0,0,1]
	v_pk_fma_f32 v[0:1], v[64:65], v[58:59], v[0:1] op_sel:[0,0,1] op_sel_hi:[1,0,0]
	ds_load_2addr_b64 v[62:65], v6 offset0:39 offset1:40
	v_mov_b32_e32 v3, v1
	v_pk_add_f32 v[204:205], v[204:205], v[2:3] neg_lo:[0,1] neg_hi:[0,1]
	s_wait_dscnt 0x0
	v_pk_mul_f32 v[0:1], v[62:63], v[60:61] op_sel:[0,1]
	s_delay_alu instid0(VALU_DEP_1) | instskip(SKIP_1) | instid1(VALU_DEP_1)
	v_pk_fma_f32 v[2:3], v[62:63], v[58:59], v[0:1] op_sel:[0,0,1] op_sel_hi:[1,1,0] neg_lo:[0,0,1] neg_hi:[0,0,1]
	v_pk_fma_f32 v[0:1], v[62:63], v[58:59], v[0:1] op_sel:[0,0,1] op_sel_hi:[1,0,0]
	v_mov_b32_e32 v3, v1
	v_pk_mul_f32 v[0:1], v[64:65], v[60:61] op_sel:[0,1]
	s_delay_alu instid0(VALU_DEP_2) | instskip(NEXT) | instid1(VALU_DEP_2)
	v_pk_add_f32 v[206:207], v[206:207], v[2:3] neg_lo:[0,1] neg_hi:[0,1]
	v_pk_fma_f32 v[2:3], v[64:65], v[58:59], v[0:1] op_sel:[0,0,1] op_sel_hi:[1,1,0] neg_lo:[0,0,1] neg_hi:[0,0,1]
	v_pk_fma_f32 v[0:1], v[64:65], v[58:59], v[0:1] op_sel:[0,0,1] op_sel_hi:[1,0,0]
	ds_load_2addr_b64 v[62:65], v6 offset0:41 offset1:42
	v_mov_b32_e32 v3, v1
	s_delay_alu instid0(VALU_DEP_1) | instskip(SKIP_2) | instid1(VALU_DEP_1)
	v_pk_add_f32 v[208:209], v[208:209], v[2:3] neg_lo:[0,1] neg_hi:[0,1]
	s_wait_dscnt 0x0
	v_pk_mul_f32 v[0:1], v[62:63], v[60:61] op_sel:[0,1]
	v_pk_fma_f32 v[2:3], v[62:63], v[58:59], v[0:1] op_sel:[0,0,1] op_sel_hi:[1,1,0] neg_lo:[0,0,1] neg_hi:[0,0,1]
	v_pk_fma_f32 v[0:1], v[62:63], v[58:59], v[0:1] op_sel:[0,0,1] op_sel_hi:[1,0,0]
	v_dual_mov_b32 v0, v65 :: v_dual_mul_f32 v62, v65, v58
	s_delay_alu instid0(VALU_DEP_2) | instskip(NEXT) | instid1(VALU_DEP_1)
	v_dual_mov_b32 v3, v1 :: v_dual_mov_b32 v1, v64
	v_pk_add_f32 v[210:211], v[210:211], v[2:3] neg_lo:[0,1] neg_hi:[0,1]
	v_mul_f32_e32 v2, v65, v61
	s_delay_alu instid0(VALU_DEP_3) | instskip(NEXT) | instid1(VALU_DEP_2)
	v_pk_fma_f32 v[0:1], v[0:1], v[184:185], v[62:63] op_sel_hi:[1,1,0]
	v_pk_fma_f32 v[2:3], v[64:65], v[184:185], v[2:3] op_sel_hi:[1,1,0] neg_lo:[0,0,1] neg_hi:[0,0,1]
	ds_load_2addr_b64 v[62:65], v6 offset0:43 offset1:44
	v_mov_b32_e32 v3, v1
	s_delay_alu instid0(VALU_DEP_1) | instskip(SKIP_2) | instid1(VALU_DEP_1)
	v_pk_add_f32 v[212:213], v[212:213], v[2:3] neg_lo:[0,1] neg_hi:[0,1]
	s_wait_dscnt 0x0
	v_pk_mul_f32 v[0:1], v[62:63], v[60:61] op_sel:[0,1]
	v_pk_fma_f32 v[2:3], v[62:63], v[58:59], v[0:1] op_sel:[0,0,1] op_sel_hi:[1,1,0] neg_lo:[0,0,1] neg_hi:[0,0,1]
	v_pk_fma_f32 v[0:1], v[62:63], v[58:59], v[0:1] op_sel:[0,0,1] op_sel_hi:[1,0,0]
	s_delay_alu instid0(VALU_DEP_1) | instskip(SKIP_1) | instid1(VALU_DEP_2)
	v_mov_b32_e32 v3, v1
	v_pk_mul_f32 v[0:1], v[64:65], v[60:61] op_sel:[0,1]
	v_pk_add_f32 v[214:215], v[214:215], v[2:3] neg_lo:[0,1] neg_hi:[0,1]
	s_delay_alu instid0(VALU_DEP_2) | instskip(SKIP_3) | instid1(VALU_DEP_1)
	v_pk_fma_f32 v[2:3], v[64:65], v[58:59], v[0:1] op_sel:[0,0,1] op_sel_hi:[1,1,0] neg_lo:[0,0,1] neg_hi:[0,0,1]
	v_pk_fma_f32 v[0:1], v[64:65], v[58:59], v[0:1] op_sel:[0,0,1] op_sel_hi:[1,0,0]
	ds_load_2addr_b64 v[62:65], v6 offset0:45 offset1:46
	v_mov_b32_e32 v3, v1
	v_pk_add_f32 v[216:217], v[216:217], v[2:3] neg_lo:[0,1] neg_hi:[0,1]
	s_wait_dscnt 0x0
	v_pk_mul_f32 v[0:1], v[62:63], v[60:61] op_sel:[0,1]
	s_delay_alu instid0(VALU_DEP_1) | instskip(SKIP_1) | instid1(VALU_DEP_1)
	v_pk_fma_f32 v[2:3], v[62:63], v[58:59], v[0:1] op_sel:[0,0,1] op_sel_hi:[1,1,0] neg_lo:[0,0,1] neg_hi:[0,0,1]
	v_pk_fma_f32 v[0:1], v[62:63], v[58:59], v[0:1] op_sel:[0,0,1] op_sel_hi:[1,0,0]
	v_mov_b32_e32 v3, v1
	v_pk_mul_f32 v[0:1], v[64:65], v[60:61] op_sel:[0,1]
	s_delay_alu instid0(VALU_DEP_2) | instskip(NEXT) | instid1(VALU_DEP_2)
	v_pk_add_f32 v[218:219], v[218:219], v[2:3] neg_lo:[0,1] neg_hi:[0,1]
	v_pk_fma_f32 v[2:3], v[64:65], v[58:59], v[0:1] op_sel:[0,0,1] op_sel_hi:[1,1,0] neg_lo:[0,0,1] neg_hi:[0,0,1]
	v_pk_fma_f32 v[0:1], v[64:65], v[58:59], v[0:1] op_sel:[0,0,1] op_sel_hi:[1,0,0]
	ds_load_2addr_b64 v[62:65], v6 offset0:47 offset1:48
	v_mov_b32_e32 v3, v1
	s_delay_alu instid0(VALU_DEP_1) | instskip(SKIP_2) | instid1(VALU_DEP_1)
	v_pk_add_f32 v[220:221], v[220:221], v[2:3] neg_lo:[0,1] neg_hi:[0,1]
	s_wait_dscnt 0x0
	v_dual_mul_f32 v2, v63, v58 :: v_dual_mul_f32 v0, v63, v61
	v_pk_fma_f32 v[2:3], v[62:63], v[184:185], v[2:3] op_sel:[1,0,0] op_sel_hi:[0,1,0]
	s_delay_alu instid0(VALU_DEP_2) | instskip(NEXT) | instid1(VALU_DEP_2)
	v_pk_fma_f32 v[0:1], v[62:63], v[184:185], v[0:1] op_sel_hi:[1,1,0] neg_lo:[0,0,1] neg_hi:[0,0,1]
	v_mov_b32_e32 v1, v3
	s_delay_alu instid0(VALU_DEP_1) | instskip(SKIP_1) | instid1(VALU_DEP_1)
	v_pk_add_f32 v[222:223], v[222:223], v[0:1] neg_lo:[0,1] neg_hi:[0,1]
	v_pk_mul_f32 v[0:1], v[64:65], v[60:61] op_sel:[0,1]
	v_pk_fma_f32 v[2:3], v[64:65], v[58:59], v[0:1] op_sel:[0,0,1] op_sel_hi:[1,1,0] neg_lo:[0,0,1] neg_hi:[0,0,1]
	v_pk_fma_f32 v[0:1], v[64:65], v[58:59], v[0:1] op_sel:[0,0,1] op_sel_hi:[1,0,0]
	ds_load_2addr_b64 v[62:65], v6 offset0:49 offset1:50
	v_mov_b32_e32 v3, v1
	s_delay_alu instid0(VALU_DEP_1) | instskip(SKIP_2) | instid1(VALU_DEP_1)
	v_pk_add_f32 v[224:225], v[224:225], v[2:3] neg_lo:[0,1] neg_hi:[0,1]
	s_wait_dscnt 0x0
	v_pk_mul_f32 v[0:1], v[62:63], v[60:61] op_sel:[0,1]
	v_pk_fma_f32 v[2:3], v[62:63], v[58:59], v[0:1] op_sel:[0,0,1] op_sel_hi:[1,1,0] neg_lo:[0,0,1] neg_hi:[0,0,1]
	v_pk_fma_f32 v[0:1], v[62:63], v[58:59], v[0:1] op_sel:[0,0,1] op_sel_hi:[1,0,0]
	s_delay_alu instid0(VALU_DEP_1) | instskip(SKIP_1) | instid1(VALU_DEP_2)
	v_mov_b32_e32 v3, v1
	v_pk_mul_f32 v[0:1], v[64:65], v[60:61] op_sel:[0,1]
	v_pk_add_f32 v[226:227], v[226:227], v[2:3] neg_lo:[0,1] neg_hi:[0,1]
	s_delay_alu instid0(VALU_DEP_2) | instskip(SKIP_3) | instid1(VALU_DEP_1)
	v_pk_fma_f32 v[2:3], v[64:65], v[58:59], v[0:1] op_sel:[0,0,1] op_sel_hi:[1,1,0] neg_lo:[0,0,1] neg_hi:[0,0,1]
	v_pk_fma_f32 v[0:1], v[64:65], v[58:59], v[0:1] op_sel:[0,0,1] op_sel_hi:[1,0,0]
	ds_load_2addr_b64 v[62:65], v6 offset0:51 offset1:52
	v_mov_b32_e32 v3, v1
	v_pk_add_f32 v[228:229], v[228:229], v[2:3] neg_lo:[0,1] neg_hi:[0,1]
	s_wait_dscnt 0x0
	v_pk_mul_f32 v[0:1], v[62:63], v[60:61] op_sel:[0,1]
	s_delay_alu instid0(VALU_DEP_1) | instskip(SKIP_2) | instid1(VALU_DEP_2)
	v_pk_fma_f32 v[2:3], v[62:63], v[58:59], v[0:1] op_sel:[0,0,1] op_sel_hi:[1,1,0] neg_lo:[0,0,1] neg_hi:[0,0,1]
	v_pk_fma_f32 v[0:1], v[62:63], v[58:59], v[0:1] op_sel:[0,0,1] op_sel_hi:[1,0,0]
	v_dual_mov_b32 v0, v65 :: v_dual_mul_f32 v62, v65, v58
	v_dual_mov_b32 v3, v1 :: v_dual_mov_b32 v1, v64
	s_delay_alu instid0(VALU_DEP_1) | instskip(SKIP_1) | instid1(VALU_DEP_3)
	v_pk_add_f32 v[230:231], v[230:231], v[2:3] neg_lo:[0,1] neg_hi:[0,1]
	v_mul_f32_e32 v2, v65, v61
	v_pk_fma_f32 v[0:1], v[0:1], v[184:185], v[62:63] op_sel_hi:[1,1,0]
	s_delay_alu instid0(VALU_DEP_2) | instskip(SKIP_2) | instid1(VALU_DEP_1)
	v_pk_fma_f32 v[2:3], v[64:65], v[184:185], v[2:3] op_sel_hi:[1,1,0] neg_lo:[0,0,1] neg_hi:[0,0,1]
	ds_load_2addr_b64 v[62:65], v6 offset0:53 offset1:54
	v_mov_b32_e32 v3, v1
	v_pk_add_f32 v[232:233], v[232:233], v[2:3] neg_lo:[0,1] neg_hi:[0,1]
	s_wait_dscnt 0x0
	v_pk_mul_f32 v[0:1], v[62:63], v[60:61] op_sel:[0,1]
	s_delay_alu instid0(VALU_DEP_1) | instskip(SKIP_1) | instid1(VALU_DEP_1)
	v_pk_fma_f32 v[2:3], v[62:63], v[58:59], v[0:1] op_sel:[0,0,1] op_sel_hi:[1,1,0] neg_lo:[0,0,1] neg_hi:[0,0,1]
	v_pk_fma_f32 v[0:1], v[62:63], v[58:59], v[0:1] op_sel:[0,0,1] op_sel_hi:[1,0,0]
	v_mov_b32_e32 v3, v1
	v_pk_mul_f32 v[0:1], v[64:65], v[60:61] op_sel:[0,1]
	s_delay_alu instid0(VALU_DEP_2) | instskip(NEXT) | instid1(VALU_DEP_2)
	v_pk_add_f32 v[234:235], v[234:235], v[2:3] neg_lo:[0,1] neg_hi:[0,1]
	v_pk_fma_f32 v[2:3], v[64:65], v[58:59], v[0:1] op_sel:[0,0,1] op_sel_hi:[1,1,0] neg_lo:[0,0,1] neg_hi:[0,0,1]
	v_pk_fma_f32 v[0:1], v[64:65], v[58:59], v[0:1] op_sel:[0,0,1] op_sel_hi:[1,0,0]
	ds_load_2addr_b64 v[62:65], v6 offset0:55 offset1:56
	v_mov_b32_e32 v3, v1
	s_delay_alu instid0(VALU_DEP_1) | instskip(SKIP_2) | instid1(VALU_DEP_1)
	v_pk_add_f32 v[236:237], v[236:237], v[2:3] neg_lo:[0,1] neg_hi:[0,1]
	s_wait_dscnt 0x0
	v_pk_mul_f32 v[0:1], v[62:63], v[60:61] op_sel:[0,1]
	v_pk_fma_f32 v[2:3], v[62:63], v[58:59], v[0:1] op_sel:[0,0,1] op_sel_hi:[1,1,0] neg_lo:[0,0,1] neg_hi:[0,0,1]
	v_pk_fma_f32 v[0:1], v[62:63], v[58:59], v[0:1] op_sel:[0,0,1] op_sel_hi:[1,0,0]
	s_delay_alu instid0(VALU_DEP_1) | instskip(SKIP_1) | instid1(VALU_DEP_2)
	v_mov_b32_e32 v3, v1
	v_pk_mul_f32 v[0:1], v[64:65], v[60:61] op_sel:[0,1]
	v_pk_add_f32 v[238:239], v[238:239], v[2:3] neg_lo:[0,1] neg_hi:[0,1]
	s_delay_alu instid0(VALU_DEP_2) | instskip(SKIP_3) | instid1(VALU_DEP_1)
	v_pk_fma_f32 v[2:3], v[64:65], v[58:59], v[0:1] op_sel:[0,0,1] op_sel_hi:[1,1,0] neg_lo:[0,0,1] neg_hi:[0,0,1]
	v_pk_fma_f32 v[0:1], v[64:65], v[58:59], v[0:1] op_sel:[0,0,1] op_sel_hi:[1,0,0]
	ds_load_2addr_b64 v[62:65], v6 offset0:57 offset1:58
	v_mov_b32_e32 v3, v1
	v_pk_add_f32 v[248:249], v[248:249], v[2:3] neg_lo:[0,1] neg_hi:[0,1]
	s_wait_dscnt 0x0
	v_dual_mul_f32 v2, v63, v58 :: v_dual_mul_f32 v0, v63, v61
	s_delay_alu instid0(VALU_DEP_1) | instskip(NEXT) | instid1(VALU_DEP_2)
	v_pk_fma_f32 v[2:3], v[62:63], v[184:185], v[2:3] op_sel:[1,0,0] op_sel_hi:[0,1,0]
	v_pk_fma_f32 v[0:1], v[62:63], v[184:185], v[0:1] op_sel_hi:[1,1,0] neg_lo:[0,0,1] neg_hi:[0,0,1]
	s_delay_alu instid0(VALU_DEP_2) | instskip(NEXT) | instid1(VALU_DEP_1)
	v_mov_b32_e32 v1, v3
	v_pk_add_f32 v[242:243], v[242:243], v[0:1] neg_lo:[0,1] neg_hi:[0,1]
	v_pk_mul_f32 v[0:1], v[64:65], v[60:61] op_sel:[0,1]
	s_delay_alu instid0(VALU_DEP_1) | instskip(SKIP_3) | instid1(VALU_DEP_1)
	v_pk_fma_f32 v[2:3], v[64:65], v[58:59], v[0:1] op_sel:[0,0,1] op_sel_hi:[1,1,0] neg_lo:[0,0,1] neg_hi:[0,0,1]
	v_pk_fma_f32 v[0:1], v[64:65], v[58:59], v[0:1] op_sel:[0,0,1] op_sel_hi:[1,0,0]
	ds_load_2addr_b64 v[62:65], v6 offset0:59 offset1:60
	v_mov_b32_e32 v3, v1
	v_pk_add_f32 v[246:247], v[246:247], v[2:3] neg_lo:[0,1] neg_hi:[0,1]
	s_wait_dscnt 0x0
	v_pk_mul_f32 v[0:1], v[62:63], v[60:61] op_sel:[0,1]
	s_delay_alu instid0(VALU_DEP_1) | instskip(SKIP_1) | instid1(VALU_DEP_1)
	v_pk_fma_f32 v[2:3], v[62:63], v[58:59], v[0:1] op_sel:[0,0,1] op_sel_hi:[1,1,0] neg_lo:[0,0,1] neg_hi:[0,0,1]
	v_pk_fma_f32 v[0:1], v[62:63], v[58:59], v[0:1] op_sel:[0,0,1] op_sel_hi:[1,0,0]
	v_mov_b32_e32 v3, v1
	v_pk_mul_f32 v[0:1], v[64:65], v[60:61] op_sel:[0,1]
	s_delay_alu instid0(VALU_DEP_2) | instskip(NEXT) | instid1(VALU_DEP_2)
	v_pk_add_f32 v[240:241], v[240:241], v[2:3] neg_lo:[0,1] neg_hi:[0,1]
	v_pk_fma_f32 v[2:3], v[64:65], v[58:59], v[0:1] op_sel:[0,0,1] op_sel_hi:[1,1,0] neg_lo:[0,0,1] neg_hi:[0,0,1]
	v_pk_fma_f32 v[0:1], v[64:65], v[58:59], v[0:1] op_sel:[0,0,1] op_sel_hi:[1,0,0]
	ds_load_2addr_b64 v[62:65], v6 offset0:61 offset1:62
	v_mov_b32_e32 v3, v1
	s_delay_alu instid0(VALU_DEP_1) | instskip(SKIP_2) | instid1(VALU_DEP_1)
	v_pk_add_f32 v[244:245], v[244:245], v[2:3] neg_lo:[0,1] neg_hi:[0,1]
	s_wait_dscnt 0x0
	v_pk_mul_f32 v[0:1], v[62:63], v[60:61] op_sel:[0,1]
	v_pk_fma_f32 v[2:3], v[62:63], v[58:59], v[0:1] op_sel:[0,0,1] op_sel_hi:[1,1,0] neg_lo:[0,0,1] neg_hi:[0,0,1]
	v_pk_fma_f32 v[0:1], v[62:63], v[58:59], v[0:1] op_sel:[0,0,1] op_sel_hi:[1,0,0]
	s_delay_alu instid0(VALU_DEP_1) | instskip(SKIP_1) | instid1(VALU_DEP_2)
	v_mov_b32_e32 v3, v1
	v_pk_mul_f32 v[0:1], v[64:65], v[60:61] op_sel:[0,1]
	v_pk_add_f32 v[250:251], v[250:251], v[2:3] neg_lo:[0,1] neg_hi:[0,1]
	s_delay_alu instid0(VALU_DEP_2) | instskip(SKIP_1) | instid1(VALU_DEP_1)
	v_pk_fma_f32 v[2:3], v[64:65], v[58:59], v[0:1] op_sel:[0,0,1] op_sel_hi:[1,1,0] neg_lo:[0,0,1] neg_hi:[0,0,1]
	v_pk_fma_f32 v[0:1], v[64:65], v[58:59], v[0:1] op_sel:[0,0,1] op_sel_hi:[1,0,0]
	v_mov_b32_e32 v3, v1
	s_delay_alu instid0(VALU_DEP_1)
	v_pk_add_f32 v[252:253], v[252:253], v[2:3] neg_lo:[0,1] neg_hi:[0,1]
.LBB125_262:
	s_or_b32 exec_lo, exec_lo, s1
	s_delay_alu instid0(SALU_CYCLE_1)
	s_mov_b32 s2, exec_lo
	s_wait_dscnt 0x0
	s_barrier_signal -1
	s_barrier_wait -1
	v_cmpx_eq_u32_e32 29, v254
	s_cbranch_execz .LBB125_269
; %bb.263:
	v_dual_mov_b32 v0, v188 :: v_dual_mov_b32 v1, v189
	v_dual_mov_b32 v2, v190 :: v_dual_mov_b32 v3, v191
	ds_store_b64 v255, v[186:187]
	ds_store_2addr_b64 v6, v[0:1], v[2:3] offset0:30 offset1:31
	v_dual_mov_b32 v0, v192 :: v_dual_mov_b32 v1, v193
	v_dual_mov_b32 v2, v194 :: v_dual_mov_b32 v3, v195
	ds_store_2addr_b64 v6, v[0:1], v[2:3] offset0:32 offset1:33
	v_dual_mov_b32 v0, v196 :: v_dual_mov_b32 v1, v197
	v_dual_mov_b32 v2, v198 :: v_dual_mov_b32 v3, v199
	;; [unrolled: 3-line block ×15, first 2 shown]
	ds_store_2addr_b64 v6, v[0:1], v[2:3] offset0:60 offset1:61
	ds_store_b64 v6, v[252:253] offset:496
	ds_load_b64 v[58:59], v255
	s_wait_dscnt 0x0
	v_cmp_neq_f32_e32 vcc_lo, 0, v58
	v_cmp_neq_f32_e64 s1, 0, v59
	s_or_b32 s1, vcc_lo, s1
	s_delay_alu instid0(SALU_CYCLE_1)
	s_and_b32 exec_lo, exec_lo, s1
	s_cbranch_execz .LBB125_269
; %bb.264:
	v_cmp_ngt_f32_e64 s1, |v58|, |v59|
                                        ; implicit-def: $vgpr60_vgpr61
	s_and_saveexec_b32 s4, s1
	s_delay_alu instid0(SALU_CYCLE_1)
	s_xor_b32 s1, exec_lo, s4
	s_cbranch_execz .LBB125_266
; %bb.265:
	v_div_scale_f32 v0, null, v59, v59, v58
	v_div_scale_f32 v3, vcc_lo, v58, v59, v58
	s_delay_alu instid0(VALU_DEP_2) | instskip(SKIP_1) | instid1(TRANS32_DEP_1)
	v_rcp_f32_e32 v1, v0
	v_nop
	v_fma_f32 v2, -v0, v1, 1.0
	s_delay_alu instid0(VALU_DEP_1) | instskip(NEXT) | instid1(VALU_DEP_1)
	v_fmac_f32_e32 v1, v2, v1
	v_mul_f32_e32 v2, v3, v1
	s_delay_alu instid0(VALU_DEP_1) | instskip(NEXT) | instid1(VALU_DEP_1)
	v_fma_f32 v4, -v0, v2, v3
	v_fmac_f32_e32 v2, v4, v1
	s_delay_alu instid0(VALU_DEP_1) | instskip(NEXT) | instid1(VALU_DEP_1)
	v_fma_f32 v0, -v0, v2, v3
	v_div_fmas_f32 v0, v0, v1, v2
	s_delay_alu instid0(VALU_DEP_1) | instskip(NEXT) | instid1(VALU_DEP_1)
	v_div_fixup_f32 v0, v0, v59, v58
	v_fmac_f32_e32 v59, v58, v0
	s_delay_alu instid0(VALU_DEP_1) | instskip(SKIP_1) | instid1(VALU_DEP_2)
	v_div_scale_f32 v1, null, v59, v59, 1.0
	v_div_scale_f32 v4, vcc_lo, 1.0, v59, 1.0
	v_rcp_f32_e32 v2, v1
	v_nop
	s_delay_alu instid0(TRANS32_DEP_1) | instskip(NEXT) | instid1(VALU_DEP_1)
	v_fma_f32 v3, -v1, v2, 1.0
	v_fmac_f32_e32 v2, v3, v2
	s_delay_alu instid0(VALU_DEP_1) | instskip(NEXT) | instid1(VALU_DEP_1)
	v_mul_f32_e32 v3, v4, v2
	v_fma_f32 v5, -v1, v3, v4
	s_delay_alu instid0(VALU_DEP_1) | instskip(NEXT) | instid1(VALU_DEP_1)
	v_fmac_f32_e32 v3, v5, v2
	v_fma_f32 v1, -v1, v3, v4
	s_delay_alu instid0(VALU_DEP_1) | instskip(NEXT) | instid1(VALU_DEP_1)
	v_div_fmas_f32 v1, v1, v2, v3
	v_div_fixup_f32 v1, v1, v59, 1.0
                                        ; implicit-def: $vgpr58_vgpr59
	s_delay_alu instid0(VALU_DEP_1)
	v_mul_f32_e32 v60, v0, v1
	v_xor_b32_e32 v61, 0x80000000, v1
.LBB125_266:
	s_and_not1_saveexec_b32 s1, s1
	s_cbranch_execz .LBB125_268
; %bb.267:
	v_div_scale_f32 v0, null, v58, v58, v59
	v_div_scale_f32 v3, vcc_lo, v59, v58, v59
	s_delay_alu instid0(VALU_DEP_2) | instskip(SKIP_1) | instid1(TRANS32_DEP_1)
	v_rcp_f32_e32 v1, v0
	v_nop
	v_fma_f32 v2, -v0, v1, 1.0
	s_delay_alu instid0(VALU_DEP_1) | instskip(NEXT) | instid1(VALU_DEP_1)
	v_fmac_f32_e32 v1, v2, v1
	v_mul_f32_e32 v2, v3, v1
	s_delay_alu instid0(VALU_DEP_1) | instskip(NEXT) | instid1(VALU_DEP_1)
	v_fma_f32 v4, -v0, v2, v3
	v_fmac_f32_e32 v2, v4, v1
	s_delay_alu instid0(VALU_DEP_1) | instskip(NEXT) | instid1(VALU_DEP_1)
	v_fma_f32 v0, -v0, v2, v3
	v_div_fmas_f32 v0, v0, v1, v2
	s_delay_alu instid0(VALU_DEP_1) | instskip(NEXT) | instid1(VALU_DEP_1)
	v_div_fixup_f32 v0, v0, v58, v59
	v_fmac_f32_e32 v58, v59, v0
	s_delay_alu instid0(VALU_DEP_1) | instskip(NEXT) | instid1(VALU_DEP_1)
	v_div_scale_f32 v1, null, v58, v58, 1.0
	v_rcp_f32_e32 v2, v1
	v_nop
	s_delay_alu instid0(TRANS32_DEP_1) | instskip(NEXT) | instid1(VALU_DEP_1)
	v_fma_f32 v3, -v1, v2, 1.0
	v_fmac_f32_e32 v2, v3, v2
	v_div_scale_f32 v3, vcc_lo, 1.0, v58, 1.0
	s_delay_alu instid0(VALU_DEP_1) | instskip(NEXT) | instid1(VALU_DEP_1)
	v_mul_f32_e32 v4, v3, v2
	v_fma_f32 v5, -v1, v4, v3
	s_delay_alu instid0(VALU_DEP_1) | instskip(NEXT) | instid1(VALU_DEP_1)
	v_fmac_f32_e32 v4, v5, v2
	v_fma_f32 v1, -v1, v4, v3
	s_delay_alu instid0(VALU_DEP_1) | instskip(NEXT) | instid1(VALU_DEP_1)
	v_div_fmas_f32 v1, v1, v2, v4
	v_div_fixup_f32 v60, v1, v58, 1.0
	s_delay_alu instid0(VALU_DEP_1)
	v_mul_f32_e64 v61, v0, -v60
.LBB125_268:
	s_or_b32 exec_lo, exec_lo, s1
	ds_store_b64 v255, v[60:61]
.LBB125_269:
	s_or_b32 exec_lo, exec_lo, s2
	s_wait_dscnt 0x0
	s_barrier_signal -1
	s_barrier_wait -1
	ds_load_b64 v[58:59], v255
	s_mov_b32 s1, exec_lo
	v_cmpx_lt_u32_e32 29, v254
	s_cbranch_execz .LBB125_271
; %bb.270:
	ds_load_2addr_b64 v[64:67], v6 offset0:30 offset1:31
	s_wait_dscnt 0x1
	v_pk_mul_f32 v[0:1], v[58:59], v[186:187] op_sel:[1,1] op_sel_hi:[0,1]
	s_delay_alu instid0(VALU_DEP_1) | instskip(SKIP_1) | instid1(VALU_DEP_1)
	v_pk_fma_f32 v[62:63], v[58:59], v[186:187], v[0:1] op_sel_hi:[1,0,1]
	v_pk_fma_f32 v[60:61], v[58:59], v[186:187], v[0:1] op_sel_hi:[1,0,1] neg_lo:[0,0,1] neg_hi:[0,0,1]
	v_dual_mov_b32 v187, v63 :: v_dual_mov_b32 v186, v60
	s_wait_dscnt 0x0
	s_delay_alu instid0(VALU_DEP_3) | instskip(NEXT) | instid1(VALU_DEP_1)
	v_pk_mul_f32 v[0:1], v[64:65], v[62:63] op_sel:[0,1]
	v_pk_fma_f32 v[2:3], v[64:65], v[60:61], v[0:1] op_sel:[0,0,1] op_sel_hi:[1,1,0] neg_lo:[0,0,1] neg_hi:[0,0,1]
	v_pk_fma_f32 v[0:1], v[64:65], v[60:61], v[0:1] op_sel:[0,0,1] op_sel_hi:[1,0,0]
	s_delay_alu instid0(VALU_DEP_1) | instskip(SKIP_1) | instid1(VALU_DEP_2)
	v_mov_b32_e32 v3, v1
	v_pk_mul_f32 v[0:1], v[66:67], v[62:63] op_sel:[0,1]
	v_pk_add_f32 v[188:189], v[188:189], v[2:3] neg_lo:[0,1] neg_hi:[0,1]
	s_delay_alu instid0(VALU_DEP_2) | instskip(SKIP_3) | instid1(VALU_DEP_1)
	v_pk_fma_f32 v[2:3], v[66:67], v[60:61], v[0:1] op_sel:[0,0,1] op_sel_hi:[1,1,0] neg_lo:[0,0,1] neg_hi:[0,0,1]
	v_pk_fma_f32 v[0:1], v[66:67], v[60:61], v[0:1] op_sel:[0,0,1] op_sel_hi:[1,0,0]
	ds_load_2addr_b64 v[64:67], v6 offset0:32 offset1:33
	v_mov_b32_e32 v3, v1
	v_pk_add_f32 v[190:191], v[190:191], v[2:3] neg_lo:[0,1] neg_hi:[0,1]
	s_wait_dscnt 0x0
	v_pk_mul_f32 v[0:1], v[64:65], v[62:63] op_sel:[0,1]
	s_delay_alu instid0(VALU_DEP_1) | instskip(SKIP_2) | instid1(VALU_DEP_2)
	v_pk_fma_f32 v[2:3], v[64:65], v[60:61], v[0:1] op_sel:[0,0,1] op_sel_hi:[1,1,0] neg_lo:[0,0,1] neg_hi:[0,0,1]
	v_pk_fma_f32 v[0:1], v[64:65], v[60:61], v[0:1] op_sel:[0,0,1] op_sel_hi:[1,0,0]
	v_dual_mov_b32 v0, v67 :: v_dual_mul_f32 v64, v67, v60
	v_dual_mov_b32 v3, v1 :: v_dual_mov_b32 v1, v66
	s_delay_alu instid0(VALU_DEP_1) | instskip(SKIP_1) | instid1(VALU_DEP_3)
	v_pk_add_f32 v[192:193], v[192:193], v[2:3] neg_lo:[0,1] neg_hi:[0,1]
	v_mul_f32_e32 v2, v67, v63
	v_pk_fma_f32 v[0:1], v[0:1], v[186:187], v[64:65] op_sel_hi:[1,1,0]
	s_delay_alu instid0(VALU_DEP_2) | instskip(SKIP_2) | instid1(VALU_DEP_1)
	v_pk_fma_f32 v[2:3], v[66:67], v[186:187], v[2:3] op_sel_hi:[1,1,0] neg_lo:[0,0,1] neg_hi:[0,0,1]
	ds_load_2addr_b64 v[64:67], v6 offset0:34 offset1:35
	v_mov_b32_e32 v3, v1
	v_pk_add_f32 v[194:195], v[194:195], v[2:3] neg_lo:[0,1] neg_hi:[0,1]
	s_wait_dscnt 0x0
	v_pk_mul_f32 v[0:1], v[64:65], v[62:63] op_sel:[0,1]
	s_delay_alu instid0(VALU_DEP_1) | instskip(SKIP_1) | instid1(VALU_DEP_1)
	v_pk_fma_f32 v[2:3], v[64:65], v[60:61], v[0:1] op_sel:[0,0,1] op_sel_hi:[1,1,0] neg_lo:[0,0,1] neg_hi:[0,0,1]
	v_pk_fma_f32 v[0:1], v[64:65], v[60:61], v[0:1] op_sel:[0,0,1] op_sel_hi:[1,0,0]
	v_mov_b32_e32 v3, v1
	v_pk_mul_f32 v[0:1], v[66:67], v[62:63] op_sel:[0,1]
	s_delay_alu instid0(VALU_DEP_2) | instskip(NEXT) | instid1(VALU_DEP_2)
	v_pk_add_f32 v[196:197], v[196:197], v[2:3] neg_lo:[0,1] neg_hi:[0,1]
	v_pk_fma_f32 v[2:3], v[66:67], v[60:61], v[0:1] op_sel:[0,0,1] op_sel_hi:[1,1,0] neg_lo:[0,0,1] neg_hi:[0,0,1]
	v_pk_fma_f32 v[0:1], v[66:67], v[60:61], v[0:1] op_sel:[0,0,1] op_sel_hi:[1,0,0]
	ds_load_2addr_b64 v[64:67], v6 offset0:36 offset1:37
	v_mov_b32_e32 v3, v1
	s_delay_alu instid0(VALU_DEP_1) | instskip(SKIP_2) | instid1(VALU_DEP_1)
	v_pk_add_f32 v[198:199], v[198:199], v[2:3] neg_lo:[0,1] neg_hi:[0,1]
	s_wait_dscnt 0x0
	v_pk_mul_f32 v[0:1], v[64:65], v[62:63] op_sel:[0,1]
	v_pk_fma_f32 v[2:3], v[64:65], v[60:61], v[0:1] op_sel:[0,0,1] op_sel_hi:[1,1,0] neg_lo:[0,0,1] neg_hi:[0,0,1]
	v_pk_fma_f32 v[0:1], v[64:65], v[60:61], v[0:1] op_sel:[0,0,1] op_sel_hi:[1,0,0]
	s_delay_alu instid0(VALU_DEP_1) | instskip(SKIP_1) | instid1(VALU_DEP_2)
	v_mov_b32_e32 v3, v1
	v_pk_mul_f32 v[0:1], v[66:67], v[62:63] op_sel:[0,1]
	v_pk_add_f32 v[200:201], v[200:201], v[2:3] neg_lo:[0,1] neg_hi:[0,1]
	s_delay_alu instid0(VALU_DEP_2) | instskip(SKIP_3) | instid1(VALU_DEP_1)
	v_pk_fma_f32 v[2:3], v[66:67], v[60:61], v[0:1] op_sel:[0,0,1] op_sel_hi:[1,1,0] neg_lo:[0,0,1] neg_hi:[0,0,1]
	v_pk_fma_f32 v[0:1], v[66:67], v[60:61], v[0:1] op_sel:[0,0,1] op_sel_hi:[1,0,0]
	ds_load_2addr_b64 v[64:67], v6 offset0:38 offset1:39
	v_mov_b32_e32 v3, v1
	v_pk_add_f32 v[202:203], v[202:203], v[2:3] neg_lo:[0,1] neg_hi:[0,1]
	s_wait_dscnt 0x0
	v_dual_mul_f32 v0, v65, v63 :: v_dual_mul_f32 v2, v65, v60
	s_delay_alu instid0(VALU_DEP_1) | instskip(NEXT) | instid1(VALU_DEP_2)
	v_pk_fma_f32 v[0:1], v[64:65], v[186:187], v[0:1] op_sel_hi:[1,1,0] neg_lo:[0,0,1] neg_hi:[0,0,1]
	v_pk_fma_f32 v[2:3], v[64:65], v[186:187], v[2:3] op_sel:[1,0,0] op_sel_hi:[0,1,0]
	s_delay_alu instid0(VALU_DEP_1) | instskip(NEXT) | instid1(VALU_DEP_1)
	v_mov_b32_e32 v1, v3
	v_pk_add_f32 v[204:205], v[204:205], v[0:1] neg_lo:[0,1] neg_hi:[0,1]
	v_pk_mul_f32 v[0:1], v[66:67], v[62:63] op_sel:[0,1]
	s_delay_alu instid0(VALU_DEP_1) | instskip(SKIP_3) | instid1(VALU_DEP_1)
	v_pk_fma_f32 v[2:3], v[66:67], v[60:61], v[0:1] op_sel:[0,0,1] op_sel_hi:[1,1,0] neg_lo:[0,0,1] neg_hi:[0,0,1]
	v_pk_fma_f32 v[0:1], v[66:67], v[60:61], v[0:1] op_sel:[0,0,1] op_sel_hi:[1,0,0]
	ds_load_2addr_b64 v[64:67], v6 offset0:40 offset1:41
	v_mov_b32_e32 v3, v1
	v_pk_add_f32 v[206:207], v[206:207], v[2:3] neg_lo:[0,1] neg_hi:[0,1]
	s_wait_dscnt 0x0
	v_pk_mul_f32 v[0:1], v[64:65], v[62:63] op_sel:[0,1]
	s_delay_alu instid0(VALU_DEP_1) | instskip(SKIP_1) | instid1(VALU_DEP_1)
	v_pk_fma_f32 v[2:3], v[64:65], v[60:61], v[0:1] op_sel:[0,0,1] op_sel_hi:[1,1,0] neg_lo:[0,0,1] neg_hi:[0,0,1]
	v_pk_fma_f32 v[0:1], v[64:65], v[60:61], v[0:1] op_sel:[0,0,1] op_sel_hi:[1,0,0]
	v_mov_b32_e32 v3, v1
	v_pk_mul_f32 v[0:1], v[66:67], v[62:63] op_sel:[0,1]
	s_delay_alu instid0(VALU_DEP_2) | instskip(NEXT) | instid1(VALU_DEP_2)
	v_pk_add_f32 v[208:209], v[208:209], v[2:3] neg_lo:[0,1] neg_hi:[0,1]
	v_pk_fma_f32 v[2:3], v[66:67], v[60:61], v[0:1] op_sel:[0,0,1] op_sel_hi:[1,1,0] neg_lo:[0,0,1] neg_hi:[0,0,1]
	v_pk_fma_f32 v[0:1], v[66:67], v[60:61], v[0:1] op_sel:[0,0,1] op_sel_hi:[1,0,0]
	ds_load_2addr_b64 v[64:67], v6 offset0:42 offset1:43
	v_mov_b32_e32 v3, v1
	s_delay_alu instid0(VALU_DEP_1) | instskip(SKIP_2) | instid1(VALU_DEP_1)
	v_pk_add_f32 v[210:211], v[210:211], v[2:3] neg_lo:[0,1] neg_hi:[0,1]
	s_wait_dscnt 0x0
	v_pk_mul_f32 v[0:1], v[64:65], v[62:63] op_sel:[0,1]
	v_pk_fma_f32 v[2:3], v[64:65], v[60:61], v[0:1] op_sel:[0,0,1] op_sel_hi:[1,1,0] neg_lo:[0,0,1] neg_hi:[0,0,1]
	v_pk_fma_f32 v[0:1], v[64:65], v[60:61], v[0:1] op_sel:[0,0,1] op_sel_hi:[1,0,0]
	v_dual_mov_b32 v0, v67 :: v_dual_mul_f32 v64, v67, v60
	s_delay_alu instid0(VALU_DEP_2) | instskip(NEXT) | instid1(VALU_DEP_1)
	v_dual_mov_b32 v3, v1 :: v_dual_mov_b32 v1, v66
	v_pk_add_f32 v[212:213], v[212:213], v[2:3] neg_lo:[0,1] neg_hi:[0,1]
	v_mul_f32_e32 v2, v67, v63
	s_delay_alu instid0(VALU_DEP_3) | instskip(NEXT) | instid1(VALU_DEP_2)
	v_pk_fma_f32 v[0:1], v[0:1], v[186:187], v[64:65] op_sel_hi:[1,1,0]
	v_pk_fma_f32 v[2:3], v[66:67], v[186:187], v[2:3] op_sel_hi:[1,1,0] neg_lo:[0,0,1] neg_hi:[0,0,1]
	ds_load_2addr_b64 v[64:67], v6 offset0:44 offset1:45
	v_mov_b32_e32 v3, v1
	s_delay_alu instid0(VALU_DEP_1) | instskip(SKIP_2) | instid1(VALU_DEP_1)
	v_pk_add_f32 v[214:215], v[214:215], v[2:3] neg_lo:[0,1] neg_hi:[0,1]
	s_wait_dscnt 0x0
	v_pk_mul_f32 v[0:1], v[64:65], v[62:63] op_sel:[0,1]
	v_pk_fma_f32 v[2:3], v[64:65], v[60:61], v[0:1] op_sel:[0,0,1] op_sel_hi:[1,1,0] neg_lo:[0,0,1] neg_hi:[0,0,1]
	v_pk_fma_f32 v[0:1], v[64:65], v[60:61], v[0:1] op_sel:[0,0,1] op_sel_hi:[1,0,0]
	s_delay_alu instid0(VALU_DEP_1) | instskip(SKIP_1) | instid1(VALU_DEP_2)
	v_mov_b32_e32 v3, v1
	v_pk_mul_f32 v[0:1], v[66:67], v[62:63] op_sel:[0,1]
	v_pk_add_f32 v[216:217], v[216:217], v[2:3] neg_lo:[0,1] neg_hi:[0,1]
	s_delay_alu instid0(VALU_DEP_2) | instskip(SKIP_3) | instid1(VALU_DEP_1)
	v_pk_fma_f32 v[2:3], v[66:67], v[60:61], v[0:1] op_sel:[0,0,1] op_sel_hi:[1,1,0] neg_lo:[0,0,1] neg_hi:[0,0,1]
	v_pk_fma_f32 v[0:1], v[66:67], v[60:61], v[0:1] op_sel:[0,0,1] op_sel_hi:[1,0,0]
	ds_load_2addr_b64 v[64:67], v6 offset0:46 offset1:47
	v_mov_b32_e32 v3, v1
	v_pk_add_f32 v[218:219], v[218:219], v[2:3] neg_lo:[0,1] neg_hi:[0,1]
	s_wait_dscnt 0x0
	v_pk_mul_f32 v[0:1], v[64:65], v[62:63] op_sel:[0,1]
	s_delay_alu instid0(VALU_DEP_1) | instskip(SKIP_1) | instid1(VALU_DEP_1)
	v_pk_fma_f32 v[2:3], v[64:65], v[60:61], v[0:1] op_sel:[0,0,1] op_sel_hi:[1,1,0] neg_lo:[0,0,1] neg_hi:[0,0,1]
	v_pk_fma_f32 v[0:1], v[64:65], v[60:61], v[0:1] op_sel:[0,0,1] op_sel_hi:[1,0,0]
	v_mov_b32_e32 v3, v1
	v_pk_mul_f32 v[0:1], v[66:67], v[62:63] op_sel:[0,1]
	s_delay_alu instid0(VALU_DEP_2) | instskip(NEXT) | instid1(VALU_DEP_2)
	v_pk_add_f32 v[220:221], v[220:221], v[2:3] neg_lo:[0,1] neg_hi:[0,1]
	v_pk_fma_f32 v[2:3], v[66:67], v[60:61], v[0:1] op_sel:[0,0,1] op_sel_hi:[1,1,0] neg_lo:[0,0,1] neg_hi:[0,0,1]
	v_pk_fma_f32 v[0:1], v[66:67], v[60:61], v[0:1] op_sel:[0,0,1] op_sel_hi:[1,0,0]
	ds_load_2addr_b64 v[64:67], v6 offset0:48 offset1:49
	v_mov_b32_e32 v3, v1
	s_delay_alu instid0(VALU_DEP_1) | instskip(SKIP_2) | instid1(VALU_DEP_1)
	v_pk_add_f32 v[222:223], v[222:223], v[2:3] neg_lo:[0,1] neg_hi:[0,1]
	s_wait_dscnt 0x0
	v_dual_mul_f32 v2, v65, v60 :: v_dual_mul_f32 v0, v65, v63
	v_pk_fma_f32 v[2:3], v[64:65], v[186:187], v[2:3] op_sel:[1,0,0] op_sel_hi:[0,1,0]
	s_delay_alu instid0(VALU_DEP_2) | instskip(NEXT) | instid1(VALU_DEP_2)
	v_pk_fma_f32 v[0:1], v[64:65], v[186:187], v[0:1] op_sel_hi:[1,1,0] neg_lo:[0,0,1] neg_hi:[0,0,1]
	v_mov_b32_e32 v1, v3
	s_delay_alu instid0(VALU_DEP_1) | instskip(SKIP_1) | instid1(VALU_DEP_1)
	v_pk_add_f32 v[224:225], v[224:225], v[0:1] neg_lo:[0,1] neg_hi:[0,1]
	v_pk_mul_f32 v[0:1], v[66:67], v[62:63] op_sel:[0,1]
	v_pk_fma_f32 v[2:3], v[66:67], v[60:61], v[0:1] op_sel:[0,0,1] op_sel_hi:[1,1,0] neg_lo:[0,0,1] neg_hi:[0,0,1]
	v_pk_fma_f32 v[0:1], v[66:67], v[60:61], v[0:1] op_sel:[0,0,1] op_sel_hi:[1,0,0]
	ds_load_2addr_b64 v[64:67], v6 offset0:50 offset1:51
	v_mov_b32_e32 v3, v1
	s_delay_alu instid0(VALU_DEP_1) | instskip(SKIP_2) | instid1(VALU_DEP_1)
	v_pk_add_f32 v[226:227], v[226:227], v[2:3] neg_lo:[0,1] neg_hi:[0,1]
	s_wait_dscnt 0x0
	v_pk_mul_f32 v[0:1], v[64:65], v[62:63] op_sel:[0,1]
	v_pk_fma_f32 v[2:3], v[64:65], v[60:61], v[0:1] op_sel:[0,0,1] op_sel_hi:[1,1,0] neg_lo:[0,0,1] neg_hi:[0,0,1]
	v_pk_fma_f32 v[0:1], v[64:65], v[60:61], v[0:1] op_sel:[0,0,1] op_sel_hi:[1,0,0]
	s_delay_alu instid0(VALU_DEP_1) | instskip(SKIP_1) | instid1(VALU_DEP_2)
	v_mov_b32_e32 v3, v1
	v_pk_mul_f32 v[0:1], v[66:67], v[62:63] op_sel:[0,1]
	v_pk_add_f32 v[228:229], v[228:229], v[2:3] neg_lo:[0,1] neg_hi:[0,1]
	s_delay_alu instid0(VALU_DEP_2) | instskip(SKIP_3) | instid1(VALU_DEP_1)
	v_pk_fma_f32 v[2:3], v[66:67], v[60:61], v[0:1] op_sel:[0,0,1] op_sel_hi:[1,1,0] neg_lo:[0,0,1] neg_hi:[0,0,1]
	v_pk_fma_f32 v[0:1], v[66:67], v[60:61], v[0:1] op_sel:[0,0,1] op_sel_hi:[1,0,0]
	ds_load_2addr_b64 v[64:67], v6 offset0:52 offset1:53
	v_mov_b32_e32 v3, v1
	v_pk_add_f32 v[230:231], v[230:231], v[2:3] neg_lo:[0,1] neg_hi:[0,1]
	s_wait_dscnt 0x0
	v_pk_mul_f32 v[0:1], v[64:65], v[62:63] op_sel:[0,1]
	s_delay_alu instid0(VALU_DEP_1) | instskip(SKIP_2) | instid1(VALU_DEP_2)
	v_pk_fma_f32 v[2:3], v[64:65], v[60:61], v[0:1] op_sel:[0,0,1] op_sel_hi:[1,1,0] neg_lo:[0,0,1] neg_hi:[0,0,1]
	v_pk_fma_f32 v[0:1], v[64:65], v[60:61], v[0:1] op_sel:[0,0,1] op_sel_hi:[1,0,0]
	v_dual_mov_b32 v0, v67 :: v_dual_mul_f32 v64, v67, v60
	v_dual_mov_b32 v3, v1 :: v_dual_mov_b32 v1, v66
	s_delay_alu instid0(VALU_DEP_1) | instskip(SKIP_1) | instid1(VALU_DEP_3)
	v_pk_add_f32 v[232:233], v[232:233], v[2:3] neg_lo:[0,1] neg_hi:[0,1]
	v_mul_f32_e32 v2, v67, v63
	v_pk_fma_f32 v[0:1], v[0:1], v[186:187], v[64:65] op_sel_hi:[1,1,0]
	s_delay_alu instid0(VALU_DEP_2) | instskip(SKIP_2) | instid1(VALU_DEP_1)
	v_pk_fma_f32 v[2:3], v[66:67], v[186:187], v[2:3] op_sel_hi:[1,1,0] neg_lo:[0,0,1] neg_hi:[0,0,1]
	ds_load_2addr_b64 v[64:67], v6 offset0:54 offset1:55
	v_mov_b32_e32 v3, v1
	v_pk_add_f32 v[234:235], v[234:235], v[2:3] neg_lo:[0,1] neg_hi:[0,1]
	s_wait_dscnt 0x0
	v_pk_mul_f32 v[0:1], v[64:65], v[62:63] op_sel:[0,1]
	s_delay_alu instid0(VALU_DEP_1) | instskip(SKIP_1) | instid1(VALU_DEP_1)
	v_pk_fma_f32 v[2:3], v[64:65], v[60:61], v[0:1] op_sel:[0,0,1] op_sel_hi:[1,1,0] neg_lo:[0,0,1] neg_hi:[0,0,1]
	v_pk_fma_f32 v[0:1], v[64:65], v[60:61], v[0:1] op_sel:[0,0,1] op_sel_hi:[1,0,0]
	v_mov_b32_e32 v3, v1
	v_pk_mul_f32 v[0:1], v[66:67], v[62:63] op_sel:[0,1]
	s_delay_alu instid0(VALU_DEP_2) | instskip(NEXT) | instid1(VALU_DEP_2)
	v_pk_add_f32 v[236:237], v[236:237], v[2:3] neg_lo:[0,1] neg_hi:[0,1]
	v_pk_fma_f32 v[2:3], v[66:67], v[60:61], v[0:1] op_sel:[0,0,1] op_sel_hi:[1,1,0] neg_lo:[0,0,1] neg_hi:[0,0,1]
	v_pk_fma_f32 v[0:1], v[66:67], v[60:61], v[0:1] op_sel:[0,0,1] op_sel_hi:[1,0,0]
	ds_load_2addr_b64 v[64:67], v6 offset0:56 offset1:57
	v_mov_b32_e32 v3, v1
	s_delay_alu instid0(VALU_DEP_1) | instskip(SKIP_2) | instid1(VALU_DEP_1)
	v_pk_add_f32 v[238:239], v[238:239], v[2:3] neg_lo:[0,1] neg_hi:[0,1]
	s_wait_dscnt 0x0
	v_pk_mul_f32 v[0:1], v[64:65], v[62:63] op_sel:[0,1]
	v_pk_fma_f32 v[2:3], v[64:65], v[60:61], v[0:1] op_sel:[0,0,1] op_sel_hi:[1,1,0] neg_lo:[0,0,1] neg_hi:[0,0,1]
	v_pk_fma_f32 v[0:1], v[64:65], v[60:61], v[0:1] op_sel:[0,0,1] op_sel_hi:[1,0,0]
	s_delay_alu instid0(VALU_DEP_1) | instskip(SKIP_1) | instid1(VALU_DEP_2)
	v_mov_b32_e32 v3, v1
	v_pk_mul_f32 v[0:1], v[66:67], v[62:63] op_sel:[0,1]
	v_pk_add_f32 v[248:249], v[248:249], v[2:3] neg_lo:[0,1] neg_hi:[0,1]
	s_delay_alu instid0(VALU_DEP_2) | instskip(SKIP_3) | instid1(VALU_DEP_1)
	v_pk_fma_f32 v[2:3], v[66:67], v[60:61], v[0:1] op_sel:[0,0,1] op_sel_hi:[1,1,0] neg_lo:[0,0,1] neg_hi:[0,0,1]
	v_pk_fma_f32 v[0:1], v[66:67], v[60:61], v[0:1] op_sel:[0,0,1] op_sel_hi:[1,0,0]
	ds_load_2addr_b64 v[64:67], v6 offset0:58 offset1:59
	v_mov_b32_e32 v3, v1
	v_pk_add_f32 v[242:243], v[242:243], v[2:3] neg_lo:[0,1] neg_hi:[0,1]
	s_wait_dscnt 0x0
	v_dual_mul_f32 v0, v65, v63 :: v_dual_mul_f32 v2, v65, v60
	s_delay_alu instid0(VALU_DEP_1) | instskip(NEXT) | instid1(VALU_DEP_2)
	v_pk_fma_f32 v[0:1], v[64:65], v[186:187], v[0:1] op_sel_hi:[1,1,0] neg_lo:[0,0,1] neg_hi:[0,0,1]
	v_pk_fma_f32 v[2:3], v[64:65], v[186:187], v[2:3] op_sel:[1,0,0] op_sel_hi:[0,1,0]
	s_delay_alu instid0(VALU_DEP_1) | instskip(NEXT) | instid1(VALU_DEP_1)
	v_mov_b32_e32 v1, v3
	v_pk_add_f32 v[246:247], v[246:247], v[0:1] neg_lo:[0,1] neg_hi:[0,1]
	v_pk_mul_f32 v[0:1], v[66:67], v[62:63] op_sel:[0,1]
	s_delay_alu instid0(VALU_DEP_1) | instskip(SKIP_3) | instid1(VALU_DEP_1)
	v_pk_fma_f32 v[2:3], v[66:67], v[60:61], v[0:1] op_sel:[0,0,1] op_sel_hi:[1,1,0] neg_lo:[0,0,1] neg_hi:[0,0,1]
	v_pk_fma_f32 v[0:1], v[66:67], v[60:61], v[0:1] op_sel:[0,0,1] op_sel_hi:[1,0,0]
	ds_load_2addr_b64 v[64:67], v6 offset0:60 offset1:61
	v_mov_b32_e32 v3, v1
	v_pk_add_f32 v[240:241], v[240:241], v[2:3] neg_lo:[0,1] neg_hi:[0,1]
	s_wait_dscnt 0x0
	v_pk_mul_f32 v[0:1], v[64:65], v[62:63] op_sel:[0,1]
	s_delay_alu instid0(VALU_DEP_1) | instskip(SKIP_1) | instid1(VALU_DEP_1)
	v_pk_fma_f32 v[2:3], v[64:65], v[60:61], v[0:1] op_sel:[0,0,1] op_sel_hi:[1,1,0] neg_lo:[0,0,1] neg_hi:[0,0,1]
	v_pk_fma_f32 v[0:1], v[64:65], v[60:61], v[0:1] op_sel:[0,0,1] op_sel_hi:[1,0,0]
	v_mov_b32_e32 v3, v1
	v_pk_mul_f32 v[0:1], v[66:67], v[62:63] op_sel:[0,1]
	s_delay_alu instid0(VALU_DEP_2) | instskip(NEXT) | instid1(VALU_DEP_2)
	v_pk_add_f32 v[244:245], v[244:245], v[2:3] neg_lo:[0,1] neg_hi:[0,1]
	v_pk_fma_f32 v[2:3], v[66:67], v[60:61], v[0:1] op_sel:[0,0,1] op_sel_hi:[1,1,0] neg_lo:[0,0,1] neg_hi:[0,0,1]
	v_pk_fma_f32 v[0:1], v[66:67], v[60:61], v[0:1] op_sel:[0,0,1] op_sel_hi:[1,0,0]
	s_delay_alu instid0(VALU_DEP_1) | instskip(SKIP_4) | instid1(VALU_DEP_1)
	v_mov_b32_e32 v3, v1
	ds_load_b64 v[0:1], v6 offset:496
	v_pk_add_f32 v[250:251], v[250:251], v[2:3] neg_lo:[0,1] neg_hi:[0,1]
	s_wait_dscnt 0x0
	v_pk_mul_f32 v[2:3], v[0:1], v[62:63] op_sel:[0,1]
	v_pk_fma_f32 v[62:63], v[0:1], v[60:61], v[2:3] op_sel:[0,0,1] op_sel_hi:[1,1,0] neg_lo:[0,0,1] neg_hi:[0,0,1]
	v_pk_fma_f32 v[0:1], v[0:1], v[60:61], v[2:3] op_sel:[0,0,1] op_sel_hi:[1,0,0]
	s_delay_alu instid0(VALU_DEP_1) | instskip(NEXT) | instid1(VALU_DEP_1)
	v_mov_b32_e32 v63, v1
	v_pk_add_f32 v[252:253], v[252:253], v[62:63] neg_lo:[0,1] neg_hi:[0,1]
.LBB125_271:
	s_or_b32 exec_lo, exec_lo, s1
	s_delay_alu instid0(SALU_CYCLE_1)
	s_mov_b32 s2, exec_lo
	s_wait_dscnt 0x0
	s_barrier_signal -1
	s_barrier_wait -1
	v_cmpx_eq_u32_e32 30, v254
	s_cbranch_execz .LBB125_278
; %bb.272:
	ds_store_b64 v255, v[188:189]
	ds_store_2addr_b64 v6, v[190:191], v[192:193] offset0:31 offset1:32
	ds_store_2addr_b64 v6, v[194:195], v[196:197] offset0:33 offset1:34
	;; [unrolled: 1-line block ×16, first 2 shown]
	ds_load_b64 v[60:61], v255
	s_wait_dscnt 0x0
	v_cmp_neq_f32_e32 vcc_lo, 0, v60
	v_cmp_neq_f32_e64 s1, 0, v61
	s_or_b32 s1, vcc_lo, s1
	s_delay_alu instid0(SALU_CYCLE_1)
	s_and_b32 exec_lo, exec_lo, s1
	s_cbranch_execz .LBB125_278
; %bb.273:
	v_cmp_ngt_f32_e64 s1, |v60|, |v61|
                                        ; implicit-def: $vgpr62_vgpr63
	s_and_saveexec_b32 s4, s1
	s_delay_alu instid0(SALU_CYCLE_1)
	s_xor_b32 s1, exec_lo, s4
	s_cbranch_execz .LBB125_275
; %bb.274:
	v_div_scale_f32 v0, null, v61, v61, v60
	v_div_scale_f32 v3, vcc_lo, v60, v61, v60
	s_delay_alu instid0(VALU_DEP_2) | instskip(SKIP_1) | instid1(TRANS32_DEP_1)
	v_rcp_f32_e32 v1, v0
	v_nop
	v_fma_f32 v2, -v0, v1, 1.0
	s_delay_alu instid0(VALU_DEP_1) | instskip(NEXT) | instid1(VALU_DEP_1)
	v_fmac_f32_e32 v1, v2, v1
	v_mul_f32_e32 v2, v3, v1
	s_delay_alu instid0(VALU_DEP_1) | instskip(NEXT) | instid1(VALU_DEP_1)
	v_fma_f32 v4, -v0, v2, v3
	v_fmac_f32_e32 v2, v4, v1
	s_delay_alu instid0(VALU_DEP_1) | instskip(NEXT) | instid1(VALU_DEP_1)
	v_fma_f32 v0, -v0, v2, v3
	v_div_fmas_f32 v0, v0, v1, v2
	s_delay_alu instid0(VALU_DEP_1) | instskip(NEXT) | instid1(VALU_DEP_1)
	v_div_fixup_f32 v0, v0, v61, v60
	v_fmac_f32_e32 v61, v60, v0
	s_delay_alu instid0(VALU_DEP_1) | instskip(SKIP_1) | instid1(VALU_DEP_2)
	v_div_scale_f32 v1, null, v61, v61, 1.0
	v_div_scale_f32 v4, vcc_lo, 1.0, v61, 1.0
	v_rcp_f32_e32 v2, v1
	v_nop
	s_delay_alu instid0(TRANS32_DEP_1) | instskip(NEXT) | instid1(VALU_DEP_1)
	v_fma_f32 v3, -v1, v2, 1.0
	v_fmac_f32_e32 v2, v3, v2
	s_delay_alu instid0(VALU_DEP_1) | instskip(NEXT) | instid1(VALU_DEP_1)
	v_mul_f32_e32 v3, v4, v2
	v_fma_f32 v5, -v1, v3, v4
	s_delay_alu instid0(VALU_DEP_1) | instskip(NEXT) | instid1(VALU_DEP_1)
	v_fmac_f32_e32 v3, v5, v2
	v_fma_f32 v1, -v1, v3, v4
	s_delay_alu instid0(VALU_DEP_1) | instskip(NEXT) | instid1(VALU_DEP_1)
	v_div_fmas_f32 v1, v1, v2, v3
	v_div_fixup_f32 v1, v1, v61, 1.0
                                        ; implicit-def: $vgpr60_vgpr61
	s_delay_alu instid0(VALU_DEP_1)
	v_mul_f32_e32 v62, v0, v1
	v_xor_b32_e32 v63, 0x80000000, v1
.LBB125_275:
	s_and_not1_saveexec_b32 s1, s1
	s_cbranch_execz .LBB125_277
; %bb.276:
	v_div_scale_f32 v0, null, v60, v60, v61
	v_div_scale_f32 v3, vcc_lo, v61, v60, v61
	s_delay_alu instid0(VALU_DEP_2) | instskip(SKIP_1) | instid1(TRANS32_DEP_1)
	v_rcp_f32_e32 v1, v0
	v_nop
	v_fma_f32 v2, -v0, v1, 1.0
	s_delay_alu instid0(VALU_DEP_1) | instskip(NEXT) | instid1(VALU_DEP_1)
	v_fmac_f32_e32 v1, v2, v1
	v_mul_f32_e32 v2, v3, v1
	s_delay_alu instid0(VALU_DEP_1) | instskip(NEXT) | instid1(VALU_DEP_1)
	v_fma_f32 v4, -v0, v2, v3
	v_fmac_f32_e32 v2, v4, v1
	s_delay_alu instid0(VALU_DEP_1) | instskip(NEXT) | instid1(VALU_DEP_1)
	v_fma_f32 v0, -v0, v2, v3
	v_div_fmas_f32 v0, v0, v1, v2
	s_delay_alu instid0(VALU_DEP_1) | instskip(NEXT) | instid1(VALU_DEP_1)
	v_div_fixup_f32 v0, v0, v60, v61
	v_fmac_f32_e32 v60, v61, v0
	s_delay_alu instid0(VALU_DEP_1) | instskip(NEXT) | instid1(VALU_DEP_1)
	v_div_scale_f32 v1, null, v60, v60, 1.0
	v_rcp_f32_e32 v2, v1
	v_nop
	s_delay_alu instid0(TRANS32_DEP_1) | instskip(NEXT) | instid1(VALU_DEP_1)
	v_fma_f32 v3, -v1, v2, 1.0
	v_fmac_f32_e32 v2, v3, v2
	v_div_scale_f32 v3, vcc_lo, 1.0, v60, 1.0
	s_delay_alu instid0(VALU_DEP_1) | instskip(NEXT) | instid1(VALU_DEP_1)
	v_mul_f32_e32 v4, v3, v2
	v_fma_f32 v5, -v1, v4, v3
	s_delay_alu instid0(VALU_DEP_1) | instskip(NEXT) | instid1(VALU_DEP_1)
	v_fmac_f32_e32 v4, v5, v2
	v_fma_f32 v1, -v1, v4, v3
	s_delay_alu instid0(VALU_DEP_1) | instskip(NEXT) | instid1(VALU_DEP_1)
	v_div_fmas_f32 v1, v1, v2, v4
	v_div_fixup_f32 v62, v1, v60, 1.0
	s_delay_alu instid0(VALU_DEP_1)
	v_mul_f32_e64 v63, v0, -v62
.LBB125_277:
	s_or_b32 exec_lo, exec_lo, s1
	ds_store_b64 v255, v[62:63]
.LBB125_278:
	s_or_b32 exec_lo, exec_lo, s2
	s_wait_dscnt 0x0
	s_barrier_signal -1
	s_barrier_wait -1
	ds_load_b64 v[60:61], v255
	s_mov_b32 s1, exec_lo
	v_cmpx_lt_u32_e32 30, v254
	s_cbranch_execz .LBB125_280
; %bb.279:
	ds_load_2addr_b64 v[66:69], v6 offset0:31 offset1:32
	s_wait_dscnt 0x1
	v_pk_mul_f32 v[0:1], v[60:61], v[188:189] op_sel:[1,1] op_sel_hi:[0,1]
	s_delay_alu instid0(VALU_DEP_1) | instskip(SKIP_1) | instid1(VALU_DEP_1)
	v_pk_fma_f32 v[64:65], v[60:61], v[188:189], v[0:1] op_sel_hi:[1,0,1]
	v_pk_fma_f32 v[62:63], v[60:61], v[188:189], v[0:1] op_sel_hi:[1,0,1] neg_lo:[0,0,1] neg_hi:[0,0,1]
	v_dual_mov_b32 v189, v65 :: v_dual_mov_b32 v188, v62
	s_wait_dscnt 0x0
	s_delay_alu instid0(VALU_DEP_3) | instskip(NEXT) | instid1(VALU_DEP_1)
	v_pk_mul_f32 v[0:1], v[66:67], v[64:65] op_sel:[0,1]
	v_pk_fma_f32 v[2:3], v[66:67], v[62:63], v[0:1] op_sel:[0,0,1] op_sel_hi:[1,1,0] neg_lo:[0,0,1] neg_hi:[0,0,1]
	v_pk_fma_f32 v[0:1], v[66:67], v[62:63], v[0:1] op_sel:[0,0,1] op_sel_hi:[1,0,0]
	s_delay_alu instid0(VALU_DEP_1) | instskip(SKIP_1) | instid1(VALU_DEP_2)
	v_mov_b32_e32 v3, v1
	v_pk_mul_f32 v[0:1], v[68:69], v[64:65] op_sel:[0,1]
	v_pk_add_f32 v[190:191], v[190:191], v[2:3] neg_lo:[0,1] neg_hi:[0,1]
	s_delay_alu instid0(VALU_DEP_2) | instskip(SKIP_3) | instid1(VALU_DEP_1)
	v_pk_fma_f32 v[2:3], v[68:69], v[62:63], v[0:1] op_sel:[0,0,1] op_sel_hi:[1,1,0] neg_lo:[0,0,1] neg_hi:[0,0,1]
	v_pk_fma_f32 v[0:1], v[68:69], v[62:63], v[0:1] op_sel:[0,0,1] op_sel_hi:[1,0,0]
	ds_load_2addr_b64 v[66:69], v6 offset0:33 offset1:34
	v_mov_b32_e32 v3, v1
	v_pk_add_f32 v[192:193], v[192:193], v[2:3] neg_lo:[0,1] neg_hi:[0,1]
	s_wait_dscnt 0x0
	v_pk_mul_f32 v[0:1], v[66:67], v[64:65] op_sel:[0,1]
	s_delay_alu instid0(VALU_DEP_1) | instskip(SKIP_2) | instid1(VALU_DEP_2)
	v_pk_fma_f32 v[2:3], v[66:67], v[62:63], v[0:1] op_sel:[0,0,1] op_sel_hi:[1,1,0] neg_lo:[0,0,1] neg_hi:[0,0,1]
	v_pk_fma_f32 v[0:1], v[66:67], v[62:63], v[0:1] op_sel:[0,0,1] op_sel_hi:[1,0,0]
	v_dual_mov_b32 v0, v69 :: v_dual_mul_f32 v66, v69, v62
	v_dual_mov_b32 v3, v1 :: v_dual_mov_b32 v1, v68
	s_delay_alu instid0(VALU_DEP_1) | instskip(SKIP_1) | instid1(VALU_DEP_3)
	v_pk_add_f32 v[194:195], v[194:195], v[2:3] neg_lo:[0,1] neg_hi:[0,1]
	v_mul_f32_e32 v2, v69, v65
	v_pk_fma_f32 v[0:1], v[0:1], v[188:189], v[66:67] op_sel_hi:[1,1,0]
	s_delay_alu instid0(VALU_DEP_2) | instskip(SKIP_2) | instid1(VALU_DEP_1)
	v_pk_fma_f32 v[2:3], v[68:69], v[188:189], v[2:3] op_sel_hi:[1,1,0] neg_lo:[0,0,1] neg_hi:[0,0,1]
	ds_load_2addr_b64 v[66:69], v6 offset0:35 offset1:36
	v_mov_b32_e32 v3, v1
	v_pk_add_f32 v[196:197], v[196:197], v[2:3] neg_lo:[0,1] neg_hi:[0,1]
	s_wait_dscnt 0x0
	v_pk_mul_f32 v[0:1], v[66:67], v[64:65] op_sel:[0,1]
	s_delay_alu instid0(VALU_DEP_1) | instskip(SKIP_1) | instid1(VALU_DEP_1)
	v_pk_fma_f32 v[2:3], v[66:67], v[62:63], v[0:1] op_sel:[0,0,1] op_sel_hi:[1,1,0] neg_lo:[0,0,1] neg_hi:[0,0,1]
	v_pk_fma_f32 v[0:1], v[66:67], v[62:63], v[0:1] op_sel:[0,0,1] op_sel_hi:[1,0,0]
	v_mov_b32_e32 v3, v1
	v_pk_mul_f32 v[0:1], v[68:69], v[64:65] op_sel:[0,1]
	s_delay_alu instid0(VALU_DEP_2) | instskip(NEXT) | instid1(VALU_DEP_2)
	v_pk_add_f32 v[198:199], v[198:199], v[2:3] neg_lo:[0,1] neg_hi:[0,1]
	v_pk_fma_f32 v[2:3], v[68:69], v[62:63], v[0:1] op_sel:[0,0,1] op_sel_hi:[1,1,0] neg_lo:[0,0,1] neg_hi:[0,0,1]
	v_pk_fma_f32 v[0:1], v[68:69], v[62:63], v[0:1] op_sel:[0,0,1] op_sel_hi:[1,0,0]
	ds_load_2addr_b64 v[66:69], v6 offset0:37 offset1:38
	v_mov_b32_e32 v3, v1
	s_delay_alu instid0(VALU_DEP_1) | instskip(SKIP_2) | instid1(VALU_DEP_1)
	v_pk_add_f32 v[200:201], v[200:201], v[2:3] neg_lo:[0,1] neg_hi:[0,1]
	s_wait_dscnt 0x0
	v_pk_mul_f32 v[0:1], v[66:67], v[64:65] op_sel:[0,1]
	v_pk_fma_f32 v[2:3], v[66:67], v[62:63], v[0:1] op_sel:[0,0,1] op_sel_hi:[1,1,0] neg_lo:[0,0,1] neg_hi:[0,0,1]
	v_pk_fma_f32 v[0:1], v[66:67], v[62:63], v[0:1] op_sel:[0,0,1] op_sel_hi:[1,0,0]
	s_delay_alu instid0(VALU_DEP_1) | instskip(SKIP_1) | instid1(VALU_DEP_2)
	v_mov_b32_e32 v3, v1
	v_pk_mul_f32 v[0:1], v[68:69], v[64:65] op_sel:[0,1]
	v_pk_add_f32 v[202:203], v[202:203], v[2:3] neg_lo:[0,1] neg_hi:[0,1]
	s_delay_alu instid0(VALU_DEP_2) | instskip(SKIP_3) | instid1(VALU_DEP_1)
	v_pk_fma_f32 v[2:3], v[68:69], v[62:63], v[0:1] op_sel:[0,0,1] op_sel_hi:[1,1,0] neg_lo:[0,0,1] neg_hi:[0,0,1]
	v_pk_fma_f32 v[0:1], v[68:69], v[62:63], v[0:1] op_sel:[0,0,1] op_sel_hi:[1,0,0]
	ds_load_2addr_b64 v[66:69], v6 offset0:39 offset1:40
	v_mov_b32_e32 v3, v1
	v_pk_add_f32 v[204:205], v[204:205], v[2:3] neg_lo:[0,1] neg_hi:[0,1]
	s_wait_dscnt 0x0
	v_dual_mul_f32 v2, v67, v62 :: v_dual_mul_f32 v0, v67, v65
	s_delay_alu instid0(VALU_DEP_1) | instskip(NEXT) | instid1(VALU_DEP_2)
	v_pk_fma_f32 v[2:3], v[66:67], v[188:189], v[2:3] op_sel:[1,0,0] op_sel_hi:[0,1,0]
	v_pk_fma_f32 v[0:1], v[66:67], v[188:189], v[0:1] op_sel_hi:[1,1,0] neg_lo:[0,0,1] neg_hi:[0,0,1]
	s_delay_alu instid0(VALU_DEP_2) | instskip(NEXT) | instid1(VALU_DEP_1)
	v_mov_b32_e32 v1, v3
	v_pk_add_f32 v[206:207], v[206:207], v[0:1] neg_lo:[0,1] neg_hi:[0,1]
	v_pk_mul_f32 v[0:1], v[68:69], v[64:65] op_sel:[0,1]
	s_delay_alu instid0(VALU_DEP_1) | instskip(SKIP_3) | instid1(VALU_DEP_1)
	v_pk_fma_f32 v[2:3], v[68:69], v[62:63], v[0:1] op_sel:[0,0,1] op_sel_hi:[1,1,0] neg_lo:[0,0,1] neg_hi:[0,0,1]
	v_pk_fma_f32 v[0:1], v[68:69], v[62:63], v[0:1] op_sel:[0,0,1] op_sel_hi:[1,0,0]
	ds_load_2addr_b64 v[66:69], v6 offset0:41 offset1:42
	v_mov_b32_e32 v3, v1
	v_pk_add_f32 v[208:209], v[208:209], v[2:3] neg_lo:[0,1] neg_hi:[0,1]
	s_wait_dscnt 0x0
	v_pk_mul_f32 v[0:1], v[66:67], v[64:65] op_sel:[0,1]
	s_delay_alu instid0(VALU_DEP_1) | instskip(SKIP_1) | instid1(VALU_DEP_1)
	v_pk_fma_f32 v[2:3], v[66:67], v[62:63], v[0:1] op_sel:[0,0,1] op_sel_hi:[1,1,0] neg_lo:[0,0,1] neg_hi:[0,0,1]
	v_pk_fma_f32 v[0:1], v[66:67], v[62:63], v[0:1] op_sel:[0,0,1] op_sel_hi:[1,0,0]
	v_mov_b32_e32 v3, v1
	v_pk_mul_f32 v[0:1], v[68:69], v[64:65] op_sel:[0,1]
	s_delay_alu instid0(VALU_DEP_2) | instskip(NEXT) | instid1(VALU_DEP_2)
	v_pk_add_f32 v[210:211], v[210:211], v[2:3] neg_lo:[0,1] neg_hi:[0,1]
	v_pk_fma_f32 v[2:3], v[68:69], v[62:63], v[0:1] op_sel:[0,0,1] op_sel_hi:[1,1,0] neg_lo:[0,0,1] neg_hi:[0,0,1]
	v_pk_fma_f32 v[0:1], v[68:69], v[62:63], v[0:1] op_sel:[0,0,1] op_sel_hi:[1,0,0]
	ds_load_2addr_b64 v[66:69], v6 offset0:43 offset1:44
	v_mov_b32_e32 v3, v1
	s_delay_alu instid0(VALU_DEP_1) | instskip(SKIP_2) | instid1(VALU_DEP_1)
	v_pk_add_f32 v[212:213], v[212:213], v[2:3] neg_lo:[0,1] neg_hi:[0,1]
	s_wait_dscnt 0x0
	v_pk_mul_f32 v[0:1], v[66:67], v[64:65] op_sel:[0,1]
	v_pk_fma_f32 v[2:3], v[66:67], v[62:63], v[0:1] op_sel:[0,0,1] op_sel_hi:[1,1,0] neg_lo:[0,0,1] neg_hi:[0,0,1]
	v_pk_fma_f32 v[0:1], v[66:67], v[62:63], v[0:1] op_sel:[0,0,1] op_sel_hi:[1,0,0]
	v_dual_mov_b32 v0, v69 :: v_dual_mul_f32 v66, v69, v62
	s_delay_alu instid0(VALU_DEP_2) | instskip(NEXT) | instid1(VALU_DEP_1)
	v_dual_mov_b32 v3, v1 :: v_dual_mov_b32 v1, v68
	v_pk_add_f32 v[214:215], v[214:215], v[2:3] neg_lo:[0,1] neg_hi:[0,1]
	v_mul_f32_e32 v2, v69, v65
	s_delay_alu instid0(VALU_DEP_3) | instskip(NEXT) | instid1(VALU_DEP_2)
	v_pk_fma_f32 v[0:1], v[0:1], v[188:189], v[66:67] op_sel_hi:[1,1,0]
	v_pk_fma_f32 v[2:3], v[68:69], v[188:189], v[2:3] op_sel_hi:[1,1,0] neg_lo:[0,0,1] neg_hi:[0,0,1]
	ds_load_2addr_b64 v[66:69], v6 offset0:45 offset1:46
	v_mov_b32_e32 v3, v1
	s_delay_alu instid0(VALU_DEP_1) | instskip(SKIP_2) | instid1(VALU_DEP_1)
	v_pk_add_f32 v[216:217], v[216:217], v[2:3] neg_lo:[0,1] neg_hi:[0,1]
	s_wait_dscnt 0x0
	v_pk_mul_f32 v[0:1], v[66:67], v[64:65] op_sel:[0,1]
	v_pk_fma_f32 v[2:3], v[66:67], v[62:63], v[0:1] op_sel:[0,0,1] op_sel_hi:[1,1,0] neg_lo:[0,0,1] neg_hi:[0,0,1]
	v_pk_fma_f32 v[0:1], v[66:67], v[62:63], v[0:1] op_sel:[0,0,1] op_sel_hi:[1,0,0]
	s_delay_alu instid0(VALU_DEP_1) | instskip(SKIP_1) | instid1(VALU_DEP_2)
	v_mov_b32_e32 v3, v1
	v_pk_mul_f32 v[0:1], v[68:69], v[64:65] op_sel:[0,1]
	v_pk_add_f32 v[218:219], v[218:219], v[2:3] neg_lo:[0,1] neg_hi:[0,1]
	s_delay_alu instid0(VALU_DEP_2) | instskip(SKIP_3) | instid1(VALU_DEP_1)
	v_pk_fma_f32 v[2:3], v[68:69], v[62:63], v[0:1] op_sel:[0,0,1] op_sel_hi:[1,1,0] neg_lo:[0,0,1] neg_hi:[0,0,1]
	v_pk_fma_f32 v[0:1], v[68:69], v[62:63], v[0:1] op_sel:[0,0,1] op_sel_hi:[1,0,0]
	ds_load_2addr_b64 v[66:69], v6 offset0:47 offset1:48
	v_mov_b32_e32 v3, v1
	v_pk_add_f32 v[220:221], v[220:221], v[2:3] neg_lo:[0,1] neg_hi:[0,1]
	s_wait_dscnt 0x0
	v_pk_mul_f32 v[0:1], v[66:67], v[64:65] op_sel:[0,1]
	s_delay_alu instid0(VALU_DEP_1) | instskip(SKIP_1) | instid1(VALU_DEP_1)
	v_pk_fma_f32 v[2:3], v[66:67], v[62:63], v[0:1] op_sel:[0,0,1] op_sel_hi:[1,1,0] neg_lo:[0,0,1] neg_hi:[0,0,1]
	v_pk_fma_f32 v[0:1], v[66:67], v[62:63], v[0:1] op_sel:[0,0,1] op_sel_hi:[1,0,0]
	v_mov_b32_e32 v3, v1
	v_pk_mul_f32 v[0:1], v[68:69], v[64:65] op_sel:[0,1]
	s_delay_alu instid0(VALU_DEP_2) | instskip(NEXT) | instid1(VALU_DEP_2)
	v_pk_add_f32 v[222:223], v[222:223], v[2:3] neg_lo:[0,1] neg_hi:[0,1]
	v_pk_fma_f32 v[2:3], v[68:69], v[62:63], v[0:1] op_sel:[0,0,1] op_sel_hi:[1,1,0] neg_lo:[0,0,1] neg_hi:[0,0,1]
	v_pk_fma_f32 v[0:1], v[68:69], v[62:63], v[0:1] op_sel:[0,0,1] op_sel_hi:[1,0,0]
	ds_load_2addr_b64 v[66:69], v6 offset0:49 offset1:50
	v_mov_b32_e32 v3, v1
	s_delay_alu instid0(VALU_DEP_1) | instskip(SKIP_2) | instid1(VALU_DEP_1)
	v_pk_add_f32 v[224:225], v[224:225], v[2:3] neg_lo:[0,1] neg_hi:[0,1]
	s_wait_dscnt 0x0
	v_dual_mul_f32 v2, v67, v62 :: v_dual_mul_f32 v0, v67, v65
	v_pk_fma_f32 v[2:3], v[66:67], v[188:189], v[2:3] op_sel:[1,0,0] op_sel_hi:[0,1,0]
	s_delay_alu instid0(VALU_DEP_2) | instskip(NEXT) | instid1(VALU_DEP_2)
	v_pk_fma_f32 v[0:1], v[66:67], v[188:189], v[0:1] op_sel_hi:[1,1,0] neg_lo:[0,0,1] neg_hi:[0,0,1]
	v_mov_b32_e32 v1, v3
	s_delay_alu instid0(VALU_DEP_1) | instskip(SKIP_1) | instid1(VALU_DEP_1)
	v_pk_add_f32 v[226:227], v[226:227], v[0:1] neg_lo:[0,1] neg_hi:[0,1]
	v_pk_mul_f32 v[0:1], v[68:69], v[64:65] op_sel:[0,1]
	v_pk_fma_f32 v[2:3], v[68:69], v[62:63], v[0:1] op_sel:[0,0,1] op_sel_hi:[1,1,0] neg_lo:[0,0,1] neg_hi:[0,0,1]
	v_pk_fma_f32 v[0:1], v[68:69], v[62:63], v[0:1] op_sel:[0,0,1] op_sel_hi:[1,0,0]
	ds_load_2addr_b64 v[66:69], v6 offset0:51 offset1:52
	v_mov_b32_e32 v3, v1
	s_delay_alu instid0(VALU_DEP_1) | instskip(SKIP_2) | instid1(VALU_DEP_1)
	v_pk_add_f32 v[228:229], v[228:229], v[2:3] neg_lo:[0,1] neg_hi:[0,1]
	s_wait_dscnt 0x0
	v_pk_mul_f32 v[0:1], v[66:67], v[64:65] op_sel:[0,1]
	v_pk_fma_f32 v[2:3], v[66:67], v[62:63], v[0:1] op_sel:[0,0,1] op_sel_hi:[1,1,0] neg_lo:[0,0,1] neg_hi:[0,0,1]
	v_pk_fma_f32 v[0:1], v[66:67], v[62:63], v[0:1] op_sel:[0,0,1] op_sel_hi:[1,0,0]
	s_delay_alu instid0(VALU_DEP_1) | instskip(SKIP_1) | instid1(VALU_DEP_2)
	v_mov_b32_e32 v3, v1
	v_pk_mul_f32 v[0:1], v[68:69], v[64:65] op_sel:[0,1]
	v_pk_add_f32 v[230:231], v[230:231], v[2:3] neg_lo:[0,1] neg_hi:[0,1]
	s_delay_alu instid0(VALU_DEP_2) | instskip(SKIP_3) | instid1(VALU_DEP_1)
	v_pk_fma_f32 v[2:3], v[68:69], v[62:63], v[0:1] op_sel:[0,0,1] op_sel_hi:[1,1,0] neg_lo:[0,0,1] neg_hi:[0,0,1]
	v_pk_fma_f32 v[0:1], v[68:69], v[62:63], v[0:1] op_sel:[0,0,1] op_sel_hi:[1,0,0]
	ds_load_2addr_b64 v[66:69], v6 offset0:53 offset1:54
	v_mov_b32_e32 v3, v1
	v_pk_add_f32 v[232:233], v[232:233], v[2:3] neg_lo:[0,1] neg_hi:[0,1]
	s_wait_dscnt 0x0
	v_pk_mul_f32 v[0:1], v[66:67], v[64:65] op_sel:[0,1]
	s_delay_alu instid0(VALU_DEP_1) | instskip(SKIP_2) | instid1(VALU_DEP_2)
	v_pk_fma_f32 v[2:3], v[66:67], v[62:63], v[0:1] op_sel:[0,0,1] op_sel_hi:[1,1,0] neg_lo:[0,0,1] neg_hi:[0,0,1]
	v_pk_fma_f32 v[0:1], v[66:67], v[62:63], v[0:1] op_sel:[0,0,1] op_sel_hi:[1,0,0]
	v_dual_mov_b32 v0, v69 :: v_dual_mul_f32 v66, v69, v62
	v_dual_mov_b32 v3, v1 :: v_dual_mov_b32 v1, v68
	s_delay_alu instid0(VALU_DEP_1) | instskip(SKIP_1) | instid1(VALU_DEP_3)
	v_pk_add_f32 v[234:235], v[234:235], v[2:3] neg_lo:[0,1] neg_hi:[0,1]
	v_mul_f32_e32 v2, v69, v65
	v_pk_fma_f32 v[0:1], v[0:1], v[188:189], v[66:67] op_sel_hi:[1,1,0]
	s_delay_alu instid0(VALU_DEP_2) | instskip(SKIP_2) | instid1(VALU_DEP_1)
	v_pk_fma_f32 v[2:3], v[68:69], v[188:189], v[2:3] op_sel_hi:[1,1,0] neg_lo:[0,0,1] neg_hi:[0,0,1]
	ds_load_2addr_b64 v[66:69], v6 offset0:55 offset1:56
	v_mov_b32_e32 v3, v1
	v_pk_add_f32 v[236:237], v[236:237], v[2:3] neg_lo:[0,1] neg_hi:[0,1]
	s_wait_dscnt 0x0
	v_pk_mul_f32 v[0:1], v[66:67], v[64:65] op_sel:[0,1]
	s_delay_alu instid0(VALU_DEP_1) | instskip(SKIP_1) | instid1(VALU_DEP_1)
	v_pk_fma_f32 v[2:3], v[66:67], v[62:63], v[0:1] op_sel:[0,0,1] op_sel_hi:[1,1,0] neg_lo:[0,0,1] neg_hi:[0,0,1]
	v_pk_fma_f32 v[0:1], v[66:67], v[62:63], v[0:1] op_sel:[0,0,1] op_sel_hi:[1,0,0]
	v_mov_b32_e32 v3, v1
	v_pk_mul_f32 v[0:1], v[68:69], v[64:65] op_sel:[0,1]
	s_delay_alu instid0(VALU_DEP_2) | instskip(NEXT) | instid1(VALU_DEP_2)
	v_pk_add_f32 v[238:239], v[238:239], v[2:3] neg_lo:[0,1] neg_hi:[0,1]
	v_pk_fma_f32 v[2:3], v[68:69], v[62:63], v[0:1] op_sel:[0,0,1] op_sel_hi:[1,1,0] neg_lo:[0,0,1] neg_hi:[0,0,1]
	v_pk_fma_f32 v[0:1], v[68:69], v[62:63], v[0:1] op_sel:[0,0,1] op_sel_hi:[1,0,0]
	ds_load_2addr_b64 v[66:69], v6 offset0:57 offset1:58
	v_mov_b32_e32 v3, v1
	s_delay_alu instid0(VALU_DEP_1) | instskip(SKIP_2) | instid1(VALU_DEP_1)
	v_pk_add_f32 v[248:249], v[248:249], v[2:3] neg_lo:[0,1] neg_hi:[0,1]
	s_wait_dscnt 0x0
	v_pk_mul_f32 v[0:1], v[66:67], v[64:65] op_sel:[0,1]
	v_pk_fma_f32 v[2:3], v[66:67], v[62:63], v[0:1] op_sel:[0,0,1] op_sel_hi:[1,1,0] neg_lo:[0,0,1] neg_hi:[0,0,1]
	v_pk_fma_f32 v[0:1], v[66:67], v[62:63], v[0:1] op_sel:[0,0,1] op_sel_hi:[1,0,0]
	s_delay_alu instid0(VALU_DEP_1) | instskip(SKIP_1) | instid1(VALU_DEP_2)
	v_mov_b32_e32 v3, v1
	v_pk_mul_f32 v[0:1], v[68:69], v[64:65] op_sel:[0,1]
	v_pk_add_f32 v[242:243], v[242:243], v[2:3] neg_lo:[0,1] neg_hi:[0,1]
	s_delay_alu instid0(VALU_DEP_2) | instskip(SKIP_3) | instid1(VALU_DEP_1)
	v_pk_fma_f32 v[2:3], v[68:69], v[62:63], v[0:1] op_sel:[0,0,1] op_sel_hi:[1,1,0] neg_lo:[0,0,1] neg_hi:[0,0,1]
	v_pk_fma_f32 v[0:1], v[68:69], v[62:63], v[0:1] op_sel:[0,0,1] op_sel_hi:[1,0,0]
	ds_load_2addr_b64 v[66:69], v6 offset0:59 offset1:60
	v_mov_b32_e32 v3, v1
	v_pk_add_f32 v[246:247], v[246:247], v[2:3] neg_lo:[0,1] neg_hi:[0,1]
	s_wait_dscnt 0x0
	v_dual_mul_f32 v2, v67, v62 :: v_dual_mul_f32 v0, v67, v65
	s_delay_alu instid0(VALU_DEP_1) | instskip(NEXT) | instid1(VALU_DEP_2)
	v_pk_fma_f32 v[2:3], v[66:67], v[188:189], v[2:3] op_sel:[1,0,0] op_sel_hi:[0,1,0]
	v_pk_fma_f32 v[0:1], v[66:67], v[188:189], v[0:1] op_sel_hi:[1,1,0] neg_lo:[0,0,1] neg_hi:[0,0,1]
	s_delay_alu instid0(VALU_DEP_2) | instskip(NEXT) | instid1(VALU_DEP_1)
	v_mov_b32_e32 v1, v3
	v_pk_add_f32 v[240:241], v[240:241], v[0:1] neg_lo:[0,1] neg_hi:[0,1]
	v_pk_mul_f32 v[0:1], v[68:69], v[64:65] op_sel:[0,1]
	s_delay_alu instid0(VALU_DEP_1) | instskip(SKIP_3) | instid1(VALU_DEP_1)
	v_pk_fma_f32 v[2:3], v[68:69], v[62:63], v[0:1] op_sel:[0,0,1] op_sel_hi:[1,1,0] neg_lo:[0,0,1] neg_hi:[0,0,1]
	v_pk_fma_f32 v[0:1], v[68:69], v[62:63], v[0:1] op_sel:[0,0,1] op_sel_hi:[1,0,0]
	ds_load_2addr_b64 v[66:69], v6 offset0:61 offset1:62
	v_mov_b32_e32 v3, v1
	v_pk_add_f32 v[244:245], v[244:245], v[2:3] neg_lo:[0,1] neg_hi:[0,1]
	s_wait_dscnt 0x0
	v_pk_mul_f32 v[0:1], v[66:67], v[64:65] op_sel:[0,1]
	s_delay_alu instid0(VALU_DEP_1) | instskip(SKIP_1) | instid1(VALU_DEP_1)
	v_pk_fma_f32 v[2:3], v[66:67], v[62:63], v[0:1] op_sel:[0,0,1] op_sel_hi:[1,1,0] neg_lo:[0,0,1] neg_hi:[0,0,1]
	v_pk_fma_f32 v[0:1], v[66:67], v[62:63], v[0:1] op_sel:[0,0,1] op_sel_hi:[1,0,0]
	v_mov_b32_e32 v3, v1
	v_pk_mul_f32 v[0:1], v[68:69], v[64:65] op_sel:[0,1]
	s_delay_alu instid0(VALU_DEP_2) | instskip(NEXT) | instid1(VALU_DEP_2)
	v_pk_add_f32 v[250:251], v[250:251], v[2:3] neg_lo:[0,1] neg_hi:[0,1]
	v_pk_fma_f32 v[2:3], v[68:69], v[62:63], v[0:1] op_sel:[0,0,1] op_sel_hi:[1,1,0] neg_lo:[0,0,1] neg_hi:[0,0,1]
	v_pk_fma_f32 v[0:1], v[68:69], v[62:63], v[0:1] op_sel:[0,0,1] op_sel_hi:[1,0,0]
	s_delay_alu instid0(VALU_DEP_1) | instskip(NEXT) | instid1(VALU_DEP_1)
	v_mov_b32_e32 v3, v1
	v_pk_add_f32 v[252:253], v[252:253], v[2:3] neg_lo:[0,1] neg_hi:[0,1]
.LBB125_280:
	s_or_b32 exec_lo, exec_lo, s1
	s_delay_alu instid0(SALU_CYCLE_1)
	s_mov_b32 s2, exec_lo
	s_wait_dscnt 0x0
	s_barrier_signal -1
	s_barrier_wait -1
	v_cmpx_eq_u32_e32 31, v254
	s_cbranch_execz .LBB125_287
; %bb.281:
	v_dual_mov_b32 v0, v192 :: v_dual_mov_b32 v1, v193
	v_dual_mov_b32 v2, v194 :: v_dual_mov_b32 v3, v195
	ds_store_b64 v255, v[190:191]
	ds_store_2addr_b64 v6, v[0:1], v[2:3] offset0:32 offset1:33
	v_dual_mov_b32 v0, v196 :: v_dual_mov_b32 v1, v197
	v_dual_mov_b32 v2, v198 :: v_dual_mov_b32 v3, v199
	ds_store_2addr_b64 v6, v[0:1], v[2:3] offset0:34 offset1:35
	v_dual_mov_b32 v0, v200 :: v_dual_mov_b32 v1, v201
	v_dual_mov_b32 v2, v202 :: v_dual_mov_b32 v3, v203
	ds_store_2addr_b64 v6, v[0:1], v[2:3] offset0:36 offset1:37
	v_dual_mov_b32 v0, v204 :: v_dual_mov_b32 v1, v205
	v_dual_mov_b32 v2, v206 :: v_dual_mov_b32 v3, v207
	ds_store_2addr_b64 v6, v[0:1], v[2:3] offset0:38 offset1:39
	v_dual_mov_b32 v0, v208 :: v_dual_mov_b32 v1, v209
	v_dual_mov_b32 v2, v210 :: v_dual_mov_b32 v3, v211
	ds_store_2addr_b64 v6, v[0:1], v[2:3] offset0:40 offset1:41
	v_dual_mov_b32 v0, v212 :: v_dual_mov_b32 v1, v213
	v_dual_mov_b32 v2, v214 :: v_dual_mov_b32 v3, v215
	ds_store_2addr_b64 v6, v[0:1], v[2:3] offset0:42 offset1:43
	v_dual_mov_b32 v0, v216 :: v_dual_mov_b32 v1, v217
	v_dual_mov_b32 v2, v218 :: v_dual_mov_b32 v3, v219
	ds_store_2addr_b64 v6, v[0:1], v[2:3] offset0:44 offset1:45
	v_dual_mov_b32 v0, v220 :: v_dual_mov_b32 v1, v221
	v_dual_mov_b32 v2, v222 :: v_dual_mov_b32 v3, v223
	ds_store_2addr_b64 v6, v[0:1], v[2:3] offset0:46 offset1:47
	v_dual_mov_b32 v0, v224 :: v_dual_mov_b32 v1, v225
	v_dual_mov_b32 v2, v226 :: v_dual_mov_b32 v3, v227
	ds_store_2addr_b64 v6, v[0:1], v[2:3] offset0:48 offset1:49
	v_dual_mov_b32 v0, v228 :: v_dual_mov_b32 v1, v229
	v_dual_mov_b32 v2, v230 :: v_dual_mov_b32 v3, v231
	ds_store_2addr_b64 v6, v[0:1], v[2:3] offset0:50 offset1:51
	v_dual_mov_b32 v0, v232 :: v_dual_mov_b32 v1, v233
	v_dual_mov_b32 v2, v234 :: v_dual_mov_b32 v3, v235
	ds_store_2addr_b64 v6, v[0:1], v[2:3] offset0:52 offset1:53
	v_dual_mov_b32 v0, v236 :: v_dual_mov_b32 v1, v237
	v_dual_mov_b32 v2, v238 :: v_dual_mov_b32 v3, v239
	ds_store_2addr_b64 v6, v[0:1], v[2:3] offset0:54 offset1:55
	v_dual_mov_b32 v0, v248 :: v_dual_mov_b32 v1, v249
	v_dual_mov_b32 v2, v242 :: v_dual_mov_b32 v3, v243
	ds_store_2addr_b64 v6, v[0:1], v[2:3] offset0:56 offset1:57
	v_dual_mov_b32 v0, v246 :: v_dual_mov_b32 v1, v247
	v_dual_mov_b32 v2, v240 :: v_dual_mov_b32 v3, v241
	ds_store_2addr_b64 v6, v[0:1], v[2:3] offset0:58 offset1:59
	v_dual_mov_b32 v0, v244 :: v_dual_mov_b32 v1, v245
	v_dual_mov_b32 v2, v250 :: v_dual_mov_b32 v3, v251
	ds_store_2addr_b64 v6, v[0:1], v[2:3] offset0:60 offset1:61
	ds_store_b64 v6, v[252:253] offset:496
	ds_load_b64 v[62:63], v255
	s_wait_dscnt 0x0
	v_cmp_neq_f32_e32 vcc_lo, 0, v62
	v_cmp_neq_f32_e64 s1, 0, v63
	s_or_b32 s1, vcc_lo, s1
	s_delay_alu instid0(SALU_CYCLE_1)
	s_and_b32 exec_lo, exec_lo, s1
	s_cbranch_execz .LBB125_287
; %bb.282:
	v_cmp_ngt_f32_e64 s1, |v62|, |v63|
                                        ; implicit-def: $vgpr64_vgpr65
	s_and_saveexec_b32 s4, s1
	s_delay_alu instid0(SALU_CYCLE_1)
	s_xor_b32 s1, exec_lo, s4
	s_cbranch_execz .LBB125_284
; %bb.283:
	v_div_scale_f32 v0, null, v63, v63, v62
	v_div_scale_f32 v3, vcc_lo, v62, v63, v62
	s_delay_alu instid0(VALU_DEP_2) | instskip(SKIP_1) | instid1(TRANS32_DEP_1)
	v_rcp_f32_e32 v1, v0
	v_nop
	v_fma_f32 v2, -v0, v1, 1.0
	s_delay_alu instid0(VALU_DEP_1) | instskip(NEXT) | instid1(VALU_DEP_1)
	v_fmac_f32_e32 v1, v2, v1
	v_mul_f32_e32 v2, v3, v1
	s_delay_alu instid0(VALU_DEP_1) | instskip(NEXT) | instid1(VALU_DEP_1)
	v_fma_f32 v4, -v0, v2, v3
	v_fmac_f32_e32 v2, v4, v1
	s_delay_alu instid0(VALU_DEP_1) | instskip(NEXT) | instid1(VALU_DEP_1)
	v_fma_f32 v0, -v0, v2, v3
	v_div_fmas_f32 v0, v0, v1, v2
	s_delay_alu instid0(VALU_DEP_1) | instskip(NEXT) | instid1(VALU_DEP_1)
	v_div_fixup_f32 v0, v0, v63, v62
	v_fmac_f32_e32 v63, v62, v0
	s_delay_alu instid0(VALU_DEP_1) | instskip(SKIP_1) | instid1(VALU_DEP_2)
	v_div_scale_f32 v1, null, v63, v63, 1.0
	v_div_scale_f32 v4, vcc_lo, 1.0, v63, 1.0
	v_rcp_f32_e32 v2, v1
	v_nop
	s_delay_alu instid0(TRANS32_DEP_1) | instskip(NEXT) | instid1(VALU_DEP_1)
	v_fma_f32 v3, -v1, v2, 1.0
	v_fmac_f32_e32 v2, v3, v2
	s_delay_alu instid0(VALU_DEP_1) | instskip(NEXT) | instid1(VALU_DEP_1)
	v_mul_f32_e32 v3, v4, v2
	v_fma_f32 v5, -v1, v3, v4
	s_delay_alu instid0(VALU_DEP_1) | instskip(NEXT) | instid1(VALU_DEP_1)
	v_fmac_f32_e32 v3, v5, v2
	v_fma_f32 v1, -v1, v3, v4
	s_delay_alu instid0(VALU_DEP_1) | instskip(NEXT) | instid1(VALU_DEP_1)
	v_div_fmas_f32 v1, v1, v2, v3
	v_div_fixup_f32 v1, v1, v63, 1.0
                                        ; implicit-def: $vgpr62_vgpr63
	s_delay_alu instid0(VALU_DEP_1)
	v_mul_f32_e32 v64, v0, v1
	v_xor_b32_e32 v65, 0x80000000, v1
.LBB125_284:
	s_and_not1_saveexec_b32 s1, s1
	s_cbranch_execz .LBB125_286
; %bb.285:
	v_div_scale_f32 v0, null, v62, v62, v63
	v_div_scale_f32 v3, vcc_lo, v63, v62, v63
	s_delay_alu instid0(VALU_DEP_2) | instskip(SKIP_1) | instid1(TRANS32_DEP_1)
	v_rcp_f32_e32 v1, v0
	v_nop
	v_fma_f32 v2, -v0, v1, 1.0
	s_delay_alu instid0(VALU_DEP_1) | instskip(NEXT) | instid1(VALU_DEP_1)
	v_fmac_f32_e32 v1, v2, v1
	v_mul_f32_e32 v2, v3, v1
	s_delay_alu instid0(VALU_DEP_1) | instskip(NEXT) | instid1(VALU_DEP_1)
	v_fma_f32 v4, -v0, v2, v3
	v_fmac_f32_e32 v2, v4, v1
	s_delay_alu instid0(VALU_DEP_1) | instskip(NEXT) | instid1(VALU_DEP_1)
	v_fma_f32 v0, -v0, v2, v3
	v_div_fmas_f32 v0, v0, v1, v2
	s_delay_alu instid0(VALU_DEP_1) | instskip(NEXT) | instid1(VALU_DEP_1)
	v_div_fixup_f32 v0, v0, v62, v63
	v_fmac_f32_e32 v62, v63, v0
	s_delay_alu instid0(VALU_DEP_1) | instskip(NEXT) | instid1(VALU_DEP_1)
	v_div_scale_f32 v1, null, v62, v62, 1.0
	v_rcp_f32_e32 v2, v1
	v_nop
	s_delay_alu instid0(TRANS32_DEP_1) | instskip(NEXT) | instid1(VALU_DEP_1)
	v_fma_f32 v3, -v1, v2, 1.0
	v_fmac_f32_e32 v2, v3, v2
	v_div_scale_f32 v3, vcc_lo, 1.0, v62, 1.0
	s_delay_alu instid0(VALU_DEP_1) | instskip(NEXT) | instid1(VALU_DEP_1)
	v_mul_f32_e32 v4, v3, v2
	v_fma_f32 v5, -v1, v4, v3
	s_delay_alu instid0(VALU_DEP_1) | instskip(NEXT) | instid1(VALU_DEP_1)
	v_fmac_f32_e32 v4, v5, v2
	v_fma_f32 v1, -v1, v4, v3
	s_delay_alu instid0(VALU_DEP_1) | instskip(NEXT) | instid1(VALU_DEP_1)
	v_div_fmas_f32 v1, v1, v2, v4
	v_div_fixup_f32 v64, v1, v62, 1.0
	s_delay_alu instid0(VALU_DEP_1)
	v_mul_f32_e64 v65, v0, -v64
.LBB125_286:
	s_or_b32 exec_lo, exec_lo, s1
	ds_store_b64 v255, v[64:65]
.LBB125_287:
	s_or_b32 exec_lo, exec_lo, s2
	s_wait_dscnt 0x0
	s_barrier_signal -1
	s_barrier_wait -1
	ds_load_b64 v[62:63], v255
	s_mov_b32 s1, exec_lo
	v_cmpx_lt_u32_e32 31, v254
	s_cbranch_execz .LBB125_289
; %bb.288:
	ds_load_2addr_b64 v[68:71], v6 offset0:32 offset1:33
	s_wait_dscnt 0x1
	v_pk_mul_f32 v[0:1], v[62:63], v[190:191] op_sel:[1,1] op_sel_hi:[0,1]
	s_delay_alu instid0(VALU_DEP_1) | instskip(SKIP_1) | instid1(VALU_DEP_1)
	v_pk_fma_f32 v[66:67], v[62:63], v[190:191], v[0:1] op_sel_hi:[1,0,1]
	v_pk_fma_f32 v[64:65], v[62:63], v[190:191], v[0:1] op_sel_hi:[1,0,1] neg_lo:[0,0,1] neg_hi:[0,0,1]
	v_dual_mov_b32 v191, v67 :: v_dual_mov_b32 v190, v64
	s_wait_dscnt 0x0
	s_delay_alu instid0(VALU_DEP_3) | instskip(NEXT) | instid1(VALU_DEP_1)
	v_pk_mul_f32 v[0:1], v[68:69], v[66:67] op_sel:[0,1]
	v_pk_fma_f32 v[2:3], v[68:69], v[64:65], v[0:1] op_sel:[0,0,1] op_sel_hi:[1,1,0] neg_lo:[0,0,1] neg_hi:[0,0,1]
	v_pk_fma_f32 v[0:1], v[68:69], v[64:65], v[0:1] op_sel:[0,0,1] op_sel_hi:[1,0,0]
	s_delay_alu instid0(VALU_DEP_1) | instskip(SKIP_1) | instid1(VALU_DEP_2)
	v_mov_b32_e32 v3, v1
	v_pk_mul_f32 v[0:1], v[70:71], v[66:67] op_sel:[0,1]
	v_pk_add_f32 v[192:193], v[192:193], v[2:3] neg_lo:[0,1] neg_hi:[0,1]
	s_delay_alu instid0(VALU_DEP_2) | instskip(SKIP_3) | instid1(VALU_DEP_1)
	v_pk_fma_f32 v[2:3], v[70:71], v[64:65], v[0:1] op_sel:[0,0,1] op_sel_hi:[1,1,0] neg_lo:[0,0,1] neg_hi:[0,0,1]
	v_pk_fma_f32 v[0:1], v[70:71], v[64:65], v[0:1] op_sel:[0,0,1] op_sel_hi:[1,0,0]
	ds_load_2addr_b64 v[68:71], v6 offset0:34 offset1:35
	v_mov_b32_e32 v3, v1
	v_pk_add_f32 v[194:195], v[194:195], v[2:3] neg_lo:[0,1] neg_hi:[0,1]
	s_wait_dscnt 0x0
	v_pk_mul_f32 v[0:1], v[68:69], v[66:67] op_sel:[0,1]
	s_delay_alu instid0(VALU_DEP_1) | instskip(SKIP_2) | instid1(VALU_DEP_2)
	v_pk_fma_f32 v[2:3], v[68:69], v[64:65], v[0:1] op_sel:[0,0,1] op_sel_hi:[1,1,0] neg_lo:[0,0,1] neg_hi:[0,0,1]
	v_pk_fma_f32 v[0:1], v[68:69], v[64:65], v[0:1] op_sel:[0,0,1] op_sel_hi:[1,0,0]
	v_dual_mov_b32 v0, v71 :: v_dual_mul_f32 v68, v71, v64
	v_dual_mov_b32 v3, v1 :: v_dual_mov_b32 v1, v70
	s_delay_alu instid0(VALU_DEP_1) | instskip(SKIP_1) | instid1(VALU_DEP_3)
	v_pk_add_f32 v[196:197], v[196:197], v[2:3] neg_lo:[0,1] neg_hi:[0,1]
	v_mul_f32_e32 v2, v71, v67
	v_pk_fma_f32 v[0:1], v[0:1], v[190:191], v[68:69] op_sel_hi:[1,1,0]
	s_delay_alu instid0(VALU_DEP_2) | instskip(SKIP_2) | instid1(VALU_DEP_1)
	v_pk_fma_f32 v[2:3], v[70:71], v[190:191], v[2:3] op_sel_hi:[1,1,0] neg_lo:[0,0,1] neg_hi:[0,0,1]
	ds_load_2addr_b64 v[68:71], v6 offset0:36 offset1:37
	v_mov_b32_e32 v3, v1
	v_pk_add_f32 v[198:199], v[198:199], v[2:3] neg_lo:[0,1] neg_hi:[0,1]
	s_wait_dscnt 0x0
	v_pk_mul_f32 v[0:1], v[68:69], v[66:67] op_sel:[0,1]
	s_delay_alu instid0(VALU_DEP_1) | instskip(SKIP_1) | instid1(VALU_DEP_1)
	v_pk_fma_f32 v[2:3], v[68:69], v[64:65], v[0:1] op_sel:[0,0,1] op_sel_hi:[1,1,0] neg_lo:[0,0,1] neg_hi:[0,0,1]
	v_pk_fma_f32 v[0:1], v[68:69], v[64:65], v[0:1] op_sel:[0,0,1] op_sel_hi:[1,0,0]
	v_mov_b32_e32 v3, v1
	v_pk_mul_f32 v[0:1], v[70:71], v[66:67] op_sel:[0,1]
	s_delay_alu instid0(VALU_DEP_2) | instskip(NEXT) | instid1(VALU_DEP_2)
	v_pk_add_f32 v[200:201], v[200:201], v[2:3] neg_lo:[0,1] neg_hi:[0,1]
	v_pk_fma_f32 v[2:3], v[70:71], v[64:65], v[0:1] op_sel:[0,0,1] op_sel_hi:[1,1,0] neg_lo:[0,0,1] neg_hi:[0,0,1]
	v_pk_fma_f32 v[0:1], v[70:71], v[64:65], v[0:1] op_sel:[0,0,1] op_sel_hi:[1,0,0]
	ds_load_2addr_b64 v[68:71], v6 offset0:38 offset1:39
	v_mov_b32_e32 v3, v1
	s_delay_alu instid0(VALU_DEP_1) | instskip(SKIP_2) | instid1(VALU_DEP_1)
	v_pk_add_f32 v[202:203], v[202:203], v[2:3] neg_lo:[0,1] neg_hi:[0,1]
	s_wait_dscnt 0x0
	v_pk_mul_f32 v[0:1], v[68:69], v[66:67] op_sel:[0,1]
	v_pk_fma_f32 v[2:3], v[68:69], v[64:65], v[0:1] op_sel:[0,0,1] op_sel_hi:[1,1,0] neg_lo:[0,0,1] neg_hi:[0,0,1]
	v_pk_fma_f32 v[0:1], v[68:69], v[64:65], v[0:1] op_sel:[0,0,1] op_sel_hi:[1,0,0]
	s_delay_alu instid0(VALU_DEP_1) | instskip(SKIP_1) | instid1(VALU_DEP_2)
	v_mov_b32_e32 v3, v1
	v_pk_mul_f32 v[0:1], v[70:71], v[66:67] op_sel:[0,1]
	v_pk_add_f32 v[204:205], v[204:205], v[2:3] neg_lo:[0,1] neg_hi:[0,1]
	s_delay_alu instid0(VALU_DEP_2) | instskip(SKIP_3) | instid1(VALU_DEP_1)
	v_pk_fma_f32 v[2:3], v[70:71], v[64:65], v[0:1] op_sel:[0,0,1] op_sel_hi:[1,1,0] neg_lo:[0,0,1] neg_hi:[0,0,1]
	v_pk_fma_f32 v[0:1], v[70:71], v[64:65], v[0:1] op_sel:[0,0,1] op_sel_hi:[1,0,0]
	ds_load_2addr_b64 v[68:71], v6 offset0:40 offset1:41
	v_mov_b32_e32 v3, v1
	v_pk_add_f32 v[206:207], v[206:207], v[2:3] neg_lo:[0,1] neg_hi:[0,1]
	s_wait_dscnt 0x0
	v_dual_mul_f32 v0, v69, v67 :: v_dual_mul_f32 v2, v69, v64
	s_delay_alu instid0(VALU_DEP_1) | instskip(NEXT) | instid1(VALU_DEP_2)
	v_pk_fma_f32 v[0:1], v[68:69], v[190:191], v[0:1] op_sel_hi:[1,1,0] neg_lo:[0,0,1] neg_hi:[0,0,1]
	v_pk_fma_f32 v[2:3], v[68:69], v[190:191], v[2:3] op_sel:[1,0,0] op_sel_hi:[0,1,0]
	s_delay_alu instid0(VALU_DEP_1) | instskip(NEXT) | instid1(VALU_DEP_1)
	v_mov_b32_e32 v1, v3
	v_pk_add_f32 v[208:209], v[208:209], v[0:1] neg_lo:[0,1] neg_hi:[0,1]
	v_pk_mul_f32 v[0:1], v[70:71], v[66:67] op_sel:[0,1]
	s_delay_alu instid0(VALU_DEP_1) | instskip(SKIP_3) | instid1(VALU_DEP_1)
	v_pk_fma_f32 v[2:3], v[70:71], v[64:65], v[0:1] op_sel:[0,0,1] op_sel_hi:[1,1,0] neg_lo:[0,0,1] neg_hi:[0,0,1]
	v_pk_fma_f32 v[0:1], v[70:71], v[64:65], v[0:1] op_sel:[0,0,1] op_sel_hi:[1,0,0]
	ds_load_2addr_b64 v[68:71], v6 offset0:42 offset1:43
	v_mov_b32_e32 v3, v1
	v_pk_add_f32 v[210:211], v[210:211], v[2:3] neg_lo:[0,1] neg_hi:[0,1]
	s_wait_dscnt 0x0
	v_pk_mul_f32 v[0:1], v[68:69], v[66:67] op_sel:[0,1]
	s_delay_alu instid0(VALU_DEP_1) | instskip(SKIP_1) | instid1(VALU_DEP_1)
	v_pk_fma_f32 v[2:3], v[68:69], v[64:65], v[0:1] op_sel:[0,0,1] op_sel_hi:[1,1,0] neg_lo:[0,0,1] neg_hi:[0,0,1]
	v_pk_fma_f32 v[0:1], v[68:69], v[64:65], v[0:1] op_sel:[0,0,1] op_sel_hi:[1,0,0]
	v_mov_b32_e32 v3, v1
	v_pk_mul_f32 v[0:1], v[70:71], v[66:67] op_sel:[0,1]
	s_delay_alu instid0(VALU_DEP_2) | instskip(NEXT) | instid1(VALU_DEP_2)
	v_pk_add_f32 v[212:213], v[212:213], v[2:3] neg_lo:[0,1] neg_hi:[0,1]
	v_pk_fma_f32 v[2:3], v[70:71], v[64:65], v[0:1] op_sel:[0,0,1] op_sel_hi:[1,1,0] neg_lo:[0,0,1] neg_hi:[0,0,1]
	v_pk_fma_f32 v[0:1], v[70:71], v[64:65], v[0:1] op_sel:[0,0,1] op_sel_hi:[1,0,0]
	ds_load_2addr_b64 v[68:71], v6 offset0:44 offset1:45
	v_mov_b32_e32 v3, v1
	s_delay_alu instid0(VALU_DEP_1) | instskip(SKIP_2) | instid1(VALU_DEP_1)
	v_pk_add_f32 v[214:215], v[214:215], v[2:3] neg_lo:[0,1] neg_hi:[0,1]
	s_wait_dscnt 0x0
	v_pk_mul_f32 v[0:1], v[68:69], v[66:67] op_sel:[0,1]
	v_pk_fma_f32 v[2:3], v[68:69], v[64:65], v[0:1] op_sel:[0,0,1] op_sel_hi:[1,1,0] neg_lo:[0,0,1] neg_hi:[0,0,1]
	v_pk_fma_f32 v[0:1], v[68:69], v[64:65], v[0:1] op_sel:[0,0,1] op_sel_hi:[1,0,0]
	v_dual_mov_b32 v0, v71 :: v_dual_mul_f32 v68, v71, v64
	s_delay_alu instid0(VALU_DEP_2) | instskip(NEXT) | instid1(VALU_DEP_1)
	v_dual_mov_b32 v3, v1 :: v_dual_mov_b32 v1, v70
	v_pk_add_f32 v[216:217], v[216:217], v[2:3] neg_lo:[0,1] neg_hi:[0,1]
	v_mul_f32_e32 v2, v71, v67
	s_delay_alu instid0(VALU_DEP_3) | instskip(NEXT) | instid1(VALU_DEP_2)
	v_pk_fma_f32 v[0:1], v[0:1], v[190:191], v[68:69] op_sel_hi:[1,1,0]
	v_pk_fma_f32 v[2:3], v[70:71], v[190:191], v[2:3] op_sel_hi:[1,1,0] neg_lo:[0,0,1] neg_hi:[0,0,1]
	ds_load_2addr_b64 v[68:71], v6 offset0:46 offset1:47
	v_mov_b32_e32 v3, v1
	s_delay_alu instid0(VALU_DEP_1) | instskip(SKIP_2) | instid1(VALU_DEP_1)
	v_pk_add_f32 v[218:219], v[218:219], v[2:3] neg_lo:[0,1] neg_hi:[0,1]
	s_wait_dscnt 0x0
	v_pk_mul_f32 v[0:1], v[68:69], v[66:67] op_sel:[0,1]
	v_pk_fma_f32 v[2:3], v[68:69], v[64:65], v[0:1] op_sel:[0,0,1] op_sel_hi:[1,1,0] neg_lo:[0,0,1] neg_hi:[0,0,1]
	v_pk_fma_f32 v[0:1], v[68:69], v[64:65], v[0:1] op_sel:[0,0,1] op_sel_hi:[1,0,0]
	s_delay_alu instid0(VALU_DEP_1) | instskip(SKIP_1) | instid1(VALU_DEP_2)
	v_mov_b32_e32 v3, v1
	v_pk_mul_f32 v[0:1], v[70:71], v[66:67] op_sel:[0,1]
	v_pk_add_f32 v[220:221], v[220:221], v[2:3] neg_lo:[0,1] neg_hi:[0,1]
	s_delay_alu instid0(VALU_DEP_2) | instskip(SKIP_3) | instid1(VALU_DEP_1)
	v_pk_fma_f32 v[2:3], v[70:71], v[64:65], v[0:1] op_sel:[0,0,1] op_sel_hi:[1,1,0] neg_lo:[0,0,1] neg_hi:[0,0,1]
	v_pk_fma_f32 v[0:1], v[70:71], v[64:65], v[0:1] op_sel:[0,0,1] op_sel_hi:[1,0,0]
	ds_load_2addr_b64 v[68:71], v6 offset0:48 offset1:49
	v_mov_b32_e32 v3, v1
	v_pk_add_f32 v[222:223], v[222:223], v[2:3] neg_lo:[0,1] neg_hi:[0,1]
	s_wait_dscnt 0x0
	v_pk_mul_f32 v[0:1], v[68:69], v[66:67] op_sel:[0,1]
	s_delay_alu instid0(VALU_DEP_1) | instskip(SKIP_1) | instid1(VALU_DEP_1)
	v_pk_fma_f32 v[2:3], v[68:69], v[64:65], v[0:1] op_sel:[0,0,1] op_sel_hi:[1,1,0] neg_lo:[0,0,1] neg_hi:[0,0,1]
	v_pk_fma_f32 v[0:1], v[68:69], v[64:65], v[0:1] op_sel:[0,0,1] op_sel_hi:[1,0,0]
	v_mov_b32_e32 v3, v1
	v_pk_mul_f32 v[0:1], v[70:71], v[66:67] op_sel:[0,1]
	s_delay_alu instid0(VALU_DEP_2) | instskip(NEXT) | instid1(VALU_DEP_2)
	v_pk_add_f32 v[224:225], v[224:225], v[2:3] neg_lo:[0,1] neg_hi:[0,1]
	v_pk_fma_f32 v[2:3], v[70:71], v[64:65], v[0:1] op_sel:[0,0,1] op_sel_hi:[1,1,0] neg_lo:[0,0,1] neg_hi:[0,0,1]
	v_pk_fma_f32 v[0:1], v[70:71], v[64:65], v[0:1] op_sel:[0,0,1] op_sel_hi:[1,0,0]
	ds_load_2addr_b64 v[68:71], v6 offset0:50 offset1:51
	v_mov_b32_e32 v3, v1
	s_delay_alu instid0(VALU_DEP_1) | instskip(SKIP_2) | instid1(VALU_DEP_1)
	v_pk_add_f32 v[226:227], v[226:227], v[2:3] neg_lo:[0,1] neg_hi:[0,1]
	s_wait_dscnt 0x0
	v_dual_mul_f32 v2, v69, v64 :: v_dual_mul_f32 v0, v69, v67
	v_pk_fma_f32 v[2:3], v[68:69], v[190:191], v[2:3] op_sel:[1,0,0] op_sel_hi:[0,1,0]
	s_delay_alu instid0(VALU_DEP_2) | instskip(NEXT) | instid1(VALU_DEP_2)
	v_pk_fma_f32 v[0:1], v[68:69], v[190:191], v[0:1] op_sel_hi:[1,1,0] neg_lo:[0,0,1] neg_hi:[0,0,1]
	v_mov_b32_e32 v1, v3
	s_delay_alu instid0(VALU_DEP_1) | instskip(SKIP_1) | instid1(VALU_DEP_1)
	v_pk_add_f32 v[228:229], v[228:229], v[0:1] neg_lo:[0,1] neg_hi:[0,1]
	v_pk_mul_f32 v[0:1], v[70:71], v[66:67] op_sel:[0,1]
	v_pk_fma_f32 v[2:3], v[70:71], v[64:65], v[0:1] op_sel:[0,0,1] op_sel_hi:[1,1,0] neg_lo:[0,0,1] neg_hi:[0,0,1]
	v_pk_fma_f32 v[0:1], v[70:71], v[64:65], v[0:1] op_sel:[0,0,1] op_sel_hi:[1,0,0]
	ds_load_2addr_b64 v[68:71], v6 offset0:52 offset1:53
	v_mov_b32_e32 v3, v1
	s_delay_alu instid0(VALU_DEP_1) | instskip(SKIP_2) | instid1(VALU_DEP_1)
	v_pk_add_f32 v[230:231], v[230:231], v[2:3] neg_lo:[0,1] neg_hi:[0,1]
	s_wait_dscnt 0x0
	v_pk_mul_f32 v[0:1], v[68:69], v[66:67] op_sel:[0,1]
	v_pk_fma_f32 v[2:3], v[68:69], v[64:65], v[0:1] op_sel:[0,0,1] op_sel_hi:[1,1,0] neg_lo:[0,0,1] neg_hi:[0,0,1]
	v_pk_fma_f32 v[0:1], v[68:69], v[64:65], v[0:1] op_sel:[0,0,1] op_sel_hi:[1,0,0]
	s_delay_alu instid0(VALU_DEP_1) | instskip(SKIP_1) | instid1(VALU_DEP_2)
	v_mov_b32_e32 v3, v1
	v_pk_mul_f32 v[0:1], v[70:71], v[66:67] op_sel:[0,1]
	v_pk_add_f32 v[232:233], v[232:233], v[2:3] neg_lo:[0,1] neg_hi:[0,1]
	s_delay_alu instid0(VALU_DEP_2) | instskip(SKIP_3) | instid1(VALU_DEP_1)
	v_pk_fma_f32 v[2:3], v[70:71], v[64:65], v[0:1] op_sel:[0,0,1] op_sel_hi:[1,1,0] neg_lo:[0,0,1] neg_hi:[0,0,1]
	v_pk_fma_f32 v[0:1], v[70:71], v[64:65], v[0:1] op_sel:[0,0,1] op_sel_hi:[1,0,0]
	ds_load_2addr_b64 v[68:71], v6 offset0:54 offset1:55
	v_mov_b32_e32 v3, v1
	v_pk_add_f32 v[234:235], v[234:235], v[2:3] neg_lo:[0,1] neg_hi:[0,1]
	s_wait_dscnt 0x0
	v_pk_mul_f32 v[0:1], v[68:69], v[66:67] op_sel:[0,1]
	s_delay_alu instid0(VALU_DEP_1) | instskip(SKIP_2) | instid1(VALU_DEP_2)
	v_pk_fma_f32 v[2:3], v[68:69], v[64:65], v[0:1] op_sel:[0,0,1] op_sel_hi:[1,1,0] neg_lo:[0,0,1] neg_hi:[0,0,1]
	v_pk_fma_f32 v[0:1], v[68:69], v[64:65], v[0:1] op_sel:[0,0,1] op_sel_hi:[1,0,0]
	v_dual_mov_b32 v0, v71 :: v_dual_mul_f32 v68, v71, v64
	v_dual_mov_b32 v3, v1 :: v_dual_mov_b32 v1, v70
	s_delay_alu instid0(VALU_DEP_1) | instskip(SKIP_1) | instid1(VALU_DEP_3)
	v_pk_add_f32 v[236:237], v[236:237], v[2:3] neg_lo:[0,1] neg_hi:[0,1]
	v_mul_f32_e32 v2, v71, v67
	v_pk_fma_f32 v[0:1], v[0:1], v[190:191], v[68:69] op_sel_hi:[1,1,0]
	s_delay_alu instid0(VALU_DEP_2) | instskip(SKIP_2) | instid1(VALU_DEP_1)
	v_pk_fma_f32 v[2:3], v[70:71], v[190:191], v[2:3] op_sel_hi:[1,1,0] neg_lo:[0,0,1] neg_hi:[0,0,1]
	ds_load_2addr_b64 v[68:71], v6 offset0:56 offset1:57
	v_mov_b32_e32 v3, v1
	v_pk_add_f32 v[238:239], v[238:239], v[2:3] neg_lo:[0,1] neg_hi:[0,1]
	s_wait_dscnt 0x0
	v_pk_mul_f32 v[0:1], v[68:69], v[66:67] op_sel:[0,1]
	s_delay_alu instid0(VALU_DEP_1) | instskip(SKIP_1) | instid1(VALU_DEP_1)
	v_pk_fma_f32 v[2:3], v[68:69], v[64:65], v[0:1] op_sel:[0,0,1] op_sel_hi:[1,1,0] neg_lo:[0,0,1] neg_hi:[0,0,1]
	v_pk_fma_f32 v[0:1], v[68:69], v[64:65], v[0:1] op_sel:[0,0,1] op_sel_hi:[1,0,0]
	v_mov_b32_e32 v3, v1
	v_pk_mul_f32 v[0:1], v[70:71], v[66:67] op_sel:[0,1]
	s_delay_alu instid0(VALU_DEP_2) | instskip(NEXT) | instid1(VALU_DEP_2)
	v_pk_add_f32 v[248:249], v[248:249], v[2:3] neg_lo:[0,1] neg_hi:[0,1]
	v_pk_fma_f32 v[2:3], v[70:71], v[64:65], v[0:1] op_sel:[0,0,1] op_sel_hi:[1,1,0] neg_lo:[0,0,1] neg_hi:[0,0,1]
	v_pk_fma_f32 v[0:1], v[70:71], v[64:65], v[0:1] op_sel:[0,0,1] op_sel_hi:[1,0,0]
	ds_load_2addr_b64 v[68:71], v6 offset0:58 offset1:59
	v_mov_b32_e32 v3, v1
	s_delay_alu instid0(VALU_DEP_1) | instskip(SKIP_2) | instid1(VALU_DEP_1)
	v_pk_add_f32 v[242:243], v[242:243], v[2:3] neg_lo:[0,1] neg_hi:[0,1]
	s_wait_dscnt 0x0
	v_pk_mul_f32 v[0:1], v[68:69], v[66:67] op_sel:[0,1]
	v_pk_fma_f32 v[2:3], v[68:69], v[64:65], v[0:1] op_sel:[0,0,1] op_sel_hi:[1,1,0] neg_lo:[0,0,1] neg_hi:[0,0,1]
	v_pk_fma_f32 v[0:1], v[68:69], v[64:65], v[0:1] op_sel:[0,0,1] op_sel_hi:[1,0,0]
	s_delay_alu instid0(VALU_DEP_1) | instskip(SKIP_1) | instid1(VALU_DEP_2)
	v_mov_b32_e32 v3, v1
	v_pk_mul_f32 v[0:1], v[70:71], v[66:67] op_sel:[0,1]
	v_pk_add_f32 v[246:247], v[246:247], v[2:3] neg_lo:[0,1] neg_hi:[0,1]
	s_delay_alu instid0(VALU_DEP_2) | instskip(SKIP_3) | instid1(VALU_DEP_1)
	v_pk_fma_f32 v[2:3], v[70:71], v[64:65], v[0:1] op_sel:[0,0,1] op_sel_hi:[1,1,0] neg_lo:[0,0,1] neg_hi:[0,0,1]
	v_pk_fma_f32 v[0:1], v[70:71], v[64:65], v[0:1] op_sel:[0,0,1] op_sel_hi:[1,0,0]
	ds_load_2addr_b64 v[68:71], v6 offset0:60 offset1:61
	v_mov_b32_e32 v3, v1
	v_pk_add_f32 v[240:241], v[240:241], v[2:3] neg_lo:[0,1] neg_hi:[0,1]
	s_wait_dscnt 0x0
	v_dual_mul_f32 v0, v69, v67 :: v_dual_mul_f32 v2, v69, v64
	s_delay_alu instid0(VALU_DEP_1) | instskip(NEXT) | instid1(VALU_DEP_2)
	v_pk_fma_f32 v[0:1], v[68:69], v[190:191], v[0:1] op_sel_hi:[1,1,0] neg_lo:[0,0,1] neg_hi:[0,0,1]
	v_pk_fma_f32 v[2:3], v[68:69], v[190:191], v[2:3] op_sel:[1,0,0] op_sel_hi:[0,1,0]
	s_delay_alu instid0(VALU_DEP_1) | instskip(NEXT) | instid1(VALU_DEP_1)
	v_mov_b32_e32 v1, v3
	v_pk_add_f32 v[244:245], v[244:245], v[0:1] neg_lo:[0,1] neg_hi:[0,1]
	v_pk_mul_f32 v[0:1], v[70:71], v[66:67] op_sel:[0,1]
	s_delay_alu instid0(VALU_DEP_1) | instskip(SKIP_1) | instid1(VALU_DEP_1)
	v_pk_fma_f32 v[2:3], v[70:71], v[64:65], v[0:1] op_sel:[0,0,1] op_sel_hi:[1,1,0] neg_lo:[0,0,1] neg_hi:[0,0,1]
	v_pk_fma_f32 v[0:1], v[70:71], v[64:65], v[0:1] op_sel:[0,0,1] op_sel_hi:[1,0,0]
	v_mov_b32_e32 v3, v1
	ds_load_b64 v[0:1], v6 offset:496
	v_pk_add_f32 v[250:251], v[250:251], v[2:3] neg_lo:[0,1] neg_hi:[0,1]
	s_wait_dscnt 0x0
	v_pk_mul_f32 v[2:3], v[0:1], v[66:67] op_sel:[0,1]
	s_delay_alu instid0(VALU_DEP_1) | instskip(SKIP_1) | instid1(VALU_DEP_1)
	v_pk_fma_f32 v[66:67], v[0:1], v[64:65], v[2:3] op_sel:[0,0,1] op_sel_hi:[1,1,0] neg_lo:[0,0,1] neg_hi:[0,0,1]
	v_pk_fma_f32 v[0:1], v[0:1], v[64:65], v[2:3] op_sel:[0,0,1] op_sel_hi:[1,0,0]
	v_mov_b32_e32 v67, v1
	s_delay_alu instid0(VALU_DEP_1)
	v_pk_add_f32 v[252:253], v[252:253], v[66:67] neg_lo:[0,1] neg_hi:[0,1]
.LBB125_289:
	s_or_b32 exec_lo, exec_lo, s1
	s_delay_alu instid0(SALU_CYCLE_1)
	s_mov_b32 s2, exec_lo
	s_wait_dscnt 0x0
	s_barrier_signal -1
	s_barrier_wait -1
	v_cmpx_eq_u32_e32 32, v254
	s_cbranch_execz .LBB125_296
; %bb.290:
	ds_store_b64 v255, v[192:193]
	ds_store_2addr_b64 v6, v[194:195], v[196:197] offset0:33 offset1:34
	ds_store_2addr_b64 v6, v[198:199], v[200:201] offset0:35 offset1:36
	;; [unrolled: 1-line block ×15, first 2 shown]
	ds_load_b64 v[64:65], v255
	s_wait_dscnt 0x0
	v_cmp_neq_f32_e32 vcc_lo, 0, v64
	v_cmp_neq_f32_e64 s1, 0, v65
	s_or_b32 s1, vcc_lo, s1
	s_delay_alu instid0(SALU_CYCLE_1)
	s_and_b32 exec_lo, exec_lo, s1
	s_cbranch_execz .LBB125_296
; %bb.291:
	v_cmp_ngt_f32_e64 s1, |v64|, |v65|
                                        ; implicit-def: $vgpr66_vgpr67
	s_and_saveexec_b32 s4, s1
	s_delay_alu instid0(SALU_CYCLE_1)
	s_xor_b32 s1, exec_lo, s4
	s_cbranch_execz .LBB125_293
; %bb.292:
	v_div_scale_f32 v0, null, v65, v65, v64
	v_div_scale_f32 v3, vcc_lo, v64, v65, v64
	s_delay_alu instid0(VALU_DEP_2) | instskip(SKIP_1) | instid1(TRANS32_DEP_1)
	v_rcp_f32_e32 v1, v0
	v_nop
	v_fma_f32 v2, -v0, v1, 1.0
	s_delay_alu instid0(VALU_DEP_1) | instskip(NEXT) | instid1(VALU_DEP_1)
	v_fmac_f32_e32 v1, v2, v1
	v_mul_f32_e32 v2, v3, v1
	s_delay_alu instid0(VALU_DEP_1) | instskip(NEXT) | instid1(VALU_DEP_1)
	v_fma_f32 v4, -v0, v2, v3
	v_fmac_f32_e32 v2, v4, v1
	s_delay_alu instid0(VALU_DEP_1) | instskip(NEXT) | instid1(VALU_DEP_1)
	v_fma_f32 v0, -v0, v2, v3
	v_div_fmas_f32 v0, v0, v1, v2
	s_delay_alu instid0(VALU_DEP_1) | instskip(NEXT) | instid1(VALU_DEP_1)
	v_div_fixup_f32 v0, v0, v65, v64
	v_fmac_f32_e32 v65, v64, v0
	s_delay_alu instid0(VALU_DEP_1) | instskip(SKIP_1) | instid1(VALU_DEP_2)
	v_div_scale_f32 v1, null, v65, v65, 1.0
	v_div_scale_f32 v4, vcc_lo, 1.0, v65, 1.0
	v_rcp_f32_e32 v2, v1
	v_nop
	s_delay_alu instid0(TRANS32_DEP_1) | instskip(NEXT) | instid1(VALU_DEP_1)
	v_fma_f32 v3, -v1, v2, 1.0
	v_fmac_f32_e32 v2, v3, v2
	s_delay_alu instid0(VALU_DEP_1) | instskip(NEXT) | instid1(VALU_DEP_1)
	v_mul_f32_e32 v3, v4, v2
	v_fma_f32 v5, -v1, v3, v4
	s_delay_alu instid0(VALU_DEP_1) | instskip(NEXT) | instid1(VALU_DEP_1)
	v_fmac_f32_e32 v3, v5, v2
	v_fma_f32 v1, -v1, v3, v4
	s_delay_alu instid0(VALU_DEP_1) | instskip(NEXT) | instid1(VALU_DEP_1)
	v_div_fmas_f32 v1, v1, v2, v3
	v_div_fixup_f32 v1, v1, v65, 1.0
                                        ; implicit-def: $vgpr64_vgpr65
	s_delay_alu instid0(VALU_DEP_1)
	v_mul_f32_e32 v66, v0, v1
	v_xor_b32_e32 v67, 0x80000000, v1
.LBB125_293:
	s_and_not1_saveexec_b32 s1, s1
	s_cbranch_execz .LBB125_295
; %bb.294:
	v_div_scale_f32 v0, null, v64, v64, v65
	v_div_scale_f32 v3, vcc_lo, v65, v64, v65
	s_delay_alu instid0(VALU_DEP_2) | instskip(SKIP_1) | instid1(TRANS32_DEP_1)
	v_rcp_f32_e32 v1, v0
	v_nop
	v_fma_f32 v2, -v0, v1, 1.0
	s_delay_alu instid0(VALU_DEP_1) | instskip(NEXT) | instid1(VALU_DEP_1)
	v_fmac_f32_e32 v1, v2, v1
	v_mul_f32_e32 v2, v3, v1
	s_delay_alu instid0(VALU_DEP_1) | instskip(NEXT) | instid1(VALU_DEP_1)
	v_fma_f32 v4, -v0, v2, v3
	v_fmac_f32_e32 v2, v4, v1
	s_delay_alu instid0(VALU_DEP_1) | instskip(NEXT) | instid1(VALU_DEP_1)
	v_fma_f32 v0, -v0, v2, v3
	v_div_fmas_f32 v0, v0, v1, v2
	s_delay_alu instid0(VALU_DEP_1) | instskip(NEXT) | instid1(VALU_DEP_1)
	v_div_fixup_f32 v0, v0, v64, v65
	v_fmac_f32_e32 v64, v65, v0
	s_delay_alu instid0(VALU_DEP_1) | instskip(NEXT) | instid1(VALU_DEP_1)
	v_div_scale_f32 v1, null, v64, v64, 1.0
	v_rcp_f32_e32 v2, v1
	v_nop
	s_delay_alu instid0(TRANS32_DEP_1) | instskip(NEXT) | instid1(VALU_DEP_1)
	v_fma_f32 v3, -v1, v2, 1.0
	v_fmac_f32_e32 v2, v3, v2
	v_div_scale_f32 v3, vcc_lo, 1.0, v64, 1.0
	s_delay_alu instid0(VALU_DEP_1) | instskip(NEXT) | instid1(VALU_DEP_1)
	v_mul_f32_e32 v4, v3, v2
	v_fma_f32 v5, -v1, v4, v3
	s_delay_alu instid0(VALU_DEP_1) | instskip(NEXT) | instid1(VALU_DEP_1)
	v_fmac_f32_e32 v4, v5, v2
	v_fma_f32 v1, -v1, v4, v3
	s_delay_alu instid0(VALU_DEP_1) | instskip(NEXT) | instid1(VALU_DEP_1)
	v_div_fmas_f32 v1, v1, v2, v4
	v_div_fixup_f32 v66, v1, v64, 1.0
	s_delay_alu instid0(VALU_DEP_1)
	v_mul_f32_e64 v67, v0, -v66
.LBB125_295:
	s_or_b32 exec_lo, exec_lo, s1
	ds_store_b64 v255, v[66:67]
.LBB125_296:
	s_or_b32 exec_lo, exec_lo, s2
	s_wait_dscnt 0x0
	s_barrier_signal -1
	s_barrier_wait -1
	ds_load_b64 v[64:65], v255
	s_mov_b32 s1, exec_lo
	v_cmpx_lt_u32_e32 32, v254
	s_cbranch_execz .LBB125_298
; %bb.297:
	ds_load_2addr_b64 v[70:73], v6 offset0:33 offset1:34
	s_wait_dscnt 0x1
	v_pk_mul_f32 v[0:1], v[64:65], v[192:193] op_sel:[1,1] op_sel_hi:[0,1]
	s_delay_alu instid0(VALU_DEP_1) | instskip(SKIP_1) | instid1(VALU_DEP_1)
	v_pk_fma_f32 v[68:69], v[64:65], v[192:193], v[0:1] op_sel_hi:[1,0,1]
	v_pk_fma_f32 v[66:67], v[64:65], v[192:193], v[0:1] op_sel_hi:[1,0,1] neg_lo:[0,0,1] neg_hi:[0,0,1]
	v_dual_mov_b32 v193, v69 :: v_dual_mov_b32 v192, v66
	s_wait_dscnt 0x0
	s_delay_alu instid0(VALU_DEP_3) | instskip(NEXT) | instid1(VALU_DEP_1)
	v_pk_mul_f32 v[0:1], v[70:71], v[68:69] op_sel:[0,1]
	v_pk_fma_f32 v[2:3], v[70:71], v[66:67], v[0:1] op_sel:[0,0,1] op_sel_hi:[1,1,0] neg_lo:[0,0,1] neg_hi:[0,0,1]
	v_pk_fma_f32 v[0:1], v[70:71], v[66:67], v[0:1] op_sel:[0,0,1] op_sel_hi:[1,0,0]
	s_delay_alu instid0(VALU_DEP_1) | instskip(SKIP_1) | instid1(VALU_DEP_2)
	v_mov_b32_e32 v3, v1
	v_pk_mul_f32 v[0:1], v[72:73], v[68:69] op_sel:[0,1]
	v_pk_add_f32 v[194:195], v[194:195], v[2:3] neg_lo:[0,1] neg_hi:[0,1]
	s_delay_alu instid0(VALU_DEP_2) | instskip(SKIP_3) | instid1(VALU_DEP_1)
	v_pk_fma_f32 v[2:3], v[72:73], v[66:67], v[0:1] op_sel:[0,0,1] op_sel_hi:[1,1,0] neg_lo:[0,0,1] neg_hi:[0,0,1]
	v_pk_fma_f32 v[0:1], v[72:73], v[66:67], v[0:1] op_sel:[0,0,1] op_sel_hi:[1,0,0]
	ds_load_2addr_b64 v[70:73], v6 offset0:35 offset1:36
	v_mov_b32_e32 v3, v1
	v_pk_add_f32 v[196:197], v[196:197], v[2:3] neg_lo:[0,1] neg_hi:[0,1]
	s_wait_dscnt 0x0
	v_pk_mul_f32 v[0:1], v[70:71], v[68:69] op_sel:[0,1]
	s_delay_alu instid0(VALU_DEP_1) | instskip(SKIP_2) | instid1(VALU_DEP_2)
	v_pk_fma_f32 v[2:3], v[70:71], v[66:67], v[0:1] op_sel:[0,0,1] op_sel_hi:[1,1,0] neg_lo:[0,0,1] neg_hi:[0,0,1]
	v_pk_fma_f32 v[0:1], v[70:71], v[66:67], v[0:1] op_sel:[0,0,1] op_sel_hi:[1,0,0]
	v_dual_mov_b32 v0, v73 :: v_dual_mul_f32 v70, v73, v66
	v_dual_mov_b32 v3, v1 :: v_dual_mov_b32 v1, v72
	s_delay_alu instid0(VALU_DEP_1) | instskip(SKIP_1) | instid1(VALU_DEP_3)
	v_pk_add_f32 v[198:199], v[198:199], v[2:3] neg_lo:[0,1] neg_hi:[0,1]
	v_mul_f32_e32 v2, v73, v69
	v_pk_fma_f32 v[0:1], v[0:1], v[192:193], v[70:71] op_sel_hi:[1,1,0]
	s_delay_alu instid0(VALU_DEP_2) | instskip(SKIP_2) | instid1(VALU_DEP_1)
	v_pk_fma_f32 v[2:3], v[72:73], v[192:193], v[2:3] op_sel_hi:[1,1,0] neg_lo:[0,0,1] neg_hi:[0,0,1]
	ds_load_2addr_b64 v[70:73], v6 offset0:37 offset1:38
	v_mov_b32_e32 v3, v1
	v_pk_add_f32 v[200:201], v[200:201], v[2:3] neg_lo:[0,1] neg_hi:[0,1]
	s_wait_dscnt 0x0
	v_pk_mul_f32 v[0:1], v[70:71], v[68:69] op_sel:[0,1]
	s_delay_alu instid0(VALU_DEP_1) | instskip(SKIP_1) | instid1(VALU_DEP_1)
	v_pk_fma_f32 v[2:3], v[70:71], v[66:67], v[0:1] op_sel:[0,0,1] op_sel_hi:[1,1,0] neg_lo:[0,0,1] neg_hi:[0,0,1]
	v_pk_fma_f32 v[0:1], v[70:71], v[66:67], v[0:1] op_sel:[0,0,1] op_sel_hi:[1,0,0]
	v_mov_b32_e32 v3, v1
	v_pk_mul_f32 v[0:1], v[72:73], v[68:69] op_sel:[0,1]
	s_delay_alu instid0(VALU_DEP_2) | instskip(NEXT) | instid1(VALU_DEP_2)
	v_pk_add_f32 v[202:203], v[202:203], v[2:3] neg_lo:[0,1] neg_hi:[0,1]
	v_pk_fma_f32 v[2:3], v[72:73], v[66:67], v[0:1] op_sel:[0,0,1] op_sel_hi:[1,1,0] neg_lo:[0,0,1] neg_hi:[0,0,1]
	v_pk_fma_f32 v[0:1], v[72:73], v[66:67], v[0:1] op_sel:[0,0,1] op_sel_hi:[1,0,0]
	ds_load_2addr_b64 v[70:73], v6 offset0:39 offset1:40
	v_mov_b32_e32 v3, v1
	s_delay_alu instid0(VALU_DEP_1) | instskip(SKIP_2) | instid1(VALU_DEP_1)
	v_pk_add_f32 v[204:205], v[204:205], v[2:3] neg_lo:[0,1] neg_hi:[0,1]
	s_wait_dscnt 0x0
	v_pk_mul_f32 v[0:1], v[70:71], v[68:69] op_sel:[0,1]
	v_pk_fma_f32 v[2:3], v[70:71], v[66:67], v[0:1] op_sel:[0,0,1] op_sel_hi:[1,1,0] neg_lo:[0,0,1] neg_hi:[0,0,1]
	v_pk_fma_f32 v[0:1], v[70:71], v[66:67], v[0:1] op_sel:[0,0,1] op_sel_hi:[1,0,0]
	s_delay_alu instid0(VALU_DEP_1) | instskip(SKIP_1) | instid1(VALU_DEP_2)
	v_mov_b32_e32 v3, v1
	v_pk_mul_f32 v[0:1], v[72:73], v[68:69] op_sel:[0,1]
	v_pk_add_f32 v[206:207], v[206:207], v[2:3] neg_lo:[0,1] neg_hi:[0,1]
	s_delay_alu instid0(VALU_DEP_2) | instskip(SKIP_3) | instid1(VALU_DEP_1)
	v_pk_fma_f32 v[2:3], v[72:73], v[66:67], v[0:1] op_sel:[0,0,1] op_sel_hi:[1,1,0] neg_lo:[0,0,1] neg_hi:[0,0,1]
	v_pk_fma_f32 v[0:1], v[72:73], v[66:67], v[0:1] op_sel:[0,0,1] op_sel_hi:[1,0,0]
	ds_load_2addr_b64 v[70:73], v6 offset0:41 offset1:42
	v_mov_b32_e32 v3, v1
	v_pk_add_f32 v[208:209], v[208:209], v[2:3] neg_lo:[0,1] neg_hi:[0,1]
	s_wait_dscnt 0x0
	v_dual_mul_f32 v2, v71, v66 :: v_dual_mul_f32 v0, v71, v69
	s_delay_alu instid0(VALU_DEP_1) | instskip(NEXT) | instid1(VALU_DEP_2)
	v_pk_fma_f32 v[2:3], v[70:71], v[192:193], v[2:3] op_sel:[1,0,0] op_sel_hi:[0,1,0]
	v_pk_fma_f32 v[0:1], v[70:71], v[192:193], v[0:1] op_sel_hi:[1,1,0] neg_lo:[0,0,1] neg_hi:[0,0,1]
	s_delay_alu instid0(VALU_DEP_2) | instskip(NEXT) | instid1(VALU_DEP_1)
	v_mov_b32_e32 v1, v3
	v_pk_add_f32 v[210:211], v[210:211], v[0:1] neg_lo:[0,1] neg_hi:[0,1]
	v_pk_mul_f32 v[0:1], v[72:73], v[68:69] op_sel:[0,1]
	s_delay_alu instid0(VALU_DEP_1) | instskip(SKIP_3) | instid1(VALU_DEP_1)
	v_pk_fma_f32 v[2:3], v[72:73], v[66:67], v[0:1] op_sel:[0,0,1] op_sel_hi:[1,1,0] neg_lo:[0,0,1] neg_hi:[0,0,1]
	v_pk_fma_f32 v[0:1], v[72:73], v[66:67], v[0:1] op_sel:[0,0,1] op_sel_hi:[1,0,0]
	ds_load_2addr_b64 v[70:73], v6 offset0:43 offset1:44
	v_mov_b32_e32 v3, v1
	v_pk_add_f32 v[212:213], v[212:213], v[2:3] neg_lo:[0,1] neg_hi:[0,1]
	s_wait_dscnt 0x0
	v_pk_mul_f32 v[0:1], v[70:71], v[68:69] op_sel:[0,1]
	s_delay_alu instid0(VALU_DEP_1) | instskip(SKIP_1) | instid1(VALU_DEP_1)
	v_pk_fma_f32 v[2:3], v[70:71], v[66:67], v[0:1] op_sel:[0,0,1] op_sel_hi:[1,1,0] neg_lo:[0,0,1] neg_hi:[0,0,1]
	v_pk_fma_f32 v[0:1], v[70:71], v[66:67], v[0:1] op_sel:[0,0,1] op_sel_hi:[1,0,0]
	v_mov_b32_e32 v3, v1
	v_pk_mul_f32 v[0:1], v[72:73], v[68:69] op_sel:[0,1]
	s_delay_alu instid0(VALU_DEP_2) | instskip(NEXT) | instid1(VALU_DEP_2)
	v_pk_add_f32 v[214:215], v[214:215], v[2:3] neg_lo:[0,1] neg_hi:[0,1]
	v_pk_fma_f32 v[2:3], v[72:73], v[66:67], v[0:1] op_sel:[0,0,1] op_sel_hi:[1,1,0] neg_lo:[0,0,1] neg_hi:[0,0,1]
	v_pk_fma_f32 v[0:1], v[72:73], v[66:67], v[0:1] op_sel:[0,0,1] op_sel_hi:[1,0,0]
	ds_load_2addr_b64 v[70:73], v6 offset0:45 offset1:46
	v_mov_b32_e32 v3, v1
	s_delay_alu instid0(VALU_DEP_1) | instskip(SKIP_2) | instid1(VALU_DEP_1)
	v_pk_add_f32 v[216:217], v[216:217], v[2:3] neg_lo:[0,1] neg_hi:[0,1]
	s_wait_dscnt 0x0
	v_pk_mul_f32 v[0:1], v[70:71], v[68:69] op_sel:[0,1]
	v_pk_fma_f32 v[2:3], v[70:71], v[66:67], v[0:1] op_sel:[0,0,1] op_sel_hi:[1,1,0] neg_lo:[0,0,1] neg_hi:[0,0,1]
	v_pk_fma_f32 v[0:1], v[70:71], v[66:67], v[0:1] op_sel:[0,0,1] op_sel_hi:[1,0,0]
	v_dual_mov_b32 v0, v73 :: v_dual_mul_f32 v70, v73, v66
	s_delay_alu instid0(VALU_DEP_2) | instskip(NEXT) | instid1(VALU_DEP_1)
	v_dual_mov_b32 v3, v1 :: v_dual_mov_b32 v1, v72
	v_pk_add_f32 v[218:219], v[218:219], v[2:3] neg_lo:[0,1] neg_hi:[0,1]
	v_mul_f32_e32 v2, v73, v69
	s_delay_alu instid0(VALU_DEP_3) | instskip(NEXT) | instid1(VALU_DEP_2)
	v_pk_fma_f32 v[0:1], v[0:1], v[192:193], v[70:71] op_sel_hi:[1,1,0]
	v_pk_fma_f32 v[2:3], v[72:73], v[192:193], v[2:3] op_sel_hi:[1,1,0] neg_lo:[0,0,1] neg_hi:[0,0,1]
	ds_load_2addr_b64 v[70:73], v6 offset0:47 offset1:48
	v_mov_b32_e32 v3, v1
	s_delay_alu instid0(VALU_DEP_1) | instskip(SKIP_2) | instid1(VALU_DEP_1)
	v_pk_add_f32 v[220:221], v[220:221], v[2:3] neg_lo:[0,1] neg_hi:[0,1]
	s_wait_dscnt 0x0
	v_pk_mul_f32 v[0:1], v[70:71], v[68:69] op_sel:[0,1]
	v_pk_fma_f32 v[2:3], v[70:71], v[66:67], v[0:1] op_sel:[0,0,1] op_sel_hi:[1,1,0] neg_lo:[0,0,1] neg_hi:[0,0,1]
	v_pk_fma_f32 v[0:1], v[70:71], v[66:67], v[0:1] op_sel:[0,0,1] op_sel_hi:[1,0,0]
	s_delay_alu instid0(VALU_DEP_1) | instskip(SKIP_1) | instid1(VALU_DEP_2)
	v_mov_b32_e32 v3, v1
	v_pk_mul_f32 v[0:1], v[72:73], v[68:69] op_sel:[0,1]
	v_pk_add_f32 v[222:223], v[222:223], v[2:3] neg_lo:[0,1] neg_hi:[0,1]
	s_delay_alu instid0(VALU_DEP_2) | instskip(SKIP_3) | instid1(VALU_DEP_1)
	v_pk_fma_f32 v[2:3], v[72:73], v[66:67], v[0:1] op_sel:[0,0,1] op_sel_hi:[1,1,0] neg_lo:[0,0,1] neg_hi:[0,0,1]
	v_pk_fma_f32 v[0:1], v[72:73], v[66:67], v[0:1] op_sel:[0,0,1] op_sel_hi:[1,0,0]
	ds_load_2addr_b64 v[70:73], v6 offset0:49 offset1:50
	v_mov_b32_e32 v3, v1
	v_pk_add_f32 v[224:225], v[224:225], v[2:3] neg_lo:[0,1] neg_hi:[0,1]
	s_wait_dscnt 0x0
	v_pk_mul_f32 v[0:1], v[70:71], v[68:69] op_sel:[0,1]
	s_delay_alu instid0(VALU_DEP_1) | instskip(SKIP_1) | instid1(VALU_DEP_1)
	v_pk_fma_f32 v[2:3], v[70:71], v[66:67], v[0:1] op_sel:[0,0,1] op_sel_hi:[1,1,0] neg_lo:[0,0,1] neg_hi:[0,0,1]
	v_pk_fma_f32 v[0:1], v[70:71], v[66:67], v[0:1] op_sel:[0,0,1] op_sel_hi:[1,0,0]
	v_mov_b32_e32 v3, v1
	v_pk_mul_f32 v[0:1], v[72:73], v[68:69] op_sel:[0,1]
	s_delay_alu instid0(VALU_DEP_2) | instskip(NEXT) | instid1(VALU_DEP_2)
	v_pk_add_f32 v[226:227], v[226:227], v[2:3] neg_lo:[0,1] neg_hi:[0,1]
	v_pk_fma_f32 v[2:3], v[72:73], v[66:67], v[0:1] op_sel:[0,0,1] op_sel_hi:[1,1,0] neg_lo:[0,0,1] neg_hi:[0,0,1]
	v_pk_fma_f32 v[0:1], v[72:73], v[66:67], v[0:1] op_sel:[0,0,1] op_sel_hi:[1,0,0]
	ds_load_2addr_b64 v[70:73], v6 offset0:51 offset1:52
	v_mov_b32_e32 v3, v1
	s_delay_alu instid0(VALU_DEP_1) | instskip(SKIP_2) | instid1(VALU_DEP_1)
	v_pk_add_f32 v[228:229], v[228:229], v[2:3] neg_lo:[0,1] neg_hi:[0,1]
	s_wait_dscnt 0x0
	v_dual_mul_f32 v2, v71, v66 :: v_dual_mul_f32 v0, v71, v69
	v_pk_fma_f32 v[2:3], v[70:71], v[192:193], v[2:3] op_sel:[1,0,0] op_sel_hi:[0,1,0]
	s_delay_alu instid0(VALU_DEP_2) | instskip(NEXT) | instid1(VALU_DEP_2)
	v_pk_fma_f32 v[0:1], v[70:71], v[192:193], v[0:1] op_sel_hi:[1,1,0] neg_lo:[0,0,1] neg_hi:[0,0,1]
	v_mov_b32_e32 v1, v3
	s_delay_alu instid0(VALU_DEP_1) | instskip(SKIP_1) | instid1(VALU_DEP_1)
	v_pk_add_f32 v[230:231], v[230:231], v[0:1] neg_lo:[0,1] neg_hi:[0,1]
	v_pk_mul_f32 v[0:1], v[72:73], v[68:69] op_sel:[0,1]
	v_pk_fma_f32 v[2:3], v[72:73], v[66:67], v[0:1] op_sel:[0,0,1] op_sel_hi:[1,1,0] neg_lo:[0,0,1] neg_hi:[0,0,1]
	v_pk_fma_f32 v[0:1], v[72:73], v[66:67], v[0:1] op_sel:[0,0,1] op_sel_hi:[1,0,0]
	ds_load_2addr_b64 v[70:73], v6 offset0:53 offset1:54
	v_mov_b32_e32 v3, v1
	s_delay_alu instid0(VALU_DEP_1) | instskip(SKIP_2) | instid1(VALU_DEP_1)
	v_pk_add_f32 v[232:233], v[232:233], v[2:3] neg_lo:[0,1] neg_hi:[0,1]
	s_wait_dscnt 0x0
	v_pk_mul_f32 v[0:1], v[70:71], v[68:69] op_sel:[0,1]
	v_pk_fma_f32 v[2:3], v[70:71], v[66:67], v[0:1] op_sel:[0,0,1] op_sel_hi:[1,1,0] neg_lo:[0,0,1] neg_hi:[0,0,1]
	v_pk_fma_f32 v[0:1], v[70:71], v[66:67], v[0:1] op_sel:[0,0,1] op_sel_hi:[1,0,0]
	s_delay_alu instid0(VALU_DEP_1) | instskip(SKIP_1) | instid1(VALU_DEP_2)
	v_mov_b32_e32 v3, v1
	v_pk_mul_f32 v[0:1], v[72:73], v[68:69] op_sel:[0,1]
	v_pk_add_f32 v[234:235], v[234:235], v[2:3] neg_lo:[0,1] neg_hi:[0,1]
	s_delay_alu instid0(VALU_DEP_2) | instskip(SKIP_3) | instid1(VALU_DEP_1)
	v_pk_fma_f32 v[2:3], v[72:73], v[66:67], v[0:1] op_sel:[0,0,1] op_sel_hi:[1,1,0] neg_lo:[0,0,1] neg_hi:[0,0,1]
	v_pk_fma_f32 v[0:1], v[72:73], v[66:67], v[0:1] op_sel:[0,0,1] op_sel_hi:[1,0,0]
	ds_load_2addr_b64 v[70:73], v6 offset0:55 offset1:56
	v_mov_b32_e32 v3, v1
	v_pk_add_f32 v[236:237], v[236:237], v[2:3] neg_lo:[0,1] neg_hi:[0,1]
	s_wait_dscnt 0x0
	v_pk_mul_f32 v[0:1], v[70:71], v[68:69] op_sel:[0,1]
	s_delay_alu instid0(VALU_DEP_1) | instskip(SKIP_2) | instid1(VALU_DEP_2)
	v_pk_fma_f32 v[2:3], v[70:71], v[66:67], v[0:1] op_sel:[0,0,1] op_sel_hi:[1,1,0] neg_lo:[0,0,1] neg_hi:[0,0,1]
	v_pk_fma_f32 v[0:1], v[70:71], v[66:67], v[0:1] op_sel:[0,0,1] op_sel_hi:[1,0,0]
	v_dual_mov_b32 v0, v73 :: v_dual_mul_f32 v70, v73, v66
	v_dual_mov_b32 v3, v1 :: v_dual_mov_b32 v1, v72
	s_delay_alu instid0(VALU_DEP_1) | instskip(SKIP_1) | instid1(VALU_DEP_3)
	v_pk_add_f32 v[238:239], v[238:239], v[2:3] neg_lo:[0,1] neg_hi:[0,1]
	v_mul_f32_e32 v2, v73, v69
	v_pk_fma_f32 v[0:1], v[0:1], v[192:193], v[70:71] op_sel_hi:[1,1,0]
	s_delay_alu instid0(VALU_DEP_2) | instskip(SKIP_2) | instid1(VALU_DEP_1)
	v_pk_fma_f32 v[2:3], v[72:73], v[192:193], v[2:3] op_sel_hi:[1,1,0] neg_lo:[0,0,1] neg_hi:[0,0,1]
	ds_load_2addr_b64 v[70:73], v6 offset0:57 offset1:58
	v_mov_b32_e32 v3, v1
	v_pk_add_f32 v[248:249], v[248:249], v[2:3] neg_lo:[0,1] neg_hi:[0,1]
	s_wait_dscnt 0x0
	v_pk_mul_f32 v[0:1], v[70:71], v[68:69] op_sel:[0,1]
	s_delay_alu instid0(VALU_DEP_1) | instskip(SKIP_1) | instid1(VALU_DEP_1)
	v_pk_fma_f32 v[2:3], v[70:71], v[66:67], v[0:1] op_sel:[0,0,1] op_sel_hi:[1,1,0] neg_lo:[0,0,1] neg_hi:[0,0,1]
	v_pk_fma_f32 v[0:1], v[70:71], v[66:67], v[0:1] op_sel:[0,0,1] op_sel_hi:[1,0,0]
	v_mov_b32_e32 v3, v1
	v_pk_mul_f32 v[0:1], v[72:73], v[68:69] op_sel:[0,1]
	s_delay_alu instid0(VALU_DEP_2) | instskip(NEXT) | instid1(VALU_DEP_2)
	v_pk_add_f32 v[242:243], v[242:243], v[2:3] neg_lo:[0,1] neg_hi:[0,1]
	v_pk_fma_f32 v[2:3], v[72:73], v[66:67], v[0:1] op_sel:[0,0,1] op_sel_hi:[1,1,0] neg_lo:[0,0,1] neg_hi:[0,0,1]
	v_pk_fma_f32 v[0:1], v[72:73], v[66:67], v[0:1] op_sel:[0,0,1] op_sel_hi:[1,0,0]
	ds_load_2addr_b64 v[70:73], v6 offset0:59 offset1:60
	v_mov_b32_e32 v3, v1
	s_delay_alu instid0(VALU_DEP_1) | instskip(SKIP_2) | instid1(VALU_DEP_1)
	v_pk_add_f32 v[246:247], v[246:247], v[2:3] neg_lo:[0,1] neg_hi:[0,1]
	s_wait_dscnt 0x0
	v_pk_mul_f32 v[0:1], v[70:71], v[68:69] op_sel:[0,1]
	v_pk_fma_f32 v[2:3], v[70:71], v[66:67], v[0:1] op_sel:[0,0,1] op_sel_hi:[1,1,0] neg_lo:[0,0,1] neg_hi:[0,0,1]
	v_pk_fma_f32 v[0:1], v[70:71], v[66:67], v[0:1] op_sel:[0,0,1] op_sel_hi:[1,0,0]
	s_delay_alu instid0(VALU_DEP_1) | instskip(SKIP_1) | instid1(VALU_DEP_2)
	v_mov_b32_e32 v3, v1
	v_pk_mul_f32 v[0:1], v[72:73], v[68:69] op_sel:[0,1]
	v_pk_add_f32 v[240:241], v[240:241], v[2:3] neg_lo:[0,1] neg_hi:[0,1]
	s_delay_alu instid0(VALU_DEP_2) | instskip(SKIP_3) | instid1(VALU_DEP_1)
	v_pk_fma_f32 v[2:3], v[72:73], v[66:67], v[0:1] op_sel:[0,0,1] op_sel_hi:[1,1,0] neg_lo:[0,0,1] neg_hi:[0,0,1]
	v_pk_fma_f32 v[0:1], v[72:73], v[66:67], v[0:1] op_sel:[0,0,1] op_sel_hi:[1,0,0]
	ds_load_2addr_b64 v[70:73], v6 offset0:61 offset1:62
	v_mov_b32_e32 v3, v1
	v_pk_add_f32 v[244:245], v[244:245], v[2:3] neg_lo:[0,1] neg_hi:[0,1]
	s_wait_dscnt 0x0
	v_dual_mul_f32 v2, v71, v66 :: v_dual_mul_f32 v0, v71, v69
	v_mul_f32_e32 v66, v73, v66
	s_delay_alu instid0(VALU_DEP_2) | instskip(NEXT) | instid1(VALU_DEP_3)
	v_pk_fma_f32 v[2:3], v[70:71], v[192:193], v[2:3] op_sel:[1,0,0] op_sel_hi:[0,1,0]
	v_pk_fma_f32 v[0:1], v[70:71], v[192:193], v[0:1] op_sel_hi:[1,1,0] neg_lo:[0,0,1] neg_hi:[0,0,1]
	s_delay_alu instid0(VALU_DEP_2) | instskip(NEXT) | instid1(VALU_DEP_1)
	v_dual_mul_f32 v2, v73, v69 :: v_dual_mov_b32 v1, v3
	v_pk_fma_f32 v[2:3], v[72:73], v[192:193], v[2:3] op_sel_hi:[1,1,0] neg_lo:[0,0,1] neg_hi:[0,0,1]
	s_delay_alu instid0(VALU_DEP_2) | instskip(SKIP_1) | instid1(VALU_DEP_1)
	v_pk_add_f32 v[250:251], v[250:251], v[0:1] neg_lo:[0,1] neg_hi:[0,1]
	v_dual_mov_b32 v0, v73 :: v_dual_mov_b32 v1, v72
	v_pk_fma_f32 v[0:1], v[0:1], v[192:193], v[66:67] op_sel_hi:[1,1,0]
	s_delay_alu instid0(VALU_DEP_1) | instskip(NEXT) | instid1(VALU_DEP_1)
	v_mov_b32_e32 v3, v1
	v_pk_add_f32 v[252:253], v[252:253], v[2:3] neg_lo:[0,1] neg_hi:[0,1]
.LBB125_298:
	s_or_b32 exec_lo, exec_lo, s1
	s_delay_alu instid0(SALU_CYCLE_1)
	s_mov_b32 s2, exec_lo
	s_wait_dscnt 0x0
	s_barrier_signal -1
	s_barrier_wait -1
	v_cmpx_eq_u32_e32 33, v254
	s_cbranch_execz .LBB125_305
; %bb.299:
	v_dual_mov_b32 v0, v196 :: v_dual_mov_b32 v1, v197
	v_dual_mov_b32 v2, v198 :: v_dual_mov_b32 v3, v199
	ds_store_b64 v255, v[194:195]
	ds_store_2addr_b64 v6, v[0:1], v[2:3] offset0:34 offset1:35
	v_dual_mov_b32 v0, v200 :: v_dual_mov_b32 v1, v201
	v_dual_mov_b32 v2, v202 :: v_dual_mov_b32 v3, v203
	ds_store_2addr_b64 v6, v[0:1], v[2:3] offset0:36 offset1:37
	v_dual_mov_b32 v0, v204 :: v_dual_mov_b32 v1, v205
	v_dual_mov_b32 v2, v206 :: v_dual_mov_b32 v3, v207
	;; [unrolled: 3-line block ×13, first 2 shown]
	ds_store_2addr_b64 v6, v[0:1], v[2:3] offset0:60 offset1:61
	ds_store_b64 v6, v[252:253] offset:496
	ds_load_b64 v[66:67], v255
	s_wait_dscnt 0x0
	v_cmp_neq_f32_e32 vcc_lo, 0, v66
	v_cmp_neq_f32_e64 s1, 0, v67
	s_or_b32 s1, vcc_lo, s1
	s_delay_alu instid0(SALU_CYCLE_1)
	s_and_b32 exec_lo, exec_lo, s1
	s_cbranch_execz .LBB125_305
; %bb.300:
	v_cmp_ngt_f32_e64 s1, |v66|, |v67|
                                        ; implicit-def: $vgpr68_vgpr69
	s_and_saveexec_b32 s4, s1
	s_delay_alu instid0(SALU_CYCLE_1)
	s_xor_b32 s1, exec_lo, s4
	s_cbranch_execz .LBB125_302
; %bb.301:
	v_div_scale_f32 v0, null, v67, v67, v66
	v_div_scale_f32 v3, vcc_lo, v66, v67, v66
	s_delay_alu instid0(VALU_DEP_2) | instskip(SKIP_1) | instid1(TRANS32_DEP_1)
	v_rcp_f32_e32 v1, v0
	v_nop
	v_fma_f32 v2, -v0, v1, 1.0
	s_delay_alu instid0(VALU_DEP_1) | instskip(NEXT) | instid1(VALU_DEP_1)
	v_fmac_f32_e32 v1, v2, v1
	v_mul_f32_e32 v2, v3, v1
	s_delay_alu instid0(VALU_DEP_1) | instskip(NEXT) | instid1(VALU_DEP_1)
	v_fma_f32 v4, -v0, v2, v3
	v_fmac_f32_e32 v2, v4, v1
	s_delay_alu instid0(VALU_DEP_1) | instskip(NEXT) | instid1(VALU_DEP_1)
	v_fma_f32 v0, -v0, v2, v3
	v_div_fmas_f32 v0, v0, v1, v2
	s_delay_alu instid0(VALU_DEP_1) | instskip(NEXT) | instid1(VALU_DEP_1)
	v_div_fixup_f32 v0, v0, v67, v66
	v_fmac_f32_e32 v67, v66, v0
	s_delay_alu instid0(VALU_DEP_1) | instskip(SKIP_1) | instid1(VALU_DEP_2)
	v_div_scale_f32 v1, null, v67, v67, 1.0
	v_div_scale_f32 v4, vcc_lo, 1.0, v67, 1.0
	v_rcp_f32_e32 v2, v1
	v_nop
	s_delay_alu instid0(TRANS32_DEP_1) | instskip(NEXT) | instid1(VALU_DEP_1)
	v_fma_f32 v3, -v1, v2, 1.0
	v_fmac_f32_e32 v2, v3, v2
	s_delay_alu instid0(VALU_DEP_1) | instskip(NEXT) | instid1(VALU_DEP_1)
	v_mul_f32_e32 v3, v4, v2
	v_fma_f32 v5, -v1, v3, v4
	s_delay_alu instid0(VALU_DEP_1) | instskip(NEXT) | instid1(VALU_DEP_1)
	v_fmac_f32_e32 v3, v5, v2
	v_fma_f32 v1, -v1, v3, v4
	s_delay_alu instid0(VALU_DEP_1) | instskip(NEXT) | instid1(VALU_DEP_1)
	v_div_fmas_f32 v1, v1, v2, v3
	v_div_fixup_f32 v1, v1, v67, 1.0
                                        ; implicit-def: $vgpr66_vgpr67
	s_delay_alu instid0(VALU_DEP_1)
	v_mul_f32_e32 v68, v0, v1
	v_xor_b32_e32 v69, 0x80000000, v1
.LBB125_302:
	s_and_not1_saveexec_b32 s1, s1
	s_cbranch_execz .LBB125_304
; %bb.303:
	v_div_scale_f32 v0, null, v66, v66, v67
	v_div_scale_f32 v3, vcc_lo, v67, v66, v67
	s_delay_alu instid0(VALU_DEP_2) | instskip(SKIP_1) | instid1(TRANS32_DEP_1)
	v_rcp_f32_e32 v1, v0
	v_nop
	v_fma_f32 v2, -v0, v1, 1.0
	s_delay_alu instid0(VALU_DEP_1) | instskip(NEXT) | instid1(VALU_DEP_1)
	v_fmac_f32_e32 v1, v2, v1
	v_mul_f32_e32 v2, v3, v1
	s_delay_alu instid0(VALU_DEP_1) | instskip(NEXT) | instid1(VALU_DEP_1)
	v_fma_f32 v4, -v0, v2, v3
	v_fmac_f32_e32 v2, v4, v1
	s_delay_alu instid0(VALU_DEP_1) | instskip(NEXT) | instid1(VALU_DEP_1)
	v_fma_f32 v0, -v0, v2, v3
	v_div_fmas_f32 v0, v0, v1, v2
	s_delay_alu instid0(VALU_DEP_1) | instskip(NEXT) | instid1(VALU_DEP_1)
	v_div_fixup_f32 v0, v0, v66, v67
	v_fmac_f32_e32 v66, v67, v0
	s_delay_alu instid0(VALU_DEP_1) | instskip(NEXT) | instid1(VALU_DEP_1)
	v_div_scale_f32 v1, null, v66, v66, 1.0
	v_rcp_f32_e32 v2, v1
	v_nop
	s_delay_alu instid0(TRANS32_DEP_1) | instskip(NEXT) | instid1(VALU_DEP_1)
	v_fma_f32 v3, -v1, v2, 1.0
	v_fmac_f32_e32 v2, v3, v2
	v_div_scale_f32 v3, vcc_lo, 1.0, v66, 1.0
	s_delay_alu instid0(VALU_DEP_1) | instskip(NEXT) | instid1(VALU_DEP_1)
	v_mul_f32_e32 v4, v3, v2
	v_fma_f32 v5, -v1, v4, v3
	s_delay_alu instid0(VALU_DEP_1) | instskip(NEXT) | instid1(VALU_DEP_1)
	v_fmac_f32_e32 v4, v5, v2
	v_fma_f32 v1, -v1, v4, v3
	s_delay_alu instid0(VALU_DEP_1) | instskip(NEXT) | instid1(VALU_DEP_1)
	v_div_fmas_f32 v1, v1, v2, v4
	v_div_fixup_f32 v68, v1, v66, 1.0
	s_delay_alu instid0(VALU_DEP_1)
	v_mul_f32_e64 v69, v0, -v68
.LBB125_304:
	s_or_b32 exec_lo, exec_lo, s1
	ds_store_b64 v255, v[68:69]
.LBB125_305:
	s_or_b32 exec_lo, exec_lo, s2
	s_wait_dscnt 0x0
	s_barrier_signal -1
	s_barrier_wait -1
	ds_load_b64 v[66:67], v255
	s_mov_b32 s1, exec_lo
	v_cmpx_lt_u32_e32 33, v254
	s_cbranch_execz .LBB125_307
; %bb.306:
	ds_load_2addr_b64 v[72:75], v6 offset0:34 offset1:35
	s_wait_dscnt 0x1
	v_pk_mul_f32 v[0:1], v[66:67], v[194:195] op_sel:[1,1] op_sel_hi:[0,1]
	s_delay_alu instid0(VALU_DEP_1) | instskip(SKIP_1) | instid1(VALU_DEP_1)
	v_pk_fma_f32 v[70:71], v[66:67], v[194:195], v[0:1] op_sel_hi:[1,0,1]
	v_pk_fma_f32 v[68:69], v[66:67], v[194:195], v[0:1] op_sel_hi:[1,0,1] neg_lo:[0,0,1] neg_hi:[0,0,1]
	v_dual_mov_b32 v195, v71 :: v_dual_mov_b32 v194, v68
	s_wait_dscnt 0x0
	s_delay_alu instid0(VALU_DEP_3) | instskip(NEXT) | instid1(VALU_DEP_1)
	v_pk_mul_f32 v[0:1], v[72:73], v[70:71] op_sel:[0,1]
	v_pk_fma_f32 v[2:3], v[72:73], v[68:69], v[0:1] op_sel:[0,0,1] op_sel_hi:[1,1,0] neg_lo:[0,0,1] neg_hi:[0,0,1]
	v_pk_fma_f32 v[0:1], v[72:73], v[68:69], v[0:1] op_sel:[0,0,1] op_sel_hi:[1,0,0]
	s_delay_alu instid0(VALU_DEP_1) | instskip(SKIP_1) | instid1(VALU_DEP_2)
	v_mov_b32_e32 v3, v1
	v_pk_mul_f32 v[0:1], v[74:75], v[70:71] op_sel:[0,1]
	v_pk_add_f32 v[196:197], v[196:197], v[2:3] neg_lo:[0,1] neg_hi:[0,1]
	s_delay_alu instid0(VALU_DEP_2) | instskip(SKIP_3) | instid1(VALU_DEP_1)
	v_pk_fma_f32 v[2:3], v[74:75], v[68:69], v[0:1] op_sel:[0,0,1] op_sel_hi:[1,1,0] neg_lo:[0,0,1] neg_hi:[0,0,1]
	v_pk_fma_f32 v[0:1], v[74:75], v[68:69], v[0:1] op_sel:[0,0,1] op_sel_hi:[1,0,0]
	ds_load_2addr_b64 v[72:75], v6 offset0:36 offset1:37
	v_mov_b32_e32 v3, v1
	v_pk_add_f32 v[198:199], v[198:199], v[2:3] neg_lo:[0,1] neg_hi:[0,1]
	s_wait_dscnt 0x0
	v_pk_mul_f32 v[0:1], v[72:73], v[70:71] op_sel:[0,1]
	s_delay_alu instid0(VALU_DEP_1) | instskip(SKIP_2) | instid1(VALU_DEP_2)
	v_pk_fma_f32 v[2:3], v[72:73], v[68:69], v[0:1] op_sel:[0,0,1] op_sel_hi:[1,1,0] neg_lo:[0,0,1] neg_hi:[0,0,1]
	v_pk_fma_f32 v[0:1], v[72:73], v[68:69], v[0:1] op_sel:[0,0,1] op_sel_hi:[1,0,0]
	v_dual_mov_b32 v0, v75 :: v_dual_mul_f32 v72, v75, v68
	v_dual_mov_b32 v3, v1 :: v_dual_mov_b32 v1, v74
	s_delay_alu instid0(VALU_DEP_1) | instskip(SKIP_1) | instid1(VALU_DEP_3)
	v_pk_add_f32 v[200:201], v[200:201], v[2:3] neg_lo:[0,1] neg_hi:[0,1]
	v_mul_f32_e32 v2, v75, v71
	v_pk_fma_f32 v[0:1], v[0:1], v[194:195], v[72:73] op_sel_hi:[1,1,0]
	s_delay_alu instid0(VALU_DEP_2) | instskip(SKIP_2) | instid1(VALU_DEP_1)
	v_pk_fma_f32 v[2:3], v[74:75], v[194:195], v[2:3] op_sel_hi:[1,1,0] neg_lo:[0,0,1] neg_hi:[0,0,1]
	ds_load_2addr_b64 v[72:75], v6 offset0:38 offset1:39
	v_mov_b32_e32 v3, v1
	v_pk_add_f32 v[202:203], v[202:203], v[2:3] neg_lo:[0,1] neg_hi:[0,1]
	s_wait_dscnt 0x0
	v_pk_mul_f32 v[0:1], v[72:73], v[70:71] op_sel:[0,1]
	s_delay_alu instid0(VALU_DEP_1) | instskip(SKIP_1) | instid1(VALU_DEP_1)
	v_pk_fma_f32 v[2:3], v[72:73], v[68:69], v[0:1] op_sel:[0,0,1] op_sel_hi:[1,1,0] neg_lo:[0,0,1] neg_hi:[0,0,1]
	v_pk_fma_f32 v[0:1], v[72:73], v[68:69], v[0:1] op_sel:[0,0,1] op_sel_hi:[1,0,0]
	v_mov_b32_e32 v3, v1
	v_pk_mul_f32 v[0:1], v[74:75], v[70:71] op_sel:[0,1]
	s_delay_alu instid0(VALU_DEP_2) | instskip(NEXT) | instid1(VALU_DEP_2)
	v_pk_add_f32 v[204:205], v[204:205], v[2:3] neg_lo:[0,1] neg_hi:[0,1]
	v_pk_fma_f32 v[2:3], v[74:75], v[68:69], v[0:1] op_sel:[0,0,1] op_sel_hi:[1,1,0] neg_lo:[0,0,1] neg_hi:[0,0,1]
	v_pk_fma_f32 v[0:1], v[74:75], v[68:69], v[0:1] op_sel:[0,0,1] op_sel_hi:[1,0,0]
	ds_load_2addr_b64 v[72:75], v6 offset0:40 offset1:41
	v_mov_b32_e32 v3, v1
	s_delay_alu instid0(VALU_DEP_1) | instskip(SKIP_2) | instid1(VALU_DEP_1)
	v_pk_add_f32 v[206:207], v[206:207], v[2:3] neg_lo:[0,1] neg_hi:[0,1]
	s_wait_dscnt 0x0
	v_pk_mul_f32 v[0:1], v[72:73], v[70:71] op_sel:[0,1]
	v_pk_fma_f32 v[2:3], v[72:73], v[68:69], v[0:1] op_sel:[0,0,1] op_sel_hi:[1,1,0] neg_lo:[0,0,1] neg_hi:[0,0,1]
	v_pk_fma_f32 v[0:1], v[72:73], v[68:69], v[0:1] op_sel:[0,0,1] op_sel_hi:[1,0,0]
	s_delay_alu instid0(VALU_DEP_1) | instskip(SKIP_1) | instid1(VALU_DEP_2)
	v_mov_b32_e32 v3, v1
	v_pk_mul_f32 v[0:1], v[74:75], v[70:71] op_sel:[0,1]
	v_pk_add_f32 v[208:209], v[208:209], v[2:3] neg_lo:[0,1] neg_hi:[0,1]
	s_delay_alu instid0(VALU_DEP_2) | instskip(SKIP_3) | instid1(VALU_DEP_1)
	v_pk_fma_f32 v[2:3], v[74:75], v[68:69], v[0:1] op_sel:[0,0,1] op_sel_hi:[1,1,0] neg_lo:[0,0,1] neg_hi:[0,0,1]
	v_pk_fma_f32 v[0:1], v[74:75], v[68:69], v[0:1] op_sel:[0,0,1] op_sel_hi:[1,0,0]
	ds_load_2addr_b64 v[72:75], v6 offset0:42 offset1:43
	v_mov_b32_e32 v3, v1
	v_pk_add_f32 v[210:211], v[210:211], v[2:3] neg_lo:[0,1] neg_hi:[0,1]
	s_wait_dscnt 0x0
	v_dual_mul_f32 v0, v73, v71 :: v_dual_mul_f32 v2, v73, v68
	s_delay_alu instid0(VALU_DEP_1) | instskip(NEXT) | instid1(VALU_DEP_2)
	v_pk_fma_f32 v[0:1], v[72:73], v[194:195], v[0:1] op_sel_hi:[1,1,0] neg_lo:[0,0,1] neg_hi:[0,0,1]
	v_pk_fma_f32 v[2:3], v[72:73], v[194:195], v[2:3] op_sel:[1,0,0] op_sel_hi:[0,1,0]
	s_delay_alu instid0(VALU_DEP_1) | instskip(NEXT) | instid1(VALU_DEP_1)
	v_mov_b32_e32 v1, v3
	v_pk_add_f32 v[212:213], v[212:213], v[0:1] neg_lo:[0,1] neg_hi:[0,1]
	v_pk_mul_f32 v[0:1], v[74:75], v[70:71] op_sel:[0,1]
	s_delay_alu instid0(VALU_DEP_1) | instskip(SKIP_3) | instid1(VALU_DEP_1)
	v_pk_fma_f32 v[2:3], v[74:75], v[68:69], v[0:1] op_sel:[0,0,1] op_sel_hi:[1,1,0] neg_lo:[0,0,1] neg_hi:[0,0,1]
	v_pk_fma_f32 v[0:1], v[74:75], v[68:69], v[0:1] op_sel:[0,0,1] op_sel_hi:[1,0,0]
	ds_load_2addr_b64 v[72:75], v6 offset0:44 offset1:45
	v_mov_b32_e32 v3, v1
	v_pk_add_f32 v[214:215], v[214:215], v[2:3] neg_lo:[0,1] neg_hi:[0,1]
	s_wait_dscnt 0x0
	v_pk_mul_f32 v[0:1], v[72:73], v[70:71] op_sel:[0,1]
	s_delay_alu instid0(VALU_DEP_1) | instskip(SKIP_1) | instid1(VALU_DEP_1)
	v_pk_fma_f32 v[2:3], v[72:73], v[68:69], v[0:1] op_sel:[0,0,1] op_sel_hi:[1,1,0] neg_lo:[0,0,1] neg_hi:[0,0,1]
	v_pk_fma_f32 v[0:1], v[72:73], v[68:69], v[0:1] op_sel:[0,0,1] op_sel_hi:[1,0,0]
	v_mov_b32_e32 v3, v1
	v_pk_mul_f32 v[0:1], v[74:75], v[70:71] op_sel:[0,1]
	s_delay_alu instid0(VALU_DEP_2) | instskip(NEXT) | instid1(VALU_DEP_2)
	v_pk_add_f32 v[216:217], v[216:217], v[2:3] neg_lo:[0,1] neg_hi:[0,1]
	v_pk_fma_f32 v[2:3], v[74:75], v[68:69], v[0:1] op_sel:[0,0,1] op_sel_hi:[1,1,0] neg_lo:[0,0,1] neg_hi:[0,0,1]
	v_pk_fma_f32 v[0:1], v[74:75], v[68:69], v[0:1] op_sel:[0,0,1] op_sel_hi:[1,0,0]
	ds_load_2addr_b64 v[72:75], v6 offset0:46 offset1:47
	v_mov_b32_e32 v3, v1
	s_delay_alu instid0(VALU_DEP_1) | instskip(SKIP_2) | instid1(VALU_DEP_1)
	v_pk_add_f32 v[218:219], v[218:219], v[2:3] neg_lo:[0,1] neg_hi:[0,1]
	s_wait_dscnt 0x0
	v_pk_mul_f32 v[0:1], v[72:73], v[70:71] op_sel:[0,1]
	v_pk_fma_f32 v[2:3], v[72:73], v[68:69], v[0:1] op_sel:[0,0,1] op_sel_hi:[1,1,0] neg_lo:[0,0,1] neg_hi:[0,0,1]
	v_pk_fma_f32 v[0:1], v[72:73], v[68:69], v[0:1] op_sel:[0,0,1] op_sel_hi:[1,0,0]
	v_dual_mov_b32 v0, v75 :: v_dual_mul_f32 v72, v75, v68
	s_delay_alu instid0(VALU_DEP_2) | instskip(NEXT) | instid1(VALU_DEP_1)
	v_dual_mov_b32 v3, v1 :: v_dual_mov_b32 v1, v74
	v_pk_add_f32 v[220:221], v[220:221], v[2:3] neg_lo:[0,1] neg_hi:[0,1]
	v_mul_f32_e32 v2, v75, v71
	s_delay_alu instid0(VALU_DEP_3) | instskip(NEXT) | instid1(VALU_DEP_2)
	v_pk_fma_f32 v[0:1], v[0:1], v[194:195], v[72:73] op_sel_hi:[1,1,0]
	v_pk_fma_f32 v[2:3], v[74:75], v[194:195], v[2:3] op_sel_hi:[1,1,0] neg_lo:[0,0,1] neg_hi:[0,0,1]
	ds_load_2addr_b64 v[72:75], v6 offset0:48 offset1:49
	v_mov_b32_e32 v3, v1
	s_delay_alu instid0(VALU_DEP_1) | instskip(SKIP_2) | instid1(VALU_DEP_1)
	v_pk_add_f32 v[222:223], v[222:223], v[2:3] neg_lo:[0,1] neg_hi:[0,1]
	s_wait_dscnt 0x0
	v_pk_mul_f32 v[0:1], v[72:73], v[70:71] op_sel:[0,1]
	v_pk_fma_f32 v[2:3], v[72:73], v[68:69], v[0:1] op_sel:[0,0,1] op_sel_hi:[1,1,0] neg_lo:[0,0,1] neg_hi:[0,0,1]
	v_pk_fma_f32 v[0:1], v[72:73], v[68:69], v[0:1] op_sel:[0,0,1] op_sel_hi:[1,0,0]
	s_delay_alu instid0(VALU_DEP_1) | instskip(SKIP_1) | instid1(VALU_DEP_2)
	v_mov_b32_e32 v3, v1
	v_pk_mul_f32 v[0:1], v[74:75], v[70:71] op_sel:[0,1]
	v_pk_add_f32 v[224:225], v[224:225], v[2:3] neg_lo:[0,1] neg_hi:[0,1]
	s_delay_alu instid0(VALU_DEP_2) | instskip(SKIP_3) | instid1(VALU_DEP_1)
	v_pk_fma_f32 v[2:3], v[74:75], v[68:69], v[0:1] op_sel:[0,0,1] op_sel_hi:[1,1,0] neg_lo:[0,0,1] neg_hi:[0,0,1]
	v_pk_fma_f32 v[0:1], v[74:75], v[68:69], v[0:1] op_sel:[0,0,1] op_sel_hi:[1,0,0]
	ds_load_2addr_b64 v[72:75], v6 offset0:50 offset1:51
	v_mov_b32_e32 v3, v1
	v_pk_add_f32 v[226:227], v[226:227], v[2:3] neg_lo:[0,1] neg_hi:[0,1]
	s_wait_dscnt 0x0
	v_pk_mul_f32 v[0:1], v[72:73], v[70:71] op_sel:[0,1]
	s_delay_alu instid0(VALU_DEP_1) | instskip(SKIP_1) | instid1(VALU_DEP_1)
	v_pk_fma_f32 v[2:3], v[72:73], v[68:69], v[0:1] op_sel:[0,0,1] op_sel_hi:[1,1,0] neg_lo:[0,0,1] neg_hi:[0,0,1]
	v_pk_fma_f32 v[0:1], v[72:73], v[68:69], v[0:1] op_sel:[0,0,1] op_sel_hi:[1,0,0]
	v_mov_b32_e32 v3, v1
	v_pk_mul_f32 v[0:1], v[74:75], v[70:71] op_sel:[0,1]
	s_delay_alu instid0(VALU_DEP_2) | instskip(NEXT) | instid1(VALU_DEP_2)
	v_pk_add_f32 v[228:229], v[228:229], v[2:3] neg_lo:[0,1] neg_hi:[0,1]
	v_pk_fma_f32 v[2:3], v[74:75], v[68:69], v[0:1] op_sel:[0,0,1] op_sel_hi:[1,1,0] neg_lo:[0,0,1] neg_hi:[0,0,1]
	v_pk_fma_f32 v[0:1], v[74:75], v[68:69], v[0:1] op_sel:[0,0,1] op_sel_hi:[1,0,0]
	ds_load_2addr_b64 v[72:75], v6 offset0:52 offset1:53
	v_mov_b32_e32 v3, v1
	s_delay_alu instid0(VALU_DEP_1) | instskip(SKIP_2) | instid1(VALU_DEP_1)
	v_pk_add_f32 v[230:231], v[230:231], v[2:3] neg_lo:[0,1] neg_hi:[0,1]
	s_wait_dscnt 0x0
	v_dual_mul_f32 v2, v73, v68 :: v_dual_mul_f32 v0, v73, v71
	v_pk_fma_f32 v[2:3], v[72:73], v[194:195], v[2:3] op_sel:[1,0,0] op_sel_hi:[0,1,0]
	s_delay_alu instid0(VALU_DEP_2) | instskip(NEXT) | instid1(VALU_DEP_2)
	v_pk_fma_f32 v[0:1], v[72:73], v[194:195], v[0:1] op_sel_hi:[1,1,0] neg_lo:[0,0,1] neg_hi:[0,0,1]
	v_mov_b32_e32 v1, v3
	s_delay_alu instid0(VALU_DEP_1) | instskip(SKIP_1) | instid1(VALU_DEP_1)
	v_pk_add_f32 v[232:233], v[232:233], v[0:1] neg_lo:[0,1] neg_hi:[0,1]
	v_pk_mul_f32 v[0:1], v[74:75], v[70:71] op_sel:[0,1]
	v_pk_fma_f32 v[2:3], v[74:75], v[68:69], v[0:1] op_sel:[0,0,1] op_sel_hi:[1,1,0] neg_lo:[0,0,1] neg_hi:[0,0,1]
	v_pk_fma_f32 v[0:1], v[74:75], v[68:69], v[0:1] op_sel:[0,0,1] op_sel_hi:[1,0,0]
	ds_load_2addr_b64 v[72:75], v6 offset0:54 offset1:55
	v_mov_b32_e32 v3, v1
	s_delay_alu instid0(VALU_DEP_1) | instskip(SKIP_2) | instid1(VALU_DEP_1)
	v_pk_add_f32 v[234:235], v[234:235], v[2:3] neg_lo:[0,1] neg_hi:[0,1]
	s_wait_dscnt 0x0
	v_pk_mul_f32 v[0:1], v[72:73], v[70:71] op_sel:[0,1]
	v_pk_fma_f32 v[2:3], v[72:73], v[68:69], v[0:1] op_sel:[0,0,1] op_sel_hi:[1,1,0] neg_lo:[0,0,1] neg_hi:[0,0,1]
	v_pk_fma_f32 v[0:1], v[72:73], v[68:69], v[0:1] op_sel:[0,0,1] op_sel_hi:[1,0,0]
	s_delay_alu instid0(VALU_DEP_1) | instskip(SKIP_1) | instid1(VALU_DEP_2)
	v_mov_b32_e32 v3, v1
	v_pk_mul_f32 v[0:1], v[74:75], v[70:71] op_sel:[0,1]
	v_pk_add_f32 v[236:237], v[236:237], v[2:3] neg_lo:[0,1] neg_hi:[0,1]
	s_delay_alu instid0(VALU_DEP_2) | instskip(SKIP_3) | instid1(VALU_DEP_1)
	v_pk_fma_f32 v[2:3], v[74:75], v[68:69], v[0:1] op_sel:[0,0,1] op_sel_hi:[1,1,0] neg_lo:[0,0,1] neg_hi:[0,0,1]
	v_pk_fma_f32 v[0:1], v[74:75], v[68:69], v[0:1] op_sel:[0,0,1] op_sel_hi:[1,0,0]
	ds_load_2addr_b64 v[72:75], v6 offset0:56 offset1:57
	v_mov_b32_e32 v3, v1
	v_pk_add_f32 v[238:239], v[238:239], v[2:3] neg_lo:[0,1] neg_hi:[0,1]
	s_wait_dscnt 0x0
	v_pk_mul_f32 v[0:1], v[72:73], v[70:71] op_sel:[0,1]
	s_delay_alu instid0(VALU_DEP_1) | instskip(SKIP_2) | instid1(VALU_DEP_2)
	v_pk_fma_f32 v[2:3], v[72:73], v[68:69], v[0:1] op_sel:[0,0,1] op_sel_hi:[1,1,0] neg_lo:[0,0,1] neg_hi:[0,0,1]
	v_pk_fma_f32 v[0:1], v[72:73], v[68:69], v[0:1] op_sel:[0,0,1] op_sel_hi:[1,0,0]
	v_dual_mov_b32 v0, v75 :: v_dual_mul_f32 v72, v75, v68
	v_dual_mov_b32 v3, v1 :: v_dual_mov_b32 v1, v74
	s_delay_alu instid0(VALU_DEP_1) | instskip(SKIP_1) | instid1(VALU_DEP_3)
	v_pk_add_f32 v[248:249], v[248:249], v[2:3] neg_lo:[0,1] neg_hi:[0,1]
	v_mul_f32_e32 v2, v75, v71
	v_pk_fma_f32 v[0:1], v[0:1], v[194:195], v[72:73] op_sel_hi:[1,1,0]
	s_delay_alu instid0(VALU_DEP_2) | instskip(SKIP_2) | instid1(VALU_DEP_1)
	v_pk_fma_f32 v[2:3], v[74:75], v[194:195], v[2:3] op_sel_hi:[1,1,0] neg_lo:[0,0,1] neg_hi:[0,0,1]
	ds_load_2addr_b64 v[72:75], v6 offset0:58 offset1:59
	v_mov_b32_e32 v3, v1
	v_pk_add_f32 v[242:243], v[242:243], v[2:3] neg_lo:[0,1] neg_hi:[0,1]
	s_wait_dscnt 0x0
	v_pk_mul_f32 v[0:1], v[72:73], v[70:71] op_sel:[0,1]
	s_delay_alu instid0(VALU_DEP_1) | instskip(SKIP_1) | instid1(VALU_DEP_1)
	v_pk_fma_f32 v[2:3], v[72:73], v[68:69], v[0:1] op_sel:[0,0,1] op_sel_hi:[1,1,0] neg_lo:[0,0,1] neg_hi:[0,0,1]
	v_pk_fma_f32 v[0:1], v[72:73], v[68:69], v[0:1] op_sel:[0,0,1] op_sel_hi:[1,0,0]
	v_mov_b32_e32 v3, v1
	v_pk_mul_f32 v[0:1], v[74:75], v[70:71] op_sel:[0,1]
	s_delay_alu instid0(VALU_DEP_2) | instskip(NEXT) | instid1(VALU_DEP_2)
	v_pk_add_f32 v[246:247], v[246:247], v[2:3] neg_lo:[0,1] neg_hi:[0,1]
	v_pk_fma_f32 v[2:3], v[74:75], v[68:69], v[0:1] op_sel:[0,0,1] op_sel_hi:[1,1,0] neg_lo:[0,0,1] neg_hi:[0,0,1]
	v_pk_fma_f32 v[0:1], v[74:75], v[68:69], v[0:1] op_sel:[0,0,1] op_sel_hi:[1,0,0]
	ds_load_2addr_b64 v[72:75], v6 offset0:60 offset1:61
	v_mov_b32_e32 v3, v1
	s_delay_alu instid0(VALU_DEP_1) | instskip(SKIP_2) | instid1(VALU_DEP_1)
	v_pk_add_f32 v[240:241], v[240:241], v[2:3] neg_lo:[0,1] neg_hi:[0,1]
	s_wait_dscnt 0x0
	v_pk_mul_f32 v[0:1], v[72:73], v[70:71] op_sel:[0,1]
	v_pk_fma_f32 v[2:3], v[72:73], v[68:69], v[0:1] op_sel:[0,0,1] op_sel_hi:[1,1,0] neg_lo:[0,0,1] neg_hi:[0,0,1]
	v_pk_fma_f32 v[0:1], v[72:73], v[68:69], v[0:1] op_sel:[0,0,1] op_sel_hi:[1,0,0]
	s_delay_alu instid0(VALU_DEP_1) | instskip(SKIP_1) | instid1(VALU_DEP_2)
	v_mov_b32_e32 v3, v1
	v_pk_mul_f32 v[0:1], v[74:75], v[70:71] op_sel:[0,1]
	v_pk_add_f32 v[244:245], v[244:245], v[2:3] neg_lo:[0,1] neg_hi:[0,1]
	s_delay_alu instid0(VALU_DEP_2) | instskip(SKIP_1) | instid1(VALU_DEP_1)
	v_pk_fma_f32 v[2:3], v[74:75], v[68:69], v[0:1] op_sel:[0,0,1] op_sel_hi:[1,1,0] neg_lo:[0,0,1] neg_hi:[0,0,1]
	v_pk_fma_f32 v[0:1], v[74:75], v[68:69], v[0:1] op_sel:[0,0,1] op_sel_hi:[1,0,0]
	v_mov_b32_e32 v3, v1
	ds_load_b64 v[0:1], v6 offset:496
	v_pk_add_f32 v[250:251], v[250:251], v[2:3] neg_lo:[0,1] neg_hi:[0,1]
	s_wait_dscnt 0x0
	v_pk_mul_f32 v[2:3], v[0:1], v[70:71] op_sel:[0,1]
	s_delay_alu instid0(VALU_DEP_1) | instskip(SKIP_1) | instid1(VALU_DEP_1)
	v_pk_fma_f32 v[70:71], v[0:1], v[68:69], v[2:3] op_sel:[0,0,1] op_sel_hi:[1,1,0] neg_lo:[0,0,1] neg_hi:[0,0,1]
	v_pk_fma_f32 v[0:1], v[0:1], v[68:69], v[2:3] op_sel:[0,0,1] op_sel_hi:[1,0,0]
	v_mov_b32_e32 v71, v1
	s_delay_alu instid0(VALU_DEP_1)
	v_pk_add_f32 v[252:253], v[252:253], v[70:71] neg_lo:[0,1] neg_hi:[0,1]
.LBB125_307:
	s_or_b32 exec_lo, exec_lo, s1
	s_delay_alu instid0(SALU_CYCLE_1)
	s_mov_b32 s2, exec_lo
	s_wait_dscnt 0x0
	s_barrier_signal -1
	s_barrier_wait -1
	v_cmpx_eq_u32_e32 34, v254
	s_cbranch_execz .LBB125_314
; %bb.308:
	ds_store_b64 v255, v[196:197]
	ds_store_2addr_b64 v6, v[198:199], v[200:201] offset0:35 offset1:36
	ds_store_2addr_b64 v6, v[202:203], v[204:205] offset0:37 offset1:38
	;; [unrolled: 1-line block ×14, first 2 shown]
	ds_load_b64 v[68:69], v255
	s_wait_dscnt 0x0
	v_cmp_neq_f32_e32 vcc_lo, 0, v68
	v_cmp_neq_f32_e64 s1, 0, v69
	s_or_b32 s1, vcc_lo, s1
	s_delay_alu instid0(SALU_CYCLE_1)
	s_and_b32 exec_lo, exec_lo, s1
	s_cbranch_execz .LBB125_314
; %bb.309:
	v_cmp_ngt_f32_e64 s1, |v68|, |v69|
                                        ; implicit-def: $vgpr70_vgpr71
	s_and_saveexec_b32 s4, s1
	s_delay_alu instid0(SALU_CYCLE_1)
	s_xor_b32 s1, exec_lo, s4
	s_cbranch_execz .LBB125_311
; %bb.310:
	v_div_scale_f32 v0, null, v69, v69, v68
	v_div_scale_f32 v3, vcc_lo, v68, v69, v68
	s_delay_alu instid0(VALU_DEP_2) | instskip(SKIP_1) | instid1(TRANS32_DEP_1)
	v_rcp_f32_e32 v1, v0
	v_nop
	v_fma_f32 v2, -v0, v1, 1.0
	s_delay_alu instid0(VALU_DEP_1) | instskip(NEXT) | instid1(VALU_DEP_1)
	v_fmac_f32_e32 v1, v2, v1
	v_mul_f32_e32 v2, v3, v1
	s_delay_alu instid0(VALU_DEP_1) | instskip(NEXT) | instid1(VALU_DEP_1)
	v_fma_f32 v4, -v0, v2, v3
	v_fmac_f32_e32 v2, v4, v1
	s_delay_alu instid0(VALU_DEP_1) | instskip(NEXT) | instid1(VALU_DEP_1)
	v_fma_f32 v0, -v0, v2, v3
	v_div_fmas_f32 v0, v0, v1, v2
	s_delay_alu instid0(VALU_DEP_1) | instskip(NEXT) | instid1(VALU_DEP_1)
	v_div_fixup_f32 v0, v0, v69, v68
	v_fmac_f32_e32 v69, v68, v0
	s_delay_alu instid0(VALU_DEP_1) | instskip(SKIP_1) | instid1(VALU_DEP_2)
	v_div_scale_f32 v1, null, v69, v69, 1.0
	v_div_scale_f32 v4, vcc_lo, 1.0, v69, 1.0
	v_rcp_f32_e32 v2, v1
	v_nop
	s_delay_alu instid0(TRANS32_DEP_1) | instskip(NEXT) | instid1(VALU_DEP_1)
	v_fma_f32 v3, -v1, v2, 1.0
	v_fmac_f32_e32 v2, v3, v2
	s_delay_alu instid0(VALU_DEP_1) | instskip(NEXT) | instid1(VALU_DEP_1)
	v_mul_f32_e32 v3, v4, v2
	v_fma_f32 v5, -v1, v3, v4
	s_delay_alu instid0(VALU_DEP_1) | instskip(NEXT) | instid1(VALU_DEP_1)
	v_fmac_f32_e32 v3, v5, v2
	v_fma_f32 v1, -v1, v3, v4
	s_delay_alu instid0(VALU_DEP_1) | instskip(NEXT) | instid1(VALU_DEP_1)
	v_div_fmas_f32 v1, v1, v2, v3
	v_div_fixup_f32 v1, v1, v69, 1.0
                                        ; implicit-def: $vgpr68_vgpr69
	s_delay_alu instid0(VALU_DEP_1)
	v_mul_f32_e32 v70, v0, v1
	v_xor_b32_e32 v71, 0x80000000, v1
.LBB125_311:
	s_and_not1_saveexec_b32 s1, s1
	s_cbranch_execz .LBB125_313
; %bb.312:
	v_div_scale_f32 v0, null, v68, v68, v69
	v_div_scale_f32 v3, vcc_lo, v69, v68, v69
	s_delay_alu instid0(VALU_DEP_2) | instskip(SKIP_1) | instid1(TRANS32_DEP_1)
	v_rcp_f32_e32 v1, v0
	v_nop
	v_fma_f32 v2, -v0, v1, 1.0
	s_delay_alu instid0(VALU_DEP_1) | instskip(NEXT) | instid1(VALU_DEP_1)
	v_fmac_f32_e32 v1, v2, v1
	v_mul_f32_e32 v2, v3, v1
	s_delay_alu instid0(VALU_DEP_1) | instskip(NEXT) | instid1(VALU_DEP_1)
	v_fma_f32 v4, -v0, v2, v3
	v_fmac_f32_e32 v2, v4, v1
	s_delay_alu instid0(VALU_DEP_1) | instskip(NEXT) | instid1(VALU_DEP_1)
	v_fma_f32 v0, -v0, v2, v3
	v_div_fmas_f32 v0, v0, v1, v2
	s_delay_alu instid0(VALU_DEP_1) | instskip(NEXT) | instid1(VALU_DEP_1)
	v_div_fixup_f32 v0, v0, v68, v69
	v_fmac_f32_e32 v68, v69, v0
	s_delay_alu instid0(VALU_DEP_1) | instskip(NEXT) | instid1(VALU_DEP_1)
	v_div_scale_f32 v1, null, v68, v68, 1.0
	v_rcp_f32_e32 v2, v1
	v_nop
	s_delay_alu instid0(TRANS32_DEP_1) | instskip(NEXT) | instid1(VALU_DEP_1)
	v_fma_f32 v3, -v1, v2, 1.0
	v_fmac_f32_e32 v2, v3, v2
	v_div_scale_f32 v3, vcc_lo, 1.0, v68, 1.0
	s_delay_alu instid0(VALU_DEP_1) | instskip(NEXT) | instid1(VALU_DEP_1)
	v_mul_f32_e32 v4, v3, v2
	v_fma_f32 v5, -v1, v4, v3
	s_delay_alu instid0(VALU_DEP_1) | instskip(NEXT) | instid1(VALU_DEP_1)
	v_fmac_f32_e32 v4, v5, v2
	v_fma_f32 v1, -v1, v4, v3
	s_delay_alu instid0(VALU_DEP_1) | instskip(NEXT) | instid1(VALU_DEP_1)
	v_div_fmas_f32 v1, v1, v2, v4
	v_div_fixup_f32 v70, v1, v68, 1.0
	s_delay_alu instid0(VALU_DEP_1)
	v_mul_f32_e64 v71, v0, -v70
.LBB125_313:
	s_or_b32 exec_lo, exec_lo, s1
	ds_store_b64 v255, v[70:71]
.LBB125_314:
	s_or_b32 exec_lo, exec_lo, s2
	s_wait_dscnt 0x0
	s_barrier_signal -1
	s_barrier_wait -1
	ds_load_b64 v[68:69], v255
	s_mov_b32 s1, exec_lo
	v_cmpx_lt_u32_e32 34, v254
	s_cbranch_execz .LBB125_316
; %bb.315:
	ds_load_2addr_b64 v[74:77], v6 offset0:35 offset1:36
	s_wait_dscnt 0x1
	v_pk_mul_f32 v[0:1], v[68:69], v[196:197] op_sel:[1,1] op_sel_hi:[0,1]
	s_delay_alu instid0(VALU_DEP_1) | instskip(SKIP_1) | instid1(VALU_DEP_1)
	v_pk_fma_f32 v[72:73], v[68:69], v[196:197], v[0:1] op_sel_hi:[1,0,1]
	v_pk_fma_f32 v[70:71], v[68:69], v[196:197], v[0:1] op_sel_hi:[1,0,1] neg_lo:[0,0,1] neg_hi:[0,0,1]
	v_dual_mov_b32 v197, v73 :: v_dual_mov_b32 v196, v70
	s_wait_dscnt 0x0
	s_delay_alu instid0(VALU_DEP_3) | instskip(NEXT) | instid1(VALU_DEP_1)
	v_pk_mul_f32 v[0:1], v[74:75], v[72:73] op_sel:[0,1]
	v_pk_fma_f32 v[2:3], v[74:75], v[70:71], v[0:1] op_sel:[0,0,1] op_sel_hi:[1,1,0] neg_lo:[0,0,1] neg_hi:[0,0,1]
	v_pk_fma_f32 v[0:1], v[74:75], v[70:71], v[0:1] op_sel:[0,0,1] op_sel_hi:[1,0,0]
	s_delay_alu instid0(VALU_DEP_1) | instskip(SKIP_1) | instid1(VALU_DEP_2)
	v_mov_b32_e32 v3, v1
	v_pk_mul_f32 v[0:1], v[76:77], v[72:73] op_sel:[0,1]
	v_pk_add_f32 v[198:199], v[198:199], v[2:3] neg_lo:[0,1] neg_hi:[0,1]
	s_delay_alu instid0(VALU_DEP_2) | instskip(SKIP_3) | instid1(VALU_DEP_1)
	v_pk_fma_f32 v[2:3], v[76:77], v[70:71], v[0:1] op_sel:[0,0,1] op_sel_hi:[1,1,0] neg_lo:[0,0,1] neg_hi:[0,0,1]
	v_pk_fma_f32 v[0:1], v[76:77], v[70:71], v[0:1] op_sel:[0,0,1] op_sel_hi:[1,0,0]
	ds_load_2addr_b64 v[74:77], v6 offset0:37 offset1:38
	v_mov_b32_e32 v3, v1
	v_pk_add_f32 v[200:201], v[200:201], v[2:3] neg_lo:[0,1] neg_hi:[0,1]
	s_wait_dscnt 0x0
	v_pk_mul_f32 v[0:1], v[74:75], v[72:73] op_sel:[0,1]
	s_delay_alu instid0(VALU_DEP_1) | instskip(SKIP_2) | instid1(VALU_DEP_2)
	v_pk_fma_f32 v[2:3], v[74:75], v[70:71], v[0:1] op_sel:[0,0,1] op_sel_hi:[1,1,0] neg_lo:[0,0,1] neg_hi:[0,0,1]
	v_pk_fma_f32 v[0:1], v[74:75], v[70:71], v[0:1] op_sel:[0,0,1] op_sel_hi:[1,0,0]
	v_dual_mov_b32 v0, v77 :: v_dual_mul_f32 v74, v77, v70
	v_dual_mov_b32 v3, v1 :: v_dual_mov_b32 v1, v76
	s_delay_alu instid0(VALU_DEP_1) | instskip(SKIP_1) | instid1(VALU_DEP_3)
	v_pk_add_f32 v[202:203], v[202:203], v[2:3] neg_lo:[0,1] neg_hi:[0,1]
	v_mul_f32_e32 v2, v77, v73
	v_pk_fma_f32 v[0:1], v[0:1], v[196:197], v[74:75] op_sel_hi:[1,1,0]
	s_delay_alu instid0(VALU_DEP_2) | instskip(SKIP_2) | instid1(VALU_DEP_1)
	v_pk_fma_f32 v[2:3], v[76:77], v[196:197], v[2:3] op_sel_hi:[1,1,0] neg_lo:[0,0,1] neg_hi:[0,0,1]
	ds_load_2addr_b64 v[74:77], v6 offset0:39 offset1:40
	v_mov_b32_e32 v3, v1
	v_pk_add_f32 v[204:205], v[204:205], v[2:3] neg_lo:[0,1] neg_hi:[0,1]
	s_wait_dscnt 0x0
	v_pk_mul_f32 v[0:1], v[74:75], v[72:73] op_sel:[0,1]
	s_delay_alu instid0(VALU_DEP_1) | instskip(SKIP_1) | instid1(VALU_DEP_1)
	v_pk_fma_f32 v[2:3], v[74:75], v[70:71], v[0:1] op_sel:[0,0,1] op_sel_hi:[1,1,0] neg_lo:[0,0,1] neg_hi:[0,0,1]
	v_pk_fma_f32 v[0:1], v[74:75], v[70:71], v[0:1] op_sel:[0,0,1] op_sel_hi:[1,0,0]
	v_mov_b32_e32 v3, v1
	v_pk_mul_f32 v[0:1], v[76:77], v[72:73] op_sel:[0,1]
	s_delay_alu instid0(VALU_DEP_2) | instskip(NEXT) | instid1(VALU_DEP_2)
	v_pk_add_f32 v[206:207], v[206:207], v[2:3] neg_lo:[0,1] neg_hi:[0,1]
	v_pk_fma_f32 v[2:3], v[76:77], v[70:71], v[0:1] op_sel:[0,0,1] op_sel_hi:[1,1,0] neg_lo:[0,0,1] neg_hi:[0,0,1]
	v_pk_fma_f32 v[0:1], v[76:77], v[70:71], v[0:1] op_sel:[0,0,1] op_sel_hi:[1,0,0]
	ds_load_2addr_b64 v[74:77], v6 offset0:41 offset1:42
	v_mov_b32_e32 v3, v1
	s_delay_alu instid0(VALU_DEP_1) | instskip(SKIP_2) | instid1(VALU_DEP_1)
	v_pk_add_f32 v[208:209], v[208:209], v[2:3] neg_lo:[0,1] neg_hi:[0,1]
	s_wait_dscnt 0x0
	v_pk_mul_f32 v[0:1], v[74:75], v[72:73] op_sel:[0,1]
	v_pk_fma_f32 v[2:3], v[74:75], v[70:71], v[0:1] op_sel:[0,0,1] op_sel_hi:[1,1,0] neg_lo:[0,0,1] neg_hi:[0,0,1]
	v_pk_fma_f32 v[0:1], v[74:75], v[70:71], v[0:1] op_sel:[0,0,1] op_sel_hi:[1,0,0]
	s_delay_alu instid0(VALU_DEP_1) | instskip(SKIP_1) | instid1(VALU_DEP_2)
	v_mov_b32_e32 v3, v1
	v_pk_mul_f32 v[0:1], v[76:77], v[72:73] op_sel:[0,1]
	v_pk_add_f32 v[210:211], v[210:211], v[2:3] neg_lo:[0,1] neg_hi:[0,1]
	s_delay_alu instid0(VALU_DEP_2) | instskip(SKIP_3) | instid1(VALU_DEP_1)
	v_pk_fma_f32 v[2:3], v[76:77], v[70:71], v[0:1] op_sel:[0,0,1] op_sel_hi:[1,1,0] neg_lo:[0,0,1] neg_hi:[0,0,1]
	v_pk_fma_f32 v[0:1], v[76:77], v[70:71], v[0:1] op_sel:[0,0,1] op_sel_hi:[1,0,0]
	ds_load_2addr_b64 v[74:77], v6 offset0:43 offset1:44
	v_mov_b32_e32 v3, v1
	v_pk_add_f32 v[212:213], v[212:213], v[2:3] neg_lo:[0,1] neg_hi:[0,1]
	s_wait_dscnt 0x0
	v_dual_mul_f32 v2, v75, v70 :: v_dual_mul_f32 v0, v75, v73
	s_delay_alu instid0(VALU_DEP_1) | instskip(NEXT) | instid1(VALU_DEP_2)
	v_pk_fma_f32 v[2:3], v[74:75], v[196:197], v[2:3] op_sel:[1,0,0] op_sel_hi:[0,1,0]
	v_pk_fma_f32 v[0:1], v[74:75], v[196:197], v[0:1] op_sel_hi:[1,1,0] neg_lo:[0,0,1] neg_hi:[0,0,1]
	s_delay_alu instid0(VALU_DEP_2) | instskip(NEXT) | instid1(VALU_DEP_1)
	v_mov_b32_e32 v1, v3
	v_pk_add_f32 v[214:215], v[214:215], v[0:1] neg_lo:[0,1] neg_hi:[0,1]
	v_pk_mul_f32 v[0:1], v[76:77], v[72:73] op_sel:[0,1]
	s_delay_alu instid0(VALU_DEP_1) | instskip(SKIP_3) | instid1(VALU_DEP_1)
	v_pk_fma_f32 v[2:3], v[76:77], v[70:71], v[0:1] op_sel:[0,0,1] op_sel_hi:[1,1,0] neg_lo:[0,0,1] neg_hi:[0,0,1]
	v_pk_fma_f32 v[0:1], v[76:77], v[70:71], v[0:1] op_sel:[0,0,1] op_sel_hi:[1,0,0]
	ds_load_2addr_b64 v[74:77], v6 offset0:45 offset1:46
	v_mov_b32_e32 v3, v1
	v_pk_add_f32 v[216:217], v[216:217], v[2:3] neg_lo:[0,1] neg_hi:[0,1]
	s_wait_dscnt 0x0
	v_pk_mul_f32 v[0:1], v[74:75], v[72:73] op_sel:[0,1]
	s_delay_alu instid0(VALU_DEP_1) | instskip(SKIP_1) | instid1(VALU_DEP_1)
	v_pk_fma_f32 v[2:3], v[74:75], v[70:71], v[0:1] op_sel:[0,0,1] op_sel_hi:[1,1,0] neg_lo:[0,0,1] neg_hi:[0,0,1]
	v_pk_fma_f32 v[0:1], v[74:75], v[70:71], v[0:1] op_sel:[0,0,1] op_sel_hi:[1,0,0]
	v_mov_b32_e32 v3, v1
	v_pk_mul_f32 v[0:1], v[76:77], v[72:73] op_sel:[0,1]
	s_delay_alu instid0(VALU_DEP_2) | instskip(NEXT) | instid1(VALU_DEP_2)
	v_pk_add_f32 v[218:219], v[218:219], v[2:3] neg_lo:[0,1] neg_hi:[0,1]
	v_pk_fma_f32 v[2:3], v[76:77], v[70:71], v[0:1] op_sel:[0,0,1] op_sel_hi:[1,1,0] neg_lo:[0,0,1] neg_hi:[0,0,1]
	v_pk_fma_f32 v[0:1], v[76:77], v[70:71], v[0:1] op_sel:[0,0,1] op_sel_hi:[1,0,0]
	ds_load_2addr_b64 v[74:77], v6 offset0:47 offset1:48
	v_mov_b32_e32 v3, v1
	s_delay_alu instid0(VALU_DEP_1) | instskip(SKIP_2) | instid1(VALU_DEP_1)
	v_pk_add_f32 v[220:221], v[220:221], v[2:3] neg_lo:[0,1] neg_hi:[0,1]
	s_wait_dscnt 0x0
	v_pk_mul_f32 v[0:1], v[74:75], v[72:73] op_sel:[0,1]
	v_pk_fma_f32 v[2:3], v[74:75], v[70:71], v[0:1] op_sel:[0,0,1] op_sel_hi:[1,1,0] neg_lo:[0,0,1] neg_hi:[0,0,1]
	v_pk_fma_f32 v[0:1], v[74:75], v[70:71], v[0:1] op_sel:[0,0,1] op_sel_hi:[1,0,0]
	v_dual_mov_b32 v0, v77 :: v_dual_mul_f32 v74, v77, v70
	s_delay_alu instid0(VALU_DEP_2) | instskip(NEXT) | instid1(VALU_DEP_1)
	v_dual_mov_b32 v3, v1 :: v_dual_mov_b32 v1, v76
	v_pk_add_f32 v[222:223], v[222:223], v[2:3] neg_lo:[0,1] neg_hi:[0,1]
	v_mul_f32_e32 v2, v77, v73
	s_delay_alu instid0(VALU_DEP_3) | instskip(NEXT) | instid1(VALU_DEP_2)
	v_pk_fma_f32 v[0:1], v[0:1], v[196:197], v[74:75] op_sel_hi:[1,1,0]
	v_pk_fma_f32 v[2:3], v[76:77], v[196:197], v[2:3] op_sel_hi:[1,1,0] neg_lo:[0,0,1] neg_hi:[0,0,1]
	ds_load_2addr_b64 v[74:77], v6 offset0:49 offset1:50
	v_mov_b32_e32 v3, v1
	s_delay_alu instid0(VALU_DEP_1) | instskip(SKIP_2) | instid1(VALU_DEP_1)
	v_pk_add_f32 v[224:225], v[224:225], v[2:3] neg_lo:[0,1] neg_hi:[0,1]
	s_wait_dscnt 0x0
	v_pk_mul_f32 v[0:1], v[74:75], v[72:73] op_sel:[0,1]
	v_pk_fma_f32 v[2:3], v[74:75], v[70:71], v[0:1] op_sel:[0,0,1] op_sel_hi:[1,1,0] neg_lo:[0,0,1] neg_hi:[0,0,1]
	v_pk_fma_f32 v[0:1], v[74:75], v[70:71], v[0:1] op_sel:[0,0,1] op_sel_hi:[1,0,0]
	s_delay_alu instid0(VALU_DEP_1) | instskip(SKIP_1) | instid1(VALU_DEP_2)
	v_mov_b32_e32 v3, v1
	v_pk_mul_f32 v[0:1], v[76:77], v[72:73] op_sel:[0,1]
	v_pk_add_f32 v[226:227], v[226:227], v[2:3] neg_lo:[0,1] neg_hi:[0,1]
	s_delay_alu instid0(VALU_DEP_2) | instskip(SKIP_3) | instid1(VALU_DEP_1)
	v_pk_fma_f32 v[2:3], v[76:77], v[70:71], v[0:1] op_sel:[0,0,1] op_sel_hi:[1,1,0] neg_lo:[0,0,1] neg_hi:[0,0,1]
	v_pk_fma_f32 v[0:1], v[76:77], v[70:71], v[0:1] op_sel:[0,0,1] op_sel_hi:[1,0,0]
	ds_load_2addr_b64 v[74:77], v6 offset0:51 offset1:52
	v_mov_b32_e32 v3, v1
	v_pk_add_f32 v[228:229], v[228:229], v[2:3] neg_lo:[0,1] neg_hi:[0,1]
	s_wait_dscnt 0x0
	v_pk_mul_f32 v[0:1], v[74:75], v[72:73] op_sel:[0,1]
	s_delay_alu instid0(VALU_DEP_1) | instskip(SKIP_1) | instid1(VALU_DEP_1)
	v_pk_fma_f32 v[2:3], v[74:75], v[70:71], v[0:1] op_sel:[0,0,1] op_sel_hi:[1,1,0] neg_lo:[0,0,1] neg_hi:[0,0,1]
	v_pk_fma_f32 v[0:1], v[74:75], v[70:71], v[0:1] op_sel:[0,0,1] op_sel_hi:[1,0,0]
	v_mov_b32_e32 v3, v1
	v_pk_mul_f32 v[0:1], v[76:77], v[72:73] op_sel:[0,1]
	s_delay_alu instid0(VALU_DEP_2) | instskip(NEXT) | instid1(VALU_DEP_2)
	v_pk_add_f32 v[230:231], v[230:231], v[2:3] neg_lo:[0,1] neg_hi:[0,1]
	v_pk_fma_f32 v[2:3], v[76:77], v[70:71], v[0:1] op_sel:[0,0,1] op_sel_hi:[1,1,0] neg_lo:[0,0,1] neg_hi:[0,0,1]
	v_pk_fma_f32 v[0:1], v[76:77], v[70:71], v[0:1] op_sel:[0,0,1] op_sel_hi:[1,0,0]
	ds_load_2addr_b64 v[74:77], v6 offset0:53 offset1:54
	v_mov_b32_e32 v3, v1
	s_delay_alu instid0(VALU_DEP_1) | instskip(SKIP_2) | instid1(VALU_DEP_1)
	v_pk_add_f32 v[232:233], v[232:233], v[2:3] neg_lo:[0,1] neg_hi:[0,1]
	s_wait_dscnt 0x0
	v_dual_mul_f32 v2, v75, v70 :: v_dual_mul_f32 v0, v75, v73
	v_pk_fma_f32 v[2:3], v[74:75], v[196:197], v[2:3] op_sel:[1,0,0] op_sel_hi:[0,1,0]
	s_delay_alu instid0(VALU_DEP_2) | instskip(NEXT) | instid1(VALU_DEP_2)
	v_pk_fma_f32 v[0:1], v[74:75], v[196:197], v[0:1] op_sel_hi:[1,1,0] neg_lo:[0,0,1] neg_hi:[0,0,1]
	v_mov_b32_e32 v1, v3
	s_delay_alu instid0(VALU_DEP_1) | instskip(SKIP_1) | instid1(VALU_DEP_1)
	v_pk_add_f32 v[234:235], v[234:235], v[0:1] neg_lo:[0,1] neg_hi:[0,1]
	v_pk_mul_f32 v[0:1], v[76:77], v[72:73] op_sel:[0,1]
	v_pk_fma_f32 v[2:3], v[76:77], v[70:71], v[0:1] op_sel:[0,0,1] op_sel_hi:[1,1,0] neg_lo:[0,0,1] neg_hi:[0,0,1]
	v_pk_fma_f32 v[0:1], v[76:77], v[70:71], v[0:1] op_sel:[0,0,1] op_sel_hi:[1,0,0]
	ds_load_2addr_b64 v[74:77], v6 offset0:55 offset1:56
	v_mov_b32_e32 v3, v1
	s_delay_alu instid0(VALU_DEP_1) | instskip(SKIP_2) | instid1(VALU_DEP_1)
	v_pk_add_f32 v[236:237], v[236:237], v[2:3] neg_lo:[0,1] neg_hi:[0,1]
	s_wait_dscnt 0x0
	v_pk_mul_f32 v[0:1], v[74:75], v[72:73] op_sel:[0,1]
	v_pk_fma_f32 v[2:3], v[74:75], v[70:71], v[0:1] op_sel:[0,0,1] op_sel_hi:[1,1,0] neg_lo:[0,0,1] neg_hi:[0,0,1]
	v_pk_fma_f32 v[0:1], v[74:75], v[70:71], v[0:1] op_sel:[0,0,1] op_sel_hi:[1,0,0]
	s_delay_alu instid0(VALU_DEP_1) | instskip(SKIP_1) | instid1(VALU_DEP_2)
	v_mov_b32_e32 v3, v1
	v_pk_mul_f32 v[0:1], v[76:77], v[72:73] op_sel:[0,1]
	v_pk_add_f32 v[238:239], v[238:239], v[2:3] neg_lo:[0,1] neg_hi:[0,1]
	s_delay_alu instid0(VALU_DEP_2) | instskip(SKIP_3) | instid1(VALU_DEP_1)
	v_pk_fma_f32 v[2:3], v[76:77], v[70:71], v[0:1] op_sel:[0,0,1] op_sel_hi:[1,1,0] neg_lo:[0,0,1] neg_hi:[0,0,1]
	v_pk_fma_f32 v[0:1], v[76:77], v[70:71], v[0:1] op_sel:[0,0,1] op_sel_hi:[1,0,0]
	ds_load_2addr_b64 v[74:77], v6 offset0:57 offset1:58
	v_mov_b32_e32 v3, v1
	v_pk_add_f32 v[248:249], v[248:249], v[2:3] neg_lo:[0,1] neg_hi:[0,1]
	s_wait_dscnt 0x0
	v_pk_mul_f32 v[0:1], v[74:75], v[72:73] op_sel:[0,1]
	s_delay_alu instid0(VALU_DEP_1) | instskip(SKIP_2) | instid1(VALU_DEP_2)
	v_pk_fma_f32 v[2:3], v[74:75], v[70:71], v[0:1] op_sel:[0,0,1] op_sel_hi:[1,1,0] neg_lo:[0,0,1] neg_hi:[0,0,1]
	v_pk_fma_f32 v[0:1], v[74:75], v[70:71], v[0:1] op_sel:[0,0,1] op_sel_hi:[1,0,0]
	v_dual_mov_b32 v0, v77 :: v_dual_mul_f32 v74, v77, v70
	v_dual_mov_b32 v3, v1 :: v_dual_mov_b32 v1, v76
	s_delay_alu instid0(VALU_DEP_1) | instskip(SKIP_1) | instid1(VALU_DEP_3)
	v_pk_add_f32 v[242:243], v[242:243], v[2:3] neg_lo:[0,1] neg_hi:[0,1]
	v_mul_f32_e32 v2, v77, v73
	v_pk_fma_f32 v[0:1], v[0:1], v[196:197], v[74:75] op_sel_hi:[1,1,0]
	s_delay_alu instid0(VALU_DEP_2) | instskip(SKIP_2) | instid1(VALU_DEP_1)
	v_pk_fma_f32 v[2:3], v[76:77], v[196:197], v[2:3] op_sel_hi:[1,1,0] neg_lo:[0,0,1] neg_hi:[0,0,1]
	ds_load_2addr_b64 v[74:77], v6 offset0:59 offset1:60
	v_mov_b32_e32 v3, v1
	v_pk_add_f32 v[246:247], v[246:247], v[2:3] neg_lo:[0,1] neg_hi:[0,1]
	s_wait_dscnt 0x0
	v_pk_mul_f32 v[0:1], v[74:75], v[72:73] op_sel:[0,1]
	s_delay_alu instid0(VALU_DEP_1) | instskip(SKIP_1) | instid1(VALU_DEP_1)
	v_pk_fma_f32 v[2:3], v[74:75], v[70:71], v[0:1] op_sel:[0,0,1] op_sel_hi:[1,1,0] neg_lo:[0,0,1] neg_hi:[0,0,1]
	v_pk_fma_f32 v[0:1], v[74:75], v[70:71], v[0:1] op_sel:[0,0,1] op_sel_hi:[1,0,0]
	v_mov_b32_e32 v3, v1
	v_pk_mul_f32 v[0:1], v[76:77], v[72:73] op_sel:[0,1]
	s_delay_alu instid0(VALU_DEP_2) | instskip(NEXT) | instid1(VALU_DEP_2)
	v_pk_add_f32 v[240:241], v[240:241], v[2:3] neg_lo:[0,1] neg_hi:[0,1]
	v_pk_fma_f32 v[2:3], v[76:77], v[70:71], v[0:1] op_sel:[0,0,1] op_sel_hi:[1,1,0] neg_lo:[0,0,1] neg_hi:[0,0,1]
	v_pk_fma_f32 v[0:1], v[76:77], v[70:71], v[0:1] op_sel:[0,0,1] op_sel_hi:[1,0,0]
	ds_load_2addr_b64 v[74:77], v6 offset0:61 offset1:62
	v_mov_b32_e32 v3, v1
	s_delay_alu instid0(VALU_DEP_1) | instskip(SKIP_2) | instid1(VALU_DEP_1)
	v_pk_add_f32 v[244:245], v[244:245], v[2:3] neg_lo:[0,1] neg_hi:[0,1]
	s_wait_dscnt 0x0
	v_pk_mul_f32 v[0:1], v[74:75], v[72:73] op_sel:[0,1]
	v_pk_fma_f32 v[2:3], v[74:75], v[70:71], v[0:1] op_sel:[0,0,1] op_sel_hi:[1,1,0] neg_lo:[0,0,1] neg_hi:[0,0,1]
	v_pk_fma_f32 v[0:1], v[74:75], v[70:71], v[0:1] op_sel:[0,0,1] op_sel_hi:[1,0,0]
	s_delay_alu instid0(VALU_DEP_1) | instskip(SKIP_1) | instid1(VALU_DEP_2)
	v_mov_b32_e32 v3, v1
	v_pk_mul_f32 v[0:1], v[76:77], v[72:73] op_sel:[0,1]
	v_pk_add_f32 v[250:251], v[250:251], v[2:3] neg_lo:[0,1] neg_hi:[0,1]
	s_delay_alu instid0(VALU_DEP_2) | instskip(SKIP_1) | instid1(VALU_DEP_1)
	v_pk_fma_f32 v[2:3], v[76:77], v[70:71], v[0:1] op_sel:[0,0,1] op_sel_hi:[1,1,0] neg_lo:[0,0,1] neg_hi:[0,0,1]
	v_pk_fma_f32 v[0:1], v[76:77], v[70:71], v[0:1] op_sel:[0,0,1] op_sel_hi:[1,0,0]
	v_mov_b32_e32 v3, v1
	s_delay_alu instid0(VALU_DEP_1)
	v_pk_add_f32 v[252:253], v[252:253], v[2:3] neg_lo:[0,1] neg_hi:[0,1]
.LBB125_316:
	s_or_b32 exec_lo, exec_lo, s1
	s_delay_alu instid0(SALU_CYCLE_1)
	s_mov_b32 s2, exec_lo
	s_wait_dscnt 0x0
	s_barrier_signal -1
	s_barrier_wait -1
	v_cmpx_eq_u32_e32 35, v254
	s_cbranch_execz .LBB125_323
; %bb.317:
	v_dual_mov_b32 v0, v200 :: v_dual_mov_b32 v1, v201
	v_dual_mov_b32 v2, v202 :: v_dual_mov_b32 v3, v203
	ds_store_b64 v255, v[198:199]
	ds_store_2addr_b64 v6, v[0:1], v[2:3] offset0:36 offset1:37
	v_dual_mov_b32 v0, v204 :: v_dual_mov_b32 v1, v205
	v_dual_mov_b32 v2, v206 :: v_dual_mov_b32 v3, v207
	ds_store_2addr_b64 v6, v[0:1], v[2:3] offset0:38 offset1:39
	v_dual_mov_b32 v0, v208 :: v_dual_mov_b32 v1, v209
	v_dual_mov_b32 v2, v210 :: v_dual_mov_b32 v3, v211
	;; [unrolled: 3-line block ×12, first 2 shown]
	ds_store_2addr_b64 v6, v[0:1], v[2:3] offset0:60 offset1:61
	ds_store_b64 v6, v[252:253] offset:496
	ds_load_b64 v[70:71], v255
	s_wait_dscnt 0x0
	v_cmp_neq_f32_e32 vcc_lo, 0, v70
	v_cmp_neq_f32_e64 s1, 0, v71
	s_or_b32 s1, vcc_lo, s1
	s_delay_alu instid0(SALU_CYCLE_1)
	s_and_b32 exec_lo, exec_lo, s1
	s_cbranch_execz .LBB125_323
; %bb.318:
	v_cmp_ngt_f32_e64 s1, |v70|, |v71|
                                        ; implicit-def: $vgpr72_vgpr73
	s_and_saveexec_b32 s4, s1
	s_delay_alu instid0(SALU_CYCLE_1)
	s_xor_b32 s1, exec_lo, s4
	s_cbranch_execz .LBB125_320
; %bb.319:
	v_div_scale_f32 v0, null, v71, v71, v70
	v_div_scale_f32 v3, vcc_lo, v70, v71, v70
	s_delay_alu instid0(VALU_DEP_2) | instskip(SKIP_1) | instid1(TRANS32_DEP_1)
	v_rcp_f32_e32 v1, v0
	v_nop
	v_fma_f32 v2, -v0, v1, 1.0
	s_delay_alu instid0(VALU_DEP_1) | instskip(NEXT) | instid1(VALU_DEP_1)
	v_fmac_f32_e32 v1, v2, v1
	v_mul_f32_e32 v2, v3, v1
	s_delay_alu instid0(VALU_DEP_1) | instskip(NEXT) | instid1(VALU_DEP_1)
	v_fma_f32 v4, -v0, v2, v3
	v_fmac_f32_e32 v2, v4, v1
	s_delay_alu instid0(VALU_DEP_1) | instskip(NEXT) | instid1(VALU_DEP_1)
	v_fma_f32 v0, -v0, v2, v3
	v_div_fmas_f32 v0, v0, v1, v2
	s_delay_alu instid0(VALU_DEP_1) | instskip(NEXT) | instid1(VALU_DEP_1)
	v_div_fixup_f32 v0, v0, v71, v70
	v_fmac_f32_e32 v71, v70, v0
	s_delay_alu instid0(VALU_DEP_1) | instskip(SKIP_1) | instid1(VALU_DEP_2)
	v_div_scale_f32 v1, null, v71, v71, 1.0
	v_div_scale_f32 v4, vcc_lo, 1.0, v71, 1.0
	v_rcp_f32_e32 v2, v1
	v_nop
	s_delay_alu instid0(TRANS32_DEP_1) | instskip(NEXT) | instid1(VALU_DEP_1)
	v_fma_f32 v3, -v1, v2, 1.0
	v_fmac_f32_e32 v2, v3, v2
	s_delay_alu instid0(VALU_DEP_1) | instskip(NEXT) | instid1(VALU_DEP_1)
	v_mul_f32_e32 v3, v4, v2
	v_fma_f32 v5, -v1, v3, v4
	s_delay_alu instid0(VALU_DEP_1) | instskip(NEXT) | instid1(VALU_DEP_1)
	v_fmac_f32_e32 v3, v5, v2
	v_fma_f32 v1, -v1, v3, v4
	s_delay_alu instid0(VALU_DEP_1) | instskip(NEXT) | instid1(VALU_DEP_1)
	v_div_fmas_f32 v1, v1, v2, v3
	v_div_fixup_f32 v1, v1, v71, 1.0
                                        ; implicit-def: $vgpr70_vgpr71
	s_delay_alu instid0(VALU_DEP_1)
	v_mul_f32_e32 v72, v0, v1
	v_xor_b32_e32 v73, 0x80000000, v1
.LBB125_320:
	s_and_not1_saveexec_b32 s1, s1
	s_cbranch_execz .LBB125_322
; %bb.321:
	v_div_scale_f32 v0, null, v70, v70, v71
	v_div_scale_f32 v3, vcc_lo, v71, v70, v71
	s_delay_alu instid0(VALU_DEP_2) | instskip(SKIP_1) | instid1(TRANS32_DEP_1)
	v_rcp_f32_e32 v1, v0
	v_nop
	v_fma_f32 v2, -v0, v1, 1.0
	s_delay_alu instid0(VALU_DEP_1) | instskip(NEXT) | instid1(VALU_DEP_1)
	v_fmac_f32_e32 v1, v2, v1
	v_mul_f32_e32 v2, v3, v1
	s_delay_alu instid0(VALU_DEP_1) | instskip(NEXT) | instid1(VALU_DEP_1)
	v_fma_f32 v4, -v0, v2, v3
	v_fmac_f32_e32 v2, v4, v1
	s_delay_alu instid0(VALU_DEP_1) | instskip(NEXT) | instid1(VALU_DEP_1)
	v_fma_f32 v0, -v0, v2, v3
	v_div_fmas_f32 v0, v0, v1, v2
	s_delay_alu instid0(VALU_DEP_1) | instskip(NEXT) | instid1(VALU_DEP_1)
	v_div_fixup_f32 v0, v0, v70, v71
	v_fmac_f32_e32 v70, v71, v0
	s_delay_alu instid0(VALU_DEP_1) | instskip(NEXT) | instid1(VALU_DEP_1)
	v_div_scale_f32 v1, null, v70, v70, 1.0
	v_rcp_f32_e32 v2, v1
	v_nop
	s_delay_alu instid0(TRANS32_DEP_1) | instskip(NEXT) | instid1(VALU_DEP_1)
	v_fma_f32 v3, -v1, v2, 1.0
	v_fmac_f32_e32 v2, v3, v2
	v_div_scale_f32 v3, vcc_lo, 1.0, v70, 1.0
	s_delay_alu instid0(VALU_DEP_1) | instskip(NEXT) | instid1(VALU_DEP_1)
	v_mul_f32_e32 v4, v3, v2
	v_fma_f32 v5, -v1, v4, v3
	s_delay_alu instid0(VALU_DEP_1) | instskip(NEXT) | instid1(VALU_DEP_1)
	v_fmac_f32_e32 v4, v5, v2
	v_fma_f32 v1, -v1, v4, v3
	s_delay_alu instid0(VALU_DEP_1) | instskip(NEXT) | instid1(VALU_DEP_1)
	v_div_fmas_f32 v1, v1, v2, v4
	v_div_fixup_f32 v72, v1, v70, 1.0
	s_delay_alu instid0(VALU_DEP_1)
	v_mul_f32_e64 v73, v0, -v72
.LBB125_322:
	s_or_b32 exec_lo, exec_lo, s1
	ds_store_b64 v255, v[72:73]
.LBB125_323:
	s_or_b32 exec_lo, exec_lo, s2
	s_wait_dscnt 0x0
	s_barrier_signal -1
	s_barrier_wait -1
	ds_load_b64 v[70:71], v255
	s_mov_b32 s1, exec_lo
	v_cmpx_lt_u32_e32 35, v254
	s_cbranch_execz .LBB125_325
; %bb.324:
	ds_load_2addr_b64 v[76:79], v6 offset0:36 offset1:37
	s_wait_dscnt 0x1
	v_pk_mul_f32 v[0:1], v[70:71], v[198:199] op_sel:[1,1] op_sel_hi:[0,1]
	s_delay_alu instid0(VALU_DEP_1) | instskip(SKIP_1) | instid1(VALU_DEP_1)
	v_pk_fma_f32 v[74:75], v[70:71], v[198:199], v[0:1] op_sel_hi:[1,0,1]
	v_pk_fma_f32 v[72:73], v[70:71], v[198:199], v[0:1] op_sel_hi:[1,0,1] neg_lo:[0,0,1] neg_hi:[0,0,1]
	v_dual_mov_b32 v199, v75 :: v_dual_mov_b32 v198, v72
	s_wait_dscnt 0x0
	s_delay_alu instid0(VALU_DEP_3) | instskip(NEXT) | instid1(VALU_DEP_1)
	v_pk_mul_f32 v[0:1], v[76:77], v[74:75] op_sel:[0,1]
	v_pk_fma_f32 v[2:3], v[76:77], v[72:73], v[0:1] op_sel:[0,0,1] op_sel_hi:[1,1,0] neg_lo:[0,0,1] neg_hi:[0,0,1]
	v_pk_fma_f32 v[0:1], v[76:77], v[72:73], v[0:1] op_sel:[0,0,1] op_sel_hi:[1,0,0]
	s_delay_alu instid0(VALU_DEP_1) | instskip(SKIP_1) | instid1(VALU_DEP_2)
	v_mov_b32_e32 v3, v1
	v_pk_mul_f32 v[0:1], v[78:79], v[74:75] op_sel:[0,1]
	v_pk_add_f32 v[200:201], v[200:201], v[2:3] neg_lo:[0,1] neg_hi:[0,1]
	s_delay_alu instid0(VALU_DEP_2) | instskip(SKIP_3) | instid1(VALU_DEP_1)
	v_pk_fma_f32 v[2:3], v[78:79], v[72:73], v[0:1] op_sel:[0,0,1] op_sel_hi:[1,1,0] neg_lo:[0,0,1] neg_hi:[0,0,1]
	v_pk_fma_f32 v[0:1], v[78:79], v[72:73], v[0:1] op_sel:[0,0,1] op_sel_hi:[1,0,0]
	ds_load_2addr_b64 v[76:79], v6 offset0:38 offset1:39
	v_mov_b32_e32 v3, v1
	v_pk_add_f32 v[202:203], v[202:203], v[2:3] neg_lo:[0,1] neg_hi:[0,1]
	s_wait_dscnt 0x0
	v_pk_mul_f32 v[0:1], v[76:77], v[74:75] op_sel:[0,1]
	s_delay_alu instid0(VALU_DEP_1) | instskip(SKIP_2) | instid1(VALU_DEP_2)
	v_pk_fma_f32 v[2:3], v[76:77], v[72:73], v[0:1] op_sel:[0,0,1] op_sel_hi:[1,1,0] neg_lo:[0,0,1] neg_hi:[0,0,1]
	v_pk_fma_f32 v[0:1], v[76:77], v[72:73], v[0:1] op_sel:[0,0,1] op_sel_hi:[1,0,0]
	v_dual_mov_b32 v0, v79 :: v_dual_mul_f32 v76, v79, v72
	v_dual_mov_b32 v3, v1 :: v_dual_mov_b32 v1, v78
	s_delay_alu instid0(VALU_DEP_1) | instskip(SKIP_1) | instid1(VALU_DEP_3)
	v_pk_add_f32 v[204:205], v[204:205], v[2:3] neg_lo:[0,1] neg_hi:[0,1]
	v_mul_f32_e32 v2, v79, v75
	v_pk_fma_f32 v[0:1], v[0:1], v[198:199], v[76:77] op_sel_hi:[1,1,0]
	s_delay_alu instid0(VALU_DEP_2) | instskip(SKIP_2) | instid1(VALU_DEP_1)
	v_pk_fma_f32 v[2:3], v[78:79], v[198:199], v[2:3] op_sel_hi:[1,1,0] neg_lo:[0,0,1] neg_hi:[0,0,1]
	ds_load_2addr_b64 v[76:79], v6 offset0:40 offset1:41
	v_mov_b32_e32 v3, v1
	v_pk_add_f32 v[206:207], v[206:207], v[2:3] neg_lo:[0,1] neg_hi:[0,1]
	s_wait_dscnt 0x0
	v_pk_mul_f32 v[0:1], v[76:77], v[74:75] op_sel:[0,1]
	s_delay_alu instid0(VALU_DEP_1) | instskip(SKIP_1) | instid1(VALU_DEP_1)
	v_pk_fma_f32 v[2:3], v[76:77], v[72:73], v[0:1] op_sel:[0,0,1] op_sel_hi:[1,1,0] neg_lo:[0,0,1] neg_hi:[0,0,1]
	v_pk_fma_f32 v[0:1], v[76:77], v[72:73], v[0:1] op_sel:[0,0,1] op_sel_hi:[1,0,0]
	v_mov_b32_e32 v3, v1
	v_pk_mul_f32 v[0:1], v[78:79], v[74:75] op_sel:[0,1]
	s_delay_alu instid0(VALU_DEP_2) | instskip(NEXT) | instid1(VALU_DEP_2)
	v_pk_add_f32 v[208:209], v[208:209], v[2:3] neg_lo:[0,1] neg_hi:[0,1]
	v_pk_fma_f32 v[2:3], v[78:79], v[72:73], v[0:1] op_sel:[0,0,1] op_sel_hi:[1,1,0] neg_lo:[0,0,1] neg_hi:[0,0,1]
	v_pk_fma_f32 v[0:1], v[78:79], v[72:73], v[0:1] op_sel:[0,0,1] op_sel_hi:[1,0,0]
	ds_load_2addr_b64 v[76:79], v6 offset0:42 offset1:43
	v_mov_b32_e32 v3, v1
	s_delay_alu instid0(VALU_DEP_1) | instskip(SKIP_2) | instid1(VALU_DEP_1)
	v_pk_add_f32 v[210:211], v[210:211], v[2:3] neg_lo:[0,1] neg_hi:[0,1]
	s_wait_dscnt 0x0
	v_pk_mul_f32 v[0:1], v[76:77], v[74:75] op_sel:[0,1]
	v_pk_fma_f32 v[2:3], v[76:77], v[72:73], v[0:1] op_sel:[0,0,1] op_sel_hi:[1,1,0] neg_lo:[0,0,1] neg_hi:[0,0,1]
	v_pk_fma_f32 v[0:1], v[76:77], v[72:73], v[0:1] op_sel:[0,0,1] op_sel_hi:[1,0,0]
	s_delay_alu instid0(VALU_DEP_1) | instskip(SKIP_1) | instid1(VALU_DEP_2)
	v_mov_b32_e32 v3, v1
	v_pk_mul_f32 v[0:1], v[78:79], v[74:75] op_sel:[0,1]
	v_pk_add_f32 v[212:213], v[212:213], v[2:3] neg_lo:[0,1] neg_hi:[0,1]
	s_delay_alu instid0(VALU_DEP_2) | instskip(SKIP_3) | instid1(VALU_DEP_1)
	v_pk_fma_f32 v[2:3], v[78:79], v[72:73], v[0:1] op_sel:[0,0,1] op_sel_hi:[1,1,0] neg_lo:[0,0,1] neg_hi:[0,0,1]
	v_pk_fma_f32 v[0:1], v[78:79], v[72:73], v[0:1] op_sel:[0,0,1] op_sel_hi:[1,0,0]
	ds_load_2addr_b64 v[76:79], v6 offset0:44 offset1:45
	v_mov_b32_e32 v3, v1
	v_pk_add_f32 v[214:215], v[214:215], v[2:3] neg_lo:[0,1] neg_hi:[0,1]
	s_wait_dscnt 0x0
	v_dual_mul_f32 v0, v77, v75 :: v_dual_mul_f32 v2, v77, v72
	s_delay_alu instid0(VALU_DEP_1) | instskip(NEXT) | instid1(VALU_DEP_2)
	v_pk_fma_f32 v[0:1], v[76:77], v[198:199], v[0:1] op_sel_hi:[1,1,0] neg_lo:[0,0,1] neg_hi:[0,0,1]
	v_pk_fma_f32 v[2:3], v[76:77], v[198:199], v[2:3] op_sel:[1,0,0] op_sel_hi:[0,1,0]
	s_delay_alu instid0(VALU_DEP_1) | instskip(NEXT) | instid1(VALU_DEP_1)
	v_mov_b32_e32 v1, v3
	v_pk_add_f32 v[216:217], v[216:217], v[0:1] neg_lo:[0,1] neg_hi:[0,1]
	v_pk_mul_f32 v[0:1], v[78:79], v[74:75] op_sel:[0,1]
	s_delay_alu instid0(VALU_DEP_1) | instskip(SKIP_3) | instid1(VALU_DEP_1)
	v_pk_fma_f32 v[2:3], v[78:79], v[72:73], v[0:1] op_sel:[0,0,1] op_sel_hi:[1,1,0] neg_lo:[0,0,1] neg_hi:[0,0,1]
	v_pk_fma_f32 v[0:1], v[78:79], v[72:73], v[0:1] op_sel:[0,0,1] op_sel_hi:[1,0,0]
	ds_load_2addr_b64 v[76:79], v6 offset0:46 offset1:47
	v_mov_b32_e32 v3, v1
	v_pk_add_f32 v[218:219], v[218:219], v[2:3] neg_lo:[0,1] neg_hi:[0,1]
	s_wait_dscnt 0x0
	v_pk_mul_f32 v[0:1], v[76:77], v[74:75] op_sel:[0,1]
	s_delay_alu instid0(VALU_DEP_1) | instskip(SKIP_1) | instid1(VALU_DEP_1)
	v_pk_fma_f32 v[2:3], v[76:77], v[72:73], v[0:1] op_sel:[0,0,1] op_sel_hi:[1,1,0] neg_lo:[0,0,1] neg_hi:[0,0,1]
	v_pk_fma_f32 v[0:1], v[76:77], v[72:73], v[0:1] op_sel:[0,0,1] op_sel_hi:[1,0,0]
	v_mov_b32_e32 v3, v1
	v_pk_mul_f32 v[0:1], v[78:79], v[74:75] op_sel:[0,1]
	s_delay_alu instid0(VALU_DEP_2) | instskip(NEXT) | instid1(VALU_DEP_2)
	v_pk_add_f32 v[220:221], v[220:221], v[2:3] neg_lo:[0,1] neg_hi:[0,1]
	v_pk_fma_f32 v[2:3], v[78:79], v[72:73], v[0:1] op_sel:[0,0,1] op_sel_hi:[1,1,0] neg_lo:[0,0,1] neg_hi:[0,0,1]
	v_pk_fma_f32 v[0:1], v[78:79], v[72:73], v[0:1] op_sel:[0,0,1] op_sel_hi:[1,0,0]
	ds_load_2addr_b64 v[76:79], v6 offset0:48 offset1:49
	v_mov_b32_e32 v3, v1
	s_delay_alu instid0(VALU_DEP_1) | instskip(SKIP_2) | instid1(VALU_DEP_1)
	v_pk_add_f32 v[222:223], v[222:223], v[2:3] neg_lo:[0,1] neg_hi:[0,1]
	s_wait_dscnt 0x0
	v_pk_mul_f32 v[0:1], v[76:77], v[74:75] op_sel:[0,1]
	v_pk_fma_f32 v[2:3], v[76:77], v[72:73], v[0:1] op_sel:[0,0,1] op_sel_hi:[1,1,0] neg_lo:[0,0,1] neg_hi:[0,0,1]
	v_pk_fma_f32 v[0:1], v[76:77], v[72:73], v[0:1] op_sel:[0,0,1] op_sel_hi:[1,0,0]
	v_dual_mov_b32 v0, v79 :: v_dual_mul_f32 v76, v79, v72
	s_delay_alu instid0(VALU_DEP_2) | instskip(NEXT) | instid1(VALU_DEP_1)
	v_dual_mov_b32 v3, v1 :: v_dual_mov_b32 v1, v78
	v_pk_add_f32 v[224:225], v[224:225], v[2:3] neg_lo:[0,1] neg_hi:[0,1]
	v_mul_f32_e32 v2, v79, v75
	s_delay_alu instid0(VALU_DEP_3) | instskip(NEXT) | instid1(VALU_DEP_2)
	v_pk_fma_f32 v[0:1], v[0:1], v[198:199], v[76:77] op_sel_hi:[1,1,0]
	v_pk_fma_f32 v[2:3], v[78:79], v[198:199], v[2:3] op_sel_hi:[1,1,0] neg_lo:[0,0,1] neg_hi:[0,0,1]
	ds_load_2addr_b64 v[76:79], v6 offset0:50 offset1:51
	v_mov_b32_e32 v3, v1
	s_delay_alu instid0(VALU_DEP_1) | instskip(SKIP_2) | instid1(VALU_DEP_1)
	v_pk_add_f32 v[226:227], v[226:227], v[2:3] neg_lo:[0,1] neg_hi:[0,1]
	s_wait_dscnt 0x0
	v_pk_mul_f32 v[0:1], v[76:77], v[74:75] op_sel:[0,1]
	v_pk_fma_f32 v[2:3], v[76:77], v[72:73], v[0:1] op_sel:[0,0,1] op_sel_hi:[1,1,0] neg_lo:[0,0,1] neg_hi:[0,0,1]
	v_pk_fma_f32 v[0:1], v[76:77], v[72:73], v[0:1] op_sel:[0,0,1] op_sel_hi:[1,0,0]
	s_delay_alu instid0(VALU_DEP_1) | instskip(SKIP_1) | instid1(VALU_DEP_2)
	v_mov_b32_e32 v3, v1
	v_pk_mul_f32 v[0:1], v[78:79], v[74:75] op_sel:[0,1]
	v_pk_add_f32 v[228:229], v[228:229], v[2:3] neg_lo:[0,1] neg_hi:[0,1]
	s_delay_alu instid0(VALU_DEP_2) | instskip(SKIP_3) | instid1(VALU_DEP_1)
	v_pk_fma_f32 v[2:3], v[78:79], v[72:73], v[0:1] op_sel:[0,0,1] op_sel_hi:[1,1,0] neg_lo:[0,0,1] neg_hi:[0,0,1]
	v_pk_fma_f32 v[0:1], v[78:79], v[72:73], v[0:1] op_sel:[0,0,1] op_sel_hi:[1,0,0]
	ds_load_2addr_b64 v[76:79], v6 offset0:52 offset1:53
	v_mov_b32_e32 v3, v1
	v_pk_add_f32 v[230:231], v[230:231], v[2:3] neg_lo:[0,1] neg_hi:[0,1]
	s_wait_dscnt 0x0
	v_pk_mul_f32 v[0:1], v[76:77], v[74:75] op_sel:[0,1]
	s_delay_alu instid0(VALU_DEP_1) | instskip(SKIP_1) | instid1(VALU_DEP_1)
	v_pk_fma_f32 v[2:3], v[76:77], v[72:73], v[0:1] op_sel:[0,0,1] op_sel_hi:[1,1,0] neg_lo:[0,0,1] neg_hi:[0,0,1]
	v_pk_fma_f32 v[0:1], v[76:77], v[72:73], v[0:1] op_sel:[0,0,1] op_sel_hi:[1,0,0]
	v_mov_b32_e32 v3, v1
	v_pk_mul_f32 v[0:1], v[78:79], v[74:75] op_sel:[0,1]
	s_delay_alu instid0(VALU_DEP_2) | instskip(NEXT) | instid1(VALU_DEP_2)
	v_pk_add_f32 v[232:233], v[232:233], v[2:3] neg_lo:[0,1] neg_hi:[0,1]
	v_pk_fma_f32 v[2:3], v[78:79], v[72:73], v[0:1] op_sel:[0,0,1] op_sel_hi:[1,1,0] neg_lo:[0,0,1] neg_hi:[0,0,1]
	v_pk_fma_f32 v[0:1], v[78:79], v[72:73], v[0:1] op_sel:[0,0,1] op_sel_hi:[1,0,0]
	ds_load_2addr_b64 v[76:79], v6 offset0:54 offset1:55
	v_mov_b32_e32 v3, v1
	s_delay_alu instid0(VALU_DEP_1) | instskip(SKIP_2) | instid1(VALU_DEP_1)
	v_pk_add_f32 v[234:235], v[234:235], v[2:3] neg_lo:[0,1] neg_hi:[0,1]
	s_wait_dscnt 0x0
	v_dual_mul_f32 v2, v77, v72 :: v_dual_mul_f32 v0, v77, v75
	v_pk_fma_f32 v[2:3], v[76:77], v[198:199], v[2:3] op_sel:[1,0,0] op_sel_hi:[0,1,0]
	s_delay_alu instid0(VALU_DEP_2) | instskip(NEXT) | instid1(VALU_DEP_2)
	v_pk_fma_f32 v[0:1], v[76:77], v[198:199], v[0:1] op_sel_hi:[1,1,0] neg_lo:[0,0,1] neg_hi:[0,0,1]
	v_mov_b32_e32 v1, v3
	s_delay_alu instid0(VALU_DEP_1) | instskip(SKIP_1) | instid1(VALU_DEP_1)
	v_pk_add_f32 v[236:237], v[236:237], v[0:1] neg_lo:[0,1] neg_hi:[0,1]
	v_pk_mul_f32 v[0:1], v[78:79], v[74:75] op_sel:[0,1]
	v_pk_fma_f32 v[2:3], v[78:79], v[72:73], v[0:1] op_sel:[0,0,1] op_sel_hi:[1,1,0] neg_lo:[0,0,1] neg_hi:[0,0,1]
	v_pk_fma_f32 v[0:1], v[78:79], v[72:73], v[0:1] op_sel:[0,0,1] op_sel_hi:[1,0,0]
	ds_load_2addr_b64 v[76:79], v6 offset0:56 offset1:57
	v_mov_b32_e32 v3, v1
	s_delay_alu instid0(VALU_DEP_1) | instskip(SKIP_2) | instid1(VALU_DEP_1)
	v_pk_add_f32 v[238:239], v[238:239], v[2:3] neg_lo:[0,1] neg_hi:[0,1]
	s_wait_dscnt 0x0
	v_pk_mul_f32 v[0:1], v[76:77], v[74:75] op_sel:[0,1]
	v_pk_fma_f32 v[2:3], v[76:77], v[72:73], v[0:1] op_sel:[0,0,1] op_sel_hi:[1,1,0] neg_lo:[0,0,1] neg_hi:[0,0,1]
	v_pk_fma_f32 v[0:1], v[76:77], v[72:73], v[0:1] op_sel:[0,0,1] op_sel_hi:[1,0,0]
	s_delay_alu instid0(VALU_DEP_1) | instskip(SKIP_1) | instid1(VALU_DEP_2)
	v_mov_b32_e32 v3, v1
	v_pk_mul_f32 v[0:1], v[78:79], v[74:75] op_sel:[0,1]
	v_pk_add_f32 v[248:249], v[248:249], v[2:3] neg_lo:[0,1] neg_hi:[0,1]
	s_delay_alu instid0(VALU_DEP_2) | instskip(SKIP_3) | instid1(VALU_DEP_1)
	v_pk_fma_f32 v[2:3], v[78:79], v[72:73], v[0:1] op_sel:[0,0,1] op_sel_hi:[1,1,0] neg_lo:[0,0,1] neg_hi:[0,0,1]
	v_pk_fma_f32 v[0:1], v[78:79], v[72:73], v[0:1] op_sel:[0,0,1] op_sel_hi:[1,0,0]
	ds_load_2addr_b64 v[76:79], v6 offset0:58 offset1:59
	v_mov_b32_e32 v3, v1
	v_pk_add_f32 v[242:243], v[242:243], v[2:3] neg_lo:[0,1] neg_hi:[0,1]
	s_wait_dscnt 0x0
	v_pk_mul_f32 v[0:1], v[76:77], v[74:75] op_sel:[0,1]
	s_delay_alu instid0(VALU_DEP_1) | instskip(SKIP_2) | instid1(VALU_DEP_2)
	v_pk_fma_f32 v[2:3], v[76:77], v[72:73], v[0:1] op_sel:[0,0,1] op_sel_hi:[1,1,0] neg_lo:[0,0,1] neg_hi:[0,0,1]
	v_pk_fma_f32 v[0:1], v[76:77], v[72:73], v[0:1] op_sel:[0,0,1] op_sel_hi:[1,0,0]
	v_dual_mov_b32 v0, v79 :: v_dual_mul_f32 v76, v79, v72
	v_dual_mov_b32 v3, v1 :: v_dual_mov_b32 v1, v78
	s_delay_alu instid0(VALU_DEP_1) | instskip(SKIP_1) | instid1(VALU_DEP_3)
	v_pk_add_f32 v[246:247], v[246:247], v[2:3] neg_lo:[0,1] neg_hi:[0,1]
	v_mul_f32_e32 v2, v79, v75
	v_pk_fma_f32 v[0:1], v[0:1], v[198:199], v[76:77] op_sel_hi:[1,1,0]
	s_delay_alu instid0(VALU_DEP_2) | instskip(SKIP_2) | instid1(VALU_DEP_1)
	v_pk_fma_f32 v[2:3], v[78:79], v[198:199], v[2:3] op_sel_hi:[1,1,0] neg_lo:[0,0,1] neg_hi:[0,0,1]
	ds_load_2addr_b64 v[76:79], v6 offset0:60 offset1:61
	v_mov_b32_e32 v3, v1
	v_pk_add_f32 v[240:241], v[240:241], v[2:3] neg_lo:[0,1] neg_hi:[0,1]
	s_wait_dscnt 0x0
	v_pk_mul_f32 v[0:1], v[76:77], v[74:75] op_sel:[0,1]
	s_delay_alu instid0(VALU_DEP_1) | instskip(SKIP_1) | instid1(VALU_DEP_1)
	v_pk_fma_f32 v[2:3], v[76:77], v[72:73], v[0:1] op_sel:[0,0,1] op_sel_hi:[1,1,0] neg_lo:[0,0,1] neg_hi:[0,0,1]
	v_pk_fma_f32 v[0:1], v[76:77], v[72:73], v[0:1] op_sel:[0,0,1] op_sel_hi:[1,0,0]
	v_mov_b32_e32 v3, v1
	v_pk_mul_f32 v[0:1], v[78:79], v[74:75] op_sel:[0,1]
	s_delay_alu instid0(VALU_DEP_2) | instskip(NEXT) | instid1(VALU_DEP_2)
	v_pk_add_f32 v[244:245], v[244:245], v[2:3] neg_lo:[0,1] neg_hi:[0,1]
	v_pk_fma_f32 v[2:3], v[78:79], v[72:73], v[0:1] op_sel:[0,0,1] op_sel_hi:[1,1,0] neg_lo:[0,0,1] neg_hi:[0,0,1]
	v_pk_fma_f32 v[0:1], v[78:79], v[72:73], v[0:1] op_sel:[0,0,1] op_sel_hi:[1,0,0]
	s_delay_alu instid0(VALU_DEP_1) | instskip(SKIP_4) | instid1(VALU_DEP_1)
	v_mov_b32_e32 v3, v1
	ds_load_b64 v[0:1], v6 offset:496
	v_pk_add_f32 v[250:251], v[250:251], v[2:3] neg_lo:[0,1] neg_hi:[0,1]
	s_wait_dscnt 0x0
	v_pk_mul_f32 v[2:3], v[0:1], v[74:75] op_sel:[0,1]
	v_pk_fma_f32 v[74:75], v[0:1], v[72:73], v[2:3] op_sel:[0,0,1] op_sel_hi:[1,1,0] neg_lo:[0,0,1] neg_hi:[0,0,1]
	v_pk_fma_f32 v[0:1], v[0:1], v[72:73], v[2:3] op_sel:[0,0,1] op_sel_hi:[1,0,0]
	s_delay_alu instid0(VALU_DEP_1) | instskip(NEXT) | instid1(VALU_DEP_1)
	v_mov_b32_e32 v75, v1
	v_pk_add_f32 v[252:253], v[252:253], v[74:75] neg_lo:[0,1] neg_hi:[0,1]
.LBB125_325:
	s_or_b32 exec_lo, exec_lo, s1
	s_delay_alu instid0(SALU_CYCLE_1)
	s_mov_b32 s2, exec_lo
	s_wait_dscnt 0x0
	s_barrier_signal -1
	s_barrier_wait -1
	v_cmpx_eq_u32_e32 36, v254
	s_cbranch_execz .LBB125_332
; %bb.326:
	ds_store_b64 v255, v[200:201]
	ds_store_2addr_b64 v6, v[202:203], v[204:205] offset0:37 offset1:38
	ds_store_2addr_b64 v6, v[206:207], v[208:209] offset0:39 offset1:40
	;; [unrolled: 1-line block ×13, first 2 shown]
	ds_load_b64 v[72:73], v255
	s_wait_dscnt 0x0
	v_cmp_neq_f32_e32 vcc_lo, 0, v72
	v_cmp_neq_f32_e64 s1, 0, v73
	s_or_b32 s1, vcc_lo, s1
	s_delay_alu instid0(SALU_CYCLE_1)
	s_and_b32 exec_lo, exec_lo, s1
	s_cbranch_execz .LBB125_332
; %bb.327:
	v_cmp_ngt_f32_e64 s1, |v72|, |v73|
                                        ; implicit-def: $vgpr74_vgpr75
	s_and_saveexec_b32 s4, s1
	s_delay_alu instid0(SALU_CYCLE_1)
	s_xor_b32 s1, exec_lo, s4
	s_cbranch_execz .LBB125_329
; %bb.328:
	v_div_scale_f32 v0, null, v73, v73, v72
	v_div_scale_f32 v3, vcc_lo, v72, v73, v72
	s_delay_alu instid0(VALU_DEP_2) | instskip(SKIP_1) | instid1(TRANS32_DEP_1)
	v_rcp_f32_e32 v1, v0
	v_nop
	v_fma_f32 v2, -v0, v1, 1.0
	s_delay_alu instid0(VALU_DEP_1) | instskip(NEXT) | instid1(VALU_DEP_1)
	v_fmac_f32_e32 v1, v2, v1
	v_mul_f32_e32 v2, v3, v1
	s_delay_alu instid0(VALU_DEP_1) | instskip(NEXT) | instid1(VALU_DEP_1)
	v_fma_f32 v4, -v0, v2, v3
	v_fmac_f32_e32 v2, v4, v1
	s_delay_alu instid0(VALU_DEP_1) | instskip(NEXT) | instid1(VALU_DEP_1)
	v_fma_f32 v0, -v0, v2, v3
	v_div_fmas_f32 v0, v0, v1, v2
	s_delay_alu instid0(VALU_DEP_1) | instskip(NEXT) | instid1(VALU_DEP_1)
	v_div_fixup_f32 v0, v0, v73, v72
	v_fmac_f32_e32 v73, v72, v0
	s_delay_alu instid0(VALU_DEP_1) | instskip(SKIP_1) | instid1(VALU_DEP_2)
	v_div_scale_f32 v1, null, v73, v73, 1.0
	v_div_scale_f32 v4, vcc_lo, 1.0, v73, 1.0
	v_rcp_f32_e32 v2, v1
	v_nop
	s_delay_alu instid0(TRANS32_DEP_1) | instskip(NEXT) | instid1(VALU_DEP_1)
	v_fma_f32 v3, -v1, v2, 1.0
	v_fmac_f32_e32 v2, v3, v2
	s_delay_alu instid0(VALU_DEP_1) | instskip(NEXT) | instid1(VALU_DEP_1)
	v_mul_f32_e32 v3, v4, v2
	v_fma_f32 v5, -v1, v3, v4
	s_delay_alu instid0(VALU_DEP_1) | instskip(NEXT) | instid1(VALU_DEP_1)
	v_fmac_f32_e32 v3, v5, v2
	v_fma_f32 v1, -v1, v3, v4
	s_delay_alu instid0(VALU_DEP_1) | instskip(NEXT) | instid1(VALU_DEP_1)
	v_div_fmas_f32 v1, v1, v2, v3
	v_div_fixup_f32 v1, v1, v73, 1.0
                                        ; implicit-def: $vgpr72_vgpr73
	s_delay_alu instid0(VALU_DEP_1)
	v_mul_f32_e32 v74, v0, v1
	v_xor_b32_e32 v75, 0x80000000, v1
.LBB125_329:
	s_and_not1_saveexec_b32 s1, s1
	s_cbranch_execz .LBB125_331
; %bb.330:
	v_div_scale_f32 v0, null, v72, v72, v73
	v_div_scale_f32 v3, vcc_lo, v73, v72, v73
	s_delay_alu instid0(VALU_DEP_2) | instskip(SKIP_1) | instid1(TRANS32_DEP_1)
	v_rcp_f32_e32 v1, v0
	v_nop
	v_fma_f32 v2, -v0, v1, 1.0
	s_delay_alu instid0(VALU_DEP_1) | instskip(NEXT) | instid1(VALU_DEP_1)
	v_fmac_f32_e32 v1, v2, v1
	v_mul_f32_e32 v2, v3, v1
	s_delay_alu instid0(VALU_DEP_1) | instskip(NEXT) | instid1(VALU_DEP_1)
	v_fma_f32 v4, -v0, v2, v3
	v_fmac_f32_e32 v2, v4, v1
	s_delay_alu instid0(VALU_DEP_1) | instskip(NEXT) | instid1(VALU_DEP_1)
	v_fma_f32 v0, -v0, v2, v3
	v_div_fmas_f32 v0, v0, v1, v2
	s_delay_alu instid0(VALU_DEP_1) | instskip(NEXT) | instid1(VALU_DEP_1)
	v_div_fixup_f32 v0, v0, v72, v73
	v_fmac_f32_e32 v72, v73, v0
	s_delay_alu instid0(VALU_DEP_1) | instskip(NEXT) | instid1(VALU_DEP_1)
	v_div_scale_f32 v1, null, v72, v72, 1.0
	v_rcp_f32_e32 v2, v1
	v_nop
	s_delay_alu instid0(TRANS32_DEP_1) | instskip(NEXT) | instid1(VALU_DEP_1)
	v_fma_f32 v3, -v1, v2, 1.0
	v_fmac_f32_e32 v2, v3, v2
	v_div_scale_f32 v3, vcc_lo, 1.0, v72, 1.0
	s_delay_alu instid0(VALU_DEP_1) | instskip(NEXT) | instid1(VALU_DEP_1)
	v_mul_f32_e32 v4, v3, v2
	v_fma_f32 v5, -v1, v4, v3
	s_delay_alu instid0(VALU_DEP_1) | instskip(NEXT) | instid1(VALU_DEP_1)
	v_fmac_f32_e32 v4, v5, v2
	v_fma_f32 v1, -v1, v4, v3
	s_delay_alu instid0(VALU_DEP_1) | instskip(NEXT) | instid1(VALU_DEP_1)
	v_div_fmas_f32 v1, v1, v2, v4
	v_div_fixup_f32 v74, v1, v72, 1.0
	s_delay_alu instid0(VALU_DEP_1)
	v_mul_f32_e64 v75, v0, -v74
.LBB125_331:
	s_or_b32 exec_lo, exec_lo, s1
	ds_store_b64 v255, v[74:75]
.LBB125_332:
	s_or_b32 exec_lo, exec_lo, s2
	s_wait_dscnt 0x0
	s_barrier_signal -1
	s_barrier_wait -1
	ds_load_b64 v[72:73], v255
	s_mov_b32 s1, exec_lo
	v_cmpx_lt_u32_e32 36, v254
	s_cbranch_execz .LBB125_334
; %bb.333:
	ds_load_2addr_b64 v[78:81], v6 offset0:37 offset1:38
	s_wait_dscnt 0x1
	v_pk_mul_f32 v[0:1], v[72:73], v[200:201] op_sel:[1,1] op_sel_hi:[0,1]
	s_delay_alu instid0(VALU_DEP_1) | instskip(SKIP_1) | instid1(VALU_DEP_1)
	v_pk_fma_f32 v[76:77], v[72:73], v[200:201], v[0:1] op_sel_hi:[1,0,1]
	v_pk_fma_f32 v[74:75], v[72:73], v[200:201], v[0:1] op_sel_hi:[1,0,1] neg_lo:[0,0,1] neg_hi:[0,0,1]
	v_dual_mov_b32 v201, v77 :: v_dual_mov_b32 v200, v74
	s_wait_dscnt 0x0
	s_delay_alu instid0(VALU_DEP_3) | instskip(NEXT) | instid1(VALU_DEP_1)
	v_pk_mul_f32 v[0:1], v[78:79], v[76:77] op_sel:[0,1]
	v_pk_fma_f32 v[2:3], v[78:79], v[74:75], v[0:1] op_sel:[0,0,1] op_sel_hi:[1,1,0] neg_lo:[0,0,1] neg_hi:[0,0,1]
	v_pk_fma_f32 v[0:1], v[78:79], v[74:75], v[0:1] op_sel:[0,0,1] op_sel_hi:[1,0,0]
	s_delay_alu instid0(VALU_DEP_1) | instskip(SKIP_1) | instid1(VALU_DEP_2)
	v_mov_b32_e32 v3, v1
	v_pk_mul_f32 v[0:1], v[80:81], v[76:77] op_sel:[0,1]
	v_pk_add_f32 v[202:203], v[202:203], v[2:3] neg_lo:[0,1] neg_hi:[0,1]
	s_delay_alu instid0(VALU_DEP_2) | instskip(SKIP_3) | instid1(VALU_DEP_1)
	v_pk_fma_f32 v[2:3], v[80:81], v[74:75], v[0:1] op_sel:[0,0,1] op_sel_hi:[1,1,0] neg_lo:[0,0,1] neg_hi:[0,0,1]
	v_pk_fma_f32 v[0:1], v[80:81], v[74:75], v[0:1] op_sel:[0,0,1] op_sel_hi:[1,0,0]
	ds_load_2addr_b64 v[78:81], v6 offset0:39 offset1:40
	v_mov_b32_e32 v3, v1
	v_pk_add_f32 v[204:205], v[204:205], v[2:3] neg_lo:[0,1] neg_hi:[0,1]
	s_wait_dscnt 0x0
	v_pk_mul_f32 v[0:1], v[78:79], v[76:77] op_sel:[0,1]
	s_delay_alu instid0(VALU_DEP_1) | instskip(SKIP_2) | instid1(VALU_DEP_2)
	v_pk_fma_f32 v[2:3], v[78:79], v[74:75], v[0:1] op_sel:[0,0,1] op_sel_hi:[1,1,0] neg_lo:[0,0,1] neg_hi:[0,0,1]
	v_pk_fma_f32 v[0:1], v[78:79], v[74:75], v[0:1] op_sel:[0,0,1] op_sel_hi:[1,0,0]
	v_dual_mov_b32 v0, v81 :: v_dual_mul_f32 v78, v81, v74
	v_dual_mov_b32 v3, v1 :: v_dual_mov_b32 v1, v80
	s_delay_alu instid0(VALU_DEP_1) | instskip(SKIP_1) | instid1(VALU_DEP_3)
	v_pk_add_f32 v[206:207], v[206:207], v[2:3] neg_lo:[0,1] neg_hi:[0,1]
	v_mul_f32_e32 v2, v81, v77
	v_pk_fma_f32 v[0:1], v[0:1], v[200:201], v[78:79] op_sel_hi:[1,1,0]
	s_delay_alu instid0(VALU_DEP_2) | instskip(SKIP_2) | instid1(VALU_DEP_1)
	v_pk_fma_f32 v[2:3], v[80:81], v[200:201], v[2:3] op_sel_hi:[1,1,0] neg_lo:[0,0,1] neg_hi:[0,0,1]
	ds_load_2addr_b64 v[78:81], v6 offset0:41 offset1:42
	v_mov_b32_e32 v3, v1
	v_pk_add_f32 v[208:209], v[208:209], v[2:3] neg_lo:[0,1] neg_hi:[0,1]
	s_wait_dscnt 0x0
	v_pk_mul_f32 v[0:1], v[78:79], v[76:77] op_sel:[0,1]
	s_delay_alu instid0(VALU_DEP_1) | instskip(SKIP_1) | instid1(VALU_DEP_1)
	v_pk_fma_f32 v[2:3], v[78:79], v[74:75], v[0:1] op_sel:[0,0,1] op_sel_hi:[1,1,0] neg_lo:[0,0,1] neg_hi:[0,0,1]
	v_pk_fma_f32 v[0:1], v[78:79], v[74:75], v[0:1] op_sel:[0,0,1] op_sel_hi:[1,0,0]
	v_mov_b32_e32 v3, v1
	v_pk_mul_f32 v[0:1], v[80:81], v[76:77] op_sel:[0,1]
	s_delay_alu instid0(VALU_DEP_2) | instskip(NEXT) | instid1(VALU_DEP_2)
	v_pk_add_f32 v[210:211], v[210:211], v[2:3] neg_lo:[0,1] neg_hi:[0,1]
	v_pk_fma_f32 v[2:3], v[80:81], v[74:75], v[0:1] op_sel:[0,0,1] op_sel_hi:[1,1,0] neg_lo:[0,0,1] neg_hi:[0,0,1]
	v_pk_fma_f32 v[0:1], v[80:81], v[74:75], v[0:1] op_sel:[0,0,1] op_sel_hi:[1,0,0]
	ds_load_2addr_b64 v[78:81], v6 offset0:43 offset1:44
	v_mov_b32_e32 v3, v1
	s_delay_alu instid0(VALU_DEP_1) | instskip(SKIP_2) | instid1(VALU_DEP_1)
	v_pk_add_f32 v[212:213], v[212:213], v[2:3] neg_lo:[0,1] neg_hi:[0,1]
	s_wait_dscnt 0x0
	v_pk_mul_f32 v[0:1], v[78:79], v[76:77] op_sel:[0,1]
	v_pk_fma_f32 v[2:3], v[78:79], v[74:75], v[0:1] op_sel:[0,0,1] op_sel_hi:[1,1,0] neg_lo:[0,0,1] neg_hi:[0,0,1]
	v_pk_fma_f32 v[0:1], v[78:79], v[74:75], v[0:1] op_sel:[0,0,1] op_sel_hi:[1,0,0]
	s_delay_alu instid0(VALU_DEP_1) | instskip(SKIP_1) | instid1(VALU_DEP_2)
	v_mov_b32_e32 v3, v1
	v_pk_mul_f32 v[0:1], v[80:81], v[76:77] op_sel:[0,1]
	v_pk_add_f32 v[214:215], v[214:215], v[2:3] neg_lo:[0,1] neg_hi:[0,1]
	s_delay_alu instid0(VALU_DEP_2) | instskip(SKIP_3) | instid1(VALU_DEP_1)
	v_pk_fma_f32 v[2:3], v[80:81], v[74:75], v[0:1] op_sel:[0,0,1] op_sel_hi:[1,1,0] neg_lo:[0,0,1] neg_hi:[0,0,1]
	v_pk_fma_f32 v[0:1], v[80:81], v[74:75], v[0:1] op_sel:[0,0,1] op_sel_hi:[1,0,0]
	ds_load_2addr_b64 v[78:81], v6 offset0:45 offset1:46
	v_mov_b32_e32 v3, v1
	v_pk_add_f32 v[216:217], v[216:217], v[2:3] neg_lo:[0,1] neg_hi:[0,1]
	s_wait_dscnt 0x0
	v_dual_mul_f32 v2, v79, v74 :: v_dual_mul_f32 v0, v79, v77
	s_delay_alu instid0(VALU_DEP_1) | instskip(NEXT) | instid1(VALU_DEP_2)
	v_pk_fma_f32 v[2:3], v[78:79], v[200:201], v[2:3] op_sel:[1,0,0] op_sel_hi:[0,1,0]
	v_pk_fma_f32 v[0:1], v[78:79], v[200:201], v[0:1] op_sel_hi:[1,1,0] neg_lo:[0,0,1] neg_hi:[0,0,1]
	s_delay_alu instid0(VALU_DEP_2) | instskip(NEXT) | instid1(VALU_DEP_1)
	v_mov_b32_e32 v1, v3
	v_pk_add_f32 v[218:219], v[218:219], v[0:1] neg_lo:[0,1] neg_hi:[0,1]
	v_pk_mul_f32 v[0:1], v[80:81], v[76:77] op_sel:[0,1]
	s_delay_alu instid0(VALU_DEP_1) | instskip(SKIP_3) | instid1(VALU_DEP_1)
	v_pk_fma_f32 v[2:3], v[80:81], v[74:75], v[0:1] op_sel:[0,0,1] op_sel_hi:[1,1,0] neg_lo:[0,0,1] neg_hi:[0,0,1]
	v_pk_fma_f32 v[0:1], v[80:81], v[74:75], v[0:1] op_sel:[0,0,1] op_sel_hi:[1,0,0]
	ds_load_2addr_b64 v[78:81], v6 offset0:47 offset1:48
	v_mov_b32_e32 v3, v1
	v_pk_add_f32 v[220:221], v[220:221], v[2:3] neg_lo:[0,1] neg_hi:[0,1]
	s_wait_dscnt 0x0
	v_pk_mul_f32 v[0:1], v[78:79], v[76:77] op_sel:[0,1]
	s_delay_alu instid0(VALU_DEP_1) | instskip(SKIP_1) | instid1(VALU_DEP_1)
	v_pk_fma_f32 v[2:3], v[78:79], v[74:75], v[0:1] op_sel:[0,0,1] op_sel_hi:[1,1,0] neg_lo:[0,0,1] neg_hi:[0,0,1]
	v_pk_fma_f32 v[0:1], v[78:79], v[74:75], v[0:1] op_sel:[0,0,1] op_sel_hi:[1,0,0]
	v_mov_b32_e32 v3, v1
	v_pk_mul_f32 v[0:1], v[80:81], v[76:77] op_sel:[0,1]
	s_delay_alu instid0(VALU_DEP_2) | instskip(NEXT) | instid1(VALU_DEP_2)
	v_pk_add_f32 v[222:223], v[222:223], v[2:3] neg_lo:[0,1] neg_hi:[0,1]
	v_pk_fma_f32 v[2:3], v[80:81], v[74:75], v[0:1] op_sel:[0,0,1] op_sel_hi:[1,1,0] neg_lo:[0,0,1] neg_hi:[0,0,1]
	v_pk_fma_f32 v[0:1], v[80:81], v[74:75], v[0:1] op_sel:[0,0,1] op_sel_hi:[1,0,0]
	ds_load_2addr_b64 v[78:81], v6 offset0:49 offset1:50
	v_mov_b32_e32 v3, v1
	s_delay_alu instid0(VALU_DEP_1) | instskip(SKIP_2) | instid1(VALU_DEP_1)
	v_pk_add_f32 v[224:225], v[224:225], v[2:3] neg_lo:[0,1] neg_hi:[0,1]
	s_wait_dscnt 0x0
	v_pk_mul_f32 v[0:1], v[78:79], v[76:77] op_sel:[0,1]
	v_pk_fma_f32 v[2:3], v[78:79], v[74:75], v[0:1] op_sel:[0,0,1] op_sel_hi:[1,1,0] neg_lo:[0,0,1] neg_hi:[0,0,1]
	v_pk_fma_f32 v[0:1], v[78:79], v[74:75], v[0:1] op_sel:[0,0,1] op_sel_hi:[1,0,0]
	v_dual_mov_b32 v0, v81 :: v_dual_mul_f32 v78, v81, v74
	s_delay_alu instid0(VALU_DEP_2) | instskip(NEXT) | instid1(VALU_DEP_1)
	v_dual_mov_b32 v3, v1 :: v_dual_mov_b32 v1, v80
	v_pk_add_f32 v[226:227], v[226:227], v[2:3] neg_lo:[0,1] neg_hi:[0,1]
	v_mul_f32_e32 v2, v81, v77
	s_delay_alu instid0(VALU_DEP_3) | instskip(NEXT) | instid1(VALU_DEP_2)
	v_pk_fma_f32 v[0:1], v[0:1], v[200:201], v[78:79] op_sel_hi:[1,1,0]
	v_pk_fma_f32 v[2:3], v[80:81], v[200:201], v[2:3] op_sel_hi:[1,1,0] neg_lo:[0,0,1] neg_hi:[0,0,1]
	ds_load_2addr_b64 v[78:81], v6 offset0:51 offset1:52
	v_mov_b32_e32 v3, v1
	s_delay_alu instid0(VALU_DEP_1) | instskip(SKIP_2) | instid1(VALU_DEP_1)
	v_pk_add_f32 v[228:229], v[228:229], v[2:3] neg_lo:[0,1] neg_hi:[0,1]
	s_wait_dscnt 0x0
	v_pk_mul_f32 v[0:1], v[78:79], v[76:77] op_sel:[0,1]
	v_pk_fma_f32 v[2:3], v[78:79], v[74:75], v[0:1] op_sel:[0,0,1] op_sel_hi:[1,1,0] neg_lo:[0,0,1] neg_hi:[0,0,1]
	v_pk_fma_f32 v[0:1], v[78:79], v[74:75], v[0:1] op_sel:[0,0,1] op_sel_hi:[1,0,0]
	s_delay_alu instid0(VALU_DEP_1) | instskip(SKIP_1) | instid1(VALU_DEP_2)
	v_mov_b32_e32 v3, v1
	v_pk_mul_f32 v[0:1], v[80:81], v[76:77] op_sel:[0,1]
	v_pk_add_f32 v[230:231], v[230:231], v[2:3] neg_lo:[0,1] neg_hi:[0,1]
	s_delay_alu instid0(VALU_DEP_2) | instskip(SKIP_3) | instid1(VALU_DEP_1)
	v_pk_fma_f32 v[2:3], v[80:81], v[74:75], v[0:1] op_sel:[0,0,1] op_sel_hi:[1,1,0] neg_lo:[0,0,1] neg_hi:[0,0,1]
	v_pk_fma_f32 v[0:1], v[80:81], v[74:75], v[0:1] op_sel:[0,0,1] op_sel_hi:[1,0,0]
	ds_load_2addr_b64 v[78:81], v6 offset0:53 offset1:54
	v_mov_b32_e32 v3, v1
	v_pk_add_f32 v[232:233], v[232:233], v[2:3] neg_lo:[0,1] neg_hi:[0,1]
	s_wait_dscnt 0x0
	v_pk_mul_f32 v[0:1], v[78:79], v[76:77] op_sel:[0,1]
	s_delay_alu instid0(VALU_DEP_1) | instskip(SKIP_1) | instid1(VALU_DEP_1)
	v_pk_fma_f32 v[2:3], v[78:79], v[74:75], v[0:1] op_sel:[0,0,1] op_sel_hi:[1,1,0] neg_lo:[0,0,1] neg_hi:[0,0,1]
	v_pk_fma_f32 v[0:1], v[78:79], v[74:75], v[0:1] op_sel:[0,0,1] op_sel_hi:[1,0,0]
	v_mov_b32_e32 v3, v1
	v_pk_mul_f32 v[0:1], v[80:81], v[76:77] op_sel:[0,1]
	s_delay_alu instid0(VALU_DEP_2) | instskip(NEXT) | instid1(VALU_DEP_2)
	v_pk_add_f32 v[234:235], v[234:235], v[2:3] neg_lo:[0,1] neg_hi:[0,1]
	v_pk_fma_f32 v[2:3], v[80:81], v[74:75], v[0:1] op_sel:[0,0,1] op_sel_hi:[1,1,0] neg_lo:[0,0,1] neg_hi:[0,0,1]
	v_pk_fma_f32 v[0:1], v[80:81], v[74:75], v[0:1] op_sel:[0,0,1] op_sel_hi:[1,0,0]
	ds_load_2addr_b64 v[78:81], v6 offset0:55 offset1:56
	v_mov_b32_e32 v3, v1
	s_delay_alu instid0(VALU_DEP_1) | instskip(SKIP_2) | instid1(VALU_DEP_1)
	v_pk_add_f32 v[236:237], v[236:237], v[2:3] neg_lo:[0,1] neg_hi:[0,1]
	s_wait_dscnt 0x0
	v_dual_mul_f32 v2, v79, v74 :: v_dual_mul_f32 v0, v79, v77
	v_pk_fma_f32 v[2:3], v[78:79], v[200:201], v[2:3] op_sel:[1,0,0] op_sel_hi:[0,1,0]
	s_delay_alu instid0(VALU_DEP_2) | instskip(NEXT) | instid1(VALU_DEP_2)
	v_pk_fma_f32 v[0:1], v[78:79], v[200:201], v[0:1] op_sel_hi:[1,1,0] neg_lo:[0,0,1] neg_hi:[0,0,1]
	v_mov_b32_e32 v1, v3
	s_delay_alu instid0(VALU_DEP_1) | instskip(SKIP_1) | instid1(VALU_DEP_1)
	v_pk_add_f32 v[238:239], v[238:239], v[0:1] neg_lo:[0,1] neg_hi:[0,1]
	v_pk_mul_f32 v[0:1], v[80:81], v[76:77] op_sel:[0,1]
	v_pk_fma_f32 v[2:3], v[80:81], v[74:75], v[0:1] op_sel:[0,0,1] op_sel_hi:[1,1,0] neg_lo:[0,0,1] neg_hi:[0,0,1]
	v_pk_fma_f32 v[0:1], v[80:81], v[74:75], v[0:1] op_sel:[0,0,1] op_sel_hi:[1,0,0]
	ds_load_2addr_b64 v[78:81], v6 offset0:57 offset1:58
	v_mov_b32_e32 v3, v1
	s_delay_alu instid0(VALU_DEP_1) | instskip(SKIP_2) | instid1(VALU_DEP_1)
	v_pk_add_f32 v[248:249], v[248:249], v[2:3] neg_lo:[0,1] neg_hi:[0,1]
	s_wait_dscnt 0x0
	v_pk_mul_f32 v[0:1], v[78:79], v[76:77] op_sel:[0,1]
	v_pk_fma_f32 v[2:3], v[78:79], v[74:75], v[0:1] op_sel:[0,0,1] op_sel_hi:[1,1,0] neg_lo:[0,0,1] neg_hi:[0,0,1]
	v_pk_fma_f32 v[0:1], v[78:79], v[74:75], v[0:1] op_sel:[0,0,1] op_sel_hi:[1,0,0]
	s_delay_alu instid0(VALU_DEP_1) | instskip(SKIP_1) | instid1(VALU_DEP_2)
	v_mov_b32_e32 v3, v1
	v_pk_mul_f32 v[0:1], v[80:81], v[76:77] op_sel:[0,1]
	v_pk_add_f32 v[242:243], v[242:243], v[2:3] neg_lo:[0,1] neg_hi:[0,1]
	s_delay_alu instid0(VALU_DEP_2) | instskip(SKIP_3) | instid1(VALU_DEP_1)
	v_pk_fma_f32 v[2:3], v[80:81], v[74:75], v[0:1] op_sel:[0,0,1] op_sel_hi:[1,1,0] neg_lo:[0,0,1] neg_hi:[0,0,1]
	v_pk_fma_f32 v[0:1], v[80:81], v[74:75], v[0:1] op_sel:[0,0,1] op_sel_hi:[1,0,0]
	ds_load_2addr_b64 v[78:81], v6 offset0:59 offset1:60
	v_mov_b32_e32 v3, v1
	v_pk_add_f32 v[246:247], v[246:247], v[2:3] neg_lo:[0,1] neg_hi:[0,1]
	s_wait_dscnt 0x0
	v_pk_mul_f32 v[0:1], v[78:79], v[76:77] op_sel:[0,1]
	s_delay_alu instid0(VALU_DEP_1) | instskip(SKIP_2) | instid1(VALU_DEP_2)
	v_pk_fma_f32 v[2:3], v[78:79], v[74:75], v[0:1] op_sel:[0,0,1] op_sel_hi:[1,1,0] neg_lo:[0,0,1] neg_hi:[0,0,1]
	v_pk_fma_f32 v[0:1], v[78:79], v[74:75], v[0:1] op_sel:[0,0,1] op_sel_hi:[1,0,0]
	v_dual_mov_b32 v0, v81 :: v_dual_mul_f32 v78, v81, v74
	v_dual_mov_b32 v3, v1 :: v_dual_mov_b32 v1, v80
	s_delay_alu instid0(VALU_DEP_1) | instskip(SKIP_1) | instid1(VALU_DEP_3)
	v_pk_add_f32 v[240:241], v[240:241], v[2:3] neg_lo:[0,1] neg_hi:[0,1]
	v_mul_f32_e32 v2, v81, v77
	v_pk_fma_f32 v[0:1], v[0:1], v[200:201], v[78:79] op_sel_hi:[1,1,0]
	s_delay_alu instid0(VALU_DEP_2) | instskip(SKIP_2) | instid1(VALU_DEP_1)
	v_pk_fma_f32 v[2:3], v[80:81], v[200:201], v[2:3] op_sel_hi:[1,1,0] neg_lo:[0,0,1] neg_hi:[0,0,1]
	ds_load_2addr_b64 v[78:81], v6 offset0:61 offset1:62
	v_mov_b32_e32 v3, v1
	v_pk_add_f32 v[244:245], v[244:245], v[2:3] neg_lo:[0,1] neg_hi:[0,1]
	s_wait_dscnt 0x0
	v_pk_mul_f32 v[0:1], v[78:79], v[76:77] op_sel:[0,1]
	s_delay_alu instid0(VALU_DEP_1) | instskip(SKIP_1) | instid1(VALU_DEP_1)
	v_pk_fma_f32 v[2:3], v[78:79], v[74:75], v[0:1] op_sel:[0,0,1] op_sel_hi:[1,1,0] neg_lo:[0,0,1] neg_hi:[0,0,1]
	v_pk_fma_f32 v[0:1], v[78:79], v[74:75], v[0:1] op_sel:[0,0,1] op_sel_hi:[1,0,0]
	v_mov_b32_e32 v3, v1
	v_pk_mul_f32 v[0:1], v[80:81], v[76:77] op_sel:[0,1]
	s_delay_alu instid0(VALU_DEP_2) | instskip(NEXT) | instid1(VALU_DEP_2)
	v_pk_add_f32 v[250:251], v[250:251], v[2:3] neg_lo:[0,1] neg_hi:[0,1]
	v_pk_fma_f32 v[2:3], v[80:81], v[74:75], v[0:1] op_sel:[0,0,1] op_sel_hi:[1,1,0] neg_lo:[0,0,1] neg_hi:[0,0,1]
	v_pk_fma_f32 v[0:1], v[80:81], v[74:75], v[0:1] op_sel:[0,0,1] op_sel_hi:[1,0,0]
	s_delay_alu instid0(VALU_DEP_1) | instskip(NEXT) | instid1(VALU_DEP_1)
	v_mov_b32_e32 v3, v1
	v_pk_add_f32 v[252:253], v[252:253], v[2:3] neg_lo:[0,1] neg_hi:[0,1]
.LBB125_334:
	s_or_b32 exec_lo, exec_lo, s1
	s_delay_alu instid0(SALU_CYCLE_1)
	s_mov_b32 s2, exec_lo
	s_wait_dscnt 0x0
	s_barrier_signal -1
	s_barrier_wait -1
	v_cmpx_eq_u32_e32 37, v254
	s_cbranch_execz .LBB125_341
; %bb.335:
	v_dual_mov_b32 v0, v204 :: v_dual_mov_b32 v1, v205
	v_dual_mov_b32 v2, v206 :: v_dual_mov_b32 v3, v207
	ds_store_b64 v255, v[202:203]
	ds_store_2addr_b64 v6, v[0:1], v[2:3] offset0:38 offset1:39
	v_dual_mov_b32 v0, v208 :: v_dual_mov_b32 v1, v209
	v_dual_mov_b32 v2, v210 :: v_dual_mov_b32 v3, v211
	ds_store_2addr_b64 v6, v[0:1], v[2:3] offset0:40 offset1:41
	v_dual_mov_b32 v0, v212 :: v_dual_mov_b32 v1, v213
	v_dual_mov_b32 v2, v214 :: v_dual_mov_b32 v3, v215
	;; [unrolled: 3-line block ×11, first 2 shown]
	ds_store_2addr_b64 v6, v[0:1], v[2:3] offset0:60 offset1:61
	ds_store_b64 v6, v[252:253] offset:496
	ds_load_b64 v[74:75], v255
	s_wait_dscnt 0x0
	v_cmp_neq_f32_e32 vcc_lo, 0, v74
	v_cmp_neq_f32_e64 s1, 0, v75
	s_or_b32 s1, vcc_lo, s1
	s_delay_alu instid0(SALU_CYCLE_1)
	s_and_b32 exec_lo, exec_lo, s1
	s_cbranch_execz .LBB125_341
; %bb.336:
	v_cmp_ngt_f32_e64 s1, |v74|, |v75|
                                        ; implicit-def: $vgpr76_vgpr77
	s_and_saveexec_b32 s4, s1
	s_delay_alu instid0(SALU_CYCLE_1)
	s_xor_b32 s1, exec_lo, s4
	s_cbranch_execz .LBB125_338
; %bb.337:
	v_div_scale_f32 v0, null, v75, v75, v74
	v_div_scale_f32 v3, vcc_lo, v74, v75, v74
	s_delay_alu instid0(VALU_DEP_2) | instskip(SKIP_1) | instid1(TRANS32_DEP_1)
	v_rcp_f32_e32 v1, v0
	v_nop
	v_fma_f32 v2, -v0, v1, 1.0
	s_delay_alu instid0(VALU_DEP_1) | instskip(NEXT) | instid1(VALU_DEP_1)
	v_fmac_f32_e32 v1, v2, v1
	v_mul_f32_e32 v2, v3, v1
	s_delay_alu instid0(VALU_DEP_1) | instskip(NEXT) | instid1(VALU_DEP_1)
	v_fma_f32 v4, -v0, v2, v3
	v_fmac_f32_e32 v2, v4, v1
	s_delay_alu instid0(VALU_DEP_1) | instskip(NEXT) | instid1(VALU_DEP_1)
	v_fma_f32 v0, -v0, v2, v3
	v_div_fmas_f32 v0, v0, v1, v2
	s_delay_alu instid0(VALU_DEP_1) | instskip(NEXT) | instid1(VALU_DEP_1)
	v_div_fixup_f32 v0, v0, v75, v74
	v_fmac_f32_e32 v75, v74, v0
	s_delay_alu instid0(VALU_DEP_1) | instskip(SKIP_1) | instid1(VALU_DEP_2)
	v_div_scale_f32 v1, null, v75, v75, 1.0
	v_div_scale_f32 v4, vcc_lo, 1.0, v75, 1.0
	v_rcp_f32_e32 v2, v1
	v_nop
	s_delay_alu instid0(TRANS32_DEP_1) | instskip(NEXT) | instid1(VALU_DEP_1)
	v_fma_f32 v3, -v1, v2, 1.0
	v_fmac_f32_e32 v2, v3, v2
	s_delay_alu instid0(VALU_DEP_1) | instskip(NEXT) | instid1(VALU_DEP_1)
	v_mul_f32_e32 v3, v4, v2
	v_fma_f32 v5, -v1, v3, v4
	s_delay_alu instid0(VALU_DEP_1) | instskip(NEXT) | instid1(VALU_DEP_1)
	v_fmac_f32_e32 v3, v5, v2
	v_fma_f32 v1, -v1, v3, v4
	s_delay_alu instid0(VALU_DEP_1) | instskip(NEXT) | instid1(VALU_DEP_1)
	v_div_fmas_f32 v1, v1, v2, v3
	v_div_fixup_f32 v1, v1, v75, 1.0
                                        ; implicit-def: $vgpr74_vgpr75
	s_delay_alu instid0(VALU_DEP_1)
	v_mul_f32_e32 v76, v0, v1
	v_xor_b32_e32 v77, 0x80000000, v1
.LBB125_338:
	s_and_not1_saveexec_b32 s1, s1
	s_cbranch_execz .LBB125_340
; %bb.339:
	v_div_scale_f32 v0, null, v74, v74, v75
	v_div_scale_f32 v3, vcc_lo, v75, v74, v75
	s_delay_alu instid0(VALU_DEP_2) | instskip(SKIP_1) | instid1(TRANS32_DEP_1)
	v_rcp_f32_e32 v1, v0
	v_nop
	v_fma_f32 v2, -v0, v1, 1.0
	s_delay_alu instid0(VALU_DEP_1) | instskip(NEXT) | instid1(VALU_DEP_1)
	v_fmac_f32_e32 v1, v2, v1
	v_mul_f32_e32 v2, v3, v1
	s_delay_alu instid0(VALU_DEP_1) | instskip(NEXT) | instid1(VALU_DEP_1)
	v_fma_f32 v4, -v0, v2, v3
	v_fmac_f32_e32 v2, v4, v1
	s_delay_alu instid0(VALU_DEP_1) | instskip(NEXT) | instid1(VALU_DEP_1)
	v_fma_f32 v0, -v0, v2, v3
	v_div_fmas_f32 v0, v0, v1, v2
	s_delay_alu instid0(VALU_DEP_1) | instskip(NEXT) | instid1(VALU_DEP_1)
	v_div_fixup_f32 v0, v0, v74, v75
	v_fmac_f32_e32 v74, v75, v0
	s_delay_alu instid0(VALU_DEP_1) | instskip(NEXT) | instid1(VALU_DEP_1)
	v_div_scale_f32 v1, null, v74, v74, 1.0
	v_rcp_f32_e32 v2, v1
	v_nop
	s_delay_alu instid0(TRANS32_DEP_1) | instskip(NEXT) | instid1(VALU_DEP_1)
	v_fma_f32 v3, -v1, v2, 1.0
	v_fmac_f32_e32 v2, v3, v2
	v_div_scale_f32 v3, vcc_lo, 1.0, v74, 1.0
	s_delay_alu instid0(VALU_DEP_1) | instskip(NEXT) | instid1(VALU_DEP_1)
	v_mul_f32_e32 v4, v3, v2
	v_fma_f32 v5, -v1, v4, v3
	s_delay_alu instid0(VALU_DEP_1) | instskip(NEXT) | instid1(VALU_DEP_1)
	v_fmac_f32_e32 v4, v5, v2
	v_fma_f32 v1, -v1, v4, v3
	s_delay_alu instid0(VALU_DEP_1) | instskip(NEXT) | instid1(VALU_DEP_1)
	v_div_fmas_f32 v1, v1, v2, v4
	v_div_fixup_f32 v76, v1, v74, 1.0
	s_delay_alu instid0(VALU_DEP_1)
	v_mul_f32_e64 v77, v0, -v76
.LBB125_340:
	s_or_b32 exec_lo, exec_lo, s1
	ds_store_b64 v255, v[76:77]
.LBB125_341:
	s_or_b32 exec_lo, exec_lo, s2
	s_wait_dscnt 0x0
	s_barrier_signal -1
	s_barrier_wait -1
	ds_load_b64 v[74:75], v255
	s_mov_b32 s1, exec_lo
	v_cmpx_lt_u32_e32 37, v254
	s_cbranch_execz .LBB125_343
; %bb.342:
	ds_load_2addr_b64 v[80:83], v6 offset0:38 offset1:39
	s_wait_dscnt 0x1
	v_pk_mul_f32 v[0:1], v[74:75], v[202:203] op_sel:[1,1] op_sel_hi:[0,1]
	s_delay_alu instid0(VALU_DEP_1) | instskip(SKIP_1) | instid1(VALU_DEP_1)
	v_pk_fma_f32 v[78:79], v[74:75], v[202:203], v[0:1] op_sel_hi:[1,0,1]
	v_pk_fma_f32 v[76:77], v[74:75], v[202:203], v[0:1] op_sel_hi:[1,0,1] neg_lo:[0,0,1] neg_hi:[0,0,1]
	v_dual_mov_b32 v203, v79 :: v_dual_mov_b32 v202, v76
	s_wait_dscnt 0x0
	s_delay_alu instid0(VALU_DEP_3) | instskip(NEXT) | instid1(VALU_DEP_1)
	v_pk_mul_f32 v[0:1], v[80:81], v[78:79] op_sel:[0,1]
	v_pk_fma_f32 v[2:3], v[80:81], v[76:77], v[0:1] op_sel:[0,0,1] op_sel_hi:[1,1,0] neg_lo:[0,0,1] neg_hi:[0,0,1]
	v_pk_fma_f32 v[0:1], v[80:81], v[76:77], v[0:1] op_sel:[0,0,1] op_sel_hi:[1,0,0]
	s_delay_alu instid0(VALU_DEP_1) | instskip(SKIP_1) | instid1(VALU_DEP_2)
	v_mov_b32_e32 v3, v1
	v_pk_mul_f32 v[0:1], v[82:83], v[78:79] op_sel:[0,1]
	v_pk_add_f32 v[204:205], v[204:205], v[2:3] neg_lo:[0,1] neg_hi:[0,1]
	s_delay_alu instid0(VALU_DEP_2) | instskip(SKIP_3) | instid1(VALU_DEP_1)
	v_pk_fma_f32 v[2:3], v[82:83], v[76:77], v[0:1] op_sel:[0,0,1] op_sel_hi:[1,1,0] neg_lo:[0,0,1] neg_hi:[0,0,1]
	v_pk_fma_f32 v[0:1], v[82:83], v[76:77], v[0:1] op_sel:[0,0,1] op_sel_hi:[1,0,0]
	ds_load_2addr_b64 v[80:83], v6 offset0:40 offset1:41
	v_mov_b32_e32 v3, v1
	v_pk_add_f32 v[206:207], v[206:207], v[2:3] neg_lo:[0,1] neg_hi:[0,1]
	s_wait_dscnt 0x0
	v_pk_mul_f32 v[0:1], v[80:81], v[78:79] op_sel:[0,1]
	s_delay_alu instid0(VALU_DEP_1) | instskip(SKIP_2) | instid1(VALU_DEP_2)
	v_pk_fma_f32 v[2:3], v[80:81], v[76:77], v[0:1] op_sel:[0,0,1] op_sel_hi:[1,1,0] neg_lo:[0,0,1] neg_hi:[0,0,1]
	v_pk_fma_f32 v[0:1], v[80:81], v[76:77], v[0:1] op_sel:[0,0,1] op_sel_hi:[1,0,0]
	v_dual_mov_b32 v0, v83 :: v_dual_mul_f32 v80, v83, v76
	v_dual_mov_b32 v3, v1 :: v_dual_mov_b32 v1, v82
	s_delay_alu instid0(VALU_DEP_1) | instskip(SKIP_1) | instid1(VALU_DEP_3)
	v_pk_add_f32 v[208:209], v[208:209], v[2:3] neg_lo:[0,1] neg_hi:[0,1]
	v_mul_f32_e32 v2, v83, v79
	v_pk_fma_f32 v[0:1], v[0:1], v[202:203], v[80:81] op_sel_hi:[1,1,0]
	s_delay_alu instid0(VALU_DEP_2) | instskip(SKIP_2) | instid1(VALU_DEP_1)
	v_pk_fma_f32 v[2:3], v[82:83], v[202:203], v[2:3] op_sel_hi:[1,1,0] neg_lo:[0,0,1] neg_hi:[0,0,1]
	ds_load_2addr_b64 v[80:83], v6 offset0:42 offset1:43
	v_mov_b32_e32 v3, v1
	v_pk_add_f32 v[210:211], v[210:211], v[2:3] neg_lo:[0,1] neg_hi:[0,1]
	s_wait_dscnt 0x0
	v_pk_mul_f32 v[0:1], v[80:81], v[78:79] op_sel:[0,1]
	s_delay_alu instid0(VALU_DEP_1) | instskip(SKIP_1) | instid1(VALU_DEP_1)
	v_pk_fma_f32 v[2:3], v[80:81], v[76:77], v[0:1] op_sel:[0,0,1] op_sel_hi:[1,1,0] neg_lo:[0,0,1] neg_hi:[0,0,1]
	v_pk_fma_f32 v[0:1], v[80:81], v[76:77], v[0:1] op_sel:[0,0,1] op_sel_hi:[1,0,0]
	v_mov_b32_e32 v3, v1
	v_pk_mul_f32 v[0:1], v[82:83], v[78:79] op_sel:[0,1]
	s_delay_alu instid0(VALU_DEP_2) | instskip(NEXT) | instid1(VALU_DEP_2)
	v_pk_add_f32 v[212:213], v[212:213], v[2:3] neg_lo:[0,1] neg_hi:[0,1]
	v_pk_fma_f32 v[2:3], v[82:83], v[76:77], v[0:1] op_sel:[0,0,1] op_sel_hi:[1,1,0] neg_lo:[0,0,1] neg_hi:[0,0,1]
	v_pk_fma_f32 v[0:1], v[82:83], v[76:77], v[0:1] op_sel:[0,0,1] op_sel_hi:[1,0,0]
	ds_load_2addr_b64 v[80:83], v6 offset0:44 offset1:45
	v_mov_b32_e32 v3, v1
	s_delay_alu instid0(VALU_DEP_1) | instskip(SKIP_2) | instid1(VALU_DEP_1)
	v_pk_add_f32 v[214:215], v[214:215], v[2:3] neg_lo:[0,1] neg_hi:[0,1]
	s_wait_dscnt 0x0
	v_pk_mul_f32 v[0:1], v[80:81], v[78:79] op_sel:[0,1]
	v_pk_fma_f32 v[2:3], v[80:81], v[76:77], v[0:1] op_sel:[0,0,1] op_sel_hi:[1,1,0] neg_lo:[0,0,1] neg_hi:[0,0,1]
	v_pk_fma_f32 v[0:1], v[80:81], v[76:77], v[0:1] op_sel:[0,0,1] op_sel_hi:[1,0,0]
	s_delay_alu instid0(VALU_DEP_1) | instskip(SKIP_1) | instid1(VALU_DEP_2)
	v_mov_b32_e32 v3, v1
	v_pk_mul_f32 v[0:1], v[82:83], v[78:79] op_sel:[0,1]
	v_pk_add_f32 v[216:217], v[216:217], v[2:3] neg_lo:[0,1] neg_hi:[0,1]
	s_delay_alu instid0(VALU_DEP_2) | instskip(SKIP_3) | instid1(VALU_DEP_1)
	v_pk_fma_f32 v[2:3], v[82:83], v[76:77], v[0:1] op_sel:[0,0,1] op_sel_hi:[1,1,0] neg_lo:[0,0,1] neg_hi:[0,0,1]
	v_pk_fma_f32 v[0:1], v[82:83], v[76:77], v[0:1] op_sel:[0,0,1] op_sel_hi:[1,0,0]
	ds_load_2addr_b64 v[80:83], v6 offset0:46 offset1:47
	v_mov_b32_e32 v3, v1
	v_pk_add_f32 v[218:219], v[218:219], v[2:3] neg_lo:[0,1] neg_hi:[0,1]
	s_wait_dscnt 0x0
	v_dual_mul_f32 v0, v81, v79 :: v_dual_mul_f32 v2, v81, v76
	s_delay_alu instid0(VALU_DEP_1) | instskip(NEXT) | instid1(VALU_DEP_2)
	v_pk_fma_f32 v[0:1], v[80:81], v[202:203], v[0:1] op_sel_hi:[1,1,0] neg_lo:[0,0,1] neg_hi:[0,0,1]
	v_pk_fma_f32 v[2:3], v[80:81], v[202:203], v[2:3] op_sel:[1,0,0] op_sel_hi:[0,1,0]
	s_delay_alu instid0(VALU_DEP_1) | instskip(NEXT) | instid1(VALU_DEP_1)
	v_mov_b32_e32 v1, v3
	v_pk_add_f32 v[220:221], v[220:221], v[0:1] neg_lo:[0,1] neg_hi:[0,1]
	v_pk_mul_f32 v[0:1], v[82:83], v[78:79] op_sel:[0,1]
	s_delay_alu instid0(VALU_DEP_1) | instskip(SKIP_3) | instid1(VALU_DEP_1)
	v_pk_fma_f32 v[2:3], v[82:83], v[76:77], v[0:1] op_sel:[0,0,1] op_sel_hi:[1,1,0] neg_lo:[0,0,1] neg_hi:[0,0,1]
	v_pk_fma_f32 v[0:1], v[82:83], v[76:77], v[0:1] op_sel:[0,0,1] op_sel_hi:[1,0,0]
	ds_load_2addr_b64 v[80:83], v6 offset0:48 offset1:49
	v_mov_b32_e32 v3, v1
	v_pk_add_f32 v[222:223], v[222:223], v[2:3] neg_lo:[0,1] neg_hi:[0,1]
	s_wait_dscnt 0x0
	v_pk_mul_f32 v[0:1], v[80:81], v[78:79] op_sel:[0,1]
	s_delay_alu instid0(VALU_DEP_1) | instskip(SKIP_1) | instid1(VALU_DEP_1)
	v_pk_fma_f32 v[2:3], v[80:81], v[76:77], v[0:1] op_sel:[0,0,1] op_sel_hi:[1,1,0] neg_lo:[0,0,1] neg_hi:[0,0,1]
	v_pk_fma_f32 v[0:1], v[80:81], v[76:77], v[0:1] op_sel:[0,0,1] op_sel_hi:[1,0,0]
	v_mov_b32_e32 v3, v1
	v_pk_mul_f32 v[0:1], v[82:83], v[78:79] op_sel:[0,1]
	s_delay_alu instid0(VALU_DEP_2) | instskip(NEXT) | instid1(VALU_DEP_2)
	v_pk_add_f32 v[224:225], v[224:225], v[2:3] neg_lo:[0,1] neg_hi:[0,1]
	v_pk_fma_f32 v[2:3], v[82:83], v[76:77], v[0:1] op_sel:[0,0,1] op_sel_hi:[1,1,0] neg_lo:[0,0,1] neg_hi:[0,0,1]
	v_pk_fma_f32 v[0:1], v[82:83], v[76:77], v[0:1] op_sel:[0,0,1] op_sel_hi:[1,0,0]
	ds_load_2addr_b64 v[80:83], v6 offset0:50 offset1:51
	v_mov_b32_e32 v3, v1
	s_delay_alu instid0(VALU_DEP_1) | instskip(SKIP_2) | instid1(VALU_DEP_1)
	v_pk_add_f32 v[226:227], v[226:227], v[2:3] neg_lo:[0,1] neg_hi:[0,1]
	s_wait_dscnt 0x0
	v_pk_mul_f32 v[0:1], v[80:81], v[78:79] op_sel:[0,1]
	v_pk_fma_f32 v[2:3], v[80:81], v[76:77], v[0:1] op_sel:[0,0,1] op_sel_hi:[1,1,0] neg_lo:[0,0,1] neg_hi:[0,0,1]
	v_pk_fma_f32 v[0:1], v[80:81], v[76:77], v[0:1] op_sel:[0,0,1] op_sel_hi:[1,0,0]
	v_dual_mov_b32 v0, v83 :: v_dual_mul_f32 v80, v83, v76
	s_delay_alu instid0(VALU_DEP_2) | instskip(NEXT) | instid1(VALU_DEP_1)
	v_dual_mov_b32 v3, v1 :: v_dual_mov_b32 v1, v82
	v_pk_add_f32 v[228:229], v[228:229], v[2:3] neg_lo:[0,1] neg_hi:[0,1]
	v_mul_f32_e32 v2, v83, v79
	s_delay_alu instid0(VALU_DEP_3) | instskip(NEXT) | instid1(VALU_DEP_2)
	v_pk_fma_f32 v[0:1], v[0:1], v[202:203], v[80:81] op_sel_hi:[1,1,0]
	v_pk_fma_f32 v[2:3], v[82:83], v[202:203], v[2:3] op_sel_hi:[1,1,0] neg_lo:[0,0,1] neg_hi:[0,0,1]
	ds_load_2addr_b64 v[80:83], v6 offset0:52 offset1:53
	v_mov_b32_e32 v3, v1
	s_delay_alu instid0(VALU_DEP_1) | instskip(SKIP_2) | instid1(VALU_DEP_1)
	v_pk_add_f32 v[230:231], v[230:231], v[2:3] neg_lo:[0,1] neg_hi:[0,1]
	s_wait_dscnt 0x0
	v_pk_mul_f32 v[0:1], v[80:81], v[78:79] op_sel:[0,1]
	v_pk_fma_f32 v[2:3], v[80:81], v[76:77], v[0:1] op_sel:[0,0,1] op_sel_hi:[1,1,0] neg_lo:[0,0,1] neg_hi:[0,0,1]
	v_pk_fma_f32 v[0:1], v[80:81], v[76:77], v[0:1] op_sel:[0,0,1] op_sel_hi:[1,0,0]
	s_delay_alu instid0(VALU_DEP_1) | instskip(SKIP_1) | instid1(VALU_DEP_2)
	v_mov_b32_e32 v3, v1
	v_pk_mul_f32 v[0:1], v[82:83], v[78:79] op_sel:[0,1]
	v_pk_add_f32 v[232:233], v[232:233], v[2:3] neg_lo:[0,1] neg_hi:[0,1]
	s_delay_alu instid0(VALU_DEP_2) | instskip(SKIP_3) | instid1(VALU_DEP_1)
	v_pk_fma_f32 v[2:3], v[82:83], v[76:77], v[0:1] op_sel:[0,0,1] op_sel_hi:[1,1,0] neg_lo:[0,0,1] neg_hi:[0,0,1]
	v_pk_fma_f32 v[0:1], v[82:83], v[76:77], v[0:1] op_sel:[0,0,1] op_sel_hi:[1,0,0]
	ds_load_2addr_b64 v[80:83], v6 offset0:54 offset1:55
	v_mov_b32_e32 v3, v1
	v_pk_add_f32 v[234:235], v[234:235], v[2:3] neg_lo:[0,1] neg_hi:[0,1]
	s_wait_dscnt 0x0
	v_pk_mul_f32 v[0:1], v[80:81], v[78:79] op_sel:[0,1]
	s_delay_alu instid0(VALU_DEP_1) | instskip(SKIP_1) | instid1(VALU_DEP_1)
	v_pk_fma_f32 v[2:3], v[80:81], v[76:77], v[0:1] op_sel:[0,0,1] op_sel_hi:[1,1,0] neg_lo:[0,0,1] neg_hi:[0,0,1]
	v_pk_fma_f32 v[0:1], v[80:81], v[76:77], v[0:1] op_sel:[0,0,1] op_sel_hi:[1,0,0]
	v_mov_b32_e32 v3, v1
	v_pk_mul_f32 v[0:1], v[82:83], v[78:79] op_sel:[0,1]
	s_delay_alu instid0(VALU_DEP_2) | instskip(NEXT) | instid1(VALU_DEP_2)
	v_pk_add_f32 v[236:237], v[236:237], v[2:3] neg_lo:[0,1] neg_hi:[0,1]
	v_pk_fma_f32 v[2:3], v[82:83], v[76:77], v[0:1] op_sel:[0,0,1] op_sel_hi:[1,1,0] neg_lo:[0,0,1] neg_hi:[0,0,1]
	v_pk_fma_f32 v[0:1], v[82:83], v[76:77], v[0:1] op_sel:[0,0,1] op_sel_hi:[1,0,0]
	ds_load_2addr_b64 v[80:83], v6 offset0:56 offset1:57
	v_mov_b32_e32 v3, v1
	s_delay_alu instid0(VALU_DEP_1) | instskip(SKIP_2) | instid1(VALU_DEP_1)
	v_pk_add_f32 v[238:239], v[238:239], v[2:3] neg_lo:[0,1] neg_hi:[0,1]
	s_wait_dscnt 0x0
	v_dual_mul_f32 v2, v81, v76 :: v_dual_mul_f32 v0, v81, v79
	v_pk_fma_f32 v[2:3], v[80:81], v[202:203], v[2:3] op_sel:[1,0,0] op_sel_hi:[0,1,0]
	s_delay_alu instid0(VALU_DEP_2) | instskip(NEXT) | instid1(VALU_DEP_2)
	v_pk_fma_f32 v[0:1], v[80:81], v[202:203], v[0:1] op_sel_hi:[1,1,0] neg_lo:[0,0,1] neg_hi:[0,0,1]
	v_mov_b32_e32 v1, v3
	s_delay_alu instid0(VALU_DEP_1) | instskip(SKIP_1) | instid1(VALU_DEP_1)
	v_pk_add_f32 v[248:249], v[248:249], v[0:1] neg_lo:[0,1] neg_hi:[0,1]
	v_pk_mul_f32 v[0:1], v[82:83], v[78:79] op_sel:[0,1]
	v_pk_fma_f32 v[2:3], v[82:83], v[76:77], v[0:1] op_sel:[0,0,1] op_sel_hi:[1,1,0] neg_lo:[0,0,1] neg_hi:[0,0,1]
	v_pk_fma_f32 v[0:1], v[82:83], v[76:77], v[0:1] op_sel:[0,0,1] op_sel_hi:[1,0,0]
	ds_load_2addr_b64 v[80:83], v6 offset0:58 offset1:59
	v_mov_b32_e32 v3, v1
	s_delay_alu instid0(VALU_DEP_1) | instskip(SKIP_2) | instid1(VALU_DEP_1)
	v_pk_add_f32 v[242:243], v[242:243], v[2:3] neg_lo:[0,1] neg_hi:[0,1]
	s_wait_dscnt 0x0
	v_pk_mul_f32 v[0:1], v[80:81], v[78:79] op_sel:[0,1]
	v_pk_fma_f32 v[2:3], v[80:81], v[76:77], v[0:1] op_sel:[0,0,1] op_sel_hi:[1,1,0] neg_lo:[0,0,1] neg_hi:[0,0,1]
	v_pk_fma_f32 v[0:1], v[80:81], v[76:77], v[0:1] op_sel:[0,0,1] op_sel_hi:[1,0,0]
	s_delay_alu instid0(VALU_DEP_1) | instskip(SKIP_1) | instid1(VALU_DEP_2)
	v_mov_b32_e32 v3, v1
	v_pk_mul_f32 v[0:1], v[82:83], v[78:79] op_sel:[0,1]
	v_pk_add_f32 v[246:247], v[246:247], v[2:3] neg_lo:[0,1] neg_hi:[0,1]
	s_delay_alu instid0(VALU_DEP_2) | instskip(SKIP_3) | instid1(VALU_DEP_1)
	v_pk_fma_f32 v[2:3], v[82:83], v[76:77], v[0:1] op_sel:[0,0,1] op_sel_hi:[1,1,0] neg_lo:[0,0,1] neg_hi:[0,0,1]
	v_pk_fma_f32 v[0:1], v[82:83], v[76:77], v[0:1] op_sel:[0,0,1] op_sel_hi:[1,0,0]
	ds_load_2addr_b64 v[80:83], v6 offset0:60 offset1:61
	v_mov_b32_e32 v3, v1
	v_pk_add_f32 v[240:241], v[240:241], v[2:3] neg_lo:[0,1] neg_hi:[0,1]
	s_wait_dscnt 0x0
	v_pk_mul_f32 v[0:1], v[80:81], v[78:79] op_sel:[0,1]
	s_delay_alu instid0(VALU_DEP_1) | instskip(SKIP_2) | instid1(VALU_DEP_2)
	v_pk_fma_f32 v[2:3], v[80:81], v[76:77], v[0:1] op_sel:[0,0,1] op_sel_hi:[1,1,0] neg_lo:[0,0,1] neg_hi:[0,0,1]
	v_pk_fma_f32 v[0:1], v[80:81], v[76:77], v[0:1] op_sel:[0,0,1] op_sel_hi:[1,0,0]
	v_dual_mov_b32 v0, v83 :: v_dual_mul_f32 v80, v83, v76
	v_dual_mov_b32 v3, v1 :: v_dual_mov_b32 v1, v82
	s_delay_alu instid0(VALU_DEP_1) | instskip(SKIP_1) | instid1(VALU_DEP_3)
	v_pk_add_f32 v[244:245], v[244:245], v[2:3] neg_lo:[0,1] neg_hi:[0,1]
	v_mul_f32_e32 v2, v83, v79
	v_pk_fma_f32 v[0:1], v[0:1], v[202:203], v[80:81] op_sel_hi:[1,1,0]
	s_delay_alu instid0(VALU_DEP_2) | instskip(NEXT) | instid1(VALU_DEP_2)
	v_pk_fma_f32 v[2:3], v[82:83], v[202:203], v[2:3] op_sel_hi:[1,1,0] neg_lo:[0,0,1] neg_hi:[0,0,1]
	v_mov_b32_e32 v3, v1
	ds_load_b64 v[0:1], v6 offset:496
	v_pk_add_f32 v[250:251], v[250:251], v[2:3] neg_lo:[0,1] neg_hi:[0,1]
	s_wait_dscnt 0x0
	v_pk_mul_f32 v[2:3], v[0:1], v[78:79] op_sel:[0,1]
	s_delay_alu instid0(VALU_DEP_1) | instskip(SKIP_1) | instid1(VALU_DEP_1)
	v_pk_fma_f32 v[78:79], v[0:1], v[76:77], v[2:3] op_sel:[0,0,1] op_sel_hi:[1,1,0] neg_lo:[0,0,1] neg_hi:[0,0,1]
	v_pk_fma_f32 v[0:1], v[0:1], v[76:77], v[2:3] op_sel:[0,0,1] op_sel_hi:[1,0,0]
	v_mov_b32_e32 v79, v1
	s_delay_alu instid0(VALU_DEP_1)
	v_pk_add_f32 v[252:253], v[252:253], v[78:79] neg_lo:[0,1] neg_hi:[0,1]
.LBB125_343:
	s_or_b32 exec_lo, exec_lo, s1
	s_delay_alu instid0(SALU_CYCLE_1)
	s_mov_b32 s2, exec_lo
	s_wait_dscnt 0x0
	s_barrier_signal -1
	s_barrier_wait -1
	v_cmpx_eq_u32_e32 38, v254
	s_cbranch_execz .LBB125_350
; %bb.344:
	ds_store_b64 v255, v[204:205]
	ds_store_2addr_b64 v6, v[206:207], v[208:209] offset0:39 offset1:40
	ds_store_2addr_b64 v6, v[210:211], v[212:213] offset0:41 offset1:42
	;; [unrolled: 1-line block ×12, first 2 shown]
	ds_load_b64 v[76:77], v255
	s_wait_dscnt 0x0
	v_cmp_neq_f32_e32 vcc_lo, 0, v76
	v_cmp_neq_f32_e64 s1, 0, v77
	s_or_b32 s1, vcc_lo, s1
	s_delay_alu instid0(SALU_CYCLE_1)
	s_and_b32 exec_lo, exec_lo, s1
	s_cbranch_execz .LBB125_350
; %bb.345:
	v_cmp_ngt_f32_e64 s1, |v76|, |v77|
                                        ; implicit-def: $vgpr78_vgpr79
	s_and_saveexec_b32 s4, s1
	s_delay_alu instid0(SALU_CYCLE_1)
	s_xor_b32 s1, exec_lo, s4
	s_cbranch_execz .LBB125_347
; %bb.346:
	v_div_scale_f32 v0, null, v77, v77, v76
	v_div_scale_f32 v3, vcc_lo, v76, v77, v76
	s_delay_alu instid0(VALU_DEP_2) | instskip(SKIP_1) | instid1(TRANS32_DEP_1)
	v_rcp_f32_e32 v1, v0
	v_nop
	v_fma_f32 v2, -v0, v1, 1.0
	s_delay_alu instid0(VALU_DEP_1) | instskip(NEXT) | instid1(VALU_DEP_1)
	v_fmac_f32_e32 v1, v2, v1
	v_mul_f32_e32 v2, v3, v1
	s_delay_alu instid0(VALU_DEP_1) | instskip(NEXT) | instid1(VALU_DEP_1)
	v_fma_f32 v4, -v0, v2, v3
	v_fmac_f32_e32 v2, v4, v1
	s_delay_alu instid0(VALU_DEP_1) | instskip(NEXT) | instid1(VALU_DEP_1)
	v_fma_f32 v0, -v0, v2, v3
	v_div_fmas_f32 v0, v0, v1, v2
	s_delay_alu instid0(VALU_DEP_1) | instskip(NEXT) | instid1(VALU_DEP_1)
	v_div_fixup_f32 v0, v0, v77, v76
	v_fmac_f32_e32 v77, v76, v0
	s_delay_alu instid0(VALU_DEP_1) | instskip(SKIP_1) | instid1(VALU_DEP_2)
	v_div_scale_f32 v1, null, v77, v77, 1.0
	v_div_scale_f32 v4, vcc_lo, 1.0, v77, 1.0
	v_rcp_f32_e32 v2, v1
	v_nop
	s_delay_alu instid0(TRANS32_DEP_1) | instskip(NEXT) | instid1(VALU_DEP_1)
	v_fma_f32 v3, -v1, v2, 1.0
	v_fmac_f32_e32 v2, v3, v2
	s_delay_alu instid0(VALU_DEP_1) | instskip(NEXT) | instid1(VALU_DEP_1)
	v_mul_f32_e32 v3, v4, v2
	v_fma_f32 v5, -v1, v3, v4
	s_delay_alu instid0(VALU_DEP_1) | instskip(NEXT) | instid1(VALU_DEP_1)
	v_fmac_f32_e32 v3, v5, v2
	v_fma_f32 v1, -v1, v3, v4
	s_delay_alu instid0(VALU_DEP_1) | instskip(NEXT) | instid1(VALU_DEP_1)
	v_div_fmas_f32 v1, v1, v2, v3
	v_div_fixup_f32 v1, v1, v77, 1.0
                                        ; implicit-def: $vgpr76_vgpr77
	s_delay_alu instid0(VALU_DEP_1)
	v_mul_f32_e32 v78, v0, v1
	v_xor_b32_e32 v79, 0x80000000, v1
.LBB125_347:
	s_and_not1_saveexec_b32 s1, s1
	s_cbranch_execz .LBB125_349
; %bb.348:
	v_div_scale_f32 v0, null, v76, v76, v77
	v_div_scale_f32 v3, vcc_lo, v77, v76, v77
	s_delay_alu instid0(VALU_DEP_2) | instskip(SKIP_1) | instid1(TRANS32_DEP_1)
	v_rcp_f32_e32 v1, v0
	v_nop
	v_fma_f32 v2, -v0, v1, 1.0
	s_delay_alu instid0(VALU_DEP_1) | instskip(NEXT) | instid1(VALU_DEP_1)
	v_fmac_f32_e32 v1, v2, v1
	v_mul_f32_e32 v2, v3, v1
	s_delay_alu instid0(VALU_DEP_1) | instskip(NEXT) | instid1(VALU_DEP_1)
	v_fma_f32 v4, -v0, v2, v3
	v_fmac_f32_e32 v2, v4, v1
	s_delay_alu instid0(VALU_DEP_1) | instskip(NEXT) | instid1(VALU_DEP_1)
	v_fma_f32 v0, -v0, v2, v3
	v_div_fmas_f32 v0, v0, v1, v2
	s_delay_alu instid0(VALU_DEP_1) | instskip(NEXT) | instid1(VALU_DEP_1)
	v_div_fixup_f32 v0, v0, v76, v77
	v_fmac_f32_e32 v76, v77, v0
	s_delay_alu instid0(VALU_DEP_1) | instskip(NEXT) | instid1(VALU_DEP_1)
	v_div_scale_f32 v1, null, v76, v76, 1.0
	v_rcp_f32_e32 v2, v1
	v_nop
	s_delay_alu instid0(TRANS32_DEP_1) | instskip(NEXT) | instid1(VALU_DEP_1)
	v_fma_f32 v3, -v1, v2, 1.0
	v_fmac_f32_e32 v2, v3, v2
	v_div_scale_f32 v3, vcc_lo, 1.0, v76, 1.0
	s_delay_alu instid0(VALU_DEP_1) | instskip(NEXT) | instid1(VALU_DEP_1)
	v_mul_f32_e32 v4, v3, v2
	v_fma_f32 v5, -v1, v4, v3
	s_delay_alu instid0(VALU_DEP_1) | instskip(NEXT) | instid1(VALU_DEP_1)
	v_fmac_f32_e32 v4, v5, v2
	v_fma_f32 v1, -v1, v4, v3
	s_delay_alu instid0(VALU_DEP_1) | instskip(NEXT) | instid1(VALU_DEP_1)
	v_div_fmas_f32 v1, v1, v2, v4
	v_div_fixup_f32 v78, v1, v76, 1.0
	s_delay_alu instid0(VALU_DEP_1)
	v_mul_f32_e64 v79, v0, -v78
.LBB125_349:
	s_or_b32 exec_lo, exec_lo, s1
	ds_store_b64 v255, v[78:79]
.LBB125_350:
	s_or_b32 exec_lo, exec_lo, s2
	s_wait_dscnt 0x0
	s_barrier_signal -1
	s_barrier_wait -1
	ds_load_b64 v[76:77], v255
	s_mov_b32 s1, exec_lo
	v_cmpx_lt_u32_e32 38, v254
	s_cbranch_execz .LBB125_352
; %bb.351:
	ds_load_2addr_b64 v[82:85], v6 offset0:39 offset1:40
	s_wait_dscnt 0x1
	v_pk_mul_f32 v[0:1], v[76:77], v[204:205] op_sel:[1,1] op_sel_hi:[0,1]
	s_delay_alu instid0(VALU_DEP_1) | instskip(SKIP_1) | instid1(VALU_DEP_1)
	v_pk_fma_f32 v[80:81], v[76:77], v[204:205], v[0:1] op_sel_hi:[1,0,1]
	v_pk_fma_f32 v[78:79], v[76:77], v[204:205], v[0:1] op_sel_hi:[1,0,1] neg_lo:[0,0,1] neg_hi:[0,0,1]
	v_dual_mov_b32 v205, v81 :: v_dual_mov_b32 v204, v78
	s_wait_dscnt 0x0
	s_delay_alu instid0(VALU_DEP_3) | instskip(NEXT) | instid1(VALU_DEP_1)
	v_pk_mul_f32 v[0:1], v[82:83], v[80:81] op_sel:[0,1]
	v_pk_fma_f32 v[2:3], v[82:83], v[78:79], v[0:1] op_sel:[0,0,1] op_sel_hi:[1,1,0] neg_lo:[0,0,1] neg_hi:[0,0,1]
	v_pk_fma_f32 v[0:1], v[82:83], v[78:79], v[0:1] op_sel:[0,0,1] op_sel_hi:[1,0,0]
	s_delay_alu instid0(VALU_DEP_1) | instskip(SKIP_1) | instid1(VALU_DEP_2)
	v_mov_b32_e32 v3, v1
	v_pk_mul_f32 v[0:1], v[84:85], v[80:81] op_sel:[0,1]
	v_pk_add_f32 v[206:207], v[206:207], v[2:3] neg_lo:[0,1] neg_hi:[0,1]
	s_delay_alu instid0(VALU_DEP_2) | instskip(SKIP_3) | instid1(VALU_DEP_1)
	v_pk_fma_f32 v[2:3], v[84:85], v[78:79], v[0:1] op_sel:[0,0,1] op_sel_hi:[1,1,0] neg_lo:[0,0,1] neg_hi:[0,0,1]
	v_pk_fma_f32 v[0:1], v[84:85], v[78:79], v[0:1] op_sel:[0,0,1] op_sel_hi:[1,0,0]
	ds_load_2addr_b64 v[82:85], v6 offset0:41 offset1:42
	v_mov_b32_e32 v3, v1
	v_pk_add_f32 v[208:209], v[208:209], v[2:3] neg_lo:[0,1] neg_hi:[0,1]
	s_wait_dscnt 0x0
	v_pk_mul_f32 v[0:1], v[82:83], v[80:81] op_sel:[0,1]
	s_delay_alu instid0(VALU_DEP_1) | instskip(SKIP_2) | instid1(VALU_DEP_2)
	v_pk_fma_f32 v[2:3], v[82:83], v[78:79], v[0:1] op_sel:[0,0,1] op_sel_hi:[1,1,0] neg_lo:[0,0,1] neg_hi:[0,0,1]
	v_pk_fma_f32 v[0:1], v[82:83], v[78:79], v[0:1] op_sel:[0,0,1] op_sel_hi:[1,0,0]
	v_dual_mov_b32 v0, v85 :: v_dual_mul_f32 v82, v85, v78
	v_dual_mov_b32 v3, v1 :: v_dual_mov_b32 v1, v84
	s_delay_alu instid0(VALU_DEP_1) | instskip(SKIP_1) | instid1(VALU_DEP_3)
	v_pk_add_f32 v[210:211], v[210:211], v[2:3] neg_lo:[0,1] neg_hi:[0,1]
	v_mul_f32_e32 v2, v85, v81
	v_pk_fma_f32 v[0:1], v[0:1], v[204:205], v[82:83] op_sel_hi:[1,1,0]
	s_delay_alu instid0(VALU_DEP_2) | instskip(SKIP_2) | instid1(VALU_DEP_1)
	v_pk_fma_f32 v[2:3], v[84:85], v[204:205], v[2:3] op_sel_hi:[1,1,0] neg_lo:[0,0,1] neg_hi:[0,0,1]
	ds_load_2addr_b64 v[82:85], v6 offset0:43 offset1:44
	v_mov_b32_e32 v3, v1
	v_pk_add_f32 v[212:213], v[212:213], v[2:3] neg_lo:[0,1] neg_hi:[0,1]
	s_wait_dscnt 0x0
	v_pk_mul_f32 v[0:1], v[82:83], v[80:81] op_sel:[0,1]
	s_delay_alu instid0(VALU_DEP_1) | instskip(SKIP_1) | instid1(VALU_DEP_1)
	v_pk_fma_f32 v[2:3], v[82:83], v[78:79], v[0:1] op_sel:[0,0,1] op_sel_hi:[1,1,0] neg_lo:[0,0,1] neg_hi:[0,0,1]
	v_pk_fma_f32 v[0:1], v[82:83], v[78:79], v[0:1] op_sel:[0,0,1] op_sel_hi:[1,0,0]
	v_mov_b32_e32 v3, v1
	v_pk_mul_f32 v[0:1], v[84:85], v[80:81] op_sel:[0,1]
	s_delay_alu instid0(VALU_DEP_2) | instskip(NEXT) | instid1(VALU_DEP_2)
	v_pk_add_f32 v[214:215], v[214:215], v[2:3] neg_lo:[0,1] neg_hi:[0,1]
	v_pk_fma_f32 v[2:3], v[84:85], v[78:79], v[0:1] op_sel:[0,0,1] op_sel_hi:[1,1,0] neg_lo:[0,0,1] neg_hi:[0,0,1]
	v_pk_fma_f32 v[0:1], v[84:85], v[78:79], v[0:1] op_sel:[0,0,1] op_sel_hi:[1,0,0]
	ds_load_2addr_b64 v[82:85], v6 offset0:45 offset1:46
	v_mov_b32_e32 v3, v1
	s_delay_alu instid0(VALU_DEP_1) | instskip(SKIP_2) | instid1(VALU_DEP_1)
	v_pk_add_f32 v[216:217], v[216:217], v[2:3] neg_lo:[0,1] neg_hi:[0,1]
	s_wait_dscnt 0x0
	v_pk_mul_f32 v[0:1], v[82:83], v[80:81] op_sel:[0,1]
	v_pk_fma_f32 v[2:3], v[82:83], v[78:79], v[0:1] op_sel:[0,0,1] op_sel_hi:[1,1,0] neg_lo:[0,0,1] neg_hi:[0,0,1]
	v_pk_fma_f32 v[0:1], v[82:83], v[78:79], v[0:1] op_sel:[0,0,1] op_sel_hi:[1,0,0]
	s_delay_alu instid0(VALU_DEP_1) | instskip(SKIP_1) | instid1(VALU_DEP_2)
	v_mov_b32_e32 v3, v1
	v_pk_mul_f32 v[0:1], v[84:85], v[80:81] op_sel:[0,1]
	v_pk_add_f32 v[218:219], v[218:219], v[2:3] neg_lo:[0,1] neg_hi:[0,1]
	s_delay_alu instid0(VALU_DEP_2) | instskip(SKIP_3) | instid1(VALU_DEP_1)
	v_pk_fma_f32 v[2:3], v[84:85], v[78:79], v[0:1] op_sel:[0,0,1] op_sel_hi:[1,1,0] neg_lo:[0,0,1] neg_hi:[0,0,1]
	v_pk_fma_f32 v[0:1], v[84:85], v[78:79], v[0:1] op_sel:[0,0,1] op_sel_hi:[1,0,0]
	ds_load_2addr_b64 v[82:85], v6 offset0:47 offset1:48
	v_mov_b32_e32 v3, v1
	v_pk_add_f32 v[220:221], v[220:221], v[2:3] neg_lo:[0,1] neg_hi:[0,1]
	s_wait_dscnt 0x0
	v_dual_mul_f32 v2, v83, v78 :: v_dual_mul_f32 v0, v83, v81
	s_delay_alu instid0(VALU_DEP_1) | instskip(NEXT) | instid1(VALU_DEP_2)
	v_pk_fma_f32 v[2:3], v[82:83], v[204:205], v[2:3] op_sel:[1,0,0] op_sel_hi:[0,1,0]
	v_pk_fma_f32 v[0:1], v[82:83], v[204:205], v[0:1] op_sel_hi:[1,1,0] neg_lo:[0,0,1] neg_hi:[0,0,1]
	s_delay_alu instid0(VALU_DEP_2) | instskip(NEXT) | instid1(VALU_DEP_1)
	v_mov_b32_e32 v1, v3
	v_pk_add_f32 v[222:223], v[222:223], v[0:1] neg_lo:[0,1] neg_hi:[0,1]
	v_pk_mul_f32 v[0:1], v[84:85], v[80:81] op_sel:[0,1]
	s_delay_alu instid0(VALU_DEP_1) | instskip(SKIP_3) | instid1(VALU_DEP_1)
	v_pk_fma_f32 v[2:3], v[84:85], v[78:79], v[0:1] op_sel:[0,0,1] op_sel_hi:[1,1,0] neg_lo:[0,0,1] neg_hi:[0,0,1]
	v_pk_fma_f32 v[0:1], v[84:85], v[78:79], v[0:1] op_sel:[0,0,1] op_sel_hi:[1,0,0]
	ds_load_2addr_b64 v[82:85], v6 offset0:49 offset1:50
	v_mov_b32_e32 v3, v1
	v_pk_add_f32 v[224:225], v[224:225], v[2:3] neg_lo:[0,1] neg_hi:[0,1]
	s_wait_dscnt 0x0
	v_pk_mul_f32 v[0:1], v[82:83], v[80:81] op_sel:[0,1]
	s_delay_alu instid0(VALU_DEP_1) | instskip(SKIP_1) | instid1(VALU_DEP_1)
	v_pk_fma_f32 v[2:3], v[82:83], v[78:79], v[0:1] op_sel:[0,0,1] op_sel_hi:[1,1,0] neg_lo:[0,0,1] neg_hi:[0,0,1]
	v_pk_fma_f32 v[0:1], v[82:83], v[78:79], v[0:1] op_sel:[0,0,1] op_sel_hi:[1,0,0]
	v_mov_b32_e32 v3, v1
	v_pk_mul_f32 v[0:1], v[84:85], v[80:81] op_sel:[0,1]
	s_delay_alu instid0(VALU_DEP_2) | instskip(NEXT) | instid1(VALU_DEP_2)
	v_pk_add_f32 v[226:227], v[226:227], v[2:3] neg_lo:[0,1] neg_hi:[0,1]
	v_pk_fma_f32 v[2:3], v[84:85], v[78:79], v[0:1] op_sel:[0,0,1] op_sel_hi:[1,1,0] neg_lo:[0,0,1] neg_hi:[0,0,1]
	v_pk_fma_f32 v[0:1], v[84:85], v[78:79], v[0:1] op_sel:[0,0,1] op_sel_hi:[1,0,0]
	ds_load_2addr_b64 v[82:85], v6 offset0:51 offset1:52
	v_mov_b32_e32 v3, v1
	s_delay_alu instid0(VALU_DEP_1) | instskip(SKIP_2) | instid1(VALU_DEP_1)
	v_pk_add_f32 v[228:229], v[228:229], v[2:3] neg_lo:[0,1] neg_hi:[0,1]
	s_wait_dscnt 0x0
	v_pk_mul_f32 v[0:1], v[82:83], v[80:81] op_sel:[0,1]
	v_pk_fma_f32 v[2:3], v[82:83], v[78:79], v[0:1] op_sel:[0,0,1] op_sel_hi:[1,1,0] neg_lo:[0,0,1] neg_hi:[0,0,1]
	v_pk_fma_f32 v[0:1], v[82:83], v[78:79], v[0:1] op_sel:[0,0,1] op_sel_hi:[1,0,0]
	v_dual_mov_b32 v0, v85 :: v_dual_mul_f32 v82, v85, v78
	s_delay_alu instid0(VALU_DEP_2) | instskip(NEXT) | instid1(VALU_DEP_1)
	v_dual_mov_b32 v3, v1 :: v_dual_mov_b32 v1, v84
	v_pk_add_f32 v[230:231], v[230:231], v[2:3] neg_lo:[0,1] neg_hi:[0,1]
	v_mul_f32_e32 v2, v85, v81
	s_delay_alu instid0(VALU_DEP_3) | instskip(NEXT) | instid1(VALU_DEP_2)
	v_pk_fma_f32 v[0:1], v[0:1], v[204:205], v[82:83] op_sel_hi:[1,1,0]
	v_pk_fma_f32 v[2:3], v[84:85], v[204:205], v[2:3] op_sel_hi:[1,1,0] neg_lo:[0,0,1] neg_hi:[0,0,1]
	ds_load_2addr_b64 v[82:85], v6 offset0:53 offset1:54
	v_mov_b32_e32 v3, v1
	s_delay_alu instid0(VALU_DEP_1) | instskip(SKIP_2) | instid1(VALU_DEP_1)
	v_pk_add_f32 v[232:233], v[232:233], v[2:3] neg_lo:[0,1] neg_hi:[0,1]
	s_wait_dscnt 0x0
	v_pk_mul_f32 v[0:1], v[82:83], v[80:81] op_sel:[0,1]
	v_pk_fma_f32 v[2:3], v[82:83], v[78:79], v[0:1] op_sel:[0,0,1] op_sel_hi:[1,1,0] neg_lo:[0,0,1] neg_hi:[0,0,1]
	v_pk_fma_f32 v[0:1], v[82:83], v[78:79], v[0:1] op_sel:[0,0,1] op_sel_hi:[1,0,0]
	s_delay_alu instid0(VALU_DEP_1) | instskip(SKIP_1) | instid1(VALU_DEP_2)
	v_mov_b32_e32 v3, v1
	v_pk_mul_f32 v[0:1], v[84:85], v[80:81] op_sel:[0,1]
	v_pk_add_f32 v[234:235], v[234:235], v[2:3] neg_lo:[0,1] neg_hi:[0,1]
	s_delay_alu instid0(VALU_DEP_2) | instskip(SKIP_3) | instid1(VALU_DEP_1)
	v_pk_fma_f32 v[2:3], v[84:85], v[78:79], v[0:1] op_sel:[0,0,1] op_sel_hi:[1,1,0] neg_lo:[0,0,1] neg_hi:[0,0,1]
	v_pk_fma_f32 v[0:1], v[84:85], v[78:79], v[0:1] op_sel:[0,0,1] op_sel_hi:[1,0,0]
	ds_load_2addr_b64 v[82:85], v6 offset0:55 offset1:56
	v_mov_b32_e32 v3, v1
	v_pk_add_f32 v[236:237], v[236:237], v[2:3] neg_lo:[0,1] neg_hi:[0,1]
	s_wait_dscnt 0x0
	v_pk_mul_f32 v[0:1], v[82:83], v[80:81] op_sel:[0,1]
	s_delay_alu instid0(VALU_DEP_1) | instskip(SKIP_1) | instid1(VALU_DEP_1)
	v_pk_fma_f32 v[2:3], v[82:83], v[78:79], v[0:1] op_sel:[0,0,1] op_sel_hi:[1,1,0] neg_lo:[0,0,1] neg_hi:[0,0,1]
	v_pk_fma_f32 v[0:1], v[82:83], v[78:79], v[0:1] op_sel:[0,0,1] op_sel_hi:[1,0,0]
	v_mov_b32_e32 v3, v1
	v_pk_mul_f32 v[0:1], v[84:85], v[80:81] op_sel:[0,1]
	s_delay_alu instid0(VALU_DEP_2) | instskip(NEXT) | instid1(VALU_DEP_2)
	v_pk_add_f32 v[238:239], v[238:239], v[2:3] neg_lo:[0,1] neg_hi:[0,1]
	v_pk_fma_f32 v[2:3], v[84:85], v[78:79], v[0:1] op_sel:[0,0,1] op_sel_hi:[1,1,0] neg_lo:[0,0,1] neg_hi:[0,0,1]
	v_pk_fma_f32 v[0:1], v[84:85], v[78:79], v[0:1] op_sel:[0,0,1] op_sel_hi:[1,0,0]
	ds_load_2addr_b64 v[82:85], v6 offset0:57 offset1:58
	v_mov_b32_e32 v3, v1
	s_delay_alu instid0(VALU_DEP_1) | instskip(SKIP_2) | instid1(VALU_DEP_1)
	v_pk_add_f32 v[248:249], v[248:249], v[2:3] neg_lo:[0,1] neg_hi:[0,1]
	s_wait_dscnt 0x0
	v_dual_mul_f32 v2, v83, v78 :: v_dual_mul_f32 v0, v83, v81
	v_pk_fma_f32 v[2:3], v[82:83], v[204:205], v[2:3] op_sel:[1,0,0] op_sel_hi:[0,1,0]
	s_delay_alu instid0(VALU_DEP_2) | instskip(NEXT) | instid1(VALU_DEP_2)
	v_pk_fma_f32 v[0:1], v[82:83], v[204:205], v[0:1] op_sel_hi:[1,1,0] neg_lo:[0,0,1] neg_hi:[0,0,1]
	v_mov_b32_e32 v1, v3
	s_delay_alu instid0(VALU_DEP_1) | instskip(SKIP_1) | instid1(VALU_DEP_1)
	v_pk_add_f32 v[242:243], v[242:243], v[0:1] neg_lo:[0,1] neg_hi:[0,1]
	v_pk_mul_f32 v[0:1], v[84:85], v[80:81] op_sel:[0,1]
	v_pk_fma_f32 v[2:3], v[84:85], v[78:79], v[0:1] op_sel:[0,0,1] op_sel_hi:[1,1,0] neg_lo:[0,0,1] neg_hi:[0,0,1]
	v_pk_fma_f32 v[0:1], v[84:85], v[78:79], v[0:1] op_sel:[0,0,1] op_sel_hi:[1,0,0]
	ds_load_2addr_b64 v[82:85], v6 offset0:59 offset1:60
	v_mov_b32_e32 v3, v1
	s_delay_alu instid0(VALU_DEP_1) | instskip(SKIP_2) | instid1(VALU_DEP_1)
	v_pk_add_f32 v[246:247], v[246:247], v[2:3] neg_lo:[0,1] neg_hi:[0,1]
	s_wait_dscnt 0x0
	v_pk_mul_f32 v[0:1], v[82:83], v[80:81] op_sel:[0,1]
	v_pk_fma_f32 v[2:3], v[82:83], v[78:79], v[0:1] op_sel:[0,0,1] op_sel_hi:[1,1,0] neg_lo:[0,0,1] neg_hi:[0,0,1]
	v_pk_fma_f32 v[0:1], v[82:83], v[78:79], v[0:1] op_sel:[0,0,1] op_sel_hi:[1,0,0]
	s_delay_alu instid0(VALU_DEP_1) | instskip(SKIP_1) | instid1(VALU_DEP_2)
	v_mov_b32_e32 v3, v1
	v_pk_mul_f32 v[0:1], v[84:85], v[80:81] op_sel:[0,1]
	v_pk_add_f32 v[240:241], v[240:241], v[2:3] neg_lo:[0,1] neg_hi:[0,1]
	s_delay_alu instid0(VALU_DEP_2) | instskip(SKIP_3) | instid1(VALU_DEP_1)
	v_pk_fma_f32 v[2:3], v[84:85], v[78:79], v[0:1] op_sel:[0,0,1] op_sel_hi:[1,1,0] neg_lo:[0,0,1] neg_hi:[0,0,1]
	v_pk_fma_f32 v[0:1], v[84:85], v[78:79], v[0:1] op_sel:[0,0,1] op_sel_hi:[1,0,0]
	ds_load_2addr_b64 v[82:85], v6 offset0:61 offset1:62
	v_mov_b32_e32 v3, v1
	v_pk_add_f32 v[244:245], v[244:245], v[2:3] neg_lo:[0,1] neg_hi:[0,1]
	s_wait_dscnt 0x0
	v_pk_mul_f32 v[0:1], v[82:83], v[80:81] op_sel:[0,1]
	s_delay_alu instid0(VALU_DEP_1) | instskip(SKIP_2) | instid1(VALU_DEP_2)
	v_pk_fma_f32 v[2:3], v[82:83], v[78:79], v[0:1] op_sel:[0,0,1] op_sel_hi:[1,1,0] neg_lo:[0,0,1] neg_hi:[0,0,1]
	v_pk_fma_f32 v[0:1], v[82:83], v[78:79], v[0:1] op_sel:[0,0,1] op_sel_hi:[1,0,0]
	v_dual_mov_b32 v0, v85 :: v_dual_mul_f32 v78, v85, v78
	v_dual_mov_b32 v3, v1 :: v_dual_mov_b32 v1, v84
	s_delay_alu instid0(VALU_DEP_1) | instskip(SKIP_1) | instid1(VALU_DEP_3)
	v_pk_add_f32 v[250:251], v[250:251], v[2:3] neg_lo:[0,1] neg_hi:[0,1]
	v_mul_f32_e32 v2, v85, v81
	v_pk_fma_f32 v[0:1], v[0:1], v[204:205], v[78:79] op_sel_hi:[1,1,0]
	s_delay_alu instid0(VALU_DEP_2) | instskip(NEXT) | instid1(VALU_DEP_2)
	v_pk_fma_f32 v[2:3], v[84:85], v[204:205], v[2:3] op_sel_hi:[1,1,0] neg_lo:[0,0,1] neg_hi:[0,0,1]
	v_mov_b32_e32 v3, v1
	s_delay_alu instid0(VALU_DEP_1)
	v_pk_add_f32 v[252:253], v[252:253], v[2:3] neg_lo:[0,1] neg_hi:[0,1]
.LBB125_352:
	s_or_b32 exec_lo, exec_lo, s1
	s_delay_alu instid0(SALU_CYCLE_1)
	s_mov_b32 s2, exec_lo
	s_wait_dscnt 0x0
	s_barrier_signal -1
	s_barrier_wait -1
	v_cmpx_eq_u32_e32 39, v254
	s_cbranch_execz .LBB125_359
; %bb.353:
	v_dual_mov_b32 v0, v208 :: v_dual_mov_b32 v1, v209
	v_dual_mov_b32 v2, v210 :: v_dual_mov_b32 v3, v211
	ds_store_b64 v255, v[206:207]
	ds_store_2addr_b64 v6, v[0:1], v[2:3] offset0:40 offset1:41
	v_dual_mov_b32 v0, v212 :: v_dual_mov_b32 v1, v213
	v_dual_mov_b32 v2, v214 :: v_dual_mov_b32 v3, v215
	ds_store_2addr_b64 v6, v[0:1], v[2:3] offset0:42 offset1:43
	v_dual_mov_b32 v0, v216 :: v_dual_mov_b32 v1, v217
	v_dual_mov_b32 v2, v218 :: v_dual_mov_b32 v3, v219
	ds_store_2addr_b64 v6, v[0:1], v[2:3] offset0:44 offset1:45
	v_dual_mov_b32 v0, v220 :: v_dual_mov_b32 v1, v221
	v_dual_mov_b32 v2, v222 :: v_dual_mov_b32 v3, v223
	ds_store_2addr_b64 v6, v[0:1], v[2:3] offset0:46 offset1:47
	v_dual_mov_b32 v0, v224 :: v_dual_mov_b32 v1, v225
	v_dual_mov_b32 v2, v226 :: v_dual_mov_b32 v3, v227
	ds_store_2addr_b64 v6, v[0:1], v[2:3] offset0:48 offset1:49
	v_dual_mov_b32 v0, v228 :: v_dual_mov_b32 v1, v229
	v_dual_mov_b32 v2, v230 :: v_dual_mov_b32 v3, v231
	ds_store_2addr_b64 v6, v[0:1], v[2:3] offset0:50 offset1:51
	v_dual_mov_b32 v0, v232 :: v_dual_mov_b32 v1, v233
	v_dual_mov_b32 v2, v234 :: v_dual_mov_b32 v3, v235
	ds_store_2addr_b64 v6, v[0:1], v[2:3] offset0:52 offset1:53
	v_dual_mov_b32 v0, v236 :: v_dual_mov_b32 v1, v237
	v_dual_mov_b32 v2, v238 :: v_dual_mov_b32 v3, v239
	ds_store_2addr_b64 v6, v[0:1], v[2:3] offset0:54 offset1:55
	v_dual_mov_b32 v0, v248 :: v_dual_mov_b32 v1, v249
	v_dual_mov_b32 v2, v242 :: v_dual_mov_b32 v3, v243
	ds_store_2addr_b64 v6, v[0:1], v[2:3] offset0:56 offset1:57
	v_dual_mov_b32 v0, v246 :: v_dual_mov_b32 v1, v247
	v_dual_mov_b32 v2, v240 :: v_dual_mov_b32 v3, v241
	ds_store_2addr_b64 v6, v[0:1], v[2:3] offset0:58 offset1:59
	v_dual_mov_b32 v0, v244 :: v_dual_mov_b32 v1, v245
	v_dual_mov_b32 v2, v250 :: v_dual_mov_b32 v3, v251
	ds_store_2addr_b64 v6, v[0:1], v[2:3] offset0:60 offset1:61
	ds_store_b64 v6, v[252:253] offset:496
	ds_load_b64 v[78:79], v255
	s_wait_dscnt 0x0
	v_cmp_neq_f32_e32 vcc_lo, 0, v78
	v_cmp_neq_f32_e64 s1, 0, v79
	s_or_b32 s1, vcc_lo, s1
	s_delay_alu instid0(SALU_CYCLE_1)
	s_and_b32 exec_lo, exec_lo, s1
	s_cbranch_execz .LBB125_359
; %bb.354:
	v_cmp_ngt_f32_e64 s1, |v78|, |v79|
                                        ; implicit-def: $vgpr80_vgpr81
	s_and_saveexec_b32 s4, s1
	s_delay_alu instid0(SALU_CYCLE_1)
	s_xor_b32 s1, exec_lo, s4
	s_cbranch_execz .LBB125_356
; %bb.355:
	v_div_scale_f32 v0, null, v79, v79, v78
	v_div_scale_f32 v3, vcc_lo, v78, v79, v78
	s_delay_alu instid0(VALU_DEP_2) | instskip(SKIP_1) | instid1(TRANS32_DEP_1)
	v_rcp_f32_e32 v1, v0
	v_nop
	v_fma_f32 v2, -v0, v1, 1.0
	s_delay_alu instid0(VALU_DEP_1) | instskip(NEXT) | instid1(VALU_DEP_1)
	v_fmac_f32_e32 v1, v2, v1
	v_mul_f32_e32 v2, v3, v1
	s_delay_alu instid0(VALU_DEP_1) | instskip(NEXT) | instid1(VALU_DEP_1)
	v_fma_f32 v4, -v0, v2, v3
	v_fmac_f32_e32 v2, v4, v1
	s_delay_alu instid0(VALU_DEP_1) | instskip(NEXT) | instid1(VALU_DEP_1)
	v_fma_f32 v0, -v0, v2, v3
	v_div_fmas_f32 v0, v0, v1, v2
	s_delay_alu instid0(VALU_DEP_1) | instskip(NEXT) | instid1(VALU_DEP_1)
	v_div_fixup_f32 v0, v0, v79, v78
	v_fmac_f32_e32 v79, v78, v0
	s_delay_alu instid0(VALU_DEP_1) | instskip(SKIP_1) | instid1(VALU_DEP_2)
	v_div_scale_f32 v1, null, v79, v79, 1.0
	v_div_scale_f32 v4, vcc_lo, 1.0, v79, 1.0
	v_rcp_f32_e32 v2, v1
	v_nop
	s_delay_alu instid0(TRANS32_DEP_1) | instskip(NEXT) | instid1(VALU_DEP_1)
	v_fma_f32 v3, -v1, v2, 1.0
	v_fmac_f32_e32 v2, v3, v2
	s_delay_alu instid0(VALU_DEP_1) | instskip(NEXT) | instid1(VALU_DEP_1)
	v_mul_f32_e32 v3, v4, v2
	v_fma_f32 v5, -v1, v3, v4
	s_delay_alu instid0(VALU_DEP_1) | instskip(NEXT) | instid1(VALU_DEP_1)
	v_fmac_f32_e32 v3, v5, v2
	v_fma_f32 v1, -v1, v3, v4
	s_delay_alu instid0(VALU_DEP_1) | instskip(NEXT) | instid1(VALU_DEP_1)
	v_div_fmas_f32 v1, v1, v2, v3
	v_div_fixup_f32 v1, v1, v79, 1.0
                                        ; implicit-def: $vgpr78_vgpr79
	s_delay_alu instid0(VALU_DEP_1)
	v_mul_f32_e32 v80, v0, v1
	v_xor_b32_e32 v81, 0x80000000, v1
.LBB125_356:
	s_and_not1_saveexec_b32 s1, s1
	s_cbranch_execz .LBB125_358
; %bb.357:
	v_div_scale_f32 v0, null, v78, v78, v79
	v_div_scale_f32 v3, vcc_lo, v79, v78, v79
	s_delay_alu instid0(VALU_DEP_2) | instskip(SKIP_1) | instid1(TRANS32_DEP_1)
	v_rcp_f32_e32 v1, v0
	v_nop
	v_fma_f32 v2, -v0, v1, 1.0
	s_delay_alu instid0(VALU_DEP_1) | instskip(NEXT) | instid1(VALU_DEP_1)
	v_fmac_f32_e32 v1, v2, v1
	v_mul_f32_e32 v2, v3, v1
	s_delay_alu instid0(VALU_DEP_1) | instskip(NEXT) | instid1(VALU_DEP_1)
	v_fma_f32 v4, -v0, v2, v3
	v_fmac_f32_e32 v2, v4, v1
	s_delay_alu instid0(VALU_DEP_1) | instskip(NEXT) | instid1(VALU_DEP_1)
	v_fma_f32 v0, -v0, v2, v3
	v_div_fmas_f32 v0, v0, v1, v2
	s_delay_alu instid0(VALU_DEP_1) | instskip(NEXT) | instid1(VALU_DEP_1)
	v_div_fixup_f32 v0, v0, v78, v79
	v_fmac_f32_e32 v78, v79, v0
	s_delay_alu instid0(VALU_DEP_1) | instskip(NEXT) | instid1(VALU_DEP_1)
	v_div_scale_f32 v1, null, v78, v78, 1.0
	v_rcp_f32_e32 v2, v1
	v_nop
	s_delay_alu instid0(TRANS32_DEP_1) | instskip(NEXT) | instid1(VALU_DEP_1)
	v_fma_f32 v3, -v1, v2, 1.0
	v_fmac_f32_e32 v2, v3, v2
	v_div_scale_f32 v3, vcc_lo, 1.0, v78, 1.0
	s_delay_alu instid0(VALU_DEP_1) | instskip(NEXT) | instid1(VALU_DEP_1)
	v_mul_f32_e32 v4, v3, v2
	v_fma_f32 v5, -v1, v4, v3
	s_delay_alu instid0(VALU_DEP_1) | instskip(NEXT) | instid1(VALU_DEP_1)
	v_fmac_f32_e32 v4, v5, v2
	v_fma_f32 v1, -v1, v4, v3
	s_delay_alu instid0(VALU_DEP_1) | instskip(NEXT) | instid1(VALU_DEP_1)
	v_div_fmas_f32 v1, v1, v2, v4
	v_div_fixup_f32 v80, v1, v78, 1.0
	s_delay_alu instid0(VALU_DEP_1)
	v_mul_f32_e64 v81, v0, -v80
.LBB125_358:
	s_or_b32 exec_lo, exec_lo, s1
	ds_store_b64 v255, v[80:81]
.LBB125_359:
	s_or_b32 exec_lo, exec_lo, s2
	s_wait_dscnt 0x0
	s_barrier_signal -1
	s_barrier_wait -1
	ds_load_b64 v[78:79], v255
	s_mov_b32 s1, exec_lo
	v_cmpx_lt_u32_e32 39, v254
	s_cbranch_execz .LBB125_361
; %bb.360:
	ds_load_2addr_b64 v[84:87], v6 offset0:40 offset1:41
	s_wait_dscnt 0x1
	v_pk_mul_f32 v[0:1], v[78:79], v[206:207] op_sel:[1,1] op_sel_hi:[0,1]
	s_delay_alu instid0(VALU_DEP_1) | instskip(SKIP_1) | instid1(VALU_DEP_1)
	v_pk_fma_f32 v[82:83], v[78:79], v[206:207], v[0:1] op_sel_hi:[1,0,1]
	v_pk_fma_f32 v[80:81], v[78:79], v[206:207], v[0:1] op_sel_hi:[1,0,1] neg_lo:[0,0,1] neg_hi:[0,0,1]
	v_dual_mov_b32 v207, v83 :: v_dual_mov_b32 v206, v80
	s_wait_dscnt 0x0
	s_delay_alu instid0(VALU_DEP_3) | instskip(NEXT) | instid1(VALU_DEP_1)
	v_pk_mul_f32 v[0:1], v[84:85], v[82:83] op_sel:[0,1]
	v_pk_fma_f32 v[2:3], v[84:85], v[80:81], v[0:1] op_sel:[0,0,1] op_sel_hi:[1,1,0] neg_lo:[0,0,1] neg_hi:[0,0,1]
	v_pk_fma_f32 v[0:1], v[84:85], v[80:81], v[0:1] op_sel:[0,0,1] op_sel_hi:[1,0,0]
	s_delay_alu instid0(VALU_DEP_1) | instskip(SKIP_1) | instid1(VALU_DEP_2)
	v_mov_b32_e32 v3, v1
	v_pk_mul_f32 v[0:1], v[86:87], v[82:83] op_sel:[0,1]
	v_pk_add_f32 v[208:209], v[208:209], v[2:3] neg_lo:[0,1] neg_hi:[0,1]
	s_delay_alu instid0(VALU_DEP_2) | instskip(SKIP_3) | instid1(VALU_DEP_1)
	v_pk_fma_f32 v[2:3], v[86:87], v[80:81], v[0:1] op_sel:[0,0,1] op_sel_hi:[1,1,0] neg_lo:[0,0,1] neg_hi:[0,0,1]
	v_pk_fma_f32 v[0:1], v[86:87], v[80:81], v[0:1] op_sel:[0,0,1] op_sel_hi:[1,0,0]
	ds_load_2addr_b64 v[84:87], v6 offset0:42 offset1:43
	v_mov_b32_e32 v3, v1
	v_pk_add_f32 v[210:211], v[210:211], v[2:3] neg_lo:[0,1] neg_hi:[0,1]
	s_wait_dscnt 0x0
	v_pk_mul_f32 v[0:1], v[84:85], v[82:83] op_sel:[0,1]
	s_delay_alu instid0(VALU_DEP_1) | instskip(SKIP_2) | instid1(VALU_DEP_2)
	v_pk_fma_f32 v[2:3], v[84:85], v[80:81], v[0:1] op_sel:[0,0,1] op_sel_hi:[1,1,0] neg_lo:[0,0,1] neg_hi:[0,0,1]
	v_pk_fma_f32 v[0:1], v[84:85], v[80:81], v[0:1] op_sel:[0,0,1] op_sel_hi:[1,0,0]
	v_dual_mov_b32 v0, v87 :: v_dual_mul_f32 v84, v87, v80
	v_dual_mov_b32 v3, v1 :: v_dual_mov_b32 v1, v86
	s_delay_alu instid0(VALU_DEP_1) | instskip(SKIP_1) | instid1(VALU_DEP_3)
	v_pk_add_f32 v[212:213], v[212:213], v[2:3] neg_lo:[0,1] neg_hi:[0,1]
	v_mul_f32_e32 v2, v87, v83
	v_pk_fma_f32 v[0:1], v[0:1], v[206:207], v[84:85] op_sel_hi:[1,1,0]
	s_delay_alu instid0(VALU_DEP_2) | instskip(SKIP_2) | instid1(VALU_DEP_1)
	v_pk_fma_f32 v[2:3], v[86:87], v[206:207], v[2:3] op_sel_hi:[1,1,0] neg_lo:[0,0,1] neg_hi:[0,0,1]
	ds_load_2addr_b64 v[84:87], v6 offset0:44 offset1:45
	v_mov_b32_e32 v3, v1
	v_pk_add_f32 v[214:215], v[214:215], v[2:3] neg_lo:[0,1] neg_hi:[0,1]
	s_wait_dscnt 0x0
	v_pk_mul_f32 v[0:1], v[84:85], v[82:83] op_sel:[0,1]
	s_delay_alu instid0(VALU_DEP_1) | instskip(SKIP_1) | instid1(VALU_DEP_1)
	v_pk_fma_f32 v[2:3], v[84:85], v[80:81], v[0:1] op_sel:[0,0,1] op_sel_hi:[1,1,0] neg_lo:[0,0,1] neg_hi:[0,0,1]
	v_pk_fma_f32 v[0:1], v[84:85], v[80:81], v[0:1] op_sel:[0,0,1] op_sel_hi:[1,0,0]
	v_mov_b32_e32 v3, v1
	v_pk_mul_f32 v[0:1], v[86:87], v[82:83] op_sel:[0,1]
	s_delay_alu instid0(VALU_DEP_2) | instskip(NEXT) | instid1(VALU_DEP_2)
	v_pk_add_f32 v[216:217], v[216:217], v[2:3] neg_lo:[0,1] neg_hi:[0,1]
	v_pk_fma_f32 v[2:3], v[86:87], v[80:81], v[0:1] op_sel:[0,0,1] op_sel_hi:[1,1,0] neg_lo:[0,0,1] neg_hi:[0,0,1]
	v_pk_fma_f32 v[0:1], v[86:87], v[80:81], v[0:1] op_sel:[0,0,1] op_sel_hi:[1,0,0]
	ds_load_2addr_b64 v[84:87], v6 offset0:46 offset1:47
	v_mov_b32_e32 v3, v1
	s_delay_alu instid0(VALU_DEP_1) | instskip(SKIP_2) | instid1(VALU_DEP_1)
	v_pk_add_f32 v[218:219], v[218:219], v[2:3] neg_lo:[0,1] neg_hi:[0,1]
	s_wait_dscnt 0x0
	v_pk_mul_f32 v[0:1], v[84:85], v[82:83] op_sel:[0,1]
	v_pk_fma_f32 v[2:3], v[84:85], v[80:81], v[0:1] op_sel:[0,0,1] op_sel_hi:[1,1,0] neg_lo:[0,0,1] neg_hi:[0,0,1]
	v_pk_fma_f32 v[0:1], v[84:85], v[80:81], v[0:1] op_sel:[0,0,1] op_sel_hi:[1,0,0]
	s_delay_alu instid0(VALU_DEP_1) | instskip(SKIP_1) | instid1(VALU_DEP_2)
	v_mov_b32_e32 v3, v1
	v_pk_mul_f32 v[0:1], v[86:87], v[82:83] op_sel:[0,1]
	v_pk_add_f32 v[220:221], v[220:221], v[2:3] neg_lo:[0,1] neg_hi:[0,1]
	s_delay_alu instid0(VALU_DEP_2) | instskip(SKIP_3) | instid1(VALU_DEP_1)
	v_pk_fma_f32 v[2:3], v[86:87], v[80:81], v[0:1] op_sel:[0,0,1] op_sel_hi:[1,1,0] neg_lo:[0,0,1] neg_hi:[0,0,1]
	v_pk_fma_f32 v[0:1], v[86:87], v[80:81], v[0:1] op_sel:[0,0,1] op_sel_hi:[1,0,0]
	ds_load_2addr_b64 v[84:87], v6 offset0:48 offset1:49
	v_mov_b32_e32 v3, v1
	v_pk_add_f32 v[222:223], v[222:223], v[2:3] neg_lo:[0,1] neg_hi:[0,1]
	s_wait_dscnt 0x0
	v_dual_mul_f32 v0, v85, v83 :: v_dual_mul_f32 v2, v85, v80
	s_delay_alu instid0(VALU_DEP_1) | instskip(NEXT) | instid1(VALU_DEP_2)
	v_pk_fma_f32 v[0:1], v[84:85], v[206:207], v[0:1] op_sel_hi:[1,1,0] neg_lo:[0,0,1] neg_hi:[0,0,1]
	v_pk_fma_f32 v[2:3], v[84:85], v[206:207], v[2:3] op_sel:[1,0,0] op_sel_hi:[0,1,0]
	s_delay_alu instid0(VALU_DEP_1) | instskip(NEXT) | instid1(VALU_DEP_1)
	v_mov_b32_e32 v1, v3
	v_pk_add_f32 v[224:225], v[224:225], v[0:1] neg_lo:[0,1] neg_hi:[0,1]
	v_pk_mul_f32 v[0:1], v[86:87], v[82:83] op_sel:[0,1]
	s_delay_alu instid0(VALU_DEP_1) | instskip(SKIP_3) | instid1(VALU_DEP_1)
	v_pk_fma_f32 v[2:3], v[86:87], v[80:81], v[0:1] op_sel:[0,0,1] op_sel_hi:[1,1,0] neg_lo:[0,0,1] neg_hi:[0,0,1]
	v_pk_fma_f32 v[0:1], v[86:87], v[80:81], v[0:1] op_sel:[0,0,1] op_sel_hi:[1,0,0]
	ds_load_2addr_b64 v[84:87], v6 offset0:50 offset1:51
	v_mov_b32_e32 v3, v1
	v_pk_add_f32 v[226:227], v[226:227], v[2:3] neg_lo:[0,1] neg_hi:[0,1]
	s_wait_dscnt 0x0
	v_pk_mul_f32 v[0:1], v[84:85], v[82:83] op_sel:[0,1]
	s_delay_alu instid0(VALU_DEP_1) | instskip(SKIP_1) | instid1(VALU_DEP_1)
	v_pk_fma_f32 v[2:3], v[84:85], v[80:81], v[0:1] op_sel:[0,0,1] op_sel_hi:[1,1,0] neg_lo:[0,0,1] neg_hi:[0,0,1]
	v_pk_fma_f32 v[0:1], v[84:85], v[80:81], v[0:1] op_sel:[0,0,1] op_sel_hi:[1,0,0]
	v_mov_b32_e32 v3, v1
	v_pk_mul_f32 v[0:1], v[86:87], v[82:83] op_sel:[0,1]
	s_delay_alu instid0(VALU_DEP_2) | instskip(NEXT) | instid1(VALU_DEP_2)
	v_pk_add_f32 v[228:229], v[228:229], v[2:3] neg_lo:[0,1] neg_hi:[0,1]
	v_pk_fma_f32 v[2:3], v[86:87], v[80:81], v[0:1] op_sel:[0,0,1] op_sel_hi:[1,1,0] neg_lo:[0,0,1] neg_hi:[0,0,1]
	v_pk_fma_f32 v[0:1], v[86:87], v[80:81], v[0:1] op_sel:[0,0,1] op_sel_hi:[1,0,0]
	ds_load_2addr_b64 v[84:87], v6 offset0:52 offset1:53
	v_mov_b32_e32 v3, v1
	s_delay_alu instid0(VALU_DEP_1) | instskip(SKIP_2) | instid1(VALU_DEP_1)
	v_pk_add_f32 v[230:231], v[230:231], v[2:3] neg_lo:[0,1] neg_hi:[0,1]
	s_wait_dscnt 0x0
	v_pk_mul_f32 v[0:1], v[84:85], v[82:83] op_sel:[0,1]
	v_pk_fma_f32 v[2:3], v[84:85], v[80:81], v[0:1] op_sel:[0,0,1] op_sel_hi:[1,1,0] neg_lo:[0,0,1] neg_hi:[0,0,1]
	v_pk_fma_f32 v[0:1], v[84:85], v[80:81], v[0:1] op_sel:[0,0,1] op_sel_hi:[1,0,0]
	v_dual_mov_b32 v0, v87 :: v_dual_mul_f32 v84, v87, v80
	s_delay_alu instid0(VALU_DEP_2) | instskip(NEXT) | instid1(VALU_DEP_1)
	v_dual_mov_b32 v3, v1 :: v_dual_mov_b32 v1, v86
	v_pk_add_f32 v[232:233], v[232:233], v[2:3] neg_lo:[0,1] neg_hi:[0,1]
	v_mul_f32_e32 v2, v87, v83
	s_delay_alu instid0(VALU_DEP_3) | instskip(NEXT) | instid1(VALU_DEP_2)
	v_pk_fma_f32 v[0:1], v[0:1], v[206:207], v[84:85] op_sel_hi:[1,1,0]
	v_pk_fma_f32 v[2:3], v[86:87], v[206:207], v[2:3] op_sel_hi:[1,1,0] neg_lo:[0,0,1] neg_hi:[0,0,1]
	ds_load_2addr_b64 v[84:87], v6 offset0:54 offset1:55
	v_mov_b32_e32 v3, v1
	s_delay_alu instid0(VALU_DEP_1) | instskip(SKIP_2) | instid1(VALU_DEP_1)
	v_pk_add_f32 v[234:235], v[234:235], v[2:3] neg_lo:[0,1] neg_hi:[0,1]
	s_wait_dscnt 0x0
	v_pk_mul_f32 v[0:1], v[84:85], v[82:83] op_sel:[0,1]
	v_pk_fma_f32 v[2:3], v[84:85], v[80:81], v[0:1] op_sel:[0,0,1] op_sel_hi:[1,1,0] neg_lo:[0,0,1] neg_hi:[0,0,1]
	v_pk_fma_f32 v[0:1], v[84:85], v[80:81], v[0:1] op_sel:[0,0,1] op_sel_hi:[1,0,0]
	s_delay_alu instid0(VALU_DEP_1) | instskip(SKIP_1) | instid1(VALU_DEP_2)
	v_mov_b32_e32 v3, v1
	v_pk_mul_f32 v[0:1], v[86:87], v[82:83] op_sel:[0,1]
	v_pk_add_f32 v[236:237], v[236:237], v[2:3] neg_lo:[0,1] neg_hi:[0,1]
	s_delay_alu instid0(VALU_DEP_2) | instskip(SKIP_3) | instid1(VALU_DEP_1)
	v_pk_fma_f32 v[2:3], v[86:87], v[80:81], v[0:1] op_sel:[0,0,1] op_sel_hi:[1,1,0] neg_lo:[0,0,1] neg_hi:[0,0,1]
	v_pk_fma_f32 v[0:1], v[86:87], v[80:81], v[0:1] op_sel:[0,0,1] op_sel_hi:[1,0,0]
	ds_load_2addr_b64 v[84:87], v6 offset0:56 offset1:57
	v_mov_b32_e32 v3, v1
	v_pk_add_f32 v[238:239], v[238:239], v[2:3] neg_lo:[0,1] neg_hi:[0,1]
	s_wait_dscnt 0x0
	v_pk_mul_f32 v[0:1], v[84:85], v[82:83] op_sel:[0,1]
	s_delay_alu instid0(VALU_DEP_1) | instskip(SKIP_1) | instid1(VALU_DEP_1)
	v_pk_fma_f32 v[2:3], v[84:85], v[80:81], v[0:1] op_sel:[0,0,1] op_sel_hi:[1,1,0] neg_lo:[0,0,1] neg_hi:[0,0,1]
	v_pk_fma_f32 v[0:1], v[84:85], v[80:81], v[0:1] op_sel:[0,0,1] op_sel_hi:[1,0,0]
	v_mov_b32_e32 v3, v1
	v_pk_mul_f32 v[0:1], v[86:87], v[82:83] op_sel:[0,1]
	s_delay_alu instid0(VALU_DEP_2) | instskip(NEXT) | instid1(VALU_DEP_2)
	v_pk_add_f32 v[248:249], v[248:249], v[2:3] neg_lo:[0,1] neg_hi:[0,1]
	v_pk_fma_f32 v[2:3], v[86:87], v[80:81], v[0:1] op_sel:[0,0,1] op_sel_hi:[1,1,0] neg_lo:[0,0,1] neg_hi:[0,0,1]
	v_pk_fma_f32 v[0:1], v[86:87], v[80:81], v[0:1] op_sel:[0,0,1] op_sel_hi:[1,0,0]
	ds_load_2addr_b64 v[84:87], v6 offset0:58 offset1:59
	v_mov_b32_e32 v3, v1
	s_delay_alu instid0(VALU_DEP_1) | instskip(SKIP_2) | instid1(VALU_DEP_1)
	v_pk_add_f32 v[242:243], v[242:243], v[2:3] neg_lo:[0,1] neg_hi:[0,1]
	s_wait_dscnt 0x0
	v_dual_mul_f32 v2, v85, v80 :: v_dual_mul_f32 v0, v85, v83
	v_pk_fma_f32 v[2:3], v[84:85], v[206:207], v[2:3] op_sel:[1,0,0] op_sel_hi:[0,1,0]
	s_delay_alu instid0(VALU_DEP_2) | instskip(NEXT) | instid1(VALU_DEP_2)
	v_pk_fma_f32 v[0:1], v[84:85], v[206:207], v[0:1] op_sel_hi:[1,1,0] neg_lo:[0,0,1] neg_hi:[0,0,1]
	v_mov_b32_e32 v1, v3
	s_delay_alu instid0(VALU_DEP_1) | instskip(SKIP_1) | instid1(VALU_DEP_1)
	v_pk_add_f32 v[246:247], v[246:247], v[0:1] neg_lo:[0,1] neg_hi:[0,1]
	v_pk_mul_f32 v[0:1], v[86:87], v[82:83] op_sel:[0,1]
	v_pk_fma_f32 v[2:3], v[86:87], v[80:81], v[0:1] op_sel:[0,0,1] op_sel_hi:[1,1,0] neg_lo:[0,0,1] neg_hi:[0,0,1]
	v_pk_fma_f32 v[0:1], v[86:87], v[80:81], v[0:1] op_sel:[0,0,1] op_sel_hi:[1,0,0]
	ds_load_2addr_b64 v[84:87], v6 offset0:60 offset1:61
	v_mov_b32_e32 v3, v1
	s_delay_alu instid0(VALU_DEP_1) | instskip(SKIP_2) | instid1(VALU_DEP_1)
	v_pk_add_f32 v[240:241], v[240:241], v[2:3] neg_lo:[0,1] neg_hi:[0,1]
	s_wait_dscnt 0x0
	v_pk_mul_f32 v[0:1], v[84:85], v[82:83] op_sel:[0,1]
	v_pk_fma_f32 v[2:3], v[84:85], v[80:81], v[0:1] op_sel:[0,0,1] op_sel_hi:[1,1,0] neg_lo:[0,0,1] neg_hi:[0,0,1]
	v_pk_fma_f32 v[0:1], v[84:85], v[80:81], v[0:1] op_sel:[0,0,1] op_sel_hi:[1,0,0]
	s_delay_alu instid0(VALU_DEP_1) | instskip(SKIP_1) | instid1(VALU_DEP_2)
	v_mov_b32_e32 v3, v1
	v_pk_mul_f32 v[0:1], v[86:87], v[82:83] op_sel:[0,1]
	v_pk_add_f32 v[244:245], v[244:245], v[2:3] neg_lo:[0,1] neg_hi:[0,1]
	s_delay_alu instid0(VALU_DEP_2) | instskip(SKIP_1) | instid1(VALU_DEP_1)
	v_pk_fma_f32 v[2:3], v[86:87], v[80:81], v[0:1] op_sel:[0,0,1] op_sel_hi:[1,1,0] neg_lo:[0,0,1] neg_hi:[0,0,1]
	v_pk_fma_f32 v[0:1], v[86:87], v[80:81], v[0:1] op_sel:[0,0,1] op_sel_hi:[1,0,0]
	v_mov_b32_e32 v3, v1
	ds_load_b64 v[0:1], v6 offset:496
	v_pk_add_f32 v[250:251], v[250:251], v[2:3] neg_lo:[0,1] neg_hi:[0,1]
	s_wait_dscnt 0x0
	v_pk_mul_f32 v[2:3], v[0:1], v[82:83] op_sel:[0,1]
	s_delay_alu instid0(VALU_DEP_1) | instskip(SKIP_1) | instid1(VALU_DEP_1)
	v_pk_fma_f32 v[82:83], v[0:1], v[80:81], v[2:3] op_sel:[0,0,1] op_sel_hi:[1,1,0] neg_lo:[0,0,1] neg_hi:[0,0,1]
	v_pk_fma_f32 v[0:1], v[0:1], v[80:81], v[2:3] op_sel:[0,0,1] op_sel_hi:[1,0,0]
	v_mov_b32_e32 v83, v1
	s_delay_alu instid0(VALU_DEP_1)
	v_pk_add_f32 v[252:253], v[252:253], v[82:83] neg_lo:[0,1] neg_hi:[0,1]
.LBB125_361:
	s_or_b32 exec_lo, exec_lo, s1
	s_delay_alu instid0(SALU_CYCLE_1)
	s_mov_b32 s2, exec_lo
	s_wait_dscnt 0x0
	s_barrier_signal -1
	s_barrier_wait -1
	v_cmpx_eq_u32_e32 40, v254
	s_cbranch_execz .LBB125_368
; %bb.362:
	ds_store_b64 v255, v[208:209]
	ds_store_2addr_b64 v6, v[210:211], v[212:213] offset0:41 offset1:42
	ds_store_2addr_b64 v6, v[214:215], v[216:217] offset0:43 offset1:44
	;; [unrolled: 1-line block ×11, first 2 shown]
	ds_load_b64 v[80:81], v255
	s_wait_dscnt 0x0
	v_cmp_neq_f32_e32 vcc_lo, 0, v80
	v_cmp_neq_f32_e64 s1, 0, v81
	s_or_b32 s1, vcc_lo, s1
	s_delay_alu instid0(SALU_CYCLE_1)
	s_and_b32 exec_lo, exec_lo, s1
	s_cbranch_execz .LBB125_368
; %bb.363:
	v_cmp_ngt_f32_e64 s1, |v80|, |v81|
                                        ; implicit-def: $vgpr82_vgpr83
	s_and_saveexec_b32 s4, s1
	s_delay_alu instid0(SALU_CYCLE_1)
	s_xor_b32 s1, exec_lo, s4
	s_cbranch_execz .LBB125_365
; %bb.364:
	v_div_scale_f32 v0, null, v81, v81, v80
	v_div_scale_f32 v3, vcc_lo, v80, v81, v80
	s_delay_alu instid0(VALU_DEP_2) | instskip(SKIP_1) | instid1(TRANS32_DEP_1)
	v_rcp_f32_e32 v1, v0
	v_nop
	v_fma_f32 v2, -v0, v1, 1.0
	s_delay_alu instid0(VALU_DEP_1) | instskip(NEXT) | instid1(VALU_DEP_1)
	v_fmac_f32_e32 v1, v2, v1
	v_mul_f32_e32 v2, v3, v1
	s_delay_alu instid0(VALU_DEP_1) | instskip(NEXT) | instid1(VALU_DEP_1)
	v_fma_f32 v4, -v0, v2, v3
	v_fmac_f32_e32 v2, v4, v1
	s_delay_alu instid0(VALU_DEP_1) | instskip(NEXT) | instid1(VALU_DEP_1)
	v_fma_f32 v0, -v0, v2, v3
	v_div_fmas_f32 v0, v0, v1, v2
	s_delay_alu instid0(VALU_DEP_1) | instskip(NEXT) | instid1(VALU_DEP_1)
	v_div_fixup_f32 v0, v0, v81, v80
	v_fmac_f32_e32 v81, v80, v0
	s_delay_alu instid0(VALU_DEP_1) | instskip(SKIP_1) | instid1(VALU_DEP_2)
	v_div_scale_f32 v1, null, v81, v81, 1.0
	v_div_scale_f32 v4, vcc_lo, 1.0, v81, 1.0
	v_rcp_f32_e32 v2, v1
	v_nop
	s_delay_alu instid0(TRANS32_DEP_1) | instskip(NEXT) | instid1(VALU_DEP_1)
	v_fma_f32 v3, -v1, v2, 1.0
	v_fmac_f32_e32 v2, v3, v2
	s_delay_alu instid0(VALU_DEP_1) | instskip(NEXT) | instid1(VALU_DEP_1)
	v_mul_f32_e32 v3, v4, v2
	v_fma_f32 v5, -v1, v3, v4
	s_delay_alu instid0(VALU_DEP_1) | instskip(NEXT) | instid1(VALU_DEP_1)
	v_fmac_f32_e32 v3, v5, v2
	v_fma_f32 v1, -v1, v3, v4
	s_delay_alu instid0(VALU_DEP_1) | instskip(NEXT) | instid1(VALU_DEP_1)
	v_div_fmas_f32 v1, v1, v2, v3
	v_div_fixup_f32 v1, v1, v81, 1.0
                                        ; implicit-def: $vgpr80_vgpr81
	s_delay_alu instid0(VALU_DEP_1)
	v_mul_f32_e32 v82, v0, v1
	v_xor_b32_e32 v83, 0x80000000, v1
.LBB125_365:
	s_and_not1_saveexec_b32 s1, s1
	s_cbranch_execz .LBB125_367
; %bb.366:
	v_div_scale_f32 v0, null, v80, v80, v81
	v_div_scale_f32 v3, vcc_lo, v81, v80, v81
	s_delay_alu instid0(VALU_DEP_2) | instskip(SKIP_1) | instid1(TRANS32_DEP_1)
	v_rcp_f32_e32 v1, v0
	v_nop
	v_fma_f32 v2, -v0, v1, 1.0
	s_delay_alu instid0(VALU_DEP_1) | instskip(NEXT) | instid1(VALU_DEP_1)
	v_fmac_f32_e32 v1, v2, v1
	v_mul_f32_e32 v2, v3, v1
	s_delay_alu instid0(VALU_DEP_1) | instskip(NEXT) | instid1(VALU_DEP_1)
	v_fma_f32 v4, -v0, v2, v3
	v_fmac_f32_e32 v2, v4, v1
	s_delay_alu instid0(VALU_DEP_1) | instskip(NEXT) | instid1(VALU_DEP_1)
	v_fma_f32 v0, -v0, v2, v3
	v_div_fmas_f32 v0, v0, v1, v2
	s_delay_alu instid0(VALU_DEP_1) | instskip(NEXT) | instid1(VALU_DEP_1)
	v_div_fixup_f32 v0, v0, v80, v81
	v_fmac_f32_e32 v80, v81, v0
	s_delay_alu instid0(VALU_DEP_1) | instskip(NEXT) | instid1(VALU_DEP_1)
	v_div_scale_f32 v1, null, v80, v80, 1.0
	v_rcp_f32_e32 v2, v1
	v_nop
	s_delay_alu instid0(TRANS32_DEP_1) | instskip(NEXT) | instid1(VALU_DEP_1)
	v_fma_f32 v3, -v1, v2, 1.0
	v_fmac_f32_e32 v2, v3, v2
	v_div_scale_f32 v3, vcc_lo, 1.0, v80, 1.0
	s_delay_alu instid0(VALU_DEP_1) | instskip(NEXT) | instid1(VALU_DEP_1)
	v_mul_f32_e32 v4, v3, v2
	v_fma_f32 v5, -v1, v4, v3
	s_delay_alu instid0(VALU_DEP_1) | instskip(NEXT) | instid1(VALU_DEP_1)
	v_fmac_f32_e32 v4, v5, v2
	v_fma_f32 v1, -v1, v4, v3
	s_delay_alu instid0(VALU_DEP_1) | instskip(NEXT) | instid1(VALU_DEP_1)
	v_div_fmas_f32 v1, v1, v2, v4
	v_div_fixup_f32 v82, v1, v80, 1.0
	s_delay_alu instid0(VALU_DEP_1)
	v_mul_f32_e64 v83, v0, -v82
.LBB125_367:
	s_or_b32 exec_lo, exec_lo, s1
	ds_store_b64 v255, v[82:83]
.LBB125_368:
	s_or_b32 exec_lo, exec_lo, s2
	s_wait_dscnt 0x0
	s_barrier_signal -1
	s_barrier_wait -1
	ds_load_b64 v[80:81], v255
	s_mov_b32 s1, exec_lo
	v_cmpx_lt_u32_e32 40, v254
	s_cbranch_execz .LBB125_370
; %bb.369:
	ds_load_2addr_b64 v[86:89], v6 offset0:41 offset1:42
	s_wait_dscnt 0x1
	v_pk_mul_f32 v[0:1], v[80:81], v[208:209] op_sel:[1,1] op_sel_hi:[0,1]
	s_delay_alu instid0(VALU_DEP_1) | instskip(SKIP_1) | instid1(VALU_DEP_1)
	v_pk_fma_f32 v[84:85], v[80:81], v[208:209], v[0:1] op_sel_hi:[1,0,1]
	v_pk_fma_f32 v[82:83], v[80:81], v[208:209], v[0:1] op_sel_hi:[1,0,1] neg_lo:[0,0,1] neg_hi:[0,0,1]
	v_dual_mov_b32 v209, v85 :: v_dual_mov_b32 v208, v82
	s_wait_dscnt 0x0
	s_delay_alu instid0(VALU_DEP_3) | instskip(NEXT) | instid1(VALU_DEP_1)
	v_pk_mul_f32 v[0:1], v[86:87], v[84:85] op_sel:[0,1]
	v_pk_fma_f32 v[2:3], v[86:87], v[82:83], v[0:1] op_sel:[0,0,1] op_sel_hi:[1,1,0] neg_lo:[0,0,1] neg_hi:[0,0,1]
	v_pk_fma_f32 v[0:1], v[86:87], v[82:83], v[0:1] op_sel:[0,0,1] op_sel_hi:[1,0,0]
	s_delay_alu instid0(VALU_DEP_1) | instskip(SKIP_1) | instid1(VALU_DEP_2)
	v_mov_b32_e32 v3, v1
	v_pk_mul_f32 v[0:1], v[88:89], v[84:85] op_sel:[0,1]
	v_pk_add_f32 v[210:211], v[210:211], v[2:3] neg_lo:[0,1] neg_hi:[0,1]
	s_delay_alu instid0(VALU_DEP_2) | instskip(SKIP_3) | instid1(VALU_DEP_1)
	v_pk_fma_f32 v[2:3], v[88:89], v[82:83], v[0:1] op_sel:[0,0,1] op_sel_hi:[1,1,0] neg_lo:[0,0,1] neg_hi:[0,0,1]
	v_pk_fma_f32 v[0:1], v[88:89], v[82:83], v[0:1] op_sel:[0,0,1] op_sel_hi:[1,0,0]
	ds_load_2addr_b64 v[86:89], v6 offset0:43 offset1:44
	v_mov_b32_e32 v3, v1
	v_pk_add_f32 v[212:213], v[212:213], v[2:3] neg_lo:[0,1] neg_hi:[0,1]
	s_wait_dscnt 0x0
	v_pk_mul_f32 v[0:1], v[86:87], v[84:85] op_sel:[0,1]
	s_delay_alu instid0(VALU_DEP_1) | instskip(SKIP_2) | instid1(VALU_DEP_2)
	v_pk_fma_f32 v[2:3], v[86:87], v[82:83], v[0:1] op_sel:[0,0,1] op_sel_hi:[1,1,0] neg_lo:[0,0,1] neg_hi:[0,0,1]
	v_pk_fma_f32 v[0:1], v[86:87], v[82:83], v[0:1] op_sel:[0,0,1] op_sel_hi:[1,0,0]
	v_dual_mov_b32 v0, v89 :: v_dual_mul_f32 v86, v89, v82
	v_dual_mov_b32 v3, v1 :: v_dual_mov_b32 v1, v88
	s_delay_alu instid0(VALU_DEP_1) | instskip(SKIP_1) | instid1(VALU_DEP_3)
	v_pk_add_f32 v[214:215], v[214:215], v[2:3] neg_lo:[0,1] neg_hi:[0,1]
	v_mul_f32_e32 v2, v89, v85
	v_pk_fma_f32 v[0:1], v[0:1], v[208:209], v[86:87] op_sel_hi:[1,1,0]
	s_delay_alu instid0(VALU_DEP_2) | instskip(SKIP_2) | instid1(VALU_DEP_1)
	v_pk_fma_f32 v[2:3], v[88:89], v[208:209], v[2:3] op_sel_hi:[1,1,0] neg_lo:[0,0,1] neg_hi:[0,0,1]
	ds_load_2addr_b64 v[86:89], v6 offset0:45 offset1:46
	v_mov_b32_e32 v3, v1
	v_pk_add_f32 v[216:217], v[216:217], v[2:3] neg_lo:[0,1] neg_hi:[0,1]
	s_wait_dscnt 0x0
	v_pk_mul_f32 v[0:1], v[86:87], v[84:85] op_sel:[0,1]
	s_delay_alu instid0(VALU_DEP_1) | instskip(SKIP_1) | instid1(VALU_DEP_1)
	v_pk_fma_f32 v[2:3], v[86:87], v[82:83], v[0:1] op_sel:[0,0,1] op_sel_hi:[1,1,0] neg_lo:[0,0,1] neg_hi:[0,0,1]
	v_pk_fma_f32 v[0:1], v[86:87], v[82:83], v[0:1] op_sel:[0,0,1] op_sel_hi:[1,0,0]
	v_mov_b32_e32 v3, v1
	v_pk_mul_f32 v[0:1], v[88:89], v[84:85] op_sel:[0,1]
	s_delay_alu instid0(VALU_DEP_2) | instskip(NEXT) | instid1(VALU_DEP_2)
	v_pk_add_f32 v[218:219], v[218:219], v[2:3] neg_lo:[0,1] neg_hi:[0,1]
	v_pk_fma_f32 v[2:3], v[88:89], v[82:83], v[0:1] op_sel:[0,0,1] op_sel_hi:[1,1,0] neg_lo:[0,0,1] neg_hi:[0,0,1]
	v_pk_fma_f32 v[0:1], v[88:89], v[82:83], v[0:1] op_sel:[0,0,1] op_sel_hi:[1,0,0]
	ds_load_2addr_b64 v[86:89], v6 offset0:47 offset1:48
	v_mov_b32_e32 v3, v1
	s_delay_alu instid0(VALU_DEP_1) | instskip(SKIP_2) | instid1(VALU_DEP_1)
	v_pk_add_f32 v[220:221], v[220:221], v[2:3] neg_lo:[0,1] neg_hi:[0,1]
	s_wait_dscnt 0x0
	v_pk_mul_f32 v[0:1], v[86:87], v[84:85] op_sel:[0,1]
	v_pk_fma_f32 v[2:3], v[86:87], v[82:83], v[0:1] op_sel:[0,0,1] op_sel_hi:[1,1,0] neg_lo:[0,0,1] neg_hi:[0,0,1]
	v_pk_fma_f32 v[0:1], v[86:87], v[82:83], v[0:1] op_sel:[0,0,1] op_sel_hi:[1,0,0]
	s_delay_alu instid0(VALU_DEP_1) | instskip(SKIP_1) | instid1(VALU_DEP_2)
	v_mov_b32_e32 v3, v1
	v_pk_mul_f32 v[0:1], v[88:89], v[84:85] op_sel:[0,1]
	v_pk_add_f32 v[222:223], v[222:223], v[2:3] neg_lo:[0,1] neg_hi:[0,1]
	s_delay_alu instid0(VALU_DEP_2) | instskip(SKIP_3) | instid1(VALU_DEP_1)
	v_pk_fma_f32 v[2:3], v[88:89], v[82:83], v[0:1] op_sel:[0,0,1] op_sel_hi:[1,1,0] neg_lo:[0,0,1] neg_hi:[0,0,1]
	v_pk_fma_f32 v[0:1], v[88:89], v[82:83], v[0:1] op_sel:[0,0,1] op_sel_hi:[1,0,0]
	ds_load_2addr_b64 v[86:89], v6 offset0:49 offset1:50
	v_mov_b32_e32 v3, v1
	v_pk_add_f32 v[224:225], v[224:225], v[2:3] neg_lo:[0,1] neg_hi:[0,1]
	s_wait_dscnt 0x0
	v_dual_mul_f32 v2, v87, v82 :: v_dual_mul_f32 v0, v87, v85
	s_delay_alu instid0(VALU_DEP_1) | instskip(NEXT) | instid1(VALU_DEP_2)
	v_pk_fma_f32 v[2:3], v[86:87], v[208:209], v[2:3] op_sel:[1,0,0] op_sel_hi:[0,1,0]
	v_pk_fma_f32 v[0:1], v[86:87], v[208:209], v[0:1] op_sel_hi:[1,1,0] neg_lo:[0,0,1] neg_hi:[0,0,1]
	s_delay_alu instid0(VALU_DEP_2) | instskip(NEXT) | instid1(VALU_DEP_1)
	v_mov_b32_e32 v1, v3
	v_pk_add_f32 v[226:227], v[226:227], v[0:1] neg_lo:[0,1] neg_hi:[0,1]
	v_pk_mul_f32 v[0:1], v[88:89], v[84:85] op_sel:[0,1]
	s_delay_alu instid0(VALU_DEP_1) | instskip(SKIP_3) | instid1(VALU_DEP_1)
	v_pk_fma_f32 v[2:3], v[88:89], v[82:83], v[0:1] op_sel:[0,0,1] op_sel_hi:[1,1,0] neg_lo:[0,0,1] neg_hi:[0,0,1]
	v_pk_fma_f32 v[0:1], v[88:89], v[82:83], v[0:1] op_sel:[0,0,1] op_sel_hi:[1,0,0]
	ds_load_2addr_b64 v[86:89], v6 offset0:51 offset1:52
	v_mov_b32_e32 v3, v1
	v_pk_add_f32 v[228:229], v[228:229], v[2:3] neg_lo:[0,1] neg_hi:[0,1]
	s_wait_dscnt 0x0
	v_pk_mul_f32 v[0:1], v[86:87], v[84:85] op_sel:[0,1]
	s_delay_alu instid0(VALU_DEP_1) | instskip(SKIP_1) | instid1(VALU_DEP_1)
	v_pk_fma_f32 v[2:3], v[86:87], v[82:83], v[0:1] op_sel:[0,0,1] op_sel_hi:[1,1,0] neg_lo:[0,0,1] neg_hi:[0,0,1]
	v_pk_fma_f32 v[0:1], v[86:87], v[82:83], v[0:1] op_sel:[0,0,1] op_sel_hi:[1,0,0]
	v_mov_b32_e32 v3, v1
	v_pk_mul_f32 v[0:1], v[88:89], v[84:85] op_sel:[0,1]
	s_delay_alu instid0(VALU_DEP_2) | instskip(NEXT) | instid1(VALU_DEP_2)
	v_pk_add_f32 v[230:231], v[230:231], v[2:3] neg_lo:[0,1] neg_hi:[0,1]
	v_pk_fma_f32 v[2:3], v[88:89], v[82:83], v[0:1] op_sel:[0,0,1] op_sel_hi:[1,1,0] neg_lo:[0,0,1] neg_hi:[0,0,1]
	v_pk_fma_f32 v[0:1], v[88:89], v[82:83], v[0:1] op_sel:[0,0,1] op_sel_hi:[1,0,0]
	ds_load_2addr_b64 v[86:89], v6 offset0:53 offset1:54
	v_mov_b32_e32 v3, v1
	s_delay_alu instid0(VALU_DEP_1) | instskip(SKIP_2) | instid1(VALU_DEP_1)
	v_pk_add_f32 v[232:233], v[232:233], v[2:3] neg_lo:[0,1] neg_hi:[0,1]
	s_wait_dscnt 0x0
	v_pk_mul_f32 v[0:1], v[86:87], v[84:85] op_sel:[0,1]
	v_pk_fma_f32 v[2:3], v[86:87], v[82:83], v[0:1] op_sel:[0,0,1] op_sel_hi:[1,1,0] neg_lo:[0,0,1] neg_hi:[0,0,1]
	v_pk_fma_f32 v[0:1], v[86:87], v[82:83], v[0:1] op_sel:[0,0,1] op_sel_hi:[1,0,0]
	v_dual_mov_b32 v0, v89 :: v_dual_mul_f32 v86, v89, v82
	s_delay_alu instid0(VALU_DEP_2) | instskip(NEXT) | instid1(VALU_DEP_1)
	v_dual_mov_b32 v3, v1 :: v_dual_mov_b32 v1, v88
	v_pk_add_f32 v[234:235], v[234:235], v[2:3] neg_lo:[0,1] neg_hi:[0,1]
	v_mul_f32_e32 v2, v89, v85
	s_delay_alu instid0(VALU_DEP_3) | instskip(NEXT) | instid1(VALU_DEP_2)
	v_pk_fma_f32 v[0:1], v[0:1], v[208:209], v[86:87] op_sel_hi:[1,1,0]
	v_pk_fma_f32 v[2:3], v[88:89], v[208:209], v[2:3] op_sel_hi:[1,1,0] neg_lo:[0,0,1] neg_hi:[0,0,1]
	ds_load_2addr_b64 v[86:89], v6 offset0:55 offset1:56
	v_mov_b32_e32 v3, v1
	s_delay_alu instid0(VALU_DEP_1) | instskip(SKIP_2) | instid1(VALU_DEP_1)
	v_pk_add_f32 v[236:237], v[236:237], v[2:3] neg_lo:[0,1] neg_hi:[0,1]
	s_wait_dscnt 0x0
	v_pk_mul_f32 v[0:1], v[86:87], v[84:85] op_sel:[0,1]
	v_pk_fma_f32 v[2:3], v[86:87], v[82:83], v[0:1] op_sel:[0,0,1] op_sel_hi:[1,1,0] neg_lo:[0,0,1] neg_hi:[0,0,1]
	v_pk_fma_f32 v[0:1], v[86:87], v[82:83], v[0:1] op_sel:[0,0,1] op_sel_hi:[1,0,0]
	s_delay_alu instid0(VALU_DEP_1) | instskip(SKIP_1) | instid1(VALU_DEP_2)
	v_mov_b32_e32 v3, v1
	v_pk_mul_f32 v[0:1], v[88:89], v[84:85] op_sel:[0,1]
	v_pk_add_f32 v[238:239], v[238:239], v[2:3] neg_lo:[0,1] neg_hi:[0,1]
	s_delay_alu instid0(VALU_DEP_2) | instskip(SKIP_3) | instid1(VALU_DEP_1)
	v_pk_fma_f32 v[2:3], v[88:89], v[82:83], v[0:1] op_sel:[0,0,1] op_sel_hi:[1,1,0] neg_lo:[0,0,1] neg_hi:[0,0,1]
	v_pk_fma_f32 v[0:1], v[88:89], v[82:83], v[0:1] op_sel:[0,0,1] op_sel_hi:[1,0,0]
	ds_load_2addr_b64 v[86:89], v6 offset0:57 offset1:58
	v_mov_b32_e32 v3, v1
	v_pk_add_f32 v[248:249], v[248:249], v[2:3] neg_lo:[0,1] neg_hi:[0,1]
	s_wait_dscnt 0x0
	v_pk_mul_f32 v[0:1], v[86:87], v[84:85] op_sel:[0,1]
	s_delay_alu instid0(VALU_DEP_1) | instskip(SKIP_1) | instid1(VALU_DEP_1)
	v_pk_fma_f32 v[2:3], v[86:87], v[82:83], v[0:1] op_sel:[0,0,1] op_sel_hi:[1,1,0] neg_lo:[0,0,1] neg_hi:[0,0,1]
	v_pk_fma_f32 v[0:1], v[86:87], v[82:83], v[0:1] op_sel:[0,0,1] op_sel_hi:[1,0,0]
	v_mov_b32_e32 v3, v1
	v_pk_mul_f32 v[0:1], v[88:89], v[84:85] op_sel:[0,1]
	s_delay_alu instid0(VALU_DEP_2) | instskip(NEXT) | instid1(VALU_DEP_2)
	v_pk_add_f32 v[242:243], v[242:243], v[2:3] neg_lo:[0,1] neg_hi:[0,1]
	v_pk_fma_f32 v[2:3], v[88:89], v[82:83], v[0:1] op_sel:[0,0,1] op_sel_hi:[1,1,0] neg_lo:[0,0,1] neg_hi:[0,0,1]
	v_pk_fma_f32 v[0:1], v[88:89], v[82:83], v[0:1] op_sel:[0,0,1] op_sel_hi:[1,0,0]
	ds_load_2addr_b64 v[86:89], v6 offset0:59 offset1:60
	v_mov_b32_e32 v3, v1
	s_delay_alu instid0(VALU_DEP_1) | instskip(SKIP_2) | instid1(VALU_DEP_1)
	v_pk_add_f32 v[246:247], v[246:247], v[2:3] neg_lo:[0,1] neg_hi:[0,1]
	s_wait_dscnt 0x0
	v_dual_mul_f32 v2, v87, v82 :: v_dual_mul_f32 v0, v87, v85
	v_pk_fma_f32 v[2:3], v[86:87], v[208:209], v[2:3] op_sel:[1,0,0] op_sel_hi:[0,1,0]
	s_delay_alu instid0(VALU_DEP_2) | instskip(NEXT) | instid1(VALU_DEP_2)
	v_pk_fma_f32 v[0:1], v[86:87], v[208:209], v[0:1] op_sel_hi:[1,1,0] neg_lo:[0,0,1] neg_hi:[0,0,1]
	v_mov_b32_e32 v1, v3
	s_delay_alu instid0(VALU_DEP_1) | instskip(SKIP_1) | instid1(VALU_DEP_1)
	v_pk_add_f32 v[240:241], v[240:241], v[0:1] neg_lo:[0,1] neg_hi:[0,1]
	v_pk_mul_f32 v[0:1], v[88:89], v[84:85] op_sel:[0,1]
	v_pk_fma_f32 v[2:3], v[88:89], v[82:83], v[0:1] op_sel:[0,0,1] op_sel_hi:[1,1,0] neg_lo:[0,0,1] neg_hi:[0,0,1]
	v_pk_fma_f32 v[0:1], v[88:89], v[82:83], v[0:1] op_sel:[0,0,1] op_sel_hi:[1,0,0]
	ds_load_2addr_b64 v[86:89], v6 offset0:61 offset1:62
	v_mov_b32_e32 v3, v1
	s_delay_alu instid0(VALU_DEP_1) | instskip(SKIP_2) | instid1(VALU_DEP_1)
	v_pk_add_f32 v[244:245], v[244:245], v[2:3] neg_lo:[0,1] neg_hi:[0,1]
	s_wait_dscnt 0x0
	v_pk_mul_f32 v[0:1], v[86:87], v[84:85] op_sel:[0,1]
	v_pk_fma_f32 v[2:3], v[86:87], v[82:83], v[0:1] op_sel:[0,0,1] op_sel_hi:[1,1,0] neg_lo:[0,0,1] neg_hi:[0,0,1]
	v_pk_fma_f32 v[0:1], v[86:87], v[82:83], v[0:1] op_sel:[0,0,1] op_sel_hi:[1,0,0]
	s_delay_alu instid0(VALU_DEP_1) | instskip(SKIP_1) | instid1(VALU_DEP_2)
	v_mov_b32_e32 v3, v1
	v_pk_mul_f32 v[0:1], v[88:89], v[84:85] op_sel:[0,1]
	v_pk_add_f32 v[250:251], v[250:251], v[2:3] neg_lo:[0,1] neg_hi:[0,1]
	s_delay_alu instid0(VALU_DEP_2) | instskip(SKIP_1) | instid1(VALU_DEP_1)
	v_pk_fma_f32 v[2:3], v[88:89], v[82:83], v[0:1] op_sel:[0,0,1] op_sel_hi:[1,1,0] neg_lo:[0,0,1] neg_hi:[0,0,1]
	v_pk_fma_f32 v[0:1], v[88:89], v[82:83], v[0:1] op_sel:[0,0,1] op_sel_hi:[1,0,0]
	v_mov_b32_e32 v3, v1
	s_delay_alu instid0(VALU_DEP_1)
	v_pk_add_f32 v[252:253], v[252:253], v[2:3] neg_lo:[0,1] neg_hi:[0,1]
.LBB125_370:
	s_or_b32 exec_lo, exec_lo, s1
	s_delay_alu instid0(SALU_CYCLE_1)
	s_mov_b32 s2, exec_lo
	s_wait_dscnt 0x0
	s_barrier_signal -1
	s_barrier_wait -1
	v_cmpx_eq_u32_e32 41, v254
	s_cbranch_execz .LBB125_377
; %bb.371:
	v_dual_mov_b32 v0, v212 :: v_dual_mov_b32 v1, v213
	v_dual_mov_b32 v2, v214 :: v_dual_mov_b32 v3, v215
	ds_store_b64 v255, v[210:211]
	ds_store_2addr_b64 v6, v[0:1], v[2:3] offset0:42 offset1:43
	v_dual_mov_b32 v0, v216 :: v_dual_mov_b32 v1, v217
	v_dual_mov_b32 v2, v218 :: v_dual_mov_b32 v3, v219
	ds_store_2addr_b64 v6, v[0:1], v[2:3] offset0:44 offset1:45
	v_dual_mov_b32 v0, v220 :: v_dual_mov_b32 v1, v221
	v_dual_mov_b32 v2, v222 :: v_dual_mov_b32 v3, v223
	;; [unrolled: 3-line block ×9, first 2 shown]
	ds_store_2addr_b64 v6, v[0:1], v[2:3] offset0:60 offset1:61
	ds_store_b64 v6, v[252:253] offset:496
	ds_load_b64 v[82:83], v255
	s_wait_dscnt 0x0
	v_cmp_neq_f32_e32 vcc_lo, 0, v82
	v_cmp_neq_f32_e64 s1, 0, v83
	s_or_b32 s1, vcc_lo, s1
	s_delay_alu instid0(SALU_CYCLE_1)
	s_and_b32 exec_lo, exec_lo, s1
	s_cbranch_execz .LBB125_377
; %bb.372:
	v_cmp_ngt_f32_e64 s1, |v82|, |v83|
                                        ; implicit-def: $vgpr84_vgpr85
	s_and_saveexec_b32 s4, s1
	s_delay_alu instid0(SALU_CYCLE_1)
	s_xor_b32 s1, exec_lo, s4
	s_cbranch_execz .LBB125_374
; %bb.373:
	v_div_scale_f32 v0, null, v83, v83, v82
	v_div_scale_f32 v3, vcc_lo, v82, v83, v82
	s_delay_alu instid0(VALU_DEP_2) | instskip(SKIP_1) | instid1(TRANS32_DEP_1)
	v_rcp_f32_e32 v1, v0
	v_nop
	v_fma_f32 v2, -v0, v1, 1.0
	s_delay_alu instid0(VALU_DEP_1) | instskip(NEXT) | instid1(VALU_DEP_1)
	v_fmac_f32_e32 v1, v2, v1
	v_mul_f32_e32 v2, v3, v1
	s_delay_alu instid0(VALU_DEP_1) | instskip(NEXT) | instid1(VALU_DEP_1)
	v_fma_f32 v4, -v0, v2, v3
	v_fmac_f32_e32 v2, v4, v1
	s_delay_alu instid0(VALU_DEP_1) | instskip(NEXT) | instid1(VALU_DEP_1)
	v_fma_f32 v0, -v0, v2, v3
	v_div_fmas_f32 v0, v0, v1, v2
	s_delay_alu instid0(VALU_DEP_1) | instskip(NEXT) | instid1(VALU_DEP_1)
	v_div_fixup_f32 v0, v0, v83, v82
	v_fmac_f32_e32 v83, v82, v0
	s_delay_alu instid0(VALU_DEP_1) | instskip(SKIP_1) | instid1(VALU_DEP_2)
	v_div_scale_f32 v1, null, v83, v83, 1.0
	v_div_scale_f32 v4, vcc_lo, 1.0, v83, 1.0
	v_rcp_f32_e32 v2, v1
	v_nop
	s_delay_alu instid0(TRANS32_DEP_1) | instskip(NEXT) | instid1(VALU_DEP_1)
	v_fma_f32 v3, -v1, v2, 1.0
	v_fmac_f32_e32 v2, v3, v2
	s_delay_alu instid0(VALU_DEP_1) | instskip(NEXT) | instid1(VALU_DEP_1)
	v_mul_f32_e32 v3, v4, v2
	v_fma_f32 v5, -v1, v3, v4
	s_delay_alu instid0(VALU_DEP_1) | instskip(NEXT) | instid1(VALU_DEP_1)
	v_fmac_f32_e32 v3, v5, v2
	v_fma_f32 v1, -v1, v3, v4
	s_delay_alu instid0(VALU_DEP_1) | instskip(NEXT) | instid1(VALU_DEP_1)
	v_div_fmas_f32 v1, v1, v2, v3
	v_div_fixup_f32 v1, v1, v83, 1.0
                                        ; implicit-def: $vgpr82_vgpr83
	s_delay_alu instid0(VALU_DEP_1)
	v_mul_f32_e32 v84, v0, v1
	v_xor_b32_e32 v85, 0x80000000, v1
.LBB125_374:
	s_and_not1_saveexec_b32 s1, s1
	s_cbranch_execz .LBB125_376
; %bb.375:
	v_div_scale_f32 v0, null, v82, v82, v83
	v_div_scale_f32 v3, vcc_lo, v83, v82, v83
	s_delay_alu instid0(VALU_DEP_2) | instskip(SKIP_1) | instid1(TRANS32_DEP_1)
	v_rcp_f32_e32 v1, v0
	v_nop
	v_fma_f32 v2, -v0, v1, 1.0
	s_delay_alu instid0(VALU_DEP_1) | instskip(NEXT) | instid1(VALU_DEP_1)
	v_fmac_f32_e32 v1, v2, v1
	v_mul_f32_e32 v2, v3, v1
	s_delay_alu instid0(VALU_DEP_1) | instskip(NEXT) | instid1(VALU_DEP_1)
	v_fma_f32 v4, -v0, v2, v3
	v_fmac_f32_e32 v2, v4, v1
	s_delay_alu instid0(VALU_DEP_1) | instskip(NEXT) | instid1(VALU_DEP_1)
	v_fma_f32 v0, -v0, v2, v3
	v_div_fmas_f32 v0, v0, v1, v2
	s_delay_alu instid0(VALU_DEP_1) | instskip(NEXT) | instid1(VALU_DEP_1)
	v_div_fixup_f32 v0, v0, v82, v83
	v_fmac_f32_e32 v82, v83, v0
	s_delay_alu instid0(VALU_DEP_1) | instskip(NEXT) | instid1(VALU_DEP_1)
	v_div_scale_f32 v1, null, v82, v82, 1.0
	v_rcp_f32_e32 v2, v1
	v_nop
	s_delay_alu instid0(TRANS32_DEP_1) | instskip(NEXT) | instid1(VALU_DEP_1)
	v_fma_f32 v3, -v1, v2, 1.0
	v_fmac_f32_e32 v2, v3, v2
	v_div_scale_f32 v3, vcc_lo, 1.0, v82, 1.0
	s_delay_alu instid0(VALU_DEP_1) | instskip(NEXT) | instid1(VALU_DEP_1)
	v_mul_f32_e32 v4, v3, v2
	v_fma_f32 v5, -v1, v4, v3
	s_delay_alu instid0(VALU_DEP_1) | instskip(NEXT) | instid1(VALU_DEP_1)
	v_fmac_f32_e32 v4, v5, v2
	v_fma_f32 v1, -v1, v4, v3
	s_delay_alu instid0(VALU_DEP_1) | instskip(NEXT) | instid1(VALU_DEP_1)
	v_div_fmas_f32 v1, v1, v2, v4
	v_div_fixup_f32 v84, v1, v82, 1.0
	s_delay_alu instid0(VALU_DEP_1)
	v_mul_f32_e64 v85, v0, -v84
.LBB125_376:
	s_or_b32 exec_lo, exec_lo, s1
	ds_store_b64 v255, v[84:85]
.LBB125_377:
	s_or_b32 exec_lo, exec_lo, s2
	s_wait_dscnt 0x0
	s_barrier_signal -1
	s_barrier_wait -1
	ds_load_b64 v[82:83], v255
	s_mov_b32 s1, exec_lo
	v_cmpx_lt_u32_e32 41, v254
	s_cbranch_execz .LBB125_379
; %bb.378:
	ds_load_2addr_b64 v[88:91], v6 offset0:42 offset1:43
	s_wait_dscnt 0x1
	v_pk_mul_f32 v[0:1], v[82:83], v[210:211] op_sel:[1,1] op_sel_hi:[0,1]
	s_delay_alu instid0(VALU_DEP_1) | instskip(SKIP_1) | instid1(VALU_DEP_1)
	v_pk_fma_f32 v[86:87], v[82:83], v[210:211], v[0:1] op_sel_hi:[1,0,1]
	v_pk_fma_f32 v[84:85], v[82:83], v[210:211], v[0:1] op_sel_hi:[1,0,1] neg_lo:[0,0,1] neg_hi:[0,0,1]
	v_dual_mov_b32 v211, v87 :: v_dual_mov_b32 v210, v84
	s_wait_dscnt 0x0
	s_delay_alu instid0(VALU_DEP_3) | instskip(NEXT) | instid1(VALU_DEP_1)
	v_pk_mul_f32 v[0:1], v[88:89], v[86:87] op_sel:[0,1]
	v_pk_fma_f32 v[2:3], v[88:89], v[84:85], v[0:1] op_sel:[0,0,1] op_sel_hi:[1,1,0] neg_lo:[0,0,1] neg_hi:[0,0,1]
	v_pk_fma_f32 v[0:1], v[88:89], v[84:85], v[0:1] op_sel:[0,0,1] op_sel_hi:[1,0,0]
	s_delay_alu instid0(VALU_DEP_1) | instskip(SKIP_1) | instid1(VALU_DEP_2)
	v_mov_b32_e32 v3, v1
	v_pk_mul_f32 v[0:1], v[90:91], v[86:87] op_sel:[0,1]
	v_pk_add_f32 v[212:213], v[212:213], v[2:3] neg_lo:[0,1] neg_hi:[0,1]
	s_delay_alu instid0(VALU_DEP_2) | instskip(SKIP_3) | instid1(VALU_DEP_1)
	v_pk_fma_f32 v[2:3], v[90:91], v[84:85], v[0:1] op_sel:[0,0,1] op_sel_hi:[1,1,0] neg_lo:[0,0,1] neg_hi:[0,0,1]
	v_pk_fma_f32 v[0:1], v[90:91], v[84:85], v[0:1] op_sel:[0,0,1] op_sel_hi:[1,0,0]
	ds_load_2addr_b64 v[88:91], v6 offset0:44 offset1:45
	v_mov_b32_e32 v3, v1
	v_pk_add_f32 v[214:215], v[214:215], v[2:3] neg_lo:[0,1] neg_hi:[0,1]
	s_wait_dscnt 0x0
	v_pk_mul_f32 v[0:1], v[88:89], v[86:87] op_sel:[0,1]
	s_delay_alu instid0(VALU_DEP_1) | instskip(SKIP_2) | instid1(VALU_DEP_2)
	v_pk_fma_f32 v[2:3], v[88:89], v[84:85], v[0:1] op_sel:[0,0,1] op_sel_hi:[1,1,0] neg_lo:[0,0,1] neg_hi:[0,0,1]
	v_pk_fma_f32 v[0:1], v[88:89], v[84:85], v[0:1] op_sel:[0,0,1] op_sel_hi:[1,0,0]
	v_dual_mov_b32 v0, v91 :: v_dual_mul_f32 v88, v91, v84
	v_dual_mov_b32 v3, v1 :: v_dual_mov_b32 v1, v90
	s_delay_alu instid0(VALU_DEP_1) | instskip(SKIP_1) | instid1(VALU_DEP_3)
	v_pk_add_f32 v[216:217], v[216:217], v[2:3] neg_lo:[0,1] neg_hi:[0,1]
	v_mul_f32_e32 v2, v91, v87
	v_pk_fma_f32 v[0:1], v[0:1], v[210:211], v[88:89] op_sel_hi:[1,1,0]
	s_delay_alu instid0(VALU_DEP_2) | instskip(SKIP_2) | instid1(VALU_DEP_1)
	v_pk_fma_f32 v[2:3], v[90:91], v[210:211], v[2:3] op_sel_hi:[1,1,0] neg_lo:[0,0,1] neg_hi:[0,0,1]
	ds_load_2addr_b64 v[88:91], v6 offset0:46 offset1:47
	v_mov_b32_e32 v3, v1
	v_pk_add_f32 v[218:219], v[218:219], v[2:3] neg_lo:[0,1] neg_hi:[0,1]
	s_wait_dscnt 0x0
	v_pk_mul_f32 v[0:1], v[88:89], v[86:87] op_sel:[0,1]
	s_delay_alu instid0(VALU_DEP_1) | instskip(SKIP_1) | instid1(VALU_DEP_1)
	v_pk_fma_f32 v[2:3], v[88:89], v[84:85], v[0:1] op_sel:[0,0,1] op_sel_hi:[1,1,0] neg_lo:[0,0,1] neg_hi:[0,0,1]
	v_pk_fma_f32 v[0:1], v[88:89], v[84:85], v[0:1] op_sel:[0,0,1] op_sel_hi:[1,0,0]
	v_mov_b32_e32 v3, v1
	v_pk_mul_f32 v[0:1], v[90:91], v[86:87] op_sel:[0,1]
	s_delay_alu instid0(VALU_DEP_2) | instskip(NEXT) | instid1(VALU_DEP_2)
	v_pk_add_f32 v[220:221], v[220:221], v[2:3] neg_lo:[0,1] neg_hi:[0,1]
	v_pk_fma_f32 v[2:3], v[90:91], v[84:85], v[0:1] op_sel:[0,0,1] op_sel_hi:[1,1,0] neg_lo:[0,0,1] neg_hi:[0,0,1]
	v_pk_fma_f32 v[0:1], v[90:91], v[84:85], v[0:1] op_sel:[0,0,1] op_sel_hi:[1,0,0]
	ds_load_2addr_b64 v[88:91], v6 offset0:48 offset1:49
	v_mov_b32_e32 v3, v1
	s_delay_alu instid0(VALU_DEP_1) | instskip(SKIP_2) | instid1(VALU_DEP_1)
	v_pk_add_f32 v[222:223], v[222:223], v[2:3] neg_lo:[0,1] neg_hi:[0,1]
	s_wait_dscnt 0x0
	v_pk_mul_f32 v[0:1], v[88:89], v[86:87] op_sel:[0,1]
	v_pk_fma_f32 v[2:3], v[88:89], v[84:85], v[0:1] op_sel:[0,0,1] op_sel_hi:[1,1,0] neg_lo:[0,0,1] neg_hi:[0,0,1]
	v_pk_fma_f32 v[0:1], v[88:89], v[84:85], v[0:1] op_sel:[0,0,1] op_sel_hi:[1,0,0]
	s_delay_alu instid0(VALU_DEP_1) | instskip(SKIP_1) | instid1(VALU_DEP_2)
	v_mov_b32_e32 v3, v1
	v_pk_mul_f32 v[0:1], v[90:91], v[86:87] op_sel:[0,1]
	v_pk_add_f32 v[224:225], v[224:225], v[2:3] neg_lo:[0,1] neg_hi:[0,1]
	s_delay_alu instid0(VALU_DEP_2) | instskip(SKIP_3) | instid1(VALU_DEP_1)
	v_pk_fma_f32 v[2:3], v[90:91], v[84:85], v[0:1] op_sel:[0,0,1] op_sel_hi:[1,1,0] neg_lo:[0,0,1] neg_hi:[0,0,1]
	v_pk_fma_f32 v[0:1], v[90:91], v[84:85], v[0:1] op_sel:[0,0,1] op_sel_hi:[1,0,0]
	ds_load_2addr_b64 v[88:91], v6 offset0:50 offset1:51
	v_mov_b32_e32 v3, v1
	v_pk_add_f32 v[226:227], v[226:227], v[2:3] neg_lo:[0,1] neg_hi:[0,1]
	s_wait_dscnt 0x0
	v_dual_mul_f32 v0, v89, v87 :: v_dual_mul_f32 v2, v89, v84
	s_delay_alu instid0(VALU_DEP_1) | instskip(NEXT) | instid1(VALU_DEP_2)
	v_pk_fma_f32 v[0:1], v[88:89], v[210:211], v[0:1] op_sel_hi:[1,1,0] neg_lo:[0,0,1] neg_hi:[0,0,1]
	v_pk_fma_f32 v[2:3], v[88:89], v[210:211], v[2:3] op_sel:[1,0,0] op_sel_hi:[0,1,0]
	s_delay_alu instid0(VALU_DEP_1) | instskip(NEXT) | instid1(VALU_DEP_1)
	v_mov_b32_e32 v1, v3
	v_pk_add_f32 v[228:229], v[228:229], v[0:1] neg_lo:[0,1] neg_hi:[0,1]
	v_pk_mul_f32 v[0:1], v[90:91], v[86:87] op_sel:[0,1]
	s_delay_alu instid0(VALU_DEP_1) | instskip(SKIP_3) | instid1(VALU_DEP_1)
	v_pk_fma_f32 v[2:3], v[90:91], v[84:85], v[0:1] op_sel:[0,0,1] op_sel_hi:[1,1,0] neg_lo:[0,0,1] neg_hi:[0,0,1]
	v_pk_fma_f32 v[0:1], v[90:91], v[84:85], v[0:1] op_sel:[0,0,1] op_sel_hi:[1,0,0]
	ds_load_2addr_b64 v[88:91], v6 offset0:52 offset1:53
	v_mov_b32_e32 v3, v1
	v_pk_add_f32 v[230:231], v[230:231], v[2:3] neg_lo:[0,1] neg_hi:[0,1]
	s_wait_dscnt 0x0
	v_pk_mul_f32 v[0:1], v[88:89], v[86:87] op_sel:[0,1]
	s_delay_alu instid0(VALU_DEP_1) | instskip(SKIP_1) | instid1(VALU_DEP_1)
	v_pk_fma_f32 v[2:3], v[88:89], v[84:85], v[0:1] op_sel:[0,0,1] op_sel_hi:[1,1,0] neg_lo:[0,0,1] neg_hi:[0,0,1]
	v_pk_fma_f32 v[0:1], v[88:89], v[84:85], v[0:1] op_sel:[0,0,1] op_sel_hi:[1,0,0]
	v_mov_b32_e32 v3, v1
	v_pk_mul_f32 v[0:1], v[90:91], v[86:87] op_sel:[0,1]
	s_delay_alu instid0(VALU_DEP_2) | instskip(NEXT) | instid1(VALU_DEP_2)
	v_pk_add_f32 v[232:233], v[232:233], v[2:3] neg_lo:[0,1] neg_hi:[0,1]
	v_pk_fma_f32 v[2:3], v[90:91], v[84:85], v[0:1] op_sel:[0,0,1] op_sel_hi:[1,1,0] neg_lo:[0,0,1] neg_hi:[0,0,1]
	v_pk_fma_f32 v[0:1], v[90:91], v[84:85], v[0:1] op_sel:[0,0,1] op_sel_hi:[1,0,0]
	ds_load_2addr_b64 v[88:91], v6 offset0:54 offset1:55
	v_mov_b32_e32 v3, v1
	s_delay_alu instid0(VALU_DEP_1) | instskip(SKIP_2) | instid1(VALU_DEP_1)
	v_pk_add_f32 v[234:235], v[234:235], v[2:3] neg_lo:[0,1] neg_hi:[0,1]
	s_wait_dscnt 0x0
	v_pk_mul_f32 v[0:1], v[88:89], v[86:87] op_sel:[0,1]
	v_pk_fma_f32 v[2:3], v[88:89], v[84:85], v[0:1] op_sel:[0,0,1] op_sel_hi:[1,1,0] neg_lo:[0,0,1] neg_hi:[0,0,1]
	v_pk_fma_f32 v[0:1], v[88:89], v[84:85], v[0:1] op_sel:[0,0,1] op_sel_hi:[1,0,0]
	v_dual_mov_b32 v0, v91 :: v_dual_mul_f32 v88, v91, v84
	s_delay_alu instid0(VALU_DEP_2) | instskip(NEXT) | instid1(VALU_DEP_1)
	v_dual_mov_b32 v3, v1 :: v_dual_mov_b32 v1, v90
	v_pk_add_f32 v[236:237], v[236:237], v[2:3] neg_lo:[0,1] neg_hi:[0,1]
	v_mul_f32_e32 v2, v91, v87
	s_delay_alu instid0(VALU_DEP_3) | instskip(NEXT) | instid1(VALU_DEP_2)
	v_pk_fma_f32 v[0:1], v[0:1], v[210:211], v[88:89] op_sel_hi:[1,1,0]
	v_pk_fma_f32 v[2:3], v[90:91], v[210:211], v[2:3] op_sel_hi:[1,1,0] neg_lo:[0,0,1] neg_hi:[0,0,1]
	ds_load_2addr_b64 v[88:91], v6 offset0:56 offset1:57
	v_mov_b32_e32 v3, v1
	s_delay_alu instid0(VALU_DEP_1) | instskip(SKIP_2) | instid1(VALU_DEP_1)
	v_pk_add_f32 v[238:239], v[238:239], v[2:3] neg_lo:[0,1] neg_hi:[0,1]
	s_wait_dscnt 0x0
	v_pk_mul_f32 v[0:1], v[88:89], v[86:87] op_sel:[0,1]
	v_pk_fma_f32 v[2:3], v[88:89], v[84:85], v[0:1] op_sel:[0,0,1] op_sel_hi:[1,1,0] neg_lo:[0,0,1] neg_hi:[0,0,1]
	v_pk_fma_f32 v[0:1], v[88:89], v[84:85], v[0:1] op_sel:[0,0,1] op_sel_hi:[1,0,0]
	s_delay_alu instid0(VALU_DEP_1) | instskip(SKIP_1) | instid1(VALU_DEP_2)
	v_mov_b32_e32 v3, v1
	v_pk_mul_f32 v[0:1], v[90:91], v[86:87] op_sel:[0,1]
	v_pk_add_f32 v[248:249], v[248:249], v[2:3] neg_lo:[0,1] neg_hi:[0,1]
	s_delay_alu instid0(VALU_DEP_2) | instskip(SKIP_3) | instid1(VALU_DEP_1)
	v_pk_fma_f32 v[2:3], v[90:91], v[84:85], v[0:1] op_sel:[0,0,1] op_sel_hi:[1,1,0] neg_lo:[0,0,1] neg_hi:[0,0,1]
	v_pk_fma_f32 v[0:1], v[90:91], v[84:85], v[0:1] op_sel:[0,0,1] op_sel_hi:[1,0,0]
	ds_load_2addr_b64 v[88:91], v6 offset0:58 offset1:59
	v_mov_b32_e32 v3, v1
	v_pk_add_f32 v[242:243], v[242:243], v[2:3] neg_lo:[0,1] neg_hi:[0,1]
	s_wait_dscnt 0x0
	v_pk_mul_f32 v[0:1], v[88:89], v[86:87] op_sel:[0,1]
	s_delay_alu instid0(VALU_DEP_1) | instskip(SKIP_1) | instid1(VALU_DEP_1)
	v_pk_fma_f32 v[2:3], v[88:89], v[84:85], v[0:1] op_sel:[0,0,1] op_sel_hi:[1,1,0] neg_lo:[0,0,1] neg_hi:[0,0,1]
	v_pk_fma_f32 v[0:1], v[88:89], v[84:85], v[0:1] op_sel:[0,0,1] op_sel_hi:[1,0,0]
	v_mov_b32_e32 v3, v1
	v_pk_mul_f32 v[0:1], v[90:91], v[86:87] op_sel:[0,1]
	s_delay_alu instid0(VALU_DEP_2) | instskip(NEXT) | instid1(VALU_DEP_2)
	v_pk_add_f32 v[246:247], v[246:247], v[2:3] neg_lo:[0,1] neg_hi:[0,1]
	v_pk_fma_f32 v[2:3], v[90:91], v[84:85], v[0:1] op_sel:[0,0,1] op_sel_hi:[1,1,0] neg_lo:[0,0,1] neg_hi:[0,0,1]
	v_pk_fma_f32 v[0:1], v[90:91], v[84:85], v[0:1] op_sel:[0,0,1] op_sel_hi:[1,0,0]
	ds_load_2addr_b64 v[88:91], v6 offset0:60 offset1:61
	v_mov_b32_e32 v3, v1
	s_delay_alu instid0(VALU_DEP_1) | instskip(SKIP_2) | instid1(VALU_DEP_1)
	v_pk_add_f32 v[240:241], v[240:241], v[2:3] neg_lo:[0,1] neg_hi:[0,1]
	s_wait_dscnt 0x0
	v_dual_mul_f32 v2, v89, v84 :: v_dual_mul_f32 v0, v89, v87
	v_pk_fma_f32 v[2:3], v[88:89], v[210:211], v[2:3] op_sel:[1,0,0] op_sel_hi:[0,1,0]
	s_delay_alu instid0(VALU_DEP_2) | instskip(NEXT) | instid1(VALU_DEP_2)
	v_pk_fma_f32 v[0:1], v[88:89], v[210:211], v[0:1] op_sel_hi:[1,1,0] neg_lo:[0,0,1] neg_hi:[0,0,1]
	v_mov_b32_e32 v1, v3
	s_delay_alu instid0(VALU_DEP_1) | instskip(SKIP_1) | instid1(VALU_DEP_1)
	v_pk_add_f32 v[244:245], v[244:245], v[0:1] neg_lo:[0,1] neg_hi:[0,1]
	v_pk_mul_f32 v[0:1], v[90:91], v[86:87] op_sel:[0,1]
	v_pk_fma_f32 v[2:3], v[90:91], v[84:85], v[0:1] op_sel:[0,0,1] op_sel_hi:[1,1,0] neg_lo:[0,0,1] neg_hi:[0,0,1]
	v_pk_fma_f32 v[0:1], v[90:91], v[84:85], v[0:1] op_sel:[0,0,1] op_sel_hi:[1,0,0]
	s_delay_alu instid0(VALU_DEP_1) | instskip(SKIP_4) | instid1(VALU_DEP_1)
	v_mov_b32_e32 v3, v1
	ds_load_b64 v[0:1], v6 offset:496
	v_pk_add_f32 v[250:251], v[250:251], v[2:3] neg_lo:[0,1] neg_hi:[0,1]
	s_wait_dscnt 0x0
	v_pk_mul_f32 v[2:3], v[0:1], v[86:87] op_sel:[0,1]
	v_pk_fma_f32 v[86:87], v[0:1], v[84:85], v[2:3] op_sel:[0,0,1] op_sel_hi:[1,1,0] neg_lo:[0,0,1] neg_hi:[0,0,1]
	v_pk_fma_f32 v[0:1], v[0:1], v[84:85], v[2:3] op_sel:[0,0,1] op_sel_hi:[1,0,0]
	s_delay_alu instid0(VALU_DEP_1) | instskip(NEXT) | instid1(VALU_DEP_1)
	v_mov_b32_e32 v87, v1
	v_pk_add_f32 v[252:253], v[252:253], v[86:87] neg_lo:[0,1] neg_hi:[0,1]
.LBB125_379:
	s_or_b32 exec_lo, exec_lo, s1
	s_delay_alu instid0(SALU_CYCLE_1)
	s_mov_b32 s2, exec_lo
	s_wait_dscnt 0x0
	s_barrier_signal -1
	s_barrier_wait -1
	v_cmpx_eq_u32_e32 42, v254
	s_cbranch_execz .LBB125_386
; %bb.380:
	ds_store_b64 v255, v[212:213]
	ds_store_2addr_b64 v6, v[214:215], v[216:217] offset0:43 offset1:44
	ds_store_2addr_b64 v6, v[218:219], v[220:221] offset0:45 offset1:46
	;; [unrolled: 1-line block ×10, first 2 shown]
	ds_load_b64 v[84:85], v255
	s_wait_dscnt 0x0
	v_cmp_neq_f32_e32 vcc_lo, 0, v84
	v_cmp_neq_f32_e64 s1, 0, v85
	s_or_b32 s1, vcc_lo, s1
	s_delay_alu instid0(SALU_CYCLE_1)
	s_and_b32 exec_lo, exec_lo, s1
	s_cbranch_execz .LBB125_386
; %bb.381:
	v_cmp_ngt_f32_e64 s1, |v84|, |v85|
                                        ; implicit-def: $vgpr86_vgpr87
	s_and_saveexec_b32 s4, s1
	s_delay_alu instid0(SALU_CYCLE_1)
	s_xor_b32 s1, exec_lo, s4
	s_cbranch_execz .LBB125_383
; %bb.382:
	v_div_scale_f32 v0, null, v85, v85, v84
	v_div_scale_f32 v3, vcc_lo, v84, v85, v84
	s_delay_alu instid0(VALU_DEP_2) | instskip(SKIP_1) | instid1(TRANS32_DEP_1)
	v_rcp_f32_e32 v1, v0
	v_nop
	v_fma_f32 v2, -v0, v1, 1.0
	s_delay_alu instid0(VALU_DEP_1) | instskip(NEXT) | instid1(VALU_DEP_1)
	v_fmac_f32_e32 v1, v2, v1
	v_mul_f32_e32 v2, v3, v1
	s_delay_alu instid0(VALU_DEP_1) | instskip(NEXT) | instid1(VALU_DEP_1)
	v_fma_f32 v4, -v0, v2, v3
	v_fmac_f32_e32 v2, v4, v1
	s_delay_alu instid0(VALU_DEP_1) | instskip(NEXT) | instid1(VALU_DEP_1)
	v_fma_f32 v0, -v0, v2, v3
	v_div_fmas_f32 v0, v0, v1, v2
	s_delay_alu instid0(VALU_DEP_1) | instskip(NEXT) | instid1(VALU_DEP_1)
	v_div_fixup_f32 v0, v0, v85, v84
	v_fmac_f32_e32 v85, v84, v0
	s_delay_alu instid0(VALU_DEP_1) | instskip(SKIP_1) | instid1(VALU_DEP_2)
	v_div_scale_f32 v1, null, v85, v85, 1.0
	v_div_scale_f32 v4, vcc_lo, 1.0, v85, 1.0
	v_rcp_f32_e32 v2, v1
	v_nop
	s_delay_alu instid0(TRANS32_DEP_1) | instskip(NEXT) | instid1(VALU_DEP_1)
	v_fma_f32 v3, -v1, v2, 1.0
	v_fmac_f32_e32 v2, v3, v2
	s_delay_alu instid0(VALU_DEP_1) | instskip(NEXT) | instid1(VALU_DEP_1)
	v_mul_f32_e32 v3, v4, v2
	v_fma_f32 v5, -v1, v3, v4
	s_delay_alu instid0(VALU_DEP_1) | instskip(NEXT) | instid1(VALU_DEP_1)
	v_fmac_f32_e32 v3, v5, v2
	v_fma_f32 v1, -v1, v3, v4
	s_delay_alu instid0(VALU_DEP_1) | instskip(NEXT) | instid1(VALU_DEP_1)
	v_div_fmas_f32 v1, v1, v2, v3
	v_div_fixup_f32 v1, v1, v85, 1.0
                                        ; implicit-def: $vgpr84_vgpr85
	s_delay_alu instid0(VALU_DEP_1)
	v_mul_f32_e32 v86, v0, v1
	v_xor_b32_e32 v87, 0x80000000, v1
.LBB125_383:
	s_and_not1_saveexec_b32 s1, s1
	s_cbranch_execz .LBB125_385
; %bb.384:
	v_div_scale_f32 v0, null, v84, v84, v85
	v_div_scale_f32 v3, vcc_lo, v85, v84, v85
	s_delay_alu instid0(VALU_DEP_2) | instskip(SKIP_1) | instid1(TRANS32_DEP_1)
	v_rcp_f32_e32 v1, v0
	v_nop
	v_fma_f32 v2, -v0, v1, 1.0
	s_delay_alu instid0(VALU_DEP_1) | instskip(NEXT) | instid1(VALU_DEP_1)
	v_fmac_f32_e32 v1, v2, v1
	v_mul_f32_e32 v2, v3, v1
	s_delay_alu instid0(VALU_DEP_1) | instskip(NEXT) | instid1(VALU_DEP_1)
	v_fma_f32 v4, -v0, v2, v3
	v_fmac_f32_e32 v2, v4, v1
	s_delay_alu instid0(VALU_DEP_1) | instskip(NEXT) | instid1(VALU_DEP_1)
	v_fma_f32 v0, -v0, v2, v3
	v_div_fmas_f32 v0, v0, v1, v2
	s_delay_alu instid0(VALU_DEP_1) | instskip(NEXT) | instid1(VALU_DEP_1)
	v_div_fixup_f32 v0, v0, v84, v85
	v_fmac_f32_e32 v84, v85, v0
	s_delay_alu instid0(VALU_DEP_1) | instskip(NEXT) | instid1(VALU_DEP_1)
	v_div_scale_f32 v1, null, v84, v84, 1.0
	v_rcp_f32_e32 v2, v1
	v_nop
	s_delay_alu instid0(TRANS32_DEP_1) | instskip(NEXT) | instid1(VALU_DEP_1)
	v_fma_f32 v3, -v1, v2, 1.0
	v_fmac_f32_e32 v2, v3, v2
	v_div_scale_f32 v3, vcc_lo, 1.0, v84, 1.0
	s_delay_alu instid0(VALU_DEP_1) | instskip(NEXT) | instid1(VALU_DEP_1)
	v_mul_f32_e32 v4, v3, v2
	v_fma_f32 v5, -v1, v4, v3
	s_delay_alu instid0(VALU_DEP_1) | instskip(NEXT) | instid1(VALU_DEP_1)
	v_fmac_f32_e32 v4, v5, v2
	v_fma_f32 v1, -v1, v4, v3
	s_delay_alu instid0(VALU_DEP_1) | instskip(NEXT) | instid1(VALU_DEP_1)
	v_div_fmas_f32 v1, v1, v2, v4
	v_div_fixup_f32 v86, v1, v84, 1.0
	s_delay_alu instid0(VALU_DEP_1)
	v_mul_f32_e64 v87, v0, -v86
.LBB125_385:
	s_or_b32 exec_lo, exec_lo, s1
	ds_store_b64 v255, v[86:87]
.LBB125_386:
	s_or_b32 exec_lo, exec_lo, s2
	s_wait_dscnt 0x0
	s_barrier_signal -1
	s_barrier_wait -1
	ds_load_b64 v[84:85], v255
	s_mov_b32 s1, exec_lo
	v_cmpx_lt_u32_e32 42, v254
	s_cbranch_execz .LBB125_388
; %bb.387:
	ds_load_2addr_b64 v[90:93], v6 offset0:43 offset1:44
	s_wait_dscnt 0x1
	v_pk_mul_f32 v[0:1], v[84:85], v[212:213] op_sel:[1,1] op_sel_hi:[0,1]
	s_delay_alu instid0(VALU_DEP_1) | instskip(SKIP_1) | instid1(VALU_DEP_1)
	v_pk_fma_f32 v[88:89], v[84:85], v[212:213], v[0:1] op_sel_hi:[1,0,1]
	v_pk_fma_f32 v[86:87], v[84:85], v[212:213], v[0:1] op_sel_hi:[1,0,1] neg_lo:[0,0,1] neg_hi:[0,0,1]
	v_dual_mov_b32 v213, v89 :: v_dual_mov_b32 v212, v86
	s_wait_dscnt 0x0
	s_delay_alu instid0(VALU_DEP_3) | instskip(NEXT) | instid1(VALU_DEP_1)
	v_pk_mul_f32 v[0:1], v[90:91], v[88:89] op_sel:[0,1]
	v_pk_fma_f32 v[2:3], v[90:91], v[86:87], v[0:1] op_sel:[0,0,1] op_sel_hi:[1,1,0] neg_lo:[0,0,1] neg_hi:[0,0,1]
	v_pk_fma_f32 v[0:1], v[90:91], v[86:87], v[0:1] op_sel:[0,0,1] op_sel_hi:[1,0,0]
	s_delay_alu instid0(VALU_DEP_1) | instskip(SKIP_1) | instid1(VALU_DEP_2)
	v_mov_b32_e32 v3, v1
	v_pk_mul_f32 v[0:1], v[92:93], v[88:89] op_sel:[0,1]
	v_pk_add_f32 v[214:215], v[214:215], v[2:3] neg_lo:[0,1] neg_hi:[0,1]
	s_delay_alu instid0(VALU_DEP_2) | instskip(SKIP_3) | instid1(VALU_DEP_1)
	v_pk_fma_f32 v[2:3], v[92:93], v[86:87], v[0:1] op_sel:[0,0,1] op_sel_hi:[1,1,0] neg_lo:[0,0,1] neg_hi:[0,0,1]
	v_pk_fma_f32 v[0:1], v[92:93], v[86:87], v[0:1] op_sel:[0,0,1] op_sel_hi:[1,0,0]
	ds_load_2addr_b64 v[90:93], v6 offset0:45 offset1:46
	v_mov_b32_e32 v3, v1
	v_pk_add_f32 v[216:217], v[216:217], v[2:3] neg_lo:[0,1] neg_hi:[0,1]
	s_wait_dscnt 0x0
	v_pk_mul_f32 v[0:1], v[90:91], v[88:89] op_sel:[0,1]
	s_delay_alu instid0(VALU_DEP_1) | instskip(SKIP_2) | instid1(VALU_DEP_2)
	v_pk_fma_f32 v[2:3], v[90:91], v[86:87], v[0:1] op_sel:[0,0,1] op_sel_hi:[1,1,0] neg_lo:[0,0,1] neg_hi:[0,0,1]
	v_pk_fma_f32 v[0:1], v[90:91], v[86:87], v[0:1] op_sel:[0,0,1] op_sel_hi:[1,0,0]
	v_dual_mov_b32 v0, v93 :: v_dual_mul_f32 v90, v93, v86
	v_dual_mov_b32 v3, v1 :: v_dual_mov_b32 v1, v92
	s_delay_alu instid0(VALU_DEP_1) | instskip(SKIP_1) | instid1(VALU_DEP_3)
	v_pk_add_f32 v[218:219], v[218:219], v[2:3] neg_lo:[0,1] neg_hi:[0,1]
	v_mul_f32_e32 v2, v93, v89
	v_pk_fma_f32 v[0:1], v[0:1], v[212:213], v[90:91] op_sel_hi:[1,1,0]
	s_delay_alu instid0(VALU_DEP_2) | instskip(SKIP_2) | instid1(VALU_DEP_1)
	v_pk_fma_f32 v[2:3], v[92:93], v[212:213], v[2:3] op_sel_hi:[1,1,0] neg_lo:[0,0,1] neg_hi:[0,0,1]
	ds_load_2addr_b64 v[90:93], v6 offset0:47 offset1:48
	v_mov_b32_e32 v3, v1
	v_pk_add_f32 v[220:221], v[220:221], v[2:3] neg_lo:[0,1] neg_hi:[0,1]
	s_wait_dscnt 0x0
	v_pk_mul_f32 v[0:1], v[90:91], v[88:89] op_sel:[0,1]
	s_delay_alu instid0(VALU_DEP_1) | instskip(SKIP_1) | instid1(VALU_DEP_1)
	v_pk_fma_f32 v[2:3], v[90:91], v[86:87], v[0:1] op_sel:[0,0,1] op_sel_hi:[1,1,0] neg_lo:[0,0,1] neg_hi:[0,0,1]
	v_pk_fma_f32 v[0:1], v[90:91], v[86:87], v[0:1] op_sel:[0,0,1] op_sel_hi:[1,0,0]
	v_mov_b32_e32 v3, v1
	v_pk_mul_f32 v[0:1], v[92:93], v[88:89] op_sel:[0,1]
	s_delay_alu instid0(VALU_DEP_2) | instskip(NEXT) | instid1(VALU_DEP_2)
	v_pk_add_f32 v[222:223], v[222:223], v[2:3] neg_lo:[0,1] neg_hi:[0,1]
	v_pk_fma_f32 v[2:3], v[92:93], v[86:87], v[0:1] op_sel:[0,0,1] op_sel_hi:[1,1,0] neg_lo:[0,0,1] neg_hi:[0,0,1]
	v_pk_fma_f32 v[0:1], v[92:93], v[86:87], v[0:1] op_sel:[0,0,1] op_sel_hi:[1,0,0]
	ds_load_2addr_b64 v[90:93], v6 offset0:49 offset1:50
	v_mov_b32_e32 v3, v1
	s_delay_alu instid0(VALU_DEP_1) | instskip(SKIP_2) | instid1(VALU_DEP_1)
	v_pk_add_f32 v[224:225], v[224:225], v[2:3] neg_lo:[0,1] neg_hi:[0,1]
	s_wait_dscnt 0x0
	v_pk_mul_f32 v[0:1], v[90:91], v[88:89] op_sel:[0,1]
	v_pk_fma_f32 v[2:3], v[90:91], v[86:87], v[0:1] op_sel:[0,0,1] op_sel_hi:[1,1,0] neg_lo:[0,0,1] neg_hi:[0,0,1]
	v_pk_fma_f32 v[0:1], v[90:91], v[86:87], v[0:1] op_sel:[0,0,1] op_sel_hi:[1,0,0]
	s_delay_alu instid0(VALU_DEP_1) | instskip(SKIP_1) | instid1(VALU_DEP_2)
	v_mov_b32_e32 v3, v1
	v_pk_mul_f32 v[0:1], v[92:93], v[88:89] op_sel:[0,1]
	v_pk_add_f32 v[226:227], v[226:227], v[2:3] neg_lo:[0,1] neg_hi:[0,1]
	s_delay_alu instid0(VALU_DEP_2) | instskip(SKIP_3) | instid1(VALU_DEP_1)
	v_pk_fma_f32 v[2:3], v[92:93], v[86:87], v[0:1] op_sel:[0,0,1] op_sel_hi:[1,1,0] neg_lo:[0,0,1] neg_hi:[0,0,1]
	v_pk_fma_f32 v[0:1], v[92:93], v[86:87], v[0:1] op_sel:[0,0,1] op_sel_hi:[1,0,0]
	ds_load_2addr_b64 v[90:93], v6 offset0:51 offset1:52
	v_mov_b32_e32 v3, v1
	v_pk_add_f32 v[228:229], v[228:229], v[2:3] neg_lo:[0,1] neg_hi:[0,1]
	s_wait_dscnt 0x0
	v_dual_mul_f32 v2, v91, v86 :: v_dual_mul_f32 v0, v91, v89
	s_delay_alu instid0(VALU_DEP_1) | instskip(NEXT) | instid1(VALU_DEP_2)
	v_pk_fma_f32 v[2:3], v[90:91], v[212:213], v[2:3] op_sel:[1,0,0] op_sel_hi:[0,1,0]
	v_pk_fma_f32 v[0:1], v[90:91], v[212:213], v[0:1] op_sel_hi:[1,1,0] neg_lo:[0,0,1] neg_hi:[0,0,1]
	s_delay_alu instid0(VALU_DEP_2) | instskip(NEXT) | instid1(VALU_DEP_1)
	v_mov_b32_e32 v1, v3
	v_pk_add_f32 v[230:231], v[230:231], v[0:1] neg_lo:[0,1] neg_hi:[0,1]
	v_pk_mul_f32 v[0:1], v[92:93], v[88:89] op_sel:[0,1]
	s_delay_alu instid0(VALU_DEP_1) | instskip(SKIP_3) | instid1(VALU_DEP_1)
	v_pk_fma_f32 v[2:3], v[92:93], v[86:87], v[0:1] op_sel:[0,0,1] op_sel_hi:[1,1,0] neg_lo:[0,0,1] neg_hi:[0,0,1]
	v_pk_fma_f32 v[0:1], v[92:93], v[86:87], v[0:1] op_sel:[0,0,1] op_sel_hi:[1,0,0]
	ds_load_2addr_b64 v[90:93], v6 offset0:53 offset1:54
	v_mov_b32_e32 v3, v1
	v_pk_add_f32 v[232:233], v[232:233], v[2:3] neg_lo:[0,1] neg_hi:[0,1]
	s_wait_dscnt 0x0
	v_pk_mul_f32 v[0:1], v[90:91], v[88:89] op_sel:[0,1]
	s_delay_alu instid0(VALU_DEP_1) | instskip(SKIP_1) | instid1(VALU_DEP_1)
	v_pk_fma_f32 v[2:3], v[90:91], v[86:87], v[0:1] op_sel:[0,0,1] op_sel_hi:[1,1,0] neg_lo:[0,0,1] neg_hi:[0,0,1]
	v_pk_fma_f32 v[0:1], v[90:91], v[86:87], v[0:1] op_sel:[0,0,1] op_sel_hi:[1,0,0]
	v_mov_b32_e32 v3, v1
	v_pk_mul_f32 v[0:1], v[92:93], v[88:89] op_sel:[0,1]
	s_delay_alu instid0(VALU_DEP_2) | instskip(NEXT) | instid1(VALU_DEP_2)
	v_pk_add_f32 v[234:235], v[234:235], v[2:3] neg_lo:[0,1] neg_hi:[0,1]
	v_pk_fma_f32 v[2:3], v[92:93], v[86:87], v[0:1] op_sel:[0,0,1] op_sel_hi:[1,1,0] neg_lo:[0,0,1] neg_hi:[0,0,1]
	v_pk_fma_f32 v[0:1], v[92:93], v[86:87], v[0:1] op_sel:[0,0,1] op_sel_hi:[1,0,0]
	ds_load_2addr_b64 v[90:93], v6 offset0:55 offset1:56
	v_mov_b32_e32 v3, v1
	s_delay_alu instid0(VALU_DEP_1) | instskip(SKIP_2) | instid1(VALU_DEP_1)
	v_pk_add_f32 v[236:237], v[236:237], v[2:3] neg_lo:[0,1] neg_hi:[0,1]
	s_wait_dscnt 0x0
	v_pk_mul_f32 v[0:1], v[90:91], v[88:89] op_sel:[0,1]
	v_pk_fma_f32 v[2:3], v[90:91], v[86:87], v[0:1] op_sel:[0,0,1] op_sel_hi:[1,1,0] neg_lo:[0,0,1] neg_hi:[0,0,1]
	v_pk_fma_f32 v[0:1], v[90:91], v[86:87], v[0:1] op_sel:[0,0,1] op_sel_hi:[1,0,0]
	v_dual_mov_b32 v0, v93 :: v_dual_mul_f32 v90, v93, v86
	s_delay_alu instid0(VALU_DEP_2) | instskip(NEXT) | instid1(VALU_DEP_1)
	v_dual_mov_b32 v3, v1 :: v_dual_mov_b32 v1, v92
	v_pk_add_f32 v[238:239], v[238:239], v[2:3] neg_lo:[0,1] neg_hi:[0,1]
	v_mul_f32_e32 v2, v93, v89
	s_delay_alu instid0(VALU_DEP_3) | instskip(NEXT) | instid1(VALU_DEP_2)
	v_pk_fma_f32 v[0:1], v[0:1], v[212:213], v[90:91] op_sel_hi:[1,1,0]
	v_pk_fma_f32 v[2:3], v[92:93], v[212:213], v[2:3] op_sel_hi:[1,1,0] neg_lo:[0,0,1] neg_hi:[0,0,1]
	ds_load_2addr_b64 v[90:93], v6 offset0:57 offset1:58
	v_mov_b32_e32 v3, v1
	s_delay_alu instid0(VALU_DEP_1) | instskip(SKIP_2) | instid1(VALU_DEP_1)
	v_pk_add_f32 v[248:249], v[248:249], v[2:3] neg_lo:[0,1] neg_hi:[0,1]
	s_wait_dscnt 0x0
	v_pk_mul_f32 v[0:1], v[90:91], v[88:89] op_sel:[0,1]
	v_pk_fma_f32 v[2:3], v[90:91], v[86:87], v[0:1] op_sel:[0,0,1] op_sel_hi:[1,1,0] neg_lo:[0,0,1] neg_hi:[0,0,1]
	v_pk_fma_f32 v[0:1], v[90:91], v[86:87], v[0:1] op_sel:[0,0,1] op_sel_hi:[1,0,0]
	s_delay_alu instid0(VALU_DEP_1) | instskip(SKIP_1) | instid1(VALU_DEP_2)
	v_mov_b32_e32 v3, v1
	v_pk_mul_f32 v[0:1], v[92:93], v[88:89] op_sel:[0,1]
	v_pk_add_f32 v[242:243], v[242:243], v[2:3] neg_lo:[0,1] neg_hi:[0,1]
	s_delay_alu instid0(VALU_DEP_2) | instskip(SKIP_3) | instid1(VALU_DEP_1)
	v_pk_fma_f32 v[2:3], v[92:93], v[86:87], v[0:1] op_sel:[0,0,1] op_sel_hi:[1,1,0] neg_lo:[0,0,1] neg_hi:[0,0,1]
	v_pk_fma_f32 v[0:1], v[92:93], v[86:87], v[0:1] op_sel:[0,0,1] op_sel_hi:[1,0,0]
	ds_load_2addr_b64 v[90:93], v6 offset0:59 offset1:60
	v_mov_b32_e32 v3, v1
	v_pk_add_f32 v[246:247], v[246:247], v[2:3] neg_lo:[0,1] neg_hi:[0,1]
	s_wait_dscnt 0x0
	v_pk_mul_f32 v[0:1], v[90:91], v[88:89] op_sel:[0,1]
	s_delay_alu instid0(VALU_DEP_1) | instskip(SKIP_1) | instid1(VALU_DEP_1)
	v_pk_fma_f32 v[2:3], v[90:91], v[86:87], v[0:1] op_sel:[0,0,1] op_sel_hi:[1,1,0] neg_lo:[0,0,1] neg_hi:[0,0,1]
	v_pk_fma_f32 v[0:1], v[90:91], v[86:87], v[0:1] op_sel:[0,0,1] op_sel_hi:[1,0,0]
	v_mov_b32_e32 v3, v1
	v_pk_mul_f32 v[0:1], v[92:93], v[88:89] op_sel:[0,1]
	s_delay_alu instid0(VALU_DEP_2) | instskip(NEXT) | instid1(VALU_DEP_2)
	v_pk_add_f32 v[240:241], v[240:241], v[2:3] neg_lo:[0,1] neg_hi:[0,1]
	v_pk_fma_f32 v[2:3], v[92:93], v[86:87], v[0:1] op_sel:[0,0,1] op_sel_hi:[1,1,0] neg_lo:[0,0,1] neg_hi:[0,0,1]
	v_pk_fma_f32 v[0:1], v[92:93], v[86:87], v[0:1] op_sel:[0,0,1] op_sel_hi:[1,0,0]
	ds_load_2addr_b64 v[90:93], v6 offset0:61 offset1:62
	v_mov_b32_e32 v3, v1
	s_delay_alu instid0(VALU_DEP_1) | instskip(SKIP_2) | instid1(VALU_DEP_1)
	v_pk_add_f32 v[244:245], v[244:245], v[2:3] neg_lo:[0,1] neg_hi:[0,1]
	s_wait_dscnt 0x0
	v_dual_mul_f32 v2, v91, v86 :: v_dual_mul_f32 v0, v91, v89
	v_pk_fma_f32 v[2:3], v[90:91], v[212:213], v[2:3] op_sel:[1,0,0] op_sel_hi:[0,1,0]
	s_delay_alu instid0(VALU_DEP_2) | instskip(NEXT) | instid1(VALU_DEP_2)
	v_pk_fma_f32 v[0:1], v[90:91], v[212:213], v[0:1] op_sel_hi:[1,1,0] neg_lo:[0,0,1] neg_hi:[0,0,1]
	v_mov_b32_e32 v1, v3
	s_delay_alu instid0(VALU_DEP_1) | instskip(SKIP_1) | instid1(VALU_DEP_1)
	v_pk_add_f32 v[250:251], v[250:251], v[0:1] neg_lo:[0,1] neg_hi:[0,1]
	v_pk_mul_f32 v[0:1], v[92:93], v[88:89] op_sel:[0,1]
	v_pk_fma_f32 v[2:3], v[92:93], v[86:87], v[0:1] op_sel:[0,0,1] op_sel_hi:[1,1,0] neg_lo:[0,0,1] neg_hi:[0,0,1]
	v_pk_fma_f32 v[0:1], v[92:93], v[86:87], v[0:1] op_sel:[0,0,1] op_sel_hi:[1,0,0]
	s_delay_alu instid0(VALU_DEP_1) | instskip(NEXT) | instid1(VALU_DEP_1)
	v_mov_b32_e32 v3, v1
	v_pk_add_f32 v[252:253], v[252:253], v[2:3] neg_lo:[0,1] neg_hi:[0,1]
.LBB125_388:
	s_or_b32 exec_lo, exec_lo, s1
	s_delay_alu instid0(SALU_CYCLE_1)
	s_mov_b32 s2, exec_lo
	s_wait_dscnt 0x0
	s_barrier_signal -1
	s_barrier_wait -1
	v_cmpx_eq_u32_e32 43, v254
	s_cbranch_execz .LBB125_395
; %bb.389:
	v_dual_mov_b32 v0, v216 :: v_dual_mov_b32 v1, v217
	v_dual_mov_b32 v2, v218 :: v_dual_mov_b32 v3, v219
	ds_store_b64 v255, v[214:215]
	ds_store_2addr_b64 v6, v[0:1], v[2:3] offset0:44 offset1:45
	v_dual_mov_b32 v0, v220 :: v_dual_mov_b32 v1, v221
	v_dual_mov_b32 v2, v222 :: v_dual_mov_b32 v3, v223
	ds_store_2addr_b64 v6, v[0:1], v[2:3] offset0:46 offset1:47
	v_dual_mov_b32 v0, v224 :: v_dual_mov_b32 v1, v225
	v_dual_mov_b32 v2, v226 :: v_dual_mov_b32 v3, v227
	;; [unrolled: 3-line block ×8, first 2 shown]
	ds_store_2addr_b64 v6, v[0:1], v[2:3] offset0:60 offset1:61
	ds_store_b64 v6, v[252:253] offset:496
	ds_load_b64 v[86:87], v255
	s_wait_dscnt 0x0
	v_cmp_neq_f32_e32 vcc_lo, 0, v86
	v_cmp_neq_f32_e64 s1, 0, v87
	s_or_b32 s1, vcc_lo, s1
	s_delay_alu instid0(SALU_CYCLE_1)
	s_and_b32 exec_lo, exec_lo, s1
	s_cbranch_execz .LBB125_395
; %bb.390:
	v_cmp_ngt_f32_e64 s1, |v86|, |v87|
                                        ; implicit-def: $vgpr88_vgpr89
	s_and_saveexec_b32 s4, s1
	s_delay_alu instid0(SALU_CYCLE_1)
	s_xor_b32 s1, exec_lo, s4
	s_cbranch_execz .LBB125_392
; %bb.391:
	v_div_scale_f32 v0, null, v87, v87, v86
	v_div_scale_f32 v3, vcc_lo, v86, v87, v86
	s_delay_alu instid0(VALU_DEP_2) | instskip(SKIP_1) | instid1(TRANS32_DEP_1)
	v_rcp_f32_e32 v1, v0
	v_nop
	v_fma_f32 v2, -v0, v1, 1.0
	s_delay_alu instid0(VALU_DEP_1) | instskip(NEXT) | instid1(VALU_DEP_1)
	v_fmac_f32_e32 v1, v2, v1
	v_mul_f32_e32 v2, v3, v1
	s_delay_alu instid0(VALU_DEP_1) | instskip(NEXT) | instid1(VALU_DEP_1)
	v_fma_f32 v4, -v0, v2, v3
	v_fmac_f32_e32 v2, v4, v1
	s_delay_alu instid0(VALU_DEP_1) | instskip(NEXT) | instid1(VALU_DEP_1)
	v_fma_f32 v0, -v0, v2, v3
	v_div_fmas_f32 v0, v0, v1, v2
	s_delay_alu instid0(VALU_DEP_1) | instskip(NEXT) | instid1(VALU_DEP_1)
	v_div_fixup_f32 v0, v0, v87, v86
	v_fmac_f32_e32 v87, v86, v0
	s_delay_alu instid0(VALU_DEP_1) | instskip(SKIP_1) | instid1(VALU_DEP_2)
	v_div_scale_f32 v1, null, v87, v87, 1.0
	v_div_scale_f32 v4, vcc_lo, 1.0, v87, 1.0
	v_rcp_f32_e32 v2, v1
	v_nop
	s_delay_alu instid0(TRANS32_DEP_1) | instskip(NEXT) | instid1(VALU_DEP_1)
	v_fma_f32 v3, -v1, v2, 1.0
	v_fmac_f32_e32 v2, v3, v2
	s_delay_alu instid0(VALU_DEP_1) | instskip(NEXT) | instid1(VALU_DEP_1)
	v_mul_f32_e32 v3, v4, v2
	v_fma_f32 v5, -v1, v3, v4
	s_delay_alu instid0(VALU_DEP_1) | instskip(NEXT) | instid1(VALU_DEP_1)
	v_fmac_f32_e32 v3, v5, v2
	v_fma_f32 v1, -v1, v3, v4
	s_delay_alu instid0(VALU_DEP_1) | instskip(NEXT) | instid1(VALU_DEP_1)
	v_div_fmas_f32 v1, v1, v2, v3
	v_div_fixup_f32 v1, v1, v87, 1.0
                                        ; implicit-def: $vgpr86_vgpr87
	s_delay_alu instid0(VALU_DEP_1)
	v_mul_f32_e32 v88, v0, v1
	v_xor_b32_e32 v89, 0x80000000, v1
.LBB125_392:
	s_and_not1_saveexec_b32 s1, s1
	s_cbranch_execz .LBB125_394
; %bb.393:
	v_div_scale_f32 v0, null, v86, v86, v87
	v_div_scale_f32 v3, vcc_lo, v87, v86, v87
	s_delay_alu instid0(VALU_DEP_2) | instskip(SKIP_1) | instid1(TRANS32_DEP_1)
	v_rcp_f32_e32 v1, v0
	v_nop
	v_fma_f32 v2, -v0, v1, 1.0
	s_delay_alu instid0(VALU_DEP_1) | instskip(NEXT) | instid1(VALU_DEP_1)
	v_fmac_f32_e32 v1, v2, v1
	v_mul_f32_e32 v2, v3, v1
	s_delay_alu instid0(VALU_DEP_1) | instskip(NEXT) | instid1(VALU_DEP_1)
	v_fma_f32 v4, -v0, v2, v3
	v_fmac_f32_e32 v2, v4, v1
	s_delay_alu instid0(VALU_DEP_1) | instskip(NEXT) | instid1(VALU_DEP_1)
	v_fma_f32 v0, -v0, v2, v3
	v_div_fmas_f32 v0, v0, v1, v2
	s_delay_alu instid0(VALU_DEP_1) | instskip(NEXT) | instid1(VALU_DEP_1)
	v_div_fixup_f32 v0, v0, v86, v87
	v_fmac_f32_e32 v86, v87, v0
	s_delay_alu instid0(VALU_DEP_1) | instskip(NEXT) | instid1(VALU_DEP_1)
	v_div_scale_f32 v1, null, v86, v86, 1.0
	v_rcp_f32_e32 v2, v1
	v_nop
	s_delay_alu instid0(TRANS32_DEP_1) | instskip(NEXT) | instid1(VALU_DEP_1)
	v_fma_f32 v3, -v1, v2, 1.0
	v_fmac_f32_e32 v2, v3, v2
	v_div_scale_f32 v3, vcc_lo, 1.0, v86, 1.0
	s_delay_alu instid0(VALU_DEP_1) | instskip(NEXT) | instid1(VALU_DEP_1)
	v_mul_f32_e32 v4, v3, v2
	v_fma_f32 v5, -v1, v4, v3
	s_delay_alu instid0(VALU_DEP_1) | instskip(NEXT) | instid1(VALU_DEP_1)
	v_fmac_f32_e32 v4, v5, v2
	v_fma_f32 v1, -v1, v4, v3
	s_delay_alu instid0(VALU_DEP_1) | instskip(NEXT) | instid1(VALU_DEP_1)
	v_div_fmas_f32 v1, v1, v2, v4
	v_div_fixup_f32 v88, v1, v86, 1.0
	s_delay_alu instid0(VALU_DEP_1)
	v_mul_f32_e64 v89, v0, -v88
.LBB125_394:
	s_or_b32 exec_lo, exec_lo, s1
	ds_store_b64 v255, v[88:89]
.LBB125_395:
	s_or_b32 exec_lo, exec_lo, s2
	s_wait_dscnt 0x0
	s_barrier_signal -1
	s_barrier_wait -1
	ds_load_b64 v[86:87], v255
	s_mov_b32 s1, exec_lo
	v_cmpx_lt_u32_e32 43, v254
	s_cbranch_execz .LBB125_397
; %bb.396:
	ds_load_2addr_b64 v[92:95], v6 offset0:44 offset1:45
	s_wait_dscnt 0x1
	v_pk_mul_f32 v[0:1], v[86:87], v[214:215] op_sel:[1,1] op_sel_hi:[0,1]
	s_delay_alu instid0(VALU_DEP_1) | instskip(SKIP_1) | instid1(VALU_DEP_1)
	v_pk_fma_f32 v[90:91], v[86:87], v[214:215], v[0:1] op_sel_hi:[1,0,1]
	v_pk_fma_f32 v[88:89], v[86:87], v[214:215], v[0:1] op_sel_hi:[1,0,1] neg_lo:[0,0,1] neg_hi:[0,0,1]
	v_dual_mov_b32 v215, v91 :: v_dual_mov_b32 v214, v88
	s_wait_dscnt 0x0
	s_delay_alu instid0(VALU_DEP_3) | instskip(NEXT) | instid1(VALU_DEP_1)
	v_pk_mul_f32 v[0:1], v[92:93], v[90:91] op_sel:[0,1]
	v_pk_fma_f32 v[2:3], v[92:93], v[88:89], v[0:1] op_sel:[0,0,1] op_sel_hi:[1,1,0] neg_lo:[0,0,1] neg_hi:[0,0,1]
	v_pk_fma_f32 v[0:1], v[92:93], v[88:89], v[0:1] op_sel:[0,0,1] op_sel_hi:[1,0,0]
	s_delay_alu instid0(VALU_DEP_1) | instskip(SKIP_1) | instid1(VALU_DEP_2)
	v_mov_b32_e32 v3, v1
	v_pk_mul_f32 v[0:1], v[94:95], v[90:91] op_sel:[0,1]
	v_pk_add_f32 v[216:217], v[216:217], v[2:3] neg_lo:[0,1] neg_hi:[0,1]
	s_delay_alu instid0(VALU_DEP_2) | instskip(SKIP_3) | instid1(VALU_DEP_1)
	v_pk_fma_f32 v[2:3], v[94:95], v[88:89], v[0:1] op_sel:[0,0,1] op_sel_hi:[1,1,0] neg_lo:[0,0,1] neg_hi:[0,0,1]
	v_pk_fma_f32 v[0:1], v[94:95], v[88:89], v[0:1] op_sel:[0,0,1] op_sel_hi:[1,0,0]
	ds_load_2addr_b64 v[92:95], v6 offset0:46 offset1:47
	v_mov_b32_e32 v3, v1
	v_pk_add_f32 v[218:219], v[218:219], v[2:3] neg_lo:[0,1] neg_hi:[0,1]
	s_wait_dscnt 0x0
	v_pk_mul_f32 v[0:1], v[92:93], v[90:91] op_sel:[0,1]
	s_delay_alu instid0(VALU_DEP_1) | instskip(SKIP_2) | instid1(VALU_DEP_2)
	v_pk_fma_f32 v[2:3], v[92:93], v[88:89], v[0:1] op_sel:[0,0,1] op_sel_hi:[1,1,0] neg_lo:[0,0,1] neg_hi:[0,0,1]
	v_pk_fma_f32 v[0:1], v[92:93], v[88:89], v[0:1] op_sel:[0,0,1] op_sel_hi:[1,0,0]
	v_dual_mov_b32 v0, v95 :: v_dual_mul_f32 v92, v95, v88
	v_dual_mov_b32 v3, v1 :: v_dual_mov_b32 v1, v94
	s_delay_alu instid0(VALU_DEP_1) | instskip(SKIP_1) | instid1(VALU_DEP_3)
	v_pk_add_f32 v[220:221], v[220:221], v[2:3] neg_lo:[0,1] neg_hi:[0,1]
	v_mul_f32_e32 v2, v95, v91
	v_pk_fma_f32 v[0:1], v[0:1], v[214:215], v[92:93] op_sel_hi:[1,1,0]
	s_delay_alu instid0(VALU_DEP_2) | instskip(SKIP_2) | instid1(VALU_DEP_1)
	v_pk_fma_f32 v[2:3], v[94:95], v[214:215], v[2:3] op_sel_hi:[1,1,0] neg_lo:[0,0,1] neg_hi:[0,0,1]
	ds_load_2addr_b64 v[92:95], v6 offset0:48 offset1:49
	v_mov_b32_e32 v3, v1
	v_pk_add_f32 v[222:223], v[222:223], v[2:3] neg_lo:[0,1] neg_hi:[0,1]
	s_wait_dscnt 0x0
	v_pk_mul_f32 v[0:1], v[92:93], v[90:91] op_sel:[0,1]
	s_delay_alu instid0(VALU_DEP_1) | instskip(SKIP_1) | instid1(VALU_DEP_1)
	v_pk_fma_f32 v[2:3], v[92:93], v[88:89], v[0:1] op_sel:[0,0,1] op_sel_hi:[1,1,0] neg_lo:[0,0,1] neg_hi:[0,0,1]
	v_pk_fma_f32 v[0:1], v[92:93], v[88:89], v[0:1] op_sel:[0,0,1] op_sel_hi:[1,0,0]
	v_mov_b32_e32 v3, v1
	v_pk_mul_f32 v[0:1], v[94:95], v[90:91] op_sel:[0,1]
	s_delay_alu instid0(VALU_DEP_2) | instskip(NEXT) | instid1(VALU_DEP_2)
	v_pk_add_f32 v[224:225], v[224:225], v[2:3] neg_lo:[0,1] neg_hi:[0,1]
	v_pk_fma_f32 v[2:3], v[94:95], v[88:89], v[0:1] op_sel:[0,0,1] op_sel_hi:[1,1,0] neg_lo:[0,0,1] neg_hi:[0,0,1]
	v_pk_fma_f32 v[0:1], v[94:95], v[88:89], v[0:1] op_sel:[0,0,1] op_sel_hi:[1,0,0]
	ds_load_2addr_b64 v[92:95], v6 offset0:50 offset1:51
	v_mov_b32_e32 v3, v1
	s_delay_alu instid0(VALU_DEP_1) | instskip(SKIP_2) | instid1(VALU_DEP_1)
	v_pk_add_f32 v[226:227], v[226:227], v[2:3] neg_lo:[0,1] neg_hi:[0,1]
	s_wait_dscnt 0x0
	v_pk_mul_f32 v[0:1], v[92:93], v[90:91] op_sel:[0,1]
	v_pk_fma_f32 v[2:3], v[92:93], v[88:89], v[0:1] op_sel:[0,0,1] op_sel_hi:[1,1,0] neg_lo:[0,0,1] neg_hi:[0,0,1]
	v_pk_fma_f32 v[0:1], v[92:93], v[88:89], v[0:1] op_sel:[0,0,1] op_sel_hi:[1,0,0]
	s_delay_alu instid0(VALU_DEP_1) | instskip(SKIP_1) | instid1(VALU_DEP_2)
	v_mov_b32_e32 v3, v1
	v_pk_mul_f32 v[0:1], v[94:95], v[90:91] op_sel:[0,1]
	v_pk_add_f32 v[228:229], v[228:229], v[2:3] neg_lo:[0,1] neg_hi:[0,1]
	s_delay_alu instid0(VALU_DEP_2) | instskip(SKIP_3) | instid1(VALU_DEP_1)
	v_pk_fma_f32 v[2:3], v[94:95], v[88:89], v[0:1] op_sel:[0,0,1] op_sel_hi:[1,1,0] neg_lo:[0,0,1] neg_hi:[0,0,1]
	v_pk_fma_f32 v[0:1], v[94:95], v[88:89], v[0:1] op_sel:[0,0,1] op_sel_hi:[1,0,0]
	ds_load_2addr_b64 v[92:95], v6 offset0:52 offset1:53
	v_mov_b32_e32 v3, v1
	v_pk_add_f32 v[230:231], v[230:231], v[2:3] neg_lo:[0,1] neg_hi:[0,1]
	s_wait_dscnt 0x0
	v_dual_mul_f32 v0, v93, v91 :: v_dual_mul_f32 v2, v93, v88
	s_delay_alu instid0(VALU_DEP_1) | instskip(NEXT) | instid1(VALU_DEP_2)
	v_pk_fma_f32 v[0:1], v[92:93], v[214:215], v[0:1] op_sel_hi:[1,1,0] neg_lo:[0,0,1] neg_hi:[0,0,1]
	v_pk_fma_f32 v[2:3], v[92:93], v[214:215], v[2:3] op_sel:[1,0,0] op_sel_hi:[0,1,0]
	s_delay_alu instid0(VALU_DEP_1) | instskip(NEXT) | instid1(VALU_DEP_1)
	v_mov_b32_e32 v1, v3
	v_pk_add_f32 v[232:233], v[232:233], v[0:1] neg_lo:[0,1] neg_hi:[0,1]
	v_pk_mul_f32 v[0:1], v[94:95], v[90:91] op_sel:[0,1]
	s_delay_alu instid0(VALU_DEP_1) | instskip(SKIP_3) | instid1(VALU_DEP_1)
	v_pk_fma_f32 v[2:3], v[94:95], v[88:89], v[0:1] op_sel:[0,0,1] op_sel_hi:[1,1,0] neg_lo:[0,0,1] neg_hi:[0,0,1]
	v_pk_fma_f32 v[0:1], v[94:95], v[88:89], v[0:1] op_sel:[0,0,1] op_sel_hi:[1,0,0]
	ds_load_2addr_b64 v[92:95], v6 offset0:54 offset1:55
	v_mov_b32_e32 v3, v1
	v_pk_add_f32 v[234:235], v[234:235], v[2:3] neg_lo:[0,1] neg_hi:[0,1]
	s_wait_dscnt 0x0
	v_pk_mul_f32 v[0:1], v[92:93], v[90:91] op_sel:[0,1]
	s_delay_alu instid0(VALU_DEP_1) | instskip(SKIP_1) | instid1(VALU_DEP_1)
	v_pk_fma_f32 v[2:3], v[92:93], v[88:89], v[0:1] op_sel:[0,0,1] op_sel_hi:[1,1,0] neg_lo:[0,0,1] neg_hi:[0,0,1]
	v_pk_fma_f32 v[0:1], v[92:93], v[88:89], v[0:1] op_sel:[0,0,1] op_sel_hi:[1,0,0]
	v_mov_b32_e32 v3, v1
	v_pk_mul_f32 v[0:1], v[94:95], v[90:91] op_sel:[0,1]
	s_delay_alu instid0(VALU_DEP_2) | instskip(NEXT) | instid1(VALU_DEP_2)
	v_pk_add_f32 v[236:237], v[236:237], v[2:3] neg_lo:[0,1] neg_hi:[0,1]
	v_pk_fma_f32 v[2:3], v[94:95], v[88:89], v[0:1] op_sel:[0,0,1] op_sel_hi:[1,1,0] neg_lo:[0,0,1] neg_hi:[0,0,1]
	v_pk_fma_f32 v[0:1], v[94:95], v[88:89], v[0:1] op_sel:[0,0,1] op_sel_hi:[1,0,0]
	ds_load_2addr_b64 v[92:95], v6 offset0:56 offset1:57
	v_mov_b32_e32 v3, v1
	s_delay_alu instid0(VALU_DEP_1) | instskip(SKIP_2) | instid1(VALU_DEP_1)
	v_pk_add_f32 v[238:239], v[238:239], v[2:3] neg_lo:[0,1] neg_hi:[0,1]
	s_wait_dscnt 0x0
	v_pk_mul_f32 v[0:1], v[92:93], v[90:91] op_sel:[0,1]
	v_pk_fma_f32 v[2:3], v[92:93], v[88:89], v[0:1] op_sel:[0,0,1] op_sel_hi:[1,1,0] neg_lo:[0,0,1] neg_hi:[0,0,1]
	v_pk_fma_f32 v[0:1], v[92:93], v[88:89], v[0:1] op_sel:[0,0,1] op_sel_hi:[1,0,0]
	v_dual_mov_b32 v0, v95 :: v_dual_mul_f32 v92, v95, v88
	s_delay_alu instid0(VALU_DEP_2) | instskip(NEXT) | instid1(VALU_DEP_1)
	v_dual_mov_b32 v3, v1 :: v_dual_mov_b32 v1, v94
	v_pk_add_f32 v[248:249], v[248:249], v[2:3] neg_lo:[0,1] neg_hi:[0,1]
	v_mul_f32_e32 v2, v95, v91
	s_delay_alu instid0(VALU_DEP_3) | instskip(NEXT) | instid1(VALU_DEP_2)
	v_pk_fma_f32 v[0:1], v[0:1], v[214:215], v[92:93] op_sel_hi:[1,1,0]
	v_pk_fma_f32 v[2:3], v[94:95], v[214:215], v[2:3] op_sel_hi:[1,1,0] neg_lo:[0,0,1] neg_hi:[0,0,1]
	ds_load_2addr_b64 v[92:95], v6 offset0:58 offset1:59
	v_mov_b32_e32 v3, v1
	s_delay_alu instid0(VALU_DEP_1) | instskip(SKIP_2) | instid1(VALU_DEP_1)
	v_pk_add_f32 v[242:243], v[242:243], v[2:3] neg_lo:[0,1] neg_hi:[0,1]
	s_wait_dscnt 0x0
	v_pk_mul_f32 v[0:1], v[92:93], v[90:91] op_sel:[0,1]
	v_pk_fma_f32 v[2:3], v[92:93], v[88:89], v[0:1] op_sel:[0,0,1] op_sel_hi:[1,1,0] neg_lo:[0,0,1] neg_hi:[0,0,1]
	v_pk_fma_f32 v[0:1], v[92:93], v[88:89], v[0:1] op_sel:[0,0,1] op_sel_hi:[1,0,0]
	s_delay_alu instid0(VALU_DEP_1) | instskip(SKIP_1) | instid1(VALU_DEP_2)
	v_mov_b32_e32 v3, v1
	v_pk_mul_f32 v[0:1], v[94:95], v[90:91] op_sel:[0,1]
	v_pk_add_f32 v[246:247], v[246:247], v[2:3] neg_lo:[0,1] neg_hi:[0,1]
	s_delay_alu instid0(VALU_DEP_2) | instskip(SKIP_3) | instid1(VALU_DEP_1)
	v_pk_fma_f32 v[2:3], v[94:95], v[88:89], v[0:1] op_sel:[0,0,1] op_sel_hi:[1,1,0] neg_lo:[0,0,1] neg_hi:[0,0,1]
	v_pk_fma_f32 v[0:1], v[94:95], v[88:89], v[0:1] op_sel:[0,0,1] op_sel_hi:[1,0,0]
	ds_load_2addr_b64 v[92:95], v6 offset0:60 offset1:61
	v_mov_b32_e32 v3, v1
	v_pk_add_f32 v[240:241], v[240:241], v[2:3] neg_lo:[0,1] neg_hi:[0,1]
	s_wait_dscnt 0x0
	v_pk_mul_f32 v[0:1], v[92:93], v[90:91] op_sel:[0,1]
	s_delay_alu instid0(VALU_DEP_1) | instskip(SKIP_1) | instid1(VALU_DEP_1)
	v_pk_fma_f32 v[2:3], v[92:93], v[88:89], v[0:1] op_sel:[0,0,1] op_sel_hi:[1,1,0] neg_lo:[0,0,1] neg_hi:[0,0,1]
	v_pk_fma_f32 v[0:1], v[92:93], v[88:89], v[0:1] op_sel:[0,0,1] op_sel_hi:[1,0,0]
	v_mov_b32_e32 v3, v1
	v_pk_mul_f32 v[0:1], v[94:95], v[90:91] op_sel:[0,1]
	s_delay_alu instid0(VALU_DEP_2) | instskip(NEXT) | instid1(VALU_DEP_2)
	v_pk_add_f32 v[244:245], v[244:245], v[2:3] neg_lo:[0,1] neg_hi:[0,1]
	v_pk_fma_f32 v[2:3], v[94:95], v[88:89], v[0:1] op_sel:[0,0,1] op_sel_hi:[1,1,0] neg_lo:[0,0,1] neg_hi:[0,0,1]
	v_pk_fma_f32 v[0:1], v[94:95], v[88:89], v[0:1] op_sel:[0,0,1] op_sel_hi:[1,0,0]
	s_delay_alu instid0(VALU_DEP_1) | instskip(SKIP_4) | instid1(VALU_DEP_1)
	v_mov_b32_e32 v3, v1
	ds_load_b64 v[0:1], v6 offset:496
	v_pk_add_f32 v[250:251], v[250:251], v[2:3] neg_lo:[0,1] neg_hi:[0,1]
	s_wait_dscnt 0x0
	v_pk_mul_f32 v[2:3], v[0:1], v[90:91] op_sel:[0,1]
	v_pk_fma_f32 v[90:91], v[0:1], v[88:89], v[2:3] op_sel:[0,0,1] op_sel_hi:[1,1,0] neg_lo:[0,0,1] neg_hi:[0,0,1]
	v_pk_fma_f32 v[0:1], v[0:1], v[88:89], v[2:3] op_sel:[0,0,1] op_sel_hi:[1,0,0]
	s_delay_alu instid0(VALU_DEP_1) | instskip(NEXT) | instid1(VALU_DEP_1)
	v_mov_b32_e32 v91, v1
	v_pk_add_f32 v[252:253], v[252:253], v[90:91] neg_lo:[0,1] neg_hi:[0,1]
.LBB125_397:
	s_or_b32 exec_lo, exec_lo, s1
	s_delay_alu instid0(SALU_CYCLE_1)
	s_mov_b32 s2, exec_lo
	s_wait_dscnt 0x0
	s_barrier_signal -1
	s_barrier_wait -1
	v_cmpx_eq_u32_e32 44, v254
	s_cbranch_execz .LBB125_404
; %bb.398:
	ds_store_b64 v255, v[216:217]
	ds_store_2addr_b64 v6, v[218:219], v[220:221] offset0:45 offset1:46
	ds_store_2addr_b64 v6, v[222:223], v[224:225] offset0:47 offset1:48
	;; [unrolled: 1-line block ×9, first 2 shown]
	ds_load_b64 v[88:89], v255
	s_wait_dscnt 0x0
	v_cmp_neq_f32_e32 vcc_lo, 0, v88
	v_cmp_neq_f32_e64 s1, 0, v89
	s_or_b32 s1, vcc_lo, s1
	s_delay_alu instid0(SALU_CYCLE_1)
	s_and_b32 exec_lo, exec_lo, s1
	s_cbranch_execz .LBB125_404
; %bb.399:
	v_cmp_ngt_f32_e64 s1, |v88|, |v89|
                                        ; implicit-def: $vgpr90_vgpr91
	s_and_saveexec_b32 s4, s1
	s_delay_alu instid0(SALU_CYCLE_1)
	s_xor_b32 s1, exec_lo, s4
	s_cbranch_execz .LBB125_401
; %bb.400:
	v_div_scale_f32 v0, null, v89, v89, v88
	v_div_scale_f32 v3, vcc_lo, v88, v89, v88
	s_delay_alu instid0(VALU_DEP_2) | instskip(SKIP_1) | instid1(TRANS32_DEP_1)
	v_rcp_f32_e32 v1, v0
	v_nop
	v_fma_f32 v2, -v0, v1, 1.0
	s_delay_alu instid0(VALU_DEP_1) | instskip(NEXT) | instid1(VALU_DEP_1)
	v_fmac_f32_e32 v1, v2, v1
	v_mul_f32_e32 v2, v3, v1
	s_delay_alu instid0(VALU_DEP_1) | instskip(NEXT) | instid1(VALU_DEP_1)
	v_fma_f32 v4, -v0, v2, v3
	v_fmac_f32_e32 v2, v4, v1
	s_delay_alu instid0(VALU_DEP_1) | instskip(NEXT) | instid1(VALU_DEP_1)
	v_fma_f32 v0, -v0, v2, v3
	v_div_fmas_f32 v0, v0, v1, v2
	s_delay_alu instid0(VALU_DEP_1) | instskip(NEXT) | instid1(VALU_DEP_1)
	v_div_fixup_f32 v0, v0, v89, v88
	v_fmac_f32_e32 v89, v88, v0
	s_delay_alu instid0(VALU_DEP_1) | instskip(SKIP_1) | instid1(VALU_DEP_2)
	v_div_scale_f32 v1, null, v89, v89, 1.0
	v_div_scale_f32 v4, vcc_lo, 1.0, v89, 1.0
	v_rcp_f32_e32 v2, v1
	v_nop
	s_delay_alu instid0(TRANS32_DEP_1) | instskip(NEXT) | instid1(VALU_DEP_1)
	v_fma_f32 v3, -v1, v2, 1.0
	v_fmac_f32_e32 v2, v3, v2
	s_delay_alu instid0(VALU_DEP_1) | instskip(NEXT) | instid1(VALU_DEP_1)
	v_mul_f32_e32 v3, v4, v2
	v_fma_f32 v5, -v1, v3, v4
	s_delay_alu instid0(VALU_DEP_1) | instskip(NEXT) | instid1(VALU_DEP_1)
	v_fmac_f32_e32 v3, v5, v2
	v_fma_f32 v1, -v1, v3, v4
	s_delay_alu instid0(VALU_DEP_1) | instskip(NEXT) | instid1(VALU_DEP_1)
	v_div_fmas_f32 v1, v1, v2, v3
	v_div_fixup_f32 v1, v1, v89, 1.0
                                        ; implicit-def: $vgpr88_vgpr89
	s_delay_alu instid0(VALU_DEP_1)
	v_mul_f32_e32 v90, v0, v1
	v_xor_b32_e32 v91, 0x80000000, v1
.LBB125_401:
	s_and_not1_saveexec_b32 s1, s1
	s_cbranch_execz .LBB125_403
; %bb.402:
	v_div_scale_f32 v0, null, v88, v88, v89
	v_div_scale_f32 v3, vcc_lo, v89, v88, v89
	s_delay_alu instid0(VALU_DEP_2) | instskip(SKIP_1) | instid1(TRANS32_DEP_1)
	v_rcp_f32_e32 v1, v0
	v_nop
	v_fma_f32 v2, -v0, v1, 1.0
	s_delay_alu instid0(VALU_DEP_1) | instskip(NEXT) | instid1(VALU_DEP_1)
	v_fmac_f32_e32 v1, v2, v1
	v_mul_f32_e32 v2, v3, v1
	s_delay_alu instid0(VALU_DEP_1) | instskip(NEXT) | instid1(VALU_DEP_1)
	v_fma_f32 v4, -v0, v2, v3
	v_fmac_f32_e32 v2, v4, v1
	s_delay_alu instid0(VALU_DEP_1) | instskip(NEXT) | instid1(VALU_DEP_1)
	v_fma_f32 v0, -v0, v2, v3
	v_div_fmas_f32 v0, v0, v1, v2
	s_delay_alu instid0(VALU_DEP_1) | instskip(NEXT) | instid1(VALU_DEP_1)
	v_div_fixup_f32 v0, v0, v88, v89
	v_fmac_f32_e32 v88, v89, v0
	s_delay_alu instid0(VALU_DEP_1) | instskip(NEXT) | instid1(VALU_DEP_1)
	v_div_scale_f32 v1, null, v88, v88, 1.0
	v_rcp_f32_e32 v2, v1
	v_nop
	s_delay_alu instid0(TRANS32_DEP_1) | instskip(NEXT) | instid1(VALU_DEP_1)
	v_fma_f32 v3, -v1, v2, 1.0
	v_fmac_f32_e32 v2, v3, v2
	v_div_scale_f32 v3, vcc_lo, 1.0, v88, 1.0
	s_delay_alu instid0(VALU_DEP_1) | instskip(NEXT) | instid1(VALU_DEP_1)
	v_mul_f32_e32 v4, v3, v2
	v_fma_f32 v5, -v1, v4, v3
	s_delay_alu instid0(VALU_DEP_1) | instskip(NEXT) | instid1(VALU_DEP_1)
	v_fmac_f32_e32 v4, v5, v2
	v_fma_f32 v1, -v1, v4, v3
	s_delay_alu instid0(VALU_DEP_1) | instskip(NEXT) | instid1(VALU_DEP_1)
	v_div_fmas_f32 v1, v1, v2, v4
	v_div_fixup_f32 v90, v1, v88, 1.0
	s_delay_alu instid0(VALU_DEP_1)
	v_mul_f32_e64 v91, v0, -v90
.LBB125_403:
	s_or_b32 exec_lo, exec_lo, s1
	ds_store_b64 v255, v[90:91]
.LBB125_404:
	s_or_b32 exec_lo, exec_lo, s2
	s_wait_dscnt 0x0
	s_barrier_signal -1
	s_barrier_wait -1
	ds_load_b64 v[88:89], v255
	s_mov_b32 s1, exec_lo
	v_cmpx_lt_u32_e32 44, v254
	s_cbranch_execz .LBB125_406
; %bb.405:
	ds_load_2addr_b64 v[94:97], v6 offset0:45 offset1:46
	s_wait_dscnt 0x1
	v_pk_mul_f32 v[0:1], v[88:89], v[216:217] op_sel:[1,1] op_sel_hi:[0,1]
	s_delay_alu instid0(VALU_DEP_1) | instskip(SKIP_1) | instid1(VALU_DEP_1)
	v_pk_fma_f32 v[92:93], v[88:89], v[216:217], v[0:1] op_sel_hi:[1,0,1]
	v_pk_fma_f32 v[90:91], v[88:89], v[216:217], v[0:1] op_sel_hi:[1,0,1] neg_lo:[0,0,1] neg_hi:[0,0,1]
	v_dual_mov_b32 v217, v93 :: v_dual_mov_b32 v216, v90
	s_wait_dscnt 0x0
	s_delay_alu instid0(VALU_DEP_3) | instskip(NEXT) | instid1(VALU_DEP_1)
	v_pk_mul_f32 v[0:1], v[94:95], v[92:93] op_sel:[0,1]
	v_pk_fma_f32 v[2:3], v[94:95], v[90:91], v[0:1] op_sel:[0,0,1] op_sel_hi:[1,1,0] neg_lo:[0,0,1] neg_hi:[0,0,1]
	v_pk_fma_f32 v[0:1], v[94:95], v[90:91], v[0:1] op_sel:[0,0,1] op_sel_hi:[1,0,0]
	s_delay_alu instid0(VALU_DEP_1) | instskip(SKIP_1) | instid1(VALU_DEP_2)
	v_mov_b32_e32 v3, v1
	v_pk_mul_f32 v[0:1], v[96:97], v[92:93] op_sel:[0,1]
	v_pk_add_f32 v[218:219], v[218:219], v[2:3] neg_lo:[0,1] neg_hi:[0,1]
	s_delay_alu instid0(VALU_DEP_2) | instskip(SKIP_3) | instid1(VALU_DEP_1)
	v_pk_fma_f32 v[2:3], v[96:97], v[90:91], v[0:1] op_sel:[0,0,1] op_sel_hi:[1,1,0] neg_lo:[0,0,1] neg_hi:[0,0,1]
	v_pk_fma_f32 v[0:1], v[96:97], v[90:91], v[0:1] op_sel:[0,0,1] op_sel_hi:[1,0,0]
	ds_load_2addr_b64 v[94:97], v6 offset0:47 offset1:48
	v_mov_b32_e32 v3, v1
	v_pk_add_f32 v[220:221], v[220:221], v[2:3] neg_lo:[0,1] neg_hi:[0,1]
	s_wait_dscnt 0x0
	v_pk_mul_f32 v[0:1], v[94:95], v[92:93] op_sel:[0,1]
	s_delay_alu instid0(VALU_DEP_1) | instskip(SKIP_2) | instid1(VALU_DEP_2)
	v_pk_fma_f32 v[2:3], v[94:95], v[90:91], v[0:1] op_sel:[0,0,1] op_sel_hi:[1,1,0] neg_lo:[0,0,1] neg_hi:[0,0,1]
	v_pk_fma_f32 v[0:1], v[94:95], v[90:91], v[0:1] op_sel:[0,0,1] op_sel_hi:[1,0,0]
	v_dual_mov_b32 v0, v97 :: v_dual_mul_f32 v94, v97, v90
	v_dual_mov_b32 v3, v1 :: v_dual_mov_b32 v1, v96
	s_delay_alu instid0(VALU_DEP_1) | instskip(SKIP_1) | instid1(VALU_DEP_3)
	v_pk_add_f32 v[222:223], v[222:223], v[2:3] neg_lo:[0,1] neg_hi:[0,1]
	v_mul_f32_e32 v2, v97, v93
	v_pk_fma_f32 v[0:1], v[0:1], v[216:217], v[94:95] op_sel_hi:[1,1,0]
	s_delay_alu instid0(VALU_DEP_2) | instskip(SKIP_2) | instid1(VALU_DEP_1)
	v_pk_fma_f32 v[2:3], v[96:97], v[216:217], v[2:3] op_sel_hi:[1,1,0] neg_lo:[0,0,1] neg_hi:[0,0,1]
	ds_load_2addr_b64 v[94:97], v6 offset0:49 offset1:50
	v_mov_b32_e32 v3, v1
	v_pk_add_f32 v[224:225], v[224:225], v[2:3] neg_lo:[0,1] neg_hi:[0,1]
	s_wait_dscnt 0x0
	v_pk_mul_f32 v[0:1], v[94:95], v[92:93] op_sel:[0,1]
	s_delay_alu instid0(VALU_DEP_1) | instskip(SKIP_1) | instid1(VALU_DEP_1)
	v_pk_fma_f32 v[2:3], v[94:95], v[90:91], v[0:1] op_sel:[0,0,1] op_sel_hi:[1,1,0] neg_lo:[0,0,1] neg_hi:[0,0,1]
	v_pk_fma_f32 v[0:1], v[94:95], v[90:91], v[0:1] op_sel:[0,0,1] op_sel_hi:[1,0,0]
	v_mov_b32_e32 v3, v1
	v_pk_mul_f32 v[0:1], v[96:97], v[92:93] op_sel:[0,1]
	s_delay_alu instid0(VALU_DEP_2) | instskip(NEXT) | instid1(VALU_DEP_2)
	v_pk_add_f32 v[226:227], v[226:227], v[2:3] neg_lo:[0,1] neg_hi:[0,1]
	v_pk_fma_f32 v[2:3], v[96:97], v[90:91], v[0:1] op_sel:[0,0,1] op_sel_hi:[1,1,0] neg_lo:[0,0,1] neg_hi:[0,0,1]
	v_pk_fma_f32 v[0:1], v[96:97], v[90:91], v[0:1] op_sel:[0,0,1] op_sel_hi:[1,0,0]
	ds_load_2addr_b64 v[94:97], v6 offset0:51 offset1:52
	v_mov_b32_e32 v3, v1
	s_delay_alu instid0(VALU_DEP_1) | instskip(SKIP_2) | instid1(VALU_DEP_1)
	v_pk_add_f32 v[228:229], v[228:229], v[2:3] neg_lo:[0,1] neg_hi:[0,1]
	s_wait_dscnt 0x0
	v_pk_mul_f32 v[0:1], v[94:95], v[92:93] op_sel:[0,1]
	v_pk_fma_f32 v[2:3], v[94:95], v[90:91], v[0:1] op_sel:[0,0,1] op_sel_hi:[1,1,0] neg_lo:[0,0,1] neg_hi:[0,0,1]
	v_pk_fma_f32 v[0:1], v[94:95], v[90:91], v[0:1] op_sel:[0,0,1] op_sel_hi:[1,0,0]
	s_delay_alu instid0(VALU_DEP_1) | instskip(SKIP_1) | instid1(VALU_DEP_2)
	v_mov_b32_e32 v3, v1
	v_pk_mul_f32 v[0:1], v[96:97], v[92:93] op_sel:[0,1]
	v_pk_add_f32 v[230:231], v[230:231], v[2:3] neg_lo:[0,1] neg_hi:[0,1]
	s_delay_alu instid0(VALU_DEP_2) | instskip(SKIP_3) | instid1(VALU_DEP_1)
	v_pk_fma_f32 v[2:3], v[96:97], v[90:91], v[0:1] op_sel:[0,0,1] op_sel_hi:[1,1,0] neg_lo:[0,0,1] neg_hi:[0,0,1]
	v_pk_fma_f32 v[0:1], v[96:97], v[90:91], v[0:1] op_sel:[0,0,1] op_sel_hi:[1,0,0]
	ds_load_2addr_b64 v[94:97], v6 offset0:53 offset1:54
	v_mov_b32_e32 v3, v1
	v_pk_add_f32 v[232:233], v[232:233], v[2:3] neg_lo:[0,1] neg_hi:[0,1]
	s_wait_dscnt 0x0
	v_dual_mul_f32 v2, v95, v90 :: v_dual_mul_f32 v0, v95, v93
	s_delay_alu instid0(VALU_DEP_1) | instskip(NEXT) | instid1(VALU_DEP_2)
	v_pk_fma_f32 v[2:3], v[94:95], v[216:217], v[2:3] op_sel:[1,0,0] op_sel_hi:[0,1,0]
	v_pk_fma_f32 v[0:1], v[94:95], v[216:217], v[0:1] op_sel_hi:[1,1,0] neg_lo:[0,0,1] neg_hi:[0,0,1]
	s_delay_alu instid0(VALU_DEP_2) | instskip(NEXT) | instid1(VALU_DEP_1)
	v_mov_b32_e32 v1, v3
	v_pk_add_f32 v[234:235], v[234:235], v[0:1] neg_lo:[0,1] neg_hi:[0,1]
	v_pk_mul_f32 v[0:1], v[96:97], v[92:93] op_sel:[0,1]
	s_delay_alu instid0(VALU_DEP_1) | instskip(SKIP_3) | instid1(VALU_DEP_1)
	v_pk_fma_f32 v[2:3], v[96:97], v[90:91], v[0:1] op_sel:[0,0,1] op_sel_hi:[1,1,0] neg_lo:[0,0,1] neg_hi:[0,0,1]
	v_pk_fma_f32 v[0:1], v[96:97], v[90:91], v[0:1] op_sel:[0,0,1] op_sel_hi:[1,0,0]
	ds_load_2addr_b64 v[94:97], v6 offset0:55 offset1:56
	v_mov_b32_e32 v3, v1
	v_pk_add_f32 v[236:237], v[236:237], v[2:3] neg_lo:[0,1] neg_hi:[0,1]
	s_wait_dscnt 0x0
	v_pk_mul_f32 v[0:1], v[94:95], v[92:93] op_sel:[0,1]
	s_delay_alu instid0(VALU_DEP_1) | instskip(SKIP_1) | instid1(VALU_DEP_1)
	v_pk_fma_f32 v[2:3], v[94:95], v[90:91], v[0:1] op_sel:[0,0,1] op_sel_hi:[1,1,0] neg_lo:[0,0,1] neg_hi:[0,0,1]
	v_pk_fma_f32 v[0:1], v[94:95], v[90:91], v[0:1] op_sel:[0,0,1] op_sel_hi:[1,0,0]
	v_mov_b32_e32 v3, v1
	v_pk_mul_f32 v[0:1], v[96:97], v[92:93] op_sel:[0,1]
	s_delay_alu instid0(VALU_DEP_2) | instskip(NEXT) | instid1(VALU_DEP_2)
	v_pk_add_f32 v[238:239], v[238:239], v[2:3] neg_lo:[0,1] neg_hi:[0,1]
	v_pk_fma_f32 v[2:3], v[96:97], v[90:91], v[0:1] op_sel:[0,0,1] op_sel_hi:[1,1,0] neg_lo:[0,0,1] neg_hi:[0,0,1]
	v_pk_fma_f32 v[0:1], v[96:97], v[90:91], v[0:1] op_sel:[0,0,1] op_sel_hi:[1,0,0]
	ds_load_2addr_b64 v[94:97], v6 offset0:57 offset1:58
	v_mov_b32_e32 v3, v1
	s_delay_alu instid0(VALU_DEP_1) | instskip(SKIP_2) | instid1(VALU_DEP_1)
	v_pk_add_f32 v[248:249], v[248:249], v[2:3] neg_lo:[0,1] neg_hi:[0,1]
	s_wait_dscnt 0x0
	v_pk_mul_f32 v[0:1], v[94:95], v[92:93] op_sel:[0,1]
	v_pk_fma_f32 v[2:3], v[94:95], v[90:91], v[0:1] op_sel:[0,0,1] op_sel_hi:[1,1,0] neg_lo:[0,0,1] neg_hi:[0,0,1]
	v_pk_fma_f32 v[0:1], v[94:95], v[90:91], v[0:1] op_sel:[0,0,1] op_sel_hi:[1,0,0]
	v_dual_mov_b32 v0, v97 :: v_dual_mul_f32 v94, v97, v90
	s_delay_alu instid0(VALU_DEP_2) | instskip(NEXT) | instid1(VALU_DEP_1)
	v_dual_mov_b32 v3, v1 :: v_dual_mov_b32 v1, v96
	v_pk_add_f32 v[242:243], v[242:243], v[2:3] neg_lo:[0,1] neg_hi:[0,1]
	v_mul_f32_e32 v2, v97, v93
	s_delay_alu instid0(VALU_DEP_3) | instskip(NEXT) | instid1(VALU_DEP_2)
	v_pk_fma_f32 v[0:1], v[0:1], v[216:217], v[94:95] op_sel_hi:[1,1,0]
	v_pk_fma_f32 v[2:3], v[96:97], v[216:217], v[2:3] op_sel_hi:[1,1,0] neg_lo:[0,0,1] neg_hi:[0,0,1]
	ds_load_2addr_b64 v[94:97], v6 offset0:59 offset1:60
	v_mov_b32_e32 v3, v1
	s_delay_alu instid0(VALU_DEP_1) | instskip(SKIP_2) | instid1(VALU_DEP_1)
	v_pk_add_f32 v[246:247], v[246:247], v[2:3] neg_lo:[0,1] neg_hi:[0,1]
	s_wait_dscnt 0x0
	v_pk_mul_f32 v[0:1], v[94:95], v[92:93] op_sel:[0,1]
	v_pk_fma_f32 v[2:3], v[94:95], v[90:91], v[0:1] op_sel:[0,0,1] op_sel_hi:[1,1,0] neg_lo:[0,0,1] neg_hi:[0,0,1]
	v_pk_fma_f32 v[0:1], v[94:95], v[90:91], v[0:1] op_sel:[0,0,1] op_sel_hi:[1,0,0]
	s_delay_alu instid0(VALU_DEP_1) | instskip(SKIP_1) | instid1(VALU_DEP_2)
	v_mov_b32_e32 v3, v1
	v_pk_mul_f32 v[0:1], v[96:97], v[92:93] op_sel:[0,1]
	v_pk_add_f32 v[240:241], v[240:241], v[2:3] neg_lo:[0,1] neg_hi:[0,1]
	s_delay_alu instid0(VALU_DEP_2) | instskip(SKIP_3) | instid1(VALU_DEP_1)
	v_pk_fma_f32 v[2:3], v[96:97], v[90:91], v[0:1] op_sel:[0,0,1] op_sel_hi:[1,1,0] neg_lo:[0,0,1] neg_hi:[0,0,1]
	v_pk_fma_f32 v[0:1], v[96:97], v[90:91], v[0:1] op_sel:[0,0,1] op_sel_hi:[1,0,0]
	ds_load_2addr_b64 v[94:97], v6 offset0:61 offset1:62
	v_mov_b32_e32 v3, v1
	v_pk_add_f32 v[244:245], v[244:245], v[2:3] neg_lo:[0,1] neg_hi:[0,1]
	s_wait_dscnt 0x0
	v_pk_mul_f32 v[0:1], v[94:95], v[92:93] op_sel:[0,1]
	s_delay_alu instid0(VALU_DEP_1) | instskip(SKIP_2) | instid1(VALU_DEP_2)
	v_pk_fma_f32 v[2:3], v[94:95], v[90:91], v[0:1] op_sel:[0,0,1] op_sel_hi:[1,1,0] neg_lo:[0,0,1] neg_hi:[0,0,1]
	v_pk_fma_f32 v[0:1], v[94:95], v[90:91], v[0:1] op_sel:[0,0,1] op_sel_hi:[1,0,0]
	v_dual_mov_b32 v0, v97 :: v_dual_mul_f32 v90, v97, v90
	v_dual_mov_b32 v3, v1 :: v_dual_mov_b32 v1, v96
	s_delay_alu instid0(VALU_DEP_1) | instskip(SKIP_1) | instid1(VALU_DEP_3)
	v_pk_add_f32 v[250:251], v[250:251], v[2:3] neg_lo:[0,1] neg_hi:[0,1]
	v_mul_f32_e32 v2, v97, v93
	v_pk_fma_f32 v[0:1], v[0:1], v[216:217], v[90:91] op_sel_hi:[1,1,0]
	s_delay_alu instid0(VALU_DEP_2) | instskip(NEXT) | instid1(VALU_DEP_2)
	v_pk_fma_f32 v[2:3], v[96:97], v[216:217], v[2:3] op_sel_hi:[1,1,0] neg_lo:[0,0,1] neg_hi:[0,0,1]
	v_mov_b32_e32 v3, v1
	s_delay_alu instid0(VALU_DEP_1)
	v_pk_add_f32 v[252:253], v[252:253], v[2:3] neg_lo:[0,1] neg_hi:[0,1]
.LBB125_406:
	s_or_b32 exec_lo, exec_lo, s1
	s_delay_alu instid0(SALU_CYCLE_1)
	s_mov_b32 s2, exec_lo
	s_wait_dscnt 0x0
	s_barrier_signal -1
	s_barrier_wait -1
	v_cmpx_eq_u32_e32 45, v254
	s_cbranch_execz .LBB125_413
; %bb.407:
	v_dual_mov_b32 v0, v220 :: v_dual_mov_b32 v1, v221
	v_dual_mov_b32 v2, v222 :: v_dual_mov_b32 v3, v223
	ds_store_b64 v255, v[218:219]
	ds_store_2addr_b64 v6, v[0:1], v[2:3] offset0:46 offset1:47
	v_dual_mov_b32 v0, v224 :: v_dual_mov_b32 v1, v225
	v_dual_mov_b32 v2, v226 :: v_dual_mov_b32 v3, v227
	ds_store_2addr_b64 v6, v[0:1], v[2:3] offset0:48 offset1:49
	v_dual_mov_b32 v0, v228 :: v_dual_mov_b32 v1, v229
	v_dual_mov_b32 v2, v230 :: v_dual_mov_b32 v3, v231
	;; [unrolled: 3-line block ×7, first 2 shown]
	ds_store_2addr_b64 v6, v[0:1], v[2:3] offset0:60 offset1:61
	ds_store_b64 v6, v[252:253] offset:496
	ds_load_b64 v[90:91], v255
	s_wait_dscnt 0x0
	v_cmp_neq_f32_e32 vcc_lo, 0, v90
	v_cmp_neq_f32_e64 s1, 0, v91
	s_or_b32 s1, vcc_lo, s1
	s_delay_alu instid0(SALU_CYCLE_1)
	s_and_b32 exec_lo, exec_lo, s1
	s_cbranch_execz .LBB125_413
; %bb.408:
	v_cmp_ngt_f32_e64 s1, |v90|, |v91|
                                        ; implicit-def: $vgpr92_vgpr93
	s_and_saveexec_b32 s4, s1
	s_delay_alu instid0(SALU_CYCLE_1)
	s_xor_b32 s1, exec_lo, s4
	s_cbranch_execz .LBB125_410
; %bb.409:
	v_div_scale_f32 v0, null, v91, v91, v90
	v_div_scale_f32 v3, vcc_lo, v90, v91, v90
	s_delay_alu instid0(VALU_DEP_2) | instskip(SKIP_1) | instid1(TRANS32_DEP_1)
	v_rcp_f32_e32 v1, v0
	v_nop
	v_fma_f32 v2, -v0, v1, 1.0
	s_delay_alu instid0(VALU_DEP_1) | instskip(NEXT) | instid1(VALU_DEP_1)
	v_fmac_f32_e32 v1, v2, v1
	v_mul_f32_e32 v2, v3, v1
	s_delay_alu instid0(VALU_DEP_1) | instskip(NEXT) | instid1(VALU_DEP_1)
	v_fma_f32 v4, -v0, v2, v3
	v_fmac_f32_e32 v2, v4, v1
	s_delay_alu instid0(VALU_DEP_1) | instskip(NEXT) | instid1(VALU_DEP_1)
	v_fma_f32 v0, -v0, v2, v3
	v_div_fmas_f32 v0, v0, v1, v2
	s_delay_alu instid0(VALU_DEP_1) | instskip(NEXT) | instid1(VALU_DEP_1)
	v_div_fixup_f32 v0, v0, v91, v90
	v_fmac_f32_e32 v91, v90, v0
	s_delay_alu instid0(VALU_DEP_1) | instskip(SKIP_1) | instid1(VALU_DEP_2)
	v_div_scale_f32 v1, null, v91, v91, 1.0
	v_div_scale_f32 v4, vcc_lo, 1.0, v91, 1.0
	v_rcp_f32_e32 v2, v1
	v_nop
	s_delay_alu instid0(TRANS32_DEP_1) | instskip(NEXT) | instid1(VALU_DEP_1)
	v_fma_f32 v3, -v1, v2, 1.0
	v_fmac_f32_e32 v2, v3, v2
	s_delay_alu instid0(VALU_DEP_1) | instskip(NEXT) | instid1(VALU_DEP_1)
	v_mul_f32_e32 v3, v4, v2
	v_fma_f32 v5, -v1, v3, v4
	s_delay_alu instid0(VALU_DEP_1) | instskip(NEXT) | instid1(VALU_DEP_1)
	v_fmac_f32_e32 v3, v5, v2
	v_fma_f32 v1, -v1, v3, v4
	s_delay_alu instid0(VALU_DEP_1) | instskip(NEXT) | instid1(VALU_DEP_1)
	v_div_fmas_f32 v1, v1, v2, v3
	v_div_fixup_f32 v1, v1, v91, 1.0
                                        ; implicit-def: $vgpr90_vgpr91
	s_delay_alu instid0(VALU_DEP_1)
	v_mul_f32_e32 v92, v0, v1
	v_xor_b32_e32 v93, 0x80000000, v1
.LBB125_410:
	s_and_not1_saveexec_b32 s1, s1
	s_cbranch_execz .LBB125_412
; %bb.411:
	v_div_scale_f32 v0, null, v90, v90, v91
	v_div_scale_f32 v3, vcc_lo, v91, v90, v91
	s_delay_alu instid0(VALU_DEP_2) | instskip(SKIP_1) | instid1(TRANS32_DEP_1)
	v_rcp_f32_e32 v1, v0
	v_nop
	v_fma_f32 v2, -v0, v1, 1.0
	s_delay_alu instid0(VALU_DEP_1) | instskip(NEXT) | instid1(VALU_DEP_1)
	v_fmac_f32_e32 v1, v2, v1
	v_mul_f32_e32 v2, v3, v1
	s_delay_alu instid0(VALU_DEP_1) | instskip(NEXT) | instid1(VALU_DEP_1)
	v_fma_f32 v4, -v0, v2, v3
	v_fmac_f32_e32 v2, v4, v1
	s_delay_alu instid0(VALU_DEP_1) | instskip(NEXT) | instid1(VALU_DEP_1)
	v_fma_f32 v0, -v0, v2, v3
	v_div_fmas_f32 v0, v0, v1, v2
	s_delay_alu instid0(VALU_DEP_1) | instskip(NEXT) | instid1(VALU_DEP_1)
	v_div_fixup_f32 v0, v0, v90, v91
	v_fmac_f32_e32 v90, v91, v0
	s_delay_alu instid0(VALU_DEP_1) | instskip(NEXT) | instid1(VALU_DEP_1)
	v_div_scale_f32 v1, null, v90, v90, 1.0
	v_rcp_f32_e32 v2, v1
	v_nop
	s_delay_alu instid0(TRANS32_DEP_1) | instskip(NEXT) | instid1(VALU_DEP_1)
	v_fma_f32 v3, -v1, v2, 1.0
	v_fmac_f32_e32 v2, v3, v2
	v_div_scale_f32 v3, vcc_lo, 1.0, v90, 1.0
	s_delay_alu instid0(VALU_DEP_1) | instskip(NEXT) | instid1(VALU_DEP_1)
	v_mul_f32_e32 v4, v3, v2
	v_fma_f32 v5, -v1, v4, v3
	s_delay_alu instid0(VALU_DEP_1) | instskip(NEXT) | instid1(VALU_DEP_1)
	v_fmac_f32_e32 v4, v5, v2
	v_fma_f32 v1, -v1, v4, v3
	s_delay_alu instid0(VALU_DEP_1) | instskip(NEXT) | instid1(VALU_DEP_1)
	v_div_fmas_f32 v1, v1, v2, v4
	v_div_fixup_f32 v92, v1, v90, 1.0
	s_delay_alu instid0(VALU_DEP_1)
	v_mul_f32_e64 v93, v0, -v92
.LBB125_412:
	s_or_b32 exec_lo, exec_lo, s1
	ds_store_b64 v255, v[92:93]
.LBB125_413:
	s_or_b32 exec_lo, exec_lo, s2
	s_wait_dscnt 0x0
	s_barrier_signal -1
	s_barrier_wait -1
	ds_load_b64 v[90:91], v255
	s_mov_b32 s1, exec_lo
	v_cmpx_lt_u32_e32 45, v254
	s_cbranch_execz .LBB125_415
; %bb.414:
	ds_load_2addr_b64 v[96:99], v6 offset0:46 offset1:47
	s_wait_dscnt 0x1
	v_pk_mul_f32 v[0:1], v[90:91], v[218:219] op_sel:[1,1] op_sel_hi:[0,1]
	s_delay_alu instid0(VALU_DEP_1) | instskip(SKIP_1) | instid1(VALU_DEP_1)
	v_pk_fma_f32 v[94:95], v[90:91], v[218:219], v[0:1] op_sel_hi:[1,0,1]
	v_pk_fma_f32 v[92:93], v[90:91], v[218:219], v[0:1] op_sel_hi:[1,0,1] neg_lo:[0,0,1] neg_hi:[0,0,1]
	v_dual_mov_b32 v219, v95 :: v_dual_mov_b32 v218, v92
	s_wait_dscnt 0x0
	s_delay_alu instid0(VALU_DEP_3) | instskip(NEXT) | instid1(VALU_DEP_1)
	v_pk_mul_f32 v[0:1], v[96:97], v[94:95] op_sel:[0,1]
	v_pk_fma_f32 v[2:3], v[96:97], v[92:93], v[0:1] op_sel:[0,0,1] op_sel_hi:[1,1,0] neg_lo:[0,0,1] neg_hi:[0,0,1]
	v_pk_fma_f32 v[0:1], v[96:97], v[92:93], v[0:1] op_sel:[0,0,1] op_sel_hi:[1,0,0]
	s_delay_alu instid0(VALU_DEP_1) | instskip(SKIP_1) | instid1(VALU_DEP_2)
	v_mov_b32_e32 v3, v1
	v_pk_mul_f32 v[0:1], v[98:99], v[94:95] op_sel:[0,1]
	v_pk_add_f32 v[220:221], v[220:221], v[2:3] neg_lo:[0,1] neg_hi:[0,1]
	s_delay_alu instid0(VALU_DEP_2) | instskip(SKIP_3) | instid1(VALU_DEP_1)
	v_pk_fma_f32 v[2:3], v[98:99], v[92:93], v[0:1] op_sel:[0,0,1] op_sel_hi:[1,1,0] neg_lo:[0,0,1] neg_hi:[0,0,1]
	v_pk_fma_f32 v[0:1], v[98:99], v[92:93], v[0:1] op_sel:[0,0,1] op_sel_hi:[1,0,0]
	ds_load_2addr_b64 v[96:99], v6 offset0:48 offset1:49
	v_mov_b32_e32 v3, v1
	v_pk_add_f32 v[222:223], v[222:223], v[2:3] neg_lo:[0,1] neg_hi:[0,1]
	s_wait_dscnt 0x0
	v_pk_mul_f32 v[0:1], v[96:97], v[94:95] op_sel:[0,1]
	s_delay_alu instid0(VALU_DEP_1) | instskip(SKIP_2) | instid1(VALU_DEP_2)
	v_pk_fma_f32 v[2:3], v[96:97], v[92:93], v[0:1] op_sel:[0,0,1] op_sel_hi:[1,1,0] neg_lo:[0,0,1] neg_hi:[0,0,1]
	v_pk_fma_f32 v[0:1], v[96:97], v[92:93], v[0:1] op_sel:[0,0,1] op_sel_hi:[1,0,0]
	v_dual_mov_b32 v0, v99 :: v_dual_mul_f32 v96, v99, v92
	v_dual_mov_b32 v3, v1 :: v_dual_mov_b32 v1, v98
	s_delay_alu instid0(VALU_DEP_1) | instskip(SKIP_1) | instid1(VALU_DEP_3)
	v_pk_add_f32 v[224:225], v[224:225], v[2:3] neg_lo:[0,1] neg_hi:[0,1]
	v_mul_f32_e32 v2, v99, v95
	v_pk_fma_f32 v[0:1], v[0:1], v[218:219], v[96:97] op_sel_hi:[1,1,0]
	s_delay_alu instid0(VALU_DEP_2) | instskip(SKIP_2) | instid1(VALU_DEP_1)
	v_pk_fma_f32 v[2:3], v[98:99], v[218:219], v[2:3] op_sel_hi:[1,1,0] neg_lo:[0,0,1] neg_hi:[0,0,1]
	ds_load_2addr_b64 v[96:99], v6 offset0:50 offset1:51
	v_mov_b32_e32 v3, v1
	v_pk_add_f32 v[226:227], v[226:227], v[2:3] neg_lo:[0,1] neg_hi:[0,1]
	s_wait_dscnt 0x0
	v_pk_mul_f32 v[0:1], v[96:97], v[94:95] op_sel:[0,1]
	s_delay_alu instid0(VALU_DEP_1) | instskip(SKIP_1) | instid1(VALU_DEP_1)
	v_pk_fma_f32 v[2:3], v[96:97], v[92:93], v[0:1] op_sel:[0,0,1] op_sel_hi:[1,1,0] neg_lo:[0,0,1] neg_hi:[0,0,1]
	v_pk_fma_f32 v[0:1], v[96:97], v[92:93], v[0:1] op_sel:[0,0,1] op_sel_hi:[1,0,0]
	v_mov_b32_e32 v3, v1
	v_pk_mul_f32 v[0:1], v[98:99], v[94:95] op_sel:[0,1]
	s_delay_alu instid0(VALU_DEP_2) | instskip(NEXT) | instid1(VALU_DEP_2)
	v_pk_add_f32 v[228:229], v[228:229], v[2:3] neg_lo:[0,1] neg_hi:[0,1]
	v_pk_fma_f32 v[2:3], v[98:99], v[92:93], v[0:1] op_sel:[0,0,1] op_sel_hi:[1,1,0] neg_lo:[0,0,1] neg_hi:[0,0,1]
	v_pk_fma_f32 v[0:1], v[98:99], v[92:93], v[0:1] op_sel:[0,0,1] op_sel_hi:[1,0,0]
	ds_load_2addr_b64 v[96:99], v6 offset0:52 offset1:53
	v_mov_b32_e32 v3, v1
	s_delay_alu instid0(VALU_DEP_1) | instskip(SKIP_2) | instid1(VALU_DEP_1)
	v_pk_add_f32 v[230:231], v[230:231], v[2:3] neg_lo:[0,1] neg_hi:[0,1]
	s_wait_dscnt 0x0
	v_pk_mul_f32 v[0:1], v[96:97], v[94:95] op_sel:[0,1]
	v_pk_fma_f32 v[2:3], v[96:97], v[92:93], v[0:1] op_sel:[0,0,1] op_sel_hi:[1,1,0] neg_lo:[0,0,1] neg_hi:[0,0,1]
	v_pk_fma_f32 v[0:1], v[96:97], v[92:93], v[0:1] op_sel:[0,0,1] op_sel_hi:[1,0,0]
	s_delay_alu instid0(VALU_DEP_1) | instskip(SKIP_1) | instid1(VALU_DEP_2)
	v_mov_b32_e32 v3, v1
	v_pk_mul_f32 v[0:1], v[98:99], v[94:95] op_sel:[0,1]
	v_pk_add_f32 v[232:233], v[232:233], v[2:3] neg_lo:[0,1] neg_hi:[0,1]
	s_delay_alu instid0(VALU_DEP_2) | instskip(SKIP_3) | instid1(VALU_DEP_1)
	v_pk_fma_f32 v[2:3], v[98:99], v[92:93], v[0:1] op_sel:[0,0,1] op_sel_hi:[1,1,0] neg_lo:[0,0,1] neg_hi:[0,0,1]
	v_pk_fma_f32 v[0:1], v[98:99], v[92:93], v[0:1] op_sel:[0,0,1] op_sel_hi:[1,0,0]
	ds_load_2addr_b64 v[96:99], v6 offset0:54 offset1:55
	v_mov_b32_e32 v3, v1
	v_pk_add_f32 v[234:235], v[234:235], v[2:3] neg_lo:[0,1] neg_hi:[0,1]
	s_wait_dscnt 0x0
	v_dual_mul_f32 v0, v97, v95 :: v_dual_mul_f32 v2, v97, v92
	s_delay_alu instid0(VALU_DEP_1) | instskip(NEXT) | instid1(VALU_DEP_2)
	v_pk_fma_f32 v[0:1], v[96:97], v[218:219], v[0:1] op_sel_hi:[1,1,0] neg_lo:[0,0,1] neg_hi:[0,0,1]
	v_pk_fma_f32 v[2:3], v[96:97], v[218:219], v[2:3] op_sel:[1,0,0] op_sel_hi:[0,1,0]
	s_delay_alu instid0(VALU_DEP_1) | instskip(NEXT) | instid1(VALU_DEP_1)
	v_mov_b32_e32 v1, v3
	v_pk_add_f32 v[236:237], v[236:237], v[0:1] neg_lo:[0,1] neg_hi:[0,1]
	v_pk_mul_f32 v[0:1], v[98:99], v[94:95] op_sel:[0,1]
	s_delay_alu instid0(VALU_DEP_1) | instskip(SKIP_3) | instid1(VALU_DEP_1)
	v_pk_fma_f32 v[2:3], v[98:99], v[92:93], v[0:1] op_sel:[0,0,1] op_sel_hi:[1,1,0] neg_lo:[0,0,1] neg_hi:[0,0,1]
	v_pk_fma_f32 v[0:1], v[98:99], v[92:93], v[0:1] op_sel:[0,0,1] op_sel_hi:[1,0,0]
	ds_load_2addr_b64 v[96:99], v6 offset0:56 offset1:57
	v_mov_b32_e32 v3, v1
	v_pk_add_f32 v[238:239], v[238:239], v[2:3] neg_lo:[0,1] neg_hi:[0,1]
	s_wait_dscnt 0x0
	v_pk_mul_f32 v[0:1], v[96:97], v[94:95] op_sel:[0,1]
	s_delay_alu instid0(VALU_DEP_1) | instskip(SKIP_1) | instid1(VALU_DEP_1)
	v_pk_fma_f32 v[2:3], v[96:97], v[92:93], v[0:1] op_sel:[0,0,1] op_sel_hi:[1,1,0] neg_lo:[0,0,1] neg_hi:[0,0,1]
	v_pk_fma_f32 v[0:1], v[96:97], v[92:93], v[0:1] op_sel:[0,0,1] op_sel_hi:[1,0,0]
	v_mov_b32_e32 v3, v1
	v_pk_mul_f32 v[0:1], v[98:99], v[94:95] op_sel:[0,1]
	s_delay_alu instid0(VALU_DEP_2) | instskip(NEXT) | instid1(VALU_DEP_2)
	v_pk_add_f32 v[248:249], v[248:249], v[2:3] neg_lo:[0,1] neg_hi:[0,1]
	v_pk_fma_f32 v[2:3], v[98:99], v[92:93], v[0:1] op_sel:[0,0,1] op_sel_hi:[1,1,0] neg_lo:[0,0,1] neg_hi:[0,0,1]
	v_pk_fma_f32 v[0:1], v[98:99], v[92:93], v[0:1] op_sel:[0,0,1] op_sel_hi:[1,0,0]
	ds_load_2addr_b64 v[96:99], v6 offset0:58 offset1:59
	v_mov_b32_e32 v3, v1
	s_delay_alu instid0(VALU_DEP_1) | instskip(SKIP_2) | instid1(VALU_DEP_1)
	v_pk_add_f32 v[242:243], v[242:243], v[2:3] neg_lo:[0,1] neg_hi:[0,1]
	s_wait_dscnt 0x0
	v_pk_mul_f32 v[0:1], v[96:97], v[94:95] op_sel:[0,1]
	v_pk_fma_f32 v[2:3], v[96:97], v[92:93], v[0:1] op_sel:[0,0,1] op_sel_hi:[1,1,0] neg_lo:[0,0,1] neg_hi:[0,0,1]
	v_pk_fma_f32 v[0:1], v[96:97], v[92:93], v[0:1] op_sel:[0,0,1] op_sel_hi:[1,0,0]
	v_dual_mov_b32 v0, v99 :: v_dual_mul_f32 v96, v99, v92
	s_delay_alu instid0(VALU_DEP_2) | instskip(NEXT) | instid1(VALU_DEP_1)
	v_dual_mov_b32 v3, v1 :: v_dual_mov_b32 v1, v98
	v_pk_add_f32 v[246:247], v[246:247], v[2:3] neg_lo:[0,1] neg_hi:[0,1]
	v_mul_f32_e32 v2, v99, v95
	s_delay_alu instid0(VALU_DEP_3) | instskip(NEXT) | instid1(VALU_DEP_2)
	v_pk_fma_f32 v[0:1], v[0:1], v[218:219], v[96:97] op_sel_hi:[1,1,0]
	v_pk_fma_f32 v[2:3], v[98:99], v[218:219], v[2:3] op_sel_hi:[1,1,0] neg_lo:[0,0,1] neg_hi:[0,0,1]
	ds_load_2addr_b64 v[96:99], v6 offset0:60 offset1:61
	v_mov_b32_e32 v3, v1
	s_delay_alu instid0(VALU_DEP_1) | instskip(SKIP_2) | instid1(VALU_DEP_1)
	v_pk_add_f32 v[240:241], v[240:241], v[2:3] neg_lo:[0,1] neg_hi:[0,1]
	s_wait_dscnt 0x0
	v_pk_mul_f32 v[0:1], v[96:97], v[94:95] op_sel:[0,1]
	v_pk_fma_f32 v[2:3], v[96:97], v[92:93], v[0:1] op_sel:[0,0,1] op_sel_hi:[1,1,0] neg_lo:[0,0,1] neg_hi:[0,0,1]
	v_pk_fma_f32 v[0:1], v[96:97], v[92:93], v[0:1] op_sel:[0,0,1] op_sel_hi:[1,0,0]
	s_delay_alu instid0(VALU_DEP_1) | instskip(SKIP_1) | instid1(VALU_DEP_2)
	v_mov_b32_e32 v3, v1
	v_pk_mul_f32 v[0:1], v[98:99], v[94:95] op_sel:[0,1]
	v_pk_add_f32 v[244:245], v[244:245], v[2:3] neg_lo:[0,1] neg_hi:[0,1]
	s_delay_alu instid0(VALU_DEP_2) | instskip(SKIP_1) | instid1(VALU_DEP_1)
	v_pk_fma_f32 v[2:3], v[98:99], v[92:93], v[0:1] op_sel:[0,0,1] op_sel_hi:[1,1,0] neg_lo:[0,0,1] neg_hi:[0,0,1]
	v_pk_fma_f32 v[0:1], v[98:99], v[92:93], v[0:1] op_sel:[0,0,1] op_sel_hi:[1,0,0]
	v_mov_b32_e32 v3, v1
	ds_load_b64 v[0:1], v6 offset:496
	v_pk_add_f32 v[250:251], v[250:251], v[2:3] neg_lo:[0,1] neg_hi:[0,1]
	s_wait_dscnt 0x0
	v_pk_mul_f32 v[2:3], v[0:1], v[94:95] op_sel:[0,1]
	s_delay_alu instid0(VALU_DEP_1) | instskip(SKIP_1) | instid1(VALU_DEP_1)
	v_pk_fma_f32 v[94:95], v[0:1], v[92:93], v[2:3] op_sel:[0,0,1] op_sel_hi:[1,1,0] neg_lo:[0,0,1] neg_hi:[0,0,1]
	v_pk_fma_f32 v[0:1], v[0:1], v[92:93], v[2:3] op_sel:[0,0,1] op_sel_hi:[1,0,0]
	v_mov_b32_e32 v95, v1
	s_delay_alu instid0(VALU_DEP_1)
	v_pk_add_f32 v[252:253], v[252:253], v[94:95] neg_lo:[0,1] neg_hi:[0,1]
.LBB125_415:
	s_or_b32 exec_lo, exec_lo, s1
	s_delay_alu instid0(SALU_CYCLE_1)
	s_mov_b32 s2, exec_lo
	s_wait_dscnt 0x0
	s_barrier_signal -1
	s_barrier_wait -1
	v_cmpx_eq_u32_e32 46, v254
	s_cbranch_execz .LBB125_422
; %bb.416:
	ds_store_b64 v255, v[220:221]
	ds_store_2addr_b64 v6, v[222:223], v[224:225] offset0:47 offset1:48
	ds_store_2addr_b64 v6, v[226:227], v[228:229] offset0:49 offset1:50
	;; [unrolled: 1-line block ×8, first 2 shown]
	ds_load_b64 v[92:93], v255
	s_wait_dscnt 0x0
	v_cmp_neq_f32_e32 vcc_lo, 0, v92
	v_cmp_neq_f32_e64 s1, 0, v93
	s_or_b32 s1, vcc_lo, s1
	s_delay_alu instid0(SALU_CYCLE_1)
	s_and_b32 exec_lo, exec_lo, s1
	s_cbranch_execz .LBB125_422
; %bb.417:
	v_cmp_ngt_f32_e64 s1, |v92|, |v93|
                                        ; implicit-def: $vgpr94_vgpr95
	s_and_saveexec_b32 s4, s1
	s_delay_alu instid0(SALU_CYCLE_1)
	s_xor_b32 s1, exec_lo, s4
	s_cbranch_execz .LBB125_419
; %bb.418:
	v_div_scale_f32 v0, null, v93, v93, v92
	v_div_scale_f32 v3, vcc_lo, v92, v93, v92
	s_delay_alu instid0(VALU_DEP_2) | instskip(SKIP_1) | instid1(TRANS32_DEP_1)
	v_rcp_f32_e32 v1, v0
	v_nop
	v_fma_f32 v2, -v0, v1, 1.0
	s_delay_alu instid0(VALU_DEP_1) | instskip(NEXT) | instid1(VALU_DEP_1)
	v_fmac_f32_e32 v1, v2, v1
	v_mul_f32_e32 v2, v3, v1
	s_delay_alu instid0(VALU_DEP_1) | instskip(NEXT) | instid1(VALU_DEP_1)
	v_fma_f32 v4, -v0, v2, v3
	v_fmac_f32_e32 v2, v4, v1
	s_delay_alu instid0(VALU_DEP_1) | instskip(NEXT) | instid1(VALU_DEP_1)
	v_fma_f32 v0, -v0, v2, v3
	v_div_fmas_f32 v0, v0, v1, v2
	s_delay_alu instid0(VALU_DEP_1) | instskip(NEXT) | instid1(VALU_DEP_1)
	v_div_fixup_f32 v0, v0, v93, v92
	v_fmac_f32_e32 v93, v92, v0
	s_delay_alu instid0(VALU_DEP_1) | instskip(SKIP_1) | instid1(VALU_DEP_2)
	v_div_scale_f32 v1, null, v93, v93, 1.0
	v_div_scale_f32 v4, vcc_lo, 1.0, v93, 1.0
	v_rcp_f32_e32 v2, v1
	v_nop
	s_delay_alu instid0(TRANS32_DEP_1) | instskip(NEXT) | instid1(VALU_DEP_1)
	v_fma_f32 v3, -v1, v2, 1.0
	v_fmac_f32_e32 v2, v3, v2
	s_delay_alu instid0(VALU_DEP_1) | instskip(NEXT) | instid1(VALU_DEP_1)
	v_mul_f32_e32 v3, v4, v2
	v_fma_f32 v5, -v1, v3, v4
	s_delay_alu instid0(VALU_DEP_1) | instskip(NEXT) | instid1(VALU_DEP_1)
	v_fmac_f32_e32 v3, v5, v2
	v_fma_f32 v1, -v1, v3, v4
	s_delay_alu instid0(VALU_DEP_1) | instskip(NEXT) | instid1(VALU_DEP_1)
	v_div_fmas_f32 v1, v1, v2, v3
	v_div_fixup_f32 v1, v1, v93, 1.0
                                        ; implicit-def: $vgpr92_vgpr93
	s_delay_alu instid0(VALU_DEP_1)
	v_mul_f32_e32 v94, v0, v1
	v_xor_b32_e32 v95, 0x80000000, v1
.LBB125_419:
	s_and_not1_saveexec_b32 s1, s1
	s_cbranch_execz .LBB125_421
; %bb.420:
	v_div_scale_f32 v0, null, v92, v92, v93
	v_div_scale_f32 v3, vcc_lo, v93, v92, v93
	s_delay_alu instid0(VALU_DEP_2) | instskip(SKIP_1) | instid1(TRANS32_DEP_1)
	v_rcp_f32_e32 v1, v0
	v_nop
	v_fma_f32 v2, -v0, v1, 1.0
	s_delay_alu instid0(VALU_DEP_1) | instskip(NEXT) | instid1(VALU_DEP_1)
	v_fmac_f32_e32 v1, v2, v1
	v_mul_f32_e32 v2, v3, v1
	s_delay_alu instid0(VALU_DEP_1) | instskip(NEXT) | instid1(VALU_DEP_1)
	v_fma_f32 v4, -v0, v2, v3
	v_fmac_f32_e32 v2, v4, v1
	s_delay_alu instid0(VALU_DEP_1) | instskip(NEXT) | instid1(VALU_DEP_1)
	v_fma_f32 v0, -v0, v2, v3
	v_div_fmas_f32 v0, v0, v1, v2
	s_delay_alu instid0(VALU_DEP_1) | instskip(NEXT) | instid1(VALU_DEP_1)
	v_div_fixup_f32 v0, v0, v92, v93
	v_fmac_f32_e32 v92, v93, v0
	s_delay_alu instid0(VALU_DEP_1) | instskip(NEXT) | instid1(VALU_DEP_1)
	v_div_scale_f32 v1, null, v92, v92, 1.0
	v_rcp_f32_e32 v2, v1
	v_nop
	s_delay_alu instid0(TRANS32_DEP_1) | instskip(NEXT) | instid1(VALU_DEP_1)
	v_fma_f32 v3, -v1, v2, 1.0
	v_fmac_f32_e32 v2, v3, v2
	v_div_scale_f32 v3, vcc_lo, 1.0, v92, 1.0
	s_delay_alu instid0(VALU_DEP_1) | instskip(NEXT) | instid1(VALU_DEP_1)
	v_mul_f32_e32 v4, v3, v2
	v_fma_f32 v5, -v1, v4, v3
	s_delay_alu instid0(VALU_DEP_1) | instskip(NEXT) | instid1(VALU_DEP_1)
	v_fmac_f32_e32 v4, v5, v2
	v_fma_f32 v1, -v1, v4, v3
	s_delay_alu instid0(VALU_DEP_1) | instskip(NEXT) | instid1(VALU_DEP_1)
	v_div_fmas_f32 v1, v1, v2, v4
	v_div_fixup_f32 v94, v1, v92, 1.0
	s_delay_alu instid0(VALU_DEP_1)
	v_mul_f32_e64 v95, v0, -v94
.LBB125_421:
	s_or_b32 exec_lo, exec_lo, s1
	ds_store_b64 v255, v[94:95]
.LBB125_422:
	s_or_b32 exec_lo, exec_lo, s2
	s_wait_dscnt 0x0
	s_barrier_signal -1
	s_barrier_wait -1
	ds_load_b64 v[92:93], v255
	s_mov_b32 s1, exec_lo
	v_cmpx_lt_u32_e32 46, v254
	s_cbranch_execz .LBB125_424
; %bb.423:
	ds_load_2addr_b64 v[98:101], v6 offset0:47 offset1:48
	s_wait_dscnt 0x1
	v_pk_mul_f32 v[0:1], v[92:93], v[220:221] op_sel:[1,1] op_sel_hi:[0,1]
	s_delay_alu instid0(VALU_DEP_1) | instskip(SKIP_1) | instid1(VALU_DEP_1)
	v_pk_fma_f32 v[96:97], v[92:93], v[220:221], v[0:1] op_sel_hi:[1,0,1]
	v_pk_fma_f32 v[94:95], v[92:93], v[220:221], v[0:1] op_sel_hi:[1,0,1] neg_lo:[0,0,1] neg_hi:[0,0,1]
	v_dual_mov_b32 v221, v97 :: v_dual_mov_b32 v220, v94
	s_wait_dscnt 0x0
	s_delay_alu instid0(VALU_DEP_3) | instskip(NEXT) | instid1(VALU_DEP_1)
	v_pk_mul_f32 v[0:1], v[98:99], v[96:97] op_sel:[0,1]
	v_pk_fma_f32 v[2:3], v[98:99], v[94:95], v[0:1] op_sel:[0,0,1] op_sel_hi:[1,1,0] neg_lo:[0,0,1] neg_hi:[0,0,1]
	v_pk_fma_f32 v[0:1], v[98:99], v[94:95], v[0:1] op_sel:[0,0,1] op_sel_hi:[1,0,0]
	s_delay_alu instid0(VALU_DEP_1) | instskip(SKIP_1) | instid1(VALU_DEP_2)
	v_mov_b32_e32 v3, v1
	v_pk_mul_f32 v[0:1], v[100:101], v[96:97] op_sel:[0,1]
	v_pk_add_f32 v[222:223], v[222:223], v[2:3] neg_lo:[0,1] neg_hi:[0,1]
	s_delay_alu instid0(VALU_DEP_2) | instskip(SKIP_3) | instid1(VALU_DEP_1)
	v_pk_fma_f32 v[2:3], v[100:101], v[94:95], v[0:1] op_sel:[0,0,1] op_sel_hi:[1,1,0] neg_lo:[0,0,1] neg_hi:[0,0,1]
	v_pk_fma_f32 v[0:1], v[100:101], v[94:95], v[0:1] op_sel:[0,0,1] op_sel_hi:[1,0,0]
	ds_load_2addr_b64 v[98:101], v6 offset0:49 offset1:50
	v_mov_b32_e32 v3, v1
	v_pk_add_f32 v[224:225], v[224:225], v[2:3] neg_lo:[0,1] neg_hi:[0,1]
	s_wait_dscnt 0x0
	v_pk_mul_f32 v[0:1], v[98:99], v[96:97] op_sel:[0,1]
	s_delay_alu instid0(VALU_DEP_1) | instskip(SKIP_2) | instid1(VALU_DEP_2)
	v_pk_fma_f32 v[2:3], v[98:99], v[94:95], v[0:1] op_sel:[0,0,1] op_sel_hi:[1,1,0] neg_lo:[0,0,1] neg_hi:[0,0,1]
	v_pk_fma_f32 v[0:1], v[98:99], v[94:95], v[0:1] op_sel:[0,0,1] op_sel_hi:[1,0,0]
	v_dual_mov_b32 v0, v101 :: v_dual_mul_f32 v98, v101, v94
	v_dual_mov_b32 v3, v1 :: v_dual_mov_b32 v1, v100
	s_delay_alu instid0(VALU_DEP_1) | instskip(SKIP_1) | instid1(VALU_DEP_3)
	v_pk_add_f32 v[226:227], v[226:227], v[2:3] neg_lo:[0,1] neg_hi:[0,1]
	v_mul_f32_e32 v2, v101, v97
	v_pk_fma_f32 v[0:1], v[0:1], v[220:221], v[98:99] op_sel_hi:[1,1,0]
	s_delay_alu instid0(VALU_DEP_2) | instskip(SKIP_2) | instid1(VALU_DEP_1)
	v_pk_fma_f32 v[2:3], v[100:101], v[220:221], v[2:3] op_sel_hi:[1,1,0] neg_lo:[0,0,1] neg_hi:[0,0,1]
	ds_load_2addr_b64 v[98:101], v6 offset0:51 offset1:52
	v_mov_b32_e32 v3, v1
	v_pk_add_f32 v[228:229], v[228:229], v[2:3] neg_lo:[0,1] neg_hi:[0,1]
	s_wait_dscnt 0x0
	v_pk_mul_f32 v[0:1], v[98:99], v[96:97] op_sel:[0,1]
	s_delay_alu instid0(VALU_DEP_1) | instskip(SKIP_1) | instid1(VALU_DEP_1)
	v_pk_fma_f32 v[2:3], v[98:99], v[94:95], v[0:1] op_sel:[0,0,1] op_sel_hi:[1,1,0] neg_lo:[0,0,1] neg_hi:[0,0,1]
	v_pk_fma_f32 v[0:1], v[98:99], v[94:95], v[0:1] op_sel:[0,0,1] op_sel_hi:[1,0,0]
	v_mov_b32_e32 v3, v1
	v_pk_mul_f32 v[0:1], v[100:101], v[96:97] op_sel:[0,1]
	s_delay_alu instid0(VALU_DEP_2) | instskip(NEXT) | instid1(VALU_DEP_2)
	v_pk_add_f32 v[230:231], v[230:231], v[2:3] neg_lo:[0,1] neg_hi:[0,1]
	v_pk_fma_f32 v[2:3], v[100:101], v[94:95], v[0:1] op_sel:[0,0,1] op_sel_hi:[1,1,0] neg_lo:[0,0,1] neg_hi:[0,0,1]
	v_pk_fma_f32 v[0:1], v[100:101], v[94:95], v[0:1] op_sel:[0,0,1] op_sel_hi:[1,0,0]
	ds_load_2addr_b64 v[98:101], v6 offset0:53 offset1:54
	v_mov_b32_e32 v3, v1
	s_delay_alu instid0(VALU_DEP_1) | instskip(SKIP_2) | instid1(VALU_DEP_1)
	v_pk_add_f32 v[232:233], v[232:233], v[2:3] neg_lo:[0,1] neg_hi:[0,1]
	s_wait_dscnt 0x0
	v_pk_mul_f32 v[0:1], v[98:99], v[96:97] op_sel:[0,1]
	v_pk_fma_f32 v[2:3], v[98:99], v[94:95], v[0:1] op_sel:[0,0,1] op_sel_hi:[1,1,0] neg_lo:[0,0,1] neg_hi:[0,0,1]
	v_pk_fma_f32 v[0:1], v[98:99], v[94:95], v[0:1] op_sel:[0,0,1] op_sel_hi:[1,0,0]
	s_delay_alu instid0(VALU_DEP_1) | instskip(SKIP_1) | instid1(VALU_DEP_2)
	v_mov_b32_e32 v3, v1
	v_pk_mul_f32 v[0:1], v[100:101], v[96:97] op_sel:[0,1]
	v_pk_add_f32 v[234:235], v[234:235], v[2:3] neg_lo:[0,1] neg_hi:[0,1]
	s_delay_alu instid0(VALU_DEP_2) | instskip(SKIP_3) | instid1(VALU_DEP_1)
	v_pk_fma_f32 v[2:3], v[100:101], v[94:95], v[0:1] op_sel:[0,0,1] op_sel_hi:[1,1,0] neg_lo:[0,0,1] neg_hi:[0,0,1]
	v_pk_fma_f32 v[0:1], v[100:101], v[94:95], v[0:1] op_sel:[0,0,1] op_sel_hi:[1,0,0]
	ds_load_2addr_b64 v[98:101], v6 offset0:55 offset1:56
	v_mov_b32_e32 v3, v1
	v_pk_add_f32 v[236:237], v[236:237], v[2:3] neg_lo:[0,1] neg_hi:[0,1]
	s_wait_dscnt 0x0
	v_dual_mul_f32 v2, v99, v94 :: v_dual_mul_f32 v0, v99, v97
	s_delay_alu instid0(VALU_DEP_1) | instskip(NEXT) | instid1(VALU_DEP_2)
	v_pk_fma_f32 v[2:3], v[98:99], v[220:221], v[2:3] op_sel:[1,0,0] op_sel_hi:[0,1,0]
	v_pk_fma_f32 v[0:1], v[98:99], v[220:221], v[0:1] op_sel_hi:[1,1,0] neg_lo:[0,0,1] neg_hi:[0,0,1]
	s_delay_alu instid0(VALU_DEP_2) | instskip(NEXT) | instid1(VALU_DEP_1)
	v_mov_b32_e32 v1, v3
	v_pk_add_f32 v[238:239], v[238:239], v[0:1] neg_lo:[0,1] neg_hi:[0,1]
	v_pk_mul_f32 v[0:1], v[100:101], v[96:97] op_sel:[0,1]
	s_delay_alu instid0(VALU_DEP_1) | instskip(SKIP_3) | instid1(VALU_DEP_1)
	v_pk_fma_f32 v[2:3], v[100:101], v[94:95], v[0:1] op_sel:[0,0,1] op_sel_hi:[1,1,0] neg_lo:[0,0,1] neg_hi:[0,0,1]
	v_pk_fma_f32 v[0:1], v[100:101], v[94:95], v[0:1] op_sel:[0,0,1] op_sel_hi:[1,0,0]
	ds_load_2addr_b64 v[98:101], v6 offset0:57 offset1:58
	v_mov_b32_e32 v3, v1
	v_pk_add_f32 v[248:249], v[248:249], v[2:3] neg_lo:[0,1] neg_hi:[0,1]
	s_wait_dscnt 0x0
	v_pk_mul_f32 v[0:1], v[98:99], v[96:97] op_sel:[0,1]
	s_delay_alu instid0(VALU_DEP_1) | instskip(SKIP_1) | instid1(VALU_DEP_1)
	v_pk_fma_f32 v[2:3], v[98:99], v[94:95], v[0:1] op_sel:[0,0,1] op_sel_hi:[1,1,0] neg_lo:[0,0,1] neg_hi:[0,0,1]
	v_pk_fma_f32 v[0:1], v[98:99], v[94:95], v[0:1] op_sel:[0,0,1] op_sel_hi:[1,0,0]
	v_mov_b32_e32 v3, v1
	v_pk_mul_f32 v[0:1], v[100:101], v[96:97] op_sel:[0,1]
	s_delay_alu instid0(VALU_DEP_2) | instskip(NEXT) | instid1(VALU_DEP_2)
	v_pk_add_f32 v[242:243], v[242:243], v[2:3] neg_lo:[0,1] neg_hi:[0,1]
	v_pk_fma_f32 v[2:3], v[100:101], v[94:95], v[0:1] op_sel:[0,0,1] op_sel_hi:[1,1,0] neg_lo:[0,0,1] neg_hi:[0,0,1]
	v_pk_fma_f32 v[0:1], v[100:101], v[94:95], v[0:1] op_sel:[0,0,1] op_sel_hi:[1,0,0]
	ds_load_2addr_b64 v[98:101], v6 offset0:59 offset1:60
	v_mov_b32_e32 v3, v1
	s_delay_alu instid0(VALU_DEP_1) | instskip(SKIP_2) | instid1(VALU_DEP_1)
	v_pk_add_f32 v[246:247], v[246:247], v[2:3] neg_lo:[0,1] neg_hi:[0,1]
	s_wait_dscnt 0x0
	v_pk_mul_f32 v[0:1], v[98:99], v[96:97] op_sel:[0,1]
	v_pk_fma_f32 v[2:3], v[98:99], v[94:95], v[0:1] op_sel:[0,0,1] op_sel_hi:[1,1,0] neg_lo:[0,0,1] neg_hi:[0,0,1]
	v_pk_fma_f32 v[0:1], v[98:99], v[94:95], v[0:1] op_sel:[0,0,1] op_sel_hi:[1,0,0]
	v_dual_mov_b32 v0, v101 :: v_dual_mul_f32 v98, v101, v94
	s_delay_alu instid0(VALU_DEP_2) | instskip(NEXT) | instid1(VALU_DEP_1)
	v_dual_mov_b32 v3, v1 :: v_dual_mov_b32 v1, v100
	v_pk_add_f32 v[240:241], v[240:241], v[2:3] neg_lo:[0,1] neg_hi:[0,1]
	v_mul_f32_e32 v2, v101, v97
	s_delay_alu instid0(VALU_DEP_3) | instskip(NEXT) | instid1(VALU_DEP_2)
	v_pk_fma_f32 v[0:1], v[0:1], v[220:221], v[98:99] op_sel_hi:[1,1,0]
	v_pk_fma_f32 v[2:3], v[100:101], v[220:221], v[2:3] op_sel_hi:[1,1,0] neg_lo:[0,0,1] neg_hi:[0,0,1]
	ds_load_2addr_b64 v[98:101], v6 offset0:61 offset1:62
	v_mov_b32_e32 v3, v1
	s_delay_alu instid0(VALU_DEP_1) | instskip(SKIP_2) | instid1(VALU_DEP_1)
	v_pk_add_f32 v[244:245], v[244:245], v[2:3] neg_lo:[0,1] neg_hi:[0,1]
	s_wait_dscnt 0x0
	v_pk_mul_f32 v[0:1], v[98:99], v[96:97] op_sel:[0,1]
	v_pk_fma_f32 v[2:3], v[98:99], v[94:95], v[0:1] op_sel:[0,0,1] op_sel_hi:[1,1,0] neg_lo:[0,0,1] neg_hi:[0,0,1]
	v_pk_fma_f32 v[0:1], v[98:99], v[94:95], v[0:1] op_sel:[0,0,1] op_sel_hi:[1,0,0]
	s_delay_alu instid0(VALU_DEP_1) | instskip(SKIP_1) | instid1(VALU_DEP_2)
	v_mov_b32_e32 v3, v1
	v_pk_mul_f32 v[0:1], v[100:101], v[96:97] op_sel:[0,1]
	v_pk_add_f32 v[250:251], v[250:251], v[2:3] neg_lo:[0,1] neg_hi:[0,1]
	s_delay_alu instid0(VALU_DEP_2) | instskip(SKIP_1) | instid1(VALU_DEP_1)
	v_pk_fma_f32 v[2:3], v[100:101], v[94:95], v[0:1] op_sel:[0,0,1] op_sel_hi:[1,1,0] neg_lo:[0,0,1] neg_hi:[0,0,1]
	v_pk_fma_f32 v[0:1], v[100:101], v[94:95], v[0:1] op_sel:[0,0,1] op_sel_hi:[1,0,0]
	v_mov_b32_e32 v3, v1
	s_delay_alu instid0(VALU_DEP_1)
	v_pk_add_f32 v[252:253], v[252:253], v[2:3] neg_lo:[0,1] neg_hi:[0,1]
.LBB125_424:
	s_or_b32 exec_lo, exec_lo, s1
	s_delay_alu instid0(SALU_CYCLE_1)
	s_mov_b32 s2, exec_lo
	s_wait_dscnt 0x0
	s_barrier_signal -1
	s_barrier_wait -1
	v_cmpx_eq_u32_e32 47, v254
	s_cbranch_execz .LBB125_431
; %bb.425:
	v_dual_mov_b32 v0, v224 :: v_dual_mov_b32 v1, v225
	v_dual_mov_b32 v2, v226 :: v_dual_mov_b32 v3, v227
	ds_store_b64 v255, v[222:223]
	ds_store_2addr_b64 v6, v[0:1], v[2:3] offset0:48 offset1:49
	v_dual_mov_b32 v0, v228 :: v_dual_mov_b32 v1, v229
	v_dual_mov_b32 v2, v230 :: v_dual_mov_b32 v3, v231
	ds_store_2addr_b64 v6, v[0:1], v[2:3] offset0:50 offset1:51
	v_dual_mov_b32 v0, v232 :: v_dual_mov_b32 v1, v233
	v_dual_mov_b32 v2, v234 :: v_dual_mov_b32 v3, v235
	;; [unrolled: 3-line block ×6, first 2 shown]
	ds_store_2addr_b64 v6, v[0:1], v[2:3] offset0:60 offset1:61
	ds_store_b64 v6, v[252:253] offset:496
	ds_load_b64 v[94:95], v255
	s_wait_dscnt 0x0
	v_cmp_neq_f32_e32 vcc_lo, 0, v94
	v_cmp_neq_f32_e64 s1, 0, v95
	s_or_b32 s1, vcc_lo, s1
	s_delay_alu instid0(SALU_CYCLE_1)
	s_and_b32 exec_lo, exec_lo, s1
	s_cbranch_execz .LBB125_431
; %bb.426:
	v_cmp_ngt_f32_e64 s1, |v94|, |v95|
                                        ; implicit-def: $vgpr96_vgpr97
	s_and_saveexec_b32 s4, s1
	s_delay_alu instid0(SALU_CYCLE_1)
	s_xor_b32 s1, exec_lo, s4
	s_cbranch_execz .LBB125_428
; %bb.427:
	v_div_scale_f32 v0, null, v95, v95, v94
	v_div_scale_f32 v3, vcc_lo, v94, v95, v94
	s_delay_alu instid0(VALU_DEP_2) | instskip(SKIP_1) | instid1(TRANS32_DEP_1)
	v_rcp_f32_e32 v1, v0
	v_nop
	v_fma_f32 v2, -v0, v1, 1.0
	s_delay_alu instid0(VALU_DEP_1) | instskip(NEXT) | instid1(VALU_DEP_1)
	v_fmac_f32_e32 v1, v2, v1
	v_mul_f32_e32 v2, v3, v1
	s_delay_alu instid0(VALU_DEP_1) | instskip(NEXT) | instid1(VALU_DEP_1)
	v_fma_f32 v4, -v0, v2, v3
	v_fmac_f32_e32 v2, v4, v1
	s_delay_alu instid0(VALU_DEP_1) | instskip(NEXT) | instid1(VALU_DEP_1)
	v_fma_f32 v0, -v0, v2, v3
	v_div_fmas_f32 v0, v0, v1, v2
	s_delay_alu instid0(VALU_DEP_1) | instskip(NEXT) | instid1(VALU_DEP_1)
	v_div_fixup_f32 v0, v0, v95, v94
	v_fmac_f32_e32 v95, v94, v0
	s_delay_alu instid0(VALU_DEP_1) | instskip(SKIP_1) | instid1(VALU_DEP_2)
	v_div_scale_f32 v1, null, v95, v95, 1.0
	v_div_scale_f32 v4, vcc_lo, 1.0, v95, 1.0
	v_rcp_f32_e32 v2, v1
	v_nop
	s_delay_alu instid0(TRANS32_DEP_1) | instskip(NEXT) | instid1(VALU_DEP_1)
	v_fma_f32 v3, -v1, v2, 1.0
	v_fmac_f32_e32 v2, v3, v2
	s_delay_alu instid0(VALU_DEP_1) | instskip(NEXT) | instid1(VALU_DEP_1)
	v_mul_f32_e32 v3, v4, v2
	v_fma_f32 v5, -v1, v3, v4
	s_delay_alu instid0(VALU_DEP_1) | instskip(NEXT) | instid1(VALU_DEP_1)
	v_fmac_f32_e32 v3, v5, v2
	v_fma_f32 v1, -v1, v3, v4
	s_delay_alu instid0(VALU_DEP_1) | instskip(NEXT) | instid1(VALU_DEP_1)
	v_div_fmas_f32 v1, v1, v2, v3
	v_div_fixup_f32 v1, v1, v95, 1.0
                                        ; implicit-def: $vgpr94_vgpr95
	s_delay_alu instid0(VALU_DEP_1)
	v_mul_f32_e32 v96, v0, v1
	v_xor_b32_e32 v97, 0x80000000, v1
.LBB125_428:
	s_and_not1_saveexec_b32 s1, s1
	s_cbranch_execz .LBB125_430
; %bb.429:
	v_div_scale_f32 v0, null, v94, v94, v95
	v_div_scale_f32 v3, vcc_lo, v95, v94, v95
	s_delay_alu instid0(VALU_DEP_2) | instskip(SKIP_1) | instid1(TRANS32_DEP_1)
	v_rcp_f32_e32 v1, v0
	v_nop
	v_fma_f32 v2, -v0, v1, 1.0
	s_delay_alu instid0(VALU_DEP_1) | instskip(NEXT) | instid1(VALU_DEP_1)
	v_fmac_f32_e32 v1, v2, v1
	v_mul_f32_e32 v2, v3, v1
	s_delay_alu instid0(VALU_DEP_1) | instskip(NEXT) | instid1(VALU_DEP_1)
	v_fma_f32 v4, -v0, v2, v3
	v_fmac_f32_e32 v2, v4, v1
	s_delay_alu instid0(VALU_DEP_1) | instskip(NEXT) | instid1(VALU_DEP_1)
	v_fma_f32 v0, -v0, v2, v3
	v_div_fmas_f32 v0, v0, v1, v2
	s_delay_alu instid0(VALU_DEP_1) | instskip(NEXT) | instid1(VALU_DEP_1)
	v_div_fixup_f32 v0, v0, v94, v95
	v_fmac_f32_e32 v94, v95, v0
	s_delay_alu instid0(VALU_DEP_1) | instskip(NEXT) | instid1(VALU_DEP_1)
	v_div_scale_f32 v1, null, v94, v94, 1.0
	v_rcp_f32_e32 v2, v1
	v_nop
	s_delay_alu instid0(TRANS32_DEP_1) | instskip(NEXT) | instid1(VALU_DEP_1)
	v_fma_f32 v3, -v1, v2, 1.0
	v_fmac_f32_e32 v2, v3, v2
	v_div_scale_f32 v3, vcc_lo, 1.0, v94, 1.0
	s_delay_alu instid0(VALU_DEP_1) | instskip(NEXT) | instid1(VALU_DEP_1)
	v_mul_f32_e32 v4, v3, v2
	v_fma_f32 v5, -v1, v4, v3
	s_delay_alu instid0(VALU_DEP_1) | instskip(NEXT) | instid1(VALU_DEP_1)
	v_fmac_f32_e32 v4, v5, v2
	v_fma_f32 v1, -v1, v4, v3
	s_delay_alu instid0(VALU_DEP_1) | instskip(NEXT) | instid1(VALU_DEP_1)
	v_div_fmas_f32 v1, v1, v2, v4
	v_div_fixup_f32 v96, v1, v94, 1.0
	s_delay_alu instid0(VALU_DEP_1)
	v_mul_f32_e64 v97, v0, -v96
.LBB125_430:
	s_or_b32 exec_lo, exec_lo, s1
	ds_store_b64 v255, v[96:97]
.LBB125_431:
	s_or_b32 exec_lo, exec_lo, s2
	s_wait_dscnt 0x0
	s_barrier_signal -1
	s_barrier_wait -1
	ds_load_b64 v[94:95], v255
	s_mov_b32 s1, exec_lo
	v_cmpx_lt_u32_e32 47, v254
	s_cbranch_execz .LBB125_433
; %bb.432:
	ds_load_2addr_b64 v[100:103], v6 offset0:48 offset1:49
	s_wait_dscnt 0x1
	v_pk_mul_f32 v[0:1], v[94:95], v[222:223] op_sel:[1,1] op_sel_hi:[0,1]
	s_delay_alu instid0(VALU_DEP_1) | instskip(SKIP_1) | instid1(VALU_DEP_1)
	v_pk_fma_f32 v[98:99], v[94:95], v[222:223], v[0:1] op_sel_hi:[1,0,1]
	v_pk_fma_f32 v[96:97], v[94:95], v[222:223], v[0:1] op_sel_hi:[1,0,1] neg_lo:[0,0,1] neg_hi:[0,0,1]
	v_dual_mov_b32 v223, v99 :: v_dual_mov_b32 v222, v96
	s_wait_dscnt 0x0
	s_delay_alu instid0(VALU_DEP_3) | instskip(NEXT) | instid1(VALU_DEP_1)
	v_pk_mul_f32 v[0:1], v[100:101], v[98:99] op_sel:[0,1]
	v_pk_fma_f32 v[2:3], v[100:101], v[96:97], v[0:1] op_sel:[0,0,1] op_sel_hi:[1,1,0] neg_lo:[0,0,1] neg_hi:[0,0,1]
	v_pk_fma_f32 v[0:1], v[100:101], v[96:97], v[0:1] op_sel:[0,0,1] op_sel_hi:[1,0,0]
	s_delay_alu instid0(VALU_DEP_1) | instskip(SKIP_1) | instid1(VALU_DEP_2)
	v_mov_b32_e32 v3, v1
	v_pk_mul_f32 v[0:1], v[102:103], v[98:99] op_sel:[0,1]
	v_pk_add_f32 v[224:225], v[224:225], v[2:3] neg_lo:[0,1] neg_hi:[0,1]
	s_delay_alu instid0(VALU_DEP_2) | instskip(SKIP_3) | instid1(VALU_DEP_1)
	v_pk_fma_f32 v[2:3], v[102:103], v[96:97], v[0:1] op_sel:[0,0,1] op_sel_hi:[1,1,0] neg_lo:[0,0,1] neg_hi:[0,0,1]
	v_pk_fma_f32 v[0:1], v[102:103], v[96:97], v[0:1] op_sel:[0,0,1] op_sel_hi:[1,0,0]
	ds_load_2addr_b64 v[100:103], v6 offset0:50 offset1:51
	v_mov_b32_e32 v3, v1
	v_pk_add_f32 v[226:227], v[226:227], v[2:3] neg_lo:[0,1] neg_hi:[0,1]
	s_wait_dscnt 0x0
	v_pk_mul_f32 v[0:1], v[100:101], v[98:99] op_sel:[0,1]
	s_delay_alu instid0(VALU_DEP_1) | instskip(SKIP_2) | instid1(VALU_DEP_2)
	v_pk_fma_f32 v[2:3], v[100:101], v[96:97], v[0:1] op_sel:[0,0,1] op_sel_hi:[1,1,0] neg_lo:[0,0,1] neg_hi:[0,0,1]
	v_pk_fma_f32 v[0:1], v[100:101], v[96:97], v[0:1] op_sel:[0,0,1] op_sel_hi:[1,0,0]
	v_dual_mov_b32 v0, v103 :: v_dual_mul_f32 v100, v103, v96
	v_dual_mov_b32 v3, v1 :: v_dual_mov_b32 v1, v102
	s_delay_alu instid0(VALU_DEP_1) | instskip(SKIP_1) | instid1(VALU_DEP_3)
	v_pk_add_f32 v[228:229], v[228:229], v[2:3] neg_lo:[0,1] neg_hi:[0,1]
	v_mul_f32_e32 v2, v103, v99
	v_pk_fma_f32 v[0:1], v[0:1], v[222:223], v[100:101] op_sel_hi:[1,1,0]
	s_delay_alu instid0(VALU_DEP_2) | instskip(SKIP_2) | instid1(VALU_DEP_1)
	v_pk_fma_f32 v[2:3], v[102:103], v[222:223], v[2:3] op_sel_hi:[1,1,0] neg_lo:[0,0,1] neg_hi:[0,0,1]
	ds_load_2addr_b64 v[100:103], v6 offset0:52 offset1:53
	v_mov_b32_e32 v3, v1
	v_pk_add_f32 v[230:231], v[230:231], v[2:3] neg_lo:[0,1] neg_hi:[0,1]
	s_wait_dscnt 0x0
	v_pk_mul_f32 v[0:1], v[100:101], v[98:99] op_sel:[0,1]
	s_delay_alu instid0(VALU_DEP_1) | instskip(SKIP_1) | instid1(VALU_DEP_1)
	v_pk_fma_f32 v[2:3], v[100:101], v[96:97], v[0:1] op_sel:[0,0,1] op_sel_hi:[1,1,0] neg_lo:[0,0,1] neg_hi:[0,0,1]
	v_pk_fma_f32 v[0:1], v[100:101], v[96:97], v[0:1] op_sel:[0,0,1] op_sel_hi:[1,0,0]
	v_mov_b32_e32 v3, v1
	v_pk_mul_f32 v[0:1], v[102:103], v[98:99] op_sel:[0,1]
	s_delay_alu instid0(VALU_DEP_2) | instskip(NEXT) | instid1(VALU_DEP_2)
	v_pk_add_f32 v[232:233], v[232:233], v[2:3] neg_lo:[0,1] neg_hi:[0,1]
	v_pk_fma_f32 v[2:3], v[102:103], v[96:97], v[0:1] op_sel:[0,0,1] op_sel_hi:[1,1,0] neg_lo:[0,0,1] neg_hi:[0,0,1]
	v_pk_fma_f32 v[0:1], v[102:103], v[96:97], v[0:1] op_sel:[0,0,1] op_sel_hi:[1,0,0]
	ds_load_2addr_b64 v[100:103], v6 offset0:54 offset1:55
	v_mov_b32_e32 v3, v1
	s_delay_alu instid0(VALU_DEP_1) | instskip(SKIP_2) | instid1(VALU_DEP_1)
	v_pk_add_f32 v[234:235], v[234:235], v[2:3] neg_lo:[0,1] neg_hi:[0,1]
	s_wait_dscnt 0x0
	v_pk_mul_f32 v[0:1], v[100:101], v[98:99] op_sel:[0,1]
	v_pk_fma_f32 v[2:3], v[100:101], v[96:97], v[0:1] op_sel:[0,0,1] op_sel_hi:[1,1,0] neg_lo:[0,0,1] neg_hi:[0,0,1]
	v_pk_fma_f32 v[0:1], v[100:101], v[96:97], v[0:1] op_sel:[0,0,1] op_sel_hi:[1,0,0]
	s_delay_alu instid0(VALU_DEP_1) | instskip(SKIP_1) | instid1(VALU_DEP_2)
	v_mov_b32_e32 v3, v1
	v_pk_mul_f32 v[0:1], v[102:103], v[98:99] op_sel:[0,1]
	v_pk_add_f32 v[236:237], v[236:237], v[2:3] neg_lo:[0,1] neg_hi:[0,1]
	s_delay_alu instid0(VALU_DEP_2) | instskip(SKIP_3) | instid1(VALU_DEP_1)
	v_pk_fma_f32 v[2:3], v[102:103], v[96:97], v[0:1] op_sel:[0,0,1] op_sel_hi:[1,1,0] neg_lo:[0,0,1] neg_hi:[0,0,1]
	v_pk_fma_f32 v[0:1], v[102:103], v[96:97], v[0:1] op_sel:[0,0,1] op_sel_hi:[1,0,0]
	ds_load_2addr_b64 v[100:103], v6 offset0:56 offset1:57
	v_mov_b32_e32 v3, v1
	v_pk_add_f32 v[238:239], v[238:239], v[2:3] neg_lo:[0,1] neg_hi:[0,1]
	s_wait_dscnt 0x0
	v_dual_mul_f32 v0, v101, v99 :: v_dual_mul_f32 v2, v101, v96
	s_delay_alu instid0(VALU_DEP_1) | instskip(NEXT) | instid1(VALU_DEP_2)
	v_pk_fma_f32 v[0:1], v[100:101], v[222:223], v[0:1] op_sel_hi:[1,1,0] neg_lo:[0,0,1] neg_hi:[0,0,1]
	v_pk_fma_f32 v[2:3], v[100:101], v[222:223], v[2:3] op_sel:[1,0,0] op_sel_hi:[0,1,0]
	s_delay_alu instid0(VALU_DEP_1) | instskip(NEXT) | instid1(VALU_DEP_1)
	v_mov_b32_e32 v1, v3
	v_pk_add_f32 v[248:249], v[248:249], v[0:1] neg_lo:[0,1] neg_hi:[0,1]
	v_pk_mul_f32 v[0:1], v[102:103], v[98:99] op_sel:[0,1]
	s_delay_alu instid0(VALU_DEP_1) | instskip(SKIP_3) | instid1(VALU_DEP_1)
	v_pk_fma_f32 v[2:3], v[102:103], v[96:97], v[0:1] op_sel:[0,0,1] op_sel_hi:[1,1,0] neg_lo:[0,0,1] neg_hi:[0,0,1]
	v_pk_fma_f32 v[0:1], v[102:103], v[96:97], v[0:1] op_sel:[0,0,1] op_sel_hi:[1,0,0]
	ds_load_2addr_b64 v[100:103], v6 offset0:58 offset1:59
	v_mov_b32_e32 v3, v1
	v_pk_add_f32 v[242:243], v[242:243], v[2:3] neg_lo:[0,1] neg_hi:[0,1]
	s_wait_dscnt 0x0
	v_pk_mul_f32 v[0:1], v[100:101], v[98:99] op_sel:[0,1]
	s_delay_alu instid0(VALU_DEP_1) | instskip(SKIP_1) | instid1(VALU_DEP_1)
	v_pk_fma_f32 v[2:3], v[100:101], v[96:97], v[0:1] op_sel:[0,0,1] op_sel_hi:[1,1,0] neg_lo:[0,0,1] neg_hi:[0,0,1]
	v_pk_fma_f32 v[0:1], v[100:101], v[96:97], v[0:1] op_sel:[0,0,1] op_sel_hi:[1,0,0]
	v_mov_b32_e32 v3, v1
	v_pk_mul_f32 v[0:1], v[102:103], v[98:99] op_sel:[0,1]
	s_delay_alu instid0(VALU_DEP_2) | instskip(NEXT) | instid1(VALU_DEP_2)
	v_pk_add_f32 v[246:247], v[246:247], v[2:3] neg_lo:[0,1] neg_hi:[0,1]
	v_pk_fma_f32 v[2:3], v[102:103], v[96:97], v[0:1] op_sel:[0,0,1] op_sel_hi:[1,1,0] neg_lo:[0,0,1] neg_hi:[0,0,1]
	v_pk_fma_f32 v[0:1], v[102:103], v[96:97], v[0:1] op_sel:[0,0,1] op_sel_hi:[1,0,0]
	ds_load_2addr_b64 v[100:103], v6 offset0:60 offset1:61
	v_mov_b32_e32 v3, v1
	s_delay_alu instid0(VALU_DEP_1) | instskip(SKIP_2) | instid1(VALU_DEP_1)
	v_pk_add_f32 v[240:241], v[240:241], v[2:3] neg_lo:[0,1] neg_hi:[0,1]
	s_wait_dscnt 0x0
	v_pk_mul_f32 v[0:1], v[100:101], v[98:99] op_sel:[0,1]
	v_pk_fma_f32 v[2:3], v[100:101], v[96:97], v[0:1] op_sel:[0,0,1] op_sel_hi:[1,1,0] neg_lo:[0,0,1] neg_hi:[0,0,1]
	v_pk_fma_f32 v[0:1], v[100:101], v[96:97], v[0:1] op_sel:[0,0,1] op_sel_hi:[1,0,0]
	v_dual_mov_b32 v0, v103 :: v_dual_mul_f32 v100, v103, v96
	s_delay_alu instid0(VALU_DEP_2) | instskip(NEXT) | instid1(VALU_DEP_1)
	v_dual_mov_b32 v3, v1 :: v_dual_mov_b32 v1, v102
	v_pk_add_f32 v[244:245], v[244:245], v[2:3] neg_lo:[0,1] neg_hi:[0,1]
	v_mul_f32_e32 v2, v103, v99
	s_delay_alu instid0(VALU_DEP_3) | instskip(NEXT) | instid1(VALU_DEP_2)
	v_pk_fma_f32 v[0:1], v[0:1], v[222:223], v[100:101] op_sel_hi:[1,1,0]
	v_pk_fma_f32 v[2:3], v[102:103], v[222:223], v[2:3] op_sel_hi:[1,1,0] neg_lo:[0,0,1] neg_hi:[0,0,1]
	s_delay_alu instid0(VALU_DEP_2) | instskip(SKIP_4) | instid1(VALU_DEP_1)
	v_mov_b32_e32 v3, v1
	ds_load_b64 v[0:1], v6 offset:496
	v_pk_add_f32 v[250:251], v[250:251], v[2:3] neg_lo:[0,1] neg_hi:[0,1]
	s_wait_dscnt 0x0
	v_pk_mul_f32 v[2:3], v[0:1], v[98:99] op_sel:[0,1]
	v_pk_fma_f32 v[98:99], v[0:1], v[96:97], v[2:3] op_sel:[0,0,1] op_sel_hi:[1,1,0] neg_lo:[0,0,1] neg_hi:[0,0,1]
	v_pk_fma_f32 v[0:1], v[0:1], v[96:97], v[2:3] op_sel:[0,0,1] op_sel_hi:[1,0,0]
	s_delay_alu instid0(VALU_DEP_1) | instskip(NEXT) | instid1(VALU_DEP_1)
	v_mov_b32_e32 v99, v1
	v_pk_add_f32 v[252:253], v[252:253], v[98:99] neg_lo:[0,1] neg_hi:[0,1]
.LBB125_433:
	s_or_b32 exec_lo, exec_lo, s1
	s_delay_alu instid0(SALU_CYCLE_1)
	s_mov_b32 s2, exec_lo
	s_wait_dscnt 0x0
	s_barrier_signal -1
	s_barrier_wait -1
	v_cmpx_eq_u32_e32 48, v254
	s_cbranch_execz .LBB125_440
; %bb.434:
	ds_store_b64 v255, v[224:225]
	ds_store_2addr_b64 v6, v[226:227], v[228:229] offset0:49 offset1:50
	ds_store_2addr_b64 v6, v[230:231], v[232:233] offset0:51 offset1:52
	;; [unrolled: 1-line block ×7, first 2 shown]
	ds_load_b64 v[96:97], v255
	s_wait_dscnt 0x0
	v_cmp_neq_f32_e32 vcc_lo, 0, v96
	v_cmp_neq_f32_e64 s1, 0, v97
	s_or_b32 s1, vcc_lo, s1
	s_delay_alu instid0(SALU_CYCLE_1)
	s_and_b32 exec_lo, exec_lo, s1
	s_cbranch_execz .LBB125_440
; %bb.435:
	v_cmp_ngt_f32_e64 s1, |v96|, |v97|
                                        ; implicit-def: $vgpr98_vgpr99
	s_and_saveexec_b32 s4, s1
	s_delay_alu instid0(SALU_CYCLE_1)
	s_xor_b32 s1, exec_lo, s4
	s_cbranch_execz .LBB125_437
; %bb.436:
	v_div_scale_f32 v0, null, v97, v97, v96
	v_div_scale_f32 v3, vcc_lo, v96, v97, v96
	s_delay_alu instid0(VALU_DEP_2) | instskip(SKIP_1) | instid1(TRANS32_DEP_1)
	v_rcp_f32_e32 v1, v0
	v_nop
	v_fma_f32 v2, -v0, v1, 1.0
	s_delay_alu instid0(VALU_DEP_1) | instskip(NEXT) | instid1(VALU_DEP_1)
	v_fmac_f32_e32 v1, v2, v1
	v_mul_f32_e32 v2, v3, v1
	s_delay_alu instid0(VALU_DEP_1) | instskip(NEXT) | instid1(VALU_DEP_1)
	v_fma_f32 v4, -v0, v2, v3
	v_fmac_f32_e32 v2, v4, v1
	s_delay_alu instid0(VALU_DEP_1) | instskip(NEXT) | instid1(VALU_DEP_1)
	v_fma_f32 v0, -v0, v2, v3
	v_div_fmas_f32 v0, v0, v1, v2
	s_delay_alu instid0(VALU_DEP_1) | instskip(NEXT) | instid1(VALU_DEP_1)
	v_div_fixup_f32 v0, v0, v97, v96
	v_fmac_f32_e32 v97, v96, v0
	s_delay_alu instid0(VALU_DEP_1) | instskip(SKIP_1) | instid1(VALU_DEP_2)
	v_div_scale_f32 v1, null, v97, v97, 1.0
	v_div_scale_f32 v4, vcc_lo, 1.0, v97, 1.0
	v_rcp_f32_e32 v2, v1
	v_nop
	s_delay_alu instid0(TRANS32_DEP_1) | instskip(NEXT) | instid1(VALU_DEP_1)
	v_fma_f32 v3, -v1, v2, 1.0
	v_fmac_f32_e32 v2, v3, v2
	s_delay_alu instid0(VALU_DEP_1) | instskip(NEXT) | instid1(VALU_DEP_1)
	v_mul_f32_e32 v3, v4, v2
	v_fma_f32 v5, -v1, v3, v4
	s_delay_alu instid0(VALU_DEP_1) | instskip(NEXT) | instid1(VALU_DEP_1)
	v_fmac_f32_e32 v3, v5, v2
	v_fma_f32 v1, -v1, v3, v4
	s_delay_alu instid0(VALU_DEP_1) | instskip(NEXT) | instid1(VALU_DEP_1)
	v_div_fmas_f32 v1, v1, v2, v3
	v_div_fixup_f32 v1, v1, v97, 1.0
                                        ; implicit-def: $vgpr96_vgpr97
	s_delay_alu instid0(VALU_DEP_1)
	v_mul_f32_e32 v98, v0, v1
	v_xor_b32_e32 v99, 0x80000000, v1
.LBB125_437:
	s_and_not1_saveexec_b32 s1, s1
	s_cbranch_execz .LBB125_439
; %bb.438:
	v_div_scale_f32 v0, null, v96, v96, v97
	v_div_scale_f32 v3, vcc_lo, v97, v96, v97
	s_delay_alu instid0(VALU_DEP_2) | instskip(SKIP_1) | instid1(TRANS32_DEP_1)
	v_rcp_f32_e32 v1, v0
	v_nop
	v_fma_f32 v2, -v0, v1, 1.0
	s_delay_alu instid0(VALU_DEP_1) | instskip(NEXT) | instid1(VALU_DEP_1)
	v_fmac_f32_e32 v1, v2, v1
	v_mul_f32_e32 v2, v3, v1
	s_delay_alu instid0(VALU_DEP_1) | instskip(NEXT) | instid1(VALU_DEP_1)
	v_fma_f32 v4, -v0, v2, v3
	v_fmac_f32_e32 v2, v4, v1
	s_delay_alu instid0(VALU_DEP_1) | instskip(NEXT) | instid1(VALU_DEP_1)
	v_fma_f32 v0, -v0, v2, v3
	v_div_fmas_f32 v0, v0, v1, v2
	s_delay_alu instid0(VALU_DEP_1) | instskip(NEXT) | instid1(VALU_DEP_1)
	v_div_fixup_f32 v0, v0, v96, v97
	v_fmac_f32_e32 v96, v97, v0
	s_delay_alu instid0(VALU_DEP_1) | instskip(NEXT) | instid1(VALU_DEP_1)
	v_div_scale_f32 v1, null, v96, v96, 1.0
	v_rcp_f32_e32 v2, v1
	v_nop
	s_delay_alu instid0(TRANS32_DEP_1) | instskip(NEXT) | instid1(VALU_DEP_1)
	v_fma_f32 v3, -v1, v2, 1.0
	v_fmac_f32_e32 v2, v3, v2
	v_div_scale_f32 v3, vcc_lo, 1.0, v96, 1.0
	s_delay_alu instid0(VALU_DEP_1) | instskip(NEXT) | instid1(VALU_DEP_1)
	v_mul_f32_e32 v4, v3, v2
	v_fma_f32 v5, -v1, v4, v3
	s_delay_alu instid0(VALU_DEP_1) | instskip(NEXT) | instid1(VALU_DEP_1)
	v_fmac_f32_e32 v4, v5, v2
	v_fma_f32 v1, -v1, v4, v3
	s_delay_alu instid0(VALU_DEP_1) | instskip(NEXT) | instid1(VALU_DEP_1)
	v_div_fmas_f32 v1, v1, v2, v4
	v_div_fixup_f32 v98, v1, v96, 1.0
	s_delay_alu instid0(VALU_DEP_1)
	v_mul_f32_e64 v99, v0, -v98
.LBB125_439:
	s_or_b32 exec_lo, exec_lo, s1
	ds_store_b64 v255, v[98:99]
.LBB125_440:
	s_or_b32 exec_lo, exec_lo, s2
	s_wait_dscnt 0x0
	s_barrier_signal -1
	s_barrier_wait -1
	ds_load_b64 v[96:97], v255
	s_mov_b32 s1, exec_lo
	v_cmpx_lt_u32_e32 48, v254
	s_cbranch_execz .LBB125_442
; %bb.441:
	ds_load_2addr_b64 v[102:105], v6 offset0:49 offset1:50
	s_wait_dscnt 0x1
	v_pk_mul_f32 v[0:1], v[96:97], v[224:225] op_sel:[1,1] op_sel_hi:[0,1]
	s_delay_alu instid0(VALU_DEP_1) | instskip(SKIP_1) | instid1(VALU_DEP_1)
	v_pk_fma_f32 v[100:101], v[96:97], v[224:225], v[0:1] op_sel_hi:[1,0,1]
	v_pk_fma_f32 v[98:99], v[96:97], v[224:225], v[0:1] op_sel_hi:[1,0,1] neg_lo:[0,0,1] neg_hi:[0,0,1]
	v_dual_mov_b32 v225, v101 :: v_dual_mov_b32 v224, v98
	s_wait_dscnt 0x0
	s_delay_alu instid0(VALU_DEP_3) | instskip(NEXT) | instid1(VALU_DEP_1)
	v_pk_mul_f32 v[0:1], v[102:103], v[100:101] op_sel:[0,1]
	v_pk_fma_f32 v[2:3], v[102:103], v[98:99], v[0:1] op_sel:[0,0,1] op_sel_hi:[1,1,0] neg_lo:[0,0,1] neg_hi:[0,0,1]
	v_pk_fma_f32 v[0:1], v[102:103], v[98:99], v[0:1] op_sel:[0,0,1] op_sel_hi:[1,0,0]
	s_delay_alu instid0(VALU_DEP_1) | instskip(SKIP_1) | instid1(VALU_DEP_2)
	v_mov_b32_e32 v3, v1
	v_pk_mul_f32 v[0:1], v[104:105], v[100:101] op_sel:[0,1]
	v_pk_add_f32 v[226:227], v[226:227], v[2:3] neg_lo:[0,1] neg_hi:[0,1]
	s_delay_alu instid0(VALU_DEP_2) | instskip(SKIP_3) | instid1(VALU_DEP_1)
	v_pk_fma_f32 v[2:3], v[104:105], v[98:99], v[0:1] op_sel:[0,0,1] op_sel_hi:[1,1,0] neg_lo:[0,0,1] neg_hi:[0,0,1]
	v_pk_fma_f32 v[0:1], v[104:105], v[98:99], v[0:1] op_sel:[0,0,1] op_sel_hi:[1,0,0]
	ds_load_2addr_b64 v[102:105], v6 offset0:51 offset1:52
	v_mov_b32_e32 v3, v1
	v_pk_add_f32 v[228:229], v[228:229], v[2:3] neg_lo:[0,1] neg_hi:[0,1]
	s_wait_dscnt 0x0
	v_pk_mul_f32 v[0:1], v[102:103], v[100:101] op_sel:[0,1]
	s_delay_alu instid0(VALU_DEP_1) | instskip(SKIP_2) | instid1(VALU_DEP_2)
	v_pk_fma_f32 v[2:3], v[102:103], v[98:99], v[0:1] op_sel:[0,0,1] op_sel_hi:[1,1,0] neg_lo:[0,0,1] neg_hi:[0,0,1]
	v_pk_fma_f32 v[0:1], v[102:103], v[98:99], v[0:1] op_sel:[0,0,1] op_sel_hi:[1,0,0]
	v_dual_mov_b32 v0, v105 :: v_dual_mul_f32 v102, v105, v98
	v_dual_mov_b32 v3, v1 :: v_dual_mov_b32 v1, v104
	s_delay_alu instid0(VALU_DEP_1) | instskip(SKIP_1) | instid1(VALU_DEP_3)
	v_pk_add_f32 v[230:231], v[230:231], v[2:3] neg_lo:[0,1] neg_hi:[0,1]
	v_mul_f32_e32 v2, v105, v101
	v_pk_fma_f32 v[0:1], v[0:1], v[224:225], v[102:103] op_sel_hi:[1,1,0]
	s_delay_alu instid0(VALU_DEP_2) | instskip(SKIP_2) | instid1(VALU_DEP_1)
	v_pk_fma_f32 v[2:3], v[104:105], v[224:225], v[2:3] op_sel_hi:[1,1,0] neg_lo:[0,0,1] neg_hi:[0,0,1]
	ds_load_2addr_b64 v[102:105], v6 offset0:53 offset1:54
	v_mov_b32_e32 v3, v1
	v_pk_add_f32 v[232:233], v[232:233], v[2:3] neg_lo:[0,1] neg_hi:[0,1]
	s_wait_dscnt 0x0
	v_pk_mul_f32 v[0:1], v[102:103], v[100:101] op_sel:[0,1]
	s_delay_alu instid0(VALU_DEP_1) | instskip(SKIP_1) | instid1(VALU_DEP_1)
	v_pk_fma_f32 v[2:3], v[102:103], v[98:99], v[0:1] op_sel:[0,0,1] op_sel_hi:[1,1,0] neg_lo:[0,0,1] neg_hi:[0,0,1]
	v_pk_fma_f32 v[0:1], v[102:103], v[98:99], v[0:1] op_sel:[0,0,1] op_sel_hi:[1,0,0]
	v_mov_b32_e32 v3, v1
	v_pk_mul_f32 v[0:1], v[104:105], v[100:101] op_sel:[0,1]
	s_delay_alu instid0(VALU_DEP_2) | instskip(NEXT) | instid1(VALU_DEP_2)
	v_pk_add_f32 v[234:235], v[234:235], v[2:3] neg_lo:[0,1] neg_hi:[0,1]
	v_pk_fma_f32 v[2:3], v[104:105], v[98:99], v[0:1] op_sel:[0,0,1] op_sel_hi:[1,1,0] neg_lo:[0,0,1] neg_hi:[0,0,1]
	v_pk_fma_f32 v[0:1], v[104:105], v[98:99], v[0:1] op_sel:[0,0,1] op_sel_hi:[1,0,0]
	ds_load_2addr_b64 v[102:105], v6 offset0:55 offset1:56
	v_mov_b32_e32 v3, v1
	s_delay_alu instid0(VALU_DEP_1) | instskip(SKIP_2) | instid1(VALU_DEP_1)
	v_pk_add_f32 v[236:237], v[236:237], v[2:3] neg_lo:[0,1] neg_hi:[0,1]
	s_wait_dscnt 0x0
	v_pk_mul_f32 v[0:1], v[102:103], v[100:101] op_sel:[0,1]
	v_pk_fma_f32 v[2:3], v[102:103], v[98:99], v[0:1] op_sel:[0,0,1] op_sel_hi:[1,1,0] neg_lo:[0,0,1] neg_hi:[0,0,1]
	v_pk_fma_f32 v[0:1], v[102:103], v[98:99], v[0:1] op_sel:[0,0,1] op_sel_hi:[1,0,0]
	s_delay_alu instid0(VALU_DEP_1) | instskip(SKIP_1) | instid1(VALU_DEP_2)
	v_mov_b32_e32 v3, v1
	v_pk_mul_f32 v[0:1], v[104:105], v[100:101] op_sel:[0,1]
	v_pk_add_f32 v[238:239], v[238:239], v[2:3] neg_lo:[0,1] neg_hi:[0,1]
	s_delay_alu instid0(VALU_DEP_2) | instskip(SKIP_3) | instid1(VALU_DEP_1)
	v_pk_fma_f32 v[2:3], v[104:105], v[98:99], v[0:1] op_sel:[0,0,1] op_sel_hi:[1,1,0] neg_lo:[0,0,1] neg_hi:[0,0,1]
	v_pk_fma_f32 v[0:1], v[104:105], v[98:99], v[0:1] op_sel:[0,0,1] op_sel_hi:[1,0,0]
	ds_load_2addr_b64 v[102:105], v6 offset0:57 offset1:58
	v_mov_b32_e32 v3, v1
	v_pk_add_f32 v[248:249], v[248:249], v[2:3] neg_lo:[0,1] neg_hi:[0,1]
	s_wait_dscnt 0x0
	v_dual_mul_f32 v2, v103, v98 :: v_dual_mul_f32 v0, v103, v101
	s_delay_alu instid0(VALU_DEP_1) | instskip(NEXT) | instid1(VALU_DEP_2)
	v_pk_fma_f32 v[2:3], v[102:103], v[224:225], v[2:3] op_sel:[1,0,0] op_sel_hi:[0,1,0]
	v_pk_fma_f32 v[0:1], v[102:103], v[224:225], v[0:1] op_sel_hi:[1,1,0] neg_lo:[0,0,1] neg_hi:[0,0,1]
	s_delay_alu instid0(VALU_DEP_2) | instskip(NEXT) | instid1(VALU_DEP_1)
	v_mov_b32_e32 v1, v3
	v_pk_add_f32 v[242:243], v[242:243], v[0:1] neg_lo:[0,1] neg_hi:[0,1]
	v_pk_mul_f32 v[0:1], v[104:105], v[100:101] op_sel:[0,1]
	s_delay_alu instid0(VALU_DEP_1) | instskip(SKIP_3) | instid1(VALU_DEP_1)
	v_pk_fma_f32 v[2:3], v[104:105], v[98:99], v[0:1] op_sel:[0,0,1] op_sel_hi:[1,1,0] neg_lo:[0,0,1] neg_hi:[0,0,1]
	v_pk_fma_f32 v[0:1], v[104:105], v[98:99], v[0:1] op_sel:[0,0,1] op_sel_hi:[1,0,0]
	ds_load_2addr_b64 v[102:105], v6 offset0:59 offset1:60
	v_mov_b32_e32 v3, v1
	v_pk_add_f32 v[246:247], v[246:247], v[2:3] neg_lo:[0,1] neg_hi:[0,1]
	s_wait_dscnt 0x0
	v_pk_mul_f32 v[0:1], v[102:103], v[100:101] op_sel:[0,1]
	s_delay_alu instid0(VALU_DEP_1) | instskip(SKIP_1) | instid1(VALU_DEP_1)
	v_pk_fma_f32 v[2:3], v[102:103], v[98:99], v[0:1] op_sel:[0,0,1] op_sel_hi:[1,1,0] neg_lo:[0,0,1] neg_hi:[0,0,1]
	v_pk_fma_f32 v[0:1], v[102:103], v[98:99], v[0:1] op_sel:[0,0,1] op_sel_hi:[1,0,0]
	v_mov_b32_e32 v3, v1
	v_pk_mul_f32 v[0:1], v[104:105], v[100:101] op_sel:[0,1]
	s_delay_alu instid0(VALU_DEP_2) | instskip(NEXT) | instid1(VALU_DEP_2)
	v_pk_add_f32 v[240:241], v[240:241], v[2:3] neg_lo:[0,1] neg_hi:[0,1]
	v_pk_fma_f32 v[2:3], v[104:105], v[98:99], v[0:1] op_sel:[0,0,1] op_sel_hi:[1,1,0] neg_lo:[0,0,1] neg_hi:[0,0,1]
	v_pk_fma_f32 v[0:1], v[104:105], v[98:99], v[0:1] op_sel:[0,0,1] op_sel_hi:[1,0,0]
	ds_load_2addr_b64 v[102:105], v6 offset0:61 offset1:62
	v_mov_b32_e32 v3, v1
	s_delay_alu instid0(VALU_DEP_1) | instskip(SKIP_2) | instid1(VALU_DEP_1)
	v_pk_add_f32 v[244:245], v[244:245], v[2:3] neg_lo:[0,1] neg_hi:[0,1]
	s_wait_dscnt 0x0
	v_pk_mul_f32 v[0:1], v[102:103], v[100:101] op_sel:[0,1]
	v_pk_fma_f32 v[2:3], v[102:103], v[98:99], v[0:1] op_sel:[0,0,1] op_sel_hi:[1,1,0] neg_lo:[0,0,1] neg_hi:[0,0,1]
	v_pk_fma_f32 v[0:1], v[102:103], v[98:99], v[0:1] op_sel:[0,0,1] op_sel_hi:[1,0,0]
	s_delay_alu instid0(VALU_DEP_1) | instskip(SKIP_1) | instid1(VALU_DEP_2)
	v_mov_b32_e32 v3, v1
	v_pk_mul_f32 v[0:1], v[104:105], v[100:101] op_sel:[0,1]
	v_pk_add_f32 v[250:251], v[250:251], v[2:3] neg_lo:[0,1] neg_hi:[0,1]
	s_delay_alu instid0(VALU_DEP_2) | instskip(SKIP_1) | instid1(VALU_DEP_1)
	v_pk_fma_f32 v[2:3], v[104:105], v[98:99], v[0:1] op_sel:[0,0,1] op_sel_hi:[1,1,0] neg_lo:[0,0,1] neg_hi:[0,0,1]
	v_pk_fma_f32 v[0:1], v[104:105], v[98:99], v[0:1] op_sel:[0,0,1] op_sel_hi:[1,0,0]
	v_mov_b32_e32 v3, v1
	s_delay_alu instid0(VALU_DEP_1)
	v_pk_add_f32 v[252:253], v[252:253], v[2:3] neg_lo:[0,1] neg_hi:[0,1]
.LBB125_442:
	s_or_b32 exec_lo, exec_lo, s1
	s_delay_alu instid0(SALU_CYCLE_1)
	s_mov_b32 s2, exec_lo
	s_wait_dscnt 0x0
	s_barrier_signal -1
	s_barrier_wait -1
	v_cmpx_eq_u32_e32 49, v254
	s_cbranch_execz .LBB125_449
; %bb.443:
	v_dual_mov_b32 v0, v228 :: v_dual_mov_b32 v1, v229
	v_dual_mov_b32 v2, v230 :: v_dual_mov_b32 v3, v231
	ds_store_b64 v255, v[226:227]
	ds_store_2addr_b64 v6, v[0:1], v[2:3] offset0:50 offset1:51
	v_dual_mov_b32 v0, v232 :: v_dual_mov_b32 v1, v233
	v_dual_mov_b32 v2, v234 :: v_dual_mov_b32 v3, v235
	ds_store_2addr_b64 v6, v[0:1], v[2:3] offset0:52 offset1:53
	v_dual_mov_b32 v0, v236 :: v_dual_mov_b32 v1, v237
	v_dual_mov_b32 v2, v238 :: v_dual_mov_b32 v3, v239
	ds_store_2addr_b64 v6, v[0:1], v[2:3] offset0:54 offset1:55
	v_dual_mov_b32 v0, v248 :: v_dual_mov_b32 v1, v249
	v_dual_mov_b32 v2, v242 :: v_dual_mov_b32 v3, v243
	ds_store_2addr_b64 v6, v[0:1], v[2:3] offset0:56 offset1:57
	v_dual_mov_b32 v0, v246 :: v_dual_mov_b32 v1, v247
	v_dual_mov_b32 v2, v240 :: v_dual_mov_b32 v3, v241
	ds_store_2addr_b64 v6, v[0:1], v[2:3] offset0:58 offset1:59
	v_dual_mov_b32 v0, v244 :: v_dual_mov_b32 v1, v245
	v_dual_mov_b32 v2, v250 :: v_dual_mov_b32 v3, v251
	ds_store_2addr_b64 v6, v[0:1], v[2:3] offset0:60 offset1:61
	ds_store_b64 v6, v[252:253] offset:496
	ds_load_b64 v[98:99], v255
	s_wait_dscnt 0x0
	v_cmp_neq_f32_e32 vcc_lo, 0, v98
	v_cmp_neq_f32_e64 s1, 0, v99
	s_or_b32 s1, vcc_lo, s1
	s_delay_alu instid0(SALU_CYCLE_1)
	s_and_b32 exec_lo, exec_lo, s1
	s_cbranch_execz .LBB125_449
; %bb.444:
	v_cmp_ngt_f32_e64 s1, |v98|, |v99|
                                        ; implicit-def: $vgpr100_vgpr101
	s_and_saveexec_b32 s4, s1
	s_delay_alu instid0(SALU_CYCLE_1)
	s_xor_b32 s1, exec_lo, s4
	s_cbranch_execz .LBB125_446
; %bb.445:
	v_div_scale_f32 v0, null, v99, v99, v98
	v_div_scale_f32 v3, vcc_lo, v98, v99, v98
	s_delay_alu instid0(VALU_DEP_2) | instskip(SKIP_1) | instid1(TRANS32_DEP_1)
	v_rcp_f32_e32 v1, v0
	v_nop
	v_fma_f32 v2, -v0, v1, 1.0
	s_delay_alu instid0(VALU_DEP_1) | instskip(NEXT) | instid1(VALU_DEP_1)
	v_fmac_f32_e32 v1, v2, v1
	v_mul_f32_e32 v2, v3, v1
	s_delay_alu instid0(VALU_DEP_1) | instskip(NEXT) | instid1(VALU_DEP_1)
	v_fma_f32 v4, -v0, v2, v3
	v_fmac_f32_e32 v2, v4, v1
	s_delay_alu instid0(VALU_DEP_1) | instskip(NEXT) | instid1(VALU_DEP_1)
	v_fma_f32 v0, -v0, v2, v3
	v_div_fmas_f32 v0, v0, v1, v2
	s_delay_alu instid0(VALU_DEP_1) | instskip(NEXT) | instid1(VALU_DEP_1)
	v_div_fixup_f32 v0, v0, v99, v98
	v_fmac_f32_e32 v99, v98, v0
	s_delay_alu instid0(VALU_DEP_1) | instskip(SKIP_1) | instid1(VALU_DEP_2)
	v_div_scale_f32 v1, null, v99, v99, 1.0
	v_div_scale_f32 v4, vcc_lo, 1.0, v99, 1.0
	v_rcp_f32_e32 v2, v1
	v_nop
	s_delay_alu instid0(TRANS32_DEP_1) | instskip(NEXT) | instid1(VALU_DEP_1)
	v_fma_f32 v3, -v1, v2, 1.0
	v_fmac_f32_e32 v2, v3, v2
	s_delay_alu instid0(VALU_DEP_1) | instskip(NEXT) | instid1(VALU_DEP_1)
	v_mul_f32_e32 v3, v4, v2
	v_fma_f32 v5, -v1, v3, v4
	s_delay_alu instid0(VALU_DEP_1) | instskip(NEXT) | instid1(VALU_DEP_1)
	v_fmac_f32_e32 v3, v5, v2
	v_fma_f32 v1, -v1, v3, v4
	s_delay_alu instid0(VALU_DEP_1) | instskip(NEXT) | instid1(VALU_DEP_1)
	v_div_fmas_f32 v1, v1, v2, v3
	v_div_fixup_f32 v1, v1, v99, 1.0
                                        ; implicit-def: $vgpr98_vgpr99
	s_delay_alu instid0(VALU_DEP_1)
	v_mul_f32_e32 v100, v0, v1
	v_xor_b32_e32 v101, 0x80000000, v1
.LBB125_446:
	s_and_not1_saveexec_b32 s1, s1
	s_cbranch_execz .LBB125_448
; %bb.447:
	v_div_scale_f32 v0, null, v98, v98, v99
	v_div_scale_f32 v3, vcc_lo, v99, v98, v99
	s_delay_alu instid0(VALU_DEP_2) | instskip(SKIP_1) | instid1(TRANS32_DEP_1)
	v_rcp_f32_e32 v1, v0
	v_nop
	v_fma_f32 v2, -v0, v1, 1.0
	s_delay_alu instid0(VALU_DEP_1) | instskip(NEXT) | instid1(VALU_DEP_1)
	v_fmac_f32_e32 v1, v2, v1
	v_mul_f32_e32 v2, v3, v1
	s_delay_alu instid0(VALU_DEP_1) | instskip(NEXT) | instid1(VALU_DEP_1)
	v_fma_f32 v4, -v0, v2, v3
	v_fmac_f32_e32 v2, v4, v1
	s_delay_alu instid0(VALU_DEP_1) | instskip(NEXT) | instid1(VALU_DEP_1)
	v_fma_f32 v0, -v0, v2, v3
	v_div_fmas_f32 v0, v0, v1, v2
	s_delay_alu instid0(VALU_DEP_1) | instskip(NEXT) | instid1(VALU_DEP_1)
	v_div_fixup_f32 v0, v0, v98, v99
	v_fmac_f32_e32 v98, v99, v0
	s_delay_alu instid0(VALU_DEP_1) | instskip(NEXT) | instid1(VALU_DEP_1)
	v_div_scale_f32 v1, null, v98, v98, 1.0
	v_rcp_f32_e32 v2, v1
	v_nop
	s_delay_alu instid0(TRANS32_DEP_1) | instskip(NEXT) | instid1(VALU_DEP_1)
	v_fma_f32 v3, -v1, v2, 1.0
	v_fmac_f32_e32 v2, v3, v2
	v_div_scale_f32 v3, vcc_lo, 1.0, v98, 1.0
	s_delay_alu instid0(VALU_DEP_1) | instskip(NEXT) | instid1(VALU_DEP_1)
	v_mul_f32_e32 v4, v3, v2
	v_fma_f32 v5, -v1, v4, v3
	s_delay_alu instid0(VALU_DEP_1) | instskip(NEXT) | instid1(VALU_DEP_1)
	v_fmac_f32_e32 v4, v5, v2
	v_fma_f32 v1, -v1, v4, v3
	s_delay_alu instid0(VALU_DEP_1) | instskip(NEXT) | instid1(VALU_DEP_1)
	v_div_fmas_f32 v1, v1, v2, v4
	v_div_fixup_f32 v100, v1, v98, 1.0
	s_delay_alu instid0(VALU_DEP_1)
	v_mul_f32_e64 v101, v0, -v100
.LBB125_448:
	s_or_b32 exec_lo, exec_lo, s1
	ds_store_b64 v255, v[100:101]
.LBB125_449:
	s_or_b32 exec_lo, exec_lo, s2
	s_wait_dscnt 0x0
	s_barrier_signal -1
	s_barrier_wait -1
	ds_load_b64 v[98:99], v255
	s_mov_b32 s1, exec_lo
	v_cmpx_lt_u32_e32 49, v254
	s_cbranch_execz .LBB125_451
; %bb.450:
	ds_load_2addr_b64 v[104:107], v6 offset0:50 offset1:51
	s_wait_dscnt 0x1
	v_pk_mul_f32 v[0:1], v[98:99], v[226:227] op_sel:[1,1] op_sel_hi:[0,1]
	s_delay_alu instid0(VALU_DEP_1) | instskip(SKIP_1) | instid1(VALU_DEP_1)
	v_pk_fma_f32 v[102:103], v[98:99], v[226:227], v[0:1] op_sel_hi:[1,0,1]
	v_pk_fma_f32 v[100:101], v[98:99], v[226:227], v[0:1] op_sel_hi:[1,0,1] neg_lo:[0,0,1] neg_hi:[0,0,1]
	v_dual_mov_b32 v227, v103 :: v_dual_mov_b32 v226, v100
	s_wait_dscnt 0x0
	s_delay_alu instid0(VALU_DEP_3) | instskip(NEXT) | instid1(VALU_DEP_1)
	v_pk_mul_f32 v[0:1], v[104:105], v[102:103] op_sel:[0,1]
	v_pk_fma_f32 v[2:3], v[104:105], v[100:101], v[0:1] op_sel:[0,0,1] op_sel_hi:[1,1,0] neg_lo:[0,0,1] neg_hi:[0,0,1]
	v_pk_fma_f32 v[0:1], v[104:105], v[100:101], v[0:1] op_sel:[0,0,1] op_sel_hi:[1,0,0]
	s_delay_alu instid0(VALU_DEP_1) | instskip(SKIP_1) | instid1(VALU_DEP_2)
	v_mov_b32_e32 v3, v1
	v_pk_mul_f32 v[0:1], v[106:107], v[102:103] op_sel:[0,1]
	v_pk_add_f32 v[228:229], v[228:229], v[2:3] neg_lo:[0,1] neg_hi:[0,1]
	s_delay_alu instid0(VALU_DEP_2) | instskip(SKIP_3) | instid1(VALU_DEP_1)
	v_pk_fma_f32 v[2:3], v[106:107], v[100:101], v[0:1] op_sel:[0,0,1] op_sel_hi:[1,1,0] neg_lo:[0,0,1] neg_hi:[0,0,1]
	v_pk_fma_f32 v[0:1], v[106:107], v[100:101], v[0:1] op_sel:[0,0,1] op_sel_hi:[1,0,0]
	ds_load_2addr_b64 v[104:107], v6 offset0:52 offset1:53
	v_mov_b32_e32 v3, v1
	v_pk_add_f32 v[230:231], v[230:231], v[2:3] neg_lo:[0,1] neg_hi:[0,1]
	s_wait_dscnt 0x0
	v_pk_mul_f32 v[0:1], v[104:105], v[102:103] op_sel:[0,1]
	s_delay_alu instid0(VALU_DEP_1) | instskip(SKIP_2) | instid1(VALU_DEP_2)
	v_pk_fma_f32 v[2:3], v[104:105], v[100:101], v[0:1] op_sel:[0,0,1] op_sel_hi:[1,1,0] neg_lo:[0,0,1] neg_hi:[0,0,1]
	v_pk_fma_f32 v[0:1], v[104:105], v[100:101], v[0:1] op_sel:[0,0,1] op_sel_hi:[1,0,0]
	v_dual_mov_b32 v0, v107 :: v_dual_mul_f32 v104, v107, v100
	v_dual_mov_b32 v3, v1 :: v_dual_mov_b32 v1, v106
	s_delay_alu instid0(VALU_DEP_1) | instskip(SKIP_1) | instid1(VALU_DEP_3)
	v_pk_add_f32 v[232:233], v[232:233], v[2:3] neg_lo:[0,1] neg_hi:[0,1]
	v_mul_f32_e32 v2, v107, v103
	v_pk_fma_f32 v[0:1], v[0:1], v[226:227], v[104:105] op_sel_hi:[1,1,0]
	s_delay_alu instid0(VALU_DEP_2) | instskip(SKIP_2) | instid1(VALU_DEP_1)
	v_pk_fma_f32 v[2:3], v[106:107], v[226:227], v[2:3] op_sel_hi:[1,1,0] neg_lo:[0,0,1] neg_hi:[0,0,1]
	ds_load_2addr_b64 v[104:107], v6 offset0:54 offset1:55
	v_mov_b32_e32 v3, v1
	v_pk_add_f32 v[234:235], v[234:235], v[2:3] neg_lo:[0,1] neg_hi:[0,1]
	s_wait_dscnt 0x0
	v_pk_mul_f32 v[0:1], v[104:105], v[102:103] op_sel:[0,1]
	s_delay_alu instid0(VALU_DEP_1) | instskip(SKIP_1) | instid1(VALU_DEP_1)
	v_pk_fma_f32 v[2:3], v[104:105], v[100:101], v[0:1] op_sel:[0,0,1] op_sel_hi:[1,1,0] neg_lo:[0,0,1] neg_hi:[0,0,1]
	v_pk_fma_f32 v[0:1], v[104:105], v[100:101], v[0:1] op_sel:[0,0,1] op_sel_hi:[1,0,0]
	v_mov_b32_e32 v3, v1
	v_pk_mul_f32 v[0:1], v[106:107], v[102:103] op_sel:[0,1]
	s_delay_alu instid0(VALU_DEP_2) | instskip(NEXT) | instid1(VALU_DEP_2)
	v_pk_add_f32 v[236:237], v[236:237], v[2:3] neg_lo:[0,1] neg_hi:[0,1]
	v_pk_fma_f32 v[2:3], v[106:107], v[100:101], v[0:1] op_sel:[0,0,1] op_sel_hi:[1,1,0] neg_lo:[0,0,1] neg_hi:[0,0,1]
	v_pk_fma_f32 v[0:1], v[106:107], v[100:101], v[0:1] op_sel:[0,0,1] op_sel_hi:[1,0,0]
	ds_load_2addr_b64 v[104:107], v6 offset0:56 offset1:57
	v_mov_b32_e32 v3, v1
	s_delay_alu instid0(VALU_DEP_1) | instskip(SKIP_2) | instid1(VALU_DEP_1)
	v_pk_add_f32 v[238:239], v[238:239], v[2:3] neg_lo:[0,1] neg_hi:[0,1]
	s_wait_dscnt 0x0
	v_pk_mul_f32 v[0:1], v[104:105], v[102:103] op_sel:[0,1]
	v_pk_fma_f32 v[2:3], v[104:105], v[100:101], v[0:1] op_sel:[0,0,1] op_sel_hi:[1,1,0] neg_lo:[0,0,1] neg_hi:[0,0,1]
	v_pk_fma_f32 v[0:1], v[104:105], v[100:101], v[0:1] op_sel:[0,0,1] op_sel_hi:[1,0,0]
	s_delay_alu instid0(VALU_DEP_1) | instskip(SKIP_1) | instid1(VALU_DEP_2)
	v_mov_b32_e32 v3, v1
	v_pk_mul_f32 v[0:1], v[106:107], v[102:103] op_sel:[0,1]
	v_pk_add_f32 v[248:249], v[248:249], v[2:3] neg_lo:[0,1] neg_hi:[0,1]
	s_delay_alu instid0(VALU_DEP_2) | instskip(SKIP_3) | instid1(VALU_DEP_1)
	v_pk_fma_f32 v[2:3], v[106:107], v[100:101], v[0:1] op_sel:[0,0,1] op_sel_hi:[1,1,0] neg_lo:[0,0,1] neg_hi:[0,0,1]
	v_pk_fma_f32 v[0:1], v[106:107], v[100:101], v[0:1] op_sel:[0,0,1] op_sel_hi:[1,0,0]
	ds_load_2addr_b64 v[104:107], v6 offset0:58 offset1:59
	v_mov_b32_e32 v3, v1
	v_pk_add_f32 v[242:243], v[242:243], v[2:3] neg_lo:[0,1] neg_hi:[0,1]
	s_wait_dscnt 0x0
	v_dual_mul_f32 v0, v105, v103 :: v_dual_mul_f32 v2, v105, v100
	s_delay_alu instid0(VALU_DEP_1) | instskip(NEXT) | instid1(VALU_DEP_2)
	v_pk_fma_f32 v[0:1], v[104:105], v[226:227], v[0:1] op_sel_hi:[1,1,0] neg_lo:[0,0,1] neg_hi:[0,0,1]
	v_pk_fma_f32 v[2:3], v[104:105], v[226:227], v[2:3] op_sel:[1,0,0] op_sel_hi:[0,1,0]
	s_delay_alu instid0(VALU_DEP_1) | instskip(NEXT) | instid1(VALU_DEP_1)
	v_mov_b32_e32 v1, v3
	v_pk_add_f32 v[246:247], v[246:247], v[0:1] neg_lo:[0,1] neg_hi:[0,1]
	v_pk_mul_f32 v[0:1], v[106:107], v[102:103] op_sel:[0,1]
	s_delay_alu instid0(VALU_DEP_1) | instskip(SKIP_3) | instid1(VALU_DEP_1)
	v_pk_fma_f32 v[2:3], v[106:107], v[100:101], v[0:1] op_sel:[0,0,1] op_sel_hi:[1,1,0] neg_lo:[0,0,1] neg_hi:[0,0,1]
	v_pk_fma_f32 v[0:1], v[106:107], v[100:101], v[0:1] op_sel:[0,0,1] op_sel_hi:[1,0,0]
	ds_load_2addr_b64 v[104:107], v6 offset0:60 offset1:61
	v_mov_b32_e32 v3, v1
	v_pk_add_f32 v[240:241], v[240:241], v[2:3] neg_lo:[0,1] neg_hi:[0,1]
	s_wait_dscnt 0x0
	v_pk_mul_f32 v[0:1], v[104:105], v[102:103] op_sel:[0,1]
	s_delay_alu instid0(VALU_DEP_1) | instskip(SKIP_1) | instid1(VALU_DEP_1)
	v_pk_fma_f32 v[2:3], v[104:105], v[100:101], v[0:1] op_sel:[0,0,1] op_sel_hi:[1,1,0] neg_lo:[0,0,1] neg_hi:[0,0,1]
	v_pk_fma_f32 v[0:1], v[104:105], v[100:101], v[0:1] op_sel:[0,0,1] op_sel_hi:[1,0,0]
	v_mov_b32_e32 v3, v1
	v_pk_mul_f32 v[0:1], v[106:107], v[102:103] op_sel:[0,1]
	s_delay_alu instid0(VALU_DEP_2) | instskip(NEXT) | instid1(VALU_DEP_2)
	v_pk_add_f32 v[244:245], v[244:245], v[2:3] neg_lo:[0,1] neg_hi:[0,1]
	v_pk_fma_f32 v[2:3], v[106:107], v[100:101], v[0:1] op_sel:[0,0,1] op_sel_hi:[1,1,0] neg_lo:[0,0,1] neg_hi:[0,0,1]
	v_pk_fma_f32 v[0:1], v[106:107], v[100:101], v[0:1] op_sel:[0,0,1] op_sel_hi:[1,0,0]
	s_delay_alu instid0(VALU_DEP_1) | instskip(SKIP_4) | instid1(VALU_DEP_1)
	v_mov_b32_e32 v3, v1
	ds_load_b64 v[0:1], v6 offset:496
	v_pk_add_f32 v[250:251], v[250:251], v[2:3] neg_lo:[0,1] neg_hi:[0,1]
	s_wait_dscnt 0x0
	v_pk_mul_f32 v[2:3], v[0:1], v[102:103] op_sel:[0,1]
	v_pk_fma_f32 v[102:103], v[0:1], v[100:101], v[2:3] op_sel:[0,0,1] op_sel_hi:[1,1,0] neg_lo:[0,0,1] neg_hi:[0,0,1]
	v_pk_fma_f32 v[0:1], v[0:1], v[100:101], v[2:3] op_sel:[0,0,1] op_sel_hi:[1,0,0]
	s_delay_alu instid0(VALU_DEP_1) | instskip(NEXT) | instid1(VALU_DEP_1)
	v_mov_b32_e32 v103, v1
	v_pk_add_f32 v[252:253], v[252:253], v[102:103] neg_lo:[0,1] neg_hi:[0,1]
.LBB125_451:
	s_or_b32 exec_lo, exec_lo, s1
	s_delay_alu instid0(SALU_CYCLE_1)
	s_mov_b32 s2, exec_lo
	s_wait_dscnt 0x0
	s_barrier_signal -1
	s_barrier_wait -1
	v_cmpx_eq_u32_e32 50, v254
	s_cbranch_execz .LBB125_458
; %bb.452:
	ds_store_b64 v255, v[228:229]
	ds_store_2addr_b64 v6, v[230:231], v[232:233] offset0:51 offset1:52
	ds_store_2addr_b64 v6, v[234:235], v[236:237] offset0:53 offset1:54
	;; [unrolled: 1-line block ×6, first 2 shown]
	ds_load_b64 v[100:101], v255
	s_wait_dscnt 0x0
	v_cmp_neq_f32_e32 vcc_lo, 0, v100
	v_cmp_neq_f32_e64 s1, 0, v101
	s_or_b32 s1, vcc_lo, s1
	s_delay_alu instid0(SALU_CYCLE_1)
	s_and_b32 exec_lo, exec_lo, s1
	s_cbranch_execz .LBB125_458
; %bb.453:
	v_cmp_ngt_f32_e64 s1, |v100|, |v101|
                                        ; implicit-def: $vgpr102_vgpr103
	s_and_saveexec_b32 s4, s1
	s_delay_alu instid0(SALU_CYCLE_1)
	s_xor_b32 s1, exec_lo, s4
	s_cbranch_execz .LBB125_455
; %bb.454:
	v_div_scale_f32 v0, null, v101, v101, v100
	v_div_scale_f32 v3, vcc_lo, v100, v101, v100
	s_delay_alu instid0(VALU_DEP_2) | instskip(SKIP_1) | instid1(TRANS32_DEP_1)
	v_rcp_f32_e32 v1, v0
	v_nop
	v_fma_f32 v2, -v0, v1, 1.0
	s_delay_alu instid0(VALU_DEP_1) | instskip(NEXT) | instid1(VALU_DEP_1)
	v_fmac_f32_e32 v1, v2, v1
	v_mul_f32_e32 v2, v3, v1
	s_delay_alu instid0(VALU_DEP_1) | instskip(NEXT) | instid1(VALU_DEP_1)
	v_fma_f32 v4, -v0, v2, v3
	v_fmac_f32_e32 v2, v4, v1
	s_delay_alu instid0(VALU_DEP_1) | instskip(NEXT) | instid1(VALU_DEP_1)
	v_fma_f32 v0, -v0, v2, v3
	v_div_fmas_f32 v0, v0, v1, v2
	s_delay_alu instid0(VALU_DEP_1) | instskip(NEXT) | instid1(VALU_DEP_1)
	v_div_fixup_f32 v0, v0, v101, v100
	v_fmac_f32_e32 v101, v100, v0
	s_delay_alu instid0(VALU_DEP_1) | instskip(SKIP_1) | instid1(VALU_DEP_2)
	v_div_scale_f32 v1, null, v101, v101, 1.0
	v_div_scale_f32 v4, vcc_lo, 1.0, v101, 1.0
	v_rcp_f32_e32 v2, v1
	v_nop
	s_delay_alu instid0(TRANS32_DEP_1) | instskip(NEXT) | instid1(VALU_DEP_1)
	v_fma_f32 v3, -v1, v2, 1.0
	v_fmac_f32_e32 v2, v3, v2
	s_delay_alu instid0(VALU_DEP_1) | instskip(NEXT) | instid1(VALU_DEP_1)
	v_mul_f32_e32 v3, v4, v2
	v_fma_f32 v5, -v1, v3, v4
	s_delay_alu instid0(VALU_DEP_1) | instskip(NEXT) | instid1(VALU_DEP_1)
	v_fmac_f32_e32 v3, v5, v2
	v_fma_f32 v1, -v1, v3, v4
	s_delay_alu instid0(VALU_DEP_1) | instskip(NEXT) | instid1(VALU_DEP_1)
	v_div_fmas_f32 v1, v1, v2, v3
	v_div_fixup_f32 v1, v1, v101, 1.0
                                        ; implicit-def: $vgpr100_vgpr101
	s_delay_alu instid0(VALU_DEP_1)
	v_mul_f32_e32 v102, v0, v1
	v_xor_b32_e32 v103, 0x80000000, v1
.LBB125_455:
	s_and_not1_saveexec_b32 s1, s1
	s_cbranch_execz .LBB125_457
; %bb.456:
	v_div_scale_f32 v0, null, v100, v100, v101
	v_div_scale_f32 v3, vcc_lo, v101, v100, v101
	s_delay_alu instid0(VALU_DEP_2) | instskip(SKIP_1) | instid1(TRANS32_DEP_1)
	v_rcp_f32_e32 v1, v0
	v_nop
	v_fma_f32 v2, -v0, v1, 1.0
	s_delay_alu instid0(VALU_DEP_1) | instskip(NEXT) | instid1(VALU_DEP_1)
	v_fmac_f32_e32 v1, v2, v1
	v_mul_f32_e32 v2, v3, v1
	s_delay_alu instid0(VALU_DEP_1) | instskip(NEXT) | instid1(VALU_DEP_1)
	v_fma_f32 v4, -v0, v2, v3
	v_fmac_f32_e32 v2, v4, v1
	s_delay_alu instid0(VALU_DEP_1) | instskip(NEXT) | instid1(VALU_DEP_1)
	v_fma_f32 v0, -v0, v2, v3
	v_div_fmas_f32 v0, v0, v1, v2
	s_delay_alu instid0(VALU_DEP_1) | instskip(NEXT) | instid1(VALU_DEP_1)
	v_div_fixup_f32 v0, v0, v100, v101
	v_fmac_f32_e32 v100, v101, v0
	s_delay_alu instid0(VALU_DEP_1) | instskip(NEXT) | instid1(VALU_DEP_1)
	v_div_scale_f32 v1, null, v100, v100, 1.0
	v_rcp_f32_e32 v2, v1
	v_nop
	s_delay_alu instid0(TRANS32_DEP_1) | instskip(NEXT) | instid1(VALU_DEP_1)
	v_fma_f32 v3, -v1, v2, 1.0
	v_fmac_f32_e32 v2, v3, v2
	v_div_scale_f32 v3, vcc_lo, 1.0, v100, 1.0
	s_delay_alu instid0(VALU_DEP_1) | instskip(NEXT) | instid1(VALU_DEP_1)
	v_mul_f32_e32 v4, v3, v2
	v_fma_f32 v5, -v1, v4, v3
	s_delay_alu instid0(VALU_DEP_1) | instskip(NEXT) | instid1(VALU_DEP_1)
	v_fmac_f32_e32 v4, v5, v2
	v_fma_f32 v1, -v1, v4, v3
	s_delay_alu instid0(VALU_DEP_1) | instskip(NEXT) | instid1(VALU_DEP_1)
	v_div_fmas_f32 v1, v1, v2, v4
	v_div_fixup_f32 v102, v1, v100, 1.0
	s_delay_alu instid0(VALU_DEP_1)
	v_mul_f32_e64 v103, v0, -v102
.LBB125_457:
	s_or_b32 exec_lo, exec_lo, s1
	ds_store_b64 v255, v[102:103]
.LBB125_458:
	s_or_b32 exec_lo, exec_lo, s2
	s_wait_dscnt 0x0
	s_barrier_signal -1
	s_barrier_wait -1
	ds_load_b64 v[100:101], v255
	s_mov_b32 s1, exec_lo
	v_cmpx_lt_u32_e32 50, v254
	s_cbranch_execz .LBB125_460
; %bb.459:
	ds_load_2addr_b64 v[106:109], v6 offset0:51 offset1:52
	s_wait_dscnt 0x1
	v_pk_mul_f32 v[0:1], v[100:101], v[228:229] op_sel:[1,1] op_sel_hi:[0,1]
	s_delay_alu instid0(VALU_DEP_1) | instskip(SKIP_1) | instid1(VALU_DEP_1)
	v_pk_fma_f32 v[104:105], v[100:101], v[228:229], v[0:1] op_sel_hi:[1,0,1]
	v_pk_fma_f32 v[102:103], v[100:101], v[228:229], v[0:1] op_sel_hi:[1,0,1] neg_lo:[0,0,1] neg_hi:[0,0,1]
	v_dual_mov_b32 v229, v105 :: v_dual_mov_b32 v228, v102
	s_wait_dscnt 0x0
	s_delay_alu instid0(VALU_DEP_3) | instskip(NEXT) | instid1(VALU_DEP_1)
	v_pk_mul_f32 v[0:1], v[106:107], v[104:105] op_sel:[0,1]
	v_pk_fma_f32 v[2:3], v[106:107], v[102:103], v[0:1] op_sel:[0,0,1] op_sel_hi:[1,1,0] neg_lo:[0,0,1] neg_hi:[0,0,1]
	v_pk_fma_f32 v[0:1], v[106:107], v[102:103], v[0:1] op_sel:[0,0,1] op_sel_hi:[1,0,0]
	s_delay_alu instid0(VALU_DEP_1) | instskip(SKIP_1) | instid1(VALU_DEP_2)
	v_mov_b32_e32 v3, v1
	v_pk_mul_f32 v[0:1], v[108:109], v[104:105] op_sel:[0,1]
	v_pk_add_f32 v[230:231], v[230:231], v[2:3] neg_lo:[0,1] neg_hi:[0,1]
	s_delay_alu instid0(VALU_DEP_2) | instskip(SKIP_3) | instid1(VALU_DEP_1)
	v_pk_fma_f32 v[2:3], v[108:109], v[102:103], v[0:1] op_sel:[0,0,1] op_sel_hi:[1,1,0] neg_lo:[0,0,1] neg_hi:[0,0,1]
	v_pk_fma_f32 v[0:1], v[108:109], v[102:103], v[0:1] op_sel:[0,0,1] op_sel_hi:[1,0,0]
	ds_load_2addr_b64 v[106:109], v6 offset0:53 offset1:54
	v_mov_b32_e32 v3, v1
	v_pk_add_f32 v[232:233], v[232:233], v[2:3] neg_lo:[0,1] neg_hi:[0,1]
	s_wait_dscnt 0x0
	v_pk_mul_f32 v[0:1], v[106:107], v[104:105] op_sel:[0,1]
	s_delay_alu instid0(VALU_DEP_1) | instskip(SKIP_2) | instid1(VALU_DEP_2)
	v_pk_fma_f32 v[2:3], v[106:107], v[102:103], v[0:1] op_sel:[0,0,1] op_sel_hi:[1,1,0] neg_lo:[0,0,1] neg_hi:[0,0,1]
	v_pk_fma_f32 v[0:1], v[106:107], v[102:103], v[0:1] op_sel:[0,0,1] op_sel_hi:[1,0,0]
	v_dual_mov_b32 v0, v109 :: v_dual_mul_f32 v106, v109, v102
	v_dual_mov_b32 v3, v1 :: v_dual_mov_b32 v1, v108
	s_delay_alu instid0(VALU_DEP_1) | instskip(SKIP_1) | instid1(VALU_DEP_3)
	v_pk_add_f32 v[234:235], v[234:235], v[2:3] neg_lo:[0,1] neg_hi:[0,1]
	v_mul_f32_e32 v2, v109, v105
	v_pk_fma_f32 v[0:1], v[0:1], v[228:229], v[106:107] op_sel_hi:[1,1,0]
	s_delay_alu instid0(VALU_DEP_2) | instskip(SKIP_2) | instid1(VALU_DEP_1)
	v_pk_fma_f32 v[2:3], v[108:109], v[228:229], v[2:3] op_sel_hi:[1,1,0] neg_lo:[0,0,1] neg_hi:[0,0,1]
	ds_load_2addr_b64 v[106:109], v6 offset0:55 offset1:56
	v_mov_b32_e32 v3, v1
	v_pk_add_f32 v[236:237], v[236:237], v[2:3] neg_lo:[0,1] neg_hi:[0,1]
	s_wait_dscnt 0x0
	v_pk_mul_f32 v[0:1], v[106:107], v[104:105] op_sel:[0,1]
	s_delay_alu instid0(VALU_DEP_1) | instskip(SKIP_1) | instid1(VALU_DEP_1)
	v_pk_fma_f32 v[2:3], v[106:107], v[102:103], v[0:1] op_sel:[0,0,1] op_sel_hi:[1,1,0] neg_lo:[0,0,1] neg_hi:[0,0,1]
	v_pk_fma_f32 v[0:1], v[106:107], v[102:103], v[0:1] op_sel:[0,0,1] op_sel_hi:[1,0,0]
	v_mov_b32_e32 v3, v1
	v_pk_mul_f32 v[0:1], v[108:109], v[104:105] op_sel:[0,1]
	s_delay_alu instid0(VALU_DEP_2) | instskip(NEXT) | instid1(VALU_DEP_2)
	v_pk_add_f32 v[238:239], v[238:239], v[2:3] neg_lo:[0,1] neg_hi:[0,1]
	v_pk_fma_f32 v[2:3], v[108:109], v[102:103], v[0:1] op_sel:[0,0,1] op_sel_hi:[1,1,0] neg_lo:[0,0,1] neg_hi:[0,0,1]
	v_pk_fma_f32 v[0:1], v[108:109], v[102:103], v[0:1] op_sel:[0,0,1] op_sel_hi:[1,0,0]
	ds_load_2addr_b64 v[106:109], v6 offset0:57 offset1:58
	v_mov_b32_e32 v3, v1
	s_delay_alu instid0(VALU_DEP_1) | instskip(SKIP_2) | instid1(VALU_DEP_1)
	v_pk_add_f32 v[248:249], v[248:249], v[2:3] neg_lo:[0,1] neg_hi:[0,1]
	s_wait_dscnt 0x0
	v_pk_mul_f32 v[0:1], v[106:107], v[104:105] op_sel:[0,1]
	v_pk_fma_f32 v[2:3], v[106:107], v[102:103], v[0:1] op_sel:[0,0,1] op_sel_hi:[1,1,0] neg_lo:[0,0,1] neg_hi:[0,0,1]
	v_pk_fma_f32 v[0:1], v[106:107], v[102:103], v[0:1] op_sel:[0,0,1] op_sel_hi:[1,0,0]
	s_delay_alu instid0(VALU_DEP_1) | instskip(SKIP_1) | instid1(VALU_DEP_2)
	v_mov_b32_e32 v3, v1
	v_pk_mul_f32 v[0:1], v[108:109], v[104:105] op_sel:[0,1]
	v_pk_add_f32 v[242:243], v[242:243], v[2:3] neg_lo:[0,1] neg_hi:[0,1]
	s_delay_alu instid0(VALU_DEP_2) | instskip(SKIP_3) | instid1(VALU_DEP_1)
	v_pk_fma_f32 v[2:3], v[108:109], v[102:103], v[0:1] op_sel:[0,0,1] op_sel_hi:[1,1,0] neg_lo:[0,0,1] neg_hi:[0,0,1]
	v_pk_fma_f32 v[0:1], v[108:109], v[102:103], v[0:1] op_sel:[0,0,1] op_sel_hi:[1,0,0]
	ds_load_2addr_b64 v[106:109], v6 offset0:59 offset1:60
	v_mov_b32_e32 v3, v1
	v_pk_add_f32 v[246:247], v[246:247], v[2:3] neg_lo:[0,1] neg_hi:[0,1]
	s_wait_dscnt 0x0
	v_dual_mul_f32 v2, v107, v102 :: v_dual_mul_f32 v0, v107, v105
	s_delay_alu instid0(VALU_DEP_1) | instskip(NEXT) | instid1(VALU_DEP_2)
	v_pk_fma_f32 v[2:3], v[106:107], v[228:229], v[2:3] op_sel:[1,0,0] op_sel_hi:[0,1,0]
	v_pk_fma_f32 v[0:1], v[106:107], v[228:229], v[0:1] op_sel_hi:[1,1,0] neg_lo:[0,0,1] neg_hi:[0,0,1]
	s_delay_alu instid0(VALU_DEP_2) | instskip(NEXT) | instid1(VALU_DEP_1)
	v_mov_b32_e32 v1, v3
	v_pk_add_f32 v[240:241], v[240:241], v[0:1] neg_lo:[0,1] neg_hi:[0,1]
	v_pk_mul_f32 v[0:1], v[108:109], v[104:105] op_sel:[0,1]
	s_delay_alu instid0(VALU_DEP_1) | instskip(SKIP_3) | instid1(VALU_DEP_1)
	v_pk_fma_f32 v[2:3], v[108:109], v[102:103], v[0:1] op_sel:[0,0,1] op_sel_hi:[1,1,0] neg_lo:[0,0,1] neg_hi:[0,0,1]
	v_pk_fma_f32 v[0:1], v[108:109], v[102:103], v[0:1] op_sel:[0,0,1] op_sel_hi:[1,0,0]
	ds_load_2addr_b64 v[106:109], v6 offset0:61 offset1:62
	v_mov_b32_e32 v3, v1
	v_pk_add_f32 v[244:245], v[244:245], v[2:3] neg_lo:[0,1] neg_hi:[0,1]
	s_wait_dscnt 0x0
	v_pk_mul_f32 v[0:1], v[106:107], v[104:105] op_sel:[0,1]
	s_delay_alu instid0(VALU_DEP_1) | instskip(SKIP_2) | instid1(VALU_DEP_2)
	v_pk_fma_f32 v[2:3], v[106:107], v[102:103], v[0:1] op_sel:[0,0,1] op_sel_hi:[1,1,0] neg_lo:[0,0,1] neg_hi:[0,0,1]
	v_pk_fma_f32 v[0:1], v[106:107], v[102:103], v[0:1] op_sel:[0,0,1] op_sel_hi:[1,0,0]
	v_dual_mov_b32 v0, v109 :: v_dual_mul_f32 v102, v109, v102
	v_dual_mov_b32 v3, v1 :: v_dual_mov_b32 v1, v108
	s_delay_alu instid0(VALU_DEP_1) | instskip(SKIP_1) | instid1(VALU_DEP_3)
	v_pk_add_f32 v[250:251], v[250:251], v[2:3] neg_lo:[0,1] neg_hi:[0,1]
	v_mul_f32_e32 v2, v109, v105
	v_pk_fma_f32 v[0:1], v[0:1], v[228:229], v[102:103] op_sel_hi:[1,1,0]
	s_delay_alu instid0(VALU_DEP_2) | instskip(NEXT) | instid1(VALU_DEP_2)
	v_pk_fma_f32 v[2:3], v[108:109], v[228:229], v[2:3] op_sel_hi:[1,1,0] neg_lo:[0,0,1] neg_hi:[0,0,1]
	v_mov_b32_e32 v3, v1
	s_delay_alu instid0(VALU_DEP_1)
	v_pk_add_f32 v[252:253], v[252:253], v[2:3] neg_lo:[0,1] neg_hi:[0,1]
.LBB125_460:
	s_or_b32 exec_lo, exec_lo, s1
	s_delay_alu instid0(SALU_CYCLE_1)
	s_mov_b32 s2, exec_lo
	s_wait_dscnt 0x0
	s_barrier_signal -1
	s_barrier_wait -1
	v_cmpx_eq_u32_e32 51, v254
	s_cbranch_execz .LBB125_467
; %bb.461:
	v_dual_mov_b32 v0, v232 :: v_dual_mov_b32 v1, v233
	v_dual_mov_b32 v2, v234 :: v_dual_mov_b32 v3, v235
	ds_store_b64 v255, v[230:231]
	ds_store_2addr_b64 v6, v[0:1], v[2:3] offset0:52 offset1:53
	v_dual_mov_b32 v0, v236 :: v_dual_mov_b32 v1, v237
	v_dual_mov_b32 v2, v238 :: v_dual_mov_b32 v3, v239
	ds_store_2addr_b64 v6, v[0:1], v[2:3] offset0:54 offset1:55
	v_dual_mov_b32 v0, v248 :: v_dual_mov_b32 v1, v249
	v_dual_mov_b32 v2, v242 :: v_dual_mov_b32 v3, v243
	;; [unrolled: 3-line block ×4, first 2 shown]
	ds_store_2addr_b64 v6, v[0:1], v[2:3] offset0:60 offset1:61
	ds_store_b64 v6, v[252:253] offset:496
	ds_load_b64 v[102:103], v255
	s_wait_dscnt 0x0
	v_cmp_neq_f32_e32 vcc_lo, 0, v102
	v_cmp_neq_f32_e64 s1, 0, v103
	s_or_b32 s1, vcc_lo, s1
	s_delay_alu instid0(SALU_CYCLE_1)
	s_and_b32 exec_lo, exec_lo, s1
	s_cbranch_execz .LBB125_467
; %bb.462:
	v_cmp_ngt_f32_e64 s1, |v102|, |v103|
                                        ; implicit-def: $vgpr104_vgpr105
	s_and_saveexec_b32 s4, s1
	s_delay_alu instid0(SALU_CYCLE_1)
	s_xor_b32 s1, exec_lo, s4
	s_cbranch_execz .LBB125_464
; %bb.463:
	v_div_scale_f32 v0, null, v103, v103, v102
	v_div_scale_f32 v3, vcc_lo, v102, v103, v102
	s_delay_alu instid0(VALU_DEP_2) | instskip(SKIP_1) | instid1(TRANS32_DEP_1)
	v_rcp_f32_e32 v1, v0
	v_nop
	v_fma_f32 v2, -v0, v1, 1.0
	s_delay_alu instid0(VALU_DEP_1) | instskip(NEXT) | instid1(VALU_DEP_1)
	v_fmac_f32_e32 v1, v2, v1
	v_mul_f32_e32 v2, v3, v1
	s_delay_alu instid0(VALU_DEP_1) | instskip(NEXT) | instid1(VALU_DEP_1)
	v_fma_f32 v4, -v0, v2, v3
	v_fmac_f32_e32 v2, v4, v1
	s_delay_alu instid0(VALU_DEP_1) | instskip(NEXT) | instid1(VALU_DEP_1)
	v_fma_f32 v0, -v0, v2, v3
	v_div_fmas_f32 v0, v0, v1, v2
	s_delay_alu instid0(VALU_DEP_1) | instskip(NEXT) | instid1(VALU_DEP_1)
	v_div_fixup_f32 v0, v0, v103, v102
	v_fmac_f32_e32 v103, v102, v0
	s_delay_alu instid0(VALU_DEP_1) | instskip(SKIP_1) | instid1(VALU_DEP_2)
	v_div_scale_f32 v1, null, v103, v103, 1.0
	v_div_scale_f32 v4, vcc_lo, 1.0, v103, 1.0
	v_rcp_f32_e32 v2, v1
	v_nop
	s_delay_alu instid0(TRANS32_DEP_1) | instskip(NEXT) | instid1(VALU_DEP_1)
	v_fma_f32 v3, -v1, v2, 1.0
	v_fmac_f32_e32 v2, v3, v2
	s_delay_alu instid0(VALU_DEP_1) | instskip(NEXT) | instid1(VALU_DEP_1)
	v_mul_f32_e32 v3, v4, v2
	v_fma_f32 v5, -v1, v3, v4
	s_delay_alu instid0(VALU_DEP_1) | instskip(NEXT) | instid1(VALU_DEP_1)
	v_fmac_f32_e32 v3, v5, v2
	v_fma_f32 v1, -v1, v3, v4
	s_delay_alu instid0(VALU_DEP_1) | instskip(NEXT) | instid1(VALU_DEP_1)
	v_div_fmas_f32 v1, v1, v2, v3
	v_div_fixup_f32 v1, v1, v103, 1.0
                                        ; implicit-def: $vgpr102_vgpr103
	s_delay_alu instid0(VALU_DEP_1)
	v_mul_f32_e32 v104, v0, v1
	v_xor_b32_e32 v105, 0x80000000, v1
.LBB125_464:
	s_and_not1_saveexec_b32 s1, s1
	s_cbranch_execz .LBB125_466
; %bb.465:
	v_div_scale_f32 v0, null, v102, v102, v103
	v_div_scale_f32 v3, vcc_lo, v103, v102, v103
	s_delay_alu instid0(VALU_DEP_2) | instskip(SKIP_1) | instid1(TRANS32_DEP_1)
	v_rcp_f32_e32 v1, v0
	v_nop
	v_fma_f32 v2, -v0, v1, 1.0
	s_delay_alu instid0(VALU_DEP_1) | instskip(NEXT) | instid1(VALU_DEP_1)
	v_fmac_f32_e32 v1, v2, v1
	v_mul_f32_e32 v2, v3, v1
	s_delay_alu instid0(VALU_DEP_1) | instskip(NEXT) | instid1(VALU_DEP_1)
	v_fma_f32 v4, -v0, v2, v3
	v_fmac_f32_e32 v2, v4, v1
	s_delay_alu instid0(VALU_DEP_1) | instskip(NEXT) | instid1(VALU_DEP_1)
	v_fma_f32 v0, -v0, v2, v3
	v_div_fmas_f32 v0, v0, v1, v2
	s_delay_alu instid0(VALU_DEP_1) | instskip(NEXT) | instid1(VALU_DEP_1)
	v_div_fixup_f32 v0, v0, v102, v103
	v_fmac_f32_e32 v102, v103, v0
	s_delay_alu instid0(VALU_DEP_1) | instskip(NEXT) | instid1(VALU_DEP_1)
	v_div_scale_f32 v1, null, v102, v102, 1.0
	v_rcp_f32_e32 v2, v1
	v_nop
	s_delay_alu instid0(TRANS32_DEP_1) | instskip(NEXT) | instid1(VALU_DEP_1)
	v_fma_f32 v3, -v1, v2, 1.0
	v_fmac_f32_e32 v2, v3, v2
	v_div_scale_f32 v3, vcc_lo, 1.0, v102, 1.0
	s_delay_alu instid0(VALU_DEP_1) | instskip(NEXT) | instid1(VALU_DEP_1)
	v_mul_f32_e32 v4, v3, v2
	v_fma_f32 v5, -v1, v4, v3
	s_delay_alu instid0(VALU_DEP_1) | instskip(NEXT) | instid1(VALU_DEP_1)
	v_fmac_f32_e32 v4, v5, v2
	v_fma_f32 v1, -v1, v4, v3
	s_delay_alu instid0(VALU_DEP_1) | instskip(NEXT) | instid1(VALU_DEP_1)
	v_div_fmas_f32 v1, v1, v2, v4
	v_div_fixup_f32 v104, v1, v102, 1.0
	s_delay_alu instid0(VALU_DEP_1)
	v_mul_f32_e64 v105, v0, -v104
.LBB125_466:
	s_or_b32 exec_lo, exec_lo, s1
	ds_store_b64 v255, v[104:105]
.LBB125_467:
	s_or_b32 exec_lo, exec_lo, s2
	s_wait_dscnt 0x0
	s_barrier_signal -1
	s_barrier_wait -1
	ds_load_b64 v[102:103], v255
	s_mov_b32 s1, exec_lo
	v_cmpx_lt_u32_e32 51, v254
	s_cbranch_execz .LBB125_469
; %bb.468:
	ds_load_2addr_b64 v[108:111], v6 offset0:52 offset1:53
	s_wait_dscnt 0x1
	v_pk_mul_f32 v[0:1], v[102:103], v[230:231] op_sel:[1,1] op_sel_hi:[0,1]
	s_delay_alu instid0(VALU_DEP_1) | instskip(SKIP_1) | instid1(VALU_DEP_1)
	v_pk_fma_f32 v[106:107], v[102:103], v[230:231], v[0:1] op_sel_hi:[1,0,1]
	v_pk_fma_f32 v[104:105], v[102:103], v[230:231], v[0:1] op_sel_hi:[1,0,1] neg_lo:[0,0,1] neg_hi:[0,0,1]
	v_dual_mov_b32 v231, v107 :: v_dual_mov_b32 v230, v104
	s_wait_dscnt 0x0
	s_delay_alu instid0(VALU_DEP_3) | instskip(NEXT) | instid1(VALU_DEP_1)
	v_pk_mul_f32 v[0:1], v[108:109], v[106:107] op_sel:[0,1]
	v_pk_fma_f32 v[2:3], v[108:109], v[104:105], v[0:1] op_sel:[0,0,1] op_sel_hi:[1,1,0] neg_lo:[0,0,1] neg_hi:[0,0,1]
	v_pk_fma_f32 v[0:1], v[108:109], v[104:105], v[0:1] op_sel:[0,0,1] op_sel_hi:[1,0,0]
	s_delay_alu instid0(VALU_DEP_1) | instskip(SKIP_1) | instid1(VALU_DEP_2)
	v_mov_b32_e32 v3, v1
	v_pk_mul_f32 v[0:1], v[110:111], v[106:107] op_sel:[0,1]
	v_pk_add_f32 v[232:233], v[232:233], v[2:3] neg_lo:[0,1] neg_hi:[0,1]
	s_delay_alu instid0(VALU_DEP_2) | instskip(SKIP_3) | instid1(VALU_DEP_1)
	v_pk_fma_f32 v[2:3], v[110:111], v[104:105], v[0:1] op_sel:[0,0,1] op_sel_hi:[1,1,0] neg_lo:[0,0,1] neg_hi:[0,0,1]
	v_pk_fma_f32 v[0:1], v[110:111], v[104:105], v[0:1] op_sel:[0,0,1] op_sel_hi:[1,0,0]
	ds_load_2addr_b64 v[108:111], v6 offset0:54 offset1:55
	v_mov_b32_e32 v3, v1
	v_pk_add_f32 v[234:235], v[234:235], v[2:3] neg_lo:[0,1] neg_hi:[0,1]
	s_wait_dscnt 0x0
	v_pk_mul_f32 v[0:1], v[108:109], v[106:107] op_sel:[0,1]
	s_delay_alu instid0(VALU_DEP_1) | instskip(SKIP_2) | instid1(VALU_DEP_2)
	v_pk_fma_f32 v[2:3], v[108:109], v[104:105], v[0:1] op_sel:[0,0,1] op_sel_hi:[1,1,0] neg_lo:[0,0,1] neg_hi:[0,0,1]
	v_pk_fma_f32 v[0:1], v[108:109], v[104:105], v[0:1] op_sel:[0,0,1] op_sel_hi:[1,0,0]
	v_dual_mov_b32 v0, v111 :: v_dual_mul_f32 v108, v111, v104
	v_dual_mov_b32 v3, v1 :: v_dual_mov_b32 v1, v110
	s_delay_alu instid0(VALU_DEP_1) | instskip(SKIP_1) | instid1(VALU_DEP_3)
	v_pk_add_f32 v[236:237], v[236:237], v[2:3] neg_lo:[0,1] neg_hi:[0,1]
	v_mul_f32_e32 v2, v111, v107
	v_pk_fma_f32 v[0:1], v[0:1], v[230:231], v[108:109] op_sel_hi:[1,1,0]
	s_delay_alu instid0(VALU_DEP_2) | instskip(SKIP_2) | instid1(VALU_DEP_1)
	v_pk_fma_f32 v[2:3], v[110:111], v[230:231], v[2:3] op_sel_hi:[1,1,0] neg_lo:[0,0,1] neg_hi:[0,0,1]
	ds_load_2addr_b64 v[108:111], v6 offset0:56 offset1:57
	v_mov_b32_e32 v3, v1
	v_pk_add_f32 v[238:239], v[238:239], v[2:3] neg_lo:[0,1] neg_hi:[0,1]
	s_wait_dscnt 0x0
	v_pk_mul_f32 v[0:1], v[108:109], v[106:107] op_sel:[0,1]
	s_delay_alu instid0(VALU_DEP_1) | instskip(SKIP_1) | instid1(VALU_DEP_1)
	v_pk_fma_f32 v[2:3], v[108:109], v[104:105], v[0:1] op_sel:[0,0,1] op_sel_hi:[1,1,0] neg_lo:[0,0,1] neg_hi:[0,0,1]
	v_pk_fma_f32 v[0:1], v[108:109], v[104:105], v[0:1] op_sel:[0,0,1] op_sel_hi:[1,0,0]
	v_mov_b32_e32 v3, v1
	v_pk_mul_f32 v[0:1], v[110:111], v[106:107] op_sel:[0,1]
	s_delay_alu instid0(VALU_DEP_2) | instskip(NEXT) | instid1(VALU_DEP_2)
	v_pk_add_f32 v[248:249], v[248:249], v[2:3] neg_lo:[0,1] neg_hi:[0,1]
	v_pk_fma_f32 v[2:3], v[110:111], v[104:105], v[0:1] op_sel:[0,0,1] op_sel_hi:[1,1,0] neg_lo:[0,0,1] neg_hi:[0,0,1]
	v_pk_fma_f32 v[0:1], v[110:111], v[104:105], v[0:1] op_sel:[0,0,1] op_sel_hi:[1,0,0]
	ds_load_2addr_b64 v[108:111], v6 offset0:58 offset1:59
	v_mov_b32_e32 v3, v1
	s_delay_alu instid0(VALU_DEP_1) | instskip(SKIP_2) | instid1(VALU_DEP_1)
	v_pk_add_f32 v[242:243], v[242:243], v[2:3] neg_lo:[0,1] neg_hi:[0,1]
	s_wait_dscnt 0x0
	v_pk_mul_f32 v[0:1], v[108:109], v[106:107] op_sel:[0,1]
	v_pk_fma_f32 v[2:3], v[108:109], v[104:105], v[0:1] op_sel:[0,0,1] op_sel_hi:[1,1,0] neg_lo:[0,0,1] neg_hi:[0,0,1]
	v_pk_fma_f32 v[0:1], v[108:109], v[104:105], v[0:1] op_sel:[0,0,1] op_sel_hi:[1,0,0]
	s_delay_alu instid0(VALU_DEP_1) | instskip(SKIP_1) | instid1(VALU_DEP_2)
	v_mov_b32_e32 v3, v1
	v_pk_mul_f32 v[0:1], v[110:111], v[106:107] op_sel:[0,1]
	v_pk_add_f32 v[246:247], v[246:247], v[2:3] neg_lo:[0,1] neg_hi:[0,1]
	s_delay_alu instid0(VALU_DEP_2) | instskip(SKIP_3) | instid1(VALU_DEP_1)
	v_pk_fma_f32 v[2:3], v[110:111], v[104:105], v[0:1] op_sel:[0,0,1] op_sel_hi:[1,1,0] neg_lo:[0,0,1] neg_hi:[0,0,1]
	v_pk_fma_f32 v[0:1], v[110:111], v[104:105], v[0:1] op_sel:[0,0,1] op_sel_hi:[1,0,0]
	ds_load_2addr_b64 v[108:111], v6 offset0:60 offset1:61
	v_mov_b32_e32 v3, v1
	v_pk_add_f32 v[240:241], v[240:241], v[2:3] neg_lo:[0,1] neg_hi:[0,1]
	s_wait_dscnt 0x0
	v_dual_mul_f32 v0, v109, v107 :: v_dual_mul_f32 v2, v109, v104
	s_delay_alu instid0(VALU_DEP_1) | instskip(NEXT) | instid1(VALU_DEP_2)
	v_pk_fma_f32 v[0:1], v[108:109], v[230:231], v[0:1] op_sel_hi:[1,1,0] neg_lo:[0,0,1] neg_hi:[0,0,1]
	v_pk_fma_f32 v[2:3], v[108:109], v[230:231], v[2:3] op_sel:[1,0,0] op_sel_hi:[0,1,0]
	s_delay_alu instid0(VALU_DEP_1) | instskip(NEXT) | instid1(VALU_DEP_1)
	v_mov_b32_e32 v1, v3
	v_pk_add_f32 v[244:245], v[244:245], v[0:1] neg_lo:[0,1] neg_hi:[0,1]
	v_pk_mul_f32 v[0:1], v[110:111], v[106:107] op_sel:[0,1]
	s_delay_alu instid0(VALU_DEP_1) | instskip(SKIP_1) | instid1(VALU_DEP_1)
	v_pk_fma_f32 v[2:3], v[110:111], v[104:105], v[0:1] op_sel:[0,0,1] op_sel_hi:[1,1,0] neg_lo:[0,0,1] neg_hi:[0,0,1]
	v_pk_fma_f32 v[0:1], v[110:111], v[104:105], v[0:1] op_sel:[0,0,1] op_sel_hi:[1,0,0]
	v_mov_b32_e32 v3, v1
	ds_load_b64 v[0:1], v6 offset:496
	v_pk_add_f32 v[250:251], v[250:251], v[2:3] neg_lo:[0,1] neg_hi:[0,1]
	s_wait_dscnt 0x0
	v_pk_mul_f32 v[2:3], v[0:1], v[106:107] op_sel:[0,1]
	s_delay_alu instid0(VALU_DEP_1) | instskip(SKIP_1) | instid1(VALU_DEP_1)
	v_pk_fma_f32 v[106:107], v[0:1], v[104:105], v[2:3] op_sel:[0,0,1] op_sel_hi:[1,1,0] neg_lo:[0,0,1] neg_hi:[0,0,1]
	v_pk_fma_f32 v[0:1], v[0:1], v[104:105], v[2:3] op_sel:[0,0,1] op_sel_hi:[1,0,0]
	v_mov_b32_e32 v107, v1
	s_delay_alu instid0(VALU_DEP_1)
	v_pk_add_f32 v[252:253], v[252:253], v[106:107] neg_lo:[0,1] neg_hi:[0,1]
.LBB125_469:
	s_or_b32 exec_lo, exec_lo, s1
	s_delay_alu instid0(SALU_CYCLE_1)
	s_mov_b32 s2, exec_lo
	s_wait_dscnt 0x0
	s_barrier_signal -1
	s_barrier_wait -1
	v_cmpx_eq_u32_e32 52, v254
	s_cbranch_execz .LBB125_476
; %bb.470:
	ds_store_b64 v255, v[232:233]
	ds_store_2addr_b64 v6, v[234:235], v[236:237] offset0:53 offset1:54
	ds_store_2addr_b64 v6, v[238:239], v[248:249] offset0:55 offset1:56
	;; [unrolled: 1-line block ×5, first 2 shown]
	ds_load_b64 v[104:105], v255
	s_wait_dscnt 0x0
	v_cmp_neq_f32_e32 vcc_lo, 0, v104
	v_cmp_neq_f32_e64 s1, 0, v105
	s_or_b32 s1, vcc_lo, s1
	s_delay_alu instid0(SALU_CYCLE_1)
	s_and_b32 exec_lo, exec_lo, s1
	s_cbranch_execz .LBB125_476
; %bb.471:
	v_cmp_ngt_f32_e64 s1, |v104|, |v105|
                                        ; implicit-def: $vgpr106_vgpr107
	s_and_saveexec_b32 s4, s1
	s_delay_alu instid0(SALU_CYCLE_1)
	s_xor_b32 s1, exec_lo, s4
	s_cbranch_execz .LBB125_473
; %bb.472:
	v_div_scale_f32 v0, null, v105, v105, v104
	v_div_scale_f32 v3, vcc_lo, v104, v105, v104
	s_delay_alu instid0(VALU_DEP_2) | instskip(SKIP_1) | instid1(TRANS32_DEP_1)
	v_rcp_f32_e32 v1, v0
	v_nop
	v_fma_f32 v2, -v0, v1, 1.0
	s_delay_alu instid0(VALU_DEP_1) | instskip(NEXT) | instid1(VALU_DEP_1)
	v_fmac_f32_e32 v1, v2, v1
	v_mul_f32_e32 v2, v3, v1
	s_delay_alu instid0(VALU_DEP_1) | instskip(NEXT) | instid1(VALU_DEP_1)
	v_fma_f32 v4, -v0, v2, v3
	v_fmac_f32_e32 v2, v4, v1
	s_delay_alu instid0(VALU_DEP_1) | instskip(NEXT) | instid1(VALU_DEP_1)
	v_fma_f32 v0, -v0, v2, v3
	v_div_fmas_f32 v0, v0, v1, v2
	s_delay_alu instid0(VALU_DEP_1) | instskip(NEXT) | instid1(VALU_DEP_1)
	v_div_fixup_f32 v0, v0, v105, v104
	v_fmac_f32_e32 v105, v104, v0
	s_delay_alu instid0(VALU_DEP_1) | instskip(SKIP_1) | instid1(VALU_DEP_2)
	v_div_scale_f32 v1, null, v105, v105, 1.0
	v_div_scale_f32 v4, vcc_lo, 1.0, v105, 1.0
	v_rcp_f32_e32 v2, v1
	v_nop
	s_delay_alu instid0(TRANS32_DEP_1) | instskip(NEXT) | instid1(VALU_DEP_1)
	v_fma_f32 v3, -v1, v2, 1.0
	v_fmac_f32_e32 v2, v3, v2
	s_delay_alu instid0(VALU_DEP_1) | instskip(NEXT) | instid1(VALU_DEP_1)
	v_mul_f32_e32 v3, v4, v2
	v_fma_f32 v5, -v1, v3, v4
	s_delay_alu instid0(VALU_DEP_1) | instskip(NEXT) | instid1(VALU_DEP_1)
	v_fmac_f32_e32 v3, v5, v2
	v_fma_f32 v1, -v1, v3, v4
	s_delay_alu instid0(VALU_DEP_1) | instskip(NEXT) | instid1(VALU_DEP_1)
	v_div_fmas_f32 v1, v1, v2, v3
	v_div_fixup_f32 v1, v1, v105, 1.0
                                        ; implicit-def: $vgpr104_vgpr105
	s_delay_alu instid0(VALU_DEP_1)
	v_mul_f32_e32 v106, v0, v1
	v_xor_b32_e32 v107, 0x80000000, v1
.LBB125_473:
	s_and_not1_saveexec_b32 s1, s1
	s_cbranch_execz .LBB125_475
; %bb.474:
	v_div_scale_f32 v0, null, v104, v104, v105
	v_div_scale_f32 v3, vcc_lo, v105, v104, v105
	s_delay_alu instid0(VALU_DEP_2) | instskip(SKIP_1) | instid1(TRANS32_DEP_1)
	v_rcp_f32_e32 v1, v0
	v_nop
	v_fma_f32 v2, -v0, v1, 1.0
	s_delay_alu instid0(VALU_DEP_1) | instskip(NEXT) | instid1(VALU_DEP_1)
	v_fmac_f32_e32 v1, v2, v1
	v_mul_f32_e32 v2, v3, v1
	s_delay_alu instid0(VALU_DEP_1) | instskip(NEXT) | instid1(VALU_DEP_1)
	v_fma_f32 v4, -v0, v2, v3
	v_fmac_f32_e32 v2, v4, v1
	s_delay_alu instid0(VALU_DEP_1) | instskip(NEXT) | instid1(VALU_DEP_1)
	v_fma_f32 v0, -v0, v2, v3
	v_div_fmas_f32 v0, v0, v1, v2
	s_delay_alu instid0(VALU_DEP_1) | instskip(NEXT) | instid1(VALU_DEP_1)
	v_div_fixup_f32 v0, v0, v104, v105
	v_fmac_f32_e32 v104, v105, v0
	s_delay_alu instid0(VALU_DEP_1) | instskip(NEXT) | instid1(VALU_DEP_1)
	v_div_scale_f32 v1, null, v104, v104, 1.0
	v_rcp_f32_e32 v2, v1
	v_nop
	s_delay_alu instid0(TRANS32_DEP_1) | instskip(NEXT) | instid1(VALU_DEP_1)
	v_fma_f32 v3, -v1, v2, 1.0
	v_fmac_f32_e32 v2, v3, v2
	v_div_scale_f32 v3, vcc_lo, 1.0, v104, 1.0
	s_delay_alu instid0(VALU_DEP_1) | instskip(NEXT) | instid1(VALU_DEP_1)
	v_mul_f32_e32 v4, v3, v2
	v_fma_f32 v5, -v1, v4, v3
	s_delay_alu instid0(VALU_DEP_1) | instskip(NEXT) | instid1(VALU_DEP_1)
	v_fmac_f32_e32 v4, v5, v2
	v_fma_f32 v1, -v1, v4, v3
	s_delay_alu instid0(VALU_DEP_1) | instskip(NEXT) | instid1(VALU_DEP_1)
	v_div_fmas_f32 v1, v1, v2, v4
	v_div_fixup_f32 v106, v1, v104, 1.0
	s_delay_alu instid0(VALU_DEP_1)
	v_mul_f32_e64 v107, v0, -v106
.LBB125_475:
	s_or_b32 exec_lo, exec_lo, s1
	ds_store_b64 v255, v[106:107]
.LBB125_476:
	s_or_b32 exec_lo, exec_lo, s2
	s_wait_dscnt 0x0
	s_barrier_signal -1
	s_barrier_wait -1
	ds_load_b64 v[104:105], v255
	s_mov_b32 s1, exec_lo
	v_cmpx_lt_u32_e32 52, v254
	s_cbranch_execz .LBB125_478
; %bb.477:
	ds_load_2addr_b64 v[110:113], v6 offset0:53 offset1:54
	s_wait_dscnt 0x1
	v_pk_mul_f32 v[0:1], v[104:105], v[232:233] op_sel:[1,1] op_sel_hi:[0,1]
	s_delay_alu instid0(VALU_DEP_1) | instskip(SKIP_1) | instid1(VALU_DEP_1)
	v_pk_fma_f32 v[108:109], v[104:105], v[232:233], v[0:1] op_sel_hi:[1,0,1]
	v_pk_fma_f32 v[106:107], v[104:105], v[232:233], v[0:1] op_sel_hi:[1,0,1] neg_lo:[0,0,1] neg_hi:[0,0,1]
	v_dual_mov_b32 v233, v109 :: v_dual_mov_b32 v232, v106
	s_wait_dscnt 0x0
	s_delay_alu instid0(VALU_DEP_3) | instskip(NEXT) | instid1(VALU_DEP_1)
	v_pk_mul_f32 v[0:1], v[110:111], v[108:109] op_sel:[0,1]
	v_pk_fma_f32 v[2:3], v[110:111], v[106:107], v[0:1] op_sel:[0,0,1] op_sel_hi:[1,1,0] neg_lo:[0,0,1] neg_hi:[0,0,1]
	v_pk_fma_f32 v[0:1], v[110:111], v[106:107], v[0:1] op_sel:[0,0,1] op_sel_hi:[1,0,0]
	s_delay_alu instid0(VALU_DEP_1) | instskip(SKIP_1) | instid1(VALU_DEP_2)
	v_mov_b32_e32 v3, v1
	v_pk_mul_f32 v[0:1], v[112:113], v[108:109] op_sel:[0,1]
	v_pk_add_f32 v[234:235], v[234:235], v[2:3] neg_lo:[0,1] neg_hi:[0,1]
	s_delay_alu instid0(VALU_DEP_2) | instskip(SKIP_3) | instid1(VALU_DEP_1)
	v_pk_fma_f32 v[2:3], v[112:113], v[106:107], v[0:1] op_sel:[0,0,1] op_sel_hi:[1,1,0] neg_lo:[0,0,1] neg_hi:[0,0,1]
	v_pk_fma_f32 v[0:1], v[112:113], v[106:107], v[0:1] op_sel:[0,0,1] op_sel_hi:[1,0,0]
	ds_load_2addr_b64 v[110:113], v6 offset0:55 offset1:56
	v_mov_b32_e32 v3, v1
	v_pk_add_f32 v[236:237], v[236:237], v[2:3] neg_lo:[0,1] neg_hi:[0,1]
	s_wait_dscnt 0x0
	v_pk_mul_f32 v[0:1], v[110:111], v[108:109] op_sel:[0,1]
	s_delay_alu instid0(VALU_DEP_1) | instskip(SKIP_2) | instid1(VALU_DEP_2)
	v_pk_fma_f32 v[2:3], v[110:111], v[106:107], v[0:1] op_sel:[0,0,1] op_sel_hi:[1,1,0] neg_lo:[0,0,1] neg_hi:[0,0,1]
	v_pk_fma_f32 v[0:1], v[110:111], v[106:107], v[0:1] op_sel:[0,0,1] op_sel_hi:[1,0,0]
	v_dual_mov_b32 v0, v113 :: v_dual_mul_f32 v110, v113, v106
	v_dual_mov_b32 v3, v1 :: v_dual_mov_b32 v1, v112
	s_delay_alu instid0(VALU_DEP_1) | instskip(SKIP_1) | instid1(VALU_DEP_3)
	v_pk_add_f32 v[238:239], v[238:239], v[2:3] neg_lo:[0,1] neg_hi:[0,1]
	v_mul_f32_e32 v2, v113, v109
	v_pk_fma_f32 v[0:1], v[0:1], v[232:233], v[110:111] op_sel_hi:[1,1,0]
	s_delay_alu instid0(VALU_DEP_2) | instskip(SKIP_2) | instid1(VALU_DEP_1)
	v_pk_fma_f32 v[2:3], v[112:113], v[232:233], v[2:3] op_sel_hi:[1,1,0] neg_lo:[0,0,1] neg_hi:[0,0,1]
	ds_load_2addr_b64 v[110:113], v6 offset0:57 offset1:58
	v_mov_b32_e32 v3, v1
	v_pk_add_f32 v[248:249], v[248:249], v[2:3] neg_lo:[0,1] neg_hi:[0,1]
	s_wait_dscnt 0x0
	v_pk_mul_f32 v[0:1], v[110:111], v[108:109] op_sel:[0,1]
	s_delay_alu instid0(VALU_DEP_1) | instskip(SKIP_1) | instid1(VALU_DEP_1)
	v_pk_fma_f32 v[2:3], v[110:111], v[106:107], v[0:1] op_sel:[0,0,1] op_sel_hi:[1,1,0] neg_lo:[0,0,1] neg_hi:[0,0,1]
	v_pk_fma_f32 v[0:1], v[110:111], v[106:107], v[0:1] op_sel:[0,0,1] op_sel_hi:[1,0,0]
	v_mov_b32_e32 v3, v1
	v_pk_mul_f32 v[0:1], v[112:113], v[108:109] op_sel:[0,1]
	s_delay_alu instid0(VALU_DEP_2) | instskip(NEXT) | instid1(VALU_DEP_2)
	v_pk_add_f32 v[242:243], v[242:243], v[2:3] neg_lo:[0,1] neg_hi:[0,1]
	v_pk_fma_f32 v[2:3], v[112:113], v[106:107], v[0:1] op_sel:[0,0,1] op_sel_hi:[1,1,0] neg_lo:[0,0,1] neg_hi:[0,0,1]
	v_pk_fma_f32 v[0:1], v[112:113], v[106:107], v[0:1] op_sel:[0,0,1] op_sel_hi:[1,0,0]
	ds_load_2addr_b64 v[110:113], v6 offset0:59 offset1:60
	v_mov_b32_e32 v3, v1
	s_delay_alu instid0(VALU_DEP_1) | instskip(SKIP_2) | instid1(VALU_DEP_1)
	v_pk_add_f32 v[246:247], v[246:247], v[2:3] neg_lo:[0,1] neg_hi:[0,1]
	s_wait_dscnt 0x0
	v_pk_mul_f32 v[0:1], v[110:111], v[108:109] op_sel:[0,1]
	v_pk_fma_f32 v[2:3], v[110:111], v[106:107], v[0:1] op_sel:[0,0,1] op_sel_hi:[1,1,0] neg_lo:[0,0,1] neg_hi:[0,0,1]
	v_pk_fma_f32 v[0:1], v[110:111], v[106:107], v[0:1] op_sel:[0,0,1] op_sel_hi:[1,0,0]
	s_delay_alu instid0(VALU_DEP_1) | instskip(SKIP_1) | instid1(VALU_DEP_2)
	v_mov_b32_e32 v3, v1
	v_pk_mul_f32 v[0:1], v[112:113], v[108:109] op_sel:[0,1]
	v_pk_add_f32 v[240:241], v[240:241], v[2:3] neg_lo:[0,1] neg_hi:[0,1]
	s_delay_alu instid0(VALU_DEP_2) | instskip(SKIP_3) | instid1(VALU_DEP_1)
	v_pk_fma_f32 v[2:3], v[112:113], v[106:107], v[0:1] op_sel:[0,0,1] op_sel_hi:[1,1,0] neg_lo:[0,0,1] neg_hi:[0,0,1]
	v_pk_fma_f32 v[0:1], v[112:113], v[106:107], v[0:1] op_sel:[0,0,1] op_sel_hi:[1,0,0]
	ds_load_2addr_b64 v[110:113], v6 offset0:61 offset1:62
	v_mov_b32_e32 v3, v1
	v_pk_add_f32 v[244:245], v[244:245], v[2:3] neg_lo:[0,1] neg_hi:[0,1]
	s_wait_dscnt 0x0
	v_dual_mul_f32 v2, v111, v106 :: v_dual_mul_f32 v0, v111, v109
	s_delay_alu instid0(VALU_DEP_1) | instskip(NEXT) | instid1(VALU_DEP_2)
	v_pk_fma_f32 v[2:3], v[110:111], v[232:233], v[2:3] op_sel:[1,0,0] op_sel_hi:[0,1,0]
	v_pk_fma_f32 v[0:1], v[110:111], v[232:233], v[0:1] op_sel_hi:[1,1,0] neg_lo:[0,0,1] neg_hi:[0,0,1]
	s_delay_alu instid0(VALU_DEP_2) | instskip(NEXT) | instid1(VALU_DEP_1)
	v_mov_b32_e32 v1, v3
	v_pk_add_f32 v[250:251], v[250:251], v[0:1] neg_lo:[0,1] neg_hi:[0,1]
	v_pk_mul_f32 v[0:1], v[112:113], v[108:109] op_sel:[0,1]
	s_delay_alu instid0(VALU_DEP_1) | instskip(SKIP_1) | instid1(VALU_DEP_1)
	v_pk_fma_f32 v[2:3], v[112:113], v[106:107], v[0:1] op_sel:[0,0,1] op_sel_hi:[1,1,0] neg_lo:[0,0,1] neg_hi:[0,0,1]
	v_pk_fma_f32 v[0:1], v[112:113], v[106:107], v[0:1] op_sel:[0,0,1] op_sel_hi:[1,0,0]
	v_mov_b32_e32 v3, v1
	s_delay_alu instid0(VALU_DEP_1)
	v_pk_add_f32 v[252:253], v[252:253], v[2:3] neg_lo:[0,1] neg_hi:[0,1]
.LBB125_478:
	s_or_b32 exec_lo, exec_lo, s1
	s_delay_alu instid0(SALU_CYCLE_1)
	s_mov_b32 s2, exec_lo
	s_wait_dscnt 0x0
	s_barrier_signal -1
	s_barrier_wait -1
	v_cmpx_eq_u32_e32 53, v254
	s_cbranch_execz .LBB125_485
; %bb.479:
	v_dual_mov_b32 v0, v236 :: v_dual_mov_b32 v1, v237
	v_dual_mov_b32 v2, v238 :: v_dual_mov_b32 v3, v239
	ds_store_b64 v255, v[234:235]
	ds_store_2addr_b64 v6, v[0:1], v[2:3] offset0:54 offset1:55
	v_dual_mov_b32 v0, v248 :: v_dual_mov_b32 v1, v249
	v_dual_mov_b32 v2, v242 :: v_dual_mov_b32 v3, v243
	ds_store_2addr_b64 v6, v[0:1], v[2:3] offset0:56 offset1:57
	v_dual_mov_b32 v0, v246 :: v_dual_mov_b32 v1, v247
	v_dual_mov_b32 v2, v240 :: v_dual_mov_b32 v3, v241
	;; [unrolled: 3-line block ×3, first 2 shown]
	ds_store_2addr_b64 v6, v[0:1], v[2:3] offset0:60 offset1:61
	ds_store_b64 v6, v[252:253] offset:496
	ds_load_b64 v[106:107], v255
	s_wait_dscnt 0x0
	v_cmp_neq_f32_e32 vcc_lo, 0, v106
	v_cmp_neq_f32_e64 s1, 0, v107
	s_or_b32 s1, vcc_lo, s1
	s_delay_alu instid0(SALU_CYCLE_1)
	s_and_b32 exec_lo, exec_lo, s1
	s_cbranch_execz .LBB125_485
; %bb.480:
	v_cmp_ngt_f32_e64 s1, |v106|, |v107|
                                        ; implicit-def: $vgpr108_vgpr109
	s_and_saveexec_b32 s4, s1
	s_delay_alu instid0(SALU_CYCLE_1)
	s_xor_b32 s1, exec_lo, s4
	s_cbranch_execz .LBB125_482
; %bb.481:
	v_div_scale_f32 v0, null, v107, v107, v106
	v_div_scale_f32 v3, vcc_lo, v106, v107, v106
	s_delay_alu instid0(VALU_DEP_2) | instskip(SKIP_1) | instid1(TRANS32_DEP_1)
	v_rcp_f32_e32 v1, v0
	v_nop
	v_fma_f32 v2, -v0, v1, 1.0
	s_delay_alu instid0(VALU_DEP_1) | instskip(NEXT) | instid1(VALU_DEP_1)
	v_fmac_f32_e32 v1, v2, v1
	v_mul_f32_e32 v2, v3, v1
	s_delay_alu instid0(VALU_DEP_1) | instskip(NEXT) | instid1(VALU_DEP_1)
	v_fma_f32 v4, -v0, v2, v3
	v_fmac_f32_e32 v2, v4, v1
	s_delay_alu instid0(VALU_DEP_1) | instskip(NEXT) | instid1(VALU_DEP_1)
	v_fma_f32 v0, -v0, v2, v3
	v_div_fmas_f32 v0, v0, v1, v2
	s_delay_alu instid0(VALU_DEP_1) | instskip(NEXT) | instid1(VALU_DEP_1)
	v_div_fixup_f32 v0, v0, v107, v106
	v_fmac_f32_e32 v107, v106, v0
	s_delay_alu instid0(VALU_DEP_1) | instskip(SKIP_1) | instid1(VALU_DEP_2)
	v_div_scale_f32 v1, null, v107, v107, 1.0
	v_div_scale_f32 v4, vcc_lo, 1.0, v107, 1.0
	v_rcp_f32_e32 v2, v1
	v_nop
	s_delay_alu instid0(TRANS32_DEP_1) | instskip(NEXT) | instid1(VALU_DEP_1)
	v_fma_f32 v3, -v1, v2, 1.0
	v_fmac_f32_e32 v2, v3, v2
	s_delay_alu instid0(VALU_DEP_1) | instskip(NEXT) | instid1(VALU_DEP_1)
	v_mul_f32_e32 v3, v4, v2
	v_fma_f32 v5, -v1, v3, v4
	s_delay_alu instid0(VALU_DEP_1) | instskip(NEXT) | instid1(VALU_DEP_1)
	v_fmac_f32_e32 v3, v5, v2
	v_fma_f32 v1, -v1, v3, v4
	s_delay_alu instid0(VALU_DEP_1) | instskip(NEXT) | instid1(VALU_DEP_1)
	v_div_fmas_f32 v1, v1, v2, v3
	v_div_fixup_f32 v1, v1, v107, 1.0
                                        ; implicit-def: $vgpr106_vgpr107
	s_delay_alu instid0(VALU_DEP_1)
	v_mul_f32_e32 v108, v0, v1
	v_xor_b32_e32 v109, 0x80000000, v1
.LBB125_482:
	s_and_not1_saveexec_b32 s1, s1
	s_cbranch_execz .LBB125_484
; %bb.483:
	v_div_scale_f32 v0, null, v106, v106, v107
	v_div_scale_f32 v3, vcc_lo, v107, v106, v107
	s_delay_alu instid0(VALU_DEP_2) | instskip(SKIP_1) | instid1(TRANS32_DEP_1)
	v_rcp_f32_e32 v1, v0
	v_nop
	v_fma_f32 v2, -v0, v1, 1.0
	s_delay_alu instid0(VALU_DEP_1) | instskip(NEXT) | instid1(VALU_DEP_1)
	v_fmac_f32_e32 v1, v2, v1
	v_mul_f32_e32 v2, v3, v1
	s_delay_alu instid0(VALU_DEP_1) | instskip(NEXT) | instid1(VALU_DEP_1)
	v_fma_f32 v4, -v0, v2, v3
	v_fmac_f32_e32 v2, v4, v1
	s_delay_alu instid0(VALU_DEP_1) | instskip(NEXT) | instid1(VALU_DEP_1)
	v_fma_f32 v0, -v0, v2, v3
	v_div_fmas_f32 v0, v0, v1, v2
	s_delay_alu instid0(VALU_DEP_1) | instskip(NEXT) | instid1(VALU_DEP_1)
	v_div_fixup_f32 v0, v0, v106, v107
	v_fmac_f32_e32 v106, v107, v0
	s_delay_alu instid0(VALU_DEP_1) | instskip(NEXT) | instid1(VALU_DEP_1)
	v_div_scale_f32 v1, null, v106, v106, 1.0
	v_rcp_f32_e32 v2, v1
	v_nop
	s_delay_alu instid0(TRANS32_DEP_1) | instskip(NEXT) | instid1(VALU_DEP_1)
	v_fma_f32 v3, -v1, v2, 1.0
	v_fmac_f32_e32 v2, v3, v2
	v_div_scale_f32 v3, vcc_lo, 1.0, v106, 1.0
	s_delay_alu instid0(VALU_DEP_1) | instskip(NEXT) | instid1(VALU_DEP_1)
	v_mul_f32_e32 v4, v3, v2
	v_fma_f32 v5, -v1, v4, v3
	s_delay_alu instid0(VALU_DEP_1) | instskip(NEXT) | instid1(VALU_DEP_1)
	v_fmac_f32_e32 v4, v5, v2
	v_fma_f32 v1, -v1, v4, v3
	s_delay_alu instid0(VALU_DEP_1) | instskip(NEXT) | instid1(VALU_DEP_1)
	v_div_fmas_f32 v1, v1, v2, v4
	v_div_fixup_f32 v108, v1, v106, 1.0
	s_delay_alu instid0(VALU_DEP_1)
	v_mul_f32_e64 v109, v0, -v108
.LBB125_484:
	s_or_b32 exec_lo, exec_lo, s1
	ds_store_b64 v255, v[108:109]
.LBB125_485:
	s_or_b32 exec_lo, exec_lo, s2
	s_wait_dscnt 0x0
	s_barrier_signal -1
	s_barrier_wait -1
	ds_load_b64 v[106:107], v255
	s_mov_b32 s1, exec_lo
	v_cmpx_lt_u32_e32 53, v254
	s_cbranch_execz .LBB125_487
; %bb.486:
	ds_load_2addr_b64 v[112:115], v6 offset0:54 offset1:55
	s_wait_dscnt 0x1
	v_pk_mul_f32 v[0:1], v[106:107], v[234:235] op_sel:[1,1] op_sel_hi:[0,1]
	s_delay_alu instid0(VALU_DEP_1) | instskip(SKIP_1) | instid1(VALU_DEP_1)
	v_pk_fma_f32 v[110:111], v[106:107], v[234:235], v[0:1] op_sel_hi:[1,0,1]
	v_pk_fma_f32 v[108:109], v[106:107], v[234:235], v[0:1] op_sel_hi:[1,0,1] neg_lo:[0,0,1] neg_hi:[0,0,1]
	v_dual_mov_b32 v235, v111 :: v_dual_mov_b32 v234, v108
	s_wait_dscnt 0x0
	s_delay_alu instid0(VALU_DEP_3) | instskip(NEXT) | instid1(VALU_DEP_1)
	v_pk_mul_f32 v[0:1], v[112:113], v[110:111] op_sel:[0,1]
	v_pk_fma_f32 v[2:3], v[112:113], v[108:109], v[0:1] op_sel:[0,0,1] op_sel_hi:[1,1,0] neg_lo:[0,0,1] neg_hi:[0,0,1]
	v_pk_fma_f32 v[0:1], v[112:113], v[108:109], v[0:1] op_sel:[0,0,1] op_sel_hi:[1,0,0]
	s_delay_alu instid0(VALU_DEP_1) | instskip(SKIP_1) | instid1(VALU_DEP_2)
	v_mov_b32_e32 v3, v1
	v_pk_mul_f32 v[0:1], v[114:115], v[110:111] op_sel:[0,1]
	v_pk_add_f32 v[236:237], v[236:237], v[2:3] neg_lo:[0,1] neg_hi:[0,1]
	s_delay_alu instid0(VALU_DEP_2) | instskip(SKIP_3) | instid1(VALU_DEP_1)
	v_pk_fma_f32 v[2:3], v[114:115], v[108:109], v[0:1] op_sel:[0,0,1] op_sel_hi:[1,1,0] neg_lo:[0,0,1] neg_hi:[0,0,1]
	v_pk_fma_f32 v[0:1], v[114:115], v[108:109], v[0:1] op_sel:[0,0,1] op_sel_hi:[1,0,0]
	ds_load_2addr_b64 v[112:115], v6 offset0:56 offset1:57
	v_mov_b32_e32 v3, v1
	v_pk_add_f32 v[238:239], v[238:239], v[2:3] neg_lo:[0,1] neg_hi:[0,1]
	s_wait_dscnt 0x0
	v_pk_mul_f32 v[0:1], v[112:113], v[110:111] op_sel:[0,1]
	s_delay_alu instid0(VALU_DEP_1) | instskip(SKIP_2) | instid1(VALU_DEP_2)
	v_pk_fma_f32 v[2:3], v[112:113], v[108:109], v[0:1] op_sel:[0,0,1] op_sel_hi:[1,1,0] neg_lo:[0,0,1] neg_hi:[0,0,1]
	v_pk_fma_f32 v[0:1], v[112:113], v[108:109], v[0:1] op_sel:[0,0,1] op_sel_hi:[1,0,0]
	v_dual_mov_b32 v0, v115 :: v_dual_mul_f32 v112, v115, v108
	v_dual_mov_b32 v3, v1 :: v_dual_mov_b32 v1, v114
	s_delay_alu instid0(VALU_DEP_1) | instskip(SKIP_1) | instid1(VALU_DEP_3)
	v_pk_add_f32 v[248:249], v[248:249], v[2:3] neg_lo:[0,1] neg_hi:[0,1]
	v_mul_f32_e32 v2, v115, v111
	v_pk_fma_f32 v[0:1], v[0:1], v[234:235], v[112:113] op_sel_hi:[1,1,0]
	s_delay_alu instid0(VALU_DEP_2) | instskip(SKIP_2) | instid1(VALU_DEP_1)
	v_pk_fma_f32 v[2:3], v[114:115], v[234:235], v[2:3] op_sel_hi:[1,1,0] neg_lo:[0,0,1] neg_hi:[0,0,1]
	ds_load_2addr_b64 v[112:115], v6 offset0:58 offset1:59
	v_mov_b32_e32 v3, v1
	v_pk_add_f32 v[242:243], v[242:243], v[2:3] neg_lo:[0,1] neg_hi:[0,1]
	s_wait_dscnt 0x0
	v_pk_mul_f32 v[0:1], v[112:113], v[110:111] op_sel:[0,1]
	s_delay_alu instid0(VALU_DEP_1) | instskip(SKIP_1) | instid1(VALU_DEP_1)
	v_pk_fma_f32 v[2:3], v[112:113], v[108:109], v[0:1] op_sel:[0,0,1] op_sel_hi:[1,1,0] neg_lo:[0,0,1] neg_hi:[0,0,1]
	v_pk_fma_f32 v[0:1], v[112:113], v[108:109], v[0:1] op_sel:[0,0,1] op_sel_hi:[1,0,0]
	v_mov_b32_e32 v3, v1
	v_pk_mul_f32 v[0:1], v[114:115], v[110:111] op_sel:[0,1]
	s_delay_alu instid0(VALU_DEP_2) | instskip(NEXT) | instid1(VALU_DEP_2)
	v_pk_add_f32 v[246:247], v[246:247], v[2:3] neg_lo:[0,1] neg_hi:[0,1]
	v_pk_fma_f32 v[2:3], v[114:115], v[108:109], v[0:1] op_sel:[0,0,1] op_sel_hi:[1,1,0] neg_lo:[0,0,1] neg_hi:[0,0,1]
	v_pk_fma_f32 v[0:1], v[114:115], v[108:109], v[0:1] op_sel:[0,0,1] op_sel_hi:[1,0,0]
	ds_load_2addr_b64 v[112:115], v6 offset0:60 offset1:61
	v_mov_b32_e32 v3, v1
	s_delay_alu instid0(VALU_DEP_1) | instskip(SKIP_2) | instid1(VALU_DEP_1)
	v_pk_add_f32 v[240:241], v[240:241], v[2:3] neg_lo:[0,1] neg_hi:[0,1]
	s_wait_dscnt 0x0
	v_pk_mul_f32 v[0:1], v[112:113], v[110:111] op_sel:[0,1]
	v_pk_fma_f32 v[2:3], v[112:113], v[108:109], v[0:1] op_sel:[0,0,1] op_sel_hi:[1,1,0] neg_lo:[0,0,1] neg_hi:[0,0,1]
	v_pk_fma_f32 v[0:1], v[112:113], v[108:109], v[0:1] op_sel:[0,0,1] op_sel_hi:[1,0,0]
	s_delay_alu instid0(VALU_DEP_1) | instskip(SKIP_1) | instid1(VALU_DEP_2)
	v_mov_b32_e32 v3, v1
	v_pk_mul_f32 v[0:1], v[114:115], v[110:111] op_sel:[0,1]
	v_pk_add_f32 v[244:245], v[244:245], v[2:3] neg_lo:[0,1] neg_hi:[0,1]
	s_delay_alu instid0(VALU_DEP_2) | instskip(SKIP_1) | instid1(VALU_DEP_1)
	v_pk_fma_f32 v[2:3], v[114:115], v[108:109], v[0:1] op_sel:[0,0,1] op_sel_hi:[1,1,0] neg_lo:[0,0,1] neg_hi:[0,0,1]
	v_pk_fma_f32 v[0:1], v[114:115], v[108:109], v[0:1] op_sel:[0,0,1] op_sel_hi:[1,0,0]
	v_mov_b32_e32 v3, v1
	ds_load_b64 v[0:1], v6 offset:496
	v_pk_add_f32 v[250:251], v[250:251], v[2:3] neg_lo:[0,1] neg_hi:[0,1]
	s_wait_dscnt 0x0
	v_pk_mul_f32 v[2:3], v[0:1], v[110:111] op_sel:[0,1]
	s_delay_alu instid0(VALU_DEP_1) | instskip(SKIP_1) | instid1(VALU_DEP_1)
	v_pk_fma_f32 v[110:111], v[0:1], v[108:109], v[2:3] op_sel:[0,0,1] op_sel_hi:[1,1,0] neg_lo:[0,0,1] neg_hi:[0,0,1]
	v_pk_fma_f32 v[0:1], v[0:1], v[108:109], v[2:3] op_sel:[0,0,1] op_sel_hi:[1,0,0]
	v_mov_b32_e32 v111, v1
	s_delay_alu instid0(VALU_DEP_1)
	v_pk_add_f32 v[252:253], v[252:253], v[110:111] neg_lo:[0,1] neg_hi:[0,1]
.LBB125_487:
	s_or_b32 exec_lo, exec_lo, s1
	s_delay_alu instid0(SALU_CYCLE_1)
	s_mov_b32 s2, exec_lo
	s_wait_dscnt 0x0
	s_barrier_signal -1
	s_barrier_wait -1
	v_cmpx_eq_u32_e32 54, v254
	s_cbranch_execz .LBB125_494
; %bb.488:
	ds_store_b64 v255, v[236:237]
	ds_store_2addr_b64 v6, v[238:239], v[248:249] offset0:55 offset1:56
	ds_store_2addr_b64 v6, v[242:243], v[246:247] offset0:57 offset1:58
	;; [unrolled: 1-line block ×4, first 2 shown]
	ds_load_b64 v[108:109], v255
	s_wait_dscnt 0x0
	v_cmp_neq_f32_e32 vcc_lo, 0, v108
	v_cmp_neq_f32_e64 s1, 0, v109
	s_or_b32 s1, vcc_lo, s1
	s_delay_alu instid0(SALU_CYCLE_1)
	s_and_b32 exec_lo, exec_lo, s1
	s_cbranch_execz .LBB125_494
; %bb.489:
	v_cmp_ngt_f32_e64 s1, |v108|, |v109|
                                        ; implicit-def: $vgpr110_vgpr111
	s_and_saveexec_b32 s4, s1
	s_delay_alu instid0(SALU_CYCLE_1)
	s_xor_b32 s1, exec_lo, s4
	s_cbranch_execz .LBB125_491
; %bb.490:
	v_div_scale_f32 v0, null, v109, v109, v108
	v_div_scale_f32 v3, vcc_lo, v108, v109, v108
	s_delay_alu instid0(VALU_DEP_2) | instskip(SKIP_1) | instid1(TRANS32_DEP_1)
	v_rcp_f32_e32 v1, v0
	v_nop
	v_fma_f32 v2, -v0, v1, 1.0
	s_delay_alu instid0(VALU_DEP_1) | instskip(NEXT) | instid1(VALU_DEP_1)
	v_fmac_f32_e32 v1, v2, v1
	v_mul_f32_e32 v2, v3, v1
	s_delay_alu instid0(VALU_DEP_1) | instskip(NEXT) | instid1(VALU_DEP_1)
	v_fma_f32 v4, -v0, v2, v3
	v_fmac_f32_e32 v2, v4, v1
	s_delay_alu instid0(VALU_DEP_1) | instskip(NEXT) | instid1(VALU_DEP_1)
	v_fma_f32 v0, -v0, v2, v3
	v_div_fmas_f32 v0, v0, v1, v2
	s_delay_alu instid0(VALU_DEP_1) | instskip(NEXT) | instid1(VALU_DEP_1)
	v_div_fixup_f32 v0, v0, v109, v108
	v_fmac_f32_e32 v109, v108, v0
	s_delay_alu instid0(VALU_DEP_1) | instskip(SKIP_1) | instid1(VALU_DEP_2)
	v_div_scale_f32 v1, null, v109, v109, 1.0
	v_div_scale_f32 v4, vcc_lo, 1.0, v109, 1.0
	v_rcp_f32_e32 v2, v1
	v_nop
	s_delay_alu instid0(TRANS32_DEP_1) | instskip(NEXT) | instid1(VALU_DEP_1)
	v_fma_f32 v3, -v1, v2, 1.0
	v_fmac_f32_e32 v2, v3, v2
	s_delay_alu instid0(VALU_DEP_1) | instskip(NEXT) | instid1(VALU_DEP_1)
	v_mul_f32_e32 v3, v4, v2
	v_fma_f32 v5, -v1, v3, v4
	s_delay_alu instid0(VALU_DEP_1) | instskip(NEXT) | instid1(VALU_DEP_1)
	v_fmac_f32_e32 v3, v5, v2
	v_fma_f32 v1, -v1, v3, v4
	s_delay_alu instid0(VALU_DEP_1) | instskip(NEXT) | instid1(VALU_DEP_1)
	v_div_fmas_f32 v1, v1, v2, v3
	v_div_fixup_f32 v1, v1, v109, 1.0
                                        ; implicit-def: $vgpr108_vgpr109
	s_delay_alu instid0(VALU_DEP_1)
	v_mul_f32_e32 v110, v0, v1
	v_xor_b32_e32 v111, 0x80000000, v1
.LBB125_491:
	s_and_not1_saveexec_b32 s1, s1
	s_cbranch_execz .LBB125_493
; %bb.492:
	v_div_scale_f32 v0, null, v108, v108, v109
	v_div_scale_f32 v3, vcc_lo, v109, v108, v109
	s_delay_alu instid0(VALU_DEP_2) | instskip(SKIP_1) | instid1(TRANS32_DEP_1)
	v_rcp_f32_e32 v1, v0
	v_nop
	v_fma_f32 v2, -v0, v1, 1.0
	s_delay_alu instid0(VALU_DEP_1) | instskip(NEXT) | instid1(VALU_DEP_1)
	v_fmac_f32_e32 v1, v2, v1
	v_mul_f32_e32 v2, v3, v1
	s_delay_alu instid0(VALU_DEP_1) | instskip(NEXT) | instid1(VALU_DEP_1)
	v_fma_f32 v4, -v0, v2, v3
	v_fmac_f32_e32 v2, v4, v1
	s_delay_alu instid0(VALU_DEP_1) | instskip(NEXT) | instid1(VALU_DEP_1)
	v_fma_f32 v0, -v0, v2, v3
	v_div_fmas_f32 v0, v0, v1, v2
	s_delay_alu instid0(VALU_DEP_1) | instskip(NEXT) | instid1(VALU_DEP_1)
	v_div_fixup_f32 v0, v0, v108, v109
	v_fmac_f32_e32 v108, v109, v0
	s_delay_alu instid0(VALU_DEP_1) | instskip(NEXT) | instid1(VALU_DEP_1)
	v_div_scale_f32 v1, null, v108, v108, 1.0
	v_rcp_f32_e32 v2, v1
	v_nop
	s_delay_alu instid0(TRANS32_DEP_1) | instskip(NEXT) | instid1(VALU_DEP_1)
	v_fma_f32 v3, -v1, v2, 1.0
	v_fmac_f32_e32 v2, v3, v2
	v_div_scale_f32 v3, vcc_lo, 1.0, v108, 1.0
	s_delay_alu instid0(VALU_DEP_1) | instskip(NEXT) | instid1(VALU_DEP_1)
	v_mul_f32_e32 v4, v3, v2
	v_fma_f32 v5, -v1, v4, v3
	s_delay_alu instid0(VALU_DEP_1) | instskip(NEXT) | instid1(VALU_DEP_1)
	v_fmac_f32_e32 v4, v5, v2
	v_fma_f32 v1, -v1, v4, v3
	s_delay_alu instid0(VALU_DEP_1) | instskip(NEXT) | instid1(VALU_DEP_1)
	v_div_fmas_f32 v1, v1, v2, v4
	v_div_fixup_f32 v110, v1, v108, 1.0
	s_delay_alu instid0(VALU_DEP_1)
	v_mul_f32_e64 v111, v0, -v110
.LBB125_493:
	s_or_b32 exec_lo, exec_lo, s1
	ds_store_b64 v255, v[110:111]
.LBB125_494:
	s_or_b32 exec_lo, exec_lo, s2
	s_wait_dscnt 0x0
	s_barrier_signal -1
	s_barrier_wait -1
	ds_load_b64 v[108:109], v255
	s_mov_b32 s1, exec_lo
	v_cmpx_lt_u32_e32 54, v254
	s_cbranch_execz .LBB125_496
; %bb.495:
	ds_load_2addr_b64 v[114:117], v6 offset0:55 offset1:56
	s_wait_dscnt 0x1
	v_pk_mul_f32 v[0:1], v[108:109], v[236:237] op_sel:[1,1] op_sel_hi:[0,1]
	s_delay_alu instid0(VALU_DEP_1) | instskip(SKIP_1) | instid1(VALU_DEP_1)
	v_pk_fma_f32 v[112:113], v[108:109], v[236:237], v[0:1] op_sel_hi:[1,0,1]
	v_pk_fma_f32 v[110:111], v[108:109], v[236:237], v[0:1] op_sel_hi:[1,0,1] neg_lo:[0,0,1] neg_hi:[0,0,1]
	v_dual_mov_b32 v237, v113 :: v_dual_mov_b32 v236, v110
	s_wait_dscnt 0x0
	s_delay_alu instid0(VALU_DEP_3) | instskip(NEXT) | instid1(VALU_DEP_1)
	v_pk_mul_f32 v[0:1], v[114:115], v[112:113] op_sel:[0,1]
	v_pk_fma_f32 v[2:3], v[114:115], v[110:111], v[0:1] op_sel:[0,0,1] op_sel_hi:[1,1,0] neg_lo:[0,0,1] neg_hi:[0,0,1]
	v_pk_fma_f32 v[0:1], v[114:115], v[110:111], v[0:1] op_sel:[0,0,1] op_sel_hi:[1,0,0]
	s_delay_alu instid0(VALU_DEP_1) | instskip(SKIP_1) | instid1(VALU_DEP_2)
	v_mov_b32_e32 v3, v1
	v_pk_mul_f32 v[0:1], v[116:117], v[112:113] op_sel:[0,1]
	v_pk_add_f32 v[238:239], v[238:239], v[2:3] neg_lo:[0,1] neg_hi:[0,1]
	s_delay_alu instid0(VALU_DEP_2) | instskip(SKIP_3) | instid1(VALU_DEP_1)
	v_pk_fma_f32 v[2:3], v[116:117], v[110:111], v[0:1] op_sel:[0,0,1] op_sel_hi:[1,1,0] neg_lo:[0,0,1] neg_hi:[0,0,1]
	v_pk_fma_f32 v[0:1], v[116:117], v[110:111], v[0:1] op_sel:[0,0,1] op_sel_hi:[1,0,0]
	ds_load_2addr_b64 v[114:117], v6 offset0:57 offset1:58
	v_mov_b32_e32 v3, v1
	v_pk_add_f32 v[248:249], v[248:249], v[2:3] neg_lo:[0,1] neg_hi:[0,1]
	s_wait_dscnt 0x0
	v_pk_mul_f32 v[0:1], v[114:115], v[112:113] op_sel:[0,1]
	s_delay_alu instid0(VALU_DEP_1) | instskip(SKIP_2) | instid1(VALU_DEP_2)
	v_pk_fma_f32 v[2:3], v[114:115], v[110:111], v[0:1] op_sel:[0,0,1] op_sel_hi:[1,1,0] neg_lo:[0,0,1] neg_hi:[0,0,1]
	v_pk_fma_f32 v[0:1], v[114:115], v[110:111], v[0:1] op_sel:[0,0,1] op_sel_hi:[1,0,0]
	v_dual_mov_b32 v0, v117 :: v_dual_mul_f32 v114, v117, v110
	v_dual_mov_b32 v3, v1 :: v_dual_mov_b32 v1, v116
	s_delay_alu instid0(VALU_DEP_1) | instskip(SKIP_1) | instid1(VALU_DEP_3)
	v_pk_add_f32 v[242:243], v[242:243], v[2:3] neg_lo:[0,1] neg_hi:[0,1]
	v_mul_f32_e32 v2, v117, v113
	v_pk_fma_f32 v[0:1], v[0:1], v[236:237], v[114:115] op_sel_hi:[1,1,0]
	s_delay_alu instid0(VALU_DEP_2) | instskip(SKIP_2) | instid1(VALU_DEP_1)
	v_pk_fma_f32 v[2:3], v[116:117], v[236:237], v[2:3] op_sel_hi:[1,1,0] neg_lo:[0,0,1] neg_hi:[0,0,1]
	ds_load_2addr_b64 v[114:117], v6 offset0:59 offset1:60
	v_mov_b32_e32 v3, v1
	v_pk_add_f32 v[246:247], v[246:247], v[2:3] neg_lo:[0,1] neg_hi:[0,1]
	s_wait_dscnt 0x0
	v_pk_mul_f32 v[0:1], v[114:115], v[112:113] op_sel:[0,1]
	s_delay_alu instid0(VALU_DEP_1) | instskip(SKIP_1) | instid1(VALU_DEP_1)
	v_pk_fma_f32 v[2:3], v[114:115], v[110:111], v[0:1] op_sel:[0,0,1] op_sel_hi:[1,1,0] neg_lo:[0,0,1] neg_hi:[0,0,1]
	v_pk_fma_f32 v[0:1], v[114:115], v[110:111], v[0:1] op_sel:[0,0,1] op_sel_hi:[1,0,0]
	v_mov_b32_e32 v3, v1
	v_pk_mul_f32 v[0:1], v[116:117], v[112:113] op_sel:[0,1]
	s_delay_alu instid0(VALU_DEP_2) | instskip(NEXT) | instid1(VALU_DEP_2)
	v_pk_add_f32 v[240:241], v[240:241], v[2:3] neg_lo:[0,1] neg_hi:[0,1]
	v_pk_fma_f32 v[2:3], v[116:117], v[110:111], v[0:1] op_sel:[0,0,1] op_sel_hi:[1,1,0] neg_lo:[0,0,1] neg_hi:[0,0,1]
	v_pk_fma_f32 v[0:1], v[116:117], v[110:111], v[0:1] op_sel:[0,0,1] op_sel_hi:[1,0,0]
	ds_load_2addr_b64 v[114:117], v6 offset0:61 offset1:62
	v_mov_b32_e32 v3, v1
	s_delay_alu instid0(VALU_DEP_1) | instskip(SKIP_2) | instid1(VALU_DEP_1)
	v_pk_add_f32 v[244:245], v[244:245], v[2:3] neg_lo:[0,1] neg_hi:[0,1]
	s_wait_dscnt 0x0
	v_pk_mul_f32 v[0:1], v[114:115], v[112:113] op_sel:[0,1]
	v_pk_fma_f32 v[2:3], v[114:115], v[110:111], v[0:1] op_sel:[0,0,1] op_sel_hi:[1,1,0] neg_lo:[0,0,1] neg_hi:[0,0,1]
	v_pk_fma_f32 v[0:1], v[114:115], v[110:111], v[0:1] op_sel:[0,0,1] op_sel_hi:[1,0,0]
	s_delay_alu instid0(VALU_DEP_1) | instskip(SKIP_1) | instid1(VALU_DEP_2)
	v_mov_b32_e32 v3, v1
	v_pk_mul_f32 v[0:1], v[116:117], v[112:113] op_sel:[0,1]
	v_pk_add_f32 v[250:251], v[250:251], v[2:3] neg_lo:[0,1] neg_hi:[0,1]
	s_delay_alu instid0(VALU_DEP_2) | instskip(SKIP_1) | instid1(VALU_DEP_1)
	v_pk_fma_f32 v[2:3], v[116:117], v[110:111], v[0:1] op_sel:[0,0,1] op_sel_hi:[1,1,0] neg_lo:[0,0,1] neg_hi:[0,0,1]
	v_pk_fma_f32 v[0:1], v[116:117], v[110:111], v[0:1] op_sel:[0,0,1] op_sel_hi:[1,0,0]
	v_mov_b32_e32 v3, v1
	s_delay_alu instid0(VALU_DEP_1)
	v_pk_add_f32 v[252:253], v[252:253], v[2:3] neg_lo:[0,1] neg_hi:[0,1]
.LBB125_496:
	s_or_b32 exec_lo, exec_lo, s1
	s_delay_alu instid0(SALU_CYCLE_1)
	s_mov_b32 s2, exec_lo
	s_wait_dscnt 0x0
	s_barrier_signal -1
	s_barrier_wait -1
	v_cmpx_eq_u32_e32 55, v254
	s_cbranch_execz .LBB125_503
; %bb.497:
	v_dual_mov_b32 v0, v248 :: v_dual_mov_b32 v1, v249
	v_dual_mov_b32 v2, v242 :: v_dual_mov_b32 v3, v243
	ds_store_b64 v255, v[238:239]
	ds_store_2addr_b64 v6, v[0:1], v[2:3] offset0:56 offset1:57
	v_dual_mov_b32 v0, v246 :: v_dual_mov_b32 v1, v247
	v_dual_mov_b32 v2, v240 :: v_dual_mov_b32 v3, v241
	ds_store_2addr_b64 v6, v[0:1], v[2:3] offset0:58 offset1:59
	v_dual_mov_b32 v0, v244 :: v_dual_mov_b32 v1, v245
	v_dual_mov_b32 v2, v250 :: v_dual_mov_b32 v3, v251
	ds_store_2addr_b64 v6, v[0:1], v[2:3] offset0:60 offset1:61
	ds_store_b64 v6, v[252:253] offset:496
	ds_load_b64 v[110:111], v255
	s_wait_dscnt 0x0
	v_cmp_neq_f32_e32 vcc_lo, 0, v110
	v_cmp_neq_f32_e64 s1, 0, v111
	s_or_b32 s1, vcc_lo, s1
	s_delay_alu instid0(SALU_CYCLE_1)
	s_and_b32 exec_lo, exec_lo, s1
	s_cbranch_execz .LBB125_503
; %bb.498:
	v_cmp_ngt_f32_e64 s1, |v110|, |v111|
                                        ; implicit-def: $vgpr112_vgpr113
	s_and_saveexec_b32 s4, s1
	s_delay_alu instid0(SALU_CYCLE_1)
	s_xor_b32 s1, exec_lo, s4
	s_cbranch_execz .LBB125_500
; %bb.499:
	v_div_scale_f32 v0, null, v111, v111, v110
	v_div_scale_f32 v3, vcc_lo, v110, v111, v110
	s_delay_alu instid0(VALU_DEP_2) | instskip(SKIP_1) | instid1(TRANS32_DEP_1)
	v_rcp_f32_e32 v1, v0
	v_nop
	v_fma_f32 v2, -v0, v1, 1.0
	s_delay_alu instid0(VALU_DEP_1) | instskip(NEXT) | instid1(VALU_DEP_1)
	v_fmac_f32_e32 v1, v2, v1
	v_mul_f32_e32 v2, v3, v1
	s_delay_alu instid0(VALU_DEP_1) | instskip(NEXT) | instid1(VALU_DEP_1)
	v_fma_f32 v4, -v0, v2, v3
	v_fmac_f32_e32 v2, v4, v1
	s_delay_alu instid0(VALU_DEP_1) | instskip(NEXT) | instid1(VALU_DEP_1)
	v_fma_f32 v0, -v0, v2, v3
	v_div_fmas_f32 v0, v0, v1, v2
	s_delay_alu instid0(VALU_DEP_1) | instskip(NEXT) | instid1(VALU_DEP_1)
	v_div_fixup_f32 v0, v0, v111, v110
	v_fmac_f32_e32 v111, v110, v0
	s_delay_alu instid0(VALU_DEP_1) | instskip(SKIP_1) | instid1(VALU_DEP_2)
	v_div_scale_f32 v1, null, v111, v111, 1.0
	v_div_scale_f32 v4, vcc_lo, 1.0, v111, 1.0
	v_rcp_f32_e32 v2, v1
	v_nop
	s_delay_alu instid0(TRANS32_DEP_1) | instskip(NEXT) | instid1(VALU_DEP_1)
	v_fma_f32 v3, -v1, v2, 1.0
	v_fmac_f32_e32 v2, v3, v2
	s_delay_alu instid0(VALU_DEP_1) | instskip(NEXT) | instid1(VALU_DEP_1)
	v_mul_f32_e32 v3, v4, v2
	v_fma_f32 v5, -v1, v3, v4
	s_delay_alu instid0(VALU_DEP_1) | instskip(NEXT) | instid1(VALU_DEP_1)
	v_fmac_f32_e32 v3, v5, v2
	v_fma_f32 v1, -v1, v3, v4
	s_delay_alu instid0(VALU_DEP_1) | instskip(NEXT) | instid1(VALU_DEP_1)
	v_div_fmas_f32 v1, v1, v2, v3
	v_div_fixup_f32 v1, v1, v111, 1.0
                                        ; implicit-def: $vgpr110_vgpr111
	s_delay_alu instid0(VALU_DEP_1)
	v_mul_f32_e32 v112, v0, v1
	v_xor_b32_e32 v113, 0x80000000, v1
.LBB125_500:
	s_and_not1_saveexec_b32 s1, s1
	s_cbranch_execz .LBB125_502
; %bb.501:
	v_div_scale_f32 v0, null, v110, v110, v111
	v_div_scale_f32 v3, vcc_lo, v111, v110, v111
	s_delay_alu instid0(VALU_DEP_2) | instskip(SKIP_1) | instid1(TRANS32_DEP_1)
	v_rcp_f32_e32 v1, v0
	v_nop
	v_fma_f32 v2, -v0, v1, 1.0
	s_delay_alu instid0(VALU_DEP_1) | instskip(NEXT) | instid1(VALU_DEP_1)
	v_fmac_f32_e32 v1, v2, v1
	v_mul_f32_e32 v2, v3, v1
	s_delay_alu instid0(VALU_DEP_1) | instskip(NEXT) | instid1(VALU_DEP_1)
	v_fma_f32 v4, -v0, v2, v3
	v_fmac_f32_e32 v2, v4, v1
	s_delay_alu instid0(VALU_DEP_1) | instskip(NEXT) | instid1(VALU_DEP_1)
	v_fma_f32 v0, -v0, v2, v3
	v_div_fmas_f32 v0, v0, v1, v2
	s_delay_alu instid0(VALU_DEP_1) | instskip(NEXT) | instid1(VALU_DEP_1)
	v_div_fixup_f32 v0, v0, v110, v111
	v_fmac_f32_e32 v110, v111, v0
	s_delay_alu instid0(VALU_DEP_1) | instskip(NEXT) | instid1(VALU_DEP_1)
	v_div_scale_f32 v1, null, v110, v110, 1.0
	v_rcp_f32_e32 v2, v1
	v_nop
	s_delay_alu instid0(TRANS32_DEP_1) | instskip(NEXT) | instid1(VALU_DEP_1)
	v_fma_f32 v3, -v1, v2, 1.0
	v_fmac_f32_e32 v2, v3, v2
	v_div_scale_f32 v3, vcc_lo, 1.0, v110, 1.0
	s_delay_alu instid0(VALU_DEP_1) | instskip(NEXT) | instid1(VALU_DEP_1)
	v_mul_f32_e32 v4, v3, v2
	v_fma_f32 v5, -v1, v4, v3
	s_delay_alu instid0(VALU_DEP_1) | instskip(NEXT) | instid1(VALU_DEP_1)
	v_fmac_f32_e32 v4, v5, v2
	v_fma_f32 v1, -v1, v4, v3
	s_delay_alu instid0(VALU_DEP_1) | instskip(NEXT) | instid1(VALU_DEP_1)
	v_div_fmas_f32 v1, v1, v2, v4
	v_div_fixup_f32 v112, v1, v110, 1.0
	s_delay_alu instid0(VALU_DEP_1)
	v_mul_f32_e64 v113, v0, -v112
.LBB125_502:
	s_or_b32 exec_lo, exec_lo, s1
	ds_store_b64 v255, v[112:113]
.LBB125_503:
	s_or_b32 exec_lo, exec_lo, s2
	s_wait_dscnt 0x0
	s_barrier_signal -1
	s_barrier_wait -1
	ds_load_b64 v[110:111], v255
	s_mov_b32 s1, exec_lo
	v_cmpx_lt_u32_e32 55, v254
	s_cbranch_execz .LBB125_505
; %bb.504:
	ds_load_2addr_b64 v[114:117], v6 offset0:56 offset1:57
	s_wait_dscnt 0x1
	v_pk_mul_f32 v[0:1], v[110:111], v[238:239] op_sel:[1,1] op_sel_hi:[0,1]
	s_delay_alu instid0(VALU_DEP_1) | instskip(SKIP_1) | instid1(VALU_DEP_1)
	v_pk_fma_f32 v[112:113], v[110:111], v[238:239], v[0:1] op_sel_hi:[1,0,1] neg_lo:[0,0,1] neg_hi:[0,0,1]
	v_pk_fma_f32 v[0:1], v[110:111], v[238:239], v[0:1] op_sel_hi:[1,0,1]
	v_dual_mov_b32 v238, v112 :: v_dual_mov_b32 v239, v1
	s_wait_dscnt 0x0
	s_delay_alu instid0(VALU_DEP_2) | instskip(NEXT) | instid1(VALU_DEP_1)
	v_pk_mul_f32 v[2:3], v[114:115], v[0:1] op_sel:[0,1]
	v_pk_fma_f32 v[118:119], v[114:115], v[112:113], v[2:3] op_sel:[0,0,1] op_sel_hi:[1,1,0] neg_lo:[0,0,1] neg_hi:[0,0,1]
	v_pk_fma_f32 v[2:3], v[114:115], v[112:113], v[2:3] op_sel:[0,0,1] op_sel_hi:[1,0,0]
	s_delay_alu instid0(VALU_DEP_1) | instskip(SKIP_1) | instid1(VALU_DEP_1)
	v_mov_b32_e32 v119, v3
	v_pk_mul_f32 v[2:3], v[116:117], v[0:1] op_sel:[0,1]
	v_pk_fma_f32 v[114:115], v[116:117], v[112:113], v[2:3] op_sel:[0,0,1] op_sel_hi:[1,1,0] neg_lo:[0,0,1] neg_hi:[0,0,1]
	v_pk_fma_f32 v[2:3], v[116:117], v[112:113], v[2:3] op_sel:[0,0,1] op_sel_hi:[1,0,0]
	s_delay_alu instid0(VALU_DEP_1) | instskip(SKIP_1) | instid1(VALU_DEP_2)
	v_mov_b32_e32 v115, v3
	v_pk_add_f32 v[248:249], v[248:249], v[118:119] neg_lo:[0,1] neg_hi:[0,1]
	v_pk_add_f32 v[242:243], v[242:243], v[114:115] neg_lo:[0,1] neg_hi:[0,1]
	ds_load_2addr_b64 v[114:117], v6 offset0:58 offset1:59
	s_wait_dscnt 0x0
	v_pk_mul_f32 v[2:3], v[114:115], v[0:1] op_sel:[0,1]
	s_delay_alu instid0(VALU_DEP_1) | instskip(SKIP_2) | instid1(VALU_DEP_2)
	v_pk_fma_f32 v[118:119], v[114:115], v[112:113], v[2:3] op_sel:[0,0,1] op_sel_hi:[1,1,0] neg_lo:[0,0,1] neg_hi:[0,0,1]
	v_pk_fma_f32 v[2:3], v[114:115], v[112:113], v[2:3] op_sel:[0,0,1] op_sel_hi:[1,0,0]
	v_dual_mul_f32 v114, v117, v1 :: v_dual_mov_b32 v2, v117
	v_dual_mov_b32 v119, v3 :: v_dual_mov_b32 v3, v116
	s_delay_alu instid0(VALU_DEP_2) | instskip(SKIP_1) | instid1(VALU_DEP_3)
	v_pk_fma_f32 v[114:115], v[116:117], v[238:239], v[114:115] op_sel_hi:[1,1,0] neg_lo:[0,0,1] neg_hi:[0,0,1]
	v_mul_f32_e32 v116, v117, v112
	v_pk_add_f32 v[246:247], v[246:247], v[118:119] neg_lo:[0,1] neg_hi:[0,1]
	s_delay_alu instid0(VALU_DEP_2) | instskip(NEXT) | instid1(VALU_DEP_1)
	v_pk_fma_f32 v[2:3], v[2:3], v[238:239], v[116:117] op_sel_hi:[1,1,0]
	v_mov_b32_e32 v115, v3
	s_delay_alu instid0(VALU_DEP_1) | instskip(SKIP_3) | instid1(VALU_DEP_1)
	v_pk_add_f32 v[240:241], v[240:241], v[114:115] neg_lo:[0,1] neg_hi:[0,1]
	ds_load_2addr_b64 v[114:117], v6 offset0:60 offset1:61
	s_wait_dscnt 0x0
	v_pk_mul_f32 v[2:3], v[114:115], v[0:1] op_sel:[0,1]
	v_pk_fma_f32 v[118:119], v[114:115], v[112:113], v[2:3] op_sel:[0,0,1] op_sel_hi:[1,1,0] neg_lo:[0,0,1] neg_hi:[0,0,1]
	v_pk_fma_f32 v[2:3], v[114:115], v[112:113], v[2:3] op_sel:[0,0,1] op_sel_hi:[1,0,0]
	s_delay_alu instid0(VALU_DEP_1) | instskip(SKIP_1) | instid1(VALU_DEP_1)
	v_mov_b32_e32 v119, v3
	v_pk_mul_f32 v[2:3], v[116:117], v[0:1] op_sel:[0,1]
	v_pk_fma_f32 v[114:115], v[116:117], v[112:113], v[2:3] op_sel:[0,0,1] op_sel_hi:[1,1,0] neg_lo:[0,0,1] neg_hi:[0,0,1]
	v_pk_fma_f32 v[2:3], v[116:117], v[112:113], v[2:3] op_sel:[0,0,1] op_sel_hi:[1,0,0]
	s_delay_alu instid0(VALU_DEP_1)
	v_mov_b32_e32 v115, v3
	ds_load_b64 v[2:3], v6 offset:496
	v_pk_add_f32 v[244:245], v[244:245], v[118:119] neg_lo:[0,1] neg_hi:[0,1]
	v_pk_add_f32 v[250:251], v[250:251], v[114:115] neg_lo:[0,1] neg_hi:[0,1]
	s_wait_dscnt 0x0
	v_pk_mul_f32 v[0:1], v[2:3], v[0:1] op_sel:[0,1]
	s_delay_alu instid0(VALU_DEP_1) | instskip(SKIP_1) | instid1(VALU_DEP_1)
	v_pk_fma_f32 v[114:115], v[2:3], v[112:113], v[0:1] op_sel:[0,0,1] op_sel_hi:[1,1,0] neg_lo:[0,0,1] neg_hi:[0,0,1]
	v_pk_fma_f32 v[0:1], v[2:3], v[112:113], v[0:1] op_sel:[0,0,1] op_sel_hi:[1,0,0]
	v_mov_b32_e32 v115, v1
	s_delay_alu instid0(VALU_DEP_1)
	v_pk_add_f32 v[252:253], v[252:253], v[114:115] neg_lo:[0,1] neg_hi:[0,1]
.LBB125_505:
	s_or_b32 exec_lo, exec_lo, s1
	s_delay_alu instid0(SALU_CYCLE_1)
	s_mov_b32 s2, exec_lo
	s_wait_dscnt 0x0
	s_barrier_signal -1
	s_barrier_wait -1
	v_cmpx_eq_u32_e32 56, v254
	s_cbranch_execz .LBB125_512
; %bb.506:
	ds_store_b64 v255, v[248:249]
	ds_store_2addr_b64 v6, v[242:243], v[246:247] offset0:57 offset1:58
	ds_store_2addr_b64 v6, v[240:241], v[244:245] offset0:59 offset1:60
	;; [unrolled: 1-line block ×3, first 2 shown]
	ds_load_b64 v[112:113], v255
	s_wait_dscnt 0x0
	v_cmp_neq_f32_e32 vcc_lo, 0, v112
	v_cmp_neq_f32_e64 s1, 0, v113
	s_or_b32 s1, vcc_lo, s1
	s_delay_alu instid0(SALU_CYCLE_1)
	s_and_b32 exec_lo, exec_lo, s1
	s_cbranch_execz .LBB125_512
; %bb.507:
	v_cmp_ngt_f32_e64 s1, |v112|, |v113|
                                        ; implicit-def: $vgpr114_vgpr115
	s_and_saveexec_b32 s4, s1
	s_delay_alu instid0(SALU_CYCLE_1)
	s_xor_b32 s1, exec_lo, s4
	s_cbranch_execz .LBB125_509
; %bb.508:
	v_div_scale_f32 v0, null, v113, v113, v112
	v_div_scale_f32 v3, vcc_lo, v112, v113, v112
	s_delay_alu instid0(VALU_DEP_2) | instskip(SKIP_1) | instid1(TRANS32_DEP_1)
	v_rcp_f32_e32 v1, v0
	v_nop
	v_fma_f32 v2, -v0, v1, 1.0
	s_delay_alu instid0(VALU_DEP_1) | instskip(NEXT) | instid1(VALU_DEP_1)
	v_fmac_f32_e32 v1, v2, v1
	v_mul_f32_e32 v2, v3, v1
	s_delay_alu instid0(VALU_DEP_1) | instskip(NEXT) | instid1(VALU_DEP_1)
	v_fma_f32 v4, -v0, v2, v3
	v_fmac_f32_e32 v2, v4, v1
	s_delay_alu instid0(VALU_DEP_1) | instskip(NEXT) | instid1(VALU_DEP_1)
	v_fma_f32 v0, -v0, v2, v3
	v_div_fmas_f32 v0, v0, v1, v2
	s_delay_alu instid0(VALU_DEP_1) | instskip(NEXT) | instid1(VALU_DEP_1)
	v_div_fixup_f32 v0, v0, v113, v112
	v_fmac_f32_e32 v113, v112, v0
	s_delay_alu instid0(VALU_DEP_1) | instskip(SKIP_1) | instid1(VALU_DEP_2)
	v_div_scale_f32 v1, null, v113, v113, 1.0
	v_div_scale_f32 v4, vcc_lo, 1.0, v113, 1.0
	v_rcp_f32_e32 v2, v1
	v_nop
	s_delay_alu instid0(TRANS32_DEP_1) | instskip(NEXT) | instid1(VALU_DEP_1)
	v_fma_f32 v3, -v1, v2, 1.0
	v_fmac_f32_e32 v2, v3, v2
	s_delay_alu instid0(VALU_DEP_1) | instskip(NEXT) | instid1(VALU_DEP_1)
	v_mul_f32_e32 v3, v4, v2
	v_fma_f32 v5, -v1, v3, v4
	s_delay_alu instid0(VALU_DEP_1) | instskip(NEXT) | instid1(VALU_DEP_1)
	v_fmac_f32_e32 v3, v5, v2
	v_fma_f32 v1, -v1, v3, v4
	s_delay_alu instid0(VALU_DEP_1) | instskip(NEXT) | instid1(VALU_DEP_1)
	v_div_fmas_f32 v1, v1, v2, v3
	v_div_fixup_f32 v1, v1, v113, 1.0
                                        ; implicit-def: $vgpr112_vgpr113
	s_delay_alu instid0(VALU_DEP_1)
	v_mul_f32_e32 v114, v0, v1
	v_xor_b32_e32 v115, 0x80000000, v1
.LBB125_509:
	s_and_not1_saveexec_b32 s1, s1
	s_cbranch_execz .LBB125_511
; %bb.510:
	v_div_scale_f32 v0, null, v112, v112, v113
	v_div_scale_f32 v3, vcc_lo, v113, v112, v113
	s_delay_alu instid0(VALU_DEP_2) | instskip(SKIP_1) | instid1(TRANS32_DEP_1)
	v_rcp_f32_e32 v1, v0
	v_nop
	v_fma_f32 v2, -v0, v1, 1.0
	s_delay_alu instid0(VALU_DEP_1) | instskip(NEXT) | instid1(VALU_DEP_1)
	v_fmac_f32_e32 v1, v2, v1
	v_mul_f32_e32 v2, v3, v1
	s_delay_alu instid0(VALU_DEP_1) | instskip(NEXT) | instid1(VALU_DEP_1)
	v_fma_f32 v4, -v0, v2, v3
	v_fmac_f32_e32 v2, v4, v1
	s_delay_alu instid0(VALU_DEP_1) | instskip(NEXT) | instid1(VALU_DEP_1)
	v_fma_f32 v0, -v0, v2, v3
	v_div_fmas_f32 v0, v0, v1, v2
	s_delay_alu instid0(VALU_DEP_1) | instskip(NEXT) | instid1(VALU_DEP_1)
	v_div_fixup_f32 v0, v0, v112, v113
	v_fmac_f32_e32 v112, v113, v0
	s_delay_alu instid0(VALU_DEP_1) | instskip(NEXT) | instid1(VALU_DEP_1)
	v_div_scale_f32 v1, null, v112, v112, 1.0
	v_rcp_f32_e32 v2, v1
	v_nop
	s_delay_alu instid0(TRANS32_DEP_1) | instskip(NEXT) | instid1(VALU_DEP_1)
	v_fma_f32 v3, -v1, v2, 1.0
	v_fmac_f32_e32 v2, v3, v2
	v_div_scale_f32 v3, vcc_lo, 1.0, v112, 1.0
	s_delay_alu instid0(VALU_DEP_1) | instskip(NEXT) | instid1(VALU_DEP_1)
	v_mul_f32_e32 v4, v3, v2
	v_fma_f32 v5, -v1, v4, v3
	s_delay_alu instid0(VALU_DEP_1) | instskip(NEXT) | instid1(VALU_DEP_1)
	v_fmac_f32_e32 v4, v5, v2
	v_fma_f32 v1, -v1, v4, v3
	s_delay_alu instid0(VALU_DEP_1) | instskip(NEXT) | instid1(VALU_DEP_1)
	v_div_fmas_f32 v1, v1, v2, v4
	v_div_fixup_f32 v114, v1, v112, 1.0
	s_delay_alu instid0(VALU_DEP_1)
	v_mul_f32_e64 v115, v0, -v114
.LBB125_511:
	s_or_b32 exec_lo, exec_lo, s1
	ds_store_b64 v255, v[114:115]
.LBB125_512:
	s_or_b32 exec_lo, exec_lo, s2
	s_wait_dscnt 0x0
	s_barrier_signal -1
	s_barrier_wait -1
	ds_load_b64 v[112:113], v255
	s_mov_b32 s1, exec_lo
	v_cmpx_lt_u32_e32 56, v254
	s_cbranch_execz .LBB125_514
; %bb.513:
	ds_load_2addr_b64 v[114:117], v6 offset0:57 offset1:58
	s_wait_dscnt 0x1
	v_pk_mul_f32 v[0:1], v[112:113], v[248:249] op_sel:[1,1] op_sel_hi:[0,1]
	s_delay_alu instid0(VALU_DEP_1) | instskip(SKIP_1) | instid1(VALU_DEP_1)
	v_pk_fma_f32 v[2:3], v[112:113], v[248:249], v[0:1] op_sel_hi:[1,0,1] neg_lo:[0,0,1] neg_hi:[0,0,1]
	v_pk_fma_f32 v[0:1], v[112:113], v[248:249], v[0:1] op_sel_hi:[1,0,1]
	v_dual_mov_b32 v248, v2 :: v_dual_mov_b32 v249, v1
	s_wait_dscnt 0x0
	s_delay_alu instid0(VALU_DEP_2) | instskip(NEXT) | instid1(VALU_DEP_1)
	v_pk_mul_f32 v[118:119], v[114:115], v[0:1] op_sel:[0,1]
	v_pk_fma_f32 v[120:121], v[114:115], v[2:3], v[118:119] op_sel:[0,0,1] op_sel_hi:[1,1,0] neg_lo:[0,0,1] neg_hi:[0,0,1]
	v_pk_fma_f32 v[114:115], v[114:115], v[2:3], v[118:119] op_sel:[0,0,1] op_sel_hi:[1,0,0]
	s_delay_alu instid0(VALU_DEP_1) | instskip(SKIP_1) | instid1(VALU_DEP_1)
	v_mov_b32_e32 v121, v115
	v_pk_mul_f32 v[114:115], v[116:117], v[0:1] op_sel:[0,1]
	v_pk_fma_f32 v[118:119], v[116:117], v[2:3], v[114:115] op_sel:[0,0,1] op_sel_hi:[1,1,0] neg_lo:[0,0,1] neg_hi:[0,0,1]
	v_pk_fma_f32 v[114:115], v[116:117], v[2:3], v[114:115] op_sel:[0,0,1] op_sel_hi:[1,0,0]
	s_delay_alu instid0(VALU_DEP_1)
	v_mov_b32_e32 v119, v115
	ds_load_2addr_b64 v[114:117], v6 offset0:59 offset1:60
	v_pk_add_f32 v[242:243], v[242:243], v[120:121] neg_lo:[0,1] neg_hi:[0,1]
	v_pk_add_f32 v[246:247], v[246:247], v[118:119] neg_lo:[0,1] neg_hi:[0,1]
	s_wait_dscnt 0x0
	v_pk_mul_f32 v[118:119], v[114:115], v[0:1] op_sel:[0,1]
	s_delay_alu instid0(VALU_DEP_1) | instskip(SKIP_2) | instid1(VALU_DEP_2)
	v_pk_fma_f32 v[120:121], v[114:115], v[2:3], v[118:119] op_sel:[0,0,1] op_sel_hi:[1,1,0] neg_lo:[0,0,1] neg_hi:[0,0,1]
	v_pk_fma_f32 v[114:115], v[114:115], v[2:3], v[118:119] op_sel:[0,0,1] op_sel_hi:[1,0,0]
	v_dual_mul_f32 v118, v117, v1 :: v_dual_mov_b32 v114, v117
	v_dual_mov_b32 v121, v115 :: v_dual_mov_b32 v115, v116
	s_delay_alu instid0(VALU_DEP_2) | instskip(SKIP_1) | instid1(VALU_DEP_3)
	v_pk_fma_f32 v[118:119], v[116:117], v[248:249], v[118:119] op_sel_hi:[1,1,0] neg_lo:[0,0,1] neg_hi:[0,0,1]
	v_mul_f32_e32 v116, v117, v2
	v_pk_add_f32 v[240:241], v[240:241], v[120:121] neg_lo:[0,1] neg_hi:[0,1]
	s_delay_alu instid0(VALU_DEP_2) | instskip(NEXT) | instid1(VALU_DEP_1)
	v_pk_fma_f32 v[114:115], v[114:115], v[248:249], v[116:117] op_sel_hi:[1,1,0]
	v_mov_b32_e32 v119, v115
	ds_load_2addr_b64 v[114:117], v6 offset0:61 offset1:62
	v_pk_add_f32 v[244:245], v[244:245], v[118:119] neg_lo:[0,1] neg_hi:[0,1]
	s_wait_dscnt 0x0
	v_pk_mul_f32 v[118:119], v[114:115], v[0:1] op_sel:[0,1]
	v_mul_f32_e32 v0, v117, v1
	s_delay_alu instid0(VALU_DEP_2) | instskip(SKIP_2) | instid1(VALU_DEP_4)
	v_pk_fma_f32 v[120:121], v[114:115], v[2:3], v[118:119] op_sel:[0,0,1] op_sel_hi:[1,1,0] neg_lo:[0,0,1] neg_hi:[0,0,1]
	v_pk_fma_f32 v[114:115], v[114:115], v[2:3], v[118:119] op_sel:[0,0,1] op_sel_hi:[1,0,0]
	v_dual_mov_b32 v114, v117 :: v_dual_mul_f32 v2, v117, v2
	v_pk_fma_f32 v[0:1], v[116:117], v[248:249], v[0:1] op_sel_hi:[1,1,0] neg_lo:[0,0,1] neg_hi:[0,0,1]
	s_delay_alu instid0(VALU_DEP_3) | instskip(NEXT) | instid1(VALU_DEP_1)
	v_dual_mov_b32 v121, v115 :: v_dual_mov_b32 v115, v116
	v_pk_add_f32 v[250:251], v[250:251], v[120:121] neg_lo:[0,1] neg_hi:[0,1]
	s_delay_alu instid0(VALU_DEP_2) | instskip(NEXT) | instid1(VALU_DEP_1)
	v_pk_fma_f32 v[2:3], v[114:115], v[248:249], v[2:3] op_sel_hi:[1,1,0]
	v_mov_b32_e32 v1, v3
	s_delay_alu instid0(VALU_DEP_1)
	v_pk_add_f32 v[252:253], v[252:253], v[0:1] neg_lo:[0,1] neg_hi:[0,1]
.LBB125_514:
	s_or_b32 exec_lo, exec_lo, s1
	s_delay_alu instid0(SALU_CYCLE_1)
	s_mov_b32 s2, exec_lo
	s_wait_dscnt 0x0
	s_barrier_signal -1
	s_barrier_wait -1
	v_cmpx_eq_u32_e32 57, v254
	s_cbranch_execz .LBB125_521
; %bb.515:
	v_dual_mov_b32 v0, v246 :: v_dual_mov_b32 v1, v247
	v_dual_mov_b32 v2, v240 :: v_dual_mov_b32 v3, v241
	ds_store_b64 v255, v[242:243]
	ds_store_2addr_b64 v6, v[0:1], v[2:3] offset0:58 offset1:59
	v_dual_mov_b32 v0, v244 :: v_dual_mov_b32 v1, v245
	v_dual_mov_b32 v2, v250 :: v_dual_mov_b32 v3, v251
	ds_store_2addr_b64 v6, v[0:1], v[2:3] offset0:60 offset1:61
	ds_store_b64 v6, v[252:253] offset:496
	ds_load_b64 v[114:115], v255
	s_wait_dscnt 0x0
	v_cmp_neq_f32_e32 vcc_lo, 0, v114
	v_cmp_neq_f32_e64 s1, 0, v115
	s_or_b32 s1, vcc_lo, s1
	s_delay_alu instid0(SALU_CYCLE_1)
	s_and_b32 exec_lo, exec_lo, s1
	s_cbranch_execz .LBB125_521
; %bb.516:
	v_cmp_ngt_f32_e64 s1, |v114|, |v115|
                                        ; implicit-def: $vgpr116_vgpr117
	s_and_saveexec_b32 s4, s1
	s_delay_alu instid0(SALU_CYCLE_1)
	s_xor_b32 s1, exec_lo, s4
	s_cbranch_execz .LBB125_518
; %bb.517:
	v_div_scale_f32 v0, null, v115, v115, v114
	v_div_scale_f32 v3, vcc_lo, v114, v115, v114
	s_delay_alu instid0(VALU_DEP_2) | instskip(SKIP_1) | instid1(TRANS32_DEP_1)
	v_rcp_f32_e32 v1, v0
	v_nop
	v_fma_f32 v2, -v0, v1, 1.0
	s_delay_alu instid0(VALU_DEP_1) | instskip(NEXT) | instid1(VALU_DEP_1)
	v_fmac_f32_e32 v1, v2, v1
	v_mul_f32_e32 v2, v3, v1
	s_delay_alu instid0(VALU_DEP_1) | instskip(NEXT) | instid1(VALU_DEP_1)
	v_fma_f32 v4, -v0, v2, v3
	v_fmac_f32_e32 v2, v4, v1
	s_delay_alu instid0(VALU_DEP_1) | instskip(NEXT) | instid1(VALU_DEP_1)
	v_fma_f32 v0, -v0, v2, v3
	v_div_fmas_f32 v0, v0, v1, v2
	s_delay_alu instid0(VALU_DEP_1) | instskip(NEXT) | instid1(VALU_DEP_1)
	v_div_fixup_f32 v0, v0, v115, v114
	v_fmac_f32_e32 v115, v114, v0
	s_delay_alu instid0(VALU_DEP_1) | instskip(SKIP_1) | instid1(VALU_DEP_2)
	v_div_scale_f32 v1, null, v115, v115, 1.0
	v_div_scale_f32 v4, vcc_lo, 1.0, v115, 1.0
	v_rcp_f32_e32 v2, v1
	v_nop
	s_delay_alu instid0(TRANS32_DEP_1) | instskip(NEXT) | instid1(VALU_DEP_1)
	v_fma_f32 v3, -v1, v2, 1.0
	v_fmac_f32_e32 v2, v3, v2
	s_delay_alu instid0(VALU_DEP_1) | instskip(NEXT) | instid1(VALU_DEP_1)
	v_mul_f32_e32 v3, v4, v2
	v_fma_f32 v5, -v1, v3, v4
	s_delay_alu instid0(VALU_DEP_1) | instskip(NEXT) | instid1(VALU_DEP_1)
	v_fmac_f32_e32 v3, v5, v2
	v_fma_f32 v1, -v1, v3, v4
	s_delay_alu instid0(VALU_DEP_1) | instskip(NEXT) | instid1(VALU_DEP_1)
	v_div_fmas_f32 v1, v1, v2, v3
	v_div_fixup_f32 v1, v1, v115, 1.0
                                        ; implicit-def: $vgpr114_vgpr115
	s_delay_alu instid0(VALU_DEP_1)
	v_mul_f32_e32 v116, v0, v1
	v_xor_b32_e32 v117, 0x80000000, v1
.LBB125_518:
	s_and_not1_saveexec_b32 s1, s1
	s_cbranch_execz .LBB125_520
; %bb.519:
	v_div_scale_f32 v0, null, v114, v114, v115
	v_div_scale_f32 v3, vcc_lo, v115, v114, v115
	s_delay_alu instid0(VALU_DEP_2) | instskip(SKIP_1) | instid1(TRANS32_DEP_1)
	v_rcp_f32_e32 v1, v0
	v_nop
	v_fma_f32 v2, -v0, v1, 1.0
	s_delay_alu instid0(VALU_DEP_1) | instskip(NEXT) | instid1(VALU_DEP_1)
	v_fmac_f32_e32 v1, v2, v1
	v_mul_f32_e32 v2, v3, v1
	s_delay_alu instid0(VALU_DEP_1) | instskip(NEXT) | instid1(VALU_DEP_1)
	v_fma_f32 v4, -v0, v2, v3
	v_fmac_f32_e32 v2, v4, v1
	s_delay_alu instid0(VALU_DEP_1) | instskip(NEXT) | instid1(VALU_DEP_1)
	v_fma_f32 v0, -v0, v2, v3
	v_div_fmas_f32 v0, v0, v1, v2
	s_delay_alu instid0(VALU_DEP_1) | instskip(NEXT) | instid1(VALU_DEP_1)
	v_div_fixup_f32 v0, v0, v114, v115
	v_fmac_f32_e32 v114, v115, v0
	s_delay_alu instid0(VALU_DEP_1) | instskip(NEXT) | instid1(VALU_DEP_1)
	v_div_scale_f32 v1, null, v114, v114, 1.0
	v_rcp_f32_e32 v2, v1
	v_nop
	s_delay_alu instid0(TRANS32_DEP_1) | instskip(NEXT) | instid1(VALU_DEP_1)
	v_fma_f32 v3, -v1, v2, 1.0
	v_fmac_f32_e32 v2, v3, v2
	v_div_scale_f32 v3, vcc_lo, 1.0, v114, 1.0
	s_delay_alu instid0(VALU_DEP_1) | instskip(NEXT) | instid1(VALU_DEP_1)
	v_mul_f32_e32 v4, v3, v2
	v_fma_f32 v5, -v1, v4, v3
	s_delay_alu instid0(VALU_DEP_1) | instskip(NEXT) | instid1(VALU_DEP_1)
	v_fmac_f32_e32 v4, v5, v2
	v_fma_f32 v1, -v1, v4, v3
	s_delay_alu instid0(VALU_DEP_1) | instskip(NEXT) | instid1(VALU_DEP_1)
	v_div_fmas_f32 v1, v1, v2, v4
	v_div_fixup_f32 v116, v1, v114, 1.0
	s_delay_alu instid0(VALU_DEP_1)
	v_mul_f32_e64 v117, v0, -v116
.LBB125_520:
	s_or_b32 exec_lo, exec_lo, s1
	ds_store_b64 v255, v[116:117]
.LBB125_521:
	s_or_b32 exec_lo, exec_lo, s2
	s_wait_dscnt 0x0
	s_barrier_signal -1
	s_barrier_wait -1
	ds_load_b64 v[114:115], v255
	s_mov_b32 s1, exec_lo
	v_cmpx_lt_u32_e32 57, v254
	s_cbranch_execz .LBB125_523
; %bb.522:
	ds_load_2addr_b64 v[116:119], v6 offset0:58 offset1:59
	s_wait_dscnt 0x1
	v_pk_mul_f32 v[0:1], v[114:115], v[242:243] op_sel:[1,1] op_sel_hi:[0,1]
	s_delay_alu instid0(VALU_DEP_1) | instskip(SKIP_1) | instid1(VALU_DEP_1)
	v_pk_fma_f32 v[2:3], v[114:115], v[242:243], v[0:1] op_sel_hi:[1,0,1] neg_lo:[0,0,1] neg_hi:[0,0,1]
	v_pk_fma_f32 v[0:1], v[114:115], v[242:243], v[0:1] op_sel_hi:[1,0,1]
	v_dual_mov_b32 v242, v2 :: v_dual_mov_b32 v243, v1
	s_wait_dscnt 0x0
	s_delay_alu instid0(VALU_DEP_2) | instskip(NEXT) | instid1(VALU_DEP_1)
	v_pk_mul_f32 v[120:121], v[116:117], v[0:1] op_sel:[0,1]
	v_pk_fma_f32 v[122:123], v[116:117], v[2:3], v[120:121] op_sel:[0,0,1] op_sel_hi:[1,1,0] neg_lo:[0,0,1] neg_hi:[0,0,1]
	v_pk_fma_f32 v[116:117], v[116:117], v[2:3], v[120:121] op_sel:[0,0,1] op_sel_hi:[1,0,0]
	s_delay_alu instid0(VALU_DEP_1) | instskip(SKIP_1) | instid1(VALU_DEP_1)
	v_mov_b32_e32 v123, v117
	v_pk_mul_f32 v[116:117], v[118:119], v[0:1] op_sel:[0,1]
	v_pk_fma_f32 v[120:121], v[118:119], v[2:3], v[116:117] op_sel:[0,0,1] op_sel_hi:[1,1,0] neg_lo:[0,0,1] neg_hi:[0,0,1]
	v_pk_fma_f32 v[116:117], v[118:119], v[2:3], v[116:117] op_sel:[0,0,1] op_sel_hi:[1,0,0]
	s_delay_alu instid0(VALU_DEP_1)
	v_mov_b32_e32 v121, v117
	ds_load_2addr_b64 v[116:119], v6 offset0:60 offset1:61
	v_pk_add_f32 v[246:247], v[246:247], v[122:123] neg_lo:[0,1] neg_hi:[0,1]
	v_pk_add_f32 v[240:241], v[240:241], v[120:121] neg_lo:[0,1] neg_hi:[0,1]
	s_wait_dscnt 0x0
	v_pk_mul_f32 v[120:121], v[116:117], v[0:1] op_sel:[0,1]
	s_delay_alu instid0(VALU_DEP_1) | instskip(SKIP_2) | instid1(VALU_DEP_2)
	v_pk_fma_f32 v[122:123], v[116:117], v[2:3], v[120:121] op_sel:[0,0,1] op_sel_hi:[1,1,0] neg_lo:[0,0,1] neg_hi:[0,0,1]
	v_pk_fma_f32 v[116:117], v[116:117], v[2:3], v[120:121] op_sel:[0,0,1] op_sel_hi:[1,0,0]
	v_dual_mul_f32 v120, v119, v1 :: v_dual_mov_b32 v116, v119
	v_dual_mov_b32 v123, v117 :: v_dual_mov_b32 v117, v118
	s_delay_alu instid0(VALU_DEP_2) | instskip(SKIP_1) | instid1(VALU_DEP_3)
	v_pk_fma_f32 v[120:121], v[118:119], v[242:243], v[120:121] op_sel_hi:[1,1,0] neg_lo:[0,0,1] neg_hi:[0,0,1]
	v_mul_f32_e32 v118, v119, v2
	v_pk_add_f32 v[244:245], v[244:245], v[122:123] neg_lo:[0,1] neg_hi:[0,1]
	s_delay_alu instid0(VALU_DEP_2) | instskip(NEXT) | instid1(VALU_DEP_1)
	v_pk_fma_f32 v[116:117], v[116:117], v[242:243], v[118:119] op_sel_hi:[1,1,0]
	v_mov_b32_e32 v121, v117
	ds_load_b64 v[116:117], v6 offset:496
	v_pk_add_f32 v[250:251], v[250:251], v[120:121] neg_lo:[0,1] neg_hi:[0,1]
	s_wait_dscnt 0x0
	v_pk_mul_f32 v[0:1], v[116:117], v[0:1] op_sel:[0,1]
	s_delay_alu instid0(VALU_DEP_1) | instskip(SKIP_1) | instid1(VALU_DEP_1)
	v_pk_fma_f32 v[118:119], v[116:117], v[2:3], v[0:1] op_sel:[0,0,1] op_sel_hi:[1,1,0] neg_lo:[0,0,1] neg_hi:[0,0,1]
	v_pk_fma_f32 v[0:1], v[116:117], v[2:3], v[0:1] op_sel:[0,0,1] op_sel_hi:[1,0,0]
	v_mov_b32_e32 v119, v1
	s_delay_alu instid0(VALU_DEP_1)
	v_pk_add_f32 v[252:253], v[252:253], v[118:119] neg_lo:[0,1] neg_hi:[0,1]
.LBB125_523:
	s_or_b32 exec_lo, exec_lo, s1
	s_delay_alu instid0(SALU_CYCLE_1)
	s_mov_b32 s2, exec_lo
	s_wait_dscnt 0x0
	s_barrier_signal -1
	s_barrier_wait -1
	v_cmpx_eq_u32_e32 58, v254
	s_cbranch_execz .LBB125_530
; %bb.524:
	ds_store_b64 v255, v[246:247]
	ds_store_2addr_b64 v6, v[240:241], v[244:245] offset0:59 offset1:60
	ds_store_2addr_b64 v6, v[250:251], v[252:253] offset0:61 offset1:62
	ds_load_b64 v[116:117], v255
	s_wait_dscnt 0x0
	v_cmp_neq_f32_e32 vcc_lo, 0, v116
	v_cmp_neq_f32_e64 s1, 0, v117
	s_or_b32 s1, vcc_lo, s1
	s_delay_alu instid0(SALU_CYCLE_1)
	s_and_b32 exec_lo, exec_lo, s1
	s_cbranch_execz .LBB125_530
; %bb.525:
	v_cmp_ngt_f32_e64 s1, |v116|, |v117|
                                        ; implicit-def: $vgpr118_vgpr119
	s_and_saveexec_b32 s4, s1
	s_delay_alu instid0(SALU_CYCLE_1)
	s_xor_b32 s1, exec_lo, s4
	s_cbranch_execz .LBB125_527
; %bb.526:
	v_div_scale_f32 v0, null, v117, v117, v116
	v_div_scale_f32 v3, vcc_lo, v116, v117, v116
	s_delay_alu instid0(VALU_DEP_2) | instskip(SKIP_1) | instid1(TRANS32_DEP_1)
	v_rcp_f32_e32 v1, v0
	v_nop
	v_fma_f32 v2, -v0, v1, 1.0
	s_delay_alu instid0(VALU_DEP_1) | instskip(NEXT) | instid1(VALU_DEP_1)
	v_fmac_f32_e32 v1, v2, v1
	v_mul_f32_e32 v2, v3, v1
	s_delay_alu instid0(VALU_DEP_1) | instskip(NEXT) | instid1(VALU_DEP_1)
	v_fma_f32 v4, -v0, v2, v3
	v_fmac_f32_e32 v2, v4, v1
	s_delay_alu instid0(VALU_DEP_1) | instskip(NEXT) | instid1(VALU_DEP_1)
	v_fma_f32 v0, -v0, v2, v3
	v_div_fmas_f32 v0, v0, v1, v2
	s_delay_alu instid0(VALU_DEP_1) | instskip(NEXT) | instid1(VALU_DEP_1)
	v_div_fixup_f32 v0, v0, v117, v116
	v_fmac_f32_e32 v117, v116, v0
	s_delay_alu instid0(VALU_DEP_1) | instskip(SKIP_1) | instid1(VALU_DEP_2)
	v_div_scale_f32 v1, null, v117, v117, 1.0
	v_div_scale_f32 v4, vcc_lo, 1.0, v117, 1.0
	v_rcp_f32_e32 v2, v1
	v_nop
	s_delay_alu instid0(TRANS32_DEP_1) | instskip(NEXT) | instid1(VALU_DEP_1)
	v_fma_f32 v3, -v1, v2, 1.0
	v_fmac_f32_e32 v2, v3, v2
	s_delay_alu instid0(VALU_DEP_1) | instskip(NEXT) | instid1(VALU_DEP_1)
	v_mul_f32_e32 v3, v4, v2
	v_fma_f32 v5, -v1, v3, v4
	s_delay_alu instid0(VALU_DEP_1) | instskip(NEXT) | instid1(VALU_DEP_1)
	v_fmac_f32_e32 v3, v5, v2
	v_fma_f32 v1, -v1, v3, v4
	s_delay_alu instid0(VALU_DEP_1) | instskip(NEXT) | instid1(VALU_DEP_1)
	v_div_fmas_f32 v1, v1, v2, v3
	v_div_fixup_f32 v1, v1, v117, 1.0
                                        ; implicit-def: $vgpr116_vgpr117
	s_delay_alu instid0(VALU_DEP_1)
	v_mul_f32_e32 v118, v0, v1
	v_xor_b32_e32 v119, 0x80000000, v1
.LBB125_527:
	s_and_not1_saveexec_b32 s1, s1
	s_cbranch_execz .LBB125_529
; %bb.528:
	v_div_scale_f32 v0, null, v116, v116, v117
	v_div_scale_f32 v3, vcc_lo, v117, v116, v117
	s_delay_alu instid0(VALU_DEP_2) | instskip(SKIP_1) | instid1(TRANS32_DEP_1)
	v_rcp_f32_e32 v1, v0
	v_nop
	v_fma_f32 v2, -v0, v1, 1.0
	s_delay_alu instid0(VALU_DEP_1) | instskip(NEXT) | instid1(VALU_DEP_1)
	v_fmac_f32_e32 v1, v2, v1
	v_mul_f32_e32 v2, v3, v1
	s_delay_alu instid0(VALU_DEP_1) | instskip(NEXT) | instid1(VALU_DEP_1)
	v_fma_f32 v4, -v0, v2, v3
	v_fmac_f32_e32 v2, v4, v1
	s_delay_alu instid0(VALU_DEP_1) | instskip(NEXT) | instid1(VALU_DEP_1)
	v_fma_f32 v0, -v0, v2, v3
	v_div_fmas_f32 v0, v0, v1, v2
	s_delay_alu instid0(VALU_DEP_1) | instskip(NEXT) | instid1(VALU_DEP_1)
	v_div_fixup_f32 v0, v0, v116, v117
	v_fmac_f32_e32 v116, v117, v0
	s_delay_alu instid0(VALU_DEP_1) | instskip(NEXT) | instid1(VALU_DEP_1)
	v_div_scale_f32 v1, null, v116, v116, 1.0
	v_rcp_f32_e32 v2, v1
	v_nop
	s_delay_alu instid0(TRANS32_DEP_1) | instskip(NEXT) | instid1(VALU_DEP_1)
	v_fma_f32 v3, -v1, v2, 1.0
	v_fmac_f32_e32 v2, v3, v2
	v_div_scale_f32 v3, vcc_lo, 1.0, v116, 1.0
	s_delay_alu instid0(VALU_DEP_1) | instskip(NEXT) | instid1(VALU_DEP_1)
	v_mul_f32_e32 v4, v3, v2
	v_fma_f32 v5, -v1, v4, v3
	s_delay_alu instid0(VALU_DEP_1) | instskip(NEXT) | instid1(VALU_DEP_1)
	v_fmac_f32_e32 v4, v5, v2
	v_fma_f32 v1, -v1, v4, v3
	s_delay_alu instid0(VALU_DEP_1) | instskip(NEXT) | instid1(VALU_DEP_1)
	v_div_fmas_f32 v1, v1, v2, v4
	v_div_fixup_f32 v118, v1, v116, 1.0
	s_delay_alu instid0(VALU_DEP_1)
	v_mul_f32_e64 v119, v0, -v118
.LBB125_529:
	s_or_b32 exec_lo, exec_lo, s1
	ds_store_b64 v255, v[118:119]
.LBB125_530:
	s_or_b32 exec_lo, exec_lo, s2
	s_wait_dscnt 0x0
	s_barrier_signal -1
	s_barrier_wait -1
	ds_load_b64 v[118:119], v255
	s_mov_b32 s1, exec_lo
	v_cmpx_lt_u32_e32 58, v254
	s_cbranch_execz .LBB125_532
; %bb.531:
	ds_load_2addr_b64 v[120:123], v6 offset0:59 offset1:60
	s_wait_dscnt 0x1
	v_pk_mul_f32 v[0:1], v[118:119], v[246:247] op_sel:[1,1] op_sel_hi:[0,1]
	s_delay_alu instid0(VALU_DEP_1) | instskip(SKIP_1) | instid1(VALU_DEP_1)
	v_pk_fma_f32 v[2:3], v[118:119], v[246:247], v[0:1] op_sel_hi:[1,0,1] neg_lo:[0,0,1] neg_hi:[0,0,1]
	v_pk_fma_f32 v[0:1], v[118:119], v[246:247], v[0:1] op_sel_hi:[1,0,1]
	v_dual_mov_b32 v246, v2 :: v_dual_mov_b32 v247, v1
	s_wait_dscnt 0x0
	s_delay_alu instid0(VALU_DEP_2) | instskip(NEXT) | instid1(VALU_DEP_1)
	v_pk_mul_f32 v[116:117], v[120:121], v[0:1] op_sel:[0,1]
	v_pk_fma_f32 v[126:127], v[120:121], v[2:3], v[116:117] op_sel:[0,0,1] op_sel_hi:[1,1,0] neg_lo:[0,0,1] neg_hi:[0,0,1]
	v_pk_fma_f32 v[116:117], v[120:121], v[2:3], v[116:117] op_sel:[0,0,1] op_sel_hi:[1,0,0]
	s_delay_alu instid0(VALU_DEP_1) | instskip(SKIP_1) | instid1(VALU_DEP_1)
	v_mov_b32_e32 v127, v117
	v_pk_mul_f32 v[116:117], v[122:123], v[0:1] op_sel:[0,1]
	v_pk_fma_f32 v[120:121], v[122:123], v[2:3], v[116:117] op_sel:[0,0,1] op_sel_hi:[1,1,0] neg_lo:[0,0,1] neg_hi:[0,0,1]
	v_pk_fma_f32 v[116:117], v[122:123], v[2:3], v[116:117] op_sel:[0,0,1] op_sel_hi:[1,0,0]
	s_delay_alu instid0(VALU_DEP_1) | instskip(SKIP_1) | instid1(VALU_DEP_2)
	v_mov_b32_e32 v121, v117
	v_pk_add_f32 v[240:241], v[240:241], v[126:127] neg_lo:[0,1] neg_hi:[0,1]
	v_pk_add_f32 v[244:245], v[244:245], v[120:121] neg_lo:[0,1] neg_hi:[0,1]
	ds_load_2addr_b64 v[120:123], v6 offset0:61 offset1:62
	s_wait_dscnt 0x0
	v_pk_mul_f32 v[116:117], v[120:121], v[0:1] op_sel:[0,1]
	s_delay_alu instid0(VALU_DEP_1) | instskip(SKIP_1) | instid1(VALU_DEP_1)
	v_pk_fma_f32 v[126:127], v[120:121], v[2:3], v[116:117] op_sel:[0,0,1] op_sel_hi:[1,1,0] neg_lo:[0,0,1] neg_hi:[0,0,1]
	v_pk_fma_f32 v[116:117], v[120:121], v[2:3], v[116:117] op_sel:[0,0,1] op_sel_hi:[1,0,0]
	v_dual_mov_b32 v116, v123 :: v_dual_mov_b32 v127, v117
	v_mov_b32_e32 v117, v122
	s_delay_alu instid0(VALU_DEP_2) | instskip(NEXT) | instid1(VALU_DEP_2)
	v_pk_add_f32 v[250:251], v[250:251], v[126:127] neg_lo:[0,1] neg_hi:[0,1]
	v_pk_mul_f32 v[0:1], v[116:117], v[0:1] op_sel:[0,1]
	s_delay_alu instid0(VALU_DEP_1) | instskip(SKIP_1) | instid1(VALU_DEP_1)
	v_pk_fma_f32 v[116:117], v[122:123], v[2:3], v[0:1] neg_lo:[0,0,1] neg_hi:[0,0,1]
	v_pk_fma_f32 v[0:1], v[122:123], v[2:3], v[0:1] op_sel_hi:[1,0,1]
	v_mov_b32_e32 v117, v1
	s_delay_alu instid0(VALU_DEP_1)
	v_pk_add_f32 v[252:253], v[252:253], v[116:117] neg_lo:[0,1] neg_hi:[0,1]
.LBB125_532:
	s_or_b32 exec_lo, exec_lo, s1
	s_delay_alu instid0(SALU_CYCLE_1)
	s_mov_b32 s2, exec_lo
	s_wait_dscnt 0x0
	s_barrier_signal -1
	s_barrier_wait -1
	v_cmpx_eq_u32_e32 59, v254
	s_cbranch_execz .LBB125_539
; %bb.533:
	v_dual_mov_b32 v0, v244 :: v_dual_mov_b32 v1, v245
	v_dual_mov_b32 v2, v250 :: v_dual_mov_b32 v3, v251
	ds_store_b64 v255, v[240:241]
	ds_store_2addr_b64 v6, v[0:1], v[2:3] offset0:60 offset1:61
	ds_store_b64 v6, v[252:253] offset:496
	ds_load_b64 v[116:117], v255
	s_wait_dscnt 0x0
	v_cmp_neq_f32_e32 vcc_lo, 0, v116
	v_cmp_neq_f32_e64 s1, 0, v117
	s_or_b32 s1, vcc_lo, s1
	s_delay_alu instid0(SALU_CYCLE_1)
	s_and_b32 exec_lo, exec_lo, s1
	s_cbranch_execz .LBB125_539
; %bb.534:
	v_cmp_ngt_f32_e64 s1, |v116|, |v117|
                                        ; implicit-def: $vgpr120_vgpr121
	s_and_saveexec_b32 s4, s1
	s_delay_alu instid0(SALU_CYCLE_1)
	s_xor_b32 s1, exec_lo, s4
	s_cbranch_execz .LBB125_536
; %bb.535:
	v_div_scale_f32 v0, null, v117, v117, v116
	v_div_scale_f32 v3, vcc_lo, v116, v117, v116
	s_delay_alu instid0(VALU_DEP_2) | instskip(SKIP_1) | instid1(TRANS32_DEP_1)
	v_rcp_f32_e32 v1, v0
	v_nop
	v_fma_f32 v2, -v0, v1, 1.0
	s_delay_alu instid0(VALU_DEP_1) | instskip(NEXT) | instid1(VALU_DEP_1)
	v_fmac_f32_e32 v1, v2, v1
	v_mul_f32_e32 v2, v3, v1
	s_delay_alu instid0(VALU_DEP_1) | instskip(NEXT) | instid1(VALU_DEP_1)
	v_fma_f32 v4, -v0, v2, v3
	v_fmac_f32_e32 v2, v4, v1
	s_delay_alu instid0(VALU_DEP_1) | instskip(NEXT) | instid1(VALU_DEP_1)
	v_fma_f32 v0, -v0, v2, v3
	v_div_fmas_f32 v0, v0, v1, v2
	s_delay_alu instid0(VALU_DEP_1) | instskip(NEXT) | instid1(VALU_DEP_1)
	v_div_fixup_f32 v0, v0, v117, v116
	v_fmac_f32_e32 v117, v116, v0
	s_delay_alu instid0(VALU_DEP_1) | instskip(SKIP_1) | instid1(VALU_DEP_2)
	v_div_scale_f32 v1, null, v117, v117, 1.0
	v_div_scale_f32 v4, vcc_lo, 1.0, v117, 1.0
	v_rcp_f32_e32 v2, v1
	v_nop
	s_delay_alu instid0(TRANS32_DEP_1) | instskip(NEXT) | instid1(VALU_DEP_1)
	v_fma_f32 v3, -v1, v2, 1.0
	v_fmac_f32_e32 v2, v3, v2
	s_delay_alu instid0(VALU_DEP_1) | instskip(NEXT) | instid1(VALU_DEP_1)
	v_mul_f32_e32 v3, v4, v2
	v_fma_f32 v5, -v1, v3, v4
	s_delay_alu instid0(VALU_DEP_1) | instskip(NEXT) | instid1(VALU_DEP_1)
	v_fmac_f32_e32 v3, v5, v2
	v_fma_f32 v1, -v1, v3, v4
	s_delay_alu instid0(VALU_DEP_1) | instskip(NEXT) | instid1(VALU_DEP_1)
	v_div_fmas_f32 v1, v1, v2, v3
	v_div_fixup_f32 v1, v1, v117, 1.0
                                        ; implicit-def: $vgpr116_vgpr117
	s_delay_alu instid0(VALU_DEP_1)
	v_mul_f32_e32 v120, v0, v1
	v_xor_b32_e32 v121, 0x80000000, v1
.LBB125_536:
	s_and_not1_saveexec_b32 s1, s1
	s_cbranch_execz .LBB125_538
; %bb.537:
	v_div_scale_f32 v0, null, v116, v116, v117
	v_div_scale_f32 v3, vcc_lo, v117, v116, v117
	s_delay_alu instid0(VALU_DEP_2) | instskip(SKIP_1) | instid1(TRANS32_DEP_1)
	v_rcp_f32_e32 v1, v0
	v_nop
	v_fma_f32 v2, -v0, v1, 1.0
	s_delay_alu instid0(VALU_DEP_1) | instskip(NEXT) | instid1(VALU_DEP_1)
	v_fmac_f32_e32 v1, v2, v1
	v_mul_f32_e32 v2, v3, v1
	s_delay_alu instid0(VALU_DEP_1) | instskip(NEXT) | instid1(VALU_DEP_1)
	v_fma_f32 v4, -v0, v2, v3
	v_fmac_f32_e32 v2, v4, v1
	s_delay_alu instid0(VALU_DEP_1) | instskip(NEXT) | instid1(VALU_DEP_1)
	v_fma_f32 v0, -v0, v2, v3
	v_div_fmas_f32 v0, v0, v1, v2
	s_delay_alu instid0(VALU_DEP_1) | instskip(NEXT) | instid1(VALU_DEP_1)
	v_div_fixup_f32 v0, v0, v116, v117
	v_fmac_f32_e32 v116, v117, v0
	s_delay_alu instid0(VALU_DEP_1) | instskip(NEXT) | instid1(VALU_DEP_1)
	v_div_scale_f32 v1, null, v116, v116, 1.0
	v_rcp_f32_e32 v2, v1
	v_nop
	s_delay_alu instid0(TRANS32_DEP_1) | instskip(NEXT) | instid1(VALU_DEP_1)
	v_fma_f32 v3, -v1, v2, 1.0
	v_fmac_f32_e32 v2, v3, v2
	v_div_scale_f32 v3, vcc_lo, 1.0, v116, 1.0
	s_delay_alu instid0(VALU_DEP_1) | instskip(NEXT) | instid1(VALU_DEP_1)
	v_mul_f32_e32 v4, v3, v2
	v_fma_f32 v5, -v1, v4, v3
	s_delay_alu instid0(VALU_DEP_1) | instskip(NEXT) | instid1(VALU_DEP_1)
	v_fmac_f32_e32 v4, v5, v2
	v_fma_f32 v1, -v1, v4, v3
	s_delay_alu instid0(VALU_DEP_1) | instskip(NEXT) | instid1(VALU_DEP_1)
	v_div_fmas_f32 v1, v1, v2, v4
	v_div_fixup_f32 v120, v1, v116, 1.0
	s_delay_alu instid0(VALU_DEP_1)
	v_mul_f32_e64 v121, v0, -v120
.LBB125_538:
	s_or_b32 exec_lo, exec_lo, s1
	ds_store_b64 v255, v[120:121]
.LBB125_539:
	s_or_b32 exec_lo, exec_lo, s2
	s_wait_dscnt 0x0
	s_barrier_signal -1
	s_barrier_wait -1
	ds_load_b64 v[120:121], v255
	s_mov_b32 s1, exec_lo
	v_cmpx_lt_u32_e32 59, v254
	s_cbranch_execz .LBB125_541
; %bb.540:
	s_wait_dscnt 0x0
	v_pk_mul_f32 v[0:1], v[120:121], v[240:241] op_sel:[1,1] op_sel_hi:[0,1]
	s_delay_alu instid0(VALU_DEP_1)
	v_pk_fma_f32 v[116:117], v[120:121], v[240:241], v[0:1] op_sel_hi:[1,0,1] neg_lo:[0,0,1] neg_hi:[0,0,1]
	v_pk_fma_f32 v[122:123], v[120:121], v[240:241], v[0:1] op_sel_hi:[1,0,1]
	ds_load_2addr_b64 v[0:3], v6 offset0:60 offset1:61
	v_dual_mov_b32 v240, v116 :: v_dual_mov_b32 v241, v123
	s_wait_dscnt 0x0
	v_pk_mul_f32 v[126:127], v[0:1], v[122:123] op_sel:[0,1]
	s_delay_alu instid0(VALU_DEP_1) | instskip(SKIP_1) | instid1(VALU_DEP_1)
	v_pk_fma_f32 v[4:5], v[0:1], v[116:117], v[126:127] op_sel:[0,0,1] op_sel_hi:[1,1,0] neg_lo:[0,0,1] neg_hi:[0,0,1]
	v_pk_fma_f32 v[0:1], v[0:1], v[116:117], v[126:127] op_sel:[0,0,1] op_sel_hi:[1,0,0]
	v_mov_b32_e32 v5, v1
	v_pk_mul_f32 v[0:1], v[2:3], v[122:123] op_sel:[0,1]
	s_delay_alu instid0(VALU_DEP_2) | instskip(NEXT) | instid1(VALU_DEP_2)
	v_pk_add_f32 v[244:245], v[244:245], v[4:5] neg_lo:[0,1] neg_hi:[0,1]
	v_pk_fma_f32 v[4:5], v[2:3], v[116:117], v[0:1] op_sel:[0,0,1] op_sel_hi:[1,1,0] neg_lo:[0,0,1] neg_hi:[0,0,1]
	v_pk_fma_f32 v[0:1], v[2:3], v[116:117], v[0:1] op_sel:[0,0,1] op_sel_hi:[1,0,0]
	s_delay_alu instid0(VALU_DEP_1) | instskip(SKIP_4) | instid1(VALU_DEP_1)
	v_mov_b32_e32 v5, v1
	ds_load_b64 v[0:1], v6 offset:496
	v_pk_add_f32 v[250:251], v[250:251], v[4:5] neg_lo:[0,1] neg_hi:[0,1]
	s_wait_dscnt 0x0
	v_pk_mul_f32 v[2:3], v[0:1], v[122:123] op_sel:[1,1] op_sel_hi:[0,1]
	v_pk_fma_f32 v[4:5], v[0:1], v[116:117], v[2:3] neg_lo:[0,0,1] neg_hi:[0,0,1]
	v_pk_fma_f32 v[0:1], v[0:1], v[116:117], v[2:3] op_sel_hi:[1,0,1]
	s_delay_alu instid0(VALU_DEP_1) | instskip(NEXT) | instid1(VALU_DEP_1)
	v_mov_b32_e32 v5, v1
	v_pk_add_f32 v[252:253], v[252:253], v[4:5] neg_lo:[0,1] neg_hi:[0,1]
.LBB125_541:
	s_or_b32 exec_lo, exec_lo, s1
	s_delay_alu instid0(SALU_CYCLE_1)
	s_mov_b32 s2, exec_lo
	s_wait_dscnt 0x0
	s_barrier_signal -1
	s_barrier_wait -1
	v_cmpx_eq_u32_e32 60, v254
	s_cbranch_execz .LBB125_548
; %bb.542:
	ds_store_b64 v255, v[244:245]
	ds_store_2addr_b64 v6, v[250:251], v[252:253] offset0:61 offset1:62
	ds_load_b64 v[116:117], v255
	s_wait_dscnt 0x0
	v_cmp_neq_f32_e32 vcc_lo, 0, v116
	v_cmp_neq_f32_e64 s1, 0, v117
	s_or_b32 s1, vcc_lo, s1
	s_delay_alu instid0(SALU_CYCLE_1)
	s_and_b32 exec_lo, exec_lo, s1
	s_cbranch_execz .LBB125_548
; %bb.543:
	v_cmp_ngt_f32_e64 s1, |v116|, |v117|
                                        ; implicit-def: $vgpr122_vgpr123
	s_and_saveexec_b32 s4, s1
	s_delay_alu instid0(SALU_CYCLE_1)
	s_xor_b32 s1, exec_lo, s4
	s_cbranch_execz .LBB125_545
; %bb.544:
	v_div_scale_f32 v0, null, v117, v117, v116
	v_div_scale_f32 v3, vcc_lo, v116, v117, v116
	s_delay_alu instid0(VALU_DEP_2) | instskip(SKIP_1) | instid1(TRANS32_DEP_1)
	v_rcp_f32_e32 v1, v0
	v_nop
	v_fma_f32 v2, -v0, v1, 1.0
	s_delay_alu instid0(VALU_DEP_1) | instskip(NEXT) | instid1(VALU_DEP_1)
	v_fmac_f32_e32 v1, v2, v1
	v_mul_f32_e32 v2, v3, v1
	s_delay_alu instid0(VALU_DEP_1) | instskip(NEXT) | instid1(VALU_DEP_1)
	v_fma_f32 v4, -v0, v2, v3
	v_fmac_f32_e32 v2, v4, v1
	s_delay_alu instid0(VALU_DEP_1) | instskip(NEXT) | instid1(VALU_DEP_1)
	v_fma_f32 v0, -v0, v2, v3
	v_div_fmas_f32 v0, v0, v1, v2
	s_delay_alu instid0(VALU_DEP_1) | instskip(NEXT) | instid1(VALU_DEP_1)
	v_div_fixup_f32 v0, v0, v117, v116
	v_fmac_f32_e32 v117, v116, v0
	s_delay_alu instid0(VALU_DEP_1) | instskip(SKIP_1) | instid1(VALU_DEP_2)
	v_div_scale_f32 v1, null, v117, v117, 1.0
	v_div_scale_f32 v4, vcc_lo, 1.0, v117, 1.0
	v_rcp_f32_e32 v2, v1
	v_nop
	s_delay_alu instid0(TRANS32_DEP_1) | instskip(NEXT) | instid1(VALU_DEP_1)
	v_fma_f32 v3, -v1, v2, 1.0
	v_fmac_f32_e32 v2, v3, v2
	s_delay_alu instid0(VALU_DEP_1) | instskip(NEXT) | instid1(VALU_DEP_1)
	v_mul_f32_e32 v3, v4, v2
	v_fma_f32 v5, -v1, v3, v4
	s_delay_alu instid0(VALU_DEP_1) | instskip(NEXT) | instid1(VALU_DEP_1)
	v_fmac_f32_e32 v3, v5, v2
	v_fma_f32 v1, -v1, v3, v4
	s_delay_alu instid0(VALU_DEP_1) | instskip(NEXT) | instid1(VALU_DEP_1)
	v_div_fmas_f32 v1, v1, v2, v3
	v_div_fixup_f32 v1, v1, v117, 1.0
                                        ; implicit-def: $vgpr116_vgpr117
	s_delay_alu instid0(VALU_DEP_1)
	v_mul_f32_e32 v122, v0, v1
	v_xor_b32_e32 v123, 0x80000000, v1
.LBB125_545:
	s_and_not1_saveexec_b32 s1, s1
	s_cbranch_execz .LBB125_547
; %bb.546:
	v_div_scale_f32 v0, null, v116, v116, v117
	v_div_scale_f32 v3, vcc_lo, v117, v116, v117
	s_delay_alu instid0(VALU_DEP_2) | instskip(SKIP_1) | instid1(TRANS32_DEP_1)
	v_rcp_f32_e32 v1, v0
	v_nop
	v_fma_f32 v2, -v0, v1, 1.0
	s_delay_alu instid0(VALU_DEP_1) | instskip(NEXT) | instid1(VALU_DEP_1)
	v_fmac_f32_e32 v1, v2, v1
	v_mul_f32_e32 v2, v3, v1
	s_delay_alu instid0(VALU_DEP_1) | instskip(NEXT) | instid1(VALU_DEP_1)
	v_fma_f32 v4, -v0, v2, v3
	v_fmac_f32_e32 v2, v4, v1
	s_delay_alu instid0(VALU_DEP_1) | instskip(NEXT) | instid1(VALU_DEP_1)
	v_fma_f32 v0, -v0, v2, v3
	v_div_fmas_f32 v0, v0, v1, v2
	s_delay_alu instid0(VALU_DEP_1) | instskip(NEXT) | instid1(VALU_DEP_1)
	v_div_fixup_f32 v0, v0, v116, v117
	v_fmac_f32_e32 v116, v117, v0
	s_delay_alu instid0(VALU_DEP_1) | instskip(NEXT) | instid1(VALU_DEP_1)
	v_div_scale_f32 v1, null, v116, v116, 1.0
	v_rcp_f32_e32 v2, v1
	v_nop
	s_delay_alu instid0(TRANS32_DEP_1) | instskip(NEXT) | instid1(VALU_DEP_1)
	v_fma_f32 v3, -v1, v2, 1.0
	v_fmac_f32_e32 v2, v3, v2
	v_div_scale_f32 v3, vcc_lo, 1.0, v116, 1.0
	s_delay_alu instid0(VALU_DEP_1) | instskip(NEXT) | instid1(VALU_DEP_1)
	v_mul_f32_e32 v4, v3, v2
	v_fma_f32 v5, -v1, v4, v3
	s_delay_alu instid0(VALU_DEP_1) | instskip(NEXT) | instid1(VALU_DEP_1)
	v_fmac_f32_e32 v4, v5, v2
	v_fma_f32 v1, -v1, v4, v3
	s_delay_alu instid0(VALU_DEP_1) | instskip(NEXT) | instid1(VALU_DEP_1)
	v_div_fmas_f32 v1, v1, v2, v4
	v_div_fixup_f32 v122, v1, v116, 1.0
	s_delay_alu instid0(VALU_DEP_1)
	v_mul_f32_e64 v123, v0, -v122
.LBB125_547:
	s_or_b32 exec_lo, exec_lo, s1
	ds_store_b64 v255, v[122:123]
.LBB125_548:
	s_or_b32 exec_lo, exec_lo, s2
	s_wait_dscnt 0x0
	s_barrier_signal -1
	s_barrier_wait -1
	ds_load_b64 v[122:123], v255
	s_mov_b32 s1, exec_lo
	v_cmpx_lt_u32_e32 60, v254
	s_cbranch_execz .LBB125_550
; %bb.549:
	s_wait_dscnt 0x0
	v_pk_mul_f32 v[0:1], v[122:123], v[244:245] op_sel:[1,1] op_sel_hi:[0,1]
	v_mov_b32_e32 v7, v254
	scratch_store_b64 off, v[122:123], off offset:536 ; 8-byte Folded Spill
	v_pk_fma_f32 v[4:5], v[122:123], v[244:245], v[0:1] op_sel_hi:[1,0,1] neg_lo:[0,0,1] neg_hi:[0,0,1]
	v_pk_fma_f32 v[116:117], v[122:123], v[244:245], v[0:1] op_sel_hi:[1,0,1]
	ds_load_2addr_b64 v[0:3], v6 offset0:61 offset1:62
	s_wait_xcnt 0x0
	v_mov_b64_e32 v[122:123], v[120:121]
	v_mov_b64_e32 v[120:121], v[118:119]
	;; [unrolled: 1-line block ×4, first 2 shown]
	v_mov_b32_e32 v112, v255
	v_mov_b64_e32 v[254:255], v[110:111]
	v_mov_b64_e32 v[110:111], v[240:241]
	;; [unrolled: 1-line block ×14, first 2 shown]
	s_wait_dscnt 0x0
	v_pk_mul_f32 v[126:127], v[0:1], v[116:117] op_sel:[0,1]
	v_mov_b64_e32 v[224:225], v[222:223]
	v_mov_b64_e32 v[222:223], v[106:107]
	;; [unrolled: 1-line block ×99, first 2 shown]
	v_pk_fma_f32 v[8:9], v[0:1], v[4:5], v[126:127] op_sel:[0,0,1] op_sel_hi:[1,1,0] neg_lo:[0,0,1] neg_hi:[0,0,1]
	v_pk_fma_f32 v[0:1], v[0:1], v[4:5], v[126:127] op_sel:[0,0,1] op_sel_hi:[1,0,0]
	v_dual_mov_b32 v0, v3 :: v_dual_mov_b32 v244, v4
	s_delay_alu instid0(VALU_DEP_2) | instskip(SKIP_1) | instid1(VALU_DEP_2)
	v_dual_mov_b32 v245, v117 :: v_dual_mov_b32 v9, v1
	v_mov_b32_e32 v1, v2
	v_pk_add_f32 v[250:251], v[250:251], v[8:9] neg_lo:[0,1] neg_hi:[0,1]
	s_delay_alu instid0(VALU_DEP_2) | instskip(NEXT) | instid1(VALU_DEP_1)
	v_pk_mul_f32 v[0:1], v[0:1], v[116:117] op_sel:[0,1]
	v_pk_fma_f32 v[8:9], v[2:3], v[4:5], v[0:1] neg_lo:[0,0,1] neg_hi:[0,0,1]
	v_pk_fma_f32 v[0:1], v[2:3], v[4:5], v[0:1] op_sel_hi:[1,0,1]
	s_delay_alu instid0(VALU_DEP_1) | instskip(NEXT) | instid1(VALU_DEP_1)
	v_mov_b32_e32 v9, v1
	v_pk_add_f32 v[252:253], v[252:253], v[8:9] neg_lo:[0,1] neg_hi:[0,1]
	v_mov_b64_e32 v[8:9], v[10:11]
	v_mov_b64_e32 v[10:11], v[12:13]
	;; [unrolled: 1-line block ×113, first 2 shown]
	v_mov_b32_e32 v255, v112
	v_mov_b64_e32 v[112:113], v[114:115]
	v_mov_b64_e32 v[114:115], v[118:119]
	;; [unrolled: 1-line block ×4, first 2 shown]
	scratch_load_b64 v[122:123], off, off offset:536 ; 8-byte Folded Reload
	v_mov_b32_e32 v254, v7
.LBB125_550:
	s_wait_xcnt 0x0
	s_or_b32 exec_lo, exec_lo, s1
	s_delay_alu instid0(SALU_CYCLE_1)
	s_mov_b32 s2, exec_lo
	s_wait_storecnt 0x0
	s_wait_loadcnt_dscnt 0x0
	s_barrier_signal -1
	s_barrier_wait -1
	v_cmpx_eq_u32_e32 61, v254
	s_cbranch_execz .LBB125_557
; %bb.551:
	ds_store_b64 v255, v[250:251]
	ds_store_b64 v6, v[252:253] offset:496
	ds_load_b64 v[116:117], v255
	s_wait_dscnt 0x0
	v_cmp_neq_f32_e32 vcc_lo, 0, v116
	v_cmp_neq_f32_e64 s1, 0, v117
	s_or_b32 s1, vcc_lo, s1
	s_delay_alu instid0(SALU_CYCLE_1)
	s_and_b32 exec_lo, exec_lo, s1
	s_cbranch_execz .LBB125_557
; %bb.552:
	v_cmp_ngt_f32_e64 s1, |v116|, |v117|
                                        ; implicit-def: $vgpr126_vgpr127
	s_and_saveexec_b32 s4, s1
	s_delay_alu instid0(SALU_CYCLE_1)
	s_xor_b32 s1, exec_lo, s4
	s_cbranch_execz .LBB125_554
; %bb.553:
	v_div_scale_f32 v0, null, v117, v117, v116
	v_div_scale_f32 v3, vcc_lo, v116, v117, v116
	s_delay_alu instid0(VALU_DEP_2) | instskip(SKIP_1) | instid1(TRANS32_DEP_1)
	v_rcp_f32_e32 v1, v0
	v_nop
	v_fma_f32 v2, -v0, v1, 1.0
	s_delay_alu instid0(VALU_DEP_1) | instskip(NEXT) | instid1(VALU_DEP_1)
	v_fmac_f32_e32 v1, v2, v1
	v_mul_f32_e32 v2, v3, v1
	s_delay_alu instid0(VALU_DEP_1) | instskip(NEXT) | instid1(VALU_DEP_1)
	v_fma_f32 v4, -v0, v2, v3
	v_fmac_f32_e32 v2, v4, v1
	s_delay_alu instid0(VALU_DEP_1) | instskip(NEXT) | instid1(VALU_DEP_1)
	v_fma_f32 v0, -v0, v2, v3
	v_div_fmas_f32 v0, v0, v1, v2
	s_delay_alu instid0(VALU_DEP_1) | instskip(NEXT) | instid1(VALU_DEP_1)
	v_div_fixup_f32 v0, v0, v117, v116
	v_fmac_f32_e32 v117, v116, v0
	s_delay_alu instid0(VALU_DEP_1) | instskip(SKIP_1) | instid1(VALU_DEP_2)
	v_div_scale_f32 v1, null, v117, v117, 1.0
	v_div_scale_f32 v4, vcc_lo, 1.0, v117, 1.0
	v_rcp_f32_e32 v2, v1
	v_nop
	s_delay_alu instid0(TRANS32_DEP_1) | instskip(NEXT) | instid1(VALU_DEP_1)
	v_fma_f32 v3, -v1, v2, 1.0
	v_fmac_f32_e32 v2, v3, v2
	s_delay_alu instid0(VALU_DEP_1) | instskip(NEXT) | instid1(VALU_DEP_1)
	v_mul_f32_e32 v3, v4, v2
	v_fma_f32 v5, -v1, v3, v4
	s_delay_alu instid0(VALU_DEP_1) | instskip(NEXT) | instid1(VALU_DEP_1)
	v_fmac_f32_e32 v3, v5, v2
	v_fma_f32 v1, -v1, v3, v4
	s_delay_alu instid0(VALU_DEP_1) | instskip(NEXT) | instid1(VALU_DEP_1)
	v_div_fmas_f32 v1, v1, v2, v3
	v_div_fixup_f32 v1, v1, v117, 1.0
                                        ; implicit-def: $vgpr116_vgpr117
	s_delay_alu instid0(VALU_DEP_1)
	v_mul_f32_e32 v126, v0, v1
	v_xor_b32_e32 v127, 0x80000000, v1
.LBB125_554:
	s_and_not1_saveexec_b32 s1, s1
	s_cbranch_execz .LBB125_556
; %bb.555:
	v_div_scale_f32 v0, null, v116, v116, v117
	v_div_scale_f32 v3, vcc_lo, v117, v116, v117
	s_delay_alu instid0(VALU_DEP_2) | instskip(SKIP_1) | instid1(TRANS32_DEP_1)
	v_rcp_f32_e32 v1, v0
	v_nop
	v_fma_f32 v2, -v0, v1, 1.0
	s_delay_alu instid0(VALU_DEP_1) | instskip(NEXT) | instid1(VALU_DEP_1)
	v_fmac_f32_e32 v1, v2, v1
	v_mul_f32_e32 v2, v3, v1
	s_delay_alu instid0(VALU_DEP_1) | instskip(NEXT) | instid1(VALU_DEP_1)
	v_fma_f32 v4, -v0, v2, v3
	v_fmac_f32_e32 v2, v4, v1
	s_delay_alu instid0(VALU_DEP_1) | instskip(NEXT) | instid1(VALU_DEP_1)
	v_fma_f32 v0, -v0, v2, v3
	v_div_fmas_f32 v0, v0, v1, v2
	s_delay_alu instid0(VALU_DEP_1) | instskip(NEXT) | instid1(VALU_DEP_1)
	v_div_fixup_f32 v0, v0, v116, v117
	v_fmac_f32_e32 v116, v117, v0
	s_delay_alu instid0(VALU_DEP_1) | instskip(NEXT) | instid1(VALU_DEP_1)
	v_div_scale_f32 v1, null, v116, v116, 1.0
	v_rcp_f32_e32 v2, v1
	v_nop
	s_delay_alu instid0(TRANS32_DEP_1) | instskip(NEXT) | instid1(VALU_DEP_1)
	v_fma_f32 v3, -v1, v2, 1.0
	v_fmac_f32_e32 v2, v3, v2
	v_div_scale_f32 v3, vcc_lo, 1.0, v116, 1.0
	s_delay_alu instid0(VALU_DEP_1) | instskip(NEXT) | instid1(VALU_DEP_1)
	v_mul_f32_e32 v4, v3, v2
	v_fma_f32 v5, -v1, v4, v3
	s_delay_alu instid0(VALU_DEP_1) | instskip(NEXT) | instid1(VALU_DEP_1)
	v_fmac_f32_e32 v4, v5, v2
	v_fma_f32 v1, -v1, v4, v3
	s_delay_alu instid0(VALU_DEP_1) | instskip(NEXT) | instid1(VALU_DEP_1)
	v_div_fmas_f32 v1, v1, v2, v4
	v_div_fixup_f32 v126, v1, v116, 1.0
	s_delay_alu instid0(VALU_DEP_1)
	v_mul_f32_e64 v127, v0, -v126
.LBB125_556:
	s_or_b32 exec_lo, exec_lo, s1
	ds_store_b64 v255, v[126:127]
.LBB125_557:
	s_or_b32 exec_lo, exec_lo, s2
	s_wait_dscnt 0x0
	s_barrier_signal -1
	s_barrier_wait -1
	ds_load_b64 v[126:127], v255
	s_mov_b32 s1, exec_lo
	v_cmpx_lt_u32_e32 61, v254
	s_cbranch_execz .LBB125_559
; %bb.558:
	ds_load_b64 v[0:1], v6 offset:496
	s_wait_dscnt 0x1
	v_pk_mul_f32 v[2:3], v[126:127], v[250:251] op_sel:[1,1] op_sel_hi:[0,1]
	s_delay_alu instid0(VALU_DEP_1) | instskip(SKIP_2) | instid1(VALU_DEP_2)
	v_pk_fma_f32 v[4:5], v[126:127], v[250:251], v[2:3] op_sel_hi:[1,0,1]
	v_pk_fma_f32 v[250:251], v[126:127], v[250:251], v[2:3] op_sel_hi:[1,0,1] neg_lo:[0,0,1] neg_hi:[0,0,1]
	s_wait_dscnt 0x0
	v_pk_mul_f32 v[2:3], v[0:1], v[4:5] op_sel:[1,1] op_sel_hi:[0,1]
	s_delay_alu instid0(VALU_DEP_1) | instskip(SKIP_1) | instid1(VALU_DEP_2)
	v_pk_fma_f32 v[6:7], v[0:1], v[250:251], v[2:3] op_sel_hi:[1,0,1]
	v_pk_fma_f32 v[0:1], v[0:1], v[250:251], v[2:3] neg_lo:[0,0,1] neg_hi:[0,0,1]
	v_dual_mov_b32 v251, v5 :: v_dual_mov_b32 v1, v7
	s_delay_alu instid0(VALU_DEP_1)
	v_pk_add_f32 v[252:253], v[252:253], v[0:1] neg_lo:[0,1] neg_hi:[0,1]
.LBB125_559:
	s_or_b32 exec_lo, exec_lo, s1
	s_delay_alu instid0(SALU_CYCLE_1)
	s_mov_b32 s2, exec_lo
	s_wait_dscnt 0x0
	s_barrier_signal -1
	s_barrier_wait -1
	v_cmpx_eq_u32_e32 62, v254
	s_cbranch_execz .LBB125_566
; %bb.560:
	v_cmp_neq_f32_e32 vcc_lo, 0, v252
	v_cmp_neq_f32_e64 s1, 0, v253
	ds_store_b64 v255, v[252:253]
	s_or_b32 s1, vcc_lo, s1
	s_delay_alu instid0(SALU_CYCLE_1)
	s_and_b32 exec_lo, exec_lo, s1
	s_cbranch_execz .LBB125_566
; %bb.561:
	v_cmp_ngt_f32_e64 s1, |v252|, |v253|
                                        ; implicit-def: $vgpr116_vgpr117
	s_and_saveexec_b32 s4, s1
	s_delay_alu instid0(SALU_CYCLE_1)
	s_xor_b32 s1, exec_lo, s4
	s_cbranch_execz .LBB125_563
; %bb.562:
	v_div_scale_f32 v0, null, v253, v253, v252
	v_div_scale_f32 v3, vcc_lo, v252, v253, v252
	s_delay_alu instid0(VALU_DEP_2) | instskip(SKIP_1) | instid1(TRANS32_DEP_1)
	v_rcp_f32_e32 v1, v0
	v_nop
	v_fma_f32 v2, -v0, v1, 1.0
	s_delay_alu instid0(VALU_DEP_1) | instskip(NEXT) | instid1(VALU_DEP_1)
	v_fmac_f32_e32 v1, v2, v1
	v_mul_f32_e32 v2, v3, v1
	s_delay_alu instid0(VALU_DEP_1) | instskip(NEXT) | instid1(VALU_DEP_1)
	v_fma_f32 v4, -v0, v2, v3
	v_fmac_f32_e32 v2, v4, v1
	s_delay_alu instid0(VALU_DEP_1) | instskip(NEXT) | instid1(VALU_DEP_1)
	v_fma_f32 v0, -v0, v2, v3
	v_div_fmas_f32 v0, v0, v1, v2
	s_delay_alu instid0(VALU_DEP_1) | instskip(NEXT) | instid1(VALU_DEP_1)
	v_div_fixup_f32 v0, v0, v253, v252
	v_fma_f32 v1, v252, v0, v253
	s_delay_alu instid0(VALU_DEP_1) | instskip(SKIP_1) | instid1(VALU_DEP_2)
	v_div_scale_f32 v2, null, v1, v1, 1.0
	v_div_scale_f32 v5, vcc_lo, 1.0, v1, 1.0
	v_rcp_f32_e32 v3, v2
	v_nop
	s_delay_alu instid0(TRANS32_DEP_1) | instskip(NEXT) | instid1(VALU_DEP_1)
	v_fma_f32 v4, -v2, v3, 1.0
	v_fmac_f32_e32 v3, v4, v3
	s_delay_alu instid0(VALU_DEP_1) | instskip(NEXT) | instid1(VALU_DEP_1)
	v_mul_f32_e32 v4, v5, v3
	v_fma_f32 v6, -v2, v4, v5
	s_delay_alu instid0(VALU_DEP_1) | instskip(NEXT) | instid1(VALU_DEP_1)
	v_fmac_f32_e32 v4, v6, v3
	v_fma_f32 v2, -v2, v4, v5
	s_delay_alu instid0(VALU_DEP_1) | instskip(NEXT) | instid1(VALU_DEP_1)
	v_div_fmas_f32 v2, v2, v3, v4
	v_div_fixup_f32 v1, v2, v1, 1.0
	s_delay_alu instid0(VALU_DEP_1)
	v_mul_f32_e32 v116, v0, v1
	v_xor_b32_e32 v117, 0x80000000, v1
.LBB125_563:
	s_and_not1_saveexec_b32 s1, s1
	s_cbranch_execz .LBB125_565
; %bb.564:
	v_div_scale_f32 v0, null, v252, v252, v253
	v_div_scale_f32 v3, vcc_lo, v253, v252, v253
	s_delay_alu instid0(VALU_DEP_2) | instskip(SKIP_1) | instid1(TRANS32_DEP_1)
	v_rcp_f32_e32 v1, v0
	v_nop
	v_fma_f32 v2, -v0, v1, 1.0
	s_delay_alu instid0(VALU_DEP_1) | instskip(NEXT) | instid1(VALU_DEP_1)
	v_fmac_f32_e32 v1, v2, v1
	v_mul_f32_e32 v2, v3, v1
	s_delay_alu instid0(VALU_DEP_1) | instskip(NEXT) | instid1(VALU_DEP_1)
	v_fma_f32 v4, -v0, v2, v3
	v_fmac_f32_e32 v2, v4, v1
	s_delay_alu instid0(VALU_DEP_1) | instskip(NEXT) | instid1(VALU_DEP_1)
	v_fma_f32 v0, -v0, v2, v3
	v_div_fmas_f32 v0, v0, v1, v2
	s_delay_alu instid0(VALU_DEP_1) | instskip(NEXT) | instid1(VALU_DEP_1)
	v_div_fixup_f32 v0, v0, v252, v253
	v_fma_f32 v1, v253, v0, v252
	s_delay_alu instid0(VALU_DEP_1) | instskip(NEXT) | instid1(VALU_DEP_1)
	v_div_scale_f32 v2, null, v1, v1, 1.0
	v_rcp_f32_e32 v3, v2
	v_nop
	s_delay_alu instid0(TRANS32_DEP_1) | instskip(NEXT) | instid1(VALU_DEP_1)
	v_fma_f32 v4, -v2, v3, 1.0
	v_fmac_f32_e32 v3, v4, v3
	v_div_scale_f32 v4, vcc_lo, 1.0, v1, 1.0
	s_delay_alu instid0(VALU_DEP_1) | instskip(NEXT) | instid1(VALU_DEP_1)
	v_mul_f32_e32 v5, v4, v3
	v_fma_f32 v6, -v2, v5, v4
	s_delay_alu instid0(VALU_DEP_1) | instskip(NEXT) | instid1(VALU_DEP_1)
	v_fmac_f32_e32 v5, v6, v3
	v_fma_f32 v2, -v2, v5, v4
	s_delay_alu instid0(VALU_DEP_1) | instskip(NEXT) | instid1(VALU_DEP_1)
	v_div_fmas_f32 v2, v2, v3, v5
	v_div_fixup_f32 v116, v2, v1, 1.0
	s_delay_alu instid0(VALU_DEP_1)
	v_mul_f32_e64 v117, v0, -v116
.LBB125_565:
	s_or_b32 exec_lo, exec_lo, s1
	ds_store_b64 v255, v[116:117]
.LBB125_566:
	s_or_b32 exec_lo, exec_lo, s2
	s_wait_dscnt 0x0
	s_barrier_signal -1
	s_barrier_wait -1
	ds_load_b64 v[116:117], v255
	s_wait_dscnt 0x0
	s_barrier_signal -1
	s_barrier_wait -1
	s_and_saveexec_b32 s2, s0
	s_cbranch_execz .LBB125_569
; %bb.567:
	s_clause 0x1
	scratch_load_b64 v[0:1], off, off offset:504 th:TH_LOAD_LU
	scratch_load_b64 v[2:3], off, off offset:512 th:TH_LOAD_LU
	s_wait_loadcnt 0x1
	v_cmp_eq_f32_e32 vcc_lo, 0, v0
	v_cmp_eq_f32_e64 s0, 0, v1
	s_and_b32 s1, vcc_lo, s0
	s_wait_loadcnt 0x0
	v_cmp_neq_f32_e32 vcc_lo, 0, v2
	v_cmp_neq_f32_e64 s0, 0, v3
	scratch_load_b64 v[2:3], off, off offset:520 th:TH_LOAD_LU ; 8-byte Folded Reload
	v_cndmask_b32_e64 v0, 0, 1, s1
	s_or_b32 s0, vcc_lo, s0
	s_delay_alu instid0(SALU_CYCLE_1) | instskip(SKIP_1) | instid1(VALU_DEP_2)
	s_or_b32 vcc_lo, s0, s1
	v_cmp_eq_f32_e64 s1, 0, v117
	v_cndmask_b32_e32 v0, 2, v0, vcc_lo
	s_wait_loadcnt 0x0
	v_cmp_eq_f32_e32 vcc_lo, 0, v2
	v_cmp_eq_f32_e64 s0, 0, v3
	scratch_load_b64 v[2:3], off, off offset:528 th:TH_LOAD_LU ; 8-byte Folded Reload
	s_and_b32 s0, vcc_lo, s0
	v_cmp_eq_u32_e32 vcc_lo, 0, v0
	s_and_b32 s0, s0, vcc_lo
	s_delay_alu instid0(SALU_CYCLE_1)
	v_cndmask_b32_e64 v0, v0, 3, s0
	s_wait_loadcnt 0x0
	v_cmp_eq_f32_e32 vcc_lo, 0, v2
	v_cmp_eq_f32_e64 s0, 0, v3
	s_and_b32 s0, vcc_lo, s0
	v_cmp_eq_u32_e32 vcc_lo, 0, v0
	s_and_b32 s0, s0, vcc_lo
	v_cmp_eq_f32_e32 vcc_lo, 0, v8
	v_cndmask_b32_e64 v0, v0, 4, s0
	v_cmp_eq_f32_e64 s0, 0, v9
	s_and_b32 s0, vcc_lo, s0
	v_cmp_eq_u32_e32 vcc_lo, 0, v0
	s_and_b32 s0, s0, vcc_lo
	v_cmp_eq_f32_e32 vcc_lo, 0, v10
	v_cndmask_b32_e64 v0, v0, 5, s0
	;; [unrolled: 6-line block ×58, first 2 shown]
	v_cmp_eq_f32_e64 s0, 0, v127
	s_and_b32 s0, vcc_lo, s0
	v_cmp_eq_u32_e32 vcc_lo, 0, v0
	s_and_b32 s0, s0, vcc_lo
	s_delay_alu instid0(SALU_CYCLE_1) | instskip(SKIP_1) | instid1(VALU_DEP_2)
	v_cndmask_b32_e64 v0, v0, 62, s0
	v_cmp_eq_f32_e64 s0, 0, v116
	v_cmp_eq_u32_e32 vcc_lo, 0, v0
	s_and_b32 s0, s0, s1
	s_delay_alu instid0(SALU_CYCLE_1) | instskip(NEXT) | instid1(SALU_CYCLE_1)
	s_and_b32 s0, s0, vcc_lo
	v_cndmask_b32_e64 v2, v0, 63, s0
	v_lshl_add_u64 v[0:1], v[124:125], 2, s[6:7]
	s_delay_alu instid0(VALU_DEP_2) | instskip(SKIP_4) | instid1(SALU_CYCLE_1)
	v_cmp_ne_u32_e64 s0, 0, v2
	global_load_b32 v3, v[0:1], off
	s_wait_loadcnt 0x0
	v_cmp_eq_u32_e32 vcc_lo, 0, v3
	s_and_b32 s0, vcc_lo, s0
	s_and_b32 exec_lo, exec_lo, s0
	s_cbranch_execz .LBB125_569
; %bb.568:
	v_add_nc_u32_e32 v2, s3, v2
	global_store_b32 v[0:1], v2, off
.LBB125_569:
	s_wait_xcnt 0x0
	s_or_b32 exec_lo, exec_lo, s2
	s_clause 0x1
	scratch_load_b64 v[0:1], off, off offset:24 th:TH_LOAD_LU
	scratch_load_b64 v[4:5], off, off th:TH_LOAD_LU
	v_cmp_lt_u32_e32 vcc_lo, 62, v254
	s_wait_loadcnt 0x1
	global_store_b64 v[0:1], v[142:143], off
	scratch_load_b64 v[0:1], off, off offset:496 th:TH_LOAD_LU ; 8-byte Folded Reload
	s_wait_loadcnt 0x0
	global_store_b64 v[0:1], v[144:145], off
	s_wait_xcnt 0x0
	v_pk_mul_f32 v[0:1], v[116:117], v[252:253] op_sel:[1,1] op_sel_hi:[0,1]
	s_delay_alu instid0(VALU_DEP_1) | instskip(SKIP_1) | instid1(VALU_DEP_1)
	v_pk_fma_f32 v[2:3], v[116:117], v[252:253], v[0:1] op_sel_hi:[1,0,1]
	v_pk_fma_f32 v[0:1], v[116:117], v[252:253], v[0:1] neg_lo:[0,0,1] neg_hi:[0,0,1]
	v_dual_cndmask_b32 v1, v253, v3 :: v_dual_cndmask_b32 v0, v252, v0
	scratch_load_b64 v[2:3], off, off offset:8 th:TH_LOAD_LU ; 8-byte Folded Reload
	global_store_b64 v[4:5], v[140:141], off
	scratch_load_b64 v[4:5], off, off offset:32 th:TH_LOAD_LU ; 8-byte Folded Reload
	s_wait_loadcnt 0x0
	global_store_b64 v[4:5], v[138:139], off
	scratch_load_b64 v[4:5], off, off offset:40 th:TH_LOAD_LU ; 8-byte Folded Reload
	s_wait_loadcnt 0x0
	s_clause 0x1
	global_store_b64 v[4:5], v[134:135], off
	global_store_b64 v[2:3], v[130:131], off
	scratch_load_b64 v[2:3], off, off offset:16 th:TH_LOAD_LU ; 8-byte Folded Reload
	s_wait_loadcnt 0x0
	global_store_b64 v[2:3], v[132:133], off
	scratch_load_b64 v[2:3], off, off offset:48 th:TH_LOAD_LU ; 8-byte Folded Reload
	s_wait_loadcnt 0x0
	;; [unrolled: 3-line block ×57, first 2 shown]
	global_store_b64 v[2:3], v[0:1], off
.LBB125_570:
	s_sendmsg sendmsg(MSG_DEALLOC_VGPRS)
	s_endpgm
	.section	.rodata,"a",@progbits
	.p2align	6, 0x0
	.amdhsa_kernel _ZN9rocsolver6v33100L23getf2_npvt_small_kernelILi63E19rocblas_complex_numIfEiiPS3_EEvT1_T3_lS5_lPT2_S5_S5_
		.amdhsa_group_segment_fixed_size 0
		.amdhsa_private_segment_fixed_size 548
		.amdhsa_kernarg_size 312
		.amdhsa_user_sgpr_count 2
		.amdhsa_user_sgpr_dispatch_ptr 0
		.amdhsa_user_sgpr_queue_ptr 0
		.amdhsa_user_sgpr_kernarg_segment_ptr 1
		.amdhsa_user_sgpr_dispatch_id 0
		.amdhsa_user_sgpr_kernarg_preload_length 0
		.amdhsa_user_sgpr_kernarg_preload_offset 0
		.amdhsa_user_sgpr_private_segment_size 0
		.amdhsa_wavefront_size32 1
		.amdhsa_uses_dynamic_stack 0
		.amdhsa_enable_private_segment 1
		.amdhsa_system_sgpr_workgroup_id_x 1
		.amdhsa_system_sgpr_workgroup_id_y 1
		.amdhsa_system_sgpr_workgroup_id_z 0
		.amdhsa_system_sgpr_workgroup_info 0
		.amdhsa_system_vgpr_workitem_id 1
		.amdhsa_next_free_vgpr 256
		.amdhsa_next_free_sgpr 14
		.amdhsa_named_barrier_count 0
		.amdhsa_reserve_vcc 1
		.amdhsa_float_round_mode_32 0
		.amdhsa_float_round_mode_16_64 0
		.amdhsa_float_denorm_mode_32 3
		.amdhsa_float_denorm_mode_16_64 3
		.amdhsa_fp16_overflow 0
		.amdhsa_memory_ordered 1
		.amdhsa_forward_progress 1
		.amdhsa_inst_pref_size 255
		.amdhsa_round_robin_scheduling 0
		.amdhsa_exception_fp_ieee_invalid_op 0
		.amdhsa_exception_fp_denorm_src 0
		.amdhsa_exception_fp_ieee_div_zero 0
		.amdhsa_exception_fp_ieee_overflow 0
		.amdhsa_exception_fp_ieee_underflow 0
		.amdhsa_exception_fp_ieee_inexact 0
		.amdhsa_exception_int_div_zero 0
	.end_amdhsa_kernel
	.section	.text._ZN9rocsolver6v33100L23getf2_npvt_small_kernelILi63E19rocblas_complex_numIfEiiPS3_EEvT1_T3_lS5_lPT2_S5_S5_,"axG",@progbits,_ZN9rocsolver6v33100L23getf2_npvt_small_kernelILi63E19rocblas_complex_numIfEiiPS3_EEvT1_T3_lS5_lPT2_S5_S5_,comdat
.Lfunc_end125:
	.size	_ZN9rocsolver6v33100L23getf2_npvt_small_kernelILi63E19rocblas_complex_numIfEiiPS3_EEvT1_T3_lS5_lPT2_S5_S5_, .Lfunc_end125-_ZN9rocsolver6v33100L23getf2_npvt_small_kernelILi63E19rocblas_complex_numIfEiiPS3_EEvT1_T3_lS5_lPT2_S5_S5_
                                        ; -- End function
	.set _ZN9rocsolver6v33100L23getf2_npvt_small_kernelILi63E19rocblas_complex_numIfEiiPS3_EEvT1_T3_lS5_lPT2_S5_S5_.num_vgpr, 256
	.set _ZN9rocsolver6v33100L23getf2_npvt_small_kernelILi63E19rocblas_complex_numIfEiiPS3_EEvT1_T3_lS5_lPT2_S5_S5_.num_agpr, 0
	.set _ZN9rocsolver6v33100L23getf2_npvt_small_kernelILi63E19rocblas_complex_numIfEiiPS3_EEvT1_T3_lS5_lPT2_S5_S5_.numbered_sgpr, 14
	.set _ZN9rocsolver6v33100L23getf2_npvt_small_kernelILi63E19rocblas_complex_numIfEiiPS3_EEvT1_T3_lS5_lPT2_S5_S5_.num_named_barrier, 0
	.set _ZN9rocsolver6v33100L23getf2_npvt_small_kernelILi63E19rocblas_complex_numIfEiiPS3_EEvT1_T3_lS5_lPT2_S5_S5_.private_seg_size, 548
	.set _ZN9rocsolver6v33100L23getf2_npvt_small_kernelILi63E19rocblas_complex_numIfEiiPS3_EEvT1_T3_lS5_lPT2_S5_S5_.uses_vcc, 1
	.set _ZN9rocsolver6v33100L23getf2_npvt_small_kernelILi63E19rocblas_complex_numIfEiiPS3_EEvT1_T3_lS5_lPT2_S5_S5_.uses_flat_scratch, 1
	.set _ZN9rocsolver6v33100L23getf2_npvt_small_kernelILi63E19rocblas_complex_numIfEiiPS3_EEvT1_T3_lS5_lPT2_S5_S5_.has_dyn_sized_stack, 0
	.set _ZN9rocsolver6v33100L23getf2_npvt_small_kernelILi63E19rocblas_complex_numIfEiiPS3_EEvT1_T3_lS5_lPT2_S5_S5_.has_recursion, 0
	.set _ZN9rocsolver6v33100L23getf2_npvt_small_kernelILi63E19rocblas_complex_numIfEiiPS3_EEvT1_T3_lS5_lPT2_S5_S5_.has_indirect_call, 0
	.section	.AMDGPU.csdata,"",@progbits
; Kernel info:
; codeLenInByte = 159704
; TotalNumSgprs: 16
; NumVgprs: 256
; ScratchSize: 548
; MemoryBound: 0
; FloatMode: 240
; IeeeMode: 1
; LDSByteSize: 0 bytes/workgroup (compile time only)
; SGPRBlocks: 0
; VGPRBlocks: 15
; NumSGPRsForWavesPerEU: 16
; NumVGPRsForWavesPerEU: 256
; NamedBarCnt: 0
; Occupancy: 4
; WaveLimiterHint : 0
; COMPUTE_PGM_RSRC2:SCRATCH_EN: 1
; COMPUTE_PGM_RSRC2:USER_SGPR: 2
; COMPUTE_PGM_RSRC2:TRAP_HANDLER: 0
; COMPUTE_PGM_RSRC2:TGID_X_EN: 1
; COMPUTE_PGM_RSRC2:TGID_Y_EN: 1
; COMPUTE_PGM_RSRC2:TGID_Z_EN: 0
; COMPUTE_PGM_RSRC2:TIDIG_COMP_CNT: 1
	.section	.text._ZN9rocsolver6v33100L18getf2_small_kernelILi64E19rocblas_complex_numIfEiiPS3_EEvT1_T3_lS5_lPS5_llPT2_S5_S5_S7_l,"axG",@progbits,_ZN9rocsolver6v33100L18getf2_small_kernelILi64E19rocblas_complex_numIfEiiPS3_EEvT1_T3_lS5_lPS5_llPT2_S5_S5_S7_l,comdat
	.globl	_ZN9rocsolver6v33100L18getf2_small_kernelILi64E19rocblas_complex_numIfEiiPS3_EEvT1_T3_lS5_lPS5_llPT2_S5_S5_S7_l ; -- Begin function _ZN9rocsolver6v33100L18getf2_small_kernelILi64E19rocblas_complex_numIfEiiPS3_EEvT1_T3_lS5_lPS5_llPT2_S5_S5_S7_l
	.p2align	8
	.type	_ZN9rocsolver6v33100L18getf2_small_kernelILi64E19rocblas_complex_numIfEiiPS3_EEvT1_T3_lS5_lPS5_llPT2_S5_S5_S7_l,@function
_ZN9rocsolver6v33100L18getf2_small_kernelILi64E19rocblas_complex_numIfEiiPS3_EEvT1_T3_lS5_lPS5_llPT2_S5_S5_S7_l: ; @_ZN9rocsolver6v33100L18getf2_small_kernelILi64E19rocblas_complex_numIfEiiPS3_EEvT1_T3_lS5_lPS5_llPT2_S5_S5_S7_l
; %bb.0:
	s_clause 0x1
	s_load_u16 s2, s[0:1], 0x6e
	s_load_b64 s[16:17], s[0:1], 0x48
	s_bfe_u32 s3, ttmp6, 0x40010
	s_bfe_u32 s4, ttmp6, 0x40004
	s_add_co_i32 s3, s3, 1
	s_getreg_b32 s5, hwreg(HW_REG_IB_STS2, 6, 4)
	s_mul_i32 s3, ttmp7, s3
	v_bfe_u32 v136, v0, 10, 10
	s_add_co_i32 s4, s4, s3
	s_cmp_eq_u32 s5, 0
	s_cselect_b32 s3, ttmp7, s4
	s_wait_kmcnt 0x0
	v_mad_u32 v2, s3, s2, v136
	s_mov_b32 s2, exec_lo
	s_delay_alu instid0(VALU_DEP_1)
	v_cmpx_gt_i32_e64 s16, v2
	s_cbranch_execnz .LBB126_1
; %bb.1346:
	s_add_pc_i64 .LBB126_1345-.Lpost_addpc18
.Lpost_addpc18:
.LBB126_1:
	s_load_b128 s[4:7], s[0:1], 0x50
	v_mov_b64_e32 v[4:5], 0
	v_ashrrev_i32_e32 v3, 31, v2
	s_wait_kmcnt 0x0
	s_cmp_eq_u64 s[4:5], 0
	s_cselect_b32 s16, -1, 0
	s_delay_alu instid0(SALU_CYCLE_1)
	s_and_b32 vcc_lo, exec_lo, s16
	s_cbranch_vccnz .LBB126_3
; %bb.2:
	v_mul_u64_e32 v[4:5], s[6:7], v[2:3]
	s_delay_alu instid0(VALU_DEP_1)
	v_lshl_add_u64 v[4:5], v[4:5], 2, s[4:5]
.LBB126_3:
	s_clause 0x2
	s_load_b32 s2, s[0:1], 0x18
	s_load_b128 s[12:15], s[0:1], 0x8
	s_load_b32 s18, s[0:1], 0x0
	v_and_b32_e32 v141, 0x3ff, v0
	s_load_b256 s[4:11], s[0:1], 0x20
	s_delay_alu instid0(VALU_DEP_1) | instskip(SKIP_4) | instid1(VALU_DEP_2)
	v_dual_mov_b32 v135, 0 :: v_dual_lshlrev_b32 v134, 3, v141
	s_wait_kmcnt 0x0
	v_add3_u32 v8, s2, s2, v141
	s_ashr_i32 s3, s2, 31
	v_mul_u64_e32 v[0:1], s[4:5], v[2:3]
	v_add_nc_u32_e32 v6, s2, v8
	s_max_i32 s4, s18, 64
	s_cmp_lt_i32 s18, 2
	s_delay_alu instid0(VALU_DEP_1) | instskip(NEXT) | instid1(VALU_DEP_1)
	v_dual_ashrrev_i32 v9, 31, v8 :: v_dual_add_nc_u32 v10, s2, v6
	v_add_nc_u32_e32 v12, s2, v10
	s_delay_alu instid0(VALU_DEP_1) | instskip(NEXT) | instid1(VALU_DEP_1)
	v_dual_ashrrev_i32 v7, 31, v6 :: v_dual_add_nc_u32 v14, s2, v12
	v_dual_ashrrev_i32 v13, 31, v12 :: v_dual_ashrrev_i32 v15, 31, v14
	v_add_nc_u32_e32 v16, s2, v14
	s_delay_alu instid0(VALU_DEP_1) | instskip(NEXT) | instid1(VALU_DEP_1)
	v_add_nc_u32_e32 v18, s2, v16
	v_add_nc_u32_e32 v20, s2, v18
	v_lshl_add_u64 v[0:1], v[0:1], 3, s[12:13]
	s_delay_alu instid0(VALU_DEP_2) | instskip(NEXT) | instid1(VALU_DEP_2)
	v_add_nc_u32_e32 v22, s2, v20
	v_lshl_add_u64 v[0:1], s[14:15], 3, v[0:1]
	s_delay_alu instid0(VALU_DEP_2) | instskip(NEXT) | instid1(VALU_DEP_2)
	v_add_nc_u32_e32 v24, s2, v22
	v_add_nc_u64_e32 v[40:41], v[0:1], v[134:135]
	v_lshl_add_u64 v[12:13], v[12:13], 3, v[0:1]
	v_lshl_add_u64 v[14:15], v[14:15], 3, v[0:1]
	;; [unrolled: 1-line block ×3, first 2 shown]
	v_dual_add_nc_u32 v26, s2, v24 :: v_dual_ashrrev_i32 v19, 31, v18
	v_ashrrev_i32_e32 v21, 31, v20
	v_lshl_add_u64 v[6:7], v[6:7], 3, v[0:1]
	v_ashrrev_i32_e32 v23, 31, v22
	s_delay_alu instid0(VALU_DEP_4) | instskip(SKIP_3) | instid1(VALU_DEP_4)
	v_add_nc_u32_e32 v28, s2, v26
	v_lshl_add_u64 v[18:19], v[18:19], 3, v[0:1]
	v_lshl_add_u64 v[20:21], v[20:21], 3, v[0:1]
	v_dual_ashrrev_i32 v25, 31, v24 :: v_dual_ashrrev_i32 v27, 31, v26
	v_add_nc_u32_e32 v30, s2, v28
	s_delay_alu instid0(VALU_DEP_1) | instskip(NEXT) | instid1(VALU_DEP_1)
	v_add_nc_u32_e32 v32, s2, v30
	v_add_nc_u32_e32 v34, s2, v32
	s_delay_alu instid0(VALU_DEP_1) | instskip(NEXT) | instid1(VALU_DEP_1)
	v_dual_ashrrev_i32 v29, 31, v28 :: v_dual_add_nc_u32 v36, s2, v34
	v_dual_add_nc_u32 v38, s2, v36 :: v_dual_ashrrev_i32 v31, 31, v30
	v_ashrrev_i32_e32 v33, 31, v32
	s_delay_alu instid0(VALU_DEP_2) | instskip(NEXT) | instid1(VALU_DEP_1)
	v_dual_ashrrev_i32 v37, 31, v36 :: v_dual_add_nc_u32 v42, s2, v38
	v_add_nc_u32_e32 v46, s2, v42
	s_delay_alu instid0(VALU_DEP_1) | instskip(NEXT) | instid1(VALU_DEP_1)
	v_add_nc_u32_e32 v48, s2, v46
	v_dual_ashrrev_i32 v39, 31, v38 :: v_dual_ashrrev_i32 v49, 31, v48
	v_dual_add_nc_u32 v52, s2, v48 :: v_dual_ashrrev_i32 v11, 31, v10
	s_delay_alu instid0(VALU_DEP_1) | instskip(SKIP_2) | instid1(VALU_DEP_4)
	v_dual_ashrrev_i32 v43, 31, v42 :: v_dual_ashrrev_i32 v53, 31, v52
	v_add_nc_u32_e32 v54, s2, v52
	v_ashrrev_i32_e32 v17, 31, v16
	v_lshl_add_u64 v[10:11], v[10:11], 3, v[0:1]
	s_delay_alu instid0(VALU_DEP_3) | instskip(NEXT) | instid1(VALU_DEP_3)
	v_add_nc_u32_e32 v56, s2, v54
	v_lshl_add_u64 v[16:17], v[16:17], 3, v[0:1]
	s_clause 0x3
	global_load_b64 v[122:123], v[10:11], off
	global_load_b64 v[120:121], v[12:13], off
	;; [unrolled: 1-line block ×4, first 2 shown]
	s_wait_xcnt 0x3
	v_lshl_add_u64 v[10:11], s[2:3], 3, v[40:41]
	v_add_nc_u32_e32 v58, s2, v56
	s_clause 0x3
	global_load_b64 v[126:127], v[8:9], off
	global_load_b64 v[124:125], v[6:7], off
	;; [unrolled: 1-line block ×4, first 2 shown]
	s_wait_xcnt 0x6
	v_lshl_add_u64 v[12:13], v[22:23], 3, v[0:1]
	s_wait_xcnt 0x2
	v_lshl_add_u64 v[6:7], v[24:25], 3, v[0:1]
	s_clause 0x3
	global_load_b64 v[118:119], v[18:19], off
	global_load_b64 v[114:115], v[20:21], off
	;; [unrolled: 1-line block ×4, first 2 shown]
	v_add_nc_u32_e32 v60, s2, v58
	s_wait_xcnt 0x4
	v_lshl_add_u64 v[10:11], v[26:27], 3, v[0:1]
	v_lshl_add_u64 v[16:17], v[28:29], 3, v[0:1]
	s_wait_xcnt 0x3
	v_lshl_add_u64 v[18:19], v[30:31], 3, v[0:1]
	s_wait_xcnt 0x2
	v_lshl_add_u64 v[20:21], v[32:33], 3, v[0:1]
	v_add_nc_u32_e32 v62, s2, v60
	s_clause 0x3
	global_load_b64 v[110:111], v[10:11], off
	global_load_b64 v[106:107], v[16:17], off
	;; [unrolled: 1-line block ×4, first 2 shown]
	v_lshl_add_u64 v[24:25], v[38:39], 3, v[0:1]
	v_lshl_add_u64 v[26:27], v[42:43], 3, v[0:1]
	v_dual_ashrrev_i32 v47, 31, v46 :: v_dual_ashrrev_i32 v57, 31, v56
	v_add_nc_u32_e32 v14, s2, v62
	v_ashrrev_i32_e32 v55, 31, v54
	s_wait_xcnt 0x0
	v_lshl_add_u64 v[20:21], v[36:37], 3, v[0:1]
	s_delay_alu instid0(VALU_DEP_3) | instskip(NEXT) | instid1(VALU_DEP_3)
	v_dual_ashrrev_i32 v61, 31, v60 :: v_dual_add_nc_u32 v8, s2, v14
	v_lshl_add_u64 v[32:33], v[54:55], 3, v[0:1]
	s_delay_alu instid0(VALU_DEP_2) | instskip(SKIP_1) | instid1(VALU_DEP_2)
	v_dual_ashrrev_i32 v59, 31, v58 :: v_dual_ashrrev_i32 v9, 31, v8
	v_add_nc_u32_e32 v6, s2, v8
	v_lshl_add_u64 v[8:9], v[8:9], 3, v[0:1]
	s_delay_alu instid0(VALU_DEP_2) | instskip(SKIP_1) | instid1(VALU_DEP_2)
	v_add_nc_u32_e32 v12, s2, v6
	v_ashrrev_i32_e32 v35, 31, v34
	v_dual_ashrrev_i32 v63, 31, v62 :: v_dual_ashrrev_i32 v13, 31, v12
	v_add_nc_u32_e32 v22, s2, v12
	s_delay_alu instid0(VALU_DEP_3)
	v_lshl_add_u64 v[16:17], v[34:35], 3, v[0:1]
	s_clause 0x3
	global_load_b64 v[104:105], v[16:17], off
	global_load_b64 v[100:101], v[20:21], off
	global_load_b64 v[102:103], v[24:25], off
	global_load_b64 v[38:39], v[26:27], off
	v_add_nc_u32_e32 v10, s2, v22
	s_wait_xcnt 0x2
	v_lshl_add_u64 v[20:21], v[46:47], 3, v[0:1]
	s_wait_xcnt 0x1
	v_lshl_add_u64 v[24:25], v[48:49], 3, v[0:1]
	;; [unrolled: 2-line block ×3, first 2 shown]
	s_clause 0x3
	global_load_b64 v[98:99], v[20:21], off
	global_load_b64 v[94:95], v[24:25], off
	;; [unrolled: 1-line block ×4, first 2 shown]
	v_add_nc_u32_e32 v18, s2, v10
	s_wait_xcnt 0x2
	v_lshl_add_u64 v[24:25], v[56:57], 3, v[0:1]
	s_wait_xcnt 0x1
	v_lshl_add_u64 v[26:27], v[58:59], 3, v[0:1]
	v_lshl_add_u64 v[46:47], v[60:61], 3, v[0:1]
	;; [unrolled: 1-line block ×3, first 2 shown]
	v_add_nc_u32_e32 v28, s2, v18
	s_clause 0x3
	global_load_b64 v[92:93], v[24:25], off
	global_load_b64 v[88:89], v[26:27], off
	;; [unrolled: 1-line block ×4, first 2 shown]
	v_ashrrev_i32_e32 v7, 31, v6
	v_lshl_add_u64 v[12:13], v[12:13], 3, v[0:1]
	v_dual_add_nc_u32 v16, s2, v28 :: v_dual_ashrrev_i32 v29, 31, v28
	s_delay_alu instid0(VALU_DEP_3) | instskip(NEXT) | instid1(VALU_DEP_2)
	v_lshl_add_u64 v[6:7], v[6:7], 3, v[0:1]
	v_dual_add_nc_u32 v30, s2, v16 :: v_dual_ashrrev_i32 v19, 31, v18
	s_delay_alu instid0(VALU_DEP_1) | instskip(SKIP_1) | instid1(VALU_DEP_2)
	v_dual_ashrrev_i32 v17, 31, v16 :: v_dual_add_nc_u32 v42, s2, v30
	v_ashrrev_i32_e32 v31, 31, v30
	v_add_nc_u32_e32 v20, s2, v42
	s_wait_xcnt 0x4
	s_delay_alu instid0(VALU_DEP_1) | instskip(NEXT) | instid1(VALU_DEP_1)
	v_add_nc_u32_e32 v32, s2, v20
	v_dual_add_nc_u32 v52, s2, v32 :: v_dual_ashrrev_i32 v43, 31, v42
	v_ashrrev_i32_e32 v33, 31, v32
	s_wait_xcnt 0x1
	s_delay_alu instid0(VALU_DEP_2) | instskip(SKIP_2) | instid1(VALU_DEP_2)
	v_dual_add_nc_u32 v46, s2, v52 :: v_dual_ashrrev_i32 v11, 31, v10
	v_ashrrev_i32_e32 v21, 31, v20
	s_wait_xcnt 0x0
	v_dual_ashrrev_i32 v53, 31, v52 :: v_dual_add_nc_u32 v48, s2, v46
	v_ashrrev_i32_e32 v15, 31, v14
	v_lshl_add_u64 v[10:11], v[10:11], 3, v[0:1]
	v_lshl_add_u64 v[20:21], v[20:21], 3, v[0:1]
	s_delay_alu instid0(VALU_DEP_4) | instskip(NEXT) | instid1(VALU_DEP_4)
	v_add_nc_u32_e32 v54, s2, v48
	v_lshl_add_u64 v[14:15], v[14:15], 3, v[0:1]
	s_clause 0x3
	global_load_b64 v[86:87], v[14:15], off
	global_load_b64 v[82:83], v[8:9], off
	;; [unrolled: 1-line block ×4, first 2 shown]
	s_wait_xcnt 0x1
	v_add_nc_u32_e32 v6, s2, v54
	v_lshl_add_u64 v[14:15], v[18:19], 3, v[0:1]
	v_lshl_add_u64 v[18:19], v[28:29], 3, v[0:1]
	s_wait_xcnt 0x0
	s_delay_alu instid0(VALU_DEP_3) | instskip(SKIP_1) | instid1(VALU_DEP_2)
	v_dual_ashrrev_i32 v49, 31, v48 :: v_dual_add_nc_u32 v12, s2, v6
	v_ashrrev_i32_e32 v23, 31, v22
	v_dual_ashrrev_i32 v55, 31, v54 :: v_dual_ashrrev_i32 v13, 31, v12
	v_add_nc_u32_e32 v28, s2, v12
	s_delay_alu instid0(VALU_DEP_3)
	v_lshl_add_u64 v[8:9], v[22:23], 3, v[0:1]
	s_clause 0x3
	global_load_b64 v[80:81], v[8:9], off
	global_load_b64 v[76:77], v[10:11], off
	;; [unrolled: 1-line block ×4, first 2 shown]
	s_wait_xcnt 0x3
	v_add_nc_u32_e32 v8, s2, v28
	s_wait_xcnt 0x2
	v_lshl_add_u64 v[10:11], v[16:17], 3, v[0:1]
	v_lshl_add_u64 v[16:17], v[30:31], 3, v[0:1]
	s_wait_xcnt 0x0
	v_lshl_add_u64 v[18:19], v[42:43], 3, v[0:1]
	s_clause 0x3
	global_load_b64 v[74:75], v[10:11], off
	global_load_b64 v[70:71], v[16:17], off
	global_load_b64 v[72:73], v[18:19], off
	global_load_b64 v[22:23], v[20:21], off
	v_add_nc_u32_e32 v14, s2, v8
	s_wait_xcnt 0x2
	v_lshl_add_u64 v[16:17], v[32:33], 3, v[0:1]
	v_lshl_add_u64 v[32:33], v[52:53], 3, v[0:1]
	v_dual_ashrrev_i32 v7, 31, v6 :: v_dual_ashrrev_i32 v29, 31, v28
	v_dual_add_nc_u32 v30, s2, v14 :: v_dual_ashrrev_i32 v15, 31, v14
	s_delay_alu instid0(VALU_DEP_2) | instskip(NEXT) | instid1(VALU_DEP_3)
	v_lshl_add_u64 v[6:7], v[6:7], 3, v[0:1]
	v_lshl_add_u64 v[28:29], v[28:29], 3, v[0:1]
	s_delay_alu instid0(VALU_DEP_3) | instskip(NEXT) | instid1(VALU_DEP_4)
	v_add_nc_u32_e32 v10, s2, v30
	v_lshl_add_u64 v[14:15], v[14:15], 3, v[0:1]
	v_ashrrev_i32_e32 v31, 31, v30
	s_wait_xcnt 0x0
	s_delay_alu instid0(VALU_DEP_3) | instskip(SKIP_1) | instid1(VALU_DEP_3)
	v_add_nc_u32_e32 v20, s2, v10
	v_ashrrev_i32_e32 v47, 31, v46
	v_lshl_add_u64 v[30:31], v[30:31], 3, v[0:1]
	s_delay_alu instid0(VALU_DEP_2)
	v_lshl_add_u64 v[42:43], v[46:47], 3, v[0:1]
	v_lshl_add_u64 v[46:47], v[48:49], 3, v[0:1]
	v_add_nc_u32_e32 v48, s2, v20
	s_clause 0x3
	global_load_b64 v[68:69], v[16:17], off
	global_load_b64 v[64:65], v[32:33], off
	;; [unrolled: 1-line block ×4, first 2 shown]
	s_wait_xcnt 0x3
	v_lshl_add_u64 v[16:17], v[54:55], 3, v[0:1]
	s_wait_xcnt 0x0
	v_lshl_add_u64 v[46:47], v[12:13], 3, v[0:1]
	s_clause 0x3
	global_load_b64 v[60:61], v[16:17], off
	global_load_b64 v[56:57], v[6:7], off
	global_load_b64 v[58:59], v[46:47], off
	global_load_b64 v[12:13], v[28:29], off
	v_dual_add_nc_u32 v32, s2, v48 :: v_dual_ashrrev_i32 v11, 31, v10
	v_ashrrev_i32_e32 v21, 31, v20
	v_ashrrev_i32_e32 v49, 31, v48
	s_delay_alu instid0(VALU_DEP_3) | instskip(SKIP_2) | instid1(VALU_DEP_3)
	v_add_nc_u32_e32 v42, s2, v32
	v_ashrrev_i32_e32 v9, 31, v8
	v_lshl_add_u64 v[10:11], v[10:11], 3, v[0:1]
	v_add_nc_u32_e32 v132, s2, v42
	s_delay_alu instid0(VALU_DEP_3)
	v_lshl_add_u64 v[8:9], v[8:9], 3, v[0:1]
	s_clause 0x3
	global_load_b64 v[54:55], v[8:9], off
	global_load_b64 v[52:53], v[14:15], off
	; meta instruction
	; meta instruction
	global_load_b64 v[62:63], v[30:31], off
	global_load_b64 v[16:17], v[10:11], off
	s_wait_xcnt 0x6
	v_dual_add_nc_u32 v6, s2, v132 :: v_dual_ashrrev_i32 v43, 31, v42
	s_wait_xcnt 0x3
	v_lshl_add_u64 v[8:9], v[20:21], 3, v[0:1]
	v_ashrrev_i32_e32 v133, 31, v132
	s_wait_xcnt 0x2
	v_lshl_add_u64 v[14:15], v[48:49], 3, v[0:1]
	v_dual_add_nc_u32 v28, s2, v6 :: v_dual_ashrrev_i32 v7, 31, v6
	s_delay_alu instid0(VALU_DEP_1) | instskip(SKIP_1) | instid1(VALU_DEP_3)
	v_dual_ashrrev_i32 v29, 31, v28 :: v_dual_add_nc_u32 v138, s2, v28
	v_ashrrev_i32_e32 v33, 31, v32
	v_lshl_add_u64 v[6:7], v[6:7], 3, v[0:1]
	s_wait_xcnt 0x0
	s_delay_alu instid0(VALU_DEP_3) | instskip(NEXT) | instid1(VALU_DEP_3)
	v_add_nc_u32_e32 v10, s2, v138
	v_lshl_add_u64 v[20:21], v[32:33], 3, v[0:1]
	v_lshl_add_u64 v[32:33], v[42:43], 3, v[0:1]
	s_clause 0x3
	global_load_b64 v[48:49], v[8:9], off
	global_load_b64 v[42:43], v[14:15], off
	global_load_b64 v[46:47], v[20:21], off
	global_load_b64 v[8:9], v[32:33], off
	v_add_nc_u32_e32 v30, s2, v10
	s_wait_xcnt 0x1
	v_lshl_add_u64 v[20:21], v[28:29], 3, v[0:1]
	v_ashrrev_i32_e32 v11, 31, v10
	v_lshl_add_u64 v[14:15], v[132:133], 3, v[0:1]
	v_dual_add_nc_u32 v142, s2, v30 :: v_dual_ashrrev_i32 v31, 31, v30
	s_delay_alu instid0(VALU_DEP_3) | instskip(NEXT) | instid1(VALU_DEP_2)
	v_lshl_add_u64 v[10:11], v[10:11], 3, v[0:1]
	v_dual_add_nc_u32 v28, s2, v142 :: v_dual_ashrrev_i32 v143, 31, v142
	s_delay_alu instid0(VALU_DEP_1) | instskip(NEXT) | instid1(VALU_DEP_2)
	v_dual_ashrrev_i32 v139, 31, v138 :: v_dual_ashrrev_i32 v29, 31, v28
	v_lshl_add_u64 v[142:143], v[142:143], 3, v[0:1]
	s_delay_alu instid0(VALU_DEP_2) | instskip(SKIP_1) | instid1(VALU_DEP_4)
	v_lshl_add_u64 v[132:133], v[138:139], 3, v[0:1]
	v_lshl_add_u64 v[138:139], v[30:31], 3, v[0:1]
	;; [unrolled: 1-line block ×3, first 2 shown]
	s_clause 0x7
	global_load_b64 v[32:33], v[14:15], off
	global_load_b64 v[28:29], v[6:7], off
	;; [unrolled: 1-line block ×8, first 2 shown]
	s_wait_xcnt 0x2
	v_mul_lo_u32 v139, s4, v136
	s_load_b64 s[4:5], s[0:1], 0x40
	s_delay_alu instid0(VALU_DEP_1) | instskip(NEXT) | instid1(VALU_DEP_1)
	v_lshl_add_u32 v138, v139, 3, 0
	v_dual_lshlrev_b32 v139, 3, v139 :: v_dual_add_nc_u32 v134, v138, v134
	s_wait_loadcnt 0x39
	ds_store_b64 v134, v[130:131]
	s_wait_loadcnt_dscnt 0x0
	s_barrier_signal -1
	s_barrier_wait -1
	ds_load_b64 v[136:137], v138
	s_cbranch_scc1 .LBB126_6
; %bb.4:
	v_add3_u32 v134, v139, 0, 8
	v_mov_b32_e32 v135, 0
	s_wait_xcnt 0x0
	s_mov_b32 s1, 1
.LBB126_5:                              ; =>This Inner Loop Header: Depth=1
	ds_load_b64 v[142:143], v134
	s_wait_dscnt 0x1
	v_cmp_gt_f32_e32 vcc_lo, 0, v136
	v_cmp_gt_f32_e64 s0, 0, v137
	s_delay_alu instid0(VALU_DEP_1) | instskip(SKIP_3) | instid1(VALU_DEP_1)
	v_dual_cndmask_b32 v144, v136, -v136, vcc_lo :: v_dual_cndmask_b32 v146, v137, -v137, s0
	s_wait_dscnt 0x0
	v_cmp_gt_f32_e32 vcc_lo, 0, v142
	v_cmp_gt_f32_e64 s0, 0, v143
	v_dual_cndmask_b32 v145, v142, -v142, vcc_lo :: v_dual_cndmask_b32 v147, v143, -v143, s0
	s_delay_alu instid0(VALU_DEP_1) | instskip(NEXT) | instid1(VALU_DEP_1)
	v_pk_add_f32 v[144:145], v[144:145], v[146:147]
	v_cmp_lt_f32_e32 vcc_lo, v144, v145
	v_dual_cndmask_b32 v137, v137, v143 :: v_dual_add_nc_u32 v134, 8, v134
	v_cndmask_b32_e32 v136, v136, v142, vcc_lo
	v_cndmask_b32_e64 v135, v135, s1, vcc_lo
	s_add_co_i32 s1, s1, 1
	s_delay_alu instid0(SALU_CYCLE_1)
	s_cmp_eq_u32 s18, s1
	s_cbranch_scc0 .LBB126_5
.LBB126_6:
	s_wait_dscnt 0x0
	v_cmp_neq_f32_e32 vcc_lo, 0, v136
	s_wait_xcnt 0x0
	v_cmp_neq_f32_e64 s0, 0, v137
	v_dual_mov_b32 v140, 1 :: v_dual_mov_b32 v143, 1
	s_or_b32 s1, vcc_lo, s0
	s_delay_alu instid0(SALU_CYCLE_1)
	s_and_saveexec_b32 s0, s1
	s_cbranch_execz .LBB126_12
; %bb.7:
	v_cmp_ngt_f32_e64 s1, |v136|, |v137|
	s_and_saveexec_b32 s12, s1
	s_delay_alu instid0(SALU_CYCLE_1)
	s_xor_b32 s1, exec_lo, s12
	s_cbranch_execz .LBB126_9
; %bb.8:
	v_div_scale_f32 v134, null, v137, v137, v136
	v_div_scale_f32 v143, vcc_lo, v136, v137, v136
	s_delay_alu instid0(VALU_DEP_2) | instskip(SKIP_1) | instid1(TRANS32_DEP_1)
	v_rcp_f32_e32 v140, v134
	v_nop
	v_fma_f32 v142, -v134, v140, 1.0
	s_delay_alu instid0(VALU_DEP_1) | instskip(NEXT) | instid1(VALU_DEP_1)
	v_fmac_f32_e32 v140, v142, v140
	v_mul_f32_e32 v142, v143, v140
	s_delay_alu instid0(VALU_DEP_1) | instskip(NEXT) | instid1(VALU_DEP_1)
	v_fma_f32 v144, -v134, v142, v143
	v_fmac_f32_e32 v142, v144, v140
	s_delay_alu instid0(VALU_DEP_1) | instskip(NEXT) | instid1(VALU_DEP_1)
	v_fma_f32 v134, -v134, v142, v143
	v_div_fmas_f32 v134, v134, v140, v142
	s_delay_alu instid0(VALU_DEP_1) | instskip(NEXT) | instid1(VALU_DEP_1)
	v_div_fixup_f32 v134, v134, v137, v136
	v_fmac_f32_e32 v137, v136, v134
	s_delay_alu instid0(VALU_DEP_1) | instskip(SKIP_1) | instid1(VALU_DEP_2)
	v_div_scale_f32 v136, null, v137, v137, 1.0
	v_div_scale_f32 v143, vcc_lo, 1.0, v137, 1.0
	v_rcp_f32_e32 v140, v136
	v_nop
	s_delay_alu instid0(TRANS32_DEP_1) | instskip(NEXT) | instid1(VALU_DEP_1)
	v_fma_f32 v142, -v136, v140, 1.0
	v_fmac_f32_e32 v140, v142, v140
	s_delay_alu instid0(VALU_DEP_1) | instskip(NEXT) | instid1(VALU_DEP_1)
	v_mul_f32_e32 v142, v143, v140
	v_fma_f32 v144, -v136, v142, v143
	s_delay_alu instid0(VALU_DEP_1) | instskip(NEXT) | instid1(VALU_DEP_1)
	v_fmac_f32_e32 v142, v144, v140
	v_fma_f32 v136, -v136, v142, v143
	s_delay_alu instid0(VALU_DEP_1) | instskip(NEXT) | instid1(VALU_DEP_1)
	v_div_fmas_f32 v136, v136, v140, v142
	v_div_fixup_f32 v137, v136, v137, 1.0
	s_delay_alu instid0(VALU_DEP_1)
	v_mul_f32_e32 v136, v134, v137
	v_xor_b32_e32 v137, 0x80000000, v137
.LBB126_9:
	s_and_not1_saveexec_b32 s1, s1
	s_cbranch_execz .LBB126_11
; %bb.10:
	s_delay_alu instid0(VALU_DEP_1) | instskip(SKIP_1) | instid1(VALU_DEP_2)
	v_div_scale_f32 v134, null, v136, v136, v137
	v_div_scale_f32 v143, vcc_lo, v137, v136, v137
	v_rcp_f32_e32 v140, v134
	v_nop
	s_delay_alu instid0(TRANS32_DEP_1) | instskip(NEXT) | instid1(VALU_DEP_1)
	v_fma_f32 v142, -v134, v140, 1.0
	v_fmac_f32_e32 v140, v142, v140
	s_delay_alu instid0(VALU_DEP_1) | instskip(NEXT) | instid1(VALU_DEP_1)
	v_mul_f32_e32 v142, v143, v140
	v_fma_f32 v144, -v134, v142, v143
	s_delay_alu instid0(VALU_DEP_1) | instskip(NEXT) | instid1(VALU_DEP_1)
	v_fmac_f32_e32 v142, v144, v140
	v_fma_f32 v134, -v134, v142, v143
	s_delay_alu instid0(VALU_DEP_1) | instskip(NEXT) | instid1(VALU_DEP_1)
	v_div_fmas_f32 v134, v134, v140, v142
	v_div_fixup_f32 v134, v134, v136, v137
	s_delay_alu instid0(VALU_DEP_1) | instskip(NEXT) | instid1(VALU_DEP_1)
	v_fmac_f32_e32 v136, v137, v134
	v_div_scale_f32 v137, null, v136, v136, 1.0
	s_delay_alu instid0(VALU_DEP_1) | instskip(SKIP_1) | instid1(TRANS32_DEP_1)
	v_rcp_f32_e32 v140, v137
	v_nop
	v_fma_f32 v142, -v137, v140, 1.0
	s_delay_alu instid0(VALU_DEP_1) | instskip(SKIP_1) | instid1(VALU_DEP_1)
	v_fmac_f32_e32 v140, v142, v140
	v_div_scale_f32 v142, vcc_lo, 1.0, v136, 1.0
	v_mul_f32_e32 v143, v142, v140
	s_delay_alu instid0(VALU_DEP_1) | instskip(NEXT) | instid1(VALU_DEP_1)
	v_fma_f32 v144, -v137, v143, v142
	v_fmac_f32_e32 v143, v144, v140
	s_delay_alu instid0(VALU_DEP_1) | instskip(NEXT) | instid1(VALU_DEP_1)
	v_fma_f32 v137, -v137, v143, v142
	v_div_fmas_f32 v137, v137, v140, v143
	s_delay_alu instid0(VALU_DEP_1) | instskip(NEXT) | instid1(VALU_DEP_1)
	v_div_fixup_f32 v136, v137, v136, 1.0
	v_mul_f32_e64 v137, v134, -v136
.LBB126_11:
	s_or_b32 exec_lo, exec_lo, s1
	v_dual_mov_b32 v143, 0 :: v_dual_mov_b32 v140, 2
.LBB126_12:
	s_or_b32 exec_lo, exec_lo, s0
	s_delay_alu instid0(SALU_CYCLE_1)
	s_mov_b32 s0, exec_lo
	v_cmpx_ne_u32_e64 v141, v135
	s_xor_b32 s0, exec_lo, s0
	s_cbranch_execz .LBB126_18
; %bb.13:
	s_mov_b32 s1, exec_lo
	v_cmpx_eq_u32_e32 0, v141
	s_cbranch_execz .LBB126_17
; %bb.14:
	v_cmp_ne_u32_e32 vcc_lo, 0, v135
	s_xor_b32 s12, s16, -1
	s_delay_alu instid0(SALU_CYCLE_1) | instskip(NEXT) | instid1(SALU_CYCLE_1)
	s_and_b32 s13, s12, vcc_lo
	s_and_saveexec_b32 s12, s13
	s_cbranch_execz .LBB126_16
; %bb.15:
	v_dual_mov_b32 v144, v135 :: v_dual_ashrrev_i32 v145, 31, v135
	s_delay_alu instid0(VALU_DEP_1)
	v_lshl_add_u64 v[144:145], v[144:145], 2, v[4:5]
	s_clause 0x1
	global_load_b32 v134, v[144:145], off
	global_load_b32 v141, v[4:5], off
	s_wait_loadcnt 0x1
	global_store_b32 v[4:5], v134, off
	s_wait_loadcnt 0x0
	global_store_b32 v[144:145], v141, off
.LBB126_16:
	s_wait_xcnt 0x0
	s_or_b32 exec_lo, exec_lo, s12
	v_mov_b32_e32 v141, v135
.LBB126_17:
	s_or_b32 exec_lo, exec_lo, s1
.LBB126_18:
	s_or_saveexec_b32 s0, s0
	s_delay_alu instid0(VALU_DEP_1)
	v_mov_b32_e32 v142, v141
	s_xor_b32 exec_lo, exec_lo, s0
	s_cbranch_execz .LBB126_20
; %bb.19:
	v_mov_b32_e32 v142, 0
	ds_store_2addr_b64 v138, v[128:129], v[126:127] offset0:1 offset1:2
	ds_store_2addr_b64 v138, v[124:125], v[122:123] offset0:3 offset1:4
	;; [unrolled: 1-line block ×31, first 2 shown]
	ds_store_b64 v138, v[132:133] offset:504
.LBB126_20:
	s_or_b32 exec_lo, exec_lo, s0
	s_delay_alu instid0(SALU_CYCLE_1)
	s_mov_b32 s0, exec_lo
	s_wait_storecnt_dscnt 0x0
	s_barrier_signal -1
	s_barrier_wait -1
	v_cmpx_lt_i32_e32 0, v142
	s_cbranch_execz .LBB126_22
; %bb.21:
	v_pk_mul_f32 v[144:145], v[136:137], v[130:131] op_sel:[1,1] op_sel_hi:[0,1]
	s_delay_alu instid0(VALU_DEP_1)
	v_pk_fma_f32 v[134:135], v[136:137], v[130:131], v[144:145] op_sel_hi:[1,0,1] neg_lo:[0,0,1] neg_hi:[0,0,1]
	v_pk_fma_f32 v[136:137], v[136:137], v[130:131], v[144:145] op_sel_hi:[1,0,1]
	ds_load_2addr_b64 v[144:147], v138 offset0:1 offset1:2
	v_dual_mov_b32 v130, v134 :: v_dual_mov_b32 v131, v137
	s_wait_dscnt 0x0
	v_pk_mul_f32 v[148:149], v[144:145], v[136:137] op_sel:[0,1]
	s_delay_alu instid0(VALU_DEP_1) | instskip(SKIP_1) | instid1(VALU_DEP_1)
	v_pk_fma_f32 v[150:151], v[144:145], v[134:135], v[148:149] op_sel:[0,0,1] op_sel_hi:[1,1,0] neg_lo:[0,0,1] neg_hi:[0,0,1]
	v_pk_fma_f32 v[144:145], v[144:145], v[134:135], v[148:149] op_sel:[0,0,1] op_sel_hi:[1,0,0]
	v_mov_b32_e32 v151, v145
	v_pk_mul_f32 v[144:145], v[146:147], v[136:137] op_sel:[0,1]
	s_delay_alu instid0(VALU_DEP_1) | instskip(SKIP_1) | instid1(VALU_DEP_1)
	v_pk_fma_f32 v[148:149], v[146:147], v[134:135], v[144:145] op_sel:[0,0,1] op_sel_hi:[1,1,0] neg_lo:[0,0,1] neg_hi:[0,0,1]
	v_pk_fma_f32 v[144:145], v[146:147], v[134:135], v[144:145] op_sel:[0,0,1] op_sel_hi:[1,0,0]
	v_mov_b32_e32 v149, v145
	ds_load_2addr_b64 v[144:147], v138 offset0:3 offset1:4
	v_pk_add_f32 v[128:129], v[128:129], v[150:151] neg_lo:[0,1] neg_hi:[0,1]
	v_pk_add_f32 v[126:127], v[126:127], v[148:149] neg_lo:[0,1] neg_hi:[0,1]
	s_wait_dscnt 0x0
	v_pk_mul_f32 v[148:149], v[144:145], v[136:137] op_sel:[0,1]
	s_delay_alu instid0(VALU_DEP_1) | instskip(SKIP_2) | instid1(VALU_DEP_2)
	v_pk_fma_f32 v[150:151], v[144:145], v[134:135], v[148:149] op_sel:[0,0,1] op_sel_hi:[1,1,0] neg_lo:[0,0,1] neg_hi:[0,0,1]
	v_pk_fma_f32 v[144:145], v[144:145], v[134:135], v[148:149] op_sel:[0,0,1] op_sel_hi:[1,0,0]
	v_dual_mul_f32 v148, v147, v137 :: v_dual_mov_b32 v144, v147
	v_dual_mov_b32 v151, v145 :: v_dual_mov_b32 v145, v146
	s_delay_alu instid0(VALU_DEP_2) | instskip(SKIP_1) | instid1(VALU_DEP_3)
	v_pk_fma_f32 v[148:149], v[146:147], v[130:131], v[148:149] op_sel_hi:[1,1,0] neg_lo:[0,0,1] neg_hi:[0,0,1]
	v_mul_f32_e32 v146, v147, v134
	v_pk_add_f32 v[124:125], v[124:125], v[150:151] neg_lo:[0,1] neg_hi:[0,1]
	s_delay_alu instid0(VALU_DEP_2) | instskip(NEXT) | instid1(VALU_DEP_1)
	v_pk_fma_f32 v[144:145], v[144:145], v[130:131], v[146:147] op_sel_hi:[1,1,0]
	v_mov_b32_e32 v149, v145
	ds_load_2addr_b64 v[144:147], v138 offset0:5 offset1:6
	v_pk_add_f32 v[122:123], v[122:123], v[148:149] neg_lo:[0,1] neg_hi:[0,1]
	s_wait_dscnt 0x0
	v_pk_mul_f32 v[148:149], v[144:145], v[136:137] op_sel:[0,1]
	s_delay_alu instid0(VALU_DEP_1) | instskip(SKIP_1) | instid1(VALU_DEP_1)
	v_pk_fma_f32 v[150:151], v[144:145], v[134:135], v[148:149] op_sel:[0,0,1] op_sel_hi:[1,1,0] neg_lo:[0,0,1] neg_hi:[0,0,1]
	v_pk_fma_f32 v[144:145], v[144:145], v[134:135], v[148:149] op_sel:[0,0,1] op_sel_hi:[1,0,0]
	v_mov_b32_e32 v151, v145
	v_pk_mul_f32 v[144:145], v[146:147], v[136:137] op_sel:[0,1]
	s_delay_alu instid0(VALU_DEP_1) | instskip(SKIP_1) | instid1(VALU_DEP_1)
	v_pk_fma_f32 v[148:149], v[146:147], v[134:135], v[144:145] op_sel:[0,0,1] op_sel_hi:[1,1,0] neg_lo:[0,0,1] neg_hi:[0,0,1]
	v_pk_fma_f32 v[144:145], v[146:147], v[134:135], v[144:145] op_sel:[0,0,1] op_sel_hi:[1,0,0]
	v_mov_b32_e32 v149, v145
	ds_load_2addr_b64 v[144:147], v138 offset0:7 offset1:8
	v_pk_add_f32 v[120:121], v[120:121], v[150:151] neg_lo:[0,1] neg_hi:[0,1]
	v_pk_add_f32 v[112:113], v[112:113], v[148:149] neg_lo:[0,1] neg_hi:[0,1]
	s_wait_dscnt 0x0
	v_pk_mul_f32 v[148:149], v[144:145], v[136:137] op_sel:[0,1]
	s_delay_alu instid0(VALU_DEP_1) | instskip(SKIP_1) | instid1(VALU_DEP_1)
	v_pk_fma_f32 v[150:151], v[144:145], v[134:135], v[148:149] op_sel:[0,0,1] op_sel_hi:[1,1,0] neg_lo:[0,0,1] neg_hi:[0,0,1]
	v_pk_fma_f32 v[144:145], v[144:145], v[134:135], v[148:149] op_sel:[0,0,1] op_sel_hi:[1,0,0]
	v_mov_b32_e32 v151, v145
	v_pk_mul_f32 v[144:145], v[146:147], v[136:137] op_sel:[0,1]
	s_delay_alu instid0(VALU_DEP_1) | instskip(SKIP_1) | instid1(VALU_DEP_1)
	v_pk_fma_f32 v[148:149], v[146:147], v[134:135], v[144:145] op_sel:[0,0,1] op_sel_hi:[1,1,0] neg_lo:[0,0,1] neg_hi:[0,0,1]
	v_pk_fma_f32 v[144:145], v[146:147], v[134:135], v[144:145] op_sel:[0,0,1] op_sel_hi:[1,0,0]
	v_mov_b32_e32 v149, v145
	ds_load_2addr_b64 v[144:147], v138 offset0:9 offset1:10
	v_pk_add_f32 v[44:45], v[44:45], v[150:151] neg_lo:[0,1] neg_hi:[0,1]
	v_pk_add_f32 v[118:119], v[118:119], v[148:149] neg_lo:[0,1] neg_hi:[0,1]
	s_wait_dscnt 0x0
	v_dual_mul_f32 v148, v145, v137 :: v_dual_mul_f32 v150, v145, v134
	s_delay_alu instid0(VALU_DEP_1) | instskip(NEXT) | instid1(VALU_DEP_2)
	v_pk_fma_f32 v[148:149], v[144:145], v[130:131], v[148:149] op_sel_hi:[1,1,0] neg_lo:[0,0,1] neg_hi:[0,0,1]
	v_pk_fma_f32 v[144:145], v[144:145], v[130:131], v[150:151] op_sel:[1,0,0] op_sel_hi:[0,1,0]
	s_delay_alu instid0(VALU_DEP_1) | instskip(SKIP_1) | instid1(VALU_DEP_2)
	v_mov_b32_e32 v149, v145
	v_pk_mul_f32 v[144:145], v[146:147], v[136:137] op_sel:[0,1]
	v_pk_add_f32 v[114:115], v[114:115], v[148:149] neg_lo:[0,1] neg_hi:[0,1]
	s_delay_alu instid0(VALU_DEP_2) | instskip(SKIP_1) | instid1(VALU_DEP_1)
	v_pk_fma_f32 v[148:149], v[146:147], v[134:135], v[144:145] op_sel:[0,0,1] op_sel_hi:[1,1,0] neg_lo:[0,0,1] neg_hi:[0,0,1]
	v_pk_fma_f32 v[144:145], v[146:147], v[134:135], v[144:145] op_sel:[0,0,1] op_sel_hi:[1,0,0]
	v_mov_b32_e32 v149, v145
	ds_load_2addr_b64 v[144:147], v138 offset0:11 offset1:12
	v_pk_add_f32 v[116:117], v[116:117], v[148:149] neg_lo:[0,1] neg_hi:[0,1]
	s_wait_dscnt 0x0
	v_pk_mul_f32 v[148:149], v[144:145], v[136:137] op_sel:[0,1]
	s_delay_alu instid0(VALU_DEP_1) | instskip(SKIP_1) | instid1(VALU_DEP_1)
	v_pk_fma_f32 v[150:151], v[144:145], v[134:135], v[148:149] op_sel:[0,0,1] op_sel_hi:[1,1,0] neg_lo:[0,0,1] neg_hi:[0,0,1]
	v_pk_fma_f32 v[144:145], v[144:145], v[134:135], v[148:149] op_sel:[0,0,1] op_sel_hi:[1,0,0]
	v_mov_b32_e32 v151, v145
	v_pk_mul_f32 v[144:145], v[146:147], v[136:137] op_sel:[0,1]
	s_delay_alu instid0(VALU_DEP_2) | instskip(NEXT) | instid1(VALU_DEP_2)
	v_pk_add_f32 v[50:51], v[50:51], v[150:151] neg_lo:[0,1] neg_hi:[0,1]
	v_pk_fma_f32 v[148:149], v[146:147], v[134:135], v[144:145] op_sel:[0,0,1] op_sel_hi:[1,1,0] neg_lo:[0,0,1] neg_hi:[0,0,1]
	v_pk_fma_f32 v[144:145], v[146:147], v[134:135], v[144:145] op_sel:[0,0,1] op_sel_hi:[1,0,0]
	s_delay_alu instid0(VALU_DEP_1) | instskip(SKIP_4) | instid1(VALU_DEP_1)
	v_mov_b32_e32 v149, v145
	ds_load_2addr_b64 v[144:147], v138 offset0:13 offset1:14
	v_pk_add_f32 v[110:111], v[110:111], v[148:149] neg_lo:[0,1] neg_hi:[0,1]
	s_wait_dscnt 0x0
	v_pk_mul_f32 v[148:149], v[144:145], v[136:137] op_sel:[0,1]
	v_pk_fma_f32 v[150:151], v[144:145], v[134:135], v[148:149] op_sel:[0,0,1] op_sel_hi:[1,1,0] neg_lo:[0,0,1] neg_hi:[0,0,1]
	v_pk_fma_f32 v[144:145], v[144:145], v[134:135], v[148:149] op_sel:[0,0,1] op_sel_hi:[1,0,0]
	v_dual_mul_f32 v148, v147, v137 :: v_dual_mov_b32 v144, v147
	s_delay_alu instid0(VALU_DEP_2) | instskip(NEXT) | instid1(VALU_DEP_2)
	v_dual_mov_b32 v151, v145 :: v_dual_mov_b32 v145, v146
	v_pk_fma_f32 v[148:149], v[146:147], v[130:131], v[148:149] op_sel_hi:[1,1,0] neg_lo:[0,0,1] neg_hi:[0,0,1]
	v_mul_f32_e32 v146, v147, v134
	s_delay_alu instid0(VALU_DEP_3) | instskip(NEXT) | instid1(VALU_DEP_2)
	v_pk_add_f32 v[106:107], v[106:107], v[150:151] neg_lo:[0,1] neg_hi:[0,1]
	v_pk_fma_f32 v[144:145], v[144:145], v[130:131], v[146:147] op_sel_hi:[1,1,0]
	s_delay_alu instid0(VALU_DEP_1) | instskip(SKIP_4) | instid1(VALU_DEP_1)
	v_mov_b32_e32 v149, v145
	ds_load_2addr_b64 v[144:147], v138 offset0:15 offset1:16
	v_pk_add_f32 v[108:109], v[108:109], v[148:149] neg_lo:[0,1] neg_hi:[0,1]
	s_wait_dscnt 0x0
	v_pk_mul_f32 v[148:149], v[144:145], v[136:137] op_sel:[0,1]
	v_pk_fma_f32 v[150:151], v[144:145], v[134:135], v[148:149] op_sel:[0,0,1] op_sel_hi:[1,1,0] neg_lo:[0,0,1] neg_hi:[0,0,1]
	v_pk_fma_f32 v[144:145], v[144:145], v[134:135], v[148:149] op_sel:[0,0,1] op_sel_hi:[1,0,0]
	s_delay_alu instid0(VALU_DEP_1) | instskip(SKIP_1) | instid1(VALU_DEP_1)
	v_mov_b32_e32 v151, v145
	v_pk_mul_f32 v[144:145], v[146:147], v[136:137] op_sel:[0,1]
	v_pk_fma_f32 v[148:149], v[146:147], v[134:135], v[144:145] op_sel:[0,0,1] op_sel_hi:[1,1,0] neg_lo:[0,0,1] neg_hi:[0,0,1]
	v_pk_fma_f32 v[144:145], v[146:147], v[134:135], v[144:145] op_sel:[0,0,1] op_sel_hi:[1,0,0]
	s_delay_alu instid0(VALU_DEP_1)
	v_mov_b32_e32 v149, v145
	ds_load_2addr_b64 v[144:147], v138 offset0:17 offset1:18
	v_pk_add_f32 v[40:41], v[40:41], v[150:151] neg_lo:[0,1] neg_hi:[0,1]
	v_pk_add_f32 v[104:105], v[104:105], v[148:149] neg_lo:[0,1] neg_hi:[0,1]
	s_wait_dscnt 0x0
	v_pk_mul_f32 v[148:149], v[144:145], v[136:137] op_sel:[0,1]
	s_delay_alu instid0(VALU_DEP_1) | instskip(SKIP_1) | instid1(VALU_DEP_1)
	v_pk_fma_f32 v[150:151], v[144:145], v[134:135], v[148:149] op_sel:[0,0,1] op_sel_hi:[1,1,0] neg_lo:[0,0,1] neg_hi:[0,0,1]
	v_pk_fma_f32 v[144:145], v[144:145], v[134:135], v[148:149] op_sel:[0,0,1] op_sel_hi:[1,0,0]
	v_mov_b32_e32 v151, v145
	v_pk_mul_f32 v[144:145], v[146:147], v[136:137] op_sel:[0,1]
	s_delay_alu instid0(VALU_DEP_1) | instskip(SKIP_1) | instid1(VALU_DEP_1)
	v_pk_fma_f32 v[148:149], v[146:147], v[134:135], v[144:145] op_sel:[0,0,1] op_sel_hi:[1,1,0] neg_lo:[0,0,1] neg_hi:[0,0,1]
	v_pk_fma_f32 v[144:145], v[146:147], v[134:135], v[144:145] op_sel:[0,0,1] op_sel_hi:[1,0,0]
	v_mov_b32_e32 v149, v145
	ds_load_2addr_b64 v[144:147], v138 offset0:19 offset1:20
	v_pk_add_f32 v[100:101], v[100:101], v[150:151] neg_lo:[0,1] neg_hi:[0,1]
	v_pk_add_f32 v[102:103], v[102:103], v[148:149] neg_lo:[0,1] neg_hi:[0,1]
	s_wait_dscnt 0x0
	v_dual_mul_f32 v148, v145, v137 :: v_dual_mul_f32 v150, v145, v134
	s_delay_alu instid0(VALU_DEP_1) | instskip(NEXT) | instid1(VALU_DEP_2)
	v_pk_fma_f32 v[148:149], v[144:145], v[130:131], v[148:149] op_sel_hi:[1,1,0] neg_lo:[0,0,1] neg_hi:[0,0,1]
	v_pk_fma_f32 v[144:145], v[144:145], v[130:131], v[150:151] op_sel:[1,0,0] op_sel_hi:[0,1,0]
	s_delay_alu instid0(VALU_DEP_1) | instskip(SKIP_1) | instid1(VALU_DEP_2)
	v_mov_b32_e32 v149, v145
	v_pk_mul_f32 v[144:145], v[146:147], v[136:137] op_sel:[0,1]
	v_pk_add_f32 v[38:39], v[38:39], v[148:149] neg_lo:[0,1] neg_hi:[0,1]
	s_delay_alu instid0(VALU_DEP_2) | instskip(SKIP_1) | instid1(VALU_DEP_1)
	v_pk_fma_f32 v[148:149], v[146:147], v[134:135], v[144:145] op_sel:[0,0,1] op_sel_hi:[1,1,0] neg_lo:[0,0,1] neg_hi:[0,0,1]
	v_pk_fma_f32 v[144:145], v[146:147], v[134:135], v[144:145] op_sel:[0,0,1] op_sel_hi:[1,0,0]
	v_mov_b32_e32 v149, v145
	ds_load_2addr_b64 v[144:147], v138 offset0:21 offset1:22
	v_pk_add_f32 v[98:99], v[98:99], v[148:149] neg_lo:[0,1] neg_hi:[0,1]
	s_wait_dscnt 0x0
	v_pk_mul_f32 v[148:149], v[144:145], v[136:137] op_sel:[0,1]
	s_delay_alu instid0(VALU_DEP_1) | instskip(SKIP_1) | instid1(VALU_DEP_1)
	v_pk_fma_f32 v[150:151], v[144:145], v[134:135], v[148:149] op_sel:[0,0,1] op_sel_hi:[1,1,0] neg_lo:[0,0,1] neg_hi:[0,0,1]
	v_pk_fma_f32 v[144:145], v[144:145], v[134:135], v[148:149] op_sel:[0,0,1] op_sel_hi:[1,0,0]
	v_mov_b32_e32 v151, v145
	v_pk_mul_f32 v[144:145], v[146:147], v[136:137] op_sel:[0,1]
	s_delay_alu instid0(VALU_DEP_2) | instskip(NEXT) | instid1(VALU_DEP_2)
	v_pk_add_f32 v[94:95], v[94:95], v[150:151] neg_lo:[0,1] neg_hi:[0,1]
	v_pk_fma_f32 v[148:149], v[146:147], v[134:135], v[144:145] op_sel:[0,0,1] op_sel_hi:[1,1,0] neg_lo:[0,0,1] neg_hi:[0,0,1]
	v_pk_fma_f32 v[144:145], v[146:147], v[134:135], v[144:145] op_sel:[0,0,1] op_sel_hi:[1,0,0]
	s_delay_alu instid0(VALU_DEP_1) | instskip(SKIP_4) | instid1(VALU_DEP_1)
	v_mov_b32_e32 v149, v145
	ds_load_2addr_b64 v[144:147], v138 offset0:23 offset1:24
	v_pk_add_f32 v[96:97], v[96:97], v[148:149] neg_lo:[0,1] neg_hi:[0,1]
	s_wait_dscnt 0x0
	v_pk_mul_f32 v[148:149], v[144:145], v[136:137] op_sel:[0,1]
	v_pk_fma_f32 v[150:151], v[144:145], v[134:135], v[148:149] op_sel:[0,0,1] op_sel_hi:[1,1,0] neg_lo:[0,0,1] neg_hi:[0,0,1]
	v_pk_fma_f32 v[144:145], v[144:145], v[134:135], v[148:149] op_sel:[0,0,1] op_sel_hi:[1,0,0]
	v_dual_mul_f32 v148, v147, v137 :: v_dual_mov_b32 v144, v147
	s_delay_alu instid0(VALU_DEP_2) | instskip(NEXT) | instid1(VALU_DEP_2)
	v_dual_mov_b32 v151, v145 :: v_dual_mov_b32 v145, v146
	v_pk_fma_f32 v[148:149], v[146:147], v[130:131], v[148:149] op_sel_hi:[1,1,0] neg_lo:[0,0,1] neg_hi:[0,0,1]
	v_mul_f32_e32 v146, v147, v134
	s_delay_alu instid0(VALU_DEP_3) | instskip(NEXT) | instid1(VALU_DEP_2)
	v_pk_add_f32 v[36:37], v[36:37], v[150:151] neg_lo:[0,1] neg_hi:[0,1]
	v_pk_fma_f32 v[144:145], v[144:145], v[130:131], v[146:147] op_sel_hi:[1,1,0]
	s_delay_alu instid0(VALU_DEP_1) | instskip(SKIP_4) | instid1(VALU_DEP_1)
	v_mov_b32_e32 v149, v145
	ds_load_2addr_b64 v[144:147], v138 offset0:25 offset1:26
	v_pk_add_f32 v[92:93], v[92:93], v[148:149] neg_lo:[0,1] neg_hi:[0,1]
	s_wait_dscnt 0x0
	v_pk_mul_f32 v[148:149], v[144:145], v[136:137] op_sel:[0,1]
	v_pk_fma_f32 v[150:151], v[144:145], v[134:135], v[148:149] op_sel:[0,0,1] op_sel_hi:[1,1,0] neg_lo:[0,0,1] neg_hi:[0,0,1]
	v_pk_fma_f32 v[144:145], v[144:145], v[134:135], v[148:149] op_sel:[0,0,1] op_sel_hi:[1,0,0]
	s_delay_alu instid0(VALU_DEP_1) | instskip(SKIP_1) | instid1(VALU_DEP_1)
	v_mov_b32_e32 v151, v145
	v_pk_mul_f32 v[144:145], v[146:147], v[136:137] op_sel:[0,1]
	v_pk_fma_f32 v[148:149], v[146:147], v[134:135], v[144:145] op_sel:[0,0,1] op_sel_hi:[1,1,0] neg_lo:[0,0,1] neg_hi:[0,0,1]
	v_pk_fma_f32 v[144:145], v[146:147], v[134:135], v[144:145] op_sel:[0,0,1] op_sel_hi:[1,0,0]
	s_delay_alu instid0(VALU_DEP_1)
	v_mov_b32_e32 v149, v145
	ds_load_2addr_b64 v[144:147], v138 offset0:27 offset1:28
	v_pk_add_f32 v[88:89], v[88:89], v[150:151] neg_lo:[0,1] neg_hi:[0,1]
	v_pk_add_f32 v[90:91], v[90:91], v[148:149] neg_lo:[0,1] neg_hi:[0,1]
	s_wait_dscnt 0x0
	v_pk_mul_f32 v[148:149], v[144:145], v[136:137] op_sel:[0,1]
	s_delay_alu instid0(VALU_DEP_1) | instskip(SKIP_1) | instid1(VALU_DEP_1)
	v_pk_fma_f32 v[150:151], v[144:145], v[134:135], v[148:149] op_sel:[0,0,1] op_sel_hi:[1,1,0] neg_lo:[0,0,1] neg_hi:[0,0,1]
	v_pk_fma_f32 v[144:145], v[144:145], v[134:135], v[148:149] op_sel:[0,0,1] op_sel_hi:[1,0,0]
	v_mov_b32_e32 v151, v145
	v_pk_mul_f32 v[144:145], v[146:147], v[136:137] op_sel:[0,1]
	s_delay_alu instid0(VALU_DEP_1) | instskip(SKIP_1) | instid1(VALU_DEP_1)
	v_pk_fma_f32 v[148:149], v[146:147], v[134:135], v[144:145] op_sel:[0,0,1] op_sel_hi:[1,1,0] neg_lo:[0,0,1] neg_hi:[0,0,1]
	v_pk_fma_f32 v[144:145], v[146:147], v[134:135], v[144:145] op_sel:[0,0,1] op_sel_hi:[1,0,0]
	v_mov_b32_e32 v149, v145
	ds_load_2addr_b64 v[144:147], v138 offset0:29 offset1:30
	v_pk_add_f32 v[34:35], v[34:35], v[150:151] neg_lo:[0,1] neg_hi:[0,1]
	v_pk_add_f32 v[86:87], v[86:87], v[148:149] neg_lo:[0,1] neg_hi:[0,1]
	s_wait_dscnt 0x0
	v_dual_mul_f32 v148, v145, v137 :: v_dual_mul_f32 v150, v145, v134
	s_delay_alu instid0(VALU_DEP_1) | instskip(NEXT) | instid1(VALU_DEP_2)
	v_pk_fma_f32 v[148:149], v[144:145], v[130:131], v[148:149] op_sel_hi:[1,1,0] neg_lo:[0,0,1] neg_hi:[0,0,1]
	v_pk_fma_f32 v[144:145], v[144:145], v[130:131], v[150:151] op_sel:[1,0,0] op_sel_hi:[0,1,0]
	s_delay_alu instid0(VALU_DEP_1) | instskip(SKIP_1) | instid1(VALU_DEP_2)
	v_mov_b32_e32 v149, v145
	v_pk_mul_f32 v[144:145], v[146:147], v[136:137] op_sel:[0,1]
	v_pk_add_f32 v[82:83], v[82:83], v[148:149] neg_lo:[0,1] neg_hi:[0,1]
	s_delay_alu instid0(VALU_DEP_2) | instskip(SKIP_1) | instid1(VALU_DEP_1)
	v_pk_fma_f32 v[148:149], v[146:147], v[134:135], v[144:145] op_sel:[0,0,1] op_sel_hi:[1,1,0] neg_lo:[0,0,1] neg_hi:[0,0,1]
	v_pk_fma_f32 v[144:145], v[146:147], v[134:135], v[144:145] op_sel:[0,0,1] op_sel_hi:[1,0,0]
	v_mov_b32_e32 v149, v145
	ds_load_2addr_b64 v[144:147], v138 offset0:31 offset1:32
	v_pk_add_f32 v[84:85], v[84:85], v[148:149] neg_lo:[0,1] neg_hi:[0,1]
	s_wait_dscnt 0x0
	v_pk_mul_f32 v[148:149], v[144:145], v[136:137] op_sel:[0,1]
	s_delay_alu instid0(VALU_DEP_1) | instskip(SKIP_1) | instid1(VALU_DEP_1)
	v_pk_fma_f32 v[150:151], v[144:145], v[134:135], v[148:149] op_sel:[0,0,1] op_sel_hi:[1,1,0] neg_lo:[0,0,1] neg_hi:[0,0,1]
	v_pk_fma_f32 v[144:145], v[144:145], v[134:135], v[148:149] op_sel:[0,0,1] op_sel_hi:[1,0,0]
	v_mov_b32_e32 v151, v145
	v_pk_mul_f32 v[144:145], v[146:147], v[136:137] op_sel:[0,1]
	s_delay_alu instid0(VALU_DEP_2) | instskip(NEXT) | instid1(VALU_DEP_2)
	v_pk_add_f32 v[26:27], v[26:27], v[150:151] neg_lo:[0,1] neg_hi:[0,1]
	v_pk_fma_f32 v[148:149], v[146:147], v[134:135], v[144:145] op_sel:[0,0,1] op_sel_hi:[1,1,0] neg_lo:[0,0,1] neg_hi:[0,0,1]
	v_pk_fma_f32 v[144:145], v[146:147], v[134:135], v[144:145] op_sel:[0,0,1] op_sel_hi:[1,0,0]
	s_delay_alu instid0(VALU_DEP_1) | instskip(SKIP_4) | instid1(VALU_DEP_1)
	v_mov_b32_e32 v149, v145
	ds_load_2addr_b64 v[144:147], v138 offset0:33 offset1:34
	v_pk_add_f32 v[80:81], v[80:81], v[148:149] neg_lo:[0,1] neg_hi:[0,1]
	s_wait_dscnt 0x0
	v_pk_mul_f32 v[148:149], v[144:145], v[136:137] op_sel:[0,1]
	v_pk_fma_f32 v[150:151], v[144:145], v[134:135], v[148:149] op_sel:[0,0,1] op_sel_hi:[1,1,0] neg_lo:[0,0,1] neg_hi:[0,0,1]
	v_pk_fma_f32 v[144:145], v[144:145], v[134:135], v[148:149] op_sel:[0,0,1] op_sel_hi:[1,0,0]
	v_dual_mul_f32 v148, v147, v137 :: v_dual_mov_b32 v144, v147
	s_delay_alu instid0(VALU_DEP_2) | instskip(NEXT) | instid1(VALU_DEP_2)
	v_dual_mov_b32 v151, v145 :: v_dual_mov_b32 v145, v146
	v_pk_fma_f32 v[148:149], v[146:147], v[130:131], v[148:149] op_sel_hi:[1,1,0] neg_lo:[0,0,1] neg_hi:[0,0,1]
	v_mul_f32_e32 v146, v147, v134
	s_delay_alu instid0(VALU_DEP_3) | instskip(NEXT) | instid1(VALU_DEP_2)
	v_pk_add_f32 v[76:77], v[76:77], v[150:151] neg_lo:[0,1] neg_hi:[0,1]
	v_pk_fma_f32 v[144:145], v[144:145], v[130:131], v[146:147] op_sel_hi:[1,1,0]
	s_delay_alu instid0(VALU_DEP_1) | instskip(SKIP_4) | instid1(VALU_DEP_1)
	v_mov_b32_e32 v149, v145
	ds_load_2addr_b64 v[144:147], v138 offset0:35 offset1:36
	v_pk_add_f32 v[78:79], v[78:79], v[148:149] neg_lo:[0,1] neg_hi:[0,1]
	s_wait_dscnt 0x0
	v_pk_mul_f32 v[148:149], v[144:145], v[136:137] op_sel:[0,1]
	v_pk_fma_f32 v[150:151], v[144:145], v[134:135], v[148:149] op_sel:[0,0,1] op_sel_hi:[1,1,0] neg_lo:[0,0,1] neg_hi:[0,0,1]
	v_pk_fma_f32 v[144:145], v[144:145], v[134:135], v[148:149] op_sel:[0,0,1] op_sel_hi:[1,0,0]
	s_delay_alu instid0(VALU_DEP_1) | instskip(SKIP_1) | instid1(VALU_DEP_1)
	v_mov_b32_e32 v151, v145
	v_pk_mul_f32 v[144:145], v[146:147], v[136:137] op_sel:[0,1]
	v_pk_fma_f32 v[148:149], v[146:147], v[134:135], v[144:145] op_sel:[0,0,1] op_sel_hi:[1,1,0] neg_lo:[0,0,1] neg_hi:[0,0,1]
	v_pk_fma_f32 v[144:145], v[146:147], v[134:135], v[144:145] op_sel:[0,0,1] op_sel_hi:[1,0,0]
	s_delay_alu instid0(VALU_DEP_1)
	v_mov_b32_e32 v149, v145
	ds_load_2addr_b64 v[144:147], v138 offset0:37 offset1:38
	v_pk_add_f32 v[24:25], v[24:25], v[150:151] neg_lo:[0,1] neg_hi:[0,1]
	v_pk_add_f32 v[74:75], v[74:75], v[148:149] neg_lo:[0,1] neg_hi:[0,1]
	s_wait_dscnt 0x0
	v_pk_mul_f32 v[148:149], v[144:145], v[136:137] op_sel:[0,1]
	s_delay_alu instid0(VALU_DEP_1) | instskip(SKIP_1) | instid1(VALU_DEP_1)
	v_pk_fma_f32 v[150:151], v[144:145], v[134:135], v[148:149] op_sel:[0,0,1] op_sel_hi:[1,1,0] neg_lo:[0,0,1] neg_hi:[0,0,1]
	v_pk_fma_f32 v[144:145], v[144:145], v[134:135], v[148:149] op_sel:[0,0,1] op_sel_hi:[1,0,0]
	v_mov_b32_e32 v151, v145
	v_pk_mul_f32 v[144:145], v[146:147], v[136:137] op_sel:[0,1]
	s_delay_alu instid0(VALU_DEP_1) | instskip(SKIP_1) | instid1(VALU_DEP_1)
	v_pk_fma_f32 v[148:149], v[146:147], v[134:135], v[144:145] op_sel:[0,0,1] op_sel_hi:[1,1,0] neg_lo:[0,0,1] neg_hi:[0,0,1]
	v_pk_fma_f32 v[144:145], v[146:147], v[134:135], v[144:145] op_sel:[0,0,1] op_sel_hi:[1,0,0]
	v_mov_b32_e32 v149, v145
	ds_load_2addr_b64 v[144:147], v138 offset0:39 offset1:40
	v_pk_add_f32 v[70:71], v[70:71], v[150:151] neg_lo:[0,1] neg_hi:[0,1]
	v_pk_add_f32 v[72:73], v[72:73], v[148:149] neg_lo:[0,1] neg_hi:[0,1]
	s_wait_dscnt 0x0
	v_dual_mul_f32 v148, v145, v137 :: v_dual_mul_f32 v150, v145, v134
	s_delay_alu instid0(VALU_DEP_1) | instskip(NEXT) | instid1(VALU_DEP_2)
	v_pk_fma_f32 v[148:149], v[144:145], v[130:131], v[148:149] op_sel_hi:[1,1,0] neg_lo:[0,0,1] neg_hi:[0,0,1]
	v_pk_fma_f32 v[144:145], v[144:145], v[130:131], v[150:151] op_sel:[1,0,0] op_sel_hi:[0,1,0]
	s_delay_alu instid0(VALU_DEP_1) | instskip(SKIP_1) | instid1(VALU_DEP_2)
	v_mov_b32_e32 v149, v145
	v_pk_mul_f32 v[144:145], v[146:147], v[136:137] op_sel:[0,1]
	v_pk_add_f32 v[22:23], v[22:23], v[148:149] neg_lo:[0,1] neg_hi:[0,1]
	s_delay_alu instid0(VALU_DEP_2) | instskip(SKIP_1) | instid1(VALU_DEP_1)
	v_pk_fma_f32 v[148:149], v[146:147], v[134:135], v[144:145] op_sel:[0,0,1] op_sel_hi:[1,1,0] neg_lo:[0,0,1] neg_hi:[0,0,1]
	v_pk_fma_f32 v[144:145], v[146:147], v[134:135], v[144:145] op_sel:[0,0,1] op_sel_hi:[1,0,0]
	v_mov_b32_e32 v149, v145
	ds_load_2addr_b64 v[144:147], v138 offset0:41 offset1:42
	v_pk_add_f32 v[68:69], v[68:69], v[148:149] neg_lo:[0,1] neg_hi:[0,1]
	s_wait_dscnt 0x0
	v_pk_mul_f32 v[148:149], v[144:145], v[136:137] op_sel:[0,1]
	s_delay_alu instid0(VALU_DEP_1) | instskip(SKIP_1) | instid1(VALU_DEP_1)
	v_pk_fma_f32 v[150:151], v[144:145], v[134:135], v[148:149] op_sel:[0,0,1] op_sel_hi:[1,1,0] neg_lo:[0,0,1] neg_hi:[0,0,1]
	v_pk_fma_f32 v[144:145], v[144:145], v[134:135], v[148:149] op_sel:[0,0,1] op_sel_hi:[1,0,0]
	v_mov_b32_e32 v151, v145
	v_pk_mul_f32 v[144:145], v[146:147], v[136:137] op_sel:[0,1]
	s_delay_alu instid0(VALU_DEP_2) | instskip(NEXT) | instid1(VALU_DEP_2)
	v_pk_add_f32 v[64:65], v[64:65], v[150:151] neg_lo:[0,1] neg_hi:[0,1]
	v_pk_fma_f32 v[148:149], v[146:147], v[134:135], v[144:145] op_sel:[0,0,1] op_sel_hi:[1,1,0] neg_lo:[0,0,1] neg_hi:[0,0,1]
	v_pk_fma_f32 v[144:145], v[146:147], v[134:135], v[144:145] op_sel:[0,0,1] op_sel_hi:[1,0,0]
	s_delay_alu instid0(VALU_DEP_1) | instskip(SKIP_4) | instid1(VALU_DEP_1)
	v_mov_b32_e32 v149, v145
	ds_load_2addr_b64 v[144:147], v138 offset0:43 offset1:44
	v_pk_add_f32 v[66:67], v[66:67], v[148:149] neg_lo:[0,1] neg_hi:[0,1]
	s_wait_dscnt 0x0
	v_pk_mul_f32 v[148:149], v[144:145], v[136:137] op_sel:[0,1]
	v_pk_fma_f32 v[150:151], v[144:145], v[134:135], v[148:149] op_sel:[0,0,1] op_sel_hi:[1,1,0] neg_lo:[0,0,1] neg_hi:[0,0,1]
	v_pk_fma_f32 v[144:145], v[144:145], v[134:135], v[148:149] op_sel:[0,0,1] op_sel_hi:[1,0,0]
	v_dual_mul_f32 v148, v147, v137 :: v_dual_mov_b32 v144, v147
	s_delay_alu instid0(VALU_DEP_2) | instskip(NEXT) | instid1(VALU_DEP_2)
	v_dual_mov_b32 v151, v145 :: v_dual_mov_b32 v145, v146
	v_pk_fma_f32 v[148:149], v[146:147], v[130:131], v[148:149] op_sel_hi:[1,1,0] neg_lo:[0,0,1] neg_hi:[0,0,1]
	v_mul_f32_e32 v146, v147, v134
	s_delay_alu instid0(VALU_DEP_3) | instskip(NEXT) | instid1(VALU_DEP_2)
	v_pk_add_f32 v[18:19], v[18:19], v[150:151] neg_lo:[0,1] neg_hi:[0,1]
	v_pk_fma_f32 v[144:145], v[144:145], v[130:131], v[146:147] op_sel_hi:[1,1,0]
	s_delay_alu instid0(VALU_DEP_1) | instskip(SKIP_4) | instid1(VALU_DEP_1)
	v_mov_b32_e32 v149, v145
	ds_load_2addr_b64 v[144:147], v138 offset0:45 offset1:46
	v_pk_add_f32 v[60:61], v[60:61], v[148:149] neg_lo:[0,1] neg_hi:[0,1]
	s_wait_dscnt 0x0
	v_pk_mul_f32 v[148:149], v[144:145], v[136:137] op_sel:[0,1]
	v_pk_fma_f32 v[150:151], v[144:145], v[134:135], v[148:149] op_sel:[0,0,1] op_sel_hi:[1,1,0] neg_lo:[0,0,1] neg_hi:[0,0,1]
	v_pk_fma_f32 v[144:145], v[144:145], v[134:135], v[148:149] op_sel:[0,0,1] op_sel_hi:[1,0,0]
	s_delay_alu instid0(VALU_DEP_1) | instskip(SKIP_1) | instid1(VALU_DEP_1)
	v_mov_b32_e32 v151, v145
	v_pk_mul_f32 v[144:145], v[146:147], v[136:137] op_sel:[0,1]
	v_pk_fma_f32 v[148:149], v[146:147], v[134:135], v[144:145] op_sel:[0,0,1] op_sel_hi:[1,1,0] neg_lo:[0,0,1] neg_hi:[0,0,1]
	v_pk_fma_f32 v[144:145], v[146:147], v[134:135], v[144:145] op_sel:[0,0,1] op_sel_hi:[1,0,0]
	s_delay_alu instid0(VALU_DEP_1)
	v_mov_b32_e32 v149, v145
	ds_load_2addr_b64 v[144:147], v138 offset0:47 offset1:48
	v_pk_add_f32 v[56:57], v[56:57], v[150:151] neg_lo:[0,1] neg_hi:[0,1]
	v_pk_add_f32 v[58:59], v[58:59], v[148:149] neg_lo:[0,1] neg_hi:[0,1]
	s_wait_dscnt 0x0
	v_pk_mul_f32 v[148:149], v[144:145], v[136:137] op_sel:[0,1]
	s_delay_alu instid0(VALU_DEP_1) | instskip(SKIP_1) | instid1(VALU_DEP_1)
	v_pk_fma_f32 v[150:151], v[144:145], v[134:135], v[148:149] op_sel:[0,0,1] op_sel_hi:[1,1,0] neg_lo:[0,0,1] neg_hi:[0,0,1]
	v_pk_fma_f32 v[144:145], v[144:145], v[134:135], v[148:149] op_sel:[0,0,1] op_sel_hi:[1,0,0]
	v_mov_b32_e32 v151, v145
	v_pk_mul_f32 v[144:145], v[146:147], v[136:137] op_sel:[0,1]
	s_delay_alu instid0(VALU_DEP_1) | instskip(SKIP_1) | instid1(VALU_DEP_1)
	v_pk_fma_f32 v[148:149], v[146:147], v[134:135], v[144:145] op_sel:[0,0,1] op_sel_hi:[1,1,0] neg_lo:[0,0,1] neg_hi:[0,0,1]
	v_pk_fma_f32 v[144:145], v[146:147], v[134:135], v[144:145] op_sel:[0,0,1] op_sel_hi:[1,0,0]
	v_mov_b32_e32 v149, v145
	ds_load_2addr_b64 v[144:147], v138 offset0:49 offset1:50
	v_pk_add_f32 v[12:13], v[12:13], v[150:151] neg_lo:[0,1] neg_hi:[0,1]
	v_pk_add_f32 v[54:55], v[54:55], v[148:149] neg_lo:[0,1] neg_hi:[0,1]
	s_wait_dscnt 0x0
	v_dual_mul_f32 v148, v145, v137 :: v_dual_mul_f32 v150, v145, v134
	s_delay_alu instid0(VALU_DEP_1) | instskip(NEXT) | instid1(VALU_DEP_2)
	v_pk_fma_f32 v[148:149], v[144:145], v[130:131], v[148:149] op_sel_hi:[1,1,0] neg_lo:[0,0,1] neg_hi:[0,0,1]
	v_pk_fma_f32 v[144:145], v[144:145], v[130:131], v[150:151] op_sel:[1,0,0] op_sel_hi:[0,1,0]
	s_delay_alu instid0(VALU_DEP_1) | instskip(SKIP_1) | instid1(VALU_DEP_2)
	v_mov_b32_e32 v149, v145
	v_pk_mul_f32 v[144:145], v[146:147], v[136:137] op_sel:[0,1]
	v_pk_add_f32 v[52:53], v[52:53], v[148:149] neg_lo:[0,1] neg_hi:[0,1]
	s_delay_alu instid0(VALU_DEP_2) | instskip(SKIP_1) | instid1(VALU_DEP_1)
	v_pk_fma_f32 v[148:149], v[146:147], v[134:135], v[144:145] op_sel:[0,0,1] op_sel_hi:[1,1,0] neg_lo:[0,0,1] neg_hi:[0,0,1]
	v_pk_fma_f32 v[144:145], v[146:147], v[134:135], v[144:145] op_sel:[0,0,1] op_sel_hi:[1,0,0]
	v_mov_b32_e32 v149, v145
	ds_load_2addr_b64 v[144:147], v138 offset0:51 offset1:52
	v_pk_add_f32 v[62:63], v[62:63], v[148:149] neg_lo:[0,1] neg_hi:[0,1]
	s_wait_dscnt 0x0
	v_pk_mul_f32 v[148:149], v[144:145], v[136:137] op_sel:[0,1]
	s_delay_alu instid0(VALU_DEP_1) | instskip(SKIP_1) | instid1(VALU_DEP_1)
	v_pk_fma_f32 v[150:151], v[144:145], v[134:135], v[148:149] op_sel:[0,0,1] op_sel_hi:[1,1,0] neg_lo:[0,0,1] neg_hi:[0,0,1]
	v_pk_fma_f32 v[144:145], v[144:145], v[134:135], v[148:149] op_sel:[0,0,1] op_sel_hi:[1,0,0]
	v_mov_b32_e32 v151, v145
	v_pk_mul_f32 v[144:145], v[146:147], v[136:137] op_sel:[0,1]
	s_delay_alu instid0(VALU_DEP_2) | instskip(NEXT) | instid1(VALU_DEP_2)
	v_pk_add_f32 v[16:17], v[16:17], v[150:151] neg_lo:[0,1] neg_hi:[0,1]
	v_pk_fma_f32 v[148:149], v[146:147], v[134:135], v[144:145] op_sel:[0,0,1] op_sel_hi:[1,1,0] neg_lo:[0,0,1] neg_hi:[0,0,1]
	v_pk_fma_f32 v[144:145], v[146:147], v[134:135], v[144:145] op_sel:[0,0,1] op_sel_hi:[1,0,0]
	s_delay_alu instid0(VALU_DEP_1) | instskip(SKIP_4) | instid1(VALU_DEP_1)
	v_mov_b32_e32 v149, v145
	ds_load_2addr_b64 v[144:147], v138 offset0:53 offset1:54
	v_pk_add_f32 v[48:49], v[48:49], v[148:149] neg_lo:[0,1] neg_hi:[0,1]
	s_wait_dscnt 0x0
	v_pk_mul_f32 v[148:149], v[144:145], v[136:137] op_sel:[0,1]
	v_pk_fma_f32 v[150:151], v[144:145], v[134:135], v[148:149] op_sel:[0,0,1] op_sel_hi:[1,1,0] neg_lo:[0,0,1] neg_hi:[0,0,1]
	v_pk_fma_f32 v[144:145], v[144:145], v[134:135], v[148:149] op_sel:[0,0,1] op_sel_hi:[1,0,0]
	v_dual_mul_f32 v148, v147, v137 :: v_dual_mov_b32 v144, v147
	s_delay_alu instid0(VALU_DEP_2) | instskip(NEXT) | instid1(VALU_DEP_2)
	v_dual_mov_b32 v151, v145 :: v_dual_mov_b32 v145, v146
	v_pk_fma_f32 v[148:149], v[146:147], v[130:131], v[148:149] op_sel_hi:[1,1,0] neg_lo:[0,0,1] neg_hi:[0,0,1]
	v_mul_f32_e32 v146, v147, v134
	s_delay_alu instid0(VALU_DEP_3) | instskip(NEXT) | instid1(VALU_DEP_2)
	v_pk_add_f32 v[42:43], v[42:43], v[150:151] neg_lo:[0,1] neg_hi:[0,1]
	v_pk_fma_f32 v[144:145], v[144:145], v[130:131], v[146:147] op_sel_hi:[1,1,0]
	s_delay_alu instid0(VALU_DEP_1) | instskip(SKIP_4) | instid1(VALU_DEP_1)
	v_mov_b32_e32 v149, v145
	ds_load_2addr_b64 v[144:147], v138 offset0:55 offset1:56
	v_pk_add_f32 v[46:47], v[46:47], v[148:149] neg_lo:[0,1] neg_hi:[0,1]
	s_wait_dscnt 0x0
	v_pk_mul_f32 v[148:149], v[144:145], v[136:137] op_sel:[0,1]
	v_pk_fma_f32 v[150:151], v[144:145], v[134:135], v[148:149] op_sel:[0,0,1] op_sel_hi:[1,1,0] neg_lo:[0,0,1] neg_hi:[0,0,1]
	v_pk_fma_f32 v[144:145], v[144:145], v[134:135], v[148:149] op_sel:[0,0,1] op_sel_hi:[1,0,0]
	s_delay_alu instid0(VALU_DEP_1) | instskip(SKIP_1) | instid1(VALU_DEP_1)
	v_mov_b32_e32 v151, v145
	v_pk_mul_f32 v[144:145], v[146:147], v[136:137] op_sel:[0,1]
	v_pk_fma_f32 v[148:149], v[146:147], v[134:135], v[144:145] op_sel:[0,0,1] op_sel_hi:[1,1,0] neg_lo:[0,0,1] neg_hi:[0,0,1]
	v_pk_fma_f32 v[144:145], v[146:147], v[134:135], v[144:145] op_sel:[0,0,1] op_sel_hi:[1,0,0]
	s_delay_alu instid0(VALU_DEP_1)
	v_mov_b32_e32 v149, v145
	ds_load_2addr_b64 v[144:147], v138 offset0:57 offset1:58
	v_pk_add_f32 v[8:9], v[8:9], v[150:151] neg_lo:[0,1] neg_hi:[0,1]
	v_pk_add_f32 v[32:33], v[32:33], v[148:149] neg_lo:[0,1] neg_hi:[0,1]
	s_wait_dscnt 0x0
	v_pk_mul_f32 v[148:149], v[144:145], v[136:137] op_sel:[0,1]
	s_delay_alu instid0(VALU_DEP_1) | instskip(SKIP_1) | instid1(VALU_DEP_1)
	v_pk_fma_f32 v[150:151], v[144:145], v[134:135], v[148:149] op_sel:[0,0,1] op_sel_hi:[1,1,0] neg_lo:[0,0,1] neg_hi:[0,0,1]
	v_pk_fma_f32 v[144:145], v[144:145], v[134:135], v[148:149] op_sel:[0,0,1] op_sel_hi:[1,0,0]
	v_mov_b32_e32 v151, v145
	v_pk_mul_f32 v[144:145], v[146:147], v[136:137] op_sel:[0,1]
	s_delay_alu instid0(VALU_DEP_1) | instskip(SKIP_1) | instid1(VALU_DEP_1)
	v_pk_fma_f32 v[148:149], v[146:147], v[134:135], v[144:145] op_sel:[0,0,1] op_sel_hi:[1,1,0] neg_lo:[0,0,1] neg_hi:[0,0,1]
	v_pk_fma_f32 v[144:145], v[146:147], v[134:135], v[144:145] op_sel:[0,0,1] op_sel_hi:[1,0,0]
	v_mov_b32_e32 v149, v145
	ds_load_2addr_b64 v[144:147], v138 offset0:59 offset1:60
	v_pk_add_f32 v[28:29], v[28:29], v[150:151] neg_lo:[0,1] neg_hi:[0,1]
	v_pk_add_f32 v[30:31], v[30:31], v[148:149] neg_lo:[0,1] neg_hi:[0,1]
	s_wait_dscnt 0x0
	v_dual_mul_f32 v148, v145, v137 :: v_dual_mul_f32 v150, v145, v134
	s_delay_alu instid0(VALU_DEP_1) | instskip(NEXT) | instid1(VALU_DEP_2)
	v_pk_fma_f32 v[148:149], v[144:145], v[130:131], v[148:149] op_sel_hi:[1,1,0] neg_lo:[0,0,1] neg_hi:[0,0,1]
	v_pk_fma_f32 v[144:145], v[144:145], v[130:131], v[150:151] op_sel:[1,0,0] op_sel_hi:[0,1,0]
	s_delay_alu instid0(VALU_DEP_1) | instskip(SKIP_1) | instid1(VALU_DEP_2)
	v_mov_b32_e32 v149, v145
	v_pk_mul_f32 v[144:145], v[146:147], v[136:137] op_sel:[0,1]
	v_pk_add_f32 v[6:7], v[6:7], v[148:149] neg_lo:[0,1] neg_hi:[0,1]
	s_delay_alu instid0(VALU_DEP_2) | instskip(SKIP_1) | instid1(VALU_DEP_1)
	v_pk_fma_f32 v[148:149], v[146:147], v[134:135], v[144:145] op_sel:[0,0,1] op_sel_hi:[1,1,0] neg_lo:[0,0,1] neg_hi:[0,0,1]
	v_pk_fma_f32 v[144:145], v[146:147], v[134:135], v[144:145] op_sel:[0,0,1] op_sel_hi:[1,0,0]
	v_mov_b32_e32 v149, v145
	ds_load_2addr_b64 v[144:147], v138 offset0:61 offset1:62
	v_pk_add_f32 v[20:21], v[20:21], v[148:149] neg_lo:[0,1] neg_hi:[0,1]
	s_wait_dscnt 0x0
	v_pk_mul_f32 v[148:149], v[144:145], v[136:137] op_sel:[0,1]
	s_delay_alu instid0(VALU_DEP_1) | instskip(SKIP_1) | instid1(VALU_DEP_1)
	v_pk_fma_f32 v[150:151], v[144:145], v[134:135], v[148:149] op_sel:[0,0,1] op_sel_hi:[1,1,0] neg_lo:[0,0,1] neg_hi:[0,0,1]
	v_pk_fma_f32 v[144:145], v[144:145], v[134:135], v[148:149] op_sel:[0,0,1] op_sel_hi:[1,0,0]
	v_mov_b32_e32 v151, v145
	v_pk_mul_f32 v[144:145], v[146:147], v[136:137] op_sel:[0,1]
	s_delay_alu instid0(VALU_DEP_2) | instskip(NEXT) | instid1(VALU_DEP_2)
	v_pk_add_f32 v[14:15], v[14:15], v[150:151] neg_lo:[0,1] neg_hi:[0,1]
	v_pk_fma_f32 v[148:149], v[146:147], v[134:135], v[144:145] op_sel:[0,0,1] op_sel_hi:[1,1,0] neg_lo:[0,0,1] neg_hi:[0,0,1]
	v_pk_fma_f32 v[144:145], v[146:147], v[134:135], v[144:145] op_sel:[0,0,1] op_sel_hi:[1,0,0]
	s_delay_alu instid0(VALU_DEP_1) | instskip(SKIP_4) | instid1(VALU_DEP_1)
	v_mov_b32_e32 v149, v145
	ds_load_b64 v[144:145], v138 offset:504
	v_pk_add_f32 v[10:11], v[10:11], v[148:149] neg_lo:[0,1] neg_hi:[0,1]
	s_wait_dscnt 0x0
	v_pk_mul_f32 v[136:137], v[144:145], v[136:137] op_sel:[0,1]
	v_pk_fma_f32 v[146:147], v[144:145], v[134:135], v[136:137] op_sel:[0,0,1] op_sel_hi:[1,1,0] neg_lo:[0,0,1] neg_hi:[0,0,1]
	v_pk_fma_f32 v[134:135], v[144:145], v[134:135], v[136:137] op_sel:[0,0,1] op_sel_hi:[1,0,0]
	s_delay_alu instid0(VALU_DEP_1) | instskip(NEXT) | instid1(VALU_DEP_1)
	v_mov_b32_e32 v147, v135
	v_pk_add_f32 v[132:133], v[132:133], v[146:147] neg_lo:[0,1] neg_hi:[0,1]
.LBB126_22:
	s_or_b32 exec_lo, exec_lo, s0
	v_lshl_add_u32 v134, v142, 3, v138
	s_barrier_signal -1
	s_barrier_wait -1
	ds_store_b64 v134, v[128:129]
	s_wait_dscnt 0x0
	s_barrier_signal -1
	s_barrier_wait -1
	ds_load_b64 v[136:137], v138 offset:8
	v_mov_b32_e32 v134, 1
	s_cmp_lt_i32 s18, 3
	s_cbranch_scc1 .LBB126_25
; %bb.23:
	v_add3_u32 v135, v139, 0, 16
	v_mov_b32_e32 v134, 1
	s_mov_b32 s0, 2
.LBB126_24:                             ; =>This Inner Loop Header: Depth=1
	ds_load_b64 v[144:145], v135
	s_wait_dscnt 0x1
	v_cmp_gt_f32_e32 vcc_lo, 0, v136
	v_cndmask_b32_e64 v146, v136, -v136, vcc_lo
	v_cmp_gt_f32_e32 vcc_lo, 0, v137
	v_cndmask_b32_e64 v148, v137, -v137, vcc_lo
	s_wait_dscnt 0x0
	v_cmp_gt_f32_e32 vcc_lo, 0, v144
	v_cndmask_b32_e64 v147, v144, -v144, vcc_lo
	v_cmp_gt_f32_e32 vcc_lo, 0, v145
	v_cndmask_b32_e64 v149, v145, -v145, vcc_lo
	s_delay_alu instid0(VALU_DEP_1) | instskip(NEXT) | instid1(VALU_DEP_1)
	v_pk_add_f32 v[146:147], v[146:147], v[148:149]
	v_cmp_lt_f32_e32 vcc_lo, v146, v147
	v_dual_add_nc_u32 v135, 8, v135 :: v_dual_cndmask_b32 v137, v137, v145, vcc_lo
	v_cndmask_b32_e32 v136, v136, v144, vcc_lo
	v_cndmask_b32_e64 v134, v134, s0, vcc_lo
	s_add_co_i32 s0, s0, 1
	s_delay_alu instid0(SALU_CYCLE_1)
	s_cmp_lg_u32 s18, s0
	s_cbranch_scc1 .LBB126_24
.LBB126_25:
	s_wait_dscnt 0x0
	v_cmp_neq_f32_e32 vcc_lo, 0, v136
	v_cmp_neq_f32_e64 s0, 0, v137
	s_or_b32 s1, vcc_lo, s0
	s_delay_alu instid0(SALU_CYCLE_1)
	s_and_saveexec_b32 s0, s1
	s_cbranch_execz .LBB126_31
; %bb.26:
	v_cmp_ngt_f32_e64 s1, |v136|, |v137|
	s_and_saveexec_b32 s12, s1
	s_delay_alu instid0(SALU_CYCLE_1)
	s_xor_b32 s1, exec_lo, s12
	s_cbranch_execz .LBB126_28
; %bb.27:
	v_div_scale_f32 v135, null, v137, v137, v136
	v_div_scale_f32 v145, vcc_lo, v136, v137, v136
	s_delay_alu instid0(VALU_DEP_2) | instskip(SKIP_1) | instid1(TRANS32_DEP_1)
	v_rcp_f32_e32 v140, v135
	v_nop
	v_fma_f32 v144, -v135, v140, 1.0
	s_delay_alu instid0(VALU_DEP_1) | instskip(NEXT) | instid1(VALU_DEP_1)
	v_fmac_f32_e32 v140, v144, v140
	v_mul_f32_e32 v144, v145, v140
	s_delay_alu instid0(VALU_DEP_1) | instskip(NEXT) | instid1(VALU_DEP_1)
	v_fma_f32 v146, -v135, v144, v145
	v_fmac_f32_e32 v144, v146, v140
	s_delay_alu instid0(VALU_DEP_1) | instskip(NEXT) | instid1(VALU_DEP_1)
	v_fma_f32 v135, -v135, v144, v145
	v_div_fmas_f32 v135, v135, v140, v144
	s_delay_alu instid0(VALU_DEP_1) | instskip(NEXT) | instid1(VALU_DEP_1)
	v_div_fixup_f32 v135, v135, v137, v136
	v_fmac_f32_e32 v137, v136, v135
	s_delay_alu instid0(VALU_DEP_1) | instskip(SKIP_1) | instid1(VALU_DEP_2)
	v_div_scale_f32 v136, null, v137, v137, 1.0
	v_div_scale_f32 v145, vcc_lo, 1.0, v137, 1.0
	v_rcp_f32_e32 v140, v136
	v_nop
	s_delay_alu instid0(TRANS32_DEP_1) | instskip(NEXT) | instid1(VALU_DEP_1)
	v_fma_f32 v144, -v136, v140, 1.0
	v_fmac_f32_e32 v140, v144, v140
	s_delay_alu instid0(VALU_DEP_1) | instskip(NEXT) | instid1(VALU_DEP_1)
	v_mul_f32_e32 v144, v145, v140
	v_fma_f32 v146, -v136, v144, v145
	s_delay_alu instid0(VALU_DEP_1) | instskip(NEXT) | instid1(VALU_DEP_1)
	v_fmac_f32_e32 v144, v146, v140
	v_fma_f32 v136, -v136, v144, v145
	s_delay_alu instid0(VALU_DEP_1) | instskip(NEXT) | instid1(VALU_DEP_1)
	v_div_fmas_f32 v136, v136, v140, v144
	v_div_fixup_f32 v137, v136, v137, 1.0
	s_delay_alu instid0(VALU_DEP_1)
	v_mul_f32_e32 v136, v135, v137
	v_xor_b32_e32 v137, 0x80000000, v137
.LBB126_28:
	s_and_not1_saveexec_b32 s1, s1
	s_cbranch_execz .LBB126_30
; %bb.29:
	s_delay_alu instid0(VALU_DEP_1) | instskip(SKIP_1) | instid1(VALU_DEP_2)
	v_div_scale_f32 v135, null, v136, v136, v137
	v_div_scale_f32 v145, vcc_lo, v137, v136, v137
	v_rcp_f32_e32 v140, v135
	v_nop
	s_delay_alu instid0(TRANS32_DEP_1) | instskip(NEXT) | instid1(VALU_DEP_1)
	v_fma_f32 v144, -v135, v140, 1.0
	v_fmac_f32_e32 v140, v144, v140
	s_delay_alu instid0(VALU_DEP_1) | instskip(NEXT) | instid1(VALU_DEP_1)
	v_mul_f32_e32 v144, v145, v140
	v_fma_f32 v146, -v135, v144, v145
	s_delay_alu instid0(VALU_DEP_1) | instskip(NEXT) | instid1(VALU_DEP_1)
	v_fmac_f32_e32 v144, v146, v140
	v_fma_f32 v135, -v135, v144, v145
	s_delay_alu instid0(VALU_DEP_1) | instskip(NEXT) | instid1(VALU_DEP_1)
	v_div_fmas_f32 v135, v135, v140, v144
	v_div_fixup_f32 v135, v135, v136, v137
	s_delay_alu instid0(VALU_DEP_1) | instskip(NEXT) | instid1(VALU_DEP_1)
	v_fmac_f32_e32 v136, v137, v135
	v_div_scale_f32 v137, null, v136, v136, 1.0
	s_delay_alu instid0(VALU_DEP_1) | instskip(SKIP_1) | instid1(TRANS32_DEP_1)
	v_rcp_f32_e32 v140, v137
	v_nop
	v_fma_f32 v144, -v137, v140, 1.0
	s_delay_alu instid0(VALU_DEP_1) | instskip(SKIP_1) | instid1(VALU_DEP_1)
	v_fmac_f32_e32 v140, v144, v140
	v_div_scale_f32 v144, vcc_lo, 1.0, v136, 1.0
	v_mul_f32_e32 v145, v144, v140
	s_delay_alu instid0(VALU_DEP_1) | instskip(NEXT) | instid1(VALU_DEP_1)
	v_fma_f32 v146, -v137, v145, v144
	v_fmac_f32_e32 v145, v146, v140
	s_delay_alu instid0(VALU_DEP_1) | instskip(NEXT) | instid1(VALU_DEP_1)
	v_fma_f32 v137, -v137, v145, v144
	v_div_fmas_f32 v137, v137, v140, v145
	s_delay_alu instid0(VALU_DEP_1) | instskip(NEXT) | instid1(VALU_DEP_1)
	v_div_fixup_f32 v136, v137, v136, 1.0
	v_mul_f32_e64 v137, v135, -v136
.LBB126_30:
	s_or_b32 exec_lo, exec_lo, s1
	v_mov_b32_e32 v140, v143
.LBB126_31:
	s_or_b32 exec_lo, exec_lo, s0
	s_delay_alu instid0(SALU_CYCLE_1)
	s_mov_b32 s0, exec_lo
	v_cmpx_ne_u32_e64 v142, v134
	s_xor_b32 s0, exec_lo, s0
	s_cbranch_execz .LBB126_37
; %bb.32:
	s_mov_b32 s1, exec_lo
	v_cmpx_eq_u32_e32 1, v142
	s_cbranch_execz .LBB126_36
; %bb.33:
	v_cmp_ne_u32_e32 vcc_lo, 1, v134
	s_xor_b32 s12, s16, -1
	s_delay_alu instid0(SALU_CYCLE_1) | instskip(NEXT) | instid1(SALU_CYCLE_1)
	s_and_b32 s13, s12, vcc_lo
	s_and_saveexec_b32 s12, s13
	s_cbranch_execz .LBB126_35
; %bb.34:
	v_ashrrev_i32_e32 v135, 31, v134
	s_delay_alu instid0(VALU_DEP_1)
	v_lshl_add_u64 v[142:143], v[134:135], 2, v[4:5]
	s_clause 0x1
	global_load_b32 v135, v[142:143], off
	global_load_b32 v141, v[4:5], off offset:4
	s_wait_loadcnt 0x1
	global_store_b32 v[4:5], v135, off offset:4
	s_wait_loadcnt 0x0
	global_store_b32 v[142:143], v141, off
.LBB126_35:
	s_wait_xcnt 0x0
	s_or_b32 exec_lo, exec_lo, s12
	v_dual_mov_b32 v142, v134 :: v_dual_mov_b32 v141, v134
.LBB126_36:
	s_or_b32 exec_lo, exec_lo, s1
.LBB126_37:
	s_and_not1_saveexec_b32 s0, s0
	s_cbranch_execz .LBB126_39
; %bb.38:
	v_dual_mov_b32 v134, v126 :: v_dual_mov_b32 v135, v127
	v_dual_mov_b32 v142, v124 :: v_dual_mov_b32 v143, v125
	ds_store_2addr_b64 v138, v[134:135], v[142:143] offset0:2 offset1:3
	v_dual_mov_b32 v134, v122 :: v_dual_mov_b32 v135, v123
	v_dual_mov_b32 v142, v120 :: v_dual_mov_b32 v143, v121
	ds_store_2addr_b64 v138, v[134:135], v[142:143] offset0:4 offset1:5
	;; [unrolled: 3-line block ×30, first 2 shown]
	v_dual_mov_b32 v134, v10 :: v_dual_mov_b32 v135, v11
	v_mov_b32_e32 v142, 1
	ds_store_2addr_b64 v138, v[134:135], v[132:133] offset0:62 offset1:63
.LBB126_39:
	s_or_b32 exec_lo, exec_lo, s0
	s_delay_alu instid0(SALU_CYCLE_1)
	s_mov_b32 s0, exec_lo
	s_wait_storecnt_dscnt 0x0
	s_barrier_signal -1
	s_barrier_wait -1
	v_cmpx_lt_i32_e32 1, v142
	s_cbranch_execz .LBB126_41
; %bb.40:
	v_pk_mul_f32 v[144:145], v[136:137], v[128:129] op_sel:[1,1] op_sel_hi:[0,1]
	s_delay_alu instid0(VALU_DEP_1)
	v_pk_fma_f32 v[134:135], v[136:137], v[128:129], v[144:145] op_sel_hi:[1,0,1] neg_lo:[0,0,1] neg_hi:[0,0,1]
	v_pk_fma_f32 v[136:137], v[136:137], v[128:129], v[144:145] op_sel_hi:[1,0,1]
	ds_load_2addr_b64 v[144:147], v138 offset0:2 offset1:3
	v_dual_mov_b32 v128, v134 :: v_dual_mov_b32 v129, v137
	s_wait_dscnt 0x0
	v_pk_mul_f32 v[148:149], v[144:145], v[136:137] op_sel:[0,1]
	s_delay_alu instid0(VALU_DEP_1) | instskip(SKIP_1) | instid1(VALU_DEP_1)
	v_pk_fma_f32 v[150:151], v[144:145], v[134:135], v[148:149] op_sel:[0,0,1] op_sel_hi:[1,1,0] neg_lo:[0,0,1] neg_hi:[0,0,1]
	v_pk_fma_f32 v[144:145], v[144:145], v[134:135], v[148:149] op_sel:[0,0,1] op_sel_hi:[1,0,0]
	v_mov_b32_e32 v151, v145
	v_pk_mul_f32 v[144:145], v[146:147], v[136:137] op_sel:[0,1]
	s_delay_alu instid0(VALU_DEP_1) | instskip(SKIP_1) | instid1(VALU_DEP_1)
	v_pk_fma_f32 v[148:149], v[146:147], v[134:135], v[144:145] op_sel:[0,0,1] op_sel_hi:[1,1,0] neg_lo:[0,0,1] neg_hi:[0,0,1]
	v_pk_fma_f32 v[144:145], v[146:147], v[134:135], v[144:145] op_sel:[0,0,1] op_sel_hi:[1,0,0]
	v_mov_b32_e32 v149, v145
	ds_load_2addr_b64 v[144:147], v138 offset0:4 offset1:5
	v_pk_add_f32 v[126:127], v[126:127], v[150:151] neg_lo:[0,1] neg_hi:[0,1]
	v_pk_add_f32 v[124:125], v[124:125], v[148:149] neg_lo:[0,1] neg_hi:[0,1]
	s_wait_dscnt 0x0
	v_pk_mul_f32 v[148:149], v[144:145], v[136:137] op_sel:[0,1]
	s_delay_alu instid0(VALU_DEP_1) | instskip(SKIP_2) | instid1(VALU_DEP_2)
	v_pk_fma_f32 v[150:151], v[144:145], v[134:135], v[148:149] op_sel:[0,0,1] op_sel_hi:[1,1,0] neg_lo:[0,0,1] neg_hi:[0,0,1]
	v_pk_fma_f32 v[144:145], v[144:145], v[134:135], v[148:149] op_sel:[0,0,1] op_sel_hi:[1,0,0]
	v_dual_mul_f32 v148, v147, v137 :: v_dual_mov_b32 v144, v147
	v_dual_mov_b32 v151, v145 :: v_dual_mov_b32 v145, v146
	s_delay_alu instid0(VALU_DEP_2) | instskip(SKIP_1) | instid1(VALU_DEP_3)
	v_pk_fma_f32 v[148:149], v[146:147], v[128:129], v[148:149] op_sel_hi:[1,1,0] neg_lo:[0,0,1] neg_hi:[0,0,1]
	v_mul_f32_e32 v146, v147, v134
	v_pk_add_f32 v[122:123], v[122:123], v[150:151] neg_lo:[0,1] neg_hi:[0,1]
	s_delay_alu instid0(VALU_DEP_2) | instskip(NEXT) | instid1(VALU_DEP_1)
	v_pk_fma_f32 v[144:145], v[144:145], v[128:129], v[146:147] op_sel_hi:[1,1,0]
	v_mov_b32_e32 v149, v145
	ds_load_2addr_b64 v[144:147], v138 offset0:6 offset1:7
	v_pk_add_f32 v[120:121], v[120:121], v[148:149] neg_lo:[0,1] neg_hi:[0,1]
	s_wait_dscnt 0x0
	v_pk_mul_f32 v[148:149], v[144:145], v[136:137] op_sel:[0,1]
	s_delay_alu instid0(VALU_DEP_1) | instskip(SKIP_1) | instid1(VALU_DEP_1)
	v_pk_fma_f32 v[150:151], v[144:145], v[134:135], v[148:149] op_sel:[0,0,1] op_sel_hi:[1,1,0] neg_lo:[0,0,1] neg_hi:[0,0,1]
	v_pk_fma_f32 v[144:145], v[144:145], v[134:135], v[148:149] op_sel:[0,0,1] op_sel_hi:[1,0,0]
	v_mov_b32_e32 v151, v145
	v_pk_mul_f32 v[144:145], v[146:147], v[136:137] op_sel:[0,1]
	s_delay_alu instid0(VALU_DEP_1) | instskip(SKIP_1) | instid1(VALU_DEP_1)
	v_pk_fma_f32 v[148:149], v[146:147], v[134:135], v[144:145] op_sel:[0,0,1] op_sel_hi:[1,1,0] neg_lo:[0,0,1] neg_hi:[0,0,1]
	v_pk_fma_f32 v[144:145], v[146:147], v[134:135], v[144:145] op_sel:[0,0,1] op_sel_hi:[1,0,0]
	v_mov_b32_e32 v149, v145
	ds_load_2addr_b64 v[144:147], v138 offset0:8 offset1:9
	v_pk_add_f32 v[112:113], v[112:113], v[150:151] neg_lo:[0,1] neg_hi:[0,1]
	v_pk_add_f32 v[44:45], v[44:45], v[148:149] neg_lo:[0,1] neg_hi:[0,1]
	s_wait_dscnt 0x0
	v_pk_mul_f32 v[148:149], v[144:145], v[136:137] op_sel:[0,1]
	s_delay_alu instid0(VALU_DEP_1) | instskip(SKIP_1) | instid1(VALU_DEP_1)
	v_pk_fma_f32 v[150:151], v[144:145], v[134:135], v[148:149] op_sel:[0,0,1] op_sel_hi:[1,1,0] neg_lo:[0,0,1] neg_hi:[0,0,1]
	v_pk_fma_f32 v[144:145], v[144:145], v[134:135], v[148:149] op_sel:[0,0,1] op_sel_hi:[1,0,0]
	v_mov_b32_e32 v151, v145
	v_pk_mul_f32 v[144:145], v[146:147], v[136:137] op_sel:[0,1]
	s_delay_alu instid0(VALU_DEP_1) | instskip(SKIP_1) | instid1(VALU_DEP_1)
	v_pk_fma_f32 v[148:149], v[146:147], v[134:135], v[144:145] op_sel:[0,0,1] op_sel_hi:[1,1,0] neg_lo:[0,0,1] neg_hi:[0,0,1]
	v_pk_fma_f32 v[144:145], v[146:147], v[134:135], v[144:145] op_sel:[0,0,1] op_sel_hi:[1,0,0]
	v_mov_b32_e32 v149, v145
	ds_load_2addr_b64 v[144:147], v138 offset0:10 offset1:11
	v_pk_add_f32 v[118:119], v[118:119], v[150:151] neg_lo:[0,1] neg_hi:[0,1]
	v_pk_add_f32 v[114:115], v[114:115], v[148:149] neg_lo:[0,1] neg_hi:[0,1]
	s_wait_dscnt 0x0
	v_dual_mul_f32 v148, v145, v137 :: v_dual_mul_f32 v150, v145, v134
	s_delay_alu instid0(VALU_DEP_1) | instskip(NEXT) | instid1(VALU_DEP_2)
	v_pk_fma_f32 v[148:149], v[144:145], v[128:129], v[148:149] op_sel_hi:[1,1,0] neg_lo:[0,0,1] neg_hi:[0,0,1]
	v_pk_fma_f32 v[144:145], v[144:145], v[128:129], v[150:151] op_sel:[1,0,0] op_sel_hi:[0,1,0]
	s_delay_alu instid0(VALU_DEP_1) | instskip(SKIP_1) | instid1(VALU_DEP_2)
	v_mov_b32_e32 v149, v145
	v_pk_mul_f32 v[144:145], v[146:147], v[136:137] op_sel:[0,1]
	v_pk_add_f32 v[116:117], v[116:117], v[148:149] neg_lo:[0,1] neg_hi:[0,1]
	s_delay_alu instid0(VALU_DEP_2) | instskip(SKIP_1) | instid1(VALU_DEP_1)
	v_pk_fma_f32 v[148:149], v[146:147], v[134:135], v[144:145] op_sel:[0,0,1] op_sel_hi:[1,1,0] neg_lo:[0,0,1] neg_hi:[0,0,1]
	v_pk_fma_f32 v[144:145], v[146:147], v[134:135], v[144:145] op_sel:[0,0,1] op_sel_hi:[1,0,0]
	v_mov_b32_e32 v149, v145
	ds_load_2addr_b64 v[144:147], v138 offset0:12 offset1:13
	v_pk_add_f32 v[50:51], v[50:51], v[148:149] neg_lo:[0,1] neg_hi:[0,1]
	s_wait_dscnt 0x0
	v_pk_mul_f32 v[148:149], v[144:145], v[136:137] op_sel:[0,1]
	s_delay_alu instid0(VALU_DEP_1) | instskip(SKIP_1) | instid1(VALU_DEP_1)
	v_pk_fma_f32 v[150:151], v[144:145], v[134:135], v[148:149] op_sel:[0,0,1] op_sel_hi:[1,1,0] neg_lo:[0,0,1] neg_hi:[0,0,1]
	v_pk_fma_f32 v[144:145], v[144:145], v[134:135], v[148:149] op_sel:[0,0,1] op_sel_hi:[1,0,0]
	v_mov_b32_e32 v151, v145
	v_pk_mul_f32 v[144:145], v[146:147], v[136:137] op_sel:[0,1]
	s_delay_alu instid0(VALU_DEP_2) | instskip(NEXT) | instid1(VALU_DEP_2)
	v_pk_add_f32 v[110:111], v[110:111], v[150:151] neg_lo:[0,1] neg_hi:[0,1]
	v_pk_fma_f32 v[148:149], v[146:147], v[134:135], v[144:145] op_sel:[0,0,1] op_sel_hi:[1,1,0] neg_lo:[0,0,1] neg_hi:[0,0,1]
	v_pk_fma_f32 v[144:145], v[146:147], v[134:135], v[144:145] op_sel:[0,0,1] op_sel_hi:[1,0,0]
	s_delay_alu instid0(VALU_DEP_1) | instskip(SKIP_4) | instid1(VALU_DEP_1)
	v_mov_b32_e32 v149, v145
	ds_load_2addr_b64 v[144:147], v138 offset0:14 offset1:15
	v_pk_add_f32 v[106:107], v[106:107], v[148:149] neg_lo:[0,1] neg_hi:[0,1]
	s_wait_dscnt 0x0
	v_pk_mul_f32 v[148:149], v[144:145], v[136:137] op_sel:[0,1]
	v_pk_fma_f32 v[150:151], v[144:145], v[134:135], v[148:149] op_sel:[0,0,1] op_sel_hi:[1,1,0] neg_lo:[0,0,1] neg_hi:[0,0,1]
	v_pk_fma_f32 v[144:145], v[144:145], v[134:135], v[148:149] op_sel:[0,0,1] op_sel_hi:[1,0,0]
	v_dual_mul_f32 v148, v147, v137 :: v_dual_mov_b32 v144, v147
	s_delay_alu instid0(VALU_DEP_2) | instskip(NEXT) | instid1(VALU_DEP_2)
	v_dual_mov_b32 v151, v145 :: v_dual_mov_b32 v145, v146
	v_pk_fma_f32 v[148:149], v[146:147], v[128:129], v[148:149] op_sel_hi:[1,1,0] neg_lo:[0,0,1] neg_hi:[0,0,1]
	v_mul_f32_e32 v146, v147, v134
	s_delay_alu instid0(VALU_DEP_3) | instskip(NEXT) | instid1(VALU_DEP_2)
	v_pk_add_f32 v[108:109], v[108:109], v[150:151] neg_lo:[0,1] neg_hi:[0,1]
	v_pk_fma_f32 v[144:145], v[144:145], v[128:129], v[146:147] op_sel_hi:[1,1,0]
	s_delay_alu instid0(VALU_DEP_1) | instskip(SKIP_4) | instid1(VALU_DEP_1)
	v_mov_b32_e32 v149, v145
	ds_load_2addr_b64 v[144:147], v138 offset0:16 offset1:17
	v_pk_add_f32 v[40:41], v[40:41], v[148:149] neg_lo:[0,1] neg_hi:[0,1]
	s_wait_dscnt 0x0
	v_pk_mul_f32 v[148:149], v[144:145], v[136:137] op_sel:[0,1]
	v_pk_fma_f32 v[150:151], v[144:145], v[134:135], v[148:149] op_sel:[0,0,1] op_sel_hi:[1,1,0] neg_lo:[0,0,1] neg_hi:[0,0,1]
	v_pk_fma_f32 v[144:145], v[144:145], v[134:135], v[148:149] op_sel:[0,0,1] op_sel_hi:[1,0,0]
	s_delay_alu instid0(VALU_DEP_1) | instskip(SKIP_1) | instid1(VALU_DEP_1)
	v_mov_b32_e32 v151, v145
	v_pk_mul_f32 v[144:145], v[146:147], v[136:137] op_sel:[0,1]
	v_pk_fma_f32 v[148:149], v[146:147], v[134:135], v[144:145] op_sel:[0,0,1] op_sel_hi:[1,1,0] neg_lo:[0,0,1] neg_hi:[0,0,1]
	v_pk_fma_f32 v[144:145], v[146:147], v[134:135], v[144:145] op_sel:[0,0,1] op_sel_hi:[1,0,0]
	s_delay_alu instid0(VALU_DEP_1)
	v_mov_b32_e32 v149, v145
	ds_load_2addr_b64 v[144:147], v138 offset0:18 offset1:19
	v_pk_add_f32 v[104:105], v[104:105], v[150:151] neg_lo:[0,1] neg_hi:[0,1]
	v_pk_add_f32 v[100:101], v[100:101], v[148:149] neg_lo:[0,1] neg_hi:[0,1]
	s_wait_dscnt 0x0
	v_pk_mul_f32 v[148:149], v[144:145], v[136:137] op_sel:[0,1]
	s_delay_alu instid0(VALU_DEP_1) | instskip(SKIP_1) | instid1(VALU_DEP_1)
	v_pk_fma_f32 v[150:151], v[144:145], v[134:135], v[148:149] op_sel:[0,0,1] op_sel_hi:[1,1,0] neg_lo:[0,0,1] neg_hi:[0,0,1]
	v_pk_fma_f32 v[144:145], v[144:145], v[134:135], v[148:149] op_sel:[0,0,1] op_sel_hi:[1,0,0]
	v_mov_b32_e32 v151, v145
	v_pk_mul_f32 v[144:145], v[146:147], v[136:137] op_sel:[0,1]
	s_delay_alu instid0(VALU_DEP_1) | instskip(SKIP_1) | instid1(VALU_DEP_1)
	v_pk_fma_f32 v[148:149], v[146:147], v[134:135], v[144:145] op_sel:[0,0,1] op_sel_hi:[1,1,0] neg_lo:[0,0,1] neg_hi:[0,0,1]
	v_pk_fma_f32 v[144:145], v[146:147], v[134:135], v[144:145] op_sel:[0,0,1] op_sel_hi:[1,0,0]
	v_mov_b32_e32 v149, v145
	ds_load_2addr_b64 v[144:147], v138 offset0:20 offset1:21
	v_pk_add_f32 v[102:103], v[102:103], v[150:151] neg_lo:[0,1] neg_hi:[0,1]
	v_pk_add_f32 v[38:39], v[38:39], v[148:149] neg_lo:[0,1] neg_hi:[0,1]
	s_wait_dscnt 0x0
	v_dual_mul_f32 v148, v145, v137 :: v_dual_mul_f32 v150, v145, v134
	s_delay_alu instid0(VALU_DEP_1) | instskip(NEXT) | instid1(VALU_DEP_2)
	v_pk_fma_f32 v[148:149], v[144:145], v[128:129], v[148:149] op_sel_hi:[1,1,0] neg_lo:[0,0,1] neg_hi:[0,0,1]
	v_pk_fma_f32 v[144:145], v[144:145], v[128:129], v[150:151] op_sel:[1,0,0] op_sel_hi:[0,1,0]
	s_delay_alu instid0(VALU_DEP_1) | instskip(SKIP_1) | instid1(VALU_DEP_2)
	v_mov_b32_e32 v149, v145
	v_pk_mul_f32 v[144:145], v[146:147], v[136:137] op_sel:[0,1]
	v_pk_add_f32 v[98:99], v[98:99], v[148:149] neg_lo:[0,1] neg_hi:[0,1]
	s_delay_alu instid0(VALU_DEP_2) | instskip(SKIP_1) | instid1(VALU_DEP_1)
	v_pk_fma_f32 v[148:149], v[146:147], v[134:135], v[144:145] op_sel:[0,0,1] op_sel_hi:[1,1,0] neg_lo:[0,0,1] neg_hi:[0,0,1]
	v_pk_fma_f32 v[144:145], v[146:147], v[134:135], v[144:145] op_sel:[0,0,1] op_sel_hi:[1,0,0]
	v_mov_b32_e32 v149, v145
	ds_load_2addr_b64 v[144:147], v138 offset0:22 offset1:23
	v_pk_add_f32 v[94:95], v[94:95], v[148:149] neg_lo:[0,1] neg_hi:[0,1]
	s_wait_dscnt 0x0
	v_pk_mul_f32 v[148:149], v[144:145], v[136:137] op_sel:[0,1]
	s_delay_alu instid0(VALU_DEP_1) | instskip(SKIP_1) | instid1(VALU_DEP_1)
	v_pk_fma_f32 v[150:151], v[144:145], v[134:135], v[148:149] op_sel:[0,0,1] op_sel_hi:[1,1,0] neg_lo:[0,0,1] neg_hi:[0,0,1]
	v_pk_fma_f32 v[144:145], v[144:145], v[134:135], v[148:149] op_sel:[0,0,1] op_sel_hi:[1,0,0]
	v_mov_b32_e32 v151, v145
	v_pk_mul_f32 v[144:145], v[146:147], v[136:137] op_sel:[0,1]
	s_delay_alu instid0(VALU_DEP_2) | instskip(NEXT) | instid1(VALU_DEP_2)
	v_pk_add_f32 v[96:97], v[96:97], v[150:151] neg_lo:[0,1] neg_hi:[0,1]
	v_pk_fma_f32 v[148:149], v[146:147], v[134:135], v[144:145] op_sel:[0,0,1] op_sel_hi:[1,1,0] neg_lo:[0,0,1] neg_hi:[0,0,1]
	v_pk_fma_f32 v[144:145], v[146:147], v[134:135], v[144:145] op_sel:[0,0,1] op_sel_hi:[1,0,0]
	s_delay_alu instid0(VALU_DEP_1) | instskip(SKIP_4) | instid1(VALU_DEP_1)
	v_mov_b32_e32 v149, v145
	ds_load_2addr_b64 v[144:147], v138 offset0:24 offset1:25
	v_pk_add_f32 v[36:37], v[36:37], v[148:149] neg_lo:[0,1] neg_hi:[0,1]
	s_wait_dscnt 0x0
	v_pk_mul_f32 v[148:149], v[144:145], v[136:137] op_sel:[0,1]
	v_pk_fma_f32 v[150:151], v[144:145], v[134:135], v[148:149] op_sel:[0,0,1] op_sel_hi:[1,1,0] neg_lo:[0,0,1] neg_hi:[0,0,1]
	v_pk_fma_f32 v[144:145], v[144:145], v[134:135], v[148:149] op_sel:[0,0,1] op_sel_hi:[1,0,0]
	v_dual_mul_f32 v148, v147, v137 :: v_dual_mov_b32 v144, v147
	s_delay_alu instid0(VALU_DEP_2) | instskip(NEXT) | instid1(VALU_DEP_2)
	v_dual_mov_b32 v151, v145 :: v_dual_mov_b32 v145, v146
	v_pk_fma_f32 v[148:149], v[146:147], v[128:129], v[148:149] op_sel_hi:[1,1,0] neg_lo:[0,0,1] neg_hi:[0,0,1]
	v_mul_f32_e32 v146, v147, v134
	s_delay_alu instid0(VALU_DEP_3) | instskip(NEXT) | instid1(VALU_DEP_2)
	v_pk_add_f32 v[92:93], v[92:93], v[150:151] neg_lo:[0,1] neg_hi:[0,1]
	v_pk_fma_f32 v[144:145], v[144:145], v[128:129], v[146:147] op_sel_hi:[1,1,0]
	s_delay_alu instid0(VALU_DEP_1) | instskip(SKIP_4) | instid1(VALU_DEP_1)
	v_mov_b32_e32 v149, v145
	ds_load_2addr_b64 v[144:147], v138 offset0:26 offset1:27
	v_pk_add_f32 v[88:89], v[88:89], v[148:149] neg_lo:[0,1] neg_hi:[0,1]
	s_wait_dscnt 0x0
	v_pk_mul_f32 v[148:149], v[144:145], v[136:137] op_sel:[0,1]
	v_pk_fma_f32 v[150:151], v[144:145], v[134:135], v[148:149] op_sel:[0,0,1] op_sel_hi:[1,1,0] neg_lo:[0,0,1] neg_hi:[0,0,1]
	v_pk_fma_f32 v[144:145], v[144:145], v[134:135], v[148:149] op_sel:[0,0,1] op_sel_hi:[1,0,0]
	s_delay_alu instid0(VALU_DEP_1) | instskip(SKIP_1) | instid1(VALU_DEP_1)
	v_mov_b32_e32 v151, v145
	v_pk_mul_f32 v[144:145], v[146:147], v[136:137] op_sel:[0,1]
	v_pk_fma_f32 v[148:149], v[146:147], v[134:135], v[144:145] op_sel:[0,0,1] op_sel_hi:[1,1,0] neg_lo:[0,0,1] neg_hi:[0,0,1]
	v_pk_fma_f32 v[144:145], v[146:147], v[134:135], v[144:145] op_sel:[0,0,1] op_sel_hi:[1,0,0]
	s_delay_alu instid0(VALU_DEP_1)
	v_mov_b32_e32 v149, v145
	ds_load_2addr_b64 v[144:147], v138 offset0:28 offset1:29
	v_pk_add_f32 v[90:91], v[90:91], v[150:151] neg_lo:[0,1] neg_hi:[0,1]
	v_pk_add_f32 v[34:35], v[34:35], v[148:149] neg_lo:[0,1] neg_hi:[0,1]
	s_wait_dscnt 0x0
	v_pk_mul_f32 v[148:149], v[144:145], v[136:137] op_sel:[0,1]
	s_delay_alu instid0(VALU_DEP_1) | instskip(SKIP_1) | instid1(VALU_DEP_1)
	v_pk_fma_f32 v[150:151], v[144:145], v[134:135], v[148:149] op_sel:[0,0,1] op_sel_hi:[1,1,0] neg_lo:[0,0,1] neg_hi:[0,0,1]
	v_pk_fma_f32 v[144:145], v[144:145], v[134:135], v[148:149] op_sel:[0,0,1] op_sel_hi:[1,0,0]
	v_mov_b32_e32 v151, v145
	v_pk_mul_f32 v[144:145], v[146:147], v[136:137] op_sel:[0,1]
	s_delay_alu instid0(VALU_DEP_1) | instskip(SKIP_1) | instid1(VALU_DEP_1)
	v_pk_fma_f32 v[148:149], v[146:147], v[134:135], v[144:145] op_sel:[0,0,1] op_sel_hi:[1,1,0] neg_lo:[0,0,1] neg_hi:[0,0,1]
	v_pk_fma_f32 v[144:145], v[146:147], v[134:135], v[144:145] op_sel:[0,0,1] op_sel_hi:[1,0,0]
	v_mov_b32_e32 v149, v145
	ds_load_2addr_b64 v[144:147], v138 offset0:30 offset1:31
	v_pk_add_f32 v[86:87], v[86:87], v[150:151] neg_lo:[0,1] neg_hi:[0,1]
	v_pk_add_f32 v[82:83], v[82:83], v[148:149] neg_lo:[0,1] neg_hi:[0,1]
	s_wait_dscnt 0x0
	v_dual_mul_f32 v148, v145, v137 :: v_dual_mul_f32 v150, v145, v134
	s_delay_alu instid0(VALU_DEP_1) | instskip(NEXT) | instid1(VALU_DEP_2)
	v_pk_fma_f32 v[148:149], v[144:145], v[128:129], v[148:149] op_sel_hi:[1,1,0] neg_lo:[0,0,1] neg_hi:[0,0,1]
	v_pk_fma_f32 v[144:145], v[144:145], v[128:129], v[150:151] op_sel:[1,0,0] op_sel_hi:[0,1,0]
	s_delay_alu instid0(VALU_DEP_1) | instskip(SKIP_1) | instid1(VALU_DEP_2)
	v_mov_b32_e32 v149, v145
	v_pk_mul_f32 v[144:145], v[146:147], v[136:137] op_sel:[0,1]
	v_pk_add_f32 v[84:85], v[84:85], v[148:149] neg_lo:[0,1] neg_hi:[0,1]
	s_delay_alu instid0(VALU_DEP_2) | instskip(SKIP_1) | instid1(VALU_DEP_1)
	v_pk_fma_f32 v[148:149], v[146:147], v[134:135], v[144:145] op_sel:[0,0,1] op_sel_hi:[1,1,0] neg_lo:[0,0,1] neg_hi:[0,0,1]
	v_pk_fma_f32 v[144:145], v[146:147], v[134:135], v[144:145] op_sel:[0,0,1] op_sel_hi:[1,0,0]
	v_mov_b32_e32 v149, v145
	ds_load_2addr_b64 v[144:147], v138 offset0:32 offset1:33
	v_pk_add_f32 v[26:27], v[26:27], v[148:149] neg_lo:[0,1] neg_hi:[0,1]
	s_wait_dscnt 0x0
	v_pk_mul_f32 v[148:149], v[144:145], v[136:137] op_sel:[0,1]
	s_delay_alu instid0(VALU_DEP_1) | instskip(SKIP_1) | instid1(VALU_DEP_1)
	v_pk_fma_f32 v[150:151], v[144:145], v[134:135], v[148:149] op_sel:[0,0,1] op_sel_hi:[1,1,0] neg_lo:[0,0,1] neg_hi:[0,0,1]
	v_pk_fma_f32 v[144:145], v[144:145], v[134:135], v[148:149] op_sel:[0,0,1] op_sel_hi:[1,0,0]
	v_mov_b32_e32 v151, v145
	v_pk_mul_f32 v[144:145], v[146:147], v[136:137] op_sel:[0,1]
	s_delay_alu instid0(VALU_DEP_2) | instskip(NEXT) | instid1(VALU_DEP_2)
	v_pk_add_f32 v[80:81], v[80:81], v[150:151] neg_lo:[0,1] neg_hi:[0,1]
	v_pk_fma_f32 v[148:149], v[146:147], v[134:135], v[144:145] op_sel:[0,0,1] op_sel_hi:[1,1,0] neg_lo:[0,0,1] neg_hi:[0,0,1]
	v_pk_fma_f32 v[144:145], v[146:147], v[134:135], v[144:145] op_sel:[0,0,1] op_sel_hi:[1,0,0]
	s_delay_alu instid0(VALU_DEP_1) | instskip(SKIP_4) | instid1(VALU_DEP_1)
	v_mov_b32_e32 v149, v145
	ds_load_2addr_b64 v[144:147], v138 offset0:34 offset1:35
	v_pk_add_f32 v[76:77], v[76:77], v[148:149] neg_lo:[0,1] neg_hi:[0,1]
	s_wait_dscnt 0x0
	v_pk_mul_f32 v[148:149], v[144:145], v[136:137] op_sel:[0,1]
	v_pk_fma_f32 v[150:151], v[144:145], v[134:135], v[148:149] op_sel:[0,0,1] op_sel_hi:[1,1,0] neg_lo:[0,0,1] neg_hi:[0,0,1]
	v_pk_fma_f32 v[144:145], v[144:145], v[134:135], v[148:149] op_sel:[0,0,1] op_sel_hi:[1,0,0]
	v_dual_mul_f32 v148, v147, v137 :: v_dual_mov_b32 v144, v147
	s_delay_alu instid0(VALU_DEP_2) | instskip(NEXT) | instid1(VALU_DEP_2)
	v_dual_mov_b32 v151, v145 :: v_dual_mov_b32 v145, v146
	v_pk_fma_f32 v[148:149], v[146:147], v[128:129], v[148:149] op_sel_hi:[1,1,0] neg_lo:[0,0,1] neg_hi:[0,0,1]
	v_mul_f32_e32 v146, v147, v134
	s_delay_alu instid0(VALU_DEP_3) | instskip(NEXT) | instid1(VALU_DEP_2)
	v_pk_add_f32 v[78:79], v[78:79], v[150:151] neg_lo:[0,1] neg_hi:[0,1]
	v_pk_fma_f32 v[144:145], v[144:145], v[128:129], v[146:147] op_sel_hi:[1,1,0]
	s_delay_alu instid0(VALU_DEP_1) | instskip(SKIP_4) | instid1(VALU_DEP_1)
	v_mov_b32_e32 v149, v145
	ds_load_2addr_b64 v[144:147], v138 offset0:36 offset1:37
	v_pk_add_f32 v[24:25], v[24:25], v[148:149] neg_lo:[0,1] neg_hi:[0,1]
	s_wait_dscnt 0x0
	v_pk_mul_f32 v[148:149], v[144:145], v[136:137] op_sel:[0,1]
	v_pk_fma_f32 v[150:151], v[144:145], v[134:135], v[148:149] op_sel:[0,0,1] op_sel_hi:[1,1,0] neg_lo:[0,0,1] neg_hi:[0,0,1]
	v_pk_fma_f32 v[144:145], v[144:145], v[134:135], v[148:149] op_sel:[0,0,1] op_sel_hi:[1,0,0]
	s_delay_alu instid0(VALU_DEP_1) | instskip(SKIP_1) | instid1(VALU_DEP_1)
	v_mov_b32_e32 v151, v145
	v_pk_mul_f32 v[144:145], v[146:147], v[136:137] op_sel:[0,1]
	v_pk_fma_f32 v[148:149], v[146:147], v[134:135], v[144:145] op_sel:[0,0,1] op_sel_hi:[1,1,0] neg_lo:[0,0,1] neg_hi:[0,0,1]
	v_pk_fma_f32 v[144:145], v[146:147], v[134:135], v[144:145] op_sel:[0,0,1] op_sel_hi:[1,0,0]
	s_delay_alu instid0(VALU_DEP_1)
	v_mov_b32_e32 v149, v145
	ds_load_2addr_b64 v[144:147], v138 offset0:38 offset1:39
	v_pk_add_f32 v[74:75], v[74:75], v[150:151] neg_lo:[0,1] neg_hi:[0,1]
	v_pk_add_f32 v[70:71], v[70:71], v[148:149] neg_lo:[0,1] neg_hi:[0,1]
	s_wait_dscnt 0x0
	v_pk_mul_f32 v[148:149], v[144:145], v[136:137] op_sel:[0,1]
	s_delay_alu instid0(VALU_DEP_1) | instskip(SKIP_1) | instid1(VALU_DEP_1)
	v_pk_fma_f32 v[150:151], v[144:145], v[134:135], v[148:149] op_sel:[0,0,1] op_sel_hi:[1,1,0] neg_lo:[0,0,1] neg_hi:[0,0,1]
	v_pk_fma_f32 v[144:145], v[144:145], v[134:135], v[148:149] op_sel:[0,0,1] op_sel_hi:[1,0,0]
	v_mov_b32_e32 v151, v145
	v_pk_mul_f32 v[144:145], v[146:147], v[136:137] op_sel:[0,1]
	s_delay_alu instid0(VALU_DEP_1) | instskip(SKIP_1) | instid1(VALU_DEP_1)
	v_pk_fma_f32 v[148:149], v[146:147], v[134:135], v[144:145] op_sel:[0,0,1] op_sel_hi:[1,1,0] neg_lo:[0,0,1] neg_hi:[0,0,1]
	v_pk_fma_f32 v[144:145], v[146:147], v[134:135], v[144:145] op_sel:[0,0,1] op_sel_hi:[1,0,0]
	v_mov_b32_e32 v149, v145
	ds_load_2addr_b64 v[144:147], v138 offset0:40 offset1:41
	v_pk_add_f32 v[72:73], v[72:73], v[150:151] neg_lo:[0,1] neg_hi:[0,1]
	v_pk_add_f32 v[22:23], v[22:23], v[148:149] neg_lo:[0,1] neg_hi:[0,1]
	s_wait_dscnt 0x0
	v_dual_mul_f32 v148, v145, v137 :: v_dual_mul_f32 v150, v145, v134
	s_delay_alu instid0(VALU_DEP_1) | instskip(NEXT) | instid1(VALU_DEP_2)
	v_pk_fma_f32 v[148:149], v[144:145], v[128:129], v[148:149] op_sel_hi:[1,1,0] neg_lo:[0,0,1] neg_hi:[0,0,1]
	v_pk_fma_f32 v[144:145], v[144:145], v[128:129], v[150:151] op_sel:[1,0,0] op_sel_hi:[0,1,0]
	s_delay_alu instid0(VALU_DEP_1) | instskip(SKIP_1) | instid1(VALU_DEP_2)
	v_mov_b32_e32 v149, v145
	v_pk_mul_f32 v[144:145], v[146:147], v[136:137] op_sel:[0,1]
	v_pk_add_f32 v[68:69], v[68:69], v[148:149] neg_lo:[0,1] neg_hi:[0,1]
	s_delay_alu instid0(VALU_DEP_2) | instskip(SKIP_1) | instid1(VALU_DEP_1)
	v_pk_fma_f32 v[148:149], v[146:147], v[134:135], v[144:145] op_sel:[0,0,1] op_sel_hi:[1,1,0] neg_lo:[0,0,1] neg_hi:[0,0,1]
	v_pk_fma_f32 v[144:145], v[146:147], v[134:135], v[144:145] op_sel:[0,0,1] op_sel_hi:[1,0,0]
	v_mov_b32_e32 v149, v145
	ds_load_2addr_b64 v[144:147], v138 offset0:42 offset1:43
	v_pk_add_f32 v[64:65], v[64:65], v[148:149] neg_lo:[0,1] neg_hi:[0,1]
	s_wait_dscnt 0x0
	v_pk_mul_f32 v[148:149], v[144:145], v[136:137] op_sel:[0,1]
	s_delay_alu instid0(VALU_DEP_1) | instskip(SKIP_1) | instid1(VALU_DEP_1)
	v_pk_fma_f32 v[150:151], v[144:145], v[134:135], v[148:149] op_sel:[0,0,1] op_sel_hi:[1,1,0] neg_lo:[0,0,1] neg_hi:[0,0,1]
	v_pk_fma_f32 v[144:145], v[144:145], v[134:135], v[148:149] op_sel:[0,0,1] op_sel_hi:[1,0,0]
	v_mov_b32_e32 v151, v145
	v_pk_mul_f32 v[144:145], v[146:147], v[136:137] op_sel:[0,1]
	s_delay_alu instid0(VALU_DEP_2) | instskip(NEXT) | instid1(VALU_DEP_2)
	v_pk_add_f32 v[66:67], v[66:67], v[150:151] neg_lo:[0,1] neg_hi:[0,1]
	v_pk_fma_f32 v[148:149], v[146:147], v[134:135], v[144:145] op_sel:[0,0,1] op_sel_hi:[1,1,0] neg_lo:[0,0,1] neg_hi:[0,0,1]
	v_pk_fma_f32 v[144:145], v[146:147], v[134:135], v[144:145] op_sel:[0,0,1] op_sel_hi:[1,0,0]
	s_delay_alu instid0(VALU_DEP_1) | instskip(SKIP_4) | instid1(VALU_DEP_1)
	v_mov_b32_e32 v149, v145
	ds_load_2addr_b64 v[144:147], v138 offset0:44 offset1:45
	v_pk_add_f32 v[18:19], v[18:19], v[148:149] neg_lo:[0,1] neg_hi:[0,1]
	s_wait_dscnt 0x0
	v_pk_mul_f32 v[148:149], v[144:145], v[136:137] op_sel:[0,1]
	v_pk_fma_f32 v[150:151], v[144:145], v[134:135], v[148:149] op_sel:[0,0,1] op_sel_hi:[1,1,0] neg_lo:[0,0,1] neg_hi:[0,0,1]
	v_pk_fma_f32 v[144:145], v[144:145], v[134:135], v[148:149] op_sel:[0,0,1] op_sel_hi:[1,0,0]
	v_dual_mul_f32 v148, v147, v137 :: v_dual_mov_b32 v144, v147
	s_delay_alu instid0(VALU_DEP_2) | instskip(NEXT) | instid1(VALU_DEP_2)
	v_dual_mov_b32 v151, v145 :: v_dual_mov_b32 v145, v146
	v_pk_fma_f32 v[148:149], v[146:147], v[128:129], v[148:149] op_sel_hi:[1,1,0] neg_lo:[0,0,1] neg_hi:[0,0,1]
	v_mul_f32_e32 v146, v147, v134
	s_delay_alu instid0(VALU_DEP_3) | instskip(NEXT) | instid1(VALU_DEP_2)
	v_pk_add_f32 v[60:61], v[60:61], v[150:151] neg_lo:[0,1] neg_hi:[0,1]
	v_pk_fma_f32 v[144:145], v[144:145], v[128:129], v[146:147] op_sel_hi:[1,1,0]
	s_delay_alu instid0(VALU_DEP_1) | instskip(SKIP_4) | instid1(VALU_DEP_1)
	v_mov_b32_e32 v149, v145
	ds_load_2addr_b64 v[144:147], v138 offset0:46 offset1:47
	v_pk_add_f32 v[56:57], v[56:57], v[148:149] neg_lo:[0,1] neg_hi:[0,1]
	s_wait_dscnt 0x0
	v_pk_mul_f32 v[148:149], v[144:145], v[136:137] op_sel:[0,1]
	v_pk_fma_f32 v[150:151], v[144:145], v[134:135], v[148:149] op_sel:[0,0,1] op_sel_hi:[1,1,0] neg_lo:[0,0,1] neg_hi:[0,0,1]
	v_pk_fma_f32 v[144:145], v[144:145], v[134:135], v[148:149] op_sel:[0,0,1] op_sel_hi:[1,0,0]
	s_delay_alu instid0(VALU_DEP_1) | instskip(SKIP_1) | instid1(VALU_DEP_1)
	v_mov_b32_e32 v151, v145
	v_pk_mul_f32 v[144:145], v[146:147], v[136:137] op_sel:[0,1]
	v_pk_fma_f32 v[148:149], v[146:147], v[134:135], v[144:145] op_sel:[0,0,1] op_sel_hi:[1,1,0] neg_lo:[0,0,1] neg_hi:[0,0,1]
	v_pk_fma_f32 v[144:145], v[146:147], v[134:135], v[144:145] op_sel:[0,0,1] op_sel_hi:[1,0,0]
	s_delay_alu instid0(VALU_DEP_1)
	v_mov_b32_e32 v149, v145
	ds_load_2addr_b64 v[144:147], v138 offset0:48 offset1:49
	v_pk_add_f32 v[58:59], v[58:59], v[150:151] neg_lo:[0,1] neg_hi:[0,1]
	v_pk_add_f32 v[12:13], v[12:13], v[148:149] neg_lo:[0,1] neg_hi:[0,1]
	s_wait_dscnt 0x0
	v_pk_mul_f32 v[148:149], v[144:145], v[136:137] op_sel:[0,1]
	s_delay_alu instid0(VALU_DEP_1) | instskip(SKIP_1) | instid1(VALU_DEP_1)
	v_pk_fma_f32 v[150:151], v[144:145], v[134:135], v[148:149] op_sel:[0,0,1] op_sel_hi:[1,1,0] neg_lo:[0,0,1] neg_hi:[0,0,1]
	v_pk_fma_f32 v[144:145], v[144:145], v[134:135], v[148:149] op_sel:[0,0,1] op_sel_hi:[1,0,0]
	v_mov_b32_e32 v151, v145
	v_pk_mul_f32 v[144:145], v[146:147], v[136:137] op_sel:[0,1]
	s_delay_alu instid0(VALU_DEP_1) | instskip(SKIP_1) | instid1(VALU_DEP_1)
	v_pk_fma_f32 v[148:149], v[146:147], v[134:135], v[144:145] op_sel:[0,0,1] op_sel_hi:[1,1,0] neg_lo:[0,0,1] neg_hi:[0,0,1]
	v_pk_fma_f32 v[144:145], v[146:147], v[134:135], v[144:145] op_sel:[0,0,1] op_sel_hi:[1,0,0]
	v_mov_b32_e32 v149, v145
	ds_load_2addr_b64 v[144:147], v138 offset0:50 offset1:51
	v_pk_add_f32 v[54:55], v[54:55], v[150:151] neg_lo:[0,1] neg_hi:[0,1]
	v_pk_add_f32 v[52:53], v[52:53], v[148:149] neg_lo:[0,1] neg_hi:[0,1]
	s_wait_dscnt 0x0
	v_dual_mul_f32 v148, v145, v137 :: v_dual_mul_f32 v150, v145, v134
	s_delay_alu instid0(VALU_DEP_1) | instskip(NEXT) | instid1(VALU_DEP_2)
	v_pk_fma_f32 v[148:149], v[144:145], v[128:129], v[148:149] op_sel_hi:[1,1,0] neg_lo:[0,0,1] neg_hi:[0,0,1]
	v_pk_fma_f32 v[144:145], v[144:145], v[128:129], v[150:151] op_sel:[1,0,0] op_sel_hi:[0,1,0]
	s_delay_alu instid0(VALU_DEP_1) | instskip(SKIP_1) | instid1(VALU_DEP_2)
	v_mov_b32_e32 v149, v145
	v_pk_mul_f32 v[144:145], v[146:147], v[136:137] op_sel:[0,1]
	v_pk_add_f32 v[62:63], v[62:63], v[148:149] neg_lo:[0,1] neg_hi:[0,1]
	s_delay_alu instid0(VALU_DEP_2) | instskip(SKIP_1) | instid1(VALU_DEP_1)
	v_pk_fma_f32 v[148:149], v[146:147], v[134:135], v[144:145] op_sel:[0,0,1] op_sel_hi:[1,1,0] neg_lo:[0,0,1] neg_hi:[0,0,1]
	v_pk_fma_f32 v[144:145], v[146:147], v[134:135], v[144:145] op_sel:[0,0,1] op_sel_hi:[1,0,0]
	v_mov_b32_e32 v149, v145
	ds_load_2addr_b64 v[144:147], v138 offset0:52 offset1:53
	v_pk_add_f32 v[16:17], v[16:17], v[148:149] neg_lo:[0,1] neg_hi:[0,1]
	s_wait_dscnt 0x0
	v_pk_mul_f32 v[148:149], v[144:145], v[136:137] op_sel:[0,1]
	s_delay_alu instid0(VALU_DEP_1) | instskip(SKIP_1) | instid1(VALU_DEP_1)
	v_pk_fma_f32 v[150:151], v[144:145], v[134:135], v[148:149] op_sel:[0,0,1] op_sel_hi:[1,1,0] neg_lo:[0,0,1] neg_hi:[0,0,1]
	v_pk_fma_f32 v[144:145], v[144:145], v[134:135], v[148:149] op_sel:[0,0,1] op_sel_hi:[1,0,0]
	v_mov_b32_e32 v151, v145
	v_pk_mul_f32 v[144:145], v[146:147], v[136:137] op_sel:[0,1]
	s_delay_alu instid0(VALU_DEP_2) | instskip(NEXT) | instid1(VALU_DEP_2)
	v_pk_add_f32 v[48:49], v[48:49], v[150:151] neg_lo:[0,1] neg_hi:[0,1]
	v_pk_fma_f32 v[148:149], v[146:147], v[134:135], v[144:145] op_sel:[0,0,1] op_sel_hi:[1,1,0] neg_lo:[0,0,1] neg_hi:[0,0,1]
	v_pk_fma_f32 v[144:145], v[146:147], v[134:135], v[144:145] op_sel:[0,0,1] op_sel_hi:[1,0,0]
	s_delay_alu instid0(VALU_DEP_1) | instskip(SKIP_4) | instid1(VALU_DEP_1)
	v_mov_b32_e32 v149, v145
	ds_load_2addr_b64 v[144:147], v138 offset0:54 offset1:55
	v_pk_add_f32 v[42:43], v[42:43], v[148:149] neg_lo:[0,1] neg_hi:[0,1]
	s_wait_dscnt 0x0
	v_pk_mul_f32 v[148:149], v[144:145], v[136:137] op_sel:[0,1]
	v_pk_fma_f32 v[150:151], v[144:145], v[134:135], v[148:149] op_sel:[0,0,1] op_sel_hi:[1,1,0] neg_lo:[0,0,1] neg_hi:[0,0,1]
	v_pk_fma_f32 v[144:145], v[144:145], v[134:135], v[148:149] op_sel:[0,0,1] op_sel_hi:[1,0,0]
	v_dual_mul_f32 v148, v147, v137 :: v_dual_mov_b32 v144, v147
	s_delay_alu instid0(VALU_DEP_2) | instskip(NEXT) | instid1(VALU_DEP_2)
	v_dual_mov_b32 v151, v145 :: v_dual_mov_b32 v145, v146
	v_pk_fma_f32 v[148:149], v[146:147], v[128:129], v[148:149] op_sel_hi:[1,1,0] neg_lo:[0,0,1] neg_hi:[0,0,1]
	v_mul_f32_e32 v146, v147, v134
	s_delay_alu instid0(VALU_DEP_3) | instskip(NEXT) | instid1(VALU_DEP_2)
	v_pk_add_f32 v[46:47], v[46:47], v[150:151] neg_lo:[0,1] neg_hi:[0,1]
	v_pk_fma_f32 v[144:145], v[144:145], v[128:129], v[146:147] op_sel_hi:[1,1,0]
	s_delay_alu instid0(VALU_DEP_1) | instskip(SKIP_4) | instid1(VALU_DEP_1)
	v_mov_b32_e32 v149, v145
	ds_load_2addr_b64 v[144:147], v138 offset0:56 offset1:57
	v_pk_add_f32 v[8:9], v[8:9], v[148:149] neg_lo:[0,1] neg_hi:[0,1]
	s_wait_dscnt 0x0
	v_pk_mul_f32 v[148:149], v[144:145], v[136:137] op_sel:[0,1]
	v_pk_fma_f32 v[150:151], v[144:145], v[134:135], v[148:149] op_sel:[0,0,1] op_sel_hi:[1,1,0] neg_lo:[0,0,1] neg_hi:[0,0,1]
	v_pk_fma_f32 v[144:145], v[144:145], v[134:135], v[148:149] op_sel:[0,0,1] op_sel_hi:[1,0,0]
	s_delay_alu instid0(VALU_DEP_1) | instskip(SKIP_1) | instid1(VALU_DEP_1)
	v_mov_b32_e32 v151, v145
	v_pk_mul_f32 v[144:145], v[146:147], v[136:137] op_sel:[0,1]
	v_pk_fma_f32 v[148:149], v[146:147], v[134:135], v[144:145] op_sel:[0,0,1] op_sel_hi:[1,1,0] neg_lo:[0,0,1] neg_hi:[0,0,1]
	v_pk_fma_f32 v[144:145], v[146:147], v[134:135], v[144:145] op_sel:[0,0,1] op_sel_hi:[1,0,0]
	s_delay_alu instid0(VALU_DEP_1)
	v_mov_b32_e32 v149, v145
	ds_load_2addr_b64 v[144:147], v138 offset0:58 offset1:59
	v_pk_add_f32 v[32:33], v[32:33], v[150:151] neg_lo:[0,1] neg_hi:[0,1]
	v_pk_add_f32 v[28:29], v[28:29], v[148:149] neg_lo:[0,1] neg_hi:[0,1]
	s_wait_dscnt 0x0
	v_pk_mul_f32 v[148:149], v[144:145], v[136:137] op_sel:[0,1]
	s_delay_alu instid0(VALU_DEP_1) | instskip(SKIP_1) | instid1(VALU_DEP_1)
	v_pk_fma_f32 v[150:151], v[144:145], v[134:135], v[148:149] op_sel:[0,0,1] op_sel_hi:[1,1,0] neg_lo:[0,0,1] neg_hi:[0,0,1]
	v_pk_fma_f32 v[144:145], v[144:145], v[134:135], v[148:149] op_sel:[0,0,1] op_sel_hi:[1,0,0]
	v_mov_b32_e32 v151, v145
	v_pk_mul_f32 v[144:145], v[146:147], v[136:137] op_sel:[0,1]
	s_delay_alu instid0(VALU_DEP_1) | instskip(SKIP_1) | instid1(VALU_DEP_1)
	v_pk_fma_f32 v[148:149], v[146:147], v[134:135], v[144:145] op_sel:[0,0,1] op_sel_hi:[1,1,0] neg_lo:[0,0,1] neg_hi:[0,0,1]
	v_pk_fma_f32 v[144:145], v[146:147], v[134:135], v[144:145] op_sel:[0,0,1] op_sel_hi:[1,0,0]
	v_mov_b32_e32 v149, v145
	ds_load_2addr_b64 v[144:147], v138 offset0:60 offset1:61
	v_pk_add_f32 v[30:31], v[30:31], v[150:151] neg_lo:[0,1] neg_hi:[0,1]
	v_pk_add_f32 v[6:7], v[6:7], v[148:149] neg_lo:[0,1] neg_hi:[0,1]
	s_wait_dscnt 0x0
	v_dual_mul_f32 v148, v145, v137 :: v_dual_mul_f32 v150, v145, v134
	s_delay_alu instid0(VALU_DEP_1) | instskip(NEXT) | instid1(VALU_DEP_2)
	v_pk_fma_f32 v[148:149], v[144:145], v[128:129], v[148:149] op_sel_hi:[1,1,0] neg_lo:[0,0,1] neg_hi:[0,0,1]
	v_pk_fma_f32 v[144:145], v[144:145], v[128:129], v[150:151] op_sel:[1,0,0] op_sel_hi:[0,1,0]
	s_delay_alu instid0(VALU_DEP_1) | instskip(SKIP_1) | instid1(VALU_DEP_2)
	v_mov_b32_e32 v149, v145
	v_pk_mul_f32 v[144:145], v[146:147], v[136:137] op_sel:[0,1]
	v_pk_add_f32 v[20:21], v[20:21], v[148:149] neg_lo:[0,1] neg_hi:[0,1]
	s_delay_alu instid0(VALU_DEP_2) | instskip(SKIP_1) | instid1(VALU_DEP_1)
	v_pk_fma_f32 v[148:149], v[146:147], v[134:135], v[144:145] op_sel:[0,0,1] op_sel_hi:[1,1,0] neg_lo:[0,0,1] neg_hi:[0,0,1]
	v_pk_fma_f32 v[144:145], v[146:147], v[134:135], v[144:145] op_sel:[0,0,1] op_sel_hi:[1,0,0]
	v_mov_b32_e32 v149, v145
	ds_load_2addr_b64 v[144:147], v138 offset0:62 offset1:63
	v_pk_add_f32 v[14:15], v[14:15], v[148:149] neg_lo:[0,1] neg_hi:[0,1]
	s_wait_dscnt 0x0
	v_pk_mul_f32 v[148:149], v[144:145], v[136:137] op_sel:[0,1]
	v_pk_mul_f32 v[136:137], v[146:147], v[136:137] op_sel:[0,1]
	s_delay_alu instid0(VALU_DEP_2) | instskip(SKIP_1) | instid1(VALU_DEP_1)
	v_pk_fma_f32 v[150:151], v[144:145], v[134:135], v[148:149] op_sel:[0,0,1] op_sel_hi:[1,1,0] neg_lo:[0,0,1] neg_hi:[0,0,1]
	v_pk_fma_f32 v[144:145], v[144:145], v[134:135], v[148:149] op_sel:[0,0,1] op_sel_hi:[1,0,0]
	v_mov_b32_e32 v151, v145
	s_delay_alu instid0(VALU_DEP_4) | instskip(SKIP_1) | instid1(VALU_DEP_3)
	v_pk_fma_f32 v[144:145], v[146:147], v[134:135], v[136:137] op_sel:[0,0,1] op_sel_hi:[1,1,0] neg_lo:[0,0,1] neg_hi:[0,0,1]
	v_pk_fma_f32 v[134:135], v[146:147], v[134:135], v[136:137] op_sel:[0,0,1] op_sel_hi:[1,0,0]
	v_pk_add_f32 v[10:11], v[10:11], v[150:151] neg_lo:[0,1] neg_hi:[0,1]
	s_delay_alu instid0(VALU_DEP_2) | instskip(NEXT) | instid1(VALU_DEP_1)
	v_mov_b32_e32 v145, v135
	v_pk_add_f32 v[132:133], v[132:133], v[144:145] neg_lo:[0,1] neg_hi:[0,1]
.LBB126_41:
	s_or_b32 exec_lo, exec_lo, s0
	v_lshl_add_u32 v134, v142, 3, v138
	s_barrier_signal -1
	s_barrier_wait -1
	ds_store_b64 v134, v[126:127]
	s_wait_dscnt 0x0
	s_barrier_signal -1
	s_barrier_wait -1
	ds_load_b64 v[136:137], v138 offset:16
	v_mov_b32_e32 v134, 2
	s_cmp_lt_i32 s18, 4
	s_mov_b32 s0, 3
	s_cbranch_scc1 .LBB126_44
; %bb.42:
	v_add3_u32 v135, v139, 0, 24
	v_mov_b32_e32 v134, 2
.LBB126_43:                             ; =>This Inner Loop Header: Depth=1
	ds_load_b64 v[144:145], v135
	s_wait_dscnt 0x1
	v_cmp_gt_f32_e32 vcc_lo, 0, v136
	v_cndmask_b32_e64 v146, v136, -v136, vcc_lo
	v_cmp_gt_f32_e32 vcc_lo, 0, v137
	v_cndmask_b32_e64 v148, v137, -v137, vcc_lo
	s_wait_dscnt 0x0
	v_cmp_gt_f32_e32 vcc_lo, 0, v144
	v_cndmask_b32_e64 v147, v144, -v144, vcc_lo
	v_cmp_gt_f32_e32 vcc_lo, 0, v145
	v_cndmask_b32_e64 v149, v145, -v145, vcc_lo
	s_delay_alu instid0(VALU_DEP_1) | instskip(NEXT) | instid1(VALU_DEP_1)
	v_pk_add_f32 v[146:147], v[146:147], v[148:149]
	v_cmp_lt_f32_e32 vcc_lo, v146, v147
	v_dual_add_nc_u32 v135, 8, v135 :: v_dual_cndmask_b32 v137, v137, v145, vcc_lo
	v_cndmask_b32_e32 v136, v136, v144, vcc_lo
	v_cndmask_b32_e64 v134, v134, s0, vcc_lo
	s_add_co_i32 s0, s0, 1
	s_delay_alu instid0(SALU_CYCLE_1)
	s_cmp_lg_u32 s18, s0
	s_cbranch_scc1 .LBB126_43
.LBB126_44:
	s_wait_dscnt 0x0
	v_cmp_eq_f32_e32 vcc_lo, 0, v136
	v_cmp_eq_f32_e64 s0, 0, v137
	s_and_b32 s0, vcc_lo, s0
	s_delay_alu instid0(SALU_CYCLE_1) | instskip(NEXT) | instid1(SALU_CYCLE_1)
	s_and_saveexec_b32 s1, s0
	s_xor_b32 s0, exec_lo, s1
; %bb.45:
	v_cmp_ne_u32_e32 vcc_lo, 0, v140
	v_cndmask_b32_e32 v140, 3, v140, vcc_lo
; %bb.46:
	s_and_not1_saveexec_b32 s0, s0
	s_cbranch_execz .LBB126_52
; %bb.47:
	v_cmp_ngt_f32_e64 s1, |v136|, |v137|
	s_and_saveexec_b32 s12, s1
	s_delay_alu instid0(SALU_CYCLE_1)
	s_xor_b32 s1, exec_lo, s12
	s_cbranch_execz .LBB126_49
; %bb.48:
	v_div_scale_f32 v135, null, v137, v137, v136
	v_div_scale_f32 v145, vcc_lo, v136, v137, v136
	s_delay_alu instid0(VALU_DEP_2) | instskip(SKIP_1) | instid1(TRANS32_DEP_1)
	v_rcp_f32_e32 v143, v135
	v_nop
	v_fma_f32 v144, -v135, v143, 1.0
	s_delay_alu instid0(VALU_DEP_1) | instskip(NEXT) | instid1(VALU_DEP_1)
	v_fmac_f32_e32 v143, v144, v143
	v_mul_f32_e32 v144, v145, v143
	s_delay_alu instid0(VALU_DEP_1) | instskip(NEXT) | instid1(VALU_DEP_1)
	v_fma_f32 v146, -v135, v144, v145
	v_fmac_f32_e32 v144, v146, v143
	s_delay_alu instid0(VALU_DEP_1) | instskip(NEXT) | instid1(VALU_DEP_1)
	v_fma_f32 v135, -v135, v144, v145
	v_div_fmas_f32 v135, v135, v143, v144
	s_delay_alu instid0(VALU_DEP_1) | instskip(NEXT) | instid1(VALU_DEP_1)
	v_div_fixup_f32 v135, v135, v137, v136
	v_fmac_f32_e32 v137, v136, v135
	s_delay_alu instid0(VALU_DEP_1) | instskip(SKIP_1) | instid1(VALU_DEP_2)
	v_div_scale_f32 v136, null, v137, v137, 1.0
	v_div_scale_f32 v145, vcc_lo, 1.0, v137, 1.0
	v_rcp_f32_e32 v143, v136
	v_nop
	s_delay_alu instid0(TRANS32_DEP_1) | instskip(NEXT) | instid1(VALU_DEP_1)
	v_fma_f32 v144, -v136, v143, 1.0
	v_fmac_f32_e32 v143, v144, v143
	s_delay_alu instid0(VALU_DEP_1) | instskip(NEXT) | instid1(VALU_DEP_1)
	v_mul_f32_e32 v144, v145, v143
	v_fma_f32 v146, -v136, v144, v145
	s_delay_alu instid0(VALU_DEP_1) | instskip(NEXT) | instid1(VALU_DEP_1)
	v_fmac_f32_e32 v144, v146, v143
	v_fma_f32 v136, -v136, v144, v145
	s_delay_alu instid0(VALU_DEP_1) | instskip(NEXT) | instid1(VALU_DEP_1)
	v_div_fmas_f32 v136, v136, v143, v144
	v_div_fixup_f32 v137, v136, v137, 1.0
	s_delay_alu instid0(VALU_DEP_1)
	v_mul_f32_e32 v136, v135, v137
	v_xor_b32_e32 v137, 0x80000000, v137
.LBB126_49:
	s_and_not1_saveexec_b32 s1, s1
	s_cbranch_execz .LBB126_51
; %bb.50:
	s_delay_alu instid0(VALU_DEP_1) | instskip(SKIP_1) | instid1(VALU_DEP_2)
	v_div_scale_f32 v135, null, v136, v136, v137
	v_div_scale_f32 v145, vcc_lo, v137, v136, v137
	v_rcp_f32_e32 v143, v135
	v_nop
	s_delay_alu instid0(TRANS32_DEP_1) | instskip(NEXT) | instid1(VALU_DEP_1)
	v_fma_f32 v144, -v135, v143, 1.0
	v_fmac_f32_e32 v143, v144, v143
	s_delay_alu instid0(VALU_DEP_1) | instskip(NEXT) | instid1(VALU_DEP_1)
	v_mul_f32_e32 v144, v145, v143
	v_fma_f32 v146, -v135, v144, v145
	s_delay_alu instid0(VALU_DEP_1) | instskip(NEXT) | instid1(VALU_DEP_1)
	v_fmac_f32_e32 v144, v146, v143
	v_fma_f32 v135, -v135, v144, v145
	s_delay_alu instid0(VALU_DEP_1) | instskip(NEXT) | instid1(VALU_DEP_1)
	v_div_fmas_f32 v135, v135, v143, v144
	v_div_fixup_f32 v135, v135, v136, v137
	s_delay_alu instid0(VALU_DEP_1) | instskip(NEXT) | instid1(VALU_DEP_1)
	v_fmac_f32_e32 v136, v137, v135
	v_div_scale_f32 v137, null, v136, v136, 1.0
	s_delay_alu instid0(VALU_DEP_1) | instskip(SKIP_1) | instid1(TRANS32_DEP_1)
	v_rcp_f32_e32 v143, v137
	v_nop
	v_fma_f32 v144, -v137, v143, 1.0
	s_delay_alu instid0(VALU_DEP_1) | instskip(SKIP_1) | instid1(VALU_DEP_1)
	v_fmac_f32_e32 v143, v144, v143
	v_div_scale_f32 v144, vcc_lo, 1.0, v136, 1.0
	v_mul_f32_e32 v145, v144, v143
	s_delay_alu instid0(VALU_DEP_1) | instskip(NEXT) | instid1(VALU_DEP_1)
	v_fma_f32 v146, -v137, v145, v144
	v_fmac_f32_e32 v145, v146, v143
	s_delay_alu instid0(VALU_DEP_1) | instskip(NEXT) | instid1(VALU_DEP_1)
	v_fma_f32 v137, -v137, v145, v144
	v_div_fmas_f32 v137, v137, v143, v145
	s_delay_alu instid0(VALU_DEP_1) | instskip(NEXT) | instid1(VALU_DEP_1)
	v_div_fixup_f32 v136, v137, v136, 1.0
	v_mul_f32_e64 v137, v135, -v136
.LBB126_51:
	s_or_b32 exec_lo, exec_lo, s1
.LBB126_52:
	s_delay_alu instid0(SALU_CYCLE_1) | instskip(NEXT) | instid1(SALU_CYCLE_1)
	s_or_b32 exec_lo, exec_lo, s0
	s_mov_b32 s0, exec_lo
	v_cmpx_ne_u32_e64 v142, v134
	s_xor_b32 s0, exec_lo, s0
	s_cbranch_execz .LBB126_58
; %bb.53:
	s_mov_b32 s1, exec_lo
	v_cmpx_eq_u32_e32 2, v142
	s_cbranch_execz .LBB126_57
; %bb.54:
	v_cmp_ne_u32_e32 vcc_lo, 2, v134
	s_xor_b32 s12, s16, -1
	s_delay_alu instid0(SALU_CYCLE_1) | instskip(NEXT) | instid1(SALU_CYCLE_1)
	s_and_b32 s13, s12, vcc_lo
	s_and_saveexec_b32 s12, s13
	s_cbranch_execz .LBB126_56
; %bb.55:
	v_ashrrev_i32_e32 v135, 31, v134
	s_delay_alu instid0(VALU_DEP_1)
	v_lshl_add_u64 v[142:143], v[134:135], 2, v[4:5]
	s_clause 0x1
	global_load_b32 v135, v[142:143], off
	global_load_b32 v141, v[4:5], off offset:8
	s_wait_loadcnt 0x1
	global_store_b32 v[4:5], v135, off offset:8
	s_wait_loadcnt 0x0
	global_store_b32 v[142:143], v141, off
.LBB126_56:
	s_wait_xcnt 0x0
	s_or_b32 exec_lo, exec_lo, s12
	v_dual_mov_b32 v142, v134 :: v_dual_mov_b32 v141, v134
.LBB126_57:
	s_or_b32 exec_lo, exec_lo, s1
.LBB126_58:
	s_and_not1_saveexec_b32 s0, s0
	s_cbranch_execz .LBB126_60
; %bb.59:
	v_mov_b32_e32 v142, 2
	ds_store_2addr_b64 v138, v[124:125], v[122:123] offset0:3 offset1:4
	ds_store_2addr_b64 v138, v[120:121], v[112:113] offset0:5 offset1:6
	;; [unrolled: 1-line block ×30, first 2 shown]
	ds_store_b64 v138, v[132:133] offset:504
.LBB126_60:
	s_or_b32 exec_lo, exec_lo, s0
	s_delay_alu instid0(SALU_CYCLE_1)
	s_mov_b32 s0, exec_lo
	s_wait_storecnt_dscnt 0x0
	s_barrier_signal -1
	s_barrier_wait -1
	v_cmpx_lt_i32_e32 2, v142
	s_cbranch_execz .LBB126_62
; %bb.61:
	v_pk_mul_f32 v[144:145], v[136:137], v[126:127] op_sel:[1,1] op_sel_hi:[0,1]
	s_delay_alu instid0(VALU_DEP_1)
	v_pk_fma_f32 v[134:135], v[136:137], v[126:127], v[144:145] op_sel_hi:[1,0,1] neg_lo:[0,0,1] neg_hi:[0,0,1]
	v_pk_fma_f32 v[136:137], v[136:137], v[126:127], v[144:145] op_sel_hi:[1,0,1]
	ds_load_2addr_b64 v[144:147], v138 offset0:3 offset1:4
	v_dual_mov_b32 v126, v134 :: v_dual_mov_b32 v127, v137
	s_wait_dscnt 0x0
	v_pk_mul_f32 v[148:149], v[144:145], v[136:137] op_sel:[0,1]
	s_delay_alu instid0(VALU_DEP_1) | instskip(SKIP_1) | instid1(VALU_DEP_1)
	v_pk_fma_f32 v[150:151], v[144:145], v[134:135], v[148:149] op_sel:[0,0,1] op_sel_hi:[1,1,0] neg_lo:[0,0,1] neg_hi:[0,0,1]
	v_pk_fma_f32 v[144:145], v[144:145], v[134:135], v[148:149] op_sel:[0,0,1] op_sel_hi:[1,0,0]
	v_mov_b32_e32 v151, v145
	v_pk_mul_f32 v[144:145], v[146:147], v[136:137] op_sel:[0,1]
	s_delay_alu instid0(VALU_DEP_1) | instskip(SKIP_1) | instid1(VALU_DEP_1)
	v_pk_fma_f32 v[148:149], v[146:147], v[134:135], v[144:145] op_sel:[0,0,1] op_sel_hi:[1,1,0] neg_lo:[0,0,1] neg_hi:[0,0,1]
	v_pk_fma_f32 v[144:145], v[146:147], v[134:135], v[144:145] op_sel:[0,0,1] op_sel_hi:[1,0,0]
	v_mov_b32_e32 v149, v145
	ds_load_2addr_b64 v[144:147], v138 offset0:5 offset1:6
	v_pk_add_f32 v[124:125], v[124:125], v[150:151] neg_lo:[0,1] neg_hi:[0,1]
	v_pk_add_f32 v[122:123], v[122:123], v[148:149] neg_lo:[0,1] neg_hi:[0,1]
	s_wait_dscnt 0x0
	v_pk_mul_f32 v[148:149], v[144:145], v[136:137] op_sel:[0,1]
	s_delay_alu instid0(VALU_DEP_1) | instskip(SKIP_2) | instid1(VALU_DEP_2)
	v_pk_fma_f32 v[150:151], v[144:145], v[134:135], v[148:149] op_sel:[0,0,1] op_sel_hi:[1,1,0] neg_lo:[0,0,1] neg_hi:[0,0,1]
	v_pk_fma_f32 v[144:145], v[144:145], v[134:135], v[148:149] op_sel:[0,0,1] op_sel_hi:[1,0,0]
	v_dual_mul_f32 v148, v147, v137 :: v_dual_mov_b32 v144, v147
	v_dual_mov_b32 v151, v145 :: v_dual_mov_b32 v145, v146
	s_delay_alu instid0(VALU_DEP_2) | instskip(SKIP_1) | instid1(VALU_DEP_3)
	v_pk_fma_f32 v[148:149], v[146:147], v[126:127], v[148:149] op_sel_hi:[1,1,0] neg_lo:[0,0,1] neg_hi:[0,0,1]
	v_mul_f32_e32 v146, v147, v134
	v_pk_add_f32 v[120:121], v[120:121], v[150:151] neg_lo:[0,1] neg_hi:[0,1]
	s_delay_alu instid0(VALU_DEP_2) | instskip(NEXT) | instid1(VALU_DEP_1)
	v_pk_fma_f32 v[144:145], v[144:145], v[126:127], v[146:147] op_sel_hi:[1,1,0]
	v_mov_b32_e32 v149, v145
	ds_load_2addr_b64 v[144:147], v138 offset0:7 offset1:8
	v_pk_add_f32 v[112:113], v[112:113], v[148:149] neg_lo:[0,1] neg_hi:[0,1]
	s_wait_dscnt 0x0
	v_pk_mul_f32 v[148:149], v[144:145], v[136:137] op_sel:[0,1]
	s_delay_alu instid0(VALU_DEP_1) | instskip(SKIP_1) | instid1(VALU_DEP_1)
	v_pk_fma_f32 v[150:151], v[144:145], v[134:135], v[148:149] op_sel:[0,0,1] op_sel_hi:[1,1,0] neg_lo:[0,0,1] neg_hi:[0,0,1]
	v_pk_fma_f32 v[144:145], v[144:145], v[134:135], v[148:149] op_sel:[0,0,1] op_sel_hi:[1,0,0]
	v_mov_b32_e32 v151, v145
	v_pk_mul_f32 v[144:145], v[146:147], v[136:137] op_sel:[0,1]
	s_delay_alu instid0(VALU_DEP_1) | instskip(SKIP_1) | instid1(VALU_DEP_1)
	v_pk_fma_f32 v[148:149], v[146:147], v[134:135], v[144:145] op_sel:[0,0,1] op_sel_hi:[1,1,0] neg_lo:[0,0,1] neg_hi:[0,0,1]
	v_pk_fma_f32 v[144:145], v[146:147], v[134:135], v[144:145] op_sel:[0,0,1] op_sel_hi:[1,0,0]
	v_mov_b32_e32 v149, v145
	ds_load_2addr_b64 v[144:147], v138 offset0:9 offset1:10
	v_pk_add_f32 v[44:45], v[44:45], v[150:151] neg_lo:[0,1] neg_hi:[0,1]
	v_pk_add_f32 v[118:119], v[118:119], v[148:149] neg_lo:[0,1] neg_hi:[0,1]
	s_wait_dscnt 0x0
	v_pk_mul_f32 v[148:149], v[144:145], v[136:137] op_sel:[0,1]
	s_delay_alu instid0(VALU_DEP_1) | instskip(SKIP_1) | instid1(VALU_DEP_1)
	v_pk_fma_f32 v[150:151], v[144:145], v[134:135], v[148:149] op_sel:[0,0,1] op_sel_hi:[1,1,0] neg_lo:[0,0,1] neg_hi:[0,0,1]
	v_pk_fma_f32 v[144:145], v[144:145], v[134:135], v[148:149] op_sel:[0,0,1] op_sel_hi:[1,0,0]
	v_mov_b32_e32 v151, v145
	v_pk_mul_f32 v[144:145], v[146:147], v[136:137] op_sel:[0,1]
	s_delay_alu instid0(VALU_DEP_1) | instskip(SKIP_1) | instid1(VALU_DEP_1)
	v_pk_fma_f32 v[148:149], v[146:147], v[134:135], v[144:145] op_sel:[0,0,1] op_sel_hi:[1,1,0] neg_lo:[0,0,1] neg_hi:[0,0,1]
	v_pk_fma_f32 v[144:145], v[146:147], v[134:135], v[144:145] op_sel:[0,0,1] op_sel_hi:[1,0,0]
	v_mov_b32_e32 v149, v145
	ds_load_2addr_b64 v[144:147], v138 offset0:11 offset1:12
	v_pk_add_f32 v[114:115], v[114:115], v[150:151] neg_lo:[0,1] neg_hi:[0,1]
	v_pk_add_f32 v[116:117], v[116:117], v[148:149] neg_lo:[0,1] neg_hi:[0,1]
	s_wait_dscnt 0x0
	v_dual_mul_f32 v148, v145, v137 :: v_dual_mul_f32 v150, v145, v134
	s_delay_alu instid0(VALU_DEP_1) | instskip(NEXT) | instid1(VALU_DEP_2)
	v_pk_fma_f32 v[148:149], v[144:145], v[126:127], v[148:149] op_sel_hi:[1,1,0] neg_lo:[0,0,1] neg_hi:[0,0,1]
	v_pk_fma_f32 v[144:145], v[144:145], v[126:127], v[150:151] op_sel:[1,0,0] op_sel_hi:[0,1,0]
	s_delay_alu instid0(VALU_DEP_1) | instskip(SKIP_1) | instid1(VALU_DEP_2)
	v_mov_b32_e32 v149, v145
	v_pk_mul_f32 v[144:145], v[146:147], v[136:137] op_sel:[0,1]
	v_pk_add_f32 v[50:51], v[50:51], v[148:149] neg_lo:[0,1] neg_hi:[0,1]
	s_delay_alu instid0(VALU_DEP_2) | instskip(SKIP_1) | instid1(VALU_DEP_1)
	v_pk_fma_f32 v[148:149], v[146:147], v[134:135], v[144:145] op_sel:[0,0,1] op_sel_hi:[1,1,0] neg_lo:[0,0,1] neg_hi:[0,0,1]
	v_pk_fma_f32 v[144:145], v[146:147], v[134:135], v[144:145] op_sel:[0,0,1] op_sel_hi:[1,0,0]
	v_mov_b32_e32 v149, v145
	ds_load_2addr_b64 v[144:147], v138 offset0:13 offset1:14
	v_pk_add_f32 v[110:111], v[110:111], v[148:149] neg_lo:[0,1] neg_hi:[0,1]
	s_wait_dscnt 0x0
	v_pk_mul_f32 v[148:149], v[144:145], v[136:137] op_sel:[0,1]
	s_delay_alu instid0(VALU_DEP_1) | instskip(SKIP_1) | instid1(VALU_DEP_1)
	v_pk_fma_f32 v[150:151], v[144:145], v[134:135], v[148:149] op_sel:[0,0,1] op_sel_hi:[1,1,0] neg_lo:[0,0,1] neg_hi:[0,0,1]
	v_pk_fma_f32 v[144:145], v[144:145], v[134:135], v[148:149] op_sel:[0,0,1] op_sel_hi:[1,0,0]
	v_mov_b32_e32 v151, v145
	v_pk_mul_f32 v[144:145], v[146:147], v[136:137] op_sel:[0,1]
	s_delay_alu instid0(VALU_DEP_2) | instskip(NEXT) | instid1(VALU_DEP_2)
	v_pk_add_f32 v[106:107], v[106:107], v[150:151] neg_lo:[0,1] neg_hi:[0,1]
	v_pk_fma_f32 v[148:149], v[146:147], v[134:135], v[144:145] op_sel:[0,0,1] op_sel_hi:[1,1,0] neg_lo:[0,0,1] neg_hi:[0,0,1]
	v_pk_fma_f32 v[144:145], v[146:147], v[134:135], v[144:145] op_sel:[0,0,1] op_sel_hi:[1,0,0]
	s_delay_alu instid0(VALU_DEP_1) | instskip(SKIP_4) | instid1(VALU_DEP_1)
	v_mov_b32_e32 v149, v145
	ds_load_2addr_b64 v[144:147], v138 offset0:15 offset1:16
	v_pk_add_f32 v[108:109], v[108:109], v[148:149] neg_lo:[0,1] neg_hi:[0,1]
	s_wait_dscnt 0x0
	v_pk_mul_f32 v[148:149], v[144:145], v[136:137] op_sel:[0,1]
	v_pk_fma_f32 v[150:151], v[144:145], v[134:135], v[148:149] op_sel:[0,0,1] op_sel_hi:[1,1,0] neg_lo:[0,0,1] neg_hi:[0,0,1]
	v_pk_fma_f32 v[144:145], v[144:145], v[134:135], v[148:149] op_sel:[0,0,1] op_sel_hi:[1,0,0]
	v_dual_mul_f32 v148, v147, v137 :: v_dual_mov_b32 v144, v147
	s_delay_alu instid0(VALU_DEP_2) | instskip(NEXT) | instid1(VALU_DEP_2)
	v_dual_mov_b32 v151, v145 :: v_dual_mov_b32 v145, v146
	v_pk_fma_f32 v[148:149], v[146:147], v[126:127], v[148:149] op_sel_hi:[1,1,0] neg_lo:[0,0,1] neg_hi:[0,0,1]
	v_mul_f32_e32 v146, v147, v134
	s_delay_alu instid0(VALU_DEP_3) | instskip(NEXT) | instid1(VALU_DEP_2)
	v_pk_add_f32 v[40:41], v[40:41], v[150:151] neg_lo:[0,1] neg_hi:[0,1]
	v_pk_fma_f32 v[144:145], v[144:145], v[126:127], v[146:147] op_sel_hi:[1,1,0]
	s_delay_alu instid0(VALU_DEP_1) | instskip(SKIP_4) | instid1(VALU_DEP_1)
	v_mov_b32_e32 v149, v145
	ds_load_2addr_b64 v[144:147], v138 offset0:17 offset1:18
	v_pk_add_f32 v[104:105], v[104:105], v[148:149] neg_lo:[0,1] neg_hi:[0,1]
	s_wait_dscnt 0x0
	v_pk_mul_f32 v[148:149], v[144:145], v[136:137] op_sel:[0,1]
	v_pk_fma_f32 v[150:151], v[144:145], v[134:135], v[148:149] op_sel:[0,0,1] op_sel_hi:[1,1,0] neg_lo:[0,0,1] neg_hi:[0,0,1]
	v_pk_fma_f32 v[144:145], v[144:145], v[134:135], v[148:149] op_sel:[0,0,1] op_sel_hi:[1,0,0]
	s_delay_alu instid0(VALU_DEP_1) | instskip(SKIP_1) | instid1(VALU_DEP_1)
	v_mov_b32_e32 v151, v145
	v_pk_mul_f32 v[144:145], v[146:147], v[136:137] op_sel:[0,1]
	v_pk_fma_f32 v[148:149], v[146:147], v[134:135], v[144:145] op_sel:[0,0,1] op_sel_hi:[1,1,0] neg_lo:[0,0,1] neg_hi:[0,0,1]
	v_pk_fma_f32 v[144:145], v[146:147], v[134:135], v[144:145] op_sel:[0,0,1] op_sel_hi:[1,0,0]
	s_delay_alu instid0(VALU_DEP_1)
	v_mov_b32_e32 v149, v145
	ds_load_2addr_b64 v[144:147], v138 offset0:19 offset1:20
	v_pk_add_f32 v[100:101], v[100:101], v[150:151] neg_lo:[0,1] neg_hi:[0,1]
	v_pk_add_f32 v[102:103], v[102:103], v[148:149] neg_lo:[0,1] neg_hi:[0,1]
	s_wait_dscnt 0x0
	v_pk_mul_f32 v[148:149], v[144:145], v[136:137] op_sel:[0,1]
	s_delay_alu instid0(VALU_DEP_1) | instskip(SKIP_1) | instid1(VALU_DEP_1)
	v_pk_fma_f32 v[150:151], v[144:145], v[134:135], v[148:149] op_sel:[0,0,1] op_sel_hi:[1,1,0] neg_lo:[0,0,1] neg_hi:[0,0,1]
	v_pk_fma_f32 v[144:145], v[144:145], v[134:135], v[148:149] op_sel:[0,0,1] op_sel_hi:[1,0,0]
	v_mov_b32_e32 v151, v145
	v_pk_mul_f32 v[144:145], v[146:147], v[136:137] op_sel:[0,1]
	s_delay_alu instid0(VALU_DEP_1) | instskip(SKIP_1) | instid1(VALU_DEP_1)
	v_pk_fma_f32 v[148:149], v[146:147], v[134:135], v[144:145] op_sel:[0,0,1] op_sel_hi:[1,1,0] neg_lo:[0,0,1] neg_hi:[0,0,1]
	v_pk_fma_f32 v[144:145], v[146:147], v[134:135], v[144:145] op_sel:[0,0,1] op_sel_hi:[1,0,0]
	v_mov_b32_e32 v149, v145
	ds_load_2addr_b64 v[144:147], v138 offset0:21 offset1:22
	v_pk_add_f32 v[38:39], v[38:39], v[150:151] neg_lo:[0,1] neg_hi:[0,1]
	v_pk_add_f32 v[98:99], v[98:99], v[148:149] neg_lo:[0,1] neg_hi:[0,1]
	s_wait_dscnt 0x0
	v_dual_mul_f32 v148, v145, v137 :: v_dual_mul_f32 v150, v145, v134
	s_delay_alu instid0(VALU_DEP_1) | instskip(NEXT) | instid1(VALU_DEP_2)
	v_pk_fma_f32 v[148:149], v[144:145], v[126:127], v[148:149] op_sel_hi:[1,1,0] neg_lo:[0,0,1] neg_hi:[0,0,1]
	v_pk_fma_f32 v[144:145], v[144:145], v[126:127], v[150:151] op_sel:[1,0,0] op_sel_hi:[0,1,0]
	s_delay_alu instid0(VALU_DEP_1) | instskip(SKIP_1) | instid1(VALU_DEP_2)
	v_mov_b32_e32 v149, v145
	v_pk_mul_f32 v[144:145], v[146:147], v[136:137] op_sel:[0,1]
	v_pk_add_f32 v[94:95], v[94:95], v[148:149] neg_lo:[0,1] neg_hi:[0,1]
	s_delay_alu instid0(VALU_DEP_2) | instskip(SKIP_1) | instid1(VALU_DEP_1)
	v_pk_fma_f32 v[148:149], v[146:147], v[134:135], v[144:145] op_sel:[0,0,1] op_sel_hi:[1,1,0] neg_lo:[0,0,1] neg_hi:[0,0,1]
	v_pk_fma_f32 v[144:145], v[146:147], v[134:135], v[144:145] op_sel:[0,0,1] op_sel_hi:[1,0,0]
	v_mov_b32_e32 v149, v145
	ds_load_2addr_b64 v[144:147], v138 offset0:23 offset1:24
	v_pk_add_f32 v[96:97], v[96:97], v[148:149] neg_lo:[0,1] neg_hi:[0,1]
	s_wait_dscnt 0x0
	v_pk_mul_f32 v[148:149], v[144:145], v[136:137] op_sel:[0,1]
	s_delay_alu instid0(VALU_DEP_1) | instskip(SKIP_1) | instid1(VALU_DEP_1)
	v_pk_fma_f32 v[150:151], v[144:145], v[134:135], v[148:149] op_sel:[0,0,1] op_sel_hi:[1,1,0] neg_lo:[0,0,1] neg_hi:[0,0,1]
	v_pk_fma_f32 v[144:145], v[144:145], v[134:135], v[148:149] op_sel:[0,0,1] op_sel_hi:[1,0,0]
	v_mov_b32_e32 v151, v145
	v_pk_mul_f32 v[144:145], v[146:147], v[136:137] op_sel:[0,1]
	s_delay_alu instid0(VALU_DEP_2) | instskip(NEXT) | instid1(VALU_DEP_2)
	v_pk_add_f32 v[36:37], v[36:37], v[150:151] neg_lo:[0,1] neg_hi:[0,1]
	v_pk_fma_f32 v[148:149], v[146:147], v[134:135], v[144:145] op_sel:[0,0,1] op_sel_hi:[1,1,0] neg_lo:[0,0,1] neg_hi:[0,0,1]
	v_pk_fma_f32 v[144:145], v[146:147], v[134:135], v[144:145] op_sel:[0,0,1] op_sel_hi:[1,0,0]
	s_delay_alu instid0(VALU_DEP_1) | instskip(SKIP_4) | instid1(VALU_DEP_1)
	v_mov_b32_e32 v149, v145
	ds_load_2addr_b64 v[144:147], v138 offset0:25 offset1:26
	v_pk_add_f32 v[92:93], v[92:93], v[148:149] neg_lo:[0,1] neg_hi:[0,1]
	s_wait_dscnt 0x0
	v_pk_mul_f32 v[148:149], v[144:145], v[136:137] op_sel:[0,1]
	v_pk_fma_f32 v[150:151], v[144:145], v[134:135], v[148:149] op_sel:[0,0,1] op_sel_hi:[1,1,0] neg_lo:[0,0,1] neg_hi:[0,0,1]
	v_pk_fma_f32 v[144:145], v[144:145], v[134:135], v[148:149] op_sel:[0,0,1] op_sel_hi:[1,0,0]
	v_dual_mul_f32 v148, v147, v137 :: v_dual_mov_b32 v144, v147
	s_delay_alu instid0(VALU_DEP_2) | instskip(NEXT) | instid1(VALU_DEP_2)
	v_dual_mov_b32 v151, v145 :: v_dual_mov_b32 v145, v146
	v_pk_fma_f32 v[148:149], v[146:147], v[126:127], v[148:149] op_sel_hi:[1,1,0] neg_lo:[0,0,1] neg_hi:[0,0,1]
	v_mul_f32_e32 v146, v147, v134
	s_delay_alu instid0(VALU_DEP_3) | instskip(NEXT) | instid1(VALU_DEP_2)
	v_pk_add_f32 v[88:89], v[88:89], v[150:151] neg_lo:[0,1] neg_hi:[0,1]
	v_pk_fma_f32 v[144:145], v[144:145], v[126:127], v[146:147] op_sel_hi:[1,1,0]
	s_delay_alu instid0(VALU_DEP_1) | instskip(SKIP_4) | instid1(VALU_DEP_1)
	v_mov_b32_e32 v149, v145
	ds_load_2addr_b64 v[144:147], v138 offset0:27 offset1:28
	v_pk_add_f32 v[90:91], v[90:91], v[148:149] neg_lo:[0,1] neg_hi:[0,1]
	s_wait_dscnt 0x0
	v_pk_mul_f32 v[148:149], v[144:145], v[136:137] op_sel:[0,1]
	v_pk_fma_f32 v[150:151], v[144:145], v[134:135], v[148:149] op_sel:[0,0,1] op_sel_hi:[1,1,0] neg_lo:[0,0,1] neg_hi:[0,0,1]
	v_pk_fma_f32 v[144:145], v[144:145], v[134:135], v[148:149] op_sel:[0,0,1] op_sel_hi:[1,0,0]
	s_delay_alu instid0(VALU_DEP_1) | instskip(SKIP_1) | instid1(VALU_DEP_1)
	v_mov_b32_e32 v151, v145
	v_pk_mul_f32 v[144:145], v[146:147], v[136:137] op_sel:[0,1]
	v_pk_fma_f32 v[148:149], v[146:147], v[134:135], v[144:145] op_sel:[0,0,1] op_sel_hi:[1,1,0] neg_lo:[0,0,1] neg_hi:[0,0,1]
	v_pk_fma_f32 v[144:145], v[146:147], v[134:135], v[144:145] op_sel:[0,0,1] op_sel_hi:[1,0,0]
	s_delay_alu instid0(VALU_DEP_1)
	v_mov_b32_e32 v149, v145
	ds_load_2addr_b64 v[144:147], v138 offset0:29 offset1:30
	v_pk_add_f32 v[34:35], v[34:35], v[150:151] neg_lo:[0,1] neg_hi:[0,1]
	v_pk_add_f32 v[86:87], v[86:87], v[148:149] neg_lo:[0,1] neg_hi:[0,1]
	s_wait_dscnt 0x0
	v_pk_mul_f32 v[148:149], v[144:145], v[136:137] op_sel:[0,1]
	s_delay_alu instid0(VALU_DEP_1) | instskip(SKIP_1) | instid1(VALU_DEP_1)
	v_pk_fma_f32 v[150:151], v[144:145], v[134:135], v[148:149] op_sel:[0,0,1] op_sel_hi:[1,1,0] neg_lo:[0,0,1] neg_hi:[0,0,1]
	v_pk_fma_f32 v[144:145], v[144:145], v[134:135], v[148:149] op_sel:[0,0,1] op_sel_hi:[1,0,0]
	v_mov_b32_e32 v151, v145
	v_pk_mul_f32 v[144:145], v[146:147], v[136:137] op_sel:[0,1]
	s_delay_alu instid0(VALU_DEP_1) | instskip(SKIP_1) | instid1(VALU_DEP_1)
	v_pk_fma_f32 v[148:149], v[146:147], v[134:135], v[144:145] op_sel:[0,0,1] op_sel_hi:[1,1,0] neg_lo:[0,0,1] neg_hi:[0,0,1]
	v_pk_fma_f32 v[144:145], v[146:147], v[134:135], v[144:145] op_sel:[0,0,1] op_sel_hi:[1,0,0]
	v_mov_b32_e32 v149, v145
	ds_load_2addr_b64 v[144:147], v138 offset0:31 offset1:32
	v_pk_add_f32 v[82:83], v[82:83], v[150:151] neg_lo:[0,1] neg_hi:[0,1]
	v_pk_add_f32 v[84:85], v[84:85], v[148:149] neg_lo:[0,1] neg_hi:[0,1]
	s_wait_dscnt 0x0
	v_dual_mul_f32 v148, v145, v137 :: v_dual_mul_f32 v150, v145, v134
	s_delay_alu instid0(VALU_DEP_1) | instskip(NEXT) | instid1(VALU_DEP_2)
	v_pk_fma_f32 v[148:149], v[144:145], v[126:127], v[148:149] op_sel_hi:[1,1,0] neg_lo:[0,0,1] neg_hi:[0,0,1]
	v_pk_fma_f32 v[144:145], v[144:145], v[126:127], v[150:151] op_sel:[1,0,0] op_sel_hi:[0,1,0]
	s_delay_alu instid0(VALU_DEP_1) | instskip(SKIP_1) | instid1(VALU_DEP_2)
	v_mov_b32_e32 v149, v145
	v_pk_mul_f32 v[144:145], v[146:147], v[136:137] op_sel:[0,1]
	v_pk_add_f32 v[26:27], v[26:27], v[148:149] neg_lo:[0,1] neg_hi:[0,1]
	s_delay_alu instid0(VALU_DEP_2) | instskip(SKIP_1) | instid1(VALU_DEP_1)
	v_pk_fma_f32 v[148:149], v[146:147], v[134:135], v[144:145] op_sel:[0,0,1] op_sel_hi:[1,1,0] neg_lo:[0,0,1] neg_hi:[0,0,1]
	v_pk_fma_f32 v[144:145], v[146:147], v[134:135], v[144:145] op_sel:[0,0,1] op_sel_hi:[1,0,0]
	v_mov_b32_e32 v149, v145
	ds_load_2addr_b64 v[144:147], v138 offset0:33 offset1:34
	v_pk_add_f32 v[80:81], v[80:81], v[148:149] neg_lo:[0,1] neg_hi:[0,1]
	s_wait_dscnt 0x0
	v_pk_mul_f32 v[148:149], v[144:145], v[136:137] op_sel:[0,1]
	s_delay_alu instid0(VALU_DEP_1) | instskip(SKIP_1) | instid1(VALU_DEP_1)
	v_pk_fma_f32 v[150:151], v[144:145], v[134:135], v[148:149] op_sel:[0,0,1] op_sel_hi:[1,1,0] neg_lo:[0,0,1] neg_hi:[0,0,1]
	v_pk_fma_f32 v[144:145], v[144:145], v[134:135], v[148:149] op_sel:[0,0,1] op_sel_hi:[1,0,0]
	v_mov_b32_e32 v151, v145
	v_pk_mul_f32 v[144:145], v[146:147], v[136:137] op_sel:[0,1]
	s_delay_alu instid0(VALU_DEP_2) | instskip(NEXT) | instid1(VALU_DEP_2)
	v_pk_add_f32 v[76:77], v[76:77], v[150:151] neg_lo:[0,1] neg_hi:[0,1]
	v_pk_fma_f32 v[148:149], v[146:147], v[134:135], v[144:145] op_sel:[0,0,1] op_sel_hi:[1,1,0] neg_lo:[0,0,1] neg_hi:[0,0,1]
	v_pk_fma_f32 v[144:145], v[146:147], v[134:135], v[144:145] op_sel:[0,0,1] op_sel_hi:[1,0,0]
	s_delay_alu instid0(VALU_DEP_1) | instskip(SKIP_4) | instid1(VALU_DEP_1)
	v_mov_b32_e32 v149, v145
	ds_load_2addr_b64 v[144:147], v138 offset0:35 offset1:36
	v_pk_add_f32 v[78:79], v[78:79], v[148:149] neg_lo:[0,1] neg_hi:[0,1]
	s_wait_dscnt 0x0
	v_pk_mul_f32 v[148:149], v[144:145], v[136:137] op_sel:[0,1]
	v_pk_fma_f32 v[150:151], v[144:145], v[134:135], v[148:149] op_sel:[0,0,1] op_sel_hi:[1,1,0] neg_lo:[0,0,1] neg_hi:[0,0,1]
	v_pk_fma_f32 v[144:145], v[144:145], v[134:135], v[148:149] op_sel:[0,0,1] op_sel_hi:[1,0,0]
	v_dual_mul_f32 v148, v147, v137 :: v_dual_mov_b32 v144, v147
	s_delay_alu instid0(VALU_DEP_2) | instskip(NEXT) | instid1(VALU_DEP_2)
	v_dual_mov_b32 v151, v145 :: v_dual_mov_b32 v145, v146
	v_pk_fma_f32 v[148:149], v[146:147], v[126:127], v[148:149] op_sel_hi:[1,1,0] neg_lo:[0,0,1] neg_hi:[0,0,1]
	v_mul_f32_e32 v146, v147, v134
	s_delay_alu instid0(VALU_DEP_3) | instskip(NEXT) | instid1(VALU_DEP_2)
	v_pk_add_f32 v[24:25], v[24:25], v[150:151] neg_lo:[0,1] neg_hi:[0,1]
	v_pk_fma_f32 v[144:145], v[144:145], v[126:127], v[146:147] op_sel_hi:[1,1,0]
	s_delay_alu instid0(VALU_DEP_1) | instskip(SKIP_4) | instid1(VALU_DEP_1)
	v_mov_b32_e32 v149, v145
	ds_load_2addr_b64 v[144:147], v138 offset0:37 offset1:38
	v_pk_add_f32 v[74:75], v[74:75], v[148:149] neg_lo:[0,1] neg_hi:[0,1]
	s_wait_dscnt 0x0
	v_pk_mul_f32 v[148:149], v[144:145], v[136:137] op_sel:[0,1]
	v_pk_fma_f32 v[150:151], v[144:145], v[134:135], v[148:149] op_sel:[0,0,1] op_sel_hi:[1,1,0] neg_lo:[0,0,1] neg_hi:[0,0,1]
	v_pk_fma_f32 v[144:145], v[144:145], v[134:135], v[148:149] op_sel:[0,0,1] op_sel_hi:[1,0,0]
	s_delay_alu instid0(VALU_DEP_1) | instskip(SKIP_1) | instid1(VALU_DEP_1)
	v_mov_b32_e32 v151, v145
	v_pk_mul_f32 v[144:145], v[146:147], v[136:137] op_sel:[0,1]
	v_pk_fma_f32 v[148:149], v[146:147], v[134:135], v[144:145] op_sel:[0,0,1] op_sel_hi:[1,1,0] neg_lo:[0,0,1] neg_hi:[0,0,1]
	v_pk_fma_f32 v[144:145], v[146:147], v[134:135], v[144:145] op_sel:[0,0,1] op_sel_hi:[1,0,0]
	s_delay_alu instid0(VALU_DEP_1)
	v_mov_b32_e32 v149, v145
	ds_load_2addr_b64 v[144:147], v138 offset0:39 offset1:40
	v_pk_add_f32 v[70:71], v[70:71], v[150:151] neg_lo:[0,1] neg_hi:[0,1]
	v_pk_add_f32 v[72:73], v[72:73], v[148:149] neg_lo:[0,1] neg_hi:[0,1]
	s_wait_dscnt 0x0
	v_pk_mul_f32 v[148:149], v[144:145], v[136:137] op_sel:[0,1]
	s_delay_alu instid0(VALU_DEP_1) | instskip(SKIP_1) | instid1(VALU_DEP_1)
	v_pk_fma_f32 v[150:151], v[144:145], v[134:135], v[148:149] op_sel:[0,0,1] op_sel_hi:[1,1,0] neg_lo:[0,0,1] neg_hi:[0,0,1]
	v_pk_fma_f32 v[144:145], v[144:145], v[134:135], v[148:149] op_sel:[0,0,1] op_sel_hi:[1,0,0]
	v_mov_b32_e32 v151, v145
	v_pk_mul_f32 v[144:145], v[146:147], v[136:137] op_sel:[0,1]
	s_delay_alu instid0(VALU_DEP_1) | instskip(SKIP_1) | instid1(VALU_DEP_1)
	v_pk_fma_f32 v[148:149], v[146:147], v[134:135], v[144:145] op_sel:[0,0,1] op_sel_hi:[1,1,0] neg_lo:[0,0,1] neg_hi:[0,0,1]
	v_pk_fma_f32 v[144:145], v[146:147], v[134:135], v[144:145] op_sel:[0,0,1] op_sel_hi:[1,0,0]
	v_mov_b32_e32 v149, v145
	ds_load_2addr_b64 v[144:147], v138 offset0:41 offset1:42
	v_pk_add_f32 v[22:23], v[22:23], v[150:151] neg_lo:[0,1] neg_hi:[0,1]
	v_pk_add_f32 v[68:69], v[68:69], v[148:149] neg_lo:[0,1] neg_hi:[0,1]
	s_wait_dscnt 0x0
	v_dual_mul_f32 v148, v145, v137 :: v_dual_mul_f32 v150, v145, v134
	s_delay_alu instid0(VALU_DEP_1) | instskip(NEXT) | instid1(VALU_DEP_2)
	v_pk_fma_f32 v[148:149], v[144:145], v[126:127], v[148:149] op_sel_hi:[1,1,0] neg_lo:[0,0,1] neg_hi:[0,0,1]
	v_pk_fma_f32 v[144:145], v[144:145], v[126:127], v[150:151] op_sel:[1,0,0] op_sel_hi:[0,1,0]
	s_delay_alu instid0(VALU_DEP_1) | instskip(SKIP_1) | instid1(VALU_DEP_2)
	v_mov_b32_e32 v149, v145
	v_pk_mul_f32 v[144:145], v[146:147], v[136:137] op_sel:[0,1]
	v_pk_add_f32 v[64:65], v[64:65], v[148:149] neg_lo:[0,1] neg_hi:[0,1]
	s_delay_alu instid0(VALU_DEP_2) | instskip(SKIP_1) | instid1(VALU_DEP_1)
	v_pk_fma_f32 v[148:149], v[146:147], v[134:135], v[144:145] op_sel:[0,0,1] op_sel_hi:[1,1,0] neg_lo:[0,0,1] neg_hi:[0,0,1]
	v_pk_fma_f32 v[144:145], v[146:147], v[134:135], v[144:145] op_sel:[0,0,1] op_sel_hi:[1,0,0]
	v_mov_b32_e32 v149, v145
	ds_load_2addr_b64 v[144:147], v138 offset0:43 offset1:44
	v_pk_add_f32 v[66:67], v[66:67], v[148:149] neg_lo:[0,1] neg_hi:[0,1]
	s_wait_dscnt 0x0
	v_pk_mul_f32 v[148:149], v[144:145], v[136:137] op_sel:[0,1]
	s_delay_alu instid0(VALU_DEP_1) | instskip(SKIP_1) | instid1(VALU_DEP_1)
	v_pk_fma_f32 v[150:151], v[144:145], v[134:135], v[148:149] op_sel:[0,0,1] op_sel_hi:[1,1,0] neg_lo:[0,0,1] neg_hi:[0,0,1]
	v_pk_fma_f32 v[144:145], v[144:145], v[134:135], v[148:149] op_sel:[0,0,1] op_sel_hi:[1,0,0]
	v_mov_b32_e32 v151, v145
	v_pk_mul_f32 v[144:145], v[146:147], v[136:137] op_sel:[0,1]
	s_delay_alu instid0(VALU_DEP_2) | instskip(NEXT) | instid1(VALU_DEP_2)
	v_pk_add_f32 v[18:19], v[18:19], v[150:151] neg_lo:[0,1] neg_hi:[0,1]
	v_pk_fma_f32 v[148:149], v[146:147], v[134:135], v[144:145] op_sel:[0,0,1] op_sel_hi:[1,1,0] neg_lo:[0,0,1] neg_hi:[0,0,1]
	v_pk_fma_f32 v[144:145], v[146:147], v[134:135], v[144:145] op_sel:[0,0,1] op_sel_hi:[1,0,0]
	s_delay_alu instid0(VALU_DEP_1) | instskip(SKIP_4) | instid1(VALU_DEP_1)
	v_mov_b32_e32 v149, v145
	ds_load_2addr_b64 v[144:147], v138 offset0:45 offset1:46
	v_pk_add_f32 v[60:61], v[60:61], v[148:149] neg_lo:[0,1] neg_hi:[0,1]
	s_wait_dscnt 0x0
	v_pk_mul_f32 v[148:149], v[144:145], v[136:137] op_sel:[0,1]
	v_pk_fma_f32 v[150:151], v[144:145], v[134:135], v[148:149] op_sel:[0,0,1] op_sel_hi:[1,1,0] neg_lo:[0,0,1] neg_hi:[0,0,1]
	v_pk_fma_f32 v[144:145], v[144:145], v[134:135], v[148:149] op_sel:[0,0,1] op_sel_hi:[1,0,0]
	v_dual_mul_f32 v148, v147, v137 :: v_dual_mov_b32 v144, v147
	s_delay_alu instid0(VALU_DEP_2) | instskip(NEXT) | instid1(VALU_DEP_2)
	v_dual_mov_b32 v151, v145 :: v_dual_mov_b32 v145, v146
	v_pk_fma_f32 v[148:149], v[146:147], v[126:127], v[148:149] op_sel_hi:[1,1,0] neg_lo:[0,0,1] neg_hi:[0,0,1]
	v_mul_f32_e32 v146, v147, v134
	s_delay_alu instid0(VALU_DEP_3) | instskip(NEXT) | instid1(VALU_DEP_2)
	v_pk_add_f32 v[56:57], v[56:57], v[150:151] neg_lo:[0,1] neg_hi:[0,1]
	v_pk_fma_f32 v[144:145], v[144:145], v[126:127], v[146:147] op_sel_hi:[1,1,0]
	s_delay_alu instid0(VALU_DEP_1) | instskip(SKIP_4) | instid1(VALU_DEP_1)
	v_mov_b32_e32 v149, v145
	ds_load_2addr_b64 v[144:147], v138 offset0:47 offset1:48
	v_pk_add_f32 v[58:59], v[58:59], v[148:149] neg_lo:[0,1] neg_hi:[0,1]
	s_wait_dscnt 0x0
	v_pk_mul_f32 v[148:149], v[144:145], v[136:137] op_sel:[0,1]
	v_pk_fma_f32 v[150:151], v[144:145], v[134:135], v[148:149] op_sel:[0,0,1] op_sel_hi:[1,1,0] neg_lo:[0,0,1] neg_hi:[0,0,1]
	v_pk_fma_f32 v[144:145], v[144:145], v[134:135], v[148:149] op_sel:[0,0,1] op_sel_hi:[1,0,0]
	s_delay_alu instid0(VALU_DEP_1) | instskip(SKIP_1) | instid1(VALU_DEP_1)
	v_mov_b32_e32 v151, v145
	v_pk_mul_f32 v[144:145], v[146:147], v[136:137] op_sel:[0,1]
	v_pk_fma_f32 v[148:149], v[146:147], v[134:135], v[144:145] op_sel:[0,0,1] op_sel_hi:[1,1,0] neg_lo:[0,0,1] neg_hi:[0,0,1]
	v_pk_fma_f32 v[144:145], v[146:147], v[134:135], v[144:145] op_sel:[0,0,1] op_sel_hi:[1,0,0]
	s_delay_alu instid0(VALU_DEP_1)
	v_mov_b32_e32 v149, v145
	ds_load_2addr_b64 v[144:147], v138 offset0:49 offset1:50
	v_pk_add_f32 v[12:13], v[12:13], v[150:151] neg_lo:[0,1] neg_hi:[0,1]
	v_pk_add_f32 v[54:55], v[54:55], v[148:149] neg_lo:[0,1] neg_hi:[0,1]
	s_wait_dscnt 0x0
	v_pk_mul_f32 v[148:149], v[144:145], v[136:137] op_sel:[0,1]
	s_delay_alu instid0(VALU_DEP_1) | instskip(SKIP_1) | instid1(VALU_DEP_1)
	v_pk_fma_f32 v[150:151], v[144:145], v[134:135], v[148:149] op_sel:[0,0,1] op_sel_hi:[1,1,0] neg_lo:[0,0,1] neg_hi:[0,0,1]
	v_pk_fma_f32 v[144:145], v[144:145], v[134:135], v[148:149] op_sel:[0,0,1] op_sel_hi:[1,0,0]
	v_mov_b32_e32 v151, v145
	v_pk_mul_f32 v[144:145], v[146:147], v[136:137] op_sel:[0,1]
	s_delay_alu instid0(VALU_DEP_1) | instskip(SKIP_1) | instid1(VALU_DEP_1)
	v_pk_fma_f32 v[148:149], v[146:147], v[134:135], v[144:145] op_sel:[0,0,1] op_sel_hi:[1,1,0] neg_lo:[0,0,1] neg_hi:[0,0,1]
	v_pk_fma_f32 v[144:145], v[146:147], v[134:135], v[144:145] op_sel:[0,0,1] op_sel_hi:[1,0,0]
	v_mov_b32_e32 v149, v145
	ds_load_2addr_b64 v[144:147], v138 offset0:51 offset1:52
	v_pk_add_f32 v[52:53], v[52:53], v[150:151] neg_lo:[0,1] neg_hi:[0,1]
	v_pk_add_f32 v[62:63], v[62:63], v[148:149] neg_lo:[0,1] neg_hi:[0,1]
	s_wait_dscnt 0x0
	v_dual_mul_f32 v148, v145, v137 :: v_dual_mul_f32 v150, v145, v134
	s_delay_alu instid0(VALU_DEP_1) | instskip(NEXT) | instid1(VALU_DEP_2)
	v_pk_fma_f32 v[148:149], v[144:145], v[126:127], v[148:149] op_sel_hi:[1,1,0] neg_lo:[0,0,1] neg_hi:[0,0,1]
	v_pk_fma_f32 v[144:145], v[144:145], v[126:127], v[150:151] op_sel:[1,0,0] op_sel_hi:[0,1,0]
	s_delay_alu instid0(VALU_DEP_1) | instskip(SKIP_1) | instid1(VALU_DEP_2)
	v_mov_b32_e32 v149, v145
	v_pk_mul_f32 v[144:145], v[146:147], v[136:137] op_sel:[0,1]
	v_pk_add_f32 v[16:17], v[16:17], v[148:149] neg_lo:[0,1] neg_hi:[0,1]
	s_delay_alu instid0(VALU_DEP_2) | instskip(SKIP_1) | instid1(VALU_DEP_1)
	v_pk_fma_f32 v[148:149], v[146:147], v[134:135], v[144:145] op_sel:[0,0,1] op_sel_hi:[1,1,0] neg_lo:[0,0,1] neg_hi:[0,0,1]
	v_pk_fma_f32 v[144:145], v[146:147], v[134:135], v[144:145] op_sel:[0,0,1] op_sel_hi:[1,0,0]
	v_mov_b32_e32 v149, v145
	ds_load_2addr_b64 v[144:147], v138 offset0:53 offset1:54
	v_pk_add_f32 v[48:49], v[48:49], v[148:149] neg_lo:[0,1] neg_hi:[0,1]
	s_wait_dscnt 0x0
	v_pk_mul_f32 v[148:149], v[144:145], v[136:137] op_sel:[0,1]
	s_delay_alu instid0(VALU_DEP_1) | instskip(SKIP_1) | instid1(VALU_DEP_1)
	v_pk_fma_f32 v[150:151], v[144:145], v[134:135], v[148:149] op_sel:[0,0,1] op_sel_hi:[1,1,0] neg_lo:[0,0,1] neg_hi:[0,0,1]
	v_pk_fma_f32 v[144:145], v[144:145], v[134:135], v[148:149] op_sel:[0,0,1] op_sel_hi:[1,0,0]
	v_mov_b32_e32 v151, v145
	v_pk_mul_f32 v[144:145], v[146:147], v[136:137] op_sel:[0,1]
	s_delay_alu instid0(VALU_DEP_2) | instskip(NEXT) | instid1(VALU_DEP_2)
	v_pk_add_f32 v[42:43], v[42:43], v[150:151] neg_lo:[0,1] neg_hi:[0,1]
	v_pk_fma_f32 v[148:149], v[146:147], v[134:135], v[144:145] op_sel:[0,0,1] op_sel_hi:[1,1,0] neg_lo:[0,0,1] neg_hi:[0,0,1]
	v_pk_fma_f32 v[144:145], v[146:147], v[134:135], v[144:145] op_sel:[0,0,1] op_sel_hi:[1,0,0]
	s_delay_alu instid0(VALU_DEP_1) | instskip(SKIP_4) | instid1(VALU_DEP_1)
	v_mov_b32_e32 v149, v145
	ds_load_2addr_b64 v[144:147], v138 offset0:55 offset1:56
	v_pk_add_f32 v[46:47], v[46:47], v[148:149] neg_lo:[0,1] neg_hi:[0,1]
	s_wait_dscnt 0x0
	v_pk_mul_f32 v[148:149], v[144:145], v[136:137] op_sel:[0,1]
	v_pk_fma_f32 v[150:151], v[144:145], v[134:135], v[148:149] op_sel:[0,0,1] op_sel_hi:[1,1,0] neg_lo:[0,0,1] neg_hi:[0,0,1]
	v_pk_fma_f32 v[144:145], v[144:145], v[134:135], v[148:149] op_sel:[0,0,1] op_sel_hi:[1,0,0]
	v_dual_mul_f32 v148, v147, v137 :: v_dual_mov_b32 v144, v147
	s_delay_alu instid0(VALU_DEP_2) | instskip(NEXT) | instid1(VALU_DEP_2)
	v_dual_mov_b32 v151, v145 :: v_dual_mov_b32 v145, v146
	v_pk_fma_f32 v[148:149], v[146:147], v[126:127], v[148:149] op_sel_hi:[1,1,0] neg_lo:[0,0,1] neg_hi:[0,0,1]
	v_mul_f32_e32 v146, v147, v134
	s_delay_alu instid0(VALU_DEP_3) | instskip(NEXT) | instid1(VALU_DEP_2)
	v_pk_add_f32 v[8:9], v[8:9], v[150:151] neg_lo:[0,1] neg_hi:[0,1]
	v_pk_fma_f32 v[144:145], v[144:145], v[126:127], v[146:147] op_sel_hi:[1,1,0]
	s_delay_alu instid0(VALU_DEP_1) | instskip(SKIP_4) | instid1(VALU_DEP_1)
	v_mov_b32_e32 v149, v145
	ds_load_2addr_b64 v[144:147], v138 offset0:57 offset1:58
	v_pk_add_f32 v[32:33], v[32:33], v[148:149] neg_lo:[0,1] neg_hi:[0,1]
	s_wait_dscnt 0x0
	v_pk_mul_f32 v[148:149], v[144:145], v[136:137] op_sel:[0,1]
	v_pk_fma_f32 v[150:151], v[144:145], v[134:135], v[148:149] op_sel:[0,0,1] op_sel_hi:[1,1,0] neg_lo:[0,0,1] neg_hi:[0,0,1]
	v_pk_fma_f32 v[144:145], v[144:145], v[134:135], v[148:149] op_sel:[0,0,1] op_sel_hi:[1,0,0]
	s_delay_alu instid0(VALU_DEP_1) | instskip(SKIP_1) | instid1(VALU_DEP_1)
	v_mov_b32_e32 v151, v145
	v_pk_mul_f32 v[144:145], v[146:147], v[136:137] op_sel:[0,1]
	v_pk_fma_f32 v[148:149], v[146:147], v[134:135], v[144:145] op_sel:[0,0,1] op_sel_hi:[1,1,0] neg_lo:[0,0,1] neg_hi:[0,0,1]
	v_pk_fma_f32 v[144:145], v[146:147], v[134:135], v[144:145] op_sel:[0,0,1] op_sel_hi:[1,0,0]
	s_delay_alu instid0(VALU_DEP_1)
	v_mov_b32_e32 v149, v145
	ds_load_2addr_b64 v[144:147], v138 offset0:59 offset1:60
	v_pk_add_f32 v[28:29], v[28:29], v[150:151] neg_lo:[0,1] neg_hi:[0,1]
	v_pk_add_f32 v[30:31], v[30:31], v[148:149] neg_lo:[0,1] neg_hi:[0,1]
	s_wait_dscnt 0x0
	v_pk_mul_f32 v[148:149], v[144:145], v[136:137] op_sel:[0,1]
	s_delay_alu instid0(VALU_DEP_1) | instskip(SKIP_1) | instid1(VALU_DEP_1)
	v_pk_fma_f32 v[150:151], v[144:145], v[134:135], v[148:149] op_sel:[0,0,1] op_sel_hi:[1,1,0] neg_lo:[0,0,1] neg_hi:[0,0,1]
	v_pk_fma_f32 v[144:145], v[144:145], v[134:135], v[148:149] op_sel:[0,0,1] op_sel_hi:[1,0,0]
	v_mov_b32_e32 v151, v145
	v_pk_mul_f32 v[144:145], v[146:147], v[136:137] op_sel:[0,1]
	s_delay_alu instid0(VALU_DEP_1) | instskip(SKIP_1) | instid1(VALU_DEP_1)
	v_pk_fma_f32 v[148:149], v[146:147], v[134:135], v[144:145] op_sel:[0,0,1] op_sel_hi:[1,1,0] neg_lo:[0,0,1] neg_hi:[0,0,1]
	v_pk_fma_f32 v[144:145], v[146:147], v[134:135], v[144:145] op_sel:[0,0,1] op_sel_hi:[1,0,0]
	v_mov_b32_e32 v149, v145
	ds_load_2addr_b64 v[144:147], v138 offset0:61 offset1:62
	v_pk_add_f32 v[6:7], v[6:7], v[150:151] neg_lo:[0,1] neg_hi:[0,1]
	v_pk_add_f32 v[20:21], v[20:21], v[148:149] neg_lo:[0,1] neg_hi:[0,1]
	s_wait_dscnt 0x0
	v_dual_mul_f32 v148, v145, v137 :: v_dual_mul_f32 v150, v145, v134
	s_delay_alu instid0(VALU_DEP_1) | instskip(NEXT) | instid1(VALU_DEP_2)
	v_pk_fma_f32 v[148:149], v[144:145], v[126:127], v[148:149] op_sel_hi:[1,1,0] neg_lo:[0,0,1] neg_hi:[0,0,1]
	v_pk_fma_f32 v[144:145], v[144:145], v[126:127], v[150:151] op_sel:[1,0,0] op_sel_hi:[0,1,0]
	s_delay_alu instid0(VALU_DEP_1) | instskip(SKIP_1) | instid1(VALU_DEP_2)
	v_mov_b32_e32 v149, v145
	v_pk_mul_f32 v[144:145], v[146:147], v[136:137] op_sel:[0,1]
	v_pk_add_f32 v[14:15], v[14:15], v[148:149] neg_lo:[0,1] neg_hi:[0,1]
	s_delay_alu instid0(VALU_DEP_2) | instskip(SKIP_1) | instid1(VALU_DEP_1)
	v_pk_fma_f32 v[148:149], v[146:147], v[134:135], v[144:145] op_sel:[0,0,1] op_sel_hi:[1,1,0] neg_lo:[0,0,1] neg_hi:[0,0,1]
	v_pk_fma_f32 v[144:145], v[146:147], v[134:135], v[144:145] op_sel:[0,0,1] op_sel_hi:[1,0,0]
	v_mov_b32_e32 v149, v145
	ds_load_b64 v[144:145], v138 offset:504
	v_pk_add_f32 v[10:11], v[10:11], v[148:149] neg_lo:[0,1] neg_hi:[0,1]
	s_wait_dscnt 0x0
	v_pk_mul_f32 v[136:137], v[144:145], v[136:137] op_sel:[0,1]
	s_delay_alu instid0(VALU_DEP_1) | instskip(SKIP_1) | instid1(VALU_DEP_1)
	v_pk_fma_f32 v[146:147], v[144:145], v[134:135], v[136:137] op_sel:[0,0,1] op_sel_hi:[1,1,0] neg_lo:[0,0,1] neg_hi:[0,0,1]
	v_pk_fma_f32 v[134:135], v[144:145], v[134:135], v[136:137] op_sel:[0,0,1] op_sel_hi:[1,0,0]
	v_mov_b32_e32 v147, v135
	s_delay_alu instid0(VALU_DEP_1)
	v_pk_add_f32 v[132:133], v[132:133], v[146:147] neg_lo:[0,1] neg_hi:[0,1]
.LBB126_62:
	s_or_b32 exec_lo, exec_lo, s0
	v_lshl_add_u32 v134, v142, 3, v138
	s_barrier_signal -1
	s_barrier_wait -1
	ds_store_b64 v134, v[124:125]
	s_wait_dscnt 0x0
	s_barrier_signal -1
	s_barrier_wait -1
	ds_load_b64 v[136:137], v138 offset:24
	v_mov_b32_e32 v134, 3
	s_cmp_lt_i32 s18, 5
	s_cbranch_scc1 .LBB126_65
; %bb.63:
	v_mov_b32_e32 v134, 3
	v_add3_u32 v135, v139, 0, 32
	s_mov_b32 s0, 4
.LBB126_64:                             ; =>This Inner Loop Header: Depth=1
	ds_load_b64 v[144:145], v135
	s_wait_dscnt 0x1
	v_cmp_gt_f32_e32 vcc_lo, 0, v136
	v_cndmask_b32_e64 v146, v136, -v136, vcc_lo
	v_cmp_gt_f32_e32 vcc_lo, 0, v137
	v_cndmask_b32_e64 v148, v137, -v137, vcc_lo
	s_wait_dscnt 0x0
	v_cmp_gt_f32_e32 vcc_lo, 0, v144
	v_cndmask_b32_e64 v147, v144, -v144, vcc_lo
	v_cmp_gt_f32_e32 vcc_lo, 0, v145
	v_cndmask_b32_e64 v149, v145, -v145, vcc_lo
	s_delay_alu instid0(VALU_DEP_1) | instskip(NEXT) | instid1(VALU_DEP_1)
	v_pk_add_f32 v[146:147], v[146:147], v[148:149]
	v_cmp_lt_f32_e32 vcc_lo, v146, v147
	v_dual_add_nc_u32 v135, 8, v135 :: v_dual_cndmask_b32 v137, v137, v145, vcc_lo
	v_cndmask_b32_e32 v136, v136, v144, vcc_lo
	v_cndmask_b32_e64 v134, v134, s0, vcc_lo
	s_add_co_i32 s0, s0, 1
	s_delay_alu instid0(SALU_CYCLE_1)
	s_cmp_lg_u32 s18, s0
	s_cbranch_scc1 .LBB126_64
.LBB126_65:
	s_wait_dscnt 0x0
	v_cmp_eq_f32_e32 vcc_lo, 0, v136
	v_cmp_eq_f32_e64 s0, 0, v137
	s_and_b32 s0, vcc_lo, s0
	s_delay_alu instid0(SALU_CYCLE_1) | instskip(NEXT) | instid1(SALU_CYCLE_1)
	s_and_saveexec_b32 s1, s0
	s_xor_b32 s0, exec_lo, s1
; %bb.66:
	v_cmp_ne_u32_e32 vcc_lo, 0, v140
	v_cndmask_b32_e32 v140, 4, v140, vcc_lo
; %bb.67:
	s_and_not1_saveexec_b32 s0, s0
	s_cbranch_execz .LBB126_73
; %bb.68:
	v_cmp_ngt_f32_e64 s1, |v136|, |v137|
	s_and_saveexec_b32 s12, s1
	s_delay_alu instid0(SALU_CYCLE_1)
	s_xor_b32 s1, exec_lo, s12
	s_cbranch_execz .LBB126_70
; %bb.69:
	v_div_scale_f32 v135, null, v137, v137, v136
	v_div_scale_f32 v145, vcc_lo, v136, v137, v136
	s_delay_alu instid0(VALU_DEP_2) | instskip(SKIP_1) | instid1(TRANS32_DEP_1)
	v_rcp_f32_e32 v143, v135
	v_nop
	v_fma_f32 v144, -v135, v143, 1.0
	s_delay_alu instid0(VALU_DEP_1) | instskip(NEXT) | instid1(VALU_DEP_1)
	v_fmac_f32_e32 v143, v144, v143
	v_mul_f32_e32 v144, v145, v143
	s_delay_alu instid0(VALU_DEP_1) | instskip(NEXT) | instid1(VALU_DEP_1)
	v_fma_f32 v146, -v135, v144, v145
	v_fmac_f32_e32 v144, v146, v143
	s_delay_alu instid0(VALU_DEP_1) | instskip(NEXT) | instid1(VALU_DEP_1)
	v_fma_f32 v135, -v135, v144, v145
	v_div_fmas_f32 v135, v135, v143, v144
	s_delay_alu instid0(VALU_DEP_1) | instskip(NEXT) | instid1(VALU_DEP_1)
	v_div_fixup_f32 v135, v135, v137, v136
	v_fmac_f32_e32 v137, v136, v135
	s_delay_alu instid0(VALU_DEP_1) | instskip(SKIP_1) | instid1(VALU_DEP_2)
	v_div_scale_f32 v136, null, v137, v137, 1.0
	v_div_scale_f32 v145, vcc_lo, 1.0, v137, 1.0
	v_rcp_f32_e32 v143, v136
	v_nop
	s_delay_alu instid0(TRANS32_DEP_1) | instskip(NEXT) | instid1(VALU_DEP_1)
	v_fma_f32 v144, -v136, v143, 1.0
	v_fmac_f32_e32 v143, v144, v143
	s_delay_alu instid0(VALU_DEP_1) | instskip(NEXT) | instid1(VALU_DEP_1)
	v_mul_f32_e32 v144, v145, v143
	v_fma_f32 v146, -v136, v144, v145
	s_delay_alu instid0(VALU_DEP_1) | instskip(NEXT) | instid1(VALU_DEP_1)
	v_fmac_f32_e32 v144, v146, v143
	v_fma_f32 v136, -v136, v144, v145
	s_delay_alu instid0(VALU_DEP_1) | instskip(NEXT) | instid1(VALU_DEP_1)
	v_div_fmas_f32 v136, v136, v143, v144
	v_div_fixup_f32 v137, v136, v137, 1.0
	s_delay_alu instid0(VALU_DEP_1)
	v_mul_f32_e32 v136, v135, v137
	v_xor_b32_e32 v137, 0x80000000, v137
.LBB126_70:
	s_and_not1_saveexec_b32 s1, s1
	s_cbranch_execz .LBB126_72
; %bb.71:
	s_delay_alu instid0(VALU_DEP_1) | instskip(SKIP_1) | instid1(VALU_DEP_2)
	v_div_scale_f32 v135, null, v136, v136, v137
	v_div_scale_f32 v145, vcc_lo, v137, v136, v137
	v_rcp_f32_e32 v143, v135
	v_nop
	s_delay_alu instid0(TRANS32_DEP_1) | instskip(NEXT) | instid1(VALU_DEP_1)
	v_fma_f32 v144, -v135, v143, 1.0
	v_fmac_f32_e32 v143, v144, v143
	s_delay_alu instid0(VALU_DEP_1) | instskip(NEXT) | instid1(VALU_DEP_1)
	v_mul_f32_e32 v144, v145, v143
	v_fma_f32 v146, -v135, v144, v145
	s_delay_alu instid0(VALU_DEP_1) | instskip(NEXT) | instid1(VALU_DEP_1)
	v_fmac_f32_e32 v144, v146, v143
	v_fma_f32 v135, -v135, v144, v145
	s_delay_alu instid0(VALU_DEP_1) | instskip(NEXT) | instid1(VALU_DEP_1)
	v_div_fmas_f32 v135, v135, v143, v144
	v_div_fixup_f32 v135, v135, v136, v137
	s_delay_alu instid0(VALU_DEP_1) | instskip(NEXT) | instid1(VALU_DEP_1)
	v_fmac_f32_e32 v136, v137, v135
	v_div_scale_f32 v137, null, v136, v136, 1.0
	s_delay_alu instid0(VALU_DEP_1) | instskip(SKIP_1) | instid1(TRANS32_DEP_1)
	v_rcp_f32_e32 v143, v137
	v_nop
	v_fma_f32 v144, -v137, v143, 1.0
	s_delay_alu instid0(VALU_DEP_1) | instskip(SKIP_1) | instid1(VALU_DEP_1)
	v_fmac_f32_e32 v143, v144, v143
	v_div_scale_f32 v144, vcc_lo, 1.0, v136, 1.0
	v_mul_f32_e32 v145, v144, v143
	s_delay_alu instid0(VALU_DEP_1) | instskip(NEXT) | instid1(VALU_DEP_1)
	v_fma_f32 v146, -v137, v145, v144
	v_fmac_f32_e32 v145, v146, v143
	s_delay_alu instid0(VALU_DEP_1) | instskip(NEXT) | instid1(VALU_DEP_1)
	v_fma_f32 v137, -v137, v145, v144
	v_div_fmas_f32 v137, v137, v143, v145
	s_delay_alu instid0(VALU_DEP_1) | instskip(NEXT) | instid1(VALU_DEP_1)
	v_div_fixup_f32 v136, v137, v136, 1.0
	v_mul_f32_e64 v137, v135, -v136
.LBB126_72:
	s_or_b32 exec_lo, exec_lo, s1
.LBB126_73:
	s_delay_alu instid0(SALU_CYCLE_1) | instskip(NEXT) | instid1(SALU_CYCLE_1)
	s_or_b32 exec_lo, exec_lo, s0
	s_mov_b32 s0, exec_lo
	v_cmpx_ne_u32_e64 v142, v134
	s_xor_b32 s0, exec_lo, s0
	s_cbranch_execz .LBB126_79
; %bb.74:
	s_mov_b32 s1, exec_lo
	v_cmpx_eq_u32_e32 3, v142
	s_cbranch_execz .LBB126_78
; %bb.75:
	v_cmp_ne_u32_e32 vcc_lo, 3, v134
	s_xor_b32 s12, s16, -1
	s_delay_alu instid0(SALU_CYCLE_1) | instskip(NEXT) | instid1(SALU_CYCLE_1)
	s_and_b32 s13, s12, vcc_lo
	s_and_saveexec_b32 s12, s13
	s_cbranch_execz .LBB126_77
; %bb.76:
	v_ashrrev_i32_e32 v135, 31, v134
	s_delay_alu instid0(VALU_DEP_1)
	v_lshl_add_u64 v[142:143], v[134:135], 2, v[4:5]
	s_clause 0x1
	global_load_b32 v135, v[142:143], off
	global_load_b32 v141, v[4:5], off offset:12
	s_wait_loadcnt 0x1
	global_store_b32 v[4:5], v135, off offset:12
	s_wait_loadcnt 0x0
	global_store_b32 v[142:143], v141, off
.LBB126_77:
	s_wait_xcnt 0x0
	s_or_b32 exec_lo, exec_lo, s12
	v_dual_mov_b32 v142, v134 :: v_dual_mov_b32 v141, v134
.LBB126_78:
	s_or_b32 exec_lo, exec_lo, s1
.LBB126_79:
	s_and_not1_saveexec_b32 s0, s0
	s_cbranch_execz .LBB126_81
; %bb.80:
	v_dual_mov_b32 v134, v122 :: v_dual_mov_b32 v135, v123
	v_dual_mov_b32 v142, v120 :: v_dual_mov_b32 v143, v121
	ds_store_2addr_b64 v138, v[134:135], v[142:143] offset0:4 offset1:5
	v_dual_mov_b32 v134, v112 :: v_dual_mov_b32 v135, v113
	v_dual_mov_b32 v142, v44 :: v_dual_mov_b32 v143, v45
	ds_store_2addr_b64 v138, v[134:135], v[142:143] offset0:6 offset1:7
	v_dual_mov_b32 v134, v118 :: v_dual_mov_b32 v135, v119
	v_dual_mov_b32 v142, v114 :: v_dual_mov_b32 v143, v115
	ds_store_2addr_b64 v138, v[134:135], v[142:143] offset0:8 offset1:9
	v_dual_mov_b32 v134, v116 :: v_dual_mov_b32 v135, v117
	v_dual_mov_b32 v142, v50 :: v_dual_mov_b32 v143, v51
	ds_store_2addr_b64 v138, v[134:135], v[142:143] offset0:10 offset1:11
	v_dual_mov_b32 v134, v110 :: v_dual_mov_b32 v135, v111
	v_dual_mov_b32 v142, v106 :: v_dual_mov_b32 v143, v107
	ds_store_2addr_b64 v138, v[134:135], v[142:143] offset0:12 offset1:13
	v_dual_mov_b32 v134, v108 :: v_dual_mov_b32 v135, v109
	v_dual_mov_b32 v142, v40 :: v_dual_mov_b32 v143, v41
	ds_store_2addr_b64 v138, v[134:135], v[142:143] offset0:14 offset1:15
	v_dual_mov_b32 v134, v104 :: v_dual_mov_b32 v135, v105
	v_dual_mov_b32 v142, v100 :: v_dual_mov_b32 v143, v101
	ds_store_2addr_b64 v138, v[134:135], v[142:143] offset0:16 offset1:17
	v_dual_mov_b32 v134, v102 :: v_dual_mov_b32 v135, v103
	v_dual_mov_b32 v142, v38 :: v_dual_mov_b32 v143, v39
	ds_store_2addr_b64 v138, v[134:135], v[142:143] offset0:18 offset1:19
	v_dual_mov_b32 v134, v98 :: v_dual_mov_b32 v135, v99
	v_dual_mov_b32 v142, v94 :: v_dual_mov_b32 v143, v95
	ds_store_2addr_b64 v138, v[134:135], v[142:143] offset0:20 offset1:21
	v_dual_mov_b32 v134, v96 :: v_dual_mov_b32 v135, v97
	v_dual_mov_b32 v142, v36 :: v_dual_mov_b32 v143, v37
	ds_store_2addr_b64 v138, v[134:135], v[142:143] offset0:22 offset1:23
	v_dual_mov_b32 v134, v92 :: v_dual_mov_b32 v135, v93
	v_dual_mov_b32 v142, v88 :: v_dual_mov_b32 v143, v89
	ds_store_2addr_b64 v138, v[134:135], v[142:143] offset0:24 offset1:25
	v_dual_mov_b32 v134, v90 :: v_dual_mov_b32 v135, v91
	v_dual_mov_b32 v142, v34 :: v_dual_mov_b32 v143, v35
	ds_store_2addr_b64 v138, v[134:135], v[142:143] offset0:26 offset1:27
	v_dual_mov_b32 v134, v86 :: v_dual_mov_b32 v135, v87
	v_dual_mov_b32 v142, v82 :: v_dual_mov_b32 v143, v83
	ds_store_2addr_b64 v138, v[134:135], v[142:143] offset0:28 offset1:29
	v_dual_mov_b32 v134, v84 :: v_dual_mov_b32 v135, v85
	v_dual_mov_b32 v142, v26 :: v_dual_mov_b32 v143, v27
	ds_store_2addr_b64 v138, v[134:135], v[142:143] offset0:30 offset1:31
	v_dual_mov_b32 v134, v80 :: v_dual_mov_b32 v135, v81
	v_dual_mov_b32 v142, v76 :: v_dual_mov_b32 v143, v77
	ds_store_2addr_b64 v138, v[134:135], v[142:143] offset0:32 offset1:33
	v_dual_mov_b32 v134, v78 :: v_dual_mov_b32 v135, v79
	v_dual_mov_b32 v142, v24 :: v_dual_mov_b32 v143, v25
	ds_store_2addr_b64 v138, v[134:135], v[142:143] offset0:34 offset1:35
	v_dual_mov_b32 v134, v74 :: v_dual_mov_b32 v135, v75
	v_dual_mov_b32 v142, v70 :: v_dual_mov_b32 v143, v71
	ds_store_2addr_b64 v138, v[134:135], v[142:143] offset0:36 offset1:37
	v_dual_mov_b32 v134, v72 :: v_dual_mov_b32 v135, v73
	v_dual_mov_b32 v142, v22 :: v_dual_mov_b32 v143, v23
	ds_store_2addr_b64 v138, v[134:135], v[142:143] offset0:38 offset1:39
	v_dual_mov_b32 v134, v68 :: v_dual_mov_b32 v135, v69
	v_dual_mov_b32 v142, v64 :: v_dual_mov_b32 v143, v65
	ds_store_2addr_b64 v138, v[134:135], v[142:143] offset0:40 offset1:41
	v_dual_mov_b32 v134, v66 :: v_dual_mov_b32 v135, v67
	v_dual_mov_b32 v142, v18 :: v_dual_mov_b32 v143, v19
	ds_store_2addr_b64 v138, v[134:135], v[142:143] offset0:42 offset1:43
	v_dual_mov_b32 v134, v60 :: v_dual_mov_b32 v135, v61
	v_dual_mov_b32 v142, v56 :: v_dual_mov_b32 v143, v57
	ds_store_2addr_b64 v138, v[134:135], v[142:143] offset0:44 offset1:45
	v_dual_mov_b32 v134, v58 :: v_dual_mov_b32 v135, v59
	v_dual_mov_b32 v142, v12 :: v_dual_mov_b32 v143, v13
	ds_store_2addr_b64 v138, v[134:135], v[142:143] offset0:46 offset1:47
	v_dual_mov_b32 v134, v54 :: v_dual_mov_b32 v135, v55
	v_dual_mov_b32 v142, v52 :: v_dual_mov_b32 v143, v53
	ds_store_2addr_b64 v138, v[134:135], v[142:143] offset0:48 offset1:49
	v_dual_mov_b32 v134, v62 :: v_dual_mov_b32 v135, v63
	v_dual_mov_b32 v142, v16 :: v_dual_mov_b32 v143, v17
	ds_store_2addr_b64 v138, v[134:135], v[142:143] offset0:50 offset1:51
	v_dual_mov_b32 v134, v48 :: v_dual_mov_b32 v135, v49
	v_dual_mov_b32 v142, v42 :: v_dual_mov_b32 v143, v43
	ds_store_2addr_b64 v138, v[134:135], v[142:143] offset0:52 offset1:53
	v_dual_mov_b32 v134, v46 :: v_dual_mov_b32 v135, v47
	v_dual_mov_b32 v142, v8 :: v_dual_mov_b32 v143, v9
	ds_store_2addr_b64 v138, v[134:135], v[142:143] offset0:54 offset1:55
	v_dual_mov_b32 v134, v32 :: v_dual_mov_b32 v135, v33
	v_dual_mov_b32 v142, v28 :: v_dual_mov_b32 v143, v29
	ds_store_2addr_b64 v138, v[134:135], v[142:143] offset0:56 offset1:57
	v_dual_mov_b32 v134, v30 :: v_dual_mov_b32 v135, v31
	v_dual_mov_b32 v142, v6 :: v_dual_mov_b32 v143, v7
	ds_store_2addr_b64 v138, v[134:135], v[142:143] offset0:58 offset1:59
	v_dual_mov_b32 v134, v20 :: v_dual_mov_b32 v135, v21
	v_dual_mov_b32 v142, v14 :: v_dual_mov_b32 v143, v15
	ds_store_2addr_b64 v138, v[134:135], v[142:143] offset0:60 offset1:61
	v_dual_mov_b32 v134, v10 :: v_dual_mov_b32 v135, v11
	v_mov_b32_e32 v142, 3
	ds_store_2addr_b64 v138, v[134:135], v[132:133] offset0:62 offset1:63
.LBB126_81:
	s_or_b32 exec_lo, exec_lo, s0
	s_delay_alu instid0(SALU_CYCLE_1)
	s_mov_b32 s0, exec_lo
	s_wait_storecnt_dscnt 0x0
	s_barrier_signal -1
	s_barrier_wait -1
	v_cmpx_lt_i32_e32 3, v142
	s_cbranch_execz .LBB126_83
; %bb.82:
	v_pk_mul_f32 v[144:145], v[136:137], v[124:125] op_sel:[1,1] op_sel_hi:[0,1]
	s_delay_alu instid0(VALU_DEP_1)
	v_pk_fma_f32 v[134:135], v[136:137], v[124:125], v[144:145] op_sel_hi:[1,0,1] neg_lo:[0,0,1] neg_hi:[0,0,1]
	v_pk_fma_f32 v[136:137], v[136:137], v[124:125], v[144:145] op_sel_hi:[1,0,1]
	ds_load_2addr_b64 v[144:147], v138 offset0:4 offset1:5
	v_dual_mov_b32 v124, v134 :: v_dual_mov_b32 v125, v137
	s_wait_dscnt 0x0
	v_pk_mul_f32 v[148:149], v[144:145], v[136:137] op_sel:[0,1]
	s_delay_alu instid0(VALU_DEP_1) | instskip(SKIP_1) | instid1(VALU_DEP_1)
	v_pk_fma_f32 v[150:151], v[144:145], v[134:135], v[148:149] op_sel:[0,0,1] op_sel_hi:[1,1,0] neg_lo:[0,0,1] neg_hi:[0,0,1]
	v_pk_fma_f32 v[144:145], v[144:145], v[134:135], v[148:149] op_sel:[0,0,1] op_sel_hi:[1,0,0]
	v_mov_b32_e32 v151, v145
	v_pk_mul_f32 v[144:145], v[146:147], v[136:137] op_sel:[0,1]
	s_delay_alu instid0(VALU_DEP_1) | instskip(SKIP_1) | instid1(VALU_DEP_1)
	v_pk_fma_f32 v[148:149], v[146:147], v[134:135], v[144:145] op_sel:[0,0,1] op_sel_hi:[1,1,0] neg_lo:[0,0,1] neg_hi:[0,0,1]
	v_pk_fma_f32 v[144:145], v[146:147], v[134:135], v[144:145] op_sel:[0,0,1] op_sel_hi:[1,0,0]
	v_mov_b32_e32 v149, v145
	ds_load_2addr_b64 v[144:147], v138 offset0:6 offset1:7
	v_pk_add_f32 v[122:123], v[122:123], v[150:151] neg_lo:[0,1] neg_hi:[0,1]
	v_pk_add_f32 v[120:121], v[120:121], v[148:149] neg_lo:[0,1] neg_hi:[0,1]
	s_wait_dscnt 0x0
	v_pk_mul_f32 v[148:149], v[144:145], v[136:137] op_sel:[0,1]
	s_delay_alu instid0(VALU_DEP_1) | instskip(SKIP_2) | instid1(VALU_DEP_2)
	v_pk_fma_f32 v[150:151], v[144:145], v[134:135], v[148:149] op_sel:[0,0,1] op_sel_hi:[1,1,0] neg_lo:[0,0,1] neg_hi:[0,0,1]
	v_pk_fma_f32 v[144:145], v[144:145], v[134:135], v[148:149] op_sel:[0,0,1] op_sel_hi:[1,0,0]
	v_dual_mul_f32 v148, v147, v137 :: v_dual_mov_b32 v144, v147
	v_dual_mov_b32 v151, v145 :: v_dual_mov_b32 v145, v146
	s_delay_alu instid0(VALU_DEP_2) | instskip(SKIP_1) | instid1(VALU_DEP_3)
	v_pk_fma_f32 v[148:149], v[146:147], v[124:125], v[148:149] op_sel_hi:[1,1,0] neg_lo:[0,0,1] neg_hi:[0,0,1]
	v_mul_f32_e32 v146, v147, v134
	v_pk_add_f32 v[112:113], v[112:113], v[150:151] neg_lo:[0,1] neg_hi:[0,1]
	s_delay_alu instid0(VALU_DEP_2) | instskip(NEXT) | instid1(VALU_DEP_1)
	v_pk_fma_f32 v[144:145], v[144:145], v[124:125], v[146:147] op_sel_hi:[1,1,0]
	v_mov_b32_e32 v149, v145
	ds_load_2addr_b64 v[144:147], v138 offset0:8 offset1:9
	v_pk_add_f32 v[44:45], v[44:45], v[148:149] neg_lo:[0,1] neg_hi:[0,1]
	s_wait_dscnt 0x0
	v_pk_mul_f32 v[148:149], v[144:145], v[136:137] op_sel:[0,1]
	s_delay_alu instid0(VALU_DEP_1) | instskip(SKIP_1) | instid1(VALU_DEP_1)
	v_pk_fma_f32 v[150:151], v[144:145], v[134:135], v[148:149] op_sel:[0,0,1] op_sel_hi:[1,1,0] neg_lo:[0,0,1] neg_hi:[0,0,1]
	v_pk_fma_f32 v[144:145], v[144:145], v[134:135], v[148:149] op_sel:[0,0,1] op_sel_hi:[1,0,0]
	v_mov_b32_e32 v151, v145
	v_pk_mul_f32 v[144:145], v[146:147], v[136:137] op_sel:[0,1]
	s_delay_alu instid0(VALU_DEP_1) | instskip(SKIP_1) | instid1(VALU_DEP_1)
	v_pk_fma_f32 v[148:149], v[146:147], v[134:135], v[144:145] op_sel:[0,0,1] op_sel_hi:[1,1,0] neg_lo:[0,0,1] neg_hi:[0,0,1]
	v_pk_fma_f32 v[144:145], v[146:147], v[134:135], v[144:145] op_sel:[0,0,1] op_sel_hi:[1,0,0]
	v_mov_b32_e32 v149, v145
	ds_load_2addr_b64 v[144:147], v138 offset0:10 offset1:11
	v_pk_add_f32 v[118:119], v[118:119], v[150:151] neg_lo:[0,1] neg_hi:[0,1]
	v_pk_add_f32 v[114:115], v[114:115], v[148:149] neg_lo:[0,1] neg_hi:[0,1]
	s_wait_dscnt 0x0
	v_pk_mul_f32 v[148:149], v[144:145], v[136:137] op_sel:[0,1]
	s_delay_alu instid0(VALU_DEP_1) | instskip(SKIP_1) | instid1(VALU_DEP_1)
	v_pk_fma_f32 v[150:151], v[144:145], v[134:135], v[148:149] op_sel:[0,0,1] op_sel_hi:[1,1,0] neg_lo:[0,0,1] neg_hi:[0,0,1]
	v_pk_fma_f32 v[144:145], v[144:145], v[134:135], v[148:149] op_sel:[0,0,1] op_sel_hi:[1,0,0]
	v_mov_b32_e32 v151, v145
	v_pk_mul_f32 v[144:145], v[146:147], v[136:137] op_sel:[0,1]
	s_delay_alu instid0(VALU_DEP_1) | instskip(SKIP_1) | instid1(VALU_DEP_1)
	v_pk_fma_f32 v[148:149], v[146:147], v[134:135], v[144:145] op_sel:[0,0,1] op_sel_hi:[1,1,0] neg_lo:[0,0,1] neg_hi:[0,0,1]
	v_pk_fma_f32 v[144:145], v[146:147], v[134:135], v[144:145] op_sel:[0,0,1] op_sel_hi:[1,0,0]
	v_mov_b32_e32 v149, v145
	ds_load_2addr_b64 v[144:147], v138 offset0:12 offset1:13
	v_pk_add_f32 v[116:117], v[116:117], v[150:151] neg_lo:[0,1] neg_hi:[0,1]
	v_pk_add_f32 v[50:51], v[50:51], v[148:149] neg_lo:[0,1] neg_hi:[0,1]
	s_wait_dscnt 0x0
	v_dual_mul_f32 v148, v145, v137 :: v_dual_mul_f32 v150, v145, v134
	s_delay_alu instid0(VALU_DEP_1) | instskip(NEXT) | instid1(VALU_DEP_2)
	v_pk_fma_f32 v[148:149], v[144:145], v[124:125], v[148:149] op_sel_hi:[1,1,0] neg_lo:[0,0,1] neg_hi:[0,0,1]
	v_pk_fma_f32 v[144:145], v[144:145], v[124:125], v[150:151] op_sel:[1,0,0] op_sel_hi:[0,1,0]
	s_delay_alu instid0(VALU_DEP_1) | instskip(SKIP_1) | instid1(VALU_DEP_2)
	v_mov_b32_e32 v149, v145
	v_pk_mul_f32 v[144:145], v[146:147], v[136:137] op_sel:[0,1]
	v_pk_add_f32 v[110:111], v[110:111], v[148:149] neg_lo:[0,1] neg_hi:[0,1]
	s_delay_alu instid0(VALU_DEP_2) | instskip(SKIP_1) | instid1(VALU_DEP_1)
	v_pk_fma_f32 v[148:149], v[146:147], v[134:135], v[144:145] op_sel:[0,0,1] op_sel_hi:[1,1,0] neg_lo:[0,0,1] neg_hi:[0,0,1]
	v_pk_fma_f32 v[144:145], v[146:147], v[134:135], v[144:145] op_sel:[0,0,1] op_sel_hi:[1,0,0]
	v_mov_b32_e32 v149, v145
	ds_load_2addr_b64 v[144:147], v138 offset0:14 offset1:15
	v_pk_add_f32 v[106:107], v[106:107], v[148:149] neg_lo:[0,1] neg_hi:[0,1]
	s_wait_dscnt 0x0
	v_pk_mul_f32 v[148:149], v[144:145], v[136:137] op_sel:[0,1]
	s_delay_alu instid0(VALU_DEP_1) | instskip(SKIP_1) | instid1(VALU_DEP_1)
	v_pk_fma_f32 v[150:151], v[144:145], v[134:135], v[148:149] op_sel:[0,0,1] op_sel_hi:[1,1,0] neg_lo:[0,0,1] neg_hi:[0,0,1]
	v_pk_fma_f32 v[144:145], v[144:145], v[134:135], v[148:149] op_sel:[0,0,1] op_sel_hi:[1,0,0]
	v_mov_b32_e32 v151, v145
	v_pk_mul_f32 v[144:145], v[146:147], v[136:137] op_sel:[0,1]
	s_delay_alu instid0(VALU_DEP_2) | instskip(NEXT) | instid1(VALU_DEP_2)
	v_pk_add_f32 v[108:109], v[108:109], v[150:151] neg_lo:[0,1] neg_hi:[0,1]
	v_pk_fma_f32 v[148:149], v[146:147], v[134:135], v[144:145] op_sel:[0,0,1] op_sel_hi:[1,1,0] neg_lo:[0,0,1] neg_hi:[0,0,1]
	v_pk_fma_f32 v[144:145], v[146:147], v[134:135], v[144:145] op_sel:[0,0,1] op_sel_hi:[1,0,0]
	s_delay_alu instid0(VALU_DEP_1) | instskip(SKIP_4) | instid1(VALU_DEP_1)
	v_mov_b32_e32 v149, v145
	ds_load_2addr_b64 v[144:147], v138 offset0:16 offset1:17
	v_pk_add_f32 v[40:41], v[40:41], v[148:149] neg_lo:[0,1] neg_hi:[0,1]
	s_wait_dscnt 0x0
	v_pk_mul_f32 v[148:149], v[144:145], v[136:137] op_sel:[0,1]
	v_pk_fma_f32 v[150:151], v[144:145], v[134:135], v[148:149] op_sel:[0,0,1] op_sel_hi:[1,1,0] neg_lo:[0,0,1] neg_hi:[0,0,1]
	v_pk_fma_f32 v[144:145], v[144:145], v[134:135], v[148:149] op_sel:[0,0,1] op_sel_hi:[1,0,0]
	v_dual_mul_f32 v148, v147, v137 :: v_dual_mov_b32 v144, v147
	s_delay_alu instid0(VALU_DEP_2) | instskip(NEXT) | instid1(VALU_DEP_2)
	v_dual_mov_b32 v151, v145 :: v_dual_mov_b32 v145, v146
	v_pk_fma_f32 v[148:149], v[146:147], v[124:125], v[148:149] op_sel_hi:[1,1,0] neg_lo:[0,0,1] neg_hi:[0,0,1]
	v_mul_f32_e32 v146, v147, v134
	s_delay_alu instid0(VALU_DEP_3) | instskip(NEXT) | instid1(VALU_DEP_2)
	v_pk_add_f32 v[104:105], v[104:105], v[150:151] neg_lo:[0,1] neg_hi:[0,1]
	v_pk_fma_f32 v[144:145], v[144:145], v[124:125], v[146:147] op_sel_hi:[1,1,0]
	s_delay_alu instid0(VALU_DEP_1) | instskip(SKIP_4) | instid1(VALU_DEP_1)
	v_mov_b32_e32 v149, v145
	ds_load_2addr_b64 v[144:147], v138 offset0:18 offset1:19
	v_pk_add_f32 v[100:101], v[100:101], v[148:149] neg_lo:[0,1] neg_hi:[0,1]
	s_wait_dscnt 0x0
	v_pk_mul_f32 v[148:149], v[144:145], v[136:137] op_sel:[0,1]
	v_pk_fma_f32 v[150:151], v[144:145], v[134:135], v[148:149] op_sel:[0,0,1] op_sel_hi:[1,1,0] neg_lo:[0,0,1] neg_hi:[0,0,1]
	v_pk_fma_f32 v[144:145], v[144:145], v[134:135], v[148:149] op_sel:[0,0,1] op_sel_hi:[1,0,0]
	s_delay_alu instid0(VALU_DEP_1) | instskip(SKIP_1) | instid1(VALU_DEP_1)
	v_mov_b32_e32 v151, v145
	v_pk_mul_f32 v[144:145], v[146:147], v[136:137] op_sel:[0,1]
	v_pk_fma_f32 v[148:149], v[146:147], v[134:135], v[144:145] op_sel:[0,0,1] op_sel_hi:[1,1,0] neg_lo:[0,0,1] neg_hi:[0,0,1]
	v_pk_fma_f32 v[144:145], v[146:147], v[134:135], v[144:145] op_sel:[0,0,1] op_sel_hi:[1,0,0]
	s_delay_alu instid0(VALU_DEP_1)
	v_mov_b32_e32 v149, v145
	ds_load_2addr_b64 v[144:147], v138 offset0:20 offset1:21
	v_pk_add_f32 v[102:103], v[102:103], v[150:151] neg_lo:[0,1] neg_hi:[0,1]
	v_pk_add_f32 v[38:39], v[38:39], v[148:149] neg_lo:[0,1] neg_hi:[0,1]
	s_wait_dscnt 0x0
	v_pk_mul_f32 v[148:149], v[144:145], v[136:137] op_sel:[0,1]
	s_delay_alu instid0(VALU_DEP_1) | instskip(SKIP_1) | instid1(VALU_DEP_1)
	v_pk_fma_f32 v[150:151], v[144:145], v[134:135], v[148:149] op_sel:[0,0,1] op_sel_hi:[1,1,0] neg_lo:[0,0,1] neg_hi:[0,0,1]
	v_pk_fma_f32 v[144:145], v[144:145], v[134:135], v[148:149] op_sel:[0,0,1] op_sel_hi:[1,0,0]
	v_mov_b32_e32 v151, v145
	v_pk_mul_f32 v[144:145], v[146:147], v[136:137] op_sel:[0,1]
	s_delay_alu instid0(VALU_DEP_1) | instskip(SKIP_1) | instid1(VALU_DEP_1)
	v_pk_fma_f32 v[148:149], v[146:147], v[134:135], v[144:145] op_sel:[0,0,1] op_sel_hi:[1,1,0] neg_lo:[0,0,1] neg_hi:[0,0,1]
	v_pk_fma_f32 v[144:145], v[146:147], v[134:135], v[144:145] op_sel:[0,0,1] op_sel_hi:[1,0,0]
	v_mov_b32_e32 v149, v145
	ds_load_2addr_b64 v[144:147], v138 offset0:22 offset1:23
	v_pk_add_f32 v[98:99], v[98:99], v[150:151] neg_lo:[0,1] neg_hi:[0,1]
	v_pk_add_f32 v[94:95], v[94:95], v[148:149] neg_lo:[0,1] neg_hi:[0,1]
	s_wait_dscnt 0x0
	v_dual_mul_f32 v148, v145, v137 :: v_dual_mul_f32 v150, v145, v134
	s_delay_alu instid0(VALU_DEP_1) | instskip(NEXT) | instid1(VALU_DEP_2)
	v_pk_fma_f32 v[148:149], v[144:145], v[124:125], v[148:149] op_sel_hi:[1,1,0] neg_lo:[0,0,1] neg_hi:[0,0,1]
	v_pk_fma_f32 v[144:145], v[144:145], v[124:125], v[150:151] op_sel:[1,0,0] op_sel_hi:[0,1,0]
	s_delay_alu instid0(VALU_DEP_1) | instskip(SKIP_1) | instid1(VALU_DEP_2)
	v_mov_b32_e32 v149, v145
	v_pk_mul_f32 v[144:145], v[146:147], v[136:137] op_sel:[0,1]
	v_pk_add_f32 v[96:97], v[96:97], v[148:149] neg_lo:[0,1] neg_hi:[0,1]
	s_delay_alu instid0(VALU_DEP_2) | instskip(SKIP_1) | instid1(VALU_DEP_1)
	v_pk_fma_f32 v[148:149], v[146:147], v[134:135], v[144:145] op_sel:[0,0,1] op_sel_hi:[1,1,0] neg_lo:[0,0,1] neg_hi:[0,0,1]
	v_pk_fma_f32 v[144:145], v[146:147], v[134:135], v[144:145] op_sel:[0,0,1] op_sel_hi:[1,0,0]
	v_mov_b32_e32 v149, v145
	ds_load_2addr_b64 v[144:147], v138 offset0:24 offset1:25
	v_pk_add_f32 v[36:37], v[36:37], v[148:149] neg_lo:[0,1] neg_hi:[0,1]
	s_wait_dscnt 0x0
	v_pk_mul_f32 v[148:149], v[144:145], v[136:137] op_sel:[0,1]
	s_delay_alu instid0(VALU_DEP_1) | instskip(SKIP_1) | instid1(VALU_DEP_1)
	v_pk_fma_f32 v[150:151], v[144:145], v[134:135], v[148:149] op_sel:[0,0,1] op_sel_hi:[1,1,0] neg_lo:[0,0,1] neg_hi:[0,0,1]
	v_pk_fma_f32 v[144:145], v[144:145], v[134:135], v[148:149] op_sel:[0,0,1] op_sel_hi:[1,0,0]
	v_mov_b32_e32 v151, v145
	v_pk_mul_f32 v[144:145], v[146:147], v[136:137] op_sel:[0,1]
	s_delay_alu instid0(VALU_DEP_2) | instskip(NEXT) | instid1(VALU_DEP_2)
	v_pk_add_f32 v[92:93], v[92:93], v[150:151] neg_lo:[0,1] neg_hi:[0,1]
	v_pk_fma_f32 v[148:149], v[146:147], v[134:135], v[144:145] op_sel:[0,0,1] op_sel_hi:[1,1,0] neg_lo:[0,0,1] neg_hi:[0,0,1]
	v_pk_fma_f32 v[144:145], v[146:147], v[134:135], v[144:145] op_sel:[0,0,1] op_sel_hi:[1,0,0]
	s_delay_alu instid0(VALU_DEP_1) | instskip(SKIP_4) | instid1(VALU_DEP_1)
	v_mov_b32_e32 v149, v145
	ds_load_2addr_b64 v[144:147], v138 offset0:26 offset1:27
	v_pk_add_f32 v[88:89], v[88:89], v[148:149] neg_lo:[0,1] neg_hi:[0,1]
	s_wait_dscnt 0x0
	v_pk_mul_f32 v[148:149], v[144:145], v[136:137] op_sel:[0,1]
	v_pk_fma_f32 v[150:151], v[144:145], v[134:135], v[148:149] op_sel:[0,0,1] op_sel_hi:[1,1,0] neg_lo:[0,0,1] neg_hi:[0,0,1]
	v_pk_fma_f32 v[144:145], v[144:145], v[134:135], v[148:149] op_sel:[0,0,1] op_sel_hi:[1,0,0]
	v_dual_mul_f32 v148, v147, v137 :: v_dual_mov_b32 v144, v147
	s_delay_alu instid0(VALU_DEP_2) | instskip(NEXT) | instid1(VALU_DEP_2)
	v_dual_mov_b32 v151, v145 :: v_dual_mov_b32 v145, v146
	v_pk_fma_f32 v[148:149], v[146:147], v[124:125], v[148:149] op_sel_hi:[1,1,0] neg_lo:[0,0,1] neg_hi:[0,0,1]
	v_mul_f32_e32 v146, v147, v134
	s_delay_alu instid0(VALU_DEP_3) | instskip(NEXT) | instid1(VALU_DEP_2)
	v_pk_add_f32 v[90:91], v[90:91], v[150:151] neg_lo:[0,1] neg_hi:[0,1]
	v_pk_fma_f32 v[144:145], v[144:145], v[124:125], v[146:147] op_sel_hi:[1,1,0]
	s_delay_alu instid0(VALU_DEP_1) | instskip(SKIP_4) | instid1(VALU_DEP_1)
	v_mov_b32_e32 v149, v145
	ds_load_2addr_b64 v[144:147], v138 offset0:28 offset1:29
	v_pk_add_f32 v[34:35], v[34:35], v[148:149] neg_lo:[0,1] neg_hi:[0,1]
	s_wait_dscnt 0x0
	v_pk_mul_f32 v[148:149], v[144:145], v[136:137] op_sel:[0,1]
	v_pk_fma_f32 v[150:151], v[144:145], v[134:135], v[148:149] op_sel:[0,0,1] op_sel_hi:[1,1,0] neg_lo:[0,0,1] neg_hi:[0,0,1]
	v_pk_fma_f32 v[144:145], v[144:145], v[134:135], v[148:149] op_sel:[0,0,1] op_sel_hi:[1,0,0]
	s_delay_alu instid0(VALU_DEP_1) | instskip(SKIP_1) | instid1(VALU_DEP_1)
	v_mov_b32_e32 v151, v145
	v_pk_mul_f32 v[144:145], v[146:147], v[136:137] op_sel:[0,1]
	v_pk_fma_f32 v[148:149], v[146:147], v[134:135], v[144:145] op_sel:[0,0,1] op_sel_hi:[1,1,0] neg_lo:[0,0,1] neg_hi:[0,0,1]
	v_pk_fma_f32 v[144:145], v[146:147], v[134:135], v[144:145] op_sel:[0,0,1] op_sel_hi:[1,0,0]
	s_delay_alu instid0(VALU_DEP_1)
	v_mov_b32_e32 v149, v145
	ds_load_2addr_b64 v[144:147], v138 offset0:30 offset1:31
	v_pk_add_f32 v[86:87], v[86:87], v[150:151] neg_lo:[0,1] neg_hi:[0,1]
	v_pk_add_f32 v[82:83], v[82:83], v[148:149] neg_lo:[0,1] neg_hi:[0,1]
	s_wait_dscnt 0x0
	v_pk_mul_f32 v[148:149], v[144:145], v[136:137] op_sel:[0,1]
	s_delay_alu instid0(VALU_DEP_1) | instskip(SKIP_1) | instid1(VALU_DEP_1)
	v_pk_fma_f32 v[150:151], v[144:145], v[134:135], v[148:149] op_sel:[0,0,1] op_sel_hi:[1,1,0] neg_lo:[0,0,1] neg_hi:[0,0,1]
	v_pk_fma_f32 v[144:145], v[144:145], v[134:135], v[148:149] op_sel:[0,0,1] op_sel_hi:[1,0,0]
	v_mov_b32_e32 v151, v145
	v_pk_mul_f32 v[144:145], v[146:147], v[136:137] op_sel:[0,1]
	s_delay_alu instid0(VALU_DEP_1) | instskip(SKIP_1) | instid1(VALU_DEP_1)
	v_pk_fma_f32 v[148:149], v[146:147], v[134:135], v[144:145] op_sel:[0,0,1] op_sel_hi:[1,1,0] neg_lo:[0,0,1] neg_hi:[0,0,1]
	v_pk_fma_f32 v[144:145], v[146:147], v[134:135], v[144:145] op_sel:[0,0,1] op_sel_hi:[1,0,0]
	v_mov_b32_e32 v149, v145
	ds_load_2addr_b64 v[144:147], v138 offset0:32 offset1:33
	v_pk_add_f32 v[84:85], v[84:85], v[150:151] neg_lo:[0,1] neg_hi:[0,1]
	v_pk_add_f32 v[26:27], v[26:27], v[148:149] neg_lo:[0,1] neg_hi:[0,1]
	s_wait_dscnt 0x0
	v_dual_mul_f32 v148, v145, v137 :: v_dual_mul_f32 v150, v145, v134
	s_delay_alu instid0(VALU_DEP_1) | instskip(NEXT) | instid1(VALU_DEP_2)
	v_pk_fma_f32 v[148:149], v[144:145], v[124:125], v[148:149] op_sel_hi:[1,1,0] neg_lo:[0,0,1] neg_hi:[0,0,1]
	v_pk_fma_f32 v[144:145], v[144:145], v[124:125], v[150:151] op_sel:[1,0,0] op_sel_hi:[0,1,0]
	s_delay_alu instid0(VALU_DEP_1) | instskip(SKIP_1) | instid1(VALU_DEP_2)
	v_mov_b32_e32 v149, v145
	v_pk_mul_f32 v[144:145], v[146:147], v[136:137] op_sel:[0,1]
	v_pk_add_f32 v[80:81], v[80:81], v[148:149] neg_lo:[0,1] neg_hi:[0,1]
	s_delay_alu instid0(VALU_DEP_2) | instskip(SKIP_1) | instid1(VALU_DEP_1)
	v_pk_fma_f32 v[148:149], v[146:147], v[134:135], v[144:145] op_sel:[0,0,1] op_sel_hi:[1,1,0] neg_lo:[0,0,1] neg_hi:[0,0,1]
	v_pk_fma_f32 v[144:145], v[146:147], v[134:135], v[144:145] op_sel:[0,0,1] op_sel_hi:[1,0,0]
	v_mov_b32_e32 v149, v145
	ds_load_2addr_b64 v[144:147], v138 offset0:34 offset1:35
	v_pk_add_f32 v[76:77], v[76:77], v[148:149] neg_lo:[0,1] neg_hi:[0,1]
	s_wait_dscnt 0x0
	v_pk_mul_f32 v[148:149], v[144:145], v[136:137] op_sel:[0,1]
	s_delay_alu instid0(VALU_DEP_1) | instskip(SKIP_1) | instid1(VALU_DEP_1)
	v_pk_fma_f32 v[150:151], v[144:145], v[134:135], v[148:149] op_sel:[0,0,1] op_sel_hi:[1,1,0] neg_lo:[0,0,1] neg_hi:[0,0,1]
	v_pk_fma_f32 v[144:145], v[144:145], v[134:135], v[148:149] op_sel:[0,0,1] op_sel_hi:[1,0,0]
	v_mov_b32_e32 v151, v145
	v_pk_mul_f32 v[144:145], v[146:147], v[136:137] op_sel:[0,1]
	s_delay_alu instid0(VALU_DEP_2) | instskip(NEXT) | instid1(VALU_DEP_2)
	v_pk_add_f32 v[78:79], v[78:79], v[150:151] neg_lo:[0,1] neg_hi:[0,1]
	v_pk_fma_f32 v[148:149], v[146:147], v[134:135], v[144:145] op_sel:[0,0,1] op_sel_hi:[1,1,0] neg_lo:[0,0,1] neg_hi:[0,0,1]
	v_pk_fma_f32 v[144:145], v[146:147], v[134:135], v[144:145] op_sel:[0,0,1] op_sel_hi:[1,0,0]
	s_delay_alu instid0(VALU_DEP_1) | instskip(SKIP_4) | instid1(VALU_DEP_1)
	v_mov_b32_e32 v149, v145
	ds_load_2addr_b64 v[144:147], v138 offset0:36 offset1:37
	v_pk_add_f32 v[24:25], v[24:25], v[148:149] neg_lo:[0,1] neg_hi:[0,1]
	s_wait_dscnt 0x0
	v_pk_mul_f32 v[148:149], v[144:145], v[136:137] op_sel:[0,1]
	v_pk_fma_f32 v[150:151], v[144:145], v[134:135], v[148:149] op_sel:[0,0,1] op_sel_hi:[1,1,0] neg_lo:[0,0,1] neg_hi:[0,0,1]
	v_pk_fma_f32 v[144:145], v[144:145], v[134:135], v[148:149] op_sel:[0,0,1] op_sel_hi:[1,0,0]
	v_dual_mul_f32 v148, v147, v137 :: v_dual_mov_b32 v144, v147
	s_delay_alu instid0(VALU_DEP_2) | instskip(NEXT) | instid1(VALU_DEP_2)
	v_dual_mov_b32 v151, v145 :: v_dual_mov_b32 v145, v146
	v_pk_fma_f32 v[148:149], v[146:147], v[124:125], v[148:149] op_sel_hi:[1,1,0] neg_lo:[0,0,1] neg_hi:[0,0,1]
	v_mul_f32_e32 v146, v147, v134
	s_delay_alu instid0(VALU_DEP_3) | instskip(NEXT) | instid1(VALU_DEP_2)
	v_pk_add_f32 v[74:75], v[74:75], v[150:151] neg_lo:[0,1] neg_hi:[0,1]
	v_pk_fma_f32 v[144:145], v[144:145], v[124:125], v[146:147] op_sel_hi:[1,1,0]
	s_delay_alu instid0(VALU_DEP_1) | instskip(SKIP_4) | instid1(VALU_DEP_1)
	v_mov_b32_e32 v149, v145
	ds_load_2addr_b64 v[144:147], v138 offset0:38 offset1:39
	v_pk_add_f32 v[70:71], v[70:71], v[148:149] neg_lo:[0,1] neg_hi:[0,1]
	s_wait_dscnt 0x0
	v_pk_mul_f32 v[148:149], v[144:145], v[136:137] op_sel:[0,1]
	v_pk_fma_f32 v[150:151], v[144:145], v[134:135], v[148:149] op_sel:[0,0,1] op_sel_hi:[1,1,0] neg_lo:[0,0,1] neg_hi:[0,0,1]
	v_pk_fma_f32 v[144:145], v[144:145], v[134:135], v[148:149] op_sel:[0,0,1] op_sel_hi:[1,0,0]
	s_delay_alu instid0(VALU_DEP_1) | instskip(SKIP_1) | instid1(VALU_DEP_1)
	v_mov_b32_e32 v151, v145
	v_pk_mul_f32 v[144:145], v[146:147], v[136:137] op_sel:[0,1]
	v_pk_fma_f32 v[148:149], v[146:147], v[134:135], v[144:145] op_sel:[0,0,1] op_sel_hi:[1,1,0] neg_lo:[0,0,1] neg_hi:[0,0,1]
	v_pk_fma_f32 v[144:145], v[146:147], v[134:135], v[144:145] op_sel:[0,0,1] op_sel_hi:[1,0,0]
	s_delay_alu instid0(VALU_DEP_1)
	v_mov_b32_e32 v149, v145
	ds_load_2addr_b64 v[144:147], v138 offset0:40 offset1:41
	v_pk_add_f32 v[72:73], v[72:73], v[150:151] neg_lo:[0,1] neg_hi:[0,1]
	v_pk_add_f32 v[22:23], v[22:23], v[148:149] neg_lo:[0,1] neg_hi:[0,1]
	s_wait_dscnt 0x0
	v_pk_mul_f32 v[148:149], v[144:145], v[136:137] op_sel:[0,1]
	s_delay_alu instid0(VALU_DEP_1) | instskip(SKIP_1) | instid1(VALU_DEP_1)
	v_pk_fma_f32 v[150:151], v[144:145], v[134:135], v[148:149] op_sel:[0,0,1] op_sel_hi:[1,1,0] neg_lo:[0,0,1] neg_hi:[0,0,1]
	v_pk_fma_f32 v[144:145], v[144:145], v[134:135], v[148:149] op_sel:[0,0,1] op_sel_hi:[1,0,0]
	v_mov_b32_e32 v151, v145
	v_pk_mul_f32 v[144:145], v[146:147], v[136:137] op_sel:[0,1]
	s_delay_alu instid0(VALU_DEP_1) | instskip(SKIP_1) | instid1(VALU_DEP_1)
	v_pk_fma_f32 v[148:149], v[146:147], v[134:135], v[144:145] op_sel:[0,0,1] op_sel_hi:[1,1,0] neg_lo:[0,0,1] neg_hi:[0,0,1]
	v_pk_fma_f32 v[144:145], v[146:147], v[134:135], v[144:145] op_sel:[0,0,1] op_sel_hi:[1,0,0]
	v_mov_b32_e32 v149, v145
	ds_load_2addr_b64 v[144:147], v138 offset0:42 offset1:43
	v_pk_add_f32 v[68:69], v[68:69], v[150:151] neg_lo:[0,1] neg_hi:[0,1]
	v_pk_add_f32 v[64:65], v[64:65], v[148:149] neg_lo:[0,1] neg_hi:[0,1]
	s_wait_dscnt 0x0
	v_dual_mul_f32 v148, v145, v137 :: v_dual_mul_f32 v150, v145, v134
	s_delay_alu instid0(VALU_DEP_1) | instskip(NEXT) | instid1(VALU_DEP_2)
	v_pk_fma_f32 v[148:149], v[144:145], v[124:125], v[148:149] op_sel_hi:[1,1,0] neg_lo:[0,0,1] neg_hi:[0,0,1]
	v_pk_fma_f32 v[144:145], v[144:145], v[124:125], v[150:151] op_sel:[1,0,0] op_sel_hi:[0,1,0]
	s_delay_alu instid0(VALU_DEP_1) | instskip(SKIP_1) | instid1(VALU_DEP_2)
	v_mov_b32_e32 v149, v145
	v_pk_mul_f32 v[144:145], v[146:147], v[136:137] op_sel:[0,1]
	v_pk_add_f32 v[66:67], v[66:67], v[148:149] neg_lo:[0,1] neg_hi:[0,1]
	s_delay_alu instid0(VALU_DEP_2) | instskip(SKIP_1) | instid1(VALU_DEP_1)
	v_pk_fma_f32 v[148:149], v[146:147], v[134:135], v[144:145] op_sel:[0,0,1] op_sel_hi:[1,1,0] neg_lo:[0,0,1] neg_hi:[0,0,1]
	v_pk_fma_f32 v[144:145], v[146:147], v[134:135], v[144:145] op_sel:[0,0,1] op_sel_hi:[1,0,0]
	v_mov_b32_e32 v149, v145
	ds_load_2addr_b64 v[144:147], v138 offset0:44 offset1:45
	v_pk_add_f32 v[18:19], v[18:19], v[148:149] neg_lo:[0,1] neg_hi:[0,1]
	s_wait_dscnt 0x0
	v_pk_mul_f32 v[148:149], v[144:145], v[136:137] op_sel:[0,1]
	s_delay_alu instid0(VALU_DEP_1) | instskip(SKIP_1) | instid1(VALU_DEP_1)
	v_pk_fma_f32 v[150:151], v[144:145], v[134:135], v[148:149] op_sel:[0,0,1] op_sel_hi:[1,1,0] neg_lo:[0,0,1] neg_hi:[0,0,1]
	v_pk_fma_f32 v[144:145], v[144:145], v[134:135], v[148:149] op_sel:[0,0,1] op_sel_hi:[1,0,0]
	v_mov_b32_e32 v151, v145
	v_pk_mul_f32 v[144:145], v[146:147], v[136:137] op_sel:[0,1]
	s_delay_alu instid0(VALU_DEP_2) | instskip(NEXT) | instid1(VALU_DEP_2)
	v_pk_add_f32 v[60:61], v[60:61], v[150:151] neg_lo:[0,1] neg_hi:[0,1]
	v_pk_fma_f32 v[148:149], v[146:147], v[134:135], v[144:145] op_sel:[0,0,1] op_sel_hi:[1,1,0] neg_lo:[0,0,1] neg_hi:[0,0,1]
	v_pk_fma_f32 v[144:145], v[146:147], v[134:135], v[144:145] op_sel:[0,0,1] op_sel_hi:[1,0,0]
	s_delay_alu instid0(VALU_DEP_1) | instskip(SKIP_4) | instid1(VALU_DEP_1)
	v_mov_b32_e32 v149, v145
	ds_load_2addr_b64 v[144:147], v138 offset0:46 offset1:47
	v_pk_add_f32 v[56:57], v[56:57], v[148:149] neg_lo:[0,1] neg_hi:[0,1]
	s_wait_dscnt 0x0
	v_pk_mul_f32 v[148:149], v[144:145], v[136:137] op_sel:[0,1]
	v_pk_fma_f32 v[150:151], v[144:145], v[134:135], v[148:149] op_sel:[0,0,1] op_sel_hi:[1,1,0] neg_lo:[0,0,1] neg_hi:[0,0,1]
	v_pk_fma_f32 v[144:145], v[144:145], v[134:135], v[148:149] op_sel:[0,0,1] op_sel_hi:[1,0,0]
	v_dual_mul_f32 v148, v147, v137 :: v_dual_mov_b32 v144, v147
	s_delay_alu instid0(VALU_DEP_2) | instskip(NEXT) | instid1(VALU_DEP_2)
	v_dual_mov_b32 v151, v145 :: v_dual_mov_b32 v145, v146
	v_pk_fma_f32 v[148:149], v[146:147], v[124:125], v[148:149] op_sel_hi:[1,1,0] neg_lo:[0,0,1] neg_hi:[0,0,1]
	v_mul_f32_e32 v146, v147, v134
	s_delay_alu instid0(VALU_DEP_3) | instskip(NEXT) | instid1(VALU_DEP_2)
	v_pk_add_f32 v[58:59], v[58:59], v[150:151] neg_lo:[0,1] neg_hi:[0,1]
	v_pk_fma_f32 v[144:145], v[144:145], v[124:125], v[146:147] op_sel_hi:[1,1,0]
	s_delay_alu instid0(VALU_DEP_1) | instskip(SKIP_4) | instid1(VALU_DEP_1)
	v_mov_b32_e32 v149, v145
	ds_load_2addr_b64 v[144:147], v138 offset0:48 offset1:49
	v_pk_add_f32 v[12:13], v[12:13], v[148:149] neg_lo:[0,1] neg_hi:[0,1]
	s_wait_dscnt 0x0
	v_pk_mul_f32 v[148:149], v[144:145], v[136:137] op_sel:[0,1]
	v_pk_fma_f32 v[150:151], v[144:145], v[134:135], v[148:149] op_sel:[0,0,1] op_sel_hi:[1,1,0] neg_lo:[0,0,1] neg_hi:[0,0,1]
	v_pk_fma_f32 v[144:145], v[144:145], v[134:135], v[148:149] op_sel:[0,0,1] op_sel_hi:[1,0,0]
	s_delay_alu instid0(VALU_DEP_1) | instskip(SKIP_1) | instid1(VALU_DEP_1)
	v_mov_b32_e32 v151, v145
	v_pk_mul_f32 v[144:145], v[146:147], v[136:137] op_sel:[0,1]
	v_pk_fma_f32 v[148:149], v[146:147], v[134:135], v[144:145] op_sel:[0,0,1] op_sel_hi:[1,1,0] neg_lo:[0,0,1] neg_hi:[0,0,1]
	v_pk_fma_f32 v[144:145], v[146:147], v[134:135], v[144:145] op_sel:[0,0,1] op_sel_hi:[1,0,0]
	s_delay_alu instid0(VALU_DEP_1)
	v_mov_b32_e32 v149, v145
	ds_load_2addr_b64 v[144:147], v138 offset0:50 offset1:51
	v_pk_add_f32 v[54:55], v[54:55], v[150:151] neg_lo:[0,1] neg_hi:[0,1]
	v_pk_add_f32 v[52:53], v[52:53], v[148:149] neg_lo:[0,1] neg_hi:[0,1]
	s_wait_dscnt 0x0
	v_pk_mul_f32 v[148:149], v[144:145], v[136:137] op_sel:[0,1]
	s_delay_alu instid0(VALU_DEP_1) | instskip(SKIP_1) | instid1(VALU_DEP_1)
	v_pk_fma_f32 v[150:151], v[144:145], v[134:135], v[148:149] op_sel:[0,0,1] op_sel_hi:[1,1,0] neg_lo:[0,0,1] neg_hi:[0,0,1]
	v_pk_fma_f32 v[144:145], v[144:145], v[134:135], v[148:149] op_sel:[0,0,1] op_sel_hi:[1,0,0]
	v_mov_b32_e32 v151, v145
	v_pk_mul_f32 v[144:145], v[146:147], v[136:137] op_sel:[0,1]
	s_delay_alu instid0(VALU_DEP_1) | instskip(SKIP_1) | instid1(VALU_DEP_1)
	v_pk_fma_f32 v[148:149], v[146:147], v[134:135], v[144:145] op_sel:[0,0,1] op_sel_hi:[1,1,0] neg_lo:[0,0,1] neg_hi:[0,0,1]
	v_pk_fma_f32 v[144:145], v[146:147], v[134:135], v[144:145] op_sel:[0,0,1] op_sel_hi:[1,0,0]
	v_mov_b32_e32 v149, v145
	ds_load_2addr_b64 v[144:147], v138 offset0:52 offset1:53
	v_pk_add_f32 v[62:63], v[62:63], v[150:151] neg_lo:[0,1] neg_hi:[0,1]
	v_pk_add_f32 v[16:17], v[16:17], v[148:149] neg_lo:[0,1] neg_hi:[0,1]
	s_wait_dscnt 0x0
	v_dual_mul_f32 v148, v145, v137 :: v_dual_mul_f32 v150, v145, v134
	s_delay_alu instid0(VALU_DEP_1) | instskip(NEXT) | instid1(VALU_DEP_2)
	v_pk_fma_f32 v[148:149], v[144:145], v[124:125], v[148:149] op_sel_hi:[1,1,0] neg_lo:[0,0,1] neg_hi:[0,0,1]
	v_pk_fma_f32 v[144:145], v[144:145], v[124:125], v[150:151] op_sel:[1,0,0] op_sel_hi:[0,1,0]
	s_delay_alu instid0(VALU_DEP_1) | instskip(SKIP_1) | instid1(VALU_DEP_2)
	v_mov_b32_e32 v149, v145
	v_pk_mul_f32 v[144:145], v[146:147], v[136:137] op_sel:[0,1]
	v_pk_add_f32 v[48:49], v[48:49], v[148:149] neg_lo:[0,1] neg_hi:[0,1]
	s_delay_alu instid0(VALU_DEP_2) | instskip(SKIP_1) | instid1(VALU_DEP_1)
	v_pk_fma_f32 v[148:149], v[146:147], v[134:135], v[144:145] op_sel:[0,0,1] op_sel_hi:[1,1,0] neg_lo:[0,0,1] neg_hi:[0,0,1]
	v_pk_fma_f32 v[144:145], v[146:147], v[134:135], v[144:145] op_sel:[0,0,1] op_sel_hi:[1,0,0]
	v_mov_b32_e32 v149, v145
	ds_load_2addr_b64 v[144:147], v138 offset0:54 offset1:55
	v_pk_add_f32 v[42:43], v[42:43], v[148:149] neg_lo:[0,1] neg_hi:[0,1]
	s_wait_dscnt 0x0
	v_pk_mul_f32 v[148:149], v[144:145], v[136:137] op_sel:[0,1]
	s_delay_alu instid0(VALU_DEP_1) | instskip(SKIP_1) | instid1(VALU_DEP_1)
	v_pk_fma_f32 v[150:151], v[144:145], v[134:135], v[148:149] op_sel:[0,0,1] op_sel_hi:[1,1,0] neg_lo:[0,0,1] neg_hi:[0,0,1]
	v_pk_fma_f32 v[144:145], v[144:145], v[134:135], v[148:149] op_sel:[0,0,1] op_sel_hi:[1,0,0]
	v_mov_b32_e32 v151, v145
	v_pk_mul_f32 v[144:145], v[146:147], v[136:137] op_sel:[0,1]
	s_delay_alu instid0(VALU_DEP_2) | instskip(NEXT) | instid1(VALU_DEP_2)
	v_pk_add_f32 v[46:47], v[46:47], v[150:151] neg_lo:[0,1] neg_hi:[0,1]
	v_pk_fma_f32 v[148:149], v[146:147], v[134:135], v[144:145] op_sel:[0,0,1] op_sel_hi:[1,1,0] neg_lo:[0,0,1] neg_hi:[0,0,1]
	v_pk_fma_f32 v[144:145], v[146:147], v[134:135], v[144:145] op_sel:[0,0,1] op_sel_hi:[1,0,0]
	s_delay_alu instid0(VALU_DEP_1) | instskip(SKIP_4) | instid1(VALU_DEP_1)
	v_mov_b32_e32 v149, v145
	ds_load_2addr_b64 v[144:147], v138 offset0:56 offset1:57
	v_pk_add_f32 v[8:9], v[8:9], v[148:149] neg_lo:[0,1] neg_hi:[0,1]
	s_wait_dscnt 0x0
	v_pk_mul_f32 v[148:149], v[144:145], v[136:137] op_sel:[0,1]
	v_pk_fma_f32 v[150:151], v[144:145], v[134:135], v[148:149] op_sel:[0,0,1] op_sel_hi:[1,1,0] neg_lo:[0,0,1] neg_hi:[0,0,1]
	v_pk_fma_f32 v[144:145], v[144:145], v[134:135], v[148:149] op_sel:[0,0,1] op_sel_hi:[1,0,0]
	v_dual_mul_f32 v148, v147, v137 :: v_dual_mov_b32 v144, v147
	s_delay_alu instid0(VALU_DEP_2) | instskip(NEXT) | instid1(VALU_DEP_2)
	v_dual_mov_b32 v151, v145 :: v_dual_mov_b32 v145, v146
	v_pk_fma_f32 v[148:149], v[146:147], v[124:125], v[148:149] op_sel_hi:[1,1,0] neg_lo:[0,0,1] neg_hi:[0,0,1]
	v_mul_f32_e32 v146, v147, v134
	s_delay_alu instid0(VALU_DEP_3) | instskip(NEXT) | instid1(VALU_DEP_2)
	v_pk_add_f32 v[32:33], v[32:33], v[150:151] neg_lo:[0,1] neg_hi:[0,1]
	v_pk_fma_f32 v[144:145], v[144:145], v[124:125], v[146:147] op_sel_hi:[1,1,0]
	s_delay_alu instid0(VALU_DEP_1) | instskip(SKIP_4) | instid1(VALU_DEP_1)
	v_mov_b32_e32 v149, v145
	ds_load_2addr_b64 v[144:147], v138 offset0:58 offset1:59
	v_pk_add_f32 v[28:29], v[28:29], v[148:149] neg_lo:[0,1] neg_hi:[0,1]
	s_wait_dscnt 0x0
	v_pk_mul_f32 v[148:149], v[144:145], v[136:137] op_sel:[0,1]
	v_pk_fma_f32 v[150:151], v[144:145], v[134:135], v[148:149] op_sel:[0,0,1] op_sel_hi:[1,1,0] neg_lo:[0,0,1] neg_hi:[0,0,1]
	v_pk_fma_f32 v[144:145], v[144:145], v[134:135], v[148:149] op_sel:[0,0,1] op_sel_hi:[1,0,0]
	s_delay_alu instid0(VALU_DEP_1) | instskip(SKIP_1) | instid1(VALU_DEP_1)
	v_mov_b32_e32 v151, v145
	v_pk_mul_f32 v[144:145], v[146:147], v[136:137] op_sel:[0,1]
	v_pk_fma_f32 v[148:149], v[146:147], v[134:135], v[144:145] op_sel:[0,0,1] op_sel_hi:[1,1,0] neg_lo:[0,0,1] neg_hi:[0,0,1]
	v_pk_fma_f32 v[144:145], v[146:147], v[134:135], v[144:145] op_sel:[0,0,1] op_sel_hi:[1,0,0]
	s_delay_alu instid0(VALU_DEP_1)
	v_mov_b32_e32 v149, v145
	ds_load_2addr_b64 v[144:147], v138 offset0:60 offset1:61
	v_pk_add_f32 v[30:31], v[30:31], v[150:151] neg_lo:[0,1] neg_hi:[0,1]
	v_pk_add_f32 v[6:7], v[6:7], v[148:149] neg_lo:[0,1] neg_hi:[0,1]
	s_wait_dscnt 0x0
	v_pk_mul_f32 v[148:149], v[144:145], v[136:137] op_sel:[0,1]
	s_delay_alu instid0(VALU_DEP_1) | instskip(SKIP_1) | instid1(VALU_DEP_1)
	v_pk_fma_f32 v[150:151], v[144:145], v[134:135], v[148:149] op_sel:[0,0,1] op_sel_hi:[1,1,0] neg_lo:[0,0,1] neg_hi:[0,0,1]
	v_pk_fma_f32 v[144:145], v[144:145], v[134:135], v[148:149] op_sel:[0,0,1] op_sel_hi:[1,0,0]
	v_mov_b32_e32 v151, v145
	v_pk_mul_f32 v[144:145], v[146:147], v[136:137] op_sel:[0,1]
	s_delay_alu instid0(VALU_DEP_1) | instskip(SKIP_1) | instid1(VALU_DEP_1)
	v_pk_fma_f32 v[148:149], v[146:147], v[134:135], v[144:145] op_sel:[0,0,1] op_sel_hi:[1,1,0] neg_lo:[0,0,1] neg_hi:[0,0,1]
	v_pk_fma_f32 v[144:145], v[146:147], v[134:135], v[144:145] op_sel:[0,0,1] op_sel_hi:[1,0,0]
	v_mov_b32_e32 v149, v145
	ds_load_2addr_b64 v[144:147], v138 offset0:62 offset1:63
	v_pk_add_f32 v[20:21], v[20:21], v[150:151] neg_lo:[0,1] neg_hi:[0,1]
	v_pk_add_f32 v[14:15], v[14:15], v[148:149] neg_lo:[0,1] neg_hi:[0,1]
	s_wait_dscnt 0x0
	v_mul_f32_e32 v136, v145, v137
	s_delay_alu instid0(VALU_DEP_1) | instskip(SKIP_1) | instid1(VALU_DEP_1)
	v_pk_fma_f32 v[148:149], v[144:145], v[124:125], v[136:137] op_sel_hi:[1,1,0] neg_lo:[0,0,1] neg_hi:[0,0,1]
	v_dual_mul_f32 v136, v145, v134 :: v_dual_mul_f32 v134, v147, v134
	v_pk_fma_f32 v[144:145], v[144:145], v[124:125], v[136:137] op_sel:[1,0,0] op_sel_hi:[0,1,0]
	v_dual_mov_b32 v144, v147 :: v_dual_mul_f32 v136, v147, v137
	s_delay_alu instid0(VALU_DEP_2) | instskip(NEXT) | instid1(VALU_DEP_2)
	v_dual_mov_b32 v149, v145 :: v_dual_mov_b32 v145, v146
	v_pk_fma_f32 v[136:137], v[146:147], v[124:125], v[136:137] op_sel_hi:[1,1,0] neg_lo:[0,0,1] neg_hi:[0,0,1]
	s_delay_alu instid0(VALU_DEP_2) | instskip(NEXT) | instid1(VALU_DEP_3)
	v_pk_add_f32 v[10:11], v[10:11], v[148:149] neg_lo:[0,1] neg_hi:[0,1]
	v_pk_fma_f32 v[134:135], v[144:145], v[124:125], v[134:135] op_sel_hi:[1,1,0]
	s_delay_alu instid0(VALU_DEP_1) | instskip(NEXT) | instid1(VALU_DEP_1)
	v_mov_b32_e32 v137, v135
	v_pk_add_f32 v[132:133], v[132:133], v[136:137] neg_lo:[0,1] neg_hi:[0,1]
.LBB126_83:
	s_or_b32 exec_lo, exec_lo, s0
	v_lshl_add_u32 v134, v142, 3, v138
	s_barrier_signal -1
	s_barrier_wait -1
	ds_store_b64 v134, v[122:123]
	s_wait_dscnt 0x0
	s_barrier_signal -1
	s_barrier_wait -1
	ds_load_b64 v[136:137], v138 offset:32
	v_mov_b32_e32 v134, 4
	s_cmp_lt_i32 s18, 6
	s_cbranch_scc1 .LBB126_86
; %bb.84:
	v_add3_u32 v135, v139, 0, 40
	v_mov_b32_e32 v134, 4
	s_mov_b32 s0, 5
.LBB126_85:                             ; =>This Inner Loop Header: Depth=1
	ds_load_b64 v[144:145], v135
	s_wait_dscnt 0x1
	v_cmp_gt_f32_e32 vcc_lo, 0, v136
	v_cndmask_b32_e64 v146, v136, -v136, vcc_lo
	v_cmp_gt_f32_e32 vcc_lo, 0, v137
	v_cndmask_b32_e64 v148, v137, -v137, vcc_lo
	s_wait_dscnt 0x0
	v_cmp_gt_f32_e32 vcc_lo, 0, v144
	v_cndmask_b32_e64 v147, v144, -v144, vcc_lo
	v_cmp_gt_f32_e32 vcc_lo, 0, v145
	v_cndmask_b32_e64 v149, v145, -v145, vcc_lo
	s_delay_alu instid0(VALU_DEP_1) | instskip(NEXT) | instid1(VALU_DEP_1)
	v_pk_add_f32 v[146:147], v[146:147], v[148:149]
	v_cmp_lt_f32_e32 vcc_lo, v146, v147
	v_dual_add_nc_u32 v135, 8, v135 :: v_dual_cndmask_b32 v137, v137, v145, vcc_lo
	v_cndmask_b32_e32 v136, v136, v144, vcc_lo
	v_cndmask_b32_e64 v134, v134, s0, vcc_lo
	s_add_co_i32 s0, s0, 1
	s_delay_alu instid0(SALU_CYCLE_1)
	s_cmp_lg_u32 s18, s0
	s_cbranch_scc1 .LBB126_85
.LBB126_86:
	s_wait_dscnt 0x0
	v_cmp_eq_f32_e32 vcc_lo, 0, v136
	v_cmp_eq_f32_e64 s0, 0, v137
	s_and_b32 s0, vcc_lo, s0
	s_delay_alu instid0(SALU_CYCLE_1) | instskip(NEXT) | instid1(SALU_CYCLE_1)
	s_and_saveexec_b32 s1, s0
	s_xor_b32 s0, exec_lo, s1
; %bb.87:
	v_cmp_ne_u32_e32 vcc_lo, 0, v140
	v_cndmask_b32_e32 v140, 5, v140, vcc_lo
; %bb.88:
	s_and_not1_saveexec_b32 s0, s0
	s_cbranch_execz .LBB126_94
; %bb.89:
	v_cmp_ngt_f32_e64 s1, |v136|, |v137|
	s_and_saveexec_b32 s12, s1
	s_delay_alu instid0(SALU_CYCLE_1)
	s_xor_b32 s1, exec_lo, s12
	s_cbranch_execz .LBB126_91
; %bb.90:
	v_div_scale_f32 v135, null, v137, v137, v136
	v_div_scale_f32 v145, vcc_lo, v136, v137, v136
	s_delay_alu instid0(VALU_DEP_2) | instskip(SKIP_1) | instid1(TRANS32_DEP_1)
	v_rcp_f32_e32 v143, v135
	v_nop
	v_fma_f32 v144, -v135, v143, 1.0
	s_delay_alu instid0(VALU_DEP_1) | instskip(NEXT) | instid1(VALU_DEP_1)
	v_fmac_f32_e32 v143, v144, v143
	v_mul_f32_e32 v144, v145, v143
	s_delay_alu instid0(VALU_DEP_1) | instskip(NEXT) | instid1(VALU_DEP_1)
	v_fma_f32 v146, -v135, v144, v145
	v_fmac_f32_e32 v144, v146, v143
	s_delay_alu instid0(VALU_DEP_1) | instskip(NEXT) | instid1(VALU_DEP_1)
	v_fma_f32 v135, -v135, v144, v145
	v_div_fmas_f32 v135, v135, v143, v144
	s_delay_alu instid0(VALU_DEP_1) | instskip(NEXT) | instid1(VALU_DEP_1)
	v_div_fixup_f32 v135, v135, v137, v136
	v_fmac_f32_e32 v137, v136, v135
	s_delay_alu instid0(VALU_DEP_1) | instskip(SKIP_1) | instid1(VALU_DEP_2)
	v_div_scale_f32 v136, null, v137, v137, 1.0
	v_div_scale_f32 v145, vcc_lo, 1.0, v137, 1.0
	v_rcp_f32_e32 v143, v136
	v_nop
	s_delay_alu instid0(TRANS32_DEP_1) | instskip(NEXT) | instid1(VALU_DEP_1)
	v_fma_f32 v144, -v136, v143, 1.0
	v_fmac_f32_e32 v143, v144, v143
	s_delay_alu instid0(VALU_DEP_1) | instskip(NEXT) | instid1(VALU_DEP_1)
	v_mul_f32_e32 v144, v145, v143
	v_fma_f32 v146, -v136, v144, v145
	s_delay_alu instid0(VALU_DEP_1) | instskip(NEXT) | instid1(VALU_DEP_1)
	v_fmac_f32_e32 v144, v146, v143
	v_fma_f32 v136, -v136, v144, v145
	s_delay_alu instid0(VALU_DEP_1) | instskip(NEXT) | instid1(VALU_DEP_1)
	v_div_fmas_f32 v136, v136, v143, v144
	v_div_fixup_f32 v137, v136, v137, 1.0
	s_delay_alu instid0(VALU_DEP_1)
	v_mul_f32_e32 v136, v135, v137
	v_xor_b32_e32 v137, 0x80000000, v137
.LBB126_91:
	s_and_not1_saveexec_b32 s1, s1
	s_cbranch_execz .LBB126_93
; %bb.92:
	s_delay_alu instid0(VALU_DEP_1) | instskip(SKIP_1) | instid1(VALU_DEP_2)
	v_div_scale_f32 v135, null, v136, v136, v137
	v_div_scale_f32 v145, vcc_lo, v137, v136, v137
	v_rcp_f32_e32 v143, v135
	v_nop
	s_delay_alu instid0(TRANS32_DEP_1) | instskip(NEXT) | instid1(VALU_DEP_1)
	v_fma_f32 v144, -v135, v143, 1.0
	v_fmac_f32_e32 v143, v144, v143
	s_delay_alu instid0(VALU_DEP_1) | instskip(NEXT) | instid1(VALU_DEP_1)
	v_mul_f32_e32 v144, v145, v143
	v_fma_f32 v146, -v135, v144, v145
	s_delay_alu instid0(VALU_DEP_1) | instskip(NEXT) | instid1(VALU_DEP_1)
	v_fmac_f32_e32 v144, v146, v143
	v_fma_f32 v135, -v135, v144, v145
	s_delay_alu instid0(VALU_DEP_1) | instskip(NEXT) | instid1(VALU_DEP_1)
	v_div_fmas_f32 v135, v135, v143, v144
	v_div_fixup_f32 v135, v135, v136, v137
	s_delay_alu instid0(VALU_DEP_1) | instskip(NEXT) | instid1(VALU_DEP_1)
	v_fmac_f32_e32 v136, v137, v135
	v_div_scale_f32 v137, null, v136, v136, 1.0
	s_delay_alu instid0(VALU_DEP_1) | instskip(SKIP_1) | instid1(TRANS32_DEP_1)
	v_rcp_f32_e32 v143, v137
	v_nop
	v_fma_f32 v144, -v137, v143, 1.0
	s_delay_alu instid0(VALU_DEP_1) | instskip(SKIP_1) | instid1(VALU_DEP_1)
	v_fmac_f32_e32 v143, v144, v143
	v_div_scale_f32 v144, vcc_lo, 1.0, v136, 1.0
	v_mul_f32_e32 v145, v144, v143
	s_delay_alu instid0(VALU_DEP_1) | instskip(NEXT) | instid1(VALU_DEP_1)
	v_fma_f32 v146, -v137, v145, v144
	v_fmac_f32_e32 v145, v146, v143
	s_delay_alu instid0(VALU_DEP_1) | instskip(NEXT) | instid1(VALU_DEP_1)
	v_fma_f32 v137, -v137, v145, v144
	v_div_fmas_f32 v137, v137, v143, v145
	s_delay_alu instid0(VALU_DEP_1) | instskip(NEXT) | instid1(VALU_DEP_1)
	v_div_fixup_f32 v136, v137, v136, 1.0
	v_mul_f32_e64 v137, v135, -v136
.LBB126_93:
	s_or_b32 exec_lo, exec_lo, s1
.LBB126_94:
	s_delay_alu instid0(SALU_CYCLE_1) | instskip(NEXT) | instid1(SALU_CYCLE_1)
	s_or_b32 exec_lo, exec_lo, s0
	s_mov_b32 s0, exec_lo
	v_cmpx_ne_u32_e64 v142, v134
	s_xor_b32 s0, exec_lo, s0
	s_cbranch_execz .LBB126_100
; %bb.95:
	s_mov_b32 s1, exec_lo
	v_cmpx_eq_u32_e32 4, v142
	s_cbranch_execz .LBB126_99
; %bb.96:
	v_cmp_ne_u32_e32 vcc_lo, 4, v134
	s_xor_b32 s12, s16, -1
	s_delay_alu instid0(SALU_CYCLE_1) | instskip(NEXT) | instid1(SALU_CYCLE_1)
	s_and_b32 s13, s12, vcc_lo
	s_and_saveexec_b32 s12, s13
	s_cbranch_execz .LBB126_98
; %bb.97:
	v_ashrrev_i32_e32 v135, 31, v134
	s_delay_alu instid0(VALU_DEP_1)
	v_lshl_add_u64 v[142:143], v[134:135], 2, v[4:5]
	s_clause 0x1
	global_load_b32 v135, v[142:143], off
	global_load_b32 v141, v[4:5], off offset:16
	s_wait_loadcnt 0x1
	global_store_b32 v[4:5], v135, off offset:16
	s_wait_loadcnt 0x0
	global_store_b32 v[142:143], v141, off
.LBB126_98:
	s_wait_xcnt 0x0
	s_or_b32 exec_lo, exec_lo, s12
	v_dual_mov_b32 v142, v134 :: v_dual_mov_b32 v141, v134
.LBB126_99:
	s_or_b32 exec_lo, exec_lo, s1
.LBB126_100:
	s_and_not1_saveexec_b32 s0, s0
	s_cbranch_execz .LBB126_102
; %bb.101:
	v_mov_b32_e32 v142, 4
	ds_store_2addr_b64 v138, v[120:121], v[112:113] offset0:5 offset1:6
	ds_store_2addr_b64 v138, v[44:45], v[118:119] offset0:7 offset1:8
	;; [unrolled: 1-line block ×29, first 2 shown]
	ds_store_b64 v138, v[132:133] offset:504
.LBB126_102:
	s_or_b32 exec_lo, exec_lo, s0
	s_delay_alu instid0(SALU_CYCLE_1)
	s_mov_b32 s0, exec_lo
	s_wait_storecnt_dscnt 0x0
	s_barrier_signal -1
	s_barrier_wait -1
	v_cmpx_lt_i32_e32 4, v142
	s_cbranch_execz .LBB126_104
; %bb.103:
	v_pk_mul_f32 v[144:145], v[136:137], v[122:123] op_sel:[1,1] op_sel_hi:[0,1]
	s_delay_alu instid0(VALU_DEP_1)
	v_pk_fma_f32 v[134:135], v[136:137], v[122:123], v[144:145] op_sel_hi:[1,0,1] neg_lo:[0,0,1] neg_hi:[0,0,1]
	v_pk_fma_f32 v[136:137], v[136:137], v[122:123], v[144:145] op_sel_hi:[1,0,1]
	ds_load_2addr_b64 v[144:147], v138 offset0:5 offset1:6
	v_dual_mov_b32 v122, v134 :: v_dual_mov_b32 v123, v137
	s_wait_dscnt 0x0
	v_pk_mul_f32 v[148:149], v[144:145], v[136:137] op_sel:[0,1]
	s_delay_alu instid0(VALU_DEP_1) | instskip(SKIP_1) | instid1(VALU_DEP_1)
	v_pk_fma_f32 v[150:151], v[144:145], v[134:135], v[148:149] op_sel:[0,0,1] op_sel_hi:[1,1,0] neg_lo:[0,0,1] neg_hi:[0,0,1]
	v_pk_fma_f32 v[144:145], v[144:145], v[134:135], v[148:149] op_sel:[0,0,1] op_sel_hi:[1,0,0]
	v_mov_b32_e32 v151, v145
	v_pk_mul_f32 v[144:145], v[146:147], v[136:137] op_sel:[0,1]
	s_delay_alu instid0(VALU_DEP_1) | instskip(SKIP_1) | instid1(VALU_DEP_1)
	v_pk_fma_f32 v[148:149], v[146:147], v[134:135], v[144:145] op_sel:[0,0,1] op_sel_hi:[1,1,0] neg_lo:[0,0,1] neg_hi:[0,0,1]
	v_pk_fma_f32 v[144:145], v[146:147], v[134:135], v[144:145] op_sel:[0,0,1] op_sel_hi:[1,0,0]
	v_mov_b32_e32 v149, v145
	ds_load_2addr_b64 v[144:147], v138 offset0:7 offset1:8
	v_pk_add_f32 v[120:121], v[120:121], v[150:151] neg_lo:[0,1] neg_hi:[0,1]
	v_pk_add_f32 v[112:113], v[112:113], v[148:149] neg_lo:[0,1] neg_hi:[0,1]
	s_wait_dscnt 0x0
	v_pk_mul_f32 v[148:149], v[144:145], v[136:137] op_sel:[0,1]
	s_delay_alu instid0(VALU_DEP_1) | instskip(SKIP_2) | instid1(VALU_DEP_2)
	v_pk_fma_f32 v[150:151], v[144:145], v[134:135], v[148:149] op_sel:[0,0,1] op_sel_hi:[1,1,0] neg_lo:[0,0,1] neg_hi:[0,0,1]
	v_pk_fma_f32 v[144:145], v[144:145], v[134:135], v[148:149] op_sel:[0,0,1] op_sel_hi:[1,0,0]
	v_dual_mul_f32 v148, v147, v137 :: v_dual_mov_b32 v144, v147
	v_dual_mov_b32 v151, v145 :: v_dual_mov_b32 v145, v146
	s_delay_alu instid0(VALU_DEP_2) | instskip(SKIP_1) | instid1(VALU_DEP_3)
	v_pk_fma_f32 v[148:149], v[146:147], v[122:123], v[148:149] op_sel_hi:[1,1,0] neg_lo:[0,0,1] neg_hi:[0,0,1]
	v_mul_f32_e32 v146, v147, v134
	v_pk_add_f32 v[44:45], v[44:45], v[150:151] neg_lo:[0,1] neg_hi:[0,1]
	s_delay_alu instid0(VALU_DEP_2) | instskip(NEXT) | instid1(VALU_DEP_1)
	v_pk_fma_f32 v[144:145], v[144:145], v[122:123], v[146:147] op_sel_hi:[1,1,0]
	v_mov_b32_e32 v149, v145
	ds_load_2addr_b64 v[144:147], v138 offset0:9 offset1:10
	v_pk_add_f32 v[118:119], v[118:119], v[148:149] neg_lo:[0,1] neg_hi:[0,1]
	s_wait_dscnt 0x0
	v_pk_mul_f32 v[148:149], v[144:145], v[136:137] op_sel:[0,1]
	s_delay_alu instid0(VALU_DEP_1) | instskip(SKIP_1) | instid1(VALU_DEP_1)
	v_pk_fma_f32 v[150:151], v[144:145], v[134:135], v[148:149] op_sel:[0,0,1] op_sel_hi:[1,1,0] neg_lo:[0,0,1] neg_hi:[0,0,1]
	v_pk_fma_f32 v[144:145], v[144:145], v[134:135], v[148:149] op_sel:[0,0,1] op_sel_hi:[1,0,0]
	v_mov_b32_e32 v151, v145
	v_pk_mul_f32 v[144:145], v[146:147], v[136:137] op_sel:[0,1]
	s_delay_alu instid0(VALU_DEP_1) | instskip(SKIP_1) | instid1(VALU_DEP_1)
	v_pk_fma_f32 v[148:149], v[146:147], v[134:135], v[144:145] op_sel:[0,0,1] op_sel_hi:[1,1,0] neg_lo:[0,0,1] neg_hi:[0,0,1]
	v_pk_fma_f32 v[144:145], v[146:147], v[134:135], v[144:145] op_sel:[0,0,1] op_sel_hi:[1,0,0]
	v_mov_b32_e32 v149, v145
	ds_load_2addr_b64 v[144:147], v138 offset0:11 offset1:12
	v_pk_add_f32 v[114:115], v[114:115], v[150:151] neg_lo:[0,1] neg_hi:[0,1]
	v_pk_add_f32 v[116:117], v[116:117], v[148:149] neg_lo:[0,1] neg_hi:[0,1]
	s_wait_dscnt 0x0
	v_pk_mul_f32 v[148:149], v[144:145], v[136:137] op_sel:[0,1]
	s_delay_alu instid0(VALU_DEP_1) | instskip(SKIP_1) | instid1(VALU_DEP_1)
	v_pk_fma_f32 v[150:151], v[144:145], v[134:135], v[148:149] op_sel:[0,0,1] op_sel_hi:[1,1,0] neg_lo:[0,0,1] neg_hi:[0,0,1]
	v_pk_fma_f32 v[144:145], v[144:145], v[134:135], v[148:149] op_sel:[0,0,1] op_sel_hi:[1,0,0]
	v_mov_b32_e32 v151, v145
	v_pk_mul_f32 v[144:145], v[146:147], v[136:137] op_sel:[0,1]
	s_delay_alu instid0(VALU_DEP_1) | instskip(SKIP_1) | instid1(VALU_DEP_1)
	v_pk_fma_f32 v[148:149], v[146:147], v[134:135], v[144:145] op_sel:[0,0,1] op_sel_hi:[1,1,0] neg_lo:[0,0,1] neg_hi:[0,0,1]
	v_pk_fma_f32 v[144:145], v[146:147], v[134:135], v[144:145] op_sel:[0,0,1] op_sel_hi:[1,0,0]
	v_mov_b32_e32 v149, v145
	ds_load_2addr_b64 v[144:147], v138 offset0:13 offset1:14
	v_pk_add_f32 v[50:51], v[50:51], v[150:151] neg_lo:[0,1] neg_hi:[0,1]
	v_pk_add_f32 v[110:111], v[110:111], v[148:149] neg_lo:[0,1] neg_hi:[0,1]
	s_wait_dscnt 0x0
	v_dual_mul_f32 v148, v145, v137 :: v_dual_mul_f32 v150, v145, v134
	s_delay_alu instid0(VALU_DEP_1) | instskip(NEXT) | instid1(VALU_DEP_2)
	v_pk_fma_f32 v[148:149], v[144:145], v[122:123], v[148:149] op_sel_hi:[1,1,0] neg_lo:[0,0,1] neg_hi:[0,0,1]
	v_pk_fma_f32 v[144:145], v[144:145], v[122:123], v[150:151] op_sel:[1,0,0] op_sel_hi:[0,1,0]
	s_delay_alu instid0(VALU_DEP_1) | instskip(SKIP_1) | instid1(VALU_DEP_2)
	v_mov_b32_e32 v149, v145
	v_pk_mul_f32 v[144:145], v[146:147], v[136:137] op_sel:[0,1]
	v_pk_add_f32 v[106:107], v[106:107], v[148:149] neg_lo:[0,1] neg_hi:[0,1]
	s_delay_alu instid0(VALU_DEP_2) | instskip(SKIP_1) | instid1(VALU_DEP_1)
	v_pk_fma_f32 v[148:149], v[146:147], v[134:135], v[144:145] op_sel:[0,0,1] op_sel_hi:[1,1,0] neg_lo:[0,0,1] neg_hi:[0,0,1]
	v_pk_fma_f32 v[144:145], v[146:147], v[134:135], v[144:145] op_sel:[0,0,1] op_sel_hi:[1,0,0]
	v_mov_b32_e32 v149, v145
	ds_load_2addr_b64 v[144:147], v138 offset0:15 offset1:16
	v_pk_add_f32 v[108:109], v[108:109], v[148:149] neg_lo:[0,1] neg_hi:[0,1]
	s_wait_dscnt 0x0
	v_pk_mul_f32 v[148:149], v[144:145], v[136:137] op_sel:[0,1]
	s_delay_alu instid0(VALU_DEP_1) | instskip(SKIP_1) | instid1(VALU_DEP_1)
	v_pk_fma_f32 v[150:151], v[144:145], v[134:135], v[148:149] op_sel:[0,0,1] op_sel_hi:[1,1,0] neg_lo:[0,0,1] neg_hi:[0,0,1]
	v_pk_fma_f32 v[144:145], v[144:145], v[134:135], v[148:149] op_sel:[0,0,1] op_sel_hi:[1,0,0]
	v_mov_b32_e32 v151, v145
	v_pk_mul_f32 v[144:145], v[146:147], v[136:137] op_sel:[0,1]
	s_delay_alu instid0(VALU_DEP_2) | instskip(NEXT) | instid1(VALU_DEP_2)
	v_pk_add_f32 v[40:41], v[40:41], v[150:151] neg_lo:[0,1] neg_hi:[0,1]
	v_pk_fma_f32 v[148:149], v[146:147], v[134:135], v[144:145] op_sel:[0,0,1] op_sel_hi:[1,1,0] neg_lo:[0,0,1] neg_hi:[0,0,1]
	v_pk_fma_f32 v[144:145], v[146:147], v[134:135], v[144:145] op_sel:[0,0,1] op_sel_hi:[1,0,0]
	s_delay_alu instid0(VALU_DEP_1) | instskip(SKIP_4) | instid1(VALU_DEP_1)
	v_mov_b32_e32 v149, v145
	ds_load_2addr_b64 v[144:147], v138 offset0:17 offset1:18
	v_pk_add_f32 v[104:105], v[104:105], v[148:149] neg_lo:[0,1] neg_hi:[0,1]
	s_wait_dscnt 0x0
	v_pk_mul_f32 v[148:149], v[144:145], v[136:137] op_sel:[0,1]
	v_pk_fma_f32 v[150:151], v[144:145], v[134:135], v[148:149] op_sel:[0,0,1] op_sel_hi:[1,1,0] neg_lo:[0,0,1] neg_hi:[0,0,1]
	v_pk_fma_f32 v[144:145], v[144:145], v[134:135], v[148:149] op_sel:[0,0,1] op_sel_hi:[1,0,0]
	v_dual_mul_f32 v148, v147, v137 :: v_dual_mov_b32 v144, v147
	s_delay_alu instid0(VALU_DEP_2) | instskip(NEXT) | instid1(VALU_DEP_2)
	v_dual_mov_b32 v151, v145 :: v_dual_mov_b32 v145, v146
	v_pk_fma_f32 v[148:149], v[146:147], v[122:123], v[148:149] op_sel_hi:[1,1,0] neg_lo:[0,0,1] neg_hi:[0,0,1]
	v_mul_f32_e32 v146, v147, v134
	s_delay_alu instid0(VALU_DEP_3) | instskip(NEXT) | instid1(VALU_DEP_2)
	v_pk_add_f32 v[100:101], v[100:101], v[150:151] neg_lo:[0,1] neg_hi:[0,1]
	v_pk_fma_f32 v[144:145], v[144:145], v[122:123], v[146:147] op_sel_hi:[1,1,0]
	s_delay_alu instid0(VALU_DEP_1) | instskip(SKIP_4) | instid1(VALU_DEP_1)
	v_mov_b32_e32 v149, v145
	ds_load_2addr_b64 v[144:147], v138 offset0:19 offset1:20
	v_pk_add_f32 v[102:103], v[102:103], v[148:149] neg_lo:[0,1] neg_hi:[0,1]
	s_wait_dscnt 0x0
	v_pk_mul_f32 v[148:149], v[144:145], v[136:137] op_sel:[0,1]
	v_pk_fma_f32 v[150:151], v[144:145], v[134:135], v[148:149] op_sel:[0,0,1] op_sel_hi:[1,1,0] neg_lo:[0,0,1] neg_hi:[0,0,1]
	v_pk_fma_f32 v[144:145], v[144:145], v[134:135], v[148:149] op_sel:[0,0,1] op_sel_hi:[1,0,0]
	s_delay_alu instid0(VALU_DEP_1) | instskip(SKIP_1) | instid1(VALU_DEP_1)
	v_mov_b32_e32 v151, v145
	v_pk_mul_f32 v[144:145], v[146:147], v[136:137] op_sel:[0,1]
	v_pk_fma_f32 v[148:149], v[146:147], v[134:135], v[144:145] op_sel:[0,0,1] op_sel_hi:[1,1,0] neg_lo:[0,0,1] neg_hi:[0,0,1]
	v_pk_fma_f32 v[144:145], v[146:147], v[134:135], v[144:145] op_sel:[0,0,1] op_sel_hi:[1,0,0]
	s_delay_alu instid0(VALU_DEP_1)
	v_mov_b32_e32 v149, v145
	ds_load_2addr_b64 v[144:147], v138 offset0:21 offset1:22
	v_pk_add_f32 v[38:39], v[38:39], v[150:151] neg_lo:[0,1] neg_hi:[0,1]
	v_pk_add_f32 v[98:99], v[98:99], v[148:149] neg_lo:[0,1] neg_hi:[0,1]
	s_wait_dscnt 0x0
	v_pk_mul_f32 v[148:149], v[144:145], v[136:137] op_sel:[0,1]
	s_delay_alu instid0(VALU_DEP_1) | instskip(SKIP_1) | instid1(VALU_DEP_1)
	v_pk_fma_f32 v[150:151], v[144:145], v[134:135], v[148:149] op_sel:[0,0,1] op_sel_hi:[1,1,0] neg_lo:[0,0,1] neg_hi:[0,0,1]
	v_pk_fma_f32 v[144:145], v[144:145], v[134:135], v[148:149] op_sel:[0,0,1] op_sel_hi:[1,0,0]
	v_mov_b32_e32 v151, v145
	v_pk_mul_f32 v[144:145], v[146:147], v[136:137] op_sel:[0,1]
	s_delay_alu instid0(VALU_DEP_1) | instskip(SKIP_1) | instid1(VALU_DEP_1)
	v_pk_fma_f32 v[148:149], v[146:147], v[134:135], v[144:145] op_sel:[0,0,1] op_sel_hi:[1,1,0] neg_lo:[0,0,1] neg_hi:[0,0,1]
	v_pk_fma_f32 v[144:145], v[146:147], v[134:135], v[144:145] op_sel:[0,0,1] op_sel_hi:[1,0,0]
	v_mov_b32_e32 v149, v145
	ds_load_2addr_b64 v[144:147], v138 offset0:23 offset1:24
	v_pk_add_f32 v[94:95], v[94:95], v[150:151] neg_lo:[0,1] neg_hi:[0,1]
	v_pk_add_f32 v[96:97], v[96:97], v[148:149] neg_lo:[0,1] neg_hi:[0,1]
	s_wait_dscnt 0x0
	v_dual_mul_f32 v148, v145, v137 :: v_dual_mul_f32 v150, v145, v134
	s_delay_alu instid0(VALU_DEP_1) | instskip(NEXT) | instid1(VALU_DEP_2)
	v_pk_fma_f32 v[148:149], v[144:145], v[122:123], v[148:149] op_sel_hi:[1,1,0] neg_lo:[0,0,1] neg_hi:[0,0,1]
	v_pk_fma_f32 v[144:145], v[144:145], v[122:123], v[150:151] op_sel:[1,0,0] op_sel_hi:[0,1,0]
	s_delay_alu instid0(VALU_DEP_1) | instskip(SKIP_1) | instid1(VALU_DEP_2)
	v_mov_b32_e32 v149, v145
	v_pk_mul_f32 v[144:145], v[146:147], v[136:137] op_sel:[0,1]
	v_pk_add_f32 v[36:37], v[36:37], v[148:149] neg_lo:[0,1] neg_hi:[0,1]
	s_delay_alu instid0(VALU_DEP_2) | instskip(SKIP_1) | instid1(VALU_DEP_1)
	v_pk_fma_f32 v[148:149], v[146:147], v[134:135], v[144:145] op_sel:[0,0,1] op_sel_hi:[1,1,0] neg_lo:[0,0,1] neg_hi:[0,0,1]
	v_pk_fma_f32 v[144:145], v[146:147], v[134:135], v[144:145] op_sel:[0,0,1] op_sel_hi:[1,0,0]
	v_mov_b32_e32 v149, v145
	ds_load_2addr_b64 v[144:147], v138 offset0:25 offset1:26
	v_pk_add_f32 v[92:93], v[92:93], v[148:149] neg_lo:[0,1] neg_hi:[0,1]
	s_wait_dscnt 0x0
	v_pk_mul_f32 v[148:149], v[144:145], v[136:137] op_sel:[0,1]
	s_delay_alu instid0(VALU_DEP_1) | instskip(SKIP_1) | instid1(VALU_DEP_1)
	v_pk_fma_f32 v[150:151], v[144:145], v[134:135], v[148:149] op_sel:[0,0,1] op_sel_hi:[1,1,0] neg_lo:[0,0,1] neg_hi:[0,0,1]
	v_pk_fma_f32 v[144:145], v[144:145], v[134:135], v[148:149] op_sel:[0,0,1] op_sel_hi:[1,0,0]
	v_mov_b32_e32 v151, v145
	v_pk_mul_f32 v[144:145], v[146:147], v[136:137] op_sel:[0,1]
	s_delay_alu instid0(VALU_DEP_2) | instskip(NEXT) | instid1(VALU_DEP_2)
	v_pk_add_f32 v[88:89], v[88:89], v[150:151] neg_lo:[0,1] neg_hi:[0,1]
	v_pk_fma_f32 v[148:149], v[146:147], v[134:135], v[144:145] op_sel:[0,0,1] op_sel_hi:[1,1,0] neg_lo:[0,0,1] neg_hi:[0,0,1]
	v_pk_fma_f32 v[144:145], v[146:147], v[134:135], v[144:145] op_sel:[0,0,1] op_sel_hi:[1,0,0]
	s_delay_alu instid0(VALU_DEP_1) | instskip(SKIP_4) | instid1(VALU_DEP_1)
	v_mov_b32_e32 v149, v145
	ds_load_2addr_b64 v[144:147], v138 offset0:27 offset1:28
	v_pk_add_f32 v[90:91], v[90:91], v[148:149] neg_lo:[0,1] neg_hi:[0,1]
	s_wait_dscnt 0x0
	v_pk_mul_f32 v[148:149], v[144:145], v[136:137] op_sel:[0,1]
	v_pk_fma_f32 v[150:151], v[144:145], v[134:135], v[148:149] op_sel:[0,0,1] op_sel_hi:[1,1,0] neg_lo:[0,0,1] neg_hi:[0,0,1]
	v_pk_fma_f32 v[144:145], v[144:145], v[134:135], v[148:149] op_sel:[0,0,1] op_sel_hi:[1,0,0]
	v_dual_mul_f32 v148, v147, v137 :: v_dual_mov_b32 v144, v147
	s_delay_alu instid0(VALU_DEP_2) | instskip(NEXT) | instid1(VALU_DEP_2)
	v_dual_mov_b32 v151, v145 :: v_dual_mov_b32 v145, v146
	v_pk_fma_f32 v[148:149], v[146:147], v[122:123], v[148:149] op_sel_hi:[1,1,0] neg_lo:[0,0,1] neg_hi:[0,0,1]
	v_mul_f32_e32 v146, v147, v134
	s_delay_alu instid0(VALU_DEP_3) | instskip(NEXT) | instid1(VALU_DEP_2)
	v_pk_add_f32 v[34:35], v[34:35], v[150:151] neg_lo:[0,1] neg_hi:[0,1]
	v_pk_fma_f32 v[144:145], v[144:145], v[122:123], v[146:147] op_sel_hi:[1,1,0]
	s_delay_alu instid0(VALU_DEP_1) | instskip(SKIP_4) | instid1(VALU_DEP_1)
	v_mov_b32_e32 v149, v145
	ds_load_2addr_b64 v[144:147], v138 offset0:29 offset1:30
	v_pk_add_f32 v[86:87], v[86:87], v[148:149] neg_lo:[0,1] neg_hi:[0,1]
	s_wait_dscnt 0x0
	v_pk_mul_f32 v[148:149], v[144:145], v[136:137] op_sel:[0,1]
	v_pk_fma_f32 v[150:151], v[144:145], v[134:135], v[148:149] op_sel:[0,0,1] op_sel_hi:[1,1,0] neg_lo:[0,0,1] neg_hi:[0,0,1]
	v_pk_fma_f32 v[144:145], v[144:145], v[134:135], v[148:149] op_sel:[0,0,1] op_sel_hi:[1,0,0]
	s_delay_alu instid0(VALU_DEP_1) | instskip(SKIP_1) | instid1(VALU_DEP_1)
	v_mov_b32_e32 v151, v145
	v_pk_mul_f32 v[144:145], v[146:147], v[136:137] op_sel:[0,1]
	v_pk_fma_f32 v[148:149], v[146:147], v[134:135], v[144:145] op_sel:[0,0,1] op_sel_hi:[1,1,0] neg_lo:[0,0,1] neg_hi:[0,0,1]
	v_pk_fma_f32 v[144:145], v[146:147], v[134:135], v[144:145] op_sel:[0,0,1] op_sel_hi:[1,0,0]
	s_delay_alu instid0(VALU_DEP_1)
	v_mov_b32_e32 v149, v145
	ds_load_2addr_b64 v[144:147], v138 offset0:31 offset1:32
	v_pk_add_f32 v[82:83], v[82:83], v[150:151] neg_lo:[0,1] neg_hi:[0,1]
	v_pk_add_f32 v[84:85], v[84:85], v[148:149] neg_lo:[0,1] neg_hi:[0,1]
	s_wait_dscnt 0x0
	v_pk_mul_f32 v[148:149], v[144:145], v[136:137] op_sel:[0,1]
	s_delay_alu instid0(VALU_DEP_1) | instskip(SKIP_1) | instid1(VALU_DEP_1)
	v_pk_fma_f32 v[150:151], v[144:145], v[134:135], v[148:149] op_sel:[0,0,1] op_sel_hi:[1,1,0] neg_lo:[0,0,1] neg_hi:[0,0,1]
	v_pk_fma_f32 v[144:145], v[144:145], v[134:135], v[148:149] op_sel:[0,0,1] op_sel_hi:[1,0,0]
	v_mov_b32_e32 v151, v145
	v_pk_mul_f32 v[144:145], v[146:147], v[136:137] op_sel:[0,1]
	s_delay_alu instid0(VALU_DEP_1) | instskip(SKIP_1) | instid1(VALU_DEP_1)
	v_pk_fma_f32 v[148:149], v[146:147], v[134:135], v[144:145] op_sel:[0,0,1] op_sel_hi:[1,1,0] neg_lo:[0,0,1] neg_hi:[0,0,1]
	v_pk_fma_f32 v[144:145], v[146:147], v[134:135], v[144:145] op_sel:[0,0,1] op_sel_hi:[1,0,0]
	v_mov_b32_e32 v149, v145
	ds_load_2addr_b64 v[144:147], v138 offset0:33 offset1:34
	v_pk_add_f32 v[26:27], v[26:27], v[150:151] neg_lo:[0,1] neg_hi:[0,1]
	v_pk_add_f32 v[80:81], v[80:81], v[148:149] neg_lo:[0,1] neg_hi:[0,1]
	s_wait_dscnt 0x0
	v_dual_mul_f32 v148, v145, v137 :: v_dual_mul_f32 v150, v145, v134
	s_delay_alu instid0(VALU_DEP_1) | instskip(NEXT) | instid1(VALU_DEP_2)
	v_pk_fma_f32 v[148:149], v[144:145], v[122:123], v[148:149] op_sel_hi:[1,1,0] neg_lo:[0,0,1] neg_hi:[0,0,1]
	v_pk_fma_f32 v[144:145], v[144:145], v[122:123], v[150:151] op_sel:[1,0,0] op_sel_hi:[0,1,0]
	s_delay_alu instid0(VALU_DEP_1) | instskip(SKIP_1) | instid1(VALU_DEP_2)
	v_mov_b32_e32 v149, v145
	v_pk_mul_f32 v[144:145], v[146:147], v[136:137] op_sel:[0,1]
	v_pk_add_f32 v[76:77], v[76:77], v[148:149] neg_lo:[0,1] neg_hi:[0,1]
	s_delay_alu instid0(VALU_DEP_2) | instskip(SKIP_1) | instid1(VALU_DEP_1)
	v_pk_fma_f32 v[148:149], v[146:147], v[134:135], v[144:145] op_sel:[0,0,1] op_sel_hi:[1,1,0] neg_lo:[0,0,1] neg_hi:[0,0,1]
	v_pk_fma_f32 v[144:145], v[146:147], v[134:135], v[144:145] op_sel:[0,0,1] op_sel_hi:[1,0,0]
	v_mov_b32_e32 v149, v145
	ds_load_2addr_b64 v[144:147], v138 offset0:35 offset1:36
	v_pk_add_f32 v[78:79], v[78:79], v[148:149] neg_lo:[0,1] neg_hi:[0,1]
	s_wait_dscnt 0x0
	v_pk_mul_f32 v[148:149], v[144:145], v[136:137] op_sel:[0,1]
	s_delay_alu instid0(VALU_DEP_1) | instskip(SKIP_1) | instid1(VALU_DEP_1)
	v_pk_fma_f32 v[150:151], v[144:145], v[134:135], v[148:149] op_sel:[0,0,1] op_sel_hi:[1,1,0] neg_lo:[0,0,1] neg_hi:[0,0,1]
	v_pk_fma_f32 v[144:145], v[144:145], v[134:135], v[148:149] op_sel:[0,0,1] op_sel_hi:[1,0,0]
	v_mov_b32_e32 v151, v145
	v_pk_mul_f32 v[144:145], v[146:147], v[136:137] op_sel:[0,1]
	s_delay_alu instid0(VALU_DEP_2) | instskip(NEXT) | instid1(VALU_DEP_2)
	v_pk_add_f32 v[24:25], v[24:25], v[150:151] neg_lo:[0,1] neg_hi:[0,1]
	v_pk_fma_f32 v[148:149], v[146:147], v[134:135], v[144:145] op_sel:[0,0,1] op_sel_hi:[1,1,0] neg_lo:[0,0,1] neg_hi:[0,0,1]
	v_pk_fma_f32 v[144:145], v[146:147], v[134:135], v[144:145] op_sel:[0,0,1] op_sel_hi:[1,0,0]
	s_delay_alu instid0(VALU_DEP_1) | instskip(SKIP_4) | instid1(VALU_DEP_1)
	v_mov_b32_e32 v149, v145
	ds_load_2addr_b64 v[144:147], v138 offset0:37 offset1:38
	v_pk_add_f32 v[74:75], v[74:75], v[148:149] neg_lo:[0,1] neg_hi:[0,1]
	s_wait_dscnt 0x0
	v_pk_mul_f32 v[148:149], v[144:145], v[136:137] op_sel:[0,1]
	v_pk_fma_f32 v[150:151], v[144:145], v[134:135], v[148:149] op_sel:[0,0,1] op_sel_hi:[1,1,0] neg_lo:[0,0,1] neg_hi:[0,0,1]
	v_pk_fma_f32 v[144:145], v[144:145], v[134:135], v[148:149] op_sel:[0,0,1] op_sel_hi:[1,0,0]
	v_dual_mul_f32 v148, v147, v137 :: v_dual_mov_b32 v144, v147
	s_delay_alu instid0(VALU_DEP_2) | instskip(NEXT) | instid1(VALU_DEP_2)
	v_dual_mov_b32 v151, v145 :: v_dual_mov_b32 v145, v146
	v_pk_fma_f32 v[148:149], v[146:147], v[122:123], v[148:149] op_sel_hi:[1,1,0] neg_lo:[0,0,1] neg_hi:[0,0,1]
	v_mul_f32_e32 v146, v147, v134
	s_delay_alu instid0(VALU_DEP_3) | instskip(NEXT) | instid1(VALU_DEP_2)
	v_pk_add_f32 v[70:71], v[70:71], v[150:151] neg_lo:[0,1] neg_hi:[0,1]
	v_pk_fma_f32 v[144:145], v[144:145], v[122:123], v[146:147] op_sel_hi:[1,1,0]
	s_delay_alu instid0(VALU_DEP_1) | instskip(SKIP_4) | instid1(VALU_DEP_1)
	v_mov_b32_e32 v149, v145
	ds_load_2addr_b64 v[144:147], v138 offset0:39 offset1:40
	v_pk_add_f32 v[72:73], v[72:73], v[148:149] neg_lo:[0,1] neg_hi:[0,1]
	s_wait_dscnt 0x0
	v_pk_mul_f32 v[148:149], v[144:145], v[136:137] op_sel:[0,1]
	v_pk_fma_f32 v[150:151], v[144:145], v[134:135], v[148:149] op_sel:[0,0,1] op_sel_hi:[1,1,0] neg_lo:[0,0,1] neg_hi:[0,0,1]
	v_pk_fma_f32 v[144:145], v[144:145], v[134:135], v[148:149] op_sel:[0,0,1] op_sel_hi:[1,0,0]
	s_delay_alu instid0(VALU_DEP_1) | instskip(SKIP_1) | instid1(VALU_DEP_1)
	v_mov_b32_e32 v151, v145
	v_pk_mul_f32 v[144:145], v[146:147], v[136:137] op_sel:[0,1]
	v_pk_fma_f32 v[148:149], v[146:147], v[134:135], v[144:145] op_sel:[0,0,1] op_sel_hi:[1,1,0] neg_lo:[0,0,1] neg_hi:[0,0,1]
	v_pk_fma_f32 v[144:145], v[146:147], v[134:135], v[144:145] op_sel:[0,0,1] op_sel_hi:[1,0,0]
	s_delay_alu instid0(VALU_DEP_1)
	v_mov_b32_e32 v149, v145
	ds_load_2addr_b64 v[144:147], v138 offset0:41 offset1:42
	v_pk_add_f32 v[22:23], v[22:23], v[150:151] neg_lo:[0,1] neg_hi:[0,1]
	v_pk_add_f32 v[68:69], v[68:69], v[148:149] neg_lo:[0,1] neg_hi:[0,1]
	s_wait_dscnt 0x0
	v_pk_mul_f32 v[148:149], v[144:145], v[136:137] op_sel:[0,1]
	s_delay_alu instid0(VALU_DEP_1) | instskip(SKIP_1) | instid1(VALU_DEP_1)
	v_pk_fma_f32 v[150:151], v[144:145], v[134:135], v[148:149] op_sel:[0,0,1] op_sel_hi:[1,1,0] neg_lo:[0,0,1] neg_hi:[0,0,1]
	v_pk_fma_f32 v[144:145], v[144:145], v[134:135], v[148:149] op_sel:[0,0,1] op_sel_hi:[1,0,0]
	v_mov_b32_e32 v151, v145
	v_pk_mul_f32 v[144:145], v[146:147], v[136:137] op_sel:[0,1]
	s_delay_alu instid0(VALU_DEP_1) | instskip(SKIP_1) | instid1(VALU_DEP_1)
	v_pk_fma_f32 v[148:149], v[146:147], v[134:135], v[144:145] op_sel:[0,0,1] op_sel_hi:[1,1,0] neg_lo:[0,0,1] neg_hi:[0,0,1]
	v_pk_fma_f32 v[144:145], v[146:147], v[134:135], v[144:145] op_sel:[0,0,1] op_sel_hi:[1,0,0]
	v_mov_b32_e32 v149, v145
	ds_load_2addr_b64 v[144:147], v138 offset0:43 offset1:44
	v_pk_add_f32 v[64:65], v[64:65], v[150:151] neg_lo:[0,1] neg_hi:[0,1]
	v_pk_add_f32 v[66:67], v[66:67], v[148:149] neg_lo:[0,1] neg_hi:[0,1]
	s_wait_dscnt 0x0
	v_dual_mul_f32 v148, v145, v137 :: v_dual_mul_f32 v150, v145, v134
	s_delay_alu instid0(VALU_DEP_1) | instskip(NEXT) | instid1(VALU_DEP_2)
	v_pk_fma_f32 v[148:149], v[144:145], v[122:123], v[148:149] op_sel_hi:[1,1,0] neg_lo:[0,0,1] neg_hi:[0,0,1]
	v_pk_fma_f32 v[144:145], v[144:145], v[122:123], v[150:151] op_sel:[1,0,0] op_sel_hi:[0,1,0]
	s_delay_alu instid0(VALU_DEP_1) | instskip(SKIP_1) | instid1(VALU_DEP_2)
	v_mov_b32_e32 v149, v145
	v_pk_mul_f32 v[144:145], v[146:147], v[136:137] op_sel:[0,1]
	v_pk_add_f32 v[18:19], v[18:19], v[148:149] neg_lo:[0,1] neg_hi:[0,1]
	s_delay_alu instid0(VALU_DEP_2) | instskip(SKIP_1) | instid1(VALU_DEP_1)
	v_pk_fma_f32 v[148:149], v[146:147], v[134:135], v[144:145] op_sel:[0,0,1] op_sel_hi:[1,1,0] neg_lo:[0,0,1] neg_hi:[0,0,1]
	v_pk_fma_f32 v[144:145], v[146:147], v[134:135], v[144:145] op_sel:[0,0,1] op_sel_hi:[1,0,0]
	v_mov_b32_e32 v149, v145
	ds_load_2addr_b64 v[144:147], v138 offset0:45 offset1:46
	v_pk_add_f32 v[60:61], v[60:61], v[148:149] neg_lo:[0,1] neg_hi:[0,1]
	s_wait_dscnt 0x0
	v_pk_mul_f32 v[148:149], v[144:145], v[136:137] op_sel:[0,1]
	s_delay_alu instid0(VALU_DEP_1) | instskip(SKIP_1) | instid1(VALU_DEP_1)
	v_pk_fma_f32 v[150:151], v[144:145], v[134:135], v[148:149] op_sel:[0,0,1] op_sel_hi:[1,1,0] neg_lo:[0,0,1] neg_hi:[0,0,1]
	v_pk_fma_f32 v[144:145], v[144:145], v[134:135], v[148:149] op_sel:[0,0,1] op_sel_hi:[1,0,0]
	v_mov_b32_e32 v151, v145
	v_pk_mul_f32 v[144:145], v[146:147], v[136:137] op_sel:[0,1]
	s_delay_alu instid0(VALU_DEP_2) | instskip(NEXT) | instid1(VALU_DEP_2)
	v_pk_add_f32 v[56:57], v[56:57], v[150:151] neg_lo:[0,1] neg_hi:[0,1]
	v_pk_fma_f32 v[148:149], v[146:147], v[134:135], v[144:145] op_sel:[0,0,1] op_sel_hi:[1,1,0] neg_lo:[0,0,1] neg_hi:[0,0,1]
	v_pk_fma_f32 v[144:145], v[146:147], v[134:135], v[144:145] op_sel:[0,0,1] op_sel_hi:[1,0,0]
	s_delay_alu instid0(VALU_DEP_1) | instskip(SKIP_4) | instid1(VALU_DEP_1)
	v_mov_b32_e32 v149, v145
	ds_load_2addr_b64 v[144:147], v138 offset0:47 offset1:48
	v_pk_add_f32 v[58:59], v[58:59], v[148:149] neg_lo:[0,1] neg_hi:[0,1]
	s_wait_dscnt 0x0
	v_pk_mul_f32 v[148:149], v[144:145], v[136:137] op_sel:[0,1]
	v_pk_fma_f32 v[150:151], v[144:145], v[134:135], v[148:149] op_sel:[0,0,1] op_sel_hi:[1,1,0] neg_lo:[0,0,1] neg_hi:[0,0,1]
	v_pk_fma_f32 v[144:145], v[144:145], v[134:135], v[148:149] op_sel:[0,0,1] op_sel_hi:[1,0,0]
	v_dual_mul_f32 v148, v147, v137 :: v_dual_mov_b32 v144, v147
	s_delay_alu instid0(VALU_DEP_2) | instskip(NEXT) | instid1(VALU_DEP_2)
	v_dual_mov_b32 v151, v145 :: v_dual_mov_b32 v145, v146
	v_pk_fma_f32 v[148:149], v[146:147], v[122:123], v[148:149] op_sel_hi:[1,1,0] neg_lo:[0,0,1] neg_hi:[0,0,1]
	v_mul_f32_e32 v146, v147, v134
	s_delay_alu instid0(VALU_DEP_3) | instskip(NEXT) | instid1(VALU_DEP_2)
	v_pk_add_f32 v[12:13], v[12:13], v[150:151] neg_lo:[0,1] neg_hi:[0,1]
	v_pk_fma_f32 v[144:145], v[144:145], v[122:123], v[146:147] op_sel_hi:[1,1,0]
	s_delay_alu instid0(VALU_DEP_1) | instskip(SKIP_4) | instid1(VALU_DEP_1)
	v_mov_b32_e32 v149, v145
	ds_load_2addr_b64 v[144:147], v138 offset0:49 offset1:50
	v_pk_add_f32 v[54:55], v[54:55], v[148:149] neg_lo:[0,1] neg_hi:[0,1]
	s_wait_dscnt 0x0
	v_pk_mul_f32 v[148:149], v[144:145], v[136:137] op_sel:[0,1]
	v_pk_fma_f32 v[150:151], v[144:145], v[134:135], v[148:149] op_sel:[0,0,1] op_sel_hi:[1,1,0] neg_lo:[0,0,1] neg_hi:[0,0,1]
	v_pk_fma_f32 v[144:145], v[144:145], v[134:135], v[148:149] op_sel:[0,0,1] op_sel_hi:[1,0,0]
	s_delay_alu instid0(VALU_DEP_1) | instskip(SKIP_1) | instid1(VALU_DEP_1)
	v_mov_b32_e32 v151, v145
	v_pk_mul_f32 v[144:145], v[146:147], v[136:137] op_sel:[0,1]
	v_pk_fma_f32 v[148:149], v[146:147], v[134:135], v[144:145] op_sel:[0,0,1] op_sel_hi:[1,1,0] neg_lo:[0,0,1] neg_hi:[0,0,1]
	v_pk_fma_f32 v[144:145], v[146:147], v[134:135], v[144:145] op_sel:[0,0,1] op_sel_hi:[1,0,0]
	s_delay_alu instid0(VALU_DEP_1)
	v_mov_b32_e32 v149, v145
	ds_load_2addr_b64 v[144:147], v138 offset0:51 offset1:52
	v_pk_add_f32 v[52:53], v[52:53], v[150:151] neg_lo:[0,1] neg_hi:[0,1]
	v_pk_add_f32 v[62:63], v[62:63], v[148:149] neg_lo:[0,1] neg_hi:[0,1]
	s_wait_dscnt 0x0
	v_pk_mul_f32 v[148:149], v[144:145], v[136:137] op_sel:[0,1]
	s_delay_alu instid0(VALU_DEP_1) | instskip(SKIP_1) | instid1(VALU_DEP_1)
	v_pk_fma_f32 v[150:151], v[144:145], v[134:135], v[148:149] op_sel:[0,0,1] op_sel_hi:[1,1,0] neg_lo:[0,0,1] neg_hi:[0,0,1]
	v_pk_fma_f32 v[144:145], v[144:145], v[134:135], v[148:149] op_sel:[0,0,1] op_sel_hi:[1,0,0]
	v_mov_b32_e32 v151, v145
	v_pk_mul_f32 v[144:145], v[146:147], v[136:137] op_sel:[0,1]
	s_delay_alu instid0(VALU_DEP_1) | instskip(SKIP_1) | instid1(VALU_DEP_1)
	v_pk_fma_f32 v[148:149], v[146:147], v[134:135], v[144:145] op_sel:[0,0,1] op_sel_hi:[1,1,0] neg_lo:[0,0,1] neg_hi:[0,0,1]
	v_pk_fma_f32 v[144:145], v[146:147], v[134:135], v[144:145] op_sel:[0,0,1] op_sel_hi:[1,0,0]
	v_mov_b32_e32 v149, v145
	ds_load_2addr_b64 v[144:147], v138 offset0:53 offset1:54
	v_pk_add_f32 v[16:17], v[16:17], v[150:151] neg_lo:[0,1] neg_hi:[0,1]
	v_pk_add_f32 v[48:49], v[48:49], v[148:149] neg_lo:[0,1] neg_hi:[0,1]
	s_wait_dscnt 0x0
	v_dual_mul_f32 v148, v145, v137 :: v_dual_mul_f32 v150, v145, v134
	s_delay_alu instid0(VALU_DEP_1) | instskip(NEXT) | instid1(VALU_DEP_2)
	v_pk_fma_f32 v[148:149], v[144:145], v[122:123], v[148:149] op_sel_hi:[1,1,0] neg_lo:[0,0,1] neg_hi:[0,0,1]
	v_pk_fma_f32 v[144:145], v[144:145], v[122:123], v[150:151] op_sel:[1,0,0] op_sel_hi:[0,1,0]
	s_delay_alu instid0(VALU_DEP_1) | instskip(SKIP_1) | instid1(VALU_DEP_2)
	v_mov_b32_e32 v149, v145
	v_pk_mul_f32 v[144:145], v[146:147], v[136:137] op_sel:[0,1]
	v_pk_add_f32 v[42:43], v[42:43], v[148:149] neg_lo:[0,1] neg_hi:[0,1]
	s_delay_alu instid0(VALU_DEP_2) | instskip(SKIP_1) | instid1(VALU_DEP_1)
	v_pk_fma_f32 v[148:149], v[146:147], v[134:135], v[144:145] op_sel:[0,0,1] op_sel_hi:[1,1,0] neg_lo:[0,0,1] neg_hi:[0,0,1]
	v_pk_fma_f32 v[144:145], v[146:147], v[134:135], v[144:145] op_sel:[0,0,1] op_sel_hi:[1,0,0]
	v_mov_b32_e32 v149, v145
	ds_load_2addr_b64 v[144:147], v138 offset0:55 offset1:56
	v_pk_add_f32 v[46:47], v[46:47], v[148:149] neg_lo:[0,1] neg_hi:[0,1]
	s_wait_dscnt 0x0
	v_pk_mul_f32 v[148:149], v[144:145], v[136:137] op_sel:[0,1]
	s_delay_alu instid0(VALU_DEP_1) | instskip(SKIP_1) | instid1(VALU_DEP_1)
	v_pk_fma_f32 v[150:151], v[144:145], v[134:135], v[148:149] op_sel:[0,0,1] op_sel_hi:[1,1,0] neg_lo:[0,0,1] neg_hi:[0,0,1]
	v_pk_fma_f32 v[144:145], v[144:145], v[134:135], v[148:149] op_sel:[0,0,1] op_sel_hi:[1,0,0]
	v_mov_b32_e32 v151, v145
	v_pk_mul_f32 v[144:145], v[146:147], v[136:137] op_sel:[0,1]
	s_delay_alu instid0(VALU_DEP_2) | instskip(NEXT) | instid1(VALU_DEP_2)
	v_pk_add_f32 v[8:9], v[8:9], v[150:151] neg_lo:[0,1] neg_hi:[0,1]
	v_pk_fma_f32 v[148:149], v[146:147], v[134:135], v[144:145] op_sel:[0,0,1] op_sel_hi:[1,1,0] neg_lo:[0,0,1] neg_hi:[0,0,1]
	v_pk_fma_f32 v[144:145], v[146:147], v[134:135], v[144:145] op_sel:[0,0,1] op_sel_hi:[1,0,0]
	s_delay_alu instid0(VALU_DEP_1) | instskip(SKIP_4) | instid1(VALU_DEP_1)
	v_mov_b32_e32 v149, v145
	ds_load_2addr_b64 v[144:147], v138 offset0:57 offset1:58
	v_pk_add_f32 v[32:33], v[32:33], v[148:149] neg_lo:[0,1] neg_hi:[0,1]
	s_wait_dscnt 0x0
	v_pk_mul_f32 v[148:149], v[144:145], v[136:137] op_sel:[0,1]
	v_pk_fma_f32 v[150:151], v[144:145], v[134:135], v[148:149] op_sel:[0,0,1] op_sel_hi:[1,1,0] neg_lo:[0,0,1] neg_hi:[0,0,1]
	v_pk_fma_f32 v[144:145], v[144:145], v[134:135], v[148:149] op_sel:[0,0,1] op_sel_hi:[1,0,0]
	v_dual_mul_f32 v148, v147, v137 :: v_dual_mov_b32 v144, v147
	s_delay_alu instid0(VALU_DEP_2) | instskip(NEXT) | instid1(VALU_DEP_2)
	v_dual_mov_b32 v151, v145 :: v_dual_mov_b32 v145, v146
	v_pk_fma_f32 v[148:149], v[146:147], v[122:123], v[148:149] op_sel_hi:[1,1,0] neg_lo:[0,0,1] neg_hi:[0,0,1]
	v_mul_f32_e32 v146, v147, v134
	s_delay_alu instid0(VALU_DEP_3) | instskip(NEXT) | instid1(VALU_DEP_2)
	v_pk_add_f32 v[28:29], v[28:29], v[150:151] neg_lo:[0,1] neg_hi:[0,1]
	v_pk_fma_f32 v[144:145], v[144:145], v[122:123], v[146:147] op_sel_hi:[1,1,0]
	s_delay_alu instid0(VALU_DEP_1) | instskip(SKIP_4) | instid1(VALU_DEP_1)
	v_mov_b32_e32 v149, v145
	ds_load_2addr_b64 v[144:147], v138 offset0:59 offset1:60
	v_pk_add_f32 v[30:31], v[30:31], v[148:149] neg_lo:[0,1] neg_hi:[0,1]
	s_wait_dscnt 0x0
	v_pk_mul_f32 v[148:149], v[144:145], v[136:137] op_sel:[0,1]
	v_pk_fma_f32 v[150:151], v[144:145], v[134:135], v[148:149] op_sel:[0,0,1] op_sel_hi:[1,1,0] neg_lo:[0,0,1] neg_hi:[0,0,1]
	v_pk_fma_f32 v[144:145], v[144:145], v[134:135], v[148:149] op_sel:[0,0,1] op_sel_hi:[1,0,0]
	s_delay_alu instid0(VALU_DEP_1) | instskip(SKIP_1) | instid1(VALU_DEP_1)
	v_mov_b32_e32 v151, v145
	v_pk_mul_f32 v[144:145], v[146:147], v[136:137] op_sel:[0,1]
	v_pk_fma_f32 v[148:149], v[146:147], v[134:135], v[144:145] op_sel:[0,0,1] op_sel_hi:[1,1,0] neg_lo:[0,0,1] neg_hi:[0,0,1]
	v_pk_fma_f32 v[144:145], v[146:147], v[134:135], v[144:145] op_sel:[0,0,1] op_sel_hi:[1,0,0]
	s_delay_alu instid0(VALU_DEP_1)
	v_mov_b32_e32 v149, v145
	ds_load_2addr_b64 v[144:147], v138 offset0:61 offset1:62
	v_pk_add_f32 v[6:7], v[6:7], v[150:151] neg_lo:[0,1] neg_hi:[0,1]
	v_pk_add_f32 v[20:21], v[20:21], v[148:149] neg_lo:[0,1] neg_hi:[0,1]
	s_wait_dscnt 0x0
	v_pk_mul_f32 v[148:149], v[144:145], v[136:137] op_sel:[0,1]
	s_delay_alu instid0(VALU_DEP_1) | instskip(SKIP_1) | instid1(VALU_DEP_1)
	v_pk_fma_f32 v[150:151], v[144:145], v[134:135], v[148:149] op_sel:[0,0,1] op_sel_hi:[1,1,0] neg_lo:[0,0,1] neg_hi:[0,0,1]
	v_pk_fma_f32 v[144:145], v[144:145], v[134:135], v[148:149] op_sel:[0,0,1] op_sel_hi:[1,0,0]
	v_mov_b32_e32 v151, v145
	v_pk_mul_f32 v[144:145], v[146:147], v[136:137] op_sel:[0,1]
	s_delay_alu instid0(VALU_DEP_1) | instskip(SKIP_1) | instid1(VALU_DEP_1)
	v_pk_fma_f32 v[148:149], v[146:147], v[134:135], v[144:145] op_sel:[0,0,1] op_sel_hi:[1,1,0] neg_lo:[0,0,1] neg_hi:[0,0,1]
	v_pk_fma_f32 v[144:145], v[146:147], v[134:135], v[144:145] op_sel:[0,0,1] op_sel_hi:[1,0,0]
	v_mov_b32_e32 v149, v145
	ds_load_b64 v[144:145], v138 offset:504
	v_pk_add_f32 v[14:15], v[14:15], v[150:151] neg_lo:[0,1] neg_hi:[0,1]
	v_pk_add_f32 v[10:11], v[10:11], v[148:149] neg_lo:[0,1] neg_hi:[0,1]
	s_wait_dscnt 0x0
	v_pk_mul_f32 v[136:137], v[144:145], v[136:137] op_sel:[0,1]
	s_delay_alu instid0(VALU_DEP_1) | instskip(SKIP_1) | instid1(VALU_DEP_1)
	v_pk_fma_f32 v[146:147], v[144:145], v[134:135], v[136:137] op_sel:[0,0,1] op_sel_hi:[1,1,0] neg_lo:[0,0,1] neg_hi:[0,0,1]
	v_pk_fma_f32 v[134:135], v[144:145], v[134:135], v[136:137] op_sel:[0,0,1] op_sel_hi:[1,0,0]
	v_mov_b32_e32 v147, v135
	s_delay_alu instid0(VALU_DEP_1)
	v_pk_add_f32 v[132:133], v[132:133], v[146:147] neg_lo:[0,1] neg_hi:[0,1]
.LBB126_104:
	s_or_b32 exec_lo, exec_lo, s0
	v_lshl_add_u32 v134, v142, 3, v138
	s_barrier_signal -1
	s_barrier_wait -1
	ds_store_b64 v134, v[120:121]
	s_wait_dscnt 0x0
	s_barrier_signal -1
	s_barrier_wait -1
	ds_load_b64 v[136:137], v138 offset:40
	v_mov_b32_e32 v134, 5
	s_cmp_lt_i32 s18, 7
	s_cbranch_scc1 .LBB126_107
; %bb.105:
	v_add3_u32 v135, v139, 0, 48
	v_mov_b32_e32 v134, 5
	s_mov_b32 s0, 6
.LBB126_106:                            ; =>This Inner Loop Header: Depth=1
	ds_load_b64 v[144:145], v135
	s_wait_dscnt 0x1
	v_cmp_gt_f32_e32 vcc_lo, 0, v136
	v_cndmask_b32_e64 v146, v136, -v136, vcc_lo
	v_cmp_gt_f32_e32 vcc_lo, 0, v137
	v_cndmask_b32_e64 v148, v137, -v137, vcc_lo
	s_wait_dscnt 0x0
	v_cmp_gt_f32_e32 vcc_lo, 0, v144
	v_cndmask_b32_e64 v147, v144, -v144, vcc_lo
	v_cmp_gt_f32_e32 vcc_lo, 0, v145
	v_cndmask_b32_e64 v149, v145, -v145, vcc_lo
	s_delay_alu instid0(VALU_DEP_1) | instskip(NEXT) | instid1(VALU_DEP_1)
	v_pk_add_f32 v[146:147], v[146:147], v[148:149]
	v_cmp_lt_f32_e32 vcc_lo, v146, v147
	v_dual_add_nc_u32 v135, 8, v135 :: v_dual_cndmask_b32 v137, v137, v145, vcc_lo
	v_cndmask_b32_e32 v136, v136, v144, vcc_lo
	v_cndmask_b32_e64 v134, v134, s0, vcc_lo
	s_add_co_i32 s0, s0, 1
	s_delay_alu instid0(SALU_CYCLE_1)
	s_cmp_lg_u32 s18, s0
	s_cbranch_scc1 .LBB126_106
.LBB126_107:
	s_wait_dscnt 0x0
	v_cmp_eq_f32_e32 vcc_lo, 0, v136
	v_cmp_eq_f32_e64 s0, 0, v137
	s_and_b32 s0, vcc_lo, s0
	s_delay_alu instid0(SALU_CYCLE_1) | instskip(NEXT) | instid1(SALU_CYCLE_1)
	s_and_saveexec_b32 s1, s0
	s_xor_b32 s0, exec_lo, s1
; %bb.108:
	v_cmp_ne_u32_e32 vcc_lo, 0, v140
	v_cndmask_b32_e32 v140, 6, v140, vcc_lo
; %bb.109:
	s_and_not1_saveexec_b32 s0, s0
	s_cbranch_execz .LBB126_115
; %bb.110:
	v_cmp_ngt_f32_e64 s1, |v136|, |v137|
	s_and_saveexec_b32 s12, s1
	s_delay_alu instid0(SALU_CYCLE_1)
	s_xor_b32 s1, exec_lo, s12
	s_cbranch_execz .LBB126_112
; %bb.111:
	v_div_scale_f32 v135, null, v137, v137, v136
	v_div_scale_f32 v145, vcc_lo, v136, v137, v136
	s_delay_alu instid0(VALU_DEP_2) | instskip(SKIP_1) | instid1(TRANS32_DEP_1)
	v_rcp_f32_e32 v143, v135
	v_nop
	v_fma_f32 v144, -v135, v143, 1.0
	s_delay_alu instid0(VALU_DEP_1) | instskip(NEXT) | instid1(VALU_DEP_1)
	v_fmac_f32_e32 v143, v144, v143
	v_mul_f32_e32 v144, v145, v143
	s_delay_alu instid0(VALU_DEP_1) | instskip(NEXT) | instid1(VALU_DEP_1)
	v_fma_f32 v146, -v135, v144, v145
	v_fmac_f32_e32 v144, v146, v143
	s_delay_alu instid0(VALU_DEP_1) | instskip(NEXT) | instid1(VALU_DEP_1)
	v_fma_f32 v135, -v135, v144, v145
	v_div_fmas_f32 v135, v135, v143, v144
	s_delay_alu instid0(VALU_DEP_1) | instskip(NEXT) | instid1(VALU_DEP_1)
	v_div_fixup_f32 v135, v135, v137, v136
	v_fmac_f32_e32 v137, v136, v135
	s_delay_alu instid0(VALU_DEP_1) | instskip(SKIP_1) | instid1(VALU_DEP_2)
	v_div_scale_f32 v136, null, v137, v137, 1.0
	v_div_scale_f32 v145, vcc_lo, 1.0, v137, 1.0
	v_rcp_f32_e32 v143, v136
	v_nop
	s_delay_alu instid0(TRANS32_DEP_1) | instskip(NEXT) | instid1(VALU_DEP_1)
	v_fma_f32 v144, -v136, v143, 1.0
	v_fmac_f32_e32 v143, v144, v143
	s_delay_alu instid0(VALU_DEP_1) | instskip(NEXT) | instid1(VALU_DEP_1)
	v_mul_f32_e32 v144, v145, v143
	v_fma_f32 v146, -v136, v144, v145
	s_delay_alu instid0(VALU_DEP_1) | instskip(NEXT) | instid1(VALU_DEP_1)
	v_fmac_f32_e32 v144, v146, v143
	v_fma_f32 v136, -v136, v144, v145
	s_delay_alu instid0(VALU_DEP_1) | instskip(NEXT) | instid1(VALU_DEP_1)
	v_div_fmas_f32 v136, v136, v143, v144
	v_div_fixup_f32 v137, v136, v137, 1.0
	s_delay_alu instid0(VALU_DEP_1)
	v_mul_f32_e32 v136, v135, v137
	v_xor_b32_e32 v137, 0x80000000, v137
.LBB126_112:
	s_and_not1_saveexec_b32 s1, s1
	s_cbranch_execz .LBB126_114
; %bb.113:
	s_delay_alu instid0(VALU_DEP_1) | instskip(SKIP_1) | instid1(VALU_DEP_2)
	v_div_scale_f32 v135, null, v136, v136, v137
	v_div_scale_f32 v145, vcc_lo, v137, v136, v137
	v_rcp_f32_e32 v143, v135
	v_nop
	s_delay_alu instid0(TRANS32_DEP_1) | instskip(NEXT) | instid1(VALU_DEP_1)
	v_fma_f32 v144, -v135, v143, 1.0
	v_fmac_f32_e32 v143, v144, v143
	s_delay_alu instid0(VALU_DEP_1) | instskip(NEXT) | instid1(VALU_DEP_1)
	v_mul_f32_e32 v144, v145, v143
	v_fma_f32 v146, -v135, v144, v145
	s_delay_alu instid0(VALU_DEP_1) | instskip(NEXT) | instid1(VALU_DEP_1)
	v_fmac_f32_e32 v144, v146, v143
	v_fma_f32 v135, -v135, v144, v145
	s_delay_alu instid0(VALU_DEP_1) | instskip(NEXT) | instid1(VALU_DEP_1)
	v_div_fmas_f32 v135, v135, v143, v144
	v_div_fixup_f32 v135, v135, v136, v137
	s_delay_alu instid0(VALU_DEP_1) | instskip(NEXT) | instid1(VALU_DEP_1)
	v_fmac_f32_e32 v136, v137, v135
	v_div_scale_f32 v137, null, v136, v136, 1.0
	s_delay_alu instid0(VALU_DEP_1) | instskip(SKIP_1) | instid1(TRANS32_DEP_1)
	v_rcp_f32_e32 v143, v137
	v_nop
	v_fma_f32 v144, -v137, v143, 1.0
	s_delay_alu instid0(VALU_DEP_1) | instskip(SKIP_1) | instid1(VALU_DEP_1)
	v_fmac_f32_e32 v143, v144, v143
	v_div_scale_f32 v144, vcc_lo, 1.0, v136, 1.0
	v_mul_f32_e32 v145, v144, v143
	s_delay_alu instid0(VALU_DEP_1) | instskip(NEXT) | instid1(VALU_DEP_1)
	v_fma_f32 v146, -v137, v145, v144
	v_fmac_f32_e32 v145, v146, v143
	s_delay_alu instid0(VALU_DEP_1) | instskip(NEXT) | instid1(VALU_DEP_1)
	v_fma_f32 v137, -v137, v145, v144
	v_div_fmas_f32 v137, v137, v143, v145
	s_delay_alu instid0(VALU_DEP_1) | instskip(NEXT) | instid1(VALU_DEP_1)
	v_div_fixup_f32 v136, v137, v136, 1.0
	v_mul_f32_e64 v137, v135, -v136
.LBB126_114:
	s_or_b32 exec_lo, exec_lo, s1
.LBB126_115:
	s_delay_alu instid0(SALU_CYCLE_1) | instskip(NEXT) | instid1(SALU_CYCLE_1)
	s_or_b32 exec_lo, exec_lo, s0
	s_mov_b32 s0, exec_lo
	v_cmpx_ne_u32_e64 v142, v134
	s_xor_b32 s0, exec_lo, s0
	s_cbranch_execz .LBB126_121
; %bb.116:
	s_mov_b32 s1, exec_lo
	v_cmpx_eq_u32_e32 5, v142
	s_cbranch_execz .LBB126_120
; %bb.117:
	v_cmp_ne_u32_e32 vcc_lo, 5, v134
	s_xor_b32 s12, s16, -1
	s_delay_alu instid0(SALU_CYCLE_1) | instskip(NEXT) | instid1(SALU_CYCLE_1)
	s_and_b32 s13, s12, vcc_lo
	s_and_saveexec_b32 s12, s13
	s_cbranch_execz .LBB126_119
; %bb.118:
	v_ashrrev_i32_e32 v135, 31, v134
	s_delay_alu instid0(VALU_DEP_1)
	v_lshl_add_u64 v[142:143], v[134:135], 2, v[4:5]
	s_clause 0x1
	global_load_b32 v135, v[142:143], off
	global_load_b32 v141, v[4:5], off offset:20
	s_wait_loadcnt 0x1
	global_store_b32 v[4:5], v135, off offset:20
	s_wait_loadcnt 0x0
	global_store_b32 v[142:143], v141, off
.LBB126_119:
	s_wait_xcnt 0x0
	s_or_b32 exec_lo, exec_lo, s12
	v_dual_mov_b32 v142, v134 :: v_dual_mov_b32 v141, v134
.LBB126_120:
	s_or_b32 exec_lo, exec_lo, s1
.LBB126_121:
	s_and_not1_saveexec_b32 s0, s0
	s_cbranch_execz .LBB126_123
; %bb.122:
	v_dual_mov_b32 v134, v112 :: v_dual_mov_b32 v135, v113
	v_dual_mov_b32 v142, v44 :: v_dual_mov_b32 v143, v45
	ds_store_2addr_b64 v138, v[134:135], v[142:143] offset0:6 offset1:7
	v_dual_mov_b32 v134, v118 :: v_dual_mov_b32 v135, v119
	v_dual_mov_b32 v142, v114 :: v_dual_mov_b32 v143, v115
	ds_store_2addr_b64 v138, v[134:135], v[142:143] offset0:8 offset1:9
	;; [unrolled: 3-line block ×28, first 2 shown]
	v_dual_mov_b32 v134, v10 :: v_dual_mov_b32 v135, v11
	v_mov_b32_e32 v142, 5
	ds_store_2addr_b64 v138, v[134:135], v[132:133] offset0:62 offset1:63
.LBB126_123:
	s_or_b32 exec_lo, exec_lo, s0
	s_delay_alu instid0(SALU_CYCLE_1)
	s_mov_b32 s0, exec_lo
	s_wait_storecnt_dscnt 0x0
	s_barrier_signal -1
	s_barrier_wait -1
	v_cmpx_lt_i32_e32 5, v142
	s_cbranch_execz .LBB126_125
; %bb.124:
	v_pk_mul_f32 v[144:145], v[136:137], v[120:121] op_sel:[1,1] op_sel_hi:[0,1]
	s_delay_alu instid0(VALU_DEP_1)
	v_pk_fma_f32 v[134:135], v[136:137], v[120:121], v[144:145] op_sel_hi:[1,0,1] neg_lo:[0,0,1] neg_hi:[0,0,1]
	v_pk_fma_f32 v[136:137], v[136:137], v[120:121], v[144:145] op_sel_hi:[1,0,1]
	ds_load_2addr_b64 v[144:147], v138 offset0:6 offset1:7
	v_dual_mov_b32 v120, v134 :: v_dual_mov_b32 v121, v137
	s_wait_dscnt 0x0
	v_pk_mul_f32 v[148:149], v[144:145], v[136:137] op_sel:[0,1]
	s_delay_alu instid0(VALU_DEP_1) | instskip(SKIP_1) | instid1(VALU_DEP_1)
	v_pk_fma_f32 v[150:151], v[144:145], v[134:135], v[148:149] op_sel:[0,0,1] op_sel_hi:[1,1,0] neg_lo:[0,0,1] neg_hi:[0,0,1]
	v_pk_fma_f32 v[144:145], v[144:145], v[134:135], v[148:149] op_sel:[0,0,1] op_sel_hi:[1,0,0]
	v_mov_b32_e32 v151, v145
	v_pk_mul_f32 v[144:145], v[146:147], v[136:137] op_sel:[0,1]
	s_delay_alu instid0(VALU_DEP_1) | instskip(SKIP_1) | instid1(VALU_DEP_1)
	v_pk_fma_f32 v[148:149], v[146:147], v[134:135], v[144:145] op_sel:[0,0,1] op_sel_hi:[1,1,0] neg_lo:[0,0,1] neg_hi:[0,0,1]
	v_pk_fma_f32 v[144:145], v[146:147], v[134:135], v[144:145] op_sel:[0,0,1] op_sel_hi:[1,0,0]
	v_mov_b32_e32 v149, v145
	ds_load_2addr_b64 v[144:147], v138 offset0:8 offset1:9
	v_pk_add_f32 v[112:113], v[112:113], v[150:151] neg_lo:[0,1] neg_hi:[0,1]
	v_pk_add_f32 v[44:45], v[44:45], v[148:149] neg_lo:[0,1] neg_hi:[0,1]
	s_wait_dscnt 0x0
	v_pk_mul_f32 v[148:149], v[144:145], v[136:137] op_sel:[0,1]
	s_delay_alu instid0(VALU_DEP_1) | instskip(SKIP_2) | instid1(VALU_DEP_2)
	v_pk_fma_f32 v[150:151], v[144:145], v[134:135], v[148:149] op_sel:[0,0,1] op_sel_hi:[1,1,0] neg_lo:[0,0,1] neg_hi:[0,0,1]
	v_pk_fma_f32 v[144:145], v[144:145], v[134:135], v[148:149] op_sel:[0,0,1] op_sel_hi:[1,0,0]
	v_dual_mul_f32 v148, v147, v137 :: v_dual_mov_b32 v144, v147
	v_dual_mov_b32 v151, v145 :: v_dual_mov_b32 v145, v146
	s_delay_alu instid0(VALU_DEP_2) | instskip(SKIP_1) | instid1(VALU_DEP_3)
	v_pk_fma_f32 v[148:149], v[146:147], v[120:121], v[148:149] op_sel_hi:[1,1,0] neg_lo:[0,0,1] neg_hi:[0,0,1]
	v_mul_f32_e32 v146, v147, v134
	v_pk_add_f32 v[118:119], v[118:119], v[150:151] neg_lo:[0,1] neg_hi:[0,1]
	s_delay_alu instid0(VALU_DEP_2) | instskip(NEXT) | instid1(VALU_DEP_1)
	v_pk_fma_f32 v[144:145], v[144:145], v[120:121], v[146:147] op_sel_hi:[1,1,0]
	v_mov_b32_e32 v149, v145
	ds_load_2addr_b64 v[144:147], v138 offset0:10 offset1:11
	v_pk_add_f32 v[114:115], v[114:115], v[148:149] neg_lo:[0,1] neg_hi:[0,1]
	s_wait_dscnt 0x0
	v_pk_mul_f32 v[148:149], v[144:145], v[136:137] op_sel:[0,1]
	s_delay_alu instid0(VALU_DEP_1) | instskip(SKIP_1) | instid1(VALU_DEP_1)
	v_pk_fma_f32 v[150:151], v[144:145], v[134:135], v[148:149] op_sel:[0,0,1] op_sel_hi:[1,1,0] neg_lo:[0,0,1] neg_hi:[0,0,1]
	v_pk_fma_f32 v[144:145], v[144:145], v[134:135], v[148:149] op_sel:[0,0,1] op_sel_hi:[1,0,0]
	v_mov_b32_e32 v151, v145
	v_pk_mul_f32 v[144:145], v[146:147], v[136:137] op_sel:[0,1]
	s_delay_alu instid0(VALU_DEP_1) | instskip(SKIP_1) | instid1(VALU_DEP_1)
	v_pk_fma_f32 v[148:149], v[146:147], v[134:135], v[144:145] op_sel:[0,0,1] op_sel_hi:[1,1,0] neg_lo:[0,0,1] neg_hi:[0,0,1]
	v_pk_fma_f32 v[144:145], v[146:147], v[134:135], v[144:145] op_sel:[0,0,1] op_sel_hi:[1,0,0]
	v_mov_b32_e32 v149, v145
	ds_load_2addr_b64 v[144:147], v138 offset0:12 offset1:13
	v_pk_add_f32 v[116:117], v[116:117], v[150:151] neg_lo:[0,1] neg_hi:[0,1]
	v_pk_add_f32 v[50:51], v[50:51], v[148:149] neg_lo:[0,1] neg_hi:[0,1]
	s_wait_dscnt 0x0
	v_pk_mul_f32 v[148:149], v[144:145], v[136:137] op_sel:[0,1]
	s_delay_alu instid0(VALU_DEP_1) | instskip(SKIP_1) | instid1(VALU_DEP_1)
	v_pk_fma_f32 v[150:151], v[144:145], v[134:135], v[148:149] op_sel:[0,0,1] op_sel_hi:[1,1,0] neg_lo:[0,0,1] neg_hi:[0,0,1]
	v_pk_fma_f32 v[144:145], v[144:145], v[134:135], v[148:149] op_sel:[0,0,1] op_sel_hi:[1,0,0]
	v_mov_b32_e32 v151, v145
	v_pk_mul_f32 v[144:145], v[146:147], v[136:137] op_sel:[0,1]
	s_delay_alu instid0(VALU_DEP_1) | instskip(SKIP_1) | instid1(VALU_DEP_1)
	v_pk_fma_f32 v[148:149], v[146:147], v[134:135], v[144:145] op_sel:[0,0,1] op_sel_hi:[1,1,0] neg_lo:[0,0,1] neg_hi:[0,0,1]
	v_pk_fma_f32 v[144:145], v[146:147], v[134:135], v[144:145] op_sel:[0,0,1] op_sel_hi:[1,0,0]
	v_mov_b32_e32 v149, v145
	ds_load_2addr_b64 v[144:147], v138 offset0:14 offset1:15
	v_pk_add_f32 v[110:111], v[110:111], v[150:151] neg_lo:[0,1] neg_hi:[0,1]
	v_pk_add_f32 v[106:107], v[106:107], v[148:149] neg_lo:[0,1] neg_hi:[0,1]
	s_wait_dscnt 0x0
	v_dual_mul_f32 v148, v145, v137 :: v_dual_mul_f32 v150, v145, v134
	s_delay_alu instid0(VALU_DEP_1) | instskip(NEXT) | instid1(VALU_DEP_2)
	v_pk_fma_f32 v[148:149], v[144:145], v[120:121], v[148:149] op_sel_hi:[1,1,0] neg_lo:[0,0,1] neg_hi:[0,0,1]
	v_pk_fma_f32 v[144:145], v[144:145], v[120:121], v[150:151] op_sel:[1,0,0] op_sel_hi:[0,1,0]
	s_delay_alu instid0(VALU_DEP_1) | instskip(SKIP_1) | instid1(VALU_DEP_2)
	v_mov_b32_e32 v149, v145
	v_pk_mul_f32 v[144:145], v[146:147], v[136:137] op_sel:[0,1]
	v_pk_add_f32 v[108:109], v[108:109], v[148:149] neg_lo:[0,1] neg_hi:[0,1]
	s_delay_alu instid0(VALU_DEP_2) | instskip(SKIP_1) | instid1(VALU_DEP_1)
	v_pk_fma_f32 v[148:149], v[146:147], v[134:135], v[144:145] op_sel:[0,0,1] op_sel_hi:[1,1,0] neg_lo:[0,0,1] neg_hi:[0,0,1]
	v_pk_fma_f32 v[144:145], v[146:147], v[134:135], v[144:145] op_sel:[0,0,1] op_sel_hi:[1,0,0]
	v_mov_b32_e32 v149, v145
	ds_load_2addr_b64 v[144:147], v138 offset0:16 offset1:17
	v_pk_add_f32 v[40:41], v[40:41], v[148:149] neg_lo:[0,1] neg_hi:[0,1]
	s_wait_dscnt 0x0
	v_pk_mul_f32 v[148:149], v[144:145], v[136:137] op_sel:[0,1]
	s_delay_alu instid0(VALU_DEP_1) | instskip(SKIP_1) | instid1(VALU_DEP_1)
	v_pk_fma_f32 v[150:151], v[144:145], v[134:135], v[148:149] op_sel:[0,0,1] op_sel_hi:[1,1,0] neg_lo:[0,0,1] neg_hi:[0,0,1]
	v_pk_fma_f32 v[144:145], v[144:145], v[134:135], v[148:149] op_sel:[0,0,1] op_sel_hi:[1,0,0]
	v_mov_b32_e32 v151, v145
	v_pk_mul_f32 v[144:145], v[146:147], v[136:137] op_sel:[0,1]
	s_delay_alu instid0(VALU_DEP_2) | instskip(NEXT) | instid1(VALU_DEP_2)
	v_pk_add_f32 v[104:105], v[104:105], v[150:151] neg_lo:[0,1] neg_hi:[0,1]
	v_pk_fma_f32 v[148:149], v[146:147], v[134:135], v[144:145] op_sel:[0,0,1] op_sel_hi:[1,1,0] neg_lo:[0,0,1] neg_hi:[0,0,1]
	v_pk_fma_f32 v[144:145], v[146:147], v[134:135], v[144:145] op_sel:[0,0,1] op_sel_hi:[1,0,0]
	s_delay_alu instid0(VALU_DEP_1) | instskip(SKIP_4) | instid1(VALU_DEP_1)
	v_mov_b32_e32 v149, v145
	ds_load_2addr_b64 v[144:147], v138 offset0:18 offset1:19
	v_pk_add_f32 v[100:101], v[100:101], v[148:149] neg_lo:[0,1] neg_hi:[0,1]
	s_wait_dscnt 0x0
	v_pk_mul_f32 v[148:149], v[144:145], v[136:137] op_sel:[0,1]
	v_pk_fma_f32 v[150:151], v[144:145], v[134:135], v[148:149] op_sel:[0,0,1] op_sel_hi:[1,1,0] neg_lo:[0,0,1] neg_hi:[0,0,1]
	v_pk_fma_f32 v[144:145], v[144:145], v[134:135], v[148:149] op_sel:[0,0,1] op_sel_hi:[1,0,0]
	v_dual_mul_f32 v148, v147, v137 :: v_dual_mov_b32 v144, v147
	s_delay_alu instid0(VALU_DEP_2) | instskip(NEXT) | instid1(VALU_DEP_2)
	v_dual_mov_b32 v151, v145 :: v_dual_mov_b32 v145, v146
	v_pk_fma_f32 v[148:149], v[146:147], v[120:121], v[148:149] op_sel_hi:[1,1,0] neg_lo:[0,0,1] neg_hi:[0,0,1]
	v_mul_f32_e32 v146, v147, v134
	s_delay_alu instid0(VALU_DEP_3) | instskip(NEXT) | instid1(VALU_DEP_2)
	v_pk_add_f32 v[102:103], v[102:103], v[150:151] neg_lo:[0,1] neg_hi:[0,1]
	v_pk_fma_f32 v[144:145], v[144:145], v[120:121], v[146:147] op_sel_hi:[1,1,0]
	s_delay_alu instid0(VALU_DEP_1) | instskip(SKIP_4) | instid1(VALU_DEP_1)
	v_mov_b32_e32 v149, v145
	ds_load_2addr_b64 v[144:147], v138 offset0:20 offset1:21
	v_pk_add_f32 v[38:39], v[38:39], v[148:149] neg_lo:[0,1] neg_hi:[0,1]
	s_wait_dscnt 0x0
	v_pk_mul_f32 v[148:149], v[144:145], v[136:137] op_sel:[0,1]
	v_pk_fma_f32 v[150:151], v[144:145], v[134:135], v[148:149] op_sel:[0,0,1] op_sel_hi:[1,1,0] neg_lo:[0,0,1] neg_hi:[0,0,1]
	v_pk_fma_f32 v[144:145], v[144:145], v[134:135], v[148:149] op_sel:[0,0,1] op_sel_hi:[1,0,0]
	s_delay_alu instid0(VALU_DEP_1) | instskip(SKIP_1) | instid1(VALU_DEP_1)
	v_mov_b32_e32 v151, v145
	v_pk_mul_f32 v[144:145], v[146:147], v[136:137] op_sel:[0,1]
	v_pk_fma_f32 v[148:149], v[146:147], v[134:135], v[144:145] op_sel:[0,0,1] op_sel_hi:[1,1,0] neg_lo:[0,0,1] neg_hi:[0,0,1]
	v_pk_fma_f32 v[144:145], v[146:147], v[134:135], v[144:145] op_sel:[0,0,1] op_sel_hi:[1,0,0]
	s_delay_alu instid0(VALU_DEP_1)
	v_mov_b32_e32 v149, v145
	ds_load_2addr_b64 v[144:147], v138 offset0:22 offset1:23
	v_pk_add_f32 v[98:99], v[98:99], v[150:151] neg_lo:[0,1] neg_hi:[0,1]
	v_pk_add_f32 v[94:95], v[94:95], v[148:149] neg_lo:[0,1] neg_hi:[0,1]
	s_wait_dscnt 0x0
	v_pk_mul_f32 v[148:149], v[144:145], v[136:137] op_sel:[0,1]
	s_delay_alu instid0(VALU_DEP_1) | instskip(SKIP_1) | instid1(VALU_DEP_1)
	v_pk_fma_f32 v[150:151], v[144:145], v[134:135], v[148:149] op_sel:[0,0,1] op_sel_hi:[1,1,0] neg_lo:[0,0,1] neg_hi:[0,0,1]
	v_pk_fma_f32 v[144:145], v[144:145], v[134:135], v[148:149] op_sel:[0,0,1] op_sel_hi:[1,0,0]
	v_mov_b32_e32 v151, v145
	v_pk_mul_f32 v[144:145], v[146:147], v[136:137] op_sel:[0,1]
	s_delay_alu instid0(VALU_DEP_1) | instskip(SKIP_1) | instid1(VALU_DEP_1)
	v_pk_fma_f32 v[148:149], v[146:147], v[134:135], v[144:145] op_sel:[0,0,1] op_sel_hi:[1,1,0] neg_lo:[0,0,1] neg_hi:[0,0,1]
	v_pk_fma_f32 v[144:145], v[146:147], v[134:135], v[144:145] op_sel:[0,0,1] op_sel_hi:[1,0,0]
	v_mov_b32_e32 v149, v145
	ds_load_2addr_b64 v[144:147], v138 offset0:24 offset1:25
	v_pk_add_f32 v[96:97], v[96:97], v[150:151] neg_lo:[0,1] neg_hi:[0,1]
	v_pk_add_f32 v[36:37], v[36:37], v[148:149] neg_lo:[0,1] neg_hi:[0,1]
	s_wait_dscnt 0x0
	v_dual_mul_f32 v148, v145, v137 :: v_dual_mul_f32 v150, v145, v134
	s_delay_alu instid0(VALU_DEP_1) | instskip(NEXT) | instid1(VALU_DEP_2)
	v_pk_fma_f32 v[148:149], v[144:145], v[120:121], v[148:149] op_sel_hi:[1,1,0] neg_lo:[0,0,1] neg_hi:[0,0,1]
	v_pk_fma_f32 v[144:145], v[144:145], v[120:121], v[150:151] op_sel:[1,0,0] op_sel_hi:[0,1,0]
	s_delay_alu instid0(VALU_DEP_1) | instskip(SKIP_1) | instid1(VALU_DEP_2)
	v_mov_b32_e32 v149, v145
	v_pk_mul_f32 v[144:145], v[146:147], v[136:137] op_sel:[0,1]
	v_pk_add_f32 v[92:93], v[92:93], v[148:149] neg_lo:[0,1] neg_hi:[0,1]
	s_delay_alu instid0(VALU_DEP_2) | instskip(SKIP_1) | instid1(VALU_DEP_1)
	v_pk_fma_f32 v[148:149], v[146:147], v[134:135], v[144:145] op_sel:[0,0,1] op_sel_hi:[1,1,0] neg_lo:[0,0,1] neg_hi:[0,0,1]
	v_pk_fma_f32 v[144:145], v[146:147], v[134:135], v[144:145] op_sel:[0,0,1] op_sel_hi:[1,0,0]
	v_mov_b32_e32 v149, v145
	ds_load_2addr_b64 v[144:147], v138 offset0:26 offset1:27
	v_pk_add_f32 v[88:89], v[88:89], v[148:149] neg_lo:[0,1] neg_hi:[0,1]
	s_wait_dscnt 0x0
	v_pk_mul_f32 v[148:149], v[144:145], v[136:137] op_sel:[0,1]
	s_delay_alu instid0(VALU_DEP_1) | instskip(SKIP_1) | instid1(VALU_DEP_1)
	v_pk_fma_f32 v[150:151], v[144:145], v[134:135], v[148:149] op_sel:[0,0,1] op_sel_hi:[1,1,0] neg_lo:[0,0,1] neg_hi:[0,0,1]
	v_pk_fma_f32 v[144:145], v[144:145], v[134:135], v[148:149] op_sel:[0,0,1] op_sel_hi:[1,0,0]
	v_mov_b32_e32 v151, v145
	v_pk_mul_f32 v[144:145], v[146:147], v[136:137] op_sel:[0,1]
	s_delay_alu instid0(VALU_DEP_2) | instskip(NEXT) | instid1(VALU_DEP_2)
	v_pk_add_f32 v[90:91], v[90:91], v[150:151] neg_lo:[0,1] neg_hi:[0,1]
	v_pk_fma_f32 v[148:149], v[146:147], v[134:135], v[144:145] op_sel:[0,0,1] op_sel_hi:[1,1,0] neg_lo:[0,0,1] neg_hi:[0,0,1]
	v_pk_fma_f32 v[144:145], v[146:147], v[134:135], v[144:145] op_sel:[0,0,1] op_sel_hi:[1,0,0]
	s_delay_alu instid0(VALU_DEP_1) | instskip(SKIP_4) | instid1(VALU_DEP_1)
	v_mov_b32_e32 v149, v145
	ds_load_2addr_b64 v[144:147], v138 offset0:28 offset1:29
	v_pk_add_f32 v[34:35], v[34:35], v[148:149] neg_lo:[0,1] neg_hi:[0,1]
	s_wait_dscnt 0x0
	v_pk_mul_f32 v[148:149], v[144:145], v[136:137] op_sel:[0,1]
	v_pk_fma_f32 v[150:151], v[144:145], v[134:135], v[148:149] op_sel:[0,0,1] op_sel_hi:[1,1,0] neg_lo:[0,0,1] neg_hi:[0,0,1]
	v_pk_fma_f32 v[144:145], v[144:145], v[134:135], v[148:149] op_sel:[0,0,1] op_sel_hi:[1,0,0]
	v_dual_mul_f32 v148, v147, v137 :: v_dual_mov_b32 v144, v147
	s_delay_alu instid0(VALU_DEP_2) | instskip(NEXT) | instid1(VALU_DEP_2)
	v_dual_mov_b32 v151, v145 :: v_dual_mov_b32 v145, v146
	v_pk_fma_f32 v[148:149], v[146:147], v[120:121], v[148:149] op_sel_hi:[1,1,0] neg_lo:[0,0,1] neg_hi:[0,0,1]
	v_mul_f32_e32 v146, v147, v134
	s_delay_alu instid0(VALU_DEP_3) | instskip(NEXT) | instid1(VALU_DEP_2)
	v_pk_add_f32 v[86:87], v[86:87], v[150:151] neg_lo:[0,1] neg_hi:[0,1]
	v_pk_fma_f32 v[144:145], v[144:145], v[120:121], v[146:147] op_sel_hi:[1,1,0]
	s_delay_alu instid0(VALU_DEP_1) | instskip(SKIP_4) | instid1(VALU_DEP_1)
	v_mov_b32_e32 v149, v145
	ds_load_2addr_b64 v[144:147], v138 offset0:30 offset1:31
	v_pk_add_f32 v[82:83], v[82:83], v[148:149] neg_lo:[0,1] neg_hi:[0,1]
	s_wait_dscnt 0x0
	v_pk_mul_f32 v[148:149], v[144:145], v[136:137] op_sel:[0,1]
	v_pk_fma_f32 v[150:151], v[144:145], v[134:135], v[148:149] op_sel:[0,0,1] op_sel_hi:[1,1,0] neg_lo:[0,0,1] neg_hi:[0,0,1]
	v_pk_fma_f32 v[144:145], v[144:145], v[134:135], v[148:149] op_sel:[0,0,1] op_sel_hi:[1,0,0]
	s_delay_alu instid0(VALU_DEP_1) | instskip(SKIP_1) | instid1(VALU_DEP_1)
	v_mov_b32_e32 v151, v145
	v_pk_mul_f32 v[144:145], v[146:147], v[136:137] op_sel:[0,1]
	v_pk_fma_f32 v[148:149], v[146:147], v[134:135], v[144:145] op_sel:[0,0,1] op_sel_hi:[1,1,0] neg_lo:[0,0,1] neg_hi:[0,0,1]
	v_pk_fma_f32 v[144:145], v[146:147], v[134:135], v[144:145] op_sel:[0,0,1] op_sel_hi:[1,0,0]
	s_delay_alu instid0(VALU_DEP_1)
	v_mov_b32_e32 v149, v145
	ds_load_2addr_b64 v[144:147], v138 offset0:32 offset1:33
	v_pk_add_f32 v[84:85], v[84:85], v[150:151] neg_lo:[0,1] neg_hi:[0,1]
	v_pk_add_f32 v[26:27], v[26:27], v[148:149] neg_lo:[0,1] neg_hi:[0,1]
	s_wait_dscnt 0x0
	v_pk_mul_f32 v[148:149], v[144:145], v[136:137] op_sel:[0,1]
	s_delay_alu instid0(VALU_DEP_1) | instskip(SKIP_1) | instid1(VALU_DEP_1)
	v_pk_fma_f32 v[150:151], v[144:145], v[134:135], v[148:149] op_sel:[0,0,1] op_sel_hi:[1,1,0] neg_lo:[0,0,1] neg_hi:[0,0,1]
	v_pk_fma_f32 v[144:145], v[144:145], v[134:135], v[148:149] op_sel:[0,0,1] op_sel_hi:[1,0,0]
	v_mov_b32_e32 v151, v145
	v_pk_mul_f32 v[144:145], v[146:147], v[136:137] op_sel:[0,1]
	s_delay_alu instid0(VALU_DEP_1) | instskip(SKIP_1) | instid1(VALU_DEP_1)
	v_pk_fma_f32 v[148:149], v[146:147], v[134:135], v[144:145] op_sel:[0,0,1] op_sel_hi:[1,1,0] neg_lo:[0,0,1] neg_hi:[0,0,1]
	v_pk_fma_f32 v[144:145], v[146:147], v[134:135], v[144:145] op_sel:[0,0,1] op_sel_hi:[1,0,0]
	v_mov_b32_e32 v149, v145
	ds_load_2addr_b64 v[144:147], v138 offset0:34 offset1:35
	v_pk_add_f32 v[80:81], v[80:81], v[150:151] neg_lo:[0,1] neg_hi:[0,1]
	v_pk_add_f32 v[76:77], v[76:77], v[148:149] neg_lo:[0,1] neg_hi:[0,1]
	s_wait_dscnt 0x0
	v_dual_mul_f32 v148, v145, v137 :: v_dual_mul_f32 v150, v145, v134
	s_delay_alu instid0(VALU_DEP_1) | instskip(NEXT) | instid1(VALU_DEP_2)
	v_pk_fma_f32 v[148:149], v[144:145], v[120:121], v[148:149] op_sel_hi:[1,1,0] neg_lo:[0,0,1] neg_hi:[0,0,1]
	v_pk_fma_f32 v[144:145], v[144:145], v[120:121], v[150:151] op_sel:[1,0,0] op_sel_hi:[0,1,0]
	s_delay_alu instid0(VALU_DEP_1) | instskip(SKIP_1) | instid1(VALU_DEP_2)
	v_mov_b32_e32 v149, v145
	v_pk_mul_f32 v[144:145], v[146:147], v[136:137] op_sel:[0,1]
	v_pk_add_f32 v[78:79], v[78:79], v[148:149] neg_lo:[0,1] neg_hi:[0,1]
	s_delay_alu instid0(VALU_DEP_2) | instskip(SKIP_1) | instid1(VALU_DEP_1)
	v_pk_fma_f32 v[148:149], v[146:147], v[134:135], v[144:145] op_sel:[0,0,1] op_sel_hi:[1,1,0] neg_lo:[0,0,1] neg_hi:[0,0,1]
	v_pk_fma_f32 v[144:145], v[146:147], v[134:135], v[144:145] op_sel:[0,0,1] op_sel_hi:[1,0,0]
	v_mov_b32_e32 v149, v145
	ds_load_2addr_b64 v[144:147], v138 offset0:36 offset1:37
	v_pk_add_f32 v[24:25], v[24:25], v[148:149] neg_lo:[0,1] neg_hi:[0,1]
	s_wait_dscnt 0x0
	v_pk_mul_f32 v[148:149], v[144:145], v[136:137] op_sel:[0,1]
	s_delay_alu instid0(VALU_DEP_1) | instskip(SKIP_1) | instid1(VALU_DEP_1)
	v_pk_fma_f32 v[150:151], v[144:145], v[134:135], v[148:149] op_sel:[0,0,1] op_sel_hi:[1,1,0] neg_lo:[0,0,1] neg_hi:[0,0,1]
	v_pk_fma_f32 v[144:145], v[144:145], v[134:135], v[148:149] op_sel:[0,0,1] op_sel_hi:[1,0,0]
	v_mov_b32_e32 v151, v145
	v_pk_mul_f32 v[144:145], v[146:147], v[136:137] op_sel:[0,1]
	s_delay_alu instid0(VALU_DEP_2) | instskip(NEXT) | instid1(VALU_DEP_2)
	v_pk_add_f32 v[74:75], v[74:75], v[150:151] neg_lo:[0,1] neg_hi:[0,1]
	v_pk_fma_f32 v[148:149], v[146:147], v[134:135], v[144:145] op_sel:[0,0,1] op_sel_hi:[1,1,0] neg_lo:[0,0,1] neg_hi:[0,0,1]
	v_pk_fma_f32 v[144:145], v[146:147], v[134:135], v[144:145] op_sel:[0,0,1] op_sel_hi:[1,0,0]
	s_delay_alu instid0(VALU_DEP_1) | instskip(SKIP_4) | instid1(VALU_DEP_1)
	v_mov_b32_e32 v149, v145
	ds_load_2addr_b64 v[144:147], v138 offset0:38 offset1:39
	v_pk_add_f32 v[70:71], v[70:71], v[148:149] neg_lo:[0,1] neg_hi:[0,1]
	s_wait_dscnt 0x0
	v_pk_mul_f32 v[148:149], v[144:145], v[136:137] op_sel:[0,1]
	v_pk_fma_f32 v[150:151], v[144:145], v[134:135], v[148:149] op_sel:[0,0,1] op_sel_hi:[1,1,0] neg_lo:[0,0,1] neg_hi:[0,0,1]
	v_pk_fma_f32 v[144:145], v[144:145], v[134:135], v[148:149] op_sel:[0,0,1] op_sel_hi:[1,0,0]
	v_dual_mul_f32 v148, v147, v137 :: v_dual_mov_b32 v144, v147
	s_delay_alu instid0(VALU_DEP_2) | instskip(NEXT) | instid1(VALU_DEP_2)
	v_dual_mov_b32 v151, v145 :: v_dual_mov_b32 v145, v146
	v_pk_fma_f32 v[148:149], v[146:147], v[120:121], v[148:149] op_sel_hi:[1,1,0] neg_lo:[0,0,1] neg_hi:[0,0,1]
	v_mul_f32_e32 v146, v147, v134
	s_delay_alu instid0(VALU_DEP_3) | instskip(NEXT) | instid1(VALU_DEP_2)
	v_pk_add_f32 v[72:73], v[72:73], v[150:151] neg_lo:[0,1] neg_hi:[0,1]
	v_pk_fma_f32 v[144:145], v[144:145], v[120:121], v[146:147] op_sel_hi:[1,1,0]
	s_delay_alu instid0(VALU_DEP_1) | instskip(SKIP_4) | instid1(VALU_DEP_1)
	v_mov_b32_e32 v149, v145
	ds_load_2addr_b64 v[144:147], v138 offset0:40 offset1:41
	v_pk_add_f32 v[22:23], v[22:23], v[148:149] neg_lo:[0,1] neg_hi:[0,1]
	s_wait_dscnt 0x0
	v_pk_mul_f32 v[148:149], v[144:145], v[136:137] op_sel:[0,1]
	v_pk_fma_f32 v[150:151], v[144:145], v[134:135], v[148:149] op_sel:[0,0,1] op_sel_hi:[1,1,0] neg_lo:[0,0,1] neg_hi:[0,0,1]
	v_pk_fma_f32 v[144:145], v[144:145], v[134:135], v[148:149] op_sel:[0,0,1] op_sel_hi:[1,0,0]
	s_delay_alu instid0(VALU_DEP_1) | instskip(SKIP_1) | instid1(VALU_DEP_1)
	v_mov_b32_e32 v151, v145
	v_pk_mul_f32 v[144:145], v[146:147], v[136:137] op_sel:[0,1]
	v_pk_fma_f32 v[148:149], v[146:147], v[134:135], v[144:145] op_sel:[0,0,1] op_sel_hi:[1,1,0] neg_lo:[0,0,1] neg_hi:[0,0,1]
	v_pk_fma_f32 v[144:145], v[146:147], v[134:135], v[144:145] op_sel:[0,0,1] op_sel_hi:[1,0,0]
	s_delay_alu instid0(VALU_DEP_1)
	v_mov_b32_e32 v149, v145
	ds_load_2addr_b64 v[144:147], v138 offset0:42 offset1:43
	v_pk_add_f32 v[68:69], v[68:69], v[150:151] neg_lo:[0,1] neg_hi:[0,1]
	v_pk_add_f32 v[64:65], v[64:65], v[148:149] neg_lo:[0,1] neg_hi:[0,1]
	s_wait_dscnt 0x0
	v_pk_mul_f32 v[148:149], v[144:145], v[136:137] op_sel:[0,1]
	s_delay_alu instid0(VALU_DEP_1) | instskip(SKIP_1) | instid1(VALU_DEP_1)
	v_pk_fma_f32 v[150:151], v[144:145], v[134:135], v[148:149] op_sel:[0,0,1] op_sel_hi:[1,1,0] neg_lo:[0,0,1] neg_hi:[0,0,1]
	v_pk_fma_f32 v[144:145], v[144:145], v[134:135], v[148:149] op_sel:[0,0,1] op_sel_hi:[1,0,0]
	v_mov_b32_e32 v151, v145
	v_pk_mul_f32 v[144:145], v[146:147], v[136:137] op_sel:[0,1]
	s_delay_alu instid0(VALU_DEP_1) | instskip(SKIP_1) | instid1(VALU_DEP_1)
	v_pk_fma_f32 v[148:149], v[146:147], v[134:135], v[144:145] op_sel:[0,0,1] op_sel_hi:[1,1,0] neg_lo:[0,0,1] neg_hi:[0,0,1]
	v_pk_fma_f32 v[144:145], v[146:147], v[134:135], v[144:145] op_sel:[0,0,1] op_sel_hi:[1,0,0]
	v_mov_b32_e32 v149, v145
	ds_load_2addr_b64 v[144:147], v138 offset0:44 offset1:45
	v_pk_add_f32 v[66:67], v[66:67], v[150:151] neg_lo:[0,1] neg_hi:[0,1]
	v_pk_add_f32 v[18:19], v[18:19], v[148:149] neg_lo:[0,1] neg_hi:[0,1]
	s_wait_dscnt 0x0
	v_dual_mul_f32 v148, v145, v137 :: v_dual_mul_f32 v150, v145, v134
	s_delay_alu instid0(VALU_DEP_1) | instskip(NEXT) | instid1(VALU_DEP_2)
	v_pk_fma_f32 v[148:149], v[144:145], v[120:121], v[148:149] op_sel_hi:[1,1,0] neg_lo:[0,0,1] neg_hi:[0,0,1]
	v_pk_fma_f32 v[144:145], v[144:145], v[120:121], v[150:151] op_sel:[1,0,0] op_sel_hi:[0,1,0]
	s_delay_alu instid0(VALU_DEP_1) | instskip(SKIP_1) | instid1(VALU_DEP_2)
	v_mov_b32_e32 v149, v145
	v_pk_mul_f32 v[144:145], v[146:147], v[136:137] op_sel:[0,1]
	v_pk_add_f32 v[60:61], v[60:61], v[148:149] neg_lo:[0,1] neg_hi:[0,1]
	s_delay_alu instid0(VALU_DEP_2) | instskip(SKIP_1) | instid1(VALU_DEP_1)
	v_pk_fma_f32 v[148:149], v[146:147], v[134:135], v[144:145] op_sel:[0,0,1] op_sel_hi:[1,1,0] neg_lo:[0,0,1] neg_hi:[0,0,1]
	v_pk_fma_f32 v[144:145], v[146:147], v[134:135], v[144:145] op_sel:[0,0,1] op_sel_hi:[1,0,0]
	v_mov_b32_e32 v149, v145
	ds_load_2addr_b64 v[144:147], v138 offset0:46 offset1:47
	v_pk_add_f32 v[56:57], v[56:57], v[148:149] neg_lo:[0,1] neg_hi:[0,1]
	s_wait_dscnt 0x0
	v_pk_mul_f32 v[148:149], v[144:145], v[136:137] op_sel:[0,1]
	s_delay_alu instid0(VALU_DEP_1) | instskip(SKIP_1) | instid1(VALU_DEP_1)
	v_pk_fma_f32 v[150:151], v[144:145], v[134:135], v[148:149] op_sel:[0,0,1] op_sel_hi:[1,1,0] neg_lo:[0,0,1] neg_hi:[0,0,1]
	v_pk_fma_f32 v[144:145], v[144:145], v[134:135], v[148:149] op_sel:[0,0,1] op_sel_hi:[1,0,0]
	v_mov_b32_e32 v151, v145
	v_pk_mul_f32 v[144:145], v[146:147], v[136:137] op_sel:[0,1]
	s_delay_alu instid0(VALU_DEP_2) | instskip(NEXT) | instid1(VALU_DEP_2)
	v_pk_add_f32 v[58:59], v[58:59], v[150:151] neg_lo:[0,1] neg_hi:[0,1]
	v_pk_fma_f32 v[148:149], v[146:147], v[134:135], v[144:145] op_sel:[0,0,1] op_sel_hi:[1,1,0] neg_lo:[0,0,1] neg_hi:[0,0,1]
	v_pk_fma_f32 v[144:145], v[146:147], v[134:135], v[144:145] op_sel:[0,0,1] op_sel_hi:[1,0,0]
	s_delay_alu instid0(VALU_DEP_1) | instskip(SKIP_4) | instid1(VALU_DEP_1)
	v_mov_b32_e32 v149, v145
	ds_load_2addr_b64 v[144:147], v138 offset0:48 offset1:49
	v_pk_add_f32 v[12:13], v[12:13], v[148:149] neg_lo:[0,1] neg_hi:[0,1]
	s_wait_dscnt 0x0
	v_pk_mul_f32 v[148:149], v[144:145], v[136:137] op_sel:[0,1]
	v_pk_fma_f32 v[150:151], v[144:145], v[134:135], v[148:149] op_sel:[0,0,1] op_sel_hi:[1,1,0] neg_lo:[0,0,1] neg_hi:[0,0,1]
	v_pk_fma_f32 v[144:145], v[144:145], v[134:135], v[148:149] op_sel:[0,0,1] op_sel_hi:[1,0,0]
	v_dual_mul_f32 v148, v147, v137 :: v_dual_mov_b32 v144, v147
	s_delay_alu instid0(VALU_DEP_2) | instskip(NEXT) | instid1(VALU_DEP_2)
	v_dual_mov_b32 v151, v145 :: v_dual_mov_b32 v145, v146
	v_pk_fma_f32 v[148:149], v[146:147], v[120:121], v[148:149] op_sel_hi:[1,1,0] neg_lo:[0,0,1] neg_hi:[0,0,1]
	v_mul_f32_e32 v146, v147, v134
	s_delay_alu instid0(VALU_DEP_3) | instskip(NEXT) | instid1(VALU_DEP_2)
	v_pk_add_f32 v[54:55], v[54:55], v[150:151] neg_lo:[0,1] neg_hi:[0,1]
	v_pk_fma_f32 v[144:145], v[144:145], v[120:121], v[146:147] op_sel_hi:[1,1,0]
	s_delay_alu instid0(VALU_DEP_1) | instskip(SKIP_4) | instid1(VALU_DEP_1)
	v_mov_b32_e32 v149, v145
	ds_load_2addr_b64 v[144:147], v138 offset0:50 offset1:51
	v_pk_add_f32 v[52:53], v[52:53], v[148:149] neg_lo:[0,1] neg_hi:[0,1]
	s_wait_dscnt 0x0
	v_pk_mul_f32 v[148:149], v[144:145], v[136:137] op_sel:[0,1]
	v_pk_fma_f32 v[150:151], v[144:145], v[134:135], v[148:149] op_sel:[0,0,1] op_sel_hi:[1,1,0] neg_lo:[0,0,1] neg_hi:[0,0,1]
	v_pk_fma_f32 v[144:145], v[144:145], v[134:135], v[148:149] op_sel:[0,0,1] op_sel_hi:[1,0,0]
	s_delay_alu instid0(VALU_DEP_1) | instskip(SKIP_1) | instid1(VALU_DEP_1)
	v_mov_b32_e32 v151, v145
	v_pk_mul_f32 v[144:145], v[146:147], v[136:137] op_sel:[0,1]
	v_pk_fma_f32 v[148:149], v[146:147], v[134:135], v[144:145] op_sel:[0,0,1] op_sel_hi:[1,1,0] neg_lo:[0,0,1] neg_hi:[0,0,1]
	v_pk_fma_f32 v[144:145], v[146:147], v[134:135], v[144:145] op_sel:[0,0,1] op_sel_hi:[1,0,0]
	s_delay_alu instid0(VALU_DEP_1)
	v_mov_b32_e32 v149, v145
	ds_load_2addr_b64 v[144:147], v138 offset0:52 offset1:53
	v_pk_add_f32 v[62:63], v[62:63], v[150:151] neg_lo:[0,1] neg_hi:[0,1]
	v_pk_add_f32 v[16:17], v[16:17], v[148:149] neg_lo:[0,1] neg_hi:[0,1]
	s_wait_dscnt 0x0
	v_pk_mul_f32 v[148:149], v[144:145], v[136:137] op_sel:[0,1]
	s_delay_alu instid0(VALU_DEP_1) | instskip(SKIP_1) | instid1(VALU_DEP_1)
	v_pk_fma_f32 v[150:151], v[144:145], v[134:135], v[148:149] op_sel:[0,0,1] op_sel_hi:[1,1,0] neg_lo:[0,0,1] neg_hi:[0,0,1]
	v_pk_fma_f32 v[144:145], v[144:145], v[134:135], v[148:149] op_sel:[0,0,1] op_sel_hi:[1,0,0]
	v_mov_b32_e32 v151, v145
	v_pk_mul_f32 v[144:145], v[146:147], v[136:137] op_sel:[0,1]
	s_delay_alu instid0(VALU_DEP_1) | instskip(SKIP_1) | instid1(VALU_DEP_1)
	v_pk_fma_f32 v[148:149], v[146:147], v[134:135], v[144:145] op_sel:[0,0,1] op_sel_hi:[1,1,0] neg_lo:[0,0,1] neg_hi:[0,0,1]
	v_pk_fma_f32 v[144:145], v[146:147], v[134:135], v[144:145] op_sel:[0,0,1] op_sel_hi:[1,0,0]
	v_mov_b32_e32 v149, v145
	ds_load_2addr_b64 v[144:147], v138 offset0:54 offset1:55
	v_pk_add_f32 v[48:49], v[48:49], v[150:151] neg_lo:[0,1] neg_hi:[0,1]
	v_pk_add_f32 v[42:43], v[42:43], v[148:149] neg_lo:[0,1] neg_hi:[0,1]
	s_wait_dscnt 0x0
	v_dual_mul_f32 v148, v145, v137 :: v_dual_mul_f32 v150, v145, v134
	s_delay_alu instid0(VALU_DEP_1) | instskip(NEXT) | instid1(VALU_DEP_2)
	v_pk_fma_f32 v[148:149], v[144:145], v[120:121], v[148:149] op_sel_hi:[1,1,0] neg_lo:[0,0,1] neg_hi:[0,0,1]
	v_pk_fma_f32 v[144:145], v[144:145], v[120:121], v[150:151] op_sel:[1,0,0] op_sel_hi:[0,1,0]
	s_delay_alu instid0(VALU_DEP_1) | instskip(SKIP_1) | instid1(VALU_DEP_2)
	v_mov_b32_e32 v149, v145
	v_pk_mul_f32 v[144:145], v[146:147], v[136:137] op_sel:[0,1]
	v_pk_add_f32 v[46:47], v[46:47], v[148:149] neg_lo:[0,1] neg_hi:[0,1]
	s_delay_alu instid0(VALU_DEP_2) | instskip(SKIP_1) | instid1(VALU_DEP_1)
	v_pk_fma_f32 v[148:149], v[146:147], v[134:135], v[144:145] op_sel:[0,0,1] op_sel_hi:[1,1,0] neg_lo:[0,0,1] neg_hi:[0,0,1]
	v_pk_fma_f32 v[144:145], v[146:147], v[134:135], v[144:145] op_sel:[0,0,1] op_sel_hi:[1,0,0]
	v_mov_b32_e32 v149, v145
	ds_load_2addr_b64 v[144:147], v138 offset0:56 offset1:57
	v_pk_add_f32 v[8:9], v[8:9], v[148:149] neg_lo:[0,1] neg_hi:[0,1]
	s_wait_dscnt 0x0
	v_pk_mul_f32 v[148:149], v[144:145], v[136:137] op_sel:[0,1]
	s_delay_alu instid0(VALU_DEP_1) | instskip(SKIP_1) | instid1(VALU_DEP_1)
	v_pk_fma_f32 v[150:151], v[144:145], v[134:135], v[148:149] op_sel:[0,0,1] op_sel_hi:[1,1,0] neg_lo:[0,0,1] neg_hi:[0,0,1]
	v_pk_fma_f32 v[144:145], v[144:145], v[134:135], v[148:149] op_sel:[0,0,1] op_sel_hi:[1,0,0]
	v_mov_b32_e32 v151, v145
	v_pk_mul_f32 v[144:145], v[146:147], v[136:137] op_sel:[0,1]
	s_delay_alu instid0(VALU_DEP_2) | instskip(NEXT) | instid1(VALU_DEP_2)
	v_pk_add_f32 v[32:33], v[32:33], v[150:151] neg_lo:[0,1] neg_hi:[0,1]
	v_pk_fma_f32 v[148:149], v[146:147], v[134:135], v[144:145] op_sel:[0,0,1] op_sel_hi:[1,1,0] neg_lo:[0,0,1] neg_hi:[0,0,1]
	v_pk_fma_f32 v[144:145], v[146:147], v[134:135], v[144:145] op_sel:[0,0,1] op_sel_hi:[1,0,0]
	s_delay_alu instid0(VALU_DEP_1) | instskip(SKIP_4) | instid1(VALU_DEP_1)
	v_mov_b32_e32 v149, v145
	ds_load_2addr_b64 v[144:147], v138 offset0:58 offset1:59
	v_pk_add_f32 v[28:29], v[28:29], v[148:149] neg_lo:[0,1] neg_hi:[0,1]
	s_wait_dscnt 0x0
	v_pk_mul_f32 v[148:149], v[144:145], v[136:137] op_sel:[0,1]
	v_pk_fma_f32 v[150:151], v[144:145], v[134:135], v[148:149] op_sel:[0,0,1] op_sel_hi:[1,1,0] neg_lo:[0,0,1] neg_hi:[0,0,1]
	v_pk_fma_f32 v[144:145], v[144:145], v[134:135], v[148:149] op_sel:[0,0,1] op_sel_hi:[1,0,0]
	v_dual_mul_f32 v148, v147, v137 :: v_dual_mov_b32 v144, v147
	s_delay_alu instid0(VALU_DEP_2) | instskip(NEXT) | instid1(VALU_DEP_2)
	v_dual_mov_b32 v151, v145 :: v_dual_mov_b32 v145, v146
	v_pk_fma_f32 v[148:149], v[146:147], v[120:121], v[148:149] op_sel_hi:[1,1,0] neg_lo:[0,0,1] neg_hi:[0,0,1]
	v_mul_f32_e32 v146, v147, v134
	s_delay_alu instid0(VALU_DEP_3) | instskip(NEXT) | instid1(VALU_DEP_2)
	v_pk_add_f32 v[30:31], v[30:31], v[150:151] neg_lo:[0,1] neg_hi:[0,1]
	v_pk_fma_f32 v[144:145], v[144:145], v[120:121], v[146:147] op_sel_hi:[1,1,0]
	s_delay_alu instid0(VALU_DEP_1) | instskip(SKIP_4) | instid1(VALU_DEP_1)
	v_mov_b32_e32 v149, v145
	ds_load_2addr_b64 v[144:147], v138 offset0:60 offset1:61
	v_pk_add_f32 v[6:7], v[6:7], v[148:149] neg_lo:[0,1] neg_hi:[0,1]
	s_wait_dscnt 0x0
	v_pk_mul_f32 v[148:149], v[144:145], v[136:137] op_sel:[0,1]
	v_pk_fma_f32 v[150:151], v[144:145], v[134:135], v[148:149] op_sel:[0,0,1] op_sel_hi:[1,1,0] neg_lo:[0,0,1] neg_hi:[0,0,1]
	v_pk_fma_f32 v[144:145], v[144:145], v[134:135], v[148:149] op_sel:[0,0,1] op_sel_hi:[1,0,0]
	s_delay_alu instid0(VALU_DEP_1) | instskip(SKIP_1) | instid1(VALU_DEP_1)
	v_mov_b32_e32 v151, v145
	v_pk_mul_f32 v[144:145], v[146:147], v[136:137] op_sel:[0,1]
	v_pk_fma_f32 v[148:149], v[146:147], v[134:135], v[144:145] op_sel:[0,0,1] op_sel_hi:[1,1,0] neg_lo:[0,0,1] neg_hi:[0,0,1]
	v_pk_fma_f32 v[144:145], v[146:147], v[134:135], v[144:145] op_sel:[0,0,1] op_sel_hi:[1,0,0]
	s_delay_alu instid0(VALU_DEP_1)
	v_mov_b32_e32 v149, v145
	ds_load_2addr_b64 v[144:147], v138 offset0:62 offset1:63
	v_pk_add_f32 v[20:21], v[20:21], v[150:151] neg_lo:[0,1] neg_hi:[0,1]
	v_pk_add_f32 v[14:15], v[14:15], v[148:149] neg_lo:[0,1] neg_hi:[0,1]
	s_wait_dscnt 0x0
	v_pk_mul_f32 v[148:149], v[144:145], v[136:137] op_sel:[0,1]
	v_pk_mul_f32 v[136:137], v[146:147], v[136:137] op_sel:[0,1]
	s_delay_alu instid0(VALU_DEP_2) | instskip(SKIP_1) | instid1(VALU_DEP_1)
	v_pk_fma_f32 v[150:151], v[144:145], v[134:135], v[148:149] op_sel:[0,0,1] op_sel_hi:[1,1,0] neg_lo:[0,0,1] neg_hi:[0,0,1]
	v_pk_fma_f32 v[144:145], v[144:145], v[134:135], v[148:149] op_sel:[0,0,1] op_sel_hi:[1,0,0]
	v_mov_b32_e32 v151, v145
	s_delay_alu instid0(VALU_DEP_4) | instskip(SKIP_1) | instid1(VALU_DEP_1)
	v_pk_fma_f32 v[144:145], v[146:147], v[134:135], v[136:137] op_sel:[0,0,1] op_sel_hi:[1,1,0] neg_lo:[0,0,1] neg_hi:[0,0,1]
	v_pk_fma_f32 v[134:135], v[146:147], v[134:135], v[136:137] op_sel:[0,0,1] op_sel_hi:[1,0,0]
	v_mov_b32_e32 v145, v135
	s_delay_alu instid0(VALU_DEP_4) | instskip(NEXT) | instid1(VALU_DEP_2)
	v_pk_add_f32 v[10:11], v[10:11], v[150:151] neg_lo:[0,1] neg_hi:[0,1]
	v_pk_add_f32 v[132:133], v[132:133], v[144:145] neg_lo:[0,1] neg_hi:[0,1]
.LBB126_125:
	s_or_b32 exec_lo, exec_lo, s0
	v_lshl_add_u32 v134, v142, 3, v138
	s_barrier_signal -1
	s_barrier_wait -1
	ds_store_b64 v134, v[112:113]
	s_wait_dscnt 0x0
	s_barrier_signal -1
	s_barrier_wait -1
	ds_load_b64 v[136:137], v138 offset:48
	v_mov_b32_e32 v134, 6
	s_cmp_lt_i32 s18, 8
	s_cbranch_scc1 .LBB126_128
; %bb.126:
	v_add3_u32 v135, v139, 0, 56
	v_mov_b32_e32 v134, 6
	s_mov_b32 s0, 7
.LBB126_127:                            ; =>This Inner Loop Header: Depth=1
	ds_load_b64 v[144:145], v135
	s_wait_dscnt 0x1
	v_cmp_gt_f32_e32 vcc_lo, 0, v136
	v_cndmask_b32_e64 v146, v136, -v136, vcc_lo
	v_cmp_gt_f32_e32 vcc_lo, 0, v137
	v_cndmask_b32_e64 v148, v137, -v137, vcc_lo
	s_wait_dscnt 0x0
	v_cmp_gt_f32_e32 vcc_lo, 0, v144
	v_cndmask_b32_e64 v147, v144, -v144, vcc_lo
	v_cmp_gt_f32_e32 vcc_lo, 0, v145
	v_cndmask_b32_e64 v149, v145, -v145, vcc_lo
	s_delay_alu instid0(VALU_DEP_1) | instskip(NEXT) | instid1(VALU_DEP_1)
	v_pk_add_f32 v[146:147], v[146:147], v[148:149]
	v_cmp_lt_f32_e32 vcc_lo, v146, v147
	v_dual_add_nc_u32 v135, 8, v135 :: v_dual_cndmask_b32 v137, v137, v145, vcc_lo
	v_cndmask_b32_e32 v136, v136, v144, vcc_lo
	v_cndmask_b32_e64 v134, v134, s0, vcc_lo
	s_add_co_i32 s0, s0, 1
	s_delay_alu instid0(SALU_CYCLE_1)
	s_cmp_lg_u32 s18, s0
	s_cbranch_scc1 .LBB126_127
.LBB126_128:
	s_wait_dscnt 0x0
	v_cmp_eq_f32_e32 vcc_lo, 0, v136
	v_cmp_eq_f32_e64 s0, 0, v137
	s_and_b32 s0, vcc_lo, s0
	s_delay_alu instid0(SALU_CYCLE_1) | instskip(NEXT) | instid1(SALU_CYCLE_1)
	s_and_saveexec_b32 s1, s0
	s_xor_b32 s0, exec_lo, s1
; %bb.129:
	v_cmp_ne_u32_e32 vcc_lo, 0, v140
	v_cndmask_b32_e32 v140, 7, v140, vcc_lo
; %bb.130:
	s_and_not1_saveexec_b32 s0, s0
	s_cbranch_execz .LBB126_136
; %bb.131:
	v_cmp_ngt_f32_e64 s1, |v136|, |v137|
	s_and_saveexec_b32 s12, s1
	s_delay_alu instid0(SALU_CYCLE_1)
	s_xor_b32 s1, exec_lo, s12
	s_cbranch_execz .LBB126_133
; %bb.132:
	v_div_scale_f32 v135, null, v137, v137, v136
	v_div_scale_f32 v145, vcc_lo, v136, v137, v136
	s_delay_alu instid0(VALU_DEP_2) | instskip(SKIP_1) | instid1(TRANS32_DEP_1)
	v_rcp_f32_e32 v143, v135
	v_nop
	v_fma_f32 v144, -v135, v143, 1.0
	s_delay_alu instid0(VALU_DEP_1) | instskip(NEXT) | instid1(VALU_DEP_1)
	v_fmac_f32_e32 v143, v144, v143
	v_mul_f32_e32 v144, v145, v143
	s_delay_alu instid0(VALU_DEP_1) | instskip(NEXT) | instid1(VALU_DEP_1)
	v_fma_f32 v146, -v135, v144, v145
	v_fmac_f32_e32 v144, v146, v143
	s_delay_alu instid0(VALU_DEP_1) | instskip(NEXT) | instid1(VALU_DEP_1)
	v_fma_f32 v135, -v135, v144, v145
	v_div_fmas_f32 v135, v135, v143, v144
	s_delay_alu instid0(VALU_DEP_1) | instskip(NEXT) | instid1(VALU_DEP_1)
	v_div_fixup_f32 v135, v135, v137, v136
	v_fmac_f32_e32 v137, v136, v135
	s_delay_alu instid0(VALU_DEP_1) | instskip(SKIP_1) | instid1(VALU_DEP_2)
	v_div_scale_f32 v136, null, v137, v137, 1.0
	v_div_scale_f32 v145, vcc_lo, 1.0, v137, 1.0
	v_rcp_f32_e32 v143, v136
	v_nop
	s_delay_alu instid0(TRANS32_DEP_1) | instskip(NEXT) | instid1(VALU_DEP_1)
	v_fma_f32 v144, -v136, v143, 1.0
	v_fmac_f32_e32 v143, v144, v143
	s_delay_alu instid0(VALU_DEP_1) | instskip(NEXT) | instid1(VALU_DEP_1)
	v_mul_f32_e32 v144, v145, v143
	v_fma_f32 v146, -v136, v144, v145
	s_delay_alu instid0(VALU_DEP_1) | instskip(NEXT) | instid1(VALU_DEP_1)
	v_fmac_f32_e32 v144, v146, v143
	v_fma_f32 v136, -v136, v144, v145
	s_delay_alu instid0(VALU_DEP_1) | instskip(NEXT) | instid1(VALU_DEP_1)
	v_div_fmas_f32 v136, v136, v143, v144
	v_div_fixup_f32 v137, v136, v137, 1.0
	s_delay_alu instid0(VALU_DEP_1)
	v_mul_f32_e32 v136, v135, v137
	v_xor_b32_e32 v137, 0x80000000, v137
.LBB126_133:
	s_and_not1_saveexec_b32 s1, s1
	s_cbranch_execz .LBB126_135
; %bb.134:
	s_delay_alu instid0(VALU_DEP_1) | instskip(SKIP_1) | instid1(VALU_DEP_2)
	v_div_scale_f32 v135, null, v136, v136, v137
	v_div_scale_f32 v145, vcc_lo, v137, v136, v137
	v_rcp_f32_e32 v143, v135
	v_nop
	s_delay_alu instid0(TRANS32_DEP_1) | instskip(NEXT) | instid1(VALU_DEP_1)
	v_fma_f32 v144, -v135, v143, 1.0
	v_fmac_f32_e32 v143, v144, v143
	s_delay_alu instid0(VALU_DEP_1) | instskip(NEXT) | instid1(VALU_DEP_1)
	v_mul_f32_e32 v144, v145, v143
	v_fma_f32 v146, -v135, v144, v145
	s_delay_alu instid0(VALU_DEP_1) | instskip(NEXT) | instid1(VALU_DEP_1)
	v_fmac_f32_e32 v144, v146, v143
	v_fma_f32 v135, -v135, v144, v145
	s_delay_alu instid0(VALU_DEP_1) | instskip(NEXT) | instid1(VALU_DEP_1)
	v_div_fmas_f32 v135, v135, v143, v144
	v_div_fixup_f32 v135, v135, v136, v137
	s_delay_alu instid0(VALU_DEP_1) | instskip(NEXT) | instid1(VALU_DEP_1)
	v_fmac_f32_e32 v136, v137, v135
	v_div_scale_f32 v137, null, v136, v136, 1.0
	s_delay_alu instid0(VALU_DEP_1) | instskip(SKIP_1) | instid1(TRANS32_DEP_1)
	v_rcp_f32_e32 v143, v137
	v_nop
	v_fma_f32 v144, -v137, v143, 1.0
	s_delay_alu instid0(VALU_DEP_1) | instskip(SKIP_1) | instid1(VALU_DEP_1)
	v_fmac_f32_e32 v143, v144, v143
	v_div_scale_f32 v144, vcc_lo, 1.0, v136, 1.0
	v_mul_f32_e32 v145, v144, v143
	s_delay_alu instid0(VALU_DEP_1) | instskip(NEXT) | instid1(VALU_DEP_1)
	v_fma_f32 v146, -v137, v145, v144
	v_fmac_f32_e32 v145, v146, v143
	s_delay_alu instid0(VALU_DEP_1) | instskip(NEXT) | instid1(VALU_DEP_1)
	v_fma_f32 v137, -v137, v145, v144
	v_div_fmas_f32 v137, v137, v143, v145
	s_delay_alu instid0(VALU_DEP_1) | instskip(NEXT) | instid1(VALU_DEP_1)
	v_div_fixup_f32 v136, v137, v136, 1.0
	v_mul_f32_e64 v137, v135, -v136
.LBB126_135:
	s_or_b32 exec_lo, exec_lo, s1
.LBB126_136:
	s_delay_alu instid0(SALU_CYCLE_1) | instskip(NEXT) | instid1(SALU_CYCLE_1)
	s_or_b32 exec_lo, exec_lo, s0
	s_mov_b32 s0, exec_lo
	v_cmpx_ne_u32_e64 v142, v134
	s_xor_b32 s0, exec_lo, s0
	s_cbranch_execz .LBB126_142
; %bb.137:
	s_mov_b32 s1, exec_lo
	v_cmpx_eq_u32_e32 6, v142
	s_cbranch_execz .LBB126_141
; %bb.138:
	v_cmp_ne_u32_e32 vcc_lo, 6, v134
	s_xor_b32 s12, s16, -1
	s_delay_alu instid0(SALU_CYCLE_1) | instskip(NEXT) | instid1(SALU_CYCLE_1)
	s_and_b32 s13, s12, vcc_lo
	s_and_saveexec_b32 s12, s13
	s_cbranch_execz .LBB126_140
; %bb.139:
	v_ashrrev_i32_e32 v135, 31, v134
	s_delay_alu instid0(VALU_DEP_1)
	v_lshl_add_u64 v[142:143], v[134:135], 2, v[4:5]
	s_clause 0x1
	global_load_b32 v135, v[142:143], off
	global_load_b32 v141, v[4:5], off offset:24
	s_wait_loadcnt 0x1
	global_store_b32 v[4:5], v135, off offset:24
	s_wait_loadcnt 0x0
	global_store_b32 v[142:143], v141, off
.LBB126_140:
	s_wait_xcnt 0x0
	s_or_b32 exec_lo, exec_lo, s12
	v_dual_mov_b32 v142, v134 :: v_dual_mov_b32 v141, v134
.LBB126_141:
	s_or_b32 exec_lo, exec_lo, s1
.LBB126_142:
	s_and_not1_saveexec_b32 s0, s0
	s_cbranch_execz .LBB126_144
; %bb.143:
	v_mov_b32_e32 v142, 6
	ds_store_2addr_b64 v138, v[44:45], v[118:119] offset0:7 offset1:8
	ds_store_2addr_b64 v138, v[114:115], v[116:117] offset0:9 offset1:10
	;; [unrolled: 1-line block ×28, first 2 shown]
	ds_store_b64 v138, v[132:133] offset:504
.LBB126_144:
	s_or_b32 exec_lo, exec_lo, s0
	s_delay_alu instid0(SALU_CYCLE_1)
	s_mov_b32 s0, exec_lo
	s_wait_storecnt_dscnt 0x0
	s_barrier_signal -1
	s_barrier_wait -1
	v_cmpx_lt_i32_e32 6, v142
	s_cbranch_execz .LBB126_146
; %bb.145:
	v_pk_mul_f32 v[144:145], v[136:137], v[112:113] op_sel:[1,1] op_sel_hi:[0,1]
	s_delay_alu instid0(VALU_DEP_1)
	v_pk_fma_f32 v[134:135], v[136:137], v[112:113], v[144:145] op_sel_hi:[1,0,1] neg_lo:[0,0,1] neg_hi:[0,0,1]
	v_pk_fma_f32 v[136:137], v[136:137], v[112:113], v[144:145] op_sel_hi:[1,0,1]
	ds_load_2addr_b64 v[144:147], v138 offset0:7 offset1:8
	v_dual_mov_b32 v112, v134 :: v_dual_mov_b32 v113, v137
	s_wait_dscnt 0x0
	v_pk_mul_f32 v[148:149], v[144:145], v[136:137] op_sel:[0,1]
	s_delay_alu instid0(VALU_DEP_1) | instskip(SKIP_1) | instid1(VALU_DEP_1)
	v_pk_fma_f32 v[150:151], v[144:145], v[134:135], v[148:149] op_sel:[0,0,1] op_sel_hi:[1,1,0] neg_lo:[0,0,1] neg_hi:[0,0,1]
	v_pk_fma_f32 v[144:145], v[144:145], v[134:135], v[148:149] op_sel:[0,0,1] op_sel_hi:[1,0,0]
	v_mov_b32_e32 v151, v145
	v_pk_mul_f32 v[144:145], v[146:147], v[136:137] op_sel:[0,1]
	s_delay_alu instid0(VALU_DEP_1) | instskip(SKIP_1) | instid1(VALU_DEP_1)
	v_pk_fma_f32 v[148:149], v[146:147], v[134:135], v[144:145] op_sel:[0,0,1] op_sel_hi:[1,1,0] neg_lo:[0,0,1] neg_hi:[0,0,1]
	v_pk_fma_f32 v[144:145], v[146:147], v[134:135], v[144:145] op_sel:[0,0,1] op_sel_hi:[1,0,0]
	v_mov_b32_e32 v149, v145
	ds_load_2addr_b64 v[144:147], v138 offset0:9 offset1:10
	v_pk_add_f32 v[44:45], v[44:45], v[150:151] neg_lo:[0,1] neg_hi:[0,1]
	v_pk_add_f32 v[118:119], v[118:119], v[148:149] neg_lo:[0,1] neg_hi:[0,1]
	s_wait_dscnt 0x0
	v_pk_mul_f32 v[148:149], v[144:145], v[136:137] op_sel:[0,1]
	s_delay_alu instid0(VALU_DEP_1) | instskip(SKIP_2) | instid1(VALU_DEP_2)
	v_pk_fma_f32 v[150:151], v[144:145], v[134:135], v[148:149] op_sel:[0,0,1] op_sel_hi:[1,1,0] neg_lo:[0,0,1] neg_hi:[0,0,1]
	v_pk_fma_f32 v[144:145], v[144:145], v[134:135], v[148:149] op_sel:[0,0,1] op_sel_hi:[1,0,0]
	v_dual_mul_f32 v148, v147, v137 :: v_dual_mov_b32 v144, v147
	v_dual_mov_b32 v151, v145 :: v_dual_mov_b32 v145, v146
	s_delay_alu instid0(VALU_DEP_2) | instskip(SKIP_1) | instid1(VALU_DEP_3)
	v_pk_fma_f32 v[148:149], v[146:147], v[112:113], v[148:149] op_sel_hi:[1,1,0] neg_lo:[0,0,1] neg_hi:[0,0,1]
	v_mul_f32_e32 v146, v147, v134
	v_pk_add_f32 v[114:115], v[114:115], v[150:151] neg_lo:[0,1] neg_hi:[0,1]
	s_delay_alu instid0(VALU_DEP_2) | instskip(NEXT) | instid1(VALU_DEP_1)
	v_pk_fma_f32 v[144:145], v[144:145], v[112:113], v[146:147] op_sel_hi:[1,1,0]
	v_mov_b32_e32 v149, v145
	ds_load_2addr_b64 v[144:147], v138 offset0:11 offset1:12
	v_pk_add_f32 v[116:117], v[116:117], v[148:149] neg_lo:[0,1] neg_hi:[0,1]
	s_wait_dscnt 0x0
	v_pk_mul_f32 v[148:149], v[144:145], v[136:137] op_sel:[0,1]
	s_delay_alu instid0(VALU_DEP_1) | instskip(SKIP_1) | instid1(VALU_DEP_1)
	v_pk_fma_f32 v[150:151], v[144:145], v[134:135], v[148:149] op_sel:[0,0,1] op_sel_hi:[1,1,0] neg_lo:[0,0,1] neg_hi:[0,0,1]
	v_pk_fma_f32 v[144:145], v[144:145], v[134:135], v[148:149] op_sel:[0,0,1] op_sel_hi:[1,0,0]
	v_mov_b32_e32 v151, v145
	v_pk_mul_f32 v[144:145], v[146:147], v[136:137] op_sel:[0,1]
	s_delay_alu instid0(VALU_DEP_1) | instskip(SKIP_1) | instid1(VALU_DEP_1)
	v_pk_fma_f32 v[148:149], v[146:147], v[134:135], v[144:145] op_sel:[0,0,1] op_sel_hi:[1,1,0] neg_lo:[0,0,1] neg_hi:[0,0,1]
	v_pk_fma_f32 v[144:145], v[146:147], v[134:135], v[144:145] op_sel:[0,0,1] op_sel_hi:[1,0,0]
	v_mov_b32_e32 v149, v145
	ds_load_2addr_b64 v[144:147], v138 offset0:13 offset1:14
	v_pk_add_f32 v[50:51], v[50:51], v[150:151] neg_lo:[0,1] neg_hi:[0,1]
	v_pk_add_f32 v[110:111], v[110:111], v[148:149] neg_lo:[0,1] neg_hi:[0,1]
	s_wait_dscnt 0x0
	v_pk_mul_f32 v[148:149], v[144:145], v[136:137] op_sel:[0,1]
	s_delay_alu instid0(VALU_DEP_1) | instskip(SKIP_1) | instid1(VALU_DEP_1)
	v_pk_fma_f32 v[150:151], v[144:145], v[134:135], v[148:149] op_sel:[0,0,1] op_sel_hi:[1,1,0] neg_lo:[0,0,1] neg_hi:[0,0,1]
	v_pk_fma_f32 v[144:145], v[144:145], v[134:135], v[148:149] op_sel:[0,0,1] op_sel_hi:[1,0,0]
	v_mov_b32_e32 v151, v145
	v_pk_mul_f32 v[144:145], v[146:147], v[136:137] op_sel:[0,1]
	s_delay_alu instid0(VALU_DEP_1) | instskip(SKIP_1) | instid1(VALU_DEP_1)
	v_pk_fma_f32 v[148:149], v[146:147], v[134:135], v[144:145] op_sel:[0,0,1] op_sel_hi:[1,1,0] neg_lo:[0,0,1] neg_hi:[0,0,1]
	v_pk_fma_f32 v[144:145], v[146:147], v[134:135], v[144:145] op_sel:[0,0,1] op_sel_hi:[1,0,0]
	v_mov_b32_e32 v149, v145
	ds_load_2addr_b64 v[144:147], v138 offset0:15 offset1:16
	v_pk_add_f32 v[106:107], v[106:107], v[150:151] neg_lo:[0,1] neg_hi:[0,1]
	v_pk_add_f32 v[108:109], v[108:109], v[148:149] neg_lo:[0,1] neg_hi:[0,1]
	s_wait_dscnt 0x0
	v_dual_mul_f32 v148, v145, v137 :: v_dual_mul_f32 v150, v145, v134
	s_delay_alu instid0(VALU_DEP_1) | instskip(NEXT) | instid1(VALU_DEP_2)
	v_pk_fma_f32 v[148:149], v[144:145], v[112:113], v[148:149] op_sel_hi:[1,1,0] neg_lo:[0,0,1] neg_hi:[0,0,1]
	v_pk_fma_f32 v[144:145], v[144:145], v[112:113], v[150:151] op_sel:[1,0,0] op_sel_hi:[0,1,0]
	s_delay_alu instid0(VALU_DEP_1) | instskip(SKIP_1) | instid1(VALU_DEP_2)
	v_mov_b32_e32 v149, v145
	v_pk_mul_f32 v[144:145], v[146:147], v[136:137] op_sel:[0,1]
	v_pk_add_f32 v[40:41], v[40:41], v[148:149] neg_lo:[0,1] neg_hi:[0,1]
	s_delay_alu instid0(VALU_DEP_2) | instskip(SKIP_1) | instid1(VALU_DEP_1)
	v_pk_fma_f32 v[148:149], v[146:147], v[134:135], v[144:145] op_sel:[0,0,1] op_sel_hi:[1,1,0] neg_lo:[0,0,1] neg_hi:[0,0,1]
	v_pk_fma_f32 v[144:145], v[146:147], v[134:135], v[144:145] op_sel:[0,0,1] op_sel_hi:[1,0,0]
	v_mov_b32_e32 v149, v145
	ds_load_2addr_b64 v[144:147], v138 offset0:17 offset1:18
	v_pk_add_f32 v[104:105], v[104:105], v[148:149] neg_lo:[0,1] neg_hi:[0,1]
	s_wait_dscnt 0x0
	v_pk_mul_f32 v[148:149], v[144:145], v[136:137] op_sel:[0,1]
	s_delay_alu instid0(VALU_DEP_1) | instskip(SKIP_1) | instid1(VALU_DEP_1)
	v_pk_fma_f32 v[150:151], v[144:145], v[134:135], v[148:149] op_sel:[0,0,1] op_sel_hi:[1,1,0] neg_lo:[0,0,1] neg_hi:[0,0,1]
	v_pk_fma_f32 v[144:145], v[144:145], v[134:135], v[148:149] op_sel:[0,0,1] op_sel_hi:[1,0,0]
	v_mov_b32_e32 v151, v145
	v_pk_mul_f32 v[144:145], v[146:147], v[136:137] op_sel:[0,1]
	s_delay_alu instid0(VALU_DEP_2) | instskip(NEXT) | instid1(VALU_DEP_2)
	v_pk_add_f32 v[100:101], v[100:101], v[150:151] neg_lo:[0,1] neg_hi:[0,1]
	v_pk_fma_f32 v[148:149], v[146:147], v[134:135], v[144:145] op_sel:[0,0,1] op_sel_hi:[1,1,0] neg_lo:[0,0,1] neg_hi:[0,0,1]
	v_pk_fma_f32 v[144:145], v[146:147], v[134:135], v[144:145] op_sel:[0,0,1] op_sel_hi:[1,0,0]
	s_delay_alu instid0(VALU_DEP_1) | instskip(SKIP_4) | instid1(VALU_DEP_1)
	v_mov_b32_e32 v149, v145
	ds_load_2addr_b64 v[144:147], v138 offset0:19 offset1:20
	v_pk_add_f32 v[102:103], v[102:103], v[148:149] neg_lo:[0,1] neg_hi:[0,1]
	s_wait_dscnt 0x0
	v_pk_mul_f32 v[148:149], v[144:145], v[136:137] op_sel:[0,1]
	v_pk_fma_f32 v[150:151], v[144:145], v[134:135], v[148:149] op_sel:[0,0,1] op_sel_hi:[1,1,0] neg_lo:[0,0,1] neg_hi:[0,0,1]
	v_pk_fma_f32 v[144:145], v[144:145], v[134:135], v[148:149] op_sel:[0,0,1] op_sel_hi:[1,0,0]
	v_dual_mul_f32 v148, v147, v137 :: v_dual_mov_b32 v144, v147
	s_delay_alu instid0(VALU_DEP_2) | instskip(NEXT) | instid1(VALU_DEP_2)
	v_dual_mov_b32 v151, v145 :: v_dual_mov_b32 v145, v146
	v_pk_fma_f32 v[148:149], v[146:147], v[112:113], v[148:149] op_sel_hi:[1,1,0] neg_lo:[0,0,1] neg_hi:[0,0,1]
	v_mul_f32_e32 v146, v147, v134
	s_delay_alu instid0(VALU_DEP_3) | instskip(NEXT) | instid1(VALU_DEP_2)
	v_pk_add_f32 v[38:39], v[38:39], v[150:151] neg_lo:[0,1] neg_hi:[0,1]
	v_pk_fma_f32 v[144:145], v[144:145], v[112:113], v[146:147] op_sel_hi:[1,1,0]
	s_delay_alu instid0(VALU_DEP_1) | instskip(SKIP_4) | instid1(VALU_DEP_1)
	v_mov_b32_e32 v149, v145
	ds_load_2addr_b64 v[144:147], v138 offset0:21 offset1:22
	v_pk_add_f32 v[98:99], v[98:99], v[148:149] neg_lo:[0,1] neg_hi:[0,1]
	s_wait_dscnt 0x0
	v_pk_mul_f32 v[148:149], v[144:145], v[136:137] op_sel:[0,1]
	v_pk_fma_f32 v[150:151], v[144:145], v[134:135], v[148:149] op_sel:[0,0,1] op_sel_hi:[1,1,0] neg_lo:[0,0,1] neg_hi:[0,0,1]
	v_pk_fma_f32 v[144:145], v[144:145], v[134:135], v[148:149] op_sel:[0,0,1] op_sel_hi:[1,0,0]
	s_delay_alu instid0(VALU_DEP_1) | instskip(SKIP_1) | instid1(VALU_DEP_1)
	v_mov_b32_e32 v151, v145
	v_pk_mul_f32 v[144:145], v[146:147], v[136:137] op_sel:[0,1]
	v_pk_fma_f32 v[148:149], v[146:147], v[134:135], v[144:145] op_sel:[0,0,1] op_sel_hi:[1,1,0] neg_lo:[0,0,1] neg_hi:[0,0,1]
	v_pk_fma_f32 v[144:145], v[146:147], v[134:135], v[144:145] op_sel:[0,0,1] op_sel_hi:[1,0,0]
	s_delay_alu instid0(VALU_DEP_1)
	v_mov_b32_e32 v149, v145
	ds_load_2addr_b64 v[144:147], v138 offset0:23 offset1:24
	v_pk_add_f32 v[94:95], v[94:95], v[150:151] neg_lo:[0,1] neg_hi:[0,1]
	v_pk_add_f32 v[96:97], v[96:97], v[148:149] neg_lo:[0,1] neg_hi:[0,1]
	s_wait_dscnt 0x0
	v_pk_mul_f32 v[148:149], v[144:145], v[136:137] op_sel:[0,1]
	s_delay_alu instid0(VALU_DEP_1) | instskip(SKIP_1) | instid1(VALU_DEP_1)
	v_pk_fma_f32 v[150:151], v[144:145], v[134:135], v[148:149] op_sel:[0,0,1] op_sel_hi:[1,1,0] neg_lo:[0,0,1] neg_hi:[0,0,1]
	v_pk_fma_f32 v[144:145], v[144:145], v[134:135], v[148:149] op_sel:[0,0,1] op_sel_hi:[1,0,0]
	v_mov_b32_e32 v151, v145
	v_pk_mul_f32 v[144:145], v[146:147], v[136:137] op_sel:[0,1]
	s_delay_alu instid0(VALU_DEP_1) | instskip(SKIP_1) | instid1(VALU_DEP_1)
	v_pk_fma_f32 v[148:149], v[146:147], v[134:135], v[144:145] op_sel:[0,0,1] op_sel_hi:[1,1,0] neg_lo:[0,0,1] neg_hi:[0,0,1]
	v_pk_fma_f32 v[144:145], v[146:147], v[134:135], v[144:145] op_sel:[0,0,1] op_sel_hi:[1,0,0]
	v_mov_b32_e32 v149, v145
	ds_load_2addr_b64 v[144:147], v138 offset0:25 offset1:26
	v_pk_add_f32 v[36:37], v[36:37], v[150:151] neg_lo:[0,1] neg_hi:[0,1]
	v_pk_add_f32 v[92:93], v[92:93], v[148:149] neg_lo:[0,1] neg_hi:[0,1]
	s_wait_dscnt 0x0
	v_dual_mul_f32 v148, v145, v137 :: v_dual_mul_f32 v150, v145, v134
	s_delay_alu instid0(VALU_DEP_1) | instskip(NEXT) | instid1(VALU_DEP_2)
	v_pk_fma_f32 v[148:149], v[144:145], v[112:113], v[148:149] op_sel_hi:[1,1,0] neg_lo:[0,0,1] neg_hi:[0,0,1]
	v_pk_fma_f32 v[144:145], v[144:145], v[112:113], v[150:151] op_sel:[1,0,0] op_sel_hi:[0,1,0]
	s_delay_alu instid0(VALU_DEP_1) | instskip(SKIP_1) | instid1(VALU_DEP_2)
	v_mov_b32_e32 v149, v145
	v_pk_mul_f32 v[144:145], v[146:147], v[136:137] op_sel:[0,1]
	v_pk_add_f32 v[88:89], v[88:89], v[148:149] neg_lo:[0,1] neg_hi:[0,1]
	s_delay_alu instid0(VALU_DEP_2) | instskip(SKIP_1) | instid1(VALU_DEP_1)
	v_pk_fma_f32 v[148:149], v[146:147], v[134:135], v[144:145] op_sel:[0,0,1] op_sel_hi:[1,1,0] neg_lo:[0,0,1] neg_hi:[0,0,1]
	v_pk_fma_f32 v[144:145], v[146:147], v[134:135], v[144:145] op_sel:[0,0,1] op_sel_hi:[1,0,0]
	v_mov_b32_e32 v149, v145
	ds_load_2addr_b64 v[144:147], v138 offset0:27 offset1:28
	v_pk_add_f32 v[90:91], v[90:91], v[148:149] neg_lo:[0,1] neg_hi:[0,1]
	s_wait_dscnt 0x0
	v_pk_mul_f32 v[148:149], v[144:145], v[136:137] op_sel:[0,1]
	s_delay_alu instid0(VALU_DEP_1) | instskip(SKIP_1) | instid1(VALU_DEP_1)
	v_pk_fma_f32 v[150:151], v[144:145], v[134:135], v[148:149] op_sel:[0,0,1] op_sel_hi:[1,1,0] neg_lo:[0,0,1] neg_hi:[0,0,1]
	v_pk_fma_f32 v[144:145], v[144:145], v[134:135], v[148:149] op_sel:[0,0,1] op_sel_hi:[1,0,0]
	v_mov_b32_e32 v151, v145
	v_pk_mul_f32 v[144:145], v[146:147], v[136:137] op_sel:[0,1]
	s_delay_alu instid0(VALU_DEP_2) | instskip(NEXT) | instid1(VALU_DEP_2)
	v_pk_add_f32 v[34:35], v[34:35], v[150:151] neg_lo:[0,1] neg_hi:[0,1]
	v_pk_fma_f32 v[148:149], v[146:147], v[134:135], v[144:145] op_sel:[0,0,1] op_sel_hi:[1,1,0] neg_lo:[0,0,1] neg_hi:[0,0,1]
	v_pk_fma_f32 v[144:145], v[146:147], v[134:135], v[144:145] op_sel:[0,0,1] op_sel_hi:[1,0,0]
	s_delay_alu instid0(VALU_DEP_1) | instskip(SKIP_4) | instid1(VALU_DEP_1)
	v_mov_b32_e32 v149, v145
	ds_load_2addr_b64 v[144:147], v138 offset0:29 offset1:30
	v_pk_add_f32 v[86:87], v[86:87], v[148:149] neg_lo:[0,1] neg_hi:[0,1]
	s_wait_dscnt 0x0
	v_pk_mul_f32 v[148:149], v[144:145], v[136:137] op_sel:[0,1]
	v_pk_fma_f32 v[150:151], v[144:145], v[134:135], v[148:149] op_sel:[0,0,1] op_sel_hi:[1,1,0] neg_lo:[0,0,1] neg_hi:[0,0,1]
	v_pk_fma_f32 v[144:145], v[144:145], v[134:135], v[148:149] op_sel:[0,0,1] op_sel_hi:[1,0,0]
	v_dual_mul_f32 v148, v147, v137 :: v_dual_mov_b32 v144, v147
	s_delay_alu instid0(VALU_DEP_2) | instskip(NEXT) | instid1(VALU_DEP_2)
	v_dual_mov_b32 v151, v145 :: v_dual_mov_b32 v145, v146
	v_pk_fma_f32 v[148:149], v[146:147], v[112:113], v[148:149] op_sel_hi:[1,1,0] neg_lo:[0,0,1] neg_hi:[0,0,1]
	v_mul_f32_e32 v146, v147, v134
	s_delay_alu instid0(VALU_DEP_3) | instskip(NEXT) | instid1(VALU_DEP_2)
	v_pk_add_f32 v[82:83], v[82:83], v[150:151] neg_lo:[0,1] neg_hi:[0,1]
	v_pk_fma_f32 v[144:145], v[144:145], v[112:113], v[146:147] op_sel_hi:[1,1,0]
	s_delay_alu instid0(VALU_DEP_1) | instskip(SKIP_4) | instid1(VALU_DEP_1)
	v_mov_b32_e32 v149, v145
	ds_load_2addr_b64 v[144:147], v138 offset0:31 offset1:32
	v_pk_add_f32 v[84:85], v[84:85], v[148:149] neg_lo:[0,1] neg_hi:[0,1]
	s_wait_dscnt 0x0
	v_pk_mul_f32 v[148:149], v[144:145], v[136:137] op_sel:[0,1]
	v_pk_fma_f32 v[150:151], v[144:145], v[134:135], v[148:149] op_sel:[0,0,1] op_sel_hi:[1,1,0] neg_lo:[0,0,1] neg_hi:[0,0,1]
	v_pk_fma_f32 v[144:145], v[144:145], v[134:135], v[148:149] op_sel:[0,0,1] op_sel_hi:[1,0,0]
	s_delay_alu instid0(VALU_DEP_1) | instskip(SKIP_1) | instid1(VALU_DEP_1)
	v_mov_b32_e32 v151, v145
	v_pk_mul_f32 v[144:145], v[146:147], v[136:137] op_sel:[0,1]
	v_pk_fma_f32 v[148:149], v[146:147], v[134:135], v[144:145] op_sel:[0,0,1] op_sel_hi:[1,1,0] neg_lo:[0,0,1] neg_hi:[0,0,1]
	v_pk_fma_f32 v[144:145], v[146:147], v[134:135], v[144:145] op_sel:[0,0,1] op_sel_hi:[1,0,0]
	s_delay_alu instid0(VALU_DEP_1)
	v_mov_b32_e32 v149, v145
	ds_load_2addr_b64 v[144:147], v138 offset0:33 offset1:34
	v_pk_add_f32 v[26:27], v[26:27], v[150:151] neg_lo:[0,1] neg_hi:[0,1]
	v_pk_add_f32 v[80:81], v[80:81], v[148:149] neg_lo:[0,1] neg_hi:[0,1]
	s_wait_dscnt 0x0
	v_pk_mul_f32 v[148:149], v[144:145], v[136:137] op_sel:[0,1]
	s_delay_alu instid0(VALU_DEP_1) | instskip(SKIP_1) | instid1(VALU_DEP_1)
	v_pk_fma_f32 v[150:151], v[144:145], v[134:135], v[148:149] op_sel:[0,0,1] op_sel_hi:[1,1,0] neg_lo:[0,0,1] neg_hi:[0,0,1]
	v_pk_fma_f32 v[144:145], v[144:145], v[134:135], v[148:149] op_sel:[0,0,1] op_sel_hi:[1,0,0]
	v_mov_b32_e32 v151, v145
	v_pk_mul_f32 v[144:145], v[146:147], v[136:137] op_sel:[0,1]
	s_delay_alu instid0(VALU_DEP_1) | instskip(SKIP_1) | instid1(VALU_DEP_1)
	v_pk_fma_f32 v[148:149], v[146:147], v[134:135], v[144:145] op_sel:[0,0,1] op_sel_hi:[1,1,0] neg_lo:[0,0,1] neg_hi:[0,0,1]
	v_pk_fma_f32 v[144:145], v[146:147], v[134:135], v[144:145] op_sel:[0,0,1] op_sel_hi:[1,0,0]
	v_mov_b32_e32 v149, v145
	ds_load_2addr_b64 v[144:147], v138 offset0:35 offset1:36
	v_pk_add_f32 v[76:77], v[76:77], v[150:151] neg_lo:[0,1] neg_hi:[0,1]
	v_pk_add_f32 v[78:79], v[78:79], v[148:149] neg_lo:[0,1] neg_hi:[0,1]
	s_wait_dscnt 0x0
	v_dual_mul_f32 v148, v145, v137 :: v_dual_mul_f32 v150, v145, v134
	s_delay_alu instid0(VALU_DEP_1) | instskip(NEXT) | instid1(VALU_DEP_2)
	v_pk_fma_f32 v[148:149], v[144:145], v[112:113], v[148:149] op_sel_hi:[1,1,0] neg_lo:[0,0,1] neg_hi:[0,0,1]
	v_pk_fma_f32 v[144:145], v[144:145], v[112:113], v[150:151] op_sel:[1,0,0] op_sel_hi:[0,1,0]
	s_delay_alu instid0(VALU_DEP_1) | instskip(SKIP_1) | instid1(VALU_DEP_2)
	v_mov_b32_e32 v149, v145
	v_pk_mul_f32 v[144:145], v[146:147], v[136:137] op_sel:[0,1]
	v_pk_add_f32 v[24:25], v[24:25], v[148:149] neg_lo:[0,1] neg_hi:[0,1]
	s_delay_alu instid0(VALU_DEP_2) | instskip(SKIP_1) | instid1(VALU_DEP_1)
	v_pk_fma_f32 v[148:149], v[146:147], v[134:135], v[144:145] op_sel:[0,0,1] op_sel_hi:[1,1,0] neg_lo:[0,0,1] neg_hi:[0,0,1]
	v_pk_fma_f32 v[144:145], v[146:147], v[134:135], v[144:145] op_sel:[0,0,1] op_sel_hi:[1,0,0]
	v_mov_b32_e32 v149, v145
	ds_load_2addr_b64 v[144:147], v138 offset0:37 offset1:38
	v_pk_add_f32 v[74:75], v[74:75], v[148:149] neg_lo:[0,1] neg_hi:[0,1]
	s_wait_dscnt 0x0
	v_pk_mul_f32 v[148:149], v[144:145], v[136:137] op_sel:[0,1]
	s_delay_alu instid0(VALU_DEP_1) | instskip(SKIP_1) | instid1(VALU_DEP_1)
	v_pk_fma_f32 v[150:151], v[144:145], v[134:135], v[148:149] op_sel:[0,0,1] op_sel_hi:[1,1,0] neg_lo:[0,0,1] neg_hi:[0,0,1]
	v_pk_fma_f32 v[144:145], v[144:145], v[134:135], v[148:149] op_sel:[0,0,1] op_sel_hi:[1,0,0]
	v_mov_b32_e32 v151, v145
	v_pk_mul_f32 v[144:145], v[146:147], v[136:137] op_sel:[0,1]
	s_delay_alu instid0(VALU_DEP_2) | instskip(NEXT) | instid1(VALU_DEP_2)
	v_pk_add_f32 v[70:71], v[70:71], v[150:151] neg_lo:[0,1] neg_hi:[0,1]
	v_pk_fma_f32 v[148:149], v[146:147], v[134:135], v[144:145] op_sel:[0,0,1] op_sel_hi:[1,1,0] neg_lo:[0,0,1] neg_hi:[0,0,1]
	v_pk_fma_f32 v[144:145], v[146:147], v[134:135], v[144:145] op_sel:[0,0,1] op_sel_hi:[1,0,0]
	s_delay_alu instid0(VALU_DEP_1) | instskip(SKIP_4) | instid1(VALU_DEP_1)
	v_mov_b32_e32 v149, v145
	ds_load_2addr_b64 v[144:147], v138 offset0:39 offset1:40
	v_pk_add_f32 v[72:73], v[72:73], v[148:149] neg_lo:[0,1] neg_hi:[0,1]
	s_wait_dscnt 0x0
	v_pk_mul_f32 v[148:149], v[144:145], v[136:137] op_sel:[0,1]
	v_pk_fma_f32 v[150:151], v[144:145], v[134:135], v[148:149] op_sel:[0,0,1] op_sel_hi:[1,1,0] neg_lo:[0,0,1] neg_hi:[0,0,1]
	v_pk_fma_f32 v[144:145], v[144:145], v[134:135], v[148:149] op_sel:[0,0,1] op_sel_hi:[1,0,0]
	v_dual_mul_f32 v148, v147, v137 :: v_dual_mov_b32 v144, v147
	s_delay_alu instid0(VALU_DEP_2) | instskip(NEXT) | instid1(VALU_DEP_2)
	v_dual_mov_b32 v151, v145 :: v_dual_mov_b32 v145, v146
	v_pk_fma_f32 v[148:149], v[146:147], v[112:113], v[148:149] op_sel_hi:[1,1,0] neg_lo:[0,0,1] neg_hi:[0,0,1]
	v_mul_f32_e32 v146, v147, v134
	s_delay_alu instid0(VALU_DEP_3) | instskip(NEXT) | instid1(VALU_DEP_2)
	v_pk_add_f32 v[22:23], v[22:23], v[150:151] neg_lo:[0,1] neg_hi:[0,1]
	v_pk_fma_f32 v[144:145], v[144:145], v[112:113], v[146:147] op_sel_hi:[1,1,0]
	s_delay_alu instid0(VALU_DEP_1) | instskip(SKIP_4) | instid1(VALU_DEP_1)
	v_mov_b32_e32 v149, v145
	ds_load_2addr_b64 v[144:147], v138 offset0:41 offset1:42
	v_pk_add_f32 v[68:69], v[68:69], v[148:149] neg_lo:[0,1] neg_hi:[0,1]
	s_wait_dscnt 0x0
	v_pk_mul_f32 v[148:149], v[144:145], v[136:137] op_sel:[0,1]
	v_pk_fma_f32 v[150:151], v[144:145], v[134:135], v[148:149] op_sel:[0,0,1] op_sel_hi:[1,1,0] neg_lo:[0,0,1] neg_hi:[0,0,1]
	v_pk_fma_f32 v[144:145], v[144:145], v[134:135], v[148:149] op_sel:[0,0,1] op_sel_hi:[1,0,0]
	s_delay_alu instid0(VALU_DEP_1) | instskip(SKIP_1) | instid1(VALU_DEP_1)
	v_mov_b32_e32 v151, v145
	v_pk_mul_f32 v[144:145], v[146:147], v[136:137] op_sel:[0,1]
	v_pk_fma_f32 v[148:149], v[146:147], v[134:135], v[144:145] op_sel:[0,0,1] op_sel_hi:[1,1,0] neg_lo:[0,0,1] neg_hi:[0,0,1]
	v_pk_fma_f32 v[144:145], v[146:147], v[134:135], v[144:145] op_sel:[0,0,1] op_sel_hi:[1,0,0]
	s_delay_alu instid0(VALU_DEP_1)
	v_mov_b32_e32 v149, v145
	ds_load_2addr_b64 v[144:147], v138 offset0:43 offset1:44
	v_pk_add_f32 v[64:65], v[64:65], v[150:151] neg_lo:[0,1] neg_hi:[0,1]
	v_pk_add_f32 v[66:67], v[66:67], v[148:149] neg_lo:[0,1] neg_hi:[0,1]
	s_wait_dscnt 0x0
	v_pk_mul_f32 v[148:149], v[144:145], v[136:137] op_sel:[0,1]
	s_delay_alu instid0(VALU_DEP_1) | instskip(SKIP_1) | instid1(VALU_DEP_1)
	v_pk_fma_f32 v[150:151], v[144:145], v[134:135], v[148:149] op_sel:[0,0,1] op_sel_hi:[1,1,0] neg_lo:[0,0,1] neg_hi:[0,0,1]
	v_pk_fma_f32 v[144:145], v[144:145], v[134:135], v[148:149] op_sel:[0,0,1] op_sel_hi:[1,0,0]
	v_mov_b32_e32 v151, v145
	v_pk_mul_f32 v[144:145], v[146:147], v[136:137] op_sel:[0,1]
	s_delay_alu instid0(VALU_DEP_1) | instskip(SKIP_1) | instid1(VALU_DEP_1)
	v_pk_fma_f32 v[148:149], v[146:147], v[134:135], v[144:145] op_sel:[0,0,1] op_sel_hi:[1,1,0] neg_lo:[0,0,1] neg_hi:[0,0,1]
	v_pk_fma_f32 v[144:145], v[146:147], v[134:135], v[144:145] op_sel:[0,0,1] op_sel_hi:[1,0,0]
	v_mov_b32_e32 v149, v145
	ds_load_2addr_b64 v[144:147], v138 offset0:45 offset1:46
	v_pk_add_f32 v[18:19], v[18:19], v[150:151] neg_lo:[0,1] neg_hi:[0,1]
	v_pk_add_f32 v[60:61], v[60:61], v[148:149] neg_lo:[0,1] neg_hi:[0,1]
	s_wait_dscnt 0x0
	v_dual_mul_f32 v148, v145, v137 :: v_dual_mul_f32 v150, v145, v134
	s_delay_alu instid0(VALU_DEP_1) | instskip(NEXT) | instid1(VALU_DEP_2)
	v_pk_fma_f32 v[148:149], v[144:145], v[112:113], v[148:149] op_sel_hi:[1,1,0] neg_lo:[0,0,1] neg_hi:[0,0,1]
	v_pk_fma_f32 v[144:145], v[144:145], v[112:113], v[150:151] op_sel:[1,0,0] op_sel_hi:[0,1,0]
	s_delay_alu instid0(VALU_DEP_1) | instskip(SKIP_1) | instid1(VALU_DEP_2)
	v_mov_b32_e32 v149, v145
	v_pk_mul_f32 v[144:145], v[146:147], v[136:137] op_sel:[0,1]
	v_pk_add_f32 v[56:57], v[56:57], v[148:149] neg_lo:[0,1] neg_hi:[0,1]
	s_delay_alu instid0(VALU_DEP_2) | instskip(SKIP_1) | instid1(VALU_DEP_1)
	v_pk_fma_f32 v[148:149], v[146:147], v[134:135], v[144:145] op_sel:[0,0,1] op_sel_hi:[1,1,0] neg_lo:[0,0,1] neg_hi:[0,0,1]
	v_pk_fma_f32 v[144:145], v[146:147], v[134:135], v[144:145] op_sel:[0,0,1] op_sel_hi:[1,0,0]
	v_mov_b32_e32 v149, v145
	ds_load_2addr_b64 v[144:147], v138 offset0:47 offset1:48
	v_pk_add_f32 v[58:59], v[58:59], v[148:149] neg_lo:[0,1] neg_hi:[0,1]
	s_wait_dscnt 0x0
	v_pk_mul_f32 v[148:149], v[144:145], v[136:137] op_sel:[0,1]
	s_delay_alu instid0(VALU_DEP_1) | instskip(SKIP_1) | instid1(VALU_DEP_1)
	v_pk_fma_f32 v[150:151], v[144:145], v[134:135], v[148:149] op_sel:[0,0,1] op_sel_hi:[1,1,0] neg_lo:[0,0,1] neg_hi:[0,0,1]
	v_pk_fma_f32 v[144:145], v[144:145], v[134:135], v[148:149] op_sel:[0,0,1] op_sel_hi:[1,0,0]
	v_mov_b32_e32 v151, v145
	v_pk_mul_f32 v[144:145], v[146:147], v[136:137] op_sel:[0,1]
	s_delay_alu instid0(VALU_DEP_2) | instskip(NEXT) | instid1(VALU_DEP_2)
	v_pk_add_f32 v[12:13], v[12:13], v[150:151] neg_lo:[0,1] neg_hi:[0,1]
	v_pk_fma_f32 v[148:149], v[146:147], v[134:135], v[144:145] op_sel:[0,0,1] op_sel_hi:[1,1,0] neg_lo:[0,0,1] neg_hi:[0,0,1]
	v_pk_fma_f32 v[144:145], v[146:147], v[134:135], v[144:145] op_sel:[0,0,1] op_sel_hi:[1,0,0]
	s_delay_alu instid0(VALU_DEP_1) | instskip(SKIP_4) | instid1(VALU_DEP_1)
	v_mov_b32_e32 v149, v145
	ds_load_2addr_b64 v[144:147], v138 offset0:49 offset1:50
	v_pk_add_f32 v[54:55], v[54:55], v[148:149] neg_lo:[0,1] neg_hi:[0,1]
	s_wait_dscnt 0x0
	v_pk_mul_f32 v[148:149], v[144:145], v[136:137] op_sel:[0,1]
	v_pk_fma_f32 v[150:151], v[144:145], v[134:135], v[148:149] op_sel:[0,0,1] op_sel_hi:[1,1,0] neg_lo:[0,0,1] neg_hi:[0,0,1]
	v_pk_fma_f32 v[144:145], v[144:145], v[134:135], v[148:149] op_sel:[0,0,1] op_sel_hi:[1,0,0]
	v_dual_mul_f32 v148, v147, v137 :: v_dual_mov_b32 v144, v147
	s_delay_alu instid0(VALU_DEP_2) | instskip(NEXT) | instid1(VALU_DEP_2)
	v_dual_mov_b32 v151, v145 :: v_dual_mov_b32 v145, v146
	v_pk_fma_f32 v[148:149], v[146:147], v[112:113], v[148:149] op_sel_hi:[1,1,0] neg_lo:[0,0,1] neg_hi:[0,0,1]
	v_mul_f32_e32 v146, v147, v134
	s_delay_alu instid0(VALU_DEP_3) | instskip(NEXT) | instid1(VALU_DEP_2)
	v_pk_add_f32 v[52:53], v[52:53], v[150:151] neg_lo:[0,1] neg_hi:[0,1]
	v_pk_fma_f32 v[144:145], v[144:145], v[112:113], v[146:147] op_sel_hi:[1,1,0]
	s_delay_alu instid0(VALU_DEP_1) | instskip(SKIP_4) | instid1(VALU_DEP_1)
	v_mov_b32_e32 v149, v145
	ds_load_2addr_b64 v[144:147], v138 offset0:51 offset1:52
	v_pk_add_f32 v[62:63], v[62:63], v[148:149] neg_lo:[0,1] neg_hi:[0,1]
	s_wait_dscnt 0x0
	v_pk_mul_f32 v[148:149], v[144:145], v[136:137] op_sel:[0,1]
	v_pk_fma_f32 v[150:151], v[144:145], v[134:135], v[148:149] op_sel:[0,0,1] op_sel_hi:[1,1,0] neg_lo:[0,0,1] neg_hi:[0,0,1]
	v_pk_fma_f32 v[144:145], v[144:145], v[134:135], v[148:149] op_sel:[0,0,1] op_sel_hi:[1,0,0]
	s_delay_alu instid0(VALU_DEP_1) | instskip(SKIP_1) | instid1(VALU_DEP_1)
	v_mov_b32_e32 v151, v145
	v_pk_mul_f32 v[144:145], v[146:147], v[136:137] op_sel:[0,1]
	v_pk_fma_f32 v[148:149], v[146:147], v[134:135], v[144:145] op_sel:[0,0,1] op_sel_hi:[1,1,0] neg_lo:[0,0,1] neg_hi:[0,0,1]
	v_pk_fma_f32 v[144:145], v[146:147], v[134:135], v[144:145] op_sel:[0,0,1] op_sel_hi:[1,0,0]
	s_delay_alu instid0(VALU_DEP_1)
	v_mov_b32_e32 v149, v145
	ds_load_2addr_b64 v[144:147], v138 offset0:53 offset1:54
	v_pk_add_f32 v[16:17], v[16:17], v[150:151] neg_lo:[0,1] neg_hi:[0,1]
	v_pk_add_f32 v[48:49], v[48:49], v[148:149] neg_lo:[0,1] neg_hi:[0,1]
	s_wait_dscnt 0x0
	v_pk_mul_f32 v[148:149], v[144:145], v[136:137] op_sel:[0,1]
	s_delay_alu instid0(VALU_DEP_1) | instskip(SKIP_1) | instid1(VALU_DEP_1)
	v_pk_fma_f32 v[150:151], v[144:145], v[134:135], v[148:149] op_sel:[0,0,1] op_sel_hi:[1,1,0] neg_lo:[0,0,1] neg_hi:[0,0,1]
	v_pk_fma_f32 v[144:145], v[144:145], v[134:135], v[148:149] op_sel:[0,0,1] op_sel_hi:[1,0,0]
	v_mov_b32_e32 v151, v145
	v_pk_mul_f32 v[144:145], v[146:147], v[136:137] op_sel:[0,1]
	s_delay_alu instid0(VALU_DEP_1) | instskip(SKIP_1) | instid1(VALU_DEP_1)
	v_pk_fma_f32 v[148:149], v[146:147], v[134:135], v[144:145] op_sel:[0,0,1] op_sel_hi:[1,1,0] neg_lo:[0,0,1] neg_hi:[0,0,1]
	v_pk_fma_f32 v[144:145], v[146:147], v[134:135], v[144:145] op_sel:[0,0,1] op_sel_hi:[1,0,0]
	v_mov_b32_e32 v149, v145
	ds_load_2addr_b64 v[144:147], v138 offset0:55 offset1:56
	v_pk_add_f32 v[42:43], v[42:43], v[150:151] neg_lo:[0,1] neg_hi:[0,1]
	v_pk_add_f32 v[46:47], v[46:47], v[148:149] neg_lo:[0,1] neg_hi:[0,1]
	s_wait_dscnt 0x0
	v_dual_mul_f32 v148, v145, v137 :: v_dual_mul_f32 v150, v145, v134
	s_delay_alu instid0(VALU_DEP_1) | instskip(NEXT) | instid1(VALU_DEP_2)
	v_pk_fma_f32 v[148:149], v[144:145], v[112:113], v[148:149] op_sel_hi:[1,1,0] neg_lo:[0,0,1] neg_hi:[0,0,1]
	v_pk_fma_f32 v[144:145], v[144:145], v[112:113], v[150:151] op_sel:[1,0,0] op_sel_hi:[0,1,0]
	s_delay_alu instid0(VALU_DEP_1) | instskip(SKIP_1) | instid1(VALU_DEP_2)
	v_mov_b32_e32 v149, v145
	v_pk_mul_f32 v[144:145], v[146:147], v[136:137] op_sel:[0,1]
	v_pk_add_f32 v[8:9], v[8:9], v[148:149] neg_lo:[0,1] neg_hi:[0,1]
	s_delay_alu instid0(VALU_DEP_2) | instskip(SKIP_1) | instid1(VALU_DEP_1)
	v_pk_fma_f32 v[148:149], v[146:147], v[134:135], v[144:145] op_sel:[0,0,1] op_sel_hi:[1,1,0] neg_lo:[0,0,1] neg_hi:[0,0,1]
	v_pk_fma_f32 v[144:145], v[146:147], v[134:135], v[144:145] op_sel:[0,0,1] op_sel_hi:[1,0,0]
	v_mov_b32_e32 v149, v145
	ds_load_2addr_b64 v[144:147], v138 offset0:57 offset1:58
	v_pk_add_f32 v[32:33], v[32:33], v[148:149] neg_lo:[0,1] neg_hi:[0,1]
	s_wait_dscnt 0x0
	v_pk_mul_f32 v[148:149], v[144:145], v[136:137] op_sel:[0,1]
	s_delay_alu instid0(VALU_DEP_1) | instskip(SKIP_1) | instid1(VALU_DEP_1)
	v_pk_fma_f32 v[150:151], v[144:145], v[134:135], v[148:149] op_sel:[0,0,1] op_sel_hi:[1,1,0] neg_lo:[0,0,1] neg_hi:[0,0,1]
	v_pk_fma_f32 v[144:145], v[144:145], v[134:135], v[148:149] op_sel:[0,0,1] op_sel_hi:[1,0,0]
	v_mov_b32_e32 v151, v145
	v_pk_mul_f32 v[144:145], v[146:147], v[136:137] op_sel:[0,1]
	s_delay_alu instid0(VALU_DEP_2) | instskip(NEXT) | instid1(VALU_DEP_2)
	v_pk_add_f32 v[28:29], v[28:29], v[150:151] neg_lo:[0,1] neg_hi:[0,1]
	v_pk_fma_f32 v[148:149], v[146:147], v[134:135], v[144:145] op_sel:[0,0,1] op_sel_hi:[1,1,0] neg_lo:[0,0,1] neg_hi:[0,0,1]
	v_pk_fma_f32 v[144:145], v[146:147], v[134:135], v[144:145] op_sel:[0,0,1] op_sel_hi:[1,0,0]
	s_delay_alu instid0(VALU_DEP_1) | instskip(SKIP_4) | instid1(VALU_DEP_1)
	v_mov_b32_e32 v149, v145
	ds_load_2addr_b64 v[144:147], v138 offset0:59 offset1:60
	v_pk_add_f32 v[30:31], v[30:31], v[148:149] neg_lo:[0,1] neg_hi:[0,1]
	s_wait_dscnt 0x0
	v_pk_mul_f32 v[148:149], v[144:145], v[136:137] op_sel:[0,1]
	v_pk_fma_f32 v[150:151], v[144:145], v[134:135], v[148:149] op_sel:[0,0,1] op_sel_hi:[1,1,0] neg_lo:[0,0,1] neg_hi:[0,0,1]
	v_pk_fma_f32 v[144:145], v[144:145], v[134:135], v[148:149] op_sel:[0,0,1] op_sel_hi:[1,0,0]
	v_dual_mul_f32 v148, v147, v137 :: v_dual_mov_b32 v144, v147
	s_delay_alu instid0(VALU_DEP_2) | instskip(NEXT) | instid1(VALU_DEP_2)
	v_dual_mov_b32 v151, v145 :: v_dual_mov_b32 v145, v146
	v_pk_fma_f32 v[148:149], v[146:147], v[112:113], v[148:149] op_sel_hi:[1,1,0] neg_lo:[0,0,1] neg_hi:[0,0,1]
	v_mul_f32_e32 v146, v147, v134
	s_delay_alu instid0(VALU_DEP_3) | instskip(NEXT) | instid1(VALU_DEP_2)
	v_pk_add_f32 v[6:7], v[6:7], v[150:151] neg_lo:[0,1] neg_hi:[0,1]
	v_pk_fma_f32 v[144:145], v[144:145], v[112:113], v[146:147] op_sel_hi:[1,1,0]
	s_delay_alu instid0(VALU_DEP_1) | instskip(SKIP_4) | instid1(VALU_DEP_1)
	v_mov_b32_e32 v149, v145
	ds_load_2addr_b64 v[144:147], v138 offset0:61 offset1:62
	v_pk_add_f32 v[20:21], v[20:21], v[148:149] neg_lo:[0,1] neg_hi:[0,1]
	s_wait_dscnt 0x0
	v_pk_mul_f32 v[148:149], v[144:145], v[136:137] op_sel:[0,1]
	v_pk_fma_f32 v[150:151], v[144:145], v[134:135], v[148:149] op_sel:[0,0,1] op_sel_hi:[1,1,0] neg_lo:[0,0,1] neg_hi:[0,0,1]
	v_pk_fma_f32 v[144:145], v[144:145], v[134:135], v[148:149] op_sel:[0,0,1] op_sel_hi:[1,0,0]
	s_delay_alu instid0(VALU_DEP_1) | instskip(SKIP_1) | instid1(VALU_DEP_1)
	v_mov_b32_e32 v151, v145
	v_pk_mul_f32 v[144:145], v[146:147], v[136:137] op_sel:[0,1]
	v_pk_fma_f32 v[148:149], v[146:147], v[134:135], v[144:145] op_sel:[0,0,1] op_sel_hi:[1,1,0] neg_lo:[0,0,1] neg_hi:[0,0,1]
	v_pk_fma_f32 v[144:145], v[146:147], v[134:135], v[144:145] op_sel:[0,0,1] op_sel_hi:[1,0,0]
	s_delay_alu instid0(VALU_DEP_1)
	v_mov_b32_e32 v149, v145
	ds_load_b64 v[144:145], v138 offset:504
	v_pk_add_f32 v[14:15], v[14:15], v[150:151] neg_lo:[0,1] neg_hi:[0,1]
	v_pk_add_f32 v[10:11], v[10:11], v[148:149] neg_lo:[0,1] neg_hi:[0,1]
	s_wait_dscnt 0x0
	v_pk_mul_f32 v[136:137], v[144:145], v[136:137] op_sel:[0,1]
	s_delay_alu instid0(VALU_DEP_1) | instskip(SKIP_1) | instid1(VALU_DEP_1)
	v_pk_fma_f32 v[146:147], v[144:145], v[134:135], v[136:137] op_sel:[0,0,1] op_sel_hi:[1,1,0] neg_lo:[0,0,1] neg_hi:[0,0,1]
	v_pk_fma_f32 v[134:135], v[144:145], v[134:135], v[136:137] op_sel:[0,0,1] op_sel_hi:[1,0,0]
	v_mov_b32_e32 v147, v135
	s_delay_alu instid0(VALU_DEP_1)
	v_pk_add_f32 v[132:133], v[132:133], v[146:147] neg_lo:[0,1] neg_hi:[0,1]
.LBB126_146:
	s_or_b32 exec_lo, exec_lo, s0
	v_lshl_add_u32 v134, v142, 3, v138
	s_barrier_signal -1
	s_barrier_wait -1
	ds_store_b64 v134, v[44:45]
	s_wait_dscnt 0x0
	s_barrier_signal -1
	s_barrier_wait -1
	ds_load_b64 v[136:137], v138 offset:56
	v_mov_b32_e32 v134, 7
	s_cmp_lt_i32 s18, 9
	s_cbranch_scc1 .LBB126_149
; %bb.147:
	v_add3_u32 v135, v139, 0, 64
	v_mov_b32_e32 v134, 7
	s_mov_b32 s0, 8
.LBB126_148:                            ; =>This Inner Loop Header: Depth=1
	ds_load_b64 v[144:145], v135
	s_wait_dscnt 0x1
	v_cmp_gt_f32_e32 vcc_lo, 0, v136
	v_cndmask_b32_e64 v146, v136, -v136, vcc_lo
	v_cmp_gt_f32_e32 vcc_lo, 0, v137
	v_cndmask_b32_e64 v148, v137, -v137, vcc_lo
	s_wait_dscnt 0x0
	v_cmp_gt_f32_e32 vcc_lo, 0, v144
	v_cndmask_b32_e64 v147, v144, -v144, vcc_lo
	v_cmp_gt_f32_e32 vcc_lo, 0, v145
	v_cndmask_b32_e64 v149, v145, -v145, vcc_lo
	s_delay_alu instid0(VALU_DEP_1) | instskip(NEXT) | instid1(VALU_DEP_1)
	v_pk_add_f32 v[146:147], v[146:147], v[148:149]
	v_cmp_lt_f32_e32 vcc_lo, v146, v147
	v_dual_add_nc_u32 v135, 8, v135 :: v_dual_cndmask_b32 v137, v137, v145, vcc_lo
	v_cndmask_b32_e32 v136, v136, v144, vcc_lo
	v_cndmask_b32_e64 v134, v134, s0, vcc_lo
	s_add_co_i32 s0, s0, 1
	s_delay_alu instid0(SALU_CYCLE_1)
	s_cmp_lg_u32 s18, s0
	s_cbranch_scc1 .LBB126_148
.LBB126_149:
	s_wait_dscnt 0x0
	v_cmp_eq_f32_e32 vcc_lo, 0, v136
	v_cmp_eq_f32_e64 s0, 0, v137
	s_and_b32 s0, vcc_lo, s0
	s_delay_alu instid0(SALU_CYCLE_1) | instskip(NEXT) | instid1(SALU_CYCLE_1)
	s_and_saveexec_b32 s1, s0
	s_xor_b32 s0, exec_lo, s1
; %bb.150:
	v_cmp_ne_u32_e32 vcc_lo, 0, v140
	v_cndmask_b32_e32 v140, 8, v140, vcc_lo
; %bb.151:
	s_and_not1_saveexec_b32 s0, s0
	s_cbranch_execz .LBB126_157
; %bb.152:
	v_cmp_ngt_f32_e64 s1, |v136|, |v137|
	s_and_saveexec_b32 s12, s1
	s_delay_alu instid0(SALU_CYCLE_1)
	s_xor_b32 s1, exec_lo, s12
	s_cbranch_execz .LBB126_154
; %bb.153:
	v_div_scale_f32 v135, null, v137, v137, v136
	v_div_scale_f32 v145, vcc_lo, v136, v137, v136
	s_delay_alu instid0(VALU_DEP_2) | instskip(SKIP_1) | instid1(TRANS32_DEP_1)
	v_rcp_f32_e32 v143, v135
	v_nop
	v_fma_f32 v144, -v135, v143, 1.0
	s_delay_alu instid0(VALU_DEP_1) | instskip(NEXT) | instid1(VALU_DEP_1)
	v_fmac_f32_e32 v143, v144, v143
	v_mul_f32_e32 v144, v145, v143
	s_delay_alu instid0(VALU_DEP_1) | instskip(NEXT) | instid1(VALU_DEP_1)
	v_fma_f32 v146, -v135, v144, v145
	v_fmac_f32_e32 v144, v146, v143
	s_delay_alu instid0(VALU_DEP_1) | instskip(NEXT) | instid1(VALU_DEP_1)
	v_fma_f32 v135, -v135, v144, v145
	v_div_fmas_f32 v135, v135, v143, v144
	s_delay_alu instid0(VALU_DEP_1) | instskip(NEXT) | instid1(VALU_DEP_1)
	v_div_fixup_f32 v135, v135, v137, v136
	v_fmac_f32_e32 v137, v136, v135
	s_delay_alu instid0(VALU_DEP_1) | instskip(SKIP_1) | instid1(VALU_DEP_2)
	v_div_scale_f32 v136, null, v137, v137, 1.0
	v_div_scale_f32 v145, vcc_lo, 1.0, v137, 1.0
	v_rcp_f32_e32 v143, v136
	v_nop
	s_delay_alu instid0(TRANS32_DEP_1) | instskip(NEXT) | instid1(VALU_DEP_1)
	v_fma_f32 v144, -v136, v143, 1.0
	v_fmac_f32_e32 v143, v144, v143
	s_delay_alu instid0(VALU_DEP_1) | instskip(NEXT) | instid1(VALU_DEP_1)
	v_mul_f32_e32 v144, v145, v143
	v_fma_f32 v146, -v136, v144, v145
	s_delay_alu instid0(VALU_DEP_1) | instskip(NEXT) | instid1(VALU_DEP_1)
	v_fmac_f32_e32 v144, v146, v143
	v_fma_f32 v136, -v136, v144, v145
	s_delay_alu instid0(VALU_DEP_1) | instskip(NEXT) | instid1(VALU_DEP_1)
	v_div_fmas_f32 v136, v136, v143, v144
	v_div_fixup_f32 v137, v136, v137, 1.0
	s_delay_alu instid0(VALU_DEP_1)
	v_mul_f32_e32 v136, v135, v137
	v_xor_b32_e32 v137, 0x80000000, v137
.LBB126_154:
	s_and_not1_saveexec_b32 s1, s1
	s_cbranch_execz .LBB126_156
; %bb.155:
	s_delay_alu instid0(VALU_DEP_1) | instskip(SKIP_1) | instid1(VALU_DEP_2)
	v_div_scale_f32 v135, null, v136, v136, v137
	v_div_scale_f32 v145, vcc_lo, v137, v136, v137
	v_rcp_f32_e32 v143, v135
	v_nop
	s_delay_alu instid0(TRANS32_DEP_1) | instskip(NEXT) | instid1(VALU_DEP_1)
	v_fma_f32 v144, -v135, v143, 1.0
	v_fmac_f32_e32 v143, v144, v143
	s_delay_alu instid0(VALU_DEP_1) | instskip(NEXT) | instid1(VALU_DEP_1)
	v_mul_f32_e32 v144, v145, v143
	v_fma_f32 v146, -v135, v144, v145
	s_delay_alu instid0(VALU_DEP_1) | instskip(NEXT) | instid1(VALU_DEP_1)
	v_fmac_f32_e32 v144, v146, v143
	v_fma_f32 v135, -v135, v144, v145
	s_delay_alu instid0(VALU_DEP_1) | instskip(NEXT) | instid1(VALU_DEP_1)
	v_div_fmas_f32 v135, v135, v143, v144
	v_div_fixup_f32 v135, v135, v136, v137
	s_delay_alu instid0(VALU_DEP_1) | instskip(NEXT) | instid1(VALU_DEP_1)
	v_fmac_f32_e32 v136, v137, v135
	v_div_scale_f32 v137, null, v136, v136, 1.0
	s_delay_alu instid0(VALU_DEP_1) | instskip(SKIP_1) | instid1(TRANS32_DEP_1)
	v_rcp_f32_e32 v143, v137
	v_nop
	v_fma_f32 v144, -v137, v143, 1.0
	s_delay_alu instid0(VALU_DEP_1) | instskip(SKIP_1) | instid1(VALU_DEP_1)
	v_fmac_f32_e32 v143, v144, v143
	v_div_scale_f32 v144, vcc_lo, 1.0, v136, 1.0
	v_mul_f32_e32 v145, v144, v143
	s_delay_alu instid0(VALU_DEP_1) | instskip(NEXT) | instid1(VALU_DEP_1)
	v_fma_f32 v146, -v137, v145, v144
	v_fmac_f32_e32 v145, v146, v143
	s_delay_alu instid0(VALU_DEP_1) | instskip(NEXT) | instid1(VALU_DEP_1)
	v_fma_f32 v137, -v137, v145, v144
	v_div_fmas_f32 v137, v137, v143, v145
	s_delay_alu instid0(VALU_DEP_1) | instskip(NEXT) | instid1(VALU_DEP_1)
	v_div_fixup_f32 v136, v137, v136, 1.0
	v_mul_f32_e64 v137, v135, -v136
.LBB126_156:
	s_or_b32 exec_lo, exec_lo, s1
.LBB126_157:
	s_delay_alu instid0(SALU_CYCLE_1) | instskip(NEXT) | instid1(SALU_CYCLE_1)
	s_or_b32 exec_lo, exec_lo, s0
	s_mov_b32 s0, exec_lo
	v_cmpx_ne_u32_e64 v142, v134
	s_xor_b32 s0, exec_lo, s0
	s_cbranch_execz .LBB126_163
; %bb.158:
	s_mov_b32 s1, exec_lo
	v_cmpx_eq_u32_e32 7, v142
	s_cbranch_execz .LBB126_162
; %bb.159:
	v_cmp_ne_u32_e32 vcc_lo, 7, v134
	s_xor_b32 s12, s16, -1
	s_delay_alu instid0(SALU_CYCLE_1) | instskip(NEXT) | instid1(SALU_CYCLE_1)
	s_and_b32 s13, s12, vcc_lo
	s_and_saveexec_b32 s12, s13
	s_cbranch_execz .LBB126_161
; %bb.160:
	v_ashrrev_i32_e32 v135, 31, v134
	s_delay_alu instid0(VALU_DEP_1)
	v_lshl_add_u64 v[142:143], v[134:135], 2, v[4:5]
	s_clause 0x1
	global_load_b32 v135, v[142:143], off
	global_load_b32 v141, v[4:5], off offset:28
	s_wait_loadcnt 0x1
	global_store_b32 v[4:5], v135, off offset:28
	s_wait_loadcnt 0x0
	global_store_b32 v[142:143], v141, off
.LBB126_161:
	s_wait_xcnt 0x0
	s_or_b32 exec_lo, exec_lo, s12
	v_dual_mov_b32 v142, v134 :: v_dual_mov_b32 v141, v134
.LBB126_162:
	s_or_b32 exec_lo, exec_lo, s1
.LBB126_163:
	s_and_not1_saveexec_b32 s0, s0
	s_cbranch_execz .LBB126_165
; %bb.164:
	v_dual_mov_b32 v134, v118 :: v_dual_mov_b32 v135, v119
	v_dual_mov_b32 v142, v114 :: v_dual_mov_b32 v143, v115
	ds_store_2addr_b64 v138, v[134:135], v[142:143] offset0:8 offset1:9
	v_dual_mov_b32 v134, v116 :: v_dual_mov_b32 v135, v117
	v_dual_mov_b32 v142, v50 :: v_dual_mov_b32 v143, v51
	ds_store_2addr_b64 v138, v[134:135], v[142:143] offset0:10 offset1:11
	;; [unrolled: 3-line block ×27, first 2 shown]
	v_dual_mov_b32 v134, v10 :: v_dual_mov_b32 v135, v11
	v_mov_b32_e32 v142, 7
	ds_store_2addr_b64 v138, v[134:135], v[132:133] offset0:62 offset1:63
.LBB126_165:
	s_or_b32 exec_lo, exec_lo, s0
	s_delay_alu instid0(SALU_CYCLE_1)
	s_mov_b32 s0, exec_lo
	s_wait_storecnt_dscnt 0x0
	s_barrier_signal -1
	s_barrier_wait -1
	v_cmpx_lt_i32_e32 7, v142
	s_cbranch_execz .LBB126_167
; %bb.166:
	v_pk_mul_f32 v[144:145], v[136:137], v[44:45] op_sel:[1,1] op_sel_hi:[0,1]
	s_delay_alu instid0(VALU_DEP_1)
	v_pk_fma_f32 v[134:135], v[136:137], v[44:45], v[144:145] op_sel_hi:[1,0,1] neg_lo:[0,0,1] neg_hi:[0,0,1]
	v_pk_fma_f32 v[136:137], v[136:137], v[44:45], v[144:145] op_sel_hi:[1,0,1]
	ds_load_2addr_b64 v[144:147], v138 offset0:8 offset1:9
	v_dual_mov_b32 v44, v134 :: v_dual_mov_b32 v45, v137
	s_wait_dscnt 0x0
	v_pk_mul_f32 v[148:149], v[144:145], v[136:137] op_sel:[0,1]
	s_delay_alu instid0(VALU_DEP_1) | instskip(SKIP_1) | instid1(VALU_DEP_1)
	v_pk_fma_f32 v[150:151], v[144:145], v[134:135], v[148:149] op_sel:[0,0,1] op_sel_hi:[1,1,0] neg_lo:[0,0,1] neg_hi:[0,0,1]
	v_pk_fma_f32 v[144:145], v[144:145], v[134:135], v[148:149] op_sel:[0,0,1] op_sel_hi:[1,0,0]
	v_mov_b32_e32 v151, v145
	v_pk_mul_f32 v[144:145], v[146:147], v[136:137] op_sel:[0,1]
	s_delay_alu instid0(VALU_DEP_1) | instskip(SKIP_1) | instid1(VALU_DEP_1)
	v_pk_fma_f32 v[148:149], v[146:147], v[134:135], v[144:145] op_sel:[0,0,1] op_sel_hi:[1,1,0] neg_lo:[0,0,1] neg_hi:[0,0,1]
	v_pk_fma_f32 v[144:145], v[146:147], v[134:135], v[144:145] op_sel:[0,0,1] op_sel_hi:[1,0,0]
	v_mov_b32_e32 v149, v145
	ds_load_2addr_b64 v[144:147], v138 offset0:10 offset1:11
	v_pk_add_f32 v[118:119], v[118:119], v[150:151] neg_lo:[0,1] neg_hi:[0,1]
	v_pk_add_f32 v[114:115], v[114:115], v[148:149] neg_lo:[0,1] neg_hi:[0,1]
	s_wait_dscnt 0x0
	v_pk_mul_f32 v[148:149], v[144:145], v[136:137] op_sel:[0,1]
	s_delay_alu instid0(VALU_DEP_1) | instskip(SKIP_2) | instid1(VALU_DEP_2)
	v_pk_fma_f32 v[150:151], v[144:145], v[134:135], v[148:149] op_sel:[0,0,1] op_sel_hi:[1,1,0] neg_lo:[0,0,1] neg_hi:[0,0,1]
	v_pk_fma_f32 v[144:145], v[144:145], v[134:135], v[148:149] op_sel:[0,0,1] op_sel_hi:[1,0,0]
	v_dual_mul_f32 v148, v147, v137 :: v_dual_mov_b32 v144, v147
	v_dual_mov_b32 v151, v145 :: v_dual_mov_b32 v145, v146
	s_delay_alu instid0(VALU_DEP_2) | instskip(SKIP_1) | instid1(VALU_DEP_3)
	v_pk_fma_f32 v[148:149], v[146:147], v[44:45], v[148:149] op_sel_hi:[1,1,0] neg_lo:[0,0,1] neg_hi:[0,0,1]
	v_mul_f32_e32 v146, v147, v134
	v_pk_add_f32 v[116:117], v[116:117], v[150:151] neg_lo:[0,1] neg_hi:[0,1]
	s_delay_alu instid0(VALU_DEP_2) | instskip(NEXT) | instid1(VALU_DEP_1)
	v_pk_fma_f32 v[144:145], v[144:145], v[44:45], v[146:147] op_sel_hi:[1,1,0]
	v_mov_b32_e32 v149, v145
	ds_load_2addr_b64 v[144:147], v138 offset0:12 offset1:13
	v_pk_add_f32 v[50:51], v[50:51], v[148:149] neg_lo:[0,1] neg_hi:[0,1]
	s_wait_dscnt 0x0
	v_pk_mul_f32 v[148:149], v[144:145], v[136:137] op_sel:[0,1]
	s_delay_alu instid0(VALU_DEP_1) | instskip(SKIP_1) | instid1(VALU_DEP_1)
	v_pk_fma_f32 v[150:151], v[144:145], v[134:135], v[148:149] op_sel:[0,0,1] op_sel_hi:[1,1,0] neg_lo:[0,0,1] neg_hi:[0,0,1]
	v_pk_fma_f32 v[144:145], v[144:145], v[134:135], v[148:149] op_sel:[0,0,1] op_sel_hi:[1,0,0]
	v_mov_b32_e32 v151, v145
	v_pk_mul_f32 v[144:145], v[146:147], v[136:137] op_sel:[0,1]
	s_delay_alu instid0(VALU_DEP_1) | instskip(SKIP_1) | instid1(VALU_DEP_1)
	v_pk_fma_f32 v[148:149], v[146:147], v[134:135], v[144:145] op_sel:[0,0,1] op_sel_hi:[1,1,0] neg_lo:[0,0,1] neg_hi:[0,0,1]
	v_pk_fma_f32 v[144:145], v[146:147], v[134:135], v[144:145] op_sel:[0,0,1] op_sel_hi:[1,0,0]
	v_mov_b32_e32 v149, v145
	ds_load_2addr_b64 v[144:147], v138 offset0:14 offset1:15
	v_pk_add_f32 v[110:111], v[110:111], v[150:151] neg_lo:[0,1] neg_hi:[0,1]
	v_pk_add_f32 v[106:107], v[106:107], v[148:149] neg_lo:[0,1] neg_hi:[0,1]
	s_wait_dscnt 0x0
	v_pk_mul_f32 v[148:149], v[144:145], v[136:137] op_sel:[0,1]
	s_delay_alu instid0(VALU_DEP_1) | instskip(SKIP_1) | instid1(VALU_DEP_1)
	v_pk_fma_f32 v[150:151], v[144:145], v[134:135], v[148:149] op_sel:[0,0,1] op_sel_hi:[1,1,0] neg_lo:[0,0,1] neg_hi:[0,0,1]
	v_pk_fma_f32 v[144:145], v[144:145], v[134:135], v[148:149] op_sel:[0,0,1] op_sel_hi:[1,0,0]
	v_mov_b32_e32 v151, v145
	v_pk_mul_f32 v[144:145], v[146:147], v[136:137] op_sel:[0,1]
	s_delay_alu instid0(VALU_DEP_1) | instskip(SKIP_1) | instid1(VALU_DEP_1)
	v_pk_fma_f32 v[148:149], v[146:147], v[134:135], v[144:145] op_sel:[0,0,1] op_sel_hi:[1,1,0] neg_lo:[0,0,1] neg_hi:[0,0,1]
	v_pk_fma_f32 v[144:145], v[146:147], v[134:135], v[144:145] op_sel:[0,0,1] op_sel_hi:[1,0,0]
	v_mov_b32_e32 v149, v145
	ds_load_2addr_b64 v[144:147], v138 offset0:16 offset1:17
	v_pk_add_f32 v[108:109], v[108:109], v[150:151] neg_lo:[0,1] neg_hi:[0,1]
	v_pk_add_f32 v[40:41], v[40:41], v[148:149] neg_lo:[0,1] neg_hi:[0,1]
	s_wait_dscnt 0x0
	v_dual_mul_f32 v148, v145, v137 :: v_dual_mul_f32 v150, v145, v134
	s_delay_alu instid0(VALU_DEP_1) | instskip(NEXT) | instid1(VALU_DEP_2)
	v_pk_fma_f32 v[148:149], v[144:145], v[44:45], v[148:149] op_sel_hi:[1,1,0] neg_lo:[0,0,1] neg_hi:[0,0,1]
	v_pk_fma_f32 v[144:145], v[144:145], v[44:45], v[150:151] op_sel:[1,0,0] op_sel_hi:[0,1,0]
	s_delay_alu instid0(VALU_DEP_1) | instskip(SKIP_1) | instid1(VALU_DEP_2)
	v_mov_b32_e32 v149, v145
	v_pk_mul_f32 v[144:145], v[146:147], v[136:137] op_sel:[0,1]
	v_pk_add_f32 v[104:105], v[104:105], v[148:149] neg_lo:[0,1] neg_hi:[0,1]
	s_delay_alu instid0(VALU_DEP_2) | instskip(SKIP_1) | instid1(VALU_DEP_1)
	v_pk_fma_f32 v[148:149], v[146:147], v[134:135], v[144:145] op_sel:[0,0,1] op_sel_hi:[1,1,0] neg_lo:[0,0,1] neg_hi:[0,0,1]
	v_pk_fma_f32 v[144:145], v[146:147], v[134:135], v[144:145] op_sel:[0,0,1] op_sel_hi:[1,0,0]
	v_mov_b32_e32 v149, v145
	ds_load_2addr_b64 v[144:147], v138 offset0:18 offset1:19
	v_pk_add_f32 v[100:101], v[100:101], v[148:149] neg_lo:[0,1] neg_hi:[0,1]
	s_wait_dscnt 0x0
	v_pk_mul_f32 v[148:149], v[144:145], v[136:137] op_sel:[0,1]
	s_delay_alu instid0(VALU_DEP_1) | instskip(SKIP_1) | instid1(VALU_DEP_1)
	v_pk_fma_f32 v[150:151], v[144:145], v[134:135], v[148:149] op_sel:[0,0,1] op_sel_hi:[1,1,0] neg_lo:[0,0,1] neg_hi:[0,0,1]
	v_pk_fma_f32 v[144:145], v[144:145], v[134:135], v[148:149] op_sel:[0,0,1] op_sel_hi:[1,0,0]
	v_mov_b32_e32 v151, v145
	v_pk_mul_f32 v[144:145], v[146:147], v[136:137] op_sel:[0,1]
	s_delay_alu instid0(VALU_DEP_2) | instskip(NEXT) | instid1(VALU_DEP_2)
	v_pk_add_f32 v[102:103], v[102:103], v[150:151] neg_lo:[0,1] neg_hi:[0,1]
	v_pk_fma_f32 v[148:149], v[146:147], v[134:135], v[144:145] op_sel:[0,0,1] op_sel_hi:[1,1,0] neg_lo:[0,0,1] neg_hi:[0,0,1]
	v_pk_fma_f32 v[144:145], v[146:147], v[134:135], v[144:145] op_sel:[0,0,1] op_sel_hi:[1,0,0]
	s_delay_alu instid0(VALU_DEP_1) | instskip(SKIP_4) | instid1(VALU_DEP_1)
	v_mov_b32_e32 v149, v145
	ds_load_2addr_b64 v[144:147], v138 offset0:20 offset1:21
	v_pk_add_f32 v[38:39], v[38:39], v[148:149] neg_lo:[0,1] neg_hi:[0,1]
	s_wait_dscnt 0x0
	v_pk_mul_f32 v[148:149], v[144:145], v[136:137] op_sel:[0,1]
	v_pk_fma_f32 v[150:151], v[144:145], v[134:135], v[148:149] op_sel:[0,0,1] op_sel_hi:[1,1,0] neg_lo:[0,0,1] neg_hi:[0,0,1]
	v_pk_fma_f32 v[144:145], v[144:145], v[134:135], v[148:149] op_sel:[0,0,1] op_sel_hi:[1,0,0]
	v_dual_mul_f32 v148, v147, v137 :: v_dual_mov_b32 v144, v147
	s_delay_alu instid0(VALU_DEP_2) | instskip(NEXT) | instid1(VALU_DEP_2)
	v_dual_mov_b32 v151, v145 :: v_dual_mov_b32 v145, v146
	v_pk_fma_f32 v[148:149], v[146:147], v[44:45], v[148:149] op_sel_hi:[1,1,0] neg_lo:[0,0,1] neg_hi:[0,0,1]
	v_mul_f32_e32 v146, v147, v134
	s_delay_alu instid0(VALU_DEP_3) | instskip(NEXT) | instid1(VALU_DEP_2)
	v_pk_add_f32 v[98:99], v[98:99], v[150:151] neg_lo:[0,1] neg_hi:[0,1]
	v_pk_fma_f32 v[144:145], v[144:145], v[44:45], v[146:147] op_sel_hi:[1,1,0]
	s_delay_alu instid0(VALU_DEP_1) | instskip(SKIP_4) | instid1(VALU_DEP_1)
	v_mov_b32_e32 v149, v145
	ds_load_2addr_b64 v[144:147], v138 offset0:22 offset1:23
	v_pk_add_f32 v[94:95], v[94:95], v[148:149] neg_lo:[0,1] neg_hi:[0,1]
	s_wait_dscnt 0x0
	v_pk_mul_f32 v[148:149], v[144:145], v[136:137] op_sel:[0,1]
	v_pk_fma_f32 v[150:151], v[144:145], v[134:135], v[148:149] op_sel:[0,0,1] op_sel_hi:[1,1,0] neg_lo:[0,0,1] neg_hi:[0,0,1]
	v_pk_fma_f32 v[144:145], v[144:145], v[134:135], v[148:149] op_sel:[0,0,1] op_sel_hi:[1,0,0]
	s_delay_alu instid0(VALU_DEP_1) | instskip(SKIP_1) | instid1(VALU_DEP_1)
	v_mov_b32_e32 v151, v145
	v_pk_mul_f32 v[144:145], v[146:147], v[136:137] op_sel:[0,1]
	v_pk_fma_f32 v[148:149], v[146:147], v[134:135], v[144:145] op_sel:[0,0,1] op_sel_hi:[1,1,0] neg_lo:[0,0,1] neg_hi:[0,0,1]
	v_pk_fma_f32 v[144:145], v[146:147], v[134:135], v[144:145] op_sel:[0,0,1] op_sel_hi:[1,0,0]
	s_delay_alu instid0(VALU_DEP_1)
	v_mov_b32_e32 v149, v145
	ds_load_2addr_b64 v[144:147], v138 offset0:24 offset1:25
	v_pk_add_f32 v[96:97], v[96:97], v[150:151] neg_lo:[0,1] neg_hi:[0,1]
	v_pk_add_f32 v[36:37], v[36:37], v[148:149] neg_lo:[0,1] neg_hi:[0,1]
	s_wait_dscnt 0x0
	v_pk_mul_f32 v[148:149], v[144:145], v[136:137] op_sel:[0,1]
	s_delay_alu instid0(VALU_DEP_1) | instskip(SKIP_1) | instid1(VALU_DEP_1)
	v_pk_fma_f32 v[150:151], v[144:145], v[134:135], v[148:149] op_sel:[0,0,1] op_sel_hi:[1,1,0] neg_lo:[0,0,1] neg_hi:[0,0,1]
	v_pk_fma_f32 v[144:145], v[144:145], v[134:135], v[148:149] op_sel:[0,0,1] op_sel_hi:[1,0,0]
	v_mov_b32_e32 v151, v145
	v_pk_mul_f32 v[144:145], v[146:147], v[136:137] op_sel:[0,1]
	s_delay_alu instid0(VALU_DEP_1) | instskip(SKIP_1) | instid1(VALU_DEP_1)
	v_pk_fma_f32 v[148:149], v[146:147], v[134:135], v[144:145] op_sel:[0,0,1] op_sel_hi:[1,1,0] neg_lo:[0,0,1] neg_hi:[0,0,1]
	v_pk_fma_f32 v[144:145], v[146:147], v[134:135], v[144:145] op_sel:[0,0,1] op_sel_hi:[1,0,0]
	v_mov_b32_e32 v149, v145
	ds_load_2addr_b64 v[144:147], v138 offset0:26 offset1:27
	v_pk_add_f32 v[92:93], v[92:93], v[150:151] neg_lo:[0,1] neg_hi:[0,1]
	v_pk_add_f32 v[88:89], v[88:89], v[148:149] neg_lo:[0,1] neg_hi:[0,1]
	s_wait_dscnt 0x0
	v_dual_mul_f32 v148, v145, v137 :: v_dual_mul_f32 v150, v145, v134
	s_delay_alu instid0(VALU_DEP_1) | instskip(NEXT) | instid1(VALU_DEP_2)
	v_pk_fma_f32 v[148:149], v[144:145], v[44:45], v[148:149] op_sel_hi:[1,1,0] neg_lo:[0,0,1] neg_hi:[0,0,1]
	v_pk_fma_f32 v[144:145], v[144:145], v[44:45], v[150:151] op_sel:[1,0,0] op_sel_hi:[0,1,0]
	s_delay_alu instid0(VALU_DEP_1) | instskip(SKIP_1) | instid1(VALU_DEP_2)
	v_mov_b32_e32 v149, v145
	v_pk_mul_f32 v[144:145], v[146:147], v[136:137] op_sel:[0,1]
	v_pk_add_f32 v[90:91], v[90:91], v[148:149] neg_lo:[0,1] neg_hi:[0,1]
	s_delay_alu instid0(VALU_DEP_2) | instskip(SKIP_1) | instid1(VALU_DEP_1)
	v_pk_fma_f32 v[148:149], v[146:147], v[134:135], v[144:145] op_sel:[0,0,1] op_sel_hi:[1,1,0] neg_lo:[0,0,1] neg_hi:[0,0,1]
	v_pk_fma_f32 v[144:145], v[146:147], v[134:135], v[144:145] op_sel:[0,0,1] op_sel_hi:[1,0,0]
	v_mov_b32_e32 v149, v145
	ds_load_2addr_b64 v[144:147], v138 offset0:28 offset1:29
	v_pk_add_f32 v[34:35], v[34:35], v[148:149] neg_lo:[0,1] neg_hi:[0,1]
	s_wait_dscnt 0x0
	v_pk_mul_f32 v[148:149], v[144:145], v[136:137] op_sel:[0,1]
	s_delay_alu instid0(VALU_DEP_1) | instskip(SKIP_1) | instid1(VALU_DEP_1)
	v_pk_fma_f32 v[150:151], v[144:145], v[134:135], v[148:149] op_sel:[0,0,1] op_sel_hi:[1,1,0] neg_lo:[0,0,1] neg_hi:[0,0,1]
	v_pk_fma_f32 v[144:145], v[144:145], v[134:135], v[148:149] op_sel:[0,0,1] op_sel_hi:[1,0,0]
	v_mov_b32_e32 v151, v145
	v_pk_mul_f32 v[144:145], v[146:147], v[136:137] op_sel:[0,1]
	s_delay_alu instid0(VALU_DEP_2) | instskip(NEXT) | instid1(VALU_DEP_2)
	v_pk_add_f32 v[86:87], v[86:87], v[150:151] neg_lo:[0,1] neg_hi:[0,1]
	v_pk_fma_f32 v[148:149], v[146:147], v[134:135], v[144:145] op_sel:[0,0,1] op_sel_hi:[1,1,0] neg_lo:[0,0,1] neg_hi:[0,0,1]
	v_pk_fma_f32 v[144:145], v[146:147], v[134:135], v[144:145] op_sel:[0,0,1] op_sel_hi:[1,0,0]
	s_delay_alu instid0(VALU_DEP_1) | instskip(SKIP_4) | instid1(VALU_DEP_1)
	v_mov_b32_e32 v149, v145
	ds_load_2addr_b64 v[144:147], v138 offset0:30 offset1:31
	v_pk_add_f32 v[82:83], v[82:83], v[148:149] neg_lo:[0,1] neg_hi:[0,1]
	s_wait_dscnt 0x0
	v_pk_mul_f32 v[148:149], v[144:145], v[136:137] op_sel:[0,1]
	v_pk_fma_f32 v[150:151], v[144:145], v[134:135], v[148:149] op_sel:[0,0,1] op_sel_hi:[1,1,0] neg_lo:[0,0,1] neg_hi:[0,0,1]
	v_pk_fma_f32 v[144:145], v[144:145], v[134:135], v[148:149] op_sel:[0,0,1] op_sel_hi:[1,0,0]
	v_dual_mul_f32 v148, v147, v137 :: v_dual_mov_b32 v144, v147
	s_delay_alu instid0(VALU_DEP_2) | instskip(NEXT) | instid1(VALU_DEP_2)
	v_dual_mov_b32 v151, v145 :: v_dual_mov_b32 v145, v146
	v_pk_fma_f32 v[148:149], v[146:147], v[44:45], v[148:149] op_sel_hi:[1,1,0] neg_lo:[0,0,1] neg_hi:[0,0,1]
	v_mul_f32_e32 v146, v147, v134
	s_delay_alu instid0(VALU_DEP_3) | instskip(NEXT) | instid1(VALU_DEP_2)
	v_pk_add_f32 v[84:85], v[84:85], v[150:151] neg_lo:[0,1] neg_hi:[0,1]
	v_pk_fma_f32 v[144:145], v[144:145], v[44:45], v[146:147] op_sel_hi:[1,1,0]
	s_delay_alu instid0(VALU_DEP_1) | instskip(SKIP_4) | instid1(VALU_DEP_1)
	v_mov_b32_e32 v149, v145
	ds_load_2addr_b64 v[144:147], v138 offset0:32 offset1:33
	v_pk_add_f32 v[26:27], v[26:27], v[148:149] neg_lo:[0,1] neg_hi:[0,1]
	s_wait_dscnt 0x0
	v_pk_mul_f32 v[148:149], v[144:145], v[136:137] op_sel:[0,1]
	v_pk_fma_f32 v[150:151], v[144:145], v[134:135], v[148:149] op_sel:[0,0,1] op_sel_hi:[1,1,0] neg_lo:[0,0,1] neg_hi:[0,0,1]
	v_pk_fma_f32 v[144:145], v[144:145], v[134:135], v[148:149] op_sel:[0,0,1] op_sel_hi:[1,0,0]
	s_delay_alu instid0(VALU_DEP_1) | instskip(SKIP_1) | instid1(VALU_DEP_1)
	v_mov_b32_e32 v151, v145
	v_pk_mul_f32 v[144:145], v[146:147], v[136:137] op_sel:[0,1]
	v_pk_fma_f32 v[148:149], v[146:147], v[134:135], v[144:145] op_sel:[0,0,1] op_sel_hi:[1,1,0] neg_lo:[0,0,1] neg_hi:[0,0,1]
	v_pk_fma_f32 v[144:145], v[146:147], v[134:135], v[144:145] op_sel:[0,0,1] op_sel_hi:[1,0,0]
	s_delay_alu instid0(VALU_DEP_1)
	v_mov_b32_e32 v149, v145
	ds_load_2addr_b64 v[144:147], v138 offset0:34 offset1:35
	v_pk_add_f32 v[80:81], v[80:81], v[150:151] neg_lo:[0,1] neg_hi:[0,1]
	v_pk_add_f32 v[76:77], v[76:77], v[148:149] neg_lo:[0,1] neg_hi:[0,1]
	s_wait_dscnt 0x0
	v_pk_mul_f32 v[148:149], v[144:145], v[136:137] op_sel:[0,1]
	s_delay_alu instid0(VALU_DEP_1) | instskip(SKIP_1) | instid1(VALU_DEP_1)
	v_pk_fma_f32 v[150:151], v[144:145], v[134:135], v[148:149] op_sel:[0,0,1] op_sel_hi:[1,1,0] neg_lo:[0,0,1] neg_hi:[0,0,1]
	v_pk_fma_f32 v[144:145], v[144:145], v[134:135], v[148:149] op_sel:[0,0,1] op_sel_hi:[1,0,0]
	v_mov_b32_e32 v151, v145
	v_pk_mul_f32 v[144:145], v[146:147], v[136:137] op_sel:[0,1]
	s_delay_alu instid0(VALU_DEP_1) | instskip(SKIP_1) | instid1(VALU_DEP_1)
	v_pk_fma_f32 v[148:149], v[146:147], v[134:135], v[144:145] op_sel:[0,0,1] op_sel_hi:[1,1,0] neg_lo:[0,0,1] neg_hi:[0,0,1]
	v_pk_fma_f32 v[144:145], v[146:147], v[134:135], v[144:145] op_sel:[0,0,1] op_sel_hi:[1,0,0]
	v_mov_b32_e32 v149, v145
	ds_load_2addr_b64 v[144:147], v138 offset0:36 offset1:37
	v_pk_add_f32 v[78:79], v[78:79], v[150:151] neg_lo:[0,1] neg_hi:[0,1]
	v_pk_add_f32 v[24:25], v[24:25], v[148:149] neg_lo:[0,1] neg_hi:[0,1]
	s_wait_dscnt 0x0
	v_dual_mul_f32 v148, v145, v137 :: v_dual_mul_f32 v150, v145, v134
	s_delay_alu instid0(VALU_DEP_1) | instskip(NEXT) | instid1(VALU_DEP_2)
	v_pk_fma_f32 v[148:149], v[144:145], v[44:45], v[148:149] op_sel_hi:[1,1,0] neg_lo:[0,0,1] neg_hi:[0,0,1]
	v_pk_fma_f32 v[144:145], v[144:145], v[44:45], v[150:151] op_sel:[1,0,0] op_sel_hi:[0,1,0]
	s_delay_alu instid0(VALU_DEP_1) | instskip(SKIP_1) | instid1(VALU_DEP_2)
	v_mov_b32_e32 v149, v145
	v_pk_mul_f32 v[144:145], v[146:147], v[136:137] op_sel:[0,1]
	v_pk_add_f32 v[74:75], v[74:75], v[148:149] neg_lo:[0,1] neg_hi:[0,1]
	s_delay_alu instid0(VALU_DEP_2) | instskip(SKIP_1) | instid1(VALU_DEP_1)
	v_pk_fma_f32 v[148:149], v[146:147], v[134:135], v[144:145] op_sel:[0,0,1] op_sel_hi:[1,1,0] neg_lo:[0,0,1] neg_hi:[0,0,1]
	v_pk_fma_f32 v[144:145], v[146:147], v[134:135], v[144:145] op_sel:[0,0,1] op_sel_hi:[1,0,0]
	v_mov_b32_e32 v149, v145
	ds_load_2addr_b64 v[144:147], v138 offset0:38 offset1:39
	v_pk_add_f32 v[70:71], v[70:71], v[148:149] neg_lo:[0,1] neg_hi:[0,1]
	s_wait_dscnt 0x0
	v_pk_mul_f32 v[148:149], v[144:145], v[136:137] op_sel:[0,1]
	s_delay_alu instid0(VALU_DEP_1) | instskip(SKIP_1) | instid1(VALU_DEP_1)
	v_pk_fma_f32 v[150:151], v[144:145], v[134:135], v[148:149] op_sel:[0,0,1] op_sel_hi:[1,1,0] neg_lo:[0,0,1] neg_hi:[0,0,1]
	v_pk_fma_f32 v[144:145], v[144:145], v[134:135], v[148:149] op_sel:[0,0,1] op_sel_hi:[1,0,0]
	v_mov_b32_e32 v151, v145
	v_pk_mul_f32 v[144:145], v[146:147], v[136:137] op_sel:[0,1]
	s_delay_alu instid0(VALU_DEP_2) | instskip(NEXT) | instid1(VALU_DEP_2)
	v_pk_add_f32 v[72:73], v[72:73], v[150:151] neg_lo:[0,1] neg_hi:[0,1]
	v_pk_fma_f32 v[148:149], v[146:147], v[134:135], v[144:145] op_sel:[0,0,1] op_sel_hi:[1,1,0] neg_lo:[0,0,1] neg_hi:[0,0,1]
	v_pk_fma_f32 v[144:145], v[146:147], v[134:135], v[144:145] op_sel:[0,0,1] op_sel_hi:[1,0,0]
	s_delay_alu instid0(VALU_DEP_1) | instskip(SKIP_4) | instid1(VALU_DEP_1)
	v_mov_b32_e32 v149, v145
	ds_load_2addr_b64 v[144:147], v138 offset0:40 offset1:41
	v_pk_add_f32 v[22:23], v[22:23], v[148:149] neg_lo:[0,1] neg_hi:[0,1]
	s_wait_dscnt 0x0
	v_pk_mul_f32 v[148:149], v[144:145], v[136:137] op_sel:[0,1]
	v_pk_fma_f32 v[150:151], v[144:145], v[134:135], v[148:149] op_sel:[0,0,1] op_sel_hi:[1,1,0] neg_lo:[0,0,1] neg_hi:[0,0,1]
	v_pk_fma_f32 v[144:145], v[144:145], v[134:135], v[148:149] op_sel:[0,0,1] op_sel_hi:[1,0,0]
	v_dual_mul_f32 v148, v147, v137 :: v_dual_mov_b32 v144, v147
	s_delay_alu instid0(VALU_DEP_2) | instskip(NEXT) | instid1(VALU_DEP_2)
	v_dual_mov_b32 v151, v145 :: v_dual_mov_b32 v145, v146
	v_pk_fma_f32 v[148:149], v[146:147], v[44:45], v[148:149] op_sel_hi:[1,1,0] neg_lo:[0,0,1] neg_hi:[0,0,1]
	v_mul_f32_e32 v146, v147, v134
	s_delay_alu instid0(VALU_DEP_3) | instskip(NEXT) | instid1(VALU_DEP_2)
	v_pk_add_f32 v[68:69], v[68:69], v[150:151] neg_lo:[0,1] neg_hi:[0,1]
	v_pk_fma_f32 v[144:145], v[144:145], v[44:45], v[146:147] op_sel_hi:[1,1,0]
	s_delay_alu instid0(VALU_DEP_1) | instskip(SKIP_4) | instid1(VALU_DEP_1)
	v_mov_b32_e32 v149, v145
	ds_load_2addr_b64 v[144:147], v138 offset0:42 offset1:43
	v_pk_add_f32 v[64:65], v[64:65], v[148:149] neg_lo:[0,1] neg_hi:[0,1]
	s_wait_dscnt 0x0
	v_pk_mul_f32 v[148:149], v[144:145], v[136:137] op_sel:[0,1]
	v_pk_fma_f32 v[150:151], v[144:145], v[134:135], v[148:149] op_sel:[0,0,1] op_sel_hi:[1,1,0] neg_lo:[0,0,1] neg_hi:[0,0,1]
	v_pk_fma_f32 v[144:145], v[144:145], v[134:135], v[148:149] op_sel:[0,0,1] op_sel_hi:[1,0,0]
	s_delay_alu instid0(VALU_DEP_1) | instskip(SKIP_1) | instid1(VALU_DEP_1)
	v_mov_b32_e32 v151, v145
	v_pk_mul_f32 v[144:145], v[146:147], v[136:137] op_sel:[0,1]
	v_pk_fma_f32 v[148:149], v[146:147], v[134:135], v[144:145] op_sel:[0,0,1] op_sel_hi:[1,1,0] neg_lo:[0,0,1] neg_hi:[0,0,1]
	v_pk_fma_f32 v[144:145], v[146:147], v[134:135], v[144:145] op_sel:[0,0,1] op_sel_hi:[1,0,0]
	s_delay_alu instid0(VALU_DEP_1)
	v_mov_b32_e32 v149, v145
	ds_load_2addr_b64 v[144:147], v138 offset0:44 offset1:45
	v_pk_add_f32 v[66:67], v[66:67], v[150:151] neg_lo:[0,1] neg_hi:[0,1]
	v_pk_add_f32 v[18:19], v[18:19], v[148:149] neg_lo:[0,1] neg_hi:[0,1]
	s_wait_dscnt 0x0
	v_pk_mul_f32 v[148:149], v[144:145], v[136:137] op_sel:[0,1]
	s_delay_alu instid0(VALU_DEP_1) | instskip(SKIP_1) | instid1(VALU_DEP_1)
	v_pk_fma_f32 v[150:151], v[144:145], v[134:135], v[148:149] op_sel:[0,0,1] op_sel_hi:[1,1,0] neg_lo:[0,0,1] neg_hi:[0,0,1]
	v_pk_fma_f32 v[144:145], v[144:145], v[134:135], v[148:149] op_sel:[0,0,1] op_sel_hi:[1,0,0]
	v_mov_b32_e32 v151, v145
	v_pk_mul_f32 v[144:145], v[146:147], v[136:137] op_sel:[0,1]
	s_delay_alu instid0(VALU_DEP_1) | instskip(SKIP_1) | instid1(VALU_DEP_1)
	v_pk_fma_f32 v[148:149], v[146:147], v[134:135], v[144:145] op_sel:[0,0,1] op_sel_hi:[1,1,0] neg_lo:[0,0,1] neg_hi:[0,0,1]
	v_pk_fma_f32 v[144:145], v[146:147], v[134:135], v[144:145] op_sel:[0,0,1] op_sel_hi:[1,0,0]
	v_mov_b32_e32 v149, v145
	ds_load_2addr_b64 v[144:147], v138 offset0:46 offset1:47
	v_pk_add_f32 v[60:61], v[60:61], v[150:151] neg_lo:[0,1] neg_hi:[0,1]
	v_pk_add_f32 v[56:57], v[56:57], v[148:149] neg_lo:[0,1] neg_hi:[0,1]
	s_wait_dscnt 0x0
	v_dual_mul_f32 v148, v145, v137 :: v_dual_mul_f32 v150, v145, v134
	s_delay_alu instid0(VALU_DEP_1) | instskip(NEXT) | instid1(VALU_DEP_2)
	v_pk_fma_f32 v[148:149], v[144:145], v[44:45], v[148:149] op_sel_hi:[1,1,0] neg_lo:[0,0,1] neg_hi:[0,0,1]
	v_pk_fma_f32 v[144:145], v[144:145], v[44:45], v[150:151] op_sel:[1,0,0] op_sel_hi:[0,1,0]
	s_delay_alu instid0(VALU_DEP_1) | instskip(SKIP_1) | instid1(VALU_DEP_2)
	v_mov_b32_e32 v149, v145
	v_pk_mul_f32 v[144:145], v[146:147], v[136:137] op_sel:[0,1]
	v_pk_add_f32 v[58:59], v[58:59], v[148:149] neg_lo:[0,1] neg_hi:[0,1]
	s_delay_alu instid0(VALU_DEP_2) | instskip(SKIP_1) | instid1(VALU_DEP_1)
	v_pk_fma_f32 v[148:149], v[146:147], v[134:135], v[144:145] op_sel:[0,0,1] op_sel_hi:[1,1,0] neg_lo:[0,0,1] neg_hi:[0,0,1]
	v_pk_fma_f32 v[144:145], v[146:147], v[134:135], v[144:145] op_sel:[0,0,1] op_sel_hi:[1,0,0]
	v_mov_b32_e32 v149, v145
	ds_load_2addr_b64 v[144:147], v138 offset0:48 offset1:49
	v_pk_add_f32 v[12:13], v[12:13], v[148:149] neg_lo:[0,1] neg_hi:[0,1]
	s_wait_dscnt 0x0
	v_pk_mul_f32 v[148:149], v[144:145], v[136:137] op_sel:[0,1]
	s_delay_alu instid0(VALU_DEP_1) | instskip(SKIP_1) | instid1(VALU_DEP_1)
	v_pk_fma_f32 v[150:151], v[144:145], v[134:135], v[148:149] op_sel:[0,0,1] op_sel_hi:[1,1,0] neg_lo:[0,0,1] neg_hi:[0,0,1]
	v_pk_fma_f32 v[144:145], v[144:145], v[134:135], v[148:149] op_sel:[0,0,1] op_sel_hi:[1,0,0]
	v_mov_b32_e32 v151, v145
	v_pk_mul_f32 v[144:145], v[146:147], v[136:137] op_sel:[0,1]
	s_delay_alu instid0(VALU_DEP_2) | instskip(NEXT) | instid1(VALU_DEP_2)
	v_pk_add_f32 v[54:55], v[54:55], v[150:151] neg_lo:[0,1] neg_hi:[0,1]
	v_pk_fma_f32 v[148:149], v[146:147], v[134:135], v[144:145] op_sel:[0,0,1] op_sel_hi:[1,1,0] neg_lo:[0,0,1] neg_hi:[0,0,1]
	v_pk_fma_f32 v[144:145], v[146:147], v[134:135], v[144:145] op_sel:[0,0,1] op_sel_hi:[1,0,0]
	s_delay_alu instid0(VALU_DEP_1) | instskip(SKIP_4) | instid1(VALU_DEP_1)
	v_mov_b32_e32 v149, v145
	ds_load_2addr_b64 v[144:147], v138 offset0:50 offset1:51
	v_pk_add_f32 v[52:53], v[52:53], v[148:149] neg_lo:[0,1] neg_hi:[0,1]
	s_wait_dscnt 0x0
	v_pk_mul_f32 v[148:149], v[144:145], v[136:137] op_sel:[0,1]
	v_pk_fma_f32 v[150:151], v[144:145], v[134:135], v[148:149] op_sel:[0,0,1] op_sel_hi:[1,1,0] neg_lo:[0,0,1] neg_hi:[0,0,1]
	v_pk_fma_f32 v[144:145], v[144:145], v[134:135], v[148:149] op_sel:[0,0,1] op_sel_hi:[1,0,0]
	v_dual_mul_f32 v148, v147, v137 :: v_dual_mov_b32 v144, v147
	s_delay_alu instid0(VALU_DEP_2) | instskip(NEXT) | instid1(VALU_DEP_2)
	v_dual_mov_b32 v151, v145 :: v_dual_mov_b32 v145, v146
	v_pk_fma_f32 v[148:149], v[146:147], v[44:45], v[148:149] op_sel_hi:[1,1,0] neg_lo:[0,0,1] neg_hi:[0,0,1]
	v_mul_f32_e32 v146, v147, v134
	s_delay_alu instid0(VALU_DEP_3) | instskip(NEXT) | instid1(VALU_DEP_2)
	v_pk_add_f32 v[62:63], v[62:63], v[150:151] neg_lo:[0,1] neg_hi:[0,1]
	v_pk_fma_f32 v[144:145], v[144:145], v[44:45], v[146:147] op_sel_hi:[1,1,0]
	s_delay_alu instid0(VALU_DEP_1) | instskip(SKIP_4) | instid1(VALU_DEP_1)
	v_mov_b32_e32 v149, v145
	ds_load_2addr_b64 v[144:147], v138 offset0:52 offset1:53
	v_pk_add_f32 v[16:17], v[16:17], v[148:149] neg_lo:[0,1] neg_hi:[0,1]
	s_wait_dscnt 0x0
	v_pk_mul_f32 v[148:149], v[144:145], v[136:137] op_sel:[0,1]
	v_pk_fma_f32 v[150:151], v[144:145], v[134:135], v[148:149] op_sel:[0,0,1] op_sel_hi:[1,1,0] neg_lo:[0,0,1] neg_hi:[0,0,1]
	v_pk_fma_f32 v[144:145], v[144:145], v[134:135], v[148:149] op_sel:[0,0,1] op_sel_hi:[1,0,0]
	s_delay_alu instid0(VALU_DEP_1) | instskip(SKIP_1) | instid1(VALU_DEP_1)
	v_mov_b32_e32 v151, v145
	v_pk_mul_f32 v[144:145], v[146:147], v[136:137] op_sel:[0,1]
	v_pk_fma_f32 v[148:149], v[146:147], v[134:135], v[144:145] op_sel:[0,0,1] op_sel_hi:[1,1,0] neg_lo:[0,0,1] neg_hi:[0,0,1]
	v_pk_fma_f32 v[144:145], v[146:147], v[134:135], v[144:145] op_sel:[0,0,1] op_sel_hi:[1,0,0]
	s_delay_alu instid0(VALU_DEP_1)
	v_mov_b32_e32 v149, v145
	ds_load_2addr_b64 v[144:147], v138 offset0:54 offset1:55
	v_pk_add_f32 v[48:49], v[48:49], v[150:151] neg_lo:[0,1] neg_hi:[0,1]
	v_pk_add_f32 v[42:43], v[42:43], v[148:149] neg_lo:[0,1] neg_hi:[0,1]
	s_wait_dscnt 0x0
	v_pk_mul_f32 v[148:149], v[144:145], v[136:137] op_sel:[0,1]
	s_delay_alu instid0(VALU_DEP_1) | instskip(SKIP_1) | instid1(VALU_DEP_1)
	v_pk_fma_f32 v[150:151], v[144:145], v[134:135], v[148:149] op_sel:[0,0,1] op_sel_hi:[1,1,0] neg_lo:[0,0,1] neg_hi:[0,0,1]
	v_pk_fma_f32 v[144:145], v[144:145], v[134:135], v[148:149] op_sel:[0,0,1] op_sel_hi:[1,0,0]
	v_mov_b32_e32 v151, v145
	v_pk_mul_f32 v[144:145], v[146:147], v[136:137] op_sel:[0,1]
	s_delay_alu instid0(VALU_DEP_1) | instskip(SKIP_1) | instid1(VALU_DEP_1)
	v_pk_fma_f32 v[148:149], v[146:147], v[134:135], v[144:145] op_sel:[0,0,1] op_sel_hi:[1,1,0] neg_lo:[0,0,1] neg_hi:[0,0,1]
	v_pk_fma_f32 v[144:145], v[146:147], v[134:135], v[144:145] op_sel:[0,0,1] op_sel_hi:[1,0,0]
	v_mov_b32_e32 v149, v145
	ds_load_2addr_b64 v[144:147], v138 offset0:56 offset1:57
	v_pk_add_f32 v[46:47], v[46:47], v[150:151] neg_lo:[0,1] neg_hi:[0,1]
	v_pk_add_f32 v[8:9], v[8:9], v[148:149] neg_lo:[0,1] neg_hi:[0,1]
	s_wait_dscnt 0x0
	v_dual_mul_f32 v148, v145, v137 :: v_dual_mul_f32 v150, v145, v134
	s_delay_alu instid0(VALU_DEP_1) | instskip(NEXT) | instid1(VALU_DEP_2)
	v_pk_fma_f32 v[148:149], v[144:145], v[44:45], v[148:149] op_sel_hi:[1,1,0] neg_lo:[0,0,1] neg_hi:[0,0,1]
	v_pk_fma_f32 v[144:145], v[144:145], v[44:45], v[150:151] op_sel:[1,0,0] op_sel_hi:[0,1,0]
	s_delay_alu instid0(VALU_DEP_1) | instskip(SKIP_1) | instid1(VALU_DEP_2)
	v_mov_b32_e32 v149, v145
	v_pk_mul_f32 v[144:145], v[146:147], v[136:137] op_sel:[0,1]
	v_pk_add_f32 v[32:33], v[32:33], v[148:149] neg_lo:[0,1] neg_hi:[0,1]
	s_delay_alu instid0(VALU_DEP_2) | instskip(SKIP_1) | instid1(VALU_DEP_1)
	v_pk_fma_f32 v[148:149], v[146:147], v[134:135], v[144:145] op_sel:[0,0,1] op_sel_hi:[1,1,0] neg_lo:[0,0,1] neg_hi:[0,0,1]
	v_pk_fma_f32 v[144:145], v[146:147], v[134:135], v[144:145] op_sel:[0,0,1] op_sel_hi:[1,0,0]
	v_mov_b32_e32 v149, v145
	ds_load_2addr_b64 v[144:147], v138 offset0:58 offset1:59
	v_pk_add_f32 v[28:29], v[28:29], v[148:149] neg_lo:[0,1] neg_hi:[0,1]
	s_wait_dscnt 0x0
	v_pk_mul_f32 v[148:149], v[144:145], v[136:137] op_sel:[0,1]
	s_delay_alu instid0(VALU_DEP_1) | instskip(SKIP_1) | instid1(VALU_DEP_1)
	v_pk_fma_f32 v[150:151], v[144:145], v[134:135], v[148:149] op_sel:[0,0,1] op_sel_hi:[1,1,0] neg_lo:[0,0,1] neg_hi:[0,0,1]
	v_pk_fma_f32 v[144:145], v[144:145], v[134:135], v[148:149] op_sel:[0,0,1] op_sel_hi:[1,0,0]
	v_mov_b32_e32 v151, v145
	v_pk_mul_f32 v[144:145], v[146:147], v[136:137] op_sel:[0,1]
	s_delay_alu instid0(VALU_DEP_2) | instskip(NEXT) | instid1(VALU_DEP_2)
	v_pk_add_f32 v[30:31], v[30:31], v[150:151] neg_lo:[0,1] neg_hi:[0,1]
	v_pk_fma_f32 v[148:149], v[146:147], v[134:135], v[144:145] op_sel:[0,0,1] op_sel_hi:[1,1,0] neg_lo:[0,0,1] neg_hi:[0,0,1]
	v_pk_fma_f32 v[144:145], v[146:147], v[134:135], v[144:145] op_sel:[0,0,1] op_sel_hi:[1,0,0]
	s_delay_alu instid0(VALU_DEP_1) | instskip(SKIP_4) | instid1(VALU_DEP_1)
	v_mov_b32_e32 v149, v145
	ds_load_2addr_b64 v[144:147], v138 offset0:60 offset1:61
	v_pk_add_f32 v[6:7], v[6:7], v[148:149] neg_lo:[0,1] neg_hi:[0,1]
	s_wait_dscnt 0x0
	v_pk_mul_f32 v[148:149], v[144:145], v[136:137] op_sel:[0,1]
	v_pk_fma_f32 v[150:151], v[144:145], v[134:135], v[148:149] op_sel:[0,0,1] op_sel_hi:[1,1,0] neg_lo:[0,0,1] neg_hi:[0,0,1]
	v_pk_fma_f32 v[144:145], v[144:145], v[134:135], v[148:149] op_sel:[0,0,1] op_sel_hi:[1,0,0]
	v_dual_mul_f32 v148, v147, v137 :: v_dual_mov_b32 v144, v147
	s_delay_alu instid0(VALU_DEP_2) | instskip(NEXT) | instid1(VALU_DEP_2)
	v_dual_mov_b32 v151, v145 :: v_dual_mov_b32 v145, v146
	v_pk_fma_f32 v[148:149], v[146:147], v[44:45], v[148:149] op_sel_hi:[1,1,0] neg_lo:[0,0,1] neg_hi:[0,0,1]
	v_mul_f32_e32 v146, v147, v134
	s_delay_alu instid0(VALU_DEP_3) | instskip(NEXT) | instid1(VALU_DEP_2)
	v_pk_add_f32 v[20:21], v[20:21], v[150:151] neg_lo:[0,1] neg_hi:[0,1]
	v_pk_fma_f32 v[144:145], v[144:145], v[44:45], v[146:147] op_sel_hi:[1,1,0]
	s_delay_alu instid0(VALU_DEP_1)
	v_mov_b32_e32 v149, v145
	ds_load_2addr_b64 v[144:147], v138 offset0:62 offset1:63
	v_pk_add_f32 v[14:15], v[14:15], v[148:149] neg_lo:[0,1] neg_hi:[0,1]
	s_wait_dscnt 0x0
	v_pk_mul_f32 v[148:149], v[144:145], v[136:137] op_sel:[0,1]
	v_pk_mul_f32 v[136:137], v[146:147], v[136:137] op_sel:[0,1]
	s_delay_alu instid0(VALU_DEP_2) | instskip(SKIP_1) | instid1(VALU_DEP_1)
	v_pk_fma_f32 v[150:151], v[144:145], v[134:135], v[148:149] op_sel:[0,0,1] op_sel_hi:[1,1,0] neg_lo:[0,0,1] neg_hi:[0,0,1]
	v_pk_fma_f32 v[144:145], v[144:145], v[134:135], v[148:149] op_sel:[0,0,1] op_sel_hi:[1,0,0]
	v_mov_b32_e32 v151, v145
	s_delay_alu instid0(VALU_DEP_4) | instskip(SKIP_1) | instid1(VALU_DEP_1)
	v_pk_fma_f32 v[144:145], v[146:147], v[134:135], v[136:137] op_sel:[0,0,1] op_sel_hi:[1,1,0] neg_lo:[0,0,1] neg_hi:[0,0,1]
	v_pk_fma_f32 v[134:135], v[146:147], v[134:135], v[136:137] op_sel:[0,0,1] op_sel_hi:[1,0,0]
	v_mov_b32_e32 v145, v135
	s_delay_alu instid0(VALU_DEP_4) | instskip(NEXT) | instid1(VALU_DEP_2)
	v_pk_add_f32 v[10:11], v[10:11], v[150:151] neg_lo:[0,1] neg_hi:[0,1]
	v_pk_add_f32 v[132:133], v[132:133], v[144:145] neg_lo:[0,1] neg_hi:[0,1]
.LBB126_167:
	s_or_b32 exec_lo, exec_lo, s0
	v_lshl_add_u32 v134, v142, 3, v138
	s_barrier_signal -1
	s_barrier_wait -1
	ds_store_b64 v134, v[118:119]
	s_wait_dscnt 0x0
	s_barrier_signal -1
	s_barrier_wait -1
	ds_load_b64 v[136:137], v138 offset:64
	v_mov_b32_e32 v134, 8
	s_cmp_lt_i32 s18, 10
	s_cbranch_scc1 .LBB126_170
; %bb.168:
	v_add3_u32 v135, v139, 0, 0x48
	v_mov_b32_e32 v134, 8
	s_mov_b32 s0, 9
.LBB126_169:                            ; =>This Inner Loop Header: Depth=1
	ds_load_b64 v[144:145], v135
	s_wait_dscnt 0x1
	v_cmp_gt_f32_e32 vcc_lo, 0, v136
	v_cndmask_b32_e64 v146, v136, -v136, vcc_lo
	v_cmp_gt_f32_e32 vcc_lo, 0, v137
	v_cndmask_b32_e64 v148, v137, -v137, vcc_lo
	s_wait_dscnt 0x0
	v_cmp_gt_f32_e32 vcc_lo, 0, v144
	v_cndmask_b32_e64 v147, v144, -v144, vcc_lo
	v_cmp_gt_f32_e32 vcc_lo, 0, v145
	v_cndmask_b32_e64 v149, v145, -v145, vcc_lo
	s_delay_alu instid0(VALU_DEP_1) | instskip(NEXT) | instid1(VALU_DEP_1)
	v_pk_add_f32 v[146:147], v[146:147], v[148:149]
	v_cmp_lt_f32_e32 vcc_lo, v146, v147
	v_dual_add_nc_u32 v135, 8, v135 :: v_dual_cndmask_b32 v137, v137, v145, vcc_lo
	v_cndmask_b32_e32 v136, v136, v144, vcc_lo
	v_cndmask_b32_e64 v134, v134, s0, vcc_lo
	s_add_co_i32 s0, s0, 1
	s_delay_alu instid0(SALU_CYCLE_1)
	s_cmp_lg_u32 s18, s0
	s_cbranch_scc1 .LBB126_169
.LBB126_170:
	s_wait_dscnt 0x0
	v_cmp_eq_f32_e32 vcc_lo, 0, v136
	v_cmp_eq_f32_e64 s0, 0, v137
	s_and_b32 s0, vcc_lo, s0
	s_delay_alu instid0(SALU_CYCLE_1) | instskip(NEXT) | instid1(SALU_CYCLE_1)
	s_and_saveexec_b32 s1, s0
	s_xor_b32 s0, exec_lo, s1
; %bb.171:
	v_cmp_ne_u32_e32 vcc_lo, 0, v140
	v_cndmask_b32_e32 v140, 9, v140, vcc_lo
; %bb.172:
	s_and_not1_saveexec_b32 s0, s0
	s_cbranch_execz .LBB126_178
; %bb.173:
	v_cmp_ngt_f32_e64 s1, |v136|, |v137|
	s_and_saveexec_b32 s12, s1
	s_delay_alu instid0(SALU_CYCLE_1)
	s_xor_b32 s1, exec_lo, s12
	s_cbranch_execz .LBB126_175
; %bb.174:
	v_div_scale_f32 v135, null, v137, v137, v136
	v_div_scale_f32 v145, vcc_lo, v136, v137, v136
	s_delay_alu instid0(VALU_DEP_2) | instskip(SKIP_1) | instid1(TRANS32_DEP_1)
	v_rcp_f32_e32 v143, v135
	v_nop
	v_fma_f32 v144, -v135, v143, 1.0
	s_delay_alu instid0(VALU_DEP_1) | instskip(NEXT) | instid1(VALU_DEP_1)
	v_fmac_f32_e32 v143, v144, v143
	v_mul_f32_e32 v144, v145, v143
	s_delay_alu instid0(VALU_DEP_1) | instskip(NEXT) | instid1(VALU_DEP_1)
	v_fma_f32 v146, -v135, v144, v145
	v_fmac_f32_e32 v144, v146, v143
	s_delay_alu instid0(VALU_DEP_1) | instskip(NEXT) | instid1(VALU_DEP_1)
	v_fma_f32 v135, -v135, v144, v145
	v_div_fmas_f32 v135, v135, v143, v144
	s_delay_alu instid0(VALU_DEP_1) | instskip(NEXT) | instid1(VALU_DEP_1)
	v_div_fixup_f32 v135, v135, v137, v136
	v_fmac_f32_e32 v137, v136, v135
	s_delay_alu instid0(VALU_DEP_1) | instskip(SKIP_1) | instid1(VALU_DEP_2)
	v_div_scale_f32 v136, null, v137, v137, 1.0
	v_div_scale_f32 v145, vcc_lo, 1.0, v137, 1.0
	v_rcp_f32_e32 v143, v136
	v_nop
	s_delay_alu instid0(TRANS32_DEP_1) | instskip(NEXT) | instid1(VALU_DEP_1)
	v_fma_f32 v144, -v136, v143, 1.0
	v_fmac_f32_e32 v143, v144, v143
	s_delay_alu instid0(VALU_DEP_1) | instskip(NEXT) | instid1(VALU_DEP_1)
	v_mul_f32_e32 v144, v145, v143
	v_fma_f32 v146, -v136, v144, v145
	s_delay_alu instid0(VALU_DEP_1) | instskip(NEXT) | instid1(VALU_DEP_1)
	v_fmac_f32_e32 v144, v146, v143
	v_fma_f32 v136, -v136, v144, v145
	s_delay_alu instid0(VALU_DEP_1) | instskip(NEXT) | instid1(VALU_DEP_1)
	v_div_fmas_f32 v136, v136, v143, v144
	v_div_fixup_f32 v137, v136, v137, 1.0
	s_delay_alu instid0(VALU_DEP_1)
	v_mul_f32_e32 v136, v135, v137
	v_xor_b32_e32 v137, 0x80000000, v137
.LBB126_175:
	s_and_not1_saveexec_b32 s1, s1
	s_cbranch_execz .LBB126_177
; %bb.176:
	s_delay_alu instid0(VALU_DEP_1) | instskip(SKIP_1) | instid1(VALU_DEP_2)
	v_div_scale_f32 v135, null, v136, v136, v137
	v_div_scale_f32 v145, vcc_lo, v137, v136, v137
	v_rcp_f32_e32 v143, v135
	v_nop
	s_delay_alu instid0(TRANS32_DEP_1) | instskip(NEXT) | instid1(VALU_DEP_1)
	v_fma_f32 v144, -v135, v143, 1.0
	v_fmac_f32_e32 v143, v144, v143
	s_delay_alu instid0(VALU_DEP_1) | instskip(NEXT) | instid1(VALU_DEP_1)
	v_mul_f32_e32 v144, v145, v143
	v_fma_f32 v146, -v135, v144, v145
	s_delay_alu instid0(VALU_DEP_1) | instskip(NEXT) | instid1(VALU_DEP_1)
	v_fmac_f32_e32 v144, v146, v143
	v_fma_f32 v135, -v135, v144, v145
	s_delay_alu instid0(VALU_DEP_1) | instskip(NEXT) | instid1(VALU_DEP_1)
	v_div_fmas_f32 v135, v135, v143, v144
	v_div_fixup_f32 v135, v135, v136, v137
	s_delay_alu instid0(VALU_DEP_1) | instskip(NEXT) | instid1(VALU_DEP_1)
	v_fmac_f32_e32 v136, v137, v135
	v_div_scale_f32 v137, null, v136, v136, 1.0
	s_delay_alu instid0(VALU_DEP_1) | instskip(SKIP_1) | instid1(TRANS32_DEP_1)
	v_rcp_f32_e32 v143, v137
	v_nop
	v_fma_f32 v144, -v137, v143, 1.0
	s_delay_alu instid0(VALU_DEP_1) | instskip(SKIP_1) | instid1(VALU_DEP_1)
	v_fmac_f32_e32 v143, v144, v143
	v_div_scale_f32 v144, vcc_lo, 1.0, v136, 1.0
	v_mul_f32_e32 v145, v144, v143
	s_delay_alu instid0(VALU_DEP_1) | instskip(NEXT) | instid1(VALU_DEP_1)
	v_fma_f32 v146, -v137, v145, v144
	v_fmac_f32_e32 v145, v146, v143
	s_delay_alu instid0(VALU_DEP_1) | instskip(NEXT) | instid1(VALU_DEP_1)
	v_fma_f32 v137, -v137, v145, v144
	v_div_fmas_f32 v137, v137, v143, v145
	s_delay_alu instid0(VALU_DEP_1) | instskip(NEXT) | instid1(VALU_DEP_1)
	v_div_fixup_f32 v136, v137, v136, 1.0
	v_mul_f32_e64 v137, v135, -v136
.LBB126_177:
	s_or_b32 exec_lo, exec_lo, s1
.LBB126_178:
	s_delay_alu instid0(SALU_CYCLE_1) | instskip(NEXT) | instid1(SALU_CYCLE_1)
	s_or_b32 exec_lo, exec_lo, s0
	s_mov_b32 s0, exec_lo
	v_cmpx_ne_u32_e64 v142, v134
	s_xor_b32 s0, exec_lo, s0
	s_cbranch_execz .LBB126_184
; %bb.179:
	s_mov_b32 s1, exec_lo
	v_cmpx_eq_u32_e32 8, v142
	s_cbranch_execz .LBB126_183
; %bb.180:
	v_cmp_ne_u32_e32 vcc_lo, 8, v134
	s_xor_b32 s12, s16, -1
	s_delay_alu instid0(SALU_CYCLE_1) | instskip(NEXT) | instid1(SALU_CYCLE_1)
	s_and_b32 s13, s12, vcc_lo
	s_and_saveexec_b32 s12, s13
	s_cbranch_execz .LBB126_182
; %bb.181:
	v_ashrrev_i32_e32 v135, 31, v134
	s_delay_alu instid0(VALU_DEP_1)
	v_lshl_add_u64 v[142:143], v[134:135], 2, v[4:5]
	s_clause 0x1
	global_load_b32 v135, v[142:143], off
	global_load_b32 v141, v[4:5], off offset:32
	s_wait_loadcnt 0x1
	global_store_b32 v[4:5], v135, off offset:32
	s_wait_loadcnt 0x0
	global_store_b32 v[142:143], v141, off
.LBB126_182:
	s_wait_xcnt 0x0
	s_or_b32 exec_lo, exec_lo, s12
	v_dual_mov_b32 v142, v134 :: v_dual_mov_b32 v141, v134
.LBB126_183:
	s_or_b32 exec_lo, exec_lo, s1
.LBB126_184:
	s_and_not1_saveexec_b32 s0, s0
	s_cbranch_execz .LBB126_186
; %bb.185:
	v_mov_b32_e32 v142, 8
	ds_store_2addr_b64 v138, v[114:115], v[116:117] offset0:9 offset1:10
	ds_store_2addr_b64 v138, v[50:51], v[110:111] offset0:11 offset1:12
	;; [unrolled: 1-line block ×27, first 2 shown]
	ds_store_b64 v138, v[132:133] offset:504
.LBB126_186:
	s_or_b32 exec_lo, exec_lo, s0
	s_delay_alu instid0(SALU_CYCLE_1)
	s_mov_b32 s0, exec_lo
	s_wait_storecnt_dscnt 0x0
	s_barrier_signal -1
	s_barrier_wait -1
	v_cmpx_lt_i32_e32 8, v142
	s_cbranch_execz .LBB126_188
; %bb.187:
	v_pk_mul_f32 v[144:145], v[136:137], v[118:119] op_sel:[1,1] op_sel_hi:[0,1]
	s_delay_alu instid0(VALU_DEP_1)
	v_pk_fma_f32 v[134:135], v[136:137], v[118:119], v[144:145] op_sel_hi:[1,0,1] neg_lo:[0,0,1] neg_hi:[0,0,1]
	v_pk_fma_f32 v[136:137], v[136:137], v[118:119], v[144:145] op_sel_hi:[1,0,1]
	ds_load_2addr_b64 v[144:147], v138 offset0:9 offset1:10
	v_dual_mov_b32 v118, v134 :: v_dual_mov_b32 v119, v137
	s_wait_dscnt 0x0
	v_pk_mul_f32 v[148:149], v[144:145], v[136:137] op_sel:[0,1]
	s_delay_alu instid0(VALU_DEP_1) | instskip(SKIP_1) | instid1(VALU_DEP_1)
	v_pk_fma_f32 v[150:151], v[144:145], v[134:135], v[148:149] op_sel:[0,0,1] op_sel_hi:[1,1,0] neg_lo:[0,0,1] neg_hi:[0,0,1]
	v_pk_fma_f32 v[144:145], v[144:145], v[134:135], v[148:149] op_sel:[0,0,1] op_sel_hi:[1,0,0]
	v_mov_b32_e32 v151, v145
	v_pk_mul_f32 v[144:145], v[146:147], v[136:137] op_sel:[0,1]
	s_delay_alu instid0(VALU_DEP_1) | instskip(SKIP_1) | instid1(VALU_DEP_1)
	v_pk_fma_f32 v[148:149], v[146:147], v[134:135], v[144:145] op_sel:[0,0,1] op_sel_hi:[1,1,0] neg_lo:[0,0,1] neg_hi:[0,0,1]
	v_pk_fma_f32 v[144:145], v[146:147], v[134:135], v[144:145] op_sel:[0,0,1] op_sel_hi:[1,0,0]
	v_mov_b32_e32 v149, v145
	ds_load_2addr_b64 v[144:147], v138 offset0:11 offset1:12
	v_pk_add_f32 v[114:115], v[114:115], v[150:151] neg_lo:[0,1] neg_hi:[0,1]
	v_pk_add_f32 v[116:117], v[116:117], v[148:149] neg_lo:[0,1] neg_hi:[0,1]
	s_wait_dscnt 0x0
	v_pk_mul_f32 v[148:149], v[144:145], v[136:137] op_sel:[0,1]
	s_delay_alu instid0(VALU_DEP_1) | instskip(SKIP_2) | instid1(VALU_DEP_2)
	v_pk_fma_f32 v[150:151], v[144:145], v[134:135], v[148:149] op_sel:[0,0,1] op_sel_hi:[1,1,0] neg_lo:[0,0,1] neg_hi:[0,0,1]
	v_pk_fma_f32 v[144:145], v[144:145], v[134:135], v[148:149] op_sel:[0,0,1] op_sel_hi:[1,0,0]
	v_dual_mul_f32 v148, v147, v137 :: v_dual_mov_b32 v144, v147
	v_dual_mov_b32 v151, v145 :: v_dual_mov_b32 v145, v146
	s_delay_alu instid0(VALU_DEP_2) | instskip(SKIP_1) | instid1(VALU_DEP_3)
	v_pk_fma_f32 v[148:149], v[146:147], v[118:119], v[148:149] op_sel_hi:[1,1,0] neg_lo:[0,0,1] neg_hi:[0,0,1]
	v_mul_f32_e32 v146, v147, v134
	v_pk_add_f32 v[50:51], v[50:51], v[150:151] neg_lo:[0,1] neg_hi:[0,1]
	s_delay_alu instid0(VALU_DEP_2) | instskip(NEXT) | instid1(VALU_DEP_1)
	v_pk_fma_f32 v[144:145], v[144:145], v[118:119], v[146:147] op_sel_hi:[1,1,0]
	v_mov_b32_e32 v149, v145
	ds_load_2addr_b64 v[144:147], v138 offset0:13 offset1:14
	v_pk_add_f32 v[110:111], v[110:111], v[148:149] neg_lo:[0,1] neg_hi:[0,1]
	s_wait_dscnt 0x0
	v_pk_mul_f32 v[148:149], v[144:145], v[136:137] op_sel:[0,1]
	s_delay_alu instid0(VALU_DEP_1) | instskip(SKIP_1) | instid1(VALU_DEP_1)
	v_pk_fma_f32 v[150:151], v[144:145], v[134:135], v[148:149] op_sel:[0,0,1] op_sel_hi:[1,1,0] neg_lo:[0,0,1] neg_hi:[0,0,1]
	v_pk_fma_f32 v[144:145], v[144:145], v[134:135], v[148:149] op_sel:[0,0,1] op_sel_hi:[1,0,0]
	v_mov_b32_e32 v151, v145
	v_pk_mul_f32 v[144:145], v[146:147], v[136:137] op_sel:[0,1]
	s_delay_alu instid0(VALU_DEP_1) | instskip(SKIP_1) | instid1(VALU_DEP_1)
	v_pk_fma_f32 v[148:149], v[146:147], v[134:135], v[144:145] op_sel:[0,0,1] op_sel_hi:[1,1,0] neg_lo:[0,0,1] neg_hi:[0,0,1]
	v_pk_fma_f32 v[144:145], v[146:147], v[134:135], v[144:145] op_sel:[0,0,1] op_sel_hi:[1,0,0]
	v_mov_b32_e32 v149, v145
	ds_load_2addr_b64 v[144:147], v138 offset0:15 offset1:16
	v_pk_add_f32 v[106:107], v[106:107], v[150:151] neg_lo:[0,1] neg_hi:[0,1]
	v_pk_add_f32 v[108:109], v[108:109], v[148:149] neg_lo:[0,1] neg_hi:[0,1]
	s_wait_dscnt 0x0
	v_pk_mul_f32 v[148:149], v[144:145], v[136:137] op_sel:[0,1]
	s_delay_alu instid0(VALU_DEP_1) | instskip(SKIP_1) | instid1(VALU_DEP_1)
	v_pk_fma_f32 v[150:151], v[144:145], v[134:135], v[148:149] op_sel:[0,0,1] op_sel_hi:[1,1,0] neg_lo:[0,0,1] neg_hi:[0,0,1]
	v_pk_fma_f32 v[144:145], v[144:145], v[134:135], v[148:149] op_sel:[0,0,1] op_sel_hi:[1,0,0]
	v_mov_b32_e32 v151, v145
	v_pk_mul_f32 v[144:145], v[146:147], v[136:137] op_sel:[0,1]
	s_delay_alu instid0(VALU_DEP_1) | instskip(SKIP_1) | instid1(VALU_DEP_1)
	v_pk_fma_f32 v[148:149], v[146:147], v[134:135], v[144:145] op_sel:[0,0,1] op_sel_hi:[1,1,0] neg_lo:[0,0,1] neg_hi:[0,0,1]
	v_pk_fma_f32 v[144:145], v[146:147], v[134:135], v[144:145] op_sel:[0,0,1] op_sel_hi:[1,0,0]
	v_mov_b32_e32 v149, v145
	ds_load_2addr_b64 v[144:147], v138 offset0:17 offset1:18
	v_pk_add_f32 v[40:41], v[40:41], v[150:151] neg_lo:[0,1] neg_hi:[0,1]
	v_pk_add_f32 v[104:105], v[104:105], v[148:149] neg_lo:[0,1] neg_hi:[0,1]
	s_wait_dscnt 0x0
	v_dual_mul_f32 v148, v145, v137 :: v_dual_mul_f32 v150, v145, v134
	s_delay_alu instid0(VALU_DEP_1) | instskip(NEXT) | instid1(VALU_DEP_2)
	v_pk_fma_f32 v[148:149], v[144:145], v[118:119], v[148:149] op_sel_hi:[1,1,0] neg_lo:[0,0,1] neg_hi:[0,0,1]
	v_pk_fma_f32 v[144:145], v[144:145], v[118:119], v[150:151] op_sel:[1,0,0] op_sel_hi:[0,1,0]
	s_delay_alu instid0(VALU_DEP_1) | instskip(SKIP_1) | instid1(VALU_DEP_2)
	v_mov_b32_e32 v149, v145
	v_pk_mul_f32 v[144:145], v[146:147], v[136:137] op_sel:[0,1]
	v_pk_add_f32 v[100:101], v[100:101], v[148:149] neg_lo:[0,1] neg_hi:[0,1]
	s_delay_alu instid0(VALU_DEP_2) | instskip(SKIP_1) | instid1(VALU_DEP_1)
	v_pk_fma_f32 v[148:149], v[146:147], v[134:135], v[144:145] op_sel:[0,0,1] op_sel_hi:[1,1,0] neg_lo:[0,0,1] neg_hi:[0,0,1]
	v_pk_fma_f32 v[144:145], v[146:147], v[134:135], v[144:145] op_sel:[0,0,1] op_sel_hi:[1,0,0]
	v_mov_b32_e32 v149, v145
	ds_load_2addr_b64 v[144:147], v138 offset0:19 offset1:20
	v_pk_add_f32 v[102:103], v[102:103], v[148:149] neg_lo:[0,1] neg_hi:[0,1]
	s_wait_dscnt 0x0
	v_pk_mul_f32 v[148:149], v[144:145], v[136:137] op_sel:[0,1]
	s_delay_alu instid0(VALU_DEP_1) | instskip(SKIP_1) | instid1(VALU_DEP_1)
	v_pk_fma_f32 v[150:151], v[144:145], v[134:135], v[148:149] op_sel:[0,0,1] op_sel_hi:[1,1,0] neg_lo:[0,0,1] neg_hi:[0,0,1]
	v_pk_fma_f32 v[144:145], v[144:145], v[134:135], v[148:149] op_sel:[0,0,1] op_sel_hi:[1,0,0]
	v_mov_b32_e32 v151, v145
	v_pk_mul_f32 v[144:145], v[146:147], v[136:137] op_sel:[0,1]
	s_delay_alu instid0(VALU_DEP_2) | instskip(NEXT) | instid1(VALU_DEP_2)
	v_pk_add_f32 v[38:39], v[38:39], v[150:151] neg_lo:[0,1] neg_hi:[0,1]
	v_pk_fma_f32 v[148:149], v[146:147], v[134:135], v[144:145] op_sel:[0,0,1] op_sel_hi:[1,1,0] neg_lo:[0,0,1] neg_hi:[0,0,1]
	v_pk_fma_f32 v[144:145], v[146:147], v[134:135], v[144:145] op_sel:[0,0,1] op_sel_hi:[1,0,0]
	s_delay_alu instid0(VALU_DEP_1) | instskip(SKIP_4) | instid1(VALU_DEP_1)
	v_mov_b32_e32 v149, v145
	ds_load_2addr_b64 v[144:147], v138 offset0:21 offset1:22
	v_pk_add_f32 v[98:99], v[98:99], v[148:149] neg_lo:[0,1] neg_hi:[0,1]
	s_wait_dscnt 0x0
	v_pk_mul_f32 v[148:149], v[144:145], v[136:137] op_sel:[0,1]
	v_pk_fma_f32 v[150:151], v[144:145], v[134:135], v[148:149] op_sel:[0,0,1] op_sel_hi:[1,1,0] neg_lo:[0,0,1] neg_hi:[0,0,1]
	v_pk_fma_f32 v[144:145], v[144:145], v[134:135], v[148:149] op_sel:[0,0,1] op_sel_hi:[1,0,0]
	v_dual_mul_f32 v148, v147, v137 :: v_dual_mov_b32 v144, v147
	s_delay_alu instid0(VALU_DEP_2) | instskip(NEXT) | instid1(VALU_DEP_2)
	v_dual_mov_b32 v151, v145 :: v_dual_mov_b32 v145, v146
	v_pk_fma_f32 v[148:149], v[146:147], v[118:119], v[148:149] op_sel_hi:[1,1,0] neg_lo:[0,0,1] neg_hi:[0,0,1]
	v_mul_f32_e32 v146, v147, v134
	s_delay_alu instid0(VALU_DEP_3) | instskip(NEXT) | instid1(VALU_DEP_2)
	v_pk_add_f32 v[94:95], v[94:95], v[150:151] neg_lo:[0,1] neg_hi:[0,1]
	v_pk_fma_f32 v[144:145], v[144:145], v[118:119], v[146:147] op_sel_hi:[1,1,0]
	s_delay_alu instid0(VALU_DEP_1) | instskip(SKIP_4) | instid1(VALU_DEP_1)
	v_mov_b32_e32 v149, v145
	ds_load_2addr_b64 v[144:147], v138 offset0:23 offset1:24
	v_pk_add_f32 v[96:97], v[96:97], v[148:149] neg_lo:[0,1] neg_hi:[0,1]
	s_wait_dscnt 0x0
	v_pk_mul_f32 v[148:149], v[144:145], v[136:137] op_sel:[0,1]
	v_pk_fma_f32 v[150:151], v[144:145], v[134:135], v[148:149] op_sel:[0,0,1] op_sel_hi:[1,1,0] neg_lo:[0,0,1] neg_hi:[0,0,1]
	v_pk_fma_f32 v[144:145], v[144:145], v[134:135], v[148:149] op_sel:[0,0,1] op_sel_hi:[1,0,0]
	s_delay_alu instid0(VALU_DEP_1) | instskip(SKIP_1) | instid1(VALU_DEP_1)
	v_mov_b32_e32 v151, v145
	v_pk_mul_f32 v[144:145], v[146:147], v[136:137] op_sel:[0,1]
	v_pk_fma_f32 v[148:149], v[146:147], v[134:135], v[144:145] op_sel:[0,0,1] op_sel_hi:[1,1,0] neg_lo:[0,0,1] neg_hi:[0,0,1]
	v_pk_fma_f32 v[144:145], v[146:147], v[134:135], v[144:145] op_sel:[0,0,1] op_sel_hi:[1,0,0]
	s_delay_alu instid0(VALU_DEP_1)
	v_mov_b32_e32 v149, v145
	ds_load_2addr_b64 v[144:147], v138 offset0:25 offset1:26
	v_pk_add_f32 v[36:37], v[36:37], v[150:151] neg_lo:[0,1] neg_hi:[0,1]
	v_pk_add_f32 v[92:93], v[92:93], v[148:149] neg_lo:[0,1] neg_hi:[0,1]
	s_wait_dscnt 0x0
	v_pk_mul_f32 v[148:149], v[144:145], v[136:137] op_sel:[0,1]
	s_delay_alu instid0(VALU_DEP_1) | instskip(SKIP_1) | instid1(VALU_DEP_1)
	v_pk_fma_f32 v[150:151], v[144:145], v[134:135], v[148:149] op_sel:[0,0,1] op_sel_hi:[1,1,0] neg_lo:[0,0,1] neg_hi:[0,0,1]
	v_pk_fma_f32 v[144:145], v[144:145], v[134:135], v[148:149] op_sel:[0,0,1] op_sel_hi:[1,0,0]
	v_mov_b32_e32 v151, v145
	v_pk_mul_f32 v[144:145], v[146:147], v[136:137] op_sel:[0,1]
	s_delay_alu instid0(VALU_DEP_1) | instskip(SKIP_1) | instid1(VALU_DEP_1)
	v_pk_fma_f32 v[148:149], v[146:147], v[134:135], v[144:145] op_sel:[0,0,1] op_sel_hi:[1,1,0] neg_lo:[0,0,1] neg_hi:[0,0,1]
	v_pk_fma_f32 v[144:145], v[146:147], v[134:135], v[144:145] op_sel:[0,0,1] op_sel_hi:[1,0,0]
	v_mov_b32_e32 v149, v145
	ds_load_2addr_b64 v[144:147], v138 offset0:27 offset1:28
	v_pk_add_f32 v[88:89], v[88:89], v[150:151] neg_lo:[0,1] neg_hi:[0,1]
	v_pk_add_f32 v[90:91], v[90:91], v[148:149] neg_lo:[0,1] neg_hi:[0,1]
	s_wait_dscnt 0x0
	v_dual_mul_f32 v148, v145, v137 :: v_dual_mul_f32 v150, v145, v134
	s_delay_alu instid0(VALU_DEP_1) | instskip(NEXT) | instid1(VALU_DEP_2)
	v_pk_fma_f32 v[148:149], v[144:145], v[118:119], v[148:149] op_sel_hi:[1,1,0] neg_lo:[0,0,1] neg_hi:[0,0,1]
	v_pk_fma_f32 v[144:145], v[144:145], v[118:119], v[150:151] op_sel:[1,0,0] op_sel_hi:[0,1,0]
	s_delay_alu instid0(VALU_DEP_1) | instskip(SKIP_1) | instid1(VALU_DEP_2)
	v_mov_b32_e32 v149, v145
	v_pk_mul_f32 v[144:145], v[146:147], v[136:137] op_sel:[0,1]
	v_pk_add_f32 v[34:35], v[34:35], v[148:149] neg_lo:[0,1] neg_hi:[0,1]
	s_delay_alu instid0(VALU_DEP_2) | instskip(SKIP_1) | instid1(VALU_DEP_1)
	v_pk_fma_f32 v[148:149], v[146:147], v[134:135], v[144:145] op_sel:[0,0,1] op_sel_hi:[1,1,0] neg_lo:[0,0,1] neg_hi:[0,0,1]
	v_pk_fma_f32 v[144:145], v[146:147], v[134:135], v[144:145] op_sel:[0,0,1] op_sel_hi:[1,0,0]
	v_mov_b32_e32 v149, v145
	ds_load_2addr_b64 v[144:147], v138 offset0:29 offset1:30
	v_pk_add_f32 v[86:87], v[86:87], v[148:149] neg_lo:[0,1] neg_hi:[0,1]
	s_wait_dscnt 0x0
	v_pk_mul_f32 v[148:149], v[144:145], v[136:137] op_sel:[0,1]
	s_delay_alu instid0(VALU_DEP_1) | instskip(SKIP_1) | instid1(VALU_DEP_1)
	v_pk_fma_f32 v[150:151], v[144:145], v[134:135], v[148:149] op_sel:[0,0,1] op_sel_hi:[1,1,0] neg_lo:[0,0,1] neg_hi:[0,0,1]
	v_pk_fma_f32 v[144:145], v[144:145], v[134:135], v[148:149] op_sel:[0,0,1] op_sel_hi:[1,0,0]
	v_mov_b32_e32 v151, v145
	v_pk_mul_f32 v[144:145], v[146:147], v[136:137] op_sel:[0,1]
	s_delay_alu instid0(VALU_DEP_2) | instskip(NEXT) | instid1(VALU_DEP_2)
	v_pk_add_f32 v[82:83], v[82:83], v[150:151] neg_lo:[0,1] neg_hi:[0,1]
	v_pk_fma_f32 v[148:149], v[146:147], v[134:135], v[144:145] op_sel:[0,0,1] op_sel_hi:[1,1,0] neg_lo:[0,0,1] neg_hi:[0,0,1]
	v_pk_fma_f32 v[144:145], v[146:147], v[134:135], v[144:145] op_sel:[0,0,1] op_sel_hi:[1,0,0]
	s_delay_alu instid0(VALU_DEP_1) | instskip(SKIP_4) | instid1(VALU_DEP_1)
	v_mov_b32_e32 v149, v145
	ds_load_2addr_b64 v[144:147], v138 offset0:31 offset1:32
	v_pk_add_f32 v[84:85], v[84:85], v[148:149] neg_lo:[0,1] neg_hi:[0,1]
	s_wait_dscnt 0x0
	v_pk_mul_f32 v[148:149], v[144:145], v[136:137] op_sel:[0,1]
	v_pk_fma_f32 v[150:151], v[144:145], v[134:135], v[148:149] op_sel:[0,0,1] op_sel_hi:[1,1,0] neg_lo:[0,0,1] neg_hi:[0,0,1]
	v_pk_fma_f32 v[144:145], v[144:145], v[134:135], v[148:149] op_sel:[0,0,1] op_sel_hi:[1,0,0]
	v_dual_mul_f32 v148, v147, v137 :: v_dual_mov_b32 v144, v147
	s_delay_alu instid0(VALU_DEP_2) | instskip(NEXT) | instid1(VALU_DEP_2)
	v_dual_mov_b32 v151, v145 :: v_dual_mov_b32 v145, v146
	v_pk_fma_f32 v[148:149], v[146:147], v[118:119], v[148:149] op_sel_hi:[1,1,0] neg_lo:[0,0,1] neg_hi:[0,0,1]
	v_mul_f32_e32 v146, v147, v134
	s_delay_alu instid0(VALU_DEP_3) | instskip(NEXT) | instid1(VALU_DEP_2)
	v_pk_add_f32 v[26:27], v[26:27], v[150:151] neg_lo:[0,1] neg_hi:[0,1]
	v_pk_fma_f32 v[144:145], v[144:145], v[118:119], v[146:147] op_sel_hi:[1,1,0]
	s_delay_alu instid0(VALU_DEP_1) | instskip(SKIP_4) | instid1(VALU_DEP_1)
	v_mov_b32_e32 v149, v145
	ds_load_2addr_b64 v[144:147], v138 offset0:33 offset1:34
	v_pk_add_f32 v[80:81], v[80:81], v[148:149] neg_lo:[0,1] neg_hi:[0,1]
	s_wait_dscnt 0x0
	v_pk_mul_f32 v[148:149], v[144:145], v[136:137] op_sel:[0,1]
	v_pk_fma_f32 v[150:151], v[144:145], v[134:135], v[148:149] op_sel:[0,0,1] op_sel_hi:[1,1,0] neg_lo:[0,0,1] neg_hi:[0,0,1]
	v_pk_fma_f32 v[144:145], v[144:145], v[134:135], v[148:149] op_sel:[0,0,1] op_sel_hi:[1,0,0]
	s_delay_alu instid0(VALU_DEP_1) | instskip(SKIP_1) | instid1(VALU_DEP_1)
	v_mov_b32_e32 v151, v145
	v_pk_mul_f32 v[144:145], v[146:147], v[136:137] op_sel:[0,1]
	v_pk_fma_f32 v[148:149], v[146:147], v[134:135], v[144:145] op_sel:[0,0,1] op_sel_hi:[1,1,0] neg_lo:[0,0,1] neg_hi:[0,0,1]
	v_pk_fma_f32 v[144:145], v[146:147], v[134:135], v[144:145] op_sel:[0,0,1] op_sel_hi:[1,0,0]
	s_delay_alu instid0(VALU_DEP_1)
	v_mov_b32_e32 v149, v145
	ds_load_2addr_b64 v[144:147], v138 offset0:35 offset1:36
	v_pk_add_f32 v[76:77], v[76:77], v[150:151] neg_lo:[0,1] neg_hi:[0,1]
	v_pk_add_f32 v[78:79], v[78:79], v[148:149] neg_lo:[0,1] neg_hi:[0,1]
	s_wait_dscnt 0x0
	v_pk_mul_f32 v[148:149], v[144:145], v[136:137] op_sel:[0,1]
	s_delay_alu instid0(VALU_DEP_1) | instskip(SKIP_1) | instid1(VALU_DEP_1)
	v_pk_fma_f32 v[150:151], v[144:145], v[134:135], v[148:149] op_sel:[0,0,1] op_sel_hi:[1,1,0] neg_lo:[0,0,1] neg_hi:[0,0,1]
	v_pk_fma_f32 v[144:145], v[144:145], v[134:135], v[148:149] op_sel:[0,0,1] op_sel_hi:[1,0,0]
	v_mov_b32_e32 v151, v145
	v_pk_mul_f32 v[144:145], v[146:147], v[136:137] op_sel:[0,1]
	s_delay_alu instid0(VALU_DEP_1) | instskip(SKIP_1) | instid1(VALU_DEP_1)
	v_pk_fma_f32 v[148:149], v[146:147], v[134:135], v[144:145] op_sel:[0,0,1] op_sel_hi:[1,1,0] neg_lo:[0,0,1] neg_hi:[0,0,1]
	v_pk_fma_f32 v[144:145], v[146:147], v[134:135], v[144:145] op_sel:[0,0,1] op_sel_hi:[1,0,0]
	v_mov_b32_e32 v149, v145
	ds_load_2addr_b64 v[144:147], v138 offset0:37 offset1:38
	v_pk_add_f32 v[24:25], v[24:25], v[150:151] neg_lo:[0,1] neg_hi:[0,1]
	v_pk_add_f32 v[74:75], v[74:75], v[148:149] neg_lo:[0,1] neg_hi:[0,1]
	s_wait_dscnt 0x0
	v_dual_mul_f32 v148, v145, v137 :: v_dual_mul_f32 v150, v145, v134
	s_delay_alu instid0(VALU_DEP_1) | instskip(NEXT) | instid1(VALU_DEP_2)
	v_pk_fma_f32 v[148:149], v[144:145], v[118:119], v[148:149] op_sel_hi:[1,1,0] neg_lo:[0,0,1] neg_hi:[0,0,1]
	v_pk_fma_f32 v[144:145], v[144:145], v[118:119], v[150:151] op_sel:[1,0,0] op_sel_hi:[0,1,0]
	s_delay_alu instid0(VALU_DEP_1) | instskip(SKIP_1) | instid1(VALU_DEP_2)
	v_mov_b32_e32 v149, v145
	v_pk_mul_f32 v[144:145], v[146:147], v[136:137] op_sel:[0,1]
	v_pk_add_f32 v[70:71], v[70:71], v[148:149] neg_lo:[0,1] neg_hi:[0,1]
	s_delay_alu instid0(VALU_DEP_2) | instskip(SKIP_1) | instid1(VALU_DEP_1)
	v_pk_fma_f32 v[148:149], v[146:147], v[134:135], v[144:145] op_sel:[0,0,1] op_sel_hi:[1,1,0] neg_lo:[0,0,1] neg_hi:[0,0,1]
	v_pk_fma_f32 v[144:145], v[146:147], v[134:135], v[144:145] op_sel:[0,0,1] op_sel_hi:[1,0,0]
	v_mov_b32_e32 v149, v145
	ds_load_2addr_b64 v[144:147], v138 offset0:39 offset1:40
	v_pk_add_f32 v[72:73], v[72:73], v[148:149] neg_lo:[0,1] neg_hi:[0,1]
	s_wait_dscnt 0x0
	v_pk_mul_f32 v[148:149], v[144:145], v[136:137] op_sel:[0,1]
	s_delay_alu instid0(VALU_DEP_1) | instskip(SKIP_1) | instid1(VALU_DEP_1)
	v_pk_fma_f32 v[150:151], v[144:145], v[134:135], v[148:149] op_sel:[0,0,1] op_sel_hi:[1,1,0] neg_lo:[0,0,1] neg_hi:[0,0,1]
	v_pk_fma_f32 v[144:145], v[144:145], v[134:135], v[148:149] op_sel:[0,0,1] op_sel_hi:[1,0,0]
	v_mov_b32_e32 v151, v145
	v_pk_mul_f32 v[144:145], v[146:147], v[136:137] op_sel:[0,1]
	s_delay_alu instid0(VALU_DEP_2) | instskip(NEXT) | instid1(VALU_DEP_2)
	v_pk_add_f32 v[22:23], v[22:23], v[150:151] neg_lo:[0,1] neg_hi:[0,1]
	v_pk_fma_f32 v[148:149], v[146:147], v[134:135], v[144:145] op_sel:[0,0,1] op_sel_hi:[1,1,0] neg_lo:[0,0,1] neg_hi:[0,0,1]
	v_pk_fma_f32 v[144:145], v[146:147], v[134:135], v[144:145] op_sel:[0,0,1] op_sel_hi:[1,0,0]
	s_delay_alu instid0(VALU_DEP_1) | instskip(SKIP_4) | instid1(VALU_DEP_1)
	v_mov_b32_e32 v149, v145
	ds_load_2addr_b64 v[144:147], v138 offset0:41 offset1:42
	v_pk_add_f32 v[68:69], v[68:69], v[148:149] neg_lo:[0,1] neg_hi:[0,1]
	s_wait_dscnt 0x0
	v_pk_mul_f32 v[148:149], v[144:145], v[136:137] op_sel:[0,1]
	v_pk_fma_f32 v[150:151], v[144:145], v[134:135], v[148:149] op_sel:[0,0,1] op_sel_hi:[1,1,0] neg_lo:[0,0,1] neg_hi:[0,0,1]
	v_pk_fma_f32 v[144:145], v[144:145], v[134:135], v[148:149] op_sel:[0,0,1] op_sel_hi:[1,0,0]
	v_dual_mul_f32 v148, v147, v137 :: v_dual_mov_b32 v144, v147
	s_delay_alu instid0(VALU_DEP_2) | instskip(NEXT) | instid1(VALU_DEP_2)
	v_dual_mov_b32 v151, v145 :: v_dual_mov_b32 v145, v146
	v_pk_fma_f32 v[148:149], v[146:147], v[118:119], v[148:149] op_sel_hi:[1,1,0] neg_lo:[0,0,1] neg_hi:[0,0,1]
	v_mul_f32_e32 v146, v147, v134
	s_delay_alu instid0(VALU_DEP_3) | instskip(NEXT) | instid1(VALU_DEP_2)
	v_pk_add_f32 v[64:65], v[64:65], v[150:151] neg_lo:[0,1] neg_hi:[0,1]
	v_pk_fma_f32 v[144:145], v[144:145], v[118:119], v[146:147] op_sel_hi:[1,1,0]
	s_delay_alu instid0(VALU_DEP_1) | instskip(SKIP_4) | instid1(VALU_DEP_1)
	v_mov_b32_e32 v149, v145
	ds_load_2addr_b64 v[144:147], v138 offset0:43 offset1:44
	v_pk_add_f32 v[66:67], v[66:67], v[148:149] neg_lo:[0,1] neg_hi:[0,1]
	s_wait_dscnt 0x0
	v_pk_mul_f32 v[148:149], v[144:145], v[136:137] op_sel:[0,1]
	v_pk_fma_f32 v[150:151], v[144:145], v[134:135], v[148:149] op_sel:[0,0,1] op_sel_hi:[1,1,0] neg_lo:[0,0,1] neg_hi:[0,0,1]
	v_pk_fma_f32 v[144:145], v[144:145], v[134:135], v[148:149] op_sel:[0,0,1] op_sel_hi:[1,0,0]
	s_delay_alu instid0(VALU_DEP_1) | instskip(SKIP_1) | instid1(VALU_DEP_1)
	v_mov_b32_e32 v151, v145
	v_pk_mul_f32 v[144:145], v[146:147], v[136:137] op_sel:[0,1]
	v_pk_fma_f32 v[148:149], v[146:147], v[134:135], v[144:145] op_sel:[0,0,1] op_sel_hi:[1,1,0] neg_lo:[0,0,1] neg_hi:[0,0,1]
	v_pk_fma_f32 v[144:145], v[146:147], v[134:135], v[144:145] op_sel:[0,0,1] op_sel_hi:[1,0,0]
	s_delay_alu instid0(VALU_DEP_1)
	v_mov_b32_e32 v149, v145
	ds_load_2addr_b64 v[144:147], v138 offset0:45 offset1:46
	v_pk_add_f32 v[18:19], v[18:19], v[150:151] neg_lo:[0,1] neg_hi:[0,1]
	v_pk_add_f32 v[60:61], v[60:61], v[148:149] neg_lo:[0,1] neg_hi:[0,1]
	s_wait_dscnt 0x0
	v_pk_mul_f32 v[148:149], v[144:145], v[136:137] op_sel:[0,1]
	s_delay_alu instid0(VALU_DEP_1) | instskip(SKIP_1) | instid1(VALU_DEP_1)
	v_pk_fma_f32 v[150:151], v[144:145], v[134:135], v[148:149] op_sel:[0,0,1] op_sel_hi:[1,1,0] neg_lo:[0,0,1] neg_hi:[0,0,1]
	v_pk_fma_f32 v[144:145], v[144:145], v[134:135], v[148:149] op_sel:[0,0,1] op_sel_hi:[1,0,0]
	v_mov_b32_e32 v151, v145
	v_pk_mul_f32 v[144:145], v[146:147], v[136:137] op_sel:[0,1]
	s_delay_alu instid0(VALU_DEP_1) | instskip(SKIP_1) | instid1(VALU_DEP_1)
	v_pk_fma_f32 v[148:149], v[146:147], v[134:135], v[144:145] op_sel:[0,0,1] op_sel_hi:[1,1,0] neg_lo:[0,0,1] neg_hi:[0,0,1]
	v_pk_fma_f32 v[144:145], v[146:147], v[134:135], v[144:145] op_sel:[0,0,1] op_sel_hi:[1,0,0]
	v_mov_b32_e32 v149, v145
	ds_load_2addr_b64 v[144:147], v138 offset0:47 offset1:48
	v_pk_add_f32 v[56:57], v[56:57], v[150:151] neg_lo:[0,1] neg_hi:[0,1]
	v_pk_add_f32 v[58:59], v[58:59], v[148:149] neg_lo:[0,1] neg_hi:[0,1]
	s_wait_dscnt 0x0
	v_dual_mul_f32 v148, v145, v137 :: v_dual_mul_f32 v150, v145, v134
	s_delay_alu instid0(VALU_DEP_1) | instskip(NEXT) | instid1(VALU_DEP_2)
	v_pk_fma_f32 v[148:149], v[144:145], v[118:119], v[148:149] op_sel_hi:[1,1,0] neg_lo:[0,0,1] neg_hi:[0,0,1]
	v_pk_fma_f32 v[144:145], v[144:145], v[118:119], v[150:151] op_sel:[1,0,0] op_sel_hi:[0,1,0]
	s_delay_alu instid0(VALU_DEP_1) | instskip(SKIP_1) | instid1(VALU_DEP_2)
	v_mov_b32_e32 v149, v145
	v_pk_mul_f32 v[144:145], v[146:147], v[136:137] op_sel:[0,1]
	v_pk_add_f32 v[12:13], v[12:13], v[148:149] neg_lo:[0,1] neg_hi:[0,1]
	s_delay_alu instid0(VALU_DEP_2) | instskip(SKIP_1) | instid1(VALU_DEP_1)
	v_pk_fma_f32 v[148:149], v[146:147], v[134:135], v[144:145] op_sel:[0,0,1] op_sel_hi:[1,1,0] neg_lo:[0,0,1] neg_hi:[0,0,1]
	v_pk_fma_f32 v[144:145], v[146:147], v[134:135], v[144:145] op_sel:[0,0,1] op_sel_hi:[1,0,0]
	v_mov_b32_e32 v149, v145
	ds_load_2addr_b64 v[144:147], v138 offset0:49 offset1:50
	v_pk_add_f32 v[54:55], v[54:55], v[148:149] neg_lo:[0,1] neg_hi:[0,1]
	s_wait_dscnt 0x0
	v_pk_mul_f32 v[148:149], v[144:145], v[136:137] op_sel:[0,1]
	s_delay_alu instid0(VALU_DEP_1) | instskip(SKIP_1) | instid1(VALU_DEP_1)
	v_pk_fma_f32 v[150:151], v[144:145], v[134:135], v[148:149] op_sel:[0,0,1] op_sel_hi:[1,1,0] neg_lo:[0,0,1] neg_hi:[0,0,1]
	v_pk_fma_f32 v[144:145], v[144:145], v[134:135], v[148:149] op_sel:[0,0,1] op_sel_hi:[1,0,0]
	v_mov_b32_e32 v151, v145
	v_pk_mul_f32 v[144:145], v[146:147], v[136:137] op_sel:[0,1]
	s_delay_alu instid0(VALU_DEP_2) | instskip(NEXT) | instid1(VALU_DEP_2)
	v_pk_add_f32 v[52:53], v[52:53], v[150:151] neg_lo:[0,1] neg_hi:[0,1]
	v_pk_fma_f32 v[148:149], v[146:147], v[134:135], v[144:145] op_sel:[0,0,1] op_sel_hi:[1,1,0] neg_lo:[0,0,1] neg_hi:[0,0,1]
	v_pk_fma_f32 v[144:145], v[146:147], v[134:135], v[144:145] op_sel:[0,0,1] op_sel_hi:[1,0,0]
	s_delay_alu instid0(VALU_DEP_1) | instskip(SKIP_4) | instid1(VALU_DEP_1)
	v_mov_b32_e32 v149, v145
	ds_load_2addr_b64 v[144:147], v138 offset0:51 offset1:52
	v_pk_add_f32 v[62:63], v[62:63], v[148:149] neg_lo:[0,1] neg_hi:[0,1]
	s_wait_dscnt 0x0
	v_pk_mul_f32 v[148:149], v[144:145], v[136:137] op_sel:[0,1]
	v_pk_fma_f32 v[150:151], v[144:145], v[134:135], v[148:149] op_sel:[0,0,1] op_sel_hi:[1,1,0] neg_lo:[0,0,1] neg_hi:[0,0,1]
	v_pk_fma_f32 v[144:145], v[144:145], v[134:135], v[148:149] op_sel:[0,0,1] op_sel_hi:[1,0,0]
	v_dual_mul_f32 v148, v147, v137 :: v_dual_mov_b32 v144, v147
	s_delay_alu instid0(VALU_DEP_2) | instskip(NEXT) | instid1(VALU_DEP_2)
	v_dual_mov_b32 v151, v145 :: v_dual_mov_b32 v145, v146
	v_pk_fma_f32 v[148:149], v[146:147], v[118:119], v[148:149] op_sel_hi:[1,1,0] neg_lo:[0,0,1] neg_hi:[0,0,1]
	v_mul_f32_e32 v146, v147, v134
	s_delay_alu instid0(VALU_DEP_3) | instskip(NEXT) | instid1(VALU_DEP_2)
	v_pk_add_f32 v[16:17], v[16:17], v[150:151] neg_lo:[0,1] neg_hi:[0,1]
	v_pk_fma_f32 v[144:145], v[144:145], v[118:119], v[146:147] op_sel_hi:[1,1,0]
	s_delay_alu instid0(VALU_DEP_1) | instskip(SKIP_4) | instid1(VALU_DEP_1)
	v_mov_b32_e32 v149, v145
	ds_load_2addr_b64 v[144:147], v138 offset0:53 offset1:54
	v_pk_add_f32 v[48:49], v[48:49], v[148:149] neg_lo:[0,1] neg_hi:[0,1]
	s_wait_dscnt 0x0
	v_pk_mul_f32 v[148:149], v[144:145], v[136:137] op_sel:[0,1]
	v_pk_fma_f32 v[150:151], v[144:145], v[134:135], v[148:149] op_sel:[0,0,1] op_sel_hi:[1,1,0] neg_lo:[0,0,1] neg_hi:[0,0,1]
	v_pk_fma_f32 v[144:145], v[144:145], v[134:135], v[148:149] op_sel:[0,0,1] op_sel_hi:[1,0,0]
	s_delay_alu instid0(VALU_DEP_1) | instskip(SKIP_1) | instid1(VALU_DEP_1)
	v_mov_b32_e32 v151, v145
	v_pk_mul_f32 v[144:145], v[146:147], v[136:137] op_sel:[0,1]
	v_pk_fma_f32 v[148:149], v[146:147], v[134:135], v[144:145] op_sel:[0,0,1] op_sel_hi:[1,1,0] neg_lo:[0,0,1] neg_hi:[0,0,1]
	v_pk_fma_f32 v[144:145], v[146:147], v[134:135], v[144:145] op_sel:[0,0,1] op_sel_hi:[1,0,0]
	s_delay_alu instid0(VALU_DEP_1)
	v_mov_b32_e32 v149, v145
	ds_load_2addr_b64 v[144:147], v138 offset0:55 offset1:56
	v_pk_add_f32 v[42:43], v[42:43], v[150:151] neg_lo:[0,1] neg_hi:[0,1]
	v_pk_add_f32 v[46:47], v[46:47], v[148:149] neg_lo:[0,1] neg_hi:[0,1]
	s_wait_dscnt 0x0
	v_pk_mul_f32 v[148:149], v[144:145], v[136:137] op_sel:[0,1]
	s_delay_alu instid0(VALU_DEP_1) | instskip(SKIP_1) | instid1(VALU_DEP_1)
	v_pk_fma_f32 v[150:151], v[144:145], v[134:135], v[148:149] op_sel:[0,0,1] op_sel_hi:[1,1,0] neg_lo:[0,0,1] neg_hi:[0,0,1]
	v_pk_fma_f32 v[144:145], v[144:145], v[134:135], v[148:149] op_sel:[0,0,1] op_sel_hi:[1,0,0]
	v_mov_b32_e32 v151, v145
	v_pk_mul_f32 v[144:145], v[146:147], v[136:137] op_sel:[0,1]
	s_delay_alu instid0(VALU_DEP_1) | instskip(SKIP_1) | instid1(VALU_DEP_1)
	v_pk_fma_f32 v[148:149], v[146:147], v[134:135], v[144:145] op_sel:[0,0,1] op_sel_hi:[1,1,0] neg_lo:[0,0,1] neg_hi:[0,0,1]
	v_pk_fma_f32 v[144:145], v[146:147], v[134:135], v[144:145] op_sel:[0,0,1] op_sel_hi:[1,0,0]
	v_mov_b32_e32 v149, v145
	ds_load_2addr_b64 v[144:147], v138 offset0:57 offset1:58
	v_pk_add_f32 v[8:9], v[8:9], v[150:151] neg_lo:[0,1] neg_hi:[0,1]
	v_pk_add_f32 v[32:33], v[32:33], v[148:149] neg_lo:[0,1] neg_hi:[0,1]
	s_wait_dscnt 0x0
	v_dual_mul_f32 v148, v145, v137 :: v_dual_mul_f32 v150, v145, v134
	s_delay_alu instid0(VALU_DEP_1) | instskip(NEXT) | instid1(VALU_DEP_2)
	v_pk_fma_f32 v[148:149], v[144:145], v[118:119], v[148:149] op_sel_hi:[1,1,0] neg_lo:[0,0,1] neg_hi:[0,0,1]
	v_pk_fma_f32 v[144:145], v[144:145], v[118:119], v[150:151] op_sel:[1,0,0] op_sel_hi:[0,1,0]
	s_delay_alu instid0(VALU_DEP_1) | instskip(SKIP_1) | instid1(VALU_DEP_2)
	v_mov_b32_e32 v149, v145
	v_pk_mul_f32 v[144:145], v[146:147], v[136:137] op_sel:[0,1]
	v_pk_add_f32 v[28:29], v[28:29], v[148:149] neg_lo:[0,1] neg_hi:[0,1]
	s_delay_alu instid0(VALU_DEP_2) | instskip(SKIP_1) | instid1(VALU_DEP_1)
	v_pk_fma_f32 v[148:149], v[146:147], v[134:135], v[144:145] op_sel:[0,0,1] op_sel_hi:[1,1,0] neg_lo:[0,0,1] neg_hi:[0,0,1]
	v_pk_fma_f32 v[144:145], v[146:147], v[134:135], v[144:145] op_sel:[0,0,1] op_sel_hi:[1,0,0]
	v_mov_b32_e32 v149, v145
	ds_load_2addr_b64 v[144:147], v138 offset0:59 offset1:60
	v_pk_add_f32 v[30:31], v[30:31], v[148:149] neg_lo:[0,1] neg_hi:[0,1]
	s_wait_dscnt 0x0
	v_pk_mul_f32 v[148:149], v[144:145], v[136:137] op_sel:[0,1]
	s_delay_alu instid0(VALU_DEP_1) | instskip(SKIP_1) | instid1(VALU_DEP_1)
	v_pk_fma_f32 v[150:151], v[144:145], v[134:135], v[148:149] op_sel:[0,0,1] op_sel_hi:[1,1,0] neg_lo:[0,0,1] neg_hi:[0,0,1]
	v_pk_fma_f32 v[144:145], v[144:145], v[134:135], v[148:149] op_sel:[0,0,1] op_sel_hi:[1,0,0]
	v_mov_b32_e32 v151, v145
	v_pk_mul_f32 v[144:145], v[146:147], v[136:137] op_sel:[0,1]
	s_delay_alu instid0(VALU_DEP_2) | instskip(NEXT) | instid1(VALU_DEP_2)
	v_pk_add_f32 v[6:7], v[6:7], v[150:151] neg_lo:[0,1] neg_hi:[0,1]
	v_pk_fma_f32 v[148:149], v[146:147], v[134:135], v[144:145] op_sel:[0,0,1] op_sel_hi:[1,1,0] neg_lo:[0,0,1] neg_hi:[0,0,1]
	v_pk_fma_f32 v[144:145], v[146:147], v[134:135], v[144:145] op_sel:[0,0,1] op_sel_hi:[1,0,0]
	s_delay_alu instid0(VALU_DEP_1) | instskip(SKIP_4) | instid1(VALU_DEP_1)
	v_mov_b32_e32 v149, v145
	ds_load_2addr_b64 v[144:147], v138 offset0:61 offset1:62
	v_pk_add_f32 v[20:21], v[20:21], v[148:149] neg_lo:[0,1] neg_hi:[0,1]
	s_wait_dscnt 0x0
	v_pk_mul_f32 v[148:149], v[144:145], v[136:137] op_sel:[0,1]
	v_pk_fma_f32 v[150:151], v[144:145], v[134:135], v[148:149] op_sel:[0,0,1] op_sel_hi:[1,1,0] neg_lo:[0,0,1] neg_hi:[0,0,1]
	v_pk_fma_f32 v[144:145], v[144:145], v[134:135], v[148:149] op_sel:[0,0,1] op_sel_hi:[1,0,0]
	v_dual_mul_f32 v148, v147, v137 :: v_dual_mov_b32 v144, v147
	s_delay_alu instid0(VALU_DEP_2) | instskip(NEXT) | instid1(VALU_DEP_2)
	v_dual_mov_b32 v151, v145 :: v_dual_mov_b32 v145, v146
	v_pk_fma_f32 v[148:149], v[146:147], v[118:119], v[148:149] op_sel_hi:[1,1,0] neg_lo:[0,0,1] neg_hi:[0,0,1]
	v_mul_f32_e32 v146, v147, v134
	s_delay_alu instid0(VALU_DEP_3) | instskip(NEXT) | instid1(VALU_DEP_2)
	v_pk_add_f32 v[14:15], v[14:15], v[150:151] neg_lo:[0,1] neg_hi:[0,1]
	v_pk_fma_f32 v[144:145], v[144:145], v[118:119], v[146:147] op_sel_hi:[1,1,0]
	s_delay_alu instid0(VALU_DEP_1) | instskip(SKIP_4) | instid1(VALU_DEP_1)
	v_mov_b32_e32 v149, v145
	ds_load_b64 v[144:145], v138 offset:504
	v_pk_add_f32 v[10:11], v[10:11], v[148:149] neg_lo:[0,1] neg_hi:[0,1]
	s_wait_dscnt 0x0
	v_pk_mul_f32 v[136:137], v[144:145], v[136:137] op_sel:[0,1]
	v_pk_fma_f32 v[146:147], v[144:145], v[134:135], v[136:137] op_sel:[0,0,1] op_sel_hi:[1,1,0] neg_lo:[0,0,1] neg_hi:[0,0,1]
	v_pk_fma_f32 v[134:135], v[144:145], v[134:135], v[136:137] op_sel:[0,0,1] op_sel_hi:[1,0,0]
	s_delay_alu instid0(VALU_DEP_1) | instskip(NEXT) | instid1(VALU_DEP_1)
	v_mov_b32_e32 v147, v135
	v_pk_add_f32 v[132:133], v[132:133], v[146:147] neg_lo:[0,1] neg_hi:[0,1]
.LBB126_188:
	s_or_b32 exec_lo, exec_lo, s0
	v_lshl_add_u32 v134, v142, 3, v138
	s_barrier_signal -1
	s_barrier_wait -1
	ds_store_b64 v134, v[114:115]
	s_wait_dscnt 0x0
	s_barrier_signal -1
	s_barrier_wait -1
	ds_load_b64 v[136:137], v138 offset:72
	v_mov_b32_e32 v134, 9
	s_cmp_lt_i32 s18, 11
	s_cbranch_scc1 .LBB126_191
; %bb.189:
	v_add3_u32 v135, v139, 0, 0x50
	v_mov_b32_e32 v134, 9
	s_mov_b32 s0, 10
.LBB126_190:                            ; =>This Inner Loop Header: Depth=1
	ds_load_b64 v[144:145], v135
	s_wait_dscnt 0x1
	v_cmp_gt_f32_e32 vcc_lo, 0, v136
	v_cndmask_b32_e64 v146, v136, -v136, vcc_lo
	v_cmp_gt_f32_e32 vcc_lo, 0, v137
	v_cndmask_b32_e64 v148, v137, -v137, vcc_lo
	s_wait_dscnt 0x0
	v_cmp_gt_f32_e32 vcc_lo, 0, v144
	v_cndmask_b32_e64 v147, v144, -v144, vcc_lo
	v_cmp_gt_f32_e32 vcc_lo, 0, v145
	v_cndmask_b32_e64 v149, v145, -v145, vcc_lo
	s_delay_alu instid0(VALU_DEP_1) | instskip(NEXT) | instid1(VALU_DEP_1)
	v_pk_add_f32 v[146:147], v[146:147], v[148:149]
	v_cmp_lt_f32_e32 vcc_lo, v146, v147
	v_dual_add_nc_u32 v135, 8, v135 :: v_dual_cndmask_b32 v137, v137, v145, vcc_lo
	v_cndmask_b32_e32 v136, v136, v144, vcc_lo
	v_cndmask_b32_e64 v134, v134, s0, vcc_lo
	s_add_co_i32 s0, s0, 1
	s_delay_alu instid0(SALU_CYCLE_1)
	s_cmp_lg_u32 s18, s0
	s_cbranch_scc1 .LBB126_190
.LBB126_191:
	s_wait_dscnt 0x0
	v_cmp_eq_f32_e32 vcc_lo, 0, v136
	v_cmp_eq_f32_e64 s0, 0, v137
	s_and_b32 s0, vcc_lo, s0
	s_delay_alu instid0(SALU_CYCLE_1) | instskip(NEXT) | instid1(SALU_CYCLE_1)
	s_and_saveexec_b32 s1, s0
	s_xor_b32 s0, exec_lo, s1
; %bb.192:
	v_cmp_ne_u32_e32 vcc_lo, 0, v140
	v_cndmask_b32_e32 v140, 10, v140, vcc_lo
; %bb.193:
	s_and_not1_saveexec_b32 s0, s0
	s_cbranch_execz .LBB126_199
; %bb.194:
	v_cmp_ngt_f32_e64 s1, |v136|, |v137|
	s_and_saveexec_b32 s12, s1
	s_delay_alu instid0(SALU_CYCLE_1)
	s_xor_b32 s1, exec_lo, s12
	s_cbranch_execz .LBB126_196
; %bb.195:
	v_div_scale_f32 v135, null, v137, v137, v136
	v_div_scale_f32 v145, vcc_lo, v136, v137, v136
	s_delay_alu instid0(VALU_DEP_2) | instskip(SKIP_1) | instid1(TRANS32_DEP_1)
	v_rcp_f32_e32 v143, v135
	v_nop
	v_fma_f32 v144, -v135, v143, 1.0
	s_delay_alu instid0(VALU_DEP_1) | instskip(NEXT) | instid1(VALU_DEP_1)
	v_fmac_f32_e32 v143, v144, v143
	v_mul_f32_e32 v144, v145, v143
	s_delay_alu instid0(VALU_DEP_1) | instskip(NEXT) | instid1(VALU_DEP_1)
	v_fma_f32 v146, -v135, v144, v145
	v_fmac_f32_e32 v144, v146, v143
	s_delay_alu instid0(VALU_DEP_1) | instskip(NEXT) | instid1(VALU_DEP_1)
	v_fma_f32 v135, -v135, v144, v145
	v_div_fmas_f32 v135, v135, v143, v144
	s_delay_alu instid0(VALU_DEP_1) | instskip(NEXT) | instid1(VALU_DEP_1)
	v_div_fixup_f32 v135, v135, v137, v136
	v_fmac_f32_e32 v137, v136, v135
	s_delay_alu instid0(VALU_DEP_1) | instskip(SKIP_1) | instid1(VALU_DEP_2)
	v_div_scale_f32 v136, null, v137, v137, 1.0
	v_div_scale_f32 v145, vcc_lo, 1.0, v137, 1.0
	v_rcp_f32_e32 v143, v136
	v_nop
	s_delay_alu instid0(TRANS32_DEP_1) | instskip(NEXT) | instid1(VALU_DEP_1)
	v_fma_f32 v144, -v136, v143, 1.0
	v_fmac_f32_e32 v143, v144, v143
	s_delay_alu instid0(VALU_DEP_1) | instskip(NEXT) | instid1(VALU_DEP_1)
	v_mul_f32_e32 v144, v145, v143
	v_fma_f32 v146, -v136, v144, v145
	s_delay_alu instid0(VALU_DEP_1) | instskip(NEXT) | instid1(VALU_DEP_1)
	v_fmac_f32_e32 v144, v146, v143
	v_fma_f32 v136, -v136, v144, v145
	s_delay_alu instid0(VALU_DEP_1) | instskip(NEXT) | instid1(VALU_DEP_1)
	v_div_fmas_f32 v136, v136, v143, v144
	v_div_fixup_f32 v137, v136, v137, 1.0
	s_delay_alu instid0(VALU_DEP_1)
	v_mul_f32_e32 v136, v135, v137
	v_xor_b32_e32 v137, 0x80000000, v137
.LBB126_196:
	s_and_not1_saveexec_b32 s1, s1
	s_cbranch_execz .LBB126_198
; %bb.197:
	s_delay_alu instid0(VALU_DEP_1) | instskip(SKIP_1) | instid1(VALU_DEP_2)
	v_div_scale_f32 v135, null, v136, v136, v137
	v_div_scale_f32 v145, vcc_lo, v137, v136, v137
	v_rcp_f32_e32 v143, v135
	v_nop
	s_delay_alu instid0(TRANS32_DEP_1) | instskip(NEXT) | instid1(VALU_DEP_1)
	v_fma_f32 v144, -v135, v143, 1.0
	v_fmac_f32_e32 v143, v144, v143
	s_delay_alu instid0(VALU_DEP_1) | instskip(NEXT) | instid1(VALU_DEP_1)
	v_mul_f32_e32 v144, v145, v143
	v_fma_f32 v146, -v135, v144, v145
	s_delay_alu instid0(VALU_DEP_1) | instskip(NEXT) | instid1(VALU_DEP_1)
	v_fmac_f32_e32 v144, v146, v143
	v_fma_f32 v135, -v135, v144, v145
	s_delay_alu instid0(VALU_DEP_1) | instskip(NEXT) | instid1(VALU_DEP_1)
	v_div_fmas_f32 v135, v135, v143, v144
	v_div_fixup_f32 v135, v135, v136, v137
	s_delay_alu instid0(VALU_DEP_1) | instskip(NEXT) | instid1(VALU_DEP_1)
	v_fmac_f32_e32 v136, v137, v135
	v_div_scale_f32 v137, null, v136, v136, 1.0
	s_delay_alu instid0(VALU_DEP_1) | instskip(SKIP_1) | instid1(TRANS32_DEP_1)
	v_rcp_f32_e32 v143, v137
	v_nop
	v_fma_f32 v144, -v137, v143, 1.0
	s_delay_alu instid0(VALU_DEP_1) | instskip(SKIP_1) | instid1(VALU_DEP_1)
	v_fmac_f32_e32 v143, v144, v143
	v_div_scale_f32 v144, vcc_lo, 1.0, v136, 1.0
	v_mul_f32_e32 v145, v144, v143
	s_delay_alu instid0(VALU_DEP_1) | instskip(NEXT) | instid1(VALU_DEP_1)
	v_fma_f32 v146, -v137, v145, v144
	v_fmac_f32_e32 v145, v146, v143
	s_delay_alu instid0(VALU_DEP_1) | instskip(NEXT) | instid1(VALU_DEP_1)
	v_fma_f32 v137, -v137, v145, v144
	v_div_fmas_f32 v137, v137, v143, v145
	s_delay_alu instid0(VALU_DEP_1) | instskip(NEXT) | instid1(VALU_DEP_1)
	v_div_fixup_f32 v136, v137, v136, 1.0
	v_mul_f32_e64 v137, v135, -v136
.LBB126_198:
	s_or_b32 exec_lo, exec_lo, s1
.LBB126_199:
	s_delay_alu instid0(SALU_CYCLE_1) | instskip(NEXT) | instid1(SALU_CYCLE_1)
	s_or_b32 exec_lo, exec_lo, s0
	s_mov_b32 s0, exec_lo
	v_cmpx_ne_u32_e64 v142, v134
	s_xor_b32 s0, exec_lo, s0
	s_cbranch_execz .LBB126_205
; %bb.200:
	s_mov_b32 s1, exec_lo
	v_cmpx_eq_u32_e32 9, v142
	s_cbranch_execz .LBB126_204
; %bb.201:
	v_cmp_ne_u32_e32 vcc_lo, 9, v134
	s_xor_b32 s12, s16, -1
	s_delay_alu instid0(SALU_CYCLE_1) | instskip(NEXT) | instid1(SALU_CYCLE_1)
	s_and_b32 s13, s12, vcc_lo
	s_and_saveexec_b32 s12, s13
	s_cbranch_execz .LBB126_203
; %bb.202:
	v_ashrrev_i32_e32 v135, 31, v134
	s_delay_alu instid0(VALU_DEP_1)
	v_lshl_add_u64 v[142:143], v[134:135], 2, v[4:5]
	s_clause 0x1
	global_load_b32 v135, v[142:143], off
	global_load_b32 v141, v[4:5], off offset:36
	s_wait_loadcnt 0x1
	global_store_b32 v[4:5], v135, off offset:36
	s_wait_loadcnt 0x0
	global_store_b32 v[142:143], v141, off
.LBB126_203:
	s_wait_xcnt 0x0
	s_or_b32 exec_lo, exec_lo, s12
	v_dual_mov_b32 v142, v134 :: v_dual_mov_b32 v141, v134
.LBB126_204:
	s_or_b32 exec_lo, exec_lo, s1
.LBB126_205:
	s_and_not1_saveexec_b32 s0, s0
	s_cbranch_execz .LBB126_207
; %bb.206:
	v_dual_mov_b32 v134, v116 :: v_dual_mov_b32 v135, v117
	v_dual_mov_b32 v142, v50 :: v_dual_mov_b32 v143, v51
	ds_store_2addr_b64 v138, v[134:135], v[142:143] offset0:10 offset1:11
	v_dual_mov_b32 v134, v110 :: v_dual_mov_b32 v135, v111
	v_dual_mov_b32 v142, v106 :: v_dual_mov_b32 v143, v107
	ds_store_2addr_b64 v138, v[134:135], v[142:143] offset0:12 offset1:13
	;; [unrolled: 3-line block ×26, first 2 shown]
	v_dual_mov_b32 v134, v10 :: v_dual_mov_b32 v135, v11
	v_mov_b32_e32 v142, 9
	ds_store_2addr_b64 v138, v[134:135], v[132:133] offset0:62 offset1:63
.LBB126_207:
	s_or_b32 exec_lo, exec_lo, s0
	s_delay_alu instid0(SALU_CYCLE_1)
	s_mov_b32 s0, exec_lo
	s_wait_storecnt_dscnt 0x0
	s_barrier_signal -1
	s_barrier_wait -1
	v_cmpx_lt_i32_e32 9, v142
	s_cbranch_execz .LBB126_209
; %bb.208:
	v_pk_mul_f32 v[144:145], v[136:137], v[114:115] op_sel:[1,1] op_sel_hi:[0,1]
	s_delay_alu instid0(VALU_DEP_1)
	v_pk_fma_f32 v[134:135], v[136:137], v[114:115], v[144:145] op_sel_hi:[1,0,1] neg_lo:[0,0,1] neg_hi:[0,0,1]
	v_pk_fma_f32 v[136:137], v[136:137], v[114:115], v[144:145] op_sel_hi:[1,0,1]
	ds_load_2addr_b64 v[144:147], v138 offset0:10 offset1:11
	v_dual_mov_b32 v114, v134 :: v_dual_mov_b32 v115, v137
	s_wait_dscnt 0x0
	v_pk_mul_f32 v[148:149], v[144:145], v[136:137] op_sel:[0,1]
	s_delay_alu instid0(VALU_DEP_1) | instskip(SKIP_1) | instid1(VALU_DEP_1)
	v_pk_fma_f32 v[150:151], v[144:145], v[134:135], v[148:149] op_sel:[0,0,1] op_sel_hi:[1,1,0] neg_lo:[0,0,1] neg_hi:[0,0,1]
	v_pk_fma_f32 v[144:145], v[144:145], v[134:135], v[148:149] op_sel:[0,0,1] op_sel_hi:[1,0,0]
	v_mov_b32_e32 v151, v145
	v_pk_mul_f32 v[144:145], v[146:147], v[136:137] op_sel:[0,1]
	s_delay_alu instid0(VALU_DEP_1) | instskip(SKIP_1) | instid1(VALU_DEP_1)
	v_pk_fma_f32 v[148:149], v[146:147], v[134:135], v[144:145] op_sel:[0,0,1] op_sel_hi:[1,1,0] neg_lo:[0,0,1] neg_hi:[0,0,1]
	v_pk_fma_f32 v[144:145], v[146:147], v[134:135], v[144:145] op_sel:[0,0,1] op_sel_hi:[1,0,0]
	v_mov_b32_e32 v149, v145
	ds_load_2addr_b64 v[144:147], v138 offset0:12 offset1:13
	v_pk_add_f32 v[116:117], v[116:117], v[150:151] neg_lo:[0,1] neg_hi:[0,1]
	v_pk_add_f32 v[50:51], v[50:51], v[148:149] neg_lo:[0,1] neg_hi:[0,1]
	s_wait_dscnt 0x0
	v_pk_mul_f32 v[148:149], v[144:145], v[136:137] op_sel:[0,1]
	s_delay_alu instid0(VALU_DEP_1) | instskip(SKIP_2) | instid1(VALU_DEP_2)
	v_pk_fma_f32 v[150:151], v[144:145], v[134:135], v[148:149] op_sel:[0,0,1] op_sel_hi:[1,1,0] neg_lo:[0,0,1] neg_hi:[0,0,1]
	v_pk_fma_f32 v[144:145], v[144:145], v[134:135], v[148:149] op_sel:[0,0,1] op_sel_hi:[1,0,0]
	v_dual_mul_f32 v148, v147, v137 :: v_dual_mov_b32 v144, v147
	v_dual_mov_b32 v151, v145 :: v_dual_mov_b32 v145, v146
	s_delay_alu instid0(VALU_DEP_2) | instskip(SKIP_1) | instid1(VALU_DEP_3)
	v_pk_fma_f32 v[148:149], v[146:147], v[114:115], v[148:149] op_sel_hi:[1,1,0] neg_lo:[0,0,1] neg_hi:[0,0,1]
	v_mul_f32_e32 v146, v147, v134
	v_pk_add_f32 v[110:111], v[110:111], v[150:151] neg_lo:[0,1] neg_hi:[0,1]
	s_delay_alu instid0(VALU_DEP_2) | instskip(NEXT) | instid1(VALU_DEP_1)
	v_pk_fma_f32 v[144:145], v[144:145], v[114:115], v[146:147] op_sel_hi:[1,1,0]
	v_mov_b32_e32 v149, v145
	ds_load_2addr_b64 v[144:147], v138 offset0:14 offset1:15
	v_pk_add_f32 v[106:107], v[106:107], v[148:149] neg_lo:[0,1] neg_hi:[0,1]
	s_wait_dscnt 0x0
	v_pk_mul_f32 v[148:149], v[144:145], v[136:137] op_sel:[0,1]
	s_delay_alu instid0(VALU_DEP_1) | instskip(SKIP_1) | instid1(VALU_DEP_1)
	v_pk_fma_f32 v[150:151], v[144:145], v[134:135], v[148:149] op_sel:[0,0,1] op_sel_hi:[1,1,0] neg_lo:[0,0,1] neg_hi:[0,0,1]
	v_pk_fma_f32 v[144:145], v[144:145], v[134:135], v[148:149] op_sel:[0,0,1] op_sel_hi:[1,0,0]
	v_mov_b32_e32 v151, v145
	v_pk_mul_f32 v[144:145], v[146:147], v[136:137] op_sel:[0,1]
	s_delay_alu instid0(VALU_DEP_1) | instskip(SKIP_1) | instid1(VALU_DEP_1)
	v_pk_fma_f32 v[148:149], v[146:147], v[134:135], v[144:145] op_sel:[0,0,1] op_sel_hi:[1,1,0] neg_lo:[0,0,1] neg_hi:[0,0,1]
	v_pk_fma_f32 v[144:145], v[146:147], v[134:135], v[144:145] op_sel:[0,0,1] op_sel_hi:[1,0,0]
	v_mov_b32_e32 v149, v145
	ds_load_2addr_b64 v[144:147], v138 offset0:16 offset1:17
	v_pk_add_f32 v[108:109], v[108:109], v[150:151] neg_lo:[0,1] neg_hi:[0,1]
	v_pk_add_f32 v[40:41], v[40:41], v[148:149] neg_lo:[0,1] neg_hi:[0,1]
	s_wait_dscnt 0x0
	v_pk_mul_f32 v[148:149], v[144:145], v[136:137] op_sel:[0,1]
	s_delay_alu instid0(VALU_DEP_1) | instskip(SKIP_1) | instid1(VALU_DEP_1)
	v_pk_fma_f32 v[150:151], v[144:145], v[134:135], v[148:149] op_sel:[0,0,1] op_sel_hi:[1,1,0] neg_lo:[0,0,1] neg_hi:[0,0,1]
	v_pk_fma_f32 v[144:145], v[144:145], v[134:135], v[148:149] op_sel:[0,0,1] op_sel_hi:[1,0,0]
	v_mov_b32_e32 v151, v145
	v_pk_mul_f32 v[144:145], v[146:147], v[136:137] op_sel:[0,1]
	s_delay_alu instid0(VALU_DEP_1) | instskip(SKIP_1) | instid1(VALU_DEP_1)
	v_pk_fma_f32 v[148:149], v[146:147], v[134:135], v[144:145] op_sel:[0,0,1] op_sel_hi:[1,1,0] neg_lo:[0,0,1] neg_hi:[0,0,1]
	v_pk_fma_f32 v[144:145], v[146:147], v[134:135], v[144:145] op_sel:[0,0,1] op_sel_hi:[1,0,0]
	v_mov_b32_e32 v149, v145
	ds_load_2addr_b64 v[144:147], v138 offset0:18 offset1:19
	v_pk_add_f32 v[104:105], v[104:105], v[150:151] neg_lo:[0,1] neg_hi:[0,1]
	v_pk_add_f32 v[100:101], v[100:101], v[148:149] neg_lo:[0,1] neg_hi:[0,1]
	s_wait_dscnt 0x0
	v_dual_mul_f32 v148, v145, v137 :: v_dual_mul_f32 v150, v145, v134
	s_delay_alu instid0(VALU_DEP_1) | instskip(NEXT) | instid1(VALU_DEP_2)
	v_pk_fma_f32 v[148:149], v[144:145], v[114:115], v[148:149] op_sel_hi:[1,1,0] neg_lo:[0,0,1] neg_hi:[0,0,1]
	v_pk_fma_f32 v[144:145], v[144:145], v[114:115], v[150:151] op_sel:[1,0,0] op_sel_hi:[0,1,0]
	s_delay_alu instid0(VALU_DEP_1) | instskip(SKIP_1) | instid1(VALU_DEP_2)
	v_mov_b32_e32 v149, v145
	v_pk_mul_f32 v[144:145], v[146:147], v[136:137] op_sel:[0,1]
	v_pk_add_f32 v[102:103], v[102:103], v[148:149] neg_lo:[0,1] neg_hi:[0,1]
	s_delay_alu instid0(VALU_DEP_2) | instskip(SKIP_1) | instid1(VALU_DEP_1)
	v_pk_fma_f32 v[148:149], v[146:147], v[134:135], v[144:145] op_sel:[0,0,1] op_sel_hi:[1,1,0] neg_lo:[0,0,1] neg_hi:[0,0,1]
	v_pk_fma_f32 v[144:145], v[146:147], v[134:135], v[144:145] op_sel:[0,0,1] op_sel_hi:[1,0,0]
	v_mov_b32_e32 v149, v145
	ds_load_2addr_b64 v[144:147], v138 offset0:20 offset1:21
	v_pk_add_f32 v[38:39], v[38:39], v[148:149] neg_lo:[0,1] neg_hi:[0,1]
	s_wait_dscnt 0x0
	v_pk_mul_f32 v[148:149], v[144:145], v[136:137] op_sel:[0,1]
	s_delay_alu instid0(VALU_DEP_1) | instskip(SKIP_1) | instid1(VALU_DEP_1)
	v_pk_fma_f32 v[150:151], v[144:145], v[134:135], v[148:149] op_sel:[0,0,1] op_sel_hi:[1,1,0] neg_lo:[0,0,1] neg_hi:[0,0,1]
	v_pk_fma_f32 v[144:145], v[144:145], v[134:135], v[148:149] op_sel:[0,0,1] op_sel_hi:[1,0,0]
	v_mov_b32_e32 v151, v145
	v_pk_mul_f32 v[144:145], v[146:147], v[136:137] op_sel:[0,1]
	s_delay_alu instid0(VALU_DEP_2) | instskip(NEXT) | instid1(VALU_DEP_2)
	v_pk_add_f32 v[98:99], v[98:99], v[150:151] neg_lo:[0,1] neg_hi:[0,1]
	v_pk_fma_f32 v[148:149], v[146:147], v[134:135], v[144:145] op_sel:[0,0,1] op_sel_hi:[1,1,0] neg_lo:[0,0,1] neg_hi:[0,0,1]
	v_pk_fma_f32 v[144:145], v[146:147], v[134:135], v[144:145] op_sel:[0,0,1] op_sel_hi:[1,0,0]
	s_delay_alu instid0(VALU_DEP_1) | instskip(SKIP_4) | instid1(VALU_DEP_1)
	v_mov_b32_e32 v149, v145
	ds_load_2addr_b64 v[144:147], v138 offset0:22 offset1:23
	v_pk_add_f32 v[94:95], v[94:95], v[148:149] neg_lo:[0,1] neg_hi:[0,1]
	s_wait_dscnt 0x0
	v_pk_mul_f32 v[148:149], v[144:145], v[136:137] op_sel:[0,1]
	v_pk_fma_f32 v[150:151], v[144:145], v[134:135], v[148:149] op_sel:[0,0,1] op_sel_hi:[1,1,0] neg_lo:[0,0,1] neg_hi:[0,0,1]
	v_pk_fma_f32 v[144:145], v[144:145], v[134:135], v[148:149] op_sel:[0,0,1] op_sel_hi:[1,0,0]
	v_dual_mul_f32 v148, v147, v137 :: v_dual_mov_b32 v144, v147
	s_delay_alu instid0(VALU_DEP_2) | instskip(NEXT) | instid1(VALU_DEP_2)
	v_dual_mov_b32 v151, v145 :: v_dual_mov_b32 v145, v146
	v_pk_fma_f32 v[148:149], v[146:147], v[114:115], v[148:149] op_sel_hi:[1,1,0] neg_lo:[0,0,1] neg_hi:[0,0,1]
	v_mul_f32_e32 v146, v147, v134
	s_delay_alu instid0(VALU_DEP_3) | instskip(NEXT) | instid1(VALU_DEP_2)
	v_pk_add_f32 v[96:97], v[96:97], v[150:151] neg_lo:[0,1] neg_hi:[0,1]
	v_pk_fma_f32 v[144:145], v[144:145], v[114:115], v[146:147] op_sel_hi:[1,1,0]
	s_delay_alu instid0(VALU_DEP_1) | instskip(SKIP_4) | instid1(VALU_DEP_1)
	v_mov_b32_e32 v149, v145
	ds_load_2addr_b64 v[144:147], v138 offset0:24 offset1:25
	v_pk_add_f32 v[36:37], v[36:37], v[148:149] neg_lo:[0,1] neg_hi:[0,1]
	s_wait_dscnt 0x0
	v_pk_mul_f32 v[148:149], v[144:145], v[136:137] op_sel:[0,1]
	v_pk_fma_f32 v[150:151], v[144:145], v[134:135], v[148:149] op_sel:[0,0,1] op_sel_hi:[1,1,0] neg_lo:[0,0,1] neg_hi:[0,0,1]
	v_pk_fma_f32 v[144:145], v[144:145], v[134:135], v[148:149] op_sel:[0,0,1] op_sel_hi:[1,0,0]
	s_delay_alu instid0(VALU_DEP_1) | instskip(SKIP_1) | instid1(VALU_DEP_1)
	v_mov_b32_e32 v151, v145
	v_pk_mul_f32 v[144:145], v[146:147], v[136:137] op_sel:[0,1]
	v_pk_fma_f32 v[148:149], v[146:147], v[134:135], v[144:145] op_sel:[0,0,1] op_sel_hi:[1,1,0] neg_lo:[0,0,1] neg_hi:[0,0,1]
	v_pk_fma_f32 v[144:145], v[146:147], v[134:135], v[144:145] op_sel:[0,0,1] op_sel_hi:[1,0,0]
	s_delay_alu instid0(VALU_DEP_1)
	v_mov_b32_e32 v149, v145
	ds_load_2addr_b64 v[144:147], v138 offset0:26 offset1:27
	v_pk_add_f32 v[92:93], v[92:93], v[150:151] neg_lo:[0,1] neg_hi:[0,1]
	v_pk_add_f32 v[88:89], v[88:89], v[148:149] neg_lo:[0,1] neg_hi:[0,1]
	s_wait_dscnt 0x0
	v_pk_mul_f32 v[148:149], v[144:145], v[136:137] op_sel:[0,1]
	s_delay_alu instid0(VALU_DEP_1) | instskip(SKIP_1) | instid1(VALU_DEP_1)
	v_pk_fma_f32 v[150:151], v[144:145], v[134:135], v[148:149] op_sel:[0,0,1] op_sel_hi:[1,1,0] neg_lo:[0,0,1] neg_hi:[0,0,1]
	v_pk_fma_f32 v[144:145], v[144:145], v[134:135], v[148:149] op_sel:[0,0,1] op_sel_hi:[1,0,0]
	v_mov_b32_e32 v151, v145
	v_pk_mul_f32 v[144:145], v[146:147], v[136:137] op_sel:[0,1]
	s_delay_alu instid0(VALU_DEP_1) | instskip(SKIP_1) | instid1(VALU_DEP_1)
	v_pk_fma_f32 v[148:149], v[146:147], v[134:135], v[144:145] op_sel:[0,0,1] op_sel_hi:[1,1,0] neg_lo:[0,0,1] neg_hi:[0,0,1]
	v_pk_fma_f32 v[144:145], v[146:147], v[134:135], v[144:145] op_sel:[0,0,1] op_sel_hi:[1,0,0]
	v_mov_b32_e32 v149, v145
	ds_load_2addr_b64 v[144:147], v138 offset0:28 offset1:29
	v_pk_add_f32 v[90:91], v[90:91], v[150:151] neg_lo:[0,1] neg_hi:[0,1]
	v_pk_add_f32 v[34:35], v[34:35], v[148:149] neg_lo:[0,1] neg_hi:[0,1]
	s_wait_dscnt 0x0
	v_dual_mul_f32 v148, v145, v137 :: v_dual_mul_f32 v150, v145, v134
	s_delay_alu instid0(VALU_DEP_1) | instskip(NEXT) | instid1(VALU_DEP_2)
	v_pk_fma_f32 v[148:149], v[144:145], v[114:115], v[148:149] op_sel_hi:[1,1,0] neg_lo:[0,0,1] neg_hi:[0,0,1]
	v_pk_fma_f32 v[144:145], v[144:145], v[114:115], v[150:151] op_sel:[1,0,0] op_sel_hi:[0,1,0]
	s_delay_alu instid0(VALU_DEP_1) | instskip(SKIP_1) | instid1(VALU_DEP_2)
	v_mov_b32_e32 v149, v145
	v_pk_mul_f32 v[144:145], v[146:147], v[136:137] op_sel:[0,1]
	v_pk_add_f32 v[86:87], v[86:87], v[148:149] neg_lo:[0,1] neg_hi:[0,1]
	s_delay_alu instid0(VALU_DEP_2) | instskip(SKIP_1) | instid1(VALU_DEP_1)
	v_pk_fma_f32 v[148:149], v[146:147], v[134:135], v[144:145] op_sel:[0,0,1] op_sel_hi:[1,1,0] neg_lo:[0,0,1] neg_hi:[0,0,1]
	v_pk_fma_f32 v[144:145], v[146:147], v[134:135], v[144:145] op_sel:[0,0,1] op_sel_hi:[1,0,0]
	v_mov_b32_e32 v149, v145
	ds_load_2addr_b64 v[144:147], v138 offset0:30 offset1:31
	v_pk_add_f32 v[82:83], v[82:83], v[148:149] neg_lo:[0,1] neg_hi:[0,1]
	s_wait_dscnt 0x0
	v_pk_mul_f32 v[148:149], v[144:145], v[136:137] op_sel:[0,1]
	s_delay_alu instid0(VALU_DEP_1) | instskip(SKIP_1) | instid1(VALU_DEP_1)
	v_pk_fma_f32 v[150:151], v[144:145], v[134:135], v[148:149] op_sel:[0,0,1] op_sel_hi:[1,1,0] neg_lo:[0,0,1] neg_hi:[0,0,1]
	v_pk_fma_f32 v[144:145], v[144:145], v[134:135], v[148:149] op_sel:[0,0,1] op_sel_hi:[1,0,0]
	v_mov_b32_e32 v151, v145
	v_pk_mul_f32 v[144:145], v[146:147], v[136:137] op_sel:[0,1]
	s_delay_alu instid0(VALU_DEP_2) | instskip(NEXT) | instid1(VALU_DEP_2)
	v_pk_add_f32 v[84:85], v[84:85], v[150:151] neg_lo:[0,1] neg_hi:[0,1]
	v_pk_fma_f32 v[148:149], v[146:147], v[134:135], v[144:145] op_sel:[0,0,1] op_sel_hi:[1,1,0] neg_lo:[0,0,1] neg_hi:[0,0,1]
	v_pk_fma_f32 v[144:145], v[146:147], v[134:135], v[144:145] op_sel:[0,0,1] op_sel_hi:[1,0,0]
	s_delay_alu instid0(VALU_DEP_1) | instskip(SKIP_4) | instid1(VALU_DEP_1)
	v_mov_b32_e32 v149, v145
	ds_load_2addr_b64 v[144:147], v138 offset0:32 offset1:33
	v_pk_add_f32 v[26:27], v[26:27], v[148:149] neg_lo:[0,1] neg_hi:[0,1]
	s_wait_dscnt 0x0
	v_pk_mul_f32 v[148:149], v[144:145], v[136:137] op_sel:[0,1]
	v_pk_fma_f32 v[150:151], v[144:145], v[134:135], v[148:149] op_sel:[0,0,1] op_sel_hi:[1,1,0] neg_lo:[0,0,1] neg_hi:[0,0,1]
	v_pk_fma_f32 v[144:145], v[144:145], v[134:135], v[148:149] op_sel:[0,0,1] op_sel_hi:[1,0,0]
	v_dual_mul_f32 v148, v147, v137 :: v_dual_mov_b32 v144, v147
	s_delay_alu instid0(VALU_DEP_2) | instskip(NEXT) | instid1(VALU_DEP_2)
	v_dual_mov_b32 v151, v145 :: v_dual_mov_b32 v145, v146
	v_pk_fma_f32 v[148:149], v[146:147], v[114:115], v[148:149] op_sel_hi:[1,1,0] neg_lo:[0,0,1] neg_hi:[0,0,1]
	v_mul_f32_e32 v146, v147, v134
	s_delay_alu instid0(VALU_DEP_3) | instskip(NEXT) | instid1(VALU_DEP_2)
	v_pk_add_f32 v[80:81], v[80:81], v[150:151] neg_lo:[0,1] neg_hi:[0,1]
	v_pk_fma_f32 v[144:145], v[144:145], v[114:115], v[146:147] op_sel_hi:[1,1,0]
	s_delay_alu instid0(VALU_DEP_1) | instskip(SKIP_4) | instid1(VALU_DEP_1)
	v_mov_b32_e32 v149, v145
	ds_load_2addr_b64 v[144:147], v138 offset0:34 offset1:35
	v_pk_add_f32 v[76:77], v[76:77], v[148:149] neg_lo:[0,1] neg_hi:[0,1]
	s_wait_dscnt 0x0
	v_pk_mul_f32 v[148:149], v[144:145], v[136:137] op_sel:[0,1]
	v_pk_fma_f32 v[150:151], v[144:145], v[134:135], v[148:149] op_sel:[0,0,1] op_sel_hi:[1,1,0] neg_lo:[0,0,1] neg_hi:[0,0,1]
	v_pk_fma_f32 v[144:145], v[144:145], v[134:135], v[148:149] op_sel:[0,0,1] op_sel_hi:[1,0,0]
	s_delay_alu instid0(VALU_DEP_1) | instskip(SKIP_1) | instid1(VALU_DEP_1)
	v_mov_b32_e32 v151, v145
	v_pk_mul_f32 v[144:145], v[146:147], v[136:137] op_sel:[0,1]
	v_pk_fma_f32 v[148:149], v[146:147], v[134:135], v[144:145] op_sel:[0,0,1] op_sel_hi:[1,1,0] neg_lo:[0,0,1] neg_hi:[0,0,1]
	v_pk_fma_f32 v[144:145], v[146:147], v[134:135], v[144:145] op_sel:[0,0,1] op_sel_hi:[1,0,0]
	s_delay_alu instid0(VALU_DEP_1)
	v_mov_b32_e32 v149, v145
	ds_load_2addr_b64 v[144:147], v138 offset0:36 offset1:37
	v_pk_add_f32 v[78:79], v[78:79], v[150:151] neg_lo:[0,1] neg_hi:[0,1]
	v_pk_add_f32 v[24:25], v[24:25], v[148:149] neg_lo:[0,1] neg_hi:[0,1]
	s_wait_dscnt 0x0
	v_pk_mul_f32 v[148:149], v[144:145], v[136:137] op_sel:[0,1]
	s_delay_alu instid0(VALU_DEP_1) | instskip(SKIP_1) | instid1(VALU_DEP_1)
	v_pk_fma_f32 v[150:151], v[144:145], v[134:135], v[148:149] op_sel:[0,0,1] op_sel_hi:[1,1,0] neg_lo:[0,0,1] neg_hi:[0,0,1]
	v_pk_fma_f32 v[144:145], v[144:145], v[134:135], v[148:149] op_sel:[0,0,1] op_sel_hi:[1,0,0]
	v_mov_b32_e32 v151, v145
	v_pk_mul_f32 v[144:145], v[146:147], v[136:137] op_sel:[0,1]
	s_delay_alu instid0(VALU_DEP_1) | instskip(SKIP_1) | instid1(VALU_DEP_1)
	v_pk_fma_f32 v[148:149], v[146:147], v[134:135], v[144:145] op_sel:[0,0,1] op_sel_hi:[1,1,0] neg_lo:[0,0,1] neg_hi:[0,0,1]
	v_pk_fma_f32 v[144:145], v[146:147], v[134:135], v[144:145] op_sel:[0,0,1] op_sel_hi:[1,0,0]
	v_mov_b32_e32 v149, v145
	ds_load_2addr_b64 v[144:147], v138 offset0:38 offset1:39
	v_pk_add_f32 v[74:75], v[74:75], v[150:151] neg_lo:[0,1] neg_hi:[0,1]
	v_pk_add_f32 v[70:71], v[70:71], v[148:149] neg_lo:[0,1] neg_hi:[0,1]
	s_wait_dscnt 0x0
	v_dual_mul_f32 v148, v145, v137 :: v_dual_mul_f32 v150, v145, v134
	s_delay_alu instid0(VALU_DEP_1) | instskip(NEXT) | instid1(VALU_DEP_2)
	v_pk_fma_f32 v[148:149], v[144:145], v[114:115], v[148:149] op_sel_hi:[1,1,0] neg_lo:[0,0,1] neg_hi:[0,0,1]
	v_pk_fma_f32 v[144:145], v[144:145], v[114:115], v[150:151] op_sel:[1,0,0] op_sel_hi:[0,1,0]
	s_delay_alu instid0(VALU_DEP_1) | instskip(SKIP_1) | instid1(VALU_DEP_2)
	v_mov_b32_e32 v149, v145
	v_pk_mul_f32 v[144:145], v[146:147], v[136:137] op_sel:[0,1]
	v_pk_add_f32 v[72:73], v[72:73], v[148:149] neg_lo:[0,1] neg_hi:[0,1]
	s_delay_alu instid0(VALU_DEP_2) | instskip(SKIP_1) | instid1(VALU_DEP_1)
	v_pk_fma_f32 v[148:149], v[146:147], v[134:135], v[144:145] op_sel:[0,0,1] op_sel_hi:[1,1,0] neg_lo:[0,0,1] neg_hi:[0,0,1]
	v_pk_fma_f32 v[144:145], v[146:147], v[134:135], v[144:145] op_sel:[0,0,1] op_sel_hi:[1,0,0]
	v_mov_b32_e32 v149, v145
	ds_load_2addr_b64 v[144:147], v138 offset0:40 offset1:41
	v_pk_add_f32 v[22:23], v[22:23], v[148:149] neg_lo:[0,1] neg_hi:[0,1]
	s_wait_dscnt 0x0
	v_pk_mul_f32 v[148:149], v[144:145], v[136:137] op_sel:[0,1]
	s_delay_alu instid0(VALU_DEP_1) | instskip(SKIP_1) | instid1(VALU_DEP_1)
	v_pk_fma_f32 v[150:151], v[144:145], v[134:135], v[148:149] op_sel:[0,0,1] op_sel_hi:[1,1,0] neg_lo:[0,0,1] neg_hi:[0,0,1]
	v_pk_fma_f32 v[144:145], v[144:145], v[134:135], v[148:149] op_sel:[0,0,1] op_sel_hi:[1,0,0]
	v_mov_b32_e32 v151, v145
	v_pk_mul_f32 v[144:145], v[146:147], v[136:137] op_sel:[0,1]
	s_delay_alu instid0(VALU_DEP_2) | instskip(NEXT) | instid1(VALU_DEP_2)
	v_pk_add_f32 v[68:69], v[68:69], v[150:151] neg_lo:[0,1] neg_hi:[0,1]
	v_pk_fma_f32 v[148:149], v[146:147], v[134:135], v[144:145] op_sel:[0,0,1] op_sel_hi:[1,1,0] neg_lo:[0,0,1] neg_hi:[0,0,1]
	v_pk_fma_f32 v[144:145], v[146:147], v[134:135], v[144:145] op_sel:[0,0,1] op_sel_hi:[1,0,0]
	s_delay_alu instid0(VALU_DEP_1) | instskip(SKIP_4) | instid1(VALU_DEP_1)
	v_mov_b32_e32 v149, v145
	ds_load_2addr_b64 v[144:147], v138 offset0:42 offset1:43
	v_pk_add_f32 v[64:65], v[64:65], v[148:149] neg_lo:[0,1] neg_hi:[0,1]
	s_wait_dscnt 0x0
	v_pk_mul_f32 v[148:149], v[144:145], v[136:137] op_sel:[0,1]
	v_pk_fma_f32 v[150:151], v[144:145], v[134:135], v[148:149] op_sel:[0,0,1] op_sel_hi:[1,1,0] neg_lo:[0,0,1] neg_hi:[0,0,1]
	v_pk_fma_f32 v[144:145], v[144:145], v[134:135], v[148:149] op_sel:[0,0,1] op_sel_hi:[1,0,0]
	v_dual_mul_f32 v148, v147, v137 :: v_dual_mov_b32 v144, v147
	s_delay_alu instid0(VALU_DEP_2) | instskip(NEXT) | instid1(VALU_DEP_2)
	v_dual_mov_b32 v151, v145 :: v_dual_mov_b32 v145, v146
	v_pk_fma_f32 v[148:149], v[146:147], v[114:115], v[148:149] op_sel_hi:[1,1,0] neg_lo:[0,0,1] neg_hi:[0,0,1]
	v_mul_f32_e32 v146, v147, v134
	s_delay_alu instid0(VALU_DEP_3) | instskip(NEXT) | instid1(VALU_DEP_2)
	v_pk_add_f32 v[66:67], v[66:67], v[150:151] neg_lo:[0,1] neg_hi:[0,1]
	v_pk_fma_f32 v[144:145], v[144:145], v[114:115], v[146:147] op_sel_hi:[1,1,0]
	s_delay_alu instid0(VALU_DEP_1) | instskip(SKIP_4) | instid1(VALU_DEP_1)
	v_mov_b32_e32 v149, v145
	ds_load_2addr_b64 v[144:147], v138 offset0:44 offset1:45
	v_pk_add_f32 v[18:19], v[18:19], v[148:149] neg_lo:[0,1] neg_hi:[0,1]
	s_wait_dscnt 0x0
	v_pk_mul_f32 v[148:149], v[144:145], v[136:137] op_sel:[0,1]
	v_pk_fma_f32 v[150:151], v[144:145], v[134:135], v[148:149] op_sel:[0,0,1] op_sel_hi:[1,1,0] neg_lo:[0,0,1] neg_hi:[0,0,1]
	v_pk_fma_f32 v[144:145], v[144:145], v[134:135], v[148:149] op_sel:[0,0,1] op_sel_hi:[1,0,0]
	s_delay_alu instid0(VALU_DEP_1) | instskip(SKIP_1) | instid1(VALU_DEP_1)
	v_mov_b32_e32 v151, v145
	v_pk_mul_f32 v[144:145], v[146:147], v[136:137] op_sel:[0,1]
	v_pk_fma_f32 v[148:149], v[146:147], v[134:135], v[144:145] op_sel:[0,0,1] op_sel_hi:[1,1,0] neg_lo:[0,0,1] neg_hi:[0,0,1]
	v_pk_fma_f32 v[144:145], v[146:147], v[134:135], v[144:145] op_sel:[0,0,1] op_sel_hi:[1,0,0]
	s_delay_alu instid0(VALU_DEP_1)
	v_mov_b32_e32 v149, v145
	ds_load_2addr_b64 v[144:147], v138 offset0:46 offset1:47
	v_pk_add_f32 v[60:61], v[60:61], v[150:151] neg_lo:[0,1] neg_hi:[0,1]
	v_pk_add_f32 v[56:57], v[56:57], v[148:149] neg_lo:[0,1] neg_hi:[0,1]
	s_wait_dscnt 0x0
	v_pk_mul_f32 v[148:149], v[144:145], v[136:137] op_sel:[0,1]
	s_delay_alu instid0(VALU_DEP_1) | instskip(SKIP_1) | instid1(VALU_DEP_1)
	v_pk_fma_f32 v[150:151], v[144:145], v[134:135], v[148:149] op_sel:[0,0,1] op_sel_hi:[1,1,0] neg_lo:[0,0,1] neg_hi:[0,0,1]
	v_pk_fma_f32 v[144:145], v[144:145], v[134:135], v[148:149] op_sel:[0,0,1] op_sel_hi:[1,0,0]
	v_mov_b32_e32 v151, v145
	v_pk_mul_f32 v[144:145], v[146:147], v[136:137] op_sel:[0,1]
	s_delay_alu instid0(VALU_DEP_1) | instskip(SKIP_1) | instid1(VALU_DEP_1)
	v_pk_fma_f32 v[148:149], v[146:147], v[134:135], v[144:145] op_sel:[0,0,1] op_sel_hi:[1,1,0] neg_lo:[0,0,1] neg_hi:[0,0,1]
	v_pk_fma_f32 v[144:145], v[146:147], v[134:135], v[144:145] op_sel:[0,0,1] op_sel_hi:[1,0,0]
	v_mov_b32_e32 v149, v145
	ds_load_2addr_b64 v[144:147], v138 offset0:48 offset1:49
	v_pk_add_f32 v[58:59], v[58:59], v[150:151] neg_lo:[0,1] neg_hi:[0,1]
	v_pk_add_f32 v[12:13], v[12:13], v[148:149] neg_lo:[0,1] neg_hi:[0,1]
	s_wait_dscnt 0x0
	v_dual_mul_f32 v148, v145, v137 :: v_dual_mul_f32 v150, v145, v134
	s_delay_alu instid0(VALU_DEP_1) | instskip(NEXT) | instid1(VALU_DEP_2)
	v_pk_fma_f32 v[148:149], v[144:145], v[114:115], v[148:149] op_sel_hi:[1,1,0] neg_lo:[0,0,1] neg_hi:[0,0,1]
	v_pk_fma_f32 v[144:145], v[144:145], v[114:115], v[150:151] op_sel:[1,0,0] op_sel_hi:[0,1,0]
	s_delay_alu instid0(VALU_DEP_1) | instskip(SKIP_1) | instid1(VALU_DEP_2)
	v_mov_b32_e32 v149, v145
	v_pk_mul_f32 v[144:145], v[146:147], v[136:137] op_sel:[0,1]
	v_pk_add_f32 v[54:55], v[54:55], v[148:149] neg_lo:[0,1] neg_hi:[0,1]
	s_delay_alu instid0(VALU_DEP_2) | instskip(SKIP_1) | instid1(VALU_DEP_1)
	v_pk_fma_f32 v[148:149], v[146:147], v[134:135], v[144:145] op_sel:[0,0,1] op_sel_hi:[1,1,0] neg_lo:[0,0,1] neg_hi:[0,0,1]
	v_pk_fma_f32 v[144:145], v[146:147], v[134:135], v[144:145] op_sel:[0,0,1] op_sel_hi:[1,0,0]
	v_mov_b32_e32 v149, v145
	ds_load_2addr_b64 v[144:147], v138 offset0:50 offset1:51
	v_pk_add_f32 v[52:53], v[52:53], v[148:149] neg_lo:[0,1] neg_hi:[0,1]
	s_wait_dscnt 0x0
	v_pk_mul_f32 v[148:149], v[144:145], v[136:137] op_sel:[0,1]
	s_delay_alu instid0(VALU_DEP_1) | instskip(SKIP_1) | instid1(VALU_DEP_1)
	v_pk_fma_f32 v[150:151], v[144:145], v[134:135], v[148:149] op_sel:[0,0,1] op_sel_hi:[1,1,0] neg_lo:[0,0,1] neg_hi:[0,0,1]
	v_pk_fma_f32 v[144:145], v[144:145], v[134:135], v[148:149] op_sel:[0,0,1] op_sel_hi:[1,0,0]
	v_mov_b32_e32 v151, v145
	v_pk_mul_f32 v[144:145], v[146:147], v[136:137] op_sel:[0,1]
	s_delay_alu instid0(VALU_DEP_2) | instskip(NEXT) | instid1(VALU_DEP_2)
	v_pk_add_f32 v[62:63], v[62:63], v[150:151] neg_lo:[0,1] neg_hi:[0,1]
	v_pk_fma_f32 v[148:149], v[146:147], v[134:135], v[144:145] op_sel:[0,0,1] op_sel_hi:[1,1,0] neg_lo:[0,0,1] neg_hi:[0,0,1]
	v_pk_fma_f32 v[144:145], v[146:147], v[134:135], v[144:145] op_sel:[0,0,1] op_sel_hi:[1,0,0]
	s_delay_alu instid0(VALU_DEP_1) | instskip(SKIP_4) | instid1(VALU_DEP_1)
	v_mov_b32_e32 v149, v145
	ds_load_2addr_b64 v[144:147], v138 offset0:52 offset1:53
	v_pk_add_f32 v[16:17], v[16:17], v[148:149] neg_lo:[0,1] neg_hi:[0,1]
	s_wait_dscnt 0x0
	v_pk_mul_f32 v[148:149], v[144:145], v[136:137] op_sel:[0,1]
	v_pk_fma_f32 v[150:151], v[144:145], v[134:135], v[148:149] op_sel:[0,0,1] op_sel_hi:[1,1,0] neg_lo:[0,0,1] neg_hi:[0,0,1]
	v_pk_fma_f32 v[144:145], v[144:145], v[134:135], v[148:149] op_sel:[0,0,1] op_sel_hi:[1,0,0]
	v_dual_mul_f32 v148, v147, v137 :: v_dual_mov_b32 v144, v147
	s_delay_alu instid0(VALU_DEP_2) | instskip(NEXT) | instid1(VALU_DEP_2)
	v_dual_mov_b32 v151, v145 :: v_dual_mov_b32 v145, v146
	v_pk_fma_f32 v[148:149], v[146:147], v[114:115], v[148:149] op_sel_hi:[1,1,0] neg_lo:[0,0,1] neg_hi:[0,0,1]
	v_mul_f32_e32 v146, v147, v134
	s_delay_alu instid0(VALU_DEP_3) | instskip(NEXT) | instid1(VALU_DEP_2)
	v_pk_add_f32 v[48:49], v[48:49], v[150:151] neg_lo:[0,1] neg_hi:[0,1]
	v_pk_fma_f32 v[144:145], v[144:145], v[114:115], v[146:147] op_sel_hi:[1,1,0]
	s_delay_alu instid0(VALU_DEP_1) | instskip(SKIP_4) | instid1(VALU_DEP_1)
	v_mov_b32_e32 v149, v145
	ds_load_2addr_b64 v[144:147], v138 offset0:54 offset1:55
	v_pk_add_f32 v[42:43], v[42:43], v[148:149] neg_lo:[0,1] neg_hi:[0,1]
	s_wait_dscnt 0x0
	v_pk_mul_f32 v[148:149], v[144:145], v[136:137] op_sel:[0,1]
	v_pk_fma_f32 v[150:151], v[144:145], v[134:135], v[148:149] op_sel:[0,0,1] op_sel_hi:[1,1,0] neg_lo:[0,0,1] neg_hi:[0,0,1]
	v_pk_fma_f32 v[144:145], v[144:145], v[134:135], v[148:149] op_sel:[0,0,1] op_sel_hi:[1,0,0]
	s_delay_alu instid0(VALU_DEP_1) | instskip(SKIP_1) | instid1(VALU_DEP_1)
	v_mov_b32_e32 v151, v145
	v_pk_mul_f32 v[144:145], v[146:147], v[136:137] op_sel:[0,1]
	v_pk_fma_f32 v[148:149], v[146:147], v[134:135], v[144:145] op_sel:[0,0,1] op_sel_hi:[1,1,0] neg_lo:[0,0,1] neg_hi:[0,0,1]
	v_pk_fma_f32 v[144:145], v[146:147], v[134:135], v[144:145] op_sel:[0,0,1] op_sel_hi:[1,0,0]
	s_delay_alu instid0(VALU_DEP_1)
	v_mov_b32_e32 v149, v145
	ds_load_2addr_b64 v[144:147], v138 offset0:56 offset1:57
	v_pk_add_f32 v[46:47], v[46:47], v[150:151] neg_lo:[0,1] neg_hi:[0,1]
	v_pk_add_f32 v[8:9], v[8:9], v[148:149] neg_lo:[0,1] neg_hi:[0,1]
	s_wait_dscnt 0x0
	v_pk_mul_f32 v[148:149], v[144:145], v[136:137] op_sel:[0,1]
	s_delay_alu instid0(VALU_DEP_1) | instskip(SKIP_1) | instid1(VALU_DEP_1)
	v_pk_fma_f32 v[150:151], v[144:145], v[134:135], v[148:149] op_sel:[0,0,1] op_sel_hi:[1,1,0] neg_lo:[0,0,1] neg_hi:[0,0,1]
	v_pk_fma_f32 v[144:145], v[144:145], v[134:135], v[148:149] op_sel:[0,0,1] op_sel_hi:[1,0,0]
	v_mov_b32_e32 v151, v145
	v_pk_mul_f32 v[144:145], v[146:147], v[136:137] op_sel:[0,1]
	s_delay_alu instid0(VALU_DEP_1) | instskip(SKIP_1) | instid1(VALU_DEP_1)
	v_pk_fma_f32 v[148:149], v[146:147], v[134:135], v[144:145] op_sel:[0,0,1] op_sel_hi:[1,1,0] neg_lo:[0,0,1] neg_hi:[0,0,1]
	v_pk_fma_f32 v[144:145], v[146:147], v[134:135], v[144:145] op_sel:[0,0,1] op_sel_hi:[1,0,0]
	v_mov_b32_e32 v149, v145
	ds_load_2addr_b64 v[144:147], v138 offset0:58 offset1:59
	v_pk_add_f32 v[32:33], v[32:33], v[150:151] neg_lo:[0,1] neg_hi:[0,1]
	v_pk_add_f32 v[28:29], v[28:29], v[148:149] neg_lo:[0,1] neg_hi:[0,1]
	s_wait_dscnt 0x0
	v_dual_mul_f32 v148, v145, v137 :: v_dual_mul_f32 v150, v145, v134
	s_delay_alu instid0(VALU_DEP_1) | instskip(NEXT) | instid1(VALU_DEP_2)
	v_pk_fma_f32 v[148:149], v[144:145], v[114:115], v[148:149] op_sel_hi:[1,1,0] neg_lo:[0,0,1] neg_hi:[0,0,1]
	v_pk_fma_f32 v[144:145], v[144:145], v[114:115], v[150:151] op_sel:[1,0,0] op_sel_hi:[0,1,0]
	s_delay_alu instid0(VALU_DEP_1) | instskip(SKIP_1) | instid1(VALU_DEP_2)
	v_mov_b32_e32 v149, v145
	v_pk_mul_f32 v[144:145], v[146:147], v[136:137] op_sel:[0,1]
	v_pk_add_f32 v[30:31], v[30:31], v[148:149] neg_lo:[0,1] neg_hi:[0,1]
	s_delay_alu instid0(VALU_DEP_2) | instskip(SKIP_1) | instid1(VALU_DEP_1)
	v_pk_fma_f32 v[148:149], v[146:147], v[134:135], v[144:145] op_sel:[0,0,1] op_sel_hi:[1,1,0] neg_lo:[0,0,1] neg_hi:[0,0,1]
	v_pk_fma_f32 v[144:145], v[146:147], v[134:135], v[144:145] op_sel:[0,0,1] op_sel_hi:[1,0,0]
	v_mov_b32_e32 v149, v145
	ds_load_2addr_b64 v[144:147], v138 offset0:60 offset1:61
	v_pk_add_f32 v[6:7], v[6:7], v[148:149] neg_lo:[0,1] neg_hi:[0,1]
	s_wait_dscnt 0x0
	v_pk_mul_f32 v[148:149], v[144:145], v[136:137] op_sel:[0,1]
	s_delay_alu instid0(VALU_DEP_1) | instskip(SKIP_1) | instid1(VALU_DEP_1)
	v_pk_fma_f32 v[150:151], v[144:145], v[134:135], v[148:149] op_sel:[0,0,1] op_sel_hi:[1,1,0] neg_lo:[0,0,1] neg_hi:[0,0,1]
	v_pk_fma_f32 v[144:145], v[144:145], v[134:135], v[148:149] op_sel:[0,0,1] op_sel_hi:[1,0,0]
	v_mov_b32_e32 v151, v145
	v_pk_mul_f32 v[144:145], v[146:147], v[136:137] op_sel:[0,1]
	s_delay_alu instid0(VALU_DEP_2) | instskip(NEXT) | instid1(VALU_DEP_2)
	v_pk_add_f32 v[20:21], v[20:21], v[150:151] neg_lo:[0,1] neg_hi:[0,1]
	v_pk_fma_f32 v[148:149], v[146:147], v[134:135], v[144:145] op_sel:[0,0,1] op_sel_hi:[1,1,0] neg_lo:[0,0,1] neg_hi:[0,0,1]
	v_pk_fma_f32 v[144:145], v[146:147], v[134:135], v[144:145] op_sel:[0,0,1] op_sel_hi:[1,0,0]
	s_delay_alu instid0(VALU_DEP_1)
	v_mov_b32_e32 v149, v145
	ds_load_2addr_b64 v[144:147], v138 offset0:62 offset1:63
	v_pk_add_f32 v[14:15], v[14:15], v[148:149] neg_lo:[0,1] neg_hi:[0,1]
	s_wait_dscnt 0x0
	v_pk_mul_f32 v[148:149], v[144:145], v[136:137] op_sel:[0,1]
	v_mul_f32_e32 v136, v147, v137
	s_delay_alu instid0(VALU_DEP_2) | instskip(SKIP_2) | instid1(VALU_DEP_4)
	v_pk_fma_f32 v[150:151], v[144:145], v[134:135], v[148:149] op_sel:[0,0,1] op_sel_hi:[1,1,0] neg_lo:[0,0,1] neg_hi:[0,0,1]
	v_pk_fma_f32 v[144:145], v[144:145], v[134:135], v[148:149] op_sel:[0,0,1] op_sel_hi:[1,0,0]
	v_dual_mov_b32 v144, v147 :: v_dual_mul_f32 v134, v147, v134
	v_pk_fma_f32 v[136:137], v[146:147], v[114:115], v[136:137] op_sel_hi:[1,1,0] neg_lo:[0,0,1] neg_hi:[0,0,1]
	s_delay_alu instid0(VALU_DEP_3) | instskip(NEXT) | instid1(VALU_DEP_1)
	v_dual_mov_b32 v151, v145 :: v_dual_mov_b32 v145, v146
	v_pk_add_f32 v[10:11], v[10:11], v[150:151] neg_lo:[0,1] neg_hi:[0,1]
	s_delay_alu instid0(VALU_DEP_2) | instskip(NEXT) | instid1(VALU_DEP_1)
	v_pk_fma_f32 v[134:135], v[144:145], v[114:115], v[134:135] op_sel_hi:[1,1,0]
	v_mov_b32_e32 v137, v135
	s_delay_alu instid0(VALU_DEP_1)
	v_pk_add_f32 v[132:133], v[132:133], v[136:137] neg_lo:[0,1] neg_hi:[0,1]
.LBB126_209:
	s_or_b32 exec_lo, exec_lo, s0
	v_lshl_add_u32 v134, v142, 3, v138
	s_barrier_signal -1
	s_barrier_wait -1
	ds_store_b64 v134, v[116:117]
	s_wait_dscnt 0x0
	s_barrier_signal -1
	s_barrier_wait -1
	ds_load_b64 v[136:137], v138 offset:80
	v_mov_b32_e32 v134, 10
	s_cmp_lt_i32 s18, 12
	s_cbranch_scc1 .LBB126_212
; %bb.210:
	v_add3_u32 v135, v139, 0, 0x58
	v_mov_b32_e32 v134, 10
	s_mov_b32 s0, 11
.LBB126_211:                            ; =>This Inner Loop Header: Depth=1
	ds_load_b64 v[144:145], v135
	s_wait_dscnt 0x1
	v_cmp_gt_f32_e32 vcc_lo, 0, v136
	v_cndmask_b32_e64 v146, v136, -v136, vcc_lo
	v_cmp_gt_f32_e32 vcc_lo, 0, v137
	v_cndmask_b32_e64 v148, v137, -v137, vcc_lo
	s_wait_dscnt 0x0
	v_cmp_gt_f32_e32 vcc_lo, 0, v144
	v_cndmask_b32_e64 v147, v144, -v144, vcc_lo
	v_cmp_gt_f32_e32 vcc_lo, 0, v145
	v_cndmask_b32_e64 v149, v145, -v145, vcc_lo
	s_delay_alu instid0(VALU_DEP_1) | instskip(NEXT) | instid1(VALU_DEP_1)
	v_pk_add_f32 v[146:147], v[146:147], v[148:149]
	v_cmp_lt_f32_e32 vcc_lo, v146, v147
	v_dual_add_nc_u32 v135, 8, v135 :: v_dual_cndmask_b32 v137, v137, v145, vcc_lo
	v_cndmask_b32_e32 v136, v136, v144, vcc_lo
	v_cndmask_b32_e64 v134, v134, s0, vcc_lo
	s_add_co_i32 s0, s0, 1
	s_delay_alu instid0(SALU_CYCLE_1)
	s_cmp_lg_u32 s18, s0
	s_cbranch_scc1 .LBB126_211
.LBB126_212:
	s_wait_dscnt 0x0
	v_cmp_eq_f32_e32 vcc_lo, 0, v136
	v_cmp_eq_f32_e64 s0, 0, v137
	s_and_b32 s0, vcc_lo, s0
	s_delay_alu instid0(SALU_CYCLE_1) | instskip(NEXT) | instid1(SALU_CYCLE_1)
	s_and_saveexec_b32 s1, s0
	s_xor_b32 s0, exec_lo, s1
; %bb.213:
	v_cmp_ne_u32_e32 vcc_lo, 0, v140
	v_cndmask_b32_e32 v140, 11, v140, vcc_lo
; %bb.214:
	s_and_not1_saveexec_b32 s0, s0
	s_cbranch_execz .LBB126_220
; %bb.215:
	v_cmp_ngt_f32_e64 s1, |v136|, |v137|
	s_and_saveexec_b32 s12, s1
	s_delay_alu instid0(SALU_CYCLE_1)
	s_xor_b32 s1, exec_lo, s12
	s_cbranch_execz .LBB126_217
; %bb.216:
	v_div_scale_f32 v135, null, v137, v137, v136
	v_div_scale_f32 v145, vcc_lo, v136, v137, v136
	s_delay_alu instid0(VALU_DEP_2) | instskip(SKIP_1) | instid1(TRANS32_DEP_1)
	v_rcp_f32_e32 v143, v135
	v_nop
	v_fma_f32 v144, -v135, v143, 1.0
	s_delay_alu instid0(VALU_DEP_1) | instskip(NEXT) | instid1(VALU_DEP_1)
	v_fmac_f32_e32 v143, v144, v143
	v_mul_f32_e32 v144, v145, v143
	s_delay_alu instid0(VALU_DEP_1) | instskip(NEXT) | instid1(VALU_DEP_1)
	v_fma_f32 v146, -v135, v144, v145
	v_fmac_f32_e32 v144, v146, v143
	s_delay_alu instid0(VALU_DEP_1) | instskip(NEXT) | instid1(VALU_DEP_1)
	v_fma_f32 v135, -v135, v144, v145
	v_div_fmas_f32 v135, v135, v143, v144
	s_delay_alu instid0(VALU_DEP_1) | instskip(NEXT) | instid1(VALU_DEP_1)
	v_div_fixup_f32 v135, v135, v137, v136
	v_fmac_f32_e32 v137, v136, v135
	s_delay_alu instid0(VALU_DEP_1) | instskip(SKIP_1) | instid1(VALU_DEP_2)
	v_div_scale_f32 v136, null, v137, v137, 1.0
	v_div_scale_f32 v145, vcc_lo, 1.0, v137, 1.0
	v_rcp_f32_e32 v143, v136
	v_nop
	s_delay_alu instid0(TRANS32_DEP_1) | instskip(NEXT) | instid1(VALU_DEP_1)
	v_fma_f32 v144, -v136, v143, 1.0
	v_fmac_f32_e32 v143, v144, v143
	s_delay_alu instid0(VALU_DEP_1) | instskip(NEXT) | instid1(VALU_DEP_1)
	v_mul_f32_e32 v144, v145, v143
	v_fma_f32 v146, -v136, v144, v145
	s_delay_alu instid0(VALU_DEP_1) | instskip(NEXT) | instid1(VALU_DEP_1)
	v_fmac_f32_e32 v144, v146, v143
	v_fma_f32 v136, -v136, v144, v145
	s_delay_alu instid0(VALU_DEP_1) | instskip(NEXT) | instid1(VALU_DEP_1)
	v_div_fmas_f32 v136, v136, v143, v144
	v_div_fixup_f32 v137, v136, v137, 1.0
	s_delay_alu instid0(VALU_DEP_1)
	v_mul_f32_e32 v136, v135, v137
	v_xor_b32_e32 v137, 0x80000000, v137
.LBB126_217:
	s_and_not1_saveexec_b32 s1, s1
	s_cbranch_execz .LBB126_219
; %bb.218:
	s_delay_alu instid0(VALU_DEP_1) | instskip(SKIP_1) | instid1(VALU_DEP_2)
	v_div_scale_f32 v135, null, v136, v136, v137
	v_div_scale_f32 v145, vcc_lo, v137, v136, v137
	v_rcp_f32_e32 v143, v135
	v_nop
	s_delay_alu instid0(TRANS32_DEP_1) | instskip(NEXT) | instid1(VALU_DEP_1)
	v_fma_f32 v144, -v135, v143, 1.0
	v_fmac_f32_e32 v143, v144, v143
	s_delay_alu instid0(VALU_DEP_1) | instskip(NEXT) | instid1(VALU_DEP_1)
	v_mul_f32_e32 v144, v145, v143
	v_fma_f32 v146, -v135, v144, v145
	s_delay_alu instid0(VALU_DEP_1) | instskip(NEXT) | instid1(VALU_DEP_1)
	v_fmac_f32_e32 v144, v146, v143
	v_fma_f32 v135, -v135, v144, v145
	s_delay_alu instid0(VALU_DEP_1) | instskip(NEXT) | instid1(VALU_DEP_1)
	v_div_fmas_f32 v135, v135, v143, v144
	v_div_fixup_f32 v135, v135, v136, v137
	s_delay_alu instid0(VALU_DEP_1) | instskip(NEXT) | instid1(VALU_DEP_1)
	v_fmac_f32_e32 v136, v137, v135
	v_div_scale_f32 v137, null, v136, v136, 1.0
	s_delay_alu instid0(VALU_DEP_1) | instskip(SKIP_1) | instid1(TRANS32_DEP_1)
	v_rcp_f32_e32 v143, v137
	v_nop
	v_fma_f32 v144, -v137, v143, 1.0
	s_delay_alu instid0(VALU_DEP_1) | instskip(SKIP_1) | instid1(VALU_DEP_1)
	v_fmac_f32_e32 v143, v144, v143
	v_div_scale_f32 v144, vcc_lo, 1.0, v136, 1.0
	v_mul_f32_e32 v145, v144, v143
	s_delay_alu instid0(VALU_DEP_1) | instskip(NEXT) | instid1(VALU_DEP_1)
	v_fma_f32 v146, -v137, v145, v144
	v_fmac_f32_e32 v145, v146, v143
	s_delay_alu instid0(VALU_DEP_1) | instskip(NEXT) | instid1(VALU_DEP_1)
	v_fma_f32 v137, -v137, v145, v144
	v_div_fmas_f32 v137, v137, v143, v145
	s_delay_alu instid0(VALU_DEP_1) | instskip(NEXT) | instid1(VALU_DEP_1)
	v_div_fixup_f32 v136, v137, v136, 1.0
	v_mul_f32_e64 v137, v135, -v136
.LBB126_219:
	s_or_b32 exec_lo, exec_lo, s1
.LBB126_220:
	s_delay_alu instid0(SALU_CYCLE_1) | instskip(NEXT) | instid1(SALU_CYCLE_1)
	s_or_b32 exec_lo, exec_lo, s0
	s_mov_b32 s0, exec_lo
	v_cmpx_ne_u32_e64 v142, v134
	s_xor_b32 s0, exec_lo, s0
	s_cbranch_execz .LBB126_226
; %bb.221:
	s_mov_b32 s1, exec_lo
	v_cmpx_eq_u32_e32 10, v142
	s_cbranch_execz .LBB126_225
; %bb.222:
	v_cmp_ne_u32_e32 vcc_lo, 10, v134
	s_xor_b32 s12, s16, -1
	s_delay_alu instid0(SALU_CYCLE_1) | instskip(NEXT) | instid1(SALU_CYCLE_1)
	s_and_b32 s13, s12, vcc_lo
	s_and_saveexec_b32 s12, s13
	s_cbranch_execz .LBB126_224
; %bb.223:
	v_ashrrev_i32_e32 v135, 31, v134
	s_delay_alu instid0(VALU_DEP_1)
	v_lshl_add_u64 v[142:143], v[134:135], 2, v[4:5]
	s_clause 0x1
	global_load_b32 v135, v[142:143], off
	global_load_b32 v141, v[4:5], off offset:40
	s_wait_loadcnt 0x1
	global_store_b32 v[4:5], v135, off offset:40
	s_wait_loadcnt 0x0
	global_store_b32 v[142:143], v141, off
.LBB126_224:
	s_wait_xcnt 0x0
	s_or_b32 exec_lo, exec_lo, s12
	v_dual_mov_b32 v142, v134 :: v_dual_mov_b32 v141, v134
.LBB126_225:
	s_or_b32 exec_lo, exec_lo, s1
.LBB126_226:
	s_and_not1_saveexec_b32 s0, s0
	s_cbranch_execz .LBB126_228
; %bb.227:
	v_mov_b32_e32 v142, 10
	ds_store_2addr_b64 v138, v[50:51], v[110:111] offset0:11 offset1:12
	ds_store_2addr_b64 v138, v[106:107], v[108:109] offset0:13 offset1:14
	;; [unrolled: 1-line block ×26, first 2 shown]
	ds_store_b64 v138, v[132:133] offset:504
.LBB126_228:
	s_or_b32 exec_lo, exec_lo, s0
	s_delay_alu instid0(SALU_CYCLE_1)
	s_mov_b32 s0, exec_lo
	s_wait_storecnt_dscnt 0x0
	s_barrier_signal -1
	s_barrier_wait -1
	v_cmpx_lt_i32_e32 10, v142
	s_cbranch_execz .LBB126_230
; %bb.229:
	v_pk_mul_f32 v[144:145], v[136:137], v[116:117] op_sel:[1,1] op_sel_hi:[0,1]
	s_delay_alu instid0(VALU_DEP_1)
	v_pk_fma_f32 v[134:135], v[136:137], v[116:117], v[144:145] op_sel_hi:[1,0,1] neg_lo:[0,0,1] neg_hi:[0,0,1]
	v_pk_fma_f32 v[136:137], v[136:137], v[116:117], v[144:145] op_sel_hi:[1,0,1]
	ds_load_2addr_b64 v[144:147], v138 offset0:11 offset1:12
	v_dual_mov_b32 v116, v134 :: v_dual_mov_b32 v117, v137
	s_wait_dscnt 0x0
	v_pk_mul_f32 v[148:149], v[144:145], v[136:137] op_sel:[0,1]
	s_delay_alu instid0(VALU_DEP_1) | instskip(SKIP_1) | instid1(VALU_DEP_1)
	v_pk_fma_f32 v[150:151], v[144:145], v[134:135], v[148:149] op_sel:[0,0,1] op_sel_hi:[1,1,0] neg_lo:[0,0,1] neg_hi:[0,0,1]
	v_pk_fma_f32 v[144:145], v[144:145], v[134:135], v[148:149] op_sel:[0,0,1] op_sel_hi:[1,0,0]
	v_mov_b32_e32 v151, v145
	v_pk_mul_f32 v[144:145], v[146:147], v[136:137] op_sel:[0,1]
	s_delay_alu instid0(VALU_DEP_1) | instskip(SKIP_1) | instid1(VALU_DEP_1)
	v_pk_fma_f32 v[148:149], v[146:147], v[134:135], v[144:145] op_sel:[0,0,1] op_sel_hi:[1,1,0] neg_lo:[0,0,1] neg_hi:[0,0,1]
	v_pk_fma_f32 v[144:145], v[146:147], v[134:135], v[144:145] op_sel:[0,0,1] op_sel_hi:[1,0,0]
	v_mov_b32_e32 v149, v145
	ds_load_2addr_b64 v[144:147], v138 offset0:13 offset1:14
	v_pk_add_f32 v[50:51], v[50:51], v[150:151] neg_lo:[0,1] neg_hi:[0,1]
	v_pk_add_f32 v[110:111], v[110:111], v[148:149] neg_lo:[0,1] neg_hi:[0,1]
	s_wait_dscnt 0x0
	v_pk_mul_f32 v[148:149], v[144:145], v[136:137] op_sel:[0,1]
	s_delay_alu instid0(VALU_DEP_1) | instskip(SKIP_2) | instid1(VALU_DEP_2)
	v_pk_fma_f32 v[150:151], v[144:145], v[134:135], v[148:149] op_sel:[0,0,1] op_sel_hi:[1,1,0] neg_lo:[0,0,1] neg_hi:[0,0,1]
	v_pk_fma_f32 v[144:145], v[144:145], v[134:135], v[148:149] op_sel:[0,0,1] op_sel_hi:[1,0,0]
	v_dual_mul_f32 v148, v147, v137 :: v_dual_mov_b32 v144, v147
	v_dual_mov_b32 v151, v145 :: v_dual_mov_b32 v145, v146
	s_delay_alu instid0(VALU_DEP_2) | instskip(SKIP_1) | instid1(VALU_DEP_3)
	v_pk_fma_f32 v[148:149], v[146:147], v[116:117], v[148:149] op_sel_hi:[1,1,0] neg_lo:[0,0,1] neg_hi:[0,0,1]
	v_mul_f32_e32 v146, v147, v134
	v_pk_add_f32 v[106:107], v[106:107], v[150:151] neg_lo:[0,1] neg_hi:[0,1]
	s_delay_alu instid0(VALU_DEP_2) | instskip(NEXT) | instid1(VALU_DEP_1)
	v_pk_fma_f32 v[144:145], v[144:145], v[116:117], v[146:147] op_sel_hi:[1,1,0]
	v_mov_b32_e32 v149, v145
	ds_load_2addr_b64 v[144:147], v138 offset0:15 offset1:16
	v_pk_add_f32 v[108:109], v[108:109], v[148:149] neg_lo:[0,1] neg_hi:[0,1]
	s_wait_dscnt 0x0
	v_pk_mul_f32 v[148:149], v[144:145], v[136:137] op_sel:[0,1]
	s_delay_alu instid0(VALU_DEP_1) | instskip(SKIP_1) | instid1(VALU_DEP_1)
	v_pk_fma_f32 v[150:151], v[144:145], v[134:135], v[148:149] op_sel:[0,0,1] op_sel_hi:[1,1,0] neg_lo:[0,0,1] neg_hi:[0,0,1]
	v_pk_fma_f32 v[144:145], v[144:145], v[134:135], v[148:149] op_sel:[0,0,1] op_sel_hi:[1,0,0]
	v_mov_b32_e32 v151, v145
	v_pk_mul_f32 v[144:145], v[146:147], v[136:137] op_sel:[0,1]
	s_delay_alu instid0(VALU_DEP_1) | instskip(SKIP_1) | instid1(VALU_DEP_1)
	v_pk_fma_f32 v[148:149], v[146:147], v[134:135], v[144:145] op_sel:[0,0,1] op_sel_hi:[1,1,0] neg_lo:[0,0,1] neg_hi:[0,0,1]
	v_pk_fma_f32 v[144:145], v[146:147], v[134:135], v[144:145] op_sel:[0,0,1] op_sel_hi:[1,0,0]
	v_mov_b32_e32 v149, v145
	ds_load_2addr_b64 v[144:147], v138 offset0:17 offset1:18
	v_pk_add_f32 v[40:41], v[40:41], v[150:151] neg_lo:[0,1] neg_hi:[0,1]
	v_pk_add_f32 v[104:105], v[104:105], v[148:149] neg_lo:[0,1] neg_hi:[0,1]
	s_wait_dscnt 0x0
	v_pk_mul_f32 v[148:149], v[144:145], v[136:137] op_sel:[0,1]
	s_delay_alu instid0(VALU_DEP_1) | instskip(SKIP_1) | instid1(VALU_DEP_1)
	v_pk_fma_f32 v[150:151], v[144:145], v[134:135], v[148:149] op_sel:[0,0,1] op_sel_hi:[1,1,0] neg_lo:[0,0,1] neg_hi:[0,0,1]
	v_pk_fma_f32 v[144:145], v[144:145], v[134:135], v[148:149] op_sel:[0,0,1] op_sel_hi:[1,0,0]
	v_mov_b32_e32 v151, v145
	v_pk_mul_f32 v[144:145], v[146:147], v[136:137] op_sel:[0,1]
	s_delay_alu instid0(VALU_DEP_1) | instskip(SKIP_1) | instid1(VALU_DEP_1)
	v_pk_fma_f32 v[148:149], v[146:147], v[134:135], v[144:145] op_sel:[0,0,1] op_sel_hi:[1,1,0] neg_lo:[0,0,1] neg_hi:[0,0,1]
	v_pk_fma_f32 v[144:145], v[146:147], v[134:135], v[144:145] op_sel:[0,0,1] op_sel_hi:[1,0,0]
	v_mov_b32_e32 v149, v145
	ds_load_2addr_b64 v[144:147], v138 offset0:19 offset1:20
	v_pk_add_f32 v[100:101], v[100:101], v[150:151] neg_lo:[0,1] neg_hi:[0,1]
	v_pk_add_f32 v[102:103], v[102:103], v[148:149] neg_lo:[0,1] neg_hi:[0,1]
	s_wait_dscnt 0x0
	v_dual_mul_f32 v148, v145, v137 :: v_dual_mul_f32 v150, v145, v134
	s_delay_alu instid0(VALU_DEP_1) | instskip(NEXT) | instid1(VALU_DEP_2)
	v_pk_fma_f32 v[148:149], v[144:145], v[116:117], v[148:149] op_sel_hi:[1,1,0] neg_lo:[0,0,1] neg_hi:[0,0,1]
	v_pk_fma_f32 v[144:145], v[144:145], v[116:117], v[150:151] op_sel:[1,0,0] op_sel_hi:[0,1,0]
	s_delay_alu instid0(VALU_DEP_1) | instskip(SKIP_1) | instid1(VALU_DEP_2)
	v_mov_b32_e32 v149, v145
	v_pk_mul_f32 v[144:145], v[146:147], v[136:137] op_sel:[0,1]
	v_pk_add_f32 v[38:39], v[38:39], v[148:149] neg_lo:[0,1] neg_hi:[0,1]
	s_delay_alu instid0(VALU_DEP_2) | instskip(SKIP_1) | instid1(VALU_DEP_1)
	v_pk_fma_f32 v[148:149], v[146:147], v[134:135], v[144:145] op_sel:[0,0,1] op_sel_hi:[1,1,0] neg_lo:[0,0,1] neg_hi:[0,0,1]
	v_pk_fma_f32 v[144:145], v[146:147], v[134:135], v[144:145] op_sel:[0,0,1] op_sel_hi:[1,0,0]
	v_mov_b32_e32 v149, v145
	ds_load_2addr_b64 v[144:147], v138 offset0:21 offset1:22
	v_pk_add_f32 v[98:99], v[98:99], v[148:149] neg_lo:[0,1] neg_hi:[0,1]
	s_wait_dscnt 0x0
	v_pk_mul_f32 v[148:149], v[144:145], v[136:137] op_sel:[0,1]
	s_delay_alu instid0(VALU_DEP_1) | instskip(SKIP_1) | instid1(VALU_DEP_1)
	v_pk_fma_f32 v[150:151], v[144:145], v[134:135], v[148:149] op_sel:[0,0,1] op_sel_hi:[1,1,0] neg_lo:[0,0,1] neg_hi:[0,0,1]
	v_pk_fma_f32 v[144:145], v[144:145], v[134:135], v[148:149] op_sel:[0,0,1] op_sel_hi:[1,0,0]
	v_mov_b32_e32 v151, v145
	v_pk_mul_f32 v[144:145], v[146:147], v[136:137] op_sel:[0,1]
	s_delay_alu instid0(VALU_DEP_2) | instskip(NEXT) | instid1(VALU_DEP_2)
	v_pk_add_f32 v[94:95], v[94:95], v[150:151] neg_lo:[0,1] neg_hi:[0,1]
	v_pk_fma_f32 v[148:149], v[146:147], v[134:135], v[144:145] op_sel:[0,0,1] op_sel_hi:[1,1,0] neg_lo:[0,0,1] neg_hi:[0,0,1]
	v_pk_fma_f32 v[144:145], v[146:147], v[134:135], v[144:145] op_sel:[0,0,1] op_sel_hi:[1,0,0]
	s_delay_alu instid0(VALU_DEP_1) | instskip(SKIP_4) | instid1(VALU_DEP_1)
	v_mov_b32_e32 v149, v145
	ds_load_2addr_b64 v[144:147], v138 offset0:23 offset1:24
	v_pk_add_f32 v[96:97], v[96:97], v[148:149] neg_lo:[0,1] neg_hi:[0,1]
	s_wait_dscnt 0x0
	v_pk_mul_f32 v[148:149], v[144:145], v[136:137] op_sel:[0,1]
	v_pk_fma_f32 v[150:151], v[144:145], v[134:135], v[148:149] op_sel:[0,0,1] op_sel_hi:[1,1,0] neg_lo:[0,0,1] neg_hi:[0,0,1]
	v_pk_fma_f32 v[144:145], v[144:145], v[134:135], v[148:149] op_sel:[0,0,1] op_sel_hi:[1,0,0]
	v_dual_mul_f32 v148, v147, v137 :: v_dual_mov_b32 v144, v147
	s_delay_alu instid0(VALU_DEP_2) | instskip(NEXT) | instid1(VALU_DEP_2)
	v_dual_mov_b32 v151, v145 :: v_dual_mov_b32 v145, v146
	v_pk_fma_f32 v[148:149], v[146:147], v[116:117], v[148:149] op_sel_hi:[1,1,0] neg_lo:[0,0,1] neg_hi:[0,0,1]
	v_mul_f32_e32 v146, v147, v134
	s_delay_alu instid0(VALU_DEP_3) | instskip(NEXT) | instid1(VALU_DEP_2)
	v_pk_add_f32 v[36:37], v[36:37], v[150:151] neg_lo:[0,1] neg_hi:[0,1]
	v_pk_fma_f32 v[144:145], v[144:145], v[116:117], v[146:147] op_sel_hi:[1,1,0]
	s_delay_alu instid0(VALU_DEP_1) | instskip(SKIP_4) | instid1(VALU_DEP_1)
	v_mov_b32_e32 v149, v145
	ds_load_2addr_b64 v[144:147], v138 offset0:25 offset1:26
	v_pk_add_f32 v[92:93], v[92:93], v[148:149] neg_lo:[0,1] neg_hi:[0,1]
	s_wait_dscnt 0x0
	v_pk_mul_f32 v[148:149], v[144:145], v[136:137] op_sel:[0,1]
	v_pk_fma_f32 v[150:151], v[144:145], v[134:135], v[148:149] op_sel:[0,0,1] op_sel_hi:[1,1,0] neg_lo:[0,0,1] neg_hi:[0,0,1]
	v_pk_fma_f32 v[144:145], v[144:145], v[134:135], v[148:149] op_sel:[0,0,1] op_sel_hi:[1,0,0]
	s_delay_alu instid0(VALU_DEP_1) | instskip(SKIP_1) | instid1(VALU_DEP_1)
	v_mov_b32_e32 v151, v145
	v_pk_mul_f32 v[144:145], v[146:147], v[136:137] op_sel:[0,1]
	v_pk_fma_f32 v[148:149], v[146:147], v[134:135], v[144:145] op_sel:[0,0,1] op_sel_hi:[1,1,0] neg_lo:[0,0,1] neg_hi:[0,0,1]
	v_pk_fma_f32 v[144:145], v[146:147], v[134:135], v[144:145] op_sel:[0,0,1] op_sel_hi:[1,0,0]
	s_delay_alu instid0(VALU_DEP_1)
	v_mov_b32_e32 v149, v145
	ds_load_2addr_b64 v[144:147], v138 offset0:27 offset1:28
	v_pk_add_f32 v[88:89], v[88:89], v[150:151] neg_lo:[0,1] neg_hi:[0,1]
	v_pk_add_f32 v[90:91], v[90:91], v[148:149] neg_lo:[0,1] neg_hi:[0,1]
	s_wait_dscnt 0x0
	v_pk_mul_f32 v[148:149], v[144:145], v[136:137] op_sel:[0,1]
	s_delay_alu instid0(VALU_DEP_1) | instskip(SKIP_1) | instid1(VALU_DEP_1)
	v_pk_fma_f32 v[150:151], v[144:145], v[134:135], v[148:149] op_sel:[0,0,1] op_sel_hi:[1,1,0] neg_lo:[0,0,1] neg_hi:[0,0,1]
	v_pk_fma_f32 v[144:145], v[144:145], v[134:135], v[148:149] op_sel:[0,0,1] op_sel_hi:[1,0,0]
	v_mov_b32_e32 v151, v145
	v_pk_mul_f32 v[144:145], v[146:147], v[136:137] op_sel:[0,1]
	s_delay_alu instid0(VALU_DEP_1) | instskip(SKIP_1) | instid1(VALU_DEP_1)
	v_pk_fma_f32 v[148:149], v[146:147], v[134:135], v[144:145] op_sel:[0,0,1] op_sel_hi:[1,1,0] neg_lo:[0,0,1] neg_hi:[0,0,1]
	v_pk_fma_f32 v[144:145], v[146:147], v[134:135], v[144:145] op_sel:[0,0,1] op_sel_hi:[1,0,0]
	v_mov_b32_e32 v149, v145
	ds_load_2addr_b64 v[144:147], v138 offset0:29 offset1:30
	v_pk_add_f32 v[34:35], v[34:35], v[150:151] neg_lo:[0,1] neg_hi:[0,1]
	v_pk_add_f32 v[86:87], v[86:87], v[148:149] neg_lo:[0,1] neg_hi:[0,1]
	s_wait_dscnt 0x0
	v_dual_mul_f32 v148, v145, v137 :: v_dual_mul_f32 v150, v145, v134
	s_delay_alu instid0(VALU_DEP_1) | instskip(NEXT) | instid1(VALU_DEP_2)
	v_pk_fma_f32 v[148:149], v[144:145], v[116:117], v[148:149] op_sel_hi:[1,1,0] neg_lo:[0,0,1] neg_hi:[0,0,1]
	v_pk_fma_f32 v[144:145], v[144:145], v[116:117], v[150:151] op_sel:[1,0,0] op_sel_hi:[0,1,0]
	s_delay_alu instid0(VALU_DEP_1) | instskip(SKIP_1) | instid1(VALU_DEP_2)
	v_mov_b32_e32 v149, v145
	v_pk_mul_f32 v[144:145], v[146:147], v[136:137] op_sel:[0,1]
	v_pk_add_f32 v[82:83], v[82:83], v[148:149] neg_lo:[0,1] neg_hi:[0,1]
	s_delay_alu instid0(VALU_DEP_2) | instskip(SKIP_1) | instid1(VALU_DEP_1)
	v_pk_fma_f32 v[148:149], v[146:147], v[134:135], v[144:145] op_sel:[0,0,1] op_sel_hi:[1,1,0] neg_lo:[0,0,1] neg_hi:[0,0,1]
	v_pk_fma_f32 v[144:145], v[146:147], v[134:135], v[144:145] op_sel:[0,0,1] op_sel_hi:[1,0,0]
	v_mov_b32_e32 v149, v145
	ds_load_2addr_b64 v[144:147], v138 offset0:31 offset1:32
	v_pk_add_f32 v[84:85], v[84:85], v[148:149] neg_lo:[0,1] neg_hi:[0,1]
	s_wait_dscnt 0x0
	v_pk_mul_f32 v[148:149], v[144:145], v[136:137] op_sel:[0,1]
	s_delay_alu instid0(VALU_DEP_1) | instskip(SKIP_1) | instid1(VALU_DEP_1)
	v_pk_fma_f32 v[150:151], v[144:145], v[134:135], v[148:149] op_sel:[0,0,1] op_sel_hi:[1,1,0] neg_lo:[0,0,1] neg_hi:[0,0,1]
	v_pk_fma_f32 v[144:145], v[144:145], v[134:135], v[148:149] op_sel:[0,0,1] op_sel_hi:[1,0,0]
	v_mov_b32_e32 v151, v145
	v_pk_mul_f32 v[144:145], v[146:147], v[136:137] op_sel:[0,1]
	s_delay_alu instid0(VALU_DEP_2) | instskip(NEXT) | instid1(VALU_DEP_2)
	v_pk_add_f32 v[26:27], v[26:27], v[150:151] neg_lo:[0,1] neg_hi:[0,1]
	v_pk_fma_f32 v[148:149], v[146:147], v[134:135], v[144:145] op_sel:[0,0,1] op_sel_hi:[1,1,0] neg_lo:[0,0,1] neg_hi:[0,0,1]
	v_pk_fma_f32 v[144:145], v[146:147], v[134:135], v[144:145] op_sel:[0,0,1] op_sel_hi:[1,0,0]
	s_delay_alu instid0(VALU_DEP_1) | instskip(SKIP_4) | instid1(VALU_DEP_1)
	v_mov_b32_e32 v149, v145
	ds_load_2addr_b64 v[144:147], v138 offset0:33 offset1:34
	v_pk_add_f32 v[80:81], v[80:81], v[148:149] neg_lo:[0,1] neg_hi:[0,1]
	s_wait_dscnt 0x0
	v_pk_mul_f32 v[148:149], v[144:145], v[136:137] op_sel:[0,1]
	v_pk_fma_f32 v[150:151], v[144:145], v[134:135], v[148:149] op_sel:[0,0,1] op_sel_hi:[1,1,0] neg_lo:[0,0,1] neg_hi:[0,0,1]
	v_pk_fma_f32 v[144:145], v[144:145], v[134:135], v[148:149] op_sel:[0,0,1] op_sel_hi:[1,0,0]
	v_dual_mul_f32 v148, v147, v137 :: v_dual_mov_b32 v144, v147
	s_delay_alu instid0(VALU_DEP_2) | instskip(NEXT) | instid1(VALU_DEP_2)
	v_dual_mov_b32 v151, v145 :: v_dual_mov_b32 v145, v146
	v_pk_fma_f32 v[148:149], v[146:147], v[116:117], v[148:149] op_sel_hi:[1,1,0] neg_lo:[0,0,1] neg_hi:[0,0,1]
	v_mul_f32_e32 v146, v147, v134
	s_delay_alu instid0(VALU_DEP_3) | instskip(NEXT) | instid1(VALU_DEP_2)
	v_pk_add_f32 v[76:77], v[76:77], v[150:151] neg_lo:[0,1] neg_hi:[0,1]
	v_pk_fma_f32 v[144:145], v[144:145], v[116:117], v[146:147] op_sel_hi:[1,1,0]
	s_delay_alu instid0(VALU_DEP_1) | instskip(SKIP_4) | instid1(VALU_DEP_1)
	v_mov_b32_e32 v149, v145
	ds_load_2addr_b64 v[144:147], v138 offset0:35 offset1:36
	v_pk_add_f32 v[78:79], v[78:79], v[148:149] neg_lo:[0,1] neg_hi:[0,1]
	s_wait_dscnt 0x0
	v_pk_mul_f32 v[148:149], v[144:145], v[136:137] op_sel:[0,1]
	v_pk_fma_f32 v[150:151], v[144:145], v[134:135], v[148:149] op_sel:[0,0,1] op_sel_hi:[1,1,0] neg_lo:[0,0,1] neg_hi:[0,0,1]
	v_pk_fma_f32 v[144:145], v[144:145], v[134:135], v[148:149] op_sel:[0,0,1] op_sel_hi:[1,0,0]
	s_delay_alu instid0(VALU_DEP_1) | instskip(SKIP_1) | instid1(VALU_DEP_1)
	v_mov_b32_e32 v151, v145
	v_pk_mul_f32 v[144:145], v[146:147], v[136:137] op_sel:[0,1]
	v_pk_fma_f32 v[148:149], v[146:147], v[134:135], v[144:145] op_sel:[0,0,1] op_sel_hi:[1,1,0] neg_lo:[0,0,1] neg_hi:[0,0,1]
	v_pk_fma_f32 v[144:145], v[146:147], v[134:135], v[144:145] op_sel:[0,0,1] op_sel_hi:[1,0,0]
	s_delay_alu instid0(VALU_DEP_1)
	v_mov_b32_e32 v149, v145
	ds_load_2addr_b64 v[144:147], v138 offset0:37 offset1:38
	v_pk_add_f32 v[24:25], v[24:25], v[150:151] neg_lo:[0,1] neg_hi:[0,1]
	v_pk_add_f32 v[74:75], v[74:75], v[148:149] neg_lo:[0,1] neg_hi:[0,1]
	s_wait_dscnt 0x0
	v_pk_mul_f32 v[148:149], v[144:145], v[136:137] op_sel:[0,1]
	s_delay_alu instid0(VALU_DEP_1) | instskip(SKIP_1) | instid1(VALU_DEP_1)
	v_pk_fma_f32 v[150:151], v[144:145], v[134:135], v[148:149] op_sel:[0,0,1] op_sel_hi:[1,1,0] neg_lo:[0,0,1] neg_hi:[0,0,1]
	v_pk_fma_f32 v[144:145], v[144:145], v[134:135], v[148:149] op_sel:[0,0,1] op_sel_hi:[1,0,0]
	v_mov_b32_e32 v151, v145
	v_pk_mul_f32 v[144:145], v[146:147], v[136:137] op_sel:[0,1]
	s_delay_alu instid0(VALU_DEP_1) | instskip(SKIP_1) | instid1(VALU_DEP_1)
	v_pk_fma_f32 v[148:149], v[146:147], v[134:135], v[144:145] op_sel:[0,0,1] op_sel_hi:[1,1,0] neg_lo:[0,0,1] neg_hi:[0,0,1]
	v_pk_fma_f32 v[144:145], v[146:147], v[134:135], v[144:145] op_sel:[0,0,1] op_sel_hi:[1,0,0]
	v_mov_b32_e32 v149, v145
	ds_load_2addr_b64 v[144:147], v138 offset0:39 offset1:40
	v_pk_add_f32 v[70:71], v[70:71], v[150:151] neg_lo:[0,1] neg_hi:[0,1]
	v_pk_add_f32 v[72:73], v[72:73], v[148:149] neg_lo:[0,1] neg_hi:[0,1]
	s_wait_dscnt 0x0
	v_dual_mul_f32 v148, v145, v137 :: v_dual_mul_f32 v150, v145, v134
	s_delay_alu instid0(VALU_DEP_1) | instskip(NEXT) | instid1(VALU_DEP_2)
	v_pk_fma_f32 v[148:149], v[144:145], v[116:117], v[148:149] op_sel_hi:[1,1,0] neg_lo:[0,0,1] neg_hi:[0,0,1]
	v_pk_fma_f32 v[144:145], v[144:145], v[116:117], v[150:151] op_sel:[1,0,0] op_sel_hi:[0,1,0]
	s_delay_alu instid0(VALU_DEP_1) | instskip(SKIP_1) | instid1(VALU_DEP_2)
	v_mov_b32_e32 v149, v145
	v_pk_mul_f32 v[144:145], v[146:147], v[136:137] op_sel:[0,1]
	v_pk_add_f32 v[22:23], v[22:23], v[148:149] neg_lo:[0,1] neg_hi:[0,1]
	s_delay_alu instid0(VALU_DEP_2) | instskip(SKIP_1) | instid1(VALU_DEP_1)
	v_pk_fma_f32 v[148:149], v[146:147], v[134:135], v[144:145] op_sel:[0,0,1] op_sel_hi:[1,1,0] neg_lo:[0,0,1] neg_hi:[0,0,1]
	v_pk_fma_f32 v[144:145], v[146:147], v[134:135], v[144:145] op_sel:[0,0,1] op_sel_hi:[1,0,0]
	v_mov_b32_e32 v149, v145
	ds_load_2addr_b64 v[144:147], v138 offset0:41 offset1:42
	v_pk_add_f32 v[68:69], v[68:69], v[148:149] neg_lo:[0,1] neg_hi:[0,1]
	s_wait_dscnt 0x0
	v_pk_mul_f32 v[148:149], v[144:145], v[136:137] op_sel:[0,1]
	s_delay_alu instid0(VALU_DEP_1) | instskip(SKIP_1) | instid1(VALU_DEP_1)
	v_pk_fma_f32 v[150:151], v[144:145], v[134:135], v[148:149] op_sel:[0,0,1] op_sel_hi:[1,1,0] neg_lo:[0,0,1] neg_hi:[0,0,1]
	v_pk_fma_f32 v[144:145], v[144:145], v[134:135], v[148:149] op_sel:[0,0,1] op_sel_hi:[1,0,0]
	v_mov_b32_e32 v151, v145
	v_pk_mul_f32 v[144:145], v[146:147], v[136:137] op_sel:[0,1]
	s_delay_alu instid0(VALU_DEP_2) | instskip(NEXT) | instid1(VALU_DEP_2)
	v_pk_add_f32 v[64:65], v[64:65], v[150:151] neg_lo:[0,1] neg_hi:[0,1]
	v_pk_fma_f32 v[148:149], v[146:147], v[134:135], v[144:145] op_sel:[0,0,1] op_sel_hi:[1,1,0] neg_lo:[0,0,1] neg_hi:[0,0,1]
	v_pk_fma_f32 v[144:145], v[146:147], v[134:135], v[144:145] op_sel:[0,0,1] op_sel_hi:[1,0,0]
	s_delay_alu instid0(VALU_DEP_1) | instskip(SKIP_4) | instid1(VALU_DEP_1)
	v_mov_b32_e32 v149, v145
	ds_load_2addr_b64 v[144:147], v138 offset0:43 offset1:44
	v_pk_add_f32 v[66:67], v[66:67], v[148:149] neg_lo:[0,1] neg_hi:[0,1]
	s_wait_dscnt 0x0
	v_pk_mul_f32 v[148:149], v[144:145], v[136:137] op_sel:[0,1]
	v_pk_fma_f32 v[150:151], v[144:145], v[134:135], v[148:149] op_sel:[0,0,1] op_sel_hi:[1,1,0] neg_lo:[0,0,1] neg_hi:[0,0,1]
	v_pk_fma_f32 v[144:145], v[144:145], v[134:135], v[148:149] op_sel:[0,0,1] op_sel_hi:[1,0,0]
	v_dual_mul_f32 v148, v147, v137 :: v_dual_mov_b32 v144, v147
	s_delay_alu instid0(VALU_DEP_2) | instskip(NEXT) | instid1(VALU_DEP_2)
	v_dual_mov_b32 v151, v145 :: v_dual_mov_b32 v145, v146
	v_pk_fma_f32 v[148:149], v[146:147], v[116:117], v[148:149] op_sel_hi:[1,1,0] neg_lo:[0,0,1] neg_hi:[0,0,1]
	v_mul_f32_e32 v146, v147, v134
	s_delay_alu instid0(VALU_DEP_3) | instskip(NEXT) | instid1(VALU_DEP_2)
	v_pk_add_f32 v[18:19], v[18:19], v[150:151] neg_lo:[0,1] neg_hi:[0,1]
	v_pk_fma_f32 v[144:145], v[144:145], v[116:117], v[146:147] op_sel_hi:[1,1,0]
	s_delay_alu instid0(VALU_DEP_1) | instskip(SKIP_4) | instid1(VALU_DEP_1)
	v_mov_b32_e32 v149, v145
	ds_load_2addr_b64 v[144:147], v138 offset0:45 offset1:46
	v_pk_add_f32 v[60:61], v[60:61], v[148:149] neg_lo:[0,1] neg_hi:[0,1]
	s_wait_dscnt 0x0
	v_pk_mul_f32 v[148:149], v[144:145], v[136:137] op_sel:[0,1]
	v_pk_fma_f32 v[150:151], v[144:145], v[134:135], v[148:149] op_sel:[0,0,1] op_sel_hi:[1,1,0] neg_lo:[0,0,1] neg_hi:[0,0,1]
	v_pk_fma_f32 v[144:145], v[144:145], v[134:135], v[148:149] op_sel:[0,0,1] op_sel_hi:[1,0,0]
	s_delay_alu instid0(VALU_DEP_1) | instskip(SKIP_1) | instid1(VALU_DEP_1)
	v_mov_b32_e32 v151, v145
	v_pk_mul_f32 v[144:145], v[146:147], v[136:137] op_sel:[0,1]
	v_pk_fma_f32 v[148:149], v[146:147], v[134:135], v[144:145] op_sel:[0,0,1] op_sel_hi:[1,1,0] neg_lo:[0,0,1] neg_hi:[0,0,1]
	v_pk_fma_f32 v[144:145], v[146:147], v[134:135], v[144:145] op_sel:[0,0,1] op_sel_hi:[1,0,0]
	s_delay_alu instid0(VALU_DEP_1)
	v_mov_b32_e32 v149, v145
	ds_load_2addr_b64 v[144:147], v138 offset0:47 offset1:48
	v_pk_add_f32 v[56:57], v[56:57], v[150:151] neg_lo:[0,1] neg_hi:[0,1]
	v_pk_add_f32 v[58:59], v[58:59], v[148:149] neg_lo:[0,1] neg_hi:[0,1]
	s_wait_dscnt 0x0
	v_pk_mul_f32 v[148:149], v[144:145], v[136:137] op_sel:[0,1]
	s_delay_alu instid0(VALU_DEP_1) | instskip(SKIP_1) | instid1(VALU_DEP_1)
	v_pk_fma_f32 v[150:151], v[144:145], v[134:135], v[148:149] op_sel:[0,0,1] op_sel_hi:[1,1,0] neg_lo:[0,0,1] neg_hi:[0,0,1]
	v_pk_fma_f32 v[144:145], v[144:145], v[134:135], v[148:149] op_sel:[0,0,1] op_sel_hi:[1,0,0]
	v_mov_b32_e32 v151, v145
	v_pk_mul_f32 v[144:145], v[146:147], v[136:137] op_sel:[0,1]
	s_delay_alu instid0(VALU_DEP_1) | instskip(SKIP_1) | instid1(VALU_DEP_1)
	v_pk_fma_f32 v[148:149], v[146:147], v[134:135], v[144:145] op_sel:[0,0,1] op_sel_hi:[1,1,0] neg_lo:[0,0,1] neg_hi:[0,0,1]
	v_pk_fma_f32 v[144:145], v[146:147], v[134:135], v[144:145] op_sel:[0,0,1] op_sel_hi:[1,0,0]
	v_mov_b32_e32 v149, v145
	ds_load_2addr_b64 v[144:147], v138 offset0:49 offset1:50
	v_pk_add_f32 v[12:13], v[12:13], v[150:151] neg_lo:[0,1] neg_hi:[0,1]
	v_pk_add_f32 v[54:55], v[54:55], v[148:149] neg_lo:[0,1] neg_hi:[0,1]
	s_wait_dscnt 0x0
	v_dual_mul_f32 v148, v145, v137 :: v_dual_mul_f32 v150, v145, v134
	s_delay_alu instid0(VALU_DEP_1) | instskip(NEXT) | instid1(VALU_DEP_2)
	v_pk_fma_f32 v[148:149], v[144:145], v[116:117], v[148:149] op_sel_hi:[1,1,0] neg_lo:[0,0,1] neg_hi:[0,0,1]
	v_pk_fma_f32 v[144:145], v[144:145], v[116:117], v[150:151] op_sel:[1,0,0] op_sel_hi:[0,1,0]
	s_delay_alu instid0(VALU_DEP_1) | instskip(SKIP_1) | instid1(VALU_DEP_2)
	v_mov_b32_e32 v149, v145
	v_pk_mul_f32 v[144:145], v[146:147], v[136:137] op_sel:[0,1]
	v_pk_add_f32 v[52:53], v[52:53], v[148:149] neg_lo:[0,1] neg_hi:[0,1]
	s_delay_alu instid0(VALU_DEP_2) | instskip(SKIP_1) | instid1(VALU_DEP_1)
	v_pk_fma_f32 v[148:149], v[146:147], v[134:135], v[144:145] op_sel:[0,0,1] op_sel_hi:[1,1,0] neg_lo:[0,0,1] neg_hi:[0,0,1]
	v_pk_fma_f32 v[144:145], v[146:147], v[134:135], v[144:145] op_sel:[0,0,1] op_sel_hi:[1,0,0]
	v_mov_b32_e32 v149, v145
	ds_load_2addr_b64 v[144:147], v138 offset0:51 offset1:52
	v_pk_add_f32 v[62:63], v[62:63], v[148:149] neg_lo:[0,1] neg_hi:[0,1]
	s_wait_dscnt 0x0
	v_pk_mul_f32 v[148:149], v[144:145], v[136:137] op_sel:[0,1]
	s_delay_alu instid0(VALU_DEP_1) | instskip(SKIP_1) | instid1(VALU_DEP_1)
	v_pk_fma_f32 v[150:151], v[144:145], v[134:135], v[148:149] op_sel:[0,0,1] op_sel_hi:[1,1,0] neg_lo:[0,0,1] neg_hi:[0,0,1]
	v_pk_fma_f32 v[144:145], v[144:145], v[134:135], v[148:149] op_sel:[0,0,1] op_sel_hi:[1,0,0]
	v_mov_b32_e32 v151, v145
	v_pk_mul_f32 v[144:145], v[146:147], v[136:137] op_sel:[0,1]
	s_delay_alu instid0(VALU_DEP_2) | instskip(NEXT) | instid1(VALU_DEP_2)
	v_pk_add_f32 v[16:17], v[16:17], v[150:151] neg_lo:[0,1] neg_hi:[0,1]
	v_pk_fma_f32 v[148:149], v[146:147], v[134:135], v[144:145] op_sel:[0,0,1] op_sel_hi:[1,1,0] neg_lo:[0,0,1] neg_hi:[0,0,1]
	v_pk_fma_f32 v[144:145], v[146:147], v[134:135], v[144:145] op_sel:[0,0,1] op_sel_hi:[1,0,0]
	s_delay_alu instid0(VALU_DEP_1) | instskip(SKIP_4) | instid1(VALU_DEP_1)
	v_mov_b32_e32 v149, v145
	ds_load_2addr_b64 v[144:147], v138 offset0:53 offset1:54
	v_pk_add_f32 v[48:49], v[48:49], v[148:149] neg_lo:[0,1] neg_hi:[0,1]
	s_wait_dscnt 0x0
	v_pk_mul_f32 v[148:149], v[144:145], v[136:137] op_sel:[0,1]
	v_pk_fma_f32 v[150:151], v[144:145], v[134:135], v[148:149] op_sel:[0,0,1] op_sel_hi:[1,1,0] neg_lo:[0,0,1] neg_hi:[0,0,1]
	v_pk_fma_f32 v[144:145], v[144:145], v[134:135], v[148:149] op_sel:[0,0,1] op_sel_hi:[1,0,0]
	v_dual_mul_f32 v148, v147, v137 :: v_dual_mov_b32 v144, v147
	s_delay_alu instid0(VALU_DEP_2) | instskip(NEXT) | instid1(VALU_DEP_2)
	v_dual_mov_b32 v151, v145 :: v_dual_mov_b32 v145, v146
	v_pk_fma_f32 v[148:149], v[146:147], v[116:117], v[148:149] op_sel_hi:[1,1,0] neg_lo:[0,0,1] neg_hi:[0,0,1]
	v_mul_f32_e32 v146, v147, v134
	s_delay_alu instid0(VALU_DEP_3) | instskip(NEXT) | instid1(VALU_DEP_2)
	v_pk_add_f32 v[42:43], v[42:43], v[150:151] neg_lo:[0,1] neg_hi:[0,1]
	v_pk_fma_f32 v[144:145], v[144:145], v[116:117], v[146:147] op_sel_hi:[1,1,0]
	s_delay_alu instid0(VALU_DEP_1) | instskip(SKIP_4) | instid1(VALU_DEP_1)
	v_mov_b32_e32 v149, v145
	ds_load_2addr_b64 v[144:147], v138 offset0:55 offset1:56
	v_pk_add_f32 v[46:47], v[46:47], v[148:149] neg_lo:[0,1] neg_hi:[0,1]
	s_wait_dscnt 0x0
	v_pk_mul_f32 v[148:149], v[144:145], v[136:137] op_sel:[0,1]
	v_pk_fma_f32 v[150:151], v[144:145], v[134:135], v[148:149] op_sel:[0,0,1] op_sel_hi:[1,1,0] neg_lo:[0,0,1] neg_hi:[0,0,1]
	v_pk_fma_f32 v[144:145], v[144:145], v[134:135], v[148:149] op_sel:[0,0,1] op_sel_hi:[1,0,0]
	s_delay_alu instid0(VALU_DEP_1) | instskip(SKIP_1) | instid1(VALU_DEP_1)
	v_mov_b32_e32 v151, v145
	v_pk_mul_f32 v[144:145], v[146:147], v[136:137] op_sel:[0,1]
	v_pk_fma_f32 v[148:149], v[146:147], v[134:135], v[144:145] op_sel:[0,0,1] op_sel_hi:[1,1,0] neg_lo:[0,0,1] neg_hi:[0,0,1]
	v_pk_fma_f32 v[144:145], v[146:147], v[134:135], v[144:145] op_sel:[0,0,1] op_sel_hi:[1,0,0]
	s_delay_alu instid0(VALU_DEP_1)
	v_mov_b32_e32 v149, v145
	ds_load_2addr_b64 v[144:147], v138 offset0:57 offset1:58
	v_pk_add_f32 v[8:9], v[8:9], v[150:151] neg_lo:[0,1] neg_hi:[0,1]
	v_pk_add_f32 v[32:33], v[32:33], v[148:149] neg_lo:[0,1] neg_hi:[0,1]
	s_wait_dscnt 0x0
	v_pk_mul_f32 v[148:149], v[144:145], v[136:137] op_sel:[0,1]
	s_delay_alu instid0(VALU_DEP_1) | instskip(SKIP_1) | instid1(VALU_DEP_1)
	v_pk_fma_f32 v[150:151], v[144:145], v[134:135], v[148:149] op_sel:[0,0,1] op_sel_hi:[1,1,0] neg_lo:[0,0,1] neg_hi:[0,0,1]
	v_pk_fma_f32 v[144:145], v[144:145], v[134:135], v[148:149] op_sel:[0,0,1] op_sel_hi:[1,0,0]
	v_mov_b32_e32 v151, v145
	v_pk_mul_f32 v[144:145], v[146:147], v[136:137] op_sel:[0,1]
	s_delay_alu instid0(VALU_DEP_1) | instskip(SKIP_1) | instid1(VALU_DEP_1)
	v_pk_fma_f32 v[148:149], v[146:147], v[134:135], v[144:145] op_sel:[0,0,1] op_sel_hi:[1,1,0] neg_lo:[0,0,1] neg_hi:[0,0,1]
	v_pk_fma_f32 v[144:145], v[146:147], v[134:135], v[144:145] op_sel:[0,0,1] op_sel_hi:[1,0,0]
	v_mov_b32_e32 v149, v145
	ds_load_2addr_b64 v[144:147], v138 offset0:59 offset1:60
	v_pk_add_f32 v[28:29], v[28:29], v[150:151] neg_lo:[0,1] neg_hi:[0,1]
	v_pk_add_f32 v[30:31], v[30:31], v[148:149] neg_lo:[0,1] neg_hi:[0,1]
	s_wait_dscnt 0x0
	v_dual_mul_f32 v148, v145, v137 :: v_dual_mul_f32 v150, v145, v134
	s_delay_alu instid0(VALU_DEP_1) | instskip(NEXT) | instid1(VALU_DEP_2)
	v_pk_fma_f32 v[148:149], v[144:145], v[116:117], v[148:149] op_sel_hi:[1,1,0] neg_lo:[0,0,1] neg_hi:[0,0,1]
	v_pk_fma_f32 v[144:145], v[144:145], v[116:117], v[150:151] op_sel:[1,0,0] op_sel_hi:[0,1,0]
	s_delay_alu instid0(VALU_DEP_1) | instskip(SKIP_1) | instid1(VALU_DEP_2)
	v_mov_b32_e32 v149, v145
	v_pk_mul_f32 v[144:145], v[146:147], v[136:137] op_sel:[0,1]
	v_pk_add_f32 v[6:7], v[6:7], v[148:149] neg_lo:[0,1] neg_hi:[0,1]
	s_delay_alu instid0(VALU_DEP_2) | instskip(SKIP_1) | instid1(VALU_DEP_1)
	v_pk_fma_f32 v[148:149], v[146:147], v[134:135], v[144:145] op_sel:[0,0,1] op_sel_hi:[1,1,0] neg_lo:[0,0,1] neg_hi:[0,0,1]
	v_pk_fma_f32 v[144:145], v[146:147], v[134:135], v[144:145] op_sel:[0,0,1] op_sel_hi:[1,0,0]
	v_mov_b32_e32 v149, v145
	ds_load_2addr_b64 v[144:147], v138 offset0:61 offset1:62
	v_pk_add_f32 v[20:21], v[20:21], v[148:149] neg_lo:[0,1] neg_hi:[0,1]
	s_wait_dscnt 0x0
	v_pk_mul_f32 v[148:149], v[144:145], v[136:137] op_sel:[0,1]
	s_delay_alu instid0(VALU_DEP_1) | instskip(SKIP_1) | instid1(VALU_DEP_1)
	v_pk_fma_f32 v[150:151], v[144:145], v[134:135], v[148:149] op_sel:[0,0,1] op_sel_hi:[1,1,0] neg_lo:[0,0,1] neg_hi:[0,0,1]
	v_pk_fma_f32 v[144:145], v[144:145], v[134:135], v[148:149] op_sel:[0,0,1] op_sel_hi:[1,0,0]
	v_mov_b32_e32 v151, v145
	v_pk_mul_f32 v[144:145], v[146:147], v[136:137] op_sel:[0,1]
	s_delay_alu instid0(VALU_DEP_2) | instskip(NEXT) | instid1(VALU_DEP_2)
	v_pk_add_f32 v[14:15], v[14:15], v[150:151] neg_lo:[0,1] neg_hi:[0,1]
	v_pk_fma_f32 v[148:149], v[146:147], v[134:135], v[144:145] op_sel:[0,0,1] op_sel_hi:[1,1,0] neg_lo:[0,0,1] neg_hi:[0,0,1]
	v_pk_fma_f32 v[144:145], v[146:147], v[134:135], v[144:145] op_sel:[0,0,1] op_sel_hi:[1,0,0]
	s_delay_alu instid0(VALU_DEP_1) | instskip(SKIP_4) | instid1(VALU_DEP_1)
	v_mov_b32_e32 v149, v145
	ds_load_b64 v[144:145], v138 offset:504
	v_pk_add_f32 v[10:11], v[10:11], v[148:149] neg_lo:[0,1] neg_hi:[0,1]
	s_wait_dscnt 0x0
	v_pk_mul_f32 v[136:137], v[144:145], v[136:137] op_sel:[0,1]
	v_pk_fma_f32 v[146:147], v[144:145], v[134:135], v[136:137] op_sel:[0,0,1] op_sel_hi:[1,1,0] neg_lo:[0,0,1] neg_hi:[0,0,1]
	v_pk_fma_f32 v[134:135], v[144:145], v[134:135], v[136:137] op_sel:[0,0,1] op_sel_hi:[1,0,0]
	s_delay_alu instid0(VALU_DEP_1) | instskip(NEXT) | instid1(VALU_DEP_1)
	v_mov_b32_e32 v147, v135
	v_pk_add_f32 v[132:133], v[132:133], v[146:147] neg_lo:[0,1] neg_hi:[0,1]
.LBB126_230:
	s_or_b32 exec_lo, exec_lo, s0
	v_lshl_add_u32 v134, v142, 3, v138
	s_barrier_signal -1
	s_barrier_wait -1
	ds_store_b64 v134, v[50:51]
	s_wait_dscnt 0x0
	s_barrier_signal -1
	s_barrier_wait -1
	ds_load_b64 v[136:137], v138 offset:88
	v_mov_b32_e32 v134, 11
	s_cmp_lt_i32 s18, 13
	s_cbranch_scc1 .LBB126_233
; %bb.231:
	v_add3_u32 v135, v139, 0, 0x60
	v_mov_b32_e32 v134, 11
	s_mov_b32 s0, 12
.LBB126_232:                            ; =>This Inner Loop Header: Depth=1
	ds_load_b64 v[144:145], v135
	s_wait_dscnt 0x1
	v_cmp_gt_f32_e32 vcc_lo, 0, v136
	v_cndmask_b32_e64 v146, v136, -v136, vcc_lo
	v_cmp_gt_f32_e32 vcc_lo, 0, v137
	v_cndmask_b32_e64 v148, v137, -v137, vcc_lo
	s_wait_dscnt 0x0
	v_cmp_gt_f32_e32 vcc_lo, 0, v144
	v_cndmask_b32_e64 v147, v144, -v144, vcc_lo
	v_cmp_gt_f32_e32 vcc_lo, 0, v145
	v_cndmask_b32_e64 v149, v145, -v145, vcc_lo
	s_delay_alu instid0(VALU_DEP_1) | instskip(NEXT) | instid1(VALU_DEP_1)
	v_pk_add_f32 v[146:147], v[146:147], v[148:149]
	v_cmp_lt_f32_e32 vcc_lo, v146, v147
	v_dual_add_nc_u32 v135, 8, v135 :: v_dual_cndmask_b32 v137, v137, v145, vcc_lo
	v_cndmask_b32_e32 v136, v136, v144, vcc_lo
	v_cndmask_b32_e64 v134, v134, s0, vcc_lo
	s_add_co_i32 s0, s0, 1
	s_delay_alu instid0(SALU_CYCLE_1)
	s_cmp_lg_u32 s18, s0
	s_cbranch_scc1 .LBB126_232
.LBB126_233:
	s_wait_dscnt 0x0
	v_cmp_eq_f32_e32 vcc_lo, 0, v136
	v_cmp_eq_f32_e64 s0, 0, v137
	s_and_b32 s0, vcc_lo, s0
	s_delay_alu instid0(SALU_CYCLE_1) | instskip(NEXT) | instid1(SALU_CYCLE_1)
	s_and_saveexec_b32 s1, s0
	s_xor_b32 s0, exec_lo, s1
; %bb.234:
	v_cmp_ne_u32_e32 vcc_lo, 0, v140
	v_cndmask_b32_e32 v140, 12, v140, vcc_lo
; %bb.235:
	s_and_not1_saveexec_b32 s0, s0
	s_cbranch_execz .LBB126_241
; %bb.236:
	v_cmp_ngt_f32_e64 s1, |v136|, |v137|
	s_and_saveexec_b32 s12, s1
	s_delay_alu instid0(SALU_CYCLE_1)
	s_xor_b32 s1, exec_lo, s12
	s_cbranch_execz .LBB126_238
; %bb.237:
	v_div_scale_f32 v135, null, v137, v137, v136
	v_div_scale_f32 v145, vcc_lo, v136, v137, v136
	s_delay_alu instid0(VALU_DEP_2) | instskip(SKIP_1) | instid1(TRANS32_DEP_1)
	v_rcp_f32_e32 v143, v135
	v_nop
	v_fma_f32 v144, -v135, v143, 1.0
	s_delay_alu instid0(VALU_DEP_1) | instskip(NEXT) | instid1(VALU_DEP_1)
	v_fmac_f32_e32 v143, v144, v143
	v_mul_f32_e32 v144, v145, v143
	s_delay_alu instid0(VALU_DEP_1) | instskip(NEXT) | instid1(VALU_DEP_1)
	v_fma_f32 v146, -v135, v144, v145
	v_fmac_f32_e32 v144, v146, v143
	s_delay_alu instid0(VALU_DEP_1) | instskip(NEXT) | instid1(VALU_DEP_1)
	v_fma_f32 v135, -v135, v144, v145
	v_div_fmas_f32 v135, v135, v143, v144
	s_delay_alu instid0(VALU_DEP_1) | instskip(NEXT) | instid1(VALU_DEP_1)
	v_div_fixup_f32 v135, v135, v137, v136
	v_fmac_f32_e32 v137, v136, v135
	s_delay_alu instid0(VALU_DEP_1) | instskip(SKIP_1) | instid1(VALU_DEP_2)
	v_div_scale_f32 v136, null, v137, v137, 1.0
	v_div_scale_f32 v145, vcc_lo, 1.0, v137, 1.0
	v_rcp_f32_e32 v143, v136
	v_nop
	s_delay_alu instid0(TRANS32_DEP_1) | instskip(NEXT) | instid1(VALU_DEP_1)
	v_fma_f32 v144, -v136, v143, 1.0
	v_fmac_f32_e32 v143, v144, v143
	s_delay_alu instid0(VALU_DEP_1) | instskip(NEXT) | instid1(VALU_DEP_1)
	v_mul_f32_e32 v144, v145, v143
	v_fma_f32 v146, -v136, v144, v145
	s_delay_alu instid0(VALU_DEP_1) | instskip(NEXT) | instid1(VALU_DEP_1)
	v_fmac_f32_e32 v144, v146, v143
	v_fma_f32 v136, -v136, v144, v145
	s_delay_alu instid0(VALU_DEP_1) | instskip(NEXT) | instid1(VALU_DEP_1)
	v_div_fmas_f32 v136, v136, v143, v144
	v_div_fixup_f32 v137, v136, v137, 1.0
	s_delay_alu instid0(VALU_DEP_1)
	v_mul_f32_e32 v136, v135, v137
	v_xor_b32_e32 v137, 0x80000000, v137
.LBB126_238:
	s_and_not1_saveexec_b32 s1, s1
	s_cbranch_execz .LBB126_240
; %bb.239:
	s_delay_alu instid0(VALU_DEP_1) | instskip(SKIP_1) | instid1(VALU_DEP_2)
	v_div_scale_f32 v135, null, v136, v136, v137
	v_div_scale_f32 v145, vcc_lo, v137, v136, v137
	v_rcp_f32_e32 v143, v135
	v_nop
	s_delay_alu instid0(TRANS32_DEP_1) | instskip(NEXT) | instid1(VALU_DEP_1)
	v_fma_f32 v144, -v135, v143, 1.0
	v_fmac_f32_e32 v143, v144, v143
	s_delay_alu instid0(VALU_DEP_1) | instskip(NEXT) | instid1(VALU_DEP_1)
	v_mul_f32_e32 v144, v145, v143
	v_fma_f32 v146, -v135, v144, v145
	s_delay_alu instid0(VALU_DEP_1) | instskip(NEXT) | instid1(VALU_DEP_1)
	v_fmac_f32_e32 v144, v146, v143
	v_fma_f32 v135, -v135, v144, v145
	s_delay_alu instid0(VALU_DEP_1) | instskip(NEXT) | instid1(VALU_DEP_1)
	v_div_fmas_f32 v135, v135, v143, v144
	v_div_fixup_f32 v135, v135, v136, v137
	s_delay_alu instid0(VALU_DEP_1) | instskip(NEXT) | instid1(VALU_DEP_1)
	v_fmac_f32_e32 v136, v137, v135
	v_div_scale_f32 v137, null, v136, v136, 1.0
	s_delay_alu instid0(VALU_DEP_1) | instskip(SKIP_1) | instid1(TRANS32_DEP_1)
	v_rcp_f32_e32 v143, v137
	v_nop
	v_fma_f32 v144, -v137, v143, 1.0
	s_delay_alu instid0(VALU_DEP_1) | instskip(SKIP_1) | instid1(VALU_DEP_1)
	v_fmac_f32_e32 v143, v144, v143
	v_div_scale_f32 v144, vcc_lo, 1.0, v136, 1.0
	v_mul_f32_e32 v145, v144, v143
	s_delay_alu instid0(VALU_DEP_1) | instskip(NEXT) | instid1(VALU_DEP_1)
	v_fma_f32 v146, -v137, v145, v144
	v_fmac_f32_e32 v145, v146, v143
	s_delay_alu instid0(VALU_DEP_1) | instskip(NEXT) | instid1(VALU_DEP_1)
	v_fma_f32 v137, -v137, v145, v144
	v_div_fmas_f32 v137, v137, v143, v145
	s_delay_alu instid0(VALU_DEP_1) | instskip(NEXT) | instid1(VALU_DEP_1)
	v_div_fixup_f32 v136, v137, v136, 1.0
	v_mul_f32_e64 v137, v135, -v136
.LBB126_240:
	s_or_b32 exec_lo, exec_lo, s1
.LBB126_241:
	s_delay_alu instid0(SALU_CYCLE_1) | instskip(NEXT) | instid1(SALU_CYCLE_1)
	s_or_b32 exec_lo, exec_lo, s0
	s_mov_b32 s0, exec_lo
	v_cmpx_ne_u32_e64 v142, v134
	s_xor_b32 s0, exec_lo, s0
	s_cbranch_execz .LBB126_247
; %bb.242:
	s_mov_b32 s1, exec_lo
	v_cmpx_eq_u32_e32 11, v142
	s_cbranch_execz .LBB126_246
; %bb.243:
	v_cmp_ne_u32_e32 vcc_lo, 11, v134
	s_xor_b32 s12, s16, -1
	s_delay_alu instid0(SALU_CYCLE_1) | instskip(NEXT) | instid1(SALU_CYCLE_1)
	s_and_b32 s13, s12, vcc_lo
	s_and_saveexec_b32 s12, s13
	s_cbranch_execz .LBB126_245
; %bb.244:
	v_ashrrev_i32_e32 v135, 31, v134
	s_delay_alu instid0(VALU_DEP_1)
	v_lshl_add_u64 v[142:143], v[134:135], 2, v[4:5]
	s_clause 0x1
	global_load_b32 v135, v[142:143], off
	global_load_b32 v141, v[4:5], off offset:44
	s_wait_loadcnt 0x1
	global_store_b32 v[4:5], v135, off offset:44
	s_wait_loadcnt 0x0
	global_store_b32 v[142:143], v141, off
.LBB126_245:
	s_wait_xcnt 0x0
	s_or_b32 exec_lo, exec_lo, s12
	v_dual_mov_b32 v142, v134 :: v_dual_mov_b32 v141, v134
.LBB126_246:
	s_or_b32 exec_lo, exec_lo, s1
.LBB126_247:
	s_and_not1_saveexec_b32 s0, s0
	s_cbranch_execz .LBB126_249
; %bb.248:
	v_dual_mov_b32 v134, v110 :: v_dual_mov_b32 v135, v111
	v_dual_mov_b32 v142, v106 :: v_dual_mov_b32 v143, v107
	ds_store_2addr_b64 v138, v[134:135], v[142:143] offset0:12 offset1:13
	v_dual_mov_b32 v134, v108 :: v_dual_mov_b32 v135, v109
	v_dual_mov_b32 v142, v40 :: v_dual_mov_b32 v143, v41
	ds_store_2addr_b64 v138, v[134:135], v[142:143] offset0:14 offset1:15
	;; [unrolled: 3-line block ×25, first 2 shown]
	v_dual_mov_b32 v134, v10 :: v_dual_mov_b32 v135, v11
	v_mov_b32_e32 v142, 11
	ds_store_2addr_b64 v138, v[134:135], v[132:133] offset0:62 offset1:63
.LBB126_249:
	s_or_b32 exec_lo, exec_lo, s0
	s_delay_alu instid0(SALU_CYCLE_1)
	s_mov_b32 s0, exec_lo
	s_wait_storecnt_dscnt 0x0
	s_barrier_signal -1
	s_barrier_wait -1
	v_cmpx_lt_i32_e32 11, v142
	s_cbranch_execz .LBB126_251
; %bb.250:
	v_pk_mul_f32 v[144:145], v[136:137], v[50:51] op_sel:[1,1] op_sel_hi:[0,1]
	s_delay_alu instid0(VALU_DEP_1)
	v_pk_fma_f32 v[134:135], v[136:137], v[50:51], v[144:145] op_sel_hi:[1,0,1] neg_lo:[0,0,1] neg_hi:[0,0,1]
	v_pk_fma_f32 v[136:137], v[136:137], v[50:51], v[144:145] op_sel_hi:[1,0,1]
	ds_load_2addr_b64 v[144:147], v138 offset0:12 offset1:13
	v_dual_mov_b32 v50, v134 :: v_dual_mov_b32 v51, v137
	s_wait_dscnt 0x0
	v_pk_mul_f32 v[148:149], v[144:145], v[136:137] op_sel:[0,1]
	s_delay_alu instid0(VALU_DEP_1) | instskip(SKIP_1) | instid1(VALU_DEP_1)
	v_pk_fma_f32 v[150:151], v[144:145], v[134:135], v[148:149] op_sel:[0,0,1] op_sel_hi:[1,1,0] neg_lo:[0,0,1] neg_hi:[0,0,1]
	v_pk_fma_f32 v[144:145], v[144:145], v[134:135], v[148:149] op_sel:[0,0,1] op_sel_hi:[1,0,0]
	v_mov_b32_e32 v151, v145
	v_pk_mul_f32 v[144:145], v[146:147], v[136:137] op_sel:[0,1]
	s_delay_alu instid0(VALU_DEP_1) | instskip(SKIP_1) | instid1(VALU_DEP_1)
	v_pk_fma_f32 v[148:149], v[146:147], v[134:135], v[144:145] op_sel:[0,0,1] op_sel_hi:[1,1,0] neg_lo:[0,0,1] neg_hi:[0,0,1]
	v_pk_fma_f32 v[144:145], v[146:147], v[134:135], v[144:145] op_sel:[0,0,1] op_sel_hi:[1,0,0]
	v_mov_b32_e32 v149, v145
	ds_load_2addr_b64 v[144:147], v138 offset0:14 offset1:15
	v_pk_add_f32 v[110:111], v[110:111], v[150:151] neg_lo:[0,1] neg_hi:[0,1]
	v_pk_add_f32 v[106:107], v[106:107], v[148:149] neg_lo:[0,1] neg_hi:[0,1]
	s_wait_dscnt 0x0
	v_pk_mul_f32 v[148:149], v[144:145], v[136:137] op_sel:[0,1]
	s_delay_alu instid0(VALU_DEP_1) | instskip(SKIP_2) | instid1(VALU_DEP_2)
	v_pk_fma_f32 v[150:151], v[144:145], v[134:135], v[148:149] op_sel:[0,0,1] op_sel_hi:[1,1,0] neg_lo:[0,0,1] neg_hi:[0,0,1]
	v_pk_fma_f32 v[144:145], v[144:145], v[134:135], v[148:149] op_sel:[0,0,1] op_sel_hi:[1,0,0]
	v_dual_mul_f32 v148, v147, v137 :: v_dual_mov_b32 v144, v147
	v_dual_mov_b32 v151, v145 :: v_dual_mov_b32 v145, v146
	s_delay_alu instid0(VALU_DEP_2) | instskip(SKIP_1) | instid1(VALU_DEP_3)
	v_pk_fma_f32 v[148:149], v[146:147], v[50:51], v[148:149] op_sel_hi:[1,1,0] neg_lo:[0,0,1] neg_hi:[0,0,1]
	v_mul_f32_e32 v146, v147, v134
	v_pk_add_f32 v[108:109], v[108:109], v[150:151] neg_lo:[0,1] neg_hi:[0,1]
	s_delay_alu instid0(VALU_DEP_2) | instskip(NEXT) | instid1(VALU_DEP_1)
	v_pk_fma_f32 v[144:145], v[144:145], v[50:51], v[146:147] op_sel_hi:[1,1,0]
	v_mov_b32_e32 v149, v145
	ds_load_2addr_b64 v[144:147], v138 offset0:16 offset1:17
	v_pk_add_f32 v[40:41], v[40:41], v[148:149] neg_lo:[0,1] neg_hi:[0,1]
	s_wait_dscnt 0x0
	v_pk_mul_f32 v[148:149], v[144:145], v[136:137] op_sel:[0,1]
	s_delay_alu instid0(VALU_DEP_1) | instskip(SKIP_1) | instid1(VALU_DEP_1)
	v_pk_fma_f32 v[150:151], v[144:145], v[134:135], v[148:149] op_sel:[0,0,1] op_sel_hi:[1,1,0] neg_lo:[0,0,1] neg_hi:[0,0,1]
	v_pk_fma_f32 v[144:145], v[144:145], v[134:135], v[148:149] op_sel:[0,0,1] op_sel_hi:[1,0,0]
	v_mov_b32_e32 v151, v145
	v_pk_mul_f32 v[144:145], v[146:147], v[136:137] op_sel:[0,1]
	s_delay_alu instid0(VALU_DEP_1) | instskip(SKIP_1) | instid1(VALU_DEP_1)
	v_pk_fma_f32 v[148:149], v[146:147], v[134:135], v[144:145] op_sel:[0,0,1] op_sel_hi:[1,1,0] neg_lo:[0,0,1] neg_hi:[0,0,1]
	v_pk_fma_f32 v[144:145], v[146:147], v[134:135], v[144:145] op_sel:[0,0,1] op_sel_hi:[1,0,0]
	v_mov_b32_e32 v149, v145
	ds_load_2addr_b64 v[144:147], v138 offset0:18 offset1:19
	v_pk_add_f32 v[104:105], v[104:105], v[150:151] neg_lo:[0,1] neg_hi:[0,1]
	v_pk_add_f32 v[100:101], v[100:101], v[148:149] neg_lo:[0,1] neg_hi:[0,1]
	s_wait_dscnt 0x0
	v_pk_mul_f32 v[148:149], v[144:145], v[136:137] op_sel:[0,1]
	s_delay_alu instid0(VALU_DEP_1) | instskip(SKIP_1) | instid1(VALU_DEP_1)
	v_pk_fma_f32 v[150:151], v[144:145], v[134:135], v[148:149] op_sel:[0,0,1] op_sel_hi:[1,1,0] neg_lo:[0,0,1] neg_hi:[0,0,1]
	v_pk_fma_f32 v[144:145], v[144:145], v[134:135], v[148:149] op_sel:[0,0,1] op_sel_hi:[1,0,0]
	v_mov_b32_e32 v151, v145
	v_pk_mul_f32 v[144:145], v[146:147], v[136:137] op_sel:[0,1]
	s_delay_alu instid0(VALU_DEP_1) | instskip(SKIP_1) | instid1(VALU_DEP_1)
	v_pk_fma_f32 v[148:149], v[146:147], v[134:135], v[144:145] op_sel:[0,0,1] op_sel_hi:[1,1,0] neg_lo:[0,0,1] neg_hi:[0,0,1]
	v_pk_fma_f32 v[144:145], v[146:147], v[134:135], v[144:145] op_sel:[0,0,1] op_sel_hi:[1,0,0]
	v_mov_b32_e32 v149, v145
	ds_load_2addr_b64 v[144:147], v138 offset0:20 offset1:21
	v_pk_add_f32 v[102:103], v[102:103], v[150:151] neg_lo:[0,1] neg_hi:[0,1]
	v_pk_add_f32 v[38:39], v[38:39], v[148:149] neg_lo:[0,1] neg_hi:[0,1]
	s_wait_dscnt 0x0
	v_dual_mul_f32 v148, v145, v137 :: v_dual_mul_f32 v150, v145, v134
	s_delay_alu instid0(VALU_DEP_1) | instskip(NEXT) | instid1(VALU_DEP_2)
	v_pk_fma_f32 v[148:149], v[144:145], v[50:51], v[148:149] op_sel_hi:[1,1,0] neg_lo:[0,0,1] neg_hi:[0,0,1]
	v_pk_fma_f32 v[144:145], v[144:145], v[50:51], v[150:151] op_sel:[1,0,0] op_sel_hi:[0,1,0]
	s_delay_alu instid0(VALU_DEP_1) | instskip(SKIP_1) | instid1(VALU_DEP_2)
	v_mov_b32_e32 v149, v145
	v_pk_mul_f32 v[144:145], v[146:147], v[136:137] op_sel:[0,1]
	v_pk_add_f32 v[98:99], v[98:99], v[148:149] neg_lo:[0,1] neg_hi:[0,1]
	s_delay_alu instid0(VALU_DEP_2) | instskip(SKIP_1) | instid1(VALU_DEP_1)
	v_pk_fma_f32 v[148:149], v[146:147], v[134:135], v[144:145] op_sel:[0,0,1] op_sel_hi:[1,1,0] neg_lo:[0,0,1] neg_hi:[0,0,1]
	v_pk_fma_f32 v[144:145], v[146:147], v[134:135], v[144:145] op_sel:[0,0,1] op_sel_hi:[1,0,0]
	v_mov_b32_e32 v149, v145
	ds_load_2addr_b64 v[144:147], v138 offset0:22 offset1:23
	v_pk_add_f32 v[94:95], v[94:95], v[148:149] neg_lo:[0,1] neg_hi:[0,1]
	s_wait_dscnt 0x0
	v_pk_mul_f32 v[148:149], v[144:145], v[136:137] op_sel:[0,1]
	s_delay_alu instid0(VALU_DEP_1) | instskip(SKIP_1) | instid1(VALU_DEP_1)
	v_pk_fma_f32 v[150:151], v[144:145], v[134:135], v[148:149] op_sel:[0,0,1] op_sel_hi:[1,1,0] neg_lo:[0,0,1] neg_hi:[0,0,1]
	v_pk_fma_f32 v[144:145], v[144:145], v[134:135], v[148:149] op_sel:[0,0,1] op_sel_hi:[1,0,0]
	v_mov_b32_e32 v151, v145
	v_pk_mul_f32 v[144:145], v[146:147], v[136:137] op_sel:[0,1]
	s_delay_alu instid0(VALU_DEP_2) | instskip(NEXT) | instid1(VALU_DEP_2)
	v_pk_add_f32 v[96:97], v[96:97], v[150:151] neg_lo:[0,1] neg_hi:[0,1]
	v_pk_fma_f32 v[148:149], v[146:147], v[134:135], v[144:145] op_sel:[0,0,1] op_sel_hi:[1,1,0] neg_lo:[0,0,1] neg_hi:[0,0,1]
	v_pk_fma_f32 v[144:145], v[146:147], v[134:135], v[144:145] op_sel:[0,0,1] op_sel_hi:[1,0,0]
	s_delay_alu instid0(VALU_DEP_1) | instskip(SKIP_4) | instid1(VALU_DEP_1)
	v_mov_b32_e32 v149, v145
	ds_load_2addr_b64 v[144:147], v138 offset0:24 offset1:25
	v_pk_add_f32 v[36:37], v[36:37], v[148:149] neg_lo:[0,1] neg_hi:[0,1]
	s_wait_dscnt 0x0
	v_pk_mul_f32 v[148:149], v[144:145], v[136:137] op_sel:[0,1]
	v_pk_fma_f32 v[150:151], v[144:145], v[134:135], v[148:149] op_sel:[0,0,1] op_sel_hi:[1,1,0] neg_lo:[0,0,1] neg_hi:[0,0,1]
	v_pk_fma_f32 v[144:145], v[144:145], v[134:135], v[148:149] op_sel:[0,0,1] op_sel_hi:[1,0,0]
	v_dual_mul_f32 v148, v147, v137 :: v_dual_mov_b32 v144, v147
	s_delay_alu instid0(VALU_DEP_2) | instskip(NEXT) | instid1(VALU_DEP_2)
	v_dual_mov_b32 v151, v145 :: v_dual_mov_b32 v145, v146
	v_pk_fma_f32 v[148:149], v[146:147], v[50:51], v[148:149] op_sel_hi:[1,1,0] neg_lo:[0,0,1] neg_hi:[0,0,1]
	v_mul_f32_e32 v146, v147, v134
	s_delay_alu instid0(VALU_DEP_3) | instskip(NEXT) | instid1(VALU_DEP_2)
	v_pk_add_f32 v[92:93], v[92:93], v[150:151] neg_lo:[0,1] neg_hi:[0,1]
	v_pk_fma_f32 v[144:145], v[144:145], v[50:51], v[146:147] op_sel_hi:[1,1,0]
	s_delay_alu instid0(VALU_DEP_1) | instskip(SKIP_4) | instid1(VALU_DEP_1)
	v_mov_b32_e32 v149, v145
	ds_load_2addr_b64 v[144:147], v138 offset0:26 offset1:27
	v_pk_add_f32 v[88:89], v[88:89], v[148:149] neg_lo:[0,1] neg_hi:[0,1]
	s_wait_dscnt 0x0
	v_pk_mul_f32 v[148:149], v[144:145], v[136:137] op_sel:[0,1]
	v_pk_fma_f32 v[150:151], v[144:145], v[134:135], v[148:149] op_sel:[0,0,1] op_sel_hi:[1,1,0] neg_lo:[0,0,1] neg_hi:[0,0,1]
	v_pk_fma_f32 v[144:145], v[144:145], v[134:135], v[148:149] op_sel:[0,0,1] op_sel_hi:[1,0,0]
	s_delay_alu instid0(VALU_DEP_1) | instskip(SKIP_1) | instid1(VALU_DEP_1)
	v_mov_b32_e32 v151, v145
	v_pk_mul_f32 v[144:145], v[146:147], v[136:137] op_sel:[0,1]
	v_pk_fma_f32 v[148:149], v[146:147], v[134:135], v[144:145] op_sel:[0,0,1] op_sel_hi:[1,1,0] neg_lo:[0,0,1] neg_hi:[0,0,1]
	v_pk_fma_f32 v[144:145], v[146:147], v[134:135], v[144:145] op_sel:[0,0,1] op_sel_hi:[1,0,0]
	s_delay_alu instid0(VALU_DEP_1)
	v_mov_b32_e32 v149, v145
	ds_load_2addr_b64 v[144:147], v138 offset0:28 offset1:29
	v_pk_add_f32 v[90:91], v[90:91], v[150:151] neg_lo:[0,1] neg_hi:[0,1]
	v_pk_add_f32 v[34:35], v[34:35], v[148:149] neg_lo:[0,1] neg_hi:[0,1]
	s_wait_dscnt 0x0
	v_pk_mul_f32 v[148:149], v[144:145], v[136:137] op_sel:[0,1]
	s_delay_alu instid0(VALU_DEP_1) | instskip(SKIP_1) | instid1(VALU_DEP_1)
	v_pk_fma_f32 v[150:151], v[144:145], v[134:135], v[148:149] op_sel:[0,0,1] op_sel_hi:[1,1,0] neg_lo:[0,0,1] neg_hi:[0,0,1]
	v_pk_fma_f32 v[144:145], v[144:145], v[134:135], v[148:149] op_sel:[0,0,1] op_sel_hi:[1,0,0]
	v_mov_b32_e32 v151, v145
	v_pk_mul_f32 v[144:145], v[146:147], v[136:137] op_sel:[0,1]
	s_delay_alu instid0(VALU_DEP_1) | instskip(SKIP_1) | instid1(VALU_DEP_1)
	v_pk_fma_f32 v[148:149], v[146:147], v[134:135], v[144:145] op_sel:[0,0,1] op_sel_hi:[1,1,0] neg_lo:[0,0,1] neg_hi:[0,0,1]
	v_pk_fma_f32 v[144:145], v[146:147], v[134:135], v[144:145] op_sel:[0,0,1] op_sel_hi:[1,0,0]
	v_mov_b32_e32 v149, v145
	ds_load_2addr_b64 v[144:147], v138 offset0:30 offset1:31
	v_pk_add_f32 v[86:87], v[86:87], v[150:151] neg_lo:[0,1] neg_hi:[0,1]
	v_pk_add_f32 v[82:83], v[82:83], v[148:149] neg_lo:[0,1] neg_hi:[0,1]
	s_wait_dscnt 0x0
	v_dual_mul_f32 v148, v145, v137 :: v_dual_mul_f32 v150, v145, v134
	s_delay_alu instid0(VALU_DEP_1) | instskip(NEXT) | instid1(VALU_DEP_2)
	v_pk_fma_f32 v[148:149], v[144:145], v[50:51], v[148:149] op_sel_hi:[1,1,0] neg_lo:[0,0,1] neg_hi:[0,0,1]
	v_pk_fma_f32 v[144:145], v[144:145], v[50:51], v[150:151] op_sel:[1,0,0] op_sel_hi:[0,1,0]
	s_delay_alu instid0(VALU_DEP_1) | instskip(SKIP_1) | instid1(VALU_DEP_2)
	v_mov_b32_e32 v149, v145
	v_pk_mul_f32 v[144:145], v[146:147], v[136:137] op_sel:[0,1]
	v_pk_add_f32 v[84:85], v[84:85], v[148:149] neg_lo:[0,1] neg_hi:[0,1]
	s_delay_alu instid0(VALU_DEP_2) | instskip(SKIP_1) | instid1(VALU_DEP_1)
	v_pk_fma_f32 v[148:149], v[146:147], v[134:135], v[144:145] op_sel:[0,0,1] op_sel_hi:[1,1,0] neg_lo:[0,0,1] neg_hi:[0,0,1]
	v_pk_fma_f32 v[144:145], v[146:147], v[134:135], v[144:145] op_sel:[0,0,1] op_sel_hi:[1,0,0]
	v_mov_b32_e32 v149, v145
	ds_load_2addr_b64 v[144:147], v138 offset0:32 offset1:33
	v_pk_add_f32 v[26:27], v[26:27], v[148:149] neg_lo:[0,1] neg_hi:[0,1]
	s_wait_dscnt 0x0
	v_pk_mul_f32 v[148:149], v[144:145], v[136:137] op_sel:[0,1]
	s_delay_alu instid0(VALU_DEP_1) | instskip(SKIP_1) | instid1(VALU_DEP_1)
	v_pk_fma_f32 v[150:151], v[144:145], v[134:135], v[148:149] op_sel:[0,0,1] op_sel_hi:[1,1,0] neg_lo:[0,0,1] neg_hi:[0,0,1]
	v_pk_fma_f32 v[144:145], v[144:145], v[134:135], v[148:149] op_sel:[0,0,1] op_sel_hi:[1,0,0]
	v_mov_b32_e32 v151, v145
	v_pk_mul_f32 v[144:145], v[146:147], v[136:137] op_sel:[0,1]
	s_delay_alu instid0(VALU_DEP_2) | instskip(NEXT) | instid1(VALU_DEP_2)
	v_pk_add_f32 v[80:81], v[80:81], v[150:151] neg_lo:[0,1] neg_hi:[0,1]
	v_pk_fma_f32 v[148:149], v[146:147], v[134:135], v[144:145] op_sel:[0,0,1] op_sel_hi:[1,1,0] neg_lo:[0,0,1] neg_hi:[0,0,1]
	v_pk_fma_f32 v[144:145], v[146:147], v[134:135], v[144:145] op_sel:[0,0,1] op_sel_hi:[1,0,0]
	s_delay_alu instid0(VALU_DEP_1) | instskip(SKIP_4) | instid1(VALU_DEP_1)
	v_mov_b32_e32 v149, v145
	ds_load_2addr_b64 v[144:147], v138 offset0:34 offset1:35
	v_pk_add_f32 v[76:77], v[76:77], v[148:149] neg_lo:[0,1] neg_hi:[0,1]
	s_wait_dscnt 0x0
	v_pk_mul_f32 v[148:149], v[144:145], v[136:137] op_sel:[0,1]
	v_pk_fma_f32 v[150:151], v[144:145], v[134:135], v[148:149] op_sel:[0,0,1] op_sel_hi:[1,1,0] neg_lo:[0,0,1] neg_hi:[0,0,1]
	v_pk_fma_f32 v[144:145], v[144:145], v[134:135], v[148:149] op_sel:[0,0,1] op_sel_hi:[1,0,0]
	v_dual_mul_f32 v148, v147, v137 :: v_dual_mov_b32 v144, v147
	s_delay_alu instid0(VALU_DEP_2) | instskip(NEXT) | instid1(VALU_DEP_2)
	v_dual_mov_b32 v151, v145 :: v_dual_mov_b32 v145, v146
	v_pk_fma_f32 v[148:149], v[146:147], v[50:51], v[148:149] op_sel_hi:[1,1,0] neg_lo:[0,0,1] neg_hi:[0,0,1]
	v_mul_f32_e32 v146, v147, v134
	s_delay_alu instid0(VALU_DEP_3) | instskip(NEXT) | instid1(VALU_DEP_2)
	v_pk_add_f32 v[78:79], v[78:79], v[150:151] neg_lo:[0,1] neg_hi:[0,1]
	v_pk_fma_f32 v[144:145], v[144:145], v[50:51], v[146:147] op_sel_hi:[1,1,0]
	s_delay_alu instid0(VALU_DEP_1) | instskip(SKIP_4) | instid1(VALU_DEP_1)
	v_mov_b32_e32 v149, v145
	ds_load_2addr_b64 v[144:147], v138 offset0:36 offset1:37
	v_pk_add_f32 v[24:25], v[24:25], v[148:149] neg_lo:[0,1] neg_hi:[0,1]
	s_wait_dscnt 0x0
	v_pk_mul_f32 v[148:149], v[144:145], v[136:137] op_sel:[0,1]
	v_pk_fma_f32 v[150:151], v[144:145], v[134:135], v[148:149] op_sel:[0,0,1] op_sel_hi:[1,1,0] neg_lo:[0,0,1] neg_hi:[0,0,1]
	v_pk_fma_f32 v[144:145], v[144:145], v[134:135], v[148:149] op_sel:[0,0,1] op_sel_hi:[1,0,0]
	s_delay_alu instid0(VALU_DEP_1) | instskip(SKIP_1) | instid1(VALU_DEP_1)
	v_mov_b32_e32 v151, v145
	v_pk_mul_f32 v[144:145], v[146:147], v[136:137] op_sel:[0,1]
	v_pk_fma_f32 v[148:149], v[146:147], v[134:135], v[144:145] op_sel:[0,0,1] op_sel_hi:[1,1,0] neg_lo:[0,0,1] neg_hi:[0,0,1]
	v_pk_fma_f32 v[144:145], v[146:147], v[134:135], v[144:145] op_sel:[0,0,1] op_sel_hi:[1,0,0]
	s_delay_alu instid0(VALU_DEP_1)
	v_mov_b32_e32 v149, v145
	ds_load_2addr_b64 v[144:147], v138 offset0:38 offset1:39
	v_pk_add_f32 v[74:75], v[74:75], v[150:151] neg_lo:[0,1] neg_hi:[0,1]
	v_pk_add_f32 v[70:71], v[70:71], v[148:149] neg_lo:[0,1] neg_hi:[0,1]
	s_wait_dscnt 0x0
	v_pk_mul_f32 v[148:149], v[144:145], v[136:137] op_sel:[0,1]
	s_delay_alu instid0(VALU_DEP_1) | instskip(SKIP_1) | instid1(VALU_DEP_1)
	v_pk_fma_f32 v[150:151], v[144:145], v[134:135], v[148:149] op_sel:[0,0,1] op_sel_hi:[1,1,0] neg_lo:[0,0,1] neg_hi:[0,0,1]
	v_pk_fma_f32 v[144:145], v[144:145], v[134:135], v[148:149] op_sel:[0,0,1] op_sel_hi:[1,0,0]
	v_mov_b32_e32 v151, v145
	v_pk_mul_f32 v[144:145], v[146:147], v[136:137] op_sel:[0,1]
	s_delay_alu instid0(VALU_DEP_1) | instskip(SKIP_1) | instid1(VALU_DEP_1)
	v_pk_fma_f32 v[148:149], v[146:147], v[134:135], v[144:145] op_sel:[0,0,1] op_sel_hi:[1,1,0] neg_lo:[0,0,1] neg_hi:[0,0,1]
	v_pk_fma_f32 v[144:145], v[146:147], v[134:135], v[144:145] op_sel:[0,0,1] op_sel_hi:[1,0,0]
	v_mov_b32_e32 v149, v145
	ds_load_2addr_b64 v[144:147], v138 offset0:40 offset1:41
	v_pk_add_f32 v[72:73], v[72:73], v[150:151] neg_lo:[0,1] neg_hi:[0,1]
	v_pk_add_f32 v[22:23], v[22:23], v[148:149] neg_lo:[0,1] neg_hi:[0,1]
	s_wait_dscnt 0x0
	v_dual_mul_f32 v148, v145, v137 :: v_dual_mul_f32 v150, v145, v134
	s_delay_alu instid0(VALU_DEP_1) | instskip(NEXT) | instid1(VALU_DEP_2)
	v_pk_fma_f32 v[148:149], v[144:145], v[50:51], v[148:149] op_sel_hi:[1,1,0] neg_lo:[0,0,1] neg_hi:[0,0,1]
	v_pk_fma_f32 v[144:145], v[144:145], v[50:51], v[150:151] op_sel:[1,0,0] op_sel_hi:[0,1,0]
	s_delay_alu instid0(VALU_DEP_1) | instskip(SKIP_1) | instid1(VALU_DEP_2)
	v_mov_b32_e32 v149, v145
	v_pk_mul_f32 v[144:145], v[146:147], v[136:137] op_sel:[0,1]
	v_pk_add_f32 v[68:69], v[68:69], v[148:149] neg_lo:[0,1] neg_hi:[0,1]
	s_delay_alu instid0(VALU_DEP_2) | instskip(SKIP_1) | instid1(VALU_DEP_1)
	v_pk_fma_f32 v[148:149], v[146:147], v[134:135], v[144:145] op_sel:[0,0,1] op_sel_hi:[1,1,0] neg_lo:[0,0,1] neg_hi:[0,0,1]
	v_pk_fma_f32 v[144:145], v[146:147], v[134:135], v[144:145] op_sel:[0,0,1] op_sel_hi:[1,0,0]
	v_mov_b32_e32 v149, v145
	ds_load_2addr_b64 v[144:147], v138 offset0:42 offset1:43
	v_pk_add_f32 v[64:65], v[64:65], v[148:149] neg_lo:[0,1] neg_hi:[0,1]
	s_wait_dscnt 0x0
	v_pk_mul_f32 v[148:149], v[144:145], v[136:137] op_sel:[0,1]
	s_delay_alu instid0(VALU_DEP_1) | instskip(SKIP_1) | instid1(VALU_DEP_1)
	v_pk_fma_f32 v[150:151], v[144:145], v[134:135], v[148:149] op_sel:[0,0,1] op_sel_hi:[1,1,0] neg_lo:[0,0,1] neg_hi:[0,0,1]
	v_pk_fma_f32 v[144:145], v[144:145], v[134:135], v[148:149] op_sel:[0,0,1] op_sel_hi:[1,0,0]
	v_mov_b32_e32 v151, v145
	v_pk_mul_f32 v[144:145], v[146:147], v[136:137] op_sel:[0,1]
	s_delay_alu instid0(VALU_DEP_2) | instskip(NEXT) | instid1(VALU_DEP_2)
	v_pk_add_f32 v[66:67], v[66:67], v[150:151] neg_lo:[0,1] neg_hi:[0,1]
	v_pk_fma_f32 v[148:149], v[146:147], v[134:135], v[144:145] op_sel:[0,0,1] op_sel_hi:[1,1,0] neg_lo:[0,0,1] neg_hi:[0,0,1]
	v_pk_fma_f32 v[144:145], v[146:147], v[134:135], v[144:145] op_sel:[0,0,1] op_sel_hi:[1,0,0]
	s_delay_alu instid0(VALU_DEP_1) | instskip(SKIP_4) | instid1(VALU_DEP_1)
	v_mov_b32_e32 v149, v145
	ds_load_2addr_b64 v[144:147], v138 offset0:44 offset1:45
	v_pk_add_f32 v[18:19], v[18:19], v[148:149] neg_lo:[0,1] neg_hi:[0,1]
	s_wait_dscnt 0x0
	v_pk_mul_f32 v[148:149], v[144:145], v[136:137] op_sel:[0,1]
	v_pk_fma_f32 v[150:151], v[144:145], v[134:135], v[148:149] op_sel:[0,0,1] op_sel_hi:[1,1,0] neg_lo:[0,0,1] neg_hi:[0,0,1]
	v_pk_fma_f32 v[144:145], v[144:145], v[134:135], v[148:149] op_sel:[0,0,1] op_sel_hi:[1,0,0]
	v_dual_mul_f32 v148, v147, v137 :: v_dual_mov_b32 v144, v147
	s_delay_alu instid0(VALU_DEP_2) | instskip(NEXT) | instid1(VALU_DEP_2)
	v_dual_mov_b32 v151, v145 :: v_dual_mov_b32 v145, v146
	v_pk_fma_f32 v[148:149], v[146:147], v[50:51], v[148:149] op_sel_hi:[1,1,0] neg_lo:[0,0,1] neg_hi:[0,0,1]
	v_mul_f32_e32 v146, v147, v134
	s_delay_alu instid0(VALU_DEP_3) | instskip(NEXT) | instid1(VALU_DEP_2)
	v_pk_add_f32 v[60:61], v[60:61], v[150:151] neg_lo:[0,1] neg_hi:[0,1]
	v_pk_fma_f32 v[144:145], v[144:145], v[50:51], v[146:147] op_sel_hi:[1,1,0]
	s_delay_alu instid0(VALU_DEP_1) | instskip(SKIP_4) | instid1(VALU_DEP_1)
	v_mov_b32_e32 v149, v145
	ds_load_2addr_b64 v[144:147], v138 offset0:46 offset1:47
	v_pk_add_f32 v[56:57], v[56:57], v[148:149] neg_lo:[0,1] neg_hi:[0,1]
	s_wait_dscnt 0x0
	v_pk_mul_f32 v[148:149], v[144:145], v[136:137] op_sel:[0,1]
	v_pk_fma_f32 v[150:151], v[144:145], v[134:135], v[148:149] op_sel:[0,0,1] op_sel_hi:[1,1,0] neg_lo:[0,0,1] neg_hi:[0,0,1]
	v_pk_fma_f32 v[144:145], v[144:145], v[134:135], v[148:149] op_sel:[0,0,1] op_sel_hi:[1,0,0]
	s_delay_alu instid0(VALU_DEP_1) | instskip(SKIP_1) | instid1(VALU_DEP_1)
	v_mov_b32_e32 v151, v145
	v_pk_mul_f32 v[144:145], v[146:147], v[136:137] op_sel:[0,1]
	v_pk_fma_f32 v[148:149], v[146:147], v[134:135], v[144:145] op_sel:[0,0,1] op_sel_hi:[1,1,0] neg_lo:[0,0,1] neg_hi:[0,0,1]
	v_pk_fma_f32 v[144:145], v[146:147], v[134:135], v[144:145] op_sel:[0,0,1] op_sel_hi:[1,0,0]
	s_delay_alu instid0(VALU_DEP_1)
	v_mov_b32_e32 v149, v145
	ds_load_2addr_b64 v[144:147], v138 offset0:48 offset1:49
	v_pk_add_f32 v[58:59], v[58:59], v[150:151] neg_lo:[0,1] neg_hi:[0,1]
	v_pk_add_f32 v[12:13], v[12:13], v[148:149] neg_lo:[0,1] neg_hi:[0,1]
	s_wait_dscnt 0x0
	v_pk_mul_f32 v[148:149], v[144:145], v[136:137] op_sel:[0,1]
	s_delay_alu instid0(VALU_DEP_1) | instskip(SKIP_1) | instid1(VALU_DEP_1)
	v_pk_fma_f32 v[150:151], v[144:145], v[134:135], v[148:149] op_sel:[0,0,1] op_sel_hi:[1,1,0] neg_lo:[0,0,1] neg_hi:[0,0,1]
	v_pk_fma_f32 v[144:145], v[144:145], v[134:135], v[148:149] op_sel:[0,0,1] op_sel_hi:[1,0,0]
	v_mov_b32_e32 v151, v145
	v_pk_mul_f32 v[144:145], v[146:147], v[136:137] op_sel:[0,1]
	s_delay_alu instid0(VALU_DEP_1) | instskip(SKIP_1) | instid1(VALU_DEP_1)
	v_pk_fma_f32 v[148:149], v[146:147], v[134:135], v[144:145] op_sel:[0,0,1] op_sel_hi:[1,1,0] neg_lo:[0,0,1] neg_hi:[0,0,1]
	v_pk_fma_f32 v[144:145], v[146:147], v[134:135], v[144:145] op_sel:[0,0,1] op_sel_hi:[1,0,0]
	v_mov_b32_e32 v149, v145
	ds_load_2addr_b64 v[144:147], v138 offset0:50 offset1:51
	v_pk_add_f32 v[54:55], v[54:55], v[150:151] neg_lo:[0,1] neg_hi:[0,1]
	v_pk_add_f32 v[52:53], v[52:53], v[148:149] neg_lo:[0,1] neg_hi:[0,1]
	s_wait_dscnt 0x0
	v_dual_mul_f32 v148, v145, v137 :: v_dual_mul_f32 v150, v145, v134
	s_delay_alu instid0(VALU_DEP_1) | instskip(NEXT) | instid1(VALU_DEP_2)
	v_pk_fma_f32 v[148:149], v[144:145], v[50:51], v[148:149] op_sel_hi:[1,1,0] neg_lo:[0,0,1] neg_hi:[0,0,1]
	v_pk_fma_f32 v[144:145], v[144:145], v[50:51], v[150:151] op_sel:[1,0,0] op_sel_hi:[0,1,0]
	s_delay_alu instid0(VALU_DEP_1) | instskip(SKIP_1) | instid1(VALU_DEP_2)
	v_mov_b32_e32 v149, v145
	v_pk_mul_f32 v[144:145], v[146:147], v[136:137] op_sel:[0,1]
	v_pk_add_f32 v[62:63], v[62:63], v[148:149] neg_lo:[0,1] neg_hi:[0,1]
	s_delay_alu instid0(VALU_DEP_2) | instskip(SKIP_1) | instid1(VALU_DEP_1)
	v_pk_fma_f32 v[148:149], v[146:147], v[134:135], v[144:145] op_sel:[0,0,1] op_sel_hi:[1,1,0] neg_lo:[0,0,1] neg_hi:[0,0,1]
	v_pk_fma_f32 v[144:145], v[146:147], v[134:135], v[144:145] op_sel:[0,0,1] op_sel_hi:[1,0,0]
	v_mov_b32_e32 v149, v145
	ds_load_2addr_b64 v[144:147], v138 offset0:52 offset1:53
	v_pk_add_f32 v[16:17], v[16:17], v[148:149] neg_lo:[0,1] neg_hi:[0,1]
	s_wait_dscnt 0x0
	v_pk_mul_f32 v[148:149], v[144:145], v[136:137] op_sel:[0,1]
	s_delay_alu instid0(VALU_DEP_1) | instskip(SKIP_1) | instid1(VALU_DEP_1)
	v_pk_fma_f32 v[150:151], v[144:145], v[134:135], v[148:149] op_sel:[0,0,1] op_sel_hi:[1,1,0] neg_lo:[0,0,1] neg_hi:[0,0,1]
	v_pk_fma_f32 v[144:145], v[144:145], v[134:135], v[148:149] op_sel:[0,0,1] op_sel_hi:[1,0,0]
	v_mov_b32_e32 v151, v145
	v_pk_mul_f32 v[144:145], v[146:147], v[136:137] op_sel:[0,1]
	s_delay_alu instid0(VALU_DEP_2) | instskip(NEXT) | instid1(VALU_DEP_2)
	v_pk_add_f32 v[48:49], v[48:49], v[150:151] neg_lo:[0,1] neg_hi:[0,1]
	v_pk_fma_f32 v[148:149], v[146:147], v[134:135], v[144:145] op_sel:[0,0,1] op_sel_hi:[1,1,0] neg_lo:[0,0,1] neg_hi:[0,0,1]
	v_pk_fma_f32 v[144:145], v[146:147], v[134:135], v[144:145] op_sel:[0,0,1] op_sel_hi:[1,0,0]
	s_delay_alu instid0(VALU_DEP_1) | instskip(SKIP_4) | instid1(VALU_DEP_1)
	v_mov_b32_e32 v149, v145
	ds_load_2addr_b64 v[144:147], v138 offset0:54 offset1:55
	v_pk_add_f32 v[42:43], v[42:43], v[148:149] neg_lo:[0,1] neg_hi:[0,1]
	s_wait_dscnt 0x0
	v_pk_mul_f32 v[148:149], v[144:145], v[136:137] op_sel:[0,1]
	v_pk_fma_f32 v[150:151], v[144:145], v[134:135], v[148:149] op_sel:[0,0,1] op_sel_hi:[1,1,0] neg_lo:[0,0,1] neg_hi:[0,0,1]
	v_pk_fma_f32 v[144:145], v[144:145], v[134:135], v[148:149] op_sel:[0,0,1] op_sel_hi:[1,0,0]
	v_dual_mul_f32 v148, v147, v137 :: v_dual_mov_b32 v144, v147
	s_delay_alu instid0(VALU_DEP_2) | instskip(NEXT) | instid1(VALU_DEP_2)
	v_dual_mov_b32 v151, v145 :: v_dual_mov_b32 v145, v146
	v_pk_fma_f32 v[148:149], v[146:147], v[50:51], v[148:149] op_sel_hi:[1,1,0] neg_lo:[0,0,1] neg_hi:[0,0,1]
	v_mul_f32_e32 v146, v147, v134
	s_delay_alu instid0(VALU_DEP_3) | instskip(NEXT) | instid1(VALU_DEP_2)
	v_pk_add_f32 v[46:47], v[46:47], v[150:151] neg_lo:[0,1] neg_hi:[0,1]
	v_pk_fma_f32 v[144:145], v[144:145], v[50:51], v[146:147] op_sel_hi:[1,1,0]
	s_delay_alu instid0(VALU_DEP_1) | instskip(SKIP_4) | instid1(VALU_DEP_1)
	v_mov_b32_e32 v149, v145
	ds_load_2addr_b64 v[144:147], v138 offset0:56 offset1:57
	v_pk_add_f32 v[8:9], v[8:9], v[148:149] neg_lo:[0,1] neg_hi:[0,1]
	s_wait_dscnt 0x0
	v_pk_mul_f32 v[148:149], v[144:145], v[136:137] op_sel:[0,1]
	v_pk_fma_f32 v[150:151], v[144:145], v[134:135], v[148:149] op_sel:[0,0,1] op_sel_hi:[1,1,0] neg_lo:[0,0,1] neg_hi:[0,0,1]
	v_pk_fma_f32 v[144:145], v[144:145], v[134:135], v[148:149] op_sel:[0,0,1] op_sel_hi:[1,0,0]
	s_delay_alu instid0(VALU_DEP_1) | instskip(SKIP_1) | instid1(VALU_DEP_1)
	v_mov_b32_e32 v151, v145
	v_pk_mul_f32 v[144:145], v[146:147], v[136:137] op_sel:[0,1]
	v_pk_fma_f32 v[148:149], v[146:147], v[134:135], v[144:145] op_sel:[0,0,1] op_sel_hi:[1,1,0] neg_lo:[0,0,1] neg_hi:[0,0,1]
	v_pk_fma_f32 v[144:145], v[146:147], v[134:135], v[144:145] op_sel:[0,0,1] op_sel_hi:[1,0,0]
	s_delay_alu instid0(VALU_DEP_1)
	v_mov_b32_e32 v149, v145
	ds_load_2addr_b64 v[144:147], v138 offset0:58 offset1:59
	v_pk_add_f32 v[32:33], v[32:33], v[150:151] neg_lo:[0,1] neg_hi:[0,1]
	v_pk_add_f32 v[28:29], v[28:29], v[148:149] neg_lo:[0,1] neg_hi:[0,1]
	s_wait_dscnt 0x0
	v_pk_mul_f32 v[148:149], v[144:145], v[136:137] op_sel:[0,1]
	s_delay_alu instid0(VALU_DEP_1) | instskip(SKIP_1) | instid1(VALU_DEP_1)
	v_pk_fma_f32 v[150:151], v[144:145], v[134:135], v[148:149] op_sel:[0,0,1] op_sel_hi:[1,1,0] neg_lo:[0,0,1] neg_hi:[0,0,1]
	v_pk_fma_f32 v[144:145], v[144:145], v[134:135], v[148:149] op_sel:[0,0,1] op_sel_hi:[1,0,0]
	v_mov_b32_e32 v151, v145
	v_pk_mul_f32 v[144:145], v[146:147], v[136:137] op_sel:[0,1]
	s_delay_alu instid0(VALU_DEP_1) | instskip(SKIP_1) | instid1(VALU_DEP_1)
	v_pk_fma_f32 v[148:149], v[146:147], v[134:135], v[144:145] op_sel:[0,0,1] op_sel_hi:[1,1,0] neg_lo:[0,0,1] neg_hi:[0,0,1]
	v_pk_fma_f32 v[144:145], v[146:147], v[134:135], v[144:145] op_sel:[0,0,1] op_sel_hi:[1,0,0]
	v_mov_b32_e32 v149, v145
	ds_load_2addr_b64 v[144:147], v138 offset0:60 offset1:61
	v_pk_add_f32 v[30:31], v[30:31], v[150:151] neg_lo:[0,1] neg_hi:[0,1]
	v_pk_add_f32 v[6:7], v[6:7], v[148:149] neg_lo:[0,1] neg_hi:[0,1]
	s_wait_dscnt 0x0
	v_dual_mul_f32 v148, v145, v137 :: v_dual_mul_f32 v150, v145, v134
	s_delay_alu instid0(VALU_DEP_1) | instskip(NEXT) | instid1(VALU_DEP_2)
	v_pk_fma_f32 v[148:149], v[144:145], v[50:51], v[148:149] op_sel_hi:[1,1,0] neg_lo:[0,0,1] neg_hi:[0,0,1]
	v_pk_fma_f32 v[144:145], v[144:145], v[50:51], v[150:151] op_sel:[1,0,0] op_sel_hi:[0,1,0]
	s_delay_alu instid0(VALU_DEP_1) | instskip(SKIP_1) | instid1(VALU_DEP_2)
	v_mov_b32_e32 v149, v145
	v_pk_mul_f32 v[144:145], v[146:147], v[136:137] op_sel:[0,1]
	v_pk_add_f32 v[20:21], v[20:21], v[148:149] neg_lo:[0,1] neg_hi:[0,1]
	s_delay_alu instid0(VALU_DEP_2) | instskip(SKIP_1) | instid1(VALU_DEP_1)
	v_pk_fma_f32 v[148:149], v[146:147], v[134:135], v[144:145] op_sel:[0,0,1] op_sel_hi:[1,1,0] neg_lo:[0,0,1] neg_hi:[0,0,1]
	v_pk_fma_f32 v[144:145], v[146:147], v[134:135], v[144:145] op_sel:[0,0,1] op_sel_hi:[1,0,0]
	v_mov_b32_e32 v149, v145
	ds_load_2addr_b64 v[144:147], v138 offset0:62 offset1:63
	v_pk_add_f32 v[14:15], v[14:15], v[148:149] neg_lo:[0,1] neg_hi:[0,1]
	s_wait_dscnt 0x0
	v_pk_mul_f32 v[148:149], v[144:145], v[136:137] op_sel:[0,1]
	v_pk_mul_f32 v[136:137], v[146:147], v[136:137] op_sel:[0,1]
	s_delay_alu instid0(VALU_DEP_2) | instskip(SKIP_1) | instid1(VALU_DEP_1)
	v_pk_fma_f32 v[150:151], v[144:145], v[134:135], v[148:149] op_sel:[0,0,1] op_sel_hi:[1,1,0] neg_lo:[0,0,1] neg_hi:[0,0,1]
	v_pk_fma_f32 v[144:145], v[144:145], v[134:135], v[148:149] op_sel:[0,0,1] op_sel_hi:[1,0,0]
	v_mov_b32_e32 v151, v145
	s_delay_alu instid0(VALU_DEP_4) | instskip(SKIP_1) | instid1(VALU_DEP_3)
	v_pk_fma_f32 v[144:145], v[146:147], v[134:135], v[136:137] op_sel:[0,0,1] op_sel_hi:[1,1,0] neg_lo:[0,0,1] neg_hi:[0,0,1]
	v_pk_fma_f32 v[134:135], v[146:147], v[134:135], v[136:137] op_sel:[0,0,1] op_sel_hi:[1,0,0]
	v_pk_add_f32 v[10:11], v[10:11], v[150:151] neg_lo:[0,1] neg_hi:[0,1]
	s_delay_alu instid0(VALU_DEP_2) | instskip(NEXT) | instid1(VALU_DEP_1)
	v_mov_b32_e32 v145, v135
	v_pk_add_f32 v[132:133], v[132:133], v[144:145] neg_lo:[0,1] neg_hi:[0,1]
.LBB126_251:
	s_or_b32 exec_lo, exec_lo, s0
	v_lshl_add_u32 v134, v142, 3, v138
	s_barrier_signal -1
	s_barrier_wait -1
	ds_store_b64 v134, v[110:111]
	s_wait_dscnt 0x0
	s_barrier_signal -1
	s_barrier_wait -1
	ds_load_b64 v[136:137], v138 offset:96
	v_mov_b32_e32 v134, 12
	s_cmp_lt_i32 s18, 14
	s_cbranch_scc1 .LBB126_254
; %bb.252:
	v_add3_u32 v135, v139, 0, 0x68
	v_mov_b32_e32 v134, 12
	s_mov_b32 s0, 13
.LBB126_253:                            ; =>This Inner Loop Header: Depth=1
	ds_load_b64 v[144:145], v135
	s_wait_dscnt 0x1
	v_cmp_gt_f32_e32 vcc_lo, 0, v136
	v_cndmask_b32_e64 v146, v136, -v136, vcc_lo
	v_cmp_gt_f32_e32 vcc_lo, 0, v137
	v_cndmask_b32_e64 v148, v137, -v137, vcc_lo
	s_wait_dscnt 0x0
	v_cmp_gt_f32_e32 vcc_lo, 0, v144
	v_cndmask_b32_e64 v147, v144, -v144, vcc_lo
	v_cmp_gt_f32_e32 vcc_lo, 0, v145
	v_cndmask_b32_e64 v149, v145, -v145, vcc_lo
	s_delay_alu instid0(VALU_DEP_1) | instskip(NEXT) | instid1(VALU_DEP_1)
	v_pk_add_f32 v[146:147], v[146:147], v[148:149]
	v_cmp_lt_f32_e32 vcc_lo, v146, v147
	v_dual_add_nc_u32 v135, 8, v135 :: v_dual_cndmask_b32 v137, v137, v145, vcc_lo
	v_cndmask_b32_e32 v136, v136, v144, vcc_lo
	v_cndmask_b32_e64 v134, v134, s0, vcc_lo
	s_add_co_i32 s0, s0, 1
	s_delay_alu instid0(SALU_CYCLE_1)
	s_cmp_lg_u32 s18, s0
	s_cbranch_scc1 .LBB126_253
.LBB126_254:
	s_wait_dscnt 0x0
	v_cmp_eq_f32_e32 vcc_lo, 0, v136
	v_cmp_eq_f32_e64 s0, 0, v137
	s_and_b32 s0, vcc_lo, s0
	s_delay_alu instid0(SALU_CYCLE_1) | instskip(NEXT) | instid1(SALU_CYCLE_1)
	s_and_saveexec_b32 s1, s0
	s_xor_b32 s0, exec_lo, s1
; %bb.255:
	v_cmp_ne_u32_e32 vcc_lo, 0, v140
	v_cndmask_b32_e32 v140, 13, v140, vcc_lo
; %bb.256:
	s_and_not1_saveexec_b32 s0, s0
	s_cbranch_execz .LBB126_262
; %bb.257:
	v_cmp_ngt_f32_e64 s1, |v136|, |v137|
	s_and_saveexec_b32 s12, s1
	s_delay_alu instid0(SALU_CYCLE_1)
	s_xor_b32 s1, exec_lo, s12
	s_cbranch_execz .LBB126_259
; %bb.258:
	v_div_scale_f32 v135, null, v137, v137, v136
	v_div_scale_f32 v145, vcc_lo, v136, v137, v136
	s_delay_alu instid0(VALU_DEP_2) | instskip(SKIP_1) | instid1(TRANS32_DEP_1)
	v_rcp_f32_e32 v143, v135
	v_nop
	v_fma_f32 v144, -v135, v143, 1.0
	s_delay_alu instid0(VALU_DEP_1) | instskip(NEXT) | instid1(VALU_DEP_1)
	v_fmac_f32_e32 v143, v144, v143
	v_mul_f32_e32 v144, v145, v143
	s_delay_alu instid0(VALU_DEP_1) | instskip(NEXT) | instid1(VALU_DEP_1)
	v_fma_f32 v146, -v135, v144, v145
	v_fmac_f32_e32 v144, v146, v143
	s_delay_alu instid0(VALU_DEP_1) | instskip(NEXT) | instid1(VALU_DEP_1)
	v_fma_f32 v135, -v135, v144, v145
	v_div_fmas_f32 v135, v135, v143, v144
	s_delay_alu instid0(VALU_DEP_1) | instskip(NEXT) | instid1(VALU_DEP_1)
	v_div_fixup_f32 v135, v135, v137, v136
	v_fmac_f32_e32 v137, v136, v135
	s_delay_alu instid0(VALU_DEP_1) | instskip(SKIP_1) | instid1(VALU_DEP_2)
	v_div_scale_f32 v136, null, v137, v137, 1.0
	v_div_scale_f32 v145, vcc_lo, 1.0, v137, 1.0
	v_rcp_f32_e32 v143, v136
	v_nop
	s_delay_alu instid0(TRANS32_DEP_1) | instskip(NEXT) | instid1(VALU_DEP_1)
	v_fma_f32 v144, -v136, v143, 1.0
	v_fmac_f32_e32 v143, v144, v143
	s_delay_alu instid0(VALU_DEP_1) | instskip(NEXT) | instid1(VALU_DEP_1)
	v_mul_f32_e32 v144, v145, v143
	v_fma_f32 v146, -v136, v144, v145
	s_delay_alu instid0(VALU_DEP_1) | instskip(NEXT) | instid1(VALU_DEP_1)
	v_fmac_f32_e32 v144, v146, v143
	v_fma_f32 v136, -v136, v144, v145
	s_delay_alu instid0(VALU_DEP_1) | instskip(NEXT) | instid1(VALU_DEP_1)
	v_div_fmas_f32 v136, v136, v143, v144
	v_div_fixup_f32 v137, v136, v137, 1.0
	s_delay_alu instid0(VALU_DEP_1)
	v_mul_f32_e32 v136, v135, v137
	v_xor_b32_e32 v137, 0x80000000, v137
.LBB126_259:
	s_and_not1_saveexec_b32 s1, s1
	s_cbranch_execz .LBB126_261
; %bb.260:
	s_delay_alu instid0(VALU_DEP_1) | instskip(SKIP_1) | instid1(VALU_DEP_2)
	v_div_scale_f32 v135, null, v136, v136, v137
	v_div_scale_f32 v145, vcc_lo, v137, v136, v137
	v_rcp_f32_e32 v143, v135
	v_nop
	s_delay_alu instid0(TRANS32_DEP_1) | instskip(NEXT) | instid1(VALU_DEP_1)
	v_fma_f32 v144, -v135, v143, 1.0
	v_fmac_f32_e32 v143, v144, v143
	s_delay_alu instid0(VALU_DEP_1) | instskip(NEXT) | instid1(VALU_DEP_1)
	v_mul_f32_e32 v144, v145, v143
	v_fma_f32 v146, -v135, v144, v145
	s_delay_alu instid0(VALU_DEP_1) | instskip(NEXT) | instid1(VALU_DEP_1)
	v_fmac_f32_e32 v144, v146, v143
	v_fma_f32 v135, -v135, v144, v145
	s_delay_alu instid0(VALU_DEP_1) | instskip(NEXT) | instid1(VALU_DEP_1)
	v_div_fmas_f32 v135, v135, v143, v144
	v_div_fixup_f32 v135, v135, v136, v137
	s_delay_alu instid0(VALU_DEP_1) | instskip(NEXT) | instid1(VALU_DEP_1)
	v_fmac_f32_e32 v136, v137, v135
	v_div_scale_f32 v137, null, v136, v136, 1.0
	s_delay_alu instid0(VALU_DEP_1) | instskip(SKIP_1) | instid1(TRANS32_DEP_1)
	v_rcp_f32_e32 v143, v137
	v_nop
	v_fma_f32 v144, -v137, v143, 1.0
	s_delay_alu instid0(VALU_DEP_1) | instskip(SKIP_1) | instid1(VALU_DEP_1)
	v_fmac_f32_e32 v143, v144, v143
	v_div_scale_f32 v144, vcc_lo, 1.0, v136, 1.0
	v_mul_f32_e32 v145, v144, v143
	s_delay_alu instid0(VALU_DEP_1) | instskip(NEXT) | instid1(VALU_DEP_1)
	v_fma_f32 v146, -v137, v145, v144
	v_fmac_f32_e32 v145, v146, v143
	s_delay_alu instid0(VALU_DEP_1) | instskip(NEXT) | instid1(VALU_DEP_1)
	v_fma_f32 v137, -v137, v145, v144
	v_div_fmas_f32 v137, v137, v143, v145
	s_delay_alu instid0(VALU_DEP_1) | instskip(NEXT) | instid1(VALU_DEP_1)
	v_div_fixup_f32 v136, v137, v136, 1.0
	v_mul_f32_e64 v137, v135, -v136
.LBB126_261:
	s_or_b32 exec_lo, exec_lo, s1
.LBB126_262:
	s_delay_alu instid0(SALU_CYCLE_1) | instskip(NEXT) | instid1(SALU_CYCLE_1)
	s_or_b32 exec_lo, exec_lo, s0
	s_mov_b32 s0, exec_lo
	v_cmpx_ne_u32_e64 v142, v134
	s_xor_b32 s0, exec_lo, s0
	s_cbranch_execz .LBB126_268
; %bb.263:
	s_mov_b32 s1, exec_lo
	v_cmpx_eq_u32_e32 12, v142
	s_cbranch_execz .LBB126_267
; %bb.264:
	v_cmp_ne_u32_e32 vcc_lo, 12, v134
	s_xor_b32 s12, s16, -1
	s_delay_alu instid0(SALU_CYCLE_1) | instskip(NEXT) | instid1(SALU_CYCLE_1)
	s_and_b32 s13, s12, vcc_lo
	s_and_saveexec_b32 s12, s13
	s_cbranch_execz .LBB126_266
; %bb.265:
	v_ashrrev_i32_e32 v135, 31, v134
	s_delay_alu instid0(VALU_DEP_1)
	v_lshl_add_u64 v[142:143], v[134:135], 2, v[4:5]
	s_clause 0x1
	global_load_b32 v135, v[142:143], off
	global_load_b32 v141, v[4:5], off offset:48
	s_wait_loadcnt 0x1
	global_store_b32 v[4:5], v135, off offset:48
	s_wait_loadcnt 0x0
	global_store_b32 v[142:143], v141, off
.LBB126_266:
	s_wait_xcnt 0x0
	s_or_b32 exec_lo, exec_lo, s12
	v_dual_mov_b32 v142, v134 :: v_dual_mov_b32 v141, v134
.LBB126_267:
	s_or_b32 exec_lo, exec_lo, s1
.LBB126_268:
	s_and_not1_saveexec_b32 s0, s0
	s_cbranch_execz .LBB126_270
; %bb.269:
	v_mov_b32_e32 v142, 12
	ds_store_2addr_b64 v138, v[106:107], v[108:109] offset0:13 offset1:14
	ds_store_2addr_b64 v138, v[40:41], v[104:105] offset0:15 offset1:16
	ds_store_2addr_b64 v138, v[100:101], v[102:103] offset0:17 offset1:18
	ds_store_2addr_b64 v138, v[38:39], v[98:99] offset0:19 offset1:20
	ds_store_2addr_b64 v138, v[94:95], v[96:97] offset0:21 offset1:22
	ds_store_2addr_b64 v138, v[36:37], v[92:93] offset0:23 offset1:24
	ds_store_2addr_b64 v138, v[88:89], v[90:91] offset0:25 offset1:26
	ds_store_2addr_b64 v138, v[34:35], v[86:87] offset0:27 offset1:28
	ds_store_2addr_b64 v138, v[82:83], v[84:85] offset0:29 offset1:30
	ds_store_2addr_b64 v138, v[26:27], v[80:81] offset0:31 offset1:32
	ds_store_2addr_b64 v138, v[76:77], v[78:79] offset0:33 offset1:34
	ds_store_2addr_b64 v138, v[24:25], v[74:75] offset0:35 offset1:36
	ds_store_2addr_b64 v138, v[70:71], v[72:73] offset0:37 offset1:38
	ds_store_2addr_b64 v138, v[22:23], v[68:69] offset0:39 offset1:40
	ds_store_2addr_b64 v138, v[64:65], v[66:67] offset0:41 offset1:42
	ds_store_2addr_b64 v138, v[18:19], v[60:61] offset0:43 offset1:44
	ds_store_2addr_b64 v138, v[56:57], v[58:59] offset0:45 offset1:46
	ds_store_2addr_b64 v138, v[12:13], v[54:55] offset0:47 offset1:48
	ds_store_2addr_b64 v138, v[52:53], v[62:63] offset0:49 offset1:50
	ds_store_2addr_b64 v138, v[16:17], v[48:49] offset0:51 offset1:52
	ds_store_2addr_b64 v138, v[42:43], v[46:47] offset0:53 offset1:54
	ds_store_2addr_b64 v138, v[8:9], v[32:33] offset0:55 offset1:56
	ds_store_2addr_b64 v138, v[28:29], v[30:31] offset0:57 offset1:58
	ds_store_2addr_b64 v138, v[6:7], v[20:21] offset0:59 offset1:60
	ds_store_2addr_b64 v138, v[14:15], v[10:11] offset0:61 offset1:62
	ds_store_b64 v138, v[132:133] offset:504
.LBB126_270:
	s_or_b32 exec_lo, exec_lo, s0
	s_delay_alu instid0(SALU_CYCLE_1)
	s_mov_b32 s0, exec_lo
	s_wait_storecnt_dscnt 0x0
	s_barrier_signal -1
	s_barrier_wait -1
	v_cmpx_lt_i32_e32 12, v142
	s_cbranch_execz .LBB126_272
; %bb.271:
	v_pk_mul_f32 v[144:145], v[136:137], v[110:111] op_sel:[1,1] op_sel_hi:[0,1]
	s_delay_alu instid0(VALU_DEP_1)
	v_pk_fma_f32 v[134:135], v[136:137], v[110:111], v[144:145] op_sel_hi:[1,0,1] neg_lo:[0,0,1] neg_hi:[0,0,1]
	v_pk_fma_f32 v[136:137], v[136:137], v[110:111], v[144:145] op_sel_hi:[1,0,1]
	ds_load_2addr_b64 v[144:147], v138 offset0:13 offset1:14
	v_dual_mov_b32 v110, v134 :: v_dual_mov_b32 v111, v137
	s_wait_dscnt 0x0
	v_pk_mul_f32 v[148:149], v[144:145], v[136:137] op_sel:[0,1]
	s_delay_alu instid0(VALU_DEP_1) | instskip(SKIP_1) | instid1(VALU_DEP_1)
	v_pk_fma_f32 v[150:151], v[144:145], v[134:135], v[148:149] op_sel:[0,0,1] op_sel_hi:[1,1,0] neg_lo:[0,0,1] neg_hi:[0,0,1]
	v_pk_fma_f32 v[144:145], v[144:145], v[134:135], v[148:149] op_sel:[0,0,1] op_sel_hi:[1,0,0]
	v_mov_b32_e32 v151, v145
	v_pk_mul_f32 v[144:145], v[146:147], v[136:137] op_sel:[0,1]
	s_delay_alu instid0(VALU_DEP_1) | instskip(SKIP_1) | instid1(VALU_DEP_1)
	v_pk_fma_f32 v[148:149], v[146:147], v[134:135], v[144:145] op_sel:[0,0,1] op_sel_hi:[1,1,0] neg_lo:[0,0,1] neg_hi:[0,0,1]
	v_pk_fma_f32 v[144:145], v[146:147], v[134:135], v[144:145] op_sel:[0,0,1] op_sel_hi:[1,0,0]
	v_mov_b32_e32 v149, v145
	ds_load_2addr_b64 v[144:147], v138 offset0:15 offset1:16
	v_pk_add_f32 v[106:107], v[106:107], v[150:151] neg_lo:[0,1] neg_hi:[0,1]
	v_pk_add_f32 v[108:109], v[108:109], v[148:149] neg_lo:[0,1] neg_hi:[0,1]
	s_wait_dscnt 0x0
	v_pk_mul_f32 v[148:149], v[144:145], v[136:137] op_sel:[0,1]
	s_delay_alu instid0(VALU_DEP_1) | instskip(SKIP_2) | instid1(VALU_DEP_2)
	v_pk_fma_f32 v[150:151], v[144:145], v[134:135], v[148:149] op_sel:[0,0,1] op_sel_hi:[1,1,0] neg_lo:[0,0,1] neg_hi:[0,0,1]
	v_pk_fma_f32 v[144:145], v[144:145], v[134:135], v[148:149] op_sel:[0,0,1] op_sel_hi:[1,0,0]
	v_dual_mul_f32 v148, v147, v137 :: v_dual_mov_b32 v144, v147
	v_dual_mov_b32 v151, v145 :: v_dual_mov_b32 v145, v146
	s_delay_alu instid0(VALU_DEP_2) | instskip(SKIP_1) | instid1(VALU_DEP_3)
	v_pk_fma_f32 v[148:149], v[146:147], v[110:111], v[148:149] op_sel_hi:[1,1,0] neg_lo:[0,0,1] neg_hi:[0,0,1]
	v_mul_f32_e32 v146, v147, v134
	v_pk_add_f32 v[40:41], v[40:41], v[150:151] neg_lo:[0,1] neg_hi:[0,1]
	s_delay_alu instid0(VALU_DEP_2) | instskip(NEXT) | instid1(VALU_DEP_1)
	v_pk_fma_f32 v[144:145], v[144:145], v[110:111], v[146:147] op_sel_hi:[1,1,0]
	v_mov_b32_e32 v149, v145
	ds_load_2addr_b64 v[144:147], v138 offset0:17 offset1:18
	v_pk_add_f32 v[104:105], v[104:105], v[148:149] neg_lo:[0,1] neg_hi:[0,1]
	s_wait_dscnt 0x0
	v_pk_mul_f32 v[148:149], v[144:145], v[136:137] op_sel:[0,1]
	s_delay_alu instid0(VALU_DEP_1) | instskip(SKIP_1) | instid1(VALU_DEP_1)
	v_pk_fma_f32 v[150:151], v[144:145], v[134:135], v[148:149] op_sel:[0,0,1] op_sel_hi:[1,1,0] neg_lo:[0,0,1] neg_hi:[0,0,1]
	v_pk_fma_f32 v[144:145], v[144:145], v[134:135], v[148:149] op_sel:[0,0,1] op_sel_hi:[1,0,0]
	v_mov_b32_e32 v151, v145
	v_pk_mul_f32 v[144:145], v[146:147], v[136:137] op_sel:[0,1]
	s_delay_alu instid0(VALU_DEP_1) | instskip(SKIP_1) | instid1(VALU_DEP_1)
	v_pk_fma_f32 v[148:149], v[146:147], v[134:135], v[144:145] op_sel:[0,0,1] op_sel_hi:[1,1,0] neg_lo:[0,0,1] neg_hi:[0,0,1]
	v_pk_fma_f32 v[144:145], v[146:147], v[134:135], v[144:145] op_sel:[0,0,1] op_sel_hi:[1,0,0]
	v_mov_b32_e32 v149, v145
	ds_load_2addr_b64 v[144:147], v138 offset0:19 offset1:20
	v_pk_add_f32 v[100:101], v[100:101], v[150:151] neg_lo:[0,1] neg_hi:[0,1]
	v_pk_add_f32 v[102:103], v[102:103], v[148:149] neg_lo:[0,1] neg_hi:[0,1]
	s_wait_dscnt 0x0
	v_pk_mul_f32 v[148:149], v[144:145], v[136:137] op_sel:[0,1]
	s_delay_alu instid0(VALU_DEP_1) | instskip(SKIP_1) | instid1(VALU_DEP_1)
	v_pk_fma_f32 v[150:151], v[144:145], v[134:135], v[148:149] op_sel:[0,0,1] op_sel_hi:[1,1,0] neg_lo:[0,0,1] neg_hi:[0,0,1]
	v_pk_fma_f32 v[144:145], v[144:145], v[134:135], v[148:149] op_sel:[0,0,1] op_sel_hi:[1,0,0]
	v_mov_b32_e32 v151, v145
	v_pk_mul_f32 v[144:145], v[146:147], v[136:137] op_sel:[0,1]
	s_delay_alu instid0(VALU_DEP_1) | instskip(SKIP_1) | instid1(VALU_DEP_1)
	v_pk_fma_f32 v[148:149], v[146:147], v[134:135], v[144:145] op_sel:[0,0,1] op_sel_hi:[1,1,0] neg_lo:[0,0,1] neg_hi:[0,0,1]
	v_pk_fma_f32 v[144:145], v[146:147], v[134:135], v[144:145] op_sel:[0,0,1] op_sel_hi:[1,0,0]
	v_mov_b32_e32 v149, v145
	ds_load_2addr_b64 v[144:147], v138 offset0:21 offset1:22
	v_pk_add_f32 v[38:39], v[38:39], v[150:151] neg_lo:[0,1] neg_hi:[0,1]
	v_pk_add_f32 v[98:99], v[98:99], v[148:149] neg_lo:[0,1] neg_hi:[0,1]
	s_wait_dscnt 0x0
	v_dual_mul_f32 v148, v145, v137 :: v_dual_mul_f32 v150, v145, v134
	s_delay_alu instid0(VALU_DEP_1) | instskip(NEXT) | instid1(VALU_DEP_2)
	v_pk_fma_f32 v[148:149], v[144:145], v[110:111], v[148:149] op_sel_hi:[1,1,0] neg_lo:[0,0,1] neg_hi:[0,0,1]
	v_pk_fma_f32 v[144:145], v[144:145], v[110:111], v[150:151] op_sel:[1,0,0] op_sel_hi:[0,1,0]
	s_delay_alu instid0(VALU_DEP_1) | instskip(SKIP_1) | instid1(VALU_DEP_2)
	v_mov_b32_e32 v149, v145
	v_pk_mul_f32 v[144:145], v[146:147], v[136:137] op_sel:[0,1]
	v_pk_add_f32 v[94:95], v[94:95], v[148:149] neg_lo:[0,1] neg_hi:[0,1]
	s_delay_alu instid0(VALU_DEP_2) | instskip(SKIP_1) | instid1(VALU_DEP_1)
	v_pk_fma_f32 v[148:149], v[146:147], v[134:135], v[144:145] op_sel:[0,0,1] op_sel_hi:[1,1,0] neg_lo:[0,0,1] neg_hi:[0,0,1]
	v_pk_fma_f32 v[144:145], v[146:147], v[134:135], v[144:145] op_sel:[0,0,1] op_sel_hi:[1,0,0]
	v_mov_b32_e32 v149, v145
	ds_load_2addr_b64 v[144:147], v138 offset0:23 offset1:24
	v_pk_add_f32 v[96:97], v[96:97], v[148:149] neg_lo:[0,1] neg_hi:[0,1]
	s_wait_dscnt 0x0
	v_pk_mul_f32 v[148:149], v[144:145], v[136:137] op_sel:[0,1]
	s_delay_alu instid0(VALU_DEP_1) | instskip(SKIP_1) | instid1(VALU_DEP_1)
	v_pk_fma_f32 v[150:151], v[144:145], v[134:135], v[148:149] op_sel:[0,0,1] op_sel_hi:[1,1,0] neg_lo:[0,0,1] neg_hi:[0,0,1]
	v_pk_fma_f32 v[144:145], v[144:145], v[134:135], v[148:149] op_sel:[0,0,1] op_sel_hi:[1,0,0]
	v_mov_b32_e32 v151, v145
	v_pk_mul_f32 v[144:145], v[146:147], v[136:137] op_sel:[0,1]
	s_delay_alu instid0(VALU_DEP_2) | instskip(NEXT) | instid1(VALU_DEP_2)
	v_pk_add_f32 v[36:37], v[36:37], v[150:151] neg_lo:[0,1] neg_hi:[0,1]
	v_pk_fma_f32 v[148:149], v[146:147], v[134:135], v[144:145] op_sel:[0,0,1] op_sel_hi:[1,1,0] neg_lo:[0,0,1] neg_hi:[0,0,1]
	v_pk_fma_f32 v[144:145], v[146:147], v[134:135], v[144:145] op_sel:[0,0,1] op_sel_hi:[1,0,0]
	s_delay_alu instid0(VALU_DEP_1) | instskip(SKIP_4) | instid1(VALU_DEP_1)
	v_mov_b32_e32 v149, v145
	ds_load_2addr_b64 v[144:147], v138 offset0:25 offset1:26
	v_pk_add_f32 v[92:93], v[92:93], v[148:149] neg_lo:[0,1] neg_hi:[0,1]
	s_wait_dscnt 0x0
	v_pk_mul_f32 v[148:149], v[144:145], v[136:137] op_sel:[0,1]
	v_pk_fma_f32 v[150:151], v[144:145], v[134:135], v[148:149] op_sel:[0,0,1] op_sel_hi:[1,1,0] neg_lo:[0,0,1] neg_hi:[0,0,1]
	v_pk_fma_f32 v[144:145], v[144:145], v[134:135], v[148:149] op_sel:[0,0,1] op_sel_hi:[1,0,0]
	v_dual_mul_f32 v148, v147, v137 :: v_dual_mov_b32 v144, v147
	s_delay_alu instid0(VALU_DEP_2) | instskip(NEXT) | instid1(VALU_DEP_2)
	v_dual_mov_b32 v151, v145 :: v_dual_mov_b32 v145, v146
	v_pk_fma_f32 v[148:149], v[146:147], v[110:111], v[148:149] op_sel_hi:[1,1,0] neg_lo:[0,0,1] neg_hi:[0,0,1]
	v_mul_f32_e32 v146, v147, v134
	s_delay_alu instid0(VALU_DEP_3) | instskip(NEXT) | instid1(VALU_DEP_2)
	v_pk_add_f32 v[88:89], v[88:89], v[150:151] neg_lo:[0,1] neg_hi:[0,1]
	v_pk_fma_f32 v[144:145], v[144:145], v[110:111], v[146:147] op_sel_hi:[1,1,0]
	s_delay_alu instid0(VALU_DEP_1) | instskip(SKIP_4) | instid1(VALU_DEP_1)
	v_mov_b32_e32 v149, v145
	ds_load_2addr_b64 v[144:147], v138 offset0:27 offset1:28
	v_pk_add_f32 v[90:91], v[90:91], v[148:149] neg_lo:[0,1] neg_hi:[0,1]
	s_wait_dscnt 0x0
	v_pk_mul_f32 v[148:149], v[144:145], v[136:137] op_sel:[0,1]
	v_pk_fma_f32 v[150:151], v[144:145], v[134:135], v[148:149] op_sel:[0,0,1] op_sel_hi:[1,1,0] neg_lo:[0,0,1] neg_hi:[0,0,1]
	v_pk_fma_f32 v[144:145], v[144:145], v[134:135], v[148:149] op_sel:[0,0,1] op_sel_hi:[1,0,0]
	s_delay_alu instid0(VALU_DEP_1) | instskip(SKIP_1) | instid1(VALU_DEP_1)
	v_mov_b32_e32 v151, v145
	v_pk_mul_f32 v[144:145], v[146:147], v[136:137] op_sel:[0,1]
	v_pk_fma_f32 v[148:149], v[146:147], v[134:135], v[144:145] op_sel:[0,0,1] op_sel_hi:[1,1,0] neg_lo:[0,0,1] neg_hi:[0,0,1]
	v_pk_fma_f32 v[144:145], v[146:147], v[134:135], v[144:145] op_sel:[0,0,1] op_sel_hi:[1,0,0]
	s_delay_alu instid0(VALU_DEP_1)
	v_mov_b32_e32 v149, v145
	ds_load_2addr_b64 v[144:147], v138 offset0:29 offset1:30
	v_pk_add_f32 v[34:35], v[34:35], v[150:151] neg_lo:[0,1] neg_hi:[0,1]
	v_pk_add_f32 v[86:87], v[86:87], v[148:149] neg_lo:[0,1] neg_hi:[0,1]
	s_wait_dscnt 0x0
	v_pk_mul_f32 v[148:149], v[144:145], v[136:137] op_sel:[0,1]
	s_delay_alu instid0(VALU_DEP_1) | instskip(SKIP_1) | instid1(VALU_DEP_1)
	v_pk_fma_f32 v[150:151], v[144:145], v[134:135], v[148:149] op_sel:[0,0,1] op_sel_hi:[1,1,0] neg_lo:[0,0,1] neg_hi:[0,0,1]
	v_pk_fma_f32 v[144:145], v[144:145], v[134:135], v[148:149] op_sel:[0,0,1] op_sel_hi:[1,0,0]
	v_mov_b32_e32 v151, v145
	v_pk_mul_f32 v[144:145], v[146:147], v[136:137] op_sel:[0,1]
	s_delay_alu instid0(VALU_DEP_1) | instskip(SKIP_1) | instid1(VALU_DEP_1)
	v_pk_fma_f32 v[148:149], v[146:147], v[134:135], v[144:145] op_sel:[0,0,1] op_sel_hi:[1,1,0] neg_lo:[0,0,1] neg_hi:[0,0,1]
	v_pk_fma_f32 v[144:145], v[146:147], v[134:135], v[144:145] op_sel:[0,0,1] op_sel_hi:[1,0,0]
	v_mov_b32_e32 v149, v145
	ds_load_2addr_b64 v[144:147], v138 offset0:31 offset1:32
	v_pk_add_f32 v[82:83], v[82:83], v[150:151] neg_lo:[0,1] neg_hi:[0,1]
	v_pk_add_f32 v[84:85], v[84:85], v[148:149] neg_lo:[0,1] neg_hi:[0,1]
	s_wait_dscnt 0x0
	v_dual_mul_f32 v148, v145, v137 :: v_dual_mul_f32 v150, v145, v134
	s_delay_alu instid0(VALU_DEP_1) | instskip(NEXT) | instid1(VALU_DEP_2)
	v_pk_fma_f32 v[148:149], v[144:145], v[110:111], v[148:149] op_sel_hi:[1,1,0] neg_lo:[0,0,1] neg_hi:[0,0,1]
	v_pk_fma_f32 v[144:145], v[144:145], v[110:111], v[150:151] op_sel:[1,0,0] op_sel_hi:[0,1,0]
	s_delay_alu instid0(VALU_DEP_1) | instskip(SKIP_1) | instid1(VALU_DEP_2)
	v_mov_b32_e32 v149, v145
	v_pk_mul_f32 v[144:145], v[146:147], v[136:137] op_sel:[0,1]
	v_pk_add_f32 v[26:27], v[26:27], v[148:149] neg_lo:[0,1] neg_hi:[0,1]
	s_delay_alu instid0(VALU_DEP_2) | instskip(SKIP_1) | instid1(VALU_DEP_1)
	v_pk_fma_f32 v[148:149], v[146:147], v[134:135], v[144:145] op_sel:[0,0,1] op_sel_hi:[1,1,0] neg_lo:[0,0,1] neg_hi:[0,0,1]
	v_pk_fma_f32 v[144:145], v[146:147], v[134:135], v[144:145] op_sel:[0,0,1] op_sel_hi:[1,0,0]
	v_mov_b32_e32 v149, v145
	ds_load_2addr_b64 v[144:147], v138 offset0:33 offset1:34
	v_pk_add_f32 v[80:81], v[80:81], v[148:149] neg_lo:[0,1] neg_hi:[0,1]
	s_wait_dscnt 0x0
	v_pk_mul_f32 v[148:149], v[144:145], v[136:137] op_sel:[0,1]
	s_delay_alu instid0(VALU_DEP_1) | instskip(SKIP_1) | instid1(VALU_DEP_1)
	v_pk_fma_f32 v[150:151], v[144:145], v[134:135], v[148:149] op_sel:[0,0,1] op_sel_hi:[1,1,0] neg_lo:[0,0,1] neg_hi:[0,0,1]
	v_pk_fma_f32 v[144:145], v[144:145], v[134:135], v[148:149] op_sel:[0,0,1] op_sel_hi:[1,0,0]
	v_mov_b32_e32 v151, v145
	v_pk_mul_f32 v[144:145], v[146:147], v[136:137] op_sel:[0,1]
	s_delay_alu instid0(VALU_DEP_2) | instskip(NEXT) | instid1(VALU_DEP_2)
	v_pk_add_f32 v[76:77], v[76:77], v[150:151] neg_lo:[0,1] neg_hi:[0,1]
	v_pk_fma_f32 v[148:149], v[146:147], v[134:135], v[144:145] op_sel:[0,0,1] op_sel_hi:[1,1,0] neg_lo:[0,0,1] neg_hi:[0,0,1]
	v_pk_fma_f32 v[144:145], v[146:147], v[134:135], v[144:145] op_sel:[0,0,1] op_sel_hi:[1,0,0]
	s_delay_alu instid0(VALU_DEP_1) | instskip(SKIP_4) | instid1(VALU_DEP_1)
	v_mov_b32_e32 v149, v145
	ds_load_2addr_b64 v[144:147], v138 offset0:35 offset1:36
	v_pk_add_f32 v[78:79], v[78:79], v[148:149] neg_lo:[0,1] neg_hi:[0,1]
	s_wait_dscnt 0x0
	v_pk_mul_f32 v[148:149], v[144:145], v[136:137] op_sel:[0,1]
	v_pk_fma_f32 v[150:151], v[144:145], v[134:135], v[148:149] op_sel:[0,0,1] op_sel_hi:[1,1,0] neg_lo:[0,0,1] neg_hi:[0,0,1]
	v_pk_fma_f32 v[144:145], v[144:145], v[134:135], v[148:149] op_sel:[0,0,1] op_sel_hi:[1,0,0]
	v_dual_mul_f32 v148, v147, v137 :: v_dual_mov_b32 v144, v147
	s_delay_alu instid0(VALU_DEP_2) | instskip(NEXT) | instid1(VALU_DEP_2)
	v_dual_mov_b32 v151, v145 :: v_dual_mov_b32 v145, v146
	v_pk_fma_f32 v[148:149], v[146:147], v[110:111], v[148:149] op_sel_hi:[1,1,0] neg_lo:[0,0,1] neg_hi:[0,0,1]
	v_mul_f32_e32 v146, v147, v134
	s_delay_alu instid0(VALU_DEP_3) | instskip(NEXT) | instid1(VALU_DEP_2)
	v_pk_add_f32 v[24:25], v[24:25], v[150:151] neg_lo:[0,1] neg_hi:[0,1]
	v_pk_fma_f32 v[144:145], v[144:145], v[110:111], v[146:147] op_sel_hi:[1,1,0]
	s_delay_alu instid0(VALU_DEP_1) | instskip(SKIP_4) | instid1(VALU_DEP_1)
	v_mov_b32_e32 v149, v145
	ds_load_2addr_b64 v[144:147], v138 offset0:37 offset1:38
	v_pk_add_f32 v[74:75], v[74:75], v[148:149] neg_lo:[0,1] neg_hi:[0,1]
	s_wait_dscnt 0x0
	v_pk_mul_f32 v[148:149], v[144:145], v[136:137] op_sel:[0,1]
	v_pk_fma_f32 v[150:151], v[144:145], v[134:135], v[148:149] op_sel:[0,0,1] op_sel_hi:[1,1,0] neg_lo:[0,0,1] neg_hi:[0,0,1]
	v_pk_fma_f32 v[144:145], v[144:145], v[134:135], v[148:149] op_sel:[0,0,1] op_sel_hi:[1,0,0]
	s_delay_alu instid0(VALU_DEP_1) | instskip(SKIP_1) | instid1(VALU_DEP_1)
	v_mov_b32_e32 v151, v145
	v_pk_mul_f32 v[144:145], v[146:147], v[136:137] op_sel:[0,1]
	v_pk_fma_f32 v[148:149], v[146:147], v[134:135], v[144:145] op_sel:[0,0,1] op_sel_hi:[1,1,0] neg_lo:[0,0,1] neg_hi:[0,0,1]
	v_pk_fma_f32 v[144:145], v[146:147], v[134:135], v[144:145] op_sel:[0,0,1] op_sel_hi:[1,0,0]
	s_delay_alu instid0(VALU_DEP_1)
	v_mov_b32_e32 v149, v145
	ds_load_2addr_b64 v[144:147], v138 offset0:39 offset1:40
	v_pk_add_f32 v[70:71], v[70:71], v[150:151] neg_lo:[0,1] neg_hi:[0,1]
	v_pk_add_f32 v[72:73], v[72:73], v[148:149] neg_lo:[0,1] neg_hi:[0,1]
	s_wait_dscnt 0x0
	v_pk_mul_f32 v[148:149], v[144:145], v[136:137] op_sel:[0,1]
	s_delay_alu instid0(VALU_DEP_1) | instskip(SKIP_1) | instid1(VALU_DEP_1)
	v_pk_fma_f32 v[150:151], v[144:145], v[134:135], v[148:149] op_sel:[0,0,1] op_sel_hi:[1,1,0] neg_lo:[0,0,1] neg_hi:[0,0,1]
	v_pk_fma_f32 v[144:145], v[144:145], v[134:135], v[148:149] op_sel:[0,0,1] op_sel_hi:[1,0,0]
	v_mov_b32_e32 v151, v145
	v_pk_mul_f32 v[144:145], v[146:147], v[136:137] op_sel:[0,1]
	s_delay_alu instid0(VALU_DEP_1) | instskip(SKIP_1) | instid1(VALU_DEP_1)
	v_pk_fma_f32 v[148:149], v[146:147], v[134:135], v[144:145] op_sel:[0,0,1] op_sel_hi:[1,1,0] neg_lo:[0,0,1] neg_hi:[0,0,1]
	v_pk_fma_f32 v[144:145], v[146:147], v[134:135], v[144:145] op_sel:[0,0,1] op_sel_hi:[1,0,0]
	v_mov_b32_e32 v149, v145
	ds_load_2addr_b64 v[144:147], v138 offset0:41 offset1:42
	v_pk_add_f32 v[22:23], v[22:23], v[150:151] neg_lo:[0,1] neg_hi:[0,1]
	v_pk_add_f32 v[68:69], v[68:69], v[148:149] neg_lo:[0,1] neg_hi:[0,1]
	s_wait_dscnt 0x0
	v_dual_mul_f32 v148, v145, v137 :: v_dual_mul_f32 v150, v145, v134
	s_delay_alu instid0(VALU_DEP_1) | instskip(NEXT) | instid1(VALU_DEP_2)
	v_pk_fma_f32 v[148:149], v[144:145], v[110:111], v[148:149] op_sel_hi:[1,1,0] neg_lo:[0,0,1] neg_hi:[0,0,1]
	v_pk_fma_f32 v[144:145], v[144:145], v[110:111], v[150:151] op_sel:[1,0,0] op_sel_hi:[0,1,0]
	s_delay_alu instid0(VALU_DEP_1) | instskip(SKIP_1) | instid1(VALU_DEP_2)
	v_mov_b32_e32 v149, v145
	v_pk_mul_f32 v[144:145], v[146:147], v[136:137] op_sel:[0,1]
	v_pk_add_f32 v[64:65], v[64:65], v[148:149] neg_lo:[0,1] neg_hi:[0,1]
	s_delay_alu instid0(VALU_DEP_2) | instskip(SKIP_1) | instid1(VALU_DEP_1)
	v_pk_fma_f32 v[148:149], v[146:147], v[134:135], v[144:145] op_sel:[0,0,1] op_sel_hi:[1,1,0] neg_lo:[0,0,1] neg_hi:[0,0,1]
	v_pk_fma_f32 v[144:145], v[146:147], v[134:135], v[144:145] op_sel:[0,0,1] op_sel_hi:[1,0,0]
	v_mov_b32_e32 v149, v145
	ds_load_2addr_b64 v[144:147], v138 offset0:43 offset1:44
	v_pk_add_f32 v[66:67], v[66:67], v[148:149] neg_lo:[0,1] neg_hi:[0,1]
	s_wait_dscnt 0x0
	v_pk_mul_f32 v[148:149], v[144:145], v[136:137] op_sel:[0,1]
	s_delay_alu instid0(VALU_DEP_1) | instskip(SKIP_1) | instid1(VALU_DEP_1)
	v_pk_fma_f32 v[150:151], v[144:145], v[134:135], v[148:149] op_sel:[0,0,1] op_sel_hi:[1,1,0] neg_lo:[0,0,1] neg_hi:[0,0,1]
	v_pk_fma_f32 v[144:145], v[144:145], v[134:135], v[148:149] op_sel:[0,0,1] op_sel_hi:[1,0,0]
	v_mov_b32_e32 v151, v145
	v_pk_mul_f32 v[144:145], v[146:147], v[136:137] op_sel:[0,1]
	s_delay_alu instid0(VALU_DEP_2) | instskip(NEXT) | instid1(VALU_DEP_2)
	v_pk_add_f32 v[18:19], v[18:19], v[150:151] neg_lo:[0,1] neg_hi:[0,1]
	v_pk_fma_f32 v[148:149], v[146:147], v[134:135], v[144:145] op_sel:[0,0,1] op_sel_hi:[1,1,0] neg_lo:[0,0,1] neg_hi:[0,0,1]
	v_pk_fma_f32 v[144:145], v[146:147], v[134:135], v[144:145] op_sel:[0,0,1] op_sel_hi:[1,0,0]
	s_delay_alu instid0(VALU_DEP_1) | instskip(SKIP_4) | instid1(VALU_DEP_1)
	v_mov_b32_e32 v149, v145
	ds_load_2addr_b64 v[144:147], v138 offset0:45 offset1:46
	v_pk_add_f32 v[60:61], v[60:61], v[148:149] neg_lo:[0,1] neg_hi:[0,1]
	s_wait_dscnt 0x0
	v_pk_mul_f32 v[148:149], v[144:145], v[136:137] op_sel:[0,1]
	v_pk_fma_f32 v[150:151], v[144:145], v[134:135], v[148:149] op_sel:[0,0,1] op_sel_hi:[1,1,0] neg_lo:[0,0,1] neg_hi:[0,0,1]
	v_pk_fma_f32 v[144:145], v[144:145], v[134:135], v[148:149] op_sel:[0,0,1] op_sel_hi:[1,0,0]
	v_dual_mul_f32 v148, v147, v137 :: v_dual_mov_b32 v144, v147
	s_delay_alu instid0(VALU_DEP_2) | instskip(NEXT) | instid1(VALU_DEP_2)
	v_dual_mov_b32 v151, v145 :: v_dual_mov_b32 v145, v146
	v_pk_fma_f32 v[148:149], v[146:147], v[110:111], v[148:149] op_sel_hi:[1,1,0] neg_lo:[0,0,1] neg_hi:[0,0,1]
	v_mul_f32_e32 v146, v147, v134
	s_delay_alu instid0(VALU_DEP_3) | instskip(NEXT) | instid1(VALU_DEP_2)
	v_pk_add_f32 v[56:57], v[56:57], v[150:151] neg_lo:[0,1] neg_hi:[0,1]
	v_pk_fma_f32 v[144:145], v[144:145], v[110:111], v[146:147] op_sel_hi:[1,1,0]
	s_delay_alu instid0(VALU_DEP_1) | instskip(SKIP_4) | instid1(VALU_DEP_1)
	v_mov_b32_e32 v149, v145
	ds_load_2addr_b64 v[144:147], v138 offset0:47 offset1:48
	v_pk_add_f32 v[58:59], v[58:59], v[148:149] neg_lo:[0,1] neg_hi:[0,1]
	s_wait_dscnt 0x0
	v_pk_mul_f32 v[148:149], v[144:145], v[136:137] op_sel:[0,1]
	v_pk_fma_f32 v[150:151], v[144:145], v[134:135], v[148:149] op_sel:[0,0,1] op_sel_hi:[1,1,0] neg_lo:[0,0,1] neg_hi:[0,0,1]
	v_pk_fma_f32 v[144:145], v[144:145], v[134:135], v[148:149] op_sel:[0,0,1] op_sel_hi:[1,0,0]
	s_delay_alu instid0(VALU_DEP_1) | instskip(SKIP_1) | instid1(VALU_DEP_1)
	v_mov_b32_e32 v151, v145
	v_pk_mul_f32 v[144:145], v[146:147], v[136:137] op_sel:[0,1]
	v_pk_fma_f32 v[148:149], v[146:147], v[134:135], v[144:145] op_sel:[0,0,1] op_sel_hi:[1,1,0] neg_lo:[0,0,1] neg_hi:[0,0,1]
	v_pk_fma_f32 v[144:145], v[146:147], v[134:135], v[144:145] op_sel:[0,0,1] op_sel_hi:[1,0,0]
	s_delay_alu instid0(VALU_DEP_1)
	v_mov_b32_e32 v149, v145
	ds_load_2addr_b64 v[144:147], v138 offset0:49 offset1:50
	v_pk_add_f32 v[12:13], v[12:13], v[150:151] neg_lo:[0,1] neg_hi:[0,1]
	v_pk_add_f32 v[54:55], v[54:55], v[148:149] neg_lo:[0,1] neg_hi:[0,1]
	s_wait_dscnt 0x0
	v_pk_mul_f32 v[148:149], v[144:145], v[136:137] op_sel:[0,1]
	s_delay_alu instid0(VALU_DEP_1) | instskip(SKIP_1) | instid1(VALU_DEP_1)
	v_pk_fma_f32 v[150:151], v[144:145], v[134:135], v[148:149] op_sel:[0,0,1] op_sel_hi:[1,1,0] neg_lo:[0,0,1] neg_hi:[0,0,1]
	v_pk_fma_f32 v[144:145], v[144:145], v[134:135], v[148:149] op_sel:[0,0,1] op_sel_hi:[1,0,0]
	v_mov_b32_e32 v151, v145
	v_pk_mul_f32 v[144:145], v[146:147], v[136:137] op_sel:[0,1]
	s_delay_alu instid0(VALU_DEP_1) | instskip(SKIP_1) | instid1(VALU_DEP_1)
	v_pk_fma_f32 v[148:149], v[146:147], v[134:135], v[144:145] op_sel:[0,0,1] op_sel_hi:[1,1,0] neg_lo:[0,0,1] neg_hi:[0,0,1]
	v_pk_fma_f32 v[144:145], v[146:147], v[134:135], v[144:145] op_sel:[0,0,1] op_sel_hi:[1,0,0]
	v_mov_b32_e32 v149, v145
	ds_load_2addr_b64 v[144:147], v138 offset0:51 offset1:52
	v_pk_add_f32 v[52:53], v[52:53], v[150:151] neg_lo:[0,1] neg_hi:[0,1]
	v_pk_add_f32 v[62:63], v[62:63], v[148:149] neg_lo:[0,1] neg_hi:[0,1]
	s_wait_dscnt 0x0
	v_dual_mul_f32 v148, v145, v137 :: v_dual_mul_f32 v150, v145, v134
	s_delay_alu instid0(VALU_DEP_1) | instskip(NEXT) | instid1(VALU_DEP_2)
	v_pk_fma_f32 v[148:149], v[144:145], v[110:111], v[148:149] op_sel_hi:[1,1,0] neg_lo:[0,0,1] neg_hi:[0,0,1]
	v_pk_fma_f32 v[144:145], v[144:145], v[110:111], v[150:151] op_sel:[1,0,0] op_sel_hi:[0,1,0]
	s_delay_alu instid0(VALU_DEP_1) | instskip(SKIP_1) | instid1(VALU_DEP_2)
	v_mov_b32_e32 v149, v145
	v_pk_mul_f32 v[144:145], v[146:147], v[136:137] op_sel:[0,1]
	v_pk_add_f32 v[16:17], v[16:17], v[148:149] neg_lo:[0,1] neg_hi:[0,1]
	s_delay_alu instid0(VALU_DEP_2) | instskip(SKIP_1) | instid1(VALU_DEP_1)
	v_pk_fma_f32 v[148:149], v[146:147], v[134:135], v[144:145] op_sel:[0,0,1] op_sel_hi:[1,1,0] neg_lo:[0,0,1] neg_hi:[0,0,1]
	v_pk_fma_f32 v[144:145], v[146:147], v[134:135], v[144:145] op_sel:[0,0,1] op_sel_hi:[1,0,0]
	v_mov_b32_e32 v149, v145
	ds_load_2addr_b64 v[144:147], v138 offset0:53 offset1:54
	v_pk_add_f32 v[48:49], v[48:49], v[148:149] neg_lo:[0,1] neg_hi:[0,1]
	s_wait_dscnt 0x0
	v_pk_mul_f32 v[148:149], v[144:145], v[136:137] op_sel:[0,1]
	s_delay_alu instid0(VALU_DEP_1) | instskip(SKIP_1) | instid1(VALU_DEP_1)
	v_pk_fma_f32 v[150:151], v[144:145], v[134:135], v[148:149] op_sel:[0,0,1] op_sel_hi:[1,1,0] neg_lo:[0,0,1] neg_hi:[0,0,1]
	v_pk_fma_f32 v[144:145], v[144:145], v[134:135], v[148:149] op_sel:[0,0,1] op_sel_hi:[1,0,0]
	v_mov_b32_e32 v151, v145
	v_pk_mul_f32 v[144:145], v[146:147], v[136:137] op_sel:[0,1]
	s_delay_alu instid0(VALU_DEP_2) | instskip(NEXT) | instid1(VALU_DEP_2)
	v_pk_add_f32 v[42:43], v[42:43], v[150:151] neg_lo:[0,1] neg_hi:[0,1]
	v_pk_fma_f32 v[148:149], v[146:147], v[134:135], v[144:145] op_sel:[0,0,1] op_sel_hi:[1,1,0] neg_lo:[0,0,1] neg_hi:[0,0,1]
	v_pk_fma_f32 v[144:145], v[146:147], v[134:135], v[144:145] op_sel:[0,0,1] op_sel_hi:[1,0,0]
	s_delay_alu instid0(VALU_DEP_1) | instskip(SKIP_4) | instid1(VALU_DEP_1)
	v_mov_b32_e32 v149, v145
	ds_load_2addr_b64 v[144:147], v138 offset0:55 offset1:56
	v_pk_add_f32 v[46:47], v[46:47], v[148:149] neg_lo:[0,1] neg_hi:[0,1]
	s_wait_dscnt 0x0
	v_pk_mul_f32 v[148:149], v[144:145], v[136:137] op_sel:[0,1]
	v_pk_fma_f32 v[150:151], v[144:145], v[134:135], v[148:149] op_sel:[0,0,1] op_sel_hi:[1,1,0] neg_lo:[0,0,1] neg_hi:[0,0,1]
	v_pk_fma_f32 v[144:145], v[144:145], v[134:135], v[148:149] op_sel:[0,0,1] op_sel_hi:[1,0,0]
	v_dual_mul_f32 v148, v147, v137 :: v_dual_mov_b32 v144, v147
	s_delay_alu instid0(VALU_DEP_2) | instskip(NEXT) | instid1(VALU_DEP_2)
	v_dual_mov_b32 v151, v145 :: v_dual_mov_b32 v145, v146
	v_pk_fma_f32 v[148:149], v[146:147], v[110:111], v[148:149] op_sel_hi:[1,1,0] neg_lo:[0,0,1] neg_hi:[0,0,1]
	v_mul_f32_e32 v146, v147, v134
	s_delay_alu instid0(VALU_DEP_3) | instskip(NEXT) | instid1(VALU_DEP_2)
	v_pk_add_f32 v[8:9], v[8:9], v[150:151] neg_lo:[0,1] neg_hi:[0,1]
	v_pk_fma_f32 v[144:145], v[144:145], v[110:111], v[146:147] op_sel_hi:[1,1,0]
	s_delay_alu instid0(VALU_DEP_1) | instskip(SKIP_4) | instid1(VALU_DEP_1)
	v_mov_b32_e32 v149, v145
	ds_load_2addr_b64 v[144:147], v138 offset0:57 offset1:58
	v_pk_add_f32 v[32:33], v[32:33], v[148:149] neg_lo:[0,1] neg_hi:[0,1]
	s_wait_dscnt 0x0
	v_pk_mul_f32 v[148:149], v[144:145], v[136:137] op_sel:[0,1]
	v_pk_fma_f32 v[150:151], v[144:145], v[134:135], v[148:149] op_sel:[0,0,1] op_sel_hi:[1,1,0] neg_lo:[0,0,1] neg_hi:[0,0,1]
	v_pk_fma_f32 v[144:145], v[144:145], v[134:135], v[148:149] op_sel:[0,0,1] op_sel_hi:[1,0,0]
	s_delay_alu instid0(VALU_DEP_1) | instskip(SKIP_1) | instid1(VALU_DEP_1)
	v_mov_b32_e32 v151, v145
	v_pk_mul_f32 v[144:145], v[146:147], v[136:137] op_sel:[0,1]
	v_pk_fma_f32 v[148:149], v[146:147], v[134:135], v[144:145] op_sel:[0,0,1] op_sel_hi:[1,1,0] neg_lo:[0,0,1] neg_hi:[0,0,1]
	v_pk_fma_f32 v[144:145], v[146:147], v[134:135], v[144:145] op_sel:[0,0,1] op_sel_hi:[1,0,0]
	s_delay_alu instid0(VALU_DEP_1)
	v_mov_b32_e32 v149, v145
	ds_load_2addr_b64 v[144:147], v138 offset0:59 offset1:60
	v_pk_add_f32 v[28:29], v[28:29], v[150:151] neg_lo:[0,1] neg_hi:[0,1]
	v_pk_add_f32 v[30:31], v[30:31], v[148:149] neg_lo:[0,1] neg_hi:[0,1]
	s_wait_dscnt 0x0
	v_pk_mul_f32 v[148:149], v[144:145], v[136:137] op_sel:[0,1]
	s_delay_alu instid0(VALU_DEP_1) | instskip(SKIP_1) | instid1(VALU_DEP_1)
	v_pk_fma_f32 v[150:151], v[144:145], v[134:135], v[148:149] op_sel:[0,0,1] op_sel_hi:[1,1,0] neg_lo:[0,0,1] neg_hi:[0,0,1]
	v_pk_fma_f32 v[144:145], v[144:145], v[134:135], v[148:149] op_sel:[0,0,1] op_sel_hi:[1,0,0]
	v_mov_b32_e32 v151, v145
	v_pk_mul_f32 v[144:145], v[146:147], v[136:137] op_sel:[0,1]
	s_delay_alu instid0(VALU_DEP_1) | instskip(SKIP_1) | instid1(VALU_DEP_1)
	v_pk_fma_f32 v[148:149], v[146:147], v[134:135], v[144:145] op_sel:[0,0,1] op_sel_hi:[1,1,0] neg_lo:[0,0,1] neg_hi:[0,0,1]
	v_pk_fma_f32 v[144:145], v[146:147], v[134:135], v[144:145] op_sel:[0,0,1] op_sel_hi:[1,0,0]
	v_mov_b32_e32 v149, v145
	ds_load_2addr_b64 v[144:147], v138 offset0:61 offset1:62
	v_pk_add_f32 v[6:7], v[6:7], v[150:151] neg_lo:[0,1] neg_hi:[0,1]
	v_pk_add_f32 v[20:21], v[20:21], v[148:149] neg_lo:[0,1] neg_hi:[0,1]
	s_wait_dscnt 0x0
	v_dual_mul_f32 v148, v145, v137 :: v_dual_mul_f32 v150, v145, v134
	s_delay_alu instid0(VALU_DEP_1) | instskip(NEXT) | instid1(VALU_DEP_2)
	v_pk_fma_f32 v[148:149], v[144:145], v[110:111], v[148:149] op_sel_hi:[1,1,0] neg_lo:[0,0,1] neg_hi:[0,0,1]
	v_pk_fma_f32 v[144:145], v[144:145], v[110:111], v[150:151] op_sel:[1,0,0] op_sel_hi:[0,1,0]
	s_delay_alu instid0(VALU_DEP_1) | instskip(SKIP_1) | instid1(VALU_DEP_2)
	v_mov_b32_e32 v149, v145
	v_pk_mul_f32 v[144:145], v[146:147], v[136:137] op_sel:[0,1]
	v_pk_add_f32 v[14:15], v[14:15], v[148:149] neg_lo:[0,1] neg_hi:[0,1]
	s_delay_alu instid0(VALU_DEP_2) | instskip(SKIP_1) | instid1(VALU_DEP_1)
	v_pk_fma_f32 v[148:149], v[146:147], v[134:135], v[144:145] op_sel:[0,0,1] op_sel_hi:[1,1,0] neg_lo:[0,0,1] neg_hi:[0,0,1]
	v_pk_fma_f32 v[144:145], v[146:147], v[134:135], v[144:145] op_sel:[0,0,1] op_sel_hi:[1,0,0]
	v_mov_b32_e32 v149, v145
	ds_load_b64 v[144:145], v138 offset:504
	v_pk_add_f32 v[10:11], v[10:11], v[148:149] neg_lo:[0,1] neg_hi:[0,1]
	s_wait_dscnt 0x0
	v_pk_mul_f32 v[136:137], v[144:145], v[136:137] op_sel:[0,1]
	s_delay_alu instid0(VALU_DEP_1) | instskip(SKIP_1) | instid1(VALU_DEP_1)
	v_pk_fma_f32 v[146:147], v[144:145], v[134:135], v[136:137] op_sel:[0,0,1] op_sel_hi:[1,1,0] neg_lo:[0,0,1] neg_hi:[0,0,1]
	v_pk_fma_f32 v[134:135], v[144:145], v[134:135], v[136:137] op_sel:[0,0,1] op_sel_hi:[1,0,0]
	v_mov_b32_e32 v147, v135
	s_delay_alu instid0(VALU_DEP_1)
	v_pk_add_f32 v[132:133], v[132:133], v[146:147] neg_lo:[0,1] neg_hi:[0,1]
.LBB126_272:
	s_or_b32 exec_lo, exec_lo, s0
	v_lshl_add_u32 v134, v142, 3, v138
	s_barrier_signal -1
	s_barrier_wait -1
	ds_store_b64 v134, v[106:107]
	s_wait_dscnt 0x0
	s_barrier_signal -1
	s_barrier_wait -1
	ds_load_b64 v[136:137], v138 offset:104
	v_mov_b32_e32 v134, 13
	s_cmp_lt_i32 s18, 15
	s_cbranch_scc1 .LBB126_275
; %bb.273:
	v_add3_u32 v135, v139, 0, 0x70
	v_mov_b32_e32 v134, 13
	s_mov_b32 s0, 14
.LBB126_274:                            ; =>This Inner Loop Header: Depth=1
	ds_load_b64 v[144:145], v135
	s_wait_dscnt 0x1
	v_cmp_gt_f32_e32 vcc_lo, 0, v136
	v_cndmask_b32_e64 v146, v136, -v136, vcc_lo
	v_cmp_gt_f32_e32 vcc_lo, 0, v137
	v_cndmask_b32_e64 v148, v137, -v137, vcc_lo
	s_wait_dscnt 0x0
	v_cmp_gt_f32_e32 vcc_lo, 0, v144
	v_cndmask_b32_e64 v147, v144, -v144, vcc_lo
	v_cmp_gt_f32_e32 vcc_lo, 0, v145
	v_cndmask_b32_e64 v149, v145, -v145, vcc_lo
	s_delay_alu instid0(VALU_DEP_1) | instskip(NEXT) | instid1(VALU_DEP_1)
	v_pk_add_f32 v[146:147], v[146:147], v[148:149]
	v_cmp_lt_f32_e32 vcc_lo, v146, v147
	v_dual_add_nc_u32 v135, 8, v135 :: v_dual_cndmask_b32 v137, v137, v145, vcc_lo
	v_cndmask_b32_e32 v136, v136, v144, vcc_lo
	v_cndmask_b32_e64 v134, v134, s0, vcc_lo
	s_add_co_i32 s0, s0, 1
	s_delay_alu instid0(SALU_CYCLE_1)
	s_cmp_lg_u32 s18, s0
	s_cbranch_scc1 .LBB126_274
.LBB126_275:
	s_wait_dscnt 0x0
	v_cmp_eq_f32_e32 vcc_lo, 0, v136
	v_cmp_eq_f32_e64 s0, 0, v137
	s_and_b32 s0, vcc_lo, s0
	s_delay_alu instid0(SALU_CYCLE_1) | instskip(NEXT) | instid1(SALU_CYCLE_1)
	s_and_saveexec_b32 s1, s0
	s_xor_b32 s0, exec_lo, s1
; %bb.276:
	v_cmp_ne_u32_e32 vcc_lo, 0, v140
	v_cndmask_b32_e32 v140, 14, v140, vcc_lo
; %bb.277:
	s_and_not1_saveexec_b32 s0, s0
	s_cbranch_execz .LBB126_283
; %bb.278:
	v_cmp_ngt_f32_e64 s1, |v136|, |v137|
	s_and_saveexec_b32 s12, s1
	s_delay_alu instid0(SALU_CYCLE_1)
	s_xor_b32 s1, exec_lo, s12
	s_cbranch_execz .LBB126_280
; %bb.279:
	v_div_scale_f32 v135, null, v137, v137, v136
	v_div_scale_f32 v145, vcc_lo, v136, v137, v136
	s_delay_alu instid0(VALU_DEP_2) | instskip(SKIP_1) | instid1(TRANS32_DEP_1)
	v_rcp_f32_e32 v143, v135
	v_nop
	v_fma_f32 v144, -v135, v143, 1.0
	s_delay_alu instid0(VALU_DEP_1) | instskip(NEXT) | instid1(VALU_DEP_1)
	v_fmac_f32_e32 v143, v144, v143
	v_mul_f32_e32 v144, v145, v143
	s_delay_alu instid0(VALU_DEP_1) | instskip(NEXT) | instid1(VALU_DEP_1)
	v_fma_f32 v146, -v135, v144, v145
	v_fmac_f32_e32 v144, v146, v143
	s_delay_alu instid0(VALU_DEP_1) | instskip(NEXT) | instid1(VALU_DEP_1)
	v_fma_f32 v135, -v135, v144, v145
	v_div_fmas_f32 v135, v135, v143, v144
	s_delay_alu instid0(VALU_DEP_1) | instskip(NEXT) | instid1(VALU_DEP_1)
	v_div_fixup_f32 v135, v135, v137, v136
	v_fmac_f32_e32 v137, v136, v135
	s_delay_alu instid0(VALU_DEP_1) | instskip(SKIP_1) | instid1(VALU_DEP_2)
	v_div_scale_f32 v136, null, v137, v137, 1.0
	v_div_scale_f32 v145, vcc_lo, 1.0, v137, 1.0
	v_rcp_f32_e32 v143, v136
	v_nop
	s_delay_alu instid0(TRANS32_DEP_1) | instskip(NEXT) | instid1(VALU_DEP_1)
	v_fma_f32 v144, -v136, v143, 1.0
	v_fmac_f32_e32 v143, v144, v143
	s_delay_alu instid0(VALU_DEP_1) | instskip(NEXT) | instid1(VALU_DEP_1)
	v_mul_f32_e32 v144, v145, v143
	v_fma_f32 v146, -v136, v144, v145
	s_delay_alu instid0(VALU_DEP_1) | instskip(NEXT) | instid1(VALU_DEP_1)
	v_fmac_f32_e32 v144, v146, v143
	v_fma_f32 v136, -v136, v144, v145
	s_delay_alu instid0(VALU_DEP_1) | instskip(NEXT) | instid1(VALU_DEP_1)
	v_div_fmas_f32 v136, v136, v143, v144
	v_div_fixup_f32 v137, v136, v137, 1.0
	s_delay_alu instid0(VALU_DEP_1)
	v_mul_f32_e32 v136, v135, v137
	v_xor_b32_e32 v137, 0x80000000, v137
.LBB126_280:
	s_and_not1_saveexec_b32 s1, s1
	s_cbranch_execz .LBB126_282
; %bb.281:
	s_delay_alu instid0(VALU_DEP_1) | instskip(SKIP_1) | instid1(VALU_DEP_2)
	v_div_scale_f32 v135, null, v136, v136, v137
	v_div_scale_f32 v145, vcc_lo, v137, v136, v137
	v_rcp_f32_e32 v143, v135
	v_nop
	s_delay_alu instid0(TRANS32_DEP_1) | instskip(NEXT) | instid1(VALU_DEP_1)
	v_fma_f32 v144, -v135, v143, 1.0
	v_fmac_f32_e32 v143, v144, v143
	s_delay_alu instid0(VALU_DEP_1) | instskip(NEXT) | instid1(VALU_DEP_1)
	v_mul_f32_e32 v144, v145, v143
	v_fma_f32 v146, -v135, v144, v145
	s_delay_alu instid0(VALU_DEP_1) | instskip(NEXT) | instid1(VALU_DEP_1)
	v_fmac_f32_e32 v144, v146, v143
	v_fma_f32 v135, -v135, v144, v145
	s_delay_alu instid0(VALU_DEP_1) | instskip(NEXT) | instid1(VALU_DEP_1)
	v_div_fmas_f32 v135, v135, v143, v144
	v_div_fixup_f32 v135, v135, v136, v137
	s_delay_alu instid0(VALU_DEP_1) | instskip(NEXT) | instid1(VALU_DEP_1)
	v_fmac_f32_e32 v136, v137, v135
	v_div_scale_f32 v137, null, v136, v136, 1.0
	s_delay_alu instid0(VALU_DEP_1) | instskip(SKIP_1) | instid1(TRANS32_DEP_1)
	v_rcp_f32_e32 v143, v137
	v_nop
	v_fma_f32 v144, -v137, v143, 1.0
	s_delay_alu instid0(VALU_DEP_1) | instskip(SKIP_1) | instid1(VALU_DEP_1)
	v_fmac_f32_e32 v143, v144, v143
	v_div_scale_f32 v144, vcc_lo, 1.0, v136, 1.0
	v_mul_f32_e32 v145, v144, v143
	s_delay_alu instid0(VALU_DEP_1) | instskip(NEXT) | instid1(VALU_DEP_1)
	v_fma_f32 v146, -v137, v145, v144
	v_fmac_f32_e32 v145, v146, v143
	s_delay_alu instid0(VALU_DEP_1) | instskip(NEXT) | instid1(VALU_DEP_1)
	v_fma_f32 v137, -v137, v145, v144
	v_div_fmas_f32 v137, v137, v143, v145
	s_delay_alu instid0(VALU_DEP_1) | instskip(NEXT) | instid1(VALU_DEP_1)
	v_div_fixup_f32 v136, v137, v136, 1.0
	v_mul_f32_e64 v137, v135, -v136
.LBB126_282:
	s_or_b32 exec_lo, exec_lo, s1
.LBB126_283:
	s_delay_alu instid0(SALU_CYCLE_1) | instskip(NEXT) | instid1(SALU_CYCLE_1)
	s_or_b32 exec_lo, exec_lo, s0
	s_mov_b32 s0, exec_lo
	v_cmpx_ne_u32_e64 v142, v134
	s_xor_b32 s0, exec_lo, s0
	s_cbranch_execz .LBB126_289
; %bb.284:
	s_mov_b32 s1, exec_lo
	v_cmpx_eq_u32_e32 13, v142
	s_cbranch_execz .LBB126_288
; %bb.285:
	v_cmp_ne_u32_e32 vcc_lo, 13, v134
	s_xor_b32 s12, s16, -1
	s_delay_alu instid0(SALU_CYCLE_1) | instskip(NEXT) | instid1(SALU_CYCLE_1)
	s_and_b32 s13, s12, vcc_lo
	s_and_saveexec_b32 s12, s13
	s_cbranch_execz .LBB126_287
; %bb.286:
	v_ashrrev_i32_e32 v135, 31, v134
	s_delay_alu instid0(VALU_DEP_1)
	v_lshl_add_u64 v[142:143], v[134:135], 2, v[4:5]
	s_clause 0x1
	global_load_b32 v135, v[142:143], off
	global_load_b32 v141, v[4:5], off offset:52
	s_wait_loadcnt 0x1
	global_store_b32 v[4:5], v135, off offset:52
	s_wait_loadcnt 0x0
	global_store_b32 v[142:143], v141, off
.LBB126_287:
	s_wait_xcnt 0x0
	s_or_b32 exec_lo, exec_lo, s12
	v_dual_mov_b32 v142, v134 :: v_dual_mov_b32 v141, v134
.LBB126_288:
	s_or_b32 exec_lo, exec_lo, s1
.LBB126_289:
	s_and_not1_saveexec_b32 s0, s0
	s_cbranch_execz .LBB126_291
; %bb.290:
	v_dual_mov_b32 v134, v108 :: v_dual_mov_b32 v135, v109
	v_dual_mov_b32 v142, v40 :: v_dual_mov_b32 v143, v41
	ds_store_2addr_b64 v138, v[134:135], v[142:143] offset0:14 offset1:15
	v_dual_mov_b32 v134, v104 :: v_dual_mov_b32 v135, v105
	v_dual_mov_b32 v142, v100 :: v_dual_mov_b32 v143, v101
	ds_store_2addr_b64 v138, v[134:135], v[142:143] offset0:16 offset1:17
	;; [unrolled: 3-line block ×24, first 2 shown]
	v_dual_mov_b32 v134, v10 :: v_dual_mov_b32 v135, v11
	v_mov_b32_e32 v142, 13
	ds_store_2addr_b64 v138, v[134:135], v[132:133] offset0:62 offset1:63
.LBB126_291:
	s_or_b32 exec_lo, exec_lo, s0
	s_delay_alu instid0(SALU_CYCLE_1)
	s_mov_b32 s0, exec_lo
	s_wait_storecnt_dscnt 0x0
	s_barrier_signal -1
	s_barrier_wait -1
	v_cmpx_lt_i32_e32 13, v142
	s_cbranch_execz .LBB126_293
; %bb.292:
	v_pk_mul_f32 v[144:145], v[136:137], v[106:107] op_sel:[1,1] op_sel_hi:[0,1]
	s_delay_alu instid0(VALU_DEP_1)
	v_pk_fma_f32 v[134:135], v[136:137], v[106:107], v[144:145] op_sel_hi:[1,0,1] neg_lo:[0,0,1] neg_hi:[0,0,1]
	v_pk_fma_f32 v[136:137], v[136:137], v[106:107], v[144:145] op_sel_hi:[1,0,1]
	ds_load_2addr_b64 v[144:147], v138 offset0:14 offset1:15
	v_dual_mov_b32 v106, v134 :: v_dual_mov_b32 v107, v137
	s_wait_dscnt 0x0
	v_pk_mul_f32 v[148:149], v[144:145], v[136:137] op_sel:[0,1]
	s_delay_alu instid0(VALU_DEP_1) | instskip(SKIP_1) | instid1(VALU_DEP_1)
	v_pk_fma_f32 v[150:151], v[144:145], v[134:135], v[148:149] op_sel:[0,0,1] op_sel_hi:[1,1,0] neg_lo:[0,0,1] neg_hi:[0,0,1]
	v_pk_fma_f32 v[144:145], v[144:145], v[134:135], v[148:149] op_sel:[0,0,1] op_sel_hi:[1,0,0]
	v_mov_b32_e32 v151, v145
	v_pk_mul_f32 v[144:145], v[146:147], v[136:137] op_sel:[0,1]
	s_delay_alu instid0(VALU_DEP_1) | instskip(SKIP_1) | instid1(VALU_DEP_1)
	v_pk_fma_f32 v[148:149], v[146:147], v[134:135], v[144:145] op_sel:[0,0,1] op_sel_hi:[1,1,0] neg_lo:[0,0,1] neg_hi:[0,0,1]
	v_pk_fma_f32 v[144:145], v[146:147], v[134:135], v[144:145] op_sel:[0,0,1] op_sel_hi:[1,0,0]
	v_mov_b32_e32 v149, v145
	ds_load_2addr_b64 v[144:147], v138 offset0:16 offset1:17
	v_pk_add_f32 v[108:109], v[108:109], v[150:151] neg_lo:[0,1] neg_hi:[0,1]
	v_pk_add_f32 v[40:41], v[40:41], v[148:149] neg_lo:[0,1] neg_hi:[0,1]
	s_wait_dscnt 0x0
	v_pk_mul_f32 v[148:149], v[144:145], v[136:137] op_sel:[0,1]
	s_delay_alu instid0(VALU_DEP_1) | instskip(SKIP_2) | instid1(VALU_DEP_2)
	v_pk_fma_f32 v[150:151], v[144:145], v[134:135], v[148:149] op_sel:[0,0,1] op_sel_hi:[1,1,0] neg_lo:[0,0,1] neg_hi:[0,0,1]
	v_pk_fma_f32 v[144:145], v[144:145], v[134:135], v[148:149] op_sel:[0,0,1] op_sel_hi:[1,0,0]
	v_dual_mul_f32 v148, v147, v137 :: v_dual_mov_b32 v144, v147
	v_dual_mov_b32 v151, v145 :: v_dual_mov_b32 v145, v146
	s_delay_alu instid0(VALU_DEP_2) | instskip(SKIP_1) | instid1(VALU_DEP_3)
	v_pk_fma_f32 v[148:149], v[146:147], v[106:107], v[148:149] op_sel_hi:[1,1,0] neg_lo:[0,0,1] neg_hi:[0,0,1]
	v_mul_f32_e32 v146, v147, v134
	v_pk_add_f32 v[104:105], v[104:105], v[150:151] neg_lo:[0,1] neg_hi:[0,1]
	s_delay_alu instid0(VALU_DEP_2) | instskip(NEXT) | instid1(VALU_DEP_1)
	v_pk_fma_f32 v[144:145], v[144:145], v[106:107], v[146:147] op_sel_hi:[1,1,0]
	v_mov_b32_e32 v149, v145
	ds_load_2addr_b64 v[144:147], v138 offset0:18 offset1:19
	v_pk_add_f32 v[100:101], v[100:101], v[148:149] neg_lo:[0,1] neg_hi:[0,1]
	s_wait_dscnt 0x0
	v_pk_mul_f32 v[148:149], v[144:145], v[136:137] op_sel:[0,1]
	s_delay_alu instid0(VALU_DEP_1) | instskip(SKIP_1) | instid1(VALU_DEP_1)
	v_pk_fma_f32 v[150:151], v[144:145], v[134:135], v[148:149] op_sel:[0,0,1] op_sel_hi:[1,1,0] neg_lo:[0,0,1] neg_hi:[0,0,1]
	v_pk_fma_f32 v[144:145], v[144:145], v[134:135], v[148:149] op_sel:[0,0,1] op_sel_hi:[1,0,0]
	v_mov_b32_e32 v151, v145
	v_pk_mul_f32 v[144:145], v[146:147], v[136:137] op_sel:[0,1]
	s_delay_alu instid0(VALU_DEP_1) | instskip(SKIP_1) | instid1(VALU_DEP_1)
	v_pk_fma_f32 v[148:149], v[146:147], v[134:135], v[144:145] op_sel:[0,0,1] op_sel_hi:[1,1,0] neg_lo:[0,0,1] neg_hi:[0,0,1]
	v_pk_fma_f32 v[144:145], v[146:147], v[134:135], v[144:145] op_sel:[0,0,1] op_sel_hi:[1,0,0]
	v_mov_b32_e32 v149, v145
	ds_load_2addr_b64 v[144:147], v138 offset0:20 offset1:21
	v_pk_add_f32 v[102:103], v[102:103], v[150:151] neg_lo:[0,1] neg_hi:[0,1]
	v_pk_add_f32 v[38:39], v[38:39], v[148:149] neg_lo:[0,1] neg_hi:[0,1]
	s_wait_dscnt 0x0
	v_pk_mul_f32 v[148:149], v[144:145], v[136:137] op_sel:[0,1]
	s_delay_alu instid0(VALU_DEP_1) | instskip(SKIP_1) | instid1(VALU_DEP_1)
	v_pk_fma_f32 v[150:151], v[144:145], v[134:135], v[148:149] op_sel:[0,0,1] op_sel_hi:[1,1,0] neg_lo:[0,0,1] neg_hi:[0,0,1]
	v_pk_fma_f32 v[144:145], v[144:145], v[134:135], v[148:149] op_sel:[0,0,1] op_sel_hi:[1,0,0]
	v_mov_b32_e32 v151, v145
	v_pk_mul_f32 v[144:145], v[146:147], v[136:137] op_sel:[0,1]
	s_delay_alu instid0(VALU_DEP_1) | instskip(SKIP_1) | instid1(VALU_DEP_1)
	v_pk_fma_f32 v[148:149], v[146:147], v[134:135], v[144:145] op_sel:[0,0,1] op_sel_hi:[1,1,0] neg_lo:[0,0,1] neg_hi:[0,0,1]
	v_pk_fma_f32 v[144:145], v[146:147], v[134:135], v[144:145] op_sel:[0,0,1] op_sel_hi:[1,0,0]
	v_mov_b32_e32 v149, v145
	ds_load_2addr_b64 v[144:147], v138 offset0:22 offset1:23
	v_pk_add_f32 v[98:99], v[98:99], v[150:151] neg_lo:[0,1] neg_hi:[0,1]
	v_pk_add_f32 v[94:95], v[94:95], v[148:149] neg_lo:[0,1] neg_hi:[0,1]
	s_wait_dscnt 0x0
	v_dual_mul_f32 v148, v145, v137 :: v_dual_mul_f32 v150, v145, v134
	s_delay_alu instid0(VALU_DEP_1) | instskip(NEXT) | instid1(VALU_DEP_2)
	v_pk_fma_f32 v[148:149], v[144:145], v[106:107], v[148:149] op_sel_hi:[1,1,0] neg_lo:[0,0,1] neg_hi:[0,0,1]
	v_pk_fma_f32 v[144:145], v[144:145], v[106:107], v[150:151] op_sel:[1,0,0] op_sel_hi:[0,1,0]
	s_delay_alu instid0(VALU_DEP_1) | instskip(SKIP_1) | instid1(VALU_DEP_2)
	v_mov_b32_e32 v149, v145
	v_pk_mul_f32 v[144:145], v[146:147], v[136:137] op_sel:[0,1]
	v_pk_add_f32 v[96:97], v[96:97], v[148:149] neg_lo:[0,1] neg_hi:[0,1]
	s_delay_alu instid0(VALU_DEP_2) | instskip(SKIP_1) | instid1(VALU_DEP_1)
	v_pk_fma_f32 v[148:149], v[146:147], v[134:135], v[144:145] op_sel:[0,0,1] op_sel_hi:[1,1,0] neg_lo:[0,0,1] neg_hi:[0,0,1]
	v_pk_fma_f32 v[144:145], v[146:147], v[134:135], v[144:145] op_sel:[0,0,1] op_sel_hi:[1,0,0]
	v_mov_b32_e32 v149, v145
	ds_load_2addr_b64 v[144:147], v138 offset0:24 offset1:25
	v_pk_add_f32 v[36:37], v[36:37], v[148:149] neg_lo:[0,1] neg_hi:[0,1]
	s_wait_dscnt 0x0
	v_pk_mul_f32 v[148:149], v[144:145], v[136:137] op_sel:[0,1]
	s_delay_alu instid0(VALU_DEP_1) | instskip(SKIP_1) | instid1(VALU_DEP_1)
	v_pk_fma_f32 v[150:151], v[144:145], v[134:135], v[148:149] op_sel:[0,0,1] op_sel_hi:[1,1,0] neg_lo:[0,0,1] neg_hi:[0,0,1]
	v_pk_fma_f32 v[144:145], v[144:145], v[134:135], v[148:149] op_sel:[0,0,1] op_sel_hi:[1,0,0]
	v_mov_b32_e32 v151, v145
	v_pk_mul_f32 v[144:145], v[146:147], v[136:137] op_sel:[0,1]
	s_delay_alu instid0(VALU_DEP_2) | instskip(NEXT) | instid1(VALU_DEP_2)
	v_pk_add_f32 v[92:93], v[92:93], v[150:151] neg_lo:[0,1] neg_hi:[0,1]
	v_pk_fma_f32 v[148:149], v[146:147], v[134:135], v[144:145] op_sel:[0,0,1] op_sel_hi:[1,1,0] neg_lo:[0,0,1] neg_hi:[0,0,1]
	v_pk_fma_f32 v[144:145], v[146:147], v[134:135], v[144:145] op_sel:[0,0,1] op_sel_hi:[1,0,0]
	s_delay_alu instid0(VALU_DEP_1) | instskip(SKIP_4) | instid1(VALU_DEP_1)
	v_mov_b32_e32 v149, v145
	ds_load_2addr_b64 v[144:147], v138 offset0:26 offset1:27
	v_pk_add_f32 v[88:89], v[88:89], v[148:149] neg_lo:[0,1] neg_hi:[0,1]
	s_wait_dscnt 0x0
	v_pk_mul_f32 v[148:149], v[144:145], v[136:137] op_sel:[0,1]
	v_pk_fma_f32 v[150:151], v[144:145], v[134:135], v[148:149] op_sel:[0,0,1] op_sel_hi:[1,1,0] neg_lo:[0,0,1] neg_hi:[0,0,1]
	v_pk_fma_f32 v[144:145], v[144:145], v[134:135], v[148:149] op_sel:[0,0,1] op_sel_hi:[1,0,0]
	v_dual_mul_f32 v148, v147, v137 :: v_dual_mov_b32 v144, v147
	s_delay_alu instid0(VALU_DEP_2) | instskip(NEXT) | instid1(VALU_DEP_2)
	v_dual_mov_b32 v151, v145 :: v_dual_mov_b32 v145, v146
	v_pk_fma_f32 v[148:149], v[146:147], v[106:107], v[148:149] op_sel_hi:[1,1,0] neg_lo:[0,0,1] neg_hi:[0,0,1]
	v_mul_f32_e32 v146, v147, v134
	s_delay_alu instid0(VALU_DEP_3) | instskip(NEXT) | instid1(VALU_DEP_2)
	v_pk_add_f32 v[90:91], v[90:91], v[150:151] neg_lo:[0,1] neg_hi:[0,1]
	v_pk_fma_f32 v[144:145], v[144:145], v[106:107], v[146:147] op_sel_hi:[1,1,0]
	s_delay_alu instid0(VALU_DEP_1) | instskip(SKIP_4) | instid1(VALU_DEP_1)
	v_mov_b32_e32 v149, v145
	ds_load_2addr_b64 v[144:147], v138 offset0:28 offset1:29
	v_pk_add_f32 v[34:35], v[34:35], v[148:149] neg_lo:[0,1] neg_hi:[0,1]
	s_wait_dscnt 0x0
	v_pk_mul_f32 v[148:149], v[144:145], v[136:137] op_sel:[0,1]
	v_pk_fma_f32 v[150:151], v[144:145], v[134:135], v[148:149] op_sel:[0,0,1] op_sel_hi:[1,1,0] neg_lo:[0,0,1] neg_hi:[0,0,1]
	v_pk_fma_f32 v[144:145], v[144:145], v[134:135], v[148:149] op_sel:[0,0,1] op_sel_hi:[1,0,0]
	s_delay_alu instid0(VALU_DEP_1) | instskip(SKIP_1) | instid1(VALU_DEP_1)
	v_mov_b32_e32 v151, v145
	v_pk_mul_f32 v[144:145], v[146:147], v[136:137] op_sel:[0,1]
	v_pk_fma_f32 v[148:149], v[146:147], v[134:135], v[144:145] op_sel:[0,0,1] op_sel_hi:[1,1,0] neg_lo:[0,0,1] neg_hi:[0,0,1]
	v_pk_fma_f32 v[144:145], v[146:147], v[134:135], v[144:145] op_sel:[0,0,1] op_sel_hi:[1,0,0]
	s_delay_alu instid0(VALU_DEP_1)
	v_mov_b32_e32 v149, v145
	ds_load_2addr_b64 v[144:147], v138 offset0:30 offset1:31
	v_pk_add_f32 v[86:87], v[86:87], v[150:151] neg_lo:[0,1] neg_hi:[0,1]
	v_pk_add_f32 v[82:83], v[82:83], v[148:149] neg_lo:[0,1] neg_hi:[0,1]
	s_wait_dscnt 0x0
	v_pk_mul_f32 v[148:149], v[144:145], v[136:137] op_sel:[0,1]
	s_delay_alu instid0(VALU_DEP_1) | instskip(SKIP_1) | instid1(VALU_DEP_1)
	v_pk_fma_f32 v[150:151], v[144:145], v[134:135], v[148:149] op_sel:[0,0,1] op_sel_hi:[1,1,0] neg_lo:[0,0,1] neg_hi:[0,0,1]
	v_pk_fma_f32 v[144:145], v[144:145], v[134:135], v[148:149] op_sel:[0,0,1] op_sel_hi:[1,0,0]
	v_mov_b32_e32 v151, v145
	v_pk_mul_f32 v[144:145], v[146:147], v[136:137] op_sel:[0,1]
	s_delay_alu instid0(VALU_DEP_1) | instskip(SKIP_1) | instid1(VALU_DEP_1)
	v_pk_fma_f32 v[148:149], v[146:147], v[134:135], v[144:145] op_sel:[0,0,1] op_sel_hi:[1,1,0] neg_lo:[0,0,1] neg_hi:[0,0,1]
	v_pk_fma_f32 v[144:145], v[146:147], v[134:135], v[144:145] op_sel:[0,0,1] op_sel_hi:[1,0,0]
	v_mov_b32_e32 v149, v145
	ds_load_2addr_b64 v[144:147], v138 offset0:32 offset1:33
	v_pk_add_f32 v[84:85], v[84:85], v[150:151] neg_lo:[0,1] neg_hi:[0,1]
	v_pk_add_f32 v[26:27], v[26:27], v[148:149] neg_lo:[0,1] neg_hi:[0,1]
	s_wait_dscnt 0x0
	v_dual_mul_f32 v148, v145, v137 :: v_dual_mul_f32 v150, v145, v134
	s_delay_alu instid0(VALU_DEP_1) | instskip(NEXT) | instid1(VALU_DEP_2)
	v_pk_fma_f32 v[148:149], v[144:145], v[106:107], v[148:149] op_sel_hi:[1,1,0] neg_lo:[0,0,1] neg_hi:[0,0,1]
	v_pk_fma_f32 v[144:145], v[144:145], v[106:107], v[150:151] op_sel:[1,0,0] op_sel_hi:[0,1,0]
	s_delay_alu instid0(VALU_DEP_1) | instskip(SKIP_1) | instid1(VALU_DEP_2)
	v_mov_b32_e32 v149, v145
	v_pk_mul_f32 v[144:145], v[146:147], v[136:137] op_sel:[0,1]
	v_pk_add_f32 v[80:81], v[80:81], v[148:149] neg_lo:[0,1] neg_hi:[0,1]
	s_delay_alu instid0(VALU_DEP_2) | instskip(SKIP_1) | instid1(VALU_DEP_1)
	v_pk_fma_f32 v[148:149], v[146:147], v[134:135], v[144:145] op_sel:[0,0,1] op_sel_hi:[1,1,0] neg_lo:[0,0,1] neg_hi:[0,0,1]
	v_pk_fma_f32 v[144:145], v[146:147], v[134:135], v[144:145] op_sel:[0,0,1] op_sel_hi:[1,0,0]
	v_mov_b32_e32 v149, v145
	ds_load_2addr_b64 v[144:147], v138 offset0:34 offset1:35
	v_pk_add_f32 v[76:77], v[76:77], v[148:149] neg_lo:[0,1] neg_hi:[0,1]
	s_wait_dscnt 0x0
	v_pk_mul_f32 v[148:149], v[144:145], v[136:137] op_sel:[0,1]
	s_delay_alu instid0(VALU_DEP_1) | instskip(SKIP_1) | instid1(VALU_DEP_1)
	v_pk_fma_f32 v[150:151], v[144:145], v[134:135], v[148:149] op_sel:[0,0,1] op_sel_hi:[1,1,0] neg_lo:[0,0,1] neg_hi:[0,0,1]
	v_pk_fma_f32 v[144:145], v[144:145], v[134:135], v[148:149] op_sel:[0,0,1] op_sel_hi:[1,0,0]
	v_mov_b32_e32 v151, v145
	v_pk_mul_f32 v[144:145], v[146:147], v[136:137] op_sel:[0,1]
	s_delay_alu instid0(VALU_DEP_2) | instskip(NEXT) | instid1(VALU_DEP_2)
	v_pk_add_f32 v[78:79], v[78:79], v[150:151] neg_lo:[0,1] neg_hi:[0,1]
	v_pk_fma_f32 v[148:149], v[146:147], v[134:135], v[144:145] op_sel:[0,0,1] op_sel_hi:[1,1,0] neg_lo:[0,0,1] neg_hi:[0,0,1]
	v_pk_fma_f32 v[144:145], v[146:147], v[134:135], v[144:145] op_sel:[0,0,1] op_sel_hi:[1,0,0]
	s_delay_alu instid0(VALU_DEP_1) | instskip(SKIP_4) | instid1(VALU_DEP_1)
	v_mov_b32_e32 v149, v145
	ds_load_2addr_b64 v[144:147], v138 offset0:36 offset1:37
	v_pk_add_f32 v[24:25], v[24:25], v[148:149] neg_lo:[0,1] neg_hi:[0,1]
	s_wait_dscnt 0x0
	v_pk_mul_f32 v[148:149], v[144:145], v[136:137] op_sel:[0,1]
	v_pk_fma_f32 v[150:151], v[144:145], v[134:135], v[148:149] op_sel:[0,0,1] op_sel_hi:[1,1,0] neg_lo:[0,0,1] neg_hi:[0,0,1]
	v_pk_fma_f32 v[144:145], v[144:145], v[134:135], v[148:149] op_sel:[0,0,1] op_sel_hi:[1,0,0]
	v_dual_mul_f32 v148, v147, v137 :: v_dual_mov_b32 v144, v147
	s_delay_alu instid0(VALU_DEP_2) | instskip(NEXT) | instid1(VALU_DEP_2)
	v_dual_mov_b32 v151, v145 :: v_dual_mov_b32 v145, v146
	v_pk_fma_f32 v[148:149], v[146:147], v[106:107], v[148:149] op_sel_hi:[1,1,0] neg_lo:[0,0,1] neg_hi:[0,0,1]
	v_mul_f32_e32 v146, v147, v134
	s_delay_alu instid0(VALU_DEP_3) | instskip(NEXT) | instid1(VALU_DEP_2)
	v_pk_add_f32 v[74:75], v[74:75], v[150:151] neg_lo:[0,1] neg_hi:[0,1]
	v_pk_fma_f32 v[144:145], v[144:145], v[106:107], v[146:147] op_sel_hi:[1,1,0]
	s_delay_alu instid0(VALU_DEP_1) | instskip(SKIP_4) | instid1(VALU_DEP_1)
	v_mov_b32_e32 v149, v145
	ds_load_2addr_b64 v[144:147], v138 offset0:38 offset1:39
	v_pk_add_f32 v[70:71], v[70:71], v[148:149] neg_lo:[0,1] neg_hi:[0,1]
	s_wait_dscnt 0x0
	v_pk_mul_f32 v[148:149], v[144:145], v[136:137] op_sel:[0,1]
	v_pk_fma_f32 v[150:151], v[144:145], v[134:135], v[148:149] op_sel:[0,0,1] op_sel_hi:[1,1,0] neg_lo:[0,0,1] neg_hi:[0,0,1]
	v_pk_fma_f32 v[144:145], v[144:145], v[134:135], v[148:149] op_sel:[0,0,1] op_sel_hi:[1,0,0]
	s_delay_alu instid0(VALU_DEP_1) | instskip(SKIP_1) | instid1(VALU_DEP_1)
	v_mov_b32_e32 v151, v145
	v_pk_mul_f32 v[144:145], v[146:147], v[136:137] op_sel:[0,1]
	v_pk_fma_f32 v[148:149], v[146:147], v[134:135], v[144:145] op_sel:[0,0,1] op_sel_hi:[1,1,0] neg_lo:[0,0,1] neg_hi:[0,0,1]
	v_pk_fma_f32 v[144:145], v[146:147], v[134:135], v[144:145] op_sel:[0,0,1] op_sel_hi:[1,0,0]
	s_delay_alu instid0(VALU_DEP_1)
	v_mov_b32_e32 v149, v145
	ds_load_2addr_b64 v[144:147], v138 offset0:40 offset1:41
	v_pk_add_f32 v[72:73], v[72:73], v[150:151] neg_lo:[0,1] neg_hi:[0,1]
	v_pk_add_f32 v[22:23], v[22:23], v[148:149] neg_lo:[0,1] neg_hi:[0,1]
	s_wait_dscnt 0x0
	v_pk_mul_f32 v[148:149], v[144:145], v[136:137] op_sel:[0,1]
	s_delay_alu instid0(VALU_DEP_1) | instskip(SKIP_1) | instid1(VALU_DEP_1)
	v_pk_fma_f32 v[150:151], v[144:145], v[134:135], v[148:149] op_sel:[0,0,1] op_sel_hi:[1,1,0] neg_lo:[0,0,1] neg_hi:[0,0,1]
	v_pk_fma_f32 v[144:145], v[144:145], v[134:135], v[148:149] op_sel:[0,0,1] op_sel_hi:[1,0,0]
	v_mov_b32_e32 v151, v145
	v_pk_mul_f32 v[144:145], v[146:147], v[136:137] op_sel:[0,1]
	s_delay_alu instid0(VALU_DEP_1) | instskip(SKIP_1) | instid1(VALU_DEP_1)
	v_pk_fma_f32 v[148:149], v[146:147], v[134:135], v[144:145] op_sel:[0,0,1] op_sel_hi:[1,1,0] neg_lo:[0,0,1] neg_hi:[0,0,1]
	v_pk_fma_f32 v[144:145], v[146:147], v[134:135], v[144:145] op_sel:[0,0,1] op_sel_hi:[1,0,0]
	v_mov_b32_e32 v149, v145
	ds_load_2addr_b64 v[144:147], v138 offset0:42 offset1:43
	v_pk_add_f32 v[68:69], v[68:69], v[150:151] neg_lo:[0,1] neg_hi:[0,1]
	v_pk_add_f32 v[64:65], v[64:65], v[148:149] neg_lo:[0,1] neg_hi:[0,1]
	s_wait_dscnt 0x0
	v_dual_mul_f32 v148, v145, v137 :: v_dual_mul_f32 v150, v145, v134
	s_delay_alu instid0(VALU_DEP_1) | instskip(NEXT) | instid1(VALU_DEP_2)
	v_pk_fma_f32 v[148:149], v[144:145], v[106:107], v[148:149] op_sel_hi:[1,1,0] neg_lo:[0,0,1] neg_hi:[0,0,1]
	v_pk_fma_f32 v[144:145], v[144:145], v[106:107], v[150:151] op_sel:[1,0,0] op_sel_hi:[0,1,0]
	s_delay_alu instid0(VALU_DEP_1) | instskip(SKIP_1) | instid1(VALU_DEP_2)
	v_mov_b32_e32 v149, v145
	v_pk_mul_f32 v[144:145], v[146:147], v[136:137] op_sel:[0,1]
	v_pk_add_f32 v[66:67], v[66:67], v[148:149] neg_lo:[0,1] neg_hi:[0,1]
	s_delay_alu instid0(VALU_DEP_2) | instskip(SKIP_1) | instid1(VALU_DEP_1)
	v_pk_fma_f32 v[148:149], v[146:147], v[134:135], v[144:145] op_sel:[0,0,1] op_sel_hi:[1,1,0] neg_lo:[0,0,1] neg_hi:[0,0,1]
	v_pk_fma_f32 v[144:145], v[146:147], v[134:135], v[144:145] op_sel:[0,0,1] op_sel_hi:[1,0,0]
	v_mov_b32_e32 v149, v145
	ds_load_2addr_b64 v[144:147], v138 offset0:44 offset1:45
	v_pk_add_f32 v[18:19], v[18:19], v[148:149] neg_lo:[0,1] neg_hi:[0,1]
	s_wait_dscnt 0x0
	v_pk_mul_f32 v[148:149], v[144:145], v[136:137] op_sel:[0,1]
	s_delay_alu instid0(VALU_DEP_1) | instskip(SKIP_1) | instid1(VALU_DEP_1)
	v_pk_fma_f32 v[150:151], v[144:145], v[134:135], v[148:149] op_sel:[0,0,1] op_sel_hi:[1,1,0] neg_lo:[0,0,1] neg_hi:[0,0,1]
	v_pk_fma_f32 v[144:145], v[144:145], v[134:135], v[148:149] op_sel:[0,0,1] op_sel_hi:[1,0,0]
	v_mov_b32_e32 v151, v145
	v_pk_mul_f32 v[144:145], v[146:147], v[136:137] op_sel:[0,1]
	s_delay_alu instid0(VALU_DEP_2) | instskip(NEXT) | instid1(VALU_DEP_2)
	v_pk_add_f32 v[60:61], v[60:61], v[150:151] neg_lo:[0,1] neg_hi:[0,1]
	v_pk_fma_f32 v[148:149], v[146:147], v[134:135], v[144:145] op_sel:[0,0,1] op_sel_hi:[1,1,0] neg_lo:[0,0,1] neg_hi:[0,0,1]
	v_pk_fma_f32 v[144:145], v[146:147], v[134:135], v[144:145] op_sel:[0,0,1] op_sel_hi:[1,0,0]
	s_delay_alu instid0(VALU_DEP_1) | instskip(SKIP_4) | instid1(VALU_DEP_1)
	v_mov_b32_e32 v149, v145
	ds_load_2addr_b64 v[144:147], v138 offset0:46 offset1:47
	v_pk_add_f32 v[56:57], v[56:57], v[148:149] neg_lo:[0,1] neg_hi:[0,1]
	s_wait_dscnt 0x0
	v_pk_mul_f32 v[148:149], v[144:145], v[136:137] op_sel:[0,1]
	v_pk_fma_f32 v[150:151], v[144:145], v[134:135], v[148:149] op_sel:[0,0,1] op_sel_hi:[1,1,0] neg_lo:[0,0,1] neg_hi:[0,0,1]
	v_pk_fma_f32 v[144:145], v[144:145], v[134:135], v[148:149] op_sel:[0,0,1] op_sel_hi:[1,0,0]
	v_dual_mul_f32 v148, v147, v137 :: v_dual_mov_b32 v144, v147
	s_delay_alu instid0(VALU_DEP_2) | instskip(NEXT) | instid1(VALU_DEP_2)
	v_dual_mov_b32 v151, v145 :: v_dual_mov_b32 v145, v146
	v_pk_fma_f32 v[148:149], v[146:147], v[106:107], v[148:149] op_sel_hi:[1,1,0] neg_lo:[0,0,1] neg_hi:[0,0,1]
	v_mul_f32_e32 v146, v147, v134
	s_delay_alu instid0(VALU_DEP_3) | instskip(NEXT) | instid1(VALU_DEP_2)
	v_pk_add_f32 v[58:59], v[58:59], v[150:151] neg_lo:[0,1] neg_hi:[0,1]
	v_pk_fma_f32 v[144:145], v[144:145], v[106:107], v[146:147] op_sel_hi:[1,1,0]
	s_delay_alu instid0(VALU_DEP_1) | instskip(SKIP_4) | instid1(VALU_DEP_1)
	v_mov_b32_e32 v149, v145
	ds_load_2addr_b64 v[144:147], v138 offset0:48 offset1:49
	v_pk_add_f32 v[12:13], v[12:13], v[148:149] neg_lo:[0,1] neg_hi:[0,1]
	s_wait_dscnt 0x0
	v_pk_mul_f32 v[148:149], v[144:145], v[136:137] op_sel:[0,1]
	v_pk_fma_f32 v[150:151], v[144:145], v[134:135], v[148:149] op_sel:[0,0,1] op_sel_hi:[1,1,0] neg_lo:[0,0,1] neg_hi:[0,0,1]
	v_pk_fma_f32 v[144:145], v[144:145], v[134:135], v[148:149] op_sel:[0,0,1] op_sel_hi:[1,0,0]
	s_delay_alu instid0(VALU_DEP_1) | instskip(SKIP_1) | instid1(VALU_DEP_1)
	v_mov_b32_e32 v151, v145
	v_pk_mul_f32 v[144:145], v[146:147], v[136:137] op_sel:[0,1]
	v_pk_fma_f32 v[148:149], v[146:147], v[134:135], v[144:145] op_sel:[0,0,1] op_sel_hi:[1,1,0] neg_lo:[0,0,1] neg_hi:[0,0,1]
	v_pk_fma_f32 v[144:145], v[146:147], v[134:135], v[144:145] op_sel:[0,0,1] op_sel_hi:[1,0,0]
	s_delay_alu instid0(VALU_DEP_1)
	v_mov_b32_e32 v149, v145
	ds_load_2addr_b64 v[144:147], v138 offset0:50 offset1:51
	v_pk_add_f32 v[54:55], v[54:55], v[150:151] neg_lo:[0,1] neg_hi:[0,1]
	v_pk_add_f32 v[52:53], v[52:53], v[148:149] neg_lo:[0,1] neg_hi:[0,1]
	s_wait_dscnt 0x0
	v_pk_mul_f32 v[148:149], v[144:145], v[136:137] op_sel:[0,1]
	s_delay_alu instid0(VALU_DEP_1) | instskip(SKIP_1) | instid1(VALU_DEP_1)
	v_pk_fma_f32 v[150:151], v[144:145], v[134:135], v[148:149] op_sel:[0,0,1] op_sel_hi:[1,1,0] neg_lo:[0,0,1] neg_hi:[0,0,1]
	v_pk_fma_f32 v[144:145], v[144:145], v[134:135], v[148:149] op_sel:[0,0,1] op_sel_hi:[1,0,0]
	v_mov_b32_e32 v151, v145
	v_pk_mul_f32 v[144:145], v[146:147], v[136:137] op_sel:[0,1]
	s_delay_alu instid0(VALU_DEP_1) | instskip(SKIP_1) | instid1(VALU_DEP_1)
	v_pk_fma_f32 v[148:149], v[146:147], v[134:135], v[144:145] op_sel:[0,0,1] op_sel_hi:[1,1,0] neg_lo:[0,0,1] neg_hi:[0,0,1]
	v_pk_fma_f32 v[144:145], v[146:147], v[134:135], v[144:145] op_sel:[0,0,1] op_sel_hi:[1,0,0]
	v_mov_b32_e32 v149, v145
	ds_load_2addr_b64 v[144:147], v138 offset0:52 offset1:53
	v_pk_add_f32 v[62:63], v[62:63], v[150:151] neg_lo:[0,1] neg_hi:[0,1]
	v_pk_add_f32 v[16:17], v[16:17], v[148:149] neg_lo:[0,1] neg_hi:[0,1]
	s_wait_dscnt 0x0
	v_dual_mul_f32 v148, v145, v137 :: v_dual_mul_f32 v150, v145, v134
	s_delay_alu instid0(VALU_DEP_1) | instskip(NEXT) | instid1(VALU_DEP_2)
	v_pk_fma_f32 v[148:149], v[144:145], v[106:107], v[148:149] op_sel_hi:[1,1,0] neg_lo:[0,0,1] neg_hi:[0,0,1]
	v_pk_fma_f32 v[144:145], v[144:145], v[106:107], v[150:151] op_sel:[1,0,0] op_sel_hi:[0,1,0]
	s_delay_alu instid0(VALU_DEP_1) | instskip(SKIP_1) | instid1(VALU_DEP_2)
	v_mov_b32_e32 v149, v145
	v_pk_mul_f32 v[144:145], v[146:147], v[136:137] op_sel:[0,1]
	v_pk_add_f32 v[48:49], v[48:49], v[148:149] neg_lo:[0,1] neg_hi:[0,1]
	s_delay_alu instid0(VALU_DEP_2) | instskip(SKIP_1) | instid1(VALU_DEP_1)
	v_pk_fma_f32 v[148:149], v[146:147], v[134:135], v[144:145] op_sel:[0,0,1] op_sel_hi:[1,1,0] neg_lo:[0,0,1] neg_hi:[0,0,1]
	v_pk_fma_f32 v[144:145], v[146:147], v[134:135], v[144:145] op_sel:[0,0,1] op_sel_hi:[1,0,0]
	v_mov_b32_e32 v149, v145
	ds_load_2addr_b64 v[144:147], v138 offset0:54 offset1:55
	v_pk_add_f32 v[42:43], v[42:43], v[148:149] neg_lo:[0,1] neg_hi:[0,1]
	s_wait_dscnt 0x0
	v_pk_mul_f32 v[148:149], v[144:145], v[136:137] op_sel:[0,1]
	s_delay_alu instid0(VALU_DEP_1) | instskip(SKIP_1) | instid1(VALU_DEP_1)
	v_pk_fma_f32 v[150:151], v[144:145], v[134:135], v[148:149] op_sel:[0,0,1] op_sel_hi:[1,1,0] neg_lo:[0,0,1] neg_hi:[0,0,1]
	v_pk_fma_f32 v[144:145], v[144:145], v[134:135], v[148:149] op_sel:[0,0,1] op_sel_hi:[1,0,0]
	v_mov_b32_e32 v151, v145
	v_pk_mul_f32 v[144:145], v[146:147], v[136:137] op_sel:[0,1]
	s_delay_alu instid0(VALU_DEP_2) | instskip(NEXT) | instid1(VALU_DEP_2)
	v_pk_add_f32 v[46:47], v[46:47], v[150:151] neg_lo:[0,1] neg_hi:[0,1]
	v_pk_fma_f32 v[148:149], v[146:147], v[134:135], v[144:145] op_sel:[0,0,1] op_sel_hi:[1,1,0] neg_lo:[0,0,1] neg_hi:[0,0,1]
	v_pk_fma_f32 v[144:145], v[146:147], v[134:135], v[144:145] op_sel:[0,0,1] op_sel_hi:[1,0,0]
	s_delay_alu instid0(VALU_DEP_1) | instskip(SKIP_4) | instid1(VALU_DEP_1)
	v_mov_b32_e32 v149, v145
	ds_load_2addr_b64 v[144:147], v138 offset0:56 offset1:57
	v_pk_add_f32 v[8:9], v[8:9], v[148:149] neg_lo:[0,1] neg_hi:[0,1]
	s_wait_dscnt 0x0
	v_pk_mul_f32 v[148:149], v[144:145], v[136:137] op_sel:[0,1]
	v_pk_fma_f32 v[150:151], v[144:145], v[134:135], v[148:149] op_sel:[0,0,1] op_sel_hi:[1,1,0] neg_lo:[0,0,1] neg_hi:[0,0,1]
	v_pk_fma_f32 v[144:145], v[144:145], v[134:135], v[148:149] op_sel:[0,0,1] op_sel_hi:[1,0,0]
	v_dual_mul_f32 v148, v147, v137 :: v_dual_mov_b32 v144, v147
	s_delay_alu instid0(VALU_DEP_2) | instskip(NEXT) | instid1(VALU_DEP_2)
	v_dual_mov_b32 v151, v145 :: v_dual_mov_b32 v145, v146
	v_pk_fma_f32 v[148:149], v[146:147], v[106:107], v[148:149] op_sel_hi:[1,1,0] neg_lo:[0,0,1] neg_hi:[0,0,1]
	v_mul_f32_e32 v146, v147, v134
	s_delay_alu instid0(VALU_DEP_3) | instskip(NEXT) | instid1(VALU_DEP_2)
	v_pk_add_f32 v[32:33], v[32:33], v[150:151] neg_lo:[0,1] neg_hi:[0,1]
	v_pk_fma_f32 v[144:145], v[144:145], v[106:107], v[146:147] op_sel_hi:[1,1,0]
	s_delay_alu instid0(VALU_DEP_1) | instskip(SKIP_4) | instid1(VALU_DEP_1)
	v_mov_b32_e32 v149, v145
	ds_load_2addr_b64 v[144:147], v138 offset0:58 offset1:59
	v_pk_add_f32 v[28:29], v[28:29], v[148:149] neg_lo:[0,1] neg_hi:[0,1]
	s_wait_dscnt 0x0
	v_pk_mul_f32 v[148:149], v[144:145], v[136:137] op_sel:[0,1]
	v_pk_fma_f32 v[150:151], v[144:145], v[134:135], v[148:149] op_sel:[0,0,1] op_sel_hi:[1,1,0] neg_lo:[0,0,1] neg_hi:[0,0,1]
	v_pk_fma_f32 v[144:145], v[144:145], v[134:135], v[148:149] op_sel:[0,0,1] op_sel_hi:[1,0,0]
	s_delay_alu instid0(VALU_DEP_1) | instskip(SKIP_1) | instid1(VALU_DEP_1)
	v_mov_b32_e32 v151, v145
	v_pk_mul_f32 v[144:145], v[146:147], v[136:137] op_sel:[0,1]
	v_pk_fma_f32 v[148:149], v[146:147], v[134:135], v[144:145] op_sel:[0,0,1] op_sel_hi:[1,1,0] neg_lo:[0,0,1] neg_hi:[0,0,1]
	v_pk_fma_f32 v[144:145], v[146:147], v[134:135], v[144:145] op_sel:[0,0,1] op_sel_hi:[1,0,0]
	s_delay_alu instid0(VALU_DEP_1)
	v_mov_b32_e32 v149, v145
	ds_load_2addr_b64 v[144:147], v138 offset0:60 offset1:61
	v_pk_add_f32 v[30:31], v[30:31], v[150:151] neg_lo:[0,1] neg_hi:[0,1]
	v_pk_add_f32 v[6:7], v[6:7], v[148:149] neg_lo:[0,1] neg_hi:[0,1]
	s_wait_dscnt 0x0
	v_pk_mul_f32 v[148:149], v[144:145], v[136:137] op_sel:[0,1]
	s_delay_alu instid0(VALU_DEP_1) | instskip(SKIP_1) | instid1(VALU_DEP_1)
	v_pk_fma_f32 v[150:151], v[144:145], v[134:135], v[148:149] op_sel:[0,0,1] op_sel_hi:[1,1,0] neg_lo:[0,0,1] neg_hi:[0,0,1]
	v_pk_fma_f32 v[144:145], v[144:145], v[134:135], v[148:149] op_sel:[0,0,1] op_sel_hi:[1,0,0]
	v_mov_b32_e32 v151, v145
	v_pk_mul_f32 v[144:145], v[146:147], v[136:137] op_sel:[0,1]
	s_delay_alu instid0(VALU_DEP_1) | instskip(SKIP_1) | instid1(VALU_DEP_1)
	v_pk_fma_f32 v[148:149], v[146:147], v[134:135], v[144:145] op_sel:[0,0,1] op_sel_hi:[1,1,0] neg_lo:[0,0,1] neg_hi:[0,0,1]
	v_pk_fma_f32 v[144:145], v[146:147], v[134:135], v[144:145] op_sel:[0,0,1] op_sel_hi:[1,0,0]
	v_mov_b32_e32 v149, v145
	ds_load_2addr_b64 v[144:147], v138 offset0:62 offset1:63
	v_pk_add_f32 v[20:21], v[20:21], v[150:151] neg_lo:[0,1] neg_hi:[0,1]
	v_pk_add_f32 v[14:15], v[14:15], v[148:149] neg_lo:[0,1] neg_hi:[0,1]
	s_wait_dscnt 0x0
	v_dual_mul_f32 v148, v145, v137 :: v_dual_mul_f32 v150, v145, v134
	v_pk_mul_f32 v[136:137], v[146:147], v[136:137] op_sel:[0,1]
	s_delay_alu instid0(VALU_DEP_2) | instskip(NEXT) | instid1(VALU_DEP_3)
	v_pk_fma_f32 v[148:149], v[144:145], v[106:107], v[148:149] op_sel_hi:[1,1,0] neg_lo:[0,0,1] neg_hi:[0,0,1]
	v_pk_fma_f32 v[144:145], v[144:145], v[106:107], v[150:151] op_sel:[1,0,0] op_sel_hi:[0,1,0]
	s_delay_alu instid0(VALU_DEP_1) | instskip(NEXT) | instid1(VALU_DEP_4)
	v_mov_b32_e32 v149, v145
	v_pk_fma_f32 v[144:145], v[146:147], v[134:135], v[136:137] op_sel:[0,0,1] op_sel_hi:[1,1,0] neg_lo:[0,0,1] neg_hi:[0,0,1]
	v_pk_fma_f32 v[134:135], v[146:147], v[134:135], v[136:137] op_sel:[0,0,1] op_sel_hi:[1,0,0]
	s_delay_alu instid0(VALU_DEP_1) | instskip(NEXT) | instid1(VALU_DEP_4)
	v_mov_b32_e32 v145, v135
	v_pk_add_f32 v[10:11], v[10:11], v[148:149] neg_lo:[0,1] neg_hi:[0,1]
	s_delay_alu instid0(VALU_DEP_2)
	v_pk_add_f32 v[132:133], v[132:133], v[144:145] neg_lo:[0,1] neg_hi:[0,1]
.LBB126_293:
	s_or_b32 exec_lo, exec_lo, s0
	v_lshl_add_u32 v134, v142, 3, v138
	s_barrier_signal -1
	s_barrier_wait -1
	ds_store_b64 v134, v[108:109]
	s_wait_dscnt 0x0
	s_barrier_signal -1
	s_barrier_wait -1
	ds_load_b64 v[136:137], v138 offset:112
	v_mov_b32_e32 v134, 14
	s_cmp_lt_i32 s18, 16
	s_cbranch_scc1 .LBB126_296
; %bb.294:
	v_add3_u32 v135, v139, 0, 0x78
	v_mov_b32_e32 v134, 14
	s_mov_b32 s0, 15
.LBB126_295:                            ; =>This Inner Loop Header: Depth=1
	ds_load_b64 v[144:145], v135
	s_wait_dscnt 0x1
	v_cmp_gt_f32_e32 vcc_lo, 0, v136
	v_cndmask_b32_e64 v146, v136, -v136, vcc_lo
	v_cmp_gt_f32_e32 vcc_lo, 0, v137
	v_cndmask_b32_e64 v148, v137, -v137, vcc_lo
	s_wait_dscnt 0x0
	v_cmp_gt_f32_e32 vcc_lo, 0, v144
	v_cndmask_b32_e64 v147, v144, -v144, vcc_lo
	v_cmp_gt_f32_e32 vcc_lo, 0, v145
	v_cndmask_b32_e64 v149, v145, -v145, vcc_lo
	s_delay_alu instid0(VALU_DEP_1) | instskip(NEXT) | instid1(VALU_DEP_1)
	v_pk_add_f32 v[146:147], v[146:147], v[148:149]
	v_cmp_lt_f32_e32 vcc_lo, v146, v147
	v_dual_add_nc_u32 v135, 8, v135 :: v_dual_cndmask_b32 v137, v137, v145, vcc_lo
	v_cndmask_b32_e32 v136, v136, v144, vcc_lo
	v_cndmask_b32_e64 v134, v134, s0, vcc_lo
	s_add_co_i32 s0, s0, 1
	s_delay_alu instid0(SALU_CYCLE_1)
	s_cmp_lg_u32 s18, s0
	s_cbranch_scc1 .LBB126_295
.LBB126_296:
	s_wait_dscnt 0x0
	v_cmp_eq_f32_e32 vcc_lo, 0, v136
	v_cmp_eq_f32_e64 s0, 0, v137
	s_and_b32 s0, vcc_lo, s0
	s_delay_alu instid0(SALU_CYCLE_1) | instskip(NEXT) | instid1(SALU_CYCLE_1)
	s_and_saveexec_b32 s1, s0
	s_xor_b32 s0, exec_lo, s1
; %bb.297:
	v_cmp_ne_u32_e32 vcc_lo, 0, v140
	v_cndmask_b32_e32 v140, 15, v140, vcc_lo
; %bb.298:
	s_and_not1_saveexec_b32 s0, s0
	s_cbranch_execz .LBB126_304
; %bb.299:
	v_cmp_ngt_f32_e64 s1, |v136|, |v137|
	s_and_saveexec_b32 s12, s1
	s_delay_alu instid0(SALU_CYCLE_1)
	s_xor_b32 s1, exec_lo, s12
	s_cbranch_execz .LBB126_301
; %bb.300:
	v_div_scale_f32 v135, null, v137, v137, v136
	v_div_scale_f32 v145, vcc_lo, v136, v137, v136
	s_delay_alu instid0(VALU_DEP_2) | instskip(SKIP_1) | instid1(TRANS32_DEP_1)
	v_rcp_f32_e32 v143, v135
	v_nop
	v_fma_f32 v144, -v135, v143, 1.0
	s_delay_alu instid0(VALU_DEP_1) | instskip(NEXT) | instid1(VALU_DEP_1)
	v_fmac_f32_e32 v143, v144, v143
	v_mul_f32_e32 v144, v145, v143
	s_delay_alu instid0(VALU_DEP_1) | instskip(NEXT) | instid1(VALU_DEP_1)
	v_fma_f32 v146, -v135, v144, v145
	v_fmac_f32_e32 v144, v146, v143
	s_delay_alu instid0(VALU_DEP_1) | instskip(NEXT) | instid1(VALU_DEP_1)
	v_fma_f32 v135, -v135, v144, v145
	v_div_fmas_f32 v135, v135, v143, v144
	s_delay_alu instid0(VALU_DEP_1) | instskip(NEXT) | instid1(VALU_DEP_1)
	v_div_fixup_f32 v135, v135, v137, v136
	v_fmac_f32_e32 v137, v136, v135
	s_delay_alu instid0(VALU_DEP_1) | instskip(SKIP_1) | instid1(VALU_DEP_2)
	v_div_scale_f32 v136, null, v137, v137, 1.0
	v_div_scale_f32 v145, vcc_lo, 1.0, v137, 1.0
	v_rcp_f32_e32 v143, v136
	v_nop
	s_delay_alu instid0(TRANS32_DEP_1) | instskip(NEXT) | instid1(VALU_DEP_1)
	v_fma_f32 v144, -v136, v143, 1.0
	v_fmac_f32_e32 v143, v144, v143
	s_delay_alu instid0(VALU_DEP_1) | instskip(NEXT) | instid1(VALU_DEP_1)
	v_mul_f32_e32 v144, v145, v143
	v_fma_f32 v146, -v136, v144, v145
	s_delay_alu instid0(VALU_DEP_1) | instskip(NEXT) | instid1(VALU_DEP_1)
	v_fmac_f32_e32 v144, v146, v143
	v_fma_f32 v136, -v136, v144, v145
	s_delay_alu instid0(VALU_DEP_1) | instskip(NEXT) | instid1(VALU_DEP_1)
	v_div_fmas_f32 v136, v136, v143, v144
	v_div_fixup_f32 v137, v136, v137, 1.0
	s_delay_alu instid0(VALU_DEP_1)
	v_mul_f32_e32 v136, v135, v137
	v_xor_b32_e32 v137, 0x80000000, v137
.LBB126_301:
	s_and_not1_saveexec_b32 s1, s1
	s_cbranch_execz .LBB126_303
; %bb.302:
	s_delay_alu instid0(VALU_DEP_1) | instskip(SKIP_1) | instid1(VALU_DEP_2)
	v_div_scale_f32 v135, null, v136, v136, v137
	v_div_scale_f32 v145, vcc_lo, v137, v136, v137
	v_rcp_f32_e32 v143, v135
	v_nop
	s_delay_alu instid0(TRANS32_DEP_1) | instskip(NEXT) | instid1(VALU_DEP_1)
	v_fma_f32 v144, -v135, v143, 1.0
	v_fmac_f32_e32 v143, v144, v143
	s_delay_alu instid0(VALU_DEP_1) | instskip(NEXT) | instid1(VALU_DEP_1)
	v_mul_f32_e32 v144, v145, v143
	v_fma_f32 v146, -v135, v144, v145
	s_delay_alu instid0(VALU_DEP_1) | instskip(NEXT) | instid1(VALU_DEP_1)
	v_fmac_f32_e32 v144, v146, v143
	v_fma_f32 v135, -v135, v144, v145
	s_delay_alu instid0(VALU_DEP_1) | instskip(NEXT) | instid1(VALU_DEP_1)
	v_div_fmas_f32 v135, v135, v143, v144
	v_div_fixup_f32 v135, v135, v136, v137
	s_delay_alu instid0(VALU_DEP_1) | instskip(NEXT) | instid1(VALU_DEP_1)
	v_fmac_f32_e32 v136, v137, v135
	v_div_scale_f32 v137, null, v136, v136, 1.0
	s_delay_alu instid0(VALU_DEP_1) | instskip(SKIP_1) | instid1(TRANS32_DEP_1)
	v_rcp_f32_e32 v143, v137
	v_nop
	v_fma_f32 v144, -v137, v143, 1.0
	s_delay_alu instid0(VALU_DEP_1) | instskip(SKIP_1) | instid1(VALU_DEP_1)
	v_fmac_f32_e32 v143, v144, v143
	v_div_scale_f32 v144, vcc_lo, 1.0, v136, 1.0
	v_mul_f32_e32 v145, v144, v143
	s_delay_alu instid0(VALU_DEP_1) | instskip(NEXT) | instid1(VALU_DEP_1)
	v_fma_f32 v146, -v137, v145, v144
	v_fmac_f32_e32 v145, v146, v143
	s_delay_alu instid0(VALU_DEP_1) | instskip(NEXT) | instid1(VALU_DEP_1)
	v_fma_f32 v137, -v137, v145, v144
	v_div_fmas_f32 v137, v137, v143, v145
	s_delay_alu instid0(VALU_DEP_1) | instskip(NEXT) | instid1(VALU_DEP_1)
	v_div_fixup_f32 v136, v137, v136, 1.0
	v_mul_f32_e64 v137, v135, -v136
.LBB126_303:
	s_or_b32 exec_lo, exec_lo, s1
.LBB126_304:
	s_delay_alu instid0(SALU_CYCLE_1) | instskip(NEXT) | instid1(SALU_CYCLE_1)
	s_or_b32 exec_lo, exec_lo, s0
	s_mov_b32 s0, exec_lo
	v_cmpx_ne_u32_e64 v142, v134
	s_xor_b32 s0, exec_lo, s0
	s_cbranch_execz .LBB126_310
; %bb.305:
	s_mov_b32 s1, exec_lo
	v_cmpx_eq_u32_e32 14, v142
	s_cbranch_execz .LBB126_309
; %bb.306:
	v_cmp_ne_u32_e32 vcc_lo, 14, v134
	s_xor_b32 s12, s16, -1
	s_delay_alu instid0(SALU_CYCLE_1) | instskip(NEXT) | instid1(SALU_CYCLE_1)
	s_and_b32 s13, s12, vcc_lo
	s_and_saveexec_b32 s12, s13
	s_cbranch_execz .LBB126_308
; %bb.307:
	v_ashrrev_i32_e32 v135, 31, v134
	s_delay_alu instid0(VALU_DEP_1)
	v_lshl_add_u64 v[142:143], v[134:135], 2, v[4:5]
	s_clause 0x1
	global_load_b32 v135, v[142:143], off
	global_load_b32 v141, v[4:5], off offset:56
	s_wait_loadcnt 0x1
	global_store_b32 v[4:5], v135, off offset:56
	s_wait_loadcnt 0x0
	global_store_b32 v[142:143], v141, off
.LBB126_308:
	s_wait_xcnt 0x0
	s_or_b32 exec_lo, exec_lo, s12
	v_dual_mov_b32 v142, v134 :: v_dual_mov_b32 v141, v134
.LBB126_309:
	s_or_b32 exec_lo, exec_lo, s1
.LBB126_310:
	s_and_not1_saveexec_b32 s0, s0
	s_cbranch_execz .LBB126_312
; %bb.311:
	v_mov_b32_e32 v142, 14
	ds_store_2addr_b64 v138, v[40:41], v[104:105] offset0:15 offset1:16
	ds_store_2addr_b64 v138, v[100:101], v[102:103] offset0:17 offset1:18
	;; [unrolled: 1-line block ×24, first 2 shown]
	ds_store_b64 v138, v[132:133] offset:504
.LBB126_312:
	s_or_b32 exec_lo, exec_lo, s0
	s_delay_alu instid0(SALU_CYCLE_1)
	s_mov_b32 s0, exec_lo
	s_wait_storecnt_dscnt 0x0
	s_barrier_signal -1
	s_barrier_wait -1
	v_cmpx_lt_i32_e32 14, v142
	s_cbranch_execz .LBB126_314
; %bb.313:
	v_pk_mul_f32 v[144:145], v[136:137], v[108:109] op_sel:[1,1] op_sel_hi:[0,1]
	s_delay_alu instid0(VALU_DEP_1)
	v_pk_fma_f32 v[134:135], v[136:137], v[108:109], v[144:145] op_sel_hi:[1,0,1] neg_lo:[0,0,1] neg_hi:[0,0,1]
	v_pk_fma_f32 v[136:137], v[136:137], v[108:109], v[144:145] op_sel_hi:[1,0,1]
	ds_load_2addr_b64 v[144:147], v138 offset0:15 offset1:16
	v_dual_mov_b32 v108, v134 :: v_dual_mov_b32 v109, v137
	s_wait_dscnt 0x0
	v_pk_mul_f32 v[148:149], v[144:145], v[136:137] op_sel:[0,1]
	s_delay_alu instid0(VALU_DEP_1) | instskip(SKIP_1) | instid1(VALU_DEP_1)
	v_pk_fma_f32 v[150:151], v[144:145], v[134:135], v[148:149] op_sel:[0,0,1] op_sel_hi:[1,1,0] neg_lo:[0,0,1] neg_hi:[0,0,1]
	v_pk_fma_f32 v[144:145], v[144:145], v[134:135], v[148:149] op_sel:[0,0,1] op_sel_hi:[1,0,0]
	v_mov_b32_e32 v151, v145
	v_pk_mul_f32 v[144:145], v[146:147], v[136:137] op_sel:[0,1]
	s_delay_alu instid0(VALU_DEP_1) | instskip(SKIP_1) | instid1(VALU_DEP_1)
	v_pk_fma_f32 v[148:149], v[146:147], v[134:135], v[144:145] op_sel:[0,0,1] op_sel_hi:[1,1,0] neg_lo:[0,0,1] neg_hi:[0,0,1]
	v_pk_fma_f32 v[144:145], v[146:147], v[134:135], v[144:145] op_sel:[0,0,1] op_sel_hi:[1,0,0]
	v_mov_b32_e32 v149, v145
	ds_load_2addr_b64 v[144:147], v138 offset0:17 offset1:18
	v_pk_add_f32 v[40:41], v[40:41], v[150:151] neg_lo:[0,1] neg_hi:[0,1]
	v_pk_add_f32 v[104:105], v[104:105], v[148:149] neg_lo:[0,1] neg_hi:[0,1]
	s_wait_dscnt 0x0
	v_pk_mul_f32 v[148:149], v[144:145], v[136:137] op_sel:[0,1]
	s_delay_alu instid0(VALU_DEP_1) | instskip(SKIP_2) | instid1(VALU_DEP_2)
	v_pk_fma_f32 v[150:151], v[144:145], v[134:135], v[148:149] op_sel:[0,0,1] op_sel_hi:[1,1,0] neg_lo:[0,0,1] neg_hi:[0,0,1]
	v_pk_fma_f32 v[144:145], v[144:145], v[134:135], v[148:149] op_sel:[0,0,1] op_sel_hi:[1,0,0]
	v_dual_mul_f32 v148, v147, v137 :: v_dual_mov_b32 v144, v147
	v_dual_mov_b32 v151, v145 :: v_dual_mov_b32 v145, v146
	s_delay_alu instid0(VALU_DEP_2) | instskip(SKIP_1) | instid1(VALU_DEP_3)
	v_pk_fma_f32 v[148:149], v[146:147], v[108:109], v[148:149] op_sel_hi:[1,1,0] neg_lo:[0,0,1] neg_hi:[0,0,1]
	v_mul_f32_e32 v146, v147, v134
	v_pk_add_f32 v[100:101], v[100:101], v[150:151] neg_lo:[0,1] neg_hi:[0,1]
	s_delay_alu instid0(VALU_DEP_2) | instskip(NEXT) | instid1(VALU_DEP_1)
	v_pk_fma_f32 v[144:145], v[144:145], v[108:109], v[146:147] op_sel_hi:[1,1,0]
	v_mov_b32_e32 v149, v145
	ds_load_2addr_b64 v[144:147], v138 offset0:19 offset1:20
	v_pk_add_f32 v[102:103], v[102:103], v[148:149] neg_lo:[0,1] neg_hi:[0,1]
	s_wait_dscnt 0x0
	v_pk_mul_f32 v[148:149], v[144:145], v[136:137] op_sel:[0,1]
	s_delay_alu instid0(VALU_DEP_1) | instskip(SKIP_1) | instid1(VALU_DEP_1)
	v_pk_fma_f32 v[150:151], v[144:145], v[134:135], v[148:149] op_sel:[0,0,1] op_sel_hi:[1,1,0] neg_lo:[0,0,1] neg_hi:[0,0,1]
	v_pk_fma_f32 v[144:145], v[144:145], v[134:135], v[148:149] op_sel:[0,0,1] op_sel_hi:[1,0,0]
	v_mov_b32_e32 v151, v145
	v_pk_mul_f32 v[144:145], v[146:147], v[136:137] op_sel:[0,1]
	s_delay_alu instid0(VALU_DEP_1) | instskip(SKIP_1) | instid1(VALU_DEP_1)
	v_pk_fma_f32 v[148:149], v[146:147], v[134:135], v[144:145] op_sel:[0,0,1] op_sel_hi:[1,1,0] neg_lo:[0,0,1] neg_hi:[0,0,1]
	v_pk_fma_f32 v[144:145], v[146:147], v[134:135], v[144:145] op_sel:[0,0,1] op_sel_hi:[1,0,0]
	v_mov_b32_e32 v149, v145
	ds_load_2addr_b64 v[144:147], v138 offset0:21 offset1:22
	v_pk_add_f32 v[38:39], v[38:39], v[150:151] neg_lo:[0,1] neg_hi:[0,1]
	v_pk_add_f32 v[98:99], v[98:99], v[148:149] neg_lo:[0,1] neg_hi:[0,1]
	s_wait_dscnt 0x0
	v_pk_mul_f32 v[148:149], v[144:145], v[136:137] op_sel:[0,1]
	s_delay_alu instid0(VALU_DEP_1) | instskip(SKIP_1) | instid1(VALU_DEP_1)
	v_pk_fma_f32 v[150:151], v[144:145], v[134:135], v[148:149] op_sel:[0,0,1] op_sel_hi:[1,1,0] neg_lo:[0,0,1] neg_hi:[0,0,1]
	v_pk_fma_f32 v[144:145], v[144:145], v[134:135], v[148:149] op_sel:[0,0,1] op_sel_hi:[1,0,0]
	v_mov_b32_e32 v151, v145
	v_pk_mul_f32 v[144:145], v[146:147], v[136:137] op_sel:[0,1]
	s_delay_alu instid0(VALU_DEP_1) | instskip(SKIP_1) | instid1(VALU_DEP_1)
	v_pk_fma_f32 v[148:149], v[146:147], v[134:135], v[144:145] op_sel:[0,0,1] op_sel_hi:[1,1,0] neg_lo:[0,0,1] neg_hi:[0,0,1]
	v_pk_fma_f32 v[144:145], v[146:147], v[134:135], v[144:145] op_sel:[0,0,1] op_sel_hi:[1,0,0]
	v_mov_b32_e32 v149, v145
	ds_load_2addr_b64 v[144:147], v138 offset0:23 offset1:24
	v_pk_add_f32 v[94:95], v[94:95], v[150:151] neg_lo:[0,1] neg_hi:[0,1]
	v_pk_add_f32 v[96:97], v[96:97], v[148:149] neg_lo:[0,1] neg_hi:[0,1]
	s_wait_dscnt 0x0
	v_dual_mul_f32 v148, v145, v137 :: v_dual_mul_f32 v150, v145, v134
	s_delay_alu instid0(VALU_DEP_1) | instskip(NEXT) | instid1(VALU_DEP_2)
	v_pk_fma_f32 v[148:149], v[144:145], v[108:109], v[148:149] op_sel_hi:[1,1,0] neg_lo:[0,0,1] neg_hi:[0,0,1]
	v_pk_fma_f32 v[144:145], v[144:145], v[108:109], v[150:151] op_sel:[1,0,0] op_sel_hi:[0,1,0]
	s_delay_alu instid0(VALU_DEP_1) | instskip(SKIP_1) | instid1(VALU_DEP_2)
	v_mov_b32_e32 v149, v145
	v_pk_mul_f32 v[144:145], v[146:147], v[136:137] op_sel:[0,1]
	v_pk_add_f32 v[36:37], v[36:37], v[148:149] neg_lo:[0,1] neg_hi:[0,1]
	s_delay_alu instid0(VALU_DEP_2) | instskip(SKIP_1) | instid1(VALU_DEP_1)
	v_pk_fma_f32 v[148:149], v[146:147], v[134:135], v[144:145] op_sel:[0,0,1] op_sel_hi:[1,1,0] neg_lo:[0,0,1] neg_hi:[0,0,1]
	v_pk_fma_f32 v[144:145], v[146:147], v[134:135], v[144:145] op_sel:[0,0,1] op_sel_hi:[1,0,0]
	v_mov_b32_e32 v149, v145
	ds_load_2addr_b64 v[144:147], v138 offset0:25 offset1:26
	v_pk_add_f32 v[92:93], v[92:93], v[148:149] neg_lo:[0,1] neg_hi:[0,1]
	s_wait_dscnt 0x0
	v_pk_mul_f32 v[148:149], v[144:145], v[136:137] op_sel:[0,1]
	s_delay_alu instid0(VALU_DEP_1) | instskip(SKIP_1) | instid1(VALU_DEP_1)
	v_pk_fma_f32 v[150:151], v[144:145], v[134:135], v[148:149] op_sel:[0,0,1] op_sel_hi:[1,1,0] neg_lo:[0,0,1] neg_hi:[0,0,1]
	v_pk_fma_f32 v[144:145], v[144:145], v[134:135], v[148:149] op_sel:[0,0,1] op_sel_hi:[1,0,0]
	v_mov_b32_e32 v151, v145
	v_pk_mul_f32 v[144:145], v[146:147], v[136:137] op_sel:[0,1]
	s_delay_alu instid0(VALU_DEP_2) | instskip(NEXT) | instid1(VALU_DEP_2)
	v_pk_add_f32 v[88:89], v[88:89], v[150:151] neg_lo:[0,1] neg_hi:[0,1]
	v_pk_fma_f32 v[148:149], v[146:147], v[134:135], v[144:145] op_sel:[0,0,1] op_sel_hi:[1,1,0] neg_lo:[0,0,1] neg_hi:[0,0,1]
	v_pk_fma_f32 v[144:145], v[146:147], v[134:135], v[144:145] op_sel:[0,0,1] op_sel_hi:[1,0,0]
	s_delay_alu instid0(VALU_DEP_1) | instskip(SKIP_4) | instid1(VALU_DEP_1)
	v_mov_b32_e32 v149, v145
	ds_load_2addr_b64 v[144:147], v138 offset0:27 offset1:28
	v_pk_add_f32 v[90:91], v[90:91], v[148:149] neg_lo:[0,1] neg_hi:[0,1]
	s_wait_dscnt 0x0
	v_pk_mul_f32 v[148:149], v[144:145], v[136:137] op_sel:[0,1]
	v_pk_fma_f32 v[150:151], v[144:145], v[134:135], v[148:149] op_sel:[0,0,1] op_sel_hi:[1,1,0] neg_lo:[0,0,1] neg_hi:[0,0,1]
	v_pk_fma_f32 v[144:145], v[144:145], v[134:135], v[148:149] op_sel:[0,0,1] op_sel_hi:[1,0,0]
	v_dual_mul_f32 v148, v147, v137 :: v_dual_mov_b32 v144, v147
	s_delay_alu instid0(VALU_DEP_2) | instskip(NEXT) | instid1(VALU_DEP_2)
	v_dual_mov_b32 v151, v145 :: v_dual_mov_b32 v145, v146
	v_pk_fma_f32 v[148:149], v[146:147], v[108:109], v[148:149] op_sel_hi:[1,1,0] neg_lo:[0,0,1] neg_hi:[0,0,1]
	v_mul_f32_e32 v146, v147, v134
	s_delay_alu instid0(VALU_DEP_3) | instskip(NEXT) | instid1(VALU_DEP_2)
	v_pk_add_f32 v[34:35], v[34:35], v[150:151] neg_lo:[0,1] neg_hi:[0,1]
	v_pk_fma_f32 v[144:145], v[144:145], v[108:109], v[146:147] op_sel_hi:[1,1,0]
	s_delay_alu instid0(VALU_DEP_1) | instskip(SKIP_4) | instid1(VALU_DEP_1)
	v_mov_b32_e32 v149, v145
	ds_load_2addr_b64 v[144:147], v138 offset0:29 offset1:30
	v_pk_add_f32 v[86:87], v[86:87], v[148:149] neg_lo:[0,1] neg_hi:[0,1]
	s_wait_dscnt 0x0
	v_pk_mul_f32 v[148:149], v[144:145], v[136:137] op_sel:[0,1]
	v_pk_fma_f32 v[150:151], v[144:145], v[134:135], v[148:149] op_sel:[0,0,1] op_sel_hi:[1,1,0] neg_lo:[0,0,1] neg_hi:[0,0,1]
	v_pk_fma_f32 v[144:145], v[144:145], v[134:135], v[148:149] op_sel:[0,0,1] op_sel_hi:[1,0,0]
	s_delay_alu instid0(VALU_DEP_1) | instskip(SKIP_1) | instid1(VALU_DEP_1)
	v_mov_b32_e32 v151, v145
	v_pk_mul_f32 v[144:145], v[146:147], v[136:137] op_sel:[0,1]
	v_pk_fma_f32 v[148:149], v[146:147], v[134:135], v[144:145] op_sel:[0,0,1] op_sel_hi:[1,1,0] neg_lo:[0,0,1] neg_hi:[0,0,1]
	v_pk_fma_f32 v[144:145], v[146:147], v[134:135], v[144:145] op_sel:[0,0,1] op_sel_hi:[1,0,0]
	s_delay_alu instid0(VALU_DEP_1)
	v_mov_b32_e32 v149, v145
	ds_load_2addr_b64 v[144:147], v138 offset0:31 offset1:32
	v_pk_add_f32 v[82:83], v[82:83], v[150:151] neg_lo:[0,1] neg_hi:[0,1]
	v_pk_add_f32 v[84:85], v[84:85], v[148:149] neg_lo:[0,1] neg_hi:[0,1]
	s_wait_dscnt 0x0
	v_pk_mul_f32 v[148:149], v[144:145], v[136:137] op_sel:[0,1]
	s_delay_alu instid0(VALU_DEP_1) | instskip(SKIP_1) | instid1(VALU_DEP_1)
	v_pk_fma_f32 v[150:151], v[144:145], v[134:135], v[148:149] op_sel:[0,0,1] op_sel_hi:[1,1,0] neg_lo:[0,0,1] neg_hi:[0,0,1]
	v_pk_fma_f32 v[144:145], v[144:145], v[134:135], v[148:149] op_sel:[0,0,1] op_sel_hi:[1,0,0]
	v_mov_b32_e32 v151, v145
	v_pk_mul_f32 v[144:145], v[146:147], v[136:137] op_sel:[0,1]
	s_delay_alu instid0(VALU_DEP_1) | instskip(SKIP_1) | instid1(VALU_DEP_1)
	v_pk_fma_f32 v[148:149], v[146:147], v[134:135], v[144:145] op_sel:[0,0,1] op_sel_hi:[1,1,0] neg_lo:[0,0,1] neg_hi:[0,0,1]
	v_pk_fma_f32 v[144:145], v[146:147], v[134:135], v[144:145] op_sel:[0,0,1] op_sel_hi:[1,0,0]
	v_mov_b32_e32 v149, v145
	ds_load_2addr_b64 v[144:147], v138 offset0:33 offset1:34
	v_pk_add_f32 v[26:27], v[26:27], v[150:151] neg_lo:[0,1] neg_hi:[0,1]
	v_pk_add_f32 v[80:81], v[80:81], v[148:149] neg_lo:[0,1] neg_hi:[0,1]
	s_wait_dscnt 0x0
	v_dual_mul_f32 v148, v145, v137 :: v_dual_mul_f32 v150, v145, v134
	s_delay_alu instid0(VALU_DEP_1) | instskip(NEXT) | instid1(VALU_DEP_2)
	v_pk_fma_f32 v[148:149], v[144:145], v[108:109], v[148:149] op_sel_hi:[1,1,0] neg_lo:[0,0,1] neg_hi:[0,0,1]
	v_pk_fma_f32 v[144:145], v[144:145], v[108:109], v[150:151] op_sel:[1,0,0] op_sel_hi:[0,1,0]
	s_delay_alu instid0(VALU_DEP_1) | instskip(SKIP_1) | instid1(VALU_DEP_2)
	v_mov_b32_e32 v149, v145
	v_pk_mul_f32 v[144:145], v[146:147], v[136:137] op_sel:[0,1]
	v_pk_add_f32 v[76:77], v[76:77], v[148:149] neg_lo:[0,1] neg_hi:[0,1]
	s_delay_alu instid0(VALU_DEP_2) | instskip(SKIP_1) | instid1(VALU_DEP_1)
	v_pk_fma_f32 v[148:149], v[146:147], v[134:135], v[144:145] op_sel:[0,0,1] op_sel_hi:[1,1,0] neg_lo:[0,0,1] neg_hi:[0,0,1]
	v_pk_fma_f32 v[144:145], v[146:147], v[134:135], v[144:145] op_sel:[0,0,1] op_sel_hi:[1,0,0]
	v_mov_b32_e32 v149, v145
	ds_load_2addr_b64 v[144:147], v138 offset0:35 offset1:36
	v_pk_add_f32 v[78:79], v[78:79], v[148:149] neg_lo:[0,1] neg_hi:[0,1]
	s_wait_dscnt 0x0
	v_pk_mul_f32 v[148:149], v[144:145], v[136:137] op_sel:[0,1]
	s_delay_alu instid0(VALU_DEP_1) | instskip(SKIP_1) | instid1(VALU_DEP_1)
	v_pk_fma_f32 v[150:151], v[144:145], v[134:135], v[148:149] op_sel:[0,0,1] op_sel_hi:[1,1,0] neg_lo:[0,0,1] neg_hi:[0,0,1]
	v_pk_fma_f32 v[144:145], v[144:145], v[134:135], v[148:149] op_sel:[0,0,1] op_sel_hi:[1,0,0]
	v_mov_b32_e32 v151, v145
	v_pk_mul_f32 v[144:145], v[146:147], v[136:137] op_sel:[0,1]
	s_delay_alu instid0(VALU_DEP_2) | instskip(NEXT) | instid1(VALU_DEP_2)
	v_pk_add_f32 v[24:25], v[24:25], v[150:151] neg_lo:[0,1] neg_hi:[0,1]
	v_pk_fma_f32 v[148:149], v[146:147], v[134:135], v[144:145] op_sel:[0,0,1] op_sel_hi:[1,1,0] neg_lo:[0,0,1] neg_hi:[0,0,1]
	v_pk_fma_f32 v[144:145], v[146:147], v[134:135], v[144:145] op_sel:[0,0,1] op_sel_hi:[1,0,0]
	s_delay_alu instid0(VALU_DEP_1) | instskip(SKIP_4) | instid1(VALU_DEP_1)
	v_mov_b32_e32 v149, v145
	ds_load_2addr_b64 v[144:147], v138 offset0:37 offset1:38
	v_pk_add_f32 v[74:75], v[74:75], v[148:149] neg_lo:[0,1] neg_hi:[0,1]
	s_wait_dscnt 0x0
	v_pk_mul_f32 v[148:149], v[144:145], v[136:137] op_sel:[0,1]
	v_pk_fma_f32 v[150:151], v[144:145], v[134:135], v[148:149] op_sel:[0,0,1] op_sel_hi:[1,1,0] neg_lo:[0,0,1] neg_hi:[0,0,1]
	v_pk_fma_f32 v[144:145], v[144:145], v[134:135], v[148:149] op_sel:[0,0,1] op_sel_hi:[1,0,0]
	v_dual_mul_f32 v148, v147, v137 :: v_dual_mov_b32 v144, v147
	s_delay_alu instid0(VALU_DEP_2) | instskip(NEXT) | instid1(VALU_DEP_2)
	v_dual_mov_b32 v151, v145 :: v_dual_mov_b32 v145, v146
	v_pk_fma_f32 v[148:149], v[146:147], v[108:109], v[148:149] op_sel_hi:[1,1,0] neg_lo:[0,0,1] neg_hi:[0,0,1]
	v_mul_f32_e32 v146, v147, v134
	s_delay_alu instid0(VALU_DEP_3) | instskip(NEXT) | instid1(VALU_DEP_2)
	v_pk_add_f32 v[70:71], v[70:71], v[150:151] neg_lo:[0,1] neg_hi:[0,1]
	v_pk_fma_f32 v[144:145], v[144:145], v[108:109], v[146:147] op_sel_hi:[1,1,0]
	s_delay_alu instid0(VALU_DEP_1) | instskip(SKIP_4) | instid1(VALU_DEP_1)
	v_mov_b32_e32 v149, v145
	ds_load_2addr_b64 v[144:147], v138 offset0:39 offset1:40
	v_pk_add_f32 v[72:73], v[72:73], v[148:149] neg_lo:[0,1] neg_hi:[0,1]
	s_wait_dscnt 0x0
	v_pk_mul_f32 v[148:149], v[144:145], v[136:137] op_sel:[0,1]
	v_pk_fma_f32 v[150:151], v[144:145], v[134:135], v[148:149] op_sel:[0,0,1] op_sel_hi:[1,1,0] neg_lo:[0,0,1] neg_hi:[0,0,1]
	v_pk_fma_f32 v[144:145], v[144:145], v[134:135], v[148:149] op_sel:[0,0,1] op_sel_hi:[1,0,0]
	s_delay_alu instid0(VALU_DEP_1) | instskip(SKIP_1) | instid1(VALU_DEP_1)
	v_mov_b32_e32 v151, v145
	v_pk_mul_f32 v[144:145], v[146:147], v[136:137] op_sel:[0,1]
	v_pk_fma_f32 v[148:149], v[146:147], v[134:135], v[144:145] op_sel:[0,0,1] op_sel_hi:[1,1,0] neg_lo:[0,0,1] neg_hi:[0,0,1]
	v_pk_fma_f32 v[144:145], v[146:147], v[134:135], v[144:145] op_sel:[0,0,1] op_sel_hi:[1,0,0]
	s_delay_alu instid0(VALU_DEP_1)
	v_mov_b32_e32 v149, v145
	ds_load_2addr_b64 v[144:147], v138 offset0:41 offset1:42
	v_pk_add_f32 v[22:23], v[22:23], v[150:151] neg_lo:[0,1] neg_hi:[0,1]
	v_pk_add_f32 v[68:69], v[68:69], v[148:149] neg_lo:[0,1] neg_hi:[0,1]
	s_wait_dscnt 0x0
	v_pk_mul_f32 v[148:149], v[144:145], v[136:137] op_sel:[0,1]
	s_delay_alu instid0(VALU_DEP_1) | instskip(SKIP_1) | instid1(VALU_DEP_1)
	v_pk_fma_f32 v[150:151], v[144:145], v[134:135], v[148:149] op_sel:[0,0,1] op_sel_hi:[1,1,0] neg_lo:[0,0,1] neg_hi:[0,0,1]
	v_pk_fma_f32 v[144:145], v[144:145], v[134:135], v[148:149] op_sel:[0,0,1] op_sel_hi:[1,0,0]
	v_mov_b32_e32 v151, v145
	v_pk_mul_f32 v[144:145], v[146:147], v[136:137] op_sel:[0,1]
	s_delay_alu instid0(VALU_DEP_1) | instskip(SKIP_1) | instid1(VALU_DEP_1)
	v_pk_fma_f32 v[148:149], v[146:147], v[134:135], v[144:145] op_sel:[0,0,1] op_sel_hi:[1,1,0] neg_lo:[0,0,1] neg_hi:[0,0,1]
	v_pk_fma_f32 v[144:145], v[146:147], v[134:135], v[144:145] op_sel:[0,0,1] op_sel_hi:[1,0,0]
	v_mov_b32_e32 v149, v145
	ds_load_2addr_b64 v[144:147], v138 offset0:43 offset1:44
	v_pk_add_f32 v[64:65], v[64:65], v[150:151] neg_lo:[0,1] neg_hi:[0,1]
	v_pk_add_f32 v[66:67], v[66:67], v[148:149] neg_lo:[0,1] neg_hi:[0,1]
	s_wait_dscnt 0x0
	v_dual_mul_f32 v148, v145, v137 :: v_dual_mul_f32 v150, v145, v134
	s_delay_alu instid0(VALU_DEP_1) | instskip(NEXT) | instid1(VALU_DEP_2)
	v_pk_fma_f32 v[148:149], v[144:145], v[108:109], v[148:149] op_sel_hi:[1,1,0] neg_lo:[0,0,1] neg_hi:[0,0,1]
	v_pk_fma_f32 v[144:145], v[144:145], v[108:109], v[150:151] op_sel:[1,0,0] op_sel_hi:[0,1,0]
	s_delay_alu instid0(VALU_DEP_1) | instskip(SKIP_1) | instid1(VALU_DEP_2)
	v_mov_b32_e32 v149, v145
	v_pk_mul_f32 v[144:145], v[146:147], v[136:137] op_sel:[0,1]
	v_pk_add_f32 v[18:19], v[18:19], v[148:149] neg_lo:[0,1] neg_hi:[0,1]
	s_delay_alu instid0(VALU_DEP_2) | instskip(SKIP_1) | instid1(VALU_DEP_1)
	v_pk_fma_f32 v[148:149], v[146:147], v[134:135], v[144:145] op_sel:[0,0,1] op_sel_hi:[1,1,0] neg_lo:[0,0,1] neg_hi:[0,0,1]
	v_pk_fma_f32 v[144:145], v[146:147], v[134:135], v[144:145] op_sel:[0,0,1] op_sel_hi:[1,0,0]
	v_mov_b32_e32 v149, v145
	ds_load_2addr_b64 v[144:147], v138 offset0:45 offset1:46
	v_pk_add_f32 v[60:61], v[60:61], v[148:149] neg_lo:[0,1] neg_hi:[0,1]
	s_wait_dscnt 0x0
	v_pk_mul_f32 v[148:149], v[144:145], v[136:137] op_sel:[0,1]
	s_delay_alu instid0(VALU_DEP_1) | instskip(SKIP_1) | instid1(VALU_DEP_1)
	v_pk_fma_f32 v[150:151], v[144:145], v[134:135], v[148:149] op_sel:[0,0,1] op_sel_hi:[1,1,0] neg_lo:[0,0,1] neg_hi:[0,0,1]
	v_pk_fma_f32 v[144:145], v[144:145], v[134:135], v[148:149] op_sel:[0,0,1] op_sel_hi:[1,0,0]
	v_mov_b32_e32 v151, v145
	v_pk_mul_f32 v[144:145], v[146:147], v[136:137] op_sel:[0,1]
	s_delay_alu instid0(VALU_DEP_2) | instskip(NEXT) | instid1(VALU_DEP_2)
	v_pk_add_f32 v[56:57], v[56:57], v[150:151] neg_lo:[0,1] neg_hi:[0,1]
	v_pk_fma_f32 v[148:149], v[146:147], v[134:135], v[144:145] op_sel:[0,0,1] op_sel_hi:[1,1,0] neg_lo:[0,0,1] neg_hi:[0,0,1]
	v_pk_fma_f32 v[144:145], v[146:147], v[134:135], v[144:145] op_sel:[0,0,1] op_sel_hi:[1,0,0]
	s_delay_alu instid0(VALU_DEP_1) | instskip(SKIP_4) | instid1(VALU_DEP_1)
	v_mov_b32_e32 v149, v145
	ds_load_2addr_b64 v[144:147], v138 offset0:47 offset1:48
	v_pk_add_f32 v[58:59], v[58:59], v[148:149] neg_lo:[0,1] neg_hi:[0,1]
	s_wait_dscnt 0x0
	v_pk_mul_f32 v[148:149], v[144:145], v[136:137] op_sel:[0,1]
	v_pk_fma_f32 v[150:151], v[144:145], v[134:135], v[148:149] op_sel:[0,0,1] op_sel_hi:[1,1,0] neg_lo:[0,0,1] neg_hi:[0,0,1]
	v_pk_fma_f32 v[144:145], v[144:145], v[134:135], v[148:149] op_sel:[0,0,1] op_sel_hi:[1,0,0]
	v_dual_mul_f32 v148, v147, v137 :: v_dual_mov_b32 v144, v147
	s_delay_alu instid0(VALU_DEP_2) | instskip(NEXT) | instid1(VALU_DEP_2)
	v_dual_mov_b32 v151, v145 :: v_dual_mov_b32 v145, v146
	v_pk_fma_f32 v[148:149], v[146:147], v[108:109], v[148:149] op_sel_hi:[1,1,0] neg_lo:[0,0,1] neg_hi:[0,0,1]
	v_mul_f32_e32 v146, v147, v134
	s_delay_alu instid0(VALU_DEP_3) | instskip(NEXT) | instid1(VALU_DEP_2)
	v_pk_add_f32 v[12:13], v[12:13], v[150:151] neg_lo:[0,1] neg_hi:[0,1]
	v_pk_fma_f32 v[144:145], v[144:145], v[108:109], v[146:147] op_sel_hi:[1,1,0]
	s_delay_alu instid0(VALU_DEP_1) | instskip(SKIP_4) | instid1(VALU_DEP_1)
	v_mov_b32_e32 v149, v145
	ds_load_2addr_b64 v[144:147], v138 offset0:49 offset1:50
	v_pk_add_f32 v[54:55], v[54:55], v[148:149] neg_lo:[0,1] neg_hi:[0,1]
	s_wait_dscnt 0x0
	v_pk_mul_f32 v[148:149], v[144:145], v[136:137] op_sel:[0,1]
	v_pk_fma_f32 v[150:151], v[144:145], v[134:135], v[148:149] op_sel:[0,0,1] op_sel_hi:[1,1,0] neg_lo:[0,0,1] neg_hi:[0,0,1]
	v_pk_fma_f32 v[144:145], v[144:145], v[134:135], v[148:149] op_sel:[0,0,1] op_sel_hi:[1,0,0]
	s_delay_alu instid0(VALU_DEP_1) | instskip(SKIP_1) | instid1(VALU_DEP_1)
	v_mov_b32_e32 v151, v145
	v_pk_mul_f32 v[144:145], v[146:147], v[136:137] op_sel:[0,1]
	v_pk_fma_f32 v[148:149], v[146:147], v[134:135], v[144:145] op_sel:[0,0,1] op_sel_hi:[1,1,0] neg_lo:[0,0,1] neg_hi:[0,0,1]
	v_pk_fma_f32 v[144:145], v[146:147], v[134:135], v[144:145] op_sel:[0,0,1] op_sel_hi:[1,0,0]
	s_delay_alu instid0(VALU_DEP_1)
	v_mov_b32_e32 v149, v145
	ds_load_2addr_b64 v[144:147], v138 offset0:51 offset1:52
	v_pk_add_f32 v[52:53], v[52:53], v[150:151] neg_lo:[0,1] neg_hi:[0,1]
	v_pk_add_f32 v[62:63], v[62:63], v[148:149] neg_lo:[0,1] neg_hi:[0,1]
	s_wait_dscnt 0x0
	v_pk_mul_f32 v[148:149], v[144:145], v[136:137] op_sel:[0,1]
	s_delay_alu instid0(VALU_DEP_1) | instskip(SKIP_1) | instid1(VALU_DEP_1)
	v_pk_fma_f32 v[150:151], v[144:145], v[134:135], v[148:149] op_sel:[0,0,1] op_sel_hi:[1,1,0] neg_lo:[0,0,1] neg_hi:[0,0,1]
	v_pk_fma_f32 v[144:145], v[144:145], v[134:135], v[148:149] op_sel:[0,0,1] op_sel_hi:[1,0,0]
	v_mov_b32_e32 v151, v145
	v_pk_mul_f32 v[144:145], v[146:147], v[136:137] op_sel:[0,1]
	s_delay_alu instid0(VALU_DEP_1) | instskip(SKIP_1) | instid1(VALU_DEP_1)
	v_pk_fma_f32 v[148:149], v[146:147], v[134:135], v[144:145] op_sel:[0,0,1] op_sel_hi:[1,1,0] neg_lo:[0,0,1] neg_hi:[0,0,1]
	v_pk_fma_f32 v[144:145], v[146:147], v[134:135], v[144:145] op_sel:[0,0,1] op_sel_hi:[1,0,0]
	v_mov_b32_e32 v149, v145
	ds_load_2addr_b64 v[144:147], v138 offset0:53 offset1:54
	v_pk_add_f32 v[16:17], v[16:17], v[150:151] neg_lo:[0,1] neg_hi:[0,1]
	v_pk_add_f32 v[48:49], v[48:49], v[148:149] neg_lo:[0,1] neg_hi:[0,1]
	s_wait_dscnt 0x0
	v_dual_mul_f32 v148, v145, v137 :: v_dual_mul_f32 v150, v145, v134
	s_delay_alu instid0(VALU_DEP_1) | instskip(NEXT) | instid1(VALU_DEP_2)
	v_pk_fma_f32 v[148:149], v[144:145], v[108:109], v[148:149] op_sel_hi:[1,1,0] neg_lo:[0,0,1] neg_hi:[0,0,1]
	v_pk_fma_f32 v[144:145], v[144:145], v[108:109], v[150:151] op_sel:[1,0,0] op_sel_hi:[0,1,0]
	s_delay_alu instid0(VALU_DEP_1) | instskip(SKIP_1) | instid1(VALU_DEP_2)
	v_mov_b32_e32 v149, v145
	v_pk_mul_f32 v[144:145], v[146:147], v[136:137] op_sel:[0,1]
	v_pk_add_f32 v[42:43], v[42:43], v[148:149] neg_lo:[0,1] neg_hi:[0,1]
	s_delay_alu instid0(VALU_DEP_2) | instskip(SKIP_1) | instid1(VALU_DEP_1)
	v_pk_fma_f32 v[148:149], v[146:147], v[134:135], v[144:145] op_sel:[0,0,1] op_sel_hi:[1,1,0] neg_lo:[0,0,1] neg_hi:[0,0,1]
	v_pk_fma_f32 v[144:145], v[146:147], v[134:135], v[144:145] op_sel:[0,0,1] op_sel_hi:[1,0,0]
	v_mov_b32_e32 v149, v145
	ds_load_2addr_b64 v[144:147], v138 offset0:55 offset1:56
	v_pk_add_f32 v[46:47], v[46:47], v[148:149] neg_lo:[0,1] neg_hi:[0,1]
	s_wait_dscnt 0x0
	v_pk_mul_f32 v[148:149], v[144:145], v[136:137] op_sel:[0,1]
	s_delay_alu instid0(VALU_DEP_1) | instskip(SKIP_1) | instid1(VALU_DEP_1)
	v_pk_fma_f32 v[150:151], v[144:145], v[134:135], v[148:149] op_sel:[0,0,1] op_sel_hi:[1,1,0] neg_lo:[0,0,1] neg_hi:[0,0,1]
	v_pk_fma_f32 v[144:145], v[144:145], v[134:135], v[148:149] op_sel:[0,0,1] op_sel_hi:[1,0,0]
	v_mov_b32_e32 v151, v145
	v_pk_mul_f32 v[144:145], v[146:147], v[136:137] op_sel:[0,1]
	s_delay_alu instid0(VALU_DEP_2) | instskip(NEXT) | instid1(VALU_DEP_2)
	v_pk_add_f32 v[8:9], v[8:9], v[150:151] neg_lo:[0,1] neg_hi:[0,1]
	v_pk_fma_f32 v[148:149], v[146:147], v[134:135], v[144:145] op_sel:[0,0,1] op_sel_hi:[1,1,0] neg_lo:[0,0,1] neg_hi:[0,0,1]
	v_pk_fma_f32 v[144:145], v[146:147], v[134:135], v[144:145] op_sel:[0,0,1] op_sel_hi:[1,0,0]
	s_delay_alu instid0(VALU_DEP_1) | instskip(SKIP_4) | instid1(VALU_DEP_1)
	v_mov_b32_e32 v149, v145
	ds_load_2addr_b64 v[144:147], v138 offset0:57 offset1:58
	v_pk_add_f32 v[32:33], v[32:33], v[148:149] neg_lo:[0,1] neg_hi:[0,1]
	s_wait_dscnt 0x0
	v_pk_mul_f32 v[148:149], v[144:145], v[136:137] op_sel:[0,1]
	v_pk_fma_f32 v[150:151], v[144:145], v[134:135], v[148:149] op_sel:[0,0,1] op_sel_hi:[1,1,0] neg_lo:[0,0,1] neg_hi:[0,0,1]
	v_pk_fma_f32 v[144:145], v[144:145], v[134:135], v[148:149] op_sel:[0,0,1] op_sel_hi:[1,0,0]
	v_dual_mul_f32 v148, v147, v137 :: v_dual_mov_b32 v144, v147
	s_delay_alu instid0(VALU_DEP_2) | instskip(NEXT) | instid1(VALU_DEP_2)
	v_dual_mov_b32 v151, v145 :: v_dual_mov_b32 v145, v146
	v_pk_fma_f32 v[148:149], v[146:147], v[108:109], v[148:149] op_sel_hi:[1,1,0] neg_lo:[0,0,1] neg_hi:[0,0,1]
	v_mul_f32_e32 v146, v147, v134
	s_delay_alu instid0(VALU_DEP_3) | instskip(NEXT) | instid1(VALU_DEP_2)
	v_pk_add_f32 v[28:29], v[28:29], v[150:151] neg_lo:[0,1] neg_hi:[0,1]
	v_pk_fma_f32 v[144:145], v[144:145], v[108:109], v[146:147] op_sel_hi:[1,1,0]
	s_delay_alu instid0(VALU_DEP_1) | instskip(SKIP_4) | instid1(VALU_DEP_1)
	v_mov_b32_e32 v149, v145
	ds_load_2addr_b64 v[144:147], v138 offset0:59 offset1:60
	v_pk_add_f32 v[30:31], v[30:31], v[148:149] neg_lo:[0,1] neg_hi:[0,1]
	s_wait_dscnt 0x0
	v_pk_mul_f32 v[148:149], v[144:145], v[136:137] op_sel:[0,1]
	v_pk_fma_f32 v[150:151], v[144:145], v[134:135], v[148:149] op_sel:[0,0,1] op_sel_hi:[1,1,0] neg_lo:[0,0,1] neg_hi:[0,0,1]
	v_pk_fma_f32 v[144:145], v[144:145], v[134:135], v[148:149] op_sel:[0,0,1] op_sel_hi:[1,0,0]
	s_delay_alu instid0(VALU_DEP_1) | instskip(SKIP_1) | instid1(VALU_DEP_1)
	v_mov_b32_e32 v151, v145
	v_pk_mul_f32 v[144:145], v[146:147], v[136:137] op_sel:[0,1]
	v_pk_fma_f32 v[148:149], v[146:147], v[134:135], v[144:145] op_sel:[0,0,1] op_sel_hi:[1,1,0] neg_lo:[0,0,1] neg_hi:[0,0,1]
	v_pk_fma_f32 v[144:145], v[146:147], v[134:135], v[144:145] op_sel:[0,0,1] op_sel_hi:[1,0,0]
	s_delay_alu instid0(VALU_DEP_1)
	v_mov_b32_e32 v149, v145
	ds_load_2addr_b64 v[144:147], v138 offset0:61 offset1:62
	v_pk_add_f32 v[6:7], v[6:7], v[150:151] neg_lo:[0,1] neg_hi:[0,1]
	v_pk_add_f32 v[20:21], v[20:21], v[148:149] neg_lo:[0,1] neg_hi:[0,1]
	s_wait_dscnt 0x0
	v_pk_mul_f32 v[148:149], v[144:145], v[136:137] op_sel:[0,1]
	s_delay_alu instid0(VALU_DEP_1) | instskip(SKIP_1) | instid1(VALU_DEP_1)
	v_pk_fma_f32 v[150:151], v[144:145], v[134:135], v[148:149] op_sel:[0,0,1] op_sel_hi:[1,1,0] neg_lo:[0,0,1] neg_hi:[0,0,1]
	v_pk_fma_f32 v[144:145], v[144:145], v[134:135], v[148:149] op_sel:[0,0,1] op_sel_hi:[1,0,0]
	v_mov_b32_e32 v151, v145
	v_pk_mul_f32 v[144:145], v[146:147], v[136:137] op_sel:[0,1]
	s_delay_alu instid0(VALU_DEP_1) | instskip(SKIP_1) | instid1(VALU_DEP_1)
	v_pk_fma_f32 v[148:149], v[146:147], v[134:135], v[144:145] op_sel:[0,0,1] op_sel_hi:[1,1,0] neg_lo:[0,0,1] neg_hi:[0,0,1]
	v_pk_fma_f32 v[144:145], v[146:147], v[134:135], v[144:145] op_sel:[0,0,1] op_sel_hi:[1,0,0]
	v_mov_b32_e32 v149, v145
	ds_load_b64 v[144:145], v138 offset:504
	v_pk_add_f32 v[14:15], v[14:15], v[150:151] neg_lo:[0,1] neg_hi:[0,1]
	v_pk_add_f32 v[10:11], v[10:11], v[148:149] neg_lo:[0,1] neg_hi:[0,1]
	s_wait_dscnt 0x0
	v_pk_mul_f32 v[136:137], v[144:145], v[136:137] op_sel:[0,1]
	s_delay_alu instid0(VALU_DEP_1) | instskip(SKIP_1) | instid1(VALU_DEP_1)
	v_pk_fma_f32 v[146:147], v[144:145], v[134:135], v[136:137] op_sel:[0,0,1] op_sel_hi:[1,1,0] neg_lo:[0,0,1] neg_hi:[0,0,1]
	v_pk_fma_f32 v[134:135], v[144:145], v[134:135], v[136:137] op_sel:[0,0,1] op_sel_hi:[1,0,0]
	v_mov_b32_e32 v147, v135
	s_delay_alu instid0(VALU_DEP_1)
	v_pk_add_f32 v[132:133], v[132:133], v[146:147] neg_lo:[0,1] neg_hi:[0,1]
.LBB126_314:
	s_or_b32 exec_lo, exec_lo, s0
	v_lshl_add_u32 v134, v142, 3, v138
	s_barrier_signal -1
	s_barrier_wait -1
	ds_store_b64 v134, v[40:41]
	s_wait_dscnt 0x0
	s_barrier_signal -1
	s_barrier_wait -1
	ds_load_b64 v[136:137], v138 offset:120
	v_mov_b32_e32 v134, 15
	s_cmp_lt_i32 s18, 17
	s_cbranch_scc1 .LBB126_317
; %bb.315:
	v_add3_u32 v135, v139, 0, 0x80
	v_mov_b32_e32 v134, 15
	s_mov_b32 s0, 16
.LBB126_316:                            ; =>This Inner Loop Header: Depth=1
	ds_load_b64 v[144:145], v135
	s_wait_dscnt 0x1
	v_cmp_gt_f32_e32 vcc_lo, 0, v136
	v_cndmask_b32_e64 v146, v136, -v136, vcc_lo
	v_cmp_gt_f32_e32 vcc_lo, 0, v137
	v_cndmask_b32_e64 v148, v137, -v137, vcc_lo
	s_wait_dscnt 0x0
	v_cmp_gt_f32_e32 vcc_lo, 0, v144
	v_cndmask_b32_e64 v147, v144, -v144, vcc_lo
	v_cmp_gt_f32_e32 vcc_lo, 0, v145
	v_cndmask_b32_e64 v149, v145, -v145, vcc_lo
	s_delay_alu instid0(VALU_DEP_1) | instskip(NEXT) | instid1(VALU_DEP_1)
	v_pk_add_f32 v[146:147], v[146:147], v[148:149]
	v_cmp_lt_f32_e32 vcc_lo, v146, v147
	v_dual_add_nc_u32 v135, 8, v135 :: v_dual_cndmask_b32 v137, v137, v145, vcc_lo
	v_cndmask_b32_e32 v136, v136, v144, vcc_lo
	v_cndmask_b32_e64 v134, v134, s0, vcc_lo
	s_add_co_i32 s0, s0, 1
	s_delay_alu instid0(SALU_CYCLE_1)
	s_cmp_lg_u32 s18, s0
	s_cbranch_scc1 .LBB126_316
.LBB126_317:
	s_wait_dscnt 0x0
	v_cmp_eq_f32_e32 vcc_lo, 0, v136
	v_cmp_eq_f32_e64 s0, 0, v137
	s_and_b32 s0, vcc_lo, s0
	s_delay_alu instid0(SALU_CYCLE_1) | instskip(NEXT) | instid1(SALU_CYCLE_1)
	s_and_saveexec_b32 s1, s0
	s_xor_b32 s0, exec_lo, s1
; %bb.318:
	v_cmp_ne_u32_e32 vcc_lo, 0, v140
	v_cndmask_b32_e32 v140, 16, v140, vcc_lo
; %bb.319:
	s_and_not1_saveexec_b32 s0, s0
	s_cbranch_execz .LBB126_325
; %bb.320:
	v_cmp_ngt_f32_e64 s1, |v136|, |v137|
	s_and_saveexec_b32 s12, s1
	s_delay_alu instid0(SALU_CYCLE_1)
	s_xor_b32 s1, exec_lo, s12
	s_cbranch_execz .LBB126_322
; %bb.321:
	v_div_scale_f32 v135, null, v137, v137, v136
	v_div_scale_f32 v145, vcc_lo, v136, v137, v136
	s_delay_alu instid0(VALU_DEP_2) | instskip(SKIP_1) | instid1(TRANS32_DEP_1)
	v_rcp_f32_e32 v143, v135
	v_nop
	v_fma_f32 v144, -v135, v143, 1.0
	s_delay_alu instid0(VALU_DEP_1) | instskip(NEXT) | instid1(VALU_DEP_1)
	v_fmac_f32_e32 v143, v144, v143
	v_mul_f32_e32 v144, v145, v143
	s_delay_alu instid0(VALU_DEP_1) | instskip(NEXT) | instid1(VALU_DEP_1)
	v_fma_f32 v146, -v135, v144, v145
	v_fmac_f32_e32 v144, v146, v143
	s_delay_alu instid0(VALU_DEP_1) | instskip(NEXT) | instid1(VALU_DEP_1)
	v_fma_f32 v135, -v135, v144, v145
	v_div_fmas_f32 v135, v135, v143, v144
	s_delay_alu instid0(VALU_DEP_1) | instskip(NEXT) | instid1(VALU_DEP_1)
	v_div_fixup_f32 v135, v135, v137, v136
	v_fmac_f32_e32 v137, v136, v135
	s_delay_alu instid0(VALU_DEP_1) | instskip(SKIP_1) | instid1(VALU_DEP_2)
	v_div_scale_f32 v136, null, v137, v137, 1.0
	v_div_scale_f32 v145, vcc_lo, 1.0, v137, 1.0
	v_rcp_f32_e32 v143, v136
	v_nop
	s_delay_alu instid0(TRANS32_DEP_1) | instskip(NEXT) | instid1(VALU_DEP_1)
	v_fma_f32 v144, -v136, v143, 1.0
	v_fmac_f32_e32 v143, v144, v143
	s_delay_alu instid0(VALU_DEP_1) | instskip(NEXT) | instid1(VALU_DEP_1)
	v_mul_f32_e32 v144, v145, v143
	v_fma_f32 v146, -v136, v144, v145
	s_delay_alu instid0(VALU_DEP_1) | instskip(NEXT) | instid1(VALU_DEP_1)
	v_fmac_f32_e32 v144, v146, v143
	v_fma_f32 v136, -v136, v144, v145
	s_delay_alu instid0(VALU_DEP_1) | instskip(NEXT) | instid1(VALU_DEP_1)
	v_div_fmas_f32 v136, v136, v143, v144
	v_div_fixup_f32 v137, v136, v137, 1.0
	s_delay_alu instid0(VALU_DEP_1)
	v_mul_f32_e32 v136, v135, v137
	v_xor_b32_e32 v137, 0x80000000, v137
.LBB126_322:
	s_and_not1_saveexec_b32 s1, s1
	s_cbranch_execz .LBB126_324
; %bb.323:
	s_delay_alu instid0(VALU_DEP_1) | instskip(SKIP_1) | instid1(VALU_DEP_2)
	v_div_scale_f32 v135, null, v136, v136, v137
	v_div_scale_f32 v145, vcc_lo, v137, v136, v137
	v_rcp_f32_e32 v143, v135
	v_nop
	s_delay_alu instid0(TRANS32_DEP_1) | instskip(NEXT) | instid1(VALU_DEP_1)
	v_fma_f32 v144, -v135, v143, 1.0
	v_fmac_f32_e32 v143, v144, v143
	s_delay_alu instid0(VALU_DEP_1) | instskip(NEXT) | instid1(VALU_DEP_1)
	v_mul_f32_e32 v144, v145, v143
	v_fma_f32 v146, -v135, v144, v145
	s_delay_alu instid0(VALU_DEP_1) | instskip(NEXT) | instid1(VALU_DEP_1)
	v_fmac_f32_e32 v144, v146, v143
	v_fma_f32 v135, -v135, v144, v145
	s_delay_alu instid0(VALU_DEP_1) | instskip(NEXT) | instid1(VALU_DEP_1)
	v_div_fmas_f32 v135, v135, v143, v144
	v_div_fixup_f32 v135, v135, v136, v137
	s_delay_alu instid0(VALU_DEP_1) | instskip(NEXT) | instid1(VALU_DEP_1)
	v_fmac_f32_e32 v136, v137, v135
	v_div_scale_f32 v137, null, v136, v136, 1.0
	s_delay_alu instid0(VALU_DEP_1) | instskip(SKIP_1) | instid1(TRANS32_DEP_1)
	v_rcp_f32_e32 v143, v137
	v_nop
	v_fma_f32 v144, -v137, v143, 1.0
	s_delay_alu instid0(VALU_DEP_1) | instskip(SKIP_1) | instid1(VALU_DEP_1)
	v_fmac_f32_e32 v143, v144, v143
	v_div_scale_f32 v144, vcc_lo, 1.0, v136, 1.0
	v_mul_f32_e32 v145, v144, v143
	s_delay_alu instid0(VALU_DEP_1) | instskip(NEXT) | instid1(VALU_DEP_1)
	v_fma_f32 v146, -v137, v145, v144
	v_fmac_f32_e32 v145, v146, v143
	s_delay_alu instid0(VALU_DEP_1) | instskip(NEXT) | instid1(VALU_DEP_1)
	v_fma_f32 v137, -v137, v145, v144
	v_div_fmas_f32 v137, v137, v143, v145
	s_delay_alu instid0(VALU_DEP_1) | instskip(NEXT) | instid1(VALU_DEP_1)
	v_div_fixup_f32 v136, v137, v136, 1.0
	v_mul_f32_e64 v137, v135, -v136
.LBB126_324:
	s_or_b32 exec_lo, exec_lo, s1
.LBB126_325:
	s_delay_alu instid0(SALU_CYCLE_1) | instskip(NEXT) | instid1(SALU_CYCLE_1)
	s_or_b32 exec_lo, exec_lo, s0
	s_mov_b32 s0, exec_lo
	v_cmpx_ne_u32_e64 v142, v134
	s_xor_b32 s0, exec_lo, s0
	s_cbranch_execz .LBB126_331
; %bb.326:
	s_mov_b32 s1, exec_lo
	v_cmpx_eq_u32_e32 15, v142
	s_cbranch_execz .LBB126_330
; %bb.327:
	v_cmp_ne_u32_e32 vcc_lo, 15, v134
	s_xor_b32 s12, s16, -1
	s_delay_alu instid0(SALU_CYCLE_1) | instskip(NEXT) | instid1(SALU_CYCLE_1)
	s_and_b32 s13, s12, vcc_lo
	s_and_saveexec_b32 s12, s13
	s_cbranch_execz .LBB126_329
; %bb.328:
	v_ashrrev_i32_e32 v135, 31, v134
	s_delay_alu instid0(VALU_DEP_1)
	v_lshl_add_u64 v[142:143], v[134:135], 2, v[4:5]
	s_clause 0x1
	global_load_b32 v135, v[142:143], off
	global_load_b32 v141, v[4:5], off offset:60
	s_wait_loadcnt 0x1
	global_store_b32 v[4:5], v135, off offset:60
	s_wait_loadcnt 0x0
	global_store_b32 v[142:143], v141, off
.LBB126_329:
	s_wait_xcnt 0x0
	s_or_b32 exec_lo, exec_lo, s12
	v_dual_mov_b32 v142, v134 :: v_dual_mov_b32 v141, v134
.LBB126_330:
	s_or_b32 exec_lo, exec_lo, s1
.LBB126_331:
	s_and_not1_saveexec_b32 s0, s0
	s_cbranch_execz .LBB126_333
; %bb.332:
	v_dual_mov_b32 v134, v104 :: v_dual_mov_b32 v135, v105
	v_dual_mov_b32 v142, v100 :: v_dual_mov_b32 v143, v101
	ds_store_2addr_b64 v138, v[134:135], v[142:143] offset0:16 offset1:17
	v_dual_mov_b32 v134, v102 :: v_dual_mov_b32 v135, v103
	v_dual_mov_b32 v142, v38 :: v_dual_mov_b32 v143, v39
	ds_store_2addr_b64 v138, v[134:135], v[142:143] offset0:18 offset1:19
	;; [unrolled: 3-line block ×23, first 2 shown]
	v_dual_mov_b32 v134, v10 :: v_dual_mov_b32 v135, v11
	v_mov_b32_e32 v142, 15
	ds_store_2addr_b64 v138, v[134:135], v[132:133] offset0:62 offset1:63
.LBB126_333:
	s_or_b32 exec_lo, exec_lo, s0
	s_delay_alu instid0(SALU_CYCLE_1)
	s_mov_b32 s0, exec_lo
	s_wait_storecnt_dscnt 0x0
	s_barrier_signal -1
	s_barrier_wait -1
	v_cmpx_lt_i32_e32 15, v142
	s_cbranch_execz .LBB126_335
; %bb.334:
	v_pk_mul_f32 v[144:145], v[136:137], v[40:41] op_sel:[1,1] op_sel_hi:[0,1]
	s_delay_alu instid0(VALU_DEP_1)
	v_pk_fma_f32 v[134:135], v[136:137], v[40:41], v[144:145] op_sel_hi:[1,0,1] neg_lo:[0,0,1] neg_hi:[0,0,1]
	v_pk_fma_f32 v[136:137], v[136:137], v[40:41], v[144:145] op_sel_hi:[1,0,1]
	ds_load_2addr_b64 v[144:147], v138 offset0:16 offset1:17
	v_dual_mov_b32 v40, v134 :: v_dual_mov_b32 v41, v137
	s_wait_dscnt 0x0
	v_pk_mul_f32 v[148:149], v[144:145], v[136:137] op_sel:[0,1]
	s_delay_alu instid0(VALU_DEP_1) | instskip(SKIP_1) | instid1(VALU_DEP_1)
	v_pk_fma_f32 v[150:151], v[144:145], v[134:135], v[148:149] op_sel:[0,0,1] op_sel_hi:[1,1,0] neg_lo:[0,0,1] neg_hi:[0,0,1]
	v_pk_fma_f32 v[144:145], v[144:145], v[134:135], v[148:149] op_sel:[0,0,1] op_sel_hi:[1,0,0]
	v_mov_b32_e32 v151, v145
	v_pk_mul_f32 v[144:145], v[146:147], v[136:137] op_sel:[0,1]
	s_delay_alu instid0(VALU_DEP_1) | instskip(SKIP_1) | instid1(VALU_DEP_1)
	v_pk_fma_f32 v[148:149], v[146:147], v[134:135], v[144:145] op_sel:[0,0,1] op_sel_hi:[1,1,0] neg_lo:[0,0,1] neg_hi:[0,0,1]
	v_pk_fma_f32 v[144:145], v[146:147], v[134:135], v[144:145] op_sel:[0,0,1] op_sel_hi:[1,0,0]
	v_mov_b32_e32 v149, v145
	ds_load_2addr_b64 v[144:147], v138 offset0:18 offset1:19
	v_pk_add_f32 v[104:105], v[104:105], v[150:151] neg_lo:[0,1] neg_hi:[0,1]
	v_pk_add_f32 v[100:101], v[100:101], v[148:149] neg_lo:[0,1] neg_hi:[0,1]
	s_wait_dscnt 0x0
	v_pk_mul_f32 v[148:149], v[144:145], v[136:137] op_sel:[0,1]
	s_delay_alu instid0(VALU_DEP_1) | instskip(SKIP_2) | instid1(VALU_DEP_2)
	v_pk_fma_f32 v[150:151], v[144:145], v[134:135], v[148:149] op_sel:[0,0,1] op_sel_hi:[1,1,0] neg_lo:[0,0,1] neg_hi:[0,0,1]
	v_pk_fma_f32 v[144:145], v[144:145], v[134:135], v[148:149] op_sel:[0,0,1] op_sel_hi:[1,0,0]
	v_dual_mul_f32 v148, v147, v137 :: v_dual_mov_b32 v144, v147
	v_dual_mov_b32 v151, v145 :: v_dual_mov_b32 v145, v146
	s_delay_alu instid0(VALU_DEP_2) | instskip(SKIP_1) | instid1(VALU_DEP_3)
	v_pk_fma_f32 v[148:149], v[146:147], v[40:41], v[148:149] op_sel_hi:[1,1,0] neg_lo:[0,0,1] neg_hi:[0,0,1]
	v_mul_f32_e32 v146, v147, v134
	v_pk_add_f32 v[102:103], v[102:103], v[150:151] neg_lo:[0,1] neg_hi:[0,1]
	s_delay_alu instid0(VALU_DEP_2) | instskip(NEXT) | instid1(VALU_DEP_1)
	v_pk_fma_f32 v[144:145], v[144:145], v[40:41], v[146:147] op_sel_hi:[1,1,0]
	v_mov_b32_e32 v149, v145
	ds_load_2addr_b64 v[144:147], v138 offset0:20 offset1:21
	v_pk_add_f32 v[38:39], v[38:39], v[148:149] neg_lo:[0,1] neg_hi:[0,1]
	s_wait_dscnt 0x0
	v_pk_mul_f32 v[148:149], v[144:145], v[136:137] op_sel:[0,1]
	s_delay_alu instid0(VALU_DEP_1) | instskip(SKIP_1) | instid1(VALU_DEP_1)
	v_pk_fma_f32 v[150:151], v[144:145], v[134:135], v[148:149] op_sel:[0,0,1] op_sel_hi:[1,1,0] neg_lo:[0,0,1] neg_hi:[0,0,1]
	v_pk_fma_f32 v[144:145], v[144:145], v[134:135], v[148:149] op_sel:[0,0,1] op_sel_hi:[1,0,0]
	v_mov_b32_e32 v151, v145
	v_pk_mul_f32 v[144:145], v[146:147], v[136:137] op_sel:[0,1]
	s_delay_alu instid0(VALU_DEP_1) | instskip(SKIP_1) | instid1(VALU_DEP_1)
	v_pk_fma_f32 v[148:149], v[146:147], v[134:135], v[144:145] op_sel:[0,0,1] op_sel_hi:[1,1,0] neg_lo:[0,0,1] neg_hi:[0,0,1]
	v_pk_fma_f32 v[144:145], v[146:147], v[134:135], v[144:145] op_sel:[0,0,1] op_sel_hi:[1,0,0]
	v_mov_b32_e32 v149, v145
	ds_load_2addr_b64 v[144:147], v138 offset0:22 offset1:23
	v_pk_add_f32 v[98:99], v[98:99], v[150:151] neg_lo:[0,1] neg_hi:[0,1]
	v_pk_add_f32 v[94:95], v[94:95], v[148:149] neg_lo:[0,1] neg_hi:[0,1]
	s_wait_dscnt 0x0
	v_pk_mul_f32 v[148:149], v[144:145], v[136:137] op_sel:[0,1]
	s_delay_alu instid0(VALU_DEP_1) | instskip(SKIP_1) | instid1(VALU_DEP_1)
	v_pk_fma_f32 v[150:151], v[144:145], v[134:135], v[148:149] op_sel:[0,0,1] op_sel_hi:[1,1,0] neg_lo:[0,0,1] neg_hi:[0,0,1]
	v_pk_fma_f32 v[144:145], v[144:145], v[134:135], v[148:149] op_sel:[0,0,1] op_sel_hi:[1,0,0]
	v_mov_b32_e32 v151, v145
	v_pk_mul_f32 v[144:145], v[146:147], v[136:137] op_sel:[0,1]
	s_delay_alu instid0(VALU_DEP_1) | instskip(SKIP_1) | instid1(VALU_DEP_1)
	v_pk_fma_f32 v[148:149], v[146:147], v[134:135], v[144:145] op_sel:[0,0,1] op_sel_hi:[1,1,0] neg_lo:[0,0,1] neg_hi:[0,0,1]
	v_pk_fma_f32 v[144:145], v[146:147], v[134:135], v[144:145] op_sel:[0,0,1] op_sel_hi:[1,0,0]
	v_mov_b32_e32 v149, v145
	ds_load_2addr_b64 v[144:147], v138 offset0:24 offset1:25
	v_pk_add_f32 v[96:97], v[96:97], v[150:151] neg_lo:[0,1] neg_hi:[0,1]
	v_pk_add_f32 v[36:37], v[36:37], v[148:149] neg_lo:[0,1] neg_hi:[0,1]
	s_wait_dscnt 0x0
	v_dual_mul_f32 v148, v145, v137 :: v_dual_mul_f32 v150, v145, v134
	s_delay_alu instid0(VALU_DEP_1) | instskip(NEXT) | instid1(VALU_DEP_2)
	v_pk_fma_f32 v[148:149], v[144:145], v[40:41], v[148:149] op_sel_hi:[1,1,0] neg_lo:[0,0,1] neg_hi:[0,0,1]
	v_pk_fma_f32 v[144:145], v[144:145], v[40:41], v[150:151] op_sel:[1,0,0] op_sel_hi:[0,1,0]
	s_delay_alu instid0(VALU_DEP_1) | instskip(SKIP_1) | instid1(VALU_DEP_2)
	v_mov_b32_e32 v149, v145
	v_pk_mul_f32 v[144:145], v[146:147], v[136:137] op_sel:[0,1]
	v_pk_add_f32 v[92:93], v[92:93], v[148:149] neg_lo:[0,1] neg_hi:[0,1]
	s_delay_alu instid0(VALU_DEP_2) | instskip(SKIP_1) | instid1(VALU_DEP_1)
	v_pk_fma_f32 v[148:149], v[146:147], v[134:135], v[144:145] op_sel:[0,0,1] op_sel_hi:[1,1,0] neg_lo:[0,0,1] neg_hi:[0,0,1]
	v_pk_fma_f32 v[144:145], v[146:147], v[134:135], v[144:145] op_sel:[0,0,1] op_sel_hi:[1,0,0]
	v_mov_b32_e32 v149, v145
	ds_load_2addr_b64 v[144:147], v138 offset0:26 offset1:27
	v_pk_add_f32 v[88:89], v[88:89], v[148:149] neg_lo:[0,1] neg_hi:[0,1]
	s_wait_dscnt 0x0
	v_pk_mul_f32 v[148:149], v[144:145], v[136:137] op_sel:[0,1]
	s_delay_alu instid0(VALU_DEP_1) | instskip(SKIP_1) | instid1(VALU_DEP_1)
	v_pk_fma_f32 v[150:151], v[144:145], v[134:135], v[148:149] op_sel:[0,0,1] op_sel_hi:[1,1,0] neg_lo:[0,0,1] neg_hi:[0,0,1]
	v_pk_fma_f32 v[144:145], v[144:145], v[134:135], v[148:149] op_sel:[0,0,1] op_sel_hi:[1,0,0]
	v_mov_b32_e32 v151, v145
	v_pk_mul_f32 v[144:145], v[146:147], v[136:137] op_sel:[0,1]
	s_delay_alu instid0(VALU_DEP_2) | instskip(NEXT) | instid1(VALU_DEP_2)
	v_pk_add_f32 v[90:91], v[90:91], v[150:151] neg_lo:[0,1] neg_hi:[0,1]
	v_pk_fma_f32 v[148:149], v[146:147], v[134:135], v[144:145] op_sel:[0,0,1] op_sel_hi:[1,1,0] neg_lo:[0,0,1] neg_hi:[0,0,1]
	v_pk_fma_f32 v[144:145], v[146:147], v[134:135], v[144:145] op_sel:[0,0,1] op_sel_hi:[1,0,0]
	s_delay_alu instid0(VALU_DEP_1) | instskip(SKIP_4) | instid1(VALU_DEP_1)
	v_mov_b32_e32 v149, v145
	ds_load_2addr_b64 v[144:147], v138 offset0:28 offset1:29
	v_pk_add_f32 v[34:35], v[34:35], v[148:149] neg_lo:[0,1] neg_hi:[0,1]
	s_wait_dscnt 0x0
	v_pk_mul_f32 v[148:149], v[144:145], v[136:137] op_sel:[0,1]
	v_pk_fma_f32 v[150:151], v[144:145], v[134:135], v[148:149] op_sel:[0,0,1] op_sel_hi:[1,1,0] neg_lo:[0,0,1] neg_hi:[0,0,1]
	v_pk_fma_f32 v[144:145], v[144:145], v[134:135], v[148:149] op_sel:[0,0,1] op_sel_hi:[1,0,0]
	v_dual_mul_f32 v148, v147, v137 :: v_dual_mov_b32 v144, v147
	s_delay_alu instid0(VALU_DEP_2) | instskip(NEXT) | instid1(VALU_DEP_2)
	v_dual_mov_b32 v151, v145 :: v_dual_mov_b32 v145, v146
	v_pk_fma_f32 v[148:149], v[146:147], v[40:41], v[148:149] op_sel_hi:[1,1,0] neg_lo:[0,0,1] neg_hi:[0,0,1]
	v_mul_f32_e32 v146, v147, v134
	s_delay_alu instid0(VALU_DEP_3) | instskip(NEXT) | instid1(VALU_DEP_2)
	v_pk_add_f32 v[86:87], v[86:87], v[150:151] neg_lo:[0,1] neg_hi:[0,1]
	v_pk_fma_f32 v[144:145], v[144:145], v[40:41], v[146:147] op_sel_hi:[1,1,0]
	s_delay_alu instid0(VALU_DEP_1) | instskip(SKIP_4) | instid1(VALU_DEP_1)
	v_mov_b32_e32 v149, v145
	ds_load_2addr_b64 v[144:147], v138 offset0:30 offset1:31
	v_pk_add_f32 v[82:83], v[82:83], v[148:149] neg_lo:[0,1] neg_hi:[0,1]
	s_wait_dscnt 0x0
	v_pk_mul_f32 v[148:149], v[144:145], v[136:137] op_sel:[0,1]
	v_pk_fma_f32 v[150:151], v[144:145], v[134:135], v[148:149] op_sel:[0,0,1] op_sel_hi:[1,1,0] neg_lo:[0,0,1] neg_hi:[0,0,1]
	v_pk_fma_f32 v[144:145], v[144:145], v[134:135], v[148:149] op_sel:[0,0,1] op_sel_hi:[1,0,0]
	s_delay_alu instid0(VALU_DEP_1) | instskip(SKIP_1) | instid1(VALU_DEP_1)
	v_mov_b32_e32 v151, v145
	v_pk_mul_f32 v[144:145], v[146:147], v[136:137] op_sel:[0,1]
	v_pk_fma_f32 v[148:149], v[146:147], v[134:135], v[144:145] op_sel:[0,0,1] op_sel_hi:[1,1,0] neg_lo:[0,0,1] neg_hi:[0,0,1]
	v_pk_fma_f32 v[144:145], v[146:147], v[134:135], v[144:145] op_sel:[0,0,1] op_sel_hi:[1,0,0]
	s_delay_alu instid0(VALU_DEP_1)
	v_mov_b32_e32 v149, v145
	ds_load_2addr_b64 v[144:147], v138 offset0:32 offset1:33
	v_pk_add_f32 v[84:85], v[84:85], v[150:151] neg_lo:[0,1] neg_hi:[0,1]
	v_pk_add_f32 v[26:27], v[26:27], v[148:149] neg_lo:[0,1] neg_hi:[0,1]
	s_wait_dscnt 0x0
	v_pk_mul_f32 v[148:149], v[144:145], v[136:137] op_sel:[0,1]
	s_delay_alu instid0(VALU_DEP_1) | instskip(SKIP_1) | instid1(VALU_DEP_1)
	v_pk_fma_f32 v[150:151], v[144:145], v[134:135], v[148:149] op_sel:[0,0,1] op_sel_hi:[1,1,0] neg_lo:[0,0,1] neg_hi:[0,0,1]
	v_pk_fma_f32 v[144:145], v[144:145], v[134:135], v[148:149] op_sel:[0,0,1] op_sel_hi:[1,0,0]
	v_mov_b32_e32 v151, v145
	v_pk_mul_f32 v[144:145], v[146:147], v[136:137] op_sel:[0,1]
	s_delay_alu instid0(VALU_DEP_1) | instskip(SKIP_1) | instid1(VALU_DEP_1)
	v_pk_fma_f32 v[148:149], v[146:147], v[134:135], v[144:145] op_sel:[0,0,1] op_sel_hi:[1,1,0] neg_lo:[0,0,1] neg_hi:[0,0,1]
	v_pk_fma_f32 v[144:145], v[146:147], v[134:135], v[144:145] op_sel:[0,0,1] op_sel_hi:[1,0,0]
	v_mov_b32_e32 v149, v145
	ds_load_2addr_b64 v[144:147], v138 offset0:34 offset1:35
	v_pk_add_f32 v[80:81], v[80:81], v[150:151] neg_lo:[0,1] neg_hi:[0,1]
	v_pk_add_f32 v[76:77], v[76:77], v[148:149] neg_lo:[0,1] neg_hi:[0,1]
	s_wait_dscnt 0x0
	v_dual_mul_f32 v148, v145, v137 :: v_dual_mul_f32 v150, v145, v134
	s_delay_alu instid0(VALU_DEP_1) | instskip(NEXT) | instid1(VALU_DEP_2)
	v_pk_fma_f32 v[148:149], v[144:145], v[40:41], v[148:149] op_sel_hi:[1,1,0] neg_lo:[0,0,1] neg_hi:[0,0,1]
	v_pk_fma_f32 v[144:145], v[144:145], v[40:41], v[150:151] op_sel:[1,0,0] op_sel_hi:[0,1,0]
	s_delay_alu instid0(VALU_DEP_1) | instskip(SKIP_1) | instid1(VALU_DEP_2)
	v_mov_b32_e32 v149, v145
	v_pk_mul_f32 v[144:145], v[146:147], v[136:137] op_sel:[0,1]
	v_pk_add_f32 v[78:79], v[78:79], v[148:149] neg_lo:[0,1] neg_hi:[0,1]
	s_delay_alu instid0(VALU_DEP_2) | instskip(SKIP_1) | instid1(VALU_DEP_1)
	v_pk_fma_f32 v[148:149], v[146:147], v[134:135], v[144:145] op_sel:[0,0,1] op_sel_hi:[1,1,0] neg_lo:[0,0,1] neg_hi:[0,0,1]
	v_pk_fma_f32 v[144:145], v[146:147], v[134:135], v[144:145] op_sel:[0,0,1] op_sel_hi:[1,0,0]
	v_mov_b32_e32 v149, v145
	ds_load_2addr_b64 v[144:147], v138 offset0:36 offset1:37
	v_pk_add_f32 v[24:25], v[24:25], v[148:149] neg_lo:[0,1] neg_hi:[0,1]
	s_wait_dscnt 0x0
	v_pk_mul_f32 v[148:149], v[144:145], v[136:137] op_sel:[0,1]
	s_delay_alu instid0(VALU_DEP_1) | instskip(SKIP_1) | instid1(VALU_DEP_1)
	v_pk_fma_f32 v[150:151], v[144:145], v[134:135], v[148:149] op_sel:[0,0,1] op_sel_hi:[1,1,0] neg_lo:[0,0,1] neg_hi:[0,0,1]
	v_pk_fma_f32 v[144:145], v[144:145], v[134:135], v[148:149] op_sel:[0,0,1] op_sel_hi:[1,0,0]
	v_mov_b32_e32 v151, v145
	v_pk_mul_f32 v[144:145], v[146:147], v[136:137] op_sel:[0,1]
	s_delay_alu instid0(VALU_DEP_2) | instskip(NEXT) | instid1(VALU_DEP_2)
	v_pk_add_f32 v[74:75], v[74:75], v[150:151] neg_lo:[0,1] neg_hi:[0,1]
	v_pk_fma_f32 v[148:149], v[146:147], v[134:135], v[144:145] op_sel:[0,0,1] op_sel_hi:[1,1,0] neg_lo:[0,0,1] neg_hi:[0,0,1]
	v_pk_fma_f32 v[144:145], v[146:147], v[134:135], v[144:145] op_sel:[0,0,1] op_sel_hi:[1,0,0]
	s_delay_alu instid0(VALU_DEP_1) | instskip(SKIP_4) | instid1(VALU_DEP_1)
	v_mov_b32_e32 v149, v145
	ds_load_2addr_b64 v[144:147], v138 offset0:38 offset1:39
	v_pk_add_f32 v[70:71], v[70:71], v[148:149] neg_lo:[0,1] neg_hi:[0,1]
	s_wait_dscnt 0x0
	v_pk_mul_f32 v[148:149], v[144:145], v[136:137] op_sel:[0,1]
	v_pk_fma_f32 v[150:151], v[144:145], v[134:135], v[148:149] op_sel:[0,0,1] op_sel_hi:[1,1,0] neg_lo:[0,0,1] neg_hi:[0,0,1]
	v_pk_fma_f32 v[144:145], v[144:145], v[134:135], v[148:149] op_sel:[0,0,1] op_sel_hi:[1,0,0]
	v_dual_mul_f32 v148, v147, v137 :: v_dual_mov_b32 v144, v147
	s_delay_alu instid0(VALU_DEP_2) | instskip(NEXT) | instid1(VALU_DEP_2)
	v_dual_mov_b32 v151, v145 :: v_dual_mov_b32 v145, v146
	v_pk_fma_f32 v[148:149], v[146:147], v[40:41], v[148:149] op_sel_hi:[1,1,0] neg_lo:[0,0,1] neg_hi:[0,0,1]
	v_mul_f32_e32 v146, v147, v134
	s_delay_alu instid0(VALU_DEP_3) | instskip(NEXT) | instid1(VALU_DEP_2)
	v_pk_add_f32 v[72:73], v[72:73], v[150:151] neg_lo:[0,1] neg_hi:[0,1]
	v_pk_fma_f32 v[144:145], v[144:145], v[40:41], v[146:147] op_sel_hi:[1,1,0]
	s_delay_alu instid0(VALU_DEP_1) | instskip(SKIP_4) | instid1(VALU_DEP_1)
	v_mov_b32_e32 v149, v145
	ds_load_2addr_b64 v[144:147], v138 offset0:40 offset1:41
	v_pk_add_f32 v[22:23], v[22:23], v[148:149] neg_lo:[0,1] neg_hi:[0,1]
	s_wait_dscnt 0x0
	v_pk_mul_f32 v[148:149], v[144:145], v[136:137] op_sel:[0,1]
	v_pk_fma_f32 v[150:151], v[144:145], v[134:135], v[148:149] op_sel:[0,0,1] op_sel_hi:[1,1,0] neg_lo:[0,0,1] neg_hi:[0,0,1]
	v_pk_fma_f32 v[144:145], v[144:145], v[134:135], v[148:149] op_sel:[0,0,1] op_sel_hi:[1,0,0]
	s_delay_alu instid0(VALU_DEP_1) | instskip(SKIP_1) | instid1(VALU_DEP_1)
	v_mov_b32_e32 v151, v145
	v_pk_mul_f32 v[144:145], v[146:147], v[136:137] op_sel:[0,1]
	v_pk_fma_f32 v[148:149], v[146:147], v[134:135], v[144:145] op_sel:[0,0,1] op_sel_hi:[1,1,0] neg_lo:[0,0,1] neg_hi:[0,0,1]
	v_pk_fma_f32 v[144:145], v[146:147], v[134:135], v[144:145] op_sel:[0,0,1] op_sel_hi:[1,0,0]
	s_delay_alu instid0(VALU_DEP_1)
	v_mov_b32_e32 v149, v145
	ds_load_2addr_b64 v[144:147], v138 offset0:42 offset1:43
	v_pk_add_f32 v[68:69], v[68:69], v[150:151] neg_lo:[0,1] neg_hi:[0,1]
	v_pk_add_f32 v[64:65], v[64:65], v[148:149] neg_lo:[0,1] neg_hi:[0,1]
	s_wait_dscnt 0x0
	v_pk_mul_f32 v[148:149], v[144:145], v[136:137] op_sel:[0,1]
	s_delay_alu instid0(VALU_DEP_1) | instskip(SKIP_1) | instid1(VALU_DEP_1)
	v_pk_fma_f32 v[150:151], v[144:145], v[134:135], v[148:149] op_sel:[0,0,1] op_sel_hi:[1,1,0] neg_lo:[0,0,1] neg_hi:[0,0,1]
	v_pk_fma_f32 v[144:145], v[144:145], v[134:135], v[148:149] op_sel:[0,0,1] op_sel_hi:[1,0,0]
	v_mov_b32_e32 v151, v145
	v_pk_mul_f32 v[144:145], v[146:147], v[136:137] op_sel:[0,1]
	s_delay_alu instid0(VALU_DEP_1) | instskip(SKIP_1) | instid1(VALU_DEP_1)
	v_pk_fma_f32 v[148:149], v[146:147], v[134:135], v[144:145] op_sel:[0,0,1] op_sel_hi:[1,1,0] neg_lo:[0,0,1] neg_hi:[0,0,1]
	v_pk_fma_f32 v[144:145], v[146:147], v[134:135], v[144:145] op_sel:[0,0,1] op_sel_hi:[1,0,0]
	v_mov_b32_e32 v149, v145
	ds_load_2addr_b64 v[144:147], v138 offset0:44 offset1:45
	v_pk_add_f32 v[66:67], v[66:67], v[150:151] neg_lo:[0,1] neg_hi:[0,1]
	v_pk_add_f32 v[18:19], v[18:19], v[148:149] neg_lo:[0,1] neg_hi:[0,1]
	s_wait_dscnt 0x0
	v_dual_mul_f32 v148, v145, v137 :: v_dual_mul_f32 v150, v145, v134
	s_delay_alu instid0(VALU_DEP_1) | instskip(NEXT) | instid1(VALU_DEP_2)
	v_pk_fma_f32 v[148:149], v[144:145], v[40:41], v[148:149] op_sel_hi:[1,1,0] neg_lo:[0,0,1] neg_hi:[0,0,1]
	v_pk_fma_f32 v[144:145], v[144:145], v[40:41], v[150:151] op_sel:[1,0,0] op_sel_hi:[0,1,0]
	s_delay_alu instid0(VALU_DEP_1) | instskip(SKIP_1) | instid1(VALU_DEP_2)
	v_mov_b32_e32 v149, v145
	v_pk_mul_f32 v[144:145], v[146:147], v[136:137] op_sel:[0,1]
	v_pk_add_f32 v[60:61], v[60:61], v[148:149] neg_lo:[0,1] neg_hi:[0,1]
	s_delay_alu instid0(VALU_DEP_2) | instskip(SKIP_1) | instid1(VALU_DEP_1)
	v_pk_fma_f32 v[148:149], v[146:147], v[134:135], v[144:145] op_sel:[0,0,1] op_sel_hi:[1,1,0] neg_lo:[0,0,1] neg_hi:[0,0,1]
	v_pk_fma_f32 v[144:145], v[146:147], v[134:135], v[144:145] op_sel:[0,0,1] op_sel_hi:[1,0,0]
	v_mov_b32_e32 v149, v145
	ds_load_2addr_b64 v[144:147], v138 offset0:46 offset1:47
	v_pk_add_f32 v[56:57], v[56:57], v[148:149] neg_lo:[0,1] neg_hi:[0,1]
	s_wait_dscnt 0x0
	v_pk_mul_f32 v[148:149], v[144:145], v[136:137] op_sel:[0,1]
	s_delay_alu instid0(VALU_DEP_1) | instskip(SKIP_1) | instid1(VALU_DEP_1)
	v_pk_fma_f32 v[150:151], v[144:145], v[134:135], v[148:149] op_sel:[0,0,1] op_sel_hi:[1,1,0] neg_lo:[0,0,1] neg_hi:[0,0,1]
	v_pk_fma_f32 v[144:145], v[144:145], v[134:135], v[148:149] op_sel:[0,0,1] op_sel_hi:[1,0,0]
	v_mov_b32_e32 v151, v145
	v_pk_mul_f32 v[144:145], v[146:147], v[136:137] op_sel:[0,1]
	s_delay_alu instid0(VALU_DEP_2) | instskip(NEXT) | instid1(VALU_DEP_2)
	v_pk_add_f32 v[58:59], v[58:59], v[150:151] neg_lo:[0,1] neg_hi:[0,1]
	v_pk_fma_f32 v[148:149], v[146:147], v[134:135], v[144:145] op_sel:[0,0,1] op_sel_hi:[1,1,0] neg_lo:[0,0,1] neg_hi:[0,0,1]
	v_pk_fma_f32 v[144:145], v[146:147], v[134:135], v[144:145] op_sel:[0,0,1] op_sel_hi:[1,0,0]
	s_delay_alu instid0(VALU_DEP_1) | instskip(SKIP_4) | instid1(VALU_DEP_1)
	v_mov_b32_e32 v149, v145
	ds_load_2addr_b64 v[144:147], v138 offset0:48 offset1:49
	v_pk_add_f32 v[12:13], v[12:13], v[148:149] neg_lo:[0,1] neg_hi:[0,1]
	s_wait_dscnt 0x0
	v_pk_mul_f32 v[148:149], v[144:145], v[136:137] op_sel:[0,1]
	v_pk_fma_f32 v[150:151], v[144:145], v[134:135], v[148:149] op_sel:[0,0,1] op_sel_hi:[1,1,0] neg_lo:[0,0,1] neg_hi:[0,0,1]
	v_pk_fma_f32 v[144:145], v[144:145], v[134:135], v[148:149] op_sel:[0,0,1] op_sel_hi:[1,0,0]
	v_dual_mul_f32 v148, v147, v137 :: v_dual_mov_b32 v144, v147
	s_delay_alu instid0(VALU_DEP_2) | instskip(NEXT) | instid1(VALU_DEP_2)
	v_dual_mov_b32 v151, v145 :: v_dual_mov_b32 v145, v146
	v_pk_fma_f32 v[148:149], v[146:147], v[40:41], v[148:149] op_sel_hi:[1,1,0] neg_lo:[0,0,1] neg_hi:[0,0,1]
	v_mul_f32_e32 v146, v147, v134
	s_delay_alu instid0(VALU_DEP_3) | instskip(NEXT) | instid1(VALU_DEP_2)
	v_pk_add_f32 v[54:55], v[54:55], v[150:151] neg_lo:[0,1] neg_hi:[0,1]
	v_pk_fma_f32 v[144:145], v[144:145], v[40:41], v[146:147] op_sel_hi:[1,1,0]
	s_delay_alu instid0(VALU_DEP_1) | instskip(SKIP_4) | instid1(VALU_DEP_1)
	v_mov_b32_e32 v149, v145
	ds_load_2addr_b64 v[144:147], v138 offset0:50 offset1:51
	v_pk_add_f32 v[52:53], v[52:53], v[148:149] neg_lo:[0,1] neg_hi:[0,1]
	s_wait_dscnt 0x0
	v_pk_mul_f32 v[148:149], v[144:145], v[136:137] op_sel:[0,1]
	v_pk_fma_f32 v[150:151], v[144:145], v[134:135], v[148:149] op_sel:[0,0,1] op_sel_hi:[1,1,0] neg_lo:[0,0,1] neg_hi:[0,0,1]
	v_pk_fma_f32 v[144:145], v[144:145], v[134:135], v[148:149] op_sel:[0,0,1] op_sel_hi:[1,0,0]
	s_delay_alu instid0(VALU_DEP_1) | instskip(SKIP_1) | instid1(VALU_DEP_1)
	v_mov_b32_e32 v151, v145
	v_pk_mul_f32 v[144:145], v[146:147], v[136:137] op_sel:[0,1]
	v_pk_fma_f32 v[148:149], v[146:147], v[134:135], v[144:145] op_sel:[0,0,1] op_sel_hi:[1,1,0] neg_lo:[0,0,1] neg_hi:[0,0,1]
	v_pk_fma_f32 v[144:145], v[146:147], v[134:135], v[144:145] op_sel:[0,0,1] op_sel_hi:[1,0,0]
	s_delay_alu instid0(VALU_DEP_1)
	v_mov_b32_e32 v149, v145
	ds_load_2addr_b64 v[144:147], v138 offset0:52 offset1:53
	v_pk_add_f32 v[62:63], v[62:63], v[150:151] neg_lo:[0,1] neg_hi:[0,1]
	v_pk_add_f32 v[16:17], v[16:17], v[148:149] neg_lo:[0,1] neg_hi:[0,1]
	s_wait_dscnt 0x0
	v_pk_mul_f32 v[148:149], v[144:145], v[136:137] op_sel:[0,1]
	s_delay_alu instid0(VALU_DEP_1) | instskip(SKIP_1) | instid1(VALU_DEP_1)
	v_pk_fma_f32 v[150:151], v[144:145], v[134:135], v[148:149] op_sel:[0,0,1] op_sel_hi:[1,1,0] neg_lo:[0,0,1] neg_hi:[0,0,1]
	v_pk_fma_f32 v[144:145], v[144:145], v[134:135], v[148:149] op_sel:[0,0,1] op_sel_hi:[1,0,0]
	v_mov_b32_e32 v151, v145
	v_pk_mul_f32 v[144:145], v[146:147], v[136:137] op_sel:[0,1]
	s_delay_alu instid0(VALU_DEP_1) | instskip(SKIP_1) | instid1(VALU_DEP_1)
	v_pk_fma_f32 v[148:149], v[146:147], v[134:135], v[144:145] op_sel:[0,0,1] op_sel_hi:[1,1,0] neg_lo:[0,0,1] neg_hi:[0,0,1]
	v_pk_fma_f32 v[144:145], v[146:147], v[134:135], v[144:145] op_sel:[0,0,1] op_sel_hi:[1,0,0]
	v_mov_b32_e32 v149, v145
	ds_load_2addr_b64 v[144:147], v138 offset0:54 offset1:55
	v_pk_add_f32 v[48:49], v[48:49], v[150:151] neg_lo:[0,1] neg_hi:[0,1]
	v_pk_add_f32 v[42:43], v[42:43], v[148:149] neg_lo:[0,1] neg_hi:[0,1]
	s_wait_dscnt 0x0
	v_dual_mul_f32 v148, v145, v137 :: v_dual_mul_f32 v150, v145, v134
	s_delay_alu instid0(VALU_DEP_1) | instskip(NEXT) | instid1(VALU_DEP_2)
	v_pk_fma_f32 v[148:149], v[144:145], v[40:41], v[148:149] op_sel_hi:[1,1,0] neg_lo:[0,0,1] neg_hi:[0,0,1]
	v_pk_fma_f32 v[144:145], v[144:145], v[40:41], v[150:151] op_sel:[1,0,0] op_sel_hi:[0,1,0]
	s_delay_alu instid0(VALU_DEP_1) | instskip(SKIP_1) | instid1(VALU_DEP_2)
	v_mov_b32_e32 v149, v145
	v_pk_mul_f32 v[144:145], v[146:147], v[136:137] op_sel:[0,1]
	v_pk_add_f32 v[46:47], v[46:47], v[148:149] neg_lo:[0,1] neg_hi:[0,1]
	s_delay_alu instid0(VALU_DEP_2) | instskip(SKIP_1) | instid1(VALU_DEP_1)
	v_pk_fma_f32 v[148:149], v[146:147], v[134:135], v[144:145] op_sel:[0,0,1] op_sel_hi:[1,1,0] neg_lo:[0,0,1] neg_hi:[0,0,1]
	v_pk_fma_f32 v[144:145], v[146:147], v[134:135], v[144:145] op_sel:[0,0,1] op_sel_hi:[1,0,0]
	v_mov_b32_e32 v149, v145
	ds_load_2addr_b64 v[144:147], v138 offset0:56 offset1:57
	v_pk_add_f32 v[8:9], v[8:9], v[148:149] neg_lo:[0,1] neg_hi:[0,1]
	s_wait_dscnt 0x0
	v_pk_mul_f32 v[148:149], v[144:145], v[136:137] op_sel:[0,1]
	s_delay_alu instid0(VALU_DEP_1) | instskip(SKIP_1) | instid1(VALU_DEP_1)
	v_pk_fma_f32 v[150:151], v[144:145], v[134:135], v[148:149] op_sel:[0,0,1] op_sel_hi:[1,1,0] neg_lo:[0,0,1] neg_hi:[0,0,1]
	v_pk_fma_f32 v[144:145], v[144:145], v[134:135], v[148:149] op_sel:[0,0,1] op_sel_hi:[1,0,0]
	v_mov_b32_e32 v151, v145
	v_pk_mul_f32 v[144:145], v[146:147], v[136:137] op_sel:[0,1]
	s_delay_alu instid0(VALU_DEP_2) | instskip(NEXT) | instid1(VALU_DEP_2)
	v_pk_add_f32 v[32:33], v[32:33], v[150:151] neg_lo:[0,1] neg_hi:[0,1]
	v_pk_fma_f32 v[148:149], v[146:147], v[134:135], v[144:145] op_sel:[0,0,1] op_sel_hi:[1,1,0] neg_lo:[0,0,1] neg_hi:[0,0,1]
	v_pk_fma_f32 v[144:145], v[146:147], v[134:135], v[144:145] op_sel:[0,0,1] op_sel_hi:[1,0,0]
	s_delay_alu instid0(VALU_DEP_1) | instskip(SKIP_4) | instid1(VALU_DEP_1)
	v_mov_b32_e32 v149, v145
	ds_load_2addr_b64 v[144:147], v138 offset0:58 offset1:59
	v_pk_add_f32 v[28:29], v[28:29], v[148:149] neg_lo:[0,1] neg_hi:[0,1]
	s_wait_dscnt 0x0
	v_pk_mul_f32 v[148:149], v[144:145], v[136:137] op_sel:[0,1]
	v_pk_fma_f32 v[150:151], v[144:145], v[134:135], v[148:149] op_sel:[0,0,1] op_sel_hi:[1,1,0] neg_lo:[0,0,1] neg_hi:[0,0,1]
	v_pk_fma_f32 v[144:145], v[144:145], v[134:135], v[148:149] op_sel:[0,0,1] op_sel_hi:[1,0,0]
	v_dual_mul_f32 v148, v147, v137 :: v_dual_mov_b32 v144, v147
	s_delay_alu instid0(VALU_DEP_2) | instskip(NEXT) | instid1(VALU_DEP_2)
	v_dual_mov_b32 v151, v145 :: v_dual_mov_b32 v145, v146
	v_pk_fma_f32 v[148:149], v[146:147], v[40:41], v[148:149] op_sel_hi:[1,1,0] neg_lo:[0,0,1] neg_hi:[0,0,1]
	v_mul_f32_e32 v146, v147, v134
	s_delay_alu instid0(VALU_DEP_3) | instskip(NEXT) | instid1(VALU_DEP_2)
	v_pk_add_f32 v[30:31], v[30:31], v[150:151] neg_lo:[0,1] neg_hi:[0,1]
	v_pk_fma_f32 v[144:145], v[144:145], v[40:41], v[146:147] op_sel_hi:[1,1,0]
	s_delay_alu instid0(VALU_DEP_1) | instskip(SKIP_4) | instid1(VALU_DEP_1)
	v_mov_b32_e32 v149, v145
	ds_load_2addr_b64 v[144:147], v138 offset0:60 offset1:61
	v_pk_add_f32 v[6:7], v[6:7], v[148:149] neg_lo:[0,1] neg_hi:[0,1]
	s_wait_dscnt 0x0
	v_pk_mul_f32 v[148:149], v[144:145], v[136:137] op_sel:[0,1]
	v_pk_fma_f32 v[150:151], v[144:145], v[134:135], v[148:149] op_sel:[0,0,1] op_sel_hi:[1,1,0] neg_lo:[0,0,1] neg_hi:[0,0,1]
	v_pk_fma_f32 v[144:145], v[144:145], v[134:135], v[148:149] op_sel:[0,0,1] op_sel_hi:[1,0,0]
	s_delay_alu instid0(VALU_DEP_1) | instskip(SKIP_1) | instid1(VALU_DEP_1)
	v_mov_b32_e32 v151, v145
	v_pk_mul_f32 v[144:145], v[146:147], v[136:137] op_sel:[0,1]
	v_pk_fma_f32 v[148:149], v[146:147], v[134:135], v[144:145] op_sel:[0,0,1] op_sel_hi:[1,1,0] neg_lo:[0,0,1] neg_hi:[0,0,1]
	v_pk_fma_f32 v[144:145], v[146:147], v[134:135], v[144:145] op_sel:[0,0,1] op_sel_hi:[1,0,0]
	s_delay_alu instid0(VALU_DEP_1)
	v_mov_b32_e32 v149, v145
	ds_load_2addr_b64 v[144:147], v138 offset0:62 offset1:63
	v_pk_add_f32 v[20:21], v[20:21], v[150:151] neg_lo:[0,1] neg_hi:[0,1]
	v_pk_add_f32 v[14:15], v[14:15], v[148:149] neg_lo:[0,1] neg_hi:[0,1]
	s_wait_dscnt 0x0
	v_pk_mul_f32 v[148:149], v[144:145], v[136:137] op_sel:[0,1]
	v_mul_f32_e32 v136, v147, v137
	s_delay_alu instid0(VALU_DEP_2) | instskip(SKIP_2) | instid1(VALU_DEP_4)
	v_pk_fma_f32 v[150:151], v[144:145], v[134:135], v[148:149] op_sel:[0,0,1] op_sel_hi:[1,1,0] neg_lo:[0,0,1] neg_hi:[0,0,1]
	v_pk_fma_f32 v[144:145], v[144:145], v[134:135], v[148:149] op_sel:[0,0,1] op_sel_hi:[1,0,0]
	v_dual_mov_b32 v144, v147 :: v_dual_mul_f32 v134, v147, v134
	v_pk_fma_f32 v[136:137], v[146:147], v[40:41], v[136:137] op_sel_hi:[1,1,0] neg_lo:[0,0,1] neg_hi:[0,0,1]
	s_delay_alu instid0(VALU_DEP_3) | instskip(NEXT) | instid1(VALU_DEP_1)
	v_dual_mov_b32 v151, v145 :: v_dual_mov_b32 v145, v146
	v_pk_add_f32 v[10:11], v[10:11], v[150:151] neg_lo:[0,1] neg_hi:[0,1]
	s_delay_alu instid0(VALU_DEP_2) | instskip(NEXT) | instid1(VALU_DEP_1)
	v_pk_fma_f32 v[134:135], v[144:145], v[40:41], v[134:135] op_sel_hi:[1,1,0]
	v_mov_b32_e32 v137, v135
	s_delay_alu instid0(VALU_DEP_1)
	v_pk_add_f32 v[132:133], v[132:133], v[136:137] neg_lo:[0,1] neg_hi:[0,1]
.LBB126_335:
	s_or_b32 exec_lo, exec_lo, s0
	v_lshl_add_u32 v134, v142, 3, v138
	s_barrier_signal -1
	s_barrier_wait -1
	ds_store_b64 v134, v[104:105]
	s_wait_dscnt 0x0
	s_barrier_signal -1
	s_barrier_wait -1
	ds_load_b64 v[136:137], v138 offset:128
	v_mov_b32_e32 v134, 16
	s_cmp_lt_i32 s18, 18
	s_cbranch_scc1 .LBB126_338
; %bb.336:
	v_add3_u32 v135, v139, 0, 0x88
	v_mov_b32_e32 v134, 16
	s_mov_b32 s0, 17
.LBB126_337:                            ; =>This Inner Loop Header: Depth=1
	ds_load_b64 v[144:145], v135
	s_wait_dscnt 0x1
	v_cmp_gt_f32_e32 vcc_lo, 0, v136
	v_cndmask_b32_e64 v146, v136, -v136, vcc_lo
	v_cmp_gt_f32_e32 vcc_lo, 0, v137
	v_cndmask_b32_e64 v148, v137, -v137, vcc_lo
	s_wait_dscnt 0x0
	v_cmp_gt_f32_e32 vcc_lo, 0, v144
	v_cndmask_b32_e64 v147, v144, -v144, vcc_lo
	v_cmp_gt_f32_e32 vcc_lo, 0, v145
	v_cndmask_b32_e64 v149, v145, -v145, vcc_lo
	s_delay_alu instid0(VALU_DEP_1) | instskip(NEXT) | instid1(VALU_DEP_1)
	v_pk_add_f32 v[146:147], v[146:147], v[148:149]
	v_cmp_lt_f32_e32 vcc_lo, v146, v147
	v_dual_add_nc_u32 v135, 8, v135 :: v_dual_cndmask_b32 v137, v137, v145, vcc_lo
	v_cndmask_b32_e32 v136, v136, v144, vcc_lo
	v_cndmask_b32_e64 v134, v134, s0, vcc_lo
	s_add_co_i32 s0, s0, 1
	s_delay_alu instid0(SALU_CYCLE_1)
	s_cmp_lg_u32 s18, s0
	s_cbranch_scc1 .LBB126_337
.LBB126_338:
	s_wait_dscnt 0x0
	v_cmp_eq_f32_e32 vcc_lo, 0, v136
	v_cmp_eq_f32_e64 s0, 0, v137
	s_and_b32 s0, vcc_lo, s0
	s_delay_alu instid0(SALU_CYCLE_1) | instskip(NEXT) | instid1(SALU_CYCLE_1)
	s_and_saveexec_b32 s1, s0
	s_xor_b32 s0, exec_lo, s1
; %bb.339:
	v_cmp_ne_u32_e32 vcc_lo, 0, v140
	v_cndmask_b32_e32 v140, 17, v140, vcc_lo
; %bb.340:
	s_and_not1_saveexec_b32 s0, s0
	s_cbranch_execz .LBB126_346
; %bb.341:
	v_cmp_ngt_f32_e64 s1, |v136|, |v137|
	s_and_saveexec_b32 s12, s1
	s_delay_alu instid0(SALU_CYCLE_1)
	s_xor_b32 s1, exec_lo, s12
	s_cbranch_execz .LBB126_343
; %bb.342:
	v_div_scale_f32 v135, null, v137, v137, v136
	v_div_scale_f32 v145, vcc_lo, v136, v137, v136
	s_delay_alu instid0(VALU_DEP_2) | instskip(SKIP_1) | instid1(TRANS32_DEP_1)
	v_rcp_f32_e32 v143, v135
	v_nop
	v_fma_f32 v144, -v135, v143, 1.0
	s_delay_alu instid0(VALU_DEP_1) | instskip(NEXT) | instid1(VALU_DEP_1)
	v_fmac_f32_e32 v143, v144, v143
	v_mul_f32_e32 v144, v145, v143
	s_delay_alu instid0(VALU_DEP_1) | instskip(NEXT) | instid1(VALU_DEP_1)
	v_fma_f32 v146, -v135, v144, v145
	v_fmac_f32_e32 v144, v146, v143
	s_delay_alu instid0(VALU_DEP_1) | instskip(NEXT) | instid1(VALU_DEP_1)
	v_fma_f32 v135, -v135, v144, v145
	v_div_fmas_f32 v135, v135, v143, v144
	s_delay_alu instid0(VALU_DEP_1) | instskip(NEXT) | instid1(VALU_DEP_1)
	v_div_fixup_f32 v135, v135, v137, v136
	v_fmac_f32_e32 v137, v136, v135
	s_delay_alu instid0(VALU_DEP_1) | instskip(SKIP_1) | instid1(VALU_DEP_2)
	v_div_scale_f32 v136, null, v137, v137, 1.0
	v_div_scale_f32 v145, vcc_lo, 1.0, v137, 1.0
	v_rcp_f32_e32 v143, v136
	v_nop
	s_delay_alu instid0(TRANS32_DEP_1) | instskip(NEXT) | instid1(VALU_DEP_1)
	v_fma_f32 v144, -v136, v143, 1.0
	v_fmac_f32_e32 v143, v144, v143
	s_delay_alu instid0(VALU_DEP_1) | instskip(NEXT) | instid1(VALU_DEP_1)
	v_mul_f32_e32 v144, v145, v143
	v_fma_f32 v146, -v136, v144, v145
	s_delay_alu instid0(VALU_DEP_1) | instskip(NEXT) | instid1(VALU_DEP_1)
	v_fmac_f32_e32 v144, v146, v143
	v_fma_f32 v136, -v136, v144, v145
	s_delay_alu instid0(VALU_DEP_1) | instskip(NEXT) | instid1(VALU_DEP_1)
	v_div_fmas_f32 v136, v136, v143, v144
	v_div_fixup_f32 v137, v136, v137, 1.0
	s_delay_alu instid0(VALU_DEP_1)
	v_mul_f32_e32 v136, v135, v137
	v_xor_b32_e32 v137, 0x80000000, v137
.LBB126_343:
	s_and_not1_saveexec_b32 s1, s1
	s_cbranch_execz .LBB126_345
; %bb.344:
	s_delay_alu instid0(VALU_DEP_1) | instskip(SKIP_1) | instid1(VALU_DEP_2)
	v_div_scale_f32 v135, null, v136, v136, v137
	v_div_scale_f32 v145, vcc_lo, v137, v136, v137
	v_rcp_f32_e32 v143, v135
	v_nop
	s_delay_alu instid0(TRANS32_DEP_1) | instskip(NEXT) | instid1(VALU_DEP_1)
	v_fma_f32 v144, -v135, v143, 1.0
	v_fmac_f32_e32 v143, v144, v143
	s_delay_alu instid0(VALU_DEP_1) | instskip(NEXT) | instid1(VALU_DEP_1)
	v_mul_f32_e32 v144, v145, v143
	v_fma_f32 v146, -v135, v144, v145
	s_delay_alu instid0(VALU_DEP_1) | instskip(NEXT) | instid1(VALU_DEP_1)
	v_fmac_f32_e32 v144, v146, v143
	v_fma_f32 v135, -v135, v144, v145
	s_delay_alu instid0(VALU_DEP_1) | instskip(NEXT) | instid1(VALU_DEP_1)
	v_div_fmas_f32 v135, v135, v143, v144
	v_div_fixup_f32 v135, v135, v136, v137
	s_delay_alu instid0(VALU_DEP_1) | instskip(NEXT) | instid1(VALU_DEP_1)
	v_fmac_f32_e32 v136, v137, v135
	v_div_scale_f32 v137, null, v136, v136, 1.0
	s_delay_alu instid0(VALU_DEP_1) | instskip(SKIP_1) | instid1(TRANS32_DEP_1)
	v_rcp_f32_e32 v143, v137
	v_nop
	v_fma_f32 v144, -v137, v143, 1.0
	s_delay_alu instid0(VALU_DEP_1) | instskip(SKIP_1) | instid1(VALU_DEP_1)
	v_fmac_f32_e32 v143, v144, v143
	v_div_scale_f32 v144, vcc_lo, 1.0, v136, 1.0
	v_mul_f32_e32 v145, v144, v143
	s_delay_alu instid0(VALU_DEP_1) | instskip(NEXT) | instid1(VALU_DEP_1)
	v_fma_f32 v146, -v137, v145, v144
	v_fmac_f32_e32 v145, v146, v143
	s_delay_alu instid0(VALU_DEP_1) | instskip(NEXT) | instid1(VALU_DEP_1)
	v_fma_f32 v137, -v137, v145, v144
	v_div_fmas_f32 v137, v137, v143, v145
	s_delay_alu instid0(VALU_DEP_1) | instskip(NEXT) | instid1(VALU_DEP_1)
	v_div_fixup_f32 v136, v137, v136, 1.0
	v_mul_f32_e64 v137, v135, -v136
.LBB126_345:
	s_or_b32 exec_lo, exec_lo, s1
.LBB126_346:
	s_delay_alu instid0(SALU_CYCLE_1) | instskip(NEXT) | instid1(SALU_CYCLE_1)
	s_or_b32 exec_lo, exec_lo, s0
	s_mov_b32 s0, exec_lo
	v_cmpx_ne_u32_e64 v142, v134
	s_xor_b32 s0, exec_lo, s0
	s_cbranch_execz .LBB126_352
; %bb.347:
	s_mov_b32 s1, exec_lo
	v_cmpx_eq_u32_e32 16, v142
	s_cbranch_execz .LBB126_351
; %bb.348:
	v_cmp_ne_u32_e32 vcc_lo, 16, v134
	s_xor_b32 s12, s16, -1
	s_delay_alu instid0(SALU_CYCLE_1) | instskip(NEXT) | instid1(SALU_CYCLE_1)
	s_and_b32 s13, s12, vcc_lo
	s_and_saveexec_b32 s12, s13
	s_cbranch_execz .LBB126_350
; %bb.349:
	v_ashrrev_i32_e32 v135, 31, v134
	s_delay_alu instid0(VALU_DEP_1)
	v_lshl_add_u64 v[142:143], v[134:135], 2, v[4:5]
	s_clause 0x1
	global_load_b32 v135, v[142:143], off
	global_load_b32 v141, v[4:5], off offset:64
	s_wait_loadcnt 0x1
	global_store_b32 v[4:5], v135, off offset:64
	s_wait_loadcnt 0x0
	global_store_b32 v[142:143], v141, off
.LBB126_350:
	s_wait_xcnt 0x0
	s_or_b32 exec_lo, exec_lo, s12
	v_dual_mov_b32 v142, v134 :: v_dual_mov_b32 v141, v134
.LBB126_351:
	s_or_b32 exec_lo, exec_lo, s1
.LBB126_352:
	s_and_not1_saveexec_b32 s0, s0
	s_cbranch_execz .LBB126_354
; %bb.353:
	v_mov_b32_e32 v142, 16
	ds_store_2addr_b64 v138, v[100:101], v[102:103] offset0:17 offset1:18
	ds_store_2addr_b64 v138, v[38:39], v[98:99] offset0:19 offset1:20
	;; [unrolled: 1-line block ×23, first 2 shown]
	ds_store_b64 v138, v[132:133] offset:504
.LBB126_354:
	s_or_b32 exec_lo, exec_lo, s0
	s_delay_alu instid0(SALU_CYCLE_1)
	s_mov_b32 s0, exec_lo
	s_wait_storecnt_dscnt 0x0
	s_barrier_signal -1
	s_barrier_wait -1
	v_cmpx_lt_i32_e32 16, v142
	s_cbranch_execz .LBB126_356
; %bb.355:
	v_pk_mul_f32 v[144:145], v[136:137], v[104:105] op_sel:[1,1] op_sel_hi:[0,1]
	s_delay_alu instid0(VALU_DEP_1)
	v_pk_fma_f32 v[134:135], v[136:137], v[104:105], v[144:145] op_sel_hi:[1,0,1] neg_lo:[0,0,1] neg_hi:[0,0,1]
	v_pk_fma_f32 v[136:137], v[136:137], v[104:105], v[144:145] op_sel_hi:[1,0,1]
	ds_load_2addr_b64 v[144:147], v138 offset0:17 offset1:18
	v_dual_mov_b32 v104, v134 :: v_dual_mov_b32 v105, v137
	s_wait_dscnt 0x0
	v_pk_mul_f32 v[148:149], v[144:145], v[136:137] op_sel:[0,1]
	s_delay_alu instid0(VALU_DEP_1) | instskip(SKIP_1) | instid1(VALU_DEP_1)
	v_pk_fma_f32 v[150:151], v[144:145], v[134:135], v[148:149] op_sel:[0,0,1] op_sel_hi:[1,1,0] neg_lo:[0,0,1] neg_hi:[0,0,1]
	v_pk_fma_f32 v[144:145], v[144:145], v[134:135], v[148:149] op_sel:[0,0,1] op_sel_hi:[1,0,0]
	v_mov_b32_e32 v151, v145
	v_pk_mul_f32 v[144:145], v[146:147], v[136:137] op_sel:[0,1]
	s_delay_alu instid0(VALU_DEP_1) | instskip(SKIP_1) | instid1(VALU_DEP_1)
	v_pk_fma_f32 v[148:149], v[146:147], v[134:135], v[144:145] op_sel:[0,0,1] op_sel_hi:[1,1,0] neg_lo:[0,0,1] neg_hi:[0,0,1]
	v_pk_fma_f32 v[144:145], v[146:147], v[134:135], v[144:145] op_sel:[0,0,1] op_sel_hi:[1,0,0]
	v_mov_b32_e32 v149, v145
	ds_load_2addr_b64 v[144:147], v138 offset0:19 offset1:20
	v_pk_add_f32 v[100:101], v[100:101], v[150:151] neg_lo:[0,1] neg_hi:[0,1]
	v_pk_add_f32 v[102:103], v[102:103], v[148:149] neg_lo:[0,1] neg_hi:[0,1]
	s_wait_dscnt 0x0
	v_pk_mul_f32 v[148:149], v[144:145], v[136:137] op_sel:[0,1]
	s_delay_alu instid0(VALU_DEP_1) | instskip(SKIP_2) | instid1(VALU_DEP_2)
	v_pk_fma_f32 v[150:151], v[144:145], v[134:135], v[148:149] op_sel:[0,0,1] op_sel_hi:[1,1,0] neg_lo:[0,0,1] neg_hi:[0,0,1]
	v_pk_fma_f32 v[144:145], v[144:145], v[134:135], v[148:149] op_sel:[0,0,1] op_sel_hi:[1,0,0]
	v_dual_mul_f32 v148, v147, v137 :: v_dual_mov_b32 v144, v147
	v_dual_mov_b32 v151, v145 :: v_dual_mov_b32 v145, v146
	s_delay_alu instid0(VALU_DEP_2) | instskip(SKIP_1) | instid1(VALU_DEP_3)
	v_pk_fma_f32 v[148:149], v[146:147], v[104:105], v[148:149] op_sel_hi:[1,1,0] neg_lo:[0,0,1] neg_hi:[0,0,1]
	v_mul_f32_e32 v146, v147, v134
	v_pk_add_f32 v[38:39], v[38:39], v[150:151] neg_lo:[0,1] neg_hi:[0,1]
	s_delay_alu instid0(VALU_DEP_2) | instskip(NEXT) | instid1(VALU_DEP_1)
	v_pk_fma_f32 v[144:145], v[144:145], v[104:105], v[146:147] op_sel_hi:[1,1,0]
	v_mov_b32_e32 v149, v145
	ds_load_2addr_b64 v[144:147], v138 offset0:21 offset1:22
	v_pk_add_f32 v[98:99], v[98:99], v[148:149] neg_lo:[0,1] neg_hi:[0,1]
	s_wait_dscnt 0x0
	v_pk_mul_f32 v[148:149], v[144:145], v[136:137] op_sel:[0,1]
	s_delay_alu instid0(VALU_DEP_1) | instskip(SKIP_1) | instid1(VALU_DEP_1)
	v_pk_fma_f32 v[150:151], v[144:145], v[134:135], v[148:149] op_sel:[0,0,1] op_sel_hi:[1,1,0] neg_lo:[0,0,1] neg_hi:[0,0,1]
	v_pk_fma_f32 v[144:145], v[144:145], v[134:135], v[148:149] op_sel:[0,0,1] op_sel_hi:[1,0,0]
	v_mov_b32_e32 v151, v145
	v_pk_mul_f32 v[144:145], v[146:147], v[136:137] op_sel:[0,1]
	s_delay_alu instid0(VALU_DEP_1) | instskip(SKIP_1) | instid1(VALU_DEP_1)
	v_pk_fma_f32 v[148:149], v[146:147], v[134:135], v[144:145] op_sel:[0,0,1] op_sel_hi:[1,1,0] neg_lo:[0,0,1] neg_hi:[0,0,1]
	v_pk_fma_f32 v[144:145], v[146:147], v[134:135], v[144:145] op_sel:[0,0,1] op_sel_hi:[1,0,0]
	v_mov_b32_e32 v149, v145
	ds_load_2addr_b64 v[144:147], v138 offset0:23 offset1:24
	v_pk_add_f32 v[94:95], v[94:95], v[150:151] neg_lo:[0,1] neg_hi:[0,1]
	v_pk_add_f32 v[96:97], v[96:97], v[148:149] neg_lo:[0,1] neg_hi:[0,1]
	s_wait_dscnt 0x0
	v_pk_mul_f32 v[148:149], v[144:145], v[136:137] op_sel:[0,1]
	s_delay_alu instid0(VALU_DEP_1) | instskip(SKIP_1) | instid1(VALU_DEP_1)
	v_pk_fma_f32 v[150:151], v[144:145], v[134:135], v[148:149] op_sel:[0,0,1] op_sel_hi:[1,1,0] neg_lo:[0,0,1] neg_hi:[0,0,1]
	v_pk_fma_f32 v[144:145], v[144:145], v[134:135], v[148:149] op_sel:[0,0,1] op_sel_hi:[1,0,0]
	v_mov_b32_e32 v151, v145
	v_pk_mul_f32 v[144:145], v[146:147], v[136:137] op_sel:[0,1]
	s_delay_alu instid0(VALU_DEP_1) | instskip(SKIP_1) | instid1(VALU_DEP_1)
	v_pk_fma_f32 v[148:149], v[146:147], v[134:135], v[144:145] op_sel:[0,0,1] op_sel_hi:[1,1,0] neg_lo:[0,0,1] neg_hi:[0,0,1]
	v_pk_fma_f32 v[144:145], v[146:147], v[134:135], v[144:145] op_sel:[0,0,1] op_sel_hi:[1,0,0]
	v_mov_b32_e32 v149, v145
	ds_load_2addr_b64 v[144:147], v138 offset0:25 offset1:26
	v_pk_add_f32 v[36:37], v[36:37], v[150:151] neg_lo:[0,1] neg_hi:[0,1]
	v_pk_add_f32 v[92:93], v[92:93], v[148:149] neg_lo:[0,1] neg_hi:[0,1]
	s_wait_dscnt 0x0
	v_dual_mul_f32 v148, v145, v137 :: v_dual_mul_f32 v150, v145, v134
	s_delay_alu instid0(VALU_DEP_1) | instskip(NEXT) | instid1(VALU_DEP_2)
	v_pk_fma_f32 v[148:149], v[144:145], v[104:105], v[148:149] op_sel_hi:[1,1,0] neg_lo:[0,0,1] neg_hi:[0,0,1]
	v_pk_fma_f32 v[144:145], v[144:145], v[104:105], v[150:151] op_sel:[1,0,0] op_sel_hi:[0,1,0]
	s_delay_alu instid0(VALU_DEP_1) | instskip(SKIP_1) | instid1(VALU_DEP_2)
	v_mov_b32_e32 v149, v145
	v_pk_mul_f32 v[144:145], v[146:147], v[136:137] op_sel:[0,1]
	v_pk_add_f32 v[88:89], v[88:89], v[148:149] neg_lo:[0,1] neg_hi:[0,1]
	s_delay_alu instid0(VALU_DEP_2) | instskip(SKIP_1) | instid1(VALU_DEP_1)
	v_pk_fma_f32 v[148:149], v[146:147], v[134:135], v[144:145] op_sel:[0,0,1] op_sel_hi:[1,1,0] neg_lo:[0,0,1] neg_hi:[0,0,1]
	v_pk_fma_f32 v[144:145], v[146:147], v[134:135], v[144:145] op_sel:[0,0,1] op_sel_hi:[1,0,0]
	v_mov_b32_e32 v149, v145
	ds_load_2addr_b64 v[144:147], v138 offset0:27 offset1:28
	v_pk_add_f32 v[90:91], v[90:91], v[148:149] neg_lo:[0,1] neg_hi:[0,1]
	s_wait_dscnt 0x0
	v_pk_mul_f32 v[148:149], v[144:145], v[136:137] op_sel:[0,1]
	s_delay_alu instid0(VALU_DEP_1) | instskip(SKIP_1) | instid1(VALU_DEP_1)
	v_pk_fma_f32 v[150:151], v[144:145], v[134:135], v[148:149] op_sel:[0,0,1] op_sel_hi:[1,1,0] neg_lo:[0,0,1] neg_hi:[0,0,1]
	v_pk_fma_f32 v[144:145], v[144:145], v[134:135], v[148:149] op_sel:[0,0,1] op_sel_hi:[1,0,0]
	v_mov_b32_e32 v151, v145
	v_pk_mul_f32 v[144:145], v[146:147], v[136:137] op_sel:[0,1]
	s_delay_alu instid0(VALU_DEP_2) | instskip(NEXT) | instid1(VALU_DEP_2)
	v_pk_add_f32 v[34:35], v[34:35], v[150:151] neg_lo:[0,1] neg_hi:[0,1]
	v_pk_fma_f32 v[148:149], v[146:147], v[134:135], v[144:145] op_sel:[0,0,1] op_sel_hi:[1,1,0] neg_lo:[0,0,1] neg_hi:[0,0,1]
	v_pk_fma_f32 v[144:145], v[146:147], v[134:135], v[144:145] op_sel:[0,0,1] op_sel_hi:[1,0,0]
	s_delay_alu instid0(VALU_DEP_1) | instskip(SKIP_4) | instid1(VALU_DEP_1)
	v_mov_b32_e32 v149, v145
	ds_load_2addr_b64 v[144:147], v138 offset0:29 offset1:30
	v_pk_add_f32 v[86:87], v[86:87], v[148:149] neg_lo:[0,1] neg_hi:[0,1]
	s_wait_dscnt 0x0
	v_pk_mul_f32 v[148:149], v[144:145], v[136:137] op_sel:[0,1]
	v_pk_fma_f32 v[150:151], v[144:145], v[134:135], v[148:149] op_sel:[0,0,1] op_sel_hi:[1,1,0] neg_lo:[0,0,1] neg_hi:[0,0,1]
	v_pk_fma_f32 v[144:145], v[144:145], v[134:135], v[148:149] op_sel:[0,0,1] op_sel_hi:[1,0,0]
	v_dual_mul_f32 v148, v147, v137 :: v_dual_mov_b32 v144, v147
	s_delay_alu instid0(VALU_DEP_2) | instskip(NEXT) | instid1(VALU_DEP_2)
	v_dual_mov_b32 v151, v145 :: v_dual_mov_b32 v145, v146
	v_pk_fma_f32 v[148:149], v[146:147], v[104:105], v[148:149] op_sel_hi:[1,1,0] neg_lo:[0,0,1] neg_hi:[0,0,1]
	v_mul_f32_e32 v146, v147, v134
	s_delay_alu instid0(VALU_DEP_3) | instskip(NEXT) | instid1(VALU_DEP_2)
	v_pk_add_f32 v[82:83], v[82:83], v[150:151] neg_lo:[0,1] neg_hi:[0,1]
	v_pk_fma_f32 v[144:145], v[144:145], v[104:105], v[146:147] op_sel_hi:[1,1,0]
	s_delay_alu instid0(VALU_DEP_1) | instskip(SKIP_4) | instid1(VALU_DEP_1)
	v_mov_b32_e32 v149, v145
	ds_load_2addr_b64 v[144:147], v138 offset0:31 offset1:32
	v_pk_add_f32 v[84:85], v[84:85], v[148:149] neg_lo:[0,1] neg_hi:[0,1]
	s_wait_dscnt 0x0
	v_pk_mul_f32 v[148:149], v[144:145], v[136:137] op_sel:[0,1]
	v_pk_fma_f32 v[150:151], v[144:145], v[134:135], v[148:149] op_sel:[0,0,1] op_sel_hi:[1,1,0] neg_lo:[0,0,1] neg_hi:[0,0,1]
	v_pk_fma_f32 v[144:145], v[144:145], v[134:135], v[148:149] op_sel:[0,0,1] op_sel_hi:[1,0,0]
	s_delay_alu instid0(VALU_DEP_1) | instskip(SKIP_1) | instid1(VALU_DEP_1)
	v_mov_b32_e32 v151, v145
	v_pk_mul_f32 v[144:145], v[146:147], v[136:137] op_sel:[0,1]
	v_pk_fma_f32 v[148:149], v[146:147], v[134:135], v[144:145] op_sel:[0,0,1] op_sel_hi:[1,1,0] neg_lo:[0,0,1] neg_hi:[0,0,1]
	v_pk_fma_f32 v[144:145], v[146:147], v[134:135], v[144:145] op_sel:[0,0,1] op_sel_hi:[1,0,0]
	s_delay_alu instid0(VALU_DEP_1)
	v_mov_b32_e32 v149, v145
	ds_load_2addr_b64 v[144:147], v138 offset0:33 offset1:34
	v_pk_add_f32 v[26:27], v[26:27], v[150:151] neg_lo:[0,1] neg_hi:[0,1]
	v_pk_add_f32 v[80:81], v[80:81], v[148:149] neg_lo:[0,1] neg_hi:[0,1]
	s_wait_dscnt 0x0
	v_pk_mul_f32 v[148:149], v[144:145], v[136:137] op_sel:[0,1]
	s_delay_alu instid0(VALU_DEP_1) | instskip(SKIP_1) | instid1(VALU_DEP_1)
	v_pk_fma_f32 v[150:151], v[144:145], v[134:135], v[148:149] op_sel:[0,0,1] op_sel_hi:[1,1,0] neg_lo:[0,0,1] neg_hi:[0,0,1]
	v_pk_fma_f32 v[144:145], v[144:145], v[134:135], v[148:149] op_sel:[0,0,1] op_sel_hi:[1,0,0]
	v_mov_b32_e32 v151, v145
	v_pk_mul_f32 v[144:145], v[146:147], v[136:137] op_sel:[0,1]
	s_delay_alu instid0(VALU_DEP_1) | instskip(SKIP_1) | instid1(VALU_DEP_1)
	v_pk_fma_f32 v[148:149], v[146:147], v[134:135], v[144:145] op_sel:[0,0,1] op_sel_hi:[1,1,0] neg_lo:[0,0,1] neg_hi:[0,0,1]
	v_pk_fma_f32 v[144:145], v[146:147], v[134:135], v[144:145] op_sel:[0,0,1] op_sel_hi:[1,0,0]
	v_mov_b32_e32 v149, v145
	ds_load_2addr_b64 v[144:147], v138 offset0:35 offset1:36
	v_pk_add_f32 v[76:77], v[76:77], v[150:151] neg_lo:[0,1] neg_hi:[0,1]
	v_pk_add_f32 v[78:79], v[78:79], v[148:149] neg_lo:[0,1] neg_hi:[0,1]
	s_wait_dscnt 0x0
	v_dual_mul_f32 v148, v145, v137 :: v_dual_mul_f32 v150, v145, v134
	s_delay_alu instid0(VALU_DEP_1) | instskip(NEXT) | instid1(VALU_DEP_2)
	v_pk_fma_f32 v[148:149], v[144:145], v[104:105], v[148:149] op_sel_hi:[1,1,0] neg_lo:[0,0,1] neg_hi:[0,0,1]
	v_pk_fma_f32 v[144:145], v[144:145], v[104:105], v[150:151] op_sel:[1,0,0] op_sel_hi:[0,1,0]
	s_delay_alu instid0(VALU_DEP_1) | instskip(SKIP_1) | instid1(VALU_DEP_2)
	v_mov_b32_e32 v149, v145
	v_pk_mul_f32 v[144:145], v[146:147], v[136:137] op_sel:[0,1]
	v_pk_add_f32 v[24:25], v[24:25], v[148:149] neg_lo:[0,1] neg_hi:[0,1]
	s_delay_alu instid0(VALU_DEP_2) | instskip(SKIP_1) | instid1(VALU_DEP_1)
	v_pk_fma_f32 v[148:149], v[146:147], v[134:135], v[144:145] op_sel:[0,0,1] op_sel_hi:[1,1,0] neg_lo:[0,0,1] neg_hi:[0,0,1]
	v_pk_fma_f32 v[144:145], v[146:147], v[134:135], v[144:145] op_sel:[0,0,1] op_sel_hi:[1,0,0]
	v_mov_b32_e32 v149, v145
	ds_load_2addr_b64 v[144:147], v138 offset0:37 offset1:38
	v_pk_add_f32 v[74:75], v[74:75], v[148:149] neg_lo:[0,1] neg_hi:[0,1]
	s_wait_dscnt 0x0
	v_pk_mul_f32 v[148:149], v[144:145], v[136:137] op_sel:[0,1]
	s_delay_alu instid0(VALU_DEP_1) | instskip(SKIP_1) | instid1(VALU_DEP_1)
	v_pk_fma_f32 v[150:151], v[144:145], v[134:135], v[148:149] op_sel:[0,0,1] op_sel_hi:[1,1,0] neg_lo:[0,0,1] neg_hi:[0,0,1]
	v_pk_fma_f32 v[144:145], v[144:145], v[134:135], v[148:149] op_sel:[0,0,1] op_sel_hi:[1,0,0]
	v_mov_b32_e32 v151, v145
	v_pk_mul_f32 v[144:145], v[146:147], v[136:137] op_sel:[0,1]
	s_delay_alu instid0(VALU_DEP_2) | instskip(NEXT) | instid1(VALU_DEP_2)
	v_pk_add_f32 v[70:71], v[70:71], v[150:151] neg_lo:[0,1] neg_hi:[0,1]
	v_pk_fma_f32 v[148:149], v[146:147], v[134:135], v[144:145] op_sel:[0,0,1] op_sel_hi:[1,1,0] neg_lo:[0,0,1] neg_hi:[0,0,1]
	v_pk_fma_f32 v[144:145], v[146:147], v[134:135], v[144:145] op_sel:[0,0,1] op_sel_hi:[1,0,0]
	s_delay_alu instid0(VALU_DEP_1) | instskip(SKIP_4) | instid1(VALU_DEP_1)
	v_mov_b32_e32 v149, v145
	ds_load_2addr_b64 v[144:147], v138 offset0:39 offset1:40
	v_pk_add_f32 v[72:73], v[72:73], v[148:149] neg_lo:[0,1] neg_hi:[0,1]
	s_wait_dscnt 0x0
	v_pk_mul_f32 v[148:149], v[144:145], v[136:137] op_sel:[0,1]
	v_pk_fma_f32 v[150:151], v[144:145], v[134:135], v[148:149] op_sel:[0,0,1] op_sel_hi:[1,1,0] neg_lo:[0,0,1] neg_hi:[0,0,1]
	v_pk_fma_f32 v[144:145], v[144:145], v[134:135], v[148:149] op_sel:[0,0,1] op_sel_hi:[1,0,0]
	v_dual_mul_f32 v148, v147, v137 :: v_dual_mov_b32 v144, v147
	s_delay_alu instid0(VALU_DEP_2) | instskip(NEXT) | instid1(VALU_DEP_2)
	v_dual_mov_b32 v151, v145 :: v_dual_mov_b32 v145, v146
	v_pk_fma_f32 v[148:149], v[146:147], v[104:105], v[148:149] op_sel_hi:[1,1,0] neg_lo:[0,0,1] neg_hi:[0,0,1]
	v_mul_f32_e32 v146, v147, v134
	s_delay_alu instid0(VALU_DEP_3) | instskip(NEXT) | instid1(VALU_DEP_2)
	v_pk_add_f32 v[22:23], v[22:23], v[150:151] neg_lo:[0,1] neg_hi:[0,1]
	v_pk_fma_f32 v[144:145], v[144:145], v[104:105], v[146:147] op_sel_hi:[1,1,0]
	s_delay_alu instid0(VALU_DEP_1) | instskip(SKIP_4) | instid1(VALU_DEP_1)
	v_mov_b32_e32 v149, v145
	ds_load_2addr_b64 v[144:147], v138 offset0:41 offset1:42
	v_pk_add_f32 v[68:69], v[68:69], v[148:149] neg_lo:[0,1] neg_hi:[0,1]
	s_wait_dscnt 0x0
	v_pk_mul_f32 v[148:149], v[144:145], v[136:137] op_sel:[0,1]
	v_pk_fma_f32 v[150:151], v[144:145], v[134:135], v[148:149] op_sel:[0,0,1] op_sel_hi:[1,1,0] neg_lo:[0,0,1] neg_hi:[0,0,1]
	v_pk_fma_f32 v[144:145], v[144:145], v[134:135], v[148:149] op_sel:[0,0,1] op_sel_hi:[1,0,0]
	s_delay_alu instid0(VALU_DEP_1) | instskip(SKIP_1) | instid1(VALU_DEP_1)
	v_mov_b32_e32 v151, v145
	v_pk_mul_f32 v[144:145], v[146:147], v[136:137] op_sel:[0,1]
	v_pk_fma_f32 v[148:149], v[146:147], v[134:135], v[144:145] op_sel:[0,0,1] op_sel_hi:[1,1,0] neg_lo:[0,0,1] neg_hi:[0,0,1]
	v_pk_fma_f32 v[144:145], v[146:147], v[134:135], v[144:145] op_sel:[0,0,1] op_sel_hi:[1,0,0]
	s_delay_alu instid0(VALU_DEP_1)
	v_mov_b32_e32 v149, v145
	ds_load_2addr_b64 v[144:147], v138 offset0:43 offset1:44
	v_pk_add_f32 v[64:65], v[64:65], v[150:151] neg_lo:[0,1] neg_hi:[0,1]
	v_pk_add_f32 v[66:67], v[66:67], v[148:149] neg_lo:[0,1] neg_hi:[0,1]
	s_wait_dscnt 0x0
	v_pk_mul_f32 v[148:149], v[144:145], v[136:137] op_sel:[0,1]
	s_delay_alu instid0(VALU_DEP_1) | instskip(SKIP_1) | instid1(VALU_DEP_1)
	v_pk_fma_f32 v[150:151], v[144:145], v[134:135], v[148:149] op_sel:[0,0,1] op_sel_hi:[1,1,0] neg_lo:[0,0,1] neg_hi:[0,0,1]
	v_pk_fma_f32 v[144:145], v[144:145], v[134:135], v[148:149] op_sel:[0,0,1] op_sel_hi:[1,0,0]
	v_mov_b32_e32 v151, v145
	v_pk_mul_f32 v[144:145], v[146:147], v[136:137] op_sel:[0,1]
	s_delay_alu instid0(VALU_DEP_1) | instskip(SKIP_1) | instid1(VALU_DEP_1)
	v_pk_fma_f32 v[148:149], v[146:147], v[134:135], v[144:145] op_sel:[0,0,1] op_sel_hi:[1,1,0] neg_lo:[0,0,1] neg_hi:[0,0,1]
	v_pk_fma_f32 v[144:145], v[146:147], v[134:135], v[144:145] op_sel:[0,0,1] op_sel_hi:[1,0,0]
	v_mov_b32_e32 v149, v145
	ds_load_2addr_b64 v[144:147], v138 offset0:45 offset1:46
	v_pk_add_f32 v[18:19], v[18:19], v[150:151] neg_lo:[0,1] neg_hi:[0,1]
	v_pk_add_f32 v[60:61], v[60:61], v[148:149] neg_lo:[0,1] neg_hi:[0,1]
	s_wait_dscnt 0x0
	v_dual_mul_f32 v148, v145, v137 :: v_dual_mul_f32 v150, v145, v134
	s_delay_alu instid0(VALU_DEP_1) | instskip(NEXT) | instid1(VALU_DEP_2)
	v_pk_fma_f32 v[148:149], v[144:145], v[104:105], v[148:149] op_sel_hi:[1,1,0] neg_lo:[0,0,1] neg_hi:[0,0,1]
	v_pk_fma_f32 v[144:145], v[144:145], v[104:105], v[150:151] op_sel:[1,0,0] op_sel_hi:[0,1,0]
	s_delay_alu instid0(VALU_DEP_1) | instskip(SKIP_1) | instid1(VALU_DEP_2)
	v_mov_b32_e32 v149, v145
	v_pk_mul_f32 v[144:145], v[146:147], v[136:137] op_sel:[0,1]
	v_pk_add_f32 v[56:57], v[56:57], v[148:149] neg_lo:[0,1] neg_hi:[0,1]
	s_delay_alu instid0(VALU_DEP_2) | instskip(SKIP_1) | instid1(VALU_DEP_1)
	v_pk_fma_f32 v[148:149], v[146:147], v[134:135], v[144:145] op_sel:[0,0,1] op_sel_hi:[1,1,0] neg_lo:[0,0,1] neg_hi:[0,0,1]
	v_pk_fma_f32 v[144:145], v[146:147], v[134:135], v[144:145] op_sel:[0,0,1] op_sel_hi:[1,0,0]
	v_mov_b32_e32 v149, v145
	ds_load_2addr_b64 v[144:147], v138 offset0:47 offset1:48
	v_pk_add_f32 v[58:59], v[58:59], v[148:149] neg_lo:[0,1] neg_hi:[0,1]
	s_wait_dscnt 0x0
	v_pk_mul_f32 v[148:149], v[144:145], v[136:137] op_sel:[0,1]
	s_delay_alu instid0(VALU_DEP_1) | instskip(SKIP_1) | instid1(VALU_DEP_1)
	v_pk_fma_f32 v[150:151], v[144:145], v[134:135], v[148:149] op_sel:[0,0,1] op_sel_hi:[1,1,0] neg_lo:[0,0,1] neg_hi:[0,0,1]
	v_pk_fma_f32 v[144:145], v[144:145], v[134:135], v[148:149] op_sel:[0,0,1] op_sel_hi:[1,0,0]
	v_mov_b32_e32 v151, v145
	v_pk_mul_f32 v[144:145], v[146:147], v[136:137] op_sel:[0,1]
	s_delay_alu instid0(VALU_DEP_2) | instskip(NEXT) | instid1(VALU_DEP_2)
	v_pk_add_f32 v[12:13], v[12:13], v[150:151] neg_lo:[0,1] neg_hi:[0,1]
	v_pk_fma_f32 v[148:149], v[146:147], v[134:135], v[144:145] op_sel:[0,0,1] op_sel_hi:[1,1,0] neg_lo:[0,0,1] neg_hi:[0,0,1]
	v_pk_fma_f32 v[144:145], v[146:147], v[134:135], v[144:145] op_sel:[0,0,1] op_sel_hi:[1,0,0]
	s_delay_alu instid0(VALU_DEP_1) | instskip(SKIP_4) | instid1(VALU_DEP_1)
	v_mov_b32_e32 v149, v145
	ds_load_2addr_b64 v[144:147], v138 offset0:49 offset1:50
	v_pk_add_f32 v[54:55], v[54:55], v[148:149] neg_lo:[0,1] neg_hi:[0,1]
	s_wait_dscnt 0x0
	v_pk_mul_f32 v[148:149], v[144:145], v[136:137] op_sel:[0,1]
	v_pk_fma_f32 v[150:151], v[144:145], v[134:135], v[148:149] op_sel:[0,0,1] op_sel_hi:[1,1,0] neg_lo:[0,0,1] neg_hi:[0,0,1]
	v_pk_fma_f32 v[144:145], v[144:145], v[134:135], v[148:149] op_sel:[0,0,1] op_sel_hi:[1,0,0]
	v_dual_mul_f32 v148, v147, v137 :: v_dual_mov_b32 v144, v147
	s_delay_alu instid0(VALU_DEP_2) | instskip(NEXT) | instid1(VALU_DEP_2)
	v_dual_mov_b32 v151, v145 :: v_dual_mov_b32 v145, v146
	v_pk_fma_f32 v[148:149], v[146:147], v[104:105], v[148:149] op_sel_hi:[1,1,0] neg_lo:[0,0,1] neg_hi:[0,0,1]
	v_mul_f32_e32 v146, v147, v134
	s_delay_alu instid0(VALU_DEP_3) | instskip(NEXT) | instid1(VALU_DEP_2)
	v_pk_add_f32 v[52:53], v[52:53], v[150:151] neg_lo:[0,1] neg_hi:[0,1]
	v_pk_fma_f32 v[144:145], v[144:145], v[104:105], v[146:147] op_sel_hi:[1,1,0]
	s_delay_alu instid0(VALU_DEP_1) | instskip(SKIP_4) | instid1(VALU_DEP_1)
	v_mov_b32_e32 v149, v145
	ds_load_2addr_b64 v[144:147], v138 offset0:51 offset1:52
	v_pk_add_f32 v[62:63], v[62:63], v[148:149] neg_lo:[0,1] neg_hi:[0,1]
	s_wait_dscnt 0x0
	v_pk_mul_f32 v[148:149], v[144:145], v[136:137] op_sel:[0,1]
	v_pk_fma_f32 v[150:151], v[144:145], v[134:135], v[148:149] op_sel:[0,0,1] op_sel_hi:[1,1,0] neg_lo:[0,0,1] neg_hi:[0,0,1]
	v_pk_fma_f32 v[144:145], v[144:145], v[134:135], v[148:149] op_sel:[0,0,1] op_sel_hi:[1,0,0]
	s_delay_alu instid0(VALU_DEP_1) | instskip(SKIP_1) | instid1(VALU_DEP_1)
	v_mov_b32_e32 v151, v145
	v_pk_mul_f32 v[144:145], v[146:147], v[136:137] op_sel:[0,1]
	v_pk_fma_f32 v[148:149], v[146:147], v[134:135], v[144:145] op_sel:[0,0,1] op_sel_hi:[1,1,0] neg_lo:[0,0,1] neg_hi:[0,0,1]
	v_pk_fma_f32 v[144:145], v[146:147], v[134:135], v[144:145] op_sel:[0,0,1] op_sel_hi:[1,0,0]
	s_delay_alu instid0(VALU_DEP_1)
	v_mov_b32_e32 v149, v145
	ds_load_2addr_b64 v[144:147], v138 offset0:53 offset1:54
	v_pk_add_f32 v[16:17], v[16:17], v[150:151] neg_lo:[0,1] neg_hi:[0,1]
	v_pk_add_f32 v[48:49], v[48:49], v[148:149] neg_lo:[0,1] neg_hi:[0,1]
	s_wait_dscnt 0x0
	v_pk_mul_f32 v[148:149], v[144:145], v[136:137] op_sel:[0,1]
	s_delay_alu instid0(VALU_DEP_1) | instskip(SKIP_1) | instid1(VALU_DEP_1)
	v_pk_fma_f32 v[150:151], v[144:145], v[134:135], v[148:149] op_sel:[0,0,1] op_sel_hi:[1,1,0] neg_lo:[0,0,1] neg_hi:[0,0,1]
	v_pk_fma_f32 v[144:145], v[144:145], v[134:135], v[148:149] op_sel:[0,0,1] op_sel_hi:[1,0,0]
	v_mov_b32_e32 v151, v145
	v_pk_mul_f32 v[144:145], v[146:147], v[136:137] op_sel:[0,1]
	s_delay_alu instid0(VALU_DEP_1) | instskip(SKIP_1) | instid1(VALU_DEP_1)
	v_pk_fma_f32 v[148:149], v[146:147], v[134:135], v[144:145] op_sel:[0,0,1] op_sel_hi:[1,1,0] neg_lo:[0,0,1] neg_hi:[0,0,1]
	v_pk_fma_f32 v[144:145], v[146:147], v[134:135], v[144:145] op_sel:[0,0,1] op_sel_hi:[1,0,0]
	v_mov_b32_e32 v149, v145
	ds_load_2addr_b64 v[144:147], v138 offset0:55 offset1:56
	v_pk_add_f32 v[42:43], v[42:43], v[150:151] neg_lo:[0,1] neg_hi:[0,1]
	v_pk_add_f32 v[46:47], v[46:47], v[148:149] neg_lo:[0,1] neg_hi:[0,1]
	s_wait_dscnt 0x0
	v_dual_mul_f32 v148, v145, v137 :: v_dual_mul_f32 v150, v145, v134
	s_delay_alu instid0(VALU_DEP_1) | instskip(NEXT) | instid1(VALU_DEP_2)
	v_pk_fma_f32 v[148:149], v[144:145], v[104:105], v[148:149] op_sel_hi:[1,1,0] neg_lo:[0,0,1] neg_hi:[0,0,1]
	v_pk_fma_f32 v[144:145], v[144:145], v[104:105], v[150:151] op_sel:[1,0,0] op_sel_hi:[0,1,0]
	s_delay_alu instid0(VALU_DEP_1) | instskip(SKIP_1) | instid1(VALU_DEP_2)
	v_mov_b32_e32 v149, v145
	v_pk_mul_f32 v[144:145], v[146:147], v[136:137] op_sel:[0,1]
	v_pk_add_f32 v[8:9], v[8:9], v[148:149] neg_lo:[0,1] neg_hi:[0,1]
	s_delay_alu instid0(VALU_DEP_2) | instskip(SKIP_1) | instid1(VALU_DEP_1)
	v_pk_fma_f32 v[148:149], v[146:147], v[134:135], v[144:145] op_sel:[0,0,1] op_sel_hi:[1,1,0] neg_lo:[0,0,1] neg_hi:[0,0,1]
	v_pk_fma_f32 v[144:145], v[146:147], v[134:135], v[144:145] op_sel:[0,0,1] op_sel_hi:[1,0,0]
	v_mov_b32_e32 v149, v145
	ds_load_2addr_b64 v[144:147], v138 offset0:57 offset1:58
	v_pk_add_f32 v[32:33], v[32:33], v[148:149] neg_lo:[0,1] neg_hi:[0,1]
	s_wait_dscnt 0x0
	v_pk_mul_f32 v[148:149], v[144:145], v[136:137] op_sel:[0,1]
	s_delay_alu instid0(VALU_DEP_1) | instskip(SKIP_1) | instid1(VALU_DEP_1)
	v_pk_fma_f32 v[150:151], v[144:145], v[134:135], v[148:149] op_sel:[0,0,1] op_sel_hi:[1,1,0] neg_lo:[0,0,1] neg_hi:[0,0,1]
	v_pk_fma_f32 v[144:145], v[144:145], v[134:135], v[148:149] op_sel:[0,0,1] op_sel_hi:[1,0,0]
	v_mov_b32_e32 v151, v145
	v_pk_mul_f32 v[144:145], v[146:147], v[136:137] op_sel:[0,1]
	s_delay_alu instid0(VALU_DEP_2) | instskip(NEXT) | instid1(VALU_DEP_2)
	v_pk_add_f32 v[28:29], v[28:29], v[150:151] neg_lo:[0,1] neg_hi:[0,1]
	v_pk_fma_f32 v[148:149], v[146:147], v[134:135], v[144:145] op_sel:[0,0,1] op_sel_hi:[1,1,0] neg_lo:[0,0,1] neg_hi:[0,0,1]
	v_pk_fma_f32 v[144:145], v[146:147], v[134:135], v[144:145] op_sel:[0,0,1] op_sel_hi:[1,0,0]
	s_delay_alu instid0(VALU_DEP_1) | instskip(SKIP_4) | instid1(VALU_DEP_1)
	v_mov_b32_e32 v149, v145
	ds_load_2addr_b64 v[144:147], v138 offset0:59 offset1:60
	v_pk_add_f32 v[30:31], v[30:31], v[148:149] neg_lo:[0,1] neg_hi:[0,1]
	s_wait_dscnt 0x0
	v_pk_mul_f32 v[148:149], v[144:145], v[136:137] op_sel:[0,1]
	v_pk_fma_f32 v[150:151], v[144:145], v[134:135], v[148:149] op_sel:[0,0,1] op_sel_hi:[1,1,0] neg_lo:[0,0,1] neg_hi:[0,0,1]
	v_pk_fma_f32 v[144:145], v[144:145], v[134:135], v[148:149] op_sel:[0,0,1] op_sel_hi:[1,0,0]
	v_dual_mul_f32 v148, v147, v137 :: v_dual_mov_b32 v144, v147
	s_delay_alu instid0(VALU_DEP_2) | instskip(NEXT) | instid1(VALU_DEP_2)
	v_dual_mov_b32 v151, v145 :: v_dual_mov_b32 v145, v146
	v_pk_fma_f32 v[148:149], v[146:147], v[104:105], v[148:149] op_sel_hi:[1,1,0] neg_lo:[0,0,1] neg_hi:[0,0,1]
	v_mul_f32_e32 v146, v147, v134
	s_delay_alu instid0(VALU_DEP_3) | instskip(NEXT) | instid1(VALU_DEP_2)
	v_pk_add_f32 v[6:7], v[6:7], v[150:151] neg_lo:[0,1] neg_hi:[0,1]
	v_pk_fma_f32 v[144:145], v[144:145], v[104:105], v[146:147] op_sel_hi:[1,1,0]
	s_delay_alu instid0(VALU_DEP_1) | instskip(SKIP_4) | instid1(VALU_DEP_1)
	v_mov_b32_e32 v149, v145
	ds_load_2addr_b64 v[144:147], v138 offset0:61 offset1:62
	v_pk_add_f32 v[20:21], v[20:21], v[148:149] neg_lo:[0,1] neg_hi:[0,1]
	s_wait_dscnt 0x0
	v_pk_mul_f32 v[148:149], v[144:145], v[136:137] op_sel:[0,1]
	v_pk_fma_f32 v[150:151], v[144:145], v[134:135], v[148:149] op_sel:[0,0,1] op_sel_hi:[1,1,0] neg_lo:[0,0,1] neg_hi:[0,0,1]
	v_pk_fma_f32 v[144:145], v[144:145], v[134:135], v[148:149] op_sel:[0,0,1] op_sel_hi:[1,0,0]
	s_delay_alu instid0(VALU_DEP_1) | instskip(SKIP_1) | instid1(VALU_DEP_1)
	v_mov_b32_e32 v151, v145
	v_pk_mul_f32 v[144:145], v[146:147], v[136:137] op_sel:[0,1]
	v_pk_fma_f32 v[148:149], v[146:147], v[134:135], v[144:145] op_sel:[0,0,1] op_sel_hi:[1,1,0] neg_lo:[0,0,1] neg_hi:[0,0,1]
	v_pk_fma_f32 v[144:145], v[146:147], v[134:135], v[144:145] op_sel:[0,0,1] op_sel_hi:[1,0,0]
	s_delay_alu instid0(VALU_DEP_1)
	v_mov_b32_e32 v149, v145
	ds_load_b64 v[144:145], v138 offset:504
	v_pk_add_f32 v[14:15], v[14:15], v[150:151] neg_lo:[0,1] neg_hi:[0,1]
	v_pk_add_f32 v[10:11], v[10:11], v[148:149] neg_lo:[0,1] neg_hi:[0,1]
	s_wait_dscnt 0x0
	v_pk_mul_f32 v[136:137], v[144:145], v[136:137] op_sel:[0,1]
	s_delay_alu instid0(VALU_DEP_1) | instskip(SKIP_1) | instid1(VALU_DEP_1)
	v_pk_fma_f32 v[146:147], v[144:145], v[134:135], v[136:137] op_sel:[0,0,1] op_sel_hi:[1,1,0] neg_lo:[0,0,1] neg_hi:[0,0,1]
	v_pk_fma_f32 v[134:135], v[144:145], v[134:135], v[136:137] op_sel:[0,0,1] op_sel_hi:[1,0,0]
	v_mov_b32_e32 v147, v135
	s_delay_alu instid0(VALU_DEP_1)
	v_pk_add_f32 v[132:133], v[132:133], v[146:147] neg_lo:[0,1] neg_hi:[0,1]
.LBB126_356:
	s_or_b32 exec_lo, exec_lo, s0
	v_lshl_add_u32 v134, v142, 3, v138
	s_barrier_signal -1
	s_barrier_wait -1
	ds_store_b64 v134, v[100:101]
	s_wait_dscnt 0x0
	s_barrier_signal -1
	s_barrier_wait -1
	ds_load_b64 v[136:137], v138 offset:136
	v_mov_b32_e32 v134, 17
	s_cmp_lt_i32 s18, 19
	s_cbranch_scc1 .LBB126_359
; %bb.357:
	v_add3_u32 v135, v139, 0, 0x90
	v_mov_b32_e32 v134, 17
	s_mov_b32 s0, 18
.LBB126_358:                            ; =>This Inner Loop Header: Depth=1
	ds_load_b64 v[144:145], v135
	s_wait_dscnt 0x1
	v_cmp_gt_f32_e32 vcc_lo, 0, v136
	v_cndmask_b32_e64 v146, v136, -v136, vcc_lo
	v_cmp_gt_f32_e32 vcc_lo, 0, v137
	v_cndmask_b32_e64 v148, v137, -v137, vcc_lo
	s_wait_dscnt 0x0
	v_cmp_gt_f32_e32 vcc_lo, 0, v144
	v_cndmask_b32_e64 v147, v144, -v144, vcc_lo
	v_cmp_gt_f32_e32 vcc_lo, 0, v145
	v_cndmask_b32_e64 v149, v145, -v145, vcc_lo
	s_delay_alu instid0(VALU_DEP_1) | instskip(NEXT) | instid1(VALU_DEP_1)
	v_pk_add_f32 v[146:147], v[146:147], v[148:149]
	v_cmp_lt_f32_e32 vcc_lo, v146, v147
	v_dual_add_nc_u32 v135, 8, v135 :: v_dual_cndmask_b32 v137, v137, v145, vcc_lo
	v_cndmask_b32_e32 v136, v136, v144, vcc_lo
	v_cndmask_b32_e64 v134, v134, s0, vcc_lo
	s_add_co_i32 s0, s0, 1
	s_delay_alu instid0(SALU_CYCLE_1)
	s_cmp_lg_u32 s18, s0
	s_cbranch_scc1 .LBB126_358
.LBB126_359:
	s_wait_dscnt 0x0
	v_cmp_eq_f32_e32 vcc_lo, 0, v136
	v_cmp_eq_f32_e64 s0, 0, v137
	s_and_b32 s0, vcc_lo, s0
	s_delay_alu instid0(SALU_CYCLE_1) | instskip(NEXT) | instid1(SALU_CYCLE_1)
	s_and_saveexec_b32 s1, s0
	s_xor_b32 s0, exec_lo, s1
; %bb.360:
	v_cmp_ne_u32_e32 vcc_lo, 0, v140
	v_cndmask_b32_e32 v140, 18, v140, vcc_lo
; %bb.361:
	s_and_not1_saveexec_b32 s0, s0
	s_cbranch_execz .LBB126_367
; %bb.362:
	v_cmp_ngt_f32_e64 s1, |v136|, |v137|
	s_and_saveexec_b32 s12, s1
	s_delay_alu instid0(SALU_CYCLE_1)
	s_xor_b32 s1, exec_lo, s12
	s_cbranch_execz .LBB126_364
; %bb.363:
	v_div_scale_f32 v135, null, v137, v137, v136
	v_div_scale_f32 v145, vcc_lo, v136, v137, v136
	s_delay_alu instid0(VALU_DEP_2) | instskip(SKIP_1) | instid1(TRANS32_DEP_1)
	v_rcp_f32_e32 v143, v135
	v_nop
	v_fma_f32 v144, -v135, v143, 1.0
	s_delay_alu instid0(VALU_DEP_1) | instskip(NEXT) | instid1(VALU_DEP_1)
	v_fmac_f32_e32 v143, v144, v143
	v_mul_f32_e32 v144, v145, v143
	s_delay_alu instid0(VALU_DEP_1) | instskip(NEXT) | instid1(VALU_DEP_1)
	v_fma_f32 v146, -v135, v144, v145
	v_fmac_f32_e32 v144, v146, v143
	s_delay_alu instid0(VALU_DEP_1) | instskip(NEXT) | instid1(VALU_DEP_1)
	v_fma_f32 v135, -v135, v144, v145
	v_div_fmas_f32 v135, v135, v143, v144
	s_delay_alu instid0(VALU_DEP_1) | instskip(NEXT) | instid1(VALU_DEP_1)
	v_div_fixup_f32 v135, v135, v137, v136
	v_fmac_f32_e32 v137, v136, v135
	s_delay_alu instid0(VALU_DEP_1) | instskip(SKIP_1) | instid1(VALU_DEP_2)
	v_div_scale_f32 v136, null, v137, v137, 1.0
	v_div_scale_f32 v145, vcc_lo, 1.0, v137, 1.0
	v_rcp_f32_e32 v143, v136
	v_nop
	s_delay_alu instid0(TRANS32_DEP_1) | instskip(NEXT) | instid1(VALU_DEP_1)
	v_fma_f32 v144, -v136, v143, 1.0
	v_fmac_f32_e32 v143, v144, v143
	s_delay_alu instid0(VALU_DEP_1) | instskip(NEXT) | instid1(VALU_DEP_1)
	v_mul_f32_e32 v144, v145, v143
	v_fma_f32 v146, -v136, v144, v145
	s_delay_alu instid0(VALU_DEP_1) | instskip(NEXT) | instid1(VALU_DEP_1)
	v_fmac_f32_e32 v144, v146, v143
	v_fma_f32 v136, -v136, v144, v145
	s_delay_alu instid0(VALU_DEP_1) | instskip(NEXT) | instid1(VALU_DEP_1)
	v_div_fmas_f32 v136, v136, v143, v144
	v_div_fixup_f32 v137, v136, v137, 1.0
	s_delay_alu instid0(VALU_DEP_1)
	v_mul_f32_e32 v136, v135, v137
	v_xor_b32_e32 v137, 0x80000000, v137
.LBB126_364:
	s_and_not1_saveexec_b32 s1, s1
	s_cbranch_execz .LBB126_366
; %bb.365:
	s_delay_alu instid0(VALU_DEP_1) | instskip(SKIP_1) | instid1(VALU_DEP_2)
	v_div_scale_f32 v135, null, v136, v136, v137
	v_div_scale_f32 v145, vcc_lo, v137, v136, v137
	v_rcp_f32_e32 v143, v135
	v_nop
	s_delay_alu instid0(TRANS32_DEP_1) | instskip(NEXT) | instid1(VALU_DEP_1)
	v_fma_f32 v144, -v135, v143, 1.0
	v_fmac_f32_e32 v143, v144, v143
	s_delay_alu instid0(VALU_DEP_1) | instskip(NEXT) | instid1(VALU_DEP_1)
	v_mul_f32_e32 v144, v145, v143
	v_fma_f32 v146, -v135, v144, v145
	s_delay_alu instid0(VALU_DEP_1) | instskip(NEXT) | instid1(VALU_DEP_1)
	v_fmac_f32_e32 v144, v146, v143
	v_fma_f32 v135, -v135, v144, v145
	s_delay_alu instid0(VALU_DEP_1) | instskip(NEXT) | instid1(VALU_DEP_1)
	v_div_fmas_f32 v135, v135, v143, v144
	v_div_fixup_f32 v135, v135, v136, v137
	s_delay_alu instid0(VALU_DEP_1) | instskip(NEXT) | instid1(VALU_DEP_1)
	v_fmac_f32_e32 v136, v137, v135
	v_div_scale_f32 v137, null, v136, v136, 1.0
	s_delay_alu instid0(VALU_DEP_1) | instskip(SKIP_1) | instid1(TRANS32_DEP_1)
	v_rcp_f32_e32 v143, v137
	v_nop
	v_fma_f32 v144, -v137, v143, 1.0
	s_delay_alu instid0(VALU_DEP_1) | instskip(SKIP_1) | instid1(VALU_DEP_1)
	v_fmac_f32_e32 v143, v144, v143
	v_div_scale_f32 v144, vcc_lo, 1.0, v136, 1.0
	v_mul_f32_e32 v145, v144, v143
	s_delay_alu instid0(VALU_DEP_1) | instskip(NEXT) | instid1(VALU_DEP_1)
	v_fma_f32 v146, -v137, v145, v144
	v_fmac_f32_e32 v145, v146, v143
	s_delay_alu instid0(VALU_DEP_1) | instskip(NEXT) | instid1(VALU_DEP_1)
	v_fma_f32 v137, -v137, v145, v144
	v_div_fmas_f32 v137, v137, v143, v145
	s_delay_alu instid0(VALU_DEP_1) | instskip(NEXT) | instid1(VALU_DEP_1)
	v_div_fixup_f32 v136, v137, v136, 1.0
	v_mul_f32_e64 v137, v135, -v136
.LBB126_366:
	s_or_b32 exec_lo, exec_lo, s1
.LBB126_367:
	s_delay_alu instid0(SALU_CYCLE_1) | instskip(NEXT) | instid1(SALU_CYCLE_1)
	s_or_b32 exec_lo, exec_lo, s0
	s_mov_b32 s0, exec_lo
	v_cmpx_ne_u32_e64 v142, v134
	s_xor_b32 s0, exec_lo, s0
	s_cbranch_execz .LBB126_373
; %bb.368:
	s_mov_b32 s1, exec_lo
	v_cmpx_eq_u32_e32 17, v142
	s_cbranch_execz .LBB126_372
; %bb.369:
	v_cmp_ne_u32_e32 vcc_lo, 17, v134
	s_xor_b32 s12, s16, -1
	s_delay_alu instid0(SALU_CYCLE_1) | instskip(NEXT) | instid1(SALU_CYCLE_1)
	s_and_b32 s13, s12, vcc_lo
	s_and_saveexec_b32 s12, s13
	s_cbranch_execz .LBB126_371
; %bb.370:
	v_ashrrev_i32_e32 v135, 31, v134
	s_delay_alu instid0(VALU_DEP_1)
	v_lshl_add_u64 v[142:143], v[134:135], 2, v[4:5]
	s_clause 0x1
	global_load_b32 v135, v[142:143], off
	global_load_b32 v141, v[4:5], off offset:68
	s_wait_loadcnt 0x1
	global_store_b32 v[4:5], v135, off offset:68
	s_wait_loadcnt 0x0
	global_store_b32 v[142:143], v141, off
.LBB126_371:
	s_wait_xcnt 0x0
	s_or_b32 exec_lo, exec_lo, s12
	v_dual_mov_b32 v142, v134 :: v_dual_mov_b32 v141, v134
.LBB126_372:
	s_or_b32 exec_lo, exec_lo, s1
.LBB126_373:
	s_and_not1_saveexec_b32 s0, s0
	s_cbranch_execz .LBB126_375
; %bb.374:
	v_dual_mov_b32 v134, v102 :: v_dual_mov_b32 v135, v103
	v_dual_mov_b32 v142, v38 :: v_dual_mov_b32 v143, v39
	ds_store_2addr_b64 v138, v[134:135], v[142:143] offset0:18 offset1:19
	v_dual_mov_b32 v134, v98 :: v_dual_mov_b32 v135, v99
	v_dual_mov_b32 v142, v94 :: v_dual_mov_b32 v143, v95
	ds_store_2addr_b64 v138, v[134:135], v[142:143] offset0:20 offset1:21
	v_dual_mov_b32 v134, v96 :: v_dual_mov_b32 v135, v97
	v_dual_mov_b32 v142, v36 :: v_dual_mov_b32 v143, v37
	ds_store_2addr_b64 v138, v[134:135], v[142:143] offset0:22 offset1:23
	v_dual_mov_b32 v134, v92 :: v_dual_mov_b32 v135, v93
	v_dual_mov_b32 v142, v88 :: v_dual_mov_b32 v143, v89
	ds_store_2addr_b64 v138, v[134:135], v[142:143] offset0:24 offset1:25
	v_dual_mov_b32 v134, v90 :: v_dual_mov_b32 v135, v91
	v_dual_mov_b32 v142, v34 :: v_dual_mov_b32 v143, v35
	ds_store_2addr_b64 v138, v[134:135], v[142:143] offset0:26 offset1:27
	v_dual_mov_b32 v134, v86 :: v_dual_mov_b32 v135, v87
	v_dual_mov_b32 v142, v82 :: v_dual_mov_b32 v143, v83
	ds_store_2addr_b64 v138, v[134:135], v[142:143] offset0:28 offset1:29
	v_dual_mov_b32 v134, v84 :: v_dual_mov_b32 v135, v85
	v_dual_mov_b32 v142, v26 :: v_dual_mov_b32 v143, v27
	ds_store_2addr_b64 v138, v[134:135], v[142:143] offset0:30 offset1:31
	v_dual_mov_b32 v134, v80 :: v_dual_mov_b32 v135, v81
	v_dual_mov_b32 v142, v76 :: v_dual_mov_b32 v143, v77
	ds_store_2addr_b64 v138, v[134:135], v[142:143] offset0:32 offset1:33
	v_dual_mov_b32 v134, v78 :: v_dual_mov_b32 v135, v79
	v_dual_mov_b32 v142, v24 :: v_dual_mov_b32 v143, v25
	ds_store_2addr_b64 v138, v[134:135], v[142:143] offset0:34 offset1:35
	v_dual_mov_b32 v134, v74 :: v_dual_mov_b32 v135, v75
	v_dual_mov_b32 v142, v70 :: v_dual_mov_b32 v143, v71
	ds_store_2addr_b64 v138, v[134:135], v[142:143] offset0:36 offset1:37
	v_dual_mov_b32 v134, v72 :: v_dual_mov_b32 v135, v73
	v_dual_mov_b32 v142, v22 :: v_dual_mov_b32 v143, v23
	ds_store_2addr_b64 v138, v[134:135], v[142:143] offset0:38 offset1:39
	v_dual_mov_b32 v134, v68 :: v_dual_mov_b32 v135, v69
	v_dual_mov_b32 v142, v64 :: v_dual_mov_b32 v143, v65
	ds_store_2addr_b64 v138, v[134:135], v[142:143] offset0:40 offset1:41
	v_dual_mov_b32 v134, v66 :: v_dual_mov_b32 v135, v67
	v_dual_mov_b32 v142, v18 :: v_dual_mov_b32 v143, v19
	ds_store_2addr_b64 v138, v[134:135], v[142:143] offset0:42 offset1:43
	v_dual_mov_b32 v134, v60 :: v_dual_mov_b32 v135, v61
	v_dual_mov_b32 v142, v56 :: v_dual_mov_b32 v143, v57
	ds_store_2addr_b64 v138, v[134:135], v[142:143] offset0:44 offset1:45
	v_dual_mov_b32 v134, v58 :: v_dual_mov_b32 v135, v59
	v_dual_mov_b32 v142, v12 :: v_dual_mov_b32 v143, v13
	ds_store_2addr_b64 v138, v[134:135], v[142:143] offset0:46 offset1:47
	v_dual_mov_b32 v134, v54 :: v_dual_mov_b32 v135, v55
	v_dual_mov_b32 v142, v52 :: v_dual_mov_b32 v143, v53
	ds_store_2addr_b64 v138, v[134:135], v[142:143] offset0:48 offset1:49
	v_dual_mov_b32 v134, v62 :: v_dual_mov_b32 v135, v63
	v_dual_mov_b32 v142, v16 :: v_dual_mov_b32 v143, v17
	ds_store_2addr_b64 v138, v[134:135], v[142:143] offset0:50 offset1:51
	v_dual_mov_b32 v134, v48 :: v_dual_mov_b32 v135, v49
	v_dual_mov_b32 v142, v42 :: v_dual_mov_b32 v143, v43
	ds_store_2addr_b64 v138, v[134:135], v[142:143] offset0:52 offset1:53
	v_dual_mov_b32 v134, v46 :: v_dual_mov_b32 v135, v47
	v_dual_mov_b32 v142, v8 :: v_dual_mov_b32 v143, v9
	ds_store_2addr_b64 v138, v[134:135], v[142:143] offset0:54 offset1:55
	v_dual_mov_b32 v134, v32 :: v_dual_mov_b32 v135, v33
	v_dual_mov_b32 v142, v28 :: v_dual_mov_b32 v143, v29
	ds_store_2addr_b64 v138, v[134:135], v[142:143] offset0:56 offset1:57
	v_dual_mov_b32 v134, v30 :: v_dual_mov_b32 v135, v31
	v_dual_mov_b32 v142, v6 :: v_dual_mov_b32 v143, v7
	ds_store_2addr_b64 v138, v[134:135], v[142:143] offset0:58 offset1:59
	v_dual_mov_b32 v134, v20 :: v_dual_mov_b32 v135, v21
	v_dual_mov_b32 v142, v14 :: v_dual_mov_b32 v143, v15
	ds_store_2addr_b64 v138, v[134:135], v[142:143] offset0:60 offset1:61
	v_dual_mov_b32 v134, v10 :: v_dual_mov_b32 v135, v11
	v_mov_b32_e32 v142, 17
	ds_store_2addr_b64 v138, v[134:135], v[132:133] offset0:62 offset1:63
.LBB126_375:
	s_or_b32 exec_lo, exec_lo, s0
	s_delay_alu instid0(SALU_CYCLE_1)
	s_mov_b32 s0, exec_lo
	s_wait_storecnt_dscnt 0x0
	s_barrier_signal -1
	s_barrier_wait -1
	v_cmpx_lt_i32_e32 17, v142
	s_cbranch_execz .LBB126_377
; %bb.376:
	v_pk_mul_f32 v[144:145], v[136:137], v[100:101] op_sel:[1,1] op_sel_hi:[0,1]
	s_delay_alu instid0(VALU_DEP_1)
	v_pk_fma_f32 v[134:135], v[136:137], v[100:101], v[144:145] op_sel_hi:[1,0,1] neg_lo:[0,0,1] neg_hi:[0,0,1]
	v_pk_fma_f32 v[136:137], v[136:137], v[100:101], v[144:145] op_sel_hi:[1,0,1]
	ds_load_2addr_b64 v[144:147], v138 offset0:18 offset1:19
	v_dual_mov_b32 v100, v134 :: v_dual_mov_b32 v101, v137
	s_wait_dscnt 0x0
	v_pk_mul_f32 v[148:149], v[144:145], v[136:137] op_sel:[0,1]
	s_delay_alu instid0(VALU_DEP_1) | instskip(SKIP_1) | instid1(VALU_DEP_1)
	v_pk_fma_f32 v[150:151], v[144:145], v[134:135], v[148:149] op_sel:[0,0,1] op_sel_hi:[1,1,0] neg_lo:[0,0,1] neg_hi:[0,0,1]
	v_pk_fma_f32 v[144:145], v[144:145], v[134:135], v[148:149] op_sel:[0,0,1] op_sel_hi:[1,0,0]
	v_mov_b32_e32 v151, v145
	v_pk_mul_f32 v[144:145], v[146:147], v[136:137] op_sel:[0,1]
	s_delay_alu instid0(VALU_DEP_1) | instskip(SKIP_1) | instid1(VALU_DEP_1)
	v_pk_fma_f32 v[148:149], v[146:147], v[134:135], v[144:145] op_sel:[0,0,1] op_sel_hi:[1,1,0] neg_lo:[0,0,1] neg_hi:[0,0,1]
	v_pk_fma_f32 v[144:145], v[146:147], v[134:135], v[144:145] op_sel:[0,0,1] op_sel_hi:[1,0,0]
	v_mov_b32_e32 v149, v145
	ds_load_2addr_b64 v[144:147], v138 offset0:20 offset1:21
	v_pk_add_f32 v[102:103], v[102:103], v[150:151] neg_lo:[0,1] neg_hi:[0,1]
	v_pk_add_f32 v[38:39], v[38:39], v[148:149] neg_lo:[0,1] neg_hi:[0,1]
	s_wait_dscnt 0x0
	v_pk_mul_f32 v[148:149], v[144:145], v[136:137] op_sel:[0,1]
	s_delay_alu instid0(VALU_DEP_1) | instskip(SKIP_2) | instid1(VALU_DEP_2)
	v_pk_fma_f32 v[150:151], v[144:145], v[134:135], v[148:149] op_sel:[0,0,1] op_sel_hi:[1,1,0] neg_lo:[0,0,1] neg_hi:[0,0,1]
	v_pk_fma_f32 v[144:145], v[144:145], v[134:135], v[148:149] op_sel:[0,0,1] op_sel_hi:[1,0,0]
	v_dual_mul_f32 v148, v147, v137 :: v_dual_mov_b32 v144, v147
	v_dual_mov_b32 v151, v145 :: v_dual_mov_b32 v145, v146
	s_delay_alu instid0(VALU_DEP_2) | instskip(SKIP_1) | instid1(VALU_DEP_3)
	v_pk_fma_f32 v[148:149], v[146:147], v[100:101], v[148:149] op_sel_hi:[1,1,0] neg_lo:[0,0,1] neg_hi:[0,0,1]
	v_mul_f32_e32 v146, v147, v134
	v_pk_add_f32 v[98:99], v[98:99], v[150:151] neg_lo:[0,1] neg_hi:[0,1]
	s_delay_alu instid0(VALU_DEP_2) | instskip(NEXT) | instid1(VALU_DEP_1)
	v_pk_fma_f32 v[144:145], v[144:145], v[100:101], v[146:147] op_sel_hi:[1,1,0]
	v_mov_b32_e32 v149, v145
	ds_load_2addr_b64 v[144:147], v138 offset0:22 offset1:23
	v_pk_add_f32 v[94:95], v[94:95], v[148:149] neg_lo:[0,1] neg_hi:[0,1]
	s_wait_dscnt 0x0
	v_pk_mul_f32 v[148:149], v[144:145], v[136:137] op_sel:[0,1]
	s_delay_alu instid0(VALU_DEP_1) | instskip(SKIP_1) | instid1(VALU_DEP_1)
	v_pk_fma_f32 v[150:151], v[144:145], v[134:135], v[148:149] op_sel:[0,0,1] op_sel_hi:[1,1,0] neg_lo:[0,0,1] neg_hi:[0,0,1]
	v_pk_fma_f32 v[144:145], v[144:145], v[134:135], v[148:149] op_sel:[0,0,1] op_sel_hi:[1,0,0]
	v_mov_b32_e32 v151, v145
	v_pk_mul_f32 v[144:145], v[146:147], v[136:137] op_sel:[0,1]
	s_delay_alu instid0(VALU_DEP_1) | instskip(SKIP_1) | instid1(VALU_DEP_1)
	v_pk_fma_f32 v[148:149], v[146:147], v[134:135], v[144:145] op_sel:[0,0,1] op_sel_hi:[1,1,0] neg_lo:[0,0,1] neg_hi:[0,0,1]
	v_pk_fma_f32 v[144:145], v[146:147], v[134:135], v[144:145] op_sel:[0,0,1] op_sel_hi:[1,0,0]
	v_mov_b32_e32 v149, v145
	ds_load_2addr_b64 v[144:147], v138 offset0:24 offset1:25
	v_pk_add_f32 v[96:97], v[96:97], v[150:151] neg_lo:[0,1] neg_hi:[0,1]
	v_pk_add_f32 v[36:37], v[36:37], v[148:149] neg_lo:[0,1] neg_hi:[0,1]
	s_wait_dscnt 0x0
	v_pk_mul_f32 v[148:149], v[144:145], v[136:137] op_sel:[0,1]
	s_delay_alu instid0(VALU_DEP_1) | instskip(SKIP_1) | instid1(VALU_DEP_1)
	v_pk_fma_f32 v[150:151], v[144:145], v[134:135], v[148:149] op_sel:[0,0,1] op_sel_hi:[1,1,0] neg_lo:[0,0,1] neg_hi:[0,0,1]
	v_pk_fma_f32 v[144:145], v[144:145], v[134:135], v[148:149] op_sel:[0,0,1] op_sel_hi:[1,0,0]
	v_mov_b32_e32 v151, v145
	v_pk_mul_f32 v[144:145], v[146:147], v[136:137] op_sel:[0,1]
	s_delay_alu instid0(VALU_DEP_1) | instskip(SKIP_1) | instid1(VALU_DEP_1)
	v_pk_fma_f32 v[148:149], v[146:147], v[134:135], v[144:145] op_sel:[0,0,1] op_sel_hi:[1,1,0] neg_lo:[0,0,1] neg_hi:[0,0,1]
	v_pk_fma_f32 v[144:145], v[146:147], v[134:135], v[144:145] op_sel:[0,0,1] op_sel_hi:[1,0,0]
	v_mov_b32_e32 v149, v145
	ds_load_2addr_b64 v[144:147], v138 offset0:26 offset1:27
	v_pk_add_f32 v[92:93], v[92:93], v[150:151] neg_lo:[0,1] neg_hi:[0,1]
	v_pk_add_f32 v[88:89], v[88:89], v[148:149] neg_lo:[0,1] neg_hi:[0,1]
	s_wait_dscnt 0x0
	v_dual_mul_f32 v148, v145, v137 :: v_dual_mul_f32 v150, v145, v134
	s_delay_alu instid0(VALU_DEP_1) | instskip(NEXT) | instid1(VALU_DEP_2)
	v_pk_fma_f32 v[148:149], v[144:145], v[100:101], v[148:149] op_sel_hi:[1,1,0] neg_lo:[0,0,1] neg_hi:[0,0,1]
	v_pk_fma_f32 v[144:145], v[144:145], v[100:101], v[150:151] op_sel:[1,0,0] op_sel_hi:[0,1,0]
	s_delay_alu instid0(VALU_DEP_1) | instskip(SKIP_1) | instid1(VALU_DEP_2)
	v_mov_b32_e32 v149, v145
	v_pk_mul_f32 v[144:145], v[146:147], v[136:137] op_sel:[0,1]
	v_pk_add_f32 v[90:91], v[90:91], v[148:149] neg_lo:[0,1] neg_hi:[0,1]
	s_delay_alu instid0(VALU_DEP_2) | instskip(SKIP_1) | instid1(VALU_DEP_1)
	v_pk_fma_f32 v[148:149], v[146:147], v[134:135], v[144:145] op_sel:[0,0,1] op_sel_hi:[1,1,0] neg_lo:[0,0,1] neg_hi:[0,0,1]
	v_pk_fma_f32 v[144:145], v[146:147], v[134:135], v[144:145] op_sel:[0,0,1] op_sel_hi:[1,0,0]
	v_mov_b32_e32 v149, v145
	ds_load_2addr_b64 v[144:147], v138 offset0:28 offset1:29
	v_pk_add_f32 v[34:35], v[34:35], v[148:149] neg_lo:[0,1] neg_hi:[0,1]
	s_wait_dscnt 0x0
	v_pk_mul_f32 v[148:149], v[144:145], v[136:137] op_sel:[0,1]
	s_delay_alu instid0(VALU_DEP_1) | instskip(SKIP_1) | instid1(VALU_DEP_1)
	v_pk_fma_f32 v[150:151], v[144:145], v[134:135], v[148:149] op_sel:[0,0,1] op_sel_hi:[1,1,0] neg_lo:[0,0,1] neg_hi:[0,0,1]
	v_pk_fma_f32 v[144:145], v[144:145], v[134:135], v[148:149] op_sel:[0,0,1] op_sel_hi:[1,0,0]
	v_mov_b32_e32 v151, v145
	v_pk_mul_f32 v[144:145], v[146:147], v[136:137] op_sel:[0,1]
	s_delay_alu instid0(VALU_DEP_2) | instskip(NEXT) | instid1(VALU_DEP_2)
	v_pk_add_f32 v[86:87], v[86:87], v[150:151] neg_lo:[0,1] neg_hi:[0,1]
	v_pk_fma_f32 v[148:149], v[146:147], v[134:135], v[144:145] op_sel:[0,0,1] op_sel_hi:[1,1,0] neg_lo:[0,0,1] neg_hi:[0,0,1]
	v_pk_fma_f32 v[144:145], v[146:147], v[134:135], v[144:145] op_sel:[0,0,1] op_sel_hi:[1,0,0]
	s_delay_alu instid0(VALU_DEP_1) | instskip(SKIP_4) | instid1(VALU_DEP_1)
	v_mov_b32_e32 v149, v145
	ds_load_2addr_b64 v[144:147], v138 offset0:30 offset1:31
	v_pk_add_f32 v[82:83], v[82:83], v[148:149] neg_lo:[0,1] neg_hi:[0,1]
	s_wait_dscnt 0x0
	v_pk_mul_f32 v[148:149], v[144:145], v[136:137] op_sel:[0,1]
	v_pk_fma_f32 v[150:151], v[144:145], v[134:135], v[148:149] op_sel:[0,0,1] op_sel_hi:[1,1,0] neg_lo:[0,0,1] neg_hi:[0,0,1]
	v_pk_fma_f32 v[144:145], v[144:145], v[134:135], v[148:149] op_sel:[0,0,1] op_sel_hi:[1,0,0]
	v_dual_mul_f32 v148, v147, v137 :: v_dual_mov_b32 v144, v147
	s_delay_alu instid0(VALU_DEP_2) | instskip(NEXT) | instid1(VALU_DEP_2)
	v_dual_mov_b32 v151, v145 :: v_dual_mov_b32 v145, v146
	v_pk_fma_f32 v[148:149], v[146:147], v[100:101], v[148:149] op_sel_hi:[1,1,0] neg_lo:[0,0,1] neg_hi:[0,0,1]
	v_mul_f32_e32 v146, v147, v134
	s_delay_alu instid0(VALU_DEP_3) | instskip(NEXT) | instid1(VALU_DEP_2)
	v_pk_add_f32 v[84:85], v[84:85], v[150:151] neg_lo:[0,1] neg_hi:[0,1]
	v_pk_fma_f32 v[144:145], v[144:145], v[100:101], v[146:147] op_sel_hi:[1,1,0]
	s_delay_alu instid0(VALU_DEP_1) | instskip(SKIP_4) | instid1(VALU_DEP_1)
	v_mov_b32_e32 v149, v145
	ds_load_2addr_b64 v[144:147], v138 offset0:32 offset1:33
	v_pk_add_f32 v[26:27], v[26:27], v[148:149] neg_lo:[0,1] neg_hi:[0,1]
	s_wait_dscnt 0x0
	v_pk_mul_f32 v[148:149], v[144:145], v[136:137] op_sel:[0,1]
	v_pk_fma_f32 v[150:151], v[144:145], v[134:135], v[148:149] op_sel:[0,0,1] op_sel_hi:[1,1,0] neg_lo:[0,0,1] neg_hi:[0,0,1]
	v_pk_fma_f32 v[144:145], v[144:145], v[134:135], v[148:149] op_sel:[0,0,1] op_sel_hi:[1,0,0]
	s_delay_alu instid0(VALU_DEP_1) | instskip(SKIP_1) | instid1(VALU_DEP_1)
	v_mov_b32_e32 v151, v145
	v_pk_mul_f32 v[144:145], v[146:147], v[136:137] op_sel:[0,1]
	v_pk_fma_f32 v[148:149], v[146:147], v[134:135], v[144:145] op_sel:[0,0,1] op_sel_hi:[1,1,0] neg_lo:[0,0,1] neg_hi:[0,0,1]
	v_pk_fma_f32 v[144:145], v[146:147], v[134:135], v[144:145] op_sel:[0,0,1] op_sel_hi:[1,0,0]
	s_delay_alu instid0(VALU_DEP_1)
	v_mov_b32_e32 v149, v145
	ds_load_2addr_b64 v[144:147], v138 offset0:34 offset1:35
	v_pk_add_f32 v[80:81], v[80:81], v[150:151] neg_lo:[0,1] neg_hi:[0,1]
	v_pk_add_f32 v[76:77], v[76:77], v[148:149] neg_lo:[0,1] neg_hi:[0,1]
	s_wait_dscnt 0x0
	v_pk_mul_f32 v[148:149], v[144:145], v[136:137] op_sel:[0,1]
	s_delay_alu instid0(VALU_DEP_1) | instskip(SKIP_1) | instid1(VALU_DEP_1)
	v_pk_fma_f32 v[150:151], v[144:145], v[134:135], v[148:149] op_sel:[0,0,1] op_sel_hi:[1,1,0] neg_lo:[0,0,1] neg_hi:[0,0,1]
	v_pk_fma_f32 v[144:145], v[144:145], v[134:135], v[148:149] op_sel:[0,0,1] op_sel_hi:[1,0,0]
	v_mov_b32_e32 v151, v145
	v_pk_mul_f32 v[144:145], v[146:147], v[136:137] op_sel:[0,1]
	s_delay_alu instid0(VALU_DEP_1) | instskip(SKIP_1) | instid1(VALU_DEP_1)
	v_pk_fma_f32 v[148:149], v[146:147], v[134:135], v[144:145] op_sel:[0,0,1] op_sel_hi:[1,1,0] neg_lo:[0,0,1] neg_hi:[0,0,1]
	v_pk_fma_f32 v[144:145], v[146:147], v[134:135], v[144:145] op_sel:[0,0,1] op_sel_hi:[1,0,0]
	v_mov_b32_e32 v149, v145
	ds_load_2addr_b64 v[144:147], v138 offset0:36 offset1:37
	v_pk_add_f32 v[78:79], v[78:79], v[150:151] neg_lo:[0,1] neg_hi:[0,1]
	v_pk_add_f32 v[24:25], v[24:25], v[148:149] neg_lo:[0,1] neg_hi:[0,1]
	s_wait_dscnt 0x0
	v_dual_mul_f32 v148, v145, v137 :: v_dual_mul_f32 v150, v145, v134
	s_delay_alu instid0(VALU_DEP_1) | instskip(NEXT) | instid1(VALU_DEP_2)
	v_pk_fma_f32 v[148:149], v[144:145], v[100:101], v[148:149] op_sel_hi:[1,1,0] neg_lo:[0,0,1] neg_hi:[0,0,1]
	v_pk_fma_f32 v[144:145], v[144:145], v[100:101], v[150:151] op_sel:[1,0,0] op_sel_hi:[0,1,0]
	s_delay_alu instid0(VALU_DEP_1) | instskip(SKIP_1) | instid1(VALU_DEP_2)
	v_mov_b32_e32 v149, v145
	v_pk_mul_f32 v[144:145], v[146:147], v[136:137] op_sel:[0,1]
	v_pk_add_f32 v[74:75], v[74:75], v[148:149] neg_lo:[0,1] neg_hi:[0,1]
	s_delay_alu instid0(VALU_DEP_2) | instskip(SKIP_1) | instid1(VALU_DEP_1)
	v_pk_fma_f32 v[148:149], v[146:147], v[134:135], v[144:145] op_sel:[0,0,1] op_sel_hi:[1,1,0] neg_lo:[0,0,1] neg_hi:[0,0,1]
	v_pk_fma_f32 v[144:145], v[146:147], v[134:135], v[144:145] op_sel:[0,0,1] op_sel_hi:[1,0,0]
	v_mov_b32_e32 v149, v145
	ds_load_2addr_b64 v[144:147], v138 offset0:38 offset1:39
	v_pk_add_f32 v[70:71], v[70:71], v[148:149] neg_lo:[0,1] neg_hi:[0,1]
	s_wait_dscnt 0x0
	v_pk_mul_f32 v[148:149], v[144:145], v[136:137] op_sel:[0,1]
	s_delay_alu instid0(VALU_DEP_1) | instskip(SKIP_1) | instid1(VALU_DEP_1)
	v_pk_fma_f32 v[150:151], v[144:145], v[134:135], v[148:149] op_sel:[0,0,1] op_sel_hi:[1,1,0] neg_lo:[0,0,1] neg_hi:[0,0,1]
	v_pk_fma_f32 v[144:145], v[144:145], v[134:135], v[148:149] op_sel:[0,0,1] op_sel_hi:[1,0,0]
	v_mov_b32_e32 v151, v145
	v_pk_mul_f32 v[144:145], v[146:147], v[136:137] op_sel:[0,1]
	s_delay_alu instid0(VALU_DEP_2) | instskip(NEXT) | instid1(VALU_DEP_2)
	v_pk_add_f32 v[72:73], v[72:73], v[150:151] neg_lo:[0,1] neg_hi:[0,1]
	v_pk_fma_f32 v[148:149], v[146:147], v[134:135], v[144:145] op_sel:[0,0,1] op_sel_hi:[1,1,0] neg_lo:[0,0,1] neg_hi:[0,0,1]
	v_pk_fma_f32 v[144:145], v[146:147], v[134:135], v[144:145] op_sel:[0,0,1] op_sel_hi:[1,0,0]
	s_delay_alu instid0(VALU_DEP_1) | instskip(SKIP_4) | instid1(VALU_DEP_1)
	v_mov_b32_e32 v149, v145
	ds_load_2addr_b64 v[144:147], v138 offset0:40 offset1:41
	v_pk_add_f32 v[22:23], v[22:23], v[148:149] neg_lo:[0,1] neg_hi:[0,1]
	s_wait_dscnt 0x0
	v_pk_mul_f32 v[148:149], v[144:145], v[136:137] op_sel:[0,1]
	v_pk_fma_f32 v[150:151], v[144:145], v[134:135], v[148:149] op_sel:[0,0,1] op_sel_hi:[1,1,0] neg_lo:[0,0,1] neg_hi:[0,0,1]
	v_pk_fma_f32 v[144:145], v[144:145], v[134:135], v[148:149] op_sel:[0,0,1] op_sel_hi:[1,0,0]
	v_dual_mul_f32 v148, v147, v137 :: v_dual_mov_b32 v144, v147
	s_delay_alu instid0(VALU_DEP_2) | instskip(NEXT) | instid1(VALU_DEP_2)
	v_dual_mov_b32 v151, v145 :: v_dual_mov_b32 v145, v146
	v_pk_fma_f32 v[148:149], v[146:147], v[100:101], v[148:149] op_sel_hi:[1,1,0] neg_lo:[0,0,1] neg_hi:[0,0,1]
	v_mul_f32_e32 v146, v147, v134
	s_delay_alu instid0(VALU_DEP_3) | instskip(NEXT) | instid1(VALU_DEP_2)
	v_pk_add_f32 v[68:69], v[68:69], v[150:151] neg_lo:[0,1] neg_hi:[0,1]
	v_pk_fma_f32 v[144:145], v[144:145], v[100:101], v[146:147] op_sel_hi:[1,1,0]
	s_delay_alu instid0(VALU_DEP_1) | instskip(SKIP_4) | instid1(VALU_DEP_1)
	v_mov_b32_e32 v149, v145
	ds_load_2addr_b64 v[144:147], v138 offset0:42 offset1:43
	v_pk_add_f32 v[64:65], v[64:65], v[148:149] neg_lo:[0,1] neg_hi:[0,1]
	s_wait_dscnt 0x0
	v_pk_mul_f32 v[148:149], v[144:145], v[136:137] op_sel:[0,1]
	v_pk_fma_f32 v[150:151], v[144:145], v[134:135], v[148:149] op_sel:[0,0,1] op_sel_hi:[1,1,0] neg_lo:[0,0,1] neg_hi:[0,0,1]
	v_pk_fma_f32 v[144:145], v[144:145], v[134:135], v[148:149] op_sel:[0,0,1] op_sel_hi:[1,0,0]
	s_delay_alu instid0(VALU_DEP_1) | instskip(SKIP_1) | instid1(VALU_DEP_1)
	v_mov_b32_e32 v151, v145
	v_pk_mul_f32 v[144:145], v[146:147], v[136:137] op_sel:[0,1]
	v_pk_fma_f32 v[148:149], v[146:147], v[134:135], v[144:145] op_sel:[0,0,1] op_sel_hi:[1,1,0] neg_lo:[0,0,1] neg_hi:[0,0,1]
	v_pk_fma_f32 v[144:145], v[146:147], v[134:135], v[144:145] op_sel:[0,0,1] op_sel_hi:[1,0,0]
	s_delay_alu instid0(VALU_DEP_1)
	v_mov_b32_e32 v149, v145
	ds_load_2addr_b64 v[144:147], v138 offset0:44 offset1:45
	v_pk_add_f32 v[66:67], v[66:67], v[150:151] neg_lo:[0,1] neg_hi:[0,1]
	v_pk_add_f32 v[18:19], v[18:19], v[148:149] neg_lo:[0,1] neg_hi:[0,1]
	s_wait_dscnt 0x0
	v_pk_mul_f32 v[148:149], v[144:145], v[136:137] op_sel:[0,1]
	s_delay_alu instid0(VALU_DEP_1) | instskip(SKIP_1) | instid1(VALU_DEP_1)
	v_pk_fma_f32 v[150:151], v[144:145], v[134:135], v[148:149] op_sel:[0,0,1] op_sel_hi:[1,1,0] neg_lo:[0,0,1] neg_hi:[0,0,1]
	v_pk_fma_f32 v[144:145], v[144:145], v[134:135], v[148:149] op_sel:[0,0,1] op_sel_hi:[1,0,0]
	v_mov_b32_e32 v151, v145
	v_pk_mul_f32 v[144:145], v[146:147], v[136:137] op_sel:[0,1]
	s_delay_alu instid0(VALU_DEP_1) | instskip(SKIP_1) | instid1(VALU_DEP_1)
	v_pk_fma_f32 v[148:149], v[146:147], v[134:135], v[144:145] op_sel:[0,0,1] op_sel_hi:[1,1,0] neg_lo:[0,0,1] neg_hi:[0,0,1]
	v_pk_fma_f32 v[144:145], v[146:147], v[134:135], v[144:145] op_sel:[0,0,1] op_sel_hi:[1,0,0]
	v_mov_b32_e32 v149, v145
	ds_load_2addr_b64 v[144:147], v138 offset0:46 offset1:47
	v_pk_add_f32 v[60:61], v[60:61], v[150:151] neg_lo:[0,1] neg_hi:[0,1]
	v_pk_add_f32 v[56:57], v[56:57], v[148:149] neg_lo:[0,1] neg_hi:[0,1]
	s_wait_dscnt 0x0
	v_dual_mul_f32 v148, v145, v137 :: v_dual_mul_f32 v150, v145, v134
	s_delay_alu instid0(VALU_DEP_1) | instskip(NEXT) | instid1(VALU_DEP_2)
	v_pk_fma_f32 v[148:149], v[144:145], v[100:101], v[148:149] op_sel_hi:[1,1,0] neg_lo:[0,0,1] neg_hi:[0,0,1]
	v_pk_fma_f32 v[144:145], v[144:145], v[100:101], v[150:151] op_sel:[1,0,0] op_sel_hi:[0,1,0]
	s_delay_alu instid0(VALU_DEP_1) | instskip(SKIP_1) | instid1(VALU_DEP_2)
	v_mov_b32_e32 v149, v145
	v_pk_mul_f32 v[144:145], v[146:147], v[136:137] op_sel:[0,1]
	v_pk_add_f32 v[58:59], v[58:59], v[148:149] neg_lo:[0,1] neg_hi:[0,1]
	s_delay_alu instid0(VALU_DEP_2) | instskip(SKIP_1) | instid1(VALU_DEP_1)
	v_pk_fma_f32 v[148:149], v[146:147], v[134:135], v[144:145] op_sel:[0,0,1] op_sel_hi:[1,1,0] neg_lo:[0,0,1] neg_hi:[0,0,1]
	v_pk_fma_f32 v[144:145], v[146:147], v[134:135], v[144:145] op_sel:[0,0,1] op_sel_hi:[1,0,0]
	v_mov_b32_e32 v149, v145
	ds_load_2addr_b64 v[144:147], v138 offset0:48 offset1:49
	v_pk_add_f32 v[12:13], v[12:13], v[148:149] neg_lo:[0,1] neg_hi:[0,1]
	s_wait_dscnt 0x0
	v_pk_mul_f32 v[148:149], v[144:145], v[136:137] op_sel:[0,1]
	s_delay_alu instid0(VALU_DEP_1) | instskip(SKIP_1) | instid1(VALU_DEP_1)
	v_pk_fma_f32 v[150:151], v[144:145], v[134:135], v[148:149] op_sel:[0,0,1] op_sel_hi:[1,1,0] neg_lo:[0,0,1] neg_hi:[0,0,1]
	v_pk_fma_f32 v[144:145], v[144:145], v[134:135], v[148:149] op_sel:[0,0,1] op_sel_hi:[1,0,0]
	v_mov_b32_e32 v151, v145
	v_pk_mul_f32 v[144:145], v[146:147], v[136:137] op_sel:[0,1]
	s_delay_alu instid0(VALU_DEP_2) | instskip(NEXT) | instid1(VALU_DEP_2)
	v_pk_add_f32 v[54:55], v[54:55], v[150:151] neg_lo:[0,1] neg_hi:[0,1]
	v_pk_fma_f32 v[148:149], v[146:147], v[134:135], v[144:145] op_sel:[0,0,1] op_sel_hi:[1,1,0] neg_lo:[0,0,1] neg_hi:[0,0,1]
	v_pk_fma_f32 v[144:145], v[146:147], v[134:135], v[144:145] op_sel:[0,0,1] op_sel_hi:[1,0,0]
	s_delay_alu instid0(VALU_DEP_1) | instskip(SKIP_4) | instid1(VALU_DEP_1)
	v_mov_b32_e32 v149, v145
	ds_load_2addr_b64 v[144:147], v138 offset0:50 offset1:51
	v_pk_add_f32 v[52:53], v[52:53], v[148:149] neg_lo:[0,1] neg_hi:[0,1]
	s_wait_dscnt 0x0
	v_pk_mul_f32 v[148:149], v[144:145], v[136:137] op_sel:[0,1]
	v_pk_fma_f32 v[150:151], v[144:145], v[134:135], v[148:149] op_sel:[0,0,1] op_sel_hi:[1,1,0] neg_lo:[0,0,1] neg_hi:[0,0,1]
	v_pk_fma_f32 v[144:145], v[144:145], v[134:135], v[148:149] op_sel:[0,0,1] op_sel_hi:[1,0,0]
	v_dual_mul_f32 v148, v147, v137 :: v_dual_mov_b32 v144, v147
	s_delay_alu instid0(VALU_DEP_2) | instskip(NEXT) | instid1(VALU_DEP_2)
	v_dual_mov_b32 v151, v145 :: v_dual_mov_b32 v145, v146
	v_pk_fma_f32 v[148:149], v[146:147], v[100:101], v[148:149] op_sel_hi:[1,1,0] neg_lo:[0,0,1] neg_hi:[0,0,1]
	v_mul_f32_e32 v146, v147, v134
	s_delay_alu instid0(VALU_DEP_3) | instskip(NEXT) | instid1(VALU_DEP_2)
	v_pk_add_f32 v[62:63], v[62:63], v[150:151] neg_lo:[0,1] neg_hi:[0,1]
	v_pk_fma_f32 v[144:145], v[144:145], v[100:101], v[146:147] op_sel_hi:[1,1,0]
	s_delay_alu instid0(VALU_DEP_1) | instskip(SKIP_4) | instid1(VALU_DEP_1)
	v_mov_b32_e32 v149, v145
	ds_load_2addr_b64 v[144:147], v138 offset0:52 offset1:53
	v_pk_add_f32 v[16:17], v[16:17], v[148:149] neg_lo:[0,1] neg_hi:[0,1]
	s_wait_dscnt 0x0
	v_pk_mul_f32 v[148:149], v[144:145], v[136:137] op_sel:[0,1]
	v_pk_fma_f32 v[150:151], v[144:145], v[134:135], v[148:149] op_sel:[0,0,1] op_sel_hi:[1,1,0] neg_lo:[0,0,1] neg_hi:[0,0,1]
	v_pk_fma_f32 v[144:145], v[144:145], v[134:135], v[148:149] op_sel:[0,0,1] op_sel_hi:[1,0,0]
	s_delay_alu instid0(VALU_DEP_1) | instskip(SKIP_1) | instid1(VALU_DEP_1)
	v_mov_b32_e32 v151, v145
	v_pk_mul_f32 v[144:145], v[146:147], v[136:137] op_sel:[0,1]
	v_pk_fma_f32 v[148:149], v[146:147], v[134:135], v[144:145] op_sel:[0,0,1] op_sel_hi:[1,1,0] neg_lo:[0,0,1] neg_hi:[0,0,1]
	v_pk_fma_f32 v[144:145], v[146:147], v[134:135], v[144:145] op_sel:[0,0,1] op_sel_hi:[1,0,0]
	s_delay_alu instid0(VALU_DEP_1)
	v_mov_b32_e32 v149, v145
	ds_load_2addr_b64 v[144:147], v138 offset0:54 offset1:55
	v_pk_add_f32 v[48:49], v[48:49], v[150:151] neg_lo:[0,1] neg_hi:[0,1]
	v_pk_add_f32 v[42:43], v[42:43], v[148:149] neg_lo:[0,1] neg_hi:[0,1]
	s_wait_dscnt 0x0
	v_pk_mul_f32 v[148:149], v[144:145], v[136:137] op_sel:[0,1]
	s_delay_alu instid0(VALU_DEP_1) | instskip(SKIP_1) | instid1(VALU_DEP_1)
	v_pk_fma_f32 v[150:151], v[144:145], v[134:135], v[148:149] op_sel:[0,0,1] op_sel_hi:[1,1,0] neg_lo:[0,0,1] neg_hi:[0,0,1]
	v_pk_fma_f32 v[144:145], v[144:145], v[134:135], v[148:149] op_sel:[0,0,1] op_sel_hi:[1,0,0]
	v_mov_b32_e32 v151, v145
	v_pk_mul_f32 v[144:145], v[146:147], v[136:137] op_sel:[0,1]
	s_delay_alu instid0(VALU_DEP_1) | instskip(SKIP_1) | instid1(VALU_DEP_1)
	v_pk_fma_f32 v[148:149], v[146:147], v[134:135], v[144:145] op_sel:[0,0,1] op_sel_hi:[1,1,0] neg_lo:[0,0,1] neg_hi:[0,0,1]
	v_pk_fma_f32 v[144:145], v[146:147], v[134:135], v[144:145] op_sel:[0,0,1] op_sel_hi:[1,0,0]
	v_mov_b32_e32 v149, v145
	ds_load_2addr_b64 v[144:147], v138 offset0:56 offset1:57
	v_pk_add_f32 v[46:47], v[46:47], v[150:151] neg_lo:[0,1] neg_hi:[0,1]
	v_pk_add_f32 v[8:9], v[8:9], v[148:149] neg_lo:[0,1] neg_hi:[0,1]
	s_wait_dscnt 0x0
	v_dual_mul_f32 v148, v145, v137 :: v_dual_mul_f32 v150, v145, v134
	s_delay_alu instid0(VALU_DEP_1) | instskip(NEXT) | instid1(VALU_DEP_2)
	v_pk_fma_f32 v[148:149], v[144:145], v[100:101], v[148:149] op_sel_hi:[1,1,0] neg_lo:[0,0,1] neg_hi:[0,0,1]
	v_pk_fma_f32 v[144:145], v[144:145], v[100:101], v[150:151] op_sel:[1,0,0] op_sel_hi:[0,1,0]
	s_delay_alu instid0(VALU_DEP_1) | instskip(SKIP_1) | instid1(VALU_DEP_2)
	v_mov_b32_e32 v149, v145
	v_pk_mul_f32 v[144:145], v[146:147], v[136:137] op_sel:[0,1]
	v_pk_add_f32 v[32:33], v[32:33], v[148:149] neg_lo:[0,1] neg_hi:[0,1]
	s_delay_alu instid0(VALU_DEP_2) | instskip(SKIP_1) | instid1(VALU_DEP_1)
	v_pk_fma_f32 v[148:149], v[146:147], v[134:135], v[144:145] op_sel:[0,0,1] op_sel_hi:[1,1,0] neg_lo:[0,0,1] neg_hi:[0,0,1]
	v_pk_fma_f32 v[144:145], v[146:147], v[134:135], v[144:145] op_sel:[0,0,1] op_sel_hi:[1,0,0]
	v_mov_b32_e32 v149, v145
	ds_load_2addr_b64 v[144:147], v138 offset0:58 offset1:59
	v_pk_add_f32 v[28:29], v[28:29], v[148:149] neg_lo:[0,1] neg_hi:[0,1]
	s_wait_dscnt 0x0
	v_pk_mul_f32 v[148:149], v[144:145], v[136:137] op_sel:[0,1]
	s_delay_alu instid0(VALU_DEP_1) | instskip(SKIP_1) | instid1(VALU_DEP_1)
	v_pk_fma_f32 v[150:151], v[144:145], v[134:135], v[148:149] op_sel:[0,0,1] op_sel_hi:[1,1,0] neg_lo:[0,0,1] neg_hi:[0,0,1]
	v_pk_fma_f32 v[144:145], v[144:145], v[134:135], v[148:149] op_sel:[0,0,1] op_sel_hi:[1,0,0]
	v_mov_b32_e32 v151, v145
	v_pk_mul_f32 v[144:145], v[146:147], v[136:137] op_sel:[0,1]
	s_delay_alu instid0(VALU_DEP_2) | instskip(NEXT) | instid1(VALU_DEP_2)
	v_pk_add_f32 v[30:31], v[30:31], v[150:151] neg_lo:[0,1] neg_hi:[0,1]
	v_pk_fma_f32 v[148:149], v[146:147], v[134:135], v[144:145] op_sel:[0,0,1] op_sel_hi:[1,1,0] neg_lo:[0,0,1] neg_hi:[0,0,1]
	v_pk_fma_f32 v[144:145], v[146:147], v[134:135], v[144:145] op_sel:[0,0,1] op_sel_hi:[1,0,0]
	s_delay_alu instid0(VALU_DEP_1) | instskip(SKIP_4) | instid1(VALU_DEP_1)
	v_mov_b32_e32 v149, v145
	ds_load_2addr_b64 v[144:147], v138 offset0:60 offset1:61
	v_pk_add_f32 v[6:7], v[6:7], v[148:149] neg_lo:[0,1] neg_hi:[0,1]
	s_wait_dscnt 0x0
	v_pk_mul_f32 v[148:149], v[144:145], v[136:137] op_sel:[0,1]
	v_pk_fma_f32 v[150:151], v[144:145], v[134:135], v[148:149] op_sel:[0,0,1] op_sel_hi:[1,1,0] neg_lo:[0,0,1] neg_hi:[0,0,1]
	v_pk_fma_f32 v[144:145], v[144:145], v[134:135], v[148:149] op_sel:[0,0,1] op_sel_hi:[1,0,0]
	v_dual_mul_f32 v148, v147, v137 :: v_dual_mov_b32 v144, v147
	s_delay_alu instid0(VALU_DEP_2) | instskip(NEXT) | instid1(VALU_DEP_2)
	v_dual_mov_b32 v151, v145 :: v_dual_mov_b32 v145, v146
	v_pk_fma_f32 v[148:149], v[146:147], v[100:101], v[148:149] op_sel_hi:[1,1,0] neg_lo:[0,0,1] neg_hi:[0,0,1]
	v_mul_f32_e32 v146, v147, v134
	s_delay_alu instid0(VALU_DEP_3) | instskip(NEXT) | instid1(VALU_DEP_2)
	v_pk_add_f32 v[20:21], v[20:21], v[150:151] neg_lo:[0,1] neg_hi:[0,1]
	v_pk_fma_f32 v[144:145], v[144:145], v[100:101], v[146:147] op_sel_hi:[1,1,0]
	s_delay_alu instid0(VALU_DEP_1)
	v_mov_b32_e32 v149, v145
	ds_load_2addr_b64 v[144:147], v138 offset0:62 offset1:63
	v_pk_add_f32 v[14:15], v[14:15], v[148:149] neg_lo:[0,1] neg_hi:[0,1]
	s_wait_dscnt 0x0
	v_pk_mul_f32 v[148:149], v[144:145], v[136:137] op_sel:[0,1]
	v_pk_mul_f32 v[136:137], v[146:147], v[136:137] op_sel:[0,1]
	s_delay_alu instid0(VALU_DEP_2) | instskip(SKIP_1) | instid1(VALU_DEP_1)
	v_pk_fma_f32 v[150:151], v[144:145], v[134:135], v[148:149] op_sel:[0,0,1] op_sel_hi:[1,1,0] neg_lo:[0,0,1] neg_hi:[0,0,1]
	v_pk_fma_f32 v[144:145], v[144:145], v[134:135], v[148:149] op_sel:[0,0,1] op_sel_hi:[1,0,0]
	v_mov_b32_e32 v151, v145
	s_delay_alu instid0(VALU_DEP_4) | instskip(SKIP_1) | instid1(VALU_DEP_1)
	v_pk_fma_f32 v[144:145], v[146:147], v[134:135], v[136:137] op_sel:[0,0,1] op_sel_hi:[1,1,0] neg_lo:[0,0,1] neg_hi:[0,0,1]
	v_pk_fma_f32 v[134:135], v[146:147], v[134:135], v[136:137] op_sel:[0,0,1] op_sel_hi:[1,0,0]
	v_mov_b32_e32 v145, v135
	s_delay_alu instid0(VALU_DEP_4) | instskip(NEXT) | instid1(VALU_DEP_2)
	v_pk_add_f32 v[10:11], v[10:11], v[150:151] neg_lo:[0,1] neg_hi:[0,1]
	v_pk_add_f32 v[132:133], v[132:133], v[144:145] neg_lo:[0,1] neg_hi:[0,1]
.LBB126_377:
	s_or_b32 exec_lo, exec_lo, s0
	v_lshl_add_u32 v134, v142, 3, v138
	s_barrier_signal -1
	s_barrier_wait -1
	ds_store_b64 v134, v[102:103]
	s_wait_dscnt 0x0
	s_barrier_signal -1
	s_barrier_wait -1
	ds_load_b64 v[136:137], v138 offset:144
	v_mov_b32_e32 v134, 18
	s_cmp_lt_i32 s18, 20
	s_cbranch_scc1 .LBB126_380
; %bb.378:
	v_add3_u32 v135, v139, 0, 0x98
	v_mov_b32_e32 v134, 18
	s_mov_b32 s0, 19
.LBB126_379:                            ; =>This Inner Loop Header: Depth=1
	ds_load_b64 v[144:145], v135
	s_wait_dscnt 0x1
	v_cmp_gt_f32_e32 vcc_lo, 0, v136
	v_cndmask_b32_e64 v146, v136, -v136, vcc_lo
	v_cmp_gt_f32_e32 vcc_lo, 0, v137
	v_cndmask_b32_e64 v148, v137, -v137, vcc_lo
	s_wait_dscnt 0x0
	v_cmp_gt_f32_e32 vcc_lo, 0, v144
	v_cndmask_b32_e64 v147, v144, -v144, vcc_lo
	v_cmp_gt_f32_e32 vcc_lo, 0, v145
	v_cndmask_b32_e64 v149, v145, -v145, vcc_lo
	s_delay_alu instid0(VALU_DEP_1) | instskip(NEXT) | instid1(VALU_DEP_1)
	v_pk_add_f32 v[146:147], v[146:147], v[148:149]
	v_cmp_lt_f32_e32 vcc_lo, v146, v147
	v_dual_add_nc_u32 v135, 8, v135 :: v_dual_cndmask_b32 v137, v137, v145, vcc_lo
	v_cndmask_b32_e32 v136, v136, v144, vcc_lo
	v_cndmask_b32_e64 v134, v134, s0, vcc_lo
	s_add_co_i32 s0, s0, 1
	s_delay_alu instid0(SALU_CYCLE_1)
	s_cmp_lg_u32 s18, s0
	s_cbranch_scc1 .LBB126_379
.LBB126_380:
	s_wait_dscnt 0x0
	v_cmp_eq_f32_e32 vcc_lo, 0, v136
	v_cmp_eq_f32_e64 s0, 0, v137
	s_and_b32 s0, vcc_lo, s0
	s_delay_alu instid0(SALU_CYCLE_1) | instskip(NEXT) | instid1(SALU_CYCLE_1)
	s_and_saveexec_b32 s1, s0
	s_xor_b32 s0, exec_lo, s1
; %bb.381:
	v_cmp_ne_u32_e32 vcc_lo, 0, v140
	v_cndmask_b32_e32 v140, 19, v140, vcc_lo
; %bb.382:
	s_and_not1_saveexec_b32 s0, s0
	s_cbranch_execz .LBB126_388
; %bb.383:
	v_cmp_ngt_f32_e64 s1, |v136|, |v137|
	s_and_saveexec_b32 s12, s1
	s_delay_alu instid0(SALU_CYCLE_1)
	s_xor_b32 s1, exec_lo, s12
	s_cbranch_execz .LBB126_385
; %bb.384:
	v_div_scale_f32 v135, null, v137, v137, v136
	v_div_scale_f32 v145, vcc_lo, v136, v137, v136
	s_delay_alu instid0(VALU_DEP_2) | instskip(SKIP_1) | instid1(TRANS32_DEP_1)
	v_rcp_f32_e32 v143, v135
	v_nop
	v_fma_f32 v144, -v135, v143, 1.0
	s_delay_alu instid0(VALU_DEP_1) | instskip(NEXT) | instid1(VALU_DEP_1)
	v_fmac_f32_e32 v143, v144, v143
	v_mul_f32_e32 v144, v145, v143
	s_delay_alu instid0(VALU_DEP_1) | instskip(NEXT) | instid1(VALU_DEP_1)
	v_fma_f32 v146, -v135, v144, v145
	v_fmac_f32_e32 v144, v146, v143
	s_delay_alu instid0(VALU_DEP_1) | instskip(NEXT) | instid1(VALU_DEP_1)
	v_fma_f32 v135, -v135, v144, v145
	v_div_fmas_f32 v135, v135, v143, v144
	s_delay_alu instid0(VALU_DEP_1) | instskip(NEXT) | instid1(VALU_DEP_1)
	v_div_fixup_f32 v135, v135, v137, v136
	v_fmac_f32_e32 v137, v136, v135
	s_delay_alu instid0(VALU_DEP_1) | instskip(SKIP_1) | instid1(VALU_DEP_2)
	v_div_scale_f32 v136, null, v137, v137, 1.0
	v_div_scale_f32 v145, vcc_lo, 1.0, v137, 1.0
	v_rcp_f32_e32 v143, v136
	v_nop
	s_delay_alu instid0(TRANS32_DEP_1) | instskip(NEXT) | instid1(VALU_DEP_1)
	v_fma_f32 v144, -v136, v143, 1.0
	v_fmac_f32_e32 v143, v144, v143
	s_delay_alu instid0(VALU_DEP_1) | instskip(NEXT) | instid1(VALU_DEP_1)
	v_mul_f32_e32 v144, v145, v143
	v_fma_f32 v146, -v136, v144, v145
	s_delay_alu instid0(VALU_DEP_1) | instskip(NEXT) | instid1(VALU_DEP_1)
	v_fmac_f32_e32 v144, v146, v143
	v_fma_f32 v136, -v136, v144, v145
	s_delay_alu instid0(VALU_DEP_1) | instskip(NEXT) | instid1(VALU_DEP_1)
	v_div_fmas_f32 v136, v136, v143, v144
	v_div_fixup_f32 v137, v136, v137, 1.0
	s_delay_alu instid0(VALU_DEP_1)
	v_mul_f32_e32 v136, v135, v137
	v_xor_b32_e32 v137, 0x80000000, v137
.LBB126_385:
	s_and_not1_saveexec_b32 s1, s1
	s_cbranch_execz .LBB126_387
; %bb.386:
	s_delay_alu instid0(VALU_DEP_1) | instskip(SKIP_1) | instid1(VALU_DEP_2)
	v_div_scale_f32 v135, null, v136, v136, v137
	v_div_scale_f32 v145, vcc_lo, v137, v136, v137
	v_rcp_f32_e32 v143, v135
	v_nop
	s_delay_alu instid0(TRANS32_DEP_1) | instskip(NEXT) | instid1(VALU_DEP_1)
	v_fma_f32 v144, -v135, v143, 1.0
	v_fmac_f32_e32 v143, v144, v143
	s_delay_alu instid0(VALU_DEP_1) | instskip(NEXT) | instid1(VALU_DEP_1)
	v_mul_f32_e32 v144, v145, v143
	v_fma_f32 v146, -v135, v144, v145
	s_delay_alu instid0(VALU_DEP_1) | instskip(NEXT) | instid1(VALU_DEP_1)
	v_fmac_f32_e32 v144, v146, v143
	v_fma_f32 v135, -v135, v144, v145
	s_delay_alu instid0(VALU_DEP_1) | instskip(NEXT) | instid1(VALU_DEP_1)
	v_div_fmas_f32 v135, v135, v143, v144
	v_div_fixup_f32 v135, v135, v136, v137
	s_delay_alu instid0(VALU_DEP_1) | instskip(NEXT) | instid1(VALU_DEP_1)
	v_fmac_f32_e32 v136, v137, v135
	v_div_scale_f32 v137, null, v136, v136, 1.0
	s_delay_alu instid0(VALU_DEP_1) | instskip(SKIP_1) | instid1(TRANS32_DEP_1)
	v_rcp_f32_e32 v143, v137
	v_nop
	v_fma_f32 v144, -v137, v143, 1.0
	s_delay_alu instid0(VALU_DEP_1) | instskip(SKIP_1) | instid1(VALU_DEP_1)
	v_fmac_f32_e32 v143, v144, v143
	v_div_scale_f32 v144, vcc_lo, 1.0, v136, 1.0
	v_mul_f32_e32 v145, v144, v143
	s_delay_alu instid0(VALU_DEP_1) | instskip(NEXT) | instid1(VALU_DEP_1)
	v_fma_f32 v146, -v137, v145, v144
	v_fmac_f32_e32 v145, v146, v143
	s_delay_alu instid0(VALU_DEP_1) | instskip(NEXT) | instid1(VALU_DEP_1)
	v_fma_f32 v137, -v137, v145, v144
	v_div_fmas_f32 v137, v137, v143, v145
	s_delay_alu instid0(VALU_DEP_1) | instskip(NEXT) | instid1(VALU_DEP_1)
	v_div_fixup_f32 v136, v137, v136, 1.0
	v_mul_f32_e64 v137, v135, -v136
.LBB126_387:
	s_or_b32 exec_lo, exec_lo, s1
.LBB126_388:
	s_delay_alu instid0(SALU_CYCLE_1) | instskip(NEXT) | instid1(SALU_CYCLE_1)
	s_or_b32 exec_lo, exec_lo, s0
	s_mov_b32 s0, exec_lo
	v_cmpx_ne_u32_e64 v142, v134
	s_xor_b32 s0, exec_lo, s0
	s_cbranch_execz .LBB126_394
; %bb.389:
	s_mov_b32 s1, exec_lo
	v_cmpx_eq_u32_e32 18, v142
	s_cbranch_execz .LBB126_393
; %bb.390:
	v_cmp_ne_u32_e32 vcc_lo, 18, v134
	s_xor_b32 s12, s16, -1
	s_delay_alu instid0(SALU_CYCLE_1) | instskip(NEXT) | instid1(SALU_CYCLE_1)
	s_and_b32 s13, s12, vcc_lo
	s_and_saveexec_b32 s12, s13
	s_cbranch_execz .LBB126_392
; %bb.391:
	v_ashrrev_i32_e32 v135, 31, v134
	s_delay_alu instid0(VALU_DEP_1)
	v_lshl_add_u64 v[142:143], v[134:135], 2, v[4:5]
	s_clause 0x1
	global_load_b32 v135, v[142:143], off
	global_load_b32 v141, v[4:5], off offset:72
	s_wait_loadcnt 0x1
	global_store_b32 v[4:5], v135, off offset:72
	s_wait_loadcnt 0x0
	global_store_b32 v[142:143], v141, off
.LBB126_392:
	s_wait_xcnt 0x0
	s_or_b32 exec_lo, exec_lo, s12
	v_dual_mov_b32 v142, v134 :: v_dual_mov_b32 v141, v134
.LBB126_393:
	s_or_b32 exec_lo, exec_lo, s1
.LBB126_394:
	s_and_not1_saveexec_b32 s0, s0
	s_cbranch_execz .LBB126_396
; %bb.395:
	v_mov_b32_e32 v142, 18
	ds_store_2addr_b64 v138, v[38:39], v[98:99] offset0:19 offset1:20
	ds_store_2addr_b64 v138, v[94:95], v[96:97] offset0:21 offset1:22
	;; [unrolled: 1-line block ×22, first 2 shown]
	ds_store_b64 v138, v[132:133] offset:504
.LBB126_396:
	s_or_b32 exec_lo, exec_lo, s0
	s_delay_alu instid0(SALU_CYCLE_1)
	s_mov_b32 s0, exec_lo
	s_wait_storecnt_dscnt 0x0
	s_barrier_signal -1
	s_barrier_wait -1
	v_cmpx_lt_i32_e32 18, v142
	s_cbranch_execz .LBB126_398
; %bb.397:
	v_pk_mul_f32 v[144:145], v[136:137], v[102:103] op_sel:[1,1] op_sel_hi:[0,1]
	s_delay_alu instid0(VALU_DEP_1)
	v_pk_fma_f32 v[134:135], v[136:137], v[102:103], v[144:145] op_sel_hi:[1,0,1] neg_lo:[0,0,1] neg_hi:[0,0,1]
	v_pk_fma_f32 v[136:137], v[136:137], v[102:103], v[144:145] op_sel_hi:[1,0,1]
	ds_load_2addr_b64 v[144:147], v138 offset0:19 offset1:20
	v_dual_mov_b32 v102, v134 :: v_dual_mov_b32 v103, v137
	s_wait_dscnt 0x0
	v_pk_mul_f32 v[148:149], v[144:145], v[136:137] op_sel:[0,1]
	s_delay_alu instid0(VALU_DEP_1) | instskip(SKIP_1) | instid1(VALU_DEP_1)
	v_pk_fma_f32 v[150:151], v[144:145], v[134:135], v[148:149] op_sel:[0,0,1] op_sel_hi:[1,1,0] neg_lo:[0,0,1] neg_hi:[0,0,1]
	v_pk_fma_f32 v[144:145], v[144:145], v[134:135], v[148:149] op_sel:[0,0,1] op_sel_hi:[1,0,0]
	v_mov_b32_e32 v151, v145
	v_pk_mul_f32 v[144:145], v[146:147], v[136:137] op_sel:[0,1]
	s_delay_alu instid0(VALU_DEP_1) | instskip(SKIP_1) | instid1(VALU_DEP_1)
	v_pk_fma_f32 v[148:149], v[146:147], v[134:135], v[144:145] op_sel:[0,0,1] op_sel_hi:[1,1,0] neg_lo:[0,0,1] neg_hi:[0,0,1]
	v_pk_fma_f32 v[144:145], v[146:147], v[134:135], v[144:145] op_sel:[0,0,1] op_sel_hi:[1,0,0]
	v_mov_b32_e32 v149, v145
	ds_load_2addr_b64 v[144:147], v138 offset0:21 offset1:22
	v_pk_add_f32 v[38:39], v[38:39], v[150:151] neg_lo:[0,1] neg_hi:[0,1]
	v_pk_add_f32 v[98:99], v[98:99], v[148:149] neg_lo:[0,1] neg_hi:[0,1]
	s_wait_dscnt 0x0
	v_pk_mul_f32 v[148:149], v[144:145], v[136:137] op_sel:[0,1]
	s_delay_alu instid0(VALU_DEP_1) | instskip(SKIP_2) | instid1(VALU_DEP_2)
	v_pk_fma_f32 v[150:151], v[144:145], v[134:135], v[148:149] op_sel:[0,0,1] op_sel_hi:[1,1,0] neg_lo:[0,0,1] neg_hi:[0,0,1]
	v_pk_fma_f32 v[144:145], v[144:145], v[134:135], v[148:149] op_sel:[0,0,1] op_sel_hi:[1,0,0]
	v_dual_mul_f32 v148, v147, v137 :: v_dual_mov_b32 v144, v147
	v_dual_mov_b32 v151, v145 :: v_dual_mov_b32 v145, v146
	s_delay_alu instid0(VALU_DEP_2) | instskip(SKIP_1) | instid1(VALU_DEP_3)
	v_pk_fma_f32 v[148:149], v[146:147], v[102:103], v[148:149] op_sel_hi:[1,1,0] neg_lo:[0,0,1] neg_hi:[0,0,1]
	v_mul_f32_e32 v146, v147, v134
	v_pk_add_f32 v[94:95], v[94:95], v[150:151] neg_lo:[0,1] neg_hi:[0,1]
	s_delay_alu instid0(VALU_DEP_2) | instskip(NEXT) | instid1(VALU_DEP_1)
	v_pk_fma_f32 v[144:145], v[144:145], v[102:103], v[146:147] op_sel_hi:[1,1,0]
	v_mov_b32_e32 v149, v145
	ds_load_2addr_b64 v[144:147], v138 offset0:23 offset1:24
	v_pk_add_f32 v[96:97], v[96:97], v[148:149] neg_lo:[0,1] neg_hi:[0,1]
	s_wait_dscnt 0x0
	v_pk_mul_f32 v[148:149], v[144:145], v[136:137] op_sel:[0,1]
	s_delay_alu instid0(VALU_DEP_1) | instskip(SKIP_1) | instid1(VALU_DEP_1)
	v_pk_fma_f32 v[150:151], v[144:145], v[134:135], v[148:149] op_sel:[0,0,1] op_sel_hi:[1,1,0] neg_lo:[0,0,1] neg_hi:[0,0,1]
	v_pk_fma_f32 v[144:145], v[144:145], v[134:135], v[148:149] op_sel:[0,0,1] op_sel_hi:[1,0,0]
	v_mov_b32_e32 v151, v145
	v_pk_mul_f32 v[144:145], v[146:147], v[136:137] op_sel:[0,1]
	s_delay_alu instid0(VALU_DEP_1) | instskip(SKIP_1) | instid1(VALU_DEP_1)
	v_pk_fma_f32 v[148:149], v[146:147], v[134:135], v[144:145] op_sel:[0,0,1] op_sel_hi:[1,1,0] neg_lo:[0,0,1] neg_hi:[0,0,1]
	v_pk_fma_f32 v[144:145], v[146:147], v[134:135], v[144:145] op_sel:[0,0,1] op_sel_hi:[1,0,0]
	v_mov_b32_e32 v149, v145
	ds_load_2addr_b64 v[144:147], v138 offset0:25 offset1:26
	v_pk_add_f32 v[36:37], v[36:37], v[150:151] neg_lo:[0,1] neg_hi:[0,1]
	v_pk_add_f32 v[92:93], v[92:93], v[148:149] neg_lo:[0,1] neg_hi:[0,1]
	s_wait_dscnt 0x0
	v_pk_mul_f32 v[148:149], v[144:145], v[136:137] op_sel:[0,1]
	s_delay_alu instid0(VALU_DEP_1) | instskip(SKIP_1) | instid1(VALU_DEP_1)
	v_pk_fma_f32 v[150:151], v[144:145], v[134:135], v[148:149] op_sel:[0,0,1] op_sel_hi:[1,1,0] neg_lo:[0,0,1] neg_hi:[0,0,1]
	v_pk_fma_f32 v[144:145], v[144:145], v[134:135], v[148:149] op_sel:[0,0,1] op_sel_hi:[1,0,0]
	v_mov_b32_e32 v151, v145
	v_pk_mul_f32 v[144:145], v[146:147], v[136:137] op_sel:[0,1]
	s_delay_alu instid0(VALU_DEP_1) | instskip(SKIP_1) | instid1(VALU_DEP_1)
	v_pk_fma_f32 v[148:149], v[146:147], v[134:135], v[144:145] op_sel:[0,0,1] op_sel_hi:[1,1,0] neg_lo:[0,0,1] neg_hi:[0,0,1]
	v_pk_fma_f32 v[144:145], v[146:147], v[134:135], v[144:145] op_sel:[0,0,1] op_sel_hi:[1,0,0]
	v_mov_b32_e32 v149, v145
	ds_load_2addr_b64 v[144:147], v138 offset0:27 offset1:28
	v_pk_add_f32 v[88:89], v[88:89], v[150:151] neg_lo:[0,1] neg_hi:[0,1]
	v_pk_add_f32 v[90:91], v[90:91], v[148:149] neg_lo:[0,1] neg_hi:[0,1]
	s_wait_dscnt 0x0
	v_dual_mul_f32 v148, v145, v137 :: v_dual_mul_f32 v150, v145, v134
	s_delay_alu instid0(VALU_DEP_1) | instskip(NEXT) | instid1(VALU_DEP_2)
	v_pk_fma_f32 v[148:149], v[144:145], v[102:103], v[148:149] op_sel_hi:[1,1,0] neg_lo:[0,0,1] neg_hi:[0,0,1]
	v_pk_fma_f32 v[144:145], v[144:145], v[102:103], v[150:151] op_sel:[1,0,0] op_sel_hi:[0,1,0]
	s_delay_alu instid0(VALU_DEP_1) | instskip(SKIP_1) | instid1(VALU_DEP_2)
	v_mov_b32_e32 v149, v145
	v_pk_mul_f32 v[144:145], v[146:147], v[136:137] op_sel:[0,1]
	v_pk_add_f32 v[34:35], v[34:35], v[148:149] neg_lo:[0,1] neg_hi:[0,1]
	s_delay_alu instid0(VALU_DEP_2) | instskip(SKIP_1) | instid1(VALU_DEP_1)
	v_pk_fma_f32 v[148:149], v[146:147], v[134:135], v[144:145] op_sel:[0,0,1] op_sel_hi:[1,1,0] neg_lo:[0,0,1] neg_hi:[0,0,1]
	v_pk_fma_f32 v[144:145], v[146:147], v[134:135], v[144:145] op_sel:[0,0,1] op_sel_hi:[1,0,0]
	v_mov_b32_e32 v149, v145
	ds_load_2addr_b64 v[144:147], v138 offset0:29 offset1:30
	v_pk_add_f32 v[86:87], v[86:87], v[148:149] neg_lo:[0,1] neg_hi:[0,1]
	s_wait_dscnt 0x0
	v_pk_mul_f32 v[148:149], v[144:145], v[136:137] op_sel:[0,1]
	s_delay_alu instid0(VALU_DEP_1) | instskip(SKIP_1) | instid1(VALU_DEP_1)
	v_pk_fma_f32 v[150:151], v[144:145], v[134:135], v[148:149] op_sel:[0,0,1] op_sel_hi:[1,1,0] neg_lo:[0,0,1] neg_hi:[0,0,1]
	v_pk_fma_f32 v[144:145], v[144:145], v[134:135], v[148:149] op_sel:[0,0,1] op_sel_hi:[1,0,0]
	v_mov_b32_e32 v151, v145
	v_pk_mul_f32 v[144:145], v[146:147], v[136:137] op_sel:[0,1]
	s_delay_alu instid0(VALU_DEP_2) | instskip(NEXT) | instid1(VALU_DEP_2)
	v_pk_add_f32 v[82:83], v[82:83], v[150:151] neg_lo:[0,1] neg_hi:[0,1]
	v_pk_fma_f32 v[148:149], v[146:147], v[134:135], v[144:145] op_sel:[0,0,1] op_sel_hi:[1,1,0] neg_lo:[0,0,1] neg_hi:[0,0,1]
	v_pk_fma_f32 v[144:145], v[146:147], v[134:135], v[144:145] op_sel:[0,0,1] op_sel_hi:[1,0,0]
	s_delay_alu instid0(VALU_DEP_1) | instskip(SKIP_4) | instid1(VALU_DEP_1)
	v_mov_b32_e32 v149, v145
	ds_load_2addr_b64 v[144:147], v138 offset0:31 offset1:32
	v_pk_add_f32 v[84:85], v[84:85], v[148:149] neg_lo:[0,1] neg_hi:[0,1]
	s_wait_dscnt 0x0
	v_pk_mul_f32 v[148:149], v[144:145], v[136:137] op_sel:[0,1]
	v_pk_fma_f32 v[150:151], v[144:145], v[134:135], v[148:149] op_sel:[0,0,1] op_sel_hi:[1,1,0] neg_lo:[0,0,1] neg_hi:[0,0,1]
	v_pk_fma_f32 v[144:145], v[144:145], v[134:135], v[148:149] op_sel:[0,0,1] op_sel_hi:[1,0,0]
	v_dual_mul_f32 v148, v147, v137 :: v_dual_mov_b32 v144, v147
	s_delay_alu instid0(VALU_DEP_2) | instskip(NEXT) | instid1(VALU_DEP_2)
	v_dual_mov_b32 v151, v145 :: v_dual_mov_b32 v145, v146
	v_pk_fma_f32 v[148:149], v[146:147], v[102:103], v[148:149] op_sel_hi:[1,1,0] neg_lo:[0,0,1] neg_hi:[0,0,1]
	v_mul_f32_e32 v146, v147, v134
	s_delay_alu instid0(VALU_DEP_3) | instskip(NEXT) | instid1(VALU_DEP_2)
	v_pk_add_f32 v[26:27], v[26:27], v[150:151] neg_lo:[0,1] neg_hi:[0,1]
	v_pk_fma_f32 v[144:145], v[144:145], v[102:103], v[146:147] op_sel_hi:[1,1,0]
	s_delay_alu instid0(VALU_DEP_1) | instskip(SKIP_4) | instid1(VALU_DEP_1)
	v_mov_b32_e32 v149, v145
	ds_load_2addr_b64 v[144:147], v138 offset0:33 offset1:34
	v_pk_add_f32 v[80:81], v[80:81], v[148:149] neg_lo:[0,1] neg_hi:[0,1]
	s_wait_dscnt 0x0
	v_pk_mul_f32 v[148:149], v[144:145], v[136:137] op_sel:[0,1]
	v_pk_fma_f32 v[150:151], v[144:145], v[134:135], v[148:149] op_sel:[0,0,1] op_sel_hi:[1,1,0] neg_lo:[0,0,1] neg_hi:[0,0,1]
	v_pk_fma_f32 v[144:145], v[144:145], v[134:135], v[148:149] op_sel:[0,0,1] op_sel_hi:[1,0,0]
	s_delay_alu instid0(VALU_DEP_1) | instskip(SKIP_1) | instid1(VALU_DEP_1)
	v_mov_b32_e32 v151, v145
	v_pk_mul_f32 v[144:145], v[146:147], v[136:137] op_sel:[0,1]
	v_pk_fma_f32 v[148:149], v[146:147], v[134:135], v[144:145] op_sel:[0,0,1] op_sel_hi:[1,1,0] neg_lo:[0,0,1] neg_hi:[0,0,1]
	v_pk_fma_f32 v[144:145], v[146:147], v[134:135], v[144:145] op_sel:[0,0,1] op_sel_hi:[1,0,0]
	s_delay_alu instid0(VALU_DEP_1)
	v_mov_b32_e32 v149, v145
	ds_load_2addr_b64 v[144:147], v138 offset0:35 offset1:36
	v_pk_add_f32 v[76:77], v[76:77], v[150:151] neg_lo:[0,1] neg_hi:[0,1]
	v_pk_add_f32 v[78:79], v[78:79], v[148:149] neg_lo:[0,1] neg_hi:[0,1]
	s_wait_dscnt 0x0
	v_pk_mul_f32 v[148:149], v[144:145], v[136:137] op_sel:[0,1]
	s_delay_alu instid0(VALU_DEP_1) | instskip(SKIP_1) | instid1(VALU_DEP_1)
	v_pk_fma_f32 v[150:151], v[144:145], v[134:135], v[148:149] op_sel:[0,0,1] op_sel_hi:[1,1,0] neg_lo:[0,0,1] neg_hi:[0,0,1]
	v_pk_fma_f32 v[144:145], v[144:145], v[134:135], v[148:149] op_sel:[0,0,1] op_sel_hi:[1,0,0]
	v_mov_b32_e32 v151, v145
	v_pk_mul_f32 v[144:145], v[146:147], v[136:137] op_sel:[0,1]
	s_delay_alu instid0(VALU_DEP_1) | instskip(SKIP_1) | instid1(VALU_DEP_1)
	v_pk_fma_f32 v[148:149], v[146:147], v[134:135], v[144:145] op_sel:[0,0,1] op_sel_hi:[1,1,0] neg_lo:[0,0,1] neg_hi:[0,0,1]
	v_pk_fma_f32 v[144:145], v[146:147], v[134:135], v[144:145] op_sel:[0,0,1] op_sel_hi:[1,0,0]
	v_mov_b32_e32 v149, v145
	ds_load_2addr_b64 v[144:147], v138 offset0:37 offset1:38
	v_pk_add_f32 v[24:25], v[24:25], v[150:151] neg_lo:[0,1] neg_hi:[0,1]
	v_pk_add_f32 v[74:75], v[74:75], v[148:149] neg_lo:[0,1] neg_hi:[0,1]
	s_wait_dscnt 0x0
	v_dual_mul_f32 v148, v145, v137 :: v_dual_mul_f32 v150, v145, v134
	s_delay_alu instid0(VALU_DEP_1) | instskip(NEXT) | instid1(VALU_DEP_2)
	v_pk_fma_f32 v[148:149], v[144:145], v[102:103], v[148:149] op_sel_hi:[1,1,0] neg_lo:[0,0,1] neg_hi:[0,0,1]
	v_pk_fma_f32 v[144:145], v[144:145], v[102:103], v[150:151] op_sel:[1,0,0] op_sel_hi:[0,1,0]
	s_delay_alu instid0(VALU_DEP_1) | instskip(SKIP_1) | instid1(VALU_DEP_2)
	v_mov_b32_e32 v149, v145
	v_pk_mul_f32 v[144:145], v[146:147], v[136:137] op_sel:[0,1]
	v_pk_add_f32 v[70:71], v[70:71], v[148:149] neg_lo:[0,1] neg_hi:[0,1]
	s_delay_alu instid0(VALU_DEP_2) | instskip(SKIP_1) | instid1(VALU_DEP_1)
	v_pk_fma_f32 v[148:149], v[146:147], v[134:135], v[144:145] op_sel:[0,0,1] op_sel_hi:[1,1,0] neg_lo:[0,0,1] neg_hi:[0,0,1]
	v_pk_fma_f32 v[144:145], v[146:147], v[134:135], v[144:145] op_sel:[0,0,1] op_sel_hi:[1,0,0]
	v_mov_b32_e32 v149, v145
	ds_load_2addr_b64 v[144:147], v138 offset0:39 offset1:40
	v_pk_add_f32 v[72:73], v[72:73], v[148:149] neg_lo:[0,1] neg_hi:[0,1]
	s_wait_dscnt 0x0
	v_pk_mul_f32 v[148:149], v[144:145], v[136:137] op_sel:[0,1]
	s_delay_alu instid0(VALU_DEP_1) | instskip(SKIP_1) | instid1(VALU_DEP_1)
	v_pk_fma_f32 v[150:151], v[144:145], v[134:135], v[148:149] op_sel:[0,0,1] op_sel_hi:[1,1,0] neg_lo:[0,0,1] neg_hi:[0,0,1]
	v_pk_fma_f32 v[144:145], v[144:145], v[134:135], v[148:149] op_sel:[0,0,1] op_sel_hi:[1,0,0]
	v_mov_b32_e32 v151, v145
	v_pk_mul_f32 v[144:145], v[146:147], v[136:137] op_sel:[0,1]
	s_delay_alu instid0(VALU_DEP_2) | instskip(NEXT) | instid1(VALU_DEP_2)
	v_pk_add_f32 v[22:23], v[22:23], v[150:151] neg_lo:[0,1] neg_hi:[0,1]
	v_pk_fma_f32 v[148:149], v[146:147], v[134:135], v[144:145] op_sel:[0,0,1] op_sel_hi:[1,1,0] neg_lo:[0,0,1] neg_hi:[0,0,1]
	v_pk_fma_f32 v[144:145], v[146:147], v[134:135], v[144:145] op_sel:[0,0,1] op_sel_hi:[1,0,0]
	s_delay_alu instid0(VALU_DEP_1) | instskip(SKIP_4) | instid1(VALU_DEP_1)
	v_mov_b32_e32 v149, v145
	ds_load_2addr_b64 v[144:147], v138 offset0:41 offset1:42
	v_pk_add_f32 v[68:69], v[68:69], v[148:149] neg_lo:[0,1] neg_hi:[0,1]
	s_wait_dscnt 0x0
	v_pk_mul_f32 v[148:149], v[144:145], v[136:137] op_sel:[0,1]
	v_pk_fma_f32 v[150:151], v[144:145], v[134:135], v[148:149] op_sel:[0,0,1] op_sel_hi:[1,1,0] neg_lo:[0,0,1] neg_hi:[0,0,1]
	v_pk_fma_f32 v[144:145], v[144:145], v[134:135], v[148:149] op_sel:[0,0,1] op_sel_hi:[1,0,0]
	v_dual_mul_f32 v148, v147, v137 :: v_dual_mov_b32 v144, v147
	s_delay_alu instid0(VALU_DEP_2) | instskip(NEXT) | instid1(VALU_DEP_2)
	v_dual_mov_b32 v151, v145 :: v_dual_mov_b32 v145, v146
	v_pk_fma_f32 v[148:149], v[146:147], v[102:103], v[148:149] op_sel_hi:[1,1,0] neg_lo:[0,0,1] neg_hi:[0,0,1]
	v_mul_f32_e32 v146, v147, v134
	s_delay_alu instid0(VALU_DEP_3) | instskip(NEXT) | instid1(VALU_DEP_2)
	v_pk_add_f32 v[64:65], v[64:65], v[150:151] neg_lo:[0,1] neg_hi:[0,1]
	v_pk_fma_f32 v[144:145], v[144:145], v[102:103], v[146:147] op_sel_hi:[1,1,0]
	s_delay_alu instid0(VALU_DEP_1) | instskip(SKIP_4) | instid1(VALU_DEP_1)
	v_mov_b32_e32 v149, v145
	ds_load_2addr_b64 v[144:147], v138 offset0:43 offset1:44
	v_pk_add_f32 v[66:67], v[66:67], v[148:149] neg_lo:[0,1] neg_hi:[0,1]
	s_wait_dscnt 0x0
	v_pk_mul_f32 v[148:149], v[144:145], v[136:137] op_sel:[0,1]
	v_pk_fma_f32 v[150:151], v[144:145], v[134:135], v[148:149] op_sel:[0,0,1] op_sel_hi:[1,1,0] neg_lo:[0,0,1] neg_hi:[0,0,1]
	v_pk_fma_f32 v[144:145], v[144:145], v[134:135], v[148:149] op_sel:[0,0,1] op_sel_hi:[1,0,0]
	s_delay_alu instid0(VALU_DEP_1) | instskip(SKIP_1) | instid1(VALU_DEP_1)
	v_mov_b32_e32 v151, v145
	v_pk_mul_f32 v[144:145], v[146:147], v[136:137] op_sel:[0,1]
	v_pk_fma_f32 v[148:149], v[146:147], v[134:135], v[144:145] op_sel:[0,0,1] op_sel_hi:[1,1,0] neg_lo:[0,0,1] neg_hi:[0,0,1]
	v_pk_fma_f32 v[144:145], v[146:147], v[134:135], v[144:145] op_sel:[0,0,1] op_sel_hi:[1,0,0]
	s_delay_alu instid0(VALU_DEP_1)
	v_mov_b32_e32 v149, v145
	ds_load_2addr_b64 v[144:147], v138 offset0:45 offset1:46
	v_pk_add_f32 v[18:19], v[18:19], v[150:151] neg_lo:[0,1] neg_hi:[0,1]
	v_pk_add_f32 v[60:61], v[60:61], v[148:149] neg_lo:[0,1] neg_hi:[0,1]
	s_wait_dscnt 0x0
	v_pk_mul_f32 v[148:149], v[144:145], v[136:137] op_sel:[0,1]
	s_delay_alu instid0(VALU_DEP_1) | instskip(SKIP_1) | instid1(VALU_DEP_1)
	v_pk_fma_f32 v[150:151], v[144:145], v[134:135], v[148:149] op_sel:[0,0,1] op_sel_hi:[1,1,0] neg_lo:[0,0,1] neg_hi:[0,0,1]
	v_pk_fma_f32 v[144:145], v[144:145], v[134:135], v[148:149] op_sel:[0,0,1] op_sel_hi:[1,0,0]
	v_mov_b32_e32 v151, v145
	v_pk_mul_f32 v[144:145], v[146:147], v[136:137] op_sel:[0,1]
	s_delay_alu instid0(VALU_DEP_1) | instskip(SKIP_1) | instid1(VALU_DEP_1)
	v_pk_fma_f32 v[148:149], v[146:147], v[134:135], v[144:145] op_sel:[0,0,1] op_sel_hi:[1,1,0] neg_lo:[0,0,1] neg_hi:[0,0,1]
	v_pk_fma_f32 v[144:145], v[146:147], v[134:135], v[144:145] op_sel:[0,0,1] op_sel_hi:[1,0,0]
	v_mov_b32_e32 v149, v145
	ds_load_2addr_b64 v[144:147], v138 offset0:47 offset1:48
	v_pk_add_f32 v[56:57], v[56:57], v[150:151] neg_lo:[0,1] neg_hi:[0,1]
	v_pk_add_f32 v[58:59], v[58:59], v[148:149] neg_lo:[0,1] neg_hi:[0,1]
	s_wait_dscnt 0x0
	v_dual_mul_f32 v148, v145, v137 :: v_dual_mul_f32 v150, v145, v134
	s_delay_alu instid0(VALU_DEP_1) | instskip(NEXT) | instid1(VALU_DEP_2)
	v_pk_fma_f32 v[148:149], v[144:145], v[102:103], v[148:149] op_sel_hi:[1,1,0] neg_lo:[0,0,1] neg_hi:[0,0,1]
	v_pk_fma_f32 v[144:145], v[144:145], v[102:103], v[150:151] op_sel:[1,0,0] op_sel_hi:[0,1,0]
	s_delay_alu instid0(VALU_DEP_1) | instskip(SKIP_1) | instid1(VALU_DEP_2)
	v_mov_b32_e32 v149, v145
	v_pk_mul_f32 v[144:145], v[146:147], v[136:137] op_sel:[0,1]
	v_pk_add_f32 v[12:13], v[12:13], v[148:149] neg_lo:[0,1] neg_hi:[0,1]
	s_delay_alu instid0(VALU_DEP_2) | instskip(SKIP_1) | instid1(VALU_DEP_1)
	v_pk_fma_f32 v[148:149], v[146:147], v[134:135], v[144:145] op_sel:[0,0,1] op_sel_hi:[1,1,0] neg_lo:[0,0,1] neg_hi:[0,0,1]
	v_pk_fma_f32 v[144:145], v[146:147], v[134:135], v[144:145] op_sel:[0,0,1] op_sel_hi:[1,0,0]
	v_mov_b32_e32 v149, v145
	ds_load_2addr_b64 v[144:147], v138 offset0:49 offset1:50
	v_pk_add_f32 v[54:55], v[54:55], v[148:149] neg_lo:[0,1] neg_hi:[0,1]
	s_wait_dscnt 0x0
	v_pk_mul_f32 v[148:149], v[144:145], v[136:137] op_sel:[0,1]
	s_delay_alu instid0(VALU_DEP_1) | instskip(SKIP_1) | instid1(VALU_DEP_1)
	v_pk_fma_f32 v[150:151], v[144:145], v[134:135], v[148:149] op_sel:[0,0,1] op_sel_hi:[1,1,0] neg_lo:[0,0,1] neg_hi:[0,0,1]
	v_pk_fma_f32 v[144:145], v[144:145], v[134:135], v[148:149] op_sel:[0,0,1] op_sel_hi:[1,0,0]
	v_mov_b32_e32 v151, v145
	v_pk_mul_f32 v[144:145], v[146:147], v[136:137] op_sel:[0,1]
	s_delay_alu instid0(VALU_DEP_2) | instskip(NEXT) | instid1(VALU_DEP_2)
	v_pk_add_f32 v[52:53], v[52:53], v[150:151] neg_lo:[0,1] neg_hi:[0,1]
	v_pk_fma_f32 v[148:149], v[146:147], v[134:135], v[144:145] op_sel:[0,0,1] op_sel_hi:[1,1,0] neg_lo:[0,0,1] neg_hi:[0,0,1]
	v_pk_fma_f32 v[144:145], v[146:147], v[134:135], v[144:145] op_sel:[0,0,1] op_sel_hi:[1,0,0]
	s_delay_alu instid0(VALU_DEP_1) | instskip(SKIP_4) | instid1(VALU_DEP_1)
	v_mov_b32_e32 v149, v145
	ds_load_2addr_b64 v[144:147], v138 offset0:51 offset1:52
	v_pk_add_f32 v[62:63], v[62:63], v[148:149] neg_lo:[0,1] neg_hi:[0,1]
	s_wait_dscnt 0x0
	v_pk_mul_f32 v[148:149], v[144:145], v[136:137] op_sel:[0,1]
	v_pk_fma_f32 v[150:151], v[144:145], v[134:135], v[148:149] op_sel:[0,0,1] op_sel_hi:[1,1,0] neg_lo:[0,0,1] neg_hi:[0,0,1]
	v_pk_fma_f32 v[144:145], v[144:145], v[134:135], v[148:149] op_sel:[0,0,1] op_sel_hi:[1,0,0]
	v_dual_mul_f32 v148, v147, v137 :: v_dual_mov_b32 v144, v147
	s_delay_alu instid0(VALU_DEP_2) | instskip(NEXT) | instid1(VALU_DEP_2)
	v_dual_mov_b32 v151, v145 :: v_dual_mov_b32 v145, v146
	v_pk_fma_f32 v[148:149], v[146:147], v[102:103], v[148:149] op_sel_hi:[1,1,0] neg_lo:[0,0,1] neg_hi:[0,0,1]
	v_mul_f32_e32 v146, v147, v134
	s_delay_alu instid0(VALU_DEP_3) | instskip(NEXT) | instid1(VALU_DEP_2)
	v_pk_add_f32 v[16:17], v[16:17], v[150:151] neg_lo:[0,1] neg_hi:[0,1]
	v_pk_fma_f32 v[144:145], v[144:145], v[102:103], v[146:147] op_sel_hi:[1,1,0]
	s_delay_alu instid0(VALU_DEP_1) | instskip(SKIP_4) | instid1(VALU_DEP_1)
	v_mov_b32_e32 v149, v145
	ds_load_2addr_b64 v[144:147], v138 offset0:53 offset1:54
	v_pk_add_f32 v[48:49], v[48:49], v[148:149] neg_lo:[0,1] neg_hi:[0,1]
	s_wait_dscnt 0x0
	v_pk_mul_f32 v[148:149], v[144:145], v[136:137] op_sel:[0,1]
	v_pk_fma_f32 v[150:151], v[144:145], v[134:135], v[148:149] op_sel:[0,0,1] op_sel_hi:[1,1,0] neg_lo:[0,0,1] neg_hi:[0,0,1]
	v_pk_fma_f32 v[144:145], v[144:145], v[134:135], v[148:149] op_sel:[0,0,1] op_sel_hi:[1,0,0]
	s_delay_alu instid0(VALU_DEP_1) | instskip(SKIP_1) | instid1(VALU_DEP_1)
	v_mov_b32_e32 v151, v145
	v_pk_mul_f32 v[144:145], v[146:147], v[136:137] op_sel:[0,1]
	v_pk_fma_f32 v[148:149], v[146:147], v[134:135], v[144:145] op_sel:[0,0,1] op_sel_hi:[1,1,0] neg_lo:[0,0,1] neg_hi:[0,0,1]
	v_pk_fma_f32 v[144:145], v[146:147], v[134:135], v[144:145] op_sel:[0,0,1] op_sel_hi:[1,0,0]
	s_delay_alu instid0(VALU_DEP_1)
	v_mov_b32_e32 v149, v145
	ds_load_2addr_b64 v[144:147], v138 offset0:55 offset1:56
	v_pk_add_f32 v[42:43], v[42:43], v[150:151] neg_lo:[0,1] neg_hi:[0,1]
	v_pk_add_f32 v[46:47], v[46:47], v[148:149] neg_lo:[0,1] neg_hi:[0,1]
	s_wait_dscnt 0x0
	v_pk_mul_f32 v[148:149], v[144:145], v[136:137] op_sel:[0,1]
	s_delay_alu instid0(VALU_DEP_1) | instskip(SKIP_1) | instid1(VALU_DEP_1)
	v_pk_fma_f32 v[150:151], v[144:145], v[134:135], v[148:149] op_sel:[0,0,1] op_sel_hi:[1,1,0] neg_lo:[0,0,1] neg_hi:[0,0,1]
	v_pk_fma_f32 v[144:145], v[144:145], v[134:135], v[148:149] op_sel:[0,0,1] op_sel_hi:[1,0,0]
	v_mov_b32_e32 v151, v145
	v_pk_mul_f32 v[144:145], v[146:147], v[136:137] op_sel:[0,1]
	s_delay_alu instid0(VALU_DEP_1) | instskip(SKIP_1) | instid1(VALU_DEP_1)
	v_pk_fma_f32 v[148:149], v[146:147], v[134:135], v[144:145] op_sel:[0,0,1] op_sel_hi:[1,1,0] neg_lo:[0,0,1] neg_hi:[0,0,1]
	v_pk_fma_f32 v[144:145], v[146:147], v[134:135], v[144:145] op_sel:[0,0,1] op_sel_hi:[1,0,0]
	v_mov_b32_e32 v149, v145
	ds_load_2addr_b64 v[144:147], v138 offset0:57 offset1:58
	v_pk_add_f32 v[8:9], v[8:9], v[150:151] neg_lo:[0,1] neg_hi:[0,1]
	v_pk_add_f32 v[32:33], v[32:33], v[148:149] neg_lo:[0,1] neg_hi:[0,1]
	s_wait_dscnt 0x0
	v_dual_mul_f32 v148, v145, v137 :: v_dual_mul_f32 v150, v145, v134
	s_delay_alu instid0(VALU_DEP_1) | instskip(NEXT) | instid1(VALU_DEP_2)
	v_pk_fma_f32 v[148:149], v[144:145], v[102:103], v[148:149] op_sel_hi:[1,1,0] neg_lo:[0,0,1] neg_hi:[0,0,1]
	v_pk_fma_f32 v[144:145], v[144:145], v[102:103], v[150:151] op_sel:[1,0,0] op_sel_hi:[0,1,0]
	s_delay_alu instid0(VALU_DEP_1) | instskip(SKIP_1) | instid1(VALU_DEP_2)
	v_mov_b32_e32 v149, v145
	v_pk_mul_f32 v[144:145], v[146:147], v[136:137] op_sel:[0,1]
	v_pk_add_f32 v[28:29], v[28:29], v[148:149] neg_lo:[0,1] neg_hi:[0,1]
	s_delay_alu instid0(VALU_DEP_2) | instskip(SKIP_1) | instid1(VALU_DEP_1)
	v_pk_fma_f32 v[148:149], v[146:147], v[134:135], v[144:145] op_sel:[0,0,1] op_sel_hi:[1,1,0] neg_lo:[0,0,1] neg_hi:[0,0,1]
	v_pk_fma_f32 v[144:145], v[146:147], v[134:135], v[144:145] op_sel:[0,0,1] op_sel_hi:[1,0,0]
	v_mov_b32_e32 v149, v145
	ds_load_2addr_b64 v[144:147], v138 offset0:59 offset1:60
	v_pk_add_f32 v[30:31], v[30:31], v[148:149] neg_lo:[0,1] neg_hi:[0,1]
	s_wait_dscnt 0x0
	v_pk_mul_f32 v[148:149], v[144:145], v[136:137] op_sel:[0,1]
	s_delay_alu instid0(VALU_DEP_1) | instskip(SKIP_1) | instid1(VALU_DEP_1)
	v_pk_fma_f32 v[150:151], v[144:145], v[134:135], v[148:149] op_sel:[0,0,1] op_sel_hi:[1,1,0] neg_lo:[0,0,1] neg_hi:[0,0,1]
	v_pk_fma_f32 v[144:145], v[144:145], v[134:135], v[148:149] op_sel:[0,0,1] op_sel_hi:[1,0,0]
	v_mov_b32_e32 v151, v145
	v_pk_mul_f32 v[144:145], v[146:147], v[136:137] op_sel:[0,1]
	s_delay_alu instid0(VALU_DEP_2) | instskip(NEXT) | instid1(VALU_DEP_2)
	v_pk_add_f32 v[6:7], v[6:7], v[150:151] neg_lo:[0,1] neg_hi:[0,1]
	v_pk_fma_f32 v[148:149], v[146:147], v[134:135], v[144:145] op_sel:[0,0,1] op_sel_hi:[1,1,0] neg_lo:[0,0,1] neg_hi:[0,0,1]
	v_pk_fma_f32 v[144:145], v[146:147], v[134:135], v[144:145] op_sel:[0,0,1] op_sel_hi:[1,0,0]
	s_delay_alu instid0(VALU_DEP_1) | instskip(SKIP_4) | instid1(VALU_DEP_1)
	v_mov_b32_e32 v149, v145
	ds_load_2addr_b64 v[144:147], v138 offset0:61 offset1:62
	v_pk_add_f32 v[20:21], v[20:21], v[148:149] neg_lo:[0,1] neg_hi:[0,1]
	s_wait_dscnt 0x0
	v_pk_mul_f32 v[148:149], v[144:145], v[136:137] op_sel:[0,1]
	v_pk_fma_f32 v[150:151], v[144:145], v[134:135], v[148:149] op_sel:[0,0,1] op_sel_hi:[1,1,0] neg_lo:[0,0,1] neg_hi:[0,0,1]
	v_pk_fma_f32 v[144:145], v[144:145], v[134:135], v[148:149] op_sel:[0,0,1] op_sel_hi:[1,0,0]
	v_dual_mul_f32 v148, v147, v137 :: v_dual_mov_b32 v144, v147
	s_delay_alu instid0(VALU_DEP_2) | instskip(NEXT) | instid1(VALU_DEP_2)
	v_dual_mov_b32 v151, v145 :: v_dual_mov_b32 v145, v146
	v_pk_fma_f32 v[148:149], v[146:147], v[102:103], v[148:149] op_sel_hi:[1,1,0] neg_lo:[0,0,1] neg_hi:[0,0,1]
	v_mul_f32_e32 v146, v147, v134
	s_delay_alu instid0(VALU_DEP_3) | instskip(NEXT) | instid1(VALU_DEP_2)
	v_pk_add_f32 v[14:15], v[14:15], v[150:151] neg_lo:[0,1] neg_hi:[0,1]
	v_pk_fma_f32 v[144:145], v[144:145], v[102:103], v[146:147] op_sel_hi:[1,1,0]
	s_delay_alu instid0(VALU_DEP_1) | instskip(SKIP_4) | instid1(VALU_DEP_1)
	v_mov_b32_e32 v149, v145
	ds_load_b64 v[144:145], v138 offset:504
	v_pk_add_f32 v[10:11], v[10:11], v[148:149] neg_lo:[0,1] neg_hi:[0,1]
	s_wait_dscnt 0x0
	v_pk_mul_f32 v[136:137], v[144:145], v[136:137] op_sel:[0,1]
	v_pk_fma_f32 v[146:147], v[144:145], v[134:135], v[136:137] op_sel:[0,0,1] op_sel_hi:[1,1,0] neg_lo:[0,0,1] neg_hi:[0,0,1]
	v_pk_fma_f32 v[134:135], v[144:145], v[134:135], v[136:137] op_sel:[0,0,1] op_sel_hi:[1,0,0]
	s_delay_alu instid0(VALU_DEP_1) | instskip(NEXT) | instid1(VALU_DEP_1)
	v_mov_b32_e32 v147, v135
	v_pk_add_f32 v[132:133], v[132:133], v[146:147] neg_lo:[0,1] neg_hi:[0,1]
.LBB126_398:
	s_or_b32 exec_lo, exec_lo, s0
	v_lshl_add_u32 v134, v142, 3, v138
	s_barrier_signal -1
	s_barrier_wait -1
	ds_store_b64 v134, v[38:39]
	s_wait_dscnt 0x0
	s_barrier_signal -1
	s_barrier_wait -1
	ds_load_b64 v[136:137], v138 offset:152
	v_mov_b32_e32 v134, 19
	s_cmp_lt_i32 s18, 21
	s_cbranch_scc1 .LBB126_401
; %bb.399:
	v_add3_u32 v135, v139, 0, 0xa0
	v_mov_b32_e32 v134, 19
	s_mov_b32 s0, 20
.LBB126_400:                            ; =>This Inner Loop Header: Depth=1
	ds_load_b64 v[144:145], v135
	s_wait_dscnt 0x1
	v_cmp_gt_f32_e32 vcc_lo, 0, v136
	v_cndmask_b32_e64 v146, v136, -v136, vcc_lo
	v_cmp_gt_f32_e32 vcc_lo, 0, v137
	v_cndmask_b32_e64 v148, v137, -v137, vcc_lo
	s_wait_dscnt 0x0
	v_cmp_gt_f32_e32 vcc_lo, 0, v144
	v_cndmask_b32_e64 v147, v144, -v144, vcc_lo
	v_cmp_gt_f32_e32 vcc_lo, 0, v145
	v_cndmask_b32_e64 v149, v145, -v145, vcc_lo
	s_delay_alu instid0(VALU_DEP_1) | instskip(NEXT) | instid1(VALU_DEP_1)
	v_pk_add_f32 v[146:147], v[146:147], v[148:149]
	v_cmp_lt_f32_e32 vcc_lo, v146, v147
	v_dual_add_nc_u32 v135, 8, v135 :: v_dual_cndmask_b32 v137, v137, v145, vcc_lo
	v_cndmask_b32_e32 v136, v136, v144, vcc_lo
	v_cndmask_b32_e64 v134, v134, s0, vcc_lo
	s_add_co_i32 s0, s0, 1
	s_delay_alu instid0(SALU_CYCLE_1)
	s_cmp_lg_u32 s18, s0
	s_cbranch_scc1 .LBB126_400
.LBB126_401:
	s_wait_dscnt 0x0
	v_cmp_eq_f32_e32 vcc_lo, 0, v136
	v_cmp_eq_f32_e64 s0, 0, v137
	s_and_b32 s0, vcc_lo, s0
	s_delay_alu instid0(SALU_CYCLE_1) | instskip(NEXT) | instid1(SALU_CYCLE_1)
	s_and_saveexec_b32 s1, s0
	s_xor_b32 s0, exec_lo, s1
; %bb.402:
	v_cmp_ne_u32_e32 vcc_lo, 0, v140
	v_cndmask_b32_e32 v140, 20, v140, vcc_lo
; %bb.403:
	s_and_not1_saveexec_b32 s0, s0
	s_cbranch_execz .LBB126_409
; %bb.404:
	v_cmp_ngt_f32_e64 s1, |v136|, |v137|
	s_and_saveexec_b32 s12, s1
	s_delay_alu instid0(SALU_CYCLE_1)
	s_xor_b32 s1, exec_lo, s12
	s_cbranch_execz .LBB126_406
; %bb.405:
	v_div_scale_f32 v135, null, v137, v137, v136
	v_div_scale_f32 v145, vcc_lo, v136, v137, v136
	s_delay_alu instid0(VALU_DEP_2) | instskip(SKIP_1) | instid1(TRANS32_DEP_1)
	v_rcp_f32_e32 v143, v135
	v_nop
	v_fma_f32 v144, -v135, v143, 1.0
	s_delay_alu instid0(VALU_DEP_1) | instskip(NEXT) | instid1(VALU_DEP_1)
	v_fmac_f32_e32 v143, v144, v143
	v_mul_f32_e32 v144, v145, v143
	s_delay_alu instid0(VALU_DEP_1) | instskip(NEXT) | instid1(VALU_DEP_1)
	v_fma_f32 v146, -v135, v144, v145
	v_fmac_f32_e32 v144, v146, v143
	s_delay_alu instid0(VALU_DEP_1) | instskip(NEXT) | instid1(VALU_DEP_1)
	v_fma_f32 v135, -v135, v144, v145
	v_div_fmas_f32 v135, v135, v143, v144
	s_delay_alu instid0(VALU_DEP_1) | instskip(NEXT) | instid1(VALU_DEP_1)
	v_div_fixup_f32 v135, v135, v137, v136
	v_fmac_f32_e32 v137, v136, v135
	s_delay_alu instid0(VALU_DEP_1) | instskip(SKIP_1) | instid1(VALU_DEP_2)
	v_div_scale_f32 v136, null, v137, v137, 1.0
	v_div_scale_f32 v145, vcc_lo, 1.0, v137, 1.0
	v_rcp_f32_e32 v143, v136
	v_nop
	s_delay_alu instid0(TRANS32_DEP_1) | instskip(NEXT) | instid1(VALU_DEP_1)
	v_fma_f32 v144, -v136, v143, 1.0
	v_fmac_f32_e32 v143, v144, v143
	s_delay_alu instid0(VALU_DEP_1) | instskip(NEXT) | instid1(VALU_DEP_1)
	v_mul_f32_e32 v144, v145, v143
	v_fma_f32 v146, -v136, v144, v145
	s_delay_alu instid0(VALU_DEP_1) | instskip(NEXT) | instid1(VALU_DEP_1)
	v_fmac_f32_e32 v144, v146, v143
	v_fma_f32 v136, -v136, v144, v145
	s_delay_alu instid0(VALU_DEP_1) | instskip(NEXT) | instid1(VALU_DEP_1)
	v_div_fmas_f32 v136, v136, v143, v144
	v_div_fixup_f32 v137, v136, v137, 1.0
	s_delay_alu instid0(VALU_DEP_1)
	v_mul_f32_e32 v136, v135, v137
	v_xor_b32_e32 v137, 0x80000000, v137
.LBB126_406:
	s_and_not1_saveexec_b32 s1, s1
	s_cbranch_execz .LBB126_408
; %bb.407:
	s_delay_alu instid0(VALU_DEP_1) | instskip(SKIP_1) | instid1(VALU_DEP_2)
	v_div_scale_f32 v135, null, v136, v136, v137
	v_div_scale_f32 v145, vcc_lo, v137, v136, v137
	v_rcp_f32_e32 v143, v135
	v_nop
	s_delay_alu instid0(TRANS32_DEP_1) | instskip(NEXT) | instid1(VALU_DEP_1)
	v_fma_f32 v144, -v135, v143, 1.0
	v_fmac_f32_e32 v143, v144, v143
	s_delay_alu instid0(VALU_DEP_1) | instskip(NEXT) | instid1(VALU_DEP_1)
	v_mul_f32_e32 v144, v145, v143
	v_fma_f32 v146, -v135, v144, v145
	s_delay_alu instid0(VALU_DEP_1) | instskip(NEXT) | instid1(VALU_DEP_1)
	v_fmac_f32_e32 v144, v146, v143
	v_fma_f32 v135, -v135, v144, v145
	s_delay_alu instid0(VALU_DEP_1) | instskip(NEXT) | instid1(VALU_DEP_1)
	v_div_fmas_f32 v135, v135, v143, v144
	v_div_fixup_f32 v135, v135, v136, v137
	s_delay_alu instid0(VALU_DEP_1) | instskip(NEXT) | instid1(VALU_DEP_1)
	v_fmac_f32_e32 v136, v137, v135
	v_div_scale_f32 v137, null, v136, v136, 1.0
	s_delay_alu instid0(VALU_DEP_1) | instskip(SKIP_1) | instid1(TRANS32_DEP_1)
	v_rcp_f32_e32 v143, v137
	v_nop
	v_fma_f32 v144, -v137, v143, 1.0
	s_delay_alu instid0(VALU_DEP_1) | instskip(SKIP_1) | instid1(VALU_DEP_1)
	v_fmac_f32_e32 v143, v144, v143
	v_div_scale_f32 v144, vcc_lo, 1.0, v136, 1.0
	v_mul_f32_e32 v145, v144, v143
	s_delay_alu instid0(VALU_DEP_1) | instskip(NEXT) | instid1(VALU_DEP_1)
	v_fma_f32 v146, -v137, v145, v144
	v_fmac_f32_e32 v145, v146, v143
	s_delay_alu instid0(VALU_DEP_1) | instskip(NEXT) | instid1(VALU_DEP_1)
	v_fma_f32 v137, -v137, v145, v144
	v_div_fmas_f32 v137, v137, v143, v145
	s_delay_alu instid0(VALU_DEP_1) | instskip(NEXT) | instid1(VALU_DEP_1)
	v_div_fixup_f32 v136, v137, v136, 1.0
	v_mul_f32_e64 v137, v135, -v136
.LBB126_408:
	s_or_b32 exec_lo, exec_lo, s1
.LBB126_409:
	s_delay_alu instid0(SALU_CYCLE_1) | instskip(NEXT) | instid1(SALU_CYCLE_1)
	s_or_b32 exec_lo, exec_lo, s0
	s_mov_b32 s0, exec_lo
	v_cmpx_ne_u32_e64 v142, v134
	s_xor_b32 s0, exec_lo, s0
	s_cbranch_execz .LBB126_415
; %bb.410:
	s_mov_b32 s1, exec_lo
	v_cmpx_eq_u32_e32 19, v142
	s_cbranch_execz .LBB126_414
; %bb.411:
	v_cmp_ne_u32_e32 vcc_lo, 19, v134
	s_xor_b32 s12, s16, -1
	s_delay_alu instid0(SALU_CYCLE_1) | instskip(NEXT) | instid1(SALU_CYCLE_1)
	s_and_b32 s13, s12, vcc_lo
	s_and_saveexec_b32 s12, s13
	s_cbranch_execz .LBB126_413
; %bb.412:
	v_ashrrev_i32_e32 v135, 31, v134
	s_delay_alu instid0(VALU_DEP_1)
	v_lshl_add_u64 v[142:143], v[134:135], 2, v[4:5]
	s_clause 0x1
	global_load_b32 v135, v[142:143], off
	global_load_b32 v141, v[4:5], off offset:76
	s_wait_loadcnt 0x1
	global_store_b32 v[4:5], v135, off offset:76
	s_wait_loadcnt 0x0
	global_store_b32 v[142:143], v141, off
.LBB126_413:
	s_wait_xcnt 0x0
	s_or_b32 exec_lo, exec_lo, s12
	v_dual_mov_b32 v142, v134 :: v_dual_mov_b32 v141, v134
.LBB126_414:
	s_or_b32 exec_lo, exec_lo, s1
.LBB126_415:
	s_and_not1_saveexec_b32 s0, s0
	s_cbranch_execz .LBB126_417
; %bb.416:
	v_dual_mov_b32 v134, v98 :: v_dual_mov_b32 v135, v99
	v_dual_mov_b32 v142, v94 :: v_dual_mov_b32 v143, v95
	ds_store_2addr_b64 v138, v[134:135], v[142:143] offset0:20 offset1:21
	v_dual_mov_b32 v134, v96 :: v_dual_mov_b32 v135, v97
	v_dual_mov_b32 v142, v36 :: v_dual_mov_b32 v143, v37
	ds_store_2addr_b64 v138, v[134:135], v[142:143] offset0:22 offset1:23
	;; [unrolled: 3-line block ×21, first 2 shown]
	v_dual_mov_b32 v134, v10 :: v_dual_mov_b32 v135, v11
	v_mov_b32_e32 v142, 19
	ds_store_2addr_b64 v138, v[134:135], v[132:133] offset0:62 offset1:63
.LBB126_417:
	s_or_b32 exec_lo, exec_lo, s0
	s_delay_alu instid0(SALU_CYCLE_1)
	s_mov_b32 s0, exec_lo
	s_wait_storecnt_dscnt 0x0
	s_barrier_signal -1
	s_barrier_wait -1
	v_cmpx_lt_i32_e32 19, v142
	s_cbranch_execz .LBB126_419
; %bb.418:
	v_pk_mul_f32 v[144:145], v[136:137], v[38:39] op_sel:[1,1] op_sel_hi:[0,1]
	s_delay_alu instid0(VALU_DEP_1)
	v_pk_fma_f32 v[134:135], v[136:137], v[38:39], v[144:145] op_sel_hi:[1,0,1] neg_lo:[0,0,1] neg_hi:[0,0,1]
	v_pk_fma_f32 v[136:137], v[136:137], v[38:39], v[144:145] op_sel_hi:[1,0,1]
	ds_load_2addr_b64 v[144:147], v138 offset0:20 offset1:21
	v_dual_mov_b32 v38, v134 :: v_dual_mov_b32 v39, v137
	s_wait_dscnt 0x0
	v_pk_mul_f32 v[148:149], v[144:145], v[136:137] op_sel:[0,1]
	s_delay_alu instid0(VALU_DEP_1) | instskip(SKIP_1) | instid1(VALU_DEP_1)
	v_pk_fma_f32 v[150:151], v[144:145], v[134:135], v[148:149] op_sel:[0,0,1] op_sel_hi:[1,1,0] neg_lo:[0,0,1] neg_hi:[0,0,1]
	v_pk_fma_f32 v[144:145], v[144:145], v[134:135], v[148:149] op_sel:[0,0,1] op_sel_hi:[1,0,0]
	v_mov_b32_e32 v151, v145
	v_pk_mul_f32 v[144:145], v[146:147], v[136:137] op_sel:[0,1]
	s_delay_alu instid0(VALU_DEP_1) | instskip(SKIP_1) | instid1(VALU_DEP_1)
	v_pk_fma_f32 v[148:149], v[146:147], v[134:135], v[144:145] op_sel:[0,0,1] op_sel_hi:[1,1,0] neg_lo:[0,0,1] neg_hi:[0,0,1]
	v_pk_fma_f32 v[144:145], v[146:147], v[134:135], v[144:145] op_sel:[0,0,1] op_sel_hi:[1,0,0]
	v_mov_b32_e32 v149, v145
	ds_load_2addr_b64 v[144:147], v138 offset0:22 offset1:23
	v_pk_add_f32 v[98:99], v[98:99], v[150:151] neg_lo:[0,1] neg_hi:[0,1]
	v_pk_add_f32 v[94:95], v[94:95], v[148:149] neg_lo:[0,1] neg_hi:[0,1]
	s_wait_dscnt 0x0
	v_pk_mul_f32 v[148:149], v[144:145], v[136:137] op_sel:[0,1]
	s_delay_alu instid0(VALU_DEP_1) | instskip(SKIP_2) | instid1(VALU_DEP_2)
	v_pk_fma_f32 v[150:151], v[144:145], v[134:135], v[148:149] op_sel:[0,0,1] op_sel_hi:[1,1,0] neg_lo:[0,0,1] neg_hi:[0,0,1]
	v_pk_fma_f32 v[144:145], v[144:145], v[134:135], v[148:149] op_sel:[0,0,1] op_sel_hi:[1,0,0]
	v_dual_mul_f32 v148, v147, v137 :: v_dual_mov_b32 v144, v147
	v_dual_mov_b32 v151, v145 :: v_dual_mov_b32 v145, v146
	s_delay_alu instid0(VALU_DEP_2) | instskip(SKIP_1) | instid1(VALU_DEP_3)
	v_pk_fma_f32 v[148:149], v[146:147], v[38:39], v[148:149] op_sel_hi:[1,1,0] neg_lo:[0,0,1] neg_hi:[0,0,1]
	v_mul_f32_e32 v146, v147, v134
	v_pk_add_f32 v[96:97], v[96:97], v[150:151] neg_lo:[0,1] neg_hi:[0,1]
	s_delay_alu instid0(VALU_DEP_2) | instskip(NEXT) | instid1(VALU_DEP_1)
	v_pk_fma_f32 v[144:145], v[144:145], v[38:39], v[146:147] op_sel_hi:[1,1,0]
	v_mov_b32_e32 v149, v145
	ds_load_2addr_b64 v[144:147], v138 offset0:24 offset1:25
	v_pk_add_f32 v[36:37], v[36:37], v[148:149] neg_lo:[0,1] neg_hi:[0,1]
	s_wait_dscnt 0x0
	v_pk_mul_f32 v[148:149], v[144:145], v[136:137] op_sel:[0,1]
	s_delay_alu instid0(VALU_DEP_1) | instskip(SKIP_1) | instid1(VALU_DEP_1)
	v_pk_fma_f32 v[150:151], v[144:145], v[134:135], v[148:149] op_sel:[0,0,1] op_sel_hi:[1,1,0] neg_lo:[0,0,1] neg_hi:[0,0,1]
	v_pk_fma_f32 v[144:145], v[144:145], v[134:135], v[148:149] op_sel:[0,0,1] op_sel_hi:[1,0,0]
	v_mov_b32_e32 v151, v145
	v_pk_mul_f32 v[144:145], v[146:147], v[136:137] op_sel:[0,1]
	s_delay_alu instid0(VALU_DEP_1) | instskip(SKIP_1) | instid1(VALU_DEP_1)
	v_pk_fma_f32 v[148:149], v[146:147], v[134:135], v[144:145] op_sel:[0,0,1] op_sel_hi:[1,1,0] neg_lo:[0,0,1] neg_hi:[0,0,1]
	v_pk_fma_f32 v[144:145], v[146:147], v[134:135], v[144:145] op_sel:[0,0,1] op_sel_hi:[1,0,0]
	v_mov_b32_e32 v149, v145
	ds_load_2addr_b64 v[144:147], v138 offset0:26 offset1:27
	v_pk_add_f32 v[92:93], v[92:93], v[150:151] neg_lo:[0,1] neg_hi:[0,1]
	v_pk_add_f32 v[88:89], v[88:89], v[148:149] neg_lo:[0,1] neg_hi:[0,1]
	s_wait_dscnt 0x0
	v_pk_mul_f32 v[148:149], v[144:145], v[136:137] op_sel:[0,1]
	s_delay_alu instid0(VALU_DEP_1) | instskip(SKIP_1) | instid1(VALU_DEP_1)
	v_pk_fma_f32 v[150:151], v[144:145], v[134:135], v[148:149] op_sel:[0,0,1] op_sel_hi:[1,1,0] neg_lo:[0,0,1] neg_hi:[0,0,1]
	v_pk_fma_f32 v[144:145], v[144:145], v[134:135], v[148:149] op_sel:[0,0,1] op_sel_hi:[1,0,0]
	v_mov_b32_e32 v151, v145
	v_pk_mul_f32 v[144:145], v[146:147], v[136:137] op_sel:[0,1]
	s_delay_alu instid0(VALU_DEP_1) | instskip(SKIP_1) | instid1(VALU_DEP_1)
	v_pk_fma_f32 v[148:149], v[146:147], v[134:135], v[144:145] op_sel:[0,0,1] op_sel_hi:[1,1,0] neg_lo:[0,0,1] neg_hi:[0,0,1]
	v_pk_fma_f32 v[144:145], v[146:147], v[134:135], v[144:145] op_sel:[0,0,1] op_sel_hi:[1,0,0]
	v_mov_b32_e32 v149, v145
	ds_load_2addr_b64 v[144:147], v138 offset0:28 offset1:29
	v_pk_add_f32 v[90:91], v[90:91], v[150:151] neg_lo:[0,1] neg_hi:[0,1]
	v_pk_add_f32 v[34:35], v[34:35], v[148:149] neg_lo:[0,1] neg_hi:[0,1]
	s_wait_dscnt 0x0
	v_dual_mul_f32 v148, v145, v137 :: v_dual_mul_f32 v150, v145, v134
	s_delay_alu instid0(VALU_DEP_1) | instskip(NEXT) | instid1(VALU_DEP_2)
	v_pk_fma_f32 v[148:149], v[144:145], v[38:39], v[148:149] op_sel_hi:[1,1,0] neg_lo:[0,0,1] neg_hi:[0,0,1]
	v_pk_fma_f32 v[144:145], v[144:145], v[38:39], v[150:151] op_sel:[1,0,0] op_sel_hi:[0,1,0]
	s_delay_alu instid0(VALU_DEP_1) | instskip(SKIP_1) | instid1(VALU_DEP_2)
	v_mov_b32_e32 v149, v145
	v_pk_mul_f32 v[144:145], v[146:147], v[136:137] op_sel:[0,1]
	v_pk_add_f32 v[86:87], v[86:87], v[148:149] neg_lo:[0,1] neg_hi:[0,1]
	s_delay_alu instid0(VALU_DEP_2) | instskip(SKIP_1) | instid1(VALU_DEP_1)
	v_pk_fma_f32 v[148:149], v[146:147], v[134:135], v[144:145] op_sel:[0,0,1] op_sel_hi:[1,1,0] neg_lo:[0,0,1] neg_hi:[0,0,1]
	v_pk_fma_f32 v[144:145], v[146:147], v[134:135], v[144:145] op_sel:[0,0,1] op_sel_hi:[1,0,0]
	v_mov_b32_e32 v149, v145
	ds_load_2addr_b64 v[144:147], v138 offset0:30 offset1:31
	v_pk_add_f32 v[82:83], v[82:83], v[148:149] neg_lo:[0,1] neg_hi:[0,1]
	s_wait_dscnt 0x0
	v_pk_mul_f32 v[148:149], v[144:145], v[136:137] op_sel:[0,1]
	s_delay_alu instid0(VALU_DEP_1) | instskip(SKIP_1) | instid1(VALU_DEP_1)
	v_pk_fma_f32 v[150:151], v[144:145], v[134:135], v[148:149] op_sel:[0,0,1] op_sel_hi:[1,1,0] neg_lo:[0,0,1] neg_hi:[0,0,1]
	v_pk_fma_f32 v[144:145], v[144:145], v[134:135], v[148:149] op_sel:[0,0,1] op_sel_hi:[1,0,0]
	v_mov_b32_e32 v151, v145
	v_pk_mul_f32 v[144:145], v[146:147], v[136:137] op_sel:[0,1]
	s_delay_alu instid0(VALU_DEP_2) | instskip(NEXT) | instid1(VALU_DEP_2)
	v_pk_add_f32 v[84:85], v[84:85], v[150:151] neg_lo:[0,1] neg_hi:[0,1]
	v_pk_fma_f32 v[148:149], v[146:147], v[134:135], v[144:145] op_sel:[0,0,1] op_sel_hi:[1,1,0] neg_lo:[0,0,1] neg_hi:[0,0,1]
	v_pk_fma_f32 v[144:145], v[146:147], v[134:135], v[144:145] op_sel:[0,0,1] op_sel_hi:[1,0,0]
	s_delay_alu instid0(VALU_DEP_1) | instskip(SKIP_4) | instid1(VALU_DEP_1)
	v_mov_b32_e32 v149, v145
	ds_load_2addr_b64 v[144:147], v138 offset0:32 offset1:33
	v_pk_add_f32 v[26:27], v[26:27], v[148:149] neg_lo:[0,1] neg_hi:[0,1]
	s_wait_dscnt 0x0
	v_pk_mul_f32 v[148:149], v[144:145], v[136:137] op_sel:[0,1]
	v_pk_fma_f32 v[150:151], v[144:145], v[134:135], v[148:149] op_sel:[0,0,1] op_sel_hi:[1,1,0] neg_lo:[0,0,1] neg_hi:[0,0,1]
	v_pk_fma_f32 v[144:145], v[144:145], v[134:135], v[148:149] op_sel:[0,0,1] op_sel_hi:[1,0,0]
	v_dual_mul_f32 v148, v147, v137 :: v_dual_mov_b32 v144, v147
	s_delay_alu instid0(VALU_DEP_2) | instskip(NEXT) | instid1(VALU_DEP_2)
	v_dual_mov_b32 v151, v145 :: v_dual_mov_b32 v145, v146
	v_pk_fma_f32 v[148:149], v[146:147], v[38:39], v[148:149] op_sel_hi:[1,1,0] neg_lo:[0,0,1] neg_hi:[0,0,1]
	v_mul_f32_e32 v146, v147, v134
	s_delay_alu instid0(VALU_DEP_3) | instskip(NEXT) | instid1(VALU_DEP_2)
	v_pk_add_f32 v[80:81], v[80:81], v[150:151] neg_lo:[0,1] neg_hi:[0,1]
	v_pk_fma_f32 v[144:145], v[144:145], v[38:39], v[146:147] op_sel_hi:[1,1,0]
	s_delay_alu instid0(VALU_DEP_1) | instskip(SKIP_4) | instid1(VALU_DEP_1)
	v_mov_b32_e32 v149, v145
	ds_load_2addr_b64 v[144:147], v138 offset0:34 offset1:35
	v_pk_add_f32 v[76:77], v[76:77], v[148:149] neg_lo:[0,1] neg_hi:[0,1]
	s_wait_dscnt 0x0
	v_pk_mul_f32 v[148:149], v[144:145], v[136:137] op_sel:[0,1]
	v_pk_fma_f32 v[150:151], v[144:145], v[134:135], v[148:149] op_sel:[0,0,1] op_sel_hi:[1,1,0] neg_lo:[0,0,1] neg_hi:[0,0,1]
	v_pk_fma_f32 v[144:145], v[144:145], v[134:135], v[148:149] op_sel:[0,0,1] op_sel_hi:[1,0,0]
	s_delay_alu instid0(VALU_DEP_1) | instskip(SKIP_1) | instid1(VALU_DEP_1)
	v_mov_b32_e32 v151, v145
	v_pk_mul_f32 v[144:145], v[146:147], v[136:137] op_sel:[0,1]
	v_pk_fma_f32 v[148:149], v[146:147], v[134:135], v[144:145] op_sel:[0,0,1] op_sel_hi:[1,1,0] neg_lo:[0,0,1] neg_hi:[0,0,1]
	v_pk_fma_f32 v[144:145], v[146:147], v[134:135], v[144:145] op_sel:[0,0,1] op_sel_hi:[1,0,0]
	s_delay_alu instid0(VALU_DEP_1)
	v_mov_b32_e32 v149, v145
	ds_load_2addr_b64 v[144:147], v138 offset0:36 offset1:37
	v_pk_add_f32 v[78:79], v[78:79], v[150:151] neg_lo:[0,1] neg_hi:[0,1]
	v_pk_add_f32 v[24:25], v[24:25], v[148:149] neg_lo:[0,1] neg_hi:[0,1]
	s_wait_dscnt 0x0
	v_pk_mul_f32 v[148:149], v[144:145], v[136:137] op_sel:[0,1]
	s_delay_alu instid0(VALU_DEP_1) | instskip(SKIP_1) | instid1(VALU_DEP_1)
	v_pk_fma_f32 v[150:151], v[144:145], v[134:135], v[148:149] op_sel:[0,0,1] op_sel_hi:[1,1,0] neg_lo:[0,0,1] neg_hi:[0,0,1]
	v_pk_fma_f32 v[144:145], v[144:145], v[134:135], v[148:149] op_sel:[0,0,1] op_sel_hi:[1,0,0]
	v_mov_b32_e32 v151, v145
	v_pk_mul_f32 v[144:145], v[146:147], v[136:137] op_sel:[0,1]
	s_delay_alu instid0(VALU_DEP_1) | instskip(SKIP_1) | instid1(VALU_DEP_1)
	v_pk_fma_f32 v[148:149], v[146:147], v[134:135], v[144:145] op_sel:[0,0,1] op_sel_hi:[1,1,0] neg_lo:[0,0,1] neg_hi:[0,0,1]
	v_pk_fma_f32 v[144:145], v[146:147], v[134:135], v[144:145] op_sel:[0,0,1] op_sel_hi:[1,0,0]
	v_mov_b32_e32 v149, v145
	ds_load_2addr_b64 v[144:147], v138 offset0:38 offset1:39
	v_pk_add_f32 v[74:75], v[74:75], v[150:151] neg_lo:[0,1] neg_hi:[0,1]
	v_pk_add_f32 v[70:71], v[70:71], v[148:149] neg_lo:[0,1] neg_hi:[0,1]
	s_wait_dscnt 0x0
	v_dual_mul_f32 v148, v145, v137 :: v_dual_mul_f32 v150, v145, v134
	s_delay_alu instid0(VALU_DEP_1) | instskip(NEXT) | instid1(VALU_DEP_2)
	v_pk_fma_f32 v[148:149], v[144:145], v[38:39], v[148:149] op_sel_hi:[1,1,0] neg_lo:[0,0,1] neg_hi:[0,0,1]
	v_pk_fma_f32 v[144:145], v[144:145], v[38:39], v[150:151] op_sel:[1,0,0] op_sel_hi:[0,1,0]
	s_delay_alu instid0(VALU_DEP_1) | instskip(SKIP_1) | instid1(VALU_DEP_2)
	v_mov_b32_e32 v149, v145
	v_pk_mul_f32 v[144:145], v[146:147], v[136:137] op_sel:[0,1]
	v_pk_add_f32 v[72:73], v[72:73], v[148:149] neg_lo:[0,1] neg_hi:[0,1]
	s_delay_alu instid0(VALU_DEP_2) | instskip(SKIP_1) | instid1(VALU_DEP_1)
	v_pk_fma_f32 v[148:149], v[146:147], v[134:135], v[144:145] op_sel:[0,0,1] op_sel_hi:[1,1,0] neg_lo:[0,0,1] neg_hi:[0,0,1]
	v_pk_fma_f32 v[144:145], v[146:147], v[134:135], v[144:145] op_sel:[0,0,1] op_sel_hi:[1,0,0]
	v_mov_b32_e32 v149, v145
	ds_load_2addr_b64 v[144:147], v138 offset0:40 offset1:41
	v_pk_add_f32 v[22:23], v[22:23], v[148:149] neg_lo:[0,1] neg_hi:[0,1]
	s_wait_dscnt 0x0
	v_pk_mul_f32 v[148:149], v[144:145], v[136:137] op_sel:[0,1]
	s_delay_alu instid0(VALU_DEP_1) | instskip(SKIP_1) | instid1(VALU_DEP_1)
	v_pk_fma_f32 v[150:151], v[144:145], v[134:135], v[148:149] op_sel:[0,0,1] op_sel_hi:[1,1,0] neg_lo:[0,0,1] neg_hi:[0,0,1]
	v_pk_fma_f32 v[144:145], v[144:145], v[134:135], v[148:149] op_sel:[0,0,1] op_sel_hi:[1,0,0]
	v_mov_b32_e32 v151, v145
	v_pk_mul_f32 v[144:145], v[146:147], v[136:137] op_sel:[0,1]
	s_delay_alu instid0(VALU_DEP_2) | instskip(NEXT) | instid1(VALU_DEP_2)
	v_pk_add_f32 v[68:69], v[68:69], v[150:151] neg_lo:[0,1] neg_hi:[0,1]
	v_pk_fma_f32 v[148:149], v[146:147], v[134:135], v[144:145] op_sel:[0,0,1] op_sel_hi:[1,1,0] neg_lo:[0,0,1] neg_hi:[0,0,1]
	v_pk_fma_f32 v[144:145], v[146:147], v[134:135], v[144:145] op_sel:[0,0,1] op_sel_hi:[1,0,0]
	s_delay_alu instid0(VALU_DEP_1) | instskip(SKIP_4) | instid1(VALU_DEP_1)
	v_mov_b32_e32 v149, v145
	ds_load_2addr_b64 v[144:147], v138 offset0:42 offset1:43
	v_pk_add_f32 v[64:65], v[64:65], v[148:149] neg_lo:[0,1] neg_hi:[0,1]
	s_wait_dscnt 0x0
	v_pk_mul_f32 v[148:149], v[144:145], v[136:137] op_sel:[0,1]
	v_pk_fma_f32 v[150:151], v[144:145], v[134:135], v[148:149] op_sel:[0,0,1] op_sel_hi:[1,1,0] neg_lo:[0,0,1] neg_hi:[0,0,1]
	v_pk_fma_f32 v[144:145], v[144:145], v[134:135], v[148:149] op_sel:[0,0,1] op_sel_hi:[1,0,0]
	v_dual_mul_f32 v148, v147, v137 :: v_dual_mov_b32 v144, v147
	s_delay_alu instid0(VALU_DEP_2) | instskip(NEXT) | instid1(VALU_DEP_2)
	v_dual_mov_b32 v151, v145 :: v_dual_mov_b32 v145, v146
	v_pk_fma_f32 v[148:149], v[146:147], v[38:39], v[148:149] op_sel_hi:[1,1,0] neg_lo:[0,0,1] neg_hi:[0,0,1]
	v_mul_f32_e32 v146, v147, v134
	s_delay_alu instid0(VALU_DEP_3) | instskip(NEXT) | instid1(VALU_DEP_2)
	v_pk_add_f32 v[66:67], v[66:67], v[150:151] neg_lo:[0,1] neg_hi:[0,1]
	v_pk_fma_f32 v[144:145], v[144:145], v[38:39], v[146:147] op_sel_hi:[1,1,0]
	s_delay_alu instid0(VALU_DEP_1) | instskip(SKIP_4) | instid1(VALU_DEP_1)
	v_mov_b32_e32 v149, v145
	ds_load_2addr_b64 v[144:147], v138 offset0:44 offset1:45
	v_pk_add_f32 v[18:19], v[18:19], v[148:149] neg_lo:[0,1] neg_hi:[0,1]
	s_wait_dscnt 0x0
	v_pk_mul_f32 v[148:149], v[144:145], v[136:137] op_sel:[0,1]
	v_pk_fma_f32 v[150:151], v[144:145], v[134:135], v[148:149] op_sel:[0,0,1] op_sel_hi:[1,1,0] neg_lo:[0,0,1] neg_hi:[0,0,1]
	v_pk_fma_f32 v[144:145], v[144:145], v[134:135], v[148:149] op_sel:[0,0,1] op_sel_hi:[1,0,0]
	s_delay_alu instid0(VALU_DEP_1) | instskip(SKIP_1) | instid1(VALU_DEP_1)
	v_mov_b32_e32 v151, v145
	v_pk_mul_f32 v[144:145], v[146:147], v[136:137] op_sel:[0,1]
	v_pk_fma_f32 v[148:149], v[146:147], v[134:135], v[144:145] op_sel:[0,0,1] op_sel_hi:[1,1,0] neg_lo:[0,0,1] neg_hi:[0,0,1]
	v_pk_fma_f32 v[144:145], v[146:147], v[134:135], v[144:145] op_sel:[0,0,1] op_sel_hi:[1,0,0]
	s_delay_alu instid0(VALU_DEP_1)
	v_mov_b32_e32 v149, v145
	ds_load_2addr_b64 v[144:147], v138 offset0:46 offset1:47
	v_pk_add_f32 v[60:61], v[60:61], v[150:151] neg_lo:[0,1] neg_hi:[0,1]
	v_pk_add_f32 v[56:57], v[56:57], v[148:149] neg_lo:[0,1] neg_hi:[0,1]
	s_wait_dscnt 0x0
	v_pk_mul_f32 v[148:149], v[144:145], v[136:137] op_sel:[0,1]
	s_delay_alu instid0(VALU_DEP_1) | instskip(SKIP_1) | instid1(VALU_DEP_1)
	v_pk_fma_f32 v[150:151], v[144:145], v[134:135], v[148:149] op_sel:[0,0,1] op_sel_hi:[1,1,0] neg_lo:[0,0,1] neg_hi:[0,0,1]
	v_pk_fma_f32 v[144:145], v[144:145], v[134:135], v[148:149] op_sel:[0,0,1] op_sel_hi:[1,0,0]
	v_mov_b32_e32 v151, v145
	v_pk_mul_f32 v[144:145], v[146:147], v[136:137] op_sel:[0,1]
	s_delay_alu instid0(VALU_DEP_1) | instskip(SKIP_1) | instid1(VALU_DEP_1)
	v_pk_fma_f32 v[148:149], v[146:147], v[134:135], v[144:145] op_sel:[0,0,1] op_sel_hi:[1,1,0] neg_lo:[0,0,1] neg_hi:[0,0,1]
	v_pk_fma_f32 v[144:145], v[146:147], v[134:135], v[144:145] op_sel:[0,0,1] op_sel_hi:[1,0,0]
	v_mov_b32_e32 v149, v145
	ds_load_2addr_b64 v[144:147], v138 offset0:48 offset1:49
	v_pk_add_f32 v[58:59], v[58:59], v[150:151] neg_lo:[0,1] neg_hi:[0,1]
	v_pk_add_f32 v[12:13], v[12:13], v[148:149] neg_lo:[0,1] neg_hi:[0,1]
	s_wait_dscnt 0x0
	v_dual_mul_f32 v148, v145, v137 :: v_dual_mul_f32 v150, v145, v134
	s_delay_alu instid0(VALU_DEP_1) | instskip(NEXT) | instid1(VALU_DEP_2)
	v_pk_fma_f32 v[148:149], v[144:145], v[38:39], v[148:149] op_sel_hi:[1,1,0] neg_lo:[0,0,1] neg_hi:[0,0,1]
	v_pk_fma_f32 v[144:145], v[144:145], v[38:39], v[150:151] op_sel:[1,0,0] op_sel_hi:[0,1,0]
	s_delay_alu instid0(VALU_DEP_1) | instskip(SKIP_1) | instid1(VALU_DEP_2)
	v_mov_b32_e32 v149, v145
	v_pk_mul_f32 v[144:145], v[146:147], v[136:137] op_sel:[0,1]
	v_pk_add_f32 v[54:55], v[54:55], v[148:149] neg_lo:[0,1] neg_hi:[0,1]
	s_delay_alu instid0(VALU_DEP_2) | instskip(SKIP_1) | instid1(VALU_DEP_1)
	v_pk_fma_f32 v[148:149], v[146:147], v[134:135], v[144:145] op_sel:[0,0,1] op_sel_hi:[1,1,0] neg_lo:[0,0,1] neg_hi:[0,0,1]
	v_pk_fma_f32 v[144:145], v[146:147], v[134:135], v[144:145] op_sel:[0,0,1] op_sel_hi:[1,0,0]
	v_mov_b32_e32 v149, v145
	ds_load_2addr_b64 v[144:147], v138 offset0:50 offset1:51
	v_pk_add_f32 v[52:53], v[52:53], v[148:149] neg_lo:[0,1] neg_hi:[0,1]
	s_wait_dscnt 0x0
	v_pk_mul_f32 v[148:149], v[144:145], v[136:137] op_sel:[0,1]
	s_delay_alu instid0(VALU_DEP_1) | instskip(SKIP_1) | instid1(VALU_DEP_1)
	v_pk_fma_f32 v[150:151], v[144:145], v[134:135], v[148:149] op_sel:[0,0,1] op_sel_hi:[1,1,0] neg_lo:[0,0,1] neg_hi:[0,0,1]
	v_pk_fma_f32 v[144:145], v[144:145], v[134:135], v[148:149] op_sel:[0,0,1] op_sel_hi:[1,0,0]
	v_mov_b32_e32 v151, v145
	v_pk_mul_f32 v[144:145], v[146:147], v[136:137] op_sel:[0,1]
	s_delay_alu instid0(VALU_DEP_2) | instskip(NEXT) | instid1(VALU_DEP_2)
	v_pk_add_f32 v[62:63], v[62:63], v[150:151] neg_lo:[0,1] neg_hi:[0,1]
	v_pk_fma_f32 v[148:149], v[146:147], v[134:135], v[144:145] op_sel:[0,0,1] op_sel_hi:[1,1,0] neg_lo:[0,0,1] neg_hi:[0,0,1]
	v_pk_fma_f32 v[144:145], v[146:147], v[134:135], v[144:145] op_sel:[0,0,1] op_sel_hi:[1,0,0]
	s_delay_alu instid0(VALU_DEP_1) | instskip(SKIP_4) | instid1(VALU_DEP_1)
	v_mov_b32_e32 v149, v145
	ds_load_2addr_b64 v[144:147], v138 offset0:52 offset1:53
	v_pk_add_f32 v[16:17], v[16:17], v[148:149] neg_lo:[0,1] neg_hi:[0,1]
	s_wait_dscnt 0x0
	v_pk_mul_f32 v[148:149], v[144:145], v[136:137] op_sel:[0,1]
	v_pk_fma_f32 v[150:151], v[144:145], v[134:135], v[148:149] op_sel:[0,0,1] op_sel_hi:[1,1,0] neg_lo:[0,0,1] neg_hi:[0,0,1]
	v_pk_fma_f32 v[144:145], v[144:145], v[134:135], v[148:149] op_sel:[0,0,1] op_sel_hi:[1,0,0]
	v_dual_mul_f32 v148, v147, v137 :: v_dual_mov_b32 v144, v147
	s_delay_alu instid0(VALU_DEP_2) | instskip(NEXT) | instid1(VALU_DEP_2)
	v_dual_mov_b32 v151, v145 :: v_dual_mov_b32 v145, v146
	v_pk_fma_f32 v[148:149], v[146:147], v[38:39], v[148:149] op_sel_hi:[1,1,0] neg_lo:[0,0,1] neg_hi:[0,0,1]
	v_mul_f32_e32 v146, v147, v134
	s_delay_alu instid0(VALU_DEP_3) | instskip(NEXT) | instid1(VALU_DEP_2)
	v_pk_add_f32 v[48:49], v[48:49], v[150:151] neg_lo:[0,1] neg_hi:[0,1]
	v_pk_fma_f32 v[144:145], v[144:145], v[38:39], v[146:147] op_sel_hi:[1,1,0]
	s_delay_alu instid0(VALU_DEP_1) | instskip(SKIP_4) | instid1(VALU_DEP_1)
	v_mov_b32_e32 v149, v145
	ds_load_2addr_b64 v[144:147], v138 offset0:54 offset1:55
	v_pk_add_f32 v[42:43], v[42:43], v[148:149] neg_lo:[0,1] neg_hi:[0,1]
	s_wait_dscnt 0x0
	v_pk_mul_f32 v[148:149], v[144:145], v[136:137] op_sel:[0,1]
	v_pk_fma_f32 v[150:151], v[144:145], v[134:135], v[148:149] op_sel:[0,0,1] op_sel_hi:[1,1,0] neg_lo:[0,0,1] neg_hi:[0,0,1]
	v_pk_fma_f32 v[144:145], v[144:145], v[134:135], v[148:149] op_sel:[0,0,1] op_sel_hi:[1,0,0]
	s_delay_alu instid0(VALU_DEP_1) | instskip(SKIP_1) | instid1(VALU_DEP_1)
	v_mov_b32_e32 v151, v145
	v_pk_mul_f32 v[144:145], v[146:147], v[136:137] op_sel:[0,1]
	v_pk_fma_f32 v[148:149], v[146:147], v[134:135], v[144:145] op_sel:[0,0,1] op_sel_hi:[1,1,0] neg_lo:[0,0,1] neg_hi:[0,0,1]
	v_pk_fma_f32 v[144:145], v[146:147], v[134:135], v[144:145] op_sel:[0,0,1] op_sel_hi:[1,0,0]
	s_delay_alu instid0(VALU_DEP_1)
	v_mov_b32_e32 v149, v145
	ds_load_2addr_b64 v[144:147], v138 offset0:56 offset1:57
	v_pk_add_f32 v[46:47], v[46:47], v[150:151] neg_lo:[0,1] neg_hi:[0,1]
	v_pk_add_f32 v[8:9], v[8:9], v[148:149] neg_lo:[0,1] neg_hi:[0,1]
	s_wait_dscnt 0x0
	v_pk_mul_f32 v[148:149], v[144:145], v[136:137] op_sel:[0,1]
	s_delay_alu instid0(VALU_DEP_1) | instskip(SKIP_1) | instid1(VALU_DEP_1)
	v_pk_fma_f32 v[150:151], v[144:145], v[134:135], v[148:149] op_sel:[0,0,1] op_sel_hi:[1,1,0] neg_lo:[0,0,1] neg_hi:[0,0,1]
	v_pk_fma_f32 v[144:145], v[144:145], v[134:135], v[148:149] op_sel:[0,0,1] op_sel_hi:[1,0,0]
	v_mov_b32_e32 v151, v145
	v_pk_mul_f32 v[144:145], v[146:147], v[136:137] op_sel:[0,1]
	s_delay_alu instid0(VALU_DEP_1) | instskip(SKIP_1) | instid1(VALU_DEP_1)
	v_pk_fma_f32 v[148:149], v[146:147], v[134:135], v[144:145] op_sel:[0,0,1] op_sel_hi:[1,1,0] neg_lo:[0,0,1] neg_hi:[0,0,1]
	v_pk_fma_f32 v[144:145], v[146:147], v[134:135], v[144:145] op_sel:[0,0,1] op_sel_hi:[1,0,0]
	v_mov_b32_e32 v149, v145
	ds_load_2addr_b64 v[144:147], v138 offset0:58 offset1:59
	v_pk_add_f32 v[32:33], v[32:33], v[150:151] neg_lo:[0,1] neg_hi:[0,1]
	v_pk_add_f32 v[28:29], v[28:29], v[148:149] neg_lo:[0,1] neg_hi:[0,1]
	s_wait_dscnt 0x0
	v_dual_mul_f32 v148, v145, v137 :: v_dual_mul_f32 v150, v145, v134
	s_delay_alu instid0(VALU_DEP_1) | instskip(NEXT) | instid1(VALU_DEP_2)
	v_pk_fma_f32 v[148:149], v[144:145], v[38:39], v[148:149] op_sel_hi:[1,1,0] neg_lo:[0,0,1] neg_hi:[0,0,1]
	v_pk_fma_f32 v[144:145], v[144:145], v[38:39], v[150:151] op_sel:[1,0,0] op_sel_hi:[0,1,0]
	s_delay_alu instid0(VALU_DEP_1) | instskip(SKIP_1) | instid1(VALU_DEP_2)
	v_mov_b32_e32 v149, v145
	v_pk_mul_f32 v[144:145], v[146:147], v[136:137] op_sel:[0,1]
	v_pk_add_f32 v[30:31], v[30:31], v[148:149] neg_lo:[0,1] neg_hi:[0,1]
	s_delay_alu instid0(VALU_DEP_2) | instskip(SKIP_1) | instid1(VALU_DEP_1)
	v_pk_fma_f32 v[148:149], v[146:147], v[134:135], v[144:145] op_sel:[0,0,1] op_sel_hi:[1,1,0] neg_lo:[0,0,1] neg_hi:[0,0,1]
	v_pk_fma_f32 v[144:145], v[146:147], v[134:135], v[144:145] op_sel:[0,0,1] op_sel_hi:[1,0,0]
	v_mov_b32_e32 v149, v145
	ds_load_2addr_b64 v[144:147], v138 offset0:60 offset1:61
	v_pk_add_f32 v[6:7], v[6:7], v[148:149] neg_lo:[0,1] neg_hi:[0,1]
	s_wait_dscnt 0x0
	v_pk_mul_f32 v[148:149], v[144:145], v[136:137] op_sel:[0,1]
	s_delay_alu instid0(VALU_DEP_1) | instskip(SKIP_1) | instid1(VALU_DEP_1)
	v_pk_fma_f32 v[150:151], v[144:145], v[134:135], v[148:149] op_sel:[0,0,1] op_sel_hi:[1,1,0] neg_lo:[0,0,1] neg_hi:[0,0,1]
	v_pk_fma_f32 v[144:145], v[144:145], v[134:135], v[148:149] op_sel:[0,0,1] op_sel_hi:[1,0,0]
	v_mov_b32_e32 v151, v145
	v_pk_mul_f32 v[144:145], v[146:147], v[136:137] op_sel:[0,1]
	s_delay_alu instid0(VALU_DEP_2) | instskip(NEXT) | instid1(VALU_DEP_2)
	v_pk_add_f32 v[20:21], v[20:21], v[150:151] neg_lo:[0,1] neg_hi:[0,1]
	v_pk_fma_f32 v[148:149], v[146:147], v[134:135], v[144:145] op_sel:[0,0,1] op_sel_hi:[1,1,0] neg_lo:[0,0,1] neg_hi:[0,0,1]
	v_pk_fma_f32 v[144:145], v[146:147], v[134:135], v[144:145] op_sel:[0,0,1] op_sel_hi:[1,0,0]
	s_delay_alu instid0(VALU_DEP_1)
	v_mov_b32_e32 v149, v145
	ds_load_2addr_b64 v[144:147], v138 offset0:62 offset1:63
	v_pk_add_f32 v[14:15], v[14:15], v[148:149] neg_lo:[0,1] neg_hi:[0,1]
	s_wait_dscnt 0x0
	v_pk_mul_f32 v[148:149], v[144:145], v[136:137] op_sel:[0,1]
	v_pk_mul_f32 v[136:137], v[146:147], v[136:137] op_sel:[0,1]
	s_delay_alu instid0(VALU_DEP_2) | instskip(SKIP_1) | instid1(VALU_DEP_1)
	v_pk_fma_f32 v[150:151], v[144:145], v[134:135], v[148:149] op_sel:[0,0,1] op_sel_hi:[1,1,0] neg_lo:[0,0,1] neg_hi:[0,0,1]
	v_pk_fma_f32 v[144:145], v[144:145], v[134:135], v[148:149] op_sel:[0,0,1] op_sel_hi:[1,0,0]
	v_mov_b32_e32 v151, v145
	s_delay_alu instid0(VALU_DEP_4) | instskip(SKIP_1) | instid1(VALU_DEP_3)
	v_pk_fma_f32 v[144:145], v[146:147], v[134:135], v[136:137] op_sel:[0,0,1] op_sel_hi:[1,1,0] neg_lo:[0,0,1] neg_hi:[0,0,1]
	v_pk_fma_f32 v[134:135], v[146:147], v[134:135], v[136:137] op_sel:[0,0,1] op_sel_hi:[1,0,0]
	v_pk_add_f32 v[10:11], v[10:11], v[150:151] neg_lo:[0,1] neg_hi:[0,1]
	s_delay_alu instid0(VALU_DEP_2) | instskip(NEXT) | instid1(VALU_DEP_1)
	v_mov_b32_e32 v145, v135
	v_pk_add_f32 v[132:133], v[132:133], v[144:145] neg_lo:[0,1] neg_hi:[0,1]
.LBB126_419:
	s_or_b32 exec_lo, exec_lo, s0
	v_lshl_add_u32 v134, v142, 3, v138
	s_barrier_signal -1
	s_barrier_wait -1
	ds_store_b64 v134, v[98:99]
	s_wait_dscnt 0x0
	s_barrier_signal -1
	s_barrier_wait -1
	ds_load_b64 v[136:137], v138 offset:160
	v_mov_b32_e32 v134, 20
	s_cmp_lt_i32 s18, 22
	s_cbranch_scc1 .LBB126_422
; %bb.420:
	v_add3_u32 v135, v139, 0, 0xa8
	v_mov_b32_e32 v134, 20
	s_mov_b32 s0, 21
.LBB126_421:                            ; =>This Inner Loop Header: Depth=1
	ds_load_b64 v[144:145], v135
	s_wait_dscnt 0x1
	v_cmp_gt_f32_e32 vcc_lo, 0, v136
	v_cndmask_b32_e64 v146, v136, -v136, vcc_lo
	v_cmp_gt_f32_e32 vcc_lo, 0, v137
	v_cndmask_b32_e64 v148, v137, -v137, vcc_lo
	s_wait_dscnt 0x0
	v_cmp_gt_f32_e32 vcc_lo, 0, v144
	v_cndmask_b32_e64 v147, v144, -v144, vcc_lo
	v_cmp_gt_f32_e32 vcc_lo, 0, v145
	v_cndmask_b32_e64 v149, v145, -v145, vcc_lo
	s_delay_alu instid0(VALU_DEP_1) | instskip(NEXT) | instid1(VALU_DEP_1)
	v_pk_add_f32 v[146:147], v[146:147], v[148:149]
	v_cmp_lt_f32_e32 vcc_lo, v146, v147
	v_dual_add_nc_u32 v135, 8, v135 :: v_dual_cndmask_b32 v137, v137, v145, vcc_lo
	v_cndmask_b32_e32 v136, v136, v144, vcc_lo
	v_cndmask_b32_e64 v134, v134, s0, vcc_lo
	s_add_co_i32 s0, s0, 1
	s_delay_alu instid0(SALU_CYCLE_1)
	s_cmp_lg_u32 s18, s0
	s_cbranch_scc1 .LBB126_421
.LBB126_422:
	s_wait_dscnt 0x0
	v_cmp_eq_f32_e32 vcc_lo, 0, v136
	v_cmp_eq_f32_e64 s0, 0, v137
	s_and_b32 s0, vcc_lo, s0
	s_delay_alu instid0(SALU_CYCLE_1) | instskip(NEXT) | instid1(SALU_CYCLE_1)
	s_and_saveexec_b32 s1, s0
	s_xor_b32 s0, exec_lo, s1
; %bb.423:
	v_cmp_ne_u32_e32 vcc_lo, 0, v140
	v_cndmask_b32_e32 v140, 21, v140, vcc_lo
; %bb.424:
	s_and_not1_saveexec_b32 s0, s0
	s_cbranch_execz .LBB126_430
; %bb.425:
	v_cmp_ngt_f32_e64 s1, |v136|, |v137|
	s_and_saveexec_b32 s12, s1
	s_delay_alu instid0(SALU_CYCLE_1)
	s_xor_b32 s1, exec_lo, s12
	s_cbranch_execz .LBB126_427
; %bb.426:
	v_div_scale_f32 v135, null, v137, v137, v136
	v_div_scale_f32 v145, vcc_lo, v136, v137, v136
	s_delay_alu instid0(VALU_DEP_2) | instskip(SKIP_1) | instid1(TRANS32_DEP_1)
	v_rcp_f32_e32 v143, v135
	v_nop
	v_fma_f32 v144, -v135, v143, 1.0
	s_delay_alu instid0(VALU_DEP_1) | instskip(NEXT) | instid1(VALU_DEP_1)
	v_fmac_f32_e32 v143, v144, v143
	v_mul_f32_e32 v144, v145, v143
	s_delay_alu instid0(VALU_DEP_1) | instskip(NEXT) | instid1(VALU_DEP_1)
	v_fma_f32 v146, -v135, v144, v145
	v_fmac_f32_e32 v144, v146, v143
	s_delay_alu instid0(VALU_DEP_1) | instskip(NEXT) | instid1(VALU_DEP_1)
	v_fma_f32 v135, -v135, v144, v145
	v_div_fmas_f32 v135, v135, v143, v144
	s_delay_alu instid0(VALU_DEP_1) | instskip(NEXT) | instid1(VALU_DEP_1)
	v_div_fixup_f32 v135, v135, v137, v136
	v_fmac_f32_e32 v137, v136, v135
	s_delay_alu instid0(VALU_DEP_1) | instskip(SKIP_1) | instid1(VALU_DEP_2)
	v_div_scale_f32 v136, null, v137, v137, 1.0
	v_div_scale_f32 v145, vcc_lo, 1.0, v137, 1.0
	v_rcp_f32_e32 v143, v136
	v_nop
	s_delay_alu instid0(TRANS32_DEP_1) | instskip(NEXT) | instid1(VALU_DEP_1)
	v_fma_f32 v144, -v136, v143, 1.0
	v_fmac_f32_e32 v143, v144, v143
	s_delay_alu instid0(VALU_DEP_1) | instskip(NEXT) | instid1(VALU_DEP_1)
	v_mul_f32_e32 v144, v145, v143
	v_fma_f32 v146, -v136, v144, v145
	s_delay_alu instid0(VALU_DEP_1) | instskip(NEXT) | instid1(VALU_DEP_1)
	v_fmac_f32_e32 v144, v146, v143
	v_fma_f32 v136, -v136, v144, v145
	s_delay_alu instid0(VALU_DEP_1) | instskip(NEXT) | instid1(VALU_DEP_1)
	v_div_fmas_f32 v136, v136, v143, v144
	v_div_fixup_f32 v137, v136, v137, 1.0
	s_delay_alu instid0(VALU_DEP_1)
	v_mul_f32_e32 v136, v135, v137
	v_xor_b32_e32 v137, 0x80000000, v137
.LBB126_427:
	s_and_not1_saveexec_b32 s1, s1
	s_cbranch_execz .LBB126_429
; %bb.428:
	s_delay_alu instid0(VALU_DEP_1) | instskip(SKIP_1) | instid1(VALU_DEP_2)
	v_div_scale_f32 v135, null, v136, v136, v137
	v_div_scale_f32 v145, vcc_lo, v137, v136, v137
	v_rcp_f32_e32 v143, v135
	v_nop
	s_delay_alu instid0(TRANS32_DEP_1) | instskip(NEXT) | instid1(VALU_DEP_1)
	v_fma_f32 v144, -v135, v143, 1.0
	v_fmac_f32_e32 v143, v144, v143
	s_delay_alu instid0(VALU_DEP_1) | instskip(NEXT) | instid1(VALU_DEP_1)
	v_mul_f32_e32 v144, v145, v143
	v_fma_f32 v146, -v135, v144, v145
	s_delay_alu instid0(VALU_DEP_1) | instskip(NEXT) | instid1(VALU_DEP_1)
	v_fmac_f32_e32 v144, v146, v143
	v_fma_f32 v135, -v135, v144, v145
	s_delay_alu instid0(VALU_DEP_1) | instskip(NEXT) | instid1(VALU_DEP_1)
	v_div_fmas_f32 v135, v135, v143, v144
	v_div_fixup_f32 v135, v135, v136, v137
	s_delay_alu instid0(VALU_DEP_1) | instskip(NEXT) | instid1(VALU_DEP_1)
	v_fmac_f32_e32 v136, v137, v135
	v_div_scale_f32 v137, null, v136, v136, 1.0
	s_delay_alu instid0(VALU_DEP_1) | instskip(SKIP_1) | instid1(TRANS32_DEP_1)
	v_rcp_f32_e32 v143, v137
	v_nop
	v_fma_f32 v144, -v137, v143, 1.0
	s_delay_alu instid0(VALU_DEP_1) | instskip(SKIP_1) | instid1(VALU_DEP_1)
	v_fmac_f32_e32 v143, v144, v143
	v_div_scale_f32 v144, vcc_lo, 1.0, v136, 1.0
	v_mul_f32_e32 v145, v144, v143
	s_delay_alu instid0(VALU_DEP_1) | instskip(NEXT) | instid1(VALU_DEP_1)
	v_fma_f32 v146, -v137, v145, v144
	v_fmac_f32_e32 v145, v146, v143
	s_delay_alu instid0(VALU_DEP_1) | instskip(NEXT) | instid1(VALU_DEP_1)
	v_fma_f32 v137, -v137, v145, v144
	v_div_fmas_f32 v137, v137, v143, v145
	s_delay_alu instid0(VALU_DEP_1) | instskip(NEXT) | instid1(VALU_DEP_1)
	v_div_fixup_f32 v136, v137, v136, 1.0
	v_mul_f32_e64 v137, v135, -v136
.LBB126_429:
	s_or_b32 exec_lo, exec_lo, s1
.LBB126_430:
	s_delay_alu instid0(SALU_CYCLE_1) | instskip(NEXT) | instid1(SALU_CYCLE_1)
	s_or_b32 exec_lo, exec_lo, s0
	s_mov_b32 s0, exec_lo
	v_cmpx_ne_u32_e64 v142, v134
	s_xor_b32 s0, exec_lo, s0
	s_cbranch_execz .LBB126_436
; %bb.431:
	s_mov_b32 s1, exec_lo
	v_cmpx_eq_u32_e32 20, v142
	s_cbranch_execz .LBB126_435
; %bb.432:
	v_cmp_ne_u32_e32 vcc_lo, 20, v134
	s_xor_b32 s12, s16, -1
	s_delay_alu instid0(SALU_CYCLE_1) | instskip(NEXT) | instid1(SALU_CYCLE_1)
	s_and_b32 s13, s12, vcc_lo
	s_and_saveexec_b32 s12, s13
	s_cbranch_execz .LBB126_434
; %bb.433:
	v_ashrrev_i32_e32 v135, 31, v134
	s_delay_alu instid0(VALU_DEP_1)
	v_lshl_add_u64 v[142:143], v[134:135], 2, v[4:5]
	s_clause 0x1
	global_load_b32 v135, v[142:143], off
	global_load_b32 v141, v[4:5], off offset:80
	s_wait_loadcnt 0x1
	global_store_b32 v[4:5], v135, off offset:80
	s_wait_loadcnt 0x0
	global_store_b32 v[142:143], v141, off
.LBB126_434:
	s_wait_xcnt 0x0
	s_or_b32 exec_lo, exec_lo, s12
	v_dual_mov_b32 v142, v134 :: v_dual_mov_b32 v141, v134
.LBB126_435:
	s_or_b32 exec_lo, exec_lo, s1
.LBB126_436:
	s_and_not1_saveexec_b32 s0, s0
	s_cbranch_execz .LBB126_438
; %bb.437:
	v_mov_b32_e32 v142, 20
	ds_store_2addr_b64 v138, v[94:95], v[96:97] offset0:21 offset1:22
	ds_store_2addr_b64 v138, v[36:37], v[92:93] offset0:23 offset1:24
	;; [unrolled: 1-line block ×21, first 2 shown]
	ds_store_b64 v138, v[132:133] offset:504
.LBB126_438:
	s_or_b32 exec_lo, exec_lo, s0
	s_delay_alu instid0(SALU_CYCLE_1)
	s_mov_b32 s0, exec_lo
	s_wait_storecnt_dscnt 0x0
	s_barrier_signal -1
	s_barrier_wait -1
	v_cmpx_lt_i32_e32 20, v142
	s_cbranch_execz .LBB126_440
; %bb.439:
	v_pk_mul_f32 v[144:145], v[136:137], v[98:99] op_sel:[1,1] op_sel_hi:[0,1]
	s_delay_alu instid0(VALU_DEP_1)
	v_pk_fma_f32 v[134:135], v[136:137], v[98:99], v[144:145] op_sel_hi:[1,0,1] neg_lo:[0,0,1] neg_hi:[0,0,1]
	v_pk_fma_f32 v[136:137], v[136:137], v[98:99], v[144:145] op_sel_hi:[1,0,1]
	ds_load_2addr_b64 v[144:147], v138 offset0:21 offset1:22
	v_dual_mov_b32 v98, v134 :: v_dual_mov_b32 v99, v137
	s_wait_dscnt 0x0
	v_pk_mul_f32 v[148:149], v[144:145], v[136:137] op_sel:[0,1]
	s_delay_alu instid0(VALU_DEP_1) | instskip(SKIP_1) | instid1(VALU_DEP_1)
	v_pk_fma_f32 v[150:151], v[144:145], v[134:135], v[148:149] op_sel:[0,0,1] op_sel_hi:[1,1,0] neg_lo:[0,0,1] neg_hi:[0,0,1]
	v_pk_fma_f32 v[144:145], v[144:145], v[134:135], v[148:149] op_sel:[0,0,1] op_sel_hi:[1,0,0]
	v_mov_b32_e32 v151, v145
	v_pk_mul_f32 v[144:145], v[146:147], v[136:137] op_sel:[0,1]
	s_delay_alu instid0(VALU_DEP_1) | instskip(SKIP_1) | instid1(VALU_DEP_1)
	v_pk_fma_f32 v[148:149], v[146:147], v[134:135], v[144:145] op_sel:[0,0,1] op_sel_hi:[1,1,0] neg_lo:[0,0,1] neg_hi:[0,0,1]
	v_pk_fma_f32 v[144:145], v[146:147], v[134:135], v[144:145] op_sel:[0,0,1] op_sel_hi:[1,0,0]
	v_mov_b32_e32 v149, v145
	ds_load_2addr_b64 v[144:147], v138 offset0:23 offset1:24
	v_pk_add_f32 v[94:95], v[94:95], v[150:151] neg_lo:[0,1] neg_hi:[0,1]
	v_pk_add_f32 v[96:97], v[96:97], v[148:149] neg_lo:[0,1] neg_hi:[0,1]
	s_wait_dscnt 0x0
	v_pk_mul_f32 v[148:149], v[144:145], v[136:137] op_sel:[0,1]
	s_delay_alu instid0(VALU_DEP_1) | instskip(SKIP_2) | instid1(VALU_DEP_2)
	v_pk_fma_f32 v[150:151], v[144:145], v[134:135], v[148:149] op_sel:[0,0,1] op_sel_hi:[1,1,0] neg_lo:[0,0,1] neg_hi:[0,0,1]
	v_pk_fma_f32 v[144:145], v[144:145], v[134:135], v[148:149] op_sel:[0,0,1] op_sel_hi:[1,0,0]
	v_dual_mul_f32 v148, v147, v137 :: v_dual_mov_b32 v144, v147
	v_dual_mov_b32 v151, v145 :: v_dual_mov_b32 v145, v146
	s_delay_alu instid0(VALU_DEP_2) | instskip(SKIP_1) | instid1(VALU_DEP_3)
	v_pk_fma_f32 v[148:149], v[146:147], v[98:99], v[148:149] op_sel_hi:[1,1,0] neg_lo:[0,0,1] neg_hi:[0,0,1]
	v_mul_f32_e32 v146, v147, v134
	v_pk_add_f32 v[36:37], v[36:37], v[150:151] neg_lo:[0,1] neg_hi:[0,1]
	s_delay_alu instid0(VALU_DEP_2) | instskip(NEXT) | instid1(VALU_DEP_1)
	v_pk_fma_f32 v[144:145], v[144:145], v[98:99], v[146:147] op_sel_hi:[1,1,0]
	v_mov_b32_e32 v149, v145
	ds_load_2addr_b64 v[144:147], v138 offset0:25 offset1:26
	v_pk_add_f32 v[92:93], v[92:93], v[148:149] neg_lo:[0,1] neg_hi:[0,1]
	s_wait_dscnt 0x0
	v_pk_mul_f32 v[148:149], v[144:145], v[136:137] op_sel:[0,1]
	s_delay_alu instid0(VALU_DEP_1) | instskip(SKIP_1) | instid1(VALU_DEP_1)
	v_pk_fma_f32 v[150:151], v[144:145], v[134:135], v[148:149] op_sel:[0,0,1] op_sel_hi:[1,1,0] neg_lo:[0,0,1] neg_hi:[0,0,1]
	v_pk_fma_f32 v[144:145], v[144:145], v[134:135], v[148:149] op_sel:[0,0,1] op_sel_hi:[1,0,0]
	v_mov_b32_e32 v151, v145
	v_pk_mul_f32 v[144:145], v[146:147], v[136:137] op_sel:[0,1]
	s_delay_alu instid0(VALU_DEP_1) | instskip(SKIP_1) | instid1(VALU_DEP_1)
	v_pk_fma_f32 v[148:149], v[146:147], v[134:135], v[144:145] op_sel:[0,0,1] op_sel_hi:[1,1,0] neg_lo:[0,0,1] neg_hi:[0,0,1]
	v_pk_fma_f32 v[144:145], v[146:147], v[134:135], v[144:145] op_sel:[0,0,1] op_sel_hi:[1,0,0]
	v_mov_b32_e32 v149, v145
	ds_load_2addr_b64 v[144:147], v138 offset0:27 offset1:28
	v_pk_add_f32 v[88:89], v[88:89], v[150:151] neg_lo:[0,1] neg_hi:[0,1]
	v_pk_add_f32 v[90:91], v[90:91], v[148:149] neg_lo:[0,1] neg_hi:[0,1]
	s_wait_dscnt 0x0
	v_pk_mul_f32 v[148:149], v[144:145], v[136:137] op_sel:[0,1]
	s_delay_alu instid0(VALU_DEP_1) | instskip(SKIP_1) | instid1(VALU_DEP_1)
	v_pk_fma_f32 v[150:151], v[144:145], v[134:135], v[148:149] op_sel:[0,0,1] op_sel_hi:[1,1,0] neg_lo:[0,0,1] neg_hi:[0,0,1]
	v_pk_fma_f32 v[144:145], v[144:145], v[134:135], v[148:149] op_sel:[0,0,1] op_sel_hi:[1,0,0]
	v_mov_b32_e32 v151, v145
	v_pk_mul_f32 v[144:145], v[146:147], v[136:137] op_sel:[0,1]
	s_delay_alu instid0(VALU_DEP_1) | instskip(SKIP_1) | instid1(VALU_DEP_1)
	v_pk_fma_f32 v[148:149], v[146:147], v[134:135], v[144:145] op_sel:[0,0,1] op_sel_hi:[1,1,0] neg_lo:[0,0,1] neg_hi:[0,0,1]
	v_pk_fma_f32 v[144:145], v[146:147], v[134:135], v[144:145] op_sel:[0,0,1] op_sel_hi:[1,0,0]
	v_mov_b32_e32 v149, v145
	ds_load_2addr_b64 v[144:147], v138 offset0:29 offset1:30
	v_pk_add_f32 v[34:35], v[34:35], v[150:151] neg_lo:[0,1] neg_hi:[0,1]
	v_pk_add_f32 v[86:87], v[86:87], v[148:149] neg_lo:[0,1] neg_hi:[0,1]
	s_wait_dscnt 0x0
	v_dual_mul_f32 v148, v145, v137 :: v_dual_mul_f32 v150, v145, v134
	s_delay_alu instid0(VALU_DEP_1) | instskip(NEXT) | instid1(VALU_DEP_2)
	v_pk_fma_f32 v[148:149], v[144:145], v[98:99], v[148:149] op_sel_hi:[1,1,0] neg_lo:[0,0,1] neg_hi:[0,0,1]
	v_pk_fma_f32 v[144:145], v[144:145], v[98:99], v[150:151] op_sel:[1,0,0] op_sel_hi:[0,1,0]
	s_delay_alu instid0(VALU_DEP_1) | instskip(SKIP_1) | instid1(VALU_DEP_2)
	v_mov_b32_e32 v149, v145
	v_pk_mul_f32 v[144:145], v[146:147], v[136:137] op_sel:[0,1]
	v_pk_add_f32 v[82:83], v[82:83], v[148:149] neg_lo:[0,1] neg_hi:[0,1]
	s_delay_alu instid0(VALU_DEP_2) | instskip(SKIP_1) | instid1(VALU_DEP_1)
	v_pk_fma_f32 v[148:149], v[146:147], v[134:135], v[144:145] op_sel:[0,0,1] op_sel_hi:[1,1,0] neg_lo:[0,0,1] neg_hi:[0,0,1]
	v_pk_fma_f32 v[144:145], v[146:147], v[134:135], v[144:145] op_sel:[0,0,1] op_sel_hi:[1,0,0]
	v_mov_b32_e32 v149, v145
	ds_load_2addr_b64 v[144:147], v138 offset0:31 offset1:32
	v_pk_add_f32 v[84:85], v[84:85], v[148:149] neg_lo:[0,1] neg_hi:[0,1]
	s_wait_dscnt 0x0
	v_pk_mul_f32 v[148:149], v[144:145], v[136:137] op_sel:[0,1]
	s_delay_alu instid0(VALU_DEP_1) | instskip(SKIP_1) | instid1(VALU_DEP_1)
	v_pk_fma_f32 v[150:151], v[144:145], v[134:135], v[148:149] op_sel:[0,0,1] op_sel_hi:[1,1,0] neg_lo:[0,0,1] neg_hi:[0,0,1]
	v_pk_fma_f32 v[144:145], v[144:145], v[134:135], v[148:149] op_sel:[0,0,1] op_sel_hi:[1,0,0]
	v_mov_b32_e32 v151, v145
	v_pk_mul_f32 v[144:145], v[146:147], v[136:137] op_sel:[0,1]
	s_delay_alu instid0(VALU_DEP_2) | instskip(NEXT) | instid1(VALU_DEP_2)
	v_pk_add_f32 v[26:27], v[26:27], v[150:151] neg_lo:[0,1] neg_hi:[0,1]
	v_pk_fma_f32 v[148:149], v[146:147], v[134:135], v[144:145] op_sel:[0,0,1] op_sel_hi:[1,1,0] neg_lo:[0,0,1] neg_hi:[0,0,1]
	v_pk_fma_f32 v[144:145], v[146:147], v[134:135], v[144:145] op_sel:[0,0,1] op_sel_hi:[1,0,0]
	s_delay_alu instid0(VALU_DEP_1) | instskip(SKIP_4) | instid1(VALU_DEP_1)
	v_mov_b32_e32 v149, v145
	ds_load_2addr_b64 v[144:147], v138 offset0:33 offset1:34
	v_pk_add_f32 v[80:81], v[80:81], v[148:149] neg_lo:[0,1] neg_hi:[0,1]
	s_wait_dscnt 0x0
	v_pk_mul_f32 v[148:149], v[144:145], v[136:137] op_sel:[0,1]
	v_pk_fma_f32 v[150:151], v[144:145], v[134:135], v[148:149] op_sel:[0,0,1] op_sel_hi:[1,1,0] neg_lo:[0,0,1] neg_hi:[0,0,1]
	v_pk_fma_f32 v[144:145], v[144:145], v[134:135], v[148:149] op_sel:[0,0,1] op_sel_hi:[1,0,0]
	v_dual_mul_f32 v148, v147, v137 :: v_dual_mov_b32 v144, v147
	s_delay_alu instid0(VALU_DEP_2) | instskip(NEXT) | instid1(VALU_DEP_2)
	v_dual_mov_b32 v151, v145 :: v_dual_mov_b32 v145, v146
	v_pk_fma_f32 v[148:149], v[146:147], v[98:99], v[148:149] op_sel_hi:[1,1,0] neg_lo:[0,0,1] neg_hi:[0,0,1]
	v_mul_f32_e32 v146, v147, v134
	s_delay_alu instid0(VALU_DEP_3) | instskip(NEXT) | instid1(VALU_DEP_2)
	v_pk_add_f32 v[76:77], v[76:77], v[150:151] neg_lo:[0,1] neg_hi:[0,1]
	v_pk_fma_f32 v[144:145], v[144:145], v[98:99], v[146:147] op_sel_hi:[1,1,0]
	s_delay_alu instid0(VALU_DEP_1) | instskip(SKIP_4) | instid1(VALU_DEP_1)
	v_mov_b32_e32 v149, v145
	ds_load_2addr_b64 v[144:147], v138 offset0:35 offset1:36
	v_pk_add_f32 v[78:79], v[78:79], v[148:149] neg_lo:[0,1] neg_hi:[0,1]
	s_wait_dscnt 0x0
	v_pk_mul_f32 v[148:149], v[144:145], v[136:137] op_sel:[0,1]
	v_pk_fma_f32 v[150:151], v[144:145], v[134:135], v[148:149] op_sel:[0,0,1] op_sel_hi:[1,1,0] neg_lo:[0,0,1] neg_hi:[0,0,1]
	v_pk_fma_f32 v[144:145], v[144:145], v[134:135], v[148:149] op_sel:[0,0,1] op_sel_hi:[1,0,0]
	s_delay_alu instid0(VALU_DEP_1) | instskip(SKIP_1) | instid1(VALU_DEP_1)
	v_mov_b32_e32 v151, v145
	v_pk_mul_f32 v[144:145], v[146:147], v[136:137] op_sel:[0,1]
	v_pk_fma_f32 v[148:149], v[146:147], v[134:135], v[144:145] op_sel:[0,0,1] op_sel_hi:[1,1,0] neg_lo:[0,0,1] neg_hi:[0,0,1]
	v_pk_fma_f32 v[144:145], v[146:147], v[134:135], v[144:145] op_sel:[0,0,1] op_sel_hi:[1,0,0]
	s_delay_alu instid0(VALU_DEP_1)
	v_mov_b32_e32 v149, v145
	ds_load_2addr_b64 v[144:147], v138 offset0:37 offset1:38
	v_pk_add_f32 v[24:25], v[24:25], v[150:151] neg_lo:[0,1] neg_hi:[0,1]
	v_pk_add_f32 v[74:75], v[74:75], v[148:149] neg_lo:[0,1] neg_hi:[0,1]
	s_wait_dscnt 0x0
	v_pk_mul_f32 v[148:149], v[144:145], v[136:137] op_sel:[0,1]
	s_delay_alu instid0(VALU_DEP_1) | instskip(SKIP_1) | instid1(VALU_DEP_1)
	v_pk_fma_f32 v[150:151], v[144:145], v[134:135], v[148:149] op_sel:[0,0,1] op_sel_hi:[1,1,0] neg_lo:[0,0,1] neg_hi:[0,0,1]
	v_pk_fma_f32 v[144:145], v[144:145], v[134:135], v[148:149] op_sel:[0,0,1] op_sel_hi:[1,0,0]
	v_mov_b32_e32 v151, v145
	v_pk_mul_f32 v[144:145], v[146:147], v[136:137] op_sel:[0,1]
	s_delay_alu instid0(VALU_DEP_1) | instskip(SKIP_1) | instid1(VALU_DEP_1)
	v_pk_fma_f32 v[148:149], v[146:147], v[134:135], v[144:145] op_sel:[0,0,1] op_sel_hi:[1,1,0] neg_lo:[0,0,1] neg_hi:[0,0,1]
	v_pk_fma_f32 v[144:145], v[146:147], v[134:135], v[144:145] op_sel:[0,0,1] op_sel_hi:[1,0,0]
	v_mov_b32_e32 v149, v145
	ds_load_2addr_b64 v[144:147], v138 offset0:39 offset1:40
	v_pk_add_f32 v[70:71], v[70:71], v[150:151] neg_lo:[0,1] neg_hi:[0,1]
	v_pk_add_f32 v[72:73], v[72:73], v[148:149] neg_lo:[0,1] neg_hi:[0,1]
	s_wait_dscnt 0x0
	v_dual_mul_f32 v148, v145, v137 :: v_dual_mul_f32 v150, v145, v134
	s_delay_alu instid0(VALU_DEP_1) | instskip(NEXT) | instid1(VALU_DEP_2)
	v_pk_fma_f32 v[148:149], v[144:145], v[98:99], v[148:149] op_sel_hi:[1,1,0] neg_lo:[0,0,1] neg_hi:[0,0,1]
	v_pk_fma_f32 v[144:145], v[144:145], v[98:99], v[150:151] op_sel:[1,0,0] op_sel_hi:[0,1,0]
	s_delay_alu instid0(VALU_DEP_1) | instskip(SKIP_1) | instid1(VALU_DEP_2)
	v_mov_b32_e32 v149, v145
	v_pk_mul_f32 v[144:145], v[146:147], v[136:137] op_sel:[0,1]
	v_pk_add_f32 v[22:23], v[22:23], v[148:149] neg_lo:[0,1] neg_hi:[0,1]
	s_delay_alu instid0(VALU_DEP_2) | instskip(SKIP_1) | instid1(VALU_DEP_1)
	v_pk_fma_f32 v[148:149], v[146:147], v[134:135], v[144:145] op_sel:[0,0,1] op_sel_hi:[1,1,0] neg_lo:[0,0,1] neg_hi:[0,0,1]
	v_pk_fma_f32 v[144:145], v[146:147], v[134:135], v[144:145] op_sel:[0,0,1] op_sel_hi:[1,0,0]
	v_mov_b32_e32 v149, v145
	ds_load_2addr_b64 v[144:147], v138 offset0:41 offset1:42
	v_pk_add_f32 v[68:69], v[68:69], v[148:149] neg_lo:[0,1] neg_hi:[0,1]
	s_wait_dscnt 0x0
	v_pk_mul_f32 v[148:149], v[144:145], v[136:137] op_sel:[0,1]
	s_delay_alu instid0(VALU_DEP_1) | instskip(SKIP_1) | instid1(VALU_DEP_1)
	v_pk_fma_f32 v[150:151], v[144:145], v[134:135], v[148:149] op_sel:[0,0,1] op_sel_hi:[1,1,0] neg_lo:[0,0,1] neg_hi:[0,0,1]
	v_pk_fma_f32 v[144:145], v[144:145], v[134:135], v[148:149] op_sel:[0,0,1] op_sel_hi:[1,0,0]
	v_mov_b32_e32 v151, v145
	v_pk_mul_f32 v[144:145], v[146:147], v[136:137] op_sel:[0,1]
	s_delay_alu instid0(VALU_DEP_2) | instskip(NEXT) | instid1(VALU_DEP_2)
	v_pk_add_f32 v[64:65], v[64:65], v[150:151] neg_lo:[0,1] neg_hi:[0,1]
	v_pk_fma_f32 v[148:149], v[146:147], v[134:135], v[144:145] op_sel:[0,0,1] op_sel_hi:[1,1,0] neg_lo:[0,0,1] neg_hi:[0,0,1]
	v_pk_fma_f32 v[144:145], v[146:147], v[134:135], v[144:145] op_sel:[0,0,1] op_sel_hi:[1,0,0]
	s_delay_alu instid0(VALU_DEP_1) | instskip(SKIP_4) | instid1(VALU_DEP_1)
	v_mov_b32_e32 v149, v145
	ds_load_2addr_b64 v[144:147], v138 offset0:43 offset1:44
	v_pk_add_f32 v[66:67], v[66:67], v[148:149] neg_lo:[0,1] neg_hi:[0,1]
	s_wait_dscnt 0x0
	v_pk_mul_f32 v[148:149], v[144:145], v[136:137] op_sel:[0,1]
	v_pk_fma_f32 v[150:151], v[144:145], v[134:135], v[148:149] op_sel:[0,0,1] op_sel_hi:[1,1,0] neg_lo:[0,0,1] neg_hi:[0,0,1]
	v_pk_fma_f32 v[144:145], v[144:145], v[134:135], v[148:149] op_sel:[0,0,1] op_sel_hi:[1,0,0]
	v_dual_mul_f32 v148, v147, v137 :: v_dual_mov_b32 v144, v147
	s_delay_alu instid0(VALU_DEP_2) | instskip(NEXT) | instid1(VALU_DEP_2)
	v_dual_mov_b32 v151, v145 :: v_dual_mov_b32 v145, v146
	v_pk_fma_f32 v[148:149], v[146:147], v[98:99], v[148:149] op_sel_hi:[1,1,0] neg_lo:[0,0,1] neg_hi:[0,0,1]
	v_mul_f32_e32 v146, v147, v134
	s_delay_alu instid0(VALU_DEP_3) | instskip(NEXT) | instid1(VALU_DEP_2)
	v_pk_add_f32 v[18:19], v[18:19], v[150:151] neg_lo:[0,1] neg_hi:[0,1]
	v_pk_fma_f32 v[144:145], v[144:145], v[98:99], v[146:147] op_sel_hi:[1,1,0]
	s_delay_alu instid0(VALU_DEP_1) | instskip(SKIP_4) | instid1(VALU_DEP_1)
	v_mov_b32_e32 v149, v145
	ds_load_2addr_b64 v[144:147], v138 offset0:45 offset1:46
	v_pk_add_f32 v[60:61], v[60:61], v[148:149] neg_lo:[0,1] neg_hi:[0,1]
	s_wait_dscnt 0x0
	v_pk_mul_f32 v[148:149], v[144:145], v[136:137] op_sel:[0,1]
	v_pk_fma_f32 v[150:151], v[144:145], v[134:135], v[148:149] op_sel:[0,0,1] op_sel_hi:[1,1,0] neg_lo:[0,0,1] neg_hi:[0,0,1]
	v_pk_fma_f32 v[144:145], v[144:145], v[134:135], v[148:149] op_sel:[0,0,1] op_sel_hi:[1,0,0]
	s_delay_alu instid0(VALU_DEP_1) | instskip(SKIP_1) | instid1(VALU_DEP_1)
	v_mov_b32_e32 v151, v145
	v_pk_mul_f32 v[144:145], v[146:147], v[136:137] op_sel:[0,1]
	v_pk_fma_f32 v[148:149], v[146:147], v[134:135], v[144:145] op_sel:[0,0,1] op_sel_hi:[1,1,0] neg_lo:[0,0,1] neg_hi:[0,0,1]
	v_pk_fma_f32 v[144:145], v[146:147], v[134:135], v[144:145] op_sel:[0,0,1] op_sel_hi:[1,0,0]
	s_delay_alu instid0(VALU_DEP_1)
	v_mov_b32_e32 v149, v145
	ds_load_2addr_b64 v[144:147], v138 offset0:47 offset1:48
	v_pk_add_f32 v[56:57], v[56:57], v[150:151] neg_lo:[0,1] neg_hi:[0,1]
	v_pk_add_f32 v[58:59], v[58:59], v[148:149] neg_lo:[0,1] neg_hi:[0,1]
	s_wait_dscnt 0x0
	v_pk_mul_f32 v[148:149], v[144:145], v[136:137] op_sel:[0,1]
	s_delay_alu instid0(VALU_DEP_1) | instskip(SKIP_1) | instid1(VALU_DEP_1)
	v_pk_fma_f32 v[150:151], v[144:145], v[134:135], v[148:149] op_sel:[0,0,1] op_sel_hi:[1,1,0] neg_lo:[0,0,1] neg_hi:[0,0,1]
	v_pk_fma_f32 v[144:145], v[144:145], v[134:135], v[148:149] op_sel:[0,0,1] op_sel_hi:[1,0,0]
	v_mov_b32_e32 v151, v145
	v_pk_mul_f32 v[144:145], v[146:147], v[136:137] op_sel:[0,1]
	s_delay_alu instid0(VALU_DEP_1) | instskip(SKIP_1) | instid1(VALU_DEP_1)
	v_pk_fma_f32 v[148:149], v[146:147], v[134:135], v[144:145] op_sel:[0,0,1] op_sel_hi:[1,1,0] neg_lo:[0,0,1] neg_hi:[0,0,1]
	v_pk_fma_f32 v[144:145], v[146:147], v[134:135], v[144:145] op_sel:[0,0,1] op_sel_hi:[1,0,0]
	v_mov_b32_e32 v149, v145
	ds_load_2addr_b64 v[144:147], v138 offset0:49 offset1:50
	v_pk_add_f32 v[12:13], v[12:13], v[150:151] neg_lo:[0,1] neg_hi:[0,1]
	v_pk_add_f32 v[54:55], v[54:55], v[148:149] neg_lo:[0,1] neg_hi:[0,1]
	s_wait_dscnt 0x0
	v_dual_mul_f32 v148, v145, v137 :: v_dual_mul_f32 v150, v145, v134
	s_delay_alu instid0(VALU_DEP_1) | instskip(NEXT) | instid1(VALU_DEP_2)
	v_pk_fma_f32 v[148:149], v[144:145], v[98:99], v[148:149] op_sel_hi:[1,1,0] neg_lo:[0,0,1] neg_hi:[0,0,1]
	v_pk_fma_f32 v[144:145], v[144:145], v[98:99], v[150:151] op_sel:[1,0,0] op_sel_hi:[0,1,0]
	s_delay_alu instid0(VALU_DEP_1) | instskip(SKIP_1) | instid1(VALU_DEP_2)
	v_mov_b32_e32 v149, v145
	v_pk_mul_f32 v[144:145], v[146:147], v[136:137] op_sel:[0,1]
	v_pk_add_f32 v[52:53], v[52:53], v[148:149] neg_lo:[0,1] neg_hi:[0,1]
	s_delay_alu instid0(VALU_DEP_2) | instskip(SKIP_1) | instid1(VALU_DEP_1)
	v_pk_fma_f32 v[148:149], v[146:147], v[134:135], v[144:145] op_sel:[0,0,1] op_sel_hi:[1,1,0] neg_lo:[0,0,1] neg_hi:[0,0,1]
	v_pk_fma_f32 v[144:145], v[146:147], v[134:135], v[144:145] op_sel:[0,0,1] op_sel_hi:[1,0,0]
	v_mov_b32_e32 v149, v145
	ds_load_2addr_b64 v[144:147], v138 offset0:51 offset1:52
	v_pk_add_f32 v[62:63], v[62:63], v[148:149] neg_lo:[0,1] neg_hi:[0,1]
	s_wait_dscnt 0x0
	v_pk_mul_f32 v[148:149], v[144:145], v[136:137] op_sel:[0,1]
	s_delay_alu instid0(VALU_DEP_1) | instskip(SKIP_1) | instid1(VALU_DEP_1)
	v_pk_fma_f32 v[150:151], v[144:145], v[134:135], v[148:149] op_sel:[0,0,1] op_sel_hi:[1,1,0] neg_lo:[0,0,1] neg_hi:[0,0,1]
	v_pk_fma_f32 v[144:145], v[144:145], v[134:135], v[148:149] op_sel:[0,0,1] op_sel_hi:[1,0,0]
	v_mov_b32_e32 v151, v145
	v_pk_mul_f32 v[144:145], v[146:147], v[136:137] op_sel:[0,1]
	s_delay_alu instid0(VALU_DEP_2) | instskip(NEXT) | instid1(VALU_DEP_2)
	v_pk_add_f32 v[16:17], v[16:17], v[150:151] neg_lo:[0,1] neg_hi:[0,1]
	v_pk_fma_f32 v[148:149], v[146:147], v[134:135], v[144:145] op_sel:[0,0,1] op_sel_hi:[1,1,0] neg_lo:[0,0,1] neg_hi:[0,0,1]
	v_pk_fma_f32 v[144:145], v[146:147], v[134:135], v[144:145] op_sel:[0,0,1] op_sel_hi:[1,0,0]
	s_delay_alu instid0(VALU_DEP_1) | instskip(SKIP_4) | instid1(VALU_DEP_1)
	v_mov_b32_e32 v149, v145
	ds_load_2addr_b64 v[144:147], v138 offset0:53 offset1:54
	v_pk_add_f32 v[48:49], v[48:49], v[148:149] neg_lo:[0,1] neg_hi:[0,1]
	s_wait_dscnt 0x0
	v_pk_mul_f32 v[148:149], v[144:145], v[136:137] op_sel:[0,1]
	v_pk_fma_f32 v[150:151], v[144:145], v[134:135], v[148:149] op_sel:[0,0,1] op_sel_hi:[1,1,0] neg_lo:[0,0,1] neg_hi:[0,0,1]
	v_pk_fma_f32 v[144:145], v[144:145], v[134:135], v[148:149] op_sel:[0,0,1] op_sel_hi:[1,0,0]
	v_dual_mul_f32 v148, v147, v137 :: v_dual_mov_b32 v144, v147
	s_delay_alu instid0(VALU_DEP_2) | instskip(NEXT) | instid1(VALU_DEP_2)
	v_dual_mov_b32 v151, v145 :: v_dual_mov_b32 v145, v146
	v_pk_fma_f32 v[148:149], v[146:147], v[98:99], v[148:149] op_sel_hi:[1,1,0] neg_lo:[0,0,1] neg_hi:[0,0,1]
	v_mul_f32_e32 v146, v147, v134
	s_delay_alu instid0(VALU_DEP_3) | instskip(NEXT) | instid1(VALU_DEP_2)
	v_pk_add_f32 v[42:43], v[42:43], v[150:151] neg_lo:[0,1] neg_hi:[0,1]
	v_pk_fma_f32 v[144:145], v[144:145], v[98:99], v[146:147] op_sel_hi:[1,1,0]
	s_delay_alu instid0(VALU_DEP_1) | instskip(SKIP_4) | instid1(VALU_DEP_1)
	v_mov_b32_e32 v149, v145
	ds_load_2addr_b64 v[144:147], v138 offset0:55 offset1:56
	v_pk_add_f32 v[46:47], v[46:47], v[148:149] neg_lo:[0,1] neg_hi:[0,1]
	s_wait_dscnt 0x0
	v_pk_mul_f32 v[148:149], v[144:145], v[136:137] op_sel:[0,1]
	v_pk_fma_f32 v[150:151], v[144:145], v[134:135], v[148:149] op_sel:[0,0,1] op_sel_hi:[1,1,0] neg_lo:[0,0,1] neg_hi:[0,0,1]
	v_pk_fma_f32 v[144:145], v[144:145], v[134:135], v[148:149] op_sel:[0,0,1] op_sel_hi:[1,0,0]
	s_delay_alu instid0(VALU_DEP_1) | instskip(SKIP_1) | instid1(VALU_DEP_1)
	v_mov_b32_e32 v151, v145
	v_pk_mul_f32 v[144:145], v[146:147], v[136:137] op_sel:[0,1]
	v_pk_fma_f32 v[148:149], v[146:147], v[134:135], v[144:145] op_sel:[0,0,1] op_sel_hi:[1,1,0] neg_lo:[0,0,1] neg_hi:[0,0,1]
	v_pk_fma_f32 v[144:145], v[146:147], v[134:135], v[144:145] op_sel:[0,0,1] op_sel_hi:[1,0,0]
	s_delay_alu instid0(VALU_DEP_1)
	v_mov_b32_e32 v149, v145
	ds_load_2addr_b64 v[144:147], v138 offset0:57 offset1:58
	v_pk_add_f32 v[8:9], v[8:9], v[150:151] neg_lo:[0,1] neg_hi:[0,1]
	v_pk_add_f32 v[32:33], v[32:33], v[148:149] neg_lo:[0,1] neg_hi:[0,1]
	s_wait_dscnt 0x0
	v_pk_mul_f32 v[148:149], v[144:145], v[136:137] op_sel:[0,1]
	s_delay_alu instid0(VALU_DEP_1) | instskip(SKIP_1) | instid1(VALU_DEP_1)
	v_pk_fma_f32 v[150:151], v[144:145], v[134:135], v[148:149] op_sel:[0,0,1] op_sel_hi:[1,1,0] neg_lo:[0,0,1] neg_hi:[0,0,1]
	v_pk_fma_f32 v[144:145], v[144:145], v[134:135], v[148:149] op_sel:[0,0,1] op_sel_hi:[1,0,0]
	v_mov_b32_e32 v151, v145
	v_pk_mul_f32 v[144:145], v[146:147], v[136:137] op_sel:[0,1]
	s_delay_alu instid0(VALU_DEP_1) | instskip(SKIP_1) | instid1(VALU_DEP_1)
	v_pk_fma_f32 v[148:149], v[146:147], v[134:135], v[144:145] op_sel:[0,0,1] op_sel_hi:[1,1,0] neg_lo:[0,0,1] neg_hi:[0,0,1]
	v_pk_fma_f32 v[144:145], v[146:147], v[134:135], v[144:145] op_sel:[0,0,1] op_sel_hi:[1,0,0]
	v_mov_b32_e32 v149, v145
	ds_load_2addr_b64 v[144:147], v138 offset0:59 offset1:60
	v_pk_add_f32 v[28:29], v[28:29], v[150:151] neg_lo:[0,1] neg_hi:[0,1]
	v_pk_add_f32 v[30:31], v[30:31], v[148:149] neg_lo:[0,1] neg_hi:[0,1]
	s_wait_dscnt 0x0
	v_dual_mul_f32 v148, v145, v137 :: v_dual_mul_f32 v150, v145, v134
	s_delay_alu instid0(VALU_DEP_1) | instskip(NEXT) | instid1(VALU_DEP_2)
	v_pk_fma_f32 v[148:149], v[144:145], v[98:99], v[148:149] op_sel_hi:[1,1,0] neg_lo:[0,0,1] neg_hi:[0,0,1]
	v_pk_fma_f32 v[144:145], v[144:145], v[98:99], v[150:151] op_sel:[1,0,0] op_sel_hi:[0,1,0]
	s_delay_alu instid0(VALU_DEP_1) | instskip(SKIP_1) | instid1(VALU_DEP_2)
	v_mov_b32_e32 v149, v145
	v_pk_mul_f32 v[144:145], v[146:147], v[136:137] op_sel:[0,1]
	v_pk_add_f32 v[6:7], v[6:7], v[148:149] neg_lo:[0,1] neg_hi:[0,1]
	s_delay_alu instid0(VALU_DEP_2) | instskip(SKIP_1) | instid1(VALU_DEP_1)
	v_pk_fma_f32 v[148:149], v[146:147], v[134:135], v[144:145] op_sel:[0,0,1] op_sel_hi:[1,1,0] neg_lo:[0,0,1] neg_hi:[0,0,1]
	v_pk_fma_f32 v[144:145], v[146:147], v[134:135], v[144:145] op_sel:[0,0,1] op_sel_hi:[1,0,0]
	v_mov_b32_e32 v149, v145
	ds_load_2addr_b64 v[144:147], v138 offset0:61 offset1:62
	v_pk_add_f32 v[20:21], v[20:21], v[148:149] neg_lo:[0,1] neg_hi:[0,1]
	s_wait_dscnt 0x0
	v_pk_mul_f32 v[148:149], v[144:145], v[136:137] op_sel:[0,1]
	s_delay_alu instid0(VALU_DEP_1) | instskip(SKIP_1) | instid1(VALU_DEP_1)
	v_pk_fma_f32 v[150:151], v[144:145], v[134:135], v[148:149] op_sel:[0,0,1] op_sel_hi:[1,1,0] neg_lo:[0,0,1] neg_hi:[0,0,1]
	v_pk_fma_f32 v[144:145], v[144:145], v[134:135], v[148:149] op_sel:[0,0,1] op_sel_hi:[1,0,0]
	v_mov_b32_e32 v151, v145
	v_pk_mul_f32 v[144:145], v[146:147], v[136:137] op_sel:[0,1]
	s_delay_alu instid0(VALU_DEP_2) | instskip(NEXT) | instid1(VALU_DEP_2)
	v_pk_add_f32 v[14:15], v[14:15], v[150:151] neg_lo:[0,1] neg_hi:[0,1]
	v_pk_fma_f32 v[148:149], v[146:147], v[134:135], v[144:145] op_sel:[0,0,1] op_sel_hi:[1,1,0] neg_lo:[0,0,1] neg_hi:[0,0,1]
	v_pk_fma_f32 v[144:145], v[146:147], v[134:135], v[144:145] op_sel:[0,0,1] op_sel_hi:[1,0,0]
	s_delay_alu instid0(VALU_DEP_1) | instskip(SKIP_4) | instid1(VALU_DEP_1)
	v_mov_b32_e32 v149, v145
	ds_load_b64 v[144:145], v138 offset:504
	v_pk_add_f32 v[10:11], v[10:11], v[148:149] neg_lo:[0,1] neg_hi:[0,1]
	s_wait_dscnt 0x0
	v_pk_mul_f32 v[136:137], v[144:145], v[136:137] op_sel:[0,1]
	v_pk_fma_f32 v[146:147], v[144:145], v[134:135], v[136:137] op_sel:[0,0,1] op_sel_hi:[1,1,0] neg_lo:[0,0,1] neg_hi:[0,0,1]
	v_pk_fma_f32 v[134:135], v[144:145], v[134:135], v[136:137] op_sel:[0,0,1] op_sel_hi:[1,0,0]
	s_delay_alu instid0(VALU_DEP_1) | instskip(NEXT) | instid1(VALU_DEP_1)
	v_mov_b32_e32 v147, v135
	v_pk_add_f32 v[132:133], v[132:133], v[146:147] neg_lo:[0,1] neg_hi:[0,1]
.LBB126_440:
	s_or_b32 exec_lo, exec_lo, s0
	v_lshl_add_u32 v134, v142, 3, v138
	s_barrier_signal -1
	s_barrier_wait -1
	ds_store_b64 v134, v[94:95]
	s_wait_dscnt 0x0
	s_barrier_signal -1
	s_barrier_wait -1
	ds_load_b64 v[136:137], v138 offset:168
	v_mov_b32_e32 v134, 21
	s_cmp_lt_i32 s18, 23
	s_cbranch_scc1 .LBB126_443
; %bb.441:
	v_add3_u32 v135, v139, 0, 0xb0
	v_mov_b32_e32 v134, 21
	s_mov_b32 s0, 22
.LBB126_442:                            ; =>This Inner Loop Header: Depth=1
	ds_load_b64 v[144:145], v135
	s_wait_dscnt 0x1
	v_cmp_gt_f32_e32 vcc_lo, 0, v136
	v_cndmask_b32_e64 v146, v136, -v136, vcc_lo
	v_cmp_gt_f32_e32 vcc_lo, 0, v137
	v_cndmask_b32_e64 v148, v137, -v137, vcc_lo
	s_wait_dscnt 0x0
	v_cmp_gt_f32_e32 vcc_lo, 0, v144
	v_cndmask_b32_e64 v147, v144, -v144, vcc_lo
	v_cmp_gt_f32_e32 vcc_lo, 0, v145
	v_cndmask_b32_e64 v149, v145, -v145, vcc_lo
	s_delay_alu instid0(VALU_DEP_1) | instskip(NEXT) | instid1(VALU_DEP_1)
	v_pk_add_f32 v[146:147], v[146:147], v[148:149]
	v_cmp_lt_f32_e32 vcc_lo, v146, v147
	v_dual_add_nc_u32 v135, 8, v135 :: v_dual_cndmask_b32 v137, v137, v145, vcc_lo
	v_cndmask_b32_e32 v136, v136, v144, vcc_lo
	v_cndmask_b32_e64 v134, v134, s0, vcc_lo
	s_add_co_i32 s0, s0, 1
	s_delay_alu instid0(SALU_CYCLE_1)
	s_cmp_lg_u32 s18, s0
	s_cbranch_scc1 .LBB126_442
.LBB126_443:
	s_wait_dscnt 0x0
	v_cmp_eq_f32_e32 vcc_lo, 0, v136
	v_cmp_eq_f32_e64 s0, 0, v137
	s_and_b32 s0, vcc_lo, s0
	s_delay_alu instid0(SALU_CYCLE_1) | instskip(NEXT) | instid1(SALU_CYCLE_1)
	s_and_saveexec_b32 s1, s0
	s_xor_b32 s0, exec_lo, s1
; %bb.444:
	v_cmp_ne_u32_e32 vcc_lo, 0, v140
	v_cndmask_b32_e32 v140, 22, v140, vcc_lo
; %bb.445:
	s_and_not1_saveexec_b32 s0, s0
	s_cbranch_execz .LBB126_451
; %bb.446:
	v_cmp_ngt_f32_e64 s1, |v136|, |v137|
	s_and_saveexec_b32 s12, s1
	s_delay_alu instid0(SALU_CYCLE_1)
	s_xor_b32 s1, exec_lo, s12
	s_cbranch_execz .LBB126_448
; %bb.447:
	v_div_scale_f32 v135, null, v137, v137, v136
	v_div_scale_f32 v145, vcc_lo, v136, v137, v136
	s_delay_alu instid0(VALU_DEP_2) | instskip(SKIP_1) | instid1(TRANS32_DEP_1)
	v_rcp_f32_e32 v143, v135
	v_nop
	v_fma_f32 v144, -v135, v143, 1.0
	s_delay_alu instid0(VALU_DEP_1) | instskip(NEXT) | instid1(VALU_DEP_1)
	v_fmac_f32_e32 v143, v144, v143
	v_mul_f32_e32 v144, v145, v143
	s_delay_alu instid0(VALU_DEP_1) | instskip(NEXT) | instid1(VALU_DEP_1)
	v_fma_f32 v146, -v135, v144, v145
	v_fmac_f32_e32 v144, v146, v143
	s_delay_alu instid0(VALU_DEP_1) | instskip(NEXT) | instid1(VALU_DEP_1)
	v_fma_f32 v135, -v135, v144, v145
	v_div_fmas_f32 v135, v135, v143, v144
	s_delay_alu instid0(VALU_DEP_1) | instskip(NEXT) | instid1(VALU_DEP_1)
	v_div_fixup_f32 v135, v135, v137, v136
	v_fmac_f32_e32 v137, v136, v135
	s_delay_alu instid0(VALU_DEP_1) | instskip(SKIP_1) | instid1(VALU_DEP_2)
	v_div_scale_f32 v136, null, v137, v137, 1.0
	v_div_scale_f32 v145, vcc_lo, 1.0, v137, 1.0
	v_rcp_f32_e32 v143, v136
	v_nop
	s_delay_alu instid0(TRANS32_DEP_1) | instskip(NEXT) | instid1(VALU_DEP_1)
	v_fma_f32 v144, -v136, v143, 1.0
	v_fmac_f32_e32 v143, v144, v143
	s_delay_alu instid0(VALU_DEP_1) | instskip(NEXT) | instid1(VALU_DEP_1)
	v_mul_f32_e32 v144, v145, v143
	v_fma_f32 v146, -v136, v144, v145
	s_delay_alu instid0(VALU_DEP_1) | instskip(NEXT) | instid1(VALU_DEP_1)
	v_fmac_f32_e32 v144, v146, v143
	v_fma_f32 v136, -v136, v144, v145
	s_delay_alu instid0(VALU_DEP_1) | instskip(NEXT) | instid1(VALU_DEP_1)
	v_div_fmas_f32 v136, v136, v143, v144
	v_div_fixup_f32 v137, v136, v137, 1.0
	s_delay_alu instid0(VALU_DEP_1)
	v_mul_f32_e32 v136, v135, v137
	v_xor_b32_e32 v137, 0x80000000, v137
.LBB126_448:
	s_and_not1_saveexec_b32 s1, s1
	s_cbranch_execz .LBB126_450
; %bb.449:
	s_delay_alu instid0(VALU_DEP_1) | instskip(SKIP_1) | instid1(VALU_DEP_2)
	v_div_scale_f32 v135, null, v136, v136, v137
	v_div_scale_f32 v145, vcc_lo, v137, v136, v137
	v_rcp_f32_e32 v143, v135
	v_nop
	s_delay_alu instid0(TRANS32_DEP_1) | instskip(NEXT) | instid1(VALU_DEP_1)
	v_fma_f32 v144, -v135, v143, 1.0
	v_fmac_f32_e32 v143, v144, v143
	s_delay_alu instid0(VALU_DEP_1) | instskip(NEXT) | instid1(VALU_DEP_1)
	v_mul_f32_e32 v144, v145, v143
	v_fma_f32 v146, -v135, v144, v145
	s_delay_alu instid0(VALU_DEP_1) | instskip(NEXT) | instid1(VALU_DEP_1)
	v_fmac_f32_e32 v144, v146, v143
	v_fma_f32 v135, -v135, v144, v145
	s_delay_alu instid0(VALU_DEP_1) | instskip(NEXT) | instid1(VALU_DEP_1)
	v_div_fmas_f32 v135, v135, v143, v144
	v_div_fixup_f32 v135, v135, v136, v137
	s_delay_alu instid0(VALU_DEP_1) | instskip(NEXT) | instid1(VALU_DEP_1)
	v_fmac_f32_e32 v136, v137, v135
	v_div_scale_f32 v137, null, v136, v136, 1.0
	s_delay_alu instid0(VALU_DEP_1) | instskip(SKIP_1) | instid1(TRANS32_DEP_1)
	v_rcp_f32_e32 v143, v137
	v_nop
	v_fma_f32 v144, -v137, v143, 1.0
	s_delay_alu instid0(VALU_DEP_1) | instskip(SKIP_1) | instid1(VALU_DEP_1)
	v_fmac_f32_e32 v143, v144, v143
	v_div_scale_f32 v144, vcc_lo, 1.0, v136, 1.0
	v_mul_f32_e32 v145, v144, v143
	s_delay_alu instid0(VALU_DEP_1) | instskip(NEXT) | instid1(VALU_DEP_1)
	v_fma_f32 v146, -v137, v145, v144
	v_fmac_f32_e32 v145, v146, v143
	s_delay_alu instid0(VALU_DEP_1) | instskip(NEXT) | instid1(VALU_DEP_1)
	v_fma_f32 v137, -v137, v145, v144
	v_div_fmas_f32 v137, v137, v143, v145
	s_delay_alu instid0(VALU_DEP_1) | instskip(NEXT) | instid1(VALU_DEP_1)
	v_div_fixup_f32 v136, v137, v136, 1.0
	v_mul_f32_e64 v137, v135, -v136
.LBB126_450:
	s_or_b32 exec_lo, exec_lo, s1
.LBB126_451:
	s_delay_alu instid0(SALU_CYCLE_1) | instskip(NEXT) | instid1(SALU_CYCLE_1)
	s_or_b32 exec_lo, exec_lo, s0
	s_mov_b32 s0, exec_lo
	v_cmpx_ne_u32_e64 v142, v134
	s_xor_b32 s0, exec_lo, s0
	s_cbranch_execz .LBB126_457
; %bb.452:
	s_mov_b32 s1, exec_lo
	v_cmpx_eq_u32_e32 21, v142
	s_cbranch_execz .LBB126_456
; %bb.453:
	v_cmp_ne_u32_e32 vcc_lo, 21, v134
	s_xor_b32 s12, s16, -1
	s_delay_alu instid0(SALU_CYCLE_1) | instskip(NEXT) | instid1(SALU_CYCLE_1)
	s_and_b32 s13, s12, vcc_lo
	s_and_saveexec_b32 s12, s13
	s_cbranch_execz .LBB126_455
; %bb.454:
	v_ashrrev_i32_e32 v135, 31, v134
	s_delay_alu instid0(VALU_DEP_1)
	v_lshl_add_u64 v[142:143], v[134:135], 2, v[4:5]
	s_clause 0x1
	global_load_b32 v135, v[142:143], off
	global_load_b32 v141, v[4:5], off offset:84
	s_wait_loadcnt 0x1
	global_store_b32 v[4:5], v135, off offset:84
	s_wait_loadcnt 0x0
	global_store_b32 v[142:143], v141, off
.LBB126_455:
	s_wait_xcnt 0x0
	s_or_b32 exec_lo, exec_lo, s12
	v_dual_mov_b32 v142, v134 :: v_dual_mov_b32 v141, v134
.LBB126_456:
	s_or_b32 exec_lo, exec_lo, s1
.LBB126_457:
	s_and_not1_saveexec_b32 s0, s0
	s_cbranch_execz .LBB126_459
; %bb.458:
	v_dual_mov_b32 v134, v96 :: v_dual_mov_b32 v135, v97
	v_dual_mov_b32 v142, v36 :: v_dual_mov_b32 v143, v37
	ds_store_2addr_b64 v138, v[134:135], v[142:143] offset0:22 offset1:23
	v_dual_mov_b32 v134, v92 :: v_dual_mov_b32 v135, v93
	v_dual_mov_b32 v142, v88 :: v_dual_mov_b32 v143, v89
	ds_store_2addr_b64 v138, v[134:135], v[142:143] offset0:24 offset1:25
	;; [unrolled: 3-line block ×20, first 2 shown]
	v_dual_mov_b32 v134, v10 :: v_dual_mov_b32 v135, v11
	v_mov_b32_e32 v142, 21
	ds_store_2addr_b64 v138, v[134:135], v[132:133] offset0:62 offset1:63
.LBB126_459:
	s_or_b32 exec_lo, exec_lo, s0
	s_delay_alu instid0(SALU_CYCLE_1)
	s_mov_b32 s0, exec_lo
	s_wait_storecnt_dscnt 0x0
	s_barrier_signal -1
	s_barrier_wait -1
	v_cmpx_lt_i32_e32 21, v142
	s_cbranch_execz .LBB126_461
; %bb.460:
	v_pk_mul_f32 v[144:145], v[136:137], v[94:95] op_sel:[1,1] op_sel_hi:[0,1]
	s_delay_alu instid0(VALU_DEP_1)
	v_pk_fma_f32 v[134:135], v[136:137], v[94:95], v[144:145] op_sel_hi:[1,0,1] neg_lo:[0,0,1] neg_hi:[0,0,1]
	v_pk_fma_f32 v[136:137], v[136:137], v[94:95], v[144:145] op_sel_hi:[1,0,1]
	ds_load_2addr_b64 v[144:147], v138 offset0:22 offset1:23
	v_dual_mov_b32 v94, v134 :: v_dual_mov_b32 v95, v137
	s_wait_dscnt 0x0
	v_pk_mul_f32 v[148:149], v[144:145], v[136:137] op_sel:[0,1]
	s_delay_alu instid0(VALU_DEP_1) | instskip(SKIP_1) | instid1(VALU_DEP_1)
	v_pk_fma_f32 v[150:151], v[144:145], v[134:135], v[148:149] op_sel:[0,0,1] op_sel_hi:[1,1,0] neg_lo:[0,0,1] neg_hi:[0,0,1]
	v_pk_fma_f32 v[144:145], v[144:145], v[134:135], v[148:149] op_sel:[0,0,1] op_sel_hi:[1,0,0]
	v_mov_b32_e32 v151, v145
	v_pk_mul_f32 v[144:145], v[146:147], v[136:137] op_sel:[0,1]
	s_delay_alu instid0(VALU_DEP_1) | instskip(SKIP_1) | instid1(VALU_DEP_1)
	v_pk_fma_f32 v[148:149], v[146:147], v[134:135], v[144:145] op_sel:[0,0,1] op_sel_hi:[1,1,0] neg_lo:[0,0,1] neg_hi:[0,0,1]
	v_pk_fma_f32 v[144:145], v[146:147], v[134:135], v[144:145] op_sel:[0,0,1] op_sel_hi:[1,0,0]
	v_mov_b32_e32 v149, v145
	ds_load_2addr_b64 v[144:147], v138 offset0:24 offset1:25
	v_pk_add_f32 v[96:97], v[96:97], v[150:151] neg_lo:[0,1] neg_hi:[0,1]
	v_pk_add_f32 v[36:37], v[36:37], v[148:149] neg_lo:[0,1] neg_hi:[0,1]
	s_wait_dscnt 0x0
	v_pk_mul_f32 v[148:149], v[144:145], v[136:137] op_sel:[0,1]
	s_delay_alu instid0(VALU_DEP_1) | instskip(SKIP_2) | instid1(VALU_DEP_2)
	v_pk_fma_f32 v[150:151], v[144:145], v[134:135], v[148:149] op_sel:[0,0,1] op_sel_hi:[1,1,0] neg_lo:[0,0,1] neg_hi:[0,0,1]
	v_pk_fma_f32 v[144:145], v[144:145], v[134:135], v[148:149] op_sel:[0,0,1] op_sel_hi:[1,0,0]
	v_dual_mul_f32 v148, v147, v137 :: v_dual_mov_b32 v144, v147
	v_dual_mov_b32 v151, v145 :: v_dual_mov_b32 v145, v146
	s_delay_alu instid0(VALU_DEP_2) | instskip(SKIP_1) | instid1(VALU_DEP_3)
	v_pk_fma_f32 v[148:149], v[146:147], v[94:95], v[148:149] op_sel_hi:[1,1,0] neg_lo:[0,0,1] neg_hi:[0,0,1]
	v_mul_f32_e32 v146, v147, v134
	v_pk_add_f32 v[92:93], v[92:93], v[150:151] neg_lo:[0,1] neg_hi:[0,1]
	s_delay_alu instid0(VALU_DEP_2) | instskip(NEXT) | instid1(VALU_DEP_1)
	v_pk_fma_f32 v[144:145], v[144:145], v[94:95], v[146:147] op_sel_hi:[1,1,0]
	v_mov_b32_e32 v149, v145
	ds_load_2addr_b64 v[144:147], v138 offset0:26 offset1:27
	v_pk_add_f32 v[88:89], v[88:89], v[148:149] neg_lo:[0,1] neg_hi:[0,1]
	s_wait_dscnt 0x0
	v_pk_mul_f32 v[148:149], v[144:145], v[136:137] op_sel:[0,1]
	s_delay_alu instid0(VALU_DEP_1) | instskip(SKIP_1) | instid1(VALU_DEP_1)
	v_pk_fma_f32 v[150:151], v[144:145], v[134:135], v[148:149] op_sel:[0,0,1] op_sel_hi:[1,1,0] neg_lo:[0,0,1] neg_hi:[0,0,1]
	v_pk_fma_f32 v[144:145], v[144:145], v[134:135], v[148:149] op_sel:[0,0,1] op_sel_hi:[1,0,0]
	v_mov_b32_e32 v151, v145
	v_pk_mul_f32 v[144:145], v[146:147], v[136:137] op_sel:[0,1]
	s_delay_alu instid0(VALU_DEP_1) | instskip(SKIP_1) | instid1(VALU_DEP_1)
	v_pk_fma_f32 v[148:149], v[146:147], v[134:135], v[144:145] op_sel:[0,0,1] op_sel_hi:[1,1,0] neg_lo:[0,0,1] neg_hi:[0,0,1]
	v_pk_fma_f32 v[144:145], v[146:147], v[134:135], v[144:145] op_sel:[0,0,1] op_sel_hi:[1,0,0]
	v_mov_b32_e32 v149, v145
	ds_load_2addr_b64 v[144:147], v138 offset0:28 offset1:29
	v_pk_add_f32 v[90:91], v[90:91], v[150:151] neg_lo:[0,1] neg_hi:[0,1]
	v_pk_add_f32 v[34:35], v[34:35], v[148:149] neg_lo:[0,1] neg_hi:[0,1]
	s_wait_dscnt 0x0
	v_pk_mul_f32 v[148:149], v[144:145], v[136:137] op_sel:[0,1]
	s_delay_alu instid0(VALU_DEP_1) | instskip(SKIP_1) | instid1(VALU_DEP_1)
	v_pk_fma_f32 v[150:151], v[144:145], v[134:135], v[148:149] op_sel:[0,0,1] op_sel_hi:[1,1,0] neg_lo:[0,0,1] neg_hi:[0,0,1]
	v_pk_fma_f32 v[144:145], v[144:145], v[134:135], v[148:149] op_sel:[0,0,1] op_sel_hi:[1,0,0]
	v_mov_b32_e32 v151, v145
	v_pk_mul_f32 v[144:145], v[146:147], v[136:137] op_sel:[0,1]
	s_delay_alu instid0(VALU_DEP_1) | instskip(SKIP_1) | instid1(VALU_DEP_1)
	v_pk_fma_f32 v[148:149], v[146:147], v[134:135], v[144:145] op_sel:[0,0,1] op_sel_hi:[1,1,0] neg_lo:[0,0,1] neg_hi:[0,0,1]
	v_pk_fma_f32 v[144:145], v[146:147], v[134:135], v[144:145] op_sel:[0,0,1] op_sel_hi:[1,0,0]
	v_mov_b32_e32 v149, v145
	ds_load_2addr_b64 v[144:147], v138 offset0:30 offset1:31
	v_pk_add_f32 v[86:87], v[86:87], v[150:151] neg_lo:[0,1] neg_hi:[0,1]
	v_pk_add_f32 v[82:83], v[82:83], v[148:149] neg_lo:[0,1] neg_hi:[0,1]
	s_wait_dscnt 0x0
	v_dual_mul_f32 v148, v145, v137 :: v_dual_mul_f32 v150, v145, v134
	s_delay_alu instid0(VALU_DEP_1) | instskip(NEXT) | instid1(VALU_DEP_2)
	v_pk_fma_f32 v[148:149], v[144:145], v[94:95], v[148:149] op_sel_hi:[1,1,0] neg_lo:[0,0,1] neg_hi:[0,0,1]
	v_pk_fma_f32 v[144:145], v[144:145], v[94:95], v[150:151] op_sel:[1,0,0] op_sel_hi:[0,1,0]
	s_delay_alu instid0(VALU_DEP_1) | instskip(SKIP_1) | instid1(VALU_DEP_2)
	v_mov_b32_e32 v149, v145
	v_pk_mul_f32 v[144:145], v[146:147], v[136:137] op_sel:[0,1]
	v_pk_add_f32 v[84:85], v[84:85], v[148:149] neg_lo:[0,1] neg_hi:[0,1]
	s_delay_alu instid0(VALU_DEP_2) | instskip(SKIP_1) | instid1(VALU_DEP_1)
	v_pk_fma_f32 v[148:149], v[146:147], v[134:135], v[144:145] op_sel:[0,0,1] op_sel_hi:[1,1,0] neg_lo:[0,0,1] neg_hi:[0,0,1]
	v_pk_fma_f32 v[144:145], v[146:147], v[134:135], v[144:145] op_sel:[0,0,1] op_sel_hi:[1,0,0]
	v_mov_b32_e32 v149, v145
	ds_load_2addr_b64 v[144:147], v138 offset0:32 offset1:33
	v_pk_add_f32 v[26:27], v[26:27], v[148:149] neg_lo:[0,1] neg_hi:[0,1]
	s_wait_dscnt 0x0
	v_pk_mul_f32 v[148:149], v[144:145], v[136:137] op_sel:[0,1]
	s_delay_alu instid0(VALU_DEP_1) | instskip(SKIP_1) | instid1(VALU_DEP_1)
	v_pk_fma_f32 v[150:151], v[144:145], v[134:135], v[148:149] op_sel:[0,0,1] op_sel_hi:[1,1,0] neg_lo:[0,0,1] neg_hi:[0,0,1]
	v_pk_fma_f32 v[144:145], v[144:145], v[134:135], v[148:149] op_sel:[0,0,1] op_sel_hi:[1,0,0]
	v_mov_b32_e32 v151, v145
	v_pk_mul_f32 v[144:145], v[146:147], v[136:137] op_sel:[0,1]
	s_delay_alu instid0(VALU_DEP_2) | instskip(NEXT) | instid1(VALU_DEP_2)
	v_pk_add_f32 v[80:81], v[80:81], v[150:151] neg_lo:[0,1] neg_hi:[0,1]
	v_pk_fma_f32 v[148:149], v[146:147], v[134:135], v[144:145] op_sel:[0,0,1] op_sel_hi:[1,1,0] neg_lo:[0,0,1] neg_hi:[0,0,1]
	v_pk_fma_f32 v[144:145], v[146:147], v[134:135], v[144:145] op_sel:[0,0,1] op_sel_hi:[1,0,0]
	s_delay_alu instid0(VALU_DEP_1) | instskip(SKIP_4) | instid1(VALU_DEP_1)
	v_mov_b32_e32 v149, v145
	ds_load_2addr_b64 v[144:147], v138 offset0:34 offset1:35
	v_pk_add_f32 v[76:77], v[76:77], v[148:149] neg_lo:[0,1] neg_hi:[0,1]
	s_wait_dscnt 0x0
	v_pk_mul_f32 v[148:149], v[144:145], v[136:137] op_sel:[0,1]
	v_pk_fma_f32 v[150:151], v[144:145], v[134:135], v[148:149] op_sel:[0,0,1] op_sel_hi:[1,1,0] neg_lo:[0,0,1] neg_hi:[0,0,1]
	v_pk_fma_f32 v[144:145], v[144:145], v[134:135], v[148:149] op_sel:[0,0,1] op_sel_hi:[1,0,0]
	v_dual_mul_f32 v148, v147, v137 :: v_dual_mov_b32 v144, v147
	s_delay_alu instid0(VALU_DEP_2) | instskip(NEXT) | instid1(VALU_DEP_2)
	v_dual_mov_b32 v151, v145 :: v_dual_mov_b32 v145, v146
	v_pk_fma_f32 v[148:149], v[146:147], v[94:95], v[148:149] op_sel_hi:[1,1,0] neg_lo:[0,0,1] neg_hi:[0,0,1]
	v_mul_f32_e32 v146, v147, v134
	s_delay_alu instid0(VALU_DEP_3) | instskip(NEXT) | instid1(VALU_DEP_2)
	v_pk_add_f32 v[78:79], v[78:79], v[150:151] neg_lo:[0,1] neg_hi:[0,1]
	v_pk_fma_f32 v[144:145], v[144:145], v[94:95], v[146:147] op_sel_hi:[1,1,0]
	s_delay_alu instid0(VALU_DEP_1) | instskip(SKIP_4) | instid1(VALU_DEP_1)
	v_mov_b32_e32 v149, v145
	ds_load_2addr_b64 v[144:147], v138 offset0:36 offset1:37
	v_pk_add_f32 v[24:25], v[24:25], v[148:149] neg_lo:[0,1] neg_hi:[0,1]
	s_wait_dscnt 0x0
	v_pk_mul_f32 v[148:149], v[144:145], v[136:137] op_sel:[0,1]
	v_pk_fma_f32 v[150:151], v[144:145], v[134:135], v[148:149] op_sel:[0,0,1] op_sel_hi:[1,1,0] neg_lo:[0,0,1] neg_hi:[0,0,1]
	v_pk_fma_f32 v[144:145], v[144:145], v[134:135], v[148:149] op_sel:[0,0,1] op_sel_hi:[1,0,0]
	s_delay_alu instid0(VALU_DEP_1) | instskip(SKIP_1) | instid1(VALU_DEP_1)
	v_mov_b32_e32 v151, v145
	v_pk_mul_f32 v[144:145], v[146:147], v[136:137] op_sel:[0,1]
	v_pk_fma_f32 v[148:149], v[146:147], v[134:135], v[144:145] op_sel:[0,0,1] op_sel_hi:[1,1,0] neg_lo:[0,0,1] neg_hi:[0,0,1]
	v_pk_fma_f32 v[144:145], v[146:147], v[134:135], v[144:145] op_sel:[0,0,1] op_sel_hi:[1,0,0]
	s_delay_alu instid0(VALU_DEP_1)
	v_mov_b32_e32 v149, v145
	ds_load_2addr_b64 v[144:147], v138 offset0:38 offset1:39
	v_pk_add_f32 v[74:75], v[74:75], v[150:151] neg_lo:[0,1] neg_hi:[0,1]
	v_pk_add_f32 v[70:71], v[70:71], v[148:149] neg_lo:[0,1] neg_hi:[0,1]
	s_wait_dscnt 0x0
	v_pk_mul_f32 v[148:149], v[144:145], v[136:137] op_sel:[0,1]
	s_delay_alu instid0(VALU_DEP_1) | instskip(SKIP_1) | instid1(VALU_DEP_1)
	v_pk_fma_f32 v[150:151], v[144:145], v[134:135], v[148:149] op_sel:[0,0,1] op_sel_hi:[1,1,0] neg_lo:[0,0,1] neg_hi:[0,0,1]
	v_pk_fma_f32 v[144:145], v[144:145], v[134:135], v[148:149] op_sel:[0,0,1] op_sel_hi:[1,0,0]
	v_mov_b32_e32 v151, v145
	v_pk_mul_f32 v[144:145], v[146:147], v[136:137] op_sel:[0,1]
	s_delay_alu instid0(VALU_DEP_1) | instskip(SKIP_1) | instid1(VALU_DEP_1)
	v_pk_fma_f32 v[148:149], v[146:147], v[134:135], v[144:145] op_sel:[0,0,1] op_sel_hi:[1,1,0] neg_lo:[0,0,1] neg_hi:[0,0,1]
	v_pk_fma_f32 v[144:145], v[146:147], v[134:135], v[144:145] op_sel:[0,0,1] op_sel_hi:[1,0,0]
	v_mov_b32_e32 v149, v145
	ds_load_2addr_b64 v[144:147], v138 offset0:40 offset1:41
	v_pk_add_f32 v[72:73], v[72:73], v[150:151] neg_lo:[0,1] neg_hi:[0,1]
	v_pk_add_f32 v[22:23], v[22:23], v[148:149] neg_lo:[0,1] neg_hi:[0,1]
	s_wait_dscnt 0x0
	v_dual_mul_f32 v148, v145, v137 :: v_dual_mul_f32 v150, v145, v134
	s_delay_alu instid0(VALU_DEP_1) | instskip(NEXT) | instid1(VALU_DEP_2)
	v_pk_fma_f32 v[148:149], v[144:145], v[94:95], v[148:149] op_sel_hi:[1,1,0] neg_lo:[0,0,1] neg_hi:[0,0,1]
	v_pk_fma_f32 v[144:145], v[144:145], v[94:95], v[150:151] op_sel:[1,0,0] op_sel_hi:[0,1,0]
	s_delay_alu instid0(VALU_DEP_1) | instskip(SKIP_1) | instid1(VALU_DEP_2)
	v_mov_b32_e32 v149, v145
	v_pk_mul_f32 v[144:145], v[146:147], v[136:137] op_sel:[0,1]
	v_pk_add_f32 v[68:69], v[68:69], v[148:149] neg_lo:[0,1] neg_hi:[0,1]
	s_delay_alu instid0(VALU_DEP_2) | instskip(SKIP_1) | instid1(VALU_DEP_1)
	v_pk_fma_f32 v[148:149], v[146:147], v[134:135], v[144:145] op_sel:[0,0,1] op_sel_hi:[1,1,0] neg_lo:[0,0,1] neg_hi:[0,0,1]
	v_pk_fma_f32 v[144:145], v[146:147], v[134:135], v[144:145] op_sel:[0,0,1] op_sel_hi:[1,0,0]
	v_mov_b32_e32 v149, v145
	ds_load_2addr_b64 v[144:147], v138 offset0:42 offset1:43
	v_pk_add_f32 v[64:65], v[64:65], v[148:149] neg_lo:[0,1] neg_hi:[0,1]
	s_wait_dscnt 0x0
	v_pk_mul_f32 v[148:149], v[144:145], v[136:137] op_sel:[0,1]
	s_delay_alu instid0(VALU_DEP_1) | instskip(SKIP_1) | instid1(VALU_DEP_1)
	v_pk_fma_f32 v[150:151], v[144:145], v[134:135], v[148:149] op_sel:[0,0,1] op_sel_hi:[1,1,0] neg_lo:[0,0,1] neg_hi:[0,0,1]
	v_pk_fma_f32 v[144:145], v[144:145], v[134:135], v[148:149] op_sel:[0,0,1] op_sel_hi:[1,0,0]
	v_mov_b32_e32 v151, v145
	v_pk_mul_f32 v[144:145], v[146:147], v[136:137] op_sel:[0,1]
	s_delay_alu instid0(VALU_DEP_2) | instskip(NEXT) | instid1(VALU_DEP_2)
	v_pk_add_f32 v[66:67], v[66:67], v[150:151] neg_lo:[0,1] neg_hi:[0,1]
	v_pk_fma_f32 v[148:149], v[146:147], v[134:135], v[144:145] op_sel:[0,0,1] op_sel_hi:[1,1,0] neg_lo:[0,0,1] neg_hi:[0,0,1]
	v_pk_fma_f32 v[144:145], v[146:147], v[134:135], v[144:145] op_sel:[0,0,1] op_sel_hi:[1,0,0]
	s_delay_alu instid0(VALU_DEP_1) | instskip(SKIP_4) | instid1(VALU_DEP_1)
	v_mov_b32_e32 v149, v145
	ds_load_2addr_b64 v[144:147], v138 offset0:44 offset1:45
	v_pk_add_f32 v[18:19], v[18:19], v[148:149] neg_lo:[0,1] neg_hi:[0,1]
	s_wait_dscnt 0x0
	v_pk_mul_f32 v[148:149], v[144:145], v[136:137] op_sel:[0,1]
	v_pk_fma_f32 v[150:151], v[144:145], v[134:135], v[148:149] op_sel:[0,0,1] op_sel_hi:[1,1,0] neg_lo:[0,0,1] neg_hi:[0,0,1]
	v_pk_fma_f32 v[144:145], v[144:145], v[134:135], v[148:149] op_sel:[0,0,1] op_sel_hi:[1,0,0]
	v_dual_mul_f32 v148, v147, v137 :: v_dual_mov_b32 v144, v147
	s_delay_alu instid0(VALU_DEP_2) | instskip(NEXT) | instid1(VALU_DEP_2)
	v_dual_mov_b32 v151, v145 :: v_dual_mov_b32 v145, v146
	v_pk_fma_f32 v[148:149], v[146:147], v[94:95], v[148:149] op_sel_hi:[1,1,0] neg_lo:[0,0,1] neg_hi:[0,0,1]
	v_mul_f32_e32 v146, v147, v134
	s_delay_alu instid0(VALU_DEP_3) | instskip(NEXT) | instid1(VALU_DEP_2)
	v_pk_add_f32 v[60:61], v[60:61], v[150:151] neg_lo:[0,1] neg_hi:[0,1]
	v_pk_fma_f32 v[144:145], v[144:145], v[94:95], v[146:147] op_sel_hi:[1,1,0]
	s_delay_alu instid0(VALU_DEP_1) | instskip(SKIP_4) | instid1(VALU_DEP_1)
	v_mov_b32_e32 v149, v145
	ds_load_2addr_b64 v[144:147], v138 offset0:46 offset1:47
	v_pk_add_f32 v[56:57], v[56:57], v[148:149] neg_lo:[0,1] neg_hi:[0,1]
	s_wait_dscnt 0x0
	v_pk_mul_f32 v[148:149], v[144:145], v[136:137] op_sel:[0,1]
	v_pk_fma_f32 v[150:151], v[144:145], v[134:135], v[148:149] op_sel:[0,0,1] op_sel_hi:[1,1,0] neg_lo:[0,0,1] neg_hi:[0,0,1]
	v_pk_fma_f32 v[144:145], v[144:145], v[134:135], v[148:149] op_sel:[0,0,1] op_sel_hi:[1,0,0]
	s_delay_alu instid0(VALU_DEP_1) | instskip(SKIP_1) | instid1(VALU_DEP_1)
	v_mov_b32_e32 v151, v145
	v_pk_mul_f32 v[144:145], v[146:147], v[136:137] op_sel:[0,1]
	v_pk_fma_f32 v[148:149], v[146:147], v[134:135], v[144:145] op_sel:[0,0,1] op_sel_hi:[1,1,0] neg_lo:[0,0,1] neg_hi:[0,0,1]
	v_pk_fma_f32 v[144:145], v[146:147], v[134:135], v[144:145] op_sel:[0,0,1] op_sel_hi:[1,0,0]
	s_delay_alu instid0(VALU_DEP_1)
	v_mov_b32_e32 v149, v145
	ds_load_2addr_b64 v[144:147], v138 offset0:48 offset1:49
	v_pk_add_f32 v[58:59], v[58:59], v[150:151] neg_lo:[0,1] neg_hi:[0,1]
	v_pk_add_f32 v[12:13], v[12:13], v[148:149] neg_lo:[0,1] neg_hi:[0,1]
	s_wait_dscnt 0x0
	v_pk_mul_f32 v[148:149], v[144:145], v[136:137] op_sel:[0,1]
	s_delay_alu instid0(VALU_DEP_1) | instskip(SKIP_1) | instid1(VALU_DEP_1)
	v_pk_fma_f32 v[150:151], v[144:145], v[134:135], v[148:149] op_sel:[0,0,1] op_sel_hi:[1,1,0] neg_lo:[0,0,1] neg_hi:[0,0,1]
	v_pk_fma_f32 v[144:145], v[144:145], v[134:135], v[148:149] op_sel:[0,0,1] op_sel_hi:[1,0,0]
	v_mov_b32_e32 v151, v145
	v_pk_mul_f32 v[144:145], v[146:147], v[136:137] op_sel:[0,1]
	s_delay_alu instid0(VALU_DEP_1) | instskip(SKIP_1) | instid1(VALU_DEP_1)
	v_pk_fma_f32 v[148:149], v[146:147], v[134:135], v[144:145] op_sel:[0,0,1] op_sel_hi:[1,1,0] neg_lo:[0,0,1] neg_hi:[0,0,1]
	v_pk_fma_f32 v[144:145], v[146:147], v[134:135], v[144:145] op_sel:[0,0,1] op_sel_hi:[1,0,0]
	v_mov_b32_e32 v149, v145
	ds_load_2addr_b64 v[144:147], v138 offset0:50 offset1:51
	v_pk_add_f32 v[54:55], v[54:55], v[150:151] neg_lo:[0,1] neg_hi:[0,1]
	v_pk_add_f32 v[52:53], v[52:53], v[148:149] neg_lo:[0,1] neg_hi:[0,1]
	s_wait_dscnt 0x0
	v_dual_mul_f32 v148, v145, v137 :: v_dual_mul_f32 v150, v145, v134
	s_delay_alu instid0(VALU_DEP_1) | instskip(NEXT) | instid1(VALU_DEP_2)
	v_pk_fma_f32 v[148:149], v[144:145], v[94:95], v[148:149] op_sel_hi:[1,1,0] neg_lo:[0,0,1] neg_hi:[0,0,1]
	v_pk_fma_f32 v[144:145], v[144:145], v[94:95], v[150:151] op_sel:[1,0,0] op_sel_hi:[0,1,0]
	s_delay_alu instid0(VALU_DEP_1) | instskip(SKIP_1) | instid1(VALU_DEP_2)
	v_mov_b32_e32 v149, v145
	v_pk_mul_f32 v[144:145], v[146:147], v[136:137] op_sel:[0,1]
	v_pk_add_f32 v[62:63], v[62:63], v[148:149] neg_lo:[0,1] neg_hi:[0,1]
	s_delay_alu instid0(VALU_DEP_2) | instskip(SKIP_1) | instid1(VALU_DEP_1)
	v_pk_fma_f32 v[148:149], v[146:147], v[134:135], v[144:145] op_sel:[0,0,1] op_sel_hi:[1,1,0] neg_lo:[0,0,1] neg_hi:[0,0,1]
	v_pk_fma_f32 v[144:145], v[146:147], v[134:135], v[144:145] op_sel:[0,0,1] op_sel_hi:[1,0,0]
	v_mov_b32_e32 v149, v145
	ds_load_2addr_b64 v[144:147], v138 offset0:52 offset1:53
	v_pk_add_f32 v[16:17], v[16:17], v[148:149] neg_lo:[0,1] neg_hi:[0,1]
	s_wait_dscnt 0x0
	v_pk_mul_f32 v[148:149], v[144:145], v[136:137] op_sel:[0,1]
	s_delay_alu instid0(VALU_DEP_1) | instskip(SKIP_1) | instid1(VALU_DEP_1)
	v_pk_fma_f32 v[150:151], v[144:145], v[134:135], v[148:149] op_sel:[0,0,1] op_sel_hi:[1,1,0] neg_lo:[0,0,1] neg_hi:[0,0,1]
	v_pk_fma_f32 v[144:145], v[144:145], v[134:135], v[148:149] op_sel:[0,0,1] op_sel_hi:[1,0,0]
	v_mov_b32_e32 v151, v145
	v_pk_mul_f32 v[144:145], v[146:147], v[136:137] op_sel:[0,1]
	s_delay_alu instid0(VALU_DEP_2) | instskip(NEXT) | instid1(VALU_DEP_2)
	v_pk_add_f32 v[48:49], v[48:49], v[150:151] neg_lo:[0,1] neg_hi:[0,1]
	v_pk_fma_f32 v[148:149], v[146:147], v[134:135], v[144:145] op_sel:[0,0,1] op_sel_hi:[1,1,0] neg_lo:[0,0,1] neg_hi:[0,0,1]
	v_pk_fma_f32 v[144:145], v[146:147], v[134:135], v[144:145] op_sel:[0,0,1] op_sel_hi:[1,0,0]
	s_delay_alu instid0(VALU_DEP_1) | instskip(SKIP_4) | instid1(VALU_DEP_1)
	v_mov_b32_e32 v149, v145
	ds_load_2addr_b64 v[144:147], v138 offset0:54 offset1:55
	v_pk_add_f32 v[42:43], v[42:43], v[148:149] neg_lo:[0,1] neg_hi:[0,1]
	s_wait_dscnt 0x0
	v_pk_mul_f32 v[148:149], v[144:145], v[136:137] op_sel:[0,1]
	v_pk_fma_f32 v[150:151], v[144:145], v[134:135], v[148:149] op_sel:[0,0,1] op_sel_hi:[1,1,0] neg_lo:[0,0,1] neg_hi:[0,0,1]
	v_pk_fma_f32 v[144:145], v[144:145], v[134:135], v[148:149] op_sel:[0,0,1] op_sel_hi:[1,0,0]
	v_dual_mul_f32 v148, v147, v137 :: v_dual_mov_b32 v144, v147
	s_delay_alu instid0(VALU_DEP_2) | instskip(NEXT) | instid1(VALU_DEP_2)
	v_dual_mov_b32 v151, v145 :: v_dual_mov_b32 v145, v146
	v_pk_fma_f32 v[148:149], v[146:147], v[94:95], v[148:149] op_sel_hi:[1,1,0] neg_lo:[0,0,1] neg_hi:[0,0,1]
	v_mul_f32_e32 v146, v147, v134
	s_delay_alu instid0(VALU_DEP_3) | instskip(NEXT) | instid1(VALU_DEP_2)
	v_pk_add_f32 v[46:47], v[46:47], v[150:151] neg_lo:[0,1] neg_hi:[0,1]
	v_pk_fma_f32 v[144:145], v[144:145], v[94:95], v[146:147] op_sel_hi:[1,1,0]
	s_delay_alu instid0(VALU_DEP_1) | instskip(SKIP_4) | instid1(VALU_DEP_1)
	v_mov_b32_e32 v149, v145
	ds_load_2addr_b64 v[144:147], v138 offset0:56 offset1:57
	v_pk_add_f32 v[8:9], v[8:9], v[148:149] neg_lo:[0,1] neg_hi:[0,1]
	s_wait_dscnt 0x0
	v_pk_mul_f32 v[148:149], v[144:145], v[136:137] op_sel:[0,1]
	v_pk_fma_f32 v[150:151], v[144:145], v[134:135], v[148:149] op_sel:[0,0,1] op_sel_hi:[1,1,0] neg_lo:[0,0,1] neg_hi:[0,0,1]
	v_pk_fma_f32 v[144:145], v[144:145], v[134:135], v[148:149] op_sel:[0,0,1] op_sel_hi:[1,0,0]
	s_delay_alu instid0(VALU_DEP_1) | instskip(SKIP_1) | instid1(VALU_DEP_1)
	v_mov_b32_e32 v151, v145
	v_pk_mul_f32 v[144:145], v[146:147], v[136:137] op_sel:[0,1]
	v_pk_fma_f32 v[148:149], v[146:147], v[134:135], v[144:145] op_sel:[0,0,1] op_sel_hi:[1,1,0] neg_lo:[0,0,1] neg_hi:[0,0,1]
	v_pk_fma_f32 v[144:145], v[146:147], v[134:135], v[144:145] op_sel:[0,0,1] op_sel_hi:[1,0,0]
	s_delay_alu instid0(VALU_DEP_1)
	v_mov_b32_e32 v149, v145
	ds_load_2addr_b64 v[144:147], v138 offset0:58 offset1:59
	v_pk_add_f32 v[32:33], v[32:33], v[150:151] neg_lo:[0,1] neg_hi:[0,1]
	v_pk_add_f32 v[28:29], v[28:29], v[148:149] neg_lo:[0,1] neg_hi:[0,1]
	s_wait_dscnt 0x0
	v_pk_mul_f32 v[148:149], v[144:145], v[136:137] op_sel:[0,1]
	s_delay_alu instid0(VALU_DEP_1) | instskip(SKIP_1) | instid1(VALU_DEP_1)
	v_pk_fma_f32 v[150:151], v[144:145], v[134:135], v[148:149] op_sel:[0,0,1] op_sel_hi:[1,1,0] neg_lo:[0,0,1] neg_hi:[0,0,1]
	v_pk_fma_f32 v[144:145], v[144:145], v[134:135], v[148:149] op_sel:[0,0,1] op_sel_hi:[1,0,0]
	v_mov_b32_e32 v151, v145
	v_pk_mul_f32 v[144:145], v[146:147], v[136:137] op_sel:[0,1]
	s_delay_alu instid0(VALU_DEP_1) | instskip(SKIP_1) | instid1(VALU_DEP_1)
	v_pk_fma_f32 v[148:149], v[146:147], v[134:135], v[144:145] op_sel:[0,0,1] op_sel_hi:[1,1,0] neg_lo:[0,0,1] neg_hi:[0,0,1]
	v_pk_fma_f32 v[144:145], v[146:147], v[134:135], v[144:145] op_sel:[0,0,1] op_sel_hi:[1,0,0]
	v_mov_b32_e32 v149, v145
	ds_load_2addr_b64 v[144:147], v138 offset0:60 offset1:61
	v_pk_add_f32 v[30:31], v[30:31], v[150:151] neg_lo:[0,1] neg_hi:[0,1]
	v_pk_add_f32 v[6:7], v[6:7], v[148:149] neg_lo:[0,1] neg_hi:[0,1]
	s_wait_dscnt 0x0
	v_dual_mul_f32 v148, v145, v137 :: v_dual_mul_f32 v150, v145, v134
	s_delay_alu instid0(VALU_DEP_1) | instskip(NEXT) | instid1(VALU_DEP_2)
	v_pk_fma_f32 v[148:149], v[144:145], v[94:95], v[148:149] op_sel_hi:[1,1,0] neg_lo:[0,0,1] neg_hi:[0,0,1]
	v_pk_fma_f32 v[144:145], v[144:145], v[94:95], v[150:151] op_sel:[1,0,0] op_sel_hi:[0,1,0]
	s_delay_alu instid0(VALU_DEP_1) | instskip(SKIP_1) | instid1(VALU_DEP_2)
	v_mov_b32_e32 v149, v145
	v_pk_mul_f32 v[144:145], v[146:147], v[136:137] op_sel:[0,1]
	v_pk_add_f32 v[20:21], v[20:21], v[148:149] neg_lo:[0,1] neg_hi:[0,1]
	s_delay_alu instid0(VALU_DEP_2) | instskip(SKIP_1) | instid1(VALU_DEP_1)
	v_pk_fma_f32 v[148:149], v[146:147], v[134:135], v[144:145] op_sel:[0,0,1] op_sel_hi:[1,1,0] neg_lo:[0,0,1] neg_hi:[0,0,1]
	v_pk_fma_f32 v[144:145], v[146:147], v[134:135], v[144:145] op_sel:[0,0,1] op_sel_hi:[1,0,0]
	v_mov_b32_e32 v149, v145
	ds_load_2addr_b64 v[144:147], v138 offset0:62 offset1:63
	v_pk_add_f32 v[14:15], v[14:15], v[148:149] neg_lo:[0,1] neg_hi:[0,1]
	s_wait_dscnt 0x0
	v_pk_mul_f32 v[148:149], v[144:145], v[136:137] op_sel:[0,1]
	v_mul_f32_e32 v136, v147, v137
	s_delay_alu instid0(VALU_DEP_2) | instskip(SKIP_2) | instid1(VALU_DEP_4)
	v_pk_fma_f32 v[150:151], v[144:145], v[134:135], v[148:149] op_sel:[0,0,1] op_sel_hi:[1,1,0] neg_lo:[0,0,1] neg_hi:[0,0,1]
	v_pk_fma_f32 v[144:145], v[144:145], v[134:135], v[148:149] op_sel:[0,0,1] op_sel_hi:[1,0,0]
	v_dual_mov_b32 v144, v147 :: v_dual_mul_f32 v134, v147, v134
	v_pk_fma_f32 v[136:137], v[146:147], v[94:95], v[136:137] op_sel_hi:[1,1,0] neg_lo:[0,0,1] neg_hi:[0,0,1]
	s_delay_alu instid0(VALU_DEP_3) | instskip(NEXT) | instid1(VALU_DEP_1)
	v_dual_mov_b32 v151, v145 :: v_dual_mov_b32 v145, v146
	v_pk_add_f32 v[10:11], v[10:11], v[150:151] neg_lo:[0,1] neg_hi:[0,1]
	s_delay_alu instid0(VALU_DEP_2) | instskip(NEXT) | instid1(VALU_DEP_1)
	v_pk_fma_f32 v[134:135], v[144:145], v[94:95], v[134:135] op_sel_hi:[1,1,0]
	v_mov_b32_e32 v137, v135
	s_delay_alu instid0(VALU_DEP_1)
	v_pk_add_f32 v[132:133], v[132:133], v[136:137] neg_lo:[0,1] neg_hi:[0,1]
.LBB126_461:
	s_or_b32 exec_lo, exec_lo, s0
	v_lshl_add_u32 v134, v142, 3, v138
	s_barrier_signal -1
	s_barrier_wait -1
	ds_store_b64 v134, v[96:97]
	s_wait_dscnt 0x0
	s_barrier_signal -1
	s_barrier_wait -1
	ds_load_b64 v[136:137], v138 offset:176
	v_mov_b32_e32 v134, 22
	s_cmp_lt_i32 s18, 24
	s_cbranch_scc1 .LBB126_464
; %bb.462:
	v_add3_u32 v135, v139, 0, 0xb8
	v_mov_b32_e32 v134, 22
	s_mov_b32 s0, 23
.LBB126_463:                            ; =>This Inner Loop Header: Depth=1
	ds_load_b64 v[144:145], v135
	s_wait_dscnt 0x1
	v_cmp_gt_f32_e32 vcc_lo, 0, v136
	v_cndmask_b32_e64 v146, v136, -v136, vcc_lo
	v_cmp_gt_f32_e32 vcc_lo, 0, v137
	v_cndmask_b32_e64 v148, v137, -v137, vcc_lo
	s_wait_dscnt 0x0
	v_cmp_gt_f32_e32 vcc_lo, 0, v144
	v_cndmask_b32_e64 v147, v144, -v144, vcc_lo
	v_cmp_gt_f32_e32 vcc_lo, 0, v145
	v_cndmask_b32_e64 v149, v145, -v145, vcc_lo
	s_delay_alu instid0(VALU_DEP_1) | instskip(NEXT) | instid1(VALU_DEP_1)
	v_pk_add_f32 v[146:147], v[146:147], v[148:149]
	v_cmp_lt_f32_e32 vcc_lo, v146, v147
	v_dual_add_nc_u32 v135, 8, v135 :: v_dual_cndmask_b32 v137, v137, v145, vcc_lo
	v_cndmask_b32_e32 v136, v136, v144, vcc_lo
	v_cndmask_b32_e64 v134, v134, s0, vcc_lo
	s_add_co_i32 s0, s0, 1
	s_delay_alu instid0(SALU_CYCLE_1)
	s_cmp_lg_u32 s18, s0
	s_cbranch_scc1 .LBB126_463
.LBB126_464:
	s_wait_dscnt 0x0
	v_cmp_eq_f32_e32 vcc_lo, 0, v136
	v_cmp_eq_f32_e64 s0, 0, v137
	s_and_b32 s0, vcc_lo, s0
	s_delay_alu instid0(SALU_CYCLE_1) | instskip(NEXT) | instid1(SALU_CYCLE_1)
	s_and_saveexec_b32 s1, s0
	s_xor_b32 s0, exec_lo, s1
; %bb.465:
	v_cmp_ne_u32_e32 vcc_lo, 0, v140
	v_cndmask_b32_e32 v140, 23, v140, vcc_lo
; %bb.466:
	s_and_not1_saveexec_b32 s0, s0
	s_cbranch_execz .LBB126_472
; %bb.467:
	v_cmp_ngt_f32_e64 s1, |v136|, |v137|
	s_and_saveexec_b32 s12, s1
	s_delay_alu instid0(SALU_CYCLE_1)
	s_xor_b32 s1, exec_lo, s12
	s_cbranch_execz .LBB126_469
; %bb.468:
	v_div_scale_f32 v135, null, v137, v137, v136
	v_div_scale_f32 v145, vcc_lo, v136, v137, v136
	s_delay_alu instid0(VALU_DEP_2) | instskip(SKIP_1) | instid1(TRANS32_DEP_1)
	v_rcp_f32_e32 v143, v135
	v_nop
	v_fma_f32 v144, -v135, v143, 1.0
	s_delay_alu instid0(VALU_DEP_1) | instskip(NEXT) | instid1(VALU_DEP_1)
	v_fmac_f32_e32 v143, v144, v143
	v_mul_f32_e32 v144, v145, v143
	s_delay_alu instid0(VALU_DEP_1) | instskip(NEXT) | instid1(VALU_DEP_1)
	v_fma_f32 v146, -v135, v144, v145
	v_fmac_f32_e32 v144, v146, v143
	s_delay_alu instid0(VALU_DEP_1) | instskip(NEXT) | instid1(VALU_DEP_1)
	v_fma_f32 v135, -v135, v144, v145
	v_div_fmas_f32 v135, v135, v143, v144
	s_delay_alu instid0(VALU_DEP_1) | instskip(NEXT) | instid1(VALU_DEP_1)
	v_div_fixup_f32 v135, v135, v137, v136
	v_fmac_f32_e32 v137, v136, v135
	s_delay_alu instid0(VALU_DEP_1) | instskip(SKIP_1) | instid1(VALU_DEP_2)
	v_div_scale_f32 v136, null, v137, v137, 1.0
	v_div_scale_f32 v145, vcc_lo, 1.0, v137, 1.0
	v_rcp_f32_e32 v143, v136
	v_nop
	s_delay_alu instid0(TRANS32_DEP_1) | instskip(NEXT) | instid1(VALU_DEP_1)
	v_fma_f32 v144, -v136, v143, 1.0
	v_fmac_f32_e32 v143, v144, v143
	s_delay_alu instid0(VALU_DEP_1) | instskip(NEXT) | instid1(VALU_DEP_1)
	v_mul_f32_e32 v144, v145, v143
	v_fma_f32 v146, -v136, v144, v145
	s_delay_alu instid0(VALU_DEP_1) | instskip(NEXT) | instid1(VALU_DEP_1)
	v_fmac_f32_e32 v144, v146, v143
	v_fma_f32 v136, -v136, v144, v145
	s_delay_alu instid0(VALU_DEP_1) | instskip(NEXT) | instid1(VALU_DEP_1)
	v_div_fmas_f32 v136, v136, v143, v144
	v_div_fixup_f32 v137, v136, v137, 1.0
	s_delay_alu instid0(VALU_DEP_1)
	v_mul_f32_e32 v136, v135, v137
	v_xor_b32_e32 v137, 0x80000000, v137
.LBB126_469:
	s_and_not1_saveexec_b32 s1, s1
	s_cbranch_execz .LBB126_471
; %bb.470:
	s_delay_alu instid0(VALU_DEP_1) | instskip(SKIP_1) | instid1(VALU_DEP_2)
	v_div_scale_f32 v135, null, v136, v136, v137
	v_div_scale_f32 v145, vcc_lo, v137, v136, v137
	v_rcp_f32_e32 v143, v135
	v_nop
	s_delay_alu instid0(TRANS32_DEP_1) | instskip(NEXT) | instid1(VALU_DEP_1)
	v_fma_f32 v144, -v135, v143, 1.0
	v_fmac_f32_e32 v143, v144, v143
	s_delay_alu instid0(VALU_DEP_1) | instskip(NEXT) | instid1(VALU_DEP_1)
	v_mul_f32_e32 v144, v145, v143
	v_fma_f32 v146, -v135, v144, v145
	s_delay_alu instid0(VALU_DEP_1) | instskip(NEXT) | instid1(VALU_DEP_1)
	v_fmac_f32_e32 v144, v146, v143
	v_fma_f32 v135, -v135, v144, v145
	s_delay_alu instid0(VALU_DEP_1) | instskip(NEXT) | instid1(VALU_DEP_1)
	v_div_fmas_f32 v135, v135, v143, v144
	v_div_fixup_f32 v135, v135, v136, v137
	s_delay_alu instid0(VALU_DEP_1) | instskip(NEXT) | instid1(VALU_DEP_1)
	v_fmac_f32_e32 v136, v137, v135
	v_div_scale_f32 v137, null, v136, v136, 1.0
	s_delay_alu instid0(VALU_DEP_1) | instskip(SKIP_1) | instid1(TRANS32_DEP_1)
	v_rcp_f32_e32 v143, v137
	v_nop
	v_fma_f32 v144, -v137, v143, 1.0
	s_delay_alu instid0(VALU_DEP_1) | instskip(SKIP_1) | instid1(VALU_DEP_1)
	v_fmac_f32_e32 v143, v144, v143
	v_div_scale_f32 v144, vcc_lo, 1.0, v136, 1.0
	v_mul_f32_e32 v145, v144, v143
	s_delay_alu instid0(VALU_DEP_1) | instskip(NEXT) | instid1(VALU_DEP_1)
	v_fma_f32 v146, -v137, v145, v144
	v_fmac_f32_e32 v145, v146, v143
	s_delay_alu instid0(VALU_DEP_1) | instskip(NEXT) | instid1(VALU_DEP_1)
	v_fma_f32 v137, -v137, v145, v144
	v_div_fmas_f32 v137, v137, v143, v145
	s_delay_alu instid0(VALU_DEP_1) | instskip(NEXT) | instid1(VALU_DEP_1)
	v_div_fixup_f32 v136, v137, v136, 1.0
	v_mul_f32_e64 v137, v135, -v136
.LBB126_471:
	s_or_b32 exec_lo, exec_lo, s1
.LBB126_472:
	s_delay_alu instid0(SALU_CYCLE_1) | instskip(NEXT) | instid1(SALU_CYCLE_1)
	s_or_b32 exec_lo, exec_lo, s0
	s_mov_b32 s0, exec_lo
	v_cmpx_ne_u32_e64 v142, v134
	s_xor_b32 s0, exec_lo, s0
	s_cbranch_execz .LBB126_478
; %bb.473:
	s_mov_b32 s1, exec_lo
	v_cmpx_eq_u32_e32 22, v142
	s_cbranch_execz .LBB126_477
; %bb.474:
	v_cmp_ne_u32_e32 vcc_lo, 22, v134
	s_xor_b32 s12, s16, -1
	s_delay_alu instid0(SALU_CYCLE_1) | instskip(NEXT) | instid1(SALU_CYCLE_1)
	s_and_b32 s13, s12, vcc_lo
	s_and_saveexec_b32 s12, s13
	s_cbranch_execz .LBB126_476
; %bb.475:
	v_ashrrev_i32_e32 v135, 31, v134
	s_delay_alu instid0(VALU_DEP_1)
	v_lshl_add_u64 v[142:143], v[134:135], 2, v[4:5]
	s_clause 0x1
	global_load_b32 v135, v[142:143], off
	global_load_b32 v141, v[4:5], off offset:88
	s_wait_loadcnt 0x1
	global_store_b32 v[4:5], v135, off offset:88
	s_wait_loadcnt 0x0
	global_store_b32 v[142:143], v141, off
.LBB126_476:
	s_wait_xcnt 0x0
	s_or_b32 exec_lo, exec_lo, s12
	v_dual_mov_b32 v142, v134 :: v_dual_mov_b32 v141, v134
.LBB126_477:
	s_or_b32 exec_lo, exec_lo, s1
.LBB126_478:
	s_and_not1_saveexec_b32 s0, s0
	s_cbranch_execz .LBB126_480
; %bb.479:
	v_mov_b32_e32 v142, 22
	ds_store_2addr_b64 v138, v[36:37], v[92:93] offset0:23 offset1:24
	ds_store_2addr_b64 v138, v[88:89], v[90:91] offset0:25 offset1:26
	;; [unrolled: 1-line block ×20, first 2 shown]
	ds_store_b64 v138, v[132:133] offset:504
.LBB126_480:
	s_or_b32 exec_lo, exec_lo, s0
	s_delay_alu instid0(SALU_CYCLE_1)
	s_mov_b32 s0, exec_lo
	s_wait_storecnt_dscnt 0x0
	s_barrier_signal -1
	s_barrier_wait -1
	v_cmpx_lt_i32_e32 22, v142
	s_cbranch_execz .LBB126_482
; %bb.481:
	v_pk_mul_f32 v[144:145], v[136:137], v[96:97] op_sel:[1,1] op_sel_hi:[0,1]
	s_delay_alu instid0(VALU_DEP_1)
	v_pk_fma_f32 v[134:135], v[136:137], v[96:97], v[144:145] op_sel_hi:[1,0,1] neg_lo:[0,0,1] neg_hi:[0,0,1]
	v_pk_fma_f32 v[136:137], v[136:137], v[96:97], v[144:145] op_sel_hi:[1,0,1]
	ds_load_2addr_b64 v[144:147], v138 offset0:23 offset1:24
	v_dual_mov_b32 v96, v134 :: v_dual_mov_b32 v97, v137
	s_wait_dscnt 0x0
	v_pk_mul_f32 v[148:149], v[144:145], v[136:137] op_sel:[0,1]
	s_delay_alu instid0(VALU_DEP_1) | instskip(SKIP_1) | instid1(VALU_DEP_1)
	v_pk_fma_f32 v[150:151], v[144:145], v[134:135], v[148:149] op_sel:[0,0,1] op_sel_hi:[1,1,0] neg_lo:[0,0,1] neg_hi:[0,0,1]
	v_pk_fma_f32 v[144:145], v[144:145], v[134:135], v[148:149] op_sel:[0,0,1] op_sel_hi:[1,0,0]
	v_mov_b32_e32 v151, v145
	v_pk_mul_f32 v[144:145], v[146:147], v[136:137] op_sel:[0,1]
	s_delay_alu instid0(VALU_DEP_1) | instskip(SKIP_1) | instid1(VALU_DEP_1)
	v_pk_fma_f32 v[148:149], v[146:147], v[134:135], v[144:145] op_sel:[0,0,1] op_sel_hi:[1,1,0] neg_lo:[0,0,1] neg_hi:[0,0,1]
	v_pk_fma_f32 v[144:145], v[146:147], v[134:135], v[144:145] op_sel:[0,0,1] op_sel_hi:[1,0,0]
	v_mov_b32_e32 v149, v145
	ds_load_2addr_b64 v[144:147], v138 offset0:25 offset1:26
	v_pk_add_f32 v[36:37], v[36:37], v[150:151] neg_lo:[0,1] neg_hi:[0,1]
	v_pk_add_f32 v[92:93], v[92:93], v[148:149] neg_lo:[0,1] neg_hi:[0,1]
	s_wait_dscnt 0x0
	v_pk_mul_f32 v[148:149], v[144:145], v[136:137] op_sel:[0,1]
	s_delay_alu instid0(VALU_DEP_1) | instskip(SKIP_2) | instid1(VALU_DEP_2)
	v_pk_fma_f32 v[150:151], v[144:145], v[134:135], v[148:149] op_sel:[0,0,1] op_sel_hi:[1,1,0] neg_lo:[0,0,1] neg_hi:[0,0,1]
	v_pk_fma_f32 v[144:145], v[144:145], v[134:135], v[148:149] op_sel:[0,0,1] op_sel_hi:[1,0,0]
	v_dual_mul_f32 v148, v147, v137 :: v_dual_mov_b32 v144, v147
	v_dual_mov_b32 v151, v145 :: v_dual_mov_b32 v145, v146
	s_delay_alu instid0(VALU_DEP_2) | instskip(SKIP_1) | instid1(VALU_DEP_3)
	v_pk_fma_f32 v[148:149], v[146:147], v[96:97], v[148:149] op_sel_hi:[1,1,0] neg_lo:[0,0,1] neg_hi:[0,0,1]
	v_mul_f32_e32 v146, v147, v134
	v_pk_add_f32 v[88:89], v[88:89], v[150:151] neg_lo:[0,1] neg_hi:[0,1]
	s_delay_alu instid0(VALU_DEP_2) | instskip(NEXT) | instid1(VALU_DEP_1)
	v_pk_fma_f32 v[144:145], v[144:145], v[96:97], v[146:147] op_sel_hi:[1,1,0]
	v_mov_b32_e32 v149, v145
	ds_load_2addr_b64 v[144:147], v138 offset0:27 offset1:28
	v_pk_add_f32 v[90:91], v[90:91], v[148:149] neg_lo:[0,1] neg_hi:[0,1]
	s_wait_dscnt 0x0
	v_pk_mul_f32 v[148:149], v[144:145], v[136:137] op_sel:[0,1]
	s_delay_alu instid0(VALU_DEP_1) | instskip(SKIP_1) | instid1(VALU_DEP_1)
	v_pk_fma_f32 v[150:151], v[144:145], v[134:135], v[148:149] op_sel:[0,0,1] op_sel_hi:[1,1,0] neg_lo:[0,0,1] neg_hi:[0,0,1]
	v_pk_fma_f32 v[144:145], v[144:145], v[134:135], v[148:149] op_sel:[0,0,1] op_sel_hi:[1,0,0]
	v_mov_b32_e32 v151, v145
	v_pk_mul_f32 v[144:145], v[146:147], v[136:137] op_sel:[0,1]
	s_delay_alu instid0(VALU_DEP_1) | instskip(SKIP_1) | instid1(VALU_DEP_1)
	v_pk_fma_f32 v[148:149], v[146:147], v[134:135], v[144:145] op_sel:[0,0,1] op_sel_hi:[1,1,0] neg_lo:[0,0,1] neg_hi:[0,0,1]
	v_pk_fma_f32 v[144:145], v[146:147], v[134:135], v[144:145] op_sel:[0,0,1] op_sel_hi:[1,0,0]
	v_mov_b32_e32 v149, v145
	ds_load_2addr_b64 v[144:147], v138 offset0:29 offset1:30
	v_pk_add_f32 v[34:35], v[34:35], v[150:151] neg_lo:[0,1] neg_hi:[0,1]
	v_pk_add_f32 v[86:87], v[86:87], v[148:149] neg_lo:[0,1] neg_hi:[0,1]
	s_wait_dscnt 0x0
	v_pk_mul_f32 v[148:149], v[144:145], v[136:137] op_sel:[0,1]
	s_delay_alu instid0(VALU_DEP_1) | instskip(SKIP_1) | instid1(VALU_DEP_1)
	v_pk_fma_f32 v[150:151], v[144:145], v[134:135], v[148:149] op_sel:[0,0,1] op_sel_hi:[1,1,0] neg_lo:[0,0,1] neg_hi:[0,0,1]
	v_pk_fma_f32 v[144:145], v[144:145], v[134:135], v[148:149] op_sel:[0,0,1] op_sel_hi:[1,0,0]
	v_mov_b32_e32 v151, v145
	v_pk_mul_f32 v[144:145], v[146:147], v[136:137] op_sel:[0,1]
	s_delay_alu instid0(VALU_DEP_1) | instskip(SKIP_1) | instid1(VALU_DEP_1)
	v_pk_fma_f32 v[148:149], v[146:147], v[134:135], v[144:145] op_sel:[0,0,1] op_sel_hi:[1,1,0] neg_lo:[0,0,1] neg_hi:[0,0,1]
	v_pk_fma_f32 v[144:145], v[146:147], v[134:135], v[144:145] op_sel:[0,0,1] op_sel_hi:[1,0,0]
	v_mov_b32_e32 v149, v145
	ds_load_2addr_b64 v[144:147], v138 offset0:31 offset1:32
	v_pk_add_f32 v[82:83], v[82:83], v[150:151] neg_lo:[0,1] neg_hi:[0,1]
	v_pk_add_f32 v[84:85], v[84:85], v[148:149] neg_lo:[0,1] neg_hi:[0,1]
	s_wait_dscnt 0x0
	v_dual_mul_f32 v148, v145, v137 :: v_dual_mul_f32 v150, v145, v134
	s_delay_alu instid0(VALU_DEP_1) | instskip(NEXT) | instid1(VALU_DEP_2)
	v_pk_fma_f32 v[148:149], v[144:145], v[96:97], v[148:149] op_sel_hi:[1,1,0] neg_lo:[0,0,1] neg_hi:[0,0,1]
	v_pk_fma_f32 v[144:145], v[144:145], v[96:97], v[150:151] op_sel:[1,0,0] op_sel_hi:[0,1,0]
	s_delay_alu instid0(VALU_DEP_1) | instskip(SKIP_1) | instid1(VALU_DEP_2)
	v_mov_b32_e32 v149, v145
	v_pk_mul_f32 v[144:145], v[146:147], v[136:137] op_sel:[0,1]
	v_pk_add_f32 v[26:27], v[26:27], v[148:149] neg_lo:[0,1] neg_hi:[0,1]
	s_delay_alu instid0(VALU_DEP_2) | instskip(SKIP_1) | instid1(VALU_DEP_1)
	v_pk_fma_f32 v[148:149], v[146:147], v[134:135], v[144:145] op_sel:[0,0,1] op_sel_hi:[1,1,0] neg_lo:[0,0,1] neg_hi:[0,0,1]
	v_pk_fma_f32 v[144:145], v[146:147], v[134:135], v[144:145] op_sel:[0,0,1] op_sel_hi:[1,0,0]
	v_mov_b32_e32 v149, v145
	ds_load_2addr_b64 v[144:147], v138 offset0:33 offset1:34
	v_pk_add_f32 v[80:81], v[80:81], v[148:149] neg_lo:[0,1] neg_hi:[0,1]
	s_wait_dscnt 0x0
	v_pk_mul_f32 v[148:149], v[144:145], v[136:137] op_sel:[0,1]
	s_delay_alu instid0(VALU_DEP_1) | instskip(SKIP_1) | instid1(VALU_DEP_1)
	v_pk_fma_f32 v[150:151], v[144:145], v[134:135], v[148:149] op_sel:[0,0,1] op_sel_hi:[1,1,0] neg_lo:[0,0,1] neg_hi:[0,0,1]
	v_pk_fma_f32 v[144:145], v[144:145], v[134:135], v[148:149] op_sel:[0,0,1] op_sel_hi:[1,0,0]
	v_mov_b32_e32 v151, v145
	v_pk_mul_f32 v[144:145], v[146:147], v[136:137] op_sel:[0,1]
	s_delay_alu instid0(VALU_DEP_2) | instskip(NEXT) | instid1(VALU_DEP_2)
	v_pk_add_f32 v[76:77], v[76:77], v[150:151] neg_lo:[0,1] neg_hi:[0,1]
	v_pk_fma_f32 v[148:149], v[146:147], v[134:135], v[144:145] op_sel:[0,0,1] op_sel_hi:[1,1,0] neg_lo:[0,0,1] neg_hi:[0,0,1]
	v_pk_fma_f32 v[144:145], v[146:147], v[134:135], v[144:145] op_sel:[0,0,1] op_sel_hi:[1,0,0]
	s_delay_alu instid0(VALU_DEP_1) | instskip(SKIP_4) | instid1(VALU_DEP_1)
	v_mov_b32_e32 v149, v145
	ds_load_2addr_b64 v[144:147], v138 offset0:35 offset1:36
	v_pk_add_f32 v[78:79], v[78:79], v[148:149] neg_lo:[0,1] neg_hi:[0,1]
	s_wait_dscnt 0x0
	v_pk_mul_f32 v[148:149], v[144:145], v[136:137] op_sel:[0,1]
	v_pk_fma_f32 v[150:151], v[144:145], v[134:135], v[148:149] op_sel:[0,0,1] op_sel_hi:[1,1,0] neg_lo:[0,0,1] neg_hi:[0,0,1]
	v_pk_fma_f32 v[144:145], v[144:145], v[134:135], v[148:149] op_sel:[0,0,1] op_sel_hi:[1,0,0]
	v_dual_mul_f32 v148, v147, v137 :: v_dual_mov_b32 v144, v147
	s_delay_alu instid0(VALU_DEP_2) | instskip(NEXT) | instid1(VALU_DEP_2)
	v_dual_mov_b32 v151, v145 :: v_dual_mov_b32 v145, v146
	v_pk_fma_f32 v[148:149], v[146:147], v[96:97], v[148:149] op_sel_hi:[1,1,0] neg_lo:[0,0,1] neg_hi:[0,0,1]
	v_mul_f32_e32 v146, v147, v134
	s_delay_alu instid0(VALU_DEP_3) | instskip(NEXT) | instid1(VALU_DEP_2)
	v_pk_add_f32 v[24:25], v[24:25], v[150:151] neg_lo:[0,1] neg_hi:[0,1]
	v_pk_fma_f32 v[144:145], v[144:145], v[96:97], v[146:147] op_sel_hi:[1,1,0]
	s_delay_alu instid0(VALU_DEP_1) | instskip(SKIP_4) | instid1(VALU_DEP_1)
	v_mov_b32_e32 v149, v145
	ds_load_2addr_b64 v[144:147], v138 offset0:37 offset1:38
	v_pk_add_f32 v[74:75], v[74:75], v[148:149] neg_lo:[0,1] neg_hi:[0,1]
	s_wait_dscnt 0x0
	v_pk_mul_f32 v[148:149], v[144:145], v[136:137] op_sel:[0,1]
	v_pk_fma_f32 v[150:151], v[144:145], v[134:135], v[148:149] op_sel:[0,0,1] op_sel_hi:[1,1,0] neg_lo:[0,0,1] neg_hi:[0,0,1]
	v_pk_fma_f32 v[144:145], v[144:145], v[134:135], v[148:149] op_sel:[0,0,1] op_sel_hi:[1,0,0]
	s_delay_alu instid0(VALU_DEP_1) | instskip(SKIP_1) | instid1(VALU_DEP_1)
	v_mov_b32_e32 v151, v145
	v_pk_mul_f32 v[144:145], v[146:147], v[136:137] op_sel:[0,1]
	v_pk_fma_f32 v[148:149], v[146:147], v[134:135], v[144:145] op_sel:[0,0,1] op_sel_hi:[1,1,0] neg_lo:[0,0,1] neg_hi:[0,0,1]
	v_pk_fma_f32 v[144:145], v[146:147], v[134:135], v[144:145] op_sel:[0,0,1] op_sel_hi:[1,0,0]
	s_delay_alu instid0(VALU_DEP_1)
	v_mov_b32_e32 v149, v145
	ds_load_2addr_b64 v[144:147], v138 offset0:39 offset1:40
	v_pk_add_f32 v[70:71], v[70:71], v[150:151] neg_lo:[0,1] neg_hi:[0,1]
	v_pk_add_f32 v[72:73], v[72:73], v[148:149] neg_lo:[0,1] neg_hi:[0,1]
	s_wait_dscnt 0x0
	v_pk_mul_f32 v[148:149], v[144:145], v[136:137] op_sel:[0,1]
	s_delay_alu instid0(VALU_DEP_1) | instskip(SKIP_1) | instid1(VALU_DEP_1)
	v_pk_fma_f32 v[150:151], v[144:145], v[134:135], v[148:149] op_sel:[0,0,1] op_sel_hi:[1,1,0] neg_lo:[0,0,1] neg_hi:[0,0,1]
	v_pk_fma_f32 v[144:145], v[144:145], v[134:135], v[148:149] op_sel:[0,0,1] op_sel_hi:[1,0,0]
	v_mov_b32_e32 v151, v145
	v_pk_mul_f32 v[144:145], v[146:147], v[136:137] op_sel:[0,1]
	s_delay_alu instid0(VALU_DEP_1) | instskip(SKIP_1) | instid1(VALU_DEP_1)
	v_pk_fma_f32 v[148:149], v[146:147], v[134:135], v[144:145] op_sel:[0,0,1] op_sel_hi:[1,1,0] neg_lo:[0,0,1] neg_hi:[0,0,1]
	v_pk_fma_f32 v[144:145], v[146:147], v[134:135], v[144:145] op_sel:[0,0,1] op_sel_hi:[1,0,0]
	v_mov_b32_e32 v149, v145
	ds_load_2addr_b64 v[144:147], v138 offset0:41 offset1:42
	v_pk_add_f32 v[22:23], v[22:23], v[150:151] neg_lo:[0,1] neg_hi:[0,1]
	v_pk_add_f32 v[68:69], v[68:69], v[148:149] neg_lo:[0,1] neg_hi:[0,1]
	s_wait_dscnt 0x0
	v_dual_mul_f32 v148, v145, v137 :: v_dual_mul_f32 v150, v145, v134
	s_delay_alu instid0(VALU_DEP_1) | instskip(NEXT) | instid1(VALU_DEP_2)
	v_pk_fma_f32 v[148:149], v[144:145], v[96:97], v[148:149] op_sel_hi:[1,1,0] neg_lo:[0,0,1] neg_hi:[0,0,1]
	v_pk_fma_f32 v[144:145], v[144:145], v[96:97], v[150:151] op_sel:[1,0,0] op_sel_hi:[0,1,0]
	s_delay_alu instid0(VALU_DEP_1) | instskip(SKIP_1) | instid1(VALU_DEP_2)
	v_mov_b32_e32 v149, v145
	v_pk_mul_f32 v[144:145], v[146:147], v[136:137] op_sel:[0,1]
	v_pk_add_f32 v[64:65], v[64:65], v[148:149] neg_lo:[0,1] neg_hi:[0,1]
	s_delay_alu instid0(VALU_DEP_2) | instskip(SKIP_1) | instid1(VALU_DEP_1)
	v_pk_fma_f32 v[148:149], v[146:147], v[134:135], v[144:145] op_sel:[0,0,1] op_sel_hi:[1,1,0] neg_lo:[0,0,1] neg_hi:[0,0,1]
	v_pk_fma_f32 v[144:145], v[146:147], v[134:135], v[144:145] op_sel:[0,0,1] op_sel_hi:[1,0,0]
	v_mov_b32_e32 v149, v145
	ds_load_2addr_b64 v[144:147], v138 offset0:43 offset1:44
	v_pk_add_f32 v[66:67], v[66:67], v[148:149] neg_lo:[0,1] neg_hi:[0,1]
	s_wait_dscnt 0x0
	v_pk_mul_f32 v[148:149], v[144:145], v[136:137] op_sel:[0,1]
	s_delay_alu instid0(VALU_DEP_1) | instskip(SKIP_1) | instid1(VALU_DEP_1)
	v_pk_fma_f32 v[150:151], v[144:145], v[134:135], v[148:149] op_sel:[0,0,1] op_sel_hi:[1,1,0] neg_lo:[0,0,1] neg_hi:[0,0,1]
	v_pk_fma_f32 v[144:145], v[144:145], v[134:135], v[148:149] op_sel:[0,0,1] op_sel_hi:[1,0,0]
	v_mov_b32_e32 v151, v145
	v_pk_mul_f32 v[144:145], v[146:147], v[136:137] op_sel:[0,1]
	s_delay_alu instid0(VALU_DEP_2) | instskip(NEXT) | instid1(VALU_DEP_2)
	v_pk_add_f32 v[18:19], v[18:19], v[150:151] neg_lo:[0,1] neg_hi:[0,1]
	v_pk_fma_f32 v[148:149], v[146:147], v[134:135], v[144:145] op_sel:[0,0,1] op_sel_hi:[1,1,0] neg_lo:[0,0,1] neg_hi:[0,0,1]
	v_pk_fma_f32 v[144:145], v[146:147], v[134:135], v[144:145] op_sel:[0,0,1] op_sel_hi:[1,0,0]
	s_delay_alu instid0(VALU_DEP_1) | instskip(SKIP_4) | instid1(VALU_DEP_1)
	v_mov_b32_e32 v149, v145
	ds_load_2addr_b64 v[144:147], v138 offset0:45 offset1:46
	v_pk_add_f32 v[60:61], v[60:61], v[148:149] neg_lo:[0,1] neg_hi:[0,1]
	s_wait_dscnt 0x0
	v_pk_mul_f32 v[148:149], v[144:145], v[136:137] op_sel:[0,1]
	v_pk_fma_f32 v[150:151], v[144:145], v[134:135], v[148:149] op_sel:[0,0,1] op_sel_hi:[1,1,0] neg_lo:[0,0,1] neg_hi:[0,0,1]
	v_pk_fma_f32 v[144:145], v[144:145], v[134:135], v[148:149] op_sel:[0,0,1] op_sel_hi:[1,0,0]
	v_dual_mul_f32 v148, v147, v137 :: v_dual_mov_b32 v144, v147
	s_delay_alu instid0(VALU_DEP_2) | instskip(NEXT) | instid1(VALU_DEP_2)
	v_dual_mov_b32 v151, v145 :: v_dual_mov_b32 v145, v146
	v_pk_fma_f32 v[148:149], v[146:147], v[96:97], v[148:149] op_sel_hi:[1,1,0] neg_lo:[0,0,1] neg_hi:[0,0,1]
	v_mul_f32_e32 v146, v147, v134
	s_delay_alu instid0(VALU_DEP_3) | instskip(NEXT) | instid1(VALU_DEP_2)
	v_pk_add_f32 v[56:57], v[56:57], v[150:151] neg_lo:[0,1] neg_hi:[0,1]
	v_pk_fma_f32 v[144:145], v[144:145], v[96:97], v[146:147] op_sel_hi:[1,1,0]
	s_delay_alu instid0(VALU_DEP_1) | instskip(SKIP_4) | instid1(VALU_DEP_1)
	v_mov_b32_e32 v149, v145
	ds_load_2addr_b64 v[144:147], v138 offset0:47 offset1:48
	v_pk_add_f32 v[58:59], v[58:59], v[148:149] neg_lo:[0,1] neg_hi:[0,1]
	s_wait_dscnt 0x0
	v_pk_mul_f32 v[148:149], v[144:145], v[136:137] op_sel:[0,1]
	v_pk_fma_f32 v[150:151], v[144:145], v[134:135], v[148:149] op_sel:[0,0,1] op_sel_hi:[1,1,0] neg_lo:[0,0,1] neg_hi:[0,0,1]
	v_pk_fma_f32 v[144:145], v[144:145], v[134:135], v[148:149] op_sel:[0,0,1] op_sel_hi:[1,0,0]
	s_delay_alu instid0(VALU_DEP_1) | instskip(SKIP_1) | instid1(VALU_DEP_1)
	v_mov_b32_e32 v151, v145
	v_pk_mul_f32 v[144:145], v[146:147], v[136:137] op_sel:[0,1]
	v_pk_fma_f32 v[148:149], v[146:147], v[134:135], v[144:145] op_sel:[0,0,1] op_sel_hi:[1,1,0] neg_lo:[0,0,1] neg_hi:[0,0,1]
	v_pk_fma_f32 v[144:145], v[146:147], v[134:135], v[144:145] op_sel:[0,0,1] op_sel_hi:[1,0,0]
	s_delay_alu instid0(VALU_DEP_1)
	v_mov_b32_e32 v149, v145
	ds_load_2addr_b64 v[144:147], v138 offset0:49 offset1:50
	v_pk_add_f32 v[12:13], v[12:13], v[150:151] neg_lo:[0,1] neg_hi:[0,1]
	v_pk_add_f32 v[54:55], v[54:55], v[148:149] neg_lo:[0,1] neg_hi:[0,1]
	s_wait_dscnt 0x0
	v_pk_mul_f32 v[148:149], v[144:145], v[136:137] op_sel:[0,1]
	s_delay_alu instid0(VALU_DEP_1) | instskip(SKIP_1) | instid1(VALU_DEP_1)
	v_pk_fma_f32 v[150:151], v[144:145], v[134:135], v[148:149] op_sel:[0,0,1] op_sel_hi:[1,1,0] neg_lo:[0,0,1] neg_hi:[0,0,1]
	v_pk_fma_f32 v[144:145], v[144:145], v[134:135], v[148:149] op_sel:[0,0,1] op_sel_hi:[1,0,0]
	v_mov_b32_e32 v151, v145
	v_pk_mul_f32 v[144:145], v[146:147], v[136:137] op_sel:[0,1]
	s_delay_alu instid0(VALU_DEP_1) | instskip(SKIP_1) | instid1(VALU_DEP_1)
	v_pk_fma_f32 v[148:149], v[146:147], v[134:135], v[144:145] op_sel:[0,0,1] op_sel_hi:[1,1,0] neg_lo:[0,0,1] neg_hi:[0,0,1]
	v_pk_fma_f32 v[144:145], v[146:147], v[134:135], v[144:145] op_sel:[0,0,1] op_sel_hi:[1,0,0]
	v_mov_b32_e32 v149, v145
	ds_load_2addr_b64 v[144:147], v138 offset0:51 offset1:52
	v_pk_add_f32 v[52:53], v[52:53], v[150:151] neg_lo:[0,1] neg_hi:[0,1]
	v_pk_add_f32 v[62:63], v[62:63], v[148:149] neg_lo:[0,1] neg_hi:[0,1]
	s_wait_dscnt 0x0
	v_dual_mul_f32 v148, v145, v137 :: v_dual_mul_f32 v150, v145, v134
	s_delay_alu instid0(VALU_DEP_1) | instskip(NEXT) | instid1(VALU_DEP_2)
	v_pk_fma_f32 v[148:149], v[144:145], v[96:97], v[148:149] op_sel_hi:[1,1,0] neg_lo:[0,0,1] neg_hi:[0,0,1]
	v_pk_fma_f32 v[144:145], v[144:145], v[96:97], v[150:151] op_sel:[1,0,0] op_sel_hi:[0,1,0]
	s_delay_alu instid0(VALU_DEP_1) | instskip(SKIP_1) | instid1(VALU_DEP_2)
	v_mov_b32_e32 v149, v145
	v_pk_mul_f32 v[144:145], v[146:147], v[136:137] op_sel:[0,1]
	v_pk_add_f32 v[16:17], v[16:17], v[148:149] neg_lo:[0,1] neg_hi:[0,1]
	s_delay_alu instid0(VALU_DEP_2) | instskip(SKIP_1) | instid1(VALU_DEP_1)
	v_pk_fma_f32 v[148:149], v[146:147], v[134:135], v[144:145] op_sel:[0,0,1] op_sel_hi:[1,1,0] neg_lo:[0,0,1] neg_hi:[0,0,1]
	v_pk_fma_f32 v[144:145], v[146:147], v[134:135], v[144:145] op_sel:[0,0,1] op_sel_hi:[1,0,0]
	v_mov_b32_e32 v149, v145
	ds_load_2addr_b64 v[144:147], v138 offset0:53 offset1:54
	v_pk_add_f32 v[48:49], v[48:49], v[148:149] neg_lo:[0,1] neg_hi:[0,1]
	s_wait_dscnt 0x0
	v_pk_mul_f32 v[148:149], v[144:145], v[136:137] op_sel:[0,1]
	s_delay_alu instid0(VALU_DEP_1) | instskip(SKIP_1) | instid1(VALU_DEP_1)
	v_pk_fma_f32 v[150:151], v[144:145], v[134:135], v[148:149] op_sel:[0,0,1] op_sel_hi:[1,1,0] neg_lo:[0,0,1] neg_hi:[0,0,1]
	v_pk_fma_f32 v[144:145], v[144:145], v[134:135], v[148:149] op_sel:[0,0,1] op_sel_hi:[1,0,0]
	v_mov_b32_e32 v151, v145
	v_pk_mul_f32 v[144:145], v[146:147], v[136:137] op_sel:[0,1]
	s_delay_alu instid0(VALU_DEP_2) | instskip(NEXT) | instid1(VALU_DEP_2)
	v_pk_add_f32 v[42:43], v[42:43], v[150:151] neg_lo:[0,1] neg_hi:[0,1]
	v_pk_fma_f32 v[148:149], v[146:147], v[134:135], v[144:145] op_sel:[0,0,1] op_sel_hi:[1,1,0] neg_lo:[0,0,1] neg_hi:[0,0,1]
	v_pk_fma_f32 v[144:145], v[146:147], v[134:135], v[144:145] op_sel:[0,0,1] op_sel_hi:[1,0,0]
	s_delay_alu instid0(VALU_DEP_1) | instskip(SKIP_4) | instid1(VALU_DEP_1)
	v_mov_b32_e32 v149, v145
	ds_load_2addr_b64 v[144:147], v138 offset0:55 offset1:56
	v_pk_add_f32 v[46:47], v[46:47], v[148:149] neg_lo:[0,1] neg_hi:[0,1]
	s_wait_dscnt 0x0
	v_pk_mul_f32 v[148:149], v[144:145], v[136:137] op_sel:[0,1]
	v_pk_fma_f32 v[150:151], v[144:145], v[134:135], v[148:149] op_sel:[0,0,1] op_sel_hi:[1,1,0] neg_lo:[0,0,1] neg_hi:[0,0,1]
	v_pk_fma_f32 v[144:145], v[144:145], v[134:135], v[148:149] op_sel:[0,0,1] op_sel_hi:[1,0,0]
	v_dual_mul_f32 v148, v147, v137 :: v_dual_mov_b32 v144, v147
	s_delay_alu instid0(VALU_DEP_2) | instskip(NEXT) | instid1(VALU_DEP_2)
	v_dual_mov_b32 v151, v145 :: v_dual_mov_b32 v145, v146
	v_pk_fma_f32 v[148:149], v[146:147], v[96:97], v[148:149] op_sel_hi:[1,1,0] neg_lo:[0,0,1] neg_hi:[0,0,1]
	v_mul_f32_e32 v146, v147, v134
	s_delay_alu instid0(VALU_DEP_3) | instskip(NEXT) | instid1(VALU_DEP_2)
	v_pk_add_f32 v[8:9], v[8:9], v[150:151] neg_lo:[0,1] neg_hi:[0,1]
	v_pk_fma_f32 v[144:145], v[144:145], v[96:97], v[146:147] op_sel_hi:[1,1,0]
	s_delay_alu instid0(VALU_DEP_1) | instskip(SKIP_4) | instid1(VALU_DEP_1)
	v_mov_b32_e32 v149, v145
	ds_load_2addr_b64 v[144:147], v138 offset0:57 offset1:58
	v_pk_add_f32 v[32:33], v[32:33], v[148:149] neg_lo:[0,1] neg_hi:[0,1]
	s_wait_dscnt 0x0
	v_pk_mul_f32 v[148:149], v[144:145], v[136:137] op_sel:[0,1]
	v_pk_fma_f32 v[150:151], v[144:145], v[134:135], v[148:149] op_sel:[0,0,1] op_sel_hi:[1,1,0] neg_lo:[0,0,1] neg_hi:[0,0,1]
	v_pk_fma_f32 v[144:145], v[144:145], v[134:135], v[148:149] op_sel:[0,0,1] op_sel_hi:[1,0,0]
	s_delay_alu instid0(VALU_DEP_1) | instskip(SKIP_1) | instid1(VALU_DEP_1)
	v_mov_b32_e32 v151, v145
	v_pk_mul_f32 v[144:145], v[146:147], v[136:137] op_sel:[0,1]
	v_pk_fma_f32 v[148:149], v[146:147], v[134:135], v[144:145] op_sel:[0,0,1] op_sel_hi:[1,1,0] neg_lo:[0,0,1] neg_hi:[0,0,1]
	v_pk_fma_f32 v[144:145], v[146:147], v[134:135], v[144:145] op_sel:[0,0,1] op_sel_hi:[1,0,0]
	s_delay_alu instid0(VALU_DEP_1)
	v_mov_b32_e32 v149, v145
	ds_load_2addr_b64 v[144:147], v138 offset0:59 offset1:60
	v_pk_add_f32 v[28:29], v[28:29], v[150:151] neg_lo:[0,1] neg_hi:[0,1]
	v_pk_add_f32 v[30:31], v[30:31], v[148:149] neg_lo:[0,1] neg_hi:[0,1]
	s_wait_dscnt 0x0
	v_pk_mul_f32 v[148:149], v[144:145], v[136:137] op_sel:[0,1]
	s_delay_alu instid0(VALU_DEP_1) | instskip(SKIP_1) | instid1(VALU_DEP_1)
	v_pk_fma_f32 v[150:151], v[144:145], v[134:135], v[148:149] op_sel:[0,0,1] op_sel_hi:[1,1,0] neg_lo:[0,0,1] neg_hi:[0,0,1]
	v_pk_fma_f32 v[144:145], v[144:145], v[134:135], v[148:149] op_sel:[0,0,1] op_sel_hi:[1,0,0]
	v_mov_b32_e32 v151, v145
	v_pk_mul_f32 v[144:145], v[146:147], v[136:137] op_sel:[0,1]
	s_delay_alu instid0(VALU_DEP_1) | instskip(SKIP_1) | instid1(VALU_DEP_1)
	v_pk_fma_f32 v[148:149], v[146:147], v[134:135], v[144:145] op_sel:[0,0,1] op_sel_hi:[1,1,0] neg_lo:[0,0,1] neg_hi:[0,0,1]
	v_pk_fma_f32 v[144:145], v[146:147], v[134:135], v[144:145] op_sel:[0,0,1] op_sel_hi:[1,0,0]
	v_mov_b32_e32 v149, v145
	ds_load_2addr_b64 v[144:147], v138 offset0:61 offset1:62
	v_pk_add_f32 v[6:7], v[6:7], v[150:151] neg_lo:[0,1] neg_hi:[0,1]
	v_pk_add_f32 v[20:21], v[20:21], v[148:149] neg_lo:[0,1] neg_hi:[0,1]
	s_wait_dscnt 0x0
	v_dual_mul_f32 v148, v145, v137 :: v_dual_mul_f32 v150, v145, v134
	s_delay_alu instid0(VALU_DEP_1) | instskip(NEXT) | instid1(VALU_DEP_2)
	v_pk_fma_f32 v[148:149], v[144:145], v[96:97], v[148:149] op_sel_hi:[1,1,0] neg_lo:[0,0,1] neg_hi:[0,0,1]
	v_pk_fma_f32 v[144:145], v[144:145], v[96:97], v[150:151] op_sel:[1,0,0] op_sel_hi:[0,1,0]
	s_delay_alu instid0(VALU_DEP_1) | instskip(SKIP_1) | instid1(VALU_DEP_2)
	v_mov_b32_e32 v149, v145
	v_pk_mul_f32 v[144:145], v[146:147], v[136:137] op_sel:[0,1]
	v_pk_add_f32 v[14:15], v[14:15], v[148:149] neg_lo:[0,1] neg_hi:[0,1]
	s_delay_alu instid0(VALU_DEP_2) | instskip(SKIP_1) | instid1(VALU_DEP_1)
	v_pk_fma_f32 v[148:149], v[146:147], v[134:135], v[144:145] op_sel:[0,0,1] op_sel_hi:[1,1,0] neg_lo:[0,0,1] neg_hi:[0,0,1]
	v_pk_fma_f32 v[144:145], v[146:147], v[134:135], v[144:145] op_sel:[0,0,1] op_sel_hi:[1,0,0]
	v_mov_b32_e32 v149, v145
	ds_load_b64 v[144:145], v138 offset:504
	v_pk_add_f32 v[10:11], v[10:11], v[148:149] neg_lo:[0,1] neg_hi:[0,1]
	s_wait_dscnt 0x0
	v_pk_mul_f32 v[136:137], v[144:145], v[136:137] op_sel:[0,1]
	s_delay_alu instid0(VALU_DEP_1) | instskip(SKIP_1) | instid1(VALU_DEP_1)
	v_pk_fma_f32 v[146:147], v[144:145], v[134:135], v[136:137] op_sel:[0,0,1] op_sel_hi:[1,1,0] neg_lo:[0,0,1] neg_hi:[0,0,1]
	v_pk_fma_f32 v[134:135], v[144:145], v[134:135], v[136:137] op_sel:[0,0,1] op_sel_hi:[1,0,0]
	v_mov_b32_e32 v147, v135
	s_delay_alu instid0(VALU_DEP_1)
	v_pk_add_f32 v[132:133], v[132:133], v[146:147] neg_lo:[0,1] neg_hi:[0,1]
.LBB126_482:
	s_or_b32 exec_lo, exec_lo, s0
	v_lshl_add_u32 v134, v142, 3, v138
	s_barrier_signal -1
	s_barrier_wait -1
	ds_store_b64 v134, v[36:37]
	s_wait_dscnt 0x0
	s_barrier_signal -1
	s_barrier_wait -1
	ds_load_b64 v[136:137], v138 offset:184
	v_mov_b32_e32 v134, 23
	s_cmp_lt_i32 s18, 25
	s_cbranch_scc1 .LBB126_485
; %bb.483:
	v_add3_u32 v135, v139, 0, 0xc0
	v_mov_b32_e32 v134, 23
	s_mov_b32 s0, 24
.LBB126_484:                            ; =>This Inner Loop Header: Depth=1
	ds_load_b64 v[144:145], v135
	s_wait_dscnt 0x1
	v_cmp_gt_f32_e32 vcc_lo, 0, v136
	v_cndmask_b32_e64 v146, v136, -v136, vcc_lo
	v_cmp_gt_f32_e32 vcc_lo, 0, v137
	v_cndmask_b32_e64 v148, v137, -v137, vcc_lo
	s_wait_dscnt 0x0
	v_cmp_gt_f32_e32 vcc_lo, 0, v144
	v_cndmask_b32_e64 v147, v144, -v144, vcc_lo
	v_cmp_gt_f32_e32 vcc_lo, 0, v145
	v_cndmask_b32_e64 v149, v145, -v145, vcc_lo
	s_delay_alu instid0(VALU_DEP_1) | instskip(NEXT) | instid1(VALU_DEP_1)
	v_pk_add_f32 v[146:147], v[146:147], v[148:149]
	v_cmp_lt_f32_e32 vcc_lo, v146, v147
	v_dual_add_nc_u32 v135, 8, v135 :: v_dual_cndmask_b32 v137, v137, v145, vcc_lo
	v_cndmask_b32_e32 v136, v136, v144, vcc_lo
	v_cndmask_b32_e64 v134, v134, s0, vcc_lo
	s_add_co_i32 s0, s0, 1
	s_delay_alu instid0(SALU_CYCLE_1)
	s_cmp_lg_u32 s18, s0
	s_cbranch_scc1 .LBB126_484
.LBB126_485:
	s_wait_dscnt 0x0
	v_cmp_eq_f32_e32 vcc_lo, 0, v136
	v_cmp_eq_f32_e64 s0, 0, v137
	s_and_b32 s0, vcc_lo, s0
	s_delay_alu instid0(SALU_CYCLE_1) | instskip(NEXT) | instid1(SALU_CYCLE_1)
	s_and_saveexec_b32 s1, s0
	s_xor_b32 s0, exec_lo, s1
; %bb.486:
	v_cmp_ne_u32_e32 vcc_lo, 0, v140
	v_cndmask_b32_e32 v140, 24, v140, vcc_lo
; %bb.487:
	s_and_not1_saveexec_b32 s0, s0
	s_cbranch_execz .LBB126_493
; %bb.488:
	v_cmp_ngt_f32_e64 s1, |v136|, |v137|
	s_and_saveexec_b32 s12, s1
	s_delay_alu instid0(SALU_CYCLE_1)
	s_xor_b32 s1, exec_lo, s12
	s_cbranch_execz .LBB126_490
; %bb.489:
	v_div_scale_f32 v135, null, v137, v137, v136
	v_div_scale_f32 v145, vcc_lo, v136, v137, v136
	s_delay_alu instid0(VALU_DEP_2) | instskip(SKIP_1) | instid1(TRANS32_DEP_1)
	v_rcp_f32_e32 v143, v135
	v_nop
	v_fma_f32 v144, -v135, v143, 1.0
	s_delay_alu instid0(VALU_DEP_1) | instskip(NEXT) | instid1(VALU_DEP_1)
	v_fmac_f32_e32 v143, v144, v143
	v_mul_f32_e32 v144, v145, v143
	s_delay_alu instid0(VALU_DEP_1) | instskip(NEXT) | instid1(VALU_DEP_1)
	v_fma_f32 v146, -v135, v144, v145
	v_fmac_f32_e32 v144, v146, v143
	s_delay_alu instid0(VALU_DEP_1) | instskip(NEXT) | instid1(VALU_DEP_1)
	v_fma_f32 v135, -v135, v144, v145
	v_div_fmas_f32 v135, v135, v143, v144
	s_delay_alu instid0(VALU_DEP_1) | instskip(NEXT) | instid1(VALU_DEP_1)
	v_div_fixup_f32 v135, v135, v137, v136
	v_fmac_f32_e32 v137, v136, v135
	s_delay_alu instid0(VALU_DEP_1) | instskip(SKIP_1) | instid1(VALU_DEP_2)
	v_div_scale_f32 v136, null, v137, v137, 1.0
	v_div_scale_f32 v145, vcc_lo, 1.0, v137, 1.0
	v_rcp_f32_e32 v143, v136
	v_nop
	s_delay_alu instid0(TRANS32_DEP_1) | instskip(NEXT) | instid1(VALU_DEP_1)
	v_fma_f32 v144, -v136, v143, 1.0
	v_fmac_f32_e32 v143, v144, v143
	s_delay_alu instid0(VALU_DEP_1) | instskip(NEXT) | instid1(VALU_DEP_1)
	v_mul_f32_e32 v144, v145, v143
	v_fma_f32 v146, -v136, v144, v145
	s_delay_alu instid0(VALU_DEP_1) | instskip(NEXT) | instid1(VALU_DEP_1)
	v_fmac_f32_e32 v144, v146, v143
	v_fma_f32 v136, -v136, v144, v145
	s_delay_alu instid0(VALU_DEP_1) | instskip(NEXT) | instid1(VALU_DEP_1)
	v_div_fmas_f32 v136, v136, v143, v144
	v_div_fixup_f32 v137, v136, v137, 1.0
	s_delay_alu instid0(VALU_DEP_1)
	v_mul_f32_e32 v136, v135, v137
	v_xor_b32_e32 v137, 0x80000000, v137
.LBB126_490:
	s_and_not1_saveexec_b32 s1, s1
	s_cbranch_execz .LBB126_492
; %bb.491:
	s_delay_alu instid0(VALU_DEP_1) | instskip(SKIP_1) | instid1(VALU_DEP_2)
	v_div_scale_f32 v135, null, v136, v136, v137
	v_div_scale_f32 v145, vcc_lo, v137, v136, v137
	v_rcp_f32_e32 v143, v135
	v_nop
	s_delay_alu instid0(TRANS32_DEP_1) | instskip(NEXT) | instid1(VALU_DEP_1)
	v_fma_f32 v144, -v135, v143, 1.0
	v_fmac_f32_e32 v143, v144, v143
	s_delay_alu instid0(VALU_DEP_1) | instskip(NEXT) | instid1(VALU_DEP_1)
	v_mul_f32_e32 v144, v145, v143
	v_fma_f32 v146, -v135, v144, v145
	s_delay_alu instid0(VALU_DEP_1) | instskip(NEXT) | instid1(VALU_DEP_1)
	v_fmac_f32_e32 v144, v146, v143
	v_fma_f32 v135, -v135, v144, v145
	s_delay_alu instid0(VALU_DEP_1) | instskip(NEXT) | instid1(VALU_DEP_1)
	v_div_fmas_f32 v135, v135, v143, v144
	v_div_fixup_f32 v135, v135, v136, v137
	s_delay_alu instid0(VALU_DEP_1) | instskip(NEXT) | instid1(VALU_DEP_1)
	v_fmac_f32_e32 v136, v137, v135
	v_div_scale_f32 v137, null, v136, v136, 1.0
	s_delay_alu instid0(VALU_DEP_1) | instskip(SKIP_1) | instid1(TRANS32_DEP_1)
	v_rcp_f32_e32 v143, v137
	v_nop
	v_fma_f32 v144, -v137, v143, 1.0
	s_delay_alu instid0(VALU_DEP_1) | instskip(SKIP_1) | instid1(VALU_DEP_1)
	v_fmac_f32_e32 v143, v144, v143
	v_div_scale_f32 v144, vcc_lo, 1.0, v136, 1.0
	v_mul_f32_e32 v145, v144, v143
	s_delay_alu instid0(VALU_DEP_1) | instskip(NEXT) | instid1(VALU_DEP_1)
	v_fma_f32 v146, -v137, v145, v144
	v_fmac_f32_e32 v145, v146, v143
	s_delay_alu instid0(VALU_DEP_1) | instskip(NEXT) | instid1(VALU_DEP_1)
	v_fma_f32 v137, -v137, v145, v144
	v_div_fmas_f32 v137, v137, v143, v145
	s_delay_alu instid0(VALU_DEP_1) | instskip(NEXT) | instid1(VALU_DEP_1)
	v_div_fixup_f32 v136, v137, v136, 1.0
	v_mul_f32_e64 v137, v135, -v136
.LBB126_492:
	s_or_b32 exec_lo, exec_lo, s1
.LBB126_493:
	s_delay_alu instid0(SALU_CYCLE_1) | instskip(NEXT) | instid1(SALU_CYCLE_1)
	s_or_b32 exec_lo, exec_lo, s0
	s_mov_b32 s0, exec_lo
	v_cmpx_ne_u32_e64 v142, v134
	s_xor_b32 s0, exec_lo, s0
	s_cbranch_execz .LBB126_499
; %bb.494:
	s_mov_b32 s1, exec_lo
	v_cmpx_eq_u32_e32 23, v142
	s_cbranch_execz .LBB126_498
; %bb.495:
	v_cmp_ne_u32_e32 vcc_lo, 23, v134
	s_xor_b32 s12, s16, -1
	s_delay_alu instid0(SALU_CYCLE_1) | instskip(NEXT) | instid1(SALU_CYCLE_1)
	s_and_b32 s13, s12, vcc_lo
	s_and_saveexec_b32 s12, s13
	s_cbranch_execz .LBB126_497
; %bb.496:
	v_ashrrev_i32_e32 v135, 31, v134
	s_delay_alu instid0(VALU_DEP_1)
	v_lshl_add_u64 v[142:143], v[134:135], 2, v[4:5]
	s_clause 0x1
	global_load_b32 v135, v[142:143], off
	global_load_b32 v141, v[4:5], off offset:92
	s_wait_loadcnt 0x1
	global_store_b32 v[4:5], v135, off offset:92
	s_wait_loadcnt 0x0
	global_store_b32 v[142:143], v141, off
.LBB126_497:
	s_wait_xcnt 0x0
	s_or_b32 exec_lo, exec_lo, s12
	v_dual_mov_b32 v142, v134 :: v_dual_mov_b32 v141, v134
.LBB126_498:
	s_or_b32 exec_lo, exec_lo, s1
.LBB126_499:
	s_and_not1_saveexec_b32 s0, s0
	s_cbranch_execz .LBB126_501
; %bb.500:
	v_dual_mov_b32 v134, v92 :: v_dual_mov_b32 v135, v93
	v_dual_mov_b32 v142, v88 :: v_dual_mov_b32 v143, v89
	ds_store_2addr_b64 v138, v[134:135], v[142:143] offset0:24 offset1:25
	v_dual_mov_b32 v134, v90 :: v_dual_mov_b32 v135, v91
	v_dual_mov_b32 v142, v34 :: v_dual_mov_b32 v143, v35
	ds_store_2addr_b64 v138, v[134:135], v[142:143] offset0:26 offset1:27
	;; [unrolled: 3-line block ×19, first 2 shown]
	v_dual_mov_b32 v134, v10 :: v_dual_mov_b32 v135, v11
	v_mov_b32_e32 v142, 23
	ds_store_2addr_b64 v138, v[134:135], v[132:133] offset0:62 offset1:63
.LBB126_501:
	s_or_b32 exec_lo, exec_lo, s0
	s_delay_alu instid0(SALU_CYCLE_1)
	s_mov_b32 s0, exec_lo
	s_wait_storecnt_dscnt 0x0
	s_barrier_signal -1
	s_barrier_wait -1
	v_cmpx_lt_i32_e32 23, v142
	s_cbranch_execz .LBB126_503
; %bb.502:
	v_pk_mul_f32 v[144:145], v[136:137], v[36:37] op_sel:[1,1] op_sel_hi:[0,1]
	s_delay_alu instid0(VALU_DEP_1)
	v_pk_fma_f32 v[134:135], v[136:137], v[36:37], v[144:145] op_sel_hi:[1,0,1] neg_lo:[0,0,1] neg_hi:[0,0,1]
	v_pk_fma_f32 v[136:137], v[136:137], v[36:37], v[144:145] op_sel_hi:[1,0,1]
	ds_load_2addr_b64 v[144:147], v138 offset0:24 offset1:25
	v_dual_mov_b32 v36, v134 :: v_dual_mov_b32 v37, v137
	s_wait_dscnt 0x0
	v_pk_mul_f32 v[148:149], v[144:145], v[136:137] op_sel:[0,1]
	s_delay_alu instid0(VALU_DEP_1) | instskip(SKIP_1) | instid1(VALU_DEP_1)
	v_pk_fma_f32 v[150:151], v[144:145], v[134:135], v[148:149] op_sel:[0,0,1] op_sel_hi:[1,1,0] neg_lo:[0,0,1] neg_hi:[0,0,1]
	v_pk_fma_f32 v[144:145], v[144:145], v[134:135], v[148:149] op_sel:[0,0,1] op_sel_hi:[1,0,0]
	v_mov_b32_e32 v151, v145
	v_pk_mul_f32 v[144:145], v[146:147], v[136:137] op_sel:[0,1]
	s_delay_alu instid0(VALU_DEP_1) | instskip(SKIP_1) | instid1(VALU_DEP_1)
	v_pk_fma_f32 v[148:149], v[146:147], v[134:135], v[144:145] op_sel:[0,0,1] op_sel_hi:[1,1,0] neg_lo:[0,0,1] neg_hi:[0,0,1]
	v_pk_fma_f32 v[144:145], v[146:147], v[134:135], v[144:145] op_sel:[0,0,1] op_sel_hi:[1,0,0]
	v_mov_b32_e32 v149, v145
	ds_load_2addr_b64 v[144:147], v138 offset0:26 offset1:27
	v_pk_add_f32 v[92:93], v[92:93], v[150:151] neg_lo:[0,1] neg_hi:[0,1]
	v_pk_add_f32 v[88:89], v[88:89], v[148:149] neg_lo:[0,1] neg_hi:[0,1]
	s_wait_dscnt 0x0
	v_pk_mul_f32 v[148:149], v[144:145], v[136:137] op_sel:[0,1]
	s_delay_alu instid0(VALU_DEP_1) | instskip(SKIP_2) | instid1(VALU_DEP_2)
	v_pk_fma_f32 v[150:151], v[144:145], v[134:135], v[148:149] op_sel:[0,0,1] op_sel_hi:[1,1,0] neg_lo:[0,0,1] neg_hi:[0,0,1]
	v_pk_fma_f32 v[144:145], v[144:145], v[134:135], v[148:149] op_sel:[0,0,1] op_sel_hi:[1,0,0]
	v_dual_mul_f32 v148, v147, v137 :: v_dual_mov_b32 v144, v147
	v_dual_mov_b32 v151, v145 :: v_dual_mov_b32 v145, v146
	s_delay_alu instid0(VALU_DEP_2) | instskip(SKIP_1) | instid1(VALU_DEP_3)
	v_pk_fma_f32 v[148:149], v[146:147], v[36:37], v[148:149] op_sel_hi:[1,1,0] neg_lo:[0,0,1] neg_hi:[0,0,1]
	v_mul_f32_e32 v146, v147, v134
	v_pk_add_f32 v[90:91], v[90:91], v[150:151] neg_lo:[0,1] neg_hi:[0,1]
	s_delay_alu instid0(VALU_DEP_2) | instskip(NEXT) | instid1(VALU_DEP_1)
	v_pk_fma_f32 v[144:145], v[144:145], v[36:37], v[146:147] op_sel_hi:[1,1,0]
	v_mov_b32_e32 v149, v145
	ds_load_2addr_b64 v[144:147], v138 offset0:28 offset1:29
	v_pk_add_f32 v[34:35], v[34:35], v[148:149] neg_lo:[0,1] neg_hi:[0,1]
	s_wait_dscnt 0x0
	v_pk_mul_f32 v[148:149], v[144:145], v[136:137] op_sel:[0,1]
	s_delay_alu instid0(VALU_DEP_1) | instskip(SKIP_1) | instid1(VALU_DEP_1)
	v_pk_fma_f32 v[150:151], v[144:145], v[134:135], v[148:149] op_sel:[0,0,1] op_sel_hi:[1,1,0] neg_lo:[0,0,1] neg_hi:[0,0,1]
	v_pk_fma_f32 v[144:145], v[144:145], v[134:135], v[148:149] op_sel:[0,0,1] op_sel_hi:[1,0,0]
	v_mov_b32_e32 v151, v145
	v_pk_mul_f32 v[144:145], v[146:147], v[136:137] op_sel:[0,1]
	s_delay_alu instid0(VALU_DEP_1) | instskip(SKIP_1) | instid1(VALU_DEP_1)
	v_pk_fma_f32 v[148:149], v[146:147], v[134:135], v[144:145] op_sel:[0,0,1] op_sel_hi:[1,1,0] neg_lo:[0,0,1] neg_hi:[0,0,1]
	v_pk_fma_f32 v[144:145], v[146:147], v[134:135], v[144:145] op_sel:[0,0,1] op_sel_hi:[1,0,0]
	v_mov_b32_e32 v149, v145
	ds_load_2addr_b64 v[144:147], v138 offset0:30 offset1:31
	v_pk_add_f32 v[86:87], v[86:87], v[150:151] neg_lo:[0,1] neg_hi:[0,1]
	v_pk_add_f32 v[82:83], v[82:83], v[148:149] neg_lo:[0,1] neg_hi:[0,1]
	s_wait_dscnt 0x0
	v_pk_mul_f32 v[148:149], v[144:145], v[136:137] op_sel:[0,1]
	s_delay_alu instid0(VALU_DEP_1) | instskip(SKIP_1) | instid1(VALU_DEP_1)
	v_pk_fma_f32 v[150:151], v[144:145], v[134:135], v[148:149] op_sel:[0,0,1] op_sel_hi:[1,1,0] neg_lo:[0,0,1] neg_hi:[0,0,1]
	v_pk_fma_f32 v[144:145], v[144:145], v[134:135], v[148:149] op_sel:[0,0,1] op_sel_hi:[1,0,0]
	v_mov_b32_e32 v151, v145
	v_pk_mul_f32 v[144:145], v[146:147], v[136:137] op_sel:[0,1]
	s_delay_alu instid0(VALU_DEP_1) | instskip(SKIP_1) | instid1(VALU_DEP_1)
	v_pk_fma_f32 v[148:149], v[146:147], v[134:135], v[144:145] op_sel:[0,0,1] op_sel_hi:[1,1,0] neg_lo:[0,0,1] neg_hi:[0,0,1]
	v_pk_fma_f32 v[144:145], v[146:147], v[134:135], v[144:145] op_sel:[0,0,1] op_sel_hi:[1,0,0]
	v_mov_b32_e32 v149, v145
	ds_load_2addr_b64 v[144:147], v138 offset0:32 offset1:33
	v_pk_add_f32 v[84:85], v[84:85], v[150:151] neg_lo:[0,1] neg_hi:[0,1]
	v_pk_add_f32 v[26:27], v[26:27], v[148:149] neg_lo:[0,1] neg_hi:[0,1]
	s_wait_dscnt 0x0
	v_dual_mul_f32 v148, v145, v137 :: v_dual_mul_f32 v150, v145, v134
	s_delay_alu instid0(VALU_DEP_1) | instskip(NEXT) | instid1(VALU_DEP_2)
	v_pk_fma_f32 v[148:149], v[144:145], v[36:37], v[148:149] op_sel_hi:[1,1,0] neg_lo:[0,0,1] neg_hi:[0,0,1]
	v_pk_fma_f32 v[144:145], v[144:145], v[36:37], v[150:151] op_sel:[1,0,0] op_sel_hi:[0,1,0]
	s_delay_alu instid0(VALU_DEP_1) | instskip(SKIP_1) | instid1(VALU_DEP_2)
	v_mov_b32_e32 v149, v145
	v_pk_mul_f32 v[144:145], v[146:147], v[136:137] op_sel:[0,1]
	v_pk_add_f32 v[80:81], v[80:81], v[148:149] neg_lo:[0,1] neg_hi:[0,1]
	s_delay_alu instid0(VALU_DEP_2) | instskip(SKIP_1) | instid1(VALU_DEP_1)
	v_pk_fma_f32 v[148:149], v[146:147], v[134:135], v[144:145] op_sel:[0,0,1] op_sel_hi:[1,1,0] neg_lo:[0,0,1] neg_hi:[0,0,1]
	v_pk_fma_f32 v[144:145], v[146:147], v[134:135], v[144:145] op_sel:[0,0,1] op_sel_hi:[1,0,0]
	v_mov_b32_e32 v149, v145
	ds_load_2addr_b64 v[144:147], v138 offset0:34 offset1:35
	v_pk_add_f32 v[76:77], v[76:77], v[148:149] neg_lo:[0,1] neg_hi:[0,1]
	s_wait_dscnt 0x0
	v_pk_mul_f32 v[148:149], v[144:145], v[136:137] op_sel:[0,1]
	s_delay_alu instid0(VALU_DEP_1) | instskip(SKIP_1) | instid1(VALU_DEP_1)
	v_pk_fma_f32 v[150:151], v[144:145], v[134:135], v[148:149] op_sel:[0,0,1] op_sel_hi:[1,1,0] neg_lo:[0,0,1] neg_hi:[0,0,1]
	v_pk_fma_f32 v[144:145], v[144:145], v[134:135], v[148:149] op_sel:[0,0,1] op_sel_hi:[1,0,0]
	v_mov_b32_e32 v151, v145
	v_pk_mul_f32 v[144:145], v[146:147], v[136:137] op_sel:[0,1]
	s_delay_alu instid0(VALU_DEP_2) | instskip(NEXT) | instid1(VALU_DEP_2)
	v_pk_add_f32 v[78:79], v[78:79], v[150:151] neg_lo:[0,1] neg_hi:[0,1]
	v_pk_fma_f32 v[148:149], v[146:147], v[134:135], v[144:145] op_sel:[0,0,1] op_sel_hi:[1,1,0] neg_lo:[0,0,1] neg_hi:[0,0,1]
	v_pk_fma_f32 v[144:145], v[146:147], v[134:135], v[144:145] op_sel:[0,0,1] op_sel_hi:[1,0,0]
	s_delay_alu instid0(VALU_DEP_1) | instskip(SKIP_4) | instid1(VALU_DEP_1)
	v_mov_b32_e32 v149, v145
	ds_load_2addr_b64 v[144:147], v138 offset0:36 offset1:37
	v_pk_add_f32 v[24:25], v[24:25], v[148:149] neg_lo:[0,1] neg_hi:[0,1]
	s_wait_dscnt 0x0
	v_pk_mul_f32 v[148:149], v[144:145], v[136:137] op_sel:[0,1]
	v_pk_fma_f32 v[150:151], v[144:145], v[134:135], v[148:149] op_sel:[0,0,1] op_sel_hi:[1,1,0] neg_lo:[0,0,1] neg_hi:[0,0,1]
	v_pk_fma_f32 v[144:145], v[144:145], v[134:135], v[148:149] op_sel:[0,0,1] op_sel_hi:[1,0,0]
	v_dual_mul_f32 v148, v147, v137 :: v_dual_mov_b32 v144, v147
	s_delay_alu instid0(VALU_DEP_2) | instskip(NEXT) | instid1(VALU_DEP_2)
	v_dual_mov_b32 v151, v145 :: v_dual_mov_b32 v145, v146
	v_pk_fma_f32 v[148:149], v[146:147], v[36:37], v[148:149] op_sel_hi:[1,1,0] neg_lo:[0,0,1] neg_hi:[0,0,1]
	v_mul_f32_e32 v146, v147, v134
	s_delay_alu instid0(VALU_DEP_3) | instskip(NEXT) | instid1(VALU_DEP_2)
	v_pk_add_f32 v[74:75], v[74:75], v[150:151] neg_lo:[0,1] neg_hi:[0,1]
	v_pk_fma_f32 v[144:145], v[144:145], v[36:37], v[146:147] op_sel_hi:[1,1,0]
	s_delay_alu instid0(VALU_DEP_1) | instskip(SKIP_4) | instid1(VALU_DEP_1)
	v_mov_b32_e32 v149, v145
	ds_load_2addr_b64 v[144:147], v138 offset0:38 offset1:39
	v_pk_add_f32 v[70:71], v[70:71], v[148:149] neg_lo:[0,1] neg_hi:[0,1]
	s_wait_dscnt 0x0
	v_pk_mul_f32 v[148:149], v[144:145], v[136:137] op_sel:[0,1]
	v_pk_fma_f32 v[150:151], v[144:145], v[134:135], v[148:149] op_sel:[0,0,1] op_sel_hi:[1,1,0] neg_lo:[0,0,1] neg_hi:[0,0,1]
	v_pk_fma_f32 v[144:145], v[144:145], v[134:135], v[148:149] op_sel:[0,0,1] op_sel_hi:[1,0,0]
	s_delay_alu instid0(VALU_DEP_1) | instskip(SKIP_1) | instid1(VALU_DEP_1)
	v_mov_b32_e32 v151, v145
	v_pk_mul_f32 v[144:145], v[146:147], v[136:137] op_sel:[0,1]
	v_pk_fma_f32 v[148:149], v[146:147], v[134:135], v[144:145] op_sel:[0,0,1] op_sel_hi:[1,1,0] neg_lo:[0,0,1] neg_hi:[0,0,1]
	v_pk_fma_f32 v[144:145], v[146:147], v[134:135], v[144:145] op_sel:[0,0,1] op_sel_hi:[1,0,0]
	s_delay_alu instid0(VALU_DEP_1)
	v_mov_b32_e32 v149, v145
	ds_load_2addr_b64 v[144:147], v138 offset0:40 offset1:41
	v_pk_add_f32 v[72:73], v[72:73], v[150:151] neg_lo:[0,1] neg_hi:[0,1]
	v_pk_add_f32 v[22:23], v[22:23], v[148:149] neg_lo:[0,1] neg_hi:[0,1]
	s_wait_dscnt 0x0
	v_pk_mul_f32 v[148:149], v[144:145], v[136:137] op_sel:[0,1]
	s_delay_alu instid0(VALU_DEP_1) | instskip(SKIP_1) | instid1(VALU_DEP_1)
	v_pk_fma_f32 v[150:151], v[144:145], v[134:135], v[148:149] op_sel:[0,0,1] op_sel_hi:[1,1,0] neg_lo:[0,0,1] neg_hi:[0,0,1]
	v_pk_fma_f32 v[144:145], v[144:145], v[134:135], v[148:149] op_sel:[0,0,1] op_sel_hi:[1,0,0]
	v_mov_b32_e32 v151, v145
	v_pk_mul_f32 v[144:145], v[146:147], v[136:137] op_sel:[0,1]
	s_delay_alu instid0(VALU_DEP_1) | instskip(SKIP_1) | instid1(VALU_DEP_1)
	v_pk_fma_f32 v[148:149], v[146:147], v[134:135], v[144:145] op_sel:[0,0,1] op_sel_hi:[1,1,0] neg_lo:[0,0,1] neg_hi:[0,0,1]
	v_pk_fma_f32 v[144:145], v[146:147], v[134:135], v[144:145] op_sel:[0,0,1] op_sel_hi:[1,0,0]
	v_mov_b32_e32 v149, v145
	ds_load_2addr_b64 v[144:147], v138 offset0:42 offset1:43
	v_pk_add_f32 v[68:69], v[68:69], v[150:151] neg_lo:[0,1] neg_hi:[0,1]
	v_pk_add_f32 v[64:65], v[64:65], v[148:149] neg_lo:[0,1] neg_hi:[0,1]
	s_wait_dscnt 0x0
	v_dual_mul_f32 v148, v145, v137 :: v_dual_mul_f32 v150, v145, v134
	s_delay_alu instid0(VALU_DEP_1) | instskip(NEXT) | instid1(VALU_DEP_2)
	v_pk_fma_f32 v[148:149], v[144:145], v[36:37], v[148:149] op_sel_hi:[1,1,0] neg_lo:[0,0,1] neg_hi:[0,0,1]
	v_pk_fma_f32 v[144:145], v[144:145], v[36:37], v[150:151] op_sel:[1,0,0] op_sel_hi:[0,1,0]
	s_delay_alu instid0(VALU_DEP_1) | instskip(SKIP_1) | instid1(VALU_DEP_2)
	v_mov_b32_e32 v149, v145
	v_pk_mul_f32 v[144:145], v[146:147], v[136:137] op_sel:[0,1]
	v_pk_add_f32 v[66:67], v[66:67], v[148:149] neg_lo:[0,1] neg_hi:[0,1]
	s_delay_alu instid0(VALU_DEP_2) | instskip(SKIP_1) | instid1(VALU_DEP_1)
	v_pk_fma_f32 v[148:149], v[146:147], v[134:135], v[144:145] op_sel:[0,0,1] op_sel_hi:[1,1,0] neg_lo:[0,0,1] neg_hi:[0,0,1]
	v_pk_fma_f32 v[144:145], v[146:147], v[134:135], v[144:145] op_sel:[0,0,1] op_sel_hi:[1,0,0]
	v_mov_b32_e32 v149, v145
	ds_load_2addr_b64 v[144:147], v138 offset0:44 offset1:45
	v_pk_add_f32 v[18:19], v[18:19], v[148:149] neg_lo:[0,1] neg_hi:[0,1]
	s_wait_dscnt 0x0
	v_pk_mul_f32 v[148:149], v[144:145], v[136:137] op_sel:[0,1]
	s_delay_alu instid0(VALU_DEP_1) | instskip(SKIP_1) | instid1(VALU_DEP_1)
	v_pk_fma_f32 v[150:151], v[144:145], v[134:135], v[148:149] op_sel:[0,0,1] op_sel_hi:[1,1,0] neg_lo:[0,0,1] neg_hi:[0,0,1]
	v_pk_fma_f32 v[144:145], v[144:145], v[134:135], v[148:149] op_sel:[0,0,1] op_sel_hi:[1,0,0]
	v_mov_b32_e32 v151, v145
	v_pk_mul_f32 v[144:145], v[146:147], v[136:137] op_sel:[0,1]
	s_delay_alu instid0(VALU_DEP_2) | instskip(NEXT) | instid1(VALU_DEP_2)
	v_pk_add_f32 v[60:61], v[60:61], v[150:151] neg_lo:[0,1] neg_hi:[0,1]
	v_pk_fma_f32 v[148:149], v[146:147], v[134:135], v[144:145] op_sel:[0,0,1] op_sel_hi:[1,1,0] neg_lo:[0,0,1] neg_hi:[0,0,1]
	v_pk_fma_f32 v[144:145], v[146:147], v[134:135], v[144:145] op_sel:[0,0,1] op_sel_hi:[1,0,0]
	s_delay_alu instid0(VALU_DEP_1) | instskip(SKIP_4) | instid1(VALU_DEP_1)
	v_mov_b32_e32 v149, v145
	ds_load_2addr_b64 v[144:147], v138 offset0:46 offset1:47
	v_pk_add_f32 v[56:57], v[56:57], v[148:149] neg_lo:[0,1] neg_hi:[0,1]
	s_wait_dscnt 0x0
	v_pk_mul_f32 v[148:149], v[144:145], v[136:137] op_sel:[0,1]
	v_pk_fma_f32 v[150:151], v[144:145], v[134:135], v[148:149] op_sel:[0,0,1] op_sel_hi:[1,1,0] neg_lo:[0,0,1] neg_hi:[0,0,1]
	v_pk_fma_f32 v[144:145], v[144:145], v[134:135], v[148:149] op_sel:[0,0,1] op_sel_hi:[1,0,0]
	v_dual_mul_f32 v148, v147, v137 :: v_dual_mov_b32 v144, v147
	s_delay_alu instid0(VALU_DEP_2) | instskip(NEXT) | instid1(VALU_DEP_2)
	v_dual_mov_b32 v151, v145 :: v_dual_mov_b32 v145, v146
	v_pk_fma_f32 v[148:149], v[146:147], v[36:37], v[148:149] op_sel_hi:[1,1,0] neg_lo:[0,0,1] neg_hi:[0,0,1]
	v_mul_f32_e32 v146, v147, v134
	s_delay_alu instid0(VALU_DEP_3) | instskip(NEXT) | instid1(VALU_DEP_2)
	v_pk_add_f32 v[58:59], v[58:59], v[150:151] neg_lo:[0,1] neg_hi:[0,1]
	v_pk_fma_f32 v[144:145], v[144:145], v[36:37], v[146:147] op_sel_hi:[1,1,0]
	s_delay_alu instid0(VALU_DEP_1) | instskip(SKIP_4) | instid1(VALU_DEP_1)
	v_mov_b32_e32 v149, v145
	ds_load_2addr_b64 v[144:147], v138 offset0:48 offset1:49
	v_pk_add_f32 v[12:13], v[12:13], v[148:149] neg_lo:[0,1] neg_hi:[0,1]
	s_wait_dscnt 0x0
	v_pk_mul_f32 v[148:149], v[144:145], v[136:137] op_sel:[0,1]
	v_pk_fma_f32 v[150:151], v[144:145], v[134:135], v[148:149] op_sel:[0,0,1] op_sel_hi:[1,1,0] neg_lo:[0,0,1] neg_hi:[0,0,1]
	v_pk_fma_f32 v[144:145], v[144:145], v[134:135], v[148:149] op_sel:[0,0,1] op_sel_hi:[1,0,0]
	s_delay_alu instid0(VALU_DEP_1) | instskip(SKIP_1) | instid1(VALU_DEP_1)
	v_mov_b32_e32 v151, v145
	v_pk_mul_f32 v[144:145], v[146:147], v[136:137] op_sel:[0,1]
	v_pk_fma_f32 v[148:149], v[146:147], v[134:135], v[144:145] op_sel:[0,0,1] op_sel_hi:[1,1,0] neg_lo:[0,0,1] neg_hi:[0,0,1]
	v_pk_fma_f32 v[144:145], v[146:147], v[134:135], v[144:145] op_sel:[0,0,1] op_sel_hi:[1,0,0]
	s_delay_alu instid0(VALU_DEP_1)
	v_mov_b32_e32 v149, v145
	ds_load_2addr_b64 v[144:147], v138 offset0:50 offset1:51
	v_pk_add_f32 v[54:55], v[54:55], v[150:151] neg_lo:[0,1] neg_hi:[0,1]
	v_pk_add_f32 v[52:53], v[52:53], v[148:149] neg_lo:[0,1] neg_hi:[0,1]
	s_wait_dscnt 0x0
	v_pk_mul_f32 v[148:149], v[144:145], v[136:137] op_sel:[0,1]
	s_delay_alu instid0(VALU_DEP_1) | instskip(SKIP_1) | instid1(VALU_DEP_1)
	v_pk_fma_f32 v[150:151], v[144:145], v[134:135], v[148:149] op_sel:[0,0,1] op_sel_hi:[1,1,0] neg_lo:[0,0,1] neg_hi:[0,0,1]
	v_pk_fma_f32 v[144:145], v[144:145], v[134:135], v[148:149] op_sel:[0,0,1] op_sel_hi:[1,0,0]
	v_mov_b32_e32 v151, v145
	v_pk_mul_f32 v[144:145], v[146:147], v[136:137] op_sel:[0,1]
	s_delay_alu instid0(VALU_DEP_1) | instskip(SKIP_1) | instid1(VALU_DEP_1)
	v_pk_fma_f32 v[148:149], v[146:147], v[134:135], v[144:145] op_sel:[0,0,1] op_sel_hi:[1,1,0] neg_lo:[0,0,1] neg_hi:[0,0,1]
	v_pk_fma_f32 v[144:145], v[146:147], v[134:135], v[144:145] op_sel:[0,0,1] op_sel_hi:[1,0,0]
	v_mov_b32_e32 v149, v145
	ds_load_2addr_b64 v[144:147], v138 offset0:52 offset1:53
	v_pk_add_f32 v[62:63], v[62:63], v[150:151] neg_lo:[0,1] neg_hi:[0,1]
	v_pk_add_f32 v[16:17], v[16:17], v[148:149] neg_lo:[0,1] neg_hi:[0,1]
	s_wait_dscnt 0x0
	v_dual_mul_f32 v148, v145, v137 :: v_dual_mul_f32 v150, v145, v134
	s_delay_alu instid0(VALU_DEP_1) | instskip(NEXT) | instid1(VALU_DEP_2)
	v_pk_fma_f32 v[148:149], v[144:145], v[36:37], v[148:149] op_sel_hi:[1,1,0] neg_lo:[0,0,1] neg_hi:[0,0,1]
	v_pk_fma_f32 v[144:145], v[144:145], v[36:37], v[150:151] op_sel:[1,0,0] op_sel_hi:[0,1,0]
	s_delay_alu instid0(VALU_DEP_1) | instskip(SKIP_1) | instid1(VALU_DEP_2)
	v_mov_b32_e32 v149, v145
	v_pk_mul_f32 v[144:145], v[146:147], v[136:137] op_sel:[0,1]
	v_pk_add_f32 v[48:49], v[48:49], v[148:149] neg_lo:[0,1] neg_hi:[0,1]
	s_delay_alu instid0(VALU_DEP_2) | instskip(SKIP_1) | instid1(VALU_DEP_1)
	v_pk_fma_f32 v[148:149], v[146:147], v[134:135], v[144:145] op_sel:[0,0,1] op_sel_hi:[1,1,0] neg_lo:[0,0,1] neg_hi:[0,0,1]
	v_pk_fma_f32 v[144:145], v[146:147], v[134:135], v[144:145] op_sel:[0,0,1] op_sel_hi:[1,0,0]
	v_mov_b32_e32 v149, v145
	ds_load_2addr_b64 v[144:147], v138 offset0:54 offset1:55
	v_pk_add_f32 v[42:43], v[42:43], v[148:149] neg_lo:[0,1] neg_hi:[0,1]
	s_wait_dscnt 0x0
	v_pk_mul_f32 v[148:149], v[144:145], v[136:137] op_sel:[0,1]
	s_delay_alu instid0(VALU_DEP_1) | instskip(SKIP_1) | instid1(VALU_DEP_1)
	v_pk_fma_f32 v[150:151], v[144:145], v[134:135], v[148:149] op_sel:[0,0,1] op_sel_hi:[1,1,0] neg_lo:[0,0,1] neg_hi:[0,0,1]
	v_pk_fma_f32 v[144:145], v[144:145], v[134:135], v[148:149] op_sel:[0,0,1] op_sel_hi:[1,0,0]
	v_mov_b32_e32 v151, v145
	v_pk_mul_f32 v[144:145], v[146:147], v[136:137] op_sel:[0,1]
	s_delay_alu instid0(VALU_DEP_2) | instskip(NEXT) | instid1(VALU_DEP_2)
	v_pk_add_f32 v[46:47], v[46:47], v[150:151] neg_lo:[0,1] neg_hi:[0,1]
	v_pk_fma_f32 v[148:149], v[146:147], v[134:135], v[144:145] op_sel:[0,0,1] op_sel_hi:[1,1,0] neg_lo:[0,0,1] neg_hi:[0,0,1]
	v_pk_fma_f32 v[144:145], v[146:147], v[134:135], v[144:145] op_sel:[0,0,1] op_sel_hi:[1,0,0]
	s_delay_alu instid0(VALU_DEP_1) | instskip(SKIP_4) | instid1(VALU_DEP_1)
	v_mov_b32_e32 v149, v145
	ds_load_2addr_b64 v[144:147], v138 offset0:56 offset1:57
	v_pk_add_f32 v[8:9], v[8:9], v[148:149] neg_lo:[0,1] neg_hi:[0,1]
	s_wait_dscnt 0x0
	v_pk_mul_f32 v[148:149], v[144:145], v[136:137] op_sel:[0,1]
	v_pk_fma_f32 v[150:151], v[144:145], v[134:135], v[148:149] op_sel:[0,0,1] op_sel_hi:[1,1,0] neg_lo:[0,0,1] neg_hi:[0,0,1]
	v_pk_fma_f32 v[144:145], v[144:145], v[134:135], v[148:149] op_sel:[0,0,1] op_sel_hi:[1,0,0]
	v_dual_mul_f32 v148, v147, v137 :: v_dual_mov_b32 v144, v147
	s_delay_alu instid0(VALU_DEP_2) | instskip(NEXT) | instid1(VALU_DEP_2)
	v_dual_mov_b32 v151, v145 :: v_dual_mov_b32 v145, v146
	v_pk_fma_f32 v[148:149], v[146:147], v[36:37], v[148:149] op_sel_hi:[1,1,0] neg_lo:[0,0,1] neg_hi:[0,0,1]
	v_mul_f32_e32 v146, v147, v134
	s_delay_alu instid0(VALU_DEP_3) | instskip(NEXT) | instid1(VALU_DEP_2)
	v_pk_add_f32 v[32:33], v[32:33], v[150:151] neg_lo:[0,1] neg_hi:[0,1]
	v_pk_fma_f32 v[144:145], v[144:145], v[36:37], v[146:147] op_sel_hi:[1,1,0]
	s_delay_alu instid0(VALU_DEP_1) | instskip(SKIP_4) | instid1(VALU_DEP_1)
	v_mov_b32_e32 v149, v145
	ds_load_2addr_b64 v[144:147], v138 offset0:58 offset1:59
	v_pk_add_f32 v[28:29], v[28:29], v[148:149] neg_lo:[0,1] neg_hi:[0,1]
	s_wait_dscnt 0x0
	v_pk_mul_f32 v[148:149], v[144:145], v[136:137] op_sel:[0,1]
	v_pk_fma_f32 v[150:151], v[144:145], v[134:135], v[148:149] op_sel:[0,0,1] op_sel_hi:[1,1,0] neg_lo:[0,0,1] neg_hi:[0,0,1]
	v_pk_fma_f32 v[144:145], v[144:145], v[134:135], v[148:149] op_sel:[0,0,1] op_sel_hi:[1,0,0]
	s_delay_alu instid0(VALU_DEP_1) | instskip(SKIP_1) | instid1(VALU_DEP_1)
	v_mov_b32_e32 v151, v145
	v_pk_mul_f32 v[144:145], v[146:147], v[136:137] op_sel:[0,1]
	v_pk_fma_f32 v[148:149], v[146:147], v[134:135], v[144:145] op_sel:[0,0,1] op_sel_hi:[1,1,0] neg_lo:[0,0,1] neg_hi:[0,0,1]
	v_pk_fma_f32 v[144:145], v[146:147], v[134:135], v[144:145] op_sel:[0,0,1] op_sel_hi:[1,0,0]
	s_delay_alu instid0(VALU_DEP_1)
	v_mov_b32_e32 v149, v145
	ds_load_2addr_b64 v[144:147], v138 offset0:60 offset1:61
	v_pk_add_f32 v[30:31], v[30:31], v[150:151] neg_lo:[0,1] neg_hi:[0,1]
	v_pk_add_f32 v[6:7], v[6:7], v[148:149] neg_lo:[0,1] neg_hi:[0,1]
	s_wait_dscnt 0x0
	v_pk_mul_f32 v[148:149], v[144:145], v[136:137] op_sel:[0,1]
	s_delay_alu instid0(VALU_DEP_1) | instskip(SKIP_1) | instid1(VALU_DEP_1)
	v_pk_fma_f32 v[150:151], v[144:145], v[134:135], v[148:149] op_sel:[0,0,1] op_sel_hi:[1,1,0] neg_lo:[0,0,1] neg_hi:[0,0,1]
	v_pk_fma_f32 v[144:145], v[144:145], v[134:135], v[148:149] op_sel:[0,0,1] op_sel_hi:[1,0,0]
	v_mov_b32_e32 v151, v145
	v_pk_mul_f32 v[144:145], v[146:147], v[136:137] op_sel:[0,1]
	s_delay_alu instid0(VALU_DEP_1) | instskip(SKIP_1) | instid1(VALU_DEP_1)
	v_pk_fma_f32 v[148:149], v[146:147], v[134:135], v[144:145] op_sel:[0,0,1] op_sel_hi:[1,1,0] neg_lo:[0,0,1] neg_hi:[0,0,1]
	v_pk_fma_f32 v[144:145], v[146:147], v[134:135], v[144:145] op_sel:[0,0,1] op_sel_hi:[1,0,0]
	v_mov_b32_e32 v149, v145
	ds_load_2addr_b64 v[144:147], v138 offset0:62 offset1:63
	v_pk_add_f32 v[20:21], v[20:21], v[150:151] neg_lo:[0,1] neg_hi:[0,1]
	v_pk_add_f32 v[14:15], v[14:15], v[148:149] neg_lo:[0,1] neg_hi:[0,1]
	s_wait_dscnt 0x0
	v_dual_mul_f32 v148, v145, v137 :: v_dual_mul_f32 v150, v145, v134
	v_pk_mul_f32 v[136:137], v[146:147], v[136:137] op_sel:[0,1]
	s_delay_alu instid0(VALU_DEP_2) | instskip(NEXT) | instid1(VALU_DEP_3)
	v_pk_fma_f32 v[148:149], v[144:145], v[36:37], v[148:149] op_sel_hi:[1,1,0] neg_lo:[0,0,1] neg_hi:[0,0,1]
	v_pk_fma_f32 v[144:145], v[144:145], v[36:37], v[150:151] op_sel:[1,0,0] op_sel_hi:[0,1,0]
	s_delay_alu instid0(VALU_DEP_1) | instskip(NEXT) | instid1(VALU_DEP_4)
	v_mov_b32_e32 v149, v145
	v_pk_fma_f32 v[144:145], v[146:147], v[134:135], v[136:137] op_sel:[0,0,1] op_sel_hi:[1,1,0] neg_lo:[0,0,1] neg_hi:[0,0,1]
	v_pk_fma_f32 v[134:135], v[146:147], v[134:135], v[136:137] op_sel:[0,0,1] op_sel_hi:[1,0,0]
	s_delay_alu instid0(VALU_DEP_1) | instskip(NEXT) | instid1(VALU_DEP_4)
	v_mov_b32_e32 v145, v135
	v_pk_add_f32 v[10:11], v[10:11], v[148:149] neg_lo:[0,1] neg_hi:[0,1]
	s_delay_alu instid0(VALU_DEP_2)
	v_pk_add_f32 v[132:133], v[132:133], v[144:145] neg_lo:[0,1] neg_hi:[0,1]
.LBB126_503:
	s_or_b32 exec_lo, exec_lo, s0
	v_lshl_add_u32 v134, v142, 3, v138
	s_barrier_signal -1
	s_barrier_wait -1
	ds_store_b64 v134, v[92:93]
	s_wait_dscnt 0x0
	s_barrier_signal -1
	s_barrier_wait -1
	ds_load_b64 v[136:137], v138 offset:192
	v_mov_b32_e32 v134, 24
	s_cmp_lt_i32 s18, 26
	s_cbranch_scc1 .LBB126_506
; %bb.504:
	v_add3_u32 v135, v139, 0, 0xc8
	v_mov_b32_e32 v134, 24
	s_mov_b32 s0, 25
.LBB126_505:                            ; =>This Inner Loop Header: Depth=1
	ds_load_b64 v[144:145], v135
	s_wait_dscnt 0x1
	v_cmp_gt_f32_e32 vcc_lo, 0, v136
	v_cndmask_b32_e64 v146, v136, -v136, vcc_lo
	v_cmp_gt_f32_e32 vcc_lo, 0, v137
	v_cndmask_b32_e64 v148, v137, -v137, vcc_lo
	s_wait_dscnt 0x0
	v_cmp_gt_f32_e32 vcc_lo, 0, v144
	v_cndmask_b32_e64 v147, v144, -v144, vcc_lo
	v_cmp_gt_f32_e32 vcc_lo, 0, v145
	v_cndmask_b32_e64 v149, v145, -v145, vcc_lo
	s_delay_alu instid0(VALU_DEP_1) | instskip(NEXT) | instid1(VALU_DEP_1)
	v_pk_add_f32 v[146:147], v[146:147], v[148:149]
	v_cmp_lt_f32_e32 vcc_lo, v146, v147
	v_dual_add_nc_u32 v135, 8, v135 :: v_dual_cndmask_b32 v137, v137, v145, vcc_lo
	v_cndmask_b32_e32 v136, v136, v144, vcc_lo
	v_cndmask_b32_e64 v134, v134, s0, vcc_lo
	s_add_co_i32 s0, s0, 1
	s_delay_alu instid0(SALU_CYCLE_1)
	s_cmp_lg_u32 s18, s0
	s_cbranch_scc1 .LBB126_505
.LBB126_506:
	s_wait_dscnt 0x0
	v_cmp_eq_f32_e32 vcc_lo, 0, v136
	v_cmp_eq_f32_e64 s0, 0, v137
	s_and_b32 s0, vcc_lo, s0
	s_delay_alu instid0(SALU_CYCLE_1) | instskip(NEXT) | instid1(SALU_CYCLE_1)
	s_and_saveexec_b32 s1, s0
	s_xor_b32 s0, exec_lo, s1
; %bb.507:
	v_cmp_ne_u32_e32 vcc_lo, 0, v140
	v_cndmask_b32_e32 v140, 25, v140, vcc_lo
; %bb.508:
	s_and_not1_saveexec_b32 s0, s0
	s_cbranch_execz .LBB126_514
; %bb.509:
	v_cmp_ngt_f32_e64 s1, |v136|, |v137|
	s_and_saveexec_b32 s12, s1
	s_delay_alu instid0(SALU_CYCLE_1)
	s_xor_b32 s1, exec_lo, s12
	s_cbranch_execz .LBB126_511
; %bb.510:
	v_div_scale_f32 v135, null, v137, v137, v136
	v_div_scale_f32 v145, vcc_lo, v136, v137, v136
	s_delay_alu instid0(VALU_DEP_2) | instskip(SKIP_1) | instid1(TRANS32_DEP_1)
	v_rcp_f32_e32 v143, v135
	v_nop
	v_fma_f32 v144, -v135, v143, 1.0
	s_delay_alu instid0(VALU_DEP_1) | instskip(NEXT) | instid1(VALU_DEP_1)
	v_fmac_f32_e32 v143, v144, v143
	v_mul_f32_e32 v144, v145, v143
	s_delay_alu instid0(VALU_DEP_1) | instskip(NEXT) | instid1(VALU_DEP_1)
	v_fma_f32 v146, -v135, v144, v145
	v_fmac_f32_e32 v144, v146, v143
	s_delay_alu instid0(VALU_DEP_1) | instskip(NEXT) | instid1(VALU_DEP_1)
	v_fma_f32 v135, -v135, v144, v145
	v_div_fmas_f32 v135, v135, v143, v144
	s_delay_alu instid0(VALU_DEP_1) | instskip(NEXT) | instid1(VALU_DEP_1)
	v_div_fixup_f32 v135, v135, v137, v136
	v_fmac_f32_e32 v137, v136, v135
	s_delay_alu instid0(VALU_DEP_1) | instskip(SKIP_1) | instid1(VALU_DEP_2)
	v_div_scale_f32 v136, null, v137, v137, 1.0
	v_div_scale_f32 v145, vcc_lo, 1.0, v137, 1.0
	v_rcp_f32_e32 v143, v136
	v_nop
	s_delay_alu instid0(TRANS32_DEP_1) | instskip(NEXT) | instid1(VALU_DEP_1)
	v_fma_f32 v144, -v136, v143, 1.0
	v_fmac_f32_e32 v143, v144, v143
	s_delay_alu instid0(VALU_DEP_1) | instskip(NEXT) | instid1(VALU_DEP_1)
	v_mul_f32_e32 v144, v145, v143
	v_fma_f32 v146, -v136, v144, v145
	s_delay_alu instid0(VALU_DEP_1) | instskip(NEXT) | instid1(VALU_DEP_1)
	v_fmac_f32_e32 v144, v146, v143
	v_fma_f32 v136, -v136, v144, v145
	s_delay_alu instid0(VALU_DEP_1) | instskip(NEXT) | instid1(VALU_DEP_1)
	v_div_fmas_f32 v136, v136, v143, v144
	v_div_fixup_f32 v137, v136, v137, 1.0
	s_delay_alu instid0(VALU_DEP_1)
	v_mul_f32_e32 v136, v135, v137
	v_xor_b32_e32 v137, 0x80000000, v137
.LBB126_511:
	s_and_not1_saveexec_b32 s1, s1
	s_cbranch_execz .LBB126_513
; %bb.512:
	s_delay_alu instid0(VALU_DEP_1) | instskip(SKIP_1) | instid1(VALU_DEP_2)
	v_div_scale_f32 v135, null, v136, v136, v137
	v_div_scale_f32 v145, vcc_lo, v137, v136, v137
	v_rcp_f32_e32 v143, v135
	v_nop
	s_delay_alu instid0(TRANS32_DEP_1) | instskip(NEXT) | instid1(VALU_DEP_1)
	v_fma_f32 v144, -v135, v143, 1.0
	v_fmac_f32_e32 v143, v144, v143
	s_delay_alu instid0(VALU_DEP_1) | instskip(NEXT) | instid1(VALU_DEP_1)
	v_mul_f32_e32 v144, v145, v143
	v_fma_f32 v146, -v135, v144, v145
	s_delay_alu instid0(VALU_DEP_1) | instskip(NEXT) | instid1(VALU_DEP_1)
	v_fmac_f32_e32 v144, v146, v143
	v_fma_f32 v135, -v135, v144, v145
	s_delay_alu instid0(VALU_DEP_1) | instskip(NEXT) | instid1(VALU_DEP_1)
	v_div_fmas_f32 v135, v135, v143, v144
	v_div_fixup_f32 v135, v135, v136, v137
	s_delay_alu instid0(VALU_DEP_1) | instskip(NEXT) | instid1(VALU_DEP_1)
	v_fmac_f32_e32 v136, v137, v135
	v_div_scale_f32 v137, null, v136, v136, 1.0
	s_delay_alu instid0(VALU_DEP_1) | instskip(SKIP_1) | instid1(TRANS32_DEP_1)
	v_rcp_f32_e32 v143, v137
	v_nop
	v_fma_f32 v144, -v137, v143, 1.0
	s_delay_alu instid0(VALU_DEP_1) | instskip(SKIP_1) | instid1(VALU_DEP_1)
	v_fmac_f32_e32 v143, v144, v143
	v_div_scale_f32 v144, vcc_lo, 1.0, v136, 1.0
	v_mul_f32_e32 v145, v144, v143
	s_delay_alu instid0(VALU_DEP_1) | instskip(NEXT) | instid1(VALU_DEP_1)
	v_fma_f32 v146, -v137, v145, v144
	v_fmac_f32_e32 v145, v146, v143
	s_delay_alu instid0(VALU_DEP_1) | instskip(NEXT) | instid1(VALU_DEP_1)
	v_fma_f32 v137, -v137, v145, v144
	v_div_fmas_f32 v137, v137, v143, v145
	s_delay_alu instid0(VALU_DEP_1) | instskip(NEXT) | instid1(VALU_DEP_1)
	v_div_fixup_f32 v136, v137, v136, 1.0
	v_mul_f32_e64 v137, v135, -v136
.LBB126_513:
	s_or_b32 exec_lo, exec_lo, s1
.LBB126_514:
	s_delay_alu instid0(SALU_CYCLE_1) | instskip(NEXT) | instid1(SALU_CYCLE_1)
	s_or_b32 exec_lo, exec_lo, s0
	s_mov_b32 s0, exec_lo
	v_cmpx_ne_u32_e64 v142, v134
	s_xor_b32 s0, exec_lo, s0
	s_cbranch_execz .LBB126_520
; %bb.515:
	s_mov_b32 s1, exec_lo
	v_cmpx_eq_u32_e32 24, v142
	s_cbranch_execz .LBB126_519
; %bb.516:
	v_cmp_ne_u32_e32 vcc_lo, 24, v134
	s_xor_b32 s12, s16, -1
	s_delay_alu instid0(SALU_CYCLE_1) | instskip(NEXT) | instid1(SALU_CYCLE_1)
	s_and_b32 s13, s12, vcc_lo
	s_and_saveexec_b32 s12, s13
	s_cbranch_execz .LBB126_518
; %bb.517:
	v_ashrrev_i32_e32 v135, 31, v134
	s_delay_alu instid0(VALU_DEP_1)
	v_lshl_add_u64 v[142:143], v[134:135], 2, v[4:5]
	s_clause 0x1
	global_load_b32 v135, v[142:143], off
	global_load_b32 v141, v[4:5], off offset:96
	s_wait_loadcnt 0x1
	global_store_b32 v[4:5], v135, off offset:96
	s_wait_loadcnt 0x0
	global_store_b32 v[142:143], v141, off
.LBB126_518:
	s_wait_xcnt 0x0
	s_or_b32 exec_lo, exec_lo, s12
	v_dual_mov_b32 v142, v134 :: v_dual_mov_b32 v141, v134
.LBB126_519:
	s_or_b32 exec_lo, exec_lo, s1
.LBB126_520:
	s_and_not1_saveexec_b32 s0, s0
	s_cbranch_execz .LBB126_522
; %bb.521:
	v_mov_b32_e32 v142, 24
	ds_store_2addr_b64 v138, v[88:89], v[90:91] offset0:25 offset1:26
	ds_store_2addr_b64 v138, v[34:35], v[86:87] offset0:27 offset1:28
	;; [unrolled: 1-line block ×19, first 2 shown]
	ds_store_b64 v138, v[132:133] offset:504
.LBB126_522:
	s_or_b32 exec_lo, exec_lo, s0
	s_delay_alu instid0(SALU_CYCLE_1)
	s_mov_b32 s0, exec_lo
	s_wait_storecnt_dscnt 0x0
	s_barrier_signal -1
	s_barrier_wait -1
	v_cmpx_lt_i32_e32 24, v142
	s_cbranch_execz .LBB126_524
; %bb.523:
	v_pk_mul_f32 v[144:145], v[136:137], v[92:93] op_sel:[1,1] op_sel_hi:[0,1]
	s_delay_alu instid0(VALU_DEP_1)
	v_pk_fma_f32 v[134:135], v[136:137], v[92:93], v[144:145] op_sel_hi:[1,0,1] neg_lo:[0,0,1] neg_hi:[0,0,1]
	v_pk_fma_f32 v[136:137], v[136:137], v[92:93], v[144:145] op_sel_hi:[1,0,1]
	ds_load_2addr_b64 v[144:147], v138 offset0:25 offset1:26
	v_dual_mov_b32 v92, v134 :: v_dual_mov_b32 v93, v137
	s_wait_dscnt 0x0
	v_pk_mul_f32 v[148:149], v[144:145], v[136:137] op_sel:[0,1]
	s_delay_alu instid0(VALU_DEP_1) | instskip(SKIP_1) | instid1(VALU_DEP_1)
	v_pk_fma_f32 v[150:151], v[144:145], v[134:135], v[148:149] op_sel:[0,0,1] op_sel_hi:[1,1,0] neg_lo:[0,0,1] neg_hi:[0,0,1]
	v_pk_fma_f32 v[144:145], v[144:145], v[134:135], v[148:149] op_sel:[0,0,1] op_sel_hi:[1,0,0]
	v_mov_b32_e32 v151, v145
	v_pk_mul_f32 v[144:145], v[146:147], v[136:137] op_sel:[0,1]
	s_delay_alu instid0(VALU_DEP_1) | instskip(SKIP_1) | instid1(VALU_DEP_1)
	v_pk_fma_f32 v[148:149], v[146:147], v[134:135], v[144:145] op_sel:[0,0,1] op_sel_hi:[1,1,0] neg_lo:[0,0,1] neg_hi:[0,0,1]
	v_pk_fma_f32 v[144:145], v[146:147], v[134:135], v[144:145] op_sel:[0,0,1] op_sel_hi:[1,0,0]
	v_mov_b32_e32 v149, v145
	ds_load_2addr_b64 v[144:147], v138 offset0:27 offset1:28
	v_pk_add_f32 v[88:89], v[88:89], v[150:151] neg_lo:[0,1] neg_hi:[0,1]
	v_pk_add_f32 v[90:91], v[90:91], v[148:149] neg_lo:[0,1] neg_hi:[0,1]
	s_wait_dscnt 0x0
	v_pk_mul_f32 v[148:149], v[144:145], v[136:137] op_sel:[0,1]
	s_delay_alu instid0(VALU_DEP_1) | instskip(SKIP_2) | instid1(VALU_DEP_2)
	v_pk_fma_f32 v[150:151], v[144:145], v[134:135], v[148:149] op_sel:[0,0,1] op_sel_hi:[1,1,0] neg_lo:[0,0,1] neg_hi:[0,0,1]
	v_pk_fma_f32 v[144:145], v[144:145], v[134:135], v[148:149] op_sel:[0,0,1] op_sel_hi:[1,0,0]
	v_dual_mul_f32 v148, v147, v137 :: v_dual_mov_b32 v144, v147
	v_dual_mov_b32 v151, v145 :: v_dual_mov_b32 v145, v146
	s_delay_alu instid0(VALU_DEP_2) | instskip(SKIP_1) | instid1(VALU_DEP_3)
	v_pk_fma_f32 v[148:149], v[146:147], v[92:93], v[148:149] op_sel_hi:[1,1,0] neg_lo:[0,0,1] neg_hi:[0,0,1]
	v_mul_f32_e32 v146, v147, v134
	v_pk_add_f32 v[34:35], v[34:35], v[150:151] neg_lo:[0,1] neg_hi:[0,1]
	s_delay_alu instid0(VALU_DEP_2) | instskip(NEXT) | instid1(VALU_DEP_1)
	v_pk_fma_f32 v[144:145], v[144:145], v[92:93], v[146:147] op_sel_hi:[1,1,0]
	v_mov_b32_e32 v149, v145
	ds_load_2addr_b64 v[144:147], v138 offset0:29 offset1:30
	v_pk_add_f32 v[86:87], v[86:87], v[148:149] neg_lo:[0,1] neg_hi:[0,1]
	s_wait_dscnt 0x0
	v_pk_mul_f32 v[148:149], v[144:145], v[136:137] op_sel:[0,1]
	s_delay_alu instid0(VALU_DEP_1) | instskip(SKIP_1) | instid1(VALU_DEP_1)
	v_pk_fma_f32 v[150:151], v[144:145], v[134:135], v[148:149] op_sel:[0,0,1] op_sel_hi:[1,1,0] neg_lo:[0,0,1] neg_hi:[0,0,1]
	v_pk_fma_f32 v[144:145], v[144:145], v[134:135], v[148:149] op_sel:[0,0,1] op_sel_hi:[1,0,0]
	v_mov_b32_e32 v151, v145
	v_pk_mul_f32 v[144:145], v[146:147], v[136:137] op_sel:[0,1]
	s_delay_alu instid0(VALU_DEP_1) | instskip(SKIP_1) | instid1(VALU_DEP_1)
	v_pk_fma_f32 v[148:149], v[146:147], v[134:135], v[144:145] op_sel:[0,0,1] op_sel_hi:[1,1,0] neg_lo:[0,0,1] neg_hi:[0,0,1]
	v_pk_fma_f32 v[144:145], v[146:147], v[134:135], v[144:145] op_sel:[0,0,1] op_sel_hi:[1,0,0]
	v_mov_b32_e32 v149, v145
	ds_load_2addr_b64 v[144:147], v138 offset0:31 offset1:32
	v_pk_add_f32 v[82:83], v[82:83], v[150:151] neg_lo:[0,1] neg_hi:[0,1]
	v_pk_add_f32 v[84:85], v[84:85], v[148:149] neg_lo:[0,1] neg_hi:[0,1]
	s_wait_dscnt 0x0
	v_pk_mul_f32 v[148:149], v[144:145], v[136:137] op_sel:[0,1]
	s_delay_alu instid0(VALU_DEP_1) | instskip(SKIP_1) | instid1(VALU_DEP_1)
	v_pk_fma_f32 v[150:151], v[144:145], v[134:135], v[148:149] op_sel:[0,0,1] op_sel_hi:[1,1,0] neg_lo:[0,0,1] neg_hi:[0,0,1]
	v_pk_fma_f32 v[144:145], v[144:145], v[134:135], v[148:149] op_sel:[0,0,1] op_sel_hi:[1,0,0]
	v_mov_b32_e32 v151, v145
	v_pk_mul_f32 v[144:145], v[146:147], v[136:137] op_sel:[0,1]
	s_delay_alu instid0(VALU_DEP_1) | instskip(SKIP_1) | instid1(VALU_DEP_1)
	v_pk_fma_f32 v[148:149], v[146:147], v[134:135], v[144:145] op_sel:[0,0,1] op_sel_hi:[1,1,0] neg_lo:[0,0,1] neg_hi:[0,0,1]
	v_pk_fma_f32 v[144:145], v[146:147], v[134:135], v[144:145] op_sel:[0,0,1] op_sel_hi:[1,0,0]
	v_mov_b32_e32 v149, v145
	ds_load_2addr_b64 v[144:147], v138 offset0:33 offset1:34
	v_pk_add_f32 v[26:27], v[26:27], v[150:151] neg_lo:[0,1] neg_hi:[0,1]
	v_pk_add_f32 v[80:81], v[80:81], v[148:149] neg_lo:[0,1] neg_hi:[0,1]
	s_wait_dscnt 0x0
	v_dual_mul_f32 v148, v145, v137 :: v_dual_mul_f32 v150, v145, v134
	s_delay_alu instid0(VALU_DEP_1) | instskip(NEXT) | instid1(VALU_DEP_2)
	v_pk_fma_f32 v[148:149], v[144:145], v[92:93], v[148:149] op_sel_hi:[1,1,0] neg_lo:[0,0,1] neg_hi:[0,0,1]
	v_pk_fma_f32 v[144:145], v[144:145], v[92:93], v[150:151] op_sel:[1,0,0] op_sel_hi:[0,1,0]
	s_delay_alu instid0(VALU_DEP_1) | instskip(SKIP_1) | instid1(VALU_DEP_2)
	v_mov_b32_e32 v149, v145
	v_pk_mul_f32 v[144:145], v[146:147], v[136:137] op_sel:[0,1]
	v_pk_add_f32 v[76:77], v[76:77], v[148:149] neg_lo:[0,1] neg_hi:[0,1]
	s_delay_alu instid0(VALU_DEP_2) | instskip(SKIP_1) | instid1(VALU_DEP_1)
	v_pk_fma_f32 v[148:149], v[146:147], v[134:135], v[144:145] op_sel:[0,0,1] op_sel_hi:[1,1,0] neg_lo:[0,0,1] neg_hi:[0,0,1]
	v_pk_fma_f32 v[144:145], v[146:147], v[134:135], v[144:145] op_sel:[0,0,1] op_sel_hi:[1,0,0]
	v_mov_b32_e32 v149, v145
	ds_load_2addr_b64 v[144:147], v138 offset0:35 offset1:36
	v_pk_add_f32 v[78:79], v[78:79], v[148:149] neg_lo:[0,1] neg_hi:[0,1]
	s_wait_dscnt 0x0
	v_pk_mul_f32 v[148:149], v[144:145], v[136:137] op_sel:[0,1]
	s_delay_alu instid0(VALU_DEP_1) | instskip(SKIP_1) | instid1(VALU_DEP_1)
	v_pk_fma_f32 v[150:151], v[144:145], v[134:135], v[148:149] op_sel:[0,0,1] op_sel_hi:[1,1,0] neg_lo:[0,0,1] neg_hi:[0,0,1]
	v_pk_fma_f32 v[144:145], v[144:145], v[134:135], v[148:149] op_sel:[0,0,1] op_sel_hi:[1,0,0]
	v_mov_b32_e32 v151, v145
	v_pk_mul_f32 v[144:145], v[146:147], v[136:137] op_sel:[0,1]
	s_delay_alu instid0(VALU_DEP_2) | instskip(NEXT) | instid1(VALU_DEP_2)
	v_pk_add_f32 v[24:25], v[24:25], v[150:151] neg_lo:[0,1] neg_hi:[0,1]
	v_pk_fma_f32 v[148:149], v[146:147], v[134:135], v[144:145] op_sel:[0,0,1] op_sel_hi:[1,1,0] neg_lo:[0,0,1] neg_hi:[0,0,1]
	v_pk_fma_f32 v[144:145], v[146:147], v[134:135], v[144:145] op_sel:[0,0,1] op_sel_hi:[1,0,0]
	s_delay_alu instid0(VALU_DEP_1) | instskip(SKIP_4) | instid1(VALU_DEP_1)
	v_mov_b32_e32 v149, v145
	ds_load_2addr_b64 v[144:147], v138 offset0:37 offset1:38
	v_pk_add_f32 v[74:75], v[74:75], v[148:149] neg_lo:[0,1] neg_hi:[0,1]
	s_wait_dscnt 0x0
	v_pk_mul_f32 v[148:149], v[144:145], v[136:137] op_sel:[0,1]
	v_pk_fma_f32 v[150:151], v[144:145], v[134:135], v[148:149] op_sel:[0,0,1] op_sel_hi:[1,1,0] neg_lo:[0,0,1] neg_hi:[0,0,1]
	v_pk_fma_f32 v[144:145], v[144:145], v[134:135], v[148:149] op_sel:[0,0,1] op_sel_hi:[1,0,0]
	v_dual_mul_f32 v148, v147, v137 :: v_dual_mov_b32 v144, v147
	s_delay_alu instid0(VALU_DEP_2) | instskip(NEXT) | instid1(VALU_DEP_2)
	v_dual_mov_b32 v151, v145 :: v_dual_mov_b32 v145, v146
	v_pk_fma_f32 v[148:149], v[146:147], v[92:93], v[148:149] op_sel_hi:[1,1,0] neg_lo:[0,0,1] neg_hi:[0,0,1]
	v_mul_f32_e32 v146, v147, v134
	s_delay_alu instid0(VALU_DEP_3) | instskip(NEXT) | instid1(VALU_DEP_2)
	v_pk_add_f32 v[70:71], v[70:71], v[150:151] neg_lo:[0,1] neg_hi:[0,1]
	v_pk_fma_f32 v[144:145], v[144:145], v[92:93], v[146:147] op_sel_hi:[1,1,0]
	s_delay_alu instid0(VALU_DEP_1) | instskip(SKIP_4) | instid1(VALU_DEP_1)
	v_mov_b32_e32 v149, v145
	ds_load_2addr_b64 v[144:147], v138 offset0:39 offset1:40
	v_pk_add_f32 v[72:73], v[72:73], v[148:149] neg_lo:[0,1] neg_hi:[0,1]
	s_wait_dscnt 0x0
	v_pk_mul_f32 v[148:149], v[144:145], v[136:137] op_sel:[0,1]
	v_pk_fma_f32 v[150:151], v[144:145], v[134:135], v[148:149] op_sel:[0,0,1] op_sel_hi:[1,1,0] neg_lo:[0,0,1] neg_hi:[0,0,1]
	v_pk_fma_f32 v[144:145], v[144:145], v[134:135], v[148:149] op_sel:[0,0,1] op_sel_hi:[1,0,0]
	s_delay_alu instid0(VALU_DEP_1) | instskip(SKIP_1) | instid1(VALU_DEP_1)
	v_mov_b32_e32 v151, v145
	v_pk_mul_f32 v[144:145], v[146:147], v[136:137] op_sel:[0,1]
	v_pk_fma_f32 v[148:149], v[146:147], v[134:135], v[144:145] op_sel:[0,0,1] op_sel_hi:[1,1,0] neg_lo:[0,0,1] neg_hi:[0,0,1]
	v_pk_fma_f32 v[144:145], v[146:147], v[134:135], v[144:145] op_sel:[0,0,1] op_sel_hi:[1,0,0]
	s_delay_alu instid0(VALU_DEP_1)
	v_mov_b32_e32 v149, v145
	ds_load_2addr_b64 v[144:147], v138 offset0:41 offset1:42
	v_pk_add_f32 v[22:23], v[22:23], v[150:151] neg_lo:[0,1] neg_hi:[0,1]
	v_pk_add_f32 v[68:69], v[68:69], v[148:149] neg_lo:[0,1] neg_hi:[0,1]
	s_wait_dscnt 0x0
	v_pk_mul_f32 v[148:149], v[144:145], v[136:137] op_sel:[0,1]
	s_delay_alu instid0(VALU_DEP_1) | instskip(SKIP_1) | instid1(VALU_DEP_1)
	v_pk_fma_f32 v[150:151], v[144:145], v[134:135], v[148:149] op_sel:[0,0,1] op_sel_hi:[1,1,0] neg_lo:[0,0,1] neg_hi:[0,0,1]
	v_pk_fma_f32 v[144:145], v[144:145], v[134:135], v[148:149] op_sel:[0,0,1] op_sel_hi:[1,0,0]
	v_mov_b32_e32 v151, v145
	v_pk_mul_f32 v[144:145], v[146:147], v[136:137] op_sel:[0,1]
	s_delay_alu instid0(VALU_DEP_1) | instskip(SKIP_1) | instid1(VALU_DEP_1)
	v_pk_fma_f32 v[148:149], v[146:147], v[134:135], v[144:145] op_sel:[0,0,1] op_sel_hi:[1,1,0] neg_lo:[0,0,1] neg_hi:[0,0,1]
	v_pk_fma_f32 v[144:145], v[146:147], v[134:135], v[144:145] op_sel:[0,0,1] op_sel_hi:[1,0,0]
	v_mov_b32_e32 v149, v145
	ds_load_2addr_b64 v[144:147], v138 offset0:43 offset1:44
	v_pk_add_f32 v[64:65], v[64:65], v[150:151] neg_lo:[0,1] neg_hi:[0,1]
	v_pk_add_f32 v[66:67], v[66:67], v[148:149] neg_lo:[0,1] neg_hi:[0,1]
	s_wait_dscnt 0x0
	v_dual_mul_f32 v148, v145, v137 :: v_dual_mul_f32 v150, v145, v134
	s_delay_alu instid0(VALU_DEP_1) | instskip(NEXT) | instid1(VALU_DEP_2)
	v_pk_fma_f32 v[148:149], v[144:145], v[92:93], v[148:149] op_sel_hi:[1,1,0] neg_lo:[0,0,1] neg_hi:[0,0,1]
	v_pk_fma_f32 v[144:145], v[144:145], v[92:93], v[150:151] op_sel:[1,0,0] op_sel_hi:[0,1,0]
	s_delay_alu instid0(VALU_DEP_1) | instskip(SKIP_1) | instid1(VALU_DEP_2)
	v_mov_b32_e32 v149, v145
	v_pk_mul_f32 v[144:145], v[146:147], v[136:137] op_sel:[0,1]
	v_pk_add_f32 v[18:19], v[18:19], v[148:149] neg_lo:[0,1] neg_hi:[0,1]
	s_delay_alu instid0(VALU_DEP_2) | instskip(SKIP_1) | instid1(VALU_DEP_1)
	v_pk_fma_f32 v[148:149], v[146:147], v[134:135], v[144:145] op_sel:[0,0,1] op_sel_hi:[1,1,0] neg_lo:[0,0,1] neg_hi:[0,0,1]
	v_pk_fma_f32 v[144:145], v[146:147], v[134:135], v[144:145] op_sel:[0,0,1] op_sel_hi:[1,0,0]
	v_mov_b32_e32 v149, v145
	ds_load_2addr_b64 v[144:147], v138 offset0:45 offset1:46
	v_pk_add_f32 v[60:61], v[60:61], v[148:149] neg_lo:[0,1] neg_hi:[0,1]
	s_wait_dscnt 0x0
	v_pk_mul_f32 v[148:149], v[144:145], v[136:137] op_sel:[0,1]
	s_delay_alu instid0(VALU_DEP_1) | instskip(SKIP_1) | instid1(VALU_DEP_1)
	v_pk_fma_f32 v[150:151], v[144:145], v[134:135], v[148:149] op_sel:[0,0,1] op_sel_hi:[1,1,0] neg_lo:[0,0,1] neg_hi:[0,0,1]
	v_pk_fma_f32 v[144:145], v[144:145], v[134:135], v[148:149] op_sel:[0,0,1] op_sel_hi:[1,0,0]
	v_mov_b32_e32 v151, v145
	v_pk_mul_f32 v[144:145], v[146:147], v[136:137] op_sel:[0,1]
	s_delay_alu instid0(VALU_DEP_2) | instskip(NEXT) | instid1(VALU_DEP_2)
	v_pk_add_f32 v[56:57], v[56:57], v[150:151] neg_lo:[0,1] neg_hi:[0,1]
	v_pk_fma_f32 v[148:149], v[146:147], v[134:135], v[144:145] op_sel:[0,0,1] op_sel_hi:[1,1,0] neg_lo:[0,0,1] neg_hi:[0,0,1]
	v_pk_fma_f32 v[144:145], v[146:147], v[134:135], v[144:145] op_sel:[0,0,1] op_sel_hi:[1,0,0]
	s_delay_alu instid0(VALU_DEP_1) | instskip(SKIP_4) | instid1(VALU_DEP_1)
	v_mov_b32_e32 v149, v145
	ds_load_2addr_b64 v[144:147], v138 offset0:47 offset1:48
	v_pk_add_f32 v[58:59], v[58:59], v[148:149] neg_lo:[0,1] neg_hi:[0,1]
	s_wait_dscnt 0x0
	v_pk_mul_f32 v[148:149], v[144:145], v[136:137] op_sel:[0,1]
	v_pk_fma_f32 v[150:151], v[144:145], v[134:135], v[148:149] op_sel:[0,0,1] op_sel_hi:[1,1,0] neg_lo:[0,0,1] neg_hi:[0,0,1]
	v_pk_fma_f32 v[144:145], v[144:145], v[134:135], v[148:149] op_sel:[0,0,1] op_sel_hi:[1,0,0]
	v_dual_mul_f32 v148, v147, v137 :: v_dual_mov_b32 v144, v147
	s_delay_alu instid0(VALU_DEP_2) | instskip(NEXT) | instid1(VALU_DEP_2)
	v_dual_mov_b32 v151, v145 :: v_dual_mov_b32 v145, v146
	v_pk_fma_f32 v[148:149], v[146:147], v[92:93], v[148:149] op_sel_hi:[1,1,0] neg_lo:[0,0,1] neg_hi:[0,0,1]
	v_mul_f32_e32 v146, v147, v134
	s_delay_alu instid0(VALU_DEP_3) | instskip(NEXT) | instid1(VALU_DEP_2)
	v_pk_add_f32 v[12:13], v[12:13], v[150:151] neg_lo:[0,1] neg_hi:[0,1]
	v_pk_fma_f32 v[144:145], v[144:145], v[92:93], v[146:147] op_sel_hi:[1,1,0]
	s_delay_alu instid0(VALU_DEP_1) | instskip(SKIP_4) | instid1(VALU_DEP_1)
	v_mov_b32_e32 v149, v145
	ds_load_2addr_b64 v[144:147], v138 offset0:49 offset1:50
	v_pk_add_f32 v[54:55], v[54:55], v[148:149] neg_lo:[0,1] neg_hi:[0,1]
	s_wait_dscnt 0x0
	v_pk_mul_f32 v[148:149], v[144:145], v[136:137] op_sel:[0,1]
	v_pk_fma_f32 v[150:151], v[144:145], v[134:135], v[148:149] op_sel:[0,0,1] op_sel_hi:[1,1,0] neg_lo:[0,0,1] neg_hi:[0,0,1]
	v_pk_fma_f32 v[144:145], v[144:145], v[134:135], v[148:149] op_sel:[0,0,1] op_sel_hi:[1,0,0]
	s_delay_alu instid0(VALU_DEP_1) | instskip(SKIP_1) | instid1(VALU_DEP_1)
	v_mov_b32_e32 v151, v145
	v_pk_mul_f32 v[144:145], v[146:147], v[136:137] op_sel:[0,1]
	v_pk_fma_f32 v[148:149], v[146:147], v[134:135], v[144:145] op_sel:[0,0,1] op_sel_hi:[1,1,0] neg_lo:[0,0,1] neg_hi:[0,0,1]
	v_pk_fma_f32 v[144:145], v[146:147], v[134:135], v[144:145] op_sel:[0,0,1] op_sel_hi:[1,0,0]
	s_delay_alu instid0(VALU_DEP_1)
	v_mov_b32_e32 v149, v145
	ds_load_2addr_b64 v[144:147], v138 offset0:51 offset1:52
	v_pk_add_f32 v[52:53], v[52:53], v[150:151] neg_lo:[0,1] neg_hi:[0,1]
	v_pk_add_f32 v[62:63], v[62:63], v[148:149] neg_lo:[0,1] neg_hi:[0,1]
	s_wait_dscnt 0x0
	v_pk_mul_f32 v[148:149], v[144:145], v[136:137] op_sel:[0,1]
	s_delay_alu instid0(VALU_DEP_1) | instskip(SKIP_1) | instid1(VALU_DEP_1)
	v_pk_fma_f32 v[150:151], v[144:145], v[134:135], v[148:149] op_sel:[0,0,1] op_sel_hi:[1,1,0] neg_lo:[0,0,1] neg_hi:[0,0,1]
	v_pk_fma_f32 v[144:145], v[144:145], v[134:135], v[148:149] op_sel:[0,0,1] op_sel_hi:[1,0,0]
	v_mov_b32_e32 v151, v145
	v_pk_mul_f32 v[144:145], v[146:147], v[136:137] op_sel:[0,1]
	s_delay_alu instid0(VALU_DEP_1) | instskip(SKIP_1) | instid1(VALU_DEP_1)
	v_pk_fma_f32 v[148:149], v[146:147], v[134:135], v[144:145] op_sel:[0,0,1] op_sel_hi:[1,1,0] neg_lo:[0,0,1] neg_hi:[0,0,1]
	v_pk_fma_f32 v[144:145], v[146:147], v[134:135], v[144:145] op_sel:[0,0,1] op_sel_hi:[1,0,0]
	v_mov_b32_e32 v149, v145
	ds_load_2addr_b64 v[144:147], v138 offset0:53 offset1:54
	v_pk_add_f32 v[16:17], v[16:17], v[150:151] neg_lo:[0,1] neg_hi:[0,1]
	v_pk_add_f32 v[48:49], v[48:49], v[148:149] neg_lo:[0,1] neg_hi:[0,1]
	s_wait_dscnt 0x0
	v_dual_mul_f32 v148, v145, v137 :: v_dual_mul_f32 v150, v145, v134
	s_delay_alu instid0(VALU_DEP_1) | instskip(NEXT) | instid1(VALU_DEP_2)
	v_pk_fma_f32 v[148:149], v[144:145], v[92:93], v[148:149] op_sel_hi:[1,1,0] neg_lo:[0,0,1] neg_hi:[0,0,1]
	v_pk_fma_f32 v[144:145], v[144:145], v[92:93], v[150:151] op_sel:[1,0,0] op_sel_hi:[0,1,0]
	s_delay_alu instid0(VALU_DEP_1) | instskip(SKIP_1) | instid1(VALU_DEP_2)
	v_mov_b32_e32 v149, v145
	v_pk_mul_f32 v[144:145], v[146:147], v[136:137] op_sel:[0,1]
	v_pk_add_f32 v[42:43], v[42:43], v[148:149] neg_lo:[0,1] neg_hi:[0,1]
	s_delay_alu instid0(VALU_DEP_2) | instskip(SKIP_1) | instid1(VALU_DEP_1)
	v_pk_fma_f32 v[148:149], v[146:147], v[134:135], v[144:145] op_sel:[0,0,1] op_sel_hi:[1,1,0] neg_lo:[0,0,1] neg_hi:[0,0,1]
	v_pk_fma_f32 v[144:145], v[146:147], v[134:135], v[144:145] op_sel:[0,0,1] op_sel_hi:[1,0,0]
	v_mov_b32_e32 v149, v145
	ds_load_2addr_b64 v[144:147], v138 offset0:55 offset1:56
	v_pk_add_f32 v[46:47], v[46:47], v[148:149] neg_lo:[0,1] neg_hi:[0,1]
	s_wait_dscnt 0x0
	v_pk_mul_f32 v[148:149], v[144:145], v[136:137] op_sel:[0,1]
	s_delay_alu instid0(VALU_DEP_1) | instskip(SKIP_1) | instid1(VALU_DEP_1)
	v_pk_fma_f32 v[150:151], v[144:145], v[134:135], v[148:149] op_sel:[0,0,1] op_sel_hi:[1,1,0] neg_lo:[0,0,1] neg_hi:[0,0,1]
	v_pk_fma_f32 v[144:145], v[144:145], v[134:135], v[148:149] op_sel:[0,0,1] op_sel_hi:[1,0,0]
	v_mov_b32_e32 v151, v145
	v_pk_mul_f32 v[144:145], v[146:147], v[136:137] op_sel:[0,1]
	s_delay_alu instid0(VALU_DEP_2) | instskip(NEXT) | instid1(VALU_DEP_2)
	v_pk_add_f32 v[8:9], v[8:9], v[150:151] neg_lo:[0,1] neg_hi:[0,1]
	v_pk_fma_f32 v[148:149], v[146:147], v[134:135], v[144:145] op_sel:[0,0,1] op_sel_hi:[1,1,0] neg_lo:[0,0,1] neg_hi:[0,0,1]
	v_pk_fma_f32 v[144:145], v[146:147], v[134:135], v[144:145] op_sel:[0,0,1] op_sel_hi:[1,0,0]
	s_delay_alu instid0(VALU_DEP_1) | instskip(SKIP_4) | instid1(VALU_DEP_1)
	v_mov_b32_e32 v149, v145
	ds_load_2addr_b64 v[144:147], v138 offset0:57 offset1:58
	v_pk_add_f32 v[32:33], v[32:33], v[148:149] neg_lo:[0,1] neg_hi:[0,1]
	s_wait_dscnt 0x0
	v_pk_mul_f32 v[148:149], v[144:145], v[136:137] op_sel:[0,1]
	v_pk_fma_f32 v[150:151], v[144:145], v[134:135], v[148:149] op_sel:[0,0,1] op_sel_hi:[1,1,0] neg_lo:[0,0,1] neg_hi:[0,0,1]
	v_pk_fma_f32 v[144:145], v[144:145], v[134:135], v[148:149] op_sel:[0,0,1] op_sel_hi:[1,0,0]
	v_dual_mul_f32 v148, v147, v137 :: v_dual_mov_b32 v144, v147
	s_delay_alu instid0(VALU_DEP_2) | instskip(NEXT) | instid1(VALU_DEP_2)
	v_dual_mov_b32 v151, v145 :: v_dual_mov_b32 v145, v146
	v_pk_fma_f32 v[148:149], v[146:147], v[92:93], v[148:149] op_sel_hi:[1,1,0] neg_lo:[0,0,1] neg_hi:[0,0,1]
	v_mul_f32_e32 v146, v147, v134
	s_delay_alu instid0(VALU_DEP_3) | instskip(NEXT) | instid1(VALU_DEP_2)
	v_pk_add_f32 v[28:29], v[28:29], v[150:151] neg_lo:[0,1] neg_hi:[0,1]
	v_pk_fma_f32 v[144:145], v[144:145], v[92:93], v[146:147] op_sel_hi:[1,1,0]
	s_delay_alu instid0(VALU_DEP_1) | instskip(SKIP_4) | instid1(VALU_DEP_1)
	v_mov_b32_e32 v149, v145
	ds_load_2addr_b64 v[144:147], v138 offset0:59 offset1:60
	v_pk_add_f32 v[30:31], v[30:31], v[148:149] neg_lo:[0,1] neg_hi:[0,1]
	s_wait_dscnt 0x0
	v_pk_mul_f32 v[148:149], v[144:145], v[136:137] op_sel:[0,1]
	v_pk_fma_f32 v[150:151], v[144:145], v[134:135], v[148:149] op_sel:[0,0,1] op_sel_hi:[1,1,0] neg_lo:[0,0,1] neg_hi:[0,0,1]
	v_pk_fma_f32 v[144:145], v[144:145], v[134:135], v[148:149] op_sel:[0,0,1] op_sel_hi:[1,0,0]
	s_delay_alu instid0(VALU_DEP_1) | instskip(SKIP_1) | instid1(VALU_DEP_1)
	v_mov_b32_e32 v151, v145
	v_pk_mul_f32 v[144:145], v[146:147], v[136:137] op_sel:[0,1]
	v_pk_fma_f32 v[148:149], v[146:147], v[134:135], v[144:145] op_sel:[0,0,1] op_sel_hi:[1,1,0] neg_lo:[0,0,1] neg_hi:[0,0,1]
	v_pk_fma_f32 v[144:145], v[146:147], v[134:135], v[144:145] op_sel:[0,0,1] op_sel_hi:[1,0,0]
	s_delay_alu instid0(VALU_DEP_1)
	v_mov_b32_e32 v149, v145
	ds_load_2addr_b64 v[144:147], v138 offset0:61 offset1:62
	v_pk_add_f32 v[6:7], v[6:7], v[150:151] neg_lo:[0,1] neg_hi:[0,1]
	v_pk_add_f32 v[20:21], v[20:21], v[148:149] neg_lo:[0,1] neg_hi:[0,1]
	s_wait_dscnt 0x0
	v_pk_mul_f32 v[148:149], v[144:145], v[136:137] op_sel:[0,1]
	s_delay_alu instid0(VALU_DEP_1) | instskip(SKIP_1) | instid1(VALU_DEP_1)
	v_pk_fma_f32 v[150:151], v[144:145], v[134:135], v[148:149] op_sel:[0,0,1] op_sel_hi:[1,1,0] neg_lo:[0,0,1] neg_hi:[0,0,1]
	v_pk_fma_f32 v[144:145], v[144:145], v[134:135], v[148:149] op_sel:[0,0,1] op_sel_hi:[1,0,0]
	v_mov_b32_e32 v151, v145
	v_pk_mul_f32 v[144:145], v[146:147], v[136:137] op_sel:[0,1]
	s_delay_alu instid0(VALU_DEP_1) | instskip(SKIP_1) | instid1(VALU_DEP_1)
	v_pk_fma_f32 v[148:149], v[146:147], v[134:135], v[144:145] op_sel:[0,0,1] op_sel_hi:[1,1,0] neg_lo:[0,0,1] neg_hi:[0,0,1]
	v_pk_fma_f32 v[144:145], v[146:147], v[134:135], v[144:145] op_sel:[0,0,1] op_sel_hi:[1,0,0]
	v_mov_b32_e32 v149, v145
	ds_load_b64 v[144:145], v138 offset:504
	v_pk_add_f32 v[14:15], v[14:15], v[150:151] neg_lo:[0,1] neg_hi:[0,1]
	v_pk_add_f32 v[10:11], v[10:11], v[148:149] neg_lo:[0,1] neg_hi:[0,1]
	s_wait_dscnt 0x0
	v_pk_mul_f32 v[136:137], v[144:145], v[136:137] op_sel:[0,1]
	s_delay_alu instid0(VALU_DEP_1) | instskip(SKIP_1) | instid1(VALU_DEP_1)
	v_pk_fma_f32 v[146:147], v[144:145], v[134:135], v[136:137] op_sel:[0,0,1] op_sel_hi:[1,1,0] neg_lo:[0,0,1] neg_hi:[0,0,1]
	v_pk_fma_f32 v[134:135], v[144:145], v[134:135], v[136:137] op_sel:[0,0,1] op_sel_hi:[1,0,0]
	v_mov_b32_e32 v147, v135
	s_delay_alu instid0(VALU_DEP_1)
	v_pk_add_f32 v[132:133], v[132:133], v[146:147] neg_lo:[0,1] neg_hi:[0,1]
.LBB126_524:
	s_or_b32 exec_lo, exec_lo, s0
	v_lshl_add_u32 v134, v142, 3, v138
	s_barrier_signal -1
	s_barrier_wait -1
	ds_store_b64 v134, v[88:89]
	s_wait_dscnt 0x0
	s_barrier_signal -1
	s_barrier_wait -1
	ds_load_b64 v[136:137], v138 offset:200
	v_mov_b32_e32 v134, 25
	s_cmp_lt_i32 s18, 27
	s_cbranch_scc1 .LBB126_527
; %bb.525:
	v_add3_u32 v135, v139, 0, 0xd0
	v_mov_b32_e32 v134, 25
	s_mov_b32 s0, 26
.LBB126_526:                            ; =>This Inner Loop Header: Depth=1
	ds_load_b64 v[144:145], v135
	s_wait_dscnt 0x1
	v_cmp_gt_f32_e32 vcc_lo, 0, v136
	v_cndmask_b32_e64 v146, v136, -v136, vcc_lo
	v_cmp_gt_f32_e32 vcc_lo, 0, v137
	v_cndmask_b32_e64 v148, v137, -v137, vcc_lo
	s_wait_dscnt 0x0
	v_cmp_gt_f32_e32 vcc_lo, 0, v144
	v_cndmask_b32_e64 v147, v144, -v144, vcc_lo
	v_cmp_gt_f32_e32 vcc_lo, 0, v145
	v_cndmask_b32_e64 v149, v145, -v145, vcc_lo
	s_delay_alu instid0(VALU_DEP_1) | instskip(NEXT) | instid1(VALU_DEP_1)
	v_pk_add_f32 v[146:147], v[146:147], v[148:149]
	v_cmp_lt_f32_e32 vcc_lo, v146, v147
	v_dual_add_nc_u32 v135, 8, v135 :: v_dual_cndmask_b32 v137, v137, v145, vcc_lo
	v_cndmask_b32_e32 v136, v136, v144, vcc_lo
	v_cndmask_b32_e64 v134, v134, s0, vcc_lo
	s_add_co_i32 s0, s0, 1
	s_delay_alu instid0(SALU_CYCLE_1)
	s_cmp_lg_u32 s18, s0
	s_cbranch_scc1 .LBB126_526
.LBB126_527:
	s_wait_dscnt 0x0
	v_cmp_eq_f32_e32 vcc_lo, 0, v136
	v_cmp_eq_f32_e64 s0, 0, v137
	s_and_b32 s0, vcc_lo, s0
	s_delay_alu instid0(SALU_CYCLE_1) | instskip(NEXT) | instid1(SALU_CYCLE_1)
	s_and_saveexec_b32 s1, s0
	s_xor_b32 s0, exec_lo, s1
; %bb.528:
	v_cmp_ne_u32_e32 vcc_lo, 0, v140
	v_cndmask_b32_e32 v140, 26, v140, vcc_lo
; %bb.529:
	s_and_not1_saveexec_b32 s0, s0
	s_cbranch_execz .LBB126_535
; %bb.530:
	v_cmp_ngt_f32_e64 s1, |v136|, |v137|
	s_and_saveexec_b32 s12, s1
	s_delay_alu instid0(SALU_CYCLE_1)
	s_xor_b32 s1, exec_lo, s12
	s_cbranch_execz .LBB126_532
; %bb.531:
	v_div_scale_f32 v135, null, v137, v137, v136
	v_div_scale_f32 v145, vcc_lo, v136, v137, v136
	s_delay_alu instid0(VALU_DEP_2) | instskip(SKIP_1) | instid1(TRANS32_DEP_1)
	v_rcp_f32_e32 v143, v135
	v_nop
	v_fma_f32 v144, -v135, v143, 1.0
	s_delay_alu instid0(VALU_DEP_1) | instskip(NEXT) | instid1(VALU_DEP_1)
	v_fmac_f32_e32 v143, v144, v143
	v_mul_f32_e32 v144, v145, v143
	s_delay_alu instid0(VALU_DEP_1) | instskip(NEXT) | instid1(VALU_DEP_1)
	v_fma_f32 v146, -v135, v144, v145
	v_fmac_f32_e32 v144, v146, v143
	s_delay_alu instid0(VALU_DEP_1) | instskip(NEXT) | instid1(VALU_DEP_1)
	v_fma_f32 v135, -v135, v144, v145
	v_div_fmas_f32 v135, v135, v143, v144
	s_delay_alu instid0(VALU_DEP_1) | instskip(NEXT) | instid1(VALU_DEP_1)
	v_div_fixup_f32 v135, v135, v137, v136
	v_fmac_f32_e32 v137, v136, v135
	s_delay_alu instid0(VALU_DEP_1) | instskip(SKIP_1) | instid1(VALU_DEP_2)
	v_div_scale_f32 v136, null, v137, v137, 1.0
	v_div_scale_f32 v145, vcc_lo, 1.0, v137, 1.0
	v_rcp_f32_e32 v143, v136
	v_nop
	s_delay_alu instid0(TRANS32_DEP_1) | instskip(NEXT) | instid1(VALU_DEP_1)
	v_fma_f32 v144, -v136, v143, 1.0
	v_fmac_f32_e32 v143, v144, v143
	s_delay_alu instid0(VALU_DEP_1) | instskip(NEXT) | instid1(VALU_DEP_1)
	v_mul_f32_e32 v144, v145, v143
	v_fma_f32 v146, -v136, v144, v145
	s_delay_alu instid0(VALU_DEP_1) | instskip(NEXT) | instid1(VALU_DEP_1)
	v_fmac_f32_e32 v144, v146, v143
	v_fma_f32 v136, -v136, v144, v145
	s_delay_alu instid0(VALU_DEP_1) | instskip(NEXT) | instid1(VALU_DEP_1)
	v_div_fmas_f32 v136, v136, v143, v144
	v_div_fixup_f32 v137, v136, v137, 1.0
	s_delay_alu instid0(VALU_DEP_1)
	v_mul_f32_e32 v136, v135, v137
	v_xor_b32_e32 v137, 0x80000000, v137
.LBB126_532:
	s_and_not1_saveexec_b32 s1, s1
	s_cbranch_execz .LBB126_534
; %bb.533:
	s_delay_alu instid0(VALU_DEP_1) | instskip(SKIP_1) | instid1(VALU_DEP_2)
	v_div_scale_f32 v135, null, v136, v136, v137
	v_div_scale_f32 v145, vcc_lo, v137, v136, v137
	v_rcp_f32_e32 v143, v135
	v_nop
	s_delay_alu instid0(TRANS32_DEP_1) | instskip(NEXT) | instid1(VALU_DEP_1)
	v_fma_f32 v144, -v135, v143, 1.0
	v_fmac_f32_e32 v143, v144, v143
	s_delay_alu instid0(VALU_DEP_1) | instskip(NEXT) | instid1(VALU_DEP_1)
	v_mul_f32_e32 v144, v145, v143
	v_fma_f32 v146, -v135, v144, v145
	s_delay_alu instid0(VALU_DEP_1) | instskip(NEXT) | instid1(VALU_DEP_1)
	v_fmac_f32_e32 v144, v146, v143
	v_fma_f32 v135, -v135, v144, v145
	s_delay_alu instid0(VALU_DEP_1) | instskip(NEXT) | instid1(VALU_DEP_1)
	v_div_fmas_f32 v135, v135, v143, v144
	v_div_fixup_f32 v135, v135, v136, v137
	s_delay_alu instid0(VALU_DEP_1) | instskip(NEXT) | instid1(VALU_DEP_1)
	v_fmac_f32_e32 v136, v137, v135
	v_div_scale_f32 v137, null, v136, v136, 1.0
	s_delay_alu instid0(VALU_DEP_1) | instskip(SKIP_1) | instid1(TRANS32_DEP_1)
	v_rcp_f32_e32 v143, v137
	v_nop
	v_fma_f32 v144, -v137, v143, 1.0
	s_delay_alu instid0(VALU_DEP_1) | instskip(SKIP_1) | instid1(VALU_DEP_1)
	v_fmac_f32_e32 v143, v144, v143
	v_div_scale_f32 v144, vcc_lo, 1.0, v136, 1.0
	v_mul_f32_e32 v145, v144, v143
	s_delay_alu instid0(VALU_DEP_1) | instskip(NEXT) | instid1(VALU_DEP_1)
	v_fma_f32 v146, -v137, v145, v144
	v_fmac_f32_e32 v145, v146, v143
	s_delay_alu instid0(VALU_DEP_1) | instskip(NEXT) | instid1(VALU_DEP_1)
	v_fma_f32 v137, -v137, v145, v144
	v_div_fmas_f32 v137, v137, v143, v145
	s_delay_alu instid0(VALU_DEP_1) | instskip(NEXT) | instid1(VALU_DEP_1)
	v_div_fixup_f32 v136, v137, v136, 1.0
	v_mul_f32_e64 v137, v135, -v136
.LBB126_534:
	s_or_b32 exec_lo, exec_lo, s1
.LBB126_535:
	s_delay_alu instid0(SALU_CYCLE_1) | instskip(NEXT) | instid1(SALU_CYCLE_1)
	s_or_b32 exec_lo, exec_lo, s0
	s_mov_b32 s0, exec_lo
	v_cmpx_ne_u32_e64 v142, v134
	s_xor_b32 s0, exec_lo, s0
	s_cbranch_execz .LBB126_541
; %bb.536:
	s_mov_b32 s1, exec_lo
	v_cmpx_eq_u32_e32 25, v142
	s_cbranch_execz .LBB126_540
; %bb.537:
	v_cmp_ne_u32_e32 vcc_lo, 25, v134
	s_xor_b32 s12, s16, -1
	s_delay_alu instid0(SALU_CYCLE_1) | instskip(NEXT) | instid1(SALU_CYCLE_1)
	s_and_b32 s13, s12, vcc_lo
	s_and_saveexec_b32 s12, s13
	s_cbranch_execz .LBB126_539
; %bb.538:
	v_ashrrev_i32_e32 v135, 31, v134
	s_delay_alu instid0(VALU_DEP_1)
	v_lshl_add_u64 v[142:143], v[134:135], 2, v[4:5]
	s_clause 0x1
	global_load_b32 v135, v[142:143], off
	global_load_b32 v141, v[4:5], off offset:100
	s_wait_loadcnt 0x1
	global_store_b32 v[4:5], v135, off offset:100
	s_wait_loadcnt 0x0
	global_store_b32 v[142:143], v141, off
.LBB126_539:
	s_wait_xcnt 0x0
	s_or_b32 exec_lo, exec_lo, s12
	v_dual_mov_b32 v142, v134 :: v_dual_mov_b32 v141, v134
.LBB126_540:
	s_or_b32 exec_lo, exec_lo, s1
.LBB126_541:
	s_and_not1_saveexec_b32 s0, s0
	s_cbranch_execz .LBB126_543
; %bb.542:
	v_dual_mov_b32 v134, v90 :: v_dual_mov_b32 v135, v91
	v_dual_mov_b32 v142, v34 :: v_dual_mov_b32 v143, v35
	ds_store_2addr_b64 v138, v[134:135], v[142:143] offset0:26 offset1:27
	v_dual_mov_b32 v134, v86 :: v_dual_mov_b32 v135, v87
	v_dual_mov_b32 v142, v82 :: v_dual_mov_b32 v143, v83
	ds_store_2addr_b64 v138, v[134:135], v[142:143] offset0:28 offset1:29
	;; [unrolled: 3-line block ×18, first 2 shown]
	v_dual_mov_b32 v134, v10 :: v_dual_mov_b32 v135, v11
	v_mov_b32_e32 v142, 25
	ds_store_2addr_b64 v138, v[134:135], v[132:133] offset0:62 offset1:63
.LBB126_543:
	s_or_b32 exec_lo, exec_lo, s0
	s_delay_alu instid0(SALU_CYCLE_1)
	s_mov_b32 s0, exec_lo
	s_wait_storecnt_dscnt 0x0
	s_barrier_signal -1
	s_barrier_wait -1
	v_cmpx_lt_i32_e32 25, v142
	s_cbranch_execz .LBB126_545
; %bb.544:
	v_pk_mul_f32 v[144:145], v[136:137], v[88:89] op_sel:[1,1] op_sel_hi:[0,1]
	s_delay_alu instid0(VALU_DEP_1)
	v_pk_fma_f32 v[134:135], v[136:137], v[88:89], v[144:145] op_sel_hi:[1,0,1] neg_lo:[0,0,1] neg_hi:[0,0,1]
	v_pk_fma_f32 v[136:137], v[136:137], v[88:89], v[144:145] op_sel_hi:[1,0,1]
	ds_load_2addr_b64 v[144:147], v138 offset0:26 offset1:27
	v_dual_mov_b32 v88, v134 :: v_dual_mov_b32 v89, v137
	s_wait_dscnt 0x0
	v_pk_mul_f32 v[148:149], v[144:145], v[136:137] op_sel:[0,1]
	s_delay_alu instid0(VALU_DEP_1) | instskip(SKIP_1) | instid1(VALU_DEP_1)
	v_pk_fma_f32 v[150:151], v[144:145], v[134:135], v[148:149] op_sel:[0,0,1] op_sel_hi:[1,1,0] neg_lo:[0,0,1] neg_hi:[0,0,1]
	v_pk_fma_f32 v[144:145], v[144:145], v[134:135], v[148:149] op_sel:[0,0,1] op_sel_hi:[1,0,0]
	v_mov_b32_e32 v151, v145
	v_pk_mul_f32 v[144:145], v[146:147], v[136:137] op_sel:[0,1]
	s_delay_alu instid0(VALU_DEP_1) | instskip(SKIP_1) | instid1(VALU_DEP_1)
	v_pk_fma_f32 v[148:149], v[146:147], v[134:135], v[144:145] op_sel:[0,0,1] op_sel_hi:[1,1,0] neg_lo:[0,0,1] neg_hi:[0,0,1]
	v_pk_fma_f32 v[144:145], v[146:147], v[134:135], v[144:145] op_sel:[0,0,1] op_sel_hi:[1,0,0]
	v_mov_b32_e32 v149, v145
	ds_load_2addr_b64 v[144:147], v138 offset0:28 offset1:29
	v_pk_add_f32 v[90:91], v[90:91], v[150:151] neg_lo:[0,1] neg_hi:[0,1]
	v_pk_add_f32 v[34:35], v[34:35], v[148:149] neg_lo:[0,1] neg_hi:[0,1]
	s_wait_dscnt 0x0
	v_pk_mul_f32 v[148:149], v[144:145], v[136:137] op_sel:[0,1]
	s_delay_alu instid0(VALU_DEP_1) | instskip(SKIP_2) | instid1(VALU_DEP_2)
	v_pk_fma_f32 v[150:151], v[144:145], v[134:135], v[148:149] op_sel:[0,0,1] op_sel_hi:[1,1,0] neg_lo:[0,0,1] neg_hi:[0,0,1]
	v_pk_fma_f32 v[144:145], v[144:145], v[134:135], v[148:149] op_sel:[0,0,1] op_sel_hi:[1,0,0]
	v_dual_mul_f32 v148, v147, v137 :: v_dual_mov_b32 v144, v147
	v_dual_mov_b32 v151, v145 :: v_dual_mov_b32 v145, v146
	s_delay_alu instid0(VALU_DEP_2) | instskip(SKIP_1) | instid1(VALU_DEP_3)
	v_pk_fma_f32 v[148:149], v[146:147], v[88:89], v[148:149] op_sel_hi:[1,1,0] neg_lo:[0,0,1] neg_hi:[0,0,1]
	v_mul_f32_e32 v146, v147, v134
	v_pk_add_f32 v[86:87], v[86:87], v[150:151] neg_lo:[0,1] neg_hi:[0,1]
	s_delay_alu instid0(VALU_DEP_2) | instskip(NEXT) | instid1(VALU_DEP_1)
	v_pk_fma_f32 v[144:145], v[144:145], v[88:89], v[146:147] op_sel_hi:[1,1,0]
	v_mov_b32_e32 v149, v145
	ds_load_2addr_b64 v[144:147], v138 offset0:30 offset1:31
	v_pk_add_f32 v[82:83], v[82:83], v[148:149] neg_lo:[0,1] neg_hi:[0,1]
	s_wait_dscnt 0x0
	v_pk_mul_f32 v[148:149], v[144:145], v[136:137] op_sel:[0,1]
	s_delay_alu instid0(VALU_DEP_1) | instskip(SKIP_1) | instid1(VALU_DEP_1)
	v_pk_fma_f32 v[150:151], v[144:145], v[134:135], v[148:149] op_sel:[0,0,1] op_sel_hi:[1,1,0] neg_lo:[0,0,1] neg_hi:[0,0,1]
	v_pk_fma_f32 v[144:145], v[144:145], v[134:135], v[148:149] op_sel:[0,0,1] op_sel_hi:[1,0,0]
	v_mov_b32_e32 v151, v145
	v_pk_mul_f32 v[144:145], v[146:147], v[136:137] op_sel:[0,1]
	s_delay_alu instid0(VALU_DEP_1) | instskip(SKIP_1) | instid1(VALU_DEP_1)
	v_pk_fma_f32 v[148:149], v[146:147], v[134:135], v[144:145] op_sel:[0,0,1] op_sel_hi:[1,1,0] neg_lo:[0,0,1] neg_hi:[0,0,1]
	v_pk_fma_f32 v[144:145], v[146:147], v[134:135], v[144:145] op_sel:[0,0,1] op_sel_hi:[1,0,0]
	v_mov_b32_e32 v149, v145
	ds_load_2addr_b64 v[144:147], v138 offset0:32 offset1:33
	v_pk_add_f32 v[84:85], v[84:85], v[150:151] neg_lo:[0,1] neg_hi:[0,1]
	v_pk_add_f32 v[26:27], v[26:27], v[148:149] neg_lo:[0,1] neg_hi:[0,1]
	s_wait_dscnt 0x0
	v_pk_mul_f32 v[148:149], v[144:145], v[136:137] op_sel:[0,1]
	s_delay_alu instid0(VALU_DEP_1) | instskip(SKIP_1) | instid1(VALU_DEP_1)
	v_pk_fma_f32 v[150:151], v[144:145], v[134:135], v[148:149] op_sel:[0,0,1] op_sel_hi:[1,1,0] neg_lo:[0,0,1] neg_hi:[0,0,1]
	v_pk_fma_f32 v[144:145], v[144:145], v[134:135], v[148:149] op_sel:[0,0,1] op_sel_hi:[1,0,0]
	v_mov_b32_e32 v151, v145
	v_pk_mul_f32 v[144:145], v[146:147], v[136:137] op_sel:[0,1]
	s_delay_alu instid0(VALU_DEP_1) | instskip(SKIP_1) | instid1(VALU_DEP_1)
	v_pk_fma_f32 v[148:149], v[146:147], v[134:135], v[144:145] op_sel:[0,0,1] op_sel_hi:[1,1,0] neg_lo:[0,0,1] neg_hi:[0,0,1]
	v_pk_fma_f32 v[144:145], v[146:147], v[134:135], v[144:145] op_sel:[0,0,1] op_sel_hi:[1,0,0]
	v_mov_b32_e32 v149, v145
	ds_load_2addr_b64 v[144:147], v138 offset0:34 offset1:35
	v_pk_add_f32 v[80:81], v[80:81], v[150:151] neg_lo:[0,1] neg_hi:[0,1]
	v_pk_add_f32 v[76:77], v[76:77], v[148:149] neg_lo:[0,1] neg_hi:[0,1]
	s_wait_dscnt 0x0
	v_dual_mul_f32 v148, v145, v137 :: v_dual_mul_f32 v150, v145, v134
	s_delay_alu instid0(VALU_DEP_1) | instskip(NEXT) | instid1(VALU_DEP_2)
	v_pk_fma_f32 v[148:149], v[144:145], v[88:89], v[148:149] op_sel_hi:[1,1,0] neg_lo:[0,0,1] neg_hi:[0,0,1]
	v_pk_fma_f32 v[144:145], v[144:145], v[88:89], v[150:151] op_sel:[1,0,0] op_sel_hi:[0,1,0]
	s_delay_alu instid0(VALU_DEP_1) | instskip(SKIP_1) | instid1(VALU_DEP_2)
	v_mov_b32_e32 v149, v145
	v_pk_mul_f32 v[144:145], v[146:147], v[136:137] op_sel:[0,1]
	v_pk_add_f32 v[78:79], v[78:79], v[148:149] neg_lo:[0,1] neg_hi:[0,1]
	s_delay_alu instid0(VALU_DEP_2) | instskip(SKIP_1) | instid1(VALU_DEP_1)
	v_pk_fma_f32 v[148:149], v[146:147], v[134:135], v[144:145] op_sel:[0,0,1] op_sel_hi:[1,1,0] neg_lo:[0,0,1] neg_hi:[0,0,1]
	v_pk_fma_f32 v[144:145], v[146:147], v[134:135], v[144:145] op_sel:[0,0,1] op_sel_hi:[1,0,0]
	v_mov_b32_e32 v149, v145
	ds_load_2addr_b64 v[144:147], v138 offset0:36 offset1:37
	v_pk_add_f32 v[24:25], v[24:25], v[148:149] neg_lo:[0,1] neg_hi:[0,1]
	s_wait_dscnt 0x0
	v_pk_mul_f32 v[148:149], v[144:145], v[136:137] op_sel:[0,1]
	s_delay_alu instid0(VALU_DEP_1) | instskip(SKIP_1) | instid1(VALU_DEP_1)
	v_pk_fma_f32 v[150:151], v[144:145], v[134:135], v[148:149] op_sel:[0,0,1] op_sel_hi:[1,1,0] neg_lo:[0,0,1] neg_hi:[0,0,1]
	v_pk_fma_f32 v[144:145], v[144:145], v[134:135], v[148:149] op_sel:[0,0,1] op_sel_hi:[1,0,0]
	v_mov_b32_e32 v151, v145
	v_pk_mul_f32 v[144:145], v[146:147], v[136:137] op_sel:[0,1]
	s_delay_alu instid0(VALU_DEP_2) | instskip(NEXT) | instid1(VALU_DEP_2)
	v_pk_add_f32 v[74:75], v[74:75], v[150:151] neg_lo:[0,1] neg_hi:[0,1]
	v_pk_fma_f32 v[148:149], v[146:147], v[134:135], v[144:145] op_sel:[0,0,1] op_sel_hi:[1,1,0] neg_lo:[0,0,1] neg_hi:[0,0,1]
	v_pk_fma_f32 v[144:145], v[146:147], v[134:135], v[144:145] op_sel:[0,0,1] op_sel_hi:[1,0,0]
	s_delay_alu instid0(VALU_DEP_1) | instskip(SKIP_4) | instid1(VALU_DEP_1)
	v_mov_b32_e32 v149, v145
	ds_load_2addr_b64 v[144:147], v138 offset0:38 offset1:39
	v_pk_add_f32 v[70:71], v[70:71], v[148:149] neg_lo:[0,1] neg_hi:[0,1]
	s_wait_dscnt 0x0
	v_pk_mul_f32 v[148:149], v[144:145], v[136:137] op_sel:[0,1]
	v_pk_fma_f32 v[150:151], v[144:145], v[134:135], v[148:149] op_sel:[0,0,1] op_sel_hi:[1,1,0] neg_lo:[0,0,1] neg_hi:[0,0,1]
	v_pk_fma_f32 v[144:145], v[144:145], v[134:135], v[148:149] op_sel:[0,0,1] op_sel_hi:[1,0,0]
	v_dual_mul_f32 v148, v147, v137 :: v_dual_mov_b32 v144, v147
	s_delay_alu instid0(VALU_DEP_2) | instskip(NEXT) | instid1(VALU_DEP_2)
	v_dual_mov_b32 v151, v145 :: v_dual_mov_b32 v145, v146
	v_pk_fma_f32 v[148:149], v[146:147], v[88:89], v[148:149] op_sel_hi:[1,1,0] neg_lo:[0,0,1] neg_hi:[0,0,1]
	v_mul_f32_e32 v146, v147, v134
	s_delay_alu instid0(VALU_DEP_3) | instskip(NEXT) | instid1(VALU_DEP_2)
	v_pk_add_f32 v[72:73], v[72:73], v[150:151] neg_lo:[0,1] neg_hi:[0,1]
	v_pk_fma_f32 v[144:145], v[144:145], v[88:89], v[146:147] op_sel_hi:[1,1,0]
	s_delay_alu instid0(VALU_DEP_1) | instskip(SKIP_4) | instid1(VALU_DEP_1)
	v_mov_b32_e32 v149, v145
	ds_load_2addr_b64 v[144:147], v138 offset0:40 offset1:41
	v_pk_add_f32 v[22:23], v[22:23], v[148:149] neg_lo:[0,1] neg_hi:[0,1]
	s_wait_dscnt 0x0
	v_pk_mul_f32 v[148:149], v[144:145], v[136:137] op_sel:[0,1]
	v_pk_fma_f32 v[150:151], v[144:145], v[134:135], v[148:149] op_sel:[0,0,1] op_sel_hi:[1,1,0] neg_lo:[0,0,1] neg_hi:[0,0,1]
	v_pk_fma_f32 v[144:145], v[144:145], v[134:135], v[148:149] op_sel:[0,0,1] op_sel_hi:[1,0,0]
	s_delay_alu instid0(VALU_DEP_1) | instskip(SKIP_1) | instid1(VALU_DEP_1)
	v_mov_b32_e32 v151, v145
	v_pk_mul_f32 v[144:145], v[146:147], v[136:137] op_sel:[0,1]
	v_pk_fma_f32 v[148:149], v[146:147], v[134:135], v[144:145] op_sel:[0,0,1] op_sel_hi:[1,1,0] neg_lo:[0,0,1] neg_hi:[0,0,1]
	v_pk_fma_f32 v[144:145], v[146:147], v[134:135], v[144:145] op_sel:[0,0,1] op_sel_hi:[1,0,0]
	s_delay_alu instid0(VALU_DEP_1)
	v_mov_b32_e32 v149, v145
	ds_load_2addr_b64 v[144:147], v138 offset0:42 offset1:43
	v_pk_add_f32 v[68:69], v[68:69], v[150:151] neg_lo:[0,1] neg_hi:[0,1]
	v_pk_add_f32 v[64:65], v[64:65], v[148:149] neg_lo:[0,1] neg_hi:[0,1]
	s_wait_dscnt 0x0
	v_pk_mul_f32 v[148:149], v[144:145], v[136:137] op_sel:[0,1]
	s_delay_alu instid0(VALU_DEP_1) | instskip(SKIP_1) | instid1(VALU_DEP_1)
	v_pk_fma_f32 v[150:151], v[144:145], v[134:135], v[148:149] op_sel:[0,0,1] op_sel_hi:[1,1,0] neg_lo:[0,0,1] neg_hi:[0,0,1]
	v_pk_fma_f32 v[144:145], v[144:145], v[134:135], v[148:149] op_sel:[0,0,1] op_sel_hi:[1,0,0]
	v_mov_b32_e32 v151, v145
	v_pk_mul_f32 v[144:145], v[146:147], v[136:137] op_sel:[0,1]
	s_delay_alu instid0(VALU_DEP_1) | instskip(SKIP_1) | instid1(VALU_DEP_1)
	v_pk_fma_f32 v[148:149], v[146:147], v[134:135], v[144:145] op_sel:[0,0,1] op_sel_hi:[1,1,0] neg_lo:[0,0,1] neg_hi:[0,0,1]
	v_pk_fma_f32 v[144:145], v[146:147], v[134:135], v[144:145] op_sel:[0,0,1] op_sel_hi:[1,0,0]
	v_mov_b32_e32 v149, v145
	ds_load_2addr_b64 v[144:147], v138 offset0:44 offset1:45
	v_pk_add_f32 v[66:67], v[66:67], v[150:151] neg_lo:[0,1] neg_hi:[0,1]
	v_pk_add_f32 v[18:19], v[18:19], v[148:149] neg_lo:[0,1] neg_hi:[0,1]
	s_wait_dscnt 0x0
	v_dual_mul_f32 v148, v145, v137 :: v_dual_mul_f32 v150, v145, v134
	s_delay_alu instid0(VALU_DEP_1) | instskip(NEXT) | instid1(VALU_DEP_2)
	v_pk_fma_f32 v[148:149], v[144:145], v[88:89], v[148:149] op_sel_hi:[1,1,0] neg_lo:[0,0,1] neg_hi:[0,0,1]
	v_pk_fma_f32 v[144:145], v[144:145], v[88:89], v[150:151] op_sel:[1,0,0] op_sel_hi:[0,1,0]
	s_delay_alu instid0(VALU_DEP_1) | instskip(SKIP_1) | instid1(VALU_DEP_2)
	v_mov_b32_e32 v149, v145
	v_pk_mul_f32 v[144:145], v[146:147], v[136:137] op_sel:[0,1]
	v_pk_add_f32 v[60:61], v[60:61], v[148:149] neg_lo:[0,1] neg_hi:[0,1]
	s_delay_alu instid0(VALU_DEP_2) | instskip(SKIP_1) | instid1(VALU_DEP_1)
	v_pk_fma_f32 v[148:149], v[146:147], v[134:135], v[144:145] op_sel:[0,0,1] op_sel_hi:[1,1,0] neg_lo:[0,0,1] neg_hi:[0,0,1]
	v_pk_fma_f32 v[144:145], v[146:147], v[134:135], v[144:145] op_sel:[0,0,1] op_sel_hi:[1,0,0]
	v_mov_b32_e32 v149, v145
	ds_load_2addr_b64 v[144:147], v138 offset0:46 offset1:47
	v_pk_add_f32 v[56:57], v[56:57], v[148:149] neg_lo:[0,1] neg_hi:[0,1]
	s_wait_dscnt 0x0
	v_pk_mul_f32 v[148:149], v[144:145], v[136:137] op_sel:[0,1]
	s_delay_alu instid0(VALU_DEP_1) | instskip(SKIP_1) | instid1(VALU_DEP_1)
	v_pk_fma_f32 v[150:151], v[144:145], v[134:135], v[148:149] op_sel:[0,0,1] op_sel_hi:[1,1,0] neg_lo:[0,0,1] neg_hi:[0,0,1]
	v_pk_fma_f32 v[144:145], v[144:145], v[134:135], v[148:149] op_sel:[0,0,1] op_sel_hi:[1,0,0]
	v_mov_b32_e32 v151, v145
	v_pk_mul_f32 v[144:145], v[146:147], v[136:137] op_sel:[0,1]
	s_delay_alu instid0(VALU_DEP_2) | instskip(NEXT) | instid1(VALU_DEP_2)
	v_pk_add_f32 v[58:59], v[58:59], v[150:151] neg_lo:[0,1] neg_hi:[0,1]
	v_pk_fma_f32 v[148:149], v[146:147], v[134:135], v[144:145] op_sel:[0,0,1] op_sel_hi:[1,1,0] neg_lo:[0,0,1] neg_hi:[0,0,1]
	v_pk_fma_f32 v[144:145], v[146:147], v[134:135], v[144:145] op_sel:[0,0,1] op_sel_hi:[1,0,0]
	s_delay_alu instid0(VALU_DEP_1) | instskip(SKIP_4) | instid1(VALU_DEP_1)
	v_mov_b32_e32 v149, v145
	ds_load_2addr_b64 v[144:147], v138 offset0:48 offset1:49
	v_pk_add_f32 v[12:13], v[12:13], v[148:149] neg_lo:[0,1] neg_hi:[0,1]
	s_wait_dscnt 0x0
	v_pk_mul_f32 v[148:149], v[144:145], v[136:137] op_sel:[0,1]
	v_pk_fma_f32 v[150:151], v[144:145], v[134:135], v[148:149] op_sel:[0,0,1] op_sel_hi:[1,1,0] neg_lo:[0,0,1] neg_hi:[0,0,1]
	v_pk_fma_f32 v[144:145], v[144:145], v[134:135], v[148:149] op_sel:[0,0,1] op_sel_hi:[1,0,0]
	v_dual_mul_f32 v148, v147, v137 :: v_dual_mov_b32 v144, v147
	s_delay_alu instid0(VALU_DEP_2) | instskip(NEXT) | instid1(VALU_DEP_2)
	v_dual_mov_b32 v151, v145 :: v_dual_mov_b32 v145, v146
	v_pk_fma_f32 v[148:149], v[146:147], v[88:89], v[148:149] op_sel_hi:[1,1,0] neg_lo:[0,0,1] neg_hi:[0,0,1]
	v_mul_f32_e32 v146, v147, v134
	s_delay_alu instid0(VALU_DEP_3) | instskip(NEXT) | instid1(VALU_DEP_2)
	v_pk_add_f32 v[54:55], v[54:55], v[150:151] neg_lo:[0,1] neg_hi:[0,1]
	v_pk_fma_f32 v[144:145], v[144:145], v[88:89], v[146:147] op_sel_hi:[1,1,0]
	s_delay_alu instid0(VALU_DEP_1) | instskip(SKIP_4) | instid1(VALU_DEP_1)
	v_mov_b32_e32 v149, v145
	ds_load_2addr_b64 v[144:147], v138 offset0:50 offset1:51
	v_pk_add_f32 v[52:53], v[52:53], v[148:149] neg_lo:[0,1] neg_hi:[0,1]
	s_wait_dscnt 0x0
	v_pk_mul_f32 v[148:149], v[144:145], v[136:137] op_sel:[0,1]
	v_pk_fma_f32 v[150:151], v[144:145], v[134:135], v[148:149] op_sel:[0,0,1] op_sel_hi:[1,1,0] neg_lo:[0,0,1] neg_hi:[0,0,1]
	v_pk_fma_f32 v[144:145], v[144:145], v[134:135], v[148:149] op_sel:[0,0,1] op_sel_hi:[1,0,0]
	s_delay_alu instid0(VALU_DEP_1) | instskip(SKIP_1) | instid1(VALU_DEP_1)
	v_mov_b32_e32 v151, v145
	v_pk_mul_f32 v[144:145], v[146:147], v[136:137] op_sel:[0,1]
	v_pk_fma_f32 v[148:149], v[146:147], v[134:135], v[144:145] op_sel:[0,0,1] op_sel_hi:[1,1,0] neg_lo:[0,0,1] neg_hi:[0,0,1]
	v_pk_fma_f32 v[144:145], v[146:147], v[134:135], v[144:145] op_sel:[0,0,1] op_sel_hi:[1,0,0]
	s_delay_alu instid0(VALU_DEP_1)
	v_mov_b32_e32 v149, v145
	ds_load_2addr_b64 v[144:147], v138 offset0:52 offset1:53
	v_pk_add_f32 v[62:63], v[62:63], v[150:151] neg_lo:[0,1] neg_hi:[0,1]
	v_pk_add_f32 v[16:17], v[16:17], v[148:149] neg_lo:[0,1] neg_hi:[0,1]
	s_wait_dscnt 0x0
	v_pk_mul_f32 v[148:149], v[144:145], v[136:137] op_sel:[0,1]
	s_delay_alu instid0(VALU_DEP_1) | instskip(SKIP_1) | instid1(VALU_DEP_1)
	v_pk_fma_f32 v[150:151], v[144:145], v[134:135], v[148:149] op_sel:[0,0,1] op_sel_hi:[1,1,0] neg_lo:[0,0,1] neg_hi:[0,0,1]
	v_pk_fma_f32 v[144:145], v[144:145], v[134:135], v[148:149] op_sel:[0,0,1] op_sel_hi:[1,0,0]
	v_mov_b32_e32 v151, v145
	v_pk_mul_f32 v[144:145], v[146:147], v[136:137] op_sel:[0,1]
	s_delay_alu instid0(VALU_DEP_1) | instskip(SKIP_1) | instid1(VALU_DEP_1)
	v_pk_fma_f32 v[148:149], v[146:147], v[134:135], v[144:145] op_sel:[0,0,1] op_sel_hi:[1,1,0] neg_lo:[0,0,1] neg_hi:[0,0,1]
	v_pk_fma_f32 v[144:145], v[146:147], v[134:135], v[144:145] op_sel:[0,0,1] op_sel_hi:[1,0,0]
	v_mov_b32_e32 v149, v145
	ds_load_2addr_b64 v[144:147], v138 offset0:54 offset1:55
	v_pk_add_f32 v[48:49], v[48:49], v[150:151] neg_lo:[0,1] neg_hi:[0,1]
	v_pk_add_f32 v[42:43], v[42:43], v[148:149] neg_lo:[0,1] neg_hi:[0,1]
	s_wait_dscnt 0x0
	v_dual_mul_f32 v148, v145, v137 :: v_dual_mul_f32 v150, v145, v134
	s_delay_alu instid0(VALU_DEP_1) | instskip(NEXT) | instid1(VALU_DEP_2)
	v_pk_fma_f32 v[148:149], v[144:145], v[88:89], v[148:149] op_sel_hi:[1,1,0] neg_lo:[0,0,1] neg_hi:[0,0,1]
	v_pk_fma_f32 v[144:145], v[144:145], v[88:89], v[150:151] op_sel:[1,0,0] op_sel_hi:[0,1,0]
	s_delay_alu instid0(VALU_DEP_1) | instskip(SKIP_1) | instid1(VALU_DEP_2)
	v_mov_b32_e32 v149, v145
	v_pk_mul_f32 v[144:145], v[146:147], v[136:137] op_sel:[0,1]
	v_pk_add_f32 v[46:47], v[46:47], v[148:149] neg_lo:[0,1] neg_hi:[0,1]
	s_delay_alu instid0(VALU_DEP_2) | instskip(SKIP_1) | instid1(VALU_DEP_1)
	v_pk_fma_f32 v[148:149], v[146:147], v[134:135], v[144:145] op_sel:[0,0,1] op_sel_hi:[1,1,0] neg_lo:[0,0,1] neg_hi:[0,0,1]
	v_pk_fma_f32 v[144:145], v[146:147], v[134:135], v[144:145] op_sel:[0,0,1] op_sel_hi:[1,0,0]
	v_mov_b32_e32 v149, v145
	ds_load_2addr_b64 v[144:147], v138 offset0:56 offset1:57
	v_pk_add_f32 v[8:9], v[8:9], v[148:149] neg_lo:[0,1] neg_hi:[0,1]
	s_wait_dscnt 0x0
	v_pk_mul_f32 v[148:149], v[144:145], v[136:137] op_sel:[0,1]
	s_delay_alu instid0(VALU_DEP_1) | instskip(SKIP_1) | instid1(VALU_DEP_1)
	v_pk_fma_f32 v[150:151], v[144:145], v[134:135], v[148:149] op_sel:[0,0,1] op_sel_hi:[1,1,0] neg_lo:[0,0,1] neg_hi:[0,0,1]
	v_pk_fma_f32 v[144:145], v[144:145], v[134:135], v[148:149] op_sel:[0,0,1] op_sel_hi:[1,0,0]
	v_mov_b32_e32 v151, v145
	v_pk_mul_f32 v[144:145], v[146:147], v[136:137] op_sel:[0,1]
	s_delay_alu instid0(VALU_DEP_2) | instskip(NEXT) | instid1(VALU_DEP_2)
	v_pk_add_f32 v[32:33], v[32:33], v[150:151] neg_lo:[0,1] neg_hi:[0,1]
	v_pk_fma_f32 v[148:149], v[146:147], v[134:135], v[144:145] op_sel:[0,0,1] op_sel_hi:[1,1,0] neg_lo:[0,0,1] neg_hi:[0,0,1]
	v_pk_fma_f32 v[144:145], v[146:147], v[134:135], v[144:145] op_sel:[0,0,1] op_sel_hi:[1,0,0]
	s_delay_alu instid0(VALU_DEP_1) | instskip(SKIP_4) | instid1(VALU_DEP_1)
	v_mov_b32_e32 v149, v145
	ds_load_2addr_b64 v[144:147], v138 offset0:58 offset1:59
	v_pk_add_f32 v[28:29], v[28:29], v[148:149] neg_lo:[0,1] neg_hi:[0,1]
	s_wait_dscnt 0x0
	v_pk_mul_f32 v[148:149], v[144:145], v[136:137] op_sel:[0,1]
	v_pk_fma_f32 v[150:151], v[144:145], v[134:135], v[148:149] op_sel:[0,0,1] op_sel_hi:[1,1,0] neg_lo:[0,0,1] neg_hi:[0,0,1]
	v_pk_fma_f32 v[144:145], v[144:145], v[134:135], v[148:149] op_sel:[0,0,1] op_sel_hi:[1,0,0]
	v_dual_mul_f32 v148, v147, v137 :: v_dual_mov_b32 v144, v147
	s_delay_alu instid0(VALU_DEP_2) | instskip(NEXT) | instid1(VALU_DEP_2)
	v_dual_mov_b32 v151, v145 :: v_dual_mov_b32 v145, v146
	v_pk_fma_f32 v[148:149], v[146:147], v[88:89], v[148:149] op_sel_hi:[1,1,0] neg_lo:[0,0,1] neg_hi:[0,0,1]
	v_mul_f32_e32 v146, v147, v134
	s_delay_alu instid0(VALU_DEP_3) | instskip(NEXT) | instid1(VALU_DEP_2)
	v_pk_add_f32 v[30:31], v[30:31], v[150:151] neg_lo:[0,1] neg_hi:[0,1]
	v_pk_fma_f32 v[144:145], v[144:145], v[88:89], v[146:147] op_sel_hi:[1,1,0]
	s_delay_alu instid0(VALU_DEP_1) | instskip(SKIP_4) | instid1(VALU_DEP_1)
	v_mov_b32_e32 v149, v145
	ds_load_2addr_b64 v[144:147], v138 offset0:60 offset1:61
	v_pk_add_f32 v[6:7], v[6:7], v[148:149] neg_lo:[0,1] neg_hi:[0,1]
	s_wait_dscnt 0x0
	v_pk_mul_f32 v[148:149], v[144:145], v[136:137] op_sel:[0,1]
	v_pk_fma_f32 v[150:151], v[144:145], v[134:135], v[148:149] op_sel:[0,0,1] op_sel_hi:[1,1,0] neg_lo:[0,0,1] neg_hi:[0,0,1]
	v_pk_fma_f32 v[144:145], v[144:145], v[134:135], v[148:149] op_sel:[0,0,1] op_sel_hi:[1,0,0]
	s_delay_alu instid0(VALU_DEP_1) | instskip(SKIP_1) | instid1(VALU_DEP_1)
	v_mov_b32_e32 v151, v145
	v_pk_mul_f32 v[144:145], v[146:147], v[136:137] op_sel:[0,1]
	v_pk_fma_f32 v[148:149], v[146:147], v[134:135], v[144:145] op_sel:[0,0,1] op_sel_hi:[1,1,0] neg_lo:[0,0,1] neg_hi:[0,0,1]
	v_pk_fma_f32 v[144:145], v[146:147], v[134:135], v[144:145] op_sel:[0,0,1] op_sel_hi:[1,0,0]
	s_delay_alu instid0(VALU_DEP_1)
	v_mov_b32_e32 v149, v145
	ds_load_2addr_b64 v[144:147], v138 offset0:62 offset1:63
	v_pk_add_f32 v[20:21], v[20:21], v[150:151] neg_lo:[0,1] neg_hi:[0,1]
	v_pk_add_f32 v[14:15], v[14:15], v[148:149] neg_lo:[0,1] neg_hi:[0,1]
	s_wait_dscnt 0x0
	v_pk_mul_f32 v[148:149], v[144:145], v[136:137] op_sel:[0,1]
	v_pk_mul_f32 v[136:137], v[146:147], v[136:137] op_sel:[0,1]
	s_delay_alu instid0(VALU_DEP_2) | instskip(SKIP_1) | instid1(VALU_DEP_1)
	v_pk_fma_f32 v[150:151], v[144:145], v[134:135], v[148:149] op_sel:[0,0,1] op_sel_hi:[1,1,0] neg_lo:[0,0,1] neg_hi:[0,0,1]
	v_pk_fma_f32 v[144:145], v[144:145], v[134:135], v[148:149] op_sel:[0,0,1] op_sel_hi:[1,0,0]
	v_mov_b32_e32 v151, v145
	s_delay_alu instid0(VALU_DEP_4) | instskip(SKIP_1) | instid1(VALU_DEP_1)
	v_pk_fma_f32 v[144:145], v[146:147], v[134:135], v[136:137] op_sel:[0,0,1] op_sel_hi:[1,1,0] neg_lo:[0,0,1] neg_hi:[0,0,1]
	v_pk_fma_f32 v[134:135], v[146:147], v[134:135], v[136:137] op_sel:[0,0,1] op_sel_hi:[1,0,0]
	v_mov_b32_e32 v145, v135
	s_delay_alu instid0(VALU_DEP_4) | instskip(NEXT) | instid1(VALU_DEP_2)
	v_pk_add_f32 v[10:11], v[10:11], v[150:151] neg_lo:[0,1] neg_hi:[0,1]
	v_pk_add_f32 v[132:133], v[132:133], v[144:145] neg_lo:[0,1] neg_hi:[0,1]
.LBB126_545:
	s_or_b32 exec_lo, exec_lo, s0
	v_lshl_add_u32 v134, v142, 3, v138
	s_barrier_signal -1
	s_barrier_wait -1
	ds_store_b64 v134, v[90:91]
	s_wait_dscnt 0x0
	s_barrier_signal -1
	s_barrier_wait -1
	ds_load_b64 v[136:137], v138 offset:208
	v_mov_b32_e32 v134, 26
	s_cmp_lt_i32 s18, 28
	s_cbranch_scc1 .LBB126_548
; %bb.546:
	v_add3_u32 v135, v139, 0, 0xd8
	v_mov_b32_e32 v134, 26
	s_mov_b32 s0, 27
.LBB126_547:                            ; =>This Inner Loop Header: Depth=1
	ds_load_b64 v[144:145], v135
	s_wait_dscnt 0x1
	v_cmp_gt_f32_e32 vcc_lo, 0, v136
	v_cndmask_b32_e64 v146, v136, -v136, vcc_lo
	v_cmp_gt_f32_e32 vcc_lo, 0, v137
	v_cndmask_b32_e64 v148, v137, -v137, vcc_lo
	s_wait_dscnt 0x0
	v_cmp_gt_f32_e32 vcc_lo, 0, v144
	v_cndmask_b32_e64 v147, v144, -v144, vcc_lo
	v_cmp_gt_f32_e32 vcc_lo, 0, v145
	v_cndmask_b32_e64 v149, v145, -v145, vcc_lo
	s_delay_alu instid0(VALU_DEP_1) | instskip(NEXT) | instid1(VALU_DEP_1)
	v_pk_add_f32 v[146:147], v[146:147], v[148:149]
	v_cmp_lt_f32_e32 vcc_lo, v146, v147
	v_dual_add_nc_u32 v135, 8, v135 :: v_dual_cndmask_b32 v137, v137, v145, vcc_lo
	v_cndmask_b32_e32 v136, v136, v144, vcc_lo
	v_cndmask_b32_e64 v134, v134, s0, vcc_lo
	s_add_co_i32 s0, s0, 1
	s_delay_alu instid0(SALU_CYCLE_1)
	s_cmp_lg_u32 s18, s0
	s_cbranch_scc1 .LBB126_547
.LBB126_548:
	s_wait_dscnt 0x0
	v_cmp_eq_f32_e32 vcc_lo, 0, v136
	v_cmp_eq_f32_e64 s0, 0, v137
	s_and_b32 s0, vcc_lo, s0
	s_delay_alu instid0(SALU_CYCLE_1) | instskip(NEXT) | instid1(SALU_CYCLE_1)
	s_and_saveexec_b32 s1, s0
	s_xor_b32 s0, exec_lo, s1
; %bb.549:
	v_cmp_ne_u32_e32 vcc_lo, 0, v140
	v_cndmask_b32_e32 v140, 27, v140, vcc_lo
; %bb.550:
	s_and_not1_saveexec_b32 s0, s0
	s_cbranch_execz .LBB126_556
; %bb.551:
	v_cmp_ngt_f32_e64 s1, |v136|, |v137|
	s_and_saveexec_b32 s12, s1
	s_delay_alu instid0(SALU_CYCLE_1)
	s_xor_b32 s1, exec_lo, s12
	s_cbranch_execz .LBB126_553
; %bb.552:
	v_div_scale_f32 v135, null, v137, v137, v136
	v_div_scale_f32 v145, vcc_lo, v136, v137, v136
	s_delay_alu instid0(VALU_DEP_2) | instskip(SKIP_1) | instid1(TRANS32_DEP_1)
	v_rcp_f32_e32 v143, v135
	v_nop
	v_fma_f32 v144, -v135, v143, 1.0
	s_delay_alu instid0(VALU_DEP_1) | instskip(NEXT) | instid1(VALU_DEP_1)
	v_fmac_f32_e32 v143, v144, v143
	v_mul_f32_e32 v144, v145, v143
	s_delay_alu instid0(VALU_DEP_1) | instskip(NEXT) | instid1(VALU_DEP_1)
	v_fma_f32 v146, -v135, v144, v145
	v_fmac_f32_e32 v144, v146, v143
	s_delay_alu instid0(VALU_DEP_1) | instskip(NEXT) | instid1(VALU_DEP_1)
	v_fma_f32 v135, -v135, v144, v145
	v_div_fmas_f32 v135, v135, v143, v144
	s_delay_alu instid0(VALU_DEP_1) | instskip(NEXT) | instid1(VALU_DEP_1)
	v_div_fixup_f32 v135, v135, v137, v136
	v_fmac_f32_e32 v137, v136, v135
	s_delay_alu instid0(VALU_DEP_1) | instskip(SKIP_1) | instid1(VALU_DEP_2)
	v_div_scale_f32 v136, null, v137, v137, 1.0
	v_div_scale_f32 v145, vcc_lo, 1.0, v137, 1.0
	v_rcp_f32_e32 v143, v136
	v_nop
	s_delay_alu instid0(TRANS32_DEP_1) | instskip(NEXT) | instid1(VALU_DEP_1)
	v_fma_f32 v144, -v136, v143, 1.0
	v_fmac_f32_e32 v143, v144, v143
	s_delay_alu instid0(VALU_DEP_1) | instskip(NEXT) | instid1(VALU_DEP_1)
	v_mul_f32_e32 v144, v145, v143
	v_fma_f32 v146, -v136, v144, v145
	s_delay_alu instid0(VALU_DEP_1) | instskip(NEXT) | instid1(VALU_DEP_1)
	v_fmac_f32_e32 v144, v146, v143
	v_fma_f32 v136, -v136, v144, v145
	s_delay_alu instid0(VALU_DEP_1) | instskip(NEXT) | instid1(VALU_DEP_1)
	v_div_fmas_f32 v136, v136, v143, v144
	v_div_fixup_f32 v137, v136, v137, 1.0
	s_delay_alu instid0(VALU_DEP_1)
	v_mul_f32_e32 v136, v135, v137
	v_xor_b32_e32 v137, 0x80000000, v137
.LBB126_553:
	s_and_not1_saveexec_b32 s1, s1
	s_cbranch_execz .LBB126_555
; %bb.554:
	s_delay_alu instid0(VALU_DEP_1) | instskip(SKIP_1) | instid1(VALU_DEP_2)
	v_div_scale_f32 v135, null, v136, v136, v137
	v_div_scale_f32 v145, vcc_lo, v137, v136, v137
	v_rcp_f32_e32 v143, v135
	v_nop
	s_delay_alu instid0(TRANS32_DEP_1) | instskip(NEXT) | instid1(VALU_DEP_1)
	v_fma_f32 v144, -v135, v143, 1.0
	v_fmac_f32_e32 v143, v144, v143
	s_delay_alu instid0(VALU_DEP_1) | instskip(NEXT) | instid1(VALU_DEP_1)
	v_mul_f32_e32 v144, v145, v143
	v_fma_f32 v146, -v135, v144, v145
	s_delay_alu instid0(VALU_DEP_1) | instskip(NEXT) | instid1(VALU_DEP_1)
	v_fmac_f32_e32 v144, v146, v143
	v_fma_f32 v135, -v135, v144, v145
	s_delay_alu instid0(VALU_DEP_1) | instskip(NEXT) | instid1(VALU_DEP_1)
	v_div_fmas_f32 v135, v135, v143, v144
	v_div_fixup_f32 v135, v135, v136, v137
	s_delay_alu instid0(VALU_DEP_1) | instskip(NEXT) | instid1(VALU_DEP_1)
	v_fmac_f32_e32 v136, v137, v135
	v_div_scale_f32 v137, null, v136, v136, 1.0
	s_delay_alu instid0(VALU_DEP_1) | instskip(SKIP_1) | instid1(TRANS32_DEP_1)
	v_rcp_f32_e32 v143, v137
	v_nop
	v_fma_f32 v144, -v137, v143, 1.0
	s_delay_alu instid0(VALU_DEP_1) | instskip(SKIP_1) | instid1(VALU_DEP_1)
	v_fmac_f32_e32 v143, v144, v143
	v_div_scale_f32 v144, vcc_lo, 1.0, v136, 1.0
	v_mul_f32_e32 v145, v144, v143
	s_delay_alu instid0(VALU_DEP_1) | instskip(NEXT) | instid1(VALU_DEP_1)
	v_fma_f32 v146, -v137, v145, v144
	v_fmac_f32_e32 v145, v146, v143
	s_delay_alu instid0(VALU_DEP_1) | instskip(NEXT) | instid1(VALU_DEP_1)
	v_fma_f32 v137, -v137, v145, v144
	v_div_fmas_f32 v137, v137, v143, v145
	s_delay_alu instid0(VALU_DEP_1) | instskip(NEXT) | instid1(VALU_DEP_1)
	v_div_fixup_f32 v136, v137, v136, 1.0
	v_mul_f32_e64 v137, v135, -v136
.LBB126_555:
	s_or_b32 exec_lo, exec_lo, s1
.LBB126_556:
	s_delay_alu instid0(SALU_CYCLE_1) | instskip(NEXT) | instid1(SALU_CYCLE_1)
	s_or_b32 exec_lo, exec_lo, s0
	s_mov_b32 s0, exec_lo
	v_cmpx_ne_u32_e64 v142, v134
	s_xor_b32 s0, exec_lo, s0
	s_cbranch_execz .LBB126_562
; %bb.557:
	s_mov_b32 s1, exec_lo
	v_cmpx_eq_u32_e32 26, v142
	s_cbranch_execz .LBB126_561
; %bb.558:
	v_cmp_ne_u32_e32 vcc_lo, 26, v134
	s_xor_b32 s12, s16, -1
	s_delay_alu instid0(SALU_CYCLE_1) | instskip(NEXT) | instid1(SALU_CYCLE_1)
	s_and_b32 s13, s12, vcc_lo
	s_and_saveexec_b32 s12, s13
	s_cbranch_execz .LBB126_560
; %bb.559:
	v_ashrrev_i32_e32 v135, 31, v134
	s_delay_alu instid0(VALU_DEP_1)
	v_lshl_add_u64 v[142:143], v[134:135], 2, v[4:5]
	s_clause 0x1
	global_load_b32 v135, v[142:143], off
	global_load_b32 v141, v[4:5], off offset:104
	s_wait_loadcnt 0x1
	global_store_b32 v[4:5], v135, off offset:104
	s_wait_loadcnt 0x0
	global_store_b32 v[142:143], v141, off
.LBB126_560:
	s_wait_xcnt 0x0
	s_or_b32 exec_lo, exec_lo, s12
	v_dual_mov_b32 v142, v134 :: v_dual_mov_b32 v141, v134
.LBB126_561:
	s_or_b32 exec_lo, exec_lo, s1
.LBB126_562:
	s_and_not1_saveexec_b32 s0, s0
	s_cbranch_execz .LBB126_564
; %bb.563:
	v_mov_b32_e32 v142, 26
	ds_store_2addr_b64 v138, v[34:35], v[86:87] offset0:27 offset1:28
	ds_store_2addr_b64 v138, v[82:83], v[84:85] offset0:29 offset1:30
	;; [unrolled: 1-line block ×18, first 2 shown]
	ds_store_b64 v138, v[132:133] offset:504
.LBB126_564:
	s_or_b32 exec_lo, exec_lo, s0
	s_delay_alu instid0(SALU_CYCLE_1)
	s_mov_b32 s0, exec_lo
	s_wait_storecnt_dscnt 0x0
	s_barrier_signal -1
	s_barrier_wait -1
	v_cmpx_lt_i32_e32 26, v142
	s_cbranch_execz .LBB126_566
; %bb.565:
	v_pk_mul_f32 v[144:145], v[136:137], v[90:91] op_sel:[1,1] op_sel_hi:[0,1]
	s_delay_alu instid0(VALU_DEP_1)
	v_pk_fma_f32 v[134:135], v[136:137], v[90:91], v[144:145] op_sel_hi:[1,0,1] neg_lo:[0,0,1] neg_hi:[0,0,1]
	v_pk_fma_f32 v[136:137], v[136:137], v[90:91], v[144:145] op_sel_hi:[1,0,1]
	ds_load_2addr_b64 v[144:147], v138 offset0:27 offset1:28
	v_dual_mov_b32 v90, v134 :: v_dual_mov_b32 v91, v137
	s_wait_dscnt 0x0
	v_pk_mul_f32 v[148:149], v[144:145], v[136:137] op_sel:[0,1]
	s_delay_alu instid0(VALU_DEP_1) | instskip(SKIP_1) | instid1(VALU_DEP_1)
	v_pk_fma_f32 v[150:151], v[144:145], v[134:135], v[148:149] op_sel:[0,0,1] op_sel_hi:[1,1,0] neg_lo:[0,0,1] neg_hi:[0,0,1]
	v_pk_fma_f32 v[144:145], v[144:145], v[134:135], v[148:149] op_sel:[0,0,1] op_sel_hi:[1,0,0]
	v_mov_b32_e32 v151, v145
	v_pk_mul_f32 v[144:145], v[146:147], v[136:137] op_sel:[0,1]
	s_delay_alu instid0(VALU_DEP_1) | instskip(SKIP_1) | instid1(VALU_DEP_1)
	v_pk_fma_f32 v[148:149], v[146:147], v[134:135], v[144:145] op_sel:[0,0,1] op_sel_hi:[1,1,0] neg_lo:[0,0,1] neg_hi:[0,0,1]
	v_pk_fma_f32 v[144:145], v[146:147], v[134:135], v[144:145] op_sel:[0,0,1] op_sel_hi:[1,0,0]
	v_mov_b32_e32 v149, v145
	ds_load_2addr_b64 v[144:147], v138 offset0:29 offset1:30
	v_pk_add_f32 v[34:35], v[34:35], v[150:151] neg_lo:[0,1] neg_hi:[0,1]
	v_pk_add_f32 v[86:87], v[86:87], v[148:149] neg_lo:[0,1] neg_hi:[0,1]
	s_wait_dscnt 0x0
	v_pk_mul_f32 v[148:149], v[144:145], v[136:137] op_sel:[0,1]
	s_delay_alu instid0(VALU_DEP_1) | instskip(SKIP_2) | instid1(VALU_DEP_2)
	v_pk_fma_f32 v[150:151], v[144:145], v[134:135], v[148:149] op_sel:[0,0,1] op_sel_hi:[1,1,0] neg_lo:[0,0,1] neg_hi:[0,0,1]
	v_pk_fma_f32 v[144:145], v[144:145], v[134:135], v[148:149] op_sel:[0,0,1] op_sel_hi:[1,0,0]
	v_dual_mul_f32 v148, v147, v137 :: v_dual_mov_b32 v144, v147
	v_dual_mov_b32 v151, v145 :: v_dual_mov_b32 v145, v146
	s_delay_alu instid0(VALU_DEP_2) | instskip(SKIP_1) | instid1(VALU_DEP_3)
	v_pk_fma_f32 v[148:149], v[146:147], v[90:91], v[148:149] op_sel_hi:[1,1,0] neg_lo:[0,0,1] neg_hi:[0,0,1]
	v_mul_f32_e32 v146, v147, v134
	v_pk_add_f32 v[82:83], v[82:83], v[150:151] neg_lo:[0,1] neg_hi:[0,1]
	s_delay_alu instid0(VALU_DEP_2) | instskip(NEXT) | instid1(VALU_DEP_1)
	v_pk_fma_f32 v[144:145], v[144:145], v[90:91], v[146:147] op_sel_hi:[1,1,0]
	v_mov_b32_e32 v149, v145
	ds_load_2addr_b64 v[144:147], v138 offset0:31 offset1:32
	v_pk_add_f32 v[84:85], v[84:85], v[148:149] neg_lo:[0,1] neg_hi:[0,1]
	s_wait_dscnt 0x0
	v_pk_mul_f32 v[148:149], v[144:145], v[136:137] op_sel:[0,1]
	s_delay_alu instid0(VALU_DEP_1) | instskip(SKIP_1) | instid1(VALU_DEP_1)
	v_pk_fma_f32 v[150:151], v[144:145], v[134:135], v[148:149] op_sel:[0,0,1] op_sel_hi:[1,1,0] neg_lo:[0,0,1] neg_hi:[0,0,1]
	v_pk_fma_f32 v[144:145], v[144:145], v[134:135], v[148:149] op_sel:[0,0,1] op_sel_hi:[1,0,0]
	v_mov_b32_e32 v151, v145
	v_pk_mul_f32 v[144:145], v[146:147], v[136:137] op_sel:[0,1]
	s_delay_alu instid0(VALU_DEP_1) | instskip(SKIP_1) | instid1(VALU_DEP_1)
	v_pk_fma_f32 v[148:149], v[146:147], v[134:135], v[144:145] op_sel:[0,0,1] op_sel_hi:[1,1,0] neg_lo:[0,0,1] neg_hi:[0,0,1]
	v_pk_fma_f32 v[144:145], v[146:147], v[134:135], v[144:145] op_sel:[0,0,1] op_sel_hi:[1,0,0]
	v_mov_b32_e32 v149, v145
	ds_load_2addr_b64 v[144:147], v138 offset0:33 offset1:34
	v_pk_add_f32 v[26:27], v[26:27], v[150:151] neg_lo:[0,1] neg_hi:[0,1]
	v_pk_add_f32 v[80:81], v[80:81], v[148:149] neg_lo:[0,1] neg_hi:[0,1]
	s_wait_dscnt 0x0
	v_pk_mul_f32 v[148:149], v[144:145], v[136:137] op_sel:[0,1]
	s_delay_alu instid0(VALU_DEP_1) | instskip(SKIP_1) | instid1(VALU_DEP_1)
	v_pk_fma_f32 v[150:151], v[144:145], v[134:135], v[148:149] op_sel:[0,0,1] op_sel_hi:[1,1,0] neg_lo:[0,0,1] neg_hi:[0,0,1]
	v_pk_fma_f32 v[144:145], v[144:145], v[134:135], v[148:149] op_sel:[0,0,1] op_sel_hi:[1,0,0]
	v_mov_b32_e32 v151, v145
	v_pk_mul_f32 v[144:145], v[146:147], v[136:137] op_sel:[0,1]
	s_delay_alu instid0(VALU_DEP_1) | instskip(SKIP_1) | instid1(VALU_DEP_1)
	v_pk_fma_f32 v[148:149], v[146:147], v[134:135], v[144:145] op_sel:[0,0,1] op_sel_hi:[1,1,0] neg_lo:[0,0,1] neg_hi:[0,0,1]
	v_pk_fma_f32 v[144:145], v[146:147], v[134:135], v[144:145] op_sel:[0,0,1] op_sel_hi:[1,0,0]
	v_mov_b32_e32 v149, v145
	ds_load_2addr_b64 v[144:147], v138 offset0:35 offset1:36
	v_pk_add_f32 v[76:77], v[76:77], v[150:151] neg_lo:[0,1] neg_hi:[0,1]
	v_pk_add_f32 v[78:79], v[78:79], v[148:149] neg_lo:[0,1] neg_hi:[0,1]
	s_wait_dscnt 0x0
	v_dual_mul_f32 v148, v145, v137 :: v_dual_mul_f32 v150, v145, v134
	s_delay_alu instid0(VALU_DEP_1) | instskip(NEXT) | instid1(VALU_DEP_2)
	v_pk_fma_f32 v[148:149], v[144:145], v[90:91], v[148:149] op_sel_hi:[1,1,0] neg_lo:[0,0,1] neg_hi:[0,0,1]
	v_pk_fma_f32 v[144:145], v[144:145], v[90:91], v[150:151] op_sel:[1,0,0] op_sel_hi:[0,1,0]
	s_delay_alu instid0(VALU_DEP_1) | instskip(SKIP_1) | instid1(VALU_DEP_2)
	v_mov_b32_e32 v149, v145
	v_pk_mul_f32 v[144:145], v[146:147], v[136:137] op_sel:[0,1]
	v_pk_add_f32 v[24:25], v[24:25], v[148:149] neg_lo:[0,1] neg_hi:[0,1]
	s_delay_alu instid0(VALU_DEP_2) | instskip(SKIP_1) | instid1(VALU_DEP_1)
	v_pk_fma_f32 v[148:149], v[146:147], v[134:135], v[144:145] op_sel:[0,0,1] op_sel_hi:[1,1,0] neg_lo:[0,0,1] neg_hi:[0,0,1]
	v_pk_fma_f32 v[144:145], v[146:147], v[134:135], v[144:145] op_sel:[0,0,1] op_sel_hi:[1,0,0]
	v_mov_b32_e32 v149, v145
	ds_load_2addr_b64 v[144:147], v138 offset0:37 offset1:38
	v_pk_add_f32 v[74:75], v[74:75], v[148:149] neg_lo:[0,1] neg_hi:[0,1]
	s_wait_dscnt 0x0
	v_pk_mul_f32 v[148:149], v[144:145], v[136:137] op_sel:[0,1]
	s_delay_alu instid0(VALU_DEP_1) | instskip(SKIP_1) | instid1(VALU_DEP_1)
	v_pk_fma_f32 v[150:151], v[144:145], v[134:135], v[148:149] op_sel:[0,0,1] op_sel_hi:[1,1,0] neg_lo:[0,0,1] neg_hi:[0,0,1]
	v_pk_fma_f32 v[144:145], v[144:145], v[134:135], v[148:149] op_sel:[0,0,1] op_sel_hi:[1,0,0]
	v_mov_b32_e32 v151, v145
	v_pk_mul_f32 v[144:145], v[146:147], v[136:137] op_sel:[0,1]
	s_delay_alu instid0(VALU_DEP_2) | instskip(NEXT) | instid1(VALU_DEP_2)
	v_pk_add_f32 v[70:71], v[70:71], v[150:151] neg_lo:[0,1] neg_hi:[0,1]
	v_pk_fma_f32 v[148:149], v[146:147], v[134:135], v[144:145] op_sel:[0,0,1] op_sel_hi:[1,1,0] neg_lo:[0,0,1] neg_hi:[0,0,1]
	v_pk_fma_f32 v[144:145], v[146:147], v[134:135], v[144:145] op_sel:[0,0,1] op_sel_hi:[1,0,0]
	s_delay_alu instid0(VALU_DEP_1) | instskip(SKIP_4) | instid1(VALU_DEP_1)
	v_mov_b32_e32 v149, v145
	ds_load_2addr_b64 v[144:147], v138 offset0:39 offset1:40
	v_pk_add_f32 v[72:73], v[72:73], v[148:149] neg_lo:[0,1] neg_hi:[0,1]
	s_wait_dscnt 0x0
	v_pk_mul_f32 v[148:149], v[144:145], v[136:137] op_sel:[0,1]
	v_pk_fma_f32 v[150:151], v[144:145], v[134:135], v[148:149] op_sel:[0,0,1] op_sel_hi:[1,1,0] neg_lo:[0,0,1] neg_hi:[0,0,1]
	v_pk_fma_f32 v[144:145], v[144:145], v[134:135], v[148:149] op_sel:[0,0,1] op_sel_hi:[1,0,0]
	v_dual_mul_f32 v148, v147, v137 :: v_dual_mov_b32 v144, v147
	s_delay_alu instid0(VALU_DEP_2) | instskip(NEXT) | instid1(VALU_DEP_2)
	v_dual_mov_b32 v151, v145 :: v_dual_mov_b32 v145, v146
	v_pk_fma_f32 v[148:149], v[146:147], v[90:91], v[148:149] op_sel_hi:[1,1,0] neg_lo:[0,0,1] neg_hi:[0,0,1]
	v_mul_f32_e32 v146, v147, v134
	s_delay_alu instid0(VALU_DEP_3) | instskip(NEXT) | instid1(VALU_DEP_2)
	v_pk_add_f32 v[22:23], v[22:23], v[150:151] neg_lo:[0,1] neg_hi:[0,1]
	v_pk_fma_f32 v[144:145], v[144:145], v[90:91], v[146:147] op_sel_hi:[1,1,0]
	s_delay_alu instid0(VALU_DEP_1) | instskip(SKIP_4) | instid1(VALU_DEP_1)
	v_mov_b32_e32 v149, v145
	ds_load_2addr_b64 v[144:147], v138 offset0:41 offset1:42
	v_pk_add_f32 v[68:69], v[68:69], v[148:149] neg_lo:[0,1] neg_hi:[0,1]
	s_wait_dscnt 0x0
	v_pk_mul_f32 v[148:149], v[144:145], v[136:137] op_sel:[0,1]
	v_pk_fma_f32 v[150:151], v[144:145], v[134:135], v[148:149] op_sel:[0,0,1] op_sel_hi:[1,1,0] neg_lo:[0,0,1] neg_hi:[0,0,1]
	v_pk_fma_f32 v[144:145], v[144:145], v[134:135], v[148:149] op_sel:[0,0,1] op_sel_hi:[1,0,0]
	s_delay_alu instid0(VALU_DEP_1) | instskip(SKIP_1) | instid1(VALU_DEP_1)
	v_mov_b32_e32 v151, v145
	v_pk_mul_f32 v[144:145], v[146:147], v[136:137] op_sel:[0,1]
	v_pk_fma_f32 v[148:149], v[146:147], v[134:135], v[144:145] op_sel:[0,0,1] op_sel_hi:[1,1,0] neg_lo:[0,0,1] neg_hi:[0,0,1]
	v_pk_fma_f32 v[144:145], v[146:147], v[134:135], v[144:145] op_sel:[0,0,1] op_sel_hi:[1,0,0]
	s_delay_alu instid0(VALU_DEP_1)
	v_mov_b32_e32 v149, v145
	ds_load_2addr_b64 v[144:147], v138 offset0:43 offset1:44
	v_pk_add_f32 v[64:65], v[64:65], v[150:151] neg_lo:[0,1] neg_hi:[0,1]
	v_pk_add_f32 v[66:67], v[66:67], v[148:149] neg_lo:[0,1] neg_hi:[0,1]
	s_wait_dscnt 0x0
	v_pk_mul_f32 v[148:149], v[144:145], v[136:137] op_sel:[0,1]
	s_delay_alu instid0(VALU_DEP_1) | instskip(SKIP_1) | instid1(VALU_DEP_1)
	v_pk_fma_f32 v[150:151], v[144:145], v[134:135], v[148:149] op_sel:[0,0,1] op_sel_hi:[1,1,0] neg_lo:[0,0,1] neg_hi:[0,0,1]
	v_pk_fma_f32 v[144:145], v[144:145], v[134:135], v[148:149] op_sel:[0,0,1] op_sel_hi:[1,0,0]
	v_mov_b32_e32 v151, v145
	v_pk_mul_f32 v[144:145], v[146:147], v[136:137] op_sel:[0,1]
	s_delay_alu instid0(VALU_DEP_1) | instskip(SKIP_1) | instid1(VALU_DEP_1)
	v_pk_fma_f32 v[148:149], v[146:147], v[134:135], v[144:145] op_sel:[0,0,1] op_sel_hi:[1,1,0] neg_lo:[0,0,1] neg_hi:[0,0,1]
	v_pk_fma_f32 v[144:145], v[146:147], v[134:135], v[144:145] op_sel:[0,0,1] op_sel_hi:[1,0,0]
	v_mov_b32_e32 v149, v145
	ds_load_2addr_b64 v[144:147], v138 offset0:45 offset1:46
	v_pk_add_f32 v[18:19], v[18:19], v[150:151] neg_lo:[0,1] neg_hi:[0,1]
	v_pk_add_f32 v[60:61], v[60:61], v[148:149] neg_lo:[0,1] neg_hi:[0,1]
	s_wait_dscnt 0x0
	v_dual_mul_f32 v148, v145, v137 :: v_dual_mul_f32 v150, v145, v134
	s_delay_alu instid0(VALU_DEP_1) | instskip(NEXT) | instid1(VALU_DEP_2)
	v_pk_fma_f32 v[148:149], v[144:145], v[90:91], v[148:149] op_sel_hi:[1,1,0] neg_lo:[0,0,1] neg_hi:[0,0,1]
	v_pk_fma_f32 v[144:145], v[144:145], v[90:91], v[150:151] op_sel:[1,0,0] op_sel_hi:[0,1,0]
	s_delay_alu instid0(VALU_DEP_1) | instskip(SKIP_1) | instid1(VALU_DEP_2)
	v_mov_b32_e32 v149, v145
	v_pk_mul_f32 v[144:145], v[146:147], v[136:137] op_sel:[0,1]
	v_pk_add_f32 v[56:57], v[56:57], v[148:149] neg_lo:[0,1] neg_hi:[0,1]
	s_delay_alu instid0(VALU_DEP_2) | instskip(SKIP_1) | instid1(VALU_DEP_1)
	v_pk_fma_f32 v[148:149], v[146:147], v[134:135], v[144:145] op_sel:[0,0,1] op_sel_hi:[1,1,0] neg_lo:[0,0,1] neg_hi:[0,0,1]
	v_pk_fma_f32 v[144:145], v[146:147], v[134:135], v[144:145] op_sel:[0,0,1] op_sel_hi:[1,0,0]
	v_mov_b32_e32 v149, v145
	ds_load_2addr_b64 v[144:147], v138 offset0:47 offset1:48
	v_pk_add_f32 v[58:59], v[58:59], v[148:149] neg_lo:[0,1] neg_hi:[0,1]
	s_wait_dscnt 0x0
	v_pk_mul_f32 v[148:149], v[144:145], v[136:137] op_sel:[0,1]
	s_delay_alu instid0(VALU_DEP_1) | instskip(SKIP_1) | instid1(VALU_DEP_1)
	v_pk_fma_f32 v[150:151], v[144:145], v[134:135], v[148:149] op_sel:[0,0,1] op_sel_hi:[1,1,0] neg_lo:[0,0,1] neg_hi:[0,0,1]
	v_pk_fma_f32 v[144:145], v[144:145], v[134:135], v[148:149] op_sel:[0,0,1] op_sel_hi:[1,0,0]
	v_mov_b32_e32 v151, v145
	v_pk_mul_f32 v[144:145], v[146:147], v[136:137] op_sel:[0,1]
	s_delay_alu instid0(VALU_DEP_2) | instskip(NEXT) | instid1(VALU_DEP_2)
	v_pk_add_f32 v[12:13], v[12:13], v[150:151] neg_lo:[0,1] neg_hi:[0,1]
	v_pk_fma_f32 v[148:149], v[146:147], v[134:135], v[144:145] op_sel:[0,0,1] op_sel_hi:[1,1,0] neg_lo:[0,0,1] neg_hi:[0,0,1]
	v_pk_fma_f32 v[144:145], v[146:147], v[134:135], v[144:145] op_sel:[0,0,1] op_sel_hi:[1,0,0]
	s_delay_alu instid0(VALU_DEP_1) | instskip(SKIP_4) | instid1(VALU_DEP_1)
	v_mov_b32_e32 v149, v145
	ds_load_2addr_b64 v[144:147], v138 offset0:49 offset1:50
	v_pk_add_f32 v[54:55], v[54:55], v[148:149] neg_lo:[0,1] neg_hi:[0,1]
	s_wait_dscnt 0x0
	v_pk_mul_f32 v[148:149], v[144:145], v[136:137] op_sel:[0,1]
	v_pk_fma_f32 v[150:151], v[144:145], v[134:135], v[148:149] op_sel:[0,0,1] op_sel_hi:[1,1,0] neg_lo:[0,0,1] neg_hi:[0,0,1]
	v_pk_fma_f32 v[144:145], v[144:145], v[134:135], v[148:149] op_sel:[0,0,1] op_sel_hi:[1,0,0]
	v_dual_mul_f32 v148, v147, v137 :: v_dual_mov_b32 v144, v147
	s_delay_alu instid0(VALU_DEP_2) | instskip(NEXT) | instid1(VALU_DEP_2)
	v_dual_mov_b32 v151, v145 :: v_dual_mov_b32 v145, v146
	v_pk_fma_f32 v[148:149], v[146:147], v[90:91], v[148:149] op_sel_hi:[1,1,0] neg_lo:[0,0,1] neg_hi:[0,0,1]
	v_mul_f32_e32 v146, v147, v134
	s_delay_alu instid0(VALU_DEP_3) | instskip(NEXT) | instid1(VALU_DEP_2)
	v_pk_add_f32 v[52:53], v[52:53], v[150:151] neg_lo:[0,1] neg_hi:[0,1]
	v_pk_fma_f32 v[144:145], v[144:145], v[90:91], v[146:147] op_sel_hi:[1,1,0]
	s_delay_alu instid0(VALU_DEP_1) | instskip(SKIP_4) | instid1(VALU_DEP_1)
	v_mov_b32_e32 v149, v145
	ds_load_2addr_b64 v[144:147], v138 offset0:51 offset1:52
	v_pk_add_f32 v[62:63], v[62:63], v[148:149] neg_lo:[0,1] neg_hi:[0,1]
	s_wait_dscnt 0x0
	v_pk_mul_f32 v[148:149], v[144:145], v[136:137] op_sel:[0,1]
	v_pk_fma_f32 v[150:151], v[144:145], v[134:135], v[148:149] op_sel:[0,0,1] op_sel_hi:[1,1,0] neg_lo:[0,0,1] neg_hi:[0,0,1]
	v_pk_fma_f32 v[144:145], v[144:145], v[134:135], v[148:149] op_sel:[0,0,1] op_sel_hi:[1,0,0]
	s_delay_alu instid0(VALU_DEP_1) | instskip(SKIP_1) | instid1(VALU_DEP_1)
	v_mov_b32_e32 v151, v145
	v_pk_mul_f32 v[144:145], v[146:147], v[136:137] op_sel:[0,1]
	v_pk_fma_f32 v[148:149], v[146:147], v[134:135], v[144:145] op_sel:[0,0,1] op_sel_hi:[1,1,0] neg_lo:[0,0,1] neg_hi:[0,0,1]
	v_pk_fma_f32 v[144:145], v[146:147], v[134:135], v[144:145] op_sel:[0,0,1] op_sel_hi:[1,0,0]
	s_delay_alu instid0(VALU_DEP_1)
	v_mov_b32_e32 v149, v145
	ds_load_2addr_b64 v[144:147], v138 offset0:53 offset1:54
	v_pk_add_f32 v[16:17], v[16:17], v[150:151] neg_lo:[0,1] neg_hi:[0,1]
	v_pk_add_f32 v[48:49], v[48:49], v[148:149] neg_lo:[0,1] neg_hi:[0,1]
	s_wait_dscnt 0x0
	v_pk_mul_f32 v[148:149], v[144:145], v[136:137] op_sel:[0,1]
	s_delay_alu instid0(VALU_DEP_1) | instskip(SKIP_1) | instid1(VALU_DEP_1)
	v_pk_fma_f32 v[150:151], v[144:145], v[134:135], v[148:149] op_sel:[0,0,1] op_sel_hi:[1,1,0] neg_lo:[0,0,1] neg_hi:[0,0,1]
	v_pk_fma_f32 v[144:145], v[144:145], v[134:135], v[148:149] op_sel:[0,0,1] op_sel_hi:[1,0,0]
	v_mov_b32_e32 v151, v145
	v_pk_mul_f32 v[144:145], v[146:147], v[136:137] op_sel:[0,1]
	s_delay_alu instid0(VALU_DEP_1) | instskip(SKIP_1) | instid1(VALU_DEP_1)
	v_pk_fma_f32 v[148:149], v[146:147], v[134:135], v[144:145] op_sel:[0,0,1] op_sel_hi:[1,1,0] neg_lo:[0,0,1] neg_hi:[0,0,1]
	v_pk_fma_f32 v[144:145], v[146:147], v[134:135], v[144:145] op_sel:[0,0,1] op_sel_hi:[1,0,0]
	v_mov_b32_e32 v149, v145
	ds_load_2addr_b64 v[144:147], v138 offset0:55 offset1:56
	v_pk_add_f32 v[42:43], v[42:43], v[150:151] neg_lo:[0,1] neg_hi:[0,1]
	v_pk_add_f32 v[46:47], v[46:47], v[148:149] neg_lo:[0,1] neg_hi:[0,1]
	s_wait_dscnt 0x0
	v_dual_mul_f32 v148, v145, v137 :: v_dual_mul_f32 v150, v145, v134
	s_delay_alu instid0(VALU_DEP_1) | instskip(NEXT) | instid1(VALU_DEP_2)
	v_pk_fma_f32 v[148:149], v[144:145], v[90:91], v[148:149] op_sel_hi:[1,1,0] neg_lo:[0,0,1] neg_hi:[0,0,1]
	v_pk_fma_f32 v[144:145], v[144:145], v[90:91], v[150:151] op_sel:[1,0,0] op_sel_hi:[0,1,0]
	s_delay_alu instid0(VALU_DEP_1) | instskip(SKIP_1) | instid1(VALU_DEP_2)
	v_mov_b32_e32 v149, v145
	v_pk_mul_f32 v[144:145], v[146:147], v[136:137] op_sel:[0,1]
	v_pk_add_f32 v[8:9], v[8:9], v[148:149] neg_lo:[0,1] neg_hi:[0,1]
	s_delay_alu instid0(VALU_DEP_2) | instskip(SKIP_1) | instid1(VALU_DEP_1)
	v_pk_fma_f32 v[148:149], v[146:147], v[134:135], v[144:145] op_sel:[0,0,1] op_sel_hi:[1,1,0] neg_lo:[0,0,1] neg_hi:[0,0,1]
	v_pk_fma_f32 v[144:145], v[146:147], v[134:135], v[144:145] op_sel:[0,0,1] op_sel_hi:[1,0,0]
	v_mov_b32_e32 v149, v145
	ds_load_2addr_b64 v[144:147], v138 offset0:57 offset1:58
	v_pk_add_f32 v[32:33], v[32:33], v[148:149] neg_lo:[0,1] neg_hi:[0,1]
	s_wait_dscnt 0x0
	v_pk_mul_f32 v[148:149], v[144:145], v[136:137] op_sel:[0,1]
	s_delay_alu instid0(VALU_DEP_1) | instskip(SKIP_1) | instid1(VALU_DEP_1)
	v_pk_fma_f32 v[150:151], v[144:145], v[134:135], v[148:149] op_sel:[0,0,1] op_sel_hi:[1,1,0] neg_lo:[0,0,1] neg_hi:[0,0,1]
	v_pk_fma_f32 v[144:145], v[144:145], v[134:135], v[148:149] op_sel:[0,0,1] op_sel_hi:[1,0,0]
	v_mov_b32_e32 v151, v145
	v_pk_mul_f32 v[144:145], v[146:147], v[136:137] op_sel:[0,1]
	s_delay_alu instid0(VALU_DEP_2) | instskip(NEXT) | instid1(VALU_DEP_2)
	v_pk_add_f32 v[28:29], v[28:29], v[150:151] neg_lo:[0,1] neg_hi:[0,1]
	v_pk_fma_f32 v[148:149], v[146:147], v[134:135], v[144:145] op_sel:[0,0,1] op_sel_hi:[1,1,0] neg_lo:[0,0,1] neg_hi:[0,0,1]
	v_pk_fma_f32 v[144:145], v[146:147], v[134:135], v[144:145] op_sel:[0,0,1] op_sel_hi:[1,0,0]
	s_delay_alu instid0(VALU_DEP_1) | instskip(SKIP_4) | instid1(VALU_DEP_1)
	v_mov_b32_e32 v149, v145
	ds_load_2addr_b64 v[144:147], v138 offset0:59 offset1:60
	v_pk_add_f32 v[30:31], v[30:31], v[148:149] neg_lo:[0,1] neg_hi:[0,1]
	s_wait_dscnt 0x0
	v_pk_mul_f32 v[148:149], v[144:145], v[136:137] op_sel:[0,1]
	v_pk_fma_f32 v[150:151], v[144:145], v[134:135], v[148:149] op_sel:[0,0,1] op_sel_hi:[1,1,0] neg_lo:[0,0,1] neg_hi:[0,0,1]
	v_pk_fma_f32 v[144:145], v[144:145], v[134:135], v[148:149] op_sel:[0,0,1] op_sel_hi:[1,0,0]
	v_dual_mul_f32 v148, v147, v137 :: v_dual_mov_b32 v144, v147
	s_delay_alu instid0(VALU_DEP_2) | instskip(NEXT) | instid1(VALU_DEP_2)
	v_dual_mov_b32 v151, v145 :: v_dual_mov_b32 v145, v146
	v_pk_fma_f32 v[148:149], v[146:147], v[90:91], v[148:149] op_sel_hi:[1,1,0] neg_lo:[0,0,1] neg_hi:[0,0,1]
	v_mul_f32_e32 v146, v147, v134
	s_delay_alu instid0(VALU_DEP_3) | instskip(NEXT) | instid1(VALU_DEP_2)
	v_pk_add_f32 v[6:7], v[6:7], v[150:151] neg_lo:[0,1] neg_hi:[0,1]
	v_pk_fma_f32 v[144:145], v[144:145], v[90:91], v[146:147] op_sel_hi:[1,1,0]
	s_delay_alu instid0(VALU_DEP_1) | instskip(SKIP_4) | instid1(VALU_DEP_1)
	v_mov_b32_e32 v149, v145
	ds_load_2addr_b64 v[144:147], v138 offset0:61 offset1:62
	v_pk_add_f32 v[20:21], v[20:21], v[148:149] neg_lo:[0,1] neg_hi:[0,1]
	s_wait_dscnt 0x0
	v_pk_mul_f32 v[148:149], v[144:145], v[136:137] op_sel:[0,1]
	v_pk_fma_f32 v[150:151], v[144:145], v[134:135], v[148:149] op_sel:[0,0,1] op_sel_hi:[1,1,0] neg_lo:[0,0,1] neg_hi:[0,0,1]
	v_pk_fma_f32 v[144:145], v[144:145], v[134:135], v[148:149] op_sel:[0,0,1] op_sel_hi:[1,0,0]
	s_delay_alu instid0(VALU_DEP_1) | instskip(SKIP_1) | instid1(VALU_DEP_1)
	v_mov_b32_e32 v151, v145
	v_pk_mul_f32 v[144:145], v[146:147], v[136:137] op_sel:[0,1]
	v_pk_fma_f32 v[148:149], v[146:147], v[134:135], v[144:145] op_sel:[0,0,1] op_sel_hi:[1,1,0] neg_lo:[0,0,1] neg_hi:[0,0,1]
	v_pk_fma_f32 v[144:145], v[146:147], v[134:135], v[144:145] op_sel:[0,0,1] op_sel_hi:[1,0,0]
	s_delay_alu instid0(VALU_DEP_1)
	v_mov_b32_e32 v149, v145
	ds_load_b64 v[144:145], v138 offset:504
	v_pk_add_f32 v[14:15], v[14:15], v[150:151] neg_lo:[0,1] neg_hi:[0,1]
	v_pk_add_f32 v[10:11], v[10:11], v[148:149] neg_lo:[0,1] neg_hi:[0,1]
	s_wait_dscnt 0x0
	v_pk_mul_f32 v[136:137], v[144:145], v[136:137] op_sel:[0,1]
	s_delay_alu instid0(VALU_DEP_1) | instskip(SKIP_1) | instid1(VALU_DEP_1)
	v_pk_fma_f32 v[146:147], v[144:145], v[134:135], v[136:137] op_sel:[0,0,1] op_sel_hi:[1,1,0] neg_lo:[0,0,1] neg_hi:[0,0,1]
	v_pk_fma_f32 v[134:135], v[144:145], v[134:135], v[136:137] op_sel:[0,0,1] op_sel_hi:[1,0,0]
	v_mov_b32_e32 v147, v135
	s_delay_alu instid0(VALU_DEP_1)
	v_pk_add_f32 v[132:133], v[132:133], v[146:147] neg_lo:[0,1] neg_hi:[0,1]
.LBB126_566:
	s_or_b32 exec_lo, exec_lo, s0
	v_lshl_add_u32 v134, v142, 3, v138
	s_barrier_signal -1
	s_barrier_wait -1
	ds_store_b64 v134, v[34:35]
	s_wait_dscnt 0x0
	s_barrier_signal -1
	s_barrier_wait -1
	ds_load_b64 v[136:137], v138 offset:216
	v_mov_b32_e32 v134, 27
	s_cmp_lt_i32 s18, 29
	s_cbranch_scc1 .LBB126_569
; %bb.567:
	v_add3_u32 v135, v139, 0, 0xe0
	v_mov_b32_e32 v134, 27
	s_mov_b32 s0, 28
.LBB126_568:                            ; =>This Inner Loop Header: Depth=1
	ds_load_b64 v[144:145], v135
	s_wait_dscnt 0x1
	v_cmp_gt_f32_e32 vcc_lo, 0, v136
	v_cndmask_b32_e64 v146, v136, -v136, vcc_lo
	v_cmp_gt_f32_e32 vcc_lo, 0, v137
	v_cndmask_b32_e64 v148, v137, -v137, vcc_lo
	s_wait_dscnt 0x0
	v_cmp_gt_f32_e32 vcc_lo, 0, v144
	v_cndmask_b32_e64 v147, v144, -v144, vcc_lo
	v_cmp_gt_f32_e32 vcc_lo, 0, v145
	v_cndmask_b32_e64 v149, v145, -v145, vcc_lo
	s_delay_alu instid0(VALU_DEP_1) | instskip(NEXT) | instid1(VALU_DEP_1)
	v_pk_add_f32 v[146:147], v[146:147], v[148:149]
	v_cmp_lt_f32_e32 vcc_lo, v146, v147
	v_dual_add_nc_u32 v135, 8, v135 :: v_dual_cndmask_b32 v137, v137, v145, vcc_lo
	v_cndmask_b32_e32 v136, v136, v144, vcc_lo
	v_cndmask_b32_e64 v134, v134, s0, vcc_lo
	s_add_co_i32 s0, s0, 1
	s_delay_alu instid0(SALU_CYCLE_1)
	s_cmp_lg_u32 s18, s0
	s_cbranch_scc1 .LBB126_568
.LBB126_569:
	s_wait_dscnt 0x0
	v_cmp_eq_f32_e32 vcc_lo, 0, v136
	v_cmp_eq_f32_e64 s0, 0, v137
	s_and_b32 s0, vcc_lo, s0
	s_delay_alu instid0(SALU_CYCLE_1) | instskip(NEXT) | instid1(SALU_CYCLE_1)
	s_and_saveexec_b32 s1, s0
	s_xor_b32 s0, exec_lo, s1
; %bb.570:
	v_cmp_ne_u32_e32 vcc_lo, 0, v140
	v_cndmask_b32_e32 v140, 28, v140, vcc_lo
; %bb.571:
	s_and_not1_saveexec_b32 s0, s0
	s_cbranch_execz .LBB126_577
; %bb.572:
	v_cmp_ngt_f32_e64 s1, |v136|, |v137|
	s_and_saveexec_b32 s12, s1
	s_delay_alu instid0(SALU_CYCLE_1)
	s_xor_b32 s1, exec_lo, s12
	s_cbranch_execz .LBB126_574
; %bb.573:
	v_div_scale_f32 v135, null, v137, v137, v136
	v_div_scale_f32 v145, vcc_lo, v136, v137, v136
	s_delay_alu instid0(VALU_DEP_2) | instskip(SKIP_1) | instid1(TRANS32_DEP_1)
	v_rcp_f32_e32 v143, v135
	v_nop
	v_fma_f32 v144, -v135, v143, 1.0
	s_delay_alu instid0(VALU_DEP_1) | instskip(NEXT) | instid1(VALU_DEP_1)
	v_fmac_f32_e32 v143, v144, v143
	v_mul_f32_e32 v144, v145, v143
	s_delay_alu instid0(VALU_DEP_1) | instskip(NEXT) | instid1(VALU_DEP_1)
	v_fma_f32 v146, -v135, v144, v145
	v_fmac_f32_e32 v144, v146, v143
	s_delay_alu instid0(VALU_DEP_1) | instskip(NEXT) | instid1(VALU_DEP_1)
	v_fma_f32 v135, -v135, v144, v145
	v_div_fmas_f32 v135, v135, v143, v144
	s_delay_alu instid0(VALU_DEP_1) | instskip(NEXT) | instid1(VALU_DEP_1)
	v_div_fixup_f32 v135, v135, v137, v136
	v_fmac_f32_e32 v137, v136, v135
	s_delay_alu instid0(VALU_DEP_1) | instskip(SKIP_1) | instid1(VALU_DEP_2)
	v_div_scale_f32 v136, null, v137, v137, 1.0
	v_div_scale_f32 v145, vcc_lo, 1.0, v137, 1.0
	v_rcp_f32_e32 v143, v136
	v_nop
	s_delay_alu instid0(TRANS32_DEP_1) | instskip(NEXT) | instid1(VALU_DEP_1)
	v_fma_f32 v144, -v136, v143, 1.0
	v_fmac_f32_e32 v143, v144, v143
	s_delay_alu instid0(VALU_DEP_1) | instskip(NEXT) | instid1(VALU_DEP_1)
	v_mul_f32_e32 v144, v145, v143
	v_fma_f32 v146, -v136, v144, v145
	s_delay_alu instid0(VALU_DEP_1) | instskip(NEXT) | instid1(VALU_DEP_1)
	v_fmac_f32_e32 v144, v146, v143
	v_fma_f32 v136, -v136, v144, v145
	s_delay_alu instid0(VALU_DEP_1) | instskip(NEXT) | instid1(VALU_DEP_1)
	v_div_fmas_f32 v136, v136, v143, v144
	v_div_fixup_f32 v137, v136, v137, 1.0
	s_delay_alu instid0(VALU_DEP_1)
	v_mul_f32_e32 v136, v135, v137
	v_xor_b32_e32 v137, 0x80000000, v137
.LBB126_574:
	s_and_not1_saveexec_b32 s1, s1
	s_cbranch_execz .LBB126_576
; %bb.575:
	s_delay_alu instid0(VALU_DEP_1) | instskip(SKIP_1) | instid1(VALU_DEP_2)
	v_div_scale_f32 v135, null, v136, v136, v137
	v_div_scale_f32 v145, vcc_lo, v137, v136, v137
	v_rcp_f32_e32 v143, v135
	v_nop
	s_delay_alu instid0(TRANS32_DEP_1) | instskip(NEXT) | instid1(VALU_DEP_1)
	v_fma_f32 v144, -v135, v143, 1.0
	v_fmac_f32_e32 v143, v144, v143
	s_delay_alu instid0(VALU_DEP_1) | instskip(NEXT) | instid1(VALU_DEP_1)
	v_mul_f32_e32 v144, v145, v143
	v_fma_f32 v146, -v135, v144, v145
	s_delay_alu instid0(VALU_DEP_1) | instskip(NEXT) | instid1(VALU_DEP_1)
	v_fmac_f32_e32 v144, v146, v143
	v_fma_f32 v135, -v135, v144, v145
	s_delay_alu instid0(VALU_DEP_1) | instskip(NEXT) | instid1(VALU_DEP_1)
	v_div_fmas_f32 v135, v135, v143, v144
	v_div_fixup_f32 v135, v135, v136, v137
	s_delay_alu instid0(VALU_DEP_1) | instskip(NEXT) | instid1(VALU_DEP_1)
	v_fmac_f32_e32 v136, v137, v135
	v_div_scale_f32 v137, null, v136, v136, 1.0
	s_delay_alu instid0(VALU_DEP_1) | instskip(SKIP_1) | instid1(TRANS32_DEP_1)
	v_rcp_f32_e32 v143, v137
	v_nop
	v_fma_f32 v144, -v137, v143, 1.0
	s_delay_alu instid0(VALU_DEP_1) | instskip(SKIP_1) | instid1(VALU_DEP_1)
	v_fmac_f32_e32 v143, v144, v143
	v_div_scale_f32 v144, vcc_lo, 1.0, v136, 1.0
	v_mul_f32_e32 v145, v144, v143
	s_delay_alu instid0(VALU_DEP_1) | instskip(NEXT) | instid1(VALU_DEP_1)
	v_fma_f32 v146, -v137, v145, v144
	v_fmac_f32_e32 v145, v146, v143
	s_delay_alu instid0(VALU_DEP_1) | instskip(NEXT) | instid1(VALU_DEP_1)
	v_fma_f32 v137, -v137, v145, v144
	v_div_fmas_f32 v137, v137, v143, v145
	s_delay_alu instid0(VALU_DEP_1) | instskip(NEXT) | instid1(VALU_DEP_1)
	v_div_fixup_f32 v136, v137, v136, 1.0
	v_mul_f32_e64 v137, v135, -v136
.LBB126_576:
	s_or_b32 exec_lo, exec_lo, s1
.LBB126_577:
	s_delay_alu instid0(SALU_CYCLE_1) | instskip(NEXT) | instid1(SALU_CYCLE_1)
	s_or_b32 exec_lo, exec_lo, s0
	s_mov_b32 s0, exec_lo
	v_cmpx_ne_u32_e64 v142, v134
	s_xor_b32 s0, exec_lo, s0
	s_cbranch_execz .LBB126_583
; %bb.578:
	s_mov_b32 s1, exec_lo
	v_cmpx_eq_u32_e32 27, v142
	s_cbranch_execz .LBB126_582
; %bb.579:
	v_cmp_ne_u32_e32 vcc_lo, 27, v134
	s_xor_b32 s12, s16, -1
	s_delay_alu instid0(SALU_CYCLE_1) | instskip(NEXT) | instid1(SALU_CYCLE_1)
	s_and_b32 s13, s12, vcc_lo
	s_and_saveexec_b32 s12, s13
	s_cbranch_execz .LBB126_581
; %bb.580:
	v_ashrrev_i32_e32 v135, 31, v134
	s_delay_alu instid0(VALU_DEP_1)
	v_lshl_add_u64 v[142:143], v[134:135], 2, v[4:5]
	s_clause 0x1
	global_load_b32 v135, v[142:143], off
	global_load_b32 v141, v[4:5], off offset:108
	s_wait_loadcnt 0x1
	global_store_b32 v[4:5], v135, off offset:108
	s_wait_loadcnt 0x0
	global_store_b32 v[142:143], v141, off
.LBB126_581:
	s_wait_xcnt 0x0
	s_or_b32 exec_lo, exec_lo, s12
	v_dual_mov_b32 v142, v134 :: v_dual_mov_b32 v141, v134
.LBB126_582:
	s_or_b32 exec_lo, exec_lo, s1
.LBB126_583:
	s_and_not1_saveexec_b32 s0, s0
	s_cbranch_execz .LBB126_585
; %bb.584:
	v_dual_mov_b32 v134, v86 :: v_dual_mov_b32 v135, v87
	v_dual_mov_b32 v142, v82 :: v_dual_mov_b32 v143, v83
	ds_store_2addr_b64 v138, v[134:135], v[142:143] offset0:28 offset1:29
	v_dual_mov_b32 v134, v84 :: v_dual_mov_b32 v135, v85
	v_dual_mov_b32 v142, v26 :: v_dual_mov_b32 v143, v27
	ds_store_2addr_b64 v138, v[134:135], v[142:143] offset0:30 offset1:31
	;; [unrolled: 3-line block ×17, first 2 shown]
	v_dual_mov_b32 v134, v10 :: v_dual_mov_b32 v135, v11
	v_mov_b32_e32 v142, 27
	ds_store_2addr_b64 v138, v[134:135], v[132:133] offset0:62 offset1:63
.LBB126_585:
	s_or_b32 exec_lo, exec_lo, s0
	s_delay_alu instid0(SALU_CYCLE_1)
	s_mov_b32 s0, exec_lo
	s_wait_storecnt_dscnt 0x0
	s_barrier_signal -1
	s_barrier_wait -1
	v_cmpx_lt_i32_e32 27, v142
	s_cbranch_execz .LBB126_587
; %bb.586:
	v_pk_mul_f32 v[144:145], v[136:137], v[34:35] op_sel:[1,1] op_sel_hi:[0,1]
	s_delay_alu instid0(VALU_DEP_1)
	v_pk_fma_f32 v[134:135], v[136:137], v[34:35], v[144:145] op_sel_hi:[1,0,1] neg_lo:[0,0,1] neg_hi:[0,0,1]
	v_pk_fma_f32 v[136:137], v[136:137], v[34:35], v[144:145] op_sel_hi:[1,0,1]
	ds_load_2addr_b64 v[144:147], v138 offset0:28 offset1:29
	v_dual_mov_b32 v34, v134 :: v_dual_mov_b32 v35, v137
	s_wait_dscnt 0x0
	v_pk_mul_f32 v[148:149], v[144:145], v[136:137] op_sel:[0,1]
	s_delay_alu instid0(VALU_DEP_1) | instskip(SKIP_1) | instid1(VALU_DEP_1)
	v_pk_fma_f32 v[150:151], v[144:145], v[134:135], v[148:149] op_sel:[0,0,1] op_sel_hi:[1,1,0] neg_lo:[0,0,1] neg_hi:[0,0,1]
	v_pk_fma_f32 v[144:145], v[144:145], v[134:135], v[148:149] op_sel:[0,0,1] op_sel_hi:[1,0,0]
	v_mov_b32_e32 v151, v145
	v_pk_mul_f32 v[144:145], v[146:147], v[136:137] op_sel:[0,1]
	s_delay_alu instid0(VALU_DEP_1) | instskip(SKIP_1) | instid1(VALU_DEP_1)
	v_pk_fma_f32 v[148:149], v[146:147], v[134:135], v[144:145] op_sel:[0,0,1] op_sel_hi:[1,1,0] neg_lo:[0,0,1] neg_hi:[0,0,1]
	v_pk_fma_f32 v[144:145], v[146:147], v[134:135], v[144:145] op_sel:[0,0,1] op_sel_hi:[1,0,0]
	v_mov_b32_e32 v149, v145
	ds_load_2addr_b64 v[144:147], v138 offset0:30 offset1:31
	v_pk_add_f32 v[86:87], v[86:87], v[150:151] neg_lo:[0,1] neg_hi:[0,1]
	v_pk_add_f32 v[82:83], v[82:83], v[148:149] neg_lo:[0,1] neg_hi:[0,1]
	s_wait_dscnt 0x0
	v_pk_mul_f32 v[148:149], v[144:145], v[136:137] op_sel:[0,1]
	s_delay_alu instid0(VALU_DEP_1) | instskip(SKIP_2) | instid1(VALU_DEP_2)
	v_pk_fma_f32 v[150:151], v[144:145], v[134:135], v[148:149] op_sel:[0,0,1] op_sel_hi:[1,1,0] neg_lo:[0,0,1] neg_hi:[0,0,1]
	v_pk_fma_f32 v[144:145], v[144:145], v[134:135], v[148:149] op_sel:[0,0,1] op_sel_hi:[1,0,0]
	v_dual_mul_f32 v148, v147, v137 :: v_dual_mov_b32 v144, v147
	v_dual_mov_b32 v151, v145 :: v_dual_mov_b32 v145, v146
	s_delay_alu instid0(VALU_DEP_2) | instskip(SKIP_1) | instid1(VALU_DEP_3)
	v_pk_fma_f32 v[148:149], v[146:147], v[34:35], v[148:149] op_sel_hi:[1,1,0] neg_lo:[0,0,1] neg_hi:[0,0,1]
	v_mul_f32_e32 v146, v147, v134
	v_pk_add_f32 v[84:85], v[84:85], v[150:151] neg_lo:[0,1] neg_hi:[0,1]
	s_delay_alu instid0(VALU_DEP_2) | instskip(NEXT) | instid1(VALU_DEP_1)
	v_pk_fma_f32 v[144:145], v[144:145], v[34:35], v[146:147] op_sel_hi:[1,1,0]
	v_mov_b32_e32 v149, v145
	ds_load_2addr_b64 v[144:147], v138 offset0:32 offset1:33
	v_pk_add_f32 v[26:27], v[26:27], v[148:149] neg_lo:[0,1] neg_hi:[0,1]
	s_wait_dscnt 0x0
	v_pk_mul_f32 v[148:149], v[144:145], v[136:137] op_sel:[0,1]
	s_delay_alu instid0(VALU_DEP_1) | instskip(SKIP_1) | instid1(VALU_DEP_1)
	v_pk_fma_f32 v[150:151], v[144:145], v[134:135], v[148:149] op_sel:[0,0,1] op_sel_hi:[1,1,0] neg_lo:[0,0,1] neg_hi:[0,0,1]
	v_pk_fma_f32 v[144:145], v[144:145], v[134:135], v[148:149] op_sel:[0,0,1] op_sel_hi:[1,0,0]
	v_mov_b32_e32 v151, v145
	v_pk_mul_f32 v[144:145], v[146:147], v[136:137] op_sel:[0,1]
	s_delay_alu instid0(VALU_DEP_1) | instskip(SKIP_1) | instid1(VALU_DEP_1)
	v_pk_fma_f32 v[148:149], v[146:147], v[134:135], v[144:145] op_sel:[0,0,1] op_sel_hi:[1,1,0] neg_lo:[0,0,1] neg_hi:[0,0,1]
	v_pk_fma_f32 v[144:145], v[146:147], v[134:135], v[144:145] op_sel:[0,0,1] op_sel_hi:[1,0,0]
	v_mov_b32_e32 v149, v145
	ds_load_2addr_b64 v[144:147], v138 offset0:34 offset1:35
	v_pk_add_f32 v[80:81], v[80:81], v[150:151] neg_lo:[0,1] neg_hi:[0,1]
	v_pk_add_f32 v[76:77], v[76:77], v[148:149] neg_lo:[0,1] neg_hi:[0,1]
	s_wait_dscnt 0x0
	v_pk_mul_f32 v[148:149], v[144:145], v[136:137] op_sel:[0,1]
	s_delay_alu instid0(VALU_DEP_1) | instskip(SKIP_1) | instid1(VALU_DEP_1)
	v_pk_fma_f32 v[150:151], v[144:145], v[134:135], v[148:149] op_sel:[0,0,1] op_sel_hi:[1,1,0] neg_lo:[0,0,1] neg_hi:[0,0,1]
	v_pk_fma_f32 v[144:145], v[144:145], v[134:135], v[148:149] op_sel:[0,0,1] op_sel_hi:[1,0,0]
	v_mov_b32_e32 v151, v145
	v_pk_mul_f32 v[144:145], v[146:147], v[136:137] op_sel:[0,1]
	s_delay_alu instid0(VALU_DEP_1) | instskip(SKIP_1) | instid1(VALU_DEP_1)
	v_pk_fma_f32 v[148:149], v[146:147], v[134:135], v[144:145] op_sel:[0,0,1] op_sel_hi:[1,1,0] neg_lo:[0,0,1] neg_hi:[0,0,1]
	v_pk_fma_f32 v[144:145], v[146:147], v[134:135], v[144:145] op_sel:[0,0,1] op_sel_hi:[1,0,0]
	v_mov_b32_e32 v149, v145
	ds_load_2addr_b64 v[144:147], v138 offset0:36 offset1:37
	v_pk_add_f32 v[78:79], v[78:79], v[150:151] neg_lo:[0,1] neg_hi:[0,1]
	v_pk_add_f32 v[24:25], v[24:25], v[148:149] neg_lo:[0,1] neg_hi:[0,1]
	s_wait_dscnt 0x0
	v_dual_mul_f32 v148, v145, v137 :: v_dual_mul_f32 v150, v145, v134
	s_delay_alu instid0(VALU_DEP_1) | instskip(NEXT) | instid1(VALU_DEP_2)
	v_pk_fma_f32 v[148:149], v[144:145], v[34:35], v[148:149] op_sel_hi:[1,1,0] neg_lo:[0,0,1] neg_hi:[0,0,1]
	v_pk_fma_f32 v[144:145], v[144:145], v[34:35], v[150:151] op_sel:[1,0,0] op_sel_hi:[0,1,0]
	s_delay_alu instid0(VALU_DEP_1) | instskip(SKIP_1) | instid1(VALU_DEP_2)
	v_mov_b32_e32 v149, v145
	v_pk_mul_f32 v[144:145], v[146:147], v[136:137] op_sel:[0,1]
	v_pk_add_f32 v[74:75], v[74:75], v[148:149] neg_lo:[0,1] neg_hi:[0,1]
	s_delay_alu instid0(VALU_DEP_2) | instskip(SKIP_1) | instid1(VALU_DEP_1)
	v_pk_fma_f32 v[148:149], v[146:147], v[134:135], v[144:145] op_sel:[0,0,1] op_sel_hi:[1,1,0] neg_lo:[0,0,1] neg_hi:[0,0,1]
	v_pk_fma_f32 v[144:145], v[146:147], v[134:135], v[144:145] op_sel:[0,0,1] op_sel_hi:[1,0,0]
	v_mov_b32_e32 v149, v145
	ds_load_2addr_b64 v[144:147], v138 offset0:38 offset1:39
	v_pk_add_f32 v[70:71], v[70:71], v[148:149] neg_lo:[0,1] neg_hi:[0,1]
	s_wait_dscnt 0x0
	v_pk_mul_f32 v[148:149], v[144:145], v[136:137] op_sel:[0,1]
	s_delay_alu instid0(VALU_DEP_1) | instskip(SKIP_1) | instid1(VALU_DEP_1)
	v_pk_fma_f32 v[150:151], v[144:145], v[134:135], v[148:149] op_sel:[0,0,1] op_sel_hi:[1,1,0] neg_lo:[0,0,1] neg_hi:[0,0,1]
	v_pk_fma_f32 v[144:145], v[144:145], v[134:135], v[148:149] op_sel:[0,0,1] op_sel_hi:[1,0,0]
	v_mov_b32_e32 v151, v145
	v_pk_mul_f32 v[144:145], v[146:147], v[136:137] op_sel:[0,1]
	s_delay_alu instid0(VALU_DEP_2) | instskip(NEXT) | instid1(VALU_DEP_2)
	v_pk_add_f32 v[72:73], v[72:73], v[150:151] neg_lo:[0,1] neg_hi:[0,1]
	v_pk_fma_f32 v[148:149], v[146:147], v[134:135], v[144:145] op_sel:[0,0,1] op_sel_hi:[1,1,0] neg_lo:[0,0,1] neg_hi:[0,0,1]
	v_pk_fma_f32 v[144:145], v[146:147], v[134:135], v[144:145] op_sel:[0,0,1] op_sel_hi:[1,0,0]
	s_delay_alu instid0(VALU_DEP_1) | instskip(SKIP_4) | instid1(VALU_DEP_1)
	v_mov_b32_e32 v149, v145
	ds_load_2addr_b64 v[144:147], v138 offset0:40 offset1:41
	v_pk_add_f32 v[22:23], v[22:23], v[148:149] neg_lo:[0,1] neg_hi:[0,1]
	s_wait_dscnt 0x0
	v_pk_mul_f32 v[148:149], v[144:145], v[136:137] op_sel:[0,1]
	v_pk_fma_f32 v[150:151], v[144:145], v[134:135], v[148:149] op_sel:[0,0,1] op_sel_hi:[1,1,0] neg_lo:[0,0,1] neg_hi:[0,0,1]
	v_pk_fma_f32 v[144:145], v[144:145], v[134:135], v[148:149] op_sel:[0,0,1] op_sel_hi:[1,0,0]
	v_dual_mul_f32 v148, v147, v137 :: v_dual_mov_b32 v144, v147
	s_delay_alu instid0(VALU_DEP_2) | instskip(NEXT) | instid1(VALU_DEP_2)
	v_dual_mov_b32 v151, v145 :: v_dual_mov_b32 v145, v146
	v_pk_fma_f32 v[148:149], v[146:147], v[34:35], v[148:149] op_sel_hi:[1,1,0] neg_lo:[0,0,1] neg_hi:[0,0,1]
	v_mul_f32_e32 v146, v147, v134
	s_delay_alu instid0(VALU_DEP_3) | instskip(NEXT) | instid1(VALU_DEP_2)
	v_pk_add_f32 v[68:69], v[68:69], v[150:151] neg_lo:[0,1] neg_hi:[0,1]
	v_pk_fma_f32 v[144:145], v[144:145], v[34:35], v[146:147] op_sel_hi:[1,1,0]
	s_delay_alu instid0(VALU_DEP_1) | instskip(SKIP_4) | instid1(VALU_DEP_1)
	v_mov_b32_e32 v149, v145
	ds_load_2addr_b64 v[144:147], v138 offset0:42 offset1:43
	v_pk_add_f32 v[64:65], v[64:65], v[148:149] neg_lo:[0,1] neg_hi:[0,1]
	s_wait_dscnt 0x0
	v_pk_mul_f32 v[148:149], v[144:145], v[136:137] op_sel:[0,1]
	v_pk_fma_f32 v[150:151], v[144:145], v[134:135], v[148:149] op_sel:[0,0,1] op_sel_hi:[1,1,0] neg_lo:[0,0,1] neg_hi:[0,0,1]
	v_pk_fma_f32 v[144:145], v[144:145], v[134:135], v[148:149] op_sel:[0,0,1] op_sel_hi:[1,0,0]
	s_delay_alu instid0(VALU_DEP_1) | instskip(SKIP_1) | instid1(VALU_DEP_1)
	v_mov_b32_e32 v151, v145
	v_pk_mul_f32 v[144:145], v[146:147], v[136:137] op_sel:[0,1]
	v_pk_fma_f32 v[148:149], v[146:147], v[134:135], v[144:145] op_sel:[0,0,1] op_sel_hi:[1,1,0] neg_lo:[0,0,1] neg_hi:[0,0,1]
	v_pk_fma_f32 v[144:145], v[146:147], v[134:135], v[144:145] op_sel:[0,0,1] op_sel_hi:[1,0,0]
	s_delay_alu instid0(VALU_DEP_1)
	v_mov_b32_e32 v149, v145
	ds_load_2addr_b64 v[144:147], v138 offset0:44 offset1:45
	v_pk_add_f32 v[66:67], v[66:67], v[150:151] neg_lo:[0,1] neg_hi:[0,1]
	v_pk_add_f32 v[18:19], v[18:19], v[148:149] neg_lo:[0,1] neg_hi:[0,1]
	s_wait_dscnt 0x0
	v_pk_mul_f32 v[148:149], v[144:145], v[136:137] op_sel:[0,1]
	s_delay_alu instid0(VALU_DEP_1) | instskip(SKIP_1) | instid1(VALU_DEP_1)
	v_pk_fma_f32 v[150:151], v[144:145], v[134:135], v[148:149] op_sel:[0,0,1] op_sel_hi:[1,1,0] neg_lo:[0,0,1] neg_hi:[0,0,1]
	v_pk_fma_f32 v[144:145], v[144:145], v[134:135], v[148:149] op_sel:[0,0,1] op_sel_hi:[1,0,0]
	v_mov_b32_e32 v151, v145
	v_pk_mul_f32 v[144:145], v[146:147], v[136:137] op_sel:[0,1]
	s_delay_alu instid0(VALU_DEP_1) | instskip(SKIP_1) | instid1(VALU_DEP_1)
	v_pk_fma_f32 v[148:149], v[146:147], v[134:135], v[144:145] op_sel:[0,0,1] op_sel_hi:[1,1,0] neg_lo:[0,0,1] neg_hi:[0,0,1]
	v_pk_fma_f32 v[144:145], v[146:147], v[134:135], v[144:145] op_sel:[0,0,1] op_sel_hi:[1,0,0]
	v_mov_b32_e32 v149, v145
	ds_load_2addr_b64 v[144:147], v138 offset0:46 offset1:47
	v_pk_add_f32 v[60:61], v[60:61], v[150:151] neg_lo:[0,1] neg_hi:[0,1]
	v_pk_add_f32 v[56:57], v[56:57], v[148:149] neg_lo:[0,1] neg_hi:[0,1]
	s_wait_dscnt 0x0
	v_dual_mul_f32 v148, v145, v137 :: v_dual_mul_f32 v150, v145, v134
	s_delay_alu instid0(VALU_DEP_1) | instskip(NEXT) | instid1(VALU_DEP_2)
	v_pk_fma_f32 v[148:149], v[144:145], v[34:35], v[148:149] op_sel_hi:[1,1,0] neg_lo:[0,0,1] neg_hi:[0,0,1]
	v_pk_fma_f32 v[144:145], v[144:145], v[34:35], v[150:151] op_sel:[1,0,0] op_sel_hi:[0,1,0]
	s_delay_alu instid0(VALU_DEP_1) | instskip(SKIP_1) | instid1(VALU_DEP_2)
	v_mov_b32_e32 v149, v145
	v_pk_mul_f32 v[144:145], v[146:147], v[136:137] op_sel:[0,1]
	v_pk_add_f32 v[58:59], v[58:59], v[148:149] neg_lo:[0,1] neg_hi:[0,1]
	s_delay_alu instid0(VALU_DEP_2) | instskip(SKIP_1) | instid1(VALU_DEP_1)
	v_pk_fma_f32 v[148:149], v[146:147], v[134:135], v[144:145] op_sel:[0,0,1] op_sel_hi:[1,1,0] neg_lo:[0,0,1] neg_hi:[0,0,1]
	v_pk_fma_f32 v[144:145], v[146:147], v[134:135], v[144:145] op_sel:[0,0,1] op_sel_hi:[1,0,0]
	v_mov_b32_e32 v149, v145
	ds_load_2addr_b64 v[144:147], v138 offset0:48 offset1:49
	v_pk_add_f32 v[12:13], v[12:13], v[148:149] neg_lo:[0,1] neg_hi:[0,1]
	s_wait_dscnt 0x0
	v_pk_mul_f32 v[148:149], v[144:145], v[136:137] op_sel:[0,1]
	s_delay_alu instid0(VALU_DEP_1) | instskip(SKIP_1) | instid1(VALU_DEP_1)
	v_pk_fma_f32 v[150:151], v[144:145], v[134:135], v[148:149] op_sel:[0,0,1] op_sel_hi:[1,1,0] neg_lo:[0,0,1] neg_hi:[0,0,1]
	v_pk_fma_f32 v[144:145], v[144:145], v[134:135], v[148:149] op_sel:[0,0,1] op_sel_hi:[1,0,0]
	v_mov_b32_e32 v151, v145
	v_pk_mul_f32 v[144:145], v[146:147], v[136:137] op_sel:[0,1]
	s_delay_alu instid0(VALU_DEP_2) | instskip(NEXT) | instid1(VALU_DEP_2)
	v_pk_add_f32 v[54:55], v[54:55], v[150:151] neg_lo:[0,1] neg_hi:[0,1]
	v_pk_fma_f32 v[148:149], v[146:147], v[134:135], v[144:145] op_sel:[0,0,1] op_sel_hi:[1,1,0] neg_lo:[0,0,1] neg_hi:[0,0,1]
	v_pk_fma_f32 v[144:145], v[146:147], v[134:135], v[144:145] op_sel:[0,0,1] op_sel_hi:[1,0,0]
	s_delay_alu instid0(VALU_DEP_1) | instskip(SKIP_4) | instid1(VALU_DEP_1)
	v_mov_b32_e32 v149, v145
	ds_load_2addr_b64 v[144:147], v138 offset0:50 offset1:51
	v_pk_add_f32 v[52:53], v[52:53], v[148:149] neg_lo:[0,1] neg_hi:[0,1]
	s_wait_dscnt 0x0
	v_pk_mul_f32 v[148:149], v[144:145], v[136:137] op_sel:[0,1]
	v_pk_fma_f32 v[150:151], v[144:145], v[134:135], v[148:149] op_sel:[0,0,1] op_sel_hi:[1,1,0] neg_lo:[0,0,1] neg_hi:[0,0,1]
	v_pk_fma_f32 v[144:145], v[144:145], v[134:135], v[148:149] op_sel:[0,0,1] op_sel_hi:[1,0,0]
	v_dual_mul_f32 v148, v147, v137 :: v_dual_mov_b32 v144, v147
	s_delay_alu instid0(VALU_DEP_2) | instskip(NEXT) | instid1(VALU_DEP_2)
	v_dual_mov_b32 v151, v145 :: v_dual_mov_b32 v145, v146
	v_pk_fma_f32 v[148:149], v[146:147], v[34:35], v[148:149] op_sel_hi:[1,1,0] neg_lo:[0,0,1] neg_hi:[0,0,1]
	v_mul_f32_e32 v146, v147, v134
	s_delay_alu instid0(VALU_DEP_3) | instskip(NEXT) | instid1(VALU_DEP_2)
	v_pk_add_f32 v[62:63], v[62:63], v[150:151] neg_lo:[0,1] neg_hi:[0,1]
	v_pk_fma_f32 v[144:145], v[144:145], v[34:35], v[146:147] op_sel_hi:[1,1,0]
	s_delay_alu instid0(VALU_DEP_1) | instskip(SKIP_4) | instid1(VALU_DEP_1)
	v_mov_b32_e32 v149, v145
	ds_load_2addr_b64 v[144:147], v138 offset0:52 offset1:53
	v_pk_add_f32 v[16:17], v[16:17], v[148:149] neg_lo:[0,1] neg_hi:[0,1]
	s_wait_dscnt 0x0
	v_pk_mul_f32 v[148:149], v[144:145], v[136:137] op_sel:[0,1]
	v_pk_fma_f32 v[150:151], v[144:145], v[134:135], v[148:149] op_sel:[0,0,1] op_sel_hi:[1,1,0] neg_lo:[0,0,1] neg_hi:[0,0,1]
	v_pk_fma_f32 v[144:145], v[144:145], v[134:135], v[148:149] op_sel:[0,0,1] op_sel_hi:[1,0,0]
	s_delay_alu instid0(VALU_DEP_1) | instskip(SKIP_1) | instid1(VALU_DEP_1)
	v_mov_b32_e32 v151, v145
	v_pk_mul_f32 v[144:145], v[146:147], v[136:137] op_sel:[0,1]
	v_pk_fma_f32 v[148:149], v[146:147], v[134:135], v[144:145] op_sel:[0,0,1] op_sel_hi:[1,1,0] neg_lo:[0,0,1] neg_hi:[0,0,1]
	v_pk_fma_f32 v[144:145], v[146:147], v[134:135], v[144:145] op_sel:[0,0,1] op_sel_hi:[1,0,0]
	s_delay_alu instid0(VALU_DEP_1)
	v_mov_b32_e32 v149, v145
	ds_load_2addr_b64 v[144:147], v138 offset0:54 offset1:55
	v_pk_add_f32 v[48:49], v[48:49], v[150:151] neg_lo:[0,1] neg_hi:[0,1]
	v_pk_add_f32 v[42:43], v[42:43], v[148:149] neg_lo:[0,1] neg_hi:[0,1]
	s_wait_dscnt 0x0
	v_pk_mul_f32 v[148:149], v[144:145], v[136:137] op_sel:[0,1]
	s_delay_alu instid0(VALU_DEP_1) | instskip(SKIP_1) | instid1(VALU_DEP_1)
	v_pk_fma_f32 v[150:151], v[144:145], v[134:135], v[148:149] op_sel:[0,0,1] op_sel_hi:[1,1,0] neg_lo:[0,0,1] neg_hi:[0,0,1]
	v_pk_fma_f32 v[144:145], v[144:145], v[134:135], v[148:149] op_sel:[0,0,1] op_sel_hi:[1,0,0]
	v_mov_b32_e32 v151, v145
	v_pk_mul_f32 v[144:145], v[146:147], v[136:137] op_sel:[0,1]
	s_delay_alu instid0(VALU_DEP_1) | instskip(SKIP_1) | instid1(VALU_DEP_1)
	v_pk_fma_f32 v[148:149], v[146:147], v[134:135], v[144:145] op_sel:[0,0,1] op_sel_hi:[1,1,0] neg_lo:[0,0,1] neg_hi:[0,0,1]
	v_pk_fma_f32 v[144:145], v[146:147], v[134:135], v[144:145] op_sel:[0,0,1] op_sel_hi:[1,0,0]
	v_mov_b32_e32 v149, v145
	ds_load_2addr_b64 v[144:147], v138 offset0:56 offset1:57
	v_pk_add_f32 v[46:47], v[46:47], v[150:151] neg_lo:[0,1] neg_hi:[0,1]
	v_pk_add_f32 v[8:9], v[8:9], v[148:149] neg_lo:[0,1] neg_hi:[0,1]
	s_wait_dscnt 0x0
	v_dual_mul_f32 v148, v145, v137 :: v_dual_mul_f32 v150, v145, v134
	s_delay_alu instid0(VALU_DEP_1) | instskip(NEXT) | instid1(VALU_DEP_2)
	v_pk_fma_f32 v[148:149], v[144:145], v[34:35], v[148:149] op_sel_hi:[1,1,0] neg_lo:[0,0,1] neg_hi:[0,0,1]
	v_pk_fma_f32 v[144:145], v[144:145], v[34:35], v[150:151] op_sel:[1,0,0] op_sel_hi:[0,1,0]
	s_delay_alu instid0(VALU_DEP_1) | instskip(SKIP_1) | instid1(VALU_DEP_2)
	v_mov_b32_e32 v149, v145
	v_pk_mul_f32 v[144:145], v[146:147], v[136:137] op_sel:[0,1]
	v_pk_add_f32 v[32:33], v[32:33], v[148:149] neg_lo:[0,1] neg_hi:[0,1]
	s_delay_alu instid0(VALU_DEP_2) | instskip(SKIP_1) | instid1(VALU_DEP_1)
	v_pk_fma_f32 v[148:149], v[146:147], v[134:135], v[144:145] op_sel:[0,0,1] op_sel_hi:[1,1,0] neg_lo:[0,0,1] neg_hi:[0,0,1]
	v_pk_fma_f32 v[144:145], v[146:147], v[134:135], v[144:145] op_sel:[0,0,1] op_sel_hi:[1,0,0]
	v_mov_b32_e32 v149, v145
	ds_load_2addr_b64 v[144:147], v138 offset0:58 offset1:59
	v_pk_add_f32 v[28:29], v[28:29], v[148:149] neg_lo:[0,1] neg_hi:[0,1]
	s_wait_dscnt 0x0
	v_pk_mul_f32 v[148:149], v[144:145], v[136:137] op_sel:[0,1]
	s_delay_alu instid0(VALU_DEP_1) | instskip(SKIP_1) | instid1(VALU_DEP_1)
	v_pk_fma_f32 v[150:151], v[144:145], v[134:135], v[148:149] op_sel:[0,0,1] op_sel_hi:[1,1,0] neg_lo:[0,0,1] neg_hi:[0,0,1]
	v_pk_fma_f32 v[144:145], v[144:145], v[134:135], v[148:149] op_sel:[0,0,1] op_sel_hi:[1,0,0]
	v_mov_b32_e32 v151, v145
	v_pk_mul_f32 v[144:145], v[146:147], v[136:137] op_sel:[0,1]
	s_delay_alu instid0(VALU_DEP_2) | instskip(NEXT) | instid1(VALU_DEP_2)
	v_pk_add_f32 v[30:31], v[30:31], v[150:151] neg_lo:[0,1] neg_hi:[0,1]
	v_pk_fma_f32 v[148:149], v[146:147], v[134:135], v[144:145] op_sel:[0,0,1] op_sel_hi:[1,1,0] neg_lo:[0,0,1] neg_hi:[0,0,1]
	v_pk_fma_f32 v[144:145], v[146:147], v[134:135], v[144:145] op_sel:[0,0,1] op_sel_hi:[1,0,0]
	s_delay_alu instid0(VALU_DEP_1) | instskip(SKIP_4) | instid1(VALU_DEP_1)
	v_mov_b32_e32 v149, v145
	ds_load_2addr_b64 v[144:147], v138 offset0:60 offset1:61
	v_pk_add_f32 v[6:7], v[6:7], v[148:149] neg_lo:[0,1] neg_hi:[0,1]
	s_wait_dscnt 0x0
	v_pk_mul_f32 v[148:149], v[144:145], v[136:137] op_sel:[0,1]
	v_pk_fma_f32 v[150:151], v[144:145], v[134:135], v[148:149] op_sel:[0,0,1] op_sel_hi:[1,1,0] neg_lo:[0,0,1] neg_hi:[0,0,1]
	v_pk_fma_f32 v[144:145], v[144:145], v[134:135], v[148:149] op_sel:[0,0,1] op_sel_hi:[1,0,0]
	v_dual_mul_f32 v148, v147, v137 :: v_dual_mov_b32 v144, v147
	s_delay_alu instid0(VALU_DEP_2) | instskip(NEXT) | instid1(VALU_DEP_2)
	v_dual_mov_b32 v151, v145 :: v_dual_mov_b32 v145, v146
	v_pk_fma_f32 v[148:149], v[146:147], v[34:35], v[148:149] op_sel_hi:[1,1,0] neg_lo:[0,0,1] neg_hi:[0,0,1]
	v_mul_f32_e32 v146, v147, v134
	s_delay_alu instid0(VALU_DEP_3) | instskip(NEXT) | instid1(VALU_DEP_2)
	v_pk_add_f32 v[20:21], v[20:21], v[150:151] neg_lo:[0,1] neg_hi:[0,1]
	v_pk_fma_f32 v[144:145], v[144:145], v[34:35], v[146:147] op_sel_hi:[1,1,0]
	s_delay_alu instid0(VALU_DEP_1)
	v_mov_b32_e32 v149, v145
	ds_load_2addr_b64 v[144:147], v138 offset0:62 offset1:63
	v_pk_add_f32 v[14:15], v[14:15], v[148:149] neg_lo:[0,1] neg_hi:[0,1]
	s_wait_dscnt 0x0
	v_pk_mul_f32 v[148:149], v[144:145], v[136:137] op_sel:[0,1]
	v_mul_f32_e32 v136, v147, v137
	s_delay_alu instid0(VALU_DEP_2) | instskip(SKIP_2) | instid1(VALU_DEP_4)
	v_pk_fma_f32 v[150:151], v[144:145], v[134:135], v[148:149] op_sel:[0,0,1] op_sel_hi:[1,1,0] neg_lo:[0,0,1] neg_hi:[0,0,1]
	v_pk_fma_f32 v[144:145], v[144:145], v[134:135], v[148:149] op_sel:[0,0,1] op_sel_hi:[1,0,0]
	v_dual_mov_b32 v144, v147 :: v_dual_mul_f32 v134, v147, v134
	v_pk_fma_f32 v[136:137], v[146:147], v[34:35], v[136:137] op_sel_hi:[1,1,0] neg_lo:[0,0,1] neg_hi:[0,0,1]
	s_delay_alu instid0(VALU_DEP_3) | instskip(NEXT) | instid1(VALU_DEP_1)
	v_dual_mov_b32 v151, v145 :: v_dual_mov_b32 v145, v146
	v_pk_add_f32 v[10:11], v[10:11], v[150:151] neg_lo:[0,1] neg_hi:[0,1]
	s_delay_alu instid0(VALU_DEP_2) | instskip(NEXT) | instid1(VALU_DEP_1)
	v_pk_fma_f32 v[134:135], v[144:145], v[34:35], v[134:135] op_sel_hi:[1,1,0]
	v_mov_b32_e32 v137, v135
	s_delay_alu instid0(VALU_DEP_1)
	v_pk_add_f32 v[132:133], v[132:133], v[136:137] neg_lo:[0,1] neg_hi:[0,1]
.LBB126_587:
	s_or_b32 exec_lo, exec_lo, s0
	v_lshl_add_u32 v134, v142, 3, v138
	s_barrier_signal -1
	s_barrier_wait -1
	ds_store_b64 v134, v[86:87]
	s_wait_dscnt 0x0
	s_barrier_signal -1
	s_barrier_wait -1
	ds_load_b64 v[136:137], v138 offset:224
	v_mov_b32_e32 v134, 28
	s_cmp_lt_i32 s18, 30
	s_cbranch_scc1 .LBB126_590
; %bb.588:
	v_add3_u32 v135, v139, 0, 0xe8
	v_mov_b32_e32 v134, 28
	s_mov_b32 s0, 29
.LBB126_589:                            ; =>This Inner Loop Header: Depth=1
	ds_load_b64 v[144:145], v135
	s_wait_dscnt 0x1
	v_cmp_gt_f32_e32 vcc_lo, 0, v136
	v_cndmask_b32_e64 v146, v136, -v136, vcc_lo
	v_cmp_gt_f32_e32 vcc_lo, 0, v137
	v_cndmask_b32_e64 v148, v137, -v137, vcc_lo
	s_wait_dscnt 0x0
	v_cmp_gt_f32_e32 vcc_lo, 0, v144
	v_cndmask_b32_e64 v147, v144, -v144, vcc_lo
	v_cmp_gt_f32_e32 vcc_lo, 0, v145
	v_cndmask_b32_e64 v149, v145, -v145, vcc_lo
	s_delay_alu instid0(VALU_DEP_1) | instskip(NEXT) | instid1(VALU_DEP_1)
	v_pk_add_f32 v[146:147], v[146:147], v[148:149]
	v_cmp_lt_f32_e32 vcc_lo, v146, v147
	v_dual_add_nc_u32 v135, 8, v135 :: v_dual_cndmask_b32 v137, v137, v145, vcc_lo
	v_cndmask_b32_e32 v136, v136, v144, vcc_lo
	v_cndmask_b32_e64 v134, v134, s0, vcc_lo
	s_add_co_i32 s0, s0, 1
	s_delay_alu instid0(SALU_CYCLE_1)
	s_cmp_lg_u32 s18, s0
	s_cbranch_scc1 .LBB126_589
.LBB126_590:
	s_wait_dscnt 0x0
	v_cmp_eq_f32_e32 vcc_lo, 0, v136
	v_cmp_eq_f32_e64 s0, 0, v137
	s_and_b32 s0, vcc_lo, s0
	s_delay_alu instid0(SALU_CYCLE_1) | instskip(NEXT) | instid1(SALU_CYCLE_1)
	s_and_saveexec_b32 s1, s0
	s_xor_b32 s0, exec_lo, s1
; %bb.591:
	v_cmp_ne_u32_e32 vcc_lo, 0, v140
	v_cndmask_b32_e32 v140, 29, v140, vcc_lo
; %bb.592:
	s_and_not1_saveexec_b32 s0, s0
	s_cbranch_execz .LBB126_598
; %bb.593:
	v_cmp_ngt_f32_e64 s1, |v136|, |v137|
	s_and_saveexec_b32 s12, s1
	s_delay_alu instid0(SALU_CYCLE_1)
	s_xor_b32 s1, exec_lo, s12
	s_cbranch_execz .LBB126_595
; %bb.594:
	v_div_scale_f32 v135, null, v137, v137, v136
	v_div_scale_f32 v145, vcc_lo, v136, v137, v136
	s_delay_alu instid0(VALU_DEP_2) | instskip(SKIP_1) | instid1(TRANS32_DEP_1)
	v_rcp_f32_e32 v143, v135
	v_nop
	v_fma_f32 v144, -v135, v143, 1.0
	s_delay_alu instid0(VALU_DEP_1) | instskip(NEXT) | instid1(VALU_DEP_1)
	v_fmac_f32_e32 v143, v144, v143
	v_mul_f32_e32 v144, v145, v143
	s_delay_alu instid0(VALU_DEP_1) | instskip(NEXT) | instid1(VALU_DEP_1)
	v_fma_f32 v146, -v135, v144, v145
	v_fmac_f32_e32 v144, v146, v143
	s_delay_alu instid0(VALU_DEP_1) | instskip(NEXT) | instid1(VALU_DEP_1)
	v_fma_f32 v135, -v135, v144, v145
	v_div_fmas_f32 v135, v135, v143, v144
	s_delay_alu instid0(VALU_DEP_1) | instskip(NEXT) | instid1(VALU_DEP_1)
	v_div_fixup_f32 v135, v135, v137, v136
	v_fmac_f32_e32 v137, v136, v135
	s_delay_alu instid0(VALU_DEP_1) | instskip(SKIP_1) | instid1(VALU_DEP_2)
	v_div_scale_f32 v136, null, v137, v137, 1.0
	v_div_scale_f32 v145, vcc_lo, 1.0, v137, 1.0
	v_rcp_f32_e32 v143, v136
	v_nop
	s_delay_alu instid0(TRANS32_DEP_1) | instskip(NEXT) | instid1(VALU_DEP_1)
	v_fma_f32 v144, -v136, v143, 1.0
	v_fmac_f32_e32 v143, v144, v143
	s_delay_alu instid0(VALU_DEP_1) | instskip(NEXT) | instid1(VALU_DEP_1)
	v_mul_f32_e32 v144, v145, v143
	v_fma_f32 v146, -v136, v144, v145
	s_delay_alu instid0(VALU_DEP_1) | instskip(NEXT) | instid1(VALU_DEP_1)
	v_fmac_f32_e32 v144, v146, v143
	v_fma_f32 v136, -v136, v144, v145
	s_delay_alu instid0(VALU_DEP_1) | instskip(NEXT) | instid1(VALU_DEP_1)
	v_div_fmas_f32 v136, v136, v143, v144
	v_div_fixup_f32 v137, v136, v137, 1.0
	s_delay_alu instid0(VALU_DEP_1)
	v_mul_f32_e32 v136, v135, v137
	v_xor_b32_e32 v137, 0x80000000, v137
.LBB126_595:
	s_and_not1_saveexec_b32 s1, s1
	s_cbranch_execz .LBB126_597
; %bb.596:
	s_delay_alu instid0(VALU_DEP_1) | instskip(SKIP_1) | instid1(VALU_DEP_2)
	v_div_scale_f32 v135, null, v136, v136, v137
	v_div_scale_f32 v145, vcc_lo, v137, v136, v137
	v_rcp_f32_e32 v143, v135
	v_nop
	s_delay_alu instid0(TRANS32_DEP_1) | instskip(NEXT) | instid1(VALU_DEP_1)
	v_fma_f32 v144, -v135, v143, 1.0
	v_fmac_f32_e32 v143, v144, v143
	s_delay_alu instid0(VALU_DEP_1) | instskip(NEXT) | instid1(VALU_DEP_1)
	v_mul_f32_e32 v144, v145, v143
	v_fma_f32 v146, -v135, v144, v145
	s_delay_alu instid0(VALU_DEP_1) | instskip(NEXT) | instid1(VALU_DEP_1)
	v_fmac_f32_e32 v144, v146, v143
	v_fma_f32 v135, -v135, v144, v145
	s_delay_alu instid0(VALU_DEP_1) | instskip(NEXT) | instid1(VALU_DEP_1)
	v_div_fmas_f32 v135, v135, v143, v144
	v_div_fixup_f32 v135, v135, v136, v137
	s_delay_alu instid0(VALU_DEP_1) | instskip(NEXT) | instid1(VALU_DEP_1)
	v_fmac_f32_e32 v136, v137, v135
	v_div_scale_f32 v137, null, v136, v136, 1.0
	s_delay_alu instid0(VALU_DEP_1) | instskip(SKIP_1) | instid1(TRANS32_DEP_1)
	v_rcp_f32_e32 v143, v137
	v_nop
	v_fma_f32 v144, -v137, v143, 1.0
	s_delay_alu instid0(VALU_DEP_1) | instskip(SKIP_1) | instid1(VALU_DEP_1)
	v_fmac_f32_e32 v143, v144, v143
	v_div_scale_f32 v144, vcc_lo, 1.0, v136, 1.0
	v_mul_f32_e32 v145, v144, v143
	s_delay_alu instid0(VALU_DEP_1) | instskip(NEXT) | instid1(VALU_DEP_1)
	v_fma_f32 v146, -v137, v145, v144
	v_fmac_f32_e32 v145, v146, v143
	s_delay_alu instid0(VALU_DEP_1) | instskip(NEXT) | instid1(VALU_DEP_1)
	v_fma_f32 v137, -v137, v145, v144
	v_div_fmas_f32 v137, v137, v143, v145
	s_delay_alu instid0(VALU_DEP_1) | instskip(NEXT) | instid1(VALU_DEP_1)
	v_div_fixup_f32 v136, v137, v136, 1.0
	v_mul_f32_e64 v137, v135, -v136
.LBB126_597:
	s_or_b32 exec_lo, exec_lo, s1
.LBB126_598:
	s_delay_alu instid0(SALU_CYCLE_1) | instskip(NEXT) | instid1(SALU_CYCLE_1)
	s_or_b32 exec_lo, exec_lo, s0
	s_mov_b32 s0, exec_lo
	v_cmpx_ne_u32_e64 v142, v134
	s_xor_b32 s0, exec_lo, s0
	s_cbranch_execz .LBB126_604
; %bb.599:
	s_mov_b32 s1, exec_lo
	v_cmpx_eq_u32_e32 28, v142
	s_cbranch_execz .LBB126_603
; %bb.600:
	v_cmp_ne_u32_e32 vcc_lo, 28, v134
	s_xor_b32 s12, s16, -1
	s_delay_alu instid0(SALU_CYCLE_1) | instskip(NEXT) | instid1(SALU_CYCLE_1)
	s_and_b32 s13, s12, vcc_lo
	s_and_saveexec_b32 s12, s13
	s_cbranch_execz .LBB126_602
; %bb.601:
	v_ashrrev_i32_e32 v135, 31, v134
	s_delay_alu instid0(VALU_DEP_1)
	v_lshl_add_u64 v[142:143], v[134:135], 2, v[4:5]
	s_clause 0x1
	global_load_b32 v135, v[142:143], off
	global_load_b32 v141, v[4:5], off offset:112
	s_wait_loadcnt 0x1
	global_store_b32 v[4:5], v135, off offset:112
	s_wait_loadcnt 0x0
	global_store_b32 v[142:143], v141, off
.LBB126_602:
	s_wait_xcnt 0x0
	s_or_b32 exec_lo, exec_lo, s12
	v_dual_mov_b32 v142, v134 :: v_dual_mov_b32 v141, v134
.LBB126_603:
	s_or_b32 exec_lo, exec_lo, s1
.LBB126_604:
	s_and_not1_saveexec_b32 s0, s0
	s_cbranch_execz .LBB126_606
; %bb.605:
	v_mov_b32_e32 v142, 28
	ds_store_2addr_b64 v138, v[82:83], v[84:85] offset0:29 offset1:30
	ds_store_2addr_b64 v138, v[26:27], v[80:81] offset0:31 offset1:32
	;; [unrolled: 1-line block ×17, first 2 shown]
	ds_store_b64 v138, v[132:133] offset:504
.LBB126_606:
	s_or_b32 exec_lo, exec_lo, s0
	s_delay_alu instid0(SALU_CYCLE_1)
	s_mov_b32 s0, exec_lo
	s_wait_storecnt_dscnt 0x0
	s_barrier_signal -1
	s_barrier_wait -1
	v_cmpx_lt_i32_e32 28, v142
	s_cbranch_execz .LBB126_608
; %bb.607:
	v_pk_mul_f32 v[144:145], v[136:137], v[86:87] op_sel:[1,1] op_sel_hi:[0,1]
	s_delay_alu instid0(VALU_DEP_1)
	v_pk_fma_f32 v[134:135], v[136:137], v[86:87], v[144:145] op_sel_hi:[1,0,1] neg_lo:[0,0,1] neg_hi:[0,0,1]
	v_pk_fma_f32 v[136:137], v[136:137], v[86:87], v[144:145] op_sel_hi:[1,0,1]
	ds_load_2addr_b64 v[144:147], v138 offset0:29 offset1:30
	v_dual_mov_b32 v86, v134 :: v_dual_mov_b32 v87, v137
	s_wait_dscnt 0x0
	v_pk_mul_f32 v[148:149], v[144:145], v[136:137] op_sel:[0,1]
	s_delay_alu instid0(VALU_DEP_1) | instskip(SKIP_1) | instid1(VALU_DEP_1)
	v_pk_fma_f32 v[150:151], v[144:145], v[134:135], v[148:149] op_sel:[0,0,1] op_sel_hi:[1,1,0] neg_lo:[0,0,1] neg_hi:[0,0,1]
	v_pk_fma_f32 v[144:145], v[144:145], v[134:135], v[148:149] op_sel:[0,0,1] op_sel_hi:[1,0,0]
	v_mov_b32_e32 v151, v145
	v_pk_mul_f32 v[144:145], v[146:147], v[136:137] op_sel:[0,1]
	s_delay_alu instid0(VALU_DEP_1) | instskip(SKIP_1) | instid1(VALU_DEP_1)
	v_pk_fma_f32 v[148:149], v[146:147], v[134:135], v[144:145] op_sel:[0,0,1] op_sel_hi:[1,1,0] neg_lo:[0,0,1] neg_hi:[0,0,1]
	v_pk_fma_f32 v[144:145], v[146:147], v[134:135], v[144:145] op_sel:[0,0,1] op_sel_hi:[1,0,0]
	v_mov_b32_e32 v149, v145
	ds_load_2addr_b64 v[144:147], v138 offset0:31 offset1:32
	v_pk_add_f32 v[82:83], v[82:83], v[150:151] neg_lo:[0,1] neg_hi:[0,1]
	v_pk_add_f32 v[84:85], v[84:85], v[148:149] neg_lo:[0,1] neg_hi:[0,1]
	s_wait_dscnt 0x0
	v_pk_mul_f32 v[148:149], v[144:145], v[136:137] op_sel:[0,1]
	s_delay_alu instid0(VALU_DEP_1) | instskip(SKIP_2) | instid1(VALU_DEP_2)
	v_pk_fma_f32 v[150:151], v[144:145], v[134:135], v[148:149] op_sel:[0,0,1] op_sel_hi:[1,1,0] neg_lo:[0,0,1] neg_hi:[0,0,1]
	v_pk_fma_f32 v[144:145], v[144:145], v[134:135], v[148:149] op_sel:[0,0,1] op_sel_hi:[1,0,0]
	v_dual_mul_f32 v148, v147, v137 :: v_dual_mov_b32 v144, v147
	v_dual_mov_b32 v151, v145 :: v_dual_mov_b32 v145, v146
	s_delay_alu instid0(VALU_DEP_2) | instskip(SKIP_1) | instid1(VALU_DEP_3)
	v_pk_fma_f32 v[148:149], v[146:147], v[86:87], v[148:149] op_sel_hi:[1,1,0] neg_lo:[0,0,1] neg_hi:[0,0,1]
	v_mul_f32_e32 v146, v147, v134
	v_pk_add_f32 v[26:27], v[26:27], v[150:151] neg_lo:[0,1] neg_hi:[0,1]
	s_delay_alu instid0(VALU_DEP_2) | instskip(NEXT) | instid1(VALU_DEP_1)
	v_pk_fma_f32 v[144:145], v[144:145], v[86:87], v[146:147] op_sel_hi:[1,1,0]
	v_mov_b32_e32 v149, v145
	ds_load_2addr_b64 v[144:147], v138 offset0:33 offset1:34
	v_pk_add_f32 v[80:81], v[80:81], v[148:149] neg_lo:[0,1] neg_hi:[0,1]
	s_wait_dscnt 0x0
	v_pk_mul_f32 v[148:149], v[144:145], v[136:137] op_sel:[0,1]
	s_delay_alu instid0(VALU_DEP_1) | instskip(SKIP_1) | instid1(VALU_DEP_1)
	v_pk_fma_f32 v[150:151], v[144:145], v[134:135], v[148:149] op_sel:[0,0,1] op_sel_hi:[1,1,0] neg_lo:[0,0,1] neg_hi:[0,0,1]
	v_pk_fma_f32 v[144:145], v[144:145], v[134:135], v[148:149] op_sel:[0,0,1] op_sel_hi:[1,0,0]
	v_mov_b32_e32 v151, v145
	v_pk_mul_f32 v[144:145], v[146:147], v[136:137] op_sel:[0,1]
	s_delay_alu instid0(VALU_DEP_1) | instskip(SKIP_1) | instid1(VALU_DEP_1)
	v_pk_fma_f32 v[148:149], v[146:147], v[134:135], v[144:145] op_sel:[0,0,1] op_sel_hi:[1,1,0] neg_lo:[0,0,1] neg_hi:[0,0,1]
	v_pk_fma_f32 v[144:145], v[146:147], v[134:135], v[144:145] op_sel:[0,0,1] op_sel_hi:[1,0,0]
	v_mov_b32_e32 v149, v145
	ds_load_2addr_b64 v[144:147], v138 offset0:35 offset1:36
	v_pk_add_f32 v[76:77], v[76:77], v[150:151] neg_lo:[0,1] neg_hi:[0,1]
	v_pk_add_f32 v[78:79], v[78:79], v[148:149] neg_lo:[0,1] neg_hi:[0,1]
	s_wait_dscnt 0x0
	v_pk_mul_f32 v[148:149], v[144:145], v[136:137] op_sel:[0,1]
	s_delay_alu instid0(VALU_DEP_1) | instskip(SKIP_1) | instid1(VALU_DEP_1)
	v_pk_fma_f32 v[150:151], v[144:145], v[134:135], v[148:149] op_sel:[0,0,1] op_sel_hi:[1,1,0] neg_lo:[0,0,1] neg_hi:[0,0,1]
	v_pk_fma_f32 v[144:145], v[144:145], v[134:135], v[148:149] op_sel:[0,0,1] op_sel_hi:[1,0,0]
	v_mov_b32_e32 v151, v145
	v_pk_mul_f32 v[144:145], v[146:147], v[136:137] op_sel:[0,1]
	s_delay_alu instid0(VALU_DEP_1) | instskip(SKIP_1) | instid1(VALU_DEP_1)
	v_pk_fma_f32 v[148:149], v[146:147], v[134:135], v[144:145] op_sel:[0,0,1] op_sel_hi:[1,1,0] neg_lo:[0,0,1] neg_hi:[0,0,1]
	v_pk_fma_f32 v[144:145], v[146:147], v[134:135], v[144:145] op_sel:[0,0,1] op_sel_hi:[1,0,0]
	v_mov_b32_e32 v149, v145
	ds_load_2addr_b64 v[144:147], v138 offset0:37 offset1:38
	v_pk_add_f32 v[24:25], v[24:25], v[150:151] neg_lo:[0,1] neg_hi:[0,1]
	v_pk_add_f32 v[74:75], v[74:75], v[148:149] neg_lo:[0,1] neg_hi:[0,1]
	s_wait_dscnt 0x0
	v_dual_mul_f32 v148, v145, v137 :: v_dual_mul_f32 v150, v145, v134
	s_delay_alu instid0(VALU_DEP_1) | instskip(NEXT) | instid1(VALU_DEP_2)
	v_pk_fma_f32 v[148:149], v[144:145], v[86:87], v[148:149] op_sel_hi:[1,1,0] neg_lo:[0,0,1] neg_hi:[0,0,1]
	v_pk_fma_f32 v[144:145], v[144:145], v[86:87], v[150:151] op_sel:[1,0,0] op_sel_hi:[0,1,0]
	s_delay_alu instid0(VALU_DEP_1) | instskip(SKIP_1) | instid1(VALU_DEP_2)
	v_mov_b32_e32 v149, v145
	v_pk_mul_f32 v[144:145], v[146:147], v[136:137] op_sel:[0,1]
	v_pk_add_f32 v[70:71], v[70:71], v[148:149] neg_lo:[0,1] neg_hi:[0,1]
	s_delay_alu instid0(VALU_DEP_2) | instskip(SKIP_1) | instid1(VALU_DEP_1)
	v_pk_fma_f32 v[148:149], v[146:147], v[134:135], v[144:145] op_sel:[0,0,1] op_sel_hi:[1,1,0] neg_lo:[0,0,1] neg_hi:[0,0,1]
	v_pk_fma_f32 v[144:145], v[146:147], v[134:135], v[144:145] op_sel:[0,0,1] op_sel_hi:[1,0,0]
	v_mov_b32_e32 v149, v145
	ds_load_2addr_b64 v[144:147], v138 offset0:39 offset1:40
	v_pk_add_f32 v[72:73], v[72:73], v[148:149] neg_lo:[0,1] neg_hi:[0,1]
	s_wait_dscnt 0x0
	v_pk_mul_f32 v[148:149], v[144:145], v[136:137] op_sel:[0,1]
	s_delay_alu instid0(VALU_DEP_1) | instskip(SKIP_1) | instid1(VALU_DEP_1)
	v_pk_fma_f32 v[150:151], v[144:145], v[134:135], v[148:149] op_sel:[0,0,1] op_sel_hi:[1,1,0] neg_lo:[0,0,1] neg_hi:[0,0,1]
	v_pk_fma_f32 v[144:145], v[144:145], v[134:135], v[148:149] op_sel:[0,0,1] op_sel_hi:[1,0,0]
	v_mov_b32_e32 v151, v145
	v_pk_mul_f32 v[144:145], v[146:147], v[136:137] op_sel:[0,1]
	s_delay_alu instid0(VALU_DEP_2) | instskip(NEXT) | instid1(VALU_DEP_2)
	v_pk_add_f32 v[22:23], v[22:23], v[150:151] neg_lo:[0,1] neg_hi:[0,1]
	v_pk_fma_f32 v[148:149], v[146:147], v[134:135], v[144:145] op_sel:[0,0,1] op_sel_hi:[1,1,0] neg_lo:[0,0,1] neg_hi:[0,0,1]
	v_pk_fma_f32 v[144:145], v[146:147], v[134:135], v[144:145] op_sel:[0,0,1] op_sel_hi:[1,0,0]
	s_delay_alu instid0(VALU_DEP_1) | instskip(SKIP_4) | instid1(VALU_DEP_1)
	v_mov_b32_e32 v149, v145
	ds_load_2addr_b64 v[144:147], v138 offset0:41 offset1:42
	v_pk_add_f32 v[68:69], v[68:69], v[148:149] neg_lo:[0,1] neg_hi:[0,1]
	s_wait_dscnt 0x0
	v_pk_mul_f32 v[148:149], v[144:145], v[136:137] op_sel:[0,1]
	v_pk_fma_f32 v[150:151], v[144:145], v[134:135], v[148:149] op_sel:[0,0,1] op_sel_hi:[1,1,0] neg_lo:[0,0,1] neg_hi:[0,0,1]
	v_pk_fma_f32 v[144:145], v[144:145], v[134:135], v[148:149] op_sel:[0,0,1] op_sel_hi:[1,0,0]
	v_dual_mul_f32 v148, v147, v137 :: v_dual_mov_b32 v144, v147
	s_delay_alu instid0(VALU_DEP_2) | instskip(NEXT) | instid1(VALU_DEP_2)
	v_dual_mov_b32 v151, v145 :: v_dual_mov_b32 v145, v146
	v_pk_fma_f32 v[148:149], v[146:147], v[86:87], v[148:149] op_sel_hi:[1,1,0] neg_lo:[0,0,1] neg_hi:[0,0,1]
	v_mul_f32_e32 v146, v147, v134
	s_delay_alu instid0(VALU_DEP_3) | instskip(NEXT) | instid1(VALU_DEP_2)
	v_pk_add_f32 v[64:65], v[64:65], v[150:151] neg_lo:[0,1] neg_hi:[0,1]
	v_pk_fma_f32 v[144:145], v[144:145], v[86:87], v[146:147] op_sel_hi:[1,1,0]
	s_delay_alu instid0(VALU_DEP_1) | instskip(SKIP_4) | instid1(VALU_DEP_1)
	v_mov_b32_e32 v149, v145
	ds_load_2addr_b64 v[144:147], v138 offset0:43 offset1:44
	v_pk_add_f32 v[66:67], v[66:67], v[148:149] neg_lo:[0,1] neg_hi:[0,1]
	s_wait_dscnt 0x0
	v_pk_mul_f32 v[148:149], v[144:145], v[136:137] op_sel:[0,1]
	v_pk_fma_f32 v[150:151], v[144:145], v[134:135], v[148:149] op_sel:[0,0,1] op_sel_hi:[1,1,0] neg_lo:[0,0,1] neg_hi:[0,0,1]
	v_pk_fma_f32 v[144:145], v[144:145], v[134:135], v[148:149] op_sel:[0,0,1] op_sel_hi:[1,0,0]
	s_delay_alu instid0(VALU_DEP_1) | instskip(SKIP_1) | instid1(VALU_DEP_1)
	v_mov_b32_e32 v151, v145
	v_pk_mul_f32 v[144:145], v[146:147], v[136:137] op_sel:[0,1]
	v_pk_fma_f32 v[148:149], v[146:147], v[134:135], v[144:145] op_sel:[0,0,1] op_sel_hi:[1,1,0] neg_lo:[0,0,1] neg_hi:[0,0,1]
	v_pk_fma_f32 v[144:145], v[146:147], v[134:135], v[144:145] op_sel:[0,0,1] op_sel_hi:[1,0,0]
	s_delay_alu instid0(VALU_DEP_1)
	v_mov_b32_e32 v149, v145
	ds_load_2addr_b64 v[144:147], v138 offset0:45 offset1:46
	v_pk_add_f32 v[18:19], v[18:19], v[150:151] neg_lo:[0,1] neg_hi:[0,1]
	v_pk_add_f32 v[60:61], v[60:61], v[148:149] neg_lo:[0,1] neg_hi:[0,1]
	s_wait_dscnt 0x0
	v_pk_mul_f32 v[148:149], v[144:145], v[136:137] op_sel:[0,1]
	s_delay_alu instid0(VALU_DEP_1) | instskip(SKIP_1) | instid1(VALU_DEP_1)
	v_pk_fma_f32 v[150:151], v[144:145], v[134:135], v[148:149] op_sel:[0,0,1] op_sel_hi:[1,1,0] neg_lo:[0,0,1] neg_hi:[0,0,1]
	v_pk_fma_f32 v[144:145], v[144:145], v[134:135], v[148:149] op_sel:[0,0,1] op_sel_hi:[1,0,0]
	v_mov_b32_e32 v151, v145
	v_pk_mul_f32 v[144:145], v[146:147], v[136:137] op_sel:[0,1]
	s_delay_alu instid0(VALU_DEP_1) | instskip(SKIP_1) | instid1(VALU_DEP_1)
	v_pk_fma_f32 v[148:149], v[146:147], v[134:135], v[144:145] op_sel:[0,0,1] op_sel_hi:[1,1,0] neg_lo:[0,0,1] neg_hi:[0,0,1]
	v_pk_fma_f32 v[144:145], v[146:147], v[134:135], v[144:145] op_sel:[0,0,1] op_sel_hi:[1,0,0]
	v_mov_b32_e32 v149, v145
	ds_load_2addr_b64 v[144:147], v138 offset0:47 offset1:48
	v_pk_add_f32 v[56:57], v[56:57], v[150:151] neg_lo:[0,1] neg_hi:[0,1]
	v_pk_add_f32 v[58:59], v[58:59], v[148:149] neg_lo:[0,1] neg_hi:[0,1]
	s_wait_dscnt 0x0
	v_dual_mul_f32 v148, v145, v137 :: v_dual_mul_f32 v150, v145, v134
	s_delay_alu instid0(VALU_DEP_1) | instskip(NEXT) | instid1(VALU_DEP_2)
	v_pk_fma_f32 v[148:149], v[144:145], v[86:87], v[148:149] op_sel_hi:[1,1,0] neg_lo:[0,0,1] neg_hi:[0,0,1]
	v_pk_fma_f32 v[144:145], v[144:145], v[86:87], v[150:151] op_sel:[1,0,0] op_sel_hi:[0,1,0]
	s_delay_alu instid0(VALU_DEP_1) | instskip(SKIP_1) | instid1(VALU_DEP_2)
	v_mov_b32_e32 v149, v145
	v_pk_mul_f32 v[144:145], v[146:147], v[136:137] op_sel:[0,1]
	v_pk_add_f32 v[12:13], v[12:13], v[148:149] neg_lo:[0,1] neg_hi:[0,1]
	s_delay_alu instid0(VALU_DEP_2) | instskip(SKIP_1) | instid1(VALU_DEP_1)
	v_pk_fma_f32 v[148:149], v[146:147], v[134:135], v[144:145] op_sel:[0,0,1] op_sel_hi:[1,1,0] neg_lo:[0,0,1] neg_hi:[0,0,1]
	v_pk_fma_f32 v[144:145], v[146:147], v[134:135], v[144:145] op_sel:[0,0,1] op_sel_hi:[1,0,0]
	v_mov_b32_e32 v149, v145
	ds_load_2addr_b64 v[144:147], v138 offset0:49 offset1:50
	v_pk_add_f32 v[54:55], v[54:55], v[148:149] neg_lo:[0,1] neg_hi:[0,1]
	s_wait_dscnt 0x0
	v_pk_mul_f32 v[148:149], v[144:145], v[136:137] op_sel:[0,1]
	s_delay_alu instid0(VALU_DEP_1) | instskip(SKIP_1) | instid1(VALU_DEP_1)
	v_pk_fma_f32 v[150:151], v[144:145], v[134:135], v[148:149] op_sel:[0,0,1] op_sel_hi:[1,1,0] neg_lo:[0,0,1] neg_hi:[0,0,1]
	v_pk_fma_f32 v[144:145], v[144:145], v[134:135], v[148:149] op_sel:[0,0,1] op_sel_hi:[1,0,0]
	v_mov_b32_e32 v151, v145
	v_pk_mul_f32 v[144:145], v[146:147], v[136:137] op_sel:[0,1]
	s_delay_alu instid0(VALU_DEP_2) | instskip(NEXT) | instid1(VALU_DEP_2)
	v_pk_add_f32 v[52:53], v[52:53], v[150:151] neg_lo:[0,1] neg_hi:[0,1]
	v_pk_fma_f32 v[148:149], v[146:147], v[134:135], v[144:145] op_sel:[0,0,1] op_sel_hi:[1,1,0] neg_lo:[0,0,1] neg_hi:[0,0,1]
	v_pk_fma_f32 v[144:145], v[146:147], v[134:135], v[144:145] op_sel:[0,0,1] op_sel_hi:[1,0,0]
	s_delay_alu instid0(VALU_DEP_1) | instskip(SKIP_4) | instid1(VALU_DEP_1)
	v_mov_b32_e32 v149, v145
	ds_load_2addr_b64 v[144:147], v138 offset0:51 offset1:52
	v_pk_add_f32 v[62:63], v[62:63], v[148:149] neg_lo:[0,1] neg_hi:[0,1]
	s_wait_dscnt 0x0
	v_pk_mul_f32 v[148:149], v[144:145], v[136:137] op_sel:[0,1]
	v_pk_fma_f32 v[150:151], v[144:145], v[134:135], v[148:149] op_sel:[0,0,1] op_sel_hi:[1,1,0] neg_lo:[0,0,1] neg_hi:[0,0,1]
	v_pk_fma_f32 v[144:145], v[144:145], v[134:135], v[148:149] op_sel:[0,0,1] op_sel_hi:[1,0,0]
	v_dual_mul_f32 v148, v147, v137 :: v_dual_mov_b32 v144, v147
	s_delay_alu instid0(VALU_DEP_2) | instskip(NEXT) | instid1(VALU_DEP_2)
	v_dual_mov_b32 v151, v145 :: v_dual_mov_b32 v145, v146
	v_pk_fma_f32 v[148:149], v[146:147], v[86:87], v[148:149] op_sel_hi:[1,1,0] neg_lo:[0,0,1] neg_hi:[0,0,1]
	v_mul_f32_e32 v146, v147, v134
	s_delay_alu instid0(VALU_DEP_3) | instskip(NEXT) | instid1(VALU_DEP_2)
	v_pk_add_f32 v[16:17], v[16:17], v[150:151] neg_lo:[0,1] neg_hi:[0,1]
	v_pk_fma_f32 v[144:145], v[144:145], v[86:87], v[146:147] op_sel_hi:[1,1,0]
	s_delay_alu instid0(VALU_DEP_1) | instskip(SKIP_4) | instid1(VALU_DEP_1)
	v_mov_b32_e32 v149, v145
	ds_load_2addr_b64 v[144:147], v138 offset0:53 offset1:54
	v_pk_add_f32 v[48:49], v[48:49], v[148:149] neg_lo:[0,1] neg_hi:[0,1]
	s_wait_dscnt 0x0
	v_pk_mul_f32 v[148:149], v[144:145], v[136:137] op_sel:[0,1]
	v_pk_fma_f32 v[150:151], v[144:145], v[134:135], v[148:149] op_sel:[0,0,1] op_sel_hi:[1,1,0] neg_lo:[0,0,1] neg_hi:[0,0,1]
	v_pk_fma_f32 v[144:145], v[144:145], v[134:135], v[148:149] op_sel:[0,0,1] op_sel_hi:[1,0,0]
	s_delay_alu instid0(VALU_DEP_1) | instskip(SKIP_1) | instid1(VALU_DEP_1)
	v_mov_b32_e32 v151, v145
	v_pk_mul_f32 v[144:145], v[146:147], v[136:137] op_sel:[0,1]
	v_pk_fma_f32 v[148:149], v[146:147], v[134:135], v[144:145] op_sel:[0,0,1] op_sel_hi:[1,1,0] neg_lo:[0,0,1] neg_hi:[0,0,1]
	v_pk_fma_f32 v[144:145], v[146:147], v[134:135], v[144:145] op_sel:[0,0,1] op_sel_hi:[1,0,0]
	s_delay_alu instid0(VALU_DEP_1)
	v_mov_b32_e32 v149, v145
	ds_load_2addr_b64 v[144:147], v138 offset0:55 offset1:56
	v_pk_add_f32 v[42:43], v[42:43], v[150:151] neg_lo:[0,1] neg_hi:[0,1]
	v_pk_add_f32 v[46:47], v[46:47], v[148:149] neg_lo:[0,1] neg_hi:[0,1]
	s_wait_dscnt 0x0
	v_pk_mul_f32 v[148:149], v[144:145], v[136:137] op_sel:[0,1]
	s_delay_alu instid0(VALU_DEP_1) | instskip(SKIP_1) | instid1(VALU_DEP_1)
	v_pk_fma_f32 v[150:151], v[144:145], v[134:135], v[148:149] op_sel:[0,0,1] op_sel_hi:[1,1,0] neg_lo:[0,0,1] neg_hi:[0,0,1]
	v_pk_fma_f32 v[144:145], v[144:145], v[134:135], v[148:149] op_sel:[0,0,1] op_sel_hi:[1,0,0]
	v_mov_b32_e32 v151, v145
	v_pk_mul_f32 v[144:145], v[146:147], v[136:137] op_sel:[0,1]
	s_delay_alu instid0(VALU_DEP_1) | instskip(SKIP_1) | instid1(VALU_DEP_1)
	v_pk_fma_f32 v[148:149], v[146:147], v[134:135], v[144:145] op_sel:[0,0,1] op_sel_hi:[1,1,0] neg_lo:[0,0,1] neg_hi:[0,0,1]
	v_pk_fma_f32 v[144:145], v[146:147], v[134:135], v[144:145] op_sel:[0,0,1] op_sel_hi:[1,0,0]
	v_mov_b32_e32 v149, v145
	ds_load_2addr_b64 v[144:147], v138 offset0:57 offset1:58
	v_pk_add_f32 v[8:9], v[8:9], v[150:151] neg_lo:[0,1] neg_hi:[0,1]
	v_pk_add_f32 v[32:33], v[32:33], v[148:149] neg_lo:[0,1] neg_hi:[0,1]
	s_wait_dscnt 0x0
	v_dual_mul_f32 v148, v145, v137 :: v_dual_mul_f32 v150, v145, v134
	s_delay_alu instid0(VALU_DEP_1) | instskip(NEXT) | instid1(VALU_DEP_2)
	v_pk_fma_f32 v[148:149], v[144:145], v[86:87], v[148:149] op_sel_hi:[1,1,0] neg_lo:[0,0,1] neg_hi:[0,0,1]
	v_pk_fma_f32 v[144:145], v[144:145], v[86:87], v[150:151] op_sel:[1,0,0] op_sel_hi:[0,1,0]
	s_delay_alu instid0(VALU_DEP_1) | instskip(SKIP_1) | instid1(VALU_DEP_2)
	v_mov_b32_e32 v149, v145
	v_pk_mul_f32 v[144:145], v[146:147], v[136:137] op_sel:[0,1]
	v_pk_add_f32 v[28:29], v[28:29], v[148:149] neg_lo:[0,1] neg_hi:[0,1]
	s_delay_alu instid0(VALU_DEP_2) | instskip(SKIP_1) | instid1(VALU_DEP_1)
	v_pk_fma_f32 v[148:149], v[146:147], v[134:135], v[144:145] op_sel:[0,0,1] op_sel_hi:[1,1,0] neg_lo:[0,0,1] neg_hi:[0,0,1]
	v_pk_fma_f32 v[144:145], v[146:147], v[134:135], v[144:145] op_sel:[0,0,1] op_sel_hi:[1,0,0]
	v_mov_b32_e32 v149, v145
	ds_load_2addr_b64 v[144:147], v138 offset0:59 offset1:60
	v_pk_add_f32 v[30:31], v[30:31], v[148:149] neg_lo:[0,1] neg_hi:[0,1]
	s_wait_dscnt 0x0
	v_pk_mul_f32 v[148:149], v[144:145], v[136:137] op_sel:[0,1]
	s_delay_alu instid0(VALU_DEP_1) | instskip(SKIP_1) | instid1(VALU_DEP_1)
	v_pk_fma_f32 v[150:151], v[144:145], v[134:135], v[148:149] op_sel:[0,0,1] op_sel_hi:[1,1,0] neg_lo:[0,0,1] neg_hi:[0,0,1]
	v_pk_fma_f32 v[144:145], v[144:145], v[134:135], v[148:149] op_sel:[0,0,1] op_sel_hi:[1,0,0]
	v_mov_b32_e32 v151, v145
	v_pk_mul_f32 v[144:145], v[146:147], v[136:137] op_sel:[0,1]
	s_delay_alu instid0(VALU_DEP_2) | instskip(NEXT) | instid1(VALU_DEP_2)
	v_pk_add_f32 v[6:7], v[6:7], v[150:151] neg_lo:[0,1] neg_hi:[0,1]
	v_pk_fma_f32 v[148:149], v[146:147], v[134:135], v[144:145] op_sel:[0,0,1] op_sel_hi:[1,1,0] neg_lo:[0,0,1] neg_hi:[0,0,1]
	v_pk_fma_f32 v[144:145], v[146:147], v[134:135], v[144:145] op_sel:[0,0,1] op_sel_hi:[1,0,0]
	s_delay_alu instid0(VALU_DEP_1) | instskip(SKIP_4) | instid1(VALU_DEP_1)
	v_mov_b32_e32 v149, v145
	ds_load_2addr_b64 v[144:147], v138 offset0:61 offset1:62
	v_pk_add_f32 v[20:21], v[20:21], v[148:149] neg_lo:[0,1] neg_hi:[0,1]
	s_wait_dscnt 0x0
	v_pk_mul_f32 v[148:149], v[144:145], v[136:137] op_sel:[0,1]
	v_pk_fma_f32 v[150:151], v[144:145], v[134:135], v[148:149] op_sel:[0,0,1] op_sel_hi:[1,1,0] neg_lo:[0,0,1] neg_hi:[0,0,1]
	v_pk_fma_f32 v[144:145], v[144:145], v[134:135], v[148:149] op_sel:[0,0,1] op_sel_hi:[1,0,0]
	v_dual_mul_f32 v148, v147, v137 :: v_dual_mov_b32 v144, v147
	s_delay_alu instid0(VALU_DEP_2) | instskip(NEXT) | instid1(VALU_DEP_2)
	v_dual_mov_b32 v151, v145 :: v_dual_mov_b32 v145, v146
	v_pk_fma_f32 v[148:149], v[146:147], v[86:87], v[148:149] op_sel_hi:[1,1,0] neg_lo:[0,0,1] neg_hi:[0,0,1]
	v_mul_f32_e32 v146, v147, v134
	s_delay_alu instid0(VALU_DEP_3) | instskip(NEXT) | instid1(VALU_DEP_2)
	v_pk_add_f32 v[14:15], v[14:15], v[150:151] neg_lo:[0,1] neg_hi:[0,1]
	v_pk_fma_f32 v[144:145], v[144:145], v[86:87], v[146:147] op_sel_hi:[1,1,0]
	s_delay_alu instid0(VALU_DEP_1) | instskip(SKIP_4) | instid1(VALU_DEP_1)
	v_mov_b32_e32 v149, v145
	ds_load_b64 v[144:145], v138 offset:504
	v_pk_add_f32 v[10:11], v[10:11], v[148:149] neg_lo:[0,1] neg_hi:[0,1]
	s_wait_dscnt 0x0
	v_pk_mul_f32 v[136:137], v[144:145], v[136:137] op_sel:[0,1]
	v_pk_fma_f32 v[146:147], v[144:145], v[134:135], v[136:137] op_sel:[0,0,1] op_sel_hi:[1,1,0] neg_lo:[0,0,1] neg_hi:[0,0,1]
	v_pk_fma_f32 v[134:135], v[144:145], v[134:135], v[136:137] op_sel:[0,0,1] op_sel_hi:[1,0,0]
	s_delay_alu instid0(VALU_DEP_1) | instskip(NEXT) | instid1(VALU_DEP_1)
	v_mov_b32_e32 v147, v135
	v_pk_add_f32 v[132:133], v[132:133], v[146:147] neg_lo:[0,1] neg_hi:[0,1]
.LBB126_608:
	s_or_b32 exec_lo, exec_lo, s0
	v_lshl_add_u32 v134, v142, 3, v138
	s_barrier_signal -1
	s_barrier_wait -1
	ds_store_b64 v134, v[82:83]
	s_wait_dscnt 0x0
	s_barrier_signal -1
	s_barrier_wait -1
	ds_load_b64 v[136:137], v138 offset:232
	v_mov_b32_e32 v134, 29
	s_cmp_lt_i32 s18, 31
	s_cbranch_scc1 .LBB126_611
; %bb.609:
	v_add3_u32 v135, v139, 0, 0xf0
	v_mov_b32_e32 v134, 29
	s_mov_b32 s0, 30
.LBB126_610:                            ; =>This Inner Loop Header: Depth=1
	ds_load_b64 v[144:145], v135
	s_wait_dscnt 0x1
	v_cmp_gt_f32_e32 vcc_lo, 0, v136
	v_cndmask_b32_e64 v146, v136, -v136, vcc_lo
	v_cmp_gt_f32_e32 vcc_lo, 0, v137
	v_cndmask_b32_e64 v148, v137, -v137, vcc_lo
	s_wait_dscnt 0x0
	v_cmp_gt_f32_e32 vcc_lo, 0, v144
	v_cndmask_b32_e64 v147, v144, -v144, vcc_lo
	v_cmp_gt_f32_e32 vcc_lo, 0, v145
	v_cndmask_b32_e64 v149, v145, -v145, vcc_lo
	s_delay_alu instid0(VALU_DEP_1) | instskip(NEXT) | instid1(VALU_DEP_1)
	v_pk_add_f32 v[146:147], v[146:147], v[148:149]
	v_cmp_lt_f32_e32 vcc_lo, v146, v147
	v_dual_add_nc_u32 v135, 8, v135 :: v_dual_cndmask_b32 v137, v137, v145, vcc_lo
	v_cndmask_b32_e32 v136, v136, v144, vcc_lo
	v_cndmask_b32_e64 v134, v134, s0, vcc_lo
	s_add_co_i32 s0, s0, 1
	s_delay_alu instid0(SALU_CYCLE_1)
	s_cmp_lg_u32 s18, s0
	s_cbranch_scc1 .LBB126_610
.LBB126_611:
	s_wait_dscnt 0x0
	v_cmp_eq_f32_e32 vcc_lo, 0, v136
	v_cmp_eq_f32_e64 s0, 0, v137
	s_and_b32 s0, vcc_lo, s0
	s_delay_alu instid0(SALU_CYCLE_1) | instskip(NEXT) | instid1(SALU_CYCLE_1)
	s_and_saveexec_b32 s1, s0
	s_xor_b32 s0, exec_lo, s1
; %bb.612:
	v_cmp_ne_u32_e32 vcc_lo, 0, v140
	v_cndmask_b32_e32 v140, 30, v140, vcc_lo
; %bb.613:
	s_and_not1_saveexec_b32 s0, s0
	s_cbranch_execz .LBB126_619
; %bb.614:
	v_cmp_ngt_f32_e64 s1, |v136|, |v137|
	s_and_saveexec_b32 s12, s1
	s_delay_alu instid0(SALU_CYCLE_1)
	s_xor_b32 s1, exec_lo, s12
	s_cbranch_execz .LBB126_616
; %bb.615:
	v_div_scale_f32 v135, null, v137, v137, v136
	v_div_scale_f32 v145, vcc_lo, v136, v137, v136
	s_delay_alu instid0(VALU_DEP_2) | instskip(SKIP_1) | instid1(TRANS32_DEP_1)
	v_rcp_f32_e32 v143, v135
	v_nop
	v_fma_f32 v144, -v135, v143, 1.0
	s_delay_alu instid0(VALU_DEP_1) | instskip(NEXT) | instid1(VALU_DEP_1)
	v_fmac_f32_e32 v143, v144, v143
	v_mul_f32_e32 v144, v145, v143
	s_delay_alu instid0(VALU_DEP_1) | instskip(NEXT) | instid1(VALU_DEP_1)
	v_fma_f32 v146, -v135, v144, v145
	v_fmac_f32_e32 v144, v146, v143
	s_delay_alu instid0(VALU_DEP_1) | instskip(NEXT) | instid1(VALU_DEP_1)
	v_fma_f32 v135, -v135, v144, v145
	v_div_fmas_f32 v135, v135, v143, v144
	s_delay_alu instid0(VALU_DEP_1) | instskip(NEXT) | instid1(VALU_DEP_1)
	v_div_fixup_f32 v135, v135, v137, v136
	v_fmac_f32_e32 v137, v136, v135
	s_delay_alu instid0(VALU_DEP_1) | instskip(SKIP_1) | instid1(VALU_DEP_2)
	v_div_scale_f32 v136, null, v137, v137, 1.0
	v_div_scale_f32 v145, vcc_lo, 1.0, v137, 1.0
	v_rcp_f32_e32 v143, v136
	v_nop
	s_delay_alu instid0(TRANS32_DEP_1) | instskip(NEXT) | instid1(VALU_DEP_1)
	v_fma_f32 v144, -v136, v143, 1.0
	v_fmac_f32_e32 v143, v144, v143
	s_delay_alu instid0(VALU_DEP_1) | instskip(NEXT) | instid1(VALU_DEP_1)
	v_mul_f32_e32 v144, v145, v143
	v_fma_f32 v146, -v136, v144, v145
	s_delay_alu instid0(VALU_DEP_1) | instskip(NEXT) | instid1(VALU_DEP_1)
	v_fmac_f32_e32 v144, v146, v143
	v_fma_f32 v136, -v136, v144, v145
	s_delay_alu instid0(VALU_DEP_1) | instskip(NEXT) | instid1(VALU_DEP_1)
	v_div_fmas_f32 v136, v136, v143, v144
	v_div_fixup_f32 v137, v136, v137, 1.0
	s_delay_alu instid0(VALU_DEP_1)
	v_mul_f32_e32 v136, v135, v137
	v_xor_b32_e32 v137, 0x80000000, v137
.LBB126_616:
	s_and_not1_saveexec_b32 s1, s1
	s_cbranch_execz .LBB126_618
; %bb.617:
	s_delay_alu instid0(VALU_DEP_1) | instskip(SKIP_1) | instid1(VALU_DEP_2)
	v_div_scale_f32 v135, null, v136, v136, v137
	v_div_scale_f32 v145, vcc_lo, v137, v136, v137
	v_rcp_f32_e32 v143, v135
	v_nop
	s_delay_alu instid0(TRANS32_DEP_1) | instskip(NEXT) | instid1(VALU_DEP_1)
	v_fma_f32 v144, -v135, v143, 1.0
	v_fmac_f32_e32 v143, v144, v143
	s_delay_alu instid0(VALU_DEP_1) | instskip(NEXT) | instid1(VALU_DEP_1)
	v_mul_f32_e32 v144, v145, v143
	v_fma_f32 v146, -v135, v144, v145
	s_delay_alu instid0(VALU_DEP_1) | instskip(NEXT) | instid1(VALU_DEP_1)
	v_fmac_f32_e32 v144, v146, v143
	v_fma_f32 v135, -v135, v144, v145
	s_delay_alu instid0(VALU_DEP_1) | instskip(NEXT) | instid1(VALU_DEP_1)
	v_div_fmas_f32 v135, v135, v143, v144
	v_div_fixup_f32 v135, v135, v136, v137
	s_delay_alu instid0(VALU_DEP_1) | instskip(NEXT) | instid1(VALU_DEP_1)
	v_fmac_f32_e32 v136, v137, v135
	v_div_scale_f32 v137, null, v136, v136, 1.0
	s_delay_alu instid0(VALU_DEP_1) | instskip(SKIP_1) | instid1(TRANS32_DEP_1)
	v_rcp_f32_e32 v143, v137
	v_nop
	v_fma_f32 v144, -v137, v143, 1.0
	s_delay_alu instid0(VALU_DEP_1) | instskip(SKIP_1) | instid1(VALU_DEP_1)
	v_fmac_f32_e32 v143, v144, v143
	v_div_scale_f32 v144, vcc_lo, 1.0, v136, 1.0
	v_mul_f32_e32 v145, v144, v143
	s_delay_alu instid0(VALU_DEP_1) | instskip(NEXT) | instid1(VALU_DEP_1)
	v_fma_f32 v146, -v137, v145, v144
	v_fmac_f32_e32 v145, v146, v143
	s_delay_alu instid0(VALU_DEP_1) | instskip(NEXT) | instid1(VALU_DEP_1)
	v_fma_f32 v137, -v137, v145, v144
	v_div_fmas_f32 v137, v137, v143, v145
	s_delay_alu instid0(VALU_DEP_1) | instskip(NEXT) | instid1(VALU_DEP_1)
	v_div_fixup_f32 v136, v137, v136, 1.0
	v_mul_f32_e64 v137, v135, -v136
.LBB126_618:
	s_or_b32 exec_lo, exec_lo, s1
.LBB126_619:
	s_delay_alu instid0(SALU_CYCLE_1) | instskip(NEXT) | instid1(SALU_CYCLE_1)
	s_or_b32 exec_lo, exec_lo, s0
	s_mov_b32 s0, exec_lo
	v_cmpx_ne_u32_e64 v142, v134
	s_xor_b32 s0, exec_lo, s0
	s_cbranch_execz .LBB126_625
; %bb.620:
	s_mov_b32 s1, exec_lo
	v_cmpx_eq_u32_e32 29, v142
	s_cbranch_execz .LBB126_624
; %bb.621:
	v_cmp_ne_u32_e32 vcc_lo, 29, v134
	s_xor_b32 s12, s16, -1
	s_delay_alu instid0(SALU_CYCLE_1) | instskip(NEXT) | instid1(SALU_CYCLE_1)
	s_and_b32 s13, s12, vcc_lo
	s_and_saveexec_b32 s12, s13
	s_cbranch_execz .LBB126_623
; %bb.622:
	v_ashrrev_i32_e32 v135, 31, v134
	s_delay_alu instid0(VALU_DEP_1)
	v_lshl_add_u64 v[142:143], v[134:135], 2, v[4:5]
	s_clause 0x1
	global_load_b32 v135, v[142:143], off
	global_load_b32 v141, v[4:5], off offset:116
	s_wait_loadcnt 0x1
	global_store_b32 v[4:5], v135, off offset:116
	s_wait_loadcnt 0x0
	global_store_b32 v[142:143], v141, off
.LBB126_623:
	s_wait_xcnt 0x0
	s_or_b32 exec_lo, exec_lo, s12
	v_dual_mov_b32 v142, v134 :: v_dual_mov_b32 v141, v134
.LBB126_624:
	s_or_b32 exec_lo, exec_lo, s1
.LBB126_625:
	s_and_not1_saveexec_b32 s0, s0
	s_cbranch_execz .LBB126_627
; %bb.626:
	v_dual_mov_b32 v134, v84 :: v_dual_mov_b32 v135, v85
	v_dual_mov_b32 v142, v26 :: v_dual_mov_b32 v143, v27
	ds_store_2addr_b64 v138, v[134:135], v[142:143] offset0:30 offset1:31
	v_dual_mov_b32 v134, v80 :: v_dual_mov_b32 v135, v81
	v_dual_mov_b32 v142, v76 :: v_dual_mov_b32 v143, v77
	ds_store_2addr_b64 v138, v[134:135], v[142:143] offset0:32 offset1:33
	;; [unrolled: 3-line block ×16, first 2 shown]
	v_dual_mov_b32 v134, v10 :: v_dual_mov_b32 v135, v11
	v_mov_b32_e32 v142, 29
	ds_store_2addr_b64 v138, v[134:135], v[132:133] offset0:62 offset1:63
.LBB126_627:
	s_or_b32 exec_lo, exec_lo, s0
	s_delay_alu instid0(SALU_CYCLE_1)
	s_mov_b32 s0, exec_lo
	s_wait_storecnt_dscnt 0x0
	s_barrier_signal -1
	s_barrier_wait -1
	v_cmpx_lt_i32_e32 29, v142
	s_cbranch_execz .LBB126_629
; %bb.628:
	v_pk_mul_f32 v[144:145], v[136:137], v[82:83] op_sel:[1,1] op_sel_hi:[0,1]
	s_delay_alu instid0(VALU_DEP_1)
	v_pk_fma_f32 v[134:135], v[136:137], v[82:83], v[144:145] op_sel_hi:[1,0,1] neg_lo:[0,0,1] neg_hi:[0,0,1]
	v_pk_fma_f32 v[136:137], v[136:137], v[82:83], v[144:145] op_sel_hi:[1,0,1]
	ds_load_2addr_b64 v[144:147], v138 offset0:30 offset1:31
	v_dual_mov_b32 v82, v134 :: v_dual_mov_b32 v83, v137
	s_wait_dscnt 0x0
	v_pk_mul_f32 v[148:149], v[144:145], v[136:137] op_sel:[0,1]
	s_delay_alu instid0(VALU_DEP_1) | instskip(SKIP_1) | instid1(VALU_DEP_1)
	v_pk_fma_f32 v[150:151], v[144:145], v[134:135], v[148:149] op_sel:[0,0,1] op_sel_hi:[1,1,0] neg_lo:[0,0,1] neg_hi:[0,0,1]
	v_pk_fma_f32 v[144:145], v[144:145], v[134:135], v[148:149] op_sel:[0,0,1] op_sel_hi:[1,0,0]
	v_mov_b32_e32 v151, v145
	v_pk_mul_f32 v[144:145], v[146:147], v[136:137] op_sel:[0,1]
	s_delay_alu instid0(VALU_DEP_1) | instskip(SKIP_1) | instid1(VALU_DEP_1)
	v_pk_fma_f32 v[148:149], v[146:147], v[134:135], v[144:145] op_sel:[0,0,1] op_sel_hi:[1,1,0] neg_lo:[0,0,1] neg_hi:[0,0,1]
	v_pk_fma_f32 v[144:145], v[146:147], v[134:135], v[144:145] op_sel:[0,0,1] op_sel_hi:[1,0,0]
	v_mov_b32_e32 v149, v145
	ds_load_2addr_b64 v[144:147], v138 offset0:32 offset1:33
	v_pk_add_f32 v[84:85], v[84:85], v[150:151] neg_lo:[0,1] neg_hi:[0,1]
	v_pk_add_f32 v[26:27], v[26:27], v[148:149] neg_lo:[0,1] neg_hi:[0,1]
	s_wait_dscnt 0x0
	v_pk_mul_f32 v[148:149], v[144:145], v[136:137] op_sel:[0,1]
	s_delay_alu instid0(VALU_DEP_1) | instskip(SKIP_2) | instid1(VALU_DEP_2)
	v_pk_fma_f32 v[150:151], v[144:145], v[134:135], v[148:149] op_sel:[0,0,1] op_sel_hi:[1,1,0] neg_lo:[0,0,1] neg_hi:[0,0,1]
	v_pk_fma_f32 v[144:145], v[144:145], v[134:135], v[148:149] op_sel:[0,0,1] op_sel_hi:[1,0,0]
	v_dual_mul_f32 v148, v147, v137 :: v_dual_mov_b32 v144, v147
	v_dual_mov_b32 v151, v145 :: v_dual_mov_b32 v145, v146
	s_delay_alu instid0(VALU_DEP_2) | instskip(SKIP_1) | instid1(VALU_DEP_3)
	v_pk_fma_f32 v[148:149], v[146:147], v[82:83], v[148:149] op_sel_hi:[1,1,0] neg_lo:[0,0,1] neg_hi:[0,0,1]
	v_mul_f32_e32 v146, v147, v134
	v_pk_add_f32 v[80:81], v[80:81], v[150:151] neg_lo:[0,1] neg_hi:[0,1]
	s_delay_alu instid0(VALU_DEP_2) | instskip(NEXT) | instid1(VALU_DEP_1)
	v_pk_fma_f32 v[144:145], v[144:145], v[82:83], v[146:147] op_sel_hi:[1,1,0]
	v_mov_b32_e32 v149, v145
	ds_load_2addr_b64 v[144:147], v138 offset0:34 offset1:35
	v_pk_add_f32 v[76:77], v[76:77], v[148:149] neg_lo:[0,1] neg_hi:[0,1]
	s_wait_dscnt 0x0
	v_pk_mul_f32 v[148:149], v[144:145], v[136:137] op_sel:[0,1]
	s_delay_alu instid0(VALU_DEP_1) | instskip(SKIP_1) | instid1(VALU_DEP_1)
	v_pk_fma_f32 v[150:151], v[144:145], v[134:135], v[148:149] op_sel:[0,0,1] op_sel_hi:[1,1,0] neg_lo:[0,0,1] neg_hi:[0,0,1]
	v_pk_fma_f32 v[144:145], v[144:145], v[134:135], v[148:149] op_sel:[0,0,1] op_sel_hi:[1,0,0]
	v_mov_b32_e32 v151, v145
	v_pk_mul_f32 v[144:145], v[146:147], v[136:137] op_sel:[0,1]
	s_delay_alu instid0(VALU_DEP_1) | instskip(SKIP_1) | instid1(VALU_DEP_1)
	v_pk_fma_f32 v[148:149], v[146:147], v[134:135], v[144:145] op_sel:[0,0,1] op_sel_hi:[1,1,0] neg_lo:[0,0,1] neg_hi:[0,0,1]
	v_pk_fma_f32 v[144:145], v[146:147], v[134:135], v[144:145] op_sel:[0,0,1] op_sel_hi:[1,0,0]
	v_mov_b32_e32 v149, v145
	ds_load_2addr_b64 v[144:147], v138 offset0:36 offset1:37
	v_pk_add_f32 v[78:79], v[78:79], v[150:151] neg_lo:[0,1] neg_hi:[0,1]
	v_pk_add_f32 v[24:25], v[24:25], v[148:149] neg_lo:[0,1] neg_hi:[0,1]
	s_wait_dscnt 0x0
	v_pk_mul_f32 v[148:149], v[144:145], v[136:137] op_sel:[0,1]
	s_delay_alu instid0(VALU_DEP_1) | instskip(SKIP_1) | instid1(VALU_DEP_1)
	v_pk_fma_f32 v[150:151], v[144:145], v[134:135], v[148:149] op_sel:[0,0,1] op_sel_hi:[1,1,0] neg_lo:[0,0,1] neg_hi:[0,0,1]
	v_pk_fma_f32 v[144:145], v[144:145], v[134:135], v[148:149] op_sel:[0,0,1] op_sel_hi:[1,0,0]
	v_mov_b32_e32 v151, v145
	v_pk_mul_f32 v[144:145], v[146:147], v[136:137] op_sel:[0,1]
	s_delay_alu instid0(VALU_DEP_1) | instskip(SKIP_1) | instid1(VALU_DEP_1)
	v_pk_fma_f32 v[148:149], v[146:147], v[134:135], v[144:145] op_sel:[0,0,1] op_sel_hi:[1,1,0] neg_lo:[0,0,1] neg_hi:[0,0,1]
	v_pk_fma_f32 v[144:145], v[146:147], v[134:135], v[144:145] op_sel:[0,0,1] op_sel_hi:[1,0,0]
	v_mov_b32_e32 v149, v145
	ds_load_2addr_b64 v[144:147], v138 offset0:38 offset1:39
	v_pk_add_f32 v[74:75], v[74:75], v[150:151] neg_lo:[0,1] neg_hi:[0,1]
	v_pk_add_f32 v[70:71], v[70:71], v[148:149] neg_lo:[0,1] neg_hi:[0,1]
	s_wait_dscnt 0x0
	v_dual_mul_f32 v148, v145, v137 :: v_dual_mul_f32 v150, v145, v134
	s_delay_alu instid0(VALU_DEP_1) | instskip(NEXT) | instid1(VALU_DEP_2)
	v_pk_fma_f32 v[148:149], v[144:145], v[82:83], v[148:149] op_sel_hi:[1,1,0] neg_lo:[0,0,1] neg_hi:[0,0,1]
	v_pk_fma_f32 v[144:145], v[144:145], v[82:83], v[150:151] op_sel:[1,0,0] op_sel_hi:[0,1,0]
	s_delay_alu instid0(VALU_DEP_1) | instskip(SKIP_1) | instid1(VALU_DEP_2)
	v_mov_b32_e32 v149, v145
	v_pk_mul_f32 v[144:145], v[146:147], v[136:137] op_sel:[0,1]
	v_pk_add_f32 v[72:73], v[72:73], v[148:149] neg_lo:[0,1] neg_hi:[0,1]
	s_delay_alu instid0(VALU_DEP_2) | instskip(SKIP_1) | instid1(VALU_DEP_1)
	v_pk_fma_f32 v[148:149], v[146:147], v[134:135], v[144:145] op_sel:[0,0,1] op_sel_hi:[1,1,0] neg_lo:[0,0,1] neg_hi:[0,0,1]
	v_pk_fma_f32 v[144:145], v[146:147], v[134:135], v[144:145] op_sel:[0,0,1] op_sel_hi:[1,0,0]
	v_mov_b32_e32 v149, v145
	ds_load_2addr_b64 v[144:147], v138 offset0:40 offset1:41
	v_pk_add_f32 v[22:23], v[22:23], v[148:149] neg_lo:[0,1] neg_hi:[0,1]
	s_wait_dscnt 0x0
	v_pk_mul_f32 v[148:149], v[144:145], v[136:137] op_sel:[0,1]
	s_delay_alu instid0(VALU_DEP_1) | instskip(SKIP_1) | instid1(VALU_DEP_1)
	v_pk_fma_f32 v[150:151], v[144:145], v[134:135], v[148:149] op_sel:[0,0,1] op_sel_hi:[1,1,0] neg_lo:[0,0,1] neg_hi:[0,0,1]
	v_pk_fma_f32 v[144:145], v[144:145], v[134:135], v[148:149] op_sel:[0,0,1] op_sel_hi:[1,0,0]
	v_mov_b32_e32 v151, v145
	v_pk_mul_f32 v[144:145], v[146:147], v[136:137] op_sel:[0,1]
	s_delay_alu instid0(VALU_DEP_2) | instskip(NEXT) | instid1(VALU_DEP_2)
	v_pk_add_f32 v[68:69], v[68:69], v[150:151] neg_lo:[0,1] neg_hi:[0,1]
	v_pk_fma_f32 v[148:149], v[146:147], v[134:135], v[144:145] op_sel:[0,0,1] op_sel_hi:[1,1,0] neg_lo:[0,0,1] neg_hi:[0,0,1]
	v_pk_fma_f32 v[144:145], v[146:147], v[134:135], v[144:145] op_sel:[0,0,1] op_sel_hi:[1,0,0]
	s_delay_alu instid0(VALU_DEP_1) | instskip(SKIP_4) | instid1(VALU_DEP_1)
	v_mov_b32_e32 v149, v145
	ds_load_2addr_b64 v[144:147], v138 offset0:42 offset1:43
	v_pk_add_f32 v[64:65], v[64:65], v[148:149] neg_lo:[0,1] neg_hi:[0,1]
	s_wait_dscnt 0x0
	v_pk_mul_f32 v[148:149], v[144:145], v[136:137] op_sel:[0,1]
	v_pk_fma_f32 v[150:151], v[144:145], v[134:135], v[148:149] op_sel:[0,0,1] op_sel_hi:[1,1,0] neg_lo:[0,0,1] neg_hi:[0,0,1]
	v_pk_fma_f32 v[144:145], v[144:145], v[134:135], v[148:149] op_sel:[0,0,1] op_sel_hi:[1,0,0]
	v_dual_mul_f32 v148, v147, v137 :: v_dual_mov_b32 v144, v147
	s_delay_alu instid0(VALU_DEP_2) | instskip(NEXT) | instid1(VALU_DEP_2)
	v_dual_mov_b32 v151, v145 :: v_dual_mov_b32 v145, v146
	v_pk_fma_f32 v[148:149], v[146:147], v[82:83], v[148:149] op_sel_hi:[1,1,0] neg_lo:[0,0,1] neg_hi:[0,0,1]
	v_mul_f32_e32 v146, v147, v134
	s_delay_alu instid0(VALU_DEP_3) | instskip(NEXT) | instid1(VALU_DEP_2)
	v_pk_add_f32 v[66:67], v[66:67], v[150:151] neg_lo:[0,1] neg_hi:[0,1]
	v_pk_fma_f32 v[144:145], v[144:145], v[82:83], v[146:147] op_sel_hi:[1,1,0]
	s_delay_alu instid0(VALU_DEP_1) | instskip(SKIP_4) | instid1(VALU_DEP_1)
	v_mov_b32_e32 v149, v145
	ds_load_2addr_b64 v[144:147], v138 offset0:44 offset1:45
	v_pk_add_f32 v[18:19], v[18:19], v[148:149] neg_lo:[0,1] neg_hi:[0,1]
	s_wait_dscnt 0x0
	v_pk_mul_f32 v[148:149], v[144:145], v[136:137] op_sel:[0,1]
	v_pk_fma_f32 v[150:151], v[144:145], v[134:135], v[148:149] op_sel:[0,0,1] op_sel_hi:[1,1,0] neg_lo:[0,0,1] neg_hi:[0,0,1]
	v_pk_fma_f32 v[144:145], v[144:145], v[134:135], v[148:149] op_sel:[0,0,1] op_sel_hi:[1,0,0]
	s_delay_alu instid0(VALU_DEP_1) | instskip(SKIP_1) | instid1(VALU_DEP_1)
	v_mov_b32_e32 v151, v145
	v_pk_mul_f32 v[144:145], v[146:147], v[136:137] op_sel:[0,1]
	v_pk_fma_f32 v[148:149], v[146:147], v[134:135], v[144:145] op_sel:[0,0,1] op_sel_hi:[1,1,0] neg_lo:[0,0,1] neg_hi:[0,0,1]
	v_pk_fma_f32 v[144:145], v[146:147], v[134:135], v[144:145] op_sel:[0,0,1] op_sel_hi:[1,0,0]
	s_delay_alu instid0(VALU_DEP_1)
	v_mov_b32_e32 v149, v145
	ds_load_2addr_b64 v[144:147], v138 offset0:46 offset1:47
	v_pk_add_f32 v[60:61], v[60:61], v[150:151] neg_lo:[0,1] neg_hi:[0,1]
	v_pk_add_f32 v[56:57], v[56:57], v[148:149] neg_lo:[0,1] neg_hi:[0,1]
	s_wait_dscnt 0x0
	v_pk_mul_f32 v[148:149], v[144:145], v[136:137] op_sel:[0,1]
	s_delay_alu instid0(VALU_DEP_1) | instskip(SKIP_1) | instid1(VALU_DEP_1)
	v_pk_fma_f32 v[150:151], v[144:145], v[134:135], v[148:149] op_sel:[0,0,1] op_sel_hi:[1,1,0] neg_lo:[0,0,1] neg_hi:[0,0,1]
	v_pk_fma_f32 v[144:145], v[144:145], v[134:135], v[148:149] op_sel:[0,0,1] op_sel_hi:[1,0,0]
	v_mov_b32_e32 v151, v145
	v_pk_mul_f32 v[144:145], v[146:147], v[136:137] op_sel:[0,1]
	s_delay_alu instid0(VALU_DEP_1) | instskip(SKIP_1) | instid1(VALU_DEP_1)
	v_pk_fma_f32 v[148:149], v[146:147], v[134:135], v[144:145] op_sel:[0,0,1] op_sel_hi:[1,1,0] neg_lo:[0,0,1] neg_hi:[0,0,1]
	v_pk_fma_f32 v[144:145], v[146:147], v[134:135], v[144:145] op_sel:[0,0,1] op_sel_hi:[1,0,0]
	v_mov_b32_e32 v149, v145
	ds_load_2addr_b64 v[144:147], v138 offset0:48 offset1:49
	v_pk_add_f32 v[58:59], v[58:59], v[150:151] neg_lo:[0,1] neg_hi:[0,1]
	v_pk_add_f32 v[12:13], v[12:13], v[148:149] neg_lo:[0,1] neg_hi:[0,1]
	s_wait_dscnt 0x0
	v_dual_mul_f32 v148, v145, v137 :: v_dual_mul_f32 v150, v145, v134
	s_delay_alu instid0(VALU_DEP_1) | instskip(NEXT) | instid1(VALU_DEP_2)
	v_pk_fma_f32 v[148:149], v[144:145], v[82:83], v[148:149] op_sel_hi:[1,1,0] neg_lo:[0,0,1] neg_hi:[0,0,1]
	v_pk_fma_f32 v[144:145], v[144:145], v[82:83], v[150:151] op_sel:[1,0,0] op_sel_hi:[0,1,0]
	s_delay_alu instid0(VALU_DEP_1) | instskip(SKIP_1) | instid1(VALU_DEP_2)
	v_mov_b32_e32 v149, v145
	v_pk_mul_f32 v[144:145], v[146:147], v[136:137] op_sel:[0,1]
	v_pk_add_f32 v[54:55], v[54:55], v[148:149] neg_lo:[0,1] neg_hi:[0,1]
	s_delay_alu instid0(VALU_DEP_2) | instskip(SKIP_1) | instid1(VALU_DEP_1)
	v_pk_fma_f32 v[148:149], v[146:147], v[134:135], v[144:145] op_sel:[0,0,1] op_sel_hi:[1,1,0] neg_lo:[0,0,1] neg_hi:[0,0,1]
	v_pk_fma_f32 v[144:145], v[146:147], v[134:135], v[144:145] op_sel:[0,0,1] op_sel_hi:[1,0,0]
	v_mov_b32_e32 v149, v145
	ds_load_2addr_b64 v[144:147], v138 offset0:50 offset1:51
	v_pk_add_f32 v[52:53], v[52:53], v[148:149] neg_lo:[0,1] neg_hi:[0,1]
	s_wait_dscnt 0x0
	v_pk_mul_f32 v[148:149], v[144:145], v[136:137] op_sel:[0,1]
	s_delay_alu instid0(VALU_DEP_1) | instskip(SKIP_1) | instid1(VALU_DEP_1)
	v_pk_fma_f32 v[150:151], v[144:145], v[134:135], v[148:149] op_sel:[0,0,1] op_sel_hi:[1,1,0] neg_lo:[0,0,1] neg_hi:[0,0,1]
	v_pk_fma_f32 v[144:145], v[144:145], v[134:135], v[148:149] op_sel:[0,0,1] op_sel_hi:[1,0,0]
	v_mov_b32_e32 v151, v145
	v_pk_mul_f32 v[144:145], v[146:147], v[136:137] op_sel:[0,1]
	s_delay_alu instid0(VALU_DEP_2) | instskip(NEXT) | instid1(VALU_DEP_2)
	v_pk_add_f32 v[62:63], v[62:63], v[150:151] neg_lo:[0,1] neg_hi:[0,1]
	v_pk_fma_f32 v[148:149], v[146:147], v[134:135], v[144:145] op_sel:[0,0,1] op_sel_hi:[1,1,0] neg_lo:[0,0,1] neg_hi:[0,0,1]
	v_pk_fma_f32 v[144:145], v[146:147], v[134:135], v[144:145] op_sel:[0,0,1] op_sel_hi:[1,0,0]
	s_delay_alu instid0(VALU_DEP_1) | instskip(SKIP_4) | instid1(VALU_DEP_1)
	v_mov_b32_e32 v149, v145
	ds_load_2addr_b64 v[144:147], v138 offset0:52 offset1:53
	v_pk_add_f32 v[16:17], v[16:17], v[148:149] neg_lo:[0,1] neg_hi:[0,1]
	s_wait_dscnt 0x0
	v_pk_mul_f32 v[148:149], v[144:145], v[136:137] op_sel:[0,1]
	v_pk_fma_f32 v[150:151], v[144:145], v[134:135], v[148:149] op_sel:[0,0,1] op_sel_hi:[1,1,0] neg_lo:[0,0,1] neg_hi:[0,0,1]
	v_pk_fma_f32 v[144:145], v[144:145], v[134:135], v[148:149] op_sel:[0,0,1] op_sel_hi:[1,0,0]
	v_dual_mul_f32 v148, v147, v137 :: v_dual_mov_b32 v144, v147
	s_delay_alu instid0(VALU_DEP_2) | instskip(NEXT) | instid1(VALU_DEP_2)
	v_dual_mov_b32 v151, v145 :: v_dual_mov_b32 v145, v146
	v_pk_fma_f32 v[148:149], v[146:147], v[82:83], v[148:149] op_sel_hi:[1,1,0] neg_lo:[0,0,1] neg_hi:[0,0,1]
	v_mul_f32_e32 v146, v147, v134
	s_delay_alu instid0(VALU_DEP_3) | instskip(NEXT) | instid1(VALU_DEP_2)
	v_pk_add_f32 v[48:49], v[48:49], v[150:151] neg_lo:[0,1] neg_hi:[0,1]
	v_pk_fma_f32 v[144:145], v[144:145], v[82:83], v[146:147] op_sel_hi:[1,1,0]
	s_delay_alu instid0(VALU_DEP_1) | instskip(SKIP_4) | instid1(VALU_DEP_1)
	v_mov_b32_e32 v149, v145
	ds_load_2addr_b64 v[144:147], v138 offset0:54 offset1:55
	v_pk_add_f32 v[42:43], v[42:43], v[148:149] neg_lo:[0,1] neg_hi:[0,1]
	s_wait_dscnt 0x0
	v_pk_mul_f32 v[148:149], v[144:145], v[136:137] op_sel:[0,1]
	v_pk_fma_f32 v[150:151], v[144:145], v[134:135], v[148:149] op_sel:[0,0,1] op_sel_hi:[1,1,0] neg_lo:[0,0,1] neg_hi:[0,0,1]
	v_pk_fma_f32 v[144:145], v[144:145], v[134:135], v[148:149] op_sel:[0,0,1] op_sel_hi:[1,0,0]
	s_delay_alu instid0(VALU_DEP_1) | instskip(SKIP_1) | instid1(VALU_DEP_1)
	v_mov_b32_e32 v151, v145
	v_pk_mul_f32 v[144:145], v[146:147], v[136:137] op_sel:[0,1]
	v_pk_fma_f32 v[148:149], v[146:147], v[134:135], v[144:145] op_sel:[0,0,1] op_sel_hi:[1,1,0] neg_lo:[0,0,1] neg_hi:[0,0,1]
	v_pk_fma_f32 v[144:145], v[146:147], v[134:135], v[144:145] op_sel:[0,0,1] op_sel_hi:[1,0,0]
	s_delay_alu instid0(VALU_DEP_1)
	v_mov_b32_e32 v149, v145
	ds_load_2addr_b64 v[144:147], v138 offset0:56 offset1:57
	v_pk_add_f32 v[46:47], v[46:47], v[150:151] neg_lo:[0,1] neg_hi:[0,1]
	v_pk_add_f32 v[8:9], v[8:9], v[148:149] neg_lo:[0,1] neg_hi:[0,1]
	s_wait_dscnt 0x0
	v_pk_mul_f32 v[148:149], v[144:145], v[136:137] op_sel:[0,1]
	s_delay_alu instid0(VALU_DEP_1) | instskip(SKIP_1) | instid1(VALU_DEP_1)
	v_pk_fma_f32 v[150:151], v[144:145], v[134:135], v[148:149] op_sel:[0,0,1] op_sel_hi:[1,1,0] neg_lo:[0,0,1] neg_hi:[0,0,1]
	v_pk_fma_f32 v[144:145], v[144:145], v[134:135], v[148:149] op_sel:[0,0,1] op_sel_hi:[1,0,0]
	v_mov_b32_e32 v151, v145
	v_pk_mul_f32 v[144:145], v[146:147], v[136:137] op_sel:[0,1]
	s_delay_alu instid0(VALU_DEP_1) | instskip(SKIP_1) | instid1(VALU_DEP_1)
	v_pk_fma_f32 v[148:149], v[146:147], v[134:135], v[144:145] op_sel:[0,0,1] op_sel_hi:[1,1,0] neg_lo:[0,0,1] neg_hi:[0,0,1]
	v_pk_fma_f32 v[144:145], v[146:147], v[134:135], v[144:145] op_sel:[0,0,1] op_sel_hi:[1,0,0]
	v_mov_b32_e32 v149, v145
	ds_load_2addr_b64 v[144:147], v138 offset0:58 offset1:59
	v_pk_add_f32 v[32:33], v[32:33], v[150:151] neg_lo:[0,1] neg_hi:[0,1]
	v_pk_add_f32 v[28:29], v[28:29], v[148:149] neg_lo:[0,1] neg_hi:[0,1]
	s_wait_dscnt 0x0
	v_dual_mul_f32 v148, v145, v137 :: v_dual_mul_f32 v150, v145, v134
	s_delay_alu instid0(VALU_DEP_1) | instskip(NEXT) | instid1(VALU_DEP_2)
	v_pk_fma_f32 v[148:149], v[144:145], v[82:83], v[148:149] op_sel_hi:[1,1,0] neg_lo:[0,0,1] neg_hi:[0,0,1]
	v_pk_fma_f32 v[144:145], v[144:145], v[82:83], v[150:151] op_sel:[1,0,0] op_sel_hi:[0,1,0]
	s_delay_alu instid0(VALU_DEP_1) | instskip(SKIP_1) | instid1(VALU_DEP_2)
	v_mov_b32_e32 v149, v145
	v_pk_mul_f32 v[144:145], v[146:147], v[136:137] op_sel:[0,1]
	v_pk_add_f32 v[30:31], v[30:31], v[148:149] neg_lo:[0,1] neg_hi:[0,1]
	s_delay_alu instid0(VALU_DEP_2) | instskip(SKIP_1) | instid1(VALU_DEP_1)
	v_pk_fma_f32 v[148:149], v[146:147], v[134:135], v[144:145] op_sel:[0,0,1] op_sel_hi:[1,1,0] neg_lo:[0,0,1] neg_hi:[0,0,1]
	v_pk_fma_f32 v[144:145], v[146:147], v[134:135], v[144:145] op_sel:[0,0,1] op_sel_hi:[1,0,0]
	v_mov_b32_e32 v149, v145
	ds_load_2addr_b64 v[144:147], v138 offset0:60 offset1:61
	v_pk_add_f32 v[6:7], v[6:7], v[148:149] neg_lo:[0,1] neg_hi:[0,1]
	s_wait_dscnt 0x0
	v_pk_mul_f32 v[148:149], v[144:145], v[136:137] op_sel:[0,1]
	s_delay_alu instid0(VALU_DEP_1) | instskip(SKIP_1) | instid1(VALU_DEP_1)
	v_pk_fma_f32 v[150:151], v[144:145], v[134:135], v[148:149] op_sel:[0,0,1] op_sel_hi:[1,1,0] neg_lo:[0,0,1] neg_hi:[0,0,1]
	v_pk_fma_f32 v[144:145], v[144:145], v[134:135], v[148:149] op_sel:[0,0,1] op_sel_hi:[1,0,0]
	v_mov_b32_e32 v151, v145
	v_pk_mul_f32 v[144:145], v[146:147], v[136:137] op_sel:[0,1]
	s_delay_alu instid0(VALU_DEP_2) | instskip(NEXT) | instid1(VALU_DEP_2)
	v_pk_add_f32 v[20:21], v[20:21], v[150:151] neg_lo:[0,1] neg_hi:[0,1]
	v_pk_fma_f32 v[148:149], v[146:147], v[134:135], v[144:145] op_sel:[0,0,1] op_sel_hi:[1,1,0] neg_lo:[0,0,1] neg_hi:[0,0,1]
	v_pk_fma_f32 v[144:145], v[146:147], v[134:135], v[144:145] op_sel:[0,0,1] op_sel_hi:[1,0,0]
	s_delay_alu instid0(VALU_DEP_1)
	v_mov_b32_e32 v149, v145
	ds_load_2addr_b64 v[144:147], v138 offset0:62 offset1:63
	v_pk_add_f32 v[14:15], v[14:15], v[148:149] neg_lo:[0,1] neg_hi:[0,1]
	s_wait_dscnt 0x0
	v_pk_mul_f32 v[148:149], v[144:145], v[136:137] op_sel:[0,1]
	v_pk_mul_f32 v[136:137], v[146:147], v[136:137] op_sel:[0,1]
	s_delay_alu instid0(VALU_DEP_2) | instskip(SKIP_1) | instid1(VALU_DEP_1)
	v_pk_fma_f32 v[150:151], v[144:145], v[134:135], v[148:149] op_sel:[0,0,1] op_sel_hi:[1,1,0] neg_lo:[0,0,1] neg_hi:[0,0,1]
	v_pk_fma_f32 v[144:145], v[144:145], v[134:135], v[148:149] op_sel:[0,0,1] op_sel_hi:[1,0,0]
	v_mov_b32_e32 v151, v145
	s_delay_alu instid0(VALU_DEP_4) | instskip(SKIP_1) | instid1(VALU_DEP_3)
	v_pk_fma_f32 v[144:145], v[146:147], v[134:135], v[136:137] op_sel:[0,0,1] op_sel_hi:[1,1,0] neg_lo:[0,0,1] neg_hi:[0,0,1]
	v_pk_fma_f32 v[134:135], v[146:147], v[134:135], v[136:137] op_sel:[0,0,1] op_sel_hi:[1,0,0]
	v_pk_add_f32 v[10:11], v[10:11], v[150:151] neg_lo:[0,1] neg_hi:[0,1]
	s_delay_alu instid0(VALU_DEP_2) | instskip(NEXT) | instid1(VALU_DEP_1)
	v_mov_b32_e32 v145, v135
	v_pk_add_f32 v[132:133], v[132:133], v[144:145] neg_lo:[0,1] neg_hi:[0,1]
.LBB126_629:
	s_or_b32 exec_lo, exec_lo, s0
	v_lshl_add_u32 v134, v142, 3, v138
	s_barrier_signal -1
	s_barrier_wait -1
	ds_store_b64 v134, v[84:85]
	s_wait_dscnt 0x0
	s_barrier_signal -1
	s_barrier_wait -1
	ds_load_b64 v[136:137], v138 offset:240
	v_mov_b32_e32 v134, 30
	s_cmp_lt_i32 s18, 32
	s_cbranch_scc1 .LBB126_632
; %bb.630:
	v_add3_u32 v135, v139, 0, 0xf8
	v_mov_b32_e32 v134, 30
	s_mov_b32 s0, 31
.LBB126_631:                            ; =>This Inner Loop Header: Depth=1
	ds_load_b64 v[144:145], v135
	s_wait_dscnt 0x1
	v_cmp_gt_f32_e32 vcc_lo, 0, v136
	v_cndmask_b32_e64 v146, v136, -v136, vcc_lo
	v_cmp_gt_f32_e32 vcc_lo, 0, v137
	v_cndmask_b32_e64 v148, v137, -v137, vcc_lo
	s_wait_dscnt 0x0
	v_cmp_gt_f32_e32 vcc_lo, 0, v144
	v_cndmask_b32_e64 v147, v144, -v144, vcc_lo
	v_cmp_gt_f32_e32 vcc_lo, 0, v145
	v_cndmask_b32_e64 v149, v145, -v145, vcc_lo
	s_delay_alu instid0(VALU_DEP_1) | instskip(NEXT) | instid1(VALU_DEP_1)
	v_pk_add_f32 v[146:147], v[146:147], v[148:149]
	v_cmp_lt_f32_e32 vcc_lo, v146, v147
	v_dual_add_nc_u32 v135, 8, v135 :: v_dual_cndmask_b32 v137, v137, v145, vcc_lo
	v_cndmask_b32_e32 v136, v136, v144, vcc_lo
	v_cndmask_b32_e64 v134, v134, s0, vcc_lo
	s_add_co_i32 s0, s0, 1
	s_delay_alu instid0(SALU_CYCLE_1)
	s_cmp_lg_u32 s18, s0
	s_cbranch_scc1 .LBB126_631
.LBB126_632:
	s_wait_dscnt 0x0
	v_cmp_eq_f32_e32 vcc_lo, 0, v136
	v_cmp_eq_f32_e64 s0, 0, v137
	s_and_b32 s0, vcc_lo, s0
	s_delay_alu instid0(SALU_CYCLE_1) | instskip(NEXT) | instid1(SALU_CYCLE_1)
	s_and_saveexec_b32 s1, s0
	s_xor_b32 s0, exec_lo, s1
; %bb.633:
	v_cmp_ne_u32_e32 vcc_lo, 0, v140
	v_cndmask_b32_e32 v140, 31, v140, vcc_lo
; %bb.634:
	s_and_not1_saveexec_b32 s0, s0
	s_cbranch_execz .LBB126_640
; %bb.635:
	v_cmp_ngt_f32_e64 s1, |v136|, |v137|
	s_and_saveexec_b32 s12, s1
	s_delay_alu instid0(SALU_CYCLE_1)
	s_xor_b32 s1, exec_lo, s12
	s_cbranch_execz .LBB126_637
; %bb.636:
	v_div_scale_f32 v135, null, v137, v137, v136
	v_div_scale_f32 v145, vcc_lo, v136, v137, v136
	s_delay_alu instid0(VALU_DEP_2) | instskip(SKIP_1) | instid1(TRANS32_DEP_1)
	v_rcp_f32_e32 v143, v135
	v_nop
	v_fma_f32 v144, -v135, v143, 1.0
	s_delay_alu instid0(VALU_DEP_1) | instskip(NEXT) | instid1(VALU_DEP_1)
	v_fmac_f32_e32 v143, v144, v143
	v_mul_f32_e32 v144, v145, v143
	s_delay_alu instid0(VALU_DEP_1) | instskip(NEXT) | instid1(VALU_DEP_1)
	v_fma_f32 v146, -v135, v144, v145
	v_fmac_f32_e32 v144, v146, v143
	s_delay_alu instid0(VALU_DEP_1) | instskip(NEXT) | instid1(VALU_DEP_1)
	v_fma_f32 v135, -v135, v144, v145
	v_div_fmas_f32 v135, v135, v143, v144
	s_delay_alu instid0(VALU_DEP_1) | instskip(NEXT) | instid1(VALU_DEP_1)
	v_div_fixup_f32 v135, v135, v137, v136
	v_fmac_f32_e32 v137, v136, v135
	s_delay_alu instid0(VALU_DEP_1) | instskip(SKIP_1) | instid1(VALU_DEP_2)
	v_div_scale_f32 v136, null, v137, v137, 1.0
	v_div_scale_f32 v145, vcc_lo, 1.0, v137, 1.0
	v_rcp_f32_e32 v143, v136
	v_nop
	s_delay_alu instid0(TRANS32_DEP_1) | instskip(NEXT) | instid1(VALU_DEP_1)
	v_fma_f32 v144, -v136, v143, 1.0
	v_fmac_f32_e32 v143, v144, v143
	s_delay_alu instid0(VALU_DEP_1) | instskip(NEXT) | instid1(VALU_DEP_1)
	v_mul_f32_e32 v144, v145, v143
	v_fma_f32 v146, -v136, v144, v145
	s_delay_alu instid0(VALU_DEP_1) | instskip(NEXT) | instid1(VALU_DEP_1)
	v_fmac_f32_e32 v144, v146, v143
	v_fma_f32 v136, -v136, v144, v145
	s_delay_alu instid0(VALU_DEP_1) | instskip(NEXT) | instid1(VALU_DEP_1)
	v_div_fmas_f32 v136, v136, v143, v144
	v_div_fixup_f32 v137, v136, v137, 1.0
	s_delay_alu instid0(VALU_DEP_1)
	v_mul_f32_e32 v136, v135, v137
	v_xor_b32_e32 v137, 0x80000000, v137
.LBB126_637:
	s_and_not1_saveexec_b32 s1, s1
	s_cbranch_execz .LBB126_639
; %bb.638:
	s_delay_alu instid0(VALU_DEP_1) | instskip(SKIP_1) | instid1(VALU_DEP_2)
	v_div_scale_f32 v135, null, v136, v136, v137
	v_div_scale_f32 v145, vcc_lo, v137, v136, v137
	v_rcp_f32_e32 v143, v135
	v_nop
	s_delay_alu instid0(TRANS32_DEP_1) | instskip(NEXT) | instid1(VALU_DEP_1)
	v_fma_f32 v144, -v135, v143, 1.0
	v_fmac_f32_e32 v143, v144, v143
	s_delay_alu instid0(VALU_DEP_1) | instskip(NEXT) | instid1(VALU_DEP_1)
	v_mul_f32_e32 v144, v145, v143
	v_fma_f32 v146, -v135, v144, v145
	s_delay_alu instid0(VALU_DEP_1) | instskip(NEXT) | instid1(VALU_DEP_1)
	v_fmac_f32_e32 v144, v146, v143
	v_fma_f32 v135, -v135, v144, v145
	s_delay_alu instid0(VALU_DEP_1) | instskip(NEXT) | instid1(VALU_DEP_1)
	v_div_fmas_f32 v135, v135, v143, v144
	v_div_fixup_f32 v135, v135, v136, v137
	s_delay_alu instid0(VALU_DEP_1) | instskip(NEXT) | instid1(VALU_DEP_1)
	v_fmac_f32_e32 v136, v137, v135
	v_div_scale_f32 v137, null, v136, v136, 1.0
	s_delay_alu instid0(VALU_DEP_1) | instskip(SKIP_1) | instid1(TRANS32_DEP_1)
	v_rcp_f32_e32 v143, v137
	v_nop
	v_fma_f32 v144, -v137, v143, 1.0
	s_delay_alu instid0(VALU_DEP_1) | instskip(SKIP_1) | instid1(VALU_DEP_1)
	v_fmac_f32_e32 v143, v144, v143
	v_div_scale_f32 v144, vcc_lo, 1.0, v136, 1.0
	v_mul_f32_e32 v145, v144, v143
	s_delay_alu instid0(VALU_DEP_1) | instskip(NEXT) | instid1(VALU_DEP_1)
	v_fma_f32 v146, -v137, v145, v144
	v_fmac_f32_e32 v145, v146, v143
	s_delay_alu instid0(VALU_DEP_1) | instskip(NEXT) | instid1(VALU_DEP_1)
	v_fma_f32 v137, -v137, v145, v144
	v_div_fmas_f32 v137, v137, v143, v145
	s_delay_alu instid0(VALU_DEP_1) | instskip(NEXT) | instid1(VALU_DEP_1)
	v_div_fixup_f32 v136, v137, v136, 1.0
	v_mul_f32_e64 v137, v135, -v136
.LBB126_639:
	s_or_b32 exec_lo, exec_lo, s1
.LBB126_640:
	s_delay_alu instid0(SALU_CYCLE_1) | instskip(NEXT) | instid1(SALU_CYCLE_1)
	s_or_b32 exec_lo, exec_lo, s0
	s_mov_b32 s0, exec_lo
	v_cmpx_ne_u32_e64 v142, v134
	s_xor_b32 s0, exec_lo, s0
	s_cbranch_execz .LBB126_646
; %bb.641:
	s_mov_b32 s1, exec_lo
	v_cmpx_eq_u32_e32 30, v142
	s_cbranch_execz .LBB126_645
; %bb.642:
	v_cmp_ne_u32_e32 vcc_lo, 30, v134
	s_xor_b32 s12, s16, -1
	s_delay_alu instid0(SALU_CYCLE_1) | instskip(NEXT) | instid1(SALU_CYCLE_1)
	s_and_b32 s13, s12, vcc_lo
	s_and_saveexec_b32 s12, s13
	s_cbranch_execz .LBB126_644
; %bb.643:
	v_ashrrev_i32_e32 v135, 31, v134
	s_delay_alu instid0(VALU_DEP_1)
	v_lshl_add_u64 v[142:143], v[134:135], 2, v[4:5]
	s_clause 0x1
	global_load_b32 v135, v[142:143], off
	global_load_b32 v141, v[4:5], off offset:120
	s_wait_loadcnt 0x1
	global_store_b32 v[4:5], v135, off offset:120
	s_wait_loadcnt 0x0
	global_store_b32 v[142:143], v141, off
.LBB126_644:
	s_wait_xcnt 0x0
	s_or_b32 exec_lo, exec_lo, s12
	v_dual_mov_b32 v142, v134 :: v_dual_mov_b32 v141, v134
.LBB126_645:
	s_or_b32 exec_lo, exec_lo, s1
.LBB126_646:
	s_and_not1_saveexec_b32 s0, s0
	s_cbranch_execz .LBB126_648
; %bb.647:
	v_mov_b32_e32 v142, 30
	ds_store_2addr_b64 v138, v[26:27], v[80:81] offset0:31 offset1:32
	ds_store_2addr_b64 v138, v[76:77], v[78:79] offset0:33 offset1:34
	ds_store_2addr_b64 v138, v[24:25], v[74:75] offset0:35 offset1:36
	ds_store_2addr_b64 v138, v[70:71], v[72:73] offset0:37 offset1:38
	ds_store_2addr_b64 v138, v[22:23], v[68:69] offset0:39 offset1:40
	ds_store_2addr_b64 v138, v[64:65], v[66:67] offset0:41 offset1:42
	ds_store_2addr_b64 v138, v[18:19], v[60:61] offset0:43 offset1:44
	ds_store_2addr_b64 v138, v[56:57], v[58:59] offset0:45 offset1:46
	ds_store_2addr_b64 v138, v[12:13], v[54:55] offset0:47 offset1:48
	ds_store_2addr_b64 v138, v[52:53], v[62:63] offset0:49 offset1:50
	ds_store_2addr_b64 v138, v[16:17], v[48:49] offset0:51 offset1:52
	ds_store_2addr_b64 v138, v[42:43], v[46:47] offset0:53 offset1:54
	ds_store_2addr_b64 v138, v[8:9], v[32:33] offset0:55 offset1:56
	ds_store_2addr_b64 v138, v[28:29], v[30:31] offset0:57 offset1:58
	ds_store_2addr_b64 v138, v[6:7], v[20:21] offset0:59 offset1:60
	ds_store_2addr_b64 v138, v[14:15], v[10:11] offset0:61 offset1:62
	ds_store_b64 v138, v[132:133] offset:504
.LBB126_648:
	s_or_b32 exec_lo, exec_lo, s0
	s_delay_alu instid0(SALU_CYCLE_1)
	s_mov_b32 s0, exec_lo
	s_wait_storecnt_dscnt 0x0
	s_barrier_signal -1
	s_barrier_wait -1
	v_cmpx_lt_i32_e32 30, v142
	s_cbranch_execz .LBB126_650
; %bb.649:
	v_pk_mul_f32 v[144:145], v[136:137], v[84:85] op_sel:[1,1] op_sel_hi:[0,1]
	s_delay_alu instid0(VALU_DEP_1)
	v_pk_fma_f32 v[134:135], v[136:137], v[84:85], v[144:145] op_sel_hi:[1,0,1] neg_lo:[0,0,1] neg_hi:[0,0,1]
	v_pk_fma_f32 v[136:137], v[136:137], v[84:85], v[144:145] op_sel_hi:[1,0,1]
	ds_load_2addr_b64 v[144:147], v138 offset0:31 offset1:32
	v_dual_mov_b32 v84, v134 :: v_dual_mov_b32 v85, v137
	s_wait_dscnt 0x0
	v_pk_mul_f32 v[148:149], v[144:145], v[136:137] op_sel:[0,1]
	s_delay_alu instid0(VALU_DEP_1) | instskip(SKIP_1) | instid1(VALU_DEP_1)
	v_pk_fma_f32 v[150:151], v[144:145], v[134:135], v[148:149] op_sel:[0,0,1] op_sel_hi:[1,1,0] neg_lo:[0,0,1] neg_hi:[0,0,1]
	v_pk_fma_f32 v[144:145], v[144:145], v[134:135], v[148:149] op_sel:[0,0,1] op_sel_hi:[1,0,0]
	v_mov_b32_e32 v151, v145
	v_pk_mul_f32 v[144:145], v[146:147], v[136:137] op_sel:[0,1]
	s_delay_alu instid0(VALU_DEP_1) | instskip(SKIP_1) | instid1(VALU_DEP_1)
	v_pk_fma_f32 v[148:149], v[146:147], v[134:135], v[144:145] op_sel:[0,0,1] op_sel_hi:[1,1,0] neg_lo:[0,0,1] neg_hi:[0,0,1]
	v_pk_fma_f32 v[144:145], v[146:147], v[134:135], v[144:145] op_sel:[0,0,1] op_sel_hi:[1,0,0]
	v_mov_b32_e32 v149, v145
	ds_load_2addr_b64 v[144:147], v138 offset0:33 offset1:34
	v_pk_add_f32 v[26:27], v[26:27], v[150:151] neg_lo:[0,1] neg_hi:[0,1]
	v_pk_add_f32 v[80:81], v[80:81], v[148:149] neg_lo:[0,1] neg_hi:[0,1]
	s_wait_dscnt 0x0
	v_pk_mul_f32 v[148:149], v[144:145], v[136:137] op_sel:[0,1]
	s_delay_alu instid0(VALU_DEP_1) | instskip(SKIP_2) | instid1(VALU_DEP_2)
	v_pk_fma_f32 v[150:151], v[144:145], v[134:135], v[148:149] op_sel:[0,0,1] op_sel_hi:[1,1,0] neg_lo:[0,0,1] neg_hi:[0,0,1]
	v_pk_fma_f32 v[144:145], v[144:145], v[134:135], v[148:149] op_sel:[0,0,1] op_sel_hi:[1,0,0]
	v_dual_mul_f32 v148, v147, v137 :: v_dual_mov_b32 v144, v147
	v_dual_mov_b32 v151, v145 :: v_dual_mov_b32 v145, v146
	s_delay_alu instid0(VALU_DEP_2) | instskip(SKIP_1) | instid1(VALU_DEP_3)
	v_pk_fma_f32 v[148:149], v[146:147], v[84:85], v[148:149] op_sel_hi:[1,1,0] neg_lo:[0,0,1] neg_hi:[0,0,1]
	v_mul_f32_e32 v146, v147, v134
	v_pk_add_f32 v[76:77], v[76:77], v[150:151] neg_lo:[0,1] neg_hi:[0,1]
	s_delay_alu instid0(VALU_DEP_2) | instskip(NEXT) | instid1(VALU_DEP_1)
	v_pk_fma_f32 v[144:145], v[144:145], v[84:85], v[146:147] op_sel_hi:[1,1,0]
	v_mov_b32_e32 v149, v145
	ds_load_2addr_b64 v[144:147], v138 offset0:35 offset1:36
	v_pk_add_f32 v[78:79], v[78:79], v[148:149] neg_lo:[0,1] neg_hi:[0,1]
	s_wait_dscnt 0x0
	v_pk_mul_f32 v[148:149], v[144:145], v[136:137] op_sel:[0,1]
	s_delay_alu instid0(VALU_DEP_1) | instskip(SKIP_1) | instid1(VALU_DEP_1)
	v_pk_fma_f32 v[150:151], v[144:145], v[134:135], v[148:149] op_sel:[0,0,1] op_sel_hi:[1,1,0] neg_lo:[0,0,1] neg_hi:[0,0,1]
	v_pk_fma_f32 v[144:145], v[144:145], v[134:135], v[148:149] op_sel:[0,0,1] op_sel_hi:[1,0,0]
	v_mov_b32_e32 v151, v145
	v_pk_mul_f32 v[144:145], v[146:147], v[136:137] op_sel:[0,1]
	s_delay_alu instid0(VALU_DEP_1) | instskip(SKIP_1) | instid1(VALU_DEP_1)
	v_pk_fma_f32 v[148:149], v[146:147], v[134:135], v[144:145] op_sel:[0,0,1] op_sel_hi:[1,1,0] neg_lo:[0,0,1] neg_hi:[0,0,1]
	v_pk_fma_f32 v[144:145], v[146:147], v[134:135], v[144:145] op_sel:[0,0,1] op_sel_hi:[1,0,0]
	v_mov_b32_e32 v149, v145
	ds_load_2addr_b64 v[144:147], v138 offset0:37 offset1:38
	v_pk_add_f32 v[24:25], v[24:25], v[150:151] neg_lo:[0,1] neg_hi:[0,1]
	v_pk_add_f32 v[74:75], v[74:75], v[148:149] neg_lo:[0,1] neg_hi:[0,1]
	s_wait_dscnt 0x0
	v_pk_mul_f32 v[148:149], v[144:145], v[136:137] op_sel:[0,1]
	s_delay_alu instid0(VALU_DEP_1) | instskip(SKIP_1) | instid1(VALU_DEP_1)
	v_pk_fma_f32 v[150:151], v[144:145], v[134:135], v[148:149] op_sel:[0,0,1] op_sel_hi:[1,1,0] neg_lo:[0,0,1] neg_hi:[0,0,1]
	v_pk_fma_f32 v[144:145], v[144:145], v[134:135], v[148:149] op_sel:[0,0,1] op_sel_hi:[1,0,0]
	v_mov_b32_e32 v151, v145
	v_pk_mul_f32 v[144:145], v[146:147], v[136:137] op_sel:[0,1]
	s_delay_alu instid0(VALU_DEP_1) | instskip(SKIP_1) | instid1(VALU_DEP_1)
	v_pk_fma_f32 v[148:149], v[146:147], v[134:135], v[144:145] op_sel:[0,0,1] op_sel_hi:[1,1,0] neg_lo:[0,0,1] neg_hi:[0,0,1]
	v_pk_fma_f32 v[144:145], v[146:147], v[134:135], v[144:145] op_sel:[0,0,1] op_sel_hi:[1,0,0]
	v_mov_b32_e32 v149, v145
	ds_load_2addr_b64 v[144:147], v138 offset0:39 offset1:40
	v_pk_add_f32 v[70:71], v[70:71], v[150:151] neg_lo:[0,1] neg_hi:[0,1]
	v_pk_add_f32 v[72:73], v[72:73], v[148:149] neg_lo:[0,1] neg_hi:[0,1]
	s_wait_dscnt 0x0
	v_dual_mul_f32 v148, v145, v137 :: v_dual_mul_f32 v150, v145, v134
	s_delay_alu instid0(VALU_DEP_1) | instskip(NEXT) | instid1(VALU_DEP_2)
	v_pk_fma_f32 v[148:149], v[144:145], v[84:85], v[148:149] op_sel_hi:[1,1,0] neg_lo:[0,0,1] neg_hi:[0,0,1]
	v_pk_fma_f32 v[144:145], v[144:145], v[84:85], v[150:151] op_sel:[1,0,0] op_sel_hi:[0,1,0]
	s_delay_alu instid0(VALU_DEP_1) | instskip(SKIP_1) | instid1(VALU_DEP_2)
	v_mov_b32_e32 v149, v145
	v_pk_mul_f32 v[144:145], v[146:147], v[136:137] op_sel:[0,1]
	v_pk_add_f32 v[22:23], v[22:23], v[148:149] neg_lo:[0,1] neg_hi:[0,1]
	s_delay_alu instid0(VALU_DEP_2) | instskip(SKIP_1) | instid1(VALU_DEP_1)
	v_pk_fma_f32 v[148:149], v[146:147], v[134:135], v[144:145] op_sel:[0,0,1] op_sel_hi:[1,1,0] neg_lo:[0,0,1] neg_hi:[0,0,1]
	v_pk_fma_f32 v[144:145], v[146:147], v[134:135], v[144:145] op_sel:[0,0,1] op_sel_hi:[1,0,0]
	v_mov_b32_e32 v149, v145
	ds_load_2addr_b64 v[144:147], v138 offset0:41 offset1:42
	v_pk_add_f32 v[68:69], v[68:69], v[148:149] neg_lo:[0,1] neg_hi:[0,1]
	s_wait_dscnt 0x0
	v_pk_mul_f32 v[148:149], v[144:145], v[136:137] op_sel:[0,1]
	s_delay_alu instid0(VALU_DEP_1) | instskip(SKIP_1) | instid1(VALU_DEP_1)
	v_pk_fma_f32 v[150:151], v[144:145], v[134:135], v[148:149] op_sel:[0,0,1] op_sel_hi:[1,1,0] neg_lo:[0,0,1] neg_hi:[0,0,1]
	v_pk_fma_f32 v[144:145], v[144:145], v[134:135], v[148:149] op_sel:[0,0,1] op_sel_hi:[1,0,0]
	v_mov_b32_e32 v151, v145
	v_pk_mul_f32 v[144:145], v[146:147], v[136:137] op_sel:[0,1]
	s_delay_alu instid0(VALU_DEP_2) | instskip(NEXT) | instid1(VALU_DEP_2)
	v_pk_add_f32 v[64:65], v[64:65], v[150:151] neg_lo:[0,1] neg_hi:[0,1]
	v_pk_fma_f32 v[148:149], v[146:147], v[134:135], v[144:145] op_sel:[0,0,1] op_sel_hi:[1,1,0] neg_lo:[0,0,1] neg_hi:[0,0,1]
	v_pk_fma_f32 v[144:145], v[146:147], v[134:135], v[144:145] op_sel:[0,0,1] op_sel_hi:[1,0,0]
	s_delay_alu instid0(VALU_DEP_1) | instskip(SKIP_4) | instid1(VALU_DEP_1)
	v_mov_b32_e32 v149, v145
	ds_load_2addr_b64 v[144:147], v138 offset0:43 offset1:44
	v_pk_add_f32 v[66:67], v[66:67], v[148:149] neg_lo:[0,1] neg_hi:[0,1]
	s_wait_dscnt 0x0
	v_pk_mul_f32 v[148:149], v[144:145], v[136:137] op_sel:[0,1]
	v_pk_fma_f32 v[150:151], v[144:145], v[134:135], v[148:149] op_sel:[0,0,1] op_sel_hi:[1,1,0] neg_lo:[0,0,1] neg_hi:[0,0,1]
	v_pk_fma_f32 v[144:145], v[144:145], v[134:135], v[148:149] op_sel:[0,0,1] op_sel_hi:[1,0,0]
	v_dual_mul_f32 v148, v147, v137 :: v_dual_mov_b32 v144, v147
	s_delay_alu instid0(VALU_DEP_2) | instskip(NEXT) | instid1(VALU_DEP_2)
	v_dual_mov_b32 v151, v145 :: v_dual_mov_b32 v145, v146
	v_pk_fma_f32 v[148:149], v[146:147], v[84:85], v[148:149] op_sel_hi:[1,1,0] neg_lo:[0,0,1] neg_hi:[0,0,1]
	v_mul_f32_e32 v146, v147, v134
	s_delay_alu instid0(VALU_DEP_3) | instskip(NEXT) | instid1(VALU_DEP_2)
	v_pk_add_f32 v[18:19], v[18:19], v[150:151] neg_lo:[0,1] neg_hi:[0,1]
	v_pk_fma_f32 v[144:145], v[144:145], v[84:85], v[146:147] op_sel_hi:[1,1,0]
	s_delay_alu instid0(VALU_DEP_1) | instskip(SKIP_4) | instid1(VALU_DEP_1)
	v_mov_b32_e32 v149, v145
	ds_load_2addr_b64 v[144:147], v138 offset0:45 offset1:46
	v_pk_add_f32 v[60:61], v[60:61], v[148:149] neg_lo:[0,1] neg_hi:[0,1]
	s_wait_dscnt 0x0
	v_pk_mul_f32 v[148:149], v[144:145], v[136:137] op_sel:[0,1]
	v_pk_fma_f32 v[150:151], v[144:145], v[134:135], v[148:149] op_sel:[0,0,1] op_sel_hi:[1,1,0] neg_lo:[0,0,1] neg_hi:[0,0,1]
	v_pk_fma_f32 v[144:145], v[144:145], v[134:135], v[148:149] op_sel:[0,0,1] op_sel_hi:[1,0,0]
	s_delay_alu instid0(VALU_DEP_1) | instskip(SKIP_1) | instid1(VALU_DEP_1)
	v_mov_b32_e32 v151, v145
	v_pk_mul_f32 v[144:145], v[146:147], v[136:137] op_sel:[0,1]
	v_pk_fma_f32 v[148:149], v[146:147], v[134:135], v[144:145] op_sel:[0,0,1] op_sel_hi:[1,1,0] neg_lo:[0,0,1] neg_hi:[0,0,1]
	v_pk_fma_f32 v[144:145], v[146:147], v[134:135], v[144:145] op_sel:[0,0,1] op_sel_hi:[1,0,0]
	s_delay_alu instid0(VALU_DEP_1)
	v_mov_b32_e32 v149, v145
	ds_load_2addr_b64 v[144:147], v138 offset0:47 offset1:48
	v_pk_add_f32 v[56:57], v[56:57], v[150:151] neg_lo:[0,1] neg_hi:[0,1]
	v_pk_add_f32 v[58:59], v[58:59], v[148:149] neg_lo:[0,1] neg_hi:[0,1]
	s_wait_dscnt 0x0
	v_pk_mul_f32 v[148:149], v[144:145], v[136:137] op_sel:[0,1]
	s_delay_alu instid0(VALU_DEP_1) | instskip(SKIP_1) | instid1(VALU_DEP_1)
	v_pk_fma_f32 v[150:151], v[144:145], v[134:135], v[148:149] op_sel:[0,0,1] op_sel_hi:[1,1,0] neg_lo:[0,0,1] neg_hi:[0,0,1]
	v_pk_fma_f32 v[144:145], v[144:145], v[134:135], v[148:149] op_sel:[0,0,1] op_sel_hi:[1,0,0]
	v_mov_b32_e32 v151, v145
	v_pk_mul_f32 v[144:145], v[146:147], v[136:137] op_sel:[0,1]
	s_delay_alu instid0(VALU_DEP_1) | instskip(SKIP_1) | instid1(VALU_DEP_1)
	v_pk_fma_f32 v[148:149], v[146:147], v[134:135], v[144:145] op_sel:[0,0,1] op_sel_hi:[1,1,0] neg_lo:[0,0,1] neg_hi:[0,0,1]
	v_pk_fma_f32 v[144:145], v[146:147], v[134:135], v[144:145] op_sel:[0,0,1] op_sel_hi:[1,0,0]
	v_mov_b32_e32 v149, v145
	ds_load_2addr_b64 v[144:147], v138 offset0:49 offset1:50
	v_pk_add_f32 v[12:13], v[12:13], v[150:151] neg_lo:[0,1] neg_hi:[0,1]
	v_pk_add_f32 v[54:55], v[54:55], v[148:149] neg_lo:[0,1] neg_hi:[0,1]
	s_wait_dscnt 0x0
	v_dual_mul_f32 v148, v145, v137 :: v_dual_mul_f32 v150, v145, v134
	s_delay_alu instid0(VALU_DEP_1) | instskip(NEXT) | instid1(VALU_DEP_2)
	v_pk_fma_f32 v[148:149], v[144:145], v[84:85], v[148:149] op_sel_hi:[1,1,0] neg_lo:[0,0,1] neg_hi:[0,0,1]
	v_pk_fma_f32 v[144:145], v[144:145], v[84:85], v[150:151] op_sel:[1,0,0] op_sel_hi:[0,1,0]
	s_delay_alu instid0(VALU_DEP_1) | instskip(SKIP_1) | instid1(VALU_DEP_2)
	v_mov_b32_e32 v149, v145
	v_pk_mul_f32 v[144:145], v[146:147], v[136:137] op_sel:[0,1]
	v_pk_add_f32 v[52:53], v[52:53], v[148:149] neg_lo:[0,1] neg_hi:[0,1]
	s_delay_alu instid0(VALU_DEP_2) | instskip(SKIP_1) | instid1(VALU_DEP_1)
	v_pk_fma_f32 v[148:149], v[146:147], v[134:135], v[144:145] op_sel:[0,0,1] op_sel_hi:[1,1,0] neg_lo:[0,0,1] neg_hi:[0,0,1]
	v_pk_fma_f32 v[144:145], v[146:147], v[134:135], v[144:145] op_sel:[0,0,1] op_sel_hi:[1,0,0]
	v_mov_b32_e32 v149, v145
	ds_load_2addr_b64 v[144:147], v138 offset0:51 offset1:52
	v_pk_add_f32 v[62:63], v[62:63], v[148:149] neg_lo:[0,1] neg_hi:[0,1]
	s_wait_dscnt 0x0
	v_pk_mul_f32 v[148:149], v[144:145], v[136:137] op_sel:[0,1]
	s_delay_alu instid0(VALU_DEP_1) | instskip(SKIP_1) | instid1(VALU_DEP_1)
	v_pk_fma_f32 v[150:151], v[144:145], v[134:135], v[148:149] op_sel:[0,0,1] op_sel_hi:[1,1,0] neg_lo:[0,0,1] neg_hi:[0,0,1]
	v_pk_fma_f32 v[144:145], v[144:145], v[134:135], v[148:149] op_sel:[0,0,1] op_sel_hi:[1,0,0]
	v_mov_b32_e32 v151, v145
	v_pk_mul_f32 v[144:145], v[146:147], v[136:137] op_sel:[0,1]
	s_delay_alu instid0(VALU_DEP_2) | instskip(NEXT) | instid1(VALU_DEP_2)
	v_pk_add_f32 v[16:17], v[16:17], v[150:151] neg_lo:[0,1] neg_hi:[0,1]
	v_pk_fma_f32 v[148:149], v[146:147], v[134:135], v[144:145] op_sel:[0,0,1] op_sel_hi:[1,1,0] neg_lo:[0,0,1] neg_hi:[0,0,1]
	v_pk_fma_f32 v[144:145], v[146:147], v[134:135], v[144:145] op_sel:[0,0,1] op_sel_hi:[1,0,0]
	s_delay_alu instid0(VALU_DEP_1) | instskip(SKIP_4) | instid1(VALU_DEP_1)
	v_mov_b32_e32 v149, v145
	ds_load_2addr_b64 v[144:147], v138 offset0:53 offset1:54
	v_pk_add_f32 v[48:49], v[48:49], v[148:149] neg_lo:[0,1] neg_hi:[0,1]
	s_wait_dscnt 0x0
	v_pk_mul_f32 v[148:149], v[144:145], v[136:137] op_sel:[0,1]
	v_pk_fma_f32 v[150:151], v[144:145], v[134:135], v[148:149] op_sel:[0,0,1] op_sel_hi:[1,1,0] neg_lo:[0,0,1] neg_hi:[0,0,1]
	v_pk_fma_f32 v[144:145], v[144:145], v[134:135], v[148:149] op_sel:[0,0,1] op_sel_hi:[1,0,0]
	v_dual_mul_f32 v148, v147, v137 :: v_dual_mov_b32 v144, v147
	s_delay_alu instid0(VALU_DEP_2) | instskip(NEXT) | instid1(VALU_DEP_2)
	v_dual_mov_b32 v151, v145 :: v_dual_mov_b32 v145, v146
	v_pk_fma_f32 v[148:149], v[146:147], v[84:85], v[148:149] op_sel_hi:[1,1,0] neg_lo:[0,0,1] neg_hi:[0,0,1]
	v_mul_f32_e32 v146, v147, v134
	s_delay_alu instid0(VALU_DEP_3) | instskip(NEXT) | instid1(VALU_DEP_2)
	v_pk_add_f32 v[42:43], v[42:43], v[150:151] neg_lo:[0,1] neg_hi:[0,1]
	v_pk_fma_f32 v[144:145], v[144:145], v[84:85], v[146:147] op_sel_hi:[1,1,0]
	s_delay_alu instid0(VALU_DEP_1) | instskip(SKIP_4) | instid1(VALU_DEP_1)
	v_mov_b32_e32 v149, v145
	ds_load_2addr_b64 v[144:147], v138 offset0:55 offset1:56
	v_pk_add_f32 v[46:47], v[46:47], v[148:149] neg_lo:[0,1] neg_hi:[0,1]
	s_wait_dscnt 0x0
	v_pk_mul_f32 v[148:149], v[144:145], v[136:137] op_sel:[0,1]
	v_pk_fma_f32 v[150:151], v[144:145], v[134:135], v[148:149] op_sel:[0,0,1] op_sel_hi:[1,1,0] neg_lo:[0,0,1] neg_hi:[0,0,1]
	v_pk_fma_f32 v[144:145], v[144:145], v[134:135], v[148:149] op_sel:[0,0,1] op_sel_hi:[1,0,0]
	s_delay_alu instid0(VALU_DEP_1) | instskip(SKIP_1) | instid1(VALU_DEP_1)
	v_mov_b32_e32 v151, v145
	v_pk_mul_f32 v[144:145], v[146:147], v[136:137] op_sel:[0,1]
	v_pk_fma_f32 v[148:149], v[146:147], v[134:135], v[144:145] op_sel:[0,0,1] op_sel_hi:[1,1,0] neg_lo:[0,0,1] neg_hi:[0,0,1]
	v_pk_fma_f32 v[144:145], v[146:147], v[134:135], v[144:145] op_sel:[0,0,1] op_sel_hi:[1,0,0]
	s_delay_alu instid0(VALU_DEP_1)
	v_mov_b32_e32 v149, v145
	ds_load_2addr_b64 v[144:147], v138 offset0:57 offset1:58
	v_pk_add_f32 v[8:9], v[8:9], v[150:151] neg_lo:[0,1] neg_hi:[0,1]
	v_pk_add_f32 v[32:33], v[32:33], v[148:149] neg_lo:[0,1] neg_hi:[0,1]
	s_wait_dscnt 0x0
	v_pk_mul_f32 v[148:149], v[144:145], v[136:137] op_sel:[0,1]
	s_delay_alu instid0(VALU_DEP_1) | instskip(SKIP_1) | instid1(VALU_DEP_1)
	v_pk_fma_f32 v[150:151], v[144:145], v[134:135], v[148:149] op_sel:[0,0,1] op_sel_hi:[1,1,0] neg_lo:[0,0,1] neg_hi:[0,0,1]
	v_pk_fma_f32 v[144:145], v[144:145], v[134:135], v[148:149] op_sel:[0,0,1] op_sel_hi:[1,0,0]
	v_mov_b32_e32 v151, v145
	v_pk_mul_f32 v[144:145], v[146:147], v[136:137] op_sel:[0,1]
	s_delay_alu instid0(VALU_DEP_1) | instskip(SKIP_1) | instid1(VALU_DEP_1)
	v_pk_fma_f32 v[148:149], v[146:147], v[134:135], v[144:145] op_sel:[0,0,1] op_sel_hi:[1,1,0] neg_lo:[0,0,1] neg_hi:[0,0,1]
	v_pk_fma_f32 v[144:145], v[146:147], v[134:135], v[144:145] op_sel:[0,0,1] op_sel_hi:[1,0,0]
	v_mov_b32_e32 v149, v145
	ds_load_2addr_b64 v[144:147], v138 offset0:59 offset1:60
	v_pk_add_f32 v[28:29], v[28:29], v[150:151] neg_lo:[0,1] neg_hi:[0,1]
	v_pk_add_f32 v[30:31], v[30:31], v[148:149] neg_lo:[0,1] neg_hi:[0,1]
	s_wait_dscnt 0x0
	v_dual_mul_f32 v148, v145, v137 :: v_dual_mul_f32 v150, v145, v134
	s_delay_alu instid0(VALU_DEP_1) | instskip(NEXT) | instid1(VALU_DEP_2)
	v_pk_fma_f32 v[148:149], v[144:145], v[84:85], v[148:149] op_sel_hi:[1,1,0] neg_lo:[0,0,1] neg_hi:[0,0,1]
	v_pk_fma_f32 v[144:145], v[144:145], v[84:85], v[150:151] op_sel:[1,0,0] op_sel_hi:[0,1,0]
	s_delay_alu instid0(VALU_DEP_1) | instskip(SKIP_1) | instid1(VALU_DEP_2)
	v_mov_b32_e32 v149, v145
	v_pk_mul_f32 v[144:145], v[146:147], v[136:137] op_sel:[0,1]
	v_pk_add_f32 v[6:7], v[6:7], v[148:149] neg_lo:[0,1] neg_hi:[0,1]
	s_delay_alu instid0(VALU_DEP_2) | instskip(SKIP_1) | instid1(VALU_DEP_1)
	v_pk_fma_f32 v[148:149], v[146:147], v[134:135], v[144:145] op_sel:[0,0,1] op_sel_hi:[1,1,0] neg_lo:[0,0,1] neg_hi:[0,0,1]
	v_pk_fma_f32 v[144:145], v[146:147], v[134:135], v[144:145] op_sel:[0,0,1] op_sel_hi:[1,0,0]
	v_mov_b32_e32 v149, v145
	ds_load_2addr_b64 v[144:147], v138 offset0:61 offset1:62
	v_pk_add_f32 v[20:21], v[20:21], v[148:149] neg_lo:[0,1] neg_hi:[0,1]
	s_wait_dscnt 0x0
	v_pk_mul_f32 v[148:149], v[144:145], v[136:137] op_sel:[0,1]
	s_delay_alu instid0(VALU_DEP_1) | instskip(SKIP_1) | instid1(VALU_DEP_1)
	v_pk_fma_f32 v[150:151], v[144:145], v[134:135], v[148:149] op_sel:[0,0,1] op_sel_hi:[1,1,0] neg_lo:[0,0,1] neg_hi:[0,0,1]
	v_pk_fma_f32 v[144:145], v[144:145], v[134:135], v[148:149] op_sel:[0,0,1] op_sel_hi:[1,0,0]
	v_mov_b32_e32 v151, v145
	v_pk_mul_f32 v[144:145], v[146:147], v[136:137] op_sel:[0,1]
	s_delay_alu instid0(VALU_DEP_2) | instskip(NEXT) | instid1(VALU_DEP_2)
	v_pk_add_f32 v[14:15], v[14:15], v[150:151] neg_lo:[0,1] neg_hi:[0,1]
	v_pk_fma_f32 v[148:149], v[146:147], v[134:135], v[144:145] op_sel:[0,0,1] op_sel_hi:[1,1,0] neg_lo:[0,0,1] neg_hi:[0,0,1]
	v_pk_fma_f32 v[144:145], v[146:147], v[134:135], v[144:145] op_sel:[0,0,1] op_sel_hi:[1,0,0]
	s_delay_alu instid0(VALU_DEP_1) | instskip(SKIP_4) | instid1(VALU_DEP_1)
	v_mov_b32_e32 v149, v145
	ds_load_b64 v[144:145], v138 offset:504
	v_pk_add_f32 v[10:11], v[10:11], v[148:149] neg_lo:[0,1] neg_hi:[0,1]
	s_wait_dscnt 0x0
	v_pk_mul_f32 v[136:137], v[144:145], v[136:137] op_sel:[0,1]
	v_pk_fma_f32 v[146:147], v[144:145], v[134:135], v[136:137] op_sel:[0,0,1] op_sel_hi:[1,1,0] neg_lo:[0,0,1] neg_hi:[0,0,1]
	v_pk_fma_f32 v[134:135], v[144:145], v[134:135], v[136:137] op_sel:[0,0,1] op_sel_hi:[1,0,0]
	s_delay_alu instid0(VALU_DEP_1) | instskip(NEXT) | instid1(VALU_DEP_1)
	v_mov_b32_e32 v147, v135
	v_pk_add_f32 v[132:133], v[132:133], v[146:147] neg_lo:[0,1] neg_hi:[0,1]
.LBB126_650:
	s_or_b32 exec_lo, exec_lo, s0
	v_lshl_add_u32 v134, v142, 3, v138
	s_barrier_signal -1
	s_barrier_wait -1
	ds_store_b64 v134, v[26:27]
	s_wait_dscnt 0x0
	s_barrier_signal -1
	s_barrier_wait -1
	ds_load_b64 v[136:137], v138 offset:248
	v_mov_b32_e32 v134, 31
	s_cmp_lt_i32 s18, 33
	s_cbranch_scc1 .LBB126_653
; %bb.651:
	v_add3_u32 v135, v139, 0, 0x100
	v_mov_b32_e32 v134, 31
	s_mov_b32 s0, 32
.LBB126_652:                            ; =>This Inner Loop Header: Depth=1
	ds_load_b64 v[144:145], v135
	s_wait_dscnt 0x1
	v_cmp_gt_f32_e32 vcc_lo, 0, v136
	v_cndmask_b32_e64 v146, v136, -v136, vcc_lo
	v_cmp_gt_f32_e32 vcc_lo, 0, v137
	v_cndmask_b32_e64 v148, v137, -v137, vcc_lo
	s_wait_dscnt 0x0
	v_cmp_gt_f32_e32 vcc_lo, 0, v144
	v_cndmask_b32_e64 v147, v144, -v144, vcc_lo
	v_cmp_gt_f32_e32 vcc_lo, 0, v145
	v_cndmask_b32_e64 v149, v145, -v145, vcc_lo
	s_delay_alu instid0(VALU_DEP_1) | instskip(NEXT) | instid1(VALU_DEP_1)
	v_pk_add_f32 v[146:147], v[146:147], v[148:149]
	v_cmp_lt_f32_e32 vcc_lo, v146, v147
	v_dual_add_nc_u32 v135, 8, v135 :: v_dual_cndmask_b32 v137, v137, v145, vcc_lo
	v_cndmask_b32_e32 v136, v136, v144, vcc_lo
	v_cndmask_b32_e64 v134, v134, s0, vcc_lo
	s_add_co_i32 s0, s0, 1
	s_delay_alu instid0(SALU_CYCLE_1)
	s_cmp_lg_u32 s18, s0
	s_cbranch_scc1 .LBB126_652
.LBB126_653:
	s_wait_dscnt 0x0
	v_cmp_eq_f32_e32 vcc_lo, 0, v136
	v_cmp_eq_f32_e64 s0, 0, v137
	s_and_b32 s0, vcc_lo, s0
	s_delay_alu instid0(SALU_CYCLE_1) | instskip(NEXT) | instid1(SALU_CYCLE_1)
	s_and_saveexec_b32 s1, s0
	s_xor_b32 s0, exec_lo, s1
; %bb.654:
	v_cmp_ne_u32_e32 vcc_lo, 0, v140
	v_cndmask_b32_e32 v140, 32, v140, vcc_lo
; %bb.655:
	s_and_not1_saveexec_b32 s0, s0
	s_cbranch_execz .LBB126_661
; %bb.656:
	v_cmp_ngt_f32_e64 s1, |v136|, |v137|
	s_and_saveexec_b32 s12, s1
	s_delay_alu instid0(SALU_CYCLE_1)
	s_xor_b32 s1, exec_lo, s12
	s_cbranch_execz .LBB126_658
; %bb.657:
	v_div_scale_f32 v135, null, v137, v137, v136
	v_div_scale_f32 v145, vcc_lo, v136, v137, v136
	s_delay_alu instid0(VALU_DEP_2) | instskip(SKIP_1) | instid1(TRANS32_DEP_1)
	v_rcp_f32_e32 v143, v135
	v_nop
	v_fma_f32 v144, -v135, v143, 1.0
	s_delay_alu instid0(VALU_DEP_1) | instskip(NEXT) | instid1(VALU_DEP_1)
	v_fmac_f32_e32 v143, v144, v143
	v_mul_f32_e32 v144, v145, v143
	s_delay_alu instid0(VALU_DEP_1) | instskip(NEXT) | instid1(VALU_DEP_1)
	v_fma_f32 v146, -v135, v144, v145
	v_fmac_f32_e32 v144, v146, v143
	s_delay_alu instid0(VALU_DEP_1) | instskip(NEXT) | instid1(VALU_DEP_1)
	v_fma_f32 v135, -v135, v144, v145
	v_div_fmas_f32 v135, v135, v143, v144
	s_delay_alu instid0(VALU_DEP_1) | instskip(NEXT) | instid1(VALU_DEP_1)
	v_div_fixup_f32 v135, v135, v137, v136
	v_fmac_f32_e32 v137, v136, v135
	s_delay_alu instid0(VALU_DEP_1) | instskip(SKIP_1) | instid1(VALU_DEP_2)
	v_div_scale_f32 v136, null, v137, v137, 1.0
	v_div_scale_f32 v145, vcc_lo, 1.0, v137, 1.0
	v_rcp_f32_e32 v143, v136
	v_nop
	s_delay_alu instid0(TRANS32_DEP_1) | instskip(NEXT) | instid1(VALU_DEP_1)
	v_fma_f32 v144, -v136, v143, 1.0
	v_fmac_f32_e32 v143, v144, v143
	s_delay_alu instid0(VALU_DEP_1) | instskip(NEXT) | instid1(VALU_DEP_1)
	v_mul_f32_e32 v144, v145, v143
	v_fma_f32 v146, -v136, v144, v145
	s_delay_alu instid0(VALU_DEP_1) | instskip(NEXT) | instid1(VALU_DEP_1)
	v_fmac_f32_e32 v144, v146, v143
	v_fma_f32 v136, -v136, v144, v145
	s_delay_alu instid0(VALU_DEP_1) | instskip(NEXT) | instid1(VALU_DEP_1)
	v_div_fmas_f32 v136, v136, v143, v144
	v_div_fixup_f32 v137, v136, v137, 1.0
	s_delay_alu instid0(VALU_DEP_1)
	v_mul_f32_e32 v136, v135, v137
	v_xor_b32_e32 v137, 0x80000000, v137
.LBB126_658:
	s_and_not1_saveexec_b32 s1, s1
	s_cbranch_execz .LBB126_660
; %bb.659:
	s_delay_alu instid0(VALU_DEP_1) | instskip(SKIP_1) | instid1(VALU_DEP_2)
	v_div_scale_f32 v135, null, v136, v136, v137
	v_div_scale_f32 v145, vcc_lo, v137, v136, v137
	v_rcp_f32_e32 v143, v135
	v_nop
	s_delay_alu instid0(TRANS32_DEP_1) | instskip(NEXT) | instid1(VALU_DEP_1)
	v_fma_f32 v144, -v135, v143, 1.0
	v_fmac_f32_e32 v143, v144, v143
	s_delay_alu instid0(VALU_DEP_1) | instskip(NEXT) | instid1(VALU_DEP_1)
	v_mul_f32_e32 v144, v145, v143
	v_fma_f32 v146, -v135, v144, v145
	s_delay_alu instid0(VALU_DEP_1) | instskip(NEXT) | instid1(VALU_DEP_1)
	v_fmac_f32_e32 v144, v146, v143
	v_fma_f32 v135, -v135, v144, v145
	s_delay_alu instid0(VALU_DEP_1) | instskip(NEXT) | instid1(VALU_DEP_1)
	v_div_fmas_f32 v135, v135, v143, v144
	v_div_fixup_f32 v135, v135, v136, v137
	s_delay_alu instid0(VALU_DEP_1) | instskip(NEXT) | instid1(VALU_DEP_1)
	v_fmac_f32_e32 v136, v137, v135
	v_div_scale_f32 v137, null, v136, v136, 1.0
	s_delay_alu instid0(VALU_DEP_1) | instskip(SKIP_1) | instid1(TRANS32_DEP_1)
	v_rcp_f32_e32 v143, v137
	v_nop
	v_fma_f32 v144, -v137, v143, 1.0
	s_delay_alu instid0(VALU_DEP_1) | instskip(SKIP_1) | instid1(VALU_DEP_1)
	v_fmac_f32_e32 v143, v144, v143
	v_div_scale_f32 v144, vcc_lo, 1.0, v136, 1.0
	v_mul_f32_e32 v145, v144, v143
	s_delay_alu instid0(VALU_DEP_1) | instskip(NEXT) | instid1(VALU_DEP_1)
	v_fma_f32 v146, -v137, v145, v144
	v_fmac_f32_e32 v145, v146, v143
	s_delay_alu instid0(VALU_DEP_1) | instskip(NEXT) | instid1(VALU_DEP_1)
	v_fma_f32 v137, -v137, v145, v144
	v_div_fmas_f32 v137, v137, v143, v145
	s_delay_alu instid0(VALU_DEP_1) | instskip(NEXT) | instid1(VALU_DEP_1)
	v_div_fixup_f32 v136, v137, v136, 1.0
	v_mul_f32_e64 v137, v135, -v136
.LBB126_660:
	s_or_b32 exec_lo, exec_lo, s1
.LBB126_661:
	s_delay_alu instid0(SALU_CYCLE_1) | instskip(NEXT) | instid1(SALU_CYCLE_1)
	s_or_b32 exec_lo, exec_lo, s0
	s_mov_b32 s0, exec_lo
	v_cmpx_ne_u32_e64 v142, v134
	s_xor_b32 s0, exec_lo, s0
	s_cbranch_execz .LBB126_667
; %bb.662:
	s_mov_b32 s1, exec_lo
	v_cmpx_eq_u32_e32 31, v142
	s_cbranch_execz .LBB126_666
; %bb.663:
	v_cmp_ne_u32_e32 vcc_lo, 31, v134
	s_xor_b32 s12, s16, -1
	s_delay_alu instid0(SALU_CYCLE_1) | instskip(NEXT) | instid1(SALU_CYCLE_1)
	s_and_b32 s13, s12, vcc_lo
	s_and_saveexec_b32 s12, s13
	s_cbranch_execz .LBB126_665
; %bb.664:
	v_ashrrev_i32_e32 v135, 31, v134
	s_delay_alu instid0(VALU_DEP_1)
	v_lshl_add_u64 v[142:143], v[134:135], 2, v[4:5]
	s_clause 0x1
	global_load_b32 v135, v[142:143], off
	global_load_b32 v141, v[4:5], off offset:124
	s_wait_loadcnt 0x1
	global_store_b32 v[4:5], v135, off offset:124
	s_wait_loadcnt 0x0
	global_store_b32 v[142:143], v141, off
.LBB126_665:
	s_wait_xcnt 0x0
	s_or_b32 exec_lo, exec_lo, s12
	v_dual_mov_b32 v142, v134 :: v_dual_mov_b32 v141, v134
.LBB126_666:
	s_or_b32 exec_lo, exec_lo, s1
.LBB126_667:
	s_and_not1_saveexec_b32 s0, s0
	s_cbranch_execz .LBB126_669
; %bb.668:
	v_dual_mov_b32 v134, v80 :: v_dual_mov_b32 v135, v81
	v_dual_mov_b32 v142, v76 :: v_dual_mov_b32 v143, v77
	ds_store_2addr_b64 v138, v[134:135], v[142:143] offset0:32 offset1:33
	v_dual_mov_b32 v134, v78 :: v_dual_mov_b32 v135, v79
	v_dual_mov_b32 v142, v24 :: v_dual_mov_b32 v143, v25
	ds_store_2addr_b64 v138, v[134:135], v[142:143] offset0:34 offset1:35
	v_dual_mov_b32 v134, v74 :: v_dual_mov_b32 v135, v75
	v_dual_mov_b32 v142, v70 :: v_dual_mov_b32 v143, v71
	ds_store_2addr_b64 v138, v[134:135], v[142:143] offset0:36 offset1:37
	v_dual_mov_b32 v134, v72 :: v_dual_mov_b32 v135, v73
	v_dual_mov_b32 v142, v22 :: v_dual_mov_b32 v143, v23
	ds_store_2addr_b64 v138, v[134:135], v[142:143] offset0:38 offset1:39
	v_dual_mov_b32 v134, v68 :: v_dual_mov_b32 v135, v69
	v_dual_mov_b32 v142, v64 :: v_dual_mov_b32 v143, v65
	ds_store_2addr_b64 v138, v[134:135], v[142:143] offset0:40 offset1:41
	v_dual_mov_b32 v134, v66 :: v_dual_mov_b32 v135, v67
	v_dual_mov_b32 v142, v18 :: v_dual_mov_b32 v143, v19
	ds_store_2addr_b64 v138, v[134:135], v[142:143] offset0:42 offset1:43
	v_dual_mov_b32 v134, v60 :: v_dual_mov_b32 v135, v61
	v_dual_mov_b32 v142, v56 :: v_dual_mov_b32 v143, v57
	ds_store_2addr_b64 v138, v[134:135], v[142:143] offset0:44 offset1:45
	v_dual_mov_b32 v134, v58 :: v_dual_mov_b32 v135, v59
	v_dual_mov_b32 v142, v12 :: v_dual_mov_b32 v143, v13
	ds_store_2addr_b64 v138, v[134:135], v[142:143] offset0:46 offset1:47
	v_dual_mov_b32 v134, v54 :: v_dual_mov_b32 v135, v55
	v_dual_mov_b32 v142, v52 :: v_dual_mov_b32 v143, v53
	ds_store_2addr_b64 v138, v[134:135], v[142:143] offset0:48 offset1:49
	v_dual_mov_b32 v134, v62 :: v_dual_mov_b32 v135, v63
	v_dual_mov_b32 v142, v16 :: v_dual_mov_b32 v143, v17
	ds_store_2addr_b64 v138, v[134:135], v[142:143] offset0:50 offset1:51
	v_dual_mov_b32 v134, v48 :: v_dual_mov_b32 v135, v49
	v_dual_mov_b32 v142, v42 :: v_dual_mov_b32 v143, v43
	ds_store_2addr_b64 v138, v[134:135], v[142:143] offset0:52 offset1:53
	v_dual_mov_b32 v134, v46 :: v_dual_mov_b32 v135, v47
	v_dual_mov_b32 v142, v8 :: v_dual_mov_b32 v143, v9
	ds_store_2addr_b64 v138, v[134:135], v[142:143] offset0:54 offset1:55
	v_dual_mov_b32 v134, v32 :: v_dual_mov_b32 v135, v33
	v_dual_mov_b32 v142, v28 :: v_dual_mov_b32 v143, v29
	ds_store_2addr_b64 v138, v[134:135], v[142:143] offset0:56 offset1:57
	v_dual_mov_b32 v134, v30 :: v_dual_mov_b32 v135, v31
	v_dual_mov_b32 v142, v6 :: v_dual_mov_b32 v143, v7
	ds_store_2addr_b64 v138, v[134:135], v[142:143] offset0:58 offset1:59
	v_dual_mov_b32 v134, v20 :: v_dual_mov_b32 v135, v21
	v_dual_mov_b32 v142, v14 :: v_dual_mov_b32 v143, v15
	ds_store_2addr_b64 v138, v[134:135], v[142:143] offset0:60 offset1:61
	v_dual_mov_b32 v134, v10 :: v_dual_mov_b32 v135, v11
	v_mov_b32_e32 v142, 31
	ds_store_2addr_b64 v138, v[134:135], v[132:133] offset0:62 offset1:63
.LBB126_669:
	s_or_b32 exec_lo, exec_lo, s0
	s_delay_alu instid0(SALU_CYCLE_1)
	s_mov_b32 s0, exec_lo
	s_wait_storecnt_dscnt 0x0
	s_barrier_signal -1
	s_barrier_wait -1
	v_cmpx_lt_i32_e32 31, v142
	s_cbranch_execz .LBB126_671
; %bb.670:
	v_pk_mul_f32 v[144:145], v[136:137], v[26:27] op_sel:[1,1] op_sel_hi:[0,1]
	s_delay_alu instid0(VALU_DEP_1)
	v_pk_fma_f32 v[134:135], v[136:137], v[26:27], v[144:145] op_sel_hi:[1,0,1] neg_lo:[0,0,1] neg_hi:[0,0,1]
	v_pk_fma_f32 v[136:137], v[136:137], v[26:27], v[144:145] op_sel_hi:[1,0,1]
	ds_load_2addr_b64 v[144:147], v138 offset0:32 offset1:33
	v_dual_mov_b32 v26, v134 :: v_dual_mov_b32 v27, v137
	s_wait_dscnt 0x0
	v_pk_mul_f32 v[148:149], v[144:145], v[136:137] op_sel:[0,1]
	s_delay_alu instid0(VALU_DEP_1) | instskip(SKIP_1) | instid1(VALU_DEP_1)
	v_pk_fma_f32 v[150:151], v[144:145], v[134:135], v[148:149] op_sel:[0,0,1] op_sel_hi:[1,1,0] neg_lo:[0,0,1] neg_hi:[0,0,1]
	v_pk_fma_f32 v[144:145], v[144:145], v[134:135], v[148:149] op_sel:[0,0,1] op_sel_hi:[1,0,0]
	v_mov_b32_e32 v151, v145
	v_pk_mul_f32 v[144:145], v[146:147], v[136:137] op_sel:[0,1]
	s_delay_alu instid0(VALU_DEP_1) | instskip(SKIP_1) | instid1(VALU_DEP_1)
	v_pk_fma_f32 v[148:149], v[146:147], v[134:135], v[144:145] op_sel:[0,0,1] op_sel_hi:[1,1,0] neg_lo:[0,0,1] neg_hi:[0,0,1]
	v_pk_fma_f32 v[144:145], v[146:147], v[134:135], v[144:145] op_sel:[0,0,1] op_sel_hi:[1,0,0]
	v_mov_b32_e32 v149, v145
	ds_load_2addr_b64 v[144:147], v138 offset0:34 offset1:35
	v_pk_add_f32 v[80:81], v[80:81], v[150:151] neg_lo:[0,1] neg_hi:[0,1]
	v_pk_add_f32 v[76:77], v[76:77], v[148:149] neg_lo:[0,1] neg_hi:[0,1]
	s_wait_dscnt 0x0
	v_pk_mul_f32 v[148:149], v[144:145], v[136:137] op_sel:[0,1]
	s_delay_alu instid0(VALU_DEP_1) | instskip(SKIP_2) | instid1(VALU_DEP_2)
	v_pk_fma_f32 v[150:151], v[144:145], v[134:135], v[148:149] op_sel:[0,0,1] op_sel_hi:[1,1,0] neg_lo:[0,0,1] neg_hi:[0,0,1]
	v_pk_fma_f32 v[144:145], v[144:145], v[134:135], v[148:149] op_sel:[0,0,1] op_sel_hi:[1,0,0]
	v_dual_mul_f32 v148, v147, v137 :: v_dual_mov_b32 v144, v147
	v_dual_mov_b32 v151, v145 :: v_dual_mov_b32 v145, v146
	s_delay_alu instid0(VALU_DEP_2) | instskip(SKIP_1) | instid1(VALU_DEP_3)
	v_pk_fma_f32 v[148:149], v[146:147], v[26:27], v[148:149] op_sel_hi:[1,1,0] neg_lo:[0,0,1] neg_hi:[0,0,1]
	v_mul_f32_e32 v146, v147, v134
	v_pk_add_f32 v[78:79], v[78:79], v[150:151] neg_lo:[0,1] neg_hi:[0,1]
	s_delay_alu instid0(VALU_DEP_2) | instskip(NEXT) | instid1(VALU_DEP_1)
	v_pk_fma_f32 v[144:145], v[144:145], v[26:27], v[146:147] op_sel_hi:[1,1,0]
	v_mov_b32_e32 v149, v145
	ds_load_2addr_b64 v[144:147], v138 offset0:36 offset1:37
	v_pk_add_f32 v[24:25], v[24:25], v[148:149] neg_lo:[0,1] neg_hi:[0,1]
	s_wait_dscnt 0x0
	v_pk_mul_f32 v[148:149], v[144:145], v[136:137] op_sel:[0,1]
	s_delay_alu instid0(VALU_DEP_1) | instskip(SKIP_1) | instid1(VALU_DEP_1)
	v_pk_fma_f32 v[150:151], v[144:145], v[134:135], v[148:149] op_sel:[0,0,1] op_sel_hi:[1,1,0] neg_lo:[0,0,1] neg_hi:[0,0,1]
	v_pk_fma_f32 v[144:145], v[144:145], v[134:135], v[148:149] op_sel:[0,0,1] op_sel_hi:[1,0,0]
	v_mov_b32_e32 v151, v145
	v_pk_mul_f32 v[144:145], v[146:147], v[136:137] op_sel:[0,1]
	s_delay_alu instid0(VALU_DEP_1) | instskip(SKIP_1) | instid1(VALU_DEP_1)
	v_pk_fma_f32 v[148:149], v[146:147], v[134:135], v[144:145] op_sel:[0,0,1] op_sel_hi:[1,1,0] neg_lo:[0,0,1] neg_hi:[0,0,1]
	v_pk_fma_f32 v[144:145], v[146:147], v[134:135], v[144:145] op_sel:[0,0,1] op_sel_hi:[1,0,0]
	v_mov_b32_e32 v149, v145
	ds_load_2addr_b64 v[144:147], v138 offset0:38 offset1:39
	v_pk_add_f32 v[74:75], v[74:75], v[150:151] neg_lo:[0,1] neg_hi:[0,1]
	v_pk_add_f32 v[70:71], v[70:71], v[148:149] neg_lo:[0,1] neg_hi:[0,1]
	s_wait_dscnt 0x0
	v_pk_mul_f32 v[148:149], v[144:145], v[136:137] op_sel:[0,1]
	s_delay_alu instid0(VALU_DEP_1) | instskip(SKIP_1) | instid1(VALU_DEP_1)
	v_pk_fma_f32 v[150:151], v[144:145], v[134:135], v[148:149] op_sel:[0,0,1] op_sel_hi:[1,1,0] neg_lo:[0,0,1] neg_hi:[0,0,1]
	v_pk_fma_f32 v[144:145], v[144:145], v[134:135], v[148:149] op_sel:[0,0,1] op_sel_hi:[1,0,0]
	v_mov_b32_e32 v151, v145
	v_pk_mul_f32 v[144:145], v[146:147], v[136:137] op_sel:[0,1]
	s_delay_alu instid0(VALU_DEP_1) | instskip(SKIP_1) | instid1(VALU_DEP_1)
	v_pk_fma_f32 v[148:149], v[146:147], v[134:135], v[144:145] op_sel:[0,0,1] op_sel_hi:[1,1,0] neg_lo:[0,0,1] neg_hi:[0,0,1]
	v_pk_fma_f32 v[144:145], v[146:147], v[134:135], v[144:145] op_sel:[0,0,1] op_sel_hi:[1,0,0]
	v_mov_b32_e32 v149, v145
	ds_load_2addr_b64 v[144:147], v138 offset0:40 offset1:41
	v_pk_add_f32 v[72:73], v[72:73], v[150:151] neg_lo:[0,1] neg_hi:[0,1]
	v_pk_add_f32 v[22:23], v[22:23], v[148:149] neg_lo:[0,1] neg_hi:[0,1]
	s_wait_dscnt 0x0
	v_dual_mul_f32 v148, v145, v137 :: v_dual_mul_f32 v150, v145, v134
	s_delay_alu instid0(VALU_DEP_1) | instskip(NEXT) | instid1(VALU_DEP_2)
	v_pk_fma_f32 v[148:149], v[144:145], v[26:27], v[148:149] op_sel_hi:[1,1,0] neg_lo:[0,0,1] neg_hi:[0,0,1]
	v_pk_fma_f32 v[144:145], v[144:145], v[26:27], v[150:151] op_sel:[1,0,0] op_sel_hi:[0,1,0]
	s_delay_alu instid0(VALU_DEP_1) | instskip(SKIP_1) | instid1(VALU_DEP_2)
	v_mov_b32_e32 v149, v145
	v_pk_mul_f32 v[144:145], v[146:147], v[136:137] op_sel:[0,1]
	v_pk_add_f32 v[68:69], v[68:69], v[148:149] neg_lo:[0,1] neg_hi:[0,1]
	s_delay_alu instid0(VALU_DEP_2) | instskip(SKIP_1) | instid1(VALU_DEP_1)
	v_pk_fma_f32 v[148:149], v[146:147], v[134:135], v[144:145] op_sel:[0,0,1] op_sel_hi:[1,1,0] neg_lo:[0,0,1] neg_hi:[0,0,1]
	v_pk_fma_f32 v[144:145], v[146:147], v[134:135], v[144:145] op_sel:[0,0,1] op_sel_hi:[1,0,0]
	v_mov_b32_e32 v149, v145
	ds_load_2addr_b64 v[144:147], v138 offset0:42 offset1:43
	v_pk_add_f32 v[64:65], v[64:65], v[148:149] neg_lo:[0,1] neg_hi:[0,1]
	s_wait_dscnt 0x0
	v_pk_mul_f32 v[148:149], v[144:145], v[136:137] op_sel:[0,1]
	s_delay_alu instid0(VALU_DEP_1) | instskip(SKIP_1) | instid1(VALU_DEP_1)
	v_pk_fma_f32 v[150:151], v[144:145], v[134:135], v[148:149] op_sel:[0,0,1] op_sel_hi:[1,1,0] neg_lo:[0,0,1] neg_hi:[0,0,1]
	v_pk_fma_f32 v[144:145], v[144:145], v[134:135], v[148:149] op_sel:[0,0,1] op_sel_hi:[1,0,0]
	v_mov_b32_e32 v151, v145
	v_pk_mul_f32 v[144:145], v[146:147], v[136:137] op_sel:[0,1]
	s_delay_alu instid0(VALU_DEP_2) | instskip(NEXT) | instid1(VALU_DEP_2)
	v_pk_add_f32 v[66:67], v[66:67], v[150:151] neg_lo:[0,1] neg_hi:[0,1]
	v_pk_fma_f32 v[148:149], v[146:147], v[134:135], v[144:145] op_sel:[0,0,1] op_sel_hi:[1,1,0] neg_lo:[0,0,1] neg_hi:[0,0,1]
	v_pk_fma_f32 v[144:145], v[146:147], v[134:135], v[144:145] op_sel:[0,0,1] op_sel_hi:[1,0,0]
	s_delay_alu instid0(VALU_DEP_1) | instskip(SKIP_4) | instid1(VALU_DEP_1)
	v_mov_b32_e32 v149, v145
	ds_load_2addr_b64 v[144:147], v138 offset0:44 offset1:45
	v_pk_add_f32 v[18:19], v[18:19], v[148:149] neg_lo:[0,1] neg_hi:[0,1]
	s_wait_dscnt 0x0
	v_pk_mul_f32 v[148:149], v[144:145], v[136:137] op_sel:[0,1]
	v_pk_fma_f32 v[150:151], v[144:145], v[134:135], v[148:149] op_sel:[0,0,1] op_sel_hi:[1,1,0] neg_lo:[0,0,1] neg_hi:[0,0,1]
	v_pk_fma_f32 v[144:145], v[144:145], v[134:135], v[148:149] op_sel:[0,0,1] op_sel_hi:[1,0,0]
	v_dual_mul_f32 v148, v147, v137 :: v_dual_mov_b32 v144, v147
	s_delay_alu instid0(VALU_DEP_2) | instskip(NEXT) | instid1(VALU_DEP_2)
	v_dual_mov_b32 v151, v145 :: v_dual_mov_b32 v145, v146
	v_pk_fma_f32 v[148:149], v[146:147], v[26:27], v[148:149] op_sel_hi:[1,1,0] neg_lo:[0,0,1] neg_hi:[0,0,1]
	v_mul_f32_e32 v146, v147, v134
	s_delay_alu instid0(VALU_DEP_3) | instskip(NEXT) | instid1(VALU_DEP_2)
	v_pk_add_f32 v[60:61], v[60:61], v[150:151] neg_lo:[0,1] neg_hi:[0,1]
	v_pk_fma_f32 v[144:145], v[144:145], v[26:27], v[146:147] op_sel_hi:[1,1,0]
	s_delay_alu instid0(VALU_DEP_1) | instskip(SKIP_4) | instid1(VALU_DEP_1)
	v_mov_b32_e32 v149, v145
	ds_load_2addr_b64 v[144:147], v138 offset0:46 offset1:47
	v_pk_add_f32 v[56:57], v[56:57], v[148:149] neg_lo:[0,1] neg_hi:[0,1]
	s_wait_dscnt 0x0
	v_pk_mul_f32 v[148:149], v[144:145], v[136:137] op_sel:[0,1]
	v_pk_fma_f32 v[150:151], v[144:145], v[134:135], v[148:149] op_sel:[0,0,1] op_sel_hi:[1,1,0] neg_lo:[0,0,1] neg_hi:[0,0,1]
	v_pk_fma_f32 v[144:145], v[144:145], v[134:135], v[148:149] op_sel:[0,0,1] op_sel_hi:[1,0,0]
	s_delay_alu instid0(VALU_DEP_1) | instskip(SKIP_1) | instid1(VALU_DEP_1)
	v_mov_b32_e32 v151, v145
	v_pk_mul_f32 v[144:145], v[146:147], v[136:137] op_sel:[0,1]
	v_pk_fma_f32 v[148:149], v[146:147], v[134:135], v[144:145] op_sel:[0,0,1] op_sel_hi:[1,1,0] neg_lo:[0,0,1] neg_hi:[0,0,1]
	v_pk_fma_f32 v[144:145], v[146:147], v[134:135], v[144:145] op_sel:[0,0,1] op_sel_hi:[1,0,0]
	s_delay_alu instid0(VALU_DEP_1)
	v_mov_b32_e32 v149, v145
	ds_load_2addr_b64 v[144:147], v138 offset0:48 offset1:49
	v_pk_add_f32 v[58:59], v[58:59], v[150:151] neg_lo:[0,1] neg_hi:[0,1]
	v_pk_add_f32 v[12:13], v[12:13], v[148:149] neg_lo:[0,1] neg_hi:[0,1]
	s_wait_dscnt 0x0
	v_pk_mul_f32 v[148:149], v[144:145], v[136:137] op_sel:[0,1]
	s_delay_alu instid0(VALU_DEP_1) | instskip(SKIP_1) | instid1(VALU_DEP_1)
	v_pk_fma_f32 v[150:151], v[144:145], v[134:135], v[148:149] op_sel:[0,0,1] op_sel_hi:[1,1,0] neg_lo:[0,0,1] neg_hi:[0,0,1]
	v_pk_fma_f32 v[144:145], v[144:145], v[134:135], v[148:149] op_sel:[0,0,1] op_sel_hi:[1,0,0]
	v_mov_b32_e32 v151, v145
	v_pk_mul_f32 v[144:145], v[146:147], v[136:137] op_sel:[0,1]
	s_delay_alu instid0(VALU_DEP_1) | instskip(SKIP_1) | instid1(VALU_DEP_1)
	v_pk_fma_f32 v[148:149], v[146:147], v[134:135], v[144:145] op_sel:[0,0,1] op_sel_hi:[1,1,0] neg_lo:[0,0,1] neg_hi:[0,0,1]
	v_pk_fma_f32 v[144:145], v[146:147], v[134:135], v[144:145] op_sel:[0,0,1] op_sel_hi:[1,0,0]
	v_mov_b32_e32 v149, v145
	ds_load_2addr_b64 v[144:147], v138 offset0:50 offset1:51
	v_pk_add_f32 v[54:55], v[54:55], v[150:151] neg_lo:[0,1] neg_hi:[0,1]
	v_pk_add_f32 v[52:53], v[52:53], v[148:149] neg_lo:[0,1] neg_hi:[0,1]
	s_wait_dscnt 0x0
	v_dual_mul_f32 v148, v145, v137 :: v_dual_mul_f32 v150, v145, v134
	s_delay_alu instid0(VALU_DEP_1) | instskip(NEXT) | instid1(VALU_DEP_2)
	v_pk_fma_f32 v[148:149], v[144:145], v[26:27], v[148:149] op_sel_hi:[1,1,0] neg_lo:[0,0,1] neg_hi:[0,0,1]
	v_pk_fma_f32 v[144:145], v[144:145], v[26:27], v[150:151] op_sel:[1,0,0] op_sel_hi:[0,1,0]
	s_delay_alu instid0(VALU_DEP_1) | instskip(SKIP_1) | instid1(VALU_DEP_2)
	v_mov_b32_e32 v149, v145
	v_pk_mul_f32 v[144:145], v[146:147], v[136:137] op_sel:[0,1]
	v_pk_add_f32 v[62:63], v[62:63], v[148:149] neg_lo:[0,1] neg_hi:[0,1]
	s_delay_alu instid0(VALU_DEP_2) | instskip(SKIP_1) | instid1(VALU_DEP_1)
	v_pk_fma_f32 v[148:149], v[146:147], v[134:135], v[144:145] op_sel:[0,0,1] op_sel_hi:[1,1,0] neg_lo:[0,0,1] neg_hi:[0,0,1]
	v_pk_fma_f32 v[144:145], v[146:147], v[134:135], v[144:145] op_sel:[0,0,1] op_sel_hi:[1,0,0]
	v_mov_b32_e32 v149, v145
	ds_load_2addr_b64 v[144:147], v138 offset0:52 offset1:53
	v_pk_add_f32 v[16:17], v[16:17], v[148:149] neg_lo:[0,1] neg_hi:[0,1]
	s_wait_dscnt 0x0
	v_pk_mul_f32 v[148:149], v[144:145], v[136:137] op_sel:[0,1]
	s_delay_alu instid0(VALU_DEP_1) | instskip(SKIP_1) | instid1(VALU_DEP_1)
	v_pk_fma_f32 v[150:151], v[144:145], v[134:135], v[148:149] op_sel:[0,0,1] op_sel_hi:[1,1,0] neg_lo:[0,0,1] neg_hi:[0,0,1]
	v_pk_fma_f32 v[144:145], v[144:145], v[134:135], v[148:149] op_sel:[0,0,1] op_sel_hi:[1,0,0]
	v_mov_b32_e32 v151, v145
	v_pk_mul_f32 v[144:145], v[146:147], v[136:137] op_sel:[0,1]
	s_delay_alu instid0(VALU_DEP_2) | instskip(NEXT) | instid1(VALU_DEP_2)
	v_pk_add_f32 v[48:49], v[48:49], v[150:151] neg_lo:[0,1] neg_hi:[0,1]
	v_pk_fma_f32 v[148:149], v[146:147], v[134:135], v[144:145] op_sel:[0,0,1] op_sel_hi:[1,1,0] neg_lo:[0,0,1] neg_hi:[0,0,1]
	v_pk_fma_f32 v[144:145], v[146:147], v[134:135], v[144:145] op_sel:[0,0,1] op_sel_hi:[1,0,0]
	s_delay_alu instid0(VALU_DEP_1) | instskip(SKIP_4) | instid1(VALU_DEP_1)
	v_mov_b32_e32 v149, v145
	ds_load_2addr_b64 v[144:147], v138 offset0:54 offset1:55
	v_pk_add_f32 v[42:43], v[42:43], v[148:149] neg_lo:[0,1] neg_hi:[0,1]
	s_wait_dscnt 0x0
	v_pk_mul_f32 v[148:149], v[144:145], v[136:137] op_sel:[0,1]
	v_pk_fma_f32 v[150:151], v[144:145], v[134:135], v[148:149] op_sel:[0,0,1] op_sel_hi:[1,1,0] neg_lo:[0,0,1] neg_hi:[0,0,1]
	v_pk_fma_f32 v[144:145], v[144:145], v[134:135], v[148:149] op_sel:[0,0,1] op_sel_hi:[1,0,0]
	v_dual_mul_f32 v148, v147, v137 :: v_dual_mov_b32 v144, v147
	s_delay_alu instid0(VALU_DEP_2) | instskip(NEXT) | instid1(VALU_DEP_2)
	v_dual_mov_b32 v151, v145 :: v_dual_mov_b32 v145, v146
	v_pk_fma_f32 v[148:149], v[146:147], v[26:27], v[148:149] op_sel_hi:[1,1,0] neg_lo:[0,0,1] neg_hi:[0,0,1]
	v_mul_f32_e32 v146, v147, v134
	s_delay_alu instid0(VALU_DEP_3) | instskip(NEXT) | instid1(VALU_DEP_2)
	v_pk_add_f32 v[46:47], v[46:47], v[150:151] neg_lo:[0,1] neg_hi:[0,1]
	v_pk_fma_f32 v[144:145], v[144:145], v[26:27], v[146:147] op_sel_hi:[1,1,0]
	s_delay_alu instid0(VALU_DEP_1) | instskip(SKIP_4) | instid1(VALU_DEP_1)
	v_mov_b32_e32 v149, v145
	ds_load_2addr_b64 v[144:147], v138 offset0:56 offset1:57
	v_pk_add_f32 v[8:9], v[8:9], v[148:149] neg_lo:[0,1] neg_hi:[0,1]
	s_wait_dscnt 0x0
	v_pk_mul_f32 v[148:149], v[144:145], v[136:137] op_sel:[0,1]
	v_pk_fma_f32 v[150:151], v[144:145], v[134:135], v[148:149] op_sel:[0,0,1] op_sel_hi:[1,1,0] neg_lo:[0,0,1] neg_hi:[0,0,1]
	v_pk_fma_f32 v[144:145], v[144:145], v[134:135], v[148:149] op_sel:[0,0,1] op_sel_hi:[1,0,0]
	s_delay_alu instid0(VALU_DEP_1) | instskip(SKIP_1) | instid1(VALU_DEP_1)
	v_mov_b32_e32 v151, v145
	v_pk_mul_f32 v[144:145], v[146:147], v[136:137] op_sel:[0,1]
	v_pk_fma_f32 v[148:149], v[146:147], v[134:135], v[144:145] op_sel:[0,0,1] op_sel_hi:[1,1,0] neg_lo:[0,0,1] neg_hi:[0,0,1]
	v_pk_fma_f32 v[144:145], v[146:147], v[134:135], v[144:145] op_sel:[0,0,1] op_sel_hi:[1,0,0]
	s_delay_alu instid0(VALU_DEP_1)
	v_mov_b32_e32 v149, v145
	ds_load_2addr_b64 v[144:147], v138 offset0:58 offset1:59
	v_pk_add_f32 v[32:33], v[32:33], v[150:151] neg_lo:[0,1] neg_hi:[0,1]
	v_pk_add_f32 v[28:29], v[28:29], v[148:149] neg_lo:[0,1] neg_hi:[0,1]
	s_wait_dscnt 0x0
	v_pk_mul_f32 v[148:149], v[144:145], v[136:137] op_sel:[0,1]
	s_delay_alu instid0(VALU_DEP_1) | instskip(SKIP_1) | instid1(VALU_DEP_1)
	v_pk_fma_f32 v[150:151], v[144:145], v[134:135], v[148:149] op_sel:[0,0,1] op_sel_hi:[1,1,0] neg_lo:[0,0,1] neg_hi:[0,0,1]
	v_pk_fma_f32 v[144:145], v[144:145], v[134:135], v[148:149] op_sel:[0,0,1] op_sel_hi:[1,0,0]
	v_mov_b32_e32 v151, v145
	v_pk_mul_f32 v[144:145], v[146:147], v[136:137] op_sel:[0,1]
	s_delay_alu instid0(VALU_DEP_1) | instskip(SKIP_1) | instid1(VALU_DEP_1)
	v_pk_fma_f32 v[148:149], v[146:147], v[134:135], v[144:145] op_sel:[0,0,1] op_sel_hi:[1,1,0] neg_lo:[0,0,1] neg_hi:[0,0,1]
	v_pk_fma_f32 v[144:145], v[146:147], v[134:135], v[144:145] op_sel:[0,0,1] op_sel_hi:[1,0,0]
	v_mov_b32_e32 v149, v145
	ds_load_2addr_b64 v[144:147], v138 offset0:60 offset1:61
	v_pk_add_f32 v[30:31], v[30:31], v[150:151] neg_lo:[0,1] neg_hi:[0,1]
	v_pk_add_f32 v[6:7], v[6:7], v[148:149] neg_lo:[0,1] neg_hi:[0,1]
	s_wait_dscnt 0x0
	v_dual_mul_f32 v148, v145, v137 :: v_dual_mul_f32 v150, v145, v134
	s_delay_alu instid0(VALU_DEP_1) | instskip(NEXT) | instid1(VALU_DEP_2)
	v_pk_fma_f32 v[148:149], v[144:145], v[26:27], v[148:149] op_sel_hi:[1,1,0] neg_lo:[0,0,1] neg_hi:[0,0,1]
	v_pk_fma_f32 v[144:145], v[144:145], v[26:27], v[150:151] op_sel:[1,0,0] op_sel_hi:[0,1,0]
	s_delay_alu instid0(VALU_DEP_1) | instskip(SKIP_1) | instid1(VALU_DEP_2)
	v_mov_b32_e32 v149, v145
	v_pk_mul_f32 v[144:145], v[146:147], v[136:137] op_sel:[0,1]
	v_pk_add_f32 v[20:21], v[20:21], v[148:149] neg_lo:[0,1] neg_hi:[0,1]
	s_delay_alu instid0(VALU_DEP_2) | instskip(SKIP_1) | instid1(VALU_DEP_1)
	v_pk_fma_f32 v[148:149], v[146:147], v[134:135], v[144:145] op_sel:[0,0,1] op_sel_hi:[1,1,0] neg_lo:[0,0,1] neg_hi:[0,0,1]
	v_pk_fma_f32 v[144:145], v[146:147], v[134:135], v[144:145] op_sel:[0,0,1] op_sel_hi:[1,0,0]
	v_mov_b32_e32 v149, v145
	ds_load_2addr_b64 v[144:147], v138 offset0:62 offset1:63
	v_pk_add_f32 v[14:15], v[14:15], v[148:149] neg_lo:[0,1] neg_hi:[0,1]
	s_wait_dscnt 0x0
	v_pk_mul_f32 v[148:149], v[144:145], v[136:137] op_sel:[0,1]
	v_pk_mul_f32 v[136:137], v[146:147], v[136:137] op_sel:[0,1]
	s_delay_alu instid0(VALU_DEP_2) | instskip(SKIP_1) | instid1(VALU_DEP_1)
	v_pk_fma_f32 v[150:151], v[144:145], v[134:135], v[148:149] op_sel:[0,0,1] op_sel_hi:[1,1,0] neg_lo:[0,0,1] neg_hi:[0,0,1]
	v_pk_fma_f32 v[144:145], v[144:145], v[134:135], v[148:149] op_sel:[0,0,1] op_sel_hi:[1,0,0]
	v_mov_b32_e32 v151, v145
	s_delay_alu instid0(VALU_DEP_4) | instskip(SKIP_1) | instid1(VALU_DEP_3)
	v_pk_fma_f32 v[144:145], v[146:147], v[134:135], v[136:137] op_sel:[0,0,1] op_sel_hi:[1,1,0] neg_lo:[0,0,1] neg_hi:[0,0,1]
	v_pk_fma_f32 v[134:135], v[146:147], v[134:135], v[136:137] op_sel:[0,0,1] op_sel_hi:[1,0,0]
	v_pk_add_f32 v[10:11], v[10:11], v[150:151] neg_lo:[0,1] neg_hi:[0,1]
	s_delay_alu instid0(VALU_DEP_2) | instskip(NEXT) | instid1(VALU_DEP_1)
	v_mov_b32_e32 v145, v135
	v_pk_add_f32 v[132:133], v[132:133], v[144:145] neg_lo:[0,1] neg_hi:[0,1]
.LBB126_671:
	s_or_b32 exec_lo, exec_lo, s0
	v_lshl_add_u32 v134, v142, 3, v138
	s_barrier_signal -1
	s_barrier_wait -1
	ds_store_b64 v134, v[80:81]
	s_wait_dscnt 0x0
	s_barrier_signal -1
	s_barrier_wait -1
	ds_load_b64 v[136:137], v138 offset:256
	v_mov_b32_e32 v134, 32
	s_cmp_lt_i32 s18, 34
	s_cbranch_scc1 .LBB126_674
; %bb.672:
	v_add3_u32 v135, v139, 0, 0x108
	v_mov_b32_e32 v134, 32
	s_mov_b32 s0, 33
.LBB126_673:                            ; =>This Inner Loop Header: Depth=1
	ds_load_b64 v[144:145], v135
	s_wait_dscnt 0x1
	v_cmp_gt_f32_e32 vcc_lo, 0, v136
	v_cndmask_b32_e64 v146, v136, -v136, vcc_lo
	v_cmp_gt_f32_e32 vcc_lo, 0, v137
	v_cndmask_b32_e64 v148, v137, -v137, vcc_lo
	s_wait_dscnt 0x0
	v_cmp_gt_f32_e32 vcc_lo, 0, v144
	v_cndmask_b32_e64 v147, v144, -v144, vcc_lo
	v_cmp_gt_f32_e32 vcc_lo, 0, v145
	v_cndmask_b32_e64 v149, v145, -v145, vcc_lo
	s_delay_alu instid0(VALU_DEP_1) | instskip(NEXT) | instid1(VALU_DEP_1)
	v_pk_add_f32 v[146:147], v[146:147], v[148:149]
	v_cmp_lt_f32_e32 vcc_lo, v146, v147
	v_dual_add_nc_u32 v135, 8, v135 :: v_dual_cndmask_b32 v137, v137, v145, vcc_lo
	v_cndmask_b32_e32 v136, v136, v144, vcc_lo
	v_cndmask_b32_e64 v134, v134, s0, vcc_lo
	s_add_co_i32 s0, s0, 1
	s_delay_alu instid0(SALU_CYCLE_1)
	s_cmp_lg_u32 s18, s0
	s_cbranch_scc1 .LBB126_673
.LBB126_674:
	s_wait_dscnt 0x0
	v_cmp_eq_f32_e32 vcc_lo, 0, v136
	v_cmp_eq_f32_e64 s0, 0, v137
	s_and_b32 s0, vcc_lo, s0
	s_delay_alu instid0(SALU_CYCLE_1) | instskip(NEXT) | instid1(SALU_CYCLE_1)
	s_and_saveexec_b32 s1, s0
	s_xor_b32 s0, exec_lo, s1
; %bb.675:
	v_cmp_ne_u32_e32 vcc_lo, 0, v140
	v_cndmask_b32_e32 v140, 33, v140, vcc_lo
; %bb.676:
	s_and_not1_saveexec_b32 s0, s0
	s_cbranch_execz .LBB126_682
; %bb.677:
	v_cmp_ngt_f32_e64 s1, |v136|, |v137|
	s_and_saveexec_b32 s12, s1
	s_delay_alu instid0(SALU_CYCLE_1)
	s_xor_b32 s1, exec_lo, s12
	s_cbranch_execz .LBB126_679
; %bb.678:
	v_div_scale_f32 v135, null, v137, v137, v136
	v_div_scale_f32 v145, vcc_lo, v136, v137, v136
	s_delay_alu instid0(VALU_DEP_2) | instskip(SKIP_1) | instid1(TRANS32_DEP_1)
	v_rcp_f32_e32 v143, v135
	v_nop
	v_fma_f32 v144, -v135, v143, 1.0
	s_delay_alu instid0(VALU_DEP_1) | instskip(NEXT) | instid1(VALU_DEP_1)
	v_fmac_f32_e32 v143, v144, v143
	v_mul_f32_e32 v144, v145, v143
	s_delay_alu instid0(VALU_DEP_1) | instskip(NEXT) | instid1(VALU_DEP_1)
	v_fma_f32 v146, -v135, v144, v145
	v_fmac_f32_e32 v144, v146, v143
	s_delay_alu instid0(VALU_DEP_1) | instskip(NEXT) | instid1(VALU_DEP_1)
	v_fma_f32 v135, -v135, v144, v145
	v_div_fmas_f32 v135, v135, v143, v144
	s_delay_alu instid0(VALU_DEP_1) | instskip(NEXT) | instid1(VALU_DEP_1)
	v_div_fixup_f32 v135, v135, v137, v136
	v_fmac_f32_e32 v137, v136, v135
	s_delay_alu instid0(VALU_DEP_1) | instskip(SKIP_1) | instid1(VALU_DEP_2)
	v_div_scale_f32 v136, null, v137, v137, 1.0
	v_div_scale_f32 v145, vcc_lo, 1.0, v137, 1.0
	v_rcp_f32_e32 v143, v136
	v_nop
	s_delay_alu instid0(TRANS32_DEP_1) | instskip(NEXT) | instid1(VALU_DEP_1)
	v_fma_f32 v144, -v136, v143, 1.0
	v_fmac_f32_e32 v143, v144, v143
	s_delay_alu instid0(VALU_DEP_1) | instskip(NEXT) | instid1(VALU_DEP_1)
	v_mul_f32_e32 v144, v145, v143
	v_fma_f32 v146, -v136, v144, v145
	s_delay_alu instid0(VALU_DEP_1) | instskip(NEXT) | instid1(VALU_DEP_1)
	v_fmac_f32_e32 v144, v146, v143
	v_fma_f32 v136, -v136, v144, v145
	s_delay_alu instid0(VALU_DEP_1) | instskip(NEXT) | instid1(VALU_DEP_1)
	v_div_fmas_f32 v136, v136, v143, v144
	v_div_fixup_f32 v137, v136, v137, 1.0
	s_delay_alu instid0(VALU_DEP_1)
	v_mul_f32_e32 v136, v135, v137
	v_xor_b32_e32 v137, 0x80000000, v137
.LBB126_679:
	s_and_not1_saveexec_b32 s1, s1
	s_cbranch_execz .LBB126_681
; %bb.680:
	s_delay_alu instid0(VALU_DEP_1) | instskip(SKIP_1) | instid1(VALU_DEP_2)
	v_div_scale_f32 v135, null, v136, v136, v137
	v_div_scale_f32 v145, vcc_lo, v137, v136, v137
	v_rcp_f32_e32 v143, v135
	v_nop
	s_delay_alu instid0(TRANS32_DEP_1) | instskip(NEXT) | instid1(VALU_DEP_1)
	v_fma_f32 v144, -v135, v143, 1.0
	v_fmac_f32_e32 v143, v144, v143
	s_delay_alu instid0(VALU_DEP_1) | instskip(NEXT) | instid1(VALU_DEP_1)
	v_mul_f32_e32 v144, v145, v143
	v_fma_f32 v146, -v135, v144, v145
	s_delay_alu instid0(VALU_DEP_1) | instskip(NEXT) | instid1(VALU_DEP_1)
	v_fmac_f32_e32 v144, v146, v143
	v_fma_f32 v135, -v135, v144, v145
	s_delay_alu instid0(VALU_DEP_1) | instskip(NEXT) | instid1(VALU_DEP_1)
	v_div_fmas_f32 v135, v135, v143, v144
	v_div_fixup_f32 v135, v135, v136, v137
	s_delay_alu instid0(VALU_DEP_1) | instskip(NEXT) | instid1(VALU_DEP_1)
	v_fmac_f32_e32 v136, v137, v135
	v_div_scale_f32 v137, null, v136, v136, 1.0
	s_delay_alu instid0(VALU_DEP_1) | instskip(SKIP_1) | instid1(TRANS32_DEP_1)
	v_rcp_f32_e32 v143, v137
	v_nop
	v_fma_f32 v144, -v137, v143, 1.0
	s_delay_alu instid0(VALU_DEP_1) | instskip(SKIP_1) | instid1(VALU_DEP_1)
	v_fmac_f32_e32 v143, v144, v143
	v_div_scale_f32 v144, vcc_lo, 1.0, v136, 1.0
	v_mul_f32_e32 v145, v144, v143
	s_delay_alu instid0(VALU_DEP_1) | instskip(NEXT) | instid1(VALU_DEP_1)
	v_fma_f32 v146, -v137, v145, v144
	v_fmac_f32_e32 v145, v146, v143
	s_delay_alu instid0(VALU_DEP_1) | instskip(NEXT) | instid1(VALU_DEP_1)
	v_fma_f32 v137, -v137, v145, v144
	v_div_fmas_f32 v137, v137, v143, v145
	s_delay_alu instid0(VALU_DEP_1) | instskip(NEXT) | instid1(VALU_DEP_1)
	v_div_fixup_f32 v136, v137, v136, 1.0
	v_mul_f32_e64 v137, v135, -v136
.LBB126_681:
	s_or_b32 exec_lo, exec_lo, s1
.LBB126_682:
	s_delay_alu instid0(SALU_CYCLE_1) | instskip(NEXT) | instid1(SALU_CYCLE_1)
	s_or_b32 exec_lo, exec_lo, s0
	s_mov_b32 s0, exec_lo
	v_cmpx_ne_u32_e64 v142, v134
	s_xor_b32 s0, exec_lo, s0
	s_cbranch_execz .LBB126_688
; %bb.683:
	s_mov_b32 s1, exec_lo
	v_cmpx_eq_u32_e32 32, v142
	s_cbranch_execz .LBB126_687
; %bb.684:
	v_cmp_ne_u32_e32 vcc_lo, 32, v134
	s_xor_b32 s12, s16, -1
	s_delay_alu instid0(SALU_CYCLE_1) | instskip(NEXT) | instid1(SALU_CYCLE_1)
	s_and_b32 s13, s12, vcc_lo
	s_and_saveexec_b32 s12, s13
	s_cbranch_execz .LBB126_686
; %bb.685:
	v_ashrrev_i32_e32 v135, 31, v134
	s_delay_alu instid0(VALU_DEP_1)
	v_lshl_add_u64 v[142:143], v[134:135], 2, v[4:5]
	s_clause 0x1
	global_load_b32 v135, v[142:143], off
	global_load_b32 v141, v[4:5], off offset:128
	s_wait_loadcnt 0x1
	global_store_b32 v[4:5], v135, off offset:128
	s_wait_loadcnt 0x0
	global_store_b32 v[142:143], v141, off
.LBB126_686:
	s_wait_xcnt 0x0
	s_or_b32 exec_lo, exec_lo, s12
	v_dual_mov_b32 v142, v134 :: v_dual_mov_b32 v141, v134
.LBB126_687:
	s_or_b32 exec_lo, exec_lo, s1
.LBB126_688:
	s_and_not1_saveexec_b32 s0, s0
	s_cbranch_execz .LBB126_690
; %bb.689:
	v_mov_b32_e32 v142, 32
	ds_store_2addr_b64 v138, v[76:77], v[78:79] offset0:33 offset1:34
	ds_store_2addr_b64 v138, v[24:25], v[74:75] offset0:35 offset1:36
	;; [unrolled: 1-line block ×15, first 2 shown]
	ds_store_b64 v138, v[132:133] offset:504
.LBB126_690:
	s_or_b32 exec_lo, exec_lo, s0
	s_delay_alu instid0(SALU_CYCLE_1)
	s_mov_b32 s0, exec_lo
	s_wait_storecnt_dscnt 0x0
	s_barrier_signal -1
	s_barrier_wait -1
	v_cmpx_lt_i32_e32 32, v142
	s_cbranch_execz .LBB126_692
; %bb.691:
	v_pk_mul_f32 v[144:145], v[136:137], v[80:81] op_sel:[1,1] op_sel_hi:[0,1]
	s_delay_alu instid0(VALU_DEP_1)
	v_pk_fma_f32 v[134:135], v[136:137], v[80:81], v[144:145] op_sel_hi:[1,0,1] neg_lo:[0,0,1] neg_hi:[0,0,1]
	v_pk_fma_f32 v[136:137], v[136:137], v[80:81], v[144:145] op_sel_hi:[1,0,1]
	ds_load_2addr_b64 v[144:147], v138 offset0:33 offset1:34
	v_dual_mov_b32 v80, v134 :: v_dual_mov_b32 v81, v137
	s_wait_dscnt 0x0
	v_pk_mul_f32 v[148:149], v[144:145], v[136:137] op_sel:[0,1]
	s_delay_alu instid0(VALU_DEP_1) | instskip(SKIP_1) | instid1(VALU_DEP_1)
	v_pk_fma_f32 v[150:151], v[144:145], v[134:135], v[148:149] op_sel:[0,0,1] op_sel_hi:[1,1,0] neg_lo:[0,0,1] neg_hi:[0,0,1]
	v_pk_fma_f32 v[144:145], v[144:145], v[134:135], v[148:149] op_sel:[0,0,1] op_sel_hi:[1,0,0]
	v_mov_b32_e32 v151, v145
	v_pk_mul_f32 v[144:145], v[146:147], v[136:137] op_sel:[0,1]
	s_delay_alu instid0(VALU_DEP_1) | instskip(SKIP_1) | instid1(VALU_DEP_1)
	v_pk_fma_f32 v[148:149], v[146:147], v[134:135], v[144:145] op_sel:[0,0,1] op_sel_hi:[1,1,0] neg_lo:[0,0,1] neg_hi:[0,0,1]
	v_pk_fma_f32 v[144:145], v[146:147], v[134:135], v[144:145] op_sel:[0,0,1] op_sel_hi:[1,0,0]
	v_mov_b32_e32 v149, v145
	ds_load_2addr_b64 v[144:147], v138 offset0:35 offset1:36
	v_pk_add_f32 v[76:77], v[76:77], v[150:151] neg_lo:[0,1] neg_hi:[0,1]
	v_pk_add_f32 v[78:79], v[78:79], v[148:149] neg_lo:[0,1] neg_hi:[0,1]
	s_wait_dscnt 0x0
	v_pk_mul_f32 v[148:149], v[144:145], v[136:137] op_sel:[0,1]
	s_delay_alu instid0(VALU_DEP_1) | instskip(SKIP_2) | instid1(VALU_DEP_2)
	v_pk_fma_f32 v[150:151], v[144:145], v[134:135], v[148:149] op_sel:[0,0,1] op_sel_hi:[1,1,0] neg_lo:[0,0,1] neg_hi:[0,0,1]
	v_pk_fma_f32 v[144:145], v[144:145], v[134:135], v[148:149] op_sel:[0,0,1] op_sel_hi:[1,0,0]
	v_dual_mul_f32 v148, v147, v137 :: v_dual_mov_b32 v144, v147
	v_dual_mov_b32 v151, v145 :: v_dual_mov_b32 v145, v146
	s_delay_alu instid0(VALU_DEP_2) | instskip(SKIP_1) | instid1(VALU_DEP_3)
	v_pk_fma_f32 v[148:149], v[146:147], v[80:81], v[148:149] op_sel_hi:[1,1,0] neg_lo:[0,0,1] neg_hi:[0,0,1]
	v_mul_f32_e32 v146, v147, v134
	v_pk_add_f32 v[24:25], v[24:25], v[150:151] neg_lo:[0,1] neg_hi:[0,1]
	s_delay_alu instid0(VALU_DEP_2) | instskip(NEXT) | instid1(VALU_DEP_1)
	v_pk_fma_f32 v[144:145], v[144:145], v[80:81], v[146:147] op_sel_hi:[1,1,0]
	v_mov_b32_e32 v149, v145
	ds_load_2addr_b64 v[144:147], v138 offset0:37 offset1:38
	v_pk_add_f32 v[74:75], v[74:75], v[148:149] neg_lo:[0,1] neg_hi:[0,1]
	s_wait_dscnt 0x0
	v_pk_mul_f32 v[148:149], v[144:145], v[136:137] op_sel:[0,1]
	s_delay_alu instid0(VALU_DEP_1) | instskip(SKIP_1) | instid1(VALU_DEP_1)
	v_pk_fma_f32 v[150:151], v[144:145], v[134:135], v[148:149] op_sel:[0,0,1] op_sel_hi:[1,1,0] neg_lo:[0,0,1] neg_hi:[0,0,1]
	v_pk_fma_f32 v[144:145], v[144:145], v[134:135], v[148:149] op_sel:[0,0,1] op_sel_hi:[1,0,0]
	v_mov_b32_e32 v151, v145
	v_pk_mul_f32 v[144:145], v[146:147], v[136:137] op_sel:[0,1]
	s_delay_alu instid0(VALU_DEP_1) | instskip(SKIP_1) | instid1(VALU_DEP_1)
	v_pk_fma_f32 v[148:149], v[146:147], v[134:135], v[144:145] op_sel:[0,0,1] op_sel_hi:[1,1,0] neg_lo:[0,0,1] neg_hi:[0,0,1]
	v_pk_fma_f32 v[144:145], v[146:147], v[134:135], v[144:145] op_sel:[0,0,1] op_sel_hi:[1,0,0]
	v_mov_b32_e32 v149, v145
	ds_load_2addr_b64 v[144:147], v138 offset0:39 offset1:40
	v_pk_add_f32 v[70:71], v[70:71], v[150:151] neg_lo:[0,1] neg_hi:[0,1]
	v_pk_add_f32 v[72:73], v[72:73], v[148:149] neg_lo:[0,1] neg_hi:[0,1]
	s_wait_dscnt 0x0
	v_pk_mul_f32 v[148:149], v[144:145], v[136:137] op_sel:[0,1]
	s_delay_alu instid0(VALU_DEP_1) | instskip(SKIP_1) | instid1(VALU_DEP_1)
	v_pk_fma_f32 v[150:151], v[144:145], v[134:135], v[148:149] op_sel:[0,0,1] op_sel_hi:[1,1,0] neg_lo:[0,0,1] neg_hi:[0,0,1]
	v_pk_fma_f32 v[144:145], v[144:145], v[134:135], v[148:149] op_sel:[0,0,1] op_sel_hi:[1,0,0]
	v_mov_b32_e32 v151, v145
	v_pk_mul_f32 v[144:145], v[146:147], v[136:137] op_sel:[0,1]
	s_delay_alu instid0(VALU_DEP_1) | instskip(SKIP_1) | instid1(VALU_DEP_1)
	v_pk_fma_f32 v[148:149], v[146:147], v[134:135], v[144:145] op_sel:[0,0,1] op_sel_hi:[1,1,0] neg_lo:[0,0,1] neg_hi:[0,0,1]
	v_pk_fma_f32 v[144:145], v[146:147], v[134:135], v[144:145] op_sel:[0,0,1] op_sel_hi:[1,0,0]
	v_mov_b32_e32 v149, v145
	ds_load_2addr_b64 v[144:147], v138 offset0:41 offset1:42
	v_pk_add_f32 v[22:23], v[22:23], v[150:151] neg_lo:[0,1] neg_hi:[0,1]
	v_pk_add_f32 v[68:69], v[68:69], v[148:149] neg_lo:[0,1] neg_hi:[0,1]
	s_wait_dscnt 0x0
	v_dual_mul_f32 v148, v145, v137 :: v_dual_mul_f32 v150, v145, v134
	s_delay_alu instid0(VALU_DEP_1) | instskip(NEXT) | instid1(VALU_DEP_2)
	v_pk_fma_f32 v[148:149], v[144:145], v[80:81], v[148:149] op_sel_hi:[1,1,0] neg_lo:[0,0,1] neg_hi:[0,0,1]
	v_pk_fma_f32 v[144:145], v[144:145], v[80:81], v[150:151] op_sel:[1,0,0] op_sel_hi:[0,1,0]
	s_delay_alu instid0(VALU_DEP_1) | instskip(SKIP_1) | instid1(VALU_DEP_2)
	v_mov_b32_e32 v149, v145
	v_pk_mul_f32 v[144:145], v[146:147], v[136:137] op_sel:[0,1]
	v_pk_add_f32 v[64:65], v[64:65], v[148:149] neg_lo:[0,1] neg_hi:[0,1]
	s_delay_alu instid0(VALU_DEP_2) | instskip(SKIP_1) | instid1(VALU_DEP_1)
	v_pk_fma_f32 v[148:149], v[146:147], v[134:135], v[144:145] op_sel:[0,0,1] op_sel_hi:[1,1,0] neg_lo:[0,0,1] neg_hi:[0,0,1]
	v_pk_fma_f32 v[144:145], v[146:147], v[134:135], v[144:145] op_sel:[0,0,1] op_sel_hi:[1,0,0]
	v_mov_b32_e32 v149, v145
	ds_load_2addr_b64 v[144:147], v138 offset0:43 offset1:44
	v_pk_add_f32 v[66:67], v[66:67], v[148:149] neg_lo:[0,1] neg_hi:[0,1]
	s_wait_dscnt 0x0
	v_pk_mul_f32 v[148:149], v[144:145], v[136:137] op_sel:[0,1]
	s_delay_alu instid0(VALU_DEP_1) | instskip(SKIP_1) | instid1(VALU_DEP_1)
	v_pk_fma_f32 v[150:151], v[144:145], v[134:135], v[148:149] op_sel:[0,0,1] op_sel_hi:[1,1,0] neg_lo:[0,0,1] neg_hi:[0,0,1]
	v_pk_fma_f32 v[144:145], v[144:145], v[134:135], v[148:149] op_sel:[0,0,1] op_sel_hi:[1,0,0]
	v_mov_b32_e32 v151, v145
	v_pk_mul_f32 v[144:145], v[146:147], v[136:137] op_sel:[0,1]
	s_delay_alu instid0(VALU_DEP_2) | instskip(NEXT) | instid1(VALU_DEP_2)
	v_pk_add_f32 v[18:19], v[18:19], v[150:151] neg_lo:[0,1] neg_hi:[0,1]
	v_pk_fma_f32 v[148:149], v[146:147], v[134:135], v[144:145] op_sel:[0,0,1] op_sel_hi:[1,1,0] neg_lo:[0,0,1] neg_hi:[0,0,1]
	v_pk_fma_f32 v[144:145], v[146:147], v[134:135], v[144:145] op_sel:[0,0,1] op_sel_hi:[1,0,0]
	s_delay_alu instid0(VALU_DEP_1) | instskip(SKIP_4) | instid1(VALU_DEP_1)
	v_mov_b32_e32 v149, v145
	ds_load_2addr_b64 v[144:147], v138 offset0:45 offset1:46
	v_pk_add_f32 v[60:61], v[60:61], v[148:149] neg_lo:[0,1] neg_hi:[0,1]
	s_wait_dscnt 0x0
	v_pk_mul_f32 v[148:149], v[144:145], v[136:137] op_sel:[0,1]
	v_pk_fma_f32 v[150:151], v[144:145], v[134:135], v[148:149] op_sel:[0,0,1] op_sel_hi:[1,1,0] neg_lo:[0,0,1] neg_hi:[0,0,1]
	v_pk_fma_f32 v[144:145], v[144:145], v[134:135], v[148:149] op_sel:[0,0,1] op_sel_hi:[1,0,0]
	v_dual_mul_f32 v148, v147, v137 :: v_dual_mov_b32 v144, v147
	s_delay_alu instid0(VALU_DEP_2) | instskip(NEXT) | instid1(VALU_DEP_2)
	v_dual_mov_b32 v151, v145 :: v_dual_mov_b32 v145, v146
	v_pk_fma_f32 v[148:149], v[146:147], v[80:81], v[148:149] op_sel_hi:[1,1,0] neg_lo:[0,0,1] neg_hi:[0,0,1]
	v_mul_f32_e32 v146, v147, v134
	s_delay_alu instid0(VALU_DEP_3) | instskip(NEXT) | instid1(VALU_DEP_2)
	v_pk_add_f32 v[56:57], v[56:57], v[150:151] neg_lo:[0,1] neg_hi:[0,1]
	v_pk_fma_f32 v[144:145], v[144:145], v[80:81], v[146:147] op_sel_hi:[1,1,0]
	s_delay_alu instid0(VALU_DEP_1) | instskip(SKIP_4) | instid1(VALU_DEP_1)
	v_mov_b32_e32 v149, v145
	ds_load_2addr_b64 v[144:147], v138 offset0:47 offset1:48
	v_pk_add_f32 v[58:59], v[58:59], v[148:149] neg_lo:[0,1] neg_hi:[0,1]
	s_wait_dscnt 0x0
	v_pk_mul_f32 v[148:149], v[144:145], v[136:137] op_sel:[0,1]
	v_pk_fma_f32 v[150:151], v[144:145], v[134:135], v[148:149] op_sel:[0,0,1] op_sel_hi:[1,1,0] neg_lo:[0,0,1] neg_hi:[0,0,1]
	v_pk_fma_f32 v[144:145], v[144:145], v[134:135], v[148:149] op_sel:[0,0,1] op_sel_hi:[1,0,0]
	s_delay_alu instid0(VALU_DEP_1) | instskip(SKIP_1) | instid1(VALU_DEP_1)
	v_mov_b32_e32 v151, v145
	v_pk_mul_f32 v[144:145], v[146:147], v[136:137] op_sel:[0,1]
	v_pk_fma_f32 v[148:149], v[146:147], v[134:135], v[144:145] op_sel:[0,0,1] op_sel_hi:[1,1,0] neg_lo:[0,0,1] neg_hi:[0,0,1]
	v_pk_fma_f32 v[144:145], v[146:147], v[134:135], v[144:145] op_sel:[0,0,1] op_sel_hi:[1,0,0]
	s_delay_alu instid0(VALU_DEP_1)
	v_mov_b32_e32 v149, v145
	ds_load_2addr_b64 v[144:147], v138 offset0:49 offset1:50
	v_pk_add_f32 v[12:13], v[12:13], v[150:151] neg_lo:[0,1] neg_hi:[0,1]
	v_pk_add_f32 v[54:55], v[54:55], v[148:149] neg_lo:[0,1] neg_hi:[0,1]
	s_wait_dscnt 0x0
	v_pk_mul_f32 v[148:149], v[144:145], v[136:137] op_sel:[0,1]
	s_delay_alu instid0(VALU_DEP_1) | instskip(SKIP_1) | instid1(VALU_DEP_1)
	v_pk_fma_f32 v[150:151], v[144:145], v[134:135], v[148:149] op_sel:[0,0,1] op_sel_hi:[1,1,0] neg_lo:[0,0,1] neg_hi:[0,0,1]
	v_pk_fma_f32 v[144:145], v[144:145], v[134:135], v[148:149] op_sel:[0,0,1] op_sel_hi:[1,0,0]
	v_mov_b32_e32 v151, v145
	v_pk_mul_f32 v[144:145], v[146:147], v[136:137] op_sel:[0,1]
	s_delay_alu instid0(VALU_DEP_1) | instskip(SKIP_1) | instid1(VALU_DEP_1)
	v_pk_fma_f32 v[148:149], v[146:147], v[134:135], v[144:145] op_sel:[0,0,1] op_sel_hi:[1,1,0] neg_lo:[0,0,1] neg_hi:[0,0,1]
	v_pk_fma_f32 v[144:145], v[146:147], v[134:135], v[144:145] op_sel:[0,0,1] op_sel_hi:[1,0,0]
	v_mov_b32_e32 v149, v145
	ds_load_2addr_b64 v[144:147], v138 offset0:51 offset1:52
	v_pk_add_f32 v[52:53], v[52:53], v[150:151] neg_lo:[0,1] neg_hi:[0,1]
	v_pk_add_f32 v[62:63], v[62:63], v[148:149] neg_lo:[0,1] neg_hi:[0,1]
	s_wait_dscnt 0x0
	v_dual_mul_f32 v148, v145, v137 :: v_dual_mul_f32 v150, v145, v134
	s_delay_alu instid0(VALU_DEP_1) | instskip(NEXT) | instid1(VALU_DEP_2)
	v_pk_fma_f32 v[148:149], v[144:145], v[80:81], v[148:149] op_sel_hi:[1,1,0] neg_lo:[0,0,1] neg_hi:[0,0,1]
	v_pk_fma_f32 v[144:145], v[144:145], v[80:81], v[150:151] op_sel:[1,0,0] op_sel_hi:[0,1,0]
	s_delay_alu instid0(VALU_DEP_1) | instskip(SKIP_1) | instid1(VALU_DEP_2)
	v_mov_b32_e32 v149, v145
	v_pk_mul_f32 v[144:145], v[146:147], v[136:137] op_sel:[0,1]
	v_pk_add_f32 v[16:17], v[16:17], v[148:149] neg_lo:[0,1] neg_hi:[0,1]
	s_delay_alu instid0(VALU_DEP_2) | instskip(SKIP_1) | instid1(VALU_DEP_1)
	v_pk_fma_f32 v[148:149], v[146:147], v[134:135], v[144:145] op_sel:[0,0,1] op_sel_hi:[1,1,0] neg_lo:[0,0,1] neg_hi:[0,0,1]
	v_pk_fma_f32 v[144:145], v[146:147], v[134:135], v[144:145] op_sel:[0,0,1] op_sel_hi:[1,0,0]
	v_mov_b32_e32 v149, v145
	ds_load_2addr_b64 v[144:147], v138 offset0:53 offset1:54
	v_pk_add_f32 v[48:49], v[48:49], v[148:149] neg_lo:[0,1] neg_hi:[0,1]
	s_wait_dscnt 0x0
	v_pk_mul_f32 v[148:149], v[144:145], v[136:137] op_sel:[0,1]
	s_delay_alu instid0(VALU_DEP_1) | instskip(SKIP_1) | instid1(VALU_DEP_1)
	v_pk_fma_f32 v[150:151], v[144:145], v[134:135], v[148:149] op_sel:[0,0,1] op_sel_hi:[1,1,0] neg_lo:[0,0,1] neg_hi:[0,0,1]
	v_pk_fma_f32 v[144:145], v[144:145], v[134:135], v[148:149] op_sel:[0,0,1] op_sel_hi:[1,0,0]
	v_mov_b32_e32 v151, v145
	v_pk_mul_f32 v[144:145], v[146:147], v[136:137] op_sel:[0,1]
	s_delay_alu instid0(VALU_DEP_2) | instskip(NEXT) | instid1(VALU_DEP_2)
	v_pk_add_f32 v[42:43], v[42:43], v[150:151] neg_lo:[0,1] neg_hi:[0,1]
	v_pk_fma_f32 v[148:149], v[146:147], v[134:135], v[144:145] op_sel:[0,0,1] op_sel_hi:[1,1,0] neg_lo:[0,0,1] neg_hi:[0,0,1]
	v_pk_fma_f32 v[144:145], v[146:147], v[134:135], v[144:145] op_sel:[0,0,1] op_sel_hi:[1,0,0]
	s_delay_alu instid0(VALU_DEP_1) | instskip(SKIP_4) | instid1(VALU_DEP_1)
	v_mov_b32_e32 v149, v145
	ds_load_2addr_b64 v[144:147], v138 offset0:55 offset1:56
	v_pk_add_f32 v[46:47], v[46:47], v[148:149] neg_lo:[0,1] neg_hi:[0,1]
	s_wait_dscnt 0x0
	v_pk_mul_f32 v[148:149], v[144:145], v[136:137] op_sel:[0,1]
	v_pk_fma_f32 v[150:151], v[144:145], v[134:135], v[148:149] op_sel:[0,0,1] op_sel_hi:[1,1,0] neg_lo:[0,0,1] neg_hi:[0,0,1]
	v_pk_fma_f32 v[144:145], v[144:145], v[134:135], v[148:149] op_sel:[0,0,1] op_sel_hi:[1,0,0]
	v_dual_mul_f32 v148, v147, v137 :: v_dual_mov_b32 v144, v147
	s_delay_alu instid0(VALU_DEP_2) | instskip(NEXT) | instid1(VALU_DEP_2)
	v_dual_mov_b32 v151, v145 :: v_dual_mov_b32 v145, v146
	v_pk_fma_f32 v[148:149], v[146:147], v[80:81], v[148:149] op_sel_hi:[1,1,0] neg_lo:[0,0,1] neg_hi:[0,0,1]
	v_mul_f32_e32 v146, v147, v134
	s_delay_alu instid0(VALU_DEP_3) | instskip(NEXT) | instid1(VALU_DEP_2)
	v_pk_add_f32 v[8:9], v[8:9], v[150:151] neg_lo:[0,1] neg_hi:[0,1]
	v_pk_fma_f32 v[144:145], v[144:145], v[80:81], v[146:147] op_sel_hi:[1,1,0]
	s_delay_alu instid0(VALU_DEP_1) | instskip(SKIP_4) | instid1(VALU_DEP_1)
	v_mov_b32_e32 v149, v145
	ds_load_2addr_b64 v[144:147], v138 offset0:57 offset1:58
	v_pk_add_f32 v[32:33], v[32:33], v[148:149] neg_lo:[0,1] neg_hi:[0,1]
	s_wait_dscnt 0x0
	v_pk_mul_f32 v[148:149], v[144:145], v[136:137] op_sel:[0,1]
	v_pk_fma_f32 v[150:151], v[144:145], v[134:135], v[148:149] op_sel:[0,0,1] op_sel_hi:[1,1,0] neg_lo:[0,0,1] neg_hi:[0,0,1]
	v_pk_fma_f32 v[144:145], v[144:145], v[134:135], v[148:149] op_sel:[0,0,1] op_sel_hi:[1,0,0]
	s_delay_alu instid0(VALU_DEP_1) | instskip(SKIP_1) | instid1(VALU_DEP_1)
	v_mov_b32_e32 v151, v145
	v_pk_mul_f32 v[144:145], v[146:147], v[136:137] op_sel:[0,1]
	v_pk_fma_f32 v[148:149], v[146:147], v[134:135], v[144:145] op_sel:[0,0,1] op_sel_hi:[1,1,0] neg_lo:[0,0,1] neg_hi:[0,0,1]
	v_pk_fma_f32 v[144:145], v[146:147], v[134:135], v[144:145] op_sel:[0,0,1] op_sel_hi:[1,0,0]
	s_delay_alu instid0(VALU_DEP_1)
	v_mov_b32_e32 v149, v145
	ds_load_2addr_b64 v[144:147], v138 offset0:59 offset1:60
	v_pk_add_f32 v[28:29], v[28:29], v[150:151] neg_lo:[0,1] neg_hi:[0,1]
	v_pk_add_f32 v[30:31], v[30:31], v[148:149] neg_lo:[0,1] neg_hi:[0,1]
	s_wait_dscnt 0x0
	v_pk_mul_f32 v[148:149], v[144:145], v[136:137] op_sel:[0,1]
	s_delay_alu instid0(VALU_DEP_1) | instskip(SKIP_1) | instid1(VALU_DEP_1)
	v_pk_fma_f32 v[150:151], v[144:145], v[134:135], v[148:149] op_sel:[0,0,1] op_sel_hi:[1,1,0] neg_lo:[0,0,1] neg_hi:[0,0,1]
	v_pk_fma_f32 v[144:145], v[144:145], v[134:135], v[148:149] op_sel:[0,0,1] op_sel_hi:[1,0,0]
	v_mov_b32_e32 v151, v145
	v_pk_mul_f32 v[144:145], v[146:147], v[136:137] op_sel:[0,1]
	s_delay_alu instid0(VALU_DEP_1) | instskip(SKIP_1) | instid1(VALU_DEP_1)
	v_pk_fma_f32 v[148:149], v[146:147], v[134:135], v[144:145] op_sel:[0,0,1] op_sel_hi:[1,1,0] neg_lo:[0,0,1] neg_hi:[0,0,1]
	v_pk_fma_f32 v[144:145], v[146:147], v[134:135], v[144:145] op_sel:[0,0,1] op_sel_hi:[1,0,0]
	v_mov_b32_e32 v149, v145
	ds_load_2addr_b64 v[144:147], v138 offset0:61 offset1:62
	v_pk_add_f32 v[6:7], v[6:7], v[150:151] neg_lo:[0,1] neg_hi:[0,1]
	v_pk_add_f32 v[20:21], v[20:21], v[148:149] neg_lo:[0,1] neg_hi:[0,1]
	s_wait_dscnt 0x0
	v_dual_mul_f32 v148, v145, v137 :: v_dual_mul_f32 v150, v145, v134
	s_delay_alu instid0(VALU_DEP_1) | instskip(NEXT) | instid1(VALU_DEP_2)
	v_pk_fma_f32 v[148:149], v[144:145], v[80:81], v[148:149] op_sel_hi:[1,1,0] neg_lo:[0,0,1] neg_hi:[0,0,1]
	v_pk_fma_f32 v[144:145], v[144:145], v[80:81], v[150:151] op_sel:[1,0,0] op_sel_hi:[0,1,0]
	s_delay_alu instid0(VALU_DEP_1) | instskip(SKIP_1) | instid1(VALU_DEP_2)
	v_mov_b32_e32 v149, v145
	v_pk_mul_f32 v[144:145], v[146:147], v[136:137] op_sel:[0,1]
	v_pk_add_f32 v[14:15], v[14:15], v[148:149] neg_lo:[0,1] neg_hi:[0,1]
	s_delay_alu instid0(VALU_DEP_2) | instskip(SKIP_1) | instid1(VALU_DEP_1)
	v_pk_fma_f32 v[148:149], v[146:147], v[134:135], v[144:145] op_sel:[0,0,1] op_sel_hi:[1,1,0] neg_lo:[0,0,1] neg_hi:[0,0,1]
	v_pk_fma_f32 v[144:145], v[146:147], v[134:135], v[144:145] op_sel:[0,0,1] op_sel_hi:[1,0,0]
	v_mov_b32_e32 v149, v145
	ds_load_b64 v[144:145], v138 offset:504
	v_pk_add_f32 v[10:11], v[10:11], v[148:149] neg_lo:[0,1] neg_hi:[0,1]
	s_wait_dscnt 0x0
	v_pk_mul_f32 v[136:137], v[144:145], v[136:137] op_sel:[0,1]
	s_delay_alu instid0(VALU_DEP_1) | instskip(SKIP_1) | instid1(VALU_DEP_1)
	v_pk_fma_f32 v[146:147], v[144:145], v[134:135], v[136:137] op_sel:[0,0,1] op_sel_hi:[1,1,0] neg_lo:[0,0,1] neg_hi:[0,0,1]
	v_pk_fma_f32 v[134:135], v[144:145], v[134:135], v[136:137] op_sel:[0,0,1] op_sel_hi:[1,0,0]
	v_mov_b32_e32 v147, v135
	s_delay_alu instid0(VALU_DEP_1)
	v_pk_add_f32 v[132:133], v[132:133], v[146:147] neg_lo:[0,1] neg_hi:[0,1]
.LBB126_692:
	s_or_b32 exec_lo, exec_lo, s0
	v_lshl_add_u32 v134, v142, 3, v138
	s_barrier_signal -1
	s_barrier_wait -1
	ds_store_b64 v134, v[76:77]
	s_wait_dscnt 0x0
	s_barrier_signal -1
	s_barrier_wait -1
	ds_load_b64 v[136:137], v138 offset:264
	v_mov_b32_e32 v134, 33
	s_cmp_lt_i32 s18, 35
	s_cbranch_scc1 .LBB126_695
; %bb.693:
	v_add3_u32 v135, v139, 0, 0x110
	v_mov_b32_e32 v134, 33
	s_mov_b32 s0, 34
.LBB126_694:                            ; =>This Inner Loop Header: Depth=1
	ds_load_b64 v[144:145], v135
	s_wait_dscnt 0x1
	v_cmp_gt_f32_e32 vcc_lo, 0, v136
	v_cndmask_b32_e64 v146, v136, -v136, vcc_lo
	v_cmp_gt_f32_e32 vcc_lo, 0, v137
	v_cndmask_b32_e64 v148, v137, -v137, vcc_lo
	s_wait_dscnt 0x0
	v_cmp_gt_f32_e32 vcc_lo, 0, v144
	v_cndmask_b32_e64 v147, v144, -v144, vcc_lo
	v_cmp_gt_f32_e32 vcc_lo, 0, v145
	v_cndmask_b32_e64 v149, v145, -v145, vcc_lo
	s_delay_alu instid0(VALU_DEP_1) | instskip(NEXT) | instid1(VALU_DEP_1)
	v_pk_add_f32 v[146:147], v[146:147], v[148:149]
	v_cmp_lt_f32_e32 vcc_lo, v146, v147
	v_dual_add_nc_u32 v135, 8, v135 :: v_dual_cndmask_b32 v137, v137, v145, vcc_lo
	v_cndmask_b32_e32 v136, v136, v144, vcc_lo
	v_cndmask_b32_e64 v134, v134, s0, vcc_lo
	s_add_co_i32 s0, s0, 1
	s_delay_alu instid0(SALU_CYCLE_1)
	s_cmp_lg_u32 s18, s0
	s_cbranch_scc1 .LBB126_694
.LBB126_695:
	s_wait_dscnt 0x0
	v_cmp_eq_f32_e32 vcc_lo, 0, v136
	v_cmp_eq_f32_e64 s0, 0, v137
	s_and_b32 s0, vcc_lo, s0
	s_delay_alu instid0(SALU_CYCLE_1) | instskip(NEXT) | instid1(SALU_CYCLE_1)
	s_and_saveexec_b32 s1, s0
	s_xor_b32 s0, exec_lo, s1
; %bb.696:
	v_cmp_ne_u32_e32 vcc_lo, 0, v140
	v_cndmask_b32_e32 v140, 34, v140, vcc_lo
; %bb.697:
	s_and_not1_saveexec_b32 s0, s0
	s_cbranch_execz .LBB126_703
; %bb.698:
	v_cmp_ngt_f32_e64 s1, |v136|, |v137|
	s_and_saveexec_b32 s12, s1
	s_delay_alu instid0(SALU_CYCLE_1)
	s_xor_b32 s1, exec_lo, s12
	s_cbranch_execz .LBB126_700
; %bb.699:
	v_div_scale_f32 v135, null, v137, v137, v136
	v_div_scale_f32 v145, vcc_lo, v136, v137, v136
	s_delay_alu instid0(VALU_DEP_2) | instskip(SKIP_1) | instid1(TRANS32_DEP_1)
	v_rcp_f32_e32 v143, v135
	v_nop
	v_fma_f32 v144, -v135, v143, 1.0
	s_delay_alu instid0(VALU_DEP_1) | instskip(NEXT) | instid1(VALU_DEP_1)
	v_fmac_f32_e32 v143, v144, v143
	v_mul_f32_e32 v144, v145, v143
	s_delay_alu instid0(VALU_DEP_1) | instskip(NEXT) | instid1(VALU_DEP_1)
	v_fma_f32 v146, -v135, v144, v145
	v_fmac_f32_e32 v144, v146, v143
	s_delay_alu instid0(VALU_DEP_1) | instskip(NEXT) | instid1(VALU_DEP_1)
	v_fma_f32 v135, -v135, v144, v145
	v_div_fmas_f32 v135, v135, v143, v144
	s_delay_alu instid0(VALU_DEP_1) | instskip(NEXT) | instid1(VALU_DEP_1)
	v_div_fixup_f32 v135, v135, v137, v136
	v_fmac_f32_e32 v137, v136, v135
	s_delay_alu instid0(VALU_DEP_1) | instskip(SKIP_1) | instid1(VALU_DEP_2)
	v_div_scale_f32 v136, null, v137, v137, 1.0
	v_div_scale_f32 v145, vcc_lo, 1.0, v137, 1.0
	v_rcp_f32_e32 v143, v136
	v_nop
	s_delay_alu instid0(TRANS32_DEP_1) | instskip(NEXT) | instid1(VALU_DEP_1)
	v_fma_f32 v144, -v136, v143, 1.0
	v_fmac_f32_e32 v143, v144, v143
	s_delay_alu instid0(VALU_DEP_1) | instskip(NEXT) | instid1(VALU_DEP_1)
	v_mul_f32_e32 v144, v145, v143
	v_fma_f32 v146, -v136, v144, v145
	s_delay_alu instid0(VALU_DEP_1) | instskip(NEXT) | instid1(VALU_DEP_1)
	v_fmac_f32_e32 v144, v146, v143
	v_fma_f32 v136, -v136, v144, v145
	s_delay_alu instid0(VALU_DEP_1) | instskip(NEXT) | instid1(VALU_DEP_1)
	v_div_fmas_f32 v136, v136, v143, v144
	v_div_fixup_f32 v137, v136, v137, 1.0
	s_delay_alu instid0(VALU_DEP_1)
	v_mul_f32_e32 v136, v135, v137
	v_xor_b32_e32 v137, 0x80000000, v137
.LBB126_700:
	s_and_not1_saveexec_b32 s1, s1
	s_cbranch_execz .LBB126_702
; %bb.701:
	s_delay_alu instid0(VALU_DEP_1) | instskip(SKIP_1) | instid1(VALU_DEP_2)
	v_div_scale_f32 v135, null, v136, v136, v137
	v_div_scale_f32 v145, vcc_lo, v137, v136, v137
	v_rcp_f32_e32 v143, v135
	v_nop
	s_delay_alu instid0(TRANS32_DEP_1) | instskip(NEXT) | instid1(VALU_DEP_1)
	v_fma_f32 v144, -v135, v143, 1.0
	v_fmac_f32_e32 v143, v144, v143
	s_delay_alu instid0(VALU_DEP_1) | instskip(NEXT) | instid1(VALU_DEP_1)
	v_mul_f32_e32 v144, v145, v143
	v_fma_f32 v146, -v135, v144, v145
	s_delay_alu instid0(VALU_DEP_1) | instskip(NEXT) | instid1(VALU_DEP_1)
	v_fmac_f32_e32 v144, v146, v143
	v_fma_f32 v135, -v135, v144, v145
	s_delay_alu instid0(VALU_DEP_1) | instskip(NEXT) | instid1(VALU_DEP_1)
	v_div_fmas_f32 v135, v135, v143, v144
	v_div_fixup_f32 v135, v135, v136, v137
	s_delay_alu instid0(VALU_DEP_1) | instskip(NEXT) | instid1(VALU_DEP_1)
	v_fmac_f32_e32 v136, v137, v135
	v_div_scale_f32 v137, null, v136, v136, 1.0
	s_delay_alu instid0(VALU_DEP_1) | instskip(SKIP_1) | instid1(TRANS32_DEP_1)
	v_rcp_f32_e32 v143, v137
	v_nop
	v_fma_f32 v144, -v137, v143, 1.0
	s_delay_alu instid0(VALU_DEP_1) | instskip(SKIP_1) | instid1(VALU_DEP_1)
	v_fmac_f32_e32 v143, v144, v143
	v_div_scale_f32 v144, vcc_lo, 1.0, v136, 1.0
	v_mul_f32_e32 v145, v144, v143
	s_delay_alu instid0(VALU_DEP_1) | instskip(NEXT) | instid1(VALU_DEP_1)
	v_fma_f32 v146, -v137, v145, v144
	v_fmac_f32_e32 v145, v146, v143
	s_delay_alu instid0(VALU_DEP_1) | instskip(NEXT) | instid1(VALU_DEP_1)
	v_fma_f32 v137, -v137, v145, v144
	v_div_fmas_f32 v137, v137, v143, v145
	s_delay_alu instid0(VALU_DEP_1) | instskip(NEXT) | instid1(VALU_DEP_1)
	v_div_fixup_f32 v136, v137, v136, 1.0
	v_mul_f32_e64 v137, v135, -v136
.LBB126_702:
	s_or_b32 exec_lo, exec_lo, s1
.LBB126_703:
	s_delay_alu instid0(SALU_CYCLE_1) | instskip(NEXT) | instid1(SALU_CYCLE_1)
	s_or_b32 exec_lo, exec_lo, s0
	s_mov_b32 s0, exec_lo
	v_cmpx_ne_u32_e64 v142, v134
	s_xor_b32 s0, exec_lo, s0
	s_cbranch_execz .LBB126_709
; %bb.704:
	s_mov_b32 s1, exec_lo
	v_cmpx_eq_u32_e32 33, v142
	s_cbranch_execz .LBB126_708
; %bb.705:
	v_cmp_ne_u32_e32 vcc_lo, 33, v134
	s_xor_b32 s12, s16, -1
	s_delay_alu instid0(SALU_CYCLE_1) | instskip(NEXT) | instid1(SALU_CYCLE_1)
	s_and_b32 s13, s12, vcc_lo
	s_and_saveexec_b32 s12, s13
	s_cbranch_execz .LBB126_707
; %bb.706:
	v_ashrrev_i32_e32 v135, 31, v134
	s_delay_alu instid0(VALU_DEP_1)
	v_lshl_add_u64 v[142:143], v[134:135], 2, v[4:5]
	s_clause 0x1
	global_load_b32 v135, v[142:143], off
	global_load_b32 v141, v[4:5], off offset:132
	s_wait_loadcnt 0x1
	global_store_b32 v[4:5], v135, off offset:132
	s_wait_loadcnt 0x0
	global_store_b32 v[142:143], v141, off
.LBB126_707:
	s_wait_xcnt 0x0
	s_or_b32 exec_lo, exec_lo, s12
	v_dual_mov_b32 v142, v134 :: v_dual_mov_b32 v141, v134
.LBB126_708:
	s_or_b32 exec_lo, exec_lo, s1
.LBB126_709:
	s_and_not1_saveexec_b32 s0, s0
	s_cbranch_execz .LBB126_711
; %bb.710:
	v_dual_mov_b32 v134, v78 :: v_dual_mov_b32 v135, v79
	v_dual_mov_b32 v142, v24 :: v_dual_mov_b32 v143, v25
	ds_store_2addr_b64 v138, v[134:135], v[142:143] offset0:34 offset1:35
	v_dual_mov_b32 v134, v74 :: v_dual_mov_b32 v135, v75
	v_dual_mov_b32 v142, v70 :: v_dual_mov_b32 v143, v71
	ds_store_2addr_b64 v138, v[134:135], v[142:143] offset0:36 offset1:37
	;; [unrolled: 3-line block ×14, first 2 shown]
	v_dual_mov_b32 v134, v10 :: v_dual_mov_b32 v135, v11
	v_mov_b32_e32 v142, 33
	ds_store_2addr_b64 v138, v[134:135], v[132:133] offset0:62 offset1:63
.LBB126_711:
	s_or_b32 exec_lo, exec_lo, s0
	s_delay_alu instid0(SALU_CYCLE_1)
	s_mov_b32 s0, exec_lo
	s_wait_storecnt_dscnt 0x0
	s_barrier_signal -1
	s_barrier_wait -1
	v_cmpx_lt_i32_e32 33, v142
	s_cbranch_execz .LBB126_713
; %bb.712:
	v_pk_mul_f32 v[144:145], v[136:137], v[76:77] op_sel:[1,1] op_sel_hi:[0,1]
	s_delay_alu instid0(VALU_DEP_1)
	v_pk_fma_f32 v[134:135], v[136:137], v[76:77], v[144:145] op_sel_hi:[1,0,1] neg_lo:[0,0,1] neg_hi:[0,0,1]
	v_pk_fma_f32 v[136:137], v[136:137], v[76:77], v[144:145] op_sel_hi:[1,0,1]
	ds_load_2addr_b64 v[144:147], v138 offset0:34 offset1:35
	v_dual_mov_b32 v76, v134 :: v_dual_mov_b32 v77, v137
	s_wait_dscnt 0x0
	v_pk_mul_f32 v[148:149], v[144:145], v[136:137] op_sel:[0,1]
	s_delay_alu instid0(VALU_DEP_1) | instskip(SKIP_1) | instid1(VALU_DEP_1)
	v_pk_fma_f32 v[150:151], v[144:145], v[134:135], v[148:149] op_sel:[0,0,1] op_sel_hi:[1,1,0] neg_lo:[0,0,1] neg_hi:[0,0,1]
	v_pk_fma_f32 v[144:145], v[144:145], v[134:135], v[148:149] op_sel:[0,0,1] op_sel_hi:[1,0,0]
	v_mov_b32_e32 v151, v145
	v_pk_mul_f32 v[144:145], v[146:147], v[136:137] op_sel:[0,1]
	s_delay_alu instid0(VALU_DEP_1) | instskip(SKIP_1) | instid1(VALU_DEP_1)
	v_pk_fma_f32 v[148:149], v[146:147], v[134:135], v[144:145] op_sel:[0,0,1] op_sel_hi:[1,1,0] neg_lo:[0,0,1] neg_hi:[0,0,1]
	v_pk_fma_f32 v[144:145], v[146:147], v[134:135], v[144:145] op_sel:[0,0,1] op_sel_hi:[1,0,0]
	v_mov_b32_e32 v149, v145
	ds_load_2addr_b64 v[144:147], v138 offset0:36 offset1:37
	v_pk_add_f32 v[78:79], v[78:79], v[150:151] neg_lo:[0,1] neg_hi:[0,1]
	v_pk_add_f32 v[24:25], v[24:25], v[148:149] neg_lo:[0,1] neg_hi:[0,1]
	s_wait_dscnt 0x0
	v_pk_mul_f32 v[148:149], v[144:145], v[136:137] op_sel:[0,1]
	s_delay_alu instid0(VALU_DEP_1) | instskip(SKIP_2) | instid1(VALU_DEP_2)
	v_pk_fma_f32 v[150:151], v[144:145], v[134:135], v[148:149] op_sel:[0,0,1] op_sel_hi:[1,1,0] neg_lo:[0,0,1] neg_hi:[0,0,1]
	v_pk_fma_f32 v[144:145], v[144:145], v[134:135], v[148:149] op_sel:[0,0,1] op_sel_hi:[1,0,0]
	v_dual_mul_f32 v148, v147, v137 :: v_dual_mov_b32 v144, v147
	v_dual_mov_b32 v151, v145 :: v_dual_mov_b32 v145, v146
	s_delay_alu instid0(VALU_DEP_2) | instskip(SKIP_1) | instid1(VALU_DEP_3)
	v_pk_fma_f32 v[148:149], v[146:147], v[76:77], v[148:149] op_sel_hi:[1,1,0] neg_lo:[0,0,1] neg_hi:[0,0,1]
	v_mul_f32_e32 v146, v147, v134
	v_pk_add_f32 v[74:75], v[74:75], v[150:151] neg_lo:[0,1] neg_hi:[0,1]
	s_delay_alu instid0(VALU_DEP_2) | instskip(NEXT) | instid1(VALU_DEP_1)
	v_pk_fma_f32 v[144:145], v[144:145], v[76:77], v[146:147] op_sel_hi:[1,1,0]
	v_mov_b32_e32 v149, v145
	ds_load_2addr_b64 v[144:147], v138 offset0:38 offset1:39
	v_pk_add_f32 v[70:71], v[70:71], v[148:149] neg_lo:[0,1] neg_hi:[0,1]
	s_wait_dscnt 0x0
	v_pk_mul_f32 v[148:149], v[144:145], v[136:137] op_sel:[0,1]
	s_delay_alu instid0(VALU_DEP_1) | instskip(SKIP_1) | instid1(VALU_DEP_1)
	v_pk_fma_f32 v[150:151], v[144:145], v[134:135], v[148:149] op_sel:[0,0,1] op_sel_hi:[1,1,0] neg_lo:[0,0,1] neg_hi:[0,0,1]
	v_pk_fma_f32 v[144:145], v[144:145], v[134:135], v[148:149] op_sel:[0,0,1] op_sel_hi:[1,0,0]
	v_mov_b32_e32 v151, v145
	v_pk_mul_f32 v[144:145], v[146:147], v[136:137] op_sel:[0,1]
	s_delay_alu instid0(VALU_DEP_1) | instskip(SKIP_1) | instid1(VALU_DEP_1)
	v_pk_fma_f32 v[148:149], v[146:147], v[134:135], v[144:145] op_sel:[0,0,1] op_sel_hi:[1,1,0] neg_lo:[0,0,1] neg_hi:[0,0,1]
	v_pk_fma_f32 v[144:145], v[146:147], v[134:135], v[144:145] op_sel:[0,0,1] op_sel_hi:[1,0,0]
	v_mov_b32_e32 v149, v145
	ds_load_2addr_b64 v[144:147], v138 offset0:40 offset1:41
	v_pk_add_f32 v[72:73], v[72:73], v[150:151] neg_lo:[0,1] neg_hi:[0,1]
	v_pk_add_f32 v[22:23], v[22:23], v[148:149] neg_lo:[0,1] neg_hi:[0,1]
	s_wait_dscnt 0x0
	v_pk_mul_f32 v[148:149], v[144:145], v[136:137] op_sel:[0,1]
	s_delay_alu instid0(VALU_DEP_1) | instskip(SKIP_1) | instid1(VALU_DEP_1)
	v_pk_fma_f32 v[150:151], v[144:145], v[134:135], v[148:149] op_sel:[0,0,1] op_sel_hi:[1,1,0] neg_lo:[0,0,1] neg_hi:[0,0,1]
	v_pk_fma_f32 v[144:145], v[144:145], v[134:135], v[148:149] op_sel:[0,0,1] op_sel_hi:[1,0,0]
	v_mov_b32_e32 v151, v145
	v_pk_mul_f32 v[144:145], v[146:147], v[136:137] op_sel:[0,1]
	s_delay_alu instid0(VALU_DEP_1) | instskip(SKIP_1) | instid1(VALU_DEP_1)
	v_pk_fma_f32 v[148:149], v[146:147], v[134:135], v[144:145] op_sel:[0,0,1] op_sel_hi:[1,1,0] neg_lo:[0,0,1] neg_hi:[0,0,1]
	v_pk_fma_f32 v[144:145], v[146:147], v[134:135], v[144:145] op_sel:[0,0,1] op_sel_hi:[1,0,0]
	v_mov_b32_e32 v149, v145
	ds_load_2addr_b64 v[144:147], v138 offset0:42 offset1:43
	v_pk_add_f32 v[68:69], v[68:69], v[150:151] neg_lo:[0,1] neg_hi:[0,1]
	v_pk_add_f32 v[64:65], v[64:65], v[148:149] neg_lo:[0,1] neg_hi:[0,1]
	s_wait_dscnt 0x0
	v_dual_mul_f32 v148, v145, v137 :: v_dual_mul_f32 v150, v145, v134
	s_delay_alu instid0(VALU_DEP_1) | instskip(NEXT) | instid1(VALU_DEP_2)
	v_pk_fma_f32 v[148:149], v[144:145], v[76:77], v[148:149] op_sel_hi:[1,1,0] neg_lo:[0,0,1] neg_hi:[0,0,1]
	v_pk_fma_f32 v[144:145], v[144:145], v[76:77], v[150:151] op_sel:[1,0,0] op_sel_hi:[0,1,0]
	s_delay_alu instid0(VALU_DEP_1) | instskip(SKIP_1) | instid1(VALU_DEP_2)
	v_mov_b32_e32 v149, v145
	v_pk_mul_f32 v[144:145], v[146:147], v[136:137] op_sel:[0,1]
	v_pk_add_f32 v[66:67], v[66:67], v[148:149] neg_lo:[0,1] neg_hi:[0,1]
	s_delay_alu instid0(VALU_DEP_2) | instskip(SKIP_1) | instid1(VALU_DEP_1)
	v_pk_fma_f32 v[148:149], v[146:147], v[134:135], v[144:145] op_sel:[0,0,1] op_sel_hi:[1,1,0] neg_lo:[0,0,1] neg_hi:[0,0,1]
	v_pk_fma_f32 v[144:145], v[146:147], v[134:135], v[144:145] op_sel:[0,0,1] op_sel_hi:[1,0,0]
	v_mov_b32_e32 v149, v145
	ds_load_2addr_b64 v[144:147], v138 offset0:44 offset1:45
	v_pk_add_f32 v[18:19], v[18:19], v[148:149] neg_lo:[0,1] neg_hi:[0,1]
	s_wait_dscnt 0x0
	v_pk_mul_f32 v[148:149], v[144:145], v[136:137] op_sel:[0,1]
	s_delay_alu instid0(VALU_DEP_1) | instskip(SKIP_1) | instid1(VALU_DEP_1)
	v_pk_fma_f32 v[150:151], v[144:145], v[134:135], v[148:149] op_sel:[0,0,1] op_sel_hi:[1,1,0] neg_lo:[0,0,1] neg_hi:[0,0,1]
	v_pk_fma_f32 v[144:145], v[144:145], v[134:135], v[148:149] op_sel:[0,0,1] op_sel_hi:[1,0,0]
	v_mov_b32_e32 v151, v145
	v_pk_mul_f32 v[144:145], v[146:147], v[136:137] op_sel:[0,1]
	s_delay_alu instid0(VALU_DEP_2) | instskip(NEXT) | instid1(VALU_DEP_2)
	v_pk_add_f32 v[60:61], v[60:61], v[150:151] neg_lo:[0,1] neg_hi:[0,1]
	v_pk_fma_f32 v[148:149], v[146:147], v[134:135], v[144:145] op_sel:[0,0,1] op_sel_hi:[1,1,0] neg_lo:[0,0,1] neg_hi:[0,0,1]
	v_pk_fma_f32 v[144:145], v[146:147], v[134:135], v[144:145] op_sel:[0,0,1] op_sel_hi:[1,0,0]
	s_delay_alu instid0(VALU_DEP_1) | instskip(SKIP_4) | instid1(VALU_DEP_1)
	v_mov_b32_e32 v149, v145
	ds_load_2addr_b64 v[144:147], v138 offset0:46 offset1:47
	v_pk_add_f32 v[56:57], v[56:57], v[148:149] neg_lo:[0,1] neg_hi:[0,1]
	s_wait_dscnt 0x0
	v_pk_mul_f32 v[148:149], v[144:145], v[136:137] op_sel:[0,1]
	v_pk_fma_f32 v[150:151], v[144:145], v[134:135], v[148:149] op_sel:[0,0,1] op_sel_hi:[1,1,0] neg_lo:[0,0,1] neg_hi:[0,0,1]
	v_pk_fma_f32 v[144:145], v[144:145], v[134:135], v[148:149] op_sel:[0,0,1] op_sel_hi:[1,0,0]
	v_dual_mul_f32 v148, v147, v137 :: v_dual_mov_b32 v144, v147
	s_delay_alu instid0(VALU_DEP_2) | instskip(NEXT) | instid1(VALU_DEP_2)
	v_dual_mov_b32 v151, v145 :: v_dual_mov_b32 v145, v146
	v_pk_fma_f32 v[148:149], v[146:147], v[76:77], v[148:149] op_sel_hi:[1,1,0] neg_lo:[0,0,1] neg_hi:[0,0,1]
	v_mul_f32_e32 v146, v147, v134
	s_delay_alu instid0(VALU_DEP_3) | instskip(NEXT) | instid1(VALU_DEP_2)
	v_pk_add_f32 v[58:59], v[58:59], v[150:151] neg_lo:[0,1] neg_hi:[0,1]
	v_pk_fma_f32 v[144:145], v[144:145], v[76:77], v[146:147] op_sel_hi:[1,1,0]
	s_delay_alu instid0(VALU_DEP_1) | instskip(SKIP_4) | instid1(VALU_DEP_1)
	v_mov_b32_e32 v149, v145
	ds_load_2addr_b64 v[144:147], v138 offset0:48 offset1:49
	v_pk_add_f32 v[12:13], v[12:13], v[148:149] neg_lo:[0,1] neg_hi:[0,1]
	s_wait_dscnt 0x0
	v_pk_mul_f32 v[148:149], v[144:145], v[136:137] op_sel:[0,1]
	v_pk_fma_f32 v[150:151], v[144:145], v[134:135], v[148:149] op_sel:[0,0,1] op_sel_hi:[1,1,0] neg_lo:[0,0,1] neg_hi:[0,0,1]
	v_pk_fma_f32 v[144:145], v[144:145], v[134:135], v[148:149] op_sel:[0,0,1] op_sel_hi:[1,0,0]
	s_delay_alu instid0(VALU_DEP_1) | instskip(SKIP_1) | instid1(VALU_DEP_1)
	v_mov_b32_e32 v151, v145
	v_pk_mul_f32 v[144:145], v[146:147], v[136:137] op_sel:[0,1]
	v_pk_fma_f32 v[148:149], v[146:147], v[134:135], v[144:145] op_sel:[0,0,1] op_sel_hi:[1,1,0] neg_lo:[0,0,1] neg_hi:[0,0,1]
	v_pk_fma_f32 v[144:145], v[146:147], v[134:135], v[144:145] op_sel:[0,0,1] op_sel_hi:[1,0,0]
	s_delay_alu instid0(VALU_DEP_1)
	v_mov_b32_e32 v149, v145
	ds_load_2addr_b64 v[144:147], v138 offset0:50 offset1:51
	v_pk_add_f32 v[54:55], v[54:55], v[150:151] neg_lo:[0,1] neg_hi:[0,1]
	v_pk_add_f32 v[52:53], v[52:53], v[148:149] neg_lo:[0,1] neg_hi:[0,1]
	s_wait_dscnt 0x0
	v_pk_mul_f32 v[148:149], v[144:145], v[136:137] op_sel:[0,1]
	s_delay_alu instid0(VALU_DEP_1) | instskip(SKIP_1) | instid1(VALU_DEP_1)
	v_pk_fma_f32 v[150:151], v[144:145], v[134:135], v[148:149] op_sel:[0,0,1] op_sel_hi:[1,1,0] neg_lo:[0,0,1] neg_hi:[0,0,1]
	v_pk_fma_f32 v[144:145], v[144:145], v[134:135], v[148:149] op_sel:[0,0,1] op_sel_hi:[1,0,0]
	v_mov_b32_e32 v151, v145
	v_pk_mul_f32 v[144:145], v[146:147], v[136:137] op_sel:[0,1]
	s_delay_alu instid0(VALU_DEP_1) | instskip(SKIP_1) | instid1(VALU_DEP_1)
	v_pk_fma_f32 v[148:149], v[146:147], v[134:135], v[144:145] op_sel:[0,0,1] op_sel_hi:[1,1,0] neg_lo:[0,0,1] neg_hi:[0,0,1]
	v_pk_fma_f32 v[144:145], v[146:147], v[134:135], v[144:145] op_sel:[0,0,1] op_sel_hi:[1,0,0]
	v_mov_b32_e32 v149, v145
	ds_load_2addr_b64 v[144:147], v138 offset0:52 offset1:53
	v_pk_add_f32 v[62:63], v[62:63], v[150:151] neg_lo:[0,1] neg_hi:[0,1]
	v_pk_add_f32 v[16:17], v[16:17], v[148:149] neg_lo:[0,1] neg_hi:[0,1]
	s_wait_dscnt 0x0
	v_dual_mul_f32 v148, v145, v137 :: v_dual_mul_f32 v150, v145, v134
	s_delay_alu instid0(VALU_DEP_1) | instskip(NEXT) | instid1(VALU_DEP_2)
	v_pk_fma_f32 v[148:149], v[144:145], v[76:77], v[148:149] op_sel_hi:[1,1,0] neg_lo:[0,0,1] neg_hi:[0,0,1]
	v_pk_fma_f32 v[144:145], v[144:145], v[76:77], v[150:151] op_sel:[1,0,0] op_sel_hi:[0,1,0]
	s_delay_alu instid0(VALU_DEP_1) | instskip(SKIP_1) | instid1(VALU_DEP_2)
	v_mov_b32_e32 v149, v145
	v_pk_mul_f32 v[144:145], v[146:147], v[136:137] op_sel:[0,1]
	v_pk_add_f32 v[48:49], v[48:49], v[148:149] neg_lo:[0,1] neg_hi:[0,1]
	s_delay_alu instid0(VALU_DEP_2) | instskip(SKIP_1) | instid1(VALU_DEP_1)
	v_pk_fma_f32 v[148:149], v[146:147], v[134:135], v[144:145] op_sel:[0,0,1] op_sel_hi:[1,1,0] neg_lo:[0,0,1] neg_hi:[0,0,1]
	v_pk_fma_f32 v[144:145], v[146:147], v[134:135], v[144:145] op_sel:[0,0,1] op_sel_hi:[1,0,0]
	v_mov_b32_e32 v149, v145
	ds_load_2addr_b64 v[144:147], v138 offset0:54 offset1:55
	v_pk_add_f32 v[42:43], v[42:43], v[148:149] neg_lo:[0,1] neg_hi:[0,1]
	s_wait_dscnt 0x0
	v_pk_mul_f32 v[148:149], v[144:145], v[136:137] op_sel:[0,1]
	s_delay_alu instid0(VALU_DEP_1) | instskip(SKIP_1) | instid1(VALU_DEP_1)
	v_pk_fma_f32 v[150:151], v[144:145], v[134:135], v[148:149] op_sel:[0,0,1] op_sel_hi:[1,1,0] neg_lo:[0,0,1] neg_hi:[0,0,1]
	v_pk_fma_f32 v[144:145], v[144:145], v[134:135], v[148:149] op_sel:[0,0,1] op_sel_hi:[1,0,0]
	v_mov_b32_e32 v151, v145
	v_pk_mul_f32 v[144:145], v[146:147], v[136:137] op_sel:[0,1]
	s_delay_alu instid0(VALU_DEP_2) | instskip(NEXT) | instid1(VALU_DEP_2)
	v_pk_add_f32 v[46:47], v[46:47], v[150:151] neg_lo:[0,1] neg_hi:[0,1]
	v_pk_fma_f32 v[148:149], v[146:147], v[134:135], v[144:145] op_sel:[0,0,1] op_sel_hi:[1,1,0] neg_lo:[0,0,1] neg_hi:[0,0,1]
	v_pk_fma_f32 v[144:145], v[146:147], v[134:135], v[144:145] op_sel:[0,0,1] op_sel_hi:[1,0,0]
	s_delay_alu instid0(VALU_DEP_1) | instskip(SKIP_4) | instid1(VALU_DEP_1)
	v_mov_b32_e32 v149, v145
	ds_load_2addr_b64 v[144:147], v138 offset0:56 offset1:57
	v_pk_add_f32 v[8:9], v[8:9], v[148:149] neg_lo:[0,1] neg_hi:[0,1]
	s_wait_dscnt 0x0
	v_pk_mul_f32 v[148:149], v[144:145], v[136:137] op_sel:[0,1]
	v_pk_fma_f32 v[150:151], v[144:145], v[134:135], v[148:149] op_sel:[0,0,1] op_sel_hi:[1,1,0] neg_lo:[0,0,1] neg_hi:[0,0,1]
	v_pk_fma_f32 v[144:145], v[144:145], v[134:135], v[148:149] op_sel:[0,0,1] op_sel_hi:[1,0,0]
	v_dual_mul_f32 v148, v147, v137 :: v_dual_mov_b32 v144, v147
	s_delay_alu instid0(VALU_DEP_2) | instskip(NEXT) | instid1(VALU_DEP_2)
	v_dual_mov_b32 v151, v145 :: v_dual_mov_b32 v145, v146
	v_pk_fma_f32 v[148:149], v[146:147], v[76:77], v[148:149] op_sel_hi:[1,1,0] neg_lo:[0,0,1] neg_hi:[0,0,1]
	v_mul_f32_e32 v146, v147, v134
	s_delay_alu instid0(VALU_DEP_3) | instskip(NEXT) | instid1(VALU_DEP_2)
	v_pk_add_f32 v[32:33], v[32:33], v[150:151] neg_lo:[0,1] neg_hi:[0,1]
	v_pk_fma_f32 v[144:145], v[144:145], v[76:77], v[146:147] op_sel_hi:[1,1,0]
	s_delay_alu instid0(VALU_DEP_1) | instskip(SKIP_4) | instid1(VALU_DEP_1)
	v_mov_b32_e32 v149, v145
	ds_load_2addr_b64 v[144:147], v138 offset0:58 offset1:59
	v_pk_add_f32 v[28:29], v[28:29], v[148:149] neg_lo:[0,1] neg_hi:[0,1]
	s_wait_dscnt 0x0
	v_pk_mul_f32 v[148:149], v[144:145], v[136:137] op_sel:[0,1]
	v_pk_fma_f32 v[150:151], v[144:145], v[134:135], v[148:149] op_sel:[0,0,1] op_sel_hi:[1,1,0] neg_lo:[0,0,1] neg_hi:[0,0,1]
	v_pk_fma_f32 v[144:145], v[144:145], v[134:135], v[148:149] op_sel:[0,0,1] op_sel_hi:[1,0,0]
	s_delay_alu instid0(VALU_DEP_1) | instskip(SKIP_1) | instid1(VALU_DEP_1)
	v_mov_b32_e32 v151, v145
	v_pk_mul_f32 v[144:145], v[146:147], v[136:137] op_sel:[0,1]
	v_pk_fma_f32 v[148:149], v[146:147], v[134:135], v[144:145] op_sel:[0,0,1] op_sel_hi:[1,1,0] neg_lo:[0,0,1] neg_hi:[0,0,1]
	v_pk_fma_f32 v[144:145], v[146:147], v[134:135], v[144:145] op_sel:[0,0,1] op_sel_hi:[1,0,0]
	s_delay_alu instid0(VALU_DEP_1)
	v_mov_b32_e32 v149, v145
	ds_load_2addr_b64 v[144:147], v138 offset0:60 offset1:61
	v_pk_add_f32 v[30:31], v[30:31], v[150:151] neg_lo:[0,1] neg_hi:[0,1]
	v_pk_add_f32 v[6:7], v[6:7], v[148:149] neg_lo:[0,1] neg_hi:[0,1]
	s_wait_dscnt 0x0
	v_pk_mul_f32 v[148:149], v[144:145], v[136:137] op_sel:[0,1]
	s_delay_alu instid0(VALU_DEP_1) | instskip(SKIP_1) | instid1(VALU_DEP_1)
	v_pk_fma_f32 v[150:151], v[144:145], v[134:135], v[148:149] op_sel:[0,0,1] op_sel_hi:[1,1,0] neg_lo:[0,0,1] neg_hi:[0,0,1]
	v_pk_fma_f32 v[144:145], v[144:145], v[134:135], v[148:149] op_sel:[0,0,1] op_sel_hi:[1,0,0]
	v_mov_b32_e32 v151, v145
	v_pk_mul_f32 v[144:145], v[146:147], v[136:137] op_sel:[0,1]
	s_delay_alu instid0(VALU_DEP_1) | instskip(SKIP_1) | instid1(VALU_DEP_1)
	v_pk_fma_f32 v[148:149], v[146:147], v[134:135], v[144:145] op_sel:[0,0,1] op_sel_hi:[1,1,0] neg_lo:[0,0,1] neg_hi:[0,0,1]
	v_pk_fma_f32 v[144:145], v[146:147], v[134:135], v[144:145] op_sel:[0,0,1] op_sel_hi:[1,0,0]
	v_mov_b32_e32 v149, v145
	ds_load_2addr_b64 v[144:147], v138 offset0:62 offset1:63
	v_pk_add_f32 v[20:21], v[20:21], v[150:151] neg_lo:[0,1] neg_hi:[0,1]
	v_pk_add_f32 v[14:15], v[14:15], v[148:149] neg_lo:[0,1] neg_hi:[0,1]
	s_wait_dscnt 0x0
	v_mul_f32_e32 v136, v145, v137
	s_delay_alu instid0(VALU_DEP_1) | instskip(SKIP_1) | instid1(VALU_DEP_1)
	v_pk_fma_f32 v[148:149], v[144:145], v[76:77], v[136:137] op_sel_hi:[1,1,0] neg_lo:[0,0,1] neg_hi:[0,0,1]
	v_dual_mul_f32 v136, v145, v134 :: v_dual_mul_f32 v134, v147, v134
	v_pk_fma_f32 v[144:145], v[144:145], v[76:77], v[136:137] op_sel:[1,0,0] op_sel_hi:[0,1,0]
	v_dual_mov_b32 v144, v147 :: v_dual_mul_f32 v136, v147, v137
	s_delay_alu instid0(VALU_DEP_2) | instskip(NEXT) | instid1(VALU_DEP_2)
	v_dual_mov_b32 v149, v145 :: v_dual_mov_b32 v145, v146
	v_pk_fma_f32 v[136:137], v[146:147], v[76:77], v[136:137] op_sel_hi:[1,1,0] neg_lo:[0,0,1] neg_hi:[0,0,1]
	s_delay_alu instid0(VALU_DEP_2) | instskip(NEXT) | instid1(VALU_DEP_3)
	v_pk_add_f32 v[10:11], v[10:11], v[148:149] neg_lo:[0,1] neg_hi:[0,1]
	v_pk_fma_f32 v[134:135], v[144:145], v[76:77], v[134:135] op_sel_hi:[1,1,0]
	s_delay_alu instid0(VALU_DEP_1) | instskip(NEXT) | instid1(VALU_DEP_1)
	v_mov_b32_e32 v137, v135
	v_pk_add_f32 v[132:133], v[132:133], v[136:137] neg_lo:[0,1] neg_hi:[0,1]
.LBB126_713:
	s_or_b32 exec_lo, exec_lo, s0
	v_lshl_add_u32 v134, v142, 3, v138
	s_barrier_signal -1
	s_barrier_wait -1
	ds_store_b64 v134, v[78:79]
	s_wait_dscnt 0x0
	s_barrier_signal -1
	s_barrier_wait -1
	ds_load_b64 v[136:137], v138 offset:272
	v_mov_b32_e32 v134, 34
	s_cmp_lt_i32 s18, 36
	s_cbranch_scc1 .LBB126_716
; %bb.714:
	v_add3_u32 v135, v139, 0, 0x118
	v_mov_b32_e32 v134, 34
	s_mov_b32 s0, 35
.LBB126_715:                            ; =>This Inner Loop Header: Depth=1
	ds_load_b64 v[144:145], v135
	s_wait_dscnt 0x1
	v_cmp_gt_f32_e32 vcc_lo, 0, v136
	v_cndmask_b32_e64 v146, v136, -v136, vcc_lo
	v_cmp_gt_f32_e32 vcc_lo, 0, v137
	v_cndmask_b32_e64 v148, v137, -v137, vcc_lo
	s_wait_dscnt 0x0
	v_cmp_gt_f32_e32 vcc_lo, 0, v144
	v_cndmask_b32_e64 v147, v144, -v144, vcc_lo
	v_cmp_gt_f32_e32 vcc_lo, 0, v145
	v_cndmask_b32_e64 v149, v145, -v145, vcc_lo
	s_delay_alu instid0(VALU_DEP_1) | instskip(NEXT) | instid1(VALU_DEP_1)
	v_pk_add_f32 v[146:147], v[146:147], v[148:149]
	v_cmp_lt_f32_e32 vcc_lo, v146, v147
	v_dual_add_nc_u32 v135, 8, v135 :: v_dual_cndmask_b32 v137, v137, v145, vcc_lo
	v_cndmask_b32_e32 v136, v136, v144, vcc_lo
	v_cndmask_b32_e64 v134, v134, s0, vcc_lo
	s_add_co_i32 s0, s0, 1
	s_delay_alu instid0(SALU_CYCLE_1)
	s_cmp_lg_u32 s18, s0
	s_cbranch_scc1 .LBB126_715
.LBB126_716:
	s_wait_dscnt 0x0
	v_cmp_eq_f32_e32 vcc_lo, 0, v136
	v_cmp_eq_f32_e64 s0, 0, v137
	s_and_b32 s0, vcc_lo, s0
	s_delay_alu instid0(SALU_CYCLE_1) | instskip(NEXT) | instid1(SALU_CYCLE_1)
	s_and_saveexec_b32 s1, s0
	s_xor_b32 s0, exec_lo, s1
; %bb.717:
	v_cmp_ne_u32_e32 vcc_lo, 0, v140
	v_cndmask_b32_e32 v140, 35, v140, vcc_lo
; %bb.718:
	s_and_not1_saveexec_b32 s0, s0
	s_cbranch_execz .LBB126_724
; %bb.719:
	v_cmp_ngt_f32_e64 s1, |v136|, |v137|
	s_and_saveexec_b32 s12, s1
	s_delay_alu instid0(SALU_CYCLE_1)
	s_xor_b32 s1, exec_lo, s12
	s_cbranch_execz .LBB126_721
; %bb.720:
	v_div_scale_f32 v135, null, v137, v137, v136
	v_div_scale_f32 v145, vcc_lo, v136, v137, v136
	s_delay_alu instid0(VALU_DEP_2) | instskip(SKIP_1) | instid1(TRANS32_DEP_1)
	v_rcp_f32_e32 v143, v135
	v_nop
	v_fma_f32 v144, -v135, v143, 1.0
	s_delay_alu instid0(VALU_DEP_1) | instskip(NEXT) | instid1(VALU_DEP_1)
	v_fmac_f32_e32 v143, v144, v143
	v_mul_f32_e32 v144, v145, v143
	s_delay_alu instid0(VALU_DEP_1) | instskip(NEXT) | instid1(VALU_DEP_1)
	v_fma_f32 v146, -v135, v144, v145
	v_fmac_f32_e32 v144, v146, v143
	s_delay_alu instid0(VALU_DEP_1) | instskip(NEXT) | instid1(VALU_DEP_1)
	v_fma_f32 v135, -v135, v144, v145
	v_div_fmas_f32 v135, v135, v143, v144
	s_delay_alu instid0(VALU_DEP_1) | instskip(NEXT) | instid1(VALU_DEP_1)
	v_div_fixup_f32 v135, v135, v137, v136
	v_fmac_f32_e32 v137, v136, v135
	s_delay_alu instid0(VALU_DEP_1) | instskip(SKIP_1) | instid1(VALU_DEP_2)
	v_div_scale_f32 v136, null, v137, v137, 1.0
	v_div_scale_f32 v145, vcc_lo, 1.0, v137, 1.0
	v_rcp_f32_e32 v143, v136
	v_nop
	s_delay_alu instid0(TRANS32_DEP_1) | instskip(NEXT) | instid1(VALU_DEP_1)
	v_fma_f32 v144, -v136, v143, 1.0
	v_fmac_f32_e32 v143, v144, v143
	s_delay_alu instid0(VALU_DEP_1) | instskip(NEXT) | instid1(VALU_DEP_1)
	v_mul_f32_e32 v144, v145, v143
	v_fma_f32 v146, -v136, v144, v145
	s_delay_alu instid0(VALU_DEP_1) | instskip(NEXT) | instid1(VALU_DEP_1)
	v_fmac_f32_e32 v144, v146, v143
	v_fma_f32 v136, -v136, v144, v145
	s_delay_alu instid0(VALU_DEP_1) | instskip(NEXT) | instid1(VALU_DEP_1)
	v_div_fmas_f32 v136, v136, v143, v144
	v_div_fixup_f32 v137, v136, v137, 1.0
	s_delay_alu instid0(VALU_DEP_1)
	v_mul_f32_e32 v136, v135, v137
	v_xor_b32_e32 v137, 0x80000000, v137
.LBB126_721:
	s_and_not1_saveexec_b32 s1, s1
	s_cbranch_execz .LBB126_723
; %bb.722:
	s_delay_alu instid0(VALU_DEP_1) | instskip(SKIP_1) | instid1(VALU_DEP_2)
	v_div_scale_f32 v135, null, v136, v136, v137
	v_div_scale_f32 v145, vcc_lo, v137, v136, v137
	v_rcp_f32_e32 v143, v135
	v_nop
	s_delay_alu instid0(TRANS32_DEP_1) | instskip(NEXT) | instid1(VALU_DEP_1)
	v_fma_f32 v144, -v135, v143, 1.0
	v_fmac_f32_e32 v143, v144, v143
	s_delay_alu instid0(VALU_DEP_1) | instskip(NEXT) | instid1(VALU_DEP_1)
	v_mul_f32_e32 v144, v145, v143
	v_fma_f32 v146, -v135, v144, v145
	s_delay_alu instid0(VALU_DEP_1) | instskip(NEXT) | instid1(VALU_DEP_1)
	v_fmac_f32_e32 v144, v146, v143
	v_fma_f32 v135, -v135, v144, v145
	s_delay_alu instid0(VALU_DEP_1) | instskip(NEXT) | instid1(VALU_DEP_1)
	v_div_fmas_f32 v135, v135, v143, v144
	v_div_fixup_f32 v135, v135, v136, v137
	s_delay_alu instid0(VALU_DEP_1) | instskip(NEXT) | instid1(VALU_DEP_1)
	v_fmac_f32_e32 v136, v137, v135
	v_div_scale_f32 v137, null, v136, v136, 1.0
	s_delay_alu instid0(VALU_DEP_1) | instskip(SKIP_1) | instid1(TRANS32_DEP_1)
	v_rcp_f32_e32 v143, v137
	v_nop
	v_fma_f32 v144, -v137, v143, 1.0
	s_delay_alu instid0(VALU_DEP_1) | instskip(SKIP_1) | instid1(VALU_DEP_1)
	v_fmac_f32_e32 v143, v144, v143
	v_div_scale_f32 v144, vcc_lo, 1.0, v136, 1.0
	v_mul_f32_e32 v145, v144, v143
	s_delay_alu instid0(VALU_DEP_1) | instskip(NEXT) | instid1(VALU_DEP_1)
	v_fma_f32 v146, -v137, v145, v144
	v_fmac_f32_e32 v145, v146, v143
	s_delay_alu instid0(VALU_DEP_1) | instskip(NEXT) | instid1(VALU_DEP_1)
	v_fma_f32 v137, -v137, v145, v144
	v_div_fmas_f32 v137, v137, v143, v145
	s_delay_alu instid0(VALU_DEP_1) | instskip(NEXT) | instid1(VALU_DEP_1)
	v_div_fixup_f32 v136, v137, v136, 1.0
	v_mul_f32_e64 v137, v135, -v136
.LBB126_723:
	s_or_b32 exec_lo, exec_lo, s1
.LBB126_724:
	s_delay_alu instid0(SALU_CYCLE_1) | instskip(NEXT) | instid1(SALU_CYCLE_1)
	s_or_b32 exec_lo, exec_lo, s0
	s_mov_b32 s0, exec_lo
	v_cmpx_ne_u32_e64 v142, v134
	s_xor_b32 s0, exec_lo, s0
	s_cbranch_execz .LBB126_730
; %bb.725:
	s_mov_b32 s1, exec_lo
	v_cmpx_eq_u32_e32 34, v142
	s_cbranch_execz .LBB126_729
; %bb.726:
	v_cmp_ne_u32_e32 vcc_lo, 34, v134
	s_xor_b32 s12, s16, -1
	s_delay_alu instid0(SALU_CYCLE_1) | instskip(NEXT) | instid1(SALU_CYCLE_1)
	s_and_b32 s13, s12, vcc_lo
	s_and_saveexec_b32 s12, s13
	s_cbranch_execz .LBB126_728
; %bb.727:
	v_ashrrev_i32_e32 v135, 31, v134
	s_delay_alu instid0(VALU_DEP_1)
	v_lshl_add_u64 v[142:143], v[134:135], 2, v[4:5]
	s_clause 0x1
	global_load_b32 v135, v[142:143], off
	global_load_b32 v141, v[4:5], off offset:136
	s_wait_loadcnt 0x1
	global_store_b32 v[4:5], v135, off offset:136
	s_wait_loadcnt 0x0
	global_store_b32 v[142:143], v141, off
.LBB126_728:
	s_wait_xcnt 0x0
	s_or_b32 exec_lo, exec_lo, s12
	v_dual_mov_b32 v142, v134 :: v_dual_mov_b32 v141, v134
.LBB126_729:
	s_or_b32 exec_lo, exec_lo, s1
.LBB126_730:
	s_and_not1_saveexec_b32 s0, s0
	s_cbranch_execz .LBB126_732
; %bb.731:
	v_mov_b32_e32 v142, 34
	ds_store_2addr_b64 v138, v[24:25], v[74:75] offset0:35 offset1:36
	ds_store_2addr_b64 v138, v[70:71], v[72:73] offset0:37 offset1:38
	;; [unrolled: 1-line block ×14, first 2 shown]
	ds_store_b64 v138, v[132:133] offset:504
.LBB126_732:
	s_or_b32 exec_lo, exec_lo, s0
	s_delay_alu instid0(SALU_CYCLE_1)
	s_mov_b32 s0, exec_lo
	s_wait_storecnt_dscnt 0x0
	s_barrier_signal -1
	s_barrier_wait -1
	v_cmpx_lt_i32_e32 34, v142
	s_cbranch_execz .LBB126_734
; %bb.733:
	v_pk_mul_f32 v[144:145], v[136:137], v[78:79] op_sel:[1,1] op_sel_hi:[0,1]
	s_delay_alu instid0(VALU_DEP_1)
	v_pk_fma_f32 v[134:135], v[136:137], v[78:79], v[144:145] op_sel_hi:[1,0,1] neg_lo:[0,0,1] neg_hi:[0,0,1]
	v_pk_fma_f32 v[136:137], v[136:137], v[78:79], v[144:145] op_sel_hi:[1,0,1]
	ds_load_2addr_b64 v[144:147], v138 offset0:35 offset1:36
	v_dual_mov_b32 v78, v134 :: v_dual_mov_b32 v79, v137
	s_wait_dscnt 0x0
	v_pk_mul_f32 v[148:149], v[144:145], v[136:137] op_sel:[0,1]
	s_delay_alu instid0(VALU_DEP_1) | instskip(SKIP_1) | instid1(VALU_DEP_1)
	v_pk_fma_f32 v[150:151], v[144:145], v[134:135], v[148:149] op_sel:[0,0,1] op_sel_hi:[1,1,0] neg_lo:[0,0,1] neg_hi:[0,0,1]
	v_pk_fma_f32 v[144:145], v[144:145], v[134:135], v[148:149] op_sel:[0,0,1] op_sel_hi:[1,0,0]
	v_mov_b32_e32 v151, v145
	v_pk_mul_f32 v[144:145], v[146:147], v[136:137] op_sel:[0,1]
	s_delay_alu instid0(VALU_DEP_1) | instskip(SKIP_1) | instid1(VALU_DEP_1)
	v_pk_fma_f32 v[148:149], v[146:147], v[134:135], v[144:145] op_sel:[0,0,1] op_sel_hi:[1,1,0] neg_lo:[0,0,1] neg_hi:[0,0,1]
	v_pk_fma_f32 v[144:145], v[146:147], v[134:135], v[144:145] op_sel:[0,0,1] op_sel_hi:[1,0,0]
	v_mov_b32_e32 v149, v145
	ds_load_2addr_b64 v[144:147], v138 offset0:37 offset1:38
	v_pk_add_f32 v[24:25], v[24:25], v[150:151] neg_lo:[0,1] neg_hi:[0,1]
	v_pk_add_f32 v[74:75], v[74:75], v[148:149] neg_lo:[0,1] neg_hi:[0,1]
	s_wait_dscnt 0x0
	v_pk_mul_f32 v[148:149], v[144:145], v[136:137] op_sel:[0,1]
	s_delay_alu instid0(VALU_DEP_1) | instskip(SKIP_2) | instid1(VALU_DEP_2)
	v_pk_fma_f32 v[150:151], v[144:145], v[134:135], v[148:149] op_sel:[0,0,1] op_sel_hi:[1,1,0] neg_lo:[0,0,1] neg_hi:[0,0,1]
	v_pk_fma_f32 v[144:145], v[144:145], v[134:135], v[148:149] op_sel:[0,0,1] op_sel_hi:[1,0,0]
	v_dual_mul_f32 v148, v147, v137 :: v_dual_mov_b32 v144, v147
	v_dual_mov_b32 v151, v145 :: v_dual_mov_b32 v145, v146
	s_delay_alu instid0(VALU_DEP_2) | instskip(SKIP_1) | instid1(VALU_DEP_3)
	v_pk_fma_f32 v[148:149], v[146:147], v[78:79], v[148:149] op_sel_hi:[1,1,0] neg_lo:[0,0,1] neg_hi:[0,0,1]
	v_mul_f32_e32 v146, v147, v134
	v_pk_add_f32 v[70:71], v[70:71], v[150:151] neg_lo:[0,1] neg_hi:[0,1]
	s_delay_alu instid0(VALU_DEP_2) | instskip(NEXT) | instid1(VALU_DEP_1)
	v_pk_fma_f32 v[144:145], v[144:145], v[78:79], v[146:147] op_sel_hi:[1,1,0]
	v_mov_b32_e32 v149, v145
	ds_load_2addr_b64 v[144:147], v138 offset0:39 offset1:40
	v_pk_add_f32 v[72:73], v[72:73], v[148:149] neg_lo:[0,1] neg_hi:[0,1]
	s_wait_dscnt 0x0
	v_pk_mul_f32 v[148:149], v[144:145], v[136:137] op_sel:[0,1]
	s_delay_alu instid0(VALU_DEP_1) | instskip(SKIP_1) | instid1(VALU_DEP_1)
	v_pk_fma_f32 v[150:151], v[144:145], v[134:135], v[148:149] op_sel:[0,0,1] op_sel_hi:[1,1,0] neg_lo:[0,0,1] neg_hi:[0,0,1]
	v_pk_fma_f32 v[144:145], v[144:145], v[134:135], v[148:149] op_sel:[0,0,1] op_sel_hi:[1,0,0]
	v_mov_b32_e32 v151, v145
	v_pk_mul_f32 v[144:145], v[146:147], v[136:137] op_sel:[0,1]
	s_delay_alu instid0(VALU_DEP_1) | instskip(SKIP_1) | instid1(VALU_DEP_1)
	v_pk_fma_f32 v[148:149], v[146:147], v[134:135], v[144:145] op_sel:[0,0,1] op_sel_hi:[1,1,0] neg_lo:[0,0,1] neg_hi:[0,0,1]
	v_pk_fma_f32 v[144:145], v[146:147], v[134:135], v[144:145] op_sel:[0,0,1] op_sel_hi:[1,0,0]
	v_mov_b32_e32 v149, v145
	ds_load_2addr_b64 v[144:147], v138 offset0:41 offset1:42
	v_pk_add_f32 v[22:23], v[22:23], v[150:151] neg_lo:[0,1] neg_hi:[0,1]
	v_pk_add_f32 v[68:69], v[68:69], v[148:149] neg_lo:[0,1] neg_hi:[0,1]
	s_wait_dscnt 0x0
	v_pk_mul_f32 v[148:149], v[144:145], v[136:137] op_sel:[0,1]
	s_delay_alu instid0(VALU_DEP_1) | instskip(SKIP_1) | instid1(VALU_DEP_1)
	v_pk_fma_f32 v[150:151], v[144:145], v[134:135], v[148:149] op_sel:[0,0,1] op_sel_hi:[1,1,0] neg_lo:[0,0,1] neg_hi:[0,0,1]
	v_pk_fma_f32 v[144:145], v[144:145], v[134:135], v[148:149] op_sel:[0,0,1] op_sel_hi:[1,0,0]
	v_mov_b32_e32 v151, v145
	v_pk_mul_f32 v[144:145], v[146:147], v[136:137] op_sel:[0,1]
	s_delay_alu instid0(VALU_DEP_1) | instskip(SKIP_1) | instid1(VALU_DEP_1)
	v_pk_fma_f32 v[148:149], v[146:147], v[134:135], v[144:145] op_sel:[0,0,1] op_sel_hi:[1,1,0] neg_lo:[0,0,1] neg_hi:[0,0,1]
	v_pk_fma_f32 v[144:145], v[146:147], v[134:135], v[144:145] op_sel:[0,0,1] op_sel_hi:[1,0,0]
	v_mov_b32_e32 v149, v145
	ds_load_2addr_b64 v[144:147], v138 offset0:43 offset1:44
	v_pk_add_f32 v[64:65], v[64:65], v[150:151] neg_lo:[0,1] neg_hi:[0,1]
	v_pk_add_f32 v[66:67], v[66:67], v[148:149] neg_lo:[0,1] neg_hi:[0,1]
	s_wait_dscnt 0x0
	v_dual_mul_f32 v148, v145, v137 :: v_dual_mul_f32 v150, v145, v134
	s_delay_alu instid0(VALU_DEP_1) | instskip(NEXT) | instid1(VALU_DEP_2)
	v_pk_fma_f32 v[148:149], v[144:145], v[78:79], v[148:149] op_sel_hi:[1,1,0] neg_lo:[0,0,1] neg_hi:[0,0,1]
	v_pk_fma_f32 v[144:145], v[144:145], v[78:79], v[150:151] op_sel:[1,0,0] op_sel_hi:[0,1,0]
	s_delay_alu instid0(VALU_DEP_1) | instskip(SKIP_1) | instid1(VALU_DEP_2)
	v_mov_b32_e32 v149, v145
	v_pk_mul_f32 v[144:145], v[146:147], v[136:137] op_sel:[0,1]
	v_pk_add_f32 v[18:19], v[18:19], v[148:149] neg_lo:[0,1] neg_hi:[0,1]
	s_delay_alu instid0(VALU_DEP_2) | instskip(SKIP_1) | instid1(VALU_DEP_1)
	v_pk_fma_f32 v[148:149], v[146:147], v[134:135], v[144:145] op_sel:[0,0,1] op_sel_hi:[1,1,0] neg_lo:[0,0,1] neg_hi:[0,0,1]
	v_pk_fma_f32 v[144:145], v[146:147], v[134:135], v[144:145] op_sel:[0,0,1] op_sel_hi:[1,0,0]
	v_mov_b32_e32 v149, v145
	ds_load_2addr_b64 v[144:147], v138 offset0:45 offset1:46
	v_pk_add_f32 v[60:61], v[60:61], v[148:149] neg_lo:[0,1] neg_hi:[0,1]
	s_wait_dscnt 0x0
	v_pk_mul_f32 v[148:149], v[144:145], v[136:137] op_sel:[0,1]
	s_delay_alu instid0(VALU_DEP_1) | instskip(SKIP_1) | instid1(VALU_DEP_1)
	v_pk_fma_f32 v[150:151], v[144:145], v[134:135], v[148:149] op_sel:[0,0,1] op_sel_hi:[1,1,0] neg_lo:[0,0,1] neg_hi:[0,0,1]
	v_pk_fma_f32 v[144:145], v[144:145], v[134:135], v[148:149] op_sel:[0,0,1] op_sel_hi:[1,0,0]
	v_mov_b32_e32 v151, v145
	v_pk_mul_f32 v[144:145], v[146:147], v[136:137] op_sel:[0,1]
	s_delay_alu instid0(VALU_DEP_2) | instskip(NEXT) | instid1(VALU_DEP_2)
	v_pk_add_f32 v[56:57], v[56:57], v[150:151] neg_lo:[0,1] neg_hi:[0,1]
	v_pk_fma_f32 v[148:149], v[146:147], v[134:135], v[144:145] op_sel:[0,0,1] op_sel_hi:[1,1,0] neg_lo:[0,0,1] neg_hi:[0,0,1]
	v_pk_fma_f32 v[144:145], v[146:147], v[134:135], v[144:145] op_sel:[0,0,1] op_sel_hi:[1,0,0]
	s_delay_alu instid0(VALU_DEP_1) | instskip(SKIP_4) | instid1(VALU_DEP_1)
	v_mov_b32_e32 v149, v145
	ds_load_2addr_b64 v[144:147], v138 offset0:47 offset1:48
	v_pk_add_f32 v[58:59], v[58:59], v[148:149] neg_lo:[0,1] neg_hi:[0,1]
	s_wait_dscnt 0x0
	v_pk_mul_f32 v[148:149], v[144:145], v[136:137] op_sel:[0,1]
	v_pk_fma_f32 v[150:151], v[144:145], v[134:135], v[148:149] op_sel:[0,0,1] op_sel_hi:[1,1,0] neg_lo:[0,0,1] neg_hi:[0,0,1]
	v_pk_fma_f32 v[144:145], v[144:145], v[134:135], v[148:149] op_sel:[0,0,1] op_sel_hi:[1,0,0]
	v_dual_mul_f32 v148, v147, v137 :: v_dual_mov_b32 v144, v147
	s_delay_alu instid0(VALU_DEP_2) | instskip(NEXT) | instid1(VALU_DEP_2)
	v_dual_mov_b32 v151, v145 :: v_dual_mov_b32 v145, v146
	v_pk_fma_f32 v[148:149], v[146:147], v[78:79], v[148:149] op_sel_hi:[1,1,0] neg_lo:[0,0,1] neg_hi:[0,0,1]
	v_mul_f32_e32 v146, v147, v134
	s_delay_alu instid0(VALU_DEP_3) | instskip(NEXT) | instid1(VALU_DEP_2)
	v_pk_add_f32 v[12:13], v[12:13], v[150:151] neg_lo:[0,1] neg_hi:[0,1]
	v_pk_fma_f32 v[144:145], v[144:145], v[78:79], v[146:147] op_sel_hi:[1,1,0]
	s_delay_alu instid0(VALU_DEP_1) | instskip(SKIP_4) | instid1(VALU_DEP_1)
	v_mov_b32_e32 v149, v145
	ds_load_2addr_b64 v[144:147], v138 offset0:49 offset1:50
	v_pk_add_f32 v[54:55], v[54:55], v[148:149] neg_lo:[0,1] neg_hi:[0,1]
	s_wait_dscnt 0x0
	v_pk_mul_f32 v[148:149], v[144:145], v[136:137] op_sel:[0,1]
	v_pk_fma_f32 v[150:151], v[144:145], v[134:135], v[148:149] op_sel:[0,0,1] op_sel_hi:[1,1,0] neg_lo:[0,0,1] neg_hi:[0,0,1]
	v_pk_fma_f32 v[144:145], v[144:145], v[134:135], v[148:149] op_sel:[0,0,1] op_sel_hi:[1,0,0]
	s_delay_alu instid0(VALU_DEP_1) | instskip(SKIP_1) | instid1(VALU_DEP_1)
	v_mov_b32_e32 v151, v145
	v_pk_mul_f32 v[144:145], v[146:147], v[136:137] op_sel:[0,1]
	v_pk_fma_f32 v[148:149], v[146:147], v[134:135], v[144:145] op_sel:[0,0,1] op_sel_hi:[1,1,0] neg_lo:[0,0,1] neg_hi:[0,0,1]
	v_pk_fma_f32 v[144:145], v[146:147], v[134:135], v[144:145] op_sel:[0,0,1] op_sel_hi:[1,0,0]
	s_delay_alu instid0(VALU_DEP_1)
	v_mov_b32_e32 v149, v145
	ds_load_2addr_b64 v[144:147], v138 offset0:51 offset1:52
	v_pk_add_f32 v[52:53], v[52:53], v[150:151] neg_lo:[0,1] neg_hi:[0,1]
	v_pk_add_f32 v[62:63], v[62:63], v[148:149] neg_lo:[0,1] neg_hi:[0,1]
	s_wait_dscnt 0x0
	v_pk_mul_f32 v[148:149], v[144:145], v[136:137] op_sel:[0,1]
	s_delay_alu instid0(VALU_DEP_1) | instskip(SKIP_1) | instid1(VALU_DEP_1)
	v_pk_fma_f32 v[150:151], v[144:145], v[134:135], v[148:149] op_sel:[0,0,1] op_sel_hi:[1,1,0] neg_lo:[0,0,1] neg_hi:[0,0,1]
	v_pk_fma_f32 v[144:145], v[144:145], v[134:135], v[148:149] op_sel:[0,0,1] op_sel_hi:[1,0,0]
	v_mov_b32_e32 v151, v145
	v_pk_mul_f32 v[144:145], v[146:147], v[136:137] op_sel:[0,1]
	s_delay_alu instid0(VALU_DEP_1) | instskip(SKIP_1) | instid1(VALU_DEP_1)
	v_pk_fma_f32 v[148:149], v[146:147], v[134:135], v[144:145] op_sel:[0,0,1] op_sel_hi:[1,1,0] neg_lo:[0,0,1] neg_hi:[0,0,1]
	v_pk_fma_f32 v[144:145], v[146:147], v[134:135], v[144:145] op_sel:[0,0,1] op_sel_hi:[1,0,0]
	v_mov_b32_e32 v149, v145
	ds_load_2addr_b64 v[144:147], v138 offset0:53 offset1:54
	v_pk_add_f32 v[16:17], v[16:17], v[150:151] neg_lo:[0,1] neg_hi:[0,1]
	v_pk_add_f32 v[48:49], v[48:49], v[148:149] neg_lo:[0,1] neg_hi:[0,1]
	s_wait_dscnt 0x0
	v_dual_mul_f32 v148, v145, v137 :: v_dual_mul_f32 v150, v145, v134
	s_delay_alu instid0(VALU_DEP_1) | instskip(NEXT) | instid1(VALU_DEP_2)
	v_pk_fma_f32 v[148:149], v[144:145], v[78:79], v[148:149] op_sel_hi:[1,1,0] neg_lo:[0,0,1] neg_hi:[0,0,1]
	v_pk_fma_f32 v[144:145], v[144:145], v[78:79], v[150:151] op_sel:[1,0,0] op_sel_hi:[0,1,0]
	s_delay_alu instid0(VALU_DEP_1) | instskip(SKIP_1) | instid1(VALU_DEP_2)
	v_mov_b32_e32 v149, v145
	v_pk_mul_f32 v[144:145], v[146:147], v[136:137] op_sel:[0,1]
	v_pk_add_f32 v[42:43], v[42:43], v[148:149] neg_lo:[0,1] neg_hi:[0,1]
	s_delay_alu instid0(VALU_DEP_2) | instskip(SKIP_1) | instid1(VALU_DEP_1)
	v_pk_fma_f32 v[148:149], v[146:147], v[134:135], v[144:145] op_sel:[0,0,1] op_sel_hi:[1,1,0] neg_lo:[0,0,1] neg_hi:[0,0,1]
	v_pk_fma_f32 v[144:145], v[146:147], v[134:135], v[144:145] op_sel:[0,0,1] op_sel_hi:[1,0,0]
	v_mov_b32_e32 v149, v145
	ds_load_2addr_b64 v[144:147], v138 offset0:55 offset1:56
	v_pk_add_f32 v[46:47], v[46:47], v[148:149] neg_lo:[0,1] neg_hi:[0,1]
	s_wait_dscnt 0x0
	v_pk_mul_f32 v[148:149], v[144:145], v[136:137] op_sel:[0,1]
	s_delay_alu instid0(VALU_DEP_1) | instskip(SKIP_1) | instid1(VALU_DEP_1)
	v_pk_fma_f32 v[150:151], v[144:145], v[134:135], v[148:149] op_sel:[0,0,1] op_sel_hi:[1,1,0] neg_lo:[0,0,1] neg_hi:[0,0,1]
	v_pk_fma_f32 v[144:145], v[144:145], v[134:135], v[148:149] op_sel:[0,0,1] op_sel_hi:[1,0,0]
	v_mov_b32_e32 v151, v145
	v_pk_mul_f32 v[144:145], v[146:147], v[136:137] op_sel:[0,1]
	s_delay_alu instid0(VALU_DEP_2) | instskip(NEXT) | instid1(VALU_DEP_2)
	v_pk_add_f32 v[8:9], v[8:9], v[150:151] neg_lo:[0,1] neg_hi:[0,1]
	v_pk_fma_f32 v[148:149], v[146:147], v[134:135], v[144:145] op_sel:[0,0,1] op_sel_hi:[1,1,0] neg_lo:[0,0,1] neg_hi:[0,0,1]
	v_pk_fma_f32 v[144:145], v[146:147], v[134:135], v[144:145] op_sel:[0,0,1] op_sel_hi:[1,0,0]
	s_delay_alu instid0(VALU_DEP_1) | instskip(SKIP_4) | instid1(VALU_DEP_1)
	v_mov_b32_e32 v149, v145
	ds_load_2addr_b64 v[144:147], v138 offset0:57 offset1:58
	v_pk_add_f32 v[32:33], v[32:33], v[148:149] neg_lo:[0,1] neg_hi:[0,1]
	s_wait_dscnt 0x0
	v_pk_mul_f32 v[148:149], v[144:145], v[136:137] op_sel:[0,1]
	v_pk_fma_f32 v[150:151], v[144:145], v[134:135], v[148:149] op_sel:[0,0,1] op_sel_hi:[1,1,0] neg_lo:[0,0,1] neg_hi:[0,0,1]
	v_pk_fma_f32 v[144:145], v[144:145], v[134:135], v[148:149] op_sel:[0,0,1] op_sel_hi:[1,0,0]
	v_dual_mul_f32 v148, v147, v137 :: v_dual_mov_b32 v144, v147
	s_delay_alu instid0(VALU_DEP_2) | instskip(NEXT) | instid1(VALU_DEP_2)
	v_dual_mov_b32 v151, v145 :: v_dual_mov_b32 v145, v146
	v_pk_fma_f32 v[148:149], v[146:147], v[78:79], v[148:149] op_sel_hi:[1,1,0] neg_lo:[0,0,1] neg_hi:[0,0,1]
	v_mul_f32_e32 v146, v147, v134
	s_delay_alu instid0(VALU_DEP_3) | instskip(NEXT) | instid1(VALU_DEP_2)
	v_pk_add_f32 v[28:29], v[28:29], v[150:151] neg_lo:[0,1] neg_hi:[0,1]
	v_pk_fma_f32 v[144:145], v[144:145], v[78:79], v[146:147] op_sel_hi:[1,1,0]
	s_delay_alu instid0(VALU_DEP_1) | instskip(SKIP_4) | instid1(VALU_DEP_1)
	v_mov_b32_e32 v149, v145
	ds_load_2addr_b64 v[144:147], v138 offset0:59 offset1:60
	v_pk_add_f32 v[30:31], v[30:31], v[148:149] neg_lo:[0,1] neg_hi:[0,1]
	s_wait_dscnt 0x0
	v_pk_mul_f32 v[148:149], v[144:145], v[136:137] op_sel:[0,1]
	v_pk_fma_f32 v[150:151], v[144:145], v[134:135], v[148:149] op_sel:[0,0,1] op_sel_hi:[1,1,0] neg_lo:[0,0,1] neg_hi:[0,0,1]
	v_pk_fma_f32 v[144:145], v[144:145], v[134:135], v[148:149] op_sel:[0,0,1] op_sel_hi:[1,0,0]
	s_delay_alu instid0(VALU_DEP_1) | instskip(SKIP_1) | instid1(VALU_DEP_1)
	v_mov_b32_e32 v151, v145
	v_pk_mul_f32 v[144:145], v[146:147], v[136:137] op_sel:[0,1]
	v_pk_fma_f32 v[148:149], v[146:147], v[134:135], v[144:145] op_sel:[0,0,1] op_sel_hi:[1,1,0] neg_lo:[0,0,1] neg_hi:[0,0,1]
	v_pk_fma_f32 v[144:145], v[146:147], v[134:135], v[144:145] op_sel:[0,0,1] op_sel_hi:[1,0,0]
	s_delay_alu instid0(VALU_DEP_1)
	v_mov_b32_e32 v149, v145
	ds_load_2addr_b64 v[144:147], v138 offset0:61 offset1:62
	v_pk_add_f32 v[6:7], v[6:7], v[150:151] neg_lo:[0,1] neg_hi:[0,1]
	v_pk_add_f32 v[20:21], v[20:21], v[148:149] neg_lo:[0,1] neg_hi:[0,1]
	s_wait_dscnt 0x0
	v_pk_mul_f32 v[148:149], v[144:145], v[136:137] op_sel:[0,1]
	s_delay_alu instid0(VALU_DEP_1) | instskip(SKIP_1) | instid1(VALU_DEP_1)
	v_pk_fma_f32 v[150:151], v[144:145], v[134:135], v[148:149] op_sel:[0,0,1] op_sel_hi:[1,1,0] neg_lo:[0,0,1] neg_hi:[0,0,1]
	v_pk_fma_f32 v[144:145], v[144:145], v[134:135], v[148:149] op_sel:[0,0,1] op_sel_hi:[1,0,0]
	v_mov_b32_e32 v151, v145
	v_pk_mul_f32 v[144:145], v[146:147], v[136:137] op_sel:[0,1]
	s_delay_alu instid0(VALU_DEP_1) | instskip(SKIP_1) | instid1(VALU_DEP_1)
	v_pk_fma_f32 v[148:149], v[146:147], v[134:135], v[144:145] op_sel:[0,0,1] op_sel_hi:[1,1,0] neg_lo:[0,0,1] neg_hi:[0,0,1]
	v_pk_fma_f32 v[144:145], v[146:147], v[134:135], v[144:145] op_sel:[0,0,1] op_sel_hi:[1,0,0]
	v_mov_b32_e32 v149, v145
	ds_load_b64 v[144:145], v138 offset:504
	v_pk_add_f32 v[14:15], v[14:15], v[150:151] neg_lo:[0,1] neg_hi:[0,1]
	v_pk_add_f32 v[10:11], v[10:11], v[148:149] neg_lo:[0,1] neg_hi:[0,1]
	s_wait_dscnt 0x0
	v_pk_mul_f32 v[136:137], v[144:145], v[136:137] op_sel:[0,1]
	s_delay_alu instid0(VALU_DEP_1) | instskip(SKIP_1) | instid1(VALU_DEP_1)
	v_pk_fma_f32 v[146:147], v[144:145], v[134:135], v[136:137] op_sel:[0,0,1] op_sel_hi:[1,1,0] neg_lo:[0,0,1] neg_hi:[0,0,1]
	v_pk_fma_f32 v[134:135], v[144:145], v[134:135], v[136:137] op_sel:[0,0,1] op_sel_hi:[1,0,0]
	v_mov_b32_e32 v147, v135
	s_delay_alu instid0(VALU_DEP_1)
	v_pk_add_f32 v[132:133], v[132:133], v[146:147] neg_lo:[0,1] neg_hi:[0,1]
.LBB126_734:
	s_or_b32 exec_lo, exec_lo, s0
	v_lshl_add_u32 v134, v142, 3, v138
	s_barrier_signal -1
	s_barrier_wait -1
	ds_store_b64 v134, v[24:25]
	s_wait_dscnt 0x0
	s_barrier_signal -1
	s_barrier_wait -1
	ds_load_b64 v[136:137], v138 offset:280
	v_mov_b32_e32 v134, 35
	s_cmp_lt_i32 s18, 37
	s_cbranch_scc1 .LBB126_737
; %bb.735:
	v_add3_u32 v135, v139, 0, 0x120
	v_mov_b32_e32 v134, 35
	s_mov_b32 s0, 36
.LBB126_736:                            ; =>This Inner Loop Header: Depth=1
	ds_load_b64 v[144:145], v135
	s_wait_dscnt 0x1
	v_cmp_gt_f32_e32 vcc_lo, 0, v136
	v_cndmask_b32_e64 v146, v136, -v136, vcc_lo
	v_cmp_gt_f32_e32 vcc_lo, 0, v137
	v_cndmask_b32_e64 v148, v137, -v137, vcc_lo
	s_wait_dscnt 0x0
	v_cmp_gt_f32_e32 vcc_lo, 0, v144
	v_cndmask_b32_e64 v147, v144, -v144, vcc_lo
	v_cmp_gt_f32_e32 vcc_lo, 0, v145
	v_cndmask_b32_e64 v149, v145, -v145, vcc_lo
	s_delay_alu instid0(VALU_DEP_1) | instskip(NEXT) | instid1(VALU_DEP_1)
	v_pk_add_f32 v[146:147], v[146:147], v[148:149]
	v_cmp_lt_f32_e32 vcc_lo, v146, v147
	v_dual_add_nc_u32 v135, 8, v135 :: v_dual_cndmask_b32 v137, v137, v145, vcc_lo
	v_cndmask_b32_e32 v136, v136, v144, vcc_lo
	v_cndmask_b32_e64 v134, v134, s0, vcc_lo
	s_add_co_i32 s0, s0, 1
	s_delay_alu instid0(SALU_CYCLE_1)
	s_cmp_lg_u32 s18, s0
	s_cbranch_scc1 .LBB126_736
.LBB126_737:
	s_wait_dscnt 0x0
	v_cmp_eq_f32_e32 vcc_lo, 0, v136
	v_cmp_eq_f32_e64 s0, 0, v137
	s_and_b32 s0, vcc_lo, s0
	s_delay_alu instid0(SALU_CYCLE_1) | instskip(NEXT) | instid1(SALU_CYCLE_1)
	s_and_saveexec_b32 s1, s0
	s_xor_b32 s0, exec_lo, s1
; %bb.738:
	v_cmp_ne_u32_e32 vcc_lo, 0, v140
	v_cndmask_b32_e32 v140, 36, v140, vcc_lo
; %bb.739:
	s_and_not1_saveexec_b32 s0, s0
	s_cbranch_execz .LBB126_745
; %bb.740:
	v_cmp_ngt_f32_e64 s1, |v136|, |v137|
	s_and_saveexec_b32 s12, s1
	s_delay_alu instid0(SALU_CYCLE_1)
	s_xor_b32 s1, exec_lo, s12
	s_cbranch_execz .LBB126_742
; %bb.741:
	v_div_scale_f32 v135, null, v137, v137, v136
	v_div_scale_f32 v145, vcc_lo, v136, v137, v136
	s_delay_alu instid0(VALU_DEP_2) | instskip(SKIP_1) | instid1(TRANS32_DEP_1)
	v_rcp_f32_e32 v143, v135
	v_nop
	v_fma_f32 v144, -v135, v143, 1.0
	s_delay_alu instid0(VALU_DEP_1) | instskip(NEXT) | instid1(VALU_DEP_1)
	v_fmac_f32_e32 v143, v144, v143
	v_mul_f32_e32 v144, v145, v143
	s_delay_alu instid0(VALU_DEP_1) | instskip(NEXT) | instid1(VALU_DEP_1)
	v_fma_f32 v146, -v135, v144, v145
	v_fmac_f32_e32 v144, v146, v143
	s_delay_alu instid0(VALU_DEP_1) | instskip(NEXT) | instid1(VALU_DEP_1)
	v_fma_f32 v135, -v135, v144, v145
	v_div_fmas_f32 v135, v135, v143, v144
	s_delay_alu instid0(VALU_DEP_1) | instskip(NEXT) | instid1(VALU_DEP_1)
	v_div_fixup_f32 v135, v135, v137, v136
	v_fmac_f32_e32 v137, v136, v135
	s_delay_alu instid0(VALU_DEP_1) | instskip(SKIP_1) | instid1(VALU_DEP_2)
	v_div_scale_f32 v136, null, v137, v137, 1.0
	v_div_scale_f32 v145, vcc_lo, 1.0, v137, 1.0
	v_rcp_f32_e32 v143, v136
	v_nop
	s_delay_alu instid0(TRANS32_DEP_1) | instskip(NEXT) | instid1(VALU_DEP_1)
	v_fma_f32 v144, -v136, v143, 1.0
	v_fmac_f32_e32 v143, v144, v143
	s_delay_alu instid0(VALU_DEP_1) | instskip(NEXT) | instid1(VALU_DEP_1)
	v_mul_f32_e32 v144, v145, v143
	v_fma_f32 v146, -v136, v144, v145
	s_delay_alu instid0(VALU_DEP_1) | instskip(NEXT) | instid1(VALU_DEP_1)
	v_fmac_f32_e32 v144, v146, v143
	v_fma_f32 v136, -v136, v144, v145
	s_delay_alu instid0(VALU_DEP_1) | instskip(NEXT) | instid1(VALU_DEP_1)
	v_div_fmas_f32 v136, v136, v143, v144
	v_div_fixup_f32 v137, v136, v137, 1.0
	s_delay_alu instid0(VALU_DEP_1)
	v_mul_f32_e32 v136, v135, v137
	v_xor_b32_e32 v137, 0x80000000, v137
.LBB126_742:
	s_and_not1_saveexec_b32 s1, s1
	s_cbranch_execz .LBB126_744
; %bb.743:
	s_delay_alu instid0(VALU_DEP_1) | instskip(SKIP_1) | instid1(VALU_DEP_2)
	v_div_scale_f32 v135, null, v136, v136, v137
	v_div_scale_f32 v145, vcc_lo, v137, v136, v137
	v_rcp_f32_e32 v143, v135
	v_nop
	s_delay_alu instid0(TRANS32_DEP_1) | instskip(NEXT) | instid1(VALU_DEP_1)
	v_fma_f32 v144, -v135, v143, 1.0
	v_fmac_f32_e32 v143, v144, v143
	s_delay_alu instid0(VALU_DEP_1) | instskip(NEXT) | instid1(VALU_DEP_1)
	v_mul_f32_e32 v144, v145, v143
	v_fma_f32 v146, -v135, v144, v145
	s_delay_alu instid0(VALU_DEP_1) | instskip(NEXT) | instid1(VALU_DEP_1)
	v_fmac_f32_e32 v144, v146, v143
	v_fma_f32 v135, -v135, v144, v145
	s_delay_alu instid0(VALU_DEP_1) | instskip(NEXT) | instid1(VALU_DEP_1)
	v_div_fmas_f32 v135, v135, v143, v144
	v_div_fixup_f32 v135, v135, v136, v137
	s_delay_alu instid0(VALU_DEP_1) | instskip(NEXT) | instid1(VALU_DEP_1)
	v_fmac_f32_e32 v136, v137, v135
	v_div_scale_f32 v137, null, v136, v136, 1.0
	s_delay_alu instid0(VALU_DEP_1) | instskip(SKIP_1) | instid1(TRANS32_DEP_1)
	v_rcp_f32_e32 v143, v137
	v_nop
	v_fma_f32 v144, -v137, v143, 1.0
	s_delay_alu instid0(VALU_DEP_1) | instskip(SKIP_1) | instid1(VALU_DEP_1)
	v_fmac_f32_e32 v143, v144, v143
	v_div_scale_f32 v144, vcc_lo, 1.0, v136, 1.0
	v_mul_f32_e32 v145, v144, v143
	s_delay_alu instid0(VALU_DEP_1) | instskip(NEXT) | instid1(VALU_DEP_1)
	v_fma_f32 v146, -v137, v145, v144
	v_fmac_f32_e32 v145, v146, v143
	s_delay_alu instid0(VALU_DEP_1) | instskip(NEXT) | instid1(VALU_DEP_1)
	v_fma_f32 v137, -v137, v145, v144
	v_div_fmas_f32 v137, v137, v143, v145
	s_delay_alu instid0(VALU_DEP_1) | instskip(NEXT) | instid1(VALU_DEP_1)
	v_div_fixup_f32 v136, v137, v136, 1.0
	v_mul_f32_e64 v137, v135, -v136
.LBB126_744:
	s_or_b32 exec_lo, exec_lo, s1
.LBB126_745:
	s_delay_alu instid0(SALU_CYCLE_1) | instskip(NEXT) | instid1(SALU_CYCLE_1)
	s_or_b32 exec_lo, exec_lo, s0
	s_mov_b32 s0, exec_lo
	v_cmpx_ne_u32_e64 v142, v134
	s_xor_b32 s0, exec_lo, s0
	s_cbranch_execz .LBB126_751
; %bb.746:
	s_mov_b32 s1, exec_lo
	v_cmpx_eq_u32_e32 35, v142
	s_cbranch_execz .LBB126_750
; %bb.747:
	v_cmp_ne_u32_e32 vcc_lo, 35, v134
	s_xor_b32 s12, s16, -1
	s_delay_alu instid0(SALU_CYCLE_1) | instskip(NEXT) | instid1(SALU_CYCLE_1)
	s_and_b32 s13, s12, vcc_lo
	s_and_saveexec_b32 s12, s13
	s_cbranch_execz .LBB126_749
; %bb.748:
	v_ashrrev_i32_e32 v135, 31, v134
	s_delay_alu instid0(VALU_DEP_1)
	v_lshl_add_u64 v[142:143], v[134:135], 2, v[4:5]
	s_clause 0x1
	global_load_b32 v135, v[142:143], off
	global_load_b32 v141, v[4:5], off offset:140
	s_wait_loadcnt 0x1
	global_store_b32 v[4:5], v135, off offset:140
	s_wait_loadcnt 0x0
	global_store_b32 v[142:143], v141, off
.LBB126_749:
	s_wait_xcnt 0x0
	s_or_b32 exec_lo, exec_lo, s12
	v_dual_mov_b32 v142, v134 :: v_dual_mov_b32 v141, v134
.LBB126_750:
	s_or_b32 exec_lo, exec_lo, s1
.LBB126_751:
	s_and_not1_saveexec_b32 s0, s0
	s_cbranch_execz .LBB126_753
; %bb.752:
	v_dual_mov_b32 v134, v74 :: v_dual_mov_b32 v135, v75
	v_dual_mov_b32 v142, v70 :: v_dual_mov_b32 v143, v71
	ds_store_2addr_b64 v138, v[134:135], v[142:143] offset0:36 offset1:37
	v_dual_mov_b32 v134, v72 :: v_dual_mov_b32 v135, v73
	v_dual_mov_b32 v142, v22 :: v_dual_mov_b32 v143, v23
	ds_store_2addr_b64 v138, v[134:135], v[142:143] offset0:38 offset1:39
	;; [unrolled: 3-line block ×13, first 2 shown]
	v_dual_mov_b32 v134, v10 :: v_dual_mov_b32 v135, v11
	v_mov_b32_e32 v142, 35
	ds_store_2addr_b64 v138, v[134:135], v[132:133] offset0:62 offset1:63
.LBB126_753:
	s_or_b32 exec_lo, exec_lo, s0
	s_delay_alu instid0(SALU_CYCLE_1)
	s_mov_b32 s0, exec_lo
	s_wait_storecnt_dscnt 0x0
	s_barrier_signal -1
	s_barrier_wait -1
	v_cmpx_lt_i32_e32 35, v142
	s_cbranch_execz .LBB126_755
; %bb.754:
	v_pk_mul_f32 v[144:145], v[136:137], v[24:25] op_sel:[1,1] op_sel_hi:[0,1]
	s_delay_alu instid0(VALU_DEP_1)
	v_pk_fma_f32 v[134:135], v[136:137], v[24:25], v[144:145] op_sel_hi:[1,0,1] neg_lo:[0,0,1] neg_hi:[0,0,1]
	v_pk_fma_f32 v[136:137], v[136:137], v[24:25], v[144:145] op_sel_hi:[1,0,1]
	ds_load_2addr_b64 v[144:147], v138 offset0:36 offset1:37
	v_dual_mov_b32 v24, v134 :: v_dual_mov_b32 v25, v137
	s_wait_dscnt 0x0
	v_pk_mul_f32 v[148:149], v[144:145], v[136:137] op_sel:[0,1]
	s_delay_alu instid0(VALU_DEP_1) | instskip(SKIP_1) | instid1(VALU_DEP_1)
	v_pk_fma_f32 v[150:151], v[144:145], v[134:135], v[148:149] op_sel:[0,0,1] op_sel_hi:[1,1,0] neg_lo:[0,0,1] neg_hi:[0,0,1]
	v_pk_fma_f32 v[144:145], v[144:145], v[134:135], v[148:149] op_sel:[0,0,1] op_sel_hi:[1,0,0]
	v_mov_b32_e32 v151, v145
	v_pk_mul_f32 v[144:145], v[146:147], v[136:137] op_sel:[0,1]
	s_delay_alu instid0(VALU_DEP_1) | instskip(SKIP_1) | instid1(VALU_DEP_1)
	v_pk_fma_f32 v[148:149], v[146:147], v[134:135], v[144:145] op_sel:[0,0,1] op_sel_hi:[1,1,0] neg_lo:[0,0,1] neg_hi:[0,0,1]
	v_pk_fma_f32 v[144:145], v[146:147], v[134:135], v[144:145] op_sel:[0,0,1] op_sel_hi:[1,0,0]
	v_mov_b32_e32 v149, v145
	ds_load_2addr_b64 v[144:147], v138 offset0:38 offset1:39
	v_pk_add_f32 v[74:75], v[74:75], v[150:151] neg_lo:[0,1] neg_hi:[0,1]
	v_pk_add_f32 v[70:71], v[70:71], v[148:149] neg_lo:[0,1] neg_hi:[0,1]
	s_wait_dscnt 0x0
	v_pk_mul_f32 v[148:149], v[144:145], v[136:137] op_sel:[0,1]
	s_delay_alu instid0(VALU_DEP_1) | instskip(SKIP_2) | instid1(VALU_DEP_2)
	v_pk_fma_f32 v[150:151], v[144:145], v[134:135], v[148:149] op_sel:[0,0,1] op_sel_hi:[1,1,0] neg_lo:[0,0,1] neg_hi:[0,0,1]
	v_pk_fma_f32 v[144:145], v[144:145], v[134:135], v[148:149] op_sel:[0,0,1] op_sel_hi:[1,0,0]
	v_dual_mul_f32 v148, v147, v137 :: v_dual_mov_b32 v144, v147
	v_dual_mov_b32 v151, v145 :: v_dual_mov_b32 v145, v146
	s_delay_alu instid0(VALU_DEP_2) | instskip(SKIP_1) | instid1(VALU_DEP_3)
	v_pk_fma_f32 v[148:149], v[146:147], v[24:25], v[148:149] op_sel_hi:[1,1,0] neg_lo:[0,0,1] neg_hi:[0,0,1]
	v_mul_f32_e32 v146, v147, v134
	v_pk_add_f32 v[72:73], v[72:73], v[150:151] neg_lo:[0,1] neg_hi:[0,1]
	s_delay_alu instid0(VALU_DEP_2) | instskip(NEXT) | instid1(VALU_DEP_1)
	v_pk_fma_f32 v[144:145], v[144:145], v[24:25], v[146:147] op_sel_hi:[1,1,0]
	v_mov_b32_e32 v149, v145
	ds_load_2addr_b64 v[144:147], v138 offset0:40 offset1:41
	v_pk_add_f32 v[22:23], v[22:23], v[148:149] neg_lo:[0,1] neg_hi:[0,1]
	s_wait_dscnt 0x0
	v_pk_mul_f32 v[148:149], v[144:145], v[136:137] op_sel:[0,1]
	s_delay_alu instid0(VALU_DEP_1) | instskip(SKIP_1) | instid1(VALU_DEP_1)
	v_pk_fma_f32 v[150:151], v[144:145], v[134:135], v[148:149] op_sel:[0,0,1] op_sel_hi:[1,1,0] neg_lo:[0,0,1] neg_hi:[0,0,1]
	v_pk_fma_f32 v[144:145], v[144:145], v[134:135], v[148:149] op_sel:[0,0,1] op_sel_hi:[1,0,0]
	v_mov_b32_e32 v151, v145
	v_pk_mul_f32 v[144:145], v[146:147], v[136:137] op_sel:[0,1]
	s_delay_alu instid0(VALU_DEP_1) | instskip(SKIP_1) | instid1(VALU_DEP_1)
	v_pk_fma_f32 v[148:149], v[146:147], v[134:135], v[144:145] op_sel:[0,0,1] op_sel_hi:[1,1,0] neg_lo:[0,0,1] neg_hi:[0,0,1]
	v_pk_fma_f32 v[144:145], v[146:147], v[134:135], v[144:145] op_sel:[0,0,1] op_sel_hi:[1,0,0]
	v_mov_b32_e32 v149, v145
	ds_load_2addr_b64 v[144:147], v138 offset0:42 offset1:43
	v_pk_add_f32 v[68:69], v[68:69], v[150:151] neg_lo:[0,1] neg_hi:[0,1]
	v_pk_add_f32 v[64:65], v[64:65], v[148:149] neg_lo:[0,1] neg_hi:[0,1]
	s_wait_dscnt 0x0
	v_pk_mul_f32 v[148:149], v[144:145], v[136:137] op_sel:[0,1]
	s_delay_alu instid0(VALU_DEP_1) | instskip(SKIP_1) | instid1(VALU_DEP_1)
	v_pk_fma_f32 v[150:151], v[144:145], v[134:135], v[148:149] op_sel:[0,0,1] op_sel_hi:[1,1,0] neg_lo:[0,0,1] neg_hi:[0,0,1]
	v_pk_fma_f32 v[144:145], v[144:145], v[134:135], v[148:149] op_sel:[0,0,1] op_sel_hi:[1,0,0]
	v_mov_b32_e32 v151, v145
	v_pk_mul_f32 v[144:145], v[146:147], v[136:137] op_sel:[0,1]
	s_delay_alu instid0(VALU_DEP_1) | instskip(SKIP_1) | instid1(VALU_DEP_1)
	v_pk_fma_f32 v[148:149], v[146:147], v[134:135], v[144:145] op_sel:[0,0,1] op_sel_hi:[1,1,0] neg_lo:[0,0,1] neg_hi:[0,0,1]
	v_pk_fma_f32 v[144:145], v[146:147], v[134:135], v[144:145] op_sel:[0,0,1] op_sel_hi:[1,0,0]
	v_mov_b32_e32 v149, v145
	ds_load_2addr_b64 v[144:147], v138 offset0:44 offset1:45
	v_pk_add_f32 v[66:67], v[66:67], v[150:151] neg_lo:[0,1] neg_hi:[0,1]
	v_pk_add_f32 v[18:19], v[18:19], v[148:149] neg_lo:[0,1] neg_hi:[0,1]
	s_wait_dscnt 0x0
	v_dual_mul_f32 v148, v145, v137 :: v_dual_mul_f32 v150, v145, v134
	s_delay_alu instid0(VALU_DEP_1) | instskip(NEXT) | instid1(VALU_DEP_2)
	v_pk_fma_f32 v[148:149], v[144:145], v[24:25], v[148:149] op_sel_hi:[1,1,0] neg_lo:[0,0,1] neg_hi:[0,0,1]
	v_pk_fma_f32 v[144:145], v[144:145], v[24:25], v[150:151] op_sel:[1,0,0] op_sel_hi:[0,1,0]
	s_delay_alu instid0(VALU_DEP_1) | instskip(SKIP_1) | instid1(VALU_DEP_2)
	v_mov_b32_e32 v149, v145
	v_pk_mul_f32 v[144:145], v[146:147], v[136:137] op_sel:[0,1]
	v_pk_add_f32 v[60:61], v[60:61], v[148:149] neg_lo:[0,1] neg_hi:[0,1]
	s_delay_alu instid0(VALU_DEP_2) | instskip(SKIP_1) | instid1(VALU_DEP_1)
	v_pk_fma_f32 v[148:149], v[146:147], v[134:135], v[144:145] op_sel:[0,0,1] op_sel_hi:[1,1,0] neg_lo:[0,0,1] neg_hi:[0,0,1]
	v_pk_fma_f32 v[144:145], v[146:147], v[134:135], v[144:145] op_sel:[0,0,1] op_sel_hi:[1,0,0]
	v_mov_b32_e32 v149, v145
	ds_load_2addr_b64 v[144:147], v138 offset0:46 offset1:47
	v_pk_add_f32 v[56:57], v[56:57], v[148:149] neg_lo:[0,1] neg_hi:[0,1]
	s_wait_dscnt 0x0
	v_pk_mul_f32 v[148:149], v[144:145], v[136:137] op_sel:[0,1]
	s_delay_alu instid0(VALU_DEP_1) | instskip(SKIP_1) | instid1(VALU_DEP_1)
	v_pk_fma_f32 v[150:151], v[144:145], v[134:135], v[148:149] op_sel:[0,0,1] op_sel_hi:[1,1,0] neg_lo:[0,0,1] neg_hi:[0,0,1]
	v_pk_fma_f32 v[144:145], v[144:145], v[134:135], v[148:149] op_sel:[0,0,1] op_sel_hi:[1,0,0]
	v_mov_b32_e32 v151, v145
	v_pk_mul_f32 v[144:145], v[146:147], v[136:137] op_sel:[0,1]
	s_delay_alu instid0(VALU_DEP_2) | instskip(NEXT) | instid1(VALU_DEP_2)
	v_pk_add_f32 v[58:59], v[58:59], v[150:151] neg_lo:[0,1] neg_hi:[0,1]
	v_pk_fma_f32 v[148:149], v[146:147], v[134:135], v[144:145] op_sel:[0,0,1] op_sel_hi:[1,1,0] neg_lo:[0,0,1] neg_hi:[0,0,1]
	v_pk_fma_f32 v[144:145], v[146:147], v[134:135], v[144:145] op_sel:[0,0,1] op_sel_hi:[1,0,0]
	s_delay_alu instid0(VALU_DEP_1) | instskip(SKIP_4) | instid1(VALU_DEP_1)
	v_mov_b32_e32 v149, v145
	ds_load_2addr_b64 v[144:147], v138 offset0:48 offset1:49
	v_pk_add_f32 v[12:13], v[12:13], v[148:149] neg_lo:[0,1] neg_hi:[0,1]
	s_wait_dscnt 0x0
	v_pk_mul_f32 v[148:149], v[144:145], v[136:137] op_sel:[0,1]
	v_pk_fma_f32 v[150:151], v[144:145], v[134:135], v[148:149] op_sel:[0,0,1] op_sel_hi:[1,1,0] neg_lo:[0,0,1] neg_hi:[0,0,1]
	v_pk_fma_f32 v[144:145], v[144:145], v[134:135], v[148:149] op_sel:[0,0,1] op_sel_hi:[1,0,0]
	v_dual_mul_f32 v148, v147, v137 :: v_dual_mov_b32 v144, v147
	s_delay_alu instid0(VALU_DEP_2) | instskip(NEXT) | instid1(VALU_DEP_2)
	v_dual_mov_b32 v151, v145 :: v_dual_mov_b32 v145, v146
	v_pk_fma_f32 v[148:149], v[146:147], v[24:25], v[148:149] op_sel_hi:[1,1,0] neg_lo:[0,0,1] neg_hi:[0,0,1]
	v_mul_f32_e32 v146, v147, v134
	s_delay_alu instid0(VALU_DEP_3) | instskip(NEXT) | instid1(VALU_DEP_2)
	v_pk_add_f32 v[54:55], v[54:55], v[150:151] neg_lo:[0,1] neg_hi:[0,1]
	v_pk_fma_f32 v[144:145], v[144:145], v[24:25], v[146:147] op_sel_hi:[1,1,0]
	s_delay_alu instid0(VALU_DEP_1) | instskip(SKIP_4) | instid1(VALU_DEP_1)
	v_mov_b32_e32 v149, v145
	ds_load_2addr_b64 v[144:147], v138 offset0:50 offset1:51
	v_pk_add_f32 v[52:53], v[52:53], v[148:149] neg_lo:[0,1] neg_hi:[0,1]
	s_wait_dscnt 0x0
	v_pk_mul_f32 v[148:149], v[144:145], v[136:137] op_sel:[0,1]
	v_pk_fma_f32 v[150:151], v[144:145], v[134:135], v[148:149] op_sel:[0,0,1] op_sel_hi:[1,1,0] neg_lo:[0,0,1] neg_hi:[0,0,1]
	v_pk_fma_f32 v[144:145], v[144:145], v[134:135], v[148:149] op_sel:[0,0,1] op_sel_hi:[1,0,0]
	s_delay_alu instid0(VALU_DEP_1) | instskip(SKIP_1) | instid1(VALU_DEP_1)
	v_mov_b32_e32 v151, v145
	v_pk_mul_f32 v[144:145], v[146:147], v[136:137] op_sel:[0,1]
	v_pk_fma_f32 v[148:149], v[146:147], v[134:135], v[144:145] op_sel:[0,0,1] op_sel_hi:[1,1,0] neg_lo:[0,0,1] neg_hi:[0,0,1]
	v_pk_fma_f32 v[144:145], v[146:147], v[134:135], v[144:145] op_sel:[0,0,1] op_sel_hi:[1,0,0]
	s_delay_alu instid0(VALU_DEP_1)
	v_mov_b32_e32 v149, v145
	ds_load_2addr_b64 v[144:147], v138 offset0:52 offset1:53
	v_pk_add_f32 v[62:63], v[62:63], v[150:151] neg_lo:[0,1] neg_hi:[0,1]
	v_pk_add_f32 v[16:17], v[16:17], v[148:149] neg_lo:[0,1] neg_hi:[0,1]
	s_wait_dscnt 0x0
	v_pk_mul_f32 v[148:149], v[144:145], v[136:137] op_sel:[0,1]
	s_delay_alu instid0(VALU_DEP_1) | instskip(SKIP_1) | instid1(VALU_DEP_1)
	v_pk_fma_f32 v[150:151], v[144:145], v[134:135], v[148:149] op_sel:[0,0,1] op_sel_hi:[1,1,0] neg_lo:[0,0,1] neg_hi:[0,0,1]
	v_pk_fma_f32 v[144:145], v[144:145], v[134:135], v[148:149] op_sel:[0,0,1] op_sel_hi:[1,0,0]
	v_mov_b32_e32 v151, v145
	v_pk_mul_f32 v[144:145], v[146:147], v[136:137] op_sel:[0,1]
	s_delay_alu instid0(VALU_DEP_1) | instskip(SKIP_1) | instid1(VALU_DEP_1)
	v_pk_fma_f32 v[148:149], v[146:147], v[134:135], v[144:145] op_sel:[0,0,1] op_sel_hi:[1,1,0] neg_lo:[0,0,1] neg_hi:[0,0,1]
	v_pk_fma_f32 v[144:145], v[146:147], v[134:135], v[144:145] op_sel:[0,0,1] op_sel_hi:[1,0,0]
	v_mov_b32_e32 v149, v145
	ds_load_2addr_b64 v[144:147], v138 offset0:54 offset1:55
	v_pk_add_f32 v[48:49], v[48:49], v[150:151] neg_lo:[0,1] neg_hi:[0,1]
	v_pk_add_f32 v[42:43], v[42:43], v[148:149] neg_lo:[0,1] neg_hi:[0,1]
	s_wait_dscnt 0x0
	v_dual_mul_f32 v148, v145, v137 :: v_dual_mul_f32 v150, v145, v134
	s_delay_alu instid0(VALU_DEP_1) | instskip(NEXT) | instid1(VALU_DEP_2)
	v_pk_fma_f32 v[148:149], v[144:145], v[24:25], v[148:149] op_sel_hi:[1,1,0] neg_lo:[0,0,1] neg_hi:[0,0,1]
	v_pk_fma_f32 v[144:145], v[144:145], v[24:25], v[150:151] op_sel:[1,0,0] op_sel_hi:[0,1,0]
	s_delay_alu instid0(VALU_DEP_1) | instskip(SKIP_1) | instid1(VALU_DEP_2)
	v_mov_b32_e32 v149, v145
	v_pk_mul_f32 v[144:145], v[146:147], v[136:137] op_sel:[0,1]
	v_pk_add_f32 v[46:47], v[46:47], v[148:149] neg_lo:[0,1] neg_hi:[0,1]
	s_delay_alu instid0(VALU_DEP_2) | instskip(SKIP_1) | instid1(VALU_DEP_1)
	v_pk_fma_f32 v[148:149], v[146:147], v[134:135], v[144:145] op_sel:[0,0,1] op_sel_hi:[1,1,0] neg_lo:[0,0,1] neg_hi:[0,0,1]
	v_pk_fma_f32 v[144:145], v[146:147], v[134:135], v[144:145] op_sel:[0,0,1] op_sel_hi:[1,0,0]
	v_mov_b32_e32 v149, v145
	ds_load_2addr_b64 v[144:147], v138 offset0:56 offset1:57
	v_pk_add_f32 v[8:9], v[8:9], v[148:149] neg_lo:[0,1] neg_hi:[0,1]
	s_wait_dscnt 0x0
	v_pk_mul_f32 v[148:149], v[144:145], v[136:137] op_sel:[0,1]
	s_delay_alu instid0(VALU_DEP_1) | instskip(SKIP_1) | instid1(VALU_DEP_1)
	v_pk_fma_f32 v[150:151], v[144:145], v[134:135], v[148:149] op_sel:[0,0,1] op_sel_hi:[1,1,0] neg_lo:[0,0,1] neg_hi:[0,0,1]
	v_pk_fma_f32 v[144:145], v[144:145], v[134:135], v[148:149] op_sel:[0,0,1] op_sel_hi:[1,0,0]
	v_mov_b32_e32 v151, v145
	v_pk_mul_f32 v[144:145], v[146:147], v[136:137] op_sel:[0,1]
	s_delay_alu instid0(VALU_DEP_2) | instskip(NEXT) | instid1(VALU_DEP_2)
	v_pk_add_f32 v[32:33], v[32:33], v[150:151] neg_lo:[0,1] neg_hi:[0,1]
	v_pk_fma_f32 v[148:149], v[146:147], v[134:135], v[144:145] op_sel:[0,0,1] op_sel_hi:[1,1,0] neg_lo:[0,0,1] neg_hi:[0,0,1]
	v_pk_fma_f32 v[144:145], v[146:147], v[134:135], v[144:145] op_sel:[0,0,1] op_sel_hi:[1,0,0]
	s_delay_alu instid0(VALU_DEP_1) | instskip(SKIP_4) | instid1(VALU_DEP_1)
	v_mov_b32_e32 v149, v145
	ds_load_2addr_b64 v[144:147], v138 offset0:58 offset1:59
	v_pk_add_f32 v[28:29], v[28:29], v[148:149] neg_lo:[0,1] neg_hi:[0,1]
	s_wait_dscnt 0x0
	v_pk_mul_f32 v[148:149], v[144:145], v[136:137] op_sel:[0,1]
	v_pk_fma_f32 v[150:151], v[144:145], v[134:135], v[148:149] op_sel:[0,0,1] op_sel_hi:[1,1,0] neg_lo:[0,0,1] neg_hi:[0,0,1]
	v_pk_fma_f32 v[144:145], v[144:145], v[134:135], v[148:149] op_sel:[0,0,1] op_sel_hi:[1,0,0]
	v_dual_mul_f32 v148, v147, v137 :: v_dual_mov_b32 v144, v147
	s_delay_alu instid0(VALU_DEP_2) | instskip(NEXT) | instid1(VALU_DEP_2)
	v_dual_mov_b32 v151, v145 :: v_dual_mov_b32 v145, v146
	v_pk_fma_f32 v[148:149], v[146:147], v[24:25], v[148:149] op_sel_hi:[1,1,0] neg_lo:[0,0,1] neg_hi:[0,0,1]
	v_mul_f32_e32 v146, v147, v134
	s_delay_alu instid0(VALU_DEP_3) | instskip(NEXT) | instid1(VALU_DEP_2)
	v_pk_add_f32 v[30:31], v[30:31], v[150:151] neg_lo:[0,1] neg_hi:[0,1]
	v_pk_fma_f32 v[144:145], v[144:145], v[24:25], v[146:147] op_sel_hi:[1,1,0]
	s_delay_alu instid0(VALU_DEP_1) | instskip(SKIP_4) | instid1(VALU_DEP_1)
	v_mov_b32_e32 v149, v145
	ds_load_2addr_b64 v[144:147], v138 offset0:60 offset1:61
	v_pk_add_f32 v[6:7], v[6:7], v[148:149] neg_lo:[0,1] neg_hi:[0,1]
	s_wait_dscnt 0x0
	v_pk_mul_f32 v[148:149], v[144:145], v[136:137] op_sel:[0,1]
	v_pk_fma_f32 v[150:151], v[144:145], v[134:135], v[148:149] op_sel:[0,0,1] op_sel_hi:[1,1,0] neg_lo:[0,0,1] neg_hi:[0,0,1]
	v_pk_fma_f32 v[144:145], v[144:145], v[134:135], v[148:149] op_sel:[0,0,1] op_sel_hi:[1,0,0]
	s_delay_alu instid0(VALU_DEP_1) | instskip(SKIP_1) | instid1(VALU_DEP_1)
	v_mov_b32_e32 v151, v145
	v_pk_mul_f32 v[144:145], v[146:147], v[136:137] op_sel:[0,1]
	v_pk_fma_f32 v[148:149], v[146:147], v[134:135], v[144:145] op_sel:[0,0,1] op_sel_hi:[1,1,0] neg_lo:[0,0,1] neg_hi:[0,0,1]
	v_pk_fma_f32 v[144:145], v[146:147], v[134:135], v[144:145] op_sel:[0,0,1] op_sel_hi:[1,0,0]
	s_delay_alu instid0(VALU_DEP_1)
	v_mov_b32_e32 v149, v145
	ds_load_2addr_b64 v[144:147], v138 offset0:62 offset1:63
	v_pk_add_f32 v[20:21], v[20:21], v[150:151] neg_lo:[0,1] neg_hi:[0,1]
	v_pk_add_f32 v[14:15], v[14:15], v[148:149] neg_lo:[0,1] neg_hi:[0,1]
	s_wait_dscnt 0x0
	v_pk_mul_f32 v[148:149], v[144:145], v[136:137] op_sel:[0,1]
	v_pk_mul_f32 v[136:137], v[146:147], v[136:137] op_sel:[0,1]
	s_delay_alu instid0(VALU_DEP_2) | instskip(SKIP_1) | instid1(VALU_DEP_1)
	v_pk_fma_f32 v[150:151], v[144:145], v[134:135], v[148:149] op_sel:[0,0,1] op_sel_hi:[1,1,0] neg_lo:[0,0,1] neg_hi:[0,0,1]
	v_pk_fma_f32 v[144:145], v[144:145], v[134:135], v[148:149] op_sel:[0,0,1] op_sel_hi:[1,0,0]
	v_mov_b32_e32 v151, v145
	s_delay_alu instid0(VALU_DEP_4) | instskip(SKIP_1) | instid1(VALU_DEP_1)
	v_pk_fma_f32 v[144:145], v[146:147], v[134:135], v[136:137] op_sel:[0,0,1] op_sel_hi:[1,1,0] neg_lo:[0,0,1] neg_hi:[0,0,1]
	v_pk_fma_f32 v[134:135], v[146:147], v[134:135], v[136:137] op_sel:[0,0,1] op_sel_hi:[1,0,0]
	v_mov_b32_e32 v145, v135
	s_delay_alu instid0(VALU_DEP_4) | instskip(NEXT) | instid1(VALU_DEP_2)
	v_pk_add_f32 v[10:11], v[10:11], v[150:151] neg_lo:[0,1] neg_hi:[0,1]
	v_pk_add_f32 v[132:133], v[132:133], v[144:145] neg_lo:[0,1] neg_hi:[0,1]
.LBB126_755:
	s_or_b32 exec_lo, exec_lo, s0
	v_lshl_add_u32 v134, v142, 3, v138
	s_barrier_signal -1
	s_barrier_wait -1
	ds_store_b64 v134, v[74:75]
	s_wait_dscnt 0x0
	s_barrier_signal -1
	s_barrier_wait -1
	ds_load_b64 v[136:137], v138 offset:288
	v_mov_b32_e32 v134, 36
	s_cmp_lt_i32 s18, 38
	s_cbranch_scc1 .LBB126_758
; %bb.756:
	v_add3_u32 v135, v139, 0, 0x128
	v_mov_b32_e32 v134, 36
	s_mov_b32 s0, 37
.LBB126_757:                            ; =>This Inner Loop Header: Depth=1
	ds_load_b64 v[144:145], v135
	s_wait_dscnt 0x1
	v_cmp_gt_f32_e32 vcc_lo, 0, v136
	v_cndmask_b32_e64 v146, v136, -v136, vcc_lo
	v_cmp_gt_f32_e32 vcc_lo, 0, v137
	v_cndmask_b32_e64 v148, v137, -v137, vcc_lo
	s_wait_dscnt 0x0
	v_cmp_gt_f32_e32 vcc_lo, 0, v144
	v_cndmask_b32_e64 v147, v144, -v144, vcc_lo
	v_cmp_gt_f32_e32 vcc_lo, 0, v145
	v_cndmask_b32_e64 v149, v145, -v145, vcc_lo
	s_delay_alu instid0(VALU_DEP_1) | instskip(NEXT) | instid1(VALU_DEP_1)
	v_pk_add_f32 v[146:147], v[146:147], v[148:149]
	v_cmp_lt_f32_e32 vcc_lo, v146, v147
	v_dual_add_nc_u32 v135, 8, v135 :: v_dual_cndmask_b32 v137, v137, v145, vcc_lo
	v_cndmask_b32_e32 v136, v136, v144, vcc_lo
	v_cndmask_b32_e64 v134, v134, s0, vcc_lo
	s_add_co_i32 s0, s0, 1
	s_delay_alu instid0(SALU_CYCLE_1)
	s_cmp_lg_u32 s18, s0
	s_cbranch_scc1 .LBB126_757
.LBB126_758:
	s_wait_dscnt 0x0
	v_cmp_eq_f32_e32 vcc_lo, 0, v136
	v_cmp_eq_f32_e64 s0, 0, v137
	s_and_b32 s0, vcc_lo, s0
	s_delay_alu instid0(SALU_CYCLE_1) | instskip(NEXT) | instid1(SALU_CYCLE_1)
	s_and_saveexec_b32 s1, s0
	s_xor_b32 s0, exec_lo, s1
; %bb.759:
	v_cmp_ne_u32_e32 vcc_lo, 0, v140
	v_cndmask_b32_e32 v140, 37, v140, vcc_lo
; %bb.760:
	s_and_not1_saveexec_b32 s0, s0
	s_cbranch_execz .LBB126_766
; %bb.761:
	v_cmp_ngt_f32_e64 s1, |v136|, |v137|
	s_and_saveexec_b32 s12, s1
	s_delay_alu instid0(SALU_CYCLE_1)
	s_xor_b32 s1, exec_lo, s12
	s_cbranch_execz .LBB126_763
; %bb.762:
	v_div_scale_f32 v135, null, v137, v137, v136
	v_div_scale_f32 v145, vcc_lo, v136, v137, v136
	s_delay_alu instid0(VALU_DEP_2) | instskip(SKIP_1) | instid1(TRANS32_DEP_1)
	v_rcp_f32_e32 v143, v135
	v_nop
	v_fma_f32 v144, -v135, v143, 1.0
	s_delay_alu instid0(VALU_DEP_1) | instskip(NEXT) | instid1(VALU_DEP_1)
	v_fmac_f32_e32 v143, v144, v143
	v_mul_f32_e32 v144, v145, v143
	s_delay_alu instid0(VALU_DEP_1) | instskip(NEXT) | instid1(VALU_DEP_1)
	v_fma_f32 v146, -v135, v144, v145
	v_fmac_f32_e32 v144, v146, v143
	s_delay_alu instid0(VALU_DEP_1) | instskip(NEXT) | instid1(VALU_DEP_1)
	v_fma_f32 v135, -v135, v144, v145
	v_div_fmas_f32 v135, v135, v143, v144
	s_delay_alu instid0(VALU_DEP_1) | instskip(NEXT) | instid1(VALU_DEP_1)
	v_div_fixup_f32 v135, v135, v137, v136
	v_fmac_f32_e32 v137, v136, v135
	s_delay_alu instid0(VALU_DEP_1) | instskip(SKIP_1) | instid1(VALU_DEP_2)
	v_div_scale_f32 v136, null, v137, v137, 1.0
	v_div_scale_f32 v145, vcc_lo, 1.0, v137, 1.0
	v_rcp_f32_e32 v143, v136
	v_nop
	s_delay_alu instid0(TRANS32_DEP_1) | instskip(NEXT) | instid1(VALU_DEP_1)
	v_fma_f32 v144, -v136, v143, 1.0
	v_fmac_f32_e32 v143, v144, v143
	s_delay_alu instid0(VALU_DEP_1) | instskip(NEXT) | instid1(VALU_DEP_1)
	v_mul_f32_e32 v144, v145, v143
	v_fma_f32 v146, -v136, v144, v145
	s_delay_alu instid0(VALU_DEP_1) | instskip(NEXT) | instid1(VALU_DEP_1)
	v_fmac_f32_e32 v144, v146, v143
	v_fma_f32 v136, -v136, v144, v145
	s_delay_alu instid0(VALU_DEP_1) | instskip(NEXT) | instid1(VALU_DEP_1)
	v_div_fmas_f32 v136, v136, v143, v144
	v_div_fixup_f32 v137, v136, v137, 1.0
	s_delay_alu instid0(VALU_DEP_1)
	v_mul_f32_e32 v136, v135, v137
	v_xor_b32_e32 v137, 0x80000000, v137
.LBB126_763:
	s_and_not1_saveexec_b32 s1, s1
	s_cbranch_execz .LBB126_765
; %bb.764:
	s_delay_alu instid0(VALU_DEP_1) | instskip(SKIP_1) | instid1(VALU_DEP_2)
	v_div_scale_f32 v135, null, v136, v136, v137
	v_div_scale_f32 v145, vcc_lo, v137, v136, v137
	v_rcp_f32_e32 v143, v135
	v_nop
	s_delay_alu instid0(TRANS32_DEP_1) | instskip(NEXT) | instid1(VALU_DEP_1)
	v_fma_f32 v144, -v135, v143, 1.0
	v_fmac_f32_e32 v143, v144, v143
	s_delay_alu instid0(VALU_DEP_1) | instskip(NEXT) | instid1(VALU_DEP_1)
	v_mul_f32_e32 v144, v145, v143
	v_fma_f32 v146, -v135, v144, v145
	s_delay_alu instid0(VALU_DEP_1) | instskip(NEXT) | instid1(VALU_DEP_1)
	v_fmac_f32_e32 v144, v146, v143
	v_fma_f32 v135, -v135, v144, v145
	s_delay_alu instid0(VALU_DEP_1) | instskip(NEXT) | instid1(VALU_DEP_1)
	v_div_fmas_f32 v135, v135, v143, v144
	v_div_fixup_f32 v135, v135, v136, v137
	s_delay_alu instid0(VALU_DEP_1) | instskip(NEXT) | instid1(VALU_DEP_1)
	v_fmac_f32_e32 v136, v137, v135
	v_div_scale_f32 v137, null, v136, v136, 1.0
	s_delay_alu instid0(VALU_DEP_1) | instskip(SKIP_1) | instid1(TRANS32_DEP_1)
	v_rcp_f32_e32 v143, v137
	v_nop
	v_fma_f32 v144, -v137, v143, 1.0
	s_delay_alu instid0(VALU_DEP_1) | instskip(SKIP_1) | instid1(VALU_DEP_1)
	v_fmac_f32_e32 v143, v144, v143
	v_div_scale_f32 v144, vcc_lo, 1.0, v136, 1.0
	v_mul_f32_e32 v145, v144, v143
	s_delay_alu instid0(VALU_DEP_1) | instskip(NEXT) | instid1(VALU_DEP_1)
	v_fma_f32 v146, -v137, v145, v144
	v_fmac_f32_e32 v145, v146, v143
	s_delay_alu instid0(VALU_DEP_1) | instskip(NEXT) | instid1(VALU_DEP_1)
	v_fma_f32 v137, -v137, v145, v144
	v_div_fmas_f32 v137, v137, v143, v145
	s_delay_alu instid0(VALU_DEP_1) | instskip(NEXT) | instid1(VALU_DEP_1)
	v_div_fixup_f32 v136, v137, v136, 1.0
	v_mul_f32_e64 v137, v135, -v136
.LBB126_765:
	s_or_b32 exec_lo, exec_lo, s1
.LBB126_766:
	s_delay_alu instid0(SALU_CYCLE_1) | instskip(NEXT) | instid1(SALU_CYCLE_1)
	s_or_b32 exec_lo, exec_lo, s0
	s_mov_b32 s0, exec_lo
	v_cmpx_ne_u32_e64 v142, v134
	s_xor_b32 s0, exec_lo, s0
	s_cbranch_execz .LBB126_772
; %bb.767:
	s_mov_b32 s1, exec_lo
	v_cmpx_eq_u32_e32 36, v142
	s_cbranch_execz .LBB126_771
; %bb.768:
	v_cmp_ne_u32_e32 vcc_lo, 36, v134
	s_xor_b32 s12, s16, -1
	s_delay_alu instid0(SALU_CYCLE_1) | instskip(NEXT) | instid1(SALU_CYCLE_1)
	s_and_b32 s13, s12, vcc_lo
	s_and_saveexec_b32 s12, s13
	s_cbranch_execz .LBB126_770
; %bb.769:
	v_ashrrev_i32_e32 v135, 31, v134
	s_delay_alu instid0(VALU_DEP_1)
	v_lshl_add_u64 v[142:143], v[134:135], 2, v[4:5]
	s_clause 0x1
	global_load_b32 v135, v[142:143], off
	global_load_b32 v141, v[4:5], off offset:144
	s_wait_loadcnt 0x1
	global_store_b32 v[4:5], v135, off offset:144
	s_wait_loadcnt 0x0
	global_store_b32 v[142:143], v141, off
.LBB126_770:
	s_wait_xcnt 0x0
	s_or_b32 exec_lo, exec_lo, s12
	v_dual_mov_b32 v142, v134 :: v_dual_mov_b32 v141, v134
.LBB126_771:
	s_or_b32 exec_lo, exec_lo, s1
.LBB126_772:
	s_and_not1_saveexec_b32 s0, s0
	s_cbranch_execz .LBB126_774
; %bb.773:
	v_mov_b32_e32 v142, 36
	ds_store_2addr_b64 v138, v[70:71], v[72:73] offset0:37 offset1:38
	ds_store_2addr_b64 v138, v[22:23], v[68:69] offset0:39 offset1:40
	;; [unrolled: 1-line block ×13, first 2 shown]
	ds_store_b64 v138, v[132:133] offset:504
.LBB126_774:
	s_or_b32 exec_lo, exec_lo, s0
	s_delay_alu instid0(SALU_CYCLE_1)
	s_mov_b32 s0, exec_lo
	s_wait_storecnt_dscnt 0x0
	s_barrier_signal -1
	s_barrier_wait -1
	v_cmpx_lt_i32_e32 36, v142
	s_cbranch_execz .LBB126_776
; %bb.775:
	v_pk_mul_f32 v[144:145], v[136:137], v[74:75] op_sel:[1,1] op_sel_hi:[0,1]
	s_delay_alu instid0(VALU_DEP_1)
	v_pk_fma_f32 v[134:135], v[136:137], v[74:75], v[144:145] op_sel_hi:[1,0,1] neg_lo:[0,0,1] neg_hi:[0,0,1]
	v_pk_fma_f32 v[136:137], v[136:137], v[74:75], v[144:145] op_sel_hi:[1,0,1]
	ds_load_2addr_b64 v[144:147], v138 offset0:37 offset1:38
	v_dual_mov_b32 v74, v134 :: v_dual_mov_b32 v75, v137
	s_wait_dscnt 0x0
	v_pk_mul_f32 v[148:149], v[144:145], v[136:137] op_sel:[0,1]
	s_delay_alu instid0(VALU_DEP_1) | instskip(SKIP_1) | instid1(VALU_DEP_1)
	v_pk_fma_f32 v[150:151], v[144:145], v[134:135], v[148:149] op_sel:[0,0,1] op_sel_hi:[1,1,0] neg_lo:[0,0,1] neg_hi:[0,0,1]
	v_pk_fma_f32 v[144:145], v[144:145], v[134:135], v[148:149] op_sel:[0,0,1] op_sel_hi:[1,0,0]
	v_mov_b32_e32 v151, v145
	v_pk_mul_f32 v[144:145], v[146:147], v[136:137] op_sel:[0,1]
	s_delay_alu instid0(VALU_DEP_1) | instskip(SKIP_1) | instid1(VALU_DEP_1)
	v_pk_fma_f32 v[148:149], v[146:147], v[134:135], v[144:145] op_sel:[0,0,1] op_sel_hi:[1,1,0] neg_lo:[0,0,1] neg_hi:[0,0,1]
	v_pk_fma_f32 v[144:145], v[146:147], v[134:135], v[144:145] op_sel:[0,0,1] op_sel_hi:[1,0,0]
	v_mov_b32_e32 v149, v145
	ds_load_2addr_b64 v[144:147], v138 offset0:39 offset1:40
	v_pk_add_f32 v[70:71], v[70:71], v[150:151] neg_lo:[0,1] neg_hi:[0,1]
	v_pk_add_f32 v[72:73], v[72:73], v[148:149] neg_lo:[0,1] neg_hi:[0,1]
	s_wait_dscnt 0x0
	v_pk_mul_f32 v[148:149], v[144:145], v[136:137] op_sel:[0,1]
	s_delay_alu instid0(VALU_DEP_1) | instskip(SKIP_2) | instid1(VALU_DEP_2)
	v_pk_fma_f32 v[150:151], v[144:145], v[134:135], v[148:149] op_sel:[0,0,1] op_sel_hi:[1,1,0] neg_lo:[0,0,1] neg_hi:[0,0,1]
	v_pk_fma_f32 v[144:145], v[144:145], v[134:135], v[148:149] op_sel:[0,0,1] op_sel_hi:[1,0,0]
	v_dual_mul_f32 v148, v147, v137 :: v_dual_mov_b32 v144, v147
	v_dual_mov_b32 v151, v145 :: v_dual_mov_b32 v145, v146
	s_delay_alu instid0(VALU_DEP_2) | instskip(SKIP_1) | instid1(VALU_DEP_3)
	v_pk_fma_f32 v[148:149], v[146:147], v[74:75], v[148:149] op_sel_hi:[1,1,0] neg_lo:[0,0,1] neg_hi:[0,0,1]
	v_mul_f32_e32 v146, v147, v134
	v_pk_add_f32 v[22:23], v[22:23], v[150:151] neg_lo:[0,1] neg_hi:[0,1]
	s_delay_alu instid0(VALU_DEP_2) | instskip(NEXT) | instid1(VALU_DEP_1)
	v_pk_fma_f32 v[144:145], v[144:145], v[74:75], v[146:147] op_sel_hi:[1,1,0]
	v_mov_b32_e32 v149, v145
	ds_load_2addr_b64 v[144:147], v138 offset0:41 offset1:42
	v_pk_add_f32 v[68:69], v[68:69], v[148:149] neg_lo:[0,1] neg_hi:[0,1]
	s_wait_dscnt 0x0
	v_pk_mul_f32 v[148:149], v[144:145], v[136:137] op_sel:[0,1]
	s_delay_alu instid0(VALU_DEP_1) | instskip(SKIP_1) | instid1(VALU_DEP_1)
	v_pk_fma_f32 v[150:151], v[144:145], v[134:135], v[148:149] op_sel:[0,0,1] op_sel_hi:[1,1,0] neg_lo:[0,0,1] neg_hi:[0,0,1]
	v_pk_fma_f32 v[144:145], v[144:145], v[134:135], v[148:149] op_sel:[0,0,1] op_sel_hi:[1,0,0]
	v_mov_b32_e32 v151, v145
	v_pk_mul_f32 v[144:145], v[146:147], v[136:137] op_sel:[0,1]
	s_delay_alu instid0(VALU_DEP_1) | instskip(SKIP_1) | instid1(VALU_DEP_1)
	v_pk_fma_f32 v[148:149], v[146:147], v[134:135], v[144:145] op_sel:[0,0,1] op_sel_hi:[1,1,0] neg_lo:[0,0,1] neg_hi:[0,0,1]
	v_pk_fma_f32 v[144:145], v[146:147], v[134:135], v[144:145] op_sel:[0,0,1] op_sel_hi:[1,0,0]
	v_mov_b32_e32 v149, v145
	ds_load_2addr_b64 v[144:147], v138 offset0:43 offset1:44
	v_pk_add_f32 v[64:65], v[64:65], v[150:151] neg_lo:[0,1] neg_hi:[0,1]
	v_pk_add_f32 v[66:67], v[66:67], v[148:149] neg_lo:[0,1] neg_hi:[0,1]
	s_wait_dscnt 0x0
	v_pk_mul_f32 v[148:149], v[144:145], v[136:137] op_sel:[0,1]
	s_delay_alu instid0(VALU_DEP_1) | instskip(SKIP_1) | instid1(VALU_DEP_1)
	v_pk_fma_f32 v[150:151], v[144:145], v[134:135], v[148:149] op_sel:[0,0,1] op_sel_hi:[1,1,0] neg_lo:[0,0,1] neg_hi:[0,0,1]
	v_pk_fma_f32 v[144:145], v[144:145], v[134:135], v[148:149] op_sel:[0,0,1] op_sel_hi:[1,0,0]
	v_mov_b32_e32 v151, v145
	v_pk_mul_f32 v[144:145], v[146:147], v[136:137] op_sel:[0,1]
	s_delay_alu instid0(VALU_DEP_1) | instskip(SKIP_1) | instid1(VALU_DEP_1)
	v_pk_fma_f32 v[148:149], v[146:147], v[134:135], v[144:145] op_sel:[0,0,1] op_sel_hi:[1,1,0] neg_lo:[0,0,1] neg_hi:[0,0,1]
	v_pk_fma_f32 v[144:145], v[146:147], v[134:135], v[144:145] op_sel:[0,0,1] op_sel_hi:[1,0,0]
	v_mov_b32_e32 v149, v145
	ds_load_2addr_b64 v[144:147], v138 offset0:45 offset1:46
	v_pk_add_f32 v[18:19], v[18:19], v[150:151] neg_lo:[0,1] neg_hi:[0,1]
	v_pk_add_f32 v[60:61], v[60:61], v[148:149] neg_lo:[0,1] neg_hi:[0,1]
	s_wait_dscnt 0x0
	v_dual_mul_f32 v148, v145, v137 :: v_dual_mul_f32 v150, v145, v134
	s_delay_alu instid0(VALU_DEP_1) | instskip(NEXT) | instid1(VALU_DEP_2)
	v_pk_fma_f32 v[148:149], v[144:145], v[74:75], v[148:149] op_sel_hi:[1,1,0] neg_lo:[0,0,1] neg_hi:[0,0,1]
	v_pk_fma_f32 v[144:145], v[144:145], v[74:75], v[150:151] op_sel:[1,0,0] op_sel_hi:[0,1,0]
	s_delay_alu instid0(VALU_DEP_1) | instskip(SKIP_1) | instid1(VALU_DEP_2)
	v_mov_b32_e32 v149, v145
	v_pk_mul_f32 v[144:145], v[146:147], v[136:137] op_sel:[0,1]
	v_pk_add_f32 v[56:57], v[56:57], v[148:149] neg_lo:[0,1] neg_hi:[0,1]
	s_delay_alu instid0(VALU_DEP_2) | instskip(SKIP_1) | instid1(VALU_DEP_1)
	v_pk_fma_f32 v[148:149], v[146:147], v[134:135], v[144:145] op_sel:[0,0,1] op_sel_hi:[1,1,0] neg_lo:[0,0,1] neg_hi:[0,0,1]
	v_pk_fma_f32 v[144:145], v[146:147], v[134:135], v[144:145] op_sel:[0,0,1] op_sel_hi:[1,0,0]
	v_mov_b32_e32 v149, v145
	ds_load_2addr_b64 v[144:147], v138 offset0:47 offset1:48
	v_pk_add_f32 v[58:59], v[58:59], v[148:149] neg_lo:[0,1] neg_hi:[0,1]
	s_wait_dscnt 0x0
	v_pk_mul_f32 v[148:149], v[144:145], v[136:137] op_sel:[0,1]
	s_delay_alu instid0(VALU_DEP_1) | instskip(SKIP_1) | instid1(VALU_DEP_1)
	v_pk_fma_f32 v[150:151], v[144:145], v[134:135], v[148:149] op_sel:[0,0,1] op_sel_hi:[1,1,0] neg_lo:[0,0,1] neg_hi:[0,0,1]
	v_pk_fma_f32 v[144:145], v[144:145], v[134:135], v[148:149] op_sel:[0,0,1] op_sel_hi:[1,0,0]
	v_mov_b32_e32 v151, v145
	v_pk_mul_f32 v[144:145], v[146:147], v[136:137] op_sel:[0,1]
	s_delay_alu instid0(VALU_DEP_2) | instskip(NEXT) | instid1(VALU_DEP_2)
	v_pk_add_f32 v[12:13], v[12:13], v[150:151] neg_lo:[0,1] neg_hi:[0,1]
	v_pk_fma_f32 v[148:149], v[146:147], v[134:135], v[144:145] op_sel:[0,0,1] op_sel_hi:[1,1,0] neg_lo:[0,0,1] neg_hi:[0,0,1]
	v_pk_fma_f32 v[144:145], v[146:147], v[134:135], v[144:145] op_sel:[0,0,1] op_sel_hi:[1,0,0]
	s_delay_alu instid0(VALU_DEP_1) | instskip(SKIP_4) | instid1(VALU_DEP_1)
	v_mov_b32_e32 v149, v145
	ds_load_2addr_b64 v[144:147], v138 offset0:49 offset1:50
	v_pk_add_f32 v[54:55], v[54:55], v[148:149] neg_lo:[0,1] neg_hi:[0,1]
	s_wait_dscnt 0x0
	v_pk_mul_f32 v[148:149], v[144:145], v[136:137] op_sel:[0,1]
	v_pk_fma_f32 v[150:151], v[144:145], v[134:135], v[148:149] op_sel:[0,0,1] op_sel_hi:[1,1,0] neg_lo:[0,0,1] neg_hi:[0,0,1]
	v_pk_fma_f32 v[144:145], v[144:145], v[134:135], v[148:149] op_sel:[0,0,1] op_sel_hi:[1,0,0]
	v_dual_mul_f32 v148, v147, v137 :: v_dual_mov_b32 v144, v147
	s_delay_alu instid0(VALU_DEP_2) | instskip(NEXT) | instid1(VALU_DEP_2)
	v_dual_mov_b32 v151, v145 :: v_dual_mov_b32 v145, v146
	v_pk_fma_f32 v[148:149], v[146:147], v[74:75], v[148:149] op_sel_hi:[1,1,0] neg_lo:[0,0,1] neg_hi:[0,0,1]
	v_mul_f32_e32 v146, v147, v134
	s_delay_alu instid0(VALU_DEP_3) | instskip(NEXT) | instid1(VALU_DEP_2)
	v_pk_add_f32 v[52:53], v[52:53], v[150:151] neg_lo:[0,1] neg_hi:[0,1]
	v_pk_fma_f32 v[144:145], v[144:145], v[74:75], v[146:147] op_sel_hi:[1,1,0]
	s_delay_alu instid0(VALU_DEP_1) | instskip(SKIP_4) | instid1(VALU_DEP_1)
	v_mov_b32_e32 v149, v145
	ds_load_2addr_b64 v[144:147], v138 offset0:51 offset1:52
	v_pk_add_f32 v[62:63], v[62:63], v[148:149] neg_lo:[0,1] neg_hi:[0,1]
	s_wait_dscnt 0x0
	v_pk_mul_f32 v[148:149], v[144:145], v[136:137] op_sel:[0,1]
	v_pk_fma_f32 v[150:151], v[144:145], v[134:135], v[148:149] op_sel:[0,0,1] op_sel_hi:[1,1,0] neg_lo:[0,0,1] neg_hi:[0,0,1]
	v_pk_fma_f32 v[144:145], v[144:145], v[134:135], v[148:149] op_sel:[0,0,1] op_sel_hi:[1,0,0]
	s_delay_alu instid0(VALU_DEP_1) | instskip(SKIP_1) | instid1(VALU_DEP_1)
	v_mov_b32_e32 v151, v145
	v_pk_mul_f32 v[144:145], v[146:147], v[136:137] op_sel:[0,1]
	v_pk_fma_f32 v[148:149], v[146:147], v[134:135], v[144:145] op_sel:[0,0,1] op_sel_hi:[1,1,0] neg_lo:[0,0,1] neg_hi:[0,0,1]
	v_pk_fma_f32 v[144:145], v[146:147], v[134:135], v[144:145] op_sel:[0,0,1] op_sel_hi:[1,0,0]
	s_delay_alu instid0(VALU_DEP_1)
	v_mov_b32_e32 v149, v145
	ds_load_2addr_b64 v[144:147], v138 offset0:53 offset1:54
	v_pk_add_f32 v[16:17], v[16:17], v[150:151] neg_lo:[0,1] neg_hi:[0,1]
	v_pk_add_f32 v[48:49], v[48:49], v[148:149] neg_lo:[0,1] neg_hi:[0,1]
	s_wait_dscnt 0x0
	v_pk_mul_f32 v[148:149], v[144:145], v[136:137] op_sel:[0,1]
	s_delay_alu instid0(VALU_DEP_1) | instskip(SKIP_1) | instid1(VALU_DEP_1)
	v_pk_fma_f32 v[150:151], v[144:145], v[134:135], v[148:149] op_sel:[0,0,1] op_sel_hi:[1,1,0] neg_lo:[0,0,1] neg_hi:[0,0,1]
	v_pk_fma_f32 v[144:145], v[144:145], v[134:135], v[148:149] op_sel:[0,0,1] op_sel_hi:[1,0,0]
	v_mov_b32_e32 v151, v145
	v_pk_mul_f32 v[144:145], v[146:147], v[136:137] op_sel:[0,1]
	s_delay_alu instid0(VALU_DEP_1) | instskip(SKIP_1) | instid1(VALU_DEP_1)
	v_pk_fma_f32 v[148:149], v[146:147], v[134:135], v[144:145] op_sel:[0,0,1] op_sel_hi:[1,1,0] neg_lo:[0,0,1] neg_hi:[0,0,1]
	v_pk_fma_f32 v[144:145], v[146:147], v[134:135], v[144:145] op_sel:[0,0,1] op_sel_hi:[1,0,0]
	v_mov_b32_e32 v149, v145
	ds_load_2addr_b64 v[144:147], v138 offset0:55 offset1:56
	v_pk_add_f32 v[42:43], v[42:43], v[150:151] neg_lo:[0,1] neg_hi:[0,1]
	v_pk_add_f32 v[46:47], v[46:47], v[148:149] neg_lo:[0,1] neg_hi:[0,1]
	s_wait_dscnt 0x0
	v_dual_mul_f32 v148, v145, v137 :: v_dual_mul_f32 v150, v145, v134
	s_delay_alu instid0(VALU_DEP_1) | instskip(NEXT) | instid1(VALU_DEP_2)
	v_pk_fma_f32 v[148:149], v[144:145], v[74:75], v[148:149] op_sel_hi:[1,1,0] neg_lo:[0,0,1] neg_hi:[0,0,1]
	v_pk_fma_f32 v[144:145], v[144:145], v[74:75], v[150:151] op_sel:[1,0,0] op_sel_hi:[0,1,0]
	s_delay_alu instid0(VALU_DEP_1) | instskip(SKIP_1) | instid1(VALU_DEP_2)
	v_mov_b32_e32 v149, v145
	v_pk_mul_f32 v[144:145], v[146:147], v[136:137] op_sel:[0,1]
	v_pk_add_f32 v[8:9], v[8:9], v[148:149] neg_lo:[0,1] neg_hi:[0,1]
	s_delay_alu instid0(VALU_DEP_2) | instskip(SKIP_1) | instid1(VALU_DEP_1)
	v_pk_fma_f32 v[148:149], v[146:147], v[134:135], v[144:145] op_sel:[0,0,1] op_sel_hi:[1,1,0] neg_lo:[0,0,1] neg_hi:[0,0,1]
	v_pk_fma_f32 v[144:145], v[146:147], v[134:135], v[144:145] op_sel:[0,0,1] op_sel_hi:[1,0,0]
	v_mov_b32_e32 v149, v145
	ds_load_2addr_b64 v[144:147], v138 offset0:57 offset1:58
	v_pk_add_f32 v[32:33], v[32:33], v[148:149] neg_lo:[0,1] neg_hi:[0,1]
	s_wait_dscnt 0x0
	v_pk_mul_f32 v[148:149], v[144:145], v[136:137] op_sel:[0,1]
	s_delay_alu instid0(VALU_DEP_1) | instskip(SKIP_1) | instid1(VALU_DEP_1)
	v_pk_fma_f32 v[150:151], v[144:145], v[134:135], v[148:149] op_sel:[0,0,1] op_sel_hi:[1,1,0] neg_lo:[0,0,1] neg_hi:[0,0,1]
	v_pk_fma_f32 v[144:145], v[144:145], v[134:135], v[148:149] op_sel:[0,0,1] op_sel_hi:[1,0,0]
	v_mov_b32_e32 v151, v145
	v_pk_mul_f32 v[144:145], v[146:147], v[136:137] op_sel:[0,1]
	s_delay_alu instid0(VALU_DEP_2) | instskip(NEXT) | instid1(VALU_DEP_2)
	v_pk_add_f32 v[28:29], v[28:29], v[150:151] neg_lo:[0,1] neg_hi:[0,1]
	v_pk_fma_f32 v[148:149], v[146:147], v[134:135], v[144:145] op_sel:[0,0,1] op_sel_hi:[1,1,0] neg_lo:[0,0,1] neg_hi:[0,0,1]
	v_pk_fma_f32 v[144:145], v[146:147], v[134:135], v[144:145] op_sel:[0,0,1] op_sel_hi:[1,0,0]
	s_delay_alu instid0(VALU_DEP_1) | instskip(SKIP_4) | instid1(VALU_DEP_1)
	v_mov_b32_e32 v149, v145
	ds_load_2addr_b64 v[144:147], v138 offset0:59 offset1:60
	v_pk_add_f32 v[30:31], v[30:31], v[148:149] neg_lo:[0,1] neg_hi:[0,1]
	s_wait_dscnt 0x0
	v_pk_mul_f32 v[148:149], v[144:145], v[136:137] op_sel:[0,1]
	v_pk_fma_f32 v[150:151], v[144:145], v[134:135], v[148:149] op_sel:[0,0,1] op_sel_hi:[1,1,0] neg_lo:[0,0,1] neg_hi:[0,0,1]
	v_pk_fma_f32 v[144:145], v[144:145], v[134:135], v[148:149] op_sel:[0,0,1] op_sel_hi:[1,0,0]
	v_dual_mul_f32 v148, v147, v137 :: v_dual_mov_b32 v144, v147
	s_delay_alu instid0(VALU_DEP_2) | instskip(NEXT) | instid1(VALU_DEP_2)
	v_dual_mov_b32 v151, v145 :: v_dual_mov_b32 v145, v146
	v_pk_fma_f32 v[148:149], v[146:147], v[74:75], v[148:149] op_sel_hi:[1,1,0] neg_lo:[0,0,1] neg_hi:[0,0,1]
	v_mul_f32_e32 v146, v147, v134
	s_delay_alu instid0(VALU_DEP_3) | instskip(NEXT) | instid1(VALU_DEP_2)
	v_pk_add_f32 v[6:7], v[6:7], v[150:151] neg_lo:[0,1] neg_hi:[0,1]
	v_pk_fma_f32 v[144:145], v[144:145], v[74:75], v[146:147] op_sel_hi:[1,1,0]
	s_delay_alu instid0(VALU_DEP_1) | instskip(SKIP_4) | instid1(VALU_DEP_1)
	v_mov_b32_e32 v149, v145
	ds_load_2addr_b64 v[144:147], v138 offset0:61 offset1:62
	v_pk_add_f32 v[20:21], v[20:21], v[148:149] neg_lo:[0,1] neg_hi:[0,1]
	s_wait_dscnt 0x0
	v_pk_mul_f32 v[148:149], v[144:145], v[136:137] op_sel:[0,1]
	v_pk_fma_f32 v[150:151], v[144:145], v[134:135], v[148:149] op_sel:[0,0,1] op_sel_hi:[1,1,0] neg_lo:[0,0,1] neg_hi:[0,0,1]
	v_pk_fma_f32 v[144:145], v[144:145], v[134:135], v[148:149] op_sel:[0,0,1] op_sel_hi:[1,0,0]
	s_delay_alu instid0(VALU_DEP_1) | instskip(SKIP_1) | instid1(VALU_DEP_1)
	v_mov_b32_e32 v151, v145
	v_pk_mul_f32 v[144:145], v[146:147], v[136:137] op_sel:[0,1]
	v_pk_fma_f32 v[148:149], v[146:147], v[134:135], v[144:145] op_sel:[0,0,1] op_sel_hi:[1,1,0] neg_lo:[0,0,1] neg_hi:[0,0,1]
	v_pk_fma_f32 v[144:145], v[146:147], v[134:135], v[144:145] op_sel:[0,0,1] op_sel_hi:[1,0,0]
	s_delay_alu instid0(VALU_DEP_1)
	v_mov_b32_e32 v149, v145
	ds_load_b64 v[144:145], v138 offset:504
	v_pk_add_f32 v[14:15], v[14:15], v[150:151] neg_lo:[0,1] neg_hi:[0,1]
	v_pk_add_f32 v[10:11], v[10:11], v[148:149] neg_lo:[0,1] neg_hi:[0,1]
	s_wait_dscnt 0x0
	v_pk_mul_f32 v[136:137], v[144:145], v[136:137] op_sel:[0,1]
	s_delay_alu instid0(VALU_DEP_1) | instskip(SKIP_1) | instid1(VALU_DEP_1)
	v_pk_fma_f32 v[146:147], v[144:145], v[134:135], v[136:137] op_sel:[0,0,1] op_sel_hi:[1,1,0] neg_lo:[0,0,1] neg_hi:[0,0,1]
	v_pk_fma_f32 v[134:135], v[144:145], v[134:135], v[136:137] op_sel:[0,0,1] op_sel_hi:[1,0,0]
	v_mov_b32_e32 v147, v135
	s_delay_alu instid0(VALU_DEP_1)
	v_pk_add_f32 v[132:133], v[132:133], v[146:147] neg_lo:[0,1] neg_hi:[0,1]
.LBB126_776:
	s_or_b32 exec_lo, exec_lo, s0
	v_lshl_add_u32 v134, v142, 3, v138
	s_barrier_signal -1
	s_barrier_wait -1
	ds_store_b64 v134, v[70:71]
	s_wait_dscnt 0x0
	s_barrier_signal -1
	s_barrier_wait -1
	ds_load_b64 v[136:137], v138 offset:296
	v_mov_b32_e32 v134, 37
	s_cmp_lt_i32 s18, 39
	s_cbranch_scc1 .LBB126_779
; %bb.777:
	v_add3_u32 v135, v139, 0, 0x130
	v_mov_b32_e32 v134, 37
	s_mov_b32 s0, 38
.LBB126_778:                            ; =>This Inner Loop Header: Depth=1
	ds_load_b64 v[144:145], v135
	s_wait_dscnt 0x1
	v_cmp_gt_f32_e32 vcc_lo, 0, v136
	v_cndmask_b32_e64 v146, v136, -v136, vcc_lo
	v_cmp_gt_f32_e32 vcc_lo, 0, v137
	v_cndmask_b32_e64 v148, v137, -v137, vcc_lo
	s_wait_dscnt 0x0
	v_cmp_gt_f32_e32 vcc_lo, 0, v144
	v_cndmask_b32_e64 v147, v144, -v144, vcc_lo
	v_cmp_gt_f32_e32 vcc_lo, 0, v145
	v_cndmask_b32_e64 v149, v145, -v145, vcc_lo
	s_delay_alu instid0(VALU_DEP_1) | instskip(NEXT) | instid1(VALU_DEP_1)
	v_pk_add_f32 v[146:147], v[146:147], v[148:149]
	v_cmp_lt_f32_e32 vcc_lo, v146, v147
	v_dual_add_nc_u32 v135, 8, v135 :: v_dual_cndmask_b32 v137, v137, v145, vcc_lo
	v_cndmask_b32_e32 v136, v136, v144, vcc_lo
	v_cndmask_b32_e64 v134, v134, s0, vcc_lo
	s_add_co_i32 s0, s0, 1
	s_delay_alu instid0(SALU_CYCLE_1)
	s_cmp_lg_u32 s18, s0
	s_cbranch_scc1 .LBB126_778
.LBB126_779:
	s_wait_dscnt 0x0
	v_cmp_eq_f32_e32 vcc_lo, 0, v136
	v_cmp_eq_f32_e64 s0, 0, v137
	s_and_b32 s0, vcc_lo, s0
	s_delay_alu instid0(SALU_CYCLE_1) | instskip(NEXT) | instid1(SALU_CYCLE_1)
	s_and_saveexec_b32 s1, s0
	s_xor_b32 s0, exec_lo, s1
; %bb.780:
	v_cmp_ne_u32_e32 vcc_lo, 0, v140
	v_cndmask_b32_e32 v140, 38, v140, vcc_lo
; %bb.781:
	s_and_not1_saveexec_b32 s0, s0
	s_cbranch_execz .LBB126_787
; %bb.782:
	v_cmp_ngt_f32_e64 s1, |v136|, |v137|
	s_and_saveexec_b32 s12, s1
	s_delay_alu instid0(SALU_CYCLE_1)
	s_xor_b32 s1, exec_lo, s12
	s_cbranch_execz .LBB126_784
; %bb.783:
	v_div_scale_f32 v135, null, v137, v137, v136
	v_div_scale_f32 v145, vcc_lo, v136, v137, v136
	s_delay_alu instid0(VALU_DEP_2) | instskip(SKIP_1) | instid1(TRANS32_DEP_1)
	v_rcp_f32_e32 v143, v135
	v_nop
	v_fma_f32 v144, -v135, v143, 1.0
	s_delay_alu instid0(VALU_DEP_1) | instskip(NEXT) | instid1(VALU_DEP_1)
	v_fmac_f32_e32 v143, v144, v143
	v_mul_f32_e32 v144, v145, v143
	s_delay_alu instid0(VALU_DEP_1) | instskip(NEXT) | instid1(VALU_DEP_1)
	v_fma_f32 v146, -v135, v144, v145
	v_fmac_f32_e32 v144, v146, v143
	s_delay_alu instid0(VALU_DEP_1) | instskip(NEXT) | instid1(VALU_DEP_1)
	v_fma_f32 v135, -v135, v144, v145
	v_div_fmas_f32 v135, v135, v143, v144
	s_delay_alu instid0(VALU_DEP_1) | instskip(NEXT) | instid1(VALU_DEP_1)
	v_div_fixup_f32 v135, v135, v137, v136
	v_fmac_f32_e32 v137, v136, v135
	s_delay_alu instid0(VALU_DEP_1) | instskip(SKIP_1) | instid1(VALU_DEP_2)
	v_div_scale_f32 v136, null, v137, v137, 1.0
	v_div_scale_f32 v145, vcc_lo, 1.0, v137, 1.0
	v_rcp_f32_e32 v143, v136
	v_nop
	s_delay_alu instid0(TRANS32_DEP_1) | instskip(NEXT) | instid1(VALU_DEP_1)
	v_fma_f32 v144, -v136, v143, 1.0
	v_fmac_f32_e32 v143, v144, v143
	s_delay_alu instid0(VALU_DEP_1) | instskip(NEXT) | instid1(VALU_DEP_1)
	v_mul_f32_e32 v144, v145, v143
	v_fma_f32 v146, -v136, v144, v145
	s_delay_alu instid0(VALU_DEP_1) | instskip(NEXT) | instid1(VALU_DEP_1)
	v_fmac_f32_e32 v144, v146, v143
	v_fma_f32 v136, -v136, v144, v145
	s_delay_alu instid0(VALU_DEP_1) | instskip(NEXT) | instid1(VALU_DEP_1)
	v_div_fmas_f32 v136, v136, v143, v144
	v_div_fixup_f32 v137, v136, v137, 1.0
	s_delay_alu instid0(VALU_DEP_1)
	v_mul_f32_e32 v136, v135, v137
	v_xor_b32_e32 v137, 0x80000000, v137
.LBB126_784:
	s_and_not1_saveexec_b32 s1, s1
	s_cbranch_execz .LBB126_786
; %bb.785:
	s_delay_alu instid0(VALU_DEP_1) | instskip(SKIP_1) | instid1(VALU_DEP_2)
	v_div_scale_f32 v135, null, v136, v136, v137
	v_div_scale_f32 v145, vcc_lo, v137, v136, v137
	v_rcp_f32_e32 v143, v135
	v_nop
	s_delay_alu instid0(TRANS32_DEP_1) | instskip(NEXT) | instid1(VALU_DEP_1)
	v_fma_f32 v144, -v135, v143, 1.0
	v_fmac_f32_e32 v143, v144, v143
	s_delay_alu instid0(VALU_DEP_1) | instskip(NEXT) | instid1(VALU_DEP_1)
	v_mul_f32_e32 v144, v145, v143
	v_fma_f32 v146, -v135, v144, v145
	s_delay_alu instid0(VALU_DEP_1) | instskip(NEXT) | instid1(VALU_DEP_1)
	v_fmac_f32_e32 v144, v146, v143
	v_fma_f32 v135, -v135, v144, v145
	s_delay_alu instid0(VALU_DEP_1) | instskip(NEXT) | instid1(VALU_DEP_1)
	v_div_fmas_f32 v135, v135, v143, v144
	v_div_fixup_f32 v135, v135, v136, v137
	s_delay_alu instid0(VALU_DEP_1) | instskip(NEXT) | instid1(VALU_DEP_1)
	v_fmac_f32_e32 v136, v137, v135
	v_div_scale_f32 v137, null, v136, v136, 1.0
	s_delay_alu instid0(VALU_DEP_1) | instskip(SKIP_1) | instid1(TRANS32_DEP_1)
	v_rcp_f32_e32 v143, v137
	v_nop
	v_fma_f32 v144, -v137, v143, 1.0
	s_delay_alu instid0(VALU_DEP_1) | instskip(SKIP_1) | instid1(VALU_DEP_1)
	v_fmac_f32_e32 v143, v144, v143
	v_div_scale_f32 v144, vcc_lo, 1.0, v136, 1.0
	v_mul_f32_e32 v145, v144, v143
	s_delay_alu instid0(VALU_DEP_1) | instskip(NEXT) | instid1(VALU_DEP_1)
	v_fma_f32 v146, -v137, v145, v144
	v_fmac_f32_e32 v145, v146, v143
	s_delay_alu instid0(VALU_DEP_1) | instskip(NEXT) | instid1(VALU_DEP_1)
	v_fma_f32 v137, -v137, v145, v144
	v_div_fmas_f32 v137, v137, v143, v145
	s_delay_alu instid0(VALU_DEP_1) | instskip(NEXT) | instid1(VALU_DEP_1)
	v_div_fixup_f32 v136, v137, v136, 1.0
	v_mul_f32_e64 v137, v135, -v136
.LBB126_786:
	s_or_b32 exec_lo, exec_lo, s1
.LBB126_787:
	s_delay_alu instid0(SALU_CYCLE_1) | instskip(NEXT) | instid1(SALU_CYCLE_1)
	s_or_b32 exec_lo, exec_lo, s0
	s_mov_b32 s0, exec_lo
	v_cmpx_ne_u32_e64 v142, v134
	s_xor_b32 s0, exec_lo, s0
	s_cbranch_execz .LBB126_793
; %bb.788:
	s_mov_b32 s1, exec_lo
	v_cmpx_eq_u32_e32 37, v142
	s_cbranch_execz .LBB126_792
; %bb.789:
	v_cmp_ne_u32_e32 vcc_lo, 37, v134
	s_xor_b32 s12, s16, -1
	s_delay_alu instid0(SALU_CYCLE_1) | instskip(NEXT) | instid1(SALU_CYCLE_1)
	s_and_b32 s13, s12, vcc_lo
	s_and_saveexec_b32 s12, s13
	s_cbranch_execz .LBB126_791
; %bb.790:
	v_ashrrev_i32_e32 v135, 31, v134
	s_delay_alu instid0(VALU_DEP_1)
	v_lshl_add_u64 v[142:143], v[134:135], 2, v[4:5]
	s_clause 0x1
	global_load_b32 v135, v[142:143], off
	global_load_b32 v141, v[4:5], off offset:148
	s_wait_loadcnt 0x1
	global_store_b32 v[4:5], v135, off offset:148
	s_wait_loadcnt 0x0
	global_store_b32 v[142:143], v141, off
.LBB126_791:
	s_wait_xcnt 0x0
	s_or_b32 exec_lo, exec_lo, s12
	v_dual_mov_b32 v142, v134 :: v_dual_mov_b32 v141, v134
.LBB126_792:
	s_or_b32 exec_lo, exec_lo, s1
.LBB126_793:
	s_and_not1_saveexec_b32 s0, s0
	s_cbranch_execz .LBB126_795
; %bb.794:
	v_dual_mov_b32 v134, v72 :: v_dual_mov_b32 v135, v73
	v_dual_mov_b32 v142, v22 :: v_dual_mov_b32 v143, v23
	ds_store_2addr_b64 v138, v[134:135], v[142:143] offset0:38 offset1:39
	v_dual_mov_b32 v134, v68 :: v_dual_mov_b32 v135, v69
	v_dual_mov_b32 v142, v64 :: v_dual_mov_b32 v143, v65
	ds_store_2addr_b64 v138, v[134:135], v[142:143] offset0:40 offset1:41
	;; [unrolled: 3-line block ×12, first 2 shown]
	v_dual_mov_b32 v134, v10 :: v_dual_mov_b32 v135, v11
	v_mov_b32_e32 v142, 37
	ds_store_2addr_b64 v138, v[134:135], v[132:133] offset0:62 offset1:63
.LBB126_795:
	s_or_b32 exec_lo, exec_lo, s0
	s_delay_alu instid0(SALU_CYCLE_1)
	s_mov_b32 s0, exec_lo
	s_wait_storecnt_dscnt 0x0
	s_barrier_signal -1
	s_barrier_wait -1
	v_cmpx_lt_i32_e32 37, v142
	s_cbranch_execz .LBB126_797
; %bb.796:
	v_pk_mul_f32 v[144:145], v[136:137], v[70:71] op_sel:[1,1] op_sel_hi:[0,1]
	s_delay_alu instid0(VALU_DEP_1)
	v_pk_fma_f32 v[134:135], v[136:137], v[70:71], v[144:145] op_sel_hi:[1,0,1] neg_lo:[0,0,1] neg_hi:[0,0,1]
	v_pk_fma_f32 v[136:137], v[136:137], v[70:71], v[144:145] op_sel_hi:[1,0,1]
	ds_load_2addr_b64 v[144:147], v138 offset0:38 offset1:39
	v_dual_mov_b32 v70, v134 :: v_dual_mov_b32 v71, v137
	s_wait_dscnt 0x0
	v_pk_mul_f32 v[148:149], v[144:145], v[136:137] op_sel:[0,1]
	s_delay_alu instid0(VALU_DEP_1) | instskip(SKIP_1) | instid1(VALU_DEP_1)
	v_pk_fma_f32 v[150:151], v[144:145], v[134:135], v[148:149] op_sel:[0,0,1] op_sel_hi:[1,1,0] neg_lo:[0,0,1] neg_hi:[0,0,1]
	v_pk_fma_f32 v[144:145], v[144:145], v[134:135], v[148:149] op_sel:[0,0,1] op_sel_hi:[1,0,0]
	v_mov_b32_e32 v151, v145
	v_pk_mul_f32 v[144:145], v[146:147], v[136:137] op_sel:[0,1]
	s_delay_alu instid0(VALU_DEP_1) | instskip(SKIP_1) | instid1(VALU_DEP_1)
	v_pk_fma_f32 v[148:149], v[146:147], v[134:135], v[144:145] op_sel:[0,0,1] op_sel_hi:[1,1,0] neg_lo:[0,0,1] neg_hi:[0,0,1]
	v_pk_fma_f32 v[144:145], v[146:147], v[134:135], v[144:145] op_sel:[0,0,1] op_sel_hi:[1,0,0]
	v_mov_b32_e32 v149, v145
	ds_load_2addr_b64 v[144:147], v138 offset0:40 offset1:41
	v_pk_add_f32 v[72:73], v[72:73], v[150:151] neg_lo:[0,1] neg_hi:[0,1]
	v_pk_add_f32 v[22:23], v[22:23], v[148:149] neg_lo:[0,1] neg_hi:[0,1]
	s_wait_dscnt 0x0
	v_pk_mul_f32 v[148:149], v[144:145], v[136:137] op_sel:[0,1]
	s_delay_alu instid0(VALU_DEP_1) | instskip(SKIP_2) | instid1(VALU_DEP_2)
	v_pk_fma_f32 v[150:151], v[144:145], v[134:135], v[148:149] op_sel:[0,0,1] op_sel_hi:[1,1,0] neg_lo:[0,0,1] neg_hi:[0,0,1]
	v_pk_fma_f32 v[144:145], v[144:145], v[134:135], v[148:149] op_sel:[0,0,1] op_sel_hi:[1,0,0]
	v_dual_mul_f32 v148, v147, v137 :: v_dual_mov_b32 v144, v147
	v_dual_mov_b32 v151, v145 :: v_dual_mov_b32 v145, v146
	s_delay_alu instid0(VALU_DEP_2) | instskip(SKIP_1) | instid1(VALU_DEP_3)
	v_pk_fma_f32 v[148:149], v[146:147], v[70:71], v[148:149] op_sel_hi:[1,1,0] neg_lo:[0,0,1] neg_hi:[0,0,1]
	v_mul_f32_e32 v146, v147, v134
	v_pk_add_f32 v[68:69], v[68:69], v[150:151] neg_lo:[0,1] neg_hi:[0,1]
	s_delay_alu instid0(VALU_DEP_2) | instskip(NEXT) | instid1(VALU_DEP_1)
	v_pk_fma_f32 v[144:145], v[144:145], v[70:71], v[146:147] op_sel_hi:[1,1,0]
	v_mov_b32_e32 v149, v145
	ds_load_2addr_b64 v[144:147], v138 offset0:42 offset1:43
	v_pk_add_f32 v[64:65], v[64:65], v[148:149] neg_lo:[0,1] neg_hi:[0,1]
	s_wait_dscnt 0x0
	v_pk_mul_f32 v[148:149], v[144:145], v[136:137] op_sel:[0,1]
	s_delay_alu instid0(VALU_DEP_1) | instskip(SKIP_1) | instid1(VALU_DEP_1)
	v_pk_fma_f32 v[150:151], v[144:145], v[134:135], v[148:149] op_sel:[0,0,1] op_sel_hi:[1,1,0] neg_lo:[0,0,1] neg_hi:[0,0,1]
	v_pk_fma_f32 v[144:145], v[144:145], v[134:135], v[148:149] op_sel:[0,0,1] op_sel_hi:[1,0,0]
	v_mov_b32_e32 v151, v145
	v_pk_mul_f32 v[144:145], v[146:147], v[136:137] op_sel:[0,1]
	s_delay_alu instid0(VALU_DEP_1) | instskip(SKIP_1) | instid1(VALU_DEP_1)
	v_pk_fma_f32 v[148:149], v[146:147], v[134:135], v[144:145] op_sel:[0,0,1] op_sel_hi:[1,1,0] neg_lo:[0,0,1] neg_hi:[0,0,1]
	v_pk_fma_f32 v[144:145], v[146:147], v[134:135], v[144:145] op_sel:[0,0,1] op_sel_hi:[1,0,0]
	v_mov_b32_e32 v149, v145
	ds_load_2addr_b64 v[144:147], v138 offset0:44 offset1:45
	v_pk_add_f32 v[66:67], v[66:67], v[150:151] neg_lo:[0,1] neg_hi:[0,1]
	v_pk_add_f32 v[18:19], v[18:19], v[148:149] neg_lo:[0,1] neg_hi:[0,1]
	s_wait_dscnt 0x0
	v_pk_mul_f32 v[148:149], v[144:145], v[136:137] op_sel:[0,1]
	s_delay_alu instid0(VALU_DEP_1) | instskip(SKIP_1) | instid1(VALU_DEP_1)
	v_pk_fma_f32 v[150:151], v[144:145], v[134:135], v[148:149] op_sel:[0,0,1] op_sel_hi:[1,1,0] neg_lo:[0,0,1] neg_hi:[0,0,1]
	v_pk_fma_f32 v[144:145], v[144:145], v[134:135], v[148:149] op_sel:[0,0,1] op_sel_hi:[1,0,0]
	v_mov_b32_e32 v151, v145
	v_pk_mul_f32 v[144:145], v[146:147], v[136:137] op_sel:[0,1]
	s_delay_alu instid0(VALU_DEP_1) | instskip(SKIP_1) | instid1(VALU_DEP_1)
	v_pk_fma_f32 v[148:149], v[146:147], v[134:135], v[144:145] op_sel:[0,0,1] op_sel_hi:[1,1,0] neg_lo:[0,0,1] neg_hi:[0,0,1]
	v_pk_fma_f32 v[144:145], v[146:147], v[134:135], v[144:145] op_sel:[0,0,1] op_sel_hi:[1,0,0]
	v_mov_b32_e32 v149, v145
	ds_load_2addr_b64 v[144:147], v138 offset0:46 offset1:47
	v_pk_add_f32 v[60:61], v[60:61], v[150:151] neg_lo:[0,1] neg_hi:[0,1]
	v_pk_add_f32 v[56:57], v[56:57], v[148:149] neg_lo:[0,1] neg_hi:[0,1]
	s_wait_dscnt 0x0
	v_dual_mul_f32 v148, v145, v137 :: v_dual_mul_f32 v150, v145, v134
	s_delay_alu instid0(VALU_DEP_1) | instskip(NEXT) | instid1(VALU_DEP_2)
	v_pk_fma_f32 v[148:149], v[144:145], v[70:71], v[148:149] op_sel_hi:[1,1,0] neg_lo:[0,0,1] neg_hi:[0,0,1]
	v_pk_fma_f32 v[144:145], v[144:145], v[70:71], v[150:151] op_sel:[1,0,0] op_sel_hi:[0,1,0]
	s_delay_alu instid0(VALU_DEP_1) | instskip(SKIP_1) | instid1(VALU_DEP_2)
	v_mov_b32_e32 v149, v145
	v_pk_mul_f32 v[144:145], v[146:147], v[136:137] op_sel:[0,1]
	v_pk_add_f32 v[58:59], v[58:59], v[148:149] neg_lo:[0,1] neg_hi:[0,1]
	s_delay_alu instid0(VALU_DEP_2) | instskip(SKIP_1) | instid1(VALU_DEP_1)
	v_pk_fma_f32 v[148:149], v[146:147], v[134:135], v[144:145] op_sel:[0,0,1] op_sel_hi:[1,1,0] neg_lo:[0,0,1] neg_hi:[0,0,1]
	v_pk_fma_f32 v[144:145], v[146:147], v[134:135], v[144:145] op_sel:[0,0,1] op_sel_hi:[1,0,0]
	v_mov_b32_e32 v149, v145
	ds_load_2addr_b64 v[144:147], v138 offset0:48 offset1:49
	v_pk_add_f32 v[12:13], v[12:13], v[148:149] neg_lo:[0,1] neg_hi:[0,1]
	s_wait_dscnt 0x0
	v_pk_mul_f32 v[148:149], v[144:145], v[136:137] op_sel:[0,1]
	s_delay_alu instid0(VALU_DEP_1) | instskip(SKIP_1) | instid1(VALU_DEP_1)
	v_pk_fma_f32 v[150:151], v[144:145], v[134:135], v[148:149] op_sel:[0,0,1] op_sel_hi:[1,1,0] neg_lo:[0,0,1] neg_hi:[0,0,1]
	v_pk_fma_f32 v[144:145], v[144:145], v[134:135], v[148:149] op_sel:[0,0,1] op_sel_hi:[1,0,0]
	v_mov_b32_e32 v151, v145
	v_pk_mul_f32 v[144:145], v[146:147], v[136:137] op_sel:[0,1]
	s_delay_alu instid0(VALU_DEP_2) | instskip(NEXT) | instid1(VALU_DEP_2)
	v_pk_add_f32 v[54:55], v[54:55], v[150:151] neg_lo:[0,1] neg_hi:[0,1]
	v_pk_fma_f32 v[148:149], v[146:147], v[134:135], v[144:145] op_sel:[0,0,1] op_sel_hi:[1,1,0] neg_lo:[0,0,1] neg_hi:[0,0,1]
	v_pk_fma_f32 v[144:145], v[146:147], v[134:135], v[144:145] op_sel:[0,0,1] op_sel_hi:[1,0,0]
	s_delay_alu instid0(VALU_DEP_1) | instskip(SKIP_4) | instid1(VALU_DEP_1)
	v_mov_b32_e32 v149, v145
	ds_load_2addr_b64 v[144:147], v138 offset0:50 offset1:51
	v_pk_add_f32 v[52:53], v[52:53], v[148:149] neg_lo:[0,1] neg_hi:[0,1]
	s_wait_dscnt 0x0
	v_pk_mul_f32 v[148:149], v[144:145], v[136:137] op_sel:[0,1]
	v_pk_fma_f32 v[150:151], v[144:145], v[134:135], v[148:149] op_sel:[0,0,1] op_sel_hi:[1,1,0] neg_lo:[0,0,1] neg_hi:[0,0,1]
	v_pk_fma_f32 v[144:145], v[144:145], v[134:135], v[148:149] op_sel:[0,0,1] op_sel_hi:[1,0,0]
	v_dual_mul_f32 v148, v147, v137 :: v_dual_mov_b32 v144, v147
	s_delay_alu instid0(VALU_DEP_2) | instskip(NEXT) | instid1(VALU_DEP_2)
	v_dual_mov_b32 v151, v145 :: v_dual_mov_b32 v145, v146
	v_pk_fma_f32 v[148:149], v[146:147], v[70:71], v[148:149] op_sel_hi:[1,1,0] neg_lo:[0,0,1] neg_hi:[0,0,1]
	v_mul_f32_e32 v146, v147, v134
	s_delay_alu instid0(VALU_DEP_3) | instskip(NEXT) | instid1(VALU_DEP_2)
	v_pk_add_f32 v[62:63], v[62:63], v[150:151] neg_lo:[0,1] neg_hi:[0,1]
	v_pk_fma_f32 v[144:145], v[144:145], v[70:71], v[146:147] op_sel_hi:[1,1,0]
	s_delay_alu instid0(VALU_DEP_1) | instskip(SKIP_4) | instid1(VALU_DEP_1)
	v_mov_b32_e32 v149, v145
	ds_load_2addr_b64 v[144:147], v138 offset0:52 offset1:53
	v_pk_add_f32 v[16:17], v[16:17], v[148:149] neg_lo:[0,1] neg_hi:[0,1]
	s_wait_dscnt 0x0
	v_pk_mul_f32 v[148:149], v[144:145], v[136:137] op_sel:[0,1]
	v_pk_fma_f32 v[150:151], v[144:145], v[134:135], v[148:149] op_sel:[0,0,1] op_sel_hi:[1,1,0] neg_lo:[0,0,1] neg_hi:[0,0,1]
	v_pk_fma_f32 v[144:145], v[144:145], v[134:135], v[148:149] op_sel:[0,0,1] op_sel_hi:[1,0,0]
	s_delay_alu instid0(VALU_DEP_1) | instskip(SKIP_1) | instid1(VALU_DEP_1)
	v_mov_b32_e32 v151, v145
	v_pk_mul_f32 v[144:145], v[146:147], v[136:137] op_sel:[0,1]
	v_pk_fma_f32 v[148:149], v[146:147], v[134:135], v[144:145] op_sel:[0,0,1] op_sel_hi:[1,1,0] neg_lo:[0,0,1] neg_hi:[0,0,1]
	v_pk_fma_f32 v[144:145], v[146:147], v[134:135], v[144:145] op_sel:[0,0,1] op_sel_hi:[1,0,0]
	s_delay_alu instid0(VALU_DEP_1)
	v_mov_b32_e32 v149, v145
	ds_load_2addr_b64 v[144:147], v138 offset0:54 offset1:55
	v_pk_add_f32 v[48:49], v[48:49], v[150:151] neg_lo:[0,1] neg_hi:[0,1]
	v_pk_add_f32 v[42:43], v[42:43], v[148:149] neg_lo:[0,1] neg_hi:[0,1]
	s_wait_dscnt 0x0
	v_pk_mul_f32 v[148:149], v[144:145], v[136:137] op_sel:[0,1]
	s_delay_alu instid0(VALU_DEP_1) | instskip(SKIP_1) | instid1(VALU_DEP_1)
	v_pk_fma_f32 v[150:151], v[144:145], v[134:135], v[148:149] op_sel:[0,0,1] op_sel_hi:[1,1,0] neg_lo:[0,0,1] neg_hi:[0,0,1]
	v_pk_fma_f32 v[144:145], v[144:145], v[134:135], v[148:149] op_sel:[0,0,1] op_sel_hi:[1,0,0]
	v_mov_b32_e32 v151, v145
	v_pk_mul_f32 v[144:145], v[146:147], v[136:137] op_sel:[0,1]
	s_delay_alu instid0(VALU_DEP_1) | instskip(SKIP_1) | instid1(VALU_DEP_1)
	v_pk_fma_f32 v[148:149], v[146:147], v[134:135], v[144:145] op_sel:[0,0,1] op_sel_hi:[1,1,0] neg_lo:[0,0,1] neg_hi:[0,0,1]
	v_pk_fma_f32 v[144:145], v[146:147], v[134:135], v[144:145] op_sel:[0,0,1] op_sel_hi:[1,0,0]
	v_mov_b32_e32 v149, v145
	ds_load_2addr_b64 v[144:147], v138 offset0:56 offset1:57
	v_pk_add_f32 v[46:47], v[46:47], v[150:151] neg_lo:[0,1] neg_hi:[0,1]
	v_pk_add_f32 v[8:9], v[8:9], v[148:149] neg_lo:[0,1] neg_hi:[0,1]
	s_wait_dscnt 0x0
	v_dual_mul_f32 v148, v145, v137 :: v_dual_mul_f32 v150, v145, v134
	s_delay_alu instid0(VALU_DEP_1) | instskip(NEXT) | instid1(VALU_DEP_2)
	v_pk_fma_f32 v[148:149], v[144:145], v[70:71], v[148:149] op_sel_hi:[1,1,0] neg_lo:[0,0,1] neg_hi:[0,0,1]
	v_pk_fma_f32 v[144:145], v[144:145], v[70:71], v[150:151] op_sel:[1,0,0] op_sel_hi:[0,1,0]
	s_delay_alu instid0(VALU_DEP_1) | instskip(SKIP_1) | instid1(VALU_DEP_2)
	v_mov_b32_e32 v149, v145
	v_pk_mul_f32 v[144:145], v[146:147], v[136:137] op_sel:[0,1]
	v_pk_add_f32 v[32:33], v[32:33], v[148:149] neg_lo:[0,1] neg_hi:[0,1]
	s_delay_alu instid0(VALU_DEP_2) | instskip(SKIP_1) | instid1(VALU_DEP_1)
	v_pk_fma_f32 v[148:149], v[146:147], v[134:135], v[144:145] op_sel:[0,0,1] op_sel_hi:[1,1,0] neg_lo:[0,0,1] neg_hi:[0,0,1]
	v_pk_fma_f32 v[144:145], v[146:147], v[134:135], v[144:145] op_sel:[0,0,1] op_sel_hi:[1,0,0]
	v_mov_b32_e32 v149, v145
	ds_load_2addr_b64 v[144:147], v138 offset0:58 offset1:59
	v_pk_add_f32 v[28:29], v[28:29], v[148:149] neg_lo:[0,1] neg_hi:[0,1]
	s_wait_dscnt 0x0
	v_pk_mul_f32 v[148:149], v[144:145], v[136:137] op_sel:[0,1]
	s_delay_alu instid0(VALU_DEP_1) | instskip(SKIP_1) | instid1(VALU_DEP_1)
	v_pk_fma_f32 v[150:151], v[144:145], v[134:135], v[148:149] op_sel:[0,0,1] op_sel_hi:[1,1,0] neg_lo:[0,0,1] neg_hi:[0,0,1]
	v_pk_fma_f32 v[144:145], v[144:145], v[134:135], v[148:149] op_sel:[0,0,1] op_sel_hi:[1,0,0]
	v_mov_b32_e32 v151, v145
	v_pk_mul_f32 v[144:145], v[146:147], v[136:137] op_sel:[0,1]
	s_delay_alu instid0(VALU_DEP_2) | instskip(NEXT) | instid1(VALU_DEP_2)
	v_pk_add_f32 v[30:31], v[30:31], v[150:151] neg_lo:[0,1] neg_hi:[0,1]
	v_pk_fma_f32 v[148:149], v[146:147], v[134:135], v[144:145] op_sel:[0,0,1] op_sel_hi:[1,1,0] neg_lo:[0,0,1] neg_hi:[0,0,1]
	v_pk_fma_f32 v[144:145], v[146:147], v[134:135], v[144:145] op_sel:[0,0,1] op_sel_hi:[1,0,0]
	s_delay_alu instid0(VALU_DEP_1) | instskip(SKIP_4) | instid1(VALU_DEP_1)
	v_mov_b32_e32 v149, v145
	ds_load_2addr_b64 v[144:147], v138 offset0:60 offset1:61
	v_pk_add_f32 v[6:7], v[6:7], v[148:149] neg_lo:[0,1] neg_hi:[0,1]
	s_wait_dscnt 0x0
	v_pk_mul_f32 v[148:149], v[144:145], v[136:137] op_sel:[0,1]
	v_pk_fma_f32 v[150:151], v[144:145], v[134:135], v[148:149] op_sel:[0,0,1] op_sel_hi:[1,1,0] neg_lo:[0,0,1] neg_hi:[0,0,1]
	v_pk_fma_f32 v[144:145], v[144:145], v[134:135], v[148:149] op_sel:[0,0,1] op_sel_hi:[1,0,0]
	v_dual_mul_f32 v148, v147, v137 :: v_dual_mov_b32 v144, v147
	s_delay_alu instid0(VALU_DEP_2) | instskip(NEXT) | instid1(VALU_DEP_2)
	v_dual_mov_b32 v151, v145 :: v_dual_mov_b32 v145, v146
	v_pk_fma_f32 v[148:149], v[146:147], v[70:71], v[148:149] op_sel_hi:[1,1,0] neg_lo:[0,0,1] neg_hi:[0,0,1]
	v_mul_f32_e32 v146, v147, v134
	s_delay_alu instid0(VALU_DEP_3) | instskip(NEXT) | instid1(VALU_DEP_2)
	v_pk_add_f32 v[20:21], v[20:21], v[150:151] neg_lo:[0,1] neg_hi:[0,1]
	v_pk_fma_f32 v[144:145], v[144:145], v[70:71], v[146:147] op_sel_hi:[1,1,0]
	s_delay_alu instid0(VALU_DEP_1)
	v_mov_b32_e32 v149, v145
	ds_load_2addr_b64 v[144:147], v138 offset0:62 offset1:63
	v_pk_add_f32 v[14:15], v[14:15], v[148:149] neg_lo:[0,1] neg_hi:[0,1]
	s_wait_dscnt 0x0
	v_pk_mul_f32 v[148:149], v[144:145], v[136:137] op_sel:[0,1]
	v_pk_mul_f32 v[136:137], v[146:147], v[136:137] op_sel:[0,1]
	s_delay_alu instid0(VALU_DEP_2) | instskip(SKIP_1) | instid1(VALU_DEP_1)
	v_pk_fma_f32 v[150:151], v[144:145], v[134:135], v[148:149] op_sel:[0,0,1] op_sel_hi:[1,1,0] neg_lo:[0,0,1] neg_hi:[0,0,1]
	v_pk_fma_f32 v[144:145], v[144:145], v[134:135], v[148:149] op_sel:[0,0,1] op_sel_hi:[1,0,0]
	v_mov_b32_e32 v151, v145
	s_delay_alu instid0(VALU_DEP_4) | instskip(SKIP_1) | instid1(VALU_DEP_1)
	v_pk_fma_f32 v[144:145], v[146:147], v[134:135], v[136:137] op_sel:[0,0,1] op_sel_hi:[1,1,0] neg_lo:[0,0,1] neg_hi:[0,0,1]
	v_pk_fma_f32 v[134:135], v[146:147], v[134:135], v[136:137] op_sel:[0,0,1] op_sel_hi:[1,0,0]
	v_mov_b32_e32 v145, v135
	s_delay_alu instid0(VALU_DEP_4) | instskip(NEXT) | instid1(VALU_DEP_2)
	v_pk_add_f32 v[10:11], v[10:11], v[150:151] neg_lo:[0,1] neg_hi:[0,1]
	v_pk_add_f32 v[132:133], v[132:133], v[144:145] neg_lo:[0,1] neg_hi:[0,1]
.LBB126_797:
	s_or_b32 exec_lo, exec_lo, s0
	v_lshl_add_u32 v134, v142, 3, v138
	s_barrier_signal -1
	s_barrier_wait -1
	ds_store_b64 v134, v[72:73]
	s_wait_dscnt 0x0
	s_barrier_signal -1
	s_barrier_wait -1
	ds_load_b64 v[136:137], v138 offset:304
	v_mov_b32_e32 v134, 38
	s_cmp_lt_i32 s18, 40
	s_cbranch_scc1 .LBB126_800
; %bb.798:
	v_add3_u32 v135, v139, 0, 0x138
	v_mov_b32_e32 v134, 38
	s_mov_b32 s0, 39
.LBB126_799:                            ; =>This Inner Loop Header: Depth=1
	ds_load_b64 v[144:145], v135
	s_wait_dscnt 0x1
	v_cmp_gt_f32_e32 vcc_lo, 0, v136
	v_cndmask_b32_e64 v146, v136, -v136, vcc_lo
	v_cmp_gt_f32_e32 vcc_lo, 0, v137
	v_cndmask_b32_e64 v148, v137, -v137, vcc_lo
	s_wait_dscnt 0x0
	v_cmp_gt_f32_e32 vcc_lo, 0, v144
	v_cndmask_b32_e64 v147, v144, -v144, vcc_lo
	v_cmp_gt_f32_e32 vcc_lo, 0, v145
	v_cndmask_b32_e64 v149, v145, -v145, vcc_lo
	s_delay_alu instid0(VALU_DEP_1) | instskip(NEXT) | instid1(VALU_DEP_1)
	v_pk_add_f32 v[146:147], v[146:147], v[148:149]
	v_cmp_lt_f32_e32 vcc_lo, v146, v147
	v_dual_add_nc_u32 v135, 8, v135 :: v_dual_cndmask_b32 v137, v137, v145, vcc_lo
	v_cndmask_b32_e32 v136, v136, v144, vcc_lo
	v_cndmask_b32_e64 v134, v134, s0, vcc_lo
	s_add_co_i32 s0, s0, 1
	s_delay_alu instid0(SALU_CYCLE_1)
	s_cmp_lg_u32 s18, s0
	s_cbranch_scc1 .LBB126_799
.LBB126_800:
	s_wait_dscnt 0x0
	v_cmp_eq_f32_e32 vcc_lo, 0, v136
	v_cmp_eq_f32_e64 s0, 0, v137
	s_and_b32 s0, vcc_lo, s0
	s_delay_alu instid0(SALU_CYCLE_1) | instskip(NEXT) | instid1(SALU_CYCLE_1)
	s_and_saveexec_b32 s1, s0
	s_xor_b32 s0, exec_lo, s1
; %bb.801:
	v_cmp_ne_u32_e32 vcc_lo, 0, v140
	v_cndmask_b32_e32 v140, 39, v140, vcc_lo
; %bb.802:
	s_and_not1_saveexec_b32 s0, s0
	s_cbranch_execz .LBB126_808
; %bb.803:
	v_cmp_ngt_f32_e64 s1, |v136|, |v137|
	s_and_saveexec_b32 s12, s1
	s_delay_alu instid0(SALU_CYCLE_1)
	s_xor_b32 s1, exec_lo, s12
	s_cbranch_execz .LBB126_805
; %bb.804:
	v_div_scale_f32 v135, null, v137, v137, v136
	v_div_scale_f32 v145, vcc_lo, v136, v137, v136
	s_delay_alu instid0(VALU_DEP_2) | instskip(SKIP_1) | instid1(TRANS32_DEP_1)
	v_rcp_f32_e32 v143, v135
	v_nop
	v_fma_f32 v144, -v135, v143, 1.0
	s_delay_alu instid0(VALU_DEP_1) | instskip(NEXT) | instid1(VALU_DEP_1)
	v_fmac_f32_e32 v143, v144, v143
	v_mul_f32_e32 v144, v145, v143
	s_delay_alu instid0(VALU_DEP_1) | instskip(NEXT) | instid1(VALU_DEP_1)
	v_fma_f32 v146, -v135, v144, v145
	v_fmac_f32_e32 v144, v146, v143
	s_delay_alu instid0(VALU_DEP_1) | instskip(NEXT) | instid1(VALU_DEP_1)
	v_fma_f32 v135, -v135, v144, v145
	v_div_fmas_f32 v135, v135, v143, v144
	s_delay_alu instid0(VALU_DEP_1) | instskip(NEXT) | instid1(VALU_DEP_1)
	v_div_fixup_f32 v135, v135, v137, v136
	v_fmac_f32_e32 v137, v136, v135
	s_delay_alu instid0(VALU_DEP_1) | instskip(SKIP_1) | instid1(VALU_DEP_2)
	v_div_scale_f32 v136, null, v137, v137, 1.0
	v_div_scale_f32 v145, vcc_lo, 1.0, v137, 1.0
	v_rcp_f32_e32 v143, v136
	v_nop
	s_delay_alu instid0(TRANS32_DEP_1) | instskip(NEXT) | instid1(VALU_DEP_1)
	v_fma_f32 v144, -v136, v143, 1.0
	v_fmac_f32_e32 v143, v144, v143
	s_delay_alu instid0(VALU_DEP_1) | instskip(NEXT) | instid1(VALU_DEP_1)
	v_mul_f32_e32 v144, v145, v143
	v_fma_f32 v146, -v136, v144, v145
	s_delay_alu instid0(VALU_DEP_1) | instskip(NEXT) | instid1(VALU_DEP_1)
	v_fmac_f32_e32 v144, v146, v143
	v_fma_f32 v136, -v136, v144, v145
	s_delay_alu instid0(VALU_DEP_1) | instskip(NEXT) | instid1(VALU_DEP_1)
	v_div_fmas_f32 v136, v136, v143, v144
	v_div_fixup_f32 v137, v136, v137, 1.0
	s_delay_alu instid0(VALU_DEP_1)
	v_mul_f32_e32 v136, v135, v137
	v_xor_b32_e32 v137, 0x80000000, v137
.LBB126_805:
	s_and_not1_saveexec_b32 s1, s1
	s_cbranch_execz .LBB126_807
; %bb.806:
	s_delay_alu instid0(VALU_DEP_1) | instskip(SKIP_1) | instid1(VALU_DEP_2)
	v_div_scale_f32 v135, null, v136, v136, v137
	v_div_scale_f32 v145, vcc_lo, v137, v136, v137
	v_rcp_f32_e32 v143, v135
	v_nop
	s_delay_alu instid0(TRANS32_DEP_1) | instskip(NEXT) | instid1(VALU_DEP_1)
	v_fma_f32 v144, -v135, v143, 1.0
	v_fmac_f32_e32 v143, v144, v143
	s_delay_alu instid0(VALU_DEP_1) | instskip(NEXT) | instid1(VALU_DEP_1)
	v_mul_f32_e32 v144, v145, v143
	v_fma_f32 v146, -v135, v144, v145
	s_delay_alu instid0(VALU_DEP_1) | instskip(NEXT) | instid1(VALU_DEP_1)
	v_fmac_f32_e32 v144, v146, v143
	v_fma_f32 v135, -v135, v144, v145
	s_delay_alu instid0(VALU_DEP_1) | instskip(NEXT) | instid1(VALU_DEP_1)
	v_div_fmas_f32 v135, v135, v143, v144
	v_div_fixup_f32 v135, v135, v136, v137
	s_delay_alu instid0(VALU_DEP_1) | instskip(NEXT) | instid1(VALU_DEP_1)
	v_fmac_f32_e32 v136, v137, v135
	v_div_scale_f32 v137, null, v136, v136, 1.0
	s_delay_alu instid0(VALU_DEP_1) | instskip(SKIP_1) | instid1(TRANS32_DEP_1)
	v_rcp_f32_e32 v143, v137
	v_nop
	v_fma_f32 v144, -v137, v143, 1.0
	s_delay_alu instid0(VALU_DEP_1) | instskip(SKIP_1) | instid1(VALU_DEP_1)
	v_fmac_f32_e32 v143, v144, v143
	v_div_scale_f32 v144, vcc_lo, 1.0, v136, 1.0
	v_mul_f32_e32 v145, v144, v143
	s_delay_alu instid0(VALU_DEP_1) | instskip(NEXT) | instid1(VALU_DEP_1)
	v_fma_f32 v146, -v137, v145, v144
	v_fmac_f32_e32 v145, v146, v143
	s_delay_alu instid0(VALU_DEP_1) | instskip(NEXT) | instid1(VALU_DEP_1)
	v_fma_f32 v137, -v137, v145, v144
	v_div_fmas_f32 v137, v137, v143, v145
	s_delay_alu instid0(VALU_DEP_1) | instskip(NEXT) | instid1(VALU_DEP_1)
	v_div_fixup_f32 v136, v137, v136, 1.0
	v_mul_f32_e64 v137, v135, -v136
.LBB126_807:
	s_or_b32 exec_lo, exec_lo, s1
.LBB126_808:
	s_delay_alu instid0(SALU_CYCLE_1) | instskip(NEXT) | instid1(SALU_CYCLE_1)
	s_or_b32 exec_lo, exec_lo, s0
	s_mov_b32 s0, exec_lo
	v_cmpx_ne_u32_e64 v142, v134
	s_xor_b32 s0, exec_lo, s0
	s_cbranch_execz .LBB126_814
; %bb.809:
	s_mov_b32 s1, exec_lo
	v_cmpx_eq_u32_e32 38, v142
	s_cbranch_execz .LBB126_813
; %bb.810:
	v_cmp_ne_u32_e32 vcc_lo, 38, v134
	s_xor_b32 s12, s16, -1
	s_delay_alu instid0(SALU_CYCLE_1) | instskip(NEXT) | instid1(SALU_CYCLE_1)
	s_and_b32 s13, s12, vcc_lo
	s_and_saveexec_b32 s12, s13
	s_cbranch_execz .LBB126_812
; %bb.811:
	v_ashrrev_i32_e32 v135, 31, v134
	s_delay_alu instid0(VALU_DEP_1)
	v_lshl_add_u64 v[142:143], v[134:135], 2, v[4:5]
	s_clause 0x1
	global_load_b32 v135, v[142:143], off
	global_load_b32 v141, v[4:5], off offset:152
	s_wait_loadcnt 0x1
	global_store_b32 v[4:5], v135, off offset:152
	s_wait_loadcnt 0x0
	global_store_b32 v[142:143], v141, off
.LBB126_812:
	s_wait_xcnt 0x0
	s_or_b32 exec_lo, exec_lo, s12
	v_dual_mov_b32 v142, v134 :: v_dual_mov_b32 v141, v134
.LBB126_813:
	s_or_b32 exec_lo, exec_lo, s1
.LBB126_814:
	s_and_not1_saveexec_b32 s0, s0
	s_cbranch_execz .LBB126_816
; %bb.815:
	v_mov_b32_e32 v142, 38
	ds_store_2addr_b64 v138, v[22:23], v[68:69] offset0:39 offset1:40
	ds_store_2addr_b64 v138, v[64:65], v[66:67] offset0:41 offset1:42
	;; [unrolled: 1-line block ×12, first 2 shown]
	ds_store_b64 v138, v[132:133] offset:504
.LBB126_816:
	s_or_b32 exec_lo, exec_lo, s0
	s_delay_alu instid0(SALU_CYCLE_1)
	s_mov_b32 s0, exec_lo
	s_wait_storecnt_dscnt 0x0
	s_barrier_signal -1
	s_barrier_wait -1
	v_cmpx_lt_i32_e32 38, v142
	s_cbranch_execz .LBB126_818
; %bb.817:
	v_pk_mul_f32 v[144:145], v[136:137], v[72:73] op_sel:[1,1] op_sel_hi:[0,1]
	s_delay_alu instid0(VALU_DEP_1)
	v_pk_fma_f32 v[134:135], v[136:137], v[72:73], v[144:145] op_sel_hi:[1,0,1] neg_lo:[0,0,1] neg_hi:[0,0,1]
	v_pk_fma_f32 v[136:137], v[136:137], v[72:73], v[144:145] op_sel_hi:[1,0,1]
	ds_load_2addr_b64 v[144:147], v138 offset0:39 offset1:40
	v_dual_mov_b32 v72, v134 :: v_dual_mov_b32 v73, v137
	s_wait_dscnt 0x0
	v_pk_mul_f32 v[148:149], v[144:145], v[136:137] op_sel:[0,1]
	s_delay_alu instid0(VALU_DEP_1) | instskip(SKIP_1) | instid1(VALU_DEP_1)
	v_pk_fma_f32 v[150:151], v[144:145], v[134:135], v[148:149] op_sel:[0,0,1] op_sel_hi:[1,1,0] neg_lo:[0,0,1] neg_hi:[0,0,1]
	v_pk_fma_f32 v[144:145], v[144:145], v[134:135], v[148:149] op_sel:[0,0,1] op_sel_hi:[1,0,0]
	v_mov_b32_e32 v151, v145
	v_pk_mul_f32 v[144:145], v[146:147], v[136:137] op_sel:[0,1]
	s_delay_alu instid0(VALU_DEP_1) | instskip(SKIP_1) | instid1(VALU_DEP_1)
	v_pk_fma_f32 v[148:149], v[146:147], v[134:135], v[144:145] op_sel:[0,0,1] op_sel_hi:[1,1,0] neg_lo:[0,0,1] neg_hi:[0,0,1]
	v_pk_fma_f32 v[144:145], v[146:147], v[134:135], v[144:145] op_sel:[0,0,1] op_sel_hi:[1,0,0]
	v_mov_b32_e32 v149, v145
	ds_load_2addr_b64 v[144:147], v138 offset0:41 offset1:42
	v_pk_add_f32 v[22:23], v[22:23], v[150:151] neg_lo:[0,1] neg_hi:[0,1]
	v_pk_add_f32 v[68:69], v[68:69], v[148:149] neg_lo:[0,1] neg_hi:[0,1]
	s_wait_dscnt 0x0
	v_pk_mul_f32 v[148:149], v[144:145], v[136:137] op_sel:[0,1]
	s_delay_alu instid0(VALU_DEP_1) | instskip(SKIP_2) | instid1(VALU_DEP_2)
	v_pk_fma_f32 v[150:151], v[144:145], v[134:135], v[148:149] op_sel:[0,0,1] op_sel_hi:[1,1,0] neg_lo:[0,0,1] neg_hi:[0,0,1]
	v_pk_fma_f32 v[144:145], v[144:145], v[134:135], v[148:149] op_sel:[0,0,1] op_sel_hi:[1,0,0]
	v_dual_mul_f32 v148, v147, v137 :: v_dual_mov_b32 v144, v147
	v_dual_mov_b32 v151, v145 :: v_dual_mov_b32 v145, v146
	s_delay_alu instid0(VALU_DEP_2) | instskip(SKIP_1) | instid1(VALU_DEP_3)
	v_pk_fma_f32 v[148:149], v[146:147], v[72:73], v[148:149] op_sel_hi:[1,1,0] neg_lo:[0,0,1] neg_hi:[0,0,1]
	v_mul_f32_e32 v146, v147, v134
	v_pk_add_f32 v[64:65], v[64:65], v[150:151] neg_lo:[0,1] neg_hi:[0,1]
	s_delay_alu instid0(VALU_DEP_2) | instskip(NEXT) | instid1(VALU_DEP_1)
	v_pk_fma_f32 v[144:145], v[144:145], v[72:73], v[146:147] op_sel_hi:[1,1,0]
	v_mov_b32_e32 v149, v145
	ds_load_2addr_b64 v[144:147], v138 offset0:43 offset1:44
	v_pk_add_f32 v[66:67], v[66:67], v[148:149] neg_lo:[0,1] neg_hi:[0,1]
	s_wait_dscnt 0x0
	v_pk_mul_f32 v[148:149], v[144:145], v[136:137] op_sel:[0,1]
	s_delay_alu instid0(VALU_DEP_1) | instskip(SKIP_1) | instid1(VALU_DEP_1)
	v_pk_fma_f32 v[150:151], v[144:145], v[134:135], v[148:149] op_sel:[0,0,1] op_sel_hi:[1,1,0] neg_lo:[0,0,1] neg_hi:[0,0,1]
	v_pk_fma_f32 v[144:145], v[144:145], v[134:135], v[148:149] op_sel:[0,0,1] op_sel_hi:[1,0,0]
	v_mov_b32_e32 v151, v145
	v_pk_mul_f32 v[144:145], v[146:147], v[136:137] op_sel:[0,1]
	s_delay_alu instid0(VALU_DEP_1) | instskip(SKIP_1) | instid1(VALU_DEP_1)
	v_pk_fma_f32 v[148:149], v[146:147], v[134:135], v[144:145] op_sel:[0,0,1] op_sel_hi:[1,1,0] neg_lo:[0,0,1] neg_hi:[0,0,1]
	v_pk_fma_f32 v[144:145], v[146:147], v[134:135], v[144:145] op_sel:[0,0,1] op_sel_hi:[1,0,0]
	v_mov_b32_e32 v149, v145
	ds_load_2addr_b64 v[144:147], v138 offset0:45 offset1:46
	v_pk_add_f32 v[18:19], v[18:19], v[150:151] neg_lo:[0,1] neg_hi:[0,1]
	v_pk_add_f32 v[60:61], v[60:61], v[148:149] neg_lo:[0,1] neg_hi:[0,1]
	s_wait_dscnt 0x0
	v_pk_mul_f32 v[148:149], v[144:145], v[136:137] op_sel:[0,1]
	s_delay_alu instid0(VALU_DEP_1) | instskip(SKIP_1) | instid1(VALU_DEP_1)
	v_pk_fma_f32 v[150:151], v[144:145], v[134:135], v[148:149] op_sel:[0,0,1] op_sel_hi:[1,1,0] neg_lo:[0,0,1] neg_hi:[0,0,1]
	v_pk_fma_f32 v[144:145], v[144:145], v[134:135], v[148:149] op_sel:[0,0,1] op_sel_hi:[1,0,0]
	v_mov_b32_e32 v151, v145
	v_pk_mul_f32 v[144:145], v[146:147], v[136:137] op_sel:[0,1]
	s_delay_alu instid0(VALU_DEP_1) | instskip(SKIP_1) | instid1(VALU_DEP_1)
	v_pk_fma_f32 v[148:149], v[146:147], v[134:135], v[144:145] op_sel:[0,0,1] op_sel_hi:[1,1,0] neg_lo:[0,0,1] neg_hi:[0,0,1]
	v_pk_fma_f32 v[144:145], v[146:147], v[134:135], v[144:145] op_sel:[0,0,1] op_sel_hi:[1,0,0]
	v_mov_b32_e32 v149, v145
	ds_load_2addr_b64 v[144:147], v138 offset0:47 offset1:48
	v_pk_add_f32 v[56:57], v[56:57], v[150:151] neg_lo:[0,1] neg_hi:[0,1]
	v_pk_add_f32 v[58:59], v[58:59], v[148:149] neg_lo:[0,1] neg_hi:[0,1]
	s_wait_dscnt 0x0
	v_dual_mul_f32 v148, v145, v137 :: v_dual_mul_f32 v150, v145, v134
	s_delay_alu instid0(VALU_DEP_1) | instskip(NEXT) | instid1(VALU_DEP_2)
	v_pk_fma_f32 v[148:149], v[144:145], v[72:73], v[148:149] op_sel_hi:[1,1,0] neg_lo:[0,0,1] neg_hi:[0,0,1]
	v_pk_fma_f32 v[144:145], v[144:145], v[72:73], v[150:151] op_sel:[1,0,0] op_sel_hi:[0,1,0]
	s_delay_alu instid0(VALU_DEP_1) | instskip(SKIP_1) | instid1(VALU_DEP_2)
	v_mov_b32_e32 v149, v145
	v_pk_mul_f32 v[144:145], v[146:147], v[136:137] op_sel:[0,1]
	v_pk_add_f32 v[12:13], v[12:13], v[148:149] neg_lo:[0,1] neg_hi:[0,1]
	s_delay_alu instid0(VALU_DEP_2) | instskip(SKIP_1) | instid1(VALU_DEP_1)
	v_pk_fma_f32 v[148:149], v[146:147], v[134:135], v[144:145] op_sel:[0,0,1] op_sel_hi:[1,1,0] neg_lo:[0,0,1] neg_hi:[0,0,1]
	v_pk_fma_f32 v[144:145], v[146:147], v[134:135], v[144:145] op_sel:[0,0,1] op_sel_hi:[1,0,0]
	v_mov_b32_e32 v149, v145
	ds_load_2addr_b64 v[144:147], v138 offset0:49 offset1:50
	v_pk_add_f32 v[54:55], v[54:55], v[148:149] neg_lo:[0,1] neg_hi:[0,1]
	s_wait_dscnt 0x0
	v_pk_mul_f32 v[148:149], v[144:145], v[136:137] op_sel:[0,1]
	s_delay_alu instid0(VALU_DEP_1) | instskip(SKIP_1) | instid1(VALU_DEP_1)
	v_pk_fma_f32 v[150:151], v[144:145], v[134:135], v[148:149] op_sel:[0,0,1] op_sel_hi:[1,1,0] neg_lo:[0,0,1] neg_hi:[0,0,1]
	v_pk_fma_f32 v[144:145], v[144:145], v[134:135], v[148:149] op_sel:[0,0,1] op_sel_hi:[1,0,0]
	v_mov_b32_e32 v151, v145
	v_pk_mul_f32 v[144:145], v[146:147], v[136:137] op_sel:[0,1]
	s_delay_alu instid0(VALU_DEP_2) | instskip(NEXT) | instid1(VALU_DEP_2)
	v_pk_add_f32 v[52:53], v[52:53], v[150:151] neg_lo:[0,1] neg_hi:[0,1]
	v_pk_fma_f32 v[148:149], v[146:147], v[134:135], v[144:145] op_sel:[0,0,1] op_sel_hi:[1,1,0] neg_lo:[0,0,1] neg_hi:[0,0,1]
	v_pk_fma_f32 v[144:145], v[146:147], v[134:135], v[144:145] op_sel:[0,0,1] op_sel_hi:[1,0,0]
	s_delay_alu instid0(VALU_DEP_1) | instskip(SKIP_4) | instid1(VALU_DEP_1)
	v_mov_b32_e32 v149, v145
	ds_load_2addr_b64 v[144:147], v138 offset0:51 offset1:52
	v_pk_add_f32 v[62:63], v[62:63], v[148:149] neg_lo:[0,1] neg_hi:[0,1]
	s_wait_dscnt 0x0
	v_pk_mul_f32 v[148:149], v[144:145], v[136:137] op_sel:[0,1]
	v_pk_fma_f32 v[150:151], v[144:145], v[134:135], v[148:149] op_sel:[0,0,1] op_sel_hi:[1,1,0] neg_lo:[0,0,1] neg_hi:[0,0,1]
	v_pk_fma_f32 v[144:145], v[144:145], v[134:135], v[148:149] op_sel:[0,0,1] op_sel_hi:[1,0,0]
	v_dual_mul_f32 v148, v147, v137 :: v_dual_mov_b32 v144, v147
	s_delay_alu instid0(VALU_DEP_2) | instskip(NEXT) | instid1(VALU_DEP_2)
	v_dual_mov_b32 v151, v145 :: v_dual_mov_b32 v145, v146
	v_pk_fma_f32 v[148:149], v[146:147], v[72:73], v[148:149] op_sel_hi:[1,1,0] neg_lo:[0,0,1] neg_hi:[0,0,1]
	v_mul_f32_e32 v146, v147, v134
	s_delay_alu instid0(VALU_DEP_3) | instskip(NEXT) | instid1(VALU_DEP_2)
	v_pk_add_f32 v[16:17], v[16:17], v[150:151] neg_lo:[0,1] neg_hi:[0,1]
	v_pk_fma_f32 v[144:145], v[144:145], v[72:73], v[146:147] op_sel_hi:[1,1,0]
	s_delay_alu instid0(VALU_DEP_1) | instskip(SKIP_4) | instid1(VALU_DEP_1)
	v_mov_b32_e32 v149, v145
	ds_load_2addr_b64 v[144:147], v138 offset0:53 offset1:54
	v_pk_add_f32 v[48:49], v[48:49], v[148:149] neg_lo:[0,1] neg_hi:[0,1]
	s_wait_dscnt 0x0
	v_pk_mul_f32 v[148:149], v[144:145], v[136:137] op_sel:[0,1]
	v_pk_fma_f32 v[150:151], v[144:145], v[134:135], v[148:149] op_sel:[0,0,1] op_sel_hi:[1,1,0] neg_lo:[0,0,1] neg_hi:[0,0,1]
	v_pk_fma_f32 v[144:145], v[144:145], v[134:135], v[148:149] op_sel:[0,0,1] op_sel_hi:[1,0,0]
	s_delay_alu instid0(VALU_DEP_1) | instskip(SKIP_1) | instid1(VALU_DEP_1)
	v_mov_b32_e32 v151, v145
	v_pk_mul_f32 v[144:145], v[146:147], v[136:137] op_sel:[0,1]
	v_pk_fma_f32 v[148:149], v[146:147], v[134:135], v[144:145] op_sel:[0,0,1] op_sel_hi:[1,1,0] neg_lo:[0,0,1] neg_hi:[0,0,1]
	v_pk_fma_f32 v[144:145], v[146:147], v[134:135], v[144:145] op_sel:[0,0,1] op_sel_hi:[1,0,0]
	s_delay_alu instid0(VALU_DEP_1)
	v_mov_b32_e32 v149, v145
	ds_load_2addr_b64 v[144:147], v138 offset0:55 offset1:56
	v_pk_add_f32 v[42:43], v[42:43], v[150:151] neg_lo:[0,1] neg_hi:[0,1]
	v_pk_add_f32 v[46:47], v[46:47], v[148:149] neg_lo:[0,1] neg_hi:[0,1]
	s_wait_dscnt 0x0
	v_pk_mul_f32 v[148:149], v[144:145], v[136:137] op_sel:[0,1]
	s_delay_alu instid0(VALU_DEP_1) | instskip(SKIP_1) | instid1(VALU_DEP_1)
	v_pk_fma_f32 v[150:151], v[144:145], v[134:135], v[148:149] op_sel:[0,0,1] op_sel_hi:[1,1,0] neg_lo:[0,0,1] neg_hi:[0,0,1]
	v_pk_fma_f32 v[144:145], v[144:145], v[134:135], v[148:149] op_sel:[0,0,1] op_sel_hi:[1,0,0]
	v_mov_b32_e32 v151, v145
	v_pk_mul_f32 v[144:145], v[146:147], v[136:137] op_sel:[0,1]
	s_delay_alu instid0(VALU_DEP_1) | instskip(SKIP_1) | instid1(VALU_DEP_1)
	v_pk_fma_f32 v[148:149], v[146:147], v[134:135], v[144:145] op_sel:[0,0,1] op_sel_hi:[1,1,0] neg_lo:[0,0,1] neg_hi:[0,0,1]
	v_pk_fma_f32 v[144:145], v[146:147], v[134:135], v[144:145] op_sel:[0,0,1] op_sel_hi:[1,0,0]
	v_mov_b32_e32 v149, v145
	ds_load_2addr_b64 v[144:147], v138 offset0:57 offset1:58
	v_pk_add_f32 v[8:9], v[8:9], v[150:151] neg_lo:[0,1] neg_hi:[0,1]
	v_pk_add_f32 v[32:33], v[32:33], v[148:149] neg_lo:[0,1] neg_hi:[0,1]
	s_wait_dscnt 0x0
	v_dual_mul_f32 v148, v145, v137 :: v_dual_mul_f32 v150, v145, v134
	s_delay_alu instid0(VALU_DEP_1) | instskip(NEXT) | instid1(VALU_DEP_2)
	v_pk_fma_f32 v[148:149], v[144:145], v[72:73], v[148:149] op_sel_hi:[1,1,0] neg_lo:[0,0,1] neg_hi:[0,0,1]
	v_pk_fma_f32 v[144:145], v[144:145], v[72:73], v[150:151] op_sel:[1,0,0] op_sel_hi:[0,1,0]
	s_delay_alu instid0(VALU_DEP_1) | instskip(SKIP_1) | instid1(VALU_DEP_2)
	v_mov_b32_e32 v149, v145
	v_pk_mul_f32 v[144:145], v[146:147], v[136:137] op_sel:[0,1]
	v_pk_add_f32 v[28:29], v[28:29], v[148:149] neg_lo:[0,1] neg_hi:[0,1]
	s_delay_alu instid0(VALU_DEP_2) | instskip(SKIP_1) | instid1(VALU_DEP_1)
	v_pk_fma_f32 v[148:149], v[146:147], v[134:135], v[144:145] op_sel:[0,0,1] op_sel_hi:[1,1,0] neg_lo:[0,0,1] neg_hi:[0,0,1]
	v_pk_fma_f32 v[144:145], v[146:147], v[134:135], v[144:145] op_sel:[0,0,1] op_sel_hi:[1,0,0]
	v_mov_b32_e32 v149, v145
	ds_load_2addr_b64 v[144:147], v138 offset0:59 offset1:60
	v_pk_add_f32 v[30:31], v[30:31], v[148:149] neg_lo:[0,1] neg_hi:[0,1]
	s_wait_dscnt 0x0
	v_pk_mul_f32 v[148:149], v[144:145], v[136:137] op_sel:[0,1]
	s_delay_alu instid0(VALU_DEP_1) | instskip(SKIP_1) | instid1(VALU_DEP_1)
	v_pk_fma_f32 v[150:151], v[144:145], v[134:135], v[148:149] op_sel:[0,0,1] op_sel_hi:[1,1,0] neg_lo:[0,0,1] neg_hi:[0,0,1]
	v_pk_fma_f32 v[144:145], v[144:145], v[134:135], v[148:149] op_sel:[0,0,1] op_sel_hi:[1,0,0]
	v_mov_b32_e32 v151, v145
	v_pk_mul_f32 v[144:145], v[146:147], v[136:137] op_sel:[0,1]
	s_delay_alu instid0(VALU_DEP_2) | instskip(NEXT) | instid1(VALU_DEP_2)
	v_pk_add_f32 v[6:7], v[6:7], v[150:151] neg_lo:[0,1] neg_hi:[0,1]
	v_pk_fma_f32 v[148:149], v[146:147], v[134:135], v[144:145] op_sel:[0,0,1] op_sel_hi:[1,1,0] neg_lo:[0,0,1] neg_hi:[0,0,1]
	v_pk_fma_f32 v[144:145], v[146:147], v[134:135], v[144:145] op_sel:[0,0,1] op_sel_hi:[1,0,0]
	s_delay_alu instid0(VALU_DEP_1) | instskip(SKIP_4) | instid1(VALU_DEP_1)
	v_mov_b32_e32 v149, v145
	ds_load_2addr_b64 v[144:147], v138 offset0:61 offset1:62
	v_pk_add_f32 v[20:21], v[20:21], v[148:149] neg_lo:[0,1] neg_hi:[0,1]
	s_wait_dscnt 0x0
	v_pk_mul_f32 v[148:149], v[144:145], v[136:137] op_sel:[0,1]
	v_pk_fma_f32 v[150:151], v[144:145], v[134:135], v[148:149] op_sel:[0,0,1] op_sel_hi:[1,1,0] neg_lo:[0,0,1] neg_hi:[0,0,1]
	v_pk_fma_f32 v[144:145], v[144:145], v[134:135], v[148:149] op_sel:[0,0,1] op_sel_hi:[1,0,0]
	v_dual_mul_f32 v148, v147, v137 :: v_dual_mov_b32 v144, v147
	s_delay_alu instid0(VALU_DEP_2) | instskip(NEXT) | instid1(VALU_DEP_2)
	v_dual_mov_b32 v151, v145 :: v_dual_mov_b32 v145, v146
	v_pk_fma_f32 v[148:149], v[146:147], v[72:73], v[148:149] op_sel_hi:[1,1,0] neg_lo:[0,0,1] neg_hi:[0,0,1]
	v_mul_f32_e32 v146, v147, v134
	s_delay_alu instid0(VALU_DEP_3) | instskip(NEXT) | instid1(VALU_DEP_2)
	v_pk_add_f32 v[14:15], v[14:15], v[150:151] neg_lo:[0,1] neg_hi:[0,1]
	v_pk_fma_f32 v[144:145], v[144:145], v[72:73], v[146:147] op_sel_hi:[1,1,0]
	s_delay_alu instid0(VALU_DEP_1) | instskip(SKIP_4) | instid1(VALU_DEP_1)
	v_mov_b32_e32 v149, v145
	ds_load_b64 v[144:145], v138 offset:504
	v_pk_add_f32 v[10:11], v[10:11], v[148:149] neg_lo:[0,1] neg_hi:[0,1]
	s_wait_dscnt 0x0
	v_pk_mul_f32 v[136:137], v[144:145], v[136:137] op_sel:[0,1]
	v_pk_fma_f32 v[146:147], v[144:145], v[134:135], v[136:137] op_sel:[0,0,1] op_sel_hi:[1,1,0] neg_lo:[0,0,1] neg_hi:[0,0,1]
	v_pk_fma_f32 v[134:135], v[144:145], v[134:135], v[136:137] op_sel:[0,0,1] op_sel_hi:[1,0,0]
	s_delay_alu instid0(VALU_DEP_1) | instskip(NEXT) | instid1(VALU_DEP_1)
	v_mov_b32_e32 v147, v135
	v_pk_add_f32 v[132:133], v[132:133], v[146:147] neg_lo:[0,1] neg_hi:[0,1]
.LBB126_818:
	s_or_b32 exec_lo, exec_lo, s0
	v_lshl_add_u32 v134, v142, 3, v138
	s_barrier_signal -1
	s_barrier_wait -1
	ds_store_b64 v134, v[22:23]
	s_wait_dscnt 0x0
	s_barrier_signal -1
	s_barrier_wait -1
	ds_load_b64 v[136:137], v138 offset:312
	v_mov_b32_e32 v134, 39
	s_cmp_lt_i32 s18, 41
	s_cbranch_scc1 .LBB126_821
; %bb.819:
	v_add3_u32 v135, v139, 0, 0x140
	v_mov_b32_e32 v134, 39
	s_mov_b32 s0, 40
.LBB126_820:                            ; =>This Inner Loop Header: Depth=1
	ds_load_b64 v[144:145], v135
	s_wait_dscnt 0x1
	v_cmp_gt_f32_e32 vcc_lo, 0, v136
	v_cndmask_b32_e64 v146, v136, -v136, vcc_lo
	v_cmp_gt_f32_e32 vcc_lo, 0, v137
	v_cndmask_b32_e64 v148, v137, -v137, vcc_lo
	s_wait_dscnt 0x0
	v_cmp_gt_f32_e32 vcc_lo, 0, v144
	v_cndmask_b32_e64 v147, v144, -v144, vcc_lo
	v_cmp_gt_f32_e32 vcc_lo, 0, v145
	v_cndmask_b32_e64 v149, v145, -v145, vcc_lo
	s_delay_alu instid0(VALU_DEP_1) | instskip(NEXT) | instid1(VALU_DEP_1)
	v_pk_add_f32 v[146:147], v[146:147], v[148:149]
	v_cmp_lt_f32_e32 vcc_lo, v146, v147
	v_dual_add_nc_u32 v135, 8, v135 :: v_dual_cndmask_b32 v137, v137, v145, vcc_lo
	v_cndmask_b32_e32 v136, v136, v144, vcc_lo
	v_cndmask_b32_e64 v134, v134, s0, vcc_lo
	s_add_co_i32 s0, s0, 1
	s_delay_alu instid0(SALU_CYCLE_1)
	s_cmp_lg_u32 s18, s0
	s_cbranch_scc1 .LBB126_820
.LBB126_821:
	s_wait_dscnt 0x0
	v_cmp_eq_f32_e32 vcc_lo, 0, v136
	v_cmp_eq_f32_e64 s0, 0, v137
	s_and_b32 s0, vcc_lo, s0
	s_delay_alu instid0(SALU_CYCLE_1) | instskip(NEXT) | instid1(SALU_CYCLE_1)
	s_and_saveexec_b32 s1, s0
	s_xor_b32 s0, exec_lo, s1
; %bb.822:
	v_cmp_ne_u32_e32 vcc_lo, 0, v140
	v_cndmask_b32_e32 v140, 40, v140, vcc_lo
; %bb.823:
	s_and_not1_saveexec_b32 s0, s0
	s_cbranch_execz .LBB126_829
; %bb.824:
	v_cmp_ngt_f32_e64 s1, |v136|, |v137|
	s_and_saveexec_b32 s12, s1
	s_delay_alu instid0(SALU_CYCLE_1)
	s_xor_b32 s1, exec_lo, s12
	s_cbranch_execz .LBB126_826
; %bb.825:
	v_div_scale_f32 v135, null, v137, v137, v136
	v_div_scale_f32 v145, vcc_lo, v136, v137, v136
	s_delay_alu instid0(VALU_DEP_2) | instskip(SKIP_1) | instid1(TRANS32_DEP_1)
	v_rcp_f32_e32 v143, v135
	v_nop
	v_fma_f32 v144, -v135, v143, 1.0
	s_delay_alu instid0(VALU_DEP_1) | instskip(NEXT) | instid1(VALU_DEP_1)
	v_fmac_f32_e32 v143, v144, v143
	v_mul_f32_e32 v144, v145, v143
	s_delay_alu instid0(VALU_DEP_1) | instskip(NEXT) | instid1(VALU_DEP_1)
	v_fma_f32 v146, -v135, v144, v145
	v_fmac_f32_e32 v144, v146, v143
	s_delay_alu instid0(VALU_DEP_1) | instskip(NEXT) | instid1(VALU_DEP_1)
	v_fma_f32 v135, -v135, v144, v145
	v_div_fmas_f32 v135, v135, v143, v144
	s_delay_alu instid0(VALU_DEP_1) | instskip(NEXT) | instid1(VALU_DEP_1)
	v_div_fixup_f32 v135, v135, v137, v136
	v_fmac_f32_e32 v137, v136, v135
	s_delay_alu instid0(VALU_DEP_1) | instskip(SKIP_1) | instid1(VALU_DEP_2)
	v_div_scale_f32 v136, null, v137, v137, 1.0
	v_div_scale_f32 v145, vcc_lo, 1.0, v137, 1.0
	v_rcp_f32_e32 v143, v136
	v_nop
	s_delay_alu instid0(TRANS32_DEP_1) | instskip(NEXT) | instid1(VALU_DEP_1)
	v_fma_f32 v144, -v136, v143, 1.0
	v_fmac_f32_e32 v143, v144, v143
	s_delay_alu instid0(VALU_DEP_1) | instskip(NEXT) | instid1(VALU_DEP_1)
	v_mul_f32_e32 v144, v145, v143
	v_fma_f32 v146, -v136, v144, v145
	s_delay_alu instid0(VALU_DEP_1) | instskip(NEXT) | instid1(VALU_DEP_1)
	v_fmac_f32_e32 v144, v146, v143
	v_fma_f32 v136, -v136, v144, v145
	s_delay_alu instid0(VALU_DEP_1) | instskip(NEXT) | instid1(VALU_DEP_1)
	v_div_fmas_f32 v136, v136, v143, v144
	v_div_fixup_f32 v137, v136, v137, 1.0
	s_delay_alu instid0(VALU_DEP_1)
	v_mul_f32_e32 v136, v135, v137
	v_xor_b32_e32 v137, 0x80000000, v137
.LBB126_826:
	s_and_not1_saveexec_b32 s1, s1
	s_cbranch_execz .LBB126_828
; %bb.827:
	s_delay_alu instid0(VALU_DEP_1) | instskip(SKIP_1) | instid1(VALU_DEP_2)
	v_div_scale_f32 v135, null, v136, v136, v137
	v_div_scale_f32 v145, vcc_lo, v137, v136, v137
	v_rcp_f32_e32 v143, v135
	v_nop
	s_delay_alu instid0(TRANS32_DEP_1) | instskip(NEXT) | instid1(VALU_DEP_1)
	v_fma_f32 v144, -v135, v143, 1.0
	v_fmac_f32_e32 v143, v144, v143
	s_delay_alu instid0(VALU_DEP_1) | instskip(NEXT) | instid1(VALU_DEP_1)
	v_mul_f32_e32 v144, v145, v143
	v_fma_f32 v146, -v135, v144, v145
	s_delay_alu instid0(VALU_DEP_1) | instskip(NEXT) | instid1(VALU_DEP_1)
	v_fmac_f32_e32 v144, v146, v143
	v_fma_f32 v135, -v135, v144, v145
	s_delay_alu instid0(VALU_DEP_1) | instskip(NEXT) | instid1(VALU_DEP_1)
	v_div_fmas_f32 v135, v135, v143, v144
	v_div_fixup_f32 v135, v135, v136, v137
	s_delay_alu instid0(VALU_DEP_1) | instskip(NEXT) | instid1(VALU_DEP_1)
	v_fmac_f32_e32 v136, v137, v135
	v_div_scale_f32 v137, null, v136, v136, 1.0
	s_delay_alu instid0(VALU_DEP_1) | instskip(SKIP_1) | instid1(TRANS32_DEP_1)
	v_rcp_f32_e32 v143, v137
	v_nop
	v_fma_f32 v144, -v137, v143, 1.0
	s_delay_alu instid0(VALU_DEP_1) | instskip(SKIP_1) | instid1(VALU_DEP_1)
	v_fmac_f32_e32 v143, v144, v143
	v_div_scale_f32 v144, vcc_lo, 1.0, v136, 1.0
	v_mul_f32_e32 v145, v144, v143
	s_delay_alu instid0(VALU_DEP_1) | instskip(NEXT) | instid1(VALU_DEP_1)
	v_fma_f32 v146, -v137, v145, v144
	v_fmac_f32_e32 v145, v146, v143
	s_delay_alu instid0(VALU_DEP_1) | instskip(NEXT) | instid1(VALU_DEP_1)
	v_fma_f32 v137, -v137, v145, v144
	v_div_fmas_f32 v137, v137, v143, v145
	s_delay_alu instid0(VALU_DEP_1) | instskip(NEXT) | instid1(VALU_DEP_1)
	v_div_fixup_f32 v136, v137, v136, 1.0
	v_mul_f32_e64 v137, v135, -v136
.LBB126_828:
	s_or_b32 exec_lo, exec_lo, s1
.LBB126_829:
	s_delay_alu instid0(SALU_CYCLE_1) | instskip(NEXT) | instid1(SALU_CYCLE_1)
	s_or_b32 exec_lo, exec_lo, s0
	s_mov_b32 s0, exec_lo
	v_cmpx_ne_u32_e64 v142, v134
	s_xor_b32 s0, exec_lo, s0
	s_cbranch_execz .LBB126_835
; %bb.830:
	s_mov_b32 s1, exec_lo
	v_cmpx_eq_u32_e32 39, v142
	s_cbranch_execz .LBB126_834
; %bb.831:
	v_cmp_ne_u32_e32 vcc_lo, 39, v134
	s_xor_b32 s12, s16, -1
	s_delay_alu instid0(SALU_CYCLE_1) | instskip(NEXT) | instid1(SALU_CYCLE_1)
	s_and_b32 s13, s12, vcc_lo
	s_and_saveexec_b32 s12, s13
	s_cbranch_execz .LBB126_833
; %bb.832:
	v_ashrrev_i32_e32 v135, 31, v134
	s_delay_alu instid0(VALU_DEP_1)
	v_lshl_add_u64 v[142:143], v[134:135], 2, v[4:5]
	s_clause 0x1
	global_load_b32 v135, v[142:143], off
	global_load_b32 v141, v[4:5], off offset:156
	s_wait_loadcnt 0x1
	global_store_b32 v[4:5], v135, off offset:156
	s_wait_loadcnt 0x0
	global_store_b32 v[142:143], v141, off
.LBB126_833:
	s_wait_xcnt 0x0
	s_or_b32 exec_lo, exec_lo, s12
	v_dual_mov_b32 v142, v134 :: v_dual_mov_b32 v141, v134
.LBB126_834:
	s_or_b32 exec_lo, exec_lo, s1
.LBB126_835:
	s_and_not1_saveexec_b32 s0, s0
	s_cbranch_execz .LBB126_837
; %bb.836:
	v_dual_mov_b32 v134, v68 :: v_dual_mov_b32 v135, v69
	v_dual_mov_b32 v142, v64 :: v_dual_mov_b32 v143, v65
	ds_store_2addr_b64 v138, v[134:135], v[142:143] offset0:40 offset1:41
	v_dual_mov_b32 v134, v66 :: v_dual_mov_b32 v135, v67
	v_dual_mov_b32 v142, v18 :: v_dual_mov_b32 v143, v19
	ds_store_2addr_b64 v138, v[134:135], v[142:143] offset0:42 offset1:43
	v_dual_mov_b32 v134, v60 :: v_dual_mov_b32 v135, v61
	v_dual_mov_b32 v142, v56 :: v_dual_mov_b32 v143, v57
	ds_store_2addr_b64 v138, v[134:135], v[142:143] offset0:44 offset1:45
	v_dual_mov_b32 v134, v58 :: v_dual_mov_b32 v135, v59
	v_dual_mov_b32 v142, v12 :: v_dual_mov_b32 v143, v13
	ds_store_2addr_b64 v138, v[134:135], v[142:143] offset0:46 offset1:47
	v_dual_mov_b32 v134, v54 :: v_dual_mov_b32 v135, v55
	v_dual_mov_b32 v142, v52 :: v_dual_mov_b32 v143, v53
	ds_store_2addr_b64 v138, v[134:135], v[142:143] offset0:48 offset1:49
	v_dual_mov_b32 v134, v62 :: v_dual_mov_b32 v135, v63
	v_dual_mov_b32 v142, v16 :: v_dual_mov_b32 v143, v17
	ds_store_2addr_b64 v138, v[134:135], v[142:143] offset0:50 offset1:51
	v_dual_mov_b32 v134, v48 :: v_dual_mov_b32 v135, v49
	v_dual_mov_b32 v142, v42 :: v_dual_mov_b32 v143, v43
	ds_store_2addr_b64 v138, v[134:135], v[142:143] offset0:52 offset1:53
	v_dual_mov_b32 v134, v46 :: v_dual_mov_b32 v135, v47
	v_dual_mov_b32 v142, v8 :: v_dual_mov_b32 v143, v9
	ds_store_2addr_b64 v138, v[134:135], v[142:143] offset0:54 offset1:55
	v_dual_mov_b32 v134, v32 :: v_dual_mov_b32 v135, v33
	v_dual_mov_b32 v142, v28 :: v_dual_mov_b32 v143, v29
	ds_store_2addr_b64 v138, v[134:135], v[142:143] offset0:56 offset1:57
	v_dual_mov_b32 v134, v30 :: v_dual_mov_b32 v135, v31
	v_dual_mov_b32 v142, v6 :: v_dual_mov_b32 v143, v7
	ds_store_2addr_b64 v138, v[134:135], v[142:143] offset0:58 offset1:59
	v_dual_mov_b32 v134, v20 :: v_dual_mov_b32 v135, v21
	v_dual_mov_b32 v142, v14 :: v_dual_mov_b32 v143, v15
	ds_store_2addr_b64 v138, v[134:135], v[142:143] offset0:60 offset1:61
	v_dual_mov_b32 v134, v10 :: v_dual_mov_b32 v135, v11
	v_mov_b32_e32 v142, 39
	ds_store_2addr_b64 v138, v[134:135], v[132:133] offset0:62 offset1:63
.LBB126_837:
	s_or_b32 exec_lo, exec_lo, s0
	s_delay_alu instid0(SALU_CYCLE_1)
	s_mov_b32 s0, exec_lo
	s_wait_storecnt_dscnt 0x0
	s_barrier_signal -1
	s_barrier_wait -1
	v_cmpx_lt_i32_e32 39, v142
	s_cbranch_execz .LBB126_839
; %bb.838:
	v_pk_mul_f32 v[144:145], v[136:137], v[22:23] op_sel:[1,1] op_sel_hi:[0,1]
	s_delay_alu instid0(VALU_DEP_1)
	v_pk_fma_f32 v[134:135], v[136:137], v[22:23], v[144:145] op_sel_hi:[1,0,1] neg_lo:[0,0,1] neg_hi:[0,0,1]
	v_pk_fma_f32 v[136:137], v[136:137], v[22:23], v[144:145] op_sel_hi:[1,0,1]
	ds_load_2addr_b64 v[144:147], v138 offset0:40 offset1:41
	v_dual_mov_b32 v22, v134 :: v_dual_mov_b32 v23, v137
	s_wait_dscnt 0x0
	v_pk_mul_f32 v[148:149], v[144:145], v[136:137] op_sel:[0,1]
	s_delay_alu instid0(VALU_DEP_1) | instskip(SKIP_1) | instid1(VALU_DEP_1)
	v_pk_fma_f32 v[150:151], v[144:145], v[134:135], v[148:149] op_sel:[0,0,1] op_sel_hi:[1,1,0] neg_lo:[0,0,1] neg_hi:[0,0,1]
	v_pk_fma_f32 v[144:145], v[144:145], v[134:135], v[148:149] op_sel:[0,0,1] op_sel_hi:[1,0,0]
	v_mov_b32_e32 v151, v145
	v_pk_mul_f32 v[144:145], v[146:147], v[136:137] op_sel:[0,1]
	s_delay_alu instid0(VALU_DEP_1) | instskip(SKIP_1) | instid1(VALU_DEP_1)
	v_pk_fma_f32 v[148:149], v[146:147], v[134:135], v[144:145] op_sel:[0,0,1] op_sel_hi:[1,1,0] neg_lo:[0,0,1] neg_hi:[0,0,1]
	v_pk_fma_f32 v[144:145], v[146:147], v[134:135], v[144:145] op_sel:[0,0,1] op_sel_hi:[1,0,0]
	v_mov_b32_e32 v149, v145
	ds_load_2addr_b64 v[144:147], v138 offset0:42 offset1:43
	v_pk_add_f32 v[68:69], v[68:69], v[150:151] neg_lo:[0,1] neg_hi:[0,1]
	v_pk_add_f32 v[64:65], v[64:65], v[148:149] neg_lo:[0,1] neg_hi:[0,1]
	s_wait_dscnt 0x0
	v_pk_mul_f32 v[148:149], v[144:145], v[136:137] op_sel:[0,1]
	s_delay_alu instid0(VALU_DEP_1) | instskip(SKIP_2) | instid1(VALU_DEP_2)
	v_pk_fma_f32 v[150:151], v[144:145], v[134:135], v[148:149] op_sel:[0,0,1] op_sel_hi:[1,1,0] neg_lo:[0,0,1] neg_hi:[0,0,1]
	v_pk_fma_f32 v[144:145], v[144:145], v[134:135], v[148:149] op_sel:[0,0,1] op_sel_hi:[1,0,0]
	v_dual_mul_f32 v148, v147, v137 :: v_dual_mov_b32 v144, v147
	v_dual_mov_b32 v151, v145 :: v_dual_mov_b32 v145, v146
	s_delay_alu instid0(VALU_DEP_2) | instskip(SKIP_1) | instid1(VALU_DEP_3)
	v_pk_fma_f32 v[148:149], v[146:147], v[22:23], v[148:149] op_sel_hi:[1,1,0] neg_lo:[0,0,1] neg_hi:[0,0,1]
	v_mul_f32_e32 v146, v147, v134
	v_pk_add_f32 v[66:67], v[66:67], v[150:151] neg_lo:[0,1] neg_hi:[0,1]
	s_delay_alu instid0(VALU_DEP_2) | instskip(NEXT) | instid1(VALU_DEP_1)
	v_pk_fma_f32 v[144:145], v[144:145], v[22:23], v[146:147] op_sel_hi:[1,1,0]
	v_mov_b32_e32 v149, v145
	ds_load_2addr_b64 v[144:147], v138 offset0:44 offset1:45
	v_pk_add_f32 v[18:19], v[18:19], v[148:149] neg_lo:[0,1] neg_hi:[0,1]
	s_wait_dscnt 0x0
	v_pk_mul_f32 v[148:149], v[144:145], v[136:137] op_sel:[0,1]
	s_delay_alu instid0(VALU_DEP_1) | instskip(SKIP_1) | instid1(VALU_DEP_1)
	v_pk_fma_f32 v[150:151], v[144:145], v[134:135], v[148:149] op_sel:[0,0,1] op_sel_hi:[1,1,0] neg_lo:[0,0,1] neg_hi:[0,0,1]
	v_pk_fma_f32 v[144:145], v[144:145], v[134:135], v[148:149] op_sel:[0,0,1] op_sel_hi:[1,0,0]
	v_mov_b32_e32 v151, v145
	v_pk_mul_f32 v[144:145], v[146:147], v[136:137] op_sel:[0,1]
	s_delay_alu instid0(VALU_DEP_1) | instskip(SKIP_1) | instid1(VALU_DEP_1)
	v_pk_fma_f32 v[148:149], v[146:147], v[134:135], v[144:145] op_sel:[0,0,1] op_sel_hi:[1,1,0] neg_lo:[0,0,1] neg_hi:[0,0,1]
	v_pk_fma_f32 v[144:145], v[146:147], v[134:135], v[144:145] op_sel:[0,0,1] op_sel_hi:[1,0,0]
	v_mov_b32_e32 v149, v145
	ds_load_2addr_b64 v[144:147], v138 offset0:46 offset1:47
	v_pk_add_f32 v[60:61], v[60:61], v[150:151] neg_lo:[0,1] neg_hi:[0,1]
	v_pk_add_f32 v[56:57], v[56:57], v[148:149] neg_lo:[0,1] neg_hi:[0,1]
	s_wait_dscnt 0x0
	v_pk_mul_f32 v[148:149], v[144:145], v[136:137] op_sel:[0,1]
	s_delay_alu instid0(VALU_DEP_1) | instskip(SKIP_1) | instid1(VALU_DEP_1)
	v_pk_fma_f32 v[150:151], v[144:145], v[134:135], v[148:149] op_sel:[0,0,1] op_sel_hi:[1,1,0] neg_lo:[0,0,1] neg_hi:[0,0,1]
	v_pk_fma_f32 v[144:145], v[144:145], v[134:135], v[148:149] op_sel:[0,0,1] op_sel_hi:[1,0,0]
	v_mov_b32_e32 v151, v145
	v_pk_mul_f32 v[144:145], v[146:147], v[136:137] op_sel:[0,1]
	s_delay_alu instid0(VALU_DEP_1) | instskip(SKIP_1) | instid1(VALU_DEP_1)
	v_pk_fma_f32 v[148:149], v[146:147], v[134:135], v[144:145] op_sel:[0,0,1] op_sel_hi:[1,1,0] neg_lo:[0,0,1] neg_hi:[0,0,1]
	v_pk_fma_f32 v[144:145], v[146:147], v[134:135], v[144:145] op_sel:[0,0,1] op_sel_hi:[1,0,0]
	v_mov_b32_e32 v149, v145
	ds_load_2addr_b64 v[144:147], v138 offset0:48 offset1:49
	v_pk_add_f32 v[58:59], v[58:59], v[150:151] neg_lo:[0,1] neg_hi:[0,1]
	v_pk_add_f32 v[12:13], v[12:13], v[148:149] neg_lo:[0,1] neg_hi:[0,1]
	s_wait_dscnt 0x0
	v_dual_mul_f32 v148, v145, v137 :: v_dual_mul_f32 v150, v145, v134
	s_delay_alu instid0(VALU_DEP_1) | instskip(NEXT) | instid1(VALU_DEP_2)
	v_pk_fma_f32 v[148:149], v[144:145], v[22:23], v[148:149] op_sel_hi:[1,1,0] neg_lo:[0,0,1] neg_hi:[0,0,1]
	v_pk_fma_f32 v[144:145], v[144:145], v[22:23], v[150:151] op_sel:[1,0,0] op_sel_hi:[0,1,0]
	s_delay_alu instid0(VALU_DEP_1) | instskip(SKIP_1) | instid1(VALU_DEP_2)
	v_mov_b32_e32 v149, v145
	v_pk_mul_f32 v[144:145], v[146:147], v[136:137] op_sel:[0,1]
	v_pk_add_f32 v[54:55], v[54:55], v[148:149] neg_lo:[0,1] neg_hi:[0,1]
	s_delay_alu instid0(VALU_DEP_2) | instskip(SKIP_1) | instid1(VALU_DEP_1)
	v_pk_fma_f32 v[148:149], v[146:147], v[134:135], v[144:145] op_sel:[0,0,1] op_sel_hi:[1,1,0] neg_lo:[0,0,1] neg_hi:[0,0,1]
	v_pk_fma_f32 v[144:145], v[146:147], v[134:135], v[144:145] op_sel:[0,0,1] op_sel_hi:[1,0,0]
	v_mov_b32_e32 v149, v145
	ds_load_2addr_b64 v[144:147], v138 offset0:50 offset1:51
	v_pk_add_f32 v[52:53], v[52:53], v[148:149] neg_lo:[0,1] neg_hi:[0,1]
	s_wait_dscnt 0x0
	v_pk_mul_f32 v[148:149], v[144:145], v[136:137] op_sel:[0,1]
	s_delay_alu instid0(VALU_DEP_1) | instskip(SKIP_1) | instid1(VALU_DEP_1)
	v_pk_fma_f32 v[150:151], v[144:145], v[134:135], v[148:149] op_sel:[0,0,1] op_sel_hi:[1,1,0] neg_lo:[0,0,1] neg_hi:[0,0,1]
	v_pk_fma_f32 v[144:145], v[144:145], v[134:135], v[148:149] op_sel:[0,0,1] op_sel_hi:[1,0,0]
	v_mov_b32_e32 v151, v145
	v_pk_mul_f32 v[144:145], v[146:147], v[136:137] op_sel:[0,1]
	s_delay_alu instid0(VALU_DEP_2) | instskip(NEXT) | instid1(VALU_DEP_2)
	v_pk_add_f32 v[62:63], v[62:63], v[150:151] neg_lo:[0,1] neg_hi:[0,1]
	v_pk_fma_f32 v[148:149], v[146:147], v[134:135], v[144:145] op_sel:[0,0,1] op_sel_hi:[1,1,0] neg_lo:[0,0,1] neg_hi:[0,0,1]
	v_pk_fma_f32 v[144:145], v[146:147], v[134:135], v[144:145] op_sel:[0,0,1] op_sel_hi:[1,0,0]
	s_delay_alu instid0(VALU_DEP_1) | instskip(SKIP_4) | instid1(VALU_DEP_1)
	v_mov_b32_e32 v149, v145
	ds_load_2addr_b64 v[144:147], v138 offset0:52 offset1:53
	v_pk_add_f32 v[16:17], v[16:17], v[148:149] neg_lo:[0,1] neg_hi:[0,1]
	s_wait_dscnt 0x0
	v_pk_mul_f32 v[148:149], v[144:145], v[136:137] op_sel:[0,1]
	v_pk_fma_f32 v[150:151], v[144:145], v[134:135], v[148:149] op_sel:[0,0,1] op_sel_hi:[1,1,0] neg_lo:[0,0,1] neg_hi:[0,0,1]
	v_pk_fma_f32 v[144:145], v[144:145], v[134:135], v[148:149] op_sel:[0,0,1] op_sel_hi:[1,0,0]
	v_dual_mul_f32 v148, v147, v137 :: v_dual_mov_b32 v144, v147
	s_delay_alu instid0(VALU_DEP_2) | instskip(NEXT) | instid1(VALU_DEP_2)
	v_dual_mov_b32 v151, v145 :: v_dual_mov_b32 v145, v146
	v_pk_fma_f32 v[148:149], v[146:147], v[22:23], v[148:149] op_sel_hi:[1,1,0] neg_lo:[0,0,1] neg_hi:[0,0,1]
	v_mul_f32_e32 v146, v147, v134
	s_delay_alu instid0(VALU_DEP_3) | instskip(NEXT) | instid1(VALU_DEP_2)
	v_pk_add_f32 v[48:49], v[48:49], v[150:151] neg_lo:[0,1] neg_hi:[0,1]
	v_pk_fma_f32 v[144:145], v[144:145], v[22:23], v[146:147] op_sel_hi:[1,1,0]
	s_delay_alu instid0(VALU_DEP_1) | instskip(SKIP_4) | instid1(VALU_DEP_1)
	v_mov_b32_e32 v149, v145
	ds_load_2addr_b64 v[144:147], v138 offset0:54 offset1:55
	v_pk_add_f32 v[42:43], v[42:43], v[148:149] neg_lo:[0,1] neg_hi:[0,1]
	s_wait_dscnt 0x0
	v_pk_mul_f32 v[148:149], v[144:145], v[136:137] op_sel:[0,1]
	v_pk_fma_f32 v[150:151], v[144:145], v[134:135], v[148:149] op_sel:[0,0,1] op_sel_hi:[1,1,0] neg_lo:[0,0,1] neg_hi:[0,0,1]
	v_pk_fma_f32 v[144:145], v[144:145], v[134:135], v[148:149] op_sel:[0,0,1] op_sel_hi:[1,0,0]
	s_delay_alu instid0(VALU_DEP_1) | instskip(SKIP_1) | instid1(VALU_DEP_1)
	v_mov_b32_e32 v151, v145
	v_pk_mul_f32 v[144:145], v[146:147], v[136:137] op_sel:[0,1]
	v_pk_fma_f32 v[148:149], v[146:147], v[134:135], v[144:145] op_sel:[0,0,1] op_sel_hi:[1,1,0] neg_lo:[0,0,1] neg_hi:[0,0,1]
	v_pk_fma_f32 v[144:145], v[146:147], v[134:135], v[144:145] op_sel:[0,0,1] op_sel_hi:[1,0,0]
	s_delay_alu instid0(VALU_DEP_1)
	v_mov_b32_e32 v149, v145
	ds_load_2addr_b64 v[144:147], v138 offset0:56 offset1:57
	v_pk_add_f32 v[46:47], v[46:47], v[150:151] neg_lo:[0,1] neg_hi:[0,1]
	v_pk_add_f32 v[8:9], v[8:9], v[148:149] neg_lo:[0,1] neg_hi:[0,1]
	s_wait_dscnt 0x0
	v_pk_mul_f32 v[148:149], v[144:145], v[136:137] op_sel:[0,1]
	s_delay_alu instid0(VALU_DEP_1) | instskip(SKIP_1) | instid1(VALU_DEP_1)
	v_pk_fma_f32 v[150:151], v[144:145], v[134:135], v[148:149] op_sel:[0,0,1] op_sel_hi:[1,1,0] neg_lo:[0,0,1] neg_hi:[0,0,1]
	v_pk_fma_f32 v[144:145], v[144:145], v[134:135], v[148:149] op_sel:[0,0,1] op_sel_hi:[1,0,0]
	v_mov_b32_e32 v151, v145
	v_pk_mul_f32 v[144:145], v[146:147], v[136:137] op_sel:[0,1]
	s_delay_alu instid0(VALU_DEP_1) | instskip(SKIP_1) | instid1(VALU_DEP_1)
	v_pk_fma_f32 v[148:149], v[146:147], v[134:135], v[144:145] op_sel:[0,0,1] op_sel_hi:[1,1,0] neg_lo:[0,0,1] neg_hi:[0,0,1]
	v_pk_fma_f32 v[144:145], v[146:147], v[134:135], v[144:145] op_sel:[0,0,1] op_sel_hi:[1,0,0]
	v_mov_b32_e32 v149, v145
	ds_load_2addr_b64 v[144:147], v138 offset0:58 offset1:59
	v_pk_add_f32 v[32:33], v[32:33], v[150:151] neg_lo:[0,1] neg_hi:[0,1]
	v_pk_add_f32 v[28:29], v[28:29], v[148:149] neg_lo:[0,1] neg_hi:[0,1]
	s_wait_dscnt 0x0
	v_dual_mul_f32 v148, v145, v137 :: v_dual_mul_f32 v150, v145, v134
	s_delay_alu instid0(VALU_DEP_1) | instskip(NEXT) | instid1(VALU_DEP_2)
	v_pk_fma_f32 v[148:149], v[144:145], v[22:23], v[148:149] op_sel_hi:[1,1,0] neg_lo:[0,0,1] neg_hi:[0,0,1]
	v_pk_fma_f32 v[144:145], v[144:145], v[22:23], v[150:151] op_sel:[1,0,0] op_sel_hi:[0,1,0]
	s_delay_alu instid0(VALU_DEP_1) | instskip(SKIP_1) | instid1(VALU_DEP_2)
	v_mov_b32_e32 v149, v145
	v_pk_mul_f32 v[144:145], v[146:147], v[136:137] op_sel:[0,1]
	v_pk_add_f32 v[30:31], v[30:31], v[148:149] neg_lo:[0,1] neg_hi:[0,1]
	s_delay_alu instid0(VALU_DEP_2) | instskip(SKIP_1) | instid1(VALU_DEP_1)
	v_pk_fma_f32 v[148:149], v[146:147], v[134:135], v[144:145] op_sel:[0,0,1] op_sel_hi:[1,1,0] neg_lo:[0,0,1] neg_hi:[0,0,1]
	v_pk_fma_f32 v[144:145], v[146:147], v[134:135], v[144:145] op_sel:[0,0,1] op_sel_hi:[1,0,0]
	v_mov_b32_e32 v149, v145
	ds_load_2addr_b64 v[144:147], v138 offset0:60 offset1:61
	v_pk_add_f32 v[6:7], v[6:7], v[148:149] neg_lo:[0,1] neg_hi:[0,1]
	s_wait_dscnt 0x0
	v_pk_mul_f32 v[148:149], v[144:145], v[136:137] op_sel:[0,1]
	s_delay_alu instid0(VALU_DEP_1) | instskip(SKIP_1) | instid1(VALU_DEP_1)
	v_pk_fma_f32 v[150:151], v[144:145], v[134:135], v[148:149] op_sel:[0,0,1] op_sel_hi:[1,1,0] neg_lo:[0,0,1] neg_hi:[0,0,1]
	v_pk_fma_f32 v[144:145], v[144:145], v[134:135], v[148:149] op_sel:[0,0,1] op_sel_hi:[1,0,0]
	v_mov_b32_e32 v151, v145
	v_pk_mul_f32 v[144:145], v[146:147], v[136:137] op_sel:[0,1]
	s_delay_alu instid0(VALU_DEP_2) | instskip(NEXT) | instid1(VALU_DEP_2)
	v_pk_add_f32 v[20:21], v[20:21], v[150:151] neg_lo:[0,1] neg_hi:[0,1]
	v_pk_fma_f32 v[148:149], v[146:147], v[134:135], v[144:145] op_sel:[0,0,1] op_sel_hi:[1,1,0] neg_lo:[0,0,1] neg_hi:[0,0,1]
	v_pk_fma_f32 v[144:145], v[146:147], v[134:135], v[144:145] op_sel:[0,0,1] op_sel_hi:[1,0,0]
	s_delay_alu instid0(VALU_DEP_1)
	v_mov_b32_e32 v149, v145
	ds_load_2addr_b64 v[144:147], v138 offset0:62 offset1:63
	v_pk_add_f32 v[14:15], v[14:15], v[148:149] neg_lo:[0,1] neg_hi:[0,1]
	s_wait_dscnt 0x0
	v_pk_mul_f32 v[148:149], v[144:145], v[136:137] op_sel:[0,1]
	v_mul_f32_e32 v136, v147, v137
	s_delay_alu instid0(VALU_DEP_2) | instskip(SKIP_2) | instid1(VALU_DEP_4)
	v_pk_fma_f32 v[150:151], v[144:145], v[134:135], v[148:149] op_sel:[0,0,1] op_sel_hi:[1,1,0] neg_lo:[0,0,1] neg_hi:[0,0,1]
	v_pk_fma_f32 v[144:145], v[144:145], v[134:135], v[148:149] op_sel:[0,0,1] op_sel_hi:[1,0,0]
	v_dual_mov_b32 v144, v147 :: v_dual_mul_f32 v134, v147, v134
	v_pk_fma_f32 v[136:137], v[146:147], v[22:23], v[136:137] op_sel_hi:[1,1,0] neg_lo:[0,0,1] neg_hi:[0,0,1]
	s_delay_alu instid0(VALU_DEP_3) | instskip(NEXT) | instid1(VALU_DEP_1)
	v_dual_mov_b32 v151, v145 :: v_dual_mov_b32 v145, v146
	v_pk_add_f32 v[10:11], v[10:11], v[150:151] neg_lo:[0,1] neg_hi:[0,1]
	s_delay_alu instid0(VALU_DEP_2) | instskip(NEXT) | instid1(VALU_DEP_1)
	v_pk_fma_f32 v[134:135], v[144:145], v[22:23], v[134:135] op_sel_hi:[1,1,0]
	v_mov_b32_e32 v137, v135
	s_delay_alu instid0(VALU_DEP_1)
	v_pk_add_f32 v[132:133], v[132:133], v[136:137] neg_lo:[0,1] neg_hi:[0,1]
.LBB126_839:
	s_or_b32 exec_lo, exec_lo, s0
	v_lshl_add_u32 v134, v142, 3, v138
	s_barrier_signal -1
	s_barrier_wait -1
	ds_store_b64 v134, v[68:69]
	s_wait_dscnt 0x0
	s_barrier_signal -1
	s_barrier_wait -1
	ds_load_b64 v[136:137], v138 offset:320
	v_mov_b32_e32 v134, 40
	s_cmp_lt_i32 s18, 42
	s_cbranch_scc1 .LBB126_842
; %bb.840:
	v_add3_u32 v135, v139, 0, 0x148
	v_mov_b32_e32 v134, 40
	s_mov_b32 s0, 41
.LBB126_841:                            ; =>This Inner Loop Header: Depth=1
	ds_load_b64 v[144:145], v135
	s_wait_dscnt 0x1
	v_cmp_gt_f32_e32 vcc_lo, 0, v136
	v_cndmask_b32_e64 v146, v136, -v136, vcc_lo
	v_cmp_gt_f32_e32 vcc_lo, 0, v137
	v_cndmask_b32_e64 v148, v137, -v137, vcc_lo
	s_wait_dscnt 0x0
	v_cmp_gt_f32_e32 vcc_lo, 0, v144
	v_cndmask_b32_e64 v147, v144, -v144, vcc_lo
	v_cmp_gt_f32_e32 vcc_lo, 0, v145
	v_cndmask_b32_e64 v149, v145, -v145, vcc_lo
	s_delay_alu instid0(VALU_DEP_1) | instskip(NEXT) | instid1(VALU_DEP_1)
	v_pk_add_f32 v[146:147], v[146:147], v[148:149]
	v_cmp_lt_f32_e32 vcc_lo, v146, v147
	v_dual_add_nc_u32 v135, 8, v135 :: v_dual_cndmask_b32 v137, v137, v145, vcc_lo
	v_cndmask_b32_e32 v136, v136, v144, vcc_lo
	v_cndmask_b32_e64 v134, v134, s0, vcc_lo
	s_add_co_i32 s0, s0, 1
	s_delay_alu instid0(SALU_CYCLE_1)
	s_cmp_lg_u32 s18, s0
	s_cbranch_scc1 .LBB126_841
.LBB126_842:
	s_wait_dscnt 0x0
	v_cmp_eq_f32_e32 vcc_lo, 0, v136
	v_cmp_eq_f32_e64 s0, 0, v137
	s_and_b32 s0, vcc_lo, s0
	s_delay_alu instid0(SALU_CYCLE_1) | instskip(NEXT) | instid1(SALU_CYCLE_1)
	s_and_saveexec_b32 s1, s0
	s_xor_b32 s0, exec_lo, s1
; %bb.843:
	v_cmp_ne_u32_e32 vcc_lo, 0, v140
	v_cndmask_b32_e32 v140, 41, v140, vcc_lo
; %bb.844:
	s_and_not1_saveexec_b32 s0, s0
	s_cbranch_execz .LBB126_850
; %bb.845:
	v_cmp_ngt_f32_e64 s1, |v136|, |v137|
	s_and_saveexec_b32 s12, s1
	s_delay_alu instid0(SALU_CYCLE_1)
	s_xor_b32 s1, exec_lo, s12
	s_cbranch_execz .LBB126_847
; %bb.846:
	v_div_scale_f32 v135, null, v137, v137, v136
	v_div_scale_f32 v145, vcc_lo, v136, v137, v136
	s_delay_alu instid0(VALU_DEP_2) | instskip(SKIP_1) | instid1(TRANS32_DEP_1)
	v_rcp_f32_e32 v143, v135
	v_nop
	v_fma_f32 v144, -v135, v143, 1.0
	s_delay_alu instid0(VALU_DEP_1) | instskip(NEXT) | instid1(VALU_DEP_1)
	v_fmac_f32_e32 v143, v144, v143
	v_mul_f32_e32 v144, v145, v143
	s_delay_alu instid0(VALU_DEP_1) | instskip(NEXT) | instid1(VALU_DEP_1)
	v_fma_f32 v146, -v135, v144, v145
	v_fmac_f32_e32 v144, v146, v143
	s_delay_alu instid0(VALU_DEP_1) | instskip(NEXT) | instid1(VALU_DEP_1)
	v_fma_f32 v135, -v135, v144, v145
	v_div_fmas_f32 v135, v135, v143, v144
	s_delay_alu instid0(VALU_DEP_1) | instskip(NEXT) | instid1(VALU_DEP_1)
	v_div_fixup_f32 v135, v135, v137, v136
	v_fmac_f32_e32 v137, v136, v135
	s_delay_alu instid0(VALU_DEP_1) | instskip(SKIP_1) | instid1(VALU_DEP_2)
	v_div_scale_f32 v136, null, v137, v137, 1.0
	v_div_scale_f32 v145, vcc_lo, 1.0, v137, 1.0
	v_rcp_f32_e32 v143, v136
	v_nop
	s_delay_alu instid0(TRANS32_DEP_1) | instskip(NEXT) | instid1(VALU_DEP_1)
	v_fma_f32 v144, -v136, v143, 1.0
	v_fmac_f32_e32 v143, v144, v143
	s_delay_alu instid0(VALU_DEP_1) | instskip(NEXT) | instid1(VALU_DEP_1)
	v_mul_f32_e32 v144, v145, v143
	v_fma_f32 v146, -v136, v144, v145
	s_delay_alu instid0(VALU_DEP_1) | instskip(NEXT) | instid1(VALU_DEP_1)
	v_fmac_f32_e32 v144, v146, v143
	v_fma_f32 v136, -v136, v144, v145
	s_delay_alu instid0(VALU_DEP_1) | instskip(NEXT) | instid1(VALU_DEP_1)
	v_div_fmas_f32 v136, v136, v143, v144
	v_div_fixup_f32 v137, v136, v137, 1.0
	s_delay_alu instid0(VALU_DEP_1)
	v_mul_f32_e32 v136, v135, v137
	v_xor_b32_e32 v137, 0x80000000, v137
.LBB126_847:
	s_and_not1_saveexec_b32 s1, s1
	s_cbranch_execz .LBB126_849
; %bb.848:
	s_delay_alu instid0(VALU_DEP_1) | instskip(SKIP_1) | instid1(VALU_DEP_2)
	v_div_scale_f32 v135, null, v136, v136, v137
	v_div_scale_f32 v145, vcc_lo, v137, v136, v137
	v_rcp_f32_e32 v143, v135
	v_nop
	s_delay_alu instid0(TRANS32_DEP_1) | instskip(NEXT) | instid1(VALU_DEP_1)
	v_fma_f32 v144, -v135, v143, 1.0
	v_fmac_f32_e32 v143, v144, v143
	s_delay_alu instid0(VALU_DEP_1) | instskip(NEXT) | instid1(VALU_DEP_1)
	v_mul_f32_e32 v144, v145, v143
	v_fma_f32 v146, -v135, v144, v145
	s_delay_alu instid0(VALU_DEP_1) | instskip(NEXT) | instid1(VALU_DEP_1)
	v_fmac_f32_e32 v144, v146, v143
	v_fma_f32 v135, -v135, v144, v145
	s_delay_alu instid0(VALU_DEP_1) | instskip(NEXT) | instid1(VALU_DEP_1)
	v_div_fmas_f32 v135, v135, v143, v144
	v_div_fixup_f32 v135, v135, v136, v137
	s_delay_alu instid0(VALU_DEP_1) | instskip(NEXT) | instid1(VALU_DEP_1)
	v_fmac_f32_e32 v136, v137, v135
	v_div_scale_f32 v137, null, v136, v136, 1.0
	s_delay_alu instid0(VALU_DEP_1) | instskip(SKIP_1) | instid1(TRANS32_DEP_1)
	v_rcp_f32_e32 v143, v137
	v_nop
	v_fma_f32 v144, -v137, v143, 1.0
	s_delay_alu instid0(VALU_DEP_1) | instskip(SKIP_1) | instid1(VALU_DEP_1)
	v_fmac_f32_e32 v143, v144, v143
	v_div_scale_f32 v144, vcc_lo, 1.0, v136, 1.0
	v_mul_f32_e32 v145, v144, v143
	s_delay_alu instid0(VALU_DEP_1) | instskip(NEXT) | instid1(VALU_DEP_1)
	v_fma_f32 v146, -v137, v145, v144
	v_fmac_f32_e32 v145, v146, v143
	s_delay_alu instid0(VALU_DEP_1) | instskip(NEXT) | instid1(VALU_DEP_1)
	v_fma_f32 v137, -v137, v145, v144
	v_div_fmas_f32 v137, v137, v143, v145
	s_delay_alu instid0(VALU_DEP_1) | instskip(NEXT) | instid1(VALU_DEP_1)
	v_div_fixup_f32 v136, v137, v136, 1.0
	v_mul_f32_e64 v137, v135, -v136
.LBB126_849:
	s_or_b32 exec_lo, exec_lo, s1
.LBB126_850:
	s_delay_alu instid0(SALU_CYCLE_1) | instskip(NEXT) | instid1(SALU_CYCLE_1)
	s_or_b32 exec_lo, exec_lo, s0
	s_mov_b32 s0, exec_lo
	v_cmpx_ne_u32_e64 v142, v134
	s_xor_b32 s0, exec_lo, s0
	s_cbranch_execz .LBB126_856
; %bb.851:
	s_mov_b32 s1, exec_lo
	v_cmpx_eq_u32_e32 40, v142
	s_cbranch_execz .LBB126_855
; %bb.852:
	v_cmp_ne_u32_e32 vcc_lo, 40, v134
	s_xor_b32 s12, s16, -1
	s_delay_alu instid0(SALU_CYCLE_1) | instskip(NEXT) | instid1(SALU_CYCLE_1)
	s_and_b32 s13, s12, vcc_lo
	s_and_saveexec_b32 s12, s13
	s_cbranch_execz .LBB126_854
; %bb.853:
	v_ashrrev_i32_e32 v135, 31, v134
	s_delay_alu instid0(VALU_DEP_1)
	v_lshl_add_u64 v[142:143], v[134:135], 2, v[4:5]
	s_clause 0x1
	global_load_b32 v135, v[142:143], off
	global_load_b32 v141, v[4:5], off offset:160
	s_wait_loadcnt 0x1
	global_store_b32 v[4:5], v135, off offset:160
	s_wait_loadcnt 0x0
	global_store_b32 v[142:143], v141, off
.LBB126_854:
	s_wait_xcnt 0x0
	s_or_b32 exec_lo, exec_lo, s12
	v_dual_mov_b32 v142, v134 :: v_dual_mov_b32 v141, v134
.LBB126_855:
	s_or_b32 exec_lo, exec_lo, s1
.LBB126_856:
	s_and_not1_saveexec_b32 s0, s0
	s_cbranch_execz .LBB126_858
; %bb.857:
	v_mov_b32_e32 v142, 40
	ds_store_2addr_b64 v138, v[64:65], v[66:67] offset0:41 offset1:42
	ds_store_2addr_b64 v138, v[18:19], v[60:61] offset0:43 offset1:44
	;; [unrolled: 1-line block ×11, first 2 shown]
	ds_store_b64 v138, v[132:133] offset:504
.LBB126_858:
	s_or_b32 exec_lo, exec_lo, s0
	s_delay_alu instid0(SALU_CYCLE_1)
	s_mov_b32 s0, exec_lo
	s_wait_storecnt_dscnt 0x0
	s_barrier_signal -1
	s_barrier_wait -1
	v_cmpx_lt_i32_e32 40, v142
	s_cbranch_execz .LBB126_860
; %bb.859:
	v_pk_mul_f32 v[144:145], v[136:137], v[68:69] op_sel:[1,1] op_sel_hi:[0,1]
	s_delay_alu instid0(VALU_DEP_1)
	v_pk_fma_f32 v[134:135], v[136:137], v[68:69], v[144:145] op_sel_hi:[1,0,1] neg_lo:[0,0,1] neg_hi:[0,0,1]
	v_pk_fma_f32 v[136:137], v[136:137], v[68:69], v[144:145] op_sel_hi:[1,0,1]
	ds_load_2addr_b64 v[144:147], v138 offset0:41 offset1:42
	v_dual_mov_b32 v68, v134 :: v_dual_mov_b32 v69, v137
	s_wait_dscnt 0x0
	v_pk_mul_f32 v[148:149], v[144:145], v[136:137] op_sel:[0,1]
	s_delay_alu instid0(VALU_DEP_1) | instskip(SKIP_1) | instid1(VALU_DEP_1)
	v_pk_fma_f32 v[150:151], v[144:145], v[134:135], v[148:149] op_sel:[0,0,1] op_sel_hi:[1,1,0] neg_lo:[0,0,1] neg_hi:[0,0,1]
	v_pk_fma_f32 v[144:145], v[144:145], v[134:135], v[148:149] op_sel:[0,0,1] op_sel_hi:[1,0,0]
	v_mov_b32_e32 v151, v145
	v_pk_mul_f32 v[144:145], v[146:147], v[136:137] op_sel:[0,1]
	s_delay_alu instid0(VALU_DEP_1) | instskip(SKIP_1) | instid1(VALU_DEP_1)
	v_pk_fma_f32 v[148:149], v[146:147], v[134:135], v[144:145] op_sel:[0,0,1] op_sel_hi:[1,1,0] neg_lo:[0,0,1] neg_hi:[0,0,1]
	v_pk_fma_f32 v[144:145], v[146:147], v[134:135], v[144:145] op_sel:[0,0,1] op_sel_hi:[1,0,0]
	v_mov_b32_e32 v149, v145
	ds_load_2addr_b64 v[144:147], v138 offset0:43 offset1:44
	v_pk_add_f32 v[64:65], v[64:65], v[150:151] neg_lo:[0,1] neg_hi:[0,1]
	v_pk_add_f32 v[66:67], v[66:67], v[148:149] neg_lo:[0,1] neg_hi:[0,1]
	s_wait_dscnt 0x0
	v_pk_mul_f32 v[148:149], v[144:145], v[136:137] op_sel:[0,1]
	s_delay_alu instid0(VALU_DEP_1) | instskip(SKIP_2) | instid1(VALU_DEP_2)
	v_pk_fma_f32 v[150:151], v[144:145], v[134:135], v[148:149] op_sel:[0,0,1] op_sel_hi:[1,1,0] neg_lo:[0,0,1] neg_hi:[0,0,1]
	v_pk_fma_f32 v[144:145], v[144:145], v[134:135], v[148:149] op_sel:[0,0,1] op_sel_hi:[1,0,0]
	v_dual_mul_f32 v148, v147, v137 :: v_dual_mov_b32 v144, v147
	v_dual_mov_b32 v151, v145 :: v_dual_mov_b32 v145, v146
	s_delay_alu instid0(VALU_DEP_2) | instskip(SKIP_1) | instid1(VALU_DEP_3)
	v_pk_fma_f32 v[148:149], v[146:147], v[68:69], v[148:149] op_sel_hi:[1,1,0] neg_lo:[0,0,1] neg_hi:[0,0,1]
	v_mul_f32_e32 v146, v147, v134
	v_pk_add_f32 v[18:19], v[18:19], v[150:151] neg_lo:[0,1] neg_hi:[0,1]
	s_delay_alu instid0(VALU_DEP_2) | instskip(NEXT) | instid1(VALU_DEP_1)
	v_pk_fma_f32 v[144:145], v[144:145], v[68:69], v[146:147] op_sel_hi:[1,1,0]
	v_mov_b32_e32 v149, v145
	ds_load_2addr_b64 v[144:147], v138 offset0:45 offset1:46
	v_pk_add_f32 v[60:61], v[60:61], v[148:149] neg_lo:[0,1] neg_hi:[0,1]
	s_wait_dscnt 0x0
	v_pk_mul_f32 v[148:149], v[144:145], v[136:137] op_sel:[0,1]
	s_delay_alu instid0(VALU_DEP_1) | instskip(SKIP_1) | instid1(VALU_DEP_1)
	v_pk_fma_f32 v[150:151], v[144:145], v[134:135], v[148:149] op_sel:[0,0,1] op_sel_hi:[1,1,0] neg_lo:[0,0,1] neg_hi:[0,0,1]
	v_pk_fma_f32 v[144:145], v[144:145], v[134:135], v[148:149] op_sel:[0,0,1] op_sel_hi:[1,0,0]
	v_mov_b32_e32 v151, v145
	v_pk_mul_f32 v[144:145], v[146:147], v[136:137] op_sel:[0,1]
	s_delay_alu instid0(VALU_DEP_1) | instskip(SKIP_1) | instid1(VALU_DEP_1)
	v_pk_fma_f32 v[148:149], v[146:147], v[134:135], v[144:145] op_sel:[0,0,1] op_sel_hi:[1,1,0] neg_lo:[0,0,1] neg_hi:[0,0,1]
	v_pk_fma_f32 v[144:145], v[146:147], v[134:135], v[144:145] op_sel:[0,0,1] op_sel_hi:[1,0,0]
	v_mov_b32_e32 v149, v145
	ds_load_2addr_b64 v[144:147], v138 offset0:47 offset1:48
	v_pk_add_f32 v[56:57], v[56:57], v[150:151] neg_lo:[0,1] neg_hi:[0,1]
	v_pk_add_f32 v[58:59], v[58:59], v[148:149] neg_lo:[0,1] neg_hi:[0,1]
	s_wait_dscnt 0x0
	v_pk_mul_f32 v[148:149], v[144:145], v[136:137] op_sel:[0,1]
	s_delay_alu instid0(VALU_DEP_1) | instskip(SKIP_1) | instid1(VALU_DEP_1)
	v_pk_fma_f32 v[150:151], v[144:145], v[134:135], v[148:149] op_sel:[0,0,1] op_sel_hi:[1,1,0] neg_lo:[0,0,1] neg_hi:[0,0,1]
	v_pk_fma_f32 v[144:145], v[144:145], v[134:135], v[148:149] op_sel:[0,0,1] op_sel_hi:[1,0,0]
	v_mov_b32_e32 v151, v145
	v_pk_mul_f32 v[144:145], v[146:147], v[136:137] op_sel:[0,1]
	s_delay_alu instid0(VALU_DEP_1) | instskip(SKIP_1) | instid1(VALU_DEP_1)
	v_pk_fma_f32 v[148:149], v[146:147], v[134:135], v[144:145] op_sel:[0,0,1] op_sel_hi:[1,1,0] neg_lo:[0,0,1] neg_hi:[0,0,1]
	v_pk_fma_f32 v[144:145], v[146:147], v[134:135], v[144:145] op_sel:[0,0,1] op_sel_hi:[1,0,0]
	v_mov_b32_e32 v149, v145
	ds_load_2addr_b64 v[144:147], v138 offset0:49 offset1:50
	v_pk_add_f32 v[12:13], v[12:13], v[150:151] neg_lo:[0,1] neg_hi:[0,1]
	v_pk_add_f32 v[54:55], v[54:55], v[148:149] neg_lo:[0,1] neg_hi:[0,1]
	s_wait_dscnt 0x0
	v_dual_mul_f32 v148, v145, v137 :: v_dual_mul_f32 v150, v145, v134
	s_delay_alu instid0(VALU_DEP_1) | instskip(NEXT) | instid1(VALU_DEP_2)
	v_pk_fma_f32 v[148:149], v[144:145], v[68:69], v[148:149] op_sel_hi:[1,1,0] neg_lo:[0,0,1] neg_hi:[0,0,1]
	v_pk_fma_f32 v[144:145], v[144:145], v[68:69], v[150:151] op_sel:[1,0,0] op_sel_hi:[0,1,0]
	s_delay_alu instid0(VALU_DEP_1) | instskip(SKIP_1) | instid1(VALU_DEP_2)
	v_mov_b32_e32 v149, v145
	v_pk_mul_f32 v[144:145], v[146:147], v[136:137] op_sel:[0,1]
	v_pk_add_f32 v[52:53], v[52:53], v[148:149] neg_lo:[0,1] neg_hi:[0,1]
	s_delay_alu instid0(VALU_DEP_2) | instskip(SKIP_1) | instid1(VALU_DEP_1)
	v_pk_fma_f32 v[148:149], v[146:147], v[134:135], v[144:145] op_sel:[0,0,1] op_sel_hi:[1,1,0] neg_lo:[0,0,1] neg_hi:[0,0,1]
	v_pk_fma_f32 v[144:145], v[146:147], v[134:135], v[144:145] op_sel:[0,0,1] op_sel_hi:[1,0,0]
	v_mov_b32_e32 v149, v145
	ds_load_2addr_b64 v[144:147], v138 offset0:51 offset1:52
	v_pk_add_f32 v[62:63], v[62:63], v[148:149] neg_lo:[0,1] neg_hi:[0,1]
	s_wait_dscnt 0x0
	v_pk_mul_f32 v[148:149], v[144:145], v[136:137] op_sel:[0,1]
	s_delay_alu instid0(VALU_DEP_1) | instskip(SKIP_1) | instid1(VALU_DEP_1)
	v_pk_fma_f32 v[150:151], v[144:145], v[134:135], v[148:149] op_sel:[0,0,1] op_sel_hi:[1,1,0] neg_lo:[0,0,1] neg_hi:[0,0,1]
	v_pk_fma_f32 v[144:145], v[144:145], v[134:135], v[148:149] op_sel:[0,0,1] op_sel_hi:[1,0,0]
	v_mov_b32_e32 v151, v145
	v_pk_mul_f32 v[144:145], v[146:147], v[136:137] op_sel:[0,1]
	s_delay_alu instid0(VALU_DEP_2) | instskip(NEXT) | instid1(VALU_DEP_2)
	v_pk_add_f32 v[16:17], v[16:17], v[150:151] neg_lo:[0,1] neg_hi:[0,1]
	v_pk_fma_f32 v[148:149], v[146:147], v[134:135], v[144:145] op_sel:[0,0,1] op_sel_hi:[1,1,0] neg_lo:[0,0,1] neg_hi:[0,0,1]
	v_pk_fma_f32 v[144:145], v[146:147], v[134:135], v[144:145] op_sel:[0,0,1] op_sel_hi:[1,0,0]
	s_delay_alu instid0(VALU_DEP_1) | instskip(SKIP_4) | instid1(VALU_DEP_1)
	v_mov_b32_e32 v149, v145
	ds_load_2addr_b64 v[144:147], v138 offset0:53 offset1:54
	v_pk_add_f32 v[48:49], v[48:49], v[148:149] neg_lo:[0,1] neg_hi:[0,1]
	s_wait_dscnt 0x0
	v_pk_mul_f32 v[148:149], v[144:145], v[136:137] op_sel:[0,1]
	v_pk_fma_f32 v[150:151], v[144:145], v[134:135], v[148:149] op_sel:[0,0,1] op_sel_hi:[1,1,0] neg_lo:[0,0,1] neg_hi:[0,0,1]
	v_pk_fma_f32 v[144:145], v[144:145], v[134:135], v[148:149] op_sel:[0,0,1] op_sel_hi:[1,0,0]
	v_dual_mul_f32 v148, v147, v137 :: v_dual_mov_b32 v144, v147
	s_delay_alu instid0(VALU_DEP_2) | instskip(NEXT) | instid1(VALU_DEP_2)
	v_dual_mov_b32 v151, v145 :: v_dual_mov_b32 v145, v146
	v_pk_fma_f32 v[148:149], v[146:147], v[68:69], v[148:149] op_sel_hi:[1,1,0] neg_lo:[0,0,1] neg_hi:[0,0,1]
	v_mul_f32_e32 v146, v147, v134
	s_delay_alu instid0(VALU_DEP_3) | instskip(NEXT) | instid1(VALU_DEP_2)
	v_pk_add_f32 v[42:43], v[42:43], v[150:151] neg_lo:[0,1] neg_hi:[0,1]
	v_pk_fma_f32 v[144:145], v[144:145], v[68:69], v[146:147] op_sel_hi:[1,1,0]
	s_delay_alu instid0(VALU_DEP_1) | instskip(SKIP_4) | instid1(VALU_DEP_1)
	v_mov_b32_e32 v149, v145
	ds_load_2addr_b64 v[144:147], v138 offset0:55 offset1:56
	v_pk_add_f32 v[46:47], v[46:47], v[148:149] neg_lo:[0,1] neg_hi:[0,1]
	s_wait_dscnt 0x0
	v_pk_mul_f32 v[148:149], v[144:145], v[136:137] op_sel:[0,1]
	v_pk_fma_f32 v[150:151], v[144:145], v[134:135], v[148:149] op_sel:[0,0,1] op_sel_hi:[1,1,0] neg_lo:[0,0,1] neg_hi:[0,0,1]
	v_pk_fma_f32 v[144:145], v[144:145], v[134:135], v[148:149] op_sel:[0,0,1] op_sel_hi:[1,0,0]
	s_delay_alu instid0(VALU_DEP_1) | instskip(SKIP_1) | instid1(VALU_DEP_1)
	v_mov_b32_e32 v151, v145
	v_pk_mul_f32 v[144:145], v[146:147], v[136:137] op_sel:[0,1]
	v_pk_fma_f32 v[148:149], v[146:147], v[134:135], v[144:145] op_sel:[0,0,1] op_sel_hi:[1,1,0] neg_lo:[0,0,1] neg_hi:[0,0,1]
	v_pk_fma_f32 v[144:145], v[146:147], v[134:135], v[144:145] op_sel:[0,0,1] op_sel_hi:[1,0,0]
	s_delay_alu instid0(VALU_DEP_1)
	v_mov_b32_e32 v149, v145
	ds_load_2addr_b64 v[144:147], v138 offset0:57 offset1:58
	v_pk_add_f32 v[8:9], v[8:9], v[150:151] neg_lo:[0,1] neg_hi:[0,1]
	v_pk_add_f32 v[32:33], v[32:33], v[148:149] neg_lo:[0,1] neg_hi:[0,1]
	s_wait_dscnt 0x0
	v_pk_mul_f32 v[148:149], v[144:145], v[136:137] op_sel:[0,1]
	s_delay_alu instid0(VALU_DEP_1) | instskip(SKIP_1) | instid1(VALU_DEP_1)
	v_pk_fma_f32 v[150:151], v[144:145], v[134:135], v[148:149] op_sel:[0,0,1] op_sel_hi:[1,1,0] neg_lo:[0,0,1] neg_hi:[0,0,1]
	v_pk_fma_f32 v[144:145], v[144:145], v[134:135], v[148:149] op_sel:[0,0,1] op_sel_hi:[1,0,0]
	v_mov_b32_e32 v151, v145
	v_pk_mul_f32 v[144:145], v[146:147], v[136:137] op_sel:[0,1]
	s_delay_alu instid0(VALU_DEP_1) | instskip(SKIP_1) | instid1(VALU_DEP_1)
	v_pk_fma_f32 v[148:149], v[146:147], v[134:135], v[144:145] op_sel:[0,0,1] op_sel_hi:[1,1,0] neg_lo:[0,0,1] neg_hi:[0,0,1]
	v_pk_fma_f32 v[144:145], v[146:147], v[134:135], v[144:145] op_sel:[0,0,1] op_sel_hi:[1,0,0]
	v_mov_b32_e32 v149, v145
	ds_load_2addr_b64 v[144:147], v138 offset0:59 offset1:60
	v_pk_add_f32 v[28:29], v[28:29], v[150:151] neg_lo:[0,1] neg_hi:[0,1]
	v_pk_add_f32 v[30:31], v[30:31], v[148:149] neg_lo:[0,1] neg_hi:[0,1]
	s_wait_dscnt 0x0
	v_dual_mul_f32 v148, v145, v137 :: v_dual_mul_f32 v150, v145, v134
	s_delay_alu instid0(VALU_DEP_1) | instskip(NEXT) | instid1(VALU_DEP_2)
	v_pk_fma_f32 v[148:149], v[144:145], v[68:69], v[148:149] op_sel_hi:[1,1,0] neg_lo:[0,0,1] neg_hi:[0,0,1]
	v_pk_fma_f32 v[144:145], v[144:145], v[68:69], v[150:151] op_sel:[1,0,0] op_sel_hi:[0,1,0]
	s_delay_alu instid0(VALU_DEP_1) | instskip(SKIP_1) | instid1(VALU_DEP_2)
	v_mov_b32_e32 v149, v145
	v_pk_mul_f32 v[144:145], v[146:147], v[136:137] op_sel:[0,1]
	v_pk_add_f32 v[6:7], v[6:7], v[148:149] neg_lo:[0,1] neg_hi:[0,1]
	s_delay_alu instid0(VALU_DEP_2) | instskip(SKIP_1) | instid1(VALU_DEP_1)
	v_pk_fma_f32 v[148:149], v[146:147], v[134:135], v[144:145] op_sel:[0,0,1] op_sel_hi:[1,1,0] neg_lo:[0,0,1] neg_hi:[0,0,1]
	v_pk_fma_f32 v[144:145], v[146:147], v[134:135], v[144:145] op_sel:[0,0,1] op_sel_hi:[1,0,0]
	v_mov_b32_e32 v149, v145
	ds_load_2addr_b64 v[144:147], v138 offset0:61 offset1:62
	v_pk_add_f32 v[20:21], v[20:21], v[148:149] neg_lo:[0,1] neg_hi:[0,1]
	s_wait_dscnt 0x0
	v_pk_mul_f32 v[148:149], v[144:145], v[136:137] op_sel:[0,1]
	s_delay_alu instid0(VALU_DEP_1) | instskip(SKIP_1) | instid1(VALU_DEP_1)
	v_pk_fma_f32 v[150:151], v[144:145], v[134:135], v[148:149] op_sel:[0,0,1] op_sel_hi:[1,1,0] neg_lo:[0,0,1] neg_hi:[0,0,1]
	v_pk_fma_f32 v[144:145], v[144:145], v[134:135], v[148:149] op_sel:[0,0,1] op_sel_hi:[1,0,0]
	v_mov_b32_e32 v151, v145
	v_pk_mul_f32 v[144:145], v[146:147], v[136:137] op_sel:[0,1]
	s_delay_alu instid0(VALU_DEP_2) | instskip(NEXT) | instid1(VALU_DEP_2)
	v_pk_add_f32 v[14:15], v[14:15], v[150:151] neg_lo:[0,1] neg_hi:[0,1]
	v_pk_fma_f32 v[148:149], v[146:147], v[134:135], v[144:145] op_sel:[0,0,1] op_sel_hi:[1,1,0] neg_lo:[0,0,1] neg_hi:[0,0,1]
	v_pk_fma_f32 v[144:145], v[146:147], v[134:135], v[144:145] op_sel:[0,0,1] op_sel_hi:[1,0,0]
	s_delay_alu instid0(VALU_DEP_1) | instskip(SKIP_4) | instid1(VALU_DEP_1)
	v_mov_b32_e32 v149, v145
	ds_load_b64 v[144:145], v138 offset:504
	v_pk_add_f32 v[10:11], v[10:11], v[148:149] neg_lo:[0,1] neg_hi:[0,1]
	s_wait_dscnt 0x0
	v_pk_mul_f32 v[136:137], v[144:145], v[136:137] op_sel:[0,1]
	v_pk_fma_f32 v[146:147], v[144:145], v[134:135], v[136:137] op_sel:[0,0,1] op_sel_hi:[1,1,0] neg_lo:[0,0,1] neg_hi:[0,0,1]
	v_pk_fma_f32 v[134:135], v[144:145], v[134:135], v[136:137] op_sel:[0,0,1] op_sel_hi:[1,0,0]
	s_delay_alu instid0(VALU_DEP_1) | instskip(NEXT) | instid1(VALU_DEP_1)
	v_mov_b32_e32 v147, v135
	v_pk_add_f32 v[132:133], v[132:133], v[146:147] neg_lo:[0,1] neg_hi:[0,1]
.LBB126_860:
	s_or_b32 exec_lo, exec_lo, s0
	v_lshl_add_u32 v134, v142, 3, v138
	s_barrier_signal -1
	s_barrier_wait -1
	ds_store_b64 v134, v[64:65]
	s_wait_dscnt 0x0
	s_barrier_signal -1
	s_barrier_wait -1
	ds_load_b64 v[136:137], v138 offset:328
	v_mov_b32_e32 v134, 41
	s_cmp_lt_i32 s18, 43
	s_cbranch_scc1 .LBB126_863
; %bb.861:
	v_add3_u32 v135, v139, 0, 0x150
	v_mov_b32_e32 v134, 41
	s_mov_b32 s0, 42
.LBB126_862:                            ; =>This Inner Loop Header: Depth=1
	ds_load_b64 v[144:145], v135
	s_wait_dscnt 0x1
	v_cmp_gt_f32_e32 vcc_lo, 0, v136
	v_cndmask_b32_e64 v146, v136, -v136, vcc_lo
	v_cmp_gt_f32_e32 vcc_lo, 0, v137
	v_cndmask_b32_e64 v148, v137, -v137, vcc_lo
	s_wait_dscnt 0x0
	v_cmp_gt_f32_e32 vcc_lo, 0, v144
	v_cndmask_b32_e64 v147, v144, -v144, vcc_lo
	v_cmp_gt_f32_e32 vcc_lo, 0, v145
	v_cndmask_b32_e64 v149, v145, -v145, vcc_lo
	s_delay_alu instid0(VALU_DEP_1) | instskip(NEXT) | instid1(VALU_DEP_1)
	v_pk_add_f32 v[146:147], v[146:147], v[148:149]
	v_cmp_lt_f32_e32 vcc_lo, v146, v147
	v_dual_add_nc_u32 v135, 8, v135 :: v_dual_cndmask_b32 v137, v137, v145, vcc_lo
	v_cndmask_b32_e32 v136, v136, v144, vcc_lo
	v_cndmask_b32_e64 v134, v134, s0, vcc_lo
	s_add_co_i32 s0, s0, 1
	s_delay_alu instid0(SALU_CYCLE_1)
	s_cmp_lg_u32 s18, s0
	s_cbranch_scc1 .LBB126_862
.LBB126_863:
	s_wait_dscnt 0x0
	v_cmp_eq_f32_e32 vcc_lo, 0, v136
	v_cmp_eq_f32_e64 s0, 0, v137
	s_and_b32 s0, vcc_lo, s0
	s_delay_alu instid0(SALU_CYCLE_1) | instskip(NEXT) | instid1(SALU_CYCLE_1)
	s_and_saveexec_b32 s1, s0
	s_xor_b32 s0, exec_lo, s1
; %bb.864:
	v_cmp_ne_u32_e32 vcc_lo, 0, v140
	v_cndmask_b32_e32 v140, 42, v140, vcc_lo
; %bb.865:
	s_and_not1_saveexec_b32 s0, s0
	s_cbranch_execz .LBB126_871
; %bb.866:
	v_cmp_ngt_f32_e64 s1, |v136|, |v137|
	s_and_saveexec_b32 s12, s1
	s_delay_alu instid0(SALU_CYCLE_1)
	s_xor_b32 s1, exec_lo, s12
	s_cbranch_execz .LBB126_868
; %bb.867:
	v_div_scale_f32 v135, null, v137, v137, v136
	v_div_scale_f32 v145, vcc_lo, v136, v137, v136
	s_delay_alu instid0(VALU_DEP_2) | instskip(SKIP_1) | instid1(TRANS32_DEP_1)
	v_rcp_f32_e32 v143, v135
	v_nop
	v_fma_f32 v144, -v135, v143, 1.0
	s_delay_alu instid0(VALU_DEP_1) | instskip(NEXT) | instid1(VALU_DEP_1)
	v_fmac_f32_e32 v143, v144, v143
	v_mul_f32_e32 v144, v145, v143
	s_delay_alu instid0(VALU_DEP_1) | instskip(NEXT) | instid1(VALU_DEP_1)
	v_fma_f32 v146, -v135, v144, v145
	v_fmac_f32_e32 v144, v146, v143
	s_delay_alu instid0(VALU_DEP_1) | instskip(NEXT) | instid1(VALU_DEP_1)
	v_fma_f32 v135, -v135, v144, v145
	v_div_fmas_f32 v135, v135, v143, v144
	s_delay_alu instid0(VALU_DEP_1) | instskip(NEXT) | instid1(VALU_DEP_1)
	v_div_fixup_f32 v135, v135, v137, v136
	v_fmac_f32_e32 v137, v136, v135
	s_delay_alu instid0(VALU_DEP_1) | instskip(SKIP_1) | instid1(VALU_DEP_2)
	v_div_scale_f32 v136, null, v137, v137, 1.0
	v_div_scale_f32 v145, vcc_lo, 1.0, v137, 1.0
	v_rcp_f32_e32 v143, v136
	v_nop
	s_delay_alu instid0(TRANS32_DEP_1) | instskip(NEXT) | instid1(VALU_DEP_1)
	v_fma_f32 v144, -v136, v143, 1.0
	v_fmac_f32_e32 v143, v144, v143
	s_delay_alu instid0(VALU_DEP_1) | instskip(NEXT) | instid1(VALU_DEP_1)
	v_mul_f32_e32 v144, v145, v143
	v_fma_f32 v146, -v136, v144, v145
	s_delay_alu instid0(VALU_DEP_1) | instskip(NEXT) | instid1(VALU_DEP_1)
	v_fmac_f32_e32 v144, v146, v143
	v_fma_f32 v136, -v136, v144, v145
	s_delay_alu instid0(VALU_DEP_1) | instskip(NEXT) | instid1(VALU_DEP_1)
	v_div_fmas_f32 v136, v136, v143, v144
	v_div_fixup_f32 v137, v136, v137, 1.0
	s_delay_alu instid0(VALU_DEP_1)
	v_mul_f32_e32 v136, v135, v137
	v_xor_b32_e32 v137, 0x80000000, v137
.LBB126_868:
	s_and_not1_saveexec_b32 s1, s1
	s_cbranch_execz .LBB126_870
; %bb.869:
	s_delay_alu instid0(VALU_DEP_1) | instskip(SKIP_1) | instid1(VALU_DEP_2)
	v_div_scale_f32 v135, null, v136, v136, v137
	v_div_scale_f32 v145, vcc_lo, v137, v136, v137
	v_rcp_f32_e32 v143, v135
	v_nop
	s_delay_alu instid0(TRANS32_DEP_1) | instskip(NEXT) | instid1(VALU_DEP_1)
	v_fma_f32 v144, -v135, v143, 1.0
	v_fmac_f32_e32 v143, v144, v143
	s_delay_alu instid0(VALU_DEP_1) | instskip(NEXT) | instid1(VALU_DEP_1)
	v_mul_f32_e32 v144, v145, v143
	v_fma_f32 v146, -v135, v144, v145
	s_delay_alu instid0(VALU_DEP_1) | instskip(NEXT) | instid1(VALU_DEP_1)
	v_fmac_f32_e32 v144, v146, v143
	v_fma_f32 v135, -v135, v144, v145
	s_delay_alu instid0(VALU_DEP_1) | instskip(NEXT) | instid1(VALU_DEP_1)
	v_div_fmas_f32 v135, v135, v143, v144
	v_div_fixup_f32 v135, v135, v136, v137
	s_delay_alu instid0(VALU_DEP_1) | instskip(NEXT) | instid1(VALU_DEP_1)
	v_fmac_f32_e32 v136, v137, v135
	v_div_scale_f32 v137, null, v136, v136, 1.0
	s_delay_alu instid0(VALU_DEP_1) | instskip(SKIP_1) | instid1(TRANS32_DEP_1)
	v_rcp_f32_e32 v143, v137
	v_nop
	v_fma_f32 v144, -v137, v143, 1.0
	s_delay_alu instid0(VALU_DEP_1) | instskip(SKIP_1) | instid1(VALU_DEP_1)
	v_fmac_f32_e32 v143, v144, v143
	v_div_scale_f32 v144, vcc_lo, 1.0, v136, 1.0
	v_mul_f32_e32 v145, v144, v143
	s_delay_alu instid0(VALU_DEP_1) | instskip(NEXT) | instid1(VALU_DEP_1)
	v_fma_f32 v146, -v137, v145, v144
	v_fmac_f32_e32 v145, v146, v143
	s_delay_alu instid0(VALU_DEP_1) | instskip(NEXT) | instid1(VALU_DEP_1)
	v_fma_f32 v137, -v137, v145, v144
	v_div_fmas_f32 v137, v137, v143, v145
	s_delay_alu instid0(VALU_DEP_1) | instskip(NEXT) | instid1(VALU_DEP_1)
	v_div_fixup_f32 v136, v137, v136, 1.0
	v_mul_f32_e64 v137, v135, -v136
.LBB126_870:
	s_or_b32 exec_lo, exec_lo, s1
.LBB126_871:
	s_delay_alu instid0(SALU_CYCLE_1) | instskip(NEXT) | instid1(SALU_CYCLE_1)
	s_or_b32 exec_lo, exec_lo, s0
	s_mov_b32 s0, exec_lo
	v_cmpx_ne_u32_e64 v142, v134
	s_xor_b32 s0, exec_lo, s0
	s_cbranch_execz .LBB126_877
; %bb.872:
	s_mov_b32 s1, exec_lo
	v_cmpx_eq_u32_e32 41, v142
	s_cbranch_execz .LBB126_876
; %bb.873:
	v_cmp_ne_u32_e32 vcc_lo, 41, v134
	s_xor_b32 s12, s16, -1
	s_delay_alu instid0(SALU_CYCLE_1) | instskip(NEXT) | instid1(SALU_CYCLE_1)
	s_and_b32 s13, s12, vcc_lo
	s_and_saveexec_b32 s12, s13
	s_cbranch_execz .LBB126_875
; %bb.874:
	v_ashrrev_i32_e32 v135, 31, v134
	s_delay_alu instid0(VALU_DEP_1)
	v_lshl_add_u64 v[142:143], v[134:135], 2, v[4:5]
	s_clause 0x1
	global_load_b32 v135, v[142:143], off
	global_load_b32 v141, v[4:5], off offset:164
	s_wait_loadcnt 0x1
	global_store_b32 v[4:5], v135, off offset:164
	s_wait_loadcnt 0x0
	global_store_b32 v[142:143], v141, off
.LBB126_875:
	s_wait_xcnt 0x0
	s_or_b32 exec_lo, exec_lo, s12
	v_dual_mov_b32 v142, v134 :: v_dual_mov_b32 v141, v134
.LBB126_876:
	s_or_b32 exec_lo, exec_lo, s1
.LBB126_877:
	s_and_not1_saveexec_b32 s0, s0
	s_cbranch_execz .LBB126_879
; %bb.878:
	v_dual_mov_b32 v134, v66 :: v_dual_mov_b32 v135, v67
	v_dual_mov_b32 v142, v18 :: v_dual_mov_b32 v143, v19
	ds_store_2addr_b64 v138, v[134:135], v[142:143] offset0:42 offset1:43
	v_dual_mov_b32 v134, v60 :: v_dual_mov_b32 v135, v61
	v_dual_mov_b32 v142, v56 :: v_dual_mov_b32 v143, v57
	ds_store_2addr_b64 v138, v[134:135], v[142:143] offset0:44 offset1:45
	;; [unrolled: 3-line block ×10, first 2 shown]
	v_dual_mov_b32 v134, v10 :: v_dual_mov_b32 v135, v11
	v_mov_b32_e32 v142, 41
	ds_store_2addr_b64 v138, v[134:135], v[132:133] offset0:62 offset1:63
.LBB126_879:
	s_or_b32 exec_lo, exec_lo, s0
	s_delay_alu instid0(SALU_CYCLE_1)
	s_mov_b32 s0, exec_lo
	s_wait_storecnt_dscnt 0x0
	s_barrier_signal -1
	s_barrier_wait -1
	v_cmpx_lt_i32_e32 41, v142
	s_cbranch_execz .LBB126_881
; %bb.880:
	v_pk_mul_f32 v[144:145], v[136:137], v[64:65] op_sel:[1,1] op_sel_hi:[0,1]
	s_delay_alu instid0(VALU_DEP_1)
	v_pk_fma_f32 v[134:135], v[136:137], v[64:65], v[144:145] op_sel_hi:[1,0,1] neg_lo:[0,0,1] neg_hi:[0,0,1]
	v_pk_fma_f32 v[136:137], v[136:137], v[64:65], v[144:145] op_sel_hi:[1,0,1]
	ds_load_2addr_b64 v[144:147], v138 offset0:42 offset1:43
	v_dual_mov_b32 v64, v134 :: v_dual_mov_b32 v65, v137
	s_wait_dscnt 0x0
	v_pk_mul_f32 v[148:149], v[144:145], v[136:137] op_sel:[0,1]
	s_delay_alu instid0(VALU_DEP_1) | instskip(SKIP_1) | instid1(VALU_DEP_1)
	v_pk_fma_f32 v[150:151], v[144:145], v[134:135], v[148:149] op_sel:[0,0,1] op_sel_hi:[1,1,0] neg_lo:[0,0,1] neg_hi:[0,0,1]
	v_pk_fma_f32 v[144:145], v[144:145], v[134:135], v[148:149] op_sel:[0,0,1] op_sel_hi:[1,0,0]
	v_mov_b32_e32 v151, v145
	v_pk_mul_f32 v[144:145], v[146:147], v[136:137] op_sel:[0,1]
	s_delay_alu instid0(VALU_DEP_1) | instskip(SKIP_1) | instid1(VALU_DEP_1)
	v_pk_fma_f32 v[148:149], v[146:147], v[134:135], v[144:145] op_sel:[0,0,1] op_sel_hi:[1,1,0] neg_lo:[0,0,1] neg_hi:[0,0,1]
	v_pk_fma_f32 v[144:145], v[146:147], v[134:135], v[144:145] op_sel:[0,0,1] op_sel_hi:[1,0,0]
	v_mov_b32_e32 v149, v145
	ds_load_2addr_b64 v[144:147], v138 offset0:44 offset1:45
	v_pk_add_f32 v[66:67], v[66:67], v[150:151] neg_lo:[0,1] neg_hi:[0,1]
	v_pk_add_f32 v[18:19], v[18:19], v[148:149] neg_lo:[0,1] neg_hi:[0,1]
	s_wait_dscnt 0x0
	v_pk_mul_f32 v[148:149], v[144:145], v[136:137] op_sel:[0,1]
	s_delay_alu instid0(VALU_DEP_1) | instskip(SKIP_2) | instid1(VALU_DEP_2)
	v_pk_fma_f32 v[150:151], v[144:145], v[134:135], v[148:149] op_sel:[0,0,1] op_sel_hi:[1,1,0] neg_lo:[0,0,1] neg_hi:[0,0,1]
	v_pk_fma_f32 v[144:145], v[144:145], v[134:135], v[148:149] op_sel:[0,0,1] op_sel_hi:[1,0,0]
	v_dual_mul_f32 v148, v147, v137 :: v_dual_mov_b32 v144, v147
	v_dual_mov_b32 v151, v145 :: v_dual_mov_b32 v145, v146
	s_delay_alu instid0(VALU_DEP_2) | instskip(SKIP_1) | instid1(VALU_DEP_3)
	v_pk_fma_f32 v[148:149], v[146:147], v[64:65], v[148:149] op_sel_hi:[1,1,0] neg_lo:[0,0,1] neg_hi:[0,0,1]
	v_mul_f32_e32 v146, v147, v134
	v_pk_add_f32 v[60:61], v[60:61], v[150:151] neg_lo:[0,1] neg_hi:[0,1]
	s_delay_alu instid0(VALU_DEP_2) | instskip(NEXT) | instid1(VALU_DEP_1)
	v_pk_fma_f32 v[144:145], v[144:145], v[64:65], v[146:147] op_sel_hi:[1,1,0]
	v_mov_b32_e32 v149, v145
	ds_load_2addr_b64 v[144:147], v138 offset0:46 offset1:47
	v_pk_add_f32 v[56:57], v[56:57], v[148:149] neg_lo:[0,1] neg_hi:[0,1]
	s_wait_dscnt 0x0
	v_pk_mul_f32 v[148:149], v[144:145], v[136:137] op_sel:[0,1]
	s_delay_alu instid0(VALU_DEP_1) | instskip(SKIP_1) | instid1(VALU_DEP_1)
	v_pk_fma_f32 v[150:151], v[144:145], v[134:135], v[148:149] op_sel:[0,0,1] op_sel_hi:[1,1,0] neg_lo:[0,0,1] neg_hi:[0,0,1]
	v_pk_fma_f32 v[144:145], v[144:145], v[134:135], v[148:149] op_sel:[0,0,1] op_sel_hi:[1,0,0]
	v_mov_b32_e32 v151, v145
	v_pk_mul_f32 v[144:145], v[146:147], v[136:137] op_sel:[0,1]
	s_delay_alu instid0(VALU_DEP_1) | instskip(SKIP_1) | instid1(VALU_DEP_1)
	v_pk_fma_f32 v[148:149], v[146:147], v[134:135], v[144:145] op_sel:[0,0,1] op_sel_hi:[1,1,0] neg_lo:[0,0,1] neg_hi:[0,0,1]
	v_pk_fma_f32 v[144:145], v[146:147], v[134:135], v[144:145] op_sel:[0,0,1] op_sel_hi:[1,0,0]
	v_mov_b32_e32 v149, v145
	ds_load_2addr_b64 v[144:147], v138 offset0:48 offset1:49
	v_pk_add_f32 v[58:59], v[58:59], v[150:151] neg_lo:[0,1] neg_hi:[0,1]
	v_pk_add_f32 v[12:13], v[12:13], v[148:149] neg_lo:[0,1] neg_hi:[0,1]
	s_wait_dscnt 0x0
	v_pk_mul_f32 v[148:149], v[144:145], v[136:137] op_sel:[0,1]
	s_delay_alu instid0(VALU_DEP_1) | instskip(SKIP_1) | instid1(VALU_DEP_1)
	v_pk_fma_f32 v[150:151], v[144:145], v[134:135], v[148:149] op_sel:[0,0,1] op_sel_hi:[1,1,0] neg_lo:[0,0,1] neg_hi:[0,0,1]
	v_pk_fma_f32 v[144:145], v[144:145], v[134:135], v[148:149] op_sel:[0,0,1] op_sel_hi:[1,0,0]
	v_mov_b32_e32 v151, v145
	v_pk_mul_f32 v[144:145], v[146:147], v[136:137] op_sel:[0,1]
	s_delay_alu instid0(VALU_DEP_1) | instskip(SKIP_1) | instid1(VALU_DEP_1)
	v_pk_fma_f32 v[148:149], v[146:147], v[134:135], v[144:145] op_sel:[0,0,1] op_sel_hi:[1,1,0] neg_lo:[0,0,1] neg_hi:[0,0,1]
	v_pk_fma_f32 v[144:145], v[146:147], v[134:135], v[144:145] op_sel:[0,0,1] op_sel_hi:[1,0,0]
	v_mov_b32_e32 v149, v145
	ds_load_2addr_b64 v[144:147], v138 offset0:50 offset1:51
	v_pk_add_f32 v[54:55], v[54:55], v[150:151] neg_lo:[0,1] neg_hi:[0,1]
	v_pk_add_f32 v[52:53], v[52:53], v[148:149] neg_lo:[0,1] neg_hi:[0,1]
	s_wait_dscnt 0x0
	v_dual_mul_f32 v148, v145, v137 :: v_dual_mul_f32 v150, v145, v134
	s_delay_alu instid0(VALU_DEP_1) | instskip(NEXT) | instid1(VALU_DEP_2)
	v_pk_fma_f32 v[148:149], v[144:145], v[64:65], v[148:149] op_sel_hi:[1,1,0] neg_lo:[0,0,1] neg_hi:[0,0,1]
	v_pk_fma_f32 v[144:145], v[144:145], v[64:65], v[150:151] op_sel:[1,0,0] op_sel_hi:[0,1,0]
	s_delay_alu instid0(VALU_DEP_1) | instskip(SKIP_1) | instid1(VALU_DEP_2)
	v_mov_b32_e32 v149, v145
	v_pk_mul_f32 v[144:145], v[146:147], v[136:137] op_sel:[0,1]
	v_pk_add_f32 v[62:63], v[62:63], v[148:149] neg_lo:[0,1] neg_hi:[0,1]
	s_delay_alu instid0(VALU_DEP_2) | instskip(SKIP_1) | instid1(VALU_DEP_1)
	v_pk_fma_f32 v[148:149], v[146:147], v[134:135], v[144:145] op_sel:[0,0,1] op_sel_hi:[1,1,0] neg_lo:[0,0,1] neg_hi:[0,0,1]
	v_pk_fma_f32 v[144:145], v[146:147], v[134:135], v[144:145] op_sel:[0,0,1] op_sel_hi:[1,0,0]
	v_mov_b32_e32 v149, v145
	ds_load_2addr_b64 v[144:147], v138 offset0:52 offset1:53
	v_pk_add_f32 v[16:17], v[16:17], v[148:149] neg_lo:[0,1] neg_hi:[0,1]
	s_wait_dscnt 0x0
	v_pk_mul_f32 v[148:149], v[144:145], v[136:137] op_sel:[0,1]
	s_delay_alu instid0(VALU_DEP_1) | instskip(SKIP_1) | instid1(VALU_DEP_1)
	v_pk_fma_f32 v[150:151], v[144:145], v[134:135], v[148:149] op_sel:[0,0,1] op_sel_hi:[1,1,0] neg_lo:[0,0,1] neg_hi:[0,0,1]
	v_pk_fma_f32 v[144:145], v[144:145], v[134:135], v[148:149] op_sel:[0,0,1] op_sel_hi:[1,0,0]
	v_mov_b32_e32 v151, v145
	v_pk_mul_f32 v[144:145], v[146:147], v[136:137] op_sel:[0,1]
	s_delay_alu instid0(VALU_DEP_2) | instskip(NEXT) | instid1(VALU_DEP_2)
	v_pk_add_f32 v[48:49], v[48:49], v[150:151] neg_lo:[0,1] neg_hi:[0,1]
	v_pk_fma_f32 v[148:149], v[146:147], v[134:135], v[144:145] op_sel:[0,0,1] op_sel_hi:[1,1,0] neg_lo:[0,0,1] neg_hi:[0,0,1]
	v_pk_fma_f32 v[144:145], v[146:147], v[134:135], v[144:145] op_sel:[0,0,1] op_sel_hi:[1,0,0]
	s_delay_alu instid0(VALU_DEP_1) | instskip(SKIP_4) | instid1(VALU_DEP_1)
	v_mov_b32_e32 v149, v145
	ds_load_2addr_b64 v[144:147], v138 offset0:54 offset1:55
	v_pk_add_f32 v[42:43], v[42:43], v[148:149] neg_lo:[0,1] neg_hi:[0,1]
	s_wait_dscnt 0x0
	v_pk_mul_f32 v[148:149], v[144:145], v[136:137] op_sel:[0,1]
	v_pk_fma_f32 v[150:151], v[144:145], v[134:135], v[148:149] op_sel:[0,0,1] op_sel_hi:[1,1,0] neg_lo:[0,0,1] neg_hi:[0,0,1]
	v_pk_fma_f32 v[144:145], v[144:145], v[134:135], v[148:149] op_sel:[0,0,1] op_sel_hi:[1,0,0]
	v_dual_mul_f32 v148, v147, v137 :: v_dual_mov_b32 v144, v147
	s_delay_alu instid0(VALU_DEP_2) | instskip(NEXT) | instid1(VALU_DEP_2)
	v_dual_mov_b32 v151, v145 :: v_dual_mov_b32 v145, v146
	v_pk_fma_f32 v[148:149], v[146:147], v[64:65], v[148:149] op_sel_hi:[1,1,0] neg_lo:[0,0,1] neg_hi:[0,0,1]
	v_mul_f32_e32 v146, v147, v134
	s_delay_alu instid0(VALU_DEP_3) | instskip(NEXT) | instid1(VALU_DEP_2)
	v_pk_add_f32 v[46:47], v[46:47], v[150:151] neg_lo:[0,1] neg_hi:[0,1]
	v_pk_fma_f32 v[144:145], v[144:145], v[64:65], v[146:147] op_sel_hi:[1,1,0]
	s_delay_alu instid0(VALU_DEP_1) | instskip(SKIP_4) | instid1(VALU_DEP_1)
	v_mov_b32_e32 v149, v145
	ds_load_2addr_b64 v[144:147], v138 offset0:56 offset1:57
	v_pk_add_f32 v[8:9], v[8:9], v[148:149] neg_lo:[0,1] neg_hi:[0,1]
	s_wait_dscnt 0x0
	v_pk_mul_f32 v[148:149], v[144:145], v[136:137] op_sel:[0,1]
	v_pk_fma_f32 v[150:151], v[144:145], v[134:135], v[148:149] op_sel:[0,0,1] op_sel_hi:[1,1,0] neg_lo:[0,0,1] neg_hi:[0,0,1]
	v_pk_fma_f32 v[144:145], v[144:145], v[134:135], v[148:149] op_sel:[0,0,1] op_sel_hi:[1,0,0]
	s_delay_alu instid0(VALU_DEP_1) | instskip(SKIP_1) | instid1(VALU_DEP_1)
	v_mov_b32_e32 v151, v145
	v_pk_mul_f32 v[144:145], v[146:147], v[136:137] op_sel:[0,1]
	v_pk_fma_f32 v[148:149], v[146:147], v[134:135], v[144:145] op_sel:[0,0,1] op_sel_hi:[1,1,0] neg_lo:[0,0,1] neg_hi:[0,0,1]
	v_pk_fma_f32 v[144:145], v[146:147], v[134:135], v[144:145] op_sel:[0,0,1] op_sel_hi:[1,0,0]
	s_delay_alu instid0(VALU_DEP_1)
	v_mov_b32_e32 v149, v145
	ds_load_2addr_b64 v[144:147], v138 offset0:58 offset1:59
	v_pk_add_f32 v[32:33], v[32:33], v[150:151] neg_lo:[0,1] neg_hi:[0,1]
	v_pk_add_f32 v[28:29], v[28:29], v[148:149] neg_lo:[0,1] neg_hi:[0,1]
	s_wait_dscnt 0x0
	v_pk_mul_f32 v[148:149], v[144:145], v[136:137] op_sel:[0,1]
	s_delay_alu instid0(VALU_DEP_1) | instskip(SKIP_1) | instid1(VALU_DEP_1)
	v_pk_fma_f32 v[150:151], v[144:145], v[134:135], v[148:149] op_sel:[0,0,1] op_sel_hi:[1,1,0] neg_lo:[0,0,1] neg_hi:[0,0,1]
	v_pk_fma_f32 v[144:145], v[144:145], v[134:135], v[148:149] op_sel:[0,0,1] op_sel_hi:[1,0,0]
	v_mov_b32_e32 v151, v145
	v_pk_mul_f32 v[144:145], v[146:147], v[136:137] op_sel:[0,1]
	s_delay_alu instid0(VALU_DEP_1) | instskip(SKIP_1) | instid1(VALU_DEP_1)
	v_pk_fma_f32 v[148:149], v[146:147], v[134:135], v[144:145] op_sel:[0,0,1] op_sel_hi:[1,1,0] neg_lo:[0,0,1] neg_hi:[0,0,1]
	v_pk_fma_f32 v[144:145], v[146:147], v[134:135], v[144:145] op_sel:[0,0,1] op_sel_hi:[1,0,0]
	v_mov_b32_e32 v149, v145
	ds_load_2addr_b64 v[144:147], v138 offset0:60 offset1:61
	v_pk_add_f32 v[30:31], v[30:31], v[150:151] neg_lo:[0,1] neg_hi:[0,1]
	v_pk_add_f32 v[6:7], v[6:7], v[148:149] neg_lo:[0,1] neg_hi:[0,1]
	s_wait_dscnt 0x0
	v_dual_mul_f32 v148, v145, v137 :: v_dual_mul_f32 v150, v145, v134
	s_delay_alu instid0(VALU_DEP_1) | instskip(NEXT) | instid1(VALU_DEP_2)
	v_pk_fma_f32 v[148:149], v[144:145], v[64:65], v[148:149] op_sel_hi:[1,1,0] neg_lo:[0,0,1] neg_hi:[0,0,1]
	v_pk_fma_f32 v[144:145], v[144:145], v[64:65], v[150:151] op_sel:[1,0,0] op_sel_hi:[0,1,0]
	s_delay_alu instid0(VALU_DEP_1) | instskip(SKIP_1) | instid1(VALU_DEP_2)
	v_mov_b32_e32 v149, v145
	v_pk_mul_f32 v[144:145], v[146:147], v[136:137] op_sel:[0,1]
	v_pk_add_f32 v[20:21], v[20:21], v[148:149] neg_lo:[0,1] neg_hi:[0,1]
	s_delay_alu instid0(VALU_DEP_2) | instskip(SKIP_1) | instid1(VALU_DEP_1)
	v_pk_fma_f32 v[148:149], v[146:147], v[134:135], v[144:145] op_sel:[0,0,1] op_sel_hi:[1,1,0] neg_lo:[0,0,1] neg_hi:[0,0,1]
	v_pk_fma_f32 v[144:145], v[146:147], v[134:135], v[144:145] op_sel:[0,0,1] op_sel_hi:[1,0,0]
	v_mov_b32_e32 v149, v145
	ds_load_2addr_b64 v[144:147], v138 offset0:62 offset1:63
	v_pk_add_f32 v[14:15], v[14:15], v[148:149] neg_lo:[0,1] neg_hi:[0,1]
	s_wait_dscnt 0x0
	v_pk_mul_f32 v[148:149], v[144:145], v[136:137] op_sel:[0,1]
	v_pk_mul_f32 v[136:137], v[146:147], v[136:137] op_sel:[0,1]
	s_delay_alu instid0(VALU_DEP_2) | instskip(SKIP_1) | instid1(VALU_DEP_1)
	v_pk_fma_f32 v[150:151], v[144:145], v[134:135], v[148:149] op_sel:[0,0,1] op_sel_hi:[1,1,0] neg_lo:[0,0,1] neg_hi:[0,0,1]
	v_pk_fma_f32 v[144:145], v[144:145], v[134:135], v[148:149] op_sel:[0,0,1] op_sel_hi:[1,0,0]
	v_mov_b32_e32 v151, v145
	s_delay_alu instid0(VALU_DEP_4) | instskip(SKIP_1) | instid1(VALU_DEP_3)
	v_pk_fma_f32 v[144:145], v[146:147], v[134:135], v[136:137] op_sel:[0,0,1] op_sel_hi:[1,1,0] neg_lo:[0,0,1] neg_hi:[0,0,1]
	v_pk_fma_f32 v[134:135], v[146:147], v[134:135], v[136:137] op_sel:[0,0,1] op_sel_hi:[1,0,0]
	v_pk_add_f32 v[10:11], v[10:11], v[150:151] neg_lo:[0,1] neg_hi:[0,1]
	s_delay_alu instid0(VALU_DEP_2) | instskip(NEXT) | instid1(VALU_DEP_1)
	v_mov_b32_e32 v145, v135
	v_pk_add_f32 v[132:133], v[132:133], v[144:145] neg_lo:[0,1] neg_hi:[0,1]
.LBB126_881:
	s_or_b32 exec_lo, exec_lo, s0
	v_lshl_add_u32 v134, v142, 3, v138
	s_barrier_signal -1
	s_barrier_wait -1
	ds_store_b64 v134, v[66:67]
	s_wait_dscnt 0x0
	s_barrier_signal -1
	s_barrier_wait -1
	ds_load_b64 v[136:137], v138 offset:336
	v_mov_b32_e32 v134, 42
	s_cmp_lt_i32 s18, 44
	s_cbranch_scc1 .LBB126_884
; %bb.882:
	v_add3_u32 v135, v139, 0, 0x158
	v_mov_b32_e32 v134, 42
	s_mov_b32 s0, 43
.LBB126_883:                            ; =>This Inner Loop Header: Depth=1
	ds_load_b64 v[144:145], v135
	s_wait_dscnt 0x1
	v_cmp_gt_f32_e32 vcc_lo, 0, v136
	v_cndmask_b32_e64 v146, v136, -v136, vcc_lo
	v_cmp_gt_f32_e32 vcc_lo, 0, v137
	v_cndmask_b32_e64 v148, v137, -v137, vcc_lo
	s_wait_dscnt 0x0
	v_cmp_gt_f32_e32 vcc_lo, 0, v144
	v_cndmask_b32_e64 v147, v144, -v144, vcc_lo
	v_cmp_gt_f32_e32 vcc_lo, 0, v145
	v_cndmask_b32_e64 v149, v145, -v145, vcc_lo
	s_delay_alu instid0(VALU_DEP_1) | instskip(NEXT) | instid1(VALU_DEP_1)
	v_pk_add_f32 v[146:147], v[146:147], v[148:149]
	v_cmp_lt_f32_e32 vcc_lo, v146, v147
	v_dual_add_nc_u32 v135, 8, v135 :: v_dual_cndmask_b32 v137, v137, v145, vcc_lo
	v_cndmask_b32_e32 v136, v136, v144, vcc_lo
	v_cndmask_b32_e64 v134, v134, s0, vcc_lo
	s_add_co_i32 s0, s0, 1
	s_delay_alu instid0(SALU_CYCLE_1)
	s_cmp_lg_u32 s18, s0
	s_cbranch_scc1 .LBB126_883
.LBB126_884:
	s_wait_dscnt 0x0
	v_cmp_eq_f32_e32 vcc_lo, 0, v136
	v_cmp_eq_f32_e64 s0, 0, v137
	s_and_b32 s0, vcc_lo, s0
	s_delay_alu instid0(SALU_CYCLE_1) | instskip(NEXT) | instid1(SALU_CYCLE_1)
	s_and_saveexec_b32 s1, s0
	s_xor_b32 s0, exec_lo, s1
; %bb.885:
	v_cmp_ne_u32_e32 vcc_lo, 0, v140
	v_cndmask_b32_e32 v140, 43, v140, vcc_lo
; %bb.886:
	s_and_not1_saveexec_b32 s0, s0
	s_cbranch_execz .LBB126_892
; %bb.887:
	v_cmp_ngt_f32_e64 s1, |v136|, |v137|
	s_and_saveexec_b32 s12, s1
	s_delay_alu instid0(SALU_CYCLE_1)
	s_xor_b32 s1, exec_lo, s12
	s_cbranch_execz .LBB126_889
; %bb.888:
	v_div_scale_f32 v135, null, v137, v137, v136
	v_div_scale_f32 v145, vcc_lo, v136, v137, v136
	s_delay_alu instid0(VALU_DEP_2) | instskip(SKIP_1) | instid1(TRANS32_DEP_1)
	v_rcp_f32_e32 v143, v135
	v_nop
	v_fma_f32 v144, -v135, v143, 1.0
	s_delay_alu instid0(VALU_DEP_1) | instskip(NEXT) | instid1(VALU_DEP_1)
	v_fmac_f32_e32 v143, v144, v143
	v_mul_f32_e32 v144, v145, v143
	s_delay_alu instid0(VALU_DEP_1) | instskip(NEXT) | instid1(VALU_DEP_1)
	v_fma_f32 v146, -v135, v144, v145
	v_fmac_f32_e32 v144, v146, v143
	s_delay_alu instid0(VALU_DEP_1) | instskip(NEXT) | instid1(VALU_DEP_1)
	v_fma_f32 v135, -v135, v144, v145
	v_div_fmas_f32 v135, v135, v143, v144
	s_delay_alu instid0(VALU_DEP_1) | instskip(NEXT) | instid1(VALU_DEP_1)
	v_div_fixup_f32 v135, v135, v137, v136
	v_fmac_f32_e32 v137, v136, v135
	s_delay_alu instid0(VALU_DEP_1) | instskip(SKIP_1) | instid1(VALU_DEP_2)
	v_div_scale_f32 v136, null, v137, v137, 1.0
	v_div_scale_f32 v145, vcc_lo, 1.0, v137, 1.0
	v_rcp_f32_e32 v143, v136
	v_nop
	s_delay_alu instid0(TRANS32_DEP_1) | instskip(NEXT) | instid1(VALU_DEP_1)
	v_fma_f32 v144, -v136, v143, 1.0
	v_fmac_f32_e32 v143, v144, v143
	s_delay_alu instid0(VALU_DEP_1) | instskip(NEXT) | instid1(VALU_DEP_1)
	v_mul_f32_e32 v144, v145, v143
	v_fma_f32 v146, -v136, v144, v145
	s_delay_alu instid0(VALU_DEP_1) | instskip(NEXT) | instid1(VALU_DEP_1)
	v_fmac_f32_e32 v144, v146, v143
	v_fma_f32 v136, -v136, v144, v145
	s_delay_alu instid0(VALU_DEP_1) | instskip(NEXT) | instid1(VALU_DEP_1)
	v_div_fmas_f32 v136, v136, v143, v144
	v_div_fixup_f32 v137, v136, v137, 1.0
	s_delay_alu instid0(VALU_DEP_1)
	v_mul_f32_e32 v136, v135, v137
	v_xor_b32_e32 v137, 0x80000000, v137
.LBB126_889:
	s_and_not1_saveexec_b32 s1, s1
	s_cbranch_execz .LBB126_891
; %bb.890:
	s_delay_alu instid0(VALU_DEP_1) | instskip(SKIP_1) | instid1(VALU_DEP_2)
	v_div_scale_f32 v135, null, v136, v136, v137
	v_div_scale_f32 v145, vcc_lo, v137, v136, v137
	v_rcp_f32_e32 v143, v135
	v_nop
	s_delay_alu instid0(TRANS32_DEP_1) | instskip(NEXT) | instid1(VALU_DEP_1)
	v_fma_f32 v144, -v135, v143, 1.0
	v_fmac_f32_e32 v143, v144, v143
	s_delay_alu instid0(VALU_DEP_1) | instskip(NEXT) | instid1(VALU_DEP_1)
	v_mul_f32_e32 v144, v145, v143
	v_fma_f32 v146, -v135, v144, v145
	s_delay_alu instid0(VALU_DEP_1) | instskip(NEXT) | instid1(VALU_DEP_1)
	v_fmac_f32_e32 v144, v146, v143
	v_fma_f32 v135, -v135, v144, v145
	s_delay_alu instid0(VALU_DEP_1) | instskip(NEXT) | instid1(VALU_DEP_1)
	v_div_fmas_f32 v135, v135, v143, v144
	v_div_fixup_f32 v135, v135, v136, v137
	s_delay_alu instid0(VALU_DEP_1) | instskip(NEXT) | instid1(VALU_DEP_1)
	v_fmac_f32_e32 v136, v137, v135
	v_div_scale_f32 v137, null, v136, v136, 1.0
	s_delay_alu instid0(VALU_DEP_1) | instskip(SKIP_1) | instid1(TRANS32_DEP_1)
	v_rcp_f32_e32 v143, v137
	v_nop
	v_fma_f32 v144, -v137, v143, 1.0
	s_delay_alu instid0(VALU_DEP_1) | instskip(SKIP_1) | instid1(VALU_DEP_1)
	v_fmac_f32_e32 v143, v144, v143
	v_div_scale_f32 v144, vcc_lo, 1.0, v136, 1.0
	v_mul_f32_e32 v145, v144, v143
	s_delay_alu instid0(VALU_DEP_1) | instskip(NEXT) | instid1(VALU_DEP_1)
	v_fma_f32 v146, -v137, v145, v144
	v_fmac_f32_e32 v145, v146, v143
	s_delay_alu instid0(VALU_DEP_1) | instskip(NEXT) | instid1(VALU_DEP_1)
	v_fma_f32 v137, -v137, v145, v144
	v_div_fmas_f32 v137, v137, v143, v145
	s_delay_alu instid0(VALU_DEP_1) | instskip(NEXT) | instid1(VALU_DEP_1)
	v_div_fixup_f32 v136, v137, v136, 1.0
	v_mul_f32_e64 v137, v135, -v136
.LBB126_891:
	s_or_b32 exec_lo, exec_lo, s1
.LBB126_892:
	s_delay_alu instid0(SALU_CYCLE_1) | instskip(NEXT) | instid1(SALU_CYCLE_1)
	s_or_b32 exec_lo, exec_lo, s0
	s_mov_b32 s0, exec_lo
	v_cmpx_ne_u32_e64 v142, v134
	s_xor_b32 s0, exec_lo, s0
	s_cbranch_execz .LBB126_898
; %bb.893:
	s_mov_b32 s1, exec_lo
	v_cmpx_eq_u32_e32 42, v142
	s_cbranch_execz .LBB126_897
; %bb.894:
	v_cmp_ne_u32_e32 vcc_lo, 42, v134
	s_xor_b32 s12, s16, -1
	s_delay_alu instid0(SALU_CYCLE_1) | instskip(NEXT) | instid1(SALU_CYCLE_1)
	s_and_b32 s13, s12, vcc_lo
	s_and_saveexec_b32 s12, s13
	s_cbranch_execz .LBB126_896
; %bb.895:
	v_ashrrev_i32_e32 v135, 31, v134
	s_delay_alu instid0(VALU_DEP_1)
	v_lshl_add_u64 v[142:143], v[134:135], 2, v[4:5]
	s_clause 0x1
	global_load_b32 v135, v[142:143], off
	global_load_b32 v141, v[4:5], off offset:168
	s_wait_loadcnt 0x1
	global_store_b32 v[4:5], v135, off offset:168
	s_wait_loadcnt 0x0
	global_store_b32 v[142:143], v141, off
.LBB126_896:
	s_wait_xcnt 0x0
	s_or_b32 exec_lo, exec_lo, s12
	v_dual_mov_b32 v142, v134 :: v_dual_mov_b32 v141, v134
.LBB126_897:
	s_or_b32 exec_lo, exec_lo, s1
.LBB126_898:
	s_and_not1_saveexec_b32 s0, s0
	s_cbranch_execz .LBB126_900
; %bb.899:
	v_mov_b32_e32 v142, 42
	ds_store_2addr_b64 v138, v[18:19], v[60:61] offset0:43 offset1:44
	ds_store_2addr_b64 v138, v[56:57], v[58:59] offset0:45 offset1:46
	;; [unrolled: 1-line block ×10, first 2 shown]
	ds_store_b64 v138, v[132:133] offset:504
.LBB126_900:
	s_or_b32 exec_lo, exec_lo, s0
	s_delay_alu instid0(SALU_CYCLE_1)
	s_mov_b32 s0, exec_lo
	s_wait_storecnt_dscnt 0x0
	s_barrier_signal -1
	s_barrier_wait -1
	v_cmpx_lt_i32_e32 42, v142
	s_cbranch_execz .LBB126_902
; %bb.901:
	v_pk_mul_f32 v[144:145], v[136:137], v[66:67] op_sel:[1,1] op_sel_hi:[0,1]
	s_delay_alu instid0(VALU_DEP_1)
	v_pk_fma_f32 v[134:135], v[136:137], v[66:67], v[144:145] op_sel_hi:[1,0,1] neg_lo:[0,0,1] neg_hi:[0,0,1]
	v_pk_fma_f32 v[136:137], v[136:137], v[66:67], v[144:145] op_sel_hi:[1,0,1]
	ds_load_2addr_b64 v[144:147], v138 offset0:43 offset1:44
	v_dual_mov_b32 v66, v134 :: v_dual_mov_b32 v67, v137
	s_wait_dscnt 0x0
	v_pk_mul_f32 v[148:149], v[144:145], v[136:137] op_sel:[0,1]
	s_delay_alu instid0(VALU_DEP_1) | instskip(SKIP_1) | instid1(VALU_DEP_1)
	v_pk_fma_f32 v[150:151], v[144:145], v[134:135], v[148:149] op_sel:[0,0,1] op_sel_hi:[1,1,0] neg_lo:[0,0,1] neg_hi:[0,0,1]
	v_pk_fma_f32 v[144:145], v[144:145], v[134:135], v[148:149] op_sel:[0,0,1] op_sel_hi:[1,0,0]
	v_mov_b32_e32 v151, v145
	v_pk_mul_f32 v[144:145], v[146:147], v[136:137] op_sel:[0,1]
	s_delay_alu instid0(VALU_DEP_1) | instskip(SKIP_1) | instid1(VALU_DEP_1)
	v_pk_fma_f32 v[148:149], v[146:147], v[134:135], v[144:145] op_sel:[0,0,1] op_sel_hi:[1,1,0] neg_lo:[0,0,1] neg_hi:[0,0,1]
	v_pk_fma_f32 v[144:145], v[146:147], v[134:135], v[144:145] op_sel:[0,0,1] op_sel_hi:[1,0,0]
	v_mov_b32_e32 v149, v145
	ds_load_2addr_b64 v[144:147], v138 offset0:45 offset1:46
	v_pk_add_f32 v[18:19], v[18:19], v[150:151] neg_lo:[0,1] neg_hi:[0,1]
	v_pk_add_f32 v[60:61], v[60:61], v[148:149] neg_lo:[0,1] neg_hi:[0,1]
	s_wait_dscnt 0x0
	v_pk_mul_f32 v[148:149], v[144:145], v[136:137] op_sel:[0,1]
	s_delay_alu instid0(VALU_DEP_1) | instskip(SKIP_2) | instid1(VALU_DEP_2)
	v_pk_fma_f32 v[150:151], v[144:145], v[134:135], v[148:149] op_sel:[0,0,1] op_sel_hi:[1,1,0] neg_lo:[0,0,1] neg_hi:[0,0,1]
	v_pk_fma_f32 v[144:145], v[144:145], v[134:135], v[148:149] op_sel:[0,0,1] op_sel_hi:[1,0,0]
	v_dual_mul_f32 v148, v147, v137 :: v_dual_mov_b32 v144, v147
	v_dual_mov_b32 v151, v145 :: v_dual_mov_b32 v145, v146
	s_delay_alu instid0(VALU_DEP_2) | instskip(SKIP_1) | instid1(VALU_DEP_3)
	v_pk_fma_f32 v[148:149], v[146:147], v[66:67], v[148:149] op_sel_hi:[1,1,0] neg_lo:[0,0,1] neg_hi:[0,0,1]
	v_mul_f32_e32 v146, v147, v134
	v_pk_add_f32 v[56:57], v[56:57], v[150:151] neg_lo:[0,1] neg_hi:[0,1]
	s_delay_alu instid0(VALU_DEP_2) | instskip(NEXT) | instid1(VALU_DEP_1)
	v_pk_fma_f32 v[144:145], v[144:145], v[66:67], v[146:147] op_sel_hi:[1,1,0]
	v_mov_b32_e32 v149, v145
	ds_load_2addr_b64 v[144:147], v138 offset0:47 offset1:48
	v_pk_add_f32 v[58:59], v[58:59], v[148:149] neg_lo:[0,1] neg_hi:[0,1]
	s_wait_dscnt 0x0
	v_pk_mul_f32 v[148:149], v[144:145], v[136:137] op_sel:[0,1]
	s_delay_alu instid0(VALU_DEP_1) | instskip(SKIP_1) | instid1(VALU_DEP_1)
	v_pk_fma_f32 v[150:151], v[144:145], v[134:135], v[148:149] op_sel:[0,0,1] op_sel_hi:[1,1,0] neg_lo:[0,0,1] neg_hi:[0,0,1]
	v_pk_fma_f32 v[144:145], v[144:145], v[134:135], v[148:149] op_sel:[0,0,1] op_sel_hi:[1,0,0]
	v_mov_b32_e32 v151, v145
	v_pk_mul_f32 v[144:145], v[146:147], v[136:137] op_sel:[0,1]
	s_delay_alu instid0(VALU_DEP_1) | instskip(SKIP_1) | instid1(VALU_DEP_1)
	v_pk_fma_f32 v[148:149], v[146:147], v[134:135], v[144:145] op_sel:[0,0,1] op_sel_hi:[1,1,0] neg_lo:[0,0,1] neg_hi:[0,0,1]
	v_pk_fma_f32 v[144:145], v[146:147], v[134:135], v[144:145] op_sel:[0,0,1] op_sel_hi:[1,0,0]
	v_mov_b32_e32 v149, v145
	ds_load_2addr_b64 v[144:147], v138 offset0:49 offset1:50
	v_pk_add_f32 v[12:13], v[12:13], v[150:151] neg_lo:[0,1] neg_hi:[0,1]
	v_pk_add_f32 v[54:55], v[54:55], v[148:149] neg_lo:[0,1] neg_hi:[0,1]
	s_wait_dscnt 0x0
	v_pk_mul_f32 v[148:149], v[144:145], v[136:137] op_sel:[0,1]
	s_delay_alu instid0(VALU_DEP_1) | instskip(SKIP_1) | instid1(VALU_DEP_1)
	v_pk_fma_f32 v[150:151], v[144:145], v[134:135], v[148:149] op_sel:[0,0,1] op_sel_hi:[1,1,0] neg_lo:[0,0,1] neg_hi:[0,0,1]
	v_pk_fma_f32 v[144:145], v[144:145], v[134:135], v[148:149] op_sel:[0,0,1] op_sel_hi:[1,0,0]
	v_mov_b32_e32 v151, v145
	v_pk_mul_f32 v[144:145], v[146:147], v[136:137] op_sel:[0,1]
	s_delay_alu instid0(VALU_DEP_1) | instskip(SKIP_1) | instid1(VALU_DEP_1)
	v_pk_fma_f32 v[148:149], v[146:147], v[134:135], v[144:145] op_sel:[0,0,1] op_sel_hi:[1,1,0] neg_lo:[0,0,1] neg_hi:[0,0,1]
	v_pk_fma_f32 v[144:145], v[146:147], v[134:135], v[144:145] op_sel:[0,0,1] op_sel_hi:[1,0,0]
	v_mov_b32_e32 v149, v145
	ds_load_2addr_b64 v[144:147], v138 offset0:51 offset1:52
	v_pk_add_f32 v[52:53], v[52:53], v[150:151] neg_lo:[0,1] neg_hi:[0,1]
	v_pk_add_f32 v[62:63], v[62:63], v[148:149] neg_lo:[0,1] neg_hi:[0,1]
	s_wait_dscnt 0x0
	v_dual_mul_f32 v148, v145, v137 :: v_dual_mul_f32 v150, v145, v134
	s_delay_alu instid0(VALU_DEP_1) | instskip(NEXT) | instid1(VALU_DEP_2)
	v_pk_fma_f32 v[148:149], v[144:145], v[66:67], v[148:149] op_sel_hi:[1,1,0] neg_lo:[0,0,1] neg_hi:[0,0,1]
	v_pk_fma_f32 v[144:145], v[144:145], v[66:67], v[150:151] op_sel:[1,0,0] op_sel_hi:[0,1,0]
	s_delay_alu instid0(VALU_DEP_1) | instskip(SKIP_1) | instid1(VALU_DEP_2)
	v_mov_b32_e32 v149, v145
	v_pk_mul_f32 v[144:145], v[146:147], v[136:137] op_sel:[0,1]
	v_pk_add_f32 v[16:17], v[16:17], v[148:149] neg_lo:[0,1] neg_hi:[0,1]
	s_delay_alu instid0(VALU_DEP_2) | instskip(SKIP_1) | instid1(VALU_DEP_1)
	v_pk_fma_f32 v[148:149], v[146:147], v[134:135], v[144:145] op_sel:[0,0,1] op_sel_hi:[1,1,0] neg_lo:[0,0,1] neg_hi:[0,0,1]
	v_pk_fma_f32 v[144:145], v[146:147], v[134:135], v[144:145] op_sel:[0,0,1] op_sel_hi:[1,0,0]
	v_mov_b32_e32 v149, v145
	ds_load_2addr_b64 v[144:147], v138 offset0:53 offset1:54
	v_pk_add_f32 v[48:49], v[48:49], v[148:149] neg_lo:[0,1] neg_hi:[0,1]
	s_wait_dscnt 0x0
	v_pk_mul_f32 v[148:149], v[144:145], v[136:137] op_sel:[0,1]
	s_delay_alu instid0(VALU_DEP_1) | instskip(SKIP_1) | instid1(VALU_DEP_1)
	v_pk_fma_f32 v[150:151], v[144:145], v[134:135], v[148:149] op_sel:[0,0,1] op_sel_hi:[1,1,0] neg_lo:[0,0,1] neg_hi:[0,0,1]
	v_pk_fma_f32 v[144:145], v[144:145], v[134:135], v[148:149] op_sel:[0,0,1] op_sel_hi:[1,0,0]
	v_mov_b32_e32 v151, v145
	v_pk_mul_f32 v[144:145], v[146:147], v[136:137] op_sel:[0,1]
	s_delay_alu instid0(VALU_DEP_2) | instskip(NEXT) | instid1(VALU_DEP_2)
	v_pk_add_f32 v[42:43], v[42:43], v[150:151] neg_lo:[0,1] neg_hi:[0,1]
	v_pk_fma_f32 v[148:149], v[146:147], v[134:135], v[144:145] op_sel:[0,0,1] op_sel_hi:[1,1,0] neg_lo:[0,0,1] neg_hi:[0,0,1]
	v_pk_fma_f32 v[144:145], v[146:147], v[134:135], v[144:145] op_sel:[0,0,1] op_sel_hi:[1,0,0]
	s_delay_alu instid0(VALU_DEP_1) | instskip(SKIP_4) | instid1(VALU_DEP_1)
	v_mov_b32_e32 v149, v145
	ds_load_2addr_b64 v[144:147], v138 offset0:55 offset1:56
	v_pk_add_f32 v[46:47], v[46:47], v[148:149] neg_lo:[0,1] neg_hi:[0,1]
	s_wait_dscnt 0x0
	v_pk_mul_f32 v[148:149], v[144:145], v[136:137] op_sel:[0,1]
	v_pk_fma_f32 v[150:151], v[144:145], v[134:135], v[148:149] op_sel:[0,0,1] op_sel_hi:[1,1,0] neg_lo:[0,0,1] neg_hi:[0,0,1]
	v_pk_fma_f32 v[144:145], v[144:145], v[134:135], v[148:149] op_sel:[0,0,1] op_sel_hi:[1,0,0]
	v_dual_mul_f32 v148, v147, v137 :: v_dual_mov_b32 v144, v147
	s_delay_alu instid0(VALU_DEP_2) | instskip(NEXT) | instid1(VALU_DEP_2)
	v_dual_mov_b32 v151, v145 :: v_dual_mov_b32 v145, v146
	v_pk_fma_f32 v[148:149], v[146:147], v[66:67], v[148:149] op_sel_hi:[1,1,0] neg_lo:[0,0,1] neg_hi:[0,0,1]
	v_mul_f32_e32 v146, v147, v134
	s_delay_alu instid0(VALU_DEP_3) | instskip(NEXT) | instid1(VALU_DEP_2)
	v_pk_add_f32 v[8:9], v[8:9], v[150:151] neg_lo:[0,1] neg_hi:[0,1]
	v_pk_fma_f32 v[144:145], v[144:145], v[66:67], v[146:147] op_sel_hi:[1,1,0]
	s_delay_alu instid0(VALU_DEP_1) | instskip(SKIP_4) | instid1(VALU_DEP_1)
	v_mov_b32_e32 v149, v145
	ds_load_2addr_b64 v[144:147], v138 offset0:57 offset1:58
	v_pk_add_f32 v[32:33], v[32:33], v[148:149] neg_lo:[0,1] neg_hi:[0,1]
	s_wait_dscnt 0x0
	v_pk_mul_f32 v[148:149], v[144:145], v[136:137] op_sel:[0,1]
	v_pk_fma_f32 v[150:151], v[144:145], v[134:135], v[148:149] op_sel:[0,0,1] op_sel_hi:[1,1,0] neg_lo:[0,0,1] neg_hi:[0,0,1]
	v_pk_fma_f32 v[144:145], v[144:145], v[134:135], v[148:149] op_sel:[0,0,1] op_sel_hi:[1,0,0]
	s_delay_alu instid0(VALU_DEP_1) | instskip(SKIP_1) | instid1(VALU_DEP_1)
	v_mov_b32_e32 v151, v145
	v_pk_mul_f32 v[144:145], v[146:147], v[136:137] op_sel:[0,1]
	v_pk_fma_f32 v[148:149], v[146:147], v[134:135], v[144:145] op_sel:[0,0,1] op_sel_hi:[1,1,0] neg_lo:[0,0,1] neg_hi:[0,0,1]
	v_pk_fma_f32 v[144:145], v[146:147], v[134:135], v[144:145] op_sel:[0,0,1] op_sel_hi:[1,0,0]
	s_delay_alu instid0(VALU_DEP_1)
	v_mov_b32_e32 v149, v145
	ds_load_2addr_b64 v[144:147], v138 offset0:59 offset1:60
	v_pk_add_f32 v[28:29], v[28:29], v[150:151] neg_lo:[0,1] neg_hi:[0,1]
	v_pk_add_f32 v[30:31], v[30:31], v[148:149] neg_lo:[0,1] neg_hi:[0,1]
	s_wait_dscnt 0x0
	v_pk_mul_f32 v[148:149], v[144:145], v[136:137] op_sel:[0,1]
	s_delay_alu instid0(VALU_DEP_1) | instskip(SKIP_1) | instid1(VALU_DEP_1)
	v_pk_fma_f32 v[150:151], v[144:145], v[134:135], v[148:149] op_sel:[0,0,1] op_sel_hi:[1,1,0] neg_lo:[0,0,1] neg_hi:[0,0,1]
	v_pk_fma_f32 v[144:145], v[144:145], v[134:135], v[148:149] op_sel:[0,0,1] op_sel_hi:[1,0,0]
	v_mov_b32_e32 v151, v145
	v_pk_mul_f32 v[144:145], v[146:147], v[136:137] op_sel:[0,1]
	s_delay_alu instid0(VALU_DEP_1) | instskip(SKIP_1) | instid1(VALU_DEP_1)
	v_pk_fma_f32 v[148:149], v[146:147], v[134:135], v[144:145] op_sel:[0,0,1] op_sel_hi:[1,1,0] neg_lo:[0,0,1] neg_hi:[0,0,1]
	v_pk_fma_f32 v[144:145], v[146:147], v[134:135], v[144:145] op_sel:[0,0,1] op_sel_hi:[1,0,0]
	v_mov_b32_e32 v149, v145
	ds_load_2addr_b64 v[144:147], v138 offset0:61 offset1:62
	v_pk_add_f32 v[6:7], v[6:7], v[150:151] neg_lo:[0,1] neg_hi:[0,1]
	v_pk_add_f32 v[20:21], v[20:21], v[148:149] neg_lo:[0,1] neg_hi:[0,1]
	s_wait_dscnt 0x0
	v_dual_mul_f32 v148, v145, v137 :: v_dual_mul_f32 v150, v145, v134
	s_delay_alu instid0(VALU_DEP_1) | instskip(NEXT) | instid1(VALU_DEP_2)
	v_pk_fma_f32 v[148:149], v[144:145], v[66:67], v[148:149] op_sel_hi:[1,1,0] neg_lo:[0,0,1] neg_hi:[0,0,1]
	v_pk_fma_f32 v[144:145], v[144:145], v[66:67], v[150:151] op_sel:[1,0,0] op_sel_hi:[0,1,0]
	s_delay_alu instid0(VALU_DEP_1) | instskip(SKIP_1) | instid1(VALU_DEP_2)
	v_mov_b32_e32 v149, v145
	v_pk_mul_f32 v[144:145], v[146:147], v[136:137] op_sel:[0,1]
	v_pk_add_f32 v[14:15], v[14:15], v[148:149] neg_lo:[0,1] neg_hi:[0,1]
	s_delay_alu instid0(VALU_DEP_2) | instskip(SKIP_1) | instid1(VALU_DEP_1)
	v_pk_fma_f32 v[148:149], v[146:147], v[134:135], v[144:145] op_sel:[0,0,1] op_sel_hi:[1,1,0] neg_lo:[0,0,1] neg_hi:[0,0,1]
	v_pk_fma_f32 v[144:145], v[146:147], v[134:135], v[144:145] op_sel:[0,0,1] op_sel_hi:[1,0,0]
	v_mov_b32_e32 v149, v145
	ds_load_b64 v[144:145], v138 offset:504
	v_pk_add_f32 v[10:11], v[10:11], v[148:149] neg_lo:[0,1] neg_hi:[0,1]
	s_wait_dscnt 0x0
	v_pk_mul_f32 v[136:137], v[144:145], v[136:137] op_sel:[0,1]
	s_delay_alu instid0(VALU_DEP_1) | instskip(SKIP_1) | instid1(VALU_DEP_1)
	v_pk_fma_f32 v[146:147], v[144:145], v[134:135], v[136:137] op_sel:[0,0,1] op_sel_hi:[1,1,0] neg_lo:[0,0,1] neg_hi:[0,0,1]
	v_pk_fma_f32 v[134:135], v[144:145], v[134:135], v[136:137] op_sel:[0,0,1] op_sel_hi:[1,0,0]
	v_mov_b32_e32 v147, v135
	s_delay_alu instid0(VALU_DEP_1)
	v_pk_add_f32 v[132:133], v[132:133], v[146:147] neg_lo:[0,1] neg_hi:[0,1]
.LBB126_902:
	s_or_b32 exec_lo, exec_lo, s0
	v_lshl_add_u32 v134, v142, 3, v138
	s_barrier_signal -1
	s_barrier_wait -1
	ds_store_b64 v134, v[18:19]
	s_wait_dscnt 0x0
	s_barrier_signal -1
	s_barrier_wait -1
	ds_load_b64 v[136:137], v138 offset:344
	v_mov_b32_e32 v134, 43
	s_cmp_lt_i32 s18, 45
	s_cbranch_scc1 .LBB126_905
; %bb.903:
	v_add3_u32 v135, v139, 0, 0x160
	v_mov_b32_e32 v134, 43
	s_mov_b32 s0, 44
.LBB126_904:                            ; =>This Inner Loop Header: Depth=1
	ds_load_b64 v[144:145], v135
	s_wait_dscnt 0x1
	v_cmp_gt_f32_e32 vcc_lo, 0, v136
	v_cndmask_b32_e64 v146, v136, -v136, vcc_lo
	v_cmp_gt_f32_e32 vcc_lo, 0, v137
	v_cndmask_b32_e64 v148, v137, -v137, vcc_lo
	s_wait_dscnt 0x0
	v_cmp_gt_f32_e32 vcc_lo, 0, v144
	v_cndmask_b32_e64 v147, v144, -v144, vcc_lo
	v_cmp_gt_f32_e32 vcc_lo, 0, v145
	v_cndmask_b32_e64 v149, v145, -v145, vcc_lo
	s_delay_alu instid0(VALU_DEP_1) | instskip(NEXT) | instid1(VALU_DEP_1)
	v_pk_add_f32 v[146:147], v[146:147], v[148:149]
	v_cmp_lt_f32_e32 vcc_lo, v146, v147
	v_dual_add_nc_u32 v135, 8, v135 :: v_dual_cndmask_b32 v137, v137, v145, vcc_lo
	v_cndmask_b32_e32 v136, v136, v144, vcc_lo
	v_cndmask_b32_e64 v134, v134, s0, vcc_lo
	s_add_co_i32 s0, s0, 1
	s_delay_alu instid0(SALU_CYCLE_1)
	s_cmp_lg_u32 s18, s0
	s_cbranch_scc1 .LBB126_904
.LBB126_905:
	s_wait_dscnt 0x0
	v_cmp_eq_f32_e32 vcc_lo, 0, v136
	v_cmp_eq_f32_e64 s0, 0, v137
	s_and_b32 s0, vcc_lo, s0
	s_delay_alu instid0(SALU_CYCLE_1) | instskip(NEXT) | instid1(SALU_CYCLE_1)
	s_and_saveexec_b32 s1, s0
	s_xor_b32 s0, exec_lo, s1
; %bb.906:
	v_cmp_ne_u32_e32 vcc_lo, 0, v140
	v_cndmask_b32_e32 v140, 44, v140, vcc_lo
; %bb.907:
	s_and_not1_saveexec_b32 s0, s0
	s_cbranch_execz .LBB126_913
; %bb.908:
	v_cmp_ngt_f32_e64 s1, |v136|, |v137|
	s_and_saveexec_b32 s12, s1
	s_delay_alu instid0(SALU_CYCLE_1)
	s_xor_b32 s1, exec_lo, s12
	s_cbranch_execz .LBB126_910
; %bb.909:
	v_div_scale_f32 v135, null, v137, v137, v136
	v_div_scale_f32 v145, vcc_lo, v136, v137, v136
	s_delay_alu instid0(VALU_DEP_2) | instskip(SKIP_1) | instid1(TRANS32_DEP_1)
	v_rcp_f32_e32 v143, v135
	v_nop
	v_fma_f32 v144, -v135, v143, 1.0
	s_delay_alu instid0(VALU_DEP_1) | instskip(NEXT) | instid1(VALU_DEP_1)
	v_fmac_f32_e32 v143, v144, v143
	v_mul_f32_e32 v144, v145, v143
	s_delay_alu instid0(VALU_DEP_1) | instskip(NEXT) | instid1(VALU_DEP_1)
	v_fma_f32 v146, -v135, v144, v145
	v_fmac_f32_e32 v144, v146, v143
	s_delay_alu instid0(VALU_DEP_1) | instskip(NEXT) | instid1(VALU_DEP_1)
	v_fma_f32 v135, -v135, v144, v145
	v_div_fmas_f32 v135, v135, v143, v144
	s_delay_alu instid0(VALU_DEP_1) | instskip(NEXT) | instid1(VALU_DEP_1)
	v_div_fixup_f32 v135, v135, v137, v136
	v_fmac_f32_e32 v137, v136, v135
	s_delay_alu instid0(VALU_DEP_1) | instskip(SKIP_1) | instid1(VALU_DEP_2)
	v_div_scale_f32 v136, null, v137, v137, 1.0
	v_div_scale_f32 v145, vcc_lo, 1.0, v137, 1.0
	v_rcp_f32_e32 v143, v136
	v_nop
	s_delay_alu instid0(TRANS32_DEP_1) | instskip(NEXT) | instid1(VALU_DEP_1)
	v_fma_f32 v144, -v136, v143, 1.0
	v_fmac_f32_e32 v143, v144, v143
	s_delay_alu instid0(VALU_DEP_1) | instskip(NEXT) | instid1(VALU_DEP_1)
	v_mul_f32_e32 v144, v145, v143
	v_fma_f32 v146, -v136, v144, v145
	s_delay_alu instid0(VALU_DEP_1) | instskip(NEXT) | instid1(VALU_DEP_1)
	v_fmac_f32_e32 v144, v146, v143
	v_fma_f32 v136, -v136, v144, v145
	s_delay_alu instid0(VALU_DEP_1) | instskip(NEXT) | instid1(VALU_DEP_1)
	v_div_fmas_f32 v136, v136, v143, v144
	v_div_fixup_f32 v137, v136, v137, 1.0
	s_delay_alu instid0(VALU_DEP_1)
	v_mul_f32_e32 v136, v135, v137
	v_xor_b32_e32 v137, 0x80000000, v137
.LBB126_910:
	s_and_not1_saveexec_b32 s1, s1
	s_cbranch_execz .LBB126_912
; %bb.911:
	s_delay_alu instid0(VALU_DEP_1) | instskip(SKIP_1) | instid1(VALU_DEP_2)
	v_div_scale_f32 v135, null, v136, v136, v137
	v_div_scale_f32 v145, vcc_lo, v137, v136, v137
	v_rcp_f32_e32 v143, v135
	v_nop
	s_delay_alu instid0(TRANS32_DEP_1) | instskip(NEXT) | instid1(VALU_DEP_1)
	v_fma_f32 v144, -v135, v143, 1.0
	v_fmac_f32_e32 v143, v144, v143
	s_delay_alu instid0(VALU_DEP_1) | instskip(NEXT) | instid1(VALU_DEP_1)
	v_mul_f32_e32 v144, v145, v143
	v_fma_f32 v146, -v135, v144, v145
	s_delay_alu instid0(VALU_DEP_1) | instskip(NEXT) | instid1(VALU_DEP_1)
	v_fmac_f32_e32 v144, v146, v143
	v_fma_f32 v135, -v135, v144, v145
	s_delay_alu instid0(VALU_DEP_1) | instskip(NEXT) | instid1(VALU_DEP_1)
	v_div_fmas_f32 v135, v135, v143, v144
	v_div_fixup_f32 v135, v135, v136, v137
	s_delay_alu instid0(VALU_DEP_1) | instskip(NEXT) | instid1(VALU_DEP_1)
	v_fmac_f32_e32 v136, v137, v135
	v_div_scale_f32 v137, null, v136, v136, 1.0
	s_delay_alu instid0(VALU_DEP_1) | instskip(SKIP_1) | instid1(TRANS32_DEP_1)
	v_rcp_f32_e32 v143, v137
	v_nop
	v_fma_f32 v144, -v137, v143, 1.0
	s_delay_alu instid0(VALU_DEP_1) | instskip(SKIP_1) | instid1(VALU_DEP_1)
	v_fmac_f32_e32 v143, v144, v143
	v_div_scale_f32 v144, vcc_lo, 1.0, v136, 1.0
	v_mul_f32_e32 v145, v144, v143
	s_delay_alu instid0(VALU_DEP_1) | instskip(NEXT) | instid1(VALU_DEP_1)
	v_fma_f32 v146, -v137, v145, v144
	v_fmac_f32_e32 v145, v146, v143
	s_delay_alu instid0(VALU_DEP_1) | instskip(NEXT) | instid1(VALU_DEP_1)
	v_fma_f32 v137, -v137, v145, v144
	v_div_fmas_f32 v137, v137, v143, v145
	s_delay_alu instid0(VALU_DEP_1) | instskip(NEXT) | instid1(VALU_DEP_1)
	v_div_fixup_f32 v136, v137, v136, 1.0
	v_mul_f32_e64 v137, v135, -v136
.LBB126_912:
	s_or_b32 exec_lo, exec_lo, s1
.LBB126_913:
	s_delay_alu instid0(SALU_CYCLE_1) | instskip(NEXT) | instid1(SALU_CYCLE_1)
	s_or_b32 exec_lo, exec_lo, s0
	s_mov_b32 s0, exec_lo
	v_cmpx_ne_u32_e64 v142, v134
	s_xor_b32 s0, exec_lo, s0
	s_cbranch_execz .LBB126_919
; %bb.914:
	s_mov_b32 s1, exec_lo
	v_cmpx_eq_u32_e32 43, v142
	s_cbranch_execz .LBB126_918
; %bb.915:
	v_cmp_ne_u32_e32 vcc_lo, 43, v134
	s_xor_b32 s12, s16, -1
	s_delay_alu instid0(SALU_CYCLE_1) | instskip(NEXT) | instid1(SALU_CYCLE_1)
	s_and_b32 s13, s12, vcc_lo
	s_and_saveexec_b32 s12, s13
	s_cbranch_execz .LBB126_917
; %bb.916:
	v_ashrrev_i32_e32 v135, 31, v134
	s_delay_alu instid0(VALU_DEP_1)
	v_lshl_add_u64 v[142:143], v[134:135], 2, v[4:5]
	s_clause 0x1
	global_load_b32 v135, v[142:143], off
	global_load_b32 v141, v[4:5], off offset:172
	s_wait_loadcnt 0x1
	global_store_b32 v[4:5], v135, off offset:172
	s_wait_loadcnt 0x0
	global_store_b32 v[142:143], v141, off
.LBB126_917:
	s_wait_xcnt 0x0
	s_or_b32 exec_lo, exec_lo, s12
	v_dual_mov_b32 v142, v134 :: v_dual_mov_b32 v141, v134
.LBB126_918:
	s_or_b32 exec_lo, exec_lo, s1
.LBB126_919:
	s_and_not1_saveexec_b32 s0, s0
	s_cbranch_execz .LBB126_921
; %bb.920:
	v_dual_mov_b32 v134, v60 :: v_dual_mov_b32 v135, v61
	v_dual_mov_b32 v142, v56 :: v_dual_mov_b32 v143, v57
	ds_store_2addr_b64 v138, v[134:135], v[142:143] offset0:44 offset1:45
	v_dual_mov_b32 v134, v58 :: v_dual_mov_b32 v135, v59
	v_dual_mov_b32 v142, v12 :: v_dual_mov_b32 v143, v13
	ds_store_2addr_b64 v138, v[134:135], v[142:143] offset0:46 offset1:47
	;; [unrolled: 3-line block ×9, first 2 shown]
	v_dual_mov_b32 v134, v10 :: v_dual_mov_b32 v135, v11
	v_mov_b32_e32 v142, 43
	ds_store_2addr_b64 v138, v[134:135], v[132:133] offset0:62 offset1:63
.LBB126_921:
	s_or_b32 exec_lo, exec_lo, s0
	s_delay_alu instid0(SALU_CYCLE_1)
	s_mov_b32 s0, exec_lo
	s_wait_storecnt_dscnt 0x0
	s_barrier_signal -1
	s_barrier_wait -1
	v_cmpx_lt_i32_e32 43, v142
	s_cbranch_execz .LBB126_923
; %bb.922:
	v_pk_mul_f32 v[144:145], v[136:137], v[18:19] op_sel:[1,1] op_sel_hi:[0,1]
	s_delay_alu instid0(VALU_DEP_1)
	v_pk_fma_f32 v[134:135], v[136:137], v[18:19], v[144:145] op_sel_hi:[1,0,1] neg_lo:[0,0,1] neg_hi:[0,0,1]
	v_pk_fma_f32 v[136:137], v[136:137], v[18:19], v[144:145] op_sel_hi:[1,0,1]
	ds_load_2addr_b64 v[144:147], v138 offset0:44 offset1:45
	v_dual_mov_b32 v18, v134 :: v_dual_mov_b32 v19, v137
	s_wait_dscnt 0x0
	v_pk_mul_f32 v[148:149], v[144:145], v[136:137] op_sel:[0,1]
	s_delay_alu instid0(VALU_DEP_1) | instskip(SKIP_1) | instid1(VALU_DEP_1)
	v_pk_fma_f32 v[150:151], v[144:145], v[134:135], v[148:149] op_sel:[0,0,1] op_sel_hi:[1,1,0] neg_lo:[0,0,1] neg_hi:[0,0,1]
	v_pk_fma_f32 v[144:145], v[144:145], v[134:135], v[148:149] op_sel:[0,0,1] op_sel_hi:[1,0,0]
	v_mov_b32_e32 v151, v145
	v_pk_mul_f32 v[144:145], v[146:147], v[136:137] op_sel:[0,1]
	s_delay_alu instid0(VALU_DEP_1) | instskip(SKIP_1) | instid1(VALU_DEP_1)
	v_pk_fma_f32 v[148:149], v[146:147], v[134:135], v[144:145] op_sel:[0,0,1] op_sel_hi:[1,1,0] neg_lo:[0,0,1] neg_hi:[0,0,1]
	v_pk_fma_f32 v[144:145], v[146:147], v[134:135], v[144:145] op_sel:[0,0,1] op_sel_hi:[1,0,0]
	v_mov_b32_e32 v149, v145
	ds_load_2addr_b64 v[144:147], v138 offset0:46 offset1:47
	v_pk_add_f32 v[60:61], v[60:61], v[150:151] neg_lo:[0,1] neg_hi:[0,1]
	v_pk_add_f32 v[56:57], v[56:57], v[148:149] neg_lo:[0,1] neg_hi:[0,1]
	s_wait_dscnt 0x0
	v_pk_mul_f32 v[148:149], v[144:145], v[136:137] op_sel:[0,1]
	s_delay_alu instid0(VALU_DEP_1) | instskip(SKIP_2) | instid1(VALU_DEP_2)
	v_pk_fma_f32 v[150:151], v[144:145], v[134:135], v[148:149] op_sel:[0,0,1] op_sel_hi:[1,1,0] neg_lo:[0,0,1] neg_hi:[0,0,1]
	v_pk_fma_f32 v[144:145], v[144:145], v[134:135], v[148:149] op_sel:[0,0,1] op_sel_hi:[1,0,0]
	v_dual_mul_f32 v148, v147, v137 :: v_dual_mov_b32 v144, v147
	v_dual_mov_b32 v151, v145 :: v_dual_mov_b32 v145, v146
	s_delay_alu instid0(VALU_DEP_2) | instskip(SKIP_1) | instid1(VALU_DEP_3)
	v_pk_fma_f32 v[148:149], v[146:147], v[18:19], v[148:149] op_sel_hi:[1,1,0] neg_lo:[0,0,1] neg_hi:[0,0,1]
	v_mul_f32_e32 v146, v147, v134
	v_pk_add_f32 v[58:59], v[58:59], v[150:151] neg_lo:[0,1] neg_hi:[0,1]
	s_delay_alu instid0(VALU_DEP_2) | instskip(NEXT) | instid1(VALU_DEP_1)
	v_pk_fma_f32 v[144:145], v[144:145], v[18:19], v[146:147] op_sel_hi:[1,1,0]
	v_mov_b32_e32 v149, v145
	ds_load_2addr_b64 v[144:147], v138 offset0:48 offset1:49
	v_pk_add_f32 v[12:13], v[12:13], v[148:149] neg_lo:[0,1] neg_hi:[0,1]
	s_wait_dscnt 0x0
	v_pk_mul_f32 v[148:149], v[144:145], v[136:137] op_sel:[0,1]
	s_delay_alu instid0(VALU_DEP_1) | instskip(SKIP_1) | instid1(VALU_DEP_1)
	v_pk_fma_f32 v[150:151], v[144:145], v[134:135], v[148:149] op_sel:[0,0,1] op_sel_hi:[1,1,0] neg_lo:[0,0,1] neg_hi:[0,0,1]
	v_pk_fma_f32 v[144:145], v[144:145], v[134:135], v[148:149] op_sel:[0,0,1] op_sel_hi:[1,0,0]
	v_mov_b32_e32 v151, v145
	v_pk_mul_f32 v[144:145], v[146:147], v[136:137] op_sel:[0,1]
	s_delay_alu instid0(VALU_DEP_1) | instskip(SKIP_1) | instid1(VALU_DEP_1)
	v_pk_fma_f32 v[148:149], v[146:147], v[134:135], v[144:145] op_sel:[0,0,1] op_sel_hi:[1,1,0] neg_lo:[0,0,1] neg_hi:[0,0,1]
	v_pk_fma_f32 v[144:145], v[146:147], v[134:135], v[144:145] op_sel:[0,0,1] op_sel_hi:[1,0,0]
	v_mov_b32_e32 v149, v145
	ds_load_2addr_b64 v[144:147], v138 offset0:50 offset1:51
	v_pk_add_f32 v[54:55], v[54:55], v[150:151] neg_lo:[0,1] neg_hi:[0,1]
	v_pk_add_f32 v[52:53], v[52:53], v[148:149] neg_lo:[0,1] neg_hi:[0,1]
	s_wait_dscnt 0x0
	v_pk_mul_f32 v[148:149], v[144:145], v[136:137] op_sel:[0,1]
	s_delay_alu instid0(VALU_DEP_1) | instskip(SKIP_1) | instid1(VALU_DEP_1)
	v_pk_fma_f32 v[150:151], v[144:145], v[134:135], v[148:149] op_sel:[0,0,1] op_sel_hi:[1,1,0] neg_lo:[0,0,1] neg_hi:[0,0,1]
	v_pk_fma_f32 v[144:145], v[144:145], v[134:135], v[148:149] op_sel:[0,0,1] op_sel_hi:[1,0,0]
	v_mov_b32_e32 v151, v145
	v_pk_mul_f32 v[144:145], v[146:147], v[136:137] op_sel:[0,1]
	s_delay_alu instid0(VALU_DEP_1) | instskip(SKIP_1) | instid1(VALU_DEP_1)
	v_pk_fma_f32 v[148:149], v[146:147], v[134:135], v[144:145] op_sel:[0,0,1] op_sel_hi:[1,1,0] neg_lo:[0,0,1] neg_hi:[0,0,1]
	v_pk_fma_f32 v[144:145], v[146:147], v[134:135], v[144:145] op_sel:[0,0,1] op_sel_hi:[1,0,0]
	v_mov_b32_e32 v149, v145
	ds_load_2addr_b64 v[144:147], v138 offset0:52 offset1:53
	v_pk_add_f32 v[62:63], v[62:63], v[150:151] neg_lo:[0,1] neg_hi:[0,1]
	v_pk_add_f32 v[16:17], v[16:17], v[148:149] neg_lo:[0,1] neg_hi:[0,1]
	s_wait_dscnt 0x0
	v_dual_mul_f32 v148, v145, v137 :: v_dual_mul_f32 v150, v145, v134
	s_delay_alu instid0(VALU_DEP_1) | instskip(NEXT) | instid1(VALU_DEP_2)
	v_pk_fma_f32 v[148:149], v[144:145], v[18:19], v[148:149] op_sel_hi:[1,1,0] neg_lo:[0,0,1] neg_hi:[0,0,1]
	v_pk_fma_f32 v[144:145], v[144:145], v[18:19], v[150:151] op_sel:[1,0,0] op_sel_hi:[0,1,0]
	s_delay_alu instid0(VALU_DEP_1) | instskip(SKIP_1) | instid1(VALU_DEP_2)
	v_mov_b32_e32 v149, v145
	v_pk_mul_f32 v[144:145], v[146:147], v[136:137] op_sel:[0,1]
	v_pk_add_f32 v[48:49], v[48:49], v[148:149] neg_lo:[0,1] neg_hi:[0,1]
	s_delay_alu instid0(VALU_DEP_2) | instskip(SKIP_1) | instid1(VALU_DEP_1)
	v_pk_fma_f32 v[148:149], v[146:147], v[134:135], v[144:145] op_sel:[0,0,1] op_sel_hi:[1,1,0] neg_lo:[0,0,1] neg_hi:[0,0,1]
	v_pk_fma_f32 v[144:145], v[146:147], v[134:135], v[144:145] op_sel:[0,0,1] op_sel_hi:[1,0,0]
	v_mov_b32_e32 v149, v145
	ds_load_2addr_b64 v[144:147], v138 offset0:54 offset1:55
	v_pk_add_f32 v[42:43], v[42:43], v[148:149] neg_lo:[0,1] neg_hi:[0,1]
	s_wait_dscnt 0x0
	v_pk_mul_f32 v[148:149], v[144:145], v[136:137] op_sel:[0,1]
	s_delay_alu instid0(VALU_DEP_1) | instskip(SKIP_1) | instid1(VALU_DEP_1)
	v_pk_fma_f32 v[150:151], v[144:145], v[134:135], v[148:149] op_sel:[0,0,1] op_sel_hi:[1,1,0] neg_lo:[0,0,1] neg_hi:[0,0,1]
	v_pk_fma_f32 v[144:145], v[144:145], v[134:135], v[148:149] op_sel:[0,0,1] op_sel_hi:[1,0,0]
	v_mov_b32_e32 v151, v145
	v_pk_mul_f32 v[144:145], v[146:147], v[136:137] op_sel:[0,1]
	s_delay_alu instid0(VALU_DEP_2) | instskip(NEXT) | instid1(VALU_DEP_2)
	v_pk_add_f32 v[46:47], v[46:47], v[150:151] neg_lo:[0,1] neg_hi:[0,1]
	v_pk_fma_f32 v[148:149], v[146:147], v[134:135], v[144:145] op_sel:[0,0,1] op_sel_hi:[1,1,0] neg_lo:[0,0,1] neg_hi:[0,0,1]
	v_pk_fma_f32 v[144:145], v[146:147], v[134:135], v[144:145] op_sel:[0,0,1] op_sel_hi:[1,0,0]
	s_delay_alu instid0(VALU_DEP_1) | instskip(SKIP_4) | instid1(VALU_DEP_1)
	v_mov_b32_e32 v149, v145
	ds_load_2addr_b64 v[144:147], v138 offset0:56 offset1:57
	v_pk_add_f32 v[8:9], v[8:9], v[148:149] neg_lo:[0,1] neg_hi:[0,1]
	s_wait_dscnt 0x0
	v_pk_mul_f32 v[148:149], v[144:145], v[136:137] op_sel:[0,1]
	v_pk_fma_f32 v[150:151], v[144:145], v[134:135], v[148:149] op_sel:[0,0,1] op_sel_hi:[1,1,0] neg_lo:[0,0,1] neg_hi:[0,0,1]
	v_pk_fma_f32 v[144:145], v[144:145], v[134:135], v[148:149] op_sel:[0,0,1] op_sel_hi:[1,0,0]
	v_dual_mul_f32 v148, v147, v137 :: v_dual_mov_b32 v144, v147
	s_delay_alu instid0(VALU_DEP_2) | instskip(NEXT) | instid1(VALU_DEP_2)
	v_dual_mov_b32 v151, v145 :: v_dual_mov_b32 v145, v146
	v_pk_fma_f32 v[148:149], v[146:147], v[18:19], v[148:149] op_sel_hi:[1,1,0] neg_lo:[0,0,1] neg_hi:[0,0,1]
	v_mul_f32_e32 v146, v147, v134
	s_delay_alu instid0(VALU_DEP_3) | instskip(NEXT) | instid1(VALU_DEP_2)
	v_pk_add_f32 v[32:33], v[32:33], v[150:151] neg_lo:[0,1] neg_hi:[0,1]
	v_pk_fma_f32 v[144:145], v[144:145], v[18:19], v[146:147] op_sel_hi:[1,1,0]
	s_delay_alu instid0(VALU_DEP_1) | instskip(SKIP_4) | instid1(VALU_DEP_1)
	v_mov_b32_e32 v149, v145
	ds_load_2addr_b64 v[144:147], v138 offset0:58 offset1:59
	v_pk_add_f32 v[28:29], v[28:29], v[148:149] neg_lo:[0,1] neg_hi:[0,1]
	s_wait_dscnt 0x0
	v_pk_mul_f32 v[148:149], v[144:145], v[136:137] op_sel:[0,1]
	v_pk_fma_f32 v[150:151], v[144:145], v[134:135], v[148:149] op_sel:[0,0,1] op_sel_hi:[1,1,0] neg_lo:[0,0,1] neg_hi:[0,0,1]
	v_pk_fma_f32 v[144:145], v[144:145], v[134:135], v[148:149] op_sel:[0,0,1] op_sel_hi:[1,0,0]
	s_delay_alu instid0(VALU_DEP_1) | instskip(SKIP_1) | instid1(VALU_DEP_1)
	v_mov_b32_e32 v151, v145
	v_pk_mul_f32 v[144:145], v[146:147], v[136:137] op_sel:[0,1]
	v_pk_fma_f32 v[148:149], v[146:147], v[134:135], v[144:145] op_sel:[0,0,1] op_sel_hi:[1,1,0] neg_lo:[0,0,1] neg_hi:[0,0,1]
	v_pk_fma_f32 v[144:145], v[146:147], v[134:135], v[144:145] op_sel:[0,0,1] op_sel_hi:[1,0,0]
	s_delay_alu instid0(VALU_DEP_1)
	v_mov_b32_e32 v149, v145
	ds_load_2addr_b64 v[144:147], v138 offset0:60 offset1:61
	v_pk_add_f32 v[30:31], v[30:31], v[150:151] neg_lo:[0,1] neg_hi:[0,1]
	v_pk_add_f32 v[6:7], v[6:7], v[148:149] neg_lo:[0,1] neg_hi:[0,1]
	s_wait_dscnt 0x0
	v_pk_mul_f32 v[148:149], v[144:145], v[136:137] op_sel:[0,1]
	s_delay_alu instid0(VALU_DEP_1) | instskip(SKIP_1) | instid1(VALU_DEP_1)
	v_pk_fma_f32 v[150:151], v[144:145], v[134:135], v[148:149] op_sel:[0,0,1] op_sel_hi:[1,1,0] neg_lo:[0,0,1] neg_hi:[0,0,1]
	v_pk_fma_f32 v[144:145], v[144:145], v[134:135], v[148:149] op_sel:[0,0,1] op_sel_hi:[1,0,0]
	v_mov_b32_e32 v151, v145
	v_pk_mul_f32 v[144:145], v[146:147], v[136:137] op_sel:[0,1]
	s_delay_alu instid0(VALU_DEP_1) | instskip(SKIP_1) | instid1(VALU_DEP_1)
	v_pk_fma_f32 v[148:149], v[146:147], v[134:135], v[144:145] op_sel:[0,0,1] op_sel_hi:[1,1,0] neg_lo:[0,0,1] neg_hi:[0,0,1]
	v_pk_fma_f32 v[144:145], v[146:147], v[134:135], v[144:145] op_sel:[0,0,1] op_sel_hi:[1,0,0]
	v_mov_b32_e32 v149, v145
	ds_load_2addr_b64 v[144:147], v138 offset0:62 offset1:63
	v_pk_add_f32 v[20:21], v[20:21], v[150:151] neg_lo:[0,1] neg_hi:[0,1]
	v_pk_add_f32 v[14:15], v[14:15], v[148:149] neg_lo:[0,1] neg_hi:[0,1]
	s_wait_dscnt 0x0
	v_dual_mul_f32 v148, v145, v137 :: v_dual_mul_f32 v150, v145, v134
	v_pk_mul_f32 v[136:137], v[146:147], v[136:137] op_sel:[0,1]
	s_delay_alu instid0(VALU_DEP_2) | instskip(NEXT) | instid1(VALU_DEP_3)
	v_pk_fma_f32 v[148:149], v[144:145], v[18:19], v[148:149] op_sel_hi:[1,1,0] neg_lo:[0,0,1] neg_hi:[0,0,1]
	v_pk_fma_f32 v[144:145], v[144:145], v[18:19], v[150:151] op_sel:[1,0,0] op_sel_hi:[0,1,0]
	s_delay_alu instid0(VALU_DEP_1) | instskip(NEXT) | instid1(VALU_DEP_4)
	v_mov_b32_e32 v149, v145
	v_pk_fma_f32 v[144:145], v[146:147], v[134:135], v[136:137] op_sel:[0,0,1] op_sel_hi:[1,1,0] neg_lo:[0,0,1] neg_hi:[0,0,1]
	v_pk_fma_f32 v[134:135], v[146:147], v[134:135], v[136:137] op_sel:[0,0,1] op_sel_hi:[1,0,0]
	s_delay_alu instid0(VALU_DEP_1) | instskip(NEXT) | instid1(VALU_DEP_4)
	v_mov_b32_e32 v145, v135
	v_pk_add_f32 v[10:11], v[10:11], v[148:149] neg_lo:[0,1] neg_hi:[0,1]
	s_delay_alu instid0(VALU_DEP_2)
	v_pk_add_f32 v[132:133], v[132:133], v[144:145] neg_lo:[0,1] neg_hi:[0,1]
.LBB126_923:
	s_or_b32 exec_lo, exec_lo, s0
	v_lshl_add_u32 v134, v142, 3, v138
	s_barrier_signal -1
	s_barrier_wait -1
	ds_store_b64 v134, v[60:61]
	s_wait_dscnt 0x0
	s_barrier_signal -1
	s_barrier_wait -1
	ds_load_b64 v[136:137], v138 offset:352
	v_mov_b32_e32 v134, 44
	s_cmp_lt_i32 s18, 46
	s_cbranch_scc1 .LBB126_926
; %bb.924:
	v_add3_u32 v135, v139, 0, 0x168
	v_mov_b32_e32 v134, 44
	s_mov_b32 s0, 45
.LBB126_925:                            ; =>This Inner Loop Header: Depth=1
	ds_load_b64 v[144:145], v135
	s_wait_dscnt 0x1
	v_cmp_gt_f32_e32 vcc_lo, 0, v136
	v_cndmask_b32_e64 v146, v136, -v136, vcc_lo
	v_cmp_gt_f32_e32 vcc_lo, 0, v137
	v_cndmask_b32_e64 v148, v137, -v137, vcc_lo
	s_wait_dscnt 0x0
	v_cmp_gt_f32_e32 vcc_lo, 0, v144
	v_cndmask_b32_e64 v147, v144, -v144, vcc_lo
	v_cmp_gt_f32_e32 vcc_lo, 0, v145
	v_cndmask_b32_e64 v149, v145, -v145, vcc_lo
	s_delay_alu instid0(VALU_DEP_1) | instskip(NEXT) | instid1(VALU_DEP_1)
	v_pk_add_f32 v[146:147], v[146:147], v[148:149]
	v_cmp_lt_f32_e32 vcc_lo, v146, v147
	v_dual_add_nc_u32 v135, 8, v135 :: v_dual_cndmask_b32 v137, v137, v145, vcc_lo
	v_cndmask_b32_e32 v136, v136, v144, vcc_lo
	v_cndmask_b32_e64 v134, v134, s0, vcc_lo
	s_add_co_i32 s0, s0, 1
	s_delay_alu instid0(SALU_CYCLE_1)
	s_cmp_lg_u32 s18, s0
	s_cbranch_scc1 .LBB126_925
.LBB126_926:
	s_wait_dscnt 0x0
	v_cmp_eq_f32_e32 vcc_lo, 0, v136
	v_cmp_eq_f32_e64 s0, 0, v137
	s_and_b32 s0, vcc_lo, s0
	s_delay_alu instid0(SALU_CYCLE_1) | instskip(NEXT) | instid1(SALU_CYCLE_1)
	s_and_saveexec_b32 s1, s0
	s_xor_b32 s0, exec_lo, s1
; %bb.927:
	v_cmp_ne_u32_e32 vcc_lo, 0, v140
	v_cndmask_b32_e32 v140, 45, v140, vcc_lo
; %bb.928:
	s_and_not1_saveexec_b32 s0, s0
	s_cbranch_execz .LBB126_934
; %bb.929:
	v_cmp_ngt_f32_e64 s1, |v136|, |v137|
	s_and_saveexec_b32 s12, s1
	s_delay_alu instid0(SALU_CYCLE_1)
	s_xor_b32 s1, exec_lo, s12
	s_cbranch_execz .LBB126_931
; %bb.930:
	v_div_scale_f32 v135, null, v137, v137, v136
	v_div_scale_f32 v145, vcc_lo, v136, v137, v136
	s_delay_alu instid0(VALU_DEP_2) | instskip(SKIP_1) | instid1(TRANS32_DEP_1)
	v_rcp_f32_e32 v143, v135
	v_nop
	v_fma_f32 v144, -v135, v143, 1.0
	s_delay_alu instid0(VALU_DEP_1) | instskip(NEXT) | instid1(VALU_DEP_1)
	v_fmac_f32_e32 v143, v144, v143
	v_mul_f32_e32 v144, v145, v143
	s_delay_alu instid0(VALU_DEP_1) | instskip(NEXT) | instid1(VALU_DEP_1)
	v_fma_f32 v146, -v135, v144, v145
	v_fmac_f32_e32 v144, v146, v143
	s_delay_alu instid0(VALU_DEP_1) | instskip(NEXT) | instid1(VALU_DEP_1)
	v_fma_f32 v135, -v135, v144, v145
	v_div_fmas_f32 v135, v135, v143, v144
	s_delay_alu instid0(VALU_DEP_1) | instskip(NEXT) | instid1(VALU_DEP_1)
	v_div_fixup_f32 v135, v135, v137, v136
	v_fmac_f32_e32 v137, v136, v135
	s_delay_alu instid0(VALU_DEP_1) | instskip(SKIP_1) | instid1(VALU_DEP_2)
	v_div_scale_f32 v136, null, v137, v137, 1.0
	v_div_scale_f32 v145, vcc_lo, 1.0, v137, 1.0
	v_rcp_f32_e32 v143, v136
	v_nop
	s_delay_alu instid0(TRANS32_DEP_1) | instskip(NEXT) | instid1(VALU_DEP_1)
	v_fma_f32 v144, -v136, v143, 1.0
	v_fmac_f32_e32 v143, v144, v143
	s_delay_alu instid0(VALU_DEP_1) | instskip(NEXT) | instid1(VALU_DEP_1)
	v_mul_f32_e32 v144, v145, v143
	v_fma_f32 v146, -v136, v144, v145
	s_delay_alu instid0(VALU_DEP_1) | instskip(NEXT) | instid1(VALU_DEP_1)
	v_fmac_f32_e32 v144, v146, v143
	v_fma_f32 v136, -v136, v144, v145
	s_delay_alu instid0(VALU_DEP_1) | instskip(NEXT) | instid1(VALU_DEP_1)
	v_div_fmas_f32 v136, v136, v143, v144
	v_div_fixup_f32 v137, v136, v137, 1.0
	s_delay_alu instid0(VALU_DEP_1)
	v_mul_f32_e32 v136, v135, v137
	v_xor_b32_e32 v137, 0x80000000, v137
.LBB126_931:
	s_and_not1_saveexec_b32 s1, s1
	s_cbranch_execz .LBB126_933
; %bb.932:
	s_delay_alu instid0(VALU_DEP_1) | instskip(SKIP_1) | instid1(VALU_DEP_2)
	v_div_scale_f32 v135, null, v136, v136, v137
	v_div_scale_f32 v145, vcc_lo, v137, v136, v137
	v_rcp_f32_e32 v143, v135
	v_nop
	s_delay_alu instid0(TRANS32_DEP_1) | instskip(NEXT) | instid1(VALU_DEP_1)
	v_fma_f32 v144, -v135, v143, 1.0
	v_fmac_f32_e32 v143, v144, v143
	s_delay_alu instid0(VALU_DEP_1) | instskip(NEXT) | instid1(VALU_DEP_1)
	v_mul_f32_e32 v144, v145, v143
	v_fma_f32 v146, -v135, v144, v145
	s_delay_alu instid0(VALU_DEP_1) | instskip(NEXT) | instid1(VALU_DEP_1)
	v_fmac_f32_e32 v144, v146, v143
	v_fma_f32 v135, -v135, v144, v145
	s_delay_alu instid0(VALU_DEP_1) | instskip(NEXT) | instid1(VALU_DEP_1)
	v_div_fmas_f32 v135, v135, v143, v144
	v_div_fixup_f32 v135, v135, v136, v137
	s_delay_alu instid0(VALU_DEP_1) | instskip(NEXT) | instid1(VALU_DEP_1)
	v_fmac_f32_e32 v136, v137, v135
	v_div_scale_f32 v137, null, v136, v136, 1.0
	s_delay_alu instid0(VALU_DEP_1) | instskip(SKIP_1) | instid1(TRANS32_DEP_1)
	v_rcp_f32_e32 v143, v137
	v_nop
	v_fma_f32 v144, -v137, v143, 1.0
	s_delay_alu instid0(VALU_DEP_1) | instskip(SKIP_1) | instid1(VALU_DEP_1)
	v_fmac_f32_e32 v143, v144, v143
	v_div_scale_f32 v144, vcc_lo, 1.0, v136, 1.0
	v_mul_f32_e32 v145, v144, v143
	s_delay_alu instid0(VALU_DEP_1) | instskip(NEXT) | instid1(VALU_DEP_1)
	v_fma_f32 v146, -v137, v145, v144
	v_fmac_f32_e32 v145, v146, v143
	s_delay_alu instid0(VALU_DEP_1) | instskip(NEXT) | instid1(VALU_DEP_1)
	v_fma_f32 v137, -v137, v145, v144
	v_div_fmas_f32 v137, v137, v143, v145
	s_delay_alu instid0(VALU_DEP_1) | instskip(NEXT) | instid1(VALU_DEP_1)
	v_div_fixup_f32 v136, v137, v136, 1.0
	v_mul_f32_e64 v137, v135, -v136
.LBB126_933:
	s_or_b32 exec_lo, exec_lo, s1
.LBB126_934:
	s_delay_alu instid0(SALU_CYCLE_1) | instskip(NEXT) | instid1(SALU_CYCLE_1)
	s_or_b32 exec_lo, exec_lo, s0
	s_mov_b32 s0, exec_lo
	v_cmpx_ne_u32_e64 v142, v134
	s_xor_b32 s0, exec_lo, s0
	s_cbranch_execz .LBB126_940
; %bb.935:
	s_mov_b32 s1, exec_lo
	v_cmpx_eq_u32_e32 44, v142
	s_cbranch_execz .LBB126_939
; %bb.936:
	v_cmp_ne_u32_e32 vcc_lo, 44, v134
	s_xor_b32 s12, s16, -1
	s_delay_alu instid0(SALU_CYCLE_1) | instskip(NEXT) | instid1(SALU_CYCLE_1)
	s_and_b32 s13, s12, vcc_lo
	s_and_saveexec_b32 s12, s13
	s_cbranch_execz .LBB126_938
; %bb.937:
	v_ashrrev_i32_e32 v135, 31, v134
	s_delay_alu instid0(VALU_DEP_1)
	v_lshl_add_u64 v[142:143], v[134:135], 2, v[4:5]
	s_clause 0x1
	global_load_b32 v135, v[142:143], off
	global_load_b32 v141, v[4:5], off offset:176
	s_wait_loadcnt 0x1
	global_store_b32 v[4:5], v135, off offset:176
	s_wait_loadcnt 0x0
	global_store_b32 v[142:143], v141, off
.LBB126_938:
	s_wait_xcnt 0x0
	s_or_b32 exec_lo, exec_lo, s12
	v_dual_mov_b32 v142, v134 :: v_dual_mov_b32 v141, v134
.LBB126_939:
	s_or_b32 exec_lo, exec_lo, s1
.LBB126_940:
	s_and_not1_saveexec_b32 s0, s0
	s_cbranch_execz .LBB126_942
; %bb.941:
	v_mov_b32_e32 v142, 44
	ds_store_2addr_b64 v138, v[56:57], v[58:59] offset0:45 offset1:46
	ds_store_2addr_b64 v138, v[12:13], v[54:55] offset0:47 offset1:48
	;; [unrolled: 1-line block ×9, first 2 shown]
	ds_store_b64 v138, v[132:133] offset:504
.LBB126_942:
	s_or_b32 exec_lo, exec_lo, s0
	s_delay_alu instid0(SALU_CYCLE_1)
	s_mov_b32 s0, exec_lo
	s_wait_storecnt_dscnt 0x0
	s_barrier_signal -1
	s_barrier_wait -1
	v_cmpx_lt_i32_e32 44, v142
	s_cbranch_execz .LBB126_944
; %bb.943:
	v_pk_mul_f32 v[144:145], v[136:137], v[60:61] op_sel:[1,1] op_sel_hi:[0,1]
	s_delay_alu instid0(VALU_DEP_1)
	v_pk_fma_f32 v[134:135], v[136:137], v[60:61], v[144:145] op_sel_hi:[1,0,1] neg_lo:[0,0,1] neg_hi:[0,0,1]
	v_pk_fma_f32 v[136:137], v[136:137], v[60:61], v[144:145] op_sel_hi:[1,0,1]
	ds_load_2addr_b64 v[144:147], v138 offset0:45 offset1:46
	v_dual_mov_b32 v60, v134 :: v_dual_mov_b32 v61, v137
	s_wait_dscnt 0x0
	v_pk_mul_f32 v[148:149], v[144:145], v[136:137] op_sel:[0,1]
	s_delay_alu instid0(VALU_DEP_1) | instskip(SKIP_1) | instid1(VALU_DEP_1)
	v_pk_fma_f32 v[150:151], v[144:145], v[134:135], v[148:149] op_sel:[0,0,1] op_sel_hi:[1,1,0] neg_lo:[0,0,1] neg_hi:[0,0,1]
	v_pk_fma_f32 v[144:145], v[144:145], v[134:135], v[148:149] op_sel:[0,0,1] op_sel_hi:[1,0,0]
	v_mov_b32_e32 v151, v145
	v_pk_mul_f32 v[144:145], v[146:147], v[136:137] op_sel:[0,1]
	s_delay_alu instid0(VALU_DEP_1) | instskip(SKIP_1) | instid1(VALU_DEP_1)
	v_pk_fma_f32 v[148:149], v[146:147], v[134:135], v[144:145] op_sel:[0,0,1] op_sel_hi:[1,1,0] neg_lo:[0,0,1] neg_hi:[0,0,1]
	v_pk_fma_f32 v[144:145], v[146:147], v[134:135], v[144:145] op_sel:[0,0,1] op_sel_hi:[1,0,0]
	v_mov_b32_e32 v149, v145
	ds_load_2addr_b64 v[144:147], v138 offset0:47 offset1:48
	v_pk_add_f32 v[56:57], v[56:57], v[150:151] neg_lo:[0,1] neg_hi:[0,1]
	v_pk_add_f32 v[58:59], v[58:59], v[148:149] neg_lo:[0,1] neg_hi:[0,1]
	s_wait_dscnt 0x0
	v_pk_mul_f32 v[148:149], v[144:145], v[136:137] op_sel:[0,1]
	s_delay_alu instid0(VALU_DEP_1) | instskip(SKIP_2) | instid1(VALU_DEP_2)
	v_pk_fma_f32 v[150:151], v[144:145], v[134:135], v[148:149] op_sel:[0,0,1] op_sel_hi:[1,1,0] neg_lo:[0,0,1] neg_hi:[0,0,1]
	v_pk_fma_f32 v[144:145], v[144:145], v[134:135], v[148:149] op_sel:[0,0,1] op_sel_hi:[1,0,0]
	v_dual_mul_f32 v148, v147, v137 :: v_dual_mov_b32 v144, v147
	v_dual_mov_b32 v151, v145 :: v_dual_mov_b32 v145, v146
	s_delay_alu instid0(VALU_DEP_2) | instskip(SKIP_1) | instid1(VALU_DEP_3)
	v_pk_fma_f32 v[148:149], v[146:147], v[60:61], v[148:149] op_sel_hi:[1,1,0] neg_lo:[0,0,1] neg_hi:[0,0,1]
	v_mul_f32_e32 v146, v147, v134
	v_pk_add_f32 v[12:13], v[12:13], v[150:151] neg_lo:[0,1] neg_hi:[0,1]
	s_delay_alu instid0(VALU_DEP_2) | instskip(NEXT) | instid1(VALU_DEP_1)
	v_pk_fma_f32 v[144:145], v[144:145], v[60:61], v[146:147] op_sel_hi:[1,1,0]
	v_mov_b32_e32 v149, v145
	ds_load_2addr_b64 v[144:147], v138 offset0:49 offset1:50
	v_pk_add_f32 v[54:55], v[54:55], v[148:149] neg_lo:[0,1] neg_hi:[0,1]
	s_wait_dscnt 0x0
	v_pk_mul_f32 v[148:149], v[144:145], v[136:137] op_sel:[0,1]
	s_delay_alu instid0(VALU_DEP_1) | instskip(SKIP_1) | instid1(VALU_DEP_1)
	v_pk_fma_f32 v[150:151], v[144:145], v[134:135], v[148:149] op_sel:[0,0,1] op_sel_hi:[1,1,0] neg_lo:[0,0,1] neg_hi:[0,0,1]
	v_pk_fma_f32 v[144:145], v[144:145], v[134:135], v[148:149] op_sel:[0,0,1] op_sel_hi:[1,0,0]
	v_mov_b32_e32 v151, v145
	v_pk_mul_f32 v[144:145], v[146:147], v[136:137] op_sel:[0,1]
	s_delay_alu instid0(VALU_DEP_1) | instskip(SKIP_1) | instid1(VALU_DEP_1)
	v_pk_fma_f32 v[148:149], v[146:147], v[134:135], v[144:145] op_sel:[0,0,1] op_sel_hi:[1,1,0] neg_lo:[0,0,1] neg_hi:[0,0,1]
	v_pk_fma_f32 v[144:145], v[146:147], v[134:135], v[144:145] op_sel:[0,0,1] op_sel_hi:[1,0,0]
	v_mov_b32_e32 v149, v145
	ds_load_2addr_b64 v[144:147], v138 offset0:51 offset1:52
	v_pk_add_f32 v[52:53], v[52:53], v[150:151] neg_lo:[0,1] neg_hi:[0,1]
	v_pk_add_f32 v[62:63], v[62:63], v[148:149] neg_lo:[0,1] neg_hi:[0,1]
	s_wait_dscnt 0x0
	v_pk_mul_f32 v[148:149], v[144:145], v[136:137] op_sel:[0,1]
	s_delay_alu instid0(VALU_DEP_1) | instskip(SKIP_1) | instid1(VALU_DEP_1)
	v_pk_fma_f32 v[150:151], v[144:145], v[134:135], v[148:149] op_sel:[0,0,1] op_sel_hi:[1,1,0] neg_lo:[0,0,1] neg_hi:[0,0,1]
	v_pk_fma_f32 v[144:145], v[144:145], v[134:135], v[148:149] op_sel:[0,0,1] op_sel_hi:[1,0,0]
	v_mov_b32_e32 v151, v145
	v_pk_mul_f32 v[144:145], v[146:147], v[136:137] op_sel:[0,1]
	s_delay_alu instid0(VALU_DEP_1) | instskip(SKIP_1) | instid1(VALU_DEP_1)
	v_pk_fma_f32 v[148:149], v[146:147], v[134:135], v[144:145] op_sel:[0,0,1] op_sel_hi:[1,1,0] neg_lo:[0,0,1] neg_hi:[0,0,1]
	v_pk_fma_f32 v[144:145], v[146:147], v[134:135], v[144:145] op_sel:[0,0,1] op_sel_hi:[1,0,0]
	v_mov_b32_e32 v149, v145
	ds_load_2addr_b64 v[144:147], v138 offset0:53 offset1:54
	v_pk_add_f32 v[16:17], v[16:17], v[150:151] neg_lo:[0,1] neg_hi:[0,1]
	v_pk_add_f32 v[48:49], v[48:49], v[148:149] neg_lo:[0,1] neg_hi:[0,1]
	s_wait_dscnt 0x0
	v_dual_mul_f32 v148, v145, v137 :: v_dual_mul_f32 v150, v145, v134
	s_delay_alu instid0(VALU_DEP_1) | instskip(NEXT) | instid1(VALU_DEP_2)
	v_pk_fma_f32 v[148:149], v[144:145], v[60:61], v[148:149] op_sel_hi:[1,1,0] neg_lo:[0,0,1] neg_hi:[0,0,1]
	v_pk_fma_f32 v[144:145], v[144:145], v[60:61], v[150:151] op_sel:[1,0,0] op_sel_hi:[0,1,0]
	s_delay_alu instid0(VALU_DEP_1) | instskip(SKIP_1) | instid1(VALU_DEP_2)
	v_mov_b32_e32 v149, v145
	v_pk_mul_f32 v[144:145], v[146:147], v[136:137] op_sel:[0,1]
	v_pk_add_f32 v[42:43], v[42:43], v[148:149] neg_lo:[0,1] neg_hi:[0,1]
	s_delay_alu instid0(VALU_DEP_2) | instskip(SKIP_1) | instid1(VALU_DEP_1)
	v_pk_fma_f32 v[148:149], v[146:147], v[134:135], v[144:145] op_sel:[0,0,1] op_sel_hi:[1,1,0] neg_lo:[0,0,1] neg_hi:[0,0,1]
	v_pk_fma_f32 v[144:145], v[146:147], v[134:135], v[144:145] op_sel:[0,0,1] op_sel_hi:[1,0,0]
	v_mov_b32_e32 v149, v145
	ds_load_2addr_b64 v[144:147], v138 offset0:55 offset1:56
	v_pk_add_f32 v[46:47], v[46:47], v[148:149] neg_lo:[0,1] neg_hi:[0,1]
	s_wait_dscnt 0x0
	v_pk_mul_f32 v[148:149], v[144:145], v[136:137] op_sel:[0,1]
	s_delay_alu instid0(VALU_DEP_1) | instskip(SKIP_1) | instid1(VALU_DEP_1)
	v_pk_fma_f32 v[150:151], v[144:145], v[134:135], v[148:149] op_sel:[0,0,1] op_sel_hi:[1,1,0] neg_lo:[0,0,1] neg_hi:[0,0,1]
	v_pk_fma_f32 v[144:145], v[144:145], v[134:135], v[148:149] op_sel:[0,0,1] op_sel_hi:[1,0,0]
	v_mov_b32_e32 v151, v145
	v_pk_mul_f32 v[144:145], v[146:147], v[136:137] op_sel:[0,1]
	s_delay_alu instid0(VALU_DEP_2) | instskip(NEXT) | instid1(VALU_DEP_2)
	v_pk_add_f32 v[8:9], v[8:9], v[150:151] neg_lo:[0,1] neg_hi:[0,1]
	v_pk_fma_f32 v[148:149], v[146:147], v[134:135], v[144:145] op_sel:[0,0,1] op_sel_hi:[1,1,0] neg_lo:[0,0,1] neg_hi:[0,0,1]
	v_pk_fma_f32 v[144:145], v[146:147], v[134:135], v[144:145] op_sel:[0,0,1] op_sel_hi:[1,0,0]
	s_delay_alu instid0(VALU_DEP_1) | instskip(SKIP_4) | instid1(VALU_DEP_1)
	v_mov_b32_e32 v149, v145
	ds_load_2addr_b64 v[144:147], v138 offset0:57 offset1:58
	v_pk_add_f32 v[32:33], v[32:33], v[148:149] neg_lo:[0,1] neg_hi:[0,1]
	s_wait_dscnt 0x0
	v_pk_mul_f32 v[148:149], v[144:145], v[136:137] op_sel:[0,1]
	v_pk_fma_f32 v[150:151], v[144:145], v[134:135], v[148:149] op_sel:[0,0,1] op_sel_hi:[1,1,0] neg_lo:[0,0,1] neg_hi:[0,0,1]
	v_pk_fma_f32 v[144:145], v[144:145], v[134:135], v[148:149] op_sel:[0,0,1] op_sel_hi:[1,0,0]
	v_dual_mul_f32 v148, v147, v137 :: v_dual_mov_b32 v144, v147
	s_delay_alu instid0(VALU_DEP_2) | instskip(NEXT) | instid1(VALU_DEP_2)
	v_dual_mov_b32 v151, v145 :: v_dual_mov_b32 v145, v146
	v_pk_fma_f32 v[148:149], v[146:147], v[60:61], v[148:149] op_sel_hi:[1,1,0] neg_lo:[0,0,1] neg_hi:[0,0,1]
	v_mul_f32_e32 v146, v147, v134
	s_delay_alu instid0(VALU_DEP_3) | instskip(NEXT) | instid1(VALU_DEP_2)
	v_pk_add_f32 v[28:29], v[28:29], v[150:151] neg_lo:[0,1] neg_hi:[0,1]
	v_pk_fma_f32 v[144:145], v[144:145], v[60:61], v[146:147] op_sel_hi:[1,1,0]
	s_delay_alu instid0(VALU_DEP_1) | instskip(SKIP_4) | instid1(VALU_DEP_1)
	v_mov_b32_e32 v149, v145
	ds_load_2addr_b64 v[144:147], v138 offset0:59 offset1:60
	v_pk_add_f32 v[30:31], v[30:31], v[148:149] neg_lo:[0,1] neg_hi:[0,1]
	s_wait_dscnt 0x0
	v_pk_mul_f32 v[148:149], v[144:145], v[136:137] op_sel:[0,1]
	v_pk_fma_f32 v[150:151], v[144:145], v[134:135], v[148:149] op_sel:[0,0,1] op_sel_hi:[1,1,0] neg_lo:[0,0,1] neg_hi:[0,0,1]
	v_pk_fma_f32 v[144:145], v[144:145], v[134:135], v[148:149] op_sel:[0,0,1] op_sel_hi:[1,0,0]
	s_delay_alu instid0(VALU_DEP_1) | instskip(SKIP_1) | instid1(VALU_DEP_1)
	v_mov_b32_e32 v151, v145
	v_pk_mul_f32 v[144:145], v[146:147], v[136:137] op_sel:[0,1]
	v_pk_fma_f32 v[148:149], v[146:147], v[134:135], v[144:145] op_sel:[0,0,1] op_sel_hi:[1,1,0] neg_lo:[0,0,1] neg_hi:[0,0,1]
	v_pk_fma_f32 v[144:145], v[146:147], v[134:135], v[144:145] op_sel:[0,0,1] op_sel_hi:[1,0,0]
	s_delay_alu instid0(VALU_DEP_1)
	v_mov_b32_e32 v149, v145
	ds_load_2addr_b64 v[144:147], v138 offset0:61 offset1:62
	v_pk_add_f32 v[6:7], v[6:7], v[150:151] neg_lo:[0,1] neg_hi:[0,1]
	v_pk_add_f32 v[20:21], v[20:21], v[148:149] neg_lo:[0,1] neg_hi:[0,1]
	s_wait_dscnt 0x0
	v_pk_mul_f32 v[148:149], v[144:145], v[136:137] op_sel:[0,1]
	s_delay_alu instid0(VALU_DEP_1) | instskip(SKIP_1) | instid1(VALU_DEP_1)
	v_pk_fma_f32 v[150:151], v[144:145], v[134:135], v[148:149] op_sel:[0,0,1] op_sel_hi:[1,1,0] neg_lo:[0,0,1] neg_hi:[0,0,1]
	v_pk_fma_f32 v[144:145], v[144:145], v[134:135], v[148:149] op_sel:[0,0,1] op_sel_hi:[1,0,0]
	v_mov_b32_e32 v151, v145
	v_pk_mul_f32 v[144:145], v[146:147], v[136:137] op_sel:[0,1]
	s_delay_alu instid0(VALU_DEP_1) | instskip(SKIP_1) | instid1(VALU_DEP_1)
	v_pk_fma_f32 v[148:149], v[146:147], v[134:135], v[144:145] op_sel:[0,0,1] op_sel_hi:[1,1,0] neg_lo:[0,0,1] neg_hi:[0,0,1]
	v_pk_fma_f32 v[144:145], v[146:147], v[134:135], v[144:145] op_sel:[0,0,1] op_sel_hi:[1,0,0]
	v_mov_b32_e32 v149, v145
	ds_load_b64 v[144:145], v138 offset:504
	v_pk_add_f32 v[14:15], v[14:15], v[150:151] neg_lo:[0,1] neg_hi:[0,1]
	v_pk_add_f32 v[10:11], v[10:11], v[148:149] neg_lo:[0,1] neg_hi:[0,1]
	s_wait_dscnt 0x0
	v_pk_mul_f32 v[136:137], v[144:145], v[136:137] op_sel:[0,1]
	s_delay_alu instid0(VALU_DEP_1) | instskip(SKIP_1) | instid1(VALU_DEP_1)
	v_pk_fma_f32 v[146:147], v[144:145], v[134:135], v[136:137] op_sel:[0,0,1] op_sel_hi:[1,1,0] neg_lo:[0,0,1] neg_hi:[0,0,1]
	v_pk_fma_f32 v[134:135], v[144:145], v[134:135], v[136:137] op_sel:[0,0,1] op_sel_hi:[1,0,0]
	v_mov_b32_e32 v147, v135
	s_delay_alu instid0(VALU_DEP_1)
	v_pk_add_f32 v[132:133], v[132:133], v[146:147] neg_lo:[0,1] neg_hi:[0,1]
.LBB126_944:
	s_or_b32 exec_lo, exec_lo, s0
	v_lshl_add_u32 v134, v142, 3, v138
	s_barrier_signal -1
	s_barrier_wait -1
	ds_store_b64 v134, v[56:57]
	s_wait_dscnt 0x0
	s_barrier_signal -1
	s_barrier_wait -1
	ds_load_b64 v[134:135], v138 offset:360
	v_mov_b32_e32 v136, 45
	s_cmp_lt_i32 s18, 47
	s_cbranch_scc1 .LBB126_947
; %bb.945:
	v_add3_u32 v137, v139, 0, 0x170
	v_mov_b32_e32 v136, 45
	s_mov_b32 s0, 46
.LBB126_946:                            ; =>This Inner Loop Header: Depth=1
	ds_load_b64 v[144:145], v137
	s_wait_dscnt 0x1
	v_cmp_gt_f32_e32 vcc_lo, 0, v134
	v_cndmask_b32_e64 v146, v134, -v134, vcc_lo
	v_cmp_gt_f32_e32 vcc_lo, 0, v135
	v_cndmask_b32_e64 v148, v135, -v135, vcc_lo
	s_wait_dscnt 0x0
	v_cmp_gt_f32_e32 vcc_lo, 0, v144
	v_cndmask_b32_e64 v147, v144, -v144, vcc_lo
	v_cmp_gt_f32_e32 vcc_lo, 0, v145
	v_cndmask_b32_e64 v149, v145, -v145, vcc_lo
	s_delay_alu instid0(VALU_DEP_1) | instskip(NEXT) | instid1(VALU_DEP_1)
	v_pk_add_f32 v[146:147], v[146:147], v[148:149]
	v_cmp_lt_f32_e32 vcc_lo, v146, v147
	v_dual_cndmask_b32 v134, v134, v144 :: v_dual_add_nc_u32 v137, 8, v137
	v_cndmask_b32_e32 v135, v135, v145, vcc_lo
	v_cndmask_b32_e64 v136, v136, s0, vcc_lo
	s_add_co_i32 s0, s0, 1
	s_delay_alu instid0(SALU_CYCLE_1)
	s_cmp_lg_u32 s18, s0
	s_cbranch_scc1 .LBB126_946
.LBB126_947:
	s_wait_dscnt 0x0
	v_cmp_eq_f32_e32 vcc_lo, 0, v134
	v_cmp_eq_f32_e64 s0, 0, v135
	s_and_b32 s0, vcc_lo, s0
	s_delay_alu instid0(SALU_CYCLE_1) | instskip(NEXT) | instid1(SALU_CYCLE_1)
	s_and_saveexec_b32 s1, s0
	s_xor_b32 s0, exec_lo, s1
; %bb.948:
	v_cmp_ne_u32_e32 vcc_lo, 0, v140
	v_cndmask_b32_e32 v140, 46, v140, vcc_lo
; %bb.949:
	s_and_not1_saveexec_b32 s0, s0
	s_cbranch_execz .LBB126_955
; %bb.950:
	v_cmp_ngt_f32_e64 s1, |v134|, |v135|
	s_and_saveexec_b32 s12, s1
	s_delay_alu instid0(SALU_CYCLE_1)
	s_xor_b32 s1, exec_lo, s12
	s_cbranch_execz .LBB126_952
; %bb.951:
	v_div_scale_f32 v137, null, v135, v135, v134
	v_div_scale_f32 v145, vcc_lo, v134, v135, v134
	s_delay_alu instid0(VALU_DEP_2) | instskip(SKIP_1) | instid1(TRANS32_DEP_1)
	v_rcp_f32_e32 v143, v137
	v_nop
	v_fma_f32 v144, -v137, v143, 1.0
	s_delay_alu instid0(VALU_DEP_1) | instskip(NEXT) | instid1(VALU_DEP_1)
	v_fmac_f32_e32 v143, v144, v143
	v_mul_f32_e32 v144, v145, v143
	s_delay_alu instid0(VALU_DEP_1) | instskip(NEXT) | instid1(VALU_DEP_1)
	v_fma_f32 v146, -v137, v144, v145
	v_fmac_f32_e32 v144, v146, v143
	s_delay_alu instid0(VALU_DEP_1) | instskip(NEXT) | instid1(VALU_DEP_1)
	v_fma_f32 v137, -v137, v144, v145
	v_div_fmas_f32 v137, v137, v143, v144
	s_delay_alu instid0(VALU_DEP_1) | instskip(NEXT) | instid1(VALU_DEP_1)
	v_div_fixup_f32 v137, v137, v135, v134
	v_fmac_f32_e32 v135, v134, v137
	s_delay_alu instid0(VALU_DEP_1) | instskip(SKIP_1) | instid1(VALU_DEP_2)
	v_div_scale_f32 v134, null, v135, v135, 1.0
	v_div_scale_f32 v145, vcc_lo, 1.0, v135, 1.0
	v_rcp_f32_e32 v143, v134
	v_nop
	s_delay_alu instid0(TRANS32_DEP_1) | instskip(NEXT) | instid1(VALU_DEP_1)
	v_fma_f32 v144, -v134, v143, 1.0
	v_fmac_f32_e32 v143, v144, v143
	s_delay_alu instid0(VALU_DEP_1) | instskip(NEXT) | instid1(VALU_DEP_1)
	v_mul_f32_e32 v144, v145, v143
	v_fma_f32 v146, -v134, v144, v145
	s_delay_alu instid0(VALU_DEP_1) | instskip(NEXT) | instid1(VALU_DEP_1)
	v_fmac_f32_e32 v144, v146, v143
	v_fma_f32 v134, -v134, v144, v145
	s_delay_alu instid0(VALU_DEP_1) | instskip(NEXT) | instid1(VALU_DEP_1)
	v_div_fmas_f32 v134, v134, v143, v144
	v_div_fixup_f32 v135, v134, v135, 1.0
	s_delay_alu instid0(VALU_DEP_1)
	v_mul_f32_e32 v134, v137, v135
	v_xor_b32_e32 v135, 0x80000000, v135
.LBB126_952:
	s_and_not1_saveexec_b32 s1, s1
	s_cbranch_execz .LBB126_954
; %bb.953:
	s_delay_alu instid0(VALU_DEP_1) | instskip(SKIP_1) | instid1(VALU_DEP_2)
	v_div_scale_f32 v137, null, v134, v134, v135
	v_div_scale_f32 v145, vcc_lo, v135, v134, v135
	v_rcp_f32_e32 v143, v137
	v_nop
	s_delay_alu instid0(TRANS32_DEP_1) | instskip(NEXT) | instid1(VALU_DEP_1)
	v_fma_f32 v144, -v137, v143, 1.0
	v_fmac_f32_e32 v143, v144, v143
	s_delay_alu instid0(VALU_DEP_1) | instskip(NEXT) | instid1(VALU_DEP_1)
	v_mul_f32_e32 v144, v145, v143
	v_fma_f32 v146, -v137, v144, v145
	s_delay_alu instid0(VALU_DEP_1) | instskip(NEXT) | instid1(VALU_DEP_1)
	v_fmac_f32_e32 v144, v146, v143
	v_fma_f32 v137, -v137, v144, v145
	s_delay_alu instid0(VALU_DEP_1) | instskip(NEXT) | instid1(VALU_DEP_1)
	v_div_fmas_f32 v137, v137, v143, v144
	v_div_fixup_f32 v137, v137, v134, v135
	s_delay_alu instid0(VALU_DEP_1) | instskip(NEXT) | instid1(VALU_DEP_1)
	v_fmac_f32_e32 v134, v135, v137
	v_div_scale_f32 v135, null, v134, v134, 1.0
	s_delay_alu instid0(VALU_DEP_1) | instskip(SKIP_1) | instid1(TRANS32_DEP_1)
	v_rcp_f32_e32 v143, v135
	v_nop
	v_fma_f32 v144, -v135, v143, 1.0
	s_delay_alu instid0(VALU_DEP_1) | instskip(SKIP_1) | instid1(VALU_DEP_1)
	v_fmac_f32_e32 v143, v144, v143
	v_div_scale_f32 v144, vcc_lo, 1.0, v134, 1.0
	v_mul_f32_e32 v145, v144, v143
	s_delay_alu instid0(VALU_DEP_1) | instskip(NEXT) | instid1(VALU_DEP_1)
	v_fma_f32 v146, -v135, v145, v144
	v_fmac_f32_e32 v145, v146, v143
	s_delay_alu instid0(VALU_DEP_1) | instskip(NEXT) | instid1(VALU_DEP_1)
	v_fma_f32 v135, -v135, v145, v144
	v_div_fmas_f32 v135, v135, v143, v145
	s_delay_alu instid0(VALU_DEP_1) | instskip(NEXT) | instid1(VALU_DEP_1)
	v_div_fixup_f32 v134, v135, v134, 1.0
	v_mul_f32_e64 v135, v137, -v134
.LBB126_954:
	s_or_b32 exec_lo, exec_lo, s1
.LBB126_955:
	s_delay_alu instid0(SALU_CYCLE_1) | instskip(NEXT) | instid1(SALU_CYCLE_1)
	s_or_b32 exec_lo, exec_lo, s0
	s_mov_b32 s0, exec_lo
	v_cmpx_ne_u32_e64 v142, v136
	s_xor_b32 s0, exec_lo, s0
	s_cbranch_execz .LBB126_961
; %bb.956:
	s_mov_b32 s1, exec_lo
	v_cmpx_eq_u32_e32 45, v142
	s_cbranch_execz .LBB126_960
; %bb.957:
	v_cmp_ne_u32_e32 vcc_lo, 45, v136
	s_xor_b32 s12, s16, -1
	s_delay_alu instid0(SALU_CYCLE_1) | instskip(NEXT) | instid1(SALU_CYCLE_1)
	s_and_b32 s13, s12, vcc_lo
	s_and_saveexec_b32 s12, s13
	s_cbranch_execz .LBB126_959
; %bb.958:
	v_ashrrev_i32_e32 v137, 31, v136
	s_delay_alu instid0(VALU_DEP_1)
	v_lshl_add_u64 v[142:143], v[136:137], 2, v[4:5]
	s_clause 0x1
	global_load_b32 v137, v[142:143], off
	global_load_b32 v141, v[4:5], off offset:180
	s_wait_loadcnt 0x1
	global_store_b32 v[4:5], v137, off offset:180
	s_wait_loadcnt 0x0
	global_store_b32 v[142:143], v141, off
.LBB126_959:
	s_wait_xcnt 0x0
	s_or_b32 exec_lo, exec_lo, s12
	v_dual_mov_b32 v142, v136 :: v_dual_mov_b32 v141, v136
.LBB126_960:
	s_or_b32 exec_lo, exec_lo, s1
.LBB126_961:
	s_and_not1_saveexec_b32 s0, s0
	s_cbranch_execz .LBB126_963
; %bb.962:
	v_dual_mov_b32 v136, v58 :: v_dual_mov_b32 v137, v59
	v_dual_mov_b32 v142, v12 :: v_dual_mov_b32 v143, v13
	;; [unrolled: 1-line block ×8, first 2 shown]
	ds_store_2addr_b64 v138, v[136:137], v[142:143] offset0:46 offset1:47
	ds_store_2addr_b64 v138, v[144:145], v[146:147] offset0:48 offset1:49
	;; [unrolled: 1-line block ×4, first 2 shown]
	v_dual_mov_b32 v136, v46 :: v_dual_mov_b32 v137, v47
	v_dual_mov_b32 v144, v8 :: v_dual_mov_b32 v145, v9
	;; [unrolled: 1-line block ×9, first 2 shown]
	v_mov_b32_e32 v159, v11
	ds_store_2addr_b64 v138, v[136:137], v[144:145] offset0:54 offset1:55
	ds_store_2addr_b64 v138, v[146:147], v[148:149] offset0:56 offset1:57
	;; [unrolled: 1-line block ×5, first 2 shown]
.LBB126_963:
	s_or_b32 exec_lo, exec_lo, s0
	s_delay_alu instid0(SALU_CYCLE_1)
	s_mov_b32 s0, exec_lo
	s_wait_storecnt_dscnt 0x0
	s_barrier_signal -1
	s_barrier_wait -1
	v_cmpx_lt_i32_e32 45, v142
	s_cbranch_execz .LBB126_965
; %bb.964:
	v_pk_mul_f32 v[144:145], v[134:135], v[56:57] op_sel:[1,1] op_sel_hi:[0,1]
	s_delay_alu instid0(VALU_DEP_1)
	v_pk_fma_f32 v[136:137], v[134:135], v[56:57], v[144:145] op_sel_hi:[1,0,1] neg_lo:[0,0,1] neg_hi:[0,0,1]
	v_pk_fma_f32 v[134:135], v[134:135], v[56:57], v[144:145] op_sel_hi:[1,0,1]
	ds_load_2addr_b64 v[144:147], v138 offset0:46 offset1:47
	v_dual_mov_b32 v56, v136 :: v_dual_mov_b32 v57, v135
	s_wait_dscnt 0x0
	v_pk_mul_f32 v[148:149], v[144:145], v[134:135] op_sel:[0,1]
	s_delay_alu instid0(VALU_DEP_1) | instskip(SKIP_1) | instid1(VALU_DEP_1)
	v_pk_fma_f32 v[150:151], v[144:145], v[136:137], v[148:149] op_sel:[0,0,1] op_sel_hi:[1,1,0] neg_lo:[0,0,1] neg_hi:[0,0,1]
	v_pk_fma_f32 v[144:145], v[144:145], v[136:137], v[148:149] op_sel:[0,0,1] op_sel_hi:[1,0,0]
	v_mov_b32_e32 v151, v145
	v_pk_mul_f32 v[144:145], v[146:147], v[134:135] op_sel:[0,1]
	s_delay_alu instid0(VALU_DEP_1) | instskip(SKIP_1) | instid1(VALU_DEP_1)
	v_pk_fma_f32 v[148:149], v[146:147], v[136:137], v[144:145] op_sel:[0,0,1] op_sel_hi:[1,1,0] neg_lo:[0,0,1] neg_hi:[0,0,1]
	v_pk_fma_f32 v[144:145], v[146:147], v[136:137], v[144:145] op_sel:[0,0,1] op_sel_hi:[1,0,0]
	v_mov_b32_e32 v149, v145
	ds_load_2addr_b64 v[144:147], v138 offset0:48 offset1:49
	v_pk_add_f32 v[58:59], v[58:59], v[150:151] neg_lo:[0,1] neg_hi:[0,1]
	v_pk_add_f32 v[12:13], v[12:13], v[148:149] neg_lo:[0,1] neg_hi:[0,1]
	s_wait_dscnt 0x0
	v_pk_mul_f32 v[148:149], v[144:145], v[134:135] op_sel:[0,1]
	s_delay_alu instid0(VALU_DEP_1) | instskip(SKIP_2) | instid1(VALU_DEP_2)
	v_pk_fma_f32 v[150:151], v[144:145], v[136:137], v[148:149] op_sel:[0,0,1] op_sel_hi:[1,1,0] neg_lo:[0,0,1] neg_hi:[0,0,1]
	v_pk_fma_f32 v[144:145], v[144:145], v[136:137], v[148:149] op_sel:[0,0,1] op_sel_hi:[1,0,0]
	v_dual_mul_f32 v148, v147, v135 :: v_dual_mov_b32 v144, v147
	v_dual_mov_b32 v151, v145 :: v_dual_mov_b32 v145, v146
	s_delay_alu instid0(VALU_DEP_2) | instskip(SKIP_1) | instid1(VALU_DEP_3)
	v_pk_fma_f32 v[148:149], v[146:147], v[56:57], v[148:149] op_sel_hi:[1,1,0] neg_lo:[0,0,1] neg_hi:[0,0,1]
	v_mul_f32_e32 v146, v147, v136
	v_pk_add_f32 v[54:55], v[54:55], v[150:151] neg_lo:[0,1] neg_hi:[0,1]
	s_delay_alu instid0(VALU_DEP_2) | instskip(NEXT) | instid1(VALU_DEP_1)
	v_pk_fma_f32 v[144:145], v[144:145], v[56:57], v[146:147] op_sel_hi:[1,1,0]
	v_mov_b32_e32 v149, v145
	ds_load_2addr_b64 v[144:147], v138 offset0:50 offset1:51
	v_pk_add_f32 v[52:53], v[52:53], v[148:149] neg_lo:[0,1] neg_hi:[0,1]
	s_wait_dscnt 0x0
	v_pk_mul_f32 v[148:149], v[144:145], v[134:135] op_sel:[0,1]
	s_delay_alu instid0(VALU_DEP_1) | instskip(SKIP_1) | instid1(VALU_DEP_1)
	v_pk_fma_f32 v[150:151], v[144:145], v[136:137], v[148:149] op_sel:[0,0,1] op_sel_hi:[1,1,0] neg_lo:[0,0,1] neg_hi:[0,0,1]
	v_pk_fma_f32 v[144:145], v[144:145], v[136:137], v[148:149] op_sel:[0,0,1] op_sel_hi:[1,0,0]
	v_mov_b32_e32 v151, v145
	v_pk_mul_f32 v[144:145], v[146:147], v[134:135] op_sel:[0,1]
	s_delay_alu instid0(VALU_DEP_1) | instskip(SKIP_1) | instid1(VALU_DEP_1)
	v_pk_fma_f32 v[148:149], v[146:147], v[136:137], v[144:145] op_sel:[0,0,1] op_sel_hi:[1,1,0] neg_lo:[0,0,1] neg_hi:[0,0,1]
	v_pk_fma_f32 v[144:145], v[146:147], v[136:137], v[144:145] op_sel:[0,0,1] op_sel_hi:[1,0,0]
	v_mov_b32_e32 v149, v145
	ds_load_2addr_b64 v[144:147], v138 offset0:52 offset1:53
	v_pk_add_f32 v[62:63], v[62:63], v[150:151] neg_lo:[0,1] neg_hi:[0,1]
	v_pk_add_f32 v[16:17], v[16:17], v[148:149] neg_lo:[0,1] neg_hi:[0,1]
	s_wait_dscnt 0x0
	v_pk_mul_f32 v[148:149], v[144:145], v[134:135] op_sel:[0,1]
	s_delay_alu instid0(VALU_DEP_1) | instskip(SKIP_1) | instid1(VALU_DEP_1)
	v_pk_fma_f32 v[150:151], v[144:145], v[136:137], v[148:149] op_sel:[0,0,1] op_sel_hi:[1,1,0] neg_lo:[0,0,1] neg_hi:[0,0,1]
	v_pk_fma_f32 v[144:145], v[144:145], v[136:137], v[148:149] op_sel:[0,0,1] op_sel_hi:[1,0,0]
	v_mov_b32_e32 v151, v145
	v_pk_mul_f32 v[144:145], v[146:147], v[134:135] op_sel:[0,1]
	s_delay_alu instid0(VALU_DEP_1) | instskip(SKIP_1) | instid1(VALU_DEP_1)
	v_pk_fma_f32 v[148:149], v[146:147], v[136:137], v[144:145] op_sel:[0,0,1] op_sel_hi:[1,1,0] neg_lo:[0,0,1] neg_hi:[0,0,1]
	v_pk_fma_f32 v[144:145], v[146:147], v[136:137], v[144:145] op_sel:[0,0,1] op_sel_hi:[1,0,0]
	v_mov_b32_e32 v149, v145
	ds_load_2addr_b64 v[144:147], v138 offset0:54 offset1:55
	v_pk_add_f32 v[48:49], v[48:49], v[150:151] neg_lo:[0,1] neg_hi:[0,1]
	v_pk_add_f32 v[42:43], v[42:43], v[148:149] neg_lo:[0,1] neg_hi:[0,1]
	s_wait_dscnt 0x0
	v_dual_mul_f32 v148, v145, v135 :: v_dual_mul_f32 v150, v145, v136
	s_delay_alu instid0(VALU_DEP_1) | instskip(NEXT) | instid1(VALU_DEP_2)
	v_pk_fma_f32 v[148:149], v[144:145], v[56:57], v[148:149] op_sel_hi:[1,1,0] neg_lo:[0,0,1] neg_hi:[0,0,1]
	v_pk_fma_f32 v[144:145], v[144:145], v[56:57], v[150:151] op_sel:[1,0,0] op_sel_hi:[0,1,0]
	s_delay_alu instid0(VALU_DEP_1) | instskip(SKIP_1) | instid1(VALU_DEP_2)
	v_mov_b32_e32 v149, v145
	v_pk_mul_f32 v[144:145], v[146:147], v[134:135] op_sel:[0,1]
	v_pk_add_f32 v[46:47], v[46:47], v[148:149] neg_lo:[0,1] neg_hi:[0,1]
	s_delay_alu instid0(VALU_DEP_2) | instskip(SKIP_1) | instid1(VALU_DEP_1)
	v_pk_fma_f32 v[148:149], v[146:147], v[136:137], v[144:145] op_sel:[0,0,1] op_sel_hi:[1,1,0] neg_lo:[0,0,1] neg_hi:[0,0,1]
	v_pk_fma_f32 v[144:145], v[146:147], v[136:137], v[144:145] op_sel:[0,0,1] op_sel_hi:[1,0,0]
	v_mov_b32_e32 v149, v145
	ds_load_2addr_b64 v[144:147], v138 offset0:56 offset1:57
	v_pk_add_f32 v[8:9], v[8:9], v[148:149] neg_lo:[0,1] neg_hi:[0,1]
	s_wait_dscnt 0x0
	v_pk_mul_f32 v[148:149], v[144:145], v[134:135] op_sel:[0,1]
	s_delay_alu instid0(VALU_DEP_1) | instskip(SKIP_1) | instid1(VALU_DEP_1)
	v_pk_fma_f32 v[150:151], v[144:145], v[136:137], v[148:149] op_sel:[0,0,1] op_sel_hi:[1,1,0] neg_lo:[0,0,1] neg_hi:[0,0,1]
	v_pk_fma_f32 v[144:145], v[144:145], v[136:137], v[148:149] op_sel:[0,0,1] op_sel_hi:[1,0,0]
	v_mov_b32_e32 v151, v145
	v_pk_mul_f32 v[144:145], v[146:147], v[134:135] op_sel:[0,1]
	s_delay_alu instid0(VALU_DEP_2) | instskip(NEXT) | instid1(VALU_DEP_2)
	v_pk_add_f32 v[32:33], v[32:33], v[150:151] neg_lo:[0,1] neg_hi:[0,1]
	v_pk_fma_f32 v[148:149], v[146:147], v[136:137], v[144:145] op_sel:[0,0,1] op_sel_hi:[1,1,0] neg_lo:[0,0,1] neg_hi:[0,0,1]
	v_pk_fma_f32 v[144:145], v[146:147], v[136:137], v[144:145] op_sel:[0,0,1] op_sel_hi:[1,0,0]
	s_delay_alu instid0(VALU_DEP_1) | instskip(SKIP_4) | instid1(VALU_DEP_1)
	v_mov_b32_e32 v149, v145
	ds_load_2addr_b64 v[144:147], v138 offset0:58 offset1:59
	v_pk_add_f32 v[28:29], v[28:29], v[148:149] neg_lo:[0,1] neg_hi:[0,1]
	s_wait_dscnt 0x0
	v_pk_mul_f32 v[148:149], v[144:145], v[134:135] op_sel:[0,1]
	v_pk_fma_f32 v[150:151], v[144:145], v[136:137], v[148:149] op_sel:[0,0,1] op_sel_hi:[1,1,0] neg_lo:[0,0,1] neg_hi:[0,0,1]
	v_pk_fma_f32 v[144:145], v[144:145], v[136:137], v[148:149] op_sel:[0,0,1] op_sel_hi:[1,0,0]
	v_dual_mul_f32 v148, v147, v135 :: v_dual_mov_b32 v144, v147
	s_delay_alu instid0(VALU_DEP_2) | instskip(NEXT) | instid1(VALU_DEP_2)
	v_dual_mov_b32 v151, v145 :: v_dual_mov_b32 v145, v146
	v_pk_fma_f32 v[148:149], v[146:147], v[56:57], v[148:149] op_sel_hi:[1,1,0] neg_lo:[0,0,1] neg_hi:[0,0,1]
	v_mul_f32_e32 v146, v147, v136
	s_delay_alu instid0(VALU_DEP_3) | instskip(NEXT) | instid1(VALU_DEP_2)
	v_pk_add_f32 v[30:31], v[30:31], v[150:151] neg_lo:[0,1] neg_hi:[0,1]
	v_pk_fma_f32 v[144:145], v[144:145], v[56:57], v[146:147] op_sel_hi:[1,1,0]
	s_delay_alu instid0(VALU_DEP_1) | instskip(SKIP_4) | instid1(VALU_DEP_1)
	v_mov_b32_e32 v149, v145
	ds_load_2addr_b64 v[144:147], v138 offset0:60 offset1:61
	v_pk_add_f32 v[6:7], v[6:7], v[148:149] neg_lo:[0,1] neg_hi:[0,1]
	s_wait_dscnt 0x0
	v_pk_mul_f32 v[148:149], v[144:145], v[134:135] op_sel:[0,1]
	v_pk_fma_f32 v[150:151], v[144:145], v[136:137], v[148:149] op_sel:[0,0,1] op_sel_hi:[1,1,0] neg_lo:[0,0,1] neg_hi:[0,0,1]
	v_pk_fma_f32 v[144:145], v[144:145], v[136:137], v[148:149] op_sel:[0,0,1] op_sel_hi:[1,0,0]
	s_delay_alu instid0(VALU_DEP_1) | instskip(SKIP_1) | instid1(VALU_DEP_1)
	v_mov_b32_e32 v151, v145
	v_pk_mul_f32 v[144:145], v[146:147], v[134:135] op_sel:[0,1]
	v_pk_fma_f32 v[148:149], v[146:147], v[136:137], v[144:145] op_sel:[0,0,1] op_sel_hi:[1,1,0] neg_lo:[0,0,1] neg_hi:[0,0,1]
	v_pk_fma_f32 v[144:145], v[146:147], v[136:137], v[144:145] op_sel:[0,0,1] op_sel_hi:[1,0,0]
	s_delay_alu instid0(VALU_DEP_1)
	v_mov_b32_e32 v149, v145
	ds_load_2addr_b64 v[144:147], v138 offset0:62 offset1:63
	v_pk_add_f32 v[20:21], v[20:21], v[150:151] neg_lo:[0,1] neg_hi:[0,1]
	v_pk_add_f32 v[14:15], v[14:15], v[148:149] neg_lo:[0,1] neg_hi:[0,1]
	s_wait_dscnt 0x0
	v_pk_mul_f32 v[148:149], v[144:145], v[134:135] op_sel:[0,1]
	v_mul_f32_e32 v134, v147, v135
	s_delay_alu instid0(VALU_DEP_2) | instskip(SKIP_2) | instid1(VALU_DEP_4)
	v_pk_fma_f32 v[150:151], v[144:145], v[136:137], v[148:149] op_sel:[0,0,1] op_sel_hi:[1,1,0] neg_lo:[0,0,1] neg_hi:[0,0,1]
	v_pk_fma_f32 v[144:145], v[144:145], v[136:137], v[148:149] op_sel:[0,0,1] op_sel_hi:[1,0,0]
	v_dual_mov_b32 v144, v147 :: v_dual_mul_f32 v136, v147, v136
	v_pk_fma_f32 v[134:135], v[146:147], v[56:57], v[134:135] op_sel_hi:[1,1,0] neg_lo:[0,0,1] neg_hi:[0,0,1]
	s_delay_alu instid0(VALU_DEP_3) | instskip(NEXT) | instid1(VALU_DEP_1)
	v_dual_mov_b32 v151, v145 :: v_dual_mov_b32 v145, v146
	v_pk_add_f32 v[10:11], v[10:11], v[150:151] neg_lo:[0,1] neg_hi:[0,1]
	s_delay_alu instid0(VALU_DEP_2) | instskip(NEXT) | instid1(VALU_DEP_1)
	v_pk_fma_f32 v[136:137], v[144:145], v[56:57], v[136:137] op_sel_hi:[1,1,0]
	v_mov_b32_e32 v135, v137
	s_delay_alu instid0(VALU_DEP_1)
	v_pk_add_f32 v[132:133], v[132:133], v[134:135] neg_lo:[0,1] neg_hi:[0,1]
.LBB126_965:
	s_or_b32 exec_lo, exec_lo, s0
	v_lshl_add_u32 v134, v142, 3, v138
	s_barrier_signal -1
	s_barrier_wait -1
	ds_store_b64 v134, v[58:59]
	s_wait_dscnt 0x0
	s_barrier_signal -1
	s_barrier_wait -1
	ds_load_b64 v[134:135], v138 offset:368
	v_mov_b32_e32 v136, 46
	s_cmp_lt_i32 s18, 48
	s_cbranch_scc1 .LBB126_968
; %bb.966:
	v_add3_u32 v137, v139, 0, 0x178
	v_mov_b32_e32 v136, 46
	s_mov_b32 s0, 47
.LBB126_967:                            ; =>This Inner Loop Header: Depth=1
	ds_load_b64 v[144:145], v137
	s_wait_dscnt 0x1
	v_cmp_gt_f32_e32 vcc_lo, 0, v134
	v_cndmask_b32_e64 v146, v134, -v134, vcc_lo
	v_cmp_gt_f32_e32 vcc_lo, 0, v135
	v_cndmask_b32_e64 v148, v135, -v135, vcc_lo
	s_wait_dscnt 0x0
	v_cmp_gt_f32_e32 vcc_lo, 0, v144
	v_cndmask_b32_e64 v147, v144, -v144, vcc_lo
	v_cmp_gt_f32_e32 vcc_lo, 0, v145
	v_cndmask_b32_e64 v149, v145, -v145, vcc_lo
	s_delay_alu instid0(VALU_DEP_1) | instskip(NEXT) | instid1(VALU_DEP_1)
	v_pk_add_f32 v[146:147], v[146:147], v[148:149]
	v_cmp_lt_f32_e32 vcc_lo, v146, v147
	v_dual_cndmask_b32 v134, v134, v144 :: v_dual_add_nc_u32 v137, 8, v137
	v_cndmask_b32_e32 v135, v135, v145, vcc_lo
	v_cndmask_b32_e64 v136, v136, s0, vcc_lo
	s_add_co_i32 s0, s0, 1
	s_delay_alu instid0(SALU_CYCLE_1)
	s_cmp_lg_u32 s18, s0
	s_cbranch_scc1 .LBB126_967
.LBB126_968:
	s_wait_dscnt 0x0
	v_cmp_eq_f32_e32 vcc_lo, 0, v134
	v_cmp_eq_f32_e64 s0, 0, v135
	s_and_b32 s0, vcc_lo, s0
	s_delay_alu instid0(SALU_CYCLE_1) | instskip(NEXT) | instid1(SALU_CYCLE_1)
	s_and_saveexec_b32 s1, s0
	s_xor_b32 s0, exec_lo, s1
; %bb.969:
	v_cmp_ne_u32_e32 vcc_lo, 0, v140
	v_cndmask_b32_e32 v140, 47, v140, vcc_lo
; %bb.970:
	s_and_not1_saveexec_b32 s0, s0
	s_cbranch_execz .LBB126_976
; %bb.971:
	v_cmp_ngt_f32_e64 s1, |v134|, |v135|
	s_and_saveexec_b32 s12, s1
	s_delay_alu instid0(SALU_CYCLE_1)
	s_xor_b32 s1, exec_lo, s12
	s_cbranch_execz .LBB126_973
; %bb.972:
	v_div_scale_f32 v137, null, v135, v135, v134
	v_div_scale_f32 v145, vcc_lo, v134, v135, v134
	s_delay_alu instid0(VALU_DEP_2) | instskip(SKIP_1) | instid1(TRANS32_DEP_1)
	v_rcp_f32_e32 v143, v137
	v_nop
	v_fma_f32 v144, -v137, v143, 1.0
	s_delay_alu instid0(VALU_DEP_1) | instskip(NEXT) | instid1(VALU_DEP_1)
	v_fmac_f32_e32 v143, v144, v143
	v_mul_f32_e32 v144, v145, v143
	s_delay_alu instid0(VALU_DEP_1) | instskip(NEXT) | instid1(VALU_DEP_1)
	v_fma_f32 v146, -v137, v144, v145
	v_fmac_f32_e32 v144, v146, v143
	s_delay_alu instid0(VALU_DEP_1) | instskip(NEXT) | instid1(VALU_DEP_1)
	v_fma_f32 v137, -v137, v144, v145
	v_div_fmas_f32 v137, v137, v143, v144
	s_delay_alu instid0(VALU_DEP_1) | instskip(NEXT) | instid1(VALU_DEP_1)
	v_div_fixup_f32 v137, v137, v135, v134
	v_fmac_f32_e32 v135, v134, v137
	s_delay_alu instid0(VALU_DEP_1) | instskip(SKIP_1) | instid1(VALU_DEP_2)
	v_div_scale_f32 v134, null, v135, v135, 1.0
	v_div_scale_f32 v145, vcc_lo, 1.0, v135, 1.0
	v_rcp_f32_e32 v143, v134
	v_nop
	s_delay_alu instid0(TRANS32_DEP_1) | instskip(NEXT) | instid1(VALU_DEP_1)
	v_fma_f32 v144, -v134, v143, 1.0
	v_fmac_f32_e32 v143, v144, v143
	s_delay_alu instid0(VALU_DEP_1) | instskip(NEXT) | instid1(VALU_DEP_1)
	v_mul_f32_e32 v144, v145, v143
	v_fma_f32 v146, -v134, v144, v145
	s_delay_alu instid0(VALU_DEP_1) | instskip(NEXT) | instid1(VALU_DEP_1)
	v_fmac_f32_e32 v144, v146, v143
	v_fma_f32 v134, -v134, v144, v145
	s_delay_alu instid0(VALU_DEP_1) | instskip(NEXT) | instid1(VALU_DEP_1)
	v_div_fmas_f32 v134, v134, v143, v144
	v_div_fixup_f32 v135, v134, v135, 1.0
	s_delay_alu instid0(VALU_DEP_1)
	v_mul_f32_e32 v134, v137, v135
	v_xor_b32_e32 v135, 0x80000000, v135
.LBB126_973:
	s_and_not1_saveexec_b32 s1, s1
	s_cbranch_execz .LBB126_975
; %bb.974:
	s_delay_alu instid0(VALU_DEP_1) | instskip(SKIP_1) | instid1(VALU_DEP_2)
	v_div_scale_f32 v137, null, v134, v134, v135
	v_div_scale_f32 v145, vcc_lo, v135, v134, v135
	v_rcp_f32_e32 v143, v137
	v_nop
	s_delay_alu instid0(TRANS32_DEP_1) | instskip(NEXT) | instid1(VALU_DEP_1)
	v_fma_f32 v144, -v137, v143, 1.0
	v_fmac_f32_e32 v143, v144, v143
	s_delay_alu instid0(VALU_DEP_1) | instskip(NEXT) | instid1(VALU_DEP_1)
	v_mul_f32_e32 v144, v145, v143
	v_fma_f32 v146, -v137, v144, v145
	s_delay_alu instid0(VALU_DEP_1) | instskip(NEXT) | instid1(VALU_DEP_1)
	v_fmac_f32_e32 v144, v146, v143
	v_fma_f32 v137, -v137, v144, v145
	s_delay_alu instid0(VALU_DEP_1) | instskip(NEXT) | instid1(VALU_DEP_1)
	v_div_fmas_f32 v137, v137, v143, v144
	v_div_fixup_f32 v137, v137, v134, v135
	s_delay_alu instid0(VALU_DEP_1) | instskip(NEXT) | instid1(VALU_DEP_1)
	v_fmac_f32_e32 v134, v135, v137
	v_div_scale_f32 v135, null, v134, v134, 1.0
	s_delay_alu instid0(VALU_DEP_1) | instskip(SKIP_1) | instid1(TRANS32_DEP_1)
	v_rcp_f32_e32 v143, v135
	v_nop
	v_fma_f32 v144, -v135, v143, 1.0
	s_delay_alu instid0(VALU_DEP_1) | instskip(SKIP_1) | instid1(VALU_DEP_1)
	v_fmac_f32_e32 v143, v144, v143
	v_div_scale_f32 v144, vcc_lo, 1.0, v134, 1.0
	v_mul_f32_e32 v145, v144, v143
	s_delay_alu instid0(VALU_DEP_1) | instskip(NEXT) | instid1(VALU_DEP_1)
	v_fma_f32 v146, -v135, v145, v144
	v_fmac_f32_e32 v145, v146, v143
	s_delay_alu instid0(VALU_DEP_1) | instskip(NEXT) | instid1(VALU_DEP_1)
	v_fma_f32 v135, -v135, v145, v144
	v_div_fmas_f32 v135, v135, v143, v145
	s_delay_alu instid0(VALU_DEP_1) | instskip(NEXT) | instid1(VALU_DEP_1)
	v_div_fixup_f32 v134, v135, v134, 1.0
	v_mul_f32_e64 v135, v137, -v134
.LBB126_975:
	s_or_b32 exec_lo, exec_lo, s1
.LBB126_976:
	s_delay_alu instid0(SALU_CYCLE_1) | instskip(NEXT) | instid1(SALU_CYCLE_1)
	s_or_b32 exec_lo, exec_lo, s0
	s_mov_b32 s0, exec_lo
	v_cmpx_ne_u32_e64 v142, v136
	s_xor_b32 s0, exec_lo, s0
	s_cbranch_execz .LBB126_982
; %bb.977:
	s_mov_b32 s1, exec_lo
	v_cmpx_eq_u32_e32 46, v142
	s_cbranch_execz .LBB126_981
; %bb.978:
	v_cmp_ne_u32_e32 vcc_lo, 46, v136
	s_xor_b32 s12, s16, -1
	s_delay_alu instid0(SALU_CYCLE_1) | instskip(NEXT) | instid1(SALU_CYCLE_1)
	s_and_b32 s13, s12, vcc_lo
	s_and_saveexec_b32 s12, s13
	s_cbranch_execz .LBB126_980
; %bb.979:
	v_ashrrev_i32_e32 v137, 31, v136
	s_delay_alu instid0(VALU_DEP_1)
	v_lshl_add_u64 v[142:143], v[136:137], 2, v[4:5]
	s_clause 0x1
	global_load_b32 v137, v[142:143], off
	global_load_b32 v141, v[4:5], off offset:184
	s_wait_loadcnt 0x1
	global_store_b32 v[4:5], v137, off offset:184
	s_wait_loadcnt 0x0
	global_store_b32 v[142:143], v141, off
.LBB126_980:
	s_wait_xcnt 0x0
	s_or_b32 exec_lo, exec_lo, s12
	v_dual_mov_b32 v142, v136 :: v_dual_mov_b32 v141, v136
.LBB126_981:
	s_or_b32 exec_lo, exec_lo, s1
.LBB126_982:
	s_and_not1_saveexec_b32 s0, s0
	s_cbranch_execz .LBB126_984
; %bb.983:
	v_mov_b32_e32 v142, 46
	ds_store_2addr_b64 v138, v[12:13], v[54:55] offset0:47 offset1:48
	ds_store_2addr_b64 v138, v[52:53], v[62:63] offset0:49 offset1:50
	ds_store_2addr_b64 v138, v[16:17], v[48:49] offset0:51 offset1:52
	ds_store_2addr_b64 v138, v[42:43], v[46:47] offset0:53 offset1:54
	ds_store_2addr_b64 v138, v[8:9], v[32:33] offset0:55 offset1:56
	ds_store_2addr_b64 v138, v[28:29], v[30:31] offset0:57 offset1:58
	ds_store_2addr_b64 v138, v[6:7], v[20:21] offset0:59 offset1:60
	ds_store_2addr_b64 v138, v[14:15], v[10:11] offset0:61 offset1:62
	ds_store_b64 v138, v[132:133] offset:504
.LBB126_984:
	s_or_b32 exec_lo, exec_lo, s0
	s_delay_alu instid0(SALU_CYCLE_1)
	s_mov_b32 s0, exec_lo
	s_wait_storecnt_dscnt 0x0
	s_barrier_signal -1
	s_barrier_wait -1
	v_cmpx_lt_i32_e32 46, v142
	s_cbranch_execz .LBB126_986
; %bb.985:
	v_pk_mul_f32 v[144:145], v[134:135], v[58:59] op_sel:[1,1] op_sel_hi:[0,1]
	s_delay_alu instid0(VALU_DEP_1)
	v_pk_fma_f32 v[136:137], v[134:135], v[58:59], v[144:145] op_sel_hi:[1,0,1] neg_lo:[0,0,1] neg_hi:[0,0,1]
	v_pk_fma_f32 v[134:135], v[134:135], v[58:59], v[144:145] op_sel_hi:[1,0,1]
	ds_load_2addr_b64 v[144:147], v138 offset0:47 offset1:48
	v_dual_mov_b32 v58, v136 :: v_dual_mov_b32 v59, v135
	s_wait_dscnt 0x0
	v_pk_mul_f32 v[148:149], v[144:145], v[134:135] op_sel:[0,1]
	s_delay_alu instid0(VALU_DEP_1) | instskip(SKIP_1) | instid1(VALU_DEP_1)
	v_pk_fma_f32 v[150:151], v[144:145], v[136:137], v[148:149] op_sel:[0,0,1] op_sel_hi:[1,1,0] neg_lo:[0,0,1] neg_hi:[0,0,1]
	v_pk_fma_f32 v[144:145], v[144:145], v[136:137], v[148:149] op_sel:[0,0,1] op_sel_hi:[1,0,0]
	v_mov_b32_e32 v151, v145
	v_pk_mul_f32 v[144:145], v[146:147], v[134:135] op_sel:[0,1]
	s_delay_alu instid0(VALU_DEP_1) | instskip(SKIP_1) | instid1(VALU_DEP_1)
	v_pk_fma_f32 v[148:149], v[146:147], v[136:137], v[144:145] op_sel:[0,0,1] op_sel_hi:[1,1,0] neg_lo:[0,0,1] neg_hi:[0,0,1]
	v_pk_fma_f32 v[144:145], v[146:147], v[136:137], v[144:145] op_sel:[0,0,1] op_sel_hi:[1,0,0]
	v_mov_b32_e32 v149, v145
	ds_load_2addr_b64 v[144:147], v138 offset0:49 offset1:50
	v_pk_add_f32 v[12:13], v[12:13], v[150:151] neg_lo:[0,1] neg_hi:[0,1]
	v_pk_add_f32 v[54:55], v[54:55], v[148:149] neg_lo:[0,1] neg_hi:[0,1]
	s_wait_dscnt 0x0
	v_pk_mul_f32 v[148:149], v[144:145], v[134:135] op_sel:[0,1]
	s_delay_alu instid0(VALU_DEP_1) | instskip(SKIP_2) | instid1(VALU_DEP_2)
	v_pk_fma_f32 v[150:151], v[144:145], v[136:137], v[148:149] op_sel:[0,0,1] op_sel_hi:[1,1,0] neg_lo:[0,0,1] neg_hi:[0,0,1]
	v_pk_fma_f32 v[144:145], v[144:145], v[136:137], v[148:149] op_sel:[0,0,1] op_sel_hi:[1,0,0]
	v_dual_mul_f32 v148, v147, v135 :: v_dual_mov_b32 v144, v147
	v_dual_mov_b32 v151, v145 :: v_dual_mov_b32 v145, v146
	s_delay_alu instid0(VALU_DEP_2) | instskip(SKIP_1) | instid1(VALU_DEP_3)
	v_pk_fma_f32 v[148:149], v[146:147], v[58:59], v[148:149] op_sel_hi:[1,1,0] neg_lo:[0,0,1] neg_hi:[0,0,1]
	v_mul_f32_e32 v146, v147, v136
	v_pk_add_f32 v[52:53], v[52:53], v[150:151] neg_lo:[0,1] neg_hi:[0,1]
	s_delay_alu instid0(VALU_DEP_2) | instskip(NEXT) | instid1(VALU_DEP_1)
	v_pk_fma_f32 v[144:145], v[144:145], v[58:59], v[146:147] op_sel_hi:[1,1,0]
	v_mov_b32_e32 v149, v145
	ds_load_2addr_b64 v[144:147], v138 offset0:51 offset1:52
	v_pk_add_f32 v[62:63], v[62:63], v[148:149] neg_lo:[0,1] neg_hi:[0,1]
	s_wait_dscnt 0x0
	v_pk_mul_f32 v[148:149], v[144:145], v[134:135] op_sel:[0,1]
	s_delay_alu instid0(VALU_DEP_1) | instskip(SKIP_1) | instid1(VALU_DEP_1)
	v_pk_fma_f32 v[150:151], v[144:145], v[136:137], v[148:149] op_sel:[0,0,1] op_sel_hi:[1,1,0] neg_lo:[0,0,1] neg_hi:[0,0,1]
	v_pk_fma_f32 v[144:145], v[144:145], v[136:137], v[148:149] op_sel:[0,0,1] op_sel_hi:[1,0,0]
	v_mov_b32_e32 v151, v145
	v_pk_mul_f32 v[144:145], v[146:147], v[134:135] op_sel:[0,1]
	s_delay_alu instid0(VALU_DEP_1) | instskip(SKIP_1) | instid1(VALU_DEP_1)
	v_pk_fma_f32 v[148:149], v[146:147], v[136:137], v[144:145] op_sel:[0,0,1] op_sel_hi:[1,1,0] neg_lo:[0,0,1] neg_hi:[0,0,1]
	v_pk_fma_f32 v[144:145], v[146:147], v[136:137], v[144:145] op_sel:[0,0,1] op_sel_hi:[1,0,0]
	v_mov_b32_e32 v149, v145
	ds_load_2addr_b64 v[144:147], v138 offset0:53 offset1:54
	v_pk_add_f32 v[16:17], v[16:17], v[150:151] neg_lo:[0,1] neg_hi:[0,1]
	v_pk_add_f32 v[48:49], v[48:49], v[148:149] neg_lo:[0,1] neg_hi:[0,1]
	s_wait_dscnt 0x0
	v_pk_mul_f32 v[148:149], v[144:145], v[134:135] op_sel:[0,1]
	s_delay_alu instid0(VALU_DEP_1) | instskip(SKIP_1) | instid1(VALU_DEP_1)
	v_pk_fma_f32 v[150:151], v[144:145], v[136:137], v[148:149] op_sel:[0,0,1] op_sel_hi:[1,1,0] neg_lo:[0,0,1] neg_hi:[0,0,1]
	v_pk_fma_f32 v[144:145], v[144:145], v[136:137], v[148:149] op_sel:[0,0,1] op_sel_hi:[1,0,0]
	v_mov_b32_e32 v151, v145
	v_pk_mul_f32 v[144:145], v[146:147], v[134:135] op_sel:[0,1]
	s_delay_alu instid0(VALU_DEP_1) | instskip(SKIP_1) | instid1(VALU_DEP_1)
	v_pk_fma_f32 v[148:149], v[146:147], v[136:137], v[144:145] op_sel:[0,0,1] op_sel_hi:[1,1,0] neg_lo:[0,0,1] neg_hi:[0,0,1]
	v_pk_fma_f32 v[144:145], v[146:147], v[136:137], v[144:145] op_sel:[0,0,1] op_sel_hi:[1,0,0]
	v_mov_b32_e32 v149, v145
	ds_load_2addr_b64 v[144:147], v138 offset0:55 offset1:56
	v_pk_add_f32 v[42:43], v[42:43], v[150:151] neg_lo:[0,1] neg_hi:[0,1]
	v_pk_add_f32 v[46:47], v[46:47], v[148:149] neg_lo:[0,1] neg_hi:[0,1]
	s_wait_dscnt 0x0
	v_dual_mul_f32 v148, v145, v135 :: v_dual_mul_f32 v150, v145, v136
	s_delay_alu instid0(VALU_DEP_1) | instskip(NEXT) | instid1(VALU_DEP_2)
	v_pk_fma_f32 v[148:149], v[144:145], v[58:59], v[148:149] op_sel_hi:[1,1,0] neg_lo:[0,0,1] neg_hi:[0,0,1]
	v_pk_fma_f32 v[144:145], v[144:145], v[58:59], v[150:151] op_sel:[1,0,0] op_sel_hi:[0,1,0]
	s_delay_alu instid0(VALU_DEP_1) | instskip(SKIP_1) | instid1(VALU_DEP_2)
	v_mov_b32_e32 v149, v145
	v_pk_mul_f32 v[144:145], v[146:147], v[134:135] op_sel:[0,1]
	v_pk_add_f32 v[8:9], v[8:9], v[148:149] neg_lo:[0,1] neg_hi:[0,1]
	s_delay_alu instid0(VALU_DEP_2) | instskip(SKIP_1) | instid1(VALU_DEP_1)
	v_pk_fma_f32 v[148:149], v[146:147], v[136:137], v[144:145] op_sel:[0,0,1] op_sel_hi:[1,1,0] neg_lo:[0,0,1] neg_hi:[0,0,1]
	v_pk_fma_f32 v[144:145], v[146:147], v[136:137], v[144:145] op_sel:[0,0,1] op_sel_hi:[1,0,0]
	v_mov_b32_e32 v149, v145
	ds_load_2addr_b64 v[144:147], v138 offset0:57 offset1:58
	v_pk_add_f32 v[32:33], v[32:33], v[148:149] neg_lo:[0,1] neg_hi:[0,1]
	s_wait_dscnt 0x0
	v_pk_mul_f32 v[148:149], v[144:145], v[134:135] op_sel:[0,1]
	s_delay_alu instid0(VALU_DEP_1) | instskip(SKIP_1) | instid1(VALU_DEP_1)
	v_pk_fma_f32 v[150:151], v[144:145], v[136:137], v[148:149] op_sel:[0,0,1] op_sel_hi:[1,1,0] neg_lo:[0,0,1] neg_hi:[0,0,1]
	v_pk_fma_f32 v[144:145], v[144:145], v[136:137], v[148:149] op_sel:[0,0,1] op_sel_hi:[1,0,0]
	v_mov_b32_e32 v151, v145
	v_pk_mul_f32 v[144:145], v[146:147], v[134:135] op_sel:[0,1]
	s_delay_alu instid0(VALU_DEP_2) | instskip(NEXT) | instid1(VALU_DEP_2)
	v_pk_add_f32 v[28:29], v[28:29], v[150:151] neg_lo:[0,1] neg_hi:[0,1]
	v_pk_fma_f32 v[148:149], v[146:147], v[136:137], v[144:145] op_sel:[0,0,1] op_sel_hi:[1,1,0] neg_lo:[0,0,1] neg_hi:[0,0,1]
	v_pk_fma_f32 v[144:145], v[146:147], v[136:137], v[144:145] op_sel:[0,0,1] op_sel_hi:[1,0,0]
	s_delay_alu instid0(VALU_DEP_1) | instskip(SKIP_4) | instid1(VALU_DEP_1)
	v_mov_b32_e32 v149, v145
	ds_load_2addr_b64 v[144:147], v138 offset0:59 offset1:60
	v_pk_add_f32 v[30:31], v[30:31], v[148:149] neg_lo:[0,1] neg_hi:[0,1]
	s_wait_dscnt 0x0
	v_pk_mul_f32 v[148:149], v[144:145], v[134:135] op_sel:[0,1]
	v_pk_fma_f32 v[150:151], v[144:145], v[136:137], v[148:149] op_sel:[0,0,1] op_sel_hi:[1,1,0] neg_lo:[0,0,1] neg_hi:[0,0,1]
	v_pk_fma_f32 v[144:145], v[144:145], v[136:137], v[148:149] op_sel:[0,0,1] op_sel_hi:[1,0,0]
	v_dual_mul_f32 v148, v147, v135 :: v_dual_mov_b32 v144, v147
	s_delay_alu instid0(VALU_DEP_2) | instskip(NEXT) | instid1(VALU_DEP_2)
	v_dual_mov_b32 v151, v145 :: v_dual_mov_b32 v145, v146
	v_pk_fma_f32 v[148:149], v[146:147], v[58:59], v[148:149] op_sel_hi:[1,1,0] neg_lo:[0,0,1] neg_hi:[0,0,1]
	v_mul_f32_e32 v146, v147, v136
	s_delay_alu instid0(VALU_DEP_3) | instskip(NEXT) | instid1(VALU_DEP_2)
	v_pk_add_f32 v[6:7], v[6:7], v[150:151] neg_lo:[0,1] neg_hi:[0,1]
	v_pk_fma_f32 v[144:145], v[144:145], v[58:59], v[146:147] op_sel_hi:[1,1,0]
	s_delay_alu instid0(VALU_DEP_1) | instskip(SKIP_4) | instid1(VALU_DEP_1)
	v_mov_b32_e32 v149, v145
	ds_load_2addr_b64 v[144:147], v138 offset0:61 offset1:62
	v_pk_add_f32 v[20:21], v[20:21], v[148:149] neg_lo:[0,1] neg_hi:[0,1]
	s_wait_dscnt 0x0
	v_pk_mul_f32 v[148:149], v[144:145], v[134:135] op_sel:[0,1]
	v_pk_fma_f32 v[150:151], v[144:145], v[136:137], v[148:149] op_sel:[0,0,1] op_sel_hi:[1,1,0] neg_lo:[0,0,1] neg_hi:[0,0,1]
	v_pk_fma_f32 v[144:145], v[144:145], v[136:137], v[148:149] op_sel:[0,0,1] op_sel_hi:[1,0,0]
	s_delay_alu instid0(VALU_DEP_1) | instskip(SKIP_1) | instid1(VALU_DEP_1)
	v_mov_b32_e32 v151, v145
	v_pk_mul_f32 v[144:145], v[146:147], v[134:135] op_sel:[0,1]
	v_pk_fma_f32 v[148:149], v[146:147], v[136:137], v[144:145] op_sel:[0,0,1] op_sel_hi:[1,1,0] neg_lo:[0,0,1] neg_hi:[0,0,1]
	v_pk_fma_f32 v[144:145], v[146:147], v[136:137], v[144:145] op_sel:[0,0,1] op_sel_hi:[1,0,0]
	s_delay_alu instid0(VALU_DEP_1)
	v_mov_b32_e32 v149, v145
	ds_load_b64 v[144:145], v138 offset:504
	v_pk_add_f32 v[14:15], v[14:15], v[150:151] neg_lo:[0,1] neg_hi:[0,1]
	v_pk_add_f32 v[10:11], v[10:11], v[148:149] neg_lo:[0,1] neg_hi:[0,1]
	s_wait_dscnt 0x0
	v_pk_mul_f32 v[134:135], v[144:145], v[134:135] op_sel:[0,1]
	s_delay_alu instid0(VALU_DEP_1) | instskip(SKIP_1) | instid1(VALU_DEP_1)
	v_pk_fma_f32 v[146:147], v[144:145], v[136:137], v[134:135] op_sel:[0,0,1] op_sel_hi:[1,1,0] neg_lo:[0,0,1] neg_hi:[0,0,1]
	v_pk_fma_f32 v[134:135], v[144:145], v[136:137], v[134:135] op_sel:[0,0,1] op_sel_hi:[1,0,0]
	v_mov_b32_e32 v147, v135
	s_delay_alu instid0(VALU_DEP_1)
	v_pk_add_f32 v[132:133], v[132:133], v[146:147] neg_lo:[0,1] neg_hi:[0,1]
.LBB126_986:
	s_or_b32 exec_lo, exec_lo, s0
	v_lshl_add_u32 v134, v142, 3, v138
	s_barrier_signal -1
	s_barrier_wait -1
	ds_store_b64 v134, v[12:13]
	s_wait_dscnt 0x0
	s_barrier_signal -1
	s_barrier_wait -1
	ds_load_b64 v[134:135], v138 offset:376
	v_mov_b32_e32 v136, 47
	s_cmp_lt_i32 s18, 49
	s_cbranch_scc1 .LBB126_989
; %bb.987:
	v_add3_u32 v137, v139, 0, 0x180
	v_mov_b32_e32 v136, 47
	s_mov_b32 s0, 48
.LBB126_988:                            ; =>This Inner Loop Header: Depth=1
	ds_load_b64 v[144:145], v137
	s_wait_dscnt 0x1
	v_cmp_gt_f32_e32 vcc_lo, 0, v134
	v_cndmask_b32_e64 v146, v134, -v134, vcc_lo
	v_cmp_gt_f32_e32 vcc_lo, 0, v135
	v_cndmask_b32_e64 v148, v135, -v135, vcc_lo
	s_wait_dscnt 0x0
	v_cmp_gt_f32_e32 vcc_lo, 0, v144
	v_cndmask_b32_e64 v147, v144, -v144, vcc_lo
	v_cmp_gt_f32_e32 vcc_lo, 0, v145
	v_cndmask_b32_e64 v149, v145, -v145, vcc_lo
	s_delay_alu instid0(VALU_DEP_1) | instskip(NEXT) | instid1(VALU_DEP_1)
	v_pk_add_f32 v[146:147], v[146:147], v[148:149]
	v_cmp_lt_f32_e32 vcc_lo, v146, v147
	v_dual_cndmask_b32 v134, v134, v144 :: v_dual_add_nc_u32 v137, 8, v137
	v_cndmask_b32_e32 v135, v135, v145, vcc_lo
	v_cndmask_b32_e64 v136, v136, s0, vcc_lo
	s_add_co_i32 s0, s0, 1
	s_delay_alu instid0(SALU_CYCLE_1)
	s_cmp_lg_u32 s18, s0
	s_cbranch_scc1 .LBB126_988
.LBB126_989:
	s_wait_dscnt 0x0
	v_cmp_eq_f32_e32 vcc_lo, 0, v134
	v_cmp_eq_f32_e64 s0, 0, v135
	s_and_b32 s0, vcc_lo, s0
	s_delay_alu instid0(SALU_CYCLE_1) | instskip(NEXT) | instid1(SALU_CYCLE_1)
	s_and_saveexec_b32 s1, s0
	s_xor_b32 s0, exec_lo, s1
; %bb.990:
	v_cmp_ne_u32_e32 vcc_lo, 0, v140
	v_cndmask_b32_e32 v140, 48, v140, vcc_lo
; %bb.991:
	s_and_not1_saveexec_b32 s0, s0
	s_cbranch_execz .LBB126_997
; %bb.992:
	v_cmp_ngt_f32_e64 s1, |v134|, |v135|
	s_and_saveexec_b32 s12, s1
	s_delay_alu instid0(SALU_CYCLE_1)
	s_xor_b32 s1, exec_lo, s12
	s_cbranch_execz .LBB126_994
; %bb.993:
	v_div_scale_f32 v137, null, v135, v135, v134
	v_div_scale_f32 v145, vcc_lo, v134, v135, v134
	s_delay_alu instid0(VALU_DEP_2) | instskip(SKIP_1) | instid1(TRANS32_DEP_1)
	v_rcp_f32_e32 v143, v137
	v_nop
	v_fma_f32 v144, -v137, v143, 1.0
	s_delay_alu instid0(VALU_DEP_1) | instskip(NEXT) | instid1(VALU_DEP_1)
	v_fmac_f32_e32 v143, v144, v143
	v_mul_f32_e32 v144, v145, v143
	s_delay_alu instid0(VALU_DEP_1) | instskip(NEXT) | instid1(VALU_DEP_1)
	v_fma_f32 v146, -v137, v144, v145
	v_fmac_f32_e32 v144, v146, v143
	s_delay_alu instid0(VALU_DEP_1) | instskip(NEXT) | instid1(VALU_DEP_1)
	v_fma_f32 v137, -v137, v144, v145
	v_div_fmas_f32 v137, v137, v143, v144
	s_delay_alu instid0(VALU_DEP_1) | instskip(NEXT) | instid1(VALU_DEP_1)
	v_div_fixup_f32 v137, v137, v135, v134
	v_fmac_f32_e32 v135, v134, v137
	s_delay_alu instid0(VALU_DEP_1) | instskip(SKIP_1) | instid1(VALU_DEP_2)
	v_div_scale_f32 v134, null, v135, v135, 1.0
	v_div_scale_f32 v145, vcc_lo, 1.0, v135, 1.0
	v_rcp_f32_e32 v143, v134
	v_nop
	s_delay_alu instid0(TRANS32_DEP_1) | instskip(NEXT) | instid1(VALU_DEP_1)
	v_fma_f32 v144, -v134, v143, 1.0
	v_fmac_f32_e32 v143, v144, v143
	s_delay_alu instid0(VALU_DEP_1) | instskip(NEXT) | instid1(VALU_DEP_1)
	v_mul_f32_e32 v144, v145, v143
	v_fma_f32 v146, -v134, v144, v145
	s_delay_alu instid0(VALU_DEP_1) | instskip(NEXT) | instid1(VALU_DEP_1)
	v_fmac_f32_e32 v144, v146, v143
	v_fma_f32 v134, -v134, v144, v145
	s_delay_alu instid0(VALU_DEP_1) | instskip(NEXT) | instid1(VALU_DEP_1)
	v_div_fmas_f32 v134, v134, v143, v144
	v_div_fixup_f32 v135, v134, v135, 1.0
	s_delay_alu instid0(VALU_DEP_1)
	v_mul_f32_e32 v134, v137, v135
	v_xor_b32_e32 v135, 0x80000000, v135
.LBB126_994:
	s_and_not1_saveexec_b32 s1, s1
	s_cbranch_execz .LBB126_996
; %bb.995:
	s_delay_alu instid0(VALU_DEP_1) | instskip(SKIP_1) | instid1(VALU_DEP_2)
	v_div_scale_f32 v137, null, v134, v134, v135
	v_div_scale_f32 v145, vcc_lo, v135, v134, v135
	v_rcp_f32_e32 v143, v137
	v_nop
	s_delay_alu instid0(TRANS32_DEP_1) | instskip(NEXT) | instid1(VALU_DEP_1)
	v_fma_f32 v144, -v137, v143, 1.0
	v_fmac_f32_e32 v143, v144, v143
	s_delay_alu instid0(VALU_DEP_1) | instskip(NEXT) | instid1(VALU_DEP_1)
	v_mul_f32_e32 v144, v145, v143
	v_fma_f32 v146, -v137, v144, v145
	s_delay_alu instid0(VALU_DEP_1) | instskip(NEXT) | instid1(VALU_DEP_1)
	v_fmac_f32_e32 v144, v146, v143
	v_fma_f32 v137, -v137, v144, v145
	s_delay_alu instid0(VALU_DEP_1) | instskip(NEXT) | instid1(VALU_DEP_1)
	v_div_fmas_f32 v137, v137, v143, v144
	v_div_fixup_f32 v137, v137, v134, v135
	s_delay_alu instid0(VALU_DEP_1) | instskip(NEXT) | instid1(VALU_DEP_1)
	v_fmac_f32_e32 v134, v135, v137
	v_div_scale_f32 v135, null, v134, v134, 1.0
	s_delay_alu instid0(VALU_DEP_1) | instskip(SKIP_1) | instid1(TRANS32_DEP_1)
	v_rcp_f32_e32 v143, v135
	v_nop
	v_fma_f32 v144, -v135, v143, 1.0
	s_delay_alu instid0(VALU_DEP_1) | instskip(SKIP_1) | instid1(VALU_DEP_1)
	v_fmac_f32_e32 v143, v144, v143
	v_div_scale_f32 v144, vcc_lo, 1.0, v134, 1.0
	v_mul_f32_e32 v145, v144, v143
	s_delay_alu instid0(VALU_DEP_1) | instskip(NEXT) | instid1(VALU_DEP_1)
	v_fma_f32 v146, -v135, v145, v144
	v_fmac_f32_e32 v145, v146, v143
	s_delay_alu instid0(VALU_DEP_1) | instskip(NEXT) | instid1(VALU_DEP_1)
	v_fma_f32 v135, -v135, v145, v144
	v_div_fmas_f32 v135, v135, v143, v145
	s_delay_alu instid0(VALU_DEP_1) | instskip(NEXT) | instid1(VALU_DEP_1)
	v_div_fixup_f32 v134, v135, v134, 1.0
	v_mul_f32_e64 v135, v137, -v134
.LBB126_996:
	s_or_b32 exec_lo, exec_lo, s1
.LBB126_997:
	s_delay_alu instid0(SALU_CYCLE_1) | instskip(NEXT) | instid1(SALU_CYCLE_1)
	s_or_b32 exec_lo, exec_lo, s0
	s_mov_b32 s0, exec_lo
	v_cmpx_ne_u32_e64 v142, v136
	s_xor_b32 s0, exec_lo, s0
	s_cbranch_execz .LBB126_1003
; %bb.998:
	s_mov_b32 s1, exec_lo
	v_cmpx_eq_u32_e32 47, v142
	s_cbranch_execz .LBB126_1002
; %bb.999:
	v_cmp_ne_u32_e32 vcc_lo, 47, v136
	s_xor_b32 s12, s16, -1
	s_delay_alu instid0(SALU_CYCLE_1) | instskip(NEXT) | instid1(SALU_CYCLE_1)
	s_and_b32 s13, s12, vcc_lo
	s_and_saveexec_b32 s12, s13
	s_cbranch_execz .LBB126_1001
; %bb.1000:
	v_ashrrev_i32_e32 v137, 31, v136
	s_delay_alu instid0(VALU_DEP_1)
	v_lshl_add_u64 v[142:143], v[136:137], 2, v[4:5]
	s_clause 0x1
	global_load_b32 v137, v[142:143], off
	global_load_b32 v141, v[4:5], off offset:188
	s_wait_loadcnt 0x1
	global_store_b32 v[4:5], v137, off offset:188
	s_wait_loadcnt 0x0
	global_store_b32 v[142:143], v141, off
.LBB126_1001:
	s_wait_xcnt 0x0
	s_or_b32 exec_lo, exec_lo, s12
	v_dual_mov_b32 v142, v136 :: v_dual_mov_b32 v141, v136
.LBB126_1002:
	s_or_b32 exec_lo, exec_lo, s1
.LBB126_1003:
	s_and_not1_saveexec_b32 s0, s0
	s_cbranch_execz .LBB126_1005
; %bb.1004:
	v_dual_mov_b32 v136, v54 :: v_dual_mov_b32 v137, v55
	v_dual_mov_b32 v142, v52 :: v_dual_mov_b32 v143, v53
	;; [unrolled: 1-line block ×8, first 2 shown]
	ds_store_2addr_b64 v138, v[136:137], v[142:143] offset0:48 offset1:49
	ds_store_2addr_b64 v138, v[144:145], v[146:147] offset0:50 offset1:51
	;; [unrolled: 1-line block ×4, first 2 shown]
	v_dual_mov_b32 v136, v32 :: v_dual_mov_b32 v137, v33
	v_dual_mov_b32 v144, v28 :: v_dual_mov_b32 v145, v29
	;; [unrolled: 1-line block ×7, first 2 shown]
	v_mov_b32_e32 v155, v11
	ds_store_2addr_b64 v138, v[136:137], v[144:145] offset0:56 offset1:57
	ds_store_2addr_b64 v138, v[146:147], v[148:149] offset0:58 offset1:59
	;; [unrolled: 1-line block ×4, first 2 shown]
.LBB126_1005:
	s_or_b32 exec_lo, exec_lo, s0
	s_delay_alu instid0(SALU_CYCLE_1)
	s_mov_b32 s0, exec_lo
	s_wait_storecnt_dscnt 0x0
	s_barrier_signal -1
	s_barrier_wait -1
	v_cmpx_lt_i32_e32 47, v142
	s_cbranch_execz .LBB126_1007
; %bb.1006:
	v_pk_mul_f32 v[144:145], v[134:135], v[12:13] op_sel:[1,1] op_sel_hi:[0,1]
	s_delay_alu instid0(VALU_DEP_1)
	v_pk_fma_f32 v[136:137], v[134:135], v[12:13], v[144:145] op_sel_hi:[1,0,1] neg_lo:[0,0,1] neg_hi:[0,0,1]
	v_pk_fma_f32 v[134:135], v[134:135], v[12:13], v[144:145] op_sel_hi:[1,0,1]
	ds_load_2addr_b64 v[144:147], v138 offset0:48 offset1:49
	v_dual_mov_b32 v12, v136 :: v_dual_mov_b32 v13, v135
	s_wait_dscnt 0x0
	v_pk_mul_f32 v[148:149], v[144:145], v[134:135] op_sel:[0,1]
	s_delay_alu instid0(VALU_DEP_1) | instskip(SKIP_1) | instid1(VALU_DEP_1)
	v_pk_fma_f32 v[150:151], v[144:145], v[136:137], v[148:149] op_sel:[0,0,1] op_sel_hi:[1,1,0] neg_lo:[0,0,1] neg_hi:[0,0,1]
	v_pk_fma_f32 v[144:145], v[144:145], v[136:137], v[148:149] op_sel:[0,0,1] op_sel_hi:[1,0,0]
	v_mov_b32_e32 v151, v145
	v_pk_mul_f32 v[144:145], v[146:147], v[134:135] op_sel:[0,1]
	s_delay_alu instid0(VALU_DEP_1) | instskip(SKIP_1) | instid1(VALU_DEP_1)
	v_pk_fma_f32 v[148:149], v[146:147], v[136:137], v[144:145] op_sel:[0,0,1] op_sel_hi:[1,1,0] neg_lo:[0,0,1] neg_hi:[0,0,1]
	v_pk_fma_f32 v[144:145], v[146:147], v[136:137], v[144:145] op_sel:[0,0,1] op_sel_hi:[1,0,0]
	v_mov_b32_e32 v149, v145
	ds_load_2addr_b64 v[144:147], v138 offset0:50 offset1:51
	v_pk_add_f32 v[54:55], v[54:55], v[150:151] neg_lo:[0,1] neg_hi:[0,1]
	v_pk_add_f32 v[52:53], v[52:53], v[148:149] neg_lo:[0,1] neg_hi:[0,1]
	s_wait_dscnt 0x0
	v_pk_mul_f32 v[148:149], v[144:145], v[134:135] op_sel:[0,1]
	s_delay_alu instid0(VALU_DEP_1) | instskip(SKIP_2) | instid1(VALU_DEP_2)
	v_pk_fma_f32 v[150:151], v[144:145], v[136:137], v[148:149] op_sel:[0,0,1] op_sel_hi:[1,1,0] neg_lo:[0,0,1] neg_hi:[0,0,1]
	v_pk_fma_f32 v[144:145], v[144:145], v[136:137], v[148:149] op_sel:[0,0,1] op_sel_hi:[1,0,0]
	v_dual_mul_f32 v148, v147, v135 :: v_dual_mov_b32 v144, v147
	v_dual_mov_b32 v151, v145 :: v_dual_mov_b32 v145, v146
	s_delay_alu instid0(VALU_DEP_2) | instskip(SKIP_1) | instid1(VALU_DEP_3)
	v_pk_fma_f32 v[148:149], v[146:147], v[12:13], v[148:149] op_sel_hi:[1,1,0] neg_lo:[0,0,1] neg_hi:[0,0,1]
	v_mul_f32_e32 v146, v147, v136
	v_pk_add_f32 v[62:63], v[62:63], v[150:151] neg_lo:[0,1] neg_hi:[0,1]
	s_delay_alu instid0(VALU_DEP_2) | instskip(NEXT) | instid1(VALU_DEP_1)
	v_pk_fma_f32 v[144:145], v[144:145], v[12:13], v[146:147] op_sel_hi:[1,1,0]
	v_mov_b32_e32 v149, v145
	ds_load_2addr_b64 v[144:147], v138 offset0:52 offset1:53
	v_pk_add_f32 v[16:17], v[16:17], v[148:149] neg_lo:[0,1] neg_hi:[0,1]
	s_wait_dscnt 0x0
	v_pk_mul_f32 v[148:149], v[144:145], v[134:135] op_sel:[0,1]
	s_delay_alu instid0(VALU_DEP_1) | instskip(SKIP_1) | instid1(VALU_DEP_1)
	v_pk_fma_f32 v[150:151], v[144:145], v[136:137], v[148:149] op_sel:[0,0,1] op_sel_hi:[1,1,0] neg_lo:[0,0,1] neg_hi:[0,0,1]
	v_pk_fma_f32 v[144:145], v[144:145], v[136:137], v[148:149] op_sel:[0,0,1] op_sel_hi:[1,0,0]
	v_mov_b32_e32 v151, v145
	v_pk_mul_f32 v[144:145], v[146:147], v[134:135] op_sel:[0,1]
	s_delay_alu instid0(VALU_DEP_1) | instskip(SKIP_1) | instid1(VALU_DEP_1)
	v_pk_fma_f32 v[148:149], v[146:147], v[136:137], v[144:145] op_sel:[0,0,1] op_sel_hi:[1,1,0] neg_lo:[0,0,1] neg_hi:[0,0,1]
	v_pk_fma_f32 v[144:145], v[146:147], v[136:137], v[144:145] op_sel:[0,0,1] op_sel_hi:[1,0,0]
	v_mov_b32_e32 v149, v145
	ds_load_2addr_b64 v[144:147], v138 offset0:54 offset1:55
	v_pk_add_f32 v[48:49], v[48:49], v[150:151] neg_lo:[0,1] neg_hi:[0,1]
	v_pk_add_f32 v[42:43], v[42:43], v[148:149] neg_lo:[0,1] neg_hi:[0,1]
	s_wait_dscnt 0x0
	v_pk_mul_f32 v[148:149], v[144:145], v[134:135] op_sel:[0,1]
	s_delay_alu instid0(VALU_DEP_1) | instskip(SKIP_1) | instid1(VALU_DEP_1)
	v_pk_fma_f32 v[150:151], v[144:145], v[136:137], v[148:149] op_sel:[0,0,1] op_sel_hi:[1,1,0] neg_lo:[0,0,1] neg_hi:[0,0,1]
	v_pk_fma_f32 v[144:145], v[144:145], v[136:137], v[148:149] op_sel:[0,0,1] op_sel_hi:[1,0,0]
	v_mov_b32_e32 v151, v145
	v_pk_mul_f32 v[144:145], v[146:147], v[134:135] op_sel:[0,1]
	s_delay_alu instid0(VALU_DEP_1) | instskip(SKIP_1) | instid1(VALU_DEP_1)
	v_pk_fma_f32 v[148:149], v[146:147], v[136:137], v[144:145] op_sel:[0,0,1] op_sel_hi:[1,1,0] neg_lo:[0,0,1] neg_hi:[0,0,1]
	v_pk_fma_f32 v[144:145], v[146:147], v[136:137], v[144:145] op_sel:[0,0,1] op_sel_hi:[1,0,0]
	v_mov_b32_e32 v149, v145
	ds_load_2addr_b64 v[144:147], v138 offset0:56 offset1:57
	v_pk_add_f32 v[46:47], v[46:47], v[150:151] neg_lo:[0,1] neg_hi:[0,1]
	v_pk_add_f32 v[8:9], v[8:9], v[148:149] neg_lo:[0,1] neg_hi:[0,1]
	s_wait_dscnt 0x0
	v_dual_mul_f32 v148, v145, v135 :: v_dual_mul_f32 v150, v145, v136
	s_delay_alu instid0(VALU_DEP_1) | instskip(NEXT) | instid1(VALU_DEP_2)
	v_pk_fma_f32 v[148:149], v[144:145], v[12:13], v[148:149] op_sel_hi:[1,1,0] neg_lo:[0,0,1] neg_hi:[0,0,1]
	v_pk_fma_f32 v[144:145], v[144:145], v[12:13], v[150:151] op_sel:[1,0,0] op_sel_hi:[0,1,0]
	s_delay_alu instid0(VALU_DEP_1) | instskip(SKIP_1) | instid1(VALU_DEP_2)
	v_mov_b32_e32 v149, v145
	v_pk_mul_f32 v[144:145], v[146:147], v[134:135] op_sel:[0,1]
	v_pk_add_f32 v[32:33], v[32:33], v[148:149] neg_lo:[0,1] neg_hi:[0,1]
	s_delay_alu instid0(VALU_DEP_2) | instskip(SKIP_1) | instid1(VALU_DEP_1)
	v_pk_fma_f32 v[148:149], v[146:147], v[136:137], v[144:145] op_sel:[0,0,1] op_sel_hi:[1,1,0] neg_lo:[0,0,1] neg_hi:[0,0,1]
	v_pk_fma_f32 v[144:145], v[146:147], v[136:137], v[144:145] op_sel:[0,0,1] op_sel_hi:[1,0,0]
	v_mov_b32_e32 v149, v145
	ds_load_2addr_b64 v[144:147], v138 offset0:58 offset1:59
	v_pk_add_f32 v[28:29], v[28:29], v[148:149] neg_lo:[0,1] neg_hi:[0,1]
	s_wait_dscnt 0x0
	v_pk_mul_f32 v[148:149], v[144:145], v[134:135] op_sel:[0,1]
	s_delay_alu instid0(VALU_DEP_1) | instskip(SKIP_1) | instid1(VALU_DEP_1)
	v_pk_fma_f32 v[150:151], v[144:145], v[136:137], v[148:149] op_sel:[0,0,1] op_sel_hi:[1,1,0] neg_lo:[0,0,1] neg_hi:[0,0,1]
	v_pk_fma_f32 v[144:145], v[144:145], v[136:137], v[148:149] op_sel:[0,0,1] op_sel_hi:[1,0,0]
	v_mov_b32_e32 v151, v145
	v_pk_mul_f32 v[144:145], v[146:147], v[134:135] op_sel:[0,1]
	s_delay_alu instid0(VALU_DEP_2) | instskip(NEXT) | instid1(VALU_DEP_2)
	v_pk_add_f32 v[30:31], v[30:31], v[150:151] neg_lo:[0,1] neg_hi:[0,1]
	v_pk_fma_f32 v[148:149], v[146:147], v[136:137], v[144:145] op_sel:[0,0,1] op_sel_hi:[1,1,0] neg_lo:[0,0,1] neg_hi:[0,0,1]
	v_pk_fma_f32 v[144:145], v[146:147], v[136:137], v[144:145] op_sel:[0,0,1] op_sel_hi:[1,0,0]
	s_delay_alu instid0(VALU_DEP_1) | instskip(SKIP_4) | instid1(VALU_DEP_1)
	v_mov_b32_e32 v149, v145
	ds_load_2addr_b64 v[144:147], v138 offset0:60 offset1:61
	v_pk_add_f32 v[6:7], v[6:7], v[148:149] neg_lo:[0,1] neg_hi:[0,1]
	s_wait_dscnt 0x0
	v_pk_mul_f32 v[148:149], v[144:145], v[134:135] op_sel:[0,1]
	v_pk_fma_f32 v[150:151], v[144:145], v[136:137], v[148:149] op_sel:[0,0,1] op_sel_hi:[1,1,0] neg_lo:[0,0,1] neg_hi:[0,0,1]
	v_pk_fma_f32 v[144:145], v[144:145], v[136:137], v[148:149] op_sel:[0,0,1] op_sel_hi:[1,0,0]
	v_dual_mul_f32 v148, v147, v135 :: v_dual_mov_b32 v144, v147
	s_delay_alu instid0(VALU_DEP_2) | instskip(NEXT) | instid1(VALU_DEP_2)
	v_dual_mov_b32 v151, v145 :: v_dual_mov_b32 v145, v146
	v_pk_fma_f32 v[148:149], v[146:147], v[12:13], v[148:149] op_sel_hi:[1,1,0] neg_lo:[0,0,1] neg_hi:[0,0,1]
	v_mul_f32_e32 v146, v147, v136
	s_delay_alu instid0(VALU_DEP_3) | instskip(NEXT) | instid1(VALU_DEP_2)
	v_pk_add_f32 v[20:21], v[20:21], v[150:151] neg_lo:[0,1] neg_hi:[0,1]
	v_pk_fma_f32 v[144:145], v[144:145], v[12:13], v[146:147] op_sel_hi:[1,1,0]
	s_delay_alu instid0(VALU_DEP_1)
	v_mov_b32_e32 v149, v145
	ds_load_2addr_b64 v[144:147], v138 offset0:62 offset1:63
	v_pk_add_f32 v[14:15], v[14:15], v[148:149] neg_lo:[0,1] neg_hi:[0,1]
	s_wait_dscnt 0x0
	v_pk_mul_f32 v[148:149], v[144:145], v[134:135] op_sel:[0,1]
	v_pk_mul_f32 v[134:135], v[146:147], v[134:135] op_sel:[0,1]
	s_delay_alu instid0(VALU_DEP_2) | instskip(SKIP_1) | instid1(VALU_DEP_1)
	v_pk_fma_f32 v[150:151], v[144:145], v[136:137], v[148:149] op_sel:[0,0,1] op_sel_hi:[1,1,0] neg_lo:[0,0,1] neg_hi:[0,0,1]
	v_pk_fma_f32 v[144:145], v[144:145], v[136:137], v[148:149] op_sel:[0,0,1] op_sel_hi:[1,0,0]
	v_mov_b32_e32 v151, v145
	s_delay_alu instid0(VALU_DEP_4) | instskip(SKIP_1) | instid1(VALU_DEP_1)
	v_pk_fma_f32 v[144:145], v[146:147], v[136:137], v[134:135] op_sel:[0,0,1] op_sel_hi:[1,1,0] neg_lo:[0,0,1] neg_hi:[0,0,1]
	v_pk_fma_f32 v[134:135], v[146:147], v[136:137], v[134:135] op_sel:[0,0,1] op_sel_hi:[1,0,0]
	v_mov_b32_e32 v145, v135
	s_delay_alu instid0(VALU_DEP_4) | instskip(NEXT) | instid1(VALU_DEP_2)
	v_pk_add_f32 v[10:11], v[10:11], v[150:151] neg_lo:[0,1] neg_hi:[0,1]
	v_pk_add_f32 v[132:133], v[132:133], v[144:145] neg_lo:[0,1] neg_hi:[0,1]
.LBB126_1007:
	s_or_b32 exec_lo, exec_lo, s0
	v_lshl_add_u32 v134, v142, 3, v138
	s_barrier_signal -1
	s_barrier_wait -1
	ds_store_b64 v134, v[54:55]
	s_wait_dscnt 0x0
	s_barrier_signal -1
	s_barrier_wait -1
	ds_load_b64 v[134:135], v138 offset:384
	v_mov_b32_e32 v136, 48
	s_cmp_lt_i32 s18, 50
	s_cbranch_scc1 .LBB126_1010
; %bb.1008:
	v_add3_u32 v137, v139, 0, 0x188
	v_mov_b32_e32 v136, 48
	s_mov_b32 s0, 49
.LBB126_1009:                           ; =>This Inner Loop Header: Depth=1
	ds_load_b64 v[144:145], v137
	s_wait_dscnt 0x1
	v_cmp_gt_f32_e32 vcc_lo, 0, v134
	v_cndmask_b32_e64 v146, v134, -v134, vcc_lo
	v_cmp_gt_f32_e32 vcc_lo, 0, v135
	v_cndmask_b32_e64 v148, v135, -v135, vcc_lo
	s_wait_dscnt 0x0
	v_cmp_gt_f32_e32 vcc_lo, 0, v144
	v_cndmask_b32_e64 v147, v144, -v144, vcc_lo
	v_cmp_gt_f32_e32 vcc_lo, 0, v145
	v_cndmask_b32_e64 v149, v145, -v145, vcc_lo
	s_delay_alu instid0(VALU_DEP_1) | instskip(NEXT) | instid1(VALU_DEP_1)
	v_pk_add_f32 v[146:147], v[146:147], v[148:149]
	v_cmp_lt_f32_e32 vcc_lo, v146, v147
	v_dual_cndmask_b32 v134, v134, v144 :: v_dual_add_nc_u32 v137, 8, v137
	v_cndmask_b32_e32 v135, v135, v145, vcc_lo
	v_cndmask_b32_e64 v136, v136, s0, vcc_lo
	s_add_co_i32 s0, s0, 1
	s_delay_alu instid0(SALU_CYCLE_1)
	s_cmp_lg_u32 s18, s0
	s_cbranch_scc1 .LBB126_1009
.LBB126_1010:
	s_wait_dscnt 0x0
	v_cmp_eq_f32_e32 vcc_lo, 0, v134
	v_cmp_eq_f32_e64 s0, 0, v135
	s_and_b32 s0, vcc_lo, s0
	s_delay_alu instid0(SALU_CYCLE_1) | instskip(NEXT) | instid1(SALU_CYCLE_1)
	s_and_saveexec_b32 s1, s0
	s_xor_b32 s0, exec_lo, s1
; %bb.1011:
	v_cmp_ne_u32_e32 vcc_lo, 0, v140
	v_cndmask_b32_e32 v140, 49, v140, vcc_lo
; %bb.1012:
	s_and_not1_saveexec_b32 s0, s0
	s_cbranch_execz .LBB126_1018
; %bb.1013:
	v_cmp_ngt_f32_e64 s1, |v134|, |v135|
	s_and_saveexec_b32 s12, s1
	s_delay_alu instid0(SALU_CYCLE_1)
	s_xor_b32 s1, exec_lo, s12
	s_cbranch_execz .LBB126_1015
; %bb.1014:
	v_div_scale_f32 v137, null, v135, v135, v134
	v_div_scale_f32 v145, vcc_lo, v134, v135, v134
	s_delay_alu instid0(VALU_DEP_2) | instskip(SKIP_1) | instid1(TRANS32_DEP_1)
	v_rcp_f32_e32 v143, v137
	v_nop
	v_fma_f32 v144, -v137, v143, 1.0
	s_delay_alu instid0(VALU_DEP_1) | instskip(NEXT) | instid1(VALU_DEP_1)
	v_fmac_f32_e32 v143, v144, v143
	v_mul_f32_e32 v144, v145, v143
	s_delay_alu instid0(VALU_DEP_1) | instskip(NEXT) | instid1(VALU_DEP_1)
	v_fma_f32 v146, -v137, v144, v145
	v_fmac_f32_e32 v144, v146, v143
	s_delay_alu instid0(VALU_DEP_1) | instskip(NEXT) | instid1(VALU_DEP_1)
	v_fma_f32 v137, -v137, v144, v145
	v_div_fmas_f32 v137, v137, v143, v144
	s_delay_alu instid0(VALU_DEP_1) | instskip(NEXT) | instid1(VALU_DEP_1)
	v_div_fixup_f32 v137, v137, v135, v134
	v_fmac_f32_e32 v135, v134, v137
	s_delay_alu instid0(VALU_DEP_1) | instskip(SKIP_1) | instid1(VALU_DEP_2)
	v_div_scale_f32 v134, null, v135, v135, 1.0
	v_div_scale_f32 v145, vcc_lo, 1.0, v135, 1.0
	v_rcp_f32_e32 v143, v134
	v_nop
	s_delay_alu instid0(TRANS32_DEP_1) | instskip(NEXT) | instid1(VALU_DEP_1)
	v_fma_f32 v144, -v134, v143, 1.0
	v_fmac_f32_e32 v143, v144, v143
	s_delay_alu instid0(VALU_DEP_1) | instskip(NEXT) | instid1(VALU_DEP_1)
	v_mul_f32_e32 v144, v145, v143
	v_fma_f32 v146, -v134, v144, v145
	s_delay_alu instid0(VALU_DEP_1) | instskip(NEXT) | instid1(VALU_DEP_1)
	v_fmac_f32_e32 v144, v146, v143
	v_fma_f32 v134, -v134, v144, v145
	s_delay_alu instid0(VALU_DEP_1) | instskip(NEXT) | instid1(VALU_DEP_1)
	v_div_fmas_f32 v134, v134, v143, v144
	v_div_fixup_f32 v135, v134, v135, 1.0
	s_delay_alu instid0(VALU_DEP_1)
	v_mul_f32_e32 v134, v137, v135
	v_xor_b32_e32 v135, 0x80000000, v135
.LBB126_1015:
	s_and_not1_saveexec_b32 s1, s1
	s_cbranch_execz .LBB126_1017
; %bb.1016:
	s_delay_alu instid0(VALU_DEP_1) | instskip(SKIP_1) | instid1(VALU_DEP_2)
	v_div_scale_f32 v137, null, v134, v134, v135
	v_div_scale_f32 v145, vcc_lo, v135, v134, v135
	v_rcp_f32_e32 v143, v137
	v_nop
	s_delay_alu instid0(TRANS32_DEP_1) | instskip(NEXT) | instid1(VALU_DEP_1)
	v_fma_f32 v144, -v137, v143, 1.0
	v_fmac_f32_e32 v143, v144, v143
	s_delay_alu instid0(VALU_DEP_1) | instskip(NEXT) | instid1(VALU_DEP_1)
	v_mul_f32_e32 v144, v145, v143
	v_fma_f32 v146, -v137, v144, v145
	s_delay_alu instid0(VALU_DEP_1) | instskip(NEXT) | instid1(VALU_DEP_1)
	v_fmac_f32_e32 v144, v146, v143
	v_fma_f32 v137, -v137, v144, v145
	s_delay_alu instid0(VALU_DEP_1) | instskip(NEXT) | instid1(VALU_DEP_1)
	v_div_fmas_f32 v137, v137, v143, v144
	v_div_fixup_f32 v137, v137, v134, v135
	s_delay_alu instid0(VALU_DEP_1) | instskip(NEXT) | instid1(VALU_DEP_1)
	v_fmac_f32_e32 v134, v135, v137
	v_div_scale_f32 v135, null, v134, v134, 1.0
	s_delay_alu instid0(VALU_DEP_1) | instskip(SKIP_1) | instid1(TRANS32_DEP_1)
	v_rcp_f32_e32 v143, v135
	v_nop
	v_fma_f32 v144, -v135, v143, 1.0
	s_delay_alu instid0(VALU_DEP_1) | instskip(SKIP_1) | instid1(VALU_DEP_1)
	v_fmac_f32_e32 v143, v144, v143
	v_div_scale_f32 v144, vcc_lo, 1.0, v134, 1.0
	v_mul_f32_e32 v145, v144, v143
	s_delay_alu instid0(VALU_DEP_1) | instskip(NEXT) | instid1(VALU_DEP_1)
	v_fma_f32 v146, -v135, v145, v144
	v_fmac_f32_e32 v145, v146, v143
	s_delay_alu instid0(VALU_DEP_1) | instskip(NEXT) | instid1(VALU_DEP_1)
	v_fma_f32 v135, -v135, v145, v144
	v_div_fmas_f32 v135, v135, v143, v145
	s_delay_alu instid0(VALU_DEP_1) | instskip(NEXT) | instid1(VALU_DEP_1)
	v_div_fixup_f32 v134, v135, v134, 1.0
	v_mul_f32_e64 v135, v137, -v134
.LBB126_1017:
	s_or_b32 exec_lo, exec_lo, s1
.LBB126_1018:
	s_delay_alu instid0(SALU_CYCLE_1) | instskip(NEXT) | instid1(SALU_CYCLE_1)
	s_or_b32 exec_lo, exec_lo, s0
	s_mov_b32 s0, exec_lo
	v_cmpx_ne_u32_e64 v142, v136
	s_xor_b32 s0, exec_lo, s0
	s_cbranch_execz .LBB126_1024
; %bb.1019:
	s_mov_b32 s1, exec_lo
	v_cmpx_eq_u32_e32 48, v142
	s_cbranch_execz .LBB126_1023
; %bb.1020:
	v_cmp_ne_u32_e32 vcc_lo, 48, v136
	s_xor_b32 s12, s16, -1
	s_delay_alu instid0(SALU_CYCLE_1) | instskip(NEXT) | instid1(SALU_CYCLE_1)
	s_and_b32 s13, s12, vcc_lo
	s_and_saveexec_b32 s12, s13
	s_cbranch_execz .LBB126_1022
; %bb.1021:
	v_ashrrev_i32_e32 v137, 31, v136
	s_delay_alu instid0(VALU_DEP_1)
	v_lshl_add_u64 v[142:143], v[136:137], 2, v[4:5]
	s_clause 0x1
	global_load_b32 v137, v[142:143], off
	global_load_b32 v141, v[4:5], off offset:192
	s_wait_loadcnt 0x1
	global_store_b32 v[4:5], v137, off offset:192
	s_wait_loadcnt 0x0
	global_store_b32 v[142:143], v141, off
.LBB126_1022:
	s_wait_xcnt 0x0
	s_or_b32 exec_lo, exec_lo, s12
	v_dual_mov_b32 v142, v136 :: v_dual_mov_b32 v141, v136
.LBB126_1023:
	s_or_b32 exec_lo, exec_lo, s1
.LBB126_1024:
	s_and_not1_saveexec_b32 s0, s0
	s_cbranch_execz .LBB126_1026
; %bb.1025:
	v_mov_b32_e32 v142, 48
	ds_store_2addr_b64 v138, v[52:53], v[62:63] offset0:49 offset1:50
	ds_store_2addr_b64 v138, v[16:17], v[48:49] offset0:51 offset1:52
	;; [unrolled: 1-line block ×7, first 2 shown]
	ds_store_b64 v138, v[132:133] offset:504
.LBB126_1026:
	s_or_b32 exec_lo, exec_lo, s0
	s_delay_alu instid0(SALU_CYCLE_1)
	s_mov_b32 s0, exec_lo
	s_wait_storecnt_dscnt 0x0
	s_barrier_signal -1
	s_barrier_wait -1
	v_cmpx_lt_i32_e32 48, v142
	s_cbranch_execz .LBB126_1028
; %bb.1027:
	v_pk_mul_f32 v[144:145], v[134:135], v[54:55] op_sel:[1,1] op_sel_hi:[0,1]
	s_delay_alu instid0(VALU_DEP_1)
	v_pk_fma_f32 v[136:137], v[134:135], v[54:55], v[144:145] op_sel_hi:[1,0,1] neg_lo:[0,0,1] neg_hi:[0,0,1]
	v_pk_fma_f32 v[134:135], v[134:135], v[54:55], v[144:145] op_sel_hi:[1,0,1]
	ds_load_2addr_b64 v[144:147], v138 offset0:49 offset1:50
	v_dual_mov_b32 v54, v136 :: v_dual_mov_b32 v55, v135
	s_wait_dscnt 0x0
	v_pk_mul_f32 v[148:149], v[144:145], v[134:135] op_sel:[0,1]
	s_delay_alu instid0(VALU_DEP_1) | instskip(SKIP_1) | instid1(VALU_DEP_1)
	v_pk_fma_f32 v[150:151], v[144:145], v[136:137], v[148:149] op_sel:[0,0,1] op_sel_hi:[1,1,0] neg_lo:[0,0,1] neg_hi:[0,0,1]
	v_pk_fma_f32 v[144:145], v[144:145], v[136:137], v[148:149] op_sel:[0,0,1] op_sel_hi:[1,0,0]
	v_mov_b32_e32 v151, v145
	v_pk_mul_f32 v[144:145], v[146:147], v[134:135] op_sel:[0,1]
	s_delay_alu instid0(VALU_DEP_1) | instskip(SKIP_1) | instid1(VALU_DEP_1)
	v_pk_fma_f32 v[148:149], v[146:147], v[136:137], v[144:145] op_sel:[0,0,1] op_sel_hi:[1,1,0] neg_lo:[0,0,1] neg_hi:[0,0,1]
	v_pk_fma_f32 v[144:145], v[146:147], v[136:137], v[144:145] op_sel:[0,0,1] op_sel_hi:[1,0,0]
	v_mov_b32_e32 v149, v145
	ds_load_2addr_b64 v[144:147], v138 offset0:51 offset1:52
	v_pk_add_f32 v[52:53], v[52:53], v[150:151] neg_lo:[0,1] neg_hi:[0,1]
	v_pk_add_f32 v[62:63], v[62:63], v[148:149] neg_lo:[0,1] neg_hi:[0,1]
	s_wait_dscnt 0x0
	v_pk_mul_f32 v[148:149], v[144:145], v[134:135] op_sel:[0,1]
	s_delay_alu instid0(VALU_DEP_1) | instskip(SKIP_2) | instid1(VALU_DEP_2)
	v_pk_fma_f32 v[150:151], v[144:145], v[136:137], v[148:149] op_sel:[0,0,1] op_sel_hi:[1,1,0] neg_lo:[0,0,1] neg_hi:[0,0,1]
	v_pk_fma_f32 v[144:145], v[144:145], v[136:137], v[148:149] op_sel:[0,0,1] op_sel_hi:[1,0,0]
	v_dual_mul_f32 v148, v147, v135 :: v_dual_mov_b32 v144, v147
	v_dual_mov_b32 v151, v145 :: v_dual_mov_b32 v145, v146
	s_delay_alu instid0(VALU_DEP_2) | instskip(SKIP_1) | instid1(VALU_DEP_3)
	v_pk_fma_f32 v[148:149], v[146:147], v[54:55], v[148:149] op_sel_hi:[1,1,0] neg_lo:[0,0,1] neg_hi:[0,0,1]
	v_mul_f32_e32 v146, v147, v136
	v_pk_add_f32 v[16:17], v[16:17], v[150:151] neg_lo:[0,1] neg_hi:[0,1]
	s_delay_alu instid0(VALU_DEP_2) | instskip(NEXT) | instid1(VALU_DEP_1)
	v_pk_fma_f32 v[144:145], v[144:145], v[54:55], v[146:147] op_sel_hi:[1,1,0]
	v_mov_b32_e32 v149, v145
	ds_load_2addr_b64 v[144:147], v138 offset0:53 offset1:54
	v_pk_add_f32 v[48:49], v[48:49], v[148:149] neg_lo:[0,1] neg_hi:[0,1]
	s_wait_dscnt 0x0
	v_pk_mul_f32 v[148:149], v[144:145], v[134:135] op_sel:[0,1]
	s_delay_alu instid0(VALU_DEP_1) | instskip(SKIP_1) | instid1(VALU_DEP_1)
	v_pk_fma_f32 v[150:151], v[144:145], v[136:137], v[148:149] op_sel:[0,0,1] op_sel_hi:[1,1,0] neg_lo:[0,0,1] neg_hi:[0,0,1]
	v_pk_fma_f32 v[144:145], v[144:145], v[136:137], v[148:149] op_sel:[0,0,1] op_sel_hi:[1,0,0]
	v_mov_b32_e32 v151, v145
	v_pk_mul_f32 v[144:145], v[146:147], v[134:135] op_sel:[0,1]
	s_delay_alu instid0(VALU_DEP_1) | instskip(SKIP_1) | instid1(VALU_DEP_1)
	v_pk_fma_f32 v[148:149], v[146:147], v[136:137], v[144:145] op_sel:[0,0,1] op_sel_hi:[1,1,0] neg_lo:[0,0,1] neg_hi:[0,0,1]
	v_pk_fma_f32 v[144:145], v[146:147], v[136:137], v[144:145] op_sel:[0,0,1] op_sel_hi:[1,0,0]
	v_mov_b32_e32 v149, v145
	ds_load_2addr_b64 v[144:147], v138 offset0:55 offset1:56
	v_pk_add_f32 v[42:43], v[42:43], v[150:151] neg_lo:[0,1] neg_hi:[0,1]
	v_pk_add_f32 v[46:47], v[46:47], v[148:149] neg_lo:[0,1] neg_hi:[0,1]
	s_wait_dscnt 0x0
	v_pk_mul_f32 v[148:149], v[144:145], v[134:135] op_sel:[0,1]
	s_delay_alu instid0(VALU_DEP_1) | instskip(SKIP_1) | instid1(VALU_DEP_1)
	v_pk_fma_f32 v[150:151], v[144:145], v[136:137], v[148:149] op_sel:[0,0,1] op_sel_hi:[1,1,0] neg_lo:[0,0,1] neg_hi:[0,0,1]
	v_pk_fma_f32 v[144:145], v[144:145], v[136:137], v[148:149] op_sel:[0,0,1] op_sel_hi:[1,0,0]
	v_mov_b32_e32 v151, v145
	v_pk_mul_f32 v[144:145], v[146:147], v[134:135] op_sel:[0,1]
	s_delay_alu instid0(VALU_DEP_1) | instskip(SKIP_1) | instid1(VALU_DEP_1)
	v_pk_fma_f32 v[148:149], v[146:147], v[136:137], v[144:145] op_sel:[0,0,1] op_sel_hi:[1,1,0] neg_lo:[0,0,1] neg_hi:[0,0,1]
	v_pk_fma_f32 v[144:145], v[146:147], v[136:137], v[144:145] op_sel:[0,0,1] op_sel_hi:[1,0,0]
	v_mov_b32_e32 v149, v145
	ds_load_2addr_b64 v[144:147], v138 offset0:57 offset1:58
	v_pk_add_f32 v[8:9], v[8:9], v[150:151] neg_lo:[0,1] neg_hi:[0,1]
	v_pk_add_f32 v[32:33], v[32:33], v[148:149] neg_lo:[0,1] neg_hi:[0,1]
	s_wait_dscnt 0x0
	v_dual_mul_f32 v148, v145, v135 :: v_dual_mul_f32 v150, v145, v136
	s_delay_alu instid0(VALU_DEP_1) | instskip(NEXT) | instid1(VALU_DEP_2)
	v_pk_fma_f32 v[148:149], v[144:145], v[54:55], v[148:149] op_sel_hi:[1,1,0] neg_lo:[0,0,1] neg_hi:[0,0,1]
	v_pk_fma_f32 v[144:145], v[144:145], v[54:55], v[150:151] op_sel:[1,0,0] op_sel_hi:[0,1,0]
	s_delay_alu instid0(VALU_DEP_1) | instskip(SKIP_1) | instid1(VALU_DEP_2)
	v_mov_b32_e32 v149, v145
	v_pk_mul_f32 v[144:145], v[146:147], v[134:135] op_sel:[0,1]
	v_pk_add_f32 v[28:29], v[28:29], v[148:149] neg_lo:[0,1] neg_hi:[0,1]
	s_delay_alu instid0(VALU_DEP_2) | instskip(SKIP_1) | instid1(VALU_DEP_1)
	v_pk_fma_f32 v[148:149], v[146:147], v[136:137], v[144:145] op_sel:[0,0,1] op_sel_hi:[1,1,0] neg_lo:[0,0,1] neg_hi:[0,0,1]
	v_pk_fma_f32 v[144:145], v[146:147], v[136:137], v[144:145] op_sel:[0,0,1] op_sel_hi:[1,0,0]
	v_mov_b32_e32 v149, v145
	ds_load_2addr_b64 v[144:147], v138 offset0:59 offset1:60
	v_pk_add_f32 v[30:31], v[30:31], v[148:149] neg_lo:[0,1] neg_hi:[0,1]
	s_wait_dscnt 0x0
	v_pk_mul_f32 v[148:149], v[144:145], v[134:135] op_sel:[0,1]
	s_delay_alu instid0(VALU_DEP_1) | instskip(SKIP_1) | instid1(VALU_DEP_1)
	v_pk_fma_f32 v[150:151], v[144:145], v[136:137], v[148:149] op_sel:[0,0,1] op_sel_hi:[1,1,0] neg_lo:[0,0,1] neg_hi:[0,0,1]
	v_pk_fma_f32 v[144:145], v[144:145], v[136:137], v[148:149] op_sel:[0,0,1] op_sel_hi:[1,0,0]
	v_mov_b32_e32 v151, v145
	v_pk_mul_f32 v[144:145], v[146:147], v[134:135] op_sel:[0,1]
	s_delay_alu instid0(VALU_DEP_2) | instskip(NEXT) | instid1(VALU_DEP_2)
	v_pk_add_f32 v[6:7], v[6:7], v[150:151] neg_lo:[0,1] neg_hi:[0,1]
	v_pk_fma_f32 v[148:149], v[146:147], v[136:137], v[144:145] op_sel:[0,0,1] op_sel_hi:[1,1,0] neg_lo:[0,0,1] neg_hi:[0,0,1]
	v_pk_fma_f32 v[144:145], v[146:147], v[136:137], v[144:145] op_sel:[0,0,1] op_sel_hi:[1,0,0]
	s_delay_alu instid0(VALU_DEP_1) | instskip(SKIP_4) | instid1(VALU_DEP_1)
	v_mov_b32_e32 v149, v145
	ds_load_2addr_b64 v[144:147], v138 offset0:61 offset1:62
	v_pk_add_f32 v[20:21], v[20:21], v[148:149] neg_lo:[0,1] neg_hi:[0,1]
	s_wait_dscnt 0x0
	v_pk_mul_f32 v[148:149], v[144:145], v[134:135] op_sel:[0,1]
	v_pk_fma_f32 v[150:151], v[144:145], v[136:137], v[148:149] op_sel:[0,0,1] op_sel_hi:[1,1,0] neg_lo:[0,0,1] neg_hi:[0,0,1]
	v_pk_fma_f32 v[144:145], v[144:145], v[136:137], v[148:149] op_sel:[0,0,1] op_sel_hi:[1,0,0]
	v_dual_mul_f32 v148, v147, v135 :: v_dual_mov_b32 v144, v147
	s_delay_alu instid0(VALU_DEP_2) | instskip(NEXT) | instid1(VALU_DEP_2)
	v_dual_mov_b32 v151, v145 :: v_dual_mov_b32 v145, v146
	v_pk_fma_f32 v[148:149], v[146:147], v[54:55], v[148:149] op_sel_hi:[1,1,0] neg_lo:[0,0,1] neg_hi:[0,0,1]
	v_mul_f32_e32 v146, v147, v136
	s_delay_alu instid0(VALU_DEP_3) | instskip(NEXT) | instid1(VALU_DEP_2)
	v_pk_add_f32 v[14:15], v[14:15], v[150:151] neg_lo:[0,1] neg_hi:[0,1]
	v_pk_fma_f32 v[144:145], v[144:145], v[54:55], v[146:147] op_sel_hi:[1,1,0]
	s_delay_alu instid0(VALU_DEP_1) | instskip(SKIP_4) | instid1(VALU_DEP_1)
	v_mov_b32_e32 v149, v145
	ds_load_b64 v[144:145], v138 offset:504
	v_pk_add_f32 v[10:11], v[10:11], v[148:149] neg_lo:[0,1] neg_hi:[0,1]
	s_wait_dscnt 0x0
	v_pk_mul_f32 v[134:135], v[144:145], v[134:135] op_sel:[0,1]
	v_pk_fma_f32 v[146:147], v[144:145], v[136:137], v[134:135] op_sel:[0,0,1] op_sel_hi:[1,1,0] neg_lo:[0,0,1] neg_hi:[0,0,1]
	v_pk_fma_f32 v[134:135], v[144:145], v[136:137], v[134:135] op_sel:[0,0,1] op_sel_hi:[1,0,0]
	s_delay_alu instid0(VALU_DEP_1) | instskip(NEXT) | instid1(VALU_DEP_1)
	v_mov_b32_e32 v147, v135
	v_pk_add_f32 v[132:133], v[132:133], v[146:147] neg_lo:[0,1] neg_hi:[0,1]
.LBB126_1028:
	s_or_b32 exec_lo, exec_lo, s0
	v_lshl_add_u32 v134, v142, 3, v138
	s_barrier_signal -1
	s_barrier_wait -1
	ds_store_b64 v134, v[52:53]
	s_wait_dscnt 0x0
	s_barrier_signal -1
	s_barrier_wait -1
	ds_load_b64 v[134:135], v138 offset:392
	v_mov_b32_e32 v136, 49
	s_cmp_lt_i32 s18, 51
	s_cbranch_scc1 .LBB126_1031
; %bb.1029:
	v_add3_u32 v137, v139, 0, 0x190
	v_mov_b32_e32 v136, 49
	s_mov_b32 s0, 50
.LBB126_1030:                           ; =>This Inner Loop Header: Depth=1
	ds_load_b64 v[144:145], v137
	s_wait_dscnt 0x1
	v_cmp_gt_f32_e32 vcc_lo, 0, v134
	v_cndmask_b32_e64 v146, v134, -v134, vcc_lo
	v_cmp_gt_f32_e32 vcc_lo, 0, v135
	v_cndmask_b32_e64 v148, v135, -v135, vcc_lo
	s_wait_dscnt 0x0
	v_cmp_gt_f32_e32 vcc_lo, 0, v144
	v_cndmask_b32_e64 v147, v144, -v144, vcc_lo
	v_cmp_gt_f32_e32 vcc_lo, 0, v145
	v_cndmask_b32_e64 v149, v145, -v145, vcc_lo
	s_delay_alu instid0(VALU_DEP_1) | instskip(NEXT) | instid1(VALU_DEP_1)
	v_pk_add_f32 v[146:147], v[146:147], v[148:149]
	v_cmp_lt_f32_e32 vcc_lo, v146, v147
	v_dual_cndmask_b32 v134, v134, v144 :: v_dual_add_nc_u32 v137, 8, v137
	v_cndmask_b32_e32 v135, v135, v145, vcc_lo
	v_cndmask_b32_e64 v136, v136, s0, vcc_lo
	s_add_co_i32 s0, s0, 1
	s_delay_alu instid0(SALU_CYCLE_1)
	s_cmp_lg_u32 s18, s0
	s_cbranch_scc1 .LBB126_1030
.LBB126_1031:
	s_wait_dscnt 0x0
	v_cmp_eq_f32_e32 vcc_lo, 0, v134
	v_cmp_eq_f32_e64 s0, 0, v135
	s_and_b32 s0, vcc_lo, s0
	s_delay_alu instid0(SALU_CYCLE_1) | instskip(NEXT) | instid1(SALU_CYCLE_1)
	s_and_saveexec_b32 s1, s0
	s_xor_b32 s0, exec_lo, s1
; %bb.1032:
	v_cmp_ne_u32_e32 vcc_lo, 0, v140
	v_cndmask_b32_e32 v140, 50, v140, vcc_lo
; %bb.1033:
	s_and_not1_saveexec_b32 s0, s0
	s_cbranch_execz .LBB126_1039
; %bb.1034:
	v_cmp_ngt_f32_e64 s1, |v134|, |v135|
	s_and_saveexec_b32 s12, s1
	s_delay_alu instid0(SALU_CYCLE_1)
	s_xor_b32 s1, exec_lo, s12
	s_cbranch_execz .LBB126_1036
; %bb.1035:
	v_div_scale_f32 v137, null, v135, v135, v134
	v_div_scale_f32 v145, vcc_lo, v134, v135, v134
	s_delay_alu instid0(VALU_DEP_2) | instskip(SKIP_1) | instid1(TRANS32_DEP_1)
	v_rcp_f32_e32 v143, v137
	v_nop
	v_fma_f32 v144, -v137, v143, 1.0
	s_delay_alu instid0(VALU_DEP_1) | instskip(NEXT) | instid1(VALU_DEP_1)
	v_fmac_f32_e32 v143, v144, v143
	v_mul_f32_e32 v144, v145, v143
	s_delay_alu instid0(VALU_DEP_1) | instskip(NEXT) | instid1(VALU_DEP_1)
	v_fma_f32 v146, -v137, v144, v145
	v_fmac_f32_e32 v144, v146, v143
	s_delay_alu instid0(VALU_DEP_1) | instskip(NEXT) | instid1(VALU_DEP_1)
	v_fma_f32 v137, -v137, v144, v145
	v_div_fmas_f32 v137, v137, v143, v144
	s_delay_alu instid0(VALU_DEP_1) | instskip(NEXT) | instid1(VALU_DEP_1)
	v_div_fixup_f32 v137, v137, v135, v134
	v_fmac_f32_e32 v135, v134, v137
	s_delay_alu instid0(VALU_DEP_1) | instskip(SKIP_1) | instid1(VALU_DEP_2)
	v_div_scale_f32 v134, null, v135, v135, 1.0
	v_div_scale_f32 v145, vcc_lo, 1.0, v135, 1.0
	v_rcp_f32_e32 v143, v134
	v_nop
	s_delay_alu instid0(TRANS32_DEP_1) | instskip(NEXT) | instid1(VALU_DEP_1)
	v_fma_f32 v144, -v134, v143, 1.0
	v_fmac_f32_e32 v143, v144, v143
	s_delay_alu instid0(VALU_DEP_1) | instskip(NEXT) | instid1(VALU_DEP_1)
	v_mul_f32_e32 v144, v145, v143
	v_fma_f32 v146, -v134, v144, v145
	s_delay_alu instid0(VALU_DEP_1) | instskip(NEXT) | instid1(VALU_DEP_1)
	v_fmac_f32_e32 v144, v146, v143
	v_fma_f32 v134, -v134, v144, v145
	s_delay_alu instid0(VALU_DEP_1) | instskip(NEXT) | instid1(VALU_DEP_1)
	v_div_fmas_f32 v134, v134, v143, v144
	v_div_fixup_f32 v135, v134, v135, 1.0
	s_delay_alu instid0(VALU_DEP_1)
	v_mul_f32_e32 v134, v137, v135
	v_xor_b32_e32 v135, 0x80000000, v135
.LBB126_1036:
	s_and_not1_saveexec_b32 s1, s1
	s_cbranch_execz .LBB126_1038
; %bb.1037:
	s_delay_alu instid0(VALU_DEP_1) | instskip(SKIP_1) | instid1(VALU_DEP_2)
	v_div_scale_f32 v137, null, v134, v134, v135
	v_div_scale_f32 v145, vcc_lo, v135, v134, v135
	v_rcp_f32_e32 v143, v137
	v_nop
	s_delay_alu instid0(TRANS32_DEP_1) | instskip(NEXT) | instid1(VALU_DEP_1)
	v_fma_f32 v144, -v137, v143, 1.0
	v_fmac_f32_e32 v143, v144, v143
	s_delay_alu instid0(VALU_DEP_1) | instskip(NEXT) | instid1(VALU_DEP_1)
	v_mul_f32_e32 v144, v145, v143
	v_fma_f32 v146, -v137, v144, v145
	s_delay_alu instid0(VALU_DEP_1) | instskip(NEXT) | instid1(VALU_DEP_1)
	v_fmac_f32_e32 v144, v146, v143
	v_fma_f32 v137, -v137, v144, v145
	s_delay_alu instid0(VALU_DEP_1) | instskip(NEXT) | instid1(VALU_DEP_1)
	v_div_fmas_f32 v137, v137, v143, v144
	v_div_fixup_f32 v137, v137, v134, v135
	s_delay_alu instid0(VALU_DEP_1) | instskip(NEXT) | instid1(VALU_DEP_1)
	v_fmac_f32_e32 v134, v135, v137
	v_div_scale_f32 v135, null, v134, v134, 1.0
	s_delay_alu instid0(VALU_DEP_1) | instskip(SKIP_1) | instid1(TRANS32_DEP_1)
	v_rcp_f32_e32 v143, v135
	v_nop
	v_fma_f32 v144, -v135, v143, 1.0
	s_delay_alu instid0(VALU_DEP_1) | instskip(SKIP_1) | instid1(VALU_DEP_1)
	v_fmac_f32_e32 v143, v144, v143
	v_div_scale_f32 v144, vcc_lo, 1.0, v134, 1.0
	v_mul_f32_e32 v145, v144, v143
	s_delay_alu instid0(VALU_DEP_1) | instskip(NEXT) | instid1(VALU_DEP_1)
	v_fma_f32 v146, -v135, v145, v144
	v_fmac_f32_e32 v145, v146, v143
	s_delay_alu instid0(VALU_DEP_1) | instskip(NEXT) | instid1(VALU_DEP_1)
	v_fma_f32 v135, -v135, v145, v144
	v_div_fmas_f32 v135, v135, v143, v145
	s_delay_alu instid0(VALU_DEP_1) | instskip(NEXT) | instid1(VALU_DEP_1)
	v_div_fixup_f32 v134, v135, v134, 1.0
	v_mul_f32_e64 v135, v137, -v134
.LBB126_1038:
	s_or_b32 exec_lo, exec_lo, s1
.LBB126_1039:
	s_delay_alu instid0(SALU_CYCLE_1) | instskip(NEXT) | instid1(SALU_CYCLE_1)
	s_or_b32 exec_lo, exec_lo, s0
	s_mov_b32 s0, exec_lo
	v_cmpx_ne_u32_e64 v142, v136
	s_xor_b32 s0, exec_lo, s0
	s_cbranch_execz .LBB126_1045
; %bb.1040:
	s_mov_b32 s1, exec_lo
	v_cmpx_eq_u32_e32 49, v142
	s_cbranch_execz .LBB126_1044
; %bb.1041:
	v_cmp_ne_u32_e32 vcc_lo, 49, v136
	s_xor_b32 s12, s16, -1
	s_delay_alu instid0(SALU_CYCLE_1) | instskip(NEXT) | instid1(SALU_CYCLE_1)
	s_and_b32 s13, s12, vcc_lo
	s_and_saveexec_b32 s12, s13
	s_cbranch_execz .LBB126_1043
; %bb.1042:
	v_ashrrev_i32_e32 v137, 31, v136
	s_delay_alu instid0(VALU_DEP_1)
	v_lshl_add_u64 v[142:143], v[136:137], 2, v[4:5]
	s_clause 0x1
	global_load_b32 v137, v[142:143], off
	global_load_b32 v141, v[4:5], off offset:196
	s_wait_loadcnt 0x1
	global_store_b32 v[4:5], v137, off offset:196
	s_wait_loadcnt 0x0
	global_store_b32 v[142:143], v141, off
.LBB126_1043:
	s_wait_xcnt 0x0
	s_or_b32 exec_lo, exec_lo, s12
	v_dual_mov_b32 v142, v136 :: v_dual_mov_b32 v141, v136
.LBB126_1044:
	s_or_b32 exec_lo, exec_lo, s1
.LBB126_1045:
	s_and_not1_saveexec_b32 s0, s0
	s_cbranch_execz .LBB126_1047
; %bb.1046:
	v_dual_mov_b32 v136, v62 :: v_dual_mov_b32 v137, v63
	v_dual_mov_b32 v142, v16 :: v_dual_mov_b32 v143, v17
	;; [unrolled: 1-line block ×4, first 2 shown]
	ds_store_2addr_b64 v138, v[136:137], v[142:143] offset0:50 offset1:51
	ds_store_2addr_b64 v138, v[144:145], v[146:147] offset0:52 offset1:53
	v_dual_mov_b32 v136, v46 :: v_dual_mov_b32 v137, v47
	v_dual_mov_b32 v144, v8 :: v_dual_mov_b32 v145, v9
	;; [unrolled: 1-line block ×9, first 2 shown]
	v_mov_b32_e32 v159, v11
	ds_store_2addr_b64 v138, v[136:137], v[144:145] offset0:54 offset1:55
	ds_store_2addr_b64 v138, v[146:147], v[148:149] offset0:56 offset1:57
	ds_store_2addr_b64 v138, v[150:151], v[152:153] offset0:58 offset1:59
	ds_store_2addr_b64 v138, v[154:155], v[156:157] offset0:60 offset1:61
	ds_store_2addr_b64 v138, v[158:159], v[132:133] offset0:62 offset1:63
.LBB126_1047:
	s_or_b32 exec_lo, exec_lo, s0
	s_delay_alu instid0(SALU_CYCLE_1)
	s_mov_b32 s0, exec_lo
	s_wait_storecnt_dscnt 0x0
	s_barrier_signal -1
	s_barrier_wait -1
	v_cmpx_lt_i32_e32 49, v142
	s_cbranch_execz .LBB126_1049
; %bb.1048:
	v_pk_mul_f32 v[136:137], v[134:135], v[52:53] op_sel:[1,1] op_sel_hi:[0,1]
	s_delay_alu instid0(VALU_DEP_1)
	v_pk_fma_f32 v[144:145], v[134:135], v[52:53], v[136:137] op_sel_hi:[1,0,1] neg_lo:[0,0,1] neg_hi:[0,0,1]
	v_pk_fma_f32 v[146:147], v[134:135], v[52:53], v[136:137] op_sel_hi:[1,0,1]
	ds_load_2addr_b64 v[134:137], v138 offset0:50 offset1:51
	v_dual_mov_b32 v52, v144 :: v_dual_mov_b32 v53, v147
	s_wait_dscnt 0x0
	v_pk_mul_f32 v[148:149], v[134:135], v[146:147] op_sel:[0,1]
	s_delay_alu instid0(VALU_DEP_1) | instskip(SKIP_1) | instid1(VALU_DEP_1)
	v_pk_fma_f32 v[150:151], v[134:135], v[144:145], v[148:149] op_sel:[0,0,1] op_sel_hi:[1,1,0] neg_lo:[0,0,1] neg_hi:[0,0,1]
	v_pk_fma_f32 v[134:135], v[134:135], v[144:145], v[148:149] op_sel:[0,0,1] op_sel_hi:[1,0,0]
	v_mov_b32_e32 v151, v135
	v_pk_mul_f32 v[134:135], v[136:137], v[146:147] op_sel:[0,1]
	s_delay_alu instid0(VALU_DEP_1) | instskip(SKIP_1) | instid1(VALU_DEP_1)
	v_pk_fma_f32 v[148:149], v[136:137], v[144:145], v[134:135] op_sel:[0,0,1] op_sel_hi:[1,1,0] neg_lo:[0,0,1] neg_hi:[0,0,1]
	v_pk_fma_f32 v[134:135], v[136:137], v[144:145], v[134:135] op_sel:[0,0,1] op_sel_hi:[1,0,0]
	v_mov_b32_e32 v149, v135
	ds_load_2addr_b64 v[134:137], v138 offset0:52 offset1:53
	v_pk_add_f32 v[62:63], v[62:63], v[150:151] neg_lo:[0,1] neg_hi:[0,1]
	v_pk_add_f32 v[16:17], v[16:17], v[148:149] neg_lo:[0,1] neg_hi:[0,1]
	s_wait_dscnt 0x0
	v_pk_mul_f32 v[148:149], v[134:135], v[146:147] op_sel:[0,1]
	s_delay_alu instid0(VALU_DEP_1) | instskip(SKIP_2) | instid1(VALU_DEP_2)
	v_pk_fma_f32 v[150:151], v[134:135], v[144:145], v[148:149] op_sel:[0,0,1] op_sel_hi:[1,1,0] neg_lo:[0,0,1] neg_hi:[0,0,1]
	v_pk_fma_f32 v[134:135], v[134:135], v[144:145], v[148:149] op_sel:[0,0,1] op_sel_hi:[1,0,0]
	v_dual_mul_f32 v148, v137, v147 :: v_dual_mov_b32 v134, v137
	v_dual_mov_b32 v151, v135 :: v_dual_mov_b32 v135, v136
	s_delay_alu instid0(VALU_DEP_2) | instskip(SKIP_1) | instid1(VALU_DEP_3)
	v_pk_fma_f32 v[148:149], v[136:137], v[52:53], v[148:149] op_sel_hi:[1,1,0] neg_lo:[0,0,1] neg_hi:[0,0,1]
	v_mul_f32_e32 v136, v137, v144
	v_pk_add_f32 v[48:49], v[48:49], v[150:151] neg_lo:[0,1] neg_hi:[0,1]
	s_delay_alu instid0(VALU_DEP_2) | instskip(NEXT) | instid1(VALU_DEP_1)
	v_pk_fma_f32 v[134:135], v[134:135], v[52:53], v[136:137] op_sel_hi:[1,1,0]
	v_mov_b32_e32 v149, v135
	ds_load_2addr_b64 v[134:137], v138 offset0:54 offset1:55
	v_pk_add_f32 v[42:43], v[42:43], v[148:149] neg_lo:[0,1] neg_hi:[0,1]
	s_wait_dscnt 0x0
	v_pk_mul_f32 v[148:149], v[134:135], v[146:147] op_sel:[0,1]
	s_delay_alu instid0(VALU_DEP_1) | instskip(SKIP_1) | instid1(VALU_DEP_1)
	v_pk_fma_f32 v[150:151], v[134:135], v[144:145], v[148:149] op_sel:[0,0,1] op_sel_hi:[1,1,0] neg_lo:[0,0,1] neg_hi:[0,0,1]
	v_pk_fma_f32 v[134:135], v[134:135], v[144:145], v[148:149] op_sel:[0,0,1] op_sel_hi:[1,0,0]
	v_mov_b32_e32 v151, v135
	v_pk_mul_f32 v[134:135], v[136:137], v[146:147] op_sel:[0,1]
	s_delay_alu instid0(VALU_DEP_1) | instskip(SKIP_1) | instid1(VALU_DEP_1)
	v_pk_fma_f32 v[148:149], v[136:137], v[144:145], v[134:135] op_sel:[0,0,1] op_sel_hi:[1,1,0] neg_lo:[0,0,1] neg_hi:[0,0,1]
	v_pk_fma_f32 v[134:135], v[136:137], v[144:145], v[134:135] op_sel:[0,0,1] op_sel_hi:[1,0,0]
	v_mov_b32_e32 v149, v135
	ds_load_2addr_b64 v[134:137], v138 offset0:56 offset1:57
	v_pk_add_f32 v[46:47], v[46:47], v[150:151] neg_lo:[0,1] neg_hi:[0,1]
	v_pk_add_f32 v[8:9], v[8:9], v[148:149] neg_lo:[0,1] neg_hi:[0,1]
	s_wait_dscnt 0x0
	v_pk_mul_f32 v[148:149], v[134:135], v[146:147] op_sel:[0,1]
	s_delay_alu instid0(VALU_DEP_1) | instskip(SKIP_1) | instid1(VALU_DEP_1)
	v_pk_fma_f32 v[150:151], v[134:135], v[144:145], v[148:149] op_sel:[0,0,1] op_sel_hi:[1,1,0] neg_lo:[0,0,1] neg_hi:[0,0,1]
	v_pk_fma_f32 v[134:135], v[134:135], v[144:145], v[148:149] op_sel:[0,0,1] op_sel_hi:[1,0,0]
	v_mov_b32_e32 v151, v135
	v_pk_mul_f32 v[134:135], v[136:137], v[146:147] op_sel:[0,1]
	s_delay_alu instid0(VALU_DEP_1) | instskip(SKIP_1) | instid1(VALU_DEP_1)
	v_pk_fma_f32 v[148:149], v[136:137], v[144:145], v[134:135] op_sel:[0,0,1] op_sel_hi:[1,1,0] neg_lo:[0,0,1] neg_hi:[0,0,1]
	v_pk_fma_f32 v[134:135], v[136:137], v[144:145], v[134:135] op_sel:[0,0,1] op_sel_hi:[1,0,0]
	v_mov_b32_e32 v149, v135
	ds_load_2addr_b64 v[134:137], v138 offset0:58 offset1:59
	v_pk_add_f32 v[32:33], v[32:33], v[150:151] neg_lo:[0,1] neg_hi:[0,1]
	v_pk_add_f32 v[28:29], v[28:29], v[148:149] neg_lo:[0,1] neg_hi:[0,1]
	s_wait_dscnt 0x0
	v_dual_mul_f32 v148, v135, v147 :: v_dual_mul_f32 v150, v135, v144
	s_delay_alu instid0(VALU_DEP_1) | instskip(NEXT) | instid1(VALU_DEP_2)
	v_pk_fma_f32 v[148:149], v[134:135], v[52:53], v[148:149] op_sel_hi:[1,1,0] neg_lo:[0,0,1] neg_hi:[0,0,1]
	v_pk_fma_f32 v[134:135], v[134:135], v[52:53], v[150:151] op_sel:[1,0,0] op_sel_hi:[0,1,0]
	s_delay_alu instid0(VALU_DEP_1) | instskip(SKIP_1) | instid1(VALU_DEP_2)
	v_mov_b32_e32 v149, v135
	v_pk_mul_f32 v[134:135], v[136:137], v[146:147] op_sel:[0,1]
	v_pk_add_f32 v[30:31], v[30:31], v[148:149] neg_lo:[0,1] neg_hi:[0,1]
	s_delay_alu instid0(VALU_DEP_2) | instskip(SKIP_1) | instid1(VALU_DEP_1)
	v_pk_fma_f32 v[148:149], v[136:137], v[144:145], v[134:135] op_sel:[0,0,1] op_sel_hi:[1,1,0] neg_lo:[0,0,1] neg_hi:[0,0,1]
	v_pk_fma_f32 v[134:135], v[136:137], v[144:145], v[134:135] op_sel:[0,0,1] op_sel_hi:[1,0,0]
	v_mov_b32_e32 v149, v135
	ds_load_2addr_b64 v[134:137], v138 offset0:60 offset1:61
	v_pk_add_f32 v[6:7], v[6:7], v[148:149] neg_lo:[0,1] neg_hi:[0,1]
	s_wait_dscnt 0x0
	v_pk_mul_f32 v[148:149], v[134:135], v[146:147] op_sel:[0,1]
	s_delay_alu instid0(VALU_DEP_1) | instskip(SKIP_1) | instid1(VALU_DEP_1)
	v_pk_fma_f32 v[150:151], v[134:135], v[144:145], v[148:149] op_sel:[0,0,1] op_sel_hi:[1,1,0] neg_lo:[0,0,1] neg_hi:[0,0,1]
	v_pk_fma_f32 v[134:135], v[134:135], v[144:145], v[148:149] op_sel:[0,0,1] op_sel_hi:[1,0,0]
	v_mov_b32_e32 v151, v135
	v_pk_mul_f32 v[134:135], v[136:137], v[146:147] op_sel:[0,1]
	s_delay_alu instid0(VALU_DEP_2) | instskip(NEXT) | instid1(VALU_DEP_2)
	v_pk_add_f32 v[20:21], v[20:21], v[150:151] neg_lo:[0,1] neg_hi:[0,1]
	v_pk_fma_f32 v[148:149], v[136:137], v[144:145], v[134:135] op_sel:[0,0,1] op_sel_hi:[1,1,0] neg_lo:[0,0,1] neg_hi:[0,0,1]
	v_pk_fma_f32 v[134:135], v[136:137], v[144:145], v[134:135] op_sel:[0,0,1] op_sel_hi:[1,0,0]
	s_delay_alu instid0(VALU_DEP_1) | instskip(SKIP_4) | instid1(VALU_DEP_1)
	v_mov_b32_e32 v149, v135
	ds_load_2addr_b64 v[134:137], v138 offset0:62 offset1:63
	v_pk_add_f32 v[14:15], v[14:15], v[148:149] neg_lo:[0,1] neg_hi:[0,1]
	s_wait_dscnt 0x0
	v_pk_mul_f32 v[148:149], v[134:135], v[146:147] op_sel:[0,1]
	v_pk_fma_f32 v[150:151], v[134:135], v[144:145], v[148:149] op_sel:[0,0,1] op_sel_hi:[1,1,0] neg_lo:[0,0,1] neg_hi:[0,0,1]
	v_pk_fma_f32 v[134:135], v[134:135], v[144:145], v[148:149] op_sel:[0,0,1] op_sel_hi:[1,0,0]
	s_delay_alu instid0(VALU_DEP_1) | instskip(SKIP_1) | instid1(VALU_DEP_2)
	v_mov_b32_e32 v151, v135
	v_pk_mul_f32 v[134:135], v[136:137], v[146:147] op_sel:[0,1]
	v_pk_add_f32 v[10:11], v[10:11], v[150:151] neg_lo:[0,1] neg_hi:[0,1]
	s_delay_alu instid0(VALU_DEP_2) | instskip(SKIP_1) | instid1(VALU_DEP_1)
	v_pk_fma_f32 v[146:147], v[136:137], v[144:145], v[134:135] op_sel:[0,0,1] op_sel_hi:[1,1,0] neg_lo:[0,0,1] neg_hi:[0,0,1]
	v_pk_fma_f32 v[134:135], v[136:137], v[144:145], v[134:135] op_sel:[0,0,1] op_sel_hi:[1,0,0]
	v_mov_b32_e32 v147, v135
	s_delay_alu instid0(VALU_DEP_1)
	v_pk_add_f32 v[132:133], v[132:133], v[146:147] neg_lo:[0,1] neg_hi:[0,1]
.LBB126_1049:
	s_or_b32 exec_lo, exec_lo, s0
	v_lshl_add_u32 v134, v142, 3, v138
	s_barrier_signal -1
	s_barrier_wait -1
	ds_store_b64 v134, v[62:63]
	s_wait_dscnt 0x0
	s_barrier_signal -1
	s_barrier_wait -1
	ds_load_b64 v[134:135], v138 offset:400
	v_mov_b32_e32 v136, 50
	s_cmp_lt_i32 s18, 52
	s_cbranch_scc1 .LBB126_1052
; %bb.1050:
	v_add3_u32 v137, v139, 0, 0x198
	v_mov_b32_e32 v136, 50
	s_mov_b32 s0, 51
.LBB126_1051:                           ; =>This Inner Loop Header: Depth=1
	ds_load_b64 v[144:145], v137
	s_wait_dscnt 0x1
	v_cmp_gt_f32_e32 vcc_lo, 0, v134
	v_cndmask_b32_e64 v146, v134, -v134, vcc_lo
	v_cmp_gt_f32_e32 vcc_lo, 0, v135
	v_cndmask_b32_e64 v148, v135, -v135, vcc_lo
	s_wait_dscnt 0x0
	v_cmp_gt_f32_e32 vcc_lo, 0, v144
	v_cndmask_b32_e64 v147, v144, -v144, vcc_lo
	v_cmp_gt_f32_e32 vcc_lo, 0, v145
	v_cndmask_b32_e64 v149, v145, -v145, vcc_lo
	s_delay_alu instid0(VALU_DEP_1) | instskip(NEXT) | instid1(VALU_DEP_1)
	v_pk_add_f32 v[146:147], v[146:147], v[148:149]
	v_cmp_lt_f32_e32 vcc_lo, v146, v147
	v_dual_cndmask_b32 v134, v134, v144 :: v_dual_add_nc_u32 v137, 8, v137
	v_cndmask_b32_e32 v135, v135, v145, vcc_lo
	v_cndmask_b32_e64 v136, v136, s0, vcc_lo
	s_add_co_i32 s0, s0, 1
	s_delay_alu instid0(SALU_CYCLE_1)
	s_cmp_lg_u32 s18, s0
	s_cbranch_scc1 .LBB126_1051
.LBB126_1052:
	s_wait_dscnt 0x0
	v_cmp_eq_f32_e32 vcc_lo, 0, v134
	v_cmp_eq_f32_e64 s0, 0, v135
	s_and_b32 s0, vcc_lo, s0
	s_delay_alu instid0(SALU_CYCLE_1) | instskip(NEXT) | instid1(SALU_CYCLE_1)
	s_and_saveexec_b32 s1, s0
	s_xor_b32 s0, exec_lo, s1
; %bb.1053:
	v_cmp_ne_u32_e32 vcc_lo, 0, v140
	v_cndmask_b32_e32 v140, 51, v140, vcc_lo
; %bb.1054:
	s_and_not1_saveexec_b32 s0, s0
	s_cbranch_execz .LBB126_1060
; %bb.1055:
	v_cmp_ngt_f32_e64 s1, |v134|, |v135|
	s_and_saveexec_b32 s12, s1
	s_delay_alu instid0(SALU_CYCLE_1)
	s_xor_b32 s1, exec_lo, s12
	s_cbranch_execz .LBB126_1057
; %bb.1056:
	v_div_scale_f32 v137, null, v135, v135, v134
	v_div_scale_f32 v145, vcc_lo, v134, v135, v134
	s_delay_alu instid0(VALU_DEP_2) | instskip(SKIP_1) | instid1(TRANS32_DEP_1)
	v_rcp_f32_e32 v143, v137
	v_nop
	v_fma_f32 v144, -v137, v143, 1.0
	s_delay_alu instid0(VALU_DEP_1) | instskip(NEXT) | instid1(VALU_DEP_1)
	v_fmac_f32_e32 v143, v144, v143
	v_mul_f32_e32 v144, v145, v143
	s_delay_alu instid0(VALU_DEP_1) | instskip(NEXT) | instid1(VALU_DEP_1)
	v_fma_f32 v146, -v137, v144, v145
	v_fmac_f32_e32 v144, v146, v143
	s_delay_alu instid0(VALU_DEP_1) | instskip(NEXT) | instid1(VALU_DEP_1)
	v_fma_f32 v137, -v137, v144, v145
	v_div_fmas_f32 v137, v137, v143, v144
	s_delay_alu instid0(VALU_DEP_1) | instskip(NEXT) | instid1(VALU_DEP_1)
	v_div_fixup_f32 v137, v137, v135, v134
	v_fmac_f32_e32 v135, v134, v137
	s_delay_alu instid0(VALU_DEP_1) | instskip(SKIP_1) | instid1(VALU_DEP_2)
	v_div_scale_f32 v134, null, v135, v135, 1.0
	v_div_scale_f32 v145, vcc_lo, 1.0, v135, 1.0
	v_rcp_f32_e32 v143, v134
	v_nop
	s_delay_alu instid0(TRANS32_DEP_1) | instskip(NEXT) | instid1(VALU_DEP_1)
	v_fma_f32 v144, -v134, v143, 1.0
	v_fmac_f32_e32 v143, v144, v143
	s_delay_alu instid0(VALU_DEP_1) | instskip(NEXT) | instid1(VALU_DEP_1)
	v_mul_f32_e32 v144, v145, v143
	v_fma_f32 v146, -v134, v144, v145
	s_delay_alu instid0(VALU_DEP_1) | instskip(NEXT) | instid1(VALU_DEP_1)
	v_fmac_f32_e32 v144, v146, v143
	v_fma_f32 v134, -v134, v144, v145
	s_delay_alu instid0(VALU_DEP_1) | instskip(NEXT) | instid1(VALU_DEP_1)
	v_div_fmas_f32 v134, v134, v143, v144
	v_div_fixup_f32 v135, v134, v135, 1.0
	s_delay_alu instid0(VALU_DEP_1)
	v_mul_f32_e32 v134, v137, v135
	v_xor_b32_e32 v135, 0x80000000, v135
.LBB126_1057:
	s_and_not1_saveexec_b32 s1, s1
	s_cbranch_execz .LBB126_1059
; %bb.1058:
	s_delay_alu instid0(VALU_DEP_1) | instskip(SKIP_1) | instid1(VALU_DEP_2)
	v_div_scale_f32 v137, null, v134, v134, v135
	v_div_scale_f32 v145, vcc_lo, v135, v134, v135
	v_rcp_f32_e32 v143, v137
	v_nop
	s_delay_alu instid0(TRANS32_DEP_1) | instskip(NEXT) | instid1(VALU_DEP_1)
	v_fma_f32 v144, -v137, v143, 1.0
	v_fmac_f32_e32 v143, v144, v143
	s_delay_alu instid0(VALU_DEP_1) | instskip(NEXT) | instid1(VALU_DEP_1)
	v_mul_f32_e32 v144, v145, v143
	v_fma_f32 v146, -v137, v144, v145
	s_delay_alu instid0(VALU_DEP_1) | instskip(NEXT) | instid1(VALU_DEP_1)
	v_fmac_f32_e32 v144, v146, v143
	v_fma_f32 v137, -v137, v144, v145
	s_delay_alu instid0(VALU_DEP_1) | instskip(NEXT) | instid1(VALU_DEP_1)
	v_div_fmas_f32 v137, v137, v143, v144
	v_div_fixup_f32 v137, v137, v134, v135
	s_delay_alu instid0(VALU_DEP_1) | instskip(NEXT) | instid1(VALU_DEP_1)
	v_fmac_f32_e32 v134, v135, v137
	v_div_scale_f32 v135, null, v134, v134, 1.0
	s_delay_alu instid0(VALU_DEP_1) | instskip(SKIP_1) | instid1(TRANS32_DEP_1)
	v_rcp_f32_e32 v143, v135
	v_nop
	v_fma_f32 v144, -v135, v143, 1.0
	s_delay_alu instid0(VALU_DEP_1) | instskip(SKIP_1) | instid1(VALU_DEP_1)
	v_fmac_f32_e32 v143, v144, v143
	v_div_scale_f32 v144, vcc_lo, 1.0, v134, 1.0
	v_mul_f32_e32 v145, v144, v143
	s_delay_alu instid0(VALU_DEP_1) | instskip(NEXT) | instid1(VALU_DEP_1)
	v_fma_f32 v146, -v135, v145, v144
	v_fmac_f32_e32 v145, v146, v143
	s_delay_alu instid0(VALU_DEP_1) | instskip(NEXT) | instid1(VALU_DEP_1)
	v_fma_f32 v135, -v135, v145, v144
	v_div_fmas_f32 v135, v135, v143, v145
	s_delay_alu instid0(VALU_DEP_1) | instskip(NEXT) | instid1(VALU_DEP_1)
	v_div_fixup_f32 v134, v135, v134, 1.0
	v_mul_f32_e64 v135, v137, -v134
.LBB126_1059:
	s_or_b32 exec_lo, exec_lo, s1
.LBB126_1060:
	s_delay_alu instid0(SALU_CYCLE_1) | instskip(NEXT) | instid1(SALU_CYCLE_1)
	s_or_b32 exec_lo, exec_lo, s0
	s_mov_b32 s0, exec_lo
	v_cmpx_ne_u32_e64 v142, v136
	s_xor_b32 s0, exec_lo, s0
	s_cbranch_execz .LBB126_1066
; %bb.1061:
	s_mov_b32 s1, exec_lo
	v_cmpx_eq_u32_e32 50, v142
	s_cbranch_execz .LBB126_1065
; %bb.1062:
	v_cmp_ne_u32_e32 vcc_lo, 50, v136
	s_xor_b32 s12, s16, -1
	s_delay_alu instid0(SALU_CYCLE_1) | instskip(NEXT) | instid1(SALU_CYCLE_1)
	s_and_b32 s13, s12, vcc_lo
	s_and_saveexec_b32 s12, s13
	s_cbranch_execz .LBB126_1064
; %bb.1063:
	v_ashrrev_i32_e32 v137, 31, v136
	s_delay_alu instid0(VALU_DEP_1)
	v_lshl_add_u64 v[142:143], v[136:137], 2, v[4:5]
	s_clause 0x1
	global_load_b32 v137, v[142:143], off
	global_load_b32 v141, v[4:5], off offset:200
	s_wait_loadcnt 0x1
	global_store_b32 v[4:5], v137, off offset:200
	s_wait_loadcnt 0x0
	global_store_b32 v[142:143], v141, off
.LBB126_1064:
	s_wait_xcnt 0x0
	s_or_b32 exec_lo, exec_lo, s12
	v_dual_mov_b32 v142, v136 :: v_dual_mov_b32 v141, v136
.LBB126_1065:
	s_or_b32 exec_lo, exec_lo, s1
.LBB126_1066:
	s_and_not1_saveexec_b32 s0, s0
	s_cbranch_execz .LBB126_1068
; %bb.1067:
	v_mov_b32_e32 v142, 50
	ds_store_2addr_b64 v138, v[16:17], v[48:49] offset0:51 offset1:52
	ds_store_2addr_b64 v138, v[42:43], v[46:47] offset0:53 offset1:54
	;; [unrolled: 1-line block ×6, first 2 shown]
	ds_store_b64 v138, v[132:133] offset:504
.LBB126_1068:
	s_or_b32 exec_lo, exec_lo, s0
	s_delay_alu instid0(SALU_CYCLE_1)
	s_mov_b32 s0, exec_lo
	s_wait_storecnt_dscnt 0x0
	s_barrier_signal -1
	s_barrier_wait -1
	v_cmpx_lt_i32_e32 50, v142
	s_cbranch_execz .LBB126_1070
; %bb.1069:
	v_pk_mul_f32 v[136:137], v[134:135], v[62:63] op_sel:[1,1] op_sel_hi:[0,1]
	s_delay_alu instid0(VALU_DEP_1)
	v_pk_fma_f32 v[144:145], v[134:135], v[62:63], v[136:137] op_sel_hi:[1,0,1] neg_lo:[0,0,1] neg_hi:[0,0,1]
	v_pk_fma_f32 v[146:147], v[134:135], v[62:63], v[136:137] op_sel_hi:[1,0,1]
	ds_load_2addr_b64 v[134:137], v138 offset0:51 offset1:52
	v_dual_mov_b32 v62, v144 :: v_dual_mov_b32 v63, v147
	s_wait_dscnt 0x0
	v_pk_mul_f32 v[148:149], v[134:135], v[146:147] op_sel:[0,1]
	s_delay_alu instid0(VALU_DEP_1) | instskip(SKIP_1) | instid1(VALU_DEP_1)
	v_pk_fma_f32 v[150:151], v[134:135], v[144:145], v[148:149] op_sel:[0,0,1] op_sel_hi:[1,1,0] neg_lo:[0,0,1] neg_hi:[0,0,1]
	v_pk_fma_f32 v[134:135], v[134:135], v[144:145], v[148:149] op_sel:[0,0,1] op_sel_hi:[1,0,0]
	v_mov_b32_e32 v151, v135
	v_pk_mul_f32 v[134:135], v[136:137], v[146:147] op_sel:[0,1]
	s_delay_alu instid0(VALU_DEP_1) | instskip(SKIP_1) | instid1(VALU_DEP_1)
	v_pk_fma_f32 v[148:149], v[136:137], v[144:145], v[134:135] op_sel:[0,0,1] op_sel_hi:[1,1,0] neg_lo:[0,0,1] neg_hi:[0,0,1]
	v_pk_fma_f32 v[134:135], v[136:137], v[144:145], v[134:135] op_sel:[0,0,1] op_sel_hi:[1,0,0]
	v_mov_b32_e32 v149, v135
	ds_load_2addr_b64 v[134:137], v138 offset0:53 offset1:54
	v_pk_add_f32 v[16:17], v[16:17], v[150:151] neg_lo:[0,1] neg_hi:[0,1]
	v_pk_add_f32 v[48:49], v[48:49], v[148:149] neg_lo:[0,1] neg_hi:[0,1]
	s_wait_dscnt 0x0
	v_pk_mul_f32 v[148:149], v[134:135], v[146:147] op_sel:[0,1]
	s_delay_alu instid0(VALU_DEP_1) | instskip(SKIP_2) | instid1(VALU_DEP_2)
	v_pk_fma_f32 v[150:151], v[134:135], v[144:145], v[148:149] op_sel:[0,0,1] op_sel_hi:[1,1,0] neg_lo:[0,0,1] neg_hi:[0,0,1]
	v_pk_fma_f32 v[134:135], v[134:135], v[144:145], v[148:149] op_sel:[0,0,1] op_sel_hi:[1,0,0]
	v_dual_mul_f32 v148, v137, v147 :: v_dual_mov_b32 v134, v137
	v_dual_mov_b32 v151, v135 :: v_dual_mov_b32 v135, v136
	s_delay_alu instid0(VALU_DEP_2) | instskip(SKIP_1) | instid1(VALU_DEP_3)
	v_pk_fma_f32 v[148:149], v[136:137], v[62:63], v[148:149] op_sel_hi:[1,1,0] neg_lo:[0,0,1] neg_hi:[0,0,1]
	v_mul_f32_e32 v136, v137, v144
	v_pk_add_f32 v[42:43], v[42:43], v[150:151] neg_lo:[0,1] neg_hi:[0,1]
	s_delay_alu instid0(VALU_DEP_2) | instskip(NEXT) | instid1(VALU_DEP_1)
	v_pk_fma_f32 v[134:135], v[134:135], v[62:63], v[136:137] op_sel_hi:[1,1,0]
	v_mov_b32_e32 v149, v135
	ds_load_2addr_b64 v[134:137], v138 offset0:55 offset1:56
	v_pk_add_f32 v[46:47], v[46:47], v[148:149] neg_lo:[0,1] neg_hi:[0,1]
	s_wait_dscnt 0x0
	v_pk_mul_f32 v[148:149], v[134:135], v[146:147] op_sel:[0,1]
	s_delay_alu instid0(VALU_DEP_1) | instskip(SKIP_1) | instid1(VALU_DEP_1)
	v_pk_fma_f32 v[150:151], v[134:135], v[144:145], v[148:149] op_sel:[0,0,1] op_sel_hi:[1,1,0] neg_lo:[0,0,1] neg_hi:[0,0,1]
	v_pk_fma_f32 v[134:135], v[134:135], v[144:145], v[148:149] op_sel:[0,0,1] op_sel_hi:[1,0,0]
	v_mov_b32_e32 v151, v135
	v_pk_mul_f32 v[134:135], v[136:137], v[146:147] op_sel:[0,1]
	s_delay_alu instid0(VALU_DEP_1) | instskip(SKIP_1) | instid1(VALU_DEP_1)
	v_pk_fma_f32 v[148:149], v[136:137], v[144:145], v[134:135] op_sel:[0,0,1] op_sel_hi:[1,1,0] neg_lo:[0,0,1] neg_hi:[0,0,1]
	v_pk_fma_f32 v[134:135], v[136:137], v[144:145], v[134:135] op_sel:[0,0,1] op_sel_hi:[1,0,0]
	v_mov_b32_e32 v149, v135
	ds_load_2addr_b64 v[134:137], v138 offset0:57 offset1:58
	v_pk_add_f32 v[8:9], v[8:9], v[150:151] neg_lo:[0,1] neg_hi:[0,1]
	v_pk_add_f32 v[32:33], v[32:33], v[148:149] neg_lo:[0,1] neg_hi:[0,1]
	s_wait_dscnt 0x0
	v_pk_mul_f32 v[148:149], v[134:135], v[146:147] op_sel:[0,1]
	s_delay_alu instid0(VALU_DEP_1) | instskip(SKIP_1) | instid1(VALU_DEP_1)
	v_pk_fma_f32 v[150:151], v[134:135], v[144:145], v[148:149] op_sel:[0,0,1] op_sel_hi:[1,1,0] neg_lo:[0,0,1] neg_hi:[0,0,1]
	v_pk_fma_f32 v[134:135], v[134:135], v[144:145], v[148:149] op_sel:[0,0,1] op_sel_hi:[1,0,0]
	v_mov_b32_e32 v151, v135
	v_pk_mul_f32 v[134:135], v[136:137], v[146:147] op_sel:[0,1]
	s_delay_alu instid0(VALU_DEP_1) | instskip(SKIP_1) | instid1(VALU_DEP_1)
	v_pk_fma_f32 v[148:149], v[136:137], v[144:145], v[134:135] op_sel:[0,0,1] op_sel_hi:[1,1,0] neg_lo:[0,0,1] neg_hi:[0,0,1]
	v_pk_fma_f32 v[134:135], v[136:137], v[144:145], v[134:135] op_sel:[0,0,1] op_sel_hi:[1,0,0]
	v_mov_b32_e32 v149, v135
	ds_load_2addr_b64 v[134:137], v138 offset0:59 offset1:60
	v_pk_add_f32 v[28:29], v[28:29], v[150:151] neg_lo:[0,1] neg_hi:[0,1]
	v_pk_add_f32 v[30:31], v[30:31], v[148:149] neg_lo:[0,1] neg_hi:[0,1]
	s_wait_dscnt 0x0
	v_dual_mul_f32 v148, v135, v147 :: v_dual_mul_f32 v150, v135, v144
	s_delay_alu instid0(VALU_DEP_1) | instskip(NEXT) | instid1(VALU_DEP_2)
	v_pk_fma_f32 v[148:149], v[134:135], v[62:63], v[148:149] op_sel_hi:[1,1,0] neg_lo:[0,0,1] neg_hi:[0,0,1]
	v_pk_fma_f32 v[134:135], v[134:135], v[62:63], v[150:151] op_sel:[1,0,0] op_sel_hi:[0,1,0]
	s_delay_alu instid0(VALU_DEP_1) | instskip(SKIP_1) | instid1(VALU_DEP_2)
	v_mov_b32_e32 v149, v135
	v_pk_mul_f32 v[134:135], v[136:137], v[146:147] op_sel:[0,1]
	v_pk_add_f32 v[6:7], v[6:7], v[148:149] neg_lo:[0,1] neg_hi:[0,1]
	s_delay_alu instid0(VALU_DEP_2) | instskip(SKIP_1) | instid1(VALU_DEP_1)
	v_pk_fma_f32 v[148:149], v[136:137], v[144:145], v[134:135] op_sel:[0,0,1] op_sel_hi:[1,1,0] neg_lo:[0,0,1] neg_hi:[0,0,1]
	v_pk_fma_f32 v[134:135], v[136:137], v[144:145], v[134:135] op_sel:[0,0,1] op_sel_hi:[1,0,0]
	v_mov_b32_e32 v149, v135
	ds_load_2addr_b64 v[134:137], v138 offset0:61 offset1:62
	v_pk_add_f32 v[20:21], v[20:21], v[148:149] neg_lo:[0,1] neg_hi:[0,1]
	s_wait_dscnt 0x0
	v_pk_mul_f32 v[148:149], v[134:135], v[146:147] op_sel:[0,1]
	s_delay_alu instid0(VALU_DEP_1) | instskip(SKIP_1) | instid1(VALU_DEP_1)
	v_pk_fma_f32 v[150:151], v[134:135], v[144:145], v[148:149] op_sel:[0,0,1] op_sel_hi:[1,1,0] neg_lo:[0,0,1] neg_hi:[0,0,1]
	v_pk_fma_f32 v[134:135], v[134:135], v[144:145], v[148:149] op_sel:[0,0,1] op_sel_hi:[1,0,0]
	v_mov_b32_e32 v151, v135
	v_pk_mul_f32 v[134:135], v[136:137], v[146:147] op_sel:[0,1]
	s_delay_alu instid0(VALU_DEP_2) | instskip(NEXT) | instid1(VALU_DEP_2)
	v_pk_add_f32 v[14:15], v[14:15], v[150:151] neg_lo:[0,1] neg_hi:[0,1]
	v_pk_fma_f32 v[148:149], v[136:137], v[144:145], v[134:135] op_sel:[0,0,1] op_sel_hi:[1,1,0] neg_lo:[0,0,1] neg_hi:[0,0,1]
	v_pk_fma_f32 v[134:135], v[136:137], v[144:145], v[134:135] op_sel:[0,0,1] op_sel_hi:[1,0,0]
	s_delay_alu instid0(VALU_DEP_1) | instskip(SKIP_4) | instid1(VALU_DEP_1)
	v_mov_b32_e32 v149, v135
	ds_load_b64 v[134:135], v138 offset:504
	v_pk_add_f32 v[10:11], v[10:11], v[148:149] neg_lo:[0,1] neg_hi:[0,1]
	s_wait_dscnt 0x0
	v_pk_mul_f32 v[136:137], v[134:135], v[146:147] op_sel:[0,1]
	v_pk_fma_f32 v[146:147], v[134:135], v[144:145], v[136:137] op_sel:[0,0,1] op_sel_hi:[1,1,0] neg_lo:[0,0,1] neg_hi:[0,0,1]
	v_pk_fma_f32 v[134:135], v[134:135], v[144:145], v[136:137] op_sel:[0,0,1] op_sel_hi:[1,0,0]
	s_delay_alu instid0(VALU_DEP_1) | instskip(NEXT) | instid1(VALU_DEP_1)
	v_mov_b32_e32 v147, v135
	v_pk_add_f32 v[132:133], v[132:133], v[146:147] neg_lo:[0,1] neg_hi:[0,1]
.LBB126_1070:
	s_or_b32 exec_lo, exec_lo, s0
	v_lshl_add_u32 v134, v142, 3, v138
	s_barrier_signal -1
	s_barrier_wait -1
	ds_store_b64 v134, v[16:17]
	s_wait_dscnt 0x0
	s_barrier_signal -1
	s_barrier_wait -1
	ds_load_b64 v[134:135], v138 offset:408
	v_mov_b32_e32 v136, 51
	s_cmp_lt_i32 s18, 53
	s_cbranch_scc1 .LBB126_1073
; %bb.1071:
	v_add3_u32 v137, v139, 0, 0x1a0
	v_mov_b32_e32 v136, 51
	s_mov_b32 s0, 52
.LBB126_1072:                           ; =>This Inner Loop Header: Depth=1
	ds_load_b64 v[144:145], v137
	s_wait_dscnt 0x1
	v_cmp_gt_f32_e32 vcc_lo, 0, v134
	v_cndmask_b32_e64 v146, v134, -v134, vcc_lo
	v_cmp_gt_f32_e32 vcc_lo, 0, v135
	v_cndmask_b32_e64 v148, v135, -v135, vcc_lo
	s_wait_dscnt 0x0
	v_cmp_gt_f32_e32 vcc_lo, 0, v144
	v_cndmask_b32_e64 v147, v144, -v144, vcc_lo
	v_cmp_gt_f32_e32 vcc_lo, 0, v145
	v_cndmask_b32_e64 v149, v145, -v145, vcc_lo
	s_delay_alu instid0(VALU_DEP_1) | instskip(NEXT) | instid1(VALU_DEP_1)
	v_pk_add_f32 v[146:147], v[146:147], v[148:149]
	v_cmp_lt_f32_e32 vcc_lo, v146, v147
	v_dual_cndmask_b32 v134, v134, v144 :: v_dual_add_nc_u32 v137, 8, v137
	v_cndmask_b32_e32 v135, v135, v145, vcc_lo
	v_cndmask_b32_e64 v136, v136, s0, vcc_lo
	s_add_co_i32 s0, s0, 1
	s_delay_alu instid0(SALU_CYCLE_1)
	s_cmp_lg_u32 s18, s0
	s_cbranch_scc1 .LBB126_1072
.LBB126_1073:
	s_wait_dscnt 0x0
	v_cmp_eq_f32_e32 vcc_lo, 0, v134
	v_cmp_eq_f32_e64 s0, 0, v135
	s_and_b32 s0, vcc_lo, s0
	s_delay_alu instid0(SALU_CYCLE_1) | instskip(NEXT) | instid1(SALU_CYCLE_1)
	s_and_saveexec_b32 s1, s0
	s_xor_b32 s0, exec_lo, s1
; %bb.1074:
	v_cmp_ne_u32_e32 vcc_lo, 0, v140
	v_cndmask_b32_e32 v140, 52, v140, vcc_lo
; %bb.1075:
	s_and_not1_saveexec_b32 s0, s0
	s_cbranch_execz .LBB126_1081
; %bb.1076:
	v_cmp_ngt_f32_e64 s1, |v134|, |v135|
	s_and_saveexec_b32 s12, s1
	s_delay_alu instid0(SALU_CYCLE_1)
	s_xor_b32 s1, exec_lo, s12
	s_cbranch_execz .LBB126_1078
; %bb.1077:
	v_div_scale_f32 v137, null, v135, v135, v134
	v_div_scale_f32 v145, vcc_lo, v134, v135, v134
	s_delay_alu instid0(VALU_DEP_2) | instskip(SKIP_1) | instid1(TRANS32_DEP_1)
	v_rcp_f32_e32 v143, v137
	v_nop
	v_fma_f32 v144, -v137, v143, 1.0
	s_delay_alu instid0(VALU_DEP_1) | instskip(NEXT) | instid1(VALU_DEP_1)
	v_fmac_f32_e32 v143, v144, v143
	v_mul_f32_e32 v144, v145, v143
	s_delay_alu instid0(VALU_DEP_1) | instskip(NEXT) | instid1(VALU_DEP_1)
	v_fma_f32 v146, -v137, v144, v145
	v_fmac_f32_e32 v144, v146, v143
	s_delay_alu instid0(VALU_DEP_1) | instskip(NEXT) | instid1(VALU_DEP_1)
	v_fma_f32 v137, -v137, v144, v145
	v_div_fmas_f32 v137, v137, v143, v144
	s_delay_alu instid0(VALU_DEP_1) | instskip(NEXT) | instid1(VALU_DEP_1)
	v_div_fixup_f32 v137, v137, v135, v134
	v_fmac_f32_e32 v135, v134, v137
	s_delay_alu instid0(VALU_DEP_1) | instskip(SKIP_1) | instid1(VALU_DEP_2)
	v_div_scale_f32 v134, null, v135, v135, 1.0
	v_div_scale_f32 v145, vcc_lo, 1.0, v135, 1.0
	v_rcp_f32_e32 v143, v134
	v_nop
	s_delay_alu instid0(TRANS32_DEP_1) | instskip(NEXT) | instid1(VALU_DEP_1)
	v_fma_f32 v144, -v134, v143, 1.0
	v_fmac_f32_e32 v143, v144, v143
	s_delay_alu instid0(VALU_DEP_1) | instskip(NEXT) | instid1(VALU_DEP_1)
	v_mul_f32_e32 v144, v145, v143
	v_fma_f32 v146, -v134, v144, v145
	s_delay_alu instid0(VALU_DEP_1) | instskip(NEXT) | instid1(VALU_DEP_1)
	v_fmac_f32_e32 v144, v146, v143
	v_fma_f32 v134, -v134, v144, v145
	s_delay_alu instid0(VALU_DEP_1) | instskip(NEXT) | instid1(VALU_DEP_1)
	v_div_fmas_f32 v134, v134, v143, v144
	v_div_fixup_f32 v135, v134, v135, 1.0
	s_delay_alu instid0(VALU_DEP_1)
	v_mul_f32_e32 v134, v137, v135
	v_xor_b32_e32 v135, 0x80000000, v135
.LBB126_1078:
	s_and_not1_saveexec_b32 s1, s1
	s_cbranch_execz .LBB126_1080
; %bb.1079:
	s_delay_alu instid0(VALU_DEP_1) | instskip(SKIP_1) | instid1(VALU_DEP_2)
	v_div_scale_f32 v137, null, v134, v134, v135
	v_div_scale_f32 v145, vcc_lo, v135, v134, v135
	v_rcp_f32_e32 v143, v137
	v_nop
	s_delay_alu instid0(TRANS32_DEP_1) | instskip(NEXT) | instid1(VALU_DEP_1)
	v_fma_f32 v144, -v137, v143, 1.0
	v_fmac_f32_e32 v143, v144, v143
	s_delay_alu instid0(VALU_DEP_1) | instskip(NEXT) | instid1(VALU_DEP_1)
	v_mul_f32_e32 v144, v145, v143
	v_fma_f32 v146, -v137, v144, v145
	s_delay_alu instid0(VALU_DEP_1) | instskip(NEXT) | instid1(VALU_DEP_1)
	v_fmac_f32_e32 v144, v146, v143
	v_fma_f32 v137, -v137, v144, v145
	s_delay_alu instid0(VALU_DEP_1) | instskip(NEXT) | instid1(VALU_DEP_1)
	v_div_fmas_f32 v137, v137, v143, v144
	v_div_fixup_f32 v137, v137, v134, v135
	s_delay_alu instid0(VALU_DEP_1) | instskip(NEXT) | instid1(VALU_DEP_1)
	v_fmac_f32_e32 v134, v135, v137
	v_div_scale_f32 v135, null, v134, v134, 1.0
	s_delay_alu instid0(VALU_DEP_1) | instskip(SKIP_1) | instid1(TRANS32_DEP_1)
	v_rcp_f32_e32 v143, v135
	v_nop
	v_fma_f32 v144, -v135, v143, 1.0
	s_delay_alu instid0(VALU_DEP_1) | instskip(SKIP_1) | instid1(VALU_DEP_1)
	v_fmac_f32_e32 v143, v144, v143
	v_div_scale_f32 v144, vcc_lo, 1.0, v134, 1.0
	v_mul_f32_e32 v145, v144, v143
	s_delay_alu instid0(VALU_DEP_1) | instskip(NEXT) | instid1(VALU_DEP_1)
	v_fma_f32 v146, -v135, v145, v144
	v_fmac_f32_e32 v145, v146, v143
	s_delay_alu instid0(VALU_DEP_1) | instskip(NEXT) | instid1(VALU_DEP_1)
	v_fma_f32 v135, -v135, v145, v144
	v_div_fmas_f32 v135, v135, v143, v145
	s_delay_alu instid0(VALU_DEP_1) | instskip(NEXT) | instid1(VALU_DEP_1)
	v_div_fixup_f32 v134, v135, v134, 1.0
	v_mul_f32_e64 v135, v137, -v134
.LBB126_1080:
	s_or_b32 exec_lo, exec_lo, s1
.LBB126_1081:
	s_delay_alu instid0(SALU_CYCLE_1) | instskip(NEXT) | instid1(SALU_CYCLE_1)
	s_or_b32 exec_lo, exec_lo, s0
	s_mov_b32 s0, exec_lo
	v_cmpx_ne_u32_e64 v142, v136
	s_xor_b32 s0, exec_lo, s0
	s_cbranch_execz .LBB126_1087
; %bb.1082:
	s_mov_b32 s1, exec_lo
	v_cmpx_eq_u32_e32 51, v142
	s_cbranch_execz .LBB126_1086
; %bb.1083:
	v_cmp_ne_u32_e32 vcc_lo, 51, v136
	s_xor_b32 s12, s16, -1
	s_delay_alu instid0(SALU_CYCLE_1) | instskip(NEXT) | instid1(SALU_CYCLE_1)
	s_and_b32 s13, s12, vcc_lo
	s_and_saveexec_b32 s12, s13
	s_cbranch_execz .LBB126_1085
; %bb.1084:
	v_ashrrev_i32_e32 v137, 31, v136
	s_delay_alu instid0(VALU_DEP_1)
	v_lshl_add_u64 v[142:143], v[136:137], 2, v[4:5]
	s_clause 0x1
	global_load_b32 v137, v[142:143], off
	global_load_b32 v141, v[4:5], off offset:204
	s_wait_loadcnt 0x1
	global_store_b32 v[4:5], v137, off offset:204
	s_wait_loadcnt 0x0
	global_store_b32 v[142:143], v141, off
.LBB126_1085:
	s_wait_xcnt 0x0
	s_or_b32 exec_lo, exec_lo, s12
	v_dual_mov_b32 v142, v136 :: v_dual_mov_b32 v141, v136
.LBB126_1086:
	s_or_b32 exec_lo, exec_lo, s1
.LBB126_1087:
	s_and_not1_saveexec_b32 s0, s0
	s_cbranch_execz .LBB126_1089
; %bb.1088:
	v_dual_mov_b32 v136, v48 :: v_dual_mov_b32 v137, v49
	v_dual_mov_b32 v142, v42 :: v_dual_mov_b32 v143, v43
	;; [unrolled: 1-line block ×4, first 2 shown]
	ds_store_2addr_b64 v138, v[136:137], v[142:143] offset0:52 offset1:53
	ds_store_2addr_b64 v138, v[144:145], v[146:147] offset0:54 offset1:55
	v_dual_mov_b32 v136, v32 :: v_dual_mov_b32 v137, v33
	v_dual_mov_b32 v144, v28 :: v_dual_mov_b32 v145, v29
	;; [unrolled: 1-line block ×7, first 2 shown]
	v_mov_b32_e32 v155, v11
	ds_store_2addr_b64 v138, v[136:137], v[144:145] offset0:56 offset1:57
	ds_store_2addr_b64 v138, v[146:147], v[148:149] offset0:58 offset1:59
	;; [unrolled: 1-line block ×4, first 2 shown]
.LBB126_1089:
	s_or_b32 exec_lo, exec_lo, s0
	s_delay_alu instid0(SALU_CYCLE_1)
	s_mov_b32 s0, exec_lo
	s_wait_storecnt_dscnt 0x0
	s_barrier_signal -1
	s_barrier_wait -1
	v_cmpx_lt_i32_e32 51, v142
	s_cbranch_execz .LBB126_1091
; %bb.1090:
	v_pk_mul_f32 v[136:137], v[134:135], v[16:17] op_sel:[1,1] op_sel_hi:[0,1]
	s_delay_alu instid0(VALU_DEP_1)
	v_pk_fma_f32 v[144:145], v[134:135], v[16:17], v[136:137] op_sel_hi:[1,0,1] neg_lo:[0,0,1] neg_hi:[0,0,1]
	v_pk_fma_f32 v[146:147], v[134:135], v[16:17], v[136:137] op_sel_hi:[1,0,1]
	ds_load_2addr_b64 v[134:137], v138 offset0:52 offset1:53
	v_dual_mov_b32 v16, v144 :: v_dual_mov_b32 v17, v147
	s_wait_dscnt 0x0
	v_pk_mul_f32 v[148:149], v[134:135], v[146:147] op_sel:[0,1]
	s_delay_alu instid0(VALU_DEP_1) | instskip(SKIP_1) | instid1(VALU_DEP_1)
	v_pk_fma_f32 v[150:151], v[134:135], v[144:145], v[148:149] op_sel:[0,0,1] op_sel_hi:[1,1,0] neg_lo:[0,0,1] neg_hi:[0,0,1]
	v_pk_fma_f32 v[134:135], v[134:135], v[144:145], v[148:149] op_sel:[0,0,1] op_sel_hi:[1,0,0]
	v_mov_b32_e32 v151, v135
	v_pk_mul_f32 v[134:135], v[136:137], v[146:147] op_sel:[0,1]
	s_delay_alu instid0(VALU_DEP_1) | instskip(SKIP_1) | instid1(VALU_DEP_1)
	v_pk_fma_f32 v[148:149], v[136:137], v[144:145], v[134:135] op_sel:[0,0,1] op_sel_hi:[1,1,0] neg_lo:[0,0,1] neg_hi:[0,0,1]
	v_pk_fma_f32 v[134:135], v[136:137], v[144:145], v[134:135] op_sel:[0,0,1] op_sel_hi:[1,0,0]
	v_mov_b32_e32 v149, v135
	ds_load_2addr_b64 v[134:137], v138 offset0:54 offset1:55
	v_pk_add_f32 v[48:49], v[48:49], v[150:151] neg_lo:[0,1] neg_hi:[0,1]
	v_pk_add_f32 v[42:43], v[42:43], v[148:149] neg_lo:[0,1] neg_hi:[0,1]
	s_wait_dscnt 0x0
	v_pk_mul_f32 v[148:149], v[134:135], v[146:147] op_sel:[0,1]
	s_delay_alu instid0(VALU_DEP_1) | instskip(SKIP_2) | instid1(VALU_DEP_2)
	v_pk_fma_f32 v[150:151], v[134:135], v[144:145], v[148:149] op_sel:[0,0,1] op_sel_hi:[1,1,0] neg_lo:[0,0,1] neg_hi:[0,0,1]
	v_pk_fma_f32 v[134:135], v[134:135], v[144:145], v[148:149] op_sel:[0,0,1] op_sel_hi:[1,0,0]
	v_dual_mul_f32 v148, v137, v147 :: v_dual_mov_b32 v134, v137
	v_dual_mov_b32 v151, v135 :: v_dual_mov_b32 v135, v136
	s_delay_alu instid0(VALU_DEP_2) | instskip(SKIP_1) | instid1(VALU_DEP_3)
	v_pk_fma_f32 v[148:149], v[136:137], v[16:17], v[148:149] op_sel_hi:[1,1,0] neg_lo:[0,0,1] neg_hi:[0,0,1]
	v_mul_f32_e32 v136, v137, v144
	v_pk_add_f32 v[46:47], v[46:47], v[150:151] neg_lo:[0,1] neg_hi:[0,1]
	s_delay_alu instid0(VALU_DEP_2) | instskip(NEXT) | instid1(VALU_DEP_1)
	v_pk_fma_f32 v[134:135], v[134:135], v[16:17], v[136:137] op_sel_hi:[1,1,0]
	v_mov_b32_e32 v149, v135
	ds_load_2addr_b64 v[134:137], v138 offset0:56 offset1:57
	v_pk_add_f32 v[8:9], v[8:9], v[148:149] neg_lo:[0,1] neg_hi:[0,1]
	s_wait_dscnt 0x0
	v_pk_mul_f32 v[148:149], v[134:135], v[146:147] op_sel:[0,1]
	s_delay_alu instid0(VALU_DEP_1) | instskip(SKIP_1) | instid1(VALU_DEP_1)
	v_pk_fma_f32 v[150:151], v[134:135], v[144:145], v[148:149] op_sel:[0,0,1] op_sel_hi:[1,1,0] neg_lo:[0,0,1] neg_hi:[0,0,1]
	v_pk_fma_f32 v[134:135], v[134:135], v[144:145], v[148:149] op_sel:[0,0,1] op_sel_hi:[1,0,0]
	v_mov_b32_e32 v151, v135
	v_pk_mul_f32 v[134:135], v[136:137], v[146:147] op_sel:[0,1]
	s_delay_alu instid0(VALU_DEP_1) | instskip(SKIP_1) | instid1(VALU_DEP_1)
	v_pk_fma_f32 v[148:149], v[136:137], v[144:145], v[134:135] op_sel:[0,0,1] op_sel_hi:[1,1,0] neg_lo:[0,0,1] neg_hi:[0,0,1]
	v_pk_fma_f32 v[134:135], v[136:137], v[144:145], v[134:135] op_sel:[0,0,1] op_sel_hi:[1,0,0]
	v_mov_b32_e32 v149, v135
	ds_load_2addr_b64 v[134:137], v138 offset0:58 offset1:59
	v_pk_add_f32 v[32:33], v[32:33], v[150:151] neg_lo:[0,1] neg_hi:[0,1]
	v_pk_add_f32 v[28:29], v[28:29], v[148:149] neg_lo:[0,1] neg_hi:[0,1]
	s_wait_dscnt 0x0
	v_pk_mul_f32 v[148:149], v[134:135], v[146:147] op_sel:[0,1]
	s_delay_alu instid0(VALU_DEP_1) | instskip(SKIP_1) | instid1(VALU_DEP_1)
	v_pk_fma_f32 v[150:151], v[134:135], v[144:145], v[148:149] op_sel:[0,0,1] op_sel_hi:[1,1,0] neg_lo:[0,0,1] neg_hi:[0,0,1]
	v_pk_fma_f32 v[134:135], v[134:135], v[144:145], v[148:149] op_sel:[0,0,1] op_sel_hi:[1,0,0]
	v_mov_b32_e32 v151, v135
	v_pk_mul_f32 v[134:135], v[136:137], v[146:147] op_sel:[0,1]
	s_delay_alu instid0(VALU_DEP_1) | instskip(SKIP_1) | instid1(VALU_DEP_1)
	v_pk_fma_f32 v[148:149], v[136:137], v[144:145], v[134:135] op_sel:[0,0,1] op_sel_hi:[1,1,0] neg_lo:[0,0,1] neg_hi:[0,0,1]
	v_pk_fma_f32 v[134:135], v[136:137], v[144:145], v[134:135] op_sel:[0,0,1] op_sel_hi:[1,0,0]
	v_mov_b32_e32 v149, v135
	ds_load_2addr_b64 v[134:137], v138 offset0:60 offset1:61
	v_pk_add_f32 v[30:31], v[30:31], v[150:151] neg_lo:[0,1] neg_hi:[0,1]
	v_pk_add_f32 v[6:7], v[6:7], v[148:149] neg_lo:[0,1] neg_hi:[0,1]
	s_wait_dscnt 0x0
	v_dual_mul_f32 v148, v135, v147 :: v_dual_mul_f32 v150, v135, v144
	s_delay_alu instid0(VALU_DEP_1) | instskip(NEXT) | instid1(VALU_DEP_2)
	v_pk_fma_f32 v[148:149], v[134:135], v[16:17], v[148:149] op_sel_hi:[1,1,0] neg_lo:[0,0,1] neg_hi:[0,0,1]
	v_pk_fma_f32 v[134:135], v[134:135], v[16:17], v[150:151] op_sel:[1,0,0] op_sel_hi:[0,1,0]
	s_delay_alu instid0(VALU_DEP_1) | instskip(SKIP_1) | instid1(VALU_DEP_2)
	v_mov_b32_e32 v149, v135
	v_pk_mul_f32 v[134:135], v[136:137], v[146:147] op_sel:[0,1]
	v_pk_add_f32 v[20:21], v[20:21], v[148:149] neg_lo:[0,1] neg_hi:[0,1]
	s_delay_alu instid0(VALU_DEP_2) | instskip(SKIP_1) | instid1(VALU_DEP_1)
	v_pk_fma_f32 v[148:149], v[136:137], v[144:145], v[134:135] op_sel:[0,0,1] op_sel_hi:[1,1,0] neg_lo:[0,0,1] neg_hi:[0,0,1]
	v_pk_fma_f32 v[134:135], v[136:137], v[144:145], v[134:135] op_sel:[0,0,1] op_sel_hi:[1,0,0]
	v_mov_b32_e32 v149, v135
	ds_load_2addr_b64 v[134:137], v138 offset0:62 offset1:63
	v_pk_add_f32 v[14:15], v[14:15], v[148:149] neg_lo:[0,1] neg_hi:[0,1]
	s_wait_dscnt 0x0
	v_pk_mul_f32 v[148:149], v[134:135], v[146:147] op_sel:[0,1]
	v_mul_f32_e32 v146, v137, v147
	s_delay_alu instid0(VALU_DEP_2) | instskip(SKIP_2) | instid1(VALU_DEP_4)
	v_pk_fma_f32 v[150:151], v[134:135], v[144:145], v[148:149] op_sel:[0,0,1] op_sel_hi:[1,1,0] neg_lo:[0,0,1] neg_hi:[0,0,1]
	v_pk_fma_f32 v[134:135], v[134:135], v[144:145], v[148:149] op_sel:[0,0,1] op_sel_hi:[1,0,0]
	v_mov_b32_e32 v134, v137
	v_pk_fma_f32 v[146:147], v[136:137], v[16:17], v[146:147] op_sel_hi:[1,1,0] neg_lo:[0,0,1] neg_hi:[0,0,1]
	s_delay_alu instid0(VALU_DEP_3) | instskip(SKIP_1) | instid1(VALU_DEP_2)
	v_dual_mov_b32 v151, v135 :: v_dual_mov_b32 v135, v136
	v_mul_f32_e32 v136, v137, v144
	v_pk_add_f32 v[10:11], v[10:11], v[150:151] neg_lo:[0,1] neg_hi:[0,1]
	s_delay_alu instid0(VALU_DEP_2) | instskip(NEXT) | instid1(VALU_DEP_1)
	v_pk_fma_f32 v[134:135], v[134:135], v[16:17], v[136:137] op_sel_hi:[1,1,0]
	v_mov_b32_e32 v147, v135
	s_delay_alu instid0(VALU_DEP_1)
	v_pk_add_f32 v[132:133], v[132:133], v[146:147] neg_lo:[0,1] neg_hi:[0,1]
.LBB126_1091:
	s_or_b32 exec_lo, exec_lo, s0
	v_lshl_add_u32 v134, v142, 3, v138
	s_barrier_signal -1
	s_barrier_wait -1
	ds_store_b64 v134, v[48:49]
	s_wait_dscnt 0x0
	s_barrier_signal -1
	s_barrier_wait -1
	ds_load_b64 v[134:135], v138 offset:416
	v_mov_b32_e32 v136, 52
	s_cmp_lt_i32 s18, 54
	s_cbranch_scc1 .LBB126_1094
; %bb.1092:
	v_add3_u32 v137, v139, 0, 0x1a8
	v_mov_b32_e32 v136, 52
	s_mov_b32 s0, 53
.LBB126_1093:                           ; =>This Inner Loop Header: Depth=1
	ds_load_b64 v[144:145], v137
	s_wait_dscnt 0x1
	v_cmp_gt_f32_e32 vcc_lo, 0, v134
	v_cndmask_b32_e64 v146, v134, -v134, vcc_lo
	v_cmp_gt_f32_e32 vcc_lo, 0, v135
	v_cndmask_b32_e64 v148, v135, -v135, vcc_lo
	s_wait_dscnt 0x0
	v_cmp_gt_f32_e32 vcc_lo, 0, v144
	v_cndmask_b32_e64 v147, v144, -v144, vcc_lo
	v_cmp_gt_f32_e32 vcc_lo, 0, v145
	v_cndmask_b32_e64 v149, v145, -v145, vcc_lo
	s_delay_alu instid0(VALU_DEP_1) | instskip(NEXT) | instid1(VALU_DEP_1)
	v_pk_add_f32 v[146:147], v[146:147], v[148:149]
	v_cmp_lt_f32_e32 vcc_lo, v146, v147
	v_dual_cndmask_b32 v134, v134, v144 :: v_dual_add_nc_u32 v137, 8, v137
	v_cndmask_b32_e32 v135, v135, v145, vcc_lo
	v_cndmask_b32_e64 v136, v136, s0, vcc_lo
	s_add_co_i32 s0, s0, 1
	s_delay_alu instid0(SALU_CYCLE_1)
	s_cmp_lg_u32 s18, s0
	s_cbranch_scc1 .LBB126_1093
.LBB126_1094:
	s_wait_dscnt 0x0
	v_cmp_eq_f32_e32 vcc_lo, 0, v134
	v_cmp_eq_f32_e64 s0, 0, v135
	s_and_b32 s0, vcc_lo, s0
	s_delay_alu instid0(SALU_CYCLE_1) | instskip(NEXT) | instid1(SALU_CYCLE_1)
	s_and_saveexec_b32 s1, s0
	s_xor_b32 s0, exec_lo, s1
; %bb.1095:
	v_cmp_ne_u32_e32 vcc_lo, 0, v140
	v_cndmask_b32_e32 v140, 53, v140, vcc_lo
; %bb.1096:
	s_and_not1_saveexec_b32 s0, s0
	s_cbranch_execz .LBB126_1102
; %bb.1097:
	v_cmp_ngt_f32_e64 s1, |v134|, |v135|
	s_and_saveexec_b32 s12, s1
	s_delay_alu instid0(SALU_CYCLE_1)
	s_xor_b32 s1, exec_lo, s12
	s_cbranch_execz .LBB126_1099
; %bb.1098:
	v_div_scale_f32 v137, null, v135, v135, v134
	v_div_scale_f32 v145, vcc_lo, v134, v135, v134
	s_delay_alu instid0(VALU_DEP_2) | instskip(SKIP_1) | instid1(TRANS32_DEP_1)
	v_rcp_f32_e32 v143, v137
	v_nop
	v_fma_f32 v144, -v137, v143, 1.0
	s_delay_alu instid0(VALU_DEP_1) | instskip(NEXT) | instid1(VALU_DEP_1)
	v_fmac_f32_e32 v143, v144, v143
	v_mul_f32_e32 v144, v145, v143
	s_delay_alu instid0(VALU_DEP_1) | instskip(NEXT) | instid1(VALU_DEP_1)
	v_fma_f32 v146, -v137, v144, v145
	v_fmac_f32_e32 v144, v146, v143
	s_delay_alu instid0(VALU_DEP_1) | instskip(NEXT) | instid1(VALU_DEP_1)
	v_fma_f32 v137, -v137, v144, v145
	v_div_fmas_f32 v137, v137, v143, v144
	s_delay_alu instid0(VALU_DEP_1) | instskip(NEXT) | instid1(VALU_DEP_1)
	v_div_fixup_f32 v137, v137, v135, v134
	v_fmac_f32_e32 v135, v134, v137
	s_delay_alu instid0(VALU_DEP_1) | instskip(SKIP_1) | instid1(VALU_DEP_2)
	v_div_scale_f32 v134, null, v135, v135, 1.0
	v_div_scale_f32 v145, vcc_lo, 1.0, v135, 1.0
	v_rcp_f32_e32 v143, v134
	v_nop
	s_delay_alu instid0(TRANS32_DEP_1) | instskip(NEXT) | instid1(VALU_DEP_1)
	v_fma_f32 v144, -v134, v143, 1.0
	v_fmac_f32_e32 v143, v144, v143
	s_delay_alu instid0(VALU_DEP_1) | instskip(NEXT) | instid1(VALU_DEP_1)
	v_mul_f32_e32 v144, v145, v143
	v_fma_f32 v146, -v134, v144, v145
	s_delay_alu instid0(VALU_DEP_1) | instskip(NEXT) | instid1(VALU_DEP_1)
	v_fmac_f32_e32 v144, v146, v143
	v_fma_f32 v134, -v134, v144, v145
	s_delay_alu instid0(VALU_DEP_1) | instskip(NEXT) | instid1(VALU_DEP_1)
	v_div_fmas_f32 v134, v134, v143, v144
	v_div_fixup_f32 v135, v134, v135, 1.0
	s_delay_alu instid0(VALU_DEP_1)
	v_mul_f32_e32 v134, v137, v135
	v_xor_b32_e32 v135, 0x80000000, v135
.LBB126_1099:
	s_and_not1_saveexec_b32 s1, s1
	s_cbranch_execz .LBB126_1101
; %bb.1100:
	s_delay_alu instid0(VALU_DEP_1) | instskip(SKIP_1) | instid1(VALU_DEP_2)
	v_div_scale_f32 v137, null, v134, v134, v135
	v_div_scale_f32 v145, vcc_lo, v135, v134, v135
	v_rcp_f32_e32 v143, v137
	v_nop
	s_delay_alu instid0(TRANS32_DEP_1) | instskip(NEXT) | instid1(VALU_DEP_1)
	v_fma_f32 v144, -v137, v143, 1.0
	v_fmac_f32_e32 v143, v144, v143
	s_delay_alu instid0(VALU_DEP_1) | instskip(NEXT) | instid1(VALU_DEP_1)
	v_mul_f32_e32 v144, v145, v143
	v_fma_f32 v146, -v137, v144, v145
	s_delay_alu instid0(VALU_DEP_1) | instskip(NEXT) | instid1(VALU_DEP_1)
	v_fmac_f32_e32 v144, v146, v143
	v_fma_f32 v137, -v137, v144, v145
	s_delay_alu instid0(VALU_DEP_1) | instskip(NEXT) | instid1(VALU_DEP_1)
	v_div_fmas_f32 v137, v137, v143, v144
	v_div_fixup_f32 v137, v137, v134, v135
	s_delay_alu instid0(VALU_DEP_1) | instskip(NEXT) | instid1(VALU_DEP_1)
	v_fmac_f32_e32 v134, v135, v137
	v_div_scale_f32 v135, null, v134, v134, 1.0
	s_delay_alu instid0(VALU_DEP_1) | instskip(SKIP_1) | instid1(TRANS32_DEP_1)
	v_rcp_f32_e32 v143, v135
	v_nop
	v_fma_f32 v144, -v135, v143, 1.0
	s_delay_alu instid0(VALU_DEP_1) | instskip(SKIP_1) | instid1(VALU_DEP_1)
	v_fmac_f32_e32 v143, v144, v143
	v_div_scale_f32 v144, vcc_lo, 1.0, v134, 1.0
	v_mul_f32_e32 v145, v144, v143
	s_delay_alu instid0(VALU_DEP_1) | instskip(NEXT) | instid1(VALU_DEP_1)
	v_fma_f32 v146, -v135, v145, v144
	v_fmac_f32_e32 v145, v146, v143
	s_delay_alu instid0(VALU_DEP_1) | instskip(NEXT) | instid1(VALU_DEP_1)
	v_fma_f32 v135, -v135, v145, v144
	v_div_fmas_f32 v135, v135, v143, v145
	s_delay_alu instid0(VALU_DEP_1) | instskip(NEXT) | instid1(VALU_DEP_1)
	v_div_fixup_f32 v134, v135, v134, 1.0
	v_mul_f32_e64 v135, v137, -v134
.LBB126_1101:
	s_or_b32 exec_lo, exec_lo, s1
.LBB126_1102:
	s_delay_alu instid0(SALU_CYCLE_1) | instskip(NEXT) | instid1(SALU_CYCLE_1)
	s_or_b32 exec_lo, exec_lo, s0
	s_mov_b32 s0, exec_lo
	v_cmpx_ne_u32_e64 v142, v136
	s_xor_b32 s0, exec_lo, s0
	s_cbranch_execz .LBB126_1108
; %bb.1103:
	s_mov_b32 s1, exec_lo
	v_cmpx_eq_u32_e32 52, v142
	s_cbranch_execz .LBB126_1107
; %bb.1104:
	v_cmp_ne_u32_e32 vcc_lo, 52, v136
	s_xor_b32 s12, s16, -1
	s_delay_alu instid0(SALU_CYCLE_1) | instskip(NEXT) | instid1(SALU_CYCLE_1)
	s_and_b32 s13, s12, vcc_lo
	s_and_saveexec_b32 s12, s13
	s_cbranch_execz .LBB126_1106
; %bb.1105:
	v_ashrrev_i32_e32 v137, 31, v136
	s_delay_alu instid0(VALU_DEP_1)
	v_lshl_add_u64 v[142:143], v[136:137], 2, v[4:5]
	s_clause 0x1
	global_load_b32 v137, v[142:143], off
	global_load_b32 v141, v[4:5], off offset:208
	s_wait_loadcnt 0x1
	global_store_b32 v[4:5], v137, off offset:208
	s_wait_loadcnt 0x0
	global_store_b32 v[142:143], v141, off
.LBB126_1106:
	s_wait_xcnt 0x0
	s_or_b32 exec_lo, exec_lo, s12
	v_dual_mov_b32 v142, v136 :: v_dual_mov_b32 v141, v136
.LBB126_1107:
	s_or_b32 exec_lo, exec_lo, s1
.LBB126_1108:
	s_and_not1_saveexec_b32 s0, s0
	s_cbranch_execz .LBB126_1110
; %bb.1109:
	v_mov_b32_e32 v142, 52
	ds_store_2addr_b64 v138, v[42:43], v[46:47] offset0:53 offset1:54
	ds_store_2addr_b64 v138, v[8:9], v[32:33] offset0:55 offset1:56
	;; [unrolled: 1-line block ×5, first 2 shown]
	ds_store_b64 v138, v[132:133] offset:504
.LBB126_1110:
	s_or_b32 exec_lo, exec_lo, s0
	s_delay_alu instid0(SALU_CYCLE_1)
	s_mov_b32 s0, exec_lo
	s_wait_storecnt_dscnt 0x0
	s_barrier_signal -1
	s_barrier_wait -1
	v_cmpx_lt_i32_e32 52, v142
	s_cbranch_execz .LBB126_1112
; %bb.1111:
	v_pk_mul_f32 v[136:137], v[134:135], v[48:49] op_sel:[1,1] op_sel_hi:[0,1]
	s_delay_alu instid0(VALU_DEP_1)
	v_pk_fma_f32 v[144:145], v[134:135], v[48:49], v[136:137] op_sel_hi:[1,0,1] neg_lo:[0,0,1] neg_hi:[0,0,1]
	v_pk_fma_f32 v[146:147], v[134:135], v[48:49], v[136:137] op_sel_hi:[1,0,1]
	ds_load_2addr_b64 v[134:137], v138 offset0:53 offset1:54
	v_dual_mov_b32 v48, v144 :: v_dual_mov_b32 v49, v147
	s_wait_dscnt 0x0
	v_pk_mul_f32 v[148:149], v[134:135], v[146:147] op_sel:[0,1]
	s_delay_alu instid0(VALU_DEP_1) | instskip(SKIP_1) | instid1(VALU_DEP_1)
	v_pk_fma_f32 v[150:151], v[134:135], v[144:145], v[148:149] op_sel:[0,0,1] op_sel_hi:[1,1,0] neg_lo:[0,0,1] neg_hi:[0,0,1]
	v_pk_fma_f32 v[134:135], v[134:135], v[144:145], v[148:149] op_sel:[0,0,1] op_sel_hi:[1,0,0]
	v_mov_b32_e32 v151, v135
	v_pk_mul_f32 v[134:135], v[136:137], v[146:147] op_sel:[0,1]
	s_delay_alu instid0(VALU_DEP_1) | instskip(SKIP_1) | instid1(VALU_DEP_1)
	v_pk_fma_f32 v[148:149], v[136:137], v[144:145], v[134:135] op_sel:[0,0,1] op_sel_hi:[1,1,0] neg_lo:[0,0,1] neg_hi:[0,0,1]
	v_pk_fma_f32 v[134:135], v[136:137], v[144:145], v[134:135] op_sel:[0,0,1] op_sel_hi:[1,0,0]
	v_mov_b32_e32 v149, v135
	ds_load_2addr_b64 v[134:137], v138 offset0:55 offset1:56
	v_pk_add_f32 v[42:43], v[42:43], v[150:151] neg_lo:[0,1] neg_hi:[0,1]
	v_pk_add_f32 v[46:47], v[46:47], v[148:149] neg_lo:[0,1] neg_hi:[0,1]
	s_wait_dscnt 0x0
	v_pk_mul_f32 v[148:149], v[134:135], v[146:147] op_sel:[0,1]
	s_delay_alu instid0(VALU_DEP_1) | instskip(SKIP_2) | instid1(VALU_DEP_2)
	v_pk_fma_f32 v[150:151], v[134:135], v[144:145], v[148:149] op_sel:[0,0,1] op_sel_hi:[1,1,0] neg_lo:[0,0,1] neg_hi:[0,0,1]
	v_pk_fma_f32 v[134:135], v[134:135], v[144:145], v[148:149] op_sel:[0,0,1] op_sel_hi:[1,0,0]
	v_dual_mul_f32 v148, v137, v147 :: v_dual_mov_b32 v134, v137
	v_dual_mov_b32 v151, v135 :: v_dual_mov_b32 v135, v136
	s_delay_alu instid0(VALU_DEP_2) | instskip(SKIP_1) | instid1(VALU_DEP_3)
	v_pk_fma_f32 v[148:149], v[136:137], v[48:49], v[148:149] op_sel_hi:[1,1,0] neg_lo:[0,0,1] neg_hi:[0,0,1]
	v_mul_f32_e32 v136, v137, v144
	v_pk_add_f32 v[8:9], v[8:9], v[150:151] neg_lo:[0,1] neg_hi:[0,1]
	s_delay_alu instid0(VALU_DEP_2) | instskip(NEXT) | instid1(VALU_DEP_1)
	v_pk_fma_f32 v[134:135], v[134:135], v[48:49], v[136:137] op_sel_hi:[1,1,0]
	v_mov_b32_e32 v149, v135
	ds_load_2addr_b64 v[134:137], v138 offset0:57 offset1:58
	v_pk_add_f32 v[32:33], v[32:33], v[148:149] neg_lo:[0,1] neg_hi:[0,1]
	s_wait_dscnt 0x0
	v_pk_mul_f32 v[148:149], v[134:135], v[146:147] op_sel:[0,1]
	s_delay_alu instid0(VALU_DEP_1) | instskip(SKIP_1) | instid1(VALU_DEP_1)
	v_pk_fma_f32 v[150:151], v[134:135], v[144:145], v[148:149] op_sel:[0,0,1] op_sel_hi:[1,1,0] neg_lo:[0,0,1] neg_hi:[0,0,1]
	v_pk_fma_f32 v[134:135], v[134:135], v[144:145], v[148:149] op_sel:[0,0,1] op_sel_hi:[1,0,0]
	v_mov_b32_e32 v151, v135
	v_pk_mul_f32 v[134:135], v[136:137], v[146:147] op_sel:[0,1]
	s_delay_alu instid0(VALU_DEP_1) | instskip(SKIP_1) | instid1(VALU_DEP_1)
	v_pk_fma_f32 v[148:149], v[136:137], v[144:145], v[134:135] op_sel:[0,0,1] op_sel_hi:[1,1,0] neg_lo:[0,0,1] neg_hi:[0,0,1]
	v_pk_fma_f32 v[134:135], v[136:137], v[144:145], v[134:135] op_sel:[0,0,1] op_sel_hi:[1,0,0]
	v_mov_b32_e32 v149, v135
	ds_load_2addr_b64 v[134:137], v138 offset0:59 offset1:60
	v_pk_add_f32 v[28:29], v[28:29], v[150:151] neg_lo:[0,1] neg_hi:[0,1]
	v_pk_add_f32 v[30:31], v[30:31], v[148:149] neg_lo:[0,1] neg_hi:[0,1]
	s_wait_dscnt 0x0
	v_pk_mul_f32 v[148:149], v[134:135], v[146:147] op_sel:[0,1]
	s_delay_alu instid0(VALU_DEP_1) | instskip(SKIP_1) | instid1(VALU_DEP_1)
	v_pk_fma_f32 v[150:151], v[134:135], v[144:145], v[148:149] op_sel:[0,0,1] op_sel_hi:[1,1,0] neg_lo:[0,0,1] neg_hi:[0,0,1]
	v_pk_fma_f32 v[134:135], v[134:135], v[144:145], v[148:149] op_sel:[0,0,1] op_sel_hi:[1,0,0]
	v_mov_b32_e32 v151, v135
	v_pk_mul_f32 v[134:135], v[136:137], v[146:147] op_sel:[0,1]
	s_delay_alu instid0(VALU_DEP_1) | instskip(SKIP_1) | instid1(VALU_DEP_1)
	v_pk_fma_f32 v[148:149], v[136:137], v[144:145], v[134:135] op_sel:[0,0,1] op_sel_hi:[1,1,0] neg_lo:[0,0,1] neg_hi:[0,0,1]
	v_pk_fma_f32 v[134:135], v[136:137], v[144:145], v[134:135] op_sel:[0,0,1] op_sel_hi:[1,0,0]
	v_mov_b32_e32 v149, v135
	ds_load_2addr_b64 v[134:137], v138 offset0:61 offset1:62
	v_pk_add_f32 v[6:7], v[6:7], v[150:151] neg_lo:[0,1] neg_hi:[0,1]
	v_pk_add_f32 v[20:21], v[20:21], v[148:149] neg_lo:[0,1] neg_hi:[0,1]
	s_wait_dscnt 0x0
	v_dual_mul_f32 v148, v135, v147 :: v_dual_mul_f32 v150, v135, v144
	s_delay_alu instid0(VALU_DEP_1) | instskip(NEXT) | instid1(VALU_DEP_2)
	v_pk_fma_f32 v[148:149], v[134:135], v[48:49], v[148:149] op_sel_hi:[1,1,0] neg_lo:[0,0,1] neg_hi:[0,0,1]
	v_pk_fma_f32 v[134:135], v[134:135], v[48:49], v[150:151] op_sel:[1,0,0] op_sel_hi:[0,1,0]
	s_delay_alu instid0(VALU_DEP_1) | instskip(SKIP_1) | instid1(VALU_DEP_2)
	v_mov_b32_e32 v149, v135
	v_pk_mul_f32 v[134:135], v[136:137], v[146:147] op_sel:[0,1]
	v_pk_add_f32 v[14:15], v[14:15], v[148:149] neg_lo:[0,1] neg_hi:[0,1]
	s_delay_alu instid0(VALU_DEP_2) | instskip(SKIP_1) | instid1(VALU_DEP_1)
	v_pk_fma_f32 v[148:149], v[136:137], v[144:145], v[134:135] op_sel:[0,0,1] op_sel_hi:[1,1,0] neg_lo:[0,0,1] neg_hi:[0,0,1]
	v_pk_fma_f32 v[134:135], v[136:137], v[144:145], v[134:135] op_sel:[0,0,1] op_sel_hi:[1,0,0]
	v_mov_b32_e32 v149, v135
	ds_load_b64 v[134:135], v138 offset:504
	v_pk_add_f32 v[10:11], v[10:11], v[148:149] neg_lo:[0,1] neg_hi:[0,1]
	s_wait_dscnt 0x0
	v_pk_mul_f32 v[136:137], v[134:135], v[146:147] op_sel:[0,1]
	s_delay_alu instid0(VALU_DEP_1) | instskip(SKIP_1) | instid1(VALU_DEP_1)
	v_pk_fma_f32 v[146:147], v[134:135], v[144:145], v[136:137] op_sel:[0,0,1] op_sel_hi:[1,1,0] neg_lo:[0,0,1] neg_hi:[0,0,1]
	v_pk_fma_f32 v[134:135], v[134:135], v[144:145], v[136:137] op_sel:[0,0,1] op_sel_hi:[1,0,0]
	v_mov_b32_e32 v147, v135
	s_delay_alu instid0(VALU_DEP_1)
	v_pk_add_f32 v[132:133], v[132:133], v[146:147] neg_lo:[0,1] neg_hi:[0,1]
.LBB126_1112:
	s_or_b32 exec_lo, exec_lo, s0
	v_lshl_add_u32 v134, v142, 3, v138
	s_barrier_signal -1
	s_barrier_wait -1
	ds_store_b64 v134, v[42:43]
	s_wait_dscnt 0x0
	s_barrier_signal -1
	s_barrier_wait -1
	ds_load_b64 v[134:135], v138 offset:424
	v_mov_b32_e32 v136, 53
	s_cmp_lt_i32 s18, 55
	s_cbranch_scc1 .LBB126_1115
; %bb.1113:
	v_add3_u32 v137, v139, 0, 0x1b0
	v_mov_b32_e32 v136, 53
	s_mov_b32 s0, 54
.LBB126_1114:                           ; =>This Inner Loop Header: Depth=1
	ds_load_b64 v[144:145], v137
	s_wait_dscnt 0x1
	v_cmp_gt_f32_e32 vcc_lo, 0, v134
	v_cndmask_b32_e64 v146, v134, -v134, vcc_lo
	v_cmp_gt_f32_e32 vcc_lo, 0, v135
	v_cndmask_b32_e64 v148, v135, -v135, vcc_lo
	s_wait_dscnt 0x0
	v_cmp_gt_f32_e32 vcc_lo, 0, v144
	v_cndmask_b32_e64 v147, v144, -v144, vcc_lo
	v_cmp_gt_f32_e32 vcc_lo, 0, v145
	v_cndmask_b32_e64 v149, v145, -v145, vcc_lo
	s_delay_alu instid0(VALU_DEP_1) | instskip(NEXT) | instid1(VALU_DEP_1)
	v_pk_add_f32 v[146:147], v[146:147], v[148:149]
	v_cmp_lt_f32_e32 vcc_lo, v146, v147
	v_dual_cndmask_b32 v134, v134, v144 :: v_dual_add_nc_u32 v137, 8, v137
	v_cndmask_b32_e32 v135, v135, v145, vcc_lo
	v_cndmask_b32_e64 v136, v136, s0, vcc_lo
	s_add_co_i32 s0, s0, 1
	s_delay_alu instid0(SALU_CYCLE_1)
	s_cmp_lg_u32 s18, s0
	s_cbranch_scc1 .LBB126_1114
.LBB126_1115:
	s_wait_dscnt 0x0
	v_cmp_eq_f32_e32 vcc_lo, 0, v134
	v_cmp_eq_f32_e64 s0, 0, v135
	s_and_b32 s0, vcc_lo, s0
	s_delay_alu instid0(SALU_CYCLE_1) | instskip(NEXT) | instid1(SALU_CYCLE_1)
	s_and_saveexec_b32 s1, s0
	s_xor_b32 s0, exec_lo, s1
; %bb.1116:
	v_cmp_ne_u32_e32 vcc_lo, 0, v140
	v_cndmask_b32_e32 v140, 54, v140, vcc_lo
; %bb.1117:
	s_and_not1_saveexec_b32 s0, s0
	s_cbranch_execz .LBB126_1123
; %bb.1118:
	v_cmp_ngt_f32_e64 s1, |v134|, |v135|
	s_and_saveexec_b32 s12, s1
	s_delay_alu instid0(SALU_CYCLE_1)
	s_xor_b32 s1, exec_lo, s12
	s_cbranch_execz .LBB126_1120
; %bb.1119:
	v_div_scale_f32 v137, null, v135, v135, v134
	v_div_scale_f32 v145, vcc_lo, v134, v135, v134
	s_delay_alu instid0(VALU_DEP_2) | instskip(SKIP_1) | instid1(TRANS32_DEP_1)
	v_rcp_f32_e32 v143, v137
	v_nop
	v_fma_f32 v144, -v137, v143, 1.0
	s_delay_alu instid0(VALU_DEP_1) | instskip(NEXT) | instid1(VALU_DEP_1)
	v_fmac_f32_e32 v143, v144, v143
	v_mul_f32_e32 v144, v145, v143
	s_delay_alu instid0(VALU_DEP_1) | instskip(NEXT) | instid1(VALU_DEP_1)
	v_fma_f32 v146, -v137, v144, v145
	v_fmac_f32_e32 v144, v146, v143
	s_delay_alu instid0(VALU_DEP_1) | instskip(NEXT) | instid1(VALU_DEP_1)
	v_fma_f32 v137, -v137, v144, v145
	v_div_fmas_f32 v137, v137, v143, v144
	s_delay_alu instid0(VALU_DEP_1) | instskip(NEXT) | instid1(VALU_DEP_1)
	v_div_fixup_f32 v137, v137, v135, v134
	v_fmac_f32_e32 v135, v134, v137
	s_delay_alu instid0(VALU_DEP_1) | instskip(SKIP_1) | instid1(VALU_DEP_2)
	v_div_scale_f32 v134, null, v135, v135, 1.0
	v_div_scale_f32 v145, vcc_lo, 1.0, v135, 1.0
	v_rcp_f32_e32 v143, v134
	v_nop
	s_delay_alu instid0(TRANS32_DEP_1) | instskip(NEXT) | instid1(VALU_DEP_1)
	v_fma_f32 v144, -v134, v143, 1.0
	v_fmac_f32_e32 v143, v144, v143
	s_delay_alu instid0(VALU_DEP_1) | instskip(NEXT) | instid1(VALU_DEP_1)
	v_mul_f32_e32 v144, v145, v143
	v_fma_f32 v146, -v134, v144, v145
	s_delay_alu instid0(VALU_DEP_1) | instskip(NEXT) | instid1(VALU_DEP_1)
	v_fmac_f32_e32 v144, v146, v143
	v_fma_f32 v134, -v134, v144, v145
	s_delay_alu instid0(VALU_DEP_1) | instskip(NEXT) | instid1(VALU_DEP_1)
	v_div_fmas_f32 v134, v134, v143, v144
	v_div_fixup_f32 v135, v134, v135, 1.0
	s_delay_alu instid0(VALU_DEP_1)
	v_mul_f32_e32 v134, v137, v135
	v_xor_b32_e32 v135, 0x80000000, v135
.LBB126_1120:
	s_and_not1_saveexec_b32 s1, s1
	s_cbranch_execz .LBB126_1122
; %bb.1121:
	s_delay_alu instid0(VALU_DEP_1) | instskip(SKIP_1) | instid1(VALU_DEP_2)
	v_div_scale_f32 v137, null, v134, v134, v135
	v_div_scale_f32 v145, vcc_lo, v135, v134, v135
	v_rcp_f32_e32 v143, v137
	v_nop
	s_delay_alu instid0(TRANS32_DEP_1) | instskip(NEXT) | instid1(VALU_DEP_1)
	v_fma_f32 v144, -v137, v143, 1.0
	v_fmac_f32_e32 v143, v144, v143
	s_delay_alu instid0(VALU_DEP_1) | instskip(NEXT) | instid1(VALU_DEP_1)
	v_mul_f32_e32 v144, v145, v143
	v_fma_f32 v146, -v137, v144, v145
	s_delay_alu instid0(VALU_DEP_1) | instskip(NEXT) | instid1(VALU_DEP_1)
	v_fmac_f32_e32 v144, v146, v143
	v_fma_f32 v137, -v137, v144, v145
	s_delay_alu instid0(VALU_DEP_1) | instskip(NEXT) | instid1(VALU_DEP_1)
	v_div_fmas_f32 v137, v137, v143, v144
	v_div_fixup_f32 v137, v137, v134, v135
	s_delay_alu instid0(VALU_DEP_1) | instskip(NEXT) | instid1(VALU_DEP_1)
	v_fmac_f32_e32 v134, v135, v137
	v_div_scale_f32 v135, null, v134, v134, 1.0
	s_delay_alu instid0(VALU_DEP_1) | instskip(SKIP_1) | instid1(TRANS32_DEP_1)
	v_rcp_f32_e32 v143, v135
	v_nop
	v_fma_f32 v144, -v135, v143, 1.0
	s_delay_alu instid0(VALU_DEP_1) | instskip(SKIP_1) | instid1(VALU_DEP_1)
	v_fmac_f32_e32 v143, v144, v143
	v_div_scale_f32 v144, vcc_lo, 1.0, v134, 1.0
	v_mul_f32_e32 v145, v144, v143
	s_delay_alu instid0(VALU_DEP_1) | instskip(NEXT) | instid1(VALU_DEP_1)
	v_fma_f32 v146, -v135, v145, v144
	v_fmac_f32_e32 v145, v146, v143
	s_delay_alu instid0(VALU_DEP_1) | instskip(NEXT) | instid1(VALU_DEP_1)
	v_fma_f32 v135, -v135, v145, v144
	v_div_fmas_f32 v135, v135, v143, v145
	s_delay_alu instid0(VALU_DEP_1) | instskip(NEXT) | instid1(VALU_DEP_1)
	v_div_fixup_f32 v134, v135, v134, 1.0
	v_mul_f32_e64 v135, v137, -v134
.LBB126_1122:
	s_or_b32 exec_lo, exec_lo, s1
.LBB126_1123:
	s_delay_alu instid0(SALU_CYCLE_1) | instskip(NEXT) | instid1(SALU_CYCLE_1)
	s_or_b32 exec_lo, exec_lo, s0
	s_mov_b32 s0, exec_lo
	v_cmpx_ne_u32_e64 v142, v136
	s_xor_b32 s0, exec_lo, s0
	s_cbranch_execz .LBB126_1129
; %bb.1124:
	s_mov_b32 s1, exec_lo
	v_cmpx_eq_u32_e32 53, v142
	s_cbranch_execz .LBB126_1128
; %bb.1125:
	v_cmp_ne_u32_e32 vcc_lo, 53, v136
	s_xor_b32 s12, s16, -1
	s_delay_alu instid0(SALU_CYCLE_1) | instskip(NEXT) | instid1(SALU_CYCLE_1)
	s_and_b32 s13, s12, vcc_lo
	s_and_saveexec_b32 s12, s13
	s_cbranch_execz .LBB126_1127
; %bb.1126:
	v_ashrrev_i32_e32 v137, 31, v136
	s_delay_alu instid0(VALU_DEP_1)
	v_lshl_add_u64 v[142:143], v[136:137], 2, v[4:5]
	s_clause 0x1
	global_load_b32 v137, v[142:143], off
	global_load_b32 v141, v[4:5], off offset:212
	s_wait_loadcnt 0x1
	global_store_b32 v[4:5], v137, off offset:212
	s_wait_loadcnt 0x0
	global_store_b32 v[142:143], v141, off
.LBB126_1127:
	s_wait_xcnt 0x0
	s_or_b32 exec_lo, exec_lo, s12
	v_dual_mov_b32 v142, v136 :: v_dual_mov_b32 v141, v136
.LBB126_1128:
	s_or_b32 exec_lo, exec_lo, s1
.LBB126_1129:
	s_and_not1_saveexec_b32 s0, s0
	s_cbranch_execz .LBB126_1131
; %bb.1130:
	v_dual_mov_b32 v136, v46 :: v_dual_mov_b32 v137, v47
	v_dual_mov_b32 v144, v8 :: v_dual_mov_b32 v145, v9
	;; [unrolled: 1-line block ×9, first 2 shown]
	v_mov_b32_e32 v159, v11
	ds_store_2addr_b64 v138, v[136:137], v[144:145] offset0:54 offset1:55
	ds_store_2addr_b64 v138, v[146:147], v[148:149] offset0:56 offset1:57
	;; [unrolled: 1-line block ×5, first 2 shown]
.LBB126_1131:
	s_or_b32 exec_lo, exec_lo, s0
	s_delay_alu instid0(SALU_CYCLE_1)
	s_mov_b32 s0, exec_lo
	s_wait_storecnt_dscnt 0x0
	s_barrier_signal -1
	s_barrier_wait -1
	v_cmpx_lt_i32_e32 53, v142
	s_cbranch_execz .LBB126_1133
; %bb.1132:
	v_pk_mul_f32 v[136:137], v[134:135], v[42:43] op_sel:[1,1] op_sel_hi:[0,1]
	s_delay_alu instid0(VALU_DEP_1)
	v_pk_fma_f32 v[144:145], v[134:135], v[42:43], v[136:137] op_sel_hi:[1,0,1] neg_lo:[0,0,1] neg_hi:[0,0,1]
	v_pk_fma_f32 v[146:147], v[134:135], v[42:43], v[136:137] op_sel_hi:[1,0,1]
	ds_load_2addr_b64 v[134:137], v138 offset0:54 offset1:55
	v_dual_mov_b32 v42, v144 :: v_dual_mov_b32 v43, v147
	s_wait_dscnt 0x0
	v_pk_mul_f32 v[148:149], v[134:135], v[146:147] op_sel:[0,1]
	s_delay_alu instid0(VALU_DEP_1) | instskip(SKIP_1) | instid1(VALU_DEP_1)
	v_pk_fma_f32 v[150:151], v[134:135], v[144:145], v[148:149] op_sel:[0,0,1] op_sel_hi:[1,1,0] neg_lo:[0,0,1] neg_hi:[0,0,1]
	v_pk_fma_f32 v[134:135], v[134:135], v[144:145], v[148:149] op_sel:[0,0,1] op_sel_hi:[1,0,0]
	v_mov_b32_e32 v151, v135
	v_pk_mul_f32 v[134:135], v[136:137], v[146:147] op_sel:[0,1]
	s_delay_alu instid0(VALU_DEP_1) | instskip(SKIP_1) | instid1(VALU_DEP_1)
	v_pk_fma_f32 v[148:149], v[136:137], v[144:145], v[134:135] op_sel:[0,0,1] op_sel_hi:[1,1,0] neg_lo:[0,0,1] neg_hi:[0,0,1]
	v_pk_fma_f32 v[134:135], v[136:137], v[144:145], v[134:135] op_sel:[0,0,1] op_sel_hi:[1,0,0]
	v_mov_b32_e32 v149, v135
	ds_load_2addr_b64 v[134:137], v138 offset0:56 offset1:57
	v_pk_add_f32 v[46:47], v[46:47], v[150:151] neg_lo:[0,1] neg_hi:[0,1]
	v_pk_add_f32 v[8:9], v[8:9], v[148:149] neg_lo:[0,1] neg_hi:[0,1]
	s_wait_dscnt 0x0
	v_pk_mul_f32 v[148:149], v[134:135], v[146:147] op_sel:[0,1]
	s_delay_alu instid0(VALU_DEP_1) | instskip(SKIP_2) | instid1(VALU_DEP_2)
	v_pk_fma_f32 v[150:151], v[134:135], v[144:145], v[148:149] op_sel:[0,0,1] op_sel_hi:[1,1,0] neg_lo:[0,0,1] neg_hi:[0,0,1]
	v_pk_fma_f32 v[134:135], v[134:135], v[144:145], v[148:149] op_sel:[0,0,1] op_sel_hi:[1,0,0]
	v_dual_mul_f32 v148, v137, v147 :: v_dual_mov_b32 v134, v137
	v_dual_mov_b32 v151, v135 :: v_dual_mov_b32 v135, v136
	s_delay_alu instid0(VALU_DEP_2) | instskip(SKIP_1) | instid1(VALU_DEP_3)
	v_pk_fma_f32 v[148:149], v[136:137], v[42:43], v[148:149] op_sel_hi:[1,1,0] neg_lo:[0,0,1] neg_hi:[0,0,1]
	v_mul_f32_e32 v136, v137, v144
	v_pk_add_f32 v[32:33], v[32:33], v[150:151] neg_lo:[0,1] neg_hi:[0,1]
	s_delay_alu instid0(VALU_DEP_2) | instskip(NEXT) | instid1(VALU_DEP_1)
	v_pk_fma_f32 v[134:135], v[134:135], v[42:43], v[136:137] op_sel_hi:[1,1,0]
	v_mov_b32_e32 v149, v135
	ds_load_2addr_b64 v[134:137], v138 offset0:58 offset1:59
	v_pk_add_f32 v[28:29], v[28:29], v[148:149] neg_lo:[0,1] neg_hi:[0,1]
	s_wait_dscnt 0x0
	v_pk_mul_f32 v[148:149], v[134:135], v[146:147] op_sel:[0,1]
	s_delay_alu instid0(VALU_DEP_1) | instskip(SKIP_1) | instid1(VALU_DEP_1)
	v_pk_fma_f32 v[150:151], v[134:135], v[144:145], v[148:149] op_sel:[0,0,1] op_sel_hi:[1,1,0] neg_lo:[0,0,1] neg_hi:[0,0,1]
	v_pk_fma_f32 v[134:135], v[134:135], v[144:145], v[148:149] op_sel:[0,0,1] op_sel_hi:[1,0,0]
	v_mov_b32_e32 v151, v135
	v_pk_mul_f32 v[134:135], v[136:137], v[146:147] op_sel:[0,1]
	s_delay_alu instid0(VALU_DEP_1) | instskip(SKIP_1) | instid1(VALU_DEP_1)
	v_pk_fma_f32 v[148:149], v[136:137], v[144:145], v[134:135] op_sel:[0,0,1] op_sel_hi:[1,1,0] neg_lo:[0,0,1] neg_hi:[0,0,1]
	v_pk_fma_f32 v[134:135], v[136:137], v[144:145], v[134:135] op_sel:[0,0,1] op_sel_hi:[1,0,0]
	v_mov_b32_e32 v149, v135
	ds_load_2addr_b64 v[134:137], v138 offset0:60 offset1:61
	v_pk_add_f32 v[30:31], v[30:31], v[150:151] neg_lo:[0,1] neg_hi:[0,1]
	v_pk_add_f32 v[6:7], v[6:7], v[148:149] neg_lo:[0,1] neg_hi:[0,1]
	s_wait_dscnt 0x0
	v_pk_mul_f32 v[148:149], v[134:135], v[146:147] op_sel:[0,1]
	s_delay_alu instid0(VALU_DEP_1) | instskip(SKIP_1) | instid1(VALU_DEP_1)
	v_pk_fma_f32 v[150:151], v[134:135], v[144:145], v[148:149] op_sel:[0,0,1] op_sel_hi:[1,1,0] neg_lo:[0,0,1] neg_hi:[0,0,1]
	v_pk_fma_f32 v[134:135], v[134:135], v[144:145], v[148:149] op_sel:[0,0,1] op_sel_hi:[1,0,0]
	v_mov_b32_e32 v151, v135
	v_pk_mul_f32 v[134:135], v[136:137], v[146:147] op_sel:[0,1]
	s_delay_alu instid0(VALU_DEP_1) | instskip(SKIP_1) | instid1(VALU_DEP_1)
	v_pk_fma_f32 v[148:149], v[136:137], v[144:145], v[134:135] op_sel:[0,0,1] op_sel_hi:[1,1,0] neg_lo:[0,0,1] neg_hi:[0,0,1]
	v_pk_fma_f32 v[134:135], v[136:137], v[144:145], v[134:135] op_sel:[0,0,1] op_sel_hi:[1,0,0]
	v_mov_b32_e32 v149, v135
	ds_load_2addr_b64 v[134:137], v138 offset0:62 offset1:63
	v_pk_add_f32 v[20:21], v[20:21], v[150:151] neg_lo:[0,1] neg_hi:[0,1]
	v_pk_add_f32 v[14:15], v[14:15], v[148:149] neg_lo:[0,1] neg_hi:[0,1]
	s_wait_dscnt 0x0
	v_dual_mul_f32 v148, v135, v147 :: v_dual_mul_f32 v150, v135, v144
	s_delay_alu instid0(VALU_DEP_1) | instskip(NEXT) | instid1(VALU_DEP_2)
	v_pk_fma_f32 v[148:149], v[134:135], v[42:43], v[148:149] op_sel_hi:[1,1,0] neg_lo:[0,0,1] neg_hi:[0,0,1]
	v_pk_fma_f32 v[134:135], v[134:135], v[42:43], v[150:151] op_sel:[1,0,0] op_sel_hi:[0,1,0]
	s_delay_alu instid0(VALU_DEP_1) | instskip(SKIP_1) | instid1(VALU_DEP_1)
	v_mov_b32_e32 v149, v135
	v_pk_mul_f32 v[134:135], v[136:137], v[146:147] op_sel:[0,1]
	v_pk_fma_f32 v[146:147], v[136:137], v[144:145], v[134:135] op_sel:[0,0,1] op_sel_hi:[1,1,0] neg_lo:[0,0,1] neg_hi:[0,0,1]
	v_pk_fma_f32 v[134:135], v[136:137], v[144:145], v[134:135] op_sel:[0,0,1] op_sel_hi:[1,0,0]
	s_delay_alu instid0(VALU_DEP_1) | instskip(SKIP_1) | instid1(VALU_DEP_2)
	v_mov_b32_e32 v147, v135
	v_pk_add_f32 v[10:11], v[10:11], v[148:149] neg_lo:[0,1] neg_hi:[0,1]
	v_pk_add_f32 v[132:133], v[132:133], v[146:147] neg_lo:[0,1] neg_hi:[0,1]
.LBB126_1133:
	s_or_b32 exec_lo, exec_lo, s0
	v_lshl_add_u32 v134, v142, 3, v138
	s_barrier_signal -1
	s_barrier_wait -1
	ds_store_b64 v134, v[46:47]
	s_wait_dscnt 0x0
	s_barrier_signal -1
	s_barrier_wait -1
	ds_load_b64 v[134:135], v138 offset:432
	v_mov_b32_e32 v136, 54
	s_cmp_lt_i32 s18, 56
	s_cbranch_scc1 .LBB126_1136
; %bb.1134:
	v_add3_u32 v137, v139, 0, 0x1b8
	v_mov_b32_e32 v136, 54
	s_mov_b32 s0, 55
.LBB126_1135:                           ; =>This Inner Loop Header: Depth=1
	ds_load_b64 v[144:145], v137
	s_wait_dscnt 0x1
	v_cmp_gt_f32_e32 vcc_lo, 0, v134
	v_cndmask_b32_e64 v146, v134, -v134, vcc_lo
	v_cmp_gt_f32_e32 vcc_lo, 0, v135
	v_cndmask_b32_e64 v148, v135, -v135, vcc_lo
	s_wait_dscnt 0x0
	v_cmp_gt_f32_e32 vcc_lo, 0, v144
	v_cndmask_b32_e64 v147, v144, -v144, vcc_lo
	v_cmp_gt_f32_e32 vcc_lo, 0, v145
	v_cndmask_b32_e64 v149, v145, -v145, vcc_lo
	s_delay_alu instid0(VALU_DEP_1) | instskip(NEXT) | instid1(VALU_DEP_1)
	v_pk_add_f32 v[146:147], v[146:147], v[148:149]
	v_cmp_lt_f32_e32 vcc_lo, v146, v147
	v_dual_cndmask_b32 v134, v134, v144 :: v_dual_add_nc_u32 v137, 8, v137
	v_cndmask_b32_e32 v135, v135, v145, vcc_lo
	v_cndmask_b32_e64 v136, v136, s0, vcc_lo
	s_add_co_i32 s0, s0, 1
	s_delay_alu instid0(SALU_CYCLE_1)
	s_cmp_lg_u32 s18, s0
	s_cbranch_scc1 .LBB126_1135
.LBB126_1136:
	s_wait_dscnt 0x0
	v_cmp_eq_f32_e32 vcc_lo, 0, v134
	v_cmp_eq_f32_e64 s0, 0, v135
	s_and_b32 s0, vcc_lo, s0
	s_delay_alu instid0(SALU_CYCLE_1) | instskip(NEXT) | instid1(SALU_CYCLE_1)
	s_and_saveexec_b32 s1, s0
	s_xor_b32 s0, exec_lo, s1
; %bb.1137:
	v_cmp_ne_u32_e32 vcc_lo, 0, v140
	v_cndmask_b32_e32 v140, 55, v140, vcc_lo
; %bb.1138:
	s_and_not1_saveexec_b32 s0, s0
	s_cbranch_execz .LBB126_1144
; %bb.1139:
	v_cmp_ngt_f32_e64 s1, |v134|, |v135|
	s_and_saveexec_b32 s12, s1
	s_delay_alu instid0(SALU_CYCLE_1)
	s_xor_b32 s1, exec_lo, s12
	s_cbranch_execz .LBB126_1141
; %bb.1140:
	v_div_scale_f32 v137, null, v135, v135, v134
	v_div_scale_f32 v145, vcc_lo, v134, v135, v134
	s_delay_alu instid0(VALU_DEP_2) | instskip(SKIP_1) | instid1(TRANS32_DEP_1)
	v_rcp_f32_e32 v143, v137
	v_nop
	v_fma_f32 v144, -v137, v143, 1.0
	s_delay_alu instid0(VALU_DEP_1) | instskip(NEXT) | instid1(VALU_DEP_1)
	v_fmac_f32_e32 v143, v144, v143
	v_mul_f32_e32 v144, v145, v143
	s_delay_alu instid0(VALU_DEP_1) | instskip(NEXT) | instid1(VALU_DEP_1)
	v_fma_f32 v146, -v137, v144, v145
	v_fmac_f32_e32 v144, v146, v143
	s_delay_alu instid0(VALU_DEP_1) | instskip(NEXT) | instid1(VALU_DEP_1)
	v_fma_f32 v137, -v137, v144, v145
	v_div_fmas_f32 v137, v137, v143, v144
	s_delay_alu instid0(VALU_DEP_1) | instskip(NEXT) | instid1(VALU_DEP_1)
	v_div_fixup_f32 v137, v137, v135, v134
	v_fmac_f32_e32 v135, v134, v137
	s_delay_alu instid0(VALU_DEP_1) | instskip(SKIP_1) | instid1(VALU_DEP_2)
	v_div_scale_f32 v134, null, v135, v135, 1.0
	v_div_scale_f32 v145, vcc_lo, 1.0, v135, 1.0
	v_rcp_f32_e32 v143, v134
	v_nop
	s_delay_alu instid0(TRANS32_DEP_1) | instskip(NEXT) | instid1(VALU_DEP_1)
	v_fma_f32 v144, -v134, v143, 1.0
	v_fmac_f32_e32 v143, v144, v143
	s_delay_alu instid0(VALU_DEP_1) | instskip(NEXT) | instid1(VALU_DEP_1)
	v_mul_f32_e32 v144, v145, v143
	v_fma_f32 v146, -v134, v144, v145
	s_delay_alu instid0(VALU_DEP_1) | instskip(NEXT) | instid1(VALU_DEP_1)
	v_fmac_f32_e32 v144, v146, v143
	v_fma_f32 v134, -v134, v144, v145
	s_delay_alu instid0(VALU_DEP_1) | instskip(NEXT) | instid1(VALU_DEP_1)
	v_div_fmas_f32 v134, v134, v143, v144
	v_div_fixup_f32 v135, v134, v135, 1.0
	s_delay_alu instid0(VALU_DEP_1)
	v_mul_f32_e32 v134, v137, v135
	v_xor_b32_e32 v135, 0x80000000, v135
.LBB126_1141:
	s_and_not1_saveexec_b32 s1, s1
	s_cbranch_execz .LBB126_1143
; %bb.1142:
	s_delay_alu instid0(VALU_DEP_1) | instskip(SKIP_1) | instid1(VALU_DEP_2)
	v_div_scale_f32 v137, null, v134, v134, v135
	v_div_scale_f32 v145, vcc_lo, v135, v134, v135
	v_rcp_f32_e32 v143, v137
	v_nop
	s_delay_alu instid0(TRANS32_DEP_1) | instskip(NEXT) | instid1(VALU_DEP_1)
	v_fma_f32 v144, -v137, v143, 1.0
	v_fmac_f32_e32 v143, v144, v143
	s_delay_alu instid0(VALU_DEP_1) | instskip(NEXT) | instid1(VALU_DEP_1)
	v_mul_f32_e32 v144, v145, v143
	v_fma_f32 v146, -v137, v144, v145
	s_delay_alu instid0(VALU_DEP_1) | instskip(NEXT) | instid1(VALU_DEP_1)
	v_fmac_f32_e32 v144, v146, v143
	v_fma_f32 v137, -v137, v144, v145
	s_delay_alu instid0(VALU_DEP_1) | instskip(NEXT) | instid1(VALU_DEP_1)
	v_div_fmas_f32 v137, v137, v143, v144
	v_div_fixup_f32 v137, v137, v134, v135
	s_delay_alu instid0(VALU_DEP_1) | instskip(NEXT) | instid1(VALU_DEP_1)
	v_fmac_f32_e32 v134, v135, v137
	v_div_scale_f32 v135, null, v134, v134, 1.0
	s_delay_alu instid0(VALU_DEP_1) | instskip(SKIP_1) | instid1(TRANS32_DEP_1)
	v_rcp_f32_e32 v143, v135
	v_nop
	v_fma_f32 v144, -v135, v143, 1.0
	s_delay_alu instid0(VALU_DEP_1) | instskip(SKIP_1) | instid1(VALU_DEP_1)
	v_fmac_f32_e32 v143, v144, v143
	v_div_scale_f32 v144, vcc_lo, 1.0, v134, 1.0
	v_mul_f32_e32 v145, v144, v143
	s_delay_alu instid0(VALU_DEP_1) | instskip(NEXT) | instid1(VALU_DEP_1)
	v_fma_f32 v146, -v135, v145, v144
	v_fmac_f32_e32 v145, v146, v143
	s_delay_alu instid0(VALU_DEP_1) | instskip(NEXT) | instid1(VALU_DEP_1)
	v_fma_f32 v135, -v135, v145, v144
	v_div_fmas_f32 v135, v135, v143, v145
	s_delay_alu instid0(VALU_DEP_1) | instskip(NEXT) | instid1(VALU_DEP_1)
	v_div_fixup_f32 v134, v135, v134, 1.0
	v_mul_f32_e64 v135, v137, -v134
.LBB126_1143:
	s_or_b32 exec_lo, exec_lo, s1
.LBB126_1144:
	s_delay_alu instid0(SALU_CYCLE_1) | instskip(NEXT) | instid1(SALU_CYCLE_1)
	s_or_b32 exec_lo, exec_lo, s0
	s_mov_b32 s0, exec_lo
	v_cmpx_ne_u32_e64 v142, v136
	s_xor_b32 s0, exec_lo, s0
	s_cbranch_execz .LBB126_1150
; %bb.1145:
	s_mov_b32 s1, exec_lo
	v_cmpx_eq_u32_e32 54, v142
	s_cbranch_execz .LBB126_1149
; %bb.1146:
	v_cmp_ne_u32_e32 vcc_lo, 54, v136
	s_xor_b32 s12, s16, -1
	s_delay_alu instid0(SALU_CYCLE_1) | instskip(NEXT) | instid1(SALU_CYCLE_1)
	s_and_b32 s13, s12, vcc_lo
	s_and_saveexec_b32 s12, s13
	s_cbranch_execz .LBB126_1148
; %bb.1147:
	v_ashrrev_i32_e32 v137, 31, v136
	s_delay_alu instid0(VALU_DEP_1)
	v_lshl_add_u64 v[142:143], v[136:137], 2, v[4:5]
	s_clause 0x1
	global_load_b32 v137, v[142:143], off
	global_load_b32 v141, v[4:5], off offset:216
	s_wait_loadcnt 0x1
	global_store_b32 v[4:5], v137, off offset:216
	s_wait_loadcnt 0x0
	global_store_b32 v[142:143], v141, off
.LBB126_1148:
	s_wait_xcnt 0x0
	s_or_b32 exec_lo, exec_lo, s12
	v_dual_mov_b32 v142, v136 :: v_dual_mov_b32 v141, v136
.LBB126_1149:
	s_or_b32 exec_lo, exec_lo, s1
.LBB126_1150:
	s_and_not1_saveexec_b32 s0, s0
	s_cbranch_execz .LBB126_1152
; %bb.1151:
	v_mov_b32_e32 v142, 54
	ds_store_2addr_b64 v138, v[8:9], v[32:33] offset0:55 offset1:56
	ds_store_2addr_b64 v138, v[28:29], v[30:31] offset0:57 offset1:58
	;; [unrolled: 1-line block ×4, first 2 shown]
	ds_store_b64 v138, v[132:133] offset:504
.LBB126_1152:
	s_or_b32 exec_lo, exec_lo, s0
	s_delay_alu instid0(SALU_CYCLE_1)
	s_mov_b32 s0, exec_lo
	s_wait_storecnt_dscnt 0x0
	s_barrier_signal -1
	s_barrier_wait -1
	v_cmpx_lt_i32_e32 54, v142
	s_cbranch_execz .LBB126_1154
; %bb.1153:
	v_pk_mul_f32 v[136:137], v[134:135], v[46:47] op_sel:[1,1] op_sel_hi:[0,1]
	s_delay_alu instid0(VALU_DEP_1)
	v_pk_fma_f32 v[144:145], v[134:135], v[46:47], v[136:137] op_sel_hi:[1,0,1] neg_lo:[0,0,1] neg_hi:[0,0,1]
	v_pk_fma_f32 v[146:147], v[134:135], v[46:47], v[136:137] op_sel_hi:[1,0,1]
	ds_load_2addr_b64 v[134:137], v138 offset0:55 offset1:56
	v_dual_mov_b32 v46, v144 :: v_dual_mov_b32 v47, v147
	s_wait_dscnt 0x0
	v_pk_mul_f32 v[148:149], v[134:135], v[146:147] op_sel:[0,1]
	s_delay_alu instid0(VALU_DEP_1) | instskip(SKIP_1) | instid1(VALU_DEP_1)
	v_pk_fma_f32 v[150:151], v[134:135], v[144:145], v[148:149] op_sel:[0,0,1] op_sel_hi:[1,1,0] neg_lo:[0,0,1] neg_hi:[0,0,1]
	v_pk_fma_f32 v[134:135], v[134:135], v[144:145], v[148:149] op_sel:[0,0,1] op_sel_hi:[1,0,0]
	v_mov_b32_e32 v151, v135
	v_pk_mul_f32 v[134:135], v[136:137], v[146:147] op_sel:[0,1]
	s_delay_alu instid0(VALU_DEP_1) | instskip(SKIP_1) | instid1(VALU_DEP_1)
	v_pk_fma_f32 v[148:149], v[136:137], v[144:145], v[134:135] op_sel:[0,0,1] op_sel_hi:[1,1,0] neg_lo:[0,0,1] neg_hi:[0,0,1]
	v_pk_fma_f32 v[134:135], v[136:137], v[144:145], v[134:135] op_sel:[0,0,1] op_sel_hi:[1,0,0]
	v_mov_b32_e32 v149, v135
	ds_load_2addr_b64 v[134:137], v138 offset0:57 offset1:58
	v_pk_add_f32 v[8:9], v[8:9], v[150:151] neg_lo:[0,1] neg_hi:[0,1]
	v_pk_add_f32 v[32:33], v[32:33], v[148:149] neg_lo:[0,1] neg_hi:[0,1]
	s_wait_dscnt 0x0
	v_pk_mul_f32 v[148:149], v[134:135], v[146:147] op_sel:[0,1]
	s_delay_alu instid0(VALU_DEP_1) | instskip(SKIP_2) | instid1(VALU_DEP_2)
	v_pk_fma_f32 v[150:151], v[134:135], v[144:145], v[148:149] op_sel:[0,0,1] op_sel_hi:[1,1,0] neg_lo:[0,0,1] neg_hi:[0,0,1]
	v_pk_fma_f32 v[134:135], v[134:135], v[144:145], v[148:149] op_sel:[0,0,1] op_sel_hi:[1,0,0]
	v_dual_mul_f32 v148, v137, v147 :: v_dual_mov_b32 v134, v137
	v_dual_mov_b32 v151, v135 :: v_dual_mov_b32 v135, v136
	s_delay_alu instid0(VALU_DEP_2) | instskip(SKIP_1) | instid1(VALU_DEP_3)
	v_pk_fma_f32 v[148:149], v[136:137], v[46:47], v[148:149] op_sel_hi:[1,1,0] neg_lo:[0,0,1] neg_hi:[0,0,1]
	v_mul_f32_e32 v136, v137, v144
	v_pk_add_f32 v[28:29], v[28:29], v[150:151] neg_lo:[0,1] neg_hi:[0,1]
	s_delay_alu instid0(VALU_DEP_2) | instskip(NEXT) | instid1(VALU_DEP_1)
	v_pk_fma_f32 v[134:135], v[134:135], v[46:47], v[136:137] op_sel_hi:[1,1,0]
	v_mov_b32_e32 v149, v135
	ds_load_2addr_b64 v[134:137], v138 offset0:59 offset1:60
	v_pk_add_f32 v[30:31], v[30:31], v[148:149] neg_lo:[0,1] neg_hi:[0,1]
	s_wait_dscnt 0x0
	v_pk_mul_f32 v[148:149], v[134:135], v[146:147] op_sel:[0,1]
	s_delay_alu instid0(VALU_DEP_1) | instskip(SKIP_1) | instid1(VALU_DEP_1)
	v_pk_fma_f32 v[150:151], v[134:135], v[144:145], v[148:149] op_sel:[0,0,1] op_sel_hi:[1,1,0] neg_lo:[0,0,1] neg_hi:[0,0,1]
	v_pk_fma_f32 v[134:135], v[134:135], v[144:145], v[148:149] op_sel:[0,0,1] op_sel_hi:[1,0,0]
	v_mov_b32_e32 v151, v135
	v_pk_mul_f32 v[134:135], v[136:137], v[146:147] op_sel:[0,1]
	s_delay_alu instid0(VALU_DEP_1) | instskip(SKIP_1) | instid1(VALU_DEP_1)
	v_pk_fma_f32 v[148:149], v[136:137], v[144:145], v[134:135] op_sel:[0,0,1] op_sel_hi:[1,1,0] neg_lo:[0,0,1] neg_hi:[0,0,1]
	v_pk_fma_f32 v[134:135], v[136:137], v[144:145], v[134:135] op_sel:[0,0,1] op_sel_hi:[1,0,0]
	v_mov_b32_e32 v149, v135
	ds_load_2addr_b64 v[134:137], v138 offset0:61 offset1:62
	v_pk_add_f32 v[6:7], v[6:7], v[150:151] neg_lo:[0,1] neg_hi:[0,1]
	v_pk_add_f32 v[20:21], v[20:21], v[148:149] neg_lo:[0,1] neg_hi:[0,1]
	s_wait_dscnt 0x0
	v_pk_mul_f32 v[148:149], v[134:135], v[146:147] op_sel:[0,1]
	s_delay_alu instid0(VALU_DEP_1) | instskip(SKIP_1) | instid1(VALU_DEP_1)
	v_pk_fma_f32 v[150:151], v[134:135], v[144:145], v[148:149] op_sel:[0,0,1] op_sel_hi:[1,1,0] neg_lo:[0,0,1] neg_hi:[0,0,1]
	v_pk_fma_f32 v[134:135], v[134:135], v[144:145], v[148:149] op_sel:[0,0,1] op_sel_hi:[1,0,0]
	v_mov_b32_e32 v151, v135
	v_pk_mul_f32 v[134:135], v[136:137], v[146:147] op_sel:[0,1]
	s_delay_alu instid0(VALU_DEP_1) | instskip(SKIP_1) | instid1(VALU_DEP_1)
	v_pk_fma_f32 v[148:149], v[136:137], v[144:145], v[134:135] op_sel:[0,0,1] op_sel_hi:[1,1,0] neg_lo:[0,0,1] neg_hi:[0,0,1]
	v_pk_fma_f32 v[134:135], v[136:137], v[144:145], v[134:135] op_sel:[0,0,1] op_sel_hi:[1,0,0]
	v_mov_b32_e32 v149, v135
	ds_load_b64 v[134:135], v138 offset:504
	v_pk_add_f32 v[14:15], v[14:15], v[150:151] neg_lo:[0,1] neg_hi:[0,1]
	v_pk_add_f32 v[10:11], v[10:11], v[148:149] neg_lo:[0,1] neg_hi:[0,1]
	s_wait_dscnt 0x0
	v_pk_mul_f32 v[136:137], v[134:135], v[146:147] op_sel:[0,1]
	s_delay_alu instid0(VALU_DEP_1) | instskip(SKIP_1) | instid1(VALU_DEP_1)
	v_pk_fma_f32 v[146:147], v[134:135], v[144:145], v[136:137] op_sel:[0,0,1] op_sel_hi:[1,1,0] neg_lo:[0,0,1] neg_hi:[0,0,1]
	v_pk_fma_f32 v[134:135], v[134:135], v[144:145], v[136:137] op_sel:[0,0,1] op_sel_hi:[1,0,0]
	v_mov_b32_e32 v147, v135
	s_delay_alu instid0(VALU_DEP_1)
	v_pk_add_f32 v[132:133], v[132:133], v[146:147] neg_lo:[0,1] neg_hi:[0,1]
.LBB126_1154:
	s_or_b32 exec_lo, exec_lo, s0
	v_lshl_add_u32 v134, v142, 3, v138
	s_barrier_signal -1
	s_barrier_wait -1
	ds_store_b64 v134, v[8:9]
	s_wait_dscnt 0x0
	s_barrier_signal -1
	s_barrier_wait -1
	ds_load_b64 v[134:135], v138 offset:440
	v_mov_b32_e32 v136, 55
	s_cmp_lt_i32 s18, 57
	s_cbranch_scc1 .LBB126_1157
; %bb.1155:
	v_add3_u32 v137, v139, 0, 0x1c0
	v_mov_b32_e32 v136, 55
	s_mov_b32 s0, 56
.LBB126_1156:                           ; =>This Inner Loop Header: Depth=1
	ds_load_b64 v[144:145], v137
	s_wait_dscnt 0x1
	v_cmp_gt_f32_e32 vcc_lo, 0, v134
	v_cndmask_b32_e64 v146, v134, -v134, vcc_lo
	v_cmp_gt_f32_e32 vcc_lo, 0, v135
	v_cndmask_b32_e64 v148, v135, -v135, vcc_lo
	s_wait_dscnt 0x0
	v_cmp_gt_f32_e32 vcc_lo, 0, v144
	v_cndmask_b32_e64 v147, v144, -v144, vcc_lo
	v_cmp_gt_f32_e32 vcc_lo, 0, v145
	v_cndmask_b32_e64 v149, v145, -v145, vcc_lo
	s_delay_alu instid0(VALU_DEP_1) | instskip(NEXT) | instid1(VALU_DEP_1)
	v_pk_add_f32 v[146:147], v[146:147], v[148:149]
	v_cmp_lt_f32_e32 vcc_lo, v146, v147
	v_dual_cndmask_b32 v134, v134, v144 :: v_dual_add_nc_u32 v137, 8, v137
	v_cndmask_b32_e32 v135, v135, v145, vcc_lo
	v_cndmask_b32_e64 v136, v136, s0, vcc_lo
	s_add_co_i32 s0, s0, 1
	s_delay_alu instid0(SALU_CYCLE_1)
	s_cmp_lg_u32 s18, s0
	s_cbranch_scc1 .LBB126_1156
.LBB126_1157:
	s_wait_dscnt 0x0
	v_cmp_eq_f32_e32 vcc_lo, 0, v134
	v_cmp_eq_f32_e64 s0, 0, v135
	s_and_b32 s0, vcc_lo, s0
	s_delay_alu instid0(SALU_CYCLE_1) | instskip(NEXT) | instid1(SALU_CYCLE_1)
	s_and_saveexec_b32 s1, s0
	s_xor_b32 s0, exec_lo, s1
; %bb.1158:
	v_cmp_ne_u32_e32 vcc_lo, 0, v140
	v_cndmask_b32_e32 v140, 56, v140, vcc_lo
; %bb.1159:
	s_and_not1_saveexec_b32 s0, s0
	s_cbranch_execz .LBB126_1165
; %bb.1160:
	v_cmp_ngt_f32_e64 s1, |v134|, |v135|
	s_and_saveexec_b32 s12, s1
	s_delay_alu instid0(SALU_CYCLE_1)
	s_xor_b32 s1, exec_lo, s12
	s_cbranch_execz .LBB126_1162
; %bb.1161:
	v_div_scale_f32 v137, null, v135, v135, v134
	v_div_scale_f32 v145, vcc_lo, v134, v135, v134
	s_delay_alu instid0(VALU_DEP_2) | instskip(SKIP_1) | instid1(TRANS32_DEP_1)
	v_rcp_f32_e32 v143, v137
	v_nop
	v_fma_f32 v144, -v137, v143, 1.0
	s_delay_alu instid0(VALU_DEP_1) | instskip(NEXT) | instid1(VALU_DEP_1)
	v_fmac_f32_e32 v143, v144, v143
	v_mul_f32_e32 v144, v145, v143
	s_delay_alu instid0(VALU_DEP_1) | instskip(NEXT) | instid1(VALU_DEP_1)
	v_fma_f32 v146, -v137, v144, v145
	v_fmac_f32_e32 v144, v146, v143
	s_delay_alu instid0(VALU_DEP_1) | instskip(NEXT) | instid1(VALU_DEP_1)
	v_fma_f32 v137, -v137, v144, v145
	v_div_fmas_f32 v137, v137, v143, v144
	s_delay_alu instid0(VALU_DEP_1) | instskip(NEXT) | instid1(VALU_DEP_1)
	v_div_fixup_f32 v137, v137, v135, v134
	v_fmac_f32_e32 v135, v134, v137
	s_delay_alu instid0(VALU_DEP_1) | instskip(SKIP_1) | instid1(VALU_DEP_2)
	v_div_scale_f32 v134, null, v135, v135, 1.0
	v_div_scale_f32 v145, vcc_lo, 1.0, v135, 1.0
	v_rcp_f32_e32 v143, v134
	v_nop
	s_delay_alu instid0(TRANS32_DEP_1) | instskip(NEXT) | instid1(VALU_DEP_1)
	v_fma_f32 v144, -v134, v143, 1.0
	v_fmac_f32_e32 v143, v144, v143
	s_delay_alu instid0(VALU_DEP_1) | instskip(NEXT) | instid1(VALU_DEP_1)
	v_mul_f32_e32 v144, v145, v143
	v_fma_f32 v146, -v134, v144, v145
	s_delay_alu instid0(VALU_DEP_1) | instskip(NEXT) | instid1(VALU_DEP_1)
	v_fmac_f32_e32 v144, v146, v143
	v_fma_f32 v134, -v134, v144, v145
	s_delay_alu instid0(VALU_DEP_1) | instskip(NEXT) | instid1(VALU_DEP_1)
	v_div_fmas_f32 v134, v134, v143, v144
	v_div_fixup_f32 v135, v134, v135, 1.0
	s_delay_alu instid0(VALU_DEP_1)
	v_mul_f32_e32 v134, v137, v135
	v_xor_b32_e32 v135, 0x80000000, v135
.LBB126_1162:
	s_and_not1_saveexec_b32 s1, s1
	s_cbranch_execz .LBB126_1164
; %bb.1163:
	s_delay_alu instid0(VALU_DEP_1) | instskip(SKIP_1) | instid1(VALU_DEP_2)
	v_div_scale_f32 v137, null, v134, v134, v135
	v_div_scale_f32 v145, vcc_lo, v135, v134, v135
	v_rcp_f32_e32 v143, v137
	v_nop
	s_delay_alu instid0(TRANS32_DEP_1) | instskip(NEXT) | instid1(VALU_DEP_1)
	v_fma_f32 v144, -v137, v143, 1.0
	v_fmac_f32_e32 v143, v144, v143
	s_delay_alu instid0(VALU_DEP_1) | instskip(NEXT) | instid1(VALU_DEP_1)
	v_mul_f32_e32 v144, v145, v143
	v_fma_f32 v146, -v137, v144, v145
	s_delay_alu instid0(VALU_DEP_1) | instskip(NEXT) | instid1(VALU_DEP_1)
	v_fmac_f32_e32 v144, v146, v143
	v_fma_f32 v137, -v137, v144, v145
	s_delay_alu instid0(VALU_DEP_1) | instskip(NEXT) | instid1(VALU_DEP_1)
	v_div_fmas_f32 v137, v137, v143, v144
	v_div_fixup_f32 v137, v137, v134, v135
	s_delay_alu instid0(VALU_DEP_1) | instskip(NEXT) | instid1(VALU_DEP_1)
	v_fmac_f32_e32 v134, v135, v137
	v_div_scale_f32 v135, null, v134, v134, 1.0
	s_delay_alu instid0(VALU_DEP_1) | instskip(SKIP_1) | instid1(TRANS32_DEP_1)
	v_rcp_f32_e32 v143, v135
	v_nop
	v_fma_f32 v144, -v135, v143, 1.0
	s_delay_alu instid0(VALU_DEP_1) | instskip(SKIP_1) | instid1(VALU_DEP_1)
	v_fmac_f32_e32 v143, v144, v143
	v_div_scale_f32 v144, vcc_lo, 1.0, v134, 1.0
	v_mul_f32_e32 v145, v144, v143
	s_delay_alu instid0(VALU_DEP_1) | instskip(NEXT) | instid1(VALU_DEP_1)
	v_fma_f32 v146, -v135, v145, v144
	v_fmac_f32_e32 v145, v146, v143
	s_delay_alu instid0(VALU_DEP_1) | instskip(NEXT) | instid1(VALU_DEP_1)
	v_fma_f32 v135, -v135, v145, v144
	v_div_fmas_f32 v135, v135, v143, v145
	s_delay_alu instid0(VALU_DEP_1) | instskip(NEXT) | instid1(VALU_DEP_1)
	v_div_fixup_f32 v134, v135, v134, 1.0
	v_mul_f32_e64 v135, v137, -v134
.LBB126_1164:
	s_or_b32 exec_lo, exec_lo, s1
.LBB126_1165:
	s_delay_alu instid0(SALU_CYCLE_1) | instskip(NEXT) | instid1(SALU_CYCLE_1)
	s_or_b32 exec_lo, exec_lo, s0
	s_mov_b32 s0, exec_lo
	v_cmpx_ne_u32_e64 v142, v136
	s_xor_b32 s0, exec_lo, s0
	s_cbranch_execz .LBB126_1171
; %bb.1166:
	s_mov_b32 s1, exec_lo
	v_cmpx_eq_u32_e32 55, v142
	s_cbranch_execz .LBB126_1170
; %bb.1167:
	v_cmp_ne_u32_e32 vcc_lo, 55, v136
	s_xor_b32 s12, s16, -1
	s_delay_alu instid0(SALU_CYCLE_1) | instskip(NEXT) | instid1(SALU_CYCLE_1)
	s_and_b32 s13, s12, vcc_lo
	s_and_saveexec_b32 s12, s13
	s_cbranch_execz .LBB126_1169
; %bb.1168:
	v_ashrrev_i32_e32 v137, 31, v136
	s_delay_alu instid0(VALU_DEP_1)
	v_lshl_add_u64 v[142:143], v[136:137], 2, v[4:5]
	s_clause 0x1
	global_load_b32 v137, v[142:143], off
	global_load_b32 v141, v[4:5], off offset:220
	s_wait_loadcnt 0x1
	global_store_b32 v[4:5], v137, off offset:220
	s_wait_loadcnt 0x0
	global_store_b32 v[142:143], v141, off
.LBB126_1169:
	s_wait_xcnt 0x0
	s_or_b32 exec_lo, exec_lo, s12
	v_dual_mov_b32 v142, v136 :: v_dual_mov_b32 v141, v136
.LBB126_1170:
	s_or_b32 exec_lo, exec_lo, s1
.LBB126_1171:
	s_and_not1_saveexec_b32 s0, s0
	s_cbranch_execz .LBB126_1173
; %bb.1172:
	v_dual_mov_b32 v136, v32 :: v_dual_mov_b32 v137, v33
	v_dual_mov_b32 v144, v28 :: v_dual_mov_b32 v145, v29
	;; [unrolled: 1-line block ×7, first 2 shown]
	v_mov_b32_e32 v155, v11
	ds_store_2addr_b64 v138, v[136:137], v[144:145] offset0:56 offset1:57
	ds_store_2addr_b64 v138, v[146:147], v[148:149] offset0:58 offset1:59
	;; [unrolled: 1-line block ×4, first 2 shown]
.LBB126_1173:
	s_or_b32 exec_lo, exec_lo, s0
	s_delay_alu instid0(SALU_CYCLE_1)
	s_mov_b32 s0, exec_lo
	s_wait_storecnt_dscnt 0x0
	s_barrier_signal -1
	s_barrier_wait -1
	v_cmpx_lt_i32_e32 55, v142
	s_cbranch_execz .LBB126_1175
; %bb.1174:
	v_pk_mul_f32 v[136:137], v[134:135], v[8:9] op_sel:[1,1] op_sel_hi:[0,1]
	s_delay_alu instid0(VALU_DEP_1)
	v_pk_fma_f32 v[144:145], v[134:135], v[8:9], v[136:137] op_sel_hi:[1,0,1] neg_lo:[0,0,1] neg_hi:[0,0,1]
	v_pk_fma_f32 v[146:147], v[134:135], v[8:9], v[136:137] op_sel_hi:[1,0,1]
	ds_load_2addr_b64 v[134:137], v138 offset0:56 offset1:57
	v_dual_mov_b32 v8, v144 :: v_dual_mov_b32 v9, v147
	s_wait_dscnt 0x0
	v_pk_mul_f32 v[148:149], v[134:135], v[146:147] op_sel:[0,1]
	s_delay_alu instid0(VALU_DEP_1) | instskip(SKIP_1) | instid1(VALU_DEP_1)
	v_pk_fma_f32 v[150:151], v[134:135], v[144:145], v[148:149] op_sel:[0,0,1] op_sel_hi:[1,1,0] neg_lo:[0,0,1] neg_hi:[0,0,1]
	v_pk_fma_f32 v[134:135], v[134:135], v[144:145], v[148:149] op_sel:[0,0,1] op_sel_hi:[1,0,0]
	v_mov_b32_e32 v151, v135
	v_pk_mul_f32 v[134:135], v[136:137], v[146:147] op_sel:[0,1]
	s_delay_alu instid0(VALU_DEP_1) | instskip(SKIP_1) | instid1(VALU_DEP_1)
	v_pk_fma_f32 v[148:149], v[136:137], v[144:145], v[134:135] op_sel:[0,0,1] op_sel_hi:[1,1,0] neg_lo:[0,0,1] neg_hi:[0,0,1]
	v_pk_fma_f32 v[134:135], v[136:137], v[144:145], v[134:135] op_sel:[0,0,1] op_sel_hi:[1,0,0]
	v_mov_b32_e32 v149, v135
	ds_load_2addr_b64 v[134:137], v138 offset0:58 offset1:59
	v_pk_add_f32 v[32:33], v[32:33], v[150:151] neg_lo:[0,1] neg_hi:[0,1]
	v_pk_add_f32 v[28:29], v[28:29], v[148:149] neg_lo:[0,1] neg_hi:[0,1]
	s_wait_dscnt 0x0
	v_pk_mul_f32 v[148:149], v[134:135], v[146:147] op_sel:[0,1]
	s_delay_alu instid0(VALU_DEP_1) | instskip(SKIP_2) | instid1(VALU_DEP_2)
	v_pk_fma_f32 v[150:151], v[134:135], v[144:145], v[148:149] op_sel:[0,0,1] op_sel_hi:[1,1,0] neg_lo:[0,0,1] neg_hi:[0,0,1]
	v_pk_fma_f32 v[134:135], v[134:135], v[144:145], v[148:149] op_sel:[0,0,1] op_sel_hi:[1,0,0]
	v_dual_mul_f32 v148, v137, v147 :: v_dual_mov_b32 v134, v137
	v_dual_mov_b32 v151, v135 :: v_dual_mov_b32 v135, v136
	s_delay_alu instid0(VALU_DEP_2) | instskip(SKIP_1) | instid1(VALU_DEP_3)
	v_pk_fma_f32 v[148:149], v[136:137], v[8:9], v[148:149] op_sel_hi:[1,1,0] neg_lo:[0,0,1] neg_hi:[0,0,1]
	v_mul_f32_e32 v136, v137, v144
	v_pk_add_f32 v[30:31], v[30:31], v[150:151] neg_lo:[0,1] neg_hi:[0,1]
	s_delay_alu instid0(VALU_DEP_2) | instskip(NEXT) | instid1(VALU_DEP_1)
	v_pk_fma_f32 v[134:135], v[134:135], v[8:9], v[136:137] op_sel_hi:[1,1,0]
	v_mov_b32_e32 v149, v135
	ds_load_2addr_b64 v[134:137], v138 offset0:60 offset1:61
	v_pk_add_f32 v[6:7], v[6:7], v[148:149] neg_lo:[0,1] neg_hi:[0,1]
	s_wait_dscnt 0x0
	v_pk_mul_f32 v[148:149], v[134:135], v[146:147] op_sel:[0,1]
	s_delay_alu instid0(VALU_DEP_1) | instskip(SKIP_1) | instid1(VALU_DEP_1)
	v_pk_fma_f32 v[150:151], v[134:135], v[144:145], v[148:149] op_sel:[0,0,1] op_sel_hi:[1,1,0] neg_lo:[0,0,1] neg_hi:[0,0,1]
	v_pk_fma_f32 v[134:135], v[134:135], v[144:145], v[148:149] op_sel:[0,0,1] op_sel_hi:[1,0,0]
	v_mov_b32_e32 v151, v135
	v_pk_mul_f32 v[134:135], v[136:137], v[146:147] op_sel:[0,1]
	s_delay_alu instid0(VALU_DEP_1) | instskip(SKIP_1) | instid1(VALU_DEP_1)
	v_pk_fma_f32 v[148:149], v[136:137], v[144:145], v[134:135] op_sel:[0,0,1] op_sel_hi:[1,1,0] neg_lo:[0,0,1] neg_hi:[0,0,1]
	v_pk_fma_f32 v[134:135], v[136:137], v[144:145], v[134:135] op_sel:[0,0,1] op_sel_hi:[1,0,0]
	v_mov_b32_e32 v149, v135
	ds_load_2addr_b64 v[134:137], v138 offset0:62 offset1:63
	v_pk_add_f32 v[20:21], v[20:21], v[150:151] neg_lo:[0,1] neg_hi:[0,1]
	v_pk_add_f32 v[14:15], v[14:15], v[148:149] neg_lo:[0,1] neg_hi:[0,1]
	s_wait_dscnt 0x0
	v_pk_mul_f32 v[148:149], v[134:135], v[146:147] op_sel:[0,1]
	s_delay_alu instid0(VALU_DEP_1) | instskip(SKIP_1) | instid1(VALU_DEP_1)
	v_pk_fma_f32 v[150:151], v[134:135], v[144:145], v[148:149] op_sel:[0,0,1] op_sel_hi:[1,1,0] neg_lo:[0,0,1] neg_hi:[0,0,1]
	v_pk_fma_f32 v[134:135], v[134:135], v[144:145], v[148:149] op_sel:[0,0,1] op_sel_hi:[1,0,0]
	v_mov_b32_e32 v151, v135
	v_pk_mul_f32 v[134:135], v[136:137], v[146:147] op_sel:[0,1]
	s_delay_alu instid0(VALU_DEP_1) | instskip(SKIP_1) | instid1(VALU_DEP_1)
	v_pk_fma_f32 v[146:147], v[136:137], v[144:145], v[134:135] op_sel:[0,0,1] op_sel_hi:[1,1,0] neg_lo:[0,0,1] neg_hi:[0,0,1]
	v_pk_fma_f32 v[134:135], v[136:137], v[144:145], v[134:135] op_sel:[0,0,1] op_sel_hi:[1,0,0]
	v_mov_b32_e32 v147, v135
	v_pk_add_f32 v[10:11], v[10:11], v[150:151] neg_lo:[0,1] neg_hi:[0,1]
	s_delay_alu instid0(VALU_DEP_2)
	v_pk_add_f32 v[132:133], v[132:133], v[146:147] neg_lo:[0,1] neg_hi:[0,1]
.LBB126_1175:
	s_or_b32 exec_lo, exec_lo, s0
	v_lshl_add_u32 v134, v142, 3, v138
	s_barrier_signal -1
	s_barrier_wait -1
	ds_store_b64 v134, v[32:33]
	s_wait_dscnt 0x0
	s_barrier_signal -1
	s_barrier_wait -1
	ds_load_b64 v[134:135], v138 offset:448
	v_mov_b32_e32 v136, 56
	s_cmp_lt_i32 s18, 58
	s_cbranch_scc1 .LBB126_1178
; %bb.1176:
	v_add3_u32 v137, v139, 0, 0x1c8
	v_mov_b32_e32 v136, 56
	s_mov_b32 s0, 57
.LBB126_1177:                           ; =>This Inner Loop Header: Depth=1
	ds_load_b64 v[144:145], v137
	s_wait_dscnt 0x1
	v_cmp_gt_f32_e32 vcc_lo, 0, v134
	v_cndmask_b32_e64 v146, v134, -v134, vcc_lo
	v_cmp_gt_f32_e32 vcc_lo, 0, v135
	v_cndmask_b32_e64 v148, v135, -v135, vcc_lo
	s_wait_dscnt 0x0
	v_cmp_gt_f32_e32 vcc_lo, 0, v144
	v_cndmask_b32_e64 v147, v144, -v144, vcc_lo
	v_cmp_gt_f32_e32 vcc_lo, 0, v145
	v_cndmask_b32_e64 v149, v145, -v145, vcc_lo
	s_delay_alu instid0(VALU_DEP_1) | instskip(NEXT) | instid1(VALU_DEP_1)
	v_pk_add_f32 v[146:147], v[146:147], v[148:149]
	v_cmp_lt_f32_e32 vcc_lo, v146, v147
	v_dual_cndmask_b32 v134, v134, v144 :: v_dual_add_nc_u32 v137, 8, v137
	v_cndmask_b32_e32 v135, v135, v145, vcc_lo
	v_cndmask_b32_e64 v136, v136, s0, vcc_lo
	s_add_co_i32 s0, s0, 1
	s_delay_alu instid0(SALU_CYCLE_1)
	s_cmp_lg_u32 s18, s0
	s_cbranch_scc1 .LBB126_1177
.LBB126_1178:
	s_wait_dscnt 0x0
	v_cmp_eq_f32_e32 vcc_lo, 0, v134
	v_cmp_eq_f32_e64 s0, 0, v135
	s_and_b32 s0, vcc_lo, s0
	s_delay_alu instid0(SALU_CYCLE_1) | instskip(NEXT) | instid1(SALU_CYCLE_1)
	s_and_saveexec_b32 s1, s0
	s_xor_b32 s0, exec_lo, s1
; %bb.1179:
	v_cmp_ne_u32_e32 vcc_lo, 0, v140
	v_cndmask_b32_e32 v140, 57, v140, vcc_lo
; %bb.1180:
	s_and_not1_saveexec_b32 s0, s0
	s_cbranch_execz .LBB126_1186
; %bb.1181:
	v_cmp_ngt_f32_e64 s1, |v134|, |v135|
	s_and_saveexec_b32 s12, s1
	s_delay_alu instid0(SALU_CYCLE_1)
	s_xor_b32 s1, exec_lo, s12
	s_cbranch_execz .LBB126_1183
; %bb.1182:
	v_div_scale_f32 v137, null, v135, v135, v134
	v_div_scale_f32 v145, vcc_lo, v134, v135, v134
	s_delay_alu instid0(VALU_DEP_2) | instskip(SKIP_1) | instid1(TRANS32_DEP_1)
	v_rcp_f32_e32 v143, v137
	v_nop
	v_fma_f32 v144, -v137, v143, 1.0
	s_delay_alu instid0(VALU_DEP_1) | instskip(NEXT) | instid1(VALU_DEP_1)
	v_fmac_f32_e32 v143, v144, v143
	v_mul_f32_e32 v144, v145, v143
	s_delay_alu instid0(VALU_DEP_1) | instskip(NEXT) | instid1(VALU_DEP_1)
	v_fma_f32 v146, -v137, v144, v145
	v_fmac_f32_e32 v144, v146, v143
	s_delay_alu instid0(VALU_DEP_1) | instskip(NEXT) | instid1(VALU_DEP_1)
	v_fma_f32 v137, -v137, v144, v145
	v_div_fmas_f32 v137, v137, v143, v144
	s_delay_alu instid0(VALU_DEP_1) | instskip(NEXT) | instid1(VALU_DEP_1)
	v_div_fixup_f32 v137, v137, v135, v134
	v_fmac_f32_e32 v135, v134, v137
	s_delay_alu instid0(VALU_DEP_1) | instskip(SKIP_1) | instid1(VALU_DEP_2)
	v_div_scale_f32 v134, null, v135, v135, 1.0
	v_div_scale_f32 v145, vcc_lo, 1.0, v135, 1.0
	v_rcp_f32_e32 v143, v134
	v_nop
	s_delay_alu instid0(TRANS32_DEP_1) | instskip(NEXT) | instid1(VALU_DEP_1)
	v_fma_f32 v144, -v134, v143, 1.0
	v_fmac_f32_e32 v143, v144, v143
	s_delay_alu instid0(VALU_DEP_1) | instskip(NEXT) | instid1(VALU_DEP_1)
	v_mul_f32_e32 v144, v145, v143
	v_fma_f32 v146, -v134, v144, v145
	s_delay_alu instid0(VALU_DEP_1) | instskip(NEXT) | instid1(VALU_DEP_1)
	v_fmac_f32_e32 v144, v146, v143
	v_fma_f32 v134, -v134, v144, v145
	s_delay_alu instid0(VALU_DEP_1) | instskip(NEXT) | instid1(VALU_DEP_1)
	v_div_fmas_f32 v134, v134, v143, v144
	v_div_fixup_f32 v135, v134, v135, 1.0
	s_delay_alu instid0(VALU_DEP_1)
	v_mul_f32_e32 v134, v137, v135
	v_xor_b32_e32 v135, 0x80000000, v135
.LBB126_1183:
	s_and_not1_saveexec_b32 s1, s1
	s_cbranch_execz .LBB126_1185
; %bb.1184:
	s_delay_alu instid0(VALU_DEP_1) | instskip(SKIP_1) | instid1(VALU_DEP_2)
	v_div_scale_f32 v137, null, v134, v134, v135
	v_div_scale_f32 v145, vcc_lo, v135, v134, v135
	v_rcp_f32_e32 v143, v137
	v_nop
	s_delay_alu instid0(TRANS32_DEP_1) | instskip(NEXT) | instid1(VALU_DEP_1)
	v_fma_f32 v144, -v137, v143, 1.0
	v_fmac_f32_e32 v143, v144, v143
	s_delay_alu instid0(VALU_DEP_1) | instskip(NEXT) | instid1(VALU_DEP_1)
	v_mul_f32_e32 v144, v145, v143
	v_fma_f32 v146, -v137, v144, v145
	s_delay_alu instid0(VALU_DEP_1) | instskip(NEXT) | instid1(VALU_DEP_1)
	v_fmac_f32_e32 v144, v146, v143
	v_fma_f32 v137, -v137, v144, v145
	s_delay_alu instid0(VALU_DEP_1) | instskip(NEXT) | instid1(VALU_DEP_1)
	v_div_fmas_f32 v137, v137, v143, v144
	v_div_fixup_f32 v137, v137, v134, v135
	s_delay_alu instid0(VALU_DEP_1) | instskip(NEXT) | instid1(VALU_DEP_1)
	v_fmac_f32_e32 v134, v135, v137
	v_div_scale_f32 v135, null, v134, v134, 1.0
	s_delay_alu instid0(VALU_DEP_1) | instskip(SKIP_1) | instid1(TRANS32_DEP_1)
	v_rcp_f32_e32 v143, v135
	v_nop
	v_fma_f32 v144, -v135, v143, 1.0
	s_delay_alu instid0(VALU_DEP_1) | instskip(SKIP_1) | instid1(VALU_DEP_1)
	v_fmac_f32_e32 v143, v144, v143
	v_div_scale_f32 v144, vcc_lo, 1.0, v134, 1.0
	v_mul_f32_e32 v145, v144, v143
	s_delay_alu instid0(VALU_DEP_1) | instskip(NEXT) | instid1(VALU_DEP_1)
	v_fma_f32 v146, -v135, v145, v144
	v_fmac_f32_e32 v145, v146, v143
	s_delay_alu instid0(VALU_DEP_1) | instskip(NEXT) | instid1(VALU_DEP_1)
	v_fma_f32 v135, -v135, v145, v144
	v_div_fmas_f32 v135, v135, v143, v145
	s_delay_alu instid0(VALU_DEP_1) | instskip(NEXT) | instid1(VALU_DEP_1)
	v_div_fixup_f32 v134, v135, v134, 1.0
	v_mul_f32_e64 v135, v137, -v134
.LBB126_1185:
	s_or_b32 exec_lo, exec_lo, s1
.LBB126_1186:
	s_delay_alu instid0(SALU_CYCLE_1) | instskip(NEXT) | instid1(SALU_CYCLE_1)
	s_or_b32 exec_lo, exec_lo, s0
	s_mov_b32 s0, exec_lo
	v_cmpx_ne_u32_e64 v142, v136
	s_xor_b32 s0, exec_lo, s0
	s_cbranch_execz .LBB126_1192
; %bb.1187:
	s_mov_b32 s1, exec_lo
	v_cmpx_eq_u32_e32 56, v142
	s_cbranch_execz .LBB126_1191
; %bb.1188:
	v_cmp_ne_u32_e32 vcc_lo, 56, v136
	s_xor_b32 s12, s16, -1
	s_delay_alu instid0(SALU_CYCLE_1) | instskip(NEXT) | instid1(SALU_CYCLE_1)
	s_and_b32 s13, s12, vcc_lo
	s_and_saveexec_b32 s12, s13
	s_cbranch_execz .LBB126_1190
; %bb.1189:
	v_ashrrev_i32_e32 v137, 31, v136
	s_delay_alu instid0(VALU_DEP_1)
	v_lshl_add_u64 v[142:143], v[136:137], 2, v[4:5]
	s_clause 0x1
	global_load_b32 v137, v[142:143], off
	global_load_b32 v141, v[4:5], off offset:224
	s_wait_loadcnt 0x1
	global_store_b32 v[4:5], v137, off offset:224
	s_wait_loadcnt 0x0
	global_store_b32 v[142:143], v141, off
.LBB126_1190:
	s_wait_xcnt 0x0
	s_or_b32 exec_lo, exec_lo, s12
	v_dual_mov_b32 v142, v136 :: v_dual_mov_b32 v141, v136
.LBB126_1191:
	s_or_b32 exec_lo, exec_lo, s1
.LBB126_1192:
	s_and_not1_saveexec_b32 s0, s0
	s_cbranch_execz .LBB126_1194
; %bb.1193:
	v_mov_b32_e32 v142, 56
	ds_store_2addr_b64 v138, v[28:29], v[30:31] offset0:57 offset1:58
	ds_store_2addr_b64 v138, v[6:7], v[20:21] offset0:59 offset1:60
	;; [unrolled: 1-line block ×3, first 2 shown]
	ds_store_b64 v138, v[132:133] offset:504
.LBB126_1194:
	s_or_b32 exec_lo, exec_lo, s0
	s_delay_alu instid0(SALU_CYCLE_1)
	s_mov_b32 s0, exec_lo
	s_wait_storecnt_dscnt 0x0
	s_barrier_signal -1
	s_barrier_wait -1
	v_cmpx_lt_i32_e32 56, v142
	s_cbranch_execz .LBB126_1196
; %bb.1195:
	v_pk_mul_f32 v[136:137], v[134:135], v[32:33] op_sel:[1,1] op_sel_hi:[0,1]
	s_delay_alu instid0(VALU_DEP_1)
	v_pk_fma_f32 v[144:145], v[134:135], v[32:33], v[136:137] op_sel_hi:[1,0,1] neg_lo:[0,0,1] neg_hi:[0,0,1]
	v_pk_fma_f32 v[146:147], v[134:135], v[32:33], v[136:137] op_sel_hi:[1,0,1]
	ds_load_2addr_b64 v[134:137], v138 offset0:57 offset1:58
	v_dual_mov_b32 v32, v144 :: v_dual_mov_b32 v33, v147
	s_wait_dscnt 0x0
	v_pk_mul_f32 v[148:149], v[134:135], v[146:147] op_sel:[0,1]
	s_delay_alu instid0(VALU_DEP_1) | instskip(SKIP_1) | instid1(VALU_DEP_1)
	v_pk_fma_f32 v[150:151], v[134:135], v[144:145], v[148:149] op_sel:[0,0,1] op_sel_hi:[1,1,0] neg_lo:[0,0,1] neg_hi:[0,0,1]
	v_pk_fma_f32 v[134:135], v[134:135], v[144:145], v[148:149] op_sel:[0,0,1] op_sel_hi:[1,0,0]
	v_mov_b32_e32 v151, v135
	v_pk_mul_f32 v[134:135], v[136:137], v[146:147] op_sel:[0,1]
	s_delay_alu instid0(VALU_DEP_1) | instskip(SKIP_1) | instid1(VALU_DEP_1)
	v_pk_fma_f32 v[148:149], v[136:137], v[144:145], v[134:135] op_sel:[0,0,1] op_sel_hi:[1,1,0] neg_lo:[0,0,1] neg_hi:[0,0,1]
	v_pk_fma_f32 v[134:135], v[136:137], v[144:145], v[134:135] op_sel:[0,0,1] op_sel_hi:[1,0,0]
	v_mov_b32_e32 v149, v135
	ds_load_2addr_b64 v[134:137], v138 offset0:59 offset1:60
	v_pk_add_f32 v[28:29], v[28:29], v[150:151] neg_lo:[0,1] neg_hi:[0,1]
	v_pk_add_f32 v[30:31], v[30:31], v[148:149] neg_lo:[0,1] neg_hi:[0,1]
	s_wait_dscnt 0x0
	v_pk_mul_f32 v[148:149], v[134:135], v[146:147] op_sel:[0,1]
	s_delay_alu instid0(VALU_DEP_1) | instskip(SKIP_2) | instid1(VALU_DEP_2)
	v_pk_fma_f32 v[150:151], v[134:135], v[144:145], v[148:149] op_sel:[0,0,1] op_sel_hi:[1,1,0] neg_lo:[0,0,1] neg_hi:[0,0,1]
	v_pk_fma_f32 v[134:135], v[134:135], v[144:145], v[148:149] op_sel:[0,0,1] op_sel_hi:[1,0,0]
	v_dual_mul_f32 v148, v137, v147 :: v_dual_mov_b32 v134, v137
	v_dual_mov_b32 v151, v135 :: v_dual_mov_b32 v135, v136
	s_delay_alu instid0(VALU_DEP_2) | instskip(SKIP_1) | instid1(VALU_DEP_3)
	v_pk_fma_f32 v[148:149], v[136:137], v[32:33], v[148:149] op_sel_hi:[1,1,0] neg_lo:[0,0,1] neg_hi:[0,0,1]
	v_mul_f32_e32 v136, v137, v144
	v_pk_add_f32 v[6:7], v[6:7], v[150:151] neg_lo:[0,1] neg_hi:[0,1]
	s_delay_alu instid0(VALU_DEP_2) | instskip(NEXT) | instid1(VALU_DEP_1)
	v_pk_fma_f32 v[134:135], v[134:135], v[32:33], v[136:137] op_sel_hi:[1,1,0]
	v_mov_b32_e32 v149, v135
	ds_load_2addr_b64 v[134:137], v138 offset0:61 offset1:62
	v_pk_add_f32 v[20:21], v[20:21], v[148:149] neg_lo:[0,1] neg_hi:[0,1]
	s_wait_dscnt 0x0
	v_pk_mul_f32 v[148:149], v[134:135], v[146:147] op_sel:[0,1]
	s_delay_alu instid0(VALU_DEP_1) | instskip(SKIP_1) | instid1(VALU_DEP_1)
	v_pk_fma_f32 v[150:151], v[134:135], v[144:145], v[148:149] op_sel:[0,0,1] op_sel_hi:[1,1,0] neg_lo:[0,0,1] neg_hi:[0,0,1]
	v_pk_fma_f32 v[134:135], v[134:135], v[144:145], v[148:149] op_sel:[0,0,1] op_sel_hi:[1,0,0]
	v_mov_b32_e32 v151, v135
	v_pk_mul_f32 v[134:135], v[136:137], v[146:147] op_sel:[0,1]
	s_delay_alu instid0(VALU_DEP_1) | instskip(SKIP_1) | instid1(VALU_DEP_1)
	v_pk_fma_f32 v[148:149], v[136:137], v[144:145], v[134:135] op_sel:[0,0,1] op_sel_hi:[1,1,0] neg_lo:[0,0,1] neg_hi:[0,0,1]
	v_pk_fma_f32 v[134:135], v[136:137], v[144:145], v[134:135] op_sel:[0,0,1] op_sel_hi:[1,0,0]
	v_mov_b32_e32 v149, v135
	ds_load_b64 v[134:135], v138 offset:504
	v_pk_add_f32 v[14:15], v[14:15], v[150:151] neg_lo:[0,1] neg_hi:[0,1]
	v_pk_add_f32 v[10:11], v[10:11], v[148:149] neg_lo:[0,1] neg_hi:[0,1]
	s_wait_dscnt 0x0
	v_pk_mul_f32 v[136:137], v[134:135], v[146:147] op_sel:[0,1]
	s_delay_alu instid0(VALU_DEP_1) | instskip(SKIP_1) | instid1(VALU_DEP_1)
	v_pk_fma_f32 v[146:147], v[134:135], v[144:145], v[136:137] op_sel:[0,0,1] op_sel_hi:[1,1,0] neg_lo:[0,0,1] neg_hi:[0,0,1]
	v_pk_fma_f32 v[134:135], v[134:135], v[144:145], v[136:137] op_sel:[0,0,1] op_sel_hi:[1,0,0]
	v_mov_b32_e32 v147, v135
	s_delay_alu instid0(VALU_DEP_1)
	v_pk_add_f32 v[132:133], v[132:133], v[146:147] neg_lo:[0,1] neg_hi:[0,1]
.LBB126_1196:
	s_or_b32 exec_lo, exec_lo, s0
	v_lshl_add_u32 v134, v142, 3, v138
	s_barrier_signal -1
	s_barrier_wait -1
	ds_store_b64 v134, v[28:29]
	s_wait_dscnt 0x0
	s_barrier_signal -1
	s_barrier_wait -1
	ds_load_b64 v[134:135], v138 offset:456
	v_mov_b32_e32 v136, 57
	s_cmp_lt_i32 s18, 59
	s_cbranch_scc1 .LBB126_1199
; %bb.1197:
	v_add3_u32 v137, v139, 0, 0x1d0
	v_mov_b32_e32 v136, 57
	s_mov_b32 s0, 58
.LBB126_1198:                           ; =>This Inner Loop Header: Depth=1
	ds_load_b64 v[144:145], v137
	s_wait_dscnt 0x1
	v_cmp_gt_f32_e32 vcc_lo, 0, v134
	v_cndmask_b32_e64 v146, v134, -v134, vcc_lo
	v_cmp_gt_f32_e32 vcc_lo, 0, v135
	v_cndmask_b32_e64 v148, v135, -v135, vcc_lo
	s_wait_dscnt 0x0
	v_cmp_gt_f32_e32 vcc_lo, 0, v144
	v_cndmask_b32_e64 v147, v144, -v144, vcc_lo
	v_cmp_gt_f32_e32 vcc_lo, 0, v145
	v_cndmask_b32_e64 v149, v145, -v145, vcc_lo
	s_delay_alu instid0(VALU_DEP_1) | instskip(NEXT) | instid1(VALU_DEP_1)
	v_pk_add_f32 v[146:147], v[146:147], v[148:149]
	v_cmp_lt_f32_e32 vcc_lo, v146, v147
	v_dual_cndmask_b32 v134, v134, v144 :: v_dual_add_nc_u32 v137, 8, v137
	v_cndmask_b32_e32 v135, v135, v145, vcc_lo
	v_cndmask_b32_e64 v136, v136, s0, vcc_lo
	s_add_co_i32 s0, s0, 1
	s_delay_alu instid0(SALU_CYCLE_1)
	s_cmp_lg_u32 s18, s0
	s_cbranch_scc1 .LBB126_1198
.LBB126_1199:
	s_wait_dscnt 0x0
	v_cmp_eq_f32_e32 vcc_lo, 0, v134
	v_cmp_eq_f32_e64 s0, 0, v135
	s_and_b32 s0, vcc_lo, s0
	s_delay_alu instid0(SALU_CYCLE_1) | instskip(NEXT) | instid1(SALU_CYCLE_1)
	s_and_saveexec_b32 s1, s0
	s_xor_b32 s0, exec_lo, s1
; %bb.1200:
	v_cmp_ne_u32_e32 vcc_lo, 0, v140
	v_cndmask_b32_e32 v140, 58, v140, vcc_lo
; %bb.1201:
	s_and_not1_saveexec_b32 s0, s0
	s_cbranch_execz .LBB126_1207
; %bb.1202:
	v_cmp_ngt_f32_e64 s1, |v134|, |v135|
	s_and_saveexec_b32 s12, s1
	s_delay_alu instid0(SALU_CYCLE_1)
	s_xor_b32 s1, exec_lo, s12
	s_cbranch_execz .LBB126_1204
; %bb.1203:
	v_div_scale_f32 v137, null, v135, v135, v134
	v_div_scale_f32 v145, vcc_lo, v134, v135, v134
	s_delay_alu instid0(VALU_DEP_2) | instskip(SKIP_1) | instid1(TRANS32_DEP_1)
	v_rcp_f32_e32 v143, v137
	v_nop
	v_fma_f32 v144, -v137, v143, 1.0
	s_delay_alu instid0(VALU_DEP_1) | instskip(NEXT) | instid1(VALU_DEP_1)
	v_fmac_f32_e32 v143, v144, v143
	v_mul_f32_e32 v144, v145, v143
	s_delay_alu instid0(VALU_DEP_1) | instskip(NEXT) | instid1(VALU_DEP_1)
	v_fma_f32 v146, -v137, v144, v145
	v_fmac_f32_e32 v144, v146, v143
	s_delay_alu instid0(VALU_DEP_1) | instskip(NEXT) | instid1(VALU_DEP_1)
	v_fma_f32 v137, -v137, v144, v145
	v_div_fmas_f32 v137, v137, v143, v144
	s_delay_alu instid0(VALU_DEP_1) | instskip(NEXT) | instid1(VALU_DEP_1)
	v_div_fixup_f32 v137, v137, v135, v134
	v_fmac_f32_e32 v135, v134, v137
	s_delay_alu instid0(VALU_DEP_1) | instskip(SKIP_1) | instid1(VALU_DEP_2)
	v_div_scale_f32 v134, null, v135, v135, 1.0
	v_div_scale_f32 v145, vcc_lo, 1.0, v135, 1.0
	v_rcp_f32_e32 v143, v134
	v_nop
	s_delay_alu instid0(TRANS32_DEP_1) | instskip(NEXT) | instid1(VALU_DEP_1)
	v_fma_f32 v144, -v134, v143, 1.0
	v_fmac_f32_e32 v143, v144, v143
	s_delay_alu instid0(VALU_DEP_1) | instskip(NEXT) | instid1(VALU_DEP_1)
	v_mul_f32_e32 v144, v145, v143
	v_fma_f32 v146, -v134, v144, v145
	s_delay_alu instid0(VALU_DEP_1) | instskip(NEXT) | instid1(VALU_DEP_1)
	v_fmac_f32_e32 v144, v146, v143
	v_fma_f32 v134, -v134, v144, v145
	s_delay_alu instid0(VALU_DEP_1) | instskip(NEXT) | instid1(VALU_DEP_1)
	v_div_fmas_f32 v134, v134, v143, v144
	v_div_fixup_f32 v135, v134, v135, 1.0
	s_delay_alu instid0(VALU_DEP_1)
	v_mul_f32_e32 v134, v137, v135
	v_xor_b32_e32 v135, 0x80000000, v135
.LBB126_1204:
	s_and_not1_saveexec_b32 s1, s1
	s_cbranch_execz .LBB126_1206
; %bb.1205:
	s_delay_alu instid0(VALU_DEP_1) | instskip(SKIP_1) | instid1(VALU_DEP_2)
	v_div_scale_f32 v137, null, v134, v134, v135
	v_div_scale_f32 v145, vcc_lo, v135, v134, v135
	v_rcp_f32_e32 v143, v137
	v_nop
	s_delay_alu instid0(TRANS32_DEP_1) | instskip(NEXT) | instid1(VALU_DEP_1)
	v_fma_f32 v144, -v137, v143, 1.0
	v_fmac_f32_e32 v143, v144, v143
	s_delay_alu instid0(VALU_DEP_1) | instskip(NEXT) | instid1(VALU_DEP_1)
	v_mul_f32_e32 v144, v145, v143
	v_fma_f32 v146, -v137, v144, v145
	s_delay_alu instid0(VALU_DEP_1) | instskip(NEXT) | instid1(VALU_DEP_1)
	v_fmac_f32_e32 v144, v146, v143
	v_fma_f32 v137, -v137, v144, v145
	s_delay_alu instid0(VALU_DEP_1) | instskip(NEXT) | instid1(VALU_DEP_1)
	v_div_fmas_f32 v137, v137, v143, v144
	v_div_fixup_f32 v137, v137, v134, v135
	s_delay_alu instid0(VALU_DEP_1) | instskip(NEXT) | instid1(VALU_DEP_1)
	v_fmac_f32_e32 v134, v135, v137
	v_div_scale_f32 v135, null, v134, v134, 1.0
	s_delay_alu instid0(VALU_DEP_1) | instskip(SKIP_1) | instid1(TRANS32_DEP_1)
	v_rcp_f32_e32 v143, v135
	v_nop
	v_fma_f32 v144, -v135, v143, 1.0
	s_delay_alu instid0(VALU_DEP_1) | instskip(SKIP_1) | instid1(VALU_DEP_1)
	v_fmac_f32_e32 v143, v144, v143
	v_div_scale_f32 v144, vcc_lo, 1.0, v134, 1.0
	v_mul_f32_e32 v145, v144, v143
	s_delay_alu instid0(VALU_DEP_1) | instskip(NEXT) | instid1(VALU_DEP_1)
	v_fma_f32 v146, -v135, v145, v144
	v_fmac_f32_e32 v145, v146, v143
	s_delay_alu instid0(VALU_DEP_1) | instskip(NEXT) | instid1(VALU_DEP_1)
	v_fma_f32 v135, -v135, v145, v144
	v_div_fmas_f32 v135, v135, v143, v145
	s_delay_alu instid0(VALU_DEP_1) | instskip(NEXT) | instid1(VALU_DEP_1)
	v_div_fixup_f32 v134, v135, v134, 1.0
	v_mul_f32_e64 v135, v137, -v134
.LBB126_1206:
	s_or_b32 exec_lo, exec_lo, s1
.LBB126_1207:
	s_delay_alu instid0(SALU_CYCLE_1) | instskip(NEXT) | instid1(SALU_CYCLE_1)
	s_or_b32 exec_lo, exec_lo, s0
	s_mov_b32 s0, exec_lo
	v_cmpx_ne_u32_e64 v142, v136
	s_xor_b32 s0, exec_lo, s0
	s_cbranch_execz .LBB126_1213
; %bb.1208:
	s_mov_b32 s1, exec_lo
	v_cmpx_eq_u32_e32 57, v142
	s_cbranch_execz .LBB126_1212
; %bb.1209:
	v_cmp_ne_u32_e32 vcc_lo, 57, v136
	s_xor_b32 s12, s16, -1
	s_delay_alu instid0(SALU_CYCLE_1) | instskip(NEXT) | instid1(SALU_CYCLE_1)
	s_and_b32 s13, s12, vcc_lo
	s_and_saveexec_b32 s12, s13
	s_cbranch_execz .LBB126_1211
; %bb.1210:
	v_ashrrev_i32_e32 v137, 31, v136
	s_delay_alu instid0(VALU_DEP_1)
	v_lshl_add_u64 v[142:143], v[136:137], 2, v[4:5]
	s_clause 0x1
	global_load_b32 v137, v[142:143], off
	global_load_b32 v141, v[4:5], off offset:228
	s_wait_loadcnt 0x1
	global_store_b32 v[4:5], v137, off offset:228
	s_wait_loadcnt 0x0
	global_store_b32 v[142:143], v141, off
.LBB126_1211:
	s_wait_xcnt 0x0
	s_or_b32 exec_lo, exec_lo, s12
	v_dual_mov_b32 v142, v136 :: v_dual_mov_b32 v141, v136
.LBB126_1212:
	s_or_b32 exec_lo, exec_lo, s1
.LBB126_1213:
	s_and_not1_saveexec_b32 s0, s0
	s_cbranch_execz .LBB126_1215
; %bb.1214:
	v_dual_mov_b32 v136, v30 :: v_dual_mov_b32 v137, v31
	v_dual_mov_b32 v144, v6 :: v_dual_mov_b32 v145, v7
	;; [unrolled: 1-line block ×5, first 2 shown]
	v_mov_b32_e32 v151, v11
	ds_store_2addr_b64 v138, v[136:137], v[144:145] offset0:58 offset1:59
	ds_store_2addr_b64 v138, v[146:147], v[148:149] offset0:60 offset1:61
	;; [unrolled: 1-line block ×3, first 2 shown]
.LBB126_1215:
	s_or_b32 exec_lo, exec_lo, s0
	s_delay_alu instid0(SALU_CYCLE_1)
	s_mov_b32 s0, exec_lo
	s_wait_storecnt_dscnt 0x0
	s_barrier_signal -1
	s_barrier_wait -1
	v_cmpx_lt_i32_e32 57, v142
	s_cbranch_execz .LBB126_1217
; %bb.1216:
	v_pk_mul_f32 v[136:137], v[134:135], v[28:29] op_sel:[1,1] op_sel_hi:[0,1]
	s_delay_alu instid0(VALU_DEP_1)
	v_pk_fma_f32 v[144:145], v[134:135], v[28:29], v[136:137] op_sel_hi:[1,0,1] neg_lo:[0,0,1] neg_hi:[0,0,1]
	v_pk_fma_f32 v[146:147], v[134:135], v[28:29], v[136:137] op_sel_hi:[1,0,1]
	ds_load_2addr_b64 v[134:137], v138 offset0:58 offset1:59
	v_dual_mov_b32 v28, v144 :: v_dual_mov_b32 v29, v147
	s_wait_dscnt 0x0
	v_pk_mul_f32 v[148:149], v[134:135], v[146:147] op_sel:[0,1]
	s_delay_alu instid0(VALU_DEP_1) | instskip(SKIP_1) | instid1(VALU_DEP_1)
	v_pk_fma_f32 v[150:151], v[134:135], v[144:145], v[148:149] op_sel:[0,0,1] op_sel_hi:[1,1,0] neg_lo:[0,0,1] neg_hi:[0,0,1]
	v_pk_fma_f32 v[134:135], v[134:135], v[144:145], v[148:149] op_sel:[0,0,1] op_sel_hi:[1,0,0]
	v_mov_b32_e32 v151, v135
	v_pk_mul_f32 v[134:135], v[136:137], v[146:147] op_sel:[0,1]
	s_delay_alu instid0(VALU_DEP_1) | instskip(SKIP_1) | instid1(VALU_DEP_1)
	v_pk_fma_f32 v[148:149], v[136:137], v[144:145], v[134:135] op_sel:[0,0,1] op_sel_hi:[1,1,0] neg_lo:[0,0,1] neg_hi:[0,0,1]
	v_pk_fma_f32 v[134:135], v[136:137], v[144:145], v[134:135] op_sel:[0,0,1] op_sel_hi:[1,0,0]
	v_mov_b32_e32 v149, v135
	ds_load_2addr_b64 v[134:137], v138 offset0:60 offset1:61
	v_pk_add_f32 v[30:31], v[30:31], v[150:151] neg_lo:[0,1] neg_hi:[0,1]
	v_pk_add_f32 v[6:7], v[6:7], v[148:149] neg_lo:[0,1] neg_hi:[0,1]
	s_wait_dscnt 0x0
	v_pk_mul_f32 v[148:149], v[134:135], v[146:147] op_sel:[0,1]
	s_delay_alu instid0(VALU_DEP_1) | instskip(SKIP_2) | instid1(VALU_DEP_2)
	v_pk_fma_f32 v[150:151], v[134:135], v[144:145], v[148:149] op_sel:[0,0,1] op_sel_hi:[1,1,0] neg_lo:[0,0,1] neg_hi:[0,0,1]
	v_pk_fma_f32 v[134:135], v[134:135], v[144:145], v[148:149] op_sel:[0,0,1] op_sel_hi:[1,0,0]
	v_dual_mul_f32 v148, v137, v147 :: v_dual_mov_b32 v134, v137
	v_dual_mov_b32 v151, v135 :: v_dual_mov_b32 v135, v136
	s_delay_alu instid0(VALU_DEP_2) | instskip(SKIP_1) | instid1(VALU_DEP_3)
	v_pk_fma_f32 v[148:149], v[136:137], v[28:29], v[148:149] op_sel_hi:[1,1,0] neg_lo:[0,0,1] neg_hi:[0,0,1]
	v_mul_f32_e32 v136, v137, v144
	v_pk_add_f32 v[20:21], v[20:21], v[150:151] neg_lo:[0,1] neg_hi:[0,1]
	s_delay_alu instid0(VALU_DEP_2) | instskip(NEXT) | instid1(VALU_DEP_1)
	v_pk_fma_f32 v[134:135], v[134:135], v[28:29], v[136:137] op_sel_hi:[1,1,0]
	v_mov_b32_e32 v149, v135
	ds_load_2addr_b64 v[134:137], v138 offset0:62 offset1:63
	v_pk_add_f32 v[14:15], v[14:15], v[148:149] neg_lo:[0,1] neg_hi:[0,1]
	s_wait_dscnt 0x0
	v_pk_mul_f32 v[148:149], v[134:135], v[146:147] op_sel:[0,1]
	v_mul_f32_e32 v146, v137, v147
	s_delay_alu instid0(VALU_DEP_2) | instskip(SKIP_2) | instid1(VALU_DEP_4)
	v_pk_fma_f32 v[150:151], v[134:135], v[144:145], v[148:149] op_sel:[0,0,1] op_sel_hi:[1,1,0] neg_lo:[0,0,1] neg_hi:[0,0,1]
	v_pk_fma_f32 v[134:135], v[134:135], v[144:145], v[148:149] op_sel:[0,0,1] op_sel_hi:[1,0,0]
	v_mov_b32_e32 v134, v137
	v_pk_fma_f32 v[146:147], v[136:137], v[28:29], v[146:147] op_sel_hi:[1,1,0] neg_lo:[0,0,1] neg_hi:[0,0,1]
	s_delay_alu instid0(VALU_DEP_3) | instskip(SKIP_1) | instid1(VALU_DEP_2)
	v_dual_mov_b32 v151, v135 :: v_dual_mov_b32 v135, v136
	v_mul_f32_e32 v136, v137, v144
	v_pk_add_f32 v[10:11], v[10:11], v[150:151] neg_lo:[0,1] neg_hi:[0,1]
	s_delay_alu instid0(VALU_DEP_2) | instskip(NEXT) | instid1(VALU_DEP_1)
	v_pk_fma_f32 v[134:135], v[134:135], v[28:29], v[136:137] op_sel_hi:[1,1,0]
	v_mov_b32_e32 v147, v135
	s_delay_alu instid0(VALU_DEP_1)
	v_pk_add_f32 v[132:133], v[132:133], v[146:147] neg_lo:[0,1] neg_hi:[0,1]
.LBB126_1217:
	s_or_b32 exec_lo, exec_lo, s0
	v_lshl_add_u32 v134, v142, 3, v138
	s_barrier_signal -1
	s_barrier_wait -1
	ds_store_b64 v134, v[30:31]
	s_wait_dscnt 0x0
	s_barrier_signal -1
	s_barrier_wait -1
	ds_load_b64 v[134:135], v138 offset:464
	v_mov_b32_e32 v136, 58
	s_cmp_lt_i32 s18, 60
	s_cbranch_scc1 .LBB126_1220
; %bb.1218:
	v_add3_u32 v137, v139, 0, 0x1d8
	v_mov_b32_e32 v136, 58
	s_mov_b32 s0, 59
.LBB126_1219:                           ; =>This Inner Loop Header: Depth=1
	ds_load_b64 v[144:145], v137
	s_wait_dscnt 0x1
	v_cmp_gt_f32_e32 vcc_lo, 0, v134
	v_cndmask_b32_e64 v146, v134, -v134, vcc_lo
	v_cmp_gt_f32_e32 vcc_lo, 0, v135
	v_cndmask_b32_e64 v148, v135, -v135, vcc_lo
	s_wait_dscnt 0x0
	v_cmp_gt_f32_e32 vcc_lo, 0, v144
	v_cndmask_b32_e64 v147, v144, -v144, vcc_lo
	v_cmp_gt_f32_e32 vcc_lo, 0, v145
	v_cndmask_b32_e64 v149, v145, -v145, vcc_lo
	s_delay_alu instid0(VALU_DEP_1) | instskip(NEXT) | instid1(VALU_DEP_1)
	v_pk_add_f32 v[146:147], v[146:147], v[148:149]
	v_cmp_lt_f32_e32 vcc_lo, v146, v147
	v_dual_cndmask_b32 v134, v134, v144 :: v_dual_add_nc_u32 v137, 8, v137
	v_cndmask_b32_e32 v135, v135, v145, vcc_lo
	v_cndmask_b32_e64 v136, v136, s0, vcc_lo
	s_add_co_i32 s0, s0, 1
	s_delay_alu instid0(SALU_CYCLE_1)
	s_cmp_lg_u32 s18, s0
	s_cbranch_scc1 .LBB126_1219
.LBB126_1220:
	s_wait_dscnt 0x0
	v_cmp_eq_f32_e32 vcc_lo, 0, v134
	v_cmp_eq_f32_e64 s0, 0, v135
	s_and_b32 s0, vcc_lo, s0
	s_delay_alu instid0(SALU_CYCLE_1) | instskip(NEXT) | instid1(SALU_CYCLE_1)
	s_and_saveexec_b32 s1, s0
	s_xor_b32 s0, exec_lo, s1
; %bb.1221:
	v_cmp_ne_u32_e32 vcc_lo, 0, v140
	v_cndmask_b32_e32 v140, 59, v140, vcc_lo
; %bb.1222:
	s_and_not1_saveexec_b32 s0, s0
	s_cbranch_execz .LBB126_1228
; %bb.1223:
	v_cmp_ngt_f32_e64 s1, |v134|, |v135|
	s_and_saveexec_b32 s12, s1
	s_delay_alu instid0(SALU_CYCLE_1)
	s_xor_b32 s1, exec_lo, s12
	s_cbranch_execz .LBB126_1225
; %bb.1224:
	v_div_scale_f32 v137, null, v135, v135, v134
	v_div_scale_f32 v145, vcc_lo, v134, v135, v134
	s_delay_alu instid0(VALU_DEP_2) | instskip(SKIP_1) | instid1(TRANS32_DEP_1)
	v_rcp_f32_e32 v143, v137
	v_nop
	v_fma_f32 v144, -v137, v143, 1.0
	s_delay_alu instid0(VALU_DEP_1) | instskip(NEXT) | instid1(VALU_DEP_1)
	v_fmac_f32_e32 v143, v144, v143
	v_mul_f32_e32 v144, v145, v143
	s_delay_alu instid0(VALU_DEP_1) | instskip(NEXT) | instid1(VALU_DEP_1)
	v_fma_f32 v146, -v137, v144, v145
	v_fmac_f32_e32 v144, v146, v143
	s_delay_alu instid0(VALU_DEP_1) | instskip(NEXT) | instid1(VALU_DEP_1)
	v_fma_f32 v137, -v137, v144, v145
	v_div_fmas_f32 v137, v137, v143, v144
	s_delay_alu instid0(VALU_DEP_1) | instskip(NEXT) | instid1(VALU_DEP_1)
	v_div_fixup_f32 v137, v137, v135, v134
	v_fmac_f32_e32 v135, v134, v137
	s_delay_alu instid0(VALU_DEP_1) | instskip(SKIP_1) | instid1(VALU_DEP_2)
	v_div_scale_f32 v134, null, v135, v135, 1.0
	v_div_scale_f32 v145, vcc_lo, 1.0, v135, 1.0
	v_rcp_f32_e32 v143, v134
	v_nop
	s_delay_alu instid0(TRANS32_DEP_1) | instskip(NEXT) | instid1(VALU_DEP_1)
	v_fma_f32 v144, -v134, v143, 1.0
	v_fmac_f32_e32 v143, v144, v143
	s_delay_alu instid0(VALU_DEP_1) | instskip(NEXT) | instid1(VALU_DEP_1)
	v_mul_f32_e32 v144, v145, v143
	v_fma_f32 v146, -v134, v144, v145
	s_delay_alu instid0(VALU_DEP_1) | instskip(NEXT) | instid1(VALU_DEP_1)
	v_fmac_f32_e32 v144, v146, v143
	v_fma_f32 v134, -v134, v144, v145
	s_delay_alu instid0(VALU_DEP_1) | instskip(NEXT) | instid1(VALU_DEP_1)
	v_div_fmas_f32 v134, v134, v143, v144
	v_div_fixup_f32 v135, v134, v135, 1.0
	s_delay_alu instid0(VALU_DEP_1)
	v_mul_f32_e32 v134, v137, v135
	v_xor_b32_e32 v135, 0x80000000, v135
.LBB126_1225:
	s_and_not1_saveexec_b32 s1, s1
	s_cbranch_execz .LBB126_1227
; %bb.1226:
	s_delay_alu instid0(VALU_DEP_1) | instskip(SKIP_1) | instid1(VALU_DEP_2)
	v_div_scale_f32 v137, null, v134, v134, v135
	v_div_scale_f32 v145, vcc_lo, v135, v134, v135
	v_rcp_f32_e32 v143, v137
	v_nop
	s_delay_alu instid0(TRANS32_DEP_1) | instskip(NEXT) | instid1(VALU_DEP_1)
	v_fma_f32 v144, -v137, v143, 1.0
	v_fmac_f32_e32 v143, v144, v143
	s_delay_alu instid0(VALU_DEP_1) | instskip(NEXT) | instid1(VALU_DEP_1)
	v_mul_f32_e32 v144, v145, v143
	v_fma_f32 v146, -v137, v144, v145
	s_delay_alu instid0(VALU_DEP_1) | instskip(NEXT) | instid1(VALU_DEP_1)
	v_fmac_f32_e32 v144, v146, v143
	v_fma_f32 v137, -v137, v144, v145
	s_delay_alu instid0(VALU_DEP_1) | instskip(NEXT) | instid1(VALU_DEP_1)
	v_div_fmas_f32 v137, v137, v143, v144
	v_div_fixup_f32 v137, v137, v134, v135
	s_delay_alu instid0(VALU_DEP_1) | instskip(NEXT) | instid1(VALU_DEP_1)
	v_fmac_f32_e32 v134, v135, v137
	v_div_scale_f32 v135, null, v134, v134, 1.0
	s_delay_alu instid0(VALU_DEP_1) | instskip(SKIP_1) | instid1(TRANS32_DEP_1)
	v_rcp_f32_e32 v143, v135
	v_nop
	v_fma_f32 v144, -v135, v143, 1.0
	s_delay_alu instid0(VALU_DEP_1) | instskip(SKIP_1) | instid1(VALU_DEP_1)
	v_fmac_f32_e32 v143, v144, v143
	v_div_scale_f32 v144, vcc_lo, 1.0, v134, 1.0
	v_mul_f32_e32 v145, v144, v143
	s_delay_alu instid0(VALU_DEP_1) | instskip(NEXT) | instid1(VALU_DEP_1)
	v_fma_f32 v146, -v135, v145, v144
	v_fmac_f32_e32 v145, v146, v143
	s_delay_alu instid0(VALU_DEP_1) | instskip(NEXT) | instid1(VALU_DEP_1)
	v_fma_f32 v135, -v135, v145, v144
	v_div_fmas_f32 v135, v135, v143, v145
	s_delay_alu instid0(VALU_DEP_1) | instskip(NEXT) | instid1(VALU_DEP_1)
	v_div_fixup_f32 v134, v135, v134, 1.0
	v_mul_f32_e64 v135, v137, -v134
.LBB126_1227:
	s_or_b32 exec_lo, exec_lo, s1
.LBB126_1228:
	s_delay_alu instid0(SALU_CYCLE_1) | instskip(NEXT) | instid1(SALU_CYCLE_1)
	s_or_b32 exec_lo, exec_lo, s0
	s_mov_b32 s0, exec_lo
	v_cmpx_ne_u32_e64 v142, v136
	s_xor_b32 s0, exec_lo, s0
	s_cbranch_execz .LBB126_1234
; %bb.1229:
	s_mov_b32 s1, exec_lo
	v_cmpx_eq_u32_e32 58, v142
	s_cbranch_execz .LBB126_1233
; %bb.1230:
	v_cmp_ne_u32_e32 vcc_lo, 58, v136
	s_xor_b32 s12, s16, -1
	s_delay_alu instid0(SALU_CYCLE_1) | instskip(NEXT) | instid1(SALU_CYCLE_1)
	s_and_b32 s13, s12, vcc_lo
	s_and_saveexec_b32 s12, s13
	s_cbranch_execz .LBB126_1232
; %bb.1231:
	v_ashrrev_i32_e32 v137, 31, v136
	s_delay_alu instid0(VALU_DEP_1)
	v_lshl_add_u64 v[142:143], v[136:137], 2, v[4:5]
	s_clause 0x1
	global_load_b32 v137, v[142:143], off
	global_load_b32 v141, v[4:5], off offset:232
	s_wait_loadcnt 0x1
	global_store_b32 v[4:5], v137, off offset:232
	s_wait_loadcnt 0x0
	global_store_b32 v[142:143], v141, off
.LBB126_1232:
	s_wait_xcnt 0x0
	s_or_b32 exec_lo, exec_lo, s12
	v_dual_mov_b32 v142, v136 :: v_dual_mov_b32 v141, v136
.LBB126_1233:
	s_or_b32 exec_lo, exec_lo, s1
.LBB126_1234:
	s_and_not1_saveexec_b32 s0, s0
	s_cbranch_execz .LBB126_1236
; %bb.1235:
	v_mov_b32_e32 v142, 58
	ds_store_2addr_b64 v138, v[6:7], v[20:21] offset0:59 offset1:60
	ds_store_2addr_b64 v138, v[14:15], v[10:11] offset0:61 offset1:62
	ds_store_b64 v138, v[132:133] offset:504
.LBB126_1236:
	s_or_b32 exec_lo, exec_lo, s0
	s_delay_alu instid0(SALU_CYCLE_1)
	s_mov_b32 s0, exec_lo
	s_wait_storecnt_dscnt 0x0
	s_barrier_signal -1
	s_barrier_wait -1
	v_cmpx_lt_i32_e32 58, v142
	s_cbranch_execz .LBB126_1238
; %bb.1237:
	v_pk_mul_f32 v[136:137], v[134:135], v[30:31] op_sel:[1,1] op_sel_hi:[0,1]
	s_delay_alu instid0(VALU_DEP_1)
	v_pk_fma_f32 v[144:145], v[134:135], v[30:31], v[136:137] op_sel_hi:[1,0,1] neg_lo:[0,0,1] neg_hi:[0,0,1]
	v_pk_fma_f32 v[146:147], v[134:135], v[30:31], v[136:137] op_sel_hi:[1,0,1]
	ds_load_2addr_b64 v[134:137], v138 offset0:59 offset1:60
	v_dual_mov_b32 v30, v144 :: v_dual_mov_b32 v31, v147
	s_wait_dscnt 0x0
	v_pk_mul_f32 v[148:149], v[134:135], v[146:147] op_sel:[0,1]
	s_delay_alu instid0(VALU_DEP_1) | instskip(SKIP_1) | instid1(VALU_DEP_1)
	v_pk_fma_f32 v[150:151], v[134:135], v[144:145], v[148:149] op_sel:[0,0,1] op_sel_hi:[1,1,0] neg_lo:[0,0,1] neg_hi:[0,0,1]
	v_pk_fma_f32 v[134:135], v[134:135], v[144:145], v[148:149] op_sel:[0,0,1] op_sel_hi:[1,0,0]
	v_mov_b32_e32 v151, v135
	v_pk_mul_f32 v[134:135], v[136:137], v[146:147] op_sel:[0,1]
	s_delay_alu instid0(VALU_DEP_1) | instskip(SKIP_1) | instid1(VALU_DEP_1)
	v_pk_fma_f32 v[148:149], v[136:137], v[144:145], v[134:135] op_sel:[0,0,1] op_sel_hi:[1,1,0] neg_lo:[0,0,1] neg_hi:[0,0,1]
	v_pk_fma_f32 v[134:135], v[136:137], v[144:145], v[134:135] op_sel:[0,0,1] op_sel_hi:[1,0,0]
	v_mov_b32_e32 v149, v135
	ds_load_2addr_b64 v[134:137], v138 offset0:61 offset1:62
	v_pk_add_f32 v[6:7], v[6:7], v[150:151] neg_lo:[0,1] neg_hi:[0,1]
	v_pk_add_f32 v[20:21], v[20:21], v[148:149] neg_lo:[0,1] neg_hi:[0,1]
	s_wait_dscnt 0x0
	v_pk_mul_f32 v[148:149], v[134:135], v[146:147] op_sel:[0,1]
	s_delay_alu instid0(VALU_DEP_1) | instskip(SKIP_2) | instid1(VALU_DEP_2)
	v_pk_fma_f32 v[150:151], v[134:135], v[144:145], v[148:149] op_sel:[0,0,1] op_sel_hi:[1,1,0] neg_lo:[0,0,1] neg_hi:[0,0,1]
	v_pk_fma_f32 v[134:135], v[134:135], v[144:145], v[148:149] op_sel:[0,0,1] op_sel_hi:[1,0,0]
	v_dual_mul_f32 v148, v137, v147 :: v_dual_mov_b32 v134, v137
	v_dual_mov_b32 v151, v135 :: v_dual_mov_b32 v135, v136
	s_delay_alu instid0(VALU_DEP_2) | instskip(SKIP_1) | instid1(VALU_DEP_3)
	v_pk_fma_f32 v[148:149], v[136:137], v[30:31], v[148:149] op_sel_hi:[1,1,0] neg_lo:[0,0,1] neg_hi:[0,0,1]
	v_mul_f32_e32 v136, v137, v144
	v_pk_add_f32 v[14:15], v[14:15], v[150:151] neg_lo:[0,1] neg_hi:[0,1]
	s_delay_alu instid0(VALU_DEP_2) | instskip(NEXT) | instid1(VALU_DEP_1)
	v_pk_fma_f32 v[134:135], v[134:135], v[30:31], v[136:137] op_sel_hi:[1,1,0]
	v_mov_b32_e32 v149, v135
	ds_load_b64 v[134:135], v138 offset:504
	v_pk_add_f32 v[10:11], v[10:11], v[148:149] neg_lo:[0,1] neg_hi:[0,1]
	s_wait_dscnt 0x0
	v_pk_mul_f32 v[136:137], v[134:135], v[146:147] op_sel:[0,1]
	s_delay_alu instid0(VALU_DEP_1) | instskip(SKIP_1) | instid1(VALU_DEP_1)
	v_pk_fma_f32 v[146:147], v[134:135], v[144:145], v[136:137] op_sel:[0,0,1] op_sel_hi:[1,1,0] neg_lo:[0,0,1] neg_hi:[0,0,1]
	v_pk_fma_f32 v[134:135], v[134:135], v[144:145], v[136:137] op_sel:[0,0,1] op_sel_hi:[1,0,0]
	v_mov_b32_e32 v147, v135
	s_delay_alu instid0(VALU_DEP_1)
	v_pk_add_f32 v[132:133], v[132:133], v[146:147] neg_lo:[0,1] neg_hi:[0,1]
.LBB126_1238:
	s_or_b32 exec_lo, exec_lo, s0
	v_lshl_add_u32 v134, v142, 3, v138
	s_barrier_signal -1
	s_barrier_wait -1
	ds_store_b64 v134, v[6:7]
	s_wait_dscnt 0x0
	s_barrier_signal -1
	s_barrier_wait -1
	ds_load_b64 v[134:135], v138 offset:472
	v_mov_b32_e32 v136, 59
	s_cmp_lt_i32 s18, 61
	s_cbranch_scc1 .LBB126_1241
; %bb.1239:
	v_add3_u32 v137, v139, 0, 0x1e0
	v_mov_b32_e32 v136, 59
	s_mov_b32 s0, 60
.LBB126_1240:                           ; =>This Inner Loop Header: Depth=1
	ds_load_b64 v[144:145], v137
	s_wait_dscnt 0x1
	v_cmp_gt_f32_e32 vcc_lo, 0, v134
	v_cndmask_b32_e64 v146, v134, -v134, vcc_lo
	v_cmp_gt_f32_e32 vcc_lo, 0, v135
	v_cndmask_b32_e64 v148, v135, -v135, vcc_lo
	s_wait_dscnt 0x0
	v_cmp_gt_f32_e32 vcc_lo, 0, v144
	v_cndmask_b32_e64 v147, v144, -v144, vcc_lo
	v_cmp_gt_f32_e32 vcc_lo, 0, v145
	v_cndmask_b32_e64 v149, v145, -v145, vcc_lo
	s_delay_alu instid0(VALU_DEP_1) | instskip(NEXT) | instid1(VALU_DEP_1)
	v_pk_add_f32 v[146:147], v[146:147], v[148:149]
	v_cmp_lt_f32_e32 vcc_lo, v146, v147
	v_dual_cndmask_b32 v134, v134, v144 :: v_dual_add_nc_u32 v137, 8, v137
	v_cndmask_b32_e32 v135, v135, v145, vcc_lo
	v_cndmask_b32_e64 v136, v136, s0, vcc_lo
	s_add_co_i32 s0, s0, 1
	s_delay_alu instid0(SALU_CYCLE_1)
	s_cmp_lg_u32 s18, s0
	s_cbranch_scc1 .LBB126_1240
.LBB126_1241:
	s_wait_dscnt 0x0
	v_cmp_eq_f32_e32 vcc_lo, 0, v134
	v_cmp_eq_f32_e64 s0, 0, v135
	s_and_b32 s0, vcc_lo, s0
	s_delay_alu instid0(SALU_CYCLE_1) | instskip(NEXT) | instid1(SALU_CYCLE_1)
	s_and_saveexec_b32 s1, s0
	s_xor_b32 s0, exec_lo, s1
; %bb.1242:
	v_cmp_ne_u32_e32 vcc_lo, 0, v140
	v_cndmask_b32_e32 v140, 60, v140, vcc_lo
; %bb.1243:
	s_and_not1_saveexec_b32 s0, s0
	s_cbranch_execz .LBB126_1249
; %bb.1244:
	v_cmp_ngt_f32_e64 s1, |v134|, |v135|
	s_and_saveexec_b32 s12, s1
	s_delay_alu instid0(SALU_CYCLE_1)
	s_xor_b32 s1, exec_lo, s12
	s_cbranch_execz .LBB126_1246
; %bb.1245:
	v_div_scale_f32 v137, null, v135, v135, v134
	v_div_scale_f32 v145, vcc_lo, v134, v135, v134
	s_delay_alu instid0(VALU_DEP_2) | instskip(SKIP_1) | instid1(TRANS32_DEP_1)
	v_rcp_f32_e32 v143, v137
	v_nop
	v_fma_f32 v144, -v137, v143, 1.0
	s_delay_alu instid0(VALU_DEP_1) | instskip(NEXT) | instid1(VALU_DEP_1)
	v_fmac_f32_e32 v143, v144, v143
	v_mul_f32_e32 v144, v145, v143
	s_delay_alu instid0(VALU_DEP_1) | instskip(NEXT) | instid1(VALU_DEP_1)
	v_fma_f32 v146, -v137, v144, v145
	v_fmac_f32_e32 v144, v146, v143
	s_delay_alu instid0(VALU_DEP_1) | instskip(NEXT) | instid1(VALU_DEP_1)
	v_fma_f32 v137, -v137, v144, v145
	v_div_fmas_f32 v137, v137, v143, v144
	s_delay_alu instid0(VALU_DEP_1) | instskip(NEXT) | instid1(VALU_DEP_1)
	v_div_fixup_f32 v137, v137, v135, v134
	v_fmac_f32_e32 v135, v134, v137
	s_delay_alu instid0(VALU_DEP_1) | instskip(SKIP_1) | instid1(VALU_DEP_2)
	v_div_scale_f32 v134, null, v135, v135, 1.0
	v_div_scale_f32 v145, vcc_lo, 1.0, v135, 1.0
	v_rcp_f32_e32 v143, v134
	v_nop
	s_delay_alu instid0(TRANS32_DEP_1) | instskip(NEXT) | instid1(VALU_DEP_1)
	v_fma_f32 v144, -v134, v143, 1.0
	v_fmac_f32_e32 v143, v144, v143
	s_delay_alu instid0(VALU_DEP_1) | instskip(NEXT) | instid1(VALU_DEP_1)
	v_mul_f32_e32 v144, v145, v143
	v_fma_f32 v146, -v134, v144, v145
	s_delay_alu instid0(VALU_DEP_1) | instskip(NEXT) | instid1(VALU_DEP_1)
	v_fmac_f32_e32 v144, v146, v143
	v_fma_f32 v134, -v134, v144, v145
	s_delay_alu instid0(VALU_DEP_1) | instskip(NEXT) | instid1(VALU_DEP_1)
	v_div_fmas_f32 v134, v134, v143, v144
	v_div_fixup_f32 v135, v134, v135, 1.0
	s_delay_alu instid0(VALU_DEP_1)
	v_mul_f32_e32 v134, v137, v135
	v_xor_b32_e32 v135, 0x80000000, v135
.LBB126_1246:
	s_and_not1_saveexec_b32 s1, s1
	s_cbranch_execz .LBB126_1248
; %bb.1247:
	s_delay_alu instid0(VALU_DEP_1) | instskip(SKIP_1) | instid1(VALU_DEP_2)
	v_div_scale_f32 v137, null, v134, v134, v135
	v_div_scale_f32 v145, vcc_lo, v135, v134, v135
	v_rcp_f32_e32 v143, v137
	v_nop
	s_delay_alu instid0(TRANS32_DEP_1) | instskip(NEXT) | instid1(VALU_DEP_1)
	v_fma_f32 v144, -v137, v143, 1.0
	v_fmac_f32_e32 v143, v144, v143
	s_delay_alu instid0(VALU_DEP_1) | instskip(NEXT) | instid1(VALU_DEP_1)
	v_mul_f32_e32 v144, v145, v143
	v_fma_f32 v146, -v137, v144, v145
	s_delay_alu instid0(VALU_DEP_1) | instskip(NEXT) | instid1(VALU_DEP_1)
	v_fmac_f32_e32 v144, v146, v143
	v_fma_f32 v137, -v137, v144, v145
	s_delay_alu instid0(VALU_DEP_1) | instskip(NEXT) | instid1(VALU_DEP_1)
	v_div_fmas_f32 v137, v137, v143, v144
	v_div_fixup_f32 v137, v137, v134, v135
	s_delay_alu instid0(VALU_DEP_1) | instskip(NEXT) | instid1(VALU_DEP_1)
	v_fmac_f32_e32 v134, v135, v137
	v_div_scale_f32 v135, null, v134, v134, 1.0
	s_delay_alu instid0(VALU_DEP_1) | instskip(SKIP_1) | instid1(TRANS32_DEP_1)
	v_rcp_f32_e32 v143, v135
	v_nop
	v_fma_f32 v144, -v135, v143, 1.0
	s_delay_alu instid0(VALU_DEP_1) | instskip(SKIP_1) | instid1(VALU_DEP_1)
	v_fmac_f32_e32 v143, v144, v143
	v_div_scale_f32 v144, vcc_lo, 1.0, v134, 1.0
	v_mul_f32_e32 v145, v144, v143
	s_delay_alu instid0(VALU_DEP_1) | instskip(NEXT) | instid1(VALU_DEP_1)
	v_fma_f32 v146, -v135, v145, v144
	v_fmac_f32_e32 v145, v146, v143
	s_delay_alu instid0(VALU_DEP_1) | instskip(NEXT) | instid1(VALU_DEP_1)
	v_fma_f32 v135, -v135, v145, v144
	v_div_fmas_f32 v135, v135, v143, v145
	s_delay_alu instid0(VALU_DEP_1) | instskip(NEXT) | instid1(VALU_DEP_1)
	v_div_fixup_f32 v134, v135, v134, 1.0
	v_mul_f32_e64 v135, v137, -v134
.LBB126_1248:
	s_or_b32 exec_lo, exec_lo, s1
.LBB126_1249:
	s_delay_alu instid0(SALU_CYCLE_1) | instskip(NEXT) | instid1(SALU_CYCLE_1)
	s_or_b32 exec_lo, exec_lo, s0
	s_mov_b32 s0, exec_lo
	v_cmpx_ne_u32_e64 v142, v136
	s_xor_b32 s0, exec_lo, s0
	s_cbranch_execz .LBB126_1255
; %bb.1250:
	s_mov_b32 s1, exec_lo
	v_cmpx_eq_u32_e32 59, v142
	s_cbranch_execz .LBB126_1254
; %bb.1251:
	v_cmp_ne_u32_e32 vcc_lo, 59, v136
	s_xor_b32 s12, s16, -1
	s_delay_alu instid0(SALU_CYCLE_1) | instskip(NEXT) | instid1(SALU_CYCLE_1)
	s_and_b32 s13, s12, vcc_lo
	s_and_saveexec_b32 s12, s13
	s_cbranch_execz .LBB126_1253
; %bb.1252:
	v_ashrrev_i32_e32 v137, 31, v136
	s_delay_alu instid0(VALU_DEP_1)
	v_lshl_add_u64 v[142:143], v[136:137], 2, v[4:5]
	s_clause 0x1
	global_load_b32 v137, v[142:143], off
	global_load_b32 v141, v[4:5], off offset:236
	s_wait_loadcnt 0x1
	global_store_b32 v[4:5], v137, off offset:236
	s_wait_loadcnt 0x0
	global_store_b32 v[142:143], v141, off
.LBB126_1253:
	s_wait_xcnt 0x0
	s_or_b32 exec_lo, exec_lo, s12
	v_dual_mov_b32 v142, v136 :: v_dual_mov_b32 v141, v136
.LBB126_1254:
	s_or_b32 exec_lo, exec_lo, s1
.LBB126_1255:
	s_and_not1_saveexec_b32 s0, s0
	s_cbranch_execz .LBB126_1257
; %bb.1256:
	v_dual_mov_b32 v136, v20 :: v_dual_mov_b32 v137, v21
	v_dual_mov_b32 v144, v14 :: v_dual_mov_b32 v145, v15
	;; [unrolled: 1-line block ×3, first 2 shown]
	v_mov_b32_e32 v147, v11
	ds_store_2addr_b64 v138, v[136:137], v[144:145] offset0:60 offset1:61
	ds_store_2addr_b64 v138, v[146:147], v[132:133] offset0:62 offset1:63
.LBB126_1257:
	s_or_b32 exec_lo, exec_lo, s0
	s_delay_alu instid0(SALU_CYCLE_1)
	s_mov_b32 s0, exec_lo
	s_wait_storecnt_dscnt 0x0
	s_barrier_signal -1
	s_barrier_wait -1
	v_cmpx_lt_i32_e32 59, v142
	s_cbranch_execz .LBB126_1259
; %bb.1258:
	v_pk_mul_f32 v[136:137], v[134:135], v[6:7] op_sel:[1,1] op_sel_hi:[0,1]
	s_delay_alu instid0(VALU_DEP_1)
	v_pk_fma_f32 v[144:145], v[134:135], v[6:7], v[136:137] op_sel_hi:[1,0,1] neg_lo:[0,0,1] neg_hi:[0,0,1]
	v_pk_fma_f32 v[146:147], v[134:135], v[6:7], v[136:137] op_sel_hi:[1,0,1]
	ds_load_2addr_b64 v[134:137], v138 offset0:60 offset1:61
	v_dual_mov_b32 v6, v144 :: v_dual_mov_b32 v7, v147
	s_wait_dscnt 0x0
	v_pk_mul_f32 v[148:149], v[134:135], v[146:147] op_sel:[0,1]
	s_delay_alu instid0(VALU_DEP_1) | instskip(SKIP_1) | instid1(VALU_DEP_1)
	v_pk_fma_f32 v[150:151], v[134:135], v[144:145], v[148:149] op_sel:[0,0,1] op_sel_hi:[1,1,0] neg_lo:[0,0,1] neg_hi:[0,0,1]
	v_pk_fma_f32 v[134:135], v[134:135], v[144:145], v[148:149] op_sel:[0,0,1] op_sel_hi:[1,0,0]
	v_mov_b32_e32 v151, v135
	v_pk_mul_f32 v[134:135], v[136:137], v[146:147] op_sel:[0,1]
	s_delay_alu instid0(VALU_DEP_1) | instskip(SKIP_1) | instid1(VALU_DEP_1)
	v_pk_fma_f32 v[148:149], v[136:137], v[144:145], v[134:135] op_sel:[0,0,1] op_sel_hi:[1,1,0] neg_lo:[0,0,1] neg_hi:[0,0,1]
	v_pk_fma_f32 v[134:135], v[136:137], v[144:145], v[134:135] op_sel:[0,0,1] op_sel_hi:[1,0,0]
	v_mov_b32_e32 v149, v135
	ds_load_2addr_b64 v[134:137], v138 offset0:62 offset1:63
	v_pk_add_f32 v[20:21], v[20:21], v[150:151] neg_lo:[0,1] neg_hi:[0,1]
	v_pk_add_f32 v[14:15], v[14:15], v[148:149] neg_lo:[0,1] neg_hi:[0,1]
	s_wait_dscnt 0x0
	v_pk_mul_f32 v[148:149], v[134:135], v[146:147] op_sel:[0,1]
	s_delay_alu instid0(VALU_DEP_1) | instskip(SKIP_1) | instid1(VALU_DEP_1)
	v_pk_fma_f32 v[150:151], v[134:135], v[144:145], v[148:149] op_sel:[0,0,1] op_sel_hi:[1,1,0] neg_lo:[0,0,1] neg_hi:[0,0,1]
	v_pk_fma_f32 v[134:135], v[134:135], v[144:145], v[148:149] op_sel:[0,0,1] op_sel_hi:[1,0,0]
	v_dual_mov_b32 v134, v137 :: v_dual_mov_b32 v151, v135
	v_mov_b32_e32 v135, v136
	s_delay_alu instid0(VALU_DEP_2) | instskip(NEXT) | instid1(VALU_DEP_2)
	v_pk_add_f32 v[10:11], v[10:11], v[150:151] neg_lo:[0,1] neg_hi:[0,1]
	v_pk_mul_f32 v[134:135], v[134:135], v[146:147] op_sel:[0,1]
	s_delay_alu instid0(VALU_DEP_1) | instskip(SKIP_1) | instid1(VALU_DEP_1)
	v_pk_fma_f32 v[146:147], v[136:137], v[144:145], v[134:135] neg_lo:[0,0,1] neg_hi:[0,0,1]
	v_pk_fma_f32 v[134:135], v[136:137], v[144:145], v[134:135] op_sel_hi:[1,0,1]
	v_mov_b32_e32 v147, v135
	s_delay_alu instid0(VALU_DEP_1)
	v_pk_add_f32 v[132:133], v[132:133], v[146:147] neg_lo:[0,1] neg_hi:[0,1]
.LBB126_1259:
	s_or_b32 exec_lo, exec_lo, s0
	v_lshl_add_u32 v134, v142, 3, v138
	s_barrier_signal -1
	s_barrier_wait -1
	ds_store_b64 v134, v[20:21]
	s_wait_dscnt 0x0
	s_barrier_signal -1
	s_barrier_wait -1
	ds_load_b64 v[134:135], v138 offset:480
	v_mov_b32_e32 v136, 60
	s_cmp_lt_i32 s18, 62
	s_cbranch_scc1 .LBB126_1262
; %bb.1260:
	v_add3_u32 v137, v139, 0, 0x1e8
	v_mov_b32_e32 v136, 60
	s_mov_b32 s0, 61
.LBB126_1261:                           ; =>This Inner Loop Header: Depth=1
	ds_load_b64 v[144:145], v137
	s_wait_dscnt 0x1
	v_cmp_gt_f32_e32 vcc_lo, 0, v134
	v_cndmask_b32_e64 v146, v134, -v134, vcc_lo
	v_cmp_gt_f32_e32 vcc_lo, 0, v135
	v_cndmask_b32_e64 v148, v135, -v135, vcc_lo
	s_wait_dscnt 0x0
	v_cmp_gt_f32_e32 vcc_lo, 0, v144
	v_cndmask_b32_e64 v147, v144, -v144, vcc_lo
	v_cmp_gt_f32_e32 vcc_lo, 0, v145
	v_cndmask_b32_e64 v149, v145, -v145, vcc_lo
	s_delay_alu instid0(VALU_DEP_1) | instskip(NEXT) | instid1(VALU_DEP_1)
	v_pk_add_f32 v[146:147], v[146:147], v[148:149]
	v_cmp_lt_f32_e32 vcc_lo, v146, v147
	v_dual_cndmask_b32 v134, v134, v144 :: v_dual_add_nc_u32 v137, 8, v137
	v_cndmask_b32_e32 v135, v135, v145, vcc_lo
	v_cndmask_b32_e64 v136, v136, s0, vcc_lo
	s_add_co_i32 s0, s0, 1
	s_delay_alu instid0(SALU_CYCLE_1)
	s_cmp_lg_u32 s18, s0
	s_cbranch_scc1 .LBB126_1261
.LBB126_1262:
	s_wait_dscnt 0x0
	v_cmp_eq_f32_e32 vcc_lo, 0, v134
	v_cmp_eq_f32_e64 s0, 0, v135
	s_and_b32 s0, vcc_lo, s0
	s_delay_alu instid0(SALU_CYCLE_1) | instskip(NEXT) | instid1(SALU_CYCLE_1)
	s_and_saveexec_b32 s1, s0
	s_xor_b32 s0, exec_lo, s1
; %bb.1263:
	v_cmp_ne_u32_e32 vcc_lo, 0, v140
	v_cndmask_b32_e32 v140, 61, v140, vcc_lo
; %bb.1264:
	s_and_not1_saveexec_b32 s0, s0
	s_cbranch_execz .LBB126_1270
; %bb.1265:
	v_cmp_ngt_f32_e64 s1, |v134|, |v135|
	s_and_saveexec_b32 s12, s1
	s_delay_alu instid0(SALU_CYCLE_1)
	s_xor_b32 s1, exec_lo, s12
	s_cbranch_execz .LBB126_1267
; %bb.1266:
	v_div_scale_f32 v137, null, v135, v135, v134
	v_div_scale_f32 v145, vcc_lo, v134, v135, v134
	s_delay_alu instid0(VALU_DEP_2) | instskip(SKIP_1) | instid1(TRANS32_DEP_1)
	v_rcp_f32_e32 v143, v137
	v_nop
	v_fma_f32 v144, -v137, v143, 1.0
	s_delay_alu instid0(VALU_DEP_1) | instskip(NEXT) | instid1(VALU_DEP_1)
	v_fmac_f32_e32 v143, v144, v143
	v_mul_f32_e32 v144, v145, v143
	s_delay_alu instid0(VALU_DEP_1) | instskip(NEXT) | instid1(VALU_DEP_1)
	v_fma_f32 v146, -v137, v144, v145
	v_fmac_f32_e32 v144, v146, v143
	s_delay_alu instid0(VALU_DEP_1) | instskip(NEXT) | instid1(VALU_DEP_1)
	v_fma_f32 v137, -v137, v144, v145
	v_div_fmas_f32 v137, v137, v143, v144
	s_delay_alu instid0(VALU_DEP_1) | instskip(NEXT) | instid1(VALU_DEP_1)
	v_div_fixup_f32 v137, v137, v135, v134
	v_fmac_f32_e32 v135, v134, v137
	s_delay_alu instid0(VALU_DEP_1) | instskip(SKIP_1) | instid1(VALU_DEP_2)
	v_div_scale_f32 v134, null, v135, v135, 1.0
	v_div_scale_f32 v145, vcc_lo, 1.0, v135, 1.0
	v_rcp_f32_e32 v143, v134
	v_nop
	s_delay_alu instid0(TRANS32_DEP_1) | instskip(NEXT) | instid1(VALU_DEP_1)
	v_fma_f32 v144, -v134, v143, 1.0
	v_fmac_f32_e32 v143, v144, v143
	s_delay_alu instid0(VALU_DEP_1) | instskip(NEXT) | instid1(VALU_DEP_1)
	v_mul_f32_e32 v144, v145, v143
	v_fma_f32 v146, -v134, v144, v145
	s_delay_alu instid0(VALU_DEP_1) | instskip(NEXT) | instid1(VALU_DEP_1)
	v_fmac_f32_e32 v144, v146, v143
	v_fma_f32 v134, -v134, v144, v145
	s_delay_alu instid0(VALU_DEP_1) | instskip(NEXT) | instid1(VALU_DEP_1)
	v_div_fmas_f32 v134, v134, v143, v144
	v_div_fixup_f32 v135, v134, v135, 1.0
	s_delay_alu instid0(VALU_DEP_1)
	v_mul_f32_e32 v134, v137, v135
	v_xor_b32_e32 v135, 0x80000000, v135
.LBB126_1267:
	s_and_not1_saveexec_b32 s1, s1
	s_cbranch_execz .LBB126_1269
; %bb.1268:
	s_delay_alu instid0(VALU_DEP_1) | instskip(SKIP_1) | instid1(VALU_DEP_2)
	v_div_scale_f32 v137, null, v134, v134, v135
	v_div_scale_f32 v145, vcc_lo, v135, v134, v135
	v_rcp_f32_e32 v143, v137
	v_nop
	s_delay_alu instid0(TRANS32_DEP_1) | instskip(NEXT) | instid1(VALU_DEP_1)
	v_fma_f32 v144, -v137, v143, 1.0
	v_fmac_f32_e32 v143, v144, v143
	s_delay_alu instid0(VALU_DEP_1) | instskip(NEXT) | instid1(VALU_DEP_1)
	v_mul_f32_e32 v144, v145, v143
	v_fma_f32 v146, -v137, v144, v145
	s_delay_alu instid0(VALU_DEP_1) | instskip(NEXT) | instid1(VALU_DEP_1)
	v_fmac_f32_e32 v144, v146, v143
	v_fma_f32 v137, -v137, v144, v145
	s_delay_alu instid0(VALU_DEP_1) | instskip(NEXT) | instid1(VALU_DEP_1)
	v_div_fmas_f32 v137, v137, v143, v144
	v_div_fixup_f32 v137, v137, v134, v135
	s_delay_alu instid0(VALU_DEP_1) | instskip(NEXT) | instid1(VALU_DEP_1)
	v_fmac_f32_e32 v134, v135, v137
	v_div_scale_f32 v135, null, v134, v134, 1.0
	s_delay_alu instid0(VALU_DEP_1) | instskip(SKIP_1) | instid1(TRANS32_DEP_1)
	v_rcp_f32_e32 v143, v135
	v_nop
	v_fma_f32 v144, -v135, v143, 1.0
	s_delay_alu instid0(VALU_DEP_1) | instskip(SKIP_1) | instid1(VALU_DEP_1)
	v_fmac_f32_e32 v143, v144, v143
	v_div_scale_f32 v144, vcc_lo, 1.0, v134, 1.0
	v_mul_f32_e32 v145, v144, v143
	s_delay_alu instid0(VALU_DEP_1) | instskip(NEXT) | instid1(VALU_DEP_1)
	v_fma_f32 v146, -v135, v145, v144
	v_fmac_f32_e32 v145, v146, v143
	s_delay_alu instid0(VALU_DEP_1) | instskip(NEXT) | instid1(VALU_DEP_1)
	v_fma_f32 v135, -v135, v145, v144
	v_div_fmas_f32 v135, v135, v143, v145
	s_delay_alu instid0(VALU_DEP_1) | instskip(NEXT) | instid1(VALU_DEP_1)
	v_div_fixup_f32 v134, v135, v134, 1.0
	v_mul_f32_e64 v135, v137, -v134
.LBB126_1269:
	s_or_b32 exec_lo, exec_lo, s1
.LBB126_1270:
	s_delay_alu instid0(SALU_CYCLE_1) | instskip(NEXT) | instid1(SALU_CYCLE_1)
	s_or_b32 exec_lo, exec_lo, s0
	s_mov_b32 s0, exec_lo
	v_cmpx_ne_u32_e64 v142, v136
	s_xor_b32 s0, exec_lo, s0
	s_cbranch_execz .LBB126_1276
; %bb.1271:
	s_mov_b32 s1, exec_lo
	v_cmpx_eq_u32_e32 60, v142
	s_cbranch_execz .LBB126_1275
; %bb.1272:
	v_cmp_ne_u32_e32 vcc_lo, 60, v136
	s_xor_b32 s12, s16, -1
	s_delay_alu instid0(SALU_CYCLE_1) | instskip(NEXT) | instid1(SALU_CYCLE_1)
	s_and_b32 s13, s12, vcc_lo
	s_and_saveexec_b32 s12, s13
	s_cbranch_execz .LBB126_1274
; %bb.1273:
	v_ashrrev_i32_e32 v137, 31, v136
	s_delay_alu instid0(VALU_DEP_1)
	v_lshl_add_u64 v[142:143], v[136:137], 2, v[4:5]
	s_clause 0x1
	global_load_b32 v137, v[142:143], off
	global_load_b32 v141, v[4:5], off offset:240
	s_wait_loadcnt 0x1
	global_store_b32 v[4:5], v137, off offset:240
	s_wait_loadcnt 0x0
	global_store_b32 v[142:143], v141, off
.LBB126_1274:
	s_wait_xcnt 0x0
	s_or_b32 exec_lo, exec_lo, s12
	v_dual_mov_b32 v142, v136 :: v_dual_mov_b32 v141, v136
.LBB126_1275:
	s_or_b32 exec_lo, exec_lo, s1
.LBB126_1276:
	s_and_not1_saveexec_b32 s0, s0
	s_cbranch_execz .LBB126_1278
; %bb.1277:
	v_mov_b32_e32 v142, 60
	ds_store_2addr_b64 v138, v[14:15], v[10:11] offset0:61 offset1:62
	ds_store_b64 v138, v[132:133] offset:504
.LBB126_1278:
	s_or_b32 exec_lo, exec_lo, s0
	s_delay_alu instid0(SALU_CYCLE_1)
	s_mov_b32 s0, exec_lo
	s_wait_storecnt_dscnt 0x0
	s_barrier_signal -1
	s_barrier_wait -1
	v_cmpx_lt_i32_e32 60, v142
	s_cbranch_execz .LBB126_1280
; %bb.1279:
	ds_load_2addr_b64 v[144:147], v138 offset0:61 offset1:62
	ds_load_b64 v[136:137], v138 offset:504
	v_pk_mul_f32 v[148:149], v[134:135], v[20:21] op_sel:[1,1] op_sel_hi:[0,1]
	s_delay_alu instid0(VALU_DEP_1) | instskip(SKIP_2) | instid1(VALU_DEP_2)
	v_pk_fma_f32 v[150:151], v[134:135], v[20:21], v[148:149] op_sel_hi:[1,0,1]
	v_pk_fma_f32 v[20:21], v[134:135], v[20:21], v[148:149] op_sel_hi:[1,0,1] neg_lo:[0,0,1] neg_hi:[0,0,1]
	s_wait_dscnt 0x1
	v_pk_mul_f32 v[134:135], v[144:145], v[150:151] op_sel:[0,1]
	v_pk_mul_f32 v[148:149], v[146:147], v[150:151] op_sel:[0,1]
	s_wait_dscnt 0x0
	v_pk_mul_f32 v[152:153], v[136:137], v[150:151] op_sel:[1,1] op_sel_hi:[0,1]
	s_delay_alu instid0(VALU_DEP_3) | instskip(SKIP_2) | instid1(VALU_DEP_4)
	v_pk_fma_f32 v[154:155], v[144:145], v[20:21], v[134:135] op_sel:[0,0,1] op_sel_hi:[1,1,0] neg_lo:[0,0,1] neg_hi:[0,0,1]
	v_pk_fma_f32 v[134:135], v[144:145], v[20:21], v[134:135] op_sel:[0,0,1] op_sel_hi:[1,0,0]
	v_pk_fma_f32 v[144:145], v[146:147], v[20:21], v[148:149] op_sel:[0,0,1] op_sel_hi:[1,0,0]
	v_pk_fma_f32 v[156:157], v[136:137], v[20:21], v[152:153] op_sel_hi:[1,0,1]
	v_pk_fma_f32 v[146:147], v[146:147], v[20:21], v[148:149] op_sel:[0,0,1] op_sel_hi:[1,1,0] neg_lo:[0,0,1] neg_hi:[0,0,1]
	v_pk_fma_f32 v[136:137], v[136:137], v[20:21], v[152:153] neg_lo:[0,0,1] neg_hi:[0,0,1]
	s_delay_alu instid0(VALU_DEP_4) | instskip(NEXT) | instid1(VALU_DEP_4)
	v_dual_mov_b32 v155, v135 :: v_dual_mov_b32 v147, v145
	v_dual_mov_b32 v137, v157 :: v_dual_mov_b32 v21, v151
	s_delay_alu instid0(VALU_DEP_2) | instskip(NEXT) | instid1(VALU_DEP_3)
	v_pk_add_f32 v[14:15], v[14:15], v[154:155] neg_lo:[0,1] neg_hi:[0,1]
	v_pk_add_f32 v[10:11], v[10:11], v[146:147] neg_lo:[0,1] neg_hi:[0,1]
	s_delay_alu instid0(VALU_DEP_3)
	v_pk_add_f32 v[132:133], v[132:133], v[136:137] neg_lo:[0,1] neg_hi:[0,1]
.LBB126_1280:
	s_or_b32 exec_lo, exec_lo, s0
	v_lshl_add_u32 v134, v142, 3, v138
	s_barrier_signal -1
	s_barrier_wait -1
	ds_store_b64 v134, v[14:15]
	s_wait_dscnt 0x0
	s_barrier_signal -1
	s_barrier_wait -1
	ds_load_b64 v[134:135], v138 offset:488
	v_mov_b32_e32 v136, 61
	s_cmp_lt_i32 s18, 63
	s_cbranch_scc1 .LBB126_1283
; %bb.1281:
	v_add3_u32 v137, v139, 0, 0x1f0
	v_mov_b32_e32 v136, 61
	s_mov_b32 s0, 62
.LBB126_1282:                           ; =>This Inner Loop Header: Depth=1
	ds_load_b64 v[144:145], v137
	s_wait_dscnt 0x1
	v_cmp_gt_f32_e32 vcc_lo, 0, v134
	v_cndmask_b32_e64 v146, v134, -v134, vcc_lo
	v_cmp_gt_f32_e32 vcc_lo, 0, v135
	v_cndmask_b32_e64 v148, v135, -v135, vcc_lo
	s_wait_dscnt 0x0
	v_cmp_gt_f32_e32 vcc_lo, 0, v144
	v_cndmask_b32_e64 v147, v144, -v144, vcc_lo
	v_cmp_gt_f32_e32 vcc_lo, 0, v145
	v_cndmask_b32_e64 v149, v145, -v145, vcc_lo
	s_delay_alu instid0(VALU_DEP_1) | instskip(NEXT) | instid1(VALU_DEP_1)
	v_pk_add_f32 v[146:147], v[146:147], v[148:149]
	v_cmp_lt_f32_e32 vcc_lo, v146, v147
	v_dual_cndmask_b32 v134, v134, v144 :: v_dual_add_nc_u32 v137, 8, v137
	v_cndmask_b32_e32 v135, v135, v145, vcc_lo
	v_cndmask_b32_e64 v136, v136, s0, vcc_lo
	s_add_co_i32 s0, s0, 1
	s_delay_alu instid0(SALU_CYCLE_1)
	s_cmp_lg_u32 s18, s0
	s_cbranch_scc1 .LBB126_1282
.LBB126_1283:
	s_wait_dscnt 0x0
	v_cmp_eq_f32_e32 vcc_lo, 0, v134
	v_cmp_eq_f32_e64 s0, 0, v135
	s_and_b32 s0, vcc_lo, s0
	s_delay_alu instid0(SALU_CYCLE_1) | instskip(NEXT) | instid1(SALU_CYCLE_1)
	s_and_saveexec_b32 s1, s0
	s_xor_b32 s0, exec_lo, s1
; %bb.1284:
	v_cmp_ne_u32_e32 vcc_lo, 0, v140
	v_cndmask_b32_e32 v140, 62, v140, vcc_lo
; %bb.1285:
	s_and_not1_saveexec_b32 s0, s0
	s_cbranch_execz .LBB126_1291
; %bb.1286:
	v_cmp_ngt_f32_e64 s1, |v134|, |v135|
	s_and_saveexec_b32 s12, s1
	s_delay_alu instid0(SALU_CYCLE_1)
	s_xor_b32 s1, exec_lo, s12
	s_cbranch_execz .LBB126_1288
; %bb.1287:
	v_div_scale_f32 v137, null, v135, v135, v134
	v_div_scale_f32 v145, vcc_lo, v134, v135, v134
	s_delay_alu instid0(VALU_DEP_2) | instskip(SKIP_1) | instid1(TRANS32_DEP_1)
	v_rcp_f32_e32 v143, v137
	v_nop
	v_fma_f32 v144, -v137, v143, 1.0
	s_delay_alu instid0(VALU_DEP_1) | instskip(NEXT) | instid1(VALU_DEP_1)
	v_fmac_f32_e32 v143, v144, v143
	v_mul_f32_e32 v144, v145, v143
	s_delay_alu instid0(VALU_DEP_1) | instskip(NEXT) | instid1(VALU_DEP_1)
	v_fma_f32 v146, -v137, v144, v145
	v_fmac_f32_e32 v144, v146, v143
	s_delay_alu instid0(VALU_DEP_1) | instskip(NEXT) | instid1(VALU_DEP_1)
	v_fma_f32 v137, -v137, v144, v145
	v_div_fmas_f32 v137, v137, v143, v144
	s_delay_alu instid0(VALU_DEP_1) | instskip(NEXT) | instid1(VALU_DEP_1)
	v_div_fixup_f32 v137, v137, v135, v134
	v_fmac_f32_e32 v135, v134, v137
	s_delay_alu instid0(VALU_DEP_1) | instskip(SKIP_1) | instid1(VALU_DEP_2)
	v_div_scale_f32 v134, null, v135, v135, 1.0
	v_div_scale_f32 v145, vcc_lo, 1.0, v135, 1.0
	v_rcp_f32_e32 v143, v134
	v_nop
	s_delay_alu instid0(TRANS32_DEP_1) | instskip(NEXT) | instid1(VALU_DEP_1)
	v_fma_f32 v144, -v134, v143, 1.0
	v_fmac_f32_e32 v143, v144, v143
	s_delay_alu instid0(VALU_DEP_1) | instskip(NEXT) | instid1(VALU_DEP_1)
	v_mul_f32_e32 v144, v145, v143
	v_fma_f32 v146, -v134, v144, v145
	s_delay_alu instid0(VALU_DEP_1) | instskip(NEXT) | instid1(VALU_DEP_1)
	v_fmac_f32_e32 v144, v146, v143
	v_fma_f32 v134, -v134, v144, v145
	s_delay_alu instid0(VALU_DEP_1) | instskip(NEXT) | instid1(VALU_DEP_1)
	v_div_fmas_f32 v134, v134, v143, v144
	v_div_fixup_f32 v135, v134, v135, 1.0
	s_delay_alu instid0(VALU_DEP_1)
	v_mul_f32_e32 v134, v137, v135
	v_xor_b32_e32 v135, 0x80000000, v135
.LBB126_1288:
	s_and_not1_saveexec_b32 s1, s1
	s_cbranch_execz .LBB126_1290
; %bb.1289:
	s_delay_alu instid0(VALU_DEP_1) | instskip(SKIP_1) | instid1(VALU_DEP_2)
	v_div_scale_f32 v137, null, v134, v134, v135
	v_div_scale_f32 v145, vcc_lo, v135, v134, v135
	v_rcp_f32_e32 v143, v137
	v_nop
	s_delay_alu instid0(TRANS32_DEP_1) | instskip(NEXT) | instid1(VALU_DEP_1)
	v_fma_f32 v144, -v137, v143, 1.0
	v_fmac_f32_e32 v143, v144, v143
	s_delay_alu instid0(VALU_DEP_1) | instskip(NEXT) | instid1(VALU_DEP_1)
	v_mul_f32_e32 v144, v145, v143
	v_fma_f32 v146, -v137, v144, v145
	s_delay_alu instid0(VALU_DEP_1) | instskip(NEXT) | instid1(VALU_DEP_1)
	v_fmac_f32_e32 v144, v146, v143
	v_fma_f32 v137, -v137, v144, v145
	s_delay_alu instid0(VALU_DEP_1) | instskip(NEXT) | instid1(VALU_DEP_1)
	v_div_fmas_f32 v137, v137, v143, v144
	v_div_fixup_f32 v137, v137, v134, v135
	s_delay_alu instid0(VALU_DEP_1) | instskip(NEXT) | instid1(VALU_DEP_1)
	v_fmac_f32_e32 v134, v135, v137
	v_div_scale_f32 v135, null, v134, v134, 1.0
	s_delay_alu instid0(VALU_DEP_1) | instskip(SKIP_1) | instid1(TRANS32_DEP_1)
	v_rcp_f32_e32 v143, v135
	v_nop
	v_fma_f32 v144, -v135, v143, 1.0
	s_delay_alu instid0(VALU_DEP_1) | instskip(SKIP_1) | instid1(VALU_DEP_1)
	v_fmac_f32_e32 v143, v144, v143
	v_div_scale_f32 v144, vcc_lo, 1.0, v134, 1.0
	v_mul_f32_e32 v145, v144, v143
	s_delay_alu instid0(VALU_DEP_1) | instskip(NEXT) | instid1(VALU_DEP_1)
	v_fma_f32 v146, -v135, v145, v144
	v_fmac_f32_e32 v145, v146, v143
	s_delay_alu instid0(VALU_DEP_1) | instskip(NEXT) | instid1(VALU_DEP_1)
	v_fma_f32 v135, -v135, v145, v144
	v_div_fmas_f32 v135, v135, v143, v145
	s_delay_alu instid0(VALU_DEP_1) | instskip(NEXT) | instid1(VALU_DEP_1)
	v_div_fixup_f32 v134, v135, v134, 1.0
	v_mul_f32_e64 v135, v137, -v134
.LBB126_1290:
	s_or_b32 exec_lo, exec_lo, s1
.LBB126_1291:
	s_delay_alu instid0(SALU_CYCLE_1) | instskip(NEXT) | instid1(SALU_CYCLE_1)
	s_or_b32 exec_lo, exec_lo, s0
	s_mov_b32 s0, exec_lo
	v_cmpx_ne_u32_e64 v142, v136
	s_xor_b32 s0, exec_lo, s0
	s_cbranch_execz .LBB126_1297
; %bb.1292:
	s_mov_b32 s1, exec_lo
	v_cmpx_eq_u32_e32 61, v142
	s_cbranch_execz .LBB126_1296
; %bb.1293:
	v_cmp_ne_u32_e32 vcc_lo, 61, v136
	s_xor_b32 s12, s16, -1
	s_delay_alu instid0(SALU_CYCLE_1) | instskip(NEXT) | instid1(SALU_CYCLE_1)
	s_and_b32 s13, s12, vcc_lo
	s_and_saveexec_b32 s12, s13
	s_cbranch_execz .LBB126_1295
; %bb.1294:
	v_ashrrev_i32_e32 v137, 31, v136
	s_delay_alu instid0(VALU_DEP_1)
	v_lshl_add_u64 v[142:143], v[136:137], 2, v[4:5]
	s_clause 0x1
	global_load_b32 v137, v[142:143], off
	global_load_b32 v141, v[4:5], off offset:244
	s_wait_loadcnt 0x1
	global_store_b32 v[4:5], v137, off offset:244
	s_wait_loadcnt 0x0
	global_store_b32 v[142:143], v141, off
.LBB126_1295:
	s_wait_xcnt 0x0
	s_or_b32 exec_lo, exec_lo, s12
	v_dual_mov_b32 v142, v136 :: v_dual_mov_b32 v141, v136
.LBB126_1296:
	s_or_b32 exec_lo, exec_lo, s1
.LBB126_1297:
	s_and_not1_saveexec_b32 s0, s0
; %bb.1298:
	v_dual_mov_b32 v136, v10 :: v_dual_mov_b32 v137, v11
	v_mov_b32_e32 v142, 61
	ds_store_2addr_b64 v138, v[136:137], v[132:133] offset0:62 offset1:63
; %bb.1299:
	s_or_b32 exec_lo, exec_lo, s0
	s_delay_alu instid0(SALU_CYCLE_1)
	s_mov_b32 s0, exec_lo
	s_wait_storecnt_dscnt 0x0
	s_barrier_signal -1
	s_barrier_wait -1
	v_cmpx_lt_i32_e32 61, v142
	s_cbranch_execz .LBB126_1301
; %bb.1300:
	ds_load_2addr_b64 v[144:147], v138 offset0:62 offset1:63
	v_pk_mul_f32 v[136:137], v[134:135], v[14:15] op_sel:[1,1] op_sel_hi:[0,1]
	s_delay_alu instid0(VALU_DEP_1) | instskip(SKIP_3) | instid1(VALU_DEP_3)
	v_pk_fma_f32 v[148:149], v[134:135], v[14:15], v[136:137] op_sel_hi:[1,0,1]
	v_pk_fma_f32 v[14:15], v[134:135], v[14:15], v[136:137] op_sel_hi:[1,0,1] neg_lo:[0,0,1] neg_hi:[0,0,1]
	s_wait_dscnt 0x0
	v_dual_mov_b32 v150, v147 :: v_dual_mov_b32 v151, v146
	v_pk_mul_f32 v[134:135], v[144:145], v[148:149] op_sel:[0,1]
	s_delay_alu instid0(VALU_DEP_2) | instskip(NEXT) | instid1(VALU_DEP_2)
	v_pk_mul_f32 v[136:137], v[150:151], v[148:149] op_sel:[0,1]
	v_pk_fma_f32 v[150:151], v[144:145], v[14:15], v[134:135] op_sel:[0,0,1] op_sel_hi:[1,0,0]
	v_pk_fma_f32 v[134:135], v[144:145], v[14:15], v[134:135] op_sel:[0,0,1] op_sel_hi:[1,1,0] neg_lo:[0,0,1] neg_hi:[0,0,1]
	s_delay_alu instid0(VALU_DEP_3) | instskip(SKIP_1) | instid1(VALU_DEP_4)
	v_pk_fma_f32 v[152:153], v[146:147], v[14:15], v[136:137] op_sel_hi:[1,0,1]
	v_pk_fma_f32 v[136:137], v[146:147], v[14:15], v[136:137] neg_lo:[0,0,1] neg_hi:[0,0,1]
	v_dual_mov_b32 v135, v151 :: v_dual_mov_b32 v15, v149
	s_delay_alu instid0(VALU_DEP_3) | instskip(NEXT) | instid1(VALU_DEP_2)
	v_mov_b32_e32 v137, v153
	v_pk_add_f32 v[10:11], v[10:11], v[134:135] neg_lo:[0,1] neg_hi:[0,1]
	s_delay_alu instid0(VALU_DEP_2)
	v_pk_add_f32 v[132:133], v[132:133], v[136:137] neg_lo:[0,1] neg_hi:[0,1]
.LBB126_1301:
	s_or_b32 exec_lo, exec_lo, s0
	v_lshl_add_u32 v134, v142, 3, v138
	s_barrier_signal -1
	s_barrier_wait -1
	ds_store_b64 v134, v[10:11]
	s_wait_dscnt 0x0
	s_barrier_signal -1
	s_barrier_wait -1
	ds_load_b64 v[134:135], v138 offset:496
	v_mov_b32_e32 v136, 62
	s_cmp_lt_i32 s18, 64
	s_cbranch_scc1 .LBB126_1304
; %bb.1302:
	v_add3_u32 v137, v139, 0, 0x1f8
	v_mov_b32_e32 v136, 62
	s_mov_b32 s0, 63
.LBB126_1303:                           ; =>This Inner Loop Header: Depth=1
	ds_load_b64 v[144:145], v137
	s_wait_dscnt 0x1
	v_cmp_gt_f32_e32 vcc_lo, 0, v134
	v_cndmask_b32_e64 v146, v134, -v134, vcc_lo
	v_cmp_gt_f32_e32 vcc_lo, 0, v135
	v_cndmask_b32_e64 v148, v135, -v135, vcc_lo
	s_wait_dscnt 0x0
	v_cmp_gt_f32_e32 vcc_lo, 0, v144
	v_cndmask_b32_e64 v147, v144, -v144, vcc_lo
	v_cmp_gt_f32_e32 vcc_lo, 0, v145
	v_cndmask_b32_e64 v149, v145, -v145, vcc_lo
	s_delay_alu instid0(VALU_DEP_1) | instskip(NEXT) | instid1(VALU_DEP_1)
	v_pk_add_f32 v[146:147], v[146:147], v[148:149]
	v_cmp_lt_f32_e32 vcc_lo, v146, v147
	v_dual_cndmask_b32 v134, v134, v144 :: v_dual_add_nc_u32 v137, 8, v137
	v_cndmask_b32_e32 v135, v135, v145, vcc_lo
	v_cndmask_b32_e64 v136, v136, s0, vcc_lo
	s_add_co_i32 s0, s0, 1
	s_delay_alu instid0(SALU_CYCLE_1)
	s_cmp_lg_u32 s18, s0
	s_cbranch_scc1 .LBB126_1303
.LBB126_1304:
	s_wait_dscnt 0x0
	v_cmp_eq_f32_e32 vcc_lo, 0, v134
	v_cmp_eq_f32_e64 s0, 0, v135
	s_and_b32 s0, vcc_lo, s0
	s_delay_alu instid0(SALU_CYCLE_1) | instskip(NEXT) | instid1(SALU_CYCLE_1)
	s_and_saveexec_b32 s1, s0
	s_xor_b32 s0, exec_lo, s1
; %bb.1305:
	v_cmp_ne_u32_e32 vcc_lo, 0, v140
	v_cndmask_b32_e32 v140, 63, v140, vcc_lo
; %bb.1306:
	s_and_not1_saveexec_b32 s0, s0
	s_cbranch_execz .LBB126_1312
; %bb.1307:
	v_cmp_ngt_f32_e64 s1, |v134|, |v135|
	s_and_saveexec_b32 s12, s1
	s_delay_alu instid0(SALU_CYCLE_1)
	s_xor_b32 s1, exec_lo, s12
	s_cbranch_execz .LBB126_1309
; %bb.1308:
	v_div_scale_f32 v137, null, v135, v135, v134
	v_div_scale_f32 v145, vcc_lo, v134, v135, v134
	s_delay_alu instid0(VALU_DEP_2) | instskip(SKIP_1) | instid1(TRANS32_DEP_1)
	v_rcp_f32_e32 v143, v137
	v_nop
	v_fma_f32 v144, -v137, v143, 1.0
	s_delay_alu instid0(VALU_DEP_1) | instskip(NEXT) | instid1(VALU_DEP_1)
	v_fmac_f32_e32 v143, v144, v143
	v_mul_f32_e32 v144, v145, v143
	s_delay_alu instid0(VALU_DEP_1) | instskip(NEXT) | instid1(VALU_DEP_1)
	v_fma_f32 v146, -v137, v144, v145
	v_fmac_f32_e32 v144, v146, v143
	s_delay_alu instid0(VALU_DEP_1) | instskip(NEXT) | instid1(VALU_DEP_1)
	v_fma_f32 v137, -v137, v144, v145
	v_div_fmas_f32 v137, v137, v143, v144
	s_delay_alu instid0(VALU_DEP_1) | instskip(NEXT) | instid1(VALU_DEP_1)
	v_div_fixup_f32 v137, v137, v135, v134
	v_fmac_f32_e32 v135, v134, v137
	s_delay_alu instid0(VALU_DEP_1) | instskip(SKIP_1) | instid1(VALU_DEP_2)
	v_div_scale_f32 v134, null, v135, v135, 1.0
	v_div_scale_f32 v145, vcc_lo, 1.0, v135, 1.0
	v_rcp_f32_e32 v143, v134
	v_nop
	s_delay_alu instid0(TRANS32_DEP_1) | instskip(NEXT) | instid1(VALU_DEP_1)
	v_fma_f32 v144, -v134, v143, 1.0
	v_fmac_f32_e32 v143, v144, v143
	s_delay_alu instid0(VALU_DEP_1) | instskip(NEXT) | instid1(VALU_DEP_1)
	v_mul_f32_e32 v144, v145, v143
	v_fma_f32 v146, -v134, v144, v145
	s_delay_alu instid0(VALU_DEP_1) | instskip(NEXT) | instid1(VALU_DEP_1)
	v_fmac_f32_e32 v144, v146, v143
	v_fma_f32 v134, -v134, v144, v145
	s_delay_alu instid0(VALU_DEP_1) | instskip(NEXT) | instid1(VALU_DEP_1)
	v_div_fmas_f32 v134, v134, v143, v144
	v_div_fixup_f32 v135, v134, v135, 1.0
	s_delay_alu instid0(VALU_DEP_1)
	v_mul_f32_e32 v134, v137, v135
	v_xor_b32_e32 v135, 0x80000000, v135
.LBB126_1309:
	s_and_not1_saveexec_b32 s1, s1
	s_cbranch_execz .LBB126_1311
; %bb.1310:
	s_delay_alu instid0(VALU_DEP_1) | instskip(SKIP_1) | instid1(VALU_DEP_2)
	v_div_scale_f32 v137, null, v134, v134, v135
	v_div_scale_f32 v145, vcc_lo, v135, v134, v135
	v_rcp_f32_e32 v143, v137
	v_nop
	s_delay_alu instid0(TRANS32_DEP_1) | instskip(NEXT) | instid1(VALU_DEP_1)
	v_fma_f32 v144, -v137, v143, 1.0
	v_fmac_f32_e32 v143, v144, v143
	s_delay_alu instid0(VALU_DEP_1) | instskip(NEXT) | instid1(VALU_DEP_1)
	v_mul_f32_e32 v144, v145, v143
	v_fma_f32 v146, -v137, v144, v145
	s_delay_alu instid0(VALU_DEP_1) | instskip(NEXT) | instid1(VALU_DEP_1)
	v_fmac_f32_e32 v144, v146, v143
	v_fma_f32 v137, -v137, v144, v145
	s_delay_alu instid0(VALU_DEP_1) | instskip(NEXT) | instid1(VALU_DEP_1)
	v_div_fmas_f32 v137, v137, v143, v144
	v_div_fixup_f32 v137, v137, v134, v135
	s_delay_alu instid0(VALU_DEP_1) | instskip(NEXT) | instid1(VALU_DEP_1)
	v_fmac_f32_e32 v134, v135, v137
	v_div_scale_f32 v135, null, v134, v134, 1.0
	s_delay_alu instid0(VALU_DEP_1) | instskip(SKIP_1) | instid1(TRANS32_DEP_1)
	v_rcp_f32_e32 v143, v135
	v_nop
	v_fma_f32 v144, -v135, v143, 1.0
	s_delay_alu instid0(VALU_DEP_1) | instskip(SKIP_1) | instid1(VALU_DEP_1)
	v_fmac_f32_e32 v143, v144, v143
	v_div_scale_f32 v144, vcc_lo, 1.0, v134, 1.0
	v_mul_f32_e32 v145, v144, v143
	s_delay_alu instid0(VALU_DEP_1) | instskip(NEXT) | instid1(VALU_DEP_1)
	v_fma_f32 v146, -v135, v145, v144
	v_fmac_f32_e32 v145, v146, v143
	s_delay_alu instid0(VALU_DEP_1) | instskip(NEXT) | instid1(VALU_DEP_1)
	v_fma_f32 v135, -v135, v145, v144
	v_div_fmas_f32 v135, v135, v143, v145
	s_delay_alu instid0(VALU_DEP_1) | instskip(NEXT) | instid1(VALU_DEP_1)
	v_div_fixup_f32 v134, v135, v134, 1.0
	v_mul_f32_e64 v135, v137, -v134
.LBB126_1311:
	s_or_b32 exec_lo, exec_lo, s1
.LBB126_1312:
	s_delay_alu instid0(SALU_CYCLE_1) | instskip(NEXT) | instid1(SALU_CYCLE_1)
	s_or_b32 exec_lo, exec_lo, s0
	s_mov_b32 s0, exec_lo
	v_cmpx_ne_u32_e64 v142, v136
	s_xor_b32 s0, exec_lo, s0
	s_cbranch_execz .LBB126_1318
; %bb.1313:
	s_mov_b32 s1, exec_lo
	v_cmpx_eq_u32_e32 62, v142
	s_cbranch_execz .LBB126_1317
; %bb.1314:
	v_cmp_ne_u32_e32 vcc_lo, 62, v136
	s_xor_b32 s12, s16, -1
	s_delay_alu instid0(SALU_CYCLE_1) | instskip(NEXT) | instid1(SALU_CYCLE_1)
	s_and_b32 s13, s12, vcc_lo
	s_and_saveexec_b32 s12, s13
	s_cbranch_execz .LBB126_1316
; %bb.1315:
	v_ashrrev_i32_e32 v137, 31, v136
	s_delay_alu instid0(VALU_DEP_1)
	v_lshl_add_u64 v[142:143], v[136:137], 2, v[4:5]
	s_clause 0x1
	global_load_b32 v137, v[142:143], off
	global_load_b32 v141, v[4:5], off offset:248
	s_wait_loadcnt 0x1
	global_store_b32 v[4:5], v137, off offset:248
	s_wait_loadcnt 0x0
	global_store_b32 v[142:143], v141, off
.LBB126_1316:
	s_wait_xcnt 0x0
	s_or_b32 exec_lo, exec_lo, s12
	v_dual_mov_b32 v142, v136 :: v_dual_mov_b32 v141, v136
.LBB126_1317:
	s_or_b32 exec_lo, exec_lo, s1
.LBB126_1318:
	s_and_not1_saveexec_b32 s0, s0
; %bb.1319:
	v_mov_b32_e32 v142, 62
	ds_store_b64 v138, v[132:133] offset:504
; %bb.1320:
	s_or_b32 exec_lo, exec_lo, s0
	s_delay_alu instid0(SALU_CYCLE_1)
	s_mov_b32 s0, exec_lo
	s_wait_storecnt_dscnt 0x0
	s_barrier_signal -1
	s_barrier_wait -1
	v_cmpx_lt_i32_e32 62, v142
	s_cbranch_execz .LBB126_1322
; %bb.1321:
	ds_load_b64 v[136:137], v138 offset:504
	v_pk_mul_f32 v[144:145], v[134:135], v[10:11] op_sel:[1,1] op_sel_hi:[0,1]
	s_delay_alu instid0(VALU_DEP_1) | instskip(SKIP_2) | instid1(VALU_DEP_2)
	v_pk_fma_f32 v[146:147], v[134:135], v[10:11], v[144:145] op_sel_hi:[1,0,1]
	v_pk_fma_f32 v[10:11], v[134:135], v[10:11], v[144:145] op_sel_hi:[1,0,1] neg_lo:[0,0,1] neg_hi:[0,0,1]
	s_wait_dscnt 0x0
	v_pk_mul_f32 v[134:135], v[136:137], v[146:147] op_sel:[1,1] op_sel_hi:[0,1]
	s_delay_alu instid0(VALU_DEP_1) | instskip(SKIP_1) | instid1(VALU_DEP_2)
	v_pk_fma_f32 v[144:145], v[136:137], v[10:11], v[134:135] op_sel_hi:[1,0,1]
	v_pk_fma_f32 v[134:135], v[136:137], v[10:11], v[134:135] neg_lo:[0,0,1] neg_hi:[0,0,1]
	v_dual_mov_b32 v11, v147 :: v_dual_mov_b32 v135, v145
	s_delay_alu instid0(VALU_DEP_1)
	v_pk_add_f32 v[132:133], v[132:133], v[134:135] neg_lo:[0,1] neg_hi:[0,1]
.LBB126_1322:
	s_or_b32 exec_lo, exec_lo, s0
	v_lshl_add_u32 v134, v142, 3, v138
	s_barrier_signal -1
	s_barrier_wait -1
	ds_store_b64 v134, v[132:133]
	s_wait_dscnt 0x0
	s_barrier_signal -1
	s_barrier_wait -1
	ds_load_b64 v[134:135], v138 offset:504
	v_mov_b32_e32 v136, 63
	s_cmp_lt_i32 s18, 0x41
	s_cbranch_scc1 .LBB126_1325
; %bb.1323:
	v_add3_u32 v137, v139, 0, 0x200
	v_mov_b32_e32 v136, 63
	s_mov_b32 s0, 64
.LBB126_1324:                           ; =>This Inner Loop Header: Depth=1
	ds_load_b64 v[138:139], v137
	s_wait_dscnt 0x1
	v_cmp_gt_f32_e32 vcc_lo, 0, v134
	v_cndmask_b32_e64 v144, v134, -v134, vcc_lo
	v_cmp_gt_f32_e32 vcc_lo, 0, v135
	v_cndmask_b32_e64 v146, v135, -v135, vcc_lo
	s_wait_dscnt 0x0
	v_cmp_gt_f32_e32 vcc_lo, 0, v138
	v_cndmask_b32_e64 v145, v138, -v138, vcc_lo
	v_cmp_gt_f32_e32 vcc_lo, 0, v139
	v_cndmask_b32_e64 v147, v139, -v139, vcc_lo
	s_delay_alu instid0(VALU_DEP_1) | instskip(NEXT) | instid1(VALU_DEP_1)
	v_pk_add_f32 v[144:145], v[144:145], v[146:147]
	v_cmp_lt_f32_e32 vcc_lo, v144, v145
	v_dual_add_nc_u32 v137, 8, v137 :: v_dual_cndmask_b32 v135, v135, v139, vcc_lo
	v_cndmask_b32_e32 v134, v134, v138, vcc_lo
	v_cndmask_b32_e64 v136, v136, s0, vcc_lo
	s_add_co_i32 s0, s0, 1
	s_delay_alu instid0(SALU_CYCLE_1)
	s_cmp_lg_u32 s18, s0
	s_cbranch_scc1 .LBB126_1324
.LBB126_1325:
	s_wait_dscnt 0x0
	v_cmp_eq_f32_e32 vcc_lo, 0, v134
	v_cmp_eq_f32_e64 s0, 0, v135
	s_and_b32 s0, vcc_lo, s0
	s_delay_alu instid0(SALU_CYCLE_1) | instskip(NEXT) | instid1(SALU_CYCLE_1)
	s_and_saveexec_b32 s1, s0
	s_xor_b32 s0, exec_lo, s1
; %bb.1326:
	v_cmp_ne_u32_e32 vcc_lo, 0, v140
	v_cndmask_b32_e32 v140, 64, v140, vcc_lo
; %bb.1327:
	s_and_not1_saveexec_b32 s0, s0
	s_cbranch_execz .LBB126_1333
; %bb.1328:
	v_cmp_ngt_f32_e64 s1, |v134|, |v135|
	s_and_saveexec_b32 s12, s1
	s_delay_alu instid0(SALU_CYCLE_1)
	s_xor_b32 s1, exec_lo, s12
	s_cbranch_execz .LBB126_1330
; %bb.1329:
	v_div_scale_f32 v137, null, v135, v135, v134
	v_div_scale_f32 v143, vcc_lo, v134, v135, v134
	s_delay_alu instid0(VALU_DEP_2) | instskip(SKIP_1) | instid1(TRANS32_DEP_1)
	v_rcp_f32_e32 v138, v137
	v_nop
	v_fma_f32 v139, -v137, v138, 1.0
	s_delay_alu instid0(VALU_DEP_1) | instskip(NEXT) | instid1(VALU_DEP_1)
	v_fmac_f32_e32 v138, v139, v138
	v_mul_f32_e32 v139, v143, v138
	s_delay_alu instid0(VALU_DEP_1) | instskip(NEXT) | instid1(VALU_DEP_1)
	v_fma_f32 v144, -v137, v139, v143
	v_fmac_f32_e32 v139, v144, v138
	s_delay_alu instid0(VALU_DEP_1) | instskip(NEXT) | instid1(VALU_DEP_1)
	v_fma_f32 v137, -v137, v139, v143
	v_div_fmas_f32 v137, v137, v138, v139
	s_delay_alu instid0(VALU_DEP_1) | instskip(NEXT) | instid1(VALU_DEP_1)
	v_div_fixup_f32 v137, v137, v135, v134
	v_fmac_f32_e32 v135, v134, v137
	s_delay_alu instid0(VALU_DEP_1) | instskip(SKIP_1) | instid1(VALU_DEP_2)
	v_div_scale_f32 v134, null, v135, v135, 1.0
	v_div_scale_f32 v143, vcc_lo, 1.0, v135, 1.0
	v_rcp_f32_e32 v138, v134
	v_nop
	s_delay_alu instid0(TRANS32_DEP_1) | instskip(NEXT) | instid1(VALU_DEP_1)
	v_fma_f32 v139, -v134, v138, 1.0
	v_fmac_f32_e32 v138, v139, v138
	s_delay_alu instid0(VALU_DEP_1) | instskip(NEXT) | instid1(VALU_DEP_1)
	v_mul_f32_e32 v139, v143, v138
	v_fma_f32 v144, -v134, v139, v143
	s_delay_alu instid0(VALU_DEP_1) | instskip(NEXT) | instid1(VALU_DEP_1)
	v_fmac_f32_e32 v139, v144, v138
	v_fma_f32 v134, -v134, v139, v143
	s_delay_alu instid0(VALU_DEP_1) | instskip(NEXT) | instid1(VALU_DEP_1)
	v_div_fmas_f32 v134, v134, v138, v139
	v_div_fixup_f32 v135, v134, v135, 1.0
	s_delay_alu instid0(VALU_DEP_1)
	v_mul_f32_e32 v134, v137, v135
	v_xor_b32_e32 v135, 0x80000000, v135
.LBB126_1330:
	s_and_not1_saveexec_b32 s1, s1
	s_cbranch_execz .LBB126_1332
; %bb.1331:
	s_delay_alu instid0(VALU_DEP_1) | instskip(SKIP_1) | instid1(VALU_DEP_2)
	v_div_scale_f32 v137, null, v134, v134, v135
	v_div_scale_f32 v143, vcc_lo, v135, v134, v135
	v_rcp_f32_e32 v138, v137
	v_nop
	s_delay_alu instid0(TRANS32_DEP_1) | instskip(NEXT) | instid1(VALU_DEP_1)
	v_fma_f32 v139, -v137, v138, 1.0
	v_fmac_f32_e32 v138, v139, v138
	s_delay_alu instid0(VALU_DEP_1) | instskip(NEXT) | instid1(VALU_DEP_1)
	v_mul_f32_e32 v139, v143, v138
	v_fma_f32 v144, -v137, v139, v143
	s_delay_alu instid0(VALU_DEP_1) | instskip(NEXT) | instid1(VALU_DEP_1)
	v_fmac_f32_e32 v139, v144, v138
	v_fma_f32 v137, -v137, v139, v143
	s_delay_alu instid0(VALU_DEP_1) | instskip(NEXT) | instid1(VALU_DEP_1)
	v_div_fmas_f32 v137, v137, v138, v139
	v_div_fixup_f32 v137, v137, v134, v135
	s_delay_alu instid0(VALU_DEP_1) | instskip(NEXT) | instid1(VALU_DEP_1)
	v_fmac_f32_e32 v134, v135, v137
	v_div_scale_f32 v135, null, v134, v134, 1.0
	s_delay_alu instid0(VALU_DEP_1) | instskip(SKIP_1) | instid1(TRANS32_DEP_1)
	v_rcp_f32_e32 v138, v135
	v_nop
	v_fma_f32 v139, -v135, v138, 1.0
	s_delay_alu instid0(VALU_DEP_1) | instskip(SKIP_1) | instid1(VALU_DEP_1)
	v_fmac_f32_e32 v138, v139, v138
	v_div_scale_f32 v139, vcc_lo, 1.0, v134, 1.0
	v_mul_f32_e32 v143, v139, v138
	s_delay_alu instid0(VALU_DEP_1) | instskip(NEXT) | instid1(VALU_DEP_1)
	v_fma_f32 v144, -v135, v143, v139
	v_fmac_f32_e32 v143, v144, v138
	s_delay_alu instid0(VALU_DEP_1) | instskip(NEXT) | instid1(VALU_DEP_1)
	v_fma_f32 v135, -v135, v143, v139
	v_div_fmas_f32 v135, v135, v138, v143
	s_delay_alu instid0(VALU_DEP_1) | instskip(NEXT) | instid1(VALU_DEP_1)
	v_div_fixup_f32 v134, v135, v134, 1.0
	v_mul_f32_e64 v135, v137, -v134
.LBB126_1332:
	s_or_b32 exec_lo, exec_lo, s1
.LBB126_1333:
	s_delay_alu instid0(SALU_CYCLE_1)
	s_or_b32 exec_lo, exec_lo, s0
	v_mov_b32_e32 v138, 63
	s_mov_b32 s0, exec_lo
	v_cmpx_ne_u32_e64 v142, v136
	s_cbranch_execz .LBB126_1339
; %bb.1334:
	s_mov_b32 s1, exec_lo
	v_cmpx_eq_u32_e32 63, v142
	s_cbranch_execz .LBB126_1338
; %bb.1335:
	v_cmp_ne_u32_e32 vcc_lo, 63, v136
	s_xor_b32 s12, s16, -1
	s_delay_alu instid0(SALU_CYCLE_1) | instskip(NEXT) | instid1(SALU_CYCLE_1)
	s_and_b32 s13, s12, vcc_lo
	s_and_saveexec_b32 s12, s13
	s_cbranch_execz .LBB126_1337
; %bb.1336:
	v_ashrrev_i32_e32 v137, 31, v136
	s_delay_alu instid0(VALU_DEP_1)
	v_lshl_add_u64 v[138:139], v[136:137], 2, v[4:5]
	s_clause 0x1
	global_load_b32 v137, v[138:139], off
	global_load_b32 v141, v[4:5], off offset:252
	s_wait_loadcnt 0x1
	global_store_b32 v[4:5], v137, off offset:252
	s_wait_loadcnt 0x0
	global_store_b32 v[138:139], v141, off
.LBB126_1337:
	s_wait_xcnt 0x0
	s_or_b32 exec_lo, exec_lo, s12
	v_dual_mov_b32 v142, v136 :: v_dual_mov_b32 v141, v136
.LBB126_1338:
	s_or_b32 exec_lo, exec_lo, s1
	s_delay_alu instid0(VALU_DEP_1)
	v_mov_b32_e32 v138, v142
.LBB126_1339:
	s_or_b32 exec_lo, exec_lo, s0
	s_delay_alu instid0(VALU_DEP_1)
	v_ashrrev_i32_e32 v139, 31, v138
	s_mov_b32 s0, exec_lo
	s_wait_storecnt 0x0
	s_barrier_signal -1
	s_barrier_wait -1
	s_barrier_signal -1
	s_barrier_wait -1
	v_cmpx_gt_i32_e32 64, v138
	s_cbranch_execz .LBB126_1341
; %bb.1340:
	v_mul_u64_e32 v[4:5], s[10:11], v[2:3]
	v_add3_u32 v136, v141, s17, 1
	s_delay_alu instid0(VALU_DEP_2) | instskip(NEXT) | instid1(VALU_DEP_1)
	v_lshl_add_u64 v[4:5], v[4:5], 2, s[6:7]
	v_lshl_add_u64 v[4:5], s[8:9], 2, v[4:5]
	s_delay_alu instid0(VALU_DEP_1)
	v_lshl_add_u64 v[4:5], v[138:139], 2, v[4:5]
	global_store_b32 v[4:5], v136, off
.LBB126_1341:
	s_wait_xcnt 0x0
	s_or_b32 exec_lo, exec_lo, s0
	s_delay_alu instid0(SALU_CYCLE_1)
	s_mov_b32 s1, exec_lo
	v_cmpx_eq_u32_e32 0, v138
	s_cbranch_execz .LBB126_1344
; %bb.1342:
	s_wait_kmcnt 0x0
	v_lshl_add_u64 v[2:3], v[2:3], 2, s[4:5]
	v_cmp_ne_u32_e64 s0, 0, v140
	global_load_b32 v4, v[2:3], off
	s_wait_loadcnt 0x0
	v_cmp_eq_u32_e32 vcc_lo, 0, v4
	s_and_b32 s0, vcc_lo, s0
	s_wait_xcnt 0x0
	s_and_b32 exec_lo, exec_lo, s0
	s_cbranch_execz .LBB126_1344
; %bb.1343:
	v_add_nc_u32_e32 v4, s17, v140
	global_store_b32 v[2:3], v4, off
.LBB126_1344:
	s_wait_xcnt 0x0
	s_or_b32 exec_lo, exec_lo, s1
	v_add3_u32 v4, s2, s2, v138
	v_pk_mul_f32 v[2:3], v[134:135], v[132:133] op_sel:[1,1] op_sel_hi:[0,1]
	v_cmp_lt_i32_e32 vcc_lo, 63, v138
	v_lshl_add_u64 v[138:139], v[138:139], 3, v[0:1]
	s_delay_alu instid0(VALU_DEP_4) | instskip(NEXT) | instid1(VALU_DEP_4)
	v_add_nc_u32_e32 v136, s2, v4
	v_pk_fma_f32 v[154:155], v[134:135], v[132:133], v[2:3] op_sel_hi:[1,0,1]
	v_pk_fma_f32 v[2:3], v[134:135], v[132:133], v[2:3] neg_lo:[0,0,1] neg_hi:[0,0,1]
	global_store_b64 v[138:139], v[130:131], off
	s_wait_xcnt 0x0
	v_lshl_add_u64 v[130:131], s[2:3], 3, v[138:139]
	v_dual_cndmask_b32 v3, v133, v155 :: v_dual_add_nc_u32 v140, s2, v136
	v_dual_cndmask_b32 v2, v132, v2 :: v_dual_ashrrev_i32 v5, 31, v4
	global_store_b64 v[130:131], v[128:129], off
	v_add_nc_u32_e32 v142, s2, v140
	v_lshl_add_u64 v[4:5], v[4:5], 3, v[0:1]
	s_delay_alu instid0(VALU_DEP_2) | instskip(SKIP_2) | instid1(VALU_DEP_1)
	v_add_nc_u32_e32 v144, s2, v142
	global_store_b64 v[4:5], v[126:127], off
	v_dual_add_nc_u32 v146, s2, v144 :: v_dual_ashrrev_i32 v145, 31, v144
	v_dual_ashrrev_i32 v147, 31, v146 :: v_dual_add_nc_u32 v148, s2, v146
	v_ashrrev_i32_e32 v141, 31, v140
	s_delay_alu instid0(VALU_DEP_2) | instskip(NEXT) | instid1(VALU_DEP_1)
	v_dual_add_nc_u32 v150, s2, v148 :: v_dual_ashrrev_i32 v149, 31, v148
	v_dual_ashrrev_i32 v151, 31, v150 :: v_dual_add_nc_u32 v152, s2, v150
	s_delay_alu instid0(VALU_DEP_1) | instskip(NEXT) | instid1(VALU_DEP_1)
	v_dual_ashrrev_i32 v143, 31, v142 :: v_dual_add_nc_u32 v134, s2, v152
	v_dual_ashrrev_i32 v153, 31, v152 :: v_dual_add_nc_u32 v132, s2, v134
	s_delay_alu instid0(VALU_DEP_1) | instskip(NEXT) | instid1(VALU_DEP_1)
	v_add_nc_u32_e32 v154, s2, v132
	v_dual_add_nc_u32 v138, s2, v154 :: v_dual_ashrrev_i32 v133, 31, v132
	v_ashrrev_i32_e32 v135, 31, v134
	s_wait_xcnt 0x1
	s_delay_alu instid0(VALU_DEP_2) | instskip(NEXT) | instid1(VALU_DEP_1)
	v_dual_add_nc_u32 v128, s2, v138 :: v_dual_ashrrev_i32 v139, 31, v138
	v_dual_ashrrev_i32 v155, 31, v154 :: v_dual_add_nc_u32 v130, s2, v128
	v_ashrrev_i32_e32 v137, 31, v136
	s_wait_xcnt 0x0
	s_delay_alu instid0(VALU_DEP_2) | instskip(NEXT) | instid1(VALU_DEP_2)
	v_dual_ashrrev_i32 v129, 31, v128 :: v_dual_add_nc_u32 v4, s2, v130
	v_lshl_add_u64 v[126:127], v[136:137], 3, v[0:1]
	s_delay_alu instid0(VALU_DEP_2)
	v_dual_ashrrev_i32 v131, 31, v130 :: v_dual_ashrrev_i32 v5, 31, v4
	v_add_nc_u32_e32 v136, s2, v4
	global_store_b64 v[126:127], v[124:125], off
	s_wait_xcnt 0x0
	v_lshl_add_u64 v[126:127], v[140:141], 3, v[0:1]
	v_lshl_add_u64 v[4:5], v[4:5], 3, v[0:1]
	v_add_nc_u32_e32 v124, s2, v136
	global_store_b64 v[126:127], v[122:123], off
	s_wait_xcnt 0x0
	v_lshl_add_u64 v[126:127], v[142:143], 3, v[0:1]
	v_add_nc_u32_e32 v140, s2, v124
	global_store_b64 v[126:127], v[120:121], off
	s_wait_xcnt 0x0
	v_lshl_add_u64 v[120:121], v[144:145], 3, v[0:1]
	v_add_nc_u32_e32 v122, s2, v140
	v_lshl_add_u64 v[144:145], v[146:147], 3, v[0:1]
	v_lshl_add_u64 v[146:147], v[148:149], 3, v[0:1]
	;; [unrolled: 1-line block ×3, first 2 shown]
	global_store_b64 v[120:121], v[112:113], off
	v_add_nc_u32_e32 v142, s2, v122
	v_lshl_add_u64 v[150:151], v[152:153], 3, v[0:1]
	s_clause 0x3
	global_store_b64 v[144:145], v[44:45], off
	global_store_b64 v[146:147], v[118:119], off
	;; [unrolled: 1-line block ×4, first 2 shown]
	s_wait_xcnt 0x0
	v_lshl_add_u64 v[116:117], v[134:135], 3, v[0:1]
	v_add_nc_u32_e32 v126, s2, v142
	v_lshl_add_u64 v[134:135], v[138:139], 3, v[0:1]
	v_lshl_add_u64 v[118:119], v[132:133], 3, v[0:1]
	;; [unrolled: 1-line block ×3, first 2 shown]
	s_clause 0x3
	global_store_b64 v[116:117], v[50:51], off
	global_store_b64 v[118:119], v[110:111], off
	;; [unrolled: 1-line block ×4, first 2 shown]
	v_add_nc_u32_e32 v112, s2, v126
	s_wait_xcnt 0x2
	v_lshl_add_u64 v[110:111], v[130:131], 3, v[0:1]
	s_wait_xcnt 0x0
	v_lshl_add_u64 v[108:109], v[128:129], 3, v[0:1]
	v_ashrrev_i32_e32 v125, 31, v124
	v_ashrrev_i32_e32 v141, 31, v140
	v_dual_add_nc_u32 v120, s2, v112 :: v_dual_ashrrev_i32 v127, 31, v126
	v_ashrrev_i32_e32 v113, 31, v112
	s_delay_alu instid0(VALU_DEP_2) | instskip(NEXT) | instid1(VALU_DEP_1)
	v_dual_add_nc_u32 v152, s2, v120 :: v_dual_ashrrev_i32 v121, 31, v120
	v_add_nc_u32_e32 v44, s2, v152
	s_delay_alu instid0(VALU_DEP_1) | instskip(NEXT) | instid1(VALU_DEP_1)
	v_dual_add_nc_u32 v114, s2, v44 :: v_dual_ashrrev_i32 v45, 31, v44
	v_add_nc_u32_e32 v138, s2, v114
	s_delay_alu instid0(VALU_DEP_2) | instskip(NEXT) | instid1(VALU_DEP_2)
	v_lshl_add_u64 v[44:45], v[44:45], 3, v[0:1]
	v_dual_add_nc_u32 v50, s2, v138 :: v_dual_ashrrev_i32 v137, 31, v136
	v_ashrrev_i32_e32 v115, 31, v114
	s_delay_alu instid0(VALU_DEP_2) | instskip(NEXT) | instid1(VALU_DEP_3)
	v_add_nc_u32_e32 v106, s2, v50
	v_lshl_add_u64 v[116:117], v[136:137], 3, v[0:1]
	s_clause 0x3
	global_store_b64 v[108:109], v[40:41], off
	global_store_b64 v[110:111], v[104:105], off
	;; [unrolled: 1-line block ×4, first 2 shown]
	s_wait_xcnt 0x1
	v_lshl_add_u64 v[100:101], v[124:125], 3, v[0:1]
	v_add_nc_u32_e32 v118, s2, v106
	s_wait_xcnt 0x0
	v_lshl_add_u64 v[102:103], v[140:141], 3, v[0:1]
	v_ashrrev_i32_e32 v107, 31, v106
	s_delay_alu instid0(VALU_DEP_3) | instskip(SKIP_1) | instid1(VALU_DEP_2)
	v_add_nc_u32_e32 v4, s2, v118
	v_ashrrev_i32_e32 v123, 31, v122
	v_dual_ashrrev_i32 v119, 31, v118 :: v_dual_ashrrev_i32 v5, 31, v4
	v_dual_add_nc_u32 v40, s2, v4 :: v_dual_ashrrev_i32 v143, 31, v142
	s_delay_alu instid0(VALU_DEP_3) | instskip(NEXT) | instid1(VALU_DEP_3)
	v_lshl_add_u64 v[104:105], v[122:123], 3, v[0:1]
	v_lshl_add_u64 v[4:5], v[4:5], 3, v[0:1]
	s_delay_alu instid0(VALU_DEP_3) | instskip(NEXT) | instid1(VALU_DEP_4)
	v_add_nc_u32_e32 v110, s2, v40
	v_lshl_add_u64 v[108:109], v[142:143], 3, v[0:1]
	s_clause 0x3
	global_store_b64 v[100:101], v[38:39], off
	global_store_b64 v[102:103], v[98:99], off
	;; [unrolled: 1-line block ×4, first 2 shown]
	s_wait_xcnt 0x0
	v_lshl_add_u64 v[96:97], v[126:127], 3, v[0:1]
	v_dual_add_nc_u32 v38, s2, v110 :: v_dual_ashrrev_i32 v153, 31, v152
	v_lshl_add_u64 v[98:99], v[112:113], 3, v[0:1]
	v_lshl_add_u64 v[100:101], v[120:121], 3, v[0:1]
	v_ashrrev_i32_e32 v111, 31, v110
	s_delay_alu instid0(VALU_DEP_4)
	v_add_nc_u32_e32 v94, s2, v38
	v_lshl_add_u64 v[102:103], v[152:153], 3, v[0:1]
	s_clause 0x3
	global_store_b64 v[96:97], v[36:37], off
	global_store_b64 v[98:99], v[92:93], off
	;; [unrolled: 1-line block ×4, first 2 shown]
	s_wait_xcnt 0x0
	v_lshl_add_u64 v[90:91], v[114:115], 3, v[0:1]
	v_dual_add_nc_u32 v104, s2, v94 :: v_dual_ashrrev_i32 v95, 31, v94
	s_delay_alu instid0(VALU_DEP_1) | instskip(SKIP_1) | instid1(VALU_DEP_2)
	v_dual_ashrrev_i32 v39, 31, v38 :: v_dual_add_nc_u32 v36, s2, v104
	v_dual_ashrrev_i32 v139, 31, v138 :: v_dual_ashrrev_i32 v105, 31, v104
	v_lshl_add_u64 v[38:39], v[38:39], 3, v[0:1]
	s_delay_alu instid0(VALU_DEP_3) | instskip(NEXT) | instid1(VALU_DEP_3)
	v_dual_add_nc_u32 v88, s2, v36 :: v_dual_ashrrev_i32 v51, 31, v50
	v_lshl_add_u64 v[92:93], v[138:139], 3, v[0:1]
	v_ashrrev_i32_e32 v37, 31, v36
	s_delay_alu instid0(VALU_DEP_3) | instskip(NEXT) | instid1(VALU_DEP_4)
	v_add_nc_u32_e32 v96, s2, v88
	v_lshl_add_u64 v[50:51], v[50:51], 3, v[0:1]
	s_clause 0x3
	global_store_b64 v[44:45], v[34:35], off
	global_store_b64 v[90:91], v[86:87], off
	global_store_b64 v[92:93], v[82:83], off
	global_store_b64 v[50:51], v[84:85], off
	s_wait_xcnt 0x0
	v_lshl_add_u64 v[50:51], v[106:107], 3, v[0:1]
	v_add_nc_u32_e32 v34, s2, v96
	v_ashrrev_i32_e32 v41, 31, v40
	v_lshl_add_u64 v[82:83], v[118:119], 3, v[0:1]
	v_ashrrev_i32_e32 v89, 31, v88
	v_lshl_add_u64 v[36:37], v[36:37], 3, v[0:1]
	v_add_nc_u32_e32 v44, s2, v34
	v_lshl_add_u64 v[40:41], v[40:41], 3, v[0:1]
	s_clause 0x3
	global_store_b64 v[50:51], v[26:27], off
	global_store_b64 v[82:83], v[80:81], off
	;; [unrolled: 1-line block ×4, first 2 shown]
	s_wait_xcnt 0x0
	v_lshl_add_u64 v[40:41], v[110:111], 3, v[0:1]
	v_add_nc_u32_e32 v84, s2, v44
	v_lshl_add_u64 v[50:51], v[94:95], 3, v[0:1]
	v_lshl_add_u64 v[76:77], v[104:105], 3, v[0:1]
	s_clause 0x3
	global_store_b64 v[40:41], v[24:25], off
	global_store_b64 v[38:39], v[74:75], off
	;; [unrolled: 1-line block ×4, first 2 shown]
	v_dual_add_nc_u32 v4, s2, v84 :: v_dual_ashrrev_i32 v35, 31, v34
	s_wait_xcnt 0x3
	v_lshl_add_u64 v[40:41], v[88:89], 3, v[0:1]
	s_delay_alu instid0(VALU_DEP_2) | instskip(NEXT) | instid1(VALU_DEP_3)
	v_add_nc_u32_e32 v26, s2, v4
	v_lshl_add_u64 v[34:35], v[34:35], 3, v[0:1]
	s_delay_alu instid0(VALU_DEP_2) | instskip(NEXT) | instid1(VALU_DEP_1)
	v_add_nc_u32_e32 v78, s2, v26
	v_dual_add_nc_u32 v24, s2, v78 :: v_dual_ashrrev_i32 v45, 31, v44
	v_ashrrev_i32_e32 v27, 31, v26
	s_wait_xcnt 0x2
	s_delay_alu instid0(VALU_DEP_2) | instskip(SKIP_1) | instid1(VALU_DEP_3)
	v_dual_ashrrev_i32 v79, 31, v78 :: v_dual_add_nc_u32 v38, s2, v24
	v_ashrrev_i32_e32 v97, 31, v96
	v_lshl_add_u64 v[26:27], v[26:27], 3, v[0:1]
	s_wait_xcnt 0x1
	s_delay_alu instid0(VALU_DEP_3) | instskip(NEXT) | instid1(VALU_DEP_3)
	v_add_nc_u32_e32 v70, s2, v38
	v_lshl_add_u64 v[50:51], v[96:97], 3, v[0:1]
	s_clause 0x3
	global_store_b64 v[36:37], v[22:23], off
	global_store_b64 v[40:41], v[68:69], off
	;; [unrolled: 1-line block ×4, first 2 shown]
	s_wait_xcnt 0x3
	v_dual_add_nc_u32 v22, s2, v70 :: v_dual_ashrrev_i32 v85, 31, v84
	v_lshl_add_u64 v[36:37], v[44:45], 3, v[0:1]
	v_dual_ashrrev_i32 v25, 31, v24 :: v_dual_ashrrev_i32 v39, 31, v38
	s_wait_xcnt 0x0
	s_delay_alu instid0(VALU_DEP_3) | instskip(SKIP_1) | instid1(VALU_DEP_3)
	v_dual_add_nc_u32 v34, s2, v22 :: v_dual_ashrrev_i32 v5, 31, v4
	v_lshl_add_u64 v[40:41], v[84:85], 3, v[0:1]
	v_lshl_add_u64 v[24:25], v[24:25], 3, v[0:1]
	v_ashrrev_i32_e32 v23, 31, v22
	s_delay_alu instid0(VALU_DEP_4)
	v_add_nc_u32_e32 v44, s2, v34
	v_lshl_add_u64 v[4:5], v[4:5], 3, v[0:1]
	s_clause 0x3
	global_store_b64 v[36:37], v[18:19], off
	global_store_b64 v[40:41], v[60:61], off
	global_store_b64 v[4:5], v[56:57], off
	global_store_b64 v[26:27], v[58:59], off
	s_wait_xcnt 0x1
	v_dual_add_nc_u32 v4, s2, v44 :: v_dual_ashrrev_i32 v71, 31, v70
	s_wait_xcnt 0x0
	v_lshl_add_u64 v[26:27], v[78:79], 3, v[0:1]
	v_lshl_add_u64 v[36:37], v[38:39], 3, v[0:1]
	v_ashrrev_i32_e32 v45, 31, v44
	v_add_nc_u32_e32 v18, s2, v4
	v_lshl_add_u64 v[38:39], v[70:71], 3, v[0:1]
	s_clause 0x3
	global_store_b64 v[26:27], v[12:13], off
	global_store_b64 v[24:25], v[54:55], off
	;; [unrolled: 1-line block ×4, first 2 shown]
	v_dual_ashrrev_i32 v35, 31, v34 :: v_dual_ashrrev_i32 v5, 31, v4
	v_add_nc_u32_e32 v40, s2, v18
	v_lshl_add_u64 v[22:23], v[22:23], 3, v[0:1]
	v_ashrrev_i32_e32 v19, 31, v18
	s_wait_xcnt 0x3
	v_lshl_add_u64 v[26:27], v[34:35], 3, v[0:1]
	v_lshl_add_u64 v[34:35], v[44:45], 3, v[0:1]
	v_add_nc_u32_e32 v12, s2, v40
	v_lshl_add_u64 v[4:5], v[4:5], 3, v[0:1]
	s_clause 0x3
	global_store_b64 v[22:23], v[16:17], off
	global_store_b64 v[26:27], v[48:49], off
	;; [unrolled: 1-line block ×4, first 2 shown]
	v_lshl_add_u64 v[18:19], v[18:19], 3, v[0:1]
	s_wait_xcnt 0x6
	v_dual_add_nc_u32 v24, s2, v12 :: v_dual_ashrrev_i32 v13, 31, v12
	s_wait_xcnt 0x5
	s_delay_alu instid0(VALU_DEP_1) | instskip(NEXT) | instid1(VALU_DEP_2)
	v_dual_add_nc_u32 v36, s2, v24 :: v_dual_ashrrev_i32 v25, 31, v24
	v_lshl_add_u64 v[12:13], v[12:13], 3, v[0:1]
	s_wait_xcnt 0x0
	s_delay_alu instid0(VALU_DEP_2) | instskip(NEXT) | instid1(VALU_DEP_3)
	v_add_nc_u32_e32 v4, s2, v36
	v_lshl_add_u64 v[24:25], v[24:25], 3, v[0:1]
	v_ashrrev_i32_e32 v37, 31, v36
	s_delay_alu instid0(VALU_DEP_3) | instskip(NEXT) | instid1(VALU_DEP_1)
	v_add_nc_u32_e32 v16, s2, v4
	v_add_nc_u32_e32 v26, s2, v16
	s_delay_alu instid0(VALU_DEP_1) | instskip(NEXT) | instid1(VALU_DEP_1)
	v_dual_ashrrev_i32 v41, 31, v40 :: v_dual_ashrrev_i32 v27, 31, v26
	v_lshl_add_u64 v[22:23], v[40:41], 3, v[0:1]
	s_clause 0x3
	global_store_b64 v[18:19], v[8:9], off
	global_store_b64 v[22:23], v[32:33], off
	global_store_b64 v[12:13], v[28:29], off
	global_store_b64 v[24:25], v[30:31], off
	s_wait_xcnt 0x3
	v_dual_add_nc_u32 v8, s2, v26 :: v_dual_ashrrev_i32 v5, 31, v4
	v_ashrrev_i32_e32 v17, 31, v16
	s_wait_xcnt 0x1
	v_lshl_add_u64 v[12:13], v[36:37], 3, v[0:1]
	v_lshl_add_u64 v[18:19], v[26:27], 3, v[0:1]
	v_ashrrev_i32_e32 v9, 31, v8
	v_lshl_add_u64 v[4:5], v[4:5], 3, v[0:1]
	v_lshl_add_u64 v[16:17], v[16:17], 3, v[0:1]
	s_delay_alu instid0(VALU_DEP_3)
	v_lshl_add_u64 v[0:1], v[8:9], 3, v[0:1]
	s_clause 0x4
	global_store_b64 v[12:13], v[6:7], off
	global_store_b64 v[4:5], v[20:21], off
	;; [unrolled: 1-line block ×5, first 2 shown]
.LBB126_1345:
	s_sendmsg sendmsg(MSG_DEALLOC_VGPRS)
	s_endpgm
	.section	.rodata,"a",@progbits
	.p2align	6, 0x0
	.amdhsa_kernel _ZN9rocsolver6v33100L18getf2_small_kernelILi64E19rocblas_complex_numIfEiiPS3_EEvT1_T3_lS5_lPS5_llPT2_S5_S5_S7_l
		.amdhsa_group_segment_fixed_size 0
		.amdhsa_private_segment_fixed_size 0
		.amdhsa_kernarg_size 352
		.amdhsa_user_sgpr_count 2
		.amdhsa_user_sgpr_dispatch_ptr 0
		.amdhsa_user_sgpr_queue_ptr 0
		.amdhsa_user_sgpr_kernarg_segment_ptr 1
		.amdhsa_user_sgpr_dispatch_id 0
		.amdhsa_user_sgpr_kernarg_preload_length 0
		.amdhsa_user_sgpr_kernarg_preload_offset 0
		.amdhsa_user_sgpr_private_segment_size 0
		.amdhsa_wavefront_size32 1
		.amdhsa_uses_dynamic_stack 0
		.amdhsa_enable_private_segment 0
		.amdhsa_system_sgpr_workgroup_id_x 1
		.amdhsa_system_sgpr_workgroup_id_y 1
		.amdhsa_system_sgpr_workgroup_id_z 0
		.amdhsa_system_sgpr_workgroup_info 0
		.amdhsa_system_vgpr_workitem_id 1
		.amdhsa_next_free_vgpr 160
		.amdhsa_next_free_sgpr 19
		.amdhsa_named_barrier_count 0
		.amdhsa_reserve_vcc 1
		.amdhsa_float_round_mode_32 0
		.amdhsa_float_round_mode_16_64 0
		.amdhsa_float_denorm_mode_32 3
		.amdhsa_float_denorm_mode_16_64 3
		.amdhsa_fp16_overflow 0
		.amdhsa_memory_ordered 1
		.amdhsa_forward_progress 1
		.amdhsa_inst_pref_size 255
		.amdhsa_round_robin_scheduling 0
		.amdhsa_exception_fp_ieee_invalid_op 0
		.amdhsa_exception_fp_denorm_src 0
		.amdhsa_exception_fp_ieee_div_zero 0
		.amdhsa_exception_fp_ieee_overflow 0
		.amdhsa_exception_fp_ieee_underflow 0
		.amdhsa_exception_fp_ieee_inexact 0
		.amdhsa_exception_int_div_zero 0
	.end_amdhsa_kernel
	.section	.text._ZN9rocsolver6v33100L18getf2_small_kernelILi64E19rocblas_complex_numIfEiiPS3_EEvT1_T3_lS5_lPS5_llPT2_S5_S5_S7_l,"axG",@progbits,_ZN9rocsolver6v33100L18getf2_small_kernelILi64E19rocblas_complex_numIfEiiPS3_EEvT1_T3_lS5_lPS5_llPT2_S5_S5_S7_l,comdat
.Lfunc_end126:
	.size	_ZN9rocsolver6v33100L18getf2_small_kernelILi64E19rocblas_complex_numIfEiiPS3_EEvT1_T3_lS5_lPS5_llPT2_S5_S5_S7_l, .Lfunc_end126-_ZN9rocsolver6v33100L18getf2_small_kernelILi64E19rocblas_complex_numIfEiiPS3_EEvT1_T3_lS5_lPS5_llPT2_S5_S5_S7_l
                                        ; -- End function
	.set _ZN9rocsolver6v33100L18getf2_small_kernelILi64E19rocblas_complex_numIfEiiPS3_EEvT1_T3_lS5_lPS5_llPT2_S5_S5_S7_l.num_vgpr, 160
	.set _ZN9rocsolver6v33100L18getf2_small_kernelILi64E19rocblas_complex_numIfEiiPS3_EEvT1_T3_lS5_lPS5_llPT2_S5_S5_S7_l.num_agpr, 0
	.set _ZN9rocsolver6v33100L18getf2_small_kernelILi64E19rocblas_complex_numIfEiiPS3_EEvT1_T3_lS5_lPS5_llPT2_S5_S5_S7_l.numbered_sgpr, 19
	.set _ZN9rocsolver6v33100L18getf2_small_kernelILi64E19rocblas_complex_numIfEiiPS3_EEvT1_T3_lS5_lPS5_llPT2_S5_S5_S7_l.num_named_barrier, 0
	.set _ZN9rocsolver6v33100L18getf2_small_kernelILi64E19rocblas_complex_numIfEiiPS3_EEvT1_T3_lS5_lPS5_llPT2_S5_S5_S7_l.private_seg_size, 0
	.set _ZN9rocsolver6v33100L18getf2_small_kernelILi64E19rocblas_complex_numIfEiiPS3_EEvT1_T3_lS5_lPS5_llPT2_S5_S5_S7_l.uses_vcc, 1
	.set _ZN9rocsolver6v33100L18getf2_small_kernelILi64E19rocblas_complex_numIfEiiPS3_EEvT1_T3_lS5_lPS5_llPT2_S5_S5_S7_l.uses_flat_scratch, 0
	.set _ZN9rocsolver6v33100L18getf2_small_kernelILi64E19rocblas_complex_numIfEiiPS3_EEvT1_T3_lS5_lPS5_llPT2_S5_S5_S7_l.has_dyn_sized_stack, 0
	.set _ZN9rocsolver6v33100L18getf2_small_kernelILi64E19rocblas_complex_numIfEiiPS3_EEvT1_T3_lS5_lPS5_llPT2_S5_S5_S7_l.has_recursion, 0
	.set _ZN9rocsolver6v33100L18getf2_small_kernelILi64E19rocblas_complex_numIfEiiPS3_EEvT1_T3_lS5_lPS5_llPT2_S5_S5_S7_l.has_indirect_call, 0
	.section	.AMDGPU.csdata,"",@progbits
; Kernel info:
; codeLenInByte = 180544
; TotalNumSgprs: 21
; NumVgprs: 160
; ScratchSize: 0
; MemoryBound: 0
; FloatMode: 240
; IeeeMode: 1
; LDSByteSize: 0 bytes/workgroup (compile time only)
; SGPRBlocks: 0
; VGPRBlocks: 9
; NumSGPRsForWavesPerEU: 21
; NumVGPRsForWavesPerEU: 160
; NamedBarCnt: 0
; Occupancy: 6
; WaveLimiterHint : 0
; COMPUTE_PGM_RSRC2:SCRATCH_EN: 0
; COMPUTE_PGM_RSRC2:USER_SGPR: 2
; COMPUTE_PGM_RSRC2:TRAP_HANDLER: 0
; COMPUTE_PGM_RSRC2:TGID_X_EN: 1
; COMPUTE_PGM_RSRC2:TGID_Y_EN: 1
; COMPUTE_PGM_RSRC2:TGID_Z_EN: 0
; COMPUTE_PGM_RSRC2:TIDIG_COMP_CNT: 1
	.section	.text._ZN9rocsolver6v33100L23getf2_npvt_small_kernelILi64E19rocblas_complex_numIfEiiPS3_EEvT1_T3_lS5_lPT2_S5_S5_,"axG",@progbits,_ZN9rocsolver6v33100L23getf2_npvt_small_kernelILi64E19rocblas_complex_numIfEiiPS3_EEvT1_T3_lS5_lPT2_S5_S5_,comdat
	.globl	_ZN9rocsolver6v33100L23getf2_npvt_small_kernelILi64E19rocblas_complex_numIfEiiPS3_EEvT1_T3_lS5_lPT2_S5_S5_ ; -- Begin function _ZN9rocsolver6v33100L23getf2_npvt_small_kernelILi64E19rocblas_complex_numIfEiiPS3_EEvT1_T3_lS5_lPT2_S5_S5_
	.p2align	8
	.type	_ZN9rocsolver6v33100L23getf2_npvt_small_kernelILi64E19rocblas_complex_numIfEiiPS3_EEvT1_T3_lS5_lPT2_S5_S5_,@function
_ZN9rocsolver6v33100L23getf2_npvt_small_kernelILi64E19rocblas_complex_numIfEiiPS3_EEvT1_T3_lS5_lPT2_S5_S5_: ; @_ZN9rocsolver6v33100L23getf2_npvt_small_kernelILi64E19rocblas_complex_numIfEiiPS3_EEvT1_T3_lS5_lPT2_S5_S5_
; %bb.0:
	s_clause 0x1
	s_load_u16 s13, s[0:1], 0x46
	s_load_b64 s[2:3], s[0:1], 0x30
	s_bfe_u32 s4, ttmp6, 0x40010
	s_bfe_u32 s5, ttmp6, 0x40004
	s_add_co_i32 s4, s4, 1
	s_getreg_b32 s6, hwreg(HW_REG_IB_STS2, 6, 4)
	s_mul_i32 s4, ttmp7, s4
	v_bfe_u32 v1, v0, 10, 10
	s_add_co_i32 s5, s5, s4
	s_cmp_eq_u32 s6, 0
	s_cselect_b32 s4, ttmp7, s5
	s_wait_kmcnt 0x0
	v_mad_u32 v20, s4, s13, v1
	s_delay_alu instid0(VALU_DEP_1)
	v_cmp_gt_i32_e32 vcc_lo, s2, v20
	s_and_saveexec_b32 s2, vcc_lo
	s_cbranch_execnz .LBB127_1
; %bb.580:
	s_add_pc_i64 .LBB127_579-.Lpost_addpc19
.Lpost_addpc19:
.LBB127_1:
	s_clause 0x1
	s_load_b32 s12, s[0:1], 0x18
	s_load_b128 s[8:11], s[0:1], 0x8
	v_and_b32_e32 v18, 0x3ff, v0
	s_load_b128 s[4:7], s[0:1], 0x20
	s_wait_xcnt 0x0
	s_lshl_b32 s0, s13, 9
	v_lshl_add_u32 v126, v1, 9, 0
	v_mov_b32_e32 v33, 0
	v_cmp_ne_u32_e64 s1, 0, v18
	v_lshlrev_b32_e32 v0, 3, v1
	s_delay_alu instid0(VALU_DEP_1) | instskip(SKIP_4) | instid1(VALU_DEP_1)
	v_add3_u32 v19, 0, s0, v0
	v_cmp_eq_u32_e64 s0, 0, v18
	s_wait_kmcnt 0x0
	v_add3_u32 v2, s12, s12, v18
	s_ashr_i32 s13, s12, 31
	v_add_nc_u32_e32 v4, s12, v2
	s_delay_alu instid0(VALU_DEP_1) | instskip(NEXT) | instid1(VALU_DEP_1)
	v_add_nc_u32_e32 v6, s12, v4
	v_add_nc_u32_e32 v8, s12, v6
	s_delay_alu instid0(VALU_DEP_1) | instskip(NEXT) | instid1(VALU_DEP_1)
	v_dual_add_nc_u32 v10, s12, v8 :: v_dual_lshlrev_b32 v32, 3, v18
	v_dual_ashrrev_i32 v5, 31, v4 :: v_dual_add_nc_u32 v12, s12, v10
	s_delay_alu instid0(VALU_DEP_1) | instskip(SKIP_2) | instid1(VALU_DEP_2)
	v_dual_ashrrev_i32 v3, 31, v2 :: v_dual_ashrrev_i32 v13, 31, v12
	v_add_nc_u32_e32 v14, s12, v12
	v_ashrrev_i32_e32 v21, 31, v20
	v_dual_ashrrev_i32 v9, 31, v8 :: v_dual_add_nc_u32 v16, s12, v14
	scratch_store_b64 off, v[20:21], off offset:560 ; 8-byte Folded Spill
	s_wait_xcnt 0x0
	v_mul_u64_e32 v[20:21], s[4:5], v[20:21]
	v_dual_add_nc_u32 v22, s12, v16 :: v_dual_ashrrev_i32 v17, 31, v16
	s_delay_alu instid0(VALU_DEP_1) | instskip(NEXT) | instid1(VALU_DEP_1)
	v_add_nc_u32_e32 v24, s12, v22
	v_add_nc_u32_e32 v26, s12, v24
	s_delay_alu instid0(VALU_DEP_1) | instskip(NEXT) | instid1(VALU_DEP_1)
	v_add_nc_u32_e32 v28, s12, v26
	v_dual_add_nc_u32 v30, s12, v28 :: v_dual_ashrrev_i32 v29, 31, v28
	v_dual_ashrrev_i32 v15, 31, v14 :: v_dual_ashrrev_i32 v25, 31, v24
	s_delay_alu instid0(VALU_DEP_2) | instskip(SKIP_1) | instid1(VALU_DEP_2)
	v_add_nc_u32_e32 v34, s12, v30
	v_lshl_add_u64 v[20:21], v[20:21], 3, s[8:9]
	v_add_nc_u32_e32 v36, s12, v34
	v_ashrrev_i32_e32 v7, 31, v6
	v_ashrrev_i32_e32 v23, 31, v22
	s_delay_alu instid0(VALU_DEP_4) | instskip(NEXT) | instid1(VALU_DEP_4)
	v_lshl_add_u64 v[20:21], s[10:11], 3, v[20:21]
	v_dual_add_nc_u32 v38, s12, v36 :: v_dual_ashrrev_i32 v37, 31, v36
	s_delay_alu instid0(VALU_DEP_2) | instskip(NEXT) | instid1(VALU_DEP_2)
	v_lshl_add_u64 v[42:43], v[2:3], 3, v[20:21]
	v_add_nc_u32_e32 v2, s12, v38
	v_lshl_add_u64 v[46:47], v[4:5], 3, v[20:21]
	v_lshl_add_u64 v[44:45], v[6:7], 3, v[20:21]
	v_add_nc_u64_e32 v[52:53], v[20:21], v[32:33]
	v_lshl_add_u64 v[32:33], v[8:9], 3, v[20:21]
	v_add_nc_u32_e32 v4, s12, v2
	v_ashrrev_i32_e32 v11, 31, v10
	v_lshl_add_u64 v[48:49], v[12:13], 3, v[20:21]
	v_lshl_add_u64 v[50:51], v[14:15], 3, v[20:21]
	s_delay_alu instid0(VALU_DEP_4) | instskip(NEXT) | instid1(VALU_DEP_4)
	v_dual_ashrrev_i32 v3, 31, v2 :: v_dual_add_nc_u32 v6, s12, v4
	v_lshl_add_u64 v[40:41], v[10:11], 3, v[20:21]
	v_lshl_add_u64 v[16:17], v[16:17], 3, v[20:21]
	;; [unrolled: 1-line block ×3, first 2 shown]
	s_delay_alu instid0(VALU_DEP_4)
	v_lshl_add_u64 v[54:55], v[2:3], 3, v[20:21]
	v_add_nc_u32_e32 v8, s12, v6
	v_lshl_add_u64 v[24:25], v[24:25], 3, v[20:21]
	v_lshl_add_u64 v[28:29], v[28:29], 3, v[20:21]
	;; [unrolled: 1-line block ×4, first 2 shown]
	v_add_nc_u32_e32 v10, s12, v8
	v_dual_ashrrev_i32 v5, 31, v4 :: v_dual_ashrrev_i32 v31, 31, v30
	v_ashrrev_i32_e32 v9, 31, v8
	s_clause 0x2
	global_load_b64 v[136:137], v[44:45], off
	global_load_b64 v[134:135], v[40:41], off
	;; [unrolled: 1-line block ×3, first 2 shown]
	v_dual_add_nc_u32 v12, s12, v10 :: v_dual_ashrrev_i32 v11, 31, v10
	v_ashrrev_i32_e32 v27, 31, v26
	v_lshl_add_u64 v[56:57], v[4:5], 3, v[20:21]
	v_lshl_add_u64 v[60:61], v[8:9], 3, v[20:21]
	s_delay_alu instid0(VALU_DEP_4) | instskip(SKIP_3) | instid1(VALU_DEP_4)
	v_add_nc_u32_e32 v14, s12, v12
	v_lshl_add_u64 v[62:63], v[10:11], 3, v[20:21]
	v_dual_ashrrev_i32 v35, 31, v34 :: v_dual_ashrrev_i32 v13, 31, v12
	v_lshl_add_u64 v[26:27], v[26:27], 3, v[20:21]
	v_dual_add_nc_u32 v2, s12, v14 :: v_dual_ashrrev_i32 v15, 31, v14
	v_lshl_add_u64 v[30:31], v[30:31], 3, v[20:21]
	s_delay_alu instid0(VALU_DEP_4) | instskip(SKIP_1) | instid1(VALU_DEP_4)
	v_lshl_add_u64 v[34:35], v[34:35], 3, v[20:21]
	v_lshl_add_u64 v[12:13], v[12:13], 3, v[20:21]
	v_add_nc_u32_e32 v4, s12, v2
	v_ashrrev_i32_e32 v7, 31, v6
	v_ashrrev_i32_e32 v3, 31, v2
	;; [unrolled: 1-line block ×3, first 2 shown]
	v_lshl_add_u64 v[14:15], v[14:15], 3, v[20:21]
	v_ashrrev_i32_e32 v5, 31, v4
	v_lshl_add_u64 v[58:59], v[6:7], 3, v[20:21]
	v_add_nc_u32_e32 v6, s12, v4
	v_lshl_add_u64 v[64:65], v[2:3], 3, v[20:21]
	v_lshl_add_u64 v[38:39], v[38:39], 3, v[20:21]
	;; [unrolled: 1-line block ×3, first 2 shown]
	s_clause 0x3
	global_load_b64 v[132:133], v[32:33], off
	global_load_b64 v[160:161], v[34:35], off
	;; [unrolled: 1-line block ×4, first 2 shown]
	v_dual_ashrrev_i32 v7, 31, v6 :: v_dual_add_nc_u32 v2, s12, v6
	s_clause 0x3
	global_load_b64 v[130:131], v[48:49], off
	global_load_b64 v[148:149], v[52:53], off
	;; [unrolled: 1-line block ×4, first 2 shown]
	v_dual_add_nc_u32 v4, s12, v2 :: v_dual_ashrrev_i32 v3, 31, v2
	v_lshl_add_u64 v[68:69], v[6:7], 3, v[20:21]
	s_clause 0x1
	global_load_b64 v[140:141], v[16:17], off
	global_load_b64 v[176:177], v[12:13], off
	v_ashrrev_i32_e32 v5, 31, v4
	v_lshl_add_u64 v[70:71], v[2:3], 3, v[20:21]
	v_add_nc_u32_e32 v2, s12, v4
	s_clause 0x3
	global_load_b64 v[146:147], v[22:23], off
	global_load_b64 v[152:153], v[24:25], off
	;; [unrolled: 1-line block ×4, first 2 shown]
	v_lshl_add_u64 v[72:73], v[4:5], 3, v[20:21]
	v_add_nc_u32_e32 v4, s12, v2
	s_clause 0x4
	global_load_b64 v[164:165], v[38:39], off
	global_load_b64 v[166:167], v[54:55], off
	global_load_b64 v[168:169], v[56:57], off
	global_load_b64 v[170:171], v[58:59], off
	global_load_b64 v[172:173], v[60:61], off
	v_dual_ashrrev_i32 v5, 31, v4 :: v_dual_ashrrev_i32 v3, 31, v2
	s_clause 0x3
	global_load_b64 v[174:175], v[62:63], off
	global_load_b64 v[180:181], v[64:65], off
	;; [unrolled: 1-line block ×4, first 2 shown]
	v_lshl_add_u64 v[74:75], v[2:3], 3, v[20:21]
	v_add_nc_u32_e32 v2, s12, v4
	s_clause 0x4
	global_load_b64 v[178:179], v[14:15], off
	global_load_b64 v[150:151], v[0:1], off
	;; [unrolled: 1-line block ×5, first 2 shown]
	v_ashrrev_i32_e32 v3, 31, v2
	v_lshl_add_u64 v[76:77], v[4:5], 3, v[20:21]
	v_add_nc_u32_e32 v4, s12, v2
	s_clause 0x3
	scratch_store_b64 off, v[32:33], off
	scratch_store_b64 off, v[40:41], off offset:8
	scratch_store_b64 off, v[44:45], off offset:24
	;; [unrolled: 1-line block ×3, first 2 shown]
	v_lshl_add_u64 v[78:79], v[2:3], 3, v[20:21]
	v_add_nc_u32_e32 v2, s12, v4
	global_load_b64 v[192:193], v[76:77], off
	s_clause 0x3
	scratch_store_b64 off, v[48:49], off offset:40
	scratch_store_b64 off, v[46:47], off offset:32
	;; [unrolled: 1-line block ×4, first 2 shown]
	v_dual_ashrrev_i32 v3, 31, v2 :: v_dual_ashrrev_i32 v5, 31, v4
	global_load_b64 v[194:195], v[78:79], off
	s_clause 0x3
	scratch_store_b64 off, v[52:53], off offset:72
	scratch_store_b64 off, v[22:23], off offset:64
	;; [unrolled: 1-line block ×4, first 2 shown]
	v_lshl_add_u64 v[80:81], v[4:5], 3, v[20:21]
	v_add_nc_u32_e32 v4, s12, v2
	s_clause 0x3
	scratch_store_b64 off, v[28:29], off offset:96
	scratch_store_b64 off, v[30:31], off offset:104
	;; [unrolled: 1-line block ×4, first 2 shown]
	v_ashrrev_i32_e32 v5, 31, v4
	v_lshl_add_u64 v[82:83], v[2:3], 3, v[20:21]
	v_add_nc_u32_e32 v2, s12, v4
	global_load_b64 v[196:197], v[80:81], off
	s_clause 0x3
	scratch_store_b64 off, v[38:39], off offset:128
	scratch_store_b64 off, v[54:55], off offset:136
	;; [unrolled: 1-line block ×4, first 2 shown]
	v_lshl_add_u64 v[84:85], v[4:5], 3, v[20:21]
	v_add_nc_u32_e32 v4, s12, v2
	global_load_b64 v[198:199], v[82:83], off
	s_clause 0x3
	scratch_store_b64 off, v[60:61], off offset:160
	scratch_store_b64 off, v[62:63], off offset:168
	;; [unrolled: 1-line block ×4, first 2 shown]
	v_dual_ashrrev_i32 v5, 31, v4 :: v_dual_ashrrev_i32 v3, 31, v2
	global_load_b64 v[200:201], v[84:85], off
	s_clause 0x3
	scratch_store_b64 off, v[64:65], off offset:192
	scratch_store_b64 off, v[66:67], off offset:200
	;; [unrolled: 1-line block ×4, first 2 shown]
	v_lshl_add_u64 v[86:87], v[2:3], 3, v[20:21]
	v_add_nc_u32_e32 v2, s12, v4
	s_clause 0x3
	scratch_store_b64 off, v[72:73], off offset:224
	scratch_store_b64 off, v[74:75], off offset:232
	;; [unrolled: 1-line block ×4, first 2 shown]
	v_ashrrev_i32_e32 v3, 31, v2
	v_lshl_add_u64 v[88:89], v[4:5], 3, v[20:21]
	v_add_nc_u32_e32 v4, s12, v2
	global_load_b64 v[202:203], v[86:87], off
	s_clause 0x3
	scratch_store_b64 off, v[80:81], off offset:256
	scratch_store_b64 off, v[82:83], off offset:264
	;; [unrolled: 1-line block ×4, first 2 shown]
	v_lshl_add_u64 v[90:91], v[2:3], 3, v[20:21]
	v_add_nc_u32_e32 v2, s12, v4
	global_load_b64 v[204:205], v[88:89], off
	scratch_store_b64 off, v[88:89], off offset:288 ; 8-byte Folded Spill
	global_load_b64 v[206:207], v[90:91], off
	v_dual_ashrrev_i32 v3, 31, v2 :: v_dual_ashrrev_i32 v5, 31, v4
	s_delay_alu instid0(VALU_DEP_1)
	v_lshl_add_u64 v[92:93], v[4:5], 3, v[20:21]
	v_add_nc_u32_e32 v4, s12, v2
	scratch_store_b64 off, v[90:91], off offset:296 ; 8-byte Folded Spill
	global_load_b64 v[208:209], v[92:93], off
	v_ashrrev_i32_e32 v5, 31, v4
	v_lshl_add_u64 v[94:95], v[2:3], 3, v[20:21]
	v_add_nc_u32_e32 v2, s12, v4
	scratch_store_b64 off, v[92:93], off offset:304 ; 8-byte Folded Spill
	v_lshl_add_u64 v[96:97], v[4:5], 3, v[20:21]
	global_load_b64 v[210:211], v[94:95], off
	v_add_nc_u32_e32 v4, s12, v2
	scratch_store_b64 off, v[94:95], off offset:312 ; 8-byte Folded Spill
	global_load_b64 v[212:213], v[96:97], off
	v_dual_ashrrev_i32 v5, 31, v4 :: v_dual_ashrrev_i32 v3, 31, v2
	s_delay_alu instid0(VALU_DEP_1)
	v_lshl_add_u64 v[98:99], v[2:3], 3, v[20:21]
	v_add_nc_u32_e32 v2, s12, v4
	scratch_store_b64 off, v[96:97], off offset:320 ; 8-byte Folded Spill
	global_load_b64 v[214:215], v[98:99], off
	v_ashrrev_i32_e32 v3, 31, v2
	v_lshl_add_u64 v[100:101], v[4:5], 3, v[20:21]
	v_add_nc_u32_e32 v4, s12, v2
	scratch_store_b64 off, v[98:99], off offset:328 ; 8-byte Folded Spill
	v_lshl_add_u64 v[102:103], v[2:3], 3, v[20:21]
	global_load_b64 v[216:217], v[100:101], off
	v_add_nc_u32_e32 v2, s12, v4
	s_clause 0x1
	scratch_store_b64 off, v[100:101], off offset:336
	scratch_store_b64 off, v[102:103], off offset:344
	global_load_b64 v[218:219], v[102:103], off
	v_dual_ashrrev_i32 v3, 31, v2 :: v_dual_ashrrev_i32 v5, 31, v4
	s_delay_alu instid0(VALU_DEP_1)
	v_lshl_add_u64 v[104:105], v[4:5], 3, v[20:21]
	v_add_nc_u32_e32 v4, s12, v2
	global_load_b64 v[220:221], v[104:105], off
	v_ashrrev_i32_e32 v5, 31, v4
	v_lshl_add_u64 v[106:107], v[2:3], 3, v[20:21]
	v_add_nc_u32_e32 v2, s12, v4
	scratch_store_b64 off, v[104:105], off offset:352 ; 8-byte Folded Spill
	v_lshl_add_u64 v[108:109], v[4:5], 3, v[20:21]
	global_load_b64 v[222:223], v[106:107], off
	v_add_nc_u32_e32 v4, s12, v2
	scratch_store_b64 off, v[106:107], off offset:360 ; 8-byte Folded Spill
	global_load_b64 v[224:225], v[108:109], off
	v_dual_ashrrev_i32 v5, 31, v4 :: v_dual_ashrrev_i32 v3, 31, v2
	s_delay_alu instid0(VALU_DEP_1)
	v_lshl_add_u64 v[110:111], v[2:3], 3, v[20:21]
	v_add_nc_u32_e32 v2, s12, v4
	s_clause 0x1
	scratch_store_b64 off, v[108:109], off offset:368
	scratch_store_b64 off, v[110:111], off offset:376
	v_ashrrev_i32_e32 v3, 31, v2
	v_lshl_add_u64 v[112:113], v[4:5], 3, v[20:21]
	v_add_nc_u32_e32 v4, s12, v2
	global_load_b64 v[226:227], v[110:111], off
	v_lshl_add_u64 v[114:115], v[2:3], 3, v[20:21]
	global_load_b64 v[228:229], v[112:113], off
	v_add_nc_u32_e32 v2, s12, v4
	scratch_store_b64 off, v[112:113], off offset:384 ; 8-byte Folded Spill
	global_load_b64 v[230:231], v[114:115], off
	v_dual_ashrrev_i32 v3, 31, v2 :: v_dual_ashrrev_i32 v5, 31, v4
	s_delay_alu instid0(VALU_DEP_1)
	v_lshl_add_u64 v[116:117], v[4:5], 3, v[20:21]
	v_add_nc_u32_e32 v4, s12, v2
	scratch_store_b64 off, v[114:115], off offset:392 ; 8-byte Folded Spill
	global_load_b64 v[232:233], v[116:117], off
	v_ashrrev_i32_e32 v5, 31, v4
	v_lshl_add_u64 v[118:119], v[2:3], 3, v[20:21]
	v_add_nc_u32_e32 v2, s12, v4
	scratch_store_b64 off, v[116:117], off offset:400 ; 8-byte Folded Spill
	v_lshl_add_u64 v[120:121], v[4:5], 3, v[20:21]
	global_load_b64 v[234:235], v[118:119], off
	v_add_nc_u32_e32 v4, s12, v2
	scratch_store_b64 off, v[118:119], off offset:408 ; 8-byte Folded Spill
	global_load_b64 v[236:237], v[120:121], off
	v_dual_ashrrev_i32 v5, 31, v4 :: v_dual_ashrrev_i32 v3, 31, v2
	s_delay_alu instid0(VALU_DEP_1)
	v_lshl_add_u64 v[122:123], v[2:3], 3, v[20:21]
	v_add_nc_u32_e32 v2, s12, v4
	scratch_store_b64 off, v[120:121], off offset:416 ; 8-byte Folded Spill
	global_load_b64 v[238:239], v[122:123], off
	v_ashrrev_i32_e32 v3, 31, v2
	v_lshl_add_u64 v[124:125], v[4:5], 3, v[20:21]
	v_add_nc_u32_e32 v4, s12, v2
	scratch_store_b64 off, v[122:123], off offset:424 ; 8-byte Folded Spill
	v_lshl_add_u64 v[128:129], v[2:3], 3, v[20:21]
	global_load_b64 v[240:241], v[124:125], off
	v_add_nc_u32_e32 v2, s12, v4
	s_clause 0x1
	scratch_store_b64 off, v[124:125], off offset:432
	scratch_store_b64 off, v[128:129], off offset:440
	global_load_b64 v[252:253], v[128:129], off
	v_dual_ashrrev_i32 v3, 31, v2 :: v_dual_ashrrev_i32 v5, 31, v4
	s_delay_alu instid0(VALU_DEP_1)
	v_lshl_add_u64 v[242:243], v[4:5], 3, v[20:21]
	v_add_nc_u32_e32 v4, s12, v2
	global_load_b64 v[246:247], v[242:243], off
	v_ashrrev_i32_e32 v5, 31, v4
	v_lshl_add_u64 v[244:245], v[2:3], 3, v[20:21]
	v_add_nc_u32_e32 v2, s12, v4
	scratch_store_b64 off, v[242:243], off offset:448 ; 8-byte Folded Spill
	v_lshl_add_u64 v[4:5], v[4:5], 3, v[20:21]
	global_load_b64 v[250:251], v[244:245], off
	v_add_nc_u32_e32 v6, s12, v2
	s_delay_alu instid0(VALU_DEP_1) | instskip(NEXT) | instid1(VALU_DEP_1)
	v_add_nc_u32_e32 v8, s12, v6
	v_dual_add_nc_u32 v10, s12, v8 :: v_dual_ashrrev_i32 v7, 31, v6
	v_dual_ashrrev_i32 v3, 31, v2 :: v_dual_ashrrev_i32 v9, 31, v8
	s_delay_alu instid0(VALU_DEP_2) | instskip(NEXT) | instid1(VALU_DEP_3)
	v_ashrrev_i32_e32 v11, 31, v10
	v_lshl_add_u64 v[6:7], v[6:7], 3, v[20:21]
	s_delay_alu instid0(VALU_DEP_3) | instskip(NEXT) | instid1(VALU_DEP_4)
	v_lshl_add_u64 v[248:249], v[2:3], 3, v[20:21]
	v_lshl_add_u64 v[8:9], v[8:9], 3, v[20:21]
	s_delay_alu instid0(VALU_DEP_4)
	v_lshl_add_u64 v[2:3], v[10:11], 3, v[20:21]
	s_clause 0x5
	scratch_store_b64 off, v[244:245], off offset:456
	scratch_store_b64 off, v[4:5], off offset:472
	;; [unrolled: 1-line block ×6, first 2 shown]
	s_clause 0x4
	global_load_b64 v[248:249], v[248:249], off
	global_load_b64 v[244:245], v[4:5], off
	;; [unrolled: 1-line block ×5, first 2 shown]
	scratch_store_b64 off, v[2:3], off offset:464 ; 8-byte Folded Spill
	s_wait_xcnt 0x0
	s_and_saveexec_b32 s4, s0
	s_cbranch_execz .LBB127_8
; %bb.2:
	s_wait_loadcnt 0x37
	ds_store_b64 v19, v[148:149]
	s_wait_loadcnt 0x24
	ds_store_2addr_b64 v126, v[150:151], v[142:143] offset0:1 offset1:2
	ds_store_2addr_b64 v126, v[144:145], v[136:137] offset0:3 offset1:4
	;; [unrolled: 1-line block ×13, first 2 shown]
	s_wait_loadcnt 0x23
	ds_store_2addr_b64 v126, v[184:185], v[186:187] offset0:27 offset1:28
	s_wait_loadcnt 0x21
	ds_store_2addr_b64 v126, v[188:189], v[190:191] offset0:29 offset1:30
	;; [unrolled: 2-line block ×18, first 2 shown]
	s_wait_loadcnt 0x0
	ds_store_b64 v126, v[0:1] offset:504
	ds_load_b64 v[2:3], v19
	s_wait_dscnt 0x0
	v_cmp_neq_f32_e32 vcc_lo, 0, v2
	v_cmp_neq_f32_e64 s2, 0, v3
	s_or_b32 s2, vcc_lo, s2
	s_delay_alu instid0(SALU_CYCLE_1)
	s_and_b32 exec_lo, exec_lo, s2
	s_cbranch_execz .LBB127_8
; %bb.3:
	v_cmp_ngt_f32_e64 s2, |v2|, |v3|
                                        ; implicit-def: $vgpr4_vgpr5
	s_and_saveexec_b32 s5, s2
	s_delay_alu instid0(SALU_CYCLE_1)
	s_xor_b32 s2, exec_lo, s5
	s_cbranch_execz .LBB127_5
; %bb.4:
	v_div_scale_f32 v4, null, v3, v3, v2
	v_div_scale_f32 v7, vcc_lo, v2, v3, v2
	s_delay_alu instid0(VALU_DEP_2) | instskip(SKIP_1) | instid1(TRANS32_DEP_1)
	v_rcp_f32_e32 v5, v4
	v_nop
	v_fma_f32 v6, -v4, v5, 1.0
	s_delay_alu instid0(VALU_DEP_1) | instskip(NEXT) | instid1(VALU_DEP_1)
	v_fmac_f32_e32 v5, v6, v5
	v_mul_f32_e32 v6, v7, v5
	s_delay_alu instid0(VALU_DEP_1) | instskip(NEXT) | instid1(VALU_DEP_1)
	v_fma_f32 v8, -v4, v6, v7
	v_fmac_f32_e32 v6, v8, v5
	s_delay_alu instid0(VALU_DEP_1) | instskip(NEXT) | instid1(VALU_DEP_1)
	v_fma_f32 v4, -v4, v6, v7
	v_div_fmas_f32 v4, v4, v5, v6
	s_delay_alu instid0(VALU_DEP_1) | instskip(NEXT) | instid1(VALU_DEP_1)
	v_div_fixup_f32 v4, v4, v3, v2
	v_fmac_f32_e32 v3, v2, v4
	s_delay_alu instid0(VALU_DEP_1) | instskip(SKIP_1) | instid1(VALU_DEP_2)
	v_div_scale_f32 v2, null, v3, v3, 1.0
	v_div_scale_f32 v7, vcc_lo, 1.0, v3, 1.0
	v_rcp_f32_e32 v5, v2
	v_nop
	s_delay_alu instid0(TRANS32_DEP_1) | instskip(NEXT) | instid1(VALU_DEP_1)
	v_fma_f32 v6, -v2, v5, 1.0
	v_fmac_f32_e32 v5, v6, v5
	s_delay_alu instid0(VALU_DEP_1) | instskip(NEXT) | instid1(VALU_DEP_1)
	v_mul_f32_e32 v6, v7, v5
	v_fma_f32 v8, -v2, v6, v7
	s_delay_alu instid0(VALU_DEP_1) | instskip(NEXT) | instid1(VALU_DEP_1)
	v_fmac_f32_e32 v6, v8, v5
	v_fma_f32 v2, -v2, v6, v7
	s_delay_alu instid0(VALU_DEP_1) | instskip(NEXT) | instid1(VALU_DEP_1)
	v_div_fmas_f32 v2, v2, v5, v6
	v_div_fixup_f32 v2, v2, v3, 1.0
	s_delay_alu instid0(VALU_DEP_1)
	v_mul_f32_e32 v4, v4, v2
	v_xor_b32_e32 v5, 0x80000000, v2
                                        ; implicit-def: $vgpr2_vgpr3
.LBB127_5:
	s_and_not1_saveexec_b32 s2, s2
	s_cbranch_execz .LBB127_7
; %bb.6:
	v_div_scale_f32 v4, null, v2, v2, v3
	v_div_scale_f32 v7, vcc_lo, v3, v2, v3
	s_delay_alu instid0(VALU_DEP_2) | instskip(SKIP_1) | instid1(TRANS32_DEP_1)
	v_rcp_f32_e32 v5, v4
	v_nop
	v_fma_f32 v6, -v4, v5, 1.0
	s_delay_alu instid0(VALU_DEP_1) | instskip(NEXT) | instid1(VALU_DEP_1)
	v_fmac_f32_e32 v5, v6, v5
	v_mul_f32_e32 v6, v7, v5
	s_delay_alu instid0(VALU_DEP_1) | instskip(NEXT) | instid1(VALU_DEP_1)
	v_fma_f32 v8, -v4, v6, v7
	v_fmac_f32_e32 v6, v8, v5
	s_delay_alu instid0(VALU_DEP_1) | instskip(NEXT) | instid1(VALU_DEP_1)
	v_fma_f32 v4, -v4, v6, v7
	v_div_fmas_f32 v4, v4, v5, v6
	s_delay_alu instid0(VALU_DEP_1) | instskip(NEXT) | instid1(VALU_DEP_1)
	v_div_fixup_f32 v5, v4, v2, v3
	v_fmac_f32_e32 v2, v3, v5
	s_delay_alu instid0(VALU_DEP_1) | instskip(NEXT) | instid1(VALU_DEP_1)
	v_div_scale_f32 v3, null, v2, v2, 1.0
	v_rcp_f32_e32 v4, v3
	v_nop
	s_delay_alu instid0(TRANS32_DEP_1) | instskip(NEXT) | instid1(VALU_DEP_1)
	v_fma_f32 v6, -v3, v4, 1.0
	v_fmac_f32_e32 v4, v6, v4
	v_div_scale_f32 v6, vcc_lo, 1.0, v2, 1.0
	s_delay_alu instid0(VALU_DEP_1) | instskip(NEXT) | instid1(VALU_DEP_1)
	v_mul_f32_e32 v7, v6, v4
	v_fma_f32 v8, -v3, v7, v6
	s_delay_alu instid0(VALU_DEP_1) | instskip(NEXT) | instid1(VALU_DEP_1)
	v_fmac_f32_e32 v7, v8, v4
	v_fma_f32 v3, -v3, v7, v6
	s_delay_alu instid0(VALU_DEP_1) | instskip(NEXT) | instid1(VALU_DEP_1)
	v_div_fmas_f32 v3, v3, v4, v7
	v_div_fixup_f32 v4, v3, v2, 1.0
	s_delay_alu instid0(VALU_DEP_1)
	v_mul_f32_e64 v5, v5, -v4
.LBB127_7:
	s_or_b32 exec_lo, exec_lo, s2
	ds_store_b64 v19, v[4:5]
.LBB127_8:
	s_or_b32 exec_lo, exec_lo, s4
	s_wait_storecnt 0x0
	s_wait_loadcnt_dscnt 0x0
	s_barrier_signal -1
	s_barrier_wait -1
	ds_load_b64 v[2:3], v19
	s_wait_dscnt 0x0
	scratch_store_b64 off, v[2:3], off offset:512 ; 8-byte Folded Spill
	s_wait_xcnt 0x0
	s_and_saveexec_b32 s2, s1
	s_cbranch_execz .LBB127_10
; %bb.9:
	scratch_load_b64 v[6:7], off, off offset:512 ; 8-byte Folded Reload
	ds_load_2addr_b64 v[8:11], v126 offset0:1 offset1:2
	s_wait_loadcnt 0x0
	v_pk_mul_f32 v[2:3], v[6:7], v[148:149] op_sel:[1,1] op_sel_hi:[0,1]
	s_delay_alu instid0(VALU_DEP_1) | instskip(SKIP_1) | instid1(VALU_DEP_1)
	v_pk_fma_f32 v[4:5], v[6:7], v[148:149], v[2:3] op_sel_hi:[1,0,1] neg_lo:[0,0,1] neg_hi:[0,0,1]
	v_pk_fma_f32 v[6:7], v[6:7], v[148:149], v[2:3] op_sel_hi:[1,0,1]
	v_dual_mov_b32 v148, v4 :: v_dual_mov_b32 v149, v7
	s_wait_dscnt 0x0
	s_delay_alu instid0(VALU_DEP_2) | instskip(NEXT) | instid1(VALU_DEP_1)
	v_pk_mul_f32 v[2:3], v[8:9], v[6:7] op_sel:[0,1]
	v_pk_fma_f32 v[12:13], v[8:9], v[4:5], v[2:3] op_sel:[0,0,1] op_sel_hi:[1,1,0] neg_lo:[0,0,1] neg_hi:[0,0,1]
	v_pk_fma_f32 v[2:3], v[8:9], v[4:5], v[2:3] op_sel:[0,0,1] op_sel_hi:[1,0,0]
	s_delay_alu instid0(VALU_DEP_1) | instskip(SKIP_1) | instid1(VALU_DEP_1)
	v_mov_b32_e32 v13, v3
	v_pk_mul_f32 v[2:3], v[10:11], v[6:7] op_sel:[0,1]
	v_pk_fma_f32 v[8:9], v[10:11], v[4:5], v[2:3] op_sel:[0,0,1] op_sel_hi:[1,1,0] neg_lo:[0,0,1] neg_hi:[0,0,1]
	v_pk_fma_f32 v[2:3], v[10:11], v[4:5], v[2:3] op_sel:[0,0,1] op_sel_hi:[1,0,0]
	s_delay_alu instid0(VALU_DEP_1) | instskip(SKIP_1) | instid1(VALU_DEP_2)
	v_mov_b32_e32 v9, v3
	v_pk_add_f32 v[150:151], v[150:151], v[12:13] neg_lo:[0,1] neg_hi:[0,1]
	v_pk_add_f32 v[142:143], v[142:143], v[8:9] neg_lo:[0,1] neg_hi:[0,1]
	ds_load_2addr_b64 v[8:11], v126 offset0:3 offset1:4
	s_wait_dscnt 0x0
	v_pk_mul_f32 v[2:3], v[8:9], v[6:7] op_sel:[0,1]
	s_delay_alu instid0(VALU_DEP_1) | instskip(SKIP_2) | instid1(VALU_DEP_2)
	v_pk_fma_f32 v[12:13], v[8:9], v[4:5], v[2:3] op_sel:[0,0,1] op_sel_hi:[1,1,0] neg_lo:[0,0,1] neg_hi:[0,0,1]
	v_pk_fma_f32 v[2:3], v[8:9], v[4:5], v[2:3] op_sel:[0,0,1] op_sel_hi:[1,0,0]
	v_dual_mul_f32 v8, v11, v7 :: v_dual_mov_b32 v2, v11
	v_dual_mov_b32 v13, v3 :: v_dual_mov_b32 v3, v10
	s_delay_alu instid0(VALU_DEP_2) | instskip(SKIP_1) | instid1(VALU_DEP_3)
	v_pk_fma_f32 v[8:9], v[10:11], v[148:149], v[8:9] op_sel_hi:[1,1,0] neg_lo:[0,0,1] neg_hi:[0,0,1]
	v_mul_f32_e32 v10, v11, v4
	v_pk_add_f32 v[144:145], v[144:145], v[12:13] neg_lo:[0,1] neg_hi:[0,1]
	s_delay_alu instid0(VALU_DEP_2) | instskip(NEXT) | instid1(VALU_DEP_1)
	v_pk_fma_f32 v[2:3], v[2:3], v[148:149], v[10:11] op_sel_hi:[1,1,0]
	v_mov_b32_e32 v9, v3
	s_delay_alu instid0(VALU_DEP_1) | instskip(SKIP_3) | instid1(VALU_DEP_1)
	v_pk_add_f32 v[136:137], v[136:137], v[8:9] neg_lo:[0,1] neg_hi:[0,1]
	ds_load_2addr_b64 v[8:11], v126 offset0:5 offset1:6
	s_wait_dscnt 0x0
	v_pk_mul_f32 v[2:3], v[8:9], v[6:7] op_sel:[0,1]
	v_pk_fma_f32 v[12:13], v[8:9], v[4:5], v[2:3] op_sel:[0,0,1] op_sel_hi:[1,1,0] neg_lo:[0,0,1] neg_hi:[0,0,1]
	v_pk_fma_f32 v[2:3], v[8:9], v[4:5], v[2:3] op_sel:[0,0,1] op_sel_hi:[1,0,0]
	s_delay_alu instid0(VALU_DEP_1) | instskip(SKIP_1) | instid1(VALU_DEP_2)
	v_mov_b32_e32 v13, v3
	v_pk_mul_f32 v[2:3], v[10:11], v[6:7] op_sel:[0,1]
	v_pk_add_f32 v[132:133], v[132:133], v[12:13] neg_lo:[0,1] neg_hi:[0,1]
	s_delay_alu instid0(VALU_DEP_2) | instskip(SKIP_1) | instid1(VALU_DEP_1)
	v_pk_fma_f32 v[8:9], v[10:11], v[4:5], v[2:3] op_sel:[0,0,1] op_sel_hi:[1,1,0] neg_lo:[0,0,1] neg_hi:[0,0,1]
	v_pk_fma_f32 v[2:3], v[10:11], v[4:5], v[2:3] op_sel:[0,0,1] op_sel_hi:[1,0,0]
	v_mov_b32_e32 v9, v3
	s_delay_alu instid0(VALU_DEP_1) | instskip(SKIP_3) | instid1(VALU_DEP_1)
	v_pk_add_f32 v[134:135], v[134:135], v[8:9] neg_lo:[0,1] neg_hi:[0,1]
	ds_load_2addr_b64 v[8:11], v126 offset0:7 offset1:8
	s_wait_dscnt 0x0
	v_pk_mul_f32 v[2:3], v[8:9], v[6:7] op_sel:[0,1]
	v_pk_fma_f32 v[12:13], v[8:9], v[4:5], v[2:3] op_sel:[0,0,1] op_sel_hi:[1,1,0] neg_lo:[0,0,1] neg_hi:[0,0,1]
	v_pk_fma_f32 v[2:3], v[8:9], v[4:5], v[2:3] op_sel:[0,0,1] op_sel_hi:[1,0,0]
	s_delay_alu instid0(VALU_DEP_1) | instskip(SKIP_1) | instid1(VALU_DEP_2)
	v_mov_b32_e32 v13, v3
	v_pk_mul_f32 v[2:3], v[10:11], v[6:7] op_sel:[0,1]
	v_pk_add_f32 v[130:131], v[130:131], v[12:13] neg_lo:[0,1] neg_hi:[0,1]
	s_delay_alu instid0(VALU_DEP_2) | instskip(SKIP_1) | instid1(VALU_DEP_1)
	v_pk_fma_f32 v[8:9], v[10:11], v[4:5], v[2:3] op_sel:[0,0,1] op_sel_hi:[1,1,0] neg_lo:[0,0,1] neg_hi:[0,0,1]
	v_pk_fma_f32 v[2:3], v[10:11], v[4:5], v[2:3] op_sel:[0,0,1] op_sel_hi:[1,0,0]
	v_mov_b32_e32 v9, v3
	s_delay_alu instid0(VALU_DEP_1) | instskip(SKIP_3) | instid1(VALU_DEP_1)
	v_pk_add_f32 v[138:139], v[138:139], v[8:9] neg_lo:[0,1] neg_hi:[0,1]
	ds_load_2addr_b64 v[8:11], v126 offset0:9 offset1:10
	s_wait_dscnt 0x0
	v_dual_mul_f32 v2, v9, v7 :: v_dual_mul_f32 v12, v9, v4
	v_pk_fma_f32 v[2:3], v[8:9], v[148:149], v[2:3] op_sel_hi:[1,1,0] neg_lo:[0,0,1] neg_hi:[0,0,1]
	s_delay_alu instid0(VALU_DEP_2) | instskip(NEXT) | instid1(VALU_DEP_1)
	v_pk_fma_f32 v[8:9], v[8:9], v[148:149], v[12:13] op_sel:[1,0,0] op_sel_hi:[0,1,0]
	v_mov_b32_e32 v3, v9
	s_delay_alu instid0(VALU_DEP_1) | instskip(SKIP_1) | instid1(VALU_DEP_1)
	v_pk_add_f32 v[140:141], v[140:141], v[2:3] neg_lo:[0,1] neg_hi:[0,1]
	v_pk_mul_f32 v[2:3], v[10:11], v[6:7] op_sel:[0,1]
	v_pk_fma_f32 v[8:9], v[10:11], v[4:5], v[2:3] op_sel:[0,0,1] op_sel_hi:[1,1,0] neg_lo:[0,0,1] neg_hi:[0,0,1]
	v_pk_fma_f32 v[2:3], v[10:11], v[4:5], v[2:3] op_sel:[0,0,1] op_sel_hi:[1,0,0]
	s_delay_alu instid0(VALU_DEP_1) | instskip(NEXT) | instid1(VALU_DEP_1)
	v_mov_b32_e32 v9, v3
	v_pk_add_f32 v[146:147], v[146:147], v[8:9] neg_lo:[0,1] neg_hi:[0,1]
	ds_load_2addr_b64 v[8:11], v126 offset0:11 offset1:12
	s_wait_dscnt 0x0
	v_pk_mul_f32 v[2:3], v[8:9], v[6:7] op_sel:[0,1]
	s_delay_alu instid0(VALU_DEP_1) | instskip(SKIP_1) | instid1(VALU_DEP_1)
	v_pk_fma_f32 v[12:13], v[8:9], v[4:5], v[2:3] op_sel:[0,0,1] op_sel_hi:[1,1,0] neg_lo:[0,0,1] neg_hi:[0,0,1]
	v_pk_fma_f32 v[2:3], v[8:9], v[4:5], v[2:3] op_sel:[0,0,1] op_sel_hi:[1,0,0]
	v_mov_b32_e32 v13, v3
	v_pk_mul_f32 v[2:3], v[10:11], v[6:7] op_sel:[0,1]
	s_delay_alu instid0(VALU_DEP_2) | instskip(NEXT) | instid1(VALU_DEP_2)
	v_pk_add_f32 v[152:153], v[152:153], v[12:13] neg_lo:[0,1] neg_hi:[0,1]
	v_pk_fma_f32 v[8:9], v[10:11], v[4:5], v[2:3] op_sel:[0,0,1] op_sel_hi:[1,1,0] neg_lo:[0,0,1] neg_hi:[0,0,1]
	v_pk_fma_f32 v[2:3], v[10:11], v[4:5], v[2:3] op_sel:[0,0,1] op_sel_hi:[1,0,0]
	s_delay_alu instid0(VALU_DEP_1) | instskip(NEXT) | instid1(VALU_DEP_1)
	v_mov_b32_e32 v9, v3
	v_pk_add_f32 v[154:155], v[154:155], v[8:9] neg_lo:[0,1] neg_hi:[0,1]
	ds_load_2addr_b64 v[8:11], v126 offset0:13 offset1:14
	s_wait_dscnt 0x0
	v_pk_mul_f32 v[2:3], v[8:9], v[6:7] op_sel:[0,1]
	s_delay_alu instid0(VALU_DEP_1) | instskip(SKIP_2) | instid1(VALU_DEP_2)
	v_pk_fma_f32 v[12:13], v[8:9], v[4:5], v[2:3] op_sel:[0,0,1] op_sel_hi:[1,1,0] neg_lo:[0,0,1] neg_hi:[0,0,1]
	v_pk_fma_f32 v[2:3], v[8:9], v[4:5], v[2:3] op_sel:[0,0,1] op_sel_hi:[1,0,0]
	v_dual_mul_f32 v8, v11, v7 :: v_dual_mov_b32 v2, v11
	v_dual_mov_b32 v13, v3 :: v_dual_mov_b32 v3, v10
	s_delay_alu instid0(VALU_DEP_2) | instskip(SKIP_1) | instid1(VALU_DEP_3)
	v_pk_fma_f32 v[8:9], v[10:11], v[148:149], v[8:9] op_sel_hi:[1,1,0] neg_lo:[0,0,1] neg_hi:[0,0,1]
	v_mul_f32_e32 v10, v11, v4
	v_pk_add_f32 v[156:157], v[156:157], v[12:13] neg_lo:[0,1] neg_hi:[0,1]
	s_delay_alu instid0(VALU_DEP_2) | instskip(NEXT) | instid1(VALU_DEP_1)
	v_pk_fma_f32 v[2:3], v[2:3], v[148:149], v[10:11] op_sel_hi:[1,1,0]
	v_mov_b32_e32 v9, v3
	s_delay_alu instid0(VALU_DEP_1) | instskip(SKIP_3) | instid1(VALU_DEP_1)
	v_pk_add_f32 v[158:159], v[158:159], v[8:9] neg_lo:[0,1] neg_hi:[0,1]
	ds_load_2addr_b64 v[8:11], v126 offset0:15 offset1:16
	s_wait_dscnt 0x0
	v_pk_mul_f32 v[2:3], v[8:9], v[6:7] op_sel:[0,1]
	v_pk_fma_f32 v[12:13], v[8:9], v[4:5], v[2:3] op_sel:[0,0,1] op_sel_hi:[1,1,0] neg_lo:[0,0,1] neg_hi:[0,0,1]
	v_pk_fma_f32 v[2:3], v[8:9], v[4:5], v[2:3] op_sel:[0,0,1] op_sel_hi:[1,0,0]
	s_delay_alu instid0(VALU_DEP_1) | instskip(SKIP_1) | instid1(VALU_DEP_2)
	v_mov_b32_e32 v13, v3
	v_pk_mul_f32 v[2:3], v[10:11], v[6:7] op_sel:[0,1]
	v_pk_add_f32 v[160:161], v[160:161], v[12:13] neg_lo:[0,1] neg_hi:[0,1]
	s_delay_alu instid0(VALU_DEP_2) | instskip(SKIP_1) | instid1(VALU_DEP_1)
	v_pk_fma_f32 v[8:9], v[10:11], v[4:5], v[2:3] op_sel:[0,0,1] op_sel_hi:[1,1,0] neg_lo:[0,0,1] neg_hi:[0,0,1]
	v_pk_fma_f32 v[2:3], v[10:11], v[4:5], v[2:3] op_sel:[0,0,1] op_sel_hi:[1,0,0]
	v_mov_b32_e32 v9, v3
	s_delay_alu instid0(VALU_DEP_1) | instskip(SKIP_3) | instid1(VALU_DEP_1)
	v_pk_add_f32 v[162:163], v[162:163], v[8:9] neg_lo:[0,1] neg_hi:[0,1]
	ds_load_2addr_b64 v[8:11], v126 offset0:17 offset1:18
	s_wait_dscnt 0x0
	v_pk_mul_f32 v[2:3], v[8:9], v[6:7] op_sel:[0,1]
	v_pk_fma_f32 v[12:13], v[8:9], v[4:5], v[2:3] op_sel:[0,0,1] op_sel_hi:[1,1,0] neg_lo:[0,0,1] neg_hi:[0,0,1]
	v_pk_fma_f32 v[2:3], v[8:9], v[4:5], v[2:3] op_sel:[0,0,1] op_sel_hi:[1,0,0]
	s_delay_alu instid0(VALU_DEP_1) | instskip(SKIP_1) | instid1(VALU_DEP_2)
	v_mov_b32_e32 v13, v3
	v_pk_mul_f32 v[2:3], v[10:11], v[6:7] op_sel:[0,1]
	v_pk_add_f32 v[164:165], v[164:165], v[12:13] neg_lo:[0,1] neg_hi:[0,1]
	s_delay_alu instid0(VALU_DEP_2) | instskip(SKIP_1) | instid1(VALU_DEP_1)
	v_pk_fma_f32 v[8:9], v[10:11], v[4:5], v[2:3] op_sel:[0,0,1] op_sel_hi:[1,1,0] neg_lo:[0,0,1] neg_hi:[0,0,1]
	v_pk_fma_f32 v[2:3], v[10:11], v[4:5], v[2:3] op_sel:[0,0,1] op_sel_hi:[1,0,0]
	v_mov_b32_e32 v9, v3
	s_delay_alu instid0(VALU_DEP_1) | instskip(SKIP_3) | instid1(VALU_DEP_1)
	v_pk_add_f32 v[166:167], v[166:167], v[8:9] neg_lo:[0,1] neg_hi:[0,1]
	ds_load_2addr_b64 v[8:11], v126 offset0:19 offset1:20
	s_wait_dscnt 0x0
	v_dual_mul_f32 v2, v9, v7 :: v_dual_mul_f32 v12, v9, v4
	v_pk_fma_f32 v[2:3], v[8:9], v[148:149], v[2:3] op_sel_hi:[1,1,0] neg_lo:[0,0,1] neg_hi:[0,0,1]
	s_delay_alu instid0(VALU_DEP_2) | instskip(NEXT) | instid1(VALU_DEP_1)
	v_pk_fma_f32 v[8:9], v[8:9], v[148:149], v[12:13] op_sel:[1,0,0] op_sel_hi:[0,1,0]
	v_mov_b32_e32 v3, v9
	s_delay_alu instid0(VALU_DEP_1) | instskip(SKIP_1) | instid1(VALU_DEP_1)
	v_pk_add_f32 v[168:169], v[168:169], v[2:3] neg_lo:[0,1] neg_hi:[0,1]
	v_pk_mul_f32 v[2:3], v[10:11], v[6:7] op_sel:[0,1]
	v_pk_fma_f32 v[8:9], v[10:11], v[4:5], v[2:3] op_sel:[0,0,1] op_sel_hi:[1,1,0] neg_lo:[0,0,1] neg_hi:[0,0,1]
	v_pk_fma_f32 v[2:3], v[10:11], v[4:5], v[2:3] op_sel:[0,0,1] op_sel_hi:[1,0,0]
	s_delay_alu instid0(VALU_DEP_1) | instskip(NEXT) | instid1(VALU_DEP_1)
	v_mov_b32_e32 v9, v3
	v_pk_add_f32 v[170:171], v[170:171], v[8:9] neg_lo:[0,1] neg_hi:[0,1]
	ds_load_2addr_b64 v[8:11], v126 offset0:21 offset1:22
	s_wait_dscnt 0x0
	v_pk_mul_f32 v[2:3], v[8:9], v[6:7] op_sel:[0,1]
	s_delay_alu instid0(VALU_DEP_1) | instskip(SKIP_1) | instid1(VALU_DEP_1)
	v_pk_fma_f32 v[12:13], v[8:9], v[4:5], v[2:3] op_sel:[0,0,1] op_sel_hi:[1,1,0] neg_lo:[0,0,1] neg_hi:[0,0,1]
	v_pk_fma_f32 v[2:3], v[8:9], v[4:5], v[2:3] op_sel:[0,0,1] op_sel_hi:[1,0,0]
	v_mov_b32_e32 v13, v3
	v_pk_mul_f32 v[2:3], v[10:11], v[6:7] op_sel:[0,1]
	s_delay_alu instid0(VALU_DEP_2) | instskip(NEXT) | instid1(VALU_DEP_2)
	v_pk_add_f32 v[172:173], v[172:173], v[12:13] neg_lo:[0,1] neg_hi:[0,1]
	v_pk_fma_f32 v[8:9], v[10:11], v[4:5], v[2:3] op_sel:[0,0,1] op_sel_hi:[1,1,0] neg_lo:[0,0,1] neg_hi:[0,0,1]
	v_pk_fma_f32 v[2:3], v[10:11], v[4:5], v[2:3] op_sel:[0,0,1] op_sel_hi:[1,0,0]
	s_delay_alu instid0(VALU_DEP_1) | instskip(NEXT) | instid1(VALU_DEP_1)
	v_mov_b32_e32 v9, v3
	v_pk_add_f32 v[174:175], v[174:175], v[8:9] neg_lo:[0,1] neg_hi:[0,1]
	ds_load_2addr_b64 v[8:11], v126 offset0:23 offset1:24
	s_wait_dscnt 0x0
	v_pk_mul_f32 v[2:3], v[8:9], v[6:7] op_sel:[0,1]
	s_delay_alu instid0(VALU_DEP_1) | instskip(SKIP_2) | instid1(VALU_DEP_2)
	v_pk_fma_f32 v[12:13], v[8:9], v[4:5], v[2:3] op_sel:[0,0,1] op_sel_hi:[1,1,0] neg_lo:[0,0,1] neg_hi:[0,0,1]
	v_pk_fma_f32 v[2:3], v[8:9], v[4:5], v[2:3] op_sel:[0,0,1] op_sel_hi:[1,0,0]
	v_dual_mul_f32 v8, v11, v7 :: v_dual_mov_b32 v2, v11
	v_dual_mov_b32 v13, v3 :: v_dual_mov_b32 v3, v10
	s_delay_alu instid0(VALU_DEP_2) | instskip(SKIP_1) | instid1(VALU_DEP_3)
	v_pk_fma_f32 v[8:9], v[10:11], v[148:149], v[8:9] op_sel_hi:[1,1,0] neg_lo:[0,0,1] neg_hi:[0,0,1]
	v_mul_f32_e32 v10, v11, v4
	v_pk_add_f32 v[176:177], v[176:177], v[12:13] neg_lo:[0,1] neg_hi:[0,1]
	s_delay_alu instid0(VALU_DEP_2) | instskip(NEXT) | instid1(VALU_DEP_1)
	v_pk_fma_f32 v[2:3], v[2:3], v[148:149], v[10:11] op_sel_hi:[1,1,0]
	v_mov_b32_e32 v9, v3
	s_delay_alu instid0(VALU_DEP_1) | instskip(SKIP_3) | instid1(VALU_DEP_1)
	v_pk_add_f32 v[178:179], v[178:179], v[8:9] neg_lo:[0,1] neg_hi:[0,1]
	ds_load_2addr_b64 v[8:11], v126 offset0:25 offset1:26
	s_wait_dscnt 0x0
	v_pk_mul_f32 v[2:3], v[8:9], v[6:7] op_sel:[0,1]
	v_pk_fma_f32 v[12:13], v[8:9], v[4:5], v[2:3] op_sel:[0,0,1] op_sel_hi:[1,1,0] neg_lo:[0,0,1] neg_hi:[0,0,1]
	v_pk_fma_f32 v[2:3], v[8:9], v[4:5], v[2:3] op_sel:[0,0,1] op_sel_hi:[1,0,0]
	s_delay_alu instid0(VALU_DEP_1) | instskip(SKIP_1) | instid1(VALU_DEP_2)
	v_mov_b32_e32 v13, v3
	v_pk_mul_f32 v[2:3], v[10:11], v[6:7] op_sel:[0,1]
	v_pk_add_f32 v[180:181], v[180:181], v[12:13] neg_lo:[0,1] neg_hi:[0,1]
	s_delay_alu instid0(VALU_DEP_2) | instskip(SKIP_1) | instid1(VALU_DEP_1)
	v_pk_fma_f32 v[8:9], v[10:11], v[4:5], v[2:3] op_sel:[0,0,1] op_sel_hi:[1,1,0] neg_lo:[0,0,1] neg_hi:[0,0,1]
	v_pk_fma_f32 v[2:3], v[10:11], v[4:5], v[2:3] op_sel:[0,0,1] op_sel_hi:[1,0,0]
	v_mov_b32_e32 v9, v3
	s_delay_alu instid0(VALU_DEP_1) | instskip(SKIP_3) | instid1(VALU_DEP_1)
	v_pk_add_f32 v[182:183], v[182:183], v[8:9] neg_lo:[0,1] neg_hi:[0,1]
	ds_load_2addr_b64 v[8:11], v126 offset0:27 offset1:28
	s_wait_dscnt 0x0
	v_pk_mul_f32 v[2:3], v[8:9], v[6:7] op_sel:[0,1]
	v_pk_fma_f32 v[12:13], v[8:9], v[4:5], v[2:3] op_sel:[0,0,1] op_sel_hi:[1,1,0] neg_lo:[0,0,1] neg_hi:[0,0,1]
	v_pk_fma_f32 v[2:3], v[8:9], v[4:5], v[2:3] op_sel:[0,0,1] op_sel_hi:[1,0,0]
	s_delay_alu instid0(VALU_DEP_1) | instskip(SKIP_1) | instid1(VALU_DEP_2)
	v_mov_b32_e32 v13, v3
	v_pk_mul_f32 v[2:3], v[10:11], v[6:7] op_sel:[0,1]
	v_pk_add_f32 v[184:185], v[184:185], v[12:13] neg_lo:[0,1] neg_hi:[0,1]
	s_delay_alu instid0(VALU_DEP_2) | instskip(SKIP_1) | instid1(VALU_DEP_1)
	v_pk_fma_f32 v[8:9], v[10:11], v[4:5], v[2:3] op_sel:[0,0,1] op_sel_hi:[1,1,0] neg_lo:[0,0,1] neg_hi:[0,0,1]
	v_pk_fma_f32 v[2:3], v[10:11], v[4:5], v[2:3] op_sel:[0,0,1] op_sel_hi:[1,0,0]
	v_mov_b32_e32 v9, v3
	s_delay_alu instid0(VALU_DEP_1) | instskip(SKIP_3) | instid1(VALU_DEP_1)
	v_pk_add_f32 v[186:187], v[186:187], v[8:9] neg_lo:[0,1] neg_hi:[0,1]
	ds_load_2addr_b64 v[8:11], v126 offset0:29 offset1:30
	s_wait_dscnt 0x0
	v_dual_mul_f32 v2, v9, v7 :: v_dual_mul_f32 v12, v9, v4
	v_pk_fma_f32 v[2:3], v[8:9], v[148:149], v[2:3] op_sel_hi:[1,1,0] neg_lo:[0,0,1] neg_hi:[0,0,1]
	s_delay_alu instid0(VALU_DEP_2) | instskip(NEXT) | instid1(VALU_DEP_1)
	v_pk_fma_f32 v[8:9], v[8:9], v[148:149], v[12:13] op_sel:[1,0,0] op_sel_hi:[0,1,0]
	v_mov_b32_e32 v3, v9
	s_delay_alu instid0(VALU_DEP_1) | instskip(SKIP_1) | instid1(VALU_DEP_1)
	v_pk_add_f32 v[188:189], v[188:189], v[2:3] neg_lo:[0,1] neg_hi:[0,1]
	v_pk_mul_f32 v[2:3], v[10:11], v[6:7] op_sel:[0,1]
	v_pk_fma_f32 v[8:9], v[10:11], v[4:5], v[2:3] op_sel:[0,0,1] op_sel_hi:[1,1,0] neg_lo:[0,0,1] neg_hi:[0,0,1]
	v_pk_fma_f32 v[2:3], v[10:11], v[4:5], v[2:3] op_sel:[0,0,1] op_sel_hi:[1,0,0]
	s_delay_alu instid0(VALU_DEP_1) | instskip(NEXT) | instid1(VALU_DEP_1)
	v_mov_b32_e32 v9, v3
	v_pk_add_f32 v[190:191], v[190:191], v[8:9] neg_lo:[0,1] neg_hi:[0,1]
	ds_load_2addr_b64 v[8:11], v126 offset0:31 offset1:32
	s_wait_dscnt 0x0
	v_pk_mul_f32 v[2:3], v[8:9], v[6:7] op_sel:[0,1]
	s_delay_alu instid0(VALU_DEP_1) | instskip(SKIP_1) | instid1(VALU_DEP_1)
	v_pk_fma_f32 v[12:13], v[8:9], v[4:5], v[2:3] op_sel:[0,0,1] op_sel_hi:[1,1,0] neg_lo:[0,0,1] neg_hi:[0,0,1]
	v_pk_fma_f32 v[2:3], v[8:9], v[4:5], v[2:3] op_sel:[0,0,1] op_sel_hi:[1,0,0]
	v_mov_b32_e32 v13, v3
	v_pk_mul_f32 v[2:3], v[10:11], v[6:7] op_sel:[0,1]
	s_delay_alu instid0(VALU_DEP_2) | instskip(NEXT) | instid1(VALU_DEP_2)
	v_pk_add_f32 v[192:193], v[192:193], v[12:13] neg_lo:[0,1] neg_hi:[0,1]
	v_pk_fma_f32 v[8:9], v[10:11], v[4:5], v[2:3] op_sel:[0,0,1] op_sel_hi:[1,1,0] neg_lo:[0,0,1] neg_hi:[0,0,1]
	v_pk_fma_f32 v[2:3], v[10:11], v[4:5], v[2:3] op_sel:[0,0,1] op_sel_hi:[1,0,0]
	s_delay_alu instid0(VALU_DEP_1) | instskip(NEXT) | instid1(VALU_DEP_1)
	v_mov_b32_e32 v9, v3
	v_pk_add_f32 v[194:195], v[194:195], v[8:9] neg_lo:[0,1] neg_hi:[0,1]
	ds_load_2addr_b64 v[8:11], v126 offset0:33 offset1:34
	s_wait_dscnt 0x0
	v_pk_mul_f32 v[2:3], v[8:9], v[6:7] op_sel:[0,1]
	s_delay_alu instid0(VALU_DEP_1) | instskip(SKIP_2) | instid1(VALU_DEP_2)
	v_pk_fma_f32 v[12:13], v[8:9], v[4:5], v[2:3] op_sel:[0,0,1] op_sel_hi:[1,1,0] neg_lo:[0,0,1] neg_hi:[0,0,1]
	v_pk_fma_f32 v[2:3], v[8:9], v[4:5], v[2:3] op_sel:[0,0,1] op_sel_hi:[1,0,0]
	v_dual_mul_f32 v8, v11, v7 :: v_dual_mov_b32 v2, v11
	v_dual_mov_b32 v13, v3 :: v_dual_mov_b32 v3, v10
	s_delay_alu instid0(VALU_DEP_2) | instskip(SKIP_1) | instid1(VALU_DEP_3)
	v_pk_fma_f32 v[8:9], v[10:11], v[148:149], v[8:9] op_sel_hi:[1,1,0] neg_lo:[0,0,1] neg_hi:[0,0,1]
	v_mul_f32_e32 v10, v11, v4
	v_pk_add_f32 v[196:197], v[196:197], v[12:13] neg_lo:[0,1] neg_hi:[0,1]
	s_delay_alu instid0(VALU_DEP_2) | instskip(NEXT) | instid1(VALU_DEP_1)
	v_pk_fma_f32 v[2:3], v[2:3], v[148:149], v[10:11] op_sel_hi:[1,1,0]
	v_mov_b32_e32 v9, v3
	s_delay_alu instid0(VALU_DEP_1) | instskip(SKIP_3) | instid1(VALU_DEP_1)
	v_pk_add_f32 v[198:199], v[198:199], v[8:9] neg_lo:[0,1] neg_hi:[0,1]
	ds_load_2addr_b64 v[8:11], v126 offset0:35 offset1:36
	s_wait_dscnt 0x0
	v_pk_mul_f32 v[2:3], v[8:9], v[6:7] op_sel:[0,1]
	v_pk_fma_f32 v[12:13], v[8:9], v[4:5], v[2:3] op_sel:[0,0,1] op_sel_hi:[1,1,0] neg_lo:[0,0,1] neg_hi:[0,0,1]
	v_pk_fma_f32 v[2:3], v[8:9], v[4:5], v[2:3] op_sel:[0,0,1] op_sel_hi:[1,0,0]
	s_delay_alu instid0(VALU_DEP_1) | instskip(SKIP_1) | instid1(VALU_DEP_2)
	v_mov_b32_e32 v13, v3
	v_pk_mul_f32 v[2:3], v[10:11], v[6:7] op_sel:[0,1]
	v_pk_add_f32 v[200:201], v[200:201], v[12:13] neg_lo:[0,1] neg_hi:[0,1]
	s_delay_alu instid0(VALU_DEP_2) | instskip(SKIP_1) | instid1(VALU_DEP_1)
	v_pk_fma_f32 v[8:9], v[10:11], v[4:5], v[2:3] op_sel:[0,0,1] op_sel_hi:[1,1,0] neg_lo:[0,0,1] neg_hi:[0,0,1]
	v_pk_fma_f32 v[2:3], v[10:11], v[4:5], v[2:3] op_sel:[0,0,1] op_sel_hi:[1,0,0]
	v_mov_b32_e32 v9, v3
	s_delay_alu instid0(VALU_DEP_1) | instskip(SKIP_3) | instid1(VALU_DEP_1)
	v_pk_add_f32 v[202:203], v[202:203], v[8:9] neg_lo:[0,1] neg_hi:[0,1]
	ds_load_2addr_b64 v[8:11], v126 offset0:37 offset1:38
	s_wait_dscnt 0x0
	v_pk_mul_f32 v[2:3], v[8:9], v[6:7] op_sel:[0,1]
	v_pk_fma_f32 v[12:13], v[8:9], v[4:5], v[2:3] op_sel:[0,0,1] op_sel_hi:[1,1,0] neg_lo:[0,0,1] neg_hi:[0,0,1]
	v_pk_fma_f32 v[2:3], v[8:9], v[4:5], v[2:3] op_sel:[0,0,1] op_sel_hi:[1,0,0]
	s_delay_alu instid0(VALU_DEP_1) | instskip(SKIP_1) | instid1(VALU_DEP_2)
	v_mov_b32_e32 v13, v3
	v_pk_mul_f32 v[2:3], v[10:11], v[6:7] op_sel:[0,1]
	v_pk_add_f32 v[204:205], v[204:205], v[12:13] neg_lo:[0,1] neg_hi:[0,1]
	s_delay_alu instid0(VALU_DEP_2) | instskip(SKIP_1) | instid1(VALU_DEP_1)
	v_pk_fma_f32 v[8:9], v[10:11], v[4:5], v[2:3] op_sel:[0,0,1] op_sel_hi:[1,1,0] neg_lo:[0,0,1] neg_hi:[0,0,1]
	v_pk_fma_f32 v[2:3], v[10:11], v[4:5], v[2:3] op_sel:[0,0,1] op_sel_hi:[1,0,0]
	v_mov_b32_e32 v9, v3
	s_delay_alu instid0(VALU_DEP_1) | instskip(SKIP_3) | instid1(VALU_DEP_1)
	v_pk_add_f32 v[206:207], v[206:207], v[8:9] neg_lo:[0,1] neg_hi:[0,1]
	ds_load_2addr_b64 v[8:11], v126 offset0:39 offset1:40
	s_wait_dscnt 0x0
	v_dual_mul_f32 v2, v9, v7 :: v_dual_mul_f32 v12, v9, v4
	v_pk_fma_f32 v[2:3], v[8:9], v[148:149], v[2:3] op_sel_hi:[1,1,0] neg_lo:[0,0,1] neg_hi:[0,0,1]
	s_delay_alu instid0(VALU_DEP_2) | instskip(NEXT) | instid1(VALU_DEP_1)
	v_pk_fma_f32 v[8:9], v[8:9], v[148:149], v[12:13] op_sel:[1,0,0] op_sel_hi:[0,1,0]
	v_mov_b32_e32 v3, v9
	s_delay_alu instid0(VALU_DEP_1) | instskip(SKIP_1) | instid1(VALU_DEP_1)
	v_pk_add_f32 v[208:209], v[208:209], v[2:3] neg_lo:[0,1] neg_hi:[0,1]
	v_pk_mul_f32 v[2:3], v[10:11], v[6:7] op_sel:[0,1]
	v_pk_fma_f32 v[8:9], v[10:11], v[4:5], v[2:3] op_sel:[0,0,1] op_sel_hi:[1,1,0] neg_lo:[0,0,1] neg_hi:[0,0,1]
	v_pk_fma_f32 v[2:3], v[10:11], v[4:5], v[2:3] op_sel:[0,0,1] op_sel_hi:[1,0,0]
	s_delay_alu instid0(VALU_DEP_1) | instskip(NEXT) | instid1(VALU_DEP_1)
	v_mov_b32_e32 v9, v3
	v_pk_add_f32 v[210:211], v[210:211], v[8:9] neg_lo:[0,1] neg_hi:[0,1]
	ds_load_2addr_b64 v[8:11], v126 offset0:41 offset1:42
	s_wait_dscnt 0x0
	v_pk_mul_f32 v[2:3], v[8:9], v[6:7] op_sel:[0,1]
	s_delay_alu instid0(VALU_DEP_1) | instskip(SKIP_1) | instid1(VALU_DEP_1)
	v_pk_fma_f32 v[12:13], v[8:9], v[4:5], v[2:3] op_sel:[0,0,1] op_sel_hi:[1,1,0] neg_lo:[0,0,1] neg_hi:[0,0,1]
	v_pk_fma_f32 v[2:3], v[8:9], v[4:5], v[2:3] op_sel:[0,0,1] op_sel_hi:[1,0,0]
	v_mov_b32_e32 v13, v3
	v_pk_mul_f32 v[2:3], v[10:11], v[6:7] op_sel:[0,1]
	s_delay_alu instid0(VALU_DEP_2) | instskip(NEXT) | instid1(VALU_DEP_2)
	v_pk_add_f32 v[212:213], v[212:213], v[12:13] neg_lo:[0,1] neg_hi:[0,1]
	v_pk_fma_f32 v[8:9], v[10:11], v[4:5], v[2:3] op_sel:[0,0,1] op_sel_hi:[1,1,0] neg_lo:[0,0,1] neg_hi:[0,0,1]
	v_pk_fma_f32 v[2:3], v[10:11], v[4:5], v[2:3] op_sel:[0,0,1] op_sel_hi:[1,0,0]
	s_delay_alu instid0(VALU_DEP_1) | instskip(NEXT) | instid1(VALU_DEP_1)
	v_mov_b32_e32 v9, v3
	v_pk_add_f32 v[214:215], v[214:215], v[8:9] neg_lo:[0,1] neg_hi:[0,1]
	ds_load_2addr_b64 v[8:11], v126 offset0:43 offset1:44
	s_wait_dscnt 0x0
	v_pk_mul_f32 v[2:3], v[8:9], v[6:7] op_sel:[0,1]
	s_delay_alu instid0(VALU_DEP_1) | instskip(SKIP_2) | instid1(VALU_DEP_2)
	v_pk_fma_f32 v[12:13], v[8:9], v[4:5], v[2:3] op_sel:[0,0,1] op_sel_hi:[1,1,0] neg_lo:[0,0,1] neg_hi:[0,0,1]
	v_pk_fma_f32 v[2:3], v[8:9], v[4:5], v[2:3] op_sel:[0,0,1] op_sel_hi:[1,0,0]
	v_dual_mul_f32 v8, v11, v7 :: v_dual_mov_b32 v2, v11
	v_dual_mov_b32 v13, v3 :: v_dual_mov_b32 v3, v10
	s_delay_alu instid0(VALU_DEP_2) | instskip(SKIP_1) | instid1(VALU_DEP_3)
	v_pk_fma_f32 v[8:9], v[10:11], v[148:149], v[8:9] op_sel_hi:[1,1,0] neg_lo:[0,0,1] neg_hi:[0,0,1]
	v_mul_f32_e32 v10, v11, v4
	v_pk_add_f32 v[216:217], v[216:217], v[12:13] neg_lo:[0,1] neg_hi:[0,1]
	s_delay_alu instid0(VALU_DEP_2) | instskip(NEXT) | instid1(VALU_DEP_1)
	v_pk_fma_f32 v[2:3], v[2:3], v[148:149], v[10:11] op_sel_hi:[1,1,0]
	v_mov_b32_e32 v9, v3
	s_delay_alu instid0(VALU_DEP_1) | instskip(SKIP_3) | instid1(VALU_DEP_1)
	v_pk_add_f32 v[218:219], v[218:219], v[8:9] neg_lo:[0,1] neg_hi:[0,1]
	ds_load_2addr_b64 v[8:11], v126 offset0:45 offset1:46
	s_wait_dscnt 0x0
	v_pk_mul_f32 v[2:3], v[8:9], v[6:7] op_sel:[0,1]
	v_pk_fma_f32 v[12:13], v[8:9], v[4:5], v[2:3] op_sel:[0,0,1] op_sel_hi:[1,1,0] neg_lo:[0,0,1] neg_hi:[0,0,1]
	v_pk_fma_f32 v[2:3], v[8:9], v[4:5], v[2:3] op_sel:[0,0,1] op_sel_hi:[1,0,0]
	s_delay_alu instid0(VALU_DEP_1) | instskip(SKIP_1) | instid1(VALU_DEP_2)
	v_mov_b32_e32 v13, v3
	v_pk_mul_f32 v[2:3], v[10:11], v[6:7] op_sel:[0,1]
	v_pk_add_f32 v[220:221], v[220:221], v[12:13] neg_lo:[0,1] neg_hi:[0,1]
	s_delay_alu instid0(VALU_DEP_2) | instskip(SKIP_1) | instid1(VALU_DEP_1)
	v_pk_fma_f32 v[8:9], v[10:11], v[4:5], v[2:3] op_sel:[0,0,1] op_sel_hi:[1,1,0] neg_lo:[0,0,1] neg_hi:[0,0,1]
	v_pk_fma_f32 v[2:3], v[10:11], v[4:5], v[2:3] op_sel:[0,0,1] op_sel_hi:[1,0,0]
	v_mov_b32_e32 v9, v3
	s_delay_alu instid0(VALU_DEP_1) | instskip(SKIP_3) | instid1(VALU_DEP_1)
	v_pk_add_f32 v[222:223], v[222:223], v[8:9] neg_lo:[0,1] neg_hi:[0,1]
	ds_load_2addr_b64 v[8:11], v126 offset0:47 offset1:48
	s_wait_dscnt 0x0
	v_pk_mul_f32 v[2:3], v[8:9], v[6:7] op_sel:[0,1]
	v_pk_fma_f32 v[12:13], v[8:9], v[4:5], v[2:3] op_sel:[0,0,1] op_sel_hi:[1,1,0] neg_lo:[0,0,1] neg_hi:[0,0,1]
	v_pk_fma_f32 v[2:3], v[8:9], v[4:5], v[2:3] op_sel:[0,0,1] op_sel_hi:[1,0,0]
	s_delay_alu instid0(VALU_DEP_1) | instskip(SKIP_1) | instid1(VALU_DEP_2)
	v_mov_b32_e32 v13, v3
	v_pk_mul_f32 v[2:3], v[10:11], v[6:7] op_sel:[0,1]
	v_pk_add_f32 v[224:225], v[224:225], v[12:13] neg_lo:[0,1] neg_hi:[0,1]
	s_delay_alu instid0(VALU_DEP_2) | instskip(SKIP_1) | instid1(VALU_DEP_1)
	v_pk_fma_f32 v[8:9], v[10:11], v[4:5], v[2:3] op_sel:[0,0,1] op_sel_hi:[1,1,0] neg_lo:[0,0,1] neg_hi:[0,0,1]
	v_pk_fma_f32 v[2:3], v[10:11], v[4:5], v[2:3] op_sel:[0,0,1] op_sel_hi:[1,0,0]
	v_mov_b32_e32 v9, v3
	s_delay_alu instid0(VALU_DEP_1) | instskip(SKIP_3) | instid1(VALU_DEP_1)
	v_pk_add_f32 v[226:227], v[226:227], v[8:9] neg_lo:[0,1] neg_hi:[0,1]
	ds_load_2addr_b64 v[8:11], v126 offset0:49 offset1:50
	s_wait_dscnt 0x0
	v_dual_mul_f32 v2, v9, v7 :: v_dual_mul_f32 v12, v9, v4
	v_pk_fma_f32 v[2:3], v[8:9], v[148:149], v[2:3] op_sel_hi:[1,1,0] neg_lo:[0,0,1] neg_hi:[0,0,1]
	s_delay_alu instid0(VALU_DEP_2) | instskip(NEXT) | instid1(VALU_DEP_1)
	v_pk_fma_f32 v[8:9], v[8:9], v[148:149], v[12:13] op_sel:[1,0,0] op_sel_hi:[0,1,0]
	v_mov_b32_e32 v3, v9
	s_delay_alu instid0(VALU_DEP_1) | instskip(SKIP_1) | instid1(VALU_DEP_1)
	v_pk_add_f32 v[228:229], v[228:229], v[2:3] neg_lo:[0,1] neg_hi:[0,1]
	v_pk_mul_f32 v[2:3], v[10:11], v[6:7] op_sel:[0,1]
	v_pk_fma_f32 v[8:9], v[10:11], v[4:5], v[2:3] op_sel:[0,0,1] op_sel_hi:[1,1,0] neg_lo:[0,0,1] neg_hi:[0,0,1]
	v_pk_fma_f32 v[2:3], v[10:11], v[4:5], v[2:3] op_sel:[0,0,1] op_sel_hi:[1,0,0]
	s_delay_alu instid0(VALU_DEP_1) | instskip(NEXT) | instid1(VALU_DEP_1)
	v_mov_b32_e32 v9, v3
	v_pk_add_f32 v[230:231], v[230:231], v[8:9] neg_lo:[0,1] neg_hi:[0,1]
	ds_load_2addr_b64 v[8:11], v126 offset0:51 offset1:52
	s_wait_dscnt 0x0
	v_pk_mul_f32 v[2:3], v[8:9], v[6:7] op_sel:[0,1]
	s_delay_alu instid0(VALU_DEP_1) | instskip(SKIP_1) | instid1(VALU_DEP_1)
	v_pk_fma_f32 v[12:13], v[8:9], v[4:5], v[2:3] op_sel:[0,0,1] op_sel_hi:[1,1,0] neg_lo:[0,0,1] neg_hi:[0,0,1]
	v_pk_fma_f32 v[2:3], v[8:9], v[4:5], v[2:3] op_sel:[0,0,1] op_sel_hi:[1,0,0]
	v_mov_b32_e32 v13, v3
	v_pk_mul_f32 v[2:3], v[10:11], v[6:7] op_sel:[0,1]
	s_delay_alu instid0(VALU_DEP_2) | instskip(NEXT) | instid1(VALU_DEP_2)
	v_pk_add_f32 v[232:233], v[232:233], v[12:13] neg_lo:[0,1] neg_hi:[0,1]
	v_pk_fma_f32 v[8:9], v[10:11], v[4:5], v[2:3] op_sel:[0,0,1] op_sel_hi:[1,1,0] neg_lo:[0,0,1] neg_hi:[0,0,1]
	v_pk_fma_f32 v[2:3], v[10:11], v[4:5], v[2:3] op_sel:[0,0,1] op_sel_hi:[1,0,0]
	s_delay_alu instid0(VALU_DEP_1) | instskip(NEXT) | instid1(VALU_DEP_1)
	v_mov_b32_e32 v9, v3
	v_pk_add_f32 v[234:235], v[234:235], v[8:9] neg_lo:[0,1] neg_hi:[0,1]
	ds_load_2addr_b64 v[8:11], v126 offset0:53 offset1:54
	s_wait_dscnt 0x0
	v_pk_mul_f32 v[2:3], v[8:9], v[6:7] op_sel:[0,1]
	s_delay_alu instid0(VALU_DEP_1) | instskip(SKIP_2) | instid1(VALU_DEP_2)
	v_pk_fma_f32 v[12:13], v[8:9], v[4:5], v[2:3] op_sel:[0,0,1] op_sel_hi:[1,1,0] neg_lo:[0,0,1] neg_hi:[0,0,1]
	v_pk_fma_f32 v[2:3], v[8:9], v[4:5], v[2:3] op_sel:[0,0,1] op_sel_hi:[1,0,0]
	v_dual_mul_f32 v8, v11, v7 :: v_dual_mov_b32 v2, v11
	v_dual_mov_b32 v13, v3 :: v_dual_mov_b32 v3, v10
	s_delay_alu instid0(VALU_DEP_2) | instskip(SKIP_1) | instid1(VALU_DEP_3)
	v_pk_fma_f32 v[8:9], v[10:11], v[148:149], v[8:9] op_sel_hi:[1,1,0] neg_lo:[0,0,1] neg_hi:[0,0,1]
	v_mul_f32_e32 v10, v11, v4
	v_pk_add_f32 v[236:237], v[236:237], v[12:13] neg_lo:[0,1] neg_hi:[0,1]
	s_delay_alu instid0(VALU_DEP_2) | instskip(NEXT) | instid1(VALU_DEP_1)
	v_pk_fma_f32 v[2:3], v[2:3], v[148:149], v[10:11] op_sel_hi:[1,1,0]
	v_mov_b32_e32 v9, v3
	s_delay_alu instid0(VALU_DEP_1) | instskip(SKIP_3) | instid1(VALU_DEP_1)
	v_pk_add_f32 v[238:239], v[238:239], v[8:9] neg_lo:[0,1] neg_hi:[0,1]
	ds_load_2addr_b64 v[8:11], v126 offset0:55 offset1:56
	s_wait_dscnt 0x0
	v_pk_mul_f32 v[2:3], v[8:9], v[6:7] op_sel:[0,1]
	v_pk_fma_f32 v[12:13], v[8:9], v[4:5], v[2:3] op_sel:[0,0,1] op_sel_hi:[1,1,0] neg_lo:[0,0,1] neg_hi:[0,0,1]
	v_pk_fma_f32 v[2:3], v[8:9], v[4:5], v[2:3] op_sel:[0,0,1] op_sel_hi:[1,0,0]
	s_delay_alu instid0(VALU_DEP_1) | instskip(SKIP_1) | instid1(VALU_DEP_2)
	v_mov_b32_e32 v13, v3
	v_pk_mul_f32 v[2:3], v[10:11], v[6:7] op_sel:[0,1]
	v_pk_add_f32 v[240:241], v[240:241], v[12:13] neg_lo:[0,1] neg_hi:[0,1]
	s_delay_alu instid0(VALU_DEP_2) | instskip(SKIP_1) | instid1(VALU_DEP_1)
	v_pk_fma_f32 v[8:9], v[10:11], v[4:5], v[2:3] op_sel:[0,0,1] op_sel_hi:[1,1,0] neg_lo:[0,0,1] neg_hi:[0,0,1]
	v_pk_fma_f32 v[2:3], v[10:11], v[4:5], v[2:3] op_sel:[0,0,1] op_sel_hi:[1,0,0]
	v_mov_b32_e32 v9, v3
	s_delay_alu instid0(VALU_DEP_1) | instskip(SKIP_3) | instid1(VALU_DEP_1)
	v_pk_add_f32 v[252:253], v[252:253], v[8:9] neg_lo:[0,1] neg_hi:[0,1]
	ds_load_2addr_b64 v[8:11], v126 offset0:57 offset1:58
	s_wait_dscnt 0x0
	v_pk_mul_f32 v[2:3], v[8:9], v[6:7] op_sel:[0,1]
	v_pk_fma_f32 v[12:13], v[8:9], v[4:5], v[2:3] op_sel:[0,0,1] op_sel_hi:[1,1,0] neg_lo:[0,0,1] neg_hi:[0,0,1]
	v_pk_fma_f32 v[2:3], v[8:9], v[4:5], v[2:3] op_sel:[0,0,1] op_sel_hi:[1,0,0]
	s_delay_alu instid0(VALU_DEP_1) | instskip(SKIP_1) | instid1(VALU_DEP_2)
	v_mov_b32_e32 v13, v3
	v_pk_mul_f32 v[2:3], v[10:11], v[6:7] op_sel:[0,1]
	v_pk_add_f32 v[246:247], v[246:247], v[12:13] neg_lo:[0,1] neg_hi:[0,1]
	s_delay_alu instid0(VALU_DEP_2) | instskip(SKIP_1) | instid1(VALU_DEP_1)
	v_pk_fma_f32 v[8:9], v[10:11], v[4:5], v[2:3] op_sel:[0,0,1] op_sel_hi:[1,1,0] neg_lo:[0,0,1] neg_hi:[0,0,1]
	v_pk_fma_f32 v[2:3], v[10:11], v[4:5], v[2:3] op_sel:[0,0,1] op_sel_hi:[1,0,0]
	v_mov_b32_e32 v9, v3
	s_delay_alu instid0(VALU_DEP_1) | instskip(SKIP_3) | instid1(VALU_DEP_1)
	v_pk_add_f32 v[250:251], v[250:251], v[8:9] neg_lo:[0,1] neg_hi:[0,1]
	ds_load_2addr_b64 v[8:11], v126 offset0:59 offset1:60
	s_wait_dscnt 0x0
	v_dual_mul_f32 v2, v9, v7 :: v_dual_mul_f32 v12, v9, v4
	v_pk_fma_f32 v[2:3], v[8:9], v[148:149], v[2:3] op_sel_hi:[1,1,0] neg_lo:[0,0,1] neg_hi:[0,0,1]
	s_delay_alu instid0(VALU_DEP_2) | instskip(NEXT) | instid1(VALU_DEP_1)
	v_pk_fma_f32 v[8:9], v[8:9], v[148:149], v[12:13] op_sel:[1,0,0] op_sel_hi:[0,1,0]
	v_mov_b32_e32 v3, v9
	s_delay_alu instid0(VALU_DEP_1) | instskip(SKIP_1) | instid1(VALU_DEP_1)
	v_pk_add_f32 v[244:245], v[244:245], v[2:3] neg_lo:[0,1] neg_hi:[0,1]
	v_pk_mul_f32 v[2:3], v[10:11], v[6:7] op_sel:[0,1]
	v_pk_fma_f32 v[8:9], v[10:11], v[4:5], v[2:3] op_sel:[0,0,1] op_sel_hi:[1,1,0] neg_lo:[0,0,1] neg_hi:[0,0,1]
	v_pk_fma_f32 v[2:3], v[10:11], v[4:5], v[2:3] op_sel:[0,0,1] op_sel_hi:[1,0,0]
	s_delay_alu instid0(VALU_DEP_1) | instskip(NEXT) | instid1(VALU_DEP_1)
	v_mov_b32_e32 v9, v3
	v_pk_add_f32 v[248:249], v[248:249], v[8:9] neg_lo:[0,1] neg_hi:[0,1]
	ds_load_2addr_b64 v[8:11], v126 offset0:61 offset1:62
	s_wait_dscnt 0x0
	v_pk_mul_f32 v[2:3], v[8:9], v[6:7] op_sel:[0,1]
	s_delay_alu instid0(VALU_DEP_1) | instskip(SKIP_1) | instid1(VALU_DEP_1)
	v_pk_fma_f32 v[12:13], v[8:9], v[4:5], v[2:3] op_sel:[0,0,1] op_sel_hi:[1,1,0] neg_lo:[0,0,1] neg_hi:[0,0,1]
	v_pk_fma_f32 v[2:3], v[8:9], v[4:5], v[2:3] op_sel:[0,0,1] op_sel_hi:[1,0,0]
	v_mov_b32_e32 v13, v3
	v_pk_mul_f32 v[2:3], v[10:11], v[6:7] op_sel:[0,1]
	s_delay_alu instid0(VALU_DEP_2) | instskip(NEXT) | instid1(VALU_DEP_2)
	v_pk_add_f32 v[242:243], v[242:243], v[12:13] neg_lo:[0,1] neg_hi:[0,1]
	v_pk_fma_f32 v[8:9], v[10:11], v[4:5], v[2:3] op_sel:[0,0,1] op_sel_hi:[1,1,0] neg_lo:[0,0,1] neg_hi:[0,0,1]
	v_pk_fma_f32 v[2:3], v[10:11], v[4:5], v[2:3] op_sel:[0,0,1] op_sel_hi:[1,0,0]
	s_delay_alu instid0(VALU_DEP_1) | instskip(SKIP_4) | instid1(VALU_DEP_1)
	v_mov_b32_e32 v9, v3
	ds_load_b64 v[2:3], v126 offset:504
	v_pk_add_f32 v[254:255], v[254:255], v[8:9] neg_lo:[0,1] neg_hi:[0,1]
	s_wait_dscnt 0x0
	v_pk_mul_f32 v[6:7], v[2:3], v[6:7] op_sel:[0,1]
	v_pk_fma_f32 v[8:9], v[2:3], v[4:5], v[6:7] op_sel:[0,0,1] op_sel_hi:[1,1,0] neg_lo:[0,0,1] neg_hi:[0,0,1]
	v_pk_fma_f32 v[2:3], v[2:3], v[4:5], v[6:7] op_sel:[0,0,1] op_sel_hi:[1,0,0]
	s_delay_alu instid0(VALU_DEP_1) | instskip(NEXT) | instid1(VALU_DEP_1)
	v_mov_b32_e32 v9, v3
	v_pk_add_f32 v[0:1], v[0:1], v[8:9] neg_lo:[0,1] neg_hi:[0,1]
.LBB127_10:
	s_wait_xcnt 0x0
	s_or_b32 exec_lo, exec_lo, s2
	s_delay_alu instid0(SALU_CYCLE_1)
	s_mov_b32 s2, exec_lo
	s_wait_storecnt 0x0
	s_barrier_signal -1
	s_barrier_wait -1
	v_cmpx_eq_u32_e32 1, v18
	s_cbranch_execz .LBB127_17
; %bb.11:
	v_dual_mov_b32 v2, v142 :: v_dual_mov_b32 v3, v143
	v_dual_mov_b32 v4, v144 :: v_dual_mov_b32 v5, v145
	ds_store_b64 v19, v[150:151]
	ds_store_2addr_b64 v126, v[2:3], v[4:5] offset0:2 offset1:3
	v_dual_mov_b32 v2, v136 :: v_dual_mov_b32 v3, v137
	v_dual_mov_b32 v4, v132 :: v_dual_mov_b32 v5, v133
	ds_store_2addr_b64 v126, v[2:3], v[4:5] offset0:4 offset1:5
	v_dual_mov_b32 v2, v134 :: v_dual_mov_b32 v3, v135
	v_dual_mov_b32 v4, v130 :: v_dual_mov_b32 v5, v131
	;; [unrolled: 3-line block ×29, first 2 shown]
	ds_store_2addr_b64 v126, v[2:3], v[4:5] offset0:60 offset1:61
	v_dual_mov_b32 v2, v254 :: v_dual_mov_b32 v3, v255
	ds_store_2addr_b64 v126, v[2:3], v[0:1] offset0:62 offset1:63
	ds_load_b64 v[2:3], v19
	s_wait_dscnt 0x0
	v_cmp_neq_f32_e32 vcc_lo, 0, v2
	v_cmp_neq_f32_e64 s1, 0, v3
	s_or_b32 s1, vcc_lo, s1
	s_delay_alu instid0(SALU_CYCLE_1)
	s_and_b32 exec_lo, exec_lo, s1
	s_cbranch_execz .LBB127_17
; %bb.12:
	v_cmp_ngt_f32_e64 s1, |v2|, |v3|
                                        ; implicit-def: $vgpr4_vgpr5
	s_and_saveexec_b32 s4, s1
	s_delay_alu instid0(SALU_CYCLE_1)
	s_xor_b32 s1, exec_lo, s4
	s_cbranch_execz .LBB127_14
; %bb.13:
	v_div_scale_f32 v4, null, v3, v3, v2
	v_div_scale_f32 v7, vcc_lo, v2, v3, v2
	s_delay_alu instid0(VALU_DEP_2) | instskip(SKIP_1) | instid1(TRANS32_DEP_1)
	v_rcp_f32_e32 v5, v4
	v_nop
	v_fma_f32 v6, -v4, v5, 1.0
	s_delay_alu instid0(VALU_DEP_1) | instskip(NEXT) | instid1(VALU_DEP_1)
	v_fmac_f32_e32 v5, v6, v5
	v_mul_f32_e32 v6, v7, v5
	s_delay_alu instid0(VALU_DEP_1) | instskip(NEXT) | instid1(VALU_DEP_1)
	v_fma_f32 v8, -v4, v6, v7
	v_fmac_f32_e32 v6, v8, v5
	s_delay_alu instid0(VALU_DEP_1) | instskip(NEXT) | instid1(VALU_DEP_1)
	v_fma_f32 v4, -v4, v6, v7
	v_div_fmas_f32 v4, v4, v5, v6
	s_delay_alu instid0(VALU_DEP_1) | instskip(NEXT) | instid1(VALU_DEP_1)
	v_div_fixup_f32 v4, v4, v3, v2
	v_fmac_f32_e32 v3, v2, v4
	s_delay_alu instid0(VALU_DEP_1) | instskip(SKIP_1) | instid1(VALU_DEP_2)
	v_div_scale_f32 v2, null, v3, v3, 1.0
	v_div_scale_f32 v7, vcc_lo, 1.0, v3, 1.0
	v_rcp_f32_e32 v5, v2
	v_nop
	s_delay_alu instid0(TRANS32_DEP_1) | instskip(NEXT) | instid1(VALU_DEP_1)
	v_fma_f32 v6, -v2, v5, 1.0
	v_fmac_f32_e32 v5, v6, v5
	s_delay_alu instid0(VALU_DEP_1) | instskip(NEXT) | instid1(VALU_DEP_1)
	v_mul_f32_e32 v6, v7, v5
	v_fma_f32 v8, -v2, v6, v7
	s_delay_alu instid0(VALU_DEP_1) | instskip(NEXT) | instid1(VALU_DEP_1)
	v_fmac_f32_e32 v6, v8, v5
	v_fma_f32 v2, -v2, v6, v7
	s_delay_alu instid0(VALU_DEP_1) | instskip(NEXT) | instid1(VALU_DEP_1)
	v_div_fmas_f32 v2, v2, v5, v6
	v_div_fixup_f32 v2, v2, v3, 1.0
	s_delay_alu instid0(VALU_DEP_1)
	v_mul_f32_e32 v4, v4, v2
	v_xor_b32_e32 v5, 0x80000000, v2
                                        ; implicit-def: $vgpr2_vgpr3
.LBB127_14:
	s_and_not1_saveexec_b32 s1, s1
	s_cbranch_execz .LBB127_16
; %bb.15:
	v_div_scale_f32 v4, null, v2, v2, v3
	v_div_scale_f32 v7, vcc_lo, v3, v2, v3
	s_delay_alu instid0(VALU_DEP_2) | instskip(SKIP_1) | instid1(TRANS32_DEP_1)
	v_rcp_f32_e32 v5, v4
	v_nop
	v_fma_f32 v6, -v4, v5, 1.0
	s_delay_alu instid0(VALU_DEP_1) | instskip(NEXT) | instid1(VALU_DEP_1)
	v_fmac_f32_e32 v5, v6, v5
	v_mul_f32_e32 v6, v7, v5
	s_delay_alu instid0(VALU_DEP_1) | instskip(NEXT) | instid1(VALU_DEP_1)
	v_fma_f32 v8, -v4, v6, v7
	v_fmac_f32_e32 v6, v8, v5
	s_delay_alu instid0(VALU_DEP_1) | instskip(NEXT) | instid1(VALU_DEP_1)
	v_fma_f32 v4, -v4, v6, v7
	v_div_fmas_f32 v4, v4, v5, v6
	s_delay_alu instid0(VALU_DEP_1) | instskip(NEXT) | instid1(VALU_DEP_1)
	v_div_fixup_f32 v5, v4, v2, v3
	v_fmac_f32_e32 v2, v3, v5
	s_delay_alu instid0(VALU_DEP_1) | instskip(NEXT) | instid1(VALU_DEP_1)
	v_div_scale_f32 v3, null, v2, v2, 1.0
	v_rcp_f32_e32 v4, v3
	v_nop
	s_delay_alu instid0(TRANS32_DEP_1) | instskip(NEXT) | instid1(VALU_DEP_1)
	v_fma_f32 v6, -v3, v4, 1.0
	v_fmac_f32_e32 v4, v6, v4
	v_div_scale_f32 v6, vcc_lo, 1.0, v2, 1.0
	s_delay_alu instid0(VALU_DEP_1) | instskip(NEXT) | instid1(VALU_DEP_1)
	v_mul_f32_e32 v7, v6, v4
	v_fma_f32 v8, -v3, v7, v6
	s_delay_alu instid0(VALU_DEP_1) | instskip(NEXT) | instid1(VALU_DEP_1)
	v_fmac_f32_e32 v7, v8, v4
	v_fma_f32 v3, -v3, v7, v6
	s_delay_alu instid0(VALU_DEP_1) | instskip(NEXT) | instid1(VALU_DEP_1)
	v_div_fmas_f32 v3, v3, v4, v7
	v_div_fixup_f32 v4, v3, v2, 1.0
	s_delay_alu instid0(VALU_DEP_1)
	v_mul_f32_e64 v5, v5, -v4
.LBB127_16:
	s_or_b32 exec_lo, exec_lo, s1
	ds_store_b64 v19, v[4:5]
.LBB127_17:
	s_or_b32 exec_lo, exec_lo, s2
	s_wait_dscnt 0x0
	s_barrier_signal -1
	s_barrier_wait -1
	ds_load_b64 v[2:3], v19
	s_mov_b32 s1, exec_lo
	s_wait_dscnt 0x0
	scratch_store_b64 off, v[2:3], off offset:520 ; 8-byte Folded Spill
	s_wait_xcnt 0x0
	v_cmpx_lt_u32_e32 1, v18
	s_cbranch_execz .LBB127_19
; %bb.18:
	scratch_load_b64 v[4:5], off, off offset:520 ; 8-byte Folded Reload
	s_wait_loadcnt 0x0
	v_pk_mul_f32 v[2:3], v[4:5], v[150:151] op_sel:[1,1] op_sel_hi:[0,1]
	s_delay_alu instid0(VALU_DEP_1)
	v_pk_fma_f32 v[6:7], v[4:5], v[150:151], v[2:3] op_sel_hi:[1,0,1] neg_lo:[0,0,1] neg_hi:[0,0,1]
	v_pk_fma_f32 v[8:9], v[4:5], v[150:151], v[2:3] op_sel_hi:[1,0,1]
	ds_load_2addr_b64 v[2:5], v126 offset0:2 offset1:3
	v_dual_mov_b32 v150, v6 :: v_dual_mov_b32 v151, v9
	s_wait_dscnt 0x0
	v_pk_mul_f32 v[10:11], v[2:3], v[8:9] op_sel:[0,1]
	s_delay_alu instid0(VALU_DEP_1) | instskip(SKIP_1) | instid1(VALU_DEP_1)
	v_pk_fma_f32 v[12:13], v[2:3], v[6:7], v[10:11] op_sel:[0,0,1] op_sel_hi:[1,1,0] neg_lo:[0,0,1] neg_hi:[0,0,1]
	v_pk_fma_f32 v[2:3], v[2:3], v[6:7], v[10:11] op_sel:[0,0,1] op_sel_hi:[1,0,0]
	v_mov_b32_e32 v13, v3
	v_pk_mul_f32 v[2:3], v[4:5], v[8:9] op_sel:[0,1]
	s_delay_alu instid0(VALU_DEP_1) | instskip(SKIP_1) | instid1(VALU_DEP_1)
	v_pk_fma_f32 v[10:11], v[4:5], v[6:7], v[2:3] op_sel:[0,0,1] op_sel_hi:[1,1,0] neg_lo:[0,0,1] neg_hi:[0,0,1]
	v_pk_fma_f32 v[2:3], v[4:5], v[6:7], v[2:3] op_sel:[0,0,1] op_sel_hi:[1,0,0]
	v_mov_b32_e32 v11, v3
	ds_load_2addr_b64 v[2:5], v126 offset0:4 offset1:5
	v_pk_add_f32 v[142:143], v[142:143], v[12:13] neg_lo:[0,1] neg_hi:[0,1]
	v_pk_add_f32 v[144:145], v[144:145], v[10:11] neg_lo:[0,1] neg_hi:[0,1]
	s_wait_dscnt 0x0
	v_pk_mul_f32 v[10:11], v[2:3], v[8:9] op_sel:[0,1]
	s_delay_alu instid0(VALU_DEP_1) | instskip(SKIP_2) | instid1(VALU_DEP_2)
	v_pk_fma_f32 v[12:13], v[2:3], v[6:7], v[10:11] op_sel:[0,0,1] op_sel_hi:[1,1,0] neg_lo:[0,0,1] neg_hi:[0,0,1]
	v_pk_fma_f32 v[2:3], v[2:3], v[6:7], v[10:11] op_sel:[0,0,1] op_sel_hi:[1,0,0]
	v_dual_mul_f32 v10, v5, v9 :: v_dual_mov_b32 v2, v5
	v_dual_mov_b32 v13, v3 :: v_dual_mov_b32 v3, v4
	s_delay_alu instid0(VALU_DEP_2) | instskip(SKIP_1) | instid1(VALU_DEP_3)
	v_pk_fma_f32 v[10:11], v[4:5], v[150:151], v[10:11] op_sel_hi:[1,1,0] neg_lo:[0,0,1] neg_hi:[0,0,1]
	v_mul_f32_e32 v4, v5, v6
	v_pk_add_f32 v[136:137], v[136:137], v[12:13] neg_lo:[0,1] neg_hi:[0,1]
	s_delay_alu instid0(VALU_DEP_2) | instskip(NEXT) | instid1(VALU_DEP_1)
	v_pk_fma_f32 v[2:3], v[2:3], v[150:151], v[4:5] op_sel_hi:[1,1,0]
	v_mov_b32_e32 v11, v3
	ds_load_2addr_b64 v[2:5], v126 offset0:6 offset1:7
	v_pk_add_f32 v[132:133], v[132:133], v[10:11] neg_lo:[0,1] neg_hi:[0,1]
	s_wait_dscnt 0x0
	v_pk_mul_f32 v[10:11], v[2:3], v[8:9] op_sel:[0,1]
	s_delay_alu instid0(VALU_DEP_1) | instskip(SKIP_1) | instid1(VALU_DEP_1)
	v_pk_fma_f32 v[12:13], v[2:3], v[6:7], v[10:11] op_sel:[0,0,1] op_sel_hi:[1,1,0] neg_lo:[0,0,1] neg_hi:[0,0,1]
	v_pk_fma_f32 v[2:3], v[2:3], v[6:7], v[10:11] op_sel:[0,0,1] op_sel_hi:[1,0,0]
	v_mov_b32_e32 v13, v3
	v_pk_mul_f32 v[2:3], v[4:5], v[8:9] op_sel:[0,1]
	s_delay_alu instid0(VALU_DEP_1) | instskip(SKIP_1) | instid1(VALU_DEP_1)
	v_pk_fma_f32 v[10:11], v[4:5], v[6:7], v[2:3] op_sel:[0,0,1] op_sel_hi:[1,1,0] neg_lo:[0,0,1] neg_hi:[0,0,1]
	v_pk_fma_f32 v[2:3], v[4:5], v[6:7], v[2:3] op_sel:[0,0,1] op_sel_hi:[1,0,0]
	v_mov_b32_e32 v11, v3
	ds_load_2addr_b64 v[2:5], v126 offset0:8 offset1:9
	v_pk_add_f32 v[134:135], v[134:135], v[12:13] neg_lo:[0,1] neg_hi:[0,1]
	v_pk_add_f32 v[130:131], v[130:131], v[10:11] neg_lo:[0,1] neg_hi:[0,1]
	s_wait_dscnt 0x0
	v_pk_mul_f32 v[10:11], v[2:3], v[8:9] op_sel:[0,1]
	s_delay_alu instid0(VALU_DEP_1) | instskip(SKIP_1) | instid1(VALU_DEP_1)
	v_pk_fma_f32 v[12:13], v[2:3], v[6:7], v[10:11] op_sel:[0,0,1] op_sel_hi:[1,1,0] neg_lo:[0,0,1] neg_hi:[0,0,1]
	v_pk_fma_f32 v[2:3], v[2:3], v[6:7], v[10:11] op_sel:[0,0,1] op_sel_hi:[1,0,0]
	v_mov_b32_e32 v13, v3
	v_pk_mul_f32 v[2:3], v[4:5], v[8:9] op_sel:[0,1]
	s_delay_alu instid0(VALU_DEP_1) | instskip(SKIP_1) | instid1(VALU_DEP_1)
	v_pk_fma_f32 v[10:11], v[4:5], v[6:7], v[2:3] op_sel:[0,0,1] op_sel_hi:[1,1,0] neg_lo:[0,0,1] neg_hi:[0,0,1]
	v_pk_fma_f32 v[2:3], v[4:5], v[6:7], v[2:3] op_sel:[0,0,1] op_sel_hi:[1,0,0]
	v_mov_b32_e32 v11, v3
	ds_load_2addr_b64 v[2:5], v126 offset0:10 offset1:11
	v_pk_add_f32 v[138:139], v[138:139], v[12:13] neg_lo:[0,1] neg_hi:[0,1]
	v_pk_add_f32 v[140:141], v[140:141], v[10:11] neg_lo:[0,1] neg_hi:[0,1]
	s_wait_dscnt 0x0
	v_dual_mul_f32 v10, v3, v9 :: v_dual_mul_f32 v12, v3, v6
	s_delay_alu instid0(VALU_DEP_1) | instskip(NEXT) | instid1(VALU_DEP_2)
	v_pk_fma_f32 v[10:11], v[2:3], v[150:151], v[10:11] op_sel_hi:[1,1,0] neg_lo:[0,0,1] neg_hi:[0,0,1]
	v_pk_fma_f32 v[2:3], v[2:3], v[150:151], v[12:13] op_sel:[1,0,0] op_sel_hi:[0,1,0]
	s_delay_alu instid0(VALU_DEP_1) | instskip(SKIP_1) | instid1(VALU_DEP_2)
	v_mov_b32_e32 v11, v3
	v_pk_mul_f32 v[2:3], v[4:5], v[8:9] op_sel:[0,1]
	v_pk_add_f32 v[146:147], v[146:147], v[10:11] neg_lo:[0,1] neg_hi:[0,1]
	s_delay_alu instid0(VALU_DEP_2) | instskip(SKIP_1) | instid1(VALU_DEP_1)
	v_pk_fma_f32 v[10:11], v[4:5], v[6:7], v[2:3] op_sel:[0,0,1] op_sel_hi:[1,1,0] neg_lo:[0,0,1] neg_hi:[0,0,1]
	v_pk_fma_f32 v[2:3], v[4:5], v[6:7], v[2:3] op_sel:[0,0,1] op_sel_hi:[1,0,0]
	v_mov_b32_e32 v11, v3
	ds_load_2addr_b64 v[2:5], v126 offset0:12 offset1:13
	v_pk_add_f32 v[152:153], v[152:153], v[10:11] neg_lo:[0,1] neg_hi:[0,1]
	s_wait_dscnt 0x0
	v_pk_mul_f32 v[10:11], v[2:3], v[8:9] op_sel:[0,1]
	s_delay_alu instid0(VALU_DEP_1) | instskip(SKIP_1) | instid1(VALU_DEP_1)
	v_pk_fma_f32 v[12:13], v[2:3], v[6:7], v[10:11] op_sel:[0,0,1] op_sel_hi:[1,1,0] neg_lo:[0,0,1] neg_hi:[0,0,1]
	v_pk_fma_f32 v[2:3], v[2:3], v[6:7], v[10:11] op_sel:[0,0,1] op_sel_hi:[1,0,0]
	v_mov_b32_e32 v13, v3
	v_pk_mul_f32 v[2:3], v[4:5], v[8:9] op_sel:[0,1]
	s_delay_alu instid0(VALU_DEP_2) | instskip(NEXT) | instid1(VALU_DEP_2)
	v_pk_add_f32 v[154:155], v[154:155], v[12:13] neg_lo:[0,1] neg_hi:[0,1]
	v_pk_fma_f32 v[10:11], v[4:5], v[6:7], v[2:3] op_sel:[0,0,1] op_sel_hi:[1,1,0] neg_lo:[0,0,1] neg_hi:[0,0,1]
	v_pk_fma_f32 v[2:3], v[4:5], v[6:7], v[2:3] op_sel:[0,0,1] op_sel_hi:[1,0,0]
	s_delay_alu instid0(VALU_DEP_1) | instskip(SKIP_4) | instid1(VALU_DEP_1)
	v_mov_b32_e32 v11, v3
	ds_load_2addr_b64 v[2:5], v126 offset0:14 offset1:15
	v_pk_add_f32 v[156:157], v[156:157], v[10:11] neg_lo:[0,1] neg_hi:[0,1]
	s_wait_dscnt 0x0
	v_pk_mul_f32 v[10:11], v[2:3], v[8:9] op_sel:[0,1]
	v_pk_fma_f32 v[12:13], v[2:3], v[6:7], v[10:11] op_sel:[0,0,1] op_sel_hi:[1,1,0] neg_lo:[0,0,1] neg_hi:[0,0,1]
	v_pk_fma_f32 v[2:3], v[2:3], v[6:7], v[10:11] op_sel:[0,0,1] op_sel_hi:[1,0,0]
	v_dual_mul_f32 v10, v5, v9 :: v_dual_mov_b32 v2, v5
	s_delay_alu instid0(VALU_DEP_2) | instskip(NEXT) | instid1(VALU_DEP_2)
	v_dual_mov_b32 v13, v3 :: v_dual_mov_b32 v3, v4
	v_pk_fma_f32 v[10:11], v[4:5], v[150:151], v[10:11] op_sel_hi:[1,1,0] neg_lo:[0,0,1] neg_hi:[0,0,1]
	v_mul_f32_e32 v4, v5, v6
	s_delay_alu instid0(VALU_DEP_3) | instskip(NEXT) | instid1(VALU_DEP_2)
	v_pk_add_f32 v[158:159], v[158:159], v[12:13] neg_lo:[0,1] neg_hi:[0,1]
	v_pk_fma_f32 v[2:3], v[2:3], v[150:151], v[4:5] op_sel_hi:[1,1,0]
	s_delay_alu instid0(VALU_DEP_1) | instskip(SKIP_4) | instid1(VALU_DEP_1)
	v_mov_b32_e32 v11, v3
	ds_load_2addr_b64 v[2:5], v126 offset0:16 offset1:17
	v_pk_add_f32 v[160:161], v[160:161], v[10:11] neg_lo:[0,1] neg_hi:[0,1]
	s_wait_dscnt 0x0
	v_pk_mul_f32 v[10:11], v[2:3], v[8:9] op_sel:[0,1]
	v_pk_fma_f32 v[12:13], v[2:3], v[6:7], v[10:11] op_sel:[0,0,1] op_sel_hi:[1,1,0] neg_lo:[0,0,1] neg_hi:[0,0,1]
	v_pk_fma_f32 v[2:3], v[2:3], v[6:7], v[10:11] op_sel:[0,0,1] op_sel_hi:[1,0,0]
	s_delay_alu instid0(VALU_DEP_1) | instskip(SKIP_1) | instid1(VALU_DEP_1)
	v_mov_b32_e32 v13, v3
	v_pk_mul_f32 v[2:3], v[4:5], v[8:9] op_sel:[0,1]
	v_pk_fma_f32 v[10:11], v[4:5], v[6:7], v[2:3] op_sel:[0,0,1] op_sel_hi:[1,1,0] neg_lo:[0,0,1] neg_hi:[0,0,1]
	v_pk_fma_f32 v[2:3], v[4:5], v[6:7], v[2:3] op_sel:[0,0,1] op_sel_hi:[1,0,0]
	s_delay_alu instid0(VALU_DEP_1)
	v_mov_b32_e32 v11, v3
	ds_load_2addr_b64 v[2:5], v126 offset0:18 offset1:19
	v_pk_add_f32 v[162:163], v[162:163], v[12:13] neg_lo:[0,1] neg_hi:[0,1]
	v_pk_add_f32 v[164:165], v[164:165], v[10:11] neg_lo:[0,1] neg_hi:[0,1]
	s_wait_dscnt 0x0
	v_pk_mul_f32 v[10:11], v[2:3], v[8:9] op_sel:[0,1]
	s_delay_alu instid0(VALU_DEP_1) | instskip(SKIP_1) | instid1(VALU_DEP_1)
	v_pk_fma_f32 v[12:13], v[2:3], v[6:7], v[10:11] op_sel:[0,0,1] op_sel_hi:[1,1,0] neg_lo:[0,0,1] neg_hi:[0,0,1]
	v_pk_fma_f32 v[2:3], v[2:3], v[6:7], v[10:11] op_sel:[0,0,1] op_sel_hi:[1,0,0]
	v_mov_b32_e32 v13, v3
	v_pk_mul_f32 v[2:3], v[4:5], v[8:9] op_sel:[0,1]
	s_delay_alu instid0(VALU_DEP_1) | instskip(SKIP_1) | instid1(VALU_DEP_1)
	v_pk_fma_f32 v[10:11], v[4:5], v[6:7], v[2:3] op_sel:[0,0,1] op_sel_hi:[1,1,0] neg_lo:[0,0,1] neg_hi:[0,0,1]
	v_pk_fma_f32 v[2:3], v[4:5], v[6:7], v[2:3] op_sel:[0,0,1] op_sel_hi:[1,0,0]
	v_mov_b32_e32 v11, v3
	ds_load_2addr_b64 v[2:5], v126 offset0:20 offset1:21
	v_pk_add_f32 v[166:167], v[166:167], v[12:13] neg_lo:[0,1] neg_hi:[0,1]
	v_pk_add_f32 v[168:169], v[168:169], v[10:11] neg_lo:[0,1] neg_hi:[0,1]
	s_wait_dscnt 0x0
	v_dual_mul_f32 v10, v3, v9 :: v_dual_mul_f32 v12, v3, v6
	s_delay_alu instid0(VALU_DEP_1) | instskip(NEXT) | instid1(VALU_DEP_2)
	v_pk_fma_f32 v[10:11], v[2:3], v[150:151], v[10:11] op_sel_hi:[1,1,0] neg_lo:[0,0,1] neg_hi:[0,0,1]
	v_pk_fma_f32 v[2:3], v[2:3], v[150:151], v[12:13] op_sel:[1,0,0] op_sel_hi:[0,1,0]
	s_delay_alu instid0(VALU_DEP_1) | instskip(SKIP_1) | instid1(VALU_DEP_2)
	v_mov_b32_e32 v11, v3
	v_pk_mul_f32 v[2:3], v[4:5], v[8:9] op_sel:[0,1]
	v_pk_add_f32 v[170:171], v[170:171], v[10:11] neg_lo:[0,1] neg_hi:[0,1]
	s_delay_alu instid0(VALU_DEP_2) | instskip(SKIP_1) | instid1(VALU_DEP_1)
	v_pk_fma_f32 v[10:11], v[4:5], v[6:7], v[2:3] op_sel:[0,0,1] op_sel_hi:[1,1,0] neg_lo:[0,0,1] neg_hi:[0,0,1]
	v_pk_fma_f32 v[2:3], v[4:5], v[6:7], v[2:3] op_sel:[0,0,1] op_sel_hi:[1,0,0]
	v_mov_b32_e32 v11, v3
	ds_load_2addr_b64 v[2:5], v126 offset0:22 offset1:23
	v_pk_add_f32 v[172:173], v[172:173], v[10:11] neg_lo:[0,1] neg_hi:[0,1]
	s_wait_dscnt 0x0
	v_pk_mul_f32 v[10:11], v[2:3], v[8:9] op_sel:[0,1]
	s_delay_alu instid0(VALU_DEP_1) | instskip(SKIP_1) | instid1(VALU_DEP_1)
	v_pk_fma_f32 v[12:13], v[2:3], v[6:7], v[10:11] op_sel:[0,0,1] op_sel_hi:[1,1,0] neg_lo:[0,0,1] neg_hi:[0,0,1]
	v_pk_fma_f32 v[2:3], v[2:3], v[6:7], v[10:11] op_sel:[0,0,1] op_sel_hi:[1,0,0]
	v_mov_b32_e32 v13, v3
	v_pk_mul_f32 v[2:3], v[4:5], v[8:9] op_sel:[0,1]
	s_delay_alu instid0(VALU_DEP_2) | instskip(NEXT) | instid1(VALU_DEP_2)
	v_pk_add_f32 v[174:175], v[174:175], v[12:13] neg_lo:[0,1] neg_hi:[0,1]
	v_pk_fma_f32 v[10:11], v[4:5], v[6:7], v[2:3] op_sel:[0,0,1] op_sel_hi:[1,1,0] neg_lo:[0,0,1] neg_hi:[0,0,1]
	v_pk_fma_f32 v[2:3], v[4:5], v[6:7], v[2:3] op_sel:[0,0,1] op_sel_hi:[1,0,0]
	s_delay_alu instid0(VALU_DEP_1) | instskip(SKIP_4) | instid1(VALU_DEP_1)
	v_mov_b32_e32 v11, v3
	ds_load_2addr_b64 v[2:5], v126 offset0:24 offset1:25
	v_pk_add_f32 v[176:177], v[176:177], v[10:11] neg_lo:[0,1] neg_hi:[0,1]
	s_wait_dscnt 0x0
	v_pk_mul_f32 v[10:11], v[2:3], v[8:9] op_sel:[0,1]
	v_pk_fma_f32 v[12:13], v[2:3], v[6:7], v[10:11] op_sel:[0,0,1] op_sel_hi:[1,1,0] neg_lo:[0,0,1] neg_hi:[0,0,1]
	v_pk_fma_f32 v[2:3], v[2:3], v[6:7], v[10:11] op_sel:[0,0,1] op_sel_hi:[1,0,0]
	v_dual_mul_f32 v10, v5, v9 :: v_dual_mov_b32 v2, v5
	s_delay_alu instid0(VALU_DEP_2) | instskip(NEXT) | instid1(VALU_DEP_2)
	v_dual_mov_b32 v13, v3 :: v_dual_mov_b32 v3, v4
	v_pk_fma_f32 v[10:11], v[4:5], v[150:151], v[10:11] op_sel_hi:[1,1,0] neg_lo:[0,0,1] neg_hi:[0,0,1]
	v_mul_f32_e32 v4, v5, v6
	s_delay_alu instid0(VALU_DEP_3) | instskip(NEXT) | instid1(VALU_DEP_2)
	v_pk_add_f32 v[178:179], v[178:179], v[12:13] neg_lo:[0,1] neg_hi:[0,1]
	v_pk_fma_f32 v[2:3], v[2:3], v[150:151], v[4:5] op_sel_hi:[1,1,0]
	s_delay_alu instid0(VALU_DEP_1) | instskip(SKIP_4) | instid1(VALU_DEP_1)
	v_mov_b32_e32 v11, v3
	ds_load_2addr_b64 v[2:5], v126 offset0:26 offset1:27
	v_pk_add_f32 v[180:181], v[180:181], v[10:11] neg_lo:[0,1] neg_hi:[0,1]
	s_wait_dscnt 0x0
	v_pk_mul_f32 v[10:11], v[2:3], v[8:9] op_sel:[0,1]
	v_pk_fma_f32 v[12:13], v[2:3], v[6:7], v[10:11] op_sel:[0,0,1] op_sel_hi:[1,1,0] neg_lo:[0,0,1] neg_hi:[0,0,1]
	v_pk_fma_f32 v[2:3], v[2:3], v[6:7], v[10:11] op_sel:[0,0,1] op_sel_hi:[1,0,0]
	s_delay_alu instid0(VALU_DEP_1) | instskip(SKIP_1) | instid1(VALU_DEP_1)
	v_mov_b32_e32 v13, v3
	v_pk_mul_f32 v[2:3], v[4:5], v[8:9] op_sel:[0,1]
	v_pk_fma_f32 v[10:11], v[4:5], v[6:7], v[2:3] op_sel:[0,0,1] op_sel_hi:[1,1,0] neg_lo:[0,0,1] neg_hi:[0,0,1]
	v_pk_fma_f32 v[2:3], v[4:5], v[6:7], v[2:3] op_sel:[0,0,1] op_sel_hi:[1,0,0]
	s_delay_alu instid0(VALU_DEP_1)
	v_mov_b32_e32 v11, v3
	ds_load_2addr_b64 v[2:5], v126 offset0:28 offset1:29
	v_pk_add_f32 v[182:183], v[182:183], v[12:13] neg_lo:[0,1] neg_hi:[0,1]
	v_pk_add_f32 v[184:185], v[184:185], v[10:11] neg_lo:[0,1] neg_hi:[0,1]
	s_wait_dscnt 0x0
	v_pk_mul_f32 v[10:11], v[2:3], v[8:9] op_sel:[0,1]
	s_delay_alu instid0(VALU_DEP_1) | instskip(SKIP_1) | instid1(VALU_DEP_1)
	v_pk_fma_f32 v[12:13], v[2:3], v[6:7], v[10:11] op_sel:[0,0,1] op_sel_hi:[1,1,0] neg_lo:[0,0,1] neg_hi:[0,0,1]
	v_pk_fma_f32 v[2:3], v[2:3], v[6:7], v[10:11] op_sel:[0,0,1] op_sel_hi:[1,0,0]
	v_mov_b32_e32 v13, v3
	v_pk_mul_f32 v[2:3], v[4:5], v[8:9] op_sel:[0,1]
	s_delay_alu instid0(VALU_DEP_1) | instskip(SKIP_1) | instid1(VALU_DEP_1)
	v_pk_fma_f32 v[10:11], v[4:5], v[6:7], v[2:3] op_sel:[0,0,1] op_sel_hi:[1,1,0] neg_lo:[0,0,1] neg_hi:[0,0,1]
	v_pk_fma_f32 v[2:3], v[4:5], v[6:7], v[2:3] op_sel:[0,0,1] op_sel_hi:[1,0,0]
	v_mov_b32_e32 v11, v3
	ds_load_2addr_b64 v[2:5], v126 offset0:30 offset1:31
	v_pk_add_f32 v[186:187], v[186:187], v[12:13] neg_lo:[0,1] neg_hi:[0,1]
	v_pk_add_f32 v[188:189], v[188:189], v[10:11] neg_lo:[0,1] neg_hi:[0,1]
	s_wait_dscnt 0x0
	v_dual_mul_f32 v10, v3, v9 :: v_dual_mul_f32 v12, v3, v6
	s_delay_alu instid0(VALU_DEP_1) | instskip(NEXT) | instid1(VALU_DEP_2)
	v_pk_fma_f32 v[10:11], v[2:3], v[150:151], v[10:11] op_sel_hi:[1,1,0] neg_lo:[0,0,1] neg_hi:[0,0,1]
	v_pk_fma_f32 v[2:3], v[2:3], v[150:151], v[12:13] op_sel:[1,0,0] op_sel_hi:[0,1,0]
	s_delay_alu instid0(VALU_DEP_1) | instskip(SKIP_1) | instid1(VALU_DEP_2)
	v_mov_b32_e32 v11, v3
	v_pk_mul_f32 v[2:3], v[4:5], v[8:9] op_sel:[0,1]
	v_pk_add_f32 v[190:191], v[190:191], v[10:11] neg_lo:[0,1] neg_hi:[0,1]
	s_delay_alu instid0(VALU_DEP_2) | instskip(SKIP_1) | instid1(VALU_DEP_1)
	v_pk_fma_f32 v[10:11], v[4:5], v[6:7], v[2:3] op_sel:[0,0,1] op_sel_hi:[1,1,0] neg_lo:[0,0,1] neg_hi:[0,0,1]
	v_pk_fma_f32 v[2:3], v[4:5], v[6:7], v[2:3] op_sel:[0,0,1] op_sel_hi:[1,0,0]
	v_mov_b32_e32 v11, v3
	ds_load_2addr_b64 v[2:5], v126 offset0:32 offset1:33
	v_pk_add_f32 v[192:193], v[192:193], v[10:11] neg_lo:[0,1] neg_hi:[0,1]
	s_wait_dscnt 0x0
	v_pk_mul_f32 v[10:11], v[2:3], v[8:9] op_sel:[0,1]
	s_delay_alu instid0(VALU_DEP_1) | instskip(SKIP_1) | instid1(VALU_DEP_1)
	v_pk_fma_f32 v[12:13], v[2:3], v[6:7], v[10:11] op_sel:[0,0,1] op_sel_hi:[1,1,0] neg_lo:[0,0,1] neg_hi:[0,0,1]
	v_pk_fma_f32 v[2:3], v[2:3], v[6:7], v[10:11] op_sel:[0,0,1] op_sel_hi:[1,0,0]
	v_mov_b32_e32 v13, v3
	v_pk_mul_f32 v[2:3], v[4:5], v[8:9] op_sel:[0,1]
	s_delay_alu instid0(VALU_DEP_2) | instskip(NEXT) | instid1(VALU_DEP_2)
	v_pk_add_f32 v[194:195], v[194:195], v[12:13] neg_lo:[0,1] neg_hi:[0,1]
	v_pk_fma_f32 v[10:11], v[4:5], v[6:7], v[2:3] op_sel:[0,0,1] op_sel_hi:[1,1,0] neg_lo:[0,0,1] neg_hi:[0,0,1]
	v_pk_fma_f32 v[2:3], v[4:5], v[6:7], v[2:3] op_sel:[0,0,1] op_sel_hi:[1,0,0]
	s_delay_alu instid0(VALU_DEP_1) | instskip(SKIP_4) | instid1(VALU_DEP_1)
	v_mov_b32_e32 v11, v3
	ds_load_2addr_b64 v[2:5], v126 offset0:34 offset1:35
	v_pk_add_f32 v[196:197], v[196:197], v[10:11] neg_lo:[0,1] neg_hi:[0,1]
	s_wait_dscnt 0x0
	v_pk_mul_f32 v[10:11], v[2:3], v[8:9] op_sel:[0,1]
	v_pk_fma_f32 v[12:13], v[2:3], v[6:7], v[10:11] op_sel:[0,0,1] op_sel_hi:[1,1,0] neg_lo:[0,0,1] neg_hi:[0,0,1]
	v_pk_fma_f32 v[2:3], v[2:3], v[6:7], v[10:11] op_sel:[0,0,1] op_sel_hi:[1,0,0]
	v_dual_mul_f32 v10, v5, v9 :: v_dual_mov_b32 v2, v5
	s_delay_alu instid0(VALU_DEP_2) | instskip(NEXT) | instid1(VALU_DEP_2)
	v_dual_mov_b32 v13, v3 :: v_dual_mov_b32 v3, v4
	v_pk_fma_f32 v[10:11], v[4:5], v[150:151], v[10:11] op_sel_hi:[1,1,0] neg_lo:[0,0,1] neg_hi:[0,0,1]
	v_mul_f32_e32 v4, v5, v6
	s_delay_alu instid0(VALU_DEP_3) | instskip(NEXT) | instid1(VALU_DEP_2)
	v_pk_add_f32 v[198:199], v[198:199], v[12:13] neg_lo:[0,1] neg_hi:[0,1]
	v_pk_fma_f32 v[2:3], v[2:3], v[150:151], v[4:5] op_sel_hi:[1,1,0]
	s_delay_alu instid0(VALU_DEP_1) | instskip(SKIP_4) | instid1(VALU_DEP_1)
	v_mov_b32_e32 v11, v3
	ds_load_2addr_b64 v[2:5], v126 offset0:36 offset1:37
	v_pk_add_f32 v[200:201], v[200:201], v[10:11] neg_lo:[0,1] neg_hi:[0,1]
	s_wait_dscnt 0x0
	v_pk_mul_f32 v[10:11], v[2:3], v[8:9] op_sel:[0,1]
	v_pk_fma_f32 v[12:13], v[2:3], v[6:7], v[10:11] op_sel:[0,0,1] op_sel_hi:[1,1,0] neg_lo:[0,0,1] neg_hi:[0,0,1]
	v_pk_fma_f32 v[2:3], v[2:3], v[6:7], v[10:11] op_sel:[0,0,1] op_sel_hi:[1,0,0]
	s_delay_alu instid0(VALU_DEP_1) | instskip(SKIP_1) | instid1(VALU_DEP_1)
	v_mov_b32_e32 v13, v3
	v_pk_mul_f32 v[2:3], v[4:5], v[8:9] op_sel:[0,1]
	v_pk_fma_f32 v[10:11], v[4:5], v[6:7], v[2:3] op_sel:[0,0,1] op_sel_hi:[1,1,0] neg_lo:[0,0,1] neg_hi:[0,0,1]
	v_pk_fma_f32 v[2:3], v[4:5], v[6:7], v[2:3] op_sel:[0,0,1] op_sel_hi:[1,0,0]
	s_delay_alu instid0(VALU_DEP_1)
	v_mov_b32_e32 v11, v3
	ds_load_2addr_b64 v[2:5], v126 offset0:38 offset1:39
	v_pk_add_f32 v[202:203], v[202:203], v[12:13] neg_lo:[0,1] neg_hi:[0,1]
	v_pk_add_f32 v[204:205], v[204:205], v[10:11] neg_lo:[0,1] neg_hi:[0,1]
	s_wait_dscnt 0x0
	v_pk_mul_f32 v[10:11], v[2:3], v[8:9] op_sel:[0,1]
	s_delay_alu instid0(VALU_DEP_1) | instskip(SKIP_1) | instid1(VALU_DEP_1)
	v_pk_fma_f32 v[12:13], v[2:3], v[6:7], v[10:11] op_sel:[0,0,1] op_sel_hi:[1,1,0] neg_lo:[0,0,1] neg_hi:[0,0,1]
	v_pk_fma_f32 v[2:3], v[2:3], v[6:7], v[10:11] op_sel:[0,0,1] op_sel_hi:[1,0,0]
	v_mov_b32_e32 v13, v3
	v_pk_mul_f32 v[2:3], v[4:5], v[8:9] op_sel:[0,1]
	s_delay_alu instid0(VALU_DEP_1) | instskip(SKIP_1) | instid1(VALU_DEP_1)
	v_pk_fma_f32 v[10:11], v[4:5], v[6:7], v[2:3] op_sel:[0,0,1] op_sel_hi:[1,1,0] neg_lo:[0,0,1] neg_hi:[0,0,1]
	v_pk_fma_f32 v[2:3], v[4:5], v[6:7], v[2:3] op_sel:[0,0,1] op_sel_hi:[1,0,0]
	v_mov_b32_e32 v11, v3
	ds_load_2addr_b64 v[2:5], v126 offset0:40 offset1:41
	v_pk_add_f32 v[206:207], v[206:207], v[12:13] neg_lo:[0,1] neg_hi:[0,1]
	v_pk_add_f32 v[208:209], v[208:209], v[10:11] neg_lo:[0,1] neg_hi:[0,1]
	s_wait_dscnt 0x0
	v_dual_mul_f32 v10, v3, v9 :: v_dual_mul_f32 v12, v3, v6
	s_delay_alu instid0(VALU_DEP_1) | instskip(NEXT) | instid1(VALU_DEP_2)
	v_pk_fma_f32 v[10:11], v[2:3], v[150:151], v[10:11] op_sel_hi:[1,1,0] neg_lo:[0,0,1] neg_hi:[0,0,1]
	v_pk_fma_f32 v[2:3], v[2:3], v[150:151], v[12:13] op_sel:[1,0,0] op_sel_hi:[0,1,0]
	s_delay_alu instid0(VALU_DEP_1) | instskip(SKIP_1) | instid1(VALU_DEP_2)
	v_mov_b32_e32 v11, v3
	v_pk_mul_f32 v[2:3], v[4:5], v[8:9] op_sel:[0,1]
	v_pk_add_f32 v[210:211], v[210:211], v[10:11] neg_lo:[0,1] neg_hi:[0,1]
	s_delay_alu instid0(VALU_DEP_2) | instskip(SKIP_1) | instid1(VALU_DEP_1)
	v_pk_fma_f32 v[10:11], v[4:5], v[6:7], v[2:3] op_sel:[0,0,1] op_sel_hi:[1,1,0] neg_lo:[0,0,1] neg_hi:[0,0,1]
	v_pk_fma_f32 v[2:3], v[4:5], v[6:7], v[2:3] op_sel:[0,0,1] op_sel_hi:[1,0,0]
	v_mov_b32_e32 v11, v3
	ds_load_2addr_b64 v[2:5], v126 offset0:42 offset1:43
	v_pk_add_f32 v[212:213], v[212:213], v[10:11] neg_lo:[0,1] neg_hi:[0,1]
	s_wait_dscnt 0x0
	v_pk_mul_f32 v[10:11], v[2:3], v[8:9] op_sel:[0,1]
	s_delay_alu instid0(VALU_DEP_1) | instskip(SKIP_1) | instid1(VALU_DEP_1)
	v_pk_fma_f32 v[12:13], v[2:3], v[6:7], v[10:11] op_sel:[0,0,1] op_sel_hi:[1,1,0] neg_lo:[0,0,1] neg_hi:[0,0,1]
	v_pk_fma_f32 v[2:3], v[2:3], v[6:7], v[10:11] op_sel:[0,0,1] op_sel_hi:[1,0,0]
	v_mov_b32_e32 v13, v3
	v_pk_mul_f32 v[2:3], v[4:5], v[8:9] op_sel:[0,1]
	s_delay_alu instid0(VALU_DEP_2) | instskip(NEXT) | instid1(VALU_DEP_2)
	v_pk_add_f32 v[214:215], v[214:215], v[12:13] neg_lo:[0,1] neg_hi:[0,1]
	v_pk_fma_f32 v[10:11], v[4:5], v[6:7], v[2:3] op_sel:[0,0,1] op_sel_hi:[1,1,0] neg_lo:[0,0,1] neg_hi:[0,0,1]
	v_pk_fma_f32 v[2:3], v[4:5], v[6:7], v[2:3] op_sel:[0,0,1] op_sel_hi:[1,0,0]
	s_delay_alu instid0(VALU_DEP_1) | instskip(SKIP_4) | instid1(VALU_DEP_1)
	v_mov_b32_e32 v11, v3
	ds_load_2addr_b64 v[2:5], v126 offset0:44 offset1:45
	v_pk_add_f32 v[216:217], v[216:217], v[10:11] neg_lo:[0,1] neg_hi:[0,1]
	s_wait_dscnt 0x0
	v_pk_mul_f32 v[10:11], v[2:3], v[8:9] op_sel:[0,1]
	v_pk_fma_f32 v[12:13], v[2:3], v[6:7], v[10:11] op_sel:[0,0,1] op_sel_hi:[1,1,0] neg_lo:[0,0,1] neg_hi:[0,0,1]
	v_pk_fma_f32 v[2:3], v[2:3], v[6:7], v[10:11] op_sel:[0,0,1] op_sel_hi:[1,0,0]
	v_dual_mul_f32 v10, v5, v9 :: v_dual_mov_b32 v2, v5
	s_delay_alu instid0(VALU_DEP_2) | instskip(NEXT) | instid1(VALU_DEP_2)
	v_dual_mov_b32 v13, v3 :: v_dual_mov_b32 v3, v4
	v_pk_fma_f32 v[10:11], v[4:5], v[150:151], v[10:11] op_sel_hi:[1,1,0] neg_lo:[0,0,1] neg_hi:[0,0,1]
	v_mul_f32_e32 v4, v5, v6
	s_delay_alu instid0(VALU_DEP_3) | instskip(NEXT) | instid1(VALU_DEP_2)
	v_pk_add_f32 v[218:219], v[218:219], v[12:13] neg_lo:[0,1] neg_hi:[0,1]
	v_pk_fma_f32 v[2:3], v[2:3], v[150:151], v[4:5] op_sel_hi:[1,1,0]
	s_delay_alu instid0(VALU_DEP_1) | instskip(SKIP_4) | instid1(VALU_DEP_1)
	v_mov_b32_e32 v11, v3
	ds_load_2addr_b64 v[2:5], v126 offset0:46 offset1:47
	v_pk_add_f32 v[220:221], v[220:221], v[10:11] neg_lo:[0,1] neg_hi:[0,1]
	s_wait_dscnt 0x0
	v_pk_mul_f32 v[10:11], v[2:3], v[8:9] op_sel:[0,1]
	v_pk_fma_f32 v[12:13], v[2:3], v[6:7], v[10:11] op_sel:[0,0,1] op_sel_hi:[1,1,0] neg_lo:[0,0,1] neg_hi:[0,0,1]
	v_pk_fma_f32 v[2:3], v[2:3], v[6:7], v[10:11] op_sel:[0,0,1] op_sel_hi:[1,0,0]
	s_delay_alu instid0(VALU_DEP_1) | instskip(SKIP_1) | instid1(VALU_DEP_1)
	v_mov_b32_e32 v13, v3
	v_pk_mul_f32 v[2:3], v[4:5], v[8:9] op_sel:[0,1]
	v_pk_fma_f32 v[10:11], v[4:5], v[6:7], v[2:3] op_sel:[0,0,1] op_sel_hi:[1,1,0] neg_lo:[0,0,1] neg_hi:[0,0,1]
	v_pk_fma_f32 v[2:3], v[4:5], v[6:7], v[2:3] op_sel:[0,0,1] op_sel_hi:[1,0,0]
	s_delay_alu instid0(VALU_DEP_1)
	v_mov_b32_e32 v11, v3
	ds_load_2addr_b64 v[2:5], v126 offset0:48 offset1:49
	v_pk_add_f32 v[222:223], v[222:223], v[12:13] neg_lo:[0,1] neg_hi:[0,1]
	v_pk_add_f32 v[224:225], v[224:225], v[10:11] neg_lo:[0,1] neg_hi:[0,1]
	s_wait_dscnt 0x0
	v_pk_mul_f32 v[10:11], v[2:3], v[8:9] op_sel:[0,1]
	s_delay_alu instid0(VALU_DEP_1) | instskip(SKIP_1) | instid1(VALU_DEP_1)
	v_pk_fma_f32 v[12:13], v[2:3], v[6:7], v[10:11] op_sel:[0,0,1] op_sel_hi:[1,1,0] neg_lo:[0,0,1] neg_hi:[0,0,1]
	v_pk_fma_f32 v[2:3], v[2:3], v[6:7], v[10:11] op_sel:[0,0,1] op_sel_hi:[1,0,0]
	v_mov_b32_e32 v13, v3
	v_pk_mul_f32 v[2:3], v[4:5], v[8:9] op_sel:[0,1]
	s_delay_alu instid0(VALU_DEP_1) | instskip(SKIP_1) | instid1(VALU_DEP_1)
	v_pk_fma_f32 v[10:11], v[4:5], v[6:7], v[2:3] op_sel:[0,0,1] op_sel_hi:[1,1,0] neg_lo:[0,0,1] neg_hi:[0,0,1]
	v_pk_fma_f32 v[2:3], v[4:5], v[6:7], v[2:3] op_sel:[0,0,1] op_sel_hi:[1,0,0]
	v_mov_b32_e32 v11, v3
	ds_load_2addr_b64 v[2:5], v126 offset0:50 offset1:51
	v_pk_add_f32 v[226:227], v[226:227], v[12:13] neg_lo:[0,1] neg_hi:[0,1]
	v_pk_add_f32 v[228:229], v[228:229], v[10:11] neg_lo:[0,1] neg_hi:[0,1]
	s_wait_dscnt 0x0
	v_dual_mul_f32 v10, v3, v9 :: v_dual_mul_f32 v12, v3, v6
	s_delay_alu instid0(VALU_DEP_1) | instskip(NEXT) | instid1(VALU_DEP_2)
	v_pk_fma_f32 v[10:11], v[2:3], v[150:151], v[10:11] op_sel_hi:[1,1,0] neg_lo:[0,0,1] neg_hi:[0,0,1]
	v_pk_fma_f32 v[2:3], v[2:3], v[150:151], v[12:13] op_sel:[1,0,0] op_sel_hi:[0,1,0]
	s_delay_alu instid0(VALU_DEP_1) | instskip(SKIP_1) | instid1(VALU_DEP_2)
	v_mov_b32_e32 v11, v3
	v_pk_mul_f32 v[2:3], v[4:5], v[8:9] op_sel:[0,1]
	v_pk_add_f32 v[230:231], v[230:231], v[10:11] neg_lo:[0,1] neg_hi:[0,1]
	s_delay_alu instid0(VALU_DEP_2) | instskip(SKIP_1) | instid1(VALU_DEP_1)
	v_pk_fma_f32 v[10:11], v[4:5], v[6:7], v[2:3] op_sel:[0,0,1] op_sel_hi:[1,1,0] neg_lo:[0,0,1] neg_hi:[0,0,1]
	v_pk_fma_f32 v[2:3], v[4:5], v[6:7], v[2:3] op_sel:[0,0,1] op_sel_hi:[1,0,0]
	v_mov_b32_e32 v11, v3
	ds_load_2addr_b64 v[2:5], v126 offset0:52 offset1:53
	v_pk_add_f32 v[232:233], v[232:233], v[10:11] neg_lo:[0,1] neg_hi:[0,1]
	s_wait_dscnt 0x0
	v_pk_mul_f32 v[10:11], v[2:3], v[8:9] op_sel:[0,1]
	s_delay_alu instid0(VALU_DEP_1) | instskip(SKIP_1) | instid1(VALU_DEP_1)
	v_pk_fma_f32 v[12:13], v[2:3], v[6:7], v[10:11] op_sel:[0,0,1] op_sel_hi:[1,1,0] neg_lo:[0,0,1] neg_hi:[0,0,1]
	v_pk_fma_f32 v[2:3], v[2:3], v[6:7], v[10:11] op_sel:[0,0,1] op_sel_hi:[1,0,0]
	v_mov_b32_e32 v13, v3
	v_pk_mul_f32 v[2:3], v[4:5], v[8:9] op_sel:[0,1]
	s_delay_alu instid0(VALU_DEP_2) | instskip(NEXT) | instid1(VALU_DEP_2)
	v_pk_add_f32 v[234:235], v[234:235], v[12:13] neg_lo:[0,1] neg_hi:[0,1]
	v_pk_fma_f32 v[10:11], v[4:5], v[6:7], v[2:3] op_sel:[0,0,1] op_sel_hi:[1,1,0] neg_lo:[0,0,1] neg_hi:[0,0,1]
	v_pk_fma_f32 v[2:3], v[4:5], v[6:7], v[2:3] op_sel:[0,0,1] op_sel_hi:[1,0,0]
	s_delay_alu instid0(VALU_DEP_1) | instskip(SKIP_4) | instid1(VALU_DEP_1)
	v_mov_b32_e32 v11, v3
	ds_load_2addr_b64 v[2:5], v126 offset0:54 offset1:55
	v_pk_add_f32 v[236:237], v[236:237], v[10:11] neg_lo:[0,1] neg_hi:[0,1]
	s_wait_dscnt 0x0
	v_pk_mul_f32 v[10:11], v[2:3], v[8:9] op_sel:[0,1]
	v_pk_fma_f32 v[12:13], v[2:3], v[6:7], v[10:11] op_sel:[0,0,1] op_sel_hi:[1,1,0] neg_lo:[0,0,1] neg_hi:[0,0,1]
	v_pk_fma_f32 v[2:3], v[2:3], v[6:7], v[10:11] op_sel:[0,0,1] op_sel_hi:[1,0,0]
	v_dual_mul_f32 v10, v5, v9 :: v_dual_mov_b32 v2, v5
	s_delay_alu instid0(VALU_DEP_2) | instskip(NEXT) | instid1(VALU_DEP_2)
	v_dual_mov_b32 v13, v3 :: v_dual_mov_b32 v3, v4
	v_pk_fma_f32 v[10:11], v[4:5], v[150:151], v[10:11] op_sel_hi:[1,1,0] neg_lo:[0,0,1] neg_hi:[0,0,1]
	v_mul_f32_e32 v4, v5, v6
	s_delay_alu instid0(VALU_DEP_3) | instskip(NEXT) | instid1(VALU_DEP_2)
	v_pk_add_f32 v[238:239], v[238:239], v[12:13] neg_lo:[0,1] neg_hi:[0,1]
	v_pk_fma_f32 v[2:3], v[2:3], v[150:151], v[4:5] op_sel_hi:[1,1,0]
	s_delay_alu instid0(VALU_DEP_1) | instskip(SKIP_4) | instid1(VALU_DEP_1)
	v_mov_b32_e32 v11, v3
	ds_load_2addr_b64 v[2:5], v126 offset0:56 offset1:57
	v_pk_add_f32 v[240:241], v[240:241], v[10:11] neg_lo:[0,1] neg_hi:[0,1]
	s_wait_dscnt 0x0
	v_pk_mul_f32 v[10:11], v[2:3], v[8:9] op_sel:[0,1]
	v_pk_fma_f32 v[12:13], v[2:3], v[6:7], v[10:11] op_sel:[0,0,1] op_sel_hi:[1,1,0] neg_lo:[0,0,1] neg_hi:[0,0,1]
	v_pk_fma_f32 v[2:3], v[2:3], v[6:7], v[10:11] op_sel:[0,0,1] op_sel_hi:[1,0,0]
	s_delay_alu instid0(VALU_DEP_1) | instskip(SKIP_1) | instid1(VALU_DEP_1)
	v_mov_b32_e32 v13, v3
	v_pk_mul_f32 v[2:3], v[4:5], v[8:9] op_sel:[0,1]
	v_pk_fma_f32 v[10:11], v[4:5], v[6:7], v[2:3] op_sel:[0,0,1] op_sel_hi:[1,1,0] neg_lo:[0,0,1] neg_hi:[0,0,1]
	v_pk_fma_f32 v[2:3], v[4:5], v[6:7], v[2:3] op_sel:[0,0,1] op_sel_hi:[1,0,0]
	s_delay_alu instid0(VALU_DEP_1)
	v_mov_b32_e32 v11, v3
	ds_load_2addr_b64 v[2:5], v126 offset0:58 offset1:59
	v_pk_add_f32 v[252:253], v[252:253], v[12:13] neg_lo:[0,1] neg_hi:[0,1]
	v_pk_add_f32 v[246:247], v[246:247], v[10:11] neg_lo:[0,1] neg_hi:[0,1]
	s_wait_dscnt 0x0
	v_pk_mul_f32 v[10:11], v[2:3], v[8:9] op_sel:[0,1]
	s_delay_alu instid0(VALU_DEP_1) | instskip(SKIP_1) | instid1(VALU_DEP_1)
	v_pk_fma_f32 v[12:13], v[2:3], v[6:7], v[10:11] op_sel:[0,0,1] op_sel_hi:[1,1,0] neg_lo:[0,0,1] neg_hi:[0,0,1]
	v_pk_fma_f32 v[2:3], v[2:3], v[6:7], v[10:11] op_sel:[0,0,1] op_sel_hi:[1,0,0]
	v_mov_b32_e32 v13, v3
	v_pk_mul_f32 v[2:3], v[4:5], v[8:9] op_sel:[0,1]
	s_delay_alu instid0(VALU_DEP_1) | instskip(SKIP_1) | instid1(VALU_DEP_1)
	v_pk_fma_f32 v[10:11], v[4:5], v[6:7], v[2:3] op_sel:[0,0,1] op_sel_hi:[1,1,0] neg_lo:[0,0,1] neg_hi:[0,0,1]
	v_pk_fma_f32 v[2:3], v[4:5], v[6:7], v[2:3] op_sel:[0,0,1] op_sel_hi:[1,0,0]
	v_mov_b32_e32 v11, v3
	ds_load_2addr_b64 v[2:5], v126 offset0:60 offset1:61
	v_pk_add_f32 v[250:251], v[250:251], v[12:13] neg_lo:[0,1] neg_hi:[0,1]
	v_pk_add_f32 v[244:245], v[244:245], v[10:11] neg_lo:[0,1] neg_hi:[0,1]
	s_wait_dscnt 0x0
	v_dual_mul_f32 v10, v3, v9 :: v_dual_mul_f32 v12, v3, v6
	s_delay_alu instid0(VALU_DEP_1) | instskip(NEXT) | instid1(VALU_DEP_2)
	v_pk_fma_f32 v[10:11], v[2:3], v[150:151], v[10:11] op_sel_hi:[1,1,0] neg_lo:[0,0,1] neg_hi:[0,0,1]
	v_pk_fma_f32 v[2:3], v[2:3], v[150:151], v[12:13] op_sel:[1,0,0] op_sel_hi:[0,1,0]
	s_delay_alu instid0(VALU_DEP_1) | instskip(SKIP_1) | instid1(VALU_DEP_2)
	v_mov_b32_e32 v11, v3
	v_pk_mul_f32 v[2:3], v[4:5], v[8:9] op_sel:[0,1]
	v_pk_add_f32 v[248:249], v[248:249], v[10:11] neg_lo:[0,1] neg_hi:[0,1]
	s_delay_alu instid0(VALU_DEP_2) | instskip(SKIP_1) | instid1(VALU_DEP_1)
	v_pk_fma_f32 v[10:11], v[4:5], v[6:7], v[2:3] op_sel:[0,0,1] op_sel_hi:[1,1,0] neg_lo:[0,0,1] neg_hi:[0,0,1]
	v_pk_fma_f32 v[2:3], v[4:5], v[6:7], v[2:3] op_sel:[0,0,1] op_sel_hi:[1,0,0]
	v_mov_b32_e32 v11, v3
	ds_load_2addr_b64 v[2:5], v126 offset0:62 offset1:63
	v_pk_add_f32 v[242:243], v[242:243], v[10:11] neg_lo:[0,1] neg_hi:[0,1]
	s_wait_dscnt 0x0
	v_pk_mul_f32 v[10:11], v[2:3], v[8:9] op_sel:[0,1]
	s_delay_alu instid0(VALU_DEP_1) | instskip(SKIP_1) | instid1(VALU_DEP_1)
	v_pk_fma_f32 v[12:13], v[2:3], v[6:7], v[10:11] op_sel:[0,0,1] op_sel_hi:[1,1,0] neg_lo:[0,0,1] neg_hi:[0,0,1]
	v_pk_fma_f32 v[2:3], v[2:3], v[6:7], v[10:11] op_sel:[0,0,1] op_sel_hi:[1,0,0]
	v_mov_b32_e32 v13, v3
	v_pk_mul_f32 v[2:3], v[4:5], v[8:9] op_sel:[0,1]
	s_delay_alu instid0(VALU_DEP_2) | instskip(NEXT) | instid1(VALU_DEP_2)
	v_pk_add_f32 v[254:255], v[254:255], v[12:13] neg_lo:[0,1] neg_hi:[0,1]
	v_pk_fma_f32 v[8:9], v[4:5], v[6:7], v[2:3] op_sel:[0,0,1] op_sel_hi:[1,1,0] neg_lo:[0,0,1] neg_hi:[0,0,1]
	v_pk_fma_f32 v[2:3], v[4:5], v[6:7], v[2:3] op_sel:[0,0,1] op_sel_hi:[1,0,0]
	s_delay_alu instid0(VALU_DEP_1) | instskip(NEXT) | instid1(VALU_DEP_1)
	v_mov_b32_e32 v9, v3
	v_pk_add_f32 v[0:1], v[0:1], v[8:9] neg_lo:[0,1] neg_hi:[0,1]
.LBB127_19:
	s_wait_xcnt 0x0
	s_or_b32 exec_lo, exec_lo, s1
	s_delay_alu instid0(SALU_CYCLE_1)
	s_mov_b32 s2, exec_lo
	s_wait_storecnt 0x0
	s_barrier_signal -1
	s_barrier_wait -1
	v_cmpx_eq_u32_e32 2, v18
	s_cbranch_execz .LBB127_26
; %bb.20:
	ds_store_b64 v19, v[142:143]
	ds_store_2addr_b64 v126, v[144:145], v[136:137] offset0:3 offset1:4
	ds_store_2addr_b64 v126, v[132:133], v[134:135] offset0:5 offset1:6
	;; [unrolled: 1-line block ×30, first 2 shown]
	ds_store_b64 v126, v[0:1] offset:504
	ds_load_b64 v[2:3], v19
	s_wait_dscnt 0x0
	v_cmp_neq_f32_e32 vcc_lo, 0, v2
	v_cmp_neq_f32_e64 s1, 0, v3
	s_or_b32 s1, vcc_lo, s1
	s_delay_alu instid0(SALU_CYCLE_1)
	s_and_b32 exec_lo, exec_lo, s1
	s_cbranch_execz .LBB127_26
; %bb.21:
	v_cmp_ngt_f32_e64 s1, |v2|, |v3|
                                        ; implicit-def: $vgpr4_vgpr5
	s_and_saveexec_b32 s4, s1
	s_delay_alu instid0(SALU_CYCLE_1)
	s_xor_b32 s1, exec_lo, s4
	s_cbranch_execz .LBB127_23
; %bb.22:
	v_div_scale_f32 v4, null, v3, v3, v2
	v_div_scale_f32 v7, vcc_lo, v2, v3, v2
	s_delay_alu instid0(VALU_DEP_2) | instskip(SKIP_1) | instid1(TRANS32_DEP_1)
	v_rcp_f32_e32 v5, v4
	v_nop
	v_fma_f32 v6, -v4, v5, 1.0
	s_delay_alu instid0(VALU_DEP_1) | instskip(NEXT) | instid1(VALU_DEP_1)
	v_fmac_f32_e32 v5, v6, v5
	v_mul_f32_e32 v6, v7, v5
	s_delay_alu instid0(VALU_DEP_1) | instskip(NEXT) | instid1(VALU_DEP_1)
	v_fma_f32 v8, -v4, v6, v7
	v_fmac_f32_e32 v6, v8, v5
	s_delay_alu instid0(VALU_DEP_1) | instskip(NEXT) | instid1(VALU_DEP_1)
	v_fma_f32 v4, -v4, v6, v7
	v_div_fmas_f32 v4, v4, v5, v6
	s_delay_alu instid0(VALU_DEP_1) | instskip(NEXT) | instid1(VALU_DEP_1)
	v_div_fixup_f32 v4, v4, v3, v2
	v_fmac_f32_e32 v3, v2, v4
	s_delay_alu instid0(VALU_DEP_1) | instskip(SKIP_1) | instid1(VALU_DEP_2)
	v_div_scale_f32 v2, null, v3, v3, 1.0
	v_div_scale_f32 v7, vcc_lo, 1.0, v3, 1.0
	v_rcp_f32_e32 v5, v2
	v_nop
	s_delay_alu instid0(TRANS32_DEP_1) | instskip(NEXT) | instid1(VALU_DEP_1)
	v_fma_f32 v6, -v2, v5, 1.0
	v_fmac_f32_e32 v5, v6, v5
	s_delay_alu instid0(VALU_DEP_1) | instskip(NEXT) | instid1(VALU_DEP_1)
	v_mul_f32_e32 v6, v7, v5
	v_fma_f32 v8, -v2, v6, v7
	s_delay_alu instid0(VALU_DEP_1) | instskip(NEXT) | instid1(VALU_DEP_1)
	v_fmac_f32_e32 v6, v8, v5
	v_fma_f32 v2, -v2, v6, v7
	s_delay_alu instid0(VALU_DEP_1) | instskip(NEXT) | instid1(VALU_DEP_1)
	v_div_fmas_f32 v2, v2, v5, v6
	v_div_fixup_f32 v2, v2, v3, 1.0
	s_delay_alu instid0(VALU_DEP_1)
	v_mul_f32_e32 v4, v4, v2
	v_xor_b32_e32 v5, 0x80000000, v2
                                        ; implicit-def: $vgpr2_vgpr3
.LBB127_23:
	s_and_not1_saveexec_b32 s1, s1
	s_cbranch_execz .LBB127_25
; %bb.24:
	v_div_scale_f32 v4, null, v2, v2, v3
	v_div_scale_f32 v7, vcc_lo, v3, v2, v3
	s_delay_alu instid0(VALU_DEP_2) | instskip(SKIP_1) | instid1(TRANS32_DEP_1)
	v_rcp_f32_e32 v5, v4
	v_nop
	v_fma_f32 v6, -v4, v5, 1.0
	s_delay_alu instid0(VALU_DEP_1) | instskip(NEXT) | instid1(VALU_DEP_1)
	v_fmac_f32_e32 v5, v6, v5
	v_mul_f32_e32 v6, v7, v5
	s_delay_alu instid0(VALU_DEP_1) | instskip(NEXT) | instid1(VALU_DEP_1)
	v_fma_f32 v8, -v4, v6, v7
	v_fmac_f32_e32 v6, v8, v5
	s_delay_alu instid0(VALU_DEP_1) | instskip(NEXT) | instid1(VALU_DEP_1)
	v_fma_f32 v4, -v4, v6, v7
	v_div_fmas_f32 v4, v4, v5, v6
	s_delay_alu instid0(VALU_DEP_1) | instskip(NEXT) | instid1(VALU_DEP_1)
	v_div_fixup_f32 v5, v4, v2, v3
	v_fmac_f32_e32 v2, v3, v5
	s_delay_alu instid0(VALU_DEP_1) | instskip(NEXT) | instid1(VALU_DEP_1)
	v_div_scale_f32 v3, null, v2, v2, 1.0
	v_rcp_f32_e32 v4, v3
	v_nop
	s_delay_alu instid0(TRANS32_DEP_1) | instskip(NEXT) | instid1(VALU_DEP_1)
	v_fma_f32 v6, -v3, v4, 1.0
	v_fmac_f32_e32 v4, v6, v4
	v_div_scale_f32 v6, vcc_lo, 1.0, v2, 1.0
	s_delay_alu instid0(VALU_DEP_1) | instskip(NEXT) | instid1(VALU_DEP_1)
	v_mul_f32_e32 v7, v6, v4
	v_fma_f32 v8, -v3, v7, v6
	s_delay_alu instid0(VALU_DEP_1) | instskip(NEXT) | instid1(VALU_DEP_1)
	v_fmac_f32_e32 v7, v8, v4
	v_fma_f32 v3, -v3, v7, v6
	s_delay_alu instid0(VALU_DEP_1) | instskip(NEXT) | instid1(VALU_DEP_1)
	v_div_fmas_f32 v3, v3, v4, v7
	v_div_fixup_f32 v4, v3, v2, 1.0
	s_delay_alu instid0(VALU_DEP_1)
	v_mul_f32_e64 v5, v5, -v4
.LBB127_25:
	s_or_b32 exec_lo, exec_lo, s1
	ds_store_b64 v19, v[4:5]
.LBB127_26:
	s_or_b32 exec_lo, exec_lo, s2
	s_wait_dscnt 0x0
	s_barrier_signal -1
	s_barrier_wait -1
	ds_load_b64 v[2:3], v19
	s_mov_b32 s1, exec_lo
	s_wait_dscnt 0x0
	scratch_store_b64 off, v[2:3], off offset:528 ; 8-byte Folded Spill
	s_wait_xcnt 0x0
	v_cmpx_lt_u32_e32 2, v18
	s_cbranch_execz .LBB127_28
; %bb.27:
	scratch_load_b64 v[4:5], off, off offset:528 ; 8-byte Folded Reload
	s_wait_loadcnt 0x0
	v_pk_mul_f32 v[2:3], v[4:5], v[142:143] op_sel:[1,1] op_sel_hi:[0,1]
	s_delay_alu instid0(VALU_DEP_1)
	v_pk_fma_f32 v[8:9], v[4:5], v[142:143], v[2:3] op_sel_hi:[1,0,1] neg_lo:[0,0,1] neg_hi:[0,0,1]
	v_pk_fma_f32 v[10:11], v[4:5], v[142:143], v[2:3] op_sel_hi:[1,0,1]
	ds_load_2addr_b64 v[2:5], v126 offset0:3 offset1:4
	v_dual_mov_b32 v142, v8 :: v_dual_mov_b32 v143, v11
	s_wait_dscnt 0x0
	v_pk_mul_f32 v[6:7], v[2:3], v[10:11] op_sel:[0,1]
	s_delay_alu instid0(VALU_DEP_1) | instskip(SKIP_1) | instid1(VALU_DEP_1)
	v_pk_fma_f32 v[12:13], v[2:3], v[8:9], v[6:7] op_sel:[0,0,1] op_sel_hi:[1,1,0] neg_lo:[0,0,1] neg_hi:[0,0,1]
	v_pk_fma_f32 v[2:3], v[2:3], v[8:9], v[6:7] op_sel:[0,0,1] op_sel_hi:[1,0,0]
	v_mov_b32_e32 v13, v3
	v_pk_mul_f32 v[2:3], v[4:5], v[10:11] op_sel:[0,1]
	s_delay_alu instid0(VALU_DEP_1) | instskip(SKIP_1) | instid1(VALU_DEP_1)
	v_pk_fma_f32 v[6:7], v[4:5], v[8:9], v[2:3] op_sel:[0,0,1] op_sel_hi:[1,1,0] neg_lo:[0,0,1] neg_hi:[0,0,1]
	v_pk_fma_f32 v[2:3], v[4:5], v[8:9], v[2:3] op_sel:[0,0,1] op_sel_hi:[1,0,0]
	v_mov_b32_e32 v7, v3
	ds_load_2addr_b64 v[2:5], v126 offset0:5 offset1:6
	v_pk_add_f32 v[144:145], v[144:145], v[12:13] neg_lo:[0,1] neg_hi:[0,1]
	v_pk_add_f32 v[136:137], v[136:137], v[6:7] neg_lo:[0,1] neg_hi:[0,1]
	s_wait_dscnt 0x0
	v_pk_mul_f32 v[6:7], v[2:3], v[10:11] op_sel:[0,1]
	s_delay_alu instid0(VALU_DEP_1) | instskip(SKIP_2) | instid1(VALU_DEP_2)
	v_pk_fma_f32 v[12:13], v[2:3], v[8:9], v[6:7] op_sel:[0,0,1] op_sel_hi:[1,1,0] neg_lo:[0,0,1] neg_hi:[0,0,1]
	v_pk_fma_f32 v[2:3], v[2:3], v[8:9], v[6:7] op_sel:[0,0,1] op_sel_hi:[1,0,0]
	v_dual_mul_f32 v6, v5, v11 :: v_dual_mov_b32 v2, v5
	v_dual_mov_b32 v13, v3 :: v_dual_mov_b32 v3, v4
	s_delay_alu instid0(VALU_DEP_2) | instskip(SKIP_1) | instid1(VALU_DEP_3)
	v_pk_fma_f32 v[6:7], v[4:5], v[142:143], v[6:7] op_sel_hi:[1,1,0] neg_lo:[0,0,1] neg_hi:[0,0,1]
	v_mul_f32_e32 v4, v5, v8
	v_pk_add_f32 v[132:133], v[132:133], v[12:13] neg_lo:[0,1] neg_hi:[0,1]
	s_delay_alu instid0(VALU_DEP_2) | instskip(NEXT) | instid1(VALU_DEP_1)
	v_pk_fma_f32 v[2:3], v[2:3], v[142:143], v[4:5] op_sel_hi:[1,1,0]
	v_mov_b32_e32 v7, v3
	ds_load_2addr_b64 v[2:5], v126 offset0:7 offset1:8
	v_pk_add_f32 v[134:135], v[134:135], v[6:7] neg_lo:[0,1] neg_hi:[0,1]
	s_wait_dscnt 0x0
	v_pk_mul_f32 v[6:7], v[2:3], v[10:11] op_sel:[0,1]
	s_delay_alu instid0(VALU_DEP_1) | instskip(SKIP_1) | instid1(VALU_DEP_1)
	v_pk_fma_f32 v[12:13], v[2:3], v[8:9], v[6:7] op_sel:[0,0,1] op_sel_hi:[1,1,0] neg_lo:[0,0,1] neg_hi:[0,0,1]
	v_pk_fma_f32 v[2:3], v[2:3], v[8:9], v[6:7] op_sel:[0,0,1] op_sel_hi:[1,0,0]
	v_mov_b32_e32 v13, v3
	v_pk_mul_f32 v[2:3], v[4:5], v[10:11] op_sel:[0,1]
	s_delay_alu instid0(VALU_DEP_1) | instskip(SKIP_1) | instid1(VALU_DEP_1)
	v_pk_fma_f32 v[6:7], v[4:5], v[8:9], v[2:3] op_sel:[0,0,1] op_sel_hi:[1,1,0] neg_lo:[0,0,1] neg_hi:[0,0,1]
	v_pk_fma_f32 v[2:3], v[4:5], v[8:9], v[2:3] op_sel:[0,0,1] op_sel_hi:[1,0,0]
	v_mov_b32_e32 v7, v3
	ds_load_2addr_b64 v[2:5], v126 offset0:9 offset1:10
	v_pk_add_f32 v[130:131], v[130:131], v[12:13] neg_lo:[0,1] neg_hi:[0,1]
	v_pk_add_f32 v[138:139], v[138:139], v[6:7] neg_lo:[0,1] neg_hi:[0,1]
	s_wait_dscnt 0x0
	v_pk_mul_f32 v[6:7], v[2:3], v[10:11] op_sel:[0,1]
	s_delay_alu instid0(VALU_DEP_1) | instskip(SKIP_1) | instid1(VALU_DEP_1)
	v_pk_fma_f32 v[12:13], v[2:3], v[8:9], v[6:7] op_sel:[0,0,1] op_sel_hi:[1,1,0] neg_lo:[0,0,1] neg_hi:[0,0,1]
	v_pk_fma_f32 v[2:3], v[2:3], v[8:9], v[6:7] op_sel:[0,0,1] op_sel_hi:[1,0,0]
	v_mov_b32_e32 v13, v3
	v_pk_mul_f32 v[2:3], v[4:5], v[10:11] op_sel:[0,1]
	s_delay_alu instid0(VALU_DEP_1) | instskip(SKIP_1) | instid1(VALU_DEP_1)
	v_pk_fma_f32 v[6:7], v[4:5], v[8:9], v[2:3] op_sel:[0,0,1] op_sel_hi:[1,1,0] neg_lo:[0,0,1] neg_hi:[0,0,1]
	v_pk_fma_f32 v[2:3], v[4:5], v[8:9], v[2:3] op_sel:[0,0,1] op_sel_hi:[1,0,0]
	v_mov_b32_e32 v7, v3
	ds_load_2addr_b64 v[2:5], v126 offset0:11 offset1:12
	v_pk_add_f32 v[140:141], v[140:141], v[12:13] neg_lo:[0,1] neg_hi:[0,1]
	v_pk_add_f32 v[146:147], v[146:147], v[6:7] neg_lo:[0,1] neg_hi:[0,1]
	s_wait_dscnt 0x0
	v_dual_mul_f32 v6, v3, v11 :: v_dual_mul_f32 v12, v3, v8
	s_delay_alu instid0(VALU_DEP_1) | instskip(NEXT) | instid1(VALU_DEP_2)
	v_pk_fma_f32 v[6:7], v[2:3], v[142:143], v[6:7] op_sel_hi:[1,1,0] neg_lo:[0,0,1] neg_hi:[0,0,1]
	v_pk_fma_f32 v[2:3], v[2:3], v[142:143], v[12:13] op_sel:[1,0,0] op_sel_hi:[0,1,0]
	s_delay_alu instid0(VALU_DEP_1) | instskip(SKIP_1) | instid1(VALU_DEP_2)
	v_mov_b32_e32 v7, v3
	v_pk_mul_f32 v[2:3], v[4:5], v[10:11] op_sel:[0,1]
	v_pk_add_f32 v[152:153], v[152:153], v[6:7] neg_lo:[0,1] neg_hi:[0,1]
	s_delay_alu instid0(VALU_DEP_2) | instskip(SKIP_1) | instid1(VALU_DEP_1)
	v_pk_fma_f32 v[6:7], v[4:5], v[8:9], v[2:3] op_sel:[0,0,1] op_sel_hi:[1,1,0] neg_lo:[0,0,1] neg_hi:[0,0,1]
	v_pk_fma_f32 v[2:3], v[4:5], v[8:9], v[2:3] op_sel:[0,0,1] op_sel_hi:[1,0,0]
	v_mov_b32_e32 v7, v3
	ds_load_2addr_b64 v[2:5], v126 offset0:13 offset1:14
	v_pk_add_f32 v[154:155], v[154:155], v[6:7] neg_lo:[0,1] neg_hi:[0,1]
	s_wait_dscnt 0x0
	v_pk_mul_f32 v[6:7], v[2:3], v[10:11] op_sel:[0,1]
	s_delay_alu instid0(VALU_DEP_1) | instskip(SKIP_1) | instid1(VALU_DEP_1)
	v_pk_fma_f32 v[12:13], v[2:3], v[8:9], v[6:7] op_sel:[0,0,1] op_sel_hi:[1,1,0] neg_lo:[0,0,1] neg_hi:[0,0,1]
	v_pk_fma_f32 v[2:3], v[2:3], v[8:9], v[6:7] op_sel:[0,0,1] op_sel_hi:[1,0,0]
	v_mov_b32_e32 v13, v3
	v_pk_mul_f32 v[2:3], v[4:5], v[10:11] op_sel:[0,1]
	s_delay_alu instid0(VALU_DEP_2) | instskip(NEXT) | instid1(VALU_DEP_2)
	v_pk_add_f32 v[156:157], v[156:157], v[12:13] neg_lo:[0,1] neg_hi:[0,1]
	v_pk_fma_f32 v[6:7], v[4:5], v[8:9], v[2:3] op_sel:[0,0,1] op_sel_hi:[1,1,0] neg_lo:[0,0,1] neg_hi:[0,0,1]
	v_pk_fma_f32 v[2:3], v[4:5], v[8:9], v[2:3] op_sel:[0,0,1] op_sel_hi:[1,0,0]
	s_delay_alu instid0(VALU_DEP_1) | instskip(SKIP_4) | instid1(VALU_DEP_1)
	v_mov_b32_e32 v7, v3
	ds_load_2addr_b64 v[2:5], v126 offset0:15 offset1:16
	v_pk_add_f32 v[158:159], v[158:159], v[6:7] neg_lo:[0,1] neg_hi:[0,1]
	s_wait_dscnt 0x0
	v_pk_mul_f32 v[6:7], v[2:3], v[10:11] op_sel:[0,1]
	v_pk_fma_f32 v[12:13], v[2:3], v[8:9], v[6:7] op_sel:[0,0,1] op_sel_hi:[1,1,0] neg_lo:[0,0,1] neg_hi:[0,0,1]
	v_pk_fma_f32 v[2:3], v[2:3], v[8:9], v[6:7] op_sel:[0,0,1] op_sel_hi:[1,0,0]
	v_dual_mul_f32 v6, v5, v11 :: v_dual_mov_b32 v2, v5
	s_delay_alu instid0(VALU_DEP_2) | instskip(NEXT) | instid1(VALU_DEP_2)
	v_dual_mov_b32 v13, v3 :: v_dual_mov_b32 v3, v4
	v_pk_fma_f32 v[6:7], v[4:5], v[142:143], v[6:7] op_sel_hi:[1,1,0] neg_lo:[0,0,1] neg_hi:[0,0,1]
	v_mul_f32_e32 v4, v5, v8
	s_delay_alu instid0(VALU_DEP_3) | instskip(NEXT) | instid1(VALU_DEP_2)
	v_pk_add_f32 v[160:161], v[160:161], v[12:13] neg_lo:[0,1] neg_hi:[0,1]
	v_pk_fma_f32 v[2:3], v[2:3], v[142:143], v[4:5] op_sel_hi:[1,1,0]
	s_delay_alu instid0(VALU_DEP_1) | instskip(SKIP_4) | instid1(VALU_DEP_1)
	v_mov_b32_e32 v7, v3
	ds_load_2addr_b64 v[2:5], v126 offset0:17 offset1:18
	v_pk_add_f32 v[162:163], v[162:163], v[6:7] neg_lo:[0,1] neg_hi:[0,1]
	s_wait_dscnt 0x0
	v_pk_mul_f32 v[6:7], v[2:3], v[10:11] op_sel:[0,1]
	v_pk_fma_f32 v[12:13], v[2:3], v[8:9], v[6:7] op_sel:[0,0,1] op_sel_hi:[1,1,0] neg_lo:[0,0,1] neg_hi:[0,0,1]
	v_pk_fma_f32 v[2:3], v[2:3], v[8:9], v[6:7] op_sel:[0,0,1] op_sel_hi:[1,0,0]
	s_delay_alu instid0(VALU_DEP_1) | instskip(SKIP_1) | instid1(VALU_DEP_1)
	v_mov_b32_e32 v13, v3
	v_pk_mul_f32 v[2:3], v[4:5], v[10:11] op_sel:[0,1]
	v_pk_fma_f32 v[6:7], v[4:5], v[8:9], v[2:3] op_sel:[0,0,1] op_sel_hi:[1,1,0] neg_lo:[0,0,1] neg_hi:[0,0,1]
	v_pk_fma_f32 v[2:3], v[4:5], v[8:9], v[2:3] op_sel:[0,0,1] op_sel_hi:[1,0,0]
	s_delay_alu instid0(VALU_DEP_1)
	v_mov_b32_e32 v7, v3
	ds_load_2addr_b64 v[2:5], v126 offset0:19 offset1:20
	v_pk_add_f32 v[164:165], v[164:165], v[12:13] neg_lo:[0,1] neg_hi:[0,1]
	v_pk_add_f32 v[166:167], v[166:167], v[6:7] neg_lo:[0,1] neg_hi:[0,1]
	s_wait_dscnt 0x0
	v_pk_mul_f32 v[6:7], v[2:3], v[10:11] op_sel:[0,1]
	s_delay_alu instid0(VALU_DEP_1) | instskip(SKIP_1) | instid1(VALU_DEP_1)
	v_pk_fma_f32 v[12:13], v[2:3], v[8:9], v[6:7] op_sel:[0,0,1] op_sel_hi:[1,1,0] neg_lo:[0,0,1] neg_hi:[0,0,1]
	v_pk_fma_f32 v[2:3], v[2:3], v[8:9], v[6:7] op_sel:[0,0,1] op_sel_hi:[1,0,0]
	v_mov_b32_e32 v13, v3
	v_pk_mul_f32 v[2:3], v[4:5], v[10:11] op_sel:[0,1]
	s_delay_alu instid0(VALU_DEP_1) | instskip(SKIP_1) | instid1(VALU_DEP_1)
	v_pk_fma_f32 v[6:7], v[4:5], v[8:9], v[2:3] op_sel:[0,0,1] op_sel_hi:[1,1,0] neg_lo:[0,0,1] neg_hi:[0,0,1]
	v_pk_fma_f32 v[2:3], v[4:5], v[8:9], v[2:3] op_sel:[0,0,1] op_sel_hi:[1,0,0]
	v_mov_b32_e32 v7, v3
	ds_load_2addr_b64 v[2:5], v126 offset0:21 offset1:22
	v_pk_add_f32 v[168:169], v[168:169], v[12:13] neg_lo:[0,1] neg_hi:[0,1]
	v_pk_add_f32 v[170:171], v[170:171], v[6:7] neg_lo:[0,1] neg_hi:[0,1]
	s_wait_dscnt 0x0
	v_dual_mul_f32 v6, v3, v11 :: v_dual_mul_f32 v12, v3, v8
	s_delay_alu instid0(VALU_DEP_1) | instskip(NEXT) | instid1(VALU_DEP_2)
	v_pk_fma_f32 v[6:7], v[2:3], v[142:143], v[6:7] op_sel_hi:[1,1,0] neg_lo:[0,0,1] neg_hi:[0,0,1]
	v_pk_fma_f32 v[2:3], v[2:3], v[142:143], v[12:13] op_sel:[1,0,0] op_sel_hi:[0,1,0]
	s_delay_alu instid0(VALU_DEP_1) | instskip(SKIP_1) | instid1(VALU_DEP_2)
	v_mov_b32_e32 v7, v3
	v_pk_mul_f32 v[2:3], v[4:5], v[10:11] op_sel:[0,1]
	v_pk_add_f32 v[172:173], v[172:173], v[6:7] neg_lo:[0,1] neg_hi:[0,1]
	s_delay_alu instid0(VALU_DEP_2) | instskip(SKIP_1) | instid1(VALU_DEP_1)
	v_pk_fma_f32 v[6:7], v[4:5], v[8:9], v[2:3] op_sel:[0,0,1] op_sel_hi:[1,1,0] neg_lo:[0,0,1] neg_hi:[0,0,1]
	v_pk_fma_f32 v[2:3], v[4:5], v[8:9], v[2:3] op_sel:[0,0,1] op_sel_hi:[1,0,0]
	v_mov_b32_e32 v7, v3
	ds_load_2addr_b64 v[2:5], v126 offset0:23 offset1:24
	v_pk_add_f32 v[174:175], v[174:175], v[6:7] neg_lo:[0,1] neg_hi:[0,1]
	s_wait_dscnt 0x0
	v_pk_mul_f32 v[6:7], v[2:3], v[10:11] op_sel:[0,1]
	s_delay_alu instid0(VALU_DEP_1) | instskip(SKIP_1) | instid1(VALU_DEP_1)
	v_pk_fma_f32 v[12:13], v[2:3], v[8:9], v[6:7] op_sel:[0,0,1] op_sel_hi:[1,1,0] neg_lo:[0,0,1] neg_hi:[0,0,1]
	v_pk_fma_f32 v[2:3], v[2:3], v[8:9], v[6:7] op_sel:[0,0,1] op_sel_hi:[1,0,0]
	v_mov_b32_e32 v13, v3
	v_pk_mul_f32 v[2:3], v[4:5], v[10:11] op_sel:[0,1]
	s_delay_alu instid0(VALU_DEP_2) | instskip(NEXT) | instid1(VALU_DEP_2)
	v_pk_add_f32 v[176:177], v[176:177], v[12:13] neg_lo:[0,1] neg_hi:[0,1]
	v_pk_fma_f32 v[6:7], v[4:5], v[8:9], v[2:3] op_sel:[0,0,1] op_sel_hi:[1,1,0] neg_lo:[0,0,1] neg_hi:[0,0,1]
	v_pk_fma_f32 v[2:3], v[4:5], v[8:9], v[2:3] op_sel:[0,0,1] op_sel_hi:[1,0,0]
	s_delay_alu instid0(VALU_DEP_1) | instskip(SKIP_4) | instid1(VALU_DEP_1)
	v_mov_b32_e32 v7, v3
	ds_load_2addr_b64 v[2:5], v126 offset0:25 offset1:26
	v_pk_add_f32 v[178:179], v[178:179], v[6:7] neg_lo:[0,1] neg_hi:[0,1]
	s_wait_dscnt 0x0
	v_pk_mul_f32 v[6:7], v[2:3], v[10:11] op_sel:[0,1]
	v_pk_fma_f32 v[12:13], v[2:3], v[8:9], v[6:7] op_sel:[0,0,1] op_sel_hi:[1,1,0] neg_lo:[0,0,1] neg_hi:[0,0,1]
	v_pk_fma_f32 v[2:3], v[2:3], v[8:9], v[6:7] op_sel:[0,0,1] op_sel_hi:[1,0,0]
	v_dual_mul_f32 v6, v5, v11 :: v_dual_mov_b32 v2, v5
	s_delay_alu instid0(VALU_DEP_2) | instskip(NEXT) | instid1(VALU_DEP_2)
	v_dual_mov_b32 v13, v3 :: v_dual_mov_b32 v3, v4
	v_pk_fma_f32 v[6:7], v[4:5], v[142:143], v[6:7] op_sel_hi:[1,1,0] neg_lo:[0,0,1] neg_hi:[0,0,1]
	v_mul_f32_e32 v4, v5, v8
	s_delay_alu instid0(VALU_DEP_3) | instskip(NEXT) | instid1(VALU_DEP_2)
	v_pk_add_f32 v[180:181], v[180:181], v[12:13] neg_lo:[0,1] neg_hi:[0,1]
	v_pk_fma_f32 v[2:3], v[2:3], v[142:143], v[4:5] op_sel_hi:[1,1,0]
	s_delay_alu instid0(VALU_DEP_1) | instskip(SKIP_4) | instid1(VALU_DEP_1)
	v_mov_b32_e32 v7, v3
	ds_load_2addr_b64 v[2:5], v126 offset0:27 offset1:28
	v_pk_add_f32 v[182:183], v[182:183], v[6:7] neg_lo:[0,1] neg_hi:[0,1]
	s_wait_dscnt 0x0
	v_pk_mul_f32 v[6:7], v[2:3], v[10:11] op_sel:[0,1]
	v_pk_fma_f32 v[12:13], v[2:3], v[8:9], v[6:7] op_sel:[0,0,1] op_sel_hi:[1,1,0] neg_lo:[0,0,1] neg_hi:[0,0,1]
	v_pk_fma_f32 v[2:3], v[2:3], v[8:9], v[6:7] op_sel:[0,0,1] op_sel_hi:[1,0,0]
	s_delay_alu instid0(VALU_DEP_1) | instskip(SKIP_1) | instid1(VALU_DEP_1)
	v_mov_b32_e32 v13, v3
	v_pk_mul_f32 v[2:3], v[4:5], v[10:11] op_sel:[0,1]
	v_pk_fma_f32 v[6:7], v[4:5], v[8:9], v[2:3] op_sel:[0,0,1] op_sel_hi:[1,1,0] neg_lo:[0,0,1] neg_hi:[0,0,1]
	v_pk_fma_f32 v[2:3], v[4:5], v[8:9], v[2:3] op_sel:[0,0,1] op_sel_hi:[1,0,0]
	s_delay_alu instid0(VALU_DEP_1)
	v_mov_b32_e32 v7, v3
	ds_load_2addr_b64 v[2:5], v126 offset0:29 offset1:30
	v_pk_add_f32 v[184:185], v[184:185], v[12:13] neg_lo:[0,1] neg_hi:[0,1]
	v_pk_add_f32 v[186:187], v[186:187], v[6:7] neg_lo:[0,1] neg_hi:[0,1]
	s_wait_dscnt 0x0
	v_pk_mul_f32 v[6:7], v[2:3], v[10:11] op_sel:[0,1]
	s_delay_alu instid0(VALU_DEP_1) | instskip(SKIP_1) | instid1(VALU_DEP_1)
	v_pk_fma_f32 v[12:13], v[2:3], v[8:9], v[6:7] op_sel:[0,0,1] op_sel_hi:[1,1,0] neg_lo:[0,0,1] neg_hi:[0,0,1]
	v_pk_fma_f32 v[2:3], v[2:3], v[8:9], v[6:7] op_sel:[0,0,1] op_sel_hi:[1,0,0]
	v_mov_b32_e32 v13, v3
	v_pk_mul_f32 v[2:3], v[4:5], v[10:11] op_sel:[0,1]
	s_delay_alu instid0(VALU_DEP_1) | instskip(SKIP_1) | instid1(VALU_DEP_1)
	v_pk_fma_f32 v[6:7], v[4:5], v[8:9], v[2:3] op_sel:[0,0,1] op_sel_hi:[1,1,0] neg_lo:[0,0,1] neg_hi:[0,0,1]
	v_pk_fma_f32 v[2:3], v[4:5], v[8:9], v[2:3] op_sel:[0,0,1] op_sel_hi:[1,0,0]
	v_mov_b32_e32 v7, v3
	ds_load_2addr_b64 v[2:5], v126 offset0:31 offset1:32
	v_pk_add_f32 v[188:189], v[188:189], v[12:13] neg_lo:[0,1] neg_hi:[0,1]
	v_pk_add_f32 v[190:191], v[190:191], v[6:7] neg_lo:[0,1] neg_hi:[0,1]
	s_wait_dscnt 0x0
	v_dual_mul_f32 v6, v3, v11 :: v_dual_mul_f32 v12, v3, v8
	s_delay_alu instid0(VALU_DEP_1) | instskip(NEXT) | instid1(VALU_DEP_2)
	v_pk_fma_f32 v[6:7], v[2:3], v[142:143], v[6:7] op_sel_hi:[1,1,0] neg_lo:[0,0,1] neg_hi:[0,0,1]
	v_pk_fma_f32 v[2:3], v[2:3], v[142:143], v[12:13] op_sel:[1,0,0] op_sel_hi:[0,1,0]
	s_delay_alu instid0(VALU_DEP_1) | instskip(SKIP_1) | instid1(VALU_DEP_2)
	v_mov_b32_e32 v7, v3
	v_pk_mul_f32 v[2:3], v[4:5], v[10:11] op_sel:[0,1]
	v_pk_add_f32 v[192:193], v[192:193], v[6:7] neg_lo:[0,1] neg_hi:[0,1]
	s_delay_alu instid0(VALU_DEP_2) | instskip(SKIP_1) | instid1(VALU_DEP_1)
	v_pk_fma_f32 v[6:7], v[4:5], v[8:9], v[2:3] op_sel:[0,0,1] op_sel_hi:[1,1,0] neg_lo:[0,0,1] neg_hi:[0,0,1]
	v_pk_fma_f32 v[2:3], v[4:5], v[8:9], v[2:3] op_sel:[0,0,1] op_sel_hi:[1,0,0]
	v_mov_b32_e32 v7, v3
	ds_load_2addr_b64 v[2:5], v126 offset0:33 offset1:34
	v_pk_add_f32 v[194:195], v[194:195], v[6:7] neg_lo:[0,1] neg_hi:[0,1]
	s_wait_dscnt 0x0
	v_pk_mul_f32 v[6:7], v[2:3], v[10:11] op_sel:[0,1]
	s_delay_alu instid0(VALU_DEP_1) | instskip(SKIP_1) | instid1(VALU_DEP_1)
	v_pk_fma_f32 v[12:13], v[2:3], v[8:9], v[6:7] op_sel:[0,0,1] op_sel_hi:[1,1,0] neg_lo:[0,0,1] neg_hi:[0,0,1]
	v_pk_fma_f32 v[2:3], v[2:3], v[8:9], v[6:7] op_sel:[0,0,1] op_sel_hi:[1,0,0]
	v_mov_b32_e32 v13, v3
	v_pk_mul_f32 v[2:3], v[4:5], v[10:11] op_sel:[0,1]
	s_delay_alu instid0(VALU_DEP_2) | instskip(NEXT) | instid1(VALU_DEP_2)
	v_pk_add_f32 v[196:197], v[196:197], v[12:13] neg_lo:[0,1] neg_hi:[0,1]
	v_pk_fma_f32 v[6:7], v[4:5], v[8:9], v[2:3] op_sel:[0,0,1] op_sel_hi:[1,1,0] neg_lo:[0,0,1] neg_hi:[0,0,1]
	v_pk_fma_f32 v[2:3], v[4:5], v[8:9], v[2:3] op_sel:[0,0,1] op_sel_hi:[1,0,0]
	s_delay_alu instid0(VALU_DEP_1) | instskip(SKIP_4) | instid1(VALU_DEP_1)
	v_mov_b32_e32 v7, v3
	ds_load_2addr_b64 v[2:5], v126 offset0:35 offset1:36
	v_pk_add_f32 v[198:199], v[198:199], v[6:7] neg_lo:[0,1] neg_hi:[0,1]
	s_wait_dscnt 0x0
	v_pk_mul_f32 v[6:7], v[2:3], v[10:11] op_sel:[0,1]
	v_pk_fma_f32 v[12:13], v[2:3], v[8:9], v[6:7] op_sel:[0,0,1] op_sel_hi:[1,1,0] neg_lo:[0,0,1] neg_hi:[0,0,1]
	v_pk_fma_f32 v[2:3], v[2:3], v[8:9], v[6:7] op_sel:[0,0,1] op_sel_hi:[1,0,0]
	v_dual_mul_f32 v6, v5, v11 :: v_dual_mov_b32 v2, v5
	s_delay_alu instid0(VALU_DEP_2) | instskip(NEXT) | instid1(VALU_DEP_2)
	v_dual_mov_b32 v13, v3 :: v_dual_mov_b32 v3, v4
	v_pk_fma_f32 v[6:7], v[4:5], v[142:143], v[6:7] op_sel_hi:[1,1,0] neg_lo:[0,0,1] neg_hi:[0,0,1]
	v_mul_f32_e32 v4, v5, v8
	s_delay_alu instid0(VALU_DEP_3) | instskip(NEXT) | instid1(VALU_DEP_2)
	v_pk_add_f32 v[200:201], v[200:201], v[12:13] neg_lo:[0,1] neg_hi:[0,1]
	v_pk_fma_f32 v[2:3], v[2:3], v[142:143], v[4:5] op_sel_hi:[1,1,0]
	s_delay_alu instid0(VALU_DEP_1) | instskip(SKIP_4) | instid1(VALU_DEP_1)
	v_mov_b32_e32 v7, v3
	ds_load_2addr_b64 v[2:5], v126 offset0:37 offset1:38
	v_pk_add_f32 v[202:203], v[202:203], v[6:7] neg_lo:[0,1] neg_hi:[0,1]
	s_wait_dscnt 0x0
	v_pk_mul_f32 v[6:7], v[2:3], v[10:11] op_sel:[0,1]
	v_pk_fma_f32 v[12:13], v[2:3], v[8:9], v[6:7] op_sel:[0,0,1] op_sel_hi:[1,1,0] neg_lo:[0,0,1] neg_hi:[0,0,1]
	v_pk_fma_f32 v[2:3], v[2:3], v[8:9], v[6:7] op_sel:[0,0,1] op_sel_hi:[1,0,0]
	s_delay_alu instid0(VALU_DEP_1) | instskip(SKIP_1) | instid1(VALU_DEP_1)
	v_mov_b32_e32 v13, v3
	v_pk_mul_f32 v[2:3], v[4:5], v[10:11] op_sel:[0,1]
	v_pk_fma_f32 v[6:7], v[4:5], v[8:9], v[2:3] op_sel:[0,0,1] op_sel_hi:[1,1,0] neg_lo:[0,0,1] neg_hi:[0,0,1]
	v_pk_fma_f32 v[2:3], v[4:5], v[8:9], v[2:3] op_sel:[0,0,1] op_sel_hi:[1,0,0]
	s_delay_alu instid0(VALU_DEP_1)
	v_mov_b32_e32 v7, v3
	ds_load_2addr_b64 v[2:5], v126 offset0:39 offset1:40
	v_pk_add_f32 v[204:205], v[204:205], v[12:13] neg_lo:[0,1] neg_hi:[0,1]
	v_pk_add_f32 v[206:207], v[206:207], v[6:7] neg_lo:[0,1] neg_hi:[0,1]
	s_wait_dscnt 0x0
	v_pk_mul_f32 v[6:7], v[2:3], v[10:11] op_sel:[0,1]
	s_delay_alu instid0(VALU_DEP_1) | instskip(SKIP_1) | instid1(VALU_DEP_1)
	v_pk_fma_f32 v[12:13], v[2:3], v[8:9], v[6:7] op_sel:[0,0,1] op_sel_hi:[1,1,0] neg_lo:[0,0,1] neg_hi:[0,0,1]
	v_pk_fma_f32 v[2:3], v[2:3], v[8:9], v[6:7] op_sel:[0,0,1] op_sel_hi:[1,0,0]
	v_mov_b32_e32 v13, v3
	v_pk_mul_f32 v[2:3], v[4:5], v[10:11] op_sel:[0,1]
	s_delay_alu instid0(VALU_DEP_1) | instskip(SKIP_1) | instid1(VALU_DEP_1)
	v_pk_fma_f32 v[6:7], v[4:5], v[8:9], v[2:3] op_sel:[0,0,1] op_sel_hi:[1,1,0] neg_lo:[0,0,1] neg_hi:[0,0,1]
	v_pk_fma_f32 v[2:3], v[4:5], v[8:9], v[2:3] op_sel:[0,0,1] op_sel_hi:[1,0,0]
	v_mov_b32_e32 v7, v3
	ds_load_2addr_b64 v[2:5], v126 offset0:41 offset1:42
	v_pk_add_f32 v[208:209], v[208:209], v[12:13] neg_lo:[0,1] neg_hi:[0,1]
	v_pk_add_f32 v[210:211], v[210:211], v[6:7] neg_lo:[0,1] neg_hi:[0,1]
	s_wait_dscnt 0x0
	v_dual_mul_f32 v6, v3, v11 :: v_dual_mul_f32 v12, v3, v8
	s_delay_alu instid0(VALU_DEP_1) | instskip(NEXT) | instid1(VALU_DEP_2)
	v_pk_fma_f32 v[6:7], v[2:3], v[142:143], v[6:7] op_sel_hi:[1,1,0] neg_lo:[0,0,1] neg_hi:[0,0,1]
	v_pk_fma_f32 v[2:3], v[2:3], v[142:143], v[12:13] op_sel:[1,0,0] op_sel_hi:[0,1,0]
	s_delay_alu instid0(VALU_DEP_1) | instskip(SKIP_1) | instid1(VALU_DEP_2)
	v_mov_b32_e32 v7, v3
	v_pk_mul_f32 v[2:3], v[4:5], v[10:11] op_sel:[0,1]
	v_pk_add_f32 v[212:213], v[212:213], v[6:7] neg_lo:[0,1] neg_hi:[0,1]
	s_delay_alu instid0(VALU_DEP_2) | instskip(SKIP_1) | instid1(VALU_DEP_1)
	v_pk_fma_f32 v[6:7], v[4:5], v[8:9], v[2:3] op_sel:[0,0,1] op_sel_hi:[1,1,0] neg_lo:[0,0,1] neg_hi:[0,0,1]
	v_pk_fma_f32 v[2:3], v[4:5], v[8:9], v[2:3] op_sel:[0,0,1] op_sel_hi:[1,0,0]
	v_mov_b32_e32 v7, v3
	ds_load_2addr_b64 v[2:5], v126 offset0:43 offset1:44
	v_pk_add_f32 v[214:215], v[214:215], v[6:7] neg_lo:[0,1] neg_hi:[0,1]
	s_wait_dscnt 0x0
	v_pk_mul_f32 v[6:7], v[2:3], v[10:11] op_sel:[0,1]
	s_delay_alu instid0(VALU_DEP_1) | instskip(SKIP_1) | instid1(VALU_DEP_1)
	v_pk_fma_f32 v[12:13], v[2:3], v[8:9], v[6:7] op_sel:[0,0,1] op_sel_hi:[1,1,0] neg_lo:[0,0,1] neg_hi:[0,0,1]
	v_pk_fma_f32 v[2:3], v[2:3], v[8:9], v[6:7] op_sel:[0,0,1] op_sel_hi:[1,0,0]
	v_mov_b32_e32 v13, v3
	v_pk_mul_f32 v[2:3], v[4:5], v[10:11] op_sel:[0,1]
	s_delay_alu instid0(VALU_DEP_2) | instskip(NEXT) | instid1(VALU_DEP_2)
	v_pk_add_f32 v[216:217], v[216:217], v[12:13] neg_lo:[0,1] neg_hi:[0,1]
	v_pk_fma_f32 v[6:7], v[4:5], v[8:9], v[2:3] op_sel:[0,0,1] op_sel_hi:[1,1,0] neg_lo:[0,0,1] neg_hi:[0,0,1]
	v_pk_fma_f32 v[2:3], v[4:5], v[8:9], v[2:3] op_sel:[0,0,1] op_sel_hi:[1,0,0]
	s_delay_alu instid0(VALU_DEP_1) | instskip(SKIP_4) | instid1(VALU_DEP_1)
	v_mov_b32_e32 v7, v3
	ds_load_2addr_b64 v[2:5], v126 offset0:45 offset1:46
	v_pk_add_f32 v[218:219], v[218:219], v[6:7] neg_lo:[0,1] neg_hi:[0,1]
	s_wait_dscnt 0x0
	v_pk_mul_f32 v[6:7], v[2:3], v[10:11] op_sel:[0,1]
	v_pk_fma_f32 v[12:13], v[2:3], v[8:9], v[6:7] op_sel:[0,0,1] op_sel_hi:[1,1,0] neg_lo:[0,0,1] neg_hi:[0,0,1]
	v_pk_fma_f32 v[2:3], v[2:3], v[8:9], v[6:7] op_sel:[0,0,1] op_sel_hi:[1,0,0]
	v_dual_mul_f32 v6, v5, v11 :: v_dual_mov_b32 v2, v5
	s_delay_alu instid0(VALU_DEP_2) | instskip(NEXT) | instid1(VALU_DEP_2)
	v_dual_mov_b32 v13, v3 :: v_dual_mov_b32 v3, v4
	v_pk_fma_f32 v[6:7], v[4:5], v[142:143], v[6:7] op_sel_hi:[1,1,0] neg_lo:[0,0,1] neg_hi:[0,0,1]
	v_mul_f32_e32 v4, v5, v8
	s_delay_alu instid0(VALU_DEP_3) | instskip(NEXT) | instid1(VALU_DEP_2)
	v_pk_add_f32 v[220:221], v[220:221], v[12:13] neg_lo:[0,1] neg_hi:[0,1]
	v_pk_fma_f32 v[2:3], v[2:3], v[142:143], v[4:5] op_sel_hi:[1,1,0]
	s_delay_alu instid0(VALU_DEP_1) | instskip(SKIP_4) | instid1(VALU_DEP_1)
	v_mov_b32_e32 v7, v3
	ds_load_2addr_b64 v[2:5], v126 offset0:47 offset1:48
	v_pk_add_f32 v[222:223], v[222:223], v[6:7] neg_lo:[0,1] neg_hi:[0,1]
	s_wait_dscnt 0x0
	v_pk_mul_f32 v[6:7], v[2:3], v[10:11] op_sel:[0,1]
	v_pk_fma_f32 v[12:13], v[2:3], v[8:9], v[6:7] op_sel:[0,0,1] op_sel_hi:[1,1,0] neg_lo:[0,0,1] neg_hi:[0,0,1]
	v_pk_fma_f32 v[2:3], v[2:3], v[8:9], v[6:7] op_sel:[0,0,1] op_sel_hi:[1,0,0]
	s_delay_alu instid0(VALU_DEP_1) | instskip(SKIP_1) | instid1(VALU_DEP_1)
	v_mov_b32_e32 v13, v3
	v_pk_mul_f32 v[2:3], v[4:5], v[10:11] op_sel:[0,1]
	v_pk_fma_f32 v[6:7], v[4:5], v[8:9], v[2:3] op_sel:[0,0,1] op_sel_hi:[1,1,0] neg_lo:[0,0,1] neg_hi:[0,0,1]
	v_pk_fma_f32 v[2:3], v[4:5], v[8:9], v[2:3] op_sel:[0,0,1] op_sel_hi:[1,0,0]
	s_delay_alu instid0(VALU_DEP_1)
	v_mov_b32_e32 v7, v3
	ds_load_2addr_b64 v[2:5], v126 offset0:49 offset1:50
	v_pk_add_f32 v[224:225], v[224:225], v[12:13] neg_lo:[0,1] neg_hi:[0,1]
	v_pk_add_f32 v[226:227], v[226:227], v[6:7] neg_lo:[0,1] neg_hi:[0,1]
	s_wait_dscnt 0x0
	v_pk_mul_f32 v[6:7], v[2:3], v[10:11] op_sel:[0,1]
	s_delay_alu instid0(VALU_DEP_1) | instskip(SKIP_1) | instid1(VALU_DEP_1)
	v_pk_fma_f32 v[12:13], v[2:3], v[8:9], v[6:7] op_sel:[0,0,1] op_sel_hi:[1,1,0] neg_lo:[0,0,1] neg_hi:[0,0,1]
	v_pk_fma_f32 v[2:3], v[2:3], v[8:9], v[6:7] op_sel:[0,0,1] op_sel_hi:[1,0,0]
	v_mov_b32_e32 v13, v3
	v_pk_mul_f32 v[2:3], v[4:5], v[10:11] op_sel:[0,1]
	s_delay_alu instid0(VALU_DEP_1) | instskip(SKIP_1) | instid1(VALU_DEP_1)
	v_pk_fma_f32 v[6:7], v[4:5], v[8:9], v[2:3] op_sel:[0,0,1] op_sel_hi:[1,1,0] neg_lo:[0,0,1] neg_hi:[0,0,1]
	v_pk_fma_f32 v[2:3], v[4:5], v[8:9], v[2:3] op_sel:[0,0,1] op_sel_hi:[1,0,0]
	v_mov_b32_e32 v7, v3
	ds_load_2addr_b64 v[2:5], v126 offset0:51 offset1:52
	v_pk_add_f32 v[228:229], v[228:229], v[12:13] neg_lo:[0,1] neg_hi:[0,1]
	v_pk_add_f32 v[230:231], v[230:231], v[6:7] neg_lo:[0,1] neg_hi:[0,1]
	s_wait_dscnt 0x0
	v_dual_mul_f32 v6, v3, v11 :: v_dual_mul_f32 v12, v3, v8
	s_delay_alu instid0(VALU_DEP_1) | instskip(NEXT) | instid1(VALU_DEP_2)
	v_pk_fma_f32 v[6:7], v[2:3], v[142:143], v[6:7] op_sel_hi:[1,1,0] neg_lo:[0,0,1] neg_hi:[0,0,1]
	v_pk_fma_f32 v[2:3], v[2:3], v[142:143], v[12:13] op_sel:[1,0,0] op_sel_hi:[0,1,0]
	s_delay_alu instid0(VALU_DEP_1) | instskip(SKIP_1) | instid1(VALU_DEP_2)
	v_mov_b32_e32 v7, v3
	v_pk_mul_f32 v[2:3], v[4:5], v[10:11] op_sel:[0,1]
	v_pk_add_f32 v[232:233], v[232:233], v[6:7] neg_lo:[0,1] neg_hi:[0,1]
	s_delay_alu instid0(VALU_DEP_2) | instskip(SKIP_1) | instid1(VALU_DEP_1)
	v_pk_fma_f32 v[6:7], v[4:5], v[8:9], v[2:3] op_sel:[0,0,1] op_sel_hi:[1,1,0] neg_lo:[0,0,1] neg_hi:[0,0,1]
	v_pk_fma_f32 v[2:3], v[4:5], v[8:9], v[2:3] op_sel:[0,0,1] op_sel_hi:[1,0,0]
	v_mov_b32_e32 v7, v3
	ds_load_2addr_b64 v[2:5], v126 offset0:53 offset1:54
	v_pk_add_f32 v[234:235], v[234:235], v[6:7] neg_lo:[0,1] neg_hi:[0,1]
	s_wait_dscnt 0x0
	v_pk_mul_f32 v[6:7], v[2:3], v[10:11] op_sel:[0,1]
	s_delay_alu instid0(VALU_DEP_1) | instskip(SKIP_1) | instid1(VALU_DEP_1)
	v_pk_fma_f32 v[12:13], v[2:3], v[8:9], v[6:7] op_sel:[0,0,1] op_sel_hi:[1,1,0] neg_lo:[0,0,1] neg_hi:[0,0,1]
	v_pk_fma_f32 v[2:3], v[2:3], v[8:9], v[6:7] op_sel:[0,0,1] op_sel_hi:[1,0,0]
	v_mov_b32_e32 v13, v3
	v_pk_mul_f32 v[2:3], v[4:5], v[10:11] op_sel:[0,1]
	s_delay_alu instid0(VALU_DEP_2) | instskip(NEXT) | instid1(VALU_DEP_2)
	v_pk_add_f32 v[236:237], v[236:237], v[12:13] neg_lo:[0,1] neg_hi:[0,1]
	v_pk_fma_f32 v[6:7], v[4:5], v[8:9], v[2:3] op_sel:[0,0,1] op_sel_hi:[1,1,0] neg_lo:[0,0,1] neg_hi:[0,0,1]
	v_pk_fma_f32 v[2:3], v[4:5], v[8:9], v[2:3] op_sel:[0,0,1] op_sel_hi:[1,0,0]
	s_delay_alu instid0(VALU_DEP_1) | instskip(SKIP_4) | instid1(VALU_DEP_1)
	v_mov_b32_e32 v7, v3
	ds_load_2addr_b64 v[2:5], v126 offset0:55 offset1:56
	v_pk_add_f32 v[238:239], v[238:239], v[6:7] neg_lo:[0,1] neg_hi:[0,1]
	s_wait_dscnt 0x0
	v_pk_mul_f32 v[6:7], v[2:3], v[10:11] op_sel:[0,1]
	v_pk_fma_f32 v[12:13], v[2:3], v[8:9], v[6:7] op_sel:[0,0,1] op_sel_hi:[1,1,0] neg_lo:[0,0,1] neg_hi:[0,0,1]
	v_pk_fma_f32 v[2:3], v[2:3], v[8:9], v[6:7] op_sel:[0,0,1] op_sel_hi:[1,0,0]
	v_dual_mul_f32 v6, v5, v11 :: v_dual_mov_b32 v2, v5
	s_delay_alu instid0(VALU_DEP_2) | instskip(NEXT) | instid1(VALU_DEP_2)
	v_dual_mov_b32 v13, v3 :: v_dual_mov_b32 v3, v4
	v_pk_fma_f32 v[6:7], v[4:5], v[142:143], v[6:7] op_sel_hi:[1,1,0] neg_lo:[0,0,1] neg_hi:[0,0,1]
	v_mul_f32_e32 v4, v5, v8
	s_delay_alu instid0(VALU_DEP_3) | instskip(NEXT) | instid1(VALU_DEP_2)
	v_pk_add_f32 v[240:241], v[240:241], v[12:13] neg_lo:[0,1] neg_hi:[0,1]
	v_pk_fma_f32 v[2:3], v[2:3], v[142:143], v[4:5] op_sel_hi:[1,1,0]
	s_delay_alu instid0(VALU_DEP_1) | instskip(SKIP_4) | instid1(VALU_DEP_1)
	v_mov_b32_e32 v7, v3
	ds_load_2addr_b64 v[2:5], v126 offset0:57 offset1:58
	v_pk_add_f32 v[252:253], v[252:253], v[6:7] neg_lo:[0,1] neg_hi:[0,1]
	s_wait_dscnt 0x0
	v_pk_mul_f32 v[6:7], v[2:3], v[10:11] op_sel:[0,1]
	v_pk_fma_f32 v[12:13], v[2:3], v[8:9], v[6:7] op_sel:[0,0,1] op_sel_hi:[1,1,0] neg_lo:[0,0,1] neg_hi:[0,0,1]
	v_pk_fma_f32 v[2:3], v[2:3], v[8:9], v[6:7] op_sel:[0,0,1] op_sel_hi:[1,0,0]
	s_delay_alu instid0(VALU_DEP_1) | instskip(SKIP_1) | instid1(VALU_DEP_1)
	v_mov_b32_e32 v13, v3
	v_pk_mul_f32 v[2:3], v[4:5], v[10:11] op_sel:[0,1]
	v_pk_fma_f32 v[6:7], v[4:5], v[8:9], v[2:3] op_sel:[0,0,1] op_sel_hi:[1,1,0] neg_lo:[0,0,1] neg_hi:[0,0,1]
	v_pk_fma_f32 v[2:3], v[4:5], v[8:9], v[2:3] op_sel:[0,0,1] op_sel_hi:[1,0,0]
	s_delay_alu instid0(VALU_DEP_1)
	v_mov_b32_e32 v7, v3
	ds_load_2addr_b64 v[2:5], v126 offset0:59 offset1:60
	v_pk_add_f32 v[246:247], v[246:247], v[12:13] neg_lo:[0,1] neg_hi:[0,1]
	v_pk_add_f32 v[250:251], v[250:251], v[6:7] neg_lo:[0,1] neg_hi:[0,1]
	s_wait_dscnt 0x0
	v_pk_mul_f32 v[6:7], v[2:3], v[10:11] op_sel:[0,1]
	s_delay_alu instid0(VALU_DEP_1) | instskip(SKIP_1) | instid1(VALU_DEP_1)
	v_pk_fma_f32 v[12:13], v[2:3], v[8:9], v[6:7] op_sel:[0,0,1] op_sel_hi:[1,1,0] neg_lo:[0,0,1] neg_hi:[0,0,1]
	v_pk_fma_f32 v[2:3], v[2:3], v[8:9], v[6:7] op_sel:[0,0,1] op_sel_hi:[1,0,0]
	v_mov_b32_e32 v13, v3
	v_pk_mul_f32 v[2:3], v[4:5], v[10:11] op_sel:[0,1]
	s_delay_alu instid0(VALU_DEP_1) | instskip(SKIP_1) | instid1(VALU_DEP_1)
	v_pk_fma_f32 v[6:7], v[4:5], v[8:9], v[2:3] op_sel:[0,0,1] op_sel_hi:[1,1,0] neg_lo:[0,0,1] neg_hi:[0,0,1]
	v_pk_fma_f32 v[2:3], v[4:5], v[8:9], v[2:3] op_sel:[0,0,1] op_sel_hi:[1,0,0]
	v_mov_b32_e32 v7, v3
	ds_load_2addr_b64 v[2:5], v126 offset0:61 offset1:62
	v_pk_add_f32 v[244:245], v[244:245], v[12:13] neg_lo:[0,1] neg_hi:[0,1]
	v_pk_add_f32 v[248:249], v[248:249], v[6:7] neg_lo:[0,1] neg_hi:[0,1]
	s_wait_dscnt 0x0
	v_dual_mul_f32 v6, v3, v11 :: v_dual_mul_f32 v12, v3, v8
	s_delay_alu instid0(VALU_DEP_1) | instskip(NEXT) | instid1(VALU_DEP_2)
	v_pk_fma_f32 v[6:7], v[2:3], v[142:143], v[6:7] op_sel_hi:[1,1,0] neg_lo:[0,0,1] neg_hi:[0,0,1]
	v_pk_fma_f32 v[2:3], v[2:3], v[142:143], v[12:13] op_sel:[1,0,0] op_sel_hi:[0,1,0]
	s_delay_alu instid0(VALU_DEP_1) | instskip(SKIP_1) | instid1(VALU_DEP_2)
	v_mov_b32_e32 v7, v3
	v_pk_mul_f32 v[2:3], v[4:5], v[10:11] op_sel:[0,1]
	v_pk_add_f32 v[242:243], v[242:243], v[6:7] neg_lo:[0,1] neg_hi:[0,1]
	s_delay_alu instid0(VALU_DEP_2) | instskip(SKIP_1) | instid1(VALU_DEP_1)
	v_pk_fma_f32 v[6:7], v[4:5], v[8:9], v[2:3] op_sel:[0,0,1] op_sel_hi:[1,1,0] neg_lo:[0,0,1] neg_hi:[0,0,1]
	v_pk_fma_f32 v[2:3], v[4:5], v[8:9], v[2:3] op_sel:[0,0,1] op_sel_hi:[1,0,0]
	v_mov_b32_e32 v7, v3
	ds_load_b64 v[2:3], v126 offset:504
	v_pk_add_f32 v[254:255], v[254:255], v[6:7] neg_lo:[0,1] neg_hi:[0,1]
	s_wait_dscnt 0x0
	v_pk_mul_f32 v[4:5], v[2:3], v[10:11] op_sel:[0,1]
	s_delay_alu instid0(VALU_DEP_1) | instskip(SKIP_1) | instid1(VALU_DEP_1)
	v_pk_fma_f32 v[6:7], v[2:3], v[8:9], v[4:5] op_sel:[0,0,1] op_sel_hi:[1,1,0] neg_lo:[0,0,1] neg_hi:[0,0,1]
	v_pk_fma_f32 v[2:3], v[2:3], v[8:9], v[4:5] op_sel:[0,0,1] op_sel_hi:[1,0,0]
	v_mov_b32_e32 v7, v3
	s_delay_alu instid0(VALU_DEP_1)
	v_pk_add_f32 v[0:1], v[0:1], v[6:7] neg_lo:[0,1] neg_hi:[0,1]
.LBB127_28:
	s_wait_xcnt 0x0
	s_or_b32 exec_lo, exec_lo, s1
	s_delay_alu instid0(SALU_CYCLE_1)
	s_mov_b32 s2, exec_lo
	s_wait_storecnt 0x0
	s_barrier_signal -1
	s_barrier_wait -1
	v_cmpx_eq_u32_e32 3, v18
	s_cbranch_execz .LBB127_35
; %bb.29:
	v_dual_mov_b32 v2, v136 :: v_dual_mov_b32 v3, v137
	v_dual_mov_b32 v4, v132 :: v_dual_mov_b32 v5, v133
	ds_store_b64 v19, v[144:145]
	ds_store_2addr_b64 v126, v[2:3], v[4:5] offset0:4 offset1:5
	v_dual_mov_b32 v2, v134 :: v_dual_mov_b32 v3, v135
	v_dual_mov_b32 v4, v130 :: v_dual_mov_b32 v5, v131
	ds_store_2addr_b64 v126, v[2:3], v[4:5] offset0:6 offset1:7
	v_dual_mov_b32 v2, v138 :: v_dual_mov_b32 v3, v139
	v_dual_mov_b32 v4, v140 :: v_dual_mov_b32 v5, v141
	;; [unrolled: 3-line block ×28, first 2 shown]
	ds_store_2addr_b64 v126, v[2:3], v[4:5] offset0:60 offset1:61
	v_dual_mov_b32 v2, v254 :: v_dual_mov_b32 v3, v255
	ds_store_2addr_b64 v126, v[2:3], v[0:1] offset0:62 offset1:63
	ds_load_b64 v[2:3], v19
	s_wait_dscnt 0x0
	v_cmp_neq_f32_e32 vcc_lo, 0, v2
	v_cmp_neq_f32_e64 s1, 0, v3
	s_or_b32 s1, vcc_lo, s1
	s_delay_alu instid0(SALU_CYCLE_1)
	s_and_b32 exec_lo, exec_lo, s1
	s_cbranch_execz .LBB127_35
; %bb.30:
	v_cmp_ngt_f32_e64 s1, |v2|, |v3|
                                        ; implicit-def: $vgpr4_vgpr5
	s_and_saveexec_b32 s4, s1
	s_delay_alu instid0(SALU_CYCLE_1)
	s_xor_b32 s1, exec_lo, s4
	s_cbranch_execz .LBB127_32
; %bb.31:
	v_div_scale_f32 v4, null, v3, v3, v2
	v_div_scale_f32 v7, vcc_lo, v2, v3, v2
	s_delay_alu instid0(VALU_DEP_2) | instskip(SKIP_1) | instid1(TRANS32_DEP_1)
	v_rcp_f32_e32 v5, v4
	v_nop
	v_fma_f32 v6, -v4, v5, 1.0
	s_delay_alu instid0(VALU_DEP_1) | instskip(NEXT) | instid1(VALU_DEP_1)
	v_fmac_f32_e32 v5, v6, v5
	v_mul_f32_e32 v6, v7, v5
	s_delay_alu instid0(VALU_DEP_1) | instskip(NEXT) | instid1(VALU_DEP_1)
	v_fma_f32 v8, -v4, v6, v7
	v_fmac_f32_e32 v6, v8, v5
	s_delay_alu instid0(VALU_DEP_1) | instskip(NEXT) | instid1(VALU_DEP_1)
	v_fma_f32 v4, -v4, v6, v7
	v_div_fmas_f32 v4, v4, v5, v6
	s_delay_alu instid0(VALU_DEP_1) | instskip(NEXT) | instid1(VALU_DEP_1)
	v_div_fixup_f32 v4, v4, v3, v2
	v_fmac_f32_e32 v3, v2, v4
	s_delay_alu instid0(VALU_DEP_1) | instskip(SKIP_1) | instid1(VALU_DEP_2)
	v_div_scale_f32 v2, null, v3, v3, 1.0
	v_div_scale_f32 v7, vcc_lo, 1.0, v3, 1.0
	v_rcp_f32_e32 v5, v2
	v_nop
	s_delay_alu instid0(TRANS32_DEP_1) | instskip(NEXT) | instid1(VALU_DEP_1)
	v_fma_f32 v6, -v2, v5, 1.0
	v_fmac_f32_e32 v5, v6, v5
	s_delay_alu instid0(VALU_DEP_1) | instskip(NEXT) | instid1(VALU_DEP_1)
	v_mul_f32_e32 v6, v7, v5
	v_fma_f32 v8, -v2, v6, v7
	s_delay_alu instid0(VALU_DEP_1) | instskip(NEXT) | instid1(VALU_DEP_1)
	v_fmac_f32_e32 v6, v8, v5
	v_fma_f32 v2, -v2, v6, v7
	s_delay_alu instid0(VALU_DEP_1) | instskip(NEXT) | instid1(VALU_DEP_1)
	v_div_fmas_f32 v2, v2, v5, v6
	v_div_fixup_f32 v2, v2, v3, 1.0
	s_delay_alu instid0(VALU_DEP_1)
	v_mul_f32_e32 v4, v4, v2
	v_xor_b32_e32 v5, 0x80000000, v2
                                        ; implicit-def: $vgpr2_vgpr3
.LBB127_32:
	s_and_not1_saveexec_b32 s1, s1
	s_cbranch_execz .LBB127_34
; %bb.33:
	v_div_scale_f32 v4, null, v2, v2, v3
	v_div_scale_f32 v7, vcc_lo, v3, v2, v3
	s_delay_alu instid0(VALU_DEP_2) | instskip(SKIP_1) | instid1(TRANS32_DEP_1)
	v_rcp_f32_e32 v5, v4
	v_nop
	v_fma_f32 v6, -v4, v5, 1.0
	s_delay_alu instid0(VALU_DEP_1) | instskip(NEXT) | instid1(VALU_DEP_1)
	v_fmac_f32_e32 v5, v6, v5
	v_mul_f32_e32 v6, v7, v5
	s_delay_alu instid0(VALU_DEP_1) | instskip(NEXT) | instid1(VALU_DEP_1)
	v_fma_f32 v8, -v4, v6, v7
	v_fmac_f32_e32 v6, v8, v5
	s_delay_alu instid0(VALU_DEP_1) | instskip(NEXT) | instid1(VALU_DEP_1)
	v_fma_f32 v4, -v4, v6, v7
	v_div_fmas_f32 v4, v4, v5, v6
	s_delay_alu instid0(VALU_DEP_1) | instskip(NEXT) | instid1(VALU_DEP_1)
	v_div_fixup_f32 v5, v4, v2, v3
	v_fmac_f32_e32 v2, v3, v5
	s_delay_alu instid0(VALU_DEP_1) | instskip(NEXT) | instid1(VALU_DEP_1)
	v_div_scale_f32 v3, null, v2, v2, 1.0
	v_rcp_f32_e32 v4, v3
	v_nop
	s_delay_alu instid0(TRANS32_DEP_1) | instskip(NEXT) | instid1(VALU_DEP_1)
	v_fma_f32 v6, -v3, v4, 1.0
	v_fmac_f32_e32 v4, v6, v4
	v_div_scale_f32 v6, vcc_lo, 1.0, v2, 1.0
	s_delay_alu instid0(VALU_DEP_1) | instskip(NEXT) | instid1(VALU_DEP_1)
	v_mul_f32_e32 v7, v6, v4
	v_fma_f32 v8, -v3, v7, v6
	s_delay_alu instid0(VALU_DEP_1) | instskip(NEXT) | instid1(VALU_DEP_1)
	v_fmac_f32_e32 v7, v8, v4
	v_fma_f32 v3, -v3, v7, v6
	s_delay_alu instid0(VALU_DEP_1) | instskip(NEXT) | instid1(VALU_DEP_1)
	v_div_fmas_f32 v3, v3, v4, v7
	v_div_fixup_f32 v4, v3, v2, 1.0
	s_delay_alu instid0(VALU_DEP_1)
	v_mul_f32_e64 v5, v5, -v4
.LBB127_34:
	s_or_b32 exec_lo, exec_lo, s1
	ds_store_b64 v19, v[4:5]
.LBB127_35:
	s_or_b32 exec_lo, exec_lo, s2
	s_wait_dscnt 0x0
	s_barrier_signal -1
	s_barrier_wait -1
	ds_load_b64 v[2:3], v19
	s_mov_b32 s1, exec_lo
	s_wait_dscnt 0x0
	scratch_store_b64 off, v[2:3], off offset:536 ; 8-byte Folded Spill
	s_wait_xcnt 0x0
	v_cmpx_lt_u32_e32 3, v18
	s_cbranch_execz .LBB127_37
; %bb.36:
	scratch_load_b64 v[4:5], off, off offset:536 ; 8-byte Folded Reload
	s_wait_loadcnt 0x0
	v_pk_mul_f32 v[2:3], v[4:5], v[144:145] op_sel:[1,1] op_sel_hi:[0,1]
	s_delay_alu instid0(VALU_DEP_1)
	v_pk_fma_f32 v[10:11], v[4:5], v[144:145], v[2:3] op_sel_hi:[1,0,1] neg_lo:[0,0,1] neg_hi:[0,0,1]
	v_pk_fma_f32 v[12:13], v[4:5], v[144:145], v[2:3] op_sel_hi:[1,0,1]
	ds_load_2addr_b64 v[2:5], v126 offset0:4 offset1:5
	v_dual_mov_b32 v144, v10 :: v_dual_mov_b32 v145, v13
	s_wait_dscnt 0x0
	v_pk_mul_f32 v[6:7], v[2:3], v[12:13] op_sel:[0,1]
	s_delay_alu instid0(VALU_DEP_1) | instskip(SKIP_1) | instid1(VALU_DEP_1)
	v_pk_fma_f32 v[14:15], v[2:3], v[10:11], v[6:7] op_sel:[0,0,1] op_sel_hi:[1,1,0] neg_lo:[0,0,1] neg_hi:[0,0,1]
	v_pk_fma_f32 v[2:3], v[2:3], v[10:11], v[6:7] op_sel:[0,0,1] op_sel_hi:[1,0,0]
	v_mov_b32_e32 v15, v3
	v_pk_mul_f32 v[2:3], v[4:5], v[12:13] op_sel:[0,1]
	s_delay_alu instid0(VALU_DEP_1) | instskip(SKIP_1) | instid1(VALU_DEP_1)
	v_pk_fma_f32 v[6:7], v[4:5], v[10:11], v[2:3] op_sel:[0,0,1] op_sel_hi:[1,1,0] neg_lo:[0,0,1] neg_hi:[0,0,1]
	v_pk_fma_f32 v[2:3], v[4:5], v[10:11], v[2:3] op_sel:[0,0,1] op_sel_hi:[1,0,0]
	v_mov_b32_e32 v7, v3
	ds_load_2addr_b64 v[2:5], v126 offset0:6 offset1:7
	v_pk_add_f32 v[136:137], v[136:137], v[14:15] neg_lo:[0,1] neg_hi:[0,1]
	v_pk_add_f32 v[132:133], v[132:133], v[6:7] neg_lo:[0,1] neg_hi:[0,1]
	s_wait_dscnt 0x0
	v_pk_mul_f32 v[6:7], v[2:3], v[12:13] op_sel:[0,1]
	s_delay_alu instid0(VALU_DEP_1) | instskip(SKIP_2) | instid1(VALU_DEP_2)
	v_pk_fma_f32 v[14:15], v[2:3], v[10:11], v[6:7] op_sel:[0,0,1] op_sel_hi:[1,1,0] neg_lo:[0,0,1] neg_hi:[0,0,1]
	v_pk_fma_f32 v[2:3], v[2:3], v[10:11], v[6:7] op_sel:[0,0,1] op_sel_hi:[1,0,0]
	v_dual_mul_f32 v6, v5, v13 :: v_dual_mov_b32 v2, v5
	v_dual_mov_b32 v15, v3 :: v_dual_mov_b32 v3, v4
	s_delay_alu instid0(VALU_DEP_2) | instskip(SKIP_1) | instid1(VALU_DEP_3)
	v_pk_fma_f32 v[6:7], v[4:5], v[144:145], v[6:7] op_sel_hi:[1,1,0] neg_lo:[0,0,1] neg_hi:[0,0,1]
	v_mul_f32_e32 v4, v5, v10
	v_pk_add_f32 v[134:135], v[134:135], v[14:15] neg_lo:[0,1] neg_hi:[0,1]
	s_delay_alu instid0(VALU_DEP_2) | instskip(NEXT) | instid1(VALU_DEP_1)
	v_pk_fma_f32 v[2:3], v[2:3], v[144:145], v[4:5] op_sel_hi:[1,1,0]
	v_mov_b32_e32 v7, v3
	ds_load_2addr_b64 v[2:5], v126 offset0:8 offset1:9
	v_pk_add_f32 v[130:131], v[130:131], v[6:7] neg_lo:[0,1] neg_hi:[0,1]
	s_wait_dscnt 0x0
	v_pk_mul_f32 v[6:7], v[2:3], v[12:13] op_sel:[0,1]
	s_delay_alu instid0(VALU_DEP_1) | instskip(SKIP_1) | instid1(VALU_DEP_1)
	v_pk_fma_f32 v[14:15], v[2:3], v[10:11], v[6:7] op_sel:[0,0,1] op_sel_hi:[1,1,0] neg_lo:[0,0,1] neg_hi:[0,0,1]
	v_pk_fma_f32 v[2:3], v[2:3], v[10:11], v[6:7] op_sel:[0,0,1] op_sel_hi:[1,0,0]
	v_mov_b32_e32 v15, v3
	v_pk_mul_f32 v[2:3], v[4:5], v[12:13] op_sel:[0,1]
	s_delay_alu instid0(VALU_DEP_1) | instskip(SKIP_1) | instid1(VALU_DEP_1)
	v_pk_fma_f32 v[6:7], v[4:5], v[10:11], v[2:3] op_sel:[0,0,1] op_sel_hi:[1,1,0] neg_lo:[0,0,1] neg_hi:[0,0,1]
	v_pk_fma_f32 v[2:3], v[4:5], v[10:11], v[2:3] op_sel:[0,0,1] op_sel_hi:[1,0,0]
	v_mov_b32_e32 v7, v3
	ds_load_2addr_b64 v[2:5], v126 offset0:10 offset1:11
	v_pk_add_f32 v[138:139], v[138:139], v[14:15] neg_lo:[0,1] neg_hi:[0,1]
	v_pk_add_f32 v[140:141], v[140:141], v[6:7] neg_lo:[0,1] neg_hi:[0,1]
	s_wait_dscnt 0x0
	v_pk_mul_f32 v[6:7], v[2:3], v[12:13] op_sel:[0,1]
	s_delay_alu instid0(VALU_DEP_1) | instskip(SKIP_1) | instid1(VALU_DEP_1)
	v_pk_fma_f32 v[14:15], v[2:3], v[10:11], v[6:7] op_sel:[0,0,1] op_sel_hi:[1,1,0] neg_lo:[0,0,1] neg_hi:[0,0,1]
	v_pk_fma_f32 v[2:3], v[2:3], v[10:11], v[6:7] op_sel:[0,0,1] op_sel_hi:[1,0,0]
	v_mov_b32_e32 v15, v3
	v_pk_mul_f32 v[2:3], v[4:5], v[12:13] op_sel:[0,1]
	s_delay_alu instid0(VALU_DEP_1) | instskip(SKIP_1) | instid1(VALU_DEP_1)
	v_pk_fma_f32 v[6:7], v[4:5], v[10:11], v[2:3] op_sel:[0,0,1] op_sel_hi:[1,1,0] neg_lo:[0,0,1] neg_hi:[0,0,1]
	v_pk_fma_f32 v[2:3], v[4:5], v[10:11], v[2:3] op_sel:[0,0,1] op_sel_hi:[1,0,0]
	v_mov_b32_e32 v7, v3
	ds_load_2addr_b64 v[2:5], v126 offset0:12 offset1:13
	v_pk_add_f32 v[146:147], v[146:147], v[14:15] neg_lo:[0,1] neg_hi:[0,1]
	v_pk_add_f32 v[152:153], v[152:153], v[6:7] neg_lo:[0,1] neg_hi:[0,1]
	s_wait_dscnt 0x0
	v_dual_mul_f32 v6, v3, v13 :: v_dual_mul_f32 v14, v3, v10
	s_delay_alu instid0(VALU_DEP_1) | instskip(NEXT) | instid1(VALU_DEP_2)
	v_pk_fma_f32 v[6:7], v[2:3], v[144:145], v[6:7] op_sel_hi:[1,1,0] neg_lo:[0,0,1] neg_hi:[0,0,1]
	v_pk_fma_f32 v[2:3], v[2:3], v[144:145], v[14:15] op_sel:[1,0,0] op_sel_hi:[0,1,0]
	s_delay_alu instid0(VALU_DEP_1) | instskip(SKIP_1) | instid1(VALU_DEP_2)
	v_mov_b32_e32 v7, v3
	v_pk_mul_f32 v[2:3], v[4:5], v[12:13] op_sel:[0,1]
	v_pk_add_f32 v[154:155], v[154:155], v[6:7] neg_lo:[0,1] neg_hi:[0,1]
	s_delay_alu instid0(VALU_DEP_2) | instskip(SKIP_1) | instid1(VALU_DEP_1)
	v_pk_fma_f32 v[6:7], v[4:5], v[10:11], v[2:3] op_sel:[0,0,1] op_sel_hi:[1,1,0] neg_lo:[0,0,1] neg_hi:[0,0,1]
	v_pk_fma_f32 v[2:3], v[4:5], v[10:11], v[2:3] op_sel:[0,0,1] op_sel_hi:[1,0,0]
	v_mov_b32_e32 v7, v3
	ds_load_2addr_b64 v[2:5], v126 offset0:14 offset1:15
	v_pk_add_f32 v[156:157], v[156:157], v[6:7] neg_lo:[0,1] neg_hi:[0,1]
	s_wait_dscnt 0x0
	v_pk_mul_f32 v[6:7], v[2:3], v[12:13] op_sel:[0,1]
	s_delay_alu instid0(VALU_DEP_1) | instskip(SKIP_1) | instid1(VALU_DEP_1)
	v_pk_fma_f32 v[14:15], v[2:3], v[10:11], v[6:7] op_sel:[0,0,1] op_sel_hi:[1,1,0] neg_lo:[0,0,1] neg_hi:[0,0,1]
	v_pk_fma_f32 v[2:3], v[2:3], v[10:11], v[6:7] op_sel:[0,0,1] op_sel_hi:[1,0,0]
	v_mov_b32_e32 v15, v3
	v_pk_mul_f32 v[2:3], v[4:5], v[12:13] op_sel:[0,1]
	s_delay_alu instid0(VALU_DEP_2) | instskip(NEXT) | instid1(VALU_DEP_2)
	v_pk_add_f32 v[158:159], v[158:159], v[14:15] neg_lo:[0,1] neg_hi:[0,1]
	v_pk_fma_f32 v[6:7], v[4:5], v[10:11], v[2:3] op_sel:[0,0,1] op_sel_hi:[1,1,0] neg_lo:[0,0,1] neg_hi:[0,0,1]
	v_pk_fma_f32 v[2:3], v[4:5], v[10:11], v[2:3] op_sel:[0,0,1] op_sel_hi:[1,0,0]
	s_delay_alu instid0(VALU_DEP_1) | instskip(SKIP_4) | instid1(VALU_DEP_1)
	v_mov_b32_e32 v7, v3
	ds_load_2addr_b64 v[2:5], v126 offset0:16 offset1:17
	v_pk_add_f32 v[160:161], v[160:161], v[6:7] neg_lo:[0,1] neg_hi:[0,1]
	s_wait_dscnt 0x0
	v_pk_mul_f32 v[6:7], v[2:3], v[12:13] op_sel:[0,1]
	v_pk_fma_f32 v[14:15], v[2:3], v[10:11], v[6:7] op_sel:[0,0,1] op_sel_hi:[1,1,0] neg_lo:[0,0,1] neg_hi:[0,0,1]
	v_pk_fma_f32 v[2:3], v[2:3], v[10:11], v[6:7] op_sel:[0,0,1] op_sel_hi:[1,0,0]
	v_dual_mul_f32 v6, v5, v13 :: v_dual_mov_b32 v2, v5
	s_delay_alu instid0(VALU_DEP_2) | instskip(NEXT) | instid1(VALU_DEP_2)
	v_dual_mov_b32 v15, v3 :: v_dual_mov_b32 v3, v4
	v_pk_fma_f32 v[6:7], v[4:5], v[144:145], v[6:7] op_sel_hi:[1,1,0] neg_lo:[0,0,1] neg_hi:[0,0,1]
	v_mul_f32_e32 v4, v5, v10
	s_delay_alu instid0(VALU_DEP_3) | instskip(NEXT) | instid1(VALU_DEP_2)
	v_pk_add_f32 v[162:163], v[162:163], v[14:15] neg_lo:[0,1] neg_hi:[0,1]
	v_pk_fma_f32 v[2:3], v[2:3], v[144:145], v[4:5] op_sel_hi:[1,1,0]
	s_delay_alu instid0(VALU_DEP_1) | instskip(SKIP_4) | instid1(VALU_DEP_1)
	v_mov_b32_e32 v7, v3
	ds_load_2addr_b64 v[2:5], v126 offset0:18 offset1:19
	v_pk_add_f32 v[164:165], v[164:165], v[6:7] neg_lo:[0,1] neg_hi:[0,1]
	s_wait_dscnt 0x0
	v_pk_mul_f32 v[6:7], v[2:3], v[12:13] op_sel:[0,1]
	v_pk_fma_f32 v[14:15], v[2:3], v[10:11], v[6:7] op_sel:[0,0,1] op_sel_hi:[1,1,0] neg_lo:[0,0,1] neg_hi:[0,0,1]
	v_pk_fma_f32 v[2:3], v[2:3], v[10:11], v[6:7] op_sel:[0,0,1] op_sel_hi:[1,0,0]
	s_delay_alu instid0(VALU_DEP_1) | instskip(SKIP_1) | instid1(VALU_DEP_1)
	v_mov_b32_e32 v15, v3
	v_pk_mul_f32 v[2:3], v[4:5], v[12:13] op_sel:[0,1]
	v_pk_fma_f32 v[6:7], v[4:5], v[10:11], v[2:3] op_sel:[0,0,1] op_sel_hi:[1,1,0] neg_lo:[0,0,1] neg_hi:[0,0,1]
	v_pk_fma_f32 v[2:3], v[4:5], v[10:11], v[2:3] op_sel:[0,0,1] op_sel_hi:[1,0,0]
	s_delay_alu instid0(VALU_DEP_1)
	v_mov_b32_e32 v7, v3
	ds_load_2addr_b64 v[2:5], v126 offset0:20 offset1:21
	v_pk_add_f32 v[166:167], v[166:167], v[14:15] neg_lo:[0,1] neg_hi:[0,1]
	v_pk_add_f32 v[168:169], v[168:169], v[6:7] neg_lo:[0,1] neg_hi:[0,1]
	s_wait_dscnt 0x0
	v_pk_mul_f32 v[6:7], v[2:3], v[12:13] op_sel:[0,1]
	s_delay_alu instid0(VALU_DEP_1) | instskip(SKIP_1) | instid1(VALU_DEP_1)
	v_pk_fma_f32 v[14:15], v[2:3], v[10:11], v[6:7] op_sel:[0,0,1] op_sel_hi:[1,1,0] neg_lo:[0,0,1] neg_hi:[0,0,1]
	v_pk_fma_f32 v[2:3], v[2:3], v[10:11], v[6:7] op_sel:[0,0,1] op_sel_hi:[1,0,0]
	v_mov_b32_e32 v15, v3
	v_pk_mul_f32 v[2:3], v[4:5], v[12:13] op_sel:[0,1]
	s_delay_alu instid0(VALU_DEP_1) | instskip(SKIP_1) | instid1(VALU_DEP_1)
	v_pk_fma_f32 v[6:7], v[4:5], v[10:11], v[2:3] op_sel:[0,0,1] op_sel_hi:[1,1,0] neg_lo:[0,0,1] neg_hi:[0,0,1]
	v_pk_fma_f32 v[2:3], v[4:5], v[10:11], v[2:3] op_sel:[0,0,1] op_sel_hi:[1,0,0]
	v_mov_b32_e32 v7, v3
	ds_load_2addr_b64 v[2:5], v126 offset0:22 offset1:23
	v_pk_add_f32 v[170:171], v[170:171], v[14:15] neg_lo:[0,1] neg_hi:[0,1]
	v_pk_add_f32 v[172:173], v[172:173], v[6:7] neg_lo:[0,1] neg_hi:[0,1]
	s_wait_dscnt 0x0
	v_dual_mul_f32 v6, v3, v13 :: v_dual_mul_f32 v14, v3, v10
	s_delay_alu instid0(VALU_DEP_1) | instskip(NEXT) | instid1(VALU_DEP_2)
	v_pk_fma_f32 v[6:7], v[2:3], v[144:145], v[6:7] op_sel_hi:[1,1,0] neg_lo:[0,0,1] neg_hi:[0,0,1]
	v_pk_fma_f32 v[2:3], v[2:3], v[144:145], v[14:15] op_sel:[1,0,0] op_sel_hi:[0,1,0]
	s_delay_alu instid0(VALU_DEP_1) | instskip(SKIP_1) | instid1(VALU_DEP_2)
	v_mov_b32_e32 v7, v3
	v_pk_mul_f32 v[2:3], v[4:5], v[12:13] op_sel:[0,1]
	v_pk_add_f32 v[174:175], v[174:175], v[6:7] neg_lo:[0,1] neg_hi:[0,1]
	s_delay_alu instid0(VALU_DEP_2) | instskip(SKIP_1) | instid1(VALU_DEP_1)
	v_pk_fma_f32 v[6:7], v[4:5], v[10:11], v[2:3] op_sel:[0,0,1] op_sel_hi:[1,1,0] neg_lo:[0,0,1] neg_hi:[0,0,1]
	v_pk_fma_f32 v[2:3], v[4:5], v[10:11], v[2:3] op_sel:[0,0,1] op_sel_hi:[1,0,0]
	v_mov_b32_e32 v7, v3
	ds_load_2addr_b64 v[2:5], v126 offset0:24 offset1:25
	v_pk_add_f32 v[176:177], v[176:177], v[6:7] neg_lo:[0,1] neg_hi:[0,1]
	s_wait_dscnt 0x0
	v_pk_mul_f32 v[6:7], v[2:3], v[12:13] op_sel:[0,1]
	s_delay_alu instid0(VALU_DEP_1) | instskip(SKIP_1) | instid1(VALU_DEP_1)
	v_pk_fma_f32 v[14:15], v[2:3], v[10:11], v[6:7] op_sel:[0,0,1] op_sel_hi:[1,1,0] neg_lo:[0,0,1] neg_hi:[0,0,1]
	v_pk_fma_f32 v[2:3], v[2:3], v[10:11], v[6:7] op_sel:[0,0,1] op_sel_hi:[1,0,0]
	v_mov_b32_e32 v15, v3
	v_pk_mul_f32 v[2:3], v[4:5], v[12:13] op_sel:[0,1]
	s_delay_alu instid0(VALU_DEP_2) | instskip(NEXT) | instid1(VALU_DEP_2)
	v_pk_add_f32 v[178:179], v[178:179], v[14:15] neg_lo:[0,1] neg_hi:[0,1]
	v_pk_fma_f32 v[6:7], v[4:5], v[10:11], v[2:3] op_sel:[0,0,1] op_sel_hi:[1,1,0] neg_lo:[0,0,1] neg_hi:[0,0,1]
	v_pk_fma_f32 v[2:3], v[4:5], v[10:11], v[2:3] op_sel:[0,0,1] op_sel_hi:[1,0,0]
	s_delay_alu instid0(VALU_DEP_1) | instskip(SKIP_4) | instid1(VALU_DEP_1)
	v_mov_b32_e32 v7, v3
	ds_load_2addr_b64 v[2:5], v126 offset0:26 offset1:27
	v_pk_add_f32 v[180:181], v[180:181], v[6:7] neg_lo:[0,1] neg_hi:[0,1]
	s_wait_dscnt 0x0
	v_pk_mul_f32 v[6:7], v[2:3], v[12:13] op_sel:[0,1]
	v_pk_fma_f32 v[14:15], v[2:3], v[10:11], v[6:7] op_sel:[0,0,1] op_sel_hi:[1,1,0] neg_lo:[0,0,1] neg_hi:[0,0,1]
	v_pk_fma_f32 v[2:3], v[2:3], v[10:11], v[6:7] op_sel:[0,0,1] op_sel_hi:[1,0,0]
	v_dual_mul_f32 v6, v5, v13 :: v_dual_mov_b32 v2, v5
	s_delay_alu instid0(VALU_DEP_2) | instskip(NEXT) | instid1(VALU_DEP_2)
	v_dual_mov_b32 v15, v3 :: v_dual_mov_b32 v3, v4
	v_pk_fma_f32 v[6:7], v[4:5], v[144:145], v[6:7] op_sel_hi:[1,1,0] neg_lo:[0,0,1] neg_hi:[0,0,1]
	v_mul_f32_e32 v4, v5, v10
	s_delay_alu instid0(VALU_DEP_3) | instskip(NEXT) | instid1(VALU_DEP_2)
	v_pk_add_f32 v[182:183], v[182:183], v[14:15] neg_lo:[0,1] neg_hi:[0,1]
	v_pk_fma_f32 v[2:3], v[2:3], v[144:145], v[4:5] op_sel_hi:[1,1,0]
	s_delay_alu instid0(VALU_DEP_1) | instskip(SKIP_4) | instid1(VALU_DEP_1)
	v_mov_b32_e32 v7, v3
	ds_load_2addr_b64 v[2:5], v126 offset0:28 offset1:29
	v_pk_add_f32 v[184:185], v[184:185], v[6:7] neg_lo:[0,1] neg_hi:[0,1]
	s_wait_dscnt 0x0
	v_pk_mul_f32 v[6:7], v[2:3], v[12:13] op_sel:[0,1]
	v_pk_fma_f32 v[14:15], v[2:3], v[10:11], v[6:7] op_sel:[0,0,1] op_sel_hi:[1,1,0] neg_lo:[0,0,1] neg_hi:[0,0,1]
	v_pk_fma_f32 v[2:3], v[2:3], v[10:11], v[6:7] op_sel:[0,0,1] op_sel_hi:[1,0,0]
	s_delay_alu instid0(VALU_DEP_1) | instskip(SKIP_1) | instid1(VALU_DEP_1)
	v_mov_b32_e32 v15, v3
	v_pk_mul_f32 v[2:3], v[4:5], v[12:13] op_sel:[0,1]
	v_pk_fma_f32 v[6:7], v[4:5], v[10:11], v[2:3] op_sel:[0,0,1] op_sel_hi:[1,1,0] neg_lo:[0,0,1] neg_hi:[0,0,1]
	v_pk_fma_f32 v[2:3], v[4:5], v[10:11], v[2:3] op_sel:[0,0,1] op_sel_hi:[1,0,0]
	s_delay_alu instid0(VALU_DEP_1)
	v_mov_b32_e32 v7, v3
	ds_load_2addr_b64 v[2:5], v126 offset0:30 offset1:31
	v_pk_add_f32 v[186:187], v[186:187], v[14:15] neg_lo:[0,1] neg_hi:[0,1]
	v_pk_add_f32 v[188:189], v[188:189], v[6:7] neg_lo:[0,1] neg_hi:[0,1]
	s_wait_dscnt 0x0
	v_pk_mul_f32 v[6:7], v[2:3], v[12:13] op_sel:[0,1]
	s_delay_alu instid0(VALU_DEP_1) | instskip(SKIP_1) | instid1(VALU_DEP_1)
	v_pk_fma_f32 v[14:15], v[2:3], v[10:11], v[6:7] op_sel:[0,0,1] op_sel_hi:[1,1,0] neg_lo:[0,0,1] neg_hi:[0,0,1]
	v_pk_fma_f32 v[2:3], v[2:3], v[10:11], v[6:7] op_sel:[0,0,1] op_sel_hi:[1,0,0]
	v_mov_b32_e32 v15, v3
	v_pk_mul_f32 v[2:3], v[4:5], v[12:13] op_sel:[0,1]
	s_delay_alu instid0(VALU_DEP_1) | instskip(SKIP_1) | instid1(VALU_DEP_1)
	v_pk_fma_f32 v[6:7], v[4:5], v[10:11], v[2:3] op_sel:[0,0,1] op_sel_hi:[1,1,0] neg_lo:[0,0,1] neg_hi:[0,0,1]
	v_pk_fma_f32 v[2:3], v[4:5], v[10:11], v[2:3] op_sel:[0,0,1] op_sel_hi:[1,0,0]
	v_mov_b32_e32 v7, v3
	ds_load_2addr_b64 v[2:5], v126 offset0:32 offset1:33
	v_pk_add_f32 v[190:191], v[190:191], v[14:15] neg_lo:[0,1] neg_hi:[0,1]
	v_pk_add_f32 v[192:193], v[192:193], v[6:7] neg_lo:[0,1] neg_hi:[0,1]
	s_wait_dscnt 0x0
	v_dual_mul_f32 v6, v3, v13 :: v_dual_mul_f32 v14, v3, v10
	s_delay_alu instid0(VALU_DEP_1) | instskip(NEXT) | instid1(VALU_DEP_2)
	v_pk_fma_f32 v[6:7], v[2:3], v[144:145], v[6:7] op_sel_hi:[1,1,0] neg_lo:[0,0,1] neg_hi:[0,0,1]
	v_pk_fma_f32 v[2:3], v[2:3], v[144:145], v[14:15] op_sel:[1,0,0] op_sel_hi:[0,1,0]
	s_delay_alu instid0(VALU_DEP_1) | instskip(SKIP_1) | instid1(VALU_DEP_2)
	v_mov_b32_e32 v7, v3
	v_pk_mul_f32 v[2:3], v[4:5], v[12:13] op_sel:[0,1]
	v_pk_add_f32 v[194:195], v[194:195], v[6:7] neg_lo:[0,1] neg_hi:[0,1]
	s_delay_alu instid0(VALU_DEP_2) | instskip(SKIP_1) | instid1(VALU_DEP_1)
	v_pk_fma_f32 v[6:7], v[4:5], v[10:11], v[2:3] op_sel:[0,0,1] op_sel_hi:[1,1,0] neg_lo:[0,0,1] neg_hi:[0,0,1]
	v_pk_fma_f32 v[2:3], v[4:5], v[10:11], v[2:3] op_sel:[0,0,1] op_sel_hi:[1,0,0]
	v_mov_b32_e32 v7, v3
	ds_load_2addr_b64 v[2:5], v126 offset0:34 offset1:35
	v_pk_add_f32 v[196:197], v[196:197], v[6:7] neg_lo:[0,1] neg_hi:[0,1]
	s_wait_dscnt 0x0
	v_pk_mul_f32 v[6:7], v[2:3], v[12:13] op_sel:[0,1]
	s_delay_alu instid0(VALU_DEP_1) | instskip(SKIP_1) | instid1(VALU_DEP_1)
	v_pk_fma_f32 v[14:15], v[2:3], v[10:11], v[6:7] op_sel:[0,0,1] op_sel_hi:[1,1,0] neg_lo:[0,0,1] neg_hi:[0,0,1]
	v_pk_fma_f32 v[2:3], v[2:3], v[10:11], v[6:7] op_sel:[0,0,1] op_sel_hi:[1,0,0]
	v_mov_b32_e32 v15, v3
	v_pk_mul_f32 v[2:3], v[4:5], v[12:13] op_sel:[0,1]
	s_delay_alu instid0(VALU_DEP_2) | instskip(NEXT) | instid1(VALU_DEP_2)
	v_pk_add_f32 v[198:199], v[198:199], v[14:15] neg_lo:[0,1] neg_hi:[0,1]
	v_pk_fma_f32 v[6:7], v[4:5], v[10:11], v[2:3] op_sel:[0,0,1] op_sel_hi:[1,1,0] neg_lo:[0,0,1] neg_hi:[0,0,1]
	v_pk_fma_f32 v[2:3], v[4:5], v[10:11], v[2:3] op_sel:[0,0,1] op_sel_hi:[1,0,0]
	s_delay_alu instid0(VALU_DEP_1) | instskip(SKIP_4) | instid1(VALU_DEP_1)
	v_mov_b32_e32 v7, v3
	ds_load_2addr_b64 v[2:5], v126 offset0:36 offset1:37
	v_pk_add_f32 v[200:201], v[200:201], v[6:7] neg_lo:[0,1] neg_hi:[0,1]
	s_wait_dscnt 0x0
	v_pk_mul_f32 v[6:7], v[2:3], v[12:13] op_sel:[0,1]
	v_pk_fma_f32 v[14:15], v[2:3], v[10:11], v[6:7] op_sel:[0,0,1] op_sel_hi:[1,1,0] neg_lo:[0,0,1] neg_hi:[0,0,1]
	v_pk_fma_f32 v[2:3], v[2:3], v[10:11], v[6:7] op_sel:[0,0,1] op_sel_hi:[1,0,0]
	v_dual_mul_f32 v6, v5, v13 :: v_dual_mov_b32 v2, v5
	s_delay_alu instid0(VALU_DEP_2) | instskip(NEXT) | instid1(VALU_DEP_2)
	v_dual_mov_b32 v15, v3 :: v_dual_mov_b32 v3, v4
	v_pk_fma_f32 v[6:7], v[4:5], v[144:145], v[6:7] op_sel_hi:[1,1,0] neg_lo:[0,0,1] neg_hi:[0,0,1]
	v_mul_f32_e32 v4, v5, v10
	s_delay_alu instid0(VALU_DEP_3) | instskip(NEXT) | instid1(VALU_DEP_2)
	v_pk_add_f32 v[202:203], v[202:203], v[14:15] neg_lo:[0,1] neg_hi:[0,1]
	v_pk_fma_f32 v[2:3], v[2:3], v[144:145], v[4:5] op_sel_hi:[1,1,0]
	s_delay_alu instid0(VALU_DEP_1) | instskip(SKIP_4) | instid1(VALU_DEP_1)
	v_mov_b32_e32 v7, v3
	ds_load_2addr_b64 v[2:5], v126 offset0:38 offset1:39
	v_pk_add_f32 v[204:205], v[204:205], v[6:7] neg_lo:[0,1] neg_hi:[0,1]
	s_wait_dscnt 0x0
	v_pk_mul_f32 v[6:7], v[2:3], v[12:13] op_sel:[0,1]
	v_pk_fma_f32 v[14:15], v[2:3], v[10:11], v[6:7] op_sel:[0,0,1] op_sel_hi:[1,1,0] neg_lo:[0,0,1] neg_hi:[0,0,1]
	v_pk_fma_f32 v[2:3], v[2:3], v[10:11], v[6:7] op_sel:[0,0,1] op_sel_hi:[1,0,0]
	s_delay_alu instid0(VALU_DEP_1) | instskip(SKIP_1) | instid1(VALU_DEP_1)
	v_mov_b32_e32 v15, v3
	v_pk_mul_f32 v[2:3], v[4:5], v[12:13] op_sel:[0,1]
	v_pk_fma_f32 v[6:7], v[4:5], v[10:11], v[2:3] op_sel:[0,0,1] op_sel_hi:[1,1,0] neg_lo:[0,0,1] neg_hi:[0,0,1]
	v_pk_fma_f32 v[2:3], v[4:5], v[10:11], v[2:3] op_sel:[0,0,1] op_sel_hi:[1,0,0]
	s_delay_alu instid0(VALU_DEP_1)
	v_mov_b32_e32 v7, v3
	ds_load_2addr_b64 v[2:5], v126 offset0:40 offset1:41
	v_pk_add_f32 v[206:207], v[206:207], v[14:15] neg_lo:[0,1] neg_hi:[0,1]
	v_pk_add_f32 v[208:209], v[208:209], v[6:7] neg_lo:[0,1] neg_hi:[0,1]
	s_wait_dscnt 0x0
	v_pk_mul_f32 v[6:7], v[2:3], v[12:13] op_sel:[0,1]
	s_delay_alu instid0(VALU_DEP_1) | instskip(SKIP_1) | instid1(VALU_DEP_1)
	v_pk_fma_f32 v[14:15], v[2:3], v[10:11], v[6:7] op_sel:[0,0,1] op_sel_hi:[1,1,0] neg_lo:[0,0,1] neg_hi:[0,0,1]
	v_pk_fma_f32 v[2:3], v[2:3], v[10:11], v[6:7] op_sel:[0,0,1] op_sel_hi:[1,0,0]
	v_mov_b32_e32 v15, v3
	v_pk_mul_f32 v[2:3], v[4:5], v[12:13] op_sel:[0,1]
	s_delay_alu instid0(VALU_DEP_1) | instskip(SKIP_1) | instid1(VALU_DEP_1)
	v_pk_fma_f32 v[6:7], v[4:5], v[10:11], v[2:3] op_sel:[0,0,1] op_sel_hi:[1,1,0] neg_lo:[0,0,1] neg_hi:[0,0,1]
	v_pk_fma_f32 v[2:3], v[4:5], v[10:11], v[2:3] op_sel:[0,0,1] op_sel_hi:[1,0,0]
	v_mov_b32_e32 v7, v3
	ds_load_2addr_b64 v[2:5], v126 offset0:42 offset1:43
	v_pk_add_f32 v[210:211], v[210:211], v[14:15] neg_lo:[0,1] neg_hi:[0,1]
	v_pk_add_f32 v[212:213], v[212:213], v[6:7] neg_lo:[0,1] neg_hi:[0,1]
	s_wait_dscnt 0x0
	v_dual_mul_f32 v6, v3, v13 :: v_dual_mul_f32 v14, v3, v10
	s_delay_alu instid0(VALU_DEP_1) | instskip(NEXT) | instid1(VALU_DEP_2)
	v_pk_fma_f32 v[6:7], v[2:3], v[144:145], v[6:7] op_sel_hi:[1,1,0] neg_lo:[0,0,1] neg_hi:[0,0,1]
	v_pk_fma_f32 v[2:3], v[2:3], v[144:145], v[14:15] op_sel:[1,0,0] op_sel_hi:[0,1,0]
	s_delay_alu instid0(VALU_DEP_1) | instskip(SKIP_1) | instid1(VALU_DEP_2)
	v_mov_b32_e32 v7, v3
	v_pk_mul_f32 v[2:3], v[4:5], v[12:13] op_sel:[0,1]
	v_pk_add_f32 v[214:215], v[214:215], v[6:7] neg_lo:[0,1] neg_hi:[0,1]
	s_delay_alu instid0(VALU_DEP_2) | instskip(SKIP_1) | instid1(VALU_DEP_1)
	v_pk_fma_f32 v[6:7], v[4:5], v[10:11], v[2:3] op_sel:[0,0,1] op_sel_hi:[1,1,0] neg_lo:[0,0,1] neg_hi:[0,0,1]
	v_pk_fma_f32 v[2:3], v[4:5], v[10:11], v[2:3] op_sel:[0,0,1] op_sel_hi:[1,0,0]
	v_mov_b32_e32 v7, v3
	ds_load_2addr_b64 v[2:5], v126 offset0:44 offset1:45
	v_pk_add_f32 v[216:217], v[216:217], v[6:7] neg_lo:[0,1] neg_hi:[0,1]
	s_wait_dscnt 0x0
	v_pk_mul_f32 v[6:7], v[2:3], v[12:13] op_sel:[0,1]
	s_delay_alu instid0(VALU_DEP_1) | instskip(SKIP_1) | instid1(VALU_DEP_1)
	v_pk_fma_f32 v[14:15], v[2:3], v[10:11], v[6:7] op_sel:[0,0,1] op_sel_hi:[1,1,0] neg_lo:[0,0,1] neg_hi:[0,0,1]
	v_pk_fma_f32 v[2:3], v[2:3], v[10:11], v[6:7] op_sel:[0,0,1] op_sel_hi:[1,0,0]
	v_mov_b32_e32 v15, v3
	v_pk_mul_f32 v[2:3], v[4:5], v[12:13] op_sel:[0,1]
	s_delay_alu instid0(VALU_DEP_2) | instskip(NEXT) | instid1(VALU_DEP_2)
	v_pk_add_f32 v[218:219], v[218:219], v[14:15] neg_lo:[0,1] neg_hi:[0,1]
	v_pk_fma_f32 v[6:7], v[4:5], v[10:11], v[2:3] op_sel:[0,0,1] op_sel_hi:[1,1,0] neg_lo:[0,0,1] neg_hi:[0,0,1]
	v_pk_fma_f32 v[2:3], v[4:5], v[10:11], v[2:3] op_sel:[0,0,1] op_sel_hi:[1,0,0]
	s_delay_alu instid0(VALU_DEP_1) | instskip(SKIP_4) | instid1(VALU_DEP_1)
	v_mov_b32_e32 v7, v3
	ds_load_2addr_b64 v[2:5], v126 offset0:46 offset1:47
	v_pk_add_f32 v[220:221], v[220:221], v[6:7] neg_lo:[0,1] neg_hi:[0,1]
	s_wait_dscnt 0x0
	v_pk_mul_f32 v[6:7], v[2:3], v[12:13] op_sel:[0,1]
	v_pk_fma_f32 v[14:15], v[2:3], v[10:11], v[6:7] op_sel:[0,0,1] op_sel_hi:[1,1,0] neg_lo:[0,0,1] neg_hi:[0,0,1]
	v_pk_fma_f32 v[2:3], v[2:3], v[10:11], v[6:7] op_sel:[0,0,1] op_sel_hi:[1,0,0]
	v_dual_mul_f32 v6, v5, v13 :: v_dual_mov_b32 v2, v5
	s_delay_alu instid0(VALU_DEP_2) | instskip(NEXT) | instid1(VALU_DEP_2)
	v_dual_mov_b32 v15, v3 :: v_dual_mov_b32 v3, v4
	v_pk_fma_f32 v[6:7], v[4:5], v[144:145], v[6:7] op_sel_hi:[1,1,0] neg_lo:[0,0,1] neg_hi:[0,0,1]
	v_mul_f32_e32 v4, v5, v10
	s_delay_alu instid0(VALU_DEP_3) | instskip(NEXT) | instid1(VALU_DEP_2)
	v_pk_add_f32 v[222:223], v[222:223], v[14:15] neg_lo:[0,1] neg_hi:[0,1]
	v_pk_fma_f32 v[2:3], v[2:3], v[144:145], v[4:5] op_sel_hi:[1,1,0]
	s_delay_alu instid0(VALU_DEP_1) | instskip(SKIP_4) | instid1(VALU_DEP_1)
	v_mov_b32_e32 v7, v3
	ds_load_2addr_b64 v[2:5], v126 offset0:48 offset1:49
	v_pk_add_f32 v[224:225], v[224:225], v[6:7] neg_lo:[0,1] neg_hi:[0,1]
	s_wait_dscnt 0x0
	v_pk_mul_f32 v[6:7], v[2:3], v[12:13] op_sel:[0,1]
	v_pk_fma_f32 v[14:15], v[2:3], v[10:11], v[6:7] op_sel:[0,0,1] op_sel_hi:[1,1,0] neg_lo:[0,0,1] neg_hi:[0,0,1]
	v_pk_fma_f32 v[2:3], v[2:3], v[10:11], v[6:7] op_sel:[0,0,1] op_sel_hi:[1,0,0]
	s_delay_alu instid0(VALU_DEP_1) | instskip(SKIP_1) | instid1(VALU_DEP_1)
	v_mov_b32_e32 v15, v3
	v_pk_mul_f32 v[2:3], v[4:5], v[12:13] op_sel:[0,1]
	v_pk_fma_f32 v[6:7], v[4:5], v[10:11], v[2:3] op_sel:[0,0,1] op_sel_hi:[1,1,0] neg_lo:[0,0,1] neg_hi:[0,0,1]
	v_pk_fma_f32 v[2:3], v[4:5], v[10:11], v[2:3] op_sel:[0,0,1] op_sel_hi:[1,0,0]
	s_delay_alu instid0(VALU_DEP_1)
	v_mov_b32_e32 v7, v3
	ds_load_2addr_b64 v[2:5], v126 offset0:50 offset1:51
	v_pk_add_f32 v[226:227], v[226:227], v[14:15] neg_lo:[0,1] neg_hi:[0,1]
	v_pk_add_f32 v[228:229], v[228:229], v[6:7] neg_lo:[0,1] neg_hi:[0,1]
	s_wait_dscnt 0x0
	v_pk_mul_f32 v[6:7], v[2:3], v[12:13] op_sel:[0,1]
	s_delay_alu instid0(VALU_DEP_1) | instskip(SKIP_1) | instid1(VALU_DEP_1)
	v_pk_fma_f32 v[14:15], v[2:3], v[10:11], v[6:7] op_sel:[0,0,1] op_sel_hi:[1,1,0] neg_lo:[0,0,1] neg_hi:[0,0,1]
	v_pk_fma_f32 v[2:3], v[2:3], v[10:11], v[6:7] op_sel:[0,0,1] op_sel_hi:[1,0,0]
	v_mov_b32_e32 v15, v3
	v_pk_mul_f32 v[2:3], v[4:5], v[12:13] op_sel:[0,1]
	s_delay_alu instid0(VALU_DEP_1) | instskip(SKIP_1) | instid1(VALU_DEP_1)
	v_pk_fma_f32 v[6:7], v[4:5], v[10:11], v[2:3] op_sel:[0,0,1] op_sel_hi:[1,1,0] neg_lo:[0,0,1] neg_hi:[0,0,1]
	v_pk_fma_f32 v[2:3], v[4:5], v[10:11], v[2:3] op_sel:[0,0,1] op_sel_hi:[1,0,0]
	v_mov_b32_e32 v7, v3
	ds_load_2addr_b64 v[2:5], v126 offset0:52 offset1:53
	v_pk_add_f32 v[230:231], v[230:231], v[14:15] neg_lo:[0,1] neg_hi:[0,1]
	v_pk_add_f32 v[232:233], v[232:233], v[6:7] neg_lo:[0,1] neg_hi:[0,1]
	s_wait_dscnt 0x0
	v_dual_mul_f32 v6, v3, v13 :: v_dual_mul_f32 v14, v3, v10
	s_delay_alu instid0(VALU_DEP_1) | instskip(NEXT) | instid1(VALU_DEP_2)
	v_pk_fma_f32 v[6:7], v[2:3], v[144:145], v[6:7] op_sel_hi:[1,1,0] neg_lo:[0,0,1] neg_hi:[0,0,1]
	v_pk_fma_f32 v[2:3], v[2:3], v[144:145], v[14:15] op_sel:[1,0,0] op_sel_hi:[0,1,0]
	s_delay_alu instid0(VALU_DEP_1) | instskip(SKIP_1) | instid1(VALU_DEP_2)
	v_mov_b32_e32 v7, v3
	v_pk_mul_f32 v[2:3], v[4:5], v[12:13] op_sel:[0,1]
	v_pk_add_f32 v[234:235], v[234:235], v[6:7] neg_lo:[0,1] neg_hi:[0,1]
	s_delay_alu instid0(VALU_DEP_2) | instskip(SKIP_1) | instid1(VALU_DEP_1)
	v_pk_fma_f32 v[6:7], v[4:5], v[10:11], v[2:3] op_sel:[0,0,1] op_sel_hi:[1,1,0] neg_lo:[0,0,1] neg_hi:[0,0,1]
	v_pk_fma_f32 v[2:3], v[4:5], v[10:11], v[2:3] op_sel:[0,0,1] op_sel_hi:[1,0,0]
	v_mov_b32_e32 v7, v3
	ds_load_2addr_b64 v[2:5], v126 offset0:54 offset1:55
	v_pk_add_f32 v[236:237], v[236:237], v[6:7] neg_lo:[0,1] neg_hi:[0,1]
	s_wait_dscnt 0x0
	v_pk_mul_f32 v[6:7], v[2:3], v[12:13] op_sel:[0,1]
	s_delay_alu instid0(VALU_DEP_1) | instskip(SKIP_1) | instid1(VALU_DEP_1)
	v_pk_fma_f32 v[14:15], v[2:3], v[10:11], v[6:7] op_sel:[0,0,1] op_sel_hi:[1,1,0] neg_lo:[0,0,1] neg_hi:[0,0,1]
	v_pk_fma_f32 v[2:3], v[2:3], v[10:11], v[6:7] op_sel:[0,0,1] op_sel_hi:[1,0,0]
	v_mov_b32_e32 v15, v3
	v_pk_mul_f32 v[2:3], v[4:5], v[12:13] op_sel:[0,1]
	s_delay_alu instid0(VALU_DEP_2) | instskip(NEXT) | instid1(VALU_DEP_2)
	v_pk_add_f32 v[238:239], v[238:239], v[14:15] neg_lo:[0,1] neg_hi:[0,1]
	v_pk_fma_f32 v[6:7], v[4:5], v[10:11], v[2:3] op_sel:[0,0,1] op_sel_hi:[1,1,0] neg_lo:[0,0,1] neg_hi:[0,0,1]
	v_pk_fma_f32 v[2:3], v[4:5], v[10:11], v[2:3] op_sel:[0,0,1] op_sel_hi:[1,0,0]
	s_delay_alu instid0(VALU_DEP_1) | instskip(SKIP_4) | instid1(VALU_DEP_1)
	v_mov_b32_e32 v7, v3
	ds_load_2addr_b64 v[2:5], v126 offset0:56 offset1:57
	v_pk_add_f32 v[240:241], v[240:241], v[6:7] neg_lo:[0,1] neg_hi:[0,1]
	s_wait_dscnt 0x0
	v_pk_mul_f32 v[6:7], v[2:3], v[12:13] op_sel:[0,1]
	v_pk_fma_f32 v[14:15], v[2:3], v[10:11], v[6:7] op_sel:[0,0,1] op_sel_hi:[1,1,0] neg_lo:[0,0,1] neg_hi:[0,0,1]
	v_pk_fma_f32 v[2:3], v[2:3], v[10:11], v[6:7] op_sel:[0,0,1] op_sel_hi:[1,0,0]
	v_dual_mul_f32 v6, v5, v13 :: v_dual_mov_b32 v2, v5
	s_delay_alu instid0(VALU_DEP_2) | instskip(NEXT) | instid1(VALU_DEP_2)
	v_dual_mov_b32 v15, v3 :: v_dual_mov_b32 v3, v4
	v_pk_fma_f32 v[6:7], v[4:5], v[144:145], v[6:7] op_sel_hi:[1,1,0] neg_lo:[0,0,1] neg_hi:[0,0,1]
	v_mul_f32_e32 v4, v5, v10
	s_delay_alu instid0(VALU_DEP_3) | instskip(NEXT) | instid1(VALU_DEP_2)
	v_pk_add_f32 v[252:253], v[252:253], v[14:15] neg_lo:[0,1] neg_hi:[0,1]
	v_pk_fma_f32 v[2:3], v[2:3], v[144:145], v[4:5] op_sel_hi:[1,1,0]
	s_delay_alu instid0(VALU_DEP_1) | instskip(SKIP_4) | instid1(VALU_DEP_1)
	v_mov_b32_e32 v7, v3
	ds_load_2addr_b64 v[2:5], v126 offset0:58 offset1:59
	v_pk_add_f32 v[246:247], v[246:247], v[6:7] neg_lo:[0,1] neg_hi:[0,1]
	s_wait_dscnt 0x0
	v_pk_mul_f32 v[6:7], v[2:3], v[12:13] op_sel:[0,1]
	v_pk_fma_f32 v[14:15], v[2:3], v[10:11], v[6:7] op_sel:[0,0,1] op_sel_hi:[1,1,0] neg_lo:[0,0,1] neg_hi:[0,0,1]
	v_pk_fma_f32 v[2:3], v[2:3], v[10:11], v[6:7] op_sel:[0,0,1] op_sel_hi:[1,0,0]
	s_delay_alu instid0(VALU_DEP_1) | instskip(SKIP_1) | instid1(VALU_DEP_1)
	v_mov_b32_e32 v15, v3
	v_pk_mul_f32 v[2:3], v[4:5], v[12:13] op_sel:[0,1]
	v_pk_fma_f32 v[6:7], v[4:5], v[10:11], v[2:3] op_sel:[0,0,1] op_sel_hi:[1,1,0] neg_lo:[0,0,1] neg_hi:[0,0,1]
	v_pk_fma_f32 v[2:3], v[4:5], v[10:11], v[2:3] op_sel:[0,0,1] op_sel_hi:[1,0,0]
	s_delay_alu instid0(VALU_DEP_1)
	v_mov_b32_e32 v7, v3
	ds_load_2addr_b64 v[2:5], v126 offset0:60 offset1:61
	v_pk_add_f32 v[250:251], v[250:251], v[14:15] neg_lo:[0,1] neg_hi:[0,1]
	v_pk_add_f32 v[244:245], v[244:245], v[6:7] neg_lo:[0,1] neg_hi:[0,1]
	s_wait_dscnt 0x0
	v_pk_mul_f32 v[6:7], v[2:3], v[12:13] op_sel:[0,1]
	s_delay_alu instid0(VALU_DEP_1) | instskip(SKIP_1) | instid1(VALU_DEP_1)
	v_pk_fma_f32 v[14:15], v[2:3], v[10:11], v[6:7] op_sel:[0,0,1] op_sel_hi:[1,1,0] neg_lo:[0,0,1] neg_hi:[0,0,1]
	v_pk_fma_f32 v[2:3], v[2:3], v[10:11], v[6:7] op_sel:[0,0,1] op_sel_hi:[1,0,0]
	v_mov_b32_e32 v15, v3
	v_pk_mul_f32 v[2:3], v[4:5], v[12:13] op_sel:[0,1]
	s_delay_alu instid0(VALU_DEP_1) | instskip(SKIP_1) | instid1(VALU_DEP_1)
	v_pk_fma_f32 v[6:7], v[4:5], v[10:11], v[2:3] op_sel:[0,0,1] op_sel_hi:[1,1,0] neg_lo:[0,0,1] neg_hi:[0,0,1]
	v_pk_fma_f32 v[2:3], v[4:5], v[10:11], v[2:3] op_sel:[0,0,1] op_sel_hi:[1,0,0]
	v_mov_b32_e32 v7, v3
	ds_load_2addr_b64 v[2:5], v126 offset0:62 offset1:63
	v_pk_add_f32 v[248:249], v[248:249], v[14:15] neg_lo:[0,1] neg_hi:[0,1]
	v_pk_add_f32 v[242:243], v[242:243], v[6:7] neg_lo:[0,1] neg_hi:[0,1]
	s_wait_dscnt 0x0
	v_dual_mul_f32 v6, v3, v13 :: v_dual_mul_f32 v12, v3, v10
	s_delay_alu instid0(VALU_DEP_1) | instskip(NEXT) | instid1(VALU_DEP_2)
	v_pk_fma_f32 v[6:7], v[2:3], v[144:145], v[6:7] op_sel_hi:[1,1,0] neg_lo:[0,0,1] neg_hi:[0,0,1]
	v_pk_fma_f32 v[2:3], v[2:3], v[144:145], v[12:13] op_sel:[1,0,0] op_sel_hi:[0,1,0]
	s_delay_alu instid0(VALU_DEP_1) | instskip(SKIP_1) | instid1(VALU_DEP_2)
	v_dual_mov_b32 v2, v5 :: v_dual_mov_b32 v7, v3
	v_mov_b32_e32 v3, v4
	v_pk_add_f32 v[254:255], v[254:255], v[6:7] neg_lo:[0,1] neg_hi:[0,1]
	v_mul_f32_e32 v6, v5, v13
	s_delay_alu instid0(VALU_DEP_1) | instskip(SKIP_1) | instid1(VALU_DEP_1)
	v_pk_fma_f32 v[6:7], v[4:5], v[144:145], v[6:7] op_sel_hi:[1,1,0] neg_lo:[0,0,1] neg_hi:[0,0,1]
	v_mul_f32_e32 v4, v5, v10
	v_pk_fma_f32 v[2:3], v[2:3], v[144:145], v[4:5] op_sel_hi:[1,1,0]
	s_delay_alu instid0(VALU_DEP_1) | instskip(NEXT) | instid1(VALU_DEP_1)
	v_mov_b32_e32 v7, v3
	v_pk_add_f32 v[0:1], v[0:1], v[6:7] neg_lo:[0,1] neg_hi:[0,1]
.LBB127_37:
	s_wait_xcnt 0x0
	s_or_b32 exec_lo, exec_lo, s1
	s_delay_alu instid0(SALU_CYCLE_1)
	s_mov_b32 s2, exec_lo
	s_wait_storecnt 0x0
	s_barrier_signal -1
	s_barrier_wait -1
	v_cmpx_eq_u32_e32 4, v18
	s_cbranch_execz .LBB127_44
; %bb.38:
	ds_store_b64 v19, v[136:137]
	ds_store_2addr_b64 v126, v[132:133], v[134:135] offset0:5 offset1:6
	ds_store_2addr_b64 v126, v[130:131], v[138:139] offset0:7 offset1:8
	;; [unrolled: 1-line block ×29, first 2 shown]
	ds_store_b64 v126, v[0:1] offset:504
	ds_load_b64 v[2:3], v19
	s_wait_dscnt 0x0
	v_cmp_neq_f32_e32 vcc_lo, 0, v2
	v_cmp_neq_f32_e64 s1, 0, v3
	s_or_b32 s1, vcc_lo, s1
	s_delay_alu instid0(SALU_CYCLE_1)
	s_and_b32 exec_lo, exec_lo, s1
	s_cbranch_execz .LBB127_44
; %bb.39:
	v_cmp_ngt_f32_e64 s1, |v2|, |v3|
                                        ; implicit-def: $vgpr4_vgpr5
	s_and_saveexec_b32 s4, s1
	s_delay_alu instid0(SALU_CYCLE_1)
	s_xor_b32 s1, exec_lo, s4
	s_cbranch_execz .LBB127_41
; %bb.40:
	v_div_scale_f32 v4, null, v3, v3, v2
	v_div_scale_f32 v7, vcc_lo, v2, v3, v2
	s_delay_alu instid0(VALU_DEP_2) | instskip(SKIP_1) | instid1(TRANS32_DEP_1)
	v_rcp_f32_e32 v5, v4
	v_nop
	v_fma_f32 v6, -v4, v5, 1.0
	s_delay_alu instid0(VALU_DEP_1) | instskip(NEXT) | instid1(VALU_DEP_1)
	v_fmac_f32_e32 v5, v6, v5
	v_mul_f32_e32 v6, v7, v5
	s_delay_alu instid0(VALU_DEP_1) | instskip(NEXT) | instid1(VALU_DEP_1)
	v_fma_f32 v8, -v4, v6, v7
	v_fmac_f32_e32 v6, v8, v5
	s_delay_alu instid0(VALU_DEP_1) | instskip(NEXT) | instid1(VALU_DEP_1)
	v_fma_f32 v4, -v4, v6, v7
	v_div_fmas_f32 v4, v4, v5, v6
	s_delay_alu instid0(VALU_DEP_1) | instskip(NEXT) | instid1(VALU_DEP_1)
	v_div_fixup_f32 v4, v4, v3, v2
	v_fmac_f32_e32 v3, v2, v4
	s_delay_alu instid0(VALU_DEP_1) | instskip(SKIP_1) | instid1(VALU_DEP_2)
	v_div_scale_f32 v2, null, v3, v3, 1.0
	v_div_scale_f32 v7, vcc_lo, 1.0, v3, 1.0
	v_rcp_f32_e32 v5, v2
	v_nop
	s_delay_alu instid0(TRANS32_DEP_1) | instskip(NEXT) | instid1(VALU_DEP_1)
	v_fma_f32 v6, -v2, v5, 1.0
	v_fmac_f32_e32 v5, v6, v5
	s_delay_alu instid0(VALU_DEP_1) | instskip(NEXT) | instid1(VALU_DEP_1)
	v_mul_f32_e32 v6, v7, v5
	v_fma_f32 v8, -v2, v6, v7
	s_delay_alu instid0(VALU_DEP_1) | instskip(NEXT) | instid1(VALU_DEP_1)
	v_fmac_f32_e32 v6, v8, v5
	v_fma_f32 v2, -v2, v6, v7
	s_delay_alu instid0(VALU_DEP_1) | instskip(NEXT) | instid1(VALU_DEP_1)
	v_div_fmas_f32 v2, v2, v5, v6
	v_div_fixup_f32 v2, v2, v3, 1.0
	s_delay_alu instid0(VALU_DEP_1)
	v_mul_f32_e32 v4, v4, v2
	v_xor_b32_e32 v5, 0x80000000, v2
                                        ; implicit-def: $vgpr2_vgpr3
.LBB127_41:
	s_and_not1_saveexec_b32 s1, s1
	s_cbranch_execz .LBB127_43
; %bb.42:
	v_div_scale_f32 v4, null, v2, v2, v3
	v_div_scale_f32 v7, vcc_lo, v3, v2, v3
	s_delay_alu instid0(VALU_DEP_2) | instskip(SKIP_1) | instid1(TRANS32_DEP_1)
	v_rcp_f32_e32 v5, v4
	v_nop
	v_fma_f32 v6, -v4, v5, 1.0
	s_delay_alu instid0(VALU_DEP_1) | instskip(NEXT) | instid1(VALU_DEP_1)
	v_fmac_f32_e32 v5, v6, v5
	v_mul_f32_e32 v6, v7, v5
	s_delay_alu instid0(VALU_DEP_1) | instskip(NEXT) | instid1(VALU_DEP_1)
	v_fma_f32 v8, -v4, v6, v7
	v_fmac_f32_e32 v6, v8, v5
	s_delay_alu instid0(VALU_DEP_1) | instskip(NEXT) | instid1(VALU_DEP_1)
	v_fma_f32 v4, -v4, v6, v7
	v_div_fmas_f32 v4, v4, v5, v6
	s_delay_alu instid0(VALU_DEP_1) | instskip(NEXT) | instid1(VALU_DEP_1)
	v_div_fixup_f32 v5, v4, v2, v3
	v_fmac_f32_e32 v2, v3, v5
	s_delay_alu instid0(VALU_DEP_1) | instskip(NEXT) | instid1(VALU_DEP_1)
	v_div_scale_f32 v3, null, v2, v2, 1.0
	v_rcp_f32_e32 v4, v3
	v_nop
	s_delay_alu instid0(TRANS32_DEP_1) | instskip(NEXT) | instid1(VALU_DEP_1)
	v_fma_f32 v6, -v3, v4, 1.0
	v_fmac_f32_e32 v4, v6, v4
	v_div_scale_f32 v6, vcc_lo, 1.0, v2, 1.0
	s_delay_alu instid0(VALU_DEP_1) | instskip(NEXT) | instid1(VALU_DEP_1)
	v_mul_f32_e32 v7, v6, v4
	v_fma_f32 v8, -v3, v7, v6
	s_delay_alu instid0(VALU_DEP_1) | instskip(NEXT) | instid1(VALU_DEP_1)
	v_fmac_f32_e32 v7, v8, v4
	v_fma_f32 v3, -v3, v7, v6
	s_delay_alu instid0(VALU_DEP_1) | instskip(NEXT) | instid1(VALU_DEP_1)
	v_div_fmas_f32 v3, v3, v4, v7
	v_div_fixup_f32 v4, v3, v2, 1.0
	s_delay_alu instid0(VALU_DEP_1)
	v_mul_f32_e64 v5, v5, -v4
.LBB127_43:
	s_or_b32 exec_lo, exec_lo, s1
	ds_store_b64 v19, v[4:5]
.LBB127_44:
	s_or_b32 exec_lo, exec_lo, s2
	s_wait_dscnt 0x0
	s_barrier_signal -1
	s_barrier_wait -1
	ds_load_b64 v[2:3], v19
	s_mov_b32 s1, exec_lo
	s_wait_dscnt 0x0
	scratch_store_b64 off, v[2:3], off offset:544 ; 8-byte Folded Spill
	s_wait_xcnt 0x0
	v_cmpx_lt_u32_e32 4, v18
	s_cbranch_execz .LBB127_46
; %bb.45:
	scratch_load_b64 v[4:5], off, off offset:544 ; 8-byte Folded Reload
	s_wait_loadcnt 0x0
	v_pk_mul_f32 v[2:3], v[4:5], v[136:137] op_sel:[1,1] op_sel_hi:[0,1]
	s_delay_alu instid0(VALU_DEP_1)
	v_pk_fma_f32 v[12:13], v[4:5], v[136:137], v[2:3] op_sel_hi:[1,0,1] neg_lo:[0,0,1] neg_hi:[0,0,1]
	v_pk_fma_f32 v[14:15], v[4:5], v[136:137], v[2:3] op_sel_hi:[1,0,1]
	ds_load_2addr_b64 v[2:5], v126 offset0:5 offset1:6
	v_dual_mov_b32 v136, v12 :: v_dual_mov_b32 v137, v15
	s_wait_dscnt 0x0
	v_pk_mul_f32 v[6:7], v[2:3], v[14:15] op_sel:[0,1]
	s_delay_alu instid0(VALU_DEP_1) | instskip(SKIP_1) | instid1(VALU_DEP_1)
	v_pk_fma_f32 v[16:17], v[2:3], v[12:13], v[6:7] op_sel:[0,0,1] op_sel_hi:[1,1,0] neg_lo:[0,0,1] neg_hi:[0,0,1]
	v_pk_fma_f32 v[2:3], v[2:3], v[12:13], v[6:7] op_sel:[0,0,1] op_sel_hi:[1,0,0]
	v_mov_b32_e32 v17, v3
	v_pk_mul_f32 v[2:3], v[4:5], v[14:15] op_sel:[0,1]
	s_delay_alu instid0(VALU_DEP_1) | instskip(SKIP_1) | instid1(VALU_DEP_1)
	v_pk_fma_f32 v[6:7], v[4:5], v[12:13], v[2:3] op_sel:[0,0,1] op_sel_hi:[1,1,0] neg_lo:[0,0,1] neg_hi:[0,0,1]
	v_pk_fma_f32 v[2:3], v[4:5], v[12:13], v[2:3] op_sel:[0,0,1] op_sel_hi:[1,0,0]
	v_mov_b32_e32 v7, v3
	ds_load_2addr_b64 v[2:5], v126 offset0:7 offset1:8
	v_pk_add_f32 v[132:133], v[132:133], v[16:17] neg_lo:[0,1] neg_hi:[0,1]
	v_pk_add_f32 v[134:135], v[134:135], v[6:7] neg_lo:[0,1] neg_hi:[0,1]
	s_wait_dscnt 0x0
	v_pk_mul_f32 v[6:7], v[2:3], v[14:15] op_sel:[0,1]
	s_delay_alu instid0(VALU_DEP_1) | instskip(SKIP_2) | instid1(VALU_DEP_2)
	v_pk_fma_f32 v[16:17], v[2:3], v[12:13], v[6:7] op_sel:[0,0,1] op_sel_hi:[1,1,0] neg_lo:[0,0,1] neg_hi:[0,0,1]
	v_pk_fma_f32 v[2:3], v[2:3], v[12:13], v[6:7] op_sel:[0,0,1] op_sel_hi:[1,0,0]
	v_dual_mul_f32 v6, v5, v15 :: v_dual_mov_b32 v2, v5
	v_dual_mov_b32 v17, v3 :: v_dual_mov_b32 v3, v4
	s_delay_alu instid0(VALU_DEP_2) | instskip(SKIP_1) | instid1(VALU_DEP_3)
	v_pk_fma_f32 v[6:7], v[4:5], v[136:137], v[6:7] op_sel_hi:[1,1,0] neg_lo:[0,0,1] neg_hi:[0,0,1]
	v_mul_f32_e32 v4, v5, v12
	v_pk_add_f32 v[130:131], v[130:131], v[16:17] neg_lo:[0,1] neg_hi:[0,1]
	s_delay_alu instid0(VALU_DEP_2) | instskip(NEXT) | instid1(VALU_DEP_1)
	v_pk_fma_f32 v[2:3], v[2:3], v[136:137], v[4:5] op_sel_hi:[1,1,0]
	v_mov_b32_e32 v7, v3
	ds_load_2addr_b64 v[2:5], v126 offset0:9 offset1:10
	v_pk_add_f32 v[138:139], v[138:139], v[6:7] neg_lo:[0,1] neg_hi:[0,1]
	s_wait_dscnt 0x0
	v_pk_mul_f32 v[6:7], v[2:3], v[14:15] op_sel:[0,1]
	s_delay_alu instid0(VALU_DEP_1) | instskip(SKIP_1) | instid1(VALU_DEP_1)
	v_pk_fma_f32 v[16:17], v[2:3], v[12:13], v[6:7] op_sel:[0,0,1] op_sel_hi:[1,1,0] neg_lo:[0,0,1] neg_hi:[0,0,1]
	v_pk_fma_f32 v[2:3], v[2:3], v[12:13], v[6:7] op_sel:[0,0,1] op_sel_hi:[1,0,0]
	v_mov_b32_e32 v17, v3
	v_pk_mul_f32 v[2:3], v[4:5], v[14:15] op_sel:[0,1]
	s_delay_alu instid0(VALU_DEP_1) | instskip(SKIP_1) | instid1(VALU_DEP_1)
	v_pk_fma_f32 v[6:7], v[4:5], v[12:13], v[2:3] op_sel:[0,0,1] op_sel_hi:[1,1,0] neg_lo:[0,0,1] neg_hi:[0,0,1]
	v_pk_fma_f32 v[2:3], v[4:5], v[12:13], v[2:3] op_sel:[0,0,1] op_sel_hi:[1,0,0]
	v_mov_b32_e32 v7, v3
	ds_load_2addr_b64 v[2:5], v126 offset0:11 offset1:12
	v_pk_add_f32 v[140:141], v[140:141], v[16:17] neg_lo:[0,1] neg_hi:[0,1]
	v_pk_add_f32 v[146:147], v[146:147], v[6:7] neg_lo:[0,1] neg_hi:[0,1]
	s_wait_dscnt 0x0
	v_pk_mul_f32 v[6:7], v[2:3], v[14:15] op_sel:[0,1]
	s_delay_alu instid0(VALU_DEP_1) | instskip(SKIP_1) | instid1(VALU_DEP_1)
	v_pk_fma_f32 v[16:17], v[2:3], v[12:13], v[6:7] op_sel:[0,0,1] op_sel_hi:[1,1,0] neg_lo:[0,0,1] neg_hi:[0,0,1]
	v_pk_fma_f32 v[2:3], v[2:3], v[12:13], v[6:7] op_sel:[0,0,1] op_sel_hi:[1,0,0]
	v_mov_b32_e32 v17, v3
	v_pk_mul_f32 v[2:3], v[4:5], v[14:15] op_sel:[0,1]
	s_delay_alu instid0(VALU_DEP_1) | instskip(SKIP_1) | instid1(VALU_DEP_1)
	v_pk_fma_f32 v[6:7], v[4:5], v[12:13], v[2:3] op_sel:[0,0,1] op_sel_hi:[1,1,0] neg_lo:[0,0,1] neg_hi:[0,0,1]
	v_pk_fma_f32 v[2:3], v[4:5], v[12:13], v[2:3] op_sel:[0,0,1] op_sel_hi:[1,0,0]
	v_mov_b32_e32 v7, v3
	ds_load_2addr_b64 v[2:5], v126 offset0:13 offset1:14
	v_pk_add_f32 v[152:153], v[152:153], v[16:17] neg_lo:[0,1] neg_hi:[0,1]
	v_pk_add_f32 v[154:155], v[154:155], v[6:7] neg_lo:[0,1] neg_hi:[0,1]
	s_wait_dscnt 0x0
	v_dual_mul_f32 v6, v3, v15 :: v_dual_mul_f32 v16, v3, v12
	s_delay_alu instid0(VALU_DEP_1) | instskip(NEXT) | instid1(VALU_DEP_2)
	v_pk_fma_f32 v[6:7], v[2:3], v[136:137], v[6:7] op_sel_hi:[1,1,0] neg_lo:[0,0,1] neg_hi:[0,0,1]
	v_pk_fma_f32 v[2:3], v[2:3], v[136:137], v[16:17] op_sel:[1,0,0] op_sel_hi:[0,1,0]
	s_delay_alu instid0(VALU_DEP_1) | instskip(SKIP_1) | instid1(VALU_DEP_2)
	v_mov_b32_e32 v7, v3
	v_pk_mul_f32 v[2:3], v[4:5], v[14:15] op_sel:[0,1]
	v_pk_add_f32 v[156:157], v[156:157], v[6:7] neg_lo:[0,1] neg_hi:[0,1]
	s_delay_alu instid0(VALU_DEP_2) | instskip(SKIP_1) | instid1(VALU_DEP_1)
	v_pk_fma_f32 v[6:7], v[4:5], v[12:13], v[2:3] op_sel:[0,0,1] op_sel_hi:[1,1,0] neg_lo:[0,0,1] neg_hi:[0,0,1]
	v_pk_fma_f32 v[2:3], v[4:5], v[12:13], v[2:3] op_sel:[0,0,1] op_sel_hi:[1,0,0]
	v_mov_b32_e32 v7, v3
	ds_load_2addr_b64 v[2:5], v126 offset0:15 offset1:16
	v_pk_add_f32 v[158:159], v[158:159], v[6:7] neg_lo:[0,1] neg_hi:[0,1]
	s_wait_dscnt 0x0
	v_pk_mul_f32 v[6:7], v[2:3], v[14:15] op_sel:[0,1]
	s_delay_alu instid0(VALU_DEP_1) | instskip(SKIP_1) | instid1(VALU_DEP_1)
	v_pk_fma_f32 v[16:17], v[2:3], v[12:13], v[6:7] op_sel:[0,0,1] op_sel_hi:[1,1,0] neg_lo:[0,0,1] neg_hi:[0,0,1]
	v_pk_fma_f32 v[2:3], v[2:3], v[12:13], v[6:7] op_sel:[0,0,1] op_sel_hi:[1,0,0]
	v_mov_b32_e32 v17, v3
	v_pk_mul_f32 v[2:3], v[4:5], v[14:15] op_sel:[0,1]
	s_delay_alu instid0(VALU_DEP_2) | instskip(NEXT) | instid1(VALU_DEP_2)
	v_pk_add_f32 v[160:161], v[160:161], v[16:17] neg_lo:[0,1] neg_hi:[0,1]
	v_pk_fma_f32 v[6:7], v[4:5], v[12:13], v[2:3] op_sel:[0,0,1] op_sel_hi:[1,1,0] neg_lo:[0,0,1] neg_hi:[0,0,1]
	v_pk_fma_f32 v[2:3], v[4:5], v[12:13], v[2:3] op_sel:[0,0,1] op_sel_hi:[1,0,0]
	s_delay_alu instid0(VALU_DEP_1) | instskip(SKIP_4) | instid1(VALU_DEP_1)
	v_mov_b32_e32 v7, v3
	ds_load_2addr_b64 v[2:5], v126 offset0:17 offset1:18
	v_pk_add_f32 v[162:163], v[162:163], v[6:7] neg_lo:[0,1] neg_hi:[0,1]
	s_wait_dscnt 0x0
	v_pk_mul_f32 v[6:7], v[2:3], v[14:15] op_sel:[0,1]
	v_pk_fma_f32 v[16:17], v[2:3], v[12:13], v[6:7] op_sel:[0,0,1] op_sel_hi:[1,1,0] neg_lo:[0,0,1] neg_hi:[0,0,1]
	v_pk_fma_f32 v[2:3], v[2:3], v[12:13], v[6:7] op_sel:[0,0,1] op_sel_hi:[1,0,0]
	v_dual_mul_f32 v6, v5, v15 :: v_dual_mov_b32 v2, v5
	s_delay_alu instid0(VALU_DEP_2) | instskip(NEXT) | instid1(VALU_DEP_2)
	v_dual_mov_b32 v17, v3 :: v_dual_mov_b32 v3, v4
	v_pk_fma_f32 v[6:7], v[4:5], v[136:137], v[6:7] op_sel_hi:[1,1,0] neg_lo:[0,0,1] neg_hi:[0,0,1]
	v_mul_f32_e32 v4, v5, v12
	s_delay_alu instid0(VALU_DEP_3) | instskip(NEXT) | instid1(VALU_DEP_2)
	v_pk_add_f32 v[164:165], v[164:165], v[16:17] neg_lo:[0,1] neg_hi:[0,1]
	v_pk_fma_f32 v[2:3], v[2:3], v[136:137], v[4:5] op_sel_hi:[1,1,0]
	s_delay_alu instid0(VALU_DEP_1) | instskip(SKIP_4) | instid1(VALU_DEP_1)
	v_mov_b32_e32 v7, v3
	ds_load_2addr_b64 v[2:5], v126 offset0:19 offset1:20
	v_pk_add_f32 v[166:167], v[166:167], v[6:7] neg_lo:[0,1] neg_hi:[0,1]
	s_wait_dscnt 0x0
	v_pk_mul_f32 v[6:7], v[2:3], v[14:15] op_sel:[0,1]
	v_pk_fma_f32 v[16:17], v[2:3], v[12:13], v[6:7] op_sel:[0,0,1] op_sel_hi:[1,1,0] neg_lo:[0,0,1] neg_hi:[0,0,1]
	v_pk_fma_f32 v[2:3], v[2:3], v[12:13], v[6:7] op_sel:[0,0,1] op_sel_hi:[1,0,0]
	s_delay_alu instid0(VALU_DEP_1) | instskip(SKIP_1) | instid1(VALU_DEP_1)
	v_mov_b32_e32 v17, v3
	v_pk_mul_f32 v[2:3], v[4:5], v[14:15] op_sel:[0,1]
	v_pk_fma_f32 v[6:7], v[4:5], v[12:13], v[2:3] op_sel:[0,0,1] op_sel_hi:[1,1,0] neg_lo:[0,0,1] neg_hi:[0,0,1]
	v_pk_fma_f32 v[2:3], v[4:5], v[12:13], v[2:3] op_sel:[0,0,1] op_sel_hi:[1,0,0]
	s_delay_alu instid0(VALU_DEP_1)
	v_mov_b32_e32 v7, v3
	ds_load_2addr_b64 v[2:5], v126 offset0:21 offset1:22
	v_pk_add_f32 v[168:169], v[168:169], v[16:17] neg_lo:[0,1] neg_hi:[0,1]
	v_pk_add_f32 v[170:171], v[170:171], v[6:7] neg_lo:[0,1] neg_hi:[0,1]
	s_wait_dscnt 0x0
	v_pk_mul_f32 v[6:7], v[2:3], v[14:15] op_sel:[0,1]
	s_delay_alu instid0(VALU_DEP_1) | instskip(SKIP_1) | instid1(VALU_DEP_1)
	v_pk_fma_f32 v[16:17], v[2:3], v[12:13], v[6:7] op_sel:[0,0,1] op_sel_hi:[1,1,0] neg_lo:[0,0,1] neg_hi:[0,0,1]
	v_pk_fma_f32 v[2:3], v[2:3], v[12:13], v[6:7] op_sel:[0,0,1] op_sel_hi:[1,0,0]
	v_mov_b32_e32 v17, v3
	v_pk_mul_f32 v[2:3], v[4:5], v[14:15] op_sel:[0,1]
	s_delay_alu instid0(VALU_DEP_1) | instskip(SKIP_1) | instid1(VALU_DEP_1)
	v_pk_fma_f32 v[6:7], v[4:5], v[12:13], v[2:3] op_sel:[0,0,1] op_sel_hi:[1,1,0] neg_lo:[0,0,1] neg_hi:[0,0,1]
	v_pk_fma_f32 v[2:3], v[4:5], v[12:13], v[2:3] op_sel:[0,0,1] op_sel_hi:[1,0,0]
	v_mov_b32_e32 v7, v3
	ds_load_2addr_b64 v[2:5], v126 offset0:23 offset1:24
	v_pk_add_f32 v[172:173], v[172:173], v[16:17] neg_lo:[0,1] neg_hi:[0,1]
	v_pk_add_f32 v[174:175], v[174:175], v[6:7] neg_lo:[0,1] neg_hi:[0,1]
	s_wait_dscnt 0x0
	v_dual_mul_f32 v6, v3, v15 :: v_dual_mul_f32 v16, v3, v12
	s_delay_alu instid0(VALU_DEP_1) | instskip(NEXT) | instid1(VALU_DEP_2)
	v_pk_fma_f32 v[6:7], v[2:3], v[136:137], v[6:7] op_sel_hi:[1,1,0] neg_lo:[0,0,1] neg_hi:[0,0,1]
	v_pk_fma_f32 v[2:3], v[2:3], v[136:137], v[16:17] op_sel:[1,0,0] op_sel_hi:[0,1,0]
	s_delay_alu instid0(VALU_DEP_1) | instskip(SKIP_1) | instid1(VALU_DEP_2)
	v_mov_b32_e32 v7, v3
	v_pk_mul_f32 v[2:3], v[4:5], v[14:15] op_sel:[0,1]
	v_pk_add_f32 v[176:177], v[176:177], v[6:7] neg_lo:[0,1] neg_hi:[0,1]
	s_delay_alu instid0(VALU_DEP_2) | instskip(SKIP_1) | instid1(VALU_DEP_1)
	v_pk_fma_f32 v[6:7], v[4:5], v[12:13], v[2:3] op_sel:[0,0,1] op_sel_hi:[1,1,0] neg_lo:[0,0,1] neg_hi:[0,0,1]
	v_pk_fma_f32 v[2:3], v[4:5], v[12:13], v[2:3] op_sel:[0,0,1] op_sel_hi:[1,0,0]
	v_mov_b32_e32 v7, v3
	ds_load_2addr_b64 v[2:5], v126 offset0:25 offset1:26
	v_pk_add_f32 v[178:179], v[178:179], v[6:7] neg_lo:[0,1] neg_hi:[0,1]
	s_wait_dscnt 0x0
	v_pk_mul_f32 v[6:7], v[2:3], v[14:15] op_sel:[0,1]
	s_delay_alu instid0(VALU_DEP_1) | instskip(SKIP_1) | instid1(VALU_DEP_1)
	v_pk_fma_f32 v[16:17], v[2:3], v[12:13], v[6:7] op_sel:[0,0,1] op_sel_hi:[1,1,0] neg_lo:[0,0,1] neg_hi:[0,0,1]
	v_pk_fma_f32 v[2:3], v[2:3], v[12:13], v[6:7] op_sel:[0,0,1] op_sel_hi:[1,0,0]
	v_mov_b32_e32 v17, v3
	v_pk_mul_f32 v[2:3], v[4:5], v[14:15] op_sel:[0,1]
	s_delay_alu instid0(VALU_DEP_2) | instskip(NEXT) | instid1(VALU_DEP_2)
	v_pk_add_f32 v[180:181], v[180:181], v[16:17] neg_lo:[0,1] neg_hi:[0,1]
	v_pk_fma_f32 v[6:7], v[4:5], v[12:13], v[2:3] op_sel:[0,0,1] op_sel_hi:[1,1,0] neg_lo:[0,0,1] neg_hi:[0,0,1]
	v_pk_fma_f32 v[2:3], v[4:5], v[12:13], v[2:3] op_sel:[0,0,1] op_sel_hi:[1,0,0]
	s_delay_alu instid0(VALU_DEP_1) | instskip(SKIP_4) | instid1(VALU_DEP_1)
	v_mov_b32_e32 v7, v3
	ds_load_2addr_b64 v[2:5], v126 offset0:27 offset1:28
	v_pk_add_f32 v[182:183], v[182:183], v[6:7] neg_lo:[0,1] neg_hi:[0,1]
	s_wait_dscnt 0x0
	v_pk_mul_f32 v[6:7], v[2:3], v[14:15] op_sel:[0,1]
	v_pk_fma_f32 v[16:17], v[2:3], v[12:13], v[6:7] op_sel:[0,0,1] op_sel_hi:[1,1,0] neg_lo:[0,0,1] neg_hi:[0,0,1]
	v_pk_fma_f32 v[2:3], v[2:3], v[12:13], v[6:7] op_sel:[0,0,1] op_sel_hi:[1,0,0]
	v_dual_mul_f32 v6, v5, v15 :: v_dual_mov_b32 v2, v5
	s_delay_alu instid0(VALU_DEP_2) | instskip(NEXT) | instid1(VALU_DEP_2)
	v_dual_mov_b32 v17, v3 :: v_dual_mov_b32 v3, v4
	v_pk_fma_f32 v[6:7], v[4:5], v[136:137], v[6:7] op_sel_hi:[1,1,0] neg_lo:[0,0,1] neg_hi:[0,0,1]
	v_mul_f32_e32 v4, v5, v12
	s_delay_alu instid0(VALU_DEP_3) | instskip(NEXT) | instid1(VALU_DEP_2)
	v_pk_add_f32 v[184:185], v[184:185], v[16:17] neg_lo:[0,1] neg_hi:[0,1]
	v_pk_fma_f32 v[2:3], v[2:3], v[136:137], v[4:5] op_sel_hi:[1,1,0]
	s_delay_alu instid0(VALU_DEP_1) | instskip(SKIP_4) | instid1(VALU_DEP_1)
	v_mov_b32_e32 v7, v3
	ds_load_2addr_b64 v[2:5], v126 offset0:29 offset1:30
	v_pk_add_f32 v[186:187], v[186:187], v[6:7] neg_lo:[0,1] neg_hi:[0,1]
	s_wait_dscnt 0x0
	v_pk_mul_f32 v[6:7], v[2:3], v[14:15] op_sel:[0,1]
	v_pk_fma_f32 v[16:17], v[2:3], v[12:13], v[6:7] op_sel:[0,0,1] op_sel_hi:[1,1,0] neg_lo:[0,0,1] neg_hi:[0,0,1]
	v_pk_fma_f32 v[2:3], v[2:3], v[12:13], v[6:7] op_sel:[0,0,1] op_sel_hi:[1,0,0]
	s_delay_alu instid0(VALU_DEP_1) | instskip(SKIP_1) | instid1(VALU_DEP_1)
	v_mov_b32_e32 v17, v3
	v_pk_mul_f32 v[2:3], v[4:5], v[14:15] op_sel:[0,1]
	v_pk_fma_f32 v[6:7], v[4:5], v[12:13], v[2:3] op_sel:[0,0,1] op_sel_hi:[1,1,0] neg_lo:[0,0,1] neg_hi:[0,0,1]
	v_pk_fma_f32 v[2:3], v[4:5], v[12:13], v[2:3] op_sel:[0,0,1] op_sel_hi:[1,0,0]
	s_delay_alu instid0(VALU_DEP_1)
	v_mov_b32_e32 v7, v3
	ds_load_2addr_b64 v[2:5], v126 offset0:31 offset1:32
	v_pk_add_f32 v[188:189], v[188:189], v[16:17] neg_lo:[0,1] neg_hi:[0,1]
	v_pk_add_f32 v[190:191], v[190:191], v[6:7] neg_lo:[0,1] neg_hi:[0,1]
	s_wait_dscnt 0x0
	v_pk_mul_f32 v[6:7], v[2:3], v[14:15] op_sel:[0,1]
	s_delay_alu instid0(VALU_DEP_1) | instskip(SKIP_1) | instid1(VALU_DEP_1)
	v_pk_fma_f32 v[16:17], v[2:3], v[12:13], v[6:7] op_sel:[0,0,1] op_sel_hi:[1,1,0] neg_lo:[0,0,1] neg_hi:[0,0,1]
	v_pk_fma_f32 v[2:3], v[2:3], v[12:13], v[6:7] op_sel:[0,0,1] op_sel_hi:[1,0,0]
	v_mov_b32_e32 v17, v3
	v_pk_mul_f32 v[2:3], v[4:5], v[14:15] op_sel:[0,1]
	s_delay_alu instid0(VALU_DEP_1) | instskip(SKIP_1) | instid1(VALU_DEP_1)
	v_pk_fma_f32 v[6:7], v[4:5], v[12:13], v[2:3] op_sel:[0,0,1] op_sel_hi:[1,1,0] neg_lo:[0,0,1] neg_hi:[0,0,1]
	v_pk_fma_f32 v[2:3], v[4:5], v[12:13], v[2:3] op_sel:[0,0,1] op_sel_hi:[1,0,0]
	v_mov_b32_e32 v7, v3
	ds_load_2addr_b64 v[2:5], v126 offset0:33 offset1:34
	v_pk_add_f32 v[192:193], v[192:193], v[16:17] neg_lo:[0,1] neg_hi:[0,1]
	v_pk_add_f32 v[194:195], v[194:195], v[6:7] neg_lo:[0,1] neg_hi:[0,1]
	s_wait_dscnt 0x0
	v_dual_mul_f32 v6, v3, v15 :: v_dual_mul_f32 v16, v3, v12
	s_delay_alu instid0(VALU_DEP_1) | instskip(NEXT) | instid1(VALU_DEP_2)
	v_pk_fma_f32 v[6:7], v[2:3], v[136:137], v[6:7] op_sel_hi:[1,1,0] neg_lo:[0,0,1] neg_hi:[0,0,1]
	v_pk_fma_f32 v[2:3], v[2:3], v[136:137], v[16:17] op_sel:[1,0,0] op_sel_hi:[0,1,0]
	s_delay_alu instid0(VALU_DEP_1) | instskip(SKIP_1) | instid1(VALU_DEP_2)
	v_mov_b32_e32 v7, v3
	v_pk_mul_f32 v[2:3], v[4:5], v[14:15] op_sel:[0,1]
	v_pk_add_f32 v[196:197], v[196:197], v[6:7] neg_lo:[0,1] neg_hi:[0,1]
	s_delay_alu instid0(VALU_DEP_2) | instskip(SKIP_1) | instid1(VALU_DEP_1)
	v_pk_fma_f32 v[6:7], v[4:5], v[12:13], v[2:3] op_sel:[0,0,1] op_sel_hi:[1,1,0] neg_lo:[0,0,1] neg_hi:[0,0,1]
	v_pk_fma_f32 v[2:3], v[4:5], v[12:13], v[2:3] op_sel:[0,0,1] op_sel_hi:[1,0,0]
	v_mov_b32_e32 v7, v3
	ds_load_2addr_b64 v[2:5], v126 offset0:35 offset1:36
	v_pk_add_f32 v[198:199], v[198:199], v[6:7] neg_lo:[0,1] neg_hi:[0,1]
	s_wait_dscnt 0x0
	v_pk_mul_f32 v[6:7], v[2:3], v[14:15] op_sel:[0,1]
	s_delay_alu instid0(VALU_DEP_1) | instskip(SKIP_1) | instid1(VALU_DEP_1)
	v_pk_fma_f32 v[16:17], v[2:3], v[12:13], v[6:7] op_sel:[0,0,1] op_sel_hi:[1,1,0] neg_lo:[0,0,1] neg_hi:[0,0,1]
	v_pk_fma_f32 v[2:3], v[2:3], v[12:13], v[6:7] op_sel:[0,0,1] op_sel_hi:[1,0,0]
	v_mov_b32_e32 v17, v3
	v_pk_mul_f32 v[2:3], v[4:5], v[14:15] op_sel:[0,1]
	s_delay_alu instid0(VALU_DEP_2) | instskip(NEXT) | instid1(VALU_DEP_2)
	v_pk_add_f32 v[200:201], v[200:201], v[16:17] neg_lo:[0,1] neg_hi:[0,1]
	v_pk_fma_f32 v[6:7], v[4:5], v[12:13], v[2:3] op_sel:[0,0,1] op_sel_hi:[1,1,0] neg_lo:[0,0,1] neg_hi:[0,0,1]
	v_pk_fma_f32 v[2:3], v[4:5], v[12:13], v[2:3] op_sel:[0,0,1] op_sel_hi:[1,0,0]
	s_delay_alu instid0(VALU_DEP_1) | instskip(SKIP_4) | instid1(VALU_DEP_1)
	v_mov_b32_e32 v7, v3
	ds_load_2addr_b64 v[2:5], v126 offset0:37 offset1:38
	v_pk_add_f32 v[202:203], v[202:203], v[6:7] neg_lo:[0,1] neg_hi:[0,1]
	s_wait_dscnt 0x0
	v_pk_mul_f32 v[6:7], v[2:3], v[14:15] op_sel:[0,1]
	v_pk_fma_f32 v[16:17], v[2:3], v[12:13], v[6:7] op_sel:[0,0,1] op_sel_hi:[1,1,0] neg_lo:[0,0,1] neg_hi:[0,0,1]
	v_pk_fma_f32 v[2:3], v[2:3], v[12:13], v[6:7] op_sel:[0,0,1] op_sel_hi:[1,0,0]
	v_dual_mul_f32 v6, v5, v15 :: v_dual_mov_b32 v2, v5
	s_delay_alu instid0(VALU_DEP_2) | instskip(NEXT) | instid1(VALU_DEP_2)
	v_dual_mov_b32 v17, v3 :: v_dual_mov_b32 v3, v4
	v_pk_fma_f32 v[6:7], v[4:5], v[136:137], v[6:7] op_sel_hi:[1,1,0] neg_lo:[0,0,1] neg_hi:[0,0,1]
	v_mul_f32_e32 v4, v5, v12
	s_delay_alu instid0(VALU_DEP_3) | instskip(NEXT) | instid1(VALU_DEP_2)
	v_pk_add_f32 v[204:205], v[204:205], v[16:17] neg_lo:[0,1] neg_hi:[0,1]
	v_pk_fma_f32 v[2:3], v[2:3], v[136:137], v[4:5] op_sel_hi:[1,1,0]
	s_delay_alu instid0(VALU_DEP_1) | instskip(SKIP_4) | instid1(VALU_DEP_1)
	v_mov_b32_e32 v7, v3
	ds_load_2addr_b64 v[2:5], v126 offset0:39 offset1:40
	v_pk_add_f32 v[206:207], v[206:207], v[6:7] neg_lo:[0,1] neg_hi:[0,1]
	s_wait_dscnt 0x0
	v_pk_mul_f32 v[6:7], v[2:3], v[14:15] op_sel:[0,1]
	v_pk_fma_f32 v[16:17], v[2:3], v[12:13], v[6:7] op_sel:[0,0,1] op_sel_hi:[1,1,0] neg_lo:[0,0,1] neg_hi:[0,0,1]
	v_pk_fma_f32 v[2:3], v[2:3], v[12:13], v[6:7] op_sel:[0,0,1] op_sel_hi:[1,0,0]
	s_delay_alu instid0(VALU_DEP_1) | instskip(SKIP_1) | instid1(VALU_DEP_1)
	v_mov_b32_e32 v17, v3
	v_pk_mul_f32 v[2:3], v[4:5], v[14:15] op_sel:[0,1]
	v_pk_fma_f32 v[6:7], v[4:5], v[12:13], v[2:3] op_sel:[0,0,1] op_sel_hi:[1,1,0] neg_lo:[0,0,1] neg_hi:[0,0,1]
	v_pk_fma_f32 v[2:3], v[4:5], v[12:13], v[2:3] op_sel:[0,0,1] op_sel_hi:[1,0,0]
	s_delay_alu instid0(VALU_DEP_1)
	v_mov_b32_e32 v7, v3
	ds_load_2addr_b64 v[2:5], v126 offset0:41 offset1:42
	v_pk_add_f32 v[208:209], v[208:209], v[16:17] neg_lo:[0,1] neg_hi:[0,1]
	v_pk_add_f32 v[210:211], v[210:211], v[6:7] neg_lo:[0,1] neg_hi:[0,1]
	s_wait_dscnt 0x0
	v_pk_mul_f32 v[6:7], v[2:3], v[14:15] op_sel:[0,1]
	s_delay_alu instid0(VALU_DEP_1) | instskip(SKIP_1) | instid1(VALU_DEP_1)
	v_pk_fma_f32 v[16:17], v[2:3], v[12:13], v[6:7] op_sel:[0,0,1] op_sel_hi:[1,1,0] neg_lo:[0,0,1] neg_hi:[0,0,1]
	v_pk_fma_f32 v[2:3], v[2:3], v[12:13], v[6:7] op_sel:[0,0,1] op_sel_hi:[1,0,0]
	v_mov_b32_e32 v17, v3
	v_pk_mul_f32 v[2:3], v[4:5], v[14:15] op_sel:[0,1]
	s_delay_alu instid0(VALU_DEP_1) | instskip(SKIP_1) | instid1(VALU_DEP_1)
	v_pk_fma_f32 v[6:7], v[4:5], v[12:13], v[2:3] op_sel:[0,0,1] op_sel_hi:[1,1,0] neg_lo:[0,0,1] neg_hi:[0,0,1]
	v_pk_fma_f32 v[2:3], v[4:5], v[12:13], v[2:3] op_sel:[0,0,1] op_sel_hi:[1,0,0]
	v_mov_b32_e32 v7, v3
	ds_load_2addr_b64 v[2:5], v126 offset0:43 offset1:44
	v_pk_add_f32 v[212:213], v[212:213], v[16:17] neg_lo:[0,1] neg_hi:[0,1]
	v_pk_add_f32 v[214:215], v[214:215], v[6:7] neg_lo:[0,1] neg_hi:[0,1]
	s_wait_dscnt 0x0
	v_dual_mul_f32 v6, v3, v15 :: v_dual_mul_f32 v16, v3, v12
	s_delay_alu instid0(VALU_DEP_1) | instskip(NEXT) | instid1(VALU_DEP_2)
	v_pk_fma_f32 v[6:7], v[2:3], v[136:137], v[6:7] op_sel_hi:[1,1,0] neg_lo:[0,0,1] neg_hi:[0,0,1]
	v_pk_fma_f32 v[2:3], v[2:3], v[136:137], v[16:17] op_sel:[1,0,0] op_sel_hi:[0,1,0]
	s_delay_alu instid0(VALU_DEP_1) | instskip(SKIP_1) | instid1(VALU_DEP_2)
	v_mov_b32_e32 v7, v3
	v_pk_mul_f32 v[2:3], v[4:5], v[14:15] op_sel:[0,1]
	v_pk_add_f32 v[216:217], v[216:217], v[6:7] neg_lo:[0,1] neg_hi:[0,1]
	s_delay_alu instid0(VALU_DEP_2) | instskip(SKIP_1) | instid1(VALU_DEP_1)
	v_pk_fma_f32 v[6:7], v[4:5], v[12:13], v[2:3] op_sel:[0,0,1] op_sel_hi:[1,1,0] neg_lo:[0,0,1] neg_hi:[0,0,1]
	v_pk_fma_f32 v[2:3], v[4:5], v[12:13], v[2:3] op_sel:[0,0,1] op_sel_hi:[1,0,0]
	v_mov_b32_e32 v7, v3
	ds_load_2addr_b64 v[2:5], v126 offset0:45 offset1:46
	v_pk_add_f32 v[218:219], v[218:219], v[6:7] neg_lo:[0,1] neg_hi:[0,1]
	s_wait_dscnt 0x0
	v_pk_mul_f32 v[6:7], v[2:3], v[14:15] op_sel:[0,1]
	s_delay_alu instid0(VALU_DEP_1) | instskip(SKIP_1) | instid1(VALU_DEP_1)
	v_pk_fma_f32 v[16:17], v[2:3], v[12:13], v[6:7] op_sel:[0,0,1] op_sel_hi:[1,1,0] neg_lo:[0,0,1] neg_hi:[0,0,1]
	v_pk_fma_f32 v[2:3], v[2:3], v[12:13], v[6:7] op_sel:[0,0,1] op_sel_hi:[1,0,0]
	v_mov_b32_e32 v17, v3
	v_pk_mul_f32 v[2:3], v[4:5], v[14:15] op_sel:[0,1]
	s_delay_alu instid0(VALU_DEP_2) | instskip(NEXT) | instid1(VALU_DEP_2)
	v_pk_add_f32 v[220:221], v[220:221], v[16:17] neg_lo:[0,1] neg_hi:[0,1]
	v_pk_fma_f32 v[6:7], v[4:5], v[12:13], v[2:3] op_sel:[0,0,1] op_sel_hi:[1,1,0] neg_lo:[0,0,1] neg_hi:[0,0,1]
	v_pk_fma_f32 v[2:3], v[4:5], v[12:13], v[2:3] op_sel:[0,0,1] op_sel_hi:[1,0,0]
	s_delay_alu instid0(VALU_DEP_1) | instskip(SKIP_4) | instid1(VALU_DEP_1)
	v_mov_b32_e32 v7, v3
	ds_load_2addr_b64 v[2:5], v126 offset0:47 offset1:48
	v_pk_add_f32 v[222:223], v[222:223], v[6:7] neg_lo:[0,1] neg_hi:[0,1]
	s_wait_dscnt 0x0
	v_pk_mul_f32 v[6:7], v[2:3], v[14:15] op_sel:[0,1]
	v_pk_fma_f32 v[16:17], v[2:3], v[12:13], v[6:7] op_sel:[0,0,1] op_sel_hi:[1,1,0] neg_lo:[0,0,1] neg_hi:[0,0,1]
	v_pk_fma_f32 v[2:3], v[2:3], v[12:13], v[6:7] op_sel:[0,0,1] op_sel_hi:[1,0,0]
	v_dual_mul_f32 v6, v5, v15 :: v_dual_mov_b32 v2, v5
	s_delay_alu instid0(VALU_DEP_2) | instskip(NEXT) | instid1(VALU_DEP_2)
	v_dual_mov_b32 v17, v3 :: v_dual_mov_b32 v3, v4
	v_pk_fma_f32 v[6:7], v[4:5], v[136:137], v[6:7] op_sel_hi:[1,1,0] neg_lo:[0,0,1] neg_hi:[0,0,1]
	v_mul_f32_e32 v4, v5, v12
	s_delay_alu instid0(VALU_DEP_3) | instskip(NEXT) | instid1(VALU_DEP_2)
	v_pk_add_f32 v[224:225], v[224:225], v[16:17] neg_lo:[0,1] neg_hi:[0,1]
	v_pk_fma_f32 v[2:3], v[2:3], v[136:137], v[4:5] op_sel_hi:[1,1,0]
	s_delay_alu instid0(VALU_DEP_1) | instskip(SKIP_4) | instid1(VALU_DEP_1)
	v_mov_b32_e32 v7, v3
	ds_load_2addr_b64 v[2:5], v126 offset0:49 offset1:50
	v_pk_add_f32 v[226:227], v[226:227], v[6:7] neg_lo:[0,1] neg_hi:[0,1]
	s_wait_dscnt 0x0
	v_pk_mul_f32 v[6:7], v[2:3], v[14:15] op_sel:[0,1]
	v_pk_fma_f32 v[16:17], v[2:3], v[12:13], v[6:7] op_sel:[0,0,1] op_sel_hi:[1,1,0] neg_lo:[0,0,1] neg_hi:[0,0,1]
	v_pk_fma_f32 v[2:3], v[2:3], v[12:13], v[6:7] op_sel:[0,0,1] op_sel_hi:[1,0,0]
	s_delay_alu instid0(VALU_DEP_1) | instskip(SKIP_1) | instid1(VALU_DEP_1)
	v_mov_b32_e32 v17, v3
	v_pk_mul_f32 v[2:3], v[4:5], v[14:15] op_sel:[0,1]
	v_pk_fma_f32 v[6:7], v[4:5], v[12:13], v[2:3] op_sel:[0,0,1] op_sel_hi:[1,1,0] neg_lo:[0,0,1] neg_hi:[0,0,1]
	v_pk_fma_f32 v[2:3], v[4:5], v[12:13], v[2:3] op_sel:[0,0,1] op_sel_hi:[1,0,0]
	s_delay_alu instid0(VALU_DEP_1)
	v_mov_b32_e32 v7, v3
	ds_load_2addr_b64 v[2:5], v126 offset0:51 offset1:52
	v_pk_add_f32 v[228:229], v[228:229], v[16:17] neg_lo:[0,1] neg_hi:[0,1]
	v_pk_add_f32 v[230:231], v[230:231], v[6:7] neg_lo:[0,1] neg_hi:[0,1]
	s_wait_dscnt 0x0
	v_pk_mul_f32 v[6:7], v[2:3], v[14:15] op_sel:[0,1]
	s_delay_alu instid0(VALU_DEP_1) | instskip(SKIP_1) | instid1(VALU_DEP_1)
	v_pk_fma_f32 v[16:17], v[2:3], v[12:13], v[6:7] op_sel:[0,0,1] op_sel_hi:[1,1,0] neg_lo:[0,0,1] neg_hi:[0,0,1]
	v_pk_fma_f32 v[2:3], v[2:3], v[12:13], v[6:7] op_sel:[0,0,1] op_sel_hi:[1,0,0]
	v_mov_b32_e32 v17, v3
	v_pk_mul_f32 v[2:3], v[4:5], v[14:15] op_sel:[0,1]
	s_delay_alu instid0(VALU_DEP_1) | instskip(SKIP_1) | instid1(VALU_DEP_1)
	v_pk_fma_f32 v[6:7], v[4:5], v[12:13], v[2:3] op_sel:[0,0,1] op_sel_hi:[1,1,0] neg_lo:[0,0,1] neg_hi:[0,0,1]
	v_pk_fma_f32 v[2:3], v[4:5], v[12:13], v[2:3] op_sel:[0,0,1] op_sel_hi:[1,0,0]
	v_mov_b32_e32 v7, v3
	ds_load_2addr_b64 v[2:5], v126 offset0:53 offset1:54
	v_pk_add_f32 v[232:233], v[232:233], v[16:17] neg_lo:[0,1] neg_hi:[0,1]
	v_pk_add_f32 v[234:235], v[234:235], v[6:7] neg_lo:[0,1] neg_hi:[0,1]
	s_wait_dscnt 0x0
	v_dual_mul_f32 v6, v3, v15 :: v_dual_mul_f32 v16, v3, v12
	s_delay_alu instid0(VALU_DEP_1) | instskip(NEXT) | instid1(VALU_DEP_2)
	v_pk_fma_f32 v[6:7], v[2:3], v[136:137], v[6:7] op_sel_hi:[1,1,0] neg_lo:[0,0,1] neg_hi:[0,0,1]
	v_pk_fma_f32 v[2:3], v[2:3], v[136:137], v[16:17] op_sel:[1,0,0] op_sel_hi:[0,1,0]
	s_delay_alu instid0(VALU_DEP_1) | instskip(SKIP_1) | instid1(VALU_DEP_2)
	v_mov_b32_e32 v7, v3
	v_pk_mul_f32 v[2:3], v[4:5], v[14:15] op_sel:[0,1]
	v_pk_add_f32 v[236:237], v[236:237], v[6:7] neg_lo:[0,1] neg_hi:[0,1]
	s_delay_alu instid0(VALU_DEP_2) | instskip(SKIP_1) | instid1(VALU_DEP_1)
	v_pk_fma_f32 v[6:7], v[4:5], v[12:13], v[2:3] op_sel:[0,0,1] op_sel_hi:[1,1,0] neg_lo:[0,0,1] neg_hi:[0,0,1]
	v_pk_fma_f32 v[2:3], v[4:5], v[12:13], v[2:3] op_sel:[0,0,1] op_sel_hi:[1,0,0]
	v_mov_b32_e32 v7, v3
	ds_load_2addr_b64 v[2:5], v126 offset0:55 offset1:56
	v_pk_add_f32 v[238:239], v[238:239], v[6:7] neg_lo:[0,1] neg_hi:[0,1]
	s_wait_dscnt 0x0
	v_pk_mul_f32 v[6:7], v[2:3], v[14:15] op_sel:[0,1]
	s_delay_alu instid0(VALU_DEP_1) | instskip(SKIP_1) | instid1(VALU_DEP_1)
	v_pk_fma_f32 v[16:17], v[2:3], v[12:13], v[6:7] op_sel:[0,0,1] op_sel_hi:[1,1,0] neg_lo:[0,0,1] neg_hi:[0,0,1]
	v_pk_fma_f32 v[2:3], v[2:3], v[12:13], v[6:7] op_sel:[0,0,1] op_sel_hi:[1,0,0]
	v_mov_b32_e32 v17, v3
	v_pk_mul_f32 v[2:3], v[4:5], v[14:15] op_sel:[0,1]
	s_delay_alu instid0(VALU_DEP_2) | instskip(NEXT) | instid1(VALU_DEP_2)
	v_pk_add_f32 v[240:241], v[240:241], v[16:17] neg_lo:[0,1] neg_hi:[0,1]
	v_pk_fma_f32 v[6:7], v[4:5], v[12:13], v[2:3] op_sel:[0,0,1] op_sel_hi:[1,1,0] neg_lo:[0,0,1] neg_hi:[0,0,1]
	v_pk_fma_f32 v[2:3], v[4:5], v[12:13], v[2:3] op_sel:[0,0,1] op_sel_hi:[1,0,0]
	s_delay_alu instid0(VALU_DEP_1) | instskip(SKIP_4) | instid1(VALU_DEP_1)
	v_mov_b32_e32 v7, v3
	ds_load_2addr_b64 v[2:5], v126 offset0:57 offset1:58
	v_pk_add_f32 v[252:253], v[252:253], v[6:7] neg_lo:[0,1] neg_hi:[0,1]
	s_wait_dscnt 0x0
	v_pk_mul_f32 v[6:7], v[2:3], v[14:15] op_sel:[0,1]
	v_pk_fma_f32 v[16:17], v[2:3], v[12:13], v[6:7] op_sel:[0,0,1] op_sel_hi:[1,1,0] neg_lo:[0,0,1] neg_hi:[0,0,1]
	v_pk_fma_f32 v[2:3], v[2:3], v[12:13], v[6:7] op_sel:[0,0,1] op_sel_hi:[1,0,0]
	v_dual_mul_f32 v6, v5, v15 :: v_dual_mov_b32 v2, v5
	s_delay_alu instid0(VALU_DEP_2) | instskip(NEXT) | instid1(VALU_DEP_2)
	v_dual_mov_b32 v17, v3 :: v_dual_mov_b32 v3, v4
	v_pk_fma_f32 v[6:7], v[4:5], v[136:137], v[6:7] op_sel_hi:[1,1,0] neg_lo:[0,0,1] neg_hi:[0,0,1]
	v_mul_f32_e32 v4, v5, v12
	s_delay_alu instid0(VALU_DEP_3) | instskip(NEXT) | instid1(VALU_DEP_2)
	v_pk_add_f32 v[246:247], v[246:247], v[16:17] neg_lo:[0,1] neg_hi:[0,1]
	v_pk_fma_f32 v[2:3], v[2:3], v[136:137], v[4:5] op_sel_hi:[1,1,0]
	s_delay_alu instid0(VALU_DEP_1) | instskip(SKIP_4) | instid1(VALU_DEP_1)
	v_mov_b32_e32 v7, v3
	ds_load_2addr_b64 v[2:5], v126 offset0:59 offset1:60
	v_pk_add_f32 v[250:251], v[250:251], v[6:7] neg_lo:[0,1] neg_hi:[0,1]
	s_wait_dscnt 0x0
	v_pk_mul_f32 v[6:7], v[2:3], v[14:15] op_sel:[0,1]
	v_pk_fma_f32 v[16:17], v[2:3], v[12:13], v[6:7] op_sel:[0,0,1] op_sel_hi:[1,1,0] neg_lo:[0,0,1] neg_hi:[0,0,1]
	v_pk_fma_f32 v[2:3], v[2:3], v[12:13], v[6:7] op_sel:[0,0,1] op_sel_hi:[1,0,0]
	s_delay_alu instid0(VALU_DEP_1) | instskip(SKIP_1) | instid1(VALU_DEP_1)
	v_mov_b32_e32 v17, v3
	v_pk_mul_f32 v[2:3], v[4:5], v[14:15] op_sel:[0,1]
	v_pk_fma_f32 v[6:7], v[4:5], v[12:13], v[2:3] op_sel:[0,0,1] op_sel_hi:[1,1,0] neg_lo:[0,0,1] neg_hi:[0,0,1]
	v_pk_fma_f32 v[2:3], v[4:5], v[12:13], v[2:3] op_sel:[0,0,1] op_sel_hi:[1,0,0]
	s_delay_alu instid0(VALU_DEP_1)
	v_mov_b32_e32 v7, v3
	ds_load_2addr_b64 v[2:5], v126 offset0:61 offset1:62
	v_pk_add_f32 v[244:245], v[244:245], v[16:17] neg_lo:[0,1] neg_hi:[0,1]
	v_pk_add_f32 v[248:249], v[248:249], v[6:7] neg_lo:[0,1] neg_hi:[0,1]
	s_wait_dscnt 0x0
	v_pk_mul_f32 v[6:7], v[2:3], v[14:15] op_sel:[0,1]
	s_delay_alu instid0(VALU_DEP_1) | instskip(SKIP_1) | instid1(VALU_DEP_1)
	v_pk_fma_f32 v[16:17], v[2:3], v[12:13], v[6:7] op_sel:[0,0,1] op_sel_hi:[1,1,0] neg_lo:[0,0,1] neg_hi:[0,0,1]
	v_pk_fma_f32 v[2:3], v[2:3], v[12:13], v[6:7] op_sel:[0,0,1] op_sel_hi:[1,0,0]
	v_mov_b32_e32 v17, v3
	v_pk_mul_f32 v[2:3], v[4:5], v[14:15] op_sel:[0,1]
	s_delay_alu instid0(VALU_DEP_1) | instskip(SKIP_1) | instid1(VALU_DEP_1)
	v_pk_fma_f32 v[6:7], v[4:5], v[12:13], v[2:3] op_sel:[0,0,1] op_sel_hi:[1,1,0] neg_lo:[0,0,1] neg_hi:[0,0,1]
	v_pk_fma_f32 v[2:3], v[4:5], v[12:13], v[2:3] op_sel:[0,0,1] op_sel_hi:[1,0,0]
	v_mov_b32_e32 v7, v3
	ds_load_b64 v[2:3], v126 offset:504
	v_pk_add_f32 v[242:243], v[242:243], v[16:17] neg_lo:[0,1] neg_hi:[0,1]
	v_pk_add_f32 v[254:255], v[254:255], v[6:7] neg_lo:[0,1] neg_hi:[0,1]
	s_wait_dscnt 0x0
	v_pk_mul_f32 v[4:5], v[2:3], v[14:15] op_sel:[0,1]
	s_delay_alu instid0(VALU_DEP_1) | instskip(SKIP_1) | instid1(VALU_DEP_1)
	v_pk_fma_f32 v[6:7], v[2:3], v[12:13], v[4:5] op_sel:[0,0,1] op_sel_hi:[1,1,0] neg_lo:[0,0,1] neg_hi:[0,0,1]
	v_pk_fma_f32 v[2:3], v[2:3], v[12:13], v[4:5] op_sel:[0,0,1] op_sel_hi:[1,0,0]
	v_mov_b32_e32 v7, v3
	s_delay_alu instid0(VALU_DEP_1)
	v_pk_add_f32 v[0:1], v[0:1], v[6:7] neg_lo:[0,1] neg_hi:[0,1]
.LBB127_46:
	s_wait_xcnt 0x0
	s_or_b32 exec_lo, exec_lo, s1
	s_delay_alu instid0(SALU_CYCLE_1)
	s_mov_b32 s2, exec_lo
	s_wait_storecnt 0x0
	s_barrier_signal -1
	s_barrier_wait -1
	v_cmpx_eq_u32_e32 5, v18
	s_cbranch_execz .LBB127_53
; %bb.47:
	v_dual_mov_b32 v2, v134 :: v_dual_mov_b32 v3, v135
	v_dual_mov_b32 v4, v130 :: v_dual_mov_b32 v5, v131
	ds_store_b64 v19, v[132:133]
	ds_store_2addr_b64 v126, v[2:3], v[4:5] offset0:6 offset1:7
	v_dual_mov_b32 v2, v138 :: v_dual_mov_b32 v3, v139
	v_dual_mov_b32 v4, v140 :: v_dual_mov_b32 v5, v141
	ds_store_2addr_b64 v126, v[2:3], v[4:5] offset0:8 offset1:9
	v_dual_mov_b32 v2, v146 :: v_dual_mov_b32 v3, v147
	v_dual_mov_b32 v4, v152 :: v_dual_mov_b32 v5, v153
	;; [unrolled: 3-line block ×27, first 2 shown]
	ds_store_2addr_b64 v126, v[2:3], v[4:5] offset0:60 offset1:61
	v_dual_mov_b32 v2, v254 :: v_dual_mov_b32 v3, v255
	ds_store_2addr_b64 v126, v[2:3], v[0:1] offset0:62 offset1:63
	ds_load_b64 v[2:3], v19
	s_wait_dscnt 0x0
	v_cmp_neq_f32_e32 vcc_lo, 0, v2
	v_cmp_neq_f32_e64 s1, 0, v3
	s_or_b32 s1, vcc_lo, s1
	s_delay_alu instid0(SALU_CYCLE_1)
	s_and_b32 exec_lo, exec_lo, s1
	s_cbranch_execz .LBB127_53
; %bb.48:
	v_cmp_ngt_f32_e64 s1, |v2|, |v3|
                                        ; implicit-def: $vgpr4_vgpr5
	s_and_saveexec_b32 s4, s1
	s_delay_alu instid0(SALU_CYCLE_1)
	s_xor_b32 s1, exec_lo, s4
	s_cbranch_execz .LBB127_50
; %bb.49:
	v_div_scale_f32 v4, null, v3, v3, v2
	v_div_scale_f32 v7, vcc_lo, v2, v3, v2
	s_delay_alu instid0(VALU_DEP_2) | instskip(SKIP_1) | instid1(TRANS32_DEP_1)
	v_rcp_f32_e32 v5, v4
	v_nop
	v_fma_f32 v6, -v4, v5, 1.0
	s_delay_alu instid0(VALU_DEP_1) | instskip(NEXT) | instid1(VALU_DEP_1)
	v_fmac_f32_e32 v5, v6, v5
	v_mul_f32_e32 v6, v7, v5
	s_delay_alu instid0(VALU_DEP_1) | instskip(NEXT) | instid1(VALU_DEP_1)
	v_fma_f32 v8, -v4, v6, v7
	v_fmac_f32_e32 v6, v8, v5
	s_delay_alu instid0(VALU_DEP_1) | instskip(NEXT) | instid1(VALU_DEP_1)
	v_fma_f32 v4, -v4, v6, v7
	v_div_fmas_f32 v4, v4, v5, v6
	s_delay_alu instid0(VALU_DEP_1) | instskip(NEXT) | instid1(VALU_DEP_1)
	v_div_fixup_f32 v4, v4, v3, v2
	v_fmac_f32_e32 v3, v2, v4
	s_delay_alu instid0(VALU_DEP_1) | instskip(SKIP_1) | instid1(VALU_DEP_2)
	v_div_scale_f32 v2, null, v3, v3, 1.0
	v_div_scale_f32 v7, vcc_lo, 1.0, v3, 1.0
	v_rcp_f32_e32 v5, v2
	v_nop
	s_delay_alu instid0(TRANS32_DEP_1) | instskip(NEXT) | instid1(VALU_DEP_1)
	v_fma_f32 v6, -v2, v5, 1.0
	v_fmac_f32_e32 v5, v6, v5
	s_delay_alu instid0(VALU_DEP_1) | instskip(NEXT) | instid1(VALU_DEP_1)
	v_mul_f32_e32 v6, v7, v5
	v_fma_f32 v8, -v2, v6, v7
	s_delay_alu instid0(VALU_DEP_1) | instskip(NEXT) | instid1(VALU_DEP_1)
	v_fmac_f32_e32 v6, v8, v5
	v_fma_f32 v2, -v2, v6, v7
	s_delay_alu instid0(VALU_DEP_1) | instskip(NEXT) | instid1(VALU_DEP_1)
	v_div_fmas_f32 v2, v2, v5, v6
	v_div_fixup_f32 v2, v2, v3, 1.0
	s_delay_alu instid0(VALU_DEP_1)
	v_mul_f32_e32 v4, v4, v2
	v_xor_b32_e32 v5, 0x80000000, v2
                                        ; implicit-def: $vgpr2_vgpr3
.LBB127_50:
	s_and_not1_saveexec_b32 s1, s1
	s_cbranch_execz .LBB127_52
; %bb.51:
	v_div_scale_f32 v4, null, v2, v2, v3
	v_div_scale_f32 v7, vcc_lo, v3, v2, v3
	s_delay_alu instid0(VALU_DEP_2) | instskip(SKIP_1) | instid1(TRANS32_DEP_1)
	v_rcp_f32_e32 v5, v4
	v_nop
	v_fma_f32 v6, -v4, v5, 1.0
	s_delay_alu instid0(VALU_DEP_1) | instskip(NEXT) | instid1(VALU_DEP_1)
	v_fmac_f32_e32 v5, v6, v5
	v_mul_f32_e32 v6, v7, v5
	s_delay_alu instid0(VALU_DEP_1) | instskip(NEXT) | instid1(VALU_DEP_1)
	v_fma_f32 v8, -v4, v6, v7
	v_fmac_f32_e32 v6, v8, v5
	s_delay_alu instid0(VALU_DEP_1) | instskip(NEXT) | instid1(VALU_DEP_1)
	v_fma_f32 v4, -v4, v6, v7
	v_div_fmas_f32 v4, v4, v5, v6
	s_delay_alu instid0(VALU_DEP_1) | instskip(NEXT) | instid1(VALU_DEP_1)
	v_div_fixup_f32 v5, v4, v2, v3
	v_fmac_f32_e32 v2, v3, v5
	s_delay_alu instid0(VALU_DEP_1) | instskip(NEXT) | instid1(VALU_DEP_1)
	v_div_scale_f32 v3, null, v2, v2, 1.0
	v_rcp_f32_e32 v4, v3
	v_nop
	s_delay_alu instid0(TRANS32_DEP_1) | instskip(NEXT) | instid1(VALU_DEP_1)
	v_fma_f32 v6, -v3, v4, 1.0
	v_fmac_f32_e32 v4, v6, v4
	v_div_scale_f32 v6, vcc_lo, 1.0, v2, 1.0
	s_delay_alu instid0(VALU_DEP_1) | instskip(NEXT) | instid1(VALU_DEP_1)
	v_mul_f32_e32 v7, v6, v4
	v_fma_f32 v8, -v3, v7, v6
	s_delay_alu instid0(VALU_DEP_1) | instskip(NEXT) | instid1(VALU_DEP_1)
	v_fmac_f32_e32 v7, v8, v4
	v_fma_f32 v3, -v3, v7, v6
	s_delay_alu instid0(VALU_DEP_1) | instskip(NEXT) | instid1(VALU_DEP_1)
	v_div_fmas_f32 v3, v3, v4, v7
	v_div_fixup_f32 v4, v3, v2, 1.0
	s_delay_alu instid0(VALU_DEP_1)
	v_mul_f32_e64 v5, v5, -v4
.LBB127_52:
	s_or_b32 exec_lo, exec_lo, s1
	ds_store_b64 v19, v[4:5]
.LBB127_53:
	s_or_b32 exec_lo, exec_lo, s2
	s_wait_dscnt 0x0
	s_barrier_signal -1
	s_barrier_wait -1
	ds_load_b64 v[2:3], v19
	s_mov_b32 s1, exec_lo
	s_wait_dscnt 0x0
	scratch_store_b64 off, v[2:3], off offset:552 ; 8-byte Folded Spill
	s_wait_xcnt 0x0
	v_cmpx_lt_u32_e32 5, v18
	s_cbranch_execz .LBB127_55
; %bb.54:
	scratch_load_b64 v[4:5], off, off offset:552 ; 8-byte Folded Reload
	s_wait_loadcnt 0x0
	v_pk_mul_f32 v[2:3], v[4:5], v[132:133] op_sel:[1,1] op_sel_hi:[0,1]
	s_delay_alu instid0(VALU_DEP_1)
	v_pk_fma_f32 v[14:15], v[4:5], v[132:133], v[2:3] op_sel_hi:[1,0,1] neg_lo:[0,0,1] neg_hi:[0,0,1]
	v_pk_fma_f32 v[16:17], v[4:5], v[132:133], v[2:3] op_sel_hi:[1,0,1]
	ds_load_2addr_b64 v[2:5], v126 offset0:6 offset1:7
	v_dual_mov_b32 v132, v14 :: v_dual_mov_b32 v133, v17
	s_wait_dscnt 0x0
	v_pk_mul_f32 v[6:7], v[2:3], v[16:17] op_sel:[0,1]
	s_delay_alu instid0(VALU_DEP_1) | instskip(SKIP_1) | instid1(VALU_DEP_1)
	v_pk_fma_f32 v[20:21], v[2:3], v[14:15], v[6:7] op_sel:[0,0,1] op_sel_hi:[1,1,0] neg_lo:[0,0,1] neg_hi:[0,0,1]
	v_pk_fma_f32 v[2:3], v[2:3], v[14:15], v[6:7] op_sel:[0,0,1] op_sel_hi:[1,0,0]
	v_mov_b32_e32 v21, v3
	v_pk_mul_f32 v[2:3], v[4:5], v[16:17] op_sel:[0,1]
	s_delay_alu instid0(VALU_DEP_1) | instskip(SKIP_1) | instid1(VALU_DEP_1)
	v_pk_fma_f32 v[6:7], v[4:5], v[14:15], v[2:3] op_sel:[0,0,1] op_sel_hi:[1,1,0] neg_lo:[0,0,1] neg_hi:[0,0,1]
	v_pk_fma_f32 v[2:3], v[4:5], v[14:15], v[2:3] op_sel:[0,0,1] op_sel_hi:[1,0,0]
	v_mov_b32_e32 v7, v3
	ds_load_2addr_b64 v[2:5], v126 offset0:8 offset1:9
	v_pk_add_f32 v[134:135], v[134:135], v[20:21] neg_lo:[0,1] neg_hi:[0,1]
	v_pk_add_f32 v[130:131], v[130:131], v[6:7] neg_lo:[0,1] neg_hi:[0,1]
	s_wait_dscnt 0x0
	v_pk_mul_f32 v[6:7], v[2:3], v[16:17] op_sel:[0,1]
	s_delay_alu instid0(VALU_DEP_1) | instskip(SKIP_2) | instid1(VALU_DEP_2)
	v_pk_fma_f32 v[20:21], v[2:3], v[14:15], v[6:7] op_sel:[0,0,1] op_sel_hi:[1,1,0] neg_lo:[0,0,1] neg_hi:[0,0,1]
	v_pk_fma_f32 v[2:3], v[2:3], v[14:15], v[6:7] op_sel:[0,0,1] op_sel_hi:[1,0,0]
	v_dual_mul_f32 v6, v5, v17 :: v_dual_mov_b32 v2, v5
	v_dual_mov_b32 v21, v3 :: v_dual_mov_b32 v3, v4
	s_delay_alu instid0(VALU_DEP_2) | instskip(SKIP_1) | instid1(VALU_DEP_3)
	v_pk_fma_f32 v[6:7], v[4:5], v[132:133], v[6:7] op_sel_hi:[1,1,0] neg_lo:[0,0,1] neg_hi:[0,0,1]
	v_mul_f32_e32 v4, v5, v14
	v_pk_add_f32 v[138:139], v[138:139], v[20:21] neg_lo:[0,1] neg_hi:[0,1]
	s_delay_alu instid0(VALU_DEP_2) | instskip(NEXT) | instid1(VALU_DEP_1)
	v_pk_fma_f32 v[2:3], v[2:3], v[132:133], v[4:5] op_sel_hi:[1,1,0]
	v_mov_b32_e32 v7, v3
	ds_load_2addr_b64 v[2:5], v126 offset0:10 offset1:11
	v_pk_add_f32 v[140:141], v[140:141], v[6:7] neg_lo:[0,1] neg_hi:[0,1]
	s_wait_dscnt 0x0
	v_pk_mul_f32 v[6:7], v[2:3], v[16:17] op_sel:[0,1]
	s_delay_alu instid0(VALU_DEP_1) | instskip(SKIP_1) | instid1(VALU_DEP_1)
	v_pk_fma_f32 v[20:21], v[2:3], v[14:15], v[6:7] op_sel:[0,0,1] op_sel_hi:[1,1,0] neg_lo:[0,0,1] neg_hi:[0,0,1]
	v_pk_fma_f32 v[2:3], v[2:3], v[14:15], v[6:7] op_sel:[0,0,1] op_sel_hi:[1,0,0]
	v_mov_b32_e32 v21, v3
	v_pk_mul_f32 v[2:3], v[4:5], v[16:17] op_sel:[0,1]
	s_delay_alu instid0(VALU_DEP_1) | instskip(SKIP_1) | instid1(VALU_DEP_1)
	v_pk_fma_f32 v[6:7], v[4:5], v[14:15], v[2:3] op_sel:[0,0,1] op_sel_hi:[1,1,0] neg_lo:[0,0,1] neg_hi:[0,0,1]
	v_pk_fma_f32 v[2:3], v[4:5], v[14:15], v[2:3] op_sel:[0,0,1] op_sel_hi:[1,0,0]
	v_mov_b32_e32 v7, v3
	ds_load_2addr_b64 v[2:5], v126 offset0:12 offset1:13
	v_pk_add_f32 v[146:147], v[146:147], v[20:21] neg_lo:[0,1] neg_hi:[0,1]
	v_pk_add_f32 v[152:153], v[152:153], v[6:7] neg_lo:[0,1] neg_hi:[0,1]
	s_wait_dscnt 0x0
	v_pk_mul_f32 v[6:7], v[2:3], v[16:17] op_sel:[0,1]
	s_delay_alu instid0(VALU_DEP_1) | instskip(SKIP_1) | instid1(VALU_DEP_1)
	v_pk_fma_f32 v[20:21], v[2:3], v[14:15], v[6:7] op_sel:[0,0,1] op_sel_hi:[1,1,0] neg_lo:[0,0,1] neg_hi:[0,0,1]
	v_pk_fma_f32 v[2:3], v[2:3], v[14:15], v[6:7] op_sel:[0,0,1] op_sel_hi:[1,0,0]
	v_mov_b32_e32 v21, v3
	v_pk_mul_f32 v[2:3], v[4:5], v[16:17] op_sel:[0,1]
	s_delay_alu instid0(VALU_DEP_1) | instskip(SKIP_1) | instid1(VALU_DEP_1)
	v_pk_fma_f32 v[6:7], v[4:5], v[14:15], v[2:3] op_sel:[0,0,1] op_sel_hi:[1,1,0] neg_lo:[0,0,1] neg_hi:[0,0,1]
	v_pk_fma_f32 v[2:3], v[4:5], v[14:15], v[2:3] op_sel:[0,0,1] op_sel_hi:[1,0,0]
	v_mov_b32_e32 v7, v3
	ds_load_2addr_b64 v[2:5], v126 offset0:14 offset1:15
	v_pk_add_f32 v[154:155], v[154:155], v[20:21] neg_lo:[0,1] neg_hi:[0,1]
	v_pk_add_f32 v[156:157], v[156:157], v[6:7] neg_lo:[0,1] neg_hi:[0,1]
	s_wait_dscnt 0x0
	v_dual_mul_f32 v6, v3, v17 :: v_dual_mul_f32 v20, v3, v14
	s_delay_alu instid0(VALU_DEP_1) | instskip(NEXT) | instid1(VALU_DEP_2)
	v_pk_fma_f32 v[6:7], v[2:3], v[132:133], v[6:7] op_sel_hi:[1,1,0] neg_lo:[0,0,1] neg_hi:[0,0,1]
	v_pk_fma_f32 v[2:3], v[2:3], v[132:133], v[20:21] op_sel:[1,0,0] op_sel_hi:[0,1,0]
	s_delay_alu instid0(VALU_DEP_1) | instskip(SKIP_1) | instid1(VALU_DEP_2)
	v_mov_b32_e32 v7, v3
	v_pk_mul_f32 v[2:3], v[4:5], v[16:17] op_sel:[0,1]
	v_pk_add_f32 v[158:159], v[158:159], v[6:7] neg_lo:[0,1] neg_hi:[0,1]
	s_delay_alu instid0(VALU_DEP_2) | instskip(SKIP_1) | instid1(VALU_DEP_1)
	v_pk_fma_f32 v[6:7], v[4:5], v[14:15], v[2:3] op_sel:[0,0,1] op_sel_hi:[1,1,0] neg_lo:[0,0,1] neg_hi:[0,0,1]
	v_pk_fma_f32 v[2:3], v[4:5], v[14:15], v[2:3] op_sel:[0,0,1] op_sel_hi:[1,0,0]
	v_mov_b32_e32 v7, v3
	ds_load_2addr_b64 v[2:5], v126 offset0:16 offset1:17
	v_pk_add_f32 v[160:161], v[160:161], v[6:7] neg_lo:[0,1] neg_hi:[0,1]
	s_wait_dscnt 0x0
	v_pk_mul_f32 v[6:7], v[2:3], v[16:17] op_sel:[0,1]
	s_delay_alu instid0(VALU_DEP_1) | instskip(SKIP_1) | instid1(VALU_DEP_1)
	v_pk_fma_f32 v[20:21], v[2:3], v[14:15], v[6:7] op_sel:[0,0,1] op_sel_hi:[1,1,0] neg_lo:[0,0,1] neg_hi:[0,0,1]
	v_pk_fma_f32 v[2:3], v[2:3], v[14:15], v[6:7] op_sel:[0,0,1] op_sel_hi:[1,0,0]
	v_mov_b32_e32 v21, v3
	v_pk_mul_f32 v[2:3], v[4:5], v[16:17] op_sel:[0,1]
	s_delay_alu instid0(VALU_DEP_2) | instskip(NEXT) | instid1(VALU_DEP_2)
	v_pk_add_f32 v[162:163], v[162:163], v[20:21] neg_lo:[0,1] neg_hi:[0,1]
	v_pk_fma_f32 v[6:7], v[4:5], v[14:15], v[2:3] op_sel:[0,0,1] op_sel_hi:[1,1,0] neg_lo:[0,0,1] neg_hi:[0,0,1]
	v_pk_fma_f32 v[2:3], v[4:5], v[14:15], v[2:3] op_sel:[0,0,1] op_sel_hi:[1,0,0]
	s_delay_alu instid0(VALU_DEP_1) | instskip(SKIP_4) | instid1(VALU_DEP_1)
	v_mov_b32_e32 v7, v3
	ds_load_2addr_b64 v[2:5], v126 offset0:18 offset1:19
	v_pk_add_f32 v[164:165], v[164:165], v[6:7] neg_lo:[0,1] neg_hi:[0,1]
	s_wait_dscnt 0x0
	v_pk_mul_f32 v[6:7], v[2:3], v[16:17] op_sel:[0,1]
	v_pk_fma_f32 v[20:21], v[2:3], v[14:15], v[6:7] op_sel:[0,0,1] op_sel_hi:[1,1,0] neg_lo:[0,0,1] neg_hi:[0,0,1]
	v_pk_fma_f32 v[2:3], v[2:3], v[14:15], v[6:7] op_sel:[0,0,1] op_sel_hi:[1,0,0]
	v_dual_mul_f32 v6, v5, v17 :: v_dual_mov_b32 v2, v5
	s_delay_alu instid0(VALU_DEP_2) | instskip(NEXT) | instid1(VALU_DEP_2)
	v_dual_mov_b32 v21, v3 :: v_dual_mov_b32 v3, v4
	v_pk_fma_f32 v[6:7], v[4:5], v[132:133], v[6:7] op_sel_hi:[1,1,0] neg_lo:[0,0,1] neg_hi:[0,0,1]
	v_mul_f32_e32 v4, v5, v14
	s_delay_alu instid0(VALU_DEP_3) | instskip(NEXT) | instid1(VALU_DEP_2)
	v_pk_add_f32 v[166:167], v[166:167], v[20:21] neg_lo:[0,1] neg_hi:[0,1]
	v_pk_fma_f32 v[2:3], v[2:3], v[132:133], v[4:5] op_sel_hi:[1,1,0]
	s_delay_alu instid0(VALU_DEP_1) | instskip(SKIP_4) | instid1(VALU_DEP_1)
	v_mov_b32_e32 v7, v3
	ds_load_2addr_b64 v[2:5], v126 offset0:20 offset1:21
	v_pk_add_f32 v[168:169], v[168:169], v[6:7] neg_lo:[0,1] neg_hi:[0,1]
	s_wait_dscnt 0x0
	v_pk_mul_f32 v[6:7], v[2:3], v[16:17] op_sel:[0,1]
	v_pk_fma_f32 v[20:21], v[2:3], v[14:15], v[6:7] op_sel:[0,0,1] op_sel_hi:[1,1,0] neg_lo:[0,0,1] neg_hi:[0,0,1]
	v_pk_fma_f32 v[2:3], v[2:3], v[14:15], v[6:7] op_sel:[0,0,1] op_sel_hi:[1,0,0]
	s_delay_alu instid0(VALU_DEP_1) | instskip(SKIP_1) | instid1(VALU_DEP_1)
	v_mov_b32_e32 v21, v3
	v_pk_mul_f32 v[2:3], v[4:5], v[16:17] op_sel:[0,1]
	v_pk_fma_f32 v[6:7], v[4:5], v[14:15], v[2:3] op_sel:[0,0,1] op_sel_hi:[1,1,0] neg_lo:[0,0,1] neg_hi:[0,0,1]
	v_pk_fma_f32 v[2:3], v[4:5], v[14:15], v[2:3] op_sel:[0,0,1] op_sel_hi:[1,0,0]
	s_delay_alu instid0(VALU_DEP_1)
	v_mov_b32_e32 v7, v3
	ds_load_2addr_b64 v[2:5], v126 offset0:22 offset1:23
	v_pk_add_f32 v[170:171], v[170:171], v[20:21] neg_lo:[0,1] neg_hi:[0,1]
	v_pk_add_f32 v[172:173], v[172:173], v[6:7] neg_lo:[0,1] neg_hi:[0,1]
	s_wait_dscnt 0x0
	v_pk_mul_f32 v[6:7], v[2:3], v[16:17] op_sel:[0,1]
	s_delay_alu instid0(VALU_DEP_1) | instskip(SKIP_1) | instid1(VALU_DEP_1)
	v_pk_fma_f32 v[20:21], v[2:3], v[14:15], v[6:7] op_sel:[0,0,1] op_sel_hi:[1,1,0] neg_lo:[0,0,1] neg_hi:[0,0,1]
	v_pk_fma_f32 v[2:3], v[2:3], v[14:15], v[6:7] op_sel:[0,0,1] op_sel_hi:[1,0,0]
	v_mov_b32_e32 v21, v3
	v_pk_mul_f32 v[2:3], v[4:5], v[16:17] op_sel:[0,1]
	s_delay_alu instid0(VALU_DEP_1) | instskip(SKIP_1) | instid1(VALU_DEP_1)
	v_pk_fma_f32 v[6:7], v[4:5], v[14:15], v[2:3] op_sel:[0,0,1] op_sel_hi:[1,1,0] neg_lo:[0,0,1] neg_hi:[0,0,1]
	v_pk_fma_f32 v[2:3], v[4:5], v[14:15], v[2:3] op_sel:[0,0,1] op_sel_hi:[1,0,0]
	v_mov_b32_e32 v7, v3
	ds_load_2addr_b64 v[2:5], v126 offset0:24 offset1:25
	v_pk_add_f32 v[174:175], v[174:175], v[20:21] neg_lo:[0,1] neg_hi:[0,1]
	v_pk_add_f32 v[176:177], v[176:177], v[6:7] neg_lo:[0,1] neg_hi:[0,1]
	s_wait_dscnt 0x0
	v_dual_mul_f32 v6, v3, v17 :: v_dual_mul_f32 v20, v3, v14
	s_delay_alu instid0(VALU_DEP_1) | instskip(NEXT) | instid1(VALU_DEP_2)
	v_pk_fma_f32 v[6:7], v[2:3], v[132:133], v[6:7] op_sel_hi:[1,1,0] neg_lo:[0,0,1] neg_hi:[0,0,1]
	v_pk_fma_f32 v[2:3], v[2:3], v[132:133], v[20:21] op_sel:[1,0,0] op_sel_hi:[0,1,0]
	s_delay_alu instid0(VALU_DEP_1) | instskip(SKIP_1) | instid1(VALU_DEP_2)
	v_mov_b32_e32 v7, v3
	v_pk_mul_f32 v[2:3], v[4:5], v[16:17] op_sel:[0,1]
	v_pk_add_f32 v[178:179], v[178:179], v[6:7] neg_lo:[0,1] neg_hi:[0,1]
	s_delay_alu instid0(VALU_DEP_2) | instskip(SKIP_1) | instid1(VALU_DEP_1)
	v_pk_fma_f32 v[6:7], v[4:5], v[14:15], v[2:3] op_sel:[0,0,1] op_sel_hi:[1,1,0] neg_lo:[0,0,1] neg_hi:[0,0,1]
	v_pk_fma_f32 v[2:3], v[4:5], v[14:15], v[2:3] op_sel:[0,0,1] op_sel_hi:[1,0,0]
	v_mov_b32_e32 v7, v3
	ds_load_2addr_b64 v[2:5], v126 offset0:26 offset1:27
	v_pk_add_f32 v[180:181], v[180:181], v[6:7] neg_lo:[0,1] neg_hi:[0,1]
	s_wait_dscnt 0x0
	v_pk_mul_f32 v[6:7], v[2:3], v[16:17] op_sel:[0,1]
	s_delay_alu instid0(VALU_DEP_1) | instskip(SKIP_1) | instid1(VALU_DEP_1)
	v_pk_fma_f32 v[20:21], v[2:3], v[14:15], v[6:7] op_sel:[0,0,1] op_sel_hi:[1,1,0] neg_lo:[0,0,1] neg_hi:[0,0,1]
	v_pk_fma_f32 v[2:3], v[2:3], v[14:15], v[6:7] op_sel:[0,0,1] op_sel_hi:[1,0,0]
	v_mov_b32_e32 v21, v3
	v_pk_mul_f32 v[2:3], v[4:5], v[16:17] op_sel:[0,1]
	s_delay_alu instid0(VALU_DEP_2) | instskip(NEXT) | instid1(VALU_DEP_2)
	v_pk_add_f32 v[182:183], v[182:183], v[20:21] neg_lo:[0,1] neg_hi:[0,1]
	v_pk_fma_f32 v[6:7], v[4:5], v[14:15], v[2:3] op_sel:[0,0,1] op_sel_hi:[1,1,0] neg_lo:[0,0,1] neg_hi:[0,0,1]
	v_pk_fma_f32 v[2:3], v[4:5], v[14:15], v[2:3] op_sel:[0,0,1] op_sel_hi:[1,0,0]
	s_delay_alu instid0(VALU_DEP_1) | instskip(SKIP_4) | instid1(VALU_DEP_1)
	v_mov_b32_e32 v7, v3
	ds_load_2addr_b64 v[2:5], v126 offset0:28 offset1:29
	v_pk_add_f32 v[184:185], v[184:185], v[6:7] neg_lo:[0,1] neg_hi:[0,1]
	s_wait_dscnt 0x0
	v_pk_mul_f32 v[6:7], v[2:3], v[16:17] op_sel:[0,1]
	v_pk_fma_f32 v[20:21], v[2:3], v[14:15], v[6:7] op_sel:[0,0,1] op_sel_hi:[1,1,0] neg_lo:[0,0,1] neg_hi:[0,0,1]
	v_pk_fma_f32 v[2:3], v[2:3], v[14:15], v[6:7] op_sel:[0,0,1] op_sel_hi:[1,0,0]
	v_dual_mul_f32 v6, v5, v17 :: v_dual_mov_b32 v2, v5
	s_delay_alu instid0(VALU_DEP_2) | instskip(NEXT) | instid1(VALU_DEP_2)
	v_dual_mov_b32 v21, v3 :: v_dual_mov_b32 v3, v4
	v_pk_fma_f32 v[6:7], v[4:5], v[132:133], v[6:7] op_sel_hi:[1,1,0] neg_lo:[0,0,1] neg_hi:[0,0,1]
	v_mul_f32_e32 v4, v5, v14
	s_delay_alu instid0(VALU_DEP_3) | instskip(NEXT) | instid1(VALU_DEP_2)
	v_pk_add_f32 v[186:187], v[186:187], v[20:21] neg_lo:[0,1] neg_hi:[0,1]
	v_pk_fma_f32 v[2:3], v[2:3], v[132:133], v[4:5] op_sel_hi:[1,1,0]
	s_delay_alu instid0(VALU_DEP_1) | instskip(SKIP_4) | instid1(VALU_DEP_1)
	v_mov_b32_e32 v7, v3
	ds_load_2addr_b64 v[2:5], v126 offset0:30 offset1:31
	v_pk_add_f32 v[188:189], v[188:189], v[6:7] neg_lo:[0,1] neg_hi:[0,1]
	s_wait_dscnt 0x0
	v_pk_mul_f32 v[6:7], v[2:3], v[16:17] op_sel:[0,1]
	v_pk_fma_f32 v[20:21], v[2:3], v[14:15], v[6:7] op_sel:[0,0,1] op_sel_hi:[1,1,0] neg_lo:[0,0,1] neg_hi:[0,0,1]
	v_pk_fma_f32 v[2:3], v[2:3], v[14:15], v[6:7] op_sel:[0,0,1] op_sel_hi:[1,0,0]
	s_delay_alu instid0(VALU_DEP_1) | instskip(SKIP_1) | instid1(VALU_DEP_1)
	v_mov_b32_e32 v21, v3
	v_pk_mul_f32 v[2:3], v[4:5], v[16:17] op_sel:[0,1]
	v_pk_fma_f32 v[6:7], v[4:5], v[14:15], v[2:3] op_sel:[0,0,1] op_sel_hi:[1,1,0] neg_lo:[0,0,1] neg_hi:[0,0,1]
	v_pk_fma_f32 v[2:3], v[4:5], v[14:15], v[2:3] op_sel:[0,0,1] op_sel_hi:[1,0,0]
	s_delay_alu instid0(VALU_DEP_1)
	v_mov_b32_e32 v7, v3
	ds_load_2addr_b64 v[2:5], v126 offset0:32 offset1:33
	v_pk_add_f32 v[190:191], v[190:191], v[20:21] neg_lo:[0,1] neg_hi:[0,1]
	v_pk_add_f32 v[192:193], v[192:193], v[6:7] neg_lo:[0,1] neg_hi:[0,1]
	s_wait_dscnt 0x0
	v_pk_mul_f32 v[6:7], v[2:3], v[16:17] op_sel:[0,1]
	s_delay_alu instid0(VALU_DEP_1) | instskip(SKIP_1) | instid1(VALU_DEP_1)
	v_pk_fma_f32 v[20:21], v[2:3], v[14:15], v[6:7] op_sel:[0,0,1] op_sel_hi:[1,1,0] neg_lo:[0,0,1] neg_hi:[0,0,1]
	v_pk_fma_f32 v[2:3], v[2:3], v[14:15], v[6:7] op_sel:[0,0,1] op_sel_hi:[1,0,0]
	v_mov_b32_e32 v21, v3
	v_pk_mul_f32 v[2:3], v[4:5], v[16:17] op_sel:[0,1]
	s_delay_alu instid0(VALU_DEP_1) | instskip(SKIP_1) | instid1(VALU_DEP_1)
	v_pk_fma_f32 v[6:7], v[4:5], v[14:15], v[2:3] op_sel:[0,0,1] op_sel_hi:[1,1,0] neg_lo:[0,0,1] neg_hi:[0,0,1]
	v_pk_fma_f32 v[2:3], v[4:5], v[14:15], v[2:3] op_sel:[0,0,1] op_sel_hi:[1,0,0]
	v_mov_b32_e32 v7, v3
	ds_load_2addr_b64 v[2:5], v126 offset0:34 offset1:35
	v_pk_add_f32 v[194:195], v[194:195], v[20:21] neg_lo:[0,1] neg_hi:[0,1]
	v_pk_add_f32 v[196:197], v[196:197], v[6:7] neg_lo:[0,1] neg_hi:[0,1]
	s_wait_dscnt 0x0
	v_dual_mul_f32 v6, v3, v17 :: v_dual_mul_f32 v20, v3, v14
	s_delay_alu instid0(VALU_DEP_1) | instskip(NEXT) | instid1(VALU_DEP_2)
	v_pk_fma_f32 v[6:7], v[2:3], v[132:133], v[6:7] op_sel_hi:[1,1,0] neg_lo:[0,0,1] neg_hi:[0,0,1]
	v_pk_fma_f32 v[2:3], v[2:3], v[132:133], v[20:21] op_sel:[1,0,0] op_sel_hi:[0,1,0]
	s_delay_alu instid0(VALU_DEP_1) | instskip(SKIP_1) | instid1(VALU_DEP_2)
	v_mov_b32_e32 v7, v3
	v_pk_mul_f32 v[2:3], v[4:5], v[16:17] op_sel:[0,1]
	v_pk_add_f32 v[198:199], v[198:199], v[6:7] neg_lo:[0,1] neg_hi:[0,1]
	s_delay_alu instid0(VALU_DEP_2) | instskip(SKIP_1) | instid1(VALU_DEP_1)
	v_pk_fma_f32 v[6:7], v[4:5], v[14:15], v[2:3] op_sel:[0,0,1] op_sel_hi:[1,1,0] neg_lo:[0,0,1] neg_hi:[0,0,1]
	v_pk_fma_f32 v[2:3], v[4:5], v[14:15], v[2:3] op_sel:[0,0,1] op_sel_hi:[1,0,0]
	v_mov_b32_e32 v7, v3
	ds_load_2addr_b64 v[2:5], v126 offset0:36 offset1:37
	v_pk_add_f32 v[200:201], v[200:201], v[6:7] neg_lo:[0,1] neg_hi:[0,1]
	s_wait_dscnt 0x0
	v_pk_mul_f32 v[6:7], v[2:3], v[16:17] op_sel:[0,1]
	s_delay_alu instid0(VALU_DEP_1) | instskip(SKIP_1) | instid1(VALU_DEP_1)
	v_pk_fma_f32 v[20:21], v[2:3], v[14:15], v[6:7] op_sel:[0,0,1] op_sel_hi:[1,1,0] neg_lo:[0,0,1] neg_hi:[0,0,1]
	v_pk_fma_f32 v[2:3], v[2:3], v[14:15], v[6:7] op_sel:[0,0,1] op_sel_hi:[1,0,0]
	v_mov_b32_e32 v21, v3
	v_pk_mul_f32 v[2:3], v[4:5], v[16:17] op_sel:[0,1]
	s_delay_alu instid0(VALU_DEP_2) | instskip(NEXT) | instid1(VALU_DEP_2)
	v_pk_add_f32 v[202:203], v[202:203], v[20:21] neg_lo:[0,1] neg_hi:[0,1]
	v_pk_fma_f32 v[6:7], v[4:5], v[14:15], v[2:3] op_sel:[0,0,1] op_sel_hi:[1,1,0] neg_lo:[0,0,1] neg_hi:[0,0,1]
	v_pk_fma_f32 v[2:3], v[4:5], v[14:15], v[2:3] op_sel:[0,0,1] op_sel_hi:[1,0,0]
	s_delay_alu instid0(VALU_DEP_1) | instskip(SKIP_4) | instid1(VALU_DEP_1)
	v_mov_b32_e32 v7, v3
	ds_load_2addr_b64 v[2:5], v126 offset0:38 offset1:39
	v_pk_add_f32 v[204:205], v[204:205], v[6:7] neg_lo:[0,1] neg_hi:[0,1]
	s_wait_dscnt 0x0
	v_pk_mul_f32 v[6:7], v[2:3], v[16:17] op_sel:[0,1]
	v_pk_fma_f32 v[20:21], v[2:3], v[14:15], v[6:7] op_sel:[0,0,1] op_sel_hi:[1,1,0] neg_lo:[0,0,1] neg_hi:[0,0,1]
	v_pk_fma_f32 v[2:3], v[2:3], v[14:15], v[6:7] op_sel:[0,0,1] op_sel_hi:[1,0,0]
	v_dual_mul_f32 v6, v5, v17 :: v_dual_mov_b32 v2, v5
	s_delay_alu instid0(VALU_DEP_2) | instskip(NEXT) | instid1(VALU_DEP_2)
	v_dual_mov_b32 v21, v3 :: v_dual_mov_b32 v3, v4
	v_pk_fma_f32 v[6:7], v[4:5], v[132:133], v[6:7] op_sel_hi:[1,1,0] neg_lo:[0,0,1] neg_hi:[0,0,1]
	v_mul_f32_e32 v4, v5, v14
	s_delay_alu instid0(VALU_DEP_3) | instskip(NEXT) | instid1(VALU_DEP_2)
	v_pk_add_f32 v[206:207], v[206:207], v[20:21] neg_lo:[0,1] neg_hi:[0,1]
	v_pk_fma_f32 v[2:3], v[2:3], v[132:133], v[4:5] op_sel_hi:[1,1,0]
	s_delay_alu instid0(VALU_DEP_1) | instskip(SKIP_4) | instid1(VALU_DEP_1)
	v_mov_b32_e32 v7, v3
	ds_load_2addr_b64 v[2:5], v126 offset0:40 offset1:41
	v_pk_add_f32 v[208:209], v[208:209], v[6:7] neg_lo:[0,1] neg_hi:[0,1]
	s_wait_dscnt 0x0
	v_pk_mul_f32 v[6:7], v[2:3], v[16:17] op_sel:[0,1]
	v_pk_fma_f32 v[20:21], v[2:3], v[14:15], v[6:7] op_sel:[0,0,1] op_sel_hi:[1,1,0] neg_lo:[0,0,1] neg_hi:[0,0,1]
	v_pk_fma_f32 v[2:3], v[2:3], v[14:15], v[6:7] op_sel:[0,0,1] op_sel_hi:[1,0,0]
	s_delay_alu instid0(VALU_DEP_1) | instskip(SKIP_1) | instid1(VALU_DEP_1)
	v_mov_b32_e32 v21, v3
	v_pk_mul_f32 v[2:3], v[4:5], v[16:17] op_sel:[0,1]
	v_pk_fma_f32 v[6:7], v[4:5], v[14:15], v[2:3] op_sel:[0,0,1] op_sel_hi:[1,1,0] neg_lo:[0,0,1] neg_hi:[0,0,1]
	v_pk_fma_f32 v[2:3], v[4:5], v[14:15], v[2:3] op_sel:[0,0,1] op_sel_hi:[1,0,0]
	s_delay_alu instid0(VALU_DEP_1)
	v_mov_b32_e32 v7, v3
	ds_load_2addr_b64 v[2:5], v126 offset0:42 offset1:43
	v_pk_add_f32 v[210:211], v[210:211], v[20:21] neg_lo:[0,1] neg_hi:[0,1]
	v_pk_add_f32 v[212:213], v[212:213], v[6:7] neg_lo:[0,1] neg_hi:[0,1]
	s_wait_dscnt 0x0
	v_pk_mul_f32 v[6:7], v[2:3], v[16:17] op_sel:[0,1]
	s_delay_alu instid0(VALU_DEP_1) | instskip(SKIP_1) | instid1(VALU_DEP_1)
	v_pk_fma_f32 v[20:21], v[2:3], v[14:15], v[6:7] op_sel:[0,0,1] op_sel_hi:[1,1,0] neg_lo:[0,0,1] neg_hi:[0,0,1]
	v_pk_fma_f32 v[2:3], v[2:3], v[14:15], v[6:7] op_sel:[0,0,1] op_sel_hi:[1,0,0]
	v_mov_b32_e32 v21, v3
	v_pk_mul_f32 v[2:3], v[4:5], v[16:17] op_sel:[0,1]
	s_delay_alu instid0(VALU_DEP_1) | instskip(SKIP_1) | instid1(VALU_DEP_1)
	v_pk_fma_f32 v[6:7], v[4:5], v[14:15], v[2:3] op_sel:[0,0,1] op_sel_hi:[1,1,0] neg_lo:[0,0,1] neg_hi:[0,0,1]
	v_pk_fma_f32 v[2:3], v[4:5], v[14:15], v[2:3] op_sel:[0,0,1] op_sel_hi:[1,0,0]
	v_mov_b32_e32 v7, v3
	ds_load_2addr_b64 v[2:5], v126 offset0:44 offset1:45
	v_pk_add_f32 v[214:215], v[214:215], v[20:21] neg_lo:[0,1] neg_hi:[0,1]
	v_pk_add_f32 v[216:217], v[216:217], v[6:7] neg_lo:[0,1] neg_hi:[0,1]
	s_wait_dscnt 0x0
	v_dual_mul_f32 v6, v3, v17 :: v_dual_mul_f32 v20, v3, v14
	s_delay_alu instid0(VALU_DEP_1) | instskip(NEXT) | instid1(VALU_DEP_2)
	v_pk_fma_f32 v[6:7], v[2:3], v[132:133], v[6:7] op_sel_hi:[1,1,0] neg_lo:[0,0,1] neg_hi:[0,0,1]
	v_pk_fma_f32 v[2:3], v[2:3], v[132:133], v[20:21] op_sel:[1,0,0] op_sel_hi:[0,1,0]
	s_delay_alu instid0(VALU_DEP_1) | instskip(SKIP_1) | instid1(VALU_DEP_2)
	v_mov_b32_e32 v7, v3
	v_pk_mul_f32 v[2:3], v[4:5], v[16:17] op_sel:[0,1]
	v_pk_add_f32 v[218:219], v[218:219], v[6:7] neg_lo:[0,1] neg_hi:[0,1]
	s_delay_alu instid0(VALU_DEP_2) | instskip(SKIP_1) | instid1(VALU_DEP_1)
	v_pk_fma_f32 v[6:7], v[4:5], v[14:15], v[2:3] op_sel:[0,0,1] op_sel_hi:[1,1,0] neg_lo:[0,0,1] neg_hi:[0,0,1]
	v_pk_fma_f32 v[2:3], v[4:5], v[14:15], v[2:3] op_sel:[0,0,1] op_sel_hi:[1,0,0]
	v_mov_b32_e32 v7, v3
	ds_load_2addr_b64 v[2:5], v126 offset0:46 offset1:47
	v_pk_add_f32 v[220:221], v[220:221], v[6:7] neg_lo:[0,1] neg_hi:[0,1]
	s_wait_dscnt 0x0
	v_pk_mul_f32 v[6:7], v[2:3], v[16:17] op_sel:[0,1]
	s_delay_alu instid0(VALU_DEP_1) | instskip(SKIP_1) | instid1(VALU_DEP_1)
	v_pk_fma_f32 v[20:21], v[2:3], v[14:15], v[6:7] op_sel:[0,0,1] op_sel_hi:[1,1,0] neg_lo:[0,0,1] neg_hi:[0,0,1]
	v_pk_fma_f32 v[2:3], v[2:3], v[14:15], v[6:7] op_sel:[0,0,1] op_sel_hi:[1,0,0]
	v_mov_b32_e32 v21, v3
	v_pk_mul_f32 v[2:3], v[4:5], v[16:17] op_sel:[0,1]
	s_delay_alu instid0(VALU_DEP_2) | instskip(NEXT) | instid1(VALU_DEP_2)
	v_pk_add_f32 v[222:223], v[222:223], v[20:21] neg_lo:[0,1] neg_hi:[0,1]
	v_pk_fma_f32 v[6:7], v[4:5], v[14:15], v[2:3] op_sel:[0,0,1] op_sel_hi:[1,1,0] neg_lo:[0,0,1] neg_hi:[0,0,1]
	v_pk_fma_f32 v[2:3], v[4:5], v[14:15], v[2:3] op_sel:[0,0,1] op_sel_hi:[1,0,0]
	s_delay_alu instid0(VALU_DEP_1) | instskip(SKIP_4) | instid1(VALU_DEP_1)
	v_mov_b32_e32 v7, v3
	ds_load_2addr_b64 v[2:5], v126 offset0:48 offset1:49
	v_pk_add_f32 v[224:225], v[224:225], v[6:7] neg_lo:[0,1] neg_hi:[0,1]
	s_wait_dscnt 0x0
	v_pk_mul_f32 v[6:7], v[2:3], v[16:17] op_sel:[0,1]
	v_pk_fma_f32 v[20:21], v[2:3], v[14:15], v[6:7] op_sel:[0,0,1] op_sel_hi:[1,1,0] neg_lo:[0,0,1] neg_hi:[0,0,1]
	v_pk_fma_f32 v[2:3], v[2:3], v[14:15], v[6:7] op_sel:[0,0,1] op_sel_hi:[1,0,0]
	v_dual_mul_f32 v6, v5, v17 :: v_dual_mov_b32 v2, v5
	s_delay_alu instid0(VALU_DEP_2) | instskip(NEXT) | instid1(VALU_DEP_2)
	v_dual_mov_b32 v21, v3 :: v_dual_mov_b32 v3, v4
	v_pk_fma_f32 v[6:7], v[4:5], v[132:133], v[6:7] op_sel_hi:[1,1,0] neg_lo:[0,0,1] neg_hi:[0,0,1]
	v_mul_f32_e32 v4, v5, v14
	s_delay_alu instid0(VALU_DEP_3) | instskip(NEXT) | instid1(VALU_DEP_2)
	v_pk_add_f32 v[226:227], v[226:227], v[20:21] neg_lo:[0,1] neg_hi:[0,1]
	v_pk_fma_f32 v[2:3], v[2:3], v[132:133], v[4:5] op_sel_hi:[1,1,0]
	s_delay_alu instid0(VALU_DEP_1) | instskip(SKIP_4) | instid1(VALU_DEP_1)
	v_mov_b32_e32 v7, v3
	ds_load_2addr_b64 v[2:5], v126 offset0:50 offset1:51
	v_pk_add_f32 v[228:229], v[228:229], v[6:7] neg_lo:[0,1] neg_hi:[0,1]
	s_wait_dscnt 0x0
	v_pk_mul_f32 v[6:7], v[2:3], v[16:17] op_sel:[0,1]
	v_pk_fma_f32 v[20:21], v[2:3], v[14:15], v[6:7] op_sel:[0,0,1] op_sel_hi:[1,1,0] neg_lo:[0,0,1] neg_hi:[0,0,1]
	v_pk_fma_f32 v[2:3], v[2:3], v[14:15], v[6:7] op_sel:[0,0,1] op_sel_hi:[1,0,0]
	s_delay_alu instid0(VALU_DEP_1) | instskip(SKIP_1) | instid1(VALU_DEP_1)
	v_mov_b32_e32 v21, v3
	v_pk_mul_f32 v[2:3], v[4:5], v[16:17] op_sel:[0,1]
	v_pk_fma_f32 v[6:7], v[4:5], v[14:15], v[2:3] op_sel:[0,0,1] op_sel_hi:[1,1,0] neg_lo:[0,0,1] neg_hi:[0,0,1]
	v_pk_fma_f32 v[2:3], v[4:5], v[14:15], v[2:3] op_sel:[0,0,1] op_sel_hi:[1,0,0]
	s_delay_alu instid0(VALU_DEP_1)
	v_mov_b32_e32 v7, v3
	ds_load_2addr_b64 v[2:5], v126 offset0:52 offset1:53
	v_pk_add_f32 v[230:231], v[230:231], v[20:21] neg_lo:[0,1] neg_hi:[0,1]
	v_pk_add_f32 v[232:233], v[232:233], v[6:7] neg_lo:[0,1] neg_hi:[0,1]
	s_wait_dscnt 0x0
	v_pk_mul_f32 v[6:7], v[2:3], v[16:17] op_sel:[0,1]
	s_delay_alu instid0(VALU_DEP_1) | instskip(SKIP_1) | instid1(VALU_DEP_1)
	v_pk_fma_f32 v[20:21], v[2:3], v[14:15], v[6:7] op_sel:[0,0,1] op_sel_hi:[1,1,0] neg_lo:[0,0,1] neg_hi:[0,0,1]
	v_pk_fma_f32 v[2:3], v[2:3], v[14:15], v[6:7] op_sel:[0,0,1] op_sel_hi:[1,0,0]
	v_mov_b32_e32 v21, v3
	v_pk_mul_f32 v[2:3], v[4:5], v[16:17] op_sel:[0,1]
	s_delay_alu instid0(VALU_DEP_1) | instskip(SKIP_1) | instid1(VALU_DEP_1)
	v_pk_fma_f32 v[6:7], v[4:5], v[14:15], v[2:3] op_sel:[0,0,1] op_sel_hi:[1,1,0] neg_lo:[0,0,1] neg_hi:[0,0,1]
	v_pk_fma_f32 v[2:3], v[4:5], v[14:15], v[2:3] op_sel:[0,0,1] op_sel_hi:[1,0,0]
	v_mov_b32_e32 v7, v3
	ds_load_2addr_b64 v[2:5], v126 offset0:54 offset1:55
	v_pk_add_f32 v[234:235], v[234:235], v[20:21] neg_lo:[0,1] neg_hi:[0,1]
	v_pk_add_f32 v[236:237], v[236:237], v[6:7] neg_lo:[0,1] neg_hi:[0,1]
	s_wait_dscnt 0x0
	v_dual_mul_f32 v6, v3, v17 :: v_dual_mul_f32 v20, v3, v14
	s_delay_alu instid0(VALU_DEP_1) | instskip(NEXT) | instid1(VALU_DEP_2)
	v_pk_fma_f32 v[6:7], v[2:3], v[132:133], v[6:7] op_sel_hi:[1,1,0] neg_lo:[0,0,1] neg_hi:[0,0,1]
	v_pk_fma_f32 v[2:3], v[2:3], v[132:133], v[20:21] op_sel:[1,0,0] op_sel_hi:[0,1,0]
	s_delay_alu instid0(VALU_DEP_1) | instskip(SKIP_1) | instid1(VALU_DEP_2)
	v_mov_b32_e32 v7, v3
	v_pk_mul_f32 v[2:3], v[4:5], v[16:17] op_sel:[0,1]
	v_pk_add_f32 v[238:239], v[238:239], v[6:7] neg_lo:[0,1] neg_hi:[0,1]
	s_delay_alu instid0(VALU_DEP_2) | instskip(SKIP_1) | instid1(VALU_DEP_1)
	v_pk_fma_f32 v[6:7], v[4:5], v[14:15], v[2:3] op_sel:[0,0,1] op_sel_hi:[1,1,0] neg_lo:[0,0,1] neg_hi:[0,0,1]
	v_pk_fma_f32 v[2:3], v[4:5], v[14:15], v[2:3] op_sel:[0,0,1] op_sel_hi:[1,0,0]
	v_mov_b32_e32 v7, v3
	ds_load_2addr_b64 v[2:5], v126 offset0:56 offset1:57
	v_pk_add_f32 v[240:241], v[240:241], v[6:7] neg_lo:[0,1] neg_hi:[0,1]
	s_wait_dscnt 0x0
	v_pk_mul_f32 v[6:7], v[2:3], v[16:17] op_sel:[0,1]
	s_delay_alu instid0(VALU_DEP_1) | instskip(SKIP_1) | instid1(VALU_DEP_1)
	v_pk_fma_f32 v[20:21], v[2:3], v[14:15], v[6:7] op_sel:[0,0,1] op_sel_hi:[1,1,0] neg_lo:[0,0,1] neg_hi:[0,0,1]
	v_pk_fma_f32 v[2:3], v[2:3], v[14:15], v[6:7] op_sel:[0,0,1] op_sel_hi:[1,0,0]
	v_mov_b32_e32 v21, v3
	v_pk_mul_f32 v[2:3], v[4:5], v[16:17] op_sel:[0,1]
	s_delay_alu instid0(VALU_DEP_2) | instskip(NEXT) | instid1(VALU_DEP_2)
	v_pk_add_f32 v[252:253], v[252:253], v[20:21] neg_lo:[0,1] neg_hi:[0,1]
	v_pk_fma_f32 v[6:7], v[4:5], v[14:15], v[2:3] op_sel:[0,0,1] op_sel_hi:[1,1,0] neg_lo:[0,0,1] neg_hi:[0,0,1]
	v_pk_fma_f32 v[2:3], v[4:5], v[14:15], v[2:3] op_sel:[0,0,1] op_sel_hi:[1,0,0]
	s_delay_alu instid0(VALU_DEP_1) | instskip(SKIP_4) | instid1(VALU_DEP_1)
	v_mov_b32_e32 v7, v3
	ds_load_2addr_b64 v[2:5], v126 offset0:58 offset1:59
	v_pk_add_f32 v[246:247], v[246:247], v[6:7] neg_lo:[0,1] neg_hi:[0,1]
	s_wait_dscnt 0x0
	v_pk_mul_f32 v[6:7], v[2:3], v[16:17] op_sel:[0,1]
	v_pk_fma_f32 v[20:21], v[2:3], v[14:15], v[6:7] op_sel:[0,0,1] op_sel_hi:[1,1,0] neg_lo:[0,0,1] neg_hi:[0,0,1]
	v_pk_fma_f32 v[2:3], v[2:3], v[14:15], v[6:7] op_sel:[0,0,1] op_sel_hi:[1,0,0]
	v_dual_mul_f32 v6, v5, v17 :: v_dual_mov_b32 v2, v5
	s_delay_alu instid0(VALU_DEP_2) | instskip(NEXT) | instid1(VALU_DEP_2)
	v_dual_mov_b32 v21, v3 :: v_dual_mov_b32 v3, v4
	v_pk_fma_f32 v[6:7], v[4:5], v[132:133], v[6:7] op_sel_hi:[1,1,0] neg_lo:[0,0,1] neg_hi:[0,0,1]
	v_mul_f32_e32 v4, v5, v14
	s_delay_alu instid0(VALU_DEP_3) | instskip(NEXT) | instid1(VALU_DEP_2)
	v_pk_add_f32 v[250:251], v[250:251], v[20:21] neg_lo:[0,1] neg_hi:[0,1]
	v_pk_fma_f32 v[2:3], v[2:3], v[132:133], v[4:5] op_sel_hi:[1,1,0]
	s_delay_alu instid0(VALU_DEP_1) | instskip(SKIP_4) | instid1(VALU_DEP_1)
	v_mov_b32_e32 v7, v3
	ds_load_2addr_b64 v[2:5], v126 offset0:60 offset1:61
	v_pk_add_f32 v[244:245], v[244:245], v[6:7] neg_lo:[0,1] neg_hi:[0,1]
	s_wait_dscnt 0x0
	v_pk_mul_f32 v[6:7], v[2:3], v[16:17] op_sel:[0,1]
	v_pk_fma_f32 v[20:21], v[2:3], v[14:15], v[6:7] op_sel:[0,0,1] op_sel_hi:[1,1,0] neg_lo:[0,0,1] neg_hi:[0,0,1]
	v_pk_fma_f32 v[2:3], v[2:3], v[14:15], v[6:7] op_sel:[0,0,1] op_sel_hi:[1,0,0]
	s_delay_alu instid0(VALU_DEP_1) | instskip(SKIP_1) | instid1(VALU_DEP_1)
	v_mov_b32_e32 v21, v3
	v_pk_mul_f32 v[2:3], v[4:5], v[16:17] op_sel:[0,1]
	v_pk_fma_f32 v[6:7], v[4:5], v[14:15], v[2:3] op_sel:[0,0,1] op_sel_hi:[1,1,0] neg_lo:[0,0,1] neg_hi:[0,0,1]
	v_pk_fma_f32 v[2:3], v[4:5], v[14:15], v[2:3] op_sel:[0,0,1] op_sel_hi:[1,0,0]
	s_delay_alu instid0(VALU_DEP_1)
	v_mov_b32_e32 v7, v3
	ds_load_2addr_b64 v[2:5], v126 offset0:62 offset1:63
	v_pk_add_f32 v[248:249], v[248:249], v[20:21] neg_lo:[0,1] neg_hi:[0,1]
	v_pk_add_f32 v[242:243], v[242:243], v[6:7] neg_lo:[0,1] neg_hi:[0,1]
	s_wait_dscnt 0x0
	v_pk_mul_f32 v[6:7], v[2:3], v[16:17] op_sel:[0,1]
	s_delay_alu instid0(VALU_DEP_1) | instskip(SKIP_1) | instid1(VALU_DEP_1)
	v_pk_fma_f32 v[20:21], v[2:3], v[14:15], v[6:7] op_sel:[0,0,1] op_sel_hi:[1,1,0] neg_lo:[0,0,1] neg_hi:[0,0,1]
	v_pk_fma_f32 v[2:3], v[2:3], v[14:15], v[6:7] op_sel:[0,0,1] op_sel_hi:[1,0,0]
	v_mov_b32_e32 v21, v3
	v_pk_mul_f32 v[2:3], v[4:5], v[16:17] op_sel:[0,1]
	s_delay_alu instid0(VALU_DEP_1) | instskip(SKIP_1) | instid1(VALU_DEP_1)
	v_pk_fma_f32 v[6:7], v[4:5], v[14:15], v[2:3] op_sel:[0,0,1] op_sel_hi:[1,1,0] neg_lo:[0,0,1] neg_hi:[0,0,1]
	v_pk_fma_f32 v[2:3], v[4:5], v[14:15], v[2:3] op_sel:[0,0,1] op_sel_hi:[1,0,0]
	v_mov_b32_e32 v7, v3
	v_pk_add_f32 v[254:255], v[254:255], v[20:21] neg_lo:[0,1] neg_hi:[0,1]
	s_delay_alu instid0(VALU_DEP_2)
	v_pk_add_f32 v[0:1], v[0:1], v[6:7] neg_lo:[0,1] neg_hi:[0,1]
.LBB127_55:
	s_wait_xcnt 0x0
	s_or_b32 exec_lo, exec_lo, s1
	s_delay_alu instid0(SALU_CYCLE_1)
	s_mov_b32 s2, exec_lo
	s_wait_storecnt 0x0
	s_barrier_signal -1
	s_barrier_wait -1
	v_cmpx_eq_u32_e32 6, v18
	s_cbranch_execz .LBB127_62
; %bb.56:
	ds_store_b64 v19, v[134:135]
	ds_store_2addr_b64 v126, v[130:131], v[138:139] offset0:7 offset1:8
	ds_store_2addr_b64 v126, v[140:141], v[146:147] offset0:9 offset1:10
	;; [unrolled: 1-line block ×28, first 2 shown]
	ds_store_b64 v126, v[0:1] offset:504
	ds_load_b64 v[2:3], v19
	s_wait_dscnt 0x0
	v_cmp_neq_f32_e32 vcc_lo, 0, v2
	v_cmp_neq_f32_e64 s1, 0, v3
	s_or_b32 s1, vcc_lo, s1
	s_delay_alu instid0(SALU_CYCLE_1)
	s_and_b32 exec_lo, exec_lo, s1
	s_cbranch_execz .LBB127_62
; %bb.57:
	v_cmp_ngt_f32_e64 s1, |v2|, |v3|
                                        ; implicit-def: $vgpr4_vgpr5
	s_and_saveexec_b32 s4, s1
	s_delay_alu instid0(SALU_CYCLE_1)
	s_xor_b32 s1, exec_lo, s4
	s_cbranch_execz .LBB127_59
; %bb.58:
	v_div_scale_f32 v4, null, v3, v3, v2
	v_div_scale_f32 v7, vcc_lo, v2, v3, v2
	s_delay_alu instid0(VALU_DEP_2) | instskip(SKIP_1) | instid1(TRANS32_DEP_1)
	v_rcp_f32_e32 v5, v4
	v_nop
	v_fma_f32 v6, -v4, v5, 1.0
	s_delay_alu instid0(VALU_DEP_1) | instskip(NEXT) | instid1(VALU_DEP_1)
	v_fmac_f32_e32 v5, v6, v5
	v_mul_f32_e32 v6, v7, v5
	s_delay_alu instid0(VALU_DEP_1) | instskip(NEXT) | instid1(VALU_DEP_1)
	v_fma_f32 v8, -v4, v6, v7
	v_fmac_f32_e32 v6, v8, v5
	s_delay_alu instid0(VALU_DEP_1) | instskip(NEXT) | instid1(VALU_DEP_1)
	v_fma_f32 v4, -v4, v6, v7
	v_div_fmas_f32 v4, v4, v5, v6
	s_delay_alu instid0(VALU_DEP_1) | instskip(NEXT) | instid1(VALU_DEP_1)
	v_div_fixup_f32 v4, v4, v3, v2
	v_fmac_f32_e32 v3, v2, v4
	s_delay_alu instid0(VALU_DEP_1) | instskip(SKIP_1) | instid1(VALU_DEP_2)
	v_div_scale_f32 v2, null, v3, v3, 1.0
	v_div_scale_f32 v7, vcc_lo, 1.0, v3, 1.0
	v_rcp_f32_e32 v5, v2
	v_nop
	s_delay_alu instid0(TRANS32_DEP_1) | instskip(NEXT) | instid1(VALU_DEP_1)
	v_fma_f32 v6, -v2, v5, 1.0
	v_fmac_f32_e32 v5, v6, v5
	s_delay_alu instid0(VALU_DEP_1) | instskip(NEXT) | instid1(VALU_DEP_1)
	v_mul_f32_e32 v6, v7, v5
	v_fma_f32 v8, -v2, v6, v7
	s_delay_alu instid0(VALU_DEP_1) | instskip(NEXT) | instid1(VALU_DEP_1)
	v_fmac_f32_e32 v6, v8, v5
	v_fma_f32 v2, -v2, v6, v7
	s_delay_alu instid0(VALU_DEP_1) | instskip(NEXT) | instid1(VALU_DEP_1)
	v_div_fmas_f32 v2, v2, v5, v6
	v_div_fixup_f32 v2, v2, v3, 1.0
	s_delay_alu instid0(VALU_DEP_1)
	v_mul_f32_e32 v4, v4, v2
	v_xor_b32_e32 v5, 0x80000000, v2
                                        ; implicit-def: $vgpr2_vgpr3
.LBB127_59:
	s_and_not1_saveexec_b32 s1, s1
	s_cbranch_execz .LBB127_61
; %bb.60:
	v_div_scale_f32 v4, null, v2, v2, v3
	v_div_scale_f32 v7, vcc_lo, v3, v2, v3
	s_delay_alu instid0(VALU_DEP_2) | instskip(SKIP_1) | instid1(TRANS32_DEP_1)
	v_rcp_f32_e32 v5, v4
	v_nop
	v_fma_f32 v6, -v4, v5, 1.0
	s_delay_alu instid0(VALU_DEP_1) | instskip(NEXT) | instid1(VALU_DEP_1)
	v_fmac_f32_e32 v5, v6, v5
	v_mul_f32_e32 v6, v7, v5
	s_delay_alu instid0(VALU_DEP_1) | instskip(NEXT) | instid1(VALU_DEP_1)
	v_fma_f32 v8, -v4, v6, v7
	v_fmac_f32_e32 v6, v8, v5
	s_delay_alu instid0(VALU_DEP_1) | instskip(NEXT) | instid1(VALU_DEP_1)
	v_fma_f32 v4, -v4, v6, v7
	v_div_fmas_f32 v4, v4, v5, v6
	s_delay_alu instid0(VALU_DEP_1) | instskip(NEXT) | instid1(VALU_DEP_1)
	v_div_fixup_f32 v5, v4, v2, v3
	v_fmac_f32_e32 v2, v3, v5
	s_delay_alu instid0(VALU_DEP_1) | instskip(NEXT) | instid1(VALU_DEP_1)
	v_div_scale_f32 v3, null, v2, v2, 1.0
	v_rcp_f32_e32 v4, v3
	v_nop
	s_delay_alu instid0(TRANS32_DEP_1) | instskip(NEXT) | instid1(VALU_DEP_1)
	v_fma_f32 v6, -v3, v4, 1.0
	v_fmac_f32_e32 v4, v6, v4
	v_div_scale_f32 v6, vcc_lo, 1.0, v2, 1.0
	s_delay_alu instid0(VALU_DEP_1) | instskip(NEXT) | instid1(VALU_DEP_1)
	v_mul_f32_e32 v7, v6, v4
	v_fma_f32 v8, -v3, v7, v6
	s_delay_alu instid0(VALU_DEP_1) | instskip(NEXT) | instid1(VALU_DEP_1)
	v_fmac_f32_e32 v7, v8, v4
	v_fma_f32 v3, -v3, v7, v6
	s_delay_alu instid0(VALU_DEP_1) | instskip(NEXT) | instid1(VALU_DEP_1)
	v_div_fmas_f32 v3, v3, v4, v7
	v_div_fixup_f32 v4, v3, v2, 1.0
	s_delay_alu instid0(VALU_DEP_1)
	v_mul_f32_e64 v5, v5, -v4
.LBB127_61:
	s_or_b32 exec_lo, exec_lo, s1
	ds_store_b64 v19, v[4:5]
.LBB127_62:
	s_or_b32 exec_lo, exec_lo, s2
	s_wait_dscnt 0x0
	s_barrier_signal -1
	s_barrier_wait -1
	ds_load_b64 v[14:15], v19
	s_mov_b32 s1, exec_lo
	v_cmpx_lt_u32_e32 6, v18
	s_cbranch_execz .LBB127_64
; %bb.63:
	s_wait_dscnt 0x0
	v_pk_mul_f32 v[2:3], v[14:15], v[134:135] op_sel:[1,1] op_sel_hi:[0,1]
	s_delay_alu instid0(VALU_DEP_1)
	v_pk_fma_f32 v[16:17], v[14:15], v[134:135], v[2:3] op_sel_hi:[1,0,1] neg_lo:[0,0,1] neg_hi:[0,0,1]
	v_pk_fma_f32 v[20:21], v[14:15], v[134:135], v[2:3] op_sel_hi:[1,0,1]
	ds_load_2addr_b64 v[2:5], v126 offset0:7 offset1:8
	v_dual_mov_b32 v134, v16 :: v_dual_mov_b32 v135, v21
	s_wait_dscnt 0x0
	v_pk_mul_f32 v[6:7], v[2:3], v[20:21] op_sel:[0,1]
	s_delay_alu instid0(VALU_DEP_1) | instskip(SKIP_1) | instid1(VALU_DEP_1)
	v_pk_fma_f32 v[22:23], v[2:3], v[16:17], v[6:7] op_sel:[0,0,1] op_sel_hi:[1,1,0] neg_lo:[0,0,1] neg_hi:[0,0,1]
	v_pk_fma_f32 v[2:3], v[2:3], v[16:17], v[6:7] op_sel:[0,0,1] op_sel_hi:[1,0,0]
	v_mov_b32_e32 v23, v3
	v_pk_mul_f32 v[2:3], v[4:5], v[20:21] op_sel:[0,1]
	s_delay_alu instid0(VALU_DEP_1) | instskip(SKIP_1) | instid1(VALU_DEP_1)
	v_pk_fma_f32 v[6:7], v[4:5], v[16:17], v[2:3] op_sel:[0,0,1] op_sel_hi:[1,1,0] neg_lo:[0,0,1] neg_hi:[0,0,1]
	v_pk_fma_f32 v[2:3], v[4:5], v[16:17], v[2:3] op_sel:[0,0,1] op_sel_hi:[1,0,0]
	v_mov_b32_e32 v7, v3
	ds_load_2addr_b64 v[2:5], v126 offset0:9 offset1:10
	v_pk_add_f32 v[130:131], v[130:131], v[22:23] neg_lo:[0,1] neg_hi:[0,1]
	v_pk_add_f32 v[138:139], v[138:139], v[6:7] neg_lo:[0,1] neg_hi:[0,1]
	s_wait_dscnt 0x0
	v_pk_mul_f32 v[6:7], v[2:3], v[20:21] op_sel:[0,1]
	s_delay_alu instid0(VALU_DEP_1) | instskip(SKIP_2) | instid1(VALU_DEP_2)
	v_pk_fma_f32 v[22:23], v[2:3], v[16:17], v[6:7] op_sel:[0,0,1] op_sel_hi:[1,1,0] neg_lo:[0,0,1] neg_hi:[0,0,1]
	v_pk_fma_f32 v[2:3], v[2:3], v[16:17], v[6:7] op_sel:[0,0,1] op_sel_hi:[1,0,0]
	v_dual_mul_f32 v6, v5, v21 :: v_dual_mov_b32 v2, v5
	v_dual_mov_b32 v23, v3 :: v_dual_mov_b32 v3, v4
	s_delay_alu instid0(VALU_DEP_2) | instskip(SKIP_1) | instid1(VALU_DEP_3)
	v_pk_fma_f32 v[6:7], v[4:5], v[134:135], v[6:7] op_sel_hi:[1,1,0] neg_lo:[0,0,1] neg_hi:[0,0,1]
	v_mul_f32_e32 v4, v5, v16
	v_pk_add_f32 v[140:141], v[140:141], v[22:23] neg_lo:[0,1] neg_hi:[0,1]
	s_delay_alu instid0(VALU_DEP_2) | instskip(NEXT) | instid1(VALU_DEP_1)
	v_pk_fma_f32 v[2:3], v[2:3], v[134:135], v[4:5] op_sel_hi:[1,1,0]
	v_mov_b32_e32 v7, v3
	ds_load_2addr_b64 v[2:5], v126 offset0:11 offset1:12
	v_pk_add_f32 v[146:147], v[146:147], v[6:7] neg_lo:[0,1] neg_hi:[0,1]
	s_wait_dscnt 0x0
	v_pk_mul_f32 v[6:7], v[2:3], v[20:21] op_sel:[0,1]
	s_delay_alu instid0(VALU_DEP_1) | instskip(SKIP_1) | instid1(VALU_DEP_1)
	v_pk_fma_f32 v[22:23], v[2:3], v[16:17], v[6:7] op_sel:[0,0,1] op_sel_hi:[1,1,0] neg_lo:[0,0,1] neg_hi:[0,0,1]
	v_pk_fma_f32 v[2:3], v[2:3], v[16:17], v[6:7] op_sel:[0,0,1] op_sel_hi:[1,0,0]
	v_mov_b32_e32 v23, v3
	v_pk_mul_f32 v[2:3], v[4:5], v[20:21] op_sel:[0,1]
	s_delay_alu instid0(VALU_DEP_1) | instskip(SKIP_1) | instid1(VALU_DEP_1)
	v_pk_fma_f32 v[6:7], v[4:5], v[16:17], v[2:3] op_sel:[0,0,1] op_sel_hi:[1,1,0] neg_lo:[0,0,1] neg_hi:[0,0,1]
	v_pk_fma_f32 v[2:3], v[4:5], v[16:17], v[2:3] op_sel:[0,0,1] op_sel_hi:[1,0,0]
	v_mov_b32_e32 v7, v3
	ds_load_2addr_b64 v[2:5], v126 offset0:13 offset1:14
	v_pk_add_f32 v[152:153], v[152:153], v[22:23] neg_lo:[0,1] neg_hi:[0,1]
	v_pk_add_f32 v[154:155], v[154:155], v[6:7] neg_lo:[0,1] neg_hi:[0,1]
	s_wait_dscnt 0x0
	v_pk_mul_f32 v[6:7], v[2:3], v[20:21] op_sel:[0,1]
	s_delay_alu instid0(VALU_DEP_1) | instskip(SKIP_1) | instid1(VALU_DEP_1)
	v_pk_fma_f32 v[22:23], v[2:3], v[16:17], v[6:7] op_sel:[0,0,1] op_sel_hi:[1,1,0] neg_lo:[0,0,1] neg_hi:[0,0,1]
	v_pk_fma_f32 v[2:3], v[2:3], v[16:17], v[6:7] op_sel:[0,0,1] op_sel_hi:[1,0,0]
	v_mov_b32_e32 v23, v3
	v_pk_mul_f32 v[2:3], v[4:5], v[20:21] op_sel:[0,1]
	s_delay_alu instid0(VALU_DEP_1) | instskip(SKIP_1) | instid1(VALU_DEP_1)
	v_pk_fma_f32 v[6:7], v[4:5], v[16:17], v[2:3] op_sel:[0,0,1] op_sel_hi:[1,1,0] neg_lo:[0,0,1] neg_hi:[0,0,1]
	v_pk_fma_f32 v[2:3], v[4:5], v[16:17], v[2:3] op_sel:[0,0,1] op_sel_hi:[1,0,0]
	v_mov_b32_e32 v7, v3
	ds_load_2addr_b64 v[2:5], v126 offset0:15 offset1:16
	v_pk_add_f32 v[156:157], v[156:157], v[22:23] neg_lo:[0,1] neg_hi:[0,1]
	v_pk_add_f32 v[158:159], v[158:159], v[6:7] neg_lo:[0,1] neg_hi:[0,1]
	s_wait_dscnt 0x0
	v_dual_mul_f32 v6, v3, v21 :: v_dual_mul_f32 v22, v3, v16
	s_delay_alu instid0(VALU_DEP_1) | instskip(NEXT) | instid1(VALU_DEP_2)
	v_pk_fma_f32 v[6:7], v[2:3], v[134:135], v[6:7] op_sel_hi:[1,1,0] neg_lo:[0,0,1] neg_hi:[0,0,1]
	v_pk_fma_f32 v[2:3], v[2:3], v[134:135], v[22:23] op_sel:[1,0,0] op_sel_hi:[0,1,0]
	s_delay_alu instid0(VALU_DEP_1) | instskip(SKIP_1) | instid1(VALU_DEP_2)
	v_mov_b32_e32 v7, v3
	v_pk_mul_f32 v[2:3], v[4:5], v[20:21] op_sel:[0,1]
	v_pk_add_f32 v[160:161], v[160:161], v[6:7] neg_lo:[0,1] neg_hi:[0,1]
	s_delay_alu instid0(VALU_DEP_2) | instskip(SKIP_1) | instid1(VALU_DEP_1)
	v_pk_fma_f32 v[6:7], v[4:5], v[16:17], v[2:3] op_sel:[0,0,1] op_sel_hi:[1,1,0] neg_lo:[0,0,1] neg_hi:[0,0,1]
	v_pk_fma_f32 v[2:3], v[4:5], v[16:17], v[2:3] op_sel:[0,0,1] op_sel_hi:[1,0,0]
	v_mov_b32_e32 v7, v3
	ds_load_2addr_b64 v[2:5], v126 offset0:17 offset1:18
	v_pk_add_f32 v[162:163], v[162:163], v[6:7] neg_lo:[0,1] neg_hi:[0,1]
	s_wait_dscnt 0x0
	v_pk_mul_f32 v[6:7], v[2:3], v[20:21] op_sel:[0,1]
	s_delay_alu instid0(VALU_DEP_1) | instskip(SKIP_1) | instid1(VALU_DEP_1)
	v_pk_fma_f32 v[22:23], v[2:3], v[16:17], v[6:7] op_sel:[0,0,1] op_sel_hi:[1,1,0] neg_lo:[0,0,1] neg_hi:[0,0,1]
	v_pk_fma_f32 v[2:3], v[2:3], v[16:17], v[6:7] op_sel:[0,0,1] op_sel_hi:[1,0,0]
	v_mov_b32_e32 v23, v3
	v_pk_mul_f32 v[2:3], v[4:5], v[20:21] op_sel:[0,1]
	s_delay_alu instid0(VALU_DEP_2) | instskip(NEXT) | instid1(VALU_DEP_2)
	v_pk_add_f32 v[164:165], v[164:165], v[22:23] neg_lo:[0,1] neg_hi:[0,1]
	v_pk_fma_f32 v[6:7], v[4:5], v[16:17], v[2:3] op_sel:[0,0,1] op_sel_hi:[1,1,0] neg_lo:[0,0,1] neg_hi:[0,0,1]
	v_pk_fma_f32 v[2:3], v[4:5], v[16:17], v[2:3] op_sel:[0,0,1] op_sel_hi:[1,0,0]
	s_delay_alu instid0(VALU_DEP_1) | instskip(SKIP_4) | instid1(VALU_DEP_1)
	v_mov_b32_e32 v7, v3
	ds_load_2addr_b64 v[2:5], v126 offset0:19 offset1:20
	v_pk_add_f32 v[166:167], v[166:167], v[6:7] neg_lo:[0,1] neg_hi:[0,1]
	s_wait_dscnt 0x0
	v_pk_mul_f32 v[6:7], v[2:3], v[20:21] op_sel:[0,1]
	v_pk_fma_f32 v[22:23], v[2:3], v[16:17], v[6:7] op_sel:[0,0,1] op_sel_hi:[1,1,0] neg_lo:[0,0,1] neg_hi:[0,0,1]
	v_pk_fma_f32 v[2:3], v[2:3], v[16:17], v[6:7] op_sel:[0,0,1] op_sel_hi:[1,0,0]
	v_dual_mul_f32 v6, v5, v21 :: v_dual_mov_b32 v2, v5
	s_delay_alu instid0(VALU_DEP_2) | instskip(NEXT) | instid1(VALU_DEP_2)
	v_dual_mov_b32 v23, v3 :: v_dual_mov_b32 v3, v4
	v_pk_fma_f32 v[6:7], v[4:5], v[134:135], v[6:7] op_sel_hi:[1,1,0] neg_lo:[0,0,1] neg_hi:[0,0,1]
	v_mul_f32_e32 v4, v5, v16
	s_delay_alu instid0(VALU_DEP_3) | instskip(NEXT) | instid1(VALU_DEP_2)
	v_pk_add_f32 v[168:169], v[168:169], v[22:23] neg_lo:[0,1] neg_hi:[0,1]
	v_pk_fma_f32 v[2:3], v[2:3], v[134:135], v[4:5] op_sel_hi:[1,1,0]
	s_delay_alu instid0(VALU_DEP_1) | instskip(SKIP_4) | instid1(VALU_DEP_1)
	v_mov_b32_e32 v7, v3
	ds_load_2addr_b64 v[2:5], v126 offset0:21 offset1:22
	v_pk_add_f32 v[170:171], v[170:171], v[6:7] neg_lo:[0,1] neg_hi:[0,1]
	s_wait_dscnt 0x0
	v_pk_mul_f32 v[6:7], v[2:3], v[20:21] op_sel:[0,1]
	v_pk_fma_f32 v[22:23], v[2:3], v[16:17], v[6:7] op_sel:[0,0,1] op_sel_hi:[1,1,0] neg_lo:[0,0,1] neg_hi:[0,0,1]
	v_pk_fma_f32 v[2:3], v[2:3], v[16:17], v[6:7] op_sel:[0,0,1] op_sel_hi:[1,0,0]
	s_delay_alu instid0(VALU_DEP_1) | instskip(SKIP_1) | instid1(VALU_DEP_1)
	v_mov_b32_e32 v23, v3
	v_pk_mul_f32 v[2:3], v[4:5], v[20:21] op_sel:[0,1]
	v_pk_fma_f32 v[6:7], v[4:5], v[16:17], v[2:3] op_sel:[0,0,1] op_sel_hi:[1,1,0] neg_lo:[0,0,1] neg_hi:[0,0,1]
	v_pk_fma_f32 v[2:3], v[4:5], v[16:17], v[2:3] op_sel:[0,0,1] op_sel_hi:[1,0,0]
	s_delay_alu instid0(VALU_DEP_1)
	v_mov_b32_e32 v7, v3
	ds_load_2addr_b64 v[2:5], v126 offset0:23 offset1:24
	v_pk_add_f32 v[172:173], v[172:173], v[22:23] neg_lo:[0,1] neg_hi:[0,1]
	v_pk_add_f32 v[174:175], v[174:175], v[6:7] neg_lo:[0,1] neg_hi:[0,1]
	s_wait_dscnt 0x0
	v_pk_mul_f32 v[6:7], v[2:3], v[20:21] op_sel:[0,1]
	s_delay_alu instid0(VALU_DEP_1) | instskip(SKIP_1) | instid1(VALU_DEP_1)
	v_pk_fma_f32 v[22:23], v[2:3], v[16:17], v[6:7] op_sel:[0,0,1] op_sel_hi:[1,1,0] neg_lo:[0,0,1] neg_hi:[0,0,1]
	v_pk_fma_f32 v[2:3], v[2:3], v[16:17], v[6:7] op_sel:[0,0,1] op_sel_hi:[1,0,0]
	v_mov_b32_e32 v23, v3
	v_pk_mul_f32 v[2:3], v[4:5], v[20:21] op_sel:[0,1]
	s_delay_alu instid0(VALU_DEP_1) | instskip(SKIP_1) | instid1(VALU_DEP_1)
	v_pk_fma_f32 v[6:7], v[4:5], v[16:17], v[2:3] op_sel:[0,0,1] op_sel_hi:[1,1,0] neg_lo:[0,0,1] neg_hi:[0,0,1]
	v_pk_fma_f32 v[2:3], v[4:5], v[16:17], v[2:3] op_sel:[0,0,1] op_sel_hi:[1,0,0]
	v_mov_b32_e32 v7, v3
	ds_load_2addr_b64 v[2:5], v126 offset0:25 offset1:26
	v_pk_add_f32 v[176:177], v[176:177], v[22:23] neg_lo:[0,1] neg_hi:[0,1]
	v_pk_add_f32 v[178:179], v[178:179], v[6:7] neg_lo:[0,1] neg_hi:[0,1]
	s_wait_dscnt 0x0
	v_dual_mul_f32 v6, v3, v21 :: v_dual_mul_f32 v22, v3, v16
	s_delay_alu instid0(VALU_DEP_1) | instskip(NEXT) | instid1(VALU_DEP_2)
	v_pk_fma_f32 v[6:7], v[2:3], v[134:135], v[6:7] op_sel_hi:[1,1,0] neg_lo:[0,0,1] neg_hi:[0,0,1]
	v_pk_fma_f32 v[2:3], v[2:3], v[134:135], v[22:23] op_sel:[1,0,0] op_sel_hi:[0,1,0]
	s_delay_alu instid0(VALU_DEP_1) | instskip(SKIP_1) | instid1(VALU_DEP_2)
	v_mov_b32_e32 v7, v3
	v_pk_mul_f32 v[2:3], v[4:5], v[20:21] op_sel:[0,1]
	v_pk_add_f32 v[180:181], v[180:181], v[6:7] neg_lo:[0,1] neg_hi:[0,1]
	s_delay_alu instid0(VALU_DEP_2) | instskip(SKIP_1) | instid1(VALU_DEP_1)
	v_pk_fma_f32 v[6:7], v[4:5], v[16:17], v[2:3] op_sel:[0,0,1] op_sel_hi:[1,1,0] neg_lo:[0,0,1] neg_hi:[0,0,1]
	v_pk_fma_f32 v[2:3], v[4:5], v[16:17], v[2:3] op_sel:[0,0,1] op_sel_hi:[1,0,0]
	v_mov_b32_e32 v7, v3
	ds_load_2addr_b64 v[2:5], v126 offset0:27 offset1:28
	v_pk_add_f32 v[182:183], v[182:183], v[6:7] neg_lo:[0,1] neg_hi:[0,1]
	s_wait_dscnt 0x0
	v_pk_mul_f32 v[6:7], v[2:3], v[20:21] op_sel:[0,1]
	s_delay_alu instid0(VALU_DEP_1) | instskip(SKIP_1) | instid1(VALU_DEP_1)
	v_pk_fma_f32 v[22:23], v[2:3], v[16:17], v[6:7] op_sel:[0,0,1] op_sel_hi:[1,1,0] neg_lo:[0,0,1] neg_hi:[0,0,1]
	v_pk_fma_f32 v[2:3], v[2:3], v[16:17], v[6:7] op_sel:[0,0,1] op_sel_hi:[1,0,0]
	v_mov_b32_e32 v23, v3
	v_pk_mul_f32 v[2:3], v[4:5], v[20:21] op_sel:[0,1]
	s_delay_alu instid0(VALU_DEP_2) | instskip(NEXT) | instid1(VALU_DEP_2)
	v_pk_add_f32 v[184:185], v[184:185], v[22:23] neg_lo:[0,1] neg_hi:[0,1]
	v_pk_fma_f32 v[6:7], v[4:5], v[16:17], v[2:3] op_sel:[0,0,1] op_sel_hi:[1,1,0] neg_lo:[0,0,1] neg_hi:[0,0,1]
	v_pk_fma_f32 v[2:3], v[4:5], v[16:17], v[2:3] op_sel:[0,0,1] op_sel_hi:[1,0,0]
	s_delay_alu instid0(VALU_DEP_1) | instskip(SKIP_4) | instid1(VALU_DEP_1)
	v_mov_b32_e32 v7, v3
	ds_load_2addr_b64 v[2:5], v126 offset0:29 offset1:30
	v_pk_add_f32 v[186:187], v[186:187], v[6:7] neg_lo:[0,1] neg_hi:[0,1]
	s_wait_dscnt 0x0
	v_pk_mul_f32 v[6:7], v[2:3], v[20:21] op_sel:[0,1]
	v_pk_fma_f32 v[22:23], v[2:3], v[16:17], v[6:7] op_sel:[0,0,1] op_sel_hi:[1,1,0] neg_lo:[0,0,1] neg_hi:[0,0,1]
	v_pk_fma_f32 v[2:3], v[2:3], v[16:17], v[6:7] op_sel:[0,0,1] op_sel_hi:[1,0,0]
	v_dual_mul_f32 v6, v5, v21 :: v_dual_mov_b32 v2, v5
	s_delay_alu instid0(VALU_DEP_2) | instskip(NEXT) | instid1(VALU_DEP_2)
	v_dual_mov_b32 v23, v3 :: v_dual_mov_b32 v3, v4
	v_pk_fma_f32 v[6:7], v[4:5], v[134:135], v[6:7] op_sel_hi:[1,1,0] neg_lo:[0,0,1] neg_hi:[0,0,1]
	v_mul_f32_e32 v4, v5, v16
	s_delay_alu instid0(VALU_DEP_3) | instskip(NEXT) | instid1(VALU_DEP_2)
	v_pk_add_f32 v[188:189], v[188:189], v[22:23] neg_lo:[0,1] neg_hi:[0,1]
	v_pk_fma_f32 v[2:3], v[2:3], v[134:135], v[4:5] op_sel_hi:[1,1,0]
	s_delay_alu instid0(VALU_DEP_1) | instskip(SKIP_4) | instid1(VALU_DEP_1)
	v_mov_b32_e32 v7, v3
	ds_load_2addr_b64 v[2:5], v126 offset0:31 offset1:32
	v_pk_add_f32 v[190:191], v[190:191], v[6:7] neg_lo:[0,1] neg_hi:[0,1]
	s_wait_dscnt 0x0
	v_pk_mul_f32 v[6:7], v[2:3], v[20:21] op_sel:[0,1]
	v_pk_fma_f32 v[22:23], v[2:3], v[16:17], v[6:7] op_sel:[0,0,1] op_sel_hi:[1,1,0] neg_lo:[0,0,1] neg_hi:[0,0,1]
	v_pk_fma_f32 v[2:3], v[2:3], v[16:17], v[6:7] op_sel:[0,0,1] op_sel_hi:[1,0,0]
	s_delay_alu instid0(VALU_DEP_1) | instskip(SKIP_1) | instid1(VALU_DEP_1)
	v_mov_b32_e32 v23, v3
	v_pk_mul_f32 v[2:3], v[4:5], v[20:21] op_sel:[0,1]
	v_pk_fma_f32 v[6:7], v[4:5], v[16:17], v[2:3] op_sel:[0,0,1] op_sel_hi:[1,1,0] neg_lo:[0,0,1] neg_hi:[0,0,1]
	v_pk_fma_f32 v[2:3], v[4:5], v[16:17], v[2:3] op_sel:[0,0,1] op_sel_hi:[1,0,0]
	s_delay_alu instid0(VALU_DEP_1)
	v_mov_b32_e32 v7, v3
	ds_load_2addr_b64 v[2:5], v126 offset0:33 offset1:34
	v_pk_add_f32 v[192:193], v[192:193], v[22:23] neg_lo:[0,1] neg_hi:[0,1]
	v_pk_add_f32 v[194:195], v[194:195], v[6:7] neg_lo:[0,1] neg_hi:[0,1]
	s_wait_dscnt 0x0
	v_pk_mul_f32 v[6:7], v[2:3], v[20:21] op_sel:[0,1]
	s_delay_alu instid0(VALU_DEP_1) | instskip(SKIP_1) | instid1(VALU_DEP_1)
	v_pk_fma_f32 v[22:23], v[2:3], v[16:17], v[6:7] op_sel:[0,0,1] op_sel_hi:[1,1,0] neg_lo:[0,0,1] neg_hi:[0,0,1]
	v_pk_fma_f32 v[2:3], v[2:3], v[16:17], v[6:7] op_sel:[0,0,1] op_sel_hi:[1,0,0]
	v_mov_b32_e32 v23, v3
	v_pk_mul_f32 v[2:3], v[4:5], v[20:21] op_sel:[0,1]
	s_delay_alu instid0(VALU_DEP_1) | instskip(SKIP_1) | instid1(VALU_DEP_1)
	v_pk_fma_f32 v[6:7], v[4:5], v[16:17], v[2:3] op_sel:[0,0,1] op_sel_hi:[1,1,0] neg_lo:[0,0,1] neg_hi:[0,0,1]
	v_pk_fma_f32 v[2:3], v[4:5], v[16:17], v[2:3] op_sel:[0,0,1] op_sel_hi:[1,0,0]
	v_mov_b32_e32 v7, v3
	ds_load_2addr_b64 v[2:5], v126 offset0:35 offset1:36
	v_pk_add_f32 v[196:197], v[196:197], v[22:23] neg_lo:[0,1] neg_hi:[0,1]
	v_pk_add_f32 v[198:199], v[198:199], v[6:7] neg_lo:[0,1] neg_hi:[0,1]
	s_wait_dscnt 0x0
	v_dual_mul_f32 v6, v3, v21 :: v_dual_mul_f32 v22, v3, v16
	s_delay_alu instid0(VALU_DEP_1) | instskip(NEXT) | instid1(VALU_DEP_2)
	v_pk_fma_f32 v[6:7], v[2:3], v[134:135], v[6:7] op_sel_hi:[1,1,0] neg_lo:[0,0,1] neg_hi:[0,0,1]
	v_pk_fma_f32 v[2:3], v[2:3], v[134:135], v[22:23] op_sel:[1,0,0] op_sel_hi:[0,1,0]
	s_delay_alu instid0(VALU_DEP_1) | instskip(SKIP_1) | instid1(VALU_DEP_2)
	v_mov_b32_e32 v7, v3
	v_pk_mul_f32 v[2:3], v[4:5], v[20:21] op_sel:[0,1]
	v_pk_add_f32 v[200:201], v[200:201], v[6:7] neg_lo:[0,1] neg_hi:[0,1]
	s_delay_alu instid0(VALU_DEP_2) | instskip(SKIP_1) | instid1(VALU_DEP_1)
	v_pk_fma_f32 v[6:7], v[4:5], v[16:17], v[2:3] op_sel:[0,0,1] op_sel_hi:[1,1,0] neg_lo:[0,0,1] neg_hi:[0,0,1]
	v_pk_fma_f32 v[2:3], v[4:5], v[16:17], v[2:3] op_sel:[0,0,1] op_sel_hi:[1,0,0]
	v_mov_b32_e32 v7, v3
	ds_load_2addr_b64 v[2:5], v126 offset0:37 offset1:38
	v_pk_add_f32 v[202:203], v[202:203], v[6:7] neg_lo:[0,1] neg_hi:[0,1]
	s_wait_dscnt 0x0
	v_pk_mul_f32 v[6:7], v[2:3], v[20:21] op_sel:[0,1]
	s_delay_alu instid0(VALU_DEP_1) | instskip(SKIP_1) | instid1(VALU_DEP_1)
	v_pk_fma_f32 v[22:23], v[2:3], v[16:17], v[6:7] op_sel:[0,0,1] op_sel_hi:[1,1,0] neg_lo:[0,0,1] neg_hi:[0,0,1]
	v_pk_fma_f32 v[2:3], v[2:3], v[16:17], v[6:7] op_sel:[0,0,1] op_sel_hi:[1,0,0]
	v_mov_b32_e32 v23, v3
	v_pk_mul_f32 v[2:3], v[4:5], v[20:21] op_sel:[0,1]
	s_delay_alu instid0(VALU_DEP_2) | instskip(NEXT) | instid1(VALU_DEP_2)
	v_pk_add_f32 v[204:205], v[204:205], v[22:23] neg_lo:[0,1] neg_hi:[0,1]
	v_pk_fma_f32 v[6:7], v[4:5], v[16:17], v[2:3] op_sel:[0,0,1] op_sel_hi:[1,1,0] neg_lo:[0,0,1] neg_hi:[0,0,1]
	v_pk_fma_f32 v[2:3], v[4:5], v[16:17], v[2:3] op_sel:[0,0,1] op_sel_hi:[1,0,0]
	s_delay_alu instid0(VALU_DEP_1) | instskip(SKIP_4) | instid1(VALU_DEP_1)
	v_mov_b32_e32 v7, v3
	ds_load_2addr_b64 v[2:5], v126 offset0:39 offset1:40
	v_pk_add_f32 v[206:207], v[206:207], v[6:7] neg_lo:[0,1] neg_hi:[0,1]
	s_wait_dscnt 0x0
	v_pk_mul_f32 v[6:7], v[2:3], v[20:21] op_sel:[0,1]
	v_pk_fma_f32 v[22:23], v[2:3], v[16:17], v[6:7] op_sel:[0,0,1] op_sel_hi:[1,1,0] neg_lo:[0,0,1] neg_hi:[0,0,1]
	v_pk_fma_f32 v[2:3], v[2:3], v[16:17], v[6:7] op_sel:[0,0,1] op_sel_hi:[1,0,0]
	v_dual_mul_f32 v6, v5, v21 :: v_dual_mov_b32 v2, v5
	s_delay_alu instid0(VALU_DEP_2) | instskip(NEXT) | instid1(VALU_DEP_2)
	v_dual_mov_b32 v23, v3 :: v_dual_mov_b32 v3, v4
	v_pk_fma_f32 v[6:7], v[4:5], v[134:135], v[6:7] op_sel_hi:[1,1,0] neg_lo:[0,0,1] neg_hi:[0,0,1]
	v_mul_f32_e32 v4, v5, v16
	s_delay_alu instid0(VALU_DEP_3) | instskip(NEXT) | instid1(VALU_DEP_2)
	v_pk_add_f32 v[208:209], v[208:209], v[22:23] neg_lo:[0,1] neg_hi:[0,1]
	v_pk_fma_f32 v[2:3], v[2:3], v[134:135], v[4:5] op_sel_hi:[1,1,0]
	s_delay_alu instid0(VALU_DEP_1) | instskip(SKIP_4) | instid1(VALU_DEP_1)
	v_mov_b32_e32 v7, v3
	ds_load_2addr_b64 v[2:5], v126 offset0:41 offset1:42
	v_pk_add_f32 v[210:211], v[210:211], v[6:7] neg_lo:[0,1] neg_hi:[0,1]
	s_wait_dscnt 0x0
	v_pk_mul_f32 v[6:7], v[2:3], v[20:21] op_sel:[0,1]
	v_pk_fma_f32 v[22:23], v[2:3], v[16:17], v[6:7] op_sel:[0,0,1] op_sel_hi:[1,1,0] neg_lo:[0,0,1] neg_hi:[0,0,1]
	v_pk_fma_f32 v[2:3], v[2:3], v[16:17], v[6:7] op_sel:[0,0,1] op_sel_hi:[1,0,0]
	s_delay_alu instid0(VALU_DEP_1) | instskip(SKIP_1) | instid1(VALU_DEP_1)
	v_mov_b32_e32 v23, v3
	v_pk_mul_f32 v[2:3], v[4:5], v[20:21] op_sel:[0,1]
	v_pk_fma_f32 v[6:7], v[4:5], v[16:17], v[2:3] op_sel:[0,0,1] op_sel_hi:[1,1,0] neg_lo:[0,0,1] neg_hi:[0,0,1]
	v_pk_fma_f32 v[2:3], v[4:5], v[16:17], v[2:3] op_sel:[0,0,1] op_sel_hi:[1,0,0]
	s_delay_alu instid0(VALU_DEP_1)
	v_mov_b32_e32 v7, v3
	ds_load_2addr_b64 v[2:5], v126 offset0:43 offset1:44
	v_pk_add_f32 v[212:213], v[212:213], v[22:23] neg_lo:[0,1] neg_hi:[0,1]
	v_pk_add_f32 v[214:215], v[214:215], v[6:7] neg_lo:[0,1] neg_hi:[0,1]
	s_wait_dscnt 0x0
	v_pk_mul_f32 v[6:7], v[2:3], v[20:21] op_sel:[0,1]
	s_delay_alu instid0(VALU_DEP_1) | instskip(SKIP_1) | instid1(VALU_DEP_1)
	v_pk_fma_f32 v[22:23], v[2:3], v[16:17], v[6:7] op_sel:[0,0,1] op_sel_hi:[1,1,0] neg_lo:[0,0,1] neg_hi:[0,0,1]
	v_pk_fma_f32 v[2:3], v[2:3], v[16:17], v[6:7] op_sel:[0,0,1] op_sel_hi:[1,0,0]
	v_mov_b32_e32 v23, v3
	v_pk_mul_f32 v[2:3], v[4:5], v[20:21] op_sel:[0,1]
	s_delay_alu instid0(VALU_DEP_1) | instskip(SKIP_1) | instid1(VALU_DEP_1)
	v_pk_fma_f32 v[6:7], v[4:5], v[16:17], v[2:3] op_sel:[0,0,1] op_sel_hi:[1,1,0] neg_lo:[0,0,1] neg_hi:[0,0,1]
	v_pk_fma_f32 v[2:3], v[4:5], v[16:17], v[2:3] op_sel:[0,0,1] op_sel_hi:[1,0,0]
	v_mov_b32_e32 v7, v3
	ds_load_2addr_b64 v[2:5], v126 offset0:45 offset1:46
	v_pk_add_f32 v[216:217], v[216:217], v[22:23] neg_lo:[0,1] neg_hi:[0,1]
	v_pk_add_f32 v[218:219], v[218:219], v[6:7] neg_lo:[0,1] neg_hi:[0,1]
	s_wait_dscnt 0x0
	v_dual_mul_f32 v6, v3, v21 :: v_dual_mul_f32 v22, v3, v16
	s_delay_alu instid0(VALU_DEP_1) | instskip(NEXT) | instid1(VALU_DEP_2)
	v_pk_fma_f32 v[6:7], v[2:3], v[134:135], v[6:7] op_sel_hi:[1,1,0] neg_lo:[0,0,1] neg_hi:[0,0,1]
	v_pk_fma_f32 v[2:3], v[2:3], v[134:135], v[22:23] op_sel:[1,0,0] op_sel_hi:[0,1,0]
	s_delay_alu instid0(VALU_DEP_1) | instskip(SKIP_1) | instid1(VALU_DEP_2)
	v_mov_b32_e32 v7, v3
	v_pk_mul_f32 v[2:3], v[4:5], v[20:21] op_sel:[0,1]
	v_pk_add_f32 v[220:221], v[220:221], v[6:7] neg_lo:[0,1] neg_hi:[0,1]
	s_delay_alu instid0(VALU_DEP_2) | instskip(SKIP_1) | instid1(VALU_DEP_1)
	v_pk_fma_f32 v[6:7], v[4:5], v[16:17], v[2:3] op_sel:[0,0,1] op_sel_hi:[1,1,0] neg_lo:[0,0,1] neg_hi:[0,0,1]
	v_pk_fma_f32 v[2:3], v[4:5], v[16:17], v[2:3] op_sel:[0,0,1] op_sel_hi:[1,0,0]
	v_mov_b32_e32 v7, v3
	ds_load_2addr_b64 v[2:5], v126 offset0:47 offset1:48
	v_pk_add_f32 v[222:223], v[222:223], v[6:7] neg_lo:[0,1] neg_hi:[0,1]
	s_wait_dscnt 0x0
	v_pk_mul_f32 v[6:7], v[2:3], v[20:21] op_sel:[0,1]
	s_delay_alu instid0(VALU_DEP_1) | instskip(SKIP_1) | instid1(VALU_DEP_1)
	v_pk_fma_f32 v[22:23], v[2:3], v[16:17], v[6:7] op_sel:[0,0,1] op_sel_hi:[1,1,0] neg_lo:[0,0,1] neg_hi:[0,0,1]
	v_pk_fma_f32 v[2:3], v[2:3], v[16:17], v[6:7] op_sel:[0,0,1] op_sel_hi:[1,0,0]
	v_mov_b32_e32 v23, v3
	v_pk_mul_f32 v[2:3], v[4:5], v[20:21] op_sel:[0,1]
	s_delay_alu instid0(VALU_DEP_2) | instskip(NEXT) | instid1(VALU_DEP_2)
	v_pk_add_f32 v[224:225], v[224:225], v[22:23] neg_lo:[0,1] neg_hi:[0,1]
	v_pk_fma_f32 v[6:7], v[4:5], v[16:17], v[2:3] op_sel:[0,0,1] op_sel_hi:[1,1,0] neg_lo:[0,0,1] neg_hi:[0,0,1]
	v_pk_fma_f32 v[2:3], v[4:5], v[16:17], v[2:3] op_sel:[0,0,1] op_sel_hi:[1,0,0]
	s_delay_alu instid0(VALU_DEP_1) | instskip(SKIP_4) | instid1(VALU_DEP_1)
	v_mov_b32_e32 v7, v3
	ds_load_2addr_b64 v[2:5], v126 offset0:49 offset1:50
	v_pk_add_f32 v[226:227], v[226:227], v[6:7] neg_lo:[0,1] neg_hi:[0,1]
	s_wait_dscnt 0x0
	v_pk_mul_f32 v[6:7], v[2:3], v[20:21] op_sel:[0,1]
	v_pk_fma_f32 v[22:23], v[2:3], v[16:17], v[6:7] op_sel:[0,0,1] op_sel_hi:[1,1,0] neg_lo:[0,0,1] neg_hi:[0,0,1]
	v_pk_fma_f32 v[2:3], v[2:3], v[16:17], v[6:7] op_sel:[0,0,1] op_sel_hi:[1,0,0]
	v_dual_mul_f32 v6, v5, v21 :: v_dual_mov_b32 v2, v5
	s_delay_alu instid0(VALU_DEP_2) | instskip(NEXT) | instid1(VALU_DEP_2)
	v_dual_mov_b32 v23, v3 :: v_dual_mov_b32 v3, v4
	v_pk_fma_f32 v[6:7], v[4:5], v[134:135], v[6:7] op_sel_hi:[1,1,0] neg_lo:[0,0,1] neg_hi:[0,0,1]
	v_mul_f32_e32 v4, v5, v16
	s_delay_alu instid0(VALU_DEP_3) | instskip(NEXT) | instid1(VALU_DEP_2)
	v_pk_add_f32 v[228:229], v[228:229], v[22:23] neg_lo:[0,1] neg_hi:[0,1]
	v_pk_fma_f32 v[2:3], v[2:3], v[134:135], v[4:5] op_sel_hi:[1,1,0]
	s_delay_alu instid0(VALU_DEP_1) | instskip(SKIP_4) | instid1(VALU_DEP_1)
	v_mov_b32_e32 v7, v3
	ds_load_2addr_b64 v[2:5], v126 offset0:51 offset1:52
	v_pk_add_f32 v[230:231], v[230:231], v[6:7] neg_lo:[0,1] neg_hi:[0,1]
	s_wait_dscnt 0x0
	v_pk_mul_f32 v[6:7], v[2:3], v[20:21] op_sel:[0,1]
	v_pk_fma_f32 v[22:23], v[2:3], v[16:17], v[6:7] op_sel:[0,0,1] op_sel_hi:[1,1,0] neg_lo:[0,0,1] neg_hi:[0,0,1]
	v_pk_fma_f32 v[2:3], v[2:3], v[16:17], v[6:7] op_sel:[0,0,1] op_sel_hi:[1,0,0]
	s_delay_alu instid0(VALU_DEP_1) | instskip(SKIP_1) | instid1(VALU_DEP_1)
	v_mov_b32_e32 v23, v3
	v_pk_mul_f32 v[2:3], v[4:5], v[20:21] op_sel:[0,1]
	v_pk_fma_f32 v[6:7], v[4:5], v[16:17], v[2:3] op_sel:[0,0,1] op_sel_hi:[1,1,0] neg_lo:[0,0,1] neg_hi:[0,0,1]
	v_pk_fma_f32 v[2:3], v[4:5], v[16:17], v[2:3] op_sel:[0,0,1] op_sel_hi:[1,0,0]
	s_delay_alu instid0(VALU_DEP_1)
	v_mov_b32_e32 v7, v3
	ds_load_2addr_b64 v[2:5], v126 offset0:53 offset1:54
	v_pk_add_f32 v[232:233], v[232:233], v[22:23] neg_lo:[0,1] neg_hi:[0,1]
	v_pk_add_f32 v[234:235], v[234:235], v[6:7] neg_lo:[0,1] neg_hi:[0,1]
	s_wait_dscnt 0x0
	v_pk_mul_f32 v[6:7], v[2:3], v[20:21] op_sel:[0,1]
	s_delay_alu instid0(VALU_DEP_1) | instskip(SKIP_1) | instid1(VALU_DEP_1)
	v_pk_fma_f32 v[22:23], v[2:3], v[16:17], v[6:7] op_sel:[0,0,1] op_sel_hi:[1,1,0] neg_lo:[0,0,1] neg_hi:[0,0,1]
	v_pk_fma_f32 v[2:3], v[2:3], v[16:17], v[6:7] op_sel:[0,0,1] op_sel_hi:[1,0,0]
	v_mov_b32_e32 v23, v3
	v_pk_mul_f32 v[2:3], v[4:5], v[20:21] op_sel:[0,1]
	s_delay_alu instid0(VALU_DEP_1) | instskip(SKIP_1) | instid1(VALU_DEP_1)
	v_pk_fma_f32 v[6:7], v[4:5], v[16:17], v[2:3] op_sel:[0,0,1] op_sel_hi:[1,1,0] neg_lo:[0,0,1] neg_hi:[0,0,1]
	v_pk_fma_f32 v[2:3], v[4:5], v[16:17], v[2:3] op_sel:[0,0,1] op_sel_hi:[1,0,0]
	v_mov_b32_e32 v7, v3
	ds_load_2addr_b64 v[2:5], v126 offset0:55 offset1:56
	v_pk_add_f32 v[236:237], v[236:237], v[22:23] neg_lo:[0,1] neg_hi:[0,1]
	v_pk_add_f32 v[238:239], v[238:239], v[6:7] neg_lo:[0,1] neg_hi:[0,1]
	s_wait_dscnt 0x0
	v_dual_mul_f32 v6, v3, v21 :: v_dual_mul_f32 v22, v3, v16
	s_delay_alu instid0(VALU_DEP_1) | instskip(NEXT) | instid1(VALU_DEP_2)
	v_pk_fma_f32 v[6:7], v[2:3], v[134:135], v[6:7] op_sel_hi:[1,1,0] neg_lo:[0,0,1] neg_hi:[0,0,1]
	v_pk_fma_f32 v[2:3], v[2:3], v[134:135], v[22:23] op_sel:[1,0,0] op_sel_hi:[0,1,0]
	s_delay_alu instid0(VALU_DEP_1) | instskip(SKIP_1) | instid1(VALU_DEP_2)
	v_mov_b32_e32 v7, v3
	v_pk_mul_f32 v[2:3], v[4:5], v[20:21] op_sel:[0,1]
	v_pk_add_f32 v[240:241], v[240:241], v[6:7] neg_lo:[0,1] neg_hi:[0,1]
	s_delay_alu instid0(VALU_DEP_2) | instskip(SKIP_1) | instid1(VALU_DEP_1)
	v_pk_fma_f32 v[6:7], v[4:5], v[16:17], v[2:3] op_sel:[0,0,1] op_sel_hi:[1,1,0] neg_lo:[0,0,1] neg_hi:[0,0,1]
	v_pk_fma_f32 v[2:3], v[4:5], v[16:17], v[2:3] op_sel:[0,0,1] op_sel_hi:[1,0,0]
	v_mov_b32_e32 v7, v3
	ds_load_2addr_b64 v[2:5], v126 offset0:57 offset1:58
	v_pk_add_f32 v[252:253], v[252:253], v[6:7] neg_lo:[0,1] neg_hi:[0,1]
	s_wait_dscnt 0x0
	v_pk_mul_f32 v[6:7], v[2:3], v[20:21] op_sel:[0,1]
	s_delay_alu instid0(VALU_DEP_1) | instskip(SKIP_1) | instid1(VALU_DEP_1)
	v_pk_fma_f32 v[22:23], v[2:3], v[16:17], v[6:7] op_sel:[0,0,1] op_sel_hi:[1,1,0] neg_lo:[0,0,1] neg_hi:[0,0,1]
	v_pk_fma_f32 v[2:3], v[2:3], v[16:17], v[6:7] op_sel:[0,0,1] op_sel_hi:[1,0,0]
	v_mov_b32_e32 v23, v3
	v_pk_mul_f32 v[2:3], v[4:5], v[20:21] op_sel:[0,1]
	s_delay_alu instid0(VALU_DEP_2) | instskip(NEXT) | instid1(VALU_DEP_2)
	v_pk_add_f32 v[246:247], v[246:247], v[22:23] neg_lo:[0,1] neg_hi:[0,1]
	v_pk_fma_f32 v[6:7], v[4:5], v[16:17], v[2:3] op_sel:[0,0,1] op_sel_hi:[1,1,0] neg_lo:[0,0,1] neg_hi:[0,0,1]
	v_pk_fma_f32 v[2:3], v[4:5], v[16:17], v[2:3] op_sel:[0,0,1] op_sel_hi:[1,0,0]
	s_delay_alu instid0(VALU_DEP_1) | instskip(SKIP_4) | instid1(VALU_DEP_1)
	v_mov_b32_e32 v7, v3
	ds_load_2addr_b64 v[2:5], v126 offset0:59 offset1:60
	v_pk_add_f32 v[250:251], v[250:251], v[6:7] neg_lo:[0,1] neg_hi:[0,1]
	s_wait_dscnt 0x0
	v_pk_mul_f32 v[6:7], v[2:3], v[20:21] op_sel:[0,1]
	v_pk_fma_f32 v[22:23], v[2:3], v[16:17], v[6:7] op_sel:[0,0,1] op_sel_hi:[1,1,0] neg_lo:[0,0,1] neg_hi:[0,0,1]
	v_pk_fma_f32 v[2:3], v[2:3], v[16:17], v[6:7] op_sel:[0,0,1] op_sel_hi:[1,0,0]
	v_dual_mul_f32 v6, v5, v21 :: v_dual_mov_b32 v2, v5
	s_delay_alu instid0(VALU_DEP_2) | instskip(NEXT) | instid1(VALU_DEP_2)
	v_dual_mov_b32 v23, v3 :: v_dual_mov_b32 v3, v4
	v_pk_fma_f32 v[6:7], v[4:5], v[134:135], v[6:7] op_sel_hi:[1,1,0] neg_lo:[0,0,1] neg_hi:[0,0,1]
	v_mul_f32_e32 v4, v5, v16
	s_delay_alu instid0(VALU_DEP_3) | instskip(NEXT) | instid1(VALU_DEP_2)
	v_pk_add_f32 v[244:245], v[244:245], v[22:23] neg_lo:[0,1] neg_hi:[0,1]
	v_pk_fma_f32 v[2:3], v[2:3], v[134:135], v[4:5] op_sel_hi:[1,1,0]
	s_delay_alu instid0(VALU_DEP_1) | instskip(SKIP_4) | instid1(VALU_DEP_1)
	v_mov_b32_e32 v7, v3
	ds_load_2addr_b64 v[2:5], v126 offset0:61 offset1:62
	v_pk_add_f32 v[248:249], v[248:249], v[6:7] neg_lo:[0,1] neg_hi:[0,1]
	s_wait_dscnt 0x0
	v_pk_mul_f32 v[6:7], v[2:3], v[20:21] op_sel:[0,1]
	v_pk_fma_f32 v[22:23], v[2:3], v[16:17], v[6:7] op_sel:[0,0,1] op_sel_hi:[1,1,0] neg_lo:[0,0,1] neg_hi:[0,0,1]
	v_pk_fma_f32 v[2:3], v[2:3], v[16:17], v[6:7] op_sel:[0,0,1] op_sel_hi:[1,0,0]
	s_delay_alu instid0(VALU_DEP_1) | instskip(SKIP_1) | instid1(VALU_DEP_1)
	v_mov_b32_e32 v23, v3
	v_pk_mul_f32 v[2:3], v[4:5], v[20:21] op_sel:[0,1]
	v_pk_fma_f32 v[6:7], v[4:5], v[16:17], v[2:3] op_sel:[0,0,1] op_sel_hi:[1,1,0] neg_lo:[0,0,1] neg_hi:[0,0,1]
	v_pk_fma_f32 v[2:3], v[4:5], v[16:17], v[2:3] op_sel:[0,0,1] op_sel_hi:[1,0,0]
	s_delay_alu instid0(VALU_DEP_1)
	v_mov_b32_e32 v7, v3
	ds_load_b64 v[2:3], v126 offset:504
	v_pk_add_f32 v[242:243], v[242:243], v[22:23] neg_lo:[0,1] neg_hi:[0,1]
	v_pk_add_f32 v[254:255], v[254:255], v[6:7] neg_lo:[0,1] neg_hi:[0,1]
	s_wait_dscnt 0x0
	v_pk_mul_f32 v[4:5], v[2:3], v[20:21] op_sel:[0,1]
	s_delay_alu instid0(VALU_DEP_1) | instskip(SKIP_1) | instid1(VALU_DEP_1)
	v_pk_fma_f32 v[6:7], v[2:3], v[16:17], v[4:5] op_sel:[0,0,1] op_sel_hi:[1,1,0] neg_lo:[0,0,1] neg_hi:[0,0,1]
	v_pk_fma_f32 v[2:3], v[2:3], v[16:17], v[4:5] op_sel:[0,0,1] op_sel_hi:[1,0,0]
	v_mov_b32_e32 v7, v3
	s_delay_alu instid0(VALU_DEP_1)
	v_pk_add_f32 v[0:1], v[0:1], v[6:7] neg_lo:[0,1] neg_hi:[0,1]
.LBB127_64:
	s_or_b32 exec_lo, exec_lo, s1
	s_delay_alu instid0(SALU_CYCLE_1)
	s_mov_b32 s2, exec_lo
	s_wait_dscnt 0x0
	s_barrier_signal -1
	s_barrier_wait -1
	v_cmpx_eq_u32_e32 7, v18
	s_cbranch_execz .LBB127_71
; %bb.65:
	v_dual_mov_b32 v2, v138 :: v_dual_mov_b32 v3, v139
	v_dual_mov_b32 v4, v140 :: v_dual_mov_b32 v5, v141
	ds_store_b64 v19, v[130:131]
	ds_store_2addr_b64 v126, v[2:3], v[4:5] offset0:8 offset1:9
	v_dual_mov_b32 v2, v146 :: v_dual_mov_b32 v3, v147
	v_dual_mov_b32 v4, v152 :: v_dual_mov_b32 v5, v153
	ds_store_2addr_b64 v126, v[2:3], v[4:5] offset0:10 offset1:11
	v_dual_mov_b32 v2, v154 :: v_dual_mov_b32 v3, v155
	v_dual_mov_b32 v4, v156 :: v_dual_mov_b32 v5, v157
	;; [unrolled: 3-line block ×26, first 2 shown]
	ds_store_2addr_b64 v126, v[2:3], v[4:5] offset0:60 offset1:61
	v_dual_mov_b32 v2, v254 :: v_dual_mov_b32 v3, v255
	ds_store_2addr_b64 v126, v[2:3], v[0:1] offset0:62 offset1:63
	ds_load_b64 v[2:3], v19
	s_wait_dscnt 0x0
	v_cmp_neq_f32_e32 vcc_lo, 0, v2
	v_cmp_neq_f32_e64 s1, 0, v3
	s_or_b32 s1, vcc_lo, s1
	s_delay_alu instid0(SALU_CYCLE_1)
	s_and_b32 exec_lo, exec_lo, s1
	s_cbranch_execz .LBB127_71
; %bb.66:
	v_cmp_ngt_f32_e64 s1, |v2|, |v3|
                                        ; implicit-def: $vgpr4_vgpr5
	s_and_saveexec_b32 s4, s1
	s_delay_alu instid0(SALU_CYCLE_1)
	s_xor_b32 s1, exec_lo, s4
	s_cbranch_execz .LBB127_68
; %bb.67:
	v_div_scale_f32 v4, null, v3, v3, v2
	v_div_scale_f32 v7, vcc_lo, v2, v3, v2
	s_delay_alu instid0(VALU_DEP_2) | instskip(SKIP_1) | instid1(TRANS32_DEP_1)
	v_rcp_f32_e32 v5, v4
	v_nop
	v_fma_f32 v6, -v4, v5, 1.0
	s_delay_alu instid0(VALU_DEP_1) | instskip(NEXT) | instid1(VALU_DEP_1)
	v_fmac_f32_e32 v5, v6, v5
	v_mul_f32_e32 v6, v7, v5
	s_delay_alu instid0(VALU_DEP_1) | instskip(NEXT) | instid1(VALU_DEP_1)
	v_fma_f32 v8, -v4, v6, v7
	v_fmac_f32_e32 v6, v8, v5
	s_delay_alu instid0(VALU_DEP_1) | instskip(NEXT) | instid1(VALU_DEP_1)
	v_fma_f32 v4, -v4, v6, v7
	v_div_fmas_f32 v4, v4, v5, v6
	s_delay_alu instid0(VALU_DEP_1) | instskip(NEXT) | instid1(VALU_DEP_1)
	v_div_fixup_f32 v4, v4, v3, v2
	v_fmac_f32_e32 v3, v2, v4
	s_delay_alu instid0(VALU_DEP_1) | instskip(SKIP_1) | instid1(VALU_DEP_2)
	v_div_scale_f32 v2, null, v3, v3, 1.0
	v_div_scale_f32 v7, vcc_lo, 1.0, v3, 1.0
	v_rcp_f32_e32 v5, v2
	v_nop
	s_delay_alu instid0(TRANS32_DEP_1) | instskip(NEXT) | instid1(VALU_DEP_1)
	v_fma_f32 v6, -v2, v5, 1.0
	v_fmac_f32_e32 v5, v6, v5
	s_delay_alu instid0(VALU_DEP_1) | instskip(NEXT) | instid1(VALU_DEP_1)
	v_mul_f32_e32 v6, v7, v5
	v_fma_f32 v8, -v2, v6, v7
	s_delay_alu instid0(VALU_DEP_1) | instskip(NEXT) | instid1(VALU_DEP_1)
	v_fmac_f32_e32 v6, v8, v5
	v_fma_f32 v2, -v2, v6, v7
	s_delay_alu instid0(VALU_DEP_1) | instskip(NEXT) | instid1(VALU_DEP_1)
	v_div_fmas_f32 v2, v2, v5, v6
	v_div_fixup_f32 v2, v2, v3, 1.0
	s_delay_alu instid0(VALU_DEP_1)
	v_mul_f32_e32 v4, v4, v2
	v_xor_b32_e32 v5, 0x80000000, v2
                                        ; implicit-def: $vgpr2_vgpr3
.LBB127_68:
	s_and_not1_saveexec_b32 s1, s1
	s_cbranch_execz .LBB127_70
; %bb.69:
	v_div_scale_f32 v4, null, v2, v2, v3
	v_div_scale_f32 v7, vcc_lo, v3, v2, v3
	s_delay_alu instid0(VALU_DEP_2) | instskip(SKIP_1) | instid1(TRANS32_DEP_1)
	v_rcp_f32_e32 v5, v4
	v_nop
	v_fma_f32 v6, -v4, v5, 1.0
	s_delay_alu instid0(VALU_DEP_1) | instskip(NEXT) | instid1(VALU_DEP_1)
	v_fmac_f32_e32 v5, v6, v5
	v_mul_f32_e32 v6, v7, v5
	s_delay_alu instid0(VALU_DEP_1) | instskip(NEXT) | instid1(VALU_DEP_1)
	v_fma_f32 v8, -v4, v6, v7
	v_fmac_f32_e32 v6, v8, v5
	s_delay_alu instid0(VALU_DEP_1) | instskip(NEXT) | instid1(VALU_DEP_1)
	v_fma_f32 v4, -v4, v6, v7
	v_div_fmas_f32 v4, v4, v5, v6
	s_delay_alu instid0(VALU_DEP_1) | instskip(NEXT) | instid1(VALU_DEP_1)
	v_div_fixup_f32 v5, v4, v2, v3
	v_fmac_f32_e32 v2, v3, v5
	s_delay_alu instid0(VALU_DEP_1) | instskip(NEXT) | instid1(VALU_DEP_1)
	v_div_scale_f32 v3, null, v2, v2, 1.0
	v_rcp_f32_e32 v4, v3
	v_nop
	s_delay_alu instid0(TRANS32_DEP_1) | instskip(NEXT) | instid1(VALU_DEP_1)
	v_fma_f32 v6, -v3, v4, 1.0
	v_fmac_f32_e32 v4, v6, v4
	v_div_scale_f32 v6, vcc_lo, 1.0, v2, 1.0
	s_delay_alu instid0(VALU_DEP_1) | instskip(NEXT) | instid1(VALU_DEP_1)
	v_mul_f32_e32 v7, v6, v4
	v_fma_f32 v8, -v3, v7, v6
	s_delay_alu instid0(VALU_DEP_1) | instskip(NEXT) | instid1(VALU_DEP_1)
	v_fmac_f32_e32 v7, v8, v4
	v_fma_f32 v3, -v3, v7, v6
	s_delay_alu instid0(VALU_DEP_1) | instskip(NEXT) | instid1(VALU_DEP_1)
	v_div_fmas_f32 v3, v3, v4, v7
	v_div_fixup_f32 v4, v3, v2, 1.0
	s_delay_alu instid0(VALU_DEP_1)
	v_mul_f32_e64 v5, v5, -v4
.LBB127_70:
	s_or_b32 exec_lo, exec_lo, s1
	ds_store_b64 v19, v[4:5]
.LBB127_71:
	s_or_b32 exec_lo, exec_lo, s2
	s_wait_dscnt 0x0
	s_barrier_signal -1
	s_barrier_wait -1
	ds_load_b64 v[16:17], v19
	s_mov_b32 s1, exec_lo
	v_cmpx_lt_u32_e32 7, v18
	s_cbranch_execz .LBB127_73
; %bb.72:
	s_wait_dscnt 0x0
	v_pk_mul_f32 v[2:3], v[16:17], v[130:131] op_sel:[1,1] op_sel_hi:[0,1]
	s_delay_alu instid0(VALU_DEP_1)
	v_pk_fma_f32 v[20:21], v[16:17], v[130:131], v[2:3] op_sel_hi:[1,0,1] neg_lo:[0,0,1] neg_hi:[0,0,1]
	v_pk_fma_f32 v[22:23], v[16:17], v[130:131], v[2:3] op_sel_hi:[1,0,1]
	ds_load_2addr_b64 v[2:5], v126 offset0:8 offset1:9
	v_dual_mov_b32 v130, v20 :: v_dual_mov_b32 v131, v23
	s_wait_dscnt 0x0
	v_pk_mul_f32 v[6:7], v[2:3], v[22:23] op_sel:[0,1]
	s_delay_alu instid0(VALU_DEP_1) | instskip(SKIP_1) | instid1(VALU_DEP_1)
	v_pk_fma_f32 v[24:25], v[2:3], v[20:21], v[6:7] op_sel:[0,0,1] op_sel_hi:[1,1,0] neg_lo:[0,0,1] neg_hi:[0,0,1]
	v_pk_fma_f32 v[2:3], v[2:3], v[20:21], v[6:7] op_sel:[0,0,1] op_sel_hi:[1,0,0]
	v_mov_b32_e32 v25, v3
	v_pk_mul_f32 v[2:3], v[4:5], v[22:23] op_sel:[0,1]
	s_delay_alu instid0(VALU_DEP_1) | instskip(SKIP_1) | instid1(VALU_DEP_1)
	v_pk_fma_f32 v[6:7], v[4:5], v[20:21], v[2:3] op_sel:[0,0,1] op_sel_hi:[1,1,0] neg_lo:[0,0,1] neg_hi:[0,0,1]
	v_pk_fma_f32 v[2:3], v[4:5], v[20:21], v[2:3] op_sel:[0,0,1] op_sel_hi:[1,0,0]
	v_mov_b32_e32 v7, v3
	ds_load_2addr_b64 v[2:5], v126 offset0:10 offset1:11
	v_pk_add_f32 v[138:139], v[138:139], v[24:25] neg_lo:[0,1] neg_hi:[0,1]
	v_pk_add_f32 v[140:141], v[140:141], v[6:7] neg_lo:[0,1] neg_hi:[0,1]
	s_wait_dscnt 0x0
	v_pk_mul_f32 v[6:7], v[2:3], v[22:23] op_sel:[0,1]
	s_delay_alu instid0(VALU_DEP_1) | instskip(SKIP_2) | instid1(VALU_DEP_2)
	v_pk_fma_f32 v[24:25], v[2:3], v[20:21], v[6:7] op_sel:[0,0,1] op_sel_hi:[1,1,0] neg_lo:[0,0,1] neg_hi:[0,0,1]
	v_pk_fma_f32 v[2:3], v[2:3], v[20:21], v[6:7] op_sel:[0,0,1] op_sel_hi:[1,0,0]
	v_dual_mul_f32 v6, v5, v23 :: v_dual_mov_b32 v2, v5
	v_dual_mov_b32 v25, v3 :: v_dual_mov_b32 v3, v4
	s_delay_alu instid0(VALU_DEP_2) | instskip(SKIP_1) | instid1(VALU_DEP_3)
	v_pk_fma_f32 v[6:7], v[4:5], v[130:131], v[6:7] op_sel_hi:[1,1,0] neg_lo:[0,0,1] neg_hi:[0,0,1]
	v_mul_f32_e32 v4, v5, v20
	v_pk_add_f32 v[146:147], v[146:147], v[24:25] neg_lo:[0,1] neg_hi:[0,1]
	s_delay_alu instid0(VALU_DEP_2) | instskip(NEXT) | instid1(VALU_DEP_1)
	v_pk_fma_f32 v[2:3], v[2:3], v[130:131], v[4:5] op_sel_hi:[1,1,0]
	v_mov_b32_e32 v7, v3
	ds_load_2addr_b64 v[2:5], v126 offset0:12 offset1:13
	v_pk_add_f32 v[152:153], v[152:153], v[6:7] neg_lo:[0,1] neg_hi:[0,1]
	s_wait_dscnt 0x0
	v_pk_mul_f32 v[6:7], v[2:3], v[22:23] op_sel:[0,1]
	s_delay_alu instid0(VALU_DEP_1) | instskip(SKIP_1) | instid1(VALU_DEP_1)
	v_pk_fma_f32 v[24:25], v[2:3], v[20:21], v[6:7] op_sel:[0,0,1] op_sel_hi:[1,1,0] neg_lo:[0,0,1] neg_hi:[0,0,1]
	v_pk_fma_f32 v[2:3], v[2:3], v[20:21], v[6:7] op_sel:[0,0,1] op_sel_hi:[1,0,0]
	v_mov_b32_e32 v25, v3
	v_pk_mul_f32 v[2:3], v[4:5], v[22:23] op_sel:[0,1]
	s_delay_alu instid0(VALU_DEP_1) | instskip(SKIP_1) | instid1(VALU_DEP_1)
	v_pk_fma_f32 v[6:7], v[4:5], v[20:21], v[2:3] op_sel:[0,0,1] op_sel_hi:[1,1,0] neg_lo:[0,0,1] neg_hi:[0,0,1]
	v_pk_fma_f32 v[2:3], v[4:5], v[20:21], v[2:3] op_sel:[0,0,1] op_sel_hi:[1,0,0]
	v_mov_b32_e32 v7, v3
	ds_load_2addr_b64 v[2:5], v126 offset0:14 offset1:15
	v_pk_add_f32 v[154:155], v[154:155], v[24:25] neg_lo:[0,1] neg_hi:[0,1]
	v_pk_add_f32 v[156:157], v[156:157], v[6:7] neg_lo:[0,1] neg_hi:[0,1]
	s_wait_dscnt 0x0
	v_pk_mul_f32 v[6:7], v[2:3], v[22:23] op_sel:[0,1]
	s_delay_alu instid0(VALU_DEP_1) | instskip(SKIP_1) | instid1(VALU_DEP_1)
	v_pk_fma_f32 v[24:25], v[2:3], v[20:21], v[6:7] op_sel:[0,0,1] op_sel_hi:[1,1,0] neg_lo:[0,0,1] neg_hi:[0,0,1]
	v_pk_fma_f32 v[2:3], v[2:3], v[20:21], v[6:7] op_sel:[0,0,1] op_sel_hi:[1,0,0]
	v_mov_b32_e32 v25, v3
	v_pk_mul_f32 v[2:3], v[4:5], v[22:23] op_sel:[0,1]
	s_delay_alu instid0(VALU_DEP_1) | instskip(SKIP_1) | instid1(VALU_DEP_1)
	v_pk_fma_f32 v[6:7], v[4:5], v[20:21], v[2:3] op_sel:[0,0,1] op_sel_hi:[1,1,0] neg_lo:[0,0,1] neg_hi:[0,0,1]
	v_pk_fma_f32 v[2:3], v[4:5], v[20:21], v[2:3] op_sel:[0,0,1] op_sel_hi:[1,0,0]
	v_mov_b32_e32 v7, v3
	ds_load_2addr_b64 v[2:5], v126 offset0:16 offset1:17
	v_pk_add_f32 v[158:159], v[158:159], v[24:25] neg_lo:[0,1] neg_hi:[0,1]
	v_pk_add_f32 v[160:161], v[160:161], v[6:7] neg_lo:[0,1] neg_hi:[0,1]
	s_wait_dscnt 0x0
	v_dual_mul_f32 v6, v3, v23 :: v_dual_mul_f32 v24, v3, v20
	s_delay_alu instid0(VALU_DEP_1) | instskip(NEXT) | instid1(VALU_DEP_2)
	v_pk_fma_f32 v[6:7], v[2:3], v[130:131], v[6:7] op_sel_hi:[1,1,0] neg_lo:[0,0,1] neg_hi:[0,0,1]
	v_pk_fma_f32 v[2:3], v[2:3], v[130:131], v[24:25] op_sel:[1,0,0] op_sel_hi:[0,1,0]
	s_delay_alu instid0(VALU_DEP_1) | instskip(SKIP_1) | instid1(VALU_DEP_2)
	v_mov_b32_e32 v7, v3
	v_pk_mul_f32 v[2:3], v[4:5], v[22:23] op_sel:[0,1]
	v_pk_add_f32 v[162:163], v[162:163], v[6:7] neg_lo:[0,1] neg_hi:[0,1]
	s_delay_alu instid0(VALU_DEP_2) | instskip(SKIP_1) | instid1(VALU_DEP_1)
	v_pk_fma_f32 v[6:7], v[4:5], v[20:21], v[2:3] op_sel:[0,0,1] op_sel_hi:[1,1,0] neg_lo:[0,0,1] neg_hi:[0,0,1]
	v_pk_fma_f32 v[2:3], v[4:5], v[20:21], v[2:3] op_sel:[0,0,1] op_sel_hi:[1,0,0]
	v_mov_b32_e32 v7, v3
	ds_load_2addr_b64 v[2:5], v126 offset0:18 offset1:19
	v_pk_add_f32 v[164:165], v[164:165], v[6:7] neg_lo:[0,1] neg_hi:[0,1]
	s_wait_dscnt 0x0
	v_pk_mul_f32 v[6:7], v[2:3], v[22:23] op_sel:[0,1]
	s_delay_alu instid0(VALU_DEP_1) | instskip(SKIP_1) | instid1(VALU_DEP_1)
	v_pk_fma_f32 v[24:25], v[2:3], v[20:21], v[6:7] op_sel:[0,0,1] op_sel_hi:[1,1,0] neg_lo:[0,0,1] neg_hi:[0,0,1]
	v_pk_fma_f32 v[2:3], v[2:3], v[20:21], v[6:7] op_sel:[0,0,1] op_sel_hi:[1,0,0]
	v_mov_b32_e32 v25, v3
	v_pk_mul_f32 v[2:3], v[4:5], v[22:23] op_sel:[0,1]
	s_delay_alu instid0(VALU_DEP_2) | instskip(NEXT) | instid1(VALU_DEP_2)
	v_pk_add_f32 v[166:167], v[166:167], v[24:25] neg_lo:[0,1] neg_hi:[0,1]
	v_pk_fma_f32 v[6:7], v[4:5], v[20:21], v[2:3] op_sel:[0,0,1] op_sel_hi:[1,1,0] neg_lo:[0,0,1] neg_hi:[0,0,1]
	v_pk_fma_f32 v[2:3], v[4:5], v[20:21], v[2:3] op_sel:[0,0,1] op_sel_hi:[1,0,0]
	s_delay_alu instid0(VALU_DEP_1) | instskip(SKIP_4) | instid1(VALU_DEP_1)
	v_mov_b32_e32 v7, v3
	ds_load_2addr_b64 v[2:5], v126 offset0:20 offset1:21
	v_pk_add_f32 v[168:169], v[168:169], v[6:7] neg_lo:[0,1] neg_hi:[0,1]
	s_wait_dscnt 0x0
	v_pk_mul_f32 v[6:7], v[2:3], v[22:23] op_sel:[0,1]
	v_pk_fma_f32 v[24:25], v[2:3], v[20:21], v[6:7] op_sel:[0,0,1] op_sel_hi:[1,1,0] neg_lo:[0,0,1] neg_hi:[0,0,1]
	v_pk_fma_f32 v[2:3], v[2:3], v[20:21], v[6:7] op_sel:[0,0,1] op_sel_hi:[1,0,0]
	v_dual_mul_f32 v6, v5, v23 :: v_dual_mov_b32 v2, v5
	s_delay_alu instid0(VALU_DEP_2) | instskip(NEXT) | instid1(VALU_DEP_2)
	v_dual_mov_b32 v25, v3 :: v_dual_mov_b32 v3, v4
	v_pk_fma_f32 v[6:7], v[4:5], v[130:131], v[6:7] op_sel_hi:[1,1,0] neg_lo:[0,0,1] neg_hi:[0,0,1]
	v_mul_f32_e32 v4, v5, v20
	s_delay_alu instid0(VALU_DEP_3) | instskip(NEXT) | instid1(VALU_DEP_2)
	v_pk_add_f32 v[170:171], v[170:171], v[24:25] neg_lo:[0,1] neg_hi:[0,1]
	v_pk_fma_f32 v[2:3], v[2:3], v[130:131], v[4:5] op_sel_hi:[1,1,0]
	s_delay_alu instid0(VALU_DEP_1) | instskip(SKIP_4) | instid1(VALU_DEP_1)
	v_mov_b32_e32 v7, v3
	ds_load_2addr_b64 v[2:5], v126 offset0:22 offset1:23
	v_pk_add_f32 v[172:173], v[172:173], v[6:7] neg_lo:[0,1] neg_hi:[0,1]
	s_wait_dscnt 0x0
	v_pk_mul_f32 v[6:7], v[2:3], v[22:23] op_sel:[0,1]
	v_pk_fma_f32 v[24:25], v[2:3], v[20:21], v[6:7] op_sel:[0,0,1] op_sel_hi:[1,1,0] neg_lo:[0,0,1] neg_hi:[0,0,1]
	v_pk_fma_f32 v[2:3], v[2:3], v[20:21], v[6:7] op_sel:[0,0,1] op_sel_hi:[1,0,0]
	s_delay_alu instid0(VALU_DEP_1) | instskip(SKIP_1) | instid1(VALU_DEP_1)
	v_mov_b32_e32 v25, v3
	v_pk_mul_f32 v[2:3], v[4:5], v[22:23] op_sel:[0,1]
	v_pk_fma_f32 v[6:7], v[4:5], v[20:21], v[2:3] op_sel:[0,0,1] op_sel_hi:[1,1,0] neg_lo:[0,0,1] neg_hi:[0,0,1]
	v_pk_fma_f32 v[2:3], v[4:5], v[20:21], v[2:3] op_sel:[0,0,1] op_sel_hi:[1,0,0]
	s_delay_alu instid0(VALU_DEP_1)
	v_mov_b32_e32 v7, v3
	ds_load_2addr_b64 v[2:5], v126 offset0:24 offset1:25
	v_pk_add_f32 v[174:175], v[174:175], v[24:25] neg_lo:[0,1] neg_hi:[0,1]
	v_pk_add_f32 v[176:177], v[176:177], v[6:7] neg_lo:[0,1] neg_hi:[0,1]
	s_wait_dscnt 0x0
	v_pk_mul_f32 v[6:7], v[2:3], v[22:23] op_sel:[0,1]
	s_delay_alu instid0(VALU_DEP_1) | instskip(SKIP_1) | instid1(VALU_DEP_1)
	v_pk_fma_f32 v[24:25], v[2:3], v[20:21], v[6:7] op_sel:[0,0,1] op_sel_hi:[1,1,0] neg_lo:[0,0,1] neg_hi:[0,0,1]
	v_pk_fma_f32 v[2:3], v[2:3], v[20:21], v[6:7] op_sel:[0,0,1] op_sel_hi:[1,0,0]
	v_mov_b32_e32 v25, v3
	v_pk_mul_f32 v[2:3], v[4:5], v[22:23] op_sel:[0,1]
	s_delay_alu instid0(VALU_DEP_1) | instskip(SKIP_1) | instid1(VALU_DEP_1)
	v_pk_fma_f32 v[6:7], v[4:5], v[20:21], v[2:3] op_sel:[0,0,1] op_sel_hi:[1,1,0] neg_lo:[0,0,1] neg_hi:[0,0,1]
	v_pk_fma_f32 v[2:3], v[4:5], v[20:21], v[2:3] op_sel:[0,0,1] op_sel_hi:[1,0,0]
	v_mov_b32_e32 v7, v3
	ds_load_2addr_b64 v[2:5], v126 offset0:26 offset1:27
	v_pk_add_f32 v[178:179], v[178:179], v[24:25] neg_lo:[0,1] neg_hi:[0,1]
	v_pk_add_f32 v[180:181], v[180:181], v[6:7] neg_lo:[0,1] neg_hi:[0,1]
	s_wait_dscnt 0x0
	v_dual_mul_f32 v6, v3, v23 :: v_dual_mul_f32 v24, v3, v20
	s_delay_alu instid0(VALU_DEP_1) | instskip(NEXT) | instid1(VALU_DEP_2)
	v_pk_fma_f32 v[6:7], v[2:3], v[130:131], v[6:7] op_sel_hi:[1,1,0] neg_lo:[0,0,1] neg_hi:[0,0,1]
	v_pk_fma_f32 v[2:3], v[2:3], v[130:131], v[24:25] op_sel:[1,0,0] op_sel_hi:[0,1,0]
	s_delay_alu instid0(VALU_DEP_1) | instskip(SKIP_1) | instid1(VALU_DEP_2)
	v_mov_b32_e32 v7, v3
	v_pk_mul_f32 v[2:3], v[4:5], v[22:23] op_sel:[0,1]
	v_pk_add_f32 v[182:183], v[182:183], v[6:7] neg_lo:[0,1] neg_hi:[0,1]
	s_delay_alu instid0(VALU_DEP_2) | instskip(SKIP_1) | instid1(VALU_DEP_1)
	v_pk_fma_f32 v[6:7], v[4:5], v[20:21], v[2:3] op_sel:[0,0,1] op_sel_hi:[1,1,0] neg_lo:[0,0,1] neg_hi:[0,0,1]
	v_pk_fma_f32 v[2:3], v[4:5], v[20:21], v[2:3] op_sel:[0,0,1] op_sel_hi:[1,0,0]
	v_mov_b32_e32 v7, v3
	ds_load_2addr_b64 v[2:5], v126 offset0:28 offset1:29
	v_pk_add_f32 v[184:185], v[184:185], v[6:7] neg_lo:[0,1] neg_hi:[0,1]
	s_wait_dscnt 0x0
	v_pk_mul_f32 v[6:7], v[2:3], v[22:23] op_sel:[0,1]
	s_delay_alu instid0(VALU_DEP_1) | instskip(SKIP_1) | instid1(VALU_DEP_1)
	v_pk_fma_f32 v[24:25], v[2:3], v[20:21], v[6:7] op_sel:[0,0,1] op_sel_hi:[1,1,0] neg_lo:[0,0,1] neg_hi:[0,0,1]
	v_pk_fma_f32 v[2:3], v[2:3], v[20:21], v[6:7] op_sel:[0,0,1] op_sel_hi:[1,0,0]
	v_mov_b32_e32 v25, v3
	v_pk_mul_f32 v[2:3], v[4:5], v[22:23] op_sel:[0,1]
	s_delay_alu instid0(VALU_DEP_2) | instskip(NEXT) | instid1(VALU_DEP_2)
	v_pk_add_f32 v[186:187], v[186:187], v[24:25] neg_lo:[0,1] neg_hi:[0,1]
	v_pk_fma_f32 v[6:7], v[4:5], v[20:21], v[2:3] op_sel:[0,0,1] op_sel_hi:[1,1,0] neg_lo:[0,0,1] neg_hi:[0,0,1]
	v_pk_fma_f32 v[2:3], v[4:5], v[20:21], v[2:3] op_sel:[0,0,1] op_sel_hi:[1,0,0]
	s_delay_alu instid0(VALU_DEP_1) | instskip(SKIP_4) | instid1(VALU_DEP_1)
	v_mov_b32_e32 v7, v3
	ds_load_2addr_b64 v[2:5], v126 offset0:30 offset1:31
	v_pk_add_f32 v[188:189], v[188:189], v[6:7] neg_lo:[0,1] neg_hi:[0,1]
	s_wait_dscnt 0x0
	v_pk_mul_f32 v[6:7], v[2:3], v[22:23] op_sel:[0,1]
	v_pk_fma_f32 v[24:25], v[2:3], v[20:21], v[6:7] op_sel:[0,0,1] op_sel_hi:[1,1,0] neg_lo:[0,0,1] neg_hi:[0,0,1]
	v_pk_fma_f32 v[2:3], v[2:3], v[20:21], v[6:7] op_sel:[0,0,1] op_sel_hi:[1,0,0]
	v_dual_mul_f32 v6, v5, v23 :: v_dual_mov_b32 v2, v5
	s_delay_alu instid0(VALU_DEP_2) | instskip(NEXT) | instid1(VALU_DEP_2)
	v_dual_mov_b32 v25, v3 :: v_dual_mov_b32 v3, v4
	v_pk_fma_f32 v[6:7], v[4:5], v[130:131], v[6:7] op_sel_hi:[1,1,0] neg_lo:[0,0,1] neg_hi:[0,0,1]
	v_mul_f32_e32 v4, v5, v20
	s_delay_alu instid0(VALU_DEP_3) | instskip(NEXT) | instid1(VALU_DEP_2)
	v_pk_add_f32 v[190:191], v[190:191], v[24:25] neg_lo:[0,1] neg_hi:[0,1]
	v_pk_fma_f32 v[2:3], v[2:3], v[130:131], v[4:5] op_sel_hi:[1,1,0]
	s_delay_alu instid0(VALU_DEP_1) | instskip(SKIP_4) | instid1(VALU_DEP_1)
	v_mov_b32_e32 v7, v3
	ds_load_2addr_b64 v[2:5], v126 offset0:32 offset1:33
	v_pk_add_f32 v[192:193], v[192:193], v[6:7] neg_lo:[0,1] neg_hi:[0,1]
	s_wait_dscnt 0x0
	v_pk_mul_f32 v[6:7], v[2:3], v[22:23] op_sel:[0,1]
	v_pk_fma_f32 v[24:25], v[2:3], v[20:21], v[6:7] op_sel:[0,0,1] op_sel_hi:[1,1,0] neg_lo:[0,0,1] neg_hi:[0,0,1]
	v_pk_fma_f32 v[2:3], v[2:3], v[20:21], v[6:7] op_sel:[0,0,1] op_sel_hi:[1,0,0]
	s_delay_alu instid0(VALU_DEP_1) | instskip(SKIP_1) | instid1(VALU_DEP_1)
	v_mov_b32_e32 v25, v3
	v_pk_mul_f32 v[2:3], v[4:5], v[22:23] op_sel:[0,1]
	v_pk_fma_f32 v[6:7], v[4:5], v[20:21], v[2:3] op_sel:[0,0,1] op_sel_hi:[1,1,0] neg_lo:[0,0,1] neg_hi:[0,0,1]
	v_pk_fma_f32 v[2:3], v[4:5], v[20:21], v[2:3] op_sel:[0,0,1] op_sel_hi:[1,0,0]
	s_delay_alu instid0(VALU_DEP_1)
	v_mov_b32_e32 v7, v3
	ds_load_2addr_b64 v[2:5], v126 offset0:34 offset1:35
	v_pk_add_f32 v[194:195], v[194:195], v[24:25] neg_lo:[0,1] neg_hi:[0,1]
	v_pk_add_f32 v[196:197], v[196:197], v[6:7] neg_lo:[0,1] neg_hi:[0,1]
	s_wait_dscnt 0x0
	v_pk_mul_f32 v[6:7], v[2:3], v[22:23] op_sel:[0,1]
	s_delay_alu instid0(VALU_DEP_1) | instskip(SKIP_1) | instid1(VALU_DEP_1)
	v_pk_fma_f32 v[24:25], v[2:3], v[20:21], v[6:7] op_sel:[0,0,1] op_sel_hi:[1,1,0] neg_lo:[0,0,1] neg_hi:[0,0,1]
	v_pk_fma_f32 v[2:3], v[2:3], v[20:21], v[6:7] op_sel:[0,0,1] op_sel_hi:[1,0,0]
	v_mov_b32_e32 v25, v3
	v_pk_mul_f32 v[2:3], v[4:5], v[22:23] op_sel:[0,1]
	s_delay_alu instid0(VALU_DEP_1) | instskip(SKIP_1) | instid1(VALU_DEP_1)
	v_pk_fma_f32 v[6:7], v[4:5], v[20:21], v[2:3] op_sel:[0,0,1] op_sel_hi:[1,1,0] neg_lo:[0,0,1] neg_hi:[0,0,1]
	v_pk_fma_f32 v[2:3], v[4:5], v[20:21], v[2:3] op_sel:[0,0,1] op_sel_hi:[1,0,0]
	v_mov_b32_e32 v7, v3
	ds_load_2addr_b64 v[2:5], v126 offset0:36 offset1:37
	v_pk_add_f32 v[198:199], v[198:199], v[24:25] neg_lo:[0,1] neg_hi:[0,1]
	v_pk_add_f32 v[200:201], v[200:201], v[6:7] neg_lo:[0,1] neg_hi:[0,1]
	s_wait_dscnt 0x0
	v_dual_mul_f32 v6, v3, v23 :: v_dual_mul_f32 v24, v3, v20
	s_delay_alu instid0(VALU_DEP_1) | instskip(NEXT) | instid1(VALU_DEP_2)
	v_pk_fma_f32 v[6:7], v[2:3], v[130:131], v[6:7] op_sel_hi:[1,1,0] neg_lo:[0,0,1] neg_hi:[0,0,1]
	v_pk_fma_f32 v[2:3], v[2:3], v[130:131], v[24:25] op_sel:[1,0,0] op_sel_hi:[0,1,0]
	s_delay_alu instid0(VALU_DEP_1) | instskip(SKIP_1) | instid1(VALU_DEP_2)
	v_mov_b32_e32 v7, v3
	v_pk_mul_f32 v[2:3], v[4:5], v[22:23] op_sel:[0,1]
	v_pk_add_f32 v[202:203], v[202:203], v[6:7] neg_lo:[0,1] neg_hi:[0,1]
	s_delay_alu instid0(VALU_DEP_2) | instskip(SKIP_1) | instid1(VALU_DEP_1)
	v_pk_fma_f32 v[6:7], v[4:5], v[20:21], v[2:3] op_sel:[0,0,1] op_sel_hi:[1,1,0] neg_lo:[0,0,1] neg_hi:[0,0,1]
	v_pk_fma_f32 v[2:3], v[4:5], v[20:21], v[2:3] op_sel:[0,0,1] op_sel_hi:[1,0,0]
	v_mov_b32_e32 v7, v3
	ds_load_2addr_b64 v[2:5], v126 offset0:38 offset1:39
	v_pk_add_f32 v[204:205], v[204:205], v[6:7] neg_lo:[0,1] neg_hi:[0,1]
	s_wait_dscnt 0x0
	v_pk_mul_f32 v[6:7], v[2:3], v[22:23] op_sel:[0,1]
	s_delay_alu instid0(VALU_DEP_1) | instskip(SKIP_1) | instid1(VALU_DEP_1)
	v_pk_fma_f32 v[24:25], v[2:3], v[20:21], v[6:7] op_sel:[0,0,1] op_sel_hi:[1,1,0] neg_lo:[0,0,1] neg_hi:[0,0,1]
	v_pk_fma_f32 v[2:3], v[2:3], v[20:21], v[6:7] op_sel:[0,0,1] op_sel_hi:[1,0,0]
	v_mov_b32_e32 v25, v3
	v_pk_mul_f32 v[2:3], v[4:5], v[22:23] op_sel:[0,1]
	s_delay_alu instid0(VALU_DEP_2) | instskip(NEXT) | instid1(VALU_DEP_2)
	v_pk_add_f32 v[206:207], v[206:207], v[24:25] neg_lo:[0,1] neg_hi:[0,1]
	v_pk_fma_f32 v[6:7], v[4:5], v[20:21], v[2:3] op_sel:[0,0,1] op_sel_hi:[1,1,0] neg_lo:[0,0,1] neg_hi:[0,0,1]
	v_pk_fma_f32 v[2:3], v[4:5], v[20:21], v[2:3] op_sel:[0,0,1] op_sel_hi:[1,0,0]
	s_delay_alu instid0(VALU_DEP_1) | instskip(SKIP_4) | instid1(VALU_DEP_1)
	v_mov_b32_e32 v7, v3
	ds_load_2addr_b64 v[2:5], v126 offset0:40 offset1:41
	v_pk_add_f32 v[208:209], v[208:209], v[6:7] neg_lo:[0,1] neg_hi:[0,1]
	s_wait_dscnt 0x0
	v_pk_mul_f32 v[6:7], v[2:3], v[22:23] op_sel:[0,1]
	v_pk_fma_f32 v[24:25], v[2:3], v[20:21], v[6:7] op_sel:[0,0,1] op_sel_hi:[1,1,0] neg_lo:[0,0,1] neg_hi:[0,0,1]
	v_pk_fma_f32 v[2:3], v[2:3], v[20:21], v[6:7] op_sel:[0,0,1] op_sel_hi:[1,0,0]
	v_dual_mul_f32 v6, v5, v23 :: v_dual_mov_b32 v2, v5
	s_delay_alu instid0(VALU_DEP_2) | instskip(NEXT) | instid1(VALU_DEP_2)
	v_dual_mov_b32 v25, v3 :: v_dual_mov_b32 v3, v4
	v_pk_fma_f32 v[6:7], v[4:5], v[130:131], v[6:7] op_sel_hi:[1,1,0] neg_lo:[0,0,1] neg_hi:[0,0,1]
	v_mul_f32_e32 v4, v5, v20
	s_delay_alu instid0(VALU_DEP_3) | instskip(NEXT) | instid1(VALU_DEP_2)
	v_pk_add_f32 v[210:211], v[210:211], v[24:25] neg_lo:[0,1] neg_hi:[0,1]
	v_pk_fma_f32 v[2:3], v[2:3], v[130:131], v[4:5] op_sel_hi:[1,1,0]
	s_delay_alu instid0(VALU_DEP_1) | instskip(SKIP_4) | instid1(VALU_DEP_1)
	v_mov_b32_e32 v7, v3
	ds_load_2addr_b64 v[2:5], v126 offset0:42 offset1:43
	v_pk_add_f32 v[212:213], v[212:213], v[6:7] neg_lo:[0,1] neg_hi:[0,1]
	s_wait_dscnt 0x0
	v_pk_mul_f32 v[6:7], v[2:3], v[22:23] op_sel:[0,1]
	v_pk_fma_f32 v[24:25], v[2:3], v[20:21], v[6:7] op_sel:[0,0,1] op_sel_hi:[1,1,0] neg_lo:[0,0,1] neg_hi:[0,0,1]
	v_pk_fma_f32 v[2:3], v[2:3], v[20:21], v[6:7] op_sel:[0,0,1] op_sel_hi:[1,0,0]
	s_delay_alu instid0(VALU_DEP_1) | instskip(SKIP_1) | instid1(VALU_DEP_1)
	v_mov_b32_e32 v25, v3
	v_pk_mul_f32 v[2:3], v[4:5], v[22:23] op_sel:[0,1]
	v_pk_fma_f32 v[6:7], v[4:5], v[20:21], v[2:3] op_sel:[0,0,1] op_sel_hi:[1,1,0] neg_lo:[0,0,1] neg_hi:[0,0,1]
	v_pk_fma_f32 v[2:3], v[4:5], v[20:21], v[2:3] op_sel:[0,0,1] op_sel_hi:[1,0,0]
	s_delay_alu instid0(VALU_DEP_1)
	v_mov_b32_e32 v7, v3
	ds_load_2addr_b64 v[2:5], v126 offset0:44 offset1:45
	v_pk_add_f32 v[214:215], v[214:215], v[24:25] neg_lo:[0,1] neg_hi:[0,1]
	v_pk_add_f32 v[216:217], v[216:217], v[6:7] neg_lo:[0,1] neg_hi:[0,1]
	s_wait_dscnt 0x0
	v_pk_mul_f32 v[6:7], v[2:3], v[22:23] op_sel:[0,1]
	s_delay_alu instid0(VALU_DEP_1) | instskip(SKIP_1) | instid1(VALU_DEP_1)
	v_pk_fma_f32 v[24:25], v[2:3], v[20:21], v[6:7] op_sel:[0,0,1] op_sel_hi:[1,1,0] neg_lo:[0,0,1] neg_hi:[0,0,1]
	v_pk_fma_f32 v[2:3], v[2:3], v[20:21], v[6:7] op_sel:[0,0,1] op_sel_hi:[1,0,0]
	v_mov_b32_e32 v25, v3
	v_pk_mul_f32 v[2:3], v[4:5], v[22:23] op_sel:[0,1]
	s_delay_alu instid0(VALU_DEP_1) | instskip(SKIP_1) | instid1(VALU_DEP_1)
	v_pk_fma_f32 v[6:7], v[4:5], v[20:21], v[2:3] op_sel:[0,0,1] op_sel_hi:[1,1,0] neg_lo:[0,0,1] neg_hi:[0,0,1]
	v_pk_fma_f32 v[2:3], v[4:5], v[20:21], v[2:3] op_sel:[0,0,1] op_sel_hi:[1,0,0]
	v_mov_b32_e32 v7, v3
	ds_load_2addr_b64 v[2:5], v126 offset0:46 offset1:47
	v_pk_add_f32 v[218:219], v[218:219], v[24:25] neg_lo:[0,1] neg_hi:[0,1]
	v_pk_add_f32 v[220:221], v[220:221], v[6:7] neg_lo:[0,1] neg_hi:[0,1]
	s_wait_dscnt 0x0
	v_dual_mul_f32 v6, v3, v23 :: v_dual_mul_f32 v24, v3, v20
	s_delay_alu instid0(VALU_DEP_1) | instskip(NEXT) | instid1(VALU_DEP_2)
	v_pk_fma_f32 v[6:7], v[2:3], v[130:131], v[6:7] op_sel_hi:[1,1,0] neg_lo:[0,0,1] neg_hi:[0,0,1]
	v_pk_fma_f32 v[2:3], v[2:3], v[130:131], v[24:25] op_sel:[1,0,0] op_sel_hi:[0,1,0]
	s_delay_alu instid0(VALU_DEP_1) | instskip(SKIP_1) | instid1(VALU_DEP_2)
	v_mov_b32_e32 v7, v3
	v_pk_mul_f32 v[2:3], v[4:5], v[22:23] op_sel:[0,1]
	v_pk_add_f32 v[222:223], v[222:223], v[6:7] neg_lo:[0,1] neg_hi:[0,1]
	s_delay_alu instid0(VALU_DEP_2) | instskip(SKIP_1) | instid1(VALU_DEP_1)
	v_pk_fma_f32 v[6:7], v[4:5], v[20:21], v[2:3] op_sel:[0,0,1] op_sel_hi:[1,1,0] neg_lo:[0,0,1] neg_hi:[0,0,1]
	v_pk_fma_f32 v[2:3], v[4:5], v[20:21], v[2:3] op_sel:[0,0,1] op_sel_hi:[1,0,0]
	v_mov_b32_e32 v7, v3
	ds_load_2addr_b64 v[2:5], v126 offset0:48 offset1:49
	v_pk_add_f32 v[224:225], v[224:225], v[6:7] neg_lo:[0,1] neg_hi:[0,1]
	s_wait_dscnt 0x0
	v_pk_mul_f32 v[6:7], v[2:3], v[22:23] op_sel:[0,1]
	s_delay_alu instid0(VALU_DEP_1) | instskip(SKIP_1) | instid1(VALU_DEP_1)
	v_pk_fma_f32 v[24:25], v[2:3], v[20:21], v[6:7] op_sel:[0,0,1] op_sel_hi:[1,1,0] neg_lo:[0,0,1] neg_hi:[0,0,1]
	v_pk_fma_f32 v[2:3], v[2:3], v[20:21], v[6:7] op_sel:[0,0,1] op_sel_hi:[1,0,0]
	v_mov_b32_e32 v25, v3
	v_pk_mul_f32 v[2:3], v[4:5], v[22:23] op_sel:[0,1]
	s_delay_alu instid0(VALU_DEP_2) | instskip(NEXT) | instid1(VALU_DEP_2)
	v_pk_add_f32 v[226:227], v[226:227], v[24:25] neg_lo:[0,1] neg_hi:[0,1]
	v_pk_fma_f32 v[6:7], v[4:5], v[20:21], v[2:3] op_sel:[0,0,1] op_sel_hi:[1,1,0] neg_lo:[0,0,1] neg_hi:[0,0,1]
	v_pk_fma_f32 v[2:3], v[4:5], v[20:21], v[2:3] op_sel:[0,0,1] op_sel_hi:[1,0,0]
	s_delay_alu instid0(VALU_DEP_1) | instskip(SKIP_4) | instid1(VALU_DEP_1)
	v_mov_b32_e32 v7, v3
	ds_load_2addr_b64 v[2:5], v126 offset0:50 offset1:51
	v_pk_add_f32 v[228:229], v[228:229], v[6:7] neg_lo:[0,1] neg_hi:[0,1]
	s_wait_dscnt 0x0
	v_pk_mul_f32 v[6:7], v[2:3], v[22:23] op_sel:[0,1]
	v_pk_fma_f32 v[24:25], v[2:3], v[20:21], v[6:7] op_sel:[0,0,1] op_sel_hi:[1,1,0] neg_lo:[0,0,1] neg_hi:[0,0,1]
	v_pk_fma_f32 v[2:3], v[2:3], v[20:21], v[6:7] op_sel:[0,0,1] op_sel_hi:[1,0,0]
	v_dual_mul_f32 v6, v5, v23 :: v_dual_mov_b32 v2, v5
	s_delay_alu instid0(VALU_DEP_2) | instskip(NEXT) | instid1(VALU_DEP_2)
	v_dual_mov_b32 v25, v3 :: v_dual_mov_b32 v3, v4
	v_pk_fma_f32 v[6:7], v[4:5], v[130:131], v[6:7] op_sel_hi:[1,1,0] neg_lo:[0,0,1] neg_hi:[0,0,1]
	v_mul_f32_e32 v4, v5, v20
	s_delay_alu instid0(VALU_DEP_3) | instskip(NEXT) | instid1(VALU_DEP_2)
	v_pk_add_f32 v[230:231], v[230:231], v[24:25] neg_lo:[0,1] neg_hi:[0,1]
	v_pk_fma_f32 v[2:3], v[2:3], v[130:131], v[4:5] op_sel_hi:[1,1,0]
	s_delay_alu instid0(VALU_DEP_1) | instskip(SKIP_4) | instid1(VALU_DEP_1)
	v_mov_b32_e32 v7, v3
	ds_load_2addr_b64 v[2:5], v126 offset0:52 offset1:53
	v_pk_add_f32 v[232:233], v[232:233], v[6:7] neg_lo:[0,1] neg_hi:[0,1]
	s_wait_dscnt 0x0
	v_pk_mul_f32 v[6:7], v[2:3], v[22:23] op_sel:[0,1]
	v_pk_fma_f32 v[24:25], v[2:3], v[20:21], v[6:7] op_sel:[0,0,1] op_sel_hi:[1,1,0] neg_lo:[0,0,1] neg_hi:[0,0,1]
	v_pk_fma_f32 v[2:3], v[2:3], v[20:21], v[6:7] op_sel:[0,0,1] op_sel_hi:[1,0,0]
	s_delay_alu instid0(VALU_DEP_1) | instskip(SKIP_1) | instid1(VALU_DEP_1)
	v_mov_b32_e32 v25, v3
	v_pk_mul_f32 v[2:3], v[4:5], v[22:23] op_sel:[0,1]
	v_pk_fma_f32 v[6:7], v[4:5], v[20:21], v[2:3] op_sel:[0,0,1] op_sel_hi:[1,1,0] neg_lo:[0,0,1] neg_hi:[0,0,1]
	v_pk_fma_f32 v[2:3], v[4:5], v[20:21], v[2:3] op_sel:[0,0,1] op_sel_hi:[1,0,0]
	s_delay_alu instid0(VALU_DEP_1)
	v_mov_b32_e32 v7, v3
	ds_load_2addr_b64 v[2:5], v126 offset0:54 offset1:55
	v_pk_add_f32 v[234:235], v[234:235], v[24:25] neg_lo:[0,1] neg_hi:[0,1]
	v_pk_add_f32 v[236:237], v[236:237], v[6:7] neg_lo:[0,1] neg_hi:[0,1]
	s_wait_dscnt 0x0
	v_pk_mul_f32 v[6:7], v[2:3], v[22:23] op_sel:[0,1]
	s_delay_alu instid0(VALU_DEP_1) | instskip(SKIP_1) | instid1(VALU_DEP_1)
	v_pk_fma_f32 v[24:25], v[2:3], v[20:21], v[6:7] op_sel:[0,0,1] op_sel_hi:[1,1,0] neg_lo:[0,0,1] neg_hi:[0,0,1]
	v_pk_fma_f32 v[2:3], v[2:3], v[20:21], v[6:7] op_sel:[0,0,1] op_sel_hi:[1,0,0]
	v_mov_b32_e32 v25, v3
	v_pk_mul_f32 v[2:3], v[4:5], v[22:23] op_sel:[0,1]
	s_delay_alu instid0(VALU_DEP_1) | instskip(SKIP_1) | instid1(VALU_DEP_1)
	v_pk_fma_f32 v[6:7], v[4:5], v[20:21], v[2:3] op_sel:[0,0,1] op_sel_hi:[1,1,0] neg_lo:[0,0,1] neg_hi:[0,0,1]
	v_pk_fma_f32 v[2:3], v[4:5], v[20:21], v[2:3] op_sel:[0,0,1] op_sel_hi:[1,0,0]
	v_mov_b32_e32 v7, v3
	ds_load_2addr_b64 v[2:5], v126 offset0:56 offset1:57
	v_pk_add_f32 v[238:239], v[238:239], v[24:25] neg_lo:[0,1] neg_hi:[0,1]
	v_pk_add_f32 v[240:241], v[240:241], v[6:7] neg_lo:[0,1] neg_hi:[0,1]
	s_wait_dscnt 0x0
	v_dual_mul_f32 v6, v3, v23 :: v_dual_mul_f32 v24, v3, v20
	s_delay_alu instid0(VALU_DEP_1) | instskip(NEXT) | instid1(VALU_DEP_2)
	v_pk_fma_f32 v[6:7], v[2:3], v[130:131], v[6:7] op_sel_hi:[1,1,0] neg_lo:[0,0,1] neg_hi:[0,0,1]
	v_pk_fma_f32 v[2:3], v[2:3], v[130:131], v[24:25] op_sel:[1,0,0] op_sel_hi:[0,1,0]
	s_delay_alu instid0(VALU_DEP_1) | instskip(SKIP_1) | instid1(VALU_DEP_2)
	v_mov_b32_e32 v7, v3
	v_pk_mul_f32 v[2:3], v[4:5], v[22:23] op_sel:[0,1]
	v_pk_add_f32 v[252:253], v[252:253], v[6:7] neg_lo:[0,1] neg_hi:[0,1]
	s_delay_alu instid0(VALU_DEP_2) | instskip(SKIP_1) | instid1(VALU_DEP_1)
	v_pk_fma_f32 v[6:7], v[4:5], v[20:21], v[2:3] op_sel:[0,0,1] op_sel_hi:[1,1,0] neg_lo:[0,0,1] neg_hi:[0,0,1]
	v_pk_fma_f32 v[2:3], v[4:5], v[20:21], v[2:3] op_sel:[0,0,1] op_sel_hi:[1,0,0]
	v_mov_b32_e32 v7, v3
	ds_load_2addr_b64 v[2:5], v126 offset0:58 offset1:59
	v_pk_add_f32 v[246:247], v[246:247], v[6:7] neg_lo:[0,1] neg_hi:[0,1]
	s_wait_dscnt 0x0
	v_pk_mul_f32 v[6:7], v[2:3], v[22:23] op_sel:[0,1]
	s_delay_alu instid0(VALU_DEP_1) | instskip(SKIP_1) | instid1(VALU_DEP_1)
	v_pk_fma_f32 v[24:25], v[2:3], v[20:21], v[6:7] op_sel:[0,0,1] op_sel_hi:[1,1,0] neg_lo:[0,0,1] neg_hi:[0,0,1]
	v_pk_fma_f32 v[2:3], v[2:3], v[20:21], v[6:7] op_sel:[0,0,1] op_sel_hi:[1,0,0]
	v_mov_b32_e32 v25, v3
	v_pk_mul_f32 v[2:3], v[4:5], v[22:23] op_sel:[0,1]
	s_delay_alu instid0(VALU_DEP_2) | instskip(NEXT) | instid1(VALU_DEP_2)
	v_pk_add_f32 v[250:251], v[250:251], v[24:25] neg_lo:[0,1] neg_hi:[0,1]
	v_pk_fma_f32 v[6:7], v[4:5], v[20:21], v[2:3] op_sel:[0,0,1] op_sel_hi:[1,1,0] neg_lo:[0,0,1] neg_hi:[0,0,1]
	v_pk_fma_f32 v[2:3], v[4:5], v[20:21], v[2:3] op_sel:[0,0,1] op_sel_hi:[1,0,0]
	s_delay_alu instid0(VALU_DEP_1) | instskip(SKIP_4) | instid1(VALU_DEP_1)
	v_mov_b32_e32 v7, v3
	ds_load_2addr_b64 v[2:5], v126 offset0:60 offset1:61
	v_pk_add_f32 v[244:245], v[244:245], v[6:7] neg_lo:[0,1] neg_hi:[0,1]
	s_wait_dscnt 0x0
	v_pk_mul_f32 v[6:7], v[2:3], v[22:23] op_sel:[0,1]
	v_pk_fma_f32 v[24:25], v[2:3], v[20:21], v[6:7] op_sel:[0,0,1] op_sel_hi:[1,1,0] neg_lo:[0,0,1] neg_hi:[0,0,1]
	v_pk_fma_f32 v[2:3], v[2:3], v[20:21], v[6:7] op_sel:[0,0,1] op_sel_hi:[1,0,0]
	v_dual_mul_f32 v6, v5, v23 :: v_dual_mov_b32 v2, v5
	s_delay_alu instid0(VALU_DEP_2) | instskip(NEXT) | instid1(VALU_DEP_2)
	v_dual_mov_b32 v25, v3 :: v_dual_mov_b32 v3, v4
	v_pk_fma_f32 v[6:7], v[4:5], v[130:131], v[6:7] op_sel_hi:[1,1,0] neg_lo:[0,0,1] neg_hi:[0,0,1]
	v_mul_f32_e32 v4, v5, v20
	s_delay_alu instid0(VALU_DEP_3) | instskip(NEXT) | instid1(VALU_DEP_2)
	v_pk_add_f32 v[248:249], v[248:249], v[24:25] neg_lo:[0,1] neg_hi:[0,1]
	v_pk_fma_f32 v[2:3], v[2:3], v[130:131], v[4:5] op_sel_hi:[1,1,0]
	s_delay_alu instid0(VALU_DEP_1) | instskip(SKIP_4) | instid1(VALU_DEP_1)
	v_mov_b32_e32 v7, v3
	ds_load_2addr_b64 v[2:5], v126 offset0:62 offset1:63
	v_pk_add_f32 v[242:243], v[242:243], v[6:7] neg_lo:[0,1] neg_hi:[0,1]
	s_wait_dscnt 0x0
	v_pk_mul_f32 v[6:7], v[2:3], v[22:23] op_sel:[0,1]
	v_pk_fma_f32 v[24:25], v[2:3], v[20:21], v[6:7] op_sel:[0,0,1] op_sel_hi:[1,1,0] neg_lo:[0,0,1] neg_hi:[0,0,1]
	v_pk_fma_f32 v[2:3], v[2:3], v[20:21], v[6:7] op_sel:[0,0,1] op_sel_hi:[1,0,0]
	s_delay_alu instid0(VALU_DEP_1) | instskip(SKIP_1) | instid1(VALU_DEP_1)
	v_mov_b32_e32 v25, v3
	v_pk_mul_f32 v[2:3], v[4:5], v[22:23] op_sel:[0,1]
	v_pk_fma_f32 v[6:7], v[4:5], v[20:21], v[2:3] op_sel:[0,0,1] op_sel_hi:[1,1,0] neg_lo:[0,0,1] neg_hi:[0,0,1]
	v_pk_fma_f32 v[2:3], v[4:5], v[20:21], v[2:3] op_sel:[0,0,1] op_sel_hi:[1,0,0]
	s_delay_alu instid0(VALU_DEP_1) | instskip(SKIP_1) | instid1(VALU_DEP_2)
	v_mov_b32_e32 v7, v3
	v_pk_add_f32 v[254:255], v[254:255], v[24:25] neg_lo:[0,1] neg_hi:[0,1]
	v_pk_add_f32 v[0:1], v[0:1], v[6:7] neg_lo:[0,1] neg_hi:[0,1]
.LBB127_73:
	s_or_b32 exec_lo, exec_lo, s1
	s_delay_alu instid0(SALU_CYCLE_1)
	s_mov_b32 s2, exec_lo
	s_wait_dscnt 0x0
	s_barrier_signal -1
	s_barrier_wait -1
	v_cmpx_eq_u32_e32 8, v18
	s_cbranch_execz .LBB127_80
; %bb.74:
	ds_store_b64 v19, v[138:139]
	ds_store_2addr_b64 v126, v[140:141], v[146:147] offset0:9 offset1:10
	ds_store_2addr_b64 v126, v[152:153], v[154:155] offset0:11 offset1:12
	;; [unrolled: 1-line block ×27, first 2 shown]
	ds_store_b64 v126, v[0:1] offset:504
	ds_load_b64 v[2:3], v19
	s_wait_dscnt 0x0
	v_cmp_neq_f32_e32 vcc_lo, 0, v2
	v_cmp_neq_f32_e64 s1, 0, v3
	s_or_b32 s1, vcc_lo, s1
	s_delay_alu instid0(SALU_CYCLE_1)
	s_and_b32 exec_lo, exec_lo, s1
	s_cbranch_execz .LBB127_80
; %bb.75:
	v_cmp_ngt_f32_e64 s1, |v2|, |v3|
                                        ; implicit-def: $vgpr4_vgpr5
	s_and_saveexec_b32 s4, s1
	s_delay_alu instid0(SALU_CYCLE_1)
	s_xor_b32 s1, exec_lo, s4
	s_cbranch_execz .LBB127_77
; %bb.76:
	v_div_scale_f32 v4, null, v3, v3, v2
	v_div_scale_f32 v7, vcc_lo, v2, v3, v2
	s_delay_alu instid0(VALU_DEP_2) | instskip(SKIP_1) | instid1(TRANS32_DEP_1)
	v_rcp_f32_e32 v5, v4
	v_nop
	v_fma_f32 v6, -v4, v5, 1.0
	s_delay_alu instid0(VALU_DEP_1) | instskip(NEXT) | instid1(VALU_DEP_1)
	v_fmac_f32_e32 v5, v6, v5
	v_mul_f32_e32 v6, v7, v5
	s_delay_alu instid0(VALU_DEP_1) | instskip(NEXT) | instid1(VALU_DEP_1)
	v_fma_f32 v8, -v4, v6, v7
	v_fmac_f32_e32 v6, v8, v5
	s_delay_alu instid0(VALU_DEP_1) | instskip(NEXT) | instid1(VALU_DEP_1)
	v_fma_f32 v4, -v4, v6, v7
	v_div_fmas_f32 v4, v4, v5, v6
	s_delay_alu instid0(VALU_DEP_1) | instskip(NEXT) | instid1(VALU_DEP_1)
	v_div_fixup_f32 v4, v4, v3, v2
	v_fmac_f32_e32 v3, v2, v4
	s_delay_alu instid0(VALU_DEP_1) | instskip(SKIP_1) | instid1(VALU_DEP_2)
	v_div_scale_f32 v2, null, v3, v3, 1.0
	v_div_scale_f32 v7, vcc_lo, 1.0, v3, 1.0
	v_rcp_f32_e32 v5, v2
	v_nop
	s_delay_alu instid0(TRANS32_DEP_1) | instskip(NEXT) | instid1(VALU_DEP_1)
	v_fma_f32 v6, -v2, v5, 1.0
	v_fmac_f32_e32 v5, v6, v5
	s_delay_alu instid0(VALU_DEP_1) | instskip(NEXT) | instid1(VALU_DEP_1)
	v_mul_f32_e32 v6, v7, v5
	v_fma_f32 v8, -v2, v6, v7
	s_delay_alu instid0(VALU_DEP_1) | instskip(NEXT) | instid1(VALU_DEP_1)
	v_fmac_f32_e32 v6, v8, v5
	v_fma_f32 v2, -v2, v6, v7
	s_delay_alu instid0(VALU_DEP_1) | instskip(NEXT) | instid1(VALU_DEP_1)
	v_div_fmas_f32 v2, v2, v5, v6
	v_div_fixup_f32 v2, v2, v3, 1.0
	s_delay_alu instid0(VALU_DEP_1)
	v_mul_f32_e32 v4, v4, v2
	v_xor_b32_e32 v5, 0x80000000, v2
                                        ; implicit-def: $vgpr2_vgpr3
.LBB127_77:
	s_and_not1_saveexec_b32 s1, s1
	s_cbranch_execz .LBB127_79
; %bb.78:
	v_div_scale_f32 v4, null, v2, v2, v3
	v_div_scale_f32 v7, vcc_lo, v3, v2, v3
	s_delay_alu instid0(VALU_DEP_2) | instskip(SKIP_1) | instid1(TRANS32_DEP_1)
	v_rcp_f32_e32 v5, v4
	v_nop
	v_fma_f32 v6, -v4, v5, 1.0
	s_delay_alu instid0(VALU_DEP_1) | instskip(NEXT) | instid1(VALU_DEP_1)
	v_fmac_f32_e32 v5, v6, v5
	v_mul_f32_e32 v6, v7, v5
	s_delay_alu instid0(VALU_DEP_1) | instskip(NEXT) | instid1(VALU_DEP_1)
	v_fma_f32 v8, -v4, v6, v7
	v_fmac_f32_e32 v6, v8, v5
	s_delay_alu instid0(VALU_DEP_1) | instskip(NEXT) | instid1(VALU_DEP_1)
	v_fma_f32 v4, -v4, v6, v7
	v_div_fmas_f32 v4, v4, v5, v6
	s_delay_alu instid0(VALU_DEP_1) | instskip(NEXT) | instid1(VALU_DEP_1)
	v_div_fixup_f32 v5, v4, v2, v3
	v_fmac_f32_e32 v2, v3, v5
	s_delay_alu instid0(VALU_DEP_1) | instskip(NEXT) | instid1(VALU_DEP_1)
	v_div_scale_f32 v3, null, v2, v2, 1.0
	v_rcp_f32_e32 v4, v3
	v_nop
	s_delay_alu instid0(TRANS32_DEP_1) | instskip(NEXT) | instid1(VALU_DEP_1)
	v_fma_f32 v6, -v3, v4, 1.0
	v_fmac_f32_e32 v4, v6, v4
	v_div_scale_f32 v6, vcc_lo, 1.0, v2, 1.0
	s_delay_alu instid0(VALU_DEP_1) | instskip(NEXT) | instid1(VALU_DEP_1)
	v_mul_f32_e32 v7, v6, v4
	v_fma_f32 v8, -v3, v7, v6
	s_delay_alu instid0(VALU_DEP_1) | instskip(NEXT) | instid1(VALU_DEP_1)
	v_fmac_f32_e32 v7, v8, v4
	v_fma_f32 v3, -v3, v7, v6
	s_delay_alu instid0(VALU_DEP_1) | instskip(NEXT) | instid1(VALU_DEP_1)
	v_div_fmas_f32 v3, v3, v4, v7
	v_div_fixup_f32 v4, v3, v2, 1.0
	s_delay_alu instid0(VALU_DEP_1)
	v_mul_f32_e64 v5, v5, -v4
.LBB127_79:
	s_or_b32 exec_lo, exec_lo, s1
	ds_store_b64 v19, v[4:5]
.LBB127_80:
	s_or_b32 exec_lo, exec_lo, s2
	s_wait_dscnt 0x0
	s_barrier_signal -1
	s_barrier_wait -1
	ds_load_b64 v[20:21], v19
	s_mov_b32 s1, exec_lo
	v_cmpx_lt_u32_e32 8, v18
	s_cbranch_execz .LBB127_82
; %bb.81:
	s_wait_dscnt 0x0
	v_pk_mul_f32 v[2:3], v[20:21], v[138:139] op_sel:[1,1] op_sel_hi:[0,1]
	s_delay_alu instid0(VALU_DEP_1)
	v_pk_fma_f32 v[22:23], v[20:21], v[138:139], v[2:3] op_sel_hi:[1,0,1] neg_lo:[0,0,1] neg_hi:[0,0,1]
	v_pk_fma_f32 v[24:25], v[20:21], v[138:139], v[2:3] op_sel_hi:[1,0,1]
	ds_load_2addr_b64 v[2:5], v126 offset0:9 offset1:10
	v_dual_mov_b32 v138, v22 :: v_dual_mov_b32 v139, v25
	s_wait_dscnt 0x0
	v_pk_mul_f32 v[6:7], v[2:3], v[24:25] op_sel:[0,1]
	s_delay_alu instid0(VALU_DEP_1) | instskip(SKIP_1) | instid1(VALU_DEP_1)
	v_pk_fma_f32 v[26:27], v[2:3], v[22:23], v[6:7] op_sel:[0,0,1] op_sel_hi:[1,1,0] neg_lo:[0,0,1] neg_hi:[0,0,1]
	v_pk_fma_f32 v[2:3], v[2:3], v[22:23], v[6:7] op_sel:[0,0,1] op_sel_hi:[1,0,0]
	v_mov_b32_e32 v27, v3
	v_pk_mul_f32 v[2:3], v[4:5], v[24:25] op_sel:[0,1]
	s_delay_alu instid0(VALU_DEP_1) | instskip(SKIP_1) | instid1(VALU_DEP_1)
	v_pk_fma_f32 v[6:7], v[4:5], v[22:23], v[2:3] op_sel:[0,0,1] op_sel_hi:[1,1,0] neg_lo:[0,0,1] neg_hi:[0,0,1]
	v_pk_fma_f32 v[2:3], v[4:5], v[22:23], v[2:3] op_sel:[0,0,1] op_sel_hi:[1,0,0]
	v_mov_b32_e32 v7, v3
	ds_load_2addr_b64 v[2:5], v126 offset0:11 offset1:12
	v_pk_add_f32 v[140:141], v[140:141], v[26:27] neg_lo:[0,1] neg_hi:[0,1]
	v_pk_add_f32 v[146:147], v[146:147], v[6:7] neg_lo:[0,1] neg_hi:[0,1]
	s_wait_dscnt 0x0
	v_pk_mul_f32 v[6:7], v[2:3], v[24:25] op_sel:[0,1]
	s_delay_alu instid0(VALU_DEP_1) | instskip(SKIP_2) | instid1(VALU_DEP_2)
	v_pk_fma_f32 v[26:27], v[2:3], v[22:23], v[6:7] op_sel:[0,0,1] op_sel_hi:[1,1,0] neg_lo:[0,0,1] neg_hi:[0,0,1]
	v_pk_fma_f32 v[2:3], v[2:3], v[22:23], v[6:7] op_sel:[0,0,1] op_sel_hi:[1,0,0]
	v_dual_mul_f32 v6, v5, v25 :: v_dual_mov_b32 v2, v5
	v_dual_mov_b32 v27, v3 :: v_dual_mov_b32 v3, v4
	s_delay_alu instid0(VALU_DEP_2) | instskip(SKIP_1) | instid1(VALU_DEP_3)
	v_pk_fma_f32 v[6:7], v[4:5], v[138:139], v[6:7] op_sel_hi:[1,1,0] neg_lo:[0,0,1] neg_hi:[0,0,1]
	v_mul_f32_e32 v4, v5, v22
	v_pk_add_f32 v[152:153], v[152:153], v[26:27] neg_lo:[0,1] neg_hi:[0,1]
	s_delay_alu instid0(VALU_DEP_2) | instskip(NEXT) | instid1(VALU_DEP_1)
	v_pk_fma_f32 v[2:3], v[2:3], v[138:139], v[4:5] op_sel_hi:[1,1,0]
	v_mov_b32_e32 v7, v3
	ds_load_2addr_b64 v[2:5], v126 offset0:13 offset1:14
	v_pk_add_f32 v[154:155], v[154:155], v[6:7] neg_lo:[0,1] neg_hi:[0,1]
	s_wait_dscnt 0x0
	v_pk_mul_f32 v[6:7], v[2:3], v[24:25] op_sel:[0,1]
	s_delay_alu instid0(VALU_DEP_1) | instskip(SKIP_1) | instid1(VALU_DEP_1)
	v_pk_fma_f32 v[26:27], v[2:3], v[22:23], v[6:7] op_sel:[0,0,1] op_sel_hi:[1,1,0] neg_lo:[0,0,1] neg_hi:[0,0,1]
	v_pk_fma_f32 v[2:3], v[2:3], v[22:23], v[6:7] op_sel:[0,0,1] op_sel_hi:[1,0,0]
	v_mov_b32_e32 v27, v3
	v_pk_mul_f32 v[2:3], v[4:5], v[24:25] op_sel:[0,1]
	s_delay_alu instid0(VALU_DEP_1) | instskip(SKIP_1) | instid1(VALU_DEP_1)
	v_pk_fma_f32 v[6:7], v[4:5], v[22:23], v[2:3] op_sel:[0,0,1] op_sel_hi:[1,1,0] neg_lo:[0,0,1] neg_hi:[0,0,1]
	v_pk_fma_f32 v[2:3], v[4:5], v[22:23], v[2:3] op_sel:[0,0,1] op_sel_hi:[1,0,0]
	v_mov_b32_e32 v7, v3
	ds_load_2addr_b64 v[2:5], v126 offset0:15 offset1:16
	v_pk_add_f32 v[156:157], v[156:157], v[26:27] neg_lo:[0,1] neg_hi:[0,1]
	v_pk_add_f32 v[158:159], v[158:159], v[6:7] neg_lo:[0,1] neg_hi:[0,1]
	s_wait_dscnt 0x0
	v_pk_mul_f32 v[6:7], v[2:3], v[24:25] op_sel:[0,1]
	s_delay_alu instid0(VALU_DEP_1) | instskip(SKIP_1) | instid1(VALU_DEP_1)
	v_pk_fma_f32 v[26:27], v[2:3], v[22:23], v[6:7] op_sel:[0,0,1] op_sel_hi:[1,1,0] neg_lo:[0,0,1] neg_hi:[0,0,1]
	v_pk_fma_f32 v[2:3], v[2:3], v[22:23], v[6:7] op_sel:[0,0,1] op_sel_hi:[1,0,0]
	v_mov_b32_e32 v27, v3
	v_pk_mul_f32 v[2:3], v[4:5], v[24:25] op_sel:[0,1]
	s_delay_alu instid0(VALU_DEP_1) | instskip(SKIP_1) | instid1(VALU_DEP_1)
	v_pk_fma_f32 v[6:7], v[4:5], v[22:23], v[2:3] op_sel:[0,0,1] op_sel_hi:[1,1,0] neg_lo:[0,0,1] neg_hi:[0,0,1]
	v_pk_fma_f32 v[2:3], v[4:5], v[22:23], v[2:3] op_sel:[0,0,1] op_sel_hi:[1,0,0]
	v_mov_b32_e32 v7, v3
	ds_load_2addr_b64 v[2:5], v126 offset0:17 offset1:18
	v_pk_add_f32 v[160:161], v[160:161], v[26:27] neg_lo:[0,1] neg_hi:[0,1]
	v_pk_add_f32 v[162:163], v[162:163], v[6:7] neg_lo:[0,1] neg_hi:[0,1]
	s_wait_dscnt 0x0
	v_dual_mul_f32 v6, v3, v25 :: v_dual_mul_f32 v26, v3, v22
	s_delay_alu instid0(VALU_DEP_1) | instskip(NEXT) | instid1(VALU_DEP_2)
	v_pk_fma_f32 v[6:7], v[2:3], v[138:139], v[6:7] op_sel_hi:[1,1,0] neg_lo:[0,0,1] neg_hi:[0,0,1]
	v_pk_fma_f32 v[2:3], v[2:3], v[138:139], v[26:27] op_sel:[1,0,0] op_sel_hi:[0,1,0]
	s_delay_alu instid0(VALU_DEP_1) | instskip(SKIP_1) | instid1(VALU_DEP_2)
	v_mov_b32_e32 v7, v3
	v_pk_mul_f32 v[2:3], v[4:5], v[24:25] op_sel:[0,1]
	v_pk_add_f32 v[164:165], v[164:165], v[6:7] neg_lo:[0,1] neg_hi:[0,1]
	s_delay_alu instid0(VALU_DEP_2) | instskip(SKIP_1) | instid1(VALU_DEP_1)
	v_pk_fma_f32 v[6:7], v[4:5], v[22:23], v[2:3] op_sel:[0,0,1] op_sel_hi:[1,1,0] neg_lo:[0,0,1] neg_hi:[0,0,1]
	v_pk_fma_f32 v[2:3], v[4:5], v[22:23], v[2:3] op_sel:[0,0,1] op_sel_hi:[1,0,0]
	v_mov_b32_e32 v7, v3
	ds_load_2addr_b64 v[2:5], v126 offset0:19 offset1:20
	v_pk_add_f32 v[166:167], v[166:167], v[6:7] neg_lo:[0,1] neg_hi:[0,1]
	s_wait_dscnt 0x0
	v_pk_mul_f32 v[6:7], v[2:3], v[24:25] op_sel:[0,1]
	s_delay_alu instid0(VALU_DEP_1) | instskip(SKIP_1) | instid1(VALU_DEP_1)
	v_pk_fma_f32 v[26:27], v[2:3], v[22:23], v[6:7] op_sel:[0,0,1] op_sel_hi:[1,1,0] neg_lo:[0,0,1] neg_hi:[0,0,1]
	v_pk_fma_f32 v[2:3], v[2:3], v[22:23], v[6:7] op_sel:[0,0,1] op_sel_hi:[1,0,0]
	v_mov_b32_e32 v27, v3
	v_pk_mul_f32 v[2:3], v[4:5], v[24:25] op_sel:[0,1]
	s_delay_alu instid0(VALU_DEP_2) | instskip(NEXT) | instid1(VALU_DEP_2)
	v_pk_add_f32 v[168:169], v[168:169], v[26:27] neg_lo:[0,1] neg_hi:[0,1]
	v_pk_fma_f32 v[6:7], v[4:5], v[22:23], v[2:3] op_sel:[0,0,1] op_sel_hi:[1,1,0] neg_lo:[0,0,1] neg_hi:[0,0,1]
	v_pk_fma_f32 v[2:3], v[4:5], v[22:23], v[2:3] op_sel:[0,0,1] op_sel_hi:[1,0,0]
	s_delay_alu instid0(VALU_DEP_1) | instskip(SKIP_4) | instid1(VALU_DEP_1)
	v_mov_b32_e32 v7, v3
	ds_load_2addr_b64 v[2:5], v126 offset0:21 offset1:22
	v_pk_add_f32 v[170:171], v[170:171], v[6:7] neg_lo:[0,1] neg_hi:[0,1]
	s_wait_dscnt 0x0
	v_pk_mul_f32 v[6:7], v[2:3], v[24:25] op_sel:[0,1]
	v_pk_fma_f32 v[26:27], v[2:3], v[22:23], v[6:7] op_sel:[0,0,1] op_sel_hi:[1,1,0] neg_lo:[0,0,1] neg_hi:[0,0,1]
	v_pk_fma_f32 v[2:3], v[2:3], v[22:23], v[6:7] op_sel:[0,0,1] op_sel_hi:[1,0,0]
	v_dual_mul_f32 v6, v5, v25 :: v_dual_mov_b32 v2, v5
	s_delay_alu instid0(VALU_DEP_2) | instskip(NEXT) | instid1(VALU_DEP_2)
	v_dual_mov_b32 v27, v3 :: v_dual_mov_b32 v3, v4
	v_pk_fma_f32 v[6:7], v[4:5], v[138:139], v[6:7] op_sel_hi:[1,1,0] neg_lo:[0,0,1] neg_hi:[0,0,1]
	v_mul_f32_e32 v4, v5, v22
	s_delay_alu instid0(VALU_DEP_3) | instskip(NEXT) | instid1(VALU_DEP_2)
	v_pk_add_f32 v[172:173], v[172:173], v[26:27] neg_lo:[0,1] neg_hi:[0,1]
	v_pk_fma_f32 v[2:3], v[2:3], v[138:139], v[4:5] op_sel_hi:[1,1,0]
	s_delay_alu instid0(VALU_DEP_1) | instskip(SKIP_4) | instid1(VALU_DEP_1)
	v_mov_b32_e32 v7, v3
	ds_load_2addr_b64 v[2:5], v126 offset0:23 offset1:24
	v_pk_add_f32 v[174:175], v[174:175], v[6:7] neg_lo:[0,1] neg_hi:[0,1]
	s_wait_dscnt 0x0
	v_pk_mul_f32 v[6:7], v[2:3], v[24:25] op_sel:[0,1]
	v_pk_fma_f32 v[26:27], v[2:3], v[22:23], v[6:7] op_sel:[0,0,1] op_sel_hi:[1,1,0] neg_lo:[0,0,1] neg_hi:[0,0,1]
	v_pk_fma_f32 v[2:3], v[2:3], v[22:23], v[6:7] op_sel:[0,0,1] op_sel_hi:[1,0,0]
	s_delay_alu instid0(VALU_DEP_1) | instskip(SKIP_1) | instid1(VALU_DEP_1)
	v_mov_b32_e32 v27, v3
	v_pk_mul_f32 v[2:3], v[4:5], v[24:25] op_sel:[0,1]
	v_pk_fma_f32 v[6:7], v[4:5], v[22:23], v[2:3] op_sel:[0,0,1] op_sel_hi:[1,1,0] neg_lo:[0,0,1] neg_hi:[0,0,1]
	v_pk_fma_f32 v[2:3], v[4:5], v[22:23], v[2:3] op_sel:[0,0,1] op_sel_hi:[1,0,0]
	s_delay_alu instid0(VALU_DEP_1)
	v_mov_b32_e32 v7, v3
	ds_load_2addr_b64 v[2:5], v126 offset0:25 offset1:26
	v_pk_add_f32 v[176:177], v[176:177], v[26:27] neg_lo:[0,1] neg_hi:[0,1]
	v_pk_add_f32 v[178:179], v[178:179], v[6:7] neg_lo:[0,1] neg_hi:[0,1]
	s_wait_dscnt 0x0
	v_pk_mul_f32 v[6:7], v[2:3], v[24:25] op_sel:[0,1]
	s_delay_alu instid0(VALU_DEP_1) | instskip(SKIP_1) | instid1(VALU_DEP_1)
	v_pk_fma_f32 v[26:27], v[2:3], v[22:23], v[6:7] op_sel:[0,0,1] op_sel_hi:[1,1,0] neg_lo:[0,0,1] neg_hi:[0,0,1]
	v_pk_fma_f32 v[2:3], v[2:3], v[22:23], v[6:7] op_sel:[0,0,1] op_sel_hi:[1,0,0]
	v_mov_b32_e32 v27, v3
	v_pk_mul_f32 v[2:3], v[4:5], v[24:25] op_sel:[0,1]
	s_delay_alu instid0(VALU_DEP_1) | instskip(SKIP_1) | instid1(VALU_DEP_1)
	v_pk_fma_f32 v[6:7], v[4:5], v[22:23], v[2:3] op_sel:[0,0,1] op_sel_hi:[1,1,0] neg_lo:[0,0,1] neg_hi:[0,0,1]
	v_pk_fma_f32 v[2:3], v[4:5], v[22:23], v[2:3] op_sel:[0,0,1] op_sel_hi:[1,0,0]
	v_mov_b32_e32 v7, v3
	ds_load_2addr_b64 v[2:5], v126 offset0:27 offset1:28
	v_pk_add_f32 v[180:181], v[180:181], v[26:27] neg_lo:[0,1] neg_hi:[0,1]
	v_pk_add_f32 v[182:183], v[182:183], v[6:7] neg_lo:[0,1] neg_hi:[0,1]
	s_wait_dscnt 0x0
	v_dual_mul_f32 v6, v3, v25 :: v_dual_mul_f32 v26, v3, v22
	s_delay_alu instid0(VALU_DEP_1) | instskip(NEXT) | instid1(VALU_DEP_2)
	v_pk_fma_f32 v[6:7], v[2:3], v[138:139], v[6:7] op_sel_hi:[1,1,0] neg_lo:[0,0,1] neg_hi:[0,0,1]
	v_pk_fma_f32 v[2:3], v[2:3], v[138:139], v[26:27] op_sel:[1,0,0] op_sel_hi:[0,1,0]
	s_delay_alu instid0(VALU_DEP_1) | instskip(SKIP_1) | instid1(VALU_DEP_2)
	v_mov_b32_e32 v7, v3
	v_pk_mul_f32 v[2:3], v[4:5], v[24:25] op_sel:[0,1]
	v_pk_add_f32 v[184:185], v[184:185], v[6:7] neg_lo:[0,1] neg_hi:[0,1]
	s_delay_alu instid0(VALU_DEP_2) | instskip(SKIP_1) | instid1(VALU_DEP_1)
	v_pk_fma_f32 v[6:7], v[4:5], v[22:23], v[2:3] op_sel:[0,0,1] op_sel_hi:[1,1,0] neg_lo:[0,0,1] neg_hi:[0,0,1]
	v_pk_fma_f32 v[2:3], v[4:5], v[22:23], v[2:3] op_sel:[0,0,1] op_sel_hi:[1,0,0]
	v_mov_b32_e32 v7, v3
	ds_load_2addr_b64 v[2:5], v126 offset0:29 offset1:30
	v_pk_add_f32 v[186:187], v[186:187], v[6:7] neg_lo:[0,1] neg_hi:[0,1]
	s_wait_dscnt 0x0
	v_pk_mul_f32 v[6:7], v[2:3], v[24:25] op_sel:[0,1]
	s_delay_alu instid0(VALU_DEP_1) | instskip(SKIP_1) | instid1(VALU_DEP_1)
	v_pk_fma_f32 v[26:27], v[2:3], v[22:23], v[6:7] op_sel:[0,0,1] op_sel_hi:[1,1,0] neg_lo:[0,0,1] neg_hi:[0,0,1]
	v_pk_fma_f32 v[2:3], v[2:3], v[22:23], v[6:7] op_sel:[0,0,1] op_sel_hi:[1,0,0]
	v_mov_b32_e32 v27, v3
	v_pk_mul_f32 v[2:3], v[4:5], v[24:25] op_sel:[0,1]
	s_delay_alu instid0(VALU_DEP_2) | instskip(NEXT) | instid1(VALU_DEP_2)
	v_pk_add_f32 v[188:189], v[188:189], v[26:27] neg_lo:[0,1] neg_hi:[0,1]
	v_pk_fma_f32 v[6:7], v[4:5], v[22:23], v[2:3] op_sel:[0,0,1] op_sel_hi:[1,1,0] neg_lo:[0,0,1] neg_hi:[0,0,1]
	v_pk_fma_f32 v[2:3], v[4:5], v[22:23], v[2:3] op_sel:[0,0,1] op_sel_hi:[1,0,0]
	s_delay_alu instid0(VALU_DEP_1) | instskip(SKIP_4) | instid1(VALU_DEP_1)
	v_mov_b32_e32 v7, v3
	ds_load_2addr_b64 v[2:5], v126 offset0:31 offset1:32
	v_pk_add_f32 v[190:191], v[190:191], v[6:7] neg_lo:[0,1] neg_hi:[0,1]
	s_wait_dscnt 0x0
	v_pk_mul_f32 v[6:7], v[2:3], v[24:25] op_sel:[0,1]
	v_pk_fma_f32 v[26:27], v[2:3], v[22:23], v[6:7] op_sel:[0,0,1] op_sel_hi:[1,1,0] neg_lo:[0,0,1] neg_hi:[0,0,1]
	v_pk_fma_f32 v[2:3], v[2:3], v[22:23], v[6:7] op_sel:[0,0,1] op_sel_hi:[1,0,0]
	v_dual_mul_f32 v6, v5, v25 :: v_dual_mov_b32 v2, v5
	s_delay_alu instid0(VALU_DEP_2) | instskip(NEXT) | instid1(VALU_DEP_2)
	v_dual_mov_b32 v27, v3 :: v_dual_mov_b32 v3, v4
	v_pk_fma_f32 v[6:7], v[4:5], v[138:139], v[6:7] op_sel_hi:[1,1,0] neg_lo:[0,0,1] neg_hi:[0,0,1]
	v_mul_f32_e32 v4, v5, v22
	s_delay_alu instid0(VALU_DEP_3) | instskip(NEXT) | instid1(VALU_DEP_2)
	v_pk_add_f32 v[192:193], v[192:193], v[26:27] neg_lo:[0,1] neg_hi:[0,1]
	v_pk_fma_f32 v[2:3], v[2:3], v[138:139], v[4:5] op_sel_hi:[1,1,0]
	s_delay_alu instid0(VALU_DEP_1) | instskip(SKIP_4) | instid1(VALU_DEP_1)
	v_mov_b32_e32 v7, v3
	ds_load_2addr_b64 v[2:5], v126 offset0:33 offset1:34
	v_pk_add_f32 v[194:195], v[194:195], v[6:7] neg_lo:[0,1] neg_hi:[0,1]
	s_wait_dscnt 0x0
	v_pk_mul_f32 v[6:7], v[2:3], v[24:25] op_sel:[0,1]
	v_pk_fma_f32 v[26:27], v[2:3], v[22:23], v[6:7] op_sel:[0,0,1] op_sel_hi:[1,1,0] neg_lo:[0,0,1] neg_hi:[0,0,1]
	v_pk_fma_f32 v[2:3], v[2:3], v[22:23], v[6:7] op_sel:[0,0,1] op_sel_hi:[1,0,0]
	s_delay_alu instid0(VALU_DEP_1) | instskip(SKIP_1) | instid1(VALU_DEP_1)
	v_mov_b32_e32 v27, v3
	v_pk_mul_f32 v[2:3], v[4:5], v[24:25] op_sel:[0,1]
	v_pk_fma_f32 v[6:7], v[4:5], v[22:23], v[2:3] op_sel:[0,0,1] op_sel_hi:[1,1,0] neg_lo:[0,0,1] neg_hi:[0,0,1]
	v_pk_fma_f32 v[2:3], v[4:5], v[22:23], v[2:3] op_sel:[0,0,1] op_sel_hi:[1,0,0]
	s_delay_alu instid0(VALU_DEP_1)
	v_mov_b32_e32 v7, v3
	ds_load_2addr_b64 v[2:5], v126 offset0:35 offset1:36
	v_pk_add_f32 v[196:197], v[196:197], v[26:27] neg_lo:[0,1] neg_hi:[0,1]
	v_pk_add_f32 v[198:199], v[198:199], v[6:7] neg_lo:[0,1] neg_hi:[0,1]
	s_wait_dscnt 0x0
	v_pk_mul_f32 v[6:7], v[2:3], v[24:25] op_sel:[0,1]
	s_delay_alu instid0(VALU_DEP_1) | instskip(SKIP_1) | instid1(VALU_DEP_1)
	v_pk_fma_f32 v[26:27], v[2:3], v[22:23], v[6:7] op_sel:[0,0,1] op_sel_hi:[1,1,0] neg_lo:[0,0,1] neg_hi:[0,0,1]
	v_pk_fma_f32 v[2:3], v[2:3], v[22:23], v[6:7] op_sel:[0,0,1] op_sel_hi:[1,0,0]
	v_mov_b32_e32 v27, v3
	v_pk_mul_f32 v[2:3], v[4:5], v[24:25] op_sel:[0,1]
	s_delay_alu instid0(VALU_DEP_1) | instskip(SKIP_1) | instid1(VALU_DEP_1)
	v_pk_fma_f32 v[6:7], v[4:5], v[22:23], v[2:3] op_sel:[0,0,1] op_sel_hi:[1,1,0] neg_lo:[0,0,1] neg_hi:[0,0,1]
	v_pk_fma_f32 v[2:3], v[4:5], v[22:23], v[2:3] op_sel:[0,0,1] op_sel_hi:[1,0,0]
	v_mov_b32_e32 v7, v3
	ds_load_2addr_b64 v[2:5], v126 offset0:37 offset1:38
	v_pk_add_f32 v[200:201], v[200:201], v[26:27] neg_lo:[0,1] neg_hi:[0,1]
	v_pk_add_f32 v[202:203], v[202:203], v[6:7] neg_lo:[0,1] neg_hi:[0,1]
	s_wait_dscnt 0x0
	v_dual_mul_f32 v6, v3, v25 :: v_dual_mul_f32 v26, v3, v22
	s_delay_alu instid0(VALU_DEP_1) | instskip(NEXT) | instid1(VALU_DEP_2)
	v_pk_fma_f32 v[6:7], v[2:3], v[138:139], v[6:7] op_sel_hi:[1,1,0] neg_lo:[0,0,1] neg_hi:[0,0,1]
	v_pk_fma_f32 v[2:3], v[2:3], v[138:139], v[26:27] op_sel:[1,0,0] op_sel_hi:[0,1,0]
	s_delay_alu instid0(VALU_DEP_1) | instskip(SKIP_1) | instid1(VALU_DEP_2)
	v_mov_b32_e32 v7, v3
	v_pk_mul_f32 v[2:3], v[4:5], v[24:25] op_sel:[0,1]
	v_pk_add_f32 v[204:205], v[204:205], v[6:7] neg_lo:[0,1] neg_hi:[0,1]
	s_delay_alu instid0(VALU_DEP_2) | instskip(SKIP_1) | instid1(VALU_DEP_1)
	v_pk_fma_f32 v[6:7], v[4:5], v[22:23], v[2:3] op_sel:[0,0,1] op_sel_hi:[1,1,0] neg_lo:[0,0,1] neg_hi:[0,0,1]
	v_pk_fma_f32 v[2:3], v[4:5], v[22:23], v[2:3] op_sel:[0,0,1] op_sel_hi:[1,0,0]
	v_mov_b32_e32 v7, v3
	ds_load_2addr_b64 v[2:5], v126 offset0:39 offset1:40
	v_pk_add_f32 v[206:207], v[206:207], v[6:7] neg_lo:[0,1] neg_hi:[0,1]
	s_wait_dscnt 0x0
	v_pk_mul_f32 v[6:7], v[2:3], v[24:25] op_sel:[0,1]
	s_delay_alu instid0(VALU_DEP_1) | instskip(SKIP_1) | instid1(VALU_DEP_1)
	v_pk_fma_f32 v[26:27], v[2:3], v[22:23], v[6:7] op_sel:[0,0,1] op_sel_hi:[1,1,0] neg_lo:[0,0,1] neg_hi:[0,0,1]
	v_pk_fma_f32 v[2:3], v[2:3], v[22:23], v[6:7] op_sel:[0,0,1] op_sel_hi:[1,0,0]
	v_mov_b32_e32 v27, v3
	v_pk_mul_f32 v[2:3], v[4:5], v[24:25] op_sel:[0,1]
	s_delay_alu instid0(VALU_DEP_2) | instskip(NEXT) | instid1(VALU_DEP_2)
	v_pk_add_f32 v[208:209], v[208:209], v[26:27] neg_lo:[0,1] neg_hi:[0,1]
	v_pk_fma_f32 v[6:7], v[4:5], v[22:23], v[2:3] op_sel:[0,0,1] op_sel_hi:[1,1,0] neg_lo:[0,0,1] neg_hi:[0,0,1]
	v_pk_fma_f32 v[2:3], v[4:5], v[22:23], v[2:3] op_sel:[0,0,1] op_sel_hi:[1,0,0]
	s_delay_alu instid0(VALU_DEP_1) | instskip(SKIP_4) | instid1(VALU_DEP_1)
	v_mov_b32_e32 v7, v3
	ds_load_2addr_b64 v[2:5], v126 offset0:41 offset1:42
	v_pk_add_f32 v[210:211], v[210:211], v[6:7] neg_lo:[0,1] neg_hi:[0,1]
	s_wait_dscnt 0x0
	v_pk_mul_f32 v[6:7], v[2:3], v[24:25] op_sel:[0,1]
	v_pk_fma_f32 v[26:27], v[2:3], v[22:23], v[6:7] op_sel:[0,0,1] op_sel_hi:[1,1,0] neg_lo:[0,0,1] neg_hi:[0,0,1]
	v_pk_fma_f32 v[2:3], v[2:3], v[22:23], v[6:7] op_sel:[0,0,1] op_sel_hi:[1,0,0]
	v_dual_mul_f32 v6, v5, v25 :: v_dual_mov_b32 v2, v5
	s_delay_alu instid0(VALU_DEP_2) | instskip(NEXT) | instid1(VALU_DEP_2)
	v_dual_mov_b32 v27, v3 :: v_dual_mov_b32 v3, v4
	v_pk_fma_f32 v[6:7], v[4:5], v[138:139], v[6:7] op_sel_hi:[1,1,0] neg_lo:[0,0,1] neg_hi:[0,0,1]
	v_mul_f32_e32 v4, v5, v22
	s_delay_alu instid0(VALU_DEP_3) | instskip(NEXT) | instid1(VALU_DEP_2)
	v_pk_add_f32 v[212:213], v[212:213], v[26:27] neg_lo:[0,1] neg_hi:[0,1]
	v_pk_fma_f32 v[2:3], v[2:3], v[138:139], v[4:5] op_sel_hi:[1,1,0]
	s_delay_alu instid0(VALU_DEP_1) | instskip(SKIP_4) | instid1(VALU_DEP_1)
	v_mov_b32_e32 v7, v3
	ds_load_2addr_b64 v[2:5], v126 offset0:43 offset1:44
	v_pk_add_f32 v[214:215], v[214:215], v[6:7] neg_lo:[0,1] neg_hi:[0,1]
	s_wait_dscnt 0x0
	v_pk_mul_f32 v[6:7], v[2:3], v[24:25] op_sel:[0,1]
	v_pk_fma_f32 v[26:27], v[2:3], v[22:23], v[6:7] op_sel:[0,0,1] op_sel_hi:[1,1,0] neg_lo:[0,0,1] neg_hi:[0,0,1]
	v_pk_fma_f32 v[2:3], v[2:3], v[22:23], v[6:7] op_sel:[0,0,1] op_sel_hi:[1,0,0]
	s_delay_alu instid0(VALU_DEP_1) | instskip(SKIP_1) | instid1(VALU_DEP_1)
	v_mov_b32_e32 v27, v3
	v_pk_mul_f32 v[2:3], v[4:5], v[24:25] op_sel:[0,1]
	v_pk_fma_f32 v[6:7], v[4:5], v[22:23], v[2:3] op_sel:[0,0,1] op_sel_hi:[1,1,0] neg_lo:[0,0,1] neg_hi:[0,0,1]
	v_pk_fma_f32 v[2:3], v[4:5], v[22:23], v[2:3] op_sel:[0,0,1] op_sel_hi:[1,0,0]
	s_delay_alu instid0(VALU_DEP_1)
	v_mov_b32_e32 v7, v3
	ds_load_2addr_b64 v[2:5], v126 offset0:45 offset1:46
	v_pk_add_f32 v[216:217], v[216:217], v[26:27] neg_lo:[0,1] neg_hi:[0,1]
	v_pk_add_f32 v[218:219], v[218:219], v[6:7] neg_lo:[0,1] neg_hi:[0,1]
	s_wait_dscnt 0x0
	v_pk_mul_f32 v[6:7], v[2:3], v[24:25] op_sel:[0,1]
	s_delay_alu instid0(VALU_DEP_1) | instskip(SKIP_1) | instid1(VALU_DEP_1)
	v_pk_fma_f32 v[26:27], v[2:3], v[22:23], v[6:7] op_sel:[0,0,1] op_sel_hi:[1,1,0] neg_lo:[0,0,1] neg_hi:[0,0,1]
	v_pk_fma_f32 v[2:3], v[2:3], v[22:23], v[6:7] op_sel:[0,0,1] op_sel_hi:[1,0,0]
	v_mov_b32_e32 v27, v3
	v_pk_mul_f32 v[2:3], v[4:5], v[24:25] op_sel:[0,1]
	s_delay_alu instid0(VALU_DEP_1) | instskip(SKIP_1) | instid1(VALU_DEP_1)
	v_pk_fma_f32 v[6:7], v[4:5], v[22:23], v[2:3] op_sel:[0,0,1] op_sel_hi:[1,1,0] neg_lo:[0,0,1] neg_hi:[0,0,1]
	v_pk_fma_f32 v[2:3], v[4:5], v[22:23], v[2:3] op_sel:[0,0,1] op_sel_hi:[1,0,0]
	v_mov_b32_e32 v7, v3
	ds_load_2addr_b64 v[2:5], v126 offset0:47 offset1:48
	v_pk_add_f32 v[220:221], v[220:221], v[26:27] neg_lo:[0,1] neg_hi:[0,1]
	v_pk_add_f32 v[222:223], v[222:223], v[6:7] neg_lo:[0,1] neg_hi:[0,1]
	s_wait_dscnt 0x0
	v_dual_mul_f32 v6, v3, v25 :: v_dual_mul_f32 v26, v3, v22
	s_delay_alu instid0(VALU_DEP_1) | instskip(NEXT) | instid1(VALU_DEP_2)
	v_pk_fma_f32 v[6:7], v[2:3], v[138:139], v[6:7] op_sel_hi:[1,1,0] neg_lo:[0,0,1] neg_hi:[0,0,1]
	v_pk_fma_f32 v[2:3], v[2:3], v[138:139], v[26:27] op_sel:[1,0,0] op_sel_hi:[0,1,0]
	s_delay_alu instid0(VALU_DEP_1) | instskip(SKIP_1) | instid1(VALU_DEP_2)
	v_mov_b32_e32 v7, v3
	v_pk_mul_f32 v[2:3], v[4:5], v[24:25] op_sel:[0,1]
	v_pk_add_f32 v[224:225], v[224:225], v[6:7] neg_lo:[0,1] neg_hi:[0,1]
	s_delay_alu instid0(VALU_DEP_2) | instskip(SKIP_1) | instid1(VALU_DEP_1)
	v_pk_fma_f32 v[6:7], v[4:5], v[22:23], v[2:3] op_sel:[0,0,1] op_sel_hi:[1,1,0] neg_lo:[0,0,1] neg_hi:[0,0,1]
	v_pk_fma_f32 v[2:3], v[4:5], v[22:23], v[2:3] op_sel:[0,0,1] op_sel_hi:[1,0,0]
	v_mov_b32_e32 v7, v3
	ds_load_2addr_b64 v[2:5], v126 offset0:49 offset1:50
	v_pk_add_f32 v[226:227], v[226:227], v[6:7] neg_lo:[0,1] neg_hi:[0,1]
	s_wait_dscnt 0x0
	v_pk_mul_f32 v[6:7], v[2:3], v[24:25] op_sel:[0,1]
	s_delay_alu instid0(VALU_DEP_1) | instskip(SKIP_1) | instid1(VALU_DEP_1)
	v_pk_fma_f32 v[26:27], v[2:3], v[22:23], v[6:7] op_sel:[0,0,1] op_sel_hi:[1,1,0] neg_lo:[0,0,1] neg_hi:[0,0,1]
	v_pk_fma_f32 v[2:3], v[2:3], v[22:23], v[6:7] op_sel:[0,0,1] op_sel_hi:[1,0,0]
	v_mov_b32_e32 v27, v3
	v_pk_mul_f32 v[2:3], v[4:5], v[24:25] op_sel:[0,1]
	s_delay_alu instid0(VALU_DEP_2) | instskip(NEXT) | instid1(VALU_DEP_2)
	v_pk_add_f32 v[228:229], v[228:229], v[26:27] neg_lo:[0,1] neg_hi:[0,1]
	v_pk_fma_f32 v[6:7], v[4:5], v[22:23], v[2:3] op_sel:[0,0,1] op_sel_hi:[1,1,0] neg_lo:[0,0,1] neg_hi:[0,0,1]
	v_pk_fma_f32 v[2:3], v[4:5], v[22:23], v[2:3] op_sel:[0,0,1] op_sel_hi:[1,0,0]
	s_delay_alu instid0(VALU_DEP_1) | instskip(SKIP_4) | instid1(VALU_DEP_1)
	v_mov_b32_e32 v7, v3
	ds_load_2addr_b64 v[2:5], v126 offset0:51 offset1:52
	v_pk_add_f32 v[230:231], v[230:231], v[6:7] neg_lo:[0,1] neg_hi:[0,1]
	s_wait_dscnt 0x0
	v_pk_mul_f32 v[6:7], v[2:3], v[24:25] op_sel:[0,1]
	v_pk_fma_f32 v[26:27], v[2:3], v[22:23], v[6:7] op_sel:[0,0,1] op_sel_hi:[1,1,0] neg_lo:[0,0,1] neg_hi:[0,0,1]
	v_pk_fma_f32 v[2:3], v[2:3], v[22:23], v[6:7] op_sel:[0,0,1] op_sel_hi:[1,0,0]
	v_dual_mul_f32 v6, v5, v25 :: v_dual_mov_b32 v2, v5
	s_delay_alu instid0(VALU_DEP_2) | instskip(NEXT) | instid1(VALU_DEP_2)
	v_dual_mov_b32 v27, v3 :: v_dual_mov_b32 v3, v4
	v_pk_fma_f32 v[6:7], v[4:5], v[138:139], v[6:7] op_sel_hi:[1,1,0] neg_lo:[0,0,1] neg_hi:[0,0,1]
	v_mul_f32_e32 v4, v5, v22
	s_delay_alu instid0(VALU_DEP_3) | instskip(NEXT) | instid1(VALU_DEP_2)
	v_pk_add_f32 v[232:233], v[232:233], v[26:27] neg_lo:[0,1] neg_hi:[0,1]
	v_pk_fma_f32 v[2:3], v[2:3], v[138:139], v[4:5] op_sel_hi:[1,1,0]
	s_delay_alu instid0(VALU_DEP_1) | instskip(SKIP_4) | instid1(VALU_DEP_1)
	v_mov_b32_e32 v7, v3
	ds_load_2addr_b64 v[2:5], v126 offset0:53 offset1:54
	v_pk_add_f32 v[234:235], v[234:235], v[6:7] neg_lo:[0,1] neg_hi:[0,1]
	s_wait_dscnt 0x0
	v_pk_mul_f32 v[6:7], v[2:3], v[24:25] op_sel:[0,1]
	v_pk_fma_f32 v[26:27], v[2:3], v[22:23], v[6:7] op_sel:[0,0,1] op_sel_hi:[1,1,0] neg_lo:[0,0,1] neg_hi:[0,0,1]
	v_pk_fma_f32 v[2:3], v[2:3], v[22:23], v[6:7] op_sel:[0,0,1] op_sel_hi:[1,0,0]
	s_delay_alu instid0(VALU_DEP_1) | instskip(SKIP_1) | instid1(VALU_DEP_1)
	v_mov_b32_e32 v27, v3
	v_pk_mul_f32 v[2:3], v[4:5], v[24:25] op_sel:[0,1]
	v_pk_fma_f32 v[6:7], v[4:5], v[22:23], v[2:3] op_sel:[0,0,1] op_sel_hi:[1,1,0] neg_lo:[0,0,1] neg_hi:[0,0,1]
	v_pk_fma_f32 v[2:3], v[4:5], v[22:23], v[2:3] op_sel:[0,0,1] op_sel_hi:[1,0,0]
	s_delay_alu instid0(VALU_DEP_1)
	v_mov_b32_e32 v7, v3
	ds_load_2addr_b64 v[2:5], v126 offset0:55 offset1:56
	v_pk_add_f32 v[236:237], v[236:237], v[26:27] neg_lo:[0,1] neg_hi:[0,1]
	v_pk_add_f32 v[238:239], v[238:239], v[6:7] neg_lo:[0,1] neg_hi:[0,1]
	s_wait_dscnt 0x0
	v_pk_mul_f32 v[6:7], v[2:3], v[24:25] op_sel:[0,1]
	s_delay_alu instid0(VALU_DEP_1) | instskip(SKIP_1) | instid1(VALU_DEP_1)
	v_pk_fma_f32 v[26:27], v[2:3], v[22:23], v[6:7] op_sel:[0,0,1] op_sel_hi:[1,1,0] neg_lo:[0,0,1] neg_hi:[0,0,1]
	v_pk_fma_f32 v[2:3], v[2:3], v[22:23], v[6:7] op_sel:[0,0,1] op_sel_hi:[1,0,0]
	v_mov_b32_e32 v27, v3
	v_pk_mul_f32 v[2:3], v[4:5], v[24:25] op_sel:[0,1]
	s_delay_alu instid0(VALU_DEP_1) | instskip(SKIP_1) | instid1(VALU_DEP_1)
	v_pk_fma_f32 v[6:7], v[4:5], v[22:23], v[2:3] op_sel:[0,0,1] op_sel_hi:[1,1,0] neg_lo:[0,0,1] neg_hi:[0,0,1]
	v_pk_fma_f32 v[2:3], v[4:5], v[22:23], v[2:3] op_sel:[0,0,1] op_sel_hi:[1,0,0]
	v_mov_b32_e32 v7, v3
	ds_load_2addr_b64 v[2:5], v126 offset0:57 offset1:58
	v_pk_add_f32 v[240:241], v[240:241], v[26:27] neg_lo:[0,1] neg_hi:[0,1]
	v_pk_add_f32 v[252:253], v[252:253], v[6:7] neg_lo:[0,1] neg_hi:[0,1]
	s_wait_dscnt 0x0
	v_dual_mul_f32 v6, v3, v25 :: v_dual_mul_f32 v26, v3, v22
	s_delay_alu instid0(VALU_DEP_1) | instskip(NEXT) | instid1(VALU_DEP_2)
	v_pk_fma_f32 v[6:7], v[2:3], v[138:139], v[6:7] op_sel_hi:[1,1,0] neg_lo:[0,0,1] neg_hi:[0,0,1]
	v_pk_fma_f32 v[2:3], v[2:3], v[138:139], v[26:27] op_sel:[1,0,0] op_sel_hi:[0,1,0]
	s_delay_alu instid0(VALU_DEP_1) | instskip(SKIP_1) | instid1(VALU_DEP_2)
	v_mov_b32_e32 v7, v3
	v_pk_mul_f32 v[2:3], v[4:5], v[24:25] op_sel:[0,1]
	v_pk_add_f32 v[246:247], v[246:247], v[6:7] neg_lo:[0,1] neg_hi:[0,1]
	s_delay_alu instid0(VALU_DEP_2) | instskip(SKIP_1) | instid1(VALU_DEP_1)
	v_pk_fma_f32 v[6:7], v[4:5], v[22:23], v[2:3] op_sel:[0,0,1] op_sel_hi:[1,1,0] neg_lo:[0,0,1] neg_hi:[0,0,1]
	v_pk_fma_f32 v[2:3], v[4:5], v[22:23], v[2:3] op_sel:[0,0,1] op_sel_hi:[1,0,0]
	v_mov_b32_e32 v7, v3
	ds_load_2addr_b64 v[2:5], v126 offset0:59 offset1:60
	v_pk_add_f32 v[250:251], v[250:251], v[6:7] neg_lo:[0,1] neg_hi:[0,1]
	s_wait_dscnt 0x0
	v_pk_mul_f32 v[6:7], v[2:3], v[24:25] op_sel:[0,1]
	s_delay_alu instid0(VALU_DEP_1) | instskip(SKIP_1) | instid1(VALU_DEP_1)
	v_pk_fma_f32 v[26:27], v[2:3], v[22:23], v[6:7] op_sel:[0,0,1] op_sel_hi:[1,1,0] neg_lo:[0,0,1] neg_hi:[0,0,1]
	v_pk_fma_f32 v[2:3], v[2:3], v[22:23], v[6:7] op_sel:[0,0,1] op_sel_hi:[1,0,0]
	v_mov_b32_e32 v27, v3
	v_pk_mul_f32 v[2:3], v[4:5], v[24:25] op_sel:[0,1]
	s_delay_alu instid0(VALU_DEP_2) | instskip(NEXT) | instid1(VALU_DEP_2)
	v_pk_add_f32 v[244:245], v[244:245], v[26:27] neg_lo:[0,1] neg_hi:[0,1]
	v_pk_fma_f32 v[6:7], v[4:5], v[22:23], v[2:3] op_sel:[0,0,1] op_sel_hi:[1,1,0] neg_lo:[0,0,1] neg_hi:[0,0,1]
	v_pk_fma_f32 v[2:3], v[4:5], v[22:23], v[2:3] op_sel:[0,0,1] op_sel_hi:[1,0,0]
	s_delay_alu instid0(VALU_DEP_1) | instskip(SKIP_4) | instid1(VALU_DEP_1)
	v_mov_b32_e32 v7, v3
	ds_load_2addr_b64 v[2:5], v126 offset0:61 offset1:62
	v_pk_add_f32 v[248:249], v[248:249], v[6:7] neg_lo:[0,1] neg_hi:[0,1]
	s_wait_dscnt 0x0
	v_pk_mul_f32 v[6:7], v[2:3], v[24:25] op_sel:[0,1]
	v_pk_fma_f32 v[26:27], v[2:3], v[22:23], v[6:7] op_sel:[0,0,1] op_sel_hi:[1,1,0] neg_lo:[0,0,1] neg_hi:[0,0,1]
	v_pk_fma_f32 v[2:3], v[2:3], v[22:23], v[6:7] op_sel:[0,0,1] op_sel_hi:[1,0,0]
	v_dual_mul_f32 v6, v5, v25 :: v_dual_mov_b32 v2, v5
	s_delay_alu instid0(VALU_DEP_2) | instskip(NEXT) | instid1(VALU_DEP_2)
	v_dual_mov_b32 v27, v3 :: v_dual_mov_b32 v3, v4
	v_pk_fma_f32 v[6:7], v[4:5], v[138:139], v[6:7] op_sel_hi:[1,1,0] neg_lo:[0,0,1] neg_hi:[0,0,1]
	v_mul_f32_e32 v4, v5, v22
	s_delay_alu instid0(VALU_DEP_3) | instskip(NEXT) | instid1(VALU_DEP_2)
	v_pk_add_f32 v[242:243], v[242:243], v[26:27] neg_lo:[0,1] neg_hi:[0,1]
	v_pk_fma_f32 v[2:3], v[2:3], v[138:139], v[4:5] op_sel_hi:[1,1,0]
	s_delay_alu instid0(VALU_DEP_1) | instskip(SKIP_4) | instid1(VALU_DEP_1)
	v_mov_b32_e32 v7, v3
	ds_load_b64 v[2:3], v126 offset:504
	v_pk_add_f32 v[254:255], v[254:255], v[6:7] neg_lo:[0,1] neg_hi:[0,1]
	s_wait_dscnt 0x0
	v_pk_mul_f32 v[4:5], v[2:3], v[24:25] op_sel:[0,1]
	v_pk_fma_f32 v[6:7], v[2:3], v[22:23], v[4:5] op_sel:[0,0,1] op_sel_hi:[1,1,0] neg_lo:[0,0,1] neg_hi:[0,0,1]
	v_pk_fma_f32 v[2:3], v[2:3], v[22:23], v[4:5] op_sel:[0,0,1] op_sel_hi:[1,0,0]
	s_delay_alu instid0(VALU_DEP_1) | instskip(NEXT) | instid1(VALU_DEP_1)
	v_mov_b32_e32 v7, v3
	v_pk_add_f32 v[0:1], v[0:1], v[6:7] neg_lo:[0,1] neg_hi:[0,1]
.LBB127_82:
	s_or_b32 exec_lo, exec_lo, s1
	s_delay_alu instid0(SALU_CYCLE_1)
	s_mov_b32 s2, exec_lo
	s_wait_dscnt 0x0
	s_barrier_signal -1
	s_barrier_wait -1
	v_cmpx_eq_u32_e32 9, v18
	s_cbranch_execz .LBB127_89
; %bb.83:
	v_dual_mov_b32 v2, v146 :: v_dual_mov_b32 v3, v147
	v_dual_mov_b32 v4, v152 :: v_dual_mov_b32 v5, v153
	ds_store_b64 v19, v[140:141]
	ds_store_2addr_b64 v126, v[2:3], v[4:5] offset0:10 offset1:11
	v_dual_mov_b32 v2, v154 :: v_dual_mov_b32 v3, v155
	v_dual_mov_b32 v4, v156 :: v_dual_mov_b32 v5, v157
	ds_store_2addr_b64 v126, v[2:3], v[4:5] offset0:12 offset1:13
	v_dual_mov_b32 v2, v158 :: v_dual_mov_b32 v3, v159
	v_dual_mov_b32 v4, v160 :: v_dual_mov_b32 v5, v161
	;; [unrolled: 3-line block ×25, first 2 shown]
	ds_store_2addr_b64 v126, v[2:3], v[4:5] offset0:60 offset1:61
	v_dual_mov_b32 v2, v254 :: v_dual_mov_b32 v3, v255
	ds_store_2addr_b64 v126, v[2:3], v[0:1] offset0:62 offset1:63
	ds_load_b64 v[2:3], v19
	s_wait_dscnt 0x0
	v_cmp_neq_f32_e32 vcc_lo, 0, v2
	v_cmp_neq_f32_e64 s1, 0, v3
	s_or_b32 s1, vcc_lo, s1
	s_delay_alu instid0(SALU_CYCLE_1)
	s_and_b32 exec_lo, exec_lo, s1
	s_cbranch_execz .LBB127_89
; %bb.84:
	v_cmp_ngt_f32_e64 s1, |v2|, |v3|
                                        ; implicit-def: $vgpr4_vgpr5
	s_and_saveexec_b32 s4, s1
	s_delay_alu instid0(SALU_CYCLE_1)
	s_xor_b32 s1, exec_lo, s4
	s_cbranch_execz .LBB127_86
; %bb.85:
	v_div_scale_f32 v4, null, v3, v3, v2
	v_div_scale_f32 v7, vcc_lo, v2, v3, v2
	s_delay_alu instid0(VALU_DEP_2) | instskip(SKIP_1) | instid1(TRANS32_DEP_1)
	v_rcp_f32_e32 v5, v4
	v_nop
	v_fma_f32 v6, -v4, v5, 1.0
	s_delay_alu instid0(VALU_DEP_1) | instskip(NEXT) | instid1(VALU_DEP_1)
	v_fmac_f32_e32 v5, v6, v5
	v_mul_f32_e32 v6, v7, v5
	s_delay_alu instid0(VALU_DEP_1) | instskip(NEXT) | instid1(VALU_DEP_1)
	v_fma_f32 v8, -v4, v6, v7
	v_fmac_f32_e32 v6, v8, v5
	s_delay_alu instid0(VALU_DEP_1) | instskip(NEXT) | instid1(VALU_DEP_1)
	v_fma_f32 v4, -v4, v6, v7
	v_div_fmas_f32 v4, v4, v5, v6
	s_delay_alu instid0(VALU_DEP_1) | instskip(NEXT) | instid1(VALU_DEP_1)
	v_div_fixup_f32 v4, v4, v3, v2
	v_fmac_f32_e32 v3, v2, v4
	s_delay_alu instid0(VALU_DEP_1) | instskip(SKIP_1) | instid1(VALU_DEP_2)
	v_div_scale_f32 v2, null, v3, v3, 1.0
	v_div_scale_f32 v7, vcc_lo, 1.0, v3, 1.0
	v_rcp_f32_e32 v5, v2
	v_nop
	s_delay_alu instid0(TRANS32_DEP_1) | instskip(NEXT) | instid1(VALU_DEP_1)
	v_fma_f32 v6, -v2, v5, 1.0
	v_fmac_f32_e32 v5, v6, v5
	s_delay_alu instid0(VALU_DEP_1) | instskip(NEXT) | instid1(VALU_DEP_1)
	v_mul_f32_e32 v6, v7, v5
	v_fma_f32 v8, -v2, v6, v7
	s_delay_alu instid0(VALU_DEP_1) | instskip(NEXT) | instid1(VALU_DEP_1)
	v_fmac_f32_e32 v6, v8, v5
	v_fma_f32 v2, -v2, v6, v7
	s_delay_alu instid0(VALU_DEP_1) | instskip(NEXT) | instid1(VALU_DEP_1)
	v_div_fmas_f32 v2, v2, v5, v6
	v_div_fixup_f32 v2, v2, v3, 1.0
	s_delay_alu instid0(VALU_DEP_1)
	v_mul_f32_e32 v4, v4, v2
	v_xor_b32_e32 v5, 0x80000000, v2
                                        ; implicit-def: $vgpr2_vgpr3
.LBB127_86:
	s_and_not1_saveexec_b32 s1, s1
	s_cbranch_execz .LBB127_88
; %bb.87:
	v_div_scale_f32 v4, null, v2, v2, v3
	v_div_scale_f32 v7, vcc_lo, v3, v2, v3
	s_delay_alu instid0(VALU_DEP_2) | instskip(SKIP_1) | instid1(TRANS32_DEP_1)
	v_rcp_f32_e32 v5, v4
	v_nop
	v_fma_f32 v6, -v4, v5, 1.0
	s_delay_alu instid0(VALU_DEP_1) | instskip(NEXT) | instid1(VALU_DEP_1)
	v_fmac_f32_e32 v5, v6, v5
	v_mul_f32_e32 v6, v7, v5
	s_delay_alu instid0(VALU_DEP_1) | instskip(NEXT) | instid1(VALU_DEP_1)
	v_fma_f32 v8, -v4, v6, v7
	v_fmac_f32_e32 v6, v8, v5
	s_delay_alu instid0(VALU_DEP_1) | instskip(NEXT) | instid1(VALU_DEP_1)
	v_fma_f32 v4, -v4, v6, v7
	v_div_fmas_f32 v4, v4, v5, v6
	s_delay_alu instid0(VALU_DEP_1) | instskip(NEXT) | instid1(VALU_DEP_1)
	v_div_fixup_f32 v5, v4, v2, v3
	v_fmac_f32_e32 v2, v3, v5
	s_delay_alu instid0(VALU_DEP_1) | instskip(NEXT) | instid1(VALU_DEP_1)
	v_div_scale_f32 v3, null, v2, v2, 1.0
	v_rcp_f32_e32 v4, v3
	v_nop
	s_delay_alu instid0(TRANS32_DEP_1) | instskip(NEXT) | instid1(VALU_DEP_1)
	v_fma_f32 v6, -v3, v4, 1.0
	v_fmac_f32_e32 v4, v6, v4
	v_div_scale_f32 v6, vcc_lo, 1.0, v2, 1.0
	s_delay_alu instid0(VALU_DEP_1) | instskip(NEXT) | instid1(VALU_DEP_1)
	v_mul_f32_e32 v7, v6, v4
	v_fma_f32 v8, -v3, v7, v6
	s_delay_alu instid0(VALU_DEP_1) | instskip(NEXT) | instid1(VALU_DEP_1)
	v_fmac_f32_e32 v7, v8, v4
	v_fma_f32 v3, -v3, v7, v6
	s_delay_alu instid0(VALU_DEP_1) | instskip(NEXT) | instid1(VALU_DEP_1)
	v_div_fmas_f32 v3, v3, v4, v7
	v_div_fixup_f32 v4, v3, v2, 1.0
	s_delay_alu instid0(VALU_DEP_1)
	v_mul_f32_e64 v5, v5, -v4
.LBB127_88:
	s_or_b32 exec_lo, exec_lo, s1
	ds_store_b64 v19, v[4:5]
.LBB127_89:
	s_or_b32 exec_lo, exec_lo, s2
	s_wait_dscnt 0x0
	s_barrier_signal -1
	s_barrier_wait -1
	ds_load_b64 v[22:23], v19
	s_mov_b32 s1, exec_lo
	v_cmpx_lt_u32_e32 9, v18
	s_cbranch_execz .LBB127_91
; %bb.90:
	s_wait_dscnt 0x0
	v_pk_mul_f32 v[2:3], v[22:23], v[140:141] op_sel:[1,1] op_sel_hi:[0,1]
	s_delay_alu instid0(VALU_DEP_1)
	v_pk_fma_f32 v[24:25], v[22:23], v[140:141], v[2:3] op_sel_hi:[1,0,1] neg_lo:[0,0,1] neg_hi:[0,0,1]
	v_pk_fma_f32 v[26:27], v[22:23], v[140:141], v[2:3] op_sel_hi:[1,0,1]
	ds_load_2addr_b64 v[2:5], v126 offset0:10 offset1:11
	v_dual_mov_b32 v140, v24 :: v_dual_mov_b32 v141, v27
	s_wait_dscnt 0x0
	v_pk_mul_f32 v[6:7], v[2:3], v[26:27] op_sel:[0,1]
	s_delay_alu instid0(VALU_DEP_1) | instskip(SKIP_1) | instid1(VALU_DEP_1)
	v_pk_fma_f32 v[28:29], v[2:3], v[24:25], v[6:7] op_sel:[0,0,1] op_sel_hi:[1,1,0] neg_lo:[0,0,1] neg_hi:[0,0,1]
	v_pk_fma_f32 v[2:3], v[2:3], v[24:25], v[6:7] op_sel:[0,0,1] op_sel_hi:[1,0,0]
	v_mov_b32_e32 v29, v3
	v_pk_mul_f32 v[2:3], v[4:5], v[26:27] op_sel:[0,1]
	s_delay_alu instid0(VALU_DEP_1) | instskip(SKIP_1) | instid1(VALU_DEP_1)
	v_pk_fma_f32 v[6:7], v[4:5], v[24:25], v[2:3] op_sel:[0,0,1] op_sel_hi:[1,1,0] neg_lo:[0,0,1] neg_hi:[0,0,1]
	v_pk_fma_f32 v[2:3], v[4:5], v[24:25], v[2:3] op_sel:[0,0,1] op_sel_hi:[1,0,0]
	v_mov_b32_e32 v7, v3
	ds_load_2addr_b64 v[2:5], v126 offset0:12 offset1:13
	v_pk_add_f32 v[146:147], v[146:147], v[28:29] neg_lo:[0,1] neg_hi:[0,1]
	v_pk_add_f32 v[152:153], v[152:153], v[6:7] neg_lo:[0,1] neg_hi:[0,1]
	s_wait_dscnt 0x0
	v_pk_mul_f32 v[6:7], v[2:3], v[26:27] op_sel:[0,1]
	s_delay_alu instid0(VALU_DEP_1) | instskip(SKIP_2) | instid1(VALU_DEP_2)
	v_pk_fma_f32 v[28:29], v[2:3], v[24:25], v[6:7] op_sel:[0,0,1] op_sel_hi:[1,1,0] neg_lo:[0,0,1] neg_hi:[0,0,1]
	v_pk_fma_f32 v[2:3], v[2:3], v[24:25], v[6:7] op_sel:[0,0,1] op_sel_hi:[1,0,0]
	v_dual_mul_f32 v6, v5, v27 :: v_dual_mov_b32 v2, v5
	v_dual_mov_b32 v29, v3 :: v_dual_mov_b32 v3, v4
	s_delay_alu instid0(VALU_DEP_2) | instskip(SKIP_1) | instid1(VALU_DEP_3)
	v_pk_fma_f32 v[6:7], v[4:5], v[140:141], v[6:7] op_sel_hi:[1,1,0] neg_lo:[0,0,1] neg_hi:[0,0,1]
	v_mul_f32_e32 v4, v5, v24
	v_pk_add_f32 v[154:155], v[154:155], v[28:29] neg_lo:[0,1] neg_hi:[0,1]
	s_delay_alu instid0(VALU_DEP_2) | instskip(NEXT) | instid1(VALU_DEP_1)
	v_pk_fma_f32 v[2:3], v[2:3], v[140:141], v[4:5] op_sel_hi:[1,1,0]
	v_mov_b32_e32 v7, v3
	ds_load_2addr_b64 v[2:5], v126 offset0:14 offset1:15
	v_pk_add_f32 v[156:157], v[156:157], v[6:7] neg_lo:[0,1] neg_hi:[0,1]
	s_wait_dscnt 0x0
	v_pk_mul_f32 v[6:7], v[2:3], v[26:27] op_sel:[0,1]
	s_delay_alu instid0(VALU_DEP_1) | instskip(SKIP_1) | instid1(VALU_DEP_1)
	v_pk_fma_f32 v[28:29], v[2:3], v[24:25], v[6:7] op_sel:[0,0,1] op_sel_hi:[1,1,0] neg_lo:[0,0,1] neg_hi:[0,0,1]
	v_pk_fma_f32 v[2:3], v[2:3], v[24:25], v[6:7] op_sel:[0,0,1] op_sel_hi:[1,0,0]
	v_mov_b32_e32 v29, v3
	v_pk_mul_f32 v[2:3], v[4:5], v[26:27] op_sel:[0,1]
	s_delay_alu instid0(VALU_DEP_1) | instskip(SKIP_1) | instid1(VALU_DEP_1)
	v_pk_fma_f32 v[6:7], v[4:5], v[24:25], v[2:3] op_sel:[0,0,1] op_sel_hi:[1,1,0] neg_lo:[0,0,1] neg_hi:[0,0,1]
	v_pk_fma_f32 v[2:3], v[4:5], v[24:25], v[2:3] op_sel:[0,0,1] op_sel_hi:[1,0,0]
	v_mov_b32_e32 v7, v3
	ds_load_2addr_b64 v[2:5], v126 offset0:16 offset1:17
	v_pk_add_f32 v[158:159], v[158:159], v[28:29] neg_lo:[0,1] neg_hi:[0,1]
	v_pk_add_f32 v[160:161], v[160:161], v[6:7] neg_lo:[0,1] neg_hi:[0,1]
	s_wait_dscnt 0x0
	v_pk_mul_f32 v[6:7], v[2:3], v[26:27] op_sel:[0,1]
	s_delay_alu instid0(VALU_DEP_1) | instskip(SKIP_1) | instid1(VALU_DEP_1)
	v_pk_fma_f32 v[28:29], v[2:3], v[24:25], v[6:7] op_sel:[0,0,1] op_sel_hi:[1,1,0] neg_lo:[0,0,1] neg_hi:[0,0,1]
	v_pk_fma_f32 v[2:3], v[2:3], v[24:25], v[6:7] op_sel:[0,0,1] op_sel_hi:[1,0,0]
	v_mov_b32_e32 v29, v3
	v_pk_mul_f32 v[2:3], v[4:5], v[26:27] op_sel:[0,1]
	s_delay_alu instid0(VALU_DEP_1) | instskip(SKIP_1) | instid1(VALU_DEP_1)
	v_pk_fma_f32 v[6:7], v[4:5], v[24:25], v[2:3] op_sel:[0,0,1] op_sel_hi:[1,1,0] neg_lo:[0,0,1] neg_hi:[0,0,1]
	v_pk_fma_f32 v[2:3], v[4:5], v[24:25], v[2:3] op_sel:[0,0,1] op_sel_hi:[1,0,0]
	v_mov_b32_e32 v7, v3
	ds_load_2addr_b64 v[2:5], v126 offset0:18 offset1:19
	v_pk_add_f32 v[162:163], v[162:163], v[28:29] neg_lo:[0,1] neg_hi:[0,1]
	v_pk_add_f32 v[164:165], v[164:165], v[6:7] neg_lo:[0,1] neg_hi:[0,1]
	s_wait_dscnt 0x0
	v_dual_mul_f32 v6, v3, v27 :: v_dual_mul_f32 v28, v3, v24
	s_delay_alu instid0(VALU_DEP_1) | instskip(NEXT) | instid1(VALU_DEP_2)
	v_pk_fma_f32 v[6:7], v[2:3], v[140:141], v[6:7] op_sel_hi:[1,1,0] neg_lo:[0,0,1] neg_hi:[0,0,1]
	v_pk_fma_f32 v[2:3], v[2:3], v[140:141], v[28:29] op_sel:[1,0,0] op_sel_hi:[0,1,0]
	s_delay_alu instid0(VALU_DEP_1) | instskip(SKIP_1) | instid1(VALU_DEP_2)
	v_mov_b32_e32 v7, v3
	v_pk_mul_f32 v[2:3], v[4:5], v[26:27] op_sel:[0,1]
	v_pk_add_f32 v[166:167], v[166:167], v[6:7] neg_lo:[0,1] neg_hi:[0,1]
	s_delay_alu instid0(VALU_DEP_2) | instskip(SKIP_1) | instid1(VALU_DEP_1)
	v_pk_fma_f32 v[6:7], v[4:5], v[24:25], v[2:3] op_sel:[0,0,1] op_sel_hi:[1,1,0] neg_lo:[0,0,1] neg_hi:[0,0,1]
	v_pk_fma_f32 v[2:3], v[4:5], v[24:25], v[2:3] op_sel:[0,0,1] op_sel_hi:[1,0,0]
	v_mov_b32_e32 v7, v3
	ds_load_2addr_b64 v[2:5], v126 offset0:20 offset1:21
	v_pk_add_f32 v[168:169], v[168:169], v[6:7] neg_lo:[0,1] neg_hi:[0,1]
	s_wait_dscnt 0x0
	v_pk_mul_f32 v[6:7], v[2:3], v[26:27] op_sel:[0,1]
	s_delay_alu instid0(VALU_DEP_1) | instskip(SKIP_1) | instid1(VALU_DEP_1)
	v_pk_fma_f32 v[28:29], v[2:3], v[24:25], v[6:7] op_sel:[0,0,1] op_sel_hi:[1,1,0] neg_lo:[0,0,1] neg_hi:[0,0,1]
	v_pk_fma_f32 v[2:3], v[2:3], v[24:25], v[6:7] op_sel:[0,0,1] op_sel_hi:[1,0,0]
	v_mov_b32_e32 v29, v3
	v_pk_mul_f32 v[2:3], v[4:5], v[26:27] op_sel:[0,1]
	s_delay_alu instid0(VALU_DEP_2) | instskip(NEXT) | instid1(VALU_DEP_2)
	v_pk_add_f32 v[170:171], v[170:171], v[28:29] neg_lo:[0,1] neg_hi:[0,1]
	v_pk_fma_f32 v[6:7], v[4:5], v[24:25], v[2:3] op_sel:[0,0,1] op_sel_hi:[1,1,0] neg_lo:[0,0,1] neg_hi:[0,0,1]
	v_pk_fma_f32 v[2:3], v[4:5], v[24:25], v[2:3] op_sel:[0,0,1] op_sel_hi:[1,0,0]
	s_delay_alu instid0(VALU_DEP_1) | instskip(SKIP_4) | instid1(VALU_DEP_1)
	v_mov_b32_e32 v7, v3
	ds_load_2addr_b64 v[2:5], v126 offset0:22 offset1:23
	v_pk_add_f32 v[172:173], v[172:173], v[6:7] neg_lo:[0,1] neg_hi:[0,1]
	s_wait_dscnt 0x0
	v_pk_mul_f32 v[6:7], v[2:3], v[26:27] op_sel:[0,1]
	v_pk_fma_f32 v[28:29], v[2:3], v[24:25], v[6:7] op_sel:[0,0,1] op_sel_hi:[1,1,0] neg_lo:[0,0,1] neg_hi:[0,0,1]
	v_pk_fma_f32 v[2:3], v[2:3], v[24:25], v[6:7] op_sel:[0,0,1] op_sel_hi:[1,0,0]
	v_dual_mul_f32 v6, v5, v27 :: v_dual_mov_b32 v2, v5
	s_delay_alu instid0(VALU_DEP_2) | instskip(NEXT) | instid1(VALU_DEP_2)
	v_dual_mov_b32 v29, v3 :: v_dual_mov_b32 v3, v4
	v_pk_fma_f32 v[6:7], v[4:5], v[140:141], v[6:7] op_sel_hi:[1,1,0] neg_lo:[0,0,1] neg_hi:[0,0,1]
	v_mul_f32_e32 v4, v5, v24
	s_delay_alu instid0(VALU_DEP_3) | instskip(NEXT) | instid1(VALU_DEP_2)
	v_pk_add_f32 v[174:175], v[174:175], v[28:29] neg_lo:[0,1] neg_hi:[0,1]
	v_pk_fma_f32 v[2:3], v[2:3], v[140:141], v[4:5] op_sel_hi:[1,1,0]
	s_delay_alu instid0(VALU_DEP_1) | instskip(SKIP_4) | instid1(VALU_DEP_1)
	v_mov_b32_e32 v7, v3
	ds_load_2addr_b64 v[2:5], v126 offset0:24 offset1:25
	v_pk_add_f32 v[176:177], v[176:177], v[6:7] neg_lo:[0,1] neg_hi:[0,1]
	s_wait_dscnt 0x0
	v_pk_mul_f32 v[6:7], v[2:3], v[26:27] op_sel:[0,1]
	v_pk_fma_f32 v[28:29], v[2:3], v[24:25], v[6:7] op_sel:[0,0,1] op_sel_hi:[1,1,0] neg_lo:[0,0,1] neg_hi:[0,0,1]
	v_pk_fma_f32 v[2:3], v[2:3], v[24:25], v[6:7] op_sel:[0,0,1] op_sel_hi:[1,0,0]
	s_delay_alu instid0(VALU_DEP_1) | instskip(SKIP_1) | instid1(VALU_DEP_1)
	v_mov_b32_e32 v29, v3
	v_pk_mul_f32 v[2:3], v[4:5], v[26:27] op_sel:[0,1]
	v_pk_fma_f32 v[6:7], v[4:5], v[24:25], v[2:3] op_sel:[0,0,1] op_sel_hi:[1,1,0] neg_lo:[0,0,1] neg_hi:[0,0,1]
	v_pk_fma_f32 v[2:3], v[4:5], v[24:25], v[2:3] op_sel:[0,0,1] op_sel_hi:[1,0,0]
	s_delay_alu instid0(VALU_DEP_1)
	v_mov_b32_e32 v7, v3
	ds_load_2addr_b64 v[2:5], v126 offset0:26 offset1:27
	v_pk_add_f32 v[178:179], v[178:179], v[28:29] neg_lo:[0,1] neg_hi:[0,1]
	v_pk_add_f32 v[180:181], v[180:181], v[6:7] neg_lo:[0,1] neg_hi:[0,1]
	s_wait_dscnt 0x0
	v_pk_mul_f32 v[6:7], v[2:3], v[26:27] op_sel:[0,1]
	s_delay_alu instid0(VALU_DEP_1) | instskip(SKIP_1) | instid1(VALU_DEP_1)
	v_pk_fma_f32 v[28:29], v[2:3], v[24:25], v[6:7] op_sel:[0,0,1] op_sel_hi:[1,1,0] neg_lo:[0,0,1] neg_hi:[0,0,1]
	v_pk_fma_f32 v[2:3], v[2:3], v[24:25], v[6:7] op_sel:[0,0,1] op_sel_hi:[1,0,0]
	v_mov_b32_e32 v29, v3
	v_pk_mul_f32 v[2:3], v[4:5], v[26:27] op_sel:[0,1]
	s_delay_alu instid0(VALU_DEP_1) | instskip(SKIP_1) | instid1(VALU_DEP_1)
	v_pk_fma_f32 v[6:7], v[4:5], v[24:25], v[2:3] op_sel:[0,0,1] op_sel_hi:[1,1,0] neg_lo:[0,0,1] neg_hi:[0,0,1]
	v_pk_fma_f32 v[2:3], v[4:5], v[24:25], v[2:3] op_sel:[0,0,1] op_sel_hi:[1,0,0]
	v_mov_b32_e32 v7, v3
	ds_load_2addr_b64 v[2:5], v126 offset0:28 offset1:29
	v_pk_add_f32 v[182:183], v[182:183], v[28:29] neg_lo:[0,1] neg_hi:[0,1]
	v_pk_add_f32 v[184:185], v[184:185], v[6:7] neg_lo:[0,1] neg_hi:[0,1]
	s_wait_dscnt 0x0
	v_dual_mul_f32 v6, v3, v27 :: v_dual_mul_f32 v28, v3, v24
	s_delay_alu instid0(VALU_DEP_1) | instskip(NEXT) | instid1(VALU_DEP_2)
	v_pk_fma_f32 v[6:7], v[2:3], v[140:141], v[6:7] op_sel_hi:[1,1,0] neg_lo:[0,0,1] neg_hi:[0,0,1]
	v_pk_fma_f32 v[2:3], v[2:3], v[140:141], v[28:29] op_sel:[1,0,0] op_sel_hi:[0,1,0]
	s_delay_alu instid0(VALU_DEP_1) | instskip(SKIP_1) | instid1(VALU_DEP_2)
	v_mov_b32_e32 v7, v3
	v_pk_mul_f32 v[2:3], v[4:5], v[26:27] op_sel:[0,1]
	v_pk_add_f32 v[186:187], v[186:187], v[6:7] neg_lo:[0,1] neg_hi:[0,1]
	s_delay_alu instid0(VALU_DEP_2) | instskip(SKIP_1) | instid1(VALU_DEP_1)
	v_pk_fma_f32 v[6:7], v[4:5], v[24:25], v[2:3] op_sel:[0,0,1] op_sel_hi:[1,1,0] neg_lo:[0,0,1] neg_hi:[0,0,1]
	v_pk_fma_f32 v[2:3], v[4:5], v[24:25], v[2:3] op_sel:[0,0,1] op_sel_hi:[1,0,0]
	v_mov_b32_e32 v7, v3
	ds_load_2addr_b64 v[2:5], v126 offset0:30 offset1:31
	v_pk_add_f32 v[188:189], v[188:189], v[6:7] neg_lo:[0,1] neg_hi:[0,1]
	s_wait_dscnt 0x0
	v_pk_mul_f32 v[6:7], v[2:3], v[26:27] op_sel:[0,1]
	s_delay_alu instid0(VALU_DEP_1) | instskip(SKIP_1) | instid1(VALU_DEP_1)
	v_pk_fma_f32 v[28:29], v[2:3], v[24:25], v[6:7] op_sel:[0,0,1] op_sel_hi:[1,1,0] neg_lo:[0,0,1] neg_hi:[0,0,1]
	v_pk_fma_f32 v[2:3], v[2:3], v[24:25], v[6:7] op_sel:[0,0,1] op_sel_hi:[1,0,0]
	v_mov_b32_e32 v29, v3
	v_pk_mul_f32 v[2:3], v[4:5], v[26:27] op_sel:[0,1]
	s_delay_alu instid0(VALU_DEP_2) | instskip(NEXT) | instid1(VALU_DEP_2)
	v_pk_add_f32 v[190:191], v[190:191], v[28:29] neg_lo:[0,1] neg_hi:[0,1]
	v_pk_fma_f32 v[6:7], v[4:5], v[24:25], v[2:3] op_sel:[0,0,1] op_sel_hi:[1,1,0] neg_lo:[0,0,1] neg_hi:[0,0,1]
	v_pk_fma_f32 v[2:3], v[4:5], v[24:25], v[2:3] op_sel:[0,0,1] op_sel_hi:[1,0,0]
	s_delay_alu instid0(VALU_DEP_1) | instskip(SKIP_4) | instid1(VALU_DEP_1)
	v_mov_b32_e32 v7, v3
	ds_load_2addr_b64 v[2:5], v126 offset0:32 offset1:33
	v_pk_add_f32 v[192:193], v[192:193], v[6:7] neg_lo:[0,1] neg_hi:[0,1]
	s_wait_dscnt 0x0
	v_pk_mul_f32 v[6:7], v[2:3], v[26:27] op_sel:[0,1]
	v_pk_fma_f32 v[28:29], v[2:3], v[24:25], v[6:7] op_sel:[0,0,1] op_sel_hi:[1,1,0] neg_lo:[0,0,1] neg_hi:[0,0,1]
	v_pk_fma_f32 v[2:3], v[2:3], v[24:25], v[6:7] op_sel:[0,0,1] op_sel_hi:[1,0,0]
	v_dual_mul_f32 v6, v5, v27 :: v_dual_mov_b32 v2, v5
	s_delay_alu instid0(VALU_DEP_2) | instskip(NEXT) | instid1(VALU_DEP_2)
	v_dual_mov_b32 v29, v3 :: v_dual_mov_b32 v3, v4
	v_pk_fma_f32 v[6:7], v[4:5], v[140:141], v[6:7] op_sel_hi:[1,1,0] neg_lo:[0,0,1] neg_hi:[0,0,1]
	v_mul_f32_e32 v4, v5, v24
	s_delay_alu instid0(VALU_DEP_3) | instskip(NEXT) | instid1(VALU_DEP_2)
	v_pk_add_f32 v[194:195], v[194:195], v[28:29] neg_lo:[0,1] neg_hi:[0,1]
	v_pk_fma_f32 v[2:3], v[2:3], v[140:141], v[4:5] op_sel_hi:[1,1,0]
	s_delay_alu instid0(VALU_DEP_1) | instskip(SKIP_4) | instid1(VALU_DEP_1)
	v_mov_b32_e32 v7, v3
	ds_load_2addr_b64 v[2:5], v126 offset0:34 offset1:35
	v_pk_add_f32 v[196:197], v[196:197], v[6:7] neg_lo:[0,1] neg_hi:[0,1]
	s_wait_dscnt 0x0
	v_pk_mul_f32 v[6:7], v[2:3], v[26:27] op_sel:[0,1]
	v_pk_fma_f32 v[28:29], v[2:3], v[24:25], v[6:7] op_sel:[0,0,1] op_sel_hi:[1,1,0] neg_lo:[0,0,1] neg_hi:[0,0,1]
	v_pk_fma_f32 v[2:3], v[2:3], v[24:25], v[6:7] op_sel:[0,0,1] op_sel_hi:[1,0,0]
	s_delay_alu instid0(VALU_DEP_1) | instskip(SKIP_1) | instid1(VALU_DEP_1)
	v_mov_b32_e32 v29, v3
	v_pk_mul_f32 v[2:3], v[4:5], v[26:27] op_sel:[0,1]
	v_pk_fma_f32 v[6:7], v[4:5], v[24:25], v[2:3] op_sel:[0,0,1] op_sel_hi:[1,1,0] neg_lo:[0,0,1] neg_hi:[0,0,1]
	v_pk_fma_f32 v[2:3], v[4:5], v[24:25], v[2:3] op_sel:[0,0,1] op_sel_hi:[1,0,0]
	s_delay_alu instid0(VALU_DEP_1)
	v_mov_b32_e32 v7, v3
	ds_load_2addr_b64 v[2:5], v126 offset0:36 offset1:37
	v_pk_add_f32 v[198:199], v[198:199], v[28:29] neg_lo:[0,1] neg_hi:[0,1]
	v_pk_add_f32 v[200:201], v[200:201], v[6:7] neg_lo:[0,1] neg_hi:[0,1]
	s_wait_dscnt 0x0
	v_pk_mul_f32 v[6:7], v[2:3], v[26:27] op_sel:[0,1]
	s_delay_alu instid0(VALU_DEP_1) | instskip(SKIP_1) | instid1(VALU_DEP_1)
	v_pk_fma_f32 v[28:29], v[2:3], v[24:25], v[6:7] op_sel:[0,0,1] op_sel_hi:[1,1,0] neg_lo:[0,0,1] neg_hi:[0,0,1]
	v_pk_fma_f32 v[2:3], v[2:3], v[24:25], v[6:7] op_sel:[0,0,1] op_sel_hi:[1,0,0]
	v_mov_b32_e32 v29, v3
	v_pk_mul_f32 v[2:3], v[4:5], v[26:27] op_sel:[0,1]
	s_delay_alu instid0(VALU_DEP_1) | instskip(SKIP_1) | instid1(VALU_DEP_1)
	v_pk_fma_f32 v[6:7], v[4:5], v[24:25], v[2:3] op_sel:[0,0,1] op_sel_hi:[1,1,0] neg_lo:[0,0,1] neg_hi:[0,0,1]
	v_pk_fma_f32 v[2:3], v[4:5], v[24:25], v[2:3] op_sel:[0,0,1] op_sel_hi:[1,0,0]
	v_mov_b32_e32 v7, v3
	ds_load_2addr_b64 v[2:5], v126 offset0:38 offset1:39
	v_pk_add_f32 v[202:203], v[202:203], v[28:29] neg_lo:[0,1] neg_hi:[0,1]
	v_pk_add_f32 v[204:205], v[204:205], v[6:7] neg_lo:[0,1] neg_hi:[0,1]
	s_wait_dscnt 0x0
	v_dual_mul_f32 v6, v3, v27 :: v_dual_mul_f32 v28, v3, v24
	s_delay_alu instid0(VALU_DEP_1) | instskip(NEXT) | instid1(VALU_DEP_2)
	v_pk_fma_f32 v[6:7], v[2:3], v[140:141], v[6:7] op_sel_hi:[1,1,0] neg_lo:[0,0,1] neg_hi:[0,0,1]
	v_pk_fma_f32 v[2:3], v[2:3], v[140:141], v[28:29] op_sel:[1,0,0] op_sel_hi:[0,1,0]
	s_delay_alu instid0(VALU_DEP_1) | instskip(SKIP_1) | instid1(VALU_DEP_2)
	v_mov_b32_e32 v7, v3
	v_pk_mul_f32 v[2:3], v[4:5], v[26:27] op_sel:[0,1]
	v_pk_add_f32 v[206:207], v[206:207], v[6:7] neg_lo:[0,1] neg_hi:[0,1]
	s_delay_alu instid0(VALU_DEP_2) | instskip(SKIP_1) | instid1(VALU_DEP_1)
	v_pk_fma_f32 v[6:7], v[4:5], v[24:25], v[2:3] op_sel:[0,0,1] op_sel_hi:[1,1,0] neg_lo:[0,0,1] neg_hi:[0,0,1]
	v_pk_fma_f32 v[2:3], v[4:5], v[24:25], v[2:3] op_sel:[0,0,1] op_sel_hi:[1,0,0]
	v_mov_b32_e32 v7, v3
	ds_load_2addr_b64 v[2:5], v126 offset0:40 offset1:41
	v_pk_add_f32 v[208:209], v[208:209], v[6:7] neg_lo:[0,1] neg_hi:[0,1]
	s_wait_dscnt 0x0
	v_pk_mul_f32 v[6:7], v[2:3], v[26:27] op_sel:[0,1]
	s_delay_alu instid0(VALU_DEP_1) | instskip(SKIP_1) | instid1(VALU_DEP_1)
	v_pk_fma_f32 v[28:29], v[2:3], v[24:25], v[6:7] op_sel:[0,0,1] op_sel_hi:[1,1,0] neg_lo:[0,0,1] neg_hi:[0,0,1]
	v_pk_fma_f32 v[2:3], v[2:3], v[24:25], v[6:7] op_sel:[0,0,1] op_sel_hi:[1,0,0]
	v_mov_b32_e32 v29, v3
	v_pk_mul_f32 v[2:3], v[4:5], v[26:27] op_sel:[0,1]
	s_delay_alu instid0(VALU_DEP_2) | instskip(NEXT) | instid1(VALU_DEP_2)
	v_pk_add_f32 v[210:211], v[210:211], v[28:29] neg_lo:[0,1] neg_hi:[0,1]
	v_pk_fma_f32 v[6:7], v[4:5], v[24:25], v[2:3] op_sel:[0,0,1] op_sel_hi:[1,1,0] neg_lo:[0,0,1] neg_hi:[0,0,1]
	v_pk_fma_f32 v[2:3], v[4:5], v[24:25], v[2:3] op_sel:[0,0,1] op_sel_hi:[1,0,0]
	s_delay_alu instid0(VALU_DEP_1) | instskip(SKIP_4) | instid1(VALU_DEP_1)
	v_mov_b32_e32 v7, v3
	ds_load_2addr_b64 v[2:5], v126 offset0:42 offset1:43
	v_pk_add_f32 v[212:213], v[212:213], v[6:7] neg_lo:[0,1] neg_hi:[0,1]
	s_wait_dscnt 0x0
	v_pk_mul_f32 v[6:7], v[2:3], v[26:27] op_sel:[0,1]
	v_pk_fma_f32 v[28:29], v[2:3], v[24:25], v[6:7] op_sel:[0,0,1] op_sel_hi:[1,1,0] neg_lo:[0,0,1] neg_hi:[0,0,1]
	v_pk_fma_f32 v[2:3], v[2:3], v[24:25], v[6:7] op_sel:[0,0,1] op_sel_hi:[1,0,0]
	v_dual_mul_f32 v6, v5, v27 :: v_dual_mov_b32 v2, v5
	s_delay_alu instid0(VALU_DEP_2) | instskip(NEXT) | instid1(VALU_DEP_2)
	v_dual_mov_b32 v29, v3 :: v_dual_mov_b32 v3, v4
	v_pk_fma_f32 v[6:7], v[4:5], v[140:141], v[6:7] op_sel_hi:[1,1,0] neg_lo:[0,0,1] neg_hi:[0,0,1]
	v_mul_f32_e32 v4, v5, v24
	s_delay_alu instid0(VALU_DEP_3) | instskip(NEXT) | instid1(VALU_DEP_2)
	v_pk_add_f32 v[214:215], v[214:215], v[28:29] neg_lo:[0,1] neg_hi:[0,1]
	v_pk_fma_f32 v[2:3], v[2:3], v[140:141], v[4:5] op_sel_hi:[1,1,0]
	s_delay_alu instid0(VALU_DEP_1) | instskip(SKIP_4) | instid1(VALU_DEP_1)
	v_mov_b32_e32 v7, v3
	ds_load_2addr_b64 v[2:5], v126 offset0:44 offset1:45
	v_pk_add_f32 v[216:217], v[216:217], v[6:7] neg_lo:[0,1] neg_hi:[0,1]
	s_wait_dscnt 0x0
	v_pk_mul_f32 v[6:7], v[2:3], v[26:27] op_sel:[0,1]
	v_pk_fma_f32 v[28:29], v[2:3], v[24:25], v[6:7] op_sel:[0,0,1] op_sel_hi:[1,1,0] neg_lo:[0,0,1] neg_hi:[0,0,1]
	v_pk_fma_f32 v[2:3], v[2:3], v[24:25], v[6:7] op_sel:[0,0,1] op_sel_hi:[1,0,0]
	s_delay_alu instid0(VALU_DEP_1) | instskip(SKIP_1) | instid1(VALU_DEP_1)
	v_mov_b32_e32 v29, v3
	v_pk_mul_f32 v[2:3], v[4:5], v[26:27] op_sel:[0,1]
	v_pk_fma_f32 v[6:7], v[4:5], v[24:25], v[2:3] op_sel:[0,0,1] op_sel_hi:[1,1,0] neg_lo:[0,0,1] neg_hi:[0,0,1]
	v_pk_fma_f32 v[2:3], v[4:5], v[24:25], v[2:3] op_sel:[0,0,1] op_sel_hi:[1,0,0]
	s_delay_alu instid0(VALU_DEP_1)
	v_mov_b32_e32 v7, v3
	ds_load_2addr_b64 v[2:5], v126 offset0:46 offset1:47
	v_pk_add_f32 v[218:219], v[218:219], v[28:29] neg_lo:[0,1] neg_hi:[0,1]
	v_pk_add_f32 v[220:221], v[220:221], v[6:7] neg_lo:[0,1] neg_hi:[0,1]
	s_wait_dscnt 0x0
	v_pk_mul_f32 v[6:7], v[2:3], v[26:27] op_sel:[0,1]
	s_delay_alu instid0(VALU_DEP_1) | instskip(SKIP_1) | instid1(VALU_DEP_1)
	v_pk_fma_f32 v[28:29], v[2:3], v[24:25], v[6:7] op_sel:[0,0,1] op_sel_hi:[1,1,0] neg_lo:[0,0,1] neg_hi:[0,0,1]
	v_pk_fma_f32 v[2:3], v[2:3], v[24:25], v[6:7] op_sel:[0,0,1] op_sel_hi:[1,0,0]
	v_mov_b32_e32 v29, v3
	v_pk_mul_f32 v[2:3], v[4:5], v[26:27] op_sel:[0,1]
	s_delay_alu instid0(VALU_DEP_1) | instskip(SKIP_1) | instid1(VALU_DEP_1)
	v_pk_fma_f32 v[6:7], v[4:5], v[24:25], v[2:3] op_sel:[0,0,1] op_sel_hi:[1,1,0] neg_lo:[0,0,1] neg_hi:[0,0,1]
	v_pk_fma_f32 v[2:3], v[4:5], v[24:25], v[2:3] op_sel:[0,0,1] op_sel_hi:[1,0,0]
	v_mov_b32_e32 v7, v3
	ds_load_2addr_b64 v[2:5], v126 offset0:48 offset1:49
	v_pk_add_f32 v[222:223], v[222:223], v[28:29] neg_lo:[0,1] neg_hi:[0,1]
	v_pk_add_f32 v[224:225], v[224:225], v[6:7] neg_lo:[0,1] neg_hi:[0,1]
	s_wait_dscnt 0x0
	v_dual_mul_f32 v6, v3, v27 :: v_dual_mul_f32 v28, v3, v24
	s_delay_alu instid0(VALU_DEP_1) | instskip(NEXT) | instid1(VALU_DEP_2)
	v_pk_fma_f32 v[6:7], v[2:3], v[140:141], v[6:7] op_sel_hi:[1,1,0] neg_lo:[0,0,1] neg_hi:[0,0,1]
	v_pk_fma_f32 v[2:3], v[2:3], v[140:141], v[28:29] op_sel:[1,0,0] op_sel_hi:[0,1,0]
	s_delay_alu instid0(VALU_DEP_1) | instskip(SKIP_1) | instid1(VALU_DEP_2)
	v_mov_b32_e32 v7, v3
	v_pk_mul_f32 v[2:3], v[4:5], v[26:27] op_sel:[0,1]
	v_pk_add_f32 v[226:227], v[226:227], v[6:7] neg_lo:[0,1] neg_hi:[0,1]
	s_delay_alu instid0(VALU_DEP_2) | instskip(SKIP_1) | instid1(VALU_DEP_1)
	v_pk_fma_f32 v[6:7], v[4:5], v[24:25], v[2:3] op_sel:[0,0,1] op_sel_hi:[1,1,0] neg_lo:[0,0,1] neg_hi:[0,0,1]
	v_pk_fma_f32 v[2:3], v[4:5], v[24:25], v[2:3] op_sel:[0,0,1] op_sel_hi:[1,0,0]
	v_mov_b32_e32 v7, v3
	ds_load_2addr_b64 v[2:5], v126 offset0:50 offset1:51
	v_pk_add_f32 v[228:229], v[228:229], v[6:7] neg_lo:[0,1] neg_hi:[0,1]
	s_wait_dscnt 0x0
	v_pk_mul_f32 v[6:7], v[2:3], v[26:27] op_sel:[0,1]
	s_delay_alu instid0(VALU_DEP_1) | instskip(SKIP_1) | instid1(VALU_DEP_1)
	v_pk_fma_f32 v[28:29], v[2:3], v[24:25], v[6:7] op_sel:[0,0,1] op_sel_hi:[1,1,0] neg_lo:[0,0,1] neg_hi:[0,0,1]
	v_pk_fma_f32 v[2:3], v[2:3], v[24:25], v[6:7] op_sel:[0,0,1] op_sel_hi:[1,0,0]
	v_mov_b32_e32 v29, v3
	v_pk_mul_f32 v[2:3], v[4:5], v[26:27] op_sel:[0,1]
	s_delay_alu instid0(VALU_DEP_2) | instskip(NEXT) | instid1(VALU_DEP_2)
	v_pk_add_f32 v[230:231], v[230:231], v[28:29] neg_lo:[0,1] neg_hi:[0,1]
	v_pk_fma_f32 v[6:7], v[4:5], v[24:25], v[2:3] op_sel:[0,0,1] op_sel_hi:[1,1,0] neg_lo:[0,0,1] neg_hi:[0,0,1]
	v_pk_fma_f32 v[2:3], v[4:5], v[24:25], v[2:3] op_sel:[0,0,1] op_sel_hi:[1,0,0]
	s_delay_alu instid0(VALU_DEP_1) | instskip(SKIP_4) | instid1(VALU_DEP_1)
	v_mov_b32_e32 v7, v3
	ds_load_2addr_b64 v[2:5], v126 offset0:52 offset1:53
	v_pk_add_f32 v[232:233], v[232:233], v[6:7] neg_lo:[0,1] neg_hi:[0,1]
	s_wait_dscnt 0x0
	v_pk_mul_f32 v[6:7], v[2:3], v[26:27] op_sel:[0,1]
	v_pk_fma_f32 v[28:29], v[2:3], v[24:25], v[6:7] op_sel:[0,0,1] op_sel_hi:[1,1,0] neg_lo:[0,0,1] neg_hi:[0,0,1]
	v_pk_fma_f32 v[2:3], v[2:3], v[24:25], v[6:7] op_sel:[0,0,1] op_sel_hi:[1,0,0]
	v_dual_mul_f32 v6, v5, v27 :: v_dual_mov_b32 v2, v5
	s_delay_alu instid0(VALU_DEP_2) | instskip(NEXT) | instid1(VALU_DEP_2)
	v_dual_mov_b32 v29, v3 :: v_dual_mov_b32 v3, v4
	v_pk_fma_f32 v[6:7], v[4:5], v[140:141], v[6:7] op_sel_hi:[1,1,0] neg_lo:[0,0,1] neg_hi:[0,0,1]
	v_mul_f32_e32 v4, v5, v24
	s_delay_alu instid0(VALU_DEP_3) | instskip(NEXT) | instid1(VALU_DEP_2)
	v_pk_add_f32 v[234:235], v[234:235], v[28:29] neg_lo:[0,1] neg_hi:[0,1]
	v_pk_fma_f32 v[2:3], v[2:3], v[140:141], v[4:5] op_sel_hi:[1,1,0]
	s_delay_alu instid0(VALU_DEP_1) | instskip(SKIP_4) | instid1(VALU_DEP_1)
	v_mov_b32_e32 v7, v3
	ds_load_2addr_b64 v[2:5], v126 offset0:54 offset1:55
	v_pk_add_f32 v[236:237], v[236:237], v[6:7] neg_lo:[0,1] neg_hi:[0,1]
	s_wait_dscnt 0x0
	v_pk_mul_f32 v[6:7], v[2:3], v[26:27] op_sel:[0,1]
	v_pk_fma_f32 v[28:29], v[2:3], v[24:25], v[6:7] op_sel:[0,0,1] op_sel_hi:[1,1,0] neg_lo:[0,0,1] neg_hi:[0,0,1]
	v_pk_fma_f32 v[2:3], v[2:3], v[24:25], v[6:7] op_sel:[0,0,1] op_sel_hi:[1,0,0]
	s_delay_alu instid0(VALU_DEP_1) | instskip(SKIP_1) | instid1(VALU_DEP_1)
	v_mov_b32_e32 v29, v3
	v_pk_mul_f32 v[2:3], v[4:5], v[26:27] op_sel:[0,1]
	v_pk_fma_f32 v[6:7], v[4:5], v[24:25], v[2:3] op_sel:[0,0,1] op_sel_hi:[1,1,0] neg_lo:[0,0,1] neg_hi:[0,0,1]
	v_pk_fma_f32 v[2:3], v[4:5], v[24:25], v[2:3] op_sel:[0,0,1] op_sel_hi:[1,0,0]
	s_delay_alu instid0(VALU_DEP_1)
	v_mov_b32_e32 v7, v3
	ds_load_2addr_b64 v[2:5], v126 offset0:56 offset1:57
	v_pk_add_f32 v[238:239], v[238:239], v[28:29] neg_lo:[0,1] neg_hi:[0,1]
	v_pk_add_f32 v[240:241], v[240:241], v[6:7] neg_lo:[0,1] neg_hi:[0,1]
	s_wait_dscnt 0x0
	v_pk_mul_f32 v[6:7], v[2:3], v[26:27] op_sel:[0,1]
	s_delay_alu instid0(VALU_DEP_1) | instskip(SKIP_1) | instid1(VALU_DEP_1)
	v_pk_fma_f32 v[28:29], v[2:3], v[24:25], v[6:7] op_sel:[0,0,1] op_sel_hi:[1,1,0] neg_lo:[0,0,1] neg_hi:[0,0,1]
	v_pk_fma_f32 v[2:3], v[2:3], v[24:25], v[6:7] op_sel:[0,0,1] op_sel_hi:[1,0,0]
	v_mov_b32_e32 v29, v3
	v_pk_mul_f32 v[2:3], v[4:5], v[26:27] op_sel:[0,1]
	s_delay_alu instid0(VALU_DEP_1) | instskip(SKIP_1) | instid1(VALU_DEP_1)
	v_pk_fma_f32 v[6:7], v[4:5], v[24:25], v[2:3] op_sel:[0,0,1] op_sel_hi:[1,1,0] neg_lo:[0,0,1] neg_hi:[0,0,1]
	v_pk_fma_f32 v[2:3], v[4:5], v[24:25], v[2:3] op_sel:[0,0,1] op_sel_hi:[1,0,0]
	v_mov_b32_e32 v7, v3
	ds_load_2addr_b64 v[2:5], v126 offset0:58 offset1:59
	v_pk_add_f32 v[252:253], v[252:253], v[28:29] neg_lo:[0,1] neg_hi:[0,1]
	v_pk_add_f32 v[246:247], v[246:247], v[6:7] neg_lo:[0,1] neg_hi:[0,1]
	s_wait_dscnt 0x0
	v_dual_mul_f32 v6, v3, v27 :: v_dual_mul_f32 v28, v3, v24
	s_delay_alu instid0(VALU_DEP_1) | instskip(NEXT) | instid1(VALU_DEP_2)
	v_pk_fma_f32 v[6:7], v[2:3], v[140:141], v[6:7] op_sel_hi:[1,1,0] neg_lo:[0,0,1] neg_hi:[0,0,1]
	v_pk_fma_f32 v[2:3], v[2:3], v[140:141], v[28:29] op_sel:[1,0,0] op_sel_hi:[0,1,0]
	s_delay_alu instid0(VALU_DEP_1) | instskip(SKIP_1) | instid1(VALU_DEP_2)
	v_mov_b32_e32 v7, v3
	v_pk_mul_f32 v[2:3], v[4:5], v[26:27] op_sel:[0,1]
	v_pk_add_f32 v[250:251], v[250:251], v[6:7] neg_lo:[0,1] neg_hi:[0,1]
	s_delay_alu instid0(VALU_DEP_2) | instskip(SKIP_1) | instid1(VALU_DEP_1)
	v_pk_fma_f32 v[6:7], v[4:5], v[24:25], v[2:3] op_sel:[0,0,1] op_sel_hi:[1,1,0] neg_lo:[0,0,1] neg_hi:[0,0,1]
	v_pk_fma_f32 v[2:3], v[4:5], v[24:25], v[2:3] op_sel:[0,0,1] op_sel_hi:[1,0,0]
	v_mov_b32_e32 v7, v3
	ds_load_2addr_b64 v[2:5], v126 offset0:60 offset1:61
	v_pk_add_f32 v[244:245], v[244:245], v[6:7] neg_lo:[0,1] neg_hi:[0,1]
	s_wait_dscnt 0x0
	v_pk_mul_f32 v[6:7], v[2:3], v[26:27] op_sel:[0,1]
	s_delay_alu instid0(VALU_DEP_1) | instskip(SKIP_1) | instid1(VALU_DEP_1)
	v_pk_fma_f32 v[28:29], v[2:3], v[24:25], v[6:7] op_sel:[0,0,1] op_sel_hi:[1,1,0] neg_lo:[0,0,1] neg_hi:[0,0,1]
	v_pk_fma_f32 v[2:3], v[2:3], v[24:25], v[6:7] op_sel:[0,0,1] op_sel_hi:[1,0,0]
	v_mov_b32_e32 v29, v3
	v_pk_mul_f32 v[2:3], v[4:5], v[26:27] op_sel:[0,1]
	s_delay_alu instid0(VALU_DEP_2) | instskip(NEXT) | instid1(VALU_DEP_2)
	v_pk_add_f32 v[248:249], v[248:249], v[28:29] neg_lo:[0,1] neg_hi:[0,1]
	v_pk_fma_f32 v[6:7], v[4:5], v[24:25], v[2:3] op_sel:[0,0,1] op_sel_hi:[1,1,0] neg_lo:[0,0,1] neg_hi:[0,0,1]
	v_pk_fma_f32 v[2:3], v[4:5], v[24:25], v[2:3] op_sel:[0,0,1] op_sel_hi:[1,0,0]
	s_delay_alu instid0(VALU_DEP_1) | instskip(SKIP_4) | instid1(VALU_DEP_1)
	v_mov_b32_e32 v7, v3
	ds_load_2addr_b64 v[2:5], v126 offset0:62 offset1:63
	v_pk_add_f32 v[242:243], v[242:243], v[6:7] neg_lo:[0,1] neg_hi:[0,1]
	s_wait_dscnt 0x0
	v_pk_mul_f32 v[6:7], v[2:3], v[26:27] op_sel:[0,1]
	v_pk_fma_f32 v[28:29], v[2:3], v[24:25], v[6:7] op_sel:[0,0,1] op_sel_hi:[1,1,0] neg_lo:[0,0,1] neg_hi:[0,0,1]
	v_pk_fma_f32 v[2:3], v[2:3], v[24:25], v[6:7] op_sel:[0,0,1] op_sel_hi:[1,0,0]
	v_dual_mul_f32 v6, v5, v27 :: v_dual_mov_b32 v2, v5
	s_delay_alu instid0(VALU_DEP_2) | instskip(NEXT) | instid1(VALU_DEP_2)
	v_dual_mov_b32 v29, v3 :: v_dual_mov_b32 v3, v4
	v_pk_fma_f32 v[6:7], v[4:5], v[140:141], v[6:7] op_sel_hi:[1,1,0] neg_lo:[0,0,1] neg_hi:[0,0,1]
	v_mul_f32_e32 v4, v5, v24
	s_delay_alu instid0(VALU_DEP_3) | instskip(NEXT) | instid1(VALU_DEP_2)
	v_pk_add_f32 v[254:255], v[254:255], v[28:29] neg_lo:[0,1] neg_hi:[0,1]
	v_pk_fma_f32 v[2:3], v[2:3], v[140:141], v[4:5] op_sel_hi:[1,1,0]
	s_delay_alu instid0(VALU_DEP_1) | instskip(NEXT) | instid1(VALU_DEP_1)
	v_mov_b32_e32 v7, v3
	v_pk_add_f32 v[0:1], v[0:1], v[6:7] neg_lo:[0,1] neg_hi:[0,1]
.LBB127_91:
	s_or_b32 exec_lo, exec_lo, s1
	s_delay_alu instid0(SALU_CYCLE_1)
	s_mov_b32 s2, exec_lo
	s_wait_dscnt 0x0
	s_barrier_signal -1
	s_barrier_wait -1
	v_cmpx_eq_u32_e32 10, v18
	s_cbranch_execz .LBB127_98
; %bb.92:
	ds_store_b64 v19, v[146:147]
	ds_store_2addr_b64 v126, v[152:153], v[154:155] offset0:11 offset1:12
	ds_store_2addr_b64 v126, v[156:157], v[158:159] offset0:13 offset1:14
	;; [unrolled: 1-line block ×26, first 2 shown]
	ds_store_b64 v126, v[0:1] offset:504
	ds_load_b64 v[2:3], v19
	s_wait_dscnt 0x0
	v_cmp_neq_f32_e32 vcc_lo, 0, v2
	v_cmp_neq_f32_e64 s1, 0, v3
	s_or_b32 s1, vcc_lo, s1
	s_delay_alu instid0(SALU_CYCLE_1)
	s_and_b32 exec_lo, exec_lo, s1
	s_cbranch_execz .LBB127_98
; %bb.93:
	v_cmp_ngt_f32_e64 s1, |v2|, |v3|
                                        ; implicit-def: $vgpr4_vgpr5
	s_and_saveexec_b32 s4, s1
	s_delay_alu instid0(SALU_CYCLE_1)
	s_xor_b32 s1, exec_lo, s4
	s_cbranch_execz .LBB127_95
; %bb.94:
	v_div_scale_f32 v4, null, v3, v3, v2
	v_div_scale_f32 v7, vcc_lo, v2, v3, v2
	s_delay_alu instid0(VALU_DEP_2) | instskip(SKIP_1) | instid1(TRANS32_DEP_1)
	v_rcp_f32_e32 v5, v4
	v_nop
	v_fma_f32 v6, -v4, v5, 1.0
	s_delay_alu instid0(VALU_DEP_1) | instskip(NEXT) | instid1(VALU_DEP_1)
	v_fmac_f32_e32 v5, v6, v5
	v_mul_f32_e32 v6, v7, v5
	s_delay_alu instid0(VALU_DEP_1) | instskip(NEXT) | instid1(VALU_DEP_1)
	v_fma_f32 v8, -v4, v6, v7
	v_fmac_f32_e32 v6, v8, v5
	s_delay_alu instid0(VALU_DEP_1) | instskip(NEXT) | instid1(VALU_DEP_1)
	v_fma_f32 v4, -v4, v6, v7
	v_div_fmas_f32 v4, v4, v5, v6
	s_delay_alu instid0(VALU_DEP_1) | instskip(NEXT) | instid1(VALU_DEP_1)
	v_div_fixup_f32 v4, v4, v3, v2
	v_fmac_f32_e32 v3, v2, v4
	s_delay_alu instid0(VALU_DEP_1) | instskip(SKIP_1) | instid1(VALU_DEP_2)
	v_div_scale_f32 v2, null, v3, v3, 1.0
	v_div_scale_f32 v7, vcc_lo, 1.0, v3, 1.0
	v_rcp_f32_e32 v5, v2
	v_nop
	s_delay_alu instid0(TRANS32_DEP_1) | instskip(NEXT) | instid1(VALU_DEP_1)
	v_fma_f32 v6, -v2, v5, 1.0
	v_fmac_f32_e32 v5, v6, v5
	s_delay_alu instid0(VALU_DEP_1) | instskip(NEXT) | instid1(VALU_DEP_1)
	v_mul_f32_e32 v6, v7, v5
	v_fma_f32 v8, -v2, v6, v7
	s_delay_alu instid0(VALU_DEP_1) | instskip(NEXT) | instid1(VALU_DEP_1)
	v_fmac_f32_e32 v6, v8, v5
	v_fma_f32 v2, -v2, v6, v7
	s_delay_alu instid0(VALU_DEP_1) | instskip(NEXT) | instid1(VALU_DEP_1)
	v_div_fmas_f32 v2, v2, v5, v6
	v_div_fixup_f32 v2, v2, v3, 1.0
	s_delay_alu instid0(VALU_DEP_1)
	v_mul_f32_e32 v4, v4, v2
	v_xor_b32_e32 v5, 0x80000000, v2
                                        ; implicit-def: $vgpr2_vgpr3
.LBB127_95:
	s_and_not1_saveexec_b32 s1, s1
	s_cbranch_execz .LBB127_97
; %bb.96:
	v_div_scale_f32 v4, null, v2, v2, v3
	v_div_scale_f32 v7, vcc_lo, v3, v2, v3
	s_delay_alu instid0(VALU_DEP_2) | instskip(SKIP_1) | instid1(TRANS32_DEP_1)
	v_rcp_f32_e32 v5, v4
	v_nop
	v_fma_f32 v6, -v4, v5, 1.0
	s_delay_alu instid0(VALU_DEP_1) | instskip(NEXT) | instid1(VALU_DEP_1)
	v_fmac_f32_e32 v5, v6, v5
	v_mul_f32_e32 v6, v7, v5
	s_delay_alu instid0(VALU_DEP_1) | instskip(NEXT) | instid1(VALU_DEP_1)
	v_fma_f32 v8, -v4, v6, v7
	v_fmac_f32_e32 v6, v8, v5
	s_delay_alu instid0(VALU_DEP_1) | instskip(NEXT) | instid1(VALU_DEP_1)
	v_fma_f32 v4, -v4, v6, v7
	v_div_fmas_f32 v4, v4, v5, v6
	s_delay_alu instid0(VALU_DEP_1) | instskip(NEXT) | instid1(VALU_DEP_1)
	v_div_fixup_f32 v5, v4, v2, v3
	v_fmac_f32_e32 v2, v3, v5
	s_delay_alu instid0(VALU_DEP_1) | instskip(NEXT) | instid1(VALU_DEP_1)
	v_div_scale_f32 v3, null, v2, v2, 1.0
	v_rcp_f32_e32 v4, v3
	v_nop
	s_delay_alu instid0(TRANS32_DEP_1) | instskip(NEXT) | instid1(VALU_DEP_1)
	v_fma_f32 v6, -v3, v4, 1.0
	v_fmac_f32_e32 v4, v6, v4
	v_div_scale_f32 v6, vcc_lo, 1.0, v2, 1.0
	s_delay_alu instid0(VALU_DEP_1) | instskip(NEXT) | instid1(VALU_DEP_1)
	v_mul_f32_e32 v7, v6, v4
	v_fma_f32 v8, -v3, v7, v6
	s_delay_alu instid0(VALU_DEP_1) | instskip(NEXT) | instid1(VALU_DEP_1)
	v_fmac_f32_e32 v7, v8, v4
	v_fma_f32 v3, -v3, v7, v6
	s_delay_alu instid0(VALU_DEP_1) | instskip(NEXT) | instid1(VALU_DEP_1)
	v_div_fmas_f32 v3, v3, v4, v7
	v_div_fixup_f32 v4, v3, v2, 1.0
	s_delay_alu instid0(VALU_DEP_1)
	v_mul_f32_e64 v5, v5, -v4
.LBB127_97:
	s_or_b32 exec_lo, exec_lo, s1
	ds_store_b64 v19, v[4:5]
.LBB127_98:
	s_or_b32 exec_lo, exec_lo, s2
	s_wait_dscnt 0x0
	s_barrier_signal -1
	s_barrier_wait -1
	ds_load_b64 v[24:25], v19
	s_mov_b32 s1, exec_lo
	v_cmpx_lt_u32_e32 10, v18
	s_cbranch_execz .LBB127_100
; %bb.99:
	s_wait_dscnt 0x0
	v_pk_mul_f32 v[2:3], v[24:25], v[146:147] op_sel:[1,1] op_sel_hi:[0,1]
	s_delay_alu instid0(VALU_DEP_1)
	v_pk_fma_f32 v[26:27], v[24:25], v[146:147], v[2:3] op_sel_hi:[1,0,1] neg_lo:[0,0,1] neg_hi:[0,0,1]
	v_pk_fma_f32 v[28:29], v[24:25], v[146:147], v[2:3] op_sel_hi:[1,0,1]
	ds_load_2addr_b64 v[2:5], v126 offset0:11 offset1:12
	v_dual_mov_b32 v146, v26 :: v_dual_mov_b32 v147, v29
	s_wait_dscnt 0x0
	v_pk_mul_f32 v[6:7], v[2:3], v[28:29] op_sel:[0,1]
	s_delay_alu instid0(VALU_DEP_1) | instskip(SKIP_1) | instid1(VALU_DEP_1)
	v_pk_fma_f32 v[30:31], v[2:3], v[26:27], v[6:7] op_sel:[0,0,1] op_sel_hi:[1,1,0] neg_lo:[0,0,1] neg_hi:[0,0,1]
	v_pk_fma_f32 v[2:3], v[2:3], v[26:27], v[6:7] op_sel:[0,0,1] op_sel_hi:[1,0,0]
	v_mov_b32_e32 v31, v3
	v_pk_mul_f32 v[2:3], v[4:5], v[28:29] op_sel:[0,1]
	s_delay_alu instid0(VALU_DEP_1) | instskip(SKIP_1) | instid1(VALU_DEP_1)
	v_pk_fma_f32 v[6:7], v[4:5], v[26:27], v[2:3] op_sel:[0,0,1] op_sel_hi:[1,1,0] neg_lo:[0,0,1] neg_hi:[0,0,1]
	v_pk_fma_f32 v[2:3], v[4:5], v[26:27], v[2:3] op_sel:[0,0,1] op_sel_hi:[1,0,0]
	v_mov_b32_e32 v7, v3
	ds_load_2addr_b64 v[2:5], v126 offset0:13 offset1:14
	v_pk_add_f32 v[152:153], v[152:153], v[30:31] neg_lo:[0,1] neg_hi:[0,1]
	v_pk_add_f32 v[154:155], v[154:155], v[6:7] neg_lo:[0,1] neg_hi:[0,1]
	s_wait_dscnt 0x0
	v_pk_mul_f32 v[6:7], v[2:3], v[28:29] op_sel:[0,1]
	s_delay_alu instid0(VALU_DEP_1) | instskip(SKIP_2) | instid1(VALU_DEP_2)
	v_pk_fma_f32 v[30:31], v[2:3], v[26:27], v[6:7] op_sel:[0,0,1] op_sel_hi:[1,1,0] neg_lo:[0,0,1] neg_hi:[0,0,1]
	v_pk_fma_f32 v[2:3], v[2:3], v[26:27], v[6:7] op_sel:[0,0,1] op_sel_hi:[1,0,0]
	v_dual_mul_f32 v6, v5, v29 :: v_dual_mov_b32 v2, v5
	v_dual_mov_b32 v31, v3 :: v_dual_mov_b32 v3, v4
	s_delay_alu instid0(VALU_DEP_2) | instskip(SKIP_1) | instid1(VALU_DEP_3)
	v_pk_fma_f32 v[6:7], v[4:5], v[146:147], v[6:7] op_sel_hi:[1,1,0] neg_lo:[0,0,1] neg_hi:[0,0,1]
	v_mul_f32_e32 v4, v5, v26
	v_pk_add_f32 v[156:157], v[156:157], v[30:31] neg_lo:[0,1] neg_hi:[0,1]
	s_delay_alu instid0(VALU_DEP_2) | instskip(NEXT) | instid1(VALU_DEP_1)
	v_pk_fma_f32 v[2:3], v[2:3], v[146:147], v[4:5] op_sel_hi:[1,1,0]
	v_mov_b32_e32 v7, v3
	ds_load_2addr_b64 v[2:5], v126 offset0:15 offset1:16
	v_pk_add_f32 v[158:159], v[158:159], v[6:7] neg_lo:[0,1] neg_hi:[0,1]
	s_wait_dscnt 0x0
	v_pk_mul_f32 v[6:7], v[2:3], v[28:29] op_sel:[0,1]
	s_delay_alu instid0(VALU_DEP_1) | instskip(SKIP_1) | instid1(VALU_DEP_1)
	v_pk_fma_f32 v[30:31], v[2:3], v[26:27], v[6:7] op_sel:[0,0,1] op_sel_hi:[1,1,0] neg_lo:[0,0,1] neg_hi:[0,0,1]
	v_pk_fma_f32 v[2:3], v[2:3], v[26:27], v[6:7] op_sel:[0,0,1] op_sel_hi:[1,0,0]
	v_mov_b32_e32 v31, v3
	v_pk_mul_f32 v[2:3], v[4:5], v[28:29] op_sel:[0,1]
	s_delay_alu instid0(VALU_DEP_1) | instskip(SKIP_1) | instid1(VALU_DEP_1)
	v_pk_fma_f32 v[6:7], v[4:5], v[26:27], v[2:3] op_sel:[0,0,1] op_sel_hi:[1,1,0] neg_lo:[0,0,1] neg_hi:[0,0,1]
	v_pk_fma_f32 v[2:3], v[4:5], v[26:27], v[2:3] op_sel:[0,0,1] op_sel_hi:[1,0,0]
	v_mov_b32_e32 v7, v3
	ds_load_2addr_b64 v[2:5], v126 offset0:17 offset1:18
	v_pk_add_f32 v[160:161], v[160:161], v[30:31] neg_lo:[0,1] neg_hi:[0,1]
	v_pk_add_f32 v[162:163], v[162:163], v[6:7] neg_lo:[0,1] neg_hi:[0,1]
	s_wait_dscnt 0x0
	v_pk_mul_f32 v[6:7], v[2:3], v[28:29] op_sel:[0,1]
	s_delay_alu instid0(VALU_DEP_1) | instskip(SKIP_1) | instid1(VALU_DEP_1)
	v_pk_fma_f32 v[30:31], v[2:3], v[26:27], v[6:7] op_sel:[0,0,1] op_sel_hi:[1,1,0] neg_lo:[0,0,1] neg_hi:[0,0,1]
	v_pk_fma_f32 v[2:3], v[2:3], v[26:27], v[6:7] op_sel:[0,0,1] op_sel_hi:[1,0,0]
	v_mov_b32_e32 v31, v3
	v_pk_mul_f32 v[2:3], v[4:5], v[28:29] op_sel:[0,1]
	s_delay_alu instid0(VALU_DEP_1) | instskip(SKIP_1) | instid1(VALU_DEP_1)
	v_pk_fma_f32 v[6:7], v[4:5], v[26:27], v[2:3] op_sel:[0,0,1] op_sel_hi:[1,1,0] neg_lo:[0,0,1] neg_hi:[0,0,1]
	v_pk_fma_f32 v[2:3], v[4:5], v[26:27], v[2:3] op_sel:[0,0,1] op_sel_hi:[1,0,0]
	v_mov_b32_e32 v7, v3
	ds_load_2addr_b64 v[2:5], v126 offset0:19 offset1:20
	v_pk_add_f32 v[164:165], v[164:165], v[30:31] neg_lo:[0,1] neg_hi:[0,1]
	v_pk_add_f32 v[166:167], v[166:167], v[6:7] neg_lo:[0,1] neg_hi:[0,1]
	s_wait_dscnt 0x0
	v_dual_mul_f32 v6, v3, v29 :: v_dual_mul_f32 v30, v3, v26
	s_delay_alu instid0(VALU_DEP_1) | instskip(NEXT) | instid1(VALU_DEP_2)
	v_pk_fma_f32 v[6:7], v[2:3], v[146:147], v[6:7] op_sel_hi:[1,1,0] neg_lo:[0,0,1] neg_hi:[0,0,1]
	v_pk_fma_f32 v[2:3], v[2:3], v[146:147], v[30:31] op_sel:[1,0,0] op_sel_hi:[0,1,0]
	s_delay_alu instid0(VALU_DEP_1) | instskip(SKIP_1) | instid1(VALU_DEP_2)
	v_mov_b32_e32 v7, v3
	v_pk_mul_f32 v[2:3], v[4:5], v[28:29] op_sel:[0,1]
	v_pk_add_f32 v[168:169], v[168:169], v[6:7] neg_lo:[0,1] neg_hi:[0,1]
	s_delay_alu instid0(VALU_DEP_2) | instskip(SKIP_1) | instid1(VALU_DEP_1)
	v_pk_fma_f32 v[6:7], v[4:5], v[26:27], v[2:3] op_sel:[0,0,1] op_sel_hi:[1,1,0] neg_lo:[0,0,1] neg_hi:[0,0,1]
	v_pk_fma_f32 v[2:3], v[4:5], v[26:27], v[2:3] op_sel:[0,0,1] op_sel_hi:[1,0,0]
	v_mov_b32_e32 v7, v3
	ds_load_2addr_b64 v[2:5], v126 offset0:21 offset1:22
	v_pk_add_f32 v[170:171], v[170:171], v[6:7] neg_lo:[0,1] neg_hi:[0,1]
	s_wait_dscnt 0x0
	v_pk_mul_f32 v[6:7], v[2:3], v[28:29] op_sel:[0,1]
	s_delay_alu instid0(VALU_DEP_1) | instskip(SKIP_1) | instid1(VALU_DEP_1)
	v_pk_fma_f32 v[30:31], v[2:3], v[26:27], v[6:7] op_sel:[0,0,1] op_sel_hi:[1,1,0] neg_lo:[0,0,1] neg_hi:[0,0,1]
	v_pk_fma_f32 v[2:3], v[2:3], v[26:27], v[6:7] op_sel:[0,0,1] op_sel_hi:[1,0,0]
	v_mov_b32_e32 v31, v3
	v_pk_mul_f32 v[2:3], v[4:5], v[28:29] op_sel:[0,1]
	s_delay_alu instid0(VALU_DEP_2) | instskip(NEXT) | instid1(VALU_DEP_2)
	v_pk_add_f32 v[172:173], v[172:173], v[30:31] neg_lo:[0,1] neg_hi:[0,1]
	v_pk_fma_f32 v[6:7], v[4:5], v[26:27], v[2:3] op_sel:[0,0,1] op_sel_hi:[1,1,0] neg_lo:[0,0,1] neg_hi:[0,0,1]
	v_pk_fma_f32 v[2:3], v[4:5], v[26:27], v[2:3] op_sel:[0,0,1] op_sel_hi:[1,0,0]
	s_delay_alu instid0(VALU_DEP_1) | instskip(SKIP_4) | instid1(VALU_DEP_1)
	v_mov_b32_e32 v7, v3
	ds_load_2addr_b64 v[2:5], v126 offset0:23 offset1:24
	v_pk_add_f32 v[174:175], v[174:175], v[6:7] neg_lo:[0,1] neg_hi:[0,1]
	s_wait_dscnt 0x0
	v_pk_mul_f32 v[6:7], v[2:3], v[28:29] op_sel:[0,1]
	v_pk_fma_f32 v[30:31], v[2:3], v[26:27], v[6:7] op_sel:[0,0,1] op_sel_hi:[1,1,0] neg_lo:[0,0,1] neg_hi:[0,0,1]
	v_pk_fma_f32 v[2:3], v[2:3], v[26:27], v[6:7] op_sel:[0,0,1] op_sel_hi:[1,0,0]
	v_dual_mul_f32 v6, v5, v29 :: v_dual_mov_b32 v2, v5
	s_delay_alu instid0(VALU_DEP_2) | instskip(NEXT) | instid1(VALU_DEP_2)
	v_dual_mov_b32 v31, v3 :: v_dual_mov_b32 v3, v4
	v_pk_fma_f32 v[6:7], v[4:5], v[146:147], v[6:7] op_sel_hi:[1,1,0] neg_lo:[0,0,1] neg_hi:[0,0,1]
	v_mul_f32_e32 v4, v5, v26
	s_delay_alu instid0(VALU_DEP_3) | instskip(NEXT) | instid1(VALU_DEP_2)
	v_pk_add_f32 v[176:177], v[176:177], v[30:31] neg_lo:[0,1] neg_hi:[0,1]
	v_pk_fma_f32 v[2:3], v[2:3], v[146:147], v[4:5] op_sel_hi:[1,1,0]
	s_delay_alu instid0(VALU_DEP_1) | instskip(SKIP_4) | instid1(VALU_DEP_1)
	v_mov_b32_e32 v7, v3
	ds_load_2addr_b64 v[2:5], v126 offset0:25 offset1:26
	v_pk_add_f32 v[178:179], v[178:179], v[6:7] neg_lo:[0,1] neg_hi:[0,1]
	s_wait_dscnt 0x0
	v_pk_mul_f32 v[6:7], v[2:3], v[28:29] op_sel:[0,1]
	v_pk_fma_f32 v[30:31], v[2:3], v[26:27], v[6:7] op_sel:[0,0,1] op_sel_hi:[1,1,0] neg_lo:[0,0,1] neg_hi:[0,0,1]
	v_pk_fma_f32 v[2:3], v[2:3], v[26:27], v[6:7] op_sel:[0,0,1] op_sel_hi:[1,0,0]
	s_delay_alu instid0(VALU_DEP_1) | instskip(SKIP_1) | instid1(VALU_DEP_1)
	v_mov_b32_e32 v31, v3
	v_pk_mul_f32 v[2:3], v[4:5], v[28:29] op_sel:[0,1]
	v_pk_fma_f32 v[6:7], v[4:5], v[26:27], v[2:3] op_sel:[0,0,1] op_sel_hi:[1,1,0] neg_lo:[0,0,1] neg_hi:[0,0,1]
	v_pk_fma_f32 v[2:3], v[4:5], v[26:27], v[2:3] op_sel:[0,0,1] op_sel_hi:[1,0,0]
	s_delay_alu instid0(VALU_DEP_1)
	v_mov_b32_e32 v7, v3
	ds_load_2addr_b64 v[2:5], v126 offset0:27 offset1:28
	v_pk_add_f32 v[180:181], v[180:181], v[30:31] neg_lo:[0,1] neg_hi:[0,1]
	v_pk_add_f32 v[182:183], v[182:183], v[6:7] neg_lo:[0,1] neg_hi:[0,1]
	s_wait_dscnt 0x0
	v_pk_mul_f32 v[6:7], v[2:3], v[28:29] op_sel:[0,1]
	s_delay_alu instid0(VALU_DEP_1) | instskip(SKIP_1) | instid1(VALU_DEP_1)
	v_pk_fma_f32 v[30:31], v[2:3], v[26:27], v[6:7] op_sel:[0,0,1] op_sel_hi:[1,1,0] neg_lo:[0,0,1] neg_hi:[0,0,1]
	v_pk_fma_f32 v[2:3], v[2:3], v[26:27], v[6:7] op_sel:[0,0,1] op_sel_hi:[1,0,0]
	v_mov_b32_e32 v31, v3
	v_pk_mul_f32 v[2:3], v[4:5], v[28:29] op_sel:[0,1]
	s_delay_alu instid0(VALU_DEP_1) | instskip(SKIP_1) | instid1(VALU_DEP_1)
	v_pk_fma_f32 v[6:7], v[4:5], v[26:27], v[2:3] op_sel:[0,0,1] op_sel_hi:[1,1,0] neg_lo:[0,0,1] neg_hi:[0,0,1]
	v_pk_fma_f32 v[2:3], v[4:5], v[26:27], v[2:3] op_sel:[0,0,1] op_sel_hi:[1,0,0]
	v_mov_b32_e32 v7, v3
	ds_load_2addr_b64 v[2:5], v126 offset0:29 offset1:30
	v_pk_add_f32 v[184:185], v[184:185], v[30:31] neg_lo:[0,1] neg_hi:[0,1]
	v_pk_add_f32 v[186:187], v[186:187], v[6:7] neg_lo:[0,1] neg_hi:[0,1]
	s_wait_dscnt 0x0
	v_dual_mul_f32 v6, v3, v29 :: v_dual_mul_f32 v30, v3, v26
	s_delay_alu instid0(VALU_DEP_1) | instskip(NEXT) | instid1(VALU_DEP_2)
	v_pk_fma_f32 v[6:7], v[2:3], v[146:147], v[6:7] op_sel_hi:[1,1,0] neg_lo:[0,0,1] neg_hi:[0,0,1]
	v_pk_fma_f32 v[2:3], v[2:3], v[146:147], v[30:31] op_sel:[1,0,0] op_sel_hi:[0,1,0]
	s_delay_alu instid0(VALU_DEP_1) | instskip(SKIP_1) | instid1(VALU_DEP_2)
	v_mov_b32_e32 v7, v3
	v_pk_mul_f32 v[2:3], v[4:5], v[28:29] op_sel:[0,1]
	v_pk_add_f32 v[188:189], v[188:189], v[6:7] neg_lo:[0,1] neg_hi:[0,1]
	s_delay_alu instid0(VALU_DEP_2) | instskip(SKIP_1) | instid1(VALU_DEP_1)
	v_pk_fma_f32 v[6:7], v[4:5], v[26:27], v[2:3] op_sel:[0,0,1] op_sel_hi:[1,1,0] neg_lo:[0,0,1] neg_hi:[0,0,1]
	v_pk_fma_f32 v[2:3], v[4:5], v[26:27], v[2:3] op_sel:[0,0,1] op_sel_hi:[1,0,0]
	v_mov_b32_e32 v7, v3
	ds_load_2addr_b64 v[2:5], v126 offset0:31 offset1:32
	v_pk_add_f32 v[190:191], v[190:191], v[6:7] neg_lo:[0,1] neg_hi:[0,1]
	s_wait_dscnt 0x0
	v_pk_mul_f32 v[6:7], v[2:3], v[28:29] op_sel:[0,1]
	s_delay_alu instid0(VALU_DEP_1) | instskip(SKIP_1) | instid1(VALU_DEP_1)
	v_pk_fma_f32 v[30:31], v[2:3], v[26:27], v[6:7] op_sel:[0,0,1] op_sel_hi:[1,1,0] neg_lo:[0,0,1] neg_hi:[0,0,1]
	v_pk_fma_f32 v[2:3], v[2:3], v[26:27], v[6:7] op_sel:[0,0,1] op_sel_hi:[1,0,0]
	v_mov_b32_e32 v31, v3
	v_pk_mul_f32 v[2:3], v[4:5], v[28:29] op_sel:[0,1]
	s_delay_alu instid0(VALU_DEP_2) | instskip(NEXT) | instid1(VALU_DEP_2)
	v_pk_add_f32 v[192:193], v[192:193], v[30:31] neg_lo:[0,1] neg_hi:[0,1]
	v_pk_fma_f32 v[6:7], v[4:5], v[26:27], v[2:3] op_sel:[0,0,1] op_sel_hi:[1,1,0] neg_lo:[0,0,1] neg_hi:[0,0,1]
	v_pk_fma_f32 v[2:3], v[4:5], v[26:27], v[2:3] op_sel:[0,0,1] op_sel_hi:[1,0,0]
	s_delay_alu instid0(VALU_DEP_1) | instskip(SKIP_4) | instid1(VALU_DEP_1)
	v_mov_b32_e32 v7, v3
	ds_load_2addr_b64 v[2:5], v126 offset0:33 offset1:34
	v_pk_add_f32 v[194:195], v[194:195], v[6:7] neg_lo:[0,1] neg_hi:[0,1]
	s_wait_dscnt 0x0
	v_pk_mul_f32 v[6:7], v[2:3], v[28:29] op_sel:[0,1]
	v_pk_fma_f32 v[30:31], v[2:3], v[26:27], v[6:7] op_sel:[0,0,1] op_sel_hi:[1,1,0] neg_lo:[0,0,1] neg_hi:[0,0,1]
	v_pk_fma_f32 v[2:3], v[2:3], v[26:27], v[6:7] op_sel:[0,0,1] op_sel_hi:[1,0,0]
	v_dual_mul_f32 v6, v5, v29 :: v_dual_mov_b32 v2, v5
	s_delay_alu instid0(VALU_DEP_2) | instskip(NEXT) | instid1(VALU_DEP_2)
	v_dual_mov_b32 v31, v3 :: v_dual_mov_b32 v3, v4
	v_pk_fma_f32 v[6:7], v[4:5], v[146:147], v[6:7] op_sel_hi:[1,1,0] neg_lo:[0,0,1] neg_hi:[0,0,1]
	v_mul_f32_e32 v4, v5, v26
	s_delay_alu instid0(VALU_DEP_3) | instskip(NEXT) | instid1(VALU_DEP_2)
	v_pk_add_f32 v[196:197], v[196:197], v[30:31] neg_lo:[0,1] neg_hi:[0,1]
	v_pk_fma_f32 v[2:3], v[2:3], v[146:147], v[4:5] op_sel_hi:[1,1,0]
	s_delay_alu instid0(VALU_DEP_1) | instskip(SKIP_4) | instid1(VALU_DEP_1)
	v_mov_b32_e32 v7, v3
	ds_load_2addr_b64 v[2:5], v126 offset0:35 offset1:36
	v_pk_add_f32 v[198:199], v[198:199], v[6:7] neg_lo:[0,1] neg_hi:[0,1]
	s_wait_dscnt 0x0
	v_pk_mul_f32 v[6:7], v[2:3], v[28:29] op_sel:[0,1]
	v_pk_fma_f32 v[30:31], v[2:3], v[26:27], v[6:7] op_sel:[0,0,1] op_sel_hi:[1,1,0] neg_lo:[0,0,1] neg_hi:[0,0,1]
	v_pk_fma_f32 v[2:3], v[2:3], v[26:27], v[6:7] op_sel:[0,0,1] op_sel_hi:[1,0,0]
	s_delay_alu instid0(VALU_DEP_1) | instskip(SKIP_1) | instid1(VALU_DEP_1)
	v_mov_b32_e32 v31, v3
	v_pk_mul_f32 v[2:3], v[4:5], v[28:29] op_sel:[0,1]
	v_pk_fma_f32 v[6:7], v[4:5], v[26:27], v[2:3] op_sel:[0,0,1] op_sel_hi:[1,1,0] neg_lo:[0,0,1] neg_hi:[0,0,1]
	v_pk_fma_f32 v[2:3], v[4:5], v[26:27], v[2:3] op_sel:[0,0,1] op_sel_hi:[1,0,0]
	s_delay_alu instid0(VALU_DEP_1)
	v_mov_b32_e32 v7, v3
	ds_load_2addr_b64 v[2:5], v126 offset0:37 offset1:38
	v_pk_add_f32 v[200:201], v[200:201], v[30:31] neg_lo:[0,1] neg_hi:[0,1]
	v_pk_add_f32 v[202:203], v[202:203], v[6:7] neg_lo:[0,1] neg_hi:[0,1]
	s_wait_dscnt 0x0
	v_pk_mul_f32 v[6:7], v[2:3], v[28:29] op_sel:[0,1]
	s_delay_alu instid0(VALU_DEP_1) | instskip(SKIP_1) | instid1(VALU_DEP_1)
	v_pk_fma_f32 v[30:31], v[2:3], v[26:27], v[6:7] op_sel:[0,0,1] op_sel_hi:[1,1,0] neg_lo:[0,0,1] neg_hi:[0,0,1]
	v_pk_fma_f32 v[2:3], v[2:3], v[26:27], v[6:7] op_sel:[0,0,1] op_sel_hi:[1,0,0]
	v_mov_b32_e32 v31, v3
	v_pk_mul_f32 v[2:3], v[4:5], v[28:29] op_sel:[0,1]
	s_delay_alu instid0(VALU_DEP_1) | instskip(SKIP_1) | instid1(VALU_DEP_1)
	v_pk_fma_f32 v[6:7], v[4:5], v[26:27], v[2:3] op_sel:[0,0,1] op_sel_hi:[1,1,0] neg_lo:[0,0,1] neg_hi:[0,0,1]
	v_pk_fma_f32 v[2:3], v[4:5], v[26:27], v[2:3] op_sel:[0,0,1] op_sel_hi:[1,0,0]
	v_mov_b32_e32 v7, v3
	ds_load_2addr_b64 v[2:5], v126 offset0:39 offset1:40
	v_pk_add_f32 v[204:205], v[204:205], v[30:31] neg_lo:[0,1] neg_hi:[0,1]
	v_pk_add_f32 v[206:207], v[206:207], v[6:7] neg_lo:[0,1] neg_hi:[0,1]
	s_wait_dscnt 0x0
	v_dual_mul_f32 v6, v3, v29 :: v_dual_mul_f32 v30, v3, v26
	s_delay_alu instid0(VALU_DEP_1) | instskip(NEXT) | instid1(VALU_DEP_2)
	v_pk_fma_f32 v[6:7], v[2:3], v[146:147], v[6:7] op_sel_hi:[1,1,0] neg_lo:[0,0,1] neg_hi:[0,0,1]
	v_pk_fma_f32 v[2:3], v[2:3], v[146:147], v[30:31] op_sel:[1,0,0] op_sel_hi:[0,1,0]
	s_delay_alu instid0(VALU_DEP_1) | instskip(SKIP_1) | instid1(VALU_DEP_2)
	v_mov_b32_e32 v7, v3
	v_pk_mul_f32 v[2:3], v[4:5], v[28:29] op_sel:[0,1]
	v_pk_add_f32 v[208:209], v[208:209], v[6:7] neg_lo:[0,1] neg_hi:[0,1]
	s_delay_alu instid0(VALU_DEP_2) | instskip(SKIP_1) | instid1(VALU_DEP_1)
	v_pk_fma_f32 v[6:7], v[4:5], v[26:27], v[2:3] op_sel:[0,0,1] op_sel_hi:[1,1,0] neg_lo:[0,0,1] neg_hi:[0,0,1]
	v_pk_fma_f32 v[2:3], v[4:5], v[26:27], v[2:3] op_sel:[0,0,1] op_sel_hi:[1,0,0]
	v_mov_b32_e32 v7, v3
	ds_load_2addr_b64 v[2:5], v126 offset0:41 offset1:42
	v_pk_add_f32 v[210:211], v[210:211], v[6:7] neg_lo:[0,1] neg_hi:[0,1]
	s_wait_dscnt 0x0
	v_pk_mul_f32 v[6:7], v[2:3], v[28:29] op_sel:[0,1]
	s_delay_alu instid0(VALU_DEP_1) | instskip(SKIP_1) | instid1(VALU_DEP_1)
	v_pk_fma_f32 v[30:31], v[2:3], v[26:27], v[6:7] op_sel:[0,0,1] op_sel_hi:[1,1,0] neg_lo:[0,0,1] neg_hi:[0,0,1]
	v_pk_fma_f32 v[2:3], v[2:3], v[26:27], v[6:7] op_sel:[0,0,1] op_sel_hi:[1,0,0]
	v_mov_b32_e32 v31, v3
	v_pk_mul_f32 v[2:3], v[4:5], v[28:29] op_sel:[0,1]
	s_delay_alu instid0(VALU_DEP_2) | instskip(NEXT) | instid1(VALU_DEP_2)
	v_pk_add_f32 v[212:213], v[212:213], v[30:31] neg_lo:[0,1] neg_hi:[0,1]
	v_pk_fma_f32 v[6:7], v[4:5], v[26:27], v[2:3] op_sel:[0,0,1] op_sel_hi:[1,1,0] neg_lo:[0,0,1] neg_hi:[0,0,1]
	v_pk_fma_f32 v[2:3], v[4:5], v[26:27], v[2:3] op_sel:[0,0,1] op_sel_hi:[1,0,0]
	s_delay_alu instid0(VALU_DEP_1) | instskip(SKIP_4) | instid1(VALU_DEP_1)
	v_mov_b32_e32 v7, v3
	ds_load_2addr_b64 v[2:5], v126 offset0:43 offset1:44
	v_pk_add_f32 v[214:215], v[214:215], v[6:7] neg_lo:[0,1] neg_hi:[0,1]
	s_wait_dscnt 0x0
	v_pk_mul_f32 v[6:7], v[2:3], v[28:29] op_sel:[0,1]
	v_pk_fma_f32 v[30:31], v[2:3], v[26:27], v[6:7] op_sel:[0,0,1] op_sel_hi:[1,1,0] neg_lo:[0,0,1] neg_hi:[0,0,1]
	v_pk_fma_f32 v[2:3], v[2:3], v[26:27], v[6:7] op_sel:[0,0,1] op_sel_hi:[1,0,0]
	v_dual_mul_f32 v6, v5, v29 :: v_dual_mov_b32 v2, v5
	s_delay_alu instid0(VALU_DEP_2) | instskip(NEXT) | instid1(VALU_DEP_2)
	v_dual_mov_b32 v31, v3 :: v_dual_mov_b32 v3, v4
	v_pk_fma_f32 v[6:7], v[4:5], v[146:147], v[6:7] op_sel_hi:[1,1,0] neg_lo:[0,0,1] neg_hi:[0,0,1]
	v_mul_f32_e32 v4, v5, v26
	s_delay_alu instid0(VALU_DEP_3) | instskip(NEXT) | instid1(VALU_DEP_2)
	v_pk_add_f32 v[216:217], v[216:217], v[30:31] neg_lo:[0,1] neg_hi:[0,1]
	v_pk_fma_f32 v[2:3], v[2:3], v[146:147], v[4:5] op_sel_hi:[1,1,0]
	s_delay_alu instid0(VALU_DEP_1) | instskip(SKIP_4) | instid1(VALU_DEP_1)
	v_mov_b32_e32 v7, v3
	ds_load_2addr_b64 v[2:5], v126 offset0:45 offset1:46
	v_pk_add_f32 v[218:219], v[218:219], v[6:7] neg_lo:[0,1] neg_hi:[0,1]
	s_wait_dscnt 0x0
	v_pk_mul_f32 v[6:7], v[2:3], v[28:29] op_sel:[0,1]
	v_pk_fma_f32 v[30:31], v[2:3], v[26:27], v[6:7] op_sel:[0,0,1] op_sel_hi:[1,1,0] neg_lo:[0,0,1] neg_hi:[0,0,1]
	v_pk_fma_f32 v[2:3], v[2:3], v[26:27], v[6:7] op_sel:[0,0,1] op_sel_hi:[1,0,0]
	s_delay_alu instid0(VALU_DEP_1) | instskip(SKIP_1) | instid1(VALU_DEP_1)
	v_mov_b32_e32 v31, v3
	v_pk_mul_f32 v[2:3], v[4:5], v[28:29] op_sel:[0,1]
	v_pk_fma_f32 v[6:7], v[4:5], v[26:27], v[2:3] op_sel:[0,0,1] op_sel_hi:[1,1,0] neg_lo:[0,0,1] neg_hi:[0,0,1]
	v_pk_fma_f32 v[2:3], v[4:5], v[26:27], v[2:3] op_sel:[0,0,1] op_sel_hi:[1,0,0]
	s_delay_alu instid0(VALU_DEP_1)
	v_mov_b32_e32 v7, v3
	ds_load_2addr_b64 v[2:5], v126 offset0:47 offset1:48
	v_pk_add_f32 v[220:221], v[220:221], v[30:31] neg_lo:[0,1] neg_hi:[0,1]
	v_pk_add_f32 v[222:223], v[222:223], v[6:7] neg_lo:[0,1] neg_hi:[0,1]
	s_wait_dscnt 0x0
	v_pk_mul_f32 v[6:7], v[2:3], v[28:29] op_sel:[0,1]
	s_delay_alu instid0(VALU_DEP_1) | instskip(SKIP_1) | instid1(VALU_DEP_1)
	v_pk_fma_f32 v[30:31], v[2:3], v[26:27], v[6:7] op_sel:[0,0,1] op_sel_hi:[1,1,0] neg_lo:[0,0,1] neg_hi:[0,0,1]
	v_pk_fma_f32 v[2:3], v[2:3], v[26:27], v[6:7] op_sel:[0,0,1] op_sel_hi:[1,0,0]
	v_mov_b32_e32 v31, v3
	v_pk_mul_f32 v[2:3], v[4:5], v[28:29] op_sel:[0,1]
	s_delay_alu instid0(VALU_DEP_1) | instskip(SKIP_1) | instid1(VALU_DEP_1)
	v_pk_fma_f32 v[6:7], v[4:5], v[26:27], v[2:3] op_sel:[0,0,1] op_sel_hi:[1,1,0] neg_lo:[0,0,1] neg_hi:[0,0,1]
	v_pk_fma_f32 v[2:3], v[4:5], v[26:27], v[2:3] op_sel:[0,0,1] op_sel_hi:[1,0,0]
	v_mov_b32_e32 v7, v3
	ds_load_2addr_b64 v[2:5], v126 offset0:49 offset1:50
	v_pk_add_f32 v[224:225], v[224:225], v[30:31] neg_lo:[0,1] neg_hi:[0,1]
	v_pk_add_f32 v[226:227], v[226:227], v[6:7] neg_lo:[0,1] neg_hi:[0,1]
	s_wait_dscnt 0x0
	v_dual_mul_f32 v6, v3, v29 :: v_dual_mul_f32 v30, v3, v26
	s_delay_alu instid0(VALU_DEP_1) | instskip(NEXT) | instid1(VALU_DEP_2)
	v_pk_fma_f32 v[6:7], v[2:3], v[146:147], v[6:7] op_sel_hi:[1,1,0] neg_lo:[0,0,1] neg_hi:[0,0,1]
	v_pk_fma_f32 v[2:3], v[2:3], v[146:147], v[30:31] op_sel:[1,0,0] op_sel_hi:[0,1,0]
	s_delay_alu instid0(VALU_DEP_1) | instskip(SKIP_1) | instid1(VALU_DEP_2)
	v_mov_b32_e32 v7, v3
	v_pk_mul_f32 v[2:3], v[4:5], v[28:29] op_sel:[0,1]
	v_pk_add_f32 v[228:229], v[228:229], v[6:7] neg_lo:[0,1] neg_hi:[0,1]
	s_delay_alu instid0(VALU_DEP_2) | instskip(SKIP_1) | instid1(VALU_DEP_1)
	v_pk_fma_f32 v[6:7], v[4:5], v[26:27], v[2:3] op_sel:[0,0,1] op_sel_hi:[1,1,0] neg_lo:[0,0,1] neg_hi:[0,0,1]
	v_pk_fma_f32 v[2:3], v[4:5], v[26:27], v[2:3] op_sel:[0,0,1] op_sel_hi:[1,0,0]
	v_mov_b32_e32 v7, v3
	ds_load_2addr_b64 v[2:5], v126 offset0:51 offset1:52
	v_pk_add_f32 v[230:231], v[230:231], v[6:7] neg_lo:[0,1] neg_hi:[0,1]
	s_wait_dscnt 0x0
	v_pk_mul_f32 v[6:7], v[2:3], v[28:29] op_sel:[0,1]
	s_delay_alu instid0(VALU_DEP_1) | instskip(SKIP_1) | instid1(VALU_DEP_1)
	v_pk_fma_f32 v[30:31], v[2:3], v[26:27], v[6:7] op_sel:[0,0,1] op_sel_hi:[1,1,0] neg_lo:[0,0,1] neg_hi:[0,0,1]
	v_pk_fma_f32 v[2:3], v[2:3], v[26:27], v[6:7] op_sel:[0,0,1] op_sel_hi:[1,0,0]
	v_mov_b32_e32 v31, v3
	v_pk_mul_f32 v[2:3], v[4:5], v[28:29] op_sel:[0,1]
	s_delay_alu instid0(VALU_DEP_2) | instskip(NEXT) | instid1(VALU_DEP_2)
	v_pk_add_f32 v[232:233], v[232:233], v[30:31] neg_lo:[0,1] neg_hi:[0,1]
	v_pk_fma_f32 v[6:7], v[4:5], v[26:27], v[2:3] op_sel:[0,0,1] op_sel_hi:[1,1,0] neg_lo:[0,0,1] neg_hi:[0,0,1]
	v_pk_fma_f32 v[2:3], v[4:5], v[26:27], v[2:3] op_sel:[0,0,1] op_sel_hi:[1,0,0]
	s_delay_alu instid0(VALU_DEP_1) | instskip(SKIP_4) | instid1(VALU_DEP_1)
	v_mov_b32_e32 v7, v3
	ds_load_2addr_b64 v[2:5], v126 offset0:53 offset1:54
	v_pk_add_f32 v[234:235], v[234:235], v[6:7] neg_lo:[0,1] neg_hi:[0,1]
	s_wait_dscnt 0x0
	v_pk_mul_f32 v[6:7], v[2:3], v[28:29] op_sel:[0,1]
	v_pk_fma_f32 v[30:31], v[2:3], v[26:27], v[6:7] op_sel:[0,0,1] op_sel_hi:[1,1,0] neg_lo:[0,0,1] neg_hi:[0,0,1]
	v_pk_fma_f32 v[2:3], v[2:3], v[26:27], v[6:7] op_sel:[0,0,1] op_sel_hi:[1,0,0]
	v_dual_mul_f32 v6, v5, v29 :: v_dual_mov_b32 v2, v5
	s_delay_alu instid0(VALU_DEP_2) | instskip(NEXT) | instid1(VALU_DEP_2)
	v_dual_mov_b32 v31, v3 :: v_dual_mov_b32 v3, v4
	v_pk_fma_f32 v[6:7], v[4:5], v[146:147], v[6:7] op_sel_hi:[1,1,0] neg_lo:[0,0,1] neg_hi:[0,0,1]
	v_mul_f32_e32 v4, v5, v26
	s_delay_alu instid0(VALU_DEP_3) | instskip(NEXT) | instid1(VALU_DEP_2)
	v_pk_add_f32 v[236:237], v[236:237], v[30:31] neg_lo:[0,1] neg_hi:[0,1]
	v_pk_fma_f32 v[2:3], v[2:3], v[146:147], v[4:5] op_sel_hi:[1,1,0]
	s_delay_alu instid0(VALU_DEP_1) | instskip(SKIP_4) | instid1(VALU_DEP_1)
	v_mov_b32_e32 v7, v3
	ds_load_2addr_b64 v[2:5], v126 offset0:55 offset1:56
	v_pk_add_f32 v[238:239], v[238:239], v[6:7] neg_lo:[0,1] neg_hi:[0,1]
	s_wait_dscnt 0x0
	v_pk_mul_f32 v[6:7], v[2:3], v[28:29] op_sel:[0,1]
	v_pk_fma_f32 v[30:31], v[2:3], v[26:27], v[6:7] op_sel:[0,0,1] op_sel_hi:[1,1,0] neg_lo:[0,0,1] neg_hi:[0,0,1]
	v_pk_fma_f32 v[2:3], v[2:3], v[26:27], v[6:7] op_sel:[0,0,1] op_sel_hi:[1,0,0]
	s_delay_alu instid0(VALU_DEP_1) | instskip(SKIP_1) | instid1(VALU_DEP_1)
	v_mov_b32_e32 v31, v3
	v_pk_mul_f32 v[2:3], v[4:5], v[28:29] op_sel:[0,1]
	v_pk_fma_f32 v[6:7], v[4:5], v[26:27], v[2:3] op_sel:[0,0,1] op_sel_hi:[1,1,0] neg_lo:[0,0,1] neg_hi:[0,0,1]
	v_pk_fma_f32 v[2:3], v[4:5], v[26:27], v[2:3] op_sel:[0,0,1] op_sel_hi:[1,0,0]
	s_delay_alu instid0(VALU_DEP_1)
	v_mov_b32_e32 v7, v3
	ds_load_2addr_b64 v[2:5], v126 offset0:57 offset1:58
	v_pk_add_f32 v[240:241], v[240:241], v[30:31] neg_lo:[0,1] neg_hi:[0,1]
	v_pk_add_f32 v[252:253], v[252:253], v[6:7] neg_lo:[0,1] neg_hi:[0,1]
	s_wait_dscnt 0x0
	v_pk_mul_f32 v[6:7], v[2:3], v[28:29] op_sel:[0,1]
	s_delay_alu instid0(VALU_DEP_1) | instskip(SKIP_1) | instid1(VALU_DEP_1)
	v_pk_fma_f32 v[30:31], v[2:3], v[26:27], v[6:7] op_sel:[0,0,1] op_sel_hi:[1,1,0] neg_lo:[0,0,1] neg_hi:[0,0,1]
	v_pk_fma_f32 v[2:3], v[2:3], v[26:27], v[6:7] op_sel:[0,0,1] op_sel_hi:[1,0,0]
	v_mov_b32_e32 v31, v3
	v_pk_mul_f32 v[2:3], v[4:5], v[28:29] op_sel:[0,1]
	s_delay_alu instid0(VALU_DEP_1) | instskip(SKIP_1) | instid1(VALU_DEP_1)
	v_pk_fma_f32 v[6:7], v[4:5], v[26:27], v[2:3] op_sel:[0,0,1] op_sel_hi:[1,1,0] neg_lo:[0,0,1] neg_hi:[0,0,1]
	v_pk_fma_f32 v[2:3], v[4:5], v[26:27], v[2:3] op_sel:[0,0,1] op_sel_hi:[1,0,0]
	v_mov_b32_e32 v7, v3
	ds_load_2addr_b64 v[2:5], v126 offset0:59 offset1:60
	v_pk_add_f32 v[246:247], v[246:247], v[30:31] neg_lo:[0,1] neg_hi:[0,1]
	v_pk_add_f32 v[250:251], v[250:251], v[6:7] neg_lo:[0,1] neg_hi:[0,1]
	s_wait_dscnt 0x0
	v_dual_mul_f32 v6, v3, v29 :: v_dual_mul_f32 v30, v3, v26
	s_delay_alu instid0(VALU_DEP_1) | instskip(NEXT) | instid1(VALU_DEP_2)
	v_pk_fma_f32 v[6:7], v[2:3], v[146:147], v[6:7] op_sel_hi:[1,1,0] neg_lo:[0,0,1] neg_hi:[0,0,1]
	v_pk_fma_f32 v[2:3], v[2:3], v[146:147], v[30:31] op_sel:[1,0,0] op_sel_hi:[0,1,0]
	s_delay_alu instid0(VALU_DEP_1) | instskip(SKIP_1) | instid1(VALU_DEP_2)
	v_mov_b32_e32 v7, v3
	v_pk_mul_f32 v[2:3], v[4:5], v[28:29] op_sel:[0,1]
	v_pk_add_f32 v[244:245], v[244:245], v[6:7] neg_lo:[0,1] neg_hi:[0,1]
	s_delay_alu instid0(VALU_DEP_2) | instskip(SKIP_1) | instid1(VALU_DEP_1)
	v_pk_fma_f32 v[6:7], v[4:5], v[26:27], v[2:3] op_sel:[0,0,1] op_sel_hi:[1,1,0] neg_lo:[0,0,1] neg_hi:[0,0,1]
	v_pk_fma_f32 v[2:3], v[4:5], v[26:27], v[2:3] op_sel:[0,0,1] op_sel_hi:[1,0,0]
	v_mov_b32_e32 v7, v3
	ds_load_2addr_b64 v[2:5], v126 offset0:61 offset1:62
	v_pk_add_f32 v[248:249], v[248:249], v[6:7] neg_lo:[0,1] neg_hi:[0,1]
	s_wait_dscnt 0x0
	v_pk_mul_f32 v[6:7], v[2:3], v[28:29] op_sel:[0,1]
	s_delay_alu instid0(VALU_DEP_1) | instskip(SKIP_1) | instid1(VALU_DEP_1)
	v_pk_fma_f32 v[30:31], v[2:3], v[26:27], v[6:7] op_sel:[0,0,1] op_sel_hi:[1,1,0] neg_lo:[0,0,1] neg_hi:[0,0,1]
	v_pk_fma_f32 v[2:3], v[2:3], v[26:27], v[6:7] op_sel:[0,0,1] op_sel_hi:[1,0,0]
	v_mov_b32_e32 v31, v3
	v_pk_mul_f32 v[2:3], v[4:5], v[28:29] op_sel:[0,1]
	s_delay_alu instid0(VALU_DEP_2) | instskip(NEXT) | instid1(VALU_DEP_2)
	v_pk_add_f32 v[242:243], v[242:243], v[30:31] neg_lo:[0,1] neg_hi:[0,1]
	v_pk_fma_f32 v[6:7], v[4:5], v[26:27], v[2:3] op_sel:[0,0,1] op_sel_hi:[1,1,0] neg_lo:[0,0,1] neg_hi:[0,0,1]
	v_pk_fma_f32 v[2:3], v[4:5], v[26:27], v[2:3] op_sel:[0,0,1] op_sel_hi:[1,0,0]
	s_delay_alu instid0(VALU_DEP_1) | instskip(SKIP_4) | instid1(VALU_DEP_1)
	v_mov_b32_e32 v7, v3
	ds_load_b64 v[2:3], v126 offset:504
	v_pk_add_f32 v[254:255], v[254:255], v[6:7] neg_lo:[0,1] neg_hi:[0,1]
	s_wait_dscnt 0x0
	v_pk_mul_f32 v[4:5], v[2:3], v[28:29] op_sel:[0,1]
	v_pk_fma_f32 v[6:7], v[2:3], v[26:27], v[4:5] op_sel:[0,0,1] op_sel_hi:[1,1,0] neg_lo:[0,0,1] neg_hi:[0,0,1]
	v_pk_fma_f32 v[2:3], v[2:3], v[26:27], v[4:5] op_sel:[0,0,1] op_sel_hi:[1,0,0]
	s_delay_alu instid0(VALU_DEP_1) | instskip(NEXT) | instid1(VALU_DEP_1)
	v_mov_b32_e32 v7, v3
	v_pk_add_f32 v[0:1], v[0:1], v[6:7] neg_lo:[0,1] neg_hi:[0,1]
.LBB127_100:
	s_or_b32 exec_lo, exec_lo, s1
	s_delay_alu instid0(SALU_CYCLE_1)
	s_mov_b32 s2, exec_lo
	s_wait_dscnt 0x0
	s_barrier_signal -1
	s_barrier_wait -1
	v_cmpx_eq_u32_e32 11, v18
	s_cbranch_execz .LBB127_107
; %bb.101:
	v_dual_mov_b32 v2, v154 :: v_dual_mov_b32 v3, v155
	v_dual_mov_b32 v4, v156 :: v_dual_mov_b32 v5, v157
	ds_store_b64 v19, v[152:153]
	ds_store_2addr_b64 v126, v[2:3], v[4:5] offset0:12 offset1:13
	v_dual_mov_b32 v2, v158 :: v_dual_mov_b32 v3, v159
	v_dual_mov_b32 v4, v160 :: v_dual_mov_b32 v5, v161
	ds_store_2addr_b64 v126, v[2:3], v[4:5] offset0:14 offset1:15
	v_dual_mov_b32 v2, v162 :: v_dual_mov_b32 v3, v163
	v_dual_mov_b32 v4, v164 :: v_dual_mov_b32 v5, v165
	;; [unrolled: 3-line block ×24, first 2 shown]
	ds_store_2addr_b64 v126, v[2:3], v[4:5] offset0:60 offset1:61
	v_dual_mov_b32 v2, v254 :: v_dual_mov_b32 v3, v255
	ds_store_2addr_b64 v126, v[2:3], v[0:1] offset0:62 offset1:63
	ds_load_b64 v[2:3], v19
	s_wait_dscnt 0x0
	v_cmp_neq_f32_e32 vcc_lo, 0, v2
	v_cmp_neq_f32_e64 s1, 0, v3
	s_or_b32 s1, vcc_lo, s1
	s_delay_alu instid0(SALU_CYCLE_1)
	s_and_b32 exec_lo, exec_lo, s1
	s_cbranch_execz .LBB127_107
; %bb.102:
	v_cmp_ngt_f32_e64 s1, |v2|, |v3|
                                        ; implicit-def: $vgpr4_vgpr5
	s_and_saveexec_b32 s4, s1
	s_delay_alu instid0(SALU_CYCLE_1)
	s_xor_b32 s1, exec_lo, s4
	s_cbranch_execz .LBB127_104
; %bb.103:
	v_div_scale_f32 v4, null, v3, v3, v2
	v_div_scale_f32 v7, vcc_lo, v2, v3, v2
	s_delay_alu instid0(VALU_DEP_2) | instskip(SKIP_1) | instid1(TRANS32_DEP_1)
	v_rcp_f32_e32 v5, v4
	v_nop
	v_fma_f32 v6, -v4, v5, 1.0
	s_delay_alu instid0(VALU_DEP_1) | instskip(NEXT) | instid1(VALU_DEP_1)
	v_fmac_f32_e32 v5, v6, v5
	v_mul_f32_e32 v6, v7, v5
	s_delay_alu instid0(VALU_DEP_1) | instskip(NEXT) | instid1(VALU_DEP_1)
	v_fma_f32 v8, -v4, v6, v7
	v_fmac_f32_e32 v6, v8, v5
	s_delay_alu instid0(VALU_DEP_1) | instskip(NEXT) | instid1(VALU_DEP_1)
	v_fma_f32 v4, -v4, v6, v7
	v_div_fmas_f32 v4, v4, v5, v6
	s_delay_alu instid0(VALU_DEP_1) | instskip(NEXT) | instid1(VALU_DEP_1)
	v_div_fixup_f32 v4, v4, v3, v2
	v_fmac_f32_e32 v3, v2, v4
	s_delay_alu instid0(VALU_DEP_1) | instskip(SKIP_1) | instid1(VALU_DEP_2)
	v_div_scale_f32 v2, null, v3, v3, 1.0
	v_div_scale_f32 v7, vcc_lo, 1.0, v3, 1.0
	v_rcp_f32_e32 v5, v2
	v_nop
	s_delay_alu instid0(TRANS32_DEP_1) | instskip(NEXT) | instid1(VALU_DEP_1)
	v_fma_f32 v6, -v2, v5, 1.0
	v_fmac_f32_e32 v5, v6, v5
	s_delay_alu instid0(VALU_DEP_1) | instskip(NEXT) | instid1(VALU_DEP_1)
	v_mul_f32_e32 v6, v7, v5
	v_fma_f32 v8, -v2, v6, v7
	s_delay_alu instid0(VALU_DEP_1) | instskip(NEXT) | instid1(VALU_DEP_1)
	v_fmac_f32_e32 v6, v8, v5
	v_fma_f32 v2, -v2, v6, v7
	s_delay_alu instid0(VALU_DEP_1) | instskip(NEXT) | instid1(VALU_DEP_1)
	v_div_fmas_f32 v2, v2, v5, v6
	v_div_fixup_f32 v2, v2, v3, 1.0
	s_delay_alu instid0(VALU_DEP_1)
	v_mul_f32_e32 v4, v4, v2
	v_xor_b32_e32 v5, 0x80000000, v2
                                        ; implicit-def: $vgpr2_vgpr3
.LBB127_104:
	s_and_not1_saveexec_b32 s1, s1
	s_cbranch_execz .LBB127_106
; %bb.105:
	v_div_scale_f32 v4, null, v2, v2, v3
	v_div_scale_f32 v7, vcc_lo, v3, v2, v3
	s_delay_alu instid0(VALU_DEP_2) | instskip(SKIP_1) | instid1(TRANS32_DEP_1)
	v_rcp_f32_e32 v5, v4
	v_nop
	v_fma_f32 v6, -v4, v5, 1.0
	s_delay_alu instid0(VALU_DEP_1) | instskip(NEXT) | instid1(VALU_DEP_1)
	v_fmac_f32_e32 v5, v6, v5
	v_mul_f32_e32 v6, v7, v5
	s_delay_alu instid0(VALU_DEP_1) | instskip(NEXT) | instid1(VALU_DEP_1)
	v_fma_f32 v8, -v4, v6, v7
	v_fmac_f32_e32 v6, v8, v5
	s_delay_alu instid0(VALU_DEP_1) | instskip(NEXT) | instid1(VALU_DEP_1)
	v_fma_f32 v4, -v4, v6, v7
	v_div_fmas_f32 v4, v4, v5, v6
	s_delay_alu instid0(VALU_DEP_1) | instskip(NEXT) | instid1(VALU_DEP_1)
	v_div_fixup_f32 v5, v4, v2, v3
	v_fmac_f32_e32 v2, v3, v5
	s_delay_alu instid0(VALU_DEP_1) | instskip(NEXT) | instid1(VALU_DEP_1)
	v_div_scale_f32 v3, null, v2, v2, 1.0
	v_rcp_f32_e32 v4, v3
	v_nop
	s_delay_alu instid0(TRANS32_DEP_1) | instskip(NEXT) | instid1(VALU_DEP_1)
	v_fma_f32 v6, -v3, v4, 1.0
	v_fmac_f32_e32 v4, v6, v4
	v_div_scale_f32 v6, vcc_lo, 1.0, v2, 1.0
	s_delay_alu instid0(VALU_DEP_1) | instskip(NEXT) | instid1(VALU_DEP_1)
	v_mul_f32_e32 v7, v6, v4
	v_fma_f32 v8, -v3, v7, v6
	s_delay_alu instid0(VALU_DEP_1) | instskip(NEXT) | instid1(VALU_DEP_1)
	v_fmac_f32_e32 v7, v8, v4
	v_fma_f32 v3, -v3, v7, v6
	s_delay_alu instid0(VALU_DEP_1) | instskip(NEXT) | instid1(VALU_DEP_1)
	v_div_fmas_f32 v3, v3, v4, v7
	v_div_fixup_f32 v4, v3, v2, 1.0
	s_delay_alu instid0(VALU_DEP_1)
	v_mul_f32_e64 v5, v5, -v4
.LBB127_106:
	s_or_b32 exec_lo, exec_lo, s1
	ds_store_b64 v19, v[4:5]
.LBB127_107:
	s_or_b32 exec_lo, exec_lo, s2
	s_wait_dscnt 0x0
	s_barrier_signal -1
	s_barrier_wait -1
	ds_load_b64 v[26:27], v19
	s_mov_b32 s1, exec_lo
	v_cmpx_lt_u32_e32 11, v18
	s_cbranch_execz .LBB127_109
; %bb.108:
	s_wait_dscnt 0x0
	v_pk_mul_f32 v[2:3], v[26:27], v[152:153] op_sel:[1,1] op_sel_hi:[0,1]
	s_delay_alu instid0(VALU_DEP_1)
	v_pk_fma_f32 v[28:29], v[26:27], v[152:153], v[2:3] op_sel_hi:[1,0,1] neg_lo:[0,0,1] neg_hi:[0,0,1]
	v_pk_fma_f32 v[30:31], v[26:27], v[152:153], v[2:3] op_sel_hi:[1,0,1]
	ds_load_2addr_b64 v[2:5], v126 offset0:12 offset1:13
	v_dual_mov_b32 v152, v28 :: v_dual_mov_b32 v153, v31
	s_wait_dscnt 0x0
	v_pk_mul_f32 v[6:7], v[2:3], v[30:31] op_sel:[0,1]
	s_delay_alu instid0(VALU_DEP_1) | instskip(SKIP_1) | instid1(VALU_DEP_1)
	v_pk_fma_f32 v[32:33], v[2:3], v[28:29], v[6:7] op_sel:[0,0,1] op_sel_hi:[1,1,0] neg_lo:[0,0,1] neg_hi:[0,0,1]
	v_pk_fma_f32 v[2:3], v[2:3], v[28:29], v[6:7] op_sel:[0,0,1] op_sel_hi:[1,0,0]
	v_mov_b32_e32 v33, v3
	v_pk_mul_f32 v[2:3], v[4:5], v[30:31] op_sel:[0,1]
	s_delay_alu instid0(VALU_DEP_1) | instskip(SKIP_1) | instid1(VALU_DEP_1)
	v_pk_fma_f32 v[6:7], v[4:5], v[28:29], v[2:3] op_sel:[0,0,1] op_sel_hi:[1,1,0] neg_lo:[0,0,1] neg_hi:[0,0,1]
	v_pk_fma_f32 v[2:3], v[4:5], v[28:29], v[2:3] op_sel:[0,0,1] op_sel_hi:[1,0,0]
	v_mov_b32_e32 v7, v3
	ds_load_2addr_b64 v[2:5], v126 offset0:14 offset1:15
	v_pk_add_f32 v[154:155], v[154:155], v[32:33] neg_lo:[0,1] neg_hi:[0,1]
	v_pk_add_f32 v[156:157], v[156:157], v[6:7] neg_lo:[0,1] neg_hi:[0,1]
	s_wait_dscnt 0x0
	v_pk_mul_f32 v[6:7], v[2:3], v[30:31] op_sel:[0,1]
	s_delay_alu instid0(VALU_DEP_1) | instskip(SKIP_2) | instid1(VALU_DEP_2)
	v_pk_fma_f32 v[32:33], v[2:3], v[28:29], v[6:7] op_sel:[0,0,1] op_sel_hi:[1,1,0] neg_lo:[0,0,1] neg_hi:[0,0,1]
	v_pk_fma_f32 v[2:3], v[2:3], v[28:29], v[6:7] op_sel:[0,0,1] op_sel_hi:[1,0,0]
	v_dual_mul_f32 v6, v5, v31 :: v_dual_mov_b32 v2, v5
	v_dual_mov_b32 v33, v3 :: v_dual_mov_b32 v3, v4
	s_delay_alu instid0(VALU_DEP_2) | instskip(SKIP_1) | instid1(VALU_DEP_3)
	v_pk_fma_f32 v[6:7], v[4:5], v[152:153], v[6:7] op_sel_hi:[1,1,0] neg_lo:[0,0,1] neg_hi:[0,0,1]
	v_mul_f32_e32 v4, v5, v28
	v_pk_add_f32 v[158:159], v[158:159], v[32:33] neg_lo:[0,1] neg_hi:[0,1]
	s_delay_alu instid0(VALU_DEP_2) | instskip(NEXT) | instid1(VALU_DEP_1)
	v_pk_fma_f32 v[2:3], v[2:3], v[152:153], v[4:5] op_sel_hi:[1,1,0]
	v_mov_b32_e32 v7, v3
	ds_load_2addr_b64 v[2:5], v126 offset0:16 offset1:17
	v_pk_add_f32 v[160:161], v[160:161], v[6:7] neg_lo:[0,1] neg_hi:[0,1]
	s_wait_dscnt 0x0
	v_pk_mul_f32 v[6:7], v[2:3], v[30:31] op_sel:[0,1]
	s_delay_alu instid0(VALU_DEP_1) | instskip(SKIP_1) | instid1(VALU_DEP_1)
	v_pk_fma_f32 v[32:33], v[2:3], v[28:29], v[6:7] op_sel:[0,0,1] op_sel_hi:[1,1,0] neg_lo:[0,0,1] neg_hi:[0,0,1]
	v_pk_fma_f32 v[2:3], v[2:3], v[28:29], v[6:7] op_sel:[0,0,1] op_sel_hi:[1,0,0]
	v_mov_b32_e32 v33, v3
	v_pk_mul_f32 v[2:3], v[4:5], v[30:31] op_sel:[0,1]
	s_delay_alu instid0(VALU_DEP_1) | instskip(SKIP_1) | instid1(VALU_DEP_1)
	v_pk_fma_f32 v[6:7], v[4:5], v[28:29], v[2:3] op_sel:[0,0,1] op_sel_hi:[1,1,0] neg_lo:[0,0,1] neg_hi:[0,0,1]
	v_pk_fma_f32 v[2:3], v[4:5], v[28:29], v[2:3] op_sel:[0,0,1] op_sel_hi:[1,0,0]
	v_mov_b32_e32 v7, v3
	ds_load_2addr_b64 v[2:5], v126 offset0:18 offset1:19
	v_pk_add_f32 v[162:163], v[162:163], v[32:33] neg_lo:[0,1] neg_hi:[0,1]
	v_pk_add_f32 v[164:165], v[164:165], v[6:7] neg_lo:[0,1] neg_hi:[0,1]
	s_wait_dscnt 0x0
	v_pk_mul_f32 v[6:7], v[2:3], v[30:31] op_sel:[0,1]
	s_delay_alu instid0(VALU_DEP_1) | instskip(SKIP_1) | instid1(VALU_DEP_1)
	v_pk_fma_f32 v[32:33], v[2:3], v[28:29], v[6:7] op_sel:[0,0,1] op_sel_hi:[1,1,0] neg_lo:[0,0,1] neg_hi:[0,0,1]
	v_pk_fma_f32 v[2:3], v[2:3], v[28:29], v[6:7] op_sel:[0,0,1] op_sel_hi:[1,0,0]
	v_mov_b32_e32 v33, v3
	v_pk_mul_f32 v[2:3], v[4:5], v[30:31] op_sel:[0,1]
	s_delay_alu instid0(VALU_DEP_1) | instskip(SKIP_1) | instid1(VALU_DEP_1)
	v_pk_fma_f32 v[6:7], v[4:5], v[28:29], v[2:3] op_sel:[0,0,1] op_sel_hi:[1,1,0] neg_lo:[0,0,1] neg_hi:[0,0,1]
	v_pk_fma_f32 v[2:3], v[4:5], v[28:29], v[2:3] op_sel:[0,0,1] op_sel_hi:[1,0,0]
	v_mov_b32_e32 v7, v3
	ds_load_2addr_b64 v[2:5], v126 offset0:20 offset1:21
	v_pk_add_f32 v[166:167], v[166:167], v[32:33] neg_lo:[0,1] neg_hi:[0,1]
	v_pk_add_f32 v[168:169], v[168:169], v[6:7] neg_lo:[0,1] neg_hi:[0,1]
	s_wait_dscnt 0x0
	v_dual_mul_f32 v6, v3, v31 :: v_dual_mul_f32 v32, v3, v28
	s_delay_alu instid0(VALU_DEP_1) | instskip(NEXT) | instid1(VALU_DEP_2)
	v_pk_fma_f32 v[6:7], v[2:3], v[152:153], v[6:7] op_sel_hi:[1,1,0] neg_lo:[0,0,1] neg_hi:[0,0,1]
	v_pk_fma_f32 v[2:3], v[2:3], v[152:153], v[32:33] op_sel:[1,0,0] op_sel_hi:[0,1,0]
	s_delay_alu instid0(VALU_DEP_1) | instskip(SKIP_1) | instid1(VALU_DEP_2)
	v_mov_b32_e32 v7, v3
	v_pk_mul_f32 v[2:3], v[4:5], v[30:31] op_sel:[0,1]
	v_pk_add_f32 v[170:171], v[170:171], v[6:7] neg_lo:[0,1] neg_hi:[0,1]
	s_delay_alu instid0(VALU_DEP_2) | instskip(SKIP_1) | instid1(VALU_DEP_1)
	v_pk_fma_f32 v[6:7], v[4:5], v[28:29], v[2:3] op_sel:[0,0,1] op_sel_hi:[1,1,0] neg_lo:[0,0,1] neg_hi:[0,0,1]
	v_pk_fma_f32 v[2:3], v[4:5], v[28:29], v[2:3] op_sel:[0,0,1] op_sel_hi:[1,0,0]
	v_mov_b32_e32 v7, v3
	ds_load_2addr_b64 v[2:5], v126 offset0:22 offset1:23
	v_pk_add_f32 v[172:173], v[172:173], v[6:7] neg_lo:[0,1] neg_hi:[0,1]
	s_wait_dscnt 0x0
	v_pk_mul_f32 v[6:7], v[2:3], v[30:31] op_sel:[0,1]
	s_delay_alu instid0(VALU_DEP_1) | instskip(SKIP_1) | instid1(VALU_DEP_1)
	v_pk_fma_f32 v[32:33], v[2:3], v[28:29], v[6:7] op_sel:[0,0,1] op_sel_hi:[1,1,0] neg_lo:[0,0,1] neg_hi:[0,0,1]
	v_pk_fma_f32 v[2:3], v[2:3], v[28:29], v[6:7] op_sel:[0,0,1] op_sel_hi:[1,0,0]
	v_mov_b32_e32 v33, v3
	v_pk_mul_f32 v[2:3], v[4:5], v[30:31] op_sel:[0,1]
	s_delay_alu instid0(VALU_DEP_2) | instskip(NEXT) | instid1(VALU_DEP_2)
	v_pk_add_f32 v[174:175], v[174:175], v[32:33] neg_lo:[0,1] neg_hi:[0,1]
	v_pk_fma_f32 v[6:7], v[4:5], v[28:29], v[2:3] op_sel:[0,0,1] op_sel_hi:[1,1,0] neg_lo:[0,0,1] neg_hi:[0,0,1]
	v_pk_fma_f32 v[2:3], v[4:5], v[28:29], v[2:3] op_sel:[0,0,1] op_sel_hi:[1,0,0]
	s_delay_alu instid0(VALU_DEP_1) | instskip(SKIP_4) | instid1(VALU_DEP_1)
	v_mov_b32_e32 v7, v3
	ds_load_2addr_b64 v[2:5], v126 offset0:24 offset1:25
	v_pk_add_f32 v[176:177], v[176:177], v[6:7] neg_lo:[0,1] neg_hi:[0,1]
	s_wait_dscnt 0x0
	v_pk_mul_f32 v[6:7], v[2:3], v[30:31] op_sel:[0,1]
	v_pk_fma_f32 v[32:33], v[2:3], v[28:29], v[6:7] op_sel:[0,0,1] op_sel_hi:[1,1,0] neg_lo:[0,0,1] neg_hi:[0,0,1]
	v_pk_fma_f32 v[2:3], v[2:3], v[28:29], v[6:7] op_sel:[0,0,1] op_sel_hi:[1,0,0]
	v_dual_mul_f32 v6, v5, v31 :: v_dual_mov_b32 v2, v5
	s_delay_alu instid0(VALU_DEP_2) | instskip(NEXT) | instid1(VALU_DEP_2)
	v_dual_mov_b32 v33, v3 :: v_dual_mov_b32 v3, v4
	v_pk_fma_f32 v[6:7], v[4:5], v[152:153], v[6:7] op_sel_hi:[1,1,0] neg_lo:[0,0,1] neg_hi:[0,0,1]
	v_mul_f32_e32 v4, v5, v28
	s_delay_alu instid0(VALU_DEP_3) | instskip(NEXT) | instid1(VALU_DEP_2)
	v_pk_add_f32 v[178:179], v[178:179], v[32:33] neg_lo:[0,1] neg_hi:[0,1]
	v_pk_fma_f32 v[2:3], v[2:3], v[152:153], v[4:5] op_sel_hi:[1,1,0]
	s_delay_alu instid0(VALU_DEP_1) | instskip(SKIP_4) | instid1(VALU_DEP_1)
	v_mov_b32_e32 v7, v3
	ds_load_2addr_b64 v[2:5], v126 offset0:26 offset1:27
	v_pk_add_f32 v[180:181], v[180:181], v[6:7] neg_lo:[0,1] neg_hi:[0,1]
	s_wait_dscnt 0x0
	v_pk_mul_f32 v[6:7], v[2:3], v[30:31] op_sel:[0,1]
	v_pk_fma_f32 v[32:33], v[2:3], v[28:29], v[6:7] op_sel:[0,0,1] op_sel_hi:[1,1,0] neg_lo:[0,0,1] neg_hi:[0,0,1]
	v_pk_fma_f32 v[2:3], v[2:3], v[28:29], v[6:7] op_sel:[0,0,1] op_sel_hi:[1,0,0]
	s_delay_alu instid0(VALU_DEP_1) | instskip(SKIP_1) | instid1(VALU_DEP_1)
	v_mov_b32_e32 v33, v3
	v_pk_mul_f32 v[2:3], v[4:5], v[30:31] op_sel:[0,1]
	v_pk_fma_f32 v[6:7], v[4:5], v[28:29], v[2:3] op_sel:[0,0,1] op_sel_hi:[1,1,0] neg_lo:[0,0,1] neg_hi:[0,0,1]
	v_pk_fma_f32 v[2:3], v[4:5], v[28:29], v[2:3] op_sel:[0,0,1] op_sel_hi:[1,0,0]
	s_delay_alu instid0(VALU_DEP_1)
	v_mov_b32_e32 v7, v3
	ds_load_2addr_b64 v[2:5], v126 offset0:28 offset1:29
	v_pk_add_f32 v[182:183], v[182:183], v[32:33] neg_lo:[0,1] neg_hi:[0,1]
	v_pk_add_f32 v[184:185], v[184:185], v[6:7] neg_lo:[0,1] neg_hi:[0,1]
	s_wait_dscnt 0x0
	v_pk_mul_f32 v[6:7], v[2:3], v[30:31] op_sel:[0,1]
	s_delay_alu instid0(VALU_DEP_1) | instskip(SKIP_1) | instid1(VALU_DEP_1)
	v_pk_fma_f32 v[32:33], v[2:3], v[28:29], v[6:7] op_sel:[0,0,1] op_sel_hi:[1,1,0] neg_lo:[0,0,1] neg_hi:[0,0,1]
	v_pk_fma_f32 v[2:3], v[2:3], v[28:29], v[6:7] op_sel:[0,0,1] op_sel_hi:[1,0,0]
	v_mov_b32_e32 v33, v3
	v_pk_mul_f32 v[2:3], v[4:5], v[30:31] op_sel:[0,1]
	s_delay_alu instid0(VALU_DEP_1) | instskip(SKIP_1) | instid1(VALU_DEP_1)
	v_pk_fma_f32 v[6:7], v[4:5], v[28:29], v[2:3] op_sel:[0,0,1] op_sel_hi:[1,1,0] neg_lo:[0,0,1] neg_hi:[0,0,1]
	v_pk_fma_f32 v[2:3], v[4:5], v[28:29], v[2:3] op_sel:[0,0,1] op_sel_hi:[1,0,0]
	v_mov_b32_e32 v7, v3
	ds_load_2addr_b64 v[2:5], v126 offset0:30 offset1:31
	v_pk_add_f32 v[186:187], v[186:187], v[32:33] neg_lo:[0,1] neg_hi:[0,1]
	v_pk_add_f32 v[188:189], v[188:189], v[6:7] neg_lo:[0,1] neg_hi:[0,1]
	s_wait_dscnt 0x0
	v_dual_mul_f32 v6, v3, v31 :: v_dual_mul_f32 v32, v3, v28
	s_delay_alu instid0(VALU_DEP_1) | instskip(NEXT) | instid1(VALU_DEP_2)
	v_pk_fma_f32 v[6:7], v[2:3], v[152:153], v[6:7] op_sel_hi:[1,1,0] neg_lo:[0,0,1] neg_hi:[0,0,1]
	v_pk_fma_f32 v[2:3], v[2:3], v[152:153], v[32:33] op_sel:[1,0,0] op_sel_hi:[0,1,0]
	s_delay_alu instid0(VALU_DEP_1) | instskip(SKIP_1) | instid1(VALU_DEP_2)
	v_mov_b32_e32 v7, v3
	v_pk_mul_f32 v[2:3], v[4:5], v[30:31] op_sel:[0,1]
	v_pk_add_f32 v[190:191], v[190:191], v[6:7] neg_lo:[0,1] neg_hi:[0,1]
	s_delay_alu instid0(VALU_DEP_2) | instskip(SKIP_1) | instid1(VALU_DEP_1)
	v_pk_fma_f32 v[6:7], v[4:5], v[28:29], v[2:3] op_sel:[0,0,1] op_sel_hi:[1,1,0] neg_lo:[0,0,1] neg_hi:[0,0,1]
	v_pk_fma_f32 v[2:3], v[4:5], v[28:29], v[2:3] op_sel:[0,0,1] op_sel_hi:[1,0,0]
	v_mov_b32_e32 v7, v3
	ds_load_2addr_b64 v[2:5], v126 offset0:32 offset1:33
	v_pk_add_f32 v[192:193], v[192:193], v[6:7] neg_lo:[0,1] neg_hi:[0,1]
	s_wait_dscnt 0x0
	v_pk_mul_f32 v[6:7], v[2:3], v[30:31] op_sel:[0,1]
	s_delay_alu instid0(VALU_DEP_1) | instskip(SKIP_1) | instid1(VALU_DEP_1)
	v_pk_fma_f32 v[32:33], v[2:3], v[28:29], v[6:7] op_sel:[0,0,1] op_sel_hi:[1,1,0] neg_lo:[0,0,1] neg_hi:[0,0,1]
	v_pk_fma_f32 v[2:3], v[2:3], v[28:29], v[6:7] op_sel:[0,0,1] op_sel_hi:[1,0,0]
	v_mov_b32_e32 v33, v3
	v_pk_mul_f32 v[2:3], v[4:5], v[30:31] op_sel:[0,1]
	s_delay_alu instid0(VALU_DEP_2) | instskip(NEXT) | instid1(VALU_DEP_2)
	v_pk_add_f32 v[194:195], v[194:195], v[32:33] neg_lo:[0,1] neg_hi:[0,1]
	v_pk_fma_f32 v[6:7], v[4:5], v[28:29], v[2:3] op_sel:[0,0,1] op_sel_hi:[1,1,0] neg_lo:[0,0,1] neg_hi:[0,0,1]
	v_pk_fma_f32 v[2:3], v[4:5], v[28:29], v[2:3] op_sel:[0,0,1] op_sel_hi:[1,0,0]
	s_delay_alu instid0(VALU_DEP_1) | instskip(SKIP_4) | instid1(VALU_DEP_1)
	v_mov_b32_e32 v7, v3
	ds_load_2addr_b64 v[2:5], v126 offset0:34 offset1:35
	v_pk_add_f32 v[196:197], v[196:197], v[6:7] neg_lo:[0,1] neg_hi:[0,1]
	s_wait_dscnt 0x0
	v_pk_mul_f32 v[6:7], v[2:3], v[30:31] op_sel:[0,1]
	v_pk_fma_f32 v[32:33], v[2:3], v[28:29], v[6:7] op_sel:[0,0,1] op_sel_hi:[1,1,0] neg_lo:[0,0,1] neg_hi:[0,0,1]
	v_pk_fma_f32 v[2:3], v[2:3], v[28:29], v[6:7] op_sel:[0,0,1] op_sel_hi:[1,0,0]
	v_dual_mul_f32 v6, v5, v31 :: v_dual_mov_b32 v2, v5
	s_delay_alu instid0(VALU_DEP_2) | instskip(NEXT) | instid1(VALU_DEP_2)
	v_dual_mov_b32 v33, v3 :: v_dual_mov_b32 v3, v4
	v_pk_fma_f32 v[6:7], v[4:5], v[152:153], v[6:7] op_sel_hi:[1,1,0] neg_lo:[0,0,1] neg_hi:[0,0,1]
	v_mul_f32_e32 v4, v5, v28
	s_delay_alu instid0(VALU_DEP_3) | instskip(NEXT) | instid1(VALU_DEP_2)
	v_pk_add_f32 v[198:199], v[198:199], v[32:33] neg_lo:[0,1] neg_hi:[0,1]
	v_pk_fma_f32 v[2:3], v[2:3], v[152:153], v[4:5] op_sel_hi:[1,1,0]
	s_delay_alu instid0(VALU_DEP_1) | instskip(SKIP_4) | instid1(VALU_DEP_1)
	v_mov_b32_e32 v7, v3
	ds_load_2addr_b64 v[2:5], v126 offset0:36 offset1:37
	v_pk_add_f32 v[200:201], v[200:201], v[6:7] neg_lo:[0,1] neg_hi:[0,1]
	s_wait_dscnt 0x0
	v_pk_mul_f32 v[6:7], v[2:3], v[30:31] op_sel:[0,1]
	v_pk_fma_f32 v[32:33], v[2:3], v[28:29], v[6:7] op_sel:[0,0,1] op_sel_hi:[1,1,0] neg_lo:[0,0,1] neg_hi:[0,0,1]
	v_pk_fma_f32 v[2:3], v[2:3], v[28:29], v[6:7] op_sel:[0,0,1] op_sel_hi:[1,0,0]
	s_delay_alu instid0(VALU_DEP_1) | instskip(SKIP_1) | instid1(VALU_DEP_1)
	v_mov_b32_e32 v33, v3
	v_pk_mul_f32 v[2:3], v[4:5], v[30:31] op_sel:[0,1]
	v_pk_fma_f32 v[6:7], v[4:5], v[28:29], v[2:3] op_sel:[0,0,1] op_sel_hi:[1,1,0] neg_lo:[0,0,1] neg_hi:[0,0,1]
	v_pk_fma_f32 v[2:3], v[4:5], v[28:29], v[2:3] op_sel:[0,0,1] op_sel_hi:[1,0,0]
	s_delay_alu instid0(VALU_DEP_1)
	v_mov_b32_e32 v7, v3
	ds_load_2addr_b64 v[2:5], v126 offset0:38 offset1:39
	v_pk_add_f32 v[202:203], v[202:203], v[32:33] neg_lo:[0,1] neg_hi:[0,1]
	v_pk_add_f32 v[204:205], v[204:205], v[6:7] neg_lo:[0,1] neg_hi:[0,1]
	s_wait_dscnt 0x0
	v_pk_mul_f32 v[6:7], v[2:3], v[30:31] op_sel:[0,1]
	s_delay_alu instid0(VALU_DEP_1) | instskip(SKIP_1) | instid1(VALU_DEP_1)
	v_pk_fma_f32 v[32:33], v[2:3], v[28:29], v[6:7] op_sel:[0,0,1] op_sel_hi:[1,1,0] neg_lo:[0,0,1] neg_hi:[0,0,1]
	v_pk_fma_f32 v[2:3], v[2:3], v[28:29], v[6:7] op_sel:[0,0,1] op_sel_hi:[1,0,0]
	v_mov_b32_e32 v33, v3
	v_pk_mul_f32 v[2:3], v[4:5], v[30:31] op_sel:[0,1]
	s_delay_alu instid0(VALU_DEP_1) | instskip(SKIP_1) | instid1(VALU_DEP_1)
	v_pk_fma_f32 v[6:7], v[4:5], v[28:29], v[2:3] op_sel:[0,0,1] op_sel_hi:[1,1,0] neg_lo:[0,0,1] neg_hi:[0,0,1]
	v_pk_fma_f32 v[2:3], v[4:5], v[28:29], v[2:3] op_sel:[0,0,1] op_sel_hi:[1,0,0]
	v_mov_b32_e32 v7, v3
	ds_load_2addr_b64 v[2:5], v126 offset0:40 offset1:41
	v_pk_add_f32 v[206:207], v[206:207], v[32:33] neg_lo:[0,1] neg_hi:[0,1]
	v_pk_add_f32 v[208:209], v[208:209], v[6:7] neg_lo:[0,1] neg_hi:[0,1]
	s_wait_dscnt 0x0
	v_dual_mul_f32 v6, v3, v31 :: v_dual_mul_f32 v32, v3, v28
	s_delay_alu instid0(VALU_DEP_1) | instskip(NEXT) | instid1(VALU_DEP_2)
	v_pk_fma_f32 v[6:7], v[2:3], v[152:153], v[6:7] op_sel_hi:[1,1,0] neg_lo:[0,0,1] neg_hi:[0,0,1]
	v_pk_fma_f32 v[2:3], v[2:3], v[152:153], v[32:33] op_sel:[1,0,0] op_sel_hi:[0,1,0]
	s_delay_alu instid0(VALU_DEP_1) | instskip(SKIP_1) | instid1(VALU_DEP_2)
	v_mov_b32_e32 v7, v3
	v_pk_mul_f32 v[2:3], v[4:5], v[30:31] op_sel:[0,1]
	v_pk_add_f32 v[210:211], v[210:211], v[6:7] neg_lo:[0,1] neg_hi:[0,1]
	s_delay_alu instid0(VALU_DEP_2) | instskip(SKIP_1) | instid1(VALU_DEP_1)
	v_pk_fma_f32 v[6:7], v[4:5], v[28:29], v[2:3] op_sel:[0,0,1] op_sel_hi:[1,1,0] neg_lo:[0,0,1] neg_hi:[0,0,1]
	v_pk_fma_f32 v[2:3], v[4:5], v[28:29], v[2:3] op_sel:[0,0,1] op_sel_hi:[1,0,0]
	v_mov_b32_e32 v7, v3
	ds_load_2addr_b64 v[2:5], v126 offset0:42 offset1:43
	v_pk_add_f32 v[212:213], v[212:213], v[6:7] neg_lo:[0,1] neg_hi:[0,1]
	s_wait_dscnt 0x0
	v_pk_mul_f32 v[6:7], v[2:3], v[30:31] op_sel:[0,1]
	s_delay_alu instid0(VALU_DEP_1) | instskip(SKIP_1) | instid1(VALU_DEP_1)
	v_pk_fma_f32 v[32:33], v[2:3], v[28:29], v[6:7] op_sel:[0,0,1] op_sel_hi:[1,1,0] neg_lo:[0,0,1] neg_hi:[0,0,1]
	v_pk_fma_f32 v[2:3], v[2:3], v[28:29], v[6:7] op_sel:[0,0,1] op_sel_hi:[1,0,0]
	v_mov_b32_e32 v33, v3
	v_pk_mul_f32 v[2:3], v[4:5], v[30:31] op_sel:[0,1]
	s_delay_alu instid0(VALU_DEP_2) | instskip(NEXT) | instid1(VALU_DEP_2)
	v_pk_add_f32 v[214:215], v[214:215], v[32:33] neg_lo:[0,1] neg_hi:[0,1]
	v_pk_fma_f32 v[6:7], v[4:5], v[28:29], v[2:3] op_sel:[0,0,1] op_sel_hi:[1,1,0] neg_lo:[0,0,1] neg_hi:[0,0,1]
	v_pk_fma_f32 v[2:3], v[4:5], v[28:29], v[2:3] op_sel:[0,0,1] op_sel_hi:[1,0,0]
	s_delay_alu instid0(VALU_DEP_1) | instskip(SKIP_4) | instid1(VALU_DEP_1)
	v_mov_b32_e32 v7, v3
	ds_load_2addr_b64 v[2:5], v126 offset0:44 offset1:45
	v_pk_add_f32 v[216:217], v[216:217], v[6:7] neg_lo:[0,1] neg_hi:[0,1]
	s_wait_dscnt 0x0
	v_pk_mul_f32 v[6:7], v[2:3], v[30:31] op_sel:[0,1]
	v_pk_fma_f32 v[32:33], v[2:3], v[28:29], v[6:7] op_sel:[0,0,1] op_sel_hi:[1,1,0] neg_lo:[0,0,1] neg_hi:[0,0,1]
	v_pk_fma_f32 v[2:3], v[2:3], v[28:29], v[6:7] op_sel:[0,0,1] op_sel_hi:[1,0,0]
	v_dual_mul_f32 v6, v5, v31 :: v_dual_mov_b32 v2, v5
	s_delay_alu instid0(VALU_DEP_2) | instskip(NEXT) | instid1(VALU_DEP_2)
	v_dual_mov_b32 v33, v3 :: v_dual_mov_b32 v3, v4
	v_pk_fma_f32 v[6:7], v[4:5], v[152:153], v[6:7] op_sel_hi:[1,1,0] neg_lo:[0,0,1] neg_hi:[0,0,1]
	v_mul_f32_e32 v4, v5, v28
	s_delay_alu instid0(VALU_DEP_3) | instskip(NEXT) | instid1(VALU_DEP_2)
	v_pk_add_f32 v[218:219], v[218:219], v[32:33] neg_lo:[0,1] neg_hi:[0,1]
	v_pk_fma_f32 v[2:3], v[2:3], v[152:153], v[4:5] op_sel_hi:[1,1,0]
	s_delay_alu instid0(VALU_DEP_1) | instskip(SKIP_4) | instid1(VALU_DEP_1)
	v_mov_b32_e32 v7, v3
	ds_load_2addr_b64 v[2:5], v126 offset0:46 offset1:47
	v_pk_add_f32 v[220:221], v[220:221], v[6:7] neg_lo:[0,1] neg_hi:[0,1]
	s_wait_dscnt 0x0
	v_pk_mul_f32 v[6:7], v[2:3], v[30:31] op_sel:[0,1]
	v_pk_fma_f32 v[32:33], v[2:3], v[28:29], v[6:7] op_sel:[0,0,1] op_sel_hi:[1,1,0] neg_lo:[0,0,1] neg_hi:[0,0,1]
	v_pk_fma_f32 v[2:3], v[2:3], v[28:29], v[6:7] op_sel:[0,0,1] op_sel_hi:[1,0,0]
	s_delay_alu instid0(VALU_DEP_1) | instskip(SKIP_1) | instid1(VALU_DEP_1)
	v_mov_b32_e32 v33, v3
	v_pk_mul_f32 v[2:3], v[4:5], v[30:31] op_sel:[0,1]
	v_pk_fma_f32 v[6:7], v[4:5], v[28:29], v[2:3] op_sel:[0,0,1] op_sel_hi:[1,1,0] neg_lo:[0,0,1] neg_hi:[0,0,1]
	v_pk_fma_f32 v[2:3], v[4:5], v[28:29], v[2:3] op_sel:[0,0,1] op_sel_hi:[1,0,0]
	s_delay_alu instid0(VALU_DEP_1)
	v_mov_b32_e32 v7, v3
	ds_load_2addr_b64 v[2:5], v126 offset0:48 offset1:49
	v_pk_add_f32 v[222:223], v[222:223], v[32:33] neg_lo:[0,1] neg_hi:[0,1]
	v_pk_add_f32 v[224:225], v[224:225], v[6:7] neg_lo:[0,1] neg_hi:[0,1]
	s_wait_dscnt 0x0
	v_pk_mul_f32 v[6:7], v[2:3], v[30:31] op_sel:[0,1]
	s_delay_alu instid0(VALU_DEP_1) | instskip(SKIP_1) | instid1(VALU_DEP_1)
	v_pk_fma_f32 v[32:33], v[2:3], v[28:29], v[6:7] op_sel:[0,0,1] op_sel_hi:[1,1,0] neg_lo:[0,0,1] neg_hi:[0,0,1]
	v_pk_fma_f32 v[2:3], v[2:3], v[28:29], v[6:7] op_sel:[0,0,1] op_sel_hi:[1,0,0]
	v_mov_b32_e32 v33, v3
	v_pk_mul_f32 v[2:3], v[4:5], v[30:31] op_sel:[0,1]
	s_delay_alu instid0(VALU_DEP_1) | instskip(SKIP_1) | instid1(VALU_DEP_1)
	v_pk_fma_f32 v[6:7], v[4:5], v[28:29], v[2:3] op_sel:[0,0,1] op_sel_hi:[1,1,0] neg_lo:[0,0,1] neg_hi:[0,0,1]
	v_pk_fma_f32 v[2:3], v[4:5], v[28:29], v[2:3] op_sel:[0,0,1] op_sel_hi:[1,0,0]
	v_mov_b32_e32 v7, v3
	ds_load_2addr_b64 v[2:5], v126 offset0:50 offset1:51
	v_pk_add_f32 v[226:227], v[226:227], v[32:33] neg_lo:[0,1] neg_hi:[0,1]
	v_pk_add_f32 v[228:229], v[228:229], v[6:7] neg_lo:[0,1] neg_hi:[0,1]
	s_wait_dscnt 0x0
	v_dual_mul_f32 v6, v3, v31 :: v_dual_mul_f32 v32, v3, v28
	s_delay_alu instid0(VALU_DEP_1) | instskip(NEXT) | instid1(VALU_DEP_2)
	v_pk_fma_f32 v[6:7], v[2:3], v[152:153], v[6:7] op_sel_hi:[1,1,0] neg_lo:[0,0,1] neg_hi:[0,0,1]
	v_pk_fma_f32 v[2:3], v[2:3], v[152:153], v[32:33] op_sel:[1,0,0] op_sel_hi:[0,1,0]
	s_delay_alu instid0(VALU_DEP_1) | instskip(SKIP_1) | instid1(VALU_DEP_2)
	v_mov_b32_e32 v7, v3
	v_pk_mul_f32 v[2:3], v[4:5], v[30:31] op_sel:[0,1]
	v_pk_add_f32 v[230:231], v[230:231], v[6:7] neg_lo:[0,1] neg_hi:[0,1]
	s_delay_alu instid0(VALU_DEP_2) | instskip(SKIP_1) | instid1(VALU_DEP_1)
	v_pk_fma_f32 v[6:7], v[4:5], v[28:29], v[2:3] op_sel:[0,0,1] op_sel_hi:[1,1,0] neg_lo:[0,0,1] neg_hi:[0,0,1]
	v_pk_fma_f32 v[2:3], v[4:5], v[28:29], v[2:3] op_sel:[0,0,1] op_sel_hi:[1,0,0]
	v_mov_b32_e32 v7, v3
	ds_load_2addr_b64 v[2:5], v126 offset0:52 offset1:53
	v_pk_add_f32 v[232:233], v[232:233], v[6:7] neg_lo:[0,1] neg_hi:[0,1]
	s_wait_dscnt 0x0
	v_pk_mul_f32 v[6:7], v[2:3], v[30:31] op_sel:[0,1]
	s_delay_alu instid0(VALU_DEP_1) | instskip(SKIP_1) | instid1(VALU_DEP_1)
	v_pk_fma_f32 v[32:33], v[2:3], v[28:29], v[6:7] op_sel:[0,0,1] op_sel_hi:[1,1,0] neg_lo:[0,0,1] neg_hi:[0,0,1]
	v_pk_fma_f32 v[2:3], v[2:3], v[28:29], v[6:7] op_sel:[0,0,1] op_sel_hi:[1,0,0]
	v_mov_b32_e32 v33, v3
	v_pk_mul_f32 v[2:3], v[4:5], v[30:31] op_sel:[0,1]
	s_delay_alu instid0(VALU_DEP_2) | instskip(NEXT) | instid1(VALU_DEP_2)
	v_pk_add_f32 v[234:235], v[234:235], v[32:33] neg_lo:[0,1] neg_hi:[0,1]
	v_pk_fma_f32 v[6:7], v[4:5], v[28:29], v[2:3] op_sel:[0,0,1] op_sel_hi:[1,1,0] neg_lo:[0,0,1] neg_hi:[0,0,1]
	v_pk_fma_f32 v[2:3], v[4:5], v[28:29], v[2:3] op_sel:[0,0,1] op_sel_hi:[1,0,0]
	s_delay_alu instid0(VALU_DEP_1) | instskip(SKIP_4) | instid1(VALU_DEP_1)
	v_mov_b32_e32 v7, v3
	ds_load_2addr_b64 v[2:5], v126 offset0:54 offset1:55
	v_pk_add_f32 v[236:237], v[236:237], v[6:7] neg_lo:[0,1] neg_hi:[0,1]
	s_wait_dscnt 0x0
	v_pk_mul_f32 v[6:7], v[2:3], v[30:31] op_sel:[0,1]
	v_pk_fma_f32 v[32:33], v[2:3], v[28:29], v[6:7] op_sel:[0,0,1] op_sel_hi:[1,1,0] neg_lo:[0,0,1] neg_hi:[0,0,1]
	v_pk_fma_f32 v[2:3], v[2:3], v[28:29], v[6:7] op_sel:[0,0,1] op_sel_hi:[1,0,0]
	v_dual_mul_f32 v6, v5, v31 :: v_dual_mov_b32 v2, v5
	s_delay_alu instid0(VALU_DEP_2) | instskip(NEXT) | instid1(VALU_DEP_2)
	v_dual_mov_b32 v33, v3 :: v_dual_mov_b32 v3, v4
	v_pk_fma_f32 v[6:7], v[4:5], v[152:153], v[6:7] op_sel_hi:[1,1,0] neg_lo:[0,0,1] neg_hi:[0,0,1]
	v_mul_f32_e32 v4, v5, v28
	s_delay_alu instid0(VALU_DEP_3) | instskip(NEXT) | instid1(VALU_DEP_2)
	v_pk_add_f32 v[238:239], v[238:239], v[32:33] neg_lo:[0,1] neg_hi:[0,1]
	v_pk_fma_f32 v[2:3], v[2:3], v[152:153], v[4:5] op_sel_hi:[1,1,0]
	s_delay_alu instid0(VALU_DEP_1) | instskip(SKIP_4) | instid1(VALU_DEP_1)
	v_mov_b32_e32 v7, v3
	ds_load_2addr_b64 v[2:5], v126 offset0:56 offset1:57
	v_pk_add_f32 v[240:241], v[240:241], v[6:7] neg_lo:[0,1] neg_hi:[0,1]
	s_wait_dscnt 0x0
	v_pk_mul_f32 v[6:7], v[2:3], v[30:31] op_sel:[0,1]
	v_pk_fma_f32 v[32:33], v[2:3], v[28:29], v[6:7] op_sel:[0,0,1] op_sel_hi:[1,1,0] neg_lo:[0,0,1] neg_hi:[0,0,1]
	v_pk_fma_f32 v[2:3], v[2:3], v[28:29], v[6:7] op_sel:[0,0,1] op_sel_hi:[1,0,0]
	s_delay_alu instid0(VALU_DEP_1) | instskip(SKIP_1) | instid1(VALU_DEP_1)
	v_mov_b32_e32 v33, v3
	v_pk_mul_f32 v[2:3], v[4:5], v[30:31] op_sel:[0,1]
	v_pk_fma_f32 v[6:7], v[4:5], v[28:29], v[2:3] op_sel:[0,0,1] op_sel_hi:[1,1,0] neg_lo:[0,0,1] neg_hi:[0,0,1]
	v_pk_fma_f32 v[2:3], v[4:5], v[28:29], v[2:3] op_sel:[0,0,1] op_sel_hi:[1,0,0]
	s_delay_alu instid0(VALU_DEP_1)
	v_mov_b32_e32 v7, v3
	ds_load_2addr_b64 v[2:5], v126 offset0:58 offset1:59
	v_pk_add_f32 v[252:253], v[252:253], v[32:33] neg_lo:[0,1] neg_hi:[0,1]
	v_pk_add_f32 v[246:247], v[246:247], v[6:7] neg_lo:[0,1] neg_hi:[0,1]
	s_wait_dscnt 0x0
	v_pk_mul_f32 v[6:7], v[2:3], v[30:31] op_sel:[0,1]
	s_delay_alu instid0(VALU_DEP_1) | instskip(SKIP_1) | instid1(VALU_DEP_1)
	v_pk_fma_f32 v[32:33], v[2:3], v[28:29], v[6:7] op_sel:[0,0,1] op_sel_hi:[1,1,0] neg_lo:[0,0,1] neg_hi:[0,0,1]
	v_pk_fma_f32 v[2:3], v[2:3], v[28:29], v[6:7] op_sel:[0,0,1] op_sel_hi:[1,0,0]
	v_mov_b32_e32 v33, v3
	v_pk_mul_f32 v[2:3], v[4:5], v[30:31] op_sel:[0,1]
	s_delay_alu instid0(VALU_DEP_1) | instskip(SKIP_1) | instid1(VALU_DEP_1)
	v_pk_fma_f32 v[6:7], v[4:5], v[28:29], v[2:3] op_sel:[0,0,1] op_sel_hi:[1,1,0] neg_lo:[0,0,1] neg_hi:[0,0,1]
	v_pk_fma_f32 v[2:3], v[4:5], v[28:29], v[2:3] op_sel:[0,0,1] op_sel_hi:[1,0,0]
	v_mov_b32_e32 v7, v3
	ds_load_2addr_b64 v[2:5], v126 offset0:60 offset1:61
	v_pk_add_f32 v[250:251], v[250:251], v[32:33] neg_lo:[0,1] neg_hi:[0,1]
	v_pk_add_f32 v[244:245], v[244:245], v[6:7] neg_lo:[0,1] neg_hi:[0,1]
	s_wait_dscnt 0x0
	v_dual_mul_f32 v6, v3, v31 :: v_dual_mul_f32 v32, v3, v28
	s_delay_alu instid0(VALU_DEP_1) | instskip(NEXT) | instid1(VALU_DEP_2)
	v_pk_fma_f32 v[6:7], v[2:3], v[152:153], v[6:7] op_sel_hi:[1,1,0] neg_lo:[0,0,1] neg_hi:[0,0,1]
	v_pk_fma_f32 v[2:3], v[2:3], v[152:153], v[32:33] op_sel:[1,0,0] op_sel_hi:[0,1,0]
	s_delay_alu instid0(VALU_DEP_1) | instskip(SKIP_1) | instid1(VALU_DEP_2)
	v_mov_b32_e32 v7, v3
	v_pk_mul_f32 v[2:3], v[4:5], v[30:31] op_sel:[0,1]
	v_pk_add_f32 v[248:249], v[248:249], v[6:7] neg_lo:[0,1] neg_hi:[0,1]
	s_delay_alu instid0(VALU_DEP_2) | instskip(SKIP_1) | instid1(VALU_DEP_1)
	v_pk_fma_f32 v[6:7], v[4:5], v[28:29], v[2:3] op_sel:[0,0,1] op_sel_hi:[1,1,0] neg_lo:[0,0,1] neg_hi:[0,0,1]
	v_pk_fma_f32 v[2:3], v[4:5], v[28:29], v[2:3] op_sel:[0,0,1] op_sel_hi:[1,0,0]
	v_mov_b32_e32 v7, v3
	ds_load_2addr_b64 v[2:5], v126 offset0:62 offset1:63
	v_pk_add_f32 v[242:243], v[242:243], v[6:7] neg_lo:[0,1] neg_hi:[0,1]
	s_wait_dscnt 0x0
	v_pk_mul_f32 v[6:7], v[2:3], v[30:31] op_sel:[0,1]
	s_delay_alu instid0(VALU_DEP_1) | instskip(SKIP_1) | instid1(VALU_DEP_1)
	v_pk_fma_f32 v[32:33], v[2:3], v[28:29], v[6:7] op_sel:[0,0,1] op_sel_hi:[1,1,0] neg_lo:[0,0,1] neg_hi:[0,0,1]
	v_pk_fma_f32 v[2:3], v[2:3], v[28:29], v[6:7] op_sel:[0,0,1] op_sel_hi:[1,0,0]
	v_mov_b32_e32 v33, v3
	v_pk_mul_f32 v[2:3], v[4:5], v[30:31] op_sel:[0,1]
	s_delay_alu instid0(VALU_DEP_2) | instskip(NEXT) | instid1(VALU_DEP_2)
	v_pk_add_f32 v[254:255], v[254:255], v[32:33] neg_lo:[0,1] neg_hi:[0,1]
	v_pk_fma_f32 v[6:7], v[4:5], v[28:29], v[2:3] op_sel:[0,0,1] op_sel_hi:[1,1,0] neg_lo:[0,0,1] neg_hi:[0,0,1]
	v_pk_fma_f32 v[2:3], v[4:5], v[28:29], v[2:3] op_sel:[0,0,1] op_sel_hi:[1,0,0]
	s_delay_alu instid0(VALU_DEP_1) | instskip(NEXT) | instid1(VALU_DEP_1)
	v_mov_b32_e32 v7, v3
	v_pk_add_f32 v[0:1], v[0:1], v[6:7] neg_lo:[0,1] neg_hi:[0,1]
.LBB127_109:
	s_or_b32 exec_lo, exec_lo, s1
	s_delay_alu instid0(SALU_CYCLE_1)
	s_mov_b32 s2, exec_lo
	s_wait_dscnt 0x0
	s_barrier_signal -1
	s_barrier_wait -1
	v_cmpx_eq_u32_e32 12, v18
	s_cbranch_execz .LBB127_116
; %bb.110:
	ds_store_b64 v19, v[154:155]
	ds_store_2addr_b64 v126, v[156:157], v[158:159] offset0:13 offset1:14
	ds_store_2addr_b64 v126, v[160:161], v[162:163] offset0:15 offset1:16
	;; [unrolled: 1-line block ×25, first 2 shown]
	ds_store_b64 v126, v[0:1] offset:504
	ds_load_b64 v[2:3], v19
	s_wait_dscnt 0x0
	v_cmp_neq_f32_e32 vcc_lo, 0, v2
	v_cmp_neq_f32_e64 s1, 0, v3
	s_or_b32 s1, vcc_lo, s1
	s_delay_alu instid0(SALU_CYCLE_1)
	s_and_b32 exec_lo, exec_lo, s1
	s_cbranch_execz .LBB127_116
; %bb.111:
	v_cmp_ngt_f32_e64 s1, |v2|, |v3|
                                        ; implicit-def: $vgpr4_vgpr5
	s_and_saveexec_b32 s4, s1
	s_delay_alu instid0(SALU_CYCLE_1)
	s_xor_b32 s1, exec_lo, s4
	s_cbranch_execz .LBB127_113
; %bb.112:
	v_div_scale_f32 v4, null, v3, v3, v2
	v_div_scale_f32 v7, vcc_lo, v2, v3, v2
	s_delay_alu instid0(VALU_DEP_2) | instskip(SKIP_1) | instid1(TRANS32_DEP_1)
	v_rcp_f32_e32 v5, v4
	v_nop
	v_fma_f32 v6, -v4, v5, 1.0
	s_delay_alu instid0(VALU_DEP_1) | instskip(NEXT) | instid1(VALU_DEP_1)
	v_fmac_f32_e32 v5, v6, v5
	v_mul_f32_e32 v6, v7, v5
	s_delay_alu instid0(VALU_DEP_1) | instskip(NEXT) | instid1(VALU_DEP_1)
	v_fma_f32 v8, -v4, v6, v7
	v_fmac_f32_e32 v6, v8, v5
	s_delay_alu instid0(VALU_DEP_1) | instskip(NEXT) | instid1(VALU_DEP_1)
	v_fma_f32 v4, -v4, v6, v7
	v_div_fmas_f32 v4, v4, v5, v6
	s_delay_alu instid0(VALU_DEP_1) | instskip(NEXT) | instid1(VALU_DEP_1)
	v_div_fixup_f32 v4, v4, v3, v2
	v_fmac_f32_e32 v3, v2, v4
	s_delay_alu instid0(VALU_DEP_1) | instskip(SKIP_1) | instid1(VALU_DEP_2)
	v_div_scale_f32 v2, null, v3, v3, 1.0
	v_div_scale_f32 v7, vcc_lo, 1.0, v3, 1.0
	v_rcp_f32_e32 v5, v2
	v_nop
	s_delay_alu instid0(TRANS32_DEP_1) | instskip(NEXT) | instid1(VALU_DEP_1)
	v_fma_f32 v6, -v2, v5, 1.0
	v_fmac_f32_e32 v5, v6, v5
	s_delay_alu instid0(VALU_DEP_1) | instskip(NEXT) | instid1(VALU_DEP_1)
	v_mul_f32_e32 v6, v7, v5
	v_fma_f32 v8, -v2, v6, v7
	s_delay_alu instid0(VALU_DEP_1) | instskip(NEXT) | instid1(VALU_DEP_1)
	v_fmac_f32_e32 v6, v8, v5
	v_fma_f32 v2, -v2, v6, v7
	s_delay_alu instid0(VALU_DEP_1) | instskip(NEXT) | instid1(VALU_DEP_1)
	v_div_fmas_f32 v2, v2, v5, v6
	v_div_fixup_f32 v2, v2, v3, 1.0
	s_delay_alu instid0(VALU_DEP_1)
	v_mul_f32_e32 v4, v4, v2
	v_xor_b32_e32 v5, 0x80000000, v2
                                        ; implicit-def: $vgpr2_vgpr3
.LBB127_113:
	s_and_not1_saveexec_b32 s1, s1
	s_cbranch_execz .LBB127_115
; %bb.114:
	v_div_scale_f32 v4, null, v2, v2, v3
	v_div_scale_f32 v7, vcc_lo, v3, v2, v3
	s_delay_alu instid0(VALU_DEP_2) | instskip(SKIP_1) | instid1(TRANS32_DEP_1)
	v_rcp_f32_e32 v5, v4
	v_nop
	v_fma_f32 v6, -v4, v5, 1.0
	s_delay_alu instid0(VALU_DEP_1) | instskip(NEXT) | instid1(VALU_DEP_1)
	v_fmac_f32_e32 v5, v6, v5
	v_mul_f32_e32 v6, v7, v5
	s_delay_alu instid0(VALU_DEP_1) | instskip(NEXT) | instid1(VALU_DEP_1)
	v_fma_f32 v8, -v4, v6, v7
	v_fmac_f32_e32 v6, v8, v5
	s_delay_alu instid0(VALU_DEP_1) | instskip(NEXT) | instid1(VALU_DEP_1)
	v_fma_f32 v4, -v4, v6, v7
	v_div_fmas_f32 v4, v4, v5, v6
	s_delay_alu instid0(VALU_DEP_1) | instskip(NEXT) | instid1(VALU_DEP_1)
	v_div_fixup_f32 v5, v4, v2, v3
	v_fmac_f32_e32 v2, v3, v5
	s_delay_alu instid0(VALU_DEP_1) | instskip(NEXT) | instid1(VALU_DEP_1)
	v_div_scale_f32 v3, null, v2, v2, 1.0
	v_rcp_f32_e32 v4, v3
	v_nop
	s_delay_alu instid0(TRANS32_DEP_1) | instskip(NEXT) | instid1(VALU_DEP_1)
	v_fma_f32 v6, -v3, v4, 1.0
	v_fmac_f32_e32 v4, v6, v4
	v_div_scale_f32 v6, vcc_lo, 1.0, v2, 1.0
	s_delay_alu instid0(VALU_DEP_1) | instskip(NEXT) | instid1(VALU_DEP_1)
	v_mul_f32_e32 v7, v6, v4
	v_fma_f32 v8, -v3, v7, v6
	s_delay_alu instid0(VALU_DEP_1) | instskip(NEXT) | instid1(VALU_DEP_1)
	v_fmac_f32_e32 v7, v8, v4
	v_fma_f32 v3, -v3, v7, v6
	s_delay_alu instid0(VALU_DEP_1) | instskip(NEXT) | instid1(VALU_DEP_1)
	v_div_fmas_f32 v3, v3, v4, v7
	v_div_fixup_f32 v4, v3, v2, 1.0
	s_delay_alu instid0(VALU_DEP_1)
	v_mul_f32_e64 v5, v5, -v4
.LBB127_115:
	s_or_b32 exec_lo, exec_lo, s1
	ds_store_b64 v19, v[4:5]
.LBB127_116:
	s_or_b32 exec_lo, exec_lo, s2
	s_wait_dscnt 0x0
	s_barrier_signal -1
	s_barrier_wait -1
	ds_load_b64 v[28:29], v19
	s_mov_b32 s1, exec_lo
	v_cmpx_lt_u32_e32 12, v18
	s_cbranch_execz .LBB127_118
; %bb.117:
	s_wait_dscnt 0x0
	v_pk_mul_f32 v[2:3], v[28:29], v[154:155] op_sel:[1,1] op_sel_hi:[0,1]
	s_delay_alu instid0(VALU_DEP_1)
	v_pk_fma_f32 v[30:31], v[28:29], v[154:155], v[2:3] op_sel_hi:[1,0,1] neg_lo:[0,0,1] neg_hi:[0,0,1]
	v_pk_fma_f32 v[32:33], v[28:29], v[154:155], v[2:3] op_sel_hi:[1,0,1]
	ds_load_2addr_b64 v[2:5], v126 offset0:13 offset1:14
	v_dual_mov_b32 v154, v30 :: v_dual_mov_b32 v155, v33
	s_wait_dscnt 0x0
	v_pk_mul_f32 v[6:7], v[2:3], v[32:33] op_sel:[0,1]
	s_delay_alu instid0(VALU_DEP_1) | instskip(SKIP_1) | instid1(VALU_DEP_1)
	v_pk_fma_f32 v[34:35], v[2:3], v[30:31], v[6:7] op_sel:[0,0,1] op_sel_hi:[1,1,0] neg_lo:[0,0,1] neg_hi:[0,0,1]
	v_pk_fma_f32 v[2:3], v[2:3], v[30:31], v[6:7] op_sel:[0,0,1] op_sel_hi:[1,0,0]
	v_mov_b32_e32 v35, v3
	v_pk_mul_f32 v[2:3], v[4:5], v[32:33] op_sel:[0,1]
	s_delay_alu instid0(VALU_DEP_1) | instskip(SKIP_1) | instid1(VALU_DEP_1)
	v_pk_fma_f32 v[6:7], v[4:5], v[30:31], v[2:3] op_sel:[0,0,1] op_sel_hi:[1,1,0] neg_lo:[0,0,1] neg_hi:[0,0,1]
	v_pk_fma_f32 v[2:3], v[4:5], v[30:31], v[2:3] op_sel:[0,0,1] op_sel_hi:[1,0,0]
	v_mov_b32_e32 v7, v3
	ds_load_2addr_b64 v[2:5], v126 offset0:15 offset1:16
	v_pk_add_f32 v[156:157], v[156:157], v[34:35] neg_lo:[0,1] neg_hi:[0,1]
	v_pk_add_f32 v[158:159], v[158:159], v[6:7] neg_lo:[0,1] neg_hi:[0,1]
	s_wait_dscnt 0x0
	v_pk_mul_f32 v[6:7], v[2:3], v[32:33] op_sel:[0,1]
	s_delay_alu instid0(VALU_DEP_1) | instskip(SKIP_2) | instid1(VALU_DEP_2)
	v_pk_fma_f32 v[34:35], v[2:3], v[30:31], v[6:7] op_sel:[0,0,1] op_sel_hi:[1,1,0] neg_lo:[0,0,1] neg_hi:[0,0,1]
	v_pk_fma_f32 v[2:3], v[2:3], v[30:31], v[6:7] op_sel:[0,0,1] op_sel_hi:[1,0,0]
	v_dual_mul_f32 v6, v5, v33 :: v_dual_mov_b32 v2, v5
	v_dual_mov_b32 v35, v3 :: v_dual_mov_b32 v3, v4
	s_delay_alu instid0(VALU_DEP_2) | instskip(SKIP_1) | instid1(VALU_DEP_3)
	v_pk_fma_f32 v[6:7], v[4:5], v[154:155], v[6:7] op_sel_hi:[1,1,0] neg_lo:[0,0,1] neg_hi:[0,0,1]
	v_mul_f32_e32 v4, v5, v30
	v_pk_add_f32 v[160:161], v[160:161], v[34:35] neg_lo:[0,1] neg_hi:[0,1]
	s_delay_alu instid0(VALU_DEP_2) | instskip(NEXT) | instid1(VALU_DEP_1)
	v_pk_fma_f32 v[2:3], v[2:3], v[154:155], v[4:5] op_sel_hi:[1,1,0]
	v_mov_b32_e32 v7, v3
	ds_load_2addr_b64 v[2:5], v126 offset0:17 offset1:18
	v_pk_add_f32 v[162:163], v[162:163], v[6:7] neg_lo:[0,1] neg_hi:[0,1]
	s_wait_dscnt 0x0
	v_pk_mul_f32 v[6:7], v[2:3], v[32:33] op_sel:[0,1]
	s_delay_alu instid0(VALU_DEP_1) | instskip(SKIP_1) | instid1(VALU_DEP_1)
	v_pk_fma_f32 v[34:35], v[2:3], v[30:31], v[6:7] op_sel:[0,0,1] op_sel_hi:[1,1,0] neg_lo:[0,0,1] neg_hi:[0,0,1]
	v_pk_fma_f32 v[2:3], v[2:3], v[30:31], v[6:7] op_sel:[0,0,1] op_sel_hi:[1,0,0]
	v_mov_b32_e32 v35, v3
	v_pk_mul_f32 v[2:3], v[4:5], v[32:33] op_sel:[0,1]
	s_delay_alu instid0(VALU_DEP_1) | instskip(SKIP_1) | instid1(VALU_DEP_1)
	v_pk_fma_f32 v[6:7], v[4:5], v[30:31], v[2:3] op_sel:[0,0,1] op_sel_hi:[1,1,0] neg_lo:[0,0,1] neg_hi:[0,0,1]
	v_pk_fma_f32 v[2:3], v[4:5], v[30:31], v[2:3] op_sel:[0,0,1] op_sel_hi:[1,0,0]
	v_mov_b32_e32 v7, v3
	ds_load_2addr_b64 v[2:5], v126 offset0:19 offset1:20
	v_pk_add_f32 v[164:165], v[164:165], v[34:35] neg_lo:[0,1] neg_hi:[0,1]
	v_pk_add_f32 v[166:167], v[166:167], v[6:7] neg_lo:[0,1] neg_hi:[0,1]
	s_wait_dscnt 0x0
	v_pk_mul_f32 v[6:7], v[2:3], v[32:33] op_sel:[0,1]
	s_delay_alu instid0(VALU_DEP_1) | instskip(SKIP_1) | instid1(VALU_DEP_1)
	v_pk_fma_f32 v[34:35], v[2:3], v[30:31], v[6:7] op_sel:[0,0,1] op_sel_hi:[1,1,0] neg_lo:[0,0,1] neg_hi:[0,0,1]
	v_pk_fma_f32 v[2:3], v[2:3], v[30:31], v[6:7] op_sel:[0,0,1] op_sel_hi:[1,0,0]
	v_mov_b32_e32 v35, v3
	v_pk_mul_f32 v[2:3], v[4:5], v[32:33] op_sel:[0,1]
	s_delay_alu instid0(VALU_DEP_1) | instskip(SKIP_1) | instid1(VALU_DEP_1)
	v_pk_fma_f32 v[6:7], v[4:5], v[30:31], v[2:3] op_sel:[0,0,1] op_sel_hi:[1,1,0] neg_lo:[0,0,1] neg_hi:[0,0,1]
	v_pk_fma_f32 v[2:3], v[4:5], v[30:31], v[2:3] op_sel:[0,0,1] op_sel_hi:[1,0,0]
	v_mov_b32_e32 v7, v3
	ds_load_2addr_b64 v[2:5], v126 offset0:21 offset1:22
	v_pk_add_f32 v[168:169], v[168:169], v[34:35] neg_lo:[0,1] neg_hi:[0,1]
	v_pk_add_f32 v[170:171], v[170:171], v[6:7] neg_lo:[0,1] neg_hi:[0,1]
	s_wait_dscnt 0x0
	v_dual_mul_f32 v6, v3, v33 :: v_dual_mul_f32 v34, v3, v30
	s_delay_alu instid0(VALU_DEP_1) | instskip(NEXT) | instid1(VALU_DEP_2)
	v_pk_fma_f32 v[6:7], v[2:3], v[154:155], v[6:7] op_sel_hi:[1,1,0] neg_lo:[0,0,1] neg_hi:[0,0,1]
	v_pk_fma_f32 v[2:3], v[2:3], v[154:155], v[34:35] op_sel:[1,0,0] op_sel_hi:[0,1,0]
	s_delay_alu instid0(VALU_DEP_1) | instskip(SKIP_1) | instid1(VALU_DEP_2)
	v_mov_b32_e32 v7, v3
	v_pk_mul_f32 v[2:3], v[4:5], v[32:33] op_sel:[0,1]
	v_pk_add_f32 v[172:173], v[172:173], v[6:7] neg_lo:[0,1] neg_hi:[0,1]
	s_delay_alu instid0(VALU_DEP_2) | instskip(SKIP_1) | instid1(VALU_DEP_1)
	v_pk_fma_f32 v[6:7], v[4:5], v[30:31], v[2:3] op_sel:[0,0,1] op_sel_hi:[1,1,0] neg_lo:[0,0,1] neg_hi:[0,0,1]
	v_pk_fma_f32 v[2:3], v[4:5], v[30:31], v[2:3] op_sel:[0,0,1] op_sel_hi:[1,0,0]
	v_mov_b32_e32 v7, v3
	ds_load_2addr_b64 v[2:5], v126 offset0:23 offset1:24
	v_pk_add_f32 v[174:175], v[174:175], v[6:7] neg_lo:[0,1] neg_hi:[0,1]
	s_wait_dscnt 0x0
	v_pk_mul_f32 v[6:7], v[2:3], v[32:33] op_sel:[0,1]
	s_delay_alu instid0(VALU_DEP_1) | instskip(SKIP_1) | instid1(VALU_DEP_1)
	v_pk_fma_f32 v[34:35], v[2:3], v[30:31], v[6:7] op_sel:[0,0,1] op_sel_hi:[1,1,0] neg_lo:[0,0,1] neg_hi:[0,0,1]
	v_pk_fma_f32 v[2:3], v[2:3], v[30:31], v[6:7] op_sel:[0,0,1] op_sel_hi:[1,0,0]
	v_mov_b32_e32 v35, v3
	v_pk_mul_f32 v[2:3], v[4:5], v[32:33] op_sel:[0,1]
	s_delay_alu instid0(VALU_DEP_2) | instskip(NEXT) | instid1(VALU_DEP_2)
	v_pk_add_f32 v[176:177], v[176:177], v[34:35] neg_lo:[0,1] neg_hi:[0,1]
	v_pk_fma_f32 v[6:7], v[4:5], v[30:31], v[2:3] op_sel:[0,0,1] op_sel_hi:[1,1,0] neg_lo:[0,0,1] neg_hi:[0,0,1]
	v_pk_fma_f32 v[2:3], v[4:5], v[30:31], v[2:3] op_sel:[0,0,1] op_sel_hi:[1,0,0]
	s_delay_alu instid0(VALU_DEP_1) | instskip(SKIP_4) | instid1(VALU_DEP_1)
	v_mov_b32_e32 v7, v3
	ds_load_2addr_b64 v[2:5], v126 offset0:25 offset1:26
	v_pk_add_f32 v[178:179], v[178:179], v[6:7] neg_lo:[0,1] neg_hi:[0,1]
	s_wait_dscnt 0x0
	v_pk_mul_f32 v[6:7], v[2:3], v[32:33] op_sel:[0,1]
	v_pk_fma_f32 v[34:35], v[2:3], v[30:31], v[6:7] op_sel:[0,0,1] op_sel_hi:[1,1,0] neg_lo:[0,0,1] neg_hi:[0,0,1]
	v_pk_fma_f32 v[2:3], v[2:3], v[30:31], v[6:7] op_sel:[0,0,1] op_sel_hi:[1,0,0]
	v_dual_mul_f32 v6, v5, v33 :: v_dual_mov_b32 v2, v5
	s_delay_alu instid0(VALU_DEP_2) | instskip(NEXT) | instid1(VALU_DEP_2)
	v_dual_mov_b32 v35, v3 :: v_dual_mov_b32 v3, v4
	v_pk_fma_f32 v[6:7], v[4:5], v[154:155], v[6:7] op_sel_hi:[1,1,0] neg_lo:[0,0,1] neg_hi:[0,0,1]
	v_mul_f32_e32 v4, v5, v30
	s_delay_alu instid0(VALU_DEP_3) | instskip(NEXT) | instid1(VALU_DEP_2)
	v_pk_add_f32 v[180:181], v[180:181], v[34:35] neg_lo:[0,1] neg_hi:[0,1]
	v_pk_fma_f32 v[2:3], v[2:3], v[154:155], v[4:5] op_sel_hi:[1,1,0]
	s_delay_alu instid0(VALU_DEP_1) | instskip(SKIP_4) | instid1(VALU_DEP_1)
	v_mov_b32_e32 v7, v3
	ds_load_2addr_b64 v[2:5], v126 offset0:27 offset1:28
	v_pk_add_f32 v[182:183], v[182:183], v[6:7] neg_lo:[0,1] neg_hi:[0,1]
	s_wait_dscnt 0x0
	v_pk_mul_f32 v[6:7], v[2:3], v[32:33] op_sel:[0,1]
	v_pk_fma_f32 v[34:35], v[2:3], v[30:31], v[6:7] op_sel:[0,0,1] op_sel_hi:[1,1,0] neg_lo:[0,0,1] neg_hi:[0,0,1]
	v_pk_fma_f32 v[2:3], v[2:3], v[30:31], v[6:7] op_sel:[0,0,1] op_sel_hi:[1,0,0]
	s_delay_alu instid0(VALU_DEP_1) | instskip(SKIP_1) | instid1(VALU_DEP_1)
	v_mov_b32_e32 v35, v3
	v_pk_mul_f32 v[2:3], v[4:5], v[32:33] op_sel:[0,1]
	v_pk_fma_f32 v[6:7], v[4:5], v[30:31], v[2:3] op_sel:[0,0,1] op_sel_hi:[1,1,0] neg_lo:[0,0,1] neg_hi:[0,0,1]
	v_pk_fma_f32 v[2:3], v[4:5], v[30:31], v[2:3] op_sel:[0,0,1] op_sel_hi:[1,0,0]
	s_delay_alu instid0(VALU_DEP_1)
	v_mov_b32_e32 v7, v3
	ds_load_2addr_b64 v[2:5], v126 offset0:29 offset1:30
	v_pk_add_f32 v[184:185], v[184:185], v[34:35] neg_lo:[0,1] neg_hi:[0,1]
	v_pk_add_f32 v[186:187], v[186:187], v[6:7] neg_lo:[0,1] neg_hi:[0,1]
	s_wait_dscnt 0x0
	v_pk_mul_f32 v[6:7], v[2:3], v[32:33] op_sel:[0,1]
	s_delay_alu instid0(VALU_DEP_1) | instskip(SKIP_1) | instid1(VALU_DEP_1)
	v_pk_fma_f32 v[34:35], v[2:3], v[30:31], v[6:7] op_sel:[0,0,1] op_sel_hi:[1,1,0] neg_lo:[0,0,1] neg_hi:[0,0,1]
	v_pk_fma_f32 v[2:3], v[2:3], v[30:31], v[6:7] op_sel:[0,0,1] op_sel_hi:[1,0,0]
	v_mov_b32_e32 v35, v3
	v_pk_mul_f32 v[2:3], v[4:5], v[32:33] op_sel:[0,1]
	s_delay_alu instid0(VALU_DEP_1) | instskip(SKIP_1) | instid1(VALU_DEP_1)
	v_pk_fma_f32 v[6:7], v[4:5], v[30:31], v[2:3] op_sel:[0,0,1] op_sel_hi:[1,1,0] neg_lo:[0,0,1] neg_hi:[0,0,1]
	v_pk_fma_f32 v[2:3], v[4:5], v[30:31], v[2:3] op_sel:[0,0,1] op_sel_hi:[1,0,0]
	v_mov_b32_e32 v7, v3
	ds_load_2addr_b64 v[2:5], v126 offset0:31 offset1:32
	v_pk_add_f32 v[188:189], v[188:189], v[34:35] neg_lo:[0,1] neg_hi:[0,1]
	v_pk_add_f32 v[190:191], v[190:191], v[6:7] neg_lo:[0,1] neg_hi:[0,1]
	s_wait_dscnt 0x0
	v_dual_mul_f32 v6, v3, v33 :: v_dual_mul_f32 v34, v3, v30
	s_delay_alu instid0(VALU_DEP_1) | instskip(NEXT) | instid1(VALU_DEP_2)
	v_pk_fma_f32 v[6:7], v[2:3], v[154:155], v[6:7] op_sel_hi:[1,1,0] neg_lo:[0,0,1] neg_hi:[0,0,1]
	v_pk_fma_f32 v[2:3], v[2:3], v[154:155], v[34:35] op_sel:[1,0,0] op_sel_hi:[0,1,0]
	s_delay_alu instid0(VALU_DEP_1) | instskip(SKIP_1) | instid1(VALU_DEP_2)
	v_mov_b32_e32 v7, v3
	v_pk_mul_f32 v[2:3], v[4:5], v[32:33] op_sel:[0,1]
	v_pk_add_f32 v[192:193], v[192:193], v[6:7] neg_lo:[0,1] neg_hi:[0,1]
	s_delay_alu instid0(VALU_DEP_2) | instskip(SKIP_1) | instid1(VALU_DEP_1)
	v_pk_fma_f32 v[6:7], v[4:5], v[30:31], v[2:3] op_sel:[0,0,1] op_sel_hi:[1,1,0] neg_lo:[0,0,1] neg_hi:[0,0,1]
	v_pk_fma_f32 v[2:3], v[4:5], v[30:31], v[2:3] op_sel:[0,0,1] op_sel_hi:[1,0,0]
	v_mov_b32_e32 v7, v3
	ds_load_2addr_b64 v[2:5], v126 offset0:33 offset1:34
	v_pk_add_f32 v[194:195], v[194:195], v[6:7] neg_lo:[0,1] neg_hi:[0,1]
	s_wait_dscnt 0x0
	v_pk_mul_f32 v[6:7], v[2:3], v[32:33] op_sel:[0,1]
	s_delay_alu instid0(VALU_DEP_1) | instskip(SKIP_1) | instid1(VALU_DEP_1)
	v_pk_fma_f32 v[34:35], v[2:3], v[30:31], v[6:7] op_sel:[0,0,1] op_sel_hi:[1,1,0] neg_lo:[0,0,1] neg_hi:[0,0,1]
	v_pk_fma_f32 v[2:3], v[2:3], v[30:31], v[6:7] op_sel:[0,0,1] op_sel_hi:[1,0,0]
	v_mov_b32_e32 v35, v3
	v_pk_mul_f32 v[2:3], v[4:5], v[32:33] op_sel:[0,1]
	s_delay_alu instid0(VALU_DEP_2) | instskip(NEXT) | instid1(VALU_DEP_2)
	v_pk_add_f32 v[196:197], v[196:197], v[34:35] neg_lo:[0,1] neg_hi:[0,1]
	v_pk_fma_f32 v[6:7], v[4:5], v[30:31], v[2:3] op_sel:[0,0,1] op_sel_hi:[1,1,0] neg_lo:[0,0,1] neg_hi:[0,0,1]
	v_pk_fma_f32 v[2:3], v[4:5], v[30:31], v[2:3] op_sel:[0,0,1] op_sel_hi:[1,0,0]
	s_delay_alu instid0(VALU_DEP_1) | instskip(SKIP_4) | instid1(VALU_DEP_1)
	v_mov_b32_e32 v7, v3
	ds_load_2addr_b64 v[2:5], v126 offset0:35 offset1:36
	v_pk_add_f32 v[198:199], v[198:199], v[6:7] neg_lo:[0,1] neg_hi:[0,1]
	s_wait_dscnt 0x0
	v_pk_mul_f32 v[6:7], v[2:3], v[32:33] op_sel:[0,1]
	v_pk_fma_f32 v[34:35], v[2:3], v[30:31], v[6:7] op_sel:[0,0,1] op_sel_hi:[1,1,0] neg_lo:[0,0,1] neg_hi:[0,0,1]
	v_pk_fma_f32 v[2:3], v[2:3], v[30:31], v[6:7] op_sel:[0,0,1] op_sel_hi:[1,0,0]
	v_dual_mul_f32 v6, v5, v33 :: v_dual_mov_b32 v2, v5
	s_delay_alu instid0(VALU_DEP_2) | instskip(NEXT) | instid1(VALU_DEP_2)
	v_dual_mov_b32 v35, v3 :: v_dual_mov_b32 v3, v4
	v_pk_fma_f32 v[6:7], v[4:5], v[154:155], v[6:7] op_sel_hi:[1,1,0] neg_lo:[0,0,1] neg_hi:[0,0,1]
	v_mul_f32_e32 v4, v5, v30
	s_delay_alu instid0(VALU_DEP_3) | instskip(NEXT) | instid1(VALU_DEP_2)
	v_pk_add_f32 v[200:201], v[200:201], v[34:35] neg_lo:[0,1] neg_hi:[0,1]
	v_pk_fma_f32 v[2:3], v[2:3], v[154:155], v[4:5] op_sel_hi:[1,1,0]
	s_delay_alu instid0(VALU_DEP_1) | instskip(SKIP_4) | instid1(VALU_DEP_1)
	v_mov_b32_e32 v7, v3
	ds_load_2addr_b64 v[2:5], v126 offset0:37 offset1:38
	v_pk_add_f32 v[202:203], v[202:203], v[6:7] neg_lo:[0,1] neg_hi:[0,1]
	s_wait_dscnt 0x0
	v_pk_mul_f32 v[6:7], v[2:3], v[32:33] op_sel:[0,1]
	v_pk_fma_f32 v[34:35], v[2:3], v[30:31], v[6:7] op_sel:[0,0,1] op_sel_hi:[1,1,0] neg_lo:[0,0,1] neg_hi:[0,0,1]
	v_pk_fma_f32 v[2:3], v[2:3], v[30:31], v[6:7] op_sel:[0,0,1] op_sel_hi:[1,0,0]
	s_delay_alu instid0(VALU_DEP_1) | instskip(SKIP_1) | instid1(VALU_DEP_1)
	v_mov_b32_e32 v35, v3
	v_pk_mul_f32 v[2:3], v[4:5], v[32:33] op_sel:[0,1]
	v_pk_fma_f32 v[6:7], v[4:5], v[30:31], v[2:3] op_sel:[0,0,1] op_sel_hi:[1,1,0] neg_lo:[0,0,1] neg_hi:[0,0,1]
	v_pk_fma_f32 v[2:3], v[4:5], v[30:31], v[2:3] op_sel:[0,0,1] op_sel_hi:[1,0,0]
	s_delay_alu instid0(VALU_DEP_1)
	v_mov_b32_e32 v7, v3
	ds_load_2addr_b64 v[2:5], v126 offset0:39 offset1:40
	v_pk_add_f32 v[204:205], v[204:205], v[34:35] neg_lo:[0,1] neg_hi:[0,1]
	v_pk_add_f32 v[206:207], v[206:207], v[6:7] neg_lo:[0,1] neg_hi:[0,1]
	s_wait_dscnt 0x0
	v_pk_mul_f32 v[6:7], v[2:3], v[32:33] op_sel:[0,1]
	s_delay_alu instid0(VALU_DEP_1) | instskip(SKIP_1) | instid1(VALU_DEP_1)
	v_pk_fma_f32 v[34:35], v[2:3], v[30:31], v[6:7] op_sel:[0,0,1] op_sel_hi:[1,1,0] neg_lo:[0,0,1] neg_hi:[0,0,1]
	v_pk_fma_f32 v[2:3], v[2:3], v[30:31], v[6:7] op_sel:[0,0,1] op_sel_hi:[1,0,0]
	v_mov_b32_e32 v35, v3
	v_pk_mul_f32 v[2:3], v[4:5], v[32:33] op_sel:[0,1]
	s_delay_alu instid0(VALU_DEP_1) | instskip(SKIP_1) | instid1(VALU_DEP_1)
	v_pk_fma_f32 v[6:7], v[4:5], v[30:31], v[2:3] op_sel:[0,0,1] op_sel_hi:[1,1,0] neg_lo:[0,0,1] neg_hi:[0,0,1]
	v_pk_fma_f32 v[2:3], v[4:5], v[30:31], v[2:3] op_sel:[0,0,1] op_sel_hi:[1,0,0]
	v_mov_b32_e32 v7, v3
	ds_load_2addr_b64 v[2:5], v126 offset0:41 offset1:42
	v_pk_add_f32 v[208:209], v[208:209], v[34:35] neg_lo:[0,1] neg_hi:[0,1]
	v_pk_add_f32 v[210:211], v[210:211], v[6:7] neg_lo:[0,1] neg_hi:[0,1]
	s_wait_dscnt 0x0
	v_dual_mul_f32 v6, v3, v33 :: v_dual_mul_f32 v34, v3, v30
	s_delay_alu instid0(VALU_DEP_1) | instskip(NEXT) | instid1(VALU_DEP_2)
	v_pk_fma_f32 v[6:7], v[2:3], v[154:155], v[6:7] op_sel_hi:[1,1,0] neg_lo:[0,0,1] neg_hi:[0,0,1]
	v_pk_fma_f32 v[2:3], v[2:3], v[154:155], v[34:35] op_sel:[1,0,0] op_sel_hi:[0,1,0]
	s_delay_alu instid0(VALU_DEP_1) | instskip(SKIP_1) | instid1(VALU_DEP_2)
	v_mov_b32_e32 v7, v3
	v_pk_mul_f32 v[2:3], v[4:5], v[32:33] op_sel:[0,1]
	v_pk_add_f32 v[212:213], v[212:213], v[6:7] neg_lo:[0,1] neg_hi:[0,1]
	s_delay_alu instid0(VALU_DEP_2) | instskip(SKIP_1) | instid1(VALU_DEP_1)
	v_pk_fma_f32 v[6:7], v[4:5], v[30:31], v[2:3] op_sel:[0,0,1] op_sel_hi:[1,1,0] neg_lo:[0,0,1] neg_hi:[0,0,1]
	v_pk_fma_f32 v[2:3], v[4:5], v[30:31], v[2:3] op_sel:[0,0,1] op_sel_hi:[1,0,0]
	v_mov_b32_e32 v7, v3
	ds_load_2addr_b64 v[2:5], v126 offset0:43 offset1:44
	v_pk_add_f32 v[214:215], v[214:215], v[6:7] neg_lo:[0,1] neg_hi:[0,1]
	s_wait_dscnt 0x0
	v_pk_mul_f32 v[6:7], v[2:3], v[32:33] op_sel:[0,1]
	s_delay_alu instid0(VALU_DEP_1) | instskip(SKIP_1) | instid1(VALU_DEP_1)
	v_pk_fma_f32 v[34:35], v[2:3], v[30:31], v[6:7] op_sel:[0,0,1] op_sel_hi:[1,1,0] neg_lo:[0,0,1] neg_hi:[0,0,1]
	v_pk_fma_f32 v[2:3], v[2:3], v[30:31], v[6:7] op_sel:[0,0,1] op_sel_hi:[1,0,0]
	v_mov_b32_e32 v35, v3
	v_pk_mul_f32 v[2:3], v[4:5], v[32:33] op_sel:[0,1]
	s_delay_alu instid0(VALU_DEP_2) | instskip(NEXT) | instid1(VALU_DEP_2)
	v_pk_add_f32 v[216:217], v[216:217], v[34:35] neg_lo:[0,1] neg_hi:[0,1]
	v_pk_fma_f32 v[6:7], v[4:5], v[30:31], v[2:3] op_sel:[0,0,1] op_sel_hi:[1,1,0] neg_lo:[0,0,1] neg_hi:[0,0,1]
	v_pk_fma_f32 v[2:3], v[4:5], v[30:31], v[2:3] op_sel:[0,0,1] op_sel_hi:[1,0,0]
	s_delay_alu instid0(VALU_DEP_1) | instskip(SKIP_4) | instid1(VALU_DEP_1)
	v_mov_b32_e32 v7, v3
	ds_load_2addr_b64 v[2:5], v126 offset0:45 offset1:46
	v_pk_add_f32 v[218:219], v[218:219], v[6:7] neg_lo:[0,1] neg_hi:[0,1]
	s_wait_dscnt 0x0
	v_pk_mul_f32 v[6:7], v[2:3], v[32:33] op_sel:[0,1]
	v_pk_fma_f32 v[34:35], v[2:3], v[30:31], v[6:7] op_sel:[0,0,1] op_sel_hi:[1,1,0] neg_lo:[0,0,1] neg_hi:[0,0,1]
	v_pk_fma_f32 v[2:3], v[2:3], v[30:31], v[6:7] op_sel:[0,0,1] op_sel_hi:[1,0,0]
	v_dual_mul_f32 v6, v5, v33 :: v_dual_mov_b32 v2, v5
	s_delay_alu instid0(VALU_DEP_2) | instskip(NEXT) | instid1(VALU_DEP_2)
	v_dual_mov_b32 v35, v3 :: v_dual_mov_b32 v3, v4
	v_pk_fma_f32 v[6:7], v[4:5], v[154:155], v[6:7] op_sel_hi:[1,1,0] neg_lo:[0,0,1] neg_hi:[0,0,1]
	v_mul_f32_e32 v4, v5, v30
	s_delay_alu instid0(VALU_DEP_3) | instskip(NEXT) | instid1(VALU_DEP_2)
	v_pk_add_f32 v[220:221], v[220:221], v[34:35] neg_lo:[0,1] neg_hi:[0,1]
	v_pk_fma_f32 v[2:3], v[2:3], v[154:155], v[4:5] op_sel_hi:[1,1,0]
	s_delay_alu instid0(VALU_DEP_1) | instskip(SKIP_4) | instid1(VALU_DEP_1)
	v_mov_b32_e32 v7, v3
	ds_load_2addr_b64 v[2:5], v126 offset0:47 offset1:48
	v_pk_add_f32 v[222:223], v[222:223], v[6:7] neg_lo:[0,1] neg_hi:[0,1]
	s_wait_dscnt 0x0
	v_pk_mul_f32 v[6:7], v[2:3], v[32:33] op_sel:[0,1]
	v_pk_fma_f32 v[34:35], v[2:3], v[30:31], v[6:7] op_sel:[0,0,1] op_sel_hi:[1,1,0] neg_lo:[0,0,1] neg_hi:[0,0,1]
	v_pk_fma_f32 v[2:3], v[2:3], v[30:31], v[6:7] op_sel:[0,0,1] op_sel_hi:[1,0,0]
	s_delay_alu instid0(VALU_DEP_1) | instskip(SKIP_1) | instid1(VALU_DEP_1)
	v_mov_b32_e32 v35, v3
	v_pk_mul_f32 v[2:3], v[4:5], v[32:33] op_sel:[0,1]
	v_pk_fma_f32 v[6:7], v[4:5], v[30:31], v[2:3] op_sel:[0,0,1] op_sel_hi:[1,1,0] neg_lo:[0,0,1] neg_hi:[0,0,1]
	v_pk_fma_f32 v[2:3], v[4:5], v[30:31], v[2:3] op_sel:[0,0,1] op_sel_hi:[1,0,0]
	s_delay_alu instid0(VALU_DEP_1)
	v_mov_b32_e32 v7, v3
	ds_load_2addr_b64 v[2:5], v126 offset0:49 offset1:50
	v_pk_add_f32 v[224:225], v[224:225], v[34:35] neg_lo:[0,1] neg_hi:[0,1]
	v_pk_add_f32 v[226:227], v[226:227], v[6:7] neg_lo:[0,1] neg_hi:[0,1]
	s_wait_dscnt 0x0
	v_pk_mul_f32 v[6:7], v[2:3], v[32:33] op_sel:[0,1]
	s_delay_alu instid0(VALU_DEP_1) | instskip(SKIP_1) | instid1(VALU_DEP_1)
	v_pk_fma_f32 v[34:35], v[2:3], v[30:31], v[6:7] op_sel:[0,0,1] op_sel_hi:[1,1,0] neg_lo:[0,0,1] neg_hi:[0,0,1]
	v_pk_fma_f32 v[2:3], v[2:3], v[30:31], v[6:7] op_sel:[0,0,1] op_sel_hi:[1,0,0]
	v_mov_b32_e32 v35, v3
	v_pk_mul_f32 v[2:3], v[4:5], v[32:33] op_sel:[0,1]
	s_delay_alu instid0(VALU_DEP_1) | instskip(SKIP_1) | instid1(VALU_DEP_1)
	v_pk_fma_f32 v[6:7], v[4:5], v[30:31], v[2:3] op_sel:[0,0,1] op_sel_hi:[1,1,0] neg_lo:[0,0,1] neg_hi:[0,0,1]
	v_pk_fma_f32 v[2:3], v[4:5], v[30:31], v[2:3] op_sel:[0,0,1] op_sel_hi:[1,0,0]
	v_mov_b32_e32 v7, v3
	ds_load_2addr_b64 v[2:5], v126 offset0:51 offset1:52
	v_pk_add_f32 v[228:229], v[228:229], v[34:35] neg_lo:[0,1] neg_hi:[0,1]
	v_pk_add_f32 v[230:231], v[230:231], v[6:7] neg_lo:[0,1] neg_hi:[0,1]
	s_wait_dscnt 0x0
	v_dual_mul_f32 v6, v3, v33 :: v_dual_mul_f32 v34, v3, v30
	s_delay_alu instid0(VALU_DEP_1) | instskip(NEXT) | instid1(VALU_DEP_2)
	v_pk_fma_f32 v[6:7], v[2:3], v[154:155], v[6:7] op_sel_hi:[1,1,0] neg_lo:[0,0,1] neg_hi:[0,0,1]
	v_pk_fma_f32 v[2:3], v[2:3], v[154:155], v[34:35] op_sel:[1,0,0] op_sel_hi:[0,1,0]
	s_delay_alu instid0(VALU_DEP_1) | instskip(SKIP_1) | instid1(VALU_DEP_2)
	v_mov_b32_e32 v7, v3
	v_pk_mul_f32 v[2:3], v[4:5], v[32:33] op_sel:[0,1]
	v_pk_add_f32 v[232:233], v[232:233], v[6:7] neg_lo:[0,1] neg_hi:[0,1]
	s_delay_alu instid0(VALU_DEP_2) | instskip(SKIP_1) | instid1(VALU_DEP_1)
	v_pk_fma_f32 v[6:7], v[4:5], v[30:31], v[2:3] op_sel:[0,0,1] op_sel_hi:[1,1,0] neg_lo:[0,0,1] neg_hi:[0,0,1]
	v_pk_fma_f32 v[2:3], v[4:5], v[30:31], v[2:3] op_sel:[0,0,1] op_sel_hi:[1,0,0]
	v_mov_b32_e32 v7, v3
	ds_load_2addr_b64 v[2:5], v126 offset0:53 offset1:54
	v_pk_add_f32 v[234:235], v[234:235], v[6:7] neg_lo:[0,1] neg_hi:[0,1]
	s_wait_dscnt 0x0
	v_pk_mul_f32 v[6:7], v[2:3], v[32:33] op_sel:[0,1]
	s_delay_alu instid0(VALU_DEP_1) | instskip(SKIP_1) | instid1(VALU_DEP_1)
	v_pk_fma_f32 v[34:35], v[2:3], v[30:31], v[6:7] op_sel:[0,0,1] op_sel_hi:[1,1,0] neg_lo:[0,0,1] neg_hi:[0,0,1]
	v_pk_fma_f32 v[2:3], v[2:3], v[30:31], v[6:7] op_sel:[0,0,1] op_sel_hi:[1,0,0]
	v_mov_b32_e32 v35, v3
	v_pk_mul_f32 v[2:3], v[4:5], v[32:33] op_sel:[0,1]
	s_delay_alu instid0(VALU_DEP_2) | instskip(NEXT) | instid1(VALU_DEP_2)
	v_pk_add_f32 v[236:237], v[236:237], v[34:35] neg_lo:[0,1] neg_hi:[0,1]
	v_pk_fma_f32 v[6:7], v[4:5], v[30:31], v[2:3] op_sel:[0,0,1] op_sel_hi:[1,1,0] neg_lo:[0,0,1] neg_hi:[0,0,1]
	v_pk_fma_f32 v[2:3], v[4:5], v[30:31], v[2:3] op_sel:[0,0,1] op_sel_hi:[1,0,0]
	s_delay_alu instid0(VALU_DEP_1) | instskip(SKIP_4) | instid1(VALU_DEP_1)
	v_mov_b32_e32 v7, v3
	ds_load_2addr_b64 v[2:5], v126 offset0:55 offset1:56
	v_pk_add_f32 v[238:239], v[238:239], v[6:7] neg_lo:[0,1] neg_hi:[0,1]
	s_wait_dscnt 0x0
	v_pk_mul_f32 v[6:7], v[2:3], v[32:33] op_sel:[0,1]
	v_pk_fma_f32 v[34:35], v[2:3], v[30:31], v[6:7] op_sel:[0,0,1] op_sel_hi:[1,1,0] neg_lo:[0,0,1] neg_hi:[0,0,1]
	v_pk_fma_f32 v[2:3], v[2:3], v[30:31], v[6:7] op_sel:[0,0,1] op_sel_hi:[1,0,0]
	v_dual_mul_f32 v6, v5, v33 :: v_dual_mov_b32 v2, v5
	s_delay_alu instid0(VALU_DEP_2) | instskip(NEXT) | instid1(VALU_DEP_2)
	v_dual_mov_b32 v35, v3 :: v_dual_mov_b32 v3, v4
	v_pk_fma_f32 v[6:7], v[4:5], v[154:155], v[6:7] op_sel_hi:[1,1,0] neg_lo:[0,0,1] neg_hi:[0,0,1]
	v_mul_f32_e32 v4, v5, v30
	s_delay_alu instid0(VALU_DEP_3) | instskip(NEXT) | instid1(VALU_DEP_2)
	v_pk_add_f32 v[240:241], v[240:241], v[34:35] neg_lo:[0,1] neg_hi:[0,1]
	v_pk_fma_f32 v[2:3], v[2:3], v[154:155], v[4:5] op_sel_hi:[1,1,0]
	s_delay_alu instid0(VALU_DEP_1) | instskip(SKIP_4) | instid1(VALU_DEP_1)
	v_mov_b32_e32 v7, v3
	ds_load_2addr_b64 v[2:5], v126 offset0:57 offset1:58
	v_pk_add_f32 v[252:253], v[252:253], v[6:7] neg_lo:[0,1] neg_hi:[0,1]
	s_wait_dscnt 0x0
	v_pk_mul_f32 v[6:7], v[2:3], v[32:33] op_sel:[0,1]
	v_pk_fma_f32 v[34:35], v[2:3], v[30:31], v[6:7] op_sel:[0,0,1] op_sel_hi:[1,1,0] neg_lo:[0,0,1] neg_hi:[0,0,1]
	v_pk_fma_f32 v[2:3], v[2:3], v[30:31], v[6:7] op_sel:[0,0,1] op_sel_hi:[1,0,0]
	s_delay_alu instid0(VALU_DEP_1) | instskip(SKIP_1) | instid1(VALU_DEP_1)
	v_mov_b32_e32 v35, v3
	v_pk_mul_f32 v[2:3], v[4:5], v[32:33] op_sel:[0,1]
	v_pk_fma_f32 v[6:7], v[4:5], v[30:31], v[2:3] op_sel:[0,0,1] op_sel_hi:[1,1,0] neg_lo:[0,0,1] neg_hi:[0,0,1]
	v_pk_fma_f32 v[2:3], v[4:5], v[30:31], v[2:3] op_sel:[0,0,1] op_sel_hi:[1,0,0]
	s_delay_alu instid0(VALU_DEP_1)
	v_mov_b32_e32 v7, v3
	ds_load_2addr_b64 v[2:5], v126 offset0:59 offset1:60
	v_pk_add_f32 v[246:247], v[246:247], v[34:35] neg_lo:[0,1] neg_hi:[0,1]
	v_pk_add_f32 v[250:251], v[250:251], v[6:7] neg_lo:[0,1] neg_hi:[0,1]
	s_wait_dscnt 0x0
	v_pk_mul_f32 v[6:7], v[2:3], v[32:33] op_sel:[0,1]
	s_delay_alu instid0(VALU_DEP_1) | instskip(SKIP_1) | instid1(VALU_DEP_1)
	v_pk_fma_f32 v[34:35], v[2:3], v[30:31], v[6:7] op_sel:[0,0,1] op_sel_hi:[1,1,0] neg_lo:[0,0,1] neg_hi:[0,0,1]
	v_pk_fma_f32 v[2:3], v[2:3], v[30:31], v[6:7] op_sel:[0,0,1] op_sel_hi:[1,0,0]
	v_mov_b32_e32 v35, v3
	v_pk_mul_f32 v[2:3], v[4:5], v[32:33] op_sel:[0,1]
	s_delay_alu instid0(VALU_DEP_1) | instskip(SKIP_1) | instid1(VALU_DEP_1)
	v_pk_fma_f32 v[6:7], v[4:5], v[30:31], v[2:3] op_sel:[0,0,1] op_sel_hi:[1,1,0] neg_lo:[0,0,1] neg_hi:[0,0,1]
	v_pk_fma_f32 v[2:3], v[4:5], v[30:31], v[2:3] op_sel:[0,0,1] op_sel_hi:[1,0,0]
	v_mov_b32_e32 v7, v3
	ds_load_2addr_b64 v[2:5], v126 offset0:61 offset1:62
	v_pk_add_f32 v[244:245], v[244:245], v[34:35] neg_lo:[0,1] neg_hi:[0,1]
	v_pk_add_f32 v[248:249], v[248:249], v[6:7] neg_lo:[0,1] neg_hi:[0,1]
	s_wait_dscnt 0x0
	v_dual_mul_f32 v6, v3, v33 :: v_dual_mul_f32 v34, v3, v30
	s_delay_alu instid0(VALU_DEP_1) | instskip(NEXT) | instid1(VALU_DEP_2)
	v_pk_fma_f32 v[6:7], v[2:3], v[154:155], v[6:7] op_sel_hi:[1,1,0] neg_lo:[0,0,1] neg_hi:[0,0,1]
	v_pk_fma_f32 v[2:3], v[2:3], v[154:155], v[34:35] op_sel:[1,0,0] op_sel_hi:[0,1,0]
	s_delay_alu instid0(VALU_DEP_1) | instskip(SKIP_1) | instid1(VALU_DEP_2)
	v_mov_b32_e32 v7, v3
	v_pk_mul_f32 v[2:3], v[4:5], v[32:33] op_sel:[0,1]
	v_pk_add_f32 v[242:243], v[242:243], v[6:7] neg_lo:[0,1] neg_hi:[0,1]
	s_delay_alu instid0(VALU_DEP_2) | instskip(SKIP_1) | instid1(VALU_DEP_1)
	v_pk_fma_f32 v[6:7], v[4:5], v[30:31], v[2:3] op_sel:[0,0,1] op_sel_hi:[1,1,0] neg_lo:[0,0,1] neg_hi:[0,0,1]
	v_pk_fma_f32 v[2:3], v[4:5], v[30:31], v[2:3] op_sel:[0,0,1] op_sel_hi:[1,0,0]
	v_mov_b32_e32 v7, v3
	ds_load_b64 v[2:3], v126 offset:504
	v_pk_add_f32 v[254:255], v[254:255], v[6:7] neg_lo:[0,1] neg_hi:[0,1]
	s_wait_dscnt 0x0
	v_pk_mul_f32 v[4:5], v[2:3], v[32:33] op_sel:[0,1]
	s_delay_alu instid0(VALU_DEP_1) | instskip(SKIP_1) | instid1(VALU_DEP_1)
	v_pk_fma_f32 v[6:7], v[2:3], v[30:31], v[4:5] op_sel:[0,0,1] op_sel_hi:[1,1,0] neg_lo:[0,0,1] neg_hi:[0,0,1]
	v_pk_fma_f32 v[2:3], v[2:3], v[30:31], v[4:5] op_sel:[0,0,1] op_sel_hi:[1,0,0]
	v_mov_b32_e32 v7, v3
	s_delay_alu instid0(VALU_DEP_1)
	v_pk_add_f32 v[0:1], v[0:1], v[6:7] neg_lo:[0,1] neg_hi:[0,1]
.LBB127_118:
	s_or_b32 exec_lo, exec_lo, s1
	s_delay_alu instid0(SALU_CYCLE_1)
	s_mov_b32 s2, exec_lo
	s_wait_dscnt 0x0
	s_barrier_signal -1
	s_barrier_wait -1
	v_cmpx_eq_u32_e32 13, v18
	s_cbranch_execz .LBB127_125
; %bb.119:
	v_dual_mov_b32 v2, v158 :: v_dual_mov_b32 v3, v159
	v_dual_mov_b32 v4, v160 :: v_dual_mov_b32 v5, v161
	ds_store_b64 v19, v[156:157]
	ds_store_2addr_b64 v126, v[2:3], v[4:5] offset0:14 offset1:15
	v_dual_mov_b32 v2, v162 :: v_dual_mov_b32 v3, v163
	v_dual_mov_b32 v4, v164 :: v_dual_mov_b32 v5, v165
	ds_store_2addr_b64 v126, v[2:3], v[4:5] offset0:16 offset1:17
	v_dual_mov_b32 v2, v166 :: v_dual_mov_b32 v3, v167
	v_dual_mov_b32 v4, v168 :: v_dual_mov_b32 v5, v169
	;; [unrolled: 3-line block ×23, first 2 shown]
	ds_store_2addr_b64 v126, v[2:3], v[4:5] offset0:60 offset1:61
	v_dual_mov_b32 v2, v254 :: v_dual_mov_b32 v3, v255
	ds_store_2addr_b64 v126, v[2:3], v[0:1] offset0:62 offset1:63
	ds_load_b64 v[2:3], v19
	s_wait_dscnt 0x0
	v_cmp_neq_f32_e32 vcc_lo, 0, v2
	v_cmp_neq_f32_e64 s1, 0, v3
	s_or_b32 s1, vcc_lo, s1
	s_delay_alu instid0(SALU_CYCLE_1)
	s_and_b32 exec_lo, exec_lo, s1
	s_cbranch_execz .LBB127_125
; %bb.120:
	v_cmp_ngt_f32_e64 s1, |v2|, |v3|
                                        ; implicit-def: $vgpr4_vgpr5
	s_and_saveexec_b32 s4, s1
	s_delay_alu instid0(SALU_CYCLE_1)
	s_xor_b32 s1, exec_lo, s4
	s_cbranch_execz .LBB127_122
; %bb.121:
	v_div_scale_f32 v4, null, v3, v3, v2
	v_div_scale_f32 v7, vcc_lo, v2, v3, v2
	s_delay_alu instid0(VALU_DEP_2) | instskip(SKIP_1) | instid1(TRANS32_DEP_1)
	v_rcp_f32_e32 v5, v4
	v_nop
	v_fma_f32 v6, -v4, v5, 1.0
	s_delay_alu instid0(VALU_DEP_1) | instskip(NEXT) | instid1(VALU_DEP_1)
	v_fmac_f32_e32 v5, v6, v5
	v_mul_f32_e32 v6, v7, v5
	s_delay_alu instid0(VALU_DEP_1) | instskip(NEXT) | instid1(VALU_DEP_1)
	v_fma_f32 v8, -v4, v6, v7
	v_fmac_f32_e32 v6, v8, v5
	s_delay_alu instid0(VALU_DEP_1) | instskip(NEXT) | instid1(VALU_DEP_1)
	v_fma_f32 v4, -v4, v6, v7
	v_div_fmas_f32 v4, v4, v5, v6
	s_delay_alu instid0(VALU_DEP_1) | instskip(NEXT) | instid1(VALU_DEP_1)
	v_div_fixup_f32 v4, v4, v3, v2
	v_fmac_f32_e32 v3, v2, v4
	s_delay_alu instid0(VALU_DEP_1) | instskip(SKIP_1) | instid1(VALU_DEP_2)
	v_div_scale_f32 v2, null, v3, v3, 1.0
	v_div_scale_f32 v7, vcc_lo, 1.0, v3, 1.0
	v_rcp_f32_e32 v5, v2
	v_nop
	s_delay_alu instid0(TRANS32_DEP_1) | instskip(NEXT) | instid1(VALU_DEP_1)
	v_fma_f32 v6, -v2, v5, 1.0
	v_fmac_f32_e32 v5, v6, v5
	s_delay_alu instid0(VALU_DEP_1) | instskip(NEXT) | instid1(VALU_DEP_1)
	v_mul_f32_e32 v6, v7, v5
	v_fma_f32 v8, -v2, v6, v7
	s_delay_alu instid0(VALU_DEP_1) | instskip(NEXT) | instid1(VALU_DEP_1)
	v_fmac_f32_e32 v6, v8, v5
	v_fma_f32 v2, -v2, v6, v7
	s_delay_alu instid0(VALU_DEP_1) | instskip(NEXT) | instid1(VALU_DEP_1)
	v_div_fmas_f32 v2, v2, v5, v6
	v_div_fixup_f32 v2, v2, v3, 1.0
	s_delay_alu instid0(VALU_DEP_1)
	v_mul_f32_e32 v4, v4, v2
	v_xor_b32_e32 v5, 0x80000000, v2
                                        ; implicit-def: $vgpr2_vgpr3
.LBB127_122:
	s_and_not1_saveexec_b32 s1, s1
	s_cbranch_execz .LBB127_124
; %bb.123:
	v_div_scale_f32 v4, null, v2, v2, v3
	v_div_scale_f32 v7, vcc_lo, v3, v2, v3
	s_delay_alu instid0(VALU_DEP_2) | instskip(SKIP_1) | instid1(TRANS32_DEP_1)
	v_rcp_f32_e32 v5, v4
	v_nop
	v_fma_f32 v6, -v4, v5, 1.0
	s_delay_alu instid0(VALU_DEP_1) | instskip(NEXT) | instid1(VALU_DEP_1)
	v_fmac_f32_e32 v5, v6, v5
	v_mul_f32_e32 v6, v7, v5
	s_delay_alu instid0(VALU_DEP_1) | instskip(NEXT) | instid1(VALU_DEP_1)
	v_fma_f32 v8, -v4, v6, v7
	v_fmac_f32_e32 v6, v8, v5
	s_delay_alu instid0(VALU_DEP_1) | instskip(NEXT) | instid1(VALU_DEP_1)
	v_fma_f32 v4, -v4, v6, v7
	v_div_fmas_f32 v4, v4, v5, v6
	s_delay_alu instid0(VALU_DEP_1) | instskip(NEXT) | instid1(VALU_DEP_1)
	v_div_fixup_f32 v5, v4, v2, v3
	v_fmac_f32_e32 v2, v3, v5
	s_delay_alu instid0(VALU_DEP_1) | instskip(NEXT) | instid1(VALU_DEP_1)
	v_div_scale_f32 v3, null, v2, v2, 1.0
	v_rcp_f32_e32 v4, v3
	v_nop
	s_delay_alu instid0(TRANS32_DEP_1) | instskip(NEXT) | instid1(VALU_DEP_1)
	v_fma_f32 v6, -v3, v4, 1.0
	v_fmac_f32_e32 v4, v6, v4
	v_div_scale_f32 v6, vcc_lo, 1.0, v2, 1.0
	s_delay_alu instid0(VALU_DEP_1) | instskip(NEXT) | instid1(VALU_DEP_1)
	v_mul_f32_e32 v7, v6, v4
	v_fma_f32 v8, -v3, v7, v6
	s_delay_alu instid0(VALU_DEP_1) | instskip(NEXT) | instid1(VALU_DEP_1)
	v_fmac_f32_e32 v7, v8, v4
	v_fma_f32 v3, -v3, v7, v6
	s_delay_alu instid0(VALU_DEP_1) | instskip(NEXT) | instid1(VALU_DEP_1)
	v_div_fmas_f32 v3, v3, v4, v7
	v_div_fixup_f32 v4, v3, v2, 1.0
	s_delay_alu instid0(VALU_DEP_1)
	v_mul_f32_e64 v5, v5, -v4
.LBB127_124:
	s_or_b32 exec_lo, exec_lo, s1
	ds_store_b64 v19, v[4:5]
.LBB127_125:
	s_or_b32 exec_lo, exec_lo, s2
	s_wait_dscnt 0x0
	s_barrier_signal -1
	s_barrier_wait -1
	ds_load_b64 v[30:31], v19
	s_mov_b32 s1, exec_lo
	v_cmpx_lt_u32_e32 13, v18
	s_cbranch_execz .LBB127_127
; %bb.126:
	s_wait_dscnt 0x0
	v_pk_mul_f32 v[2:3], v[30:31], v[156:157] op_sel:[1,1] op_sel_hi:[0,1]
	s_delay_alu instid0(VALU_DEP_1)
	v_pk_fma_f32 v[32:33], v[30:31], v[156:157], v[2:3] op_sel_hi:[1,0,1] neg_lo:[0,0,1] neg_hi:[0,0,1]
	v_pk_fma_f32 v[34:35], v[30:31], v[156:157], v[2:3] op_sel_hi:[1,0,1]
	ds_load_2addr_b64 v[2:5], v126 offset0:14 offset1:15
	v_dual_mov_b32 v156, v32 :: v_dual_mov_b32 v157, v35
	s_wait_dscnt 0x0
	v_pk_mul_f32 v[6:7], v[2:3], v[34:35] op_sel:[0,1]
	s_delay_alu instid0(VALU_DEP_1) | instskip(SKIP_1) | instid1(VALU_DEP_1)
	v_pk_fma_f32 v[36:37], v[2:3], v[32:33], v[6:7] op_sel:[0,0,1] op_sel_hi:[1,1,0] neg_lo:[0,0,1] neg_hi:[0,0,1]
	v_pk_fma_f32 v[2:3], v[2:3], v[32:33], v[6:7] op_sel:[0,0,1] op_sel_hi:[1,0,0]
	v_mov_b32_e32 v37, v3
	v_pk_mul_f32 v[2:3], v[4:5], v[34:35] op_sel:[0,1]
	s_delay_alu instid0(VALU_DEP_1) | instskip(SKIP_1) | instid1(VALU_DEP_1)
	v_pk_fma_f32 v[6:7], v[4:5], v[32:33], v[2:3] op_sel:[0,0,1] op_sel_hi:[1,1,0] neg_lo:[0,0,1] neg_hi:[0,0,1]
	v_pk_fma_f32 v[2:3], v[4:5], v[32:33], v[2:3] op_sel:[0,0,1] op_sel_hi:[1,0,0]
	v_mov_b32_e32 v7, v3
	ds_load_2addr_b64 v[2:5], v126 offset0:16 offset1:17
	v_pk_add_f32 v[158:159], v[158:159], v[36:37] neg_lo:[0,1] neg_hi:[0,1]
	v_pk_add_f32 v[160:161], v[160:161], v[6:7] neg_lo:[0,1] neg_hi:[0,1]
	s_wait_dscnt 0x0
	v_pk_mul_f32 v[6:7], v[2:3], v[34:35] op_sel:[0,1]
	s_delay_alu instid0(VALU_DEP_1) | instskip(SKIP_2) | instid1(VALU_DEP_2)
	v_pk_fma_f32 v[36:37], v[2:3], v[32:33], v[6:7] op_sel:[0,0,1] op_sel_hi:[1,1,0] neg_lo:[0,0,1] neg_hi:[0,0,1]
	v_pk_fma_f32 v[2:3], v[2:3], v[32:33], v[6:7] op_sel:[0,0,1] op_sel_hi:[1,0,0]
	v_dual_mul_f32 v6, v5, v35 :: v_dual_mov_b32 v2, v5
	v_dual_mov_b32 v37, v3 :: v_dual_mov_b32 v3, v4
	s_delay_alu instid0(VALU_DEP_2) | instskip(SKIP_1) | instid1(VALU_DEP_3)
	v_pk_fma_f32 v[6:7], v[4:5], v[156:157], v[6:7] op_sel_hi:[1,1,0] neg_lo:[0,0,1] neg_hi:[0,0,1]
	v_mul_f32_e32 v4, v5, v32
	v_pk_add_f32 v[162:163], v[162:163], v[36:37] neg_lo:[0,1] neg_hi:[0,1]
	s_delay_alu instid0(VALU_DEP_2) | instskip(NEXT) | instid1(VALU_DEP_1)
	v_pk_fma_f32 v[2:3], v[2:3], v[156:157], v[4:5] op_sel_hi:[1,1,0]
	v_mov_b32_e32 v7, v3
	ds_load_2addr_b64 v[2:5], v126 offset0:18 offset1:19
	v_pk_add_f32 v[164:165], v[164:165], v[6:7] neg_lo:[0,1] neg_hi:[0,1]
	s_wait_dscnt 0x0
	v_pk_mul_f32 v[6:7], v[2:3], v[34:35] op_sel:[0,1]
	s_delay_alu instid0(VALU_DEP_1) | instskip(SKIP_1) | instid1(VALU_DEP_1)
	v_pk_fma_f32 v[36:37], v[2:3], v[32:33], v[6:7] op_sel:[0,0,1] op_sel_hi:[1,1,0] neg_lo:[0,0,1] neg_hi:[0,0,1]
	v_pk_fma_f32 v[2:3], v[2:3], v[32:33], v[6:7] op_sel:[0,0,1] op_sel_hi:[1,0,0]
	v_mov_b32_e32 v37, v3
	v_pk_mul_f32 v[2:3], v[4:5], v[34:35] op_sel:[0,1]
	s_delay_alu instid0(VALU_DEP_1) | instskip(SKIP_1) | instid1(VALU_DEP_1)
	v_pk_fma_f32 v[6:7], v[4:5], v[32:33], v[2:3] op_sel:[0,0,1] op_sel_hi:[1,1,0] neg_lo:[0,0,1] neg_hi:[0,0,1]
	v_pk_fma_f32 v[2:3], v[4:5], v[32:33], v[2:3] op_sel:[0,0,1] op_sel_hi:[1,0,0]
	v_mov_b32_e32 v7, v3
	ds_load_2addr_b64 v[2:5], v126 offset0:20 offset1:21
	v_pk_add_f32 v[166:167], v[166:167], v[36:37] neg_lo:[0,1] neg_hi:[0,1]
	v_pk_add_f32 v[168:169], v[168:169], v[6:7] neg_lo:[0,1] neg_hi:[0,1]
	s_wait_dscnt 0x0
	v_pk_mul_f32 v[6:7], v[2:3], v[34:35] op_sel:[0,1]
	s_delay_alu instid0(VALU_DEP_1) | instskip(SKIP_1) | instid1(VALU_DEP_1)
	v_pk_fma_f32 v[36:37], v[2:3], v[32:33], v[6:7] op_sel:[0,0,1] op_sel_hi:[1,1,0] neg_lo:[0,0,1] neg_hi:[0,0,1]
	v_pk_fma_f32 v[2:3], v[2:3], v[32:33], v[6:7] op_sel:[0,0,1] op_sel_hi:[1,0,0]
	v_mov_b32_e32 v37, v3
	v_pk_mul_f32 v[2:3], v[4:5], v[34:35] op_sel:[0,1]
	s_delay_alu instid0(VALU_DEP_1) | instskip(SKIP_1) | instid1(VALU_DEP_1)
	v_pk_fma_f32 v[6:7], v[4:5], v[32:33], v[2:3] op_sel:[0,0,1] op_sel_hi:[1,1,0] neg_lo:[0,0,1] neg_hi:[0,0,1]
	v_pk_fma_f32 v[2:3], v[4:5], v[32:33], v[2:3] op_sel:[0,0,1] op_sel_hi:[1,0,0]
	v_mov_b32_e32 v7, v3
	ds_load_2addr_b64 v[2:5], v126 offset0:22 offset1:23
	v_pk_add_f32 v[170:171], v[170:171], v[36:37] neg_lo:[0,1] neg_hi:[0,1]
	v_pk_add_f32 v[172:173], v[172:173], v[6:7] neg_lo:[0,1] neg_hi:[0,1]
	s_wait_dscnt 0x0
	v_dual_mul_f32 v6, v3, v35 :: v_dual_mul_f32 v36, v3, v32
	s_delay_alu instid0(VALU_DEP_1) | instskip(NEXT) | instid1(VALU_DEP_2)
	v_pk_fma_f32 v[6:7], v[2:3], v[156:157], v[6:7] op_sel_hi:[1,1,0] neg_lo:[0,0,1] neg_hi:[0,0,1]
	v_pk_fma_f32 v[2:3], v[2:3], v[156:157], v[36:37] op_sel:[1,0,0] op_sel_hi:[0,1,0]
	s_delay_alu instid0(VALU_DEP_1) | instskip(SKIP_1) | instid1(VALU_DEP_2)
	v_mov_b32_e32 v7, v3
	v_pk_mul_f32 v[2:3], v[4:5], v[34:35] op_sel:[0,1]
	v_pk_add_f32 v[174:175], v[174:175], v[6:7] neg_lo:[0,1] neg_hi:[0,1]
	s_delay_alu instid0(VALU_DEP_2) | instskip(SKIP_1) | instid1(VALU_DEP_1)
	v_pk_fma_f32 v[6:7], v[4:5], v[32:33], v[2:3] op_sel:[0,0,1] op_sel_hi:[1,1,0] neg_lo:[0,0,1] neg_hi:[0,0,1]
	v_pk_fma_f32 v[2:3], v[4:5], v[32:33], v[2:3] op_sel:[0,0,1] op_sel_hi:[1,0,0]
	v_mov_b32_e32 v7, v3
	ds_load_2addr_b64 v[2:5], v126 offset0:24 offset1:25
	v_pk_add_f32 v[176:177], v[176:177], v[6:7] neg_lo:[0,1] neg_hi:[0,1]
	s_wait_dscnt 0x0
	v_pk_mul_f32 v[6:7], v[2:3], v[34:35] op_sel:[0,1]
	s_delay_alu instid0(VALU_DEP_1) | instskip(SKIP_1) | instid1(VALU_DEP_1)
	v_pk_fma_f32 v[36:37], v[2:3], v[32:33], v[6:7] op_sel:[0,0,1] op_sel_hi:[1,1,0] neg_lo:[0,0,1] neg_hi:[0,0,1]
	v_pk_fma_f32 v[2:3], v[2:3], v[32:33], v[6:7] op_sel:[0,0,1] op_sel_hi:[1,0,0]
	v_mov_b32_e32 v37, v3
	v_pk_mul_f32 v[2:3], v[4:5], v[34:35] op_sel:[0,1]
	s_delay_alu instid0(VALU_DEP_2) | instskip(NEXT) | instid1(VALU_DEP_2)
	v_pk_add_f32 v[178:179], v[178:179], v[36:37] neg_lo:[0,1] neg_hi:[0,1]
	v_pk_fma_f32 v[6:7], v[4:5], v[32:33], v[2:3] op_sel:[0,0,1] op_sel_hi:[1,1,0] neg_lo:[0,0,1] neg_hi:[0,0,1]
	v_pk_fma_f32 v[2:3], v[4:5], v[32:33], v[2:3] op_sel:[0,0,1] op_sel_hi:[1,0,0]
	s_delay_alu instid0(VALU_DEP_1) | instskip(SKIP_4) | instid1(VALU_DEP_1)
	v_mov_b32_e32 v7, v3
	ds_load_2addr_b64 v[2:5], v126 offset0:26 offset1:27
	v_pk_add_f32 v[180:181], v[180:181], v[6:7] neg_lo:[0,1] neg_hi:[0,1]
	s_wait_dscnt 0x0
	v_pk_mul_f32 v[6:7], v[2:3], v[34:35] op_sel:[0,1]
	v_pk_fma_f32 v[36:37], v[2:3], v[32:33], v[6:7] op_sel:[0,0,1] op_sel_hi:[1,1,0] neg_lo:[0,0,1] neg_hi:[0,0,1]
	v_pk_fma_f32 v[2:3], v[2:3], v[32:33], v[6:7] op_sel:[0,0,1] op_sel_hi:[1,0,0]
	v_dual_mul_f32 v6, v5, v35 :: v_dual_mov_b32 v2, v5
	s_delay_alu instid0(VALU_DEP_2) | instskip(NEXT) | instid1(VALU_DEP_2)
	v_dual_mov_b32 v37, v3 :: v_dual_mov_b32 v3, v4
	v_pk_fma_f32 v[6:7], v[4:5], v[156:157], v[6:7] op_sel_hi:[1,1,0] neg_lo:[0,0,1] neg_hi:[0,0,1]
	v_mul_f32_e32 v4, v5, v32
	s_delay_alu instid0(VALU_DEP_3) | instskip(NEXT) | instid1(VALU_DEP_2)
	v_pk_add_f32 v[182:183], v[182:183], v[36:37] neg_lo:[0,1] neg_hi:[0,1]
	v_pk_fma_f32 v[2:3], v[2:3], v[156:157], v[4:5] op_sel_hi:[1,1,0]
	s_delay_alu instid0(VALU_DEP_1) | instskip(SKIP_4) | instid1(VALU_DEP_1)
	v_mov_b32_e32 v7, v3
	ds_load_2addr_b64 v[2:5], v126 offset0:28 offset1:29
	v_pk_add_f32 v[184:185], v[184:185], v[6:7] neg_lo:[0,1] neg_hi:[0,1]
	s_wait_dscnt 0x0
	v_pk_mul_f32 v[6:7], v[2:3], v[34:35] op_sel:[0,1]
	v_pk_fma_f32 v[36:37], v[2:3], v[32:33], v[6:7] op_sel:[0,0,1] op_sel_hi:[1,1,0] neg_lo:[0,0,1] neg_hi:[0,0,1]
	v_pk_fma_f32 v[2:3], v[2:3], v[32:33], v[6:7] op_sel:[0,0,1] op_sel_hi:[1,0,0]
	s_delay_alu instid0(VALU_DEP_1) | instskip(SKIP_1) | instid1(VALU_DEP_1)
	v_mov_b32_e32 v37, v3
	v_pk_mul_f32 v[2:3], v[4:5], v[34:35] op_sel:[0,1]
	v_pk_fma_f32 v[6:7], v[4:5], v[32:33], v[2:3] op_sel:[0,0,1] op_sel_hi:[1,1,0] neg_lo:[0,0,1] neg_hi:[0,0,1]
	v_pk_fma_f32 v[2:3], v[4:5], v[32:33], v[2:3] op_sel:[0,0,1] op_sel_hi:[1,0,0]
	s_delay_alu instid0(VALU_DEP_1)
	v_mov_b32_e32 v7, v3
	ds_load_2addr_b64 v[2:5], v126 offset0:30 offset1:31
	v_pk_add_f32 v[186:187], v[186:187], v[36:37] neg_lo:[0,1] neg_hi:[0,1]
	v_pk_add_f32 v[188:189], v[188:189], v[6:7] neg_lo:[0,1] neg_hi:[0,1]
	s_wait_dscnt 0x0
	v_pk_mul_f32 v[6:7], v[2:3], v[34:35] op_sel:[0,1]
	s_delay_alu instid0(VALU_DEP_1) | instskip(SKIP_1) | instid1(VALU_DEP_1)
	v_pk_fma_f32 v[36:37], v[2:3], v[32:33], v[6:7] op_sel:[0,0,1] op_sel_hi:[1,1,0] neg_lo:[0,0,1] neg_hi:[0,0,1]
	v_pk_fma_f32 v[2:3], v[2:3], v[32:33], v[6:7] op_sel:[0,0,1] op_sel_hi:[1,0,0]
	v_mov_b32_e32 v37, v3
	v_pk_mul_f32 v[2:3], v[4:5], v[34:35] op_sel:[0,1]
	s_delay_alu instid0(VALU_DEP_1) | instskip(SKIP_1) | instid1(VALU_DEP_1)
	v_pk_fma_f32 v[6:7], v[4:5], v[32:33], v[2:3] op_sel:[0,0,1] op_sel_hi:[1,1,0] neg_lo:[0,0,1] neg_hi:[0,0,1]
	v_pk_fma_f32 v[2:3], v[4:5], v[32:33], v[2:3] op_sel:[0,0,1] op_sel_hi:[1,0,0]
	v_mov_b32_e32 v7, v3
	ds_load_2addr_b64 v[2:5], v126 offset0:32 offset1:33
	v_pk_add_f32 v[190:191], v[190:191], v[36:37] neg_lo:[0,1] neg_hi:[0,1]
	v_pk_add_f32 v[192:193], v[192:193], v[6:7] neg_lo:[0,1] neg_hi:[0,1]
	s_wait_dscnt 0x0
	v_dual_mul_f32 v6, v3, v35 :: v_dual_mul_f32 v36, v3, v32
	s_delay_alu instid0(VALU_DEP_1) | instskip(NEXT) | instid1(VALU_DEP_2)
	v_pk_fma_f32 v[6:7], v[2:3], v[156:157], v[6:7] op_sel_hi:[1,1,0] neg_lo:[0,0,1] neg_hi:[0,0,1]
	v_pk_fma_f32 v[2:3], v[2:3], v[156:157], v[36:37] op_sel:[1,0,0] op_sel_hi:[0,1,0]
	s_delay_alu instid0(VALU_DEP_1) | instskip(SKIP_1) | instid1(VALU_DEP_2)
	v_mov_b32_e32 v7, v3
	v_pk_mul_f32 v[2:3], v[4:5], v[34:35] op_sel:[0,1]
	v_pk_add_f32 v[194:195], v[194:195], v[6:7] neg_lo:[0,1] neg_hi:[0,1]
	s_delay_alu instid0(VALU_DEP_2) | instskip(SKIP_1) | instid1(VALU_DEP_1)
	v_pk_fma_f32 v[6:7], v[4:5], v[32:33], v[2:3] op_sel:[0,0,1] op_sel_hi:[1,1,0] neg_lo:[0,0,1] neg_hi:[0,0,1]
	v_pk_fma_f32 v[2:3], v[4:5], v[32:33], v[2:3] op_sel:[0,0,1] op_sel_hi:[1,0,0]
	v_mov_b32_e32 v7, v3
	ds_load_2addr_b64 v[2:5], v126 offset0:34 offset1:35
	v_pk_add_f32 v[196:197], v[196:197], v[6:7] neg_lo:[0,1] neg_hi:[0,1]
	s_wait_dscnt 0x0
	v_pk_mul_f32 v[6:7], v[2:3], v[34:35] op_sel:[0,1]
	s_delay_alu instid0(VALU_DEP_1) | instskip(SKIP_1) | instid1(VALU_DEP_1)
	v_pk_fma_f32 v[36:37], v[2:3], v[32:33], v[6:7] op_sel:[0,0,1] op_sel_hi:[1,1,0] neg_lo:[0,0,1] neg_hi:[0,0,1]
	v_pk_fma_f32 v[2:3], v[2:3], v[32:33], v[6:7] op_sel:[0,0,1] op_sel_hi:[1,0,0]
	v_mov_b32_e32 v37, v3
	v_pk_mul_f32 v[2:3], v[4:5], v[34:35] op_sel:[0,1]
	s_delay_alu instid0(VALU_DEP_2) | instskip(NEXT) | instid1(VALU_DEP_2)
	v_pk_add_f32 v[198:199], v[198:199], v[36:37] neg_lo:[0,1] neg_hi:[0,1]
	v_pk_fma_f32 v[6:7], v[4:5], v[32:33], v[2:3] op_sel:[0,0,1] op_sel_hi:[1,1,0] neg_lo:[0,0,1] neg_hi:[0,0,1]
	v_pk_fma_f32 v[2:3], v[4:5], v[32:33], v[2:3] op_sel:[0,0,1] op_sel_hi:[1,0,0]
	s_delay_alu instid0(VALU_DEP_1) | instskip(SKIP_4) | instid1(VALU_DEP_1)
	v_mov_b32_e32 v7, v3
	ds_load_2addr_b64 v[2:5], v126 offset0:36 offset1:37
	v_pk_add_f32 v[200:201], v[200:201], v[6:7] neg_lo:[0,1] neg_hi:[0,1]
	s_wait_dscnt 0x0
	v_pk_mul_f32 v[6:7], v[2:3], v[34:35] op_sel:[0,1]
	v_pk_fma_f32 v[36:37], v[2:3], v[32:33], v[6:7] op_sel:[0,0,1] op_sel_hi:[1,1,0] neg_lo:[0,0,1] neg_hi:[0,0,1]
	v_pk_fma_f32 v[2:3], v[2:3], v[32:33], v[6:7] op_sel:[0,0,1] op_sel_hi:[1,0,0]
	v_dual_mul_f32 v6, v5, v35 :: v_dual_mov_b32 v2, v5
	s_delay_alu instid0(VALU_DEP_2) | instskip(NEXT) | instid1(VALU_DEP_2)
	v_dual_mov_b32 v37, v3 :: v_dual_mov_b32 v3, v4
	v_pk_fma_f32 v[6:7], v[4:5], v[156:157], v[6:7] op_sel_hi:[1,1,0] neg_lo:[0,0,1] neg_hi:[0,0,1]
	v_mul_f32_e32 v4, v5, v32
	s_delay_alu instid0(VALU_DEP_3) | instskip(NEXT) | instid1(VALU_DEP_2)
	v_pk_add_f32 v[202:203], v[202:203], v[36:37] neg_lo:[0,1] neg_hi:[0,1]
	v_pk_fma_f32 v[2:3], v[2:3], v[156:157], v[4:5] op_sel_hi:[1,1,0]
	s_delay_alu instid0(VALU_DEP_1) | instskip(SKIP_4) | instid1(VALU_DEP_1)
	v_mov_b32_e32 v7, v3
	ds_load_2addr_b64 v[2:5], v126 offset0:38 offset1:39
	v_pk_add_f32 v[204:205], v[204:205], v[6:7] neg_lo:[0,1] neg_hi:[0,1]
	s_wait_dscnt 0x0
	v_pk_mul_f32 v[6:7], v[2:3], v[34:35] op_sel:[0,1]
	v_pk_fma_f32 v[36:37], v[2:3], v[32:33], v[6:7] op_sel:[0,0,1] op_sel_hi:[1,1,0] neg_lo:[0,0,1] neg_hi:[0,0,1]
	v_pk_fma_f32 v[2:3], v[2:3], v[32:33], v[6:7] op_sel:[0,0,1] op_sel_hi:[1,0,0]
	s_delay_alu instid0(VALU_DEP_1) | instskip(SKIP_1) | instid1(VALU_DEP_1)
	v_mov_b32_e32 v37, v3
	v_pk_mul_f32 v[2:3], v[4:5], v[34:35] op_sel:[0,1]
	v_pk_fma_f32 v[6:7], v[4:5], v[32:33], v[2:3] op_sel:[0,0,1] op_sel_hi:[1,1,0] neg_lo:[0,0,1] neg_hi:[0,0,1]
	v_pk_fma_f32 v[2:3], v[4:5], v[32:33], v[2:3] op_sel:[0,0,1] op_sel_hi:[1,0,0]
	s_delay_alu instid0(VALU_DEP_1)
	v_mov_b32_e32 v7, v3
	ds_load_2addr_b64 v[2:5], v126 offset0:40 offset1:41
	v_pk_add_f32 v[206:207], v[206:207], v[36:37] neg_lo:[0,1] neg_hi:[0,1]
	v_pk_add_f32 v[208:209], v[208:209], v[6:7] neg_lo:[0,1] neg_hi:[0,1]
	s_wait_dscnt 0x0
	v_pk_mul_f32 v[6:7], v[2:3], v[34:35] op_sel:[0,1]
	s_delay_alu instid0(VALU_DEP_1) | instskip(SKIP_1) | instid1(VALU_DEP_1)
	v_pk_fma_f32 v[36:37], v[2:3], v[32:33], v[6:7] op_sel:[0,0,1] op_sel_hi:[1,1,0] neg_lo:[0,0,1] neg_hi:[0,0,1]
	v_pk_fma_f32 v[2:3], v[2:3], v[32:33], v[6:7] op_sel:[0,0,1] op_sel_hi:[1,0,0]
	v_mov_b32_e32 v37, v3
	v_pk_mul_f32 v[2:3], v[4:5], v[34:35] op_sel:[0,1]
	s_delay_alu instid0(VALU_DEP_1) | instskip(SKIP_1) | instid1(VALU_DEP_1)
	v_pk_fma_f32 v[6:7], v[4:5], v[32:33], v[2:3] op_sel:[0,0,1] op_sel_hi:[1,1,0] neg_lo:[0,0,1] neg_hi:[0,0,1]
	v_pk_fma_f32 v[2:3], v[4:5], v[32:33], v[2:3] op_sel:[0,0,1] op_sel_hi:[1,0,0]
	v_mov_b32_e32 v7, v3
	ds_load_2addr_b64 v[2:5], v126 offset0:42 offset1:43
	v_pk_add_f32 v[210:211], v[210:211], v[36:37] neg_lo:[0,1] neg_hi:[0,1]
	v_pk_add_f32 v[212:213], v[212:213], v[6:7] neg_lo:[0,1] neg_hi:[0,1]
	s_wait_dscnt 0x0
	v_dual_mul_f32 v6, v3, v35 :: v_dual_mul_f32 v36, v3, v32
	s_delay_alu instid0(VALU_DEP_1) | instskip(NEXT) | instid1(VALU_DEP_2)
	v_pk_fma_f32 v[6:7], v[2:3], v[156:157], v[6:7] op_sel_hi:[1,1,0] neg_lo:[0,0,1] neg_hi:[0,0,1]
	v_pk_fma_f32 v[2:3], v[2:3], v[156:157], v[36:37] op_sel:[1,0,0] op_sel_hi:[0,1,0]
	s_delay_alu instid0(VALU_DEP_1) | instskip(SKIP_1) | instid1(VALU_DEP_2)
	v_mov_b32_e32 v7, v3
	v_pk_mul_f32 v[2:3], v[4:5], v[34:35] op_sel:[0,1]
	v_pk_add_f32 v[214:215], v[214:215], v[6:7] neg_lo:[0,1] neg_hi:[0,1]
	s_delay_alu instid0(VALU_DEP_2) | instskip(SKIP_1) | instid1(VALU_DEP_1)
	v_pk_fma_f32 v[6:7], v[4:5], v[32:33], v[2:3] op_sel:[0,0,1] op_sel_hi:[1,1,0] neg_lo:[0,0,1] neg_hi:[0,0,1]
	v_pk_fma_f32 v[2:3], v[4:5], v[32:33], v[2:3] op_sel:[0,0,1] op_sel_hi:[1,0,0]
	v_mov_b32_e32 v7, v3
	ds_load_2addr_b64 v[2:5], v126 offset0:44 offset1:45
	v_pk_add_f32 v[216:217], v[216:217], v[6:7] neg_lo:[0,1] neg_hi:[0,1]
	s_wait_dscnt 0x0
	v_pk_mul_f32 v[6:7], v[2:3], v[34:35] op_sel:[0,1]
	s_delay_alu instid0(VALU_DEP_1) | instskip(SKIP_1) | instid1(VALU_DEP_1)
	v_pk_fma_f32 v[36:37], v[2:3], v[32:33], v[6:7] op_sel:[0,0,1] op_sel_hi:[1,1,0] neg_lo:[0,0,1] neg_hi:[0,0,1]
	v_pk_fma_f32 v[2:3], v[2:3], v[32:33], v[6:7] op_sel:[0,0,1] op_sel_hi:[1,0,0]
	v_mov_b32_e32 v37, v3
	v_pk_mul_f32 v[2:3], v[4:5], v[34:35] op_sel:[0,1]
	s_delay_alu instid0(VALU_DEP_2) | instskip(NEXT) | instid1(VALU_DEP_2)
	v_pk_add_f32 v[218:219], v[218:219], v[36:37] neg_lo:[0,1] neg_hi:[0,1]
	v_pk_fma_f32 v[6:7], v[4:5], v[32:33], v[2:3] op_sel:[0,0,1] op_sel_hi:[1,1,0] neg_lo:[0,0,1] neg_hi:[0,0,1]
	v_pk_fma_f32 v[2:3], v[4:5], v[32:33], v[2:3] op_sel:[0,0,1] op_sel_hi:[1,0,0]
	s_delay_alu instid0(VALU_DEP_1) | instskip(SKIP_4) | instid1(VALU_DEP_1)
	v_mov_b32_e32 v7, v3
	ds_load_2addr_b64 v[2:5], v126 offset0:46 offset1:47
	v_pk_add_f32 v[220:221], v[220:221], v[6:7] neg_lo:[0,1] neg_hi:[0,1]
	s_wait_dscnt 0x0
	v_pk_mul_f32 v[6:7], v[2:3], v[34:35] op_sel:[0,1]
	v_pk_fma_f32 v[36:37], v[2:3], v[32:33], v[6:7] op_sel:[0,0,1] op_sel_hi:[1,1,0] neg_lo:[0,0,1] neg_hi:[0,0,1]
	v_pk_fma_f32 v[2:3], v[2:3], v[32:33], v[6:7] op_sel:[0,0,1] op_sel_hi:[1,0,0]
	v_dual_mul_f32 v6, v5, v35 :: v_dual_mov_b32 v2, v5
	s_delay_alu instid0(VALU_DEP_2) | instskip(NEXT) | instid1(VALU_DEP_2)
	v_dual_mov_b32 v37, v3 :: v_dual_mov_b32 v3, v4
	v_pk_fma_f32 v[6:7], v[4:5], v[156:157], v[6:7] op_sel_hi:[1,1,0] neg_lo:[0,0,1] neg_hi:[0,0,1]
	v_mul_f32_e32 v4, v5, v32
	s_delay_alu instid0(VALU_DEP_3) | instskip(NEXT) | instid1(VALU_DEP_2)
	v_pk_add_f32 v[222:223], v[222:223], v[36:37] neg_lo:[0,1] neg_hi:[0,1]
	v_pk_fma_f32 v[2:3], v[2:3], v[156:157], v[4:5] op_sel_hi:[1,1,0]
	s_delay_alu instid0(VALU_DEP_1) | instskip(SKIP_4) | instid1(VALU_DEP_1)
	v_mov_b32_e32 v7, v3
	ds_load_2addr_b64 v[2:5], v126 offset0:48 offset1:49
	v_pk_add_f32 v[224:225], v[224:225], v[6:7] neg_lo:[0,1] neg_hi:[0,1]
	s_wait_dscnt 0x0
	v_pk_mul_f32 v[6:7], v[2:3], v[34:35] op_sel:[0,1]
	v_pk_fma_f32 v[36:37], v[2:3], v[32:33], v[6:7] op_sel:[0,0,1] op_sel_hi:[1,1,0] neg_lo:[0,0,1] neg_hi:[0,0,1]
	v_pk_fma_f32 v[2:3], v[2:3], v[32:33], v[6:7] op_sel:[0,0,1] op_sel_hi:[1,0,0]
	s_delay_alu instid0(VALU_DEP_1) | instskip(SKIP_1) | instid1(VALU_DEP_1)
	v_mov_b32_e32 v37, v3
	v_pk_mul_f32 v[2:3], v[4:5], v[34:35] op_sel:[0,1]
	v_pk_fma_f32 v[6:7], v[4:5], v[32:33], v[2:3] op_sel:[0,0,1] op_sel_hi:[1,1,0] neg_lo:[0,0,1] neg_hi:[0,0,1]
	v_pk_fma_f32 v[2:3], v[4:5], v[32:33], v[2:3] op_sel:[0,0,1] op_sel_hi:[1,0,0]
	s_delay_alu instid0(VALU_DEP_1)
	v_mov_b32_e32 v7, v3
	ds_load_2addr_b64 v[2:5], v126 offset0:50 offset1:51
	v_pk_add_f32 v[226:227], v[226:227], v[36:37] neg_lo:[0,1] neg_hi:[0,1]
	v_pk_add_f32 v[228:229], v[228:229], v[6:7] neg_lo:[0,1] neg_hi:[0,1]
	s_wait_dscnt 0x0
	v_pk_mul_f32 v[6:7], v[2:3], v[34:35] op_sel:[0,1]
	s_delay_alu instid0(VALU_DEP_1) | instskip(SKIP_1) | instid1(VALU_DEP_1)
	v_pk_fma_f32 v[36:37], v[2:3], v[32:33], v[6:7] op_sel:[0,0,1] op_sel_hi:[1,1,0] neg_lo:[0,0,1] neg_hi:[0,0,1]
	v_pk_fma_f32 v[2:3], v[2:3], v[32:33], v[6:7] op_sel:[0,0,1] op_sel_hi:[1,0,0]
	v_mov_b32_e32 v37, v3
	v_pk_mul_f32 v[2:3], v[4:5], v[34:35] op_sel:[0,1]
	s_delay_alu instid0(VALU_DEP_1) | instskip(SKIP_1) | instid1(VALU_DEP_1)
	v_pk_fma_f32 v[6:7], v[4:5], v[32:33], v[2:3] op_sel:[0,0,1] op_sel_hi:[1,1,0] neg_lo:[0,0,1] neg_hi:[0,0,1]
	v_pk_fma_f32 v[2:3], v[4:5], v[32:33], v[2:3] op_sel:[0,0,1] op_sel_hi:[1,0,0]
	v_mov_b32_e32 v7, v3
	ds_load_2addr_b64 v[2:5], v126 offset0:52 offset1:53
	v_pk_add_f32 v[230:231], v[230:231], v[36:37] neg_lo:[0,1] neg_hi:[0,1]
	v_pk_add_f32 v[232:233], v[232:233], v[6:7] neg_lo:[0,1] neg_hi:[0,1]
	s_wait_dscnt 0x0
	v_dual_mul_f32 v6, v3, v35 :: v_dual_mul_f32 v36, v3, v32
	s_delay_alu instid0(VALU_DEP_1) | instskip(NEXT) | instid1(VALU_DEP_2)
	v_pk_fma_f32 v[6:7], v[2:3], v[156:157], v[6:7] op_sel_hi:[1,1,0] neg_lo:[0,0,1] neg_hi:[0,0,1]
	v_pk_fma_f32 v[2:3], v[2:3], v[156:157], v[36:37] op_sel:[1,0,0] op_sel_hi:[0,1,0]
	s_delay_alu instid0(VALU_DEP_1) | instskip(SKIP_1) | instid1(VALU_DEP_2)
	v_mov_b32_e32 v7, v3
	v_pk_mul_f32 v[2:3], v[4:5], v[34:35] op_sel:[0,1]
	v_pk_add_f32 v[234:235], v[234:235], v[6:7] neg_lo:[0,1] neg_hi:[0,1]
	s_delay_alu instid0(VALU_DEP_2) | instskip(SKIP_1) | instid1(VALU_DEP_1)
	v_pk_fma_f32 v[6:7], v[4:5], v[32:33], v[2:3] op_sel:[0,0,1] op_sel_hi:[1,1,0] neg_lo:[0,0,1] neg_hi:[0,0,1]
	v_pk_fma_f32 v[2:3], v[4:5], v[32:33], v[2:3] op_sel:[0,0,1] op_sel_hi:[1,0,0]
	v_mov_b32_e32 v7, v3
	ds_load_2addr_b64 v[2:5], v126 offset0:54 offset1:55
	v_pk_add_f32 v[236:237], v[236:237], v[6:7] neg_lo:[0,1] neg_hi:[0,1]
	s_wait_dscnt 0x0
	v_pk_mul_f32 v[6:7], v[2:3], v[34:35] op_sel:[0,1]
	s_delay_alu instid0(VALU_DEP_1) | instskip(SKIP_1) | instid1(VALU_DEP_1)
	v_pk_fma_f32 v[36:37], v[2:3], v[32:33], v[6:7] op_sel:[0,0,1] op_sel_hi:[1,1,0] neg_lo:[0,0,1] neg_hi:[0,0,1]
	v_pk_fma_f32 v[2:3], v[2:3], v[32:33], v[6:7] op_sel:[0,0,1] op_sel_hi:[1,0,0]
	v_mov_b32_e32 v37, v3
	v_pk_mul_f32 v[2:3], v[4:5], v[34:35] op_sel:[0,1]
	s_delay_alu instid0(VALU_DEP_2) | instskip(NEXT) | instid1(VALU_DEP_2)
	v_pk_add_f32 v[238:239], v[238:239], v[36:37] neg_lo:[0,1] neg_hi:[0,1]
	v_pk_fma_f32 v[6:7], v[4:5], v[32:33], v[2:3] op_sel:[0,0,1] op_sel_hi:[1,1,0] neg_lo:[0,0,1] neg_hi:[0,0,1]
	v_pk_fma_f32 v[2:3], v[4:5], v[32:33], v[2:3] op_sel:[0,0,1] op_sel_hi:[1,0,0]
	s_delay_alu instid0(VALU_DEP_1) | instskip(SKIP_4) | instid1(VALU_DEP_1)
	v_mov_b32_e32 v7, v3
	ds_load_2addr_b64 v[2:5], v126 offset0:56 offset1:57
	v_pk_add_f32 v[240:241], v[240:241], v[6:7] neg_lo:[0,1] neg_hi:[0,1]
	s_wait_dscnt 0x0
	v_pk_mul_f32 v[6:7], v[2:3], v[34:35] op_sel:[0,1]
	v_pk_fma_f32 v[36:37], v[2:3], v[32:33], v[6:7] op_sel:[0,0,1] op_sel_hi:[1,1,0] neg_lo:[0,0,1] neg_hi:[0,0,1]
	v_pk_fma_f32 v[2:3], v[2:3], v[32:33], v[6:7] op_sel:[0,0,1] op_sel_hi:[1,0,0]
	v_dual_mul_f32 v6, v5, v35 :: v_dual_mov_b32 v2, v5
	s_delay_alu instid0(VALU_DEP_2) | instskip(NEXT) | instid1(VALU_DEP_2)
	v_dual_mov_b32 v37, v3 :: v_dual_mov_b32 v3, v4
	v_pk_fma_f32 v[6:7], v[4:5], v[156:157], v[6:7] op_sel_hi:[1,1,0] neg_lo:[0,0,1] neg_hi:[0,0,1]
	v_mul_f32_e32 v4, v5, v32
	s_delay_alu instid0(VALU_DEP_3) | instskip(NEXT) | instid1(VALU_DEP_2)
	v_pk_add_f32 v[252:253], v[252:253], v[36:37] neg_lo:[0,1] neg_hi:[0,1]
	v_pk_fma_f32 v[2:3], v[2:3], v[156:157], v[4:5] op_sel_hi:[1,1,0]
	s_delay_alu instid0(VALU_DEP_1) | instskip(SKIP_4) | instid1(VALU_DEP_1)
	v_mov_b32_e32 v7, v3
	ds_load_2addr_b64 v[2:5], v126 offset0:58 offset1:59
	v_pk_add_f32 v[246:247], v[246:247], v[6:7] neg_lo:[0,1] neg_hi:[0,1]
	s_wait_dscnt 0x0
	v_pk_mul_f32 v[6:7], v[2:3], v[34:35] op_sel:[0,1]
	v_pk_fma_f32 v[36:37], v[2:3], v[32:33], v[6:7] op_sel:[0,0,1] op_sel_hi:[1,1,0] neg_lo:[0,0,1] neg_hi:[0,0,1]
	v_pk_fma_f32 v[2:3], v[2:3], v[32:33], v[6:7] op_sel:[0,0,1] op_sel_hi:[1,0,0]
	s_delay_alu instid0(VALU_DEP_1) | instskip(SKIP_1) | instid1(VALU_DEP_1)
	v_mov_b32_e32 v37, v3
	v_pk_mul_f32 v[2:3], v[4:5], v[34:35] op_sel:[0,1]
	v_pk_fma_f32 v[6:7], v[4:5], v[32:33], v[2:3] op_sel:[0,0,1] op_sel_hi:[1,1,0] neg_lo:[0,0,1] neg_hi:[0,0,1]
	v_pk_fma_f32 v[2:3], v[4:5], v[32:33], v[2:3] op_sel:[0,0,1] op_sel_hi:[1,0,0]
	s_delay_alu instid0(VALU_DEP_1)
	v_mov_b32_e32 v7, v3
	ds_load_2addr_b64 v[2:5], v126 offset0:60 offset1:61
	v_pk_add_f32 v[250:251], v[250:251], v[36:37] neg_lo:[0,1] neg_hi:[0,1]
	v_pk_add_f32 v[244:245], v[244:245], v[6:7] neg_lo:[0,1] neg_hi:[0,1]
	s_wait_dscnt 0x0
	v_pk_mul_f32 v[6:7], v[2:3], v[34:35] op_sel:[0,1]
	s_delay_alu instid0(VALU_DEP_1) | instskip(SKIP_1) | instid1(VALU_DEP_1)
	v_pk_fma_f32 v[36:37], v[2:3], v[32:33], v[6:7] op_sel:[0,0,1] op_sel_hi:[1,1,0] neg_lo:[0,0,1] neg_hi:[0,0,1]
	v_pk_fma_f32 v[2:3], v[2:3], v[32:33], v[6:7] op_sel:[0,0,1] op_sel_hi:[1,0,0]
	v_mov_b32_e32 v37, v3
	v_pk_mul_f32 v[2:3], v[4:5], v[34:35] op_sel:[0,1]
	s_delay_alu instid0(VALU_DEP_1) | instskip(SKIP_1) | instid1(VALU_DEP_1)
	v_pk_fma_f32 v[6:7], v[4:5], v[32:33], v[2:3] op_sel:[0,0,1] op_sel_hi:[1,1,0] neg_lo:[0,0,1] neg_hi:[0,0,1]
	v_pk_fma_f32 v[2:3], v[4:5], v[32:33], v[2:3] op_sel:[0,0,1] op_sel_hi:[1,0,0]
	v_mov_b32_e32 v7, v3
	ds_load_2addr_b64 v[2:5], v126 offset0:62 offset1:63
	v_pk_add_f32 v[248:249], v[248:249], v[36:37] neg_lo:[0,1] neg_hi:[0,1]
	v_pk_add_f32 v[242:243], v[242:243], v[6:7] neg_lo:[0,1] neg_hi:[0,1]
	s_wait_dscnt 0x0
	v_dual_mul_f32 v6, v3, v35 :: v_dual_mul_f32 v36, v3, v32
	s_delay_alu instid0(VALU_DEP_1) | instskip(NEXT) | instid1(VALU_DEP_2)
	v_pk_fma_f32 v[6:7], v[2:3], v[156:157], v[6:7] op_sel_hi:[1,1,0] neg_lo:[0,0,1] neg_hi:[0,0,1]
	v_pk_fma_f32 v[2:3], v[2:3], v[156:157], v[36:37] op_sel:[1,0,0] op_sel_hi:[0,1,0]
	s_delay_alu instid0(VALU_DEP_1) | instskip(SKIP_1) | instid1(VALU_DEP_2)
	v_mov_b32_e32 v7, v3
	v_pk_mul_f32 v[2:3], v[4:5], v[34:35] op_sel:[0,1]
	v_pk_add_f32 v[254:255], v[254:255], v[6:7] neg_lo:[0,1] neg_hi:[0,1]
	s_delay_alu instid0(VALU_DEP_2) | instskip(SKIP_1) | instid1(VALU_DEP_1)
	v_pk_fma_f32 v[6:7], v[4:5], v[32:33], v[2:3] op_sel:[0,0,1] op_sel_hi:[1,1,0] neg_lo:[0,0,1] neg_hi:[0,0,1]
	v_pk_fma_f32 v[2:3], v[4:5], v[32:33], v[2:3] op_sel:[0,0,1] op_sel_hi:[1,0,0]
	v_mov_b32_e32 v7, v3
	s_delay_alu instid0(VALU_DEP_1)
	v_pk_add_f32 v[0:1], v[0:1], v[6:7] neg_lo:[0,1] neg_hi:[0,1]
.LBB127_127:
	s_or_b32 exec_lo, exec_lo, s1
	s_delay_alu instid0(SALU_CYCLE_1)
	s_mov_b32 s2, exec_lo
	s_wait_dscnt 0x0
	s_barrier_signal -1
	s_barrier_wait -1
	v_cmpx_eq_u32_e32 14, v18
	s_cbranch_execz .LBB127_134
; %bb.128:
	ds_store_b64 v19, v[158:159]
	ds_store_2addr_b64 v126, v[160:161], v[162:163] offset0:15 offset1:16
	ds_store_2addr_b64 v126, v[164:165], v[166:167] offset0:17 offset1:18
	;; [unrolled: 1-line block ×24, first 2 shown]
	ds_store_b64 v126, v[0:1] offset:504
	ds_load_b64 v[2:3], v19
	s_wait_dscnt 0x0
	v_cmp_neq_f32_e32 vcc_lo, 0, v2
	v_cmp_neq_f32_e64 s1, 0, v3
	s_or_b32 s1, vcc_lo, s1
	s_delay_alu instid0(SALU_CYCLE_1)
	s_and_b32 exec_lo, exec_lo, s1
	s_cbranch_execz .LBB127_134
; %bb.129:
	v_cmp_ngt_f32_e64 s1, |v2|, |v3|
                                        ; implicit-def: $vgpr4_vgpr5
	s_and_saveexec_b32 s4, s1
	s_delay_alu instid0(SALU_CYCLE_1)
	s_xor_b32 s1, exec_lo, s4
	s_cbranch_execz .LBB127_131
; %bb.130:
	v_div_scale_f32 v4, null, v3, v3, v2
	v_div_scale_f32 v7, vcc_lo, v2, v3, v2
	s_delay_alu instid0(VALU_DEP_2) | instskip(SKIP_1) | instid1(TRANS32_DEP_1)
	v_rcp_f32_e32 v5, v4
	v_nop
	v_fma_f32 v6, -v4, v5, 1.0
	s_delay_alu instid0(VALU_DEP_1) | instskip(NEXT) | instid1(VALU_DEP_1)
	v_fmac_f32_e32 v5, v6, v5
	v_mul_f32_e32 v6, v7, v5
	s_delay_alu instid0(VALU_DEP_1) | instskip(NEXT) | instid1(VALU_DEP_1)
	v_fma_f32 v8, -v4, v6, v7
	v_fmac_f32_e32 v6, v8, v5
	s_delay_alu instid0(VALU_DEP_1) | instskip(NEXT) | instid1(VALU_DEP_1)
	v_fma_f32 v4, -v4, v6, v7
	v_div_fmas_f32 v4, v4, v5, v6
	s_delay_alu instid0(VALU_DEP_1) | instskip(NEXT) | instid1(VALU_DEP_1)
	v_div_fixup_f32 v4, v4, v3, v2
	v_fmac_f32_e32 v3, v2, v4
	s_delay_alu instid0(VALU_DEP_1) | instskip(SKIP_1) | instid1(VALU_DEP_2)
	v_div_scale_f32 v2, null, v3, v3, 1.0
	v_div_scale_f32 v7, vcc_lo, 1.0, v3, 1.0
	v_rcp_f32_e32 v5, v2
	v_nop
	s_delay_alu instid0(TRANS32_DEP_1) | instskip(NEXT) | instid1(VALU_DEP_1)
	v_fma_f32 v6, -v2, v5, 1.0
	v_fmac_f32_e32 v5, v6, v5
	s_delay_alu instid0(VALU_DEP_1) | instskip(NEXT) | instid1(VALU_DEP_1)
	v_mul_f32_e32 v6, v7, v5
	v_fma_f32 v8, -v2, v6, v7
	s_delay_alu instid0(VALU_DEP_1) | instskip(NEXT) | instid1(VALU_DEP_1)
	v_fmac_f32_e32 v6, v8, v5
	v_fma_f32 v2, -v2, v6, v7
	s_delay_alu instid0(VALU_DEP_1) | instskip(NEXT) | instid1(VALU_DEP_1)
	v_div_fmas_f32 v2, v2, v5, v6
	v_div_fixup_f32 v2, v2, v3, 1.0
	s_delay_alu instid0(VALU_DEP_1)
	v_mul_f32_e32 v4, v4, v2
	v_xor_b32_e32 v5, 0x80000000, v2
                                        ; implicit-def: $vgpr2_vgpr3
.LBB127_131:
	s_and_not1_saveexec_b32 s1, s1
	s_cbranch_execz .LBB127_133
; %bb.132:
	v_div_scale_f32 v4, null, v2, v2, v3
	v_div_scale_f32 v7, vcc_lo, v3, v2, v3
	s_delay_alu instid0(VALU_DEP_2) | instskip(SKIP_1) | instid1(TRANS32_DEP_1)
	v_rcp_f32_e32 v5, v4
	v_nop
	v_fma_f32 v6, -v4, v5, 1.0
	s_delay_alu instid0(VALU_DEP_1) | instskip(NEXT) | instid1(VALU_DEP_1)
	v_fmac_f32_e32 v5, v6, v5
	v_mul_f32_e32 v6, v7, v5
	s_delay_alu instid0(VALU_DEP_1) | instskip(NEXT) | instid1(VALU_DEP_1)
	v_fma_f32 v8, -v4, v6, v7
	v_fmac_f32_e32 v6, v8, v5
	s_delay_alu instid0(VALU_DEP_1) | instskip(NEXT) | instid1(VALU_DEP_1)
	v_fma_f32 v4, -v4, v6, v7
	v_div_fmas_f32 v4, v4, v5, v6
	s_delay_alu instid0(VALU_DEP_1) | instskip(NEXT) | instid1(VALU_DEP_1)
	v_div_fixup_f32 v5, v4, v2, v3
	v_fmac_f32_e32 v2, v3, v5
	s_delay_alu instid0(VALU_DEP_1) | instskip(NEXT) | instid1(VALU_DEP_1)
	v_div_scale_f32 v3, null, v2, v2, 1.0
	v_rcp_f32_e32 v4, v3
	v_nop
	s_delay_alu instid0(TRANS32_DEP_1) | instskip(NEXT) | instid1(VALU_DEP_1)
	v_fma_f32 v6, -v3, v4, 1.0
	v_fmac_f32_e32 v4, v6, v4
	v_div_scale_f32 v6, vcc_lo, 1.0, v2, 1.0
	s_delay_alu instid0(VALU_DEP_1) | instskip(NEXT) | instid1(VALU_DEP_1)
	v_mul_f32_e32 v7, v6, v4
	v_fma_f32 v8, -v3, v7, v6
	s_delay_alu instid0(VALU_DEP_1) | instskip(NEXT) | instid1(VALU_DEP_1)
	v_fmac_f32_e32 v7, v8, v4
	v_fma_f32 v3, -v3, v7, v6
	s_delay_alu instid0(VALU_DEP_1) | instskip(NEXT) | instid1(VALU_DEP_1)
	v_div_fmas_f32 v3, v3, v4, v7
	v_div_fixup_f32 v4, v3, v2, 1.0
	s_delay_alu instid0(VALU_DEP_1)
	v_mul_f32_e64 v5, v5, -v4
.LBB127_133:
	s_or_b32 exec_lo, exec_lo, s1
	ds_store_b64 v19, v[4:5]
.LBB127_134:
	s_or_b32 exec_lo, exec_lo, s2
	s_wait_dscnt 0x0
	s_barrier_signal -1
	s_barrier_wait -1
	ds_load_b64 v[32:33], v19
	s_mov_b32 s1, exec_lo
	v_cmpx_lt_u32_e32 14, v18
	s_cbranch_execz .LBB127_136
; %bb.135:
	s_wait_dscnt 0x0
	v_pk_mul_f32 v[2:3], v[32:33], v[158:159] op_sel:[1,1] op_sel_hi:[0,1]
	s_delay_alu instid0(VALU_DEP_1)
	v_pk_fma_f32 v[34:35], v[32:33], v[158:159], v[2:3] op_sel_hi:[1,0,1] neg_lo:[0,0,1] neg_hi:[0,0,1]
	v_pk_fma_f32 v[36:37], v[32:33], v[158:159], v[2:3] op_sel_hi:[1,0,1]
	ds_load_2addr_b64 v[2:5], v126 offset0:15 offset1:16
	v_dual_mov_b32 v158, v34 :: v_dual_mov_b32 v159, v37
	s_wait_dscnt 0x0
	v_pk_mul_f32 v[6:7], v[2:3], v[36:37] op_sel:[0,1]
	s_delay_alu instid0(VALU_DEP_1) | instskip(SKIP_1) | instid1(VALU_DEP_1)
	v_pk_fma_f32 v[38:39], v[2:3], v[34:35], v[6:7] op_sel:[0,0,1] op_sel_hi:[1,1,0] neg_lo:[0,0,1] neg_hi:[0,0,1]
	v_pk_fma_f32 v[2:3], v[2:3], v[34:35], v[6:7] op_sel:[0,0,1] op_sel_hi:[1,0,0]
	v_mov_b32_e32 v39, v3
	v_pk_mul_f32 v[2:3], v[4:5], v[36:37] op_sel:[0,1]
	s_delay_alu instid0(VALU_DEP_1) | instskip(SKIP_1) | instid1(VALU_DEP_1)
	v_pk_fma_f32 v[6:7], v[4:5], v[34:35], v[2:3] op_sel:[0,0,1] op_sel_hi:[1,1,0] neg_lo:[0,0,1] neg_hi:[0,0,1]
	v_pk_fma_f32 v[2:3], v[4:5], v[34:35], v[2:3] op_sel:[0,0,1] op_sel_hi:[1,0,0]
	v_mov_b32_e32 v7, v3
	ds_load_2addr_b64 v[2:5], v126 offset0:17 offset1:18
	v_pk_add_f32 v[160:161], v[160:161], v[38:39] neg_lo:[0,1] neg_hi:[0,1]
	v_pk_add_f32 v[162:163], v[162:163], v[6:7] neg_lo:[0,1] neg_hi:[0,1]
	s_wait_dscnt 0x0
	v_pk_mul_f32 v[6:7], v[2:3], v[36:37] op_sel:[0,1]
	s_delay_alu instid0(VALU_DEP_1) | instskip(SKIP_2) | instid1(VALU_DEP_2)
	v_pk_fma_f32 v[38:39], v[2:3], v[34:35], v[6:7] op_sel:[0,0,1] op_sel_hi:[1,1,0] neg_lo:[0,0,1] neg_hi:[0,0,1]
	v_pk_fma_f32 v[2:3], v[2:3], v[34:35], v[6:7] op_sel:[0,0,1] op_sel_hi:[1,0,0]
	v_dual_mul_f32 v6, v5, v37 :: v_dual_mov_b32 v2, v5
	v_dual_mov_b32 v39, v3 :: v_dual_mov_b32 v3, v4
	s_delay_alu instid0(VALU_DEP_2) | instskip(SKIP_1) | instid1(VALU_DEP_3)
	v_pk_fma_f32 v[6:7], v[4:5], v[158:159], v[6:7] op_sel_hi:[1,1,0] neg_lo:[0,0,1] neg_hi:[0,0,1]
	v_mul_f32_e32 v4, v5, v34
	v_pk_add_f32 v[164:165], v[164:165], v[38:39] neg_lo:[0,1] neg_hi:[0,1]
	s_delay_alu instid0(VALU_DEP_2) | instskip(NEXT) | instid1(VALU_DEP_1)
	v_pk_fma_f32 v[2:3], v[2:3], v[158:159], v[4:5] op_sel_hi:[1,1,0]
	v_mov_b32_e32 v7, v3
	ds_load_2addr_b64 v[2:5], v126 offset0:19 offset1:20
	v_pk_add_f32 v[166:167], v[166:167], v[6:7] neg_lo:[0,1] neg_hi:[0,1]
	s_wait_dscnt 0x0
	v_pk_mul_f32 v[6:7], v[2:3], v[36:37] op_sel:[0,1]
	s_delay_alu instid0(VALU_DEP_1) | instskip(SKIP_1) | instid1(VALU_DEP_1)
	v_pk_fma_f32 v[38:39], v[2:3], v[34:35], v[6:7] op_sel:[0,0,1] op_sel_hi:[1,1,0] neg_lo:[0,0,1] neg_hi:[0,0,1]
	v_pk_fma_f32 v[2:3], v[2:3], v[34:35], v[6:7] op_sel:[0,0,1] op_sel_hi:[1,0,0]
	v_mov_b32_e32 v39, v3
	v_pk_mul_f32 v[2:3], v[4:5], v[36:37] op_sel:[0,1]
	s_delay_alu instid0(VALU_DEP_1) | instskip(SKIP_1) | instid1(VALU_DEP_1)
	v_pk_fma_f32 v[6:7], v[4:5], v[34:35], v[2:3] op_sel:[0,0,1] op_sel_hi:[1,1,0] neg_lo:[0,0,1] neg_hi:[0,0,1]
	v_pk_fma_f32 v[2:3], v[4:5], v[34:35], v[2:3] op_sel:[0,0,1] op_sel_hi:[1,0,0]
	v_mov_b32_e32 v7, v3
	ds_load_2addr_b64 v[2:5], v126 offset0:21 offset1:22
	v_pk_add_f32 v[168:169], v[168:169], v[38:39] neg_lo:[0,1] neg_hi:[0,1]
	v_pk_add_f32 v[170:171], v[170:171], v[6:7] neg_lo:[0,1] neg_hi:[0,1]
	s_wait_dscnt 0x0
	v_pk_mul_f32 v[6:7], v[2:3], v[36:37] op_sel:[0,1]
	s_delay_alu instid0(VALU_DEP_1) | instskip(SKIP_1) | instid1(VALU_DEP_1)
	v_pk_fma_f32 v[38:39], v[2:3], v[34:35], v[6:7] op_sel:[0,0,1] op_sel_hi:[1,1,0] neg_lo:[0,0,1] neg_hi:[0,0,1]
	v_pk_fma_f32 v[2:3], v[2:3], v[34:35], v[6:7] op_sel:[0,0,1] op_sel_hi:[1,0,0]
	v_mov_b32_e32 v39, v3
	v_pk_mul_f32 v[2:3], v[4:5], v[36:37] op_sel:[0,1]
	s_delay_alu instid0(VALU_DEP_1) | instskip(SKIP_1) | instid1(VALU_DEP_1)
	v_pk_fma_f32 v[6:7], v[4:5], v[34:35], v[2:3] op_sel:[0,0,1] op_sel_hi:[1,1,0] neg_lo:[0,0,1] neg_hi:[0,0,1]
	v_pk_fma_f32 v[2:3], v[4:5], v[34:35], v[2:3] op_sel:[0,0,1] op_sel_hi:[1,0,0]
	v_mov_b32_e32 v7, v3
	ds_load_2addr_b64 v[2:5], v126 offset0:23 offset1:24
	v_pk_add_f32 v[172:173], v[172:173], v[38:39] neg_lo:[0,1] neg_hi:[0,1]
	v_pk_add_f32 v[174:175], v[174:175], v[6:7] neg_lo:[0,1] neg_hi:[0,1]
	s_wait_dscnt 0x0
	v_dual_mul_f32 v6, v3, v37 :: v_dual_mul_f32 v38, v3, v34
	s_delay_alu instid0(VALU_DEP_1) | instskip(NEXT) | instid1(VALU_DEP_2)
	v_pk_fma_f32 v[6:7], v[2:3], v[158:159], v[6:7] op_sel_hi:[1,1,0] neg_lo:[0,0,1] neg_hi:[0,0,1]
	v_pk_fma_f32 v[2:3], v[2:3], v[158:159], v[38:39] op_sel:[1,0,0] op_sel_hi:[0,1,0]
	s_delay_alu instid0(VALU_DEP_1) | instskip(SKIP_1) | instid1(VALU_DEP_2)
	v_mov_b32_e32 v7, v3
	v_pk_mul_f32 v[2:3], v[4:5], v[36:37] op_sel:[0,1]
	v_pk_add_f32 v[176:177], v[176:177], v[6:7] neg_lo:[0,1] neg_hi:[0,1]
	s_delay_alu instid0(VALU_DEP_2) | instskip(SKIP_1) | instid1(VALU_DEP_1)
	v_pk_fma_f32 v[6:7], v[4:5], v[34:35], v[2:3] op_sel:[0,0,1] op_sel_hi:[1,1,0] neg_lo:[0,0,1] neg_hi:[0,0,1]
	v_pk_fma_f32 v[2:3], v[4:5], v[34:35], v[2:3] op_sel:[0,0,1] op_sel_hi:[1,0,0]
	v_mov_b32_e32 v7, v3
	ds_load_2addr_b64 v[2:5], v126 offset0:25 offset1:26
	v_pk_add_f32 v[178:179], v[178:179], v[6:7] neg_lo:[0,1] neg_hi:[0,1]
	s_wait_dscnt 0x0
	v_pk_mul_f32 v[6:7], v[2:3], v[36:37] op_sel:[0,1]
	s_delay_alu instid0(VALU_DEP_1) | instskip(SKIP_1) | instid1(VALU_DEP_1)
	v_pk_fma_f32 v[38:39], v[2:3], v[34:35], v[6:7] op_sel:[0,0,1] op_sel_hi:[1,1,0] neg_lo:[0,0,1] neg_hi:[0,0,1]
	v_pk_fma_f32 v[2:3], v[2:3], v[34:35], v[6:7] op_sel:[0,0,1] op_sel_hi:[1,0,0]
	v_mov_b32_e32 v39, v3
	v_pk_mul_f32 v[2:3], v[4:5], v[36:37] op_sel:[0,1]
	s_delay_alu instid0(VALU_DEP_2) | instskip(NEXT) | instid1(VALU_DEP_2)
	v_pk_add_f32 v[180:181], v[180:181], v[38:39] neg_lo:[0,1] neg_hi:[0,1]
	v_pk_fma_f32 v[6:7], v[4:5], v[34:35], v[2:3] op_sel:[0,0,1] op_sel_hi:[1,1,0] neg_lo:[0,0,1] neg_hi:[0,0,1]
	v_pk_fma_f32 v[2:3], v[4:5], v[34:35], v[2:3] op_sel:[0,0,1] op_sel_hi:[1,0,0]
	s_delay_alu instid0(VALU_DEP_1) | instskip(SKIP_4) | instid1(VALU_DEP_1)
	v_mov_b32_e32 v7, v3
	ds_load_2addr_b64 v[2:5], v126 offset0:27 offset1:28
	v_pk_add_f32 v[182:183], v[182:183], v[6:7] neg_lo:[0,1] neg_hi:[0,1]
	s_wait_dscnt 0x0
	v_pk_mul_f32 v[6:7], v[2:3], v[36:37] op_sel:[0,1]
	v_pk_fma_f32 v[38:39], v[2:3], v[34:35], v[6:7] op_sel:[0,0,1] op_sel_hi:[1,1,0] neg_lo:[0,0,1] neg_hi:[0,0,1]
	v_pk_fma_f32 v[2:3], v[2:3], v[34:35], v[6:7] op_sel:[0,0,1] op_sel_hi:[1,0,0]
	v_dual_mul_f32 v6, v5, v37 :: v_dual_mov_b32 v2, v5
	s_delay_alu instid0(VALU_DEP_2) | instskip(NEXT) | instid1(VALU_DEP_2)
	v_dual_mov_b32 v39, v3 :: v_dual_mov_b32 v3, v4
	v_pk_fma_f32 v[6:7], v[4:5], v[158:159], v[6:7] op_sel_hi:[1,1,0] neg_lo:[0,0,1] neg_hi:[0,0,1]
	v_mul_f32_e32 v4, v5, v34
	s_delay_alu instid0(VALU_DEP_3) | instskip(NEXT) | instid1(VALU_DEP_2)
	v_pk_add_f32 v[184:185], v[184:185], v[38:39] neg_lo:[0,1] neg_hi:[0,1]
	v_pk_fma_f32 v[2:3], v[2:3], v[158:159], v[4:5] op_sel_hi:[1,1,0]
	s_delay_alu instid0(VALU_DEP_1) | instskip(SKIP_4) | instid1(VALU_DEP_1)
	v_mov_b32_e32 v7, v3
	ds_load_2addr_b64 v[2:5], v126 offset0:29 offset1:30
	v_pk_add_f32 v[186:187], v[186:187], v[6:7] neg_lo:[0,1] neg_hi:[0,1]
	s_wait_dscnt 0x0
	v_pk_mul_f32 v[6:7], v[2:3], v[36:37] op_sel:[0,1]
	v_pk_fma_f32 v[38:39], v[2:3], v[34:35], v[6:7] op_sel:[0,0,1] op_sel_hi:[1,1,0] neg_lo:[0,0,1] neg_hi:[0,0,1]
	v_pk_fma_f32 v[2:3], v[2:3], v[34:35], v[6:7] op_sel:[0,0,1] op_sel_hi:[1,0,0]
	s_delay_alu instid0(VALU_DEP_1) | instskip(SKIP_1) | instid1(VALU_DEP_1)
	v_mov_b32_e32 v39, v3
	v_pk_mul_f32 v[2:3], v[4:5], v[36:37] op_sel:[0,1]
	v_pk_fma_f32 v[6:7], v[4:5], v[34:35], v[2:3] op_sel:[0,0,1] op_sel_hi:[1,1,0] neg_lo:[0,0,1] neg_hi:[0,0,1]
	v_pk_fma_f32 v[2:3], v[4:5], v[34:35], v[2:3] op_sel:[0,0,1] op_sel_hi:[1,0,0]
	s_delay_alu instid0(VALU_DEP_1)
	v_mov_b32_e32 v7, v3
	ds_load_2addr_b64 v[2:5], v126 offset0:31 offset1:32
	v_pk_add_f32 v[188:189], v[188:189], v[38:39] neg_lo:[0,1] neg_hi:[0,1]
	v_pk_add_f32 v[190:191], v[190:191], v[6:7] neg_lo:[0,1] neg_hi:[0,1]
	s_wait_dscnt 0x0
	v_pk_mul_f32 v[6:7], v[2:3], v[36:37] op_sel:[0,1]
	s_delay_alu instid0(VALU_DEP_1) | instskip(SKIP_1) | instid1(VALU_DEP_1)
	v_pk_fma_f32 v[38:39], v[2:3], v[34:35], v[6:7] op_sel:[0,0,1] op_sel_hi:[1,1,0] neg_lo:[0,0,1] neg_hi:[0,0,1]
	v_pk_fma_f32 v[2:3], v[2:3], v[34:35], v[6:7] op_sel:[0,0,1] op_sel_hi:[1,0,0]
	v_mov_b32_e32 v39, v3
	v_pk_mul_f32 v[2:3], v[4:5], v[36:37] op_sel:[0,1]
	s_delay_alu instid0(VALU_DEP_1) | instskip(SKIP_1) | instid1(VALU_DEP_1)
	v_pk_fma_f32 v[6:7], v[4:5], v[34:35], v[2:3] op_sel:[0,0,1] op_sel_hi:[1,1,0] neg_lo:[0,0,1] neg_hi:[0,0,1]
	v_pk_fma_f32 v[2:3], v[4:5], v[34:35], v[2:3] op_sel:[0,0,1] op_sel_hi:[1,0,0]
	v_mov_b32_e32 v7, v3
	ds_load_2addr_b64 v[2:5], v126 offset0:33 offset1:34
	v_pk_add_f32 v[192:193], v[192:193], v[38:39] neg_lo:[0,1] neg_hi:[0,1]
	v_pk_add_f32 v[194:195], v[194:195], v[6:7] neg_lo:[0,1] neg_hi:[0,1]
	s_wait_dscnt 0x0
	v_dual_mul_f32 v6, v3, v37 :: v_dual_mul_f32 v38, v3, v34
	s_delay_alu instid0(VALU_DEP_1) | instskip(NEXT) | instid1(VALU_DEP_2)
	v_pk_fma_f32 v[6:7], v[2:3], v[158:159], v[6:7] op_sel_hi:[1,1,0] neg_lo:[0,0,1] neg_hi:[0,0,1]
	v_pk_fma_f32 v[2:3], v[2:3], v[158:159], v[38:39] op_sel:[1,0,0] op_sel_hi:[0,1,0]
	s_delay_alu instid0(VALU_DEP_1) | instskip(SKIP_1) | instid1(VALU_DEP_2)
	v_mov_b32_e32 v7, v3
	v_pk_mul_f32 v[2:3], v[4:5], v[36:37] op_sel:[0,1]
	v_pk_add_f32 v[196:197], v[196:197], v[6:7] neg_lo:[0,1] neg_hi:[0,1]
	s_delay_alu instid0(VALU_DEP_2) | instskip(SKIP_1) | instid1(VALU_DEP_1)
	v_pk_fma_f32 v[6:7], v[4:5], v[34:35], v[2:3] op_sel:[0,0,1] op_sel_hi:[1,1,0] neg_lo:[0,0,1] neg_hi:[0,0,1]
	v_pk_fma_f32 v[2:3], v[4:5], v[34:35], v[2:3] op_sel:[0,0,1] op_sel_hi:[1,0,0]
	v_mov_b32_e32 v7, v3
	ds_load_2addr_b64 v[2:5], v126 offset0:35 offset1:36
	v_pk_add_f32 v[198:199], v[198:199], v[6:7] neg_lo:[0,1] neg_hi:[0,1]
	s_wait_dscnt 0x0
	v_pk_mul_f32 v[6:7], v[2:3], v[36:37] op_sel:[0,1]
	s_delay_alu instid0(VALU_DEP_1) | instskip(SKIP_1) | instid1(VALU_DEP_1)
	v_pk_fma_f32 v[38:39], v[2:3], v[34:35], v[6:7] op_sel:[0,0,1] op_sel_hi:[1,1,0] neg_lo:[0,0,1] neg_hi:[0,0,1]
	v_pk_fma_f32 v[2:3], v[2:3], v[34:35], v[6:7] op_sel:[0,0,1] op_sel_hi:[1,0,0]
	v_mov_b32_e32 v39, v3
	v_pk_mul_f32 v[2:3], v[4:5], v[36:37] op_sel:[0,1]
	s_delay_alu instid0(VALU_DEP_2) | instskip(NEXT) | instid1(VALU_DEP_2)
	v_pk_add_f32 v[200:201], v[200:201], v[38:39] neg_lo:[0,1] neg_hi:[0,1]
	v_pk_fma_f32 v[6:7], v[4:5], v[34:35], v[2:3] op_sel:[0,0,1] op_sel_hi:[1,1,0] neg_lo:[0,0,1] neg_hi:[0,0,1]
	v_pk_fma_f32 v[2:3], v[4:5], v[34:35], v[2:3] op_sel:[0,0,1] op_sel_hi:[1,0,0]
	s_delay_alu instid0(VALU_DEP_1) | instskip(SKIP_4) | instid1(VALU_DEP_1)
	v_mov_b32_e32 v7, v3
	ds_load_2addr_b64 v[2:5], v126 offset0:37 offset1:38
	v_pk_add_f32 v[202:203], v[202:203], v[6:7] neg_lo:[0,1] neg_hi:[0,1]
	s_wait_dscnt 0x0
	v_pk_mul_f32 v[6:7], v[2:3], v[36:37] op_sel:[0,1]
	v_pk_fma_f32 v[38:39], v[2:3], v[34:35], v[6:7] op_sel:[0,0,1] op_sel_hi:[1,1,0] neg_lo:[0,0,1] neg_hi:[0,0,1]
	v_pk_fma_f32 v[2:3], v[2:3], v[34:35], v[6:7] op_sel:[0,0,1] op_sel_hi:[1,0,0]
	v_dual_mul_f32 v6, v5, v37 :: v_dual_mov_b32 v2, v5
	s_delay_alu instid0(VALU_DEP_2) | instskip(NEXT) | instid1(VALU_DEP_2)
	v_dual_mov_b32 v39, v3 :: v_dual_mov_b32 v3, v4
	v_pk_fma_f32 v[6:7], v[4:5], v[158:159], v[6:7] op_sel_hi:[1,1,0] neg_lo:[0,0,1] neg_hi:[0,0,1]
	v_mul_f32_e32 v4, v5, v34
	s_delay_alu instid0(VALU_DEP_3) | instskip(NEXT) | instid1(VALU_DEP_2)
	v_pk_add_f32 v[204:205], v[204:205], v[38:39] neg_lo:[0,1] neg_hi:[0,1]
	v_pk_fma_f32 v[2:3], v[2:3], v[158:159], v[4:5] op_sel_hi:[1,1,0]
	s_delay_alu instid0(VALU_DEP_1) | instskip(SKIP_4) | instid1(VALU_DEP_1)
	v_mov_b32_e32 v7, v3
	ds_load_2addr_b64 v[2:5], v126 offset0:39 offset1:40
	v_pk_add_f32 v[206:207], v[206:207], v[6:7] neg_lo:[0,1] neg_hi:[0,1]
	s_wait_dscnt 0x0
	v_pk_mul_f32 v[6:7], v[2:3], v[36:37] op_sel:[0,1]
	v_pk_fma_f32 v[38:39], v[2:3], v[34:35], v[6:7] op_sel:[0,0,1] op_sel_hi:[1,1,0] neg_lo:[0,0,1] neg_hi:[0,0,1]
	v_pk_fma_f32 v[2:3], v[2:3], v[34:35], v[6:7] op_sel:[0,0,1] op_sel_hi:[1,0,0]
	s_delay_alu instid0(VALU_DEP_1) | instskip(SKIP_1) | instid1(VALU_DEP_1)
	v_mov_b32_e32 v39, v3
	v_pk_mul_f32 v[2:3], v[4:5], v[36:37] op_sel:[0,1]
	v_pk_fma_f32 v[6:7], v[4:5], v[34:35], v[2:3] op_sel:[0,0,1] op_sel_hi:[1,1,0] neg_lo:[0,0,1] neg_hi:[0,0,1]
	v_pk_fma_f32 v[2:3], v[4:5], v[34:35], v[2:3] op_sel:[0,0,1] op_sel_hi:[1,0,0]
	s_delay_alu instid0(VALU_DEP_1)
	v_mov_b32_e32 v7, v3
	ds_load_2addr_b64 v[2:5], v126 offset0:41 offset1:42
	v_pk_add_f32 v[208:209], v[208:209], v[38:39] neg_lo:[0,1] neg_hi:[0,1]
	v_pk_add_f32 v[210:211], v[210:211], v[6:7] neg_lo:[0,1] neg_hi:[0,1]
	s_wait_dscnt 0x0
	v_pk_mul_f32 v[6:7], v[2:3], v[36:37] op_sel:[0,1]
	s_delay_alu instid0(VALU_DEP_1) | instskip(SKIP_1) | instid1(VALU_DEP_1)
	v_pk_fma_f32 v[38:39], v[2:3], v[34:35], v[6:7] op_sel:[0,0,1] op_sel_hi:[1,1,0] neg_lo:[0,0,1] neg_hi:[0,0,1]
	v_pk_fma_f32 v[2:3], v[2:3], v[34:35], v[6:7] op_sel:[0,0,1] op_sel_hi:[1,0,0]
	v_mov_b32_e32 v39, v3
	v_pk_mul_f32 v[2:3], v[4:5], v[36:37] op_sel:[0,1]
	s_delay_alu instid0(VALU_DEP_1) | instskip(SKIP_1) | instid1(VALU_DEP_1)
	v_pk_fma_f32 v[6:7], v[4:5], v[34:35], v[2:3] op_sel:[0,0,1] op_sel_hi:[1,1,0] neg_lo:[0,0,1] neg_hi:[0,0,1]
	v_pk_fma_f32 v[2:3], v[4:5], v[34:35], v[2:3] op_sel:[0,0,1] op_sel_hi:[1,0,0]
	v_mov_b32_e32 v7, v3
	ds_load_2addr_b64 v[2:5], v126 offset0:43 offset1:44
	v_pk_add_f32 v[212:213], v[212:213], v[38:39] neg_lo:[0,1] neg_hi:[0,1]
	v_pk_add_f32 v[214:215], v[214:215], v[6:7] neg_lo:[0,1] neg_hi:[0,1]
	s_wait_dscnt 0x0
	v_dual_mul_f32 v6, v3, v37 :: v_dual_mul_f32 v38, v3, v34
	s_delay_alu instid0(VALU_DEP_1) | instskip(NEXT) | instid1(VALU_DEP_2)
	v_pk_fma_f32 v[6:7], v[2:3], v[158:159], v[6:7] op_sel_hi:[1,1,0] neg_lo:[0,0,1] neg_hi:[0,0,1]
	v_pk_fma_f32 v[2:3], v[2:3], v[158:159], v[38:39] op_sel:[1,0,0] op_sel_hi:[0,1,0]
	s_delay_alu instid0(VALU_DEP_1) | instskip(SKIP_1) | instid1(VALU_DEP_2)
	v_mov_b32_e32 v7, v3
	v_pk_mul_f32 v[2:3], v[4:5], v[36:37] op_sel:[0,1]
	v_pk_add_f32 v[216:217], v[216:217], v[6:7] neg_lo:[0,1] neg_hi:[0,1]
	s_delay_alu instid0(VALU_DEP_2) | instskip(SKIP_1) | instid1(VALU_DEP_1)
	v_pk_fma_f32 v[6:7], v[4:5], v[34:35], v[2:3] op_sel:[0,0,1] op_sel_hi:[1,1,0] neg_lo:[0,0,1] neg_hi:[0,0,1]
	v_pk_fma_f32 v[2:3], v[4:5], v[34:35], v[2:3] op_sel:[0,0,1] op_sel_hi:[1,0,0]
	v_mov_b32_e32 v7, v3
	ds_load_2addr_b64 v[2:5], v126 offset0:45 offset1:46
	v_pk_add_f32 v[218:219], v[218:219], v[6:7] neg_lo:[0,1] neg_hi:[0,1]
	s_wait_dscnt 0x0
	v_pk_mul_f32 v[6:7], v[2:3], v[36:37] op_sel:[0,1]
	s_delay_alu instid0(VALU_DEP_1) | instskip(SKIP_1) | instid1(VALU_DEP_1)
	v_pk_fma_f32 v[38:39], v[2:3], v[34:35], v[6:7] op_sel:[0,0,1] op_sel_hi:[1,1,0] neg_lo:[0,0,1] neg_hi:[0,0,1]
	v_pk_fma_f32 v[2:3], v[2:3], v[34:35], v[6:7] op_sel:[0,0,1] op_sel_hi:[1,0,0]
	v_mov_b32_e32 v39, v3
	v_pk_mul_f32 v[2:3], v[4:5], v[36:37] op_sel:[0,1]
	s_delay_alu instid0(VALU_DEP_2) | instskip(NEXT) | instid1(VALU_DEP_2)
	v_pk_add_f32 v[220:221], v[220:221], v[38:39] neg_lo:[0,1] neg_hi:[0,1]
	v_pk_fma_f32 v[6:7], v[4:5], v[34:35], v[2:3] op_sel:[0,0,1] op_sel_hi:[1,1,0] neg_lo:[0,0,1] neg_hi:[0,0,1]
	v_pk_fma_f32 v[2:3], v[4:5], v[34:35], v[2:3] op_sel:[0,0,1] op_sel_hi:[1,0,0]
	s_delay_alu instid0(VALU_DEP_1) | instskip(SKIP_4) | instid1(VALU_DEP_1)
	v_mov_b32_e32 v7, v3
	ds_load_2addr_b64 v[2:5], v126 offset0:47 offset1:48
	v_pk_add_f32 v[222:223], v[222:223], v[6:7] neg_lo:[0,1] neg_hi:[0,1]
	s_wait_dscnt 0x0
	v_pk_mul_f32 v[6:7], v[2:3], v[36:37] op_sel:[0,1]
	v_pk_fma_f32 v[38:39], v[2:3], v[34:35], v[6:7] op_sel:[0,0,1] op_sel_hi:[1,1,0] neg_lo:[0,0,1] neg_hi:[0,0,1]
	v_pk_fma_f32 v[2:3], v[2:3], v[34:35], v[6:7] op_sel:[0,0,1] op_sel_hi:[1,0,0]
	v_dual_mul_f32 v6, v5, v37 :: v_dual_mov_b32 v2, v5
	s_delay_alu instid0(VALU_DEP_2) | instskip(NEXT) | instid1(VALU_DEP_2)
	v_dual_mov_b32 v39, v3 :: v_dual_mov_b32 v3, v4
	v_pk_fma_f32 v[6:7], v[4:5], v[158:159], v[6:7] op_sel_hi:[1,1,0] neg_lo:[0,0,1] neg_hi:[0,0,1]
	v_mul_f32_e32 v4, v5, v34
	s_delay_alu instid0(VALU_DEP_3) | instskip(NEXT) | instid1(VALU_DEP_2)
	v_pk_add_f32 v[224:225], v[224:225], v[38:39] neg_lo:[0,1] neg_hi:[0,1]
	v_pk_fma_f32 v[2:3], v[2:3], v[158:159], v[4:5] op_sel_hi:[1,1,0]
	s_delay_alu instid0(VALU_DEP_1) | instskip(SKIP_4) | instid1(VALU_DEP_1)
	v_mov_b32_e32 v7, v3
	ds_load_2addr_b64 v[2:5], v126 offset0:49 offset1:50
	v_pk_add_f32 v[226:227], v[226:227], v[6:7] neg_lo:[0,1] neg_hi:[0,1]
	s_wait_dscnt 0x0
	v_pk_mul_f32 v[6:7], v[2:3], v[36:37] op_sel:[0,1]
	v_pk_fma_f32 v[38:39], v[2:3], v[34:35], v[6:7] op_sel:[0,0,1] op_sel_hi:[1,1,0] neg_lo:[0,0,1] neg_hi:[0,0,1]
	v_pk_fma_f32 v[2:3], v[2:3], v[34:35], v[6:7] op_sel:[0,0,1] op_sel_hi:[1,0,0]
	s_delay_alu instid0(VALU_DEP_1) | instskip(SKIP_1) | instid1(VALU_DEP_1)
	v_mov_b32_e32 v39, v3
	v_pk_mul_f32 v[2:3], v[4:5], v[36:37] op_sel:[0,1]
	v_pk_fma_f32 v[6:7], v[4:5], v[34:35], v[2:3] op_sel:[0,0,1] op_sel_hi:[1,1,0] neg_lo:[0,0,1] neg_hi:[0,0,1]
	v_pk_fma_f32 v[2:3], v[4:5], v[34:35], v[2:3] op_sel:[0,0,1] op_sel_hi:[1,0,0]
	s_delay_alu instid0(VALU_DEP_1)
	v_mov_b32_e32 v7, v3
	ds_load_2addr_b64 v[2:5], v126 offset0:51 offset1:52
	v_pk_add_f32 v[228:229], v[228:229], v[38:39] neg_lo:[0,1] neg_hi:[0,1]
	v_pk_add_f32 v[230:231], v[230:231], v[6:7] neg_lo:[0,1] neg_hi:[0,1]
	s_wait_dscnt 0x0
	v_pk_mul_f32 v[6:7], v[2:3], v[36:37] op_sel:[0,1]
	s_delay_alu instid0(VALU_DEP_1) | instskip(SKIP_1) | instid1(VALU_DEP_1)
	v_pk_fma_f32 v[38:39], v[2:3], v[34:35], v[6:7] op_sel:[0,0,1] op_sel_hi:[1,1,0] neg_lo:[0,0,1] neg_hi:[0,0,1]
	v_pk_fma_f32 v[2:3], v[2:3], v[34:35], v[6:7] op_sel:[0,0,1] op_sel_hi:[1,0,0]
	v_mov_b32_e32 v39, v3
	v_pk_mul_f32 v[2:3], v[4:5], v[36:37] op_sel:[0,1]
	s_delay_alu instid0(VALU_DEP_1) | instskip(SKIP_1) | instid1(VALU_DEP_1)
	v_pk_fma_f32 v[6:7], v[4:5], v[34:35], v[2:3] op_sel:[0,0,1] op_sel_hi:[1,1,0] neg_lo:[0,0,1] neg_hi:[0,0,1]
	v_pk_fma_f32 v[2:3], v[4:5], v[34:35], v[2:3] op_sel:[0,0,1] op_sel_hi:[1,0,0]
	v_mov_b32_e32 v7, v3
	ds_load_2addr_b64 v[2:5], v126 offset0:53 offset1:54
	v_pk_add_f32 v[232:233], v[232:233], v[38:39] neg_lo:[0,1] neg_hi:[0,1]
	v_pk_add_f32 v[234:235], v[234:235], v[6:7] neg_lo:[0,1] neg_hi:[0,1]
	s_wait_dscnt 0x0
	v_dual_mul_f32 v6, v3, v37 :: v_dual_mul_f32 v38, v3, v34
	s_delay_alu instid0(VALU_DEP_1) | instskip(NEXT) | instid1(VALU_DEP_2)
	v_pk_fma_f32 v[6:7], v[2:3], v[158:159], v[6:7] op_sel_hi:[1,1,0] neg_lo:[0,0,1] neg_hi:[0,0,1]
	v_pk_fma_f32 v[2:3], v[2:3], v[158:159], v[38:39] op_sel:[1,0,0] op_sel_hi:[0,1,0]
	s_delay_alu instid0(VALU_DEP_1) | instskip(SKIP_1) | instid1(VALU_DEP_2)
	v_mov_b32_e32 v7, v3
	v_pk_mul_f32 v[2:3], v[4:5], v[36:37] op_sel:[0,1]
	v_pk_add_f32 v[236:237], v[236:237], v[6:7] neg_lo:[0,1] neg_hi:[0,1]
	s_delay_alu instid0(VALU_DEP_2) | instskip(SKIP_1) | instid1(VALU_DEP_1)
	v_pk_fma_f32 v[6:7], v[4:5], v[34:35], v[2:3] op_sel:[0,0,1] op_sel_hi:[1,1,0] neg_lo:[0,0,1] neg_hi:[0,0,1]
	v_pk_fma_f32 v[2:3], v[4:5], v[34:35], v[2:3] op_sel:[0,0,1] op_sel_hi:[1,0,0]
	v_mov_b32_e32 v7, v3
	ds_load_2addr_b64 v[2:5], v126 offset0:55 offset1:56
	v_pk_add_f32 v[238:239], v[238:239], v[6:7] neg_lo:[0,1] neg_hi:[0,1]
	s_wait_dscnt 0x0
	v_pk_mul_f32 v[6:7], v[2:3], v[36:37] op_sel:[0,1]
	s_delay_alu instid0(VALU_DEP_1) | instskip(SKIP_1) | instid1(VALU_DEP_1)
	v_pk_fma_f32 v[38:39], v[2:3], v[34:35], v[6:7] op_sel:[0,0,1] op_sel_hi:[1,1,0] neg_lo:[0,0,1] neg_hi:[0,0,1]
	v_pk_fma_f32 v[2:3], v[2:3], v[34:35], v[6:7] op_sel:[0,0,1] op_sel_hi:[1,0,0]
	v_mov_b32_e32 v39, v3
	v_pk_mul_f32 v[2:3], v[4:5], v[36:37] op_sel:[0,1]
	s_delay_alu instid0(VALU_DEP_2) | instskip(NEXT) | instid1(VALU_DEP_2)
	v_pk_add_f32 v[240:241], v[240:241], v[38:39] neg_lo:[0,1] neg_hi:[0,1]
	v_pk_fma_f32 v[6:7], v[4:5], v[34:35], v[2:3] op_sel:[0,0,1] op_sel_hi:[1,1,0] neg_lo:[0,0,1] neg_hi:[0,0,1]
	v_pk_fma_f32 v[2:3], v[4:5], v[34:35], v[2:3] op_sel:[0,0,1] op_sel_hi:[1,0,0]
	s_delay_alu instid0(VALU_DEP_1) | instskip(SKIP_4) | instid1(VALU_DEP_1)
	v_mov_b32_e32 v7, v3
	ds_load_2addr_b64 v[2:5], v126 offset0:57 offset1:58
	v_pk_add_f32 v[252:253], v[252:253], v[6:7] neg_lo:[0,1] neg_hi:[0,1]
	s_wait_dscnt 0x0
	v_pk_mul_f32 v[6:7], v[2:3], v[36:37] op_sel:[0,1]
	v_pk_fma_f32 v[38:39], v[2:3], v[34:35], v[6:7] op_sel:[0,0,1] op_sel_hi:[1,1,0] neg_lo:[0,0,1] neg_hi:[0,0,1]
	v_pk_fma_f32 v[2:3], v[2:3], v[34:35], v[6:7] op_sel:[0,0,1] op_sel_hi:[1,0,0]
	v_dual_mul_f32 v6, v5, v37 :: v_dual_mov_b32 v2, v5
	s_delay_alu instid0(VALU_DEP_2) | instskip(NEXT) | instid1(VALU_DEP_2)
	v_dual_mov_b32 v39, v3 :: v_dual_mov_b32 v3, v4
	v_pk_fma_f32 v[6:7], v[4:5], v[158:159], v[6:7] op_sel_hi:[1,1,0] neg_lo:[0,0,1] neg_hi:[0,0,1]
	v_mul_f32_e32 v4, v5, v34
	s_delay_alu instid0(VALU_DEP_3) | instskip(NEXT) | instid1(VALU_DEP_2)
	v_pk_add_f32 v[246:247], v[246:247], v[38:39] neg_lo:[0,1] neg_hi:[0,1]
	v_pk_fma_f32 v[2:3], v[2:3], v[158:159], v[4:5] op_sel_hi:[1,1,0]
	s_delay_alu instid0(VALU_DEP_1) | instskip(SKIP_4) | instid1(VALU_DEP_1)
	v_mov_b32_e32 v7, v3
	ds_load_2addr_b64 v[2:5], v126 offset0:59 offset1:60
	v_pk_add_f32 v[250:251], v[250:251], v[6:7] neg_lo:[0,1] neg_hi:[0,1]
	s_wait_dscnt 0x0
	v_pk_mul_f32 v[6:7], v[2:3], v[36:37] op_sel:[0,1]
	v_pk_fma_f32 v[38:39], v[2:3], v[34:35], v[6:7] op_sel:[0,0,1] op_sel_hi:[1,1,0] neg_lo:[0,0,1] neg_hi:[0,0,1]
	v_pk_fma_f32 v[2:3], v[2:3], v[34:35], v[6:7] op_sel:[0,0,1] op_sel_hi:[1,0,0]
	s_delay_alu instid0(VALU_DEP_1) | instskip(SKIP_1) | instid1(VALU_DEP_1)
	v_mov_b32_e32 v39, v3
	v_pk_mul_f32 v[2:3], v[4:5], v[36:37] op_sel:[0,1]
	v_pk_fma_f32 v[6:7], v[4:5], v[34:35], v[2:3] op_sel:[0,0,1] op_sel_hi:[1,1,0] neg_lo:[0,0,1] neg_hi:[0,0,1]
	v_pk_fma_f32 v[2:3], v[4:5], v[34:35], v[2:3] op_sel:[0,0,1] op_sel_hi:[1,0,0]
	s_delay_alu instid0(VALU_DEP_1)
	v_mov_b32_e32 v7, v3
	ds_load_2addr_b64 v[2:5], v126 offset0:61 offset1:62
	v_pk_add_f32 v[244:245], v[244:245], v[38:39] neg_lo:[0,1] neg_hi:[0,1]
	v_pk_add_f32 v[248:249], v[248:249], v[6:7] neg_lo:[0,1] neg_hi:[0,1]
	s_wait_dscnt 0x0
	v_pk_mul_f32 v[6:7], v[2:3], v[36:37] op_sel:[0,1]
	s_delay_alu instid0(VALU_DEP_1) | instskip(SKIP_1) | instid1(VALU_DEP_1)
	v_pk_fma_f32 v[38:39], v[2:3], v[34:35], v[6:7] op_sel:[0,0,1] op_sel_hi:[1,1,0] neg_lo:[0,0,1] neg_hi:[0,0,1]
	v_pk_fma_f32 v[2:3], v[2:3], v[34:35], v[6:7] op_sel:[0,0,1] op_sel_hi:[1,0,0]
	v_mov_b32_e32 v39, v3
	v_pk_mul_f32 v[2:3], v[4:5], v[36:37] op_sel:[0,1]
	s_delay_alu instid0(VALU_DEP_1) | instskip(SKIP_1) | instid1(VALU_DEP_1)
	v_pk_fma_f32 v[6:7], v[4:5], v[34:35], v[2:3] op_sel:[0,0,1] op_sel_hi:[1,1,0] neg_lo:[0,0,1] neg_hi:[0,0,1]
	v_pk_fma_f32 v[2:3], v[4:5], v[34:35], v[2:3] op_sel:[0,0,1] op_sel_hi:[1,0,0]
	v_mov_b32_e32 v7, v3
	ds_load_b64 v[2:3], v126 offset:504
	v_pk_add_f32 v[242:243], v[242:243], v[38:39] neg_lo:[0,1] neg_hi:[0,1]
	v_pk_add_f32 v[254:255], v[254:255], v[6:7] neg_lo:[0,1] neg_hi:[0,1]
	s_wait_dscnt 0x0
	v_pk_mul_f32 v[4:5], v[2:3], v[36:37] op_sel:[0,1]
	s_delay_alu instid0(VALU_DEP_1) | instskip(SKIP_1) | instid1(VALU_DEP_1)
	v_pk_fma_f32 v[6:7], v[2:3], v[34:35], v[4:5] op_sel:[0,0,1] op_sel_hi:[1,1,0] neg_lo:[0,0,1] neg_hi:[0,0,1]
	v_pk_fma_f32 v[2:3], v[2:3], v[34:35], v[4:5] op_sel:[0,0,1] op_sel_hi:[1,0,0]
	v_mov_b32_e32 v7, v3
	s_delay_alu instid0(VALU_DEP_1)
	v_pk_add_f32 v[0:1], v[0:1], v[6:7] neg_lo:[0,1] neg_hi:[0,1]
.LBB127_136:
	s_or_b32 exec_lo, exec_lo, s1
	s_delay_alu instid0(SALU_CYCLE_1)
	s_mov_b32 s2, exec_lo
	s_wait_dscnt 0x0
	s_barrier_signal -1
	s_barrier_wait -1
	v_cmpx_eq_u32_e32 15, v18
	s_cbranch_execz .LBB127_143
; %bb.137:
	v_dual_mov_b32 v2, v162 :: v_dual_mov_b32 v3, v163
	v_dual_mov_b32 v4, v164 :: v_dual_mov_b32 v5, v165
	ds_store_b64 v19, v[160:161]
	ds_store_2addr_b64 v126, v[2:3], v[4:5] offset0:16 offset1:17
	v_dual_mov_b32 v2, v166 :: v_dual_mov_b32 v3, v167
	v_dual_mov_b32 v4, v168 :: v_dual_mov_b32 v5, v169
	ds_store_2addr_b64 v126, v[2:3], v[4:5] offset0:18 offset1:19
	v_dual_mov_b32 v2, v170 :: v_dual_mov_b32 v3, v171
	v_dual_mov_b32 v4, v172 :: v_dual_mov_b32 v5, v173
	;; [unrolled: 3-line block ×22, first 2 shown]
	ds_store_2addr_b64 v126, v[2:3], v[4:5] offset0:60 offset1:61
	v_dual_mov_b32 v2, v254 :: v_dual_mov_b32 v3, v255
	ds_store_2addr_b64 v126, v[2:3], v[0:1] offset0:62 offset1:63
	ds_load_b64 v[2:3], v19
	s_wait_dscnt 0x0
	v_cmp_neq_f32_e32 vcc_lo, 0, v2
	v_cmp_neq_f32_e64 s1, 0, v3
	s_or_b32 s1, vcc_lo, s1
	s_delay_alu instid0(SALU_CYCLE_1)
	s_and_b32 exec_lo, exec_lo, s1
	s_cbranch_execz .LBB127_143
; %bb.138:
	v_cmp_ngt_f32_e64 s1, |v2|, |v3|
                                        ; implicit-def: $vgpr4_vgpr5
	s_and_saveexec_b32 s4, s1
	s_delay_alu instid0(SALU_CYCLE_1)
	s_xor_b32 s1, exec_lo, s4
	s_cbranch_execz .LBB127_140
; %bb.139:
	v_div_scale_f32 v4, null, v3, v3, v2
	v_div_scale_f32 v7, vcc_lo, v2, v3, v2
	s_delay_alu instid0(VALU_DEP_2) | instskip(SKIP_1) | instid1(TRANS32_DEP_1)
	v_rcp_f32_e32 v5, v4
	v_nop
	v_fma_f32 v6, -v4, v5, 1.0
	s_delay_alu instid0(VALU_DEP_1) | instskip(NEXT) | instid1(VALU_DEP_1)
	v_fmac_f32_e32 v5, v6, v5
	v_mul_f32_e32 v6, v7, v5
	s_delay_alu instid0(VALU_DEP_1) | instskip(NEXT) | instid1(VALU_DEP_1)
	v_fma_f32 v8, -v4, v6, v7
	v_fmac_f32_e32 v6, v8, v5
	s_delay_alu instid0(VALU_DEP_1) | instskip(NEXT) | instid1(VALU_DEP_1)
	v_fma_f32 v4, -v4, v6, v7
	v_div_fmas_f32 v4, v4, v5, v6
	s_delay_alu instid0(VALU_DEP_1) | instskip(NEXT) | instid1(VALU_DEP_1)
	v_div_fixup_f32 v4, v4, v3, v2
	v_fmac_f32_e32 v3, v2, v4
	s_delay_alu instid0(VALU_DEP_1) | instskip(SKIP_1) | instid1(VALU_DEP_2)
	v_div_scale_f32 v2, null, v3, v3, 1.0
	v_div_scale_f32 v7, vcc_lo, 1.0, v3, 1.0
	v_rcp_f32_e32 v5, v2
	v_nop
	s_delay_alu instid0(TRANS32_DEP_1) | instskip(NEXT) | instid1(VALU_DEP_1)
	v_fma_f32 v6, -v2, v5, 1.0
	v_fmac_f32_e32 v5, v6, v5
	s_delay_alu instid0(VALU_DEP_1) | instskip(NEXT) | instid1(VALU_DEP_1)
	v_mul_f32_e32 v6, v7, v5
	v_fma_f32 v8, -v2, v6, v7
	s_delay_alu instid0(VALU_DEP_1) | instskip(NEXT) | instid1(VALU_DEP_1)
	v_fmac_f32_e32 v6, v8, v5
	v_fma_f32 v2, -v2, v6, v7
	s_delay_alu instid0(VALU_DEP_1) | instskip(NEXT) | instid1(VALU_DEP_1)
	v_div_fmas_f32 v2, v2, v5, v6
	v_div_fixup_f32 v2, v2, v3, 1.0
	s_delay_alu instid0(VALU_DEP_1)
	v_mul_f32_e32 v4, v4, v2
	v_xor_b32_e32 v5, 0x80000000, v2
                                        ; implicit-def: $vgpr2_vgpr3
.LBB127_140:
	s_and_not1_saveexec_b32 s1, s1
	s_cbranch_execz .LBB127_142
; %bb.141:
	v_div_scale_f32 v4, null, v2, v2, v3
	v_div_scale_f32 v7, vcc_lo, v3, v2, v3
	s_delay_alu instid0(VALU_DEP_2) | instskip(SKIP_1) | instid1(TRANS32_DEP_1)
	v_rcp_f32_e32 v5, v4
	v_nop
	v_fma_f32 v6, -v4, v5, 1.0
	s_delay_alu instid0(VALU_DEP_1) | instskip(NEXT) | instid1(VALU_DEP_1)
	v_fmac_f32_e32 v5, v6, v5
	v_mul_f32_e32 v6, v7, v5
	s_delay_alu instid0(VALU_DEP_1) | instskip(NEXT) | instid1(VALU_DEP_1)
	v_fma_f32 v8, -v4, v6, v7
	v_fmac_f32_e32 v6, v8, v5
	s_delay_alu instid0(VALU_DEP_1) | instskip(NEXT) | instid1(VALU_DEP_1)
	v_fma_f32 v4, -v4, v6, v7
	v_div_fmas_f32 v4, v4, v5, v6
	s_delay_alu instid0(VALU_DEP_1) | instskip(NEXT) | instid1(VALU_DEP_1)
	v_div_fixup_f32 v5, v4, v2, v3
	v_fmac_f32_e32 v2, v3, v5
	s_delay_alu instid0(VALU_DEP_1) | instskip(NEXT) | instid1(VALU_DEP_1)
	v_div_scale_f32 v3, null, v2, v2, 1.0
	v_rcp_f32_e32 v4, v3
	v_nop
	s_delay_alu instid0(TRANS32_DEP_1) | instskip(NEXT) | instid1(VALU_DEP_1)
	v_fma_f32 v6, -v3, v4, 1.0
	v_fmac_f32_e32 v4, v6, v4
	v_div_scale_f32 v6, vcc_lo, 1.0, v2, 1.0
	s_delay_alu instid0(VALU_DEP_1) | instskip(NEXT) | instid1(VALU_DEP_1)
	v_mul_f32_e32 v7, v6, v4
	v_fma_f32 v8, -v3, v7, v6
	s_delay_alu instid0(VALU_DEP_1) | instskip(NEXT) | instid1(VALU_DEP_1)
	v_fmac_f32_e32 v7, v8, v4
	v_fma_f32 v3, -v3, v7, v6
	s_delay_alu instid0(VALU_DEP_1) | instskip(NEXT) | instid1(VALU_DEP_1)
	v_div_fmas_f32 v3, v3, v4, v7
	v_div_fixup_f32 v4, v3, v2, 1.0
	s_delay_alu instid0(VALU_DEP_1)
	v_mul_f32_e64 v5, v5, -v4
.LBB127_142:
	s_or_b32 exec_lo, exec_lo, s1
	ds_store_b64 v19, v[4:5]
.LBB127_143:
	s_or_b32 exec_lo, exec_lo, s2
	s_wait_dscnt 0x0
	s_barrier_signal -1
	s_barrier_wait -1
	ds_load_b64 v[34:35], v19
	s_mov_b32 s1, exec_lo
	v_cmpx_lt_u32_e32 15, v18
	s_cbranch_execz .LBB127_145
; %bb.144:
	s_wait_dscnt 0x0
	v_pk_mul_f32 v[2:3], v[34:35], v[160:161] op_sel:[1,1] op_sel_hi:[0,1]
	s_delay_alu instid0(VALU_DEP_1)
	v_pk_fma_f32 v[36:37], v[34:35], v[160:161], v[2:3] op_sel_hi:[1,0,1] neg_lo:[0,0,1] neg_hi:[0,0,1]
	v_pk_fma_f32 v[38:39], v[34:35], v[160:161], v[2:3] op_sel_hi:[1,0,1]
	ds_load_2addr_b64 v[2:5], v126 offset0:16 offset1:17
	v_dual_mov_b32 v160, v36 :: v_dual_mov_b32 v161, v39
	s_wait_dscnt 0x0
	v_pk_mul_f32 v[6:7], v[2:3], v[38:39] op_sel:[0,1]
	s_delay_alu instid0(VALU_DEP_1) | instskip(SKIP_1) | instid1(VALU_DEP_1)
	v_pk_fma_f32 v[40:41], v[2:3], v[36:37], v[6:7] op_sel:[0,0,1] op_sel_hi:[1,1,0] neg_lo:[0,0,1] neg_hi:[0,0,1]
	v_pk_fma_f32 v[2:3], v[2:3], v[36:37], v[6:7] op_sel:[0,0,1] op_sel_hi:[1,0,0]
	v_mov_b32_e32 v41, v3
	v_pk_mul_f32 v[2:3], v[4:5], v[38:39] op_sel:[0,1]
	s_delay_alu instid0(VALU_DEP_1) | instskip(SKIP_1) | instid1(VALU_DEP_1)
	v_pk_fma_f32 v[6:7], v[4:5], v[36:37], v[2:3] op_sel:[0,0,1] op_sel_hi:[1,1,0] neg_lo:[0,0,1] neg_hi:[0,0,1]
	v_pk_fma_f32 v[2:3], v[4:5], v[36:37], v[2:3] op_sel:[0,0,1] op_sel_hi:[1,0,0]
	v_mov_b32_e32 v7, v3
	ds_load_2addr_b64 v[2:5], v126 offset0:18 offset1:19
	v_pk_add_f32 v[162:163], v[162:163], v[40:41] neg_lo:[0,1] neg_hi:[0,1]
	v_pk_add_f32 v[164:165], v[164:165], v[6:7] neg_lo:[0,1] neg_hi:[0,1]
	s_wait_dscnt 0x0
	v_pk_mul_f32 v[6:7], v[2:3], v[38:39] op_sel:[0,1]
	s_delay_alu instid0(VALU_DEP_1) | instskip(SKIP_2) | instid1(VALU_DEP_2)
	v_pk_fma_f32 v[40:41], v[2:3], v[36:37], v[6:7] op_sel:[0,0,1] op_sel_hi:[1,1,0] neg_lo:[0,0,1] neg_hi:[0,0,1]
	v_pk_fma_f32 v[2:3], v[2:3], v[36:37], v[6:7] op_sel:[0,0,1] op_sel_hi:[1,0,0]
	v_dual_mul_f32 v6, v5, v39 :: v_dual_mov_b32 v2, v5
	v_dual_mov_b32 v41, v3 :: v_dual_mov_b32 v3, v4
	s_delay_alu instid0(VALU_DEP_2) | instskip(SKIP_1) | instid1(VALU_DEP_3)
	v_pk_fma_f32 v[6:7], v[4:5], v[160:161], v[6:7] op_sel_hi:[1,1,0] neg_lo:[0,0,1] neg_hi:[0,0,1]
	v_mul_f32_e32 v4, v5, v36
	v_pk_add_f32 v[166:167], v[166:167], v[40:41] neg_lo:[0,1] neg_hi:[0,1]
	s_delay_alu instid0(VALU_DEP_2) | instskip(NEXT) | instid1(VALU_DEP_1)
	v_pk_fma_f32 v[2:3], v[2:3], v[160:161], v[4:5] op_sel_hi:[1,1,0]
	v_mov_b32_e32 v7, v3
	ds_load_2addr_b64 v[2:5], v126 offset0:20 offset1:21
	v_pk_add_f32 v[168:169], v[168:169], v[6:7] neg_lo:[0,1] neg_hi:[0,1]
	s_wait_dscnt 0x0
	v_pk_mul_f32 v[6:7], v[2:3], v[38:39] op_sel:[0,1]
	s_delay_alu instid0(VALU_DEP_1) | instskip(SKIP_1) | instid1(VALU_DEP_1)
	v_pk_fma_f32 v[40:41], v[2:3], v[36:37], v[6:7] op_sel:[0,0,1] op_sel_hi:[1,1,0] neg_lo:[0,0,1] neg_hi:[0,0,1]
	v_pk_fma_f32 v[2:3], v[2:3], v[36:37], v[6:7] op_sel:[0,0,1] op_sel_hi:[1,0,0]
	v_mov_b32_e32 v41, v3
	v_pk_mul_f32 v[2:3], v[4:5], v[38:39] op_sel:[0,1]
	s_delay_alu instid0(VALU_DEP_1) | instskip(SKIP_1) | instid1(VALU_DEP_1)
	v_pk_fma_f32 v[6:7], v[4:5], v[36:37], v[2:3] op_sel:[0,0,1] op_sel_hi:[1,1,0] neg_lo:[0,0,1] neg_hi:[0,0,1]
	v_pk_fma_f32 v[2:3], v[4:5], v[36:37], v[2:3] op_sel:[0,0,1] op_sel_hi:[1,0,0]
	v_mov_b32_e32 v7, v3
	ds_load_2addr_b64 v[2:5], v126 offset0:22 offset1:23
	v_pk_add_f32 v[170:171], v[170:171], v[40:41] neg_lo:[0,1] neg_hi:[0,1]
	v_pk_add_f32 v[172:173], v[172:173], v[6:7] neg_lo:[0,1] neg_hi:[0,1]
	s_wait_dscnt 0x0
	v_pk_mul_f32 v[6:7], v[2:3], v[38:39] op_sel:[0,1]
	s_delay_alu instid0(VALU_DEP_1) | instskip(SKIP_1) | instid1(VALU_DEP_1)
	v_pk_fma_f32 v[40:41], v[2:3], v[36:37], v[6:7] op_sel:[0,0,1] op_sel_hi:[1,1,0] neg_lo:[0,0,1] neg_hi:[0,0,1]
	v_pk_fma_f32 v[2:3], v[2:3], v[36:37], v[6:7] op_sel:[0,0,1] op_sel_hi:[1,0,0]
	v_mov_b32_e32 v41, v3
	v_pk_mul_f32 v[2:3], v[4:5], v[38:39] op_sel:[0,1]
	s_delay_alu instid0(VALU_DEP_1) | instskip(SKIP_1) | instid1(VALU_DEP_1)
	v_pk_fma_f32 v[6:7], v[4:5], v[36:37], v[2:3] op_sel:[0,0,1] op_sel_hi:[1,1,0] neg_lo:[0,0,1] neg_hi:[0,0,1]
	v_pk_fma_f32 v[2:3], v[4:5], v[36:37], v[2:3] op_sel:[0,0,1] op_sel_hi:[1,0,0]
	v_mov_b32_e32 v7, v3
	ds_load_2addr_b64 v[2:5], v126 offset0:24 offset1:25
	v_pk_add_f32 v[174:175], v[174:175], v[40:41] neg_lo:[0,1] neg_hi:[0,1]
	v_pk_add_f32 v[176:177], v[176:177], v[6:7] neg_lo:[0,1] neg_hi:[0,1]
	s_wait_dscnt 0x0
	v_dual_mul_f32 v6, v3, v39 :: v_dual_mul_f32 v40, v3, v36
	s_delay_alu instid0(VALU_DEP_1) | instskip(NEXT) | instid1(VALU_DEP_2)
	v_pk_fma_f32 v[6:7], v[2:3], v[160:161], v[6:7] op_sel_hi:[1,1,0] neg_lo:[0,0,1] neg_hi:[0,0,1]
	v_pk_fma_f32 v[2:3], v[2:3], v[160:161], v[40:41] op_sel:[1,0,0] op_sel_hi:[0,1,0]
	s_delay_alu instid0(VALU_DEP_1) | instskip(SKIP_1) | instid1(VALU_DEP_2)
	v_mov_b32_e32 v7, v3
	v_pk_mul_f32 v[2:3], v[4:5], v[38:39] op_sel:[0,1]
	v_pk_add_f32 v[178:179], v[178:179], v[6:7] neg_lo:[0,1] neg_hi:[0,1]
	s_delay_alu instid0(VALU_DEP_2) | instskip(SKIP_1) | instid1(VALU_DEP_1)
	v_pk_fma_f32 v[6:7], v[4:5], v[36:37], v[2:3] op_sel:[0,0,1] op_sel_hi:[1,1,0] neg_lo:[0,0,1] neg_hi:[0,0,1]
	v_pk_fma_f32 v[2:3], v[4:5], v[36:37], v[2:3] op_sel:[0,0,1] op_sel_hi:[1,0,0]
	v_mov_b32_e32 v7, v3
	ds_load_2addr_b64 v[2:5], v126 offset0:26 offset1:27
	v_pk_add_f32 v[180:181], v[180:181], v[6:7] neg_lo:[0,1] neg_hi:[0,1]
	s_wait_dscnt 0x0
	v_pk_mul_f32 v[6:7], v[2:3], v[38:39] op_sel:[0,1]
	s_delay_alu instid0(VALU_DEP_1) | instskip(SKIP_1) | instid1(VALU_DEP_1)
	v_pk_fma_f32 v[40:41], v[2:3], v[36:37], v[6:7] op_sel:[0,0,1] op_sel_hi:[1,1,0] neg_lo:[0,0,1] neg_hi:[0,0,1]
	v_pk_fma_f32 v[2:3], v[2:3], v[36:37], v[6:7] op_sel:[0,0,1] op_sel_hi:[1,0,0]
	v_mov_b32_e32 v41, v3
	v_pk_mul_f32 v[2:3], v[4:5], v[38:39] op_sel:[0,1]
	s_delay_alu instid0(VALU_DEP_2) | instskip(NEXT) | instid1(VALU_DEP_2)
	v_pk_add_f32 v[182:183], v[182:183], v[40:41] neg_lo:[0,1] neg_hi:[0,1]
	v_pk_fma_f32 v[6:7], v[4:5], v[36:37], v[2:3] op_sel:[0,0,1] op_sel_hi:[1,1,0] neg_lo:[0,0,1] neg_hi:[0,0,1]
	v_pk_fma_f32 v[2:3], v[4:5], v[36:37], v[2:3] op_sel:[0,0,1] op_sel_hi:[1,0,0]
	s_delay_alu instid0(VALU_DEP_1) | instskip(SKIP_4) | instid1(VALU_DEP_1)
	v_mov_b32_e32 v7, v3
	ds_load_2addr_b64 v[2:5], v126 offset0:28 offset1:29
	v_pk_add_f32 v[184:185], v[184:185], v[6:7] neg_lo:[0,1] neg_hi:[0,1]
	s_wait_dscnt 0x0
	v_pk_mul_f32 v[6:7], v[2:3], v[38:39] op_sel:[0,1]
	v_pk_fma_f32 v[40:41], v[2:3], v[36:37], v[6:7] op_sel:[0,0,1] op_sel_hi:[1,1,0] neg_lo:[0,0,1] neg_hi:[0,0,1]
	v_pk_fma_f32 v[2:3], v[2:3], v[36:37], v[6:7] op_sel:[0,0,1] op_sel_hi:[1,0,0]
	v_dual_mul_f32 v6, v5, v39 :: v_dual_mov_b32 v2, v5
	s_delay_alu instid0(VALU_DEP_2) | instskip(NEXT) | instid1(VALU_DEP_2)
	v_dual_mov_b32 v41, v3 :: v_dual_mov_b32 v3, v4
	v_pk_fma_f32 v[6:7], v[4:5], v[160:161], v[6:7] op_sel_hi:[1,1,0] neg_lo:[0,0,1] neg_hi:[0,0,1]
	v_mul_f32_e32 v4, v5, v36
	s_delay_alu instid0(VALU_DEP_3) | instskip(NEXT) | instid1(VALU_DEP_2)
	v_pk_add_f32 v[186:187], v[186:187], v[40:41] neg_lo:[0,1] neg_hi:[0,1]
	v_pk_fma_f32 v[2:3], v[2:3], v[160:161], v[4:5] op_sel_hi:[1,1,0]
	s_delay_alu instid0(VALU_DEP_1) | instskip(SKIP_4) | instid1(VALU_DEP_1)
	v_mov_b32_e32 v7, v3
	ds_load_2addr_b64 v[2:5], v126 offset0:30 offset1:31
	v_pk_add_f32 v[188:189], v[188:189], v[6:7] neg_lo:[0,1] neg_hi:[0,1]
	s_wait_dscnt 0x0
	v_pk_mul_f32 v[6:7], v[2:3], v[38:39] op_sel:[0,1]
	v_pk_fma_f32 v[40:41], v[2:3], v[36:37], v[6:7] op_sel:[0,0,1] op_sel_hi:[1,1,0] neg_lo:[0,0,1] neg_hi:[0,0,1]
	v_pk_fma_f32 v[2:3], v[2:3], v[36:37], v[6:7] op_sel:[0,0,1] op_sel_hi:[1,0,0]
	s_delay_alu instid0(VALU_DEP_1) | instskip(SKIP_1) | instid1(VALU_DEP_1)
	v_mov_b32_e32 v41, v3
	v_pk_mul_f32 v[2:3], v[4:5], v[38:39] op_sel:[0,1]
	v_pk_fma_f32 v[6:7], v[4:5], v[36:37], v[2:3] op_sel:[0,0,1] op_sel_hi:[1,1,0] neg_lo:[0,0,1] neg_hi:[0,0,1]
	v_pk_fma_f32 v[2:3], v[4:5], v[36:37], v[2:3] op_sel:[0,0,1] op_sel_hi:[1,0,0]
	s_delay_alu instid0(VALU_DEP_1)
	v_mov_b32_e32 v7, v3
	ds_load_2addr_b64 v[2:5], v126 offset0:32 offset1:33
	v_pk_add_f32 v[190:191], v[190:191], v[40:41] neg_lo:[0,1] neg_hi:[0,1]
	v_pk_add_f32 v[192:193], v[192:193], v[6:7] neg_lo:[0,1] neg_hi:[0,1]
	s_wait_dscnt 0x0
	v_pk_mul_f32 v[6:7], v[2:3], v[38:39] op_sel:[0,1]
	s_delay_alu instid0(VALU_DEP_1) | instskip(SKIP_1) | instid1(VALU_DEP_1)
	v_pk_fma_f32 v[40:41], v[2:3], v[36:37], v[6:7] op_sel:[0,0,1] op_sel_hi:[1,1,0] neg_lo:[0,0,1] neg_hi:[0,0,1]
	v_pk_fma_f32 v[2:3], v[2:3], v[36:37], v[6:7] op_sel:[0,0,1] op_sel_hi:[1,0,0]
	v_mov_b32_e32 v41, v3
	v_pk_mul_f32 v[2:3], v[4:5], v[38:39] op_sel:[0,1]
	s_delay_alu instid0(VALU_DEP_1) | instskip(SKIP_1) | instid1(VALU_DEP_1)
	v_pk_fma_f32 v[6:7], v[4:5], v[36:37], v[2:3] op_sel:[0,0,1] op_sel_hi:[1,1,0] neg_lo:[0,0,1] neg_hi:[0,0,1]
	v_pk_fma_f32 v[2:3], v[4:5], v[36:37], v[2:3] op_sel:[0,0,1] op_sel_hi:[1,0,0]
	v_mov_b32_e32 v7, v3
	ds_load_2addr_b64 v[2:5], v126 offset0:34 offset1:35
	v_pk_add_f32 v[194:195], v[194:195], v[40:41] neg_lo:[0,1] neg_hi:[0,1]
	v_pk_add_f32 v[196:197], v[196:197], v[6:7] neg_lo:[0,1] neg_hi:[0,1]
	s_wait_dscnt 0x0
	v_dual_mul_f32 v6, v3, v39 :: v_dual_mul_f32 v40, v3, v36
	s_delay_alu instid0(VALU_DEP_1) | instskip(NEXT) | instid1(VALU_DEP_2)
	v_pk_fma_f32 v[6:7], v[2:3], v[160:161], v[6:7] op_sel_hi:[1,1,0] neg_lo:[0,0,1] neg_hi:[0,0,1]
	v_pk_fma_f32 v[2:3], v[2:3], v[160:161], v[40:41] op_sel:[1,0,0] op_sel_hi:[0,1,0]
	s_delay_alu instid0(VALU_DEP_1) | instskip(SKIP_1) | instid1(VALU_DEP_2)
	v_mov_b32_e32 v7, v3
	v_pk_mul_f32 v[2:3], v[4:5], v[38:39] op_sel:[0,1]
	v_pk_add_f32 v[198:199], v[198:199], v[6:7] neg_lo:[0,1] neg_hi:[0,1]
	s_delay_alu instid0(VALU_DEP_2) | instskip(SKIP_1) | instid1(VALU_DEP_1)
	v_pk_fma_f32 v[6:7], v[4:5], v[36:37], v[2:3] op_sel:[0,0,1] op_sel_hi:[1,1,0] neg_lo:[0,0,1] neg_hi:[0,0,1]
	v_pk_fma_f32 v[2:3], v[4:5], v[36:37], v[2:3] op_sel:[0,0,1] op_sel_hi:[1,0,0]
	v_mov_b32_e32 v7, v3
	ds_load_2addr_b64 v[2:5], v126 offset0:36 offset1:37
	v_pk_add_f32 v[200:201], v[200:201], v[6:7] neg_lo:[0,1] neg_hi:[0,1]
	s_wait_dscnt 0x0
	v_pk_mul_f32 v[6:7], v[2:3], v[38:39] op_sel:[0,1]
	s_delay_alu instid0(VALU_DEP_1) | instskip(SKIP_1) | instid1(VALU_DEP_1)
	v_pk_fma_f32 v[40:41], v[2:3], v[36:37], v[6:7] op_sel:[0,0,1] op_sel_hi:[1,1,0] neg_lo:[0,0,1] neg_hi:[0,0,1]
	v_pk_fma_f32 v[2:3], v[2:3], v[36:37], v[6:7] op_sel:[0,0,1] op_sel_hi:[1,0,0]
	v_mov_b32_e32 v41, v3
	v_pk_mul_f32 v[2:3], v[4:5], v[38:39] op_sel:[0,1]
	s_delay_alu instid0(VALU_DEP_2) | instskip(NEXT) | instid1(VALU_DEP_2)
	v_pk_add_f32 v[202:203], v[202:203], v[40:41] neg_lo:[0,1] neg_hi:[0,1]
	v_pk_fma_f32 v[6:7], v[4:5], v[36:37], v[2:3] op_sel:[0,0,1] op_sel_hi:[1,1,0] neg_lo:[0,0,1] neg_hi:[0,0,1]
	v_pk_fma_f32 v[2:3], v[4:5], v[36:37], v[2:3] op_sel:[0,0,1] op_sel_hi:[1,0,0]
	s_delay_alu instid0(VALU_DEP_1) | instskip(SKIP_4) | instid1(VALU_DEP_1)
	v_mov_b32_e32 v7, v3
	ds_load_2addr_b64 v[2:5], v126 offset0:38 offset1:39
	v_pk_add_f32 v[204:205], v[204:205], v[6:7] neg_lo:[0,1] neg_hi:[0,1]
	s_wait_dscnt 0x0
	v_pk_mul_f32 v[6:7], v[2:3], v[38:39] op_sel:[0,1]
	v_pk_fma_f32 v[40:41], v[2:3], v[36:37], v[6:7] op_sel:[0,0,1] op_sel_hi:[1,1,0] neg_lo:[0,0,1] neg_hi:[0,0,1]
	v_pk_fma_f32 v[2:3], v[2:3], v[36:37], v[6:7] op_sel:[0,0,1] op_sel_hi:[1,0,0]
	v_dual_mul_f32 v6, v5, v39 :: v_dual_mov_b32 v2, v5
	s_delay_alu instid0(VALU_DEP_2) | instskip(NEXT) | instid1(VALU_DEP_2)
	v_dual_mov_b32 v41, v3 :: v_dual_mov_b32 v3, v4
	v_pk_fma_f32 v[6:7], v[4:5], v[160:161], v[6:7] op_sel_hi:[1,1,0] neg_lo:[0,0,1] neg_hi:[0,0,1]
	v_mul_f32_e32 v4, v5, v36
	s_delay_alu instid0(VALU_DEP_3) | instskip(NEXT) | instid1(VALU_DEP_2)
	v_pk_add_f32 v[206:207], v[206:207], v[40:41] neg_lo:[0,1] neg_hi:[0,1]
	v_pk_fma_f32 v[2:3], v[2:3], v[160:161], v[4:5] op_sel_hi:[1,1,0]
	s_delay_alu instid0(VALU_DEP_1) | instskip(SKIP_4) | instid1(VALU_DEP_1)
	v_mov_b32_e32 v7, v3
	ds_load_2addr_b64 v[2:5], v126 offset0:40 offset1:41
	v_pk_add_f32 v[208:209], v[208:209], v[6:7] neg_lo:[0,1] neg_hi:[0,1]
	s_wait_dscnt 0x0
	v_pk_mul_f32 v[6:7], v[2:3], v[38:39] op_sel:[0,1]
	v_pk_fma_f32 v[40:41], v[2:3], v[36:37], v[6:7] op_sel:[0,0,1] op_sel_hi:[1,1,0] neg_lo:[0,0,1] neg_hi:[0,0,1]
	v_pk_fma_f32 v[2:3], v[2:3], v[36:37], v[6:7] op_sel:[0,0,1] op_sel_hi:[1,0,0]
	s_delay_alu instid0(VALU_DEP_1) | instskip(SKIP_1) | instid1(VALU_DEP_1)
	v_mov_b32_e32 v41, v3
	v_pk_mul_f32 v[2:3], v[4:5], v[38:39] op_sel:[0,1]
	v_pk_fma_f32 v[6:7], v[4:5], v[36:37], v[2:3] op_sel:[0,0,1] op_sel_hi:[1,1,0] neg_lo:[0,0,1] neg_hi:[0,0,1]
	v_pk_fma_f32 v[2:3], v[4:5], v[36:37], v[2:3] op_sel:[0,0,1] op_sel_hi:[1,0,0]
	s_delay_alu instid0(VALU_DEP_1)
	v_mov_b32_e32 v7, v3
	ds_load_2addr_b64 v[2:5], v126 offset0:42 offset1:43
	v_pk_add_f32 v[210:211], v[210:211], v[40:41] neg_lo:[0,1] neg_hi:[0,1]
	v_pk_add_f32 v[212:213], v[212:213], v[6:7] neg_lo:[0,1] neg_hi:[0,1]
	s_wait_dscnt 0x0
	v_pk_mul_f32 v[6:7], v[2:3], v[38:39] op_sel:[0,1]
	s_delay_alu instid0(VALU_DEP_1) | instskip(SKIP_1) | instid1(VALU_DEP_1)
	v_pk_fma_f32 v[40:41], v[2:3], v[36:37], v[6:7] op_sel:[0,0,1] op_sel_hi:[1,1,0] neg_lo:[0,0,1] neg_hi:[0,0,1]
	v_pk_fma_f32 v[2:3], v[2:3], v[36:37], v[6:7] op_sel:[0,0,1] op_sel_hi:[1,0,0]
	v_mov_b32_e32 v41, v3
	v_pk_mul_f32 v[2:3], v[4:5], v[38:39] op_sel:[0,1]
	s_delay_alu instid0(VALU_DEP_1) | instskip(SKIP_1) | instid1(VALU_DEP_1)
	v_pk_fma_f32 v[6:7], v[4:5], v[36:37], v[2:3] op_sel:[0,0,1] op_sel_hi:[1,1,0] neg_lo:[0,0,1] neg_hi:[0,0,1]
	v_pk_fma_f32 v[2:3], v[4:5], v[36:37], v[2:3] op_sel:[0,0,1] op_sel_hi:[1,0,0]
	v_mov_b32_e32 v7, v3
	ds_load_2addr_b64 v[2:5], v126 offset0:44 offset1:45
	v_pk_add_f32 v[214:215], v[214:215], v[40:41] neg_lo:[0,1] neg_hi:[0,1]
	v_pk_add_f32 v[216:217], v[216:217], v[6:7] neg_lo:[0,1] neg_hi:[0,1]
	s_wait_dscnt 0x0
	v_dual_mul_f32 v6, v3, v39 :: v_dual_mul_f32 v40, v3, v36
	s_delay_alu instid0(VALU_DEP_1) | instskip(NEXT) | instid1(VALU_DEP_2)
	v_pk_fma_f32 v[6:7], v[2:3], v[160:161], v[6:7] op_sel_hi:[1,1,0] neg_lo:[0,0,1] neg_hi:[0,0,1]
	v_pk_fma_f32 v[2:3], v[2:3], v[160:161], v[40:41] op_sel:[1,0,0] op_sel_hi:[0,1,0]
	s_delay_alu instid0(VALU_DEP_1) | instskip(SKIP_1) | instid1(VALU_DEP_2)
	v_mov_b32_e32 v7, v3
	v_pk_mul_f32 v[2:3], v[4:5], v[38:39] op_sel:[0,1]
	v_pk_add_f32 v[218:219], v[218:219], v[6:7] neg_lo:[0,1] neg_hi:[0,1]
	s_delay_alu instid0(VALU_DEP_2) | instskip(SKIP_1) | instid1(VALU_DEP_1)
	v_pk_fma_f32 v[6:7], v[4:5], v[36:37], v[2:3] op_sel:[0,0,1] op_sel_hi:[1,1,0] neg_lo:[0,0,1] neg_hi:[0,0,1]
	v_pk_fma_f32 v[2:3], v[4:5], v[36:37], v[2:3] op_sel:[0,0,1] op_sel_hi:[1,0,0]
	v_mov_b32_e32 v7, v3
	ds_load_2addr_b64 v[2:5], v126 offset0:46 offset1:47
	v_pk_add_f32 v[220:221], v[220:221], v[6:7] neg_lo:[0,1] neg_hi:[0,1]
	s_wait_dscnt 0x0
	v_pk_mul_f32 v[6:7], v[2:3], v[38:39] op_sel:[0,1]
	s_delay_alu instid0(VALU_DEP_1) | instskip(SKIP_1) | instid1(VALU_DEP_1)
	v_pk_fma_f32 v[40:41], v[2:3], v[36:37], v[6:7] op_sel:[0,0,1] op_sel_hi:[1,1,0] neg_lo:[0,0,1] neg_hi:[0,0,1]
	v_pk_fma_f32 v[2:3], v[2:3], v[36:37], v[6:7] op_sel:[0,0,1] op_sel_hi:[1,0,0]
	v_mov_b32_e32 v41, v3
	v_pk_mul_f32 v[2:3], v[4:5], v[38:39] op_sel:[0,1]
	s_delay_alu instid0(VALU_DEP_2) | instskip(NEXT) | instid1(VALU_DEP_2)
	v_pk_add_f32 v[222:223], v[222:223], v[40:41] neg_lo:[0,1] neg_hi:[0,1]
	v_pk_fma_f32 v[6:7], v[4:5], v[36:37], v[2:3] op_sel:[0,0,1] op_sel_hi:[1,1,0] neg_lo:[0,0,1] neg_hi:[0,0,1]
	v_pk_fma_f32 v[2:3], v[4:5], v[36:37], v[2:3] op_sel:[0,0,1] op_sel_hi:[1,0,0]
	s_delay_alu instid0(VALU_DEP_1) | instskip(SKIP_4) | instid1(VALU_DEP_1)
	v_mov_b32_e32 v7, v3
	ds_load_2addr_b64 v[2:5], v126 offset0:48 offset1:49
	v_pk_add_f32 v[224:225], v[224:225], v[6:7] neg_lo:[0,1] neg_hi:[0,1]
	s_wait_dscnt 0x0
	v_pk_mul_f32 v[6:7], v[2:3], v[38:39] op_sel:[0,1]
	v_pk_fma_f32 v[40:41], v[2:3], v[36:37], v[6:7] op_sel:[0,0,1] op_sel_hi:[1,1,0] neg_lo:[0,0,1] neg_hi:[0,0,1]
	v_pk_fma_f32 v[2:3], v[2:3], v[36:37], v[6:7] op_sel:[0,0,1] op_sel_hi:[1,0,0]
	v_dual_mul_f32 v6, v5, v39 :: v_dual_mov_b32 v2, v5
	s_delay_alu instid0(VALU_DEP_2) | instskip(NEXT) | instid1(VALU_DEP_2)
	v_dual_mov_b32 v41, v3 :: v_dual_mov_b32 v3, v4
	v_pk_fma_f32 v[6:7], v[4:5], v[160:161], v[6:7] op_sel_hi:[1,1,0] neg_lo:[0,0,1] neg_hi:[0,0,1]
	v_mul_f32_e32 v4, v5, v36
	s_delay_alu instid0(VALU_DEP_3) | instskip(NEXT) | instid1(VALU_DEP_2)
	v_pk_add_f32 v[226:227], v[226:227], v[40:41] neg_lo:[0,1] neg_hi:[0,1]
	v_pk_fma_f32 v[2:3], v[2:3], v[160:161], v[4:5] op_sel_hi:[1,1,0]
	s_delay_alu instid0(VALU_DEP_1) | instskip(SKIP_4) | instid1(VALU_DEP_1)
	v_mov_b32_e32 v7, v3
	ds_load_2addr_b64 v[2:5], v126 offset0:50 offset1:51
	v_pk_add_f32 v[228:229], v[228:229], v[6:7] neg_lo:[0,1] neg_hi:[0,1]
	s_wait_dscnt 0x0
	v_pk_mul_f32 v[6:7], v[2:3], v[38:39] op_sel:[0,1]
	v_pk_fma_f32 v[40:41], v[2:3], v[36:37], v[6:7] op_sel:[0,0,1] op_sel_hi:[1,1,0] neg_lo:[0,0,1] neg_hi:[0,0,1]
	v_pk_fma_f32 v[2:3], v[2:3], v[36:37], v[6:7] op_sel:[0,0,1] op_sel_hi:[1,0,0]
	s_delay_alu instid0(VALU_DEP_1) | instskip(SKIP_1) | instid1(VALU_DEP_1)
	v_mov_b32_e32 v41, v3
	v_pk_mul_f32 v[2:3], v[4:5], v[38:39] op_sel:[0,1]
	v_pk_fma_f32 v[6:7], v[4:5], v[36:37], v[2:3] op_sel:[0,0,1] op_sel_hi:[1,1,0] neg_lo:[0,0,1] neg_hi:[0,0,1]
	v_pk_fma_f32 v[2:3], v[4:5], v[36:37], v[2:3] op_sel:[0,0,1] op_sel_hi:[1,0,0]
	s_delay_alu instid0(VALU_DEP_1)
	v_mov_b32_e32 v7, v3
	ds_load_2addr_b64 v[2:5], v126 offset0:52 offset1:53
	v_pk_add_f32 v[230:231], v[230:231], v[40:41] neg_lo:[0,1] neg_hi:[0,1]
	v_pk_add_f32 v[232:233], v[232:233], v[6:7] neg_lo:[0,1] neg_hi:[0,1]
	s_wait_dscnt 0x0
	v_pk_mul_f32 v[6:7], v[2:3], v[38:39] op_sel:[0,1]
	s_delay_alu instid0(VALU_DEP_1) | instskip(SKIP_1) | instid1(VALU_DEP_1)
	v_pk_fma_f32 v[40:41], v[2:3], v[36:37], v[6:7] op_sel:[0,0,1] op_sel_hi:[1,1,0] neg_lo:[0,0,1] neg_hi:[0,0,1]
	v_pk_fma_f32 v[2:3], v[2:3], v[36:37], v[6:7] op_sel:[0,0,1] op_sel_hi:[1,0,0]
	v_mov_b32_e32 v41, v3
	v_pk_mul_f32 v[2:3], v[4:5], v[38:39] op_sel:[0,1]
	s_delay_alu instid0(VALU_DEP_1) | instskip(SKIP_1) | instid1(VALU_DEP_1)
	v_pk_fma_f32 v[6:7], v[4:5], v[36:37], v[2:3] op_sel:[0,0,1] op_sel_hi:[1,1,0] neg_lo:[0,0,1] neg_hi:[0,0,1]
	v_pk_fma_f32 v[2:3], v[4:5], v[36:37], v[2:3] op_sel:[0,0,1] op_sel_hi:[1,0,0]
	v_mov_b32_e32 v7, v3
	ds_load_2addr_b64 v[2:5], v126 offset0:54 offset1:55
	v_pk_add_f32 v[234:235], v[234:235], v[40:41] neg_lo:[0,1] neg_hi:[0,1]
	v_pk_add_f32 v[236:237], v[236:237], v[6:7] neg_lo:[0,1] neg_hi:[0,1]
	s_wait_dscnt 0x0
	v_dual_mul_f32 v6, v3, v39 :: v_dual_mul_f32 v40, v3, v36
	s_delay_alu instid0(VALU_DEP_1) | instskip(NEXT) | instid1(VALU_DEP_2)
	v_pk_fma_f32 v[6:7], v[2:3], v[160:161], v[6:7] op_sel_hi:[1,1,0] neg_lo:[0,0,1] neg_hi:[0,0,1]
	v_pk_fma_f32 v[2:3], v[2:3], v[160:161], v[40:41] op_sel:[1,0,0] op_sel_hi:[0,1,0]
	s_delay_alu instid0(VALU_DEP_1) | instskip(SKIP_1) | instid1(VALU_DEP_2)
	v_mov_b32_e32 v7, v3
	v_pk_mul_f32 v[2:3], v[4:5], v[38:39] op_sel:[0,1]
	v_pk_add_f32 v[238:239], v[238:239], v[6:7] neg_lo:[0,1] neg_hi:[0,1]
	s_delay_alu instid0(VALU_DEP_2) | instskip(SKIP_1) | instid1(VALU_DEP_1)
	v_pk_fma_f32 v[6:7], v[4:5], v[36:37], v[2:3] op_sel:[0,0,1] op_sel_hi:[1,1,0] neg_lo:[0,0,1] neg_hi:[0,0,1]
	v_pk_fma_f32 v[2:3], v[4:5], v[36:37], v[2:3] op_sel:[0,0,1] op_sel_hi:[1,0,0]
	v_mov_b32_e32 v7, v3
	ds_load_2addr_b64 v[2:5], v126 offset0:56 offset1:57
	v_pk_add_f32 v[240:241], v[240:241], v[6:7] neg_lo:[0,1] neg_hi:[0,1]
	s_wait_dscnt 0x0
	v_pk_mul_f32 v[6:7], v[2:3], v[38:39] op_sel:[0,1]
	s_delay_alu instid0(VALU_DEP_1) | instskip(SKIP_1) | instid1(VALU_DEP_1)
	v_pk_fma_f32 v[40:41], v[2:3], v[36:37], v[6:7] op_sel:[0,0,1] op_sel_hi:[1,1,0] neg_lo:[0,0,1] neg_hi:[0,0,1]
	v_pk_fma_f32 v[2:3], v[2:3], v[36:37], v[6:7] op_sel:[0,0,1] op_sel_hi:[1,0,0]
	v_mov_b32_e32 v41, v3
	v_pk_mul_f32 v[2:3], v[4:5], v[38:39] op_sel:[0,1]
	s_delay_alu instid0(VALU_DEP_2) | instskip(NEXT) | instid1(VALU_DEP_2)
	v_pk_add_f32 v[252:253], v[252:253], v[40:41] neg_lo:[0,1] neg_hi:[0,1]
	v_pk_fma_f32 v[6:7], v[4:5], v[36:37], v[2:3] op_sel:[0,0,1] op_sel_hi:[1,1,0] neg_lo:[0,0,1] neg_hi:[0,0,1]
	v_pk_fma_f32 v[2:3], v[4:5], v[36:37], v[2:3] op_sel:[0,0,1] op_sel_hi:[1,0,0]
	s_delay_alu instid0(VALU_DEP_1) | instskip(SKIP_4) | instid1(VALU_DEP_1)
	v_mov_b32_e32 v7, v3
	ds_load_2addr_b64 v[2:5], v126 offset0:58 offset1:59
	v_pk_add_f32 v[246:247], v[246:247], v[6:7] neg_lo:[0,1] neg_hi:[0,1]
	s_wait_dscnt 0x0
	v_pk_mul_f32 v[6:7], v[2:3], v[38:39] op_sel:[0,1]
	v_pk_fma_f32 v[40:41], v[2:3], v[36:37], v[6:7] op_sel:[0,0,1] op_sel_hi:[1,1,0] neg_lo:[0,0,1] neg_hi:[0,0,1]
	v_pk_fma_f32 v[2:3], v[2:3], v[36:37], v[6:7] op_sel:[0,0,1] op_sel_hi:[1,0,0]
	v_dual_mul_f32 v6, v5, v39 :: v_dual_mov_b32 v2, v5
	s_delay_alu instid0(VALU_DEP_2) | instskip(NEXT) | instid1(VALU_DEP_2)
	v_dual_mov_b32 v41, v3 :: v_dual_mov_b32 v3, v4
	v_pk_fma_f32 v[6:7], v[4:5], v[160:161], v[6:7] op_sel_hi:[1,1,0] neg_lo:[0,0,1] neg_hi:[0,0,1]
	v_mul_f32_e32 v4, v5, v36
	s_delay_alu instid0(VALU_DEP_3) | instskip(NEXT) | instid1(VALU_DEP_2)
	v_pk_add_f32 v[250:251], v[250:251], v[40:41] neg_lo:[0,1] neg_hi:[0,1]
	v_pk_fma_f32 v[2:3], v[2:3], v[160:161], v[4:5] op_sel_hi:[1,1,0]
	s_delay_alu instid0(VALU_DEP_1) | instskip(SKIP_4) | instid1(VALU_DEP_1)
	v_mov_b32_e32 v7, v3
	ds_load_2addr_b64 v[2:5], v126 offset0:60 offset1:61
	v_pk_add_f32 v[244:245], v[244:245], v[6:7] neg_lo:[0,1] neg_hi:[0,1]
	s_wait_dscnt 0x0
	v_pk_mul_f32 v[6:7], v[2:3], v[38:39] op_sel:[0,1]
	v_pk_fma_f32 v[40:41], v[2:3], v[36:37], v[6:7] op_sel:[0,0,1] op_sel_hi:[1,1,0] neg_lo:[0,0,1] neg_hi:[0,0,1]
	v_pk_fma_f32 v[2:3], v[2:3], v[36:37], v[6:7] op_sel:[0,0,1] op_sel_hi:[1,0,0]
	s_delay_alu instid0(VALU_DEP_1) | instskip(SKIP_1) | instid1(VALU_DEP_1)
	v_mov_b32_e32 v41, v3
	v_pk_mul_f32 v[2:3], v[4:5], v[38:39] op_sel:[0,1]
	v_pk_fma_f32 v[6:7], v[4:5], v[36:37], v[2:3] op_sel:[0,0,1] op_sel_hi:[1,1,0] neg_lo:[0,0,1] neg_hi:[0,0,1]
	v_pk_fma_f32 v[2:3], v[4:5], v[36:37], v[2:3] op_sel:[0,0,1] op_sel_hi:[1,0,0]
	s_delay_alu instid0(VALU_DEP_1)
	v_mov_b32_e32 v7, v3
	ds_load_2addr_b64 v[2:5], v126 offset0:62 offset1:63
	v_pk_add_f32 v[248:249], v[248:249], v[40:41] neg_lo:[0,1] neg_hi:[0,1]
	v_pk_add_f32 v[242:243], v[242:243], v[6:7] neg_lo:[0,1] neg_hi:[0,1]
	s_wait_dscnt 0x0
	v_pk_mul_f32 v[6:7], v[2:3], v[38:39] op_sel:[0,1]
	s_delay_alu instid0(VALU_DEP_1) | instskip(SKIP_2) | instid1(VALU_DEP_2)
	v_pk_fma_f32 v[40:41], v[2:3], v[36:37], v[6:7] op_sel:[0,0,1] op_sel_hi:[1,1,0] neg_lo:[0,0,1] neg_hi:[0,0,1]
	v_pk_fma_f32 v[2:3], v[2:3], v[36:37], v[6:7] op_sel:[0,0,1] op_sel_hi:[1,0,0]
	v_dual_mul_f32 v6, v5, v39 :: v_dual_mov_b32 v2, v5
	v_dual_mov_b32 v41, v3 :: v_dual_mov_b32 v3, v4
	s_delay_alu instid0(VALU_DEP_2) | instskip(SKIP_1) | instid1(VALU_DEP_3)
	v_pk_fma_f32 v[6:7], v[4:5], v[160:161], v[6:7] op_sel_hi:[1,1,0] neg_lo:[0,0,1] neg_hi:[0,0,1]
	v_mul_f32_e32 v4, v5, v36
	v_pk_add_f32 v[254:255], v[254:255], v[40:41] neg_lo:[0,1] neg_hi:[0,1]
	s_delay_alu instid0(VALU_DEP_2) | instskip(NEXT) | instid1(VALU_DEP_1)
	v_pk_fma_f32 v[2:3], v[2:3], v[160:161], v[4:5] op_sel_hi:[1,1,0]
	v_mov_b32_e32 v7, v3
	s_delay_alu instid0(VALU_DEP_1)
	v_pk_add_f32 v[0:1], v[0:1], v[6:7] neg_lo:[0,1] neg_hi:[0,1]
.LBB127_145:
	s_or_b32 exec_lo, exec_lo, s1
	s_delay_alu instid0(SALU_CYCLE_1)
	s_mov_b32 s2, exec_lo
	s_wait_dscnt 0x0
	s_barrier_signal -1
	s_barrier_wait -1
	v_cmpx_eq_u32_e32 16, v18
	s_cbranch_execz .LBB127_152
; %bb.146:
	ds_store_b64 v19, v[162:163]
	ds_store_2addr_b64 v126, v[164:165], v[166:167] offset0:17 offset1:18
	ds_store_2addr_b64 v126, v[168:169], v[170:171] offset0:19 offset1:20
	;; [unrolled: 1-line block ×23, first 2 shown]
	ds_store_b64 v126, v[0:1] offset:504
	ds_load_b64 v[2:3], v19
	s_wait_dscnt 0x0
	v_cmp_neq_f32_e32 vcc_lo, 0, v2
	v_cmp_neq_f32_e64 s1, 0, v3
	s_or_b32 s1, vcc_lo, s1
	s_delay_alu instid0(SALU_CYCLE_1)
	s_and_b32 exec_lo, exec_lo, s1
	s_cbranch_execz .LBB127_152
; %bb.147:
	v_cmp_ngt_f32_e64 s1, |v2|, |v3|
                                        ; implicit-def: $vgpr4_vgpr5
	s_and_saveexec_b32 s4, s1
	s_delay_alu instid0(SALU_CYCLE_1)
	s_xor_b32 s1, exec_lo, s4
	s_cbranch_execz .LBB127_149
; %bb.148:
	v_div_scale_f32 v4, null, v3, v3, v2
	v_div_scale_f32 v7, vcc_lo, v2, v3, v2
	s_delay_alu instid0(VALU_DEP_2) | instskip(SKIP_1) | instid1(TRANS32_DEP_1)
	v_rcp_f32_e32 v5, v4
	v_nop
	v_fma_f32 v6, -v4, v5, 1.0
	s_delay_alu instid0(VALU_DEP_1) | instskip(NEXT) | instid1(VALU_DEP_1)
	v_fmac_f32_e32 v5, v6, v5
	v_mul_f32_e32 v6, v7, v5
	s_delay_alu instid0(VALU_DEP_1) | instskip(NEXT) | instid1(VALU_DEP_1)
	v_fma_f32 v8, -v4, v6, v7
	v_fmac_f32_e32 v6, v8, v5
	s_delay_alu instid0(VALU_DEP_1) | instskip(NEXT) | instid1(VALU_DEP_1)
	v_fma_f32 v4, -v4, v6, v7
	v_div_fmas_f32 v4, v4, v5, v6
	s_delay_alu instid0(VALU_DEP_1) | instskip(NEXT) | instid1(VALU_DEP_1)
	v_div_fixup_f32 v4, v4, v3, v2
	v_fmac_f32_e32 v3, v2, v4
	s_delay_alu instid0(VALU_DEP_1) | instskip(SKIP_1) | instid1(VALU_DEP_2)
	v_div_scale_f32 v2, null, v3, v3, 1.0
	v_div_scale_f32 v7, vcc_lo, 1.0, v3, 1.0
	v_rcp_f32_e32 v5, v2
	v_nop
	s_delay_alu instid0(TRANS32_DEP_1) | instskip(NEXT) | instid1(VALU_DEP_1)
	v_fma_f32 v6, -v2, v5, 1.0
	v_fmac_f32_e32 v5, v6, v5
	s_delay_alu instid0(VALU_DEP_1) | instskip(NEXT) | instid1(VALU_DEP_1)
	v_mul_f32_e32 v6, v7, v5
	v_fma_f32 v8, -v2, v6, v7
	s_delay_alu instid0(VALU_DEP_1) | instskip(NEXT) | instid1(VALU_DEP_1)
	v_fmac_f32_e32 v6, v8, v5
	v_fma_f32 v2, -v2, v6, v7
	s_delay_alu instid0(VALU_DEP_1) | instskip(NEXT) | instid1(VALU_DEP_1)
	v_div_fmas_f32 v2, v2, v5, v6
	v_div_fixup_f32 v2, v2, v3, 1.0
	s_delay_alu instid0(VALU_DEP_1)
	v_mul_f32_e32 v4, v4, v2
	v_xor_b32_e32 v5, 0x80000000, v2
                                        ; implicit-def: $vgpr2_vgpr3
.LBB127_149:
	s_and_not1_saveexec_b32 s1, s1
	s_cbranch_execz .LBB127_151
; %bb.150:
	v_div_scale_f32 v4, null, v2, v2, v3
	v_div_scale_f32 v7, vcc_lo, v3, v2, v3
	s_delay_alu instid0(VALU_DEP_2) | instskip(SKIP_1) | instid1(TRANS32_DEP_1)
	v_rcp_f32_e32 v5, v4
	v_nop
	v_fma_f32 v6, -v4, v5, 1.0
	s_delay_alu instid0(VALU_DEP_1) | instskip(NEXT) | instid1(VALU_DEP_1)
	v_fmac_f32_e32 v5, v6, v5
	v_mul_f32_e32 v6, v7, v5
	s_delay_alu instid0(VALU_DEP_1) | instskip(NEXT) | instid1(VALU_DEP_1)
	v_fma_f32 v8, -v4, v6, v7
	v_fmac_f32_e32 v6, v8, v5
	s_delay_alu instid0(VALU_DEP_1) | instskip(NEXT) | instid1(VALU_DEP_1)
	v_fma_f32 v4, -v4, v6, v7
	v_div_fmas_f32 v4, v4, v5, v6
	s_delay_alu instid0(VALU_DEP_1) | instskip(NEXT) | instid1(VALU_DEP_1)
	v_div_fixup_f32 v5, v4, v2, v3
	v_fmac_f32_e32 v2, v3, v5
	s_delay_alu instid0(VALU_DEP_1) | instskip(NEXT) | instid1(VALU_DEP_1)
	v_div_scale_f32 v3, null, v2, v2, 1.0
	v_rcp_f32_e32 v4, v3
	v_nop
	s_delay_alu instid0(TRANS32_DEP_1) | instskip(NEXT) | instid1(VALU_DEP_1)
	v_fma_f32 v6, -v3, v4, 1.0
	v_fmac_f32_e32 v4, v6, v4
	v_div_scale_f32 v6, vcc_lo, 1.0, v2, 1.0
	s_delay_alu instid0(VALU_DEP_1) | instskip(NEXT) | instid1(VALU_DEP_1)
	v_mul_f32_e32 v7, v6, v4
	v_fma_f32 v8, -v3, v7, v6
	s_delay_alu instid0(VALU_DEP_1) | instskip(NEXT) | instid1(VALU_DEP_1)
	v_fmac_f32_e32 v7, v8, v4
	v_fma_f32 v3, -v3, v7, v6
	s_delay_alu instid0(VALU_DEP_1) | instskip(NEXT) | instid1(VALU_DEP_1)
	v_div_fmas_f32 v3, v3, v4, v7
	v_div_fixup_f32 v4, v3, v2, 1.0
	s_delay_alu instid0(VALU_DEP_1)
	v_mul_f32_e64 v5, v5, -v4
.LBB127_151:
	s_or_b32 exec_lo, exec_lo, s1
	ds_store_b64 v19, v[4:5]
.LBB127_152:
	s_or_b32 exec_lo, exec_lo, s2
	s_wait_dscnt 0x0
	s_barrier_signal -1
	s_barrier_wait -1
	ds_load_b64 v[36:37], v19
	s_mov_b32 s1, exec_lo
	v_cmpx_lt_u32_e32 16, v18
	s_cbranch_execz .LBB127_154
; %bb.153:
	s_wait_dscnt 0x0
	v_pk_mul_f32 v[2:3], v[36:37], v[162:163] op_sel:[1,1] op_sel_hi:[0,1]
	s_delay_alu instid0(VALU_DEP_1)
	v_pk_fma_f32 v[38:39], v[36:37], v[162:163], v[2:3] op_sel_hi:[1,0,1] neg_lo:[0,0,1] neg_hi:[0,0,1]
	v_pk_fma_f32 v[40:41], v[36:37], v[162:163], v[2:3] op_sel_hi:[1,0,1]
	ds_load_2addr_b64 v[2:5], v126 offset0:17 offset1:18
	v_dual_mov_b32 v162, v38 :: v_dual_mov_b32 v163, v41
	s_wait_dscnt 0x0
	v_pk_mul_f32 v[6:7], v[2:3], v[40:41] op_sel:[0,1]
	s_delay_alu instid0(VALU_DEP_1) | instskip(SKIP_1) | instid1(VALU_DEP_1)
	v_pk_fma_f32 v[42:43], v[2:3], v[38:39], v[6:7] op_sel:[0,0,1] op_sel_hi:[1,1,0] neg_lo:[0,0,1] neg_hi:[0,0,1]
	v_pk_fma_f32 v[2:3], v[2:3], v[38:39], v[6:7] op_sel:[0,0,1] op_sel_hi:[1,0,0]
	v_mov_b32_e32 v43, v3
	v_pk_mul_f32 v[2:3], v[4:5], v[40:41] op_sel:[0,1]
	s_delay_alu instid0(VALU_DEP_1) | instskip(SKIP_1) | instid1(VALU_DEP_1)
	v_pk_fma_f32 v[6:7], v[4:5], v[38:39], v[2:3] op_sel:[0,0,1] op_sel_hi:[1,1,0] neg_lo:[0,0,1] neg_hi:[0,0,1]
	v_pk_fma_f32 v[2:3], v[4:5], v[38:39], v[2:3] op_sel:[0,0,1] op_sel_hi:[1,0,0]
	v_mov_b32_e32 v7, v3
	ds_load_2addr_b64 v[2:5], v126 offset0:19 offset1:20
	v_pk_add_f32 v[164:165], v[164:165], v[42:43] neg_lo:[0,1] neg_hi:[0,1]
	v_pk_add_f32 v[166:167], v[166:167], v[6:7] neg_lo:[0,1] neg_hi:[0,1]
	s_wait_dscnt 0x0
	v_pk_mul_f32 v[6:7], v[2:3], v[40:41] op_sel:[0,1]
	s_delay_alu instid0(VALU_DEP_1) | instskip(SKIP_2) | instid1(VALU_DEP_2)
	v_pk_fma_f32 v[42:43], v[2:3], v[38:39], v[6:7] op_sel:[0,0,1] op_sel_hi:[1,1,0] neg_lo:[0,0,1] neg_hi:[0,0,1]
	v_pk_fma_f32 v[2:3], v[2:3], v[38:39], v[6:7] op_sel:[0,0,1] op_sel_hi:[1,0,0]
	v_dual_mul_f32 v6, v5, v41 :: v_dual_mov_b32 v2, v5
	v_dual_mov_b32 v43, v3 :: v_dual_mov_b32 v3, v4
	s_delay_alu instid0(VALU_DEP_2) | instskip(SKIP_1) | instid1(VALU_DEP_3)
	v_pk_fma_f32 v[6:7], v[4:5], v[162:163], v[6:7] op_sel_hi:[1,1,0] neg_lo:[0,0,1] neg_hi:[0,0,1]
	v_mul_f32_e32 v4, v5, v38
	v_pk_add_f32 v[168:169], v[168:169], v[42:43] neg_lo:[0,1] neg_hi:[0,1]
	s_delay_alu instid0(VALU_DEP_2) | instskip(NEXT) | instid1(VALU_DEP_1)
	v_pk_fma_f32 v[2:3], v[2:3], v[162:163], v[4:5] op_sel_hi:[1,1,0]
	v_mov_b32_e32 v7, v3
	ds_load_2addr_b64 v[2:5], v126 offset0:21 offset1:22
	v_pk_add_f32 v[170:171], v[170:171], v[6:7] neg_lo:[0,1] neg_hi:[0,1]
	s_wait_dscnt 0x0
	v_pk_mul_f32 v[6:7], v[2:3], v[40:41] op_sel:[0,1]
	s_delay_alu instid0(VALU_DEP_1) | instskip(SKIP_1) | instid1(VALU_DEP_1)
	v_pk_fma_f32 v[42:43], v[2:3], v[38:39], v[6:7] op_sel:[0,0,1] op_sel_hi:[1,1,0] neg_lo:[0,0,1] neg_hi:[0,0,1]
	v_pk_fma_f32 v[2:3], v[2:3], v[38:39], v[6:7] op_sel:[0,0,1] op_sel_hi:[1,0,0]
	v_mov_b32_e32 v43, v3
	v_pk_mul_f32 v[2:3], v[4:5], v[40:41] op_sel:[0,1]
	s_delay_alu instid0(VALU_DEP_1) | instskip(SKIP_1) | instid1(VALU_DEP_1)
	v_pk_fma_f32 v[6:7], v[4:5], v[38:39], v[2:3] op_sel:[0,0,1] op_sel_hi:[1,1,0] neg_lo:[0,0,1] neg_hi:[0,0,1]
	v_pk_fma_f32 v[2:3], v[4:5], v[38:39], v[2:3] op_sel:[0,0,1] op_sel_hi:[1,0,0]
	v_mov_b32_e32 v7, v3
	ds_load_2addr_b64 v[2:5], v126 offset0:23 offset1:24
	v_pk_add_f32 v[172:173], v[172:173], v[42:43] neg_lo:[0,1] neg_hi:[0,1]
	v_pk_add_f32 v[174:175], v[174:175], v[6:7] neg_lo:[0,1] neg_hi:[0,1]
	s_wait_dscnt 0x0
	v_pk_mul_f32 v[6:7], v[2:3], v[40:41] op_sel:[0,1]
	s_delay_alu instid0(VALU_DEP_1) | instskip(SKIP_1) | instid1(VALU_DEP_1)
	v_pk_fma_f32 v[42:43], v[2:3], v[38:39], v[6:7] op_sel:[0,0,1] op_sel_hi:[1,1,0] neg_lo:[0,0,1] neg_hi:[0,0,1]
	v_pk_fma_f32 v[2:3], v[2:3], v[38:39], v[6:7] op_sel:[0,0,1] op_sel_hi:[1,0,0]
	v_mov_b32_e32 v43, v3
	v_pk_mul_f32 v[2:3], v[4:5], v[40:41] op_sel:[0,1]
	s_delay_alu instid0(VALU_DEP_1) | instskip(SKIP_1) | instid1(VALU_DEP_1)
	v_pk_fma_f32 v[6:7], v[4:5], v[38:39], v[2:3] op_sel:[0,0,1] op_sel_hi:[1,1,0] neg_lo:[0,0,1] neg_hi:[0,0,1]
	v_pk_fma_f32 v[2:3], v[4:5], v[38:39], v[2:3] op_sel:[0,0,1] op_sel_hi:[1,0,0]
	v_mov_b32_e32 v7, v3
	ds_load_2addr_b64 v[2:5], v126 offset0:25 offset1:26
	v_pk_add_f32 v[176:177], v[176:177], v[42:43] neg_lo:[0,1] neg_hi:[0,1]
	v_pk_add_f32 v[178:179], v[178:179], v[6:7] neg_lo:[0,1] neg_hi:[0,1]
	s_wait_dscnt 0x0
	v_dual_mul_f32 v6, v3, v41 :: v_dual_mul_f32 v42, v3, v38
	s_delay_alu instid0(VALU_DEP_1) | instskip(NEXT) | instid1(VALU_DEP_2)
	v_pk_fma_f32 v[6:7], v[2:3], v[162:163], v[6:7] op_sel_hi:[1,1,0] neg_lo:[0,0,1] neg_hi:[0,0,1]
	v_pk_fma_f32 v[2:3], v[2:3], v[162:163], v[42:43] op_sel:[1,0,0] op_sel_hi:[0,1,0]
	s_delay_alu instid0(VALU_DEP_1) | instskip(SKIP_1) | instid1(VALU_DEP_2)
	v_mov_b32_e32 v7, v3
	v_pk_mul_f32 v[2:3], v[4:5], v[40:41] op_sel:[0,1]
	v_pk_add_f32 v[180:181], v[180:181], v[6:7] neg_lo:[0,1] neg_hi:[0,1]
	s_delay_alu instid0(VALU_DEP_2) | instskip(SKIP_1) | instid1(VALU_DEP_1)
	v_pk_fma_f32 v[6:7], v[4:5], v[38:39], v[2:3] op_sel:[0,0,1] op_sel_hi:[1,1,0] neg_lo:[0,0,1] neg_hi:[0,0,1]
	v_pk_fma_f32 v[2:3], v[4:5], v[38:39], v[2:3] op_sel:[0,0,1] op_sel_hi:[1,0,0]
	v_mov_b32_e32 v7, v3
	ds_load_2addr_b64 v[2:5], v126 offset0:27 offset1:28
	v_pk_add_f32 v[182:183], v[182:183], v[6:7] neg_lo:[0,1] neg_hi:[0,1]
	s_wait_dscnt 0x0
	v_pk_mul_f32 v[6:7], v[2:3], v[40:41] op_sel:[0,1]
	s_delay_alu instid0(VALU_DEP_1) | instskip(SKIP_1) | instid1(VALU_DEP_1)
	v_pk_fma_f32 v[42:43], v[2:3], v[38:39], v[6:7] op_sel:[0,0,1] op_sel_hi:[1,1,0] neg_lo:[0,0,1] neg_hi:[0,0,1]
	v_pk_fma_f32 v[2:3], v[2:3], v[38:39], v[6:7] op_sel:[0,0,1] op_sel_hi:[1,0,0]
	v_mov_b32_e32 v43, v3
	v_pk_mul_f32 v[2:3], v[4:5], v[40:41] op_sel:[0,1]
	s_delay_alu instid0(VALU_DEP_2) | instskip(NEXT) | instid1(VALU_DEP_2)
	v_pk_add_f32 v[184:185], v[184:185], v[42:43] neg_lo:[0,1] neg_hi:[0,1]
	v_pk_fma_f32 v[6:7], v[4:5], v[38:39], v[2:3] op_sel:[0,0,1] op_sel_hi:[1,1,0] neg_lo:[0,0,1] neg_hi:[0,0,1]
	v_pk_fma_f32 v[2:3], v[4:5], v[38:39], v[2:3] op_sel:[0,0,1] op_sel_hi:[1,0,0]
	s_delay_alu instid0(VALU_DEP_1) | instskip(SKIP_4) | instid1(VALU_DEP_1)
	v_mov_b32_e32 v7, v3
	ds_load_2addr_b64 v[2:5], v126 offset0:29 offset1:30
	v_pk_add_f32 v[186:187], v[186:187], v[6:7] neg_lo:[0,1] neg_hi:[0,1]
	s_wait_dscnt 0x0
	v_pk_mul_f32 v[6:7], v[2:3], v[40:41] op_sel:[0,1]
	v_pk_fma_f32 v[42:43], v[2:3], v[38:39], v[6:7] op_sel:[0,0,1] op_sel_hi:[1,1,0] neg_lo:[0,0,1] neg_hi:[0,0,1]
	v_pk_fma_f32 v[2:3], v[2:3], v[38:39], v[6:7] op_sel:[0,0,1] op_sel_hi:[1,0,0]
	v_dual_mul_f32 v6, v5, v41 :: v_dual_mov_b32 v2, v5
	s_delay_alu instid0(VALU_DEP_2) | instskip(NEXT) | instid1(VALU_DEP_2)
	v_dual_mov_b32 v43, v3 :: v_dual_mov_b32 v3, v4
	v_pk_fma_f32 v[6:7], v[4:5], v[162:163], v[6:7] op_sel_hi:[1,1,0] neg_lo:[0,0,1] neg_hi:[0,0,1]
	v_mul_f32_e32 v4, v5, v38
	s_delay_alu instid0(VALU_DEP_3) | instskip(NEXT) | instid1(VALU_DEP_2)
	v_pk_add_f32 v[188:189], v[188:189], v[42:43] neg_lo:[0,1] neg_hi:[0,1]
	v_pk_fma_f32 v[2:3], v[2:3], v[162:163], v[4:5] op_sel_hi:[1,1,0]
	s_delay_alu instid0(VALU_DEP_1) | instskip(SKIP_4) | instid1(VALU_DEP_1)
	v_mov_b32_e32 v7, v3
	ds_load_2addr_b64 v[2:5], v126 offset0:31 offset1:32
	v_pk_add_f32 v[190:191], v[190:191], v[6:7] neg_lo:[0,1] neg_hi:[0,1]
	s_wait_dscnt 0x0
	v_pk_mul_f32 v[6:7], v[2:3], v[40:41] op_sel:[0,1]
	v_pk_fma_f32 v[42:43], v[2:3], v[38:39], v[6:7] op_sel:[0,0,1] op_sel_hi:[1,1,0] neg_lo:[0,0,1] neg_hi:[0,0,1]
	v_pk_fma_f32 v[2:3], v[2:3], v[38:39], v[6:7] op_sel:[0,0,1] op_sel_hi:[1,0,0]
	s_delay_alu instid0(VALU_DEP_1) | instskip(SKIP_1) | instid1(VALU_DEP_1)
	v_mov_b32_e32 v43, v3
	v_pk_mul_f32 v[2:3], v[4:5], v[40:41] op_sel:[0,1]
	v_pk_fma_f32 v[6:7], v[4:5], v[38:39], v[2:3] op_sel:[0,0,1] op_sel_hi:[1,1,0] neg_lo:[0,0,1] neg_hi:[0,0,1]
	v_pk_fma_f32 v[2:3], v[4:5], v[38:39], v[2:3] op_sel:[0,0,1] op_sel_hi:[1,0,0]
	s_delay_alu instid0(VALU_DEP_1)
	v_mov_b32_e32 v7, v3
	ds_load_2addr_b64 v[2:5], v126 offset0:33 offset1:34
	v_pk_add_f32 v[192:193], v[192:193], v[42:43] neg_lo:[0,1] neg_hi:[0,1]
	v_pk_add_f32 v[194:195], v[194:195], v[6:7] neg_lo:[0,1] neg_hi:[0,1]
	s_wait_dscnt 0x0
	v_pk_mul_f32 v[6:7], v[2:3], v[40:41] op_sel:[0,1]
	s_delay_alu instid0(VALU_DEP_1) | instskip(SKIP_1) | instid1(VALU_DEP_1)
	v_pk_fma_f32 v[42:43], v[2:3], v[38:39], v[6:7] op_sel:[0,0,1] op_sel_hi:[1,1,0] neg_lo:[0,0,1] neg_hi:[0,0,1]
	v_pk_fma_f32 v[2:3], v[2:3], v[38:39], v[6:7] op_sel:[0,0,1] op_sel_hi:[1,0,0]
	v_mov_b32_e32 v43, v3
	v_pk_mul_f32 v[2:3], v[4:5], v[40:41] op_sel:[0,1]
	s_delay_alu instid0(VALU_DEP_1) | instskip(SKIP_1) | instid1(VALU_DEP_1)
	v_pk_fma_f32 v[6:7], v[4:5], v[38:39], v[2:3] op_sel:[0,0,1] op_sel_hi:[1,1,0] neg_lo:[0,0,1] neg_hi:[0,0,1]
	v_pk_fma_f32 v[2:3], v[4:5], v[38:39], v[2:3] op_sel:[0,0,1] op_sel_hi:[1,0,0]
	v_mov_b32_e32 v7, v3
	ds_load_2addr_b64 v[2:5], v126 offset0:35 offset1:36
	v_pk_add_f32 v[196:197], v[196:197], v[42:43] neg_lo:[0,1] neg_hi:[0,1]
	v_pk_add_f32 v[198:199], v[198:199], v[6:7] neg_lo:[0,1] neg_hi:[0,1]
	s_wait_dscnt 0x0
	v_dual_mul_f32 v6, v3, v41 :: v_dual_mul_f32 v42, v3, v38
	s_delay_alu instid0(VALU_DEP_1) | instskip(NEXT) | instid1(VALU_DEP_2)
	v_pk_fma_f32 v[6:7], v[2:3], v[162:163], v[6:7] op_sel_hi:[1,1,0] neg_lo:[0,0,1] neg_hi:[0,0,1]
	v_pk_fma_f32 v[2:3], v[2:3], v[162:163], v[42:43] op_sel:[1,0,0] op_sel_hi:[0,1,0]
	s_delay_alu instid0(VALU_DEP_1) | instskip(SKIP_1) | instid1(VALU_DEP_2)
	v_mov_b32_e32 v7, v3
	v_pk_mul_f32 v[2:3], v[4:5], v[40:41] op_sel:[0,1]
	v_pk_add_f32 v[200:201], v[200:201], v[6:7] neg_lo:[0,1] neg_hi:[0,1]
	s_delay_alu instid0(VALU_DEP_2) | instskip(SKIP_1) | instid1(VALU_DEP_1)
	v_pk_fma_f32 v[6:7], v[4:5], v[38:39], v[2:3] op_sel:[0,0,1] op_sel_hi:[1,1,0] neg_lo:[0,0,1] neg_hi:[0,0,1]
	v_pk_fma_f32 v[2:3], v[4:5], v[38:39], v[2:3] op_sel:[0,0,1] op_sel_hi:[1,0,0]
	v_mov_b32_e32 v7, v3
	ds_load_2addr_b64 v[2:5], v126 offset0:37 offset1:38
	v_pk_add_f32 v[202:203], v[202:203], v[6:7] neg_lo:[0,1] neg_hi:[0,1]
	s_wait_dscnt 0x0
	v_pk_mul_f32 v[6:7], v[2:3], v[40:41] op_sel:[0,1]
	s_delay_alu instid0(VALU_DEP_1) | instskip(SKIP_1) | instid1(VALU_DEP_1)
	v_pk_fma_f32 v[42:43], v[2:3], v[38:39], v[6:7] op_sel:[0,0,1] op_sel_hi:[1,1,0] neg_lo:[0,0,1] neg_hi:[0,0,1]
	v_pk_fma_f32 v[2:3], v[2:3], v[38:39], v[6:7] op_sel:[0,0,1] op_sel_hi:[1,0,0]
	v_mov_b32_e32 v43, v3
	v_pk_mul_f32 v[2:3], v[4:5], v[40:41] op_sel:[0,1]
	s_delay_alu instid0(VALU_DEP_2) | instskip(NEXT) | instid1(VALU_DEP_2)
	v_pk_add_f32 v[204:205], v[204:205], v[42:43] neg_lo:[0,1] neg_hi:[0,1]
	v_pk_fma_f32 v[6:7], v[4:5], v[38:39], v[2:3] op_sel:[0,0,1] op_sel_hi:[1,1,0] neg_lo:[0,0,1] neg_hi:[0,0,1]
	v_pk_fma_f32 v[2:3], v[4:5], v[38:39], v[2:3] op_sel:[0,0,1] op_sel_hi:[1,0,0]
	s_delay_alu instid0(VALU_DEP_1) | instskip(SKIP_4) | instid1(VALU_DEP_1)
	v_mov_b32_e32 v7, v3
	ds_load_2addr_b64 v[2:5], v126 offset0:39 offset1:40
	v_pk_add_f32 v[206:207], v[206:207], v[6:7] neg_lo:[0,1] neg_hi:[0,1]
	s_wait_dscnt 0x0
	v_pk_mul_f32 v[6:7], v[2:3], v[40:41] op_sel:[0,1]
	v_pk_fma_f32 v[42:43], v[2:3], v[38:39], v[6:7] op_sel:[0,0,1] op_sel_hi:[1,1,0] neg_lo:[0,0,1] neg_hi:[0,0,1]
	v_pk_fma_f32 v[2:3], v[2:3], v[38:39], v[6:7] op_sel:[0,0,1] op_sel_hi:[1,0,0]
	v_dual_mul_f32 v6, v5, v41 :: v_dual_mov_b32 v2, v5
	s_delay_alu instid0(VALU_DEP_2) | instskip(NEXT) | instid1(VALU_DEP_2)
	v_dual_mov_b32 v43, v3 :: v_dual_mov_b32 v3, v4
	v_pk_fma_f32 v[6:7], v[4:5], v[162:163], v[6:7] op_sel_hi:[1,1,0] neg_lo:[0,0,1] neg_hi:[0,0,1]
	v_mul_f32_e32 v4, v5, v38
	s_delay_alu instid0(VALU_DEP_3) | instskip(NEXT) | instid1(VALU_DEP_2)
	v_pk_add_f32 v[208:209], v[208:209], v[42:43] neg_lo:[0,1] neg_hi:[0,1]
	v_pk_fma_f32 v[2:3], v[2:3], v[162:163], v[4:5] op_sel_hi:[1,1,0]
	s_delay_alu instid0(VALU_DEP_1) | instskip(SKIP_4) | instid1(VALU_DEP_1)
	v_mov_b32_e32 v7, v3
	ds_load_2addr_b64 v[2:5], v126 offset0:41 offset1:42
	v_pk_add_f32 v[210:211], v[210:211], v[6:7] neg_lo:[0,1] neg_hi:[0,1]
	s_wait_dscnt 0x0
	v_pk_mul_f32 v[6:7], v[2:3], v[40:41] op_sel:[0,1]
	v_pk_fma_f32 v[42:43], v[2:3], v[38:39], v[6:7] op_sel:[0,0,1] op_sel_hi:[1,1,0] neg_lo:[0,0,1] neg_hi:[0,0,1]
	v_pk_fma_f32 v[2:3], v[2:3], v[38:39], v[6:7] op_sel:[0,0,1] op_sel_hi:[1,0,0]
	s_delay_alu instid0(VALU_DEP_1) | instskip(SKIP_1) | instid1(VALU_DEP_1)
	v_mov_b32_e32 v43, v3
	v_pk_mul_f32 v[2:3], v[4:5], v[40:41] op_sel:[0,1]
	v_pk_fma_f32 v[6:7], v[4:5], v[38:39], v[2:3] op_sel:[0,0,1] op_sel_hi:[1,1,0] neg_lo:[0,0,1] neg_hi:[0,0,1]
	v_pk_fma_f32 v[2:3], v[4:5], v[38:39], v[2:3] op_sel:[0,0,1] op_sel_hi:[1,0,0]
	s_delay_alu instid0(VALU_DEP_1)
	v_mov_b32_e32 v7, v3
	ds_load_2addr_b64 v[2:5], v126 offset0:43 offset1:44
	v_pk_add_f32 v[212:213], v[212:213], v[42:43] neg_lo:[0,1] neg_hi:[0,1]
	v_pk_add_f32 v[214:215], v[214:215], v[6:7] neg_lo:[0,1] neg_hi:[0,1]
	s_wait_dscnt 0x0
	v_pk_mul_f32 v[6:7], v[2:3], v[40:41] op_sel:[0,1]
	s_delay_alu instid0(VALU_DEP_1) | instskip(SKIP_1) | instid1(VALU_DEP_1)
	v_pk_fma_f32 v[42:43], v[2:3], v[38:39], v[6:7] op_sel:[0,0,1] op_sel_hi:[1,1,0] neg_lo:[0,0,1] neg_hi:[0,0,1]
	v_pk_fma_f32 v[2:3], v[2:3], v[38:39], v[6:7] op_sel:[0,0,1] op_sel_hi:[1,0,0]
	v_mov_b32_e32 v43, v3
	v_pk_mul_f32 v[2:3], v[4:5], v[40:41] op_sel:[0,1]
	s_delay_alu instid0(VALU_DEP_1) | instskip(SKIP_1) | instid1(VALU_DEP_1)
	v_pk_fma_f32 v[6:7], v[4:5], v[38:39], v[2:3] op_sel:[0,0,1] op_sel_hi:[1,1,0] neg_lo:[0,0,1] neg_hi:[0,0,1]
	v_pk_fma_f32 v[2:3], v[4:5], v[38:39], v[2:3] op_sel:[0,0,1] op_sel_hi:[1,0,0]
	v_mov_b32_e32 v7, v3
	ds_load_2addr_b64 v[2:5], v126 offset0:45 offset1:46
	v_pk_add_f32 v[216:217], v[216:217], v[42:43] neg_lo:[0,1] neg_hi:[0,1]
	v_pk_add_f32 v[218:219], v[218:219], v[6:7] neg_lo:[0,1] neg_hi:[0,1]
	s_wait_dscnt 0x0
	v_dual_mul_f32 v6, v3, v41 :: v_dual_mul_f32 v42, v3, v38
	s_delay_alu instid0(VALU_DEP_1) | instskip(NEXT) | instid1(VALU_DEP_2)
	v_pk_fma_f32 v[6:7], v[2:3], v[162:163], v[6:7] op_sel_hi:[1,1,0] neg_lo:[0,0,1] neg_hi:[0,0,1]
	v_pk_fma_f32 v[2:3], v[2:3], v[162:163], v[42:43] op_sel:[1,0,0] op_sel_hi:[0,1,0]
	s_delay_alu instid0(VALU_DEP_1) | instskip(SKIP_1) | instid1(VALU_DEP_2)
	v_mov_b32_e32 v7, v3
	v_pk_mul_f32 v[2:3], v[4:5], v[40:41] op_sel:[0,1]
	v_pk_add_f32 v[220:221], v[220:221], v[6:7] neg_lo:[0,1] neg_hi:[0,1]
	s_delay_alu instid0(VALU_DEP_2) | instskip(SKIP_1) | instid1(VALU_DEP_1)
	v_pk_fma_f32 v[6:7], v[4:5], v[38:39], v[2:3] op_sel:[0,0,1] op_sel_hi:[1,1,0] neg_lo:[0,0,1] neg_hi:[0,0,1]
	v_pk_fma_f32 v[2:3], v[4:5], v[38:39], v[2:3] op_sel:[0,0,1] op_sel_hi:[1,0,0]
	v_mov_b32_e32 v7, v3
	ds_load_2addr_b64 v[2:5], v126 offset0:47 offset1:48
	v_pk_add_f32 v[222:223], v[222:223], v[6:7] neg_lo:[0,1] neg_hi:[0,1]
	s_wait_dscnt 0x0
	v_pk_mul_f32 v[6:7], v[2:3], v[40:41] op_sel:[0,1]
	s_delay_alu instid0(VALU_DEP_1) | instskip(SKIP_1) | instid1(VALU_DEP_1)
	v_pk_fma_f32 v[42:43], v[2:3], v[38:39], v[6:7] op_sel:[0,0,1] op_sel_hi:[1,1,0] neg_lo:[0,0,1] neg_hi:[0,0,1]
	v_pk_fma_f32 v[2:3], v[2:3], v[38:39], v[6:7] op_sel:[0,0,1] op_sel_hi:[1,0,0]
	v_mov_b32_e32 v43, v3
	v_pk_mul_f32 v[2:3], v[4:5], v[40:41] op_sel:[0,1]
	s_delay_alu instid0(VALU_DEP_2) | instskip(NEXT) | instid1(VALU_DEP_2)
	v_pk_add_f32 v[224:225], v[224:225], v[42:43] neg_lo:[0,1] neg_hi:[0,1]
	v_pk_fma_f32 v[6:7], v[4:5], v[38:39], v[2:3] op_sel:[0,0,1] op_sel_hi:[1,1,0] neg_lo:[0,0,1] neg_hi:[0,0,1]
	v_pk_fma_f32 v[2:3], v[4:5], v[38:39], v[2:3] op_sel:[0,0,1] op_sel_hi:[1,0,0]
	s_delay_alu instid0(VALU_DEP_1) | instskip(SKIP_4) | instid1(VALU_DEP_1)
	v_mov_b32_e32 v7, v3
	ds_load_2addr_b64 v[2:5], v126 offset0:49 offset1:50
	v_pk_add_f32 v[226:227], v[226:227], v[6:7] neg_lo:[0,1] neg_hi:[0,1]
	s_wait_dscnt 0x0
	v_pk_mul_f32 v[6:7], v[2:3], v[40:41] op_sel:[0,1]
	v_pk_fma_f32 v[42:43], v[2:3], v[38:39], v[6:7] op_sel:[0,0,1] op_sel_hi:[1,1,0] neg_lo:[0,0,1] neg_hi:[0,0,1]
	v_pk_fma_f32 v[2:3], v[2:3], v[38:39], v[6:7] op_sel:[0,0,1] op_sel_hi:[1,0,0]
	v_dual_mul_f32 v6, v5, v41 :: v_dual_mov_b32 v2, v5
	s_delay_alu instid0(VALU_DEP_2) | instskip(NEXT) | instid1(VALU_DEP_2)
	v_dual_mov_b32 v43, v3 :: v_dual_mov_b32 v3, v4
	v_pk_fma_f32 v[6:7], v[4:5], v[162:163], v[6:7] op_sel_hi:[1,1,0] neg_lo:[0,0,1] neg_hi:[0,0,1]
	v_mul_f32_e32 v4, v5, v38
	s_delay_alu instid0(VALU_DEP_3) | instskip(NEXT) | instid1(VALU_DEP_2)
	v_pk_add_f32 v[228:229], v[228:229], v[42:43] neg_lo:[0,1] neg_hi:[0,1]
	v_pk_fma_f32 v[2:3], v[2:3], v[162:163], v[4:5] op_sel_hi:[1,1,0]
	s_delay_alu instid0(VALU_DEP_1) | instskip(SKIP_4) | instid1(VALU_DEP_1)
	v_mov_b32_e32 v7, v3
	ds_load_2addr_b64 v[2:5], v126 offset0:51 offset1:52
	v_pk_add_f32 v[230:231], v[230:231], v[6:7] neg_lo:[0,1] neg_hi:[0,1]
	s_wait_dscnt 0x0
	v_pk_mul_f32 v[6:7], v[2:3], v[40:41] op_sel:[0,1]
	v_pk_fma_f32 v[42:43], v[2:3], v[38:39], v[6:7] op_sel:[0,0,1] op_sel_hi:[1,1,0] neg_lo:[0,0,1] neg_hi:[0,0,1]
	v_pk_fma_f32 v[2:3], v[2:3], v[38:39], v[6:7] op_sel:[0,0,1] op_sel_hi:[1,0,0]
	s_delay_alu instid0(VALU_DEP_1) | instskip(SKIP_1) | instid1(VALU_DEP_1)
	v_mov_b32_e32 v43, v3
	v_pk_mul_f32 v[2:3], v[4:5], v[40:41] op_sel:[0,1]
	v_pk_fma_f32 v[6:7], v[4:5], v[38:39], v[2:3] op_sel:[0,0,1] op_sel_hi:[1,1,0] neg_lo:[0,0,1] neg_hi:[0,0,1]
	v_pk_fma_f32 v[2:3], v[4:5], v[38:39], v[2:3] op_sel:[0,0,1] op_sel_hi:[1,0,0]
	s_delay_alu instid0(VALU_DEP_1)
	v_mov_b32_e32 v7, v3
	ds_load_2addr_b64 v[2:5], v126 offset0:53 offset1:54
	v_pk_add_f32 v[232:233], v[232:233], v[42:43] neg_lo:[0,1] neg_hi:[0,1]
	v_pk_add_f32 v[234:235], v[234:235], v[6:7] neg_lo:[0,1] neg_hi:[0,1]
	s_wait_dscnt 0x0
	v_pk_mul_f32 v[6:7], v[2:3], v[40:41] op_sel:[0,1]
	s_delay_alu instid0(VALU_DEP_1) | instskip(SKIP_1) | instid1(VALU_DEP_1)
	v_pk_fma_f32 v[42:43], v[2:3], v[38:39], v[6:7] op_sel:[0,0,1] op_sel_hi:[1,1,0] neg_lo:[0,0,1] neg_hi:[0,0,1]
	v_pk_fma_f32 v[2:3], v[2:3], v[38:39], v[6:7] op_sel:[0,0,1] op_sel_hi:[1,0,0]
	v_mov_b32_e32 v43, v3
	v_pk_mul_f32 v[2:3], v[4:5], v[40:41] op_sel:[0,1]
	s_delay_alu instid0(VALU_DEP_1) | instskip(SKIP_1) | instid1(VALU_DEP_1)
	v_pk_fma_f32 v[6:7], v[4:5], v[38:39], v[2:3] op_sel:[0,0,1] op_sel_hi:[1,1,0] neg_lo:[0,0,1] neg_hi:[0,0,1]
	v_pk_fma_f32 v[2:3], v[4:5], v[38:39], v[2:3] op_sel:[0,0,1] op_sel_hi:[1,0,0]
	v_mov_b32_e32 v7, v3
	ds_load_2addr_b64 v[2:5], v126 offset0:55 offset1:56
	v_pk_add_f32 v[236:237], v[236:237], v[42:43] neg_lo:[0,1] neg_hi:[0,1]
	v_pk_add_f32 v[238:239], v[238:239], v[6:7] neg_lo:[0,1] neg_hi:[0,1]
	s_wait_dscnt 0x0
	v_dual_mul_f32 v6, v3, v41 :: v_dual_mul_f32 v42, v3, v38
	s_delay_alu instid0(VALU_DEP_1) | instskip(NEXT) | instid1(VALU_DEP_2)
	v_pk_fma_f32 v[6:7], v[2:3], v[162:163], v[6:7] op_sel_hi:[1,1,0] neg_lo:[0,0,1] neg_hi:[0,0,1]
	v_pk_fma_f32 v[2:3], v[2:3], v[162:163], v[42:43] op_sel:[1,0,0] op_sel_hi:[0,1,0]
	s_delay_alu instid0(VALU_DEP_1) | instskip(SKIP_1) | instid1(VALU_DEP_2)
	v_mov_b32_e32 v7, v3
	v_pk_mul_f32 v[2:3], v[4:5], v[40:41] op_sel:[0,1]
	v_pk_add_f32 v[240:241], v[240:241], v[6:7] neg_lo:[0,1] neg_hi:[0,1]
	s_delay_alu instid0(VALU_DEP_2) | instskip(SKIP_1) | instid1(VALU_DEP_1)
	v_pk_fma_f32 v[6:7], v[4:5], v[38:39], v[2:3] op_sel:[0,0,1] op_sel_hi:[1,1,0] neg_lo:[0,0,1] neg_hi:[0,0,1]
	v_pk_fma_f32 v[2:3], v[4:5], v[38:39], v[2:3] op_sel:[0,0,1] op_sel_hi:[1,0,0]
	v_mov_b32_e32 v7, v3
	ds_load_2addr_b64 v[2:5], v126 offset0:57 offset1:58
	v_pk_add_f32 v[252:253], v[252:253], v[6:7] neg_lo:[0,1] neg_hi:[0,1]
	s_wait_dscnt 0x0
	v_pk_mul_f32 v[6:7], v[2:3], v[40:41] op_sel:[0,1]
	s_delay_alu instid0(VALU_DEP_1) | instskip(SKIP_1) | instid1(VALU_DEP_1)
	v_pk_fma_f32 v[42:43], v[2:3], v[38:39], v[6:7] op_sel:[0,0,1] op_sel_hi:[1,1,0] neg_lo:[0,0,1] neg_hi:[0,0,1]
	v_pk_fma_f32 v[2:3], v[2:3], v[38:39], v[6:7] op_sel:[0,0,1] op_sel_hi:[1,0,0]
	v_mov_b32_e32 v43, v3
	v_pk_mul_f32 v[2:3], v[4:5], v[40:41] op_sel:[0,1]
	s_delay_alu instid0(VALU_DEP_2) | instskip(NEXT) | instid1(VALU_DEP_2)
	v_pk_add_f32 v[246:247], v[246:247], v[42:43] neg_lo:[0,1] neg_hi:[0,1]
	v_pk_fma_f32 v[6:7], v[4:5], v[38:39], v[2:3] op_sel:[0,0,1] op_sel_hi:[1,1,0] neg_lo:[0,0,1] neg_hi:[0,0,1]
	v_pk_fma_f32 v[2:3], v[4:5], v[38:39], v[2:3] op_sel:[0,0,1] op_sel_hi:[1,0,0]
	s_delay_alu instid0(VALU_DEP_1) | instskip(SKIP_4) | instid1(VALU_DEP_1)
	v_mov_b32_e32 v7, v3
	ds_load_2addr_b64 v[2:5], v126 offset0:59 offset1:60
	v_pk_add_f32 v[250:251], v[250:251], v[6:7] neg_lo:[0,1] neg_hi:[0,1]
	s_wait_dscnt 0x0
	v_pk_mul_f32 v[6:7], v[2:3], v[40:41] op_sel:[0,1]
	v_pk_fma_f32 v[42:43], v[2:3], v[38:39], v[6:7] op_sel:[0,0,1] op_sel_hi:[1,1,0] neg_lo:[0,0,1] neg_hi:[0,0,1]
	v_pk_fma_f32 v[2:3], v[2:3], v[38:39], v[6:7] op_sel:[0,0,1] op_sel_hi:[1,0,0]
	v_dual_mul_f32 v6, v5, v41 :: v_dual_mov_b32 v2, v5
	s_delay_alu instid0(VALU_DEP_2) | instskip(NEXT) | instid1(VALU_DEP_2)
	v_dual_mov_b32 v43, v3 :: v_dual_mov_b32 v3, v4
	v_pk_fma_f32 v[6:7], v[4:5], v[162:163], v[6:7] op_sel_hi:[1,1,0] neg_lo:[0,0,1] neg_hi:[0,0,1]
	v_mul_f32_e32 v4, v5, v38
	s_delay_alu instid0(VALU_DEP_3) | instskip(NEXT) | instid1(VALU_DEP_2)
	v_pk_add_f32 v[244:245], v[244:245], v[42:43] neg_lo:[0,1] neg_hi:[0,1]
	v_pk_fma_f32 v[2:3], v[2:3], v[162:163], v[4:5] op_sel_hi:[1,1,0]
	s_delay_alu instid0(VALU_DEP_1) | instskip(SKIP_4) | instid1(VALU_DEP_1)
	v_mov_b32_e32 v7, v3
	ds_load_2addr_b64 v[2:5], v126 offset0:61 offset1:62
	v_pk_add_f32 v[248:249], v[248:249], v[6:7] neg_lo:[0,1] neg_hi:[0,1]
	s_wait_dscnt 0x0
	v_pk_mul_f32 v[6:7], v[2:3], v[40:41] op_sel:[0,1]
	v_pk_fma_f32 v[42:43], v[2:3], v[38:39], v[6:7] op_sel:[0,0,1] op_sel_hi:[1,1,0] neg_lo:[0,0,1] neg_hi:[0,0,1]
	v_pk_fma_f32 v[2:3], v[2:3], v[38:39], v[6:7] op_sel:[0,0,1] op_sel_hi:[1,0,0]
	s_delay_alu instid0(VALU_DEP_1) | instskip(SKIP_1) | instid1(VALU_DEP_1)
	v_mov_b32_e32 v43, v3
	v_pk_mul_f32 v[2:3], v[4:5], v[40:41] op_sel:[0,1]
	v_pk_fma_f32 v[6:7], v[4:5], v[38:39], v[2:3] op_sel:[0,0,1] op_sel_hi:[1,1,0] neg_lo:[0,0,1] neg_hi:[0,0,1]
	v_pk_fma_f32 v[2:3], v[4:5], v[38:39], v[2:3] op_sel:[0,0,1] op_sel_hi:[1,0,0]
	s_delay_alu instid0(VALU_DEP_1)
	v_mov_b32_e32 v7, v3
	ds_load_b64 v[2:3], v126 offset:504
	v_pk_add_f32 v[242:243], v[242:243], v[42:43] neg_lo:[0,1] neg_hi:[0,1]
	v_pk_add_f32 v[254:255], v[254:255], v[6:7] neg_lo:[0,1] neg_hi:[0,1]
	s_wait_dscnt 0x0
	v_pk_mul_f32 v[4:5], v[2:3], v[40:41] op_sel:[0,1]
	s_delay_alu instid0(VALU_DEP_1) | instskip(SKIP_1) | instid1(VALU_DEP_1)
	v_pk_fma_f32 v[6:7], v[2:3], v[38:39], v[4:5] op_sel:[0,0,1] op_sel_hi:[1,1,0] neg_lo:[0,0,1] neg_hi:[0,0,1]
	v_pk_fma_f32 v[2:3], v[2:3], v[38:39], v[4:5] op_sel:[0,0,1] op_sel_hi:[1,0,0]
	v_mov_b32_e32 v7, v3
	s_delay_alu instid0(VALU_DEP_1)
	v_pk_add_f32 v[0:1], v[0:1], v[6:7] neg_lo:[0,1] neg_hi:[0,1]
.LBB127_154:
	s_or_b32 exec_lo, exec_lo, s1
	s_delay_alu instid0(SALU_CYCLE_1)
	s_mov_b32 s2, exec_lo
	s_wait_dscnt 0x0
	s_barrier_signal -1
	s_barrier_wait -1
	v_cmpx_eq_u32_e32 17, v18
	s_cbranch_execz .LBB127_161
; %bb.155:
	v_dual_mov_b32 v2, v166 :: v_dual_mov_b32 v3, v167
	v_dual_mov_b32 v4, v168 :: v_dual_mov_b32 v5, v169
	ds_store_b64 v19, v[164:165]
	ds_store_2addr_b64 v126, v[2:3], v[4:5] offset0:18 offset1:19
	v_dual_mov_b32 v2, v170 :: v_dual_mov_b32 v3, v171
	v_dual_mov_b32 v4, v172 :: v_dual_mov_b32 v5, v173
	ds_store_2addr_b64 v126, v[2:3], v[4:5] offset0:20 offset1:21
	v_dual_mov_b32 v2, v174 :: v_dual_mov_b32 v3, v175
	v_dual_mov_b32 v4, v176 :: v_dual_mov_b32 v5, v177
	;; [unrolled: 3-line block ×21, first 2 shown]
	ds_store_2addr_b64 v126, v[2:3], v[4:5] offset0:60 offset1:61
	v_dual_mov_b32 v2, v254 :: v_dual_mov_b32 v3, v255
	ds_store_2addr_b64 v126, v[2:3], v[0:1] offset0:62 offset1:63
	ds_load_b64 v[2:3], v19
	s_wait_dscnt 0x0
	v_cmp_neq_f32_e32 vcc_lo, 0, v2
	v_cmp_neq_f32_e64 s1, 0, v3
	s_or_b32 s1, vcc_lo, s1
	s_delay_alu instid0(SALU_CYCLE_1)
	s_and_b32 exec_lo, exec_lo, s1
	s_cbranch_execz .LBB127_161
; %bb.156:
	v_cmp_ngt_f32_e64 s1, |v2|, |v3|
                                        ; implicit-def: $vgpr4_vgpr5
	s_and_saveexec_b32 s4, s1
	s_delay_alu instid0(SALU_CYCLE_1)
	s_xor_b32 s1, exec_lo, s4
	s_cbranch_execz .LBB127_158
; %bb.157:
	v_div_scale_f32 v4, null, v3, v3, v2
	v_div_scale_f32 v7, vcc_lo, v2, v3, v2
	s_delay_alu instid0(VALU_DEP_2) | instskip(SKIP_1) | instid1(TRANS32_DEP_1)
	v_rcp_f32_e32 v5, v4
	v_nop
	v_fma_f32 v6, -v4, v5, 1.0
	s_delay_alu instid0(VALU_DEP_1) | instskip(NEXT) | instid1(VALU_DEP_1)
	v_fmac_f32_e32 v5, v6, v5
	v_mul_f32_e32 v6, v7, v5
	s_delay_alu instid0(VALU_DEP_1) | instskip(NEXT) | instid1(VALU_DEP_1)
	v_fma_f32 v8, -v4, v6, v7
	v_fmac_f32_e32 v6, v8, v5
	s_delay_alu instid0(VALU_DEP_1) | instskip(NEXT) | instid1(VALU_DEP_1)
	v_fma_f32 v4, -v4, v6, v7
	v_div_fmas_f32 v4, v4, v5, v6
	s_delay_alu instid0(VALU_DEP_1) | instskip(NEXT) | instid1(VALU_DEP_1)
	v_div_fixup_f32 v4, v4, v3, v2
	v_fmac_f32_e32 v3, v2, v4
	s_delay_alu instid0(VALU_DEP_1) | instskip(SKIP_1) | instid1(VALU_DEP_2)
	v_div_scale_f32 v2, null, v3, v3, 1.0
	v_div_scale_f32 v7, vcc_lo, 1.0, v3, 1.0
	v_rcp_f32_e32 v5, v2
	v_nop
	s_delay_alu instid0(TRANS32_DEP_1) | instskip(NEXT) | instid1(VALU_DEP_1)
	v_fma_f32 v6, -v2, v5, 1.0
	v_fmac_f32_e32 v5, v6, v5
	s_delay_alu instid0(VALU_DEP_1) | instskip(NEXT) | instid1(VALU_DEP_1)
	v_mul_f32_e32 v6, v7, v5
	v_fma_f32 v8, -v2, v6, v7
	s_delay_alu instid0(VALU_DEP_1) | instskip(NEXT) | instid1(VALU_DEP_1)
	v_fmac_f32_e32 v6, v8, v5
	v_fma_f32 v2, -v2, v6, v7
	s_delay_alu instid0(VALU_DEP_1) | instskip(NEXT) | instid1(VALU_DEP_1)
	v_div_fmas_f32 v2, v2, v5, v6
	v_div_fixup_f32 v2, v2, v3, 1.0
	s_delay_alu instid0(VALU_DEP_1)
	v_mul_f32_e32 v4, v4, v2
	v_xor_b32_e32 v5, 0x80000000, v2
                                        ; implicit-def: $vgpr2_vgpr3
.LBB127_158:
	s_and_not1_saveexec_b32 s1, s1
	s_cbranch_execz .LBB127_160
; %bb.159:
	v_div_scale_f32 v4, null, v2, v2, v3
	v_div_scale_f32 v7, vcc_lo, v3, v2, v3
	s_delay_alu instid0(VALU_DEP_2) | instskip(SKIP_1) | instid1(TRANS32_DEP_1)
	v_rcp_f32_e32 v5, v4
	v_nop
	v_fma_f32 v6, -v4, v5, 1.0
	s_delay_alu instid0(VALU_DEP_1) | instskip(NEXT) | instid1(VALU_DEP_1)
	v_fmac_f32_e32 v5, v6, v5
	v_mul_f32_e32 v6, v7, v5
	s_delay_alu instid0(VALU_DEP_1) | instskip(NEXT) | instid1(VALU_DEP_1)
	v_fma_f32 v8, -v4, v6, v7
	v_fmac_f32_e32 v6, v8, v5
	s_delay_alu instid0(VALU_DEP_1) | instskip(NEXT) | instid1(VALU_DEP_1)
	v_fma_f32 v4, -v4, v6, v7
	v_div_fmas_f32 v4, v4, v5, v6
	s_delay_alu instid0(VALU_DEP_1) | instskip(NEXT) | instid1(VALU_DEP_1)
	v_div_fixup_f32 v5, v4, v2, v3
	v_fmac_f32_e32 v2, v3, v5
	s_delay_alu instid0(VALU_DEP_1) | instskip(NEXT) | instid1(VALU_DEP_1)
	v_div_scale_f32 v3, null, v2, v2, 1.0
	v_rcp_f32_e32 v4, v3
	v_nop
	s_delay_alu instid0(TRANS32_DEP_1) | instskip(NEXT) | instid1(VALU_DEP_1)
	v_fma_f32 v6, -v3, v4, 1.0
	v_fmac_f32_e32 v4, v6, v4
	v_div_scale_f32 v6, vcc_lo, 1.0, v2, 1.0
	s_delay_alu instid0(VALU_DEP_1) | instskip(NEXT) | instid1(VALU_DEP_1)
	v_mul_f32_e32 v7, v6, v4
	v_fma_f32 v8, -v3, v7, v6
	s_delay_alu instid0(VALU_DEP_1) | instskip(NEXT) | instid1(VALU_DEP_1)
	v_fmac_f32_e32 v7, v8, v4
	v_fma_f32 v3, -v3, v7, v6
	s_delay_alu instid0(VALU_DEP_1) | instskip(NEXT) | instid1(VALU_DEP_1)
	v_div_fmas_f32 v3, v3, v4, v7
	v_div_fixup_f32 v4, v3, v2, 1.0
	s_delay_alu instid0(VALU_DEP_1)
	v_mul_f32_e64 v5, v5, -v4
.LBB127_160:
	s_or_b32 exec_lo, exec_lo, s1
	ds_store_b64 v19, v[4:5]
.LBB127_161:
	s_or_b32 exec_lo, exec_lo, s2
	s_wait_dscnt 0x0
	s_barrier_signal -1
	s_barrier_wait -1
	ds_load_b64 v[38:39], v19
	s_mov_b32 s1, exec_lo
	v_cmpx_lt_u32_e32 17, v18
	s_cbranch_execz .LBB127_163
; %bb.162:
	s_wait_dscnt 0x0
	v_pk_mul_f32 v[2:3], v[38:39], v[164:165] op_sel:[1,1] op_sel_hi:[0,1]
	s_delay_alu instid0(VALU_DEP_1)
	v_pk_fma_f32 v[40:41], v[38:39], v[164:165], v[2:3] op_sel_hi:[1,0,1] neg_lo:[0,0,1] neg_hi:[0,0,1]
	v_pk_fma_f32 v[42:43], v[38:39], v[164:165], v[2:3] op_sel_hi:[1,0,1]
	ds_load_2addr_b64 v[2:5], v126 offset0:18 offset1:19
	v_dual_mov_b32 v164, v40 :: v_dual_mov_b32 v165, v43
	s_wait_dscnt 0x0
	v_pk_mul_f32 v[6:7], v[2:3], v[42:43] op_sel:[0,1]
	s_delay_alu instid0(VALU_DEP_1) | instskip(SKIP_1) | instid1(VALU_DEP_1)
	v_pk_fma_f32 v[44:45], v[2:3], v[40:41], v[6:7] op_sel:[0,0,1] op_sel_hi:[1,1,0] neg_lo:[0,0,1] neg_hi:[0,0,1]
	v_pk_fma_f32 v[2:3], v[2:3], v[40:41], v[6:7] op_sel:[0,0,1] op_sel_hi:[1,0,0]
	v_mov_b32_e32 v45, v3
	v_pk_mul_f32 v[2:3], v[4:5], v[42:43] op_sel:[0,1]
	s_delay_alu instid0(VALU_DEP_1) | instskip(SKIP_1) | instid1(VALU_DEP_1)
	v_pk_fma_f32 v[6:7], v[4:5], v[40:41], v[2:3] op_sel:[0,0,1] op_sel_hi:[1,1,0] neg_lo:[0,0,1] neg_hi:[0,0,1]
	v_pk_fma_f32 v[2:3], v[4:5], v[40:41], v[2:3] op_sel:[0,0,1] op_sel_hi:[1,0,0]
	v_mov_b32_e32 v7, v3
	ds_load_2addr_b64 v[2:5], v126 offset0:20 offset1:21
	v_pk_add_f32 v[166:167], v[166:167], v[44:45] neg_lo:[0,1] neg_hi:[0,1]
	v_pk_add_f32 v[168:169], v[168:169], v[6:7] neg_lo:[0,1] neg_hi:[0,1]
	s_wait_dscnt 0x0
	v_pk_mul_f32 v[6:7], v[2:3], v[42:43] op_sel:[0,1]
	s_delay_alu instid0(VALU_DEP_1) | instskip(SKIP_2) | instid1(VALU_DEP_2)
	v_pk_fma_f32 v[44:45], v[2:3], v[40:41], v[6:7] op_sel:[0,0,1] op_sel_hi:[1,1,0] neg_lo:[0,0,1] neg_hi:[0,0,1]
	v_pk_fma_f32 v[2:3], v[2:3], v[40:41], v[6:7] op_sel:[0,0,1] op_sel_hi:[1,0,0]
	v_dual_mul_f32 v6, v5, v43 :: v_dual_mov_b32 v2, v5
	v_dual_mov_b32 v45, v3 :: v_dual_mov_b32 v3, v4
	s_delay_alu instid0(VALU_DEP_2) | instskip(SKIP_1) | instid1(VALU_DEP_3)
	v_pk_fma_f32 v[6:7], v[4:5], v[164:165], v[6:7] op_sel_hi:[1,1,0] neg_lo:[0,0,1] neg_hi:[0,0,1]
	v_mul_f32_e32 v4, v5, v40
	v_pk_add_f32 v[170:171], v[170:171], v[44:45] neg_lo:[0,1] neg_hi:[0,1]
	s_delay_alu instid0(VALU_DEP_2) | instskip(NEXT) | instid1(VALU_DEP_1)
	v_pk_fma_f32 v[2:3], v[2:3], v[164:165], v[4:5] op_sel_hi:[1,1,0]
	v_mov_b32_e32 v7, v3
	ds_load_2addr_b64 v[2:5], v126 offset0:22 offset1:23
	v_pk_add_f32 v[172:173], v[172:173], v[6:7] neg_lo:[0,1] neg_hi:[0,1]
	s_wait_dscnt 0x0
	v_pk_mul_f32 v[6:7], v[2:3], v[42:43] op_sel:[0,1]
	s_delay_alu instid0(VALU_DEP_1) | instskip(SKIP_1) | instid1(VALU_DEP_1)
	v_pk_fma_f32 v[44:45], v[2:3], v[40:41], v[6:7] op_sel:[0,0,1] op_sel_hi:[1,1,0] neg_lo:[0,0,1] neg_hi:[0,0,1]
	v_pk_fma_f32 v[2:3], v[2:3], v[40:41], v[6:7] op_sel:[0,0,1] op_sel_hi:[1,0,0]
	v_mov_b32_e32 v45, v3
	v_pk_mul_f32 v[2:3], v[4:5], v[42:43] op_sel:[0,1]
	s_delay_alu instid0(VALU_DEP_1) | instskip(SKIP_1) | instid1(VALU_DEP_1)
	v_pk_fma_f32 v[6:7], v[4:5], v[40:41], v[2:3] op_sel:[0,0,1] op_sel_hi:[1,1,0] neg_lo:[0,0,1] neg_hi:[0,0,1]
	v_pk_fma_f32 v[2:3], v[4:5], v[40:41], v[2:3] op_sel:[0,0,1] op_sel_hi:[1,0,0]
	v_mov_b32_e32 v7, v3
	ds_load_2addr_b64 v[2:5], v126 offset0:24 offset1:25
	v_pk_add_f32 v[174:175], v[174:175], v[44:45] neg_lo:[0,1] neg_hi:[0,1]
	v_pk_add_f32 v[176:177], v[176:177], v[6:7] neg_lo:[0,1] neg_hi:[0,1]
	s_wait_dscnt 0x0
	v_pk_mul_f32 v[6:7], v[2:3], v[42:43] op_sel:[0,1]
	s_delay_alu instid0(VALU_DEP_1) | instskip(SKIP_1) | instid1(VALU_DEP_1)
	v_pk_fma_f32 v[44:45], v[2:3], v[40:41], v[6:7] op_sel:[0,0,1] op_sel_hi:[1,1,0] neg_lo:[0,0,1] neg_hi:[0,0,1]
	v_pk_fma_f32 v[2:3], v[2:3], v[40:41], v[6:7] op_sel:[0,0,1] op_sel_hi:[1,0,0]
	v_mov_b32_e32 v45, v3
	v_pk_mul_f32 v[2:3], v[4:5], v[42:43] op_sel:[0,1]
	s_delay_alu instid0(VALU_DEP_1) | instskip(SKIP_1) | instid1(VALU_DEP_1)
	v_pk_fma_f32 v[6:7], v[4:5], v[40:41], v[2:3] op_sel:[0,0,1] op_sel_hi:[1,1,0] neg_lo:[0,0,1] neg_hi:[0,0,1]
	v_pk_fma_f32 v[2:3], v[4:5], v[40:41], v[2:3] op_sel:[0,0,1] op_sel_hi:[1,0,0]
	v_mov_b32_e32 v7, v3
	ds_load_2addr_b64 v[2:5], v126 offset0:26 offset1:27
	v_pk_add_f32 v[178:179], v[178:179], v[44:45] neg_lo:[0,1] neg_hi:[0,1]
	v_pk_add_f32 v[180:181], v[180:181], v[6:7] neg_lo:[0,1] neg_hi:[0,1]
	s_wait_dscnt 0x0
	v_dual_mul_f32 v6, v3, v43 :: v_dual_mul_f32 v44, v3, v40
	s_delay_alu instid0(VALU_DEP_1) | instskip(NEXT) | instid1(VALU_DEP_2)
	v_pk_fma_f32 v[6:7], v[2:3], v[164:165], v[6:7] op_sel_hi:[1,1,0] neg_lo:[0,0,1] neg_hi:[0,0,1]
	v_pk_fma_f32 v[2:3], v[2:3], v[164:165], v[44:45] op_sel:[1,0,0] op_sel_hi:[0,1,0]
	s_delay_alu instid0(VALU_DEP_1) | instskip(SKIP_1) | instid1(VALU_DEP_2)
	v_mov_b32_e32 v7, v3
	v_pk_mul_f32 v[2:3], v[4:5], v[42:43] op_sel:[0,1]
	v_pk_add_f32 v[182:183], v[182:183], v[6:7] neg_lo:[0,1] neg_hi:[0,1]
	s_delay_alu instid0(VALU_DEP_2) | instskip(SKIP_1) | instid1(VALU_DEP_1)
	v_pk_fma_f32 v[6:7], v[4:5], v[40:41], v[2:3] op_sel:[0,0,1] op_sel_hi:[1,1,0] neg_lo:[0,0,1] neg_hi:[0,0,1]
	v_pk_fma_f32 v[2:3], v[4:5], v[40:41], v[2:3] op_sel:[0,0,1] op_sel_hi:[1,0,0]
	v_mov_b32_e32 v7, v3
	ds_load_2addr_b64 v[2:5], v126 offset0:28 offset1:29
	v_pk_add_f32 v[184:185], v[184:185], v[6:7] neg_lo:[0,1] neg_hi:[0,1]
	s_wait_dscnt 0x0
	v_pk_mul_f32 v[6:7], v[2:3], v[42:43] op_sel:[0,1]
	s_delay_alu instid0(VALU_DEP_1) | instskip(SKIP_1) | instid1(VALU_DEP_1)
	v_pk_fma_f32 v[44:45], v[2:3], v[40:41], v[6:7] op_sel:[0,0,1] op_sel_hi:[1,1,0] neg_lo:[0,0,1] neg_hi:[0,0,1]
	v_pk_fma_f32 v[2:3], v[2:3], v[40:41], v[6:7] op_sel:[0,0,1] op_sel_hi:[1,0,0]
	v_mov_b32_e32 v45, v3
	v_pk_mul_f32 v[2:3], v[4:5], v[42:43] op_sel:[0,1]
	s_delay_alu instid0(VALU_DEP_2) | instskip(NEXT) | instid1(VALU_DEP_2)
	v_pk_add_f32 v[186:187], v[186:187], v[44:45] neg_lo:[0,1] neg_hi:[0,1]
	v_pk_fma_f32 v[6:7], v[4:5], v[40:41], v[2:3] op_sel:[0,0,1] op_sel_hi:[1,1,0] neg_lo:[0,0,1] neg_hi:[0,0,1]
	v_pk_fma_f32 v[2:3], v[4:5], v[40:41], v[2:3] op_sel:[0,0,1] op_sel_hi:[1,0,0]
	s_delay_alu instid0(VALU_DEP_1) | instskip(SKIP_4) | instid1(VALU_DEP_1)
	v_mov_b32_e32 v7, v3
	ds_load_2addr_b64 v[2:5], v126 offset0:30 offset1:31
	v_pk_add_f32 v[188:189], v[188:189], v[6:7] neg_lo:[0,1] neg_hi:[0,1]
	s_wait_dscnt 0x0
	v_pk_mul_f32 v[6:7], v[2:3], v[42:43] op_sel:[0,1]
	v_pk_fma_f32 v[44:45], v[2:3], v[40:41], v[6:7] op_sel:[0,0,1] op_sel_hi:[1,1,0] neg_lo:[0,0,1] neg_hi:[0,0,1]
	v_pk_fma_f32 v[2:3], v[2:3], v[40:41], v[6:7] op_sel:[0,0,1] op_sel_hi:[1,0,0]
	v_dual_mul_f32 v6, v5, v43 :: v_dual_mov_b32 v2, v5
	s_delay_alu instid0(VALU_DEP_2) | instskip(NEXT) | instid1(VALU_DEP_2)
	v_dual_mov_b32 v45, v3 :: v_dual_mov_b32 v3, v4
	v_pk_fma_f32 v[6:7], v[4:5], v[164:165], v[6:7] op_sel_hi:[1,1,0] neg_lo:[0,0,1] neg_hi:[0,0,1]
	v_mul_f32_e32 v4, v5, v40
	s_delay_alu instid0(VALU_DEP_3) | instskip(NEXT) | instid1(VALU_DEP_2)
	v_pk_add_f32 v[190:191], v[190:191], v[44:45] neg_lo:[0,1] neg_hi:[0,1]
	v_pk_fma_f32 v[2:3], v[2:3], v[164:165], v[4:5] op_sel_hi:[1,1,0]
	s_delay_alu instid0(VALU_DEP_1) | instskip(SKIP_4) | instid1(VALU_DEP_1)
	v_mov_b32_e32 v7, v3
	ds_load_2addr_b64 v[2:5], v126 offset0:32 offset1:33
	v_pk_add_f32 v[192:193], v[192:193], v[6:7] neg_lo:[0,1] neg_hi:[0,1]
	s_wait_dscnt 0x0
	v_pk_mul_f32 v[6:7], v[2:3], v[42:43] op_sel:[0,1]
	v_pk_fma_f32 v[44:45], v[2:3], v[40:41], v[6:7] op_sel:[0,0,1] op_sel_hi:[1,1,0] neg_lo:[0,0,1] neg_hi:[0,0,1]
	v_pk_fma_f32 v[2:3], v[2:3], v[40:41], v[6:7] op_sel:[0,0,1] op_sel_hi:[1,0,0]
	s_delay_alu instid0(VALU_DEP_1) | instskip(SKIP_1) | instid1(VALU_DEP_1)
	v_mov_b32_e32 v45, v3
	v_pk_mul_f32 v[2:3], v[4:5], v[42:43] op_sel:[0,1]
	v_pk_fma_f32 v[6:7], v[4:5], v[40:41], v[2:3] op_sel:[0,0,1] op_sel_hi:[1,1,0] neg_lo:[0,0,1] neg_hi:[0,0,1]
	v_pk_fma_f32 v[2:3], v[4:5], v[40:41], v[2:3] op_sel:[0,0,1] op_sel_hi:[1,0,0]
	s_delay_alu instid0(VALU_DEP_1)
	v_mov_b32_e32 v7, v3
	ds_load_2addr_b64 v[2:5], v126 offset0:34 offset1:35
	v_pk_add_f32 v[194:195], v[194:195], v[44:45] neg_lo:[0,1] neg_hi:[0,1]
	v_pk_add_f32 v[196:197], v[196:197], v[6:7] neg_lo:[0,1] neg_hi:[0,1]
	s_wait_dscnt 0x0
	v_pk_mul_f32 v[6:7], v[2:3], v[42:43] op_sel:[0,1]
	s_delay_alu instid0(VALU_DEP_1) | instskip(SKIP_1) | instid1(VALU_DEP_1)
	v_pk_fma_f32 v[44:45], v[2:3], v[40:41], v[6:7] op_sel:[0,0,1] op_sel_hi:[1,1,0] neg_lo:[0,0,1] neg_hi:[0,0,1]
	v_pk_fma_f32 v[2:3], v[2:3], v[40:41], v[6:7] op_sel:[0,0,1] op_sel_hi:[1,0,0]
	v_mov_b32_e32 v45, v3
	v_pk_mul_f32 v[2:3], v[4:5], v[42:43] op_sel:[0,1]
	s_delay_alu instid0(VALU_DEP_1) | instskip(SKIP_1) | instid1(VALU_DEP_1)
	v_pk_fma_f32 v[6:7], v[4:5], v[40:41], v[2:3] op_sel:[0,0,1] op_sel_hi:[1,1,0] neg_lo:[0,0,1] neg_hi:[0,0,1]
	v_pk_fma_f32 v[2:3], v[4:5], v[40:41], v[2:3] op_sel:[0,0,1] op_sel_hi:[1,0,0]
	v_mov_b32_e32 v7, v3
	ds_load_2addr_b64 v[2:5], v126 offset0:36 offset1:37
	v_pk_add_f32 v[198:199], v[198:199], v[44:45] neg_lo:[0,1] neg_hi:[0,1]
	v_pk_add_f32 v[200:201], v[200:201], v[6:7] neg_lo:[0,1] neg_hi:[0,1]
	s_wait_dscnt 0x0
	v_dual_mul_f32 v6, v3, v43 :: v_dual_mul_f32 v44, v3, v40
	s_delay_alu instid0(VALU_DEP_1) | instskip(NEXT) | instid1(VALU_DEP_2)
	v_pk_fma_f32 v[6:7], v[2:3], v[164:165], v[6:7] op_sel_hi:[1,1,0] neg_lo:[0,0,1] neg_hi:[0,0,1]
	v_pk_fma_f32 v[2:3], v[2:3], v[164:165], v[44:45] op_sel:[1,0,0] op_sel_hi:[0,1,0]
	s_delay_alu instid0(VALU_DEP_1) | instskip(SKIP_1) | instid1(VALU_DEP_2)
	v_mov_b32_e32 v7, v3
	v_pk_mul_f32 v[2:3], v[4:5], v[42:43] op_sel:[0,1]
	v_pk_add_f32 v[202:203], v[202:203], v[6:7] neg_lo:[0,1] neg_hi:[0,1]
	s_delay_alu instid0(VALU_DEP_2) | instskip(SKIP_1) | instid1(VALU_DEP_1)
	v_pk_fma_f32 v[6:7], v[4:5], v[40:41], v[2:3] op_sel:[0,0,1] op_sel_hi:[1,1,0] neg_lo:[0,0,1] neg_hi:[0,0,1]
	v_pk_fma_f32 v[2:3], v[4:5], v[40:41], v[2:3] op_sel:[0,0,1] op_sel_hi:[1,0,0]
	v_mov_b32_e32 v7, v3
	ds_load_2addr_b64 v[2:5], v126 offset0:38 offset1:39
	v_pk_add_f32 v[204:205], v[204:205], v[6:7] neg_lo:[0,1] neg_hi:[0,1]
	s_wait_dscnt 0x0
	v_pk_mul_f32 v[6:7], v[2:3], v[42:43] op_sel:[0,1]
	s_delay_alu instid0(VALU_DEP_1) | instskip(SKIP_1) | instid1(VALU_DEP_1)
	v_pk_fma_f32 v[44:45], v[2:3], v[40:41], v[6:7] op_sel:[0,0,1] op_sel_hi:[1,1,0] neg_lo:[0,0,1] neg_hi:[0,0,1]
	v_pk_fma_f32 v[2:3], v[2:3], v[40:41], v[6:7] op_sel:[0,0,1] op_sel_hi:[1,0,0]
	v_mov_b32_e32 v45, v3
	v_pk_mul_f32 v[2:3], v[4:5], v[42:43] op_sel:[0,1]
	s_delay_alu instid0(VALU_DEP_2) | instskip(NEXT) | instid1(VALU_DEP_2)
	v_pk_add_f32 v[206:207], v[206:207], v[44:45] neg_lo:[0,1] neg_hi:[0,1]
	v_pk_fma_f32 v[6:7], v[4:5], v[40:41], v[2:3] op_sel:[0,0,1] op_sel_hi:[1,1,0] neg_lo:[0,0,1] neg_hi:[0,0,1]
	v_pk_fma_f32 v[2:3], v[4:5], v[40:41], v[2:3] op_sel:[0,0,1] op_sel_hi:[1,0,0]
	s_delay_alu instid0(VALU_DEP_1) | instskip(SKIP_4) | instid1(VALU_DEP_1)
	v_mov_b32_e32 v7, v3
	ds_load_2addr_b64 v[2:5], v126 offset0:40 offset1:41
	v_pk_add_f32 v[208:209], v[208:209], v[6:7] neg_lo:[0,1] neg_hi:[0,1]
	s_wait_dscnt 0x0
	v_pk_mul_f32 v[6:7], v[2:3], v[42:43] op_sel:[0,1]
	v_pk_fma_f32 v[44:45], v[2:3], v[40:41], v[6:7] op_sel:[0,0,1] op_sel_hi:[1,1,0] neg_lo:[0,0,1] neg_hi:[0,0,1]
	v_pk_fma_f32 v[2:3], v[2:3], v[40:41], v[6:7] op_sel:[0,0,1] op_sel_hi:[1,0,0]
	v_dual_mul_f32 v6, v5, v43 :: v_dual_mov_b32 v2, v5
	s_delay_alu instid0(VALU_DEP_2) | instskip(NEXT) | instid1(VALU_DEP_2)
	v_dual_mov_b32 v45, v3 :: v_dual_mov_b32 v3, v4
	v_pk_fma_f32 v[6:7], v[4:5], v[164:165], v[6:7] op_sel_hi:[1,1,0] neg_lo:[0,0,1] neg_hi:[0,0,1]
	v_mul_f32_e32 v4, v5, v40
	s_delay_alu instid0(VALU_DEP_3) | instskip(NEXT) | instid1(VALU_DEP_2)
	v_pk_add_f32 v[210:211], v[210:211], v[44:45] neg_lo:[0,1] neg_hi:[0,1]
	v_pk_fma_f32 v[2:3], v[2:3], v[164:165], v[4:5] op_sel_hi:[1,1,0]
	s_delay_alu instid0(VALU_DEP_1) | instskip(SKIP_4) | instid1(VALU_DEP_1)
	v_mov_b32_e32 v7, v3
	ds_load_2addr_b64 v[2:5], v126 offset0:42 offset1:43
	v_pk_add_f32 v[212:213], v[212:213], v[6:7] neg_lo:[0,1] neg_hi:[0,1]
	s_wait_dscnt 0x0
	v_pk_mul_f32 v[6:7], v[2:3], v[42:43] op_sel:[0,1]
	v_pk_fma_f32 v[44:45], v[2:3], v[40:41], v[6:7] op_sel:[0,0,1] op_sel_hi:[1,1,0] neg_lo:[0,0,1] neg_hi:[0,0,1]
	v_pk_fma_f32 v[2:3], v[2:3], v[40:41], v[6:7] op_sel:[0,0,1] op_sel_hi:[1,0,0]
	s_delay_alu instid0(VALU_DEP_1) | instskip(SKIP_1) | instid1(VALU_DEP_1)
	v_mov_b32_e32 v45, v3
	v_pk_mul_f32 v[2:3], v[4:5], v[42:43] op_sel:[0,1]
	v_pk_fma_f32 v[6:7], v[4:5], v[40:41], v[2:3] op_sel:[0,0,1] op_sel_hi:[1,1,0] neg_lo:[0,0,1] neg_hi:[0,0,1]
	v_pk_fma_f32 v[2:3], v[4:5], v[40:41], v[2:3] op_sel:[0,0,1] op_sel_hi:[1,0,0]
	s_delay_alu instid0(VALU_DEP_1)
	v_mov_b32_e32 v7, v3
	ds_load_2addr_b64 v[2:5], v126 offset0:44 offset1:45
	v_pk_add_f32 v[214:215], v[214:215], v[44:45] neg_lo:[0,1] neg_hi:[0,1]
	v_pk_add_f32 v[216:217], v[216:217], v[6:7] neg_lo:[0,1] neg_hi:[0,1]
	s_wait_dscnt 0x0
	v_pk_mul_f32 v[6:7], v[2:3], v[42:43] op_sel:[0,1]
	s_delay_alu instid0(VALU_DEP_1) | instskip(SKIP_1) | instid1(VALU_DEP_1)
	v_pk_fma_f32 v[44:45], v[2:3], v[40:41], v[6:7] op_sel:[0,0,1] op_sel_hi:[1,1,0] neg_lo:[0,0,1] neg_hi:[0,0,1]
	v_pk_fma_f32 v[2:3], v[2:3], v[40:41], v[6:7] op_sel:[0,0,1] op_sel_hi:[1,0,0]
	v_mov_b32_e32 v45, v3
	v_pk_mul_f32 v[2:3], v[4:5], v[42:43] op_sel:[0,1]
	s_delay_alu instid0(VALU_DEP_1) | instskip(SKIP_1) | instid1(VALU_DEP_1)
	v_pk_fma_f32 v[6:7], v[4:5], v[40:41], v[2:3] op_sel:[0,0,1] op_sel_hi:[1,1,0] neg_lo:[0,0,1] neg_hi:[0,0,1]
	v_pk_fma_f32 v[2:3], v[4:5], v[40:41], v[2:3] op_sel:[0,0,1] op_sel_hi:[1,0,0]
	v_mov_b32_e32 v7, v3
	ds_load_2addr_b64 v[2:5], v126 offset0:46 offset1:47
	v_pk_add_f32 v[218:219], v[218:219], v[44:45] neg_lo:[0,1] neg_hi:[0,1]
	v_pk_add_f32 v[220:221], v[220:221], v[6:7] neg_lo:[0,1] neg_hi:[0,1]
	s_wait_dscnt 0x0
	v_dual_mul_f32 v6, v3, v43 :: v_dual_mul_f32 v44, v3, v40
	s_delay_alu instid0(VALU_DEP_1) | instskip(NEXT) | instid1(VALU_DEP_2)
	v_pk_fma_f32 v[6:7], v[2:3], v[164:165], v[6:7] op_sel_hi:[1,1,0] neg_lo:[0,0,1] neg_hi:[0,0,1]
	v_pk_fma_f32 v[2:3], v[2:3], v[164:165], v[44:45] op_sel:[1,0,0] op_sel_hi:[0,1,0]
	s_delay_alu instid0(VALU_DEP_1) | instskip(SKIP_1) | instid1(VALU_DEP_2)
	v_mov_b32_e32 v7, v3
	v_pk_mul_f32 v[2:3], v[4:5], v[42:43] op_sel:[0,1]
	v_pk_add_f32 v[222:223], v[222:223], v[6:7] neg_lo:[0,1] neg_hi:[0,1]
	s_delay_alu instid0(VALU_DEP_2) | instskip(SKIP_1) | instid1(VALU_DEP_1)
	v_pk_fma_f32 v[6:7], v[4:5], v[40:41], v[2:3] op_sel:[0,0,1] op_sel_hi:[1,1,0] neg_lo:[0,0,1] neg_hi:[0,0,1]
	v_pk_fma_f32 v[2:3], v[4:5], v[40:41], v[2:3] op_sel:[0,0,1] op_sel_hi:[1,0,0]
	v_mov_b32_e32 v7, v3
	ds_load_2addr_b64 v[2:5], v126 offset0:48 offset1:49
	v_pk_add_f32 v[224:225], v[224:225], v[6:7] neg_lo:[0,1] neg_hi:[0,1]
	s_wait_dscnt 0x0
	v_pk_mul_f32 v[6:7], v[2:3], v[42:43] op_sel:[0,1]
	s_delay_alu instid0(VALU_DEP_1) | instskip(SKIP_1) | instid1(VALU_DEP_1)
	v_pk_fma_f32 v[44:45], v[2:3], v[40:41], v[6:7] op_sel:[0,0,1] op_sel_hi:[1,1,0] neg_lo:[0,0,1] neg_hi:[0,0,1]
	v_pk_fma_f32 v[2:3], v[2:3], v[40:41], v[6:7] op_sel:[0,0,1] op_sel_hi:[1,0,0]
	v_mov_b32_e32 v45, v3
	v_pk_mul_f32 v[2:3], v[4:5], v[42:43] op_sel:[0,1]
	s_delay_alu instid0(VALU_DEP_2) | instskip(NEXT) | instid1(VALU_DEP_2)
	v_pk_add_f32 v[226:227], v[226:227], v[44:45] neg_lo:[0,1] neg_hi:[0,1]
	v_pk_fma_f32 v[6:7], v[4:5], v[40:41], v[2:3] op_sel:[0,0,1] op_sel_hi:[1,1,0] neg_lo:[0,0,1] neg_hi:[0,0,1]
	v_pk_fma_f32 v[2:3], v[4:5], v[40:41], v[2:3] op_sel:[0,0,1] op_sel_hi:[1,0,0]
	s_delay_alu instid0(VALU_DEP_1) | instskip(SKIP_4) | instid1(VALU_DEP_1)
	v_mov_b32_e32 v7, v3
	ds_load_2addr_b64 v[2:5], v126 offset0:50 offset1:51
	v_pk_add_f32 v[228:229], v[228:229], v[6:7] neg_lo:[0,1] neg_hi:[0,1]
	s_wait_dscnt 0x0
	v_pk_mul_f32 v[6:7], v[2:3], v[42:43] op_sel:[0,1]
	v_pk_fma_f32 v[44:45], v[2:3], v[40:41], v[6:7] op_sel:[0,0,1] op_sel_hi:[1,1,0] neg_lo:[0,0,1] neg_hi:[0,0,1]
	v_pk_fma_f32 v[2:3], v[2:3], v[40:41], v[6:7] op_sel:[0,0,1] op_sel_hi:[1,0,0]
	v_dual_mul_f32 v6, v5, v43 :: v_dual_mov_b32 v2, v5
	s_delay_alu instid0(VALU_DEP_2) | instskip(NEXT) | instid1(VALU_DEP_2)
	v_dual_mov_b32 v45, v3 :: v_dual_mov_b32 v3, v4
	v_pk_fma_f32 v[6:7], v[4:5], v[164:165], v[6:7] op_sel_hi:[1,1,0] neg_lo:[0,0,1] neg_hi:[0,0,1]
	v_mul_f32_e32 v4, v5, v40
	s_delay_alu instid0(VALU_DEP_3) | instskip(NEXT) | instid1(VALU_DEP_2)
	v_pk_add_f32 v[230:231], v[230:231], v[44:45] neg_lo:[0,1] neg_hi:[0,1]
	v_pk_fma_f32 v[2:3], v[2:3], v[164:165], v[4:5] op_sel_hi:[1,1,0]
	s_delay_alu instid0(VALU_DEP_1) | instskip(SKIP_4) | instid1(VALU_DEP_1)
	v_mov_b32_e32 v7, v3
	ds_load_2addr_b64 v[2:5], v126 offset0:52 offset1:53
	v_pk_add_f32 v[232:233], v[232:233], v[6:7] neg_lo:[0,1] neg_hi:[0,1]
	s_wait_dscnt 0x0
	v_pk_mul_f32 v[6:7], v[2:3], v[42:43] op_sel:[0,1]
	v_pk_fma_f32 v[44:45], v[2:3], v[40:41], v[6:7] op_sel:[0,0,1] op_sel_hi:[1,1,0] neg_lo:[0,0,1] neg_hi:[0,0,1]
	v_pk_fma_f32 v[2:3], v[2:3], v[40:41], v[6:7] op_sel:[0,0,1] op_sel_hi:[1,0,0]
	s_delay_alu instid0(VALU_DEP_1) | instskip(SKIP_1) | instid1(VALU_DEP_1)
	v_mov_b32_e32 v45, v3
	v_pk_mul_f32 v[2:3], v[4:5], v[42:43] op_sel:[0,1]
	v_pk_fma_f32 v[6:7], v[4:5], v[40:41], v[2:3] op_sel:[0,0,1] op_sel_hi:[1,1,0] neg_lo:[0,0,1] neg_hi:[0,0,1]
	v_pk_fma_f32 v[2:3], v[4:5], v[40:41], v[2:3] op_sel:[0,0,1] op_sel_hi:[1,0,0]
	s_delay_alu instid0(VALU_DEP_1)
	v_mov_b32_e32 v7, v3
	ds_load_2addr_b64 v[2:5], v126 offset0:54 offset1:55
	v_pk_add_f32 v[234:235], v[234:235], v[44:45] neg_lo:[0,1] neg_hi:[0,1]
	v_pk_add_f32 v[236:237], v[236:237], v[6:7] neg_lo:[0,1] neg_hi:[0,1]
	s_wait_dscnt 0x0
	v_pk_mul_f32 v[6:7], v[2:3], v[42:43] op_sel:[0,1]
	s_delay_alu instid0(VALU_DEP_1) | instskip(SKIP_1) | instid1(VALU_DEP_1)
	v_pk_fma_f32 v[44:45], v[2:3], v[40:41], v[6:7] op_sel:[0,0,1] op_sel_hi:[1,1,0] neg_lo:[0,0,1] neg_hi:[0,0,1]
	v_pk_fma_f32 v[2:3], v[2:3], v[40:41], v[6:7] op_sel:[0,0,1] op_sel_hi:[1,0,0]
	v_mov_b32_e32 v45, v3
	v_pk_mul_f32 v[2:3], v[4:5], v[42:43] op_sel:[0,1]
	s_delay_alu instid0(VALU_DEP_1) | instskip(SKIP_1) | instid1(VALU_DEP_1)
	v_pk_fma_f32 v[6:7], v[4:5], v[40:41], v[2:3] op_sel:[0,0,1] op_sel_hi:[1,1,0] neg_lo:[0,0,1] neg_hi:[0,0,1]
	v_pk_fma_f32 v[2:3], v[4:5], v[40:41], v[2:3] op_sel:[0,0,1] op_sel_hi:[1,0,0]
	v_mov_b32_e32 v7, v3
	ds_load_2addr_b64 v[2:5], v126 offset0:56 offset1:57
	v_pk_add_f32 v[238:239], v[238:239], v[44:45] neg_lo:[0,1] neg_hi:[0,1]
	v_pk_add_f32 v[240:241], v[240:241], v[6:7] neg_lo:[0,1] neg_hi:[0,1]
	s_wait_dscnt 0x0
	v_dual_mul_f32 v6, v3, v43 :: v_dual_mul_f32 v44, v3, v40
	s_delay_alu instid0(VALU_DEP_1) | instskip(NEXT) | instid1(VALU_DEP_2)
	v_pk_fma_f32 v[6:7], v[2:3], v[164:165], v[6:7] op_sel_hi:[1,1,0] neg_lo:[0,0,1] neg_hi:[0,0,1]
	v_pk_fma_f32 v[2:3], v[2:3], v[164:165], v[44:45] op_sel:[1,0,0] op_sel_hi:[0,1,0]
	s_delay_alu instid0(VALU_DEP_1) | instskip(SKIP_1) | instid1(VALU_DEP_2)
	v_mov_b32_e32 v7, v3
	v_pk_mul_f32 v[2:3], v[4:5], v[42:43] op_sel:[0,1]
	v_pk_add_f32 v[252:253], v[252:253], v[6:7] neg_lo:[0,1] neg_hi:[0,1]
	s_delay_alu instid0(VALU_DEP_2) | instskip(SKIP_1) | instid1(VALU_DEP_1)
	v_pk_fma_f32 v[6:7], v[4:5], v[40:41], v[2:3] op_sel:[0,0,1] op_sel_hi:[1,1,0] neg_lo:[0,0,1] neg_hi:[0,0,1]
	v_pk_fma_f32 v[2:3], v[4:5], v[40:41], v[2:3] op_sel:[0,0,1] op_sel_hi:[1,0,0]
	v_mov_b32_e32 v7, v3
	ds_load_2addr_b64 v[2:5], v126 offset0:58 offset1:59
	v_pk_add_f32 v[246:247], v[246:247], v[6:7] neg_lo:[0,1] neg_hi:[0,1]
	s_wait_dscnt 0x0
	v_pk_mul_f32 v[6:7], v[2:3], v[42:43] op_sel:[0,1]
	s_delay_alu instid0(VALU_DEP_1) | instskip(SKIP_1) | instid1(VALU_DEP_1)
	v_pk_fma_f32 v[44:45], v[2:3], v[40:41], v[6:7] op_sel:[0,0,1] op_sel_hi:[1,1,0] neg_lo:[0,0,1] neg_hi:[0,0,1]
	v_pk_fma_f32 v[2:3], v[2:3], v[40:41], v[6:7] op_sel:[0,0,1] op_sel_hi:[1,0,0]
	v_mov_b32_e32 v45, v3
	v_pk_mul_f32 v[2:3], v[4:5], v[42:43] op_sel:[0,1]
	s_delay_alu instid0(VALU_DEP_2) | instskip(NEXT) | instid1(VALU_DEP_2)
	v_pk_add_f32 v[250:251], v[250:251], v[44:45] neg_lo:[0,1] neg_hi:[0,1]
	v_pk_fma_f32 v[6:7], v[4:5], v[40:41], v[2:3] op_sel:[0,0,1] op_sel_hi:[1,1,0] neg_lo:[0,0,1] neg_hi:[0,0,1]
	v_pk_fma_f32 v[2:3], v[4:5], v[40:41], v[2:3] op_sel:[0,0,1] op_sel_hi:[1,0,0]
	s_delay_alu instid0(VALU_DEP_1) | instskip(SKIP_4) | instid1(VALU_DEP_1)
	v_mov_b32_e32 v7, v3
	ds_load_2addr_b64 v[2:5], v126 offset0:60 offset1:61
	v_pk_add_f32 v[244:245], v[244:245], v[6:7] neg_lo:[0,1] neg_hi:[0,1]
	s_wait_dscnt 0x0
	v_pk_mul_f32 v[6:7], v[2:3], v[42:43] op_sel:[0,1]
	v_pk_fma_f32 v[44:45], v[2:3], v[40:41], v[6:7] op_sel:[0,0,1] op_sel_hi:[1,1,0] neg_lo:[0,0,1] neg_hi:[0,0,1]
	v_pk_fma_f32 v[2:3], v[2:3], v[40:41], v[6:7] op_sel:[0,0,1] op_sel_hi:[1,0,0]
	v_dual_mul_f32 v6, v5, v43 :: v_dual_mov_b32 v2, v5
	s_delay_alu instid0(VALU_DEP_2) | instskip(NEXT) | instid1(VALU_DEP_2)
	v_dual_mov_b32 v45, v3 :: v_dual_mov_b32 v3, v4
	v_pk_fma_f32 v[6:7], v[4:5], v[164:165], v[6:7] op_sel_hi:[1,1,0] neg_lo:[0,0,1] neg_hi:[0,0,1]
	v_mul_f32_e32 v4, v5, v40
	s_delay_alu instid0(VALU_DEP_3) | instskip(NEXT) | instid1(VALU_DEP_2)
	v_pk_add_f32 v[248:249], v[248:249], v[44:45] neg_lo:[0,1] neg_hi:[0,1]
	v_pk_fma_f32 v[2:3], v[2:3], v[164:165], v[4:5] op_sel_hi:[1,1,0]
	s_delay_alu instid0(VALU_DEP_1) | instskip(SKIP_4) | instid1(VALU_DEP_1)
	v_mov_b32_e32 v7, v3
	ds_load_2addr_b64 v[2:5], v126 offset0:62 offset1:63
	v_pk_add_f32 v[242:243], v[242:243], v[6:7] neg_lo:[0,1] neg_hi:[0,1]
	s_wait_dscnt 0x0
	v_pk_mul_f32 v[6:7], v[2:3], v[42:43] op_sel:[0,1]
	v_pk_fma_f32 v[44:45], v[2:3], v[40:41], v[6:7] op_sel:[0,0,1] op_sel_hi:[1,1,0] neg_lo:[0,0,1] neg_hi:[0,0,1]
	v_pk_fma_f32 v[2:3], v[2:3], v[40:41], v[6:7] op_sel:[0,0,1] op_sel_hi:[1,0,0]
	s_delay_alu instid0(VALU_DEP_1) | instskip(SKIP_1) | instid1(VALU_DEP_1)
	v_mov_b32_e32 v45, v3
	v_pk_mul_f32 v[2:3], v[4:5], v[42:43] op_sel:[0,1]
	v_pk_fma_f32 v[6:7], v[4:5], v[40:41], v[2:3] op_sel:[0,0,1] op_sel_hi:[1,1,0] neg_lo:[0,0,1] neg_hi:[0,0,1]
	v_pk_fma_f32 v[2:3], v[4:5], v[40:41], v[2:3] op_sel:[0,0,1] op_sel_hi:[1,0,0]
	s_delay_alu instid0(VALU_DEP_1) | instskip(SKIP_1) | instid1(VALU_DEP_2)
	v_mov_b32_e32 v7, v3
	v_pk_add_f32 v[254:255], v[254:255], v[44:45] neg_lo:[0,1] neg_hi:[0,1]
	v_pk_add_f32 v[0:1], v[0:1], v[6:7] neg_lo:[0,1] neg_hi:[0,1]
.LBB127_163:
	s_or_b32 exec_lo, exec_lo, s1
	s_delay_alu instid0(SALU_CYCLE_1)
	s_mov_b32 s2, exec_lo
	s_wait_dscnt 0x0
	s_barrier_signal -1
	s_barrier_wait -1
	v_cmpx_eq_u32_e32 18, v18
	s_cbranch_execz .LBB127_170
; %bb.164:
	ds_store_b64 v19, v[166:167]
	ds_store_2addr_b64 v126, v[168:169], v[170:171] offset0:19 offset1:20
	ds_store_2addr_b64 v126, v[172:173], v[174:175] offset0:21 offset1:22
	;; [unrolled: 1-line block ×22, first 2 shown]
	ds_store_b64 v126, v[0:1] offset:504
	ds_load_b64 v[2:3], v19
	s_wait_dscnt 0x0
	v_cmp_neq_f32_e32 vcc_lo, 0, v2
	v_cmp_neq_f32_e64 s1, 0, v3
	s_or_b32 s1, vcc_lo, s1
	s_delay_alu instid0(SALU_CYCLE_1)
	s_and_b32 exec_lo, exec_lo, s1
	s_cbranch_execz .LBB127_170
; %bb.165:
	v_cmp_ngt_f32_e64 s1, |v2|, |v3|
                                        ; implicit-def: $vgpr4_vgpr5
	s_and_saveexec_b32 s4, s1
	s_delay_alu instid0(SALU_CYCLE_1)
	s_xor_b32 s1, exec_lo, s4
	s_cbranch_execz .LBB127_167
; %bb.166:
	v_div_scale_f32 v4, null, v3, v3, v2
	v_div_scale_f32 v7, vcc_lo, v2, v3, v2
	s_delay_alu instid0(VALU_DEP_2) | instskip(SKIP_1) | instid1(TRANS32_DEP_1)
	v_rcp_f32_e32 v5, v4
	v_nop
	v_fma_f32 v6, -v4, v5, 1.0
	s_delay_alu instid0(VALU_DEP_1) | instskip(NEXT) | instid1(VALU_DEP_1)
	v_fmac_f32_e32 v5, v6, v5
	v_mul_f32_e32 v6, v7, v5
	s_delay_alu instid0(VALU_DEP_1) | instskip(NEXT) | instid1(VALU_DEP_1)
	v_fma_f32 v8, -v4, v6, v7
	v_fmac_f32_e32 v6, v8, v5
	s_delay_alu instid0(VALU_DEP_1) | instskip(NEXT) | instid1(VALU_DEP_1)
	v_fma_f32 v4, -v4, v6, v7
	v_div_fmas_f32 v4, v4, v5, v6
	s_delay_alu instid0(VALU_DEP_1) | instskip(NEXT) | instid1(VALU_DEP_1)
	v_div_fixup_f32 v4, v4, v3, v2
	v_fmac_f32_e32 v3, v2, v4
	s_delay_alu instid0(VALU_DEP_1) | instskip(SKIP_1) | instid1(VALU_DEP_2)
	v_div_scale_f32 v2, null, v3, v3, 1.0
	v_div_scale_f32 v7, vcc_lo, 1.0, v3, 1.0
	v_rcp_f32_e32 v5, v2
	v_nop
	s_delay_alu instid0(TRANS32_DEP_1) | instskip(NEXT) | instid1(VALU_DEP_1)
	v_fma_f32 v6, -v2, v5, 1.0
	v_fmac_f32_e32 v5, v6, v5
	s_delay_alu instid0(VALU_DEP_1) | instskip(NEXT) | instid1(VALU_DEP_1)
	v_mul_f32_e32 v6, v7, v5
	v_fma_f32 v8, -v2, v6, v7
	s_delay_alu instid0(VALU_DEP_1) | instskip(NEXT) | instid1(VALU_DEP_1)
	v_fmac_f32_e32 v6, v8, v5
	v_fma_f32 v2, -v2, v6, v7
	s_delay_alu instid0(VALU_DEP_1) | instskip(NEXT) | instid1(VALU_DEP_1)
	v_div_fmas_f32 v2, v2, v5, v6
	v_div_fixup_f32 v2, v2, v3, 1.0
	s_delay_alu instid0(VALU_DEP_1)
	v_mul_f32_e32 v4, v4, v2
	v_xor_b32_e32 v5, 0x80000000, v2
                                        ; implicit-def: $vgpr2_vgpr3
.LBB127_167:
	s_and_not1_saveexec_b32 s1, s1
	s_cbranch_execz .LBB127_169
; %bb.168:
	v_div_scale_f32 v4, null, v2, v2, v3
	v_div_scale_f32 v7, vcc_lo, v3, v2, v3
	s_delay_alu instid0(VALU_DEP_2) | instskip(SKIP_1) | instid1(TRANS32_DEP_1)
	v_rcp_f32_e32 v5, v4
	v_nop
	v_fma_f32 v6, -v4, v5, 1.0
	s_delay_alu instid0(VALU_DEP_1) | instskip(NEXT) | instid1(VALU_DEP_1)
	v_fmac_f32_e32 v5, v6, v5
	v_mul_f32_e32 v6, v7, v5
	s_delay_alu instid0(VALU_DEP_1) | instskip(NEXT) | instid1(VALU_DEP_1)
	v_fma_f32 v8, -v4, v6, v7
	v_fmac_f32_e32 v6, v8, v5
	s_delay_alu instid0(VALU_DEP_1) | instskip(NEXT) | instid1(VALU_DEP_1)
	v_fma_f32 v4, -v4, v6, v7
	v_div_fmas_f32 v4, v4, v5, v6
	s_delay_alu instid0(VALU_DEP_1) | instskip(NEXT) | instid1(VALU_DEP_1)
	v_div_fixup_f32 v5, v4, v2, v3
	v_fmac_f32_e32 v2, v3, v5
	s_delay_alu instid0(VALU_DEP_1) | instskip(NEXT) | instid1(VALU_DEP_1)
	v_div_scale_f32 v3, null, v2, v2, 1.0
	v_rcp_f32_e32 v4, v3
	v_nop
	s_delay_alu instid0(TRANS32_DEP_1) | instskip(NEXT) | instid1(VALU_DEP_1)
	v_fma_f32 v6, -v3, v4, 1.0
	v_fmac_f32_e32 v4, v6, v4
	v_div_scale_f32 v6, vcc_lo, 1.0, v2, 1.0
	s_delay_alu instid0(VALU_DEP_1) | instskip(NEXT) | instid1(VALU_DEP_1)
	v_mul_f32_e32 v7, v6, v4
	v_fma_f32 v8, -v3, v7, v6
	s_delay_alu instid0(VALU_DEP_1) | instskip(NEXT) | instid1(VALU_DEP_1)
	v_fmac_f32_e32 v7, v8, v4
	v_fma_f32 v3, -v3, v7, v6
	s_delay_alu instid0(VALU_DEP_1) | instskip(NEXT) | instid1(VALU_DEP_1)
	v_div_fmas_f32 v3, v3, v4, v7
	v_div_fixup_f32 v4, v3, v2, 1.0
	s_delay_alu instid0(VALU_DEP_1)
	v_mul_f32_e64 v5, v5, -v4
.LBB127_169:
	s_or_b32 exec_lo, exec_lo, s1
	ds_store_b64 v19, v[4:5]
.LBB127_170:
	s_or_b32 exec_lo, exec_lo, s2
	s_wait_dscnt 0x0
	s_barrier_signal -1
	s_barrier_wait -1
	ds_load_b64 v[40:41], v19
	s_mov_b32 s1, exec_lo
	v_cmpx_lt_u32_e32 18, v18
	s_cbranch_execz .LBB127_172
; %bb.171:
	s_wait_dscnt 0x0
	v_pk_mul_f32 v[2:3], v[40:41], v[166:167] op_sel:[1,1] op_sel_hi:[0,1]
	s_delay_alu instid0(VALU_DEP_1)
	v_pk_fma_f32 v[42:43], v[40:41], v[166:167], v[2:3] op_sel_hi:[1,0,1] neg_lo:[0,0,1] neg_hi:[0,0,1]
	v_pk_fma_f32 v[44:45], v[40:41], v[166:167], v[2:3] op_sel_hi:[1,0,1]
	ds_load_2addr_b64 v[2:5], v126 offset0:19 offset1:20
	v_dual_mov_b32 v166, v42 :: v_dual_mov_b32 v167, v45
	s_wait_dscnt 0x0
	v_pk_mul_f32 v[6:7], v[2:3], v[44:45] op_sel:[0,1]
	s_delay_alu instid0(VALU_DEP_1) | instskip(SKIP_1) | instid1(VALU_DEP_1)
	v_pk_fma_f32 v[46:47], v[2:3], v[42:43], v[6:7] op_sel:[0,0,1] op_sel_hi:[1,1,0] neg_lo:[0,0,1] neg_hi:[0,0,1]
	v_pk_fma_f32 v[2:3], v[2:3], v[42:43], v[6:7] op_sel:[0,0,1] op_sel_hi:[1,0,0]
	v_mov_b32_e32 v47, v3
	v_pk_mul_f32 v[2:3], v[4:5], v[44:45] op_sel:[0,1]
	s_delay_alu instid0(VALU_DEP_1) | instskip(SKIP_1) | instid1(VALU_DEP_1)
	v_pk_fma_f32 v[6:7], v[4:5], v[42:43], v[2:3] op_sel:[0,0,1] op_sel_hi:[1,1,0] neg_lo:[0,0,1] neg_hi:[0,0,1]
	v_pk_fma_f32 v[2:3], v[4:5], v[42:43], v[2:3] op_sel:[0,0,1] op_sel_hi:[1,0,0]
	v_mov_b32_e32 v7, v3
	ds_load_2addr_b64 v[2:5], v126 offset0:21 offset1:22
	v_pk_add_f32 v[168:169], v[168:169], v[46:47] neg_lo:[0,1] neg_hi:[0,1]
	v_pk_add_f32 v[170:171], v[170:171], v[6:7] neg_lo:[0,1] neg_hi:[0,1]
	s_wait_dscnt 0x0
	v_pk_mul_f32 v[6:7], v[2:3], v[44:45] op_sel:[0,1]
	s_delay_alu instid0(VALU_DEP_1) | instskip(SKIP_2) | instid1(VALU_DEP_2)
	v_pk_fma_f32 v[46:47], v[2:3], v[42:43], v[6:7] op_sel:[0,0,1] op_sel_hi:[1,1,0] neg_lo:[0,0,1] neg_hi:[0,0,1]
	v_pk_fma_f32 v[2:3], v[2:3], v[42:43], v[6:7] op_sel:[0,0,1] op_sel_hi:[1,0,0]
	v_dual_mul_f32 v6, v5, v45 :: v_dual_mov_b32 v2, v5
	v_dual_mov_b32 v47, v3 :: v_dual_mov_b32 v3, v4
	s_delay_alu instid0(VALU_DEP_2) | instskip(SKIP_1) | instid1(VALU_DEP_3)
	v_pk_fma_f32 v[6:7], v[4:5], v[166:167], v[6:7] op_sel_hi:[1,1,0] neg_lo:[0,0,1] neg_hi:[0,0,1]
	v_mul_f32_e32 v4, v5, v42
	v_pk_add_f32 v[172:173], v[172:173], v[46:47] neg_lo:[0,1] neg_hi:[0,1]
	s_delay_alu instid0(VALU_DEP_2) | instskip(NEXT) | instid1(VALU_DEP_1)
	v_pk_fma_f32 v[2:3], v[2:3], v[166:167], v[4:5] op_sel_hi:[1,1,0]
	v_mov_b32_e32 v7, v3
	ds_load_2addr_b64 v[2:5], v126 offset0:23 offset1:24
	v_pk_add_f32 v[174:175], v[174:175], v[6:7] neg_lo:[0,1] neg_hi:[0,1]
	s_wait_dscnt 0x0
	v_pk_mul_f32 v[6:7], v[2:3], v[44:45] op_sel:[0,1]
	s_delay_alu instid0(VALU_DEP_1) | instskip(SKIP_1) | instid1(VALU_DEP_1)
	v_pk_fma_f32 v[46:47], v[2:3], v[42:43], v[6:7] op_sel:[0,0,1] op_sel_hi:[1,1,0] neg_lo:[0,0,1] neg_hi:[0,0,1]
	v_pk_fma_f32 v[2:3], v[2:3], v[42:43], v[6:7] op_sel:[0,0,1] op_sel_hi:[1,0,0]
	v_mov_b32_e32 v47, v3
	v_pk_mul_f32 v[2:3], v[4:5], v[44:45] op_sel:[0,1]
	s_delay_alu instid0(VALU_DEP_1) | instskip(SKIP_1) | instid1(VALU_DEP_1)
	v_pk_fma_f32 v[6:7], v[4:5], v[42:43], v[2:3] op_sel:[0,0,1] op_sel_hi:[1,1,0] neg_lo:[0,0,1] neg_hi:[0,0,1]
	v_pk_fma_f32 v[2:3], v[4:5], v[42:43], v[2:3] op_sel:[0,0,1] op_sel_hi:[1,0,0]
	v_mov_b32_e32 v7, v3
	ds_load_2addr_b64 v[2:5], v126 offset0:25 offset1:26
	v_pk_add_f32 v[176:177], v[176:177], v[46:47] neg_lo:[0,1] neg_hi:[0,1]
	v_pk_add_f32 v[178:179], v[178:179], v[6:7] neg_lo:[0,1] neg_hi:[0,1]
	s_wait_dscnt 0x0
	v_pk_mul_f32 v[6:7], v[2:3], v[44:45] op_sel:[0,1]
	s_delay_alu instid0(VALU_DEP_1) | instskip(SKIP_1) | instid1(VALU_DEP_1)
	v_pk_fma_f32 v[46:47], v[2:3], v[42:43], v[6:7] op_sel:[0,0,1] op_sel_hi:[1,1,0] neg_lo:[0,0,1] neg_hi:[0,0,1]
	v_pk_fma_f32 v[2:3], v[2:3], v[42:43], v[6:7] op_sel:[0,0,1] op_sel_hi:[1,0,0]
	v_mov_b32_e32 v47, v3
	v_pk_mul_f32 v[2:3], v[4:5], v[44:45] op_sel:[0,1]
	s_delay_alu instid0(VALU_DEP_1) | instskip(SKIP_1) | instid1(VALU_DEP_1)
	v_pk_fma_f32 v[6:7], v[4:5], v[42:43], v[2:3] op_sel:[0,0,1] op_sel_hi:[1,1,0] neg_lo:[0,0,1] neg_hi:[0,0,1]
	v_pk_fma_f32 v[2:3], v[4:5], v[42:43], v[2:3] op_sel:[0,0,1] op_sel_hi:[1,0,0]
	v_mov_b32_e32 v7, v3
	ds_load_2addr_b64 v[2:5], v126 offset0:27 offset1:28
	v_pk_add_f32 v[180:181], v[180:181], v[46:47] neg_lo:[0,1] neg_hi:[0,1]
	v_pk_add_f32 v[182:183], v[182:183], v[6:7] neg_lo:[0,1] neg_hi:[0,1]
	s_wait_dscnt 0x0
	v_dual_mul_f32 v6, v3, v45 :: v_dual_mul_f32 v46, v3, v42
	s_delay_alu instid0(VALU_DEP_1) | instskip(NEXT) | instid1(VALU_DEP_2)
	v_pk_fma_f32 v[6:7], v[2:3], v[166:167], v[6:7] op_sel_hi:[1,1,0] neg_lo:[0,0,1] neg_hi:[0,0,1]
	v_pk_fma_f32 v[2:3], v[2:3], v[166:167], v[46:47] op_sel:[1,0,0] op_sel_hi:[0,1,0]
	s_delay_alu instid0(VALU_DEP_1) | instskip(SKIP_1) | instid1(VALU_DEP_2)
	v_mov_b32_e32 v7, v3
	v_pk_mul_f32 v[2:3], v[4:5], v[44:45] op_sel:[0,1]
	v_pk_add_f32 v[184:185], v[184:185], v[6:7] neg_lo:[0,1] neg_hi:[0,1]
	s_delay_alu instid0(VALU_DEP_2) | instskip(SKIP_1) | instid1(VALU_DEP_1)
	v_pk_fma_f32 v[6:7], v[4:5], v[42:43], v[2:3] op_sel:[0,0,1] op_sel_hi:[1,1,0] neg_lo:[0,0,1] neg_hi:[0,0,1]
	v_pk_fma_f32 v[2:3], v[4:5], v[42:43], v[2:3] op_sel:[0,0,1] op_sel_hi:[1,0,0]
	v_mov_b32_e32 v7, v3
	ds_load_2addr_b64 v[2:5], v126 offset0:29 offset1:30
	v_pk_add_f32 v[186:187], v[186:187], v[6:7] neg_lo:[0,1] neg_hi:[0,1]
	s_wait_dscnt 0x0
	v_pk_mul_f32 v[6:7], v[2:3], v[44:45] op_sel:[0,1]
	s_delay_alu instid0(VALU_DEP_1) | instskip(SKIP_1) | instid1(VALU_DEP_1)
	v_pk_fma_f32 v[46:47], v[2:3], v[42:43], v[6:7] op_sel:[0,0,1] op_sel_hi:[1,1,0] neg_lo:[0,0,1] neg_hi:[0,0,1]
	v_pk_fma_f32 v[2:3], v[2:3], v[42:43], v[6:7] op_sel:[0,0,1] op_sel_hi:[1,0,0]
	v_mov_b32_e32 v47, v3
	v_pk_mul_f32 v[2:3], v[4:5], v[44:45] op_sel:[0,1]
	s_delay_alu instid0(VALU_DEP_2) | instskip(NEXT) | instid1(VALU_DEP_2)
	v_pk_add_f32 v[188:189], v[188:189], v[46:47] neg_lo:[0,1] neg_hi:[0,1]
	v_pk_fma_f32 v[6:7], v[4:5], v[42:43], v[2:3] op_sel:[0,0,1] op_sel_hi:[1,1,0] neg_lo:[0,0,1] neg_hi:[0,0,1]
	v_pk_fma_f32 v[2:3], v[4:5], v[42:43], v[2:3] op_sel:[0,0,1] op_sel_hi:[1,0,0]
	s_delay_alu instid0(VALU_DEP_1) | instskip(SKIP_4) | instid1(VALU_DEP_1)
	v_mov_b32_e32 v7, v3
	ds_load_2addr_b64 v[2:5], v126 offset0:31 offset1:32
	v_pk_add_f32 v[190:191], v[190:191], v[6:7] neg_lo:[0,1] neg_hi:[0,1]
	s_wait_dscnt 0x0
	v_pk_mul_f32 v[6:7], v[2:3], v[44:45] op_sel:[0,1]
	v_pk_fma_f32 v[46:47], v[2:3], v[42:43], v[6:7] op_sel:[0,0,1] op_sel_hi:[1,1,0] neg_lo:[0,0,1] neg_hi:[0,0,1]
	v_pk_fma_f32 v[2:3], v[2:3], v[42:43], v[6:7] op_sel:[0,0,1] op_sel_hi:[1,0,0]
	v_dual_mul_f32 v6, v5, v45 :: v_dual_mov_b32 v2, v5
	s_delay_alu instid0(VALU_DEP_2) | instskip(NEXT) | instid1(VALU_DEP_2)
	v_dual_mov_b32 v47, v3 :: v_dual_mov_b32 v3, v4
	v_pk_fma_f32 v[6:7], v[4:5], v[166:167], v[6:7] op_sel_hi:[1,1,0] neg_lo:[0,0,1] neg_hi:[0,0,1]
	v_mul_f32_e32 v4, v5, v42
	s_delay_alu instid0(VALU_DEP_3) | instskip(NEXT) | instid1(VALU_DEP_2)
	v_pk_add_f32 v[192:193], v[192:193], v[46:47] neg_lo:[0,1] neg_hi:[0,1]
	v_pk_fma_f32 v[2:3], v[2:3], v[166:167], v[4:5] op_sel_hi:[1,1,0]
	s_delay_alu instid0(VALU_DEP_1) | instskip(SKIP_4) | instid1(VALU_DEP_1)
	v_mov_b32_e32 v7, v3
	ds_load_2addr_b64 v[2:5], v126 offset0:33 offset1:34
	v_pk_add_f32 v[194:195], v[194:195], v[6:7] neg_lo:[0,1] neg_hi:[0,1]
	s_wait_dscnt 0x0
	v_pk_mul_f32 v[6:7], v[2:3], v[44:45] op_sel:[0,1]
	v_pk_fma_f32 v[46:47], v[2:3], v[42:43], v[6:7] op_sel:[0,0,1] op_sel_hi:[1,1,0] neg_lo:[0,0,1] neg_hi:[0,0,1]
	v_pk_fma_f32 v[2:3], v[2:3], v[42:43], v[6:7] op_sel:[0,0,1] op_sel_hi:[1,0,0]
	s_delay_alu instid0(VALU_DEP_1) | instskip(SKIP_1) | instid1(VALU_DEP_1)
	v_mov_b32_e32 v47, v3
	v_pk_mul_f32 v[2:3], v[4:5], v[44:45] op_sel:[0,1]
	v_pk_fma_f32 v[6:7], v[4:5], v[42:43], v[2:3] op_sel:[0,0,1] op_sel_hi:[1,1,0] neg_lo:[0,0,1] neg_hi:[0,0,1]
	v_pk_fma_f32 v[2:3], v[4:5], v[42:43], v[2:3] op_sel:[0,0,1] op_sel_hi:[1,0,0]
	s_delay_alu instid0(VALU_DEP_1)
	v_mov_b32_e32 v7, v3
	ds_load_2addr_b64 v[2:5], v126 offset0:35 offset1:36
	v_pk_add_f32 v[196:197], v[196:197], v[46:47] neg_lo:[0,1] neg_hi:[0,1]
	v_pk_add_f32 v[198:199], v[198:199], v[6:7] neg_lo:[0,1] neg_hi:[0,1]
	s_wait_dscnt 0x0
	v_pk_mul_f32 v[6:7], v[2:3], v[44:45] op_sel:[0,1]
	s_delay_alu instid0(VALU_DEP_1) | instskip(SKIP_1) | instid1(VALU_DEP_1)
	v_pk_fma_f32 v[46:47], v[2:3], v[42:43], v[6:7] op_sel:[0,0,1] op_sel_hi:[1,1,0] neg_lo:[0,0,1] neg_hi:[0,0,1]
	v_pk_fma_f32 v[2:3], v[2:3], v[42:43], v[6:7] op_sel:[0,0,1] op_sel_hi:[1,0,0]
	v_mov_b32_e32 v47, v3
	v_pk_mul_f32 v[2:3], v[4:5], v[44:45] op_sel:[0,1]
	s_delay_alu instid0(VALU_DEP_1) | instskip(SKIP_1) | instid1(VALU_DEP_1)
	v_pk_fma_f32 v[6:7], v[4:5], v[42:43], v[2:3] op_sel:[0,0,1] op_sel_hi:[1,1,0] neg_lo:[0,0,1] neg_hi:[0,0,1]
	v_pk_fma_f32 v[2:3], v[4:5], v[42:43], v[2:3] op_sel:[0,0,1] op_sel_hi:[1,0,0]
	v_mov_b32_e32 v7, v3
	ds_load_2addr_b64 v[2:5], v126 offset0:37 offset1:38
	v_pk_add_f32 v[200:201], v[200:201], v[46:47] neg_lo:[0,1] neg_hi:[0,1]
	v_pk_add_f32 v[202:203], v[202:203], v[6:7] neg_lo:[0,1] neg_hi:[0,1]
	s_wait_dscnt 0x0
	v_dual_mul_f32 v6, v3, v45 :: v_dual_mul_f32 v46, v3, v42
	s_delay_alu instid0(VALU_DEP_1) | instskip(NEXT) | instid1(VALU_DEP_2)
	v_pk_fma_f32 v[6:7], v[2:3], v[166:167], v[6:7] op_sel_hi:[1,1,0] neg_lo:[0,0,1] neg_hi:[0,0,1]
	v_pk_fma_f32 v[2:3], v[2:3], v[166:167], v[46:47] op_sel:[1,0,0] op_sel_hi:[0,1,0]
	s_delay_alu instid0(VALU_DEP_1) | instskip(SKIP_1) | instid1(VALU_DEP_2)
	v_mov_b32_e32 v7, v3
	v_pk_mul_f32 v[2:3], v[4:5], v[44:45] op_sel:[0,1]
	v_pk_add_f32 v[204:205], v[204:205], v[6:7] neg_lo:[0,1] neg_hi:[0,1]
	s_delay_alu instid0(VALU_DEP_2) | instskip(SKIP_1) | instid1(VALU_DEP_1)
	v_pk_fma_f32 v[6:7], v[4:5], v[42:43], v[2:3] op_sel:[0,0,1] op_sel_hi:[1,1,0] neg_lo:[0,0,1] neg_hi:[0,0,1]
	v_pk_fma_f32 v[2:3], v[4:5], v[42:43], v[2:3] op_sel:[0,0,1] op_sel_hi:[1,0,0]
	v_mov_b32_e32 v7, v3
	ds_load_2addr_b64 v[2:5], v126 offset0:39 offset1:40
	v_pk_add_f32 v[206:207], v[206:207], v[6:7] neg_lo:[0,1] neg_hi:[0,1]
	s_wait_dscnt 0x0
	v_pk_mul_f32 v[6:7], v[2:3], v[44:45] op_sel:[0,1]
	s_delay_alu instid0(VALU_DEP_1) | instskip(SKIP_1) | instid1(VALU_DEP_1)
	v_pk_fma_f32 v[46:47], v[2:3], v[42:43], v[6:7] op_sel:[0,0,1] op_sel_hi:[1,1,0] neg_lo:[0,0,1] neg_hi:[0,0,1]
	v_pk_fma_f32 v[2:3], v[2:3], v[42:43], v[6:7] op_sel:[0,0,1] op_sel_hi:[1,0,0]
	v_mov_b32_e32 v47, v3
	v_pk_mul_f32 v[2:3], v[4:5], v[44:45] op_sel:[0,1]
	s_delay_alu instid0(VALU_DEP_2) | instskip(NEXT) | instid1(VALU_DEP_2)
	v_pk_add_f32 v[208:209], v[208:209], v[46:47] neg_lo:[0,1] neg_hi:[0,1]
	v_pk_fma_f32 v[6:7], v[4:5], v[42:43], v[2:3] op_sel:[0,0,1] op_sel_hi:[1,1,0] neg_lo:[0,0,1] neg_hi:[0,0,1]
	v_pk_fma_f32 v[2:3], v[4:5], v[42:43], v[2:3] op_sel:[0,0,1] op_sel_hi:[1,0,0]
	s_delay_alu instid0(VALU_DEP_1) | instskip(SKIP_4) | instid1(VALU_DEP_1)
	v_mov_b32_e32 v7, v3
	ds_load_2addr_b64 v[2:5], v126 offset0:41 offset1:42
	v_pk_add_f32 v[210:211], v[210:211], v[6:7] neg_lo:[0,1] neg_hi:[0,1]
	s_wait_dscnt 0x0
	v_pk_mul_f32 v[6:7], v[2:3], v[44:45] op_sel:[0,1]
	v_pk_fma_f32 v[46:47], v[2:3], v[42:43], v[6:7] op_sel:[0,0,1] op_sel_hi:[1,1,0] neg_lo:[0,0,1] neg_hi:[0,0,1]
	v_pk_fma_f32 v[2:3], v[2:3], v[42:43], v[6:7] op_sel:[0,0,1] op_sel_hi:[1,0,0]
	v_dual_mul_f32 v6, v5, v45 :: v_dual_mov_b32 v2, v5
	s_delay_alu instid0(VALU_DEP_2) | instskip(NEXT) | instid1(VALU_DEP_2)
	v_dual_mov_b32 v47, v3 :: v_dual_mov_b32 v3, v4
	v_pk_fma_f32 v[6:7], v[4:5], v[166:167], v[6:7] op_sel_hi:[1,1,0] neg_lo:[0,0,1] neg_hi:[0,0,1]
	v_mul_f32_e32 v4, v5, v42
	s_delay_alu instid0(VALU_DEP_3) | instskip(NEXT) | instid1(VALU_DEP_2)
	v_pk_add_f32 v[212:213], v[212:213], v[46:47] neg_lo:[0,1] neg_hi:[0,1]
	v_pk_fma_f32 v[2:3], v[2:3], v[166:167], v[4:5] op_sel_hi:[1,1,0]
	s_delay_alu instid0(VALU_DEP_1) | instskip(SKIP_4) | instid1(VALU_DEP_1)
	v_mov_b32_e32 v7, v3
	ds_load_2addr_b64 v[2:5], v126 offset0:43 offset1:44
	v_pk_add_f32 v[214:215], v[214:215], v[6:7] neg_lo:[0,1] neg_hi:[0,1]
	s_wait_dscnt 0x0
	v_pk_mul_f32 v[6:7], v[2:3], v[44:45] op_sel:[0,1]
	v_pk_fma_f32 v[46:47], v[2:3], v[42:43], v[6:7] op_sel:[0,0,1] op_sel_hi:[1,1,0] neg_lo:[0,0,1] neg_hi:[0,0,1]
	v_pk_fma_f32 v[2:3], v[2:3], v[42:43], v[6:7] op_sel:[0,0,1] op_sel_hi:[1,0,0]
	s_delay_alu instid0(VALU_DEP_1) | instskip(SKIP_1) | instid1(VALU_DEP_1)
	v_mov_b32_e32 v47, v3
	v_pk_mul_f32 v[2:3], v[4:5], v[44:45] op_sel:[0,1]
	v_pk_fma_f32 v[6:7], v[4:5], v[42:43], v[2:3] op_sel:[0,0,1] op_sel_hi:[1,1,0] neg_lo:[0,0,1] neg_hi:[0,0,1]
	v_pk_fma_f32 v[2:3], v[4:5], v[42:43], v[2:3] op_sel:[0,0,1] op_sel_hi:[1,0,0]
	s_delay_alu instid0(VALU_DEP_1)
	v_mov_b32_e32 v7, v3
	ds_load_2addr_b64 v[2:5], v126 offset0:45 offset1:46
	v_pk_add_f32 v[216:217], v[216:217], v[46:47] neg_lo:[0,1] neg_hi:[0,1]
	v_pk_add_f32 v[218:219], v[218:219], v[6:7] neg_lo:[0,1] neg_hi:[0,1]
	s_wait_dscnt 0x0
	v_pk_mul_f32 v[6:7], v[2:3], v[44:45] op_sel:[0,1]
	s_delay_alu instid0(VALU_DEP_1) | instskip(SKIP_1) | instid1(VALU_DEP_1)
	v_pk_fma_f32 v[46:47], v[2:3], v[42:43], v[6:7] op_sel:[0,0,1] op_sel_hi:[1,1,0] neg_lo:[0,0,1] neg_hi:[0,0,1]
	v_pk_fma_f32 v[2:3], v[2:3], v[42:43], v[6:7] op_sel:[0,0,1] op_sel_hi:[1,0,0]
	v_mov_b32_e32 v47, v3
	v_pk_mul_f32 v[2:3], v[4:5], v[44:45] op_sel:[0,1]
	s_delay_alu instid0(VALU_DEP_1) | instskip(SKIP_1) | instid1(VALU_DEP_1)
	v_pk_fma_f32 v[6:7], v[4:5], v[42:43], v[2:3] op_sel:[0,0,1] op_sel_hi:[1,1,0] neg_lo:[0,0,1] neg_hi:[0,0,1]
	v_pk_fma_f32 v[2:3], v[4:5], v[42:43], v[2:3] op_sel:[0,0,1] op_sel_hi:[1,0,0]
	v_mov_b32_e32 v7, v3
	ds_load_2addr_b64 v[2:5], v126 offset0:47 offset1:48
	v_pk_add_f32 v[220:221], v[220:221], v[46:47] neg_lo:[0,1] neg_hi:[0,1]
	v_pk_add_f32 v[222:223], v[222:223], v[6:7] neg_lo:[0,1] neg_hi:[0,1]
	s_wait_dscnt 0x0
	v_dual_mul_f32 v6, v3, v45 :: v_dual_mul_f32 v46, v3, v42
	s_delay_alu instid0(VALU_DEP_1) | instskip(NEXT) | instid1(VALU_DEP_2)
	v_pk_fma_f32 v[6:7], v[2:3], v[166:167], v[6:7] op_sel_hi:[1,1,0] neg_lo:[0,0,1] neg_hi:[0,0,1]
	v_pk_fma_f32 v[2:3], v[2:3], v[166:167], v[46:47] op_sel:[1,0,0] op_sel_hi:[0,1,0]
	s_delay_alu instid0(VALU_DEP_1) | instskip(SKIP_1) | instid1(VALU_DEP_2)
	v_mov_b32_e32 v7, v3
	v_pk_mul_f32 v[2:3], v[4:5], v[44:45] op_sel:[0,1]
	v_pk_add_f32 v[224:225], v[224:225], v[6:7] neg_lo:[0,1] neg_hi:[0,1]
	s_delay_alu instid0(VALU_DEP_2) | instskip(SKIP_1) | instid1(VALU_DEP_1)
	v_pk_fma_f32 v[6:7], v[4:5], v[42:43], v[2:3] op_sel:[0,0,1] op_sel_hi:[1,1,0] neg_lo:[0,0,1] neg_hi:[0,0,1]
	v_pk_fma_f32 v[2:3], v[4:5], v[42:43], v[2:3] op_sel:[0,0,1] op_sel_hi:[1,0,0]
	v_mov_b32_e32 v7, v3
	ds_load_2addr_b64 v[2:5], v126 offset0:49 offset1:50
	v_pk_add_f32 v[226:227], v[226:227], v[6:7] neg_lo:[0,1] neg_hi:[0,1]
	s_wait_dscnt 0x0
	v_pk_mul_f32 v[6:7], v[2:3], v[44:45] op_sel:[0,1]
	s_delay_alu instid0(VALU_DEP_1) | instskip(SKIP_1) | instid1(VALU_DEP_1)
	v_pk_fma_f32 v[46:47], v[2:3], v[42:43], v[6:7] op_sel:[0,0,1] op_sel_hi:[1,1,0] neg_lo:[0,0,1] neg_hi:[0,0,1]
	v_pk_fma_f32 v[2:3], v[2:3], v[42:43], v[6:7] op_sel:[0,0,1] op_sel_hi:[1,0,0]
	v_mov_b32_e32 v47, v3
	v_pk_mul_f32 v[2:3], v[4:5], v[44:45] op_sel:[0,1]
	s_delay_alu instid0(VALU_DEP_2) | instskip(NEXT) | instid1(VALU_DEP_2)
	v_pk_add_f32 v[228:229], v[228:229], v[46:47] neg_lo:[0,1] neg_hi:[0,1]
	v_pk_fma_f32 v[6:7], v[4:5], v[42:43], v[2:3] op_sel:[0,0,1] op_sel_hi:[1,1,0] neg_lo:[0,0,1] neg_hi:[0,0,1]
	v_pk_fma_f32 v[2:3], v[4:5], v[42:43], v[2:3] op_sel:[0,0,1] op_sel_hi:[1,0,0]
	s_delay_alu instid0(VALU_DEP_1) | instskip(SKIP_4) | instid1(VALU_DEP_1)
	v_mov_b32_e32 v7, v3
	ds_load_2addr_b64 v[2:5], v126 offset0:51 offset1:52
	v_pk_add_f32 v[230:231], v[230:231], v[6:7] neg_lo:[0,1] neg_hi:[0,1]
	s_wait_dscnt 0x0
	v_pk_mul_f32 v[6:7], v[2:3], v[44:45] op_sel:[0,1]
	v_pk_fma_f32 v[46:47], v[2:3], v[42:43], v[6:7] op_sel:[0,0,1] op_sel_hi:[1,1,0] neg_lo:[0,0,1] neg_hi:[0,0,1]
	v_pk_fma_f32 v[2:3], v[2:3], v[42:43], v[6:7] op_sel:[0,0,1] op_sel_hi:[1,0,0]
	v_dual_mul_f32 v6, v5, v45 :: v_dual_mov_b32 v2, v5
	s_delay_alu instid0(VALU_DEP_2) | instskip(NEXT) | instid1(VALU_DEP_2)
	v_dual_mov_b32 v47, v3 :: v_dual_mov_b32 v3, v4
	v_pk_fma_f32 v[6:7], v[4:5], v[166:167], v[6:7] op_sel_hi:[1,1,0] neg_lo:[0,0,1] neg_hi:[0,0,1]
	v_mul_f32_e32 v4, v5, v42
	s_delay_alu instid0(VALU_DEP_3) | instskip(NEXT) | instid1(VALU_DEP_2)
	v_pk_add_f32 v[232:233], v[232:233], v[46:47] neg_lo:[0,1] neg_hi:[0,1]
	v_pk_fma_f32 v[2:3], v[2:3], v[166:167], v[4:5] op_sel_hi:[1,1,0]
	s_delay_alu instid0(VALU_DEP_1) | instskip(SKIP_4) | instid1(VALU_DEP_1)
	v_mov_b32_e32 v7, v3
	ds_load_2addr_b64 v[2:5], v126 offset0:53 offset1:54
	v_pk_add_f32 v[234:235], v[234:235], v[6:7] neg_lo:[0,1] neg_hi:[0,1]
	s_wait_dscnt 0x0
	v_pk_mul_f32 v[6:7], v[2:3], v[44:45] op_sel:[0,1]
	v_pk_fma_f32 v[46:47], v[2:3], v[42:43], v[6:7] op_sel:[0,0,1] op_sel_hi:[1,1,0] neg_lo:[0,0,1] neg_hi:[0,0,1]
	v_pk_fma_f32 v[2:3], v[2:3], v[42:43], v[6:7] op_sel:[0,0,1] op_sel_hi:[1,0,0]
	s_delay_alu instid0(VALU_DEP_1) | instskip(SKIP_1) | instid1(VALU_DEP_1)
	v_mov_b32_e32 v47, v3
	v_pk_mul_f32 v[2:3], v[4:5], v[44:45] op_sel:[0,1]
	v_pk_fma_f32 v[6:7], v[4:5], v[42:43], v[2:3] op_sel:[0,0,1] op_sel_hi:[1,1,0] neg_lo:[0,0,1] neg_hi:[0,0,1]
	v_pk_fma_f32 v[2:3], v[4:5], v[42:43], v[2:3] op_sel:[0,0,1] op_sel_hi:[1,0,0]
	s_delay_alu instid0(VALU_DEP_1)
	v_mov_b32_e32 v7, v3
	ds_load_2addr_b64 v[2:5], v126 offset0:55 offset1:56
	v_pk_add_f32 v[236:237], v[236:237], v[46:47] neg_lo:[0,1] neg_hi:[0,1]
	v_pk_add_f32 v[238:239], v[238:239], v[6:7] neg_lo:[0,1] neg_hi:[0,1]
	s_wait_dscnt 0x0
	v_pk_mul_f32 v[6:7], v[2:3], v[44:45] op_sel:[0,1]
	s_delay_alu instid0(VALU_DEP_1) | instskip(SKIP_1) | instid1(VALU_DEP_1)
	v_pk_fma_f32 v[46:47], v[2:3], v[42:43], v[6:7] op_sel:[0,0,1] op_sel_hi:[1,1,0] neg_lo:[0,0,1] neg_hi:[0,0,1]
	v_pk_fma_f32 v[2:3], v[2:3], v[42:43], v[6:7] op_sel:[0,0,1] op_sel_hi:[1,0,0]
	v_mov_b32_e32 v47, v3
	v_pk_mul_f32 v[2:3], v[4:5], v[44:45] op_sel:[0,1]
	s_delay_alu instid0(VALU_DEP_1) | instskip(SKIP_1) | instid1(VALU_DEP_1)
	v_pk_fma_f32 v[6:7], v[4:5], v[42:43], v[2:3] op_sel:[0,0,1] op_sel_hi:[1,1,0] neg_lo:[0,0,1] neg_hi:[0,0,1]
	v_pk_fma_f32 v[2:3], v[4:5], v[42:43], v[2:3] op_sel:[0,0,1] op_sel_hi:[1,0,0]
	v_mov_b32_e32 v7, v3
	ds_load_2addr_b64 v[2:5], v126 offset0:57 offset1:58
	v_pk_add_f32 v[240:241], v[240:241], v[46:47] neg_lo:[0,1] neg_hi:[0,1]
	v_pk_add_f32 v[252:253], v[252:253], v[6:7] neg_lo:[0,1] neg_hi:[0,1]
	s_wait_dscnt 0x0
	v_dual_mul_f32 v6, v3, v45 :: v_dual_mul_f32 v46, v3, v42
	s_delay_alu instid0(VALU_DEP_1) | instskip(NEXT) | instid1(VALU_DEP_2)
	v_pk_fma_f32 v[6:7], v[2:3], v[166:167], v[6:7] op_sel_hi:[1,1,0] neg_lo:[0,0,1] neg_hi:[0,0,1]
	v_pk_fma_f32 v[2:3], v[2:3], v[166:167], v[46:47] op_sel:[1,0,0] op_sel_hi:[0,1,0]
	s_delay_alu instid0(VALU_DEP_1) | instskip(SKIP_1) | instid1(VALU_DEP_2)
	v_mov_b32_e32 v7, v3
	v_pk_mul_f32 v[2:3], v[4:5], v[44:45] op_sel:[0,1]
	v_pk_add_f32 v[246:247], v[246:247], v[6:7] neg_lo:[0,1] neg_hi:[0,1]
	s_delay_alu instid0(VALU_DEP_2) | instskip(SKIP_1) | instid1(VALU_DEP_1)
	v_pk_fma_f32 v[6:7], v[4:5], v[42:43], v[2:3] op_sel:[0,0,1] op_sel_hi:[1,1,0] neg_lo:[0,0,1] neg_hi:[0,0,1]
	v_pk_fma_f32 v[2:3], v[4:5], v[42:43], v[2:3] op_sel:[0,0,1] op_sel_hi:[1,0,0]
	v_mov_b32_e32 v7, v3
	ds_load_2addr_b64 v[2:5], v126 offset0:59 offset1:60
	v_pk_add_f32 v[250:251], v[250:251], v[6:7] neg_lo:[0,1] neg_hi:[0,1]
	s_wait_dscnt 0x0
	v_pk_mul_f32 v[6:7], v[2:3], v[44:45] op_sel:[0,1]
	s_delay_alu instid0(VALU_DEP_1) | instskip(SKIP_1) | instid1(VALU_DEP_1)
	v_pk_fma_f32 v[46:47], v[2:3], v[42:43], v[6:7] op_sel:[0,0,1] op_sel_hi:[1,1,0] neg_lo:[0,0,1] neg_hi:[0,0,1]
	v_pk_fma_f32 v[2:3], v[2:3], v[42:43], v[6:7] op_sel:[0,0,1] op_sel_hi:[1,0,0]
	v_mov_b32_e32 v47, v3
	v_pk_mul_f32 v[2:3], v[4:5], v[44:45] op_sel:[0,1]
	s_delay_alu instid0(VALU_DEP_2) | instskip(NEXT) | instid1(VALU_DEP_2)
	v_pk_add_f32 v[244:245], v[244:245], v[46:47] neg_lo:[0,1] neg_hi:[0,1]
	v_pk_fma_f32 v[6:7], v[4:5], v[42:43], v[2:3] op_sel:[0,0,1] op_sel_hi:[1,1,0] neg_lo:[0,0,1] neg_hi:[0,0,1]
	v_pk_fma_f32 v[2:3], v[4:5], v[42:43], v[2:3] op_sel:[0,0,1] op_sel_hi:[1,0,0]
	s_delay_alu instid0(VALU_DEP_1) | instskip(SKIP_4) | instid1(VALU_DEP_1)
	v_mov_b32_e32 v7, v3
	ds_load_2addr_b64 v[2:5], v126 offset0:61 offset1:62
	v_pk_add_f32 v[248:249], v[248:249], v[6:7] neg_lo:[0,1] neg_hi:[0,1]
	s_wait_dscnt 0x0
	v_pk_mul_f32 v[6:7], v[2:3], v[44:45] op_sel:[0,1]
	v_pk_fma_f32 v[46:47], v[2:3], v[42:43], v[6:7] op_sel:[0,0,1] op_sel_hi:[1,1,0] neg_lo:[0,0,1] neg_hi:[0,0,1]
	v_pk_fma_f32 v[2:3], v[2:3], v[42:43], v[6:7] op_sel:[0,0,1] op_sel_hi:[1,0,0]
	v_dual_mul_f32 v6, v5, v45 :: v_dual_mov_b32 v2, v5
	s_delay_alu instid0(VALU_DEP_2) | instskip(NEXT) | instid1(VALU_DEP_2)
	v_dual_mov_b32 v47, v3 :: v_dual_mov_b32 v3, v4
	v_pk_fma_f32 v[6:7], v[4:5], v[166:167], v[6:7] op_sel_hi:[1,1,0] neg_lo:[0,0,1] neg_hi:[0,0,1]
	v_mul_f32_e32 v4, v5, v42
	s_delay_alu instid0(VALU_DEP_3) | instskip(NEXT) | instid1(VALU_DEP_2)
	v_pk_add_f32 v[242:243], v[242:243], v[46:47] neg_lo:[0,1] neg_hi:[0,1]
	v_pk_fma_f32 v[2:3], v[2:3], v[166:167], v[4:5] op_sel_hi:[1,1,0]
	s_delay_alu instid0(VALU_DEP_1) | instskip(SKIP_4) | instid1(VALU_DEP_1)
	v_mov_b32_e32 v7, v3
	ds_load_b64 v[2:3], v126 offset:504
	v_pk_add_f32 v[254:255], v[254:255], v[6:7] neg_lo:[0,1] neg_hi:[0,1]
	s_wait_dscnt 0x0
	v_pk_mul_f32 v[4:5], v[2:3], v[44:45] op_sel:[0,1]
	v_pk_fma_f32 v[6:7], v[2:3], v[42:43], v[4:5] op_sel:[0,0,1] op_sel_hi:[1,1,0] neg_lo:[0,0,1] neg_hi:[0,0,1]
	v_pk_fma_f32 v[2:3], v[2:3], v[42:43], v[4:5] op_sel:[0,0,1] op_sel_hi:[1,0,0]
	s_delay_alu instid0(VALU_DEP_1) | instskip(NEXT) | instid1(VALU_DEP_1)
	v_mov_b32_e32 v7, v3
	v_pk_add_f32 v[0:1], v[0:1], v[6:7] neg_lo:[0,1] neg_hi:[0,1]
.LBB127_172:
	s_or_b32 exec_lo, exec_lo, s1
	s_delay_alu instid0(SALU_CYCLE_1)
	s_mov_b32 s2, exec_lo
	s_wait_dscnt 0x0
	s_barrier_signal -1
	s_barrier_wait -1
	v_cmpx_eq_u32_e32 19, v18
	s_cbranch_execz .LBB127_179
; %bb.173:
	v_dual_mov_b32 v2, v170 :: v_dual_mov_b32 v3, v171
	v_dual_mov_b32 v4, v172 :: v_dual_mov_b32 v5, v173
	ds_store_b64 v19, v[168:169]
	ds_store_2addr_b64 v126, v[2:3], v[4:5] offset0:20 offset1:21
	v_dual_mov_b32 v2, v174 :: v_dual_mov_b32 v3, v175
	v_dual_mov_b32 v4, v176 :: v_dual_mov_b32 v5, v177
	ds_store_2addr_b64 v126, v[2:3], v[4:5] offset0:22 offset1:23
	v_dual_mov_b32 v2, v178 :: v_dual_mov_b32 v3, v179
	v_dual_mov_b32 v4, v180 :: v_dual_mov_b32 v5, v181
	;; [unrolled: 3-line block ×20, first 2 shown]
	ds_store_2addr_b64 v126, v[2:3], v[4:5] offset0:60 offset1:61
	v_dual_mov_b32 v2, v254 :: v_dual_mov_b32 v3, v255
	ds_store_2addr_b64 v126, v[2:3], v[0:1] offset0:62 offset1:63
	ds_load_b64 v[2:3], v19
	s_wait_dscnt 0x0
	v_cmp_neq_f32_e32 vcc_lo, 0, v2
	v_cmp_neq_f32_e64 s1, 0, v3
	s_or_b32 s1, vcc_lo, s1
	s_delay_alu instid0(SALU_CYCLE_1)
	s_and_b32 exec_lo, exec_lo, s1
	s_cbranch_execz .LBB127_179
; %bb.174:
	v_cmp_ngt_f32_e64 s1, |v2|, |v3|
                                        ; implicit-def: $vgpr4_vgpr5
	s_and_saveexec_b32 s4, s1
	s_delay_alu instid0(SALU_CYCLE_1)
	s_xor_b32 s1, exec_lo, s4
	s_cbranch_execz .LBB127_176
; %bb.175:
	v_div_scale_f32 v4, null, v3, v3, v2
	v_div_scale_f32 v7, vcc_lo, v2, v3, v2
	s_delay_alu instid0(VALU_DEP_2) | instskip(SKIP_1) | instid1(TRANS32_DEP_1)
	v_rcp_f32_e32 v5, v4
	v_nop
	v_fma_f32 v6, -v4, v5, 1.0
	s_delay_alu instid0(VALU_DEP_1) | instskip(NEXT) | instid1(VALU_DEP_1)
	v_fmac_f32_e32 v5, v6, v5
	v_mul_f32_e32 v6, v7, v5
	s_delay_alu instid0(VALU_DEP_1) | instskip(NEXT) | instid1(VALU_DEP_1)
	v_fma_f32 v8, -v4, v6, v7
	v_fmac_f32_e32 v6, v8, v5
	s_delay_alu instid0(VALU_DEP_1) | instskip(NEXT) | instid1(VALU_DEP_1)
	v_fma_f32 v4, -v4, v6, v7
	v_div_fmas_f32 v4, v4, v5, v6
	s_delay_alu instid0(VALU_DEP_1) | instskip(NEXT) | instid1(VALU_DEP_1)
	v_div_fixup_f32 v4, v4, v3, v2
	v_fmac_f32_e32 v3, v2, v4
	s_delay_alu instid0(VALU_DEP_1) | instskip(SKIP_1) | instid1(VALU_DEP_2)
	v_div_scale_f32 v2, null, v3, v3, 1.0
	v_div_scale_f32 v7, vcc_lo, 1.0, v3, 1.0
	v_rcp_f32_e32 v5, v2
	v_nop
	s_delay_alu instid0(TRANS32_DEP_1) | instskip(NEXT) | instid1(VALU_DEP_1)
	v_fma_f32 v6, -v2, v5, 1.0
	v_fmac_f32_e32 v5, v6, v5
	s_delay_alu instid0(VALU_DEP_1) | instskip(NEXT) | instid1(VALU_DEP_1)
	v_mul_f32_e32 v6, v7, v5
	v_fma_f32 v8, -v2, v6, v7
	s_delay_alu instid0(VALU_DEP_1) | instskip(NEXT) | instid1(VALU_DEP_1)
	v_fmac_f32_e32 v6, v8, v5
	v_fma_f32 v2, -v2, v6, v7
	s_delay_alu instid0(VALU_DEP_1) | instskip(NEXT) | instid1(VALU_DEP_1)
	v_div_fmas_f32 v2, v2, v5, v6
	v_div_fixup_f32 v2, v2, v3, 1.0
	s_delay_alu instid0(VALU_DEP_1)
	v_mul_f32_e32 v4, v4, v2
	v_xor_b32_e32 v5, 0x80000000, v2
                                        ; implicit-def: $vgpr2_vgpr3
.LBB127_176:
	s_and_not1_saveexec_b32 s1, s1
	s_cbranch_execz .LBB127_178
; %bb.177:
	v_div_scale_f32 v4, null, v2, v2, v3
	v_div_scale_f32 v7, vcc_lo, v3, v2, v3
	s_delay_alu instid0(VALU_DEP_2) | instskip(SKIP_1) | instid1(TRANS32_DEP_1)
	v_rcp_f32_e32 v5, v4
	v_nop
	v_fma_f32 v6, -v4, v5, 1.0
	s_delay_alu instid0(VALU_DEP_1) | instskip(NEXT) | instid1(VALU_DEP_1)
	v_fmac_f32_e32 v5, v6, v5
	v_mul_f32_e32 v6, v7, v5
	s_delay_alu instid0(VALU_DEP_1) | instskip(NEXT) | instid1(VALU_DEP_1)
	v_fma_f32 v8, -v4, v6, v7
	v_fmac_f32_e32 v6, v8, v5
	s_delay_alu instid0(VALU_DEP_1) | instskip(NEXT) | instid1(VALU_DEP_1)
	v_fma_f32 v4, -v4, v6, v7
	v_div_fmas_f32 v4, v4, v5, v6
	s_delay_alu instid0(VALU_DEP_1) | instskip(NEXT) | instid1(VALU_DEP_1)
	v_div_fixup_f32 v5, v4, v2, v3
	v_fmac_f32_e32 v2, v3, v5
	s_delay_alu instid0(VALU_DEP_1) | instskip(NEXT) | instid1(VALU_DEP_1)
	v_div_scale_f32 v3, null, v2, v2, 1.0
	v_rcp_f32_e32 v4, v3
	v_nop
	s_delay_alu instid0(TRANS32_DEP_1) | instskip(NEXT) | instid1(VALU_DEP_1)
	v_fma_f32 v6, -v3, v4, 1.0
	v_fmac_f32_e32 v4, v6, v4
	v_div_scale_f32 v6, vcc_lo, 1.0, v2, 1.0
	s_delay_alu instid0(VALU_DEP_1) | instskip(NEXT) | instid1(VALU_DEP_1)
	v_mul_f32_e32 v7, v6, v4
	v_fma_f32 v8, -v3, v7, v6
	s_delay_alu instid0(VALU_DEP_1) | instskip(NEXT) | instid1(VALU_DEP_1)
	v_fmac_f32_e32 v7, v8, v4
	v_fma_f32 v3, -v3, v7, v6
	s_delay_alu instid0(VALU_DEP_1) | instskip(NEXT) | instid1(VALU_DEP_1)
	v_div_fmas_f32 v3, v3, v4, v7
	v_div_fixup_f32 v4, v3, v2, 1.0
	s_delay_alu instid0(VALU_DEP_1)
	v_mul_f32_e64 v5, v5, -v4
.LBB127_178:
	s_or_b32 exec_lo, exec_lo, s1
	ds_store_b64 v19, v[4:5]
.LBB127_179:
	s_or_b32 exec_lo, exec_lo, s2
	s_wait_dscnt 0x0
	s_barrier_signal -1
	s_barrier_wait -1
	ds_load_b64 v[42:43], v19
	s_mov_b32 s1, exec_lo
	v_cmpx_lt_u32_e32 19, v18
	s_cbranch_execz .LBB127_181
; %bb.180:
	s_wait_dscnt 0x0
	v_pk_mul_f32 v[2:3], v[42:43], v[168:169] op_sel:[1,1] op_sel_hi:[0,1]
	s_delay_alu instid0(VALU_DEP_1)
	v_pk_fma_f32 v[44:45], v[42:43], v[168:169], v[2:3] op_sel_hi:[1,0,1] neg_lo:[0,0,1] neg_hi:[0,0,1]
	v_pk_fma_f32 v[46:47], v[42:43], v[168:169], v[2:3] op_sel_hi:[1,0,1]
	ds_load_2addr_b64 v[2:5], v126 offset0:20 offset1:21
	v_dual_mov_b32 v168, v44 :: v_dual_mov_b32 v169, v47
	s_wait_dscnt 0x0
	v_pk_mul_f32 v[6:7], v[2:3], v[46:47] op_sel:[0,1]
	s_delay_alu instid0(VALU_DEP_1) | instskip(SKIP_1) | instid1(VALU_DEP_1)
	v_pk_fma_f32 v[48:49], v[2:3], v[44:45], v[6:7] op_sel:[0,0,1] op_sel_hi:[1,1,0] neg_lo:[0,0,1] neg_hi:[0,0,1]
	v_pk_fma_f32 v[2:3], v[2:3], v[44:45], v[6:7] op_sel:[0,0,1] op_sel_hi:[1,0,0]
	v_mov_b32_e32 v49, v3
	v_pk_mul_f32 v[2:3], v[4:5], v[46:47] op_sel:[0,1]
	s_delay_alu instid0(VALU_DEP_1) | instskip(SKIP_1) | instid1(VALU_DEP_1)
	v_pk_fma_f32 v[6:7], v[4:5], v[44:45], v[2:3] op_sel:[0,0,1] op_sel_hi:[1,1,0] neg_lo:[0,0,1] neg_hi:[0,0,1]
	v_pk_fma_f32 v[2:3], v[4:5], v[44:45], v[2:3] op_sel:[0,0,1] op_sel_hi:[1,0,0]
	v_mov_b32_e32 v7, v3
	ds_load_2addr_b64 v[2:5], v126 offset0:22 offset1:23
	v_pk_add_f32 v[170:171], v[170:171], v[48:49] neg_lo:[0,1] neg_hi:[0,1]
	v_pk_add_f32 v[172:173], v[172:173], v[6:7] neg_lo:[0,1] neg_hi:[0,1]
	s_wait_dscnt 0x0
	v_pk_mul_f32 v[6:7], v[2:3], v[46:47] op_sel:[0,1]
	s_delay_alu instid0(VALU_DEP_1) | instskip(SKIP_2) | instid1(VALU_DEP_2)
	v_pk_fma_f32 v[48:49], v[2:3], v[44:45], v[6:7] op_sel:[0,0,1] op_sel_hi:[1,1,0] neg_lo:[0,0,1] neg_hi:[0,0,1]
	v_pk_fma_f32 v[2:3], v[2:3], v[44:45], v[6:7] op_sel:[0,0,1] op_sel_hi:[1,0,0]
	v_dual_mul_f32 v6, v5, v47 :: v_dual_mov_b32 v2, v5
	v_dual_mov_b32 v49, v3 :: v_dual_mov_b32 v3, v4
	s_delay_alu instid0(VALU_DEP_2) | instskip(SKIP_1) | instid1(VALU_DEP_3)
	v_pk_fma_f32 v[6:7], v[4:5], v[168:169], v[6:7] op_sel_hi:[1,1,0] neg_lo:[0,0,1] neg_hi:[0,0,1]
	v_mul_f32_e32 v4, v5, v44
	v_pk_add_f32 v[174:175], v[174:175], v[48:49] neg_lo:[0,1] neg_hi:[0,1]
	s_delay_alu instid0(VALU_DEP_2) | instskip(NEXT) | instid1(VALU_DEP_1)
	v_pk_fma_f32 v[2:3], v[2:3], v[168:169], v[4:5] op_sel_hi:[1,1,0]
	v_mov_b32_e32 v7, v3
	ds_load_2addr_b64 v[2:5], v126 offset0:24 offset1:25
	v_pk_add_f32 v[176:177], v[176:177], v[6:7] neg_lo:[0,1] neg_hi:[0,1]
	s_wait_dscnt 0x0
	v_pk_mul_f32 v[6:7], v[2:3], v[46:47] op_sel:[0,1]
	s_delay_alu instid0(VALU_DEP_1) | instskip(SKIP_1) | instid1(VALU_DEP_1)
	v_pk_fma_f32 v[48:49], v[2:3], v[44:45], v[6:7] op_sel:[0,0,1] op_sel_hi:[1,1,0] neg_lo:[0,0,1] neg_hi:[0,0,1]
	v_pk_fma_f32 v[2:3], v[2:3], v[44:45], v[6:7] op_sel:[0,0,1] op_sel_hi:[1,0,0]
	v_mov_b32_e32 v49, v3
	v_pk_mul_f32 v[2:3], v[4:5], v[46:47] op_sel:[0,1]
	s_delay_alu instid0(VALU_DEP_1) | instskip(SKIP_1) | instid1(VALU_DEP_1)
	v_pk_fma_f32 v[6:7], v[4:5], v[44:45], v[2:3] op_sel:[0,0,1] op_sel_hi:[1,1,0] neg_lo:[0,0,1] neg_hi:[0,0,1]
	v_pk_fma_f32 v[2:3], v[4:5], v[44:45], v[2:3] op_sel:[0,0,1] op_sel_hi:[1,0,0]
	v_mov_b32_e32 v7, v3
	ds_load_2addr_b64 v[2:5], v126 offset0:26 offset1:27
	v_pk_add_f32 v[178:179], v[178:179], v[48:49] neg_lo:[0,1] neg_hi:[0,1]
	v_pk_add_f32 v[180:181], v[180:181], v[6:7] neg_lo:[0,1] neg_hi:[0,1]
	s_wait_dscnt 0x0
	v_pk_mul_f32 v[6:7], v[2:3], v[46:47] op_sel:[0,1]
	s_delay_alu instid0(VALU_DEP_1) | instskip(SKIP_1) | instid1(VALU_DEP_1)
	v_pk_fma_f32 v[48:49], v[2:3], v[44:45], v[6:7] op_sel:[0,0,1] op_sel_hi:[1,1,0] neg_lo:[0,0,1] neg_hi:[0,0,1]
	v_pk_fma_f32 v[2:3], v[2:3], v[44:45], v[6:7] op_sel:[0,0,1] op_sel_hi:[1,0,0]
	v_mov_b32_e32 v49, v3
	v_pk_mul_f32 v[2:3], v[4:5], v[46:47] op_sel:[0,1]
	s_delay_alu instid0(VALU_DEP_1) | instskip(SKIP_1) | instid1(VALU_DEP_1)
	v_pk_fma_f32 v[6:7], v[4:5], v[44:45], v[2:3] op_sel:[0,0,1] op_sel_hi:[1,1,0] neg_lo:[0,0,1] neg_hi:[0,0,1]
	v_pk_fma_f32 v[2:3], v[4:5], v[44:45], v[2:3] op_sel:[0,0,1] op_sel_hi:[1,0,0]
	v_mov_b32_e32 v7, v3
	ds_load_2addr_b64 v[2:5], v126 offset0:28 offset1:29
	v_pk_add_f32 v[182:183], v[182:183], v[48:49] neg_lo:[0,1] neg_hi:[0,1]
	v_pk_add_f32 v[184:185], v[184:185], v[6:7] neg_lo:[0,1] neg_hi:[0,1]
	s_wait_dscnt 0x0
	v_dual_mul_f32 v6, v3, v47 :: v_dual_mul_f32 v48, v3, v44
	s_delay_alu instid0(VALU_DEP_1) | instskip(NEXT) | instid1(VALU_DEP_2)
	v_pk_fma_f32 v[6:7], v[2:3], v[168:169], v[6:7] op_sel_hi:[1,1,0] neg_lo:[0,0,1] neg_hi:[0,0,1]
	v_pk_fma_f32 v[2:3], v[2:3], v[168:169], v[48:49] op_sel:[1,0,0] op_sel_hi:[0,1,0]
	s_delay_alu instid0(VALU_DEP_1) | instskip(SKIP_1) | instid1(VALU_DEP_2)
	v_mov_b32_e32 v7, v3
	v_pk_mul_f32 v[2:3], v[4:5], v[46:47] op_sel:[0,1]
	v_pk_add_f32 v[186:187], v[186:187], v[6:7] neg_lo:[0,1] neg_hi:[0,1]
	s_delay_alu instid0(VALU_DEP_2) | instskip(SKIP_1) | instid1(VALU_DEP_1)
	v_pk_fma_f32 v[6:7], v[4:5], v[44:45], v[2:3] op_sel:[0,0,1] op_sel_hi:[1,1,0] neg_lo:[0,0,1] neg_hi:[0,0,1]
	v_pk_fma_f32 v[2:3], v[4:5], v[44:45], v[2:3] op_sel:[0,0,1] op_sel_hi:[1,0,0]
	v_mov_b32_e32 v7, v3
	ds_load_2addr_b64 v[2:5], v126 offset0:30 offset1:31
	v_pk_add_f32 v[188:189], v[188:189], v[6:7] neg_lo:[0,1] neg_hi:[0,1]
	s_wait_dscnt 0x0
	v_pk_mul_f32 v[6:7], v[2:3], v[46:47] op_sel:[0,1]
	s_delay_alu instid0(VALU_DEP_1) | instskip(SKIP_1) | instid1(VALU_DEP_1)
	v_pk_fma_f32 v[48:49], v[2:3], v[44:45], v[6:7] op_sel:[0,0,1] op_sel_hi:[1,1,0] neg_lo:[0,0,1] neg_hi:[0,0,1]
	v_pk_fma_f32 v[2:3], v[2:3], v[44:45], v[6:7] op_sel:[0,0,1] op_sel_hi:[1,0,0]
	v_mov_b32_e32 v49, v3
	v_pk_mul_f32 v[2:3], v[4:5], v[46:47] op_sel:[0,1]
	s_delay_alu instid0(VALU_DEP_2) | instskip(NEXT) | instid1(VALU_DEP_2)
	v_pk_add_f32 v[190:191], v[190:191], v[48:49] neg_lo:[0,1] neg_hi:[0,1]
	v_pk_fma_f32 v[6:7], v[4:5], v[44:45], v[2:3] op_sel:[0,0,1] op_sel_hi:[1,1,0] neg_lo:[0,0,1] neg_hi:[0,0,1]
	v_pk_fma_f32 v[2:3], v[4:5], v[44:45], v[2:3] op_sel:[0,0,1] op_sel_hi:[1,0,0]
	s_delay_alu instid0(VALU_DEP_1) | instskip(SKIP_4) | instid1(VALU_DEP_1)
	v_mov_b32_e32 v7, v3
	ds_load_2addr_b64 v[2:5], v126 offset0:32 offset1:33
	v_pk_add_f32 v[192:193], v[192:193], v[6:7] neg_lo:[0,1] neg_hi:[0,1]
	s_wait_dscnt 0x0
	v_pk_mul_f32 v[6:7], v[2:3], v[46:47] op_sel:[0,1]
	v_pk_fma_f32 v[48:49], v[2:3], v[44:45], v[6:7] op_sel:[0,0,1] op_sel_hi:[1,1,0] neg_lo:[0,0,1] neg_hi:[0,0,1]
	v_pk_fma_f32 v[2:3], v[2:3], v[44:45], v[6:7] op_sel:[0,0,1] op_sel_hi:[1,0,0]
	v_dual_mul_f32 v6, v5, v47 :: v_dual_mov_b32 v2, v5
	s_delay_alu instid0(VALU_DEP_2) | instskip(NEXT) | instid1(VALU_DEP_2)
	v_dual_mov_b32 v49, v3 :: v_dual_mov_b32 v3, v4
	v_pk_fma_f32 v[6:7], v[4:5], v[168:169], v[6:7] op_sel_hi:[1,1,0] neg_lo:[0,0,1] neg_hi:[0,0,1]
	v_mul_f32_e32 v4, v5, v44
	s_delay_alu instid0(VALU_DEP_3) | instskip(NEXT) | instid1(VALU_DEP_2)
	v_pk_add_f32 v[194:195], v[194:195], v[48:49] neg_lo:[0,1] neg_hi:[0,1]
	v_pk_fma_f32 v[2:3], v[2:3], v[168:169], v[4:5] op_sel_hi:[1,1,0]
	s_delay_alu instid0(VALU_DEP_1) | instskip(SKIP_4) | instid1(VALU_DEP_1)
	v_mov_b32_e32 v7, v3
	ds_load_2addr_b64 v[2:5], v126 offset0:34 offset1:35
	v_pk_add_f32 v[196:197], v[196:197], v[6:7] neg_lo:[0,1] neg_hi:[0,1]
	s_wait_dscnt 0x0
	v_pk_mul_f32 v[6:7], v[2:3], v[46:47] op_sel:[0,1]
	v_pk_fma_f32 v[48:49], v[2:3], v[44:45], v[6:7] op_sel:[0,0,1] op_sel_hi:[1,1,0] neg_lo:[0,0,1] neg_hi:[0,0,1]
	v_pk_fma_f32 v[2:3], v[2:3], v[44:45], v[6:7] op_sel:[0,0,1] op_sel_hi:[1,0,0]
	s_delay_alu instid0(VALU_DEP_1) | instskip(SKIP_1) | instid1(VALU_DEP_1)
	v_mov_b32_e32 v49, v3
	v_pk_mul_f32 v[2:3], v[4:5], v[46:47] op_sel:[0,1]
	v_pk_fma_f32 v[6:7], v[4:5], v[44:45], v[2:3] op_sel:[0,0,1] op_sel_hi:[1,1,0] neg_lo:[0,0,1] neg_hi:[0,0,1]
	v_pk_fma_f32 v[2:3], v[4:5], v[44:45], v[2:3] op_sel:[0,0,1] op_sel_hi:[1,0,0]
	s_delay_alu instid0(VALU_DEP_1)
	v_mov_b32_e32 v7, v3
	ds_load_2addr_b64 v[2:5], v126 offset0:36 offset1:37
	v_pk_add_f32 v[198:199], v[198:199], v[48:49] neg_lo:[0,1] neg_hi:[0,1]
	v_pk_add_f32 v[200:201], v[200:201], v[6:7] neg_lo:[0,1] neg_hi:[0,1]
	s_wait_dscnt 0x0
	v_pk_mul_f32 v[6:7], v[2:3], v[46:47] op_sel:[0,1]
	s_delay_alu instid0(VALU_DEP_1) | instskip(SKIP_1) | instid1(VALU_DEP_1)
	v_pk_fma_f32 v[48:49], v[2:3], v[44:45], v[6:7] op_sel:[0,0,1] op_sel_hi:[1,1,0] neg_lo:[0,0,1] neg_hi:[0,0,1]
	v_pk_fma_f32 v[2:3], v[2:3], v[44:45], v[6:7] op_sel:[0,0,1] op_sel_hi:[1,0,0]
	v_mov_b32_e32 v49, v3
	v_pk_mul_f32 v[2:3], v[4:5], v[46:47] op_sel:[0,1]
	s_delay_alu instid0(VALU_DEP_1) | instskip(SKIP_1) | instid1(VALU_DEP_1)
	v_pk_fma_f32 v[6:7], v[4:5], v[44:45], v[2:3] op_sel:[0,0,1] op_sel_hi:[1,1,0] neg_lo:[0,0,1] neg_hi:[0,0,1]
	v_pk_fma_f32 v[2:3], v[4:5], v[44:45], v[2:3] op_sel:[0,0,1] op_sel_hi:[1,0,0]
	v_mov_b32_e32 v7, v3
	ds_load_2addr_b64 v[2:5], v126 offset0:38 offset1:39
	v_pk_add_f32 v[202:203], v[202:203], v[48:49] neg_lo:[0,1] neg_hi:[0,1]
	v_pk_add_f32 v[204:205], v[204:205], v[6:7] neg_lo:[0,1] neg_hi:[0,1]
	s_wait_dscnt 0x0
	v_dual_mul_f32 v6, v3, v47 :: v_dual_mul_f32 v48, v3, v44
	s_delay_alu instid0(VALU_DEP_1) | instskip(NEXT) | instid1(VALU_DEP_2)
	v_pk_fma_f32 v[6:7], v[2:3], v[168:169], v[6:7] op_sel_hi:[1,1,0] neg_lo:[0,0,1] neg_hi:[0,0,1]
	v_pk_fma_f32 v[2:3], v[2:3], v[168:169], v[48:49] op_sel:[1,0,0] op_sel_hi:[0,1,0]
	s_delay_alu instid0(VALU_DEP_1) | instskip(SKIP_1) | instid1(VALU_DEP_2)
	v_mov_b32_e32 v7, v3
	v_pk_mul_f32 v[2:3], v[4:5], v[46:47] op_sel:[0,1]
	v_pk_add_f32 v[206:207], v[206:207], v[6:7] neg_lo:[0,1] neg_hi:[0,1]
	s_delay_alu instid0(VALU_DEP_2) | instskip(SKIP_1) | instid1(VALU_DEP_1)
	v_pk_fma_f32 v[6:7], v[4:5], v[44:45], v[2:3] op_sel:[0,0,1] op_sel_hi:[1,1,0] neg_lo:[0,0,1] neg_hi:[0,0,1]
	v_pk_fma_f32 v[2:3], v[4:5], v[44:45], v[2:3] op_sel:[0,0,1] op_sel_hi:[1,0,0]
	v_mov_b32_e32 v7, v3
	ds_load_2addr_b64 v[2:5], v126 offset0:40 offset1:41
	v_pk_add_f32 v[208:209], v[208:209], v[6:7] neg_lo:[0,1] neg_hi:[0,1]
	s_wait_dscnt 0x0
	v_pk_mul_f32 v[6:7], v[2:3], v[46:47] op_sel:[0,1]
	s_delay_alu instid0(VALU_DEP_1) | instskip(SKIP_1) | instid1(VALU_DEP_1)
	v_pk_fma_f32 v[48:49], v[2:3], v[44:45], v[6:7] op_sel:[0,0,1] op_sel_hi:[1,1,0] neg_lo:[0,0,1] neg_hi:[0,0,1]
	v_pk_fma_f32 v[2:3], v[2:3], v[44:45], v[6:7] op_sel:[0,0,1] op_sel_hi:[1,0,0]
	v_mov_b32_e32 v49, v3
	v_pk_mul_f32 v[2:3], v[4:5], v[46:47] op_sel:[0,1]
	s_delay_alu instid0(VALU_DEP_2) | instskip(NEXT) | instid1(VALU_DEP_2)
	v_pk_add_f32 v[210:211], v[210:211], v[48:49] neg_lo:[0,1] neg_hi:[0,1]
	v_pk_fma_f32 v[6:7], v[4:5], v[44:45], v[2:3] op_sel:[0,0,1] op_sel_hi:[1,1,0] neg_lo:[0,0,1] neg_hi:[0,0,1]
	v_pk_fma_f32 v[2:3], v[4:5], v[44:45], v[2:3] op_sel:[0,0,1] op_sel_hi:[1,0,0]
	s_delay_alu instid0(VALU_DEP_1) | instskip(SKIP_4) | instid1(VALU_DEP_1)
	v_mov_b32_e32 v7, v3
	ds_load_2addr_b64 v[2:5], v126 offset0:42 offset1:43
	v_pk_add_f32 v[212:213], v[212:213], v[6:7] neg_lo:[0,1] neg_hi:[0,1]
	s_wait_dscnt 0x0
	v_pk_mul_f32 v[6:7], v[2:3], v[46:47] op_sel:[0,1]
	v_pk_fma_f32 v[48:49], v[2:3], v[44:45], v[6:7] op_sel:[0,0,1] op_sel_hi:[1,1,0] neg_lo:[0,0,1] neg_hi:[0,0,1]
	v_pk_fma_f32 v[2:3], v[2:3], v[44:45], v[6:7] op_sel:[0,0,1] op_sel_hi:[1,0,0]
	v_dual_mul_f32 v6, v5, v47 :: v_dual_mov_b32 v2, v5
	s_delay_alu instid0(VALU_DEP_2) | instskip(NEXT) | instid1(VALU_DEP_2)
	v_dual_mov_b32 v49, v3 :: v_dual_mov_b32 v3, v4
	v_pk_fma_f32 v[6:7], v[4:5], v[168:169], v[6:7] op_sel_hi:[1,1,0] neg_lo:[0,0,1] neg_hi:[0,0,1]
	v_mul_f32_e32 v4, v5, v44
	s_delay_alu instid0(VALU_DEP_3) | instskip(NEXT) | instid1(VALU_DEP_2)
	v_pk_add_f32 v[214:215], v[214:215], v[48:49] neg_lo:[0,1] neg_hi:[0,1]
	v_pk_fma_f32 v[2:3], v[2:3], v[168:169], v[4:5] op_sel_hi:[1,1,0]
	s_delay_alu instid0(VALU_DEP_1) | instskip(SKIP_4) | instid1(VALU_DEP_1)
	v_mov_b32_e32 v7, v3
	ds_load_2addr_b64 v[2:5], v126 offset0:44 offset1:45
	v_pk_add_f32 v[216:217], v[216:217], v[6:7] neg_lo:[0,1] neg_hi:[0,1]
	s_wait_dscnt 0x0
	v_pk_mul_f32 v[6:7], v[2:3], v[46:47] op_sel:[0,1]
	v_pk_fma_f32 v[48:49], v[2:3], v[44:45], v[6:7] op_sel:[0,0,1] op_sel_hi:[1,1,0] neg_lo:[0,0,1] neg_hi:[0,0,1]
	v_pk_fma_f32 v[2:3], v[2:3], v[44:45], v[6:7] op_sel:[0,0,1] op_sel_hi:[1,0,0]
	s_delay_alu instid0(VALU_DEP_1) | instskip(SKIP_1) | instid1(VALU_DEP_1)
	v_mov_b32_e32 v49, v3
	v_pk_mul_f32 v[2:3], v[4:5], v[46:47] op_sel:[0,1]
	v_pk_fma_f32 v[6:7], v[4:5], v[44:45], v[2:3] op_sel:[0,0,1] op_sel_hi:[1,1,0] neg_lo:[0,0,1] neg_hi:[0,0,1]
	v_pk_fma_f32 v[2:3], v[4:5], v[44:45], v[2:3] op_sel:[0,0,1] op_sel_hi:[1,0,0]
	s_delay_alu instid0(VALU_DEP_1)
	v_mov_b32_e32 v7, v3
	ds_load_2addr_b64 v[2:5], v126 offset0:46 offset1:47
	v_pk_add_f32 v[218:219], v[218:219], v[48:49] neg_lo:[0,1] neg_hi:[0,1]
	v_pk_add_f32 v[220:221], v[220:221], v[6:7] neg_lo:[0,1] neg_hi:[0,1]
	s_wait_dscnt 0x0
	v_pk_mul_f32 v[6:7], v[2:3], v[46:47] op_sel:[0,1]
	s_delay_alu instid0(VALU_DEP_1) | instskip(SKIP_1) | instid1(VALU_DEP_1)
	v_pk_fma_f32 v[48:49], v[2:3], v[44:45], v[6:7] op_sel:[0,0,1] op_sel_hi:[1,1,0] neg_lo:[0,0,1] neg_hi:[0,0,1]
	v_pk_fma_f32 v[2:3], v[2:3], v[44:45], v[6:7] op_sel:[0,0,1] op_sel_hi:[1,0,0]
	v_mov_b32_e32 v49, v3
	v_pk_mul_f32 v[2:3], v[4:5], v[46:47] op_sel:[0,1]
	s_delay_alu instid0(VALU_DEP_1) | instskip(SKIP_1) | instid1(VALU_DEP_1)
	v_pk_fma_f32 v[6:7], v[4:5], v[44:45], v[2:3] op_sel:[0,0,1] op_sel_hi:[1,1,0] neg_lo:[0,0,1] neg_hi:[0,0,1]
	v_pk_fma_f32 v[2:3], v[4:5], v[44:45], v[2:3] op_sel:[0,0,1] op_sel_hi:[1,0,0]
	v_mov_b32_e32 v7, v3
	ds_load_2addr_b64 v[2:5], v126 offset0:48 offset1:49
	v_pk_add_f32 v[222:223], v[222:223], v[48:49] neg_lo:[0,1] neg_hi:[0,1]
	v_pk_add_f32 v[224:225], v[224:225], v[6:7] neg_lo:[0,1] neg_hi:[0,1]
	s_wait_dscnt 0x0
	v_dual_mul_f32 v6, v3, v47 :: v_dual_mul_f32 v48, v3, v44
	s_delay_alu instid0(VALU_DEP_1) | instskip(NEXT) | instid1(VALU_DEP_2)
	v_pk_fma_f32 v[6:7], v[2:3], v[168:169], v[6:7] op_sel_hi:[1,1,0] neg_lo:[0,0,1] neg_hi:[0,0,1]
	v_pk_fma_f32 v[2:3], v[2:3], v[168:169], v[48:49] op_sel:[1,0,0] op_sel_hi:[0,1,0]
	s_delay_alu instid0(VALU_DEP_1) | instskip(SKIP_1) | instid1(VALU_DEP_2)
	v_mov_b32_e32 v7, v3
	v_pk_mul_f32 v[2:3], v[4:5], v[46:47] op_sel:[0,1]
	v_pk_add_f32 v[226:227], v[226:227], v[6:7] neg_lo:[0,1] neg_hi:[0,1]
	s_delay_alu instid0(VALU_DEP_2) | instskip(SKIP_1) | instid1(VALU_DEP_1)
	v_pk_fma_f32 v[6:7], v[4:5], v[44:45], v[2:3] op_sel:[0,0,1] op_sel_hi:[1,1,0] neg_lo:[0,0,1] neg_hi:[0,0,1]
	v_pk_fma_f32 v[2:3], v[4:5], v[44:45], v[2:3] op_sel:[0,0,1] op_sel_hi:[1,0,0]
	v_mov_b32_e32 v7, v3
	ds_load_2addr_b64 v[2:5], v126 offset0:50 offset1:51
	v_pk_add_f32 v[228:229], v[228:229], v[6:7] neg_lo:[0,1] neg_hi:[0,1]
	s_wait_dscnt 0x0
	v_pk_mul_f32 v[6:7], v[2:3], v[46:47] op_sel:[0,1]
	s_delay_alu instid0(VALU_DEP_1) | instskip(SKIP_1) | instid1(VALU_DEP_1)
	v_pk_fma_f32 v[48:49], v[2:3], v[44:45], v[6:7] op_sel:[0,0,1] op_sel_hi:[1,1,0] neg_lo:[0,0,1] neg_hi:[0,0,1]
	v_pk_fma_f32 v[2:3], v[2:3], v[44:45], v[6:7] op_sel:[0,0,1] op_sel_hi:[1,0,0]
	v_mov_b32_e32 v49, v3
	v_pk_mul_f32 v[2:3], v[4:5], v[46:47] op_sel:[0,1]
	s_delay_alu instid0(VALU_DEP_2) | instskip(NEXT) | instid1(VALU_DEP_2)
	v_pk_add_f32 v[230:231], v[230:231], v[48:49] neg_lo:[0,1] neg_hi:[0,1]
	v_pk_fma_f32 v[6:7], v[4:5], v[44:45], v[2:3] op_sel:[0,0,1] op_sel_hi:[1,1,0] neg_lo:[0,0,1] neg_hi:[0,0,1]
	v_pk_fma_f32 v[2:3], v[4:5], v[44:45], v[2:3] op_sel:[0,0,1] op_sel_hi:[1,0,0]
	s_delay_alu instid0(VALU_DEP_1) | instskip(SKIP_4) | instid1(VALU_DEP_1)
	v_mov_b32_e32 v7, v3
	ds_load_2addr_b64 v[2:5], v126 offset0:52 offset1:53
	v_pk_add_f32 v[232:233], v[232:233], v[6:7] neg_lo:[0,1] neg_hi:[0,1]
	s_wait_dscnt 0x0
	v_pk_mul_f32 v[6:7], v[2:3], v[46:47] op_sel:[0,1]
	v_pk_fma_f32 v[48:49], v[2:3], v[44:45], v[6:7] op_sel:[0,0,1] op_sel_hi:[1,1,0] neg_lo:[0,0,1] neg_hi:[0,0,1]
	v_pk_fma_f32 v[2:3], v[2:3], v[44:45], v[6:7] op_sel:[0,0,1] op_sel_hi:[1,0,0]
	v_dual_mul_f32 v6, v5, v47 :: v_dual_mov_b32 v2, v5
	s_delay_alu instid0(VALU_DEP_2) | instskip(NEXT) | instid1(VALU_DEP_2)
	v_dual_mov_b32 v49, v3 :: v_dual_mov_b32 v3, v4
	v_pk_fma_f32 v[6:7], v[4:5], v[168:169], v[6:7] op_sel_hi:[1,1,0] neg_lo:[0,0,1] neg_hi:[0,0,1]
	v_mul_f32_e32 v4, v5, v44
	s_delay_alu instid0(VALU_DEP_3) | instskip(NEXT) | instid1(VALU_DEP_2)
	v_pk_add_f32 v[234:235], v[234:235], v[48:49] neg_lo:[0,1] neg_hi:[0,1]
	v_pk_fma_f32 v[2:3], v[2:3], v[168:169], v[4:5] op_sel_hi:[1,1,0]
	s_delay_alu instid0(VALU_DEP_1) | instskip(SKIP_4) | instid1(VALU_DEP_1)
	v_mov_b32_e32 v7, v3
	ds_load_2addr_b64 v[2:5], v126 offset0:54 offset1:55
	v_pk_add_f32 v[236:237], v[236:237], v[6:7] neg_lo:[0,1] neg_hi:[0,1]
	s_wait_dscnt 0x0
	v_pk_mul_f32 v[6:7], v[2:3], v[46:47] op_sel:[0,1]
	v_pk_fma_f32 v[48:49], v[2:3], v[44:45], v[6:7] op_sel:[0,0,1] op_sel_hi:[1,1,0] neg_lo:[0,0,1] neg_hi:[0,0,1]
	v_pk_fma_f32 v[2:3], v[2:3], v[44:45], v[6:7] op_sel:[0,0,1] op_sel_hi:[1,0,0]
	s_delay_alu instid0(VALU_DEP_1) | instskip(SKIP_1) | instid1(VALU_DEP_1)
	v_mov_b32_e32 v49, v3
	v_pk_mul_f32 v[2:3], v[4:5], v[46:47] op_sel:[0,1]
	v_pk_fma_f32 v[6:7], v[4:5], v[44:45], v[2:3] op_sel:[0,0,1] op_sel_hi:[1,1,0] neg_lo:[0,0,1] neg_hi:[0,0,1]
	v_pk_fma_f32 v[2:3], v[4:5], v[44:45], v[2:3] op_sel:[0,0,1] op_sel_hi:[1,0,0]
	s_delay_alu instid0(VALU_DEP_1)
	v_mov_b32_e32 v7, v3
	ds_load_2addr_b64 v[2:5], v126 offset0:56 offset1:57
	v_pk_add_f32 v[238:239], v[238:239], v[48:49] neg_lo:[0,1] neg_hi:[0,1]
	v_pk_add_f32 v[240:241], v[240:241], v[6:7] neg_lo:[0,1] neg_hi:[0,1]
	s_wait_dscnt 0x0
	v_pk_mul_f32 v[6:7], v[2:3], v[46:47] op_sel:[0,1]
	s_delay_alu instid0(VALU_DEP_1) | instskip(SKIP_1) | instid1(VALU_DEP_1)
	v_pk_fma_f32 v[48:49], v[2:3], v[44:45], v[6:7] op_sel:[0,0,1] op_sel_hi:[1,1,0] neg_lo:[0,0,1] neg_hi:[0,0,1]
	v_pk_fma_f32 v[2:3], v[2:3], v[44:45], v[6:7] op_sel:[0,0,1] op_sel_hi:[1,0,0]
	v_mov_b32_e32 v49, v3
	v_pk_mul_f32 v[2:3], v[4:5], v[46:47] op_sel:[0,1]
	s_delay_alu instid0(VALU_DEP_1) | instskip(SKIP_1) | instid1(VALU_DEP_1)
	v_pk_fma_f32 v[6:7], v[4:5], v[44:45], v[2:3] op_sel:[0,0,1] op_sel_hi:[1,1,0] neg_lo:[0,0,1] neg_hi:[0,0,1]
	v_pk_fma_f32 v[2:3], v[4:5], v[44:45], v[2:3] op_sel:[0,0,1] op_sel_hi:[1,0,0]
	v_mov_b32_e32 v7, v3
	ds_load_2addr_b64 v[2:5], v126 offset0:58 offset1:59
	v_pk_add_f32 v[252:253], v[252:253], v[48:49] neg_lo:[0,1] neg_hi:[0,1]
	v_pk_add_f32 v[246:247], v[246:247], v[6:7] neg_lo:[0,1] neg_hi:[0,1]
	s_wait_dscnt 0x0
	v_dual_mul_f32 v6, v3, v47 :: v_dual_mul_f32 v48, v3, v44
	s_delay_alu instid0(VALU_DEP_1) | instskip(NEXT) | instid1(VALU_DEP_2)
	v_pk_fma_f32 v[6:7], v[2:3], v[168:169], v[6:7] op_sel_hi:[1,1,0] neg_lo:[0,0,1] neg_hi:[0,0,1]
	v_pk_fma_f32 v[2:3], v[2:3], v[168:169], v[48:49] op_sel:[1,0,0] op_sel_hi:[0,1,0]
	s_delay_alu instid0(VALU_DEP_1) | instskip(SKIP_1) | instid1(VALU_DEP_2)
	v_mov_b32_e32 v7, v3
	v_pk_mul_f32 v[2:3], v[4:5], v[46:47] op_sel:[0,1]
	v_pk_add_f32 v[250:251], v[250:251], v[6:7] neg_lo:[0,1] neg_hi:[0,1]
	s_delay_alu instid0(VALU_DEP_2) | instskip(SKIP_1) | instid1(VALU_DEP_1)
	v_pk_fma_f32 v[6:7], v[4:5], v[44:45], v[2:3] op_sel:[0,0,1] op_sel_hi:[1,1,0] neg_lo:[0,0,1] neg_hi:[0,0,1]
	v_pk_fma_f32 v[2:3], v[4:5], v[44:45], v[2:3] op_sel:[0,0,1] op_sel_hi:[1,0,0]
	v_mov_b32_e32 v7, v3
	ds_load_2addr_b64 v[2:5], v126 offset0:60 offset1:61
	v_pk_add_f32 v[244:245], v[244:245], v[6:7] neg_lo:[0,1] neg_hi:[0,1]
	s_wait_dscnt 0x0
	v_pk_mul_f32 v[6:7], v[2:3], v[46:47] op_sel:[0,1]
	s_delay_alu instid0(VALU_DEP_1) | instskip(SKIP_1) | instid1(VALU_DEP_1)
	v_pk_fma_f32 v[48:49], v[2:3], v[44:45], v[6:7] op_sel:[0,0,1] op_sel_hi:[1,1,0] neg_lo:[0,0,1] neg_hi:[0,0,1]
	v_pk_fma_f32 v[2:3], v[2:3], v[44:45], v[6:7] op_sel:[0,0,1] op_sel_hi:[1,0,0]
	v_mov_b32_e32 v49, v3
	v_pk_mul_f32 v[2:3], v[4:5], v[46:47] op_sel:[0,1]
	s_delay_alu instid0(VALU_DEP_2) | instskip(NEXT) | instid1(VALU_DEP_2)
	v_pk_add_f32 v[248:249], v[248:249], v[48:49] neg_lo:[0,1] neg_hi:[0,1]
	v_pk_fma_f32 v[6:7], v[4:5], v[44:45], v[2:3] op_sel:[0,0,1] op_sel_hi:[1,1,0] neg_lo:[0,0,1] neg_hi:[0,0,1]
	v_pk_fma_f32 v[2:3], v[4:5], v[44:45], v[2:3] op_sel:[0,0,1] op_sel_hi:[1,0,0]
	s_delay_alu instid0(VALU_DEP_1) | instskip(SKIP_4) | instid1(VALU_DEP_1)
	v_mov_b32_e32 v7, v3
	ds_load_2addr_b64 v[2:5], v126 offset0:62 offset1:63
	v_pk_add_f32 v[242:243], v[242:243], v[6:7] neg_lo:[0,1] neg_hi:[0,1]
	s_wait_dscnt 0x0
	v_pk_mul_f32 v[6:7], v[2:3], v[46:47] op_sel:[0,1]
	v_pk_fma_f32 v[48:49], v[2:3], v[44:45], v[6:7] op_sel:[0,0,1] op_sel_hi:[1,1,0] neg_lo:[0,0,1] neg_hi:[0,0,1]
	v_pk_fma_f32 v[2:3], v[2:3], v[44:45], v[6:7] op_sel:[0,0,1] op_sel_hi:[1,0,0]
	s_delay_alu instid0(VALU_DEP_1) | instskip(SKIP_1) | instid1(VALU_DEP_2)
	v_mov_b32_e32 v49, v3
	v_pk_mul_f32 v[2:3], v[4:5], v[46:47] op_sel:[0,1]
	v_pk_add_f32 v[254:255], v[254:255], v[48:49] neg_lo:[0,1] neg_hi:[0,1]
	s_delay_alu instid0(VALU_DEP_2) | instskip(SKIP_1) | instid1(VALU_DEP_1)
	v_pk_fma_f32 v[6:7], v[4:5], v[44:45], v[2:3] op_sel:[0,0,1] op_sel_hi:[1,1,0] neg_lo:[0,0,1] neg_hi:[0,0,1]
	v_pk_fma_f32 v[2:3], v[4:5], v[44:45], v[2:3] op_sel:[0,0,1] op_sel_hi:[1,0,0]
	v_mov_b32_e32 v7, v3
	s_delay_alu instid0(VALU_DEP_1)
	v_pk_add_f32 v[0:1], v[0:1], v[6:7] neg_lo:[0,1] neg_hi:[0,1]
.LBB127_181:
	s_or_b32 exec_lo, exec_lo, s1
	s_delay_alu instid0(SALU_CYCLE_1)
	s_mov_b32 s2, exec_lo
	s_wait_dscnt 0x0
	s_barrier_signal -1
	s_barrier_wait -1
	v_cmpx_eq_u32_e32 20, v18
	s_cbranch_execz .LBB127_188
; %bb.182:
	ds_store_b64 v19, v[170:171]
	ds_store_2addr_b64 v126, v[172:173], v[174:175] offset0:21 offset1:22
	ds_store_2addr_b64 v126, v[176:177], v[178:179] offset0:23 offset1:24
	;; [unrolled: 1-line block ×21, first 2 shown]
	ds_store_b64 v126, v[0:1] offset:504
	ds_load_b64 v[2:3], v19
	s_wait_dscnt 0x0
	v_cmp_neq_f32_e32 vcc_lo, 0, v2
	v_cmp_neq_f32_e64 s1, 0, v3
	s_or_b32 s1, vcc_lo, s1
	s_delay_alu instid0(SALU_CYCLE_1)
	s_and_b32 exec_lo, exec_lo, s1
	s_cbranch_execz .LBB127_188
; %bb.183:
	v_cmp_ngt_f32_e64 s1, |v2|, |v3|
                                        ; implicit-def: $vgpr4_vgpr5
	s_and_saveexec_b32 s4, s1
	s_delay_alu instid0(SALU_CYCLE_1)
	s_xor_b32 s1, exec_lo, s4
	s_cbranch_execz .LBB127_185
; %bb.184:
	v_div_scale_f32 v4, null, v3, v3, v2
	v_div_scale_f32 v7, vcc_lo, v2, v3, v2
	s_delay_alu instid0(VALU_DEP_2) | instskip(SKIP_1) | instid1(TRANS32_DEP_1)
	v_rcp_f32_e32 v5, v4
	v_nop
	v_fma_f32 v6, -v4, v5, 1.0
	s_delay_alu instid0(VALU_DEP_1) | instskip(NEXT) | instid1(VALU_DEP_1)
	v_fmac_f32_e32 v5, v6, v5
	v_mul_f32_e32 v6, v7, v5
	s_delay_alu instid0(VALU_DEP_1) | instskip(NEXT) | instid1(VALU_DEP_1)
	v_fma_f32 v8, -v4, v6, v7
	v_fmac_f32_e32 v6, v8, v5
	s_delay_alu instid0(VALU_DEP_1) | instskip(NEXT) | instid1(VALU_DEP_1)
	v_fma_f32 v4, -v4, v6, v7
	v_div_fmas_f32 v4, v4, v5, v6
	s_delay_alu instid0(VALU_DEP_1) | instskip(NEXT) | instid1(VALU_DEP_1)
	v_div_fixup_f32 v4, v4, v3, v2
	v_fmac_f32_e32 v3, v2, v4
	s_delay_alu instid0(VALU_DEP_1) | instskip(SKIP_1) | instid1(VALU_DEP_2)
	v_div_scale_f32 v2, null, v3, v3, 1.0
	v_div_scale_f32 v7, vcc_lo, 1.0, v3, 1.0
	v_rcp_f32_e32 v5, v2
	v_nop
	s_delay_alu instid0(TRANS32_DEP_1) | instskip(NEXT) | instid1(VALU_DEP_1)
	v_fma_f32 v6, -v2, v5, 1.0
	v_fmac_f32_e32 v5, v6, v5
	s_delay_alu instid0(VALU_DEP_1) | instskip(NEXT) | instid1(VALU_DEP_1)
	v_mul_f32_e32 v6, v7, v5
	v_fma_f32 v8, -v2, v6, v7
	s_delay_alu instid0(VALU_DEP_1) | instskip(NEXT) | instid1(VALU_DEP_1)
	v_fmac_f32_e32 v6, v8, v5
	v_fma_f32 v2, -v2, v6, v7
	s_delay_alu instid0(VALU_DEP_1) | instskip(NEXT) | instid1(VALU_DEP_1)
	v_div_fmas_f32 v2, v2, v5, v6
	v_div_fixup_f32 v2, v2, v3, 1.0
	s_delay_alu instid0(VALU_DEP_1)
	v_mul_f32_e32 v4, v4, v2
	v_xor_b32_e32 v5, 0x80000000, v2
                                        ; implicit-def: $vgpr2_vgpr3
.LBB127_185:
	s_and_not1_saveexec_b32 s1, s1
	s_cbranch_execz .LBB127_187
; %bb.186:
	v_div_scale_f32 v4, null, v2, v2, v3
	v_div_scale_f32 v7, vcc_lo, v3, v2, v3
	s_delay_alu instid0(VALU_DEP_2) | instskip(SKIP_1) | instid1(TRANS32_DEP_1)
	v_rcp_f32_e32 v5, v4
	v_nop
	v_fma_f32 v6, -v4, v5, 1.0
	s_delay_alu instid0(VALU_DEP_1) | instskip(NEXT) | instid1(VALU_DEP_1)
	v_fmac_f32_e32 v5, v6, v5
	v_mul_f32_e32 v6, v7, v5
	s_delay_alu instid0(VALU_DEP_1) | instskip(NEXT) | instid1(VALU_DEP_1)
	v_fma_f32 v8, -v4, v6, v7
	v_fmac_f32_e32 v6, v8, v5
	s_delay_alu instid0(VALU_DEP_1) | instskip(NEXT) | instid1(VALU_DEP_1)
	v_fma_f32 v4, -v4, v6, v7
	v_div_fmas_f32 v4, v4, v5, v6
	s_delay_alu instid0(VALU_DEP_1) | instskip(NEXT) | instid1(VALU_DEP_1)
	v_div_fixup_f32 v5, v4, v2, v3
	v_fmac_f32_e32 v2, v3, v5
	s_delay_alu instid0(VALU_DEP_1) | instskip(NEXT) | instid1(VALU_DEP_1)
	v_div_scale_f32 v3, null, v2, v2, 1.0
	v_rcp_f32_e32 v4, v3
	v_nop
	s_delay_alu instid0(TRANS32_DEP_1) | instskip(NEXT) | instid1(VALU_DEP_1)
	v_fma_f32 v6, -v3, v4, 1.0
	v_fmac_f32_e32 v4, v6, v4
	v_div_scale_f32 v6, vcc_lo, 1.0, v2, 1.0
	s_delay_alu instid0(VALU_DEP_1) | instskip(NEXT) | instid1(VALU_DEP_1)
	v_mul_f32_e32 v7, v6, v4
	v_fma_f32 v8, -v3, v7, v6
	s_delay_alu instid0(VALU_DEP_1) | instskip(NEXT) | instid1(VALU_DEP_1)
	v_fmac_f32_e32 v7, v8, v4
	v_fma_f32 v3, -v3, v7, v6
	s_delay_alu instid0(VALU_DEP_1) | instskip(NEXT) | instid1(VALU_DEP_1)
	v_div_fmas_f32 v3, v3, v4, v7
	v_div_fixup_f32 v4, v3, v2, 1.0
	s_delay_alu instid0(VALU_DEP_1)
	v_mul_f32_e64 v5, v5, -v4
.LBB127_187:
	s_or_b32 exec_lo, exec_lo, s1
	ds_store_b64 v19, v[4:5]
.LBB127_188:
	s_or_b32 exec_lo, exec_lo, s2
	s_wait_dscnt 0x0
	s_barrier_signal -1
	s_barrier_wait -1
	ds_load_b64 v[44:45], v19
	s_mov_b32 s1, exec_lo
	v_cmpx_lt_u32_e32 20, v18
	s_cbranch_execz .LBB127_190
; %bb.189:
	s_wait_dscnt 0x0
	v_pk_mul_f32 v[2:3], v[44:45], v[170:171] op_sel:[1,1] op_sel_hi:[0,1]
	s_delay_alu instid0(VALU_DEP_1)
	v_pk_fma_f32 v[46:47], v[44:45], v[170:171], v[2:3] op_sel_hi:[1,0,1] neg_lo:[0,0,1] neg_hi:[0,0,1]
	v_pk_fma_f32 v[48:49], v[44:45], v[170:171], v[2:3] op_sel_hi:[1,0,1]
	ds_load_2addr_b64 v[2:5], v126 offset0:21 offset1:22
	v_dual_mov_b32 v170, v46 :: v_dual_mov_b32 v171, v49
	s_wait_dscnt 0x0
	v_pk_mul_f32 v[6:7], v[2:3], v[48:49] op_sel:[0,1]
	s_delay_alu instid0(VALU_DEP_1) | instskip(SKIP_1) | instid1(VALU_DEP_1)
	v_pk_fma_f32 v[50:51], v[2:3], v[46:47], v[6:7] op_sel:[0,0,1] op_sel_hi:[1,1,0] neg_lo:[0,0,1] neg_hi:[0,0,1]
	v_pk_fma_f32 v[2:3], v[2:3], v[46:47], v[6:7] op_sel:[0,0,1] op_sel_hi:[1,0,0]
	v_mov_b32_e32 v51, v3
	v_pk_mul_f32 v[2:3], v[4:5], v[48:49] op_sel:[0,1]
	s_delay_alu instid0(VALU_DEP_1) | instskip(SKIP_1) | instid1(VALU_DEP_1)
	v_pk_fma_f32 v[6:7], v[4:5], v[46:47], v[2:3] op_sel:[0,0,1] op_sel_hi:[1,1,0] neg_lo:[0,0,1] neg_hi:[0,0,1]
	v_pk_fma_f32 v[2:3], v[4:5], v[46:47], v[2:3] op_sel:[0,0,1] op_sel_hi:[1,0,0]
	v_mov_b32_e32 v7, v3
	ds_load_2addr_b64 v[2:5], v126 offset0:23 offset1:24
	v_pk_add_f32 v[172:173], v[172:173], v[50:51] neg_lo:[0,1] neg_hi:[0,1]
	v_pk_add_f32 v[174:175], v[174:175], v[6:7] neg_lo:[0,1] neg_hi:[0,1]
	s_wait_dscnt 0x0
	v_pk_mul_f32 v[6:7], v[2:3], v[48:49] op_sel:[0,1]
	s_delay_alu instid0(VALU_DEP_1) | instskip(SKIP_2) | instid1(VALU_DEP_2)
	v_pk_fma_f32 v[50:51], v[2:3], v[46:47], v[6:7] op_sel:[0,0,1] op_sel_hi:[1,1,0] neg_lo:[0,0,1] neg_hi:[0,0,1]
	v_pk_fma_f32 v[2:3], v[2:3], v[46:47], v[6:7] op_sel:[0,0,1] op_sel_hi:[1,0,0]
	v_dual_mul_f32 v6, v5, v49 :: v_dual_mov_b32 v2, v5
	v_dual_mov_b32 v51, v3 :: v_dual_mov_b32 v3, v4
	s_delay_alu instid0(VALU_DEP_2) | instskip(SKIP_1) | instid1(VALU_DEP_3)
	v_pk_fma_f32 v[6:7], v[4:5], v[170:171], v[6:7] op_sel_hi:[1,1,0] neg_lo:[0,0,1] neg_hi:[0,0,1]
	v_mul_f32_e32 v4, v5, v46
	v_pk_add_f32 v[176:177], v[176:177], v[50:51] neg_lo:[0,1] neg_hi:[0,1]
	s_delay_alu instid0(VALU_DEP_2) | instskip(NEXT) | instid1(VALU_DEP_1)
	v_pk_fma_f32 v[2:3], v[2:3], v[170:171], v[4:5] op_sel_hi:[1,1,0]
	v_mov_b32_e32 v7, v3
	ds_load_2addr_b64 v[2:5], v126 offset0:25 offset1:26
	v_pk_add_f32 v[178:179], v[178:179], v[6:7] neg_lo:[0,1] neg_hi:[0,1]
	s_wait_dscnt 0x0
	v_pk_mul_f32 v[6:7], v[2:3], v[48:49] op_sel:[0,1]
	s_delay_alu instid0(VALU_DEP_1) | instskip(SKIP_1) | instid1(VALU_DEP_1)
	v_pk_fma_f32 v[50:51], v[2:3], v[46:47], v[6:7] op_sel:[0,0,1] op_sel_hi:[1,1,0] neg_lo:[0,0,1] neg_hi:[0,0,1]
	v_pk_fma_f32 v[2:3], v[2:3], v[46:47], v[6:7] op_sel:[0,0,1] op_sel_hi:[1,0,0]
	v_mov_b32_e32 v51, v3
	v_pk_mul_f32 v[2:3], v[4:5], v[48:49] op_sel:[0,1]
	s_delay_alu instid0(VALU_DEP_1) | instskip(SKIP_1) | instid1(VALU_DEP_1)
	v_pk_fma_f32 v[6:7], v[4:5], v[46:47], v[2:3] op_sel:[0,0,1] op_sel_hi:[1,1,0] neg_lo:[0,0,1] neg_hi:[0,0,1]
	v_pk_fma_f32 v[2:3], v[4:5], v[46:47], v[2:3] op_sel:[0,0,1] op_sel_hi:[1,0,0]
	v_mov_b32_e32 v7, v3
	ds_load_2addr_b64 v[2:5], v126 offset0:27 offset1:28
	v_pk_add_f32 v[180:181], v[180:181], v[50:51] neg_lo:[0,1] neg_hi:[0,1]
	v_pk_add_f32 v[182:183], v[182:183], v[6:7] neg_lo:[0,1] neg_hi:[0,1]
	s_wait_dscnt 0x0
	v_pk_mul_f32 v[6:7], v[2:3], v[48:49] op_sel:[0,1]
	s_delay_alu instid0(VALU_DEP_1) | instskip(SKIP_1) | instid1(VALU_DEP_1)
	v_pk_fma_f32 v[50:51], v[2:3], v[46:47], v[6:7] op_sel:[0,0,1] op_sel_hi:[1,1,0] neg_lo:[0,0,1] neg_hi:[0,0,1]
	v_pk_fma_f32 v[2:3], v[2:3], v[46:47], v[6:7] op_sel:[0,0,1] op_sel_hi:[1,0,0]
	v_mov_b32_e32 v51, v3
	v_pk_mul_f32 v[2:3], v[4:5], v[48:49] op_sel:[0,1]
	s_delay_alu instid0(VALU_DEP_1) | instskip(SKIP_1) | instid1(VALU_DEP_1)
	v_pk_fma_f32 v[6:7], v[4:5], v[46:47], v[2:3] op_sel:[0,0,1] op_sel_hi:[1,1,0] neg_lo:[0,0,1] neg_hi:[0,0,1]
	v_pk_fma_f32 v[2:3], v[4:5], v[46:47], v[2:3] op_sel:[0,0,1] op_sel_hi:[1,0,0]
	v_mov_b32_e32 v7, v3
	ds_load_2addr_b64 v[2:5], v126 offset0:29 offset1:30
	v_pk_add_f32 v[184:185], v[184:185], v[50:51] neg_lo:[0,1] neg_hi:[0,1]
	v_pk_add_f32 v[186:187], v[186:187], v[6:7] neg_lo:[0,1] neg_hi:[0,1]
	s_wait_dscnt 0x0
	v_dual_mul_f32 v6, v3, v49 :: v_dual_mul_f32 v50, v3, v46
	s_delay_alu instid0(VALU_DEP_1) | instskip(NEXT) | instid1(VALU_DEP_2)
	v_pk_fma_f32 v[6:7], v[2:3], v[170:171], v[6:7] op_sel_hi:[1,1,0] neg_lo:[0,0,1] neg_hi:[0,0,1]
	v_pk_fma_f32 v[2:3], v[2:3], v[170:171], v[50:51] op_sel:[1,0,0] op_sel_hi:[0,1,0]
	s_delay_alu instid0(VALU_DEP_1) | instskip(SKIP_1) | instid1(VALU_DEP_2)
	v_mov_b32_e32 v7, v3
	v_pk_mul_f32 v[2:3], v[4:5], v[48:49] op_sel:[0,1]
	v_pk_add_f32 v[188:189], v[188:189], v[6:7] neg_lo:[0,1] neg_hi:[0,1]
	s_delay_alu instid0(VALU_DEP_2) | instskip(SKIP_1) | instid1(VALU_DEP_1)
	v_pk_fma_f32 v[6:7], v[4:5], v[46:47], v[2:3] op_sel:[0,0,1] op_sel_hi:[1,1,0] neg_lo:[0,0,1] neg_hi:[0,0,1]
	v_pk_fma_f32 v[2:3], v[4:5], v[46:47], v[2:3] op_sel:[0,0,1] op_sel_hi:[1,0,0]
	v_mov_b32_e32 v7, v3
	ds_load_2addr_b64 v[2:5], v126 offset0:31 offset1:32
	v_pk_add_f32 v[190:191], v[190:191], v[6:7] neg_lo:[0,1] neg_hi:[0,1]
	s_wait_dscnt 0x0
	v_pk_mul_f32 v[6:7], v[2:3], v[48:49] op_sel:[0,1]
	s_delay_alu instid0(VALU_DEP_1) | instskip(SKIP_1) | instid1(VALU_DEP_1)
	v_pk_fma_f32 v[50:51], v[2:3], v[46:47], v[6:7] op_sel:[0,0,1] op_sel_hi:[1,1,0] neg_lo:[0,0,1] neg_hi:[0,0,1]
	v_pk_fma_f32 v[2:3], v[2:3], v[46:47], v[6:7] op_sel:[0,0,1] op_sel_hi:[1,0,0]
	v_mov_b32_e32 v51, v3
	v_pk_mul_f32 v[2:3], v[4:5], v[48:49] op_sel:[0,1]
	s_delay_alu instid0(VALU_DEP_2) | instskip(NEXT) | instid1(VALU_DEP_2)
	v_pk_add_f32 v[192:193], v[192:193], v[50:51] neg_lo:[0,1] neg_hi:[0,1]
	v_pk_fma_f32 v[6:7], v[4:5], v[46:47], v[2:3] op_sel:[0,0,1] op_sel_hi:[1,1,0] neg_lo:[0,0,1] neg_hi:[0,0,1]
	v_pk_fma_f32 v[2:3], v[4:5], v[46:47], v[2:3] op_sel:[0,0,1] op_sel_hi:[1,0,0]
	s_delay_alu instid0(VALU_DEP_1) | instskip(SKIP_4) | instid1(VALU_DEP_1)
	v_mov_b32_e32 v7, v3
	ds_load_2addr_b64 v[2:5], v126 offset0:33 offset1:34
	v_pk_add_f32 v[194:195], v[194:195], v[6:7] neg_lo:[0,1] neg_hi:[0,1]
	s_wait_dscnt 0x0
	v_pk_mul_f32 v[6:7], v[2:3], v[48:49] op_sel:[0,1]
	v_pk_fma_f32 v[50:51], v[2:3], v[46:47], v[6:7] op_sel:[0,0,1] op_sel_hi:[1,1,0] neg_lo:[0,0,1] neg_hi:[0,0,1]
	v_pk_fma_f32 v[2:3], v[2:3], v[46:47], v[6:7] op_sel:[0,0,1] op_sel_hi:[1,0,0]
	v_dual_mul_f32 v6, v5, v49 :: v_dual_mov_b32 v2, v5
	s_delay_alu instid0(VALU_DEP_2) | instskip(NEXT) | instid1(VALU_DEP_2)
	v_dual_mov_b32 v51, v3 :: v_dual_mov_b32 v3, v4
	v_pk_fma_f32 v[6:7], v[4:5], v[170:171], v[6:7] op_sel_hi:[1,1,0] neg_lo:[0,0,1] neg_hi:[0,0,1]
	v_mul_f32_e32 v4, v5, v46
	s_delay_alu instid0(VALU_DEP_3) | instskip(NEXT) | instid1(VALU_DEP_2)
	v_pk_add_f32 v[196:197], v[196:197], v[50:51] neg_lo:[0,1] neg_hi:[0,1]
	v_pk_fma_f32 v[2:3], v[2:3], v[170:171], v[4:5] op_sel_hi:[1,1,0]
	s_delay_alu instid0(VALU_DEP_1) | instskip(SKIP_4) | instid1(VALU_DEP_1)
	v_mov_b32_e32 v7, v3
	ds_load_2addr_b64 v[2:5], v126 offset0:35 offset1:36
	v_pk_add_f32 v[198:199], v[198:199], v[6:7] neg_lo:[0,1] neg_hi:[0,1]
	s_wait_dscnt 0x0
	v_pk_mul_f32 v[6:7], v[2:3], v[48:49] op_sel:[0,1]
	v_pk_fma_f32 v[50:51], v[2:3], v[46:47], v[6:7] op_sel:[0,0,1] op_sel_hi:[1,1,0] neg_lo:[0,0,1] neg_hi:[0,0,1]
	v_pk_fma_f32 v[2:3], v[2:3], v[46:47], v[6:7] op_sel:[0,0,1] op_sel_hi:[1,0,0]
	s_delay_alu instid0(VALU_DEP_1) | instskip(SKIP_1) | instid1(VALU_DEP_1)
	v_mov_b32_e32 v51, v3
	v_pk_mul_f32 v[2:3], v[4:5], v[48:49] op_sel:[0,1]
	v_pk_fma_f32 v[6:7], v[4:5], v[46:47], v[2:3] op_sel:[0,0,1] op_sel_hi:[1,1,0] neg_lo:[0,0,1] neg_hi:[0,0,1]
	v_pk_fma_f32 v[2:3], v[4:5], v[46:47], v[2:3] op_sel:[0,0,1] op_sel_hi:[1,0,0]
	s_delay_alu instid0(VALU_DEP_1)
	v_mov_b32_e32 v7, v3
	ds_load_2addr_b64 v[2:5], v126 offset0:37 offset1:38
	v_pk_add_f32 v[200:201], v[200:201], v[50:51] neg_lo:[0,1] neg_hi:[0,1]
	v_pk_add_f32 v[202:203], v[202:203], v[6:7] neg_lo:[0,1] neg_hi:[0,1]
	s_wait_dscnt 0x0
	v_pk_mul_f32 v[6:7], v[2:3], v[48:49] op_sel:[0,1]
	s_delay_alu instid0(VALU_DEP_1) | instskip(SKIP_1) | instid1(VALU_DEP_1)
	v_pk_fma_f32 v[50:51], v[2:3], v[46:47], v[6:7] op_sel:[0,0,1] op_sel_hi:[1,1,0] neg_lo:[0,0,1] neg_hi:[0,0,1]
	v_pk_fma_f32 v[2:3], v[2:3], v[46:47], v[6:7] op_sel:[0,0,1] op_sel_hi:[1,0,0]
	v_mov_b32_e32 v51, v3
	v_pk_mul_f32 v[2:3], v[4:5], v[48:49] op_sel:[0,1]
	s_delay_alu instid0(VALU_DEP_1) | instskip(SKIP_1) | instid1(VALU_DEP_1)
	v_pk_fma_f32 v[6:7], v[4:5], v[46:47], v[2:3] op_sel:[0,0,1] op_sel_hi:[1,1,0] neg_lo:[0,0,1] neg_hi:[0,0,1]
	v_pk_fma_f32 v[2:3], v[4:5], v[46:47], v[2:3] op_sel:[0,0,1] op_sel_hi:[1,0,0]
	v_mov_b32_e32 v7, v3
	ds_load_2addr_b64 v[2:5], v126 offset0:39 offset1:40
	v_pk_add_f32 v[204:205], v[204:205], v[50:51] neg_lo:[0,1] neg_hi:[0,1]
	v_pk_add_f32 v[206:207], v[206:207], v[6:7] neg_lo:[0,1] neg_hi:[0,1]
	s_wait_dscnt 0x0
	v_dual_mul_f32 v6, v3, v49 :: v_dual_mul_f32 v50, v3, v46
	s_delay_alu instid0(VALU_DEP_1) | instskip(NEXT) | instid1(VALU_DEP_2)
	v_pk_fma_f32 v[6:7], v[2:3], v[170:171], v[6:7] op_sel_hi:[1,1,0] neg_lo:[0,0,1] neg_hi:[0,0,1]
	v_pk_fma_f32 v[2:3], v[2:3], v[170:171], v[50:51] op_sel:[1,0,0] op_sel_hi:[0,1,0]
	s_delay_alu instid0(VALU_DEP_1) | instskip(SKIP_1) | instid1(VALU_DEP_2)
	v_mov_b32_e32 v7, v3
	v_pk_mul_f32 v[2:3], v[4:5], v[48:49] op_sel:[0,1]
	v_pk_add_f32 v[208:209], v[208:209], v[6:7] neg_lo:[0,1] neg_hi:[0,1]
	s_delay_alu instid0(VALU_DEP_2) | instskip(SKIP_1) | instid1(VALU_DEP_1)
	v_pk_fma_f32 v[6:7], v[4:5], v[46:47], v[2:3] op_sel:[0,0,1] op_sel_hi:[1,1,0] neg_lo:[0,0,1] neg_hi:[0,0,1]
	v_pk_fma_f32 v[2:3], v[4:5], v[46:47], v[2:3] op_sel:[0,0,1] op_sel_hi:[1,0,0]
	v_mov_b32_e32 v7, v3
	ds_load_2addr_b64 v[2:5], v126 offset0:41 offset1:42
	v_pk_add_f32 v[210:211], v[210:211], v[6:7] neg_lo:[0,1] neg_hi:[0,1]
	s_wait_dscnt 0x0
	v_pk_mul_f32 v[6:7], v[2:3], v[48:49] op_sel:[0,1]
	s_delay_alu instid0(VALU_DEP_1) | instskip(SKIP_1) | instid1(VALU_DEP_1)
	v_pk_fma_f32 v[50:51], v[2:3], v[46:47], v[6:7] op_sel:[0,0,1] op_sel_hi:[1,1,0] neg_lo:[0,0,1] neg_hi:[0,0,1]
	v_pk_fma_f32 v[2:3], v[2:3], v[46:47], v[6:7] op_sel:[0,0,1] op_sel_hi:[1,0,0]
	v_mov_b32_e32 v51, v3
	v_pk_mul_f32 v[2:3], v[4:5], v[48:49] op_sel:[0,1]
	s_delay_alu instid0(VALU_DEP_2) | instskip(NEXT) | instid1(VALU_DEP_2)
	v_pk_add_f32 v[212:213], v[212:213], v[50:51] neg_lo:[0,1] neg_hi:[0,1]
	v_pk_fma_f32 v[6:7], v[4:5], v[46:47], v[2:3] op_sel:[0,0,1] op_sel_hi:[1,1,0] neg_lo:[0,0,1] neg_hi:[0,0,1]
	v_pk_fma_f32 v[2:3], v[4:5], v[46:47], v[2:3] op_sel:[0,0,1] op_sel_hi:[1,0,0]
	s_delay_alu instid0(VALU_DEP_1) | instskip(SKIP_4) | instid1(VALU_DEP_1)
	v_mov_b32_e32 v7, v3
	ds_load_2addr_b64 v[2:5], v126 offset0:43 offset1:44
	v_pk_add_f32 v[214:215], v[214:215], v[6:7] neg_lo:[0,1] neg_hi:[0,1]
	s_wait_dscnt 0x0
	v_pk_mul_f32 v[6:7], v[2:3], v[48:49] op_sel:[0,1]
	v_pk_fma_f32 v[50:51], v[2:3], v[46:47], v[6:7] op_sel:[0,0,1] op_sel_hi:[1,1,0] neg_lo:[0,0,1] neg_hi:[0,0,1]
	v_pk_fma_f32 v[2:3], v[2:3], v[46:47], v[6:7] op_sel:[0,0,1] op_sel_hi:[1,0,0]
	v_dual_mul_f32 v6, v5, v49 :: v_dual_mov_b32 v2, v5
	s_delay_alu instid0(VALU_DEP_2) | instskip(NEXT) | instid1(VALU_DEP_2)
	v_dual_mov_b32 v51, v3 :: v_dual_mov_b32 v3, v4
	v_pk_fma_f32 v[6:7], v[4:5], v[170:171], v[6:7] op_sel_hi:[1,1,0] neg_lo:[0,0,1] neg_hi:[0,0,1]
	v_mul_f32_e32 v4, v5, v46
	s_delay_alu instid0(VALU_DEP_3) | instskip(NEXT) | instid1(VALU_DEP_2)
	v_pk_add_f32 v[216:217], v[216:217], v[50:51] neg_lo:[0,1] neg_hi:[0,1]
	v_pk_fma_f32 v[2:3], v[2:3], v[170:171], v[4:5] op_sel_hi:[1,1,0]
	s_delay_alu instid0(VALU_DEP_1) | instskip(SKIP_4) | instid1(VALU_DEP_1)
	v_mov_b32_e32 v7, v3
	ds_load_2addr_b64 v[2:5], v126 offset0:45 offset1:46
	v_pk_add_f32 v[218:219], v[218:219], v[6:7] neg_lo:[0,1] neg_hi:[0,1]
	s_wait_dscnt 0x0
	v_pk_mul_f32 v[6:7], v[2:3], v[48:49] op_sel:[0,1]
	v_pk_fma_f32 v[50:51], v[2:3], v[46:47], v[6:7] op_sel:[0,0,1] op_sel_hi:[1,1,0] neg_lo:[0,0,1] neg_hi:[0,0,1]
	v_pk_fma_f32 v[2:3], v[2:3], v[46:47], v[6:7] op_sel:[0,0,1] op_sel_hi:[1,0,0]
	s_delay_alu instid0(VALU_DEP_1) | instskip(SKIP_1) | instid1(VALU_DEP_1)
	v_mov_b32_e32 v51, v3
	v_pk_mul_f32 v[2:3], v[4:5], v[48:49] op_sel:[0,1]
	v_pk_fma_f32 v[6:7], v[4:5], v[46:47], v[2:3] op_sel:[0,0,1] op_sel_hi:[1,1,0] neg_lo:[0,0,1] neg_hi:[0,0,1]
	v_pk_fma_f32 v[2:3], v[4:5], v[46:47], v[2:3] op_sel:[0,0,1] op_sel_hi:[1,0,0]
	s_delay_alu instid0(VALU_DEP_1)
	v_mov_b32_e32 v7, v3
	ds_load_2addr_b64 v[2:5], v126 offset0:47 offset1:48
	v_pk_add_f32 v[220:221], v[220:221], v[50:51] neg_lo:[0,1] neg_hi:[0,1]
	v_pk_add_f32 v[222:223], v[222:223], v[6:7] neg_lo:[0,1] neg_hi:[0,1]
	s_wait_dscnt 0x0
	v_pk_mul_f32 v[6:7], v[2:3], v[48:49] op_sel:[0,1]
	s_delay_alu instid0(VALU_DEP_1) | instskip(SKIP_1) | instid1(VALU_DEP_1)
	v_pk_fma_f32 v[50:51], v[2:3], v[46:47], v[6:7] op_sel:[0,0,1] op_sel_hi:[1,1,0] neg_lo:[0,0,1] neg_hi:[0,0,1]
	v_pk_fma_f32 v[2:3], v[2:3], v[46:47], v[6:7] op_sel:[0,0,1] op_sel_hi:[1,0,0]
	v_mov_b32_e32 v51, v3
	v_pk_mul_f32 v[2:3], v[4:5], v[48:49] op_sel:[0,1]
	s_delay_alu instid0(VALU_DEP_1) | instskip(SKIP_1) | instid1(VALU_DEP_1)
	v_pk_fma_f32 v[6:7], v[4:5], v[46:47], v[2:3] op_sel:[0,0,1] op_sel_hi:[1,1,0] neg_lo:[0,0,1] neg_hi:[0,0,1]
	v_pk_fma_f32 v[2:3], v[4:5], v[46:47], v[2:3] op_sel:[0,0,1] op_sel_hi:[1,0,0]
	v_mov_b32_e32 v7, v3
	ds_load_2addr_b64 v[2:5], v126 offset0:49 offset1:50
	v_pk_add_f32 v[224:225], v[224:225], v[50:51] neg_lo:[0,1] neg_hi:[0,1]
	v_pk_add_f32 v[226:227], v[226:227], v[6:7] neg_lo:[0,1] neg_hi:[0,1]
	s_wait_dscnt 0x0
	v_dual_mul_f32 v6, v3, v49 :: v_dual_mul_f32 v50, v3, v46
	s_delay_alu instid0(VALU_DEP_1) | instskip(NEXT) | instid1(VALU_DEP_2)
	v_pk_fma_f32 v[6:7], v[2:3], v[170:171], v[6:7] op_sel_hi:[1,1,0] neg_lo:[0,0,1] neg_hi:[0,0,1]
	v_pk_fma_f32 v[2:3], v[2:3], v[170:171], v[50:51] op_sel:[1,0,0] op_sel_hi:[0,1,0]
	s_delay_alu instid0(VALU_DEP_1) | instskip(SKIP_1) | instid1(VALU_DEP_2)
	v_mov_b32_e32 v7, v3
	v_pk_mul_f32 v[2:3], v[4:5], v[48:49] op_sel:[0,1]
	v_pk_add_f32 v[228:229], v[228:229], v[6:7] neg_lo:[0,1] neg_hi:[0,1]
	s_delay_alu instid0(VALU_DEP_2) | instskip(SKIP_1) | instid1(VALU_DEP_1)
	v_pk_fma_f32 v[6:7], v[4:5], v[46:47], v[2:3] op_sel:[0,0,1] op_sel_hi:[1,1,0] neg_lo:[0,0,1] neg_hi:[0,0,1]
	v_pk_fma_f32 v[2:3], v[4:5], v[46:47], v[2:3] op_sel:[0,0,1] op_sel_hi:[1,0,0]
	v_mov_b32_e32 v7, v3
	ds_load_2addr_b64 v[2:5], v126 offset0:51 offset1:52
	v_pk_add_f32 v[230:231], v[230:231], v[6:7] neg_lo:[0,1] neg_hi:[0,1]
	s_wait_dscnt 0x0
	v_pk_mul_f32 v[6:7], v[2:3], v[48:49] op_sel:[0,1]
	s_delay_alu instid0(VALU_DEP_1) | instskip(SKIP_1) | instid1(VALU_DEP_1)
	v_pk_fma_f32 v[50:51], v[2:3], v[46:47], v[6:7] op_sel:[0,0,1] op_sel_hi:[1,1,0] neg_lo:[0,0,1] neg_hi:[0,0,1]
	v_pk_fma_f32 v[2:3], v[2:3], v[46:47], v[6:7] op_sel:[0,0,1] op_sel_hi:[1,0,0]
	v_mov_b32_e32 v51, v3
	v_pk_mul_f32 v[2:3], v[4:5], v[48:49] op_sel:[0,1]
	s_delay_alu instid0(VALU_DEP_2) | instskip(NEXT) | instid1(VALU_DEP_2)
	v_pk_add_f32 v[232:233], v[232:233], v[50:51] neg_lo:[0,1] neg_hi:[0,1]
	v_pk_fma_f32 v[6:7], v[4:5], v[46:47], v[2:3] op_sel:[0,0,1] op_sel_hi:[1,1,0] neg_lo:[0,0,1] neg_hi:[0,0,1]
	v_pk_fma_f32 v[2:3], v[4:5], v[46:47], v[2:3] op_sel:[0,0,1] op_sel_hi:[1,0,0]
	s_delay_alu instid0(VALU_DEP_1) | instskip(SKIP_4) | instid1(VALU_DEP_1)
	v_mov_b32_e32 v7, v3
	ds_load_2addr_b64 v[2:5], v126 offset0:53 offset1:54
	v_pk_add_f32 v[234:235], v[234:235], v[6:7] neg_lo:[0,1] neg_hi:[0,1]
	s_wait_dscnt 0x0
	v_pk_mul_f32 v[6:7], v[2:3], v[48:49] op_sel:[0,1]
	v_pk_fma_f32 v[50:51], v[2:3], v[46:47], v[6:7] op_sel:[0,0,1] op_sel_hi:[1,1,0] neg_lo:[0,0,1] neg_hi:[0,0,1]
	v_pk_fma_f32 v[2:3], v[2:3], v[46:47], v[6:7] op_sel:[0,0,1] op_sel_hi:[1,0,0]
	v_dual_mul_f32 v6, v5, v49 :: v_dual_mov_b32 v2, v5
	s_delay_alu instid0(VALU_DEP_2) | instskip(NEXT) | instid1(VALU_DEP_2)
	v_dual_mov_b32 v51, v3 :: v_dual_mov_b32 v3, v4
	v_pk_fma_f32 v[6:7], v[4:5], v[170:171], v[6:7] op_sel_hi:[1,1,0] neg_lo:[0,0,1] neg_hi:[0,0,1]
	v_mul_f32_e32 v4, v5, v46
	s_delay_alu instid0(VALU_DEP_3) | instskip(NEXT) | instid1(VALU_DEP_2)
	v_pk_add_f32 v[236:237], v[236:237], v[50:51] neg_lo:[0,1] neg_hi:[0,1]
	v_pk_fma_f32 v[2:3], v[2:3], v[170:171], v[4:5] op_sel_hi:[1,1,0]
	s_delay_alu instid0(VALU_DEP_1) | instskip(SKIP_4) | instid1(VALU_DEP_1)
	v_mov_b32_e32 v7, v3
	ds_load_2addr_b64 v[2:5], v126 offset0:55 offset1:56
	v_pk_add_f32 v[238:239], v[238:239], v[6:7] neg_lo:[0,1] neg_hi:[0,1]
	s_wait_dscnt 0x0
	v_pk_mul_f32 v[6:7], v[2:3], v[48:49] op_sel:[0,1]
	v_pk_fma_f32 v[50:51], v[2:3], v[46:47], v[6:7] op_sel:[0,0,1] op_sel_hi:[1,1,0] neg_lo:[0,0,1] neg_hi:[0,0,1]
	v_pk_fma_f32 v[2:3], v[2:3], v[46:47], v[6:7] op_sel:[0,0,1] op_sel_hi:[1,0,0]
	s_delay_alu instid0(VALU_DEP_1) | instskip(SKIP_1) | instid1(VALU_DEP_1)
	v_mov_b32_e32 v51, v3
	v_pk_mul_f32 v[2:3], v[4:5], v[48:49] op_sel:[0,1]
	v_pk_fma_f32 v[6:7], v[4:5], v[46:47], v[2:3] op_sel:[0,0,1] op_sel_hi:[1,1,0] neg_lo:[0,0,1] neg_hi:[0,0,1]
	v_pk_fma_f32 v[2:3], v[4:5], v[46:47], v[2:3] op_sel:[0,0,1] op_sel_hi:[1,0,0]
	s_delay_alu instid0(VALU_DEP_1)
	v_mov_b32_e32 v7, v3
	ds_load_2addr_b64 v[2:5], v126 offset0:57 offset1:58
	v_pk_add_f32 v[240:241], v[240:241], v[50:51] neg_lo:[0,1] neg_hi:[0,1]
	v_pk_add_f32 v[252:253], v[252:253], v[6:7] neg_lo:[0,1] neg_hi:[0,1]
	s_wait_dscnt 0x0
	v_pk_mul_f32 v[6:7], v[2:3], v[48:49] op_sel:[0,1]
	s_delay_alu instid0(VALU_DEP_1) | instskip(SKIP_1) | instid1(VALU_DEP_1)
	v_pk_fma_f32 v[50:51], v[2:3], v[46:47], v[6:7] op_sel:[0,0,1] op_sel_hi:[1,1,0] neg_lo:[0,0,1] neg_hi:[0,0,1]
	v_pk_fma_f32 v[2:3], v[2:3], v[46:47], v[6:7] op_sel:[0,0,1] op_sel_hi:[1,0,0]
	v_mov_b32_e32 v51, v3
	v_pk_mul_f32 v[2:3], v[4:5], v[48:49] op_sel:[0,1]
	s_delay_alu instid0(VALU_DEP_1) | instskip(SKIP_1) | instid1(VALU_DEP_1)
	v_pk_fma_f32 v[6:7], v[4:5], v[46:47], v[2:3] op_sel:[0,0,1] op_sel_hi:[1,1,0] neg_lo:[0,0,1] neg_hi:[0,0,1]
	v_pk_fma_f32 v[2:3], v[4:5], v[46:47], v[2:3] op_sel:[0,0,1] op_sel_hi:[1,0,0]
	v_mov_b32_e32 v7, v3
	ds_load_2addr_b64 v[2:5], v126 offset0:59 offset1:60
	v_pk_add_f32 v[246:247], v[246:247], v[50:51] neg_lo:[0,1] neg_hi:[0,1]
	v_pk_add_f32 v[250:251], v[250:251], v[6:7] neg_lo:[0,1] neg_hi:[0,1]
	s_wait_dscnt 0x0
	v_dual_mul_f32 v6, v3, v49 :: v_dual_mul_f32 v50, v3, v46
	s_delay_alu instid0(VALU_DEP_1) | instskip(NEXT) | instid1(VALU_DEP_2)
	v_pk_fma_f32 v[6:7], v[2:3], v[170:171], v[6:7] op_sel_hi:[1,1,0] neg_lo:[0,0,1] neg_hi:[0,0,1]
	v_pk_fma_f32 v[2:3], v[2:3], v[170:171], v[50:51] op_sel:[1,0,0] op_sel_hi:[0,1,0]
	s_delay_alu instid0(VALU_DEP_1) | instskip(SKIP_1) | instid1(VALU_DEP_2)
	v_mov_b32_e32 v7, v3
	v_pk_mul_f32 v[2:3], v[4:5], v[48:49] op_sel:[0,1]
	v_pk_add_f32 v[244:245], v[244:245], v[6:7] neg_lo:[0,1] neg_hi:[0,1]
	s_delay_alu instid0(VALU_DEP_2) | instskip(SKIP_1) | instid1(VALU_DEP_1)
	v_pk_fma_f32 v[6:7], v[4:5], v[46:47], v[2:3] op_sel:[0,0,1] op_sel_hi:[1,1,0] neg_lo:[0,0,1] neg_hi:[0,0,1]
	v_pk_fma_f32 v[2:3], v[4:5], v[46:47], v[2:3] op_sel:[0,0,1] op_sel_hi:[1,0,0]
	v_mov_b32_e32 v7, v3
	ds_load_2addr_b64 v[2:5], v126 offset0:61 offset1:62
	v_pk_add_f32 v[248:249], v[248:249], v[6:7] neg_lo:[0,1] neg_hi:[0,1]
	s_wait_dscnt 0x0
	v_pk_mul_f32 v[6:7], v[2:3], v[48:49] op_sel:[0,1]
	s_delay_alu instid0(VALU_DEP_1) | instskip(SKIP_1) | instid1(VALU_DEP_1)
	v_pk_fma_f32 v[50:51], v[2:3], v[46:47], v[6:7] op_sel:[0,0,1] op_sel_hi:[1,1,0] neg_lo:[0,0,1] neg_hi:[0,0,1]
	v_pk_fma_f32 v[2:3], v[2:3], v[46:47], v[6:7] op_sel:[0,0,1] op_sel_hi:[1,0,0]
	v_mov_b32_e32 v51, v3
	v_pk_mul_f32 v[2:3], v[4:5], v[48:49] op_sel:[0,1]
	s_delay_alu instid0(VALU_DEP_2) | instskip(NEXT) | instid1(VALU_DEP_2)
	v_pk_add_f32 v[242:243], v[242:243], v[50:51] neg_lo:[0,1] neg_hi:[0,1]
	v_pk_fma_f32 v[6:7], v[4:5], v[46:47], v[2:3] op_sel:[0,0,1] op_sel_hi:[1,1,0] neg_lo:[0,0,1] neg_hi:[0,0,1]
	v_pk_fma_f32 v[2:3], v[4:5], v[46:47], v[2:3] op_sel:[0,0,1] op_sel_hi:[1,0,0]
	s_delay_alu instid0(VALU_DEP_1) | instskip(SKIP_4) | instid1(VALU_DEP_1)
	v_mov_b32_e32 v7, v3
	ds_load_b64 v[2:3], v126 offset:504
	v_pk_add_f32 v[254:255], v[254:255], v[6:7] neg_lo:[0,1] neg_hi:[0,1]
	s_wait_dscnt 0x0
	v_pk_mul_f32 v[4:5], v[2:3], v[48:49] op_sel:[0,1]
	v_pk_fma_f32 v[6:7], v[2:3], v[46:47], v[4:5] op_sel:[0,0,1] op_sel_hi:[1,1,0] neg_lo:[0,0,1] neg_hi:[0,0,1]
	v_pk_fma_f32 v[2:3], v[2:3], v[46:47], v[4:5] op_sel:[0,0,1] op_sel_hi:[1,0,0]
	s_delay_alu instid0(VALU_DEP_1) | instskip(NEXT) | instid1(VALU_DEP_1)
	v_mov_b32_e32 v7, v3
	v_pk_add_f32 v[0:1], v[0:1], v[6:7] neg_lo:[0,1] neg_hi:[0,1]
.LBB127_190:
	s_or_b32 exec_lo, exec_lo, s1
	s_delay_alu instid0(SALU_CYCLE_1)
	s_mov_b32 s2, exec_lo
	s_wait_dscnt 0x0
	s_barrier_signal -1
	s_barrier_wait -1
	v_cmpx_eq_u32_e32 21, v18
	s_cbranch_execz .LBB127_197
; %bb.191:
	v_dual_mov_b32 v2, v174 :: v_dual_mov_b32 v3, v175
	v_dual_mov_b32 v4, v176 :: v_dual_mov_b32 v5, v177
	ds_store_b64 v19, v[172:173]
	ds_store_2addr_b64 v126, v[2:3], v[4:5] offset0:22 offset1:23
	v_dual_mov_b32 v2, v178 :: v_dual_mov_b32 v3, v179
	v_dual_mov_b32 v4, v180 :: v_dual_mov_b32 v5, v181
	ds_store_2addr_b64 v126, v[2:3], v[4:5] offset0:24 offset1:25
	v_dual_mov_b32 v2, v182 :: v_dual_mov_b32 v3, v183
	v_dual_mov_b32 v4, v184 :: v_dual_mov_b32 v5, v185
	;; [unrolled: 3-line block ×19, first 2 shown]
	ds_store_2addr_b64 v126, v[2:3], v[4:5] offset0:60 offset1:61
	v_dual_mov_b32 v2, v254 :: v_dual_mov_b32 v3, v255
	ds_store_2addr_b64 v126, v[2:3], v[0:1] offset0:62 offset1:63
	ds_load_b64 v[2:3], v19
	s_wait_dscnt 0x0
	v_cmp_neq_f32_e32 vcc_lo, 0, v2
	v_cmp_neq_f32_e64 s1, 0, v3
	s_or_b32 s1, vcc_lo, s1
	s_delay_alu instid0(SALU_CYCLE_1)
	s_and_b32 exec_lo, exec_lo, s1
	s_cbranch_execz .LBB127_197
; %bb.192:
	v_cmp_ngt_f32_e64 s1, |v2|, |v3|
                                        ; implicit-def: $vgpr4_vgpr5
	s_and_saveexec_b32 s4, s1
	s_delay_alu instid0(SALU_CYCLE_1)
	s_xor_b32 s1, exec_lo, s4
	s_cbranch_execz .LBB127_194
; %bb.193:
	v_div_scale_f32 v4, null, v3, v3, v2
	v_div_scale_f32 v7, vcc_lo, v2, v3, v2
	s_delay_alu instid0(VALU_DEP_2) | instskip(SKIP_1) | instid1(TRANS32_DEP_1)
	v_rcp_f32_e32 v5, v4
	v_nop
	v_fma_f32 v6, -v4, v5, 1.0
	s_delay_alu instid0(VALU_DEP_1) | instskip(NEXT) | instid1(VALU_DEP_1)
	v_fmac_f32_e32 v5, v6, v5
	v_mul_f32_e32 v6, v7, v5
	s_delay_alu instid0(VALU_DEP_1) | instskip(NEXT) | instid1(VALU_DEP_1)
	v_fma_f32 v8, -v4, v6, v7
	v_fmac_f32_e32 v6, v8, v5
	s_delay_alu instid0(VALU_DEP_1) | instskip(NEXT) | instid1(VALU_DEP_1)
	v_fma_f32 v4, -v4, v6, v7
	v_div_fmas_f32 v4, v4, v5, v6
	s_delay_alu instid0(VALU_DEP_1) | instskip(NEXT) | instid1(VALU_DEP_1)
	v_div_fixup_f32 v4, v4, v3, v2
	v_fmac_f32_e32 v3, v2, v4
	s_delay_alu instid0(VALU_DEP_1) | instskip(SKIP_1) | instid1(VALU_DEP_2)
	v_div_scale_f32 v2, null, v3, v3, 1.0
	v_div_scale_f32 v7, vcc_lo, 1.0, v3, 1.0
	v_rcp_f32_e32 v5, v2
	v_nop
	s_delay_alu instid0(TRANS32_DEP_1) | instskip(NEXT) | instid1(VALU_DEP_1)
	v_fma_f32 v6, -v2, v5, 1.0
	v_fmac_f32_e32 v5, v6, v5
	s_delay_alu instid0(VALU_DEP_1) | instskip(NEXT) | instid1(VALU_DEP_1)
	v_mul_f32_e32 v6, v7, v5
	v_fma_f32 v8, -v2, v6, v7
	s_delay_alu instid0(VALU_DEP_1) | instskip(NEXT) | instid1(VALU_DEP_1)
	v_fmac_f32_e32 v6, v8, v5
	v_fma_f32 v2, -v2, v6, v7
	s_delay_alu instid0(VALU_DEP_1) | instskip(NEXT) | instid1(VALU_DEP_1)
	v_div_fmas_f32 v2, v2, v5, v6
	v_div_fixup_f32 v2, v2, v3, 1.0
	s_delay_alu instid0(VALU_DEP_1)
	v_mul_f32_e32 v4, v4, v2
	v_xor_b32_e32 v5, 0x80000000, v2
                                        ; implicit-def: $vgpr2_vgpr3
.LBB127_194:
	s_and_not1_saveexec_b32 s1, s1
	s_cbranch_execz .LBB127_196
; %bb.195:
	v_div_scale_f32 v4, null, v2, v2, v3
	v_div_scale_f32 v7, vcc_lo, v3, v2, v3
	s_delay_alu instid0(VALU_DEP_2) | instskip(SKIP_1) | instid1(TRANS32_DEP_1)
	v_rcp_f32_e32 v5, v4
	v_nop
	v_fma_f32 v6, -v4, v5, 1.0
	s_delay_alu instid0(VALU_DEP_1) | instskip(NEXT) | instid1(VALU_DEP_1)
	v_fmac_f32_e32 v5, v6, v5
	v_mul_f32_e32 v6, v7, v5
	s_delay_alu instid0(VALU_DEP_1) | instskip(NEXT) | instid1(VALU_DEP_1)
	v_fma_f32 v8, -v4, v6, v7
	v_fmac_f32_e32 v6, v8, v5
	s_delay_alu instid0(VALU_DEP_1) | instskip(NEXT) | instid1(VALU_DEP_1)
	v_fma_f32 v4, -v4, v6, v7
	v_div_fmas_f32 v4, v4, v5, v6
	s_delay_alu instid0(VALU_DEP_1) | instskip(NEXT) | instid1(VALU_DEP_1)
	v_div_fixup_f32 v5, v4, v2, v3
	v_fmac_f32_e32 v2, v3, v5
	s_delay_alu instid0(VALU_DEP_1) | instskip(NEXT) | instid1(VALU_DEP_1)
	v_div_scale_f32 v3, null, v2, v2, 1.0
	v_rcp_f32_e32 v4, v3
	v_nop
	s_delay_alu instid0(TRANS32_DEP_1) | instskip(NEXT) | instid1(VALU_DEP_1)
	v_fma_f32 v6, -v3, v4, 1.0
	v_fmac_f32_e32 v4, v6, v4
	v_div_scale_f32 v6, vcc_lo, 1.0, v2, 1.0
	s_delay_alu instid0(VALU_DEP_1) | instskip(NEXT) | instid1(VALU_DEP_1)
	v_mul_f32_e32 v7, v6, v4
	v_fma_f32 v8, -v3, v7, v6
	s_delay_alu instid0(VALU_DEP_1) | instskip(NEXT) | instid1(VALU_DEP_1)
	v_fmac_f32_e32 v7, v8, v4
	v_fma_f32 v3, -v3, v7, v6
	s_delay_alu instid0(VALU_DEP_1) | instskip(NEXT) | instid1(VALU_DEP_1)
	v_div_fmas_f32 v3, v3, v4, v7
	v_div_fixup_f32 v4, v3, v2, 1.0
	s_delay_alu instid0(VALU_DEP_1)
	v_mul_f32_e64 v5, v5, -v4
.LBB127_196:
	s_or_b32 exec_lo, exec_lo, s1
	ds_store_b64 v19, v[4:5]
.LBB127_197:
	s_or_b32 exec_lo, exec_lo, s2
	s_wait_dscnt 0x0
	s_barrier_signal -1
	s_barrier_wait -1
	ds_load_b64 v[46:47], v19
	s_mov_b32 s1, exec_lo
	v_cmpx_lt_u32_e32 21, v18
	s_cbranch_execz .LBB127_199
; %bb.198:
	s_wait_dscnt 0x0
	v_pk_mul_f32 v[2:3], v[46:47], v[172:173] op_sel:[1,1] op_sel_hi:[0,1]
	s_delay_alu instid0(VALU_DEP_1)
	v_pk_fma_f32 v[48:49], v[46:47], v[172:173], v[2:3] op_sel_hi:[1,0,1] neg_lo:[0,0,1] neg_hi:[0,0,1]
	v_pk_fma_f32 v[50:51], v[46:47], v[172:173], v[2:3] op_sel_hi:[1,0,1]
	ds_load_2addr_b64 v[2:5], v126 offset0:22 offset1:23
	v_dual_mov_b32 v172, v48 :: v_dual_mov_b32 v173, v51
	s_wait_dscnt 0x0
	v_pk_mul_f32 v[6:7], v[2:3], v[50:51] op_sel:[0,1]
	s_delay_alu instid0(VALU_DEP_1) | instskip(SKIP_1) | instid1(VALU_DEP_1)
	v_pk_fma_f32 v[52:53], v[2:3], v[48:49], v[6:7] op_sel:[0,0,1] op_sel_hi:[1,1,0] neg_lo:[0,0,1] neg_hi:[0,0,1]
	v_pk_fma_f32 v[2:3], v[2:3], v[48:49], v[6:7] op_sel:[0,0,1] op_sel_hi:[1,0,0]
	v_mov_b32_e32 v53, v3
	v_pk_mul_f32 v[2:3], v[4:5], v[50:51] op_sel:[0,1]
	s_delay_alu instid0(VALU_DEP_1) | instskip(SKIP_1) | instid1(VALU_DEP_1)
	v_pk_fma_f32 v[6:7], v[4:5], v[48:49], v[2:3] op_sel:[0,0,1] op_sel_hi:[1,1,0] neg_lo:[0,0,1] neg_hi:[0,0,1]
	v_pk_fma_f32 v[2:3], v[4:5], v[48:49], v[2:3] op_sel:[0,0,1] op_sel_hi:[1,0,0]
	v_mov_b32_e32 v7, v3
	ds_load_2addr_b64 v[2:5], v126 offset0:24 offset1:25
	v_pk_add_f32 v[174:175], v[174:175], v[52:53] neg_lo:[0,1] neg_hi:[0,1]
	v_pk_add_f32 v[176:177], v[176:177], v[6:7] neg_lo:[0,1] neg_hi:[0,1]
	s_wait_dscnt 0x0
	v_pk_mul_f32 v[6:7], v[2:3], v[50:51] op_sel:[0,1]
	s_delay_alu instid0(VALU_DEP_1) | instskip(SKIP_2) | instid1(VALU_DEP_2)
	v_pk_fma_f32 v[52:53], v[2:3], v[48:49], v[6:7] op_sel:[0,0,1] op_sel_hi:[1,1,0] neg_lo:[0,0,1] neg_hi:[0,0,1]
	v_pk_fma_f32 v[2:3], v[2:3], v[48:49], v[6:7] op_sel:[0,0,1] op_sel_hi:[1,0,0]
	v_dual_mul_f32 v6, v5, v51 :: v_dual_mov_b32 v2, v5
	v_dual_mov_b32 v53, v3 :: v_dual_mov_b32 v3, v4
	s_delay_alu instid0(VALU_DEP_2) | instskip(SKIP_1) | instid1(VALU_DEP_3)
	v_pk_fma_f32 v[6:7], v[4:5], v[172:173], v[6:7] op_sel_hi:[1,1,0] neg_lo:[0,0,1] neg_hi:[0,0,1]
	v_mul_f32_e32 v4, v5, v48
	v_pk_add_f32 v[178:179], v[178:179], v[52:53] neg_lo:[0,1] neg_hi:[0,1]
	s_delay_alu instid0(VALU_DEP_2) | instskip(NEXT) | instid1(VALU_DEP_1)
	v_pk_fma_f32 v[2:3], v[2:3], v[172:173], v[4:5] op_sel_hi:[1,1,0]
	v_mov_b32_e32 v7, v3
	ds_load_2addr_b64 v[2:5], v126 offset0:26 offset1:27
	v_pk_add_f32 v[180:181], v[180:181], v[6:7] neg_lo:[0,1] neg_hi:[0,1]
	s_wait_dscnt 0x0
	v_pk_mul_f32 v[6:7], v[2:3], v[50:51] op_sel:[0,1]
	s_delay_alu instid0(VALU_DEP_1) | instskip(SKIP_1) | instid1(VALU_DEP_1)
	v_pk_fma_f32 v[52:53], v[2:3], v[48:49], v[6:7] op_sel:[0,0,1] op_sel_hi:[1,1,0] neg_lo:[0,0,1] neg_hi:[0,0,1]
	v_pk_fma_f32 v[2:3], v[2:3], v[48:49], v[6:7] op_sel:[0,0,1] op_sel_hi:[1,0,0]
	v_mov_b32_e32 v53, v3
	v_pk_mul_f32 v[2:3], v[4:5], v[50:51] op_sel:[0,1]
	s_delay_alu instid0(VALU_DEP_1) | instskip(SKIP_1) | instid1(VALU_DEP_1)
	v_pk_fma_f32 v[6:7], v[4:5], v[48:49], v[2:3] op_sel:[0,0,1] op_sel_hi:[1,1,0] neg_lo:[0,0,1] neg_hi:[0,0,1]
	v_pk_fma_f32 v[2:3], v[4:5], v[48:49], v[2:3] op_sel:[0,0,1] op_sel_hi:[1,0,0]
	v_mov_b32_e32 v7, v3
	ds_load_2addr_b64 v[2:5], v126 offset0:28 offset1:29
	v_pk_add_f32 v[182:183], v[182:183], v[52:53] neg_lo:[0,1] neg_hi:[0,1]
	v_pk_add_f32 v[184:185], v[184:185], v[6:7] neg_lo:[0,1] neg_hi:[0,1]
	s_wait_dscnt 0x0
	v_pk_mul_f32 v[6:7], v[2:3], v[50:51] op_sel:[0,1]
	s_delay_alu instid0(VALU_DEP_1) | instskip(SKIP_1) | instid1(VALU_DEP_1)
	v_pk_fma_f32 v[52:53], v[2:3], v[48:49], v[6:7] op_sel:[0,0,1] op_sel_hi:[1,1,0] neg_lo:[0,0,1] neg_hi:[0,0,1]
	v_pk_fma_f32 v[2:3], v[2:3], v[48:49], v[6:7] op_sel:[0,0,1] op_sel_hi:[1,0,0]
	v_mov_b32_e32 v53, v3
	v_pk_mul_f32 v[2:3], v[4:5], v[50:51] op_sel:[0,1]
	s_delay_alu instid0(VALU_DEP_1) | instskip(SKIP_1) | instid1(VALU_DEP_1)
	v_pk_fma_f32 v[6:7], v[4:5], v[48:49], v[2:3] op_sel:[0,0,1] op_sel_hi:[1,1,0] neg_lo:[0,0,1] neg_hi:[0,0,1]
	v_pk_fma_f32 v[2:3], v[4:5], v[48:49], v[2:3] op_sel:[0,0,1] op_sel_hi:[1,0,0]
	v_mov_b32_e32 v7, v3
	ds_load_2addr_b64 v[2:5], v126 offset0:30 offset1:31
	v_pk_add_f32 v[186:187], v[186:187], v[52:53] neg_lo:[0,1] neg_hi:[0,1]
	v_pk_add_f32 v[188:189], v[188:189], v[6:7] neg_lo:[0,1] neg_hi:[0,1]
	s_wait_dscnt 0x0
	v_dual_mul_f32 v6, v3, v51 :: v_dual_mul_f32 v52, v3, v48
	s_delay_alu instid0(VALU_DEP_1) | instskip(NEXT) | instid1(VALU_DEP_2)
	v_pk_fma_f32 v[6:7], v[2:3], v[172:173], v[6:7] op_sel_hi:[1,1,0] neg_lo:[0,0,1] neg_hi:[0,0,1]
	v_pk_fma_f32 v[2:3], v[2:3], v[172:173], v[52:53] op_sel:[1,0,0] op_sel_hi:[0,1,0]
	s_delay_alu instid0(VALU_DEP_1) | instskip(SKIP_1) | instid1(VALU_DEP_2)
	v_mov_b32_e32 v7, v3
	v_pk_mul_f32 v[2:3], v[4:5], v[50:51] op_sel:[0,1]
	v_pk_add_f32 v[190:191], v[190:191], v[6:7] neg_lo:[0,1] neg_hi:[0,1]
	s_delay_alu instid0(VALU_DEP_2) | instskip(SKIP_1) | instid1(VALU_DEP_1)
	v_pk_fma_f32 v[6:7], v[4:5], v[48:49], v[2:3] op_sel:[0,0,1] op_sel_hi:[1,1,0] neg_lo:[0,0,1] neg_hi:[0,0,1]
	v_pk_fma_f32 v[2:3], v[4:5], v[48:49], v[2:3] op_sel:[0,0,1] op_sel_hi:[1,0,0]
	v_mov_b32_e32 v7, v3
	ds_load_2addr_b64 v[2:5], v126 offset0:32 offset1:33
	v_pk_add_f32 v[192:193], v[192:193], v[6:7] neg_lo:[0,1] neg_hi:[0,1]
	s_wait_dscnt 0x0
	v_pk_mul_f32 v[6:7], v[2:3], v[50:51] op_sel:[0,1]
	s_delay_alu instid0(VALU_DEP_1) | instskip(SKIP_1) | instid1(VALU_DEP_1)
	v_pk_fma_f32 v[52:53], v[2:3], v[48:49], v[6:7] op_sel:[0,0,1] op_sel_hi:[1,1,0] neg_lo:[0,0,1] neg_hi:[0,0,1]
	v_pk_fma_f32 v[2:3], v[2:3], v[48:49], v[6:7] op_sel:[0,0,1] op_sel_hi:[1,0,0]
	v_mov_b32_e32 v53, v3
	v_pk_mul_f32 v[2:3], v[4:5], v[50:51] op_sel:[0,1]
	s_delay_alu instid0(VALU_DEP_2) | instskip(NEXT) | instid1(VALU_DEP_2)
	v_pk_add_f32 v[194:195], v[194:195], v[52:53] neg_lo:[0,1] neg_hi:[0,1]
	v_pk_fma_f32 v[6:7], v[4:5], v[48:49], v[2:3] op_sel:[0,0,1] op_sel_hi:[1,1,0] neg_lo:[0,0,1] neg_hi:[0,0,1]
	v_pk_fma_f32 v[2:3], v[4:5], v[48:49], v[2:3] op_sel:[0,0,1] op_sel_hi:[1,0,0]
	s_delay_alu instid0(VALU_DEP_1) | instskip(SKIP_4) | instid1(VALU_DEP_1)
	v_mov_b32_e32 v7, v3
	ds_load_2addr_b64 v[2:5], v126 offset0:34 offset1:35
	v_pk_add_f32 v[196:197], v[196:197], v[6:7] neg_lo:[0,1] neg_hi:[0,1]
	s_wait_dscnt 0x0
	v_pk_mul_f32 v[6:7], v[2:3], v[50:51] op_sel:[0,1]
	v_pk_fma_f32 v[52:53], v[2:3], v[48:49], v[6:7] op_sel:[0,0,1] op_sel_hi:[1,1,0] neg_lo:[0,0,1] neg_hi:[0,0,1]
	v_pk_fma_f32 v[2:3], v[2:3], v[48:49], v[6:7] op_sel:[0,0,1] op_sel_hi:[1,0,0]
	v_dual_mul_f32 v6, v5, v51 :: v_dual_mov_b32 v2, v5
	s_delay_alu instid0(VALU_DEP_2) | instskip(NEXT) | instid1(VALU_DEP_2)
	v_dual_mov_b32 v53, v3 :: v_dual_mov_b32 v3, v4
	v_pk_fma_f32 v[6:7], v[4:5], v[172:173], v[6:7] op_sel_hi:[1,1,0] neg_lo:[0,0,1] neg_hi:[0,0,1]
	v_mul_f32_e32 v4, v5, v48
	s_delay_alu instid0(VALU_DEP_3) | instskip(NEXT) | instid1(VALU_DEP_2)
	v_pk_add_f32 v[198:199], v[198:199], v[52:53] neg_lo:[0,1] neg_hi:[0,1]
	v_pk_fma_f32 v[2:3], v[2:3], v[172:173], v[4:5] op_sel_hi:[1,1,0]
	s_delay_alu instid0(VALU_DEP_1) | instskip(SKIP_4) | instid1(VALU_DEP_1)
	v_mov_b32_e32 v7, v3
	ds_load_2addr_b64 v[2:5], v126 offset0:36 offset1:37
	v_pk_add_f32 v[200:201], v[200:201], v[6:7] neg_lo:[0,1] neg_hi:[0,1]
	s_wait_dscnt 0x0
	v_pk_mul_f32 v[6:7], v[2:3], v[50:51] op_sel:[0,1]
	v_pk_fma_f32 v[52:53], v[2:3], v[48:49], v[6:7] op_sel:[0,0,1] op_sel_hi:[1,1,0] neg_lo:[0,0,1] neg_hi:[0,0,1]
	v_pk_fma_f32 v[2:3], v[2:3], v[48:49], v[6:7] op_sel:[0,0,1] op_sel_hi:[1,0,0]
	s_delay_alu instid0(VALU_DEP_1) | instskip(SKIP_1) | instid1(VALU_DEP_1)
	v_mov_b32_e32 v53, v3
	v_pk_mul_f32 v[2:3], v[4:5], v[50:51] op_sel:[0,1]
	v_pk_fma_f32 v[6:7], v[4:5], v[48:49], v[2:3] op_sel:[0,0,1] op_sel_hi:[1,1,0] neg_lo:[0,0,1] neg_hi:[0,0,1]
	v_pk_fma_f32 v[2:3], v[4:5], v[48:49], v[2:3] op_sel:[0,0,1] op_sel_hi:[1,0,0]
	s_delay_alu instid0(VALU_DEP_1)
	v_mov_b32_e32 v7, v3
	ds_load_2addr_b64 v[2:5], v126 offset0:38 offset1:39
	v_pk_add_f32 v[202:203], v[202:203], v[52:53] neg_lo:[0,1] neg_hi:[0,1]
	v_pk_add_f32 v[204:205], v[204:205], v[6:7] neg_lo:[0,1] neg_hi:[0,1]
	s_wait_dscnt 0x0
	v_pk_mul_f32 v[6:7], v[2:3], v[50:51] op_sel:[0,1]
	s_delay_alu instid0(VALU_DEP_1) | instskip(SKIP_1) | instid1(VALU_DEP_1)
	v_pk_fma_f32 v[52:53], v[2:3], v[48:49], v[6:7] op_sel:[0,0,1] op_sel_hi:[1,1,0] neg_lo:[0,0,1] neg_hi:[0,0,1]
	v_pk_fma_f32 v[2:3], v[2:3], v[48:49], v[6:7] op_sel:[0,0,1] op_sel_hi:[1,0,0]
	v_mov_b32_e32 v53, v3
	v_pk_mul_f32 v[2:3], v[4:5], v[50:51] op_sel:[0,1]
	s_delay_alu instid0(VALU_DEP_1) | instskip(SKIP_1) | instid1(VALU_DEP_1)
	v_pk_fma_f32 v[6:7], v[4:5], v[48:49], v[2:3] op_sel:[0,0,1] op_sel_hi:[1,1,0] neg_lo:[0,0,1] neg_hi:[0,0,1]
	v_pk_fma_f32 v[2:3], v[4:5], v[48:49], v[2:3] op_sel:[0,0,1] op_sel_hi:[1,0,0]
	v_mov_b32_e32 v7, v3
	ds_load_2addr_b64 v[2:5], v126 offset0:40 offset1:41
	v_pk_add_f32 v[206:207], v[206:207], v[52:53] neg_lo:[0,1] neg_hi:[0,1]
	v_pk_add_f32 v[208:209], v[208:209], v[6:7] neg_lo:[0,1] neg_hi:[0,1]
	s_wait_dscnt 0x0
	v_dual_mul_f32 v6, v3, v51 :: v_dual_mul_f32 v52, v3, v48
	s_delay_alu instid0(VALU_DEP_1) | instskip(NEXT) | instid1(VALU_DEP_2)
	v_pk_fma_f32 v[6:7], v[2:3], v[172:173], v[6:7] op_sel_hi:[1,1,0] neg_lo:[0,0,1] neg_hi:[0,0,1]
	v_pk_fma_f32 v[2:3], v[2:3], v[172:173], v[52:53] op_sel:[1,0,0] op_sel_hi:[0,1,0]
	s_delay_alu instid0(VALU_DEP_1) | instskip(SKIP_1) | instid1(VALU_DEP_2)
	v_mov_b32_e32 v7, v3
	v_pk_mul_f32 v[2:3], v[4:5], v[50:51] op_sel:[0,1]
	v_pk_add_f32 v[210:211], v[210:211], v[6:7] neg_lo:[0,1] neg_hi:[0,1]
	s_delay_alu instid0(VALU_DEP_2) | instskip(SKIP_1) | instid1(VALU_DEP_1)
	v_pk_fma_f32 v[6:7], v[4:5], v[48:49], v[2:3] op_sel:[0,0,1] op_sel_hi:[1,1,0] neg_lo:[0,0,1] neg_hi:[0,0,1]
	v_pk_fma_f32 v[2:3], v[4:5], v[48:49], v[2:3] op_sel:[0,0,1] op_sel_hi:[1,0,0]
	v_mov_b32_e32 v7, v3
	ds_load_2addr_b64 v[2:5], v126 offset0:42 offset1:43
	v_pk_add_f32 v[212:213], v[212:213], v[6:7] neg_lo:[0,1] neg_hi:[0,1]
	s_wait_dscnt 0x0
	v_pk_mul_f32 v[6:7], v[2:3], v[50:51] op_sel:[0,1]
	s_delay_alu instid0(VALU_DEP_1) | instskip(SKIP_1) | instid1(VALU_DEP_1)
	v_pk_fma_f32 v[52:53], v[2:3], v[48:49], v[6:7] op_sel:[0,0,1] op_sel_hi:[1,1,0] neg_lo:[0,0,1] neg_hi:[0,0,1]
	v_pk_fma_f32 v[2:3], v[2:3], v[48:49], v[6:7] op_sel:[0,0,1] op_sel_hi:[1,0,0]
	v_mov_b32_e32 v53, v3
	v_pk_mul_f32 v[2:3], v[4:5], v[50:51] op_sel:[0,1]
	s_delay_alu instid0(VALU_DEP_2) | instskip(NEXT) | instid1(VALU_DEP_2)
	v_pk_add_f32 v[214:215], v[214:215], v[52:53] neg_lo:[0,1] neg_hi:[0,1]
	v_pk_fma_f32 v[6:7], v[4:5], v[48:49], v[2:3] op_sel:[0,0,1] op_sel_hi:[1,1,0] neg_lo:[0,0,1] neg_hi:[0,0,1]
	v_pk_fma_f32 v[2:3], v[4:5], v[48:49], v[2:3] op_sel:[0,0,1] op_sel_hi:[1,0,0]
	s_delay_alu instid0(VALU_DEP_1) | instskip(SKIP_4) | instid1(VALU_DEP_1)
	v_mov_b32_e32 v7, v3
	ds_load_2addr_b64 v[2:5], v126 offset0:44 offset1:45
	v_pk_add_f32 v[216:217], v[216:217], v[6:7] neg_lo:[0,1] neg_hi:[0,1]
	s_wait_dscnt 0x0
	v_pk_mul_f32 v[6:7], v[2:3], v[50:51] op_sel:[0,1]
	v_pk_fma_f32 v[52:53], v[2:3], v[48:49], v[6:7] op_sel:[0,0,1] op_sel_hi:[1,1,0] neg_lo:[0,0,1] neg_hi:[0,0,1]
	v_pk_fma_f32 v[2:3], v[2:3], v[48:49], v[6:7] op_sel:[0,0,1] op_sel_hi:[1,0,0]
	v_dual_mul_f32 v6, v5, v51 :: v_dual_mov_b32 v2, v5
	s_delay_alu instid0(VALU_DEP_2) | instskip(NEXT) | instid1(VALU_DEP_2)
	v_dual_mov_b32 v53, v3 :: v_dual_mov_b32 v3, v4
	v_pk_fma_f32 v[6:7], v[4:5], v[172:173], v[6:7] op_sel_hi:[1,1,0] neg_lo:[0,0,1] neg_hi:[0,0,1]
	v_mul_f32_e32 v4, v5, v48
	s_delay_alu instid0(VALU_DEP_3) | instskip(NEXT) | instid1(VALU_DEP_2)
	v_pk_add_f32 v[218:219], v[218:219], v[52:53] neg_lo:[0,1] neg_hi:[0,1]
	v_pk_fma_f32 v[2:3], v[2:3], v[172:173], v[4:5] op_sel_hi:[1,1,0]
	s_delay_alu instid0(VALU_DEP_1) | instskip(SKIP_4) | instid1(VALU_DEP_1)
	v_mov_b32_e32 v7, v3
	ds_load_2addr_b64 v[2:5], v126 offset0:46 offset1:47
	v_pk_add_f32 v[220:221], v[220:221], v[6:7] neg_lo:[0,1] neg_hi:[0,1]
	s_wait_dscnt 0x0
	v_pk_mul_f32 v[6:7], v[2:3], v[50:51] op_sel:[0,1]
	v_pk_fma_f32 v[52:53], v[2:3], v[48:49], v[6:7] op_sel:[0,0,1] op_sel_hi:[1,1,0] neg_lo:[0,0,1] neg_hi:[0,0,1]
	v_pk_fma_f32 v[2:3], v[2:3], v[48:49], v[6:7] op_sel:[0,0,1] op_sel_hi:[1,0,0]
	s_delay_alu instid0(VALU_DEP_1) | instskip(SKIP_1) | instid1(VALU_DEP_1)
	v_mov_b32_e32 v53, v3
	v_pk_mul_f32 v[2:3], v[4:5], v[50:51] op_sel:[0,1]
	v_pk_fma_f32 v[6:7], v[4:5], v[48:49], v[2:3] op_sel:[0,0,1] op_sel_hi:[1,1,0] neg_lo:[0,0,1] neg_hi:[0,0,1]
	v_pk_fma_f32 v[2:3], v[4:5], v[48:49], v[2:3] op_sel:[0,0,1] op_sel_hi:[1,0,0]
	s_delay_alu instid0(VALU_DEP_1)
	v_mov_b32_e32 v7, v3
	ds_load_2addr_b64 v[2:5], v126 offset0:48 offset1:49
	v_pk_add_f32 v[222:223], v[222:223], v[52:53] neg_lo:[0,1] neg_hi:[0,1]
	v_pk_add_f32 v[224:225], v[224:225], v[6:7] neg_lo:[0,1] neg_hi:[0,1]
	s_wait_dscnt 0x0
	v_pk_mul_f32 v[6:7], v[2:3], v[50:51] op_sel:[0,1]
	s_delay_alu instid0(VALU_DEP_1) | instskip(SKIP_1) | instid1(VALU_DEP_1)
	v_pk_fma_f32 v[52:53], v[2:3], v[48:49], v[6:7] op_sel:[0,0,1] op_sel_hi:[1,1,0] neg_lo:[0,0,1] neg_hi:[0,0,1]
	v_pk_fma_f32 v[2:3], v[2:3], v[48:49], v[6:7] op_sel:[0,0,1] op_sel_hi:[1,0,0]
	v_mov_b32_e32 v53, v3
	v_pk_mul_f32 v[2:3], v[4:5], v[50:51] op_sel:[0,1]
	s_delay_alu instid0(VALU_DEP_1) | instskip(SKIP_1) | instid1(VALU_DEP_1)
	v_pk_fma_f32 v[6:7], v[4:5], v[48:49], v[2:3] op_sel:[0,0,1] op_sel_hi:[1,1,0] neg_lo:[0,0,1] neg_hi:[0,0,1]
	v_pk_fma_f32 v[2:3], v[4:5], v[48:49], v[2:3] op_sel:[0,0,1] op_sel_hi:[1,0,0]
	v_mov_b32_e32 v7, v3
	ds_load_2addr_b64 v[2:5], v126 offset0:50 offset1:51
	v_pk_add_f32 v[226:227], v[226:227], v[52:53] neg_lo:[0,1] neg_hi:[0,1]
	v_pk_add_f32 v[228:229], v[228:229], v[6:7] neg_lo:[0,1] neg_hi:[0,1]
	s_wait_dscnt 0x0
	v_dual_mul_f32 v6, v3, v51 :: v_dual_mul_f32 v52, v3, v48
	s_delay_alu instid0(VALU_DEP_1) | instskip(NEXT) | instid1(VALU_DEP_2)
	v_pk_fma_f32 v[6:7], v[2:3], v[172:173], v[6:7] op_sel_hi:[1,1,0] neg_lo:[0,0,1] neg_hi:[0,0,1]
	v_pk_fma_f32 v[2:3], v[2:3], v[172:173], v[52:53] op_sel:[1,0,0] op_sel_hi:[0,1,0]
	s_delay_alu instid0(VALU_DEP_1) | instskip(SKIP_1) | instid1(VALU_DEP_2)
	v_mov_b32_e32 v7, v3
	v_pk_mul_f32 v[2:3], v[4:5], v[50:51] op_sel:[0,1]
	v_pk_add_f32 v[230:231], v[230:231], v[6:7] neg_lo:[0,1] neg_hi:[0,1]
	s_delay_alu instid0(VALU_DEP_2) | instskip(SKIP_1) | instid1(VALU_DEP_1)
	v_pk_fma_f32 v[6:7], v[4:5], v[48:49], v[2:3] op_sel:[0,0,1] op_sel_hi:[1,1,0] neg_lo:[0,0,1] neg_hi:[0,0,1]
	v_pk_fma_f32 v[2:3], v[4:5], v[48:49], v[2:3] op_sel:[0,0,1] op_sel_hi:[1,0,0]
	v_mov_b32_e32 v7, v3
	ds_load_2addr_b64 v[2:5], v126 offset0:52 offset1:53
	v_pk_add_f32 v[232:233], v[232:233], v[6:7] neg_lo:[0,1] neg_hi:[0,1]
	s_wait_dscnt 0x0
	v_pk_mul_f32 v[6:7], v[2:3], v[50:51] op_sel:[0,1]
	s_delay_alu instid0(VALU_DEP_1) | instskip(SKIP_1) | instid1(VALU_DEP_1)
	v_pk_fma_f32 v[52:53], v[2:3], v[48:49], v[6:7] op_sel:[0,0,1] op_sel_hi:[1,1,0] neg_lo:[0,0,1] neg_hi:[0,0,1]
	v_pk_fma_f32 v[2:3], v[2:3], v[48:49], v[6:7] op_sel:[0,0,1] op_sel_hi:[1,0,0]
	v_mov_b32_e32 v53, v3
	v_pk_mul_f32 v[2:3], v[4:5], v[50:51] op_sel:[0,1]
	s_delay_alu instid0(VALU_DEP_2) | instskip(NEXT) | instid1(VALU_DEP_2)
	v_pk_add_f32 v[234:235], v[234:235], v[52:53] neg_lo:[0,1] neg_hi:[0,1]
	v_pk_fma_f32 v[6:7], v[4:5], v[48:49], v[2:3] op_sel:[0,0,1] op_sel_hi:[1,1,0] neg_lo:[0,0,1] neg_hi:[0,0,1]
	v_pk_fma_f32 v[2:3], v[4:5], v[48:49], v[2:3] op_sel:[0,0,1] op_sel_hi:[1,0,0]
	s_delay_alu instid0(VALU_DEP_1) | instskip(SKIP_4) | instid1(VALU_DEP_1)
	v_mov_b32_e32 v7, v3
	ds_load_2addr_b64 v[2:5], v126 offset0:54 offset1:55
	v_pk_add_f32 v[236:237], v[236:237], v[6:7] neg_lo:[0,1] neg_hi:[0,1]
	s_wait_dscnt 0x0
	v_pk_mul_f32 v[6:7], v[2:3], v[50:51] op_sel:[0,1]
	v_pk_fma_f32 v[52:53], v[2:3], v[48:49], v[6:7] op_sel:[0,0,1] op_sel_hi:[1,1,0] neg_lo:[0,0,1] neg_hi:[0,0,1]
	v_pk_fma_f32 v[2:3], v[2:3], v[48:49], v[6:7] op_sel:[0,0,1] op_sel_hi:[1,0,0]
	v_dual_mul_f32 v6, v5, v51 :: v_dual_mov_b32 v2, v5
	s_delay_alu instid0(VALU_DEP_2) | instskip(NEXT) | instid1(VALU_DEP_2)
	v_dual_mov_b32 v53, v3 :: v_dual_mov_b32 v3, v4
	v_pk_fma_f32 v[6:7], v[4:5], v[172:173], v[6:7] op_sel_hi:[1,1,0] neg_lo:[0,0,1] neg_hi:[0,0,1]
	v_mul_f32_e32 v4, v5, v48
	s_delay_alu instid0(VALU_DEP_3) | instskip(NEXT) | instid1(VALU_DEP_2)
	v_pk_add_f32 v[238:239], v[238:239], v[52:53] neg_lo:[0,1] neg_hi:[0,1]
	v_pk_fma_f32 v[2:3], v[2:3], v[172:173], v[4:5] op_sel_hi:[1,1,0]
	s_delay_alu instid0(VALU_DEP_1) | instskip(SKIP_4) | instid1(VALU_DEP_1)
	v_mov_b32_e32 v7, v3
	ds_load_2addr_b64 v[2:5], v126 offset0:56 offset1:57
	v_pk_add_f32 v[240:241], v[240:241], v[6:7] neg_lo:[0,1] neg_hi:[0,1]
	s_wait_dscnt 0x0
	v_pk_mul_f32 v[6:7], v[2:3], v[50:51] op_sel:[0,1]
	v_pk_fma_f32 v[52:53], v[2:3], v[48:49], v[6:7] op_sel:[0,0,1] op_sel_hi:[1,1,0] neg_lo:[0,0,1] neg_hi:[0,0,1]
	v_pk_fma_f32 v[2:3], v[2:3], v[48:49], v[6:7] op_sel:[0,0,1] op_sel_hi:[1,0,0]
	s_delay_alu instid0(VALU_DEP_1) | instskip(SKIP_1) | instid1(VALU_DEP_1)
	v_mov_b32_e32 v53, v3
	v_pk_mul_f32 v[2:3], v[4:5], v[50:51] op_sel:[0,1]
	v_pk_fma_f32 v[6:7], v[4:5], v[48:49], v[2:3] op_sel:[0,0,1] op_sel_hi:[1,1,0] neg_lo:[0,0,1] neg_hi:[0,0,1]
	v_pk_fma_f32 v[2:3], v[4:5], v[48:49], v[2:3] op_sel:[0,0,1] op_sel_hi:[1,0,0]
	s_delay_alu instid0(VALU_DEP_1)
	v_mov_b32_e32 v7, v3
	ds_load_2addr_b64 v[2:5], v126 offset0:58 offset1:59
	v_pk_add_f32 v[252:253], v[252:253], v[52:53] neg_lo:[0,1] neg_hi:[0,1]
	v_pk_add_f32 v[246:247], v[246:247], v[6:7] neg_lo:[0,1] neg_hi:[0,1]
	s_wait_dscnt 0x0
	v_pk_mul_f32 v[6:7], v[2:3], v[50:51] op_sel:[0,1]
	s_delay_alu instid0(VALU_DEP_1) | instskip(SKIP_1) | instid1(VALU_DEP_1)
	v_pk_fma_f32 v[52:53], v[2:3], v[48:49], v[6:7] op_sel:[0,0,1] op_sel_hi:[1,1,0] neg_lo:[0,0,1] neg_hi:[0,0,1]
	v_pk_fma_f32 v[2:3], v[2:3], v[48:49], v[6:7] op_sel:[0,0,1] op_sel_hi:[1,0,0]
	v_mov_b32_e32 v53, v3
	v_pk_mul_f32 v[2:3], v[4:5], v[50:51] op_sel:[0,1]
	s_delay_alu instid0(VALU_DEP_1) | instskip(SKIP_1) | instid1(VALU_DEP_1)
	v_pk_fma_f32 v[6:7], v[4:5], v[48:49], v[2:3] op_sel:[0,0,1] op_sel_hi:[1,1,0] neg_lo:[0,0,1] neg_hi:[0,0,1]
	v_pk_fma_f32 v[2:3], v[4:5], v[48:49], v[2:3] op_sel:[0,0,1] op_sel_hi:[1,0,0]
	v_mov_b32_e32 v7, v3
	ds_load_2addr_b64 v[2:5], v126 offset0:60 offset1:61
	v_pk_add_f32 v[250:251], v[250:251], v[52:53] neg_lo:[0,1] neg_hi:[0,1]
	v_pk_add_f32 v[244:245], v[244:245], v[6:7] neg_lo:[0,1] neg_hi:[0,1]
	s_wait_dscnt 0x0
	v_dual_mul_f32 v6, v3, v51 :: v_dual_mul_f32 v52, v3, v48
	s_delay_alu instid0(VALU_DEP_1) | instskip(NEXT) | instid1(VALU_DEP_2)
	v_pk_fma_f32 v[6:7], v[2:3], v[172:173], v[6:7] op_sel_hi:[1,1,0] neg_lo:[0,0,1] neg_hi:[0,0,1]
	v_pk_fma_f32 v[2:3], v[2:3], v[172:173], v[52:53] op_sel:[1,0,0] op_sel_hi:[0,1,0]
	s_delay_alu instid0(VALU_DEP_1) | instskip(SKIP_1) | instid1(VALU_DEP_2)
	v_mov_b32_e32 v7, v3
	v_pk_mul_f32 v[2:3], v[4:5], v[50:51] op_sel:[0,1]
	v_pk_add_f32 v[248:249], v[248:249], v[6:7] neg_lo:[0,1] neg_hi:[0,1]
	s_delay_alu instid0(VALU_DEP_2) | instskip(SKIP_1) | instid1(VALU_DEP_1)
	v_pk_fma_f32 v[6:7], v[4:5], v[48:49], v[2:3] op_sel:[0,0,1] op_sel_hi:[1,1,0] neg_lo:[0,0,1] neg_hi:[0,0,1]
	v_pk_fma_f32 v[2:3], v[4:5], v[48:49], v[2:3] op_sel:[0,0,1] op_sel_hi:[1,0,0]
	v_mov_b32_e32 v7, v3
	ds_load_2addr_b64 v[2:5], v126 offset0:62 offset1:63
	v_pk_add_f32 v[242:243], v[242:243], v[6:7] neg_lo:[0,1] neg_hi:[0,1]
	s_wait_dscnt 0x0
	v_pk_mul_f32 v[6:7], v[2:3], v[50:51] op_sel:[0,1]
	s_delay_alu instid0(VALU_DEP_1) | instskip(SKIP_2) | instid1(VALU_DEP_2)
	v_pk_fma_f32 v[52:53], v[2:3], v[48:49], v[6:7] op_sel:[0,0,1] op_sel_hi:[1,1,0] neg_lo:[0,0,1] neg_hi:[0,0,1]
	v_pk_fma_f32 v[2:3], v[2:3], v[48:49], v[6:7] op_sel:[0,0,1] op_sel_hi:[1,0,0]
	v_dual_mul_f32 v6, v5, v51 :: v_dual_mov_b32 v2, v5
	v_dual_mov_b32 v53, v3 :: v_dual_mov_b32 v3, v4
	s_delay_alu instid0(VALU_DEP_2) | instskip(SKIP_1) | instid1(VALU_DEP_3)
	v_pk_fma_f32 v[6:7], v[4:5], v[172:173], v[6:7] op_sel_hi:[1,1,0] neg_lo:[0,0,1] neg_hi:[0,0,1]
	v_mul_f32_e32 v4, v5, v48
	v_pk_add_f32 v[254:255], v[254:255], v[52:53] neg_lo:[0,1] neg_hi:[0,1]
	s_delay_alu instid0(VALU_DEP_2) | instskip(NEXT) | instid1(VALU_DEP_1)
	v_pk_fma_f32 v[2:3], v[2:3], v[172:173], v[4:5] op_sel_hi:[1,1,0]
	v_mov_b32_e32 v7, v3
	s_delay_alu instid0(VALU_DEP_1)
	v_pk_add_f32 v[0:1], v[0:1], v[6:7] neg_lo:[0,1] neg_hi:[0,1]
.LBB127_199:
	s_or_b32 exec_lo, exec_lo, s1
	s_delay_alu instid0(SALU_CYCLE_1)
	s_mov_b32 s2, exec_lo
	s_wait_dscnt 0x0
	s_barrier_signal -1
	s_barrier_wait -1
	v_cmpx_eq_u32_e32 22, v18
	s_cbranch_execz .LBB127_206
; %bb.200:
	ds_store_b64 v19, v[174:175]
	ds_store_2addr_b64 v126, v[176:177], v[178:179] offset0:23 offset1:24
	ds_store_2addr_b64 v126, v[180:181], v[182:183] offset0:25 offset1:26
	;; [unrolled: 1-line block ×20, first 2 shown]
	ds_store_b64 v126, v[0:1] offset:504
	ds_load_b64 v[2:3], v19
	s_wait_dscnt 0x0
	v_cmp_neq_f32_e32 vcc_lo, 0, v2
	v_cmp_neq_f32_e64 s1, 0, v3
	s_or_b32 s1, vcc_lo, s1
	s_delay_alu instid0(SALU_CYCLE_1)
	s_and_b32 exec_lo, exec_lo, s1
	s_cbranch_execz .LBB127_206
; %bb.201:
	v_cmp_ngt_f32_e64 s1, |v2|, |v3|
                                        ; implicit-def: $vgpr4_vgpr5
	s_and_saveexec_b32 s4, s1
	s_delay_alu instid0(SALU_CYCLE_1)
	s_xor_b32 s1, exec_lo, s4
	s_cbranch_execz .LBB127_203
; %bb.202:
	v_div_scale_f32 v4, null, v3, v3, v2
	v_div_scale_f32 v7, vcc_lo, v2, v3, v2
	s_delay_alu instid0(VALU_DEP_2) | instskip(SKIP_1) | instid1(TRANS32_DEP_1)
	v_rcp_f32_e32 v5, v4
	v_nop
	v_fma_f32 v6, -v4, v5, 1.0
	s_delay_alu instid0(VALU_DEP_1) | instskip(NEXT) | instid1(VALU_DEP_1)
	v_fmac_f32_e32 v5, v6, v5
	v_mul_f32_e32 v6, v7, v5
	s_delay_alu instid0(VALU_DEP_1) | instskip(NEXT) | instid1(VALU_DEP_1)
	v_fma_f32 v8, -v4, v6, v7
	v_fmac_f32_e32 v6, v8, v5
	s_delay_alu instid0(VALU_DEP_1) | instskip(NEXT) | instid1(VALU_DEP_1)
	v_fma_f32 v4, -v4, v6, v7
	v_div_fmas_f32 v4, v4, v5, v6
	s_delay_alu instid0(VALU_DEP_1) | instskip(NEXT) | instid1(VALU_DEP_1)
	v_div_fixup_f32 v4, v4, v3, v2
	v_fmac_f32_e32 v3, v2, v4
	s_delay_alu instid0(VALU_DEP_1) | instskip(SKIP_1) | instid1(VALU_DEP_2)
	v_div_scale_f32 v2, null, v3, v3, 1.0
	v_div_scale_f32 v7, vcc_lo, 1.0, v3, 1.0
	v_rcp_f32_e32 v5, v2
	v_nop
	s_delay_alu instid0(TRANS32_DEP_1) | instskip(NEXT) | instid1(VALU_DEP_1)
	v_fma_f32 v6, -v2, v5, 1.0
	v_fmac_f32_e32 v5, v6, v5
	s_delay_alu instid0(VALU_DEP_1) | instskip(NEXT) | instid1(VALU_DEP_1)
	v_mul_f32_e32 v6, v7, v5
	v_fma_f32 v8, -v2, v6, v7
	s_delay_alu instid0(VALU_DEP_1) | instskip(NEXT) | instid1(VALU_DEP_1)
	v_fmac_f32_e32 v6, v8, v5
	v_fma_f32 v2, -v2, v6, v7
	s_delay_alu instid0(VALU_DEP_1) | instskip(NEXT) | instid1(VALU_DEP_1)
	v_div_fmas_f32 v2, v2, v5, v6
	v_div_fixup_f32 v2, v2, v3, 1.0
	s_delay_alu instid0(VALU_DEP_1)
	v_mul_f32_e32 v4, v4, v2
	v_xor_b32_e32 v5, 0x80000000, v2
                                        ; implicit-def: $vgpr2_vgpr3
.LBB127_203:
	s_and_not1_saveexec_b32 s1, s1
	s_cbranch_execz .LBB127_205
; %bb.204:
	v_div_scale_f32 v4, null, v2, v2, v3
	v_div_scale_f32 v7, vcc_lo, v3, v2, v3
	s_delay_alu instid0(VALU_DEP_2) | instskip(SKIP_1) | instid1(TRANS32_DEP_1)
	v_rcp_f32_e32 v5, v4
	v_nop
	v_fma_f32 v6, -v4, v5, 1.0
	s_delay_alu instid0(VALU_DEP_1) | instskip(NEXT) | instid1(VALU_DEP_1)
	v_fmac_f32_e32 v5, v6, v5
	v_mul_f32_e32 v6, v7, v5
	s_delay_alu instid0(VALU_DEP_1) | instskip(NEXT) | instid1(VALU_DEP_1)
	v_fma_f32 v8, -v4, v6, v7
	v_fmac_f32_e32 v6, v8, v5
	s_delay_alu instid0(VALU_DEP_1) | instskip(NEXT) | instid1(VALU_DEP_1)
	v_fma_f32 v4, -v4, v6, v7
	v_div_fmas_f32 v4, v4, v5, v6
	s_delay_alu instid0(VALU_DEP_1) | instskip(NEXT) | instid1(VALU_DEP_1)
	v_div_fixup_f32 v5, v4, v2, v3
	v_fmac_f32_e32 v2, v3, v5
	s_delay_alu instid0(VALU_DEP_1) | instskip(NEXT) | instid1(VALU_DEP_1)
	v_div_scale_f32 v3, null, v2, v2, 1.0
	v_rcp_f32_e32 v4, v3
	v_nop
	s_delay_alu instid0(TRANS32_DEP_1) | instskip(NEXT) | instid1(VALU_DEP_1)
	v_fma_f32 v6, -v3, v4, 1.0
	v_fmac_f32_e32 v4, v6, v4
	v_div_scale_f32 v6, vcc_lo, 1.0, v2, 1.0
	s_delay_alu instid0(VALU_DEP_1) | instskip(NEXT) | instid1(VALU_DEP_1)
	v_mul_f32_e32 v7, v6, v4
	v_fma_f32 v8, -v3, v7, v6
	s_delay_alu instid0(VALU_DEP_1) | instskip(NEXT) | instid1(VALU_DEP_1)
	v_fmac_f32_e32 v7, v8, v4
	v_fma_f32 v3, -v3, v7, v6
	s_delay_alu instid0(VALU_DEP_1) | instskip(NEXT) | instid1(VALU_DEP_1)
	v_div_fmas_f32 v3, v3, v4, v7
	v_div_fixup_f32 v4, v3, v2, 1.0
	s_delay_alu instid0(VALU_DEP_1)
	v_mul_f32_e64 v5, v5, -v4
.LBB127_205:
	s_or_b32 exec_lo, exec_lo, s1
	ds_store_b64 v19, v[4:5]
.LBB127_206:
	s_or_b32 exec_lo, exec_lo, s2
	s_wait_dscnt 0x0
	s_barrier_signal -1
	s_barrier_wait -1
	ds_load_b64 v[48:49], v19
	s_mov_b32 s1, exec_lo
	v_cmpx_lt_u32_e32 22, v18
	s_cbranch_execz .LBB127_208
; %bb.207:
	s_wait_dscnt 0x0
	v_pk_mul_f32 v[2:3], v[48:49], v[174:175] op_sel:[1,1] op_sel_hi:[0,1]
	s_delay_alu instid0(VALU_DEP_1)
	v_pk_fma_f32 v[50:51], v[48:49], v[174:175], v[2:3] op_sel_hi:[1,0,1] neg_lo:[0,0,1] neg_hi:[0,0,1]
	v_pk_fma_f32 v[52:53], v[48:49], v[174:175], v[2:3] op_sel_hi:[1,0,1]
	ds_load_2addr_b64 v[2:5], v126 offset0:23 offset1:24
	v_dual_mov_b32 v174, v50 :: v_dual_mov_b32 v175, v53
	s_wait_dscnt 0x0
	v_pk_mul_f32 v[6:7], v[2:3], v[52:53] op_sel:[0,1]
	s_delay_alu instid0(VALU_DEP_1) | instskip(SKIP_1) | instid1(VALU_DEP_1)
	v_pk_fma_f32 v[54:55], v[2:3], v[50:51], v[6:7] op_sel:[0,0,1] op_sel_hi:[1,1,0] neg_lo:[0,0,1] neg_hi:[0,0,1]
	v_pk_fma_f32 v[2:3], v[2:3], v[50:51], v[6:7] op_sel:[0,0,1] op_sel_hi:[1,0,0]
	v_mov_b32_e32 v55, v3
	v_pk_mul_f32 v[2:3], v[4:5], v[52:53] op_sel:[0,1]
	s_delay_alu instid0(VALU_DEP_1) | instskip(SKIP_1) | instid1(VALU_DEP_1)
	v_pk_fma_f32 v[6:7], v[4:5], v[50:51], v[2:3] op_sel:[0,0,1] op_sel_hi:[1,1,0] neg_lo:[0,0,1] neg_hi:[0,0,1]
	v_pk_fma_f32 v[2:3], v[4:5], v[50:51], v[2:3] op_sel:[0,0,1] op_sel_hi:[1,0,0]
	v_mov_b32_e32 v7, v3
	ds_load_2addr_b64 v[2:5], v126 offset0:25 offset1:26
	v_pk_add_f32 v[176:177], v[176:177], v[54:55] neg_lo:[0,1] neg_hi:[0,1]
	v_pk_add_f32 v[178:179], v[178:179], v[6:7] neg_lo:[0,1] neg_hi:[0,1]
	s_wait_dscnt 0x0
	v_pk_mul_f32 v[6:7], v[2:3], v[52:53] op_sel:[0,1]
	s_delay_alu instid0(VALU_DEP_1) | instskip(SKIP_2) | instid1(VALU_DEP_2)
	v_pk_fma_f32 v[54:55], v[2:3], v[50:51], v[6:7] op_sel:[0,0,1] op_sel_hi:[1,1,0] neg_lo:[0,0,1] neg_hi:[0,0,1]
	v_pk_fma_f32 v[2:3], v[2:3], v[50:51], v[6:7] op_sel:[0,0,1] op_sel_hi:[1,0,0]
	v_dual_mul_f32 v6, v5, v53 :: v_dual_mov_b32 v2, v5
	v_dual_mov_b32 v55, v3 :: v_dual_mov_b32 v3, v4
	s_delay_alu instid0(VALU_DEP_2) | instskip(SKIP_1) | instid1(VALU_DEP_3)
	v_pk_fma_f32 v[6:7], v[4:5], v[174:175], v[6:7] op_sel_hi:[1,1,0] neg_lo:[0,0,1] neg_hi:[0,0,1]
	v_mul_f32_e32 v4, v5, v50
	v_pk_add_f32 v[180:181], v[180:181], v[54:55] neg_lo:[0,1] neg_hi:[0,1]
	s_delay_alu instid0(VALU_DEP_2) | instskip(NEXT) | instid1(VALU_DEP_1)
	v_pk_fma_f32 v[2:3], v[2:3], v[174:175], v[4:5] op_sel_hi:[1,1,0]
	v_mov_b32_e32 v7, v3
	ds_load_2addr_b64 v[2:5], v126 offset0:27 offset1:28
	v_pk_add_f32 v[182:183], v[182:183], v[6:7] neg_lo:[0,1] neg_hi:[0,1]
	s_wait_dscnt 0x0
	v_pk_mul_f32 v[6:7], v[2:3], v[52:53] op_sel:[0,1]
	s_delay_alu instid0(VALU_DEP_1) | instskip(SKIP_1) | instid1(VALU_DEP_1)
	v_pk_fma_f32 v[54:55], v[2:3], v[50:51], v[6:7] op_sel:[0,0,1] op_sel_hi:[1,1,0] neg_lo:[0,0,1] neg_hi:[0,0,1]
	v_pk_fma_f32 v[2:3], v[2:3], v[50:51], v[6:7] op_sel:[0,0,1] op_sel_hi:[1,0,0]
	v_mov_b32_e32 v55, v3
	v_pk_mul_f32 v[2:3], v[4:5], v[52:53] op_sel:[0,1]
	s_delay_alu instid0(VALU_DEP_1) | instskip(SKIP_1) | instid1(VALU_DEP_1)
	v_pk_fma_f32 v[6:7], v[4:5], v[50:51], v[2:3] op_sel:[0,0,1] op_sel_hi:[1,1,0] neg_lo:[0,0,1] neg_hi:[0,0,1]
	v_pk_fma_f32 v[2:3], v[4:5], v[50:51], v[2:3] op_sel:[0,0,1] op_sel_hi:[1,0,0]
	v_mov_b32_e32 v7, v3
	ds_load_2addr_b64 v[2:5], v126 offset0:29 offset1:30
	v_pk_add_f32 v[184:185], v[184:185], v[54:55] neg_lo:[0,1] neg_hi:[0,1]
	v_pk_add_f32 v[186:187], v[186:187], v[6:7] neg_lo:[0,1] neg_hi:[0,1]
	s_wait_dscnt 0x0
	v_pk_mul_f32 v[6:7], v[2:3], v[52:53] op_sel:[0,1]
	s_delay_alu instid0(VALU_DEP_1) | instskip(SKIP_1) | instid1(VALU_DEP_1)
	v_pk_fma_f32 v[54:55], v[2:3], v[50:51], v[6:7] op_sel:[0,0,1] op_sel_hi:[1,1,0] neg_lo:[0,0,1] neg_hi:[0,0,1]
	v_pk_fma_f32 v[2:3], v[2:3], v[50:51], v[6:7] op_sel:[0,0,1] op_sel_hi:[1,0,0]
	v_mov_b32_e32 v55, v3
	v_pk_mul_f32 v[2:3], v[4:5], v[52:53] op_sel:[0,1]
	s_delay_alu instid0(VALU_DEP_1) | instskip(SKIP_1) | instid1(VALU_DEP_1)
	v_pk_fma_f32 v[6:7], v[4:5], v[50:51], v[2:3] op_sel:[0,0,1] op_sel_hi:[1,1,0] neg_lo:[0,0,1] neg_hi:[0,0,1]
	v_pk_fma_f32 v[2:3], v[4:5], v[50:51], v[2:3] op_sel:[0,0,1] op_sel_hi:[1,0,0]
	v_mov_b32_e32 v7, v3
	ds_load_2addr_b64 v[2:5], v126 offset0:31 offset1:32
	v_pk_add_f32 v[188:189], v[188:189], v[54:55] neg_lo:[0,1] neg_hi:[0,1]
	v_pk_add_f32 v[190:191], v[190:191], v[6:7] neg_lo:[0,1] neg_hi:[0,1]
	s_wait_dscnt 0x0
	v_dual_mul_f32 v6, v3, v53 :: v_dual_mul_f32 v54, v3, v50
	s_delay_alu instid0(VALU_DEP_1) | instskip(NEXT) | instid1(VALU_DEP_2)
	v_pk_fma_f32 v[6:7], v[2:3], v[174:175], v[6:7] op_sel_hi:[1,1,0] neg_lo:[0,0,1] neg_hi:[0,0,1]
	v_pk_fma_f32 v[2:3], v[2:3], v[174:175], v[54:55] op_sel:[1,0,0] op_sel_hi:[0,1,0]
	s_delay_alu instid0(VALU_DEP_1) | instskip(SKIP_1) | instid1(VALU_DEP_2)
	v_mov_b32_e32 v7, v3
	v_pk_mul_f32 v[2:3], v[4:5], v[52:53] op_sel:[0,1]
	v_pk_add_f32 v[192:193], v[192:193], v[6:7] neg_lo:[0,1] neg_hi:[0,1]
	s_delay_alu instid0(VALU_DEP_2) | instskip(SKIP_1) | instid1(VALU_DEP_1)
	v_pk_fma_f32 v[6:7], v[4:5], v[50:51], v[2:3] op_sel:[0,0,1] op_sel_hi:[1,1,0] neg_lo:[0,0,1] neg_hi:[0,0,1]
	v_pk_fma_f32 v[2:3], v[4:5], v[50:51], v[2:3] op_sel:[0,0,1] op_sel_hi:[1,0,0]
	v_mov_b32_e32 v7, v3
	ds_load_2addr_b64 v[2:5], v126 offset0:33 offset1:34
	v_pk_add_f32 v[194:195], v[194:195], v[6:7] neg_lo:[0,1] neg_hi:[0,1]
	s_wait_dscnt 0x0
	v_pk_mul_f32 v[6:7], v[2:3], v[52:53] op_sel:[0,1]
	s_delay_alu instid0(VALU_DEP_1) | instskip(SKIP_1) | instid1(VALU_DEP_1)
	v_pk_fma_f32 v[54:55], v[2:3], v[50:51], v[6:7] op_sel:[0,0,1] op_sel_hi:[1,1,0] neg_lo:[0,0,1] neg_hi:[0,0,1]
	v_pk_fma_f32 v[2:3], v[2:3], v[50:51], v[6:7] op_sel:[0,0,1] op_sel_hi:[1,0,0]
	v_mov_b32_e32 v55, v3
	v_pk_mul_f32 v[2:3], v[4:5], v[52:53] op_sel:[0,1]
	s_delay_alu instid0(VALU_DEP_2) | instskip(NEXT) | instid1(VALU_DEP_2)
	v_pk_add_f32 v[196:197], v[196:197], v[54:55] neg_lo:[0,1] neg_hi:[0,1]
	v_pk_fma_f32 v[6:7], v[4:5], v[50:51], v[2:3] op_sel:[0,0,1] op_sel_hi:[1,1,0] neg_lo:[0,0,1] neg_hi:[0,0,1]
	v_pk_fma_f32 v[2:3], v[4:5], v[50:51], v[2:3] op_sel:[0,0,1] op_sel_hi:[1,0,0]
	s_delay_alu instid0(VALU_DEP_1) | instskip(SKIP_4) | instid1(VALU_DEP_1)
	v_mov_b32_e32 v7, v3
	ds_load_2addr_b64 v[2:5], v126 offset0:35 offset1:36
	v_pk_add_f32 v[198:199], v[198:199], v[6:7] neg_lo:[0,1] neg_hi:[0,1]
	s_wait_dscnt 0x0
	v_pk_mul_f32 v[6:7], v[2:3], v[52:53] op_sel:[0,1]
	v_pk_fma_f32 v[54:55], v[2:3], v[50:51], v[6:7] op_sel:[0,0,1] op_sel_hi:[1,1,0] neg_lo:[0,0,1] neg_hi:[0,0,1]
	v_pk_fma_f32 v[2:3], v[2:3], v[50:51], v[6:7] op_sel:[0,0,1] op_sel_hi:[1,0,0]
	v_dual_mul_f32 v6, v5, v53 :: v_dual_mov_b32 v2, v5
	s_delay_alu instid0(VALU_DEP_2) | instskip(NEXT) | instid1(VALU_DEP_2)
	v_dual_mov_b32 v55, v3 :: v_dual_mov_b32 v3, v4
	v_pk_fma_f32 v[6:7], v[4:5], v[174:175], v[6:7] op_sel_hi:[1,1,0] neg_lo:[0,0,1] neg_hi:[0,0,1]
	v_mul_f32_e32 v4, v5, v50
	s_delay_alu instid0(VALU_DEP_3) | instskip(NEXT) | instid1(VALU_DEP_2)
	v_pk_add_f32 v[200:201], v[200:201], v[54:55] neg_lo:[0,1] neg_hi:[0,1]
	v_pk_fma_f32 v[2:3], v[2:3], v[174:175], v[4:5] op_sel_hi:[1,1,0]
	s_delay_alu instid0(VALU_DEP_1) | instskip(SKIP_4) | instid1(VALU_DEP_1)
	v_mov_b32_e32 v7, v3
	ds_load_2addr_b64 v[2:5], v126 offset0:37 offset1:38
	v_pk_add_f32 v[202:203], v[202:203], v[6:7] neg_lo:[0,1] neg_hi:[0,1]
	s_wait_dscnt 0x0
	v_pk_mul_f32 v[6:7], v[2:3], v[52:53] op_sel:[0,1]
	v_pk_fma_f32 v[54:55], v[2:3], v[50:51], v[6:7] op_sel:[0,0,1] op_sel_hi:[1,1,0] neg_lo:[0,0,1] neg_hi:[0,0,1]
	v_pk_fma_f32 v[2:3], v[2:3], v[50:51], v[6:7] op_sel:[0,0,1] op_sel_hi:[1,0,0]
	s_delay_alu instid0(VALU_DEP_1) | instskip(SKIP_1) | instid1(VALU_DEP_1)
	v_mov_b32_e32 v55, v3
	v_pk_mul_f32 v[2:3], v[4:5], v[52:53] op_sel:[0,1]
	v_pk_fma_f32 v[6:7], v[4:5], v[50:51], v[2:3] op_sel:[0,0,1] op_sel_hi:[1,1,0] neg_lo:[0,0,1] neg_hi:[0,0,1]
	v_pk_fma_f32 v[2:3], v[4:5], v[50:51], v[2:3] op_sel:[0,0,1] op_sel_hi:[1,0,0]
	s_delay_alu instid0(VALU_DEP_1)
	v_mov_b32_e32 v7, v3
	ds_load_2addr_b64 v[2:5], v126 offset0:39 offset1:40
	v_pk_add_f32 v[204:205], v[204:205], v[54:55] neg_lo:[0,1] neg_hi:[0,1]
	v_pk_add_f32 v[206:207], v[206:207], v[6:7] neg_lo:[0,1] neg_hi:[0,1]
	s_wait_dscnt 0x0
	v_pk_mul_f32 v[6:7], v[2:3], v[52:53] op_sel:[0,1]
	s_delay_alu instid0(VALU_DEP_1) | instskip(SKIP_1) | instid1(VALU_DEP_1)
	v_pk_fma_f32 v[54:55], v[2:3], v[50:51], v[6:7] op_sel:[0,0,1] op_sel_hi:[1,1,0] neg_lo:[0,0,1] neg_hi:[0,0,1]
	v_pk_fma_f32 v[2:3], v[2:3], v[50:51], v[6:7] op_sel:[0,0,1] op_sel_hi:[1,0,0]
	v_mov_b32_e32 v55, v3
	v_pk_mul_f32 v[2:3], v[4:5], v[52:53] op_sel:[0,1]
	s_delay_alu instid0(VALU_DEP_1) | instskip(SKIP_1) | instid1(VALU_DEP_1)
	v_pk_fma_f32 v[6:7], v[4:5], v[50:51], v[2:3] op_sel:[0,0,1] op_sel_hi:[1,1,0] neg_lo:[0,0,1] neg_hi:[0,0,1]
	v_pk_fma_f32 v[2:3], v[4:5], v[50:51], v[2:3] op_sel:[0,0,1] op_sel_hi:[1,0,0]
	v_mov_b32_e32 v7, v3
	ds_load_2addr_b64 v[2:5], v126 offset0:41 offset1:42
	v_pk_add_f32 v[208:209], v[208:209], v[54:55] neg_lo:[0,1] neg_hi:[0,1]
	v_pk_add_f32 v[210:211], v[210:211], v[6:7] neg_lo:[0,1] neg_hi:[0,1]
	s_wait_dscnt 0x0
	v_dual_mul_f32 v6, v3, v53 :: v_dual_mul_f32 v54, v3, v50
	s_delay_alu instid0(VALU_DEP_1) | instskip(NEXT) | instid1(VALU_DEP_2)
	v_pk_fma_f32 v[6:7], v[2:3], v[174:175], v[6:7] op_sel_hi:[1,1,0] neg_lo:[0,0,1] neg_hi:[0,0,1]
	v_pk_fma_f32 v[2:3], v[2:3], v[174:175], v[54:55] op_sel:[1,0,0] op_sel_hi:[0,1,0]
	s_delay_alu instid0(VALU_DEP_1) | instskip(SKIP_1) | instid1(VALU_DEP_2)
	v_mov_b32_e32 v7, v3
	v_pk_mul_f32 v[2:3], v[4:5], v[52:53] op_sel:[0,1]
	v_pk_add_f32 v[212:213], v[212:213], v[6:7] neg_lo:[0,1] neg_hi:[0,1]
	s_delay_alu instid0(VALU_DEP_2) | instskip(SKIP_1) | instid1(VALU_DEP_1)
	v_pk_fma_f32 v[6:7], v[4:5], v[50:51], v[2:3] op_sel:[0,0,1] op_sel_hi:[1,1,0] neg_lo:[0,0,1] neg_hi:[0,0,1]
	v_pk_fma_f32 v[2:3], v[4:5], v[50:51], v[2:3] op_sel:[0,0,1] op_sel_hi:[1,0,0]
	v_mov_b32_e32 v7, v3
	ds_load_2addr_b64 v[2:5], v126 offset0:43 offset1:44
	v_pk_add_f32 v[214:215], v[214:215], v[6:7] neg_lo:[0,1] neg_hi:[0,1]
	s_wait_dscnt 0x0
	v_pk_mul_f32 v[6:7], v[2:3], v[52:53] op_sel:[0,1]
	s_delay_alu instid0(VALU_DEP_1) | instskip(SKIP_1) | instid1(VALU_DEP_1)
	v_pk_fma_f32 v[54:55], v[2:3], v[50:51], v[6:7] op_sel:[0,0,1] op_sel_hi:[1,1,0] neg_lo:[0,0,1] neg_hi:[0,0,1]
	v_pk_fma_f32 v[2:3], v[2:3], v[50:51], v[6:7] op_sel:[0,0,1] op_sel_hi:[1,0,0]
	v_mov_b32_e32 v55, v3
	v_pk_mul_f32 v[2:3], v[4:5], v[52:53] op_sel:[0,1]
	s_delay_alu instid0(VALU_DEP_2) | instskip(NEXT) | instid1(VALU_DEP_2)
	v_pk_add_f32 v[216:217], v[216:217], v[54:55] neg_lo:[0,1] neg_hi:[0,1]
	v_pk_fma_f32 v[6:7], v[4:5], v[50:51], v[2:3] op_sel:[0,0,1] op_sel_hi:[1,1,0] neg_lo:[0,0,1] neg_hi:[0,0,1]
	v_pk_fma_f32 v[2:3], v[4:5], v[50:51], v[2:3] op_sel:[0,0,1] op_sel_hi:[1,0,0]
	s_delay_alu instid0(VALU_DEP_1) | instskip(SKIP_4) | instid1(VALU_DEP_1)
	v_mov_b32_e32 v7, v3
	ds_load_2addr_b64 v[2:5], v126 offset0:45 offset1:46
	v_pk_add_f32 v[218:219], v[218:219], v[6:7] neg_lo:[0,1] neg_hi:[0,1]
	s_wait_dscnt 0x0
	v_pk_mul_f32 v[6:7], v[2:3], v[52:53] op_sel:[0,1]
	v_pk_fma_f32 v[54:55], v[2:3], v[50:51], v[6:7] op_sel:[0,0,1] op_sel_hi:[1,1,0] neg_lo:[0,0,1] neg_hi:[0,0,1]
	v_pk_fma_f32 v[2:3], v[2:3], v[50:51], v[6:7] op_sel:[0,0,1] op_sel_hi:[1,0,0]
	v_dual_mul_f32 v6, v5, v53 :: v_dual_mov_b32 v2, v5
	s_delay_alu instid0(VALU_DEP_2) | instskip(NEXT) | instid1(VALU_DEP_2)
	v_dual_mov_b32 v55, v3 :: v_dual_mov_b32 v3, v4
	v_pk_fma_f32 v[6:7], v[4:5], v[174:175], v[6:7] op_sel_hi:[1,1,0] neg_lo:[0,0,1] neg_hi:[0,0,1]
	v_mul_f32_e32 v4, v5, v50
	s_delay_alu instid0(VALU_DEP_3) | instskip(NEXT) | instid1(VALU_DEP_2)
	v_pk_add_f32 v[220:221], v[220:221], v[54:55] neg_lo:[0,1] neg_hi:[0,1]
	v_pk_fma_f32 v[2:3], v[2:3], v[174:175], v[4:5] op_sel_hi:[1,1,0]
	s_delay_alu instid0(VALU_DEP_1) | instskip(SKIP_4) | instid1(VALU_DEP_1)
	v_mov_b32_e32 v7, v3
	ds_load_2addr_b64 v[2:5], v126 offset0:47 offset1:48
	v_pk_add_f32 v[222:223], v[222:223], v[6:7] neg_lo:[0,1] neg_hi:[0,1]
	s_wait_dscnt 0x0
	v_pk_mul_f32 v[6:7], v[2:3], v[52:53] op_sel:[0,1]
	v_pk_fma_f32 v[54:55], v[2:3], v[50:51], v[6:7] op_sel:[0,0,1] op_sel_hi:[1,1,0] neg_lo:[0,0,1] neg_hi:[0,0,1]
	v_pk_fma_f32 v[2:3], v[2:3], v[50:51], v[6:7] op_sel:[0,0,1] op_sel_hi:[1,0,0]
	s_delay_alu instid0(VALU_DEP_1) | instskip(SKIP_1) | instid1(VALU_DEP_1)
	v_mov_b32_e32 v55, v3
	v_pk_mul_f32 v[2:3], v[4:5], v[52:53] op_sel:[0,1]
	v_pk_fma_f32 v[6:7], v[4:5], v[50:51], v[2:3] op_sel:[0,0,1] op_sel_hi:[1,1,0] neg_lo:[0,0,1] neg_hi:[0,0,1]
	v_pk_fma_f32 v[2:3], v[4:5], v[50:51], v[2:3] op_sel:[0,0,1] op_sel_hi:[1,0,0]
	s_delay_alu instid0(VALU_DEP_1)
	v_mov_b32_e32 v7, v3
	ds_load_2addr_b64 v[2:5], v126 offset0:49 offset1:50
	v_pk_add_f32 v[224:225], v[224:225], v[54:55] neg_lo:[0,1] neg_hi:[0,1]
	v_pk_add_f32 v[226:227], v[226:227], v[6:7] neg_lo:[0,1] neg_hi:[0,1]
	s_wait_dscnt 0x0
	v_pk_mul_f32 v[6:7], v[2:3], v[52:53] op_sel:[0,1]
	s_delay_alu instid0(VALU_DEP_1) | instskip(SKIP_1) | instid1(VALU_DEP_1)
	v_pk_fma_f32 v[54:55], v[2:3], v[50:51], v[6:7] op_sel:[0,0,1] op_sel_hi:[1,1,0] neg_lo:[0,0,1] neg_hi:[0,0,1]
	v_pk_fma_f32 v[2:3], v[2:3], v[50:51], v[6:7] op_sel:[0,0,1] op_sel_hi:[1,0,0]
	v_mov_b32_e32 v55, v3
	v_pk_mul_f32 v[2:3], v[4:5], v[52:53] op_sel:[0,1]
	s_delay_alu instid0(VALU_DEP_1) | instskip(SKIP_1) | instid1(VALU_DEP_1)
	v_pk_fma_f32 v[6:7], v[4:5], v[50:51], v[2:3] op_sel:[0,0,1] op_sel_hi:[1,1,0] neg_lo:[0,0,1] neg_hi:[0,0,1]
	v_pk_fma_f32 v[2:3], v[4:5], v[50:51], v[2:3] op_sel:[0,0,1] op_sel_hi:[1,0,0]
	v_mov_b32_e32 v7, v3
	ds_load_2addr_b64 v[2:5], v126 offset0:51 offset1:52
	v_pk_add_f32 v[228:229], v[228:229], v[54:55] neg_lo:[0,1] neg_hi:[0,1]
	v_pk_add_f32 v[230:231], v[230:231], v[6:7] neg_lo:[0,1] neg_hi:[0,1]
	s_wait_dscnt 0x0
	v_dual_mul_f32 v6, v3, v53 :: v_dual_mul_f32 v54, v3, v50
	s_delay_alu instid0(VALU_DEP_1) | instskip(NEXT) | instid1(VALU_DEP_2)
	v_pk_fma_f32 v[6:7], v[2:3], v[174:175], v[6:7] op_sel_hi:[1,1,0] neg_lo:[0,0,1] neg_hi:[0,0,1]
	v_pk_fma_f32 v[2:3], v[2:3], v[174:175], v[54:55] op_sel:[1,0,0] op_sel_hi:[0,1,0]
	s_delay_alu instid0(VALU_DEP_1) | instskip(SKIP_1) | instid1(VALU_DEP_2)
	v_mov_b32_e32 v7, v3
	v_pk_mul_f32 v[2:3], v[4:5], v[52:53] op_sel:[0,1]
	v_pk_add_f32 v[232:233], v[232:233], v[6:7] neg_lo:[0,1] neg_hi:[0,1]
	s_delay_alu instid0(VALU_DEP_2) | instskip(SKIP_1) | instid1(VALU_DEP_1)
	v_pk_fma_f32 v[6:7], v[4:5], v[50:51], v[2:3] op_sel:[0,0,1] op_sel_hi:[1,1,0] neg_lo:[0,0,1] neg_hi:[0,0,1]
	v_pk_fma_f32 v[2:3], v[4:5], v[50:51], v[2:3] op_sel:[0,0,1] op_sel_hi:[1,0,0]
	v_mov_b32_e32 v7, v3
	ds_load_2addr_b64 v[2:5], v126 offset0:53 offset1:54
	v_pk_add_f32 v[234:235], v[234:235], v[6:7] neg_lo:[0,1] neg_hi:[0,1]
	s_wait_dscnt 0x0
	v_pk_mul_f32 v[6:7], v[2:3], v[52:53] op_sel:[0,1]
	s_delay_alu instid0(VALU_DEP_1) | instskip(SKIP_1) | instid1(VALU_DEP_1)
	v_pk_fma_f32 v[54:55], v[2:3], v[50:51], v[6:7] op_sel:[0,0,1] op_sel_hi:[1,1,0] neg_lo:[0,0,1] neg_hi:[0,0,1]
	v_pk_fma_f32 v[2:3], v[2:3], v[50:51], v[6:7] op_sel:[0,0,1] op_sel_hi:[1,0,0]
	v_mov_b32_e32 v55, v3
	v_pk_mul_f32 v[2:3], v[4:5], v[52:53] op_sel:[0,1]
	s_delay_alu instid0(VALU_DEP_2) | instskip(NEXT) | instid1(VALU_DEP_2)
	v_pk_add_f32 v[236:237], v[236:237], v[54:55] neg_lo:[0,1] neg_hi:[0,1]
	v_pk_fma_f32 v[6:7], v[4:5], v[50:51], v[2:3] op_sel:[0,0,1] op_sel_hi:[1,1,0] neg_lo:[0,0,1] neg_hi:[0,0,1]
	v_pk_fma_f32 v[2:3], v[4:5], v[50:51], v[2:3] op_sel:[0,0,1] op_sel_hi:[1,0,0]
	s_delay_alu instid0(VALU_DEP_1) | instskip(SKIP_4) | instid1(VALU_DEP_1)
	v_mov_b32_e32 v7, v3
	ds_load_2addr_b64 v[2:5], v126 offset0:55 offset1:56
	v_pk_add_f32 v[238:239], v[238:239], v[6:7] neg_lo:[0,1] neg_hi:[0,1]
	s_wait_dscnt 0x0
	v_pk_mul_f32 v[6:7], v[2:3], v[52:53] op_sel:[0,1]
	v_pk_fma_f32 v[54:55], v[2:3], v[50:51], v[6:7] op_sel:[0,0,1] op_sel_hi:[1,1,0] neg_lo:[0,0,1] neg_hi:[0,0,1]
	v_pk_fma_f32 v[2:3], v[2:3], v[50:51], v[6:7] op_sel:[0,0,1] op_sel_hi:[1,0,0]
	v_dual_mul_f32 v6, v5, v53 :: v_dual_mov_b32 v2, v5
	s_delay_alu instid0(VALU_DEP_2) | instskip(NEXT) | instid1(VALU_DEP_2)
	v_dual_mov_b32 v55, v3 :: v_dual_mov_b32 v3, v4
	v_pk_fma_f32 v[6:7], v[4:5], v[174:175], v[6:7] op_sel_hi:[1,1,0] neg_lo:[0,0,1] neg_hi:[0,0,1]
	v_mul_f32_e32 v4, v5, v50
	s_delay_alu instid0(VALU_DEP_3) | instskip(NEXT) | instid1(VALU_DEP_2)
	v_pk_add_f32 v[240:241], v[240:241], v[54:55] neg_lo:[0,1] neg_hi:[0,1]
	v_pk_fma_f32 v[2:3], v[2:3], v[174:175], v[4:5] op_sel_hi:[1,1,0]
	s_delay_alu instid0(VALU_DEP_1) | instskip(SKIP_4) | instid1(VALU_DEP_1)
	v_mov_b32_e32 v7, v3
	ds_load_2addr_b64 v[2:5], v126 offset0:57 offset1:58
	v_pk_add_f32 v[252:253], v[252:253], v[6:7] neg_lo:[0,1] neg_hi:[0,1]
	s_wait_dscnt 0x0
	v_pk_mul_f32 v[6:7], v[2:3], v[52:53] op_sel:[0,1]
	v_pk_fma_f32 v[54:55], v[2:3], v[50:51], v[6:7] op_sel:[0,0,1] op_sel_hi:[1,1,0] neg_lo:[0,0,1] neg_hi:[0,0,1]
	v_pk_fma_f32 v[2:3], v[2:3], v[50:51], v[6:7] op_sel:[0,0,1] op_sel_hi:[1,0,0]
	s_delay_alu instid0(VALU_DEP_1) | instskip(SKIP_1) | instid1(VALU_DEP_1)
	v_mov_b32_e32 v55, v3
	v_pk_mul_f32 v[2:3], v[4:5], v[52:53] op_sel:[0,1]
	v_pk_fma_f32 v[6:7], v[4:5], v[50:51], v[2:3] op_sel:[0,0,1] op_sel_hi:[1,1,0] neg_lo:[0,0,1] neg_hi:[0,0,1]
	v_pk_fma_f32 v[2:3], v[4:5], v[50:51], v[2:3] op_sel:[0,0,1] op_sel_hi:[1,0,0]
	s_delay_alu instid0(VALU_DEP_1)
	v_mov_b32_e32 v7, v3
	ds_load_2addr_b64 v[2:5], v126 offset0:59 offset1:60
	v_pk_add_f32 v[246:247], v[246:247], v[54:55] neg_lo:[0,1] neg_hi:[0,1]
	v_pk_add_f32 v[250:251], v[250:251], v[6:7] neg_lo:[0,1] neg_hi:[0,1]
	s_wait_dscnt 0x0
	v_pk_mul_f32 v[6:7], v[2:3], v[52:53] op_sel:[0,1]
	s_delay_alu instid0(VALU_DEP_1) | instskip(SKIP_1) | instid1(VALU_DEP_1)
	v_pk_fma_f32 v[54:55], v[2:3], v[50:51], v[6:7] op_sel:[0,0,1] op_sel_hi:[1,1,0] neg_lo:[0,0,1] neg_hi:[0,0,1]
	v_pk_fma_f32 v[2:3], v[2:3], v[50:51], v[6:7] op_sel:[0,0,1] op_sel_hi:[1,0,0]
	v_mov_b32_e32 v55, v3
	v_pk_mul_f32 v[2:3], v[4:5], v[52:53] op_sel:[0,1]
	s_delay_alu instid0(VALU_DEP_1) | instskip(SKIP_1) | instid1(VALU_DEP_1)
	v_pk_fma_f32 v[6:7], v[4:5], v[50:51], v[2:3] op_sel:[0,0,1] op_sel_hi:[1,1,0] neg_lo:[0,0,1] neg_hi:[0,0,1]
	v_pk_fma_f32 v[2:3], v[4:5], v[50:51], v[2:3] op_sel:[0,0,1] op_sel_hi:[1,0,0]
	v_mov_b32_e32 v7, v3
	ds_load_2addr_b64 v[2:5], v126 offset0:61 offset1:62
	v_pk_add_f32 v[244:245], v[244:245], v[54:55] neg_lo:[0,1] neg_hi:[0,1]
	v_pk_add_f32 v[248:249], v[248:249], v[6:7] neg_lo:[0,1] neg_hi:[0,1]
	s_wait_dscnt 0x0
	v_dual_mul_f32 v6, v3, v53 :: v_dual_mul_f32 v54, v3, v50
	s_delay_alu instid0(VALU_DEP_1) | instskip(NEXT) | instid1(VALU_DEP_2)
	v_pk_fma_f32 v[6:7], v[2:3], v[174:175], v[6:7] op_sel_hi:[1,1,0] neg_lo:[0,0,1] neg_hi:[0,0,1]
	v_pk_fma_f32 v[2:3], v[2:3], v[174:175], v[54:55] op_sel:[1,0,0] op_sel_hi:[0,1,0]
	s_delay_alu instid0(VALU_DEP_1) | instskip(SKIP_1) | instid1(VALU_DEP_2)
	v_mov_b32_e32 v7, v3
	v_pk_mul_f32 v[2:3], v[4:5], v[52:53] op_sel:[0,1]
	v_pk_add_f32 v[242:243], v[242:243], v[6:7] neg_lo:[0,1] neg_hi:[0,1]
	s_delay_alu instid0(VALU_DEP_2) | instskip(SKIP_1) | instid1(VALU_DEP_1)
	v_pk_fma_f32 v[6:7], v[4:5], v[50:51], v[2:3] op_sel:[0,0,1] op_sel_hi:[1,1,0] neg_lo:[0,0,1] neg_hi:[0,0,1]
	v_pk_fma_f32 v[2:3], v[4:5], v[50:51], v[2:3] op_sel:[0,0,1] op_sel_hi:[1,0,0]
	v_mov_b32_e32 v7, v3
	ds_load_b64 v[2:3], v126 offset:504
	v_pk_add_f32 v[254:255], v[254:255], v[6:7] neg_lo:[0,1] neg_hi:[0,1]
	s_wait_dscnt 0x0
	v_pk_mul_f32 v[4:5], v[2:3], v[52:53] op_sel:[0,1]
	s_delay_alu instid0(VALU_DEP_1) | instskip(SKIP_1) | instid1(VALU_DEP_1)
	v_pk_fma_f32 v[6:7], v[2:3], v[50:51], v[4:5] op_sel:[0,0,1] op_sel_hi:[1,1,0] neg_lo:[0,0,1] neg_hi:[0,0,1]
	v_pk_fma_f32 v[2:3], v[2:3], v[50:51], v[4:5] op_sel:[0,0,1] op_sel_hi:[1,0,0]
	v_mov_b32_e32 v7, v3
	s_delay_alu instid0(VALU_DEP_1)
	v_pk_add_f32 v[0:1], v[0:1], v[6:7] neg_lo:[0,1] neg_hi:[0,1]
.LBB127_208:
	s_or_b32 exec_lo, exec_lo, s1
	s_delay_alu instid0(SALU_CYCLE_1)
	s_mov_b32 s2, exec_lo
	s_wait_dscnt 0x0
	s_barrier_signal -1
	s_barrier_wait -1
	v_cmpx_eq_u32_e32 23, v18
	s_cbranch_execz .LBB127_215
; %bb.209:
	v_dual_mov_b32 v2, v178 :: v_dual_mov_b32 v3, v179
	v_dual_mov_b32 v4, v180 :: v_dual_mov_b32 v5, v181
	ds_store_b64 v19, v[176:177]
	ds_store_2addr_b64 v126, v[2:3], v[4:5] offset0:24 offset1:25
	v_dual_mov_b32 v2, v182 :: v_dual_mov_b32 v3, v183
	v_dual_mov_b32 v4, v184 :: v_dual_mov_b32 v5, v185
	ds_store_2addr_b64 v126, v[2:3], v[4:5] offset0:26 offset1:27
	v_dual_mov_b32 v2, v186 :: v_dual_mov_b32 v3, v187
	v_dual_mov_b32 v4, v188 :: v_dual_mov_b32 v5, v189
	ds_store_2addr_b64 v126, v[2:3], v[4:5] offset0:28 offset1:29
	v_dual_mov_b32 v2, v190 :: v_dual_mov_b32 v3, v191
	v_dual_mov_b32 v4, v192 :: v_dual_mov_b32 v5, v193
	ds_store_2addr_b64 v126, v[2:3], v[4:5] offset0:30 offset1:31
	v_dual_mov_b32 v2, v194 :: v_dual_mov_b32 v3, v195
	v_dual_mov_b32 v4, v196 :: v_dual_mov_b32 v5, v197
	ds_store_2addr_b64 v126, v[2:3], v[4:5] offset0:32 offset1:33
	v_dual_mov_b32 v2, v198 :: v_dual_mov_b32 v3, v199
	v_dual_mov_b32 v4, v200 :: v_dual_mov_b32 v5, v201
	ds_store_2addr_b64 v126, v[2:3], v[4:5] offset0:34 offset1:35
	v_dual_mov_b32 v2, v202 :: v_dual_mov_b32 v3, v203
	v_dual_mov_b32 v4, v204 :: v_dual_mov_b32 v5, v205
	ds_store_2addr_b64 v126, v[2:3], v[4:5] offset0:36 offset1:37
	v_dual_mov_b32 v2, v206 :: v_dual_mov_b32 v3, v207
	v_dual_mov_b32 v4, v208 :: v_dual_mov_b32 v5, v209
	ds_store_2addr_b64 v126, v[2:3], v[4:5] offset0:38 offset1:39
	v_dual_mov_b32 v2, v210 :: v_dual_mov_b32 v3, v211
	v_dual_mov_b32 v4, v212 :: v_dual_mov_b32 v5, v213
	ds_store_2addr_b64 v126, v[2:3], v[4:5] offset0:40 offset1:41
	v_dual_mov_b32 v2, v214 :: v_dual_mov_b32 v3, v215
	v_dual_mov_b32 v4, v216 :: v_dual_mov_b32 v5, v217
	ds_store_2addr_b64 v126, v[2:3], v[4:5] offset0:42 offset1:43
	v_dual_mov_b32 v2, v218 :: v_dual_mov_b32 v3, v219
	v_dual_mov_b32 v4, v220 :: v_dual_mov_b32 v5, v221
	ds_store_2addr_b64 v126, v[2:3], v[4:5] offset0:44 offset1:45
	v_dual_mov_b32 v2, v222 :: v_dual_mov_b32 v3, v223
	v_dual_mov_b32 v4, v224 :: v_dual_mov_b32 v5, v225
	ds_store_2addr_b64 v126, v[2:3], v[4:5] offset0:46 offset1:47
	v_dual_mov_b32 v2, v226 :: v_dual_mov_b32 v3, v227
	v_dual_mov_b32 v4, v228 :: v_dual_mov_b32 v5, v229
	ds_store_2addr_b64 v126, v[2:3], v[4:5] offset0:48 offset1:49
	v_dual_mov_b32 v2, v230 :: v_dual_mov_b32 v3, v231
	v_dual_mov_b32 v4, v232 :: v_dual_mov_b32 v5, v233
	ds_store_2addr_b64 v126, v[2:3], v[4:5] offset0:50 offset1:51
	v_dual_mov_b32 v2, v234 :: v_dual_mov_b32 v3, v235
	v_dual_mov_b32 v4, v236 :: v_dual_mov_b32 v5, v237
	ds_store_2addr_b64 v126, v[2:3], v[4:5] offset0:52 offset1:53
	v_dual_mov_b32 v2, v238 :: v_dual_mov_b32 v3, v239
	v_dual_mov_b32 v4, v240 :: v_dual_mov_b32 v5, v241
	ds_store_2addr_b64 v126, v[2:3], v[4:5] offset0:54 offset1:55
	v_dual_mov_b32 v2, v252 :: v_dual_mov_b32 v3, v253
	v_dual_mov_b32 v4, v246 :: v_dual_mov_b32 v5, v247
	ds_store_2addr_b64 v126, v[2:3], v[4:5] offset0:56 offset1:57
	v_dual_mov_b32 v2, v250 :: v_dual_mov_b32 v3, v251
	v_dual_mov_b32 v4, v244 :: v_dual_mov_b32 v5, v245
	ds_store_2addr_b64 v126, v[2:3], v[4:5] offset0:58 offset1:59
	v_dual_mov_b32 v2, v248 :: v_dual_mov_b32 v3, v249
	v_dual_mov_b32 v4, v242 :: v_dual_mov_b32 v5, v243
	ds_store_2addr_b64 v126, v[2:3], v[4:5] offset0:60 offset1:61
	v_dual_mov_b32 v2, v254 :: v_dual_mov_b32 v3, v255
	ds_store_2addr_b64 v126, v[2:3], v[0:1] offset0:62 offset1:63
	ds_load_b64 v[2:3], v19
	s_wait_dscnt 0x0
	v_cmp_neq_f32_e32 vcc_lo, 0, v2
	v_cmp_neq_f32_e64 s1, 0, v3
	s_or_b32 s1, vcc_lo, s1
	s_delay_alu instid0(SALU_CYCLE_1)
	s_and_b32 exec_lo, exec_lo, s1
	s_cbranch_execz .LBB127_215
; %bb.210:
	v_cmp_ngt_f32_e64 s1, |v2|, |v3|
                                        ; implicit-def: $vgpr4_vgpr5
	s_and_saveexec_b32 s4, s1
	s_delay_alu instid0(SALU_CYCLE_1)
	s_xor_b32 s1, exec_lo, s4
	s_cbranch_execz .LBB127_212
; %bb.211:
	v_div_scale_f32 v4, null, v3, v3, v2
	v_div_scale_f32 v7, vcc_lo, v2, v3, v2
	s_delay_alu instid0(VALU_DEP_2) | instskip(SKIP_1) | instid1(TRANS32_DEP_1)
	v_rcp_f32_e32 v5, v4
	v_nop
	v_fma_f32 v6, -v4, v5, 1.0
	s_delay_alu instid0(VALU_DEP_1) | instskip(NEXT) | instid1(VALU_DEP_1)
	v_fmac_f32_e32 v5, v6, v5
	v_mul_f32_e32 v6, v7, v5
	s_delay_alu instid0(VALU_DEP_1) | instskip(NEXT) | instid1(VALU_DEP_1)
	v_fma_f32 v8, -v4, v6, v7
	v_fmac_f32_e32 v6, v8, v5
	s_delay_alu instid0(VALU_DEP_1) | instskip(NEXT) | instid1(VALU_DEP_1)
	v_fma_f32 v4, -v4, v6, v7
	v_div_fmas_f32 v4, v4, v5, v6
	s_delay_alu instid0(VALU_DEP_1) | instskip(NEXT) | instid1(VALU_DEP_1)
	v_div_fixup_f32 v4, v4, v3, v2
	v_fmac_f32_e32 v3, v2, v4
	s_delay_alu instid0(VALU_DEP_1) | instskip(SKIP_1) | instid1(VALU_DEP_2)
	v_div_scale_f32 v2, null, v3, v3, 1.0
	v_div_scale_f32 v7, vcc_lo, 1.0, v3, 1.0
	v_rcp_f32_e32 v5, v2
	v_nop
	s_delay_alu instid0(TRANS32_DEP_1) | instskip(NEXT) | instid1(VALU_DEP_1)
	v_fma_f32 v6, -v2, v5, 1.0
	v_fmac_f32_e32 v5, v6, v5
	s_delay_alu instid0(VALU_DEP_1) | instskip(NEXT) | instid1(VALU_DEP_1)
	v_mul_f32_e32 v6, v7, v5
	v_fma_f32 v8, -v2, v6, v7
	s_delay_alu instid0(VALU_DEP_1) | instskip(NEXT) | instid1(VALU_DEP_1)
	v_fmac_f32_e32 v6, v8, v5
	v_fma_f32 v2, -v2, v6, v7
	s_delay_alu instid0(VALU_DEP_1) | instskip(NEXT) | instid1(VALU_DEP_1)
	v_div_fmas_f32 v2, v2, v5, v6
	v_div_fixup_f32 v2, v2, v3, 1.0
	s_delay_alu instid0(VALU_DEP_1)
	v_mul_f32_e32 v4, v4, v2
	v_xor_b32_e32 v5, 0x80000000, v2
                                        ; implicit-def: $vgpr2_vgpr3
.LBB127_212:
	s_and_not1_saveexec_b32 s1, s1
	s_cbranch_execz .LBB127_214
; %bb.213:
	v_div_scale_f32 v4, null, v2, v2, v3
	v_div_scale_f32 v7, vcc_lo, v3, v2, v3
	s_delay_alu instid0(VALU_DEP_2) | instskip(SKIP_1) | instid1(TRANS32_DEP_1)
	v_rcp_f32_e32 v5, v4
	v_nop
	v_fma_f32 v6, -v4, v5, 1.0
	s_delay_alu instid0(VALU_DEP_1) | instskip(NEXT) | instid1(VALU_DEP_1)
	v_fmac_f32_e32 v5, v6, v5
	v_mul_f32_e32 v6, v7, v5
	s_delay_alu instid0(VALU_DEP_1) | instskip(NEXT) | instid1(VALU_DEP_1)
	v_fma_f32 v8, -v4, v6, v7
	v_fmac_f32_e32 v6, v8, v5
	s_delay_alu instid0(VALU_DEP_1) | instskip(NEXT) | instid1(VALU_DEP_1)
	v_fma_f32 v4, -v4, v6, v7
	v_div_fmas_f32 v4, v4, v5, v6
	s_delay_alu instid0(VALU_DEP_1) | instskip(NEXT) | instid1(VALU_DEP_1)
	v_div_fixup_f32 v5, v4, v2, v3
	v_fmac_f32_e32 v2, v3, v5
	s_delay_alu instid0(VALU_DEP_1) | instskip(NEXT) | instid1(VALU_DEP_1)
	v_div_scale_f32 v3, null, v2, v2, 1.0
	v_rcp_f32_e32 v4, v3
	v_nop
	s_delay_alu instid0(TRANS32_DEP_1) | instskip(NEXT) | instid1(VALU_DEP_1)
	v_fma_f32 v6, -v3, v4, 1.0
	v_fmac_f32_e32 v4, v6, v4
	v_div_scale_f32 v6, vcc_lo, 1.0, v2, 1.0
	s_delay_alu instid0(VALU_DEP_1) | instskip(NEXT) | instid1(VALU_DEP_1)
	v_mul_f32_e32 v7, v6, v4
	v_fma_f32 v8, -v3, v7, v6
	s_delay_alu instid0(VALU_DEP_1) | instskip(NEXT) | instid1(VALU_DEP_1)
	v_fmac_f32_e32 v7, v8, v4
	v_fma_f32 v3, -v3, v7, v6
	s_delay_alu instid0(VALU_DEP_1) | instskip(NEXT) | instid1(VALU_DEP_1)
	v_div_fmas_f32 v3, v3, v4, v7
	v_div_fixup_f32 v4, v3, v2, 1.0
	s_delay_alu instid0(VALU_DEP_1)
	v_mul_f32_e64 v5, v5, -v4
.LBB127_214:
	s_or_b32 exec_lo, exec_lo, s1
	ds_store_b64 v19, v[4:5]
.LBB127_215:
	s_or_b32 exec_lo, exec_lo, s2
	s_wait_dscnt 0x0
	s_barrier_signal -1
	s_barrier_wait -1
	ds_load_b64 v[50:51], v19
	s_mov_b32 s1, exec_lo
	v_cmpx_lt_u32_e32 23, v18
	s_cbranch_execz .LBB127_217
; %bb.216:
	s_wait_dscnt 0x0
	v_pk_mul_f32 v[2:3], v[50:51], v[176:177] op_sel:[1,1] op_sel_hi:[0,1]
	s_delay_alu instid0(VALU_DEP_1)
	v_pk_fma_f32 v[52:53], v[50:51], v[176:177], v[2:3] op_sel_hi:[1,0,1] neg_lo:[0,0,1] neg_hi:[0,0,1]
	v_pk_fma_f32 v[54:55], v[50:51], v[176:177], v[2:3] op_sel_hi:[1,0,1]
	ds_load_2addr_b64 v[2:5], v126 offset0:24 offset1:25
	v_dual_mov_b32 v176, v52 :: v_dual_mov_b32 v177, v55
	s_wait_dscnt 0x0
	v_pk_mul_f32 v[6:7], v[2:3], v[54:55] op_sel:[0,1]
	s_delay_alu instid0(VALU_DEP_1) | instskip(SKIP_1) | instid1(VALU_DEP_1)
	v_pk_fma_f32 v[56:57], v[2:3], v[52:53], v[6:7] op_sel:[0,0,1] op_sel_hi:[1,1,0] neg_lo:[0,0,1] neg_hi:[0,0,1]
	v_pk_fma_f32 v[2:3], v[2:3], v[52:53], v[6:7] op_sel:[0,0,1] op_sel_hi:[1,0,0]
	v_mov_b32_e32 v57, v3
	v_pk_mul_f32 v[2:3], v[4:5], v[54:55] op_sel:[0,1]
	s_delay_alu instid0(VALU_DEP_1) | instskip(SKIP_1) | instid1(VALU_DEP_1)
	v_pk_fma_f32 v[6:7], v[4:5], v[52:53], v[2:3] op_sel:[0,0,1] op_sel_hi:[1,1,0] neg_lo:[0,0,1] neg_hi:[0,0,1]
	v_pk_fma_f32 v[2:3], v[4:5], v[52:53], v[2:3] op_sel:[0,0,1] op_sel_hi:[1,0,0]
	v_mov_b32_e32 v7, v3
	ds_load_2addr_b64 v[2:5], v126 offset0:26 offset1:27
	v_pk_add_f32 v[178:179], v[178:179], v[56:57] neg_lo:[0,1] neg_hi:[0,1]
	v_pk_add_f32 v[180:181], v[180:181], v[6:7] neg_lo:[0,1] neg_hi:[0,1]
	s_wait_dscnt 0x0
	v_pk_mul_f32 v[6:7], v[2:3], v[54:55] op_sel:[0,1]
	s_delay_alu instid0(VALU_DEP_1) | instskip(SKIP_2) | instid1(VALU_DEP_2)
	v_pk_fma_f32 v[56:57], v[2:3], v[52:53], v[6:7] op_sel:[0,0,1] op_sel_hi:[1,1,0] neg_lo:[0,0,1] neg_hi:[0,0,1]
	v_pk_fma_f32 v[2:3], v[2:3], v[52:53], v[6:7] op_sel:[0,0,1] op_sel_hi:[1,0,0]
	v_dual_mul_f32 v6, v5, v55 :: v_dual_mov_b32 v2, v5
	v_dual_mov_b32 v57, v3 :: v_dual_mov_b32 v3, v4
	s_delay_alu instid0(VALU_DEP_2) | instskip(SKIP_1) | instid1(VALU_DEP_3)
	v_pk_fma_f32 v[6:7], v[4:5], v[176:177], v[6:7] op_sel_hi:[1,1,0] neg_lo:[0,0,1] neg_hi:[0,0,1]
	v_mul_f32_e32 v4, v5, v52
	v_pk_add_f32 v[182:183], v[182:183], v[56:57] neg_lo:[0,1] neg_hi:[0,1]
	s_delay_alu instid0(VALU_DEP_2) | instskip(NEXT) | instid1(VALU_DEP_1)
	v_pk_fma_f32 v[2:3], v[2:3], v[176:177], v[4:5] op_sel_hi:[1,1,0]
	v_mov_b32_e32 v7, v3
	ds_load_2addr_b64 v[2:5], v126 offset0:28 offset1:29
	v_pk_add_f32 v[184:185], v[184:185], v[6:7] neg_lo:[0,1] neg_hi:[0,1]
	s_wait_dscnt 0x0
	v_pk_mul_f32 v[6:7], v[2:3], v[54:55] op_sel:[0,1]
	s_delay_alu instid0(VALU_DEP_1) | instskip(SKIP_1) | instid1(VALU_DEP_1)
	v_pk_fma_f32 v[56:57], v[2:3], v[52:53], v[6:7] op_sel:[0,0,1] op_sel_hi:[1,1,0] neg_lo:[0,0,1] neg_hi:[0,0,1]
	v_pk_fma_f32 v[2:3], v[2:3], v[52:53], v[6:7] op_sel:[0,0,1] op_sel_hi:[1,0,0]
	v_mov_b32_e32 v57, v3
	v_pk_mul_f32 v[2:3], v[4:5], v[54:55] op_sel:[0,1]
	s_delay_alu instid0(VALU_DEP_1) | instskip(SKIP_1) | instid1(VALU_DEP_1)
	v_pk_fma_f32 v[6:7], v[4:5], v[52:53], v[2:3] op_sel:[0,0,1] op_sel_hi:[1,1,0] neg_lo:[0,0,1] neg_hi:[0,0,1]
	v_pk_fma_f32 v[2:3], v[4:5], v[52:53], v[2:3] op_sel:[0,0,1] op_sel_hi:[1,0,0]
	v_mov_b32_e32 v7, v3
	ds_load_2addr_b64 v[2:5], v126 offset0:30 offset1:31
	v_pk_add_f32 v[186:187], v[186:187], v[56:57] neg_lo:[0,1] neg_hi:[0,1]
	v_pk_add_f32 v[188:189], v[188:189], v[6:7] neg_lo:[0,1] neg_hi:[0,1]
	s_wait_dscnt 0x0
	v_pk_mul_f32 v[6:7], v[2:3], v[54:55] op_sel:[0,1]
	s_delay_alu instid0(VALU_DEP_1) | instskip(SKIP_1) | instid1(VALU_DEP_1)
	v_pk_fma_f32 v[56:57], v[2:3], v[52:53], v[6:7] op_sel:[0,0,1] op_sel_hi:[1,1,0] neg_lo:[0,0,1] neg_hi:[0,0,1]
	v_pk_fma_f32 v[2:3], v[2:3], v[52:53], v[6:7] op_sel:[0,0,1] op_sel_hi:[1,0,0]
	v_mov_b32_e32 v57, v3
	v_pk_mul_f32 v[2:3], v[4:5], v[54:55] op_sel:[0,1]
	s_delay_alu instid0(VALU_DEP_1) | instskip(SKIP_1) | instid1(VALU_DEP_1)
	v_pk_fma_f32 v[6:7], v[4:5], v[52:53], v[2:3] op_sel:[0,0,1] op_sel_hi:[1,1,0] neg_lo:[0,0,1] neg_hi:[0,0,1]
	v_pk_fma_f32 v[2:3], v[4:5], v[52:53], v[2:3] op_sel:[0,0,1] op_sel_hi:[1,0,0]
	v_mov_b32_e32 v7, v3
	ds_load_2addr_b64 v[2:5], v126 offset0:32 offset1:33
	v_pk_add_f32 v[190:191], v[190:191], v[56:57] neg_lo:[0,1] neg_hi:[0,1]
	v_pk_add_f32 v[192:193], v[192:193], v[6:7] neg_lo:[0,1] neg_hi:[0,1]
	s_wait_dscnt 0x0
	v_dual_mul_f32 v6, v3, v55 :: v_dual_mul_f32 v56, v3, v52
	s_delay_alu instid0(VALU_DEP_1) | instskip(NEXT) | instid1(VALU_DEP_2)
	v_pk_fma_f32 v[6:7], v[2:3], v[176:177], v[6:7] op_sel_hi:[1,1,0] neg_lo:[0,0,1] neg_hi:[0,0,1]
	v_pk_fma_f32 v[2:3], v[2:3], v[176:177], v[56:57] op_sel:[1,0,0] op_sel_hi:[0,1,0]
	s_delay_alu instid0(VALU_DEP_1) | instskip(SKIP_1) | instid1(VALU_DEP_2)
	v_mov_b32_e32 v7, v3
	v_pk_mul_f32 v[2:3], v[4:5], v[54:55] op_sel:[0,1]
	v_pk_add_f32 v[194:195], v[194:195], v[6:7] neg_lo:[0,1] neg_hi:[0,1]
	s_delay_alu instid0(VALU_DEP_2) | instskip(SKIP_1) | instid1(VALU_DEP_1)
	v_pk_fma_f32 v[6:7], v[4:5], v[52:53], v[2:3] op_sel:[0,0,1] op_sel_hi:[1,1,0] neg_lo:[0,0,1] neg_hi:[0,0,1]
	v_pk_fma_f32 v[2:3], v[4:5], v[52:53], v[2:3] op_sel:[0,0,1] op_sel_hi:[1,0,0]
	v_mov_b32_e32 v7, v3
	ds_load_2addr_b64 v[2:5], v126 offset0:34 offset1:35
	v_pk_add_f32 v[196:197], v[196:197], v[6:7] neg_lo:[0,1] neg_hi:[0,1]
	s_wait_dscnt 0x0
	v_pk_mul_f32 v[6:7], v[2:3], v[54:55] op_sel:[0,1]
	s_delay_alu instid0(VALU_DEP_1) | instskip(SKIP_1) | instid1(VALU_DEP_1)
	v_pk_fma_f32 v[56:57], v[2:3], v[52:53], v[6:7] op_sel:[0,0,1] op_sel_hi:[1,1,0] neg_lo:[0,0,1] neg_hi:[0,0,1]
	v_pk_fma_f32 v[2:3], v[2:3], v[52:53], v[6:7] op_sel:[0,0,1] op_sel_hi:[1,0,0]
	v_mov_b32_e32 v57, v3
	v_pk_mul_f32 v[2:3], v[4:5], v[54:55] op_sel:[0,1]
	s_delay_alu instid0(VALU_DEP_2) | instskip(NEXT) | instid1(VALU_DEP_2)
	v_pk_add_f32 v[198:199], v[198:199], v[56:57] neg_lo:[0,1] neg_hi:[0,1]
	v_pk_fma_f32 v[6:7], v[4:5], v[52:53], v[2:3] op_sel:[0,0,1] op_sel_hi:[1,1,0] neg_lo:[0,0,1] neg_hi:[0,0,1]
	v_pk_fma_f32 v[2:3], v[4:5], v[52:53], v[2:3] op_sel:[0,0,1] op_sel_hi:[1,0,0]
	s_delay_alu instid0(VALU_DEP_1) | instskip(SKIP_4) | instid1(VALU_DEP_1)
	v_mov_b32_e32 v7, v3
	ds_load_2addr_b64 v[2:5], v126 offset0:36 offset1:37
	v_pk_add_f32 v[200:201], v[200:201], v[6:7] neg_lo:[0,1] neg_hi:[0,1]
	s_wait_dscnt 0x0
	v_pk_mul_f32 v[6:7], v[2:3], v[54:55] op_sel:[0,1]
	v_pk_fma_f32 v[56:57], v[2:3], v[52:53], v[6:7] op_sel:[0,0,1] op_sel_hi:[1,1,0] neg_lo:[0,0,1] neg_hi:[0,0,1]
	v_pk_fma_f32 v[2:3], v[2:3], v[52:53], v[6:7] op_sel:[0,0,1] op_sel_hi:[1,0,0]
	v_dual_mul_f32 v6, v5, v55 :: v_dual_mov_b32 v2, v5
	s_delay_alu instid0(VALU_DEP_2) | instskip(NEXT) | instid1(VALU_DEP_2)
	v_dual_mov_b32 v57, v3 :: v_dual_mov_b32 v3, v4
	v_pk_fma_f32 v[6:7], v[4:5], v[176:177], v[6:7] op_sel_hi:[1,1,0] neg_lo:[0,0,1] neg_hi:[0,0,1]
	v_mul_f32_e32 v4, v5, v52
	s_delay_alu instid0(VALU_DEP_3) | instskip(NEXT) | instid1(VALU_DEP_2)
	v_pk_add_f32 v[202:203], v[202:203], v[56:57] neg_lo:[0,1] neg_hi:[0,1]
	v_pk_fma_f32 v[2:3], v[2:3], v[176:177], v[4:5] op_sel_hi:[1,1,0]
	s_delay_alu instid0(VALU_DEP_1) | instskip(SKIP_4) | instid1(VALU_DEP_1)
	v_mov_b32_e32 v7, v3
	ds_load_2addr_b64 v[2:5], v126 offset0:38 offset1:39
	v_pk_add_f32 v[204:205], v[204:205], v[6:7] neg_lo:[0,1] neg_hi:[0,1]
	s_wait_dscnt 0x0
	v_pk_mul_f32 v[6:7], v[2:3], v[54:55] op_sel:[0,1]
	v_pk_fma_f32 v[56:57], v[2:3], v[52:53], v[6:7] op_sel:[0,0,1] op_sel_hi:[1,1,0] neg_lo:[0,0,1] neg_hi:[0,0,1]
	v_pk_fma_f32 v[2:3], v[2:3], v[52:53], v[6:7] op_sel:[0,0,1] op_sel_hi:[1,0,0]
	s_delay_alu instid0(VALU_DEP_1) | instskip(SKIP_1) | instid1(VALU_DEP_1)
	v_mov_b32_e32 v57, v3
	v_pk_mul_f32 v[2:3], v[4:5], v[54:55] op_sel:[0,1]
	v_pk_fma_f32 v[6:7], v[4:5], v[52:53], v[2:3] op_sel:[0,0,1] op_sel_hi:[1,1,0] neg_lo:[0,0,1] neg_hi:[0,0,1]
	v_pk_fma_f32 v[2:3], v[4:5], v[52:53], v[2:3] op_sel:[0,0,1] op_sel_hi:[1,0,0]
	s_delay_alu instid0(VALU_DEP_1)
	v_mov_b32_e32 v7, v3
	ds_load_2addr_b64 v[2:5], v126 offset0:40 offset1:41
	v_pk_add_f32 v[206:207], v[206:207], v[56:57] neg_lo:[0,1] neg_hi:[0,1]
	v_pk_add_f32 v[208:209], v[208:209], v[6:7] neg_lo:[0,1] neg_hi:[0,1]
	s_wait_dscnt 0x0
	v_pk_mul_f32 v[6:7], v[2:3], v[54:55] op_sel:[0,1]
	s_delay_alu instid0(VALU_DEP_1) | instskip(SKIP_1) | instid1(VALU_DEP_1)
	v_pk_fma_f32 v[56:57], v[2:3], v[52:53], v[6:7] op_sel:[0,0,1] op_sel_hi:[1,1,0] neg_lo:[0,0,1] neg_hi:[0,0,1]
	v_pk_fma_f32 v[2:3], v[2:3], v[52:53], v[6:7] op_sel:[0,0,1] op_sel_hi:[1,0,0]
	v_mov_b32_e32 v57, v3
	v_pk_mul_f32 v[2:3], v[4:5], v[54:55] op_sel:[0,1]
	s_delay_alu instid0(VALU_DEP_1) | instskip(SKIP_1) | instid1(VALU_DEP_1)
	v_pk_fma_f32 v[6:7], v[4:5], v[52:53], v[2:3] op_sel:[0,0,1] op_sel_hi:[1,1,0] neg_lo:[0,0,1] neg_hi:[0,0,1]
	v_pk_fma_f32 v[2:3], v[4:5], v[52:53], v[2:3] op_sel:[0,0,1] op_sel_hi:[1,0,0]
	v_mov_b32_e32 v7, v3
	ds_load_2addr_b64 v[2:5], v126 offset0:42 offset1:43
	v_pk_add_f32 v[210:211], v[210:211], v[56:57] neg_lo:[0,1] neg_hi:[0,1]
	v_pk_add_f32 v[212:213], v[212:213], v[6:7] neg_lo:[0,1] neg_hi:[0,1]
	s_wait_dscnt 0x0
	v_dual_mul_f32 v6, v3, v55 :: v_dual_mul_f32 v56, v3, v52
	s_delay_alu instid0(VALU_DEP_1) | instskip(NEXT) | instid1(VALU_DEP_2)
	v_pk_fma_f32 v[6:7], v[2:3], v[176:177], v[6:7] op_sel_hi:[1,1,0] neg_lo:[0,0,1] neg_hi:[0,0,1]
	v_pk_fma_f32 v[2:3], v[2:3], v[176:177], v[56:57] op_sel:[1,0,0] op_sel_hi:[0,1,0]
	s_delay_alu instid0(VALU_DEP_1) | instskip(SKIP_1) | instid1(VALU_DEP_2)
	v_mov_b32_e32 v7, v3
	v_pk_mul_f32 v[2:3], v[4:5], v[54:55] op_sel:[0,1]
	v_pk_add_f32 v[214:215], v[214:215], v[6:7] neg_lo:[0,1] neg_hi:[0,1]
	s_delay_alu instid0(VALU_DEP_2) | instskip(SKIP_1) | instid1(VALU_DEP_1)
	v_pk_fma_f32 v[6:7], v[4:5], v[52:53], v[2:3] op_sel:[0,0,1] op_sel_hi:[1,1,0] neg_lo:[0,0,1] neg_hi:[0,0,1]
	v_pk_fma_f32 v[2:3], v[4:5], v[52:53], v[2:3] op_sel:[0,0,1] op_sel_hi:[1,0,0]
	v_mov_b32_e32 v7, v3
	ds_load_2addr_b64 v[2:5], v126 offset0:44 offset1:45
	v_pk_add_f32 v[216:217], v[216:217], v[6:7] neg_lo:[0,1] neg_hi:[0,1]
	s_wait_dscnt 0x0
	v_pk_mul_f32 v[6:7], v[2:3], v[54:55] op_sel:[0,1]
	s_delay_alu instid0(VALU_DEP_1) | instskip(SKIP_1) | instid1(VALU_DEP_1)
	v_pk_fma_f32 v[56:57], v[2:3], v[52:53], v[6:7] op_sel:[0,0,1] op_sel_hi:[1,1,0] neg_lo:[0,0,1] neg_hi:[0,0,1]
	v_pk_fma_f32 v[2:3], v[2:3], v[52:53], v[6:7] op_sel:[0,0,1] op_sel_hi:[1,0,0]
	v_mov_b32_e32 v57, v3
	v_pk_mul_f32 v[2:3], v[4:5], v[54:55] op_sel:[0,1]
	s_delay_alu instid0(VALU_DEP_2) | instskip(NEXT) | instid1(VALU_DEP_2)
	v_pk_add_f32 v[218:219], v[218:219], v[56:57] neg_lo:[0,1] neg_hi:[0,1]
	v_pk_fma_f32 v[6:7], v[4:5], v[52:53], v[2:3] op_sel:[0,0,1] op_sel_hi:[1,1,0] neg_lo:[0,0,1] neg_hi:[0,0,1]
	v_pk_fma_f32 v[2:3], v[4:5], v[52:53], v[2:3] op_sel:[0,0,1] op_sel_hi:[1,0,0]
	s_delay_alu instid0(VALU_DEP_1) | instskip(SKIP_4) | instid1(VALU_DEP_1)
	v_mov_b32_e32 v7, v3
	ds_load_2addr_b64 v[2:5], v126 offset0:46 offset1:47
	v_pk_add_f32 v[220:221], v[220:221], v[6:7] neg_lo:[0,1] neg_hi:[0,1]
	s_wait_dscnt 0x0
	v_pk_mul_f32 v[6:7], v[2:3], v[54:55] op_sel:[0,1]
	v_pk_fma_f32 v[56:57], v[2:3], v[52:53], v[6:7] op_sel:[0,0,1] op_sel_hi:[1,1,0] neg_lo:[0,0,1] neg_hi:[0,0,1]
	v_pk_fma_f32 v[2:3], v[2:3], v[52:53], v[6:7] op_sel:[0,0,1] op_sel_hi:[1,0,0]
	v_dual_mul_f32 v6, v5, v55 :: v_dual_mov_b32 v2, v5
	s_delay_alu instid0(VALU_DEP_2) | instskip(NEXT) | instid1(VALU_DEP_2)
	v_dual_mov_b32 v57, v3 :: v_dual_mov_b32 v3, v4
	v_pk_fma_f32 v[6:7], v[4:5], v[176:177], v[6:7] op_sel_hi:[1,1,0] neg_lo:[0,0,1] neg_hi:[0,0,1]
	v_mul_f32_e32 v4, v5, v52
	s_delay_alu instid0(VALU_DEP_3) | instskip(NEXT) | instid1(VALU_DEP_2)
	v_pk_add_f32 v[222:223], v[222:223], v[56:57] neg_lo:[0,1] neg_hi:[0,1]
	v_pk_fma_f32 v[2:3], v[2:3], v[176:177], v[4:5] op_sel_hi:[1,1,0]
	s_delay_alu instid0(VALU_DEP_1) | instskip(SKIP_4) | instid1(VALU_DEP_1)
	v_mov_b32_e32 v7, v3
	ds_load_2addr_b64 v[2:5], v126 offset0:48 offset1:49
	v_pk_add_f32 v[224:225], v[224:225], v[6:7] neg_lo:[0,1] neg_hi:[0,1]
	s_wait_dscnt 0x0
	v_pk_mul_f32 v[6:7], v[2:3], v[54:55] op_sel:[0,1]
	v_pk_fma_f32 v[56:57], v[2:3], v[52:53], v[6:7] op_sel:[0,0,1] op_sel_hi:[1,1,0] neg_lo:[0,0,1] neg_hi:[0,0,1]
	v_pk_fma_f32 v[2:3], v[2:3], v[52:53], v[6:7] op_sel:[0,0,1] op_sel_hi:[1,0,0]
	s_delay_alu instid0(VALU_DEP_1) | instskip(SKIP_1) | instid1(VALU_DEP_1)
	v_mov_b32_e32 v57, v3
	v_pk_mul_f32 v[2:3], v[4:5], v[54:55] op_sel:[0,1]
	v_pk_fma_f32 v[6:7], v[4:5], v[52:53], v[2:3] op_sel:[0,0,1] op_sel_hi:[1,1,0] neg_lo:[0,0,1] neg_hi:[0,0,1]
	v_pk_fma_f32 v[2:3], v[4:5], v[52:53], v[2:3] op_sel:[0,0,1] op_sel_hi:[1,0,0]
	s_delay_alu instid0(VALU_DEP_1)
	v_mov_b32_e32 v7, v3
	ds_load_2addr_b64 v[2:5], v126 offset0:50 offset1:51
	v_pk_add_f32 v[226:227], v[226:227], v[56:57] neg_lo:[0,1] neg_hi:[0,1]
	v_pk_add_f32 v[228:229], v[228:229], v[6:7] neg_lo:[0,1] neg_hi:[0,1]
	s_wait_dscnt 0x0
	v_pk_mul_f32 v[6:7], v[2:3], v[54:55] op_sel:[0,1]
	s_delay_alu instid0(VALU_DEP_1) | instskip(SKIP_1) | instid1(VALU_DEP_1)
	v_pk_fma_f32 v[56:57], v[2:3], v[52:53], v[6:7] op_sel:[0,0,1] op_sel_hi:[1,1,0] neg_lo:[0,0,1] neg_hi:[0,0,1]
	v_pk_fma_f32 v[2:3], v[2:3], v[52:53], v[6:7] op_sel:[0,0,1] op_sel_hi:[1,0,0]
	v_mov_b32_e32 v57, v3
	v_pk_mul_f32 v[2:3], v[4:5], v[54:55] op_sel:[0,1]
	s_delay_alu instid0(VALU_DEP_1) | instskip(SKIP_1) | instid1(VALU_DEP_1)
	v_pk_fma_f32 v[6:7], v[4:5], v[52:53], v[2:3] op_sel:[0,0,1] op_sel_hi:[1,1,0] neg_lo:[0,0,1] neg_hi:[0,0,1]
	v_pk_fma_f32 v[2:3], v[4:5], v[52:53], v[2:3] op_sel:[0,0,1] op_sel_hi:[1,0,0]
	v_mov_b32_e32 v7, v3
	ds_load_2addr_b64 v[2:5], v126 offset0:52 offset1:53
	v_pk_add_f32 v[230:231], v[230:231], v[56:57] neg_lo:[0,1] neg_hi:[0,1]
	v_pk_add_f32 v[232:233], v[232:233], v[6:7] neg_lo:[0,1] neg_hi:[0,1]
	s_wait_dscnt 0x0
	v_dual_mul_f32 v6, v3, v55 :: v_dual_mul_f32 v56, v3, v52
	s_delay_alu instid0(VALU_DEP_1) | instskip(NEXT) | instid1(VALU_DEP_2)
	v_pk_fma_f32 v[6:7], v[2:3], v[176:177], v[6:7] op_sel_hi:[1,1,0] neg_lo:[0,0,1] neg_hi:[0,0,1]
	v_pk_fma_f32 v[2:3], v[2:3], v[176:177], v[56:57] op_sel:[1,0,0] op_sel_hi:[0,1,0]
	s_delay_alu instid0(VALU_DEP_1) | instskip(SKIP_1) | instid1(VALU_DEP_2)
	v_mov_b32_e32 v7, v3
	v_pk_mul_f32 v[2:3], v[4:5], v[54:55] op_sel:[0,1]
	v_pk_add_f32 v[234:235], v[234:235], v[6:7] neg_lo:[0,1] neg_hi:[0,1]
	s_delay_alu instid0(VALU_DEP_2) | instskip(SKIP_1) | instid1(VALU_DEP_1)
	v_pk_fma_f32 v[6:7], v[4:5], v[52:53], v[2:3] op_sel:[0,0,1] op_sel_hi:[1,1,0] neg_lo:[0,0,1] neg_hi:[0,0,1]
	v_pk_fma_f32 v[2:3], v[4:5], v[52:53], v[2:3] op_sel:[0,0,1] op_sel_hi:[1,0,0]
	v_mov_b32_e32 v7, v3
	ds_load_2addr_b64 v[2:5], v126 offset0:54 offset1:55
	v_pk_add_f32 v[236:237], v[236:237], v[6:7] neg_lo:[0,1] neg_hi:[0,1]
	s_wait_dscnt 0x0
	v_pk_mul_f32 v[6:7], v[2:3], v[54:55] op_sel:[0,1]
	s_delay_alu instid0(VALU_DEP_1) | instskip(SKIP_1) | instid1(VALU_DEP_1)
	v_pk_fma_f32 v[56:57], v[2:3], v[52:53], v[6:7] op_sel:[0,0,1] op_sel_hi:[1,1,0] neg_lo:[0,0,1] neg_hi:[0,0,1]
	v_pk_fma_f32 v[2:3], v[2:3], v[52:53], v[6:7] op_sel:[0,0,1] op_sel_hi:[1,0,0]
	v_mov_b32_e32 v57, v3
	v_pk_mul_f32 v[2:3], v[4:5], v[54:55] op_sel:[0,1]
	s_delay_alu instid0(VALU_DEP_2) | instskip(NEXT) | instid1(VALU_DEP_2)
	v_pk_add_f32 v[238:239], v[238:239], v[56:57] neg_lo:[0,1] neg_hi:[0,1]
	v_pk_fma_f32 v[6:7], v[4:5], v[52:53], v[2:3] op_sel:[0,0,1] op_sel_hi:[1,1,0] neg_lo:[0,0,1] neg_hi:[0,0,1]
	v_pk_fma_f32 v[2:3], v[4:5], v[52:53], v[2:3] op_sel:[0,0,1] op_sel_hi:[1,0,0]
	s_delay_alu instid0(VALU_DEP_1) | instskip(SKIP_4) | instid1(VALU_DEP_1)
	v_mov_b32_e32 v7, v3
	ds_load_2addr_b64 v[2:5], v126 offset0:56 offset1:57
	v_pk_add_f32 v[240:241], v[240:241], v[6:7] neg_lo:[0,1] neg_hi:[0,1]
	s_wait_dscnt 0x0
	v_pk_mul_f32 v[6:7], v[2:3], v[54:55] op_sel:[0,1]
	v_pk_fma_f32 v[56:57], v[2:3], v[52:53], v[6:7] op_sel:[0,0,1] op_sel_hi:[1,1,0] neg_lo:[0,0,1] neg_hi:[0,0,1]
	v_pk_fma_f32 v[2:3], v[2:3], v[52:53], v[6:7] op_sel:[0,0,1] op_sel_hi:[1,0,0]
	v_dual_mul_f32 v6, v5, v55 :: v_dual_mov_b32 v2, v5
	s_delay_alu instid0(VALU_DEP_2) | instskip(NEXT) | instid1(VALU_DEP_2)
	v_dual_mov_b32 v57, v3 :: v_dual_mov_b32 v3, v4
	v_pk_fma_f32 v[6:7], v[4:5], v[176:177], v[6:7] op_sel_hi:[1,1,0] neg_lo:[0,0,1] neg_hi:[0,0,1]
	v_mul_f32_e32 v4, v5, v52
	s_delay_alu instid0(VALU_DEP_3) | instskip(NEXT) | instid1(VALU_DEP_2)
	v_pk_add_f32 v[252:253], v[252:253], v[56:57] neg_lo:[0,1] neg_hi:[0,1]
	v_pk_fma_f32 v[2:3], v[2:3], v[176:177], v[4:5] op_sel_hi:[1,1,0]
	s_delay_alu instid0(VALU_DEP_1) | instskip(SKIP_4) | instid1(VALU_DEP_1)
	v_mov_b32_e32 v7, v3
	ds_load_2addr_b64 v[2:5], v126 offset0:58 offset1:59
	v_pk_add_f32 v[246:247], v[246:247], v[6:7] neg_lo:[0,1] neg_hi:[0,1]
	s_wait_dscnt 0x0
	v_pk_mul_f32 v[6:7], v[2:3], v[54:55] op_sel:[0,1]
	v_pk_fma_f32 v[56:57], v[2:3], v[52:53], v[6:7] op_sel:[0,0,1] op_sel_hi:[1,1,0] neg_lo:[0,0,1] neg_hi:[0,0,1]
	v_pk_fma_f32 v[2:3], v[2:3], v[52:53], v[6:7] op_sel:[0,0,1] op_sel_hi:[1,0,0]
	s_delay_alu instid0(VALU_DEP_1) | instskip(SKIP_1) | instid1(VALU_DEP_1)
	v_mov_b32_e32 v57, v3
	v_pk_mul_f32 v[2:3], v[4:5], v[54:55] op_sel:[0,1]
	v_pk_fma_f32 v[6:7], v[4:5], v[52:53], v[2:3] op_sel:[0,0,1] op_sel_hi:[1,1,0] neg_lo:[0,0,1] neg_hi:[0,0,1]
	v_pk_fma_f32 v[2:3], v[4:5], v[52:53], v[2:3] op_sel:[0,0,1] op_sel_hi:[1,0,0]
	s_delay_alu instid0(VALU_DEP_1)
	v_mov_b32_e32 v7, v3
	ds_load_2addr_b64 v[2:5], v126 offset0:60 offset1:61
	v_pk_add_f32 v[250:251], v[250:251], v[56:57] neg_lo:[0,1] neg_hi:[0,1]
	v_pk_add_f32 v[244:245], v[244:245], v[6:7] neg_lo:[0,1] neg_hi:[0,1]
	s_wait_dscnt 0x0
	v_pk_mul_f32 v[6:7], v[2:3], v[54:55] op_sel:[0,1]
	s_delay_alu instid0(VALU_DEP_1) | instskip(SKIP_1) | instid1(VALU_DEP_1)
	v_pk_fma_f32 v[56:57], v[2:3], v[52:53], v[6:7] op_sel:[0,0,1] op_sel_hi:[1,1,0] neg_lo:[0,0,1] neg_hi:[0,0,1]
	v_pk_fma_f32 v[2:3], v[2:3], v[52:53], v[6:7] op_sel:[0,0,1] op_sel_hi:[1,0,0]
	v_mov_b32_e32 v57, v3
	v_pk_mul_f32 v[2:3], v[4:5], v[54:55] op_sel:[0,1]
	s_delay_alu instid0(VALU_DEP_1) | instskip(SKIP_1) | instid1(VALU_DEP_1)
	v_pk_fma_f32 v[6:7], v[4:5], v[52:53], v[2:3] op_sel:[0,0,1] op_sel_hi:[1,1,0] neg_lo:[0,0,1] neg_hi:[0,0,1]
	v_pk_fma_f32 v[2:3], v[4:5], v[52:53], v[2:3] op_sel:[0,0,1] op_sel_hi:[1,0,0]
	v_mov_b32_e32 v7, v3
	ds_load_2addr_b64 v[2:5], v126 offset0:62 offset1:63
	v_pk_add_f32 v[248:249], v[248:249], v[56:57] neg_lo:[0,1] neg_hi:[0,1]
	v_pk_add_f32 v[242:243], v[242:243], v[6:7] neg_lo:[0,1] neg_hi:[0,1]
	s_wait_dscnt 0x0
	v_dual_mul_f32 v6, v3, v55 :: v_dual_mul_f32 v56, v3, v52
	s_delay_alu instid0(VALU_DEP_1) | instskip(NEXT) | instid1(VALU_DEP_2)
	v_pk_fma_f32 v[6:7], v[2:3], v[176:177], v[6:7] op_sel_hi:[1,1,0] neg_lo:[0,0,1] neg_hi:[0,0,1]
	v_pk_fma_f32 v[2:3], v[2:3], v[176:177], v[56:57] op_sel:[1,0,0] op_sel_hi:[0,1,0]
	s_delay_alu instid0(VALU_DEP_1) | instskip(SKIP_1) | instid1(VALU_DEP_2)
	v_mov_b32_e32 v7, v3
	v_pk_mul_f32 v[2:3], v[4:5], v[54:55] op_sel:[0,1]
	v_pk_add_f32 v[254:255], v[254:255], v[6:7] neg_lo:[0,1] neg_hi:[0,1]
	s_delay_alu instid0(VALU_DEP_2) | instskip(SKIP_1) | instid1(VALU_DEP_1)
	v_pk_fma_f32 v[6:7], v[4:5], v[52:53], v[2:3] op_sel:[0,0,1] op_sel_hi:[1,1,0] neg_lo:[0,0,1] neg_hi:[0,0,1]
	v_pk_fma_f32 v[2:3], v[4:5], v[52:53], v[2:3] op_sel:[0,0,1] op_sel_hi:[1,0,0]
	v_mov_b32_e32 v7, v3
	s_delay_alu instid0(VALU_DEP_1)
	v_pk_add_f32 v[0:1], v[0:1], v[6:7] neg_lo:[0,1] neg_hi:[0,1]
.LBB127_217:
	s_or_b32 exec_lo, exec_lo, s1
	s_delay_alu instid0(SALU_CYCLE_1)
	s_mov_b32 s2, exec_lo
	s_wait_dscnt 0x0
	s_barrier_signal -1
	s_barrier_wait -1
	v_cmpx_eq_u32_e32 24, v18
	s_cbranch_execz .LBB127_224
; %bb.218:
	ds_store_b64 v19, v[178:179]
	ds_store_2addr_b64 v126, v[180:181], v[182:183] offset0:25 offset1:26
	ds_store_2addr_b64 v126, v[184:185], v[186:187] offset0:27 offset1:28
	;; [unrolled: 1-line block ×19, first 2 shown]
	ds_store_b64 v126, v[0:1] offset:504
	ds_load_b64 v[2:3], v19
	s_wait_dscnt 0x0
	v_cmp_neq_f32_e32 vcc_lo, 0, v2
	v_cmp_neq_f32_e64 s1, 0, v3
	s_or_b32 s1, vcc_lo, s1
	s_delay_alu instid0(SALU_CYCLE_1)
	s_and_b32 exec_lo, exec_lo, s1
	s_cbranch_execz .LBB127_224
; %bb.219:
	v_cmp_ngt_f32_e64 s1, |v2|, |v3|
                                        ; implicit-def: $vgpr4_vgpr5
	s_and_saveexec_b32 s4, s1
	s_delay_alu instid0(SALU_CYCLE_1)
	s_xor_b32 s1, exec_lo, s4
	s_cbranch_execz .LBB127_221
; %bb.220:
	v_div_scale_f32 v4, null, v3, v3, v2
	v_div_scale_f32 v7, vcc_lo, v2, v3, v2
	s_delay_alu instid0(VALU_DEP_2) | instskip(SKIP_1) | instid1(TRANS32_DEP_1)
	v_rcp_f32_e32 v5, v4
	v_nop
	v_fma_f32 v6, -v4, v5, 1.0
	s_delay_alu instid0(VALU_DEP_1) | instskip(NEXT) | instid1(VALU_DEP_1)
	v_fmac_f32_e32 v5, v6, v5
	v_mul_f32_e32 v6, v7, v5
	s_delay_alu instid0(VALU_DEP_1) | instskip(NEXT) | instid1(VALU_DEP_1)
	v_fma_f32 v8, -v4, v6, v7
	v_fmac_f32_e32 v6, v8, v5
	s_delay_alu instid0(VALU_DEP_1) | instskip(NEXT) | instid1(VALU_DEP_1)
	v_fma_f32 v4, -v4, v6, v7
	v_div_fmas_f32 v4, v4, v5, v6
	s_delay_alu instid0(VALU_DEP_1) | instskip(NEXT) | instid1(VALU_DEP_1)
	v_div_fixup_f32 v4, v4, v3, v2
	v_fmac_f32_e32 v3, v2, v4
	s_delay_alu instid0(VALU_DEP_1) | instskip(SKIP_1) | instid1(VALU_DEP_2)
	v_div_scale_f32 v2, null, v3, v3, 1.0
	v_div_scale_f32 v7, vcc_lo, 1.0, v3, 1.0
	v_rcp_f32_e32 v5, v2
	v_nop
	s_delay_alu instid0(TRANS32_DEP_1) | instskip(NEXT) | instid1(VALU_DEP_1)
	v_fma_f32 v6, -v2, v5, 1.0
	v_fmac_f32_e32 v5, v6, v5
	s_delay_alu instid0(VALU_DEP_1) | instskip(NEXT) | instid1(VALU_DEP_1)
	v_mul_f32_e32 v6, v7, v5
	v_fma_f32 v8, -v2, v6, v7
	s_delay_alu instid0(VALU_DEP_1) | instskip(NEXT) | instid1(VALU_DEP_1)
	v_fmac_f32_e32 v6, v8, v5
	v_fma_f32 v2, -v2, v6, v7
	s_delay_alu instid0(VALU_DEP_1) | instskip(NEXT) | instid1(VALU_DEP_1)
	v_div_fmas_f32 v2, v2, v5, v6
	v_div_fixup_f32 v2, v2, v3, 1.0
	s_delay_alu instid0(VALU_DEP_1)
	v_mul_f32_e32 v4, v4, v2
	v_xor_b32_e32 v5, 0x80000000, v2
                                        ; implicit-def: $vgpr2_vgpr3
.LBB127_221:
	s_and_not1_saveexec_b32 s1, s1
	s_cbranch_execz .LBB127_223
; %bb.222:
	v_div_scale_f32 v4, null, v2, v2, v3
	v_div_scale_f32 v7, vcc_lo, v3, v2, v3
	s_delay_alu instid0(VALU_DEP_2) | instskip(SKIP_1) | instid1(TRANS32_DEP_1)
	v_rcp_f32_e32 v5, v4
	v_nop
	v_fma_f32 v6, -v4, v5, 1.0
	s_delay_alu instid0(VALU_DEP_1) | instskip(NEXT) | instid1(VALU_DEP_1)
	v_fmac_f32_e32 v5, v6, v5
	v_mul_f32_e32 v6, v7, v5
	s_delay_alu instid0(VALU_DEP_1) | instskip(NEXT) | instid1(VALU_DEP_1)
	v_fma_f32 v8, -v4, v6, v7
	v_fmac_f32_e32 v6, v8, v5
	s_delay_alu instid0(VALU_DEP_1) | instskip(NEXT) | instid1(VALU_DEP_1)
	v_fma_f32 v4, -v4, v6, v7
	v_div_fmas_f32 v4, v4, v5, v6
	s_delay_alu instid0(VALU_DEP_1) | instskip(NEXT) | instid1(VALU_DEP_1)
	v_div_fixup_f32 v5, v4, v2, v3
	v_fmac_f32_e32 v2, v3, v5
	s_delay_alu instid0(VALU_DEP_1) | instskip(NEXT) | instid1(VALU_DEP_1)
	v_div_scale_f32 v3, null, v2, v2, 1.0
	v_rcp_f32_e32 v4, v3
	v_nop
	s_delay_alu instid0(TRANS32_DEP_1) | instskip(NEXT) | instid1(VALU_DEP_1)
	v_fma_f32 v6, -v3, v4, 1.0
	v_fmac_f32_e32 v4, v6, v4
	v_div_scale_f32 v6, vcc_lo, 1.0, v2, 1.0
	s_delay_alu instid0(VALU_DEP_1) | instskip(NEXT) | instid1(VALU_DEP_1)
	v_mul_f32_e32 v7, v6, v4
	v_fma_f32 v8, -v3, v7, v6
	s_delay_alu instid0(VALU_DEP_1) | instskip(NEXT) | instid1(VALU_DEP_1)
	v_fmac_f32_e32 v7, v8, v4
	v_fma_f32 v3, -v3, v7, v6
	s_delay_alu instid0(VALU_DEP_1) | instskip(NEXT) | instid1(VALU_DEP_1)
	v_div_fmas_f32 v3, v3, v4, v7
	v_div_fixup_f32 v4, v3, v2, 1.0
	s_delay_alu instid0(VALU_DEP_1)
	v_mul_f32_e64 v5, v5, -v4
.LBB127_223:
	s_or_b32 exec_lo, exec_lo, s1
	ds_store_b64 v19, v[4:5]
.LBB127_224:
	s_or_b32 exec_lo, exec_lo, s2
	s_wait_dscnt 0x0
	s_barrier_signal -1
	s_barrier_wait -1
	ds_load_b64 v[52:53], v19
	s_mov_b32 s1, exec_lo
	v_cmpx_lt_u32_e32 24, v18
	s_cbranch_execz .LBB127_226
; %bb.225:
	s_wait_dscnt 0x0
	v_pk_mul_f32 v[2:3], v[52:53], v[178:179] op_sel:[1,1] op_sel_hi:[0,1]
	s_delay_alu instid0(VALU_DEP_1)
	v_pk_fma_f32 v[54:55], v[52:53], v[178:179], v[2:3] op_sel_hi:[1,0,1] neg_lo:[0,0,1] neg_hi:[0,0,1]
	v_pk_fma_f32 v[56:57], v[52:53], v[178:179], v[2:3] op_sel_hi:[1,0,1]
	ds_load_2addr_b64 v[2:5], v126 offset0:25 offset1:26
	v_dual_mov_b32 v178, v54 :: v_dual_mov_b32 v179, v57
	s_wait_dscnt 0x0
	v_pk_mul_f32 v[6:7], v[2:3], v[56:57] op_sel:[0,1]
	s_delay_alu instid0(VALU_DEP_1) | instskip(SKIP_1) | instid1(VALU_DEP_1)
	v_pk_fma_f32 v[58:59], v[2:3], v[54:55], v[6:7] op_sel:[0,0,1] op_sel_hi:[1,1,0] neg_lo:[0,0,1] neg_hi:[0,0,1]
	v_pk_fma_f32 v[2:3], v[2:3], v[54:55], v[6:7] op_sel:[0,0,1] op_sel_hi:[1,0,0]
	v_mov_b32_e32 v59, v3
	v_pk_mul_f32 v[2:3], v[4:5], v[56:57] op_sel:[0,1]
	s_delay_alu instid0(VALU_DEP_1) | instskip(SKIP_1) | instid1(VALU_DEP_1)
	v_pk_fma_f32 v[6:7], v[4:5], v[54:55], v[2:3] op_sel:[0,0,1] op_sel_hi:[1,1,0] neg_lo:[0,0,1] neg_hi:[0,0,1]
	v_pk_fma_f32 v[2:3], v[4:5], v[54:55], v[2:3] op_sel:[0,0,1] op_sel_hi:[1,0,0]
	v_mov_b32_e32 v7, v3
	ds_load_2addr_b64 v[2:5], v126 offset0:27 offset1:28
	v_pk_add_f32 v[180:181], v[180:181], v[58:59] neg_lo:[0,1] neg_hi:[0,1]
	v_pk_add_f32 v[182:183], v[182:183], v[6:7] neg_lo:[0,1] neg_hi:[0,1]
	s_wait_dscnt 0x0
	v_pk_mul_f32 v[6:7], v[2:3], v[56:57] op_sel:[0,1]
	s_delay_alu instid0(VALU_DEP_1) | instskip(SKIP_2) | instid1(VALU_DEP_2)
	v_pk_fma_f32 v[58:59], v[2:3], v[54:55], v[6:7] op_sel:[0,0,1] op_sel_hi:[1,1,0] neg_lo:[0,0,1] neg_hi:[0,0,1]
	v_pk_fma_f32 v[2:3], v[2:3], v[54:55], v[6:7] op_sel:[0,0,1] op_sel_hi:[1,0,0]
	v_dual_mul_f32 v6, v5, v57 :: v_dual_mov_b32 v2, v5
	v_dual_mov_b32 v59, v3 :: v_dual_mov_b32 v3, v4
	s_delay_alu instid0(VALU_DEP_2) | instskip(SKIP_1) | instid1(VALU_DEP_3)
	v_pk_fma_f32 v[6:7], v[4:5], v[178:179], v[6:7] op_sel_hi:[1,1,0] neg_lo:[0,0,1] neg_hi:[0,0,1]
	v_mul_f32_e32 v4, v5, v54
	v_pk_add_f32 v[184:185], v[184:185], v[58:59] neg_lo:[0,1] neg_hi:[0,1]
	s_delay_alu instid0(VALU_DEP_2) | instskip(NEXT) | instid1(VALU_DEP_1)
	v_pk_fma_f32 v[2:3], v[2:3], v[178:179], v[4:5] op_sel_hi:[1,1,0]
	v_mov_b32_e32 v7, v3
	ds_load_2addr_b64 v[2:5], v126 offset0:29 offset1:30
	v_pk_add_f32 v[186:187], v[186:187], v[6:7] neg_lo:[0,1] neg_hi:[0,1]
	s_wait_dscnt 0x0
	v_pk_mul_f32 v[6:7], v[2:3], v[56:57] op_sel:[0,1]
	s_delay_alu instid0(VALU_DEP_1) | instskip(SKIP_1) | instid1(VALU_DEP_1)
	v_pk_fma_f32 v[58:59], v[2:3], v[54:55], v[6:7] op_sel:[0,0,1] op_sel_hi:[1,1,0] neg_lo:[0,0,1] neg_hi:[0,0,1]
	v_pk_fma_f32 v[2:3], v[2:3], v[54:55], v[6:7] op_sel:[0,0,1] op_sel_hi:[1,0,0]
	v_mov_b32_e32 v59, v3
	v_pk_mul_f32 v[2:3], v[4:5], v[56:57] op_sel:[0,1]
	s_delay_alu instid0(VALU_DEP_1) | instskip(SKIP_1) | instid1(VALU_DEP_1)
	v_pk_fma_f32 v[6:7], v[4:5], v[54:55], v[2:3] op_sel:[0,0,1] op_sel_hi:[1,1,0] neg_lo:[0,0,1] neg_hi:[0,0,1]
	v_pk_fma_f32 v[2:3], v[4:5], v[54:55], v[2:3] op_sel:[0,0,1] op_sel_hi:[1,0,0]
	v_mov_b32_e32 v7, v3
	ds_load_2addr_b64 v[2:5], v126 offset0:31 offset1:32
	v_pk_add_f32 v[188:189], v[188:189], v[58:59] neg_lo:[0,1] neg_hi:[0,1]
	v_pk_add_f32 v[190:191], v[190:191], v[6:7] neg_lo:[0,1] neg_hi:[0,1]
	s_wait_dscnt 0x0
	v_pk_mul_f32 v[6:7], v[2:3], v[56:57] op_sel:[0,1]
	s_delay_alu instid0(VALU_DEP_1) | instskip(SKIP_1) | instid1(VALU_DEP_1)
	v_pk_fma_f32 v[58:59], v[2:3], v[54:55], v[6:7] op_sel:[0,0,1] op_sel_hi:[1,1,0] neg_lo:[0,0,1] neg_hi:[0,0,1]
	v_pk_fma_f32 v[2:3], v[2:3], v[54:55], v[6:7] op_sel:[0,0,1] op_sel_hi:[1,0,0]
	v_mov_b32_e32 v59, v3
	v_pk_mul_f32 v[2:3], v[4:5], v[56:57] op_sel:[0,1]
	s_delay_alu instid0(VALU_DEP_1) | instskip(SKIP_1) | instid1(VALU_DEP_1)
	v_pk_fma_f32 v[6:7], v[4:5], v[54:55], v[2:3] op_sel:[0,0,1] op_sel_hi:[1,1,0] neg_lo:[0,0,1] neg_hi:[0,0,1]
	v_pk_fma_f32 v[2:3], v[4:5], v[54:55], v[2:3] op_sel:[0,0,1] op_sel_hi:[1,0,0]
	v_mov_b32_e32 v7, v3
	ds_load_2addr_b64 v[2:5], v126 offset0:33 offset1:34
	v_pk_add_f32 v[192:193], v[192:193], v[58:59] neg_lo:[0,1] neg_hi:[0,1]
	v_pk_add_f32 v[194:195], v[194:195], v[6:7] neg_lo:[0,1] neg_hi:[0,1]
	s_wait_dscnt 0x0
	v_dual_mul_f32 v6, v3, v57 :: v_dual_mul_f32 v58, v3, v54
	s_delay_alu instid0(VALU_DEP_1) | instskip(NEXT) | instid1(VALU_DEP_2)
	v_pk_fma_f32 v[6:7], v[2:3], v[178:179], v[6:7] op_sel_hi:[1,1,0] neg_lo:[0,0,1] neg_hi:[0,0,1]
	v_pk_fma_f32 v[2:3], v[2:3], v[178:179], v[58:59] op_sel:[1,0,0] op_sel_hi:[0,1,0]
	s_delay_alu instid0(VALU_DEP_1) | instskip(SKIP_1) | instid1(VALU_DEP_2)
	v_mov_b32_e32 v7, v3
	v_pk_mul_f32 v[2:3], v[4:5], v[56:57] op_sel:[0,1]
	v_pk_add_f32 v[196:197], v[196:197], v[6:7] neg_lo:[0,1] neg_hi:[0,1]
	s_delay_alu instid0(VALU_DEP_2) | instskip(SKIP_1) | instid1(VALU_DEP_1)
	v_pk_fma_f32 v[6:7], v[4:5], v[54:55], v[2:3] op_sel:[0,0,1] op_sel_hi:[1,1,0] neg_lo:[0,0,1] neg_hi:[0,0,1]
	v_pk_fma_f32 v[2:3], v[4:5], v[54:55], v[2:3] op_sel:[0,0,1] op_sel_hi:[1,0,0]
	v_mov_b32_e32 v7, v3
	ds_load_2addr_b64 v[2:5], v126 offset0:35 offset1:36
	v_pk_add_f32 v[198:199], v[198:199], v[6:7] neg_lo:[0,1] neg_hi:[0,1]
	s_wait_dscnt 0x0
	v_pk_mul_f32 v[6:7], v[2:3], v[56:57] op_sel:[0,1]
	s_delay_alu instid0(VALU_DEP_1) | instskip(SKIP_1) | instid1(VALU_DEP_1)
	v_pk_fma_f32 v[58:59], v[2:3], v[54:55], v[6:7] op_sel:[0,0,1] op_sel_hi:[1,1,0] neg_lo:[0,0,1] neg_hi:[0,0,1]
	v_pk_fma_f32 v[2:3], v[2:3], v[54:55], v[6:7] op_sel:[0,0,1] op_sel_hi:[1,0,0]
	v_mov_b32_e32 v59, v3
	v_pk_mul_f32 v[2:3], v[4:5], v[56:57] op_sel:[0,1]
	s_delay_alu instid0(VALU_DEP_2) | instskip(NEXT) | instid1(VALU_DEP_2)
	v_pk_add_f32 v[200:201], v[200:201], v[58:59] neg_lo:[0,1] neg_hi:[0,1]
	v_pk_fma_f32 v[6:7], v[4:5], v[54:55], v[2:3] op_sel:[0,0,1] op_sel_hi:[1,1,0] neg_lo:[0,0,1] neg_hi:[0,0,1]
	v_pk_fma_f32 v[2:3], v[4:5], v[54:55], v[2:3] op_sel:[0,0,1] op_sel_hi:[1,0,0]
	s_delay_alu instid0(VALU_DEP_1) | instskip(SKIP_4) | instid1(VALU_DEP_1)
	v_mov_b32_e32 v7, v3
	ds_load_2addr_b64 v[2:5], v126 offset0:37 offset1:38
	v_pk_add_f32 v[202:203], v[202:203], v[6:7] neg_lo:[0,1] neg_hi:[0,1]
	s_wait_dscnt 0x0
	v_pk_mul_f32 v[6:7], v[2:3], v[56:57] op_sel:[0,1]
	v_pk_fma_f32 v[58:59], v[2:3], v[54:55], v[6:7] op_sel:[0,0,1] op_sel_hi:[1,1,0] neg_lo:[0,0,1] neg_hi:[0,0,1]
	v_pk_fma_f32 v[2:3], v[2:3], v[54:55], v[6:7] op_sel:[0,0,1] op_sel_hi:[1,0,0]
	v_dual_mul_f32 v6, v5, v57 :: v_dual_mov_b32 v2, v5
	s_delay_alu instid0(VALU_DEP_2) | instskip(NEXT) | instid1(VALU_DEP_2)
	v_dual_mov_b32 v59, v3 :: v_dual_mov_b32 v3, v4
	v_pk_fma_f32 v[6:7], v[4:5], v[178:179], v[6:7] op_sel_hi:[1,1,0] neg_lo:[0,0,1] neg_hi:[0,0,1]
	v_mul_f32_e32 v4, v5, v54
	s_delay_alu instid0(VALU_DEP_3) | instskip(NEXT) | instid1(VALU_DEP_2)
	v_pk_add_f32 v[204:205], v[204:205], v[58:59] neg_lo:[0,1] neg_hi:[0,1]
	v_pk_fma_f32 v[2:3], v[2:3], v[178:179], v[4:5] op_sel_hi:[1,1,0]
	s_delay_alu instid0(VALU_DEP_1) | instskip(SKIP_4) | instid1(VALU_DEP_1)
	v_mov_b32_e32 v7, v3
	ds_load_2addr_b64 v[2:5], v126 offset0:39 offset1:40
	v_pk_add_f32 v[206:207], v[206:207], v[6:7] neg_lo:[0,1] neg_hi:[0,1]
	s_wait_dscnt 0x0
	v_pk_mul_f32 v[6:7], v[2:3], v[56:57] op_sel:[0,1]
	v_pk_fma_f32 v[58:59], v[2:3], v[54:55], v[6:7] op_sel:[0,0,1] op_sel_hi:[1,1,0] neg_lo:[0,0,1] neg_hi:[0,0,1]
	v_pk_fma_f32 v[2:3], v[2:3], v[54:55], v[6:7] op_sel:[0,0,1] op_sel_hi:[1,0,0]
	s_delay_alu instid0(VALU_DEP_1) | instskip(SKIP_1) | instid1(VALU_DEP_1)
	v_mov_b32_e32 v59, v3
	v_pk_mul_f32 v[2:3], v[4:5], v[56:57] op_sel:[0,1]
	v_pk_fma_f32 v[6:7], v[4:5], v[54:55], v[2:3] op_sel:[0,0,1] op_sel_hi:[1,1,0] neg_lo:[0,0,1] neg_hi:[0,0,1]
	v_pk_fma_f32 v[2:3], v[4:5], v[54:55], v[2:3] op_sel:[0,0,1] op_sel_hi:[1,0,0]
	s_delay_alu instid0(VALU_DEP_1)
	v_mov_b32_e32 v7, v3
	ds_load_2addr_b64 v[2:5], v126 offset0:41 offset1:42
	v_pk_add_f32 v[208:209], v[208:209], v[58:59] neg_lo:[0,1] neg_hi:[0,1]
	v_pk_add_f32 v[210:211], v[210:211], v[6:7] neg_lo:[0,1] neg_hi:[0,1]
	s_wait_dscnt 0x0
	v_pk_mul_f32 v[6:7], v[2:3], v[56:57] op_sel:[0,1]
	s_delay_alu instid0(VALU_DEP_1) | instskip(SKIP_1) | instid1(VALU_DEP_1)
	v_pk_fma_f32 v[58:59], v[2:3], v[54:55], v[6:7] op_sel:[0,0,1] op_sel_hi:[1,1,0] neg_lo:[0,0,1] neg_hi:[0,0,1]
	v_pk_fma_f32 v[2:3], v[2:3], v[54:55], v[6:7] op_sel:[0,0,1] op_sel_hi:[1,0,0]
	v_mov_b32_e32 v59, v3
	v_pk_mul_f32 v[2:3], v[4:5], v[56:57] op_sel:[0,1]
	s_delay_alu instid0(VALU_DEP_1) | instskip(SKIP_1) | instid1(VALU_DEP_1)
	v_pk_fma_f32 v[6:7], v[4:5], v[54:55], v[2:3] op_sel:[0,0,1] op_sel_hi:[1,1,0] neg_lo:[0,0,1] neg_hi:[0,0,1]
	v_pk_fma_f32 v[2:3], v[4:5], v[54:55], v[2:3] op_sel:[0,0,1] op_sel_hi:[1,0,0]
	v_mov_b32_e32 v7, v3
	ds_load_2addr_b64 v[2:5], v126 offset0:43 offset1:44
	v_pk_add_f32 v[212:213], v[212:213], v[58:59] neg_lo:[0,1] neg_hi:[0,1]
	v_pk_add_f32 v[214:215], v[214:215], v[6:7] neg_lo:[0,1] neg_hi:[0,1]
	s_wait_dscnt 0x0
	v_dual_mul_f32 v6, v3, v57 :: v_dual_mul_f32 v58, v3, v54
	s_delay_alu instid0(VALU_DEP_1) | instskip(NEXT) | instid1(VALU_DEP_2)
	v_pk_fma_f32 v[6:7], v[2:3], v[178:179], v[6:7] op_sel_hi:[1,1,0] neg_lo:[0,0,1] neg_hi:[0,0,1]
	v_pk_fma_f32 v[2:3], v[2:3], v[178:179], v[58:59] op_sel:[1,0,0] op_sel_hi:[0,1,0]
	s_delay_alu instid0(VALU_DEP_1) | instskip(SKIP_1) | instid1(VALU_DEP_2)
	v_mov_b32_e32 v7, v3
	v_pk_mul_f32 v[2:3], v[4:5], v[56:57] op_sel:[0,1]
	v_pk_add_f32 v[216:217], v[216:217], v[6:7] neg_lo:[0,1] neg_hi:[0,1]
	s_delay_alu instid0(VALU_DEP_2) | instskip(SKIP_1) | instid1(VALU_DEP_1)
	v_pk_fma_f32 v[6:7], v[4:5], v[54:55], v[2:3] op_sel:[0,0,1] op_sel_hi:[1,1,0] neg_lo:[0,0,1] neg_hi:[0,0,1]
	v_pk_fma_f32 v[2:3], v[4:5], v[54:55], v[2:3] op_sel:[0,0,1] op_sel_hi:[1,0,0]
	v_mov_b32_e32 v7, v3
	ds_load_2addr_b64 v[2:5], v126 offset0:45 offset1:46
	v_pk_add_f32 v[218:219], v[218:219], v[6:7] neg_lo:[0,1] neg_hi:[0,1]
	s_wait_dscnt 0x0
	v_pk_mul_f32 v[6:7], v[2:3], v[56:57] op_sel:[0,1]
	s_delay_alu instid0(VALU_DEP_1) | instskip(SKIP_1) | instid1(VALU_DEP_1)
	v_pk_fma_f32 v[58:59], v[2:3], v[54:55], v[6:7] op_sel:[0,0,1] op_sel_hi:[1,1,0] neg_lo:[0,0,1] neg_hi:[0,0,1]
	v_pk_fma_f32 v[2:3], v[2:3], v[54:55], v[6:7] op_sel:[0,0,1] op_sel_hi:[1,0,0]
	v_mov_b32_e32 v59, v3
	v_pk_mul_f32 v[2:3], v[4:5], v[56:57] op_sel:[0,1]
	s_delay_alu instid0(VALU_DEP_2) | instskip(NEXT) | instid1(VALU_DEP_2)
	v_pk_add_f32 v[220:221], v[220:221], v[58:59] neg_lo:[0,1] neg_hi:[0,1]
	v_pk_fma_f32 v[6:7], v[4:5], v[54:55], v[2:3] op_sel:[0,0,1] op_sel_hi:[1,1,0] neg_lo:[0,0,1] neg_hi:[0,0,1]
	v_pk_fma_f32 v[2:3], v[4:5], v[54:55], v[2:3] op_sel:[0,0,1] op_sel_hi:[1,0,0]
	s_delay_alu instid0(VALU_DEP_1) | instskip(SKIP_4) | instid1(VALU_DEP_1)
	v_mov_b32_e32 v7, v3
	ds_load_2addr_b64 v[2:5], v126 offset0:47 offset1:48
	v_pk_add_f32 v[222:223], v[222:223], v[6:7] neg_lo:[0,1] neg_hi:[0,1]
	s_wait_dscnt 0x0
	v_pk_mul_f32 v[6:7], v[2:3], v[56:57] op_sel:[0,1]
	v_pk_fma_f32 v[58:59], v[2:3], v[54:55], v[6:7] op_sel:[0,0,1] op_sel_hi:[1,1,0] neg_lo:[0,0,1] neg_hi:[0,0,1]
	v_pk_fma_f32 v[2:3], v[2:3], v[54:55], v[6:7] op_sel:[0,0,1] op_sel_hi:[1,0,0]
	v_dual_mul_f32 v6, v5, v57 :: v_dual_mov_b32 v2, v5
	s_delay_alu instid0(VALU_DEP_2) | instskip(NEXT) | instid1(VALU_DEP_2)
	v_dual_mov_b32 v59, v3 :: v_dual_mov_b32 v3, v4
	v_pk_fma_f32 v[6:7], v[4:5], v[178:179], v[6:7] op_sel_hi:[1,1,0] neg_lo:[0,0,1] neg_hi:[0,0,1]
	v_mul_f32_e32 v4, v5, v54
	s_delay_alu instid0(VALU_DEP_3) | instskip(NEXT) | instid1(VALU_DEP_2)
	v_pk_add_f32 v[224:225], v[224:225], v[58:59] neg_lo:[0,1] neg_hi:[0,1]
	v_pk_fma_f32 v[2:3], v[2:3], v[178:179], v[4:5] op_sel_hi:[1,1,0]
	s_delay_alu instid0(VALU_DEP_1) | instskip(SKIP_4) | instid1(VALU_DEP_1)
	v_mov_b32_e32 v7, v3
	ds_load_2addr_b64 v[2:5], v126 offset0:49 offset1:50
	v_pk_add_f32 v[226:227], v[226:227], v[6:7] neg_lo:[0,1] neg_hi:[0,1]
	s_wait_dscnt 0x0
	v_pk_mul_f32 v[6:7], v[2:3], v[56:57] op_sel:[0,1]
	v_pk_fma_f32 v[58:59], v[2:3], v[54:55], v[6:7] op_sel:[0,0,1] op_sel_hi:[1,1,0] neg_lo:[0,0,1] neg_hi:[0,0,1]
	v_pk_fma_f32 v[2:3], v[2:3], v[54:55], v[6:7] op_sel:[0,0,1] op_sel_hi:[1,0,0]
	s_delay_alu instid0(VALU_DEP_1) | instskip(SKIP_1) | instid1(VALU_DEP_1)
	v_mov_b32_e32 v59, v3
	v_pk_mul_f32 v[2:3], v[4:5], v[56:57] op_sel:[0,1]
	v_pk_fma_f32 v[6:7], v[4:5], v[54:55], v[2:3] op_sel:[0,0,1] op_sel_hi:[1,1,0] neg_lo:[0,0,1] neg_hi:[0,0,1]
	v_pk_fma_f32 v[2:3], v[4:5], v[54:55], v[2:3] op_sel:[0,0,1] op_sel_hi:[1,0,0]
	s_delay_alu instid0(VALU_DEP_1)
	v_mov_b32_e32 v7, v3
	ds_load_2addr_b64 v[2:5], v126 offset0:51 offset1:52
	v_pk_add_f32 v[228:229], v[228:229], v[58:59] neg_lo:[0,1] neg_hi:[0,1]
	v_pk_add_f32 v[230:231], v[230:231], v[6:7] neg_lo:[0,1] neg_hi:[0,1]
	s_wait_dscnt 0x0
	v_pk_mul_f32 v[6:7], v[2:3], v[56:57] op_sel:[0,1]
	s_delay_alu instid0(VALU_DEP_1) | instskip(SKIP_1) | instid1(VALU_DEP_1)
	v_pk_fma_f32 v[58:59], v[2:3], v[54:55], v[6:7] op_sel:[0,0,1] op_sel_hi:[1,1,0] neg_lo:[0,0,1] neg_hi:[0,0,1]
	v_pk_fma_f32 v[2:3], v[2:3], v[54:55], v[6:7] op_sel:[0,0,1] op_sel_hi:[1,0,0]
	v_mov_b32_e32 v59, v3
	v_pk_mul_f32 v[2:3], v[4:5], v[56:57] op_sel:[0,1]
	s_delay_alu instid0(VALU_DEP_1) | instskip(SKIP_1) | instid1(VALU_DEP_1)
	v_pk_fma_f32 v[6:7], v[4:5], v[54:55], v[2:3] op_sel:[0,0,1] op_sel_hi:[1,1,0] neg_lo:[0,0,1] neg_hi:[0,0,1]
	v_pk_fma_f32 v[2:3], v[4:5], v[54:55], v[2:3] op_sel:[0,0,1] op_sel_hi:[1,0,0]
	v_mov_b32_e32 v7, v3
	ds_load_2addr_b64 v[2:5], v126 offset0:53 offset1:54
	v_pk_add_f32 v[232:233], v[232:233], v[58:59] neg_lo:[0,1] neg_hi:[0,1]
	v_pk_add_f32 v[234:235], v[234:235], v[6:7] neg_lo:[0,1] neg_hi:[0,1]
	s_wait_dscnt 0x0
	v_dual_mul_f32 v6, v3, v57 :: v_dual_mul_f32 v58, v3, v54
	s_delay_alu instid0(VALU_DEP_1) | instskip(NEXT) | instid1(VALU_DEP_2)
	v_pk_fma_f32 v[6:7], v[2:3], v[178:179], v[6:7] op_sel_hi:[1,1,0] neg_lo:[0,0,1] neg_hi:[0,0,1]
	v_pk_fma_f32 v[2:3], v[2:3], v[178:179], v[58:59] op_sel:[1,0,0] op_sel_hi:[0,1,0]
	s_delay_alu instid0(VALU_DEP_1) | instskip(SKIP_1) | instid1(VALU_DEP_2)
	v_mov_b32_e32 v7, v3
	v_pk_mul_f32 v[2:3], v[4:5], v[56:57] op_sel:[0,1]
	v_pk_add_f32 v[236:237], v[236:237], v[6:7] neg_lo:[0,1] neg_hi:[0,1]
	s_delay_alu instid0(VALU_DEP_2) | instskip(SKIP_1) | instid1(VALU_DEP_1)
	v_pk_fma_f32 v[6:7], v[4:5], v[54:55], v[2:3] op_sel:[0,0,1] op_sel_hi:[1,1,0] neg_lo:[0,0,1] neg_hi:[0,0,1]
	v_pk_fma_f32 v[2:3], v[4:5], v[54:55], v[2:3] op_sel:[0,0,1] op_sel_hi:[1,0,0]
	v_mov_b32_e32 v7, v3
	ds_load_2addr_b64 v[2:5], v126 offset0:55 offset1:56
	v_pk_add_f32 v[238:239], v[238:239], v[6:7] neg_lo:[0,1] neg_hi:[0,1]
	s_wait_dscnt 0x0
	v_pk_mul_f32 v[6:7], v[2:3], v[56:57] op_sel:[0,1]
	s_delay_alu instid0(VALU_DEP_1) | instskip(SKIP_1) | instid1(VALU_DEP_1)
	v_pk_fma_f32 v[58:59], v[2:3], v[54:55], v[6:7] op_sel:[0,0,1] op_sel_hi:[1,1,0] neg_lo:[0,0,1] neg_hi:[0,0,1]
	v_pk_fma_f32 v[2:3], v[2:3], v[54:55], v[6:7] op_sel:[0,0,1] op_sel_hi:[1,0,0]
	v_mov_b32_e32 v59, v3
	v_pk_mul_f32 v[2:3], v[4:5], v[56:57] op_sel:[0,1]
	s_delay_alu instid0(VALU_DEP_2) | instskip(NEXT) | instid1(VALU_DEP_2)
	v_pk_add_f32 v[240:241], v[240:241], v[58:59] neg_lo:[0,1] neg_hi:[0,1]
	v_pk_fma_f32 v[6:7], v[4:5], v[54:55], v[2:3] op_sel:[0,0,1] op_sel_hi:[1,1,0] neg_lo:[0,0,1] neg_hi:[0,0,1]
	v_pk_fma_f32 v[2:3], v[4:5], v[54:55], v[2:3] op_sel:[0,0,1] op_sel_hi:[1,0,0]
	s_delay_alu instid0(VALU_DEP_1) | instskip(SKIP_4) | instid1(VALU_DEP_1)
	v_mov_b32_e32 v7, v3
	ds_load_2addr_b64 v[2:5], v126 offset0:57 offset1:58
	v_pk_add_f32 v[252:253], v[252:253], v[6:7] neg_lo:[0,1] neg_hi:[0,1]
	s_wait_dscnt 0x0
	v_pk_mul_f32 v[6:7], v[2:3], v[56:57] op_sel:[0,1]
	v_pk_fma_f32 v[58:59], v[2:3], v[54:55], v[6:7] op_sel:[0,0,1] op_sel_hi:[1,1,0] neg_lo:[0,0,1] neg_hi:[0,0,1]
	v_pk_fma_f32 v[2:3], v[2:3], v[54:55], v[6:7] op_sel:[0,0,1] op_sel_hi:[1,0,0]
	v_dual_mul_f32 v6, v5, v57 :: v_dual_mov_b32 v2, v5
	s_delay_alu instid0(VALU_DEP_2) | instskip(NEXT) | instid1(VALU_DEP_2)
	v_dual_mov_b32 v59, v3 :: v_dual_mov_b32 v3, v4
	v_pk_fma_f32 v[6:7], v[4:5], v[178:179], v[6:7] op_sel_hi:[1,1,0] neg_lo:[0,0,1] neg_hi:[0,0,1]
	v_mul_f32_e32 v4, v5, v54
	s_delay_alu instid0(VALU_DEP_3) | instskip(NEXT) | instid1(VALU_DEP_2)
	v_pk_add_f32 v[246:247], v[246:247], v[58:59] neg_lo:[0,1] neg_hi:[0,1]
	v_pk_fma_f32 v[2:3], v[2:3], v[178:179], v[4:5] op_sel_hi:[1,1,0]
	s_delay_alu instid0(VALU_DEP_1) | instskip(SKIP_4) | instid1(VALU_DEP_1)
	v_mov_b32_e32 v7, v3
	ds_load_2addr_b64 v[2:5], v126 offset0:59 offset1:60
	v_pk_add_f32 v[250:251], v[250:251], v[6:7] neg_lo:[0,1] neg_hi:[0,1]
	s_wait_dscnt 0x0
	v_pk_mul_f32 v[6:7], v[2:3], v[56:57] op_sel:[0,1]
	v_pk_fma_f32 v[58:59], v[2:3], v[54:55], v[6:7] op_sel:[0,0,1] op_sel_hi:[1,1,0] neg_lo:[0,0,1] neg_hi:[0,0,1]
	v_pk_fma_f32 v[2:3], v[2:3], v[54:55], v[6:7] op_sel:[0,0,1] op_sel_hi:[1,0,0]
	s_delay_alu instid0(VALU_DEP_1) | instskip(SKIP_1) | instid1(VALU_DEP_1)
	v_mov_b32_e32 v59, v3
	v_pk_mul_f32 v[2:3], v[4:5], v[56:57] op_sel:[0,1]
	v_pk_fma_f32 v[6:7], v[4:5], v[54:55], v[2:3] op_sel:[0,0,1] op_sel_hi:[1,1,0] neg_lo:[0,0,1] neg_hi:[0,0,1]
	v_pk_fma_f32 v[2:3], v[4:5], v[54:55], v[2:3] op_sel:[0,0,1] op_sel_hi:[1,0,0]
	s_delay_alu instid0(VALU_DEP_1)
	v_mov_b32_e32 v7, v3
	ds_load_2addr_b64 v[2:5], v126 offset0:61 offset1:62
	v_pk_add_f32 v[244:245], v[244:245], v[58:59] neg_lo:[0,1] neg_hi:[0,1]
	v_pk_add_f32 v[248:249], v[248:249], v[6:7] neg_lo:[0,1] neg_hi:[0,1]
	s_wait_dscnt 0x0
	v_pk_mul_f32 v[6:7], v[2:3], v[56:57] op_sel:[0,1]
	s_delay_alu instid0(VALU_DEP_1) | instskip(SKIP_1) | instid1(VALU_DEP_1)
	v_pk_fma_f32 v[58:59], v[2:3], v[54:55], v[6:7] op_sel:[0,0,1] op_sel_hi:[1,1,0] neg_lo:[0,0,1] neg_hi:[0,0,1]
	v_pk_fma_f32 v[2:3], v[2:3], v[54:55], v[6:7] op_sel:[0,0,1] op_sel_hi:[1,0,0]
	v_mov_b32_e32 v59, v3
	v_pk_mul_f32 v[2:3], v[4:5], v[56:57] op_sel:[0,1]
	s_delay_alu instid0(VALU_DEP_1) | instskip(SKIP_1) | instid1(VALU_DEP_1)
	v_pk_fma_f32 v[6:7], v[4:5], v[54:55], v[2:3] op_sel:[0,0,1] op_sel_hi:[1,1,0] neg_lo:[0,0,1] neg_hi:[0,0,1]
	v_pk_fma_f32 v[2:3], v[4:5], v[54:55], v[2:3] op_sel:[0,0,1] op_sel_hi:[1,0,0]
	v_mov_b32_e32 v7, v3
	ds_load_b64 v[2:3], v126 offset:504
	v_pk_add_f32 v[242:243], v[242:243], v[58:59] neg_lo:[0,1] neg_hi:[0,1]
	v_pk_add_f32 v[254:255], v[254:255], v[6:7] neg_lo:[0,1] neg_hi:[0,1]
	s_wait_dscnt 0x0
	v_pk_mul_f32 v[4:5], v[2:3], v[56:57] op_sel:[0,1]
	s_delay_alu instid0(VALU_DEP_1) | instskip(SKIP_1) | instid1(VALU_DEP_1)
	v_pk_fma_f32 v[6:7], v[2:3], v[54:55], v[4:5] op_sel:[0,0,1] op_sel_hi:[1,1,0] neg_lo:[0,0,1] neg_hi:[0,0,1]
	v_pk_fma_f32 v[2:3], v[2:3], v[54:55], v[4:5] op_sel:[0,0,1] op_sel_hi:[1,0,0]
	v_mov_b32_e32 v7, v3
	s_delay_alu instid0(VALU_DEP_1)
	v_pk_add_f32 v[0:1], v[0:1], v[6:7] neg_lo:[0,1] neg_hi:[0,1]
.LBB127_226:
	s_or_b32 exec_lo, exec_lo, s1
	s_delay_alu instid0(SALU_CYCLE_1)
	s_mov_b32 s2, exec_lo
	s_wait_dscnt 0x0
	s_barrier_signal -1
	s_barrier_wait -1
	v_cmpx_eq_u32_e32 25, v18
	s_cbranch_execz .LBB127_233
; %bb.227:
	v_dual_mov_b32 v2, v182 :: v_dual_mov_b32 v3, v183
	v_dual_mov_b32 v4, v184 :: v_dual_mov_b32 v5, v185
	ds_store_b64 v19, v[180:181]
	ds_store_2addr_b64 v126, v[2:3], v[4:5] offset0:26 offset1:27
	v_dual_mov_b32 v2, v186 :: v_dual_mov_b32 v3, v187
	v_dual_mov_b32 v4, v188 :: v_dual_mov_b32 v5, v189
	ds_store_2addr_b64 v126, v[2:3], v[4:5] offset0:28 offset1:29
	v_dual_mov_b32 v2, v190 :: v_dual_mov_b32 v3, v191
	v_dual_mov_b32 v4, v192 :: v_dual_mov_b32 v5, v193
	;; [unrolled: 3-line block ×17, first 2 shown]
	ds_store_2addr_b64 v126, v[2:3], v[4:5] offset0:60 offset1:61
	v_dual_mov_b32 v2, v254 :: v_dual_mov_b32 v3, v255
	ds_store_2addr_b64 v126, v[2:3], v[0:1] offset0:62 offset1:63
	ds_load_b64 v[2:3], v19
	s_wait_dscnt 0x0
	v_cmp_neq_f32_e32 vcc_lo, 0, v2
	v_cmp_neq_f32_e64 s1, 0, v3
	s_or_b32 s1, vcc_lo, s1
	s_delay_alu instid0(SALU_CYCLE_1)
	s_and_b32 exec_lo, exec_lo, s1
	s_cbranch_execz .LBB127_233
; %bb.228:
	v_cmp_ngt_f32_e64 s1, |v2|, |v3|
                                        ; implicit-def: $vgpr4_vgpr5
	s_and_saveexec_b32 s4, s1
	s_delay_alu instid0(SALU_CYCLE_1)
	s_xor_b32 s1, exec_lo, s4
	s_cbranch_execz .LBB127_230
; %bb.229:
	v_div_scale_f32 v4, null, v3, v3, v2
	v_div_scale_f32 v7, vcc_lo, v2, v3, v2
	s_delay_alu instid0(VALU_DEP_2) | instskip(SKIP_1) | instid1(TRANS32_DEP_1)
	v_rcp_f32_e32 v5, v4
	v_nop
	v_fma_f32 v6, -v4, v5, 1.0
	s_delay_alu instid0(VALU_DEP_1) | instskip(NEXT) | instid1(VALU_DEP_1)
	v_fmac_f32_e32 v5, v6, v5
	v_mul_f32_e32 v6, v7, v5
	s_delay_alu instid0(VALU_DEP_1) | instskip(NEXT) | instid1(VALU_DEP_1)
	v_fma_f32 v8, -v4, v6, v7
	v_fmac_f32_e32 v6, v8, v5
	s_delay_alu instid0(VALU_DEP_1) | instskip(NEXT) | instid1(VALU_DEP_1)
	v_fma_f32 v4, -v4, v6, v7
	v_div_fmas_f32 v4, v4, v5, v6
	s_delay_alu instid0(VALU_DEP_1) | instskip(NEXT) | instid1(VALU_DEP_1)
	v_div_fixup_f32 v4, v4, v3, v2
	v_fmac_f32_e32 v3, v2, v4
	s_delay_alu instid0(VALU_DEP_1) | instskip(SKIP_1) | instid1(VALU_DEP_2)
	v_div_scale_f32 v2, null, v3, v3, 1.0
	v_div_scale_f32 v7, vcc_lo, 1.0, v3, 1.0
	v_rcp_f32_e32 v5, v2
	v_nop
	s_delay_alu instid0(TRANS32_DEP_1) | instskip(NEXT) | instid1(VALU_DEP_1)
	v_fma_f32 v6, -v2, v5, 1.0
	v_fmac_f32_e32 v5, v6, v5
	s_delay_alu instid0(VALU_DEP_1) | instskip(NEXT) | instid1(VALU_DEP_1)
	v_mul_f32_e32 v6, v7, v5
	v_fma_f32 v8, -v2, v6, v7
	s_delay_alu instid0(VALU_DEP_1) | instskip(NEXT) | instid1(VALU_DEP_1)
	v_fmac_f32_e32 v6, v8, v5
	v_fma_f32 v2, -v2, v6, v7
	s_delay_alu instid0(VALU_DEP_1) | instskip(NEXT) | instid1(VALU_DEP_1)
	v_div_fmas_f32 v2, v2, v5, v6
	v_div_fixup_f32 v2, v2, v3, 1.0
	s_delay_alu instid0(VALU_DEP_1)
	v_mul_f32_e32 v4, v4, v2
	v_xor_b32_e32 v5, 0x80000000, v2
                                        ; implicit-def: $vgpr2_vgpr3
.LBB127_230:
	s_and_not1_saveexec_b32 s1, s1
	s_cbranch_execz .LBB127_232
; %bb.231:
	v_div_scale_f32 v4, null, v2, v2, v3
	v_div_scale_f32 v7, vcc_lo, v3, v2, v3
	s_delay_alu instid0(VALU_DEP_2) | instskip(SKIP_1) | instid1(TRANS32_DEP_1)
	v_rcp_f32_e32 v5, v4
	v_nop
	v_fma_f32 v6, -v4, v5, 1.0
	s_delay_alu instid0(VALU_DEP_1) | instskip(NEXT) | instid1(VALU_DEP_1)
	v_fmac_f32_e32 v5, v6, v5
	v_mul_f32_e32 v6, v7, v5
	s_delay_alu instid0(VALU_DEP_1) | instskip(NEXT) | instid1(VALU_DEP_1)
	v_fma_f32 v8, -v4, v6, v7
	v_fmac_f32_e32 v6, v8, v5
	s_delay_alu instid0(VALU_DEP_1) | instskip(NEXT) | instid1(VALU_DEP_1)
	v_fma_f32 v4, -v4, v6, v7
	v_div_fmas_f32 v4, v4, v5, v6
	s_delay_alu instid0(VALU_DEP_1) | instskip(NEXT) | instid1(VALU_DEP_1)
	v_div_fixup_f32 v5, v4, v2, v3
	v_fmac_f32_e32 v2, v3, v5
	s_delay_alu instid0(VALU_DEP_1) | instskip(NEXT) | instid1(VALU_DEP_1)
	v_div_scale_f32 v3, null, v2, v2, 1.0
	v_rcp_f32_e32 v4, v3
	v_nop
	s_delay_alu instid0(TRANS32_DEP_1) | instskip(NEXT) | instid1(VALU_DEP_1)
	v_fma_f32 v6, -v3, v4, 1.0
	v_fmac_f32_e32 v4, v6, v4
	v_div_scale_f32 v6, vcc_lo, 1.0, v2, 1.0
	s_delay_alu instid0(VALU_DEP_1) | instskip(NEXT) | instid1(VALU_DEP_1)
	v_mul_f32_e32 v7, v6, v4
	v_fma_f32 v8, -v3, v7, v6
	s_delay_alu instid0(VALU_DEP_1) | instskip(NEXT) | instid1(VALU_DEP_1)
	v_fmac_f32_e32 v7, v8, v4
	v_fma_f32 v3, -v3, v7, v6
	s_delay_alu instid0(VALU_DEP_1) | instskip(NEXT) | instid1(VALU_DEP_1)
	v_div_fmas_f32 v3, v3, v4, v7
	v_div_fixup_f32 v4, v3, v2, 1.0
	s_delay_alu instid0(VALU_DEP_1)
	v_mul_f32_e64 v5, v5, -v4
.LBB127_232:
	s_or_b32 exec_lo, exec_lo, s1
	ds_store_b64 v19, v[4:5]
.LBB127_233:
	s_or_b32 exec_lo, exec_lo, s2
	s_wait_dscnt 0x0
	s_barrier_signal -1
	s_barrier_wait -1
	ds_load_b64 v[54:55], v19
	s_mov_b32 s1, exec_lo
	v_cmpx_lt_u32_e32 25, v18
	s_cbranch_execz .LBB127_235
; %bb.234:
	s_wait_dscnt 0x0
	v_pk_mul_f32 v[2:3], v[54:55], v[180:181] op_sel:[1,1] op_sel_hi:[0,1]
	s_delay_alu instid0(VALU_DEP_1)
	v_pk_fma_f32 v[56:57], v[54:55], v[180:181], v[2:3] op_sel_hi:[1,0,1] neg_lo:[0,0,1] neg_hi:[0,0,1]
	v_pk_fma_f32 v[58:59], v[54:55], v[180:181], v[2:3] op_sel_hi:[1,0,1]
	ds_load_2addr_b64 v[2:5], v126 offset0:26 offset1:27
	v_dual_mov_b32 v180, v56 :: v_dual_mov_b32 v181, v59
	s_wait_dscnt 0x0
	v_pk_mul_f32 v[6:7], v[2:3], v[58:59] op_sel:[0,1]
	s_delay_alu instid0(VALU_DEP_1) | instskip(SKIP_1) | instid1(VALU_DEP_1)
	v_pk_fma_f32 v[60:61], v[2:3], v[56:57], v[6:7] op_sel:[0,0,1] op_sel_hi:[1,1,0] neg_lo:[0,0,1] neg_hi:[0,0,1]
	v_pk_fma_f32 v[2:3], v[2:3], v[56:57], v[6:7] op_sel:[0,0,1] op_sel_hi:[1,0,0]
	v_mov_b32_e32 v61, v3
	v_pk_mul_f32 v[2:3], v[4:5], v[58:59] op_sel:[0,1]
	s_delay_alu instid0(VALU_DEP_1) | instskip(SKIP_1) | instid1(VALU_DEP_1)
	v_pk_fma_f32 v[6:7], v[4:5], v[56:57], v[2:3] op_sel:[0,0,1] op_sel_hi:[1,1,0] neg_lo:[0,0,1] neg_hi:[0,0,1]
	v_pk_fma_f32 v[2:3], v[4:5], v[56:57], v[2:3] op_sel:[0,0,1] op_sel_hi:[1,0,0]
	v_mov_b32_e32 v7, v3
	ds_load_2addr_b64 v[2:5], v126 offset0:28 offset1:29
	v_pk_add_f32 v[182:183], v[182:183], v[60:61] neg_lo:[0,1] neg_hi:[0,1]
	v_pk_add_f32 v[184:185], v[184:185], v[6:7] neg_lo:[0,1] neg_hi:[0,1]
	s_wait_dscnt 0x0
	v_pk_mul_f32 v[6:7], v[2:3], v[58:59] op_sel:[0,1]
	s_delay_alu instid0(VALU_DEP_1) | instskip(SKIP_2) | instid1(VALU_DEP_2)
	v_pk_fma_f32 v[60:61], v[2:3], v[56:57], v[6:7] op_sel:[0,0,1] op_sel_hi:[1,1,0] neg_lo:[0,0,1] neg_hi:[0,0,1]
	v_pk_fma_f32 v[2:3], v[2:3], v[56:57], v[6:7] op_sel:[0,0,1] op_sel_hi:[1,0,0]
	v_dual_mul_f32 v6, v5, v59 :: v_dual_mov_b32 v2, v5
	v_dual_mov_b32 v61, v3 :: v_dual_mov_b32 v3, v4
	s_delay_alu instid0(VALU_DEP_2) | instskip(SKIP_1) | instid1(VALU_DEP_3)
	v_pk_fma_f32 v[6:7], v[4:5], v[180:181], v[6:7] op_sel_hi:[1,1,0] neg_lo:[0,0,1] neg_hi:[0,0,1]
	v_mul_f32_e32 v4, v5, v56
	v_pk_add_f32 v[186:187], v[186:187], v[60:61] neg_lo:[0,1] neg_hi:[0,1]
	s_delay_alu instid0(VALU_DEP_2) | instskip(NEXT) | instid1(VALU_DEP_1)
	v_pk_fma_f32 v[2:3], v[2:3], v[180:181], v[4:5] op_sel_hi:[1,1,0]
	v_mov_b32_e32 v7, v3
	ds_load_2addr_b64 v[2:5], v126 offset0:30 offset1:31
	v_pk_add_f32 v[188:189], v[188:189], v[6:7] neg_lo:[0,1] neg_hi:[0,1]
	s_wait_dscnt 0x0
	v_pk_mul_f32 v[6:7], v[2:3], v[58:59] op_sel:[0,1]
	s_delay_alu instid0(VALU_DEP_1) | instskip(SKIP_1) | instid1(VALU_DEP_1)
	v_pk_fma_f32 v[60:61], v[2:3], v[56:57], v[6:7] op_sel:[0,0,1] op_sel_hi:[1,1,0] neg_lo:[0,0,1] neg_hi:[0,0,1]
	v_pk_fma_f32 v[2:3], v[2:3], v[56:57], v[6:7] op_sel:[0,0,1] op_sel_hi:[1,0,0]
	v_mov_b32_e32 v61, v3
	v_pk_mul_f32 v[2:3], v[4:5], v[58:59] op_sel:[0,1]
	s_delay_alu instid0(VALU_DEP_1) | instskip(SKIP_1) | instid1(VALU_DEP_1)
	v_pk_fma_f32 v[6:7], v[4:5], v[56:57], v[2:3] op_sel:[0,0,1] op_sel_hi:[1,1,0] neg_lo:[0,0,1] neg_hi:[0,0,1]
	v_pk_fma_f32 v[2:3], v[4:5], v[56:57], v[2:3] op_sel:[0,0,1] op_sel_hi:[1,0,0]
	v_mov_b32_e32 v7, v3
	ds_load_2addr_b64 v[2:5], v126 offset0:32 offset1:33
	v_pk_add_f32 v[190:191], v[190:191], v[60:61] neg_lo:[0,1] neg_hi:[0,1]
	v_pk_add_f32 v[192:193], v[192:193], v[6:7] neg_lo:[0,1] neg_hi:[0,1]
	s_wait_dscnt 0x0
	v_pk_mul_f32 v[6:7], v[2:3], v[58:59] op_sel:[0,1]
	s_delay_alu instid0(VALU_DEP_1) | instskip(SKIP_1) | instid1(VALU_DEP_1)
	v_pk_fma_f32 v[60:61], v[2:3], v[56:57], v[6:7] op_sel:[0,0,1] op_sel_hi:[1,1,0] neg_lo:[0,0,1] neg_hi:[0,0,1]
	v_pk_fma_f32 v[2:3], v[2:3], v[56:57], v[6:7] op_sel:[0,0,1] op_sel_hi:[1,0,0]
	v_mov_b32_e32 v61, v3
	v_pk_mul_f32 v[2:3], v[4:5], v[58:59] op_sel:[0,1]
	s_delay_alu instid0(VALU_DEP_1) | instskip(SKIP_1) | instid1(VALU_DEP_1)
	v_pk_fma_f32 v[6:7], v[4:5], v[56:57], v[2:3] op_sel:[0,0,1] op_sel_hi:[1,1,0] neg_lo:[0,0,1] neg_hi:[0,0,1]
	v_pk_fma_f32 v[2:3], v[4:5], v[56:57], v[2:3] op_sel:[0,0,1] op_sel_hi:[1,0,0]
	v_mov_b32_e32 v7, v3
	ds_load_2addr_b64 v[2:5], v126 offset0:34 offset1:35
	v_pk_add_f32 v[194:195], v[194:195], v[60:61] neg_lo:[0,1] neg_hi:[0,1]
	v_pk_add_f32 v[196:197], v[196:197], v[6:7] neg_lo:[0,1] neg_hi:[0,1]
	s_wait_dscnt 0x0
	v_dual_mul_f32 v6, v3, v59 :: v_dual_mul_f32 v60, v3, v56
	s_delay_alu instid0(VALU_DEP_1) | instskip(NEXT) | instid1(VALU_DEP_2)
	v_pk_fma_f32 v[6:7], v[2:3], v[180:181], v[6:7] op_sel_hi:[1,1,0] neg_lo:[0,0,1] neg_hi:[0,0,1]
	v_pk_fma_f32 v[2:3], v[2:3], v[180:181], v[60:61] op_sel:[1,0,0] op_sel_hi:[0,1,0]
	s_delay_alu instid0(VALU_DEP_1) | instskip(SKIP_1) | instid1(VALU_DEP_2)
	v_mov_b32_e32 v7, v3
	v_pk_mul_f32 v[2:3], v[4:5], v[58:59] op_sel:[0,1]
	v_pk_add_f32 v[198:199], v[198:199], v[6:7] neg_lo:[0,1] neg_hi:[0,1]
	s_delay_alu instid0(VALU_DEP_2) | instskip(SKIP_1) | instid1(VALU_DEP_1)
	v_pk_fma_f32 v[6:7], v[4:5], v[56:57], v[2:3] op_sel:[0,0,1] op_sel_hi:[1,1,0] neg_lo:[0,0,1] neg_hi:[0,0,1]
	v_pk_fma_f32 v[2:3], v[4:5], v[56:57], v[2:3] op_sel:[0,0,1] op_sel_hi:[1,0,0]
	v_mov_b32_e32 v7, v3
	ds_load_2addr_b64 v[2:5], v126 offset0:36 offset1:37
	v_pk_add_f32 v[200:201], v[200:201], v[6:7] neg_lo:[0,1] neg_hi:[0,1]
	s_wait_dscnt 0x0
	v_pk_mul_f32 v[6:7], v[2:3], v[58:59] op_sel:[0,1]
	s_delay_alu instid0(VALU_DEP_1) | instskip(SKIP_1) | instid1(VALU_DEP_1)
	v_pk_fma_f32 v[60:61], v[2:3], v[56:57], v[6:7] op_sel:[0,0,1] op_sel_hi:[1,1,0] neg_lo:[0,0,1] neg_hi:[0,0,1]
	v_pk_fma_f32 v[2:3], v[2:3], v[56:57], v[6:7] op_sel:[0,0,1] op_sel_hi:[1,0,0]
	v_mov_b32_e32 v61, v3
	v_pk_mul_f32 v[2:3], v[4:5], v[58:59] op_sel:[0,1]
	s_delay_alu instid0(VALU_DEP_2) | instskip(NEXT) | instid1(VALU_DEP_2)
	v_pk_add_f32 v[202:203], v[202:203], v[60:61] neg_lo:[0,1] neg_hi:[0,1]
	v_pk_fma_f32 v[6:7], v[4:5], v[56:57], v[2:3] op_sel:[0,0,1] op_sel_hi:[1,1,0] neg_lo:[0,0,1] neg_hi:[0,0,1]
	v_pk_fma_f32 v[2:3], v[4:5], v[56:57], v[2:3] op_sel:[0,0,1] op_sel_hi:[1,0,0]
	s_delay_alu instid0(VALU_DEP_1) | instskip(SKIP_4) | instid1(VALU_DEP_1)
	v_mov_b32_e32 v7, v3
	ds_load_2addr_b64 v[2:5], v126 offset0:38 offset1:39
	v_pk_add_f32 v[204:205], v[204:205], v[6:7] neg_lo:[0,1] neg_hi:[0,1]
	s_wait_dscnt 0x0
	v_pk_mul_f32 v[6:7], v[2:3], v[58:59] op_sel:[0,1]
	v_pk_fma_f32 v[60:61], v[2:3], v[56:57], v[6:7] op_sel:[0,0,1] op_sel_hi:[1,1,0] neg_lo:[0,0,1] neg_hi:[0,0,1]
	v_pk_fma_f32 v[2:3], v[2:3], v[56:57], v[6:7] op_sel:[0,0,1] op_sel_hi:[1,0,0]
	v_dual_mul_f32 v6, v5, v59 :: v_dual_mov_b32 v2, v5
	s_delay_alu instid0(VALU_DEP_2) | instskip(NEXT) | instid1(VALU_DEP_2)
	v_dual_mov_b32 v61, v3 :: v_dual_mov_b32 v3, v4
	v_pk_fma_f32 v[6:7], v[4:5], v[180:181], v[6:7] op_sel_hi:[1,1,0] neg_lo:[0,0,1] neg_hi:[0,0,1]
	v_mul_f32_e32 v4, v5, v56
	s_delay_alu instid0(VALU_DEP_3) | instskip(NEXT) | instid1(VALU_DEP_2)
	v_pk_add_f32 v[206:207], v[206:207], v[60:61] neg_lo:[0,1] neg_hi:[0,1]
	v_pk_fma_f32 v[2:3], v[2:3], v[180:181], v[4:5] op_sel_hi:[1,1,0]
	s_delay_alu instid0(VALU_DEP_1) | instskip(SKIP_4) | instid1(VALU_DEP_1)
	v_mov_b32_e32 v7, v3
	ds_load_2addr_b64 v[2:5], v126 offset0:40 offset1:41
	v_pk_add_f32 v[208:209], v[208:209], v[6:7] neg_lo:[0,1] neg_hi:[0,1]
	s_wait_dscnt 0x0
	v_pk_mul_f32 v[6:7], v[2:3], v[58:59] op_sel:[0,1]
	v_pk_fma_f32 v[60:61], v[2:3], v[56:57], v[6:7] op_sel:[0,0,1] op_sel_hi:[1,1,0] neg_lo:[0,0,1] neg_hi:[0,0,1]
	v_pk_fma_f32 v[2:3], v[2:3], v[56:57], v[6:7] op_sel:[0,0,1] op_sel_hi:[1,0,0]
	s_delay_alu instid0(VALU_DEP_1) | instskip(SKIP_1) | instid1(VALU_DEP_1)
	v_mov_b32_e32 v61, v3
	v_pk_mul_f32 v[2:3], v[4:5], v[58:59] op_sel:[0,1]
	v_pk_fma_f32 v[6:7], v[4:5], v[56:57], v[2:3] op_sel:[0,0,1] op_sel_hi:[1,1,0] neg_lo:[0,0,1] neg_hi:[0,0,1]
	v_pk_fma_f32 v[2:3], v[4:5], v[56:57], v[2:3] op_sel:[0,0,1] op_sel_hi:[1,0,0]
	s_delay_alu instid0(VALU_DEP_1)
	v_mov_b32_e32 v7, v3
	ds_load_2addr_b64 v[2:5], v126 offset0:42 offset1:43
	v_pk_add_f32 v[210:211], v[210:211], v[60:61] neg_lo:[0,1] neg_hi:[0,1]
	v_pk_add_f32 v[212:213], v[212:213], v[6:7] neg_lo:[0,1] neg_hi:[0,1]
	s_wait_dscnt 0x0
	v_pk_mul_f32 v[6:7], v[2:3], v[58:59] op_sel:[0,1]
	s_delay_alu instid0(VALU_DEP_1) | instskip(SKIP_1) | instid1(VALU_DEP_1)
	v_pk_fma_f32 v[60:61], v[2:3], v[56:57], v[6:7] op_sel:[0,0,1] op_sel_hi:[1,1,0] neg_lo:[0,0,1] neg_hi:[0,0,1]
	v_pk_fma_f32 v[2:3], v[2:3], v[56:57], v[6:7] op_sel:[0,0,1] op_sel_hi:[1,0,0]
	v_mov_b32_e32 v61, v3
	v_pk_mul_f32 v[2:3], v[4:5], v[58:59] op_sel:[0,1]
	s_delay_alu instid0(VALU_DEP_1) | instskip(SKIP_1) | instid1(VALU_DEP_1)
	v_pk_fma_f32 v[6:7], v[4:5], v[56:57], v[2:3] op_sel:[0,0,1] op_sel_hi:[1,1,0] neg_lo:[0,0,1] neg_hi:[0,0,1]
	v_pk_fma_f32 v[2:3], v[4:5], v[56:57], v[2:3] op_sel:[0,0,1] op_sel_hi:[1,0,0]
	v_mov_b32_e32 v7, v3
	ds_load_2addr_b64 v[2:5], v126 offset0:44 offset1:45
	v_pk_add_f32 v[214:215], v[214:215], v[60:61] neg_lo:[0,1] neg_hi:[0,1]
	v_pk_add_f32 v[216:217], v[216:217], v[6:7] neg_lo:[0,1] neg_hi:[0,1]
	s_wait_dscnt 0x0
	v_dual_mul_f32 v6, v3, v59 :: v_dual_mul_f32 v60, v3, v56
	s_delay_alu instid0(VALU_DEP_1) | instskip(NEXT) | instid1(VALU_DEP_2)
	v_pk_fma_f32 v[6:7], v[2:3], v[180:181], v[6:7] op_sel_hi:[1,1,0] neg_lo:[0,0,1] neg_hi:[0,0,1]
	v_pk_fma_f32 v[2:3], v[2:3], v[180:181], v[60:61] op_sel:[1,0,0] op_sel_hi:[0,1,0]
	s_delay_alu instid0(VALU_DEP_1) | instskip(SKIP_1) | instid1(VALU_DEP_2)
	v_mov_b32_e32 v7, v3
	v_pk_mul_f32 v[2:3], v[4:5], v[58:59] op_sel:[0,1]
	v_pk_add_f32 v[218:219], v[218:219], v[6:7] neg_lo:[0,1] neg_hi:[0,1]
	s_delay_alu instid0(VALU_DEP_2) | instskip(SKIP_1) | instid1(VALU_DEP_1)
	v_pk_fma_f32 v[6:7], v[4:5], v[56:57], v[2:3] op_sel:[0,0,1] op_sel_hi:[1,1,0] neg_lo:[0,0,1] neg_hi:[0,0,1]
	v_pk_fma_f32 v[2:3], v[4:5], v[56:57], v[2:3] op_sel:[0,0,1] op_sel_hi:[1,0,0]
	v_mov_b32_e32 v7, v3
	ds_load_2addr_b64 v[2:5], v126 offset0:46 offset1:47
	v_pk_add_f32 v[220:221], v[220:221], v[6:7] neg_lo:[0,1] neg_hi:[0,1]
	s_wait_dscnt 0x0
	v_pk_mul_f32 v[6:7], v[2:3], v[58:59] op_sel:[0,1]
	s_delay_alu instid0(VALU_DEP_1) | instskip(SKIP_1) | instid1(VALU_DEP_1)
	v_pk_fma_f32 v[60:61], v[2:3], v[56:57], v[6:7] op_sel:[0,0,1] op_sel_hi:[1,1,0] neg_lo:[0,0,1] neg_hi:[0,0,1]
	v_pk_fma_f32 v[2:3], v[2:3], v[56:57], v[6:7] op_sel:[0,0,1] op_sel_hi:[1,0,0]
	v_mov_b32_e32 v61, v3
	v_pk_mul_f32 v[2:3], v[4:5], v[58:59] op_sel:[0,1]
	s_delay_alu instid0(VALU_DEP_2) | instskip(NEXT) | instid1(VALU_DEP_2)
	v_pk_add_f32 v[222:223], v[222:223], v[60:61] neg_lo:[0,1] neg_hi:[0,1]
	v_pk_fma_f32 v[6:7], v[4:5], v[56:57], v[2:3] op_sel:[0,0,1] op_sel_hi:[1,1,0] neg_lo:[0,0,1] neg_hi:[0,0,1]
	v_pk_fma_f32 v[2:3], v[4:5], v[56:57], v[2:3] op_sel:[0,0,1] op_sel_hi:[1,0,0]
	s_delay_alu instid0(VALU_DEP_1) | instskip(SKIP_4) | instid1(VALU_DEP_1)
	v_mov_b32_e32 v7, v3
	ds_load_2addr_b64 v[2:5], v126 offset0:48 offset1:49
	v_pk_add_f32 v[224:225], v[224:225], v[6:7] neg_lo:[0,1] neg_hi:[0,1]
	s_wait_dscnt 0x0
	v_pk_mul_f32 v[6:7], v[2:3], v[58:59] op_sel:[0,1]
	v_pk_fma_f32 v[60:61], v[2:3], v[56:57], v[6:7] op_sel:[0,0,1] op_sel_hi:[1,1,0] neg_lo:[0,0,1] neg_hi:[0,0,1]
	v_pk_fma_f32 v[2:3], v[2:3], v[56:57], v[6:7] op_sel:[0,0,1] op_sel_hi:[1,0,0]
	v_dual_mul_f32 v6, v5, v59 :: v_dual_mov_b32 v2, v5
	s_delay_alu instid0(VALU_DEP_2) | instskip(NEXT) | instid1(VALU_DEP_2)
	v_dual_mov_b32 v61, v3 :: v_dual_mov_b32 v3, v4
	v_pk_fma_f32 v[6:7], v[4:5], v[180:181], v[6:7] op_sel_hi:[1,1,0] neg_lo:[0,0,1] neg_hi:[0,0,1]
	v_mul_f32_e32 v4, v5, v56
	s_delay_alu instid0(VALU_DEP_3) | instskip(NEXT) | instid1(VALU_DEP_2)
	v_pk_add_f32 v[226:227], v[226:227], v[60:61] neg_lo:[0,1] neg_hi:[0,1]
	v_pk_fma_f32 v[2:3], v[2:3], v[180:181], v[4:5] op_sel_hi:[1,1,0]
	s_delay_alu instid0(VALU_DEP_1) | instskip(SKIP_4) | instid1(VALU_DEP_1)
	v_mov_b32_e32 v7, v3
	ds_load_2addr_b64 v[2:5], v126 offset0:50 offset1:51
	v_pk_add_f32 v[228:229], v[228:229], v[6:7] neg_lo:[0,1] neg_hi:[0,1]
	s_wait_dscnt 0x0
	v_pk_mul_f32 v[6:7], v[2:3], v[58:59] op_sel:[0,1]
	v_pk_fma_f32 v[60:61], v[2:3], v[56:57], v[6:7] op_sel:[0,0,1] op_sel_hi:[1,1,0] neg_lo:[0,0,1] neg_hi:[0,0,1]
	v_pk_fma_f32 v[2:3], v[2:3], v[56:57], v[6:7] op_sel:[0,0,1] op_sel_hi:[1,0,0]
	s_delay_alu instid0(VALU_DEP_1) | instskip(SKIP_1) | instid1(VALU_DEP_1)
	v_mov_b32_e32 v61, v3
	v_pk_mul_f32 v[2:3], v[4:5], v[58:59] op_sel:[0,1]
	v_pk_fma_f32 v[6:7], v[4:5], v[56:57], v[2:3] op_sel:[0,0,1] op_sel_hi:[1,1,0] neg_lo:[0,0,1] neg_hi:[0,0,1]
	v_pk_fma_f32 v[2:3], v[4:5], v[56:57], v[2:3] op_sel:[0,0,1] op_sel_hi:[1,0,0]
	s_delay_alu instid0(VALU_DEP_1)
	v_mov_b32_e32 v7, v3
	ds_load_2addr_b64 v[2:5], v126 offset0:52 offset1:53
	v_pk_add_f32 v[230:231], v[230:231], v[60:61] neg_lo:[0,1] neg_hi:[0,1]
	v_pk_add_f32 v[232:233], v[232:233], v[6:7] neg_lo:[0,1] neg_hi:[0,1]
	s_wait_dscnt 0x0
	v_pk_mul_f32 v[6:7], v[2:3], v[58:59] op_sel:[0,1]
	s_delay_alu instid0(VALU_DEP_1) | instskip(SKIP_1) | instid1(VALU_DEP_1)
	v_pk_fma_f32 v[60:61], v[2:3], v[56:57], v[6:7] op_sel:[0,0,1] op_sel_hi:[1,1,0] neg_lo:[0,0,1] neg_hi:[0,0,1]
	v_pk_fma_f32 v[2:3], v[2:3], v[56:57], v[6:7] op_sel:[0,0,1] op_sel_hi:[1,0,0]
	v_mov_b32_e32 v61, v3
	v_pk_mul_f32 v[2:3], v[4:5], v[58:59] op_sel:[0,1]
	s_delay_alu instid0(VALU_DEP_1) | instskip(SKIP_1) | instid1(VALU_DEP_1)
	v_pk_fma_f32 v[6:7], v[4:5], v[56:57], v[2:3] op_sel:[0,0,1] op_sel_hi:[1,1,0] neg_lo:[0,0,1] neg_hi:[0,0,1]
	v_pk_fma_f32 v[2:3], v[4:5], v[56:57], v[2:3] op_sel:[0,0,1] op_sel_hi:[1,0,0]
	v_mov_b32_e32 v7, v3
	ds_load_2addr_b64 v[2:5], v126 offset0:54 offset1:55
	v_pk_add_f32 v[234:235], v[234:235], v[60:61] neg_lo:[0,1] neg_hi:[0,1]
	v_pk_add_f32 v[236:237], v[236:237], v[6:7] neg_lo:[0,1] neg_hi:[0,1]
	s_wait_dscnt 0x0
	v_dual_mul_f32 v6, v3, v59 :: v_dual_mul_f32 v60, v3, v56
	s_delay_alu instid0(VALU_DEP_1) | instskip(NEXT) | instid1(VALU_DEP_2)
	v_pk_fma_f32 v[6:7], v[2:3], v[180:181], v[6:7] op_sel_hi:[1,1,0] neg_lo:[0,0,1] neg_hi:[0,0,1]
	v_pk_fma_f32 v[2:3], v[2:3], v[180:181], v[60:61] op_sel:[1,0,0] op_sel_hi:[0,1,0]
	s_delay_alu instid0(VALU_DEP_1) | instskip(SKIP_1) | instid1(VALU_DEP_2)
	v_mov_b32_e32 v7, v3
	v_pk_mul_f32 v[2:3], v[4:5], v[58:59] op_sel:[0,1]
	v_pk_add_f32 v[238:239], v[238:239], v[6:7] neg_lo:[0,1] neg_hi:[0,1]
	s_delay_alu instid0(VALU_DEP_2) | instskip(SKIP_1) | instid1(VALU_DEP_1)
	v_pk_fma_f32 v[6:7], v[4:5], v[56:57], v[2:3] op_sel:[0,0,1] op_sel_hi:[1,1,0] neg_lo:[0,0,1] neg_hi:[0,0,1]
	v_pk_fma_f32 v[2:3], v[4:5], v[56:57], v[2:3] op_sel:[0,0,1] op_sel_hi:[1,0,0]
	v_mov_b32_e32 v7, v3
	ds_load_2addr_b64 v[2:5], v126 offset0:56 offset1:57
	v_pk_add_f32 v[240:241], v[240:241], v[6:7] neg_lo:[0,1] neg_hi:[0,1]
	s_wait_dscnt 0x0
	v_pk_mul_f32 v[6:7], v[2:3], v[58:59] op_sel:[0,1]
	s_delay_alu instid0(VALU_DEP_1) | instskip(SKIP_1) | instid1(VALU_DEP_1)
	v_pk_fma_f32 v[60:61], v[2:3], v[56:57], v[6:7] op_sel:[0,0,1] op_sel_hi:[1,1,0] neg_lo:[0,0,1] neg_hi:[0,0,1]
	v_pk_fma_f32 v[2:3], v[2:3], v[56:57], v[6:7] op_sel:[0,0,1] op_sel_hi:[1,0,0]
	v_mov_b32_e32 v61, v3
	v_pk_mul_f32 v[2:3], v[4:5], v[58:59] op_sel:[0,1]
	s_delay_alu instid0(VALU_DEP_2) | instskip(NEXT) | instid1(VALU_DEP_2)
	v_pk_add_f32 v[252:253], v[252:253], v[60:61] neg_lo:[0,1] neg_hi:[0,1]
	v_pk_fma_f32 v[6:7], v[4:5], v[56:57], v[2:3] op_sel:[0,0,1] op_sel_hi:[1,1,0] neg_lo:[0,0,1] neg_hi:[0,0,1]
	v_pk_fma_f32 v[2:3], v[4:5], v[56:57], v[2:3] op_sel:[0,0,1] op_sel_hi:[1,0,0]
	s_delay_alu instid0(VALU_DEP_1) | instskip(SKIP_4) | instid1(VALU_DEP_1)
	v_mov_b32_e32 v7, v3
	ds_load_2addr_b64 v[2:5], v126 offset0:58 offset1:59
	v_pk_add_f32 v[246:247], v[246:247], v[6:7] neg_lo:[0,1] neg_hi:[0,1]
	s_wait_dscnt 0x0
	v_pk_mul_f32 v[6:7], v[2:3], v[58:59] op_sel:[0,1]
	v_pk_fma_f32 v[60:61], v[2:3], v[56:57], v[6:7] op_sel:[0,0,1] op_sel_hi:[1,1,0] neg_lo:[0,0,1] neg_hi:[0,0,1]
	v_pk_fma_f32 v[2:3], v[2:3], v[56:57], v[6:7] op_sel:[0,0,1] op_sel_hi:[1,0,0]
	v_dual_mul_f32 v6, v5, v59 :: v_dual_mov_b32 v2, v5
	s_delay_alu instid0(VALU_DEP_2) | instskip(NEXT) | instid1(VALU_DEP_2)
	v_dual_mov_b32 v61, v3 :: v_dual_mov_b32 v3, v4
	v_pk_fma_f32 v[6:7], v[4:5], v[180:181], v[6:7] op_sel_hi:[1,1,0] neg_lo:[0,0,1] neg_hi:[0,0,1]
	v_mul_f32_e32 v4, v5, v56
	s_delay_alu instid0(VALU_DEP_3) | instskip(NEXT) | instid1(VALU_DEP_2)
	v_pk_add_f32 v[250:251], v[250:251], v[60:61] neg_lo:[0,1] neg_hi:[0,1]
	v_pk_fma_f32 v[2:3], v[2:3], v[180:181], v[4:5] op_sel_hi:[1,1,0]
	s_delay_alu instid0(VALU_DEP_1) | instskip(SKIP_4) | instid1(VALU_DEP_1)
	v_mov_b32_e32 v7, v3
	ds_load_2addr_b64 v[2:5], v126 offset0:60 offset1:61
	v_pk_add_f32 v[244:245], v[244:245], v[6:7] neg_lo:[0,1] neg_hi:[0,1]
	s_wait_dscnt 0x0
	v_pk_mul_f32 v[6:7], v[2:3], v[58:59] op_sel:[0,1]
	v_pk_fma_f32 v[60:61], v[2:3], v[56:57], v[6:7] op_sel:[0,0,1] op_sel_hi:[1,1,0] neg_lo:[0,0,1] neg_hi:[0,0,1]
	v_pk_fma_f32 v[2:3], v[2:3], v[56:57], v[6:7] op_sel:[0,0,1] op_sel_hi:[1,0,0]
	s_delay_alu instid0(VALU_DEP_1) | instskip(SKIP_1) | instid1(VALU_DEP_1)
	v_mov_b32_e32 v61, v3
	v_pk_mul_f32 v[2:3], v[4:5], v[58:59] op_sel:[0,1]
	v_pk_fma_f32 v[6:7], v[4:5], v[56:57], v[2:3] op_sel:[0,0,1] op_sel_hi:[1,1,0] neg_lo:[0,0,1] neg_hi:[0,0,1]
	v_pk_fma_f32 v[2:3], v[4:5], v[56:57], v[2:3] op_sel:[0,0,1] op_sel_hi:[1,0,0]
	s_delay_alu instid0(VALU_DEP_1)
	v_mov_b32_e32 v7, v3
	ds_load_2addr_b64 v[2:5], v126 offset0:62 offset1:63
	v_pk_add_f32 v[248:249], v[248:249], v[60:61] neg_lo:[0,1] neg_hi:[0,1]
	v_pk_add_f32 v[242:243], v[242:243], v[6:7] neg_lo:[0,1] neg_hi:[0,1]
	s_wait_dscnt 0x0
	v_pk_mul_f32 v[6:7], v[2:3], v[58:59] op_sel:[0,1]
	s_delay_alu instid0(VALU_DEP_1) | instskip(SKIP_1) | instid1(VALU_DEP_1)
	v_pk_fma_f32 v[60:61], v[2:3], v[56:57], v[6:7] op_sel:[0,0,1] op_sel_hi:[1,1,0] neg_lo:[0,0,1] neg_hi:[0,0,1]
	v_pk_fma_f32 v[2:3], v[2:3], v[56:57], v[6:7] op_sel:[0,0,1] op_sel_hi:[1,0,0]
	v_mov_b32_e32 v61, v3
	v_pk_mul_f32 v[2:3], v[4:5], v[58:59] op_sel:[0,1]
	s_delay_alu instid0(VALU_DEP_1) | instskip(SKIP_1) | instid1(VALU_DEP_1)
	v_pk_fma_f32 v[6:7], v[4:5], v[56:57], v[2:3] op_sel:[0,0,1] op_sel_hi:[1,1,0] neg_lo:[0,0,1] neg_hi:[0,0,1]
	v_pk_fma_f32 v[2:3], v[4:5], v[56:57], v[2:3] op_sel:[0,0,1] op_sel_hi:[1,0,0]
	v_mov_b32_e32 v7, v3
	v_pk_add_f32 v[254:255], v[254:255], v[60:61] neg_lo:[0,1] neg_hi:[0,1]
	s_delay_alu instid0(VALU_DEP_2)
	v_pk_add_f32 v[0:1], v[0:1], v[6:7] neg_lo:[0,1] neg_hi:[0,1]
.LBB127_235:
	s_or_b32 exec_lo, exec_lo, s1
	s_delay_alu instid0(SALU_CYCLE_1)
	s_mov_b32 s2, exec_lo
	s_wait_dscnt 0x0
	s_barrier_signal -1
	s_barrier_wait -1
	v_cmpx_eq_u32_e32 26, v18
	s_cbranch_execz .LBB127_242
; %bb.236:
	ds_store_b64 v19, v[182:183]
	ds_store_2addr_b64 v126, v[184:185], v[186:187] offset0:27 offset1:28
	ds_store_2addr_b64 v126, v[188:189], v[190:191] offset0:29 offset1:30
	;; [unrolled: 1-line block ×18, first 2 shown]
	ds_store_b64 v126, v[0:1] offset:504
	ds_load_b64 v[2:3], v19
	s_wait_dscnt 0x0
	v_cmp_neq_f32_e32 vcc_lo, 0, v2
	v_cmp_neq_f32_e64 s1, 0, v3
	s_or_b32 s1, vcc_lo, s1
	s_delay_alu instid0(SALU_CYCLE_1)
	s_and_b32 exec_lo, exec_lo, s1
	s_cbranch_execz .LBB127_242
; %bb.237:
	v_cmp_ngt_f32_e64 s1, |v2|, |v3|
                                        ; implicit-def: $vgpr4_vgpr5
	s_and_saveexec_b32 s4, s1
	s_delay_alu instid0(SALU_CYCLE_1)
	s_xor_b32 s1, exec_lo, s4
	s_cbranch_execz .LBB127_239
; %bb.238:
	v_div_scale_f32 v4, null, v3, v3, v2
	v_div_scale_f32 v7, vcc_lo, v2, v3, v2
	s_delay_alu instid0(VALU_DEP_2) | instskip(SKIP_1) | instid1(TRANS32_DEP_1)
	v_rcp_f32_e32 v5, v4
	v_nop
	v_fma_f32 v6, -v4, v5, 1.0
	s_delay_alu instid0(VALU_DEP_1) | instskip(NEXT) | instid1(VALU_DEP_1)
	v_fmac_f32_e32 v5, v6, v5
	v_mul_f32_e32 v6, v7, v5
	s_delay_alu instid0(VALU_DEP_1) | instskip(NEXT) | instid1(VALU_DEP_1)
	v_fma_f32 v8, -v4, v6, v7
	v_fmac_f32_e32 v6, v8, v5
	s_delay_alu instid0(VALU_DEP_1) | instskip(NEXT) | instid1(VALU_DEP_1)
	v_fma_f32 v4, -v4, v6, v7
	v_div_fmas_f32 v4, v4, v5, v6
	s_delay_alu instid0(VALU_DEP_1) | instskip(NEXT) | instid1(VALU_DEP_1)
	v_div_fixup_f32 v4, v4, v3, v2
	v_fmac_f32_e32 v3, v2, v4
	s_delay_alu instid0(VALU_DEP_1) | instskip(SKIP_1) | instid1(VALU_DEP_2)
	v_div_scale_f32 v2, null, v3, v3, 1.0
	v_div_scale_f32 v7, vcc_lo, 1.0, v3, 1.0
	v_rcp_f32_e32 v5, v2
	v_nop
	s_delay_alu instid0(TRANS32_DEP_1) | instskip(NEXT) | instid1(VALU_DEP_1)
	v_fma_f32 v6, -v2, v5, 1.0
	v_fmac_f32_e32 v5, v6, v5
	s_delay_alu instid0(VALU_DEP_1) | instskip(NEXT) | instid1(VALU_DEP_1)
	v_mul_f32_e32 v6, v7, v5
	v_fma_f32 v8, -v2, v6, v7
	s_delay_alu instid0(VALU_DEP_1) | instskip(NEXT) | instid1(VALU_DEP_1)
	v_fmac_f32_e32 v6, v8, v5
	v_fma_f32 v2, -v2, v6, v7
	s_delay_alu instid0(VALU_DEP_1) | instskip(NEXT) | instid1(VALU_DEP_1)
	v_div_fmas_f32 v2, v2, v5, v6
	v_div_fixup_f32 v2, v2, v3, 1.0
	s_delay_alu instid0(VALU_DEP_1)
	v_mul_f32_e32 v4, v4, v2
	v_xor_b32_e32 v5, 0x80000000, v2
                                        ; implicit-def: $vgpr2_vgpr3
.LBB127_239:
	s_and_not1_saveexec_b32 s1, s1
	s_cbranch_execz .LBB127_241
; %bb.240:
	v_div_scale_f32 v4, null, v2, v2, v3
	v_div_scale_f32 v7, vcc_lo, v3, v2, v3
	s_delay_alu instid0(VALU_DEP_2) | instskip(SKIP_1) | instid1(TRANS32_DEP_1)
	v_rcp_f32_e32 v5, v4
	v_nop
	v_fma_f32 v6, -v4, v5, 1.0
	s_delay_alu instid0(VALU_DEP_1) | instskip(NEXT) | instid1(VALU_DEP_1)
	v_fmac_f32_e32 v5, v6, v5
	v_mul_f32_e32 v6, v7, v5
	s_delay_alu instid0(VALU_DEP_1) | instskip(NEXT) | instid1(VALU_DEP_1)
	v_fma_f32 v8, -v4, v6, v7
	v_fmac_f32_e32 v6, v8, v5
	s_delay_alu instid0(VALU_DEP_1) | instskip(NEXT) | instid1(VALU_DEP_1)
	v_fma_f32 v4, -v4, v6, v7
	v_div_fmas_f32 v4, v4, v5, v6
	s_delay_alu instid0(VALU_DEP_1) | instskip(NEXT) | instid1(VALU_DEP_1)
	v_div_fixup_f32 v5, v4, v2, v3
	v_fmac_f32_e32 v2, v3, v5
	s_delay_alu instid0(VALU_DEP_1) | instskip(NEXT) | instid1(VALU_DEP_1)
	v_div_scale_f32 v3, null, v2, v2, 1.0
	v_rcp_f32_e32 v4, v3
	v_nop
	s_delay_alu instid0(TRANS32_DEP_1) | instskip(NEXT) | instid1(VALU_DEP_1)
	v_fma_f32 v6, -v3, v4, 1.0
	v_fmac_f32_e32 v4, v6, v4
	v_div_scale_f32 v6, vcc_lo, 1.0, v2, 1.0
	s_delay_alu instid0(VALU_DEP_1) | instskip(NEXT) | instid1(VALU_DEP_1)
	v_mul_f32_e32 v7, v6, v4
	v_fma_f32 v8, -v3, v7, v6
	s_delay_alu instid0(VALU_DEP_1) | instskip(NEXT) | instid1(VALU_DEP_1)
	v_fmac_f32_e32 v7, v8, v4
	v_fma_f32 v3, -v3, v7, v6
	s_delay_alu instid0(VALU_DEP_1) | instskip(NEXT) | instid1(VALU_DEP_1)
	v_div_fmas_f32 v3, v3, v4, v7
	v_div_fixup_f32 v4, v3, v2, 1.0
	s_delay_alu instid0(VALU_DEP_1)
	v_mul_f32_e64 v5, v5, -v4
.LBB127_241:
	s_or_b32 exec_lo, exec_lo, s1
	ds_store_b64 v19, v[4:5]
.LBB127_242:
	s_or_b32 exec_lo, exec_lo, s2
	s_wait_dscnt 0x0
	s_barrier_signal -1
	s_barrier_wait -1
	ds_load_b64 v[56:57], v19
	s_mov_b32 s1, exec_lo
	v_cmpx_lt_u32_e32 26, v18
	s_cbranch_execz .LBB127_244
; %bb.243:
	s_wait_dscnt 0x0
	v_pk_mul_f32 v[2:3], v[56:57], v[182:183] op_sel:[1,1] op_sel_hi:[0,1]
	s_delay_alu instid0(VALU_DEP_1)
	v_pk_fma_f32 v[58:59], v[56:57], v[182:183], v[2:3] op_sel_hi:[1,0,1] neg_lo:[0,0,1] neg_hi:[0,0,1]
	v_pk_fma_f32 v[60:61], v[56:57], v[182:183], v[2:3] op_sel_hi:[1,0,1]
	ds_load_2addr_b64 v[2:5], v126 offset0:27 offset1:28
	v_dual_mov_b32 v182, v58 :: v_dual_mov_b32 v183, v61
	s_wait_dscnt 0x0
	v_pk_mul_f32 v[6:7], v[2:3], v[60:61] op_sel:[0,1]
	s_delay_alu instid0(VALU_DEP_1) | instskip(SKIP_1) | instid1(VALU_DEP_1)
	v_pk_fma_f32 v[62:63], v[2:3], v[58:59], v[6:7] op_sel:[0,0,1] op_sel_hi:[1,1,0] neg_lo:[0,0,1] neg_hi:[0,0,1]
	v_pk_fma_f32 v[2:3], v[2:3], v[58:59], v[6:7] op_sel:[0,0,1] op_sel_hi:[1,0,0]
	v_mov_b32_e32 v63, v3
	v_pk_mul_f32 v[2:3], v[4:5], v[60:61] op_sel:[0,1]
	s_delay_alu instid0(VALU_DEP_1) | instskip(SKIP_1) | instid1(VALU_DEP_1)
	v_pk_fma_f32 v[6:7], v[4:5], v[58:59], v[2:3] op_sel:[0,0,1] op_sel_hi:[1,1,0] neg_lo:[0,0,1] neg_hi:[0,0,1]
	v_pk_fma_f32 v[2:3], v[4:5], v[58:59], v[2:3] op_sel:[0,0,1] op_sel_hi:[1,0,0]
	v_mov_b32_e32 v7, v3
	ds_load_2addr_b64 v[2:5], v126 offset0:29 offset1:30
	v_pk_add_f32 v[184:185], v[184:185], v[62:63] neg_lo:[0,1] neg_hi:[0,1]
	v_pk_add_f32 v[186:187], v[186:187], v[6:7] neg_lo:[0,1] neg_hi:[0,1]
	s_wait_dscnt 0x0
	v_pk_mul_f32 v[6:7], v[2:3], v[60:61] op_sel:[0,1]
	s_delay_alu instid0(VALU_DEP_1) | instskip(SKIP_2) | instid1(VALU_DEP_2)
	v_pk_fma_f32 v[62:63], v[2:3], v[58:59], v[6:7] op_sel:[0,0,1] op_sel_hi:[1,1,0] neg_lo:[0,0,1] neg_hi:[0,0,1]
	v_pk_fma_f32 v[2:3], v[2:3], v[58:59], v[6:7] op_sel:[0,0,1] op_sel_hi:[1,0,0]
	v_dual_mul_f32 v6, v5, v61 :: v_dual_mov_b32 v2, v5
	v_dual_mov_b32 v63, v3 :: v_dual_mov_b32 v3, v4
	s_delay_alu instid0(VALU_DEP_2) | instskip(SKIP_1) | instid1(VALU_DEP_3)
	v_pk_fma_f32 v[6:7], v[4:5], v[182:183], v[6:7] op_sel_hi:[1,1,0] neg_lo:[0,0,1] neg_hi:[0,0,1]
	v_mul_f32_e32 v4, v5, v58
	v_pk_add_f32 v[188:189], v[188:189], v[62:63] neg_lo:[0,1] neg_hi:[0,1]
	s_delay_alu instid0(VALU_DEP_2) | instskip(NEXT) | instid1(VALU_DEP_1)
	v_pk_fma_f32 v[2:3], v[2:3], v[182:183], v[4:5] op_sel_hi:[1,1,0]
	v_mov_b32_e32 v7, v3
	ds_load_2addr_b64 v[2:5], v126 offset0:31 offset1:32
	v_pk_add_f32 v[190:191], v[190:191], v[6:7] neg_lo:[0,1] neg_hi:[0,1]
	s_wait_dscnt 0x0
	v_pk_mul_f32 v[6:7], v[2:3], v[60:61] op_sel:[0,1]
	s_delay_alu instid0(VALU_DEP_1) | instskip(SKIP_1) | instid1(VALU_DEP_1)
	v_pk_fma_f32 v[62:63], v[2:3], v[58:59], v[6:7] op_sel:[0,0,1] op_sel_hi:[1,1,0] neg_lo:[0,0,1] neg_hi:[0,0,1]
	v_pk_fma_f32 v[2:3], v[2:3], v[58:59], v[6:7] op_sel:[0,0,1] op_sel_hi:[1,0,0]
	v_mov_b32_e32 v63, v3
	v_pk_mul_f32 v[2:3], v[4:5], v[60:61] op_sel:[0,1]
	s_delay_alu instid0(VALU_DEP_1) | instskip(SKIP_1) | instid1(VALU_DEP_1)
	v_pk_fma_f32 v[6:7], v[4:5], v[58:59], v[2:3] op_sel:[0,0,1] op_sel_hi:[1,1,0] neg_lo:[0,0,1] neg_hi:[0,0,1]
	v_pk_fma_f32 v[2:3], v[4:5], v[58:59], v[2:3] op_sel:[0,0,1] op_sel_hi:[1,0,0]
	v_mov_b32_e32 v7, v3
	ds_load_2addr_b64 v[2:5], v126 offset0:33 offset1:34
	v_pk_add_f32 v[192:193], v[192:193], v[62:63] neg_lo:[0,1] neg_hi:[0,1]
	v_pk_add_f32 v[194:195], v[194:195], v[6:7] neg_lo:[0,1] neg_hi:[0,1]
	s_wait_dscnt 0x0
	v_pk_mul_f32 v[6:7], v[2:3], v[60:61] op_sel:[0,1]
	s_delay_alu instid0(VALU_DEP_1) | instskip(SKIP_1) | instid1(VALU_DEP_1)
	v_pk_fma_f32 v[62:63], v[2:3], v[58:59], v[6:7] op_sel:[0,0,1] op_sel_hi:[1,1,0] neg_lo:[0,0,1] neg_hi:[0,0,1]
	v_pk_fma_f32 v[2:3], v[2:3], v[58:59], v[6:7] op_sel:[0,0,1] op_sel_hi:[1,0,0]
	v_mov_b32_e32 v63, v3
	v_pk_mul_f32 v[2:3], v[4:5], v[60:61] op_sel:[0,1]
	s_delay_alu instid0(VALU_DEP_1) | instskip(SKIP_1) | instid1(VALU_DEP_1)
	v_pk_fma_f32 v[6:7], v[4:5], v[58:59], v[2:3] op_sel:[0,0,1] op_sel_hi:[1,1,0] neg_lo:[0,0,1] neg_hi:[0,0,1]
	v_pk_fma_f32 v[2:3], v[4:5], v[58:59], v[2:3] op_sel:[0,0,1] op_sel_hi:[1,0,0]
	v_mov_b32_e32 v7, v3
	ds_load_2addr_b64 v[2:5], v126 offset0:35 offset1:36
	v_pk_add_f32 v[196:197], v[196:197], v[62:63] neg_lo:[0,1] neg_hi:[0,1]
	v_pk_add_f32 v[198:199], v[198:199], v[6:7] neg_lo:[0,1] neg_hi:[0,1]
	s_wait_dscnt 0x0
	v_dual_mul_f32 v6, v3, v61 :: v_dual_mul_f32 v62, v3, v58
	s_delay_alu instid0(VALU_DEP_1) | instskip(NEXT) | instid1(VALU_DEP_2)
	v_pk_fma_f32 v[6:7], v[2:3], v[182:183], v[6:7] op_sel_hi:[1,1,0] neg_lo:[0,0,1] neg_hi:[0,0,1]
	v_pk_fma_f32 v[2:3], v[2:3], v[182:183], v[62:63] op_sel:[1,0,0] op_sel_hi:[0,1,0]
	s_delay_alu instid0(VALU_DEP_1) | instskip(SKIP_1) | instid1(VALU_DEP_2)
	v_mov_b32_e32 v7, v3
	v_pk_mul_f32 v[2:3], v[4:5], v[60:61] op_sel:[0,1]
	v_pk_add_f32 v[200:201], v[200:201], v[6:7] neg_lo:[0,1] neg_hi:[0,1]
	s_delay_alu instid0(VALU_DEP_2) | instskip(SKIP_1) | instid1(VALU_DEP_1)
	v_pk_fma_f32 v[6:7], v[4:5], v[58:59], v[2:3] op_sel:[0,0,1] op_sel_hi:[1,1,0] neg_lo:[0,0,1] neg_hi:[0,0,1]
	v_pk_fma_f32 v[2:3], v[4:5], v[58:59], v[2:3] op_sel:[0,0,1] op_sel_hi:[1,0,0]
	v_mov_b32_e32 v7, v3
	ds_load_2addr_b64 v[2:5], v126 offset0:37 offset1:38
	v_pk_add_f32 v[202:203], v[202:203], v[6:7] neg_lo:[0,1] neg_hi:[0,1]
	s_wait_dscnt 0x0
	v_pk_mul_f32 v[6:7], v[2:3], v[60:61] op_sel:[0,1]
	s_delay_alu instid0(VALU_DEP_1) | instskip(SKIP_1) | instid1(VALU_DEP_1)
	v_pk_fma_f32 v[62:63], v[2:3], v[58:59], v[6:7] op_sel:[0,0,1] op_sel_hi:[1,1,0] neg_lo:[0,0,1] neg_hi:[0,0,1]
	v_pk_fma_f32 v[2:3], v[2:3], v[58:59], v[6:7] op_sel:[0,0,1] op_sel_hi:[1,0,0]
	v_mov_b32_e32 v63, v3
	v_pk_mul_f32 v[2:3], v[4:5], v[60:61] op_sel:[0,1]
	s_delay_alu instid0(VALU_DEP_2) | instskip(NEXT) | instid1(VALU_DEP_2)
	v_pk_add_f32 v[204:205], v[204:205], v[62:63] neg_lo:[0,1] neg_hi:[0,1]
	v_pk_fma_f32 v[6:7], v[4:5], v[58:59], v[2:3] op_sel:[0,0,1] op_sel_hi:[1,1,0] neg_lo:[0,0,1] neg_hi:[0,0,1]
	v_pk_fma_f32 v[2:3], v[4:5], v[58:59], v[2:3] op_sel:[0,0,1] op_sel_hi:[1,0,0]
	s_delay_alu instid0(VALU_DEP_1) | instskip(SKIP_4) | instid1(VALU_DEP_1)
	v_mov_b32_e32 v7, v3
	ds_load_2addr_b64 v[2:5], v126 offset0:39 offset1:40
	v_pk_add_f32 v[206:207], v[206:207], v[6:7] neg_lo:[0,1] neg_hi:[0,1]
	s_wait_dscnt 0x0
	v_pk_mul_f32 v[6:7], v[2:3], v[60:61] op_sel:[0,1]
	v_pk_fma_f32 v[62:63], v[2:3], v[58:59], v[6:7] op_sel:[0,0,1] op_sel_hi:[1,1,0] neg_lo:[0,0,1] neg_hi:[0,0,1]
	v_pk_fma_f32 v[2:3], v[2:3], v[58:59], v[6:7] op_sel:[0,0,1] op_sel_hi:[1,0,0]
	v_dual_mul_f32 v6, v5, v61 :: v_dual_mov_b32 v2, v5
	s_delay_alu instid0(VALU_DEP_2) | instskip(NEXT) | instid1(VALU_DEP_2)
	v_dual_mov_b32 v63, v3 :: v_dual_mov_b32 v3, v4
	v_pk_fma_f32 v[6:7], v[4:5], v[182:183], v[6:7] op_sel_hi:[1,1,0] neg_lo:[0,0,1] neg_hi:[0,0,1]
	v_mul_f32_e32 v4, v5, v58
	s_delay_alu instid0(VALU_DEP_3) | instskip(NEXT) | instid1(VALU_DEP_2)
	v_pk_add_f32 v[208:209], v[208:209], v[62:63] neg_lo:[0,1] neg_hi:[0,1]
	v_pk_fma_f32 v[2:3], v[2:3], v[182:183], v[4:5] op_sel_hi:[1,1,0]
	s_delay_alu instid0(VALU_DEP_1) | instskip(SKIP_4) | instid1(VALU_DEP_1)
	v_mov_b32_e32 v7, v3
	ds_load_2addr_b64 v[2:5], v126 offset0:41 offset1:42
	v_pk_add_f32 v[210:211], v[210:211], v[6:7] neg_lo:[0,1] neg_hi:[0,1]
	s_wait_dscnt 0x0
	v_pk_mul_f32 v[6:7], v[2:3], v[60:61] op_sel:[0,1]
	v_pk_fma_f32 v[62:63], v[2:3], v[58:59], v[6:7] op_sel:[0,0,1] op_sel_hi:[1,1,0] neg_lo:[0,0,1] neg_hi:[0,0,1]
	v_pk_fma_f32 v[2:3], v[2:3], v[58:59], v[6:7] op_sel:[0,0,1] op_sel_hi:[1,0,0]
	s_delay_alu instid0(VALU_DEP_1) | instskip(SKIP_1) | instid1(VALU_DEP_1)
	v_mov_b32_e32 v63, v3
	v_pk_mul_f32 v[2:3], v[4:5], v[60:61] op_sel:[0,1]
	v_pk_fma_f32 v[6:7], v[4:5], v[58:59], v[2:3] op_sel:[0,0,1] op_sel_hi:[1,1,0] neg_lo:[0,0,1] neg_hi:[0,0,1]
	v_pk_fma_f32 v[2:3], v[4:5], v[58:59], v[2:3] op_sel:[0,0,1] op_sel_hi:[1,0,0]
	s_delay_alu instid0(VALU_DEP_1)
	v_mov_b32_e32 v7, v3
	ds_load_2addr_b64 v[2:5], v126 offset0:43 offset1:44
	v_pk_add_f32 v[212:213], v[212:213], v[62:63] neg_lo:[0,1] neg_hi:[0,1]
	v_pk_add_f32 v[214:215], v[214:215], v[6:7] neg_lo:[0,1] neg_hi:[0,1]
	s_wait_dscnt 0x0
	v_pk_mul_f32 v[6:7], v[2:3], v[60:61] op_sel:[0,1]
	s_delay_alu instid0(VALU_DEP_1) | instskip(SKIP_1) | instid1(VALU_DEP_1)
	v_pk_fma_f32 v[62:63], v[2:3], v[58:59], v[6:7] op_sel:[0,0,1] op_sel_hi:[1,1,0] neg_lo:[0,0,1] neg_hi:[0,0,1]
	v_pk_fma_f32 v[2:3], v[2:3], v[58:59], v[6:7] op_sel:[0,0,1] op_sel_hi:[1,0,0]
	v_mov_b32_e32 v63, v3
	v_pk_mul_f32 v[2:3], v[4:5], v[60:61] op_sel:[0,1]
	s_delay_alu instid0(VALU_DEP_1) | instskip(SKIP_1) | instid1(VALU_DEP_1)
	v_pk_fma_f32 v[6:7], v[4:5], v[58:59], v[2:3] op_sel:[0,0,1] op_sel_hi:[1,1,0] neg_lo:[0,0,1] neg_hi:[0,0,1]
	v_pk_fma_f32 v[2:3], v[4:5], v[58:59], v[2:3] op_sel:[0,0,1] op_sel_hi:[1,0,0]
	v_mov_b32_e32 v7, v3
	ds_load_2addr_b64 v[2:5], v126 offset0:45 offset1:46
	v_pk_add_f32 v[216:217], v[216:217], v[62:63] neg_lo:[0,1] neg_hi:[0,1]
	v_pk_add_f32 v[218:219], v[218:219], v[6:7] neg_lo:[0,1] neg_hi:[0,1]
	s_wait_dscnt 0x0
	v_dual_mul_f32 v6, v3, v61 :: v_dual_mul_f32 v62, v3, v58
	s_delay_alu instid0(VALU_DEP_1) | instskip(NEXT) | instid1(VALU_DEP_2)
	v_pk_fma_f32 v[6:7], v[2:3], v[182:183], v[6:7] op_sel_hi:[1,1,0] neg_lo:[0,0,1] neg_hi:[0,0,1]
	v_pk_fma_f32 v[2:3], v[2:3], v[182:183], v[62:63] op_sel:[1,0,0] op_sel_hi:[0,1,0]
	s_delay_alu instid0(VALU_DEP_1) | instskip(SKIP_1) | instid1(VALU_DEP_2)
	v_mov_b32_e32 v7, v3
	v_pk_mul_f32 v[2:3], v[4:5], v[60:61] op_sel:[0,1]
	v_pk_add_f32 v[220:221], v[220:221], v[6:7] neg_lo:[0,1] neg_hi:[0,1]
	s_delay_alu instid0(VALU_DEP_2) | instskip(SKIP_1) | instid1(VALU_DEP_1)
	v_pk_fma_f32 v[6:7], v[4:5], v[58:59], v[2:3] op_sel:[0,0,1] op_sel_hi:[1,1,0] neg_lo:[0,0,1] neg_hi:[0,0,1]
	v_pk_fma_f32 v[2:3], v[4:5], v[58:59], v[2:3] op_sel:[0,0,1] op_sel_hi:[1,0,0]
	v_mov_b32_e32 v7, v3
	ds_load_2addr_b64 v[2:5], v126 offset0:47 offset1:48
	v_pk_add_f32 v[222:223], v[222:223], v[6:7] neg_lo:[0,1] neg_hi:[0,1]
	s_wait_dscnt 0x0
	v_pk_mul_f32 v[6:7], v[2:3], v[60:61] op_sel:[0,1]
	s_delay_alu instid0(VALU_DEP_1) | instskip(SKIP_1) | instid1(VALU_DEP_1)
	v_pk_fma_f32 v[62:63], v[2:3], v[58:59], v[6:7] op_sel:[0,0,1] op_sel_hi:[1,1,0] neg_lo:[0,0,1] neg_hi:[0,0,1]
	v_pk_fma_f32 v[2:3], v[2:3], v[58:59], v[6:7] op_sel:[0,0,1] op_sel_hi:[1,0,0]
	v_mov_b32_e32 v63, v3
	v_pk_mul_f32 v[2:3], v[4:5], v[60:61] op_sel:[0,1]
	s_delay_alu instid0(VALU_DEP_2) | instskip(NEXT) | instid1(VALU_DEP_2)
	v_pk_add_f32 v[224:225], v[224:225], v[62:63] neg_lo:[0,1] neg_hi:[0,1]
	v_pk_fma_f32 v[6:7], v[4:5], v[58:59], v[2:3] op_sel:[0,0,1] op_sel_hi:[1,1,0] neg_lo:[0,0,1] neg_hi:[0,0,1]
	v_pk_fma_f32 v[2:3], v[4:5], v[58:59], v[2:3] op_sel:[0,0,1] op_sel_hi:[1,0,0]
	s_delay_alu instid0(VALU_DEP_1) | instskip(SKIP_4) | instid1(VALU_DEP_1)
	v_mov_b32_e32 v7, v3
	ds_load_2addr_b64 v[2:5], v126 offset0:49 offset1:50
	v_pk_add_f32 v[226:227], v[226:227], v[6:7] neg_lo:[0,1] neg_hi:[0,1]
	s_wait_dscnt 0x0
	v_pk_mul_f32 v[6:7], v[2:3], v[60:61] op_sel:[0,1]
	v_pk_fma_f32 v[62:63], v[2:3], v[58:59], v[6:7] op_sel:[0,0,1] op_sel_hi:[1,1,0] neg_lo:[0,0,1] neg_hi:[0,0,1]
	v_pk_fma_f32 v[2:3], v[2:3], v[58:59], v[6:7] op_sel:[0,0,1] op_sel_hi:[1,0,0]
	v_dual_mul_f32 v6, v5, v61 :: v_dual_mov_b32 v2, v5
	s_delay_alu instid0(VALU_DEP_2) | instskip(NEXT) | instid1(VALU_DEP_2)
	v_dual_mov_b32 v63, v3 :: v_dual_mov_b32 v3, v4
	v_pk_fma_f32 v[6:7], v[4:5], v[182:183], v[6:7] op_sel_hi:[1,1,0] neg_lo:[0,0,1] neg_hi:[0,0,1]
	v_mul_f32_e32 v4, v5, v58
	s_delay_alu instid0(VALU_DEP_3) | instskip(NEXT) | instid1(VALU_DEP_2)
	v_pk_add_f32 v[228:229], v[228:229], v[62:63] neg_lo:[0,1] neg_hi:[0,1]
	v_pk_fma_f32 v[2:3], v[2:3], v[182:183], v[4:5] op_sel_hi:[1,1,0]
	s_delay_alu instid0(VALU_DEP_1) | instskip(SKIP_4) | instid1(VALU_DEP_1)
	v_mov_b32_e32 v7, v3
	ds_load_2addr_b64 v[2:5], v126 offset0:51 offset1:52
	v_pk_add_f32 v[230:231], v[230:231], v[6:7] neg_lo:[0,1] neg_hi:[0,1]
	s_wait_dscnt 0x0
	v_pk_mul_f32 v[6:7], v[2:3], v[60:61] op_sel:[0,1]
	v_pk_fma_f32 v[62:63], v[2:3], v[58:59], v[6:7] op_sel:[0,0,1] op_sel_hi:[1,1,0] neg_lo:[0,0,1] neg_hi:[0,0,1]
	v_pk_fma_f32 v[2:3], v[2:3], v[58:59], v[6:7] op_sel:[0,0,1] op_sel_hi:[1,0,0]
	s_delay_alu instid0(VALU_DEP_1) | instskip(SKIP_1) | instid1(VALU_DEP_1)
	v_mov_b32_e32 v63, v3
	v_pk_mul_f32 v[2:3], v[4:5], v[60:61] op_sel:[0,1]
	v_pk_fma_f32 v[6:7], v[4:5], v[58:59], v[2:3] op_sel:[0,0,1] op_sel_hi:[1,1,0] neg_lo:[0,0,1] neg_hi:[0,0,1]
	v_pk_fma_f32 v[2:3], v[4:5], v[58:59], v[2:3] op_sel:[0,0,1] op_sel_hi:[1,0,0]
	s_delay_alu instid0(VALU_DEP_1)
	v_mov_b32_e32 v7, v3
	ds_load_2addr_b64 v[2:5], v126 offset0:53 offset1:54
	v_pk_add_f32 v[232:233], v[232:233], v[62:63] neg_lo:[0,1] neg_hi:[0,1]
	v_pk_add_f32 v[234:235], v[234:235], v[6:7] neg_lo:[0,1] neg_hi:[0,1]
	s_wait_dscnt 0x0
	v_pk_mul_f32 v[6:7], v[2:3], v[60:61] op_sel:[0,1]
	s_delay_alu instid0(VALU_DEP_1) | instskip(SKIP_1) | instid1(VALU_DEP_1)
	v_pk_fma_f32 v[62:63], v[2:3], v[58:59], v[6:7] op_sel:[0,0,1] op_sel_hi:[1,1,0] neg_lo:[0,0,1] neg_hi:[0,0,1]
	v_pk_fma_f32 v[2:3], v[2:3], v[58:59], v[6:7] op_sel:[0,0,1] op_sel_hi:[1,0,0]
	v_mov_b32_e32 v63, v3
	v_pk_mul_f32 v[2:3], v[4:5], v[60:61] op_sel:[0,1]
	s_delay_alu instid0(VALU_DEP_1) | instskip(SKIP_1) | instid1(VALU_DEP_1)
	v_pk_fma_f32 v[6:7], v[4:5], v[58:59], v[2:3] op_sel:[0,0,1] op_sel_hi:[1,1,0] neg_lo:[0,0,1] neg_hi:[0,0,1]
	v_pk_fma_f32 v[2:3], v[4:5], v[58:59], v[2:3] op_sel:[0,0,1] op_sel_hi:[1,0,0]
	v_mov_b32_e32 v7, v3
	ds_load_2addr_b64 v[2:5], v126 offset0:55 offset1:56
	v_pk_add_f32 v[236:237], v[236:237], v[62:63] neg_lo:[0,1] neg_hi:[0,1]
	v_pk_add_f32 v[238:239], v[238:239], v[6:7] neg_lo:[0,1] neg_hi:[0,1]
	s_wait_dscnt 0x0
	v_dual_mul_f32 v6, v3, v61 :: v_dual_mul_f32 v62, v3, v58
	s_delay_alu instid0(VALU_DEP_1) | instskip(NEXT) | instid1(VALU_DEP_2)
	v_pk_fma_f32 v[6:7], v[2:3], v[182:183], v[6:7] op_sel_hi:[1,1,0] neg_lo:[0,0,1] neg_hi:[0,0,1]
	v_pk_fma_f32 v[2:3], v[2:3], v[182:183], v[62:63] op_sel:[1,0,0] op_sel_hi:[0,1,0]
	s_delay_alu instid0(VALU_DEP_1) | instskip(SKIP_1) | instid1(VALU_DEP_2)
	v_mov_b32_e32 v7, v3
	v_pk_mul_f32 v[2:3], v[4:5], v[60:61] op_sel:[0,1]
	v_pk_add_f32 v[240:241], v[240:241], v[6:7] neg_lo:[0,1] neg_hi:[0,1]
	s_delay_alu instid0(VALU_DEP_2) | instskip(SKIP_1) | instid1(VALU_DEP_1)
	v_pk_fma_f32 v[6:7], v[4:5], v[58:59], v[2:3] op_sel:[0,0,1] op_sel_hi:[1,1,0] neg_lo:[0,0,1] neg_hi:[0,0,1]
	v_pk_fma_f32 v[2:3], v[4:5], v[58:59], v[2:3] op_sel:[0,0,1] op_sel_hi:[1,0,0]
	v_mov_b32_e32 v7, v3
	ds_load_2addr_b64 v[2:5], v126 offset0:57 offset1:58
	v_pk_add_f32 v[252:253], v[252:253], v[6:7] neg_lo:[0,1] neg_hi:[0,1]
	s_wait_dscnt 0x0
	v_pk_mul_f32 v[6:7], v[2:3], v[60:61] op_sel:[0,1]
	s_delay_alu instid0(VALU_DEP_1) | instskip(SKIP_1) | instid1(VALU_DEP_1)
	v_pk_fma_f32 v[62:63], v[2:3], v[58:59], v[6:7] op_sel:[0,0,1] op_sel_hi:[1,1,0] neg_lo:[0,0,1] neg_hi:[0,0,1]
	v_pk_fma_f32 v[2:3], v[2:3], v[58:59], v[6:7] op_sel:[0,0,1] op_sel_hi:[1,0,0]
	v_mov_b32_e32 v63, v3
	v_pk_mul_f32 v[2:3], v[4:5], v[60:61] op_sel:[0,1]
	s_delay_alu instid0(VALU_DEP_2) | instskip(NEXT) | instid1(VALU_DEP_2)
	v_pk_add_f32 v[246:247], v[246:247], v[62:63] neg_lo:[0,1] neg_hi:[0,1]
	v_pk_fma_f32 v[6:7], v[4:5], v[58:59], v[2:3] op_sel:[0,0,1] op_sel_hi:[1,1,0] neg_lo:[0,0,1] neg_hi:[0,0,1]
	v_pk_fma_f32 v[2:3], v[4:5], v[58:59], v[2:3] op_sel:[0,0,1] op_sel_hi:[1,0,0]
	s_delay_alu instid0(VALU_DEP_1) | instskip(SKIP_4) | instid1(VALU_DEP_1)
	v_mov_b32_e32 v7, v3
	ds_load_2addr_b64 v[2:5], v126 offset0:59 offset1:60
	v_pk_add_f32 v[250:251], v[250:251], v[6:7] neg_lo:[0,1] neg_hi:[0,1]
	s_wait_dscnt 0x0
	v_pk_mul_f32 v[6:7], v[2:3], v[60:61] op_sel:[0,1]
	v_pk_fma_f32 v[62:63], v[2:3], v[58:59], v[6:7] op_sel:[0,0,1] op_sel_hi:[1,1,0] neg_lo:[0,0,1] neg_hi:[0,0,1]
	v_pk_fma_f32 v[2:3], v[2:3], v[58:59], v[6:7] op_sel:[0,0,1] op_sel_hi:[1,0,0]
	v_dual_mul_f32 v6, v5, v61 :: v_dual_mov_b32 v2, v5
	s_delay_alu instid0(VALU_DEP_2) | instskip(NEXT) | instid1(VALU_DEP_2)
	v_dual_mov_b32 v63, v3 :: v_dual_mov_b32 v3, v4
	v_pk_fma_f32 v[6:7], v[4:5], v[182:183], v[6:7] op_sel_hi:[1,1,0] neg_lo:[0,0,1] neg_hi:[0,0,1]
	v_mul_f32_e32 v4, v5, v58
	s_delay_alu instid0(VALU_DEP_3) | instskip(NEXT) | instid1(VALU_DEP_2)
	v_pk_add_f32 v[244:245], v[244:245], v[62:63] neg_lo:[0,1] neg_hi:[0,1]
	v_pk_fma_f32 v[2:3], v[2:3], v[182:183], v[4:5] op_sel_hi:[1,1,0]
	s_delay_alu instid0(VALU_DEP_1) | instskip(SKIP_4) | instid1(VALU_DEP_1)
	v_mov_b32_e32 v7, v3
	ds_load_2addr_b64 v[2:5], v126 offset0:61 offset1:62
	v_pk_add_f32 v[248:249], v[248:249], v[6:7] neg_lo:[0,1] neg_hi:[0,1]
	s_wait_dscnt 0x0
	v_pk_mul_f32 v[6:7], v[2:3], v[60:61] op_sel:[0,1]
	v_pk_fma_f32 v[62:63], v[2:3], v[58:59], v[6:7] op_sel:[0,0,1] op_sel_hi:[1,1,0] neg_lo:[0,0,1] neg_hi:[0,0,1]
	v_pk_fma_f32 v[2:3], v[2:3], v[58:59], v[6:7] op_sel:[0,0,1] op_sel_hi:[1,0,0]
	s_delay_alu instid0(VALU_DEP_1) | instskip(SKIP_1) | instid1(VALU_DEP_1)
	v_mov_b32_e32 v63, v3
	v_pk_mul_f32 v[2:3], v[4:5], v[60:61] op_sel:[0,1]
	v_pk_fma_f32 v[6:7], v[4:5], v[58:59], v[2:3] op_sel:[0,0,1] op_sel_hi:[1,1,0] neg_lo:[0,0,1] neg_hi:[0,0,1]
	v_pk_fma_f32 v[2:3], v[4:5], v[58:59], v[2:3] op_sel:[0,0,1] op_sel_hi:[1,0,0]
	s_delay_alu instid0(VALU_DEP_1)
	v_mov_b32_e32 v7, v3
	ds_load_b64 v[2:3], v126 offset:504
	v_pk_add_f32 v[242:243], v[242:243], v[62:63] neg_lo:[0,1] neg_hi:[0,1]
	v_pk_add_f32 v[254:255], v[254:255], v[6:7] neg_lo:[0,1] neg_hi:[0,1]
	s_wait_dscnt 0x0
	v_pk_mul_f32 v[4:5], v[2:3], v[60:61] op_sel:[0,1]
	s_delay_alu instid0(VALU_DEP_1) | instskip(SKIP_1) | instid1(VALU_DEP_1)
	v_pk_fma_f32 v[6:7], v[2:3], v[58:59], v[4:5] op_sel:[0,0,1] op_sel_hi:[1,1,0] neg_lo:[0,0,1] neg_hi:[0,0,1]
	v_pk_fma_f32 v[2:3], v[2:3], v[58:59], v[4:5] op_sel:[0,0,1] op_sel_hi:[1,0,0]
	v_mov_b32_e32 v7, v3
	s_delay_alu instid0(VALU_DEP_1)
	v_pk_add_f32 v[0:1], v[0:1], v[6:7] neg_lo:[0,1] neg_hi:[0,1]
.LBB127_244:
	s_or_b32 exec_lo, exec_lo, s1
	s_delay_alu instid0(SALU_CYCLE_1)
	s_mov_b32 s2, exec_lo
	s_wait_dscnt 0x0
	s_barrier_signal -1
	s_barrier_wait -1
	v_cmpx_eq_u32_e32 27, v18
	s_cbranch_execz .LBB127_251
; %bb.245:
	v_dual_mov_b32 v2, v186 :: v_dual_mov_b32 v3, v187
	v_dual_mov_b32 v4, v188 :: v_dual_mov_b32 v5, v189
	ds_store_b64 v19, v[184:185]
	ds_store_2addr_b64 v126, v[2:3], v[4:5] offset0:28 offset1:29
	v_dual_mov_b32 v2, v190 :: v_dual_mov_b32 v3, v191
	v_dual_mov_b32 v4, v192 :: v_dual_mov_b32 v5, v193
	ds_store_2addr_b64 v126, v[2:3], v[4:5] offset0:30 offset1:31
	v_dual_mov_b32 v2, v194 :: v_dual_mov_b32 v3, v195
	v_dual_mov_b32 v4, v196 :: v_dual_mov_b32 v5, v197
	;; [unrolled: 3-line block ×16, first 2 shown]
	ds_store_2addr_b64 v126, v[2:3], v[4:5] offset0:60 offset1:61
	v_dual_mov_b32 v2, v254 :: v_dual_mov_b32 v3, v255
	ds_store_2addr_b64 v126, v[2:3], v[0:1] offset0:62 offset1:63
	ds_load_b64 v[2:3], v19
	s_wait_dscnt 0x0
	v_cmp_neq_f32_e32 vcc_lo, 0, v2
	v_cmp_neq_f32_e64 s1, 0, v3
	s_or_b32 s1, vcc_lo, s1
	s_delay_alu instid0(SALU_CYCLE_1)
	s_and_b32 exec_lo, exec_lo, s1
	s_cbranch_execz .LBB127_251
; %bb.246:
	v_cmp_ngt_f32_e64 s1, |v2|, |v3|
                                        ; implicit-def: $vgpr4_vgpr5
	s_and_saveexec_b32 s4, s1
	s_delay_alu instid0(SALU_CYCLE_1)
	s_xor_b32 s1, exec_lo, s4
	s_cbranch_execz .LBB127_248
; %bb.247:
	v_div_scale_f32 v4, null, v3, v3, v2
	v_div_scale_f32 v7, vcc_lo, v2, v3, v2
	s_delay_alu instid0(VALU_DEP_2) | instskip(SKIP_1) | instid1(TRANS32_DEP_1)
	v_rcp_f32_e32 v5, v4
	v_nop
	v_fma_f32 v6, -v4, v5, 1.0
	s_delay_alu instid0(VALU_DEP_1) | instskip(NEXT) | instid1(VALU_DEP_1)
	v_fmac_f32_e32 v5, v6, v5
	v_mul_f32_e32 v6, v7, v5
	s_delay_alu instid0(VALU_DEP_1) | instskip(NEXT) | instid1(VALU_DEP_1)
	v_fma_f32 v8, -v4, v6, v7
	v_fmac_f32_e32 v6, v8, v5
	s_delay_alu instid0(VALU_DEP_1) | instskip(NEXT) | instid1(VALU_DEP_1)
	v_fma_f32 v4, -v4, v6, v7
	v_div_fmas_f32 v4, v4, v5, v6
	s_delay_alu instid0(VALU_DEP_1) | instskip(NEXT) | instid1(VALU_DEP_1)
	v_div_fixup_f32 v4, v4, v3, v2
	v_fmac_f32_e32 v3, v2, v4
	s_delay_alu instid0(VALU_DEP_1) | instskip(SKIP_1) | instid1(VALU_DEP_2)
	v_div_scale_f32 v2, null, v3, v3, 1.0
	v_div_scale_f32 v7, vcc_lo, 1.0, v3, 1.0
	v_rcp_f32_e32 v5, v2
	v_nop
	s_delay_alu instid0(TRANS32_DEP_1) | instskip(NEXT) | instid1(VALU_DEP_1)
	v_fma_f32 v6, -v2, v5, 1.0
	v_fmac_f32_e32 v5, v6, v5
	s_delay_alu instid0(VALU_DEP_1) | instskip(NEXT) | instid1(VALU_DEP_1)
	v_mul_f32_e32 v6, v7, v5
	v_fma_f32 v8, -v2, v6, v7
	s_delay_alu instid0(VALU_DEP_1) | instskip(NEXT) | instid1(VALU_DEP_1)
	v_fmac_f32_e32 v6, v8, v5
	v_fma_f32 v2, -v2, v6, v7
	s_delay_alu instid0(VALU_DEP_1) | instskip(NEXT) | instid1(VALU_DEP_1)
	v_div_fmas_f32 v2, v2, v5, v6
	v_div_fixup_f32 v2, v2, v3, 1.0
	s_delay_alu instid0(VALU_DEP_1)
	v_mul_f32_e32 v4, v4, v2
	v_xor_b32_e32 v5, 0x80000000, v2
                                        ; implicit-def: $vgpr2_vgpr3
.LBB127_248:
	s_and_not1_saveexec_b32 s1, s1
	s_cbranch_execz .LBB127_250
; %bb.249:
	v_div_scale_f32 v4, null, v2, v2, v3
	v_div_scale_f32 v7, vcc_lo, v3, v2, v3
	s_delay_alu instid0(VALU_DEP_2) | instskip(SKIP_1) | instid1(TRANS32_DEP_1)
	v_rcp_f32_e32 v5, v4
	v_nop
	v_fma_f32 v6, -v4, v5, 1.0
	s_delay_alu instid0(VALU_DEP_1) | instskip(NEXT) | instid1(VALU_DEP_1)
	v_fmac_f32_e32 v5, v6, v5
	v_mul_f32_e32 v6, v7, v5
	s_delay_alu instid0(VALU_DEP_1) | instskip(NEXT) | instid1(VALU_DEP_1)
	v_fma_f32 v8, -v4, v6, v7
	v_fmac_f32_e32 v6, v8, v5
	s_delay_alu instid0(VALU_DEP_1) | instskip(NEXT) | instid1(VALU_DEP_1)
	v_fma_f32 v4, -v4, v6, v7
	v_div_fmas_f32 v4, v4, v5, v6
	s_delay_alu instid0(VALU_DEP_1) | instskip(NEXT) | instid1(VALU_DEP_1)
	v_div_fixup_f32 v5, v4, v2, v3
	v_fmac_f32_e32 v2, v3, v5
	s_delay_alu instid0(VALU_DEP_1) | instskip(NEXT) | instid1(VALU_DEP_1)
	v_div_scale_f32 v3, null, v2, v2, 1.0
	v_rcp_f32_e32 v4, v3
	v_nop
	s_delay_alu instid0(TRANS32_DEP_1) | instskip(NEXT) | instid1(VALU_DEP_1)
	v_fma_f32 v6, -v3, v4, 1.0
	v_fmac_f32_e32 v4, v6, v4
	v_div_scale_f32 v6, vcc_lo, 1.0, v2, 1.0
	s_delay_alu instid0(VALU_DEP_1) | instskip(NEXT) | instid1(VALU_DEP_1)
	v_mul_f32_e32 v7, v6, v4
	v_fma_f32 v8, -v3, v7, v6
	s_delay_alu instid0(VALU_DEP_1) | instskip(NEXT) | instid1(VALU_DEP_1)
	v_fmac_f32_e32 v7, v8, v4
	v_fma_f32 v3, -v3, v7, v6
	s_delay_alu instid0(VALU_DEP_1) | instskip(NEXT) | instid1(VALU_DEP_1)
	v_div_fmas_f32 v3, v3, v4, v7
	v_div_fixup_f32 v4, v3, v2, 1.0
	s_delay_alu instid0(VALU_DEP_1)
	v_mul_f32_e64 v5, v5, -v4
.LBB127_250:
	s_or_b32 exec_lo, exec_lo, s1
	ds_store_b64 v19, v[4:5]
.LBB127_251:
	s_or_b32 exec_lo, exec_lo, s2
	s_wait_dscnt 0x0
	s_barrier_signal -1
	s_barrier_wait -1
	ds_load_b64 v[58:59], v19
	s_mov_b32 s1, exec_lo
	v_cmpx_lt_u32_e32 27, v18
	s_cbranch_execz .LBB127_253
; %bb.252:
	s_wait_dscnt 0x0
	v_pk_mul_f32 v[2:3], v[58:59], v[184:185] op_sel:[1,1] op_sel_hi:[0,1]
	s_delay_alu instid0(VALU_DEP_1)
	v_pk_fma_f32 v[60:61], v[58:59], v[184:185], v[2:3] op_sel_hi:[1,0,1] neg_lo:[0,0,1] neg_hi:[0,0,1]
	v_pk_fma_f32 v[62:63], v[58:59], v[184:185], v[2:3] op_sel_hi:[1,0,1]
	ds_load_2addr_b64 v[2:5], v126 offset0:28 offset1:29
	v_dual_mov_b32 v184, v60 :: v_dual_mov_b32 v185, v63
	s_wait_dscnt 0x0
	v_pk_mul_f32 v[6:7], v[2:3], v[62:63] op_sel:[0,1]
	s_delay_alu instid0(VALU_DEP_1) | instskip(SKIP_1) | instid1(VALU_DEP_1)
	v_pk_fma_f32 v[64:65], v[2:3], v[60:61], v[6:7] op_sel:[0,0,1] op_sel_hi:[1,1,0] neg_lo:[0,0,1] neg_hi:[0,0,1]
	v_pk_fma_f32 v[2:3], v[2:3], v[60:61], v[6:7] op_sel:[0,0,1] op_sel_hi:[1,0,0]
	v_mov_b32_e32 v65, v3
	v_pk_mul_f32 v[2:3], v[4:5], v[62:63] op_sel:[0,1]
	s_delay_alu instid0(VALU_DEP_1) | instskip(SKIP_1) | instid1(VALU_DEP_1)
	v_pk_fma_f32 v[6:7], v[4:5], v[60:61], v[2:3] op_sel:[0,0,1] op_sel_hi:[1,1,0] neg_lo:[0,0,1] neg_hi:[0,0,1]
	v_pk_fma_f32 v[2:3], v[4:5], v[60:61], v[2:3] op_sel:[0,0,1] op_sel_hi:[1,0,0]
	v_mov_b32_e32 v7, v3
	ds_load_2addr_b64 v[2:5], v126 offset0:30 offset1:31
	v_pk_add_f32 v[186:187], v[186:187], v[64:65] neg_lo:[0,1] neg_hi:[0,1]
	v_pk_add_f32 v[188:189], v[188:189], v[6:7] neg_lo:[0,1] neg_hi:[0,1]
	s_wait_dscnt 0x0
	v_pk_mul_f32 v[6:7], v[2:3], v[62:63] op_sel:[0,1]
	s_delay_alu instid0(VALU_DEP_1) | instskip(SKIP_2) | instid1(VALU_DEP_2)
	v_pk_fma_f32 v[64:65], v[2:3], v[60:61], v[6:7] op_sel:[0,0,1] op_sel_hi:[1,1,0] neg_lo:[0,0,1] neg_hi:[0,0,1]
	v_pk_fma_f32 v[2:3], v[2:3], v[60:61], v[6:7] op_sel:[0,0,1] op_sel_hi:[1,0,0]
	v_dual_mul_f32 v6, v5, v63 :: v_dual_mov_b32 v2, v5
	v_dual_mov_b32 v65, v3 :: v_dual_mov_b32 v3, v4
	s_delay_alu instid0(VALU_DEP_2) | instskip(SKIP_1) | instid1(VALU_DEP_3)
	v_pk_fma_f32 v[6:7], v[4:5], v[184:185], v[6:7] op_sel_hi:[1,1,0] neg_lo:[0,0,1] neg_hi:[0,0,1]
	v_mul_f32_e32 v4, v5, v60
	v_pk_add_f32 v[190:191], v[190:191], v[64:65] neg_lo:[0,1] neg_hi:[0,1]
	s_delay_alu instid0(VALU_DEP_2) | instskip(NEXT) | instid1(VALU_DEP_1)
	v_pk_fma_f32 v[2:3], v[2:3], v[184:185], v[4:5] op_sel_hi:[1,1,0]
	v_mov_b32_e32 v7, v3
	ds_load_2addr_b64 v[2:5], v126 offset0:32 offset1:33
	v_pk_add_f32 v[192:193], v[192:193], v[6:7] neg_lo:[0,1] neg_hi:[0,1]
	s_wait_dscnt 0x0
	v_pk_mul_f32 v[6:7], v[2:3], v[62:63] op_sel:[0,1]
	s_delay_alu instid0(VALU_DEP_1) | instskip(SKIP_1) | instid1(VALU_DEP_1)
	v_pk_fma_f32 v[64:65], v[2:3], v[60:61], v[6:7] op_sel:[0,0,1] op_sel_hi:[1,1,0] neg_lo:[0,0,1] neg_hi:[0,0,1]
	v_pk_fma_f32 v[2:3], v[2:3], v[60:61], v[6:7] op_sel:[0,0,1] op_sel_hi:[1,0,0]
	v_mov_b32_e32 v65, v3
	v_pk_mul_f32 v[2:3], v[4:5], v[62:63] op_sel:[0,1]
	s_delay_alu instid0(VALU_DEP_1) | instskip(SKIP_1) | instid1(VALU_DEP_1)
	v_pk_fma_f32 v[6:7], v[4:5], v[60:61], v[2:3] op_sel:[0,0,1] op_sel_hi:[1,1,0] neg_lo:[0,0,1] neg_hi:[0,0,1]
	v_pk_fma_f32 v[2:3], v[4:5], v[60:61], v[2:3] op_sel:[0,0,1] op_sel_hi:[1,0,0]
	v_mov_b32_e32 v7, v3
	ds_load_2addr_b64 v[2:5], v126 offset0:34 offset1:35
	v_pk_add_f32 v[194:195], v[194:195], v[64:65] neg_lo:[0,1] neg_hi:[0,1]
	v_pk_add_f32 v[196:197], v[196:197], v[6:7] neg_lo:[0,1] neg_hi:[0,1]
	s_wait_dscnt 0x0
	v_pk_mul_f32 v[6:7], v[2:3], v[62:63] op_sel:[0,1]
	s_delay_alu instid0(VALU_DEP_1) | instskip(SKIP_1) | instid1(VALU_DEP_1)
	v_pk_fma_f32 v[64:65], v[2:3], v[60:61], v[6:7] op_sel:[0,0,1] op_sel_hi:[1,1,0] neg_lo:[0,0,1] neg_hi:[0,0,1]
	v_pk_fma_f32 v[2:3], v[2:3], v[60:61], v[6:7] op_sel:[0,0,1] op_sel_hi:[1,0,0]
	v_mov_b32_e32 v65, v3
	v_pk_mul_f32 v[2:3], v[4:5], v[62:63] op_sel:[0,1]
	s_delay_alu instid0(VALU_DEP_1) | instskip(SKIP_1) | instid1(VALU_DEP_1)
	v_pk_fma_f32 v[6:7], v[4:5], v[60:61], v[2:3] op_sel:[0,0,1] op_sel_hi:[1,1,0] neg_lo:[0,0,1] neg_hi:[0,0,1]
	v_pk_fma_f32 v[2:3], v[4:5], v[60:61], v[2:3] op_sel:[0,0,1] op_sel_hi:[1,0,0]
	v_mov_b32_e32 v7, v3
	ds_load_2addr_b64 v[2:5], v126 offset0:36 offset1:37
	v_pk_add_f32 v[198:199], v[198:199], v[64:65] neg_lo:[0,1] neg_hi:[0,1]
	v_pk_add_f32 v[200:201], v[200:201], v[6:7] neg_lo:[0,1] neg_hi:[0,1]
	s_wait_dscnt 0x0
	v_dual_mul_f32 v6, v3, v63 :: v_dual_mul_f32 v64, v3, v60
	s_delay_alu instid0(VALU_DEP_1) | instskip(NEXT) | instid1(VALU_DEP_2)
	v_pk_fma_f32 v[6:7], v[2:3], v[184:185], v[6:7] op_sel_hi:[1,1,0] neg_lo:[0,0,1] neg_hi:[0,0,1]
	v_pk_fma_f32 v[2:3], v[2:3], v[184:185], v[64:65] op_sel:[1,0,0] op_sel_hi:[0,1,0]
	s_delay_alu instid0(VALU_DEP_1) | instskip(SKIP_1) | instid1(VALU_DEP_2)
	v_mov_b32_e32 v7, v3
	v_pk_mul_f32 v[2:3], v[4:5], v[62:63] op_sel:[0,1]
	v_pk_add_f32 v[202:203], v[202:203], v[6:7] neg_lo:[0,1] neg_hi:[0,1]
	s_delay_alu instid0(VALU_DEP_2) | instskip(SKIP_1) | instid1(VALU_DEP_1)
	v_pk_fma_f32 v[6:7], v[4:5], v[60:61], v[2:3] op_sel:[0,0,1] op_sel_hi:[1,1,0] neg_lo:[0,0,1] neg_hi:[0,0,1]
	v_pk_fma_f32 v[2:3], v[4:5], v[60:61], v[2:3] op_sel:[0,0,1] op_sel_hi:[1,0,0]
	v_mov_b32_e32 v7, v3
	ds_load_2addr_b64 v[2:5], v126 offset0:38 offset1:39
	v_pk_add_f32 v[204:205], v[204:205], v[6:7] neg_lo:[0,1] neg_hi:[0,1]
	s_wait_dscnt 0x0
	v_pk_mul_f32 v[6:7], v[2:3], v[62:63] op_sel:[0,1]
	s_delay_alu instid0(VALU_DEP_1) | instskip(SKIP_1) | instid1(VALU_DEP_1)
	v_pk_fma_f32 v[64:65], v[2:3], v[60:61], v[6:7] op_sel:[0,0,1] op_sel_hi:[1,1,0] neg_lo:[0,0,1] neg_hi:[0,0,1]
	v_pk_fma_f32 v[2:3], v[2:3], v[60:61], v[6:7] op_sel:[0,0,1] op_sel_hi:[1,0,0]
	v_mov_b32_e32 v65, v3
	v_pk_mul_f32 v[2:3], v[4:5], v[62:63] op_sel:[0,1]
	s_delay_alu instid0(VALU_DEP_2) | instskip(NEXT) | instid1(VALU_DEP_2)
	v_pk_add_f32 v[206:207], v[206:207], v[64:65] neg_lo:[0,1] neg_hi:[0,1]
	v_pk_fma_f32 v[6:7], v[4:5], v[60:61], v[2:3] op_sel:[0,0,1] op_sel_hi:[1,1,0] neg_lo:[0,0,1] neg_hi:[0,0,1]
	v_pk_fma_f32 v[2:3], v[4:5], v[60:61], v[2:3] op_sel:[0,0,1] op_sel_hi:[1,0,0]
	s_delay_alu instid0(VALU_DEP_1) | instskip(SKIP_4) | instid1(VALU_DEP_1)
	v_mov_b32_e32 v7, v3
	ds_load_2addr_b64 v[2:5], v126 offset0:40 offset1:41
	v_pk_add_f32 v[208:209], v[208:209], v[6:7] neg_lo:[0,1] neg_hi:[0,1]
	s_wait_dscnt 0x0
	v_pk_mul_f32 v[6:7], v[2:3], v[62:63] op_sel:[0,1]
	v_pk_fma_f32 v[64:65], v[2:3], v[60:61], v[6:7] op_sel:[0,0,1] op_sel_hi:[1,1,0] neg_lo:[0,0,1] neg_hi:[0,0,1]
	v_pk_fma_f32 v[2:3], v[2:3], v[60:61], v[6:7] op_sel:[0,0,1] op_sel_hi:[1,0,0]
	v_dual_mul_f32 v6, v5, v63 :: v_dual_mov_b32 v2, v5
	s_delay_alu instid0(VALU_DEP_2) | instskip(NEXT) | instid1(VALU_DEP_2)
	v_dual_mov_b32 v65, v3 :: v_dual_mov_b32 v3, v4
	v_pk_fma_f32 v[6:7], v[4:5], v[184:185], v[6:7] op_sel_hi:[1,1,0] neg_lo:[0,0,1] neg_hi:[0,0,1]
	v_mul_f32_e32 v4, v5, v60
	s_delay_alu instid0(VALU_DEP_3) | instskip(NEXT) | instid1(VALU_DEP_2)
	v_pk_add_f32 v[210:211], v[210:211], v[64:65] neg_lo:[0,1] neg_hi:[0,1]
	v_pk_fma_f32 v[2:3], v[2:3], v[184:185], v[4:5] op_sel_hi:[1,1,0]
	s_delay_alu instid0(VALU_DEP_1) | instskip(SKIP_4) | instid1(VALU_DEP_1)
	v_mov_b32_e32 v7, v3
	ds_load_2addr_b64 v[2:5], v126 offset0:42 offset1:43
	v_pk_add_f32 v[212:213], v[212:213], v[6:7] neg_lo:[0,1] neg_hi:[0,1]
	s_wait_dscnt 0x0
	v_pk_mul_f32 v[6:7], v[2:3], v[62:63] op_sel:[0,1]
	v_pk_fma_f32 v[64:65], v[2:3], v[60:61], v[6:7] op_sel:[0,0,1] op_sel_hi:[1,1,0] neg_lo:[0,0,1] neg_hi:[0,0,1]
	v_pk_fma_f32 v[2:3], v[2:3], v[60:61], v[6:7] op_sel:[0,0,1] op_sel_hi:[1,0,0]
	s_delay_alu instid0(VALU_DEP_1) | instskip(SKIP_1) | instid1(VALU_DEP_1)
	v_mov_b32_e32 v65, v3
	v_pk_mul_f32 v[2:3], v[4:5], v[62:63] op_sel:[0,1]
	v_pk_fma_f32 v[6:7], v[4:5], v[60:61], v[2:3] op_sel:[0,0,1] op_sel_hi:[1,1,0] neg_lo:[0,0,1] neg_hi:[0,0,1]
	v_pk_fma_f32 v[2:3], v[4:5], v[60:61], v[2:3] op_sel:[0,0,1] op_sel_hi:[1,0,0]
	s_delay_alu instid0(VALU_DEP_1)
	v_mov_b32_e32 v7, v3
	ds_load_2addr_b64 v[2:5], v126 offset0:44 offset1:45
	v_pk_add_f32 v[214:215], v[214:215], v[64:65] neg_lo:[0,1] neg_hi:[0,1]
	v_pk_add_f32 v[216:217], v[216:217], v[6:7] neg_lo:[0,1] neg_hi:[0,1]
	s_wait_dscnt 0x0
	v_pk_mul_f32 v[6:7], v[2:3], v[62:63] op_sel:[0,1]
	s_delay_alu instid0(VALU_DEP_1) | instskip(SKIP_1) | instid1(VALU_DEP_1)
	v_pk_fma_f32 v[64:65], v[2:3], v[60:61], v[6:7] op_sel:[0,0,1] op_sel_hi:[1,1,0] neg_lo:[0,0,1] neg_hi:[0,0,1]
	v_pk_fma_f32 v[2:3], v[2:3], v[60:61], v[6:7] op_sel:[0,0,1] op_sel_hi:[1,0,0]
	v_mov_b32_e32 v65, v3
	v_pk_mul_f32 v[2:3], v[4:5], v[62:63] op_sel:[0,1]
	s_delay_alu instid0(VALU_DEP_1) | instskip(SKIP_1) | instid1(VALU_DEP_1)
	v_pk_fma_f32 v[6:7], v[4:5], v[60:61], v[2:3] op_sel:[0,0,1] op_sel_hi:[1,1,0] neg_lo:[0,0,1] neg_hi:[0,0,1]
	v_pk_fma_f32 v[2:3], v[4:5], v[60:61], v[2:3] op_sel:[0,0,1] op_sel_hi:[1,0,0]
	v_mov_b32_e32 v7, v3
	ds_load_2addr_b64 v[2:5], v126 offset0:46 offset1:47
	v_pk_add_f32 v[218:219], v[218:219], v[64:65] neg_lo:[0,1] neg_hi:[0,1]
	v_pk_add_f32 v[220:221], v[220:221], v[6:7] neg_lo:[0,1] neg_hi:[0,1]
	s_wait_dscnt 0x0
	v_dual_mul_f32 v6, v3, v63 :: v_dual_mul_f32 v64, v3, v60
	s_delay_alu instid0(VALU_DEP_1) | instskip(NEXT) | instid1(VALU_DEP_2)
	v_pk_fma_f32 v[6:7], v[2:3], v[184:185], v[6:7] op_sel_hi:[1,1,0] neg_lo:[0,0,1] neg_hi:[0,0,1]
	v_pk_fma_f32 v[2:3], v[2:3], v[184:185], v[64:65] op_sel:[1,0,0] op_sel_hi:[0,1,0]
	s_delay_alu instid0(VALU_DEP_1) | instskip(SKIP_1) | instid1(VALU_DEP_2)
	v_mov_b32_e32 v7, v3
	v_pk_mul_f32 v[2:3], v[4:5], v[62:63] op_sel:[0,1]
	v_pk_add_f32 v[222:223], v[222:223], v[6:7] neg_lo:[0,1] neg_hi:[0,1]
	s_delay_alu instid0(VALU_DEP_2) | instskip(SKIP_1) | instid1(VALU_DEP_1)
	v_pk_fma_f32 v[6:7], v[4:5], v[60:61], v[2:3] op_sel:[0,0,1] op_sel_hi:[1,1,0] neg_lo:[0,0,1] neg_hi:[0,0,1]
	v_pk_fma_f32 v[2:3], v[4:5], v[60:61], v[2:3] op_sel:[0,0,1] op_sel_hi:[1,0,0]
	v_mov_b32_e32 v7, v3
	ds_load_2addr_b64 v[2:5], v126 offset0:48 offset1:49
	v_pk_add_f32 v[224:225], v[224:225], v[6:7] neg_lo:[0,1] neg_hi:[0,1]
	s_wait_dscnt 0x0
	v_pk_mul_f32 v[6:7], v[2:3], v[62:63] op_sel:[0,1]
	s_delay_alu instid0(VALU_DEP_1) | instskip(SKIP_1) | instid1(VALU_DEP_1)
	v_pk_fma_f32 v[64:65], v[2:3], v[60:61], v[6:7] op_sel:[0,0,1] op_sel_hi:[1,1,0] neg_lo:[0,0,1] neg_hi:[0,0,1]
	v_pk_fma_f32 v[2:3], v[2:3], v[60:61], v[6:7] op_sel:[0,0,1] op_sel_hi:[1,0,0]
	v_mov_b32_e32 v65, v3
	v_pk_mul_f32 v[2:3], v[4:5], v[62:63] op_sel:[0,1]
	s_delay_alu instid0(VALU_DEP_2) | instskip(NEXT) | instid1(VALU_DEP_2)
	v_pk_add_f32 v[226:227], v[226:227], v[64:65] neg_lo:[0,1] neg_hi:[0,1]
	v_pk_fma_f32 v[6:7], v[4:5], v[60:61], v[2:3] op_sel:[0,0,1] op_sel_hi:[1,1,0] neg_lo:[0,0,1] neg_hi:[0,0,1]
	v_pk_fma_f32 v[2:3], v[4:5], v[60:61], v[2:3] op_sel:[0,0,1] op_sel_hi:[1,0,0]
	s_delay_alu instid0(VALU_DEP_1) | instskip(SKIP_4) | instid1(VALU_DEP_1)
	v_mov_b32_e32 v7, v3
	ds_load_2addr_b64 v[2:5], v126 offset0:50 offset1:51
	v_pk_add_f32 v[228:229], v[228:229], v[6:7] neg_lo:[0,1] neg_hi:[0,1]
	s_wait_dscnt 0x0
	v_pk_mul_f32 v[6:7], v[2:3], v[62:63] op_sel:[0,1]
	v_pk_fma_f32 v[64:65], v[2:3], v[60:61], v[6:7] op_sel:[0,0,1] op_sel_hi:[1,1,0] neg_lo:[0,0,1] neg_hi:[0,0,1]
	v_pk_fma_f32 v[2:3], v[2:3], v[60:61], v[6:7] op_sel:[0,0,1] op_sel_hi:[1,0,0]
	v_dual_mul_f32 v6, v5, v63 :: v_dual_mov_b32 v2, v5
	s_delay_alu instid0(VALU_DEP_2) | instskip(NEXT) | instid1(VALU_DEP_2)
	v_dual_mov_b32 v65, v3 :: v_dual_mov_b32 v3, v4
	v_pk_fma_f32 v[6:7], v[4:5], v[184:185], v[6:7] op_sel_hi:[1,1,0] neg_lo:[0,0,1] neg_hi:[0,0,1]
	v_mul_f32_e32 v4, v5, v60
	s_delay_alu instid0(VALU_DEP_3) | instskip(NEXT) | instid1(VALU_DEP_2)
	v_pk_add_f32 v[230:231], v[230:231], v[64:65] neg_lo:[0,1] neg_hi:[0,1]
	v_pk_fma_f32 v[2:3], v[2:3], v[184:185], v[4:5] op_sel_hi:[1,1,0]
	s_delay_alu instid0(VALU_DEP_1) | instskip(SKIP_4) | instid1(VALU_DEP_1)
	v_mov_b32_e32 v7, v3
	ds_load_2addr_b64 v[2:5], v126 offset0:52 offset1:53
	v_pk_add_f32 v[232:233], v[232:233], v[6:7] neg_lo:[0,1] neg_hi:[0,1]
	s_wait_dscnt 0x0
	v_pk_mul_f32 v[6:7], v[2:3], v[62:63] op_sel:[0,1]
	v_pk_fma_f32 v[64:65], v[2:3], v[60:61], v[6:7] op_sel:[0,0,1] op_sel_hi:[1,1,0] neg_lo:[0,0,1] neg_hi:[0,0,1]
	v_pk_fma_f32 v[2:3], v[2:3], v[60:61], v[6:7] op_sel:[0,0,1] op_sel_hi:[1,0,0]
	s_delay_alu instid0(VALU_DEP_1) | instskip(SKIP_1) | instid1(VALU_DEP_1)
	v_mov_b32_e32 v65, v3
	v_pk_mul_f32 v[2:3], v[4:5], v[62:63] op_sel:[0,1]
	v_pk_fma_f32 v[6:7], v[4:5], v[60:61], v[2:3] op_sel:[0,0,1] op_sel_hi:[1,1,0] neg_lo:[0,0,1] neg_hi:[0,0,1]
	v_pk_fma_f32 v[2:3], v[4:5], v[60:61], v[2:3] op_sel:[0,0,1] op_sel_hi:[1,0,0]
	s_delay_alu instid0(VALU_DEP_1)
	v_mov_b32_e32 v7, v3
	ds_load_2addr_b64 v[2:5], v126 offset0:54 offset1:55
	v_pk_add_f32 v[234:235], v[234:235], v[64:65] neg_lo:[0,1] neg_hi:[0,1]
	v_pk_add_f32 v[236:237], v[236:237], v[6:7] neg_lo:[0,1] neg_hi:[0,1]
	s_wait_dscnt 0x0
	v_pk_mul_f32 v[6:7], v[2:3], v[62:63] op_sel:[0,1]
	s_delay_alu instid0(VALU_DEP_1) | instskip(SKIP_1) | instid1(VALU_DEP_1)
	v_pk_fma_f32 v[64:65], v[2:3], v[60:61], v[6:7] op_sel:[0,0,1] op_sel_hi:[1,1,0] neg_lo:[0,0,1] neg_hi:[0,0,1]
	v_pk_fma_f32 v[2:3], v[2:3], v[60:61], v[6:7] op_sel:[0,0,1] op_sel_hi:[1,0,0]
	v_mov_b32_e32 v65, v3
	v_pk_mul_f32 v[2:3], v[4:5], v[62:63] op_sel:[0,1]
	s_delay_alu instid0(VALU_DEP_1) | instskip(SKIP_1) | instid1(VALU_DEP_1)
	v_pk_fma_f32 v[6:7], v[4:5], v[60:61], v[2:3] op_sel:[0,0,1] op_sel_hi:[1,1,0] neg_lo:[0,0,1] neg_hi:[0,0,1]
	v_pk_fma_f32 v[2:3], v[4:5], v[60:61], v[2:3] op_sel:[0,0,1] op_sel_hi:[1,0,0]
	v_mov_b32_e32 v7, v3
	ds_load_2addr_b64 v[2:5], v126 offset0:56 offset1:57
	v_pk_add_f32 v[238:239], v[238:239], v[64:65] neg_lo:[0,1] neg_hi:[0,1]
	v_pk_add_f32 v[240:241], v[240:241], v[6:7] neg_lo:[0,1] neg_hi:[0,1]
	s_wait_dscnt 0x0
	v_dual_mul_f32 v6, v3, v63 :: v_dual_mul_f32 v64, v3, v60
	s_delay_alu instid0(VALU_DEP_1) | instskip(NEXT) | instid1(VALU_DEP_2)
	v_pk_fma_f32 v[6:7], v[2:3], v[184:185], v[6:7] op_sel_hi:[1,1,0] neg_lo:[0,0,1] neg_hi:[0,0,1]
	v_pk_fma_f32 v[2:3], v[2:3], v[184:185], v[64:65] op_sel:[1,0,0] op_sel_hi:[0,1,0]
	s_delay_alu instid0(VALU_DEP_1) | instskip(SKIP_1) | instid1(VALU_DEP_2)
	v_mov_b32_e32 v7, v3
	v_pk_mul_f32 v[2:3], v[4:5], v[62:63] op_sel:[0,1]
	v_pk_add_f32 v[252:253], v[252:253], v[6:7] neg_lo:[0,1] neg_hi:[0,1]
	s_delay_alu instid0(VALU_DEP_2) | instskip(SKIP_1) | instid1(VALU_DEP_1)
	v_pk_fma_f32 v[6:7], v[4:5], v[60:61], v[2:3] op_sel:[0,0,1] op_sel_hi:[1,1,0] neg_lo:[0,0,1] neg_hi:[0,0,1]
	v_pk_fma_f32 v[2:3], v[4:5], v[60:61], v[2:3] op_sel:[0,0,1] op_sel_hi:[1,0,0]
	v_mov_b32_e32 v7, v3
	ds_load_2addr_b64 v[2:5], v126 offset0:58 offset1:59
	v_pk_add_f32 v[246:247], v[246:247], v[6:7] neg_lo:[0,1] neg_hi:[0,1]
	s_wait_dscnt 0x0
	v_pk_mul_f32 v[6:7], v[2:3], v[62:63] op_sel:[0,1]
	s_delay_alu instid0(VALU_DEP_1) | instskip(SKIP_1) | instid1(VALU_DEP_1)
	v_pk_fma_f32 v[64:65], v[2:3], v[60:61], v[6:7] op_sel:[0,0,1] op_sel_hi:[1,1,0] neg_lo:[0,0,1] neg_hi:[0,0,1]
	v_pk_fma_f32 v[2:3], v[2:3], v[60:61], v[6:7] op_sel:[0,0,1] op_sel_hi:[1,0,0]
	v_mov_b32_e32 v65, v3
	v_pk_mul_f32 v[2:3], v[4:5], v[62:63] op_sel:[0,1]
	s_delay_alu instid0(VALU_DEP_2) | instskip(NEXT) | instid1(VALU_DEP_2)
	v_pk_add_f32 v[250:251], v[250:251], v[64:65] neg_lo:[0,1] neg_hi:[0,1]
	v_pk_fma_f32 v[6:7], v[4:5], v[60:61], v[2:3] op_sel:[0,0,1] op_sel_hi:[1,1,0] neg_lo:[0,0,1] neg_hi:[0,0,1]
	v_pk_fma_f32 v[2:3], v[4:5], v[60:61], v[2:3] op_sel:[0,0,1] op_sel_hi:[1,0,0]
	s_delay_alu instid0(VALU_DEP_1) | instskip(SKIP_4) | instid1(VALU_DEP_1)
	v_mov_b32_e32 v7, v3
	ds_load_2addr_b64 v[2:5], v126 offset0:60 offset1:61
	v_pk_add_f32 v[244:245], v[244:245], v[6:7] neg_lo:[0,1] neg_hi:[0,1]
	s_wait_dscnt 0x0
	v_pk_mul_f32 v[6:7], v[2:3], v[62:63] op_sel:[0,1]
	v_pk_fma_f32 v[64:65], v[2:3], v[60:61], v[6:7] op_sel:[0,0,1] op_sel_hi:[1,1,0] neg_lo:[0,0,1] neg_hi:[0,0,1]
	v_pk_fma_f32 v[2:3], v[2:3], v[60:61], v[6:7] op_sel:[0,0,1] op_sel_hi:[1,0,0]
	v_dual_mul_f32 v6, v5, v63 :: v_dual_mov_b32 v2, v5
	s_delay_alu instid0(VALU_DEP_2) | instskip(NEXT) | instid1(VALU_DEP_2)
	v_dual_mov_b32 v65, v3 :: v_dual_mov_b32 v3, v4
	v_pk_fma_f32 v[6:7], v[4:5], v[184:185], v[6:7] op_sel_hi:[1,1,0] neg_lo:[0,0,1] neg_hi:[0,0,1]
	v_mul_f32_e32 v4, v5, v60
	s_delay_alu instid0(VALU_DEP_3) | instskip(NEXT) | instid1(VALU_DEP_2)
	v_pk_add_f32 v[248:249], v[248:249], v[64:65] neg_lo:[0,1] neg_hi:[0,1]
	v_pk_fma_f32 v[2:3], v[2:3], v[184:185], v[4:5] op_sel_hi:[1,1,0]
	s_delay_alu instid0(VALU_DEP_1) | instskip(SKIP_4) | instid1(VALU_DEP_1)
	v_mov_b32_e32 v7, v3
	ds_load_2addr_b64 v[2:5], v126 offset0:62 offset1:63
	v_pk_add_f32 v[242:243], v[242:243], v[6:7] neg_lo:[0,1] neg_hi:[0,1]
	s_wait_dscnt 0x0
	v_pk_mul_f32 v[6:7], v[2:3], v[62:63] op_sel:[0,1]
	v_pk_fma_f32 v[64:65], v[2:3], v[60:61], v[6:7] op_sel:[0,0,1] op_sel_hi:[1,1,0] neg_lo:[0,0,1] neg_hi:[0,0,1]
	v_pk_fma_f32 v[2:3], v[2:3], v[60:61], v[6:7] op_sel:[0,0,1] op_sel_hi:[1,0,0]
	v_dual_mul_f32 v6, v5, v63 :: v_dual_mov_b32 v2, v5
	s_delay_alu instid0(VALU_DEP_2) | instskip(NEXT) | instid1(VALU_DEP_2)
	v_dual_mov_b32 v65, v3 :: v_dual_mov_b32 v3, v4
	v_pk_fma_f32 v[6:7], v[4:5], v[184:185], v[6:7] op_sel_hi:[1,1,0] neg_lo:[0,0,1] neg_hi:[0,0,1]
	v_mul_f32_e32 v4, v5, v60
	s_delay_alu instid0(VALU_DEP_3) | instskip(NEXT) | instid1(VALU_DEP_2)
	v_pk_add_f32 v[254:255], v[254:255], v[64:65] neg_lo:[0,1] neg_hi:[0,1]
	v_pk_fma_f32 v[2:3], v[2:3], v[184:185], v[4:5] op_sel_hi:[1,1,0]
	s_delay_alu instid0(VALU_DEP_1) | instskip(NEXT) | instid1(VALU_DEP_1)
	v_mov_b32_e32 v7, v3
	v_pk_add_f32 v[0:1], v[0:1], v[6:7] neg_lo:[0,1] neg_hi:[0,1]
.LBB127_253:
	s_or_b32 exec_lo, exec_lo, s1
	s_delay_alu instid0(SALU_CYCLE_1)
	s_mov_b32 s2, exec_lo
	s_wait_dscnt 0x0
	s_barrier_signal -1
	s_barrier_wait -1
	v_cmpx_eq_u32_e32 28, v18
	s_cbranch_execz .LBB127_260
; %bb.254:
	ds_store_b64 v19, v[186:187]
	ds_store_2addr_b64 v126, v[188:189], v[190:191] offset0:29 offset1:30
	ds_store_2addr_b64 v126, v[192:193], v[194:195] offset0:31 offset1:32
	;; [unrolled: 1-line block ×17, first 2 shown]
	ds_store_b64 v126, v[0:1] offset:504
	ds_load_b64 v[2:3], v19
	s_wait_dscnt 0x0
	v_cmp_neq_f32_e32 vcc_lo, 0, v2
	v_cmp_neq_f32_e64 s1, 0, v3
	s_or_b32 s1, vcc_lo, s1
	s_delay_alu instid0(SALU_CYCLE_1)
	s_and_b32 exec_lo, exec_lo, s1
	s_cbranch_execz .LBB127_260
; %bb.255:
	v_cmp_ngt_f32_e64 s1, |v2|, |v3|
                                        ; implicit-def: $vgpr4_vgpr5
	s_and_saveexec_b32 s4, s1
	s_delay_alu instid0(SALU_CYCLE_1)
	s_xor_b32 s1, exec_lo, s4
	s_cbranch_execz .LBB127_257
; %bb.256:
	v_div_scale_f32 v4, null, v3, v3, v2
	v_div_scale_f32 v7, vcc_lo, v2, v3, v2
	s_delay_alu instid0(VALU_DEP_2) | instskip(SKIP_1) | instid1(TRANS32_DEP_1)
	v_rcp_f32_e32 v5, v4
	v_nop
	v_fma_f32 v6, -v4, v5, 1.0
	s_delay_alu instid0(VALU_DEP_1) | instskip(NEXT) | instid1(VALU_DEP_1)
	v_fmac_f32_e32 v5, v6, v5
	v_mul_f32_e32 v6, v7, v5
	s_delay_alu instid0(VALU_DEP_1) | instskip(NEXT) | instid1(VALU_DEP_1)
	v_fma_f32 v8, -v4, v6, v7
	v_fmac_f32_e32 v6, v8, v5
	s_delay_alu instid0(VALU_DEP_1) | instskip(NEXT) | instid1(VALU_DEP_1)
	v_fma_f32 v4, -v4, v6, v7
	v_div_fmas_f32 v4, v4, v5, v6
	s_delay_alu instid0(VALU_DEP_1) | instskip(NEXT) | instid1(VALU_DEP_1)
	v_div_fixup_f32 v4, v4, v3, v2
	v_fmac_f32_e32 v3, v2, v4
	s_delay_alu instid0(VALU_DEP_1) | instskip(SKIP_1) | instid1(VALU_DEP_2)
	v_div_scale_f32 v2, null, v3, v3, 1.0
	v_div_scale_f32 v7, vcc_lo, 1.0, v3, 1.0
	v_rcp_f32_e32 v5, v2
	v_nop
	s_delay_alu instid0(TRANS32_DEP_1) | instskip(NEXT) | instid1(VALU_DEP_1)
	v_fma_f32 v6, -v2, v5, 1.0
	v_fmac_f32_e32 v5, v6, v5
	s_delay_alu instid0(VALU_DEP_1) | instskip(NEXT) | instid1(VALU_DEP_1)
	v_mul_f32_e32 v6, v7, v5
	v_fma_f32 v8, -v2, v6, v7
	s_delay_alu instid0(VALU_DEP_1) | instskip(NEXT) | instid1(VALU_DEP_1)
	v_fmac_f32_e32 v6, v8, v5
	v_fma_f32 v2, -v2, v6, v7
	s_delay_alu instid0(VALU_DEP_1) | instskip(NEXT) | instid1(VALU_DEP_1)
	v_div_fmas_f32 v2, v2, v5, v6
	v_div_fixup_f32 v2, v2, v3, 1.0
	s_delay_alu instid0(VALU_DEP_1)
	v_mul_f32_e32 v4, v4, v2
	v_xor_b32_e32 v5, 0x80000000, v2
                                        ; implicit-def: $vgpr2_vgpr3
.LBB127_257:
	s_and_not1_saveexec_b32 s1, s1
	s_cbranch_execz .LBB127_259
; %bb.258:
	v_div_scale_f32 v4, null, v2, v2, v3
	v_div_scale_f32 v7, vcc_lo, v3, v2, v3
	s_delay_alu instid0(VALU_DEP_2) | instskip(SKIP_1) | instid1(TRANS32_DEP_1)
	v_rcp_f32_e32 v5, v4
	v_nop
	v_fma_f32 v6, -v4, v5, 1.0
	s_delay_alu instid0(VALU_DEP_1) | instskip(NEXT) | instid1(VALU_DEP_1)
	v_fmac_f32_e32 v5, v6, v5
	v_mul_f32_e32 v6, v7, v5
	s_delay_alu instid0(VALU_DEP_1) | instskip(NEXT) | instid1(VALU_DEP_1)
	v_fma_f32 v8, -v4, v6, v7
	v_fmac_f32_e32 v6, v8, v5
	s_delay_alu instid0(VALU_DEP_1) | instskip(NEXT) | instid1(VALU_DEP_1)
	v_fma_f32 v4, -v4, v6, v7
	v_div_fmas_f32 v4, v4, v5, v6
	s_delay_alu instid0(VALU_DEP_1) | instskip(NEXT) | instid1(VALU_DEP_1)
	v_div_fixup_f32 v5, v4, v2, v3
	v_fmac_f32_e32 v2, v3, v5
	s_delay_alu instid0(VALU_DEP_1) | instskip(NEXT) | instid1(VALU_DEP_1)
	v_div_scale_f32 v3, null, v2, v2, 1.0
	v_rcp_f32_e32 v4, v3
	v_nop
	s_delay_alu instid0(TRANS32_DEP_1) | instskip(NEXT) | instid1(VALU_DEP_1)
	v_fma_f32 v6, -v3, v4, 1.0
	v_fmac_f32_e32 v4, v6, v4
	v_div_scale_f32 v6, vcc_lo, 1.0, v2, 1.0
	s_delay_alu instid0(VALU_DEP_1) | instskip(NEXT) | instid1(VALU_DEP_1)
	v_mul_f32_e32 v7, v6, v4
	v_fma_f32 v8, -v3, v7, v6
	s_delay_alu instid0(VALU_DEP_1) | instskip(NEXT) | instid1(VALU_DEP_1)
	v_fmac_f32_e32 v7, v8, v4
	v_fma_f32 v3, -v3, v7, v6
	s_delay_alu instid0(VALU_DEP_1) | instskip(NEXT) | instid1(VALU_DEP_1)
	v_div_fmas_f32 v3, v3, v4, v7
	v_div_fixup_f32 v4, v3, v2, 1.0
	s_delay_alu instid0(VALU_DEP_1)
	v_mul_f32_e64 v5, v5, -v4
.LBB127_259:
	s_or_b32 exec_lo, exec_lo, s1
	ds_store_b64 v19, v[4:5]
.LBB127_260:
	s_or_b32 exec_lo, exec_lo, s2
	s_wait_dscnt 0x0
	s_barrier_signal -1
	s_barrier_wait -1
	ds_load_b64 v[60:61], v19
	s_mov_b32 s1, exec_lo
	v_cmpx_lt_u32_e32 28, v18
	s_cbranch_execz .LBB127_262
; %bb.261:
	s_wait_dscnt 0x0
	v_pk_mul_f32 v[2:3], v[60:61], v[186:187] op_sel:[1,1] op_sel_hi:[0,1]
	s_delay_alu instid0(VALU_DEP_1)
	v_pk_fma_f32 v[62:63], v[60:61], v[186:187], v[2:3] op_sel_hi:[1,0,1] neg_lo:[0,0,1] neg_hi:[0,0,1]
	v_pk_fma_f32 v[64:65], v[60:61], v[186:187], v[2:3] op_sel_hi:[1,0,1]
	ds_load_2addr_b64 v[2:5], v126 offset0:29 offset1:30
	v_dual_mov_b32 v186, v62 :: v_dual_mov_b32 v187, v65
	s_wait_dscnt 0x0
	v_pk_mul_f32 v[6:7], v[2:3], v[64:65] op_sel:[0,1]
	s_delay_alu instid0(VALU_DEP_1) | instskip(SKIP_1) | instid1(VALU_DEP_1)
	v_pk_fma_f32 v[66:67], v[2:3], v[62:63], v[6:7] op_sel:[0,0,1] op_sel_hi:[1,1,0] neg_lo:[0,0,1] neg_hi:[0,0,1]
	v_pk_fma_f32 v[2:3], v[2:3], v[62:63], v[6:7] op_sel:[0,0,1] op_sel_hi:[1,0,0]
	v_mov_b32_e32 v67, v3
	v_pk_mul_f32 v[2:3], v[4:5], v[64:65] op_sel:[0,1]
	s_delay_alu instid0(VALU_DEP_1) | instskip(SKIP_1) | instid1(VALU_DEP_1)
	v_pk_fma_f32 v[6:7], v[4:5], v[62:63], v[2:3] op_sel:[0,0,1] op_sel_hi:[1,1,0] neg_lo:[0,0,1] neg_hi:[0,0,1]
	v_pk_fma_f32 v[2:3], v[4:5], v[62:63], v[2:3] op_sel:[0,0,1] op_sel_hi:[1,0,0]
	v_mov_b32_e32 v7, v3
	ds_load_2addr_b64 v[2:5], v126 offset0:31 offset1:32
	v_pk_add_f32 v[188:189], v[188:189], v[66:67] neg_lo:[0,1] neg_hi:[0,1]
	v_pk_add_f32 v[190:191], v[190:191], v[6:7] neg_lo:[0,1] neg_hi:[0,1]
	s_wait_dscnt 0x0
	v_pk_mul_f32 v[6:7], v[2:3], v[64:65] op_sel:[0,1]
	s_delay_alu instid0(VALU_DEP_1) | instskip(SKIP_2) | instid1(VALU_DEP_2)
	v_pk_fma_f32 v[66:67], v[2:3], v[62:63], v[6:7] op_sel:[0,0,1] op_sel_hi:[1,1,0] neg_lo:[0,0,1] neg_hi:[0,0,1]
	v_pk_fma_f32 v[2:3], v[2:3], v[62:63], v[6:7] op_sel:[0,0,1] op_sel_hi:[1,0,0]
	v_dual_mul_f32 v6, v5, v65 :: v_dual_mov_b32 v2, v5
	v_dual_mov_b32 v67, v3 :: v_dual_mov_b32 v3, v4
	s_delay_alu instid0(VALU_DEP_2) | instskip(SKIP_1) | instid1(VALU_DEP_3)
	v_pk_fma_f32 v[6:7], v[4:5], v[186:187], v[6:7] op_sel_hi:[1,1,0] neg_lo:[0,0,1] neg_hi:[0,0,1]
	v_mul_f32_e32 v4, v5, v62
	v_pk_add_f32 v[192:193], v[192:193], v[66:67] neg_lo:[0,1] neg_hi:[0,1]
	s_delay_alu instid0(VALU_DEP_2) | instskip(NEXT) | instid1(VALU_DEP_1)
	v_pk_fma_f32 v[2:3], v[2:3], v[186:187], v[4:5] op_sel_hi:[1,1,0]
	v_mov_b32_e32 v7, v3
	ds_load_2addr_b64 v[2:5], v126 offset0:33 offset1:34
	v_pk_add_f32 v[194:195], v[194:195], v[6:7] neg_lo:[0,1] neg_hi:[0,1]
	s_wait_dscnt 0x0
	v_pk_mul_f32 v[6:7], v[2:3], v[64:65] op_sel:[0,1]
	s_delay_alu instid0(VALU_DEP_1) | instskip(SKIP_1) | instid1(VALU_DEP_1)
	v_pk_fma_f32 v[66:67], v[2:3], v[62:63], v[6:7] op_sel:[0,0,1] op_sel_hi:[1,1,0] neg_lo:[0,0,1] neg_hi:[0,0,1]
	v_pk_fma_f32 v[2:3], v[2:3], v[62:63], v[6:7] op_sel:[0,0,1] op_sel_hi:[1,0,0]
	v_mov_b32_e32 v67, v3
	v_pk_mul_f32 v[2:3], v[4:5], v[64:65] op_sel:[0,1]
	s_delay_alu instid0(VALU_DEP_1) | instskip(SKIP_1) | instid1(VALU_DEP_1)
	v_pk_fma_f32 v[6:7], v[4:5], v[62:63], v[2:3] op_sel:[0,0,1] op_sel_hi:[1,1,0] neg_lo:[0,0,1] neg_hi:[0,0,1]
	v_pk_fma_f32 v[2:3], v[4:5], v[62:63], v[2:3] op_sel:[0,0,1] op_sel_hi:[1,0,0]
	v_mov_b32_e32 v7, v3
	ds_load_2addr_b64 v[2:5], v126 offset0:35 offset1:36
	v_pk_add_f32 v[196:197], v[196:197], v[66:67] neg_lo:[0,1] neg_hi:[0,1]
	v_pk_add_f32 v[198:199], v[198:199], v[6:7] neg_lo:[0,1] neg_hi:[0,1]
	s_wait_dscnt 0x0
	v_pk_mul_f32 v[6:7], v[2:3], v[64:65] op_sel:[0,1]
	s_delay_alu instid0(VALU_DEP_1) | instskip(SKIP_1) | instid1(VALU_DEP_1)
	v_pk_fma_f32 v[66:67], v[2:3], v[62:63], v[6:7] op_sel:[0,0,1] op_sel_hi:[1,1,0] neg_lo:[0,0,1] neg_hi:[0,0,1]
	v_pk_fma_f32 v[2:3], v[2:3], v[62:63], v[6:7] op_sel:[0,0,1] op_sel_hi:[1,0,0]
	v_mov_b32_e32 v67, v3
	v_pk_mul_f32 v[2:3], v[4:5], v[64:65] op_sel:[0,1]
	s_delay_alu instid0(VALU_DEP_1) | instskip(SKIP_1) | instid1(VALU_DEP_1)
	v_pk_fma_f32 v[6:7], v[4:5], v[62:63], v[2:3] op_sel:[0,0,1] op_sel_hi:[1,1,0] neg_lo:[0,0,1] neg_hi:[0,0,1]
	v_pk_fma_f32 v[2:3], v[4:5], v[62:63], v[2:3] op_sel:[0,0,1] op_sel_hi:[1,0,0]
	v_mov_b32_e32 v7, v3
	ds_load_2addr_b64 v[2:5], v126 offset0:37 offset1:38
	v_pk_add_f32 v[200:201], v[200:201], v[66:67] neg_lo:[0,1] neg_hi:[0,1]
	v_pk_add_f32 v[202:203], v[202:203], v[6:7] neg_lo:[0,1] neg_hi:[0,1]
	s_wait_dscnt 0x0
	v_dual_mul_f32 v6, v3, v65 :: v_dual_mul_f32 v66, v3, v62
	s_delay_alu instid0(VALU_DEP_1) | instskip(NEXT) | instid1(VALU_DEP_2)
	v_pk_fma_f32 v[6:7], v[2:3], v[186:187], v[6:7] op_sel_hi:[1,1,0] neg_lo:[0,0,1] neg_hi:[0,0,1]
	v_pk_fma_f32 v[2:3], v[2:3], v[186:187], v[66:67] op_sel:[1,0,0] op_sel_hi:[0,1,0]
	s_delay_alu instid0(VALU_DEP_1) | instskip(SKIP_1) | instid1(VALU_DEP_2)
	v_mov_b32_e32 v7, v3
	v_pk_mul_f32 v[2:3], v[4:5], v[64:65] op_sel:[0,1]
	v_pk_add_f32 v[204:205], v[204:205], v[6:7] neg_lo:[0,1] neg_hi:[0,1]
	s_delay_alu instid0(VALU_DEP_2) | instskip(SKIP_1) | instid1(VALU_DEP_1)
	v_pk_fma_f32 v[6:7], v[4:5], v[62:63], v[2:3] op_sel:[0,0,1] op_sel_hi:[1,1,0] neg_lo:[0,0,1] neg_hi:[0,0,1]
	v_pk_fma_f32 v[2:3], v[4:5], v[62:63], v[2:3] op_sel:[0,0,1] op_sel_hi:[1,0,0]
	v_mov_b32_e32 v7, v3
	ds_load_2addr_b64 v[2:5], v126 offset0:39 offset1:40
	v_pk_add_f32 v[206:207], v[206:207], v[6:7] neg_lo:[0,1] neg_hi:[0,1]
	s_wait_dscnt 0x0
	v_pk_mul_f32 v[6:7], v[2:3], v[64:65] op_sel:[0,1]
	s_delay_alu instid0(VALU_DEP_1) | instskip(SKIP_1) | instid1(VALU_DEP_1)
	v_pk_fma_f32 v[66:67], v[2:3], v[62:63], v[6:7] op_sel:[0,0,1] op_sel_hi:[1,1,0] neg_lo:[0,0,1] neg_hi:[0,0,1]
	v_pk_fma_f32 v[2:3], v[2:3], v[62:63], v[6:7] op_sel:[0,0,1] op_sel_hi:[1,0,0]
	v_mov_b32_e32 v67, v3
	v_pk_mul_f32 v[2:3], v[4:5], v[64:65] op_sel:[0,1]
	s_delay_alu instid0(VALU_DEP_2) | instskip(NEXT) | instid1(VALU_DEP_2)
	v_pk_add_f32 v[208:209], v[208:209], v[66:67] neg_lo:[0,1] neg_hi:[0,1]
	v_pk_fma_f32 v[6:7], v[4:5], v[62:63], v[2:3] op_sel:[0,0,1] op_sel_hi:[1,1,0] neg_lo:[0,0,1] neg_hi:[0,0,1]
	v_pk_fma_f32 v[2:3], v[4:5], v[62:63], v[2:3] op_sel:[0,0,1] op_sel_hi:[1,0,0]
	s_delay_alu instid0(VALU_DEP_1) | instskip(SKIP_4) | instid1(VALU_DEP_1)
	v_mov_b32_e32 v7, v3
	ds_load_2addr_b64 v[2:5], v126 offset0:41 offset1:42
	v_pk_add_f32 v[210:211], v[210:211], v[6:7] neg_lo:[0,1] neg_hi:[0,1]
	s_wait_dscnt 0x0
	v_pk_mul_f32 v[6:7], v[2:3], v[64:65] op_sel:[0,1]
	v_pk_fma_f32 v[66:67], v[2:3], v[62:63], v[6:7] op_sel:[0,0,1] op_sel_hi:[1,1,0] neg_lo:[0,0,1] neg_hi:[0,0,1]
	v_pk_fma_f32 v[2:3], v[2:3], v[62:63], v[6:7] op_sel:[0,0,1] op_sel_hi:[1,0,0]
	v_dual_mul_f32 v6, v5, v65 :: v_dual_mov_b32 v2, v5
	s_delay_alu instid0(VALU_DEP_2) | instskip(NEXT) | instid1(VALU_DEP_2)
	v_dual_mov_b32 v67, v3 :: v_dual_mov_b32 v3, v4
	v_pk_fma_f32 v[6:7], v[4:5], v[186:187], v[6:7] op_sel_hi:[1,1,0] neg_lo:[0,0,1] neg_hi:[0,0,1]
	v_mul_f32_e32 v4, v5, v62
	s_delay_alu instid0(VALU_DEP_3) | instskip(NEXT) | instid1(VALU_DEP_2)
	v_pk_add_f32 v[212:213], v[212:213], v[66:67] neg_lo:[0,1] neg_hi:[0,1]
	v_pk_fma_f32 v[2:3], v[2:3], v[186:187], v[4:5] op_sel_hi:[1,1,0]
	s_delay_alu instid0(VALU_DEP_1) | instskip(SKIP_4) | instid1(VALU_DEP_1)
	v_mov_b32_e32 v7, v3
	ds_load_2addr_b64 v[2:5], v126 offset0:43 offset1:44
	v_pk_add_f32 v[214:215], v[214:215], v[6:7] neg_lo:[0,1] neg_hi:[0,1]
	s_wait_dscnt 0x0
	v_pk_mul_f32 v[6:7], v[2:3], v[64:65] op_sel:[0,1]
	v_pk_fma_f32 v[66:67], v[2:3], v[62:63], v[6:7] op_sel:[0,0,1] op_sel_hi:[1,1,0] neg_lo:[0,0,1] neg_hi:[0,0,1]
	v_pk_fma_f32 v[2:3], v[2:3], v[62:63], v[6:7] op_sel:[0,0,1] op_sel_hi:[1,0,0]
	s_delay_alu instid0(VALU_DEP_1) | instskip(SKIP_1) | instid1(VALU_DEP_1)
	v_mov_b32_e32 v67, v3
	v_pk_mul_f32 v[2:3], v[4:5], v[64:65] op_sel:[0,1]
	v_pk_fma_f32 v[6:7], v[4:5], v[62:63], v[2:3] op_sel:[0,0,1] op_sel_hi:[1,1,0] neg_lo:[0,0,1] neg_hi:[0,0,1]
	v_pk_fma_f32 v[2:3], v[4:5], v[62:63], v[2:3] op_sel:[0,0,1] op_sel_hi:[1,0,0]
	s_delay_alu instid0(VALU_DEP_1)
	v_mov_b32_e32 v7, v3
	ds_load_2addr_b64 v[2:5], v126 offset0:45 offset1:46
	v_pk_add_f32 v[216:217], v[216:217], v[66:67] neg_lo:[0,1] neg_hi:[0,1]
	v_pk_add_f32 v[218:219], v[218:219], v[6:7] neg_lo:[0,1] neg_hi:[0,1]
	s_wait_dscnt 0x0
	v_pk_mul_f32 v[6:7], v[2:3], v[64:65] op_sel:[0,1]
	s_delay_alu instid0(VALU_DEP_1) | instskip(SKIP_1) | instid1(VALU_DEP_1)
	v_pk_fma_f32 v[66:67], v[2:3], v[62:63], v[6:7] op_sel:[0,0,1] op_sel_hi:[1,1,0] neg_lo:[0,0,1] neg_hi:[0,0,1]
	v_pk_fma_f32 v[2:3], v[2:3], v[62:63], v[6:7] op_sel:[0,0,1] op_sel_hi:[1,0,0]
	v_mov_b32_e32 v67, v3
	v_pk_mul_f32 v[2:3], v[4:5], v[64:65] op_sel:[0,1]
	s_delay_alu instid0(VALU_DEP_1) | instskip(SKIP_1) | instid1(VALU_DEP_1)
	v_pk_fma_f32 v[6:7], v[4:5], v[62:63], v[2:3] op_sel:[0,0,1] op_sel_hi:[1,1,0] neg_lo:[0,0,1] neg_hi:[0,0,1]
	v_pk_fma_f32 v[2:3], v[4:5], v[62:63], v[2:3] op_sel:[0,0,1] op_sel_hi:[1,0,0]
	v_mov_b32_e32 v7, v3
	ds_load_2addr_b64 v[2:5], v126 offset0:47 offset1:48
	v_pk_add_f32 v[220:221], v[220:221], v[66:67] neg_lo:[0,1] neg_hi:[0,1]
	v_pk_add_f32 v[222:223], v[222:223], v[6:7] neg_lo:[0,1] neg_hi:[0,1]
	s_wait_dscnt 0x0
	v_dual_mul_f32 v6, v3, v65 :: v_dual_mul_f32 v66, v3, v62
	s_delay_alu instid0(VALU_DEP_1) | instskip(NEXT) | instid1(VALU_DEP_2)
	v_pk_fma_f32 v[6:7], v[2:3], v[186:187], v[6:7] op_sel_hi:[1,1,0] neg_lo:[0,0,1] neg_hi:[0,0,1]
	v_pk_fma_f32 v[2:3], v[2:3], v[186:187], v[66:67] op_sel:[1,0,0] op_sel_hi:[0,1,0]
	s_delay_alu instid0(VALU_DEP_1) | instskip(SKIP_1) | instid1(VALU_DEP_2)
	v_mov_b32_e32 v7, v3
	v_pk_mul_f32 v[2:3], v[4:5], v[64:65] op_sel:[0,1]
	v_pk_add_f32 v[224:225], v[224:225], v[6:7] neg_lo:[0,1] neg_hi:[0,1]
	s_delay_alu instid0(VALU_DEP_2) | instskip(SKIP_1) | instid1(VALU_DEP_1)
	v_pk_fma_f32 v[6:7], v[4:5], v[62:63], v[2:3] op_sel:[0,0,1] op_sel_hi:[1,1,0] neg_lo:[0,0,1] neg_hi:[0,0,1]
	v_pk_fma_f32 v[2:3], v[4:5], v[62:63], v[2:3] op_sel:[0,0,1] op_sel_hi:[1,0,0]
	v_mov_b32_e32 v7, v3
	ds_load_2addr_b64 v[2:5], v126 offset0:49 offset1:50
	v_pk_add_f32 v[226:227], v[226:227], v[6:7] neg_lo:[0,1] neg_hi:[0,1]
	s_wait_dscnt 0x0
	v_pk_mul_f32 v[6:7], v[2:3], v[64:65] op_sel:[0,1]
	s_delay_alu instid0(VALU_DEP_1) | instskip(SKIP_1) | instid1(VALU_DEP_1)
	v_pk_fma_f32 v[66:67], v[2:3], v[62:63], v[6:7] op_sel:[0,0,1] op_sel_hi:[1,1,0] neg_lo:[0,0,1] neg_hi:[0,0,1]
	v_pk_fma_f32 v[2:3], v[2:3], v[62:63], v[6:7] op_sel:[0,0,1] op_sel_hi:[1,0,0]
	v_mov_b32_e32 v67, v3
	v_pk_mul_f32 v[2:3], v[4:5], v[64:65] op_sel:[0,1]
	s_delay_alu instid0(VALU_DEP_2) | instskip(NEXT) | instid1(VALU_DEP_2)
	v_pk_add_f32 v[228:229], v[228:229], v[66:67] neg_lo:[0,1] neg_hi:[0,1]
	v_pk_fma_f32 v[6:7], v[4:5], v[62:63], v[2:3] op_sel:[0,0,1] op_sel_hi:[1,1,0] neg_lo:[0,0,1] neg_hi:[0,0,1]
	v_pk_fma_f32 v[2:3], v[4:5], v[62:63], v[2:3] op_sel:[0,0,1] op_sel_hi:[1,0,0]
	s_delay_alu instid0(VALU_DEP_1) | instskip(SKIP_4) | instid1(VALU_DEP_1)
	v_mov_b32_e32 v7, v3
	ds_load_2addr_b64 v[2:5], v126 offset0:51 offset1:52
	v_pk_add_f32 v[230:231], v[230:231], v[6:7] neg_lo:[0,1] neg_hi:[0,1]
	s_wait_dscnt 0x0
	v_pk_mul_f32 v[6:7], v[2:3], v[64:65] op_sel:[0,1]
	v_pk_fma_f32 v[66:67], v[2:3], v[62:63], v[6:7] op_sel:[0,0,1] op_sel_hi:[1,1,0] neg_lo:[0,0,1] neg_hi:[0,0,1]
	v_pk_fma_f32 v[2:3], v[2:3], v[62:63], v[6:7] op_sel:[0,0,1] op_sel_hi:[1,0,0]
	v_dual_mul_f32 v6, v5, v65 :: v_dual_mov_b32 v2, v5
	s_delay_alu instid0(VALU_DEP_2) | instskip(NEXT) | instid1(VALU_DEP_2)
	v_dual_mov_b32 v67, v3 :: v_dual_mov_b32 v3, v4
	v_pk_fma_f32 v[6:7], v[4:5], v[186:187], v[6:7] op_sel_hi:[1,1,0] neg_lo:[0,0,1] neg_hi:[0,0,1]
	v_mul_f32_e32 v4, v5, v62
	s_delay_alu instid0(VALU_DEP_3) | instskip(NEXT) | instid1(VALU_DEP_2)
	v_pk_add_f32 v[232:233], v[232:233], v[66:67] neg_lo:[0,1] neg_hi:[0,1]
	v_pk_fma_f32 v[2:3], v[2:3], v[186:187], v[4:5] op_sel_hi:[1,1,0]
	s_delay_alu instid0(VALU_DEP_1) | instskip(SKIP_4) | instid1(VALU_DEP_1)
	v_mov_b32_e32 v7, v3
	ds_load_2addr_b64 v[2:5], v126 offset0:53 offset1:54
	v_pk_add_f32 v[234:235], v[234:235], v[6:7] neg_lo:[0,1] neg_hi:[0,1]
	s_wait_dscnt 0x0
	v_pk_mul_f32 v[6:7], v[2:3], v[64:65] op_sel:[0,1]
	v_pk_fma_f32 v[66:67], v[2:3], v[62:63], v[6:7] op_sel:[0,0,1] op_sel_hi:[1,1,0] neg_lo:[0,0,1] neg_hi:[0,0,1]
	v_pk_fma_f32 v[2:3], v[2:3], v[62:63], v[6:7] op_sel:[0,0,1] op_sel_hi:[1,0,0]
	s_delay_alu instid0(VALU_DEP_1) | instskip(SKIP_1) | instid1(VALU_DEP_1)
	v_mov_b32_e32 v67, v3
	v_pk_mul_f32 v[2:3], v[4:5], v[64:65] op_sel:[0,1]
	v_pk_fma_f32 v[6:7], v[4:5], v[62:63], v[2:3] op_sel:[0,0,1] op_sel_hi:[1,1,0] neg_lo:[0,0,1] neg_hi:[0,0,1]
	v_pk_fma_f32 v[2:3], v[4:5], v[62:63], v[2:3] op_sel:[0,0,1] op_sel_hi:[1,0,0]
	s_delay_alu instid0(VALU_DEP_1)
	v_mov_b32_e32 v7, v3
	ds_load_2addr_b64 v[2:5], v126 offset0:55 offset1:56
	v_pk_add_f32 v[236:237], v[236:237], v[66:67] neg_lo:[0,1] neg_hi:[0,1]
	v_pk_add_f32 v[238:239], v[238:239], v[6:7] neg_lo:[0,1] neg_hi:[0,1]
	s_wait_dscnt 0x0
	v_pk_mul_f32 v[6:7], v[2:3], v[64:65] op_sel:[0,1]
	s_delay_alu instid0(VALU_DEP_1) | instskip(SKIP_1) | instid1(VALU_DEP_1)
	v_pk_fma_f32 v[66:67], v[2:3], v[62:63], v[6:7] op_sel:[0,0,1] op_sel_hi:[1,1,0] neg_lo:[0,0,1] neg_hi:[0,0,1]
	v_pk_fma_f32 v[2:3], v[2:3], v[62:63], v[6:7] op_sel:[0,0,1] op_sel_hi:[1,0,0]
	v_mov_b32_e32 v67, v3
	v_pk_mul_f32 v[2:3], v[4:5], v[64:65] op_sel:[0,1]
	s_delay_alu instid0(VALU_DEP_1) | instskip(SKIP_1) | instid1(VALU_DEP_1)
	v_pk_fma_f32 v[6:7], v[4:5], v[62:63], v[2:3] op_sel:[0,0,1] op_sel_hi:[1,1,0] neg_lo:[0,0,1] neg_hi:[0,0,1]
	v_pk_fma_f32 v[2:3], v[4:5], v[62:63], v[2:3] op_sel:[0,0,1] op_sel_hi:[1,0,0]
	v_mov_b32_e32 v7, v3
	ds_load_2addr_b64 v[2:5], v126 offset0:57 offset1:58
	v_pk_add_f32 v[240:241], v[240:241], v[66:67] neg_lo:[0,1] neg_hi:[0,1]
	v_pk_add_f32 v[252:253], v[252:253], v[6:7] neg_lo:[0,1] neg_hi:[0,1]
	s_wait_dscnt 0x0
	v_dual_mul_f32 v6, v3, v65 :: v_dual_mul_f32 v66, v3, v62
	s_delay_alu instid0(VALU_DEP_1) | instskip(NEXT) | instid1(VALU_DEP_2)
	v_pk_fma_f32 v[6:7], v[2:3], v[186:187], v[6:7] op_sel_hi:[1,1,0] neg_lo:[0,0,1] neg_hi:[0,0,1]
	v_pk_fma_f32 v[2:3], v[2:3], v[186:187], v[66:67] op_sel:[1,0,0] op_sel_hi:[0,1,0]
	s_delay_alu instid0(VALU_DEP_1) | instskip(SKIP_1) | instid1(VALU_DEP_2)
	v_mov_b32_e32 v7, v3
	v_pk_mul_f32 v[2:3], v[4:5], v[64:65] op_sel:[0,1]
	v_pk_add_f32 v[246:247], v[246:247], v[6:7] neg_lo:[0,1] neg_hi:[0,1]
	s_delay_alu instid0(VALU_DEP_2) | instskip(SKIP_1) | instid1(VALU_DEP_1)
	v_pk_fma_f32 v[6:7], v[4:5], v[62:63], v[2:3] op_sel:[0,0,1] op_sel_hi:[1,1,0] neg_lo:[0,0,1] neg_hi:[0,0,1]
	v_pk_fma_f32 v[2:3], v[4:5], v[62:63], v[2:3] op_sel:[0,0,1] op_sel_hi:[1,0,0]
	v_mov_b32_e32 v7, v3
	ds_load_2addr_b64 v[2:5], v126 offset0:59 offset1:60
	v_pk_add_f32 v[250:251], v[250:251], v[6:7] neg_lo:[0,1] neg_hi:[0,1]
	s_wait_dscnt 0x0
	v_pk_mul_f32 v[6:7], v[2:3], v[64:65] op_sel:[0,1]
	s_delay_alu instid0(VALU_DEP_1) | instskip(SKIP_1) | instid1(VALU_DEP_1)
	v_pk_fma_f32 v[66:67], v[2:3], v[62:63], v[6:7] op_sel:[0,0,1] op_sel_hi:[1,1,0] neg_lo:[0,0,1] neg_hi:[0,0,1]
	v_pk_fma_f32 v[2:3], v[2:3], v[62:63], v[6:7] op_sel:[0,0,1] op_sel_hi:[1,0,0]
	v_mov_b32_e32 v67, v3
	v_pk_mul_f32 v[2:3], v[4:5], v[64:65] op_sel:[0,1]
	s_delay_alu instid0(VALU_DEP_2) | instskip(NEXT) | instid1(VALU_DEP_2)
	v_pk_add_f32 v[244:245], v[244:245], v[66:67] neg_lo:[0,1] neg_hi:[0,1]
	v_pk_fma_f32 v[6:7], v[4:5], v[62:63], v[2:3] op_sel:[0,0,1] op_sel_hi:[1,1,0] neg_lo:[0,0,1] neg_hi:[0,0,1]
	v_pk_fma_f32 v[2:3], v[4:5], v[62:63], v[2:3] op_sel:[0,0,1] op_sel_hi:[1,0,0]
	s_delay_alu instid0(VALU_DEP_1) | instskip(SKIP_4) | instid1(VALU_DEP_1)
	v_mov_b32_e32 v7, v3
	ds_load_2addr_b64 v[2:5], v126 offset0:61 offset1:62
	v_pk_add_f32 v[248:249], v[248:249], v[6:7] neg_lo:[0,1] neg_hi:[0,1]
	s_wait_dscnt 0x0
	v_pk_mul_f32 v[6:7], v[2:3], v[64:65] op_sel:[0,1]
	v_pk_fma_f32 v[66:67], v[2:3], v[62:63], v[6:7] op_sel:[0,0,1] op_sel_hi:[1,1,0] neg_lo:[0,0,1] neg_hi:[0,0,1]
	v_pk_fma_f32 v[2:3], v[2:3], v[62:63], v[6:7] op_sel:[0,0,1] op_sel_hi:[1,0,0]
	v_dual_mul_f32 v6, v5, v65 :: v_dual_mov_b32 v2, v5
	s_delay_alu instid0(VALU_DEP_2) | instskip(NEXT) | instid1(VALU_DEP_2)
	v_dual_mov_b32 v67, v3 :: v_dual_mov_b32 v3, v4
	v_pk_fma_f32 v[6:7], v[4:5], v[186:187], v[6:7] op_sel_hi:[1,1,0] neg_lo:[0,0,1] neg_hi:[0,0,1]
	v_mul_f32_e32 v4, v5, v62
	s_delay_alu instid0(VALU_DEP_3) | instskip(NEXT) | instid1(VALU_DEP_2)
	v_pk_add_f32 v[242:243], v[242:243], v[66:67] neg_lo:[0,1] neg_hi:[0,1]
	v_pk_fma_f32 v[2:3], v[2:3], v[186:187], v[4:5] op_sel_hi:[1,1,0]
	s_delay_alu instid0(VALU_DEP_1) | instskip(SKIP_4) | instid1(VALU_DEP_1)
	v_mov_b32_e32 v7, v3
	ds_load_b64 v[2:3], v126 offset:504
	v_pk_add_f32 v[254:255], v[254:255], v[6:7] neg_lo:[0,1] neg_hi:[0,1]
	s_wait_dscnt 0x0
	v_pk_mul_f32 v[4:5], v[2:3], v[64:65] op_sel:[0,1]
	v_pk_fma_f32 v[6:7], v[2:3], v[62:63], v[4:5] op_sel:[0,0,1] op_sel_hi:[1,1,0] neg_lo:[0,0,1] neg_hi:[0,0,1]
	v_pk_fma_f32 v[2:3], v[2:3], v[62:63], v[4:5] op_sel:[0,0,1] op_sel_hi:[1,0,0]
	s_delay_alu instid0(VALU_DEP_1) | instskip(NEXT) | instid1(VALU_DEP_1)
	v_mov_b32_e32 v7, v3
	v_pk_add_f32 v[0:1], v[0:1], v[6:7] neg_lo:[0,1] neg_hi:[0,1]
.LBB127_262:
	s_or_b32 exec_lo, exec_lo, s1
	s_delay_alu instid0(SALU_CYCLE_1)
	s_mov_b32 s2, exec_lo
	s_wait_dscnt 0x0
	s_barrier_signal -1
	s_barrier_wait -1
	v_cmpx_eq_u32_e32 29, v18
	s_cbranch_execz .LBB127_269
; %bb.263:
	v_dual_mov_b32 v2, v190 :: v_dual_mov_b32 v3, v191
	v_dual_mov_b32 v4, v192 :: v_dual_mov_b32 v5, v193
	ds_store_b64 v19, v[188:189]
	ds_store_2addr_b64 v126, v[2:3], v[4:5] offset0:30 offset1:31
	v_dual_mov_b32 v2, v194 :: v_dual_mov_b32 v3, v195
	v_dual_mov_b32 v4, v196 :: v_dual_mov_b32 v5, v197
	ds_store_2addr_b64 v126, v[2:3], v[4:5] offset0:32 offset1:33
	v_dual_mov_b32 v2, v198 :: v_dual_mov_b32 v3, v199
	v_dual_mov_b32 v4, v200 :: v_dual_mov_b32 v5, v201
	;; [unrolled: 3-line block ×15, first 2 shown]
	ds_store_2addr_b64 v126, v[2:3], v[4:5] offset0:60 offset1:61
	v_dual_mov_b32 v2, v254 :: v_dual_mov_b32 v3, v255
	ds_store_2addr_b64 v126, v[2:3], v[0:1] offset0:62 offset1:63
	ds_load_b64 v[2:3], v19
	s_wait_dscnt 0x0
	v_cmp_neq_f32_e32 vcc_lo, 0, v2
	v_cmp_neq_f32_e64 s1, 0, v3
	s_or_b32 s1, vcc_lo, s1
	s_delay_alu instid0(SALU_CYCLE_1)
	s_and_b32 exec_lo, exec_lo, s1
	s_cbranch_execz .LBB127_269
; %bb.264:
	v_cmp_ngt_f32_e64 s1, |v2|, |v3|
                                        ; implicit-def: $vgpr4_vgpr5
	s_and_saveexec_b32 s4, s1
	s_delay_alu instid0(SALU_CYCLE_1)
	s_xor_b32 s1, exec_lo, s4
	s_cbranch_execz .LBB127_266
; %bb.265:
	v_div_scale_f32 v4, null, v3, v3, v2
	v_div_scale_f32 v7, vcc_lo, v2, v3, v2
	s_delay_alu instid0(VALU_DEP_2) | instskip(SKIP_1) | instid1(TRANS32_DEP_1)
	v_rcp_f32_e32 v5, v4
	v_nop
	v_fma_f32 v6, -v4, v5, 1.0
	s_delay_alu instid0(VALU_DEP_1) | instskip(NEXT) | instid1(VALU_DEP_1)
	v_fmac_f32_e32 v5, v6, v5
	v_mul_f32_e32 v6, v7, v5
	s_delay_alu instid0(VALU_DEP_1) | instskip(NEXT) | instid1(VALU_DEP_1)
	v_fma_f32 v8, -v4, v6, v7
	v_fmac_f32_e32 v6, v8, v5
	s_delay_alu instid0(VALU_DEP_1) | instskip(NEXT) | instid1(VALU_DEP_1)
	v_fma_f32 v4, -v4, v6, v7
	v_div_fmas_f32 v4, v4, v5, v6
	s_delay_alu instid0(VALU_DEP_1) | instskip(NEXT) | instid1(VALU_DEP_1)
	v_div_fixup_f32 v4, v4, v3, v2
	v_fmac_f32_e32 v3, v2, v4
	s_delay_alu instid0(VALU_DEP_1) | instskip(SKIP_1) | instid1(VALU_DEP_2)
	v_div_scale_f32 v2, null, v3, v3, 1.0
	v_div_scale_f32 v7, vcc_lo, 1.0, v3, 1.0
	v_rcp_f32_e32 v5, v2
	v_nop
	s_delay_alu instid0(TRANS32_DEP_1) | instskip(NEXT) | instid1(VALU_DEP_1)
	v_fma_f32 v6, -v2, v5, 1.0
	v_fmac_f32_e32 v5, v6, v5
	s_delay_alu instid0(VALU_DEP_1) | instskip(NEXT) | instid1(VALU_DEP_1)
	v_mul_f32_e32 v6, v7, v5
	v_fma_f32 v8, -v2, v6, v7
	s_delay_alu instid0(VALU_DEP_1) | instskip(NEXT) | instid1(VALU_DEP_1)
	v_fmac_f32_e32 v6, v8, v5
	v_fma_f32 v2, -v2, v6, v7
	s_delay_alu instid0(VALU_DEP_1) | instskip(NEXT) | instid1(VALU_DEP_1)
	v_div_fmas_f32 v2, v2, v5, v6
	v_div_fixup_f32 v2, v2, v3, 1.0
	s_delay_alu instid0(VALU_DEP_1)
	v_mul_f32_e32 v4, v4, v2
	v_xor_b32_e32 v5, 0x80000000, v2
                                        ; implicit-def: $vgpr2_vgpr3
.LBB127_266:
	s_and_not1_saveexec_b32 s1, s1
	s_cbranch_execz .LBB127_268
; %bb.267:
	v_div_scale_f32 v4, null, v2, v2, v3
	v_div_scale_f32 v7, vcc_lo, v3, v2, v3
	s_delay_alu instid0(VALU_DEP_2) | instskip(SKIP_1) | instid1(TRANS32_DEP_1)
	v_rcp_f32_e32 v5, v4
	v_nop
	v_fma_f32 v6, -v4, v5, 1.0
	s_delay_alu instid0(VALU_DEP_1) | instskip(NEXT) | instid1(VALU_DEP_1)
	v_fmac_f32_e32 v5, v6, v5
	v_mul_f32_e32 v6, v7, v5
	s_delay_alu instid0(VALU_DEP_1) | instskip(NEXT) | instid1(VALU_DEP_1)
	v_fma_f32 v8, -v4, v6, v7
	v_fmac_f32_e32 v6, v8, v5
	s_delay_alu instid0(VALU_DEP_1) | instskip(NEXT) | instid1(VALU_DEP_1)
	v_fma_f32 v4, -v4, v6, v7
	v_div_fmas_f32 v4, v4, v5, v6
	s_delay_alu instid0(VALU_DEP_1) | instskip(NEXT) | instid1(VALU_DEP_1)
	v_div_fixup_f32 v5, v4, v2, v3
	v_fmac_f32_e32 v2, v3, v5
	s_delay_alu instid0(VALU_DEP_1) | instskip(NEXT) | instid1(VALU_DEP_1)
	v_div_scale_f32 v3, null, v2, v2, 1.0
	v_rcp_f32_e32 v4, v3
	v_nop
	s_delay_alu instid0(TRANS32_DEP_1) | instskip(NEXT) | instid1(VALU_DEP_1)
	v_fma_f32 v6, -v3, v4, 1.0
	v_fmac_f32_e32 v4, v6, v4
	v_div_scale_f32 v6, vcc_lo, 1.0, v2, 1.0
	s_delay_alu instid0(VALU_DEP_1) | instskip(NEXT) | instid1(VALU_DEP_1)
	v_mul_f32_e32 v7, v6, v4
	v_fma_f32 v8, -v3, v7, v6
	s_delay_alu instid0(VALU_DEP_1) | instskip(NEXT) | instid1(VALU_DEP_1)
	v_fmac_f32_e32 v7, v8, v4
	v_fma_f32 v3, -v3, v7, v6
	s_delay_alu instid0(VALU_DEP_1) | instskip(NEXT) | instid1(VALU_DEP_1)
	v_div_fmas_f32 v3, v3, v4, v7
	v_div_fixup_f32 v4, v3, v2, 1.0
	s_delay_alu instid0(VALU_DEP_1)
	v_mul_f32_e64 v5, v5, -v4
.LBB127_268:
	s_or_b32 exec_lo, exec_lo, s1
	ds_store_b64 v19, v[4:5]
.LBB127_269:
	s_or_b32 exec_lo, exec_lo, s2
	s_wait_dscnt 0x0
	s_barrier_signal -1
	s_barrier_wait -1
	ds_load_b64 v[62:63], v19
	s_mov_b32 s1, exec_lo
	v_cmpx_lt_u32_e32 29, v18
	s_cbranch_execz .LBB127_271
; %bb.270:
	s_wait_dscnt 0x0
	v_pk_mul_f32 v[2:3], v[62:63], v[188:189] op_sel:[1,1] op_sel_hi:[0,1]
	s_delay_alu instid0(VALU_DEP_1)
	v_pk_fma_f32 v[64:65], v[62:63], v[188:189], v[2:3] op_sel_hi:[1,0,1] neg_lo:[0,0,1] neg_hi:[0,0,1]
	v_pk_fma_f32 v[66:67], v[62:63], v[188:189], v[2:3] op_sel_hi:[1,0,1]
	ds_load_2addr_b64 v[2:5], v126 offset0:30 offset1:31
	v_dual_mov_b32 v188, v64 :: v_dual_mov_b32 v189, v67
	s_wait_dscnt 0x0
	v_pk_mul_f32 v[6:7], v[2:3], v[66:67] op_sel:[0,1]
	s_delay_alu instid0(VALU_DEP_1) | instskip(SKIP_1) | instid1(VALU_DEP_1)
	v_pk_fma_f32 v[68:69], v[2:3], v[64:65], v[6:7] op_sel:[0,0,1] op_sel_hi:[1,1,0] neg_lo:[0,0,1] neg_hi:[0,0,1]
	v_pk_fma_f32 v[2:3], v[2:3], v[64:65], v[6:7] op_sel:[0,0,1] op_sel_hi:[1,0,0]
	v_mov_b32_e32 v69, v3
	v_pk_mul_f32 v[2:3], v[4:5], v[66:67] op_sel:[0,1]
	s_delay_alu instid0(VALU_DEP_1) | instskip(SKIP_1) | instid1(VALU_DEP_1)
	v_pk_fma_f32 v[6:7], v[4:5], v[64:65], v[2:3] op_sel:[0,0,1] op_sel_hi:[1,1,0] neg_lo:[0,0,1] neg_hi:[0,0,1]
	v_pk_fma_f32 v[2:3], v[4:5], v[64:65], v[2:3] op_sel:[0,0,1] op_sel_hi:[1,0,0]
	v_mov_b32_e32 v7, v3
	ds_load_2addr_b64 v[2:5], v126 offset0:32 offset1:33
	v_pk_add_f32 v[190:191], v[190:191], v[68:69] neg_lo:[0,1] neg_hi:[0,1]
	v_pk_add_f32 v[192:193], v[192:193], v[6:7] neg_lo:[0,1] neg_hi:[0,1]
	s_wait_dscnt 0x0
	v_pk_mul_f32 v[6:7], v[2:3], v[66:67] op_sel:[0,1]
	s_delay_alu instid0(VALU_DEP_1) | instskip(SKIP_2) | instid1(VALU_DEP_2)
	v_pk_fma_f32 v[68:69], v[2:3], v[64:65], v[6:7] op_sel:[0,0,1] op_sel_hi:[1,1,0] neg_lo:[0,0,1] neg_hi:[0,0,1]
	v_pk_fma_f32 v[2:3], v[2:3], v[64:65], v[6:7] op_sel:[0,0,1] op_sel_hi:[1,0,0]
	v_dual_mul_f32 v6, v5, v67 :: v_dual_mov_b32 v2, v5
	v_dual_mov_b32 v69, v3 :: v_dual_mov_b32 v3, v4
	s_delay_alu instid0(VALU_DEP_2) | instskip(SKIP_1) | instid1(VALU_DEP_3)
	v_pk_fma_f32 v[6:7], v[4:5], v[188:189], v[6:7] op_sel_hi:[1,1,0] neg_lo:[0,0,1] neg_hi:[0,0,1]
	v_mul_f32_e32 v4, v5, v64
	v_pk_add_f32 v[194:195], v[194:195], v[68:69] neg_lo:[0,1] neg_hi:[0,1]
	s_delay_alu instid0(VALU_DEP_2) | instskip(NEXT) | instid1(VALU_DEP_1)
	v_pk_fma_f32 v[2:3], v[2:3], v[188:189], v[4:5] op_sel_hi:[1,1,0]
	v_mov_b32_e32 v7, v3
	ds_load_2addr_b64 v[2:5], v126 offset0:34 offset1:35
	v_pk_add_f32 v[196:197], v[196:197], v[6:7] neg_lo:[0,1] neg_hi:[0,1]
	s_wait_dscnt 0x0
	v_pk_mul_f32 v[6:7], v[2:3], v[66:67] op_sel:[0,1]
	s_delay_alu instid0(VALU_DEP_1) | instskip(SKIP_1) | instid1(VALU_DEP_1)
	v_pk_fma_f32 v[68:69], v[2:3], v[64:65], v[6:7] op_sel:[0,0,1] op_sel_hi:[1,1,0] neg_lo:[0,0,1] neg_hi:[0,0,1]
	v_pk_fma_f32 v[2:3], v[2:3], v[64:65], v[6:7] op_sel:[0,0,1] op_sel_hi:[1,0,0]
	v_mov_b32_e32 v69, v3
	v_pk_mul_f32 v[2:3], v[4:5], v[66:67] op_sel:[0,1]
	s_delay_alu instid0(VALU_DEP_1) | instskip(SKIP_1) | instid1(VALU_DEP_1)
	v_pk_fma_f32 v[6:7], v[4:5], v[64:65], v[2:3] op_sel:[0,0,1] op_sel_hi:[1,1,0] neg_lo:[0,0,1] neg_hi:[0,0,1]
	v_pk_fma_f32 v[2:3], v[4:5], v[64:65], v[2:3] op_sel:[0,0,1] op_sel_hi:[1,0,0]
	v_mov_b32_e32 v7, v3
	ds_load_2addr_b64 v[2:5], v126 offset0:36 offset1:37
	v_pk_add_f32 v[198:199], v[198:199], v[68:69] neg_lo:[0,1] neg_hi:[0,1]
	v_pk_add_f32 v[200:201], v[200:201], v[6:7] neg_lo:[0,1] neg_hi:[0,1]
	s_wait_dscnt 0x0
	v_pk_mul_f32 v[6:7], v[2:3], v[66:67] op_sel:[0,1]
	s_delay_alu instid0(VALU_DEP_1) | instskip(SKIP_1) | instid1(VALU_DEP_1)
	v_pk_fma_f32 v[68:69], v[2:3], v[64:65], v[6:7] op_sel:[0,0,1] op_sel_hi:[1,1,0] neg_lo:[0,0,1] neg_hi:[0,0,1]
	v_pk_fma_f32 v[2:3], v[2:3], v[64:65], v[6:7] op_sel:[0,0,1] op_sel_hi:[1,0,0]
	v_mov_b32_e32 v69, v3
	v_pk_mul_f32 v[2:3], v[4:5], v[66:67] op_sel:[0,1]
	s_delay_alu instid0(VALU_DEP_1) | instskip(SKIP_1) | instid1(VALU_DEP_1)
	v_pk_fma_f32 v[6:7], v[4:5], v[64:65], v[2:3] op_sel:[0,0,1] op_sel_hi:[1,1,0] neg_lo:[0,0,1] neg_hi:[0,0,1]
	v_pk_fma_f32 v[2:3], v[4:5], v[64:65], v[2:3] op_sel:[0,0,1] op_sel_hi:[1,0,0]
	v_mov_b32_e32 v7, v3
	ds_load_2addr_b64 v[2:5], v126 offset0:38 offset1:39
	v_pk_add_f32 v[202:203], v[202:203], v[68:69] neg_lo:[0,1] neg_hi:[0,1]
	v_pk_add_f32 v[204:205], v[204:205], v[6:7] neg_lo:[0,1] neg_hi:[0,1]
	s_wait_dscnt 0x0
	v_dual_mul_f32 v6, v3, v67 :: v_dual_mul_f32 v68, v3, v64
	s_delay_alu instid0(VALU_DEP_1) | instskip(NEXT) | instid1(VALU_DEP_2)
	v_pk_fma_f32 v[6:7], v[2:3], v[188:189], v[6:7] op_sel_hi:[1,1,0] neg_lo:[0,0,1] neg_hi:[0,0,1]
	v_pk_fma_f32 v[2:3], v[2:3], v[188:189], v[68:69] op_sel:[1,0,0] op_sel_hi:[0,1,0]
	s_delay_alu instid0(VALU_DEP_1) | instskip(SKIP_1) | instid1(VALU_DEP_2)
	v_mov_b32_e32 v7, v3
	v_pk_mul_f32 v[2:3], v[4:5], v[66:67] op_sel:[0,1]
	v_pk_add_f32 v[206:207], v[206:207], v[6:7] neg_lo:[0,1] neg_hi:[0,1]
	s_delay_alu instid0(VALU_DEP_2) | instskip(SKIP_1) | instid1(VALU_DEP_1)
	v_pk_fma_f32 v[6:7], v[4:5], v[64:65], v[2:3] op_sel:[0,0,1] op_sel_hi:[1,1,0] neg_lo:[0,0,1] neg_hi:[0,0,1]
	v_pk_fma_f32 v[2:3], v[4:5], v[64:65], v[2:3] op_sel:[0,0,1] op_sel_hi:[1,0,0]
	v_mov_b32_e32 v7, v3
	ds_load_2addr_b64 v[2:5], v126 offset0:40 offset1:41
	v_pk_add_f32 v[208:209], v[208:209], v[6:7] neg_lo:[0,1] neg_hi:[0,1]
	s_wait_dscnt 0x0
	v_pk_mul_f32 v[6:7], v[2:3], v[66:67] op_sel:[0,1]
	s_delay_alu instid0(VALU_DEP_1) | instskip(SKIP_1) | instid1(VALU_DEP_1)
	v_pk_fma_f32 v[68:69], v[2:3], v[64:65], v[6:7] op_sel:[0,0,1] op_sel_hi:[1,1,0] neg_lo:[0,0,1] neg_hi:[0,0,1]
	v_pk_fma_f32 v[2:3], v[2:3], v[64:65], v[6:7] op_sel:[0,0,1] op_sel_hi:[1,0,0]
	v_mov_b32_e32 v69, v3
	v_pk_mul_f32 v[2:3], v[4:5], v[66:67] op_sel:[0,1]
	s_delay_alu instid0(VALU_DEP_2) | instskip(NEXT) | instid1(VALU_DEP_2)
	v_pk_add_f32 v[210:211], v[210:211], v[68:69] neg_lo:[0,1] neg_hi:[0,1]
	v_pk_fma_f32 v[6:7], v[4:5], v[64:65], v[2:3] op_sel:[0,0,1] op_sel_hi:[1,1,0] neg_lo:[0,0,1] neg_hi:[0,0,1]
	v_pk_fma_f32 v[2:3], v[4:5], v[64:65], v[2:3] op_sel:[0,0,1] op_sel_hi:[1,0,0]
	s_delay_alu instid0(VALU_DEP_1) | instskip(SKIP_4) | instid1(VALU_DEP_1)
	v_mov_b32_e32 v7, v3
	ds_load_2addr_b64 v[2:5], v126 offset0:42 offset1:43
	v_pk_add_f32 v[212:213], v[212:213], v[6:7] neg_lo:[0,1] neg_hi:[0,1]
	s_wait_dscnt 0x0
	v_pk_mul_f32 v[6:7], v[2:3], v[66:67] op_sel:[0,1]
	v_pk_fma_f32 v[68:69], v[2:3], v[64:65], v[6:7] op_sel:[0,0,1] op_sel_hi:[1,1,0] neg_lo:[0,0,1] neg_hi:[0,0,1]
	v_pk_fma_f32 v[2:3], v[2:3], v[64:65], v[6:7] op_sel:[0,0,1] op_sel_hi:[1,0,0]
	v_dual_mul_f32 v6, v5, v67 :: v_dual_mov_b32 v2, v5
	s_delay_alu instid0(VALU_DEP_2) | instskip(NEXT) | instid1(VALU_DEP_2)
	v_dual_mov_b32 v69, v3 :: v_dual_mov_b32 v3, v4
	v_pk_fma_f32 v[6:7], v[4:5], v[188:189], v[6:7] op_sel_hi:[1,1,0] neg_lo:[0,0,1] neg_hi:[0,0,1]
	v_mul_f32_e32 v4, v5, v64
	s_delay_alu instid0(VALU_DEP_3) | instskip(NEXT) | instid1(VALU_DEP_2)
	v_pk_add_f32 v[214:215], v[214:215], v[68:69] neg_lo:[0,1] neg_hi:[0,1]
	v_pk_fma_f32 v[2:3], v[2:3], v[188:189], v[4:5] op_sel_hi:[1,1,0]
	s_delay_alu instid0(VALU_DEP_1) | instskip(SKIP_4) | instid1(VALU_DEP_1)
	v_mov_b32_e32 v7, v3
	ds_load_2addr_b64 v[2:5], v126 offset0:44 offset1:45
	v_pk_add_f32 v[216:217], v[216:217], v[6:7] neg_lo:[0,1] neg_hi:[0,1]
	s_wait_dscnt 0x0
	v_pk_mul_f32 v[6:7], v[2:3], v[66:67] op_sel:[0,1]
	v_pk_fma_f32 v[68:69], v[2:3], v[64:65], v[6:7] op_sel:[0,0,1] op_sel_hi:[1,1,0] neg_lo:[0,0,1] neg_hi:[0,0,1]
	v_pk_fma_f32 v[2:3], v[2:3], v[64:65], v[6:7] op_sel:[0,0,1] op_sel_hi:[1,0,0]
	s_delay_alu instid0(VALU_DEP_1) | instskip(SKIP_1) | instid1(VALU_DEP_1)
	v_mov_b32_e32 v69, v3
	v_pk_mul_f32 v[2:3], v[4:5], v[66:67] op_sel:[0,1]
	v_pk_fma_f32 v[6:7], v[4:5], v[64:65], v[2:3] op_sel:[0,0,1] op_sel_hi:[1,1,0] neg_lo:[0,0,1] neg_hi:[0,0,1]
	v_pk_fma_f32 v[2:3], v[4:5], v[64:65], v[2:3] op_sel:[0,0,1] op_sel_hi:[1,0,0]
	s_delay_alu instid0(VALU_DEP_1)
	v_mov_b32_e32 v7, v3
	ds_load_2addr_b64 v[2:5], v126 offset0:46 offset1:47
	v_pk_add_f32 v[218:219], v[218:219], v[68:69] neg_lo:[0,1] neg_hi:[0,1]
	v_pk_add_f32 v[220:221], v[220:221], v[6:7] neg_lo:[0,1] neg_hi:[0,1]
	s_wait_dscnt 0x0
	v_pk_mul_f32 v[6:7], v[2:3], v[66:67] op_sel:[0,1]
	s_delay_alu instid0(VALU_DEP_1) | instskip(SKIP_1) | instid1(VALU_DEP_1)
	v_pk_fma_f32 v[68:69], v[2:3], v[64:65], v[6:7] op_sel:[0,0,1] op_sel_hi:[1,1,0] neg_lo:[0,0,1] neg_hi:[0,0,1]
	v_pk_fma_f32 v[2:3], v[2:3], v[64:65], v[6:7] op_sel:[0,0,1] op_sel_hi:[1,0,0]
	v_mov_b32_e32 v69, v3
	v_pk_mul_f32 v[2:3], v[4:5], v[66:67] op_sel:[0,1]
	s_delay_alu instid0(VALU_DEP_1) | instskip(SKIP_1) | instid1(VALU_DEP_1)
	v_pk_fma_f32 v[6:7], v[4:5], v[64:65], v[2:3] op_sel:[0,0,1] op_sel_hi:[1,1,0] neg_lo:[0,0,1] neg_hi:[0,0,1]
	v_pk_fma_f32 v[2:3], v[4:5], v[64:65], v[2:3] op_sel:[0,0,1] op_sel_hi:[1,0,0]
	v_mov_b32_e32 v7, v3
	ds_load_2addr_b64 v[2:5], v126 offset0:48 offset1:49
	v_pk_add_f32 v[222:223], v[222:223], v[68:69] neg_lo:[0,1] neg_hi:[0,1]
	v_pk_add_f32 v[224:225], v[224:225], v[6:7] neg_lo:[0,1] neg_hi:[0,1]
	s_wait_dscnt 0x0
	v_dual_mul_f32 v6, v3, v67 :: v_dual_mul_f32 v68, v3, v64
	s_delay_alu instid0(VALU_DEP_1) | instskip(NEXT) | instid1(VALU_DEP_2)
	v_pk_fma_f32 v[6:7], v[2:3], v[188:189], v[6:7] op_sel_hi:[1,1,0] neg_lo:[0,0,1] neg_hi:[0,0,1]
	v_pk_fma_f32 v[2:3], v[2:3], v[188:189], v[68:69] op_sel:[1,0,0] op_sel_hi:[0,1,0]
	s_delay_alu instid0(VALU_DEP_1) | instskip(SKIP_1) | instid1(VALU_DEP_2)
	v_mov_b32_e32 v7, v3
	v_pk_mul_f32 v[2:3], v[4:5], v[66:67] op_sel:[0,1]
	v_pk_add_f32 v[226:227], v[226:227], v[6:7] neg_lo:[0,1] neg_hi:[0,1]
	s_delay_alu instid0(VALU_DEP_2) | instskip(SKIP_1) | instid1(VALU_DEP_1)
	v_pk_fma_f32 v[6:7], v[4:5], v[64:65], v[2:3] op_sel:[0,0,1] op_sel_hi:[1,1,0] neg_lo:[0,0,1] neg_hi:[0,0,1]
	v_pk_fma_f32 v[2:3], v[4:5], v[64:65], v[2:3] op_sel:[0,0,1] op_sel_hi:[1,0,0]
	v_mov_b32_e32 v7, v3
	ds_load_2addr_b64 v[2:5], v126 offset0:50 offset1:51
	v_pk_add_f32 v[228:229], v[228:229], v[6:7] neg_lo:[0,1] neg_hi:[0,1]
	s_wait_dscnt 0x0
	v_pk_mul_f32 v[6:7], v[2:3], v[66:67] op_sel:[0,1]
	s_delay_alu instid0(VALU_DEP_1) | instskip(SKIP_1) | instid1(VALU_DEP_1)
	v_pk_fma_f32 v[68:69], v[2:3], v[64:65], v[6:7] op_sel:[0,0,1] op_sel_hi:[1,1,0] neg_lo:[0,0,1] neg_hi:[0,0,1]
	v_pk_fma_f32 v[2:3], v[2:3], v[64:65], v[6:7] op_sel:[0,0,1] op_sel_hi:[1,0,0]
	v_mov_b32_e32 v69, v3
	v_pk_mul_f32 v[2:3], v[4:5], v[66:67] op_sel:[0,1]
	s_delay_alu instid0(VALU_DEP_2) | instskip(NEXT) | instid1(VALU_DEP_2)
	v_pk_add_f32 v[230:231], v[230:231], v[68:69] neg_lo:[0,1] neg_hi:[0,1]
	v_pk_fma_f32 v[6:7], v[4:5], v[64:65], v[2:3] op_sel:[0,0,1] op_sel_hi:[1,1,0] neg_lo:[0,0,1] neg_hi:[0,0,1]
	v_pk_fma_f32 v[2:3], v[4:5], v[64:65], v[2:3] op_sel:[0,0,1] op_sel_hi:[1,0,0]
	s_delay_alu instid0(VALU_DEP_1) | instskip(SKIP_4) | instid1(VALU_DEP_1)
	v_mov_b32_e32 v7, v3
	ds_load_2addr_b64 v[2:5], v126 offset0:52 offset1:53
	v_pk_add_f32 v[232:233], v[232:233], v[6:7] neg_lo:[0,1] neg_hi:[0,1]
	s_wait_dscnt 0x0
	v_pk_mul_f32 v[6:7], v[2:3], v[66:67] op_sel:[0,1]
	v_pk_fma_f32 v[68:69], v[2:3], v[64:65], v[6:7] op_sel:[0,0,1] op_sel_hi:[1,1,0] neg_lo:[0,0,1] neg_hi:[0,0,1]
	v_pk_fma_f32 v[2:3], v[2:3], v[64:65], v[6:7] op_sel:[0,0,1] op_sel_hi:[1,0,0]
	v_dual_mul_f32 v6, v5, v67 :: v_dual_mov_b32 v2, v5
	s_delay_alu instid0(VALU_DEP_2) | instskip(NEXT) | instid1(VALU_DEP_2)
	v_dual_mov_b32 v69, v3 :: v_dual_mov_b32 v3, v4
	v_pk_fma_f32 v[6:7], v[4:5], v[188:189], v[6:7] op_sel_hi:[1,1,0] neg_lo:[0,0,1] neg_hi:[0,0,1]
	v_mul_f32_e32 v4, v5, v64
	s_delay_alu instid0(VALU_DEP_3) | instskip(NEXT) | instid1(VALU_DEP_2)
	v_pk_add_f32 v[234:235], v[234:235], v[68:69] neg_lo:[0,1] neg_hi:[0,1]
	v_pk_fma_f32 v[2:3], v[2:3], v[188:189], v[4:5] op_sel_hi:[1,1,0]
	s_delay_alu instid0(VALU_DEP_1) | instskip(SKIP_4) | instid1(VALU_DEP_1)
	v_mov_b32_e32 v7, v3
	ds_load_2addr_b64 v[2:5], v126 offset0:54 offset1:55
	v_pk_add_f32 v[236:237], v[236:237], v[6:7] neg_lo:[0,1] neg_hi:[0,1]
	s_wait_dscnt 0x0
	v_pk_mul_f32 v[6:7], v[2:3], v[66:67] op_sel:[0,1]
	v_pk_fma_f32 v[68:69], v[2:3], v[64:65], v[6:7] op_sel:[0,0,1] op_sel_hi:[1,1,0] neg_lo:[0,0,1] neg_hi:[0,0,1]
	v_pk_fma_f32 v[2:3], v[2:3], v[64:65], v[6:7] op_sel:[0,0,1] op_sel_hi:[1,0,0]
	s_delay_alu instid0(VALU_DEP_1) | instskip(SKIP_1) | instid1(VALU_DEP_1)
	v_mov_b32_e32 v69, v3
	v_pk_mul_f32 v[2:3], v[4:5], v[66:67] op_sel:[0,1]
	v_pk_fma_f32 v[6:7], v[4:5], v[64:65], v[2:3] op_sel:[0,0,1] op_sel_hi:[1,1,0] neg_lo:[0,0,1] neg_hi:[0,0,1]
	v_pk_fma_f32 v[2:3], v[4:5], v[64:65], v[2:3] op_sel:[0,0,1] op_sel_hi:[1,0,0]
	s_delay_alu instid0(VALU_DEP_1)
	v_mov_b32_e32 v7, v3
	ds_load_2addr_b64 v[2:5], v126 offset0:56 offset1:57
	v_pk_add_f32 v[238:239], v[238:239], v[68:69] neg_lo:[0,1] neg_hi:[0,1]
	v_pk_add_f32 v[240:241], v[240:241], v[6:7] neg_lo:[0,1] neg_hi:[0,1]
	s_wait_dscnt 0x0
	v_pk_mul_f32 v[6:7], v[2:3], v[66:67] op_sel:[0,1]
	s_delay_alu instid0(VALU_DEP_1) | instskip(SKIP_1) | instid1(VALU_DEP_1)
	v_pk_fma_f32 v[68:69], v[2:3], v[64:65], v[6:7] op_sel:[0,0,1] op_sel_hi:[1,1,0] neg_lo:[0,0,1] neg_hi:[0,0,1]
	v_pk_fma_f32 v[2:3], v[2:3], v[64:65], v[6:7] op_sel:[0,0,1] op_sel_hi:[1,0,0]
	v_mov_b32_e32 v69, v3
	v_pk_mul_f32 v[2:3], v[4:5], v[66:67] op_sel:[0,1]
	s_delay_alu instid0(VALU_DEP_1) | instskip(SKIP_1) | instid1(VALU_DEP_1)
	v_pk_fma_f32 v[6:7], v[4:5], v[64:65], v[2:3] op_sel:[0,0,1] op_sel_hi:[1,1,0] neg_lo:[0,0,1] neg_hi:[0,0,1]
	v_pk_fma_f32 v[2:3], v[4:5], v[64:65], v[2:3] op_sel:[0,0,1] op_sel_hi:[1,0,0]
	v_mov_b32_e32 v7, v3
	ds_load_2addr_b64 v[2:5], v126 offset0:58 offset1:59
	v_pk_add_f32 v[252:253], v[252:253], v[68:69] neg_lo:[0,1] neg_hi:[0,1]
	v_pk_add_f32 v[246:247], v[246:247], v[6:7] neg_lo:[0,1] neg_hi:[0,1]
	s_wait_dscnt 0x0
	v_dual_mul_f32 v6, v3, v67 :: v_dual_mul_f32 v68, v3, v64
	s_delay_alu instid0(VALU_DEP_1) | instskip(NEXT) | instid1(VALU_DEP_2)
	v_pk_fma_f32 v[6:7], v[2:3], v[188:189], v[6:7] op_sel_hi:[1,1,0] neg_lo:[0,0,1] neg_hi:[0,0,1]
	v_pk_fma_f32 v[2:3], v[2:3], v[188:189], v[68:69] op_sel:[1,0,0] op_sel_hi:[0,1,0]
	s_delay_alu instid0(VALU_DEP_1) | instskip(SKIP_1) | instid1(VALU_DEP_2)
	v_mov_b32_e32 v7, v3
	v_pk_mul_f32 v[2:3], v[4:5], v[66:67] op_sel:[0,1]
	v_pk_add_f32 v[250:251], v[250:251], v[6:7] neg_lo:[0,1] neg_hi:[0,1]
	s_delay_alu instid0(VALU_DEP_2) | instskip(SKIP_1) | instid1(VALU_DEP_1)
	v_pk_fma_f32 v[6:7], v[4:5], v[64:65], v[2:3] op_sel:[0,0,1] op_sel_hi:[1,1,0] neg_lo:[0,0,1] neg_hi:[0,0,1]
	v_pk_fma_f32 v[2:3], v[4:5], v[64:65], v[2:3] op_sel:[0,0,1] op_sel_hi:[1,0,0]
	v_mov_b32_e32 v7, v3
	ds_load_2addr_b64 v[2:5], v126 offset0:60 offset1:61
	v_pk_add_f32 v[244:245], v[244:245], v[6:7] neg_lo:[0,1] neg_hi:[0,1]
	s_wait_dscnt 0x0
	v_pk_mul_f32 v[6:7], v[2:3], v[66:67] op_sel:[0,1]
	s_delay_alu instid0(VALU_DEP_1) | instskip(SKIP_1) | instid1(VALU_DEP_1)
	v_pk_fma_f32 v[68:69], v[2:3], v[64:65], v[6:7] op_sel:[0,0,1] op_sel_hi:[1,1,0] neg_lo:[0,0,1] neg_hi:[0,0,1]
	v_pk_fma_f32 v[2:3], v[2:3], v[64:65], v[6:7] op_sel:[0,0,1] op_sel_hi:[1,0,0]
	v_mov_b32_e32 v69, v3
	v_pk_mul_f32 v[2:3], v[4:5], v[66:67] op_sel:[0,1]
	s_delay_alu instid0(VALU_DEP_2) | instskip(NEXT) | instid1(VALU_DEP_2)
	v_pk_add_f32 v[248:249], v[248:249], v[68:69] neg_lo:[0,1] neg_hi:[0,1]
	v_pk_fma_f32 v[6:7], v[4:5], v[64:65], v[2:3] op_sel:[0,0,1] op_sel_hi:[1,1,0] neg_lo:[0,0,1] neg_hi:[0,0,1]
	v_pk_fma_f32 v[2:3], v[4:5], v[64:65], v[2:3] op_sel:[0,0,1] op_sel_hi:[1,0,0]
	s_delay_alu instid0(VALU_DEP_1) | instskip(SKIP_4) | instid1(VALU_DEP_1)
	v_mov_b32_e32 v7, v3
	ds_load_2addr_b64 v[2:5], v126 offset0:62 offset1:63
	v_pk_add_f32 v[242:243], v[242:243], v[6:7] neg_lo:[0,1] neg_hi:[0,1]
	s_wait_dscnt 0x0
	v_pk_mul_f32 v[6:7], v[2:3], v[66:67] op_sel:[0,1]
	v_pk_fma_f32 v[68:69], v[2:3], v[64:65], v[6:7] op_sel:[0,0,1] op_sel_hi:[1,1,0] neg_lo:[0,0,1] neg_hi:[0,0,1]
	v_pk_fma_f32 v[2:3], v[2:3], v[64:65], v[6:7] op_sel:[0,0,1] op_sel_hi:[1,0,0]
	s_delay_alu instid0(VALU_DEP_1) | instskip(SKIP_1) | instid1(VALU_DEP_2)
	v_mov_b32_e32 v69, v3
	v_pk_mul_f32 v[2:3], v[4:5], v[66:67] op_sel:[0,1]
	v_pk_add_f32 v[254:255], v[254:255], v[68:69] neg_lo:[0,1] neg_hi:[0,1]
	s_delay_alu instid0(VALU_DEP_2) | instskip(SKIP_1) | instid1(VALU_DEP_1)
	v_pk_fma_f32 v[6:7], v[4:5], v[64:65], v[2:3] op_sel:[0,0,1] op_sel_hi:[1,1,0] neg_lo:[0,0,1] neg_hi:[0,0,1]
	v_pk_fma_f32 v[2:3], v[4:5], v[64:65], v[2:3] op_sel:[0,0,1] op_sel_hi:[1,0,0]
	v_mov_b32_e32 v7, v3
	s_delay_alu instid0(VALU_DEP_1)
	v_pk_add_f32 v[0:1], v[0:1], v[6:7] neg_lo:[0,1] neg_hi:[0,1]
.LBB127_271:
	s_or_b32 exec_lo, exec_lo, s1
	s_delay_alu instid0(SALU_CYCLE_1)
	s_mov_b32 s2, exec_lo
	s_wait_dscnt 0x0
	s_barrier_signal -1
	s_barrier_wait -1
	v_cmpx_eq_u32_e32 30, v18
	s_cbranch_execz .LBB127_278
; %bb.272:
	ds_store_b64 v19, v[190:191]
	ds_store_2addr_b64 v126, v[192:193], v[194:195] offset0:31 offset1:32
	ds_store_2addr_b64 v126, v[196:197], v[198:199] offset0:33 offset1:34
	;; [unrolled: 1-line block ×16, first 2 shown]
	ds_store_b64 v126, v[0:1] offset:504
	ds_load_b64 v[2:3], v19
	s_wait_dscnt 0x0
	v_cmp_neq_f32_e32 vcc_lo, 0, v2
	v_cmp_neq_f32_e64 s1, 0, v3
	s_or_b32 s1, vcc_lo, s1
	s_delay_alu instid0(SALU_CYCLE_1)
	s_and_b32 exec_lo, exec_lo, s1
	s_cbranch_execz .LBB127_278
; %bb.273:
	v_cmp_ngt_f32_e64 s1, |v2|, |v3|
                                        ; implicit-def: $vgpr4_vgpr5
	s_and_saveexec_b32 s4, s1
	s_delay_alu instid0(SALU_CYCLE_1)
	s_xor_b32 s1, exec_lo, s4
	s_cbranch_execz .LBB127_275
; %bb.274:
	v_div_scale_f32 v4, null, v3, v3, v2
	v_div_scale_f32 v7, vcc_lo, v2, v3, v2
	s_delay_alu instid0(VALU_DEP_2) | instskip(SKIP_1) | instid1(TRANS32_DEP_1)
	v_rcp_f32_e32 v5, v4
	v_nop
	v_fma_f32 v6, -v4, v5, 1.0
	s_delay_alu instid0(VALU_DEP_1) | instskip(NEXT) | instid1(VALU_DEP_1)
	v_fmac_f32_e32 v5, v6, v5
	v_mul_f32_e32 v6, v7, v5
	s_delay_alu instid0(VALU_DEP_1) | instskip(NEXT) | instid1(VALU_DEP_1)
	v_fma_f32 v8, -v4, v6, v7
	v_fmac_f32_e32 v6, v8, v5
	s_delay_alu instid0(VALU_DEP_1) | instskip(NEXT) | instid1(VALU_DEP_1)
	v_fma_f32 v4, -v4, v6, v7
	v_div_fmas_f32 v4, v4, v5, v6
	s_delay_alu instid0(VALU_DEP_1) | instskip(NEXT) | instid1(VALU_DEP_1)
	v_div_fixup_f32 v4, v4, v3, v2
	v_fmac_f32_e32 v3, v2, v4
	s_delay_alu instid0(VALU_DEP_1) | instskip(SKIP_1) | instid1(VALU_DEP_2)
	v_div_scale_f32 v2, null, v3, v3, 1.0
	v_div_scale_f32 v7, vcc_lo, 1.0, v3, 1.0
	v_rcp_f32_e32 v5, v2
	v_nop
	s_delay_alu instid0(TRANS32_DEP_1) | instskip(NEXT) | instid1(VALU_DEP_1)
	v_fma_f32 v6, -v2, v5, 1.0
	v_fmac_f32_e32 v5, v6, v5
	s_delay_alu instid0(VALU_DEP_1) | instskip(NEXT) | instid1(VALU_DEP_1)
	v_mul_f32_e32 v6, v7, v5
	v_fma_f32 v8, -v2, v6, v7
	s_delay_alu instid0(VALU_DEP_1) | instskip(NEXT) | instid1(VALU_DEP_1)
	v_fmac_f32_e32 v6, v8, v5
	v_fma_f32 v2, -v2, v6, v7
	s_delay_alu instid0(VALU_DEP_1) | instskip(NEXT) | instid1(VALU_DEP_1)
	v_div_fmas_f32 v2, v2, v5, v6
	v_div_fixup_f32 v2, v2, v3, 1.0
	s_delay_alu instid0(VALU_DEP_1)
	v_mul_f32_e32 v4, v4, v2
	v_xor_b32_e32 v5, 0x80000000, v2
                                        ; implicit-def: $vgpr2_vgpr3
.LBB127_275:
	s_and_not1_saveexec_b32 s1, s1
	s_cbranch_execz .LBB127_277
; %bb.276:
	v_div_scale_f32 v4, null, v2, v2, v3
	v_div_scale_f32 v7, vcc_lo, v3, v2, v3
	s_delay_alu instid0(VALU_DEP_2) | instskip(SKIP_1) | instid1(TRANS32_DEP_1)
	v_rcp_f32_e32 v5, v4
	v_nop
	v_fma_f32 v6, -v4, v5, 1.0
	s_delay_alu instid0(VALU_DEP_1) | instskip(NEXT) | instid1(VALU_DEP_1)
	v_fmac_f32_e32 v5, v6, v5
	v_mul_f32_e32 v6, v7, v5
	s_delay_alu instid0(VALU_DEP_1) | instskip(NEXT) | instid1(VALU_DEP_1)
	v_fma_f32 v8, -v4, v6, v7
	v_fmac_f32_e32 v6, v8, v5
	s_delay_alu instid0(VALU_DEP_1) | instskip(NEXT) | instid1(VALU_DEP_1)
	v_fma_f32 v4, -v4, v6, v7
	v_div_fmas_f32 v4, v4, v5, v6
	s_delay_alu instid0(VALU_DEP_1) | instskip(NEXT) | instid1(VALU_DEP_1)
	v_div_fixup_f32 v5, v4, v2, v3
	v_fmac_f32_e32 v2, v3, v5
	s_delay_alu instid0(VALU_DEP_1) | instskip(NEXT) | instid1(VALU_DEP_1)
	v_div_scale_f32 v3, null, v2, v2, 1.0
	v_rcp_f32_e32 v4, v3
	v_nop
	s_delay_alu instid0(TRANS32_DEP_1) | instskip(NEXT) | instid1(VALU_DEP_1)
	v_fma_f32 v6, -v3, v4, 1.0
	v_fmac_f32_e32 v4, v6, v4
	v_div_scale_f32 v6, vcc_lo, 1.0, v2, 1.0
	s_delay_alu instid0(VALU_DEP_1) | instskip(NEXT) | instid1(VALU_DEP_1)
	v_mul_f32_e32 v7, v6, v4
	v_fma_f32 v8, -v3, v7, v6
	s_delay_alu instid0(VALU_DEP_1) | instskip(NEXT) | instid1(VALU_DEP_1)
	v_fmac_f32_e32 v7, v8, v4
	v_fma_f32 v3, -v3, v7, v6
	s_delay_alu instid0(VALU_DEP_1) | instskip(NEXT) | instid1(VALU_DEP_1)
	v_div_fmas_f32 v3, v3, v4, v7
	v_div_fixup_f32 v4, v3, v2, 1.0
	s_delay_alu instid0(VALU_DEP_1)
	v_mul_f32_e64 v5, v5, -v4
.LBB127_277:
	s_or_b32 exec_lo, exec_lo, s1
	ds_store_b64 v19, v[4:5]
.LBB127_278:
	s_or_b32 exec_lo, exec_lo, s2
	s_wait_dscnt 0x0
	s_barrier_signal -1
	s_barrier_wait -1
	ds_load_b64 v[64:65], v19
	s_mov_b32 s1, exec_lo
	v_cmpx_lt_u32_e32 30, v18
	s_cbranch_execz .LBB127_280
; %bb.279:
	s_wait_dscnt 0x0
	v_pk_mul_f32 v[2:3], v[64:65], v[190:191] op_sel:[1,1] op_sel_hi:[0,1]
	s_delay_alu instid0(VALU_DEP_1)
	v_pk_fma_f32 v[66:67], v[64:65], v[190:191], v[2:3] op_sel_hi:[1,0,1] neg_lo:[0,0,1] neg_hi:[0,0,1]
	v_pk_fma_f32 v[68:69], v[64:65], v[190:191], v[2:3] op_sel_hi:[1,0,1]
	ds_load_2addr_b64 v[2:5], v126 offset0:31 offset1:32
	v_dual_mov_b32 v190, v66 :: v_dual_mov_b32 v191, v69
	s_wait_dscnt 0x0
	v_pk_mul_f32 v[6:7], v[2:3], v[68:69] op_sel:[0,1]
	s_delay_alu instid0(VALU_DEP_1) | instskip(SKIP_1) | instid1(VALU_DEP_1)
	v_pk_fma_f32 v[70:71], v[2:3], v[66:67], v[6:7] op_sel:[0,0,1] op_sel_hi:[1,1,0] neg_lo:[0,0,1] neg_hi:[0,0,1]
	v_pk_fma_f32 v[2:3], v[2:3], v[66:67], v[6:7] op_sel:[0,0,1] op_sel_hi:[1,0,0]
	v_mov_b32_e32 v71, v3
	v_pk_mul_f32 v[2:3], v[4:5], v[68:69] op_sel:[0,1]
	s_delay_alu instid0(VALU_DEP_1) | instskip(SKIP_1) | instid1(VALU_DEP_1)
	v_pk_fma_f32 v[6:7], v[4:5], v[66:67], v[2:3] op_sel:[0,0,1] op_sel_hi:[1,1,0] neg_lo:[0,0,1] neg_hi:[0,0,1]
	v_pk_fma_f32 v[2:3], v[4:5], v[66:67], v[2:3] op_sel:[0,0,1] op_sel_hi:[1,0,0]
	v_mov_b32_e32 v7, v3
	ds_load_2addr_b64 v[2:5], v126 offset0:33 offset1:34
	v_pk_add_f32 v[192:193], v[192:193], v[70:71] neg_lo:[0,1] neg_hi:[0,1]
	v_pk_add_f32 v[194:195], v[194:195], v[6:7] neg_lo:[0,1] neg_hi:[0,1]
	s_wait_dscnt 0x0
	v_pk_mul_f32 v[6:7], v[2:3], v[68:69] op_sel:[0,1]
	s_delay_alu instid0(VALU_DEP_1) | instskip(SKIP_2) | instid1(VALU_DEP_2)
	v_pk_fma_f32 v[70:71], v[2:3], v[66:67], v[6:7] op_sel:[0,0,1] op_sel_hi:[1,1,0] neg_lo:[0,0,1] neg_hi:[0,0,1]
	v_pk_fma_f32 v[2:3], v[2:3], v[66:67], v[6:7] op_sel:[0,0,1] op_sel_hi:[1,0,0]
	v_dual_mul_f32 v6, v5, v69 :: v_dual_mov_b32 v2, v5
	v_dual_mov_b32 v71, v3 :: v_dual_mov_b32 v3, v4
	s_delay_alu instid0(VALU_DEP_2) | instskip(SKIP_1) | instid1(VALU_DEP_3)
	v_pk_fma_f32 v[6:7], v[4:5], v[190:191], v[6:7] op_sel_hi:[1,1,0] neg_lo:[0,0,1] neg_hi:[0,0,1]
	v_mul_f32_e32 v4, v5, v66
	v_pk_add_f32 v[196:197], v[196:197], v[70:71] neg_lo:[0,1] neg_hi:[0,1]
	s_delay_alu instid0(VALU_DEP_2) | instskip(NEXT) | instid1(VALU_DEP_1)
	v_pk_fma_f32 v[2:3], v[2:3], v[190:191], v[4:5] op_sel_hi:[1,1,0]
	v_mov_b32_e32 v7, v3
	ds_load_2addr_b64 v[2:5], v126 offset0:35 offset1:36
	v_pk_add_f32 v[198:199], v[198:199], v[6:7] neg_lo:[0,1] neg_hi:[0,1]
	s_wait_dscnt 0x0
	v_pk_mul_f32 v[6:7], v[2:3], v[68:69] op_sel:[0,1]
	s_delay_alu instid0(VALU_DEP_1) | instskip(SKIP_1) | instid1(VALU_DEP_1)
	v_pk_fma_f32 v[70:71], v[2:3], v[66:67], v[6:7] op_sel:[0,0,1] op_sel_hi:[1,1,0] neg_lo:[0,0,1] neg_hi:[0,0,1]
	v_pk_fma_f32 v[2:3], v[2:3], v[66:67], v[6:7] op_sel:[0,0,1] op_sel_hi:[1,0,0]
	v_mov_b32_e32 v71, v3
	v_pk_mul_f32 v[2:3], v[4:5], v[68:69] op_sel:[0,1]
	s_delay_alu instid0(VALU_DEP_1) | instskip(SKIP_1) | instid1(VALU_DEP_1)
	v_pk_fma_f32 v[6:7], v[4:5], v[66:67], v[2:3] op_sel:[0,0,1] op_sel_hi:[1,1,0] neg_lo:[0,0,1] neg_hi:[0,0,1]
	v_pk_fma_f32 v[2:3], v[4:5], v[66:67], v[2:3] op_sel:[0,0,1] op_sel_hi:[1,0,0]
	v_mov_b32_e32 v7, v3
	ds_load_2addr_b64 v[2:5], v126 offset0:37 offset1:38
	v_pk_add_f32 v[200:201], v[200:201], v[70:71] neg_lo:[0,1] neg_hi:[0,1]
	v_pk_add_f32 v[202:203], v[202:203], v[6:7] neg_lo:[0,1] neg_hi:[0,1]
	s_wait_dscnt 0x0
	v_pk_mul_f32 v[6:7], v[2:3], v[68:69] op_sel:[0,1]
	s_delay_alu instid0(VALU_DEP_1) | instskip(SKIP_1) | instid1(VALU_DEP_1)
	v_pk_fma_f32 v[70:71], v[2:3], v[66:67], v[6:7] op_sel:[0,0,1] op_sel_hi:[1,1,0] neg_lo:[0,0,1] neg_hi:[0,0,1]
	v_pk_fma_f32 v[2:3], v[2:3], v[66:67], v[6:7] op_sel:[0,0,1] op_sel_hi:[1,0,0]
	v_mov_b32_e32 v71, v3
	v_pk_mul_f32 v[2:3], v[4:5], v[68:69] op_sel:[0,1]
	s_delay_alu instid0(VALU_DEP_1) | instskip(SKIP_1) | instid1(VALU_DEP_1)
	v_pk_fma_f32 v[6:7], v[4:5], v[66:67], v[2:3] op_sel:[0,0,1] op_sel_hi:[1,1,0] neg_lo:[0,0,1] neg_hi:[0,0,1]
	v_pk_fma_f32 v[2:3], v[4:5], v[66:67], v[2:3] op_sel:[0,0,1] op_sel_hi:[1,0,0]
	v_mov_b32_e32 v7, v3
	ds_load_2addr_b64 v[2:5], v126 offset0:39 offset1:40
	v_pk_add_f32 v[204:205], v[204:205], v[70:71] neg_lo:[0,1] neg_hi:[0,1]
	v_pk_add_f32 v[206:207], v[206:207], v[6:7] neg_lo:[0,1] neg_hi:[0,1]
	s_wait_dscnt 0x0
	v_dual_mul_f32 v6, v3, v69 :: v_dual_mul_f32 v70, v3, v66
	s_delay_alu instid0(VALU_DEP_1) | instskip(NEXT) | instid1(VALU_DEP_2)
	v_pk_fma_f32 v[6:7], v[2:3], v[190:191], v[6:7] op_sel_hi:[1,1,0] neg_lo:[0,0,1] neg_hi:[0,0,1]
	v_pk_fma_f32 v[2:3], v[2:3], v[190:191], v[70:71] op_sel:[1,0,0] op_sel_hi:[0,1,0]
	s_delay_alu instid0(VALU_DEP_1) | instskip(SKIP_1) | instid1(VALU_DEP_2)
	v_mov_b32_e32 v7, v3
	v_pk_mul_f32 v[2:3], v[4:5], v[68:69] op_sel:[0,1]
	v_pk_add_f32 v[208:209], v[208:209], v[6:7] neg_lo:[0,1] neg_hi:[0,1]
	s_delay_alu instid0(VALU_DEP_2) | instskip(SKIP_1) | instid1(VALU_DEP_1)
	v_pk_fma_f32 v[6:7], v[4:5], v[66:67], v[2:3] op_sel:[0,0,1] op_sel_hi:[1,1,0] neg_lo:[0,0,1] neg_hi:[0,0,1]
	v_pk_fma_f32 v[2:3], v[4:5], v[66:67], v[2:3] op_sel:[0,0,1] op_sel_hi:[1,0,0]
	v_mov_b32_e32 v7, v3
	ds_load_2addr_b64 v[2:5], v126 offset0:41 offset1:42
	v_pk_add_f32 v[210:211], v[210:211], v[6:7] neg_lo:[0,1] neg_hi:[0,1]
	s_wait_dscnt 0x0
	v_pk_mul_f32 v[6:7], v[2:3], v[68:69] op_sel:[0,1]
	s_delay_alu instid0(VALU_DEP_1) | instskip(SKIP_1) | instid1(VALU_DEP_1)
	v_pk_fma_f32 v[70:71], v[2:3], v[66:67], v[6:7] op_sel:[0,0,1] op_sel_hi:[1,1,0] neg_lo:[0,0,1] neg_hi:[0,0,1]
	v_pk_fma_f32 v[2:3], v[2:3], v[66:67], v[6:7] op_sel:[0,0,1] op_sel_hi:[1,0,0]
	v_mov_b32_e32 v71, v3
	v_pk_mul_f32 v[2:3], v[4:5], v[68:69] op_sel:[0,1]
	s_delay_alu instid0(VALU_DEP_2) | instskip(NEXT) | instid1(VALU_DEP_2)
	v_pk_add_f32 v[212:213], v[212:213], v[70:71] neg_lo:[0,1] neg_hi:[0,1]
	v_pk_fma_f32 v[6:7], v[4:5], v[66:67], v[2:3] op_sel:[0,0,1] op_sel_hi:[1,1,0] neg_lo:[0,0,1] neg_hi:[0,0,1]
	v_pk_fma_f32 v[2:3], v[4:5], v[66:67], v[2:3] op_sel:[0,0,1] op_sel_hi:[1,0,0]
	s_delay_alu instid0(VALU_DEP_1) | instskip(SKIP_4) | instid1(VALU_DEP_1)
	v_mov_b32_e32 v7, v3
	ds_load_2addr_b64 v[2:5], v126 offset0:43 offset1:44
	v_pk_add_f32 v[214:215], v[214:215], v[6:7] neg_lo:[0,1] neg_hi:[0,1]
	s_wait_dscnt 0x0
	v_pk_mul_f32 v[6:7], v[2:3], v[68:69] op_sel:[0,1]
	v_pk_fma_f32 v[70:71], v[2:3], v[66:67], v[6:7] op_sel:[0,0,1] op_sel_hi:[1,1,0] neg_lo:[0,0,1] neg_hi:[0,0,1]
	v_pk_fma_f32 v[2:3], v[2:3], v[66:67], v[6:7] op_sel:[0,0,1] op_sel_hi:[1,0,0]
	v_dual_mul_f32 v6, v5, v69 :: v_dual_mov_b32 v2, v5
	s_delay_alu instid0(VALU_DEP_2) | instskip(NEXT) | instid1(VALU_DEP_2)
	v_dual_mov_b32 v71, v3 :: v_dual_mov_b32 v3, v4
	v_pk_fma_f32 v[6:7], v[4:5], v[190:191], v[6:7] op_sel_hi:[1,1,0] neg_lo:[0,0,1] neg_hi:[0,0,1]
	v_mul_f32_e32 v4, v5, v66
	s_delay_alu instid0(VALU_DEP_3) | instskip(NEXT) | instid1(VALU_DEP_2)
	v_pk_add_f32 v[216:217], v[216:217], v[70:71] neg_lo:[0,1] neg_hi:[0,1]
	v_pk_fma_f32 v[2:3], v[2:3], v[190:191], v[4:5] op_sel_hi:[1,1,0]
	s_delay_alu instid0(VALU_DEP_1) | instskip(SKIP_4) | instid1(VALU_DEP_1)
	v_mov_b32_e32 v7, v3
	ds_load_2addr_b64 v[2:5], v126 offset0:45 offset1:46
	v_pk_add_f32 v[218:219], v[218:219], v[6:7] neg_lo:[0,1] neg_hi:[0,1]
	s_wait_dscnt 0x0
	v_pk_mul_f32 v[6:7], v[2:3], v[68:69] op_sel:[0,1]
	v_pk_fma_f32 v[70:71], v[2:3], v[66:67], v[6:7] op_sel:[0,0,1] op_sel_hi:[1,1,0] neg_lo:[0,0,1] neg_hi:[0,0,1]
	v_pk_fma_f32 v[2:3], v[2:3], v[66:67], v[6:7] op_sel:[0,0,1] op_sel_hi:[1,0,0]
	s_delay_alu instid0(VALU_DEP_1) | instskip(SKIP_1) | instid1(VALU_DEP_1)
	v_mov_b32_e32 v71, v3
	v_pk_mul_f32 v[2:3], v[4:5], v[68:69] op_sel:[0,1]
	v_pk_fma_f32 v[6:7], v[4:5], v[66:67], v[2:3] op_sel:[0,0,1] op_sel_hi:[1,1,0] neg_lo:[0,0,1] neg_hi:[0,0,1]
	v_pk_fma_f32 v[2:3], v[4:5], v[66:67], v[2:3] op_sel:[0,0,1] op_sel_hi:[1,0,0]
	s_delay_alu instid0(VALU_DEP_1)
	v_mov_b32_e32 v7, v3
	ds_load_2addr_b64 v[2:5], v126 offset0:47 offset1:48
	v_pk_add_f32 v[220:221], v[220:221], v[70:71] neg_lo:[0,1] neg_hi:[0,1]
	v_pk_add_f32 v[222:223], v[222:223], v[6:7] neg_lo:[0,1] neg_hi:[0,1]
	s_wait_dscnt 0x0
	v_pk_mul_f32 v[6:7], v[2:3], v[68:69] op_sel:[0,1]
	s_delay_alu instid0(VALU_DEP_1) | instskip(SKIP_1) | instid1(VALU_DEP_1)
	v_pk_fma_f32 v[70:71], v[2:3], v[66:67], v[6:7] op_sel:[0,0,1] op_sel_hi:[1,1,0] neg_lo:[0,0,1] neg_hi:[0,0,1]
	v_pk_fma_f32 v[2:3], v[2:3], v[66:67], v[6:7] op_sel:[0,0,1] op_sel_hi:[1,0,0]
	v_mov_b32_e32 v71, v3
	v_pk_mul_f32 v[2:3], v[4:5], v[68:69] op_sel:[0,1]
	s_delay_alu instid0(VALU_DEP_1) | instskip(SKIP_1) | instid1(VALU_DEP_1)
	v_pk_fma_f32 v[6:7], v[4:5], v[66:67], v[2:3] op_sel:[0,0,1] op_sel_hi:[1,1,0] neg_lo:[0,0,1] neg_hi:[0,0,1]
	v_pk_fma_f32 v[2:3], v[4:5], v[66:67], v[2:3] op_sel:[0,0,1] op_sel_hi:[1,0,0]
	v_mov_b32_e32 v7, v3
	ds_load_2addr_b64 v[2:5], v126 offset0:49 offset1:50
	v_pk_add_f32 v[224:225], v[224:225], v[70:71] neg_lo:[0,1] neg_hi:[0,1]
	v_pk_add_f32 v[226:227], v[226:227], v[6:7] neg_lo:[0,1] neg_hi:[0,1]
	s_wait_dscnt 0x0
	v_dual_mul_f32 v6, v3, v69 :: v_dual_mul_f32 v70, v3, v66
	s_delay_alu instid0(VALU_DEP_1) | instskip(NEXT) | instid1(VALU_DEP_2)
	v_pk_fma_f32 v[6:7], v[2:3], v[190:191], v[6:7] op_sel_hi:[1,1,0] neg_lo:[0,0,1] neg_hi:[0,0,1]
	v_pk_fma_f32 v[2:3], v[2:3], v[190:191], v[70:71] op_sel:[1,0,0] op_sel_hi:[0,1,0]
	s_delay_alu instid0(VALU_DEP_1) | instskip(SKIP_1) | instid1(VALU_DEP_2)
	v_mov_b32_e32 v7, v3
	v_pk_mul_f32 v[2:3], v[4:5], v[68:69] op_sel:[0,1]
	v_pk_add_f32 v[228:229], v[228:229], v[6:7] neg_lo:[0,1] neg_hi:[0,1]
	s_delay_alu instid0(VALU_DEP_2) | instskip(SKIP_1) | instid1(VALU_DEP_1)
	v_pk_fma_f32 v[6:7], v[4:5], v[66:67], v[2:3] op_sel:[0,0,1] op_sel_hi:[1,1,0] neg_lo:[0,0,1] neg_hi:[0,0,1]
	v_pk_fma_f32 v[2:3], v[4:5], v[66:67], v[2:3] op_sel:[0,0,1] op_sel_hi:[1,0,0]
	v_mov_b32_e32 v7, v3
	ds_load_2addr_b64 v[2:5], v126 offset0:51 offset1:52
	v_pk_add_f32 v[230:231], v[230:231], v[6:7] neg_lo:[0,1] neg_hi:[0,1]
	s_wait_dscnt 0x0
	v_pk_mul_f32 v[6:7], v[2:3], v[68:69] op_sel:[0,1]
	s_delay_alu instid0(VALU_DEP_1) | instskip(SKIP_1) | instid1(VALU_DEP_1)
	v_pk_fma_f32 v[70:71], v[2:3], v[66:67], v[6:7] op_sel:[0,0,1] op_sel_hi:[1,1,0] neg_lo:[0,0,1] neg_hi:[0,0,1]
	v_pk_fma_f32 v[2:3], v[2:3], v[66:67], v[6:7] op_sel:[0,0,1] op_sel_hi:[1,0,0]
	v_mov_b32_e32 v71, v3
	v_pk_mul_f32 v[2:3], v[4:5], v[68:69] op_sel:[0,1]
	s_delay_alu instid0(VALU_DEP_2) | instskip(NEXT) | instid1(VALU_DEP_2)
	v_pk_add_f32 v[232:233], v[232:233], v[70:71] neg_lo:[0,1] neg_hi:[0,1]
	v_pk_fma_f32 v[6:7], v[4:5], v[66:67], v[2:3] op_sel:[0,0,1] op_sel_hi:[1,1,0] neg_lo:[0,0,1] neg_hi:[0,0,1]
	v_pk_fma_f32 v[2:3], v[4:5], v[66:67], v[2:3] op_sel:[0,0,1] op_sel_hi:[1,0,0]
	s_delay_alu instid0(VALU_DEP_1) | instskip(SKIP_4) | instid1(VALU_DEP_1)
	v_mov_b32_e32 v7, v3
	ds_load_2addr_b64 v[2:5], v126 offset0:53 offset1:54
	v_pk_add_f32 v[234:235], v[234:235], v[6:7] neg_lo:[0,1] neg_hi:[0,1]
	s_wait_dscnt 0x0
	v_pk_mul_f32 v[6:7], v[2:3], v[68:69] op_sel:[0,1]
	v_pk_fma_f32 v[70:71], v[2:3], v[66:67], v[6:7] op_sel:[0,0,1] op_sel_hi:[1,1,0] neg_lo:[0,0,1] neg_hi:[0,0,1]
	v_pk_fma_f32 v[2:3], v[2:3], v[66:67], v[6:7] op_sel:[0,0,1] op_sel_hi:[1,0,0]
	v_dual_mul_f32 v6, v5, v69 :: v_dual_mov_b32 v2, v5
	s_delay_alu instid0(VALU_DEP_2) | instskip(NEXT) | instid1(VALU_DEP_2)
	v_dual_mov_b32 v71, v3 :: v_dual_mov_b32 v3, v4
	v_pk_fma_f32 v[6:7], v[4:5], v[190:191], v[6:7] op_sel_hi:[1,1,0] neg_lo:[0,0,1] neg_hi:[0,0,1]
	v_mul_f32_e32 v4, v5, v66
	s_delay_alu instid0(VALU_DEP_3) | instskip(NEXT) | instid1(VALU_DEP_2)
	v_pk_add_f32 v[236:237], v[236:237], v[70:71] neg_lo:[0,1] neg_hi:[0,1]
	v_pk_fma_f32 v[2:3], v[2:3], v[190:191], v[4:5] op_sel_hi:[1,1,0]
	s_delay_alu instid0(VALU_DEP_1) | instskip(SKIP_4) | instid1(VALU_DEP_1)
	v_mov_b32_e32 v7, v3
	ds_load_2addr_b64 v[2:5], v126 offset0:55 offset1:56
	v_pk_add_f32 v[238:239], v[238:239], v[6:7] neg_lo:[0,1] neg_hi:[0,1]
	s_wait_dscnt 0x0
	v_pk_mul_f32 v[6:7], v[2:3], v[68:69] op_sel:[0,1]
	v_pk_fma_f32 v[70:71], v[2:3], v[66:67], v[6:7] op_sel:[0,0,1] op_sel_hi:[1,1,0] neg_lo:[0,0,1] neg_hi:[0,0,1]
	v_pk_fma_f32 v[2:3], v[2:3], v[66:67], v[6:7] op_sel:[0,0,1] op_sel_hi:[1,0,0]
	s_delay_alu instid0(VALU_DEP_1) | instskip(SKIP_1) | instid1(VALU_DEP_1)
	v_mov_b32_e32 v71, v3
	v_pk_mul_f32 v[2:3], v[4:5], v[68:69] op_sel:[0,1]
	v_pk_fma_f32 v[6:7], v[4:5], v[66:67], v[2:3] op_sel:[0,0,1] op_sel_hi:[1,1,0] neg_lo:[0,0,1] neg_hi:[0,0,1]
	v_pk_fma_f32 v[2:3], v[4:5], v[66:67], v[2:3] op_sel:[0,0,1] op_sel_hi:[1,0,0]
	s_delay_alu instid0(VALU_DEP_1)
	v_mov_b32_e32 v7, v3
	ds_load_2addr_b64 v[2:5], v126 offset0:57 offset1:58
	v_pk_add_f32 v[240:241], v[240:241], v[70:71] neg_lo:[0,1] neg_hi:[0,1]
	v_pk_add_f32 v[252:253], v[252:253], v[6:7] neg_lo:[0,1] neg_hi:[0,1]
	s_wait_dscnt 0x0
	v_pk_mul_f32 v[6:7], v[2:3], v[68:69] op_sel:[0,1]
	s_delay_alu instid0(VALU_DEP_1) | instskip(SKIP_1) | instid1(VALU_DEP_1)
	v_pk_fma_f32 v[70:71], v[2:3], v[66:67], v[6:7] op_sel:[0,0,1] op_sel_hi:[1,1,0] neg_lo:[0,0,1] neg_hi:[0,0,1]
	v_pk_fma_f32 v[2:3], v[2:3], v[66:67], v[6:7] op_sel:[0,0,1] op_sel_hi:[1,0,0]
	v_mov_b32_e32 v71, v3
	v_pk_mul_f32 v[2:3], v[4:5], v[68:69] op_sel:[0,1]
	s_delay_alu instid0(VALU_DEP_1) | instskip(SKIP_1) | instid1(VALU_DEP_1)
	v_pk_fma_f32 v[6:7], v[4:5], v[66:67], v[2:3] op_sel:[0,0,1] op_sel_hi:[1,1,0] neg_lo:[0,0,1] neg_hi:[0,0,1]
	v_pk_fma_f32 v[2:3], v[4:5], v[66:67], v[2:3] op_sel:[0,0,1] op_sel_hi:[1,0,0]
	v_mov_b32_e32 v7, v3
	ds_load_2addr_b64 v[2:5], v126 offset0:59 offset1:60
	v_pk_add_f32 v[246:247], v[246:247], v[70:71] neg_lo:[0,1] neg_hi:[0,1]
	v_pk_add_f32 v[250:251], v[250:251], v[6:7] neg_lo:[0,1] neg_hi:[0,1]
	s_wait_dscnt 0x0
	v_dual_mul_f32 v6, v3, v69 :: v_dual_mul_f32 v70, v3, v66
	s_delay_alu instid0(VALU_DEP_1) | instskip(NEXT) | instid1(VALU_DEP_2)
	v_pk_fma_f32 v[6:7], v[2:3], v[190:191], v[6:7] op_sel_hi:[1,1,0] neg_lo:[0,0,1] neg_hi:[0,0,1]
	v_pk_fma_f32 v[2:3], v[2:3], v[190:191], v[70:71] op_sel:[1,0,0] op_sel_hi:[0,1,0]
	s_delay_alu instid0(VALU_DEP_1) | instskip(SKIP_1) | instid1(VALU_DEP_2)
	v_mov_b32_e32 v7, v3
	v_pk_mul_f32 v[2:3], v[4:5], v[68:69] op_sel:[0,1]
	v_pk_add_f32 v[244:245], v[244:245], v[6:7] neg_lo:[0,1] neg_hi:[0,1]
	s_delay_alu instid0(VALU_DEP_2) | instskip(SKIP_1) | instid1(VALU_DEP_1)
	v_pk_fma_f32 v[6:7], v[4:5], v[66:67], v[2:3] op_sel:[0,0,1] op_sel_hi:[1,1,0] neg_lo:[0,0,1] neg_hi:[0,0,1]
	v_pk_fma_f32 v[2:3], v[4:5], v[66:67], v[2:3] op_sel:[0,0,1] op_sel_hi:[1,0,0]
	v_mov_b32_e32 v7, v3
	ds_load_2addr_b64 v[2:5], v126 offset0:61 offset1:62
	v_pk_add_f32 v[248:249], v[248:249], v[6:7] neg_lo:[0,1] neg_hi:[0,1]
	s_wait_dscnt 0x0
	v_pk_mul_f32 v[6:7], v[2:3], v[68:69] op_sel:[0,1]
	s_delay_alu instid0(VALU_DEP_1) | instskip(SKIP_1) | instid1(VALU_DEP_1)
	v_pk_fma_f32 v[70:71], v[2:3], v[66:67], v[6:7] op_sel:[0,0,1] op_sel_hi:[1,1,0] neg_lo:[0,0,1] neg_hi:[0,0,1]
	v_pk_fma_f32 v[2:3], v[2:3], v[66:67], v[6:7] op_sel:[0,0,1] op_sel_hi:[1,0,0]
	v_mov_b32_e32 v71, v3
	v_pk_mul_f32 v[2:3], v[4:5], v[68:69] op_sel:[0,1]
	s_delay_alu instid0(VALU_DEP_2) | instskip(NEXT) | instid1(VALU_DEP_2)
	v_pk_add_f32 v[242:243], v[242:243], v[70:71] neg_lo:[0,1] neg_hi:[0,1]
	v_pk_fma_f32 v[6:7], v[4:5], v[66:67], v[2:3] op_sel:[0,0,1] op_sel_hi:[1,1,0] neg_lo:[0,0,1] neg_hi:[0,0,1]
	v_pk_fma_f32 v[2:3], v[4:5], v[66:67], v[2:3] op_sel:[0,0,1] op_sel_hi:[1,0,0]
	s_delay_alu instid0(VALU_DEP_1) | instskip(SKIP_4) | instid1(VALU_DEP_1)
	v_mov_b32_e32 v7, v3
	ds_load_b64 v[2:3], v126 offset:504
	v_pk_add_f32 v[254:255], v[254:255], v[6:7] neg_lo:[0,1] neg_hi:[0,1]
	s_wait_dscnt 0x0
	v_pk_mul_f32 v[4:5], v[2:3], v[68:69] op_sel:[0,1]
	v_pk_fma_f32 v[6:7], v[2:3], v[66:67], v[4:5] op_sel:[0,0,1] op_sel_hi:[1,1,0] neg_lo:[0,0,1] neg_hi:[0,0,1]
	v_pk_fma_f32 v[2:3], v[2:3], v[66:67], v[4:5] op_sel:[0,0,1] op_sel_hi:[1,0,0]
	s_delay_alu instid0(VALU_DEP_1) | instskip(NEXT) | instid1(VALU_DEP_1)
	v_mov_b32_e32 v7, v3
	v_pk_add_f32 v[0:1], v[0:1], v[6:7] neg_lo:[0,1] neg_hi:[0,1]
.LBB127_280:
	s_or_b32 exec_lo, exec_lo, s1
	s_delay_alu instid0(SALU_CYCLE_1)
	s_mov_b32 s2, exec_lo
	s_wait_dscnt 0x0
	s_barrier_signal -1
	s_barrier_wait -1
	v_cmpx_eq_u32_e32 31, v18
	s_cbranch_execz .LBB127_287
; %bb.281:
	v_dual_mov_b32 v2, v194 :: v_dual_mov_b32 v3, v195
	v_dual_mov_b32 v4, v196 :: v_dual_mov_b32 v5, v197
	ds_store_b64 v19, v[192:193]
	ds_store_2addr_b64 v126, v[2:3], v[4:5] offset0:32 offset1:33
	v_dual_mov_b32 v2, v198 :: v_dual_mov_b32 v3, v199
	v_dual_mov_b32 v4, v200 :: v_dual_mov_b32 v5, v201
	ds_store_2addr_b64 v126, v[2:3], v[4:5] offset0:34 offset1:35
	v_dual_mov_b32 v2, v202 :: v_dual_mov_b32 v3, v203
	v_dual_mov_b32 v4, v204 :: v_dual_mov_b32 v5, v205
	;; [unrolled: 3-line block ×14, first 2 shown]
	ds_store_2addr_b64 v126, v[2:3], v[4:5] offset0:60 offset1:61
	v_dual_mov_b32 v2, v254 :: v_dual_mov_b32 v3, v255
	ds_store_2addr_b64 v126, v[2:3], v[0:1] offset0:62 offset1:63
	ds_load_b64 v[2:3], v19
	s_wait_dscnt 0x0
	v_cmp_neq_f32_e32 vcc_lo, 0, v2
	v_cmp_neq_f32_e64 s1, 0, v3
	s_or_b32 s1, vcc_lo, s1
	s_delay_alu instid0(SALU_CYCLE_1)
	s_and_b32 exec_lo, exec_lo, s1
	s_cbranch_execz .LBB127_287
; %bb.282:
	v_cmp_ngt_f32_e64 s1, |v2|, |v3|
                                        ; implicit-def: $vgpr4_vgpr5
	s_and_saveexec_b32 s4, s1
	s_delay_alu instid0(SALU_CYCLE_1)
	s_xor_b32 s1, exec_lo, s4
	s_cbranch_execz .LBB127_284
; %bb.283:
	v_div_scale_f32 v4, null, v3, v3, v2
	v_div_scale_f32 v7, vcc_lo, v2, v3, v2
	s_delay_alu instid0(VALU_DEP_2) | instskip(SKIP_1) | instid1(TRANS32_DEP_1)
	v_rcp_f32_e32 v5, v4
	v_nop
	v_fma_f32 v6, -v4, v5, 1.0
	s_delay_alu instid0(VALU_DEP_1) | instskip(NEXT) | instid1(VALU_DEP_1)
	v_fmac_f32_e32 v5, v6, v5
	v_mul_f32_e32 v6, v7, v5
	s_delay_alu instid0(VALU_DEP_1) | instskip(NEXT) | instid1(VALU_DEP_1)
	v_fma_f32 v8, -v4, v6, v7
	v_fmac_f32_e32 v6, v8, v5
	s_delay_alu instid0(VALU_DEP_1) | instskip(NEXT) | instid1(VALU_DEP_1)
	v_fma_f32 v4, -v4, v6, v7
	v_div_fmas_f32 v4, v4, v5, v6
	s_delay_alu instid0(VALU_DEP_1) | instskip(NEXT) | instid1(VALU_DEP_1)
	v_div_fixup_f32 v4, v4, v3, v2
	v_fmac_f32_e32 v3, v2, v4
	s_delay_alu instid0(VALU_DEP_1) | instskip(SKIP_1) | instid1(VALU_DEP_2)
	v_div_scale_f32 v2, null, v3, v3, 1.0
	v_div_scale_f32 v7, vcc_lo, 1.0, v3, 1.0
	v_rcp_f32_e32 v5, v2
	v_nop
	s_delay_alu instid0(TRANS32_DEP_1) | instskip(NEXT) | instid1(VALU_DEP_1)
	v_fma_f32 v6, -v2, v5, 1.0
	v_fmac_f32_e32 v5, v6, v5
	s_delay_alu instid0(VALU_DEP_1) | instskip(NEXT) | instid1(VALU_DEP_1)
	v_mul_f32_e32 v6, v7, v5
	v_fma_f32 v8, -v2, v6, v7
	s_delay_alu instid0(VALU_DEP_1) | instskip(NEXT) | instid1(VALU_DEP_1)
	v_fmac_f32_e32 v6, v8, v5
	v_fma_f32 v2, -v2, v6, v7
	s_delay_alu instid0(VALU_DEP_1) | instskip(NEXT) | instid1(VALU_DEP_1)
	v_div_fmas_f32 v2, v2, v5, v6
	v_div_fixup_f32 v2, v2, v3, 1.0
	s_delay_alu instid0(VALU_DEP_1)
	v_mul_f32_e32 v4, v4, v2
	v_xor_b32_e32 v5, 0x80000000, v2
                                        ; implicit-def: $vgpr2_vgpr3
.LBB127_284:
	s_and_not1_saveexec_b32 s1, s1
	s_cbranch_execz .LBB127_286
; %bb.285:
	v_div_scale_f32 v4, null, v2, v2, v3
	v_div_scale_f32 v7, vcc_lo, v3, v2, v3
	s_delay_alu instid0(VALU_DEP_2) | instskip(SKIP_1) | instid1(TRANS32_DEP_1)
	v_rcp_f32_e32 v5, v4
	v_nop
	v_fma_f32 v6, -v4, v5, 1.0
	s_delay_alu instid0(VALU_DEP_1) | instskip(NEXT) | instid1(VALU_DEP_1)
	v_fmac_f32_e32 v5, v6, v5
	v_mul_f32_e32 v6, v7, v5
	s_delay_alu instid0(VALU_DEP_1) | instskip(NEXT) | instid1(VALU_DEP_1)
	v_fma_f32 v8, -v4, v6, v7
	v_fmac_f32_e32 v6, v8, v5
	s_delay_alu instid0(VALU_DEP_1) | instskip(NEXT) | instid1(VALU_DEP_1)
	v_fma_f32 v4, -v4, v6, v7
	v_div_fmas_f32 v4, v4, v5, v6
	s_delay_alu instid0(VALU_DEP_1) | instskip(NEXT) | instid1(VALU_DEP_1)
	v_div_fixup_f32 v5, v4, v2, v3
	v_fmac_f32_e32 v2, v3, v5
	s_delay_alu instid0(VALU_DEP_1) | instskip(NEXT) | instid1(VALU_DEP_1)
	v_div_scale_f32 v3, null, v2, v2, 1.0
	v_rcp_f32_e32 v4, v3
	v_nop
	s_delay_alu instid0(TRANS32_DEP_1) | instskip(NEXT) | instid1(VALU_DEP_1)
	v_fma_f32 v6, -v3, v4, 1.0
	v_fmac_f32_e32 v4, v6, v4
	v_div_scale_f32 v6, vcc_lo, 1.0, v2, 1.0
	s_delay_alu instid0(VALU_DEP_1) | instskip(NEXT) | instid1(VALU_DEP_1)
	v_mul_f32_e32 v7, v6, v4
	v_fma_f32 v8, -v3, v7, v6
	s_delay_alu instid0(VALU_DEP_1) | instskip(NEXT) | instid1(VALU_DEP_1)
	v_fmac_f32_e32 v7, v8, v4
	v_fma_f32 v3, -v3, v7, v6
	s_delay_alu instid0(VALU_DEP_1) | instskip(NEXT) | instid1(VALU_DEP_1)
	v_div_fmas_f32 v3, v3, v4, v7
	v_div_fixup_f32 v4, v3, v2, 1.0
	s_delay_alu instid0(VALU_DEP_1)
	v_mul_f32_e64 v5, v5, -v4
.LBB127_286:
	s_or_b32 exec_lo, exec_lo, s1
	ds_store_b64 v19, v[4:5]
.LBB127_287:
	s_or_b32 exec_lo, exec_lo, s2
	s_wait_dscnt 0x0
	s_barrier_signal -1
	s_barrier_wait -1
	ds_load_b64 v[66:67], v19
	s_mov_b32 s1, exec_lo
	v_cmpx_lt_u32_e32 31, v18
	s_cbranch_execz .LBB127_289
; %bb.288:
	s_wait_dscnt 0x0
	v_pk_mul_f32 v[2:3], v[66:67], v[192:193] op_sel:[1,1] op_sel_hi:[0,1]
	s_delay_alu instid0(VALU_DEP_1)
	v_pk_fma_f32 v[68:69], v[66:67], v[192:193], v[2:3] op_sel_hi:[1,0,1] neg_lo:[0,0,1] neg_hi:[0,0,1]
	v_pk_fma_f32 v[70:71], v[66:67], v[192:193], v[2:3] op_sel_hi:[1,0,1]
	ds_load_2addr_b64 v[2:5], v126 offset0:32 offset1:33
	v_dual_mov_b32 v192, v68 :: v_dual_mov_b32 v193, v71
	s_wait_dscnt 0x0
	v_pk_mul_f32 v[6:7], v[2:3], v[70:71] op_sel:[0,1]
	s_delay_alu instid0(VALU_DEP_1) | instskip(SKIP_1) | instid1(VALU_DEP_1)
	v_pk_fma_f32 v[72:73], v[2:3], v[68:69], v[6:7] op_sel:[0,0,1] op_sel_hi:[1,1,0] neg_lo:[0,0,1] neg_hi:[0,0,1]
	v_pk_fma_f32 v[2:3], v[2:3], v[68:69], v[6:7] op_sel:[0,0,1] op_sel_hi:[1,0,0]
	v_mov_b32_e32 v73, v3
	v_pk_mul_f32 v[2:3], v[4:5], v[70:71] op_sel:[0,1]
	s_delay_alu instid0(VALU_DEP_1) | instskip(SKIP_1) | instid1(VALU_DEP_1)
	v_pk_fma_f32 v[6:7], v[4:5], v[68:69], v[2:3] op_sel:[0,0,1] op_sel_hi:[1,1,0] neg_lo:[0,0,1] neg_hi:[0,0,1]
	v_pk_fma_f32 v[2:3], v[4:5], v[68:69], v[2:3] op_sel:[0,0,1] op_sel_hi:[1,0,0]
	v_mov_b32_e32 v7, v3
	ds_load_2addr_b64 v[2:5], v126 offset0:34 offset1:35
	v_pk_add_f32 v[194:195], v[194:195], v[72:73] neg_lo:[0,1] neg_hi:[0,1]
	v_pk_add_f32 v[196:197], v[196:197], v[6:7] neg_lo:[0,1] neg_hi:[0,1]
	s_wait_dscnt 0x0
	v_pk_mul_f32 v[6:7], v[2:3], v[70:71] op_sel:[0,1]
	s_delay_alu instid0(VALU_DEP_1) | instskip(SKIP_2) | instid1(VALU_DEP_2)
	v_pk_fma_f32 v[72:73], v[2:3], v[68:69], v[6:7] op_sel:[0,0,1] op_sel_hi:[1,1,0] neg_lo:[0,0,1] neg_hi:[0,0,1]
	v_pk_fma_f32 v[2:3], v[2:3], v[68:69], v[6:7] op_sel:[0,0,1] op_sel_hi:[1,0,0]
	v_dual_mul_f32 v6, v5, v71 :: v_dual_mov_b32 v2, v5
	v_dual_mov_b32 v73, v3 :: v_dual_mov_b32 v3, v4
	s_delay_alu instid0(VALU_DEP_2) | instskip(SKIP_1) | instid1(VALU_DEP_3)
	v_pk_fma_f32 v[6:7], v[4:5], v[192:193], v[6:7] op_sel_hi:[1,1,0] neg_lo:[0,0,1] neg_hi:[0,0,1]
	v_mul_f32_e32 v4, v5, v68
	v_pk_add_f32 v[198:199], v[198:199], v[72:73] neg_lo:[0,1] neg_hi:[0,1]
	s_delay_alu instid0(VALU_DEP_2) | instskip(NEXT) | instid1(VALU_DEP_1)
	v_pk_fma_f32 v[2:3], v[2:3], v[192:193], v[4:5] op_sel_hi:[1,1,0]
	v_mov_b32_e32 v7, v3
	ds_load_2addr_b64 v[2:5], v126 offset0:36 offset1:37
	v_pk_add_f32 v[200:201], v[200:201], v[6:7] neg_lo:[0,1] neg_hi:[0,1]
	s_wait_dscnt 0x0
	v_pk_mul_f32 v[6:7], v[2:3], v[70:71] op_sel:[0,1]
	s_delay_alu instid0(VALU_DEP_1) | instskip(SKIP_1) | instid1(VALU_DEP_1)
	v_pk_fma_f32 v[72:73], v[2:3], v[68:69], v[6:7] op_sel:[0,0,1] op_sel_hi:[1,1,0] neg_lo:[0,0,1] neg_hi:[0,0,1]
	v_pk_fma_f32 v[2:3], v[2:3], v[68:69], v[6:7] op_sel:[0,0,1] op_sel_hi:[1,0,0]
	v_mov_b32_e32 v73, v3
	v_pk_mul_f32 v[2:3], v[4:5], v[70:71] op_sel:[0,1]
	s_delay_alu instid0(VALU_DEP_1) | instskip(SKIP_1) | instid1(VALU_DEP_1)
	v_pk_fma_f32 v[6:7], v[4:5], v[68:69], v[2:3] op_sel:[0,0,1] op_sel_hi:[1,1,0] neg_lo:[0,0,1] neg_hi:[0,0,1]
	v_pk_fma_f32 v[2:3], v[4:5], v[68:69], v[2:3] op_sel:[0,0,1] op_sel_hi:[1,0,0]
	v_mov_b32_e32 v7, v3
	ds_load_2addr_b64 v[2:5], v126 offset0:38 offset1:39
	v_pk_add_f32 v[202:203], v[202:203], v[72:73] neg_lo:[0,1] neg_hi:[0,1]
	v_pk_add_f32 v[204:205], v[204:205], v[6:7] neg_lo:[0,1] neg_hi:[0,1]
	s_wait_dscnt 0x0
	v_pk_mul_f32 v[6:7], v[2:3], v[70:71] op_sel:[0,1]
	s_delay_alu instid0(VALU_DEP_1) | instskip(SKIP_1) | instid1(VALU_DEP_1)
	v_pk_fma_f32 v[72:73], v[2:3], v[68:69], v[6:7] op_sel:[0,0,1] op_sel_hi:[1,1,0] neg_lo:[0,0,1] neg_hi:[0,0,1]
	v_pk_fma_f32 v[2:3], v[2:3], v[68:69], v[6:7] op_sel:[0,0,1] op_sel_hi:[1,0,0]
	v_mov_b32_e32 v73, v3
	v_pk_mul_f32 v[2:3], v[4:5], v[70:71] op_sel:[0,1]
	s_delay_alu instid0(VALU_DEP_1) | instskip(SKIP_1) | instid1(VALU_DEP_1)
	v_pk_fma_f32 v[6:7], v[4:5], v[68:69], v[2:3] op_sel:[0,0,1] op_sel_hi:[1,1,0] neg_lo:[0,0,1] neg_hi:[0,0,1]
	v_pk_fma_f32 v[2:3], v[4:5], v[68:69], v[2:3] op_sel:[0,0,1] op_sel_hi:[1,0,0]
	v_mov_b32_e32 v7, v3
	ds_load_2addr_b64 v[2:5], v126 offset0:40 offset1:41
	v_pk_add_f32 v[206:207], v[206:207], v[72:73] neg_lo:[0,1] neg_hi:[0,1]
	v_pk_add_f32 v[208:209], v[208:209], v[6:7] neg_lo:[0,1] neg_hi:[0,1]
	s_wait_dscnt 0x0
	v_dual_mul_f32 v6, v3, v71 :: v_dual_mul_f32 v72, v3, v68
	s_delay_alu instid0(VALU_DEP_1) | instskip(NEXT) | instid1(VALU_DEP_2)
	v_pk_fma_f32 v[6:7], v[2:3], v[192:193], v[6:7] op_sel_hi:[1,1,0] neg_lo:[0,0,1] neg_hi:[0,0,1]
	v_pk_fma_f32 v[2:3], v[2:3], v[192:193], v[72:73] op_sel:[1,0,0] op_sel_hi:[0,1,0]
	s_delay_alu instid0(VALU_DEP_1) | instskip(SKIP_1) | instid1(VALU_DEP_2)
	v_mov_b32_e32 v7, v3
	v_pk_mul_f32 v[2:3], v[4:5], v[70:71] op_sel:[0,1]
	v_pk_add_f32 v[210:211], v[210:211], v[6:7] neg_lo:[0,1] neg_hi:[0,1]
	s_delay_alu instid0(VALU_DEP_2) | instskip(SKIP_1) | instid1(VALU_DEP_1)
	v_pk_fma_f32 v[6:7], v[4:5], v[68:69], v[2:3] op_sel:[0,0,1] op_sel_hi:[1,1,0] neg_lo:[0,0,1] neg_hi:[0,0,1]
	v_pk_fma_f32 v[2:3], v[4:5], v[68:69], v[2:3] op_sel:[0,0,1] op_sel_hi:[1,0,0]
	v_mov_b32_e32 v7, v3
	ds_load_2addr_b64 v[2:5], v126 offset0:42 offset1:43
	v_pk_add_f32 v[212:213], v[212:213], v[6:7] neg_lo:[0,1] neg_hi:[0,1]
	s_wait_dscnt 0x0
	v_pk_mul_f32 v[6:7], v[2:3], v[70:71] op_sel:[0,1]
	s_delay_alu instid0(VALU_DEP_1) | instskip(SKIP_1) | instid1(VALU_DEP_1)
	v_pk_fma_f32 v[72:73], v[2:3], v[68:69], v[6:7] op_sel:[0,0,1] op_sel_hi:[1,1,0] neg_lo:[0,0,1] neg_hi:[0,0,1]
	v_pk_fma_f32 v[2:3], v[2:3], v[68:69], v[6:7] op_sel:[0,0,1] op_sel_hi:[1,0,0]
	v_mov_b32_e32 v73, v3
	v_pk_mul_f32 v[2:3], v[4:5], v[70:71] op_sel:[0,1]
	s_delay_alu instid0(VALU_DEP_2) | instskip(NEXT) | instid1(VALU_DEP_2)
	v_pk_add_f32 v[214:215], v[214:215], v[72:73] neg_lo:[0,1] neg_hi:[0,1]
	v_pk_fma_f32 v[6:7], v[4:5], v[68:69], v[2:3] op_sel:[0,0,1] op_sel_hi:[1,1,0] neg_lo:[0,0,1] neg_hi:[0,0,1]
	v_pk_fma_f32 v[2:3], v[4:5], v[68:69], v[2:3] op_sel:[0,0,1] op_sel_hi:[1,0,0]
	s_delay_alu instid0(VALU_DEP_1) | instskip(SKIP_4) | instid1(VALU_DEP_1)
	v_mov_b32_e32 v7, v3
	ds_load_2addr_b64 v[2:5], v126 offset0:44 offset1:45
	v_pk_add_f32 v[216:217], v[216:217], v[6:7] neg_lo:[0,1] neg_hi:[0,1]
	s_wait_dscnt 0x0
	v_pk_mul_f32 v[6:7], v[2:3], v[70:71] op_sel:[0,1]
	v_pk_fma_f32 v[72:73], v[2:3], v[68:69], v[6:7] op_sel:[0,0,1] op_sel_hi:[1,1,0] neg_lo:[0,0,1] neg_hi:[0,0,1]
	v_pk_fma_f32 v[2:3], v[2:3], v[68:69], v[6:7] op_sel:[0,0,1] op_sel_hi:[1,0,0]
	v_dual_mul_f32 v6, v5, v71 :: v_dual_mov_b32 v2, v5
	s_delay_alu instid0(VALU_DEP_2) | instskip(NEXT) | instid1(VALU_DEP_2)
	v_dual_mov_b32 v73, v3 :: v_dual_mov_b32 v3, v4
	v_pk_fma_f32 v[6:7], v[4:5], v[192:193], v[6:7] op_sel_hi:[1,1,0] neg_lo:[0,0,1] neg_hi:[0,0,1]
	v_mul_f32_e32 v4, v5, v68
	s_delay_alu instid0(VALU_DEP_3) | instskip(NEXT) | instid1(VALU_DEP_2)
	v_pk_add_f32 v[218:219], v[218:219], v[72:73] neg_lo:[0,1] neg_hi:[0,1]
	v_pk_fma_f32 v[2:3], v[2:3], v[192:193], v[4:5] op_sel_hi:[1,1,0]
	s_delay_alu instid0(VALU_DEP_1) | instskip(SKIP_4) | instid1(VALU_DEP_1)
	v_mov_b32_e32 v7, v3
	ds_load_2addr_b64 v[2:5], v126 offset0:46 offset1:47
	v_pk_add_f32 v[220:221], v[220:221], v[6:7] neg_lo:[0,1] neg_hi:[0,1]
	s_wait_dscnt 0x0
	v_pk_mul_f32 v[6:7], v[2:3], v[70:71] op_sel:[0,1]
	v_pk_fma_f32 v[72:73], v[2:3], v[68:69], v[6:7] op_sel:[0,0,1] op_sel_hi:[1,1,0] neg_lo:[0,0,1] neg_hi:[0,0,1]
	v_pk_fma_f32 v[2:3], v[2:3], v[68:69], v[6:7] op_sel:[0,0,1] op_sel_hi:[1,0,0]
	s_delay_alu instid0(VALU_DEP_1) | instskip(SKIP_1) | instid1(VALU_DEP_1)
	v_mov_b32_e32 v73, v3
	v_pk_mul_f32 v[2:3], v[4:5], v[70:71] op_sel:[0,1]
	v_pk_fma_f32 v[6:7], v[4:5], v[68:69], v[2:3] op_sel:[0,0,1] op_sel_hi:[1,1,0] neg_lo:[0,0,1] neg_hi:[0,0,1]
	v_pk_fma_f32 v[2:3], v[4:5], v[68:69], v[2:3] op_sel:[0,0,1] op_sel_hi:[1,0,0]
	s_delay_alu instid0(VALU_DEP_1)
	v_mov_b32_e32 v7, v3
	ds_load_2addr_b64 v[2:5], v126 offset0:48 offset1:49
	v_pk_add_f32 v[222:223], v[222:223], v[72:73] neg_lo:[0,1] neg_hi:[0,1]
	v_pk_add_f32 v[224:225], v[224:225], v[6:7] neg_lo:[0,1] neg_hi:[0,1]
	s_wait_dscnt 0x0
	v_pk_mul_f32 v[6:7], v[2:3], v[70:71] op_sel:[0,1]
	s_delay_alu instid0(VALU_DEP_1) | instskip(SKIP_1) | instid1(VALU_DEP_1)
	v_pk_fma_f32 v[72:73], v[2:3], v[68:69], v[6:7] op_sel:[0,0,1] op_sel_hi:[1,1,0] neg_lo:[0,0,1] neg_hi:[0,0,1]
	v_pk_fma_f32 v[2:3], v[2:3], v[68:69], v[6:7] op_sel:[0,0,1] op_sel_hi:[1,0,0]
	v_mov_b32_e32 v73, v3
	v_pk_mul_f32 v[2:3], v[4:5], v[70:71] op_sel:[0,1]
	s_delay_alu instid0(VALU_DEP_1) | instskip(SKIP_1) | instid1(VALU_DEP_1)
	v_pk_fma_f32 v[6:7], v[4:5], v[68:69], v[2:3] op_sel:[0,0,1] op_sel_hi:[1,1,0] neg_lo:[0,0,1] neg_hi:[0,0,1]
	v_pk_fma_f32 v[2:3], v[4:5], v[68:69], v[2:3] op_sel:[0,0,1] op_sel_hi:[1,0,0]
	v_mov_b32_e32 v7, v3
	ds_load_2addr_b64 v[2:5], v126 offset0:50 offset1:51
	v_pk_add_f32 v[226:227], v[226:227], v[72:73] neg_lo:[0,1] neg_hi:[0,1]
	v_pk_add_f32 v[228:229], v[228:229], v[6:7] neg_lo:[0,1] neg_hi:[0,1]
	s_wait_dscnt 0x0
	v_dual_mul_f32 v6, v3, v71 :: v_dual_mul_f32 v72, v3, v68
	s_delay_alu instid0(VALU_DEP_1) | instskip(NEXT) | instid1(VALU_DEP_2)
	v_pk_fma_f32 v[6:7], v[2:3], v[192:193], v[6:7] op_sel_hi:[1,1,0] neg_lo:[0,0,1] neg_hi:[0,0,1]
	v_pk_fma_f32 v[2:3], v[2:3], v[192:193], v[72:73] op_sel:[1,0,0] op_sel_hi:[0,1,0]
	s_delay_alu instid0(VALU_DEP_1) | instskip(SKIP_1) | instid1(VALU_DEP_2)
	v_mov_b32_e32 v7, v3
	v_pk_mul_f32 v[2:3], v[4:5], v[70:71] op_sel:[0,1]
	v_pk_add_f32 v[230:231], v[230:231], v[6:7] neg_lo:[0,1] neg_hi:[0,1]
	s_delay_alu instid0(VALU_DEP_2) | instskip(SKIP_1) | instid1(VALU_DEP_1)
	v_pk_fma_f32 v[6:7], v[4:5], v[68:69], v[2:3] op_sel:[0,0,1] op_sel_hi:[1,1,0] neg_lo:[0,0,1] neg_hi:[0,0,1]
	v_pk_fma_f32 v[2:3], v[4:5], v[68:69], v[2:3] op_sel:[0,0,1] op_sel_hi:[1,0,0]
	v_mov_b32_e32 v7, v3
	ds_load_2addr_b64 v[2:5], v126 offset0:52 offset1:53
	v_pk_add_f32 v[232:233], v[232:233], v[6:7] neg_lo:[0,1] neg_hi:[0,1]
	s_wait_dscnt 0x0
	v_pk_mul_f32 v[6:7], v[2:3], v[70:71] op_sel:[0,1]
	s_delay_alu instid0(VALU_DEP_1) | instskip(SKIP_1) | instid1(VALU_DEP_1)
	v_pk_fma_f32 v[72:73], v[2:3], v[68:69], v[6:7] op_sel:[0,0,1] op_sel_hi:[1,1,0] neg_lo:[0,0,1] neg_hi:[0,0,1]
	v_pk_fma_f32 v[2:3], v[2:3], v[68:69], v[6:7] op_sel:[0,0,1] op_sel_hi:[1,0,0]
	v_mov_b32_e32 v73, v3
	v_pk_mul_f32 v[2:3], v[4:5], v[70:71] op_sel:[0,1]
	s_delay_alu instid0(VALU_DEP_2) | instskip(NEXT) | instid1(VALU_DEP_2)
	v_pk_add_f32 v[234:235], v[234:235], v[72:73] neg_lo:[0,1] neg_hi:[0,1]
	v_pk_fma_f32 v[6:7], v[4:5], v[68:69], v[2:3] op_sel:[0,0,1] op_sel_hi:[1,1,0] neg_lo:[0,0,1] neg_hi:[0,0,1]
	v_pk_fma_f32 v[2:3], v[4:5], v[68:69], v[2:3] op_sel:[0,0,1] op_sel_hi:[1,0,0]
	s_delay_alu instid0(VALU_DEP_1) | instskip(SKIP_4) | instid1(VALU_DEP_1)
	v_mov_b32_e32 v7, v3
	ds_load_2addr_b64 v[2:5], v126 offset0:54 offset1:55
	v_pk_add_f32 v[236:237], v[236:237], v[6:7] neg_lo:[0,1] neg_hi:[0,1]
	s_wait_dscnt 0x0
	v_pk_mul_f32 v[6:7], v[2:3], v[70:71] op_sel:[0,1]
	v_pk_fma_f32 v[72:73], v[2:3], v[68:69], v[6:7] op_sel:[0,0,1] op_sel_hi:[1,1,0] neg_lo:[0,0,1] neg_hi:[0,0,1]
	v_pk_fma_f32 v[2:3], v[2:3], v[68:69], v[6:7] op_sel:[0,0,1] op_sel_hi:[1,0,0]
	v_dual_mul_f32 v6, v5, v71 :: v_dual_mov_b32 v2, v5
	s_delay_alu instid0(VALU_DEP_2) | instskip(NEXT) | instid1(VALU_DEP_2)
	v_dual_mov_b32 v73, v3 :: v_dual_mov_b32 v3, v4
	v_pk_fma_f32 v[6:7], v[4:5], v[192:193], v[6:7] op_sel_hi:[1,1,0] neg_lo:[0,0,1] neg_hi:[0,0,1]
	v_mul_f32_e32 v4, v5, v68
	s_delay_alu instid0(VALU_DEP_3) | instskip(NEXT) | instid1(VALU_DEP_2)
	v_pk_add_f32 v[238:239], v[238:239], v[72:73] neg_lo:[0,1] neg_hi:[0,1]
	v_pk_fma_f32 v[2:3], v[2:3], v[192:193], v[4:5] op_sel_hi:[1,1,0]
	s_delay_alu instid0(VALU_DEP_1) | instskip(SKIP_4) | instid1(VALU_DEP_1)
	v_mov_b32_e32 v7, v3
	ds_load_2addr_b64 v[2:5], v126 offset0:56 offset1:57
	v_pk_add_f32 v[240:241], v[240:241], v[6:7] neg_lo:[0,1] neg_hi:[0,1]
	s_wait_dscnt 0x0
	v_pk_mul_f32 v[6:7], v[2:3], v[70:71] op_sel:[0,1]
	v_pk_fma_f32 v[72:73], v[2:3], v[68:69], v[6:7] op_sel:[0,0,1] op_sel_hi:[1,1,0] neg_lo:[0,0,1] neg_hi:[0,0,1]
	v_pk_fma_f32 v[2:3], v[2:3], v[68:69], v[6:7] op_sel:[0,0,1] op_sel_hi:[1,0,0]
	s_delay_alu instid0(VALU_DEP_1) | instskip(SKIP_1) | instid1(VALU_DEP_1)
	v_mov_b32_e32 v73, v3
	v_pk_mul_f32 v[2:3], v[4:5], v[70:71] op_sel:[0,1]
	v_pk_fma_f32 v[6:7], v[4:5], v[68:69], v[2:3] op_sel:[0,0,1] op_sel_hi:[1,1,0] neg_lo:[0,0,1] neg_hi:[0,0,1]
	v_pk_fma_f32 v[2:3], v[4:5], v[68:69], v[2:3] op_sel:[0,0,1] op_sel_hi:[1,0,0]
	s_delay_alu instid0(VALU_DEP_1)
	v_mov_b32_e32 v7, v3
	ds_load_2addr_b64 v[2:5], v126 offset0:58 offset1:59
	v_pk_add_f32 v[252:253], v[252:253], v[72:73] neg_lo:[0,1] neg_hi:[0,1]
	v_pk_add_f32 v[246:247], v[246:247], v[6:7] neg_lo:[0,1] neg_hi:[0,1]
	s_wait_dscnt 0x0
	v_pk_mul_f32 v[6:7], v[2:3], v[70:71] op_sel:[0,1]
	s_delay_alu instid0(VALU_DEP_1) | instskip(SKIP_1) | instid1(VALU_DEP_1)
	v_pk_fma_f32 v[72:73], v[2:3], v[68:69], v[6:7] op_sel:[0,0,1] op_sel_hi:[1,1,0] neg_lo:[0,0,1] neg_hi:[0,0,1]
	v_pk_fma_f32 v[2:3], v[2:3], v[68:69], v[6:7] op_sel:[0,0,1] op_sel_hi:[1,0,0]
	v_mov_b32_e32 v73, v3
	v_pk_mul_f32 v[2:3], v[4:5], v[70:71] op_sel:[0,1]
	s_delay_alu instid0(VALU_DEP_1) | instskip(SKIP_1) | instid1(VALU_DEP_1)
	v_pk_fma_f32 v[6:7], v[4:5], v[68:69], v[2:3] op_sel:[0,0,1] op_sel_hi:[1,1,0] neg_lo:[0,0,1] neg_hi:[0,0,1]
	v_pk_fma_f32 v[2:3], v[4:5], v[68:69], v[2:3] op_sel:[0,0,1] op_sel_hi:[1,0,0]
	v_mov_b32_e32 v7, v3
	ds_load_2addr_b64 v[2:5], v126 offset0:60 offset1:61
	v_pk_add_f32 v[250:251], v[250:251], v[72:73] neg_lo:[0,1] neg_hi:[0,1]
	v_pk_add_f32 v[244:245], v[244:245], v[6:7] neg_lo:[0,1] neg_hi:[0,1]
	s_wait_dscnt 0x0
	v_dual_mul_f32 v6, v3, v71 :: v_dual_mul_f32 v72, v3, v68
	s_delay_alu instid0(VALU_DEP_1) | instskip(NEXT) | instid1(VALU_DEP_2)
	v_pk_fma_f32 v[6:7], v[2:3], v[192:193], v[6:7] op_sel_hi:[1,1,0] neg_lo:[0,0,1] neg_hi:[0,0,1]
	v_pk_fma_f32 v[2:3], v[2:3], v[192:193], v[72:73] op_sel:[1,0,0] op_sel_hi:[0,1,0]
	s_delay_alu instid0(VALU_DEP_1) | instskip(SKIP_1) | instid1(VALU_DEP_2)
	v_mov_b32_e32 v7, v3
	v_pk_mul_f32 v[2:3], v[4:5], v[70:71] op_sel:[0,1]
	v_pk_add_f32 v[248:249], v[248:249], v[6:7] neg_lo:[0,1] neg_hi:[0,1]
	s_delay_alu instid0(VALU_DEP_2) | instskip(SKIP_1) | instid1(VALU_DEP_1)
	v_pk_fma_f32 v[6:7], v[4:5], v[68:69], v[2:3] op_sel:[0,0,1] op_sel_hi:[1,1,0] neg_lo:[0,0,1] neg_hi:[0,0,1]
	v_pk_fma_f32 v[2:3], v[4:5], v[68:69], v[2:3] op_sel:[0,0,1] op_sel_hi:[1,0,0]
	v_mov_b32_e32 v7, v3
	ds_load_2addr_b64 v[2:5], v126 offset0:62 offset1:63
	v_pk_add_f32 v[242:243], v[242:243], v[6:7] neg_lo:[0,1] neg_hi:[0,1]
	s_wait_dscnt 0x0
	v_pk_mul_f32 v[6:7], v[2:3], v[70:71] op_sel:[0,1]
	s_delay_alu instid0(VALU_DEP_1) | instskip(SKIP_1) | instid1(VALU_DEP_1)
	v_pk_fma_f32 v[72:73], v[2:3], v[68:69], v[6:7] op_sel:[0,0,1] op_sel_hi:[1,1,0] neg_lo:[0,0,1] neg_hi:[0,0,1]
	v_pk_fma_f32 v[2:3], v[2:3], v[68:69], v[6:7] op_sel:[0,0,1] op_sel_hi:[1,0,0]
	v_mov_b32_e32 v73, v3
	v_pk_mul_f32 v[2:3], v[4:5], v[70:71] op_sel:[0,1]
	s_delay_alu instid0(VALU_DEP_2) | instskip(NEXT) | instid1(VALU_DEP_2)
	v_pk_add_f32 v[254:255], v[254:255], v[72:73] neg_lo:[0,1] neg_hi:[0,1]
	v_pk_fma_f32 v[6:7], v[4:5], v[68:69], v[2:3] op_sel:[0,0,1] op_sel_hi:[1,1,0] neg_lo:[0,0,1] neg_hi:[0,0,1]
	v_pk_fma_f32 v[2:3], v[4:5], v[68:69], v[2:3] op_sel:[0,0,1] op_sel_hi:[1,0,0]
	s_delay_alu instid0(VALU_DEP_1) | instskip(NEXT) | instid1(VALU_DEP_1)
	v_mov_b32_e32 v7, v3
	v_pk_add_f32 v[0:1], v[0:1], v[6:7] neg_lo:[0,1] neg_hi:[0,1]
.LBB127_289:
	s_or_b32 exec_lo, exec_lo, s1
	s_delay_alu instid0(SALU_CYCLE_1)
	s_mov_b32 s2, exec_lo
	s_wait_dscnt 0x0
	s_barrier_signal -1
	s_barrier_wait -1
	v_cmpx_eq_u32_e32 32, v18
	s_cbranch_execz .LBB127_296
; %bb.290:
	ds_store_b64 v19, v[194:195]
	ds_store_2addr_b64 v126, v[196:197], v[198:199] offset0:33 offset1:34
	ds_store_2addr_b64 v126, v[200:201], v[202:203] offset0:35 offset1:36
	;; [unrolled: 1-line block ×15, first 2 shown]
	ds_store_b64 v126, v[0:1] offset:504
	ds_load_b64 v[2:3], v19
	s_wait_dscnt 0x0
	v_cmp_neq_f32_e32 vcc_lo, 0, v2
	v_cmp_neq_f32_e64 s1, 0, v3
	s_or_b32 s1, vcc_lo, s1
	s_delay_alu instid0(SALU_CYCLE_1)
	s_and_b32 exec_lo, exec_lo, s1
	s_cbranch_execz .LBB127_296
; %bb.291:
	v_cmp_ngt_f32_e64 s1, |v2|, |v3|
                                        ; implicit-def: $vgpr4_vgpr5
	s_and_saveexec_b32 s4, s1
	s_delay_alu instid0(SALU_CYCLE_1)
	s_xor_b32 s1, exec_lo, s4
	s_cbranch_execz .LBB127_293
; %bb.292:
	v_div_scale_f32 v4, null, v3, v3, v2
	v_div_scale_f32 v7, vcc_lo, v2, v3, v2
	s_delay_alu instid0(VALU_DEP_2) | instskip(SKIP_1) | instid1(TRANS32_DEP_1)
	v_rcp_f32_e32 v5, v4
	v_nop
	v_fma_f32 v6, -v4, v5, 1.0
	s_delay_alu instid0(VALU_DEP_1) | instskip(NEXT) | instid1(VALU_DEP_1)
	v_fmac_f32_e32 v5, v6, v5
	v_mul_f32_e32 v6, v7, v5
	s_delay_alu instid0(VALU_DEP_1) | instskip(NEXT) | instid1(VALU_DEP_1)
	v_fma_f32 v8, -v4, v6, v7
	v_fmac_f32_e32 v6, v8, v5
	s_delay_alu instid0(VALU_DEP_1) | instskip(NEXT) | instid1(VALU_DEP_1)
	v_fma_f32 v4, -v4, v6, v7
	v_div_fmas_f32 v4, v4, v5, v6
	s_delay_alu instid0(VALU_DEP_1) | instskip(NEXT) | instid1(VALU_DEP_1)
	v_div_fixup_f32 v4, v4, v3, v2
	v_fmac_f32_e32 v3, v2, v4
	s_delay_alu instid0(VALU_DEP_1) | instskip(SKIP_1) | instid1(VALU_DEP_2)
	v_div_scale_f32 v2, null, v3, v3, 1.0
	v_div_scale_f32 v7, vcc_lo, 1.0, v3, 1.0
	v_rcp_f32_e32 v5, v2
	v_nop
	s_delay_alu instid0(TRANS32_DEP_1) | instskip(NEXT) | instid1(VALU_DEP_1)
	v_fma_f32 v6, -v2, v5, 1.0
	v_fmac_f32_e32 v5, v6, v5
	s_delay_alu instid0(VALU_DEP_1) | instskip(NEXT) | instid1(VALU_DEP_1)
	v_mul_f32_e32 v6, v7, v5
	v_fma_f32 v8, -v2, v6, v7
	s_delay_alu instid0(VALU_DEP_1) | instskip(NEXT) | instid1(VALU_DEP_1)
	v_fmac_f32_e32 v6, v8, v5
	v_fma_f32 v2, -v2, v6, v7
	s_delay_alu instid0(VALU_DEP_1) | instskip(NEXT) | instid1(VALU_DEP_1)
	v_div_fmas_f32 v2, v2, v5, v6
	v_div_fixup_f32 v2, v2, v3, 1.0
	s_delay_alu instid0(VALU_DEP_1)
	v_mul_f32_e32 v4, v4, v2
	v_xor_b32_e32 v5, 0x80000000, v2
                                        ; implicit-def: $vgpr2_vgpr3
.LBB127_293:
	s_and_not1_saveexec_b32 s1, s1
	s_cbranch_execz .LBB127_295
; %bb.294:
	v_div_scale_f32 v4, null, v2, v2, v3
	v_div_scale_f32 v7, vcc_lo, v3, v2, v3
	s_delay_alu instid0(VALU_DEP_2) | instskip(SKIP_1) | instid1(TRANS32_DEP_1)
	v_rcp_f32_e32 v5, v4
	v_nop
	v_fma_f32 v6, -v4, v5, 1.0
	s_delay_alu instid0(VALU_DEP_1) | instskip(NEXT) | instid1(VALU_DEP_1)
	v_fmac_f32_e32 v5, v6, v5
	v_mul_f32_e32 v6, v7, v5
	s_delay_alu instid0(VALU_DEP_1) | instskip(NEXT) | instid1(VALU_DEP_1)
	v_fma_f32 v8, -v4, v6, v7
	v_fmac_f32_e32 v6, v8, v5
	s_delay_alu instid0(VALU_DEP_1) | instskip(NEXT) | instid1(VALU_DEP_1)
	v_fma_f32 v4, -v4, v6, v7
	v_div_fmas_f32 v4, v4, v5, v6
	s_delay_alu instid0(VALU_DEP_1) | instskip(NEXT) | instid1(VALU_DEP_1)
	v_div_fixup_f32 v5, v4, v2, v3
	v_fmac_f32_e32 v2, v3, v5
	s_delay_alu instid0(VALU_DEP_1) | instskip(NEXT) | instid1(VALU_DEP_1)
	v_div_scale_f32 v3, null, v2, v2, 1.0
	v_rcp_f32_e32 v4, v3
	v_nop
	s_delay_alu instid0(TRANS32_DEP_1) | instskip(NEXT) | instid1(VALU_DEP_1)
	v_fma_f32 v6, -v3, v4, 1.0
	v_fmac_f32_e32 v4, v6, v4
	v_div_scale_f32 v6, vcc_lo, 1.0, v2, 1.0
	s_delay_alu instid0(VALU_DEP_1) | instskip(NEXT) | instid1(VALU_DEP_1)
	v_mul_f32_e32 v7, v6, v4
	v_fma_f32 v8, -v3, v7, v6
	s_delay_alu instid0(VALU_DEP_1) | instskip(NEXT) | instid1(VALU_DEP_1)
	v_fmac_f32_e32 v7, v8, v4
	v_fma_f32 v3, -v3, v7, v6
	s_delay_alu instid0(VALU_DEP_1) | instskip(NEXT) | instid1(VALU_DEP_1)
	v_div_fmas_f32 v3, v3, v4, v7
	v_div_fixup_f32 v4, v3, v2, 1.0
	s_delay_alu instid0(VALU_DEP_1)
	v_mul_f32_e64 v5, v5, -v4
.LBB127_295:
	s_or_b32 exec_lo, exec_lo, s1
	ds_store_b64 v19, v[4:5]
.LBB127_296:
	s_or_b32 exec_lo, exec_lo, s2
	s_wait_dscnt 0x0
	s_barrier_signal -1
	s_barrier_wait -1
	ds_load_b64 v[68:69], v19
	s_mov_b32 s1, exec_lo
	v_cmpx_lt_u32_e32 32, v18
	s_cbranch_execz .LBB127_298
; %bb.297:
	s_wait_dscnt 0x0
	v_pk_mul_f32 v[2:3], v[68:69], v[194:195] op_sel:[1,1] op_sel_hi:[0,1]
	s_delay_alu instid0(VALU_DEP_1)
	v_pk_fma_f32 v[70:71], v[68:69], v[194:195], v[2:3] op_sel_hi:[1,0,1] neg_lo:[0,0,1] neg_hi:[0,0,1]
	v_pk_fma_f32 v[72:73], v[68:69], v[194:195], v[2:3] op_sel_hi:[1,0,1]
	ds_load_2addr_b64 v[2:5], v126 offset0:33 offset1:34
	v_dual_mov_b32 v194, v70 :: v_dual_mov_b32 v195, v73
	s_wait_dscnt 0x0
	v_pk_mul_f32 v[6:7], v[2:3], v[72:73] op_sel:[0,1]
	s_delay_alu instid0(VALU_DEP_1) | instskip(SKIP_1) | instid1(VALU_DEP_1)
	v_pk_fma_f32 v[74:75], v[2:3], v[70:71], v[6:7] op_sel:[0,0,1] op_sel_hi:[1,1,0] neg_lo:[0,0,1] neg_hi:[0,0,1]
	v_pk_fma_f32 v[2:3], v[2:3], v[70:71], v[6:7] op_sel:[0,0,1] op_sel_hi:[1,0,0]
	v_mov_b32_e32 v75, v3
	v_pk_mul_f32 v[2:3], v[4:5], v[72:73] op_sel:[0,1]
	s_delay_alu instid0(VALU_DEP_1) | instskip(SKIP_1) | instid1(VALU_DEP_1)
	v_pk_fma_f32 v[6:7], v[4:5], v[70:71], v[2:3] op_sel:[0,0,1] op_sel_hi:[1,1,0] neg_lo:[0,0,1] neg_hi:[0,0,1]
	v_pk_fma_f32 v[2:3], v[4:5], v[70:71], v[2:3] op_sel:[0,0,1] op_sel_hi:[1,0,0]
	v_mov_b32_e32 v7, v3
	ds_load_2addr_b64 v[2:5], v126 offset0:35 offset1:36
	v_pk_add_f32 v[196:197], v[196:197], v[74:75] neg_lo:[0,1] neg_hi:[0,1]
	v_pk_add_f32 v[198:199], v[198:199], v[6:7] neg_lo:[0,1] neg_hi:[0,1]
	s_wait_dscnt 0x0
	v_pk_mul_f32 v[6:7], v[2:3], v[72:73] op_sel:[0,1]
	s_delay_alu instid0(VALU_DEP_1) | instskip(SKIP_2) | instid1(VALU_DEP_2)
	v_pk_fma_f32 v[74:75], v[2:3], v[70:71], v[6:7] op_sel:[0,0,1] op_sel_hi:[1,1,0] neg_lo:[0,0,1] neg_hi:[0,0,1]
	v_pk_fma_f32 v[2:3], v[2:3], v[70:71], v[6:7] op_sel:[0,0,1] op_sel_hi:[1,0,0]
	v_dual_mul_f32 v6, v5, v73 :: v_dual_mov_b32 v2, v5
	v_dual_mov_b32 v75, v3 :: v_dual_mov_b32 v3, v4
	s_delay_alu instid0(VALU_DEP_2) | instskip(SKIP_1) | instid1(VALU_DEP_3)
	v_pk_fma_f32 v[6:7], v[4:5], v[194:195], v[6:7] op_sel_hi:[1,1,0] neg_lo:[0,0,1] neg_hi:[0,0,1]
	v_mul_f32_e32 v4, v5, v70
	v_pk_add_f32 v[200:201], v[200:201], v[74:75] neg_lo:[0,1] neg_hi:[0,1]
	s_delay_alu instid0(VALU_DEP_2) | instskip(NEXT) | instid1(VALU_DEP_1)
	v_pk_fma_f32 v[2:3], v[2:3], v[194:195], v[4:5] op_sel_hi:[1,1,0]
	v_mov_b32_e32 v7, v3
	ds_load_2addr_b64 v[2:5], v126 offset0:37 offset1:38
	v_pk_add_f32 v[202:203], v[202:203], v[6:7] neg_lo:[0,1] neg_hi:[0,1]
	s_wait_dscnt 0x0
	v_pk_mul_f32 v[6:7], v[2:3], v[72:73] op_sel:[0,1]
	s_delay_alu instid0(VALU_DEP_1) | instskip(SKIP_1) | instid1(VALU_DEP_1)
	v_pk_fma_f32 v[74:75], v[2:3], v[70:71], v[6:7] op_sel:[0,0,1] op_sel_hi:[1,1,0] neg_lo:[0,0,1] neg_hi:[0,0,1]
	v_pk_fma_f32 v[2:3], v[2:3], v[70:71], v[6:7] op_sel:[0,0,1] op_sel_hi:[1,0,0]
	v_mov_b32_e32 v75, v3
	v_pk_mul_f32 v[2:3], v[4:5], v[72:73] op_sel:[0,1]
	s_delay_alu instid0(VALU_DEP_1) | instskip(SKIP_1) | instid1(VALU_DEP_1)
	v_pk_fma_f32 v[6:7], v[4:5], v[70:71], v[2:3] op_sel:[0,0,1] op_sel_hi:[1,1,0] neg_lo:[0,0,1] neg_hi:[0,0,1]
	v_pk_fma_f32 v[2:3], v[4:5], v[70:71], v[2:3] op_sel:[0,0,1] op_sel_hi:[1,0,0]
	v_mov_b32_e32 v7, v3
	ds_load_2addr_b64 v[2:5], v126 offset0:39 offset1:40
	v_pk_add_f32 v[204:205], v[204:205], v[74:75] neg_lo:[0,1] neg_hi:[0,1]
	v_pk_add_f32 v[206:207], v[206:207], v[6:7] neg_lo:[0,1] neg_hi:[0,1]
	s_wait_dscnt 0x0
	v_pk_mul_f32 v[6:7], v[2:3], v[72:73] op_sel:[0,1]
	s_delay_alu instid0(VALU_DEP_1) | instskip(SKIP_1) | instid1(VALU_DEP_1)
	v_pk_fma_f32 v[74:75], v[2:3], v[70:71], v[6:7] op_sel:[0,0,1] op_sel_hi:[1,1,0] neg_lo:[0,0,1] neg_hi:[0,0,1]
	v_pk_fma_f32 v[2:3], v[2:3], v[70:71], v[6:7] op_sel:[0,0,1] op_sel_hi:[1,0,0]
	v_mov_b32_e32 v75, v3
	v_pk_mul_f32 v[2:3], v[4:5], v[72:73] op_sel:[0,1]
	s_delay_alu instid0(VALU_DEP_1) | instskip(SKIP_1) | instid1(VALU_DEP_1)
	v_pk_fma_f32 v[6:7], v[4:5], v[70:71], v[2:3] op_sel:[0,0,1] op_sel_hi:[1,1,0] neg_lo:[0,0,1] neg_hi:[0,0,1]
	v_pk_fma_f32 v[2:3], v[4:5], v[70:71], v[2:3] op_sel:[0,0,1] op_sel_hi:[1,0,0]
	v_mov_b32_e32 v7, v3
	ds_load_2addr_b64 v[2:5], v126 offset0:41 offset1:42
	v_pk_add_f32 v[208:209], v[208:209], v[74:75] neg_lo:[0,1] neg_hi:[0,1]
	v_pk_add_f32 v[210:211], v[210:211], v[6:7] neg_lo:[0,1] neg_hi:[0,1]
	s_wait_dscnt 0x0
	v_dual_mul_f32 v6, v3, v73 :: v_dual_mul_f32 v74, v3, v70
	s_delay_alu instid0(VALU_DEP_1) | instskip(NEXT) | instid1(VALU_DEP_2)
	v_pk_fma_f32 v[6:7], v[2:3], v[194:195], v[6:7] op_sel_hi:[1,1,0] neg_lo:[0,0,1] neg_hi:[0,0,1]
	v_pk_fma_f32 v[2:3], v[2:3], v[194:195], v[74:75] op_sel:[1,0,0] op_sel_hi:[0,1,0]
	s_delay_alu instid0(VALU_DEP_1) | instskip(SKIP_1) | instid1(VALU_DEP_2)
	v_mov_b32_e32 v7, v3
	v_pk_mul_f32 v[2:3], v[4:5], v[72:73] op_sel:[0,1]
	v_pk_add_f32 v[212:213], v[212:213], v[6:7] neg_lo:[0,1] neg_hi:[0,1]
	s_delay_alu instid0(VALU_DEP_2) | instskip(SKIP_1) | instid1(VALU_DEP_1)
	v_pk_fma_f32 v[6:7], v[4:5], v[70:71], v[2:3] op_sel:[0,0,1] op_sel_hi:[1,1,0] neg_lo:[0,0,1] neg_hi:[0,0,1]
	v_pk_fma_f32 v[2:3], v[4:5], v[70:71], v[2:3] op_sel:[0,0,1] op_sel_hi:[1,0,0]
	v_mov_b32_e32 v7, v3
	ds_load_2addr_b64 v[2:5], v126 offset0:43 offset1:44
	v_pk_add_f32 v[214:215], v[214:215], v[6:7] neg_lo:[0,1] neg_hi:[0,1]
	s_wait_dscnt 0x0
	v_pk_mul_f32 v[6:7], v[2:3], v[72:73] op_sel:[0,1]
	s_delay_alu instid0(VALU_DEP_1) | instskip(SKIP_1) | instid1(VALU_DEP_1)
	v_pk_fma_f32 v[74:75], v[2:3], v[70:71], v[6:7] op_sel:[0,0,1] op_sel_hi:[1,1,0] neg_lo:[0,0,1] neg_hi:[0,0,1]
	v_pk_fma_f32 v[2:3], v[2:3], v[70:71], v[6:7] op_sel:[0,0,1] op_sel_hi:[1,0,0]
	v_mov_b32_e32 v75, v3
	v_pk_mul_f32 v[2:3], v[4:5], v[72:73] op_sel:[0,1]
	s_delay_alu instid0(VALU_DEP_2) | instskip(NEXT) | instid1(VALU_DEP_2)
	v_pk_add_f32 v[216:217], v[216:217], v[74:75] neg_lo:[0,1] neg_hi:[0,1]
	v_pk_fma_f32 v[6:7], v[4:5], v[70:71], v[2:3] op_sel:[0,0,1] op_sel_hi:[1,1,0] neg_lo:[0,0,1] neg_hi:[0,0,1]
	v_pk_fma_f32 v[2:3], v[4:5], v[70:71], v[2:3] op_sel:[0,0,1] op_sel_hi:[1,0,0]
	s_delay_alu instid0(VALU_DEP_1) | instskip(SKIP_4) | instid1(VALU_DEP_1)
	v_mov_b32_e32 v7, v3
	ds_load_2addr_b64 v[2:5], v126 offset0:45 offset1:46
	v_pk_add_f32 v[218:219], v[218:219], v[6:7] neg_lo:[0,1] neg_hi:[0,1]
	s_wait_dscnt 0x0
	v_pk_mul_f32 v[6:7], v[2:3], v[72:73] op_sel:[0,1]
	v_pk_fma_f32 v[74:75], v[2:3], v[70:71], v[6:7] op_sel:[0,0,1] op_sel_hi:[1,1,0] neg_lo:[0,0,1] neg_hi:[0,0,1]
	v_pk_fma_f32 v[2:3], v[2:3], v[70:71], v[6:7] op_sel:[0,0,1] op_sel_hi:[1,0,0]
	v_dual_mul_f32 v6, v5, v73 :: v_dual_mov_b32 v2, v5
	s_delay_alu instid0(VALU_DEP_2) | instskip(NEXT) | instid1(VALU_DEP_2)
	v_dual_mov_b32 v75, v3 :: v_dual_mov_b32 v3, v4
	v_pk_fma_f32 v[6:7], v[4:5], v[194:195], v[6:7] op_sel_hi:[1,1,0] neg_lo:[0,0,1] neg_hi:[0,0,1]
	v_mul_f32_e32 v4, v5, v70
	s_delay_alu instid0(VALU_DEP_3) | instskip(NEXT) | instid1(VALU_DEP_2)
	v_pk_add_f32 v[220:221], v[220:221], v[74:75] neg_lo:[0,1] neg_hi:[0,1]
	v_pk_fma_f32 v[2:3], v[2:3], v[194:195], v[4:5] op_sel_hi:[1,1,0]
	s_delay_alu instid0(VALU_DEP_1) | instskip(SKIP_4) | instid1(VALU_DEP_1)
	v_mov_b32_e32 v7, v3
	ds_load_2addr_b64 v[2:5], v126 offset0:47 offset1:48
	v_pk_add_f32 v[222:223], v[222:223], v[6:7] neg_lo:[0,1] neg_hi:[0,1]
	s_wait_dscnt 0x0
	v_pk_mul_f32 v[6:7], v[2:3], v[72:73] op_sel:[0,1]
	v_pk_fma_f32 v[74:75], v[2:3], v[70:71], v[6:7] op_sel:[0,0,1] op_sel_hi:[1,1,0] neg_lo:[0,0,1] neg_hi:[0,0,1]
	v_pk_fma_f32 v[2:3], v[2:3], v[70:71], v[6:7] op_sel:[0,0,1] op_sel_hi:[1,0,0]
	s_delay_alu instid0(VALU_DEP_1) | instskip(SKIP_1) | instid1(VALU_DEP_1)
	v_mov_b32_e32 v75, v3
	v_pk_mul_f32 v[2:3], v[4:5], v[72:73] op_sel:[0,1]
	v_pk_fma_f32 v[6:7], v[4:5], v[70:71], v[2:3] op_sel:[0,0,1] op_sel_hi:[1,1,0] neg_lo:[0,0,1] neg_hi:[0,0,1]
	v_pk_fma_f32 v[2:3], v[4:5], v[70:71], v[2:3] op_sel:[0,0,1] op_sel_hi:[1,0,0]
	s_delay_alu instid0(VALU_DEP_1)
	v_mov_b32_e32 v7, v3
	ds_load_2addr_b64 v[2:5], v126 offset0:49 offset1:50
	v_pk_add_f32 v[224:225], v[224:225], v[74:75] neg_lo:[0,1] neg_hi:[0,1]
	v_pk_add_f32 v[226:227], v[226:227], v[6:7] neg_lo:[0,1] neg_hi:[0,1]
	s_wait_dscnt 0x0
	v_pk_mul_f32 v[6:7], v[2:3], v[72:73] op_sel:[0,1]
	s_delay_alu instid0(VALU_DEP_1) | instskip(SKIP_1) | instid1(VALU_DEP_1)
	v_pk_fma_f32 v[74:75], v[2:3], v[70:71], v[6:7] op_sel:[0,0,1] op_sel_hi:[1,1,0] neg_lo:[0,0,1] neg_hi:[0,0,1]
	v_pk_fma_f32 v[2:3], v[2:3], v[70:71], v[6:7] op_sel:[0,0,1] op_sel_hi:[1,0,0]
	v_mov_b32_e32 v75, v3
	v_pk_mul_f32 v[2:3], v[4:5], v[72:73] op_sel:[0,1]
	s_delay_alu instid0(VALU_DEP_1) | instskip(SKIP_1) | instid1(VALU_DEP_1)
	v_pk_fma_f32 v[6:7], v[4:5], v[70:71], v[2:3] op_sel:[0,0,1] op_sel_hi:[1,1,0] neg_lo:[0,0,1] neg_hi:[0,0,1]
	v_pk_fma_f32 v[2:3], v[4:5], v[70:71], v[2:3] op_sel:[0,0,1] op_sel_hi:[1,0,0]
	v_mov_b32_e32 v7, v3
	ds_load_2addr_b64 v[2:5], v126 offset0:51 offset1:52
	v_pk_add_f32 v[228:229], v[228:229], v[74:75] neg_lo:[0,1] neg_hi:[0,1]
	v_pk_add_f32 v[230:231], v[230:231], v[6:7] neg_lo:[0,1] neg_hi:[0,1]
	s_wait_dscnt 0x0
	v_dual_mul_f32 v6, v3, v73 :: v_dual_mul_f32 v74, v3, v70
	s_delay_alu instid0(VALU_DEP_1) | instskip(NEXT) | instid1(VALU_DEP_2)
	v_pk_fma_f32 v[6:7], v[2:3], v[194:195], v[6:7] op_sel_hi:[1,1,0] neg_lo:[0,0,1] neg_hi:[0,0,1]
	v_pk_fma_f32 v[2:3], v[2:3], v[194:195], v[74:75] op_sel:[1,0,0] op_sel_hi:[0,1,0]
	s_delay_alu instid0(VALU_DEP_1) | instskip(SKIP_1) | instid1(VALU_DEP_2)
	v_mov_b32_e32 v7, v3
	v_pk_mul_f32 v[2:3], v[4:5], v[72:73] op_sel:[0,1]
	v_pk_add_f32 v[232:233], v[232:233], v[6:7] neg_lo:[0,1] neg_hi:[0,1]
	s_delay_alu instid0(VALU_DEP_2) | instskip(SKIP_1) | instid1(VALU_DEP_1)
	v_pk_fma_f32 v[6:7], v[4:5], v[70:71], v[2:3] op_sel:[0,0,1] op_sel_hi:[1,1,0] neg_lo:[0,0,1] neg_hi:[0,0,1]
	v_pk_fma_f32 v[2:3], v[4:5], v[70:71], v[2:3] op_sel:[0,0,1] op_sel_hi:[1,0,0]
	v_mov_b32_e32 v7, v3
	ds_load_2addr_b64 v[2:5], v126 offset0:53 offset1:54
	v_pk_add_f32 v[234:235], v[234:235], v[6:7] neg_lo:[0,1] neg_hi:[0,1]
	s_wait_dscnt 0x0
	v_pk_mul_f32 v[6:7], v[2:3], v[72:73] op_sel:[0,1]
	s_delay_alu instid0(VALU_DEP_1) | instskip(SKIP_1) | instid1(VALU_DEP_1)
	v_pk_fma_f32 v[74:75], v[2:3], v[70:71], v[6:7] op_sel:[0,0,1] op_sel_hi:[1,1,0] neg_lo:[0,0,1] neg_hi:[0,0,1]
	v_pk_fma_f32 v[2:3], v[2:3], v[70:71], v[6:7] op_sel:[0,0,1] op_sel_hi:[1,0,0]
	v_mov_b32_e32 v75, v3
	v_pk_mul_f32 v[2:3], v[4:5], v[72:73] op_sel:[0,1]
	s_delay_alu instid0(VALU_DEP_2) | instskip(NEXT) | instid1(VALU_DEP_2)
	v_pk_add_f32 v[236:237], v[236:237], v[74:75] neg_lo:[0,1] neg_hi:[0,1]
	v_pk_fma_f32 v[6:7], v[4:5], v[70:71], v[2:3] op_sel:[0,0,1] op_sel_hi:[1,1,0] neg_lo:[0,0,1] neg_hi:[0,0,1]
	v_pk_fma_f32 v[2:3], v[4:5], v[70:71], v[2:3] op_sel:[0,0,1] op_sel_hi:[1,0,0]
	s_delay_alu instid0(VALU_DEP_1) | instskip(SKIP_4) | instid1(VALU_DEP_1)
	v_mov_b32_e32 v7, v3
	ds_load_2addr_b64 v[2:5], v126 offset0:55 offset1:56
	v_pk_add_f32 v[238:239], v[238:239], v[6:7] neg_lo:[0,1] neg_hi:[0,1]
	s_wait_dscnt 0x0
	v_pk_mul_f32 v[6:7], v[2:3], v[72:73] op_sel:[0,1]
	v_pk_fma_f32 v[74:75], v[2:3], v[70:71], v[6:7] op_sel:[0,0,1] op_sel_hi:[1,1,0] neg_lo:[0,0,1] neg_hi:[0,0,1]
	v_pk_fma_f32 v[2:3], v[2:3], v[70:71], v[6:7] op_sel:[0,0,1] op_sel_hi:[1,0,0]
	v_dual_mul_f32 v6, v5, v73 :: v_dual_mov_b32 v2, v5
	s_delay_alu instid0(VALU_DEP_2) | instskip(NEXT) | instid1(VALU_DEP_2)
	v_dual_mov_b32 v75, v3 :: v_dual_mov_b32 v3, v4
	v_pk_fma_f32 v[6:7], v[4:5], v[194:195], v[6:7] op_sel_hi:[1,1,0] neg_lo:[0,0,1] neg_hi:[0,0,1]
	v_mul_f32_e32 v4, v5, v70
	s_delay_alu instid0(VALU_DEP_3) | instskip(NEXT) | instid1(VALU_DEP_2)
	v_pk_add_f32 v[240:241], v[240:241], v[74:75] neg_lo:[0,1] neg_hi:[0,1]
	v_pk_fma_f32 v[2:3], v[2:3], v[194:195], v[4:5] op_sel_hi:[1,1,0]
	s_delay_alu instid0(VALU_DEP_1) | instskip(SKIP_4) | instid1(VALU_DEP_1)
	v_mov_b32_e32 v7, v3
	ds_load_2addr_b64 v[2:5], v126 offset0:57 offset1:58
	v_pk_add_f32 v[252:253], v[252:253], v[6:7] neg_lo:[0,1] neg_hi:[0,1]
	s_wait_dscnt 0x0
	v_pk_mul_f32 v[6:7], v[2:3], v[72:73] op_sel:[0,1]
	v_pk_fma_f32 v[74:75], v[2:3], v[70:71], v[6:7] op_sel:[0,0,1] op_sel_hi:[1,1,0] neg_lo:[0,0,1] neg_hi:[0,0,1]
	v_pk_fma_f32 v[2:3], v[2:3], v[70:71], v[6:7] op_sel:[0,0,1] op_sel_hi:[1,0,0]
	s_delay_alu instid0(VALU_DEP_1) | instskip(SKIP_1) | instid1(VALU_DEP_1)
	v_mov_b32_e32 v75, v3
	v_pk_mul_f32 v[2:3], v[4:5], v[72:73] op_sel:[0,1]
	v_pk_fma_f32 v[6:7], v[4:5], v[70:71], v[2:3] op_sel:[0,0,1] op_sel_hi:[1,1,0] neg_lo:[0,0,1] neg_hi:[0,0,1]
	v_pk_fma_f32 v[2:3], v[4:5], v[70:71], v[2:3] op_sel:[0,0,1] op_sel_hi:[1,0,0]
	s_delay_alu instid0(VALU_DEP_1)
	v_mov_b32_e32 v7, v3
	ds_load_2addr_b64 v[2:5], v126 offset0:59 offset1:60
	v_pk_add_f32 v[246:247], v[246:247], v[74:75] neg_lo:[0,1] neg_hi:[0,1]
	v_pk_add_f32 v[250:251], v[250:251], v[6:7] neg_lo:[0,1] neg_hi:[0,1]
	s_wait_dscnt 0x0
	v_pk_mul_f32 v[6:7], v[2:3], v[72:73] op_sel:[0,1]
	s_delay_alu instid0(VALU_DEP_1) | instskip(SKIP_1) | instid1(VALU_DEP_1)
	v_pk_fma_f32 v[74:75], v[2:3], v[70:71], v[6:7] op_sel:[0,0,1] op_sel_hi:[1,1,0] neg_lo:[0,0,1] neg_hi:[0,0,1]
	v_pk_fma_f32 v[2:3], v[2:3], v[70:71], v[6:7] op_sel:[0,0,1] op_sel_hi:[1,0,0]
	v_mov_b32_e32 v75, v3
	v_pk_mul_f32 v[2:3], v[4:5], v[72:73] op_sel:[0,1]
	s_delay_alu instid0(VALU_DEP_1) | instskip(SKIP_1) | instid1(VALU_DEP_1)
	v_pk_fma_f32 v[6:7], v[4:5], v[70:71], v[2:3] op_sel:[0,0,1] op_sel_hi:[1,1,0] neg_lo:[0,0,1] neg_hi:[0,0,1]
	v_pk_fma_f32 v[2:3], v[4:5], v[70:71], v[2:3] op_sel:[0,0,1] op_sel_hi:[1,0,0]
	v_mov_b32_e32 v7, v3
	ds_load_2addr_b64 v[2:5], v126 offset0:61 offset1:62
	v_pk_add_f32 v[244:245], v[244:245], v[74:75] neg_lo:[0,1] neg_hi:[0,1]
	v_pk_add_f32 v[248:249], v[248:249], v[6:7] neg_lo:[0,1] neg_hi:[0,1]
	s_wait_dscnt 0x0
	v_dual_mul_f32 v6, v3, v73 :: v_dual_mul_f32 v74, v3, v70
	s_delay_alu instid0(VALU_DEP_1) | instskip(NEXT) | instid1(VALU_DEP_2)
	v_pk_fma_f32 v[6:7], v[2:3], v[194:195], v[6:7] op_sel_hi:[1,1,0] neg_lo:[0,0,1] neg_hi:[0,0,1]
	v_pk_fma_f32 v[2:3], v[2:3], v[194:195], v[74:75] op_sel:[1,0,0] op_sel_hi:[0,1,0]
	s_delay_alu instid0(VALU_DEP_1) | instskip(SKIP_1) | instid1(VALU_DEP_2)
	v_mov_b32_e32 v7, v3
	v_pk_mul_f32 v[2:3], v[4:5], v[72:73] op_sel:[0,1]
	v_pk_add_f32 v[242:243], v[242:243], v[6:7] neg_lo:[0,1] neg_hi:[0,1]
	s_delay_alu instid0(VALU_DEP_2) | instskip(SKIP_1) | instid1(VALU_DEP_1)
	v_pk_fma_f32 v[6:7], v[4:5], v[70:71], v[2:3] op_sel:[0,0,1] op_sel_hi:[1,1,0] neg_lo:[0,0,1] neg_hi:[0,0,1]
	v_pk_fma_f32 v[2:3], v[4:5], v[70:71], v[2:3] op_sel:[0,0,1] op_sel_hi:[1,0,0]
	v_mov_b32_e32 v7, v3
	ds_load_b64 v[2:3], v126 offset:504
	v_pk_add_f32 v[254:255], v[254:255], v[6:7] neg_lo:[0,1] neg_hi:[0,1]
	s_wait_dscnt 0x0
	v_pk_mul_f32 v[4:5], v[2:3], v[72:73] op_sel:[0,1]
	s_delay_alu instid0(VALU_DEP_1) | instskip(SKIP_1) | instid1(VALU_DEP_1)
	v_pk_fma_f32 v[6:7], v[2:3], v[70:71], v[4:5] op_sel:[0,0,1] op_sel_hi:[1,1,0] neg_lo:[0,0,1] neg_hi:[0,0,1]
	v_pk_fma_f32 v[2:3], v[2:3], v[70:71], v[4:5] op_sel:[0,0,1] op_sel_hi:[1,0,0]
	v_mov_b32_e32 v7, v3
	s_delay_alu instid0(VALU_DEP_1)
	v_pk_add_f32 v[0:1], v[0:1], v[6:7] neg_lo:[0,1] neg_hi:[0,1]
.LBB127_298:
	s_or_b32 exec_lo, exec_lo, s1
	s_delay_alu instid0(SALU_CYCLE_1)
	s_mov_b32 s2, exec_lo
	s_wait_dscnt 0x0
	s_barrier_signal -1
	s_barrier_wait -1
	v_cmpx_eq_u32_e32 33, v18
	s_cbranch_execz .LBB127_305
; %bb.299:
	v_dual_mov_b32 v2, v198 :: v_dual_mov_b32 v3, v199
	v_dual_mov_b32 v4, v200 :: v_dual_mov_b32 v5, v201
	ds_store_b64 v19, v[196:197]
	ds_store_2addr_b64 v126, v[2:3], v[4:5] offset0:34 offset1:35
	v_dual_mov_b32 v2, v202 :: v_dual_mov_b32 v3, v203
	v_dual_mov_b32 v4, v204 :: v_dual_mov_b32 v5, v205
	ds_store_2addr_b64 v126, v[2:3], v[4:5] offset0:36 offset1:37
	v_dual_mov_b32 v2, v206 :: v_dual_mov_b32 v3, v207
	v_dual_mov_b32 v4, v208 :: v_dual_mov_b32 v5, v209
	;; [unrolled: 3-line block ×13, first 2 shown]
	ds_store_2addr_b64 v126, v[2:3], v[4:5] offset0:60 offset1:61
	v_dual_mov_b32 v2, v254 :: v_dual_mov_b32 v3, v255
	ds_store_2addr_b64 v126, v[2:3], v[0:1] offset0:62 offset1:63
	ds_load_b64 v[2:3], v19
	s_wait_dscnt 0x0
	v_cmp_neq_f32_e32 vcc_lo, 0, v2
	v_cmp_neq_f32_e64 s1, 0, v3
	s_or_b32 s1, vcc_lo, s1
	s_delay_alu instid0(SALU_CYCLE_1)
	s_and_b32 exec_lo, exec_lo, s1
	s_cbranch_execz .LBB127_305
; %bb.300:
	v_cmp_ngt_f32_e64 s1, |v2|, |v3|
                                        ; implicit-def: $vgpr4_vgpr5
	s_and_saveexec_b32 s4, s1
	s_delay_alu instid0(SALU_CYCLE_1)
	s_xor_b32 s1, exec_lo, s4
	s_cbranch_execz .LBB127_302
; %bb.301:
	v_div_scale_f32 v4, null, v3, v3, v2
	v_div_scale_f32 v7, vcc_lo, v2, v3, v2
	s_delay_alu instid0(VALU_DEP_2) | instskip(SKIP_1) | instid1(TRANS32_DEP_1)
	v_rcp_f32_e32 v5, v4
	v_nop
	v_fma_f32 v6, -v4, v5, 1.0
	s_delay_alu instid0(VALU_DEP_1) | instskip(NEXT) | instid1(VALU_DEP_1)
	v_fmac_f32_e32 v5, v6, v5
	v_mul_f32_e32 v6, v7, v5
	s_delay_alu instid0(VALU_DEP_1) | instskip(NEXT) | instid1(VALU_DEP_1)
	v_fma_f32 v8, -v4, v6, v7
	v_fmac_f32_e32 v6, v8, v5
	s_delay_alu instid0(VALU_DEP_1) | instskip(NEXT) | instid1(VALU_DEP_1)
	v_fma_f32 v4, -v4, v6, v7
	v_div_fmas_f32 v4, v4, v5, v6
	s_delay_alu instid0(VALU_DEP_1) | instskip(NEXT) | instid1(VALU_DEP_1)
	v_div_fixup_f32 v4, v4, v3, v2
	v_fmac_f32_e32 v3, v2, v4
	s_delay_alu instid0(VALU_DEP_1) | instskip(SKIP_1) | instid1(VALU_DEP_2)
	v_div_scale_f32 v2, null, v3, v3, 1.0
	v_div_scale_f32 v7, vcc_lo, 1.0, v3, 1.0
	v_rcp_f32_e32 v5, v2
	v_nop
	s_delay_alu instid0(TRANS32_DEP_1) | instskip(NEXT) | instid1(VALU_DEP_1)
	v_fma_f32 v6, -v2, v5, 1.0
	v_fmac_f32_e32 v5, v6, v5
	s_delay_alu instid0(VALU_DEP_1) | instskip(NEXT) | instid1(VALU_DEP_1)
	v_mul_f32_e32 v6, v7, v5
	v_fma_f32 v8, -v2, v6, v7
	s_delay_alu instid0(VALU_DEP_1) | instskip(NEXT) | instid1(VALU_DEP_1)
	v_fmac_f32_e32 v6, v8, v5
	v_fma_f32 v2, -v2, v6, v7
	s_delay_alu instid0(VALU_DEP_1) | instskip(NEXT) | instid1(VALU_DEP_1)
	v_div_fmas_f32 v2, v2, v5, v6
	v_div_fixup_f32 v2, v2, v3, 1.0
	s_delay_alu instid0(VALU_DEP_1)
	v_mul_f32_e32 v4, v4, v2
	v_xor_b32_e32 v5, 0x80000000, v2
                                        ; implicit-def: $vgpr2_vgpr3
.LBB127_302:
	s_and_not1_saveexec_b32 s1, s1
	s_cbranch_execz .LBB127_304
; %bb.303:
	v_div_scale_f32 v4, null, v2, v2, v3
	v_div_scale_f32 v7, vcc_lo, v3, v2, v3
	s_delay_alu instid0(VALU_DEP_2) | instskip(SKIP_1) | instid1(TRANS32_DEP_1)
	v_rcp_f32_e32 v5, v4
	v_nop
	v_fma_f32 v6, -v4, v5, 1.0
	s_delay_alu instid0(VALU_DEP_1) | instskip(NEXT) | instid1(VALU_DEP_1)
	v_fmac_f32_e32 v5, v6, v5
	v_mul_f32_e32 v6, v7, v5
	s_delay_alu instid0(VALU_DEP_1) | instskip(NEXT) | instid1(VALU_DEP_1)
	v_fma_f32 v8, -v4, v6, v7
	v_fmac_f32_e32 v6, v8, v5
	s_delay_alu instid0(VALU_DEP_1) | instskip(NEXT) | instid1(VALU_DEP_1)
	v_fma_f32 v4, -v4, v6, v7
	v_div_fmas_f32 v4, v4, v5, v6
	s_delay_alu instid0(VALU_DEP_1) | instskip(NEXT) | instid1(VALU_DEP_1)
	v_div_fixup_f32 v5, v4, v2, v3
	v_fmac_f32_e32 v2, v3, v5
	s_delay_alu instid0(VALU_DEP_1) | instskip(NEXT) | instid1(VALU_DEP_1)
	v_div_scale_f32 v3, null, v2, v2, 1.0
	v_rcp_f32_e32 v4, v3
	v_nop
	s_delay_alu instid0(TRANS32_DEP_1) | instskip(NEXT) | instid1(VALU_DEP_1)
	v_fma_f32 v6, -v3, v4, 1.0
	v_fmac_f32_e32 v4, v6, v4
	v_div_scale_f32 v6, vcc_lo, 1.0, v2, 1.0
	s_delay_alu instid0(VALU_DEP_1) | instskip(NEXT) | instid1(VALU_DEP_1)
	v_mul_f32_e32 v7, v6, v4
	v_fma_f32 v8, -v3, v7, v6
	s_delay_alu instid0(VALU_DEP_1) | instskip(NEXT) | instid1(VALU_DEP_1)
	v_fmac_f32_e32 v7, v8, v4
	v_fma_f32 v3, -v3, v7, v6
	s_delay_alu instid0(VALU_DEP_1) | instskip(NEXT) | instid1(VALU_DEP_1)
	v_div_fmas_f32 v3, v3, v4, v7
	v_div_fixup_f32 v4, v3, v2, 1.0
	s_delay_alu instid0(VALU_DEP_1)
	v_mul_f32_e64 v5, v5, -v4
.LBB127_304:
	s_or_b32 exec_lo, exec_lo, s1
	ds_store_b64 v19, v[4:5]
.LBB127_305:
	s_or_b32 exec_lo, exec_lo, s2
	s_wait_dscnt 0x0
	s_barrier_signal -1
	s_barrier_wait -1
	ds_load_b64 v[70:71], v19
	s_mov_b32 s1, exec_lo
	v_cmpx_lt_u32_e32 33, v18
	s_cbranch_execz .LBB127_307
; %bb.306:
	s_wait_dscnt 0x0
	v_pk_mul_f32 v[2:3], v[70:71], v[196:197] op_sel:[1,1] op_sel_hi:[0,1]
	s_delay_alu instid0(VALU_DEP_1)
	v_pk_fma_f32 v[72:73], v[70:71], v[196:197], v[2:3] op_sel_hi:[1,0,1] neg_lo:[0,0,1] neg_hi:[0,0,1]
	v_pk_fma_f32 v[74:75], v[70:71], v[196:197], v[2:3] op_sel_hi:[1,0,1]
	ds_load_2addr_b64 v[2:5], v126 offset0:34 offset1:35
	v_dual_mov_b32 v196, v72 :: v_dual_mov_b32 v197, v75
	s_wait_dscnt 0x0
	v_pk_mul_f32 v[6:7], v[2:3], v[74:75] op_sel:[0,1]
	s_delay_alu instid0(VALU_DEP_1) | instskip(SKIP_1) | instid1(VALU_DEP_1)
	v_pk_fma_f32 v[76:77], v[2:3], v[72:73], v[6:7] op_sel:[0,0,1] op_sel_hi:[1,1,0] neg_lo:[0,0,1] neg_hi:[0,0,1]
	v_pk_fma_f32 v[2:3], v[2:3], v[72:73], v[6:7] op_sel:[0,0,1] op_sel_hi:[1,0,0]
	v_mov_b32_e32 v77, v3
	v_pk_mul_f32 v[2:3], v[4:5], v[74:75] op_sel:[0,1]
	s_delay_alu instid0(VALU_DEP_1) | instskip(SKIP_1) | instid1(VALU_DEP_1)
	v_pk_fma_f32 v[6:7], v[4:5], v[72:73], v[2:3] op_sel:[0,0,1] op_sel_hi:[1,1,0] neg_lo:[0,0,1] neg_hi:[0,0,1]
	v_pk_fma_f32 v[2:3], v[4:5], v[72:73], v[2:3] op_sel:[0,0,1] op_sel_hi:[1,0,0]
	v_mov_b32_e32 v7, v3
	ds_load_2addr_b64 v[2:5], v126 offset0:36 offset1:37
	v_pk_add_f32 v[198:199], v[198:199], v[76:77] neg_lo:[0,1] neg_hi:[0,1]
	v_pk_add_f32 v[200:201], v[200:201], v[6:7] neg_lo:[0,1] neg_hi:[0,1]
	s_wait_dscnt 0x0
	v_pk_mul_f32 v[6:7], v[2:3], v[74:75] op_sel:[0,1]
	s_delay_alu instid0(VALU_DEP_1) | instskip(SKIP_2) | instid1(VALU_DEP_2)
	v_pk_fma_f32 v[76:77], v[2:3], v[72:73], v[6:7] op_sel:[0,0,1] op_sel_hi:[1,1,0] neg_lo:[0,0,1] neg_hi:[0,0,1]
	v_pk_fma_f32 v[2:3], v[2:3], v[72:73], v[6:7] op_sel:[0,0,1] op_sel_hi:[1,0,0]
	v_dual_mul_f32 v6, v5, v75 :: v_dual_mov_b32 v2, v5
	v_dual_mov_b32 v77, v3 :: v_dual_mov_b32 v3, v4
	s_delay_alu instid0(VALU_DEP_2) | instskip(SKIP_1) | instid1(VALU_DEP_3)
	v_pk_fma_f32 v[6:7], v[4:5], v[196:197], v[6:7] op_sel_hi:[1,1,0] neg_lo:[0,0,1] neg_hi:[0,0,1]
	v_mul_f32_e32 v4, v5, v72
	v_pk_add_f32 v[202:203], v[202:203], v[76:77] neg_lo:[0,1] neg_hi:[0,1]
	s_delay_alu instid0(VALU_DEP_2) | instskip(NEXT) | instid1(VALU_DEP_1)
	v_pk_fma_f32 v[2:3], v[2:3], v[196:197], v[4:5] op_sel_hi:[1,1,0]
	v_mov_b32_e32 v7, v3
	ds_load_2addr_b64 v[2:5], v126 offset0:38 offset1:39
	v_pk_add_f32 v[204:205], v[204:205], v[6:7] neg_lo:[0,1] neg_hi:[0,1]
	s_wait_dscnt 0x0
	v_pk_mul_f32 v[6:7], v[2:3], v[74:75] op_sel:[0,1]
	s_delay_alu instid0(VALU_DEP_1) | instskip(SKIP_1) | instid1(VALU_DEP_1)
	v_pk_fma_f32 v[76:77], v[2:3], v[72:73], v[6:7] op_sel:[0,0,1] op_sel_hi:[1,1,0] neg_lo:[0,0,1] neg_hi:[0,0,1]
	v_pk_fma_f32 v[2:3], v[2:3], v[72:73], v[6:7] op_sel:[0,0,1] op_sel_hi:[1,0,0]
	v_mov_b32_e32 v77, v3
	v_pk_mul_f32 v[2:3], v[4:5], v[74:75] op_sel:[0,1]
	s_delay_alu instid0(VALU_DEP_1) | instskip(SKIP_1) | instid1(VALU_DEP_1)
	v_pk_fma_f32 v[6:7], v[4:5], v[72:73], v[2:3] op_sel:[0,0,1] op_sel_hi:[1,1,0] neg_lo:[0,0,1] neg_hi:[0,0,1]
	v_pk_fma_f32 v[2:3], v[4:5], v[72:73], v[2:3] op_sel:[0,0,1] op_sel_hi:[1,0,0]
	v_mov_b32_e32 v7, v3
	ds_load_2addr_b64 v[2:5], v126 offset0:40 offset1:41
	v_pk_add_f32 v[206:207], v[206:207], v[76:77] neg_lo:[0,1] neg_hi:[0,1]
	v_pk_add_f32 v[208:209], v[208:209], v[6:7] neg_lo:[0,1] neg_hi:[0,1]
	s_wait_dscnt 0x0
	v_pk_mul_f32 v[6:7], v[2:3], v[74:75] op_sel:[0,1]
	s_delay_alu instid0(VALU_DEP_1) | instskip(SKIP_1) | instid1(VALU_DEP_1)
	v_pk_fma_f32 v[76:77], v[2:3], v[72:73], v[6:7] op_sel:[0,0,1] op_sel_hi:[1,1,0] neg_lo:[0,0,1] neg_hi:[0,0,1]
	v_pk_fma_f32 v[2:3], v[2:3], v[72:73], v[6:7] op_sel:[0,0,1] op_sel_hi:[1,0,0]
	v_mov_b32_e32 v77, v3
	v_pk_mul_f32 v[2:3], v[4:5], v[74:75] op_sel:[0,1]
	s_delay_alu instid0(VALU_DEP_1) | instskip(SKIP_1) | instid1(VALU_DEP_1)
	v_pk_fma_f32 v[6:7], v[4:5], v[72:73], v[2:3] op_sel:[0,0,1] op_sel_hi:[1,1,0] neg_lo:[0,0,1] neg_hi:[0,0,1]
	v_pk_fma_f32 v[2:3], v[4:5], v[72:73], v[2:3] op_sel:[0,0,1] op_sel_hi:[1,0,0]
	v_mov_b32_e32 v7, v3
	ds_load_2addr_b64 v[2:5], v126 offset0:42 offset1:43
	v_pk_add_f32 v[210:211], v[210:211], v[76:77] neg_lo:[0,1] neg_hi:[0,1]
	v_pk_add_f32 v[212:213], v[212:213], v[6:7] neg_lo:[0,1] neg_hi:[0,1]
	s_wait_dscnt 0x0
	v_dual_mul_f32 v6, v3, v75 :: v_dual_mul_f32 v76, v3, v72
	s_delay_alu instid0(VALU_DEP_1) | instskip(NEXT) | instid1(VALU_DEP_2)
	v_pk_fma_f32 v[6:7], v[2:3], v[196:197], v[6:7] op_sel_hi:[1,1,0] neg_lo:[0,0,1] neg_hi:[0,0,1]
	v_pk_fma_f32 v[2:3], v[2:3], v[196:197], v[76:77] op_sel:[1,0,0] op_sel_hi:[0,1,0]
	s_delay_alu instid0(VALU_DEP_1) | instskip(SKIP_1) | instid1(VALU_DEP_2)
	v_mov_b32_e32 v7, v3
	v_pk_mul_f32 v[2:3], v[4:5], v[74:75] op_sel:[0,1]
	v_pk_add_f32 v[214:215], v[214:215], v[6:7] neg_lo:[0,1] neg_hi:[0,1]
	s_delay_alu instid0(VALU_DEP_2) | instskip(SKIP_1) | instid1(VALU_DEP_1)
	v_pk_fma_f32 v[6:7], v[4:5], v[72:73], v[2:3] op_sel:[0,0,1] op_sel_hi:[1,1,0] neg_lo:[0,0,1] neg_hi:[0,0,1]
	v_pk_fma_f32 v[2:3], v[4:5], v[72:73], v[2:3] op_sel:[0,0,1] op_sel_hi:[1,0,0]
	v_mov_b32_e32 v7, v3
	ds_load_2addr_b64 v[2:5], v126 offset0:44 offset1:45
	v_pk_add_f32 v[216:217], v[216:217], v[6:7] neg_lo:[0,1] neg_hi:[0,1]
	s_wait_dscnt 0x0
	v_pk_mul_f32 v[6:7], v[2:3], v[74:75] op_sel:[0,1]
	s_delay_alu instid0(VALU_DEP_1) | instskip(SKIP_1) | instid1(VALU_DEP_1)
	v_pk_fma_f32 v[76:77], v[2:3], v[72:73], v[6:7] op_sel:[0,0,1] op_sel_hi:[1,1,0] neg_lo:[0,0,1] neg_hi:[0,0,1]
	v_pk_fma_f32 v[2:3], v[2:3], v[72:73], v[6:7] op_sel:[0,0,1] op_sel_hi:[1,0,0]
	v_mov_b32_e32 v77, v3
	v_pk_mul_f32 v[2:3], v[4:5], v[74:75] op_sel:[0,1]
	s_delay_alu instid0(VALU_DEP_2) | instskip(NEXT) | instid1(VALU_DEP_2)
	v_pk_add_f32 v[218:219], v[218:219], v[76:77] neg_lo:[0,1] neg_hi:[0,1]
	v_pk_fma_f32 v[6:7], v[4:5], v[72:73], v[2:3] op_sel:[0,0,1] op_sel_hi:[1,1,0] neg_lo:[0,0,1] neg_hi:[0,0,1]
	v_pk_fma_f32 v[2:3], v[4:5], v[72:73], v[2:3] op_sel:[0,0,1] op_sel_hi:[1,0,0]
	s_delay_alu instid0(VALU_DEP_1) | instskip(SKIP_4) | instid1(VALU_DEP_1)
	v_mov_b32_e32 v7, v3
	ds_load_2addr_b64 v[2:5], v126 offset0:46 offset1:47
	v_pk_add_f32 v[220:221], v[220:221], v[6:7] neg_lo:[0,1] neg_hi:[0,1]
	s_wait_dscnt 0x0
	v_pk_mul_f32 v[6:7], v[2:3], v[74:75] op_sel:[0,1]
	v_pk_fma_f32 v[76:77], v[2:3], v[72:73], v[6:7] op_sel:[0,0,1] op_sel_hi:[1,1,0] neg_lo:[0,0,1] neg_hi:[0,0,1]
	v_pk_fma_f32 v[2:3], v[2:3], v[72:73], v[6:7] op_sel:[0,0,1] op_sel_hi:[1,0,0]
	v_dual_mul_f32 v6, v5, v75 :: v_dual_mov_b32 v2, v5
	s_delay_alu instid0(VALU_DEP_2) | instskip(NEXT) | instid1(VALU_DEP_2)
	v_dual_mov_b32 v77, v3 :: v_dual_mov_b32 v3, v4
	v_pk_fma_f32 v[6:7], v[4:5], v[196:197], v[6:7] op_sel_hi:[1,1,0] neg_lo:[0,0,1] neg_hi:[0,0,1]
	v_mul_f32_e32 v4, v5, v72
	s_delay_alu instid0(VALU_DEP_3) | instskip(NEXT) | instid1(VALU_DEP_2)
	v_pk_add_f32 v[222:223], v[222:223], v[76:77] neg_lo:[0,1] neg_hi:[0,1]
	v_pk_fma_f32 v[2:3], v[2:3], v[196:197], v[4:5] op_sel_hi:[1,1,0]
	s_delay_alu instid0(VALU_DEP_1) | instskip(SKIP_4) | instid1(VALU_DEP_1)
	v_mov_b32_e32 v7, v3
	ds_load_2addr_b64 v[2:5], v126 offset0:48 offset1:49
	v_pk_add_f32 v[224:225], v[224:225], v[6:7] neg_lo:[0,1] neg_hi:[0,1]
	s_wait_dscnt 0x0
	v_pk_mul_f32 v[6:7], v[2:3], v[74:75] op_sel:[0,1]
	v_pk_fma_f32 v[76:77], v[2:3], v[72:73], v[6:7] op_sel:[0,0,1] op_sel_hi:[1,1,0] neg_lo:[0,0,1] neg_hi:[0,0,1]
	v_pk_fma_f32 v[2:3], v[2:3], v[72:73], v[6:7] op_sel:[0,0,1] op_sel_hi:[1,0,0]
	s_delay_alu instid0(VALU_DEP_1) | instskip(SKIP_1) | instid1(VALU_DEP_1)
	v_mov_b32_e32 v77, v3
	v_pk_mul_f32 v[2:3], v[4:5], v[74:75] op_sel:[0,1]
	v_pk_fma_f32 v[6:7], v[4:5], v[72:73], v[2:3] op_sel:[0,0,1] op_sel_hi:[1,1,0] neg_lo:[0,0,1] neg_hi:[0,0,1]
	v_pk_fma_f32 v[2:3], v[4:5], v[72:73], v[2:3] op_sel:[0,0,1] op_sel_hi:[1,0,0]
	s_delay_alu instid0(VALU_DEP_1)
	v_mov_b32_e32 v7, v3
	ds_load_2addr_b64 v[2:5], v126 offset0:50 offset1:51
	v_pk_add_f32 v[226:227], v[226:227], v[76:77] neg_lo:[0,1] neg_hi:[0,1]
	v_pk_add_f32 v[228:229], v[228:229], v[6:7] neg_lo:[0,1] neg_hi:[0,1]
	s_wait_dscnt 0x0
	v_pk_mul_f32 v[6:7], v[2:3], v[74:75] op_sel:[0,1]
	s_delay_alu instid0(VALU_DEP_1) | instskip(SKIP_1) | instid1(VALU_DEP_1)
	v_pk_fma_f32 v[76:77], v[2:3], v[72:73], v[6:7] op_sel:[0,0,1] op_sel_hi:[1,1,0] neg_lo:[0,0,1] neg_hi:[0,0,1]
	v_pk_fma_f32 v[2:3], v[2:3], v[72:73], v[6:7] op_sel:[0,0,1] op_sel_hi:[1,0,0]
	v_mov_b32_e32 v77, v3
	v_pk_mul_f32 v[2:3], v[4:5], v[74:75] op_sel:[0,1]
	s_delay_alu instid0(VALU_DEP_1) | instskip(SKIP_1) | instid1(VALU_DEP_1)
	v_pk_fma_f32 v[6:7], v[4:5], v[72:73], v[2:3] op_sel:[0,0,1] op_sel_hi:[1,1,0] neg_lo:[0,0,1] neg_hi:[0,0,1]
	v_pk_fma_f32 v[2:3], v[4:5], v[72:73], v[2:3] op_sel:[0,0,1] op_sel_hi:[1,0,0]
	v_mov_b32_e32 v7, v3
	ds_load_2addr_b64 v[2:5], v126 offset0:52 offset1:53
	v_pk_add_f32 v[230:231], v[230:231], v[76:77] neg_lo:[0,1] neg_hi:[0,1]
	v_pk_add_f32 v[232:233], v[232:233], v[6:7] neg_lo:[0,1] neg_hi:[0,1]
	s_wait_dscnt 0x0
	v_dual_mul_f32 v6, v3, v75 :: v_dual_mul_f32 v76, v3, v72
	s_delay_alu instid0(VALU_DEP_1) | instskip(NEXT) | instid1(VALU_DEP_2)
	v_pk_fma_f32 v[6:7], v[2:3], v[196:197], v[6:7] op_sel_hi:[1,1,0] neg_lo:[0,0,1] neg_hi:[0,0,1]
	v_pk_fma_f32 v[2:3], v[2:3], v[196:197], v[76:77] op_sel:[1,0,0] op_sel_hi:[0,1,0]
	s_delay_alu instid0(VALU_DEP_1) | instskip(SKIP_1) | instid1(VALU_DEP_2)
	v_mov_b32_e32 v7, v3
	v_pk_mul_f32 v[2:3], v[4:5], v[74:75] op_sel:[0,1]
	v_pk_add_f32 v[234:235], v[234:235], v[6:7] neg_lo:[0,1] neg_hi:[0,1]
	s_delay_alu instid0(VALU_DEP_2) | instskip(SKIP_1) | instid1(VALU_DEP_1)
	v_pk_fma_f32 v[6:7], v[4:5], v[72:73], v[2:3] op_sel:[0,0,1] op_sel_hi:[1,1,0] neg_lo:[0,0,1] neg_hi:[0,0,1]
	v_pk_fma_f32 v[2:3], v[4:5], v[72:73], v[2:3] op_sel:[0,0,1] op_sel_hi:[1,0,0]
	v_mov_b32_e32 v7, v3
	ds_load_2addr_b64 v[2:5], v126 offset0:54 offset1:55
	v_pk_add_f32 v[236:237], v[236:237], v[6:7] neg_lo:[0,1] neg_hi:[0,1]
	s_wait_dscnt 0x0
	v_pk_mul_f32 v[6:7], v[2:3], v[74:75] op_sel:[0,1]
	s_delay_alu instid0(VALU_DEP_1) | instskip(SKIP_1) | instid1(VALU_DEP_1)
	v_pk_fma_f32 v[76:77], v[2:3], v[72:73], v[6:7] op_sel:[0,0,1] op_sel_hi:[1,1,0] neg_lo:[0,0,1] neg_hi:[0,0,1]
	v_pk_fma_f32 v[2:3], v[2:3], v[72:73], v[6:7] op_sel:[0,0,1] op_sel_hi:[1,0,0]
	v_mov_b32_e32 v77, v3
	v_pk_mul_f32 v[2:3], v[4:5], v[74:75] op_sel:[0,1]
	s_delay_alu instid0(VALU_DEP_2) | instskip(NEXT) | instid1(VALU_DEP_2)
	v_pk_add_f32 v[238:239], v[238:239], v[76:77] neg_lo:[0,1] neg_hi:[0,1]
	v_pk_fma_f32 v[6:7], v[4:5], v[72:73], v[2:3] op_sel:[0,0,1] op_sel_hi:[1,1,0] neg_lo:[0,0,1] neg_hi:[0,0,1]
	v_pk_fma_f32 v[2:3], v[4:5], v[72:73], v[2:3] op_sel:[0,0,1] op_sel_hi:[1,0,0]
	s_delay_alu instid0(VALU_DEP_1) | instskip(SKIP_4) | instid1(VALU_DEP_1)
	v_mov_b32_e32 v7, v3
	ds_load_2addr_b64 v[2:5], v126 offset0:56 offset1:57
	v_pk_add_f32 v[240:241], v[240:241], v[6:7] neg_lo:[0,1] neg_hi:[0,1]
	s_wait_dscnt 0x0
	v_pk_mul_f32 v[6:7], v[2:3], v[74:75] op_sel:[0,1]
	v_pk_fma_f32 v[76:77], v[2:3], v[72:73], v[6:7] op_sel:[0,0,1] op_sel_hi:[1,1,0] neg_lo:[0,0,1] neg_hi:[0,0,1]
	v_pk_fma_f32 v[2:3], v[2:3], v[72:73], v[6:7] op_sel:[0,0,1] op_sel_hi:[1,0,0]
	v_dual_mul_f32 v6, v5, v75 :: v_dual_mov_b32 v2, v5
	s_delay_alu instid0(VALU_DEP_2) | instskip(NEXT) | instid1(VALU_DEP_2)
	v_dual_mov_b32 v77, v3 :: v_dual_mov_b32 v3, v4
	v_pk_fma_f32 v[6:7], v[4:5], v[196:197], v[6:7] op_sel_hi:[1,1,0] neg_lo:[0,0,1] neg_hi:[0,0,1]
	v_mul_f32_e32 v4, v5, v72
	s_delay_alu instid0(VALU_DEP_3) | instskip(NEXT) | instid1(VALU_DEP_2)
	v_pk_add_f32 v[252:253], v[252:253], v[76:77] neg_lo:[0,1] neg_hi:[0,1]
	v_pk_fma_f32 v[2:3], v[2:3], v[196:197], v[4:5] op_sel_hi:[1,1,0]
	s_delay_alu instid0(VALU_DEP_1) | instskip(SKIP_4) | instid1(VALU_DEP_1)
	v_mov_b32_e32 v7, v3
	ds_load_2addr_b64 v[2:5], v126 offset0:58 offset1:59
	v_pk_add_f32 v[246:247], v[246:247], v[6:7] neg_lo:[0,1] neg_hi:[0,1]
	s_wait_dscnt 0x0
	v_pk_mul_f32 v[6:7], v[2:3], v[74:75] op_sel:[0,1]
	v_pk_fma_f32 v[76:77], v[2:3], v[72:73], v[6:7] op_sel:[0,0,1] op_sel_hi:[1,1,0] neg_lo:[0,0,1] neg_hi:[0,0,1]
	v_pk_fma_f32 v[2:3], v[2:3], v[72:73], v[6:7] op_sel:[0,0,1] op_sel_hi:[1,0,0]
	s_delay_alu instid0(VALU_DEP_1) | instskip(SKIP_1) | instid1(VALU_DEP_1)
	v_mov_b32_e32 v77, v3
	v_pk_mul_f32 v[2:3], v[4:5], v[74:75] op_sel:[0,1]
	v_pk_fma_f32 v[6:7], v[4:5], v[72:73], v[2:3] op_sel:[0,0,1] op_sel_hi:[1,1,0] neg_lo:[0,0,1] neg_hi:[0,0,1]
	v_pk_fma_f32 v[2:3], v[4:5], v[72:73], v[2:3] op_sel:[0,0,1] op_sel_hi:[1,0,0]
	s_delay_alu instid0(VALU_DEP_1)
	v_mov_b32_e32 v7, v3
	ds_load_2addr_b64 v[2:5], v126 offset0:60 offset1:61
	v_pk_add_f32 v[250:251], v[250:251], v[76:77] neg_lo:[0,1] neg_hi:[0,1]
	v_pk_add_f32 v[244:245], v[244:245], v[6:7] neg_lo:[0,1] neg_hi:[0,1]
	s_wait_dscnt 0x0
	v_pk_mul_f32 v[6:7], v[2:3], v[74:75] op_sel:[0,1]
	s_delay_alu instid0(VALU_DEP_1) | instskip(SKIP_1) | instid1(VALU_DEP_1)
	v_pk_fma_f32 v[76:77], v[2:3], v[72:73], v[6:7] op_sel:[0,0,1] op_sel_hi:[1,1,0] neg_lo:[0,0,1] neg_hi:[0,0,1]
	v_pk_fma_f32 v[2:3], v[2:3], v[72:73], v[6:7] op_sel:[0,0,1] op_sel_hi:[1,0,0]
	v_mov_b32_e32 v77, v3
	v_pk_mul_f32 v[2:3], v[4:5], v[74:75] op_sel:[0,1]
	s_delay_alu instid0(VALU_DEP_1) | instskip(SKIP_1) | instid1(VALU_DEP_1)
	v_pk_fma_f32 v[6:7], v[4:5], v[72:73], v[2:3] op_sel:[0,0,1] op_sel_hi:[1,1,0] neg_lo:[0,0,1] neg_hi:[0,0,1]
	v_pk_fma_f32 v[2:3], v[4:5], v[72:73], v[2:3] op_sel:[0,0,1] op_sel_hi:[1,0,0]
	v_mov_b32_e32 v7, v3
	ds_load_2addr_b64 v[2:5], v126 offset0:62 offset1:63
	v_pk_add_f32 v[248:249], v[248:249], v[76:77] neg_lo:[0,1] neg_hi:[0,1]
	v_pk_add_f32 v[242:243], v[242:243], v[6:7] neg_lo:[0,1] neg_hi:[0,1]
	s_wait_dscnt 0x0
	v_dual_mul_f32 v6, v3, v75 :: v_dual_mul_f32 v74, v3, v72
	s_delay_alu instid0(VALU_DEP_1) | instskip(NEXT) | instid1(VALU_DEP_2)
	v_pk_fma_f32 v[6:7], v[2:3], v[196:197], v[6:7] op_sel_hi:[1,1,0] neg_lo:[0,0,1] neg_hi:[0,0,1]
	v_pk_fma_f32 v[2:3], v[2:3], v[196:197], v[74:75] op_sel:[1,0,0] op_sel_hi:[0,1,0]
	s_delay_alu instid0(VALU_DEP_1) | instskip(SKIP_1) | instid1(VALU_DEP_2)
	v_dual_mov_b32 v2, v5 :: v_dual_mov_b32 v7, v3
	v_mov_b32_e32 v3, v4
	v_pk_add_f32 v[254:255], v[254:255], v[6:7] neg_lo:[0,1] neg_hi:[0,1]
	v_mul_f32_e32 v6, v5, v75
	s_delay_alu instid0(VALU_DEP_1) | instskip(SKIP_1) | instid1(VALU_DEP_1)
	v_pk_fma_f32 v[6:7], v[4:5], v[196:197], v[6:7] op_sel_hi:[1,1,0] neg_lo:[0,0,1] neg_hi:[0,0,1]
	v_mul_f32_e32 v4, v5, v72
	v_pk_fma_f32 v[2:3], v[2:3], v[196:197], v[4:5] op_sel_hi:[1,1,0]
	s_delay_alu instid0(VALU_DEP_1) | instskip(NEXT) | instid1(VALU_DEP_1)
	v_mov_b32_e32 v7, v3
	v_pk_add_f32 v[0:1], v[0:1], v[6:7] neg_lo:[0,1] neg_hi:[0,1]
.LBB127_307:
	s_or_b32 exec_lo, exec_lo, s1
	s_delay_alu instid0(SALU_CYCLE_1)
	s_mov_b32 s2, exec_lo
	s_wait_dscnt 0x0
	s_barrier_signal -1
	s_barrier_wait -1
	v_cmpx_eq_u32_e32 34, v18
	s_cbranch_execz .LBB127_314
; %bb.308:
	ds_store_b64 v19, v[198:199]
	ds_store_2addr_b64 v126, v[200:201], v[202:203] offset0:35 offset1:36
	ds_store_2addr_b64 v126, v[204:205], v[206:207] offset0:37 offset1:38
	;; [unrolled: 1-line block ×14, first 2 shown]
	ds_store_b64 v126, v[0:1] offset:504
	ds_load_b64 v[2:3], v19
	s_wait_dscnt 0x0
	v_cmp_neq_f32_e32 vcc_lo, 0, v2
	v_cmp_neq_f32_e64 s1, 0, v3
	s_or_b32 s1, vcc_lo, s1
	s_delay_alu instid0(SALU_CYCLE_1)
	s_and_b32 exec_lo, exec_lo, s1
	s_cbranch_execz .LBB127_314
; %bb.309:
	v_cmp_ngt_f32_e64 s1, |v2|, |v3|
                                        ; implicit-def: $vgpr4_vgpr5
	s_and_saveexec_b32 s4, s1
	s_delay_alu instid0(SALU_CYCLE_1)
	s_xor_b32 s1, exec_lo, s4
	s_cbranch_execz .LBB127_311
; %bb.310:
	v_div_scale_f32 v4, null, v3, v3, v2
	v_div_scale_f32 v7, vcc_lo, v2, v3, v2
	s_delay_alu instid0(VALU_DEP_2) | instskip(SKIP_1) | instid1(TRANS32_DEP_1)
	v_rcp_f32_e32 v5, v4
	v_nop
	v_fma_f32 v6, -v4, v5, 1.0
	s_delay_alu instid0(VALU_DEP_1) | instskip(NEXT) | instid1(VALU_DEP_1)
	v_fmac_f32_e32 v5, v6, v5
	v_mul_f32_e32 v6, v7, v5
	s_delay_alu instid0(VALU_DEP_1) | instskip(NEXT) | instid1(VALU_DEP_1)
	v_fma_f32 v8, -v4, v6, v7
	v_fmac_f32_e32 v6, v8, v5
	s_delay_alu instid0(VALU_DEP_1) | instskip(NEXT) | instid1(VALU_DEP_1)
	v_fma_f32 v4, -v4, v6, v7
	v_div_fmas_f32 v4, v4, v5, v6
	s_delay_alu instid0(VALU_DEP_1) | instskip(NEXT) | instid1(VALU_DEP_1)
	v_div_fixup_f32 v4, v4, v3, v2
	v_fmac_f32_e32 v3, v2, v4
	s_delay_alu instid0(VALU_DEP_1) | instskip(SKIP_1) | instid1(VALU_DEP_2)
	v_div_scale_f32 v2, null, v3, v3, 1.0
	v_div_scale_f32 v7, vcc_lo, 1.0, v3, 1.0
	v_rcp_f32_e32 v5, v2
	v_nop
	s_delay_alu instid0(TRANS32_DEP_1) | instskip(NEXT) | instid1(VALU_DEP_1)
	v_fma_f32 v6, -v2, v5, 1.0
	v_fmac_f32_e32 v5, v6, v5
	s_delay_alu instid0(VALU_DEP_1) | instskip(NEXT) | instid1(VALU_DEP_1)
	v_mul_f32_e32 v6, v7, v5
	v_fma_f32 v8, -v2, v6, v7
	s_delay_alu instid0(VALU_DEP_1) | instskip(NEXT) | instid1(VALU_DEP_1)
	v_fmac_f32_e32 v6, v8, v5
	v_fma_f32 v2, -v2, v6, v7
	s_delay_alu instid0(VALU_DEP_1) | instskip(NEXT) | instid1(VALU_DEP_1)
	v_div_fmas_f32 v2, v2, v5, v6
	v_div_fixup_f32 v2, v2, v3, 1.0
	s_delay_alu instid0(VALU_DEP_1)
	v_mul_f32_e32 v4, v4, v2
	v_xor_b32_e32 v5, 0x80000000, v2
                                        ; implicit-def: $vgpr2_vgpr3
.LBB127_311:
	s_and_not1_saveexec_b32 s1, s1
	s_cbranch_execz .LBB127_313
; %bb.312:
	v_div_scale_f32 v4, null, v2, v2, v3
	v_div_scale_f32 v7, vcc_lo, v3, v2, v3
	s_delay_alu instid0(VALU_DEP_2) | instskip(SKIP_1) | instid1(TRANS32_DEP_1)
	v_rcp_f32_e32 v5, v4
	v_nop
	v_fma_f32 v6, -v4, v5, 1.0
	s_delay_alu instid0(VALU_DEP_1) | instskip(NEXT) | instid1(VALU_DEP_1)
	v_fmac_f32_e32 v5, v6, v5
	v_mul_f32_e32 v6, v7, v5
	s_delay_alu instid0(VALU_DEP_1) | instskip(NEXT) | instid1(VALU_DEP_1)
	v_fma_f32 v8, -v4, v6, v7
	v_fmac_f32_e32 v6, v8, v5
	s_delay_alu instid0(VALU_DEP_1) | instskip(NEXT) | instid1(VALU_DEP_1)
	v_fma_f32 v4, -v4, v6, v7
	v_div_fmas_f32 v4, v4, v5, v6
	s_delay_alu instid0(VALU_DEP_1) | instskip(NEXT) | instid1(VALU_DEP_1)
	v_div_fixup_f32 v5, v4, v2, v3
	v_fmac_f32_e32 v2, v3, v5
	s_delay_alu instid0(VALU_DEP_1) | instskip(NEXT) | instid1(VALU_DEP_1)
	v_div_scale_f32 v3, null, v2, v2, 1.0
	v_rcp_f32_e32 v4, v3
	v_nop
	s_delay_alu instid0(TRANS32_DEP_1) | instskip(NEXT) | instid1(VALU_DEP_1)
	v_fma_f32 v6, -v3, v4, 1.0
	v_fmac_f32_e32 v4, v6, v4
	v_div_scale_f32 v6, vcc_lo, 1.0, v2, 1.0
	s_delay_alu instid0(VALU_DEP_1) | instskip(NEXT) | instid1(VALU_DEP_1)
	v_mul_f32_e32 v7, v6, v4
	v_fma_f32 v8, -v3, v7, v6
	s_delay_alu instid0(VALU_DEP_1) | instskip(NEXT) | instid1(VALU_DEP_1)
	v_fmac_f32_e32 v7, v8, v4
	v_fma_f32 v3, -v3, v7, v6
	s_delay_alu instid0(VALU_DEP_1) | instskip(NEXT) | instid1(VALU_DEP_1)
	v_div_fmas_f32 v3, v3, v4, v7
	v_div_fixup_f32 v4, v3, v2, 1.0
	s_delay_alu instid0(VALU_DEP_1)
	v_mul_f32_e64 v5, v5, -v4
.LBB127_313:
	s_or_b32 exec_lo, exec_lo, s1
	ds_store_b64 v19, v[4:5]
.LBB127_314:
	s_or_b32 exec_lo, exec_lo, s2
	s_wait_dscnt 0x0
	s_barrier_signal -1
	s_barrier_wait -1
	ds_load_b64 v[72:73], v19
	s_mov_b32 s1, exec_lo
	v_cmpx_lt_u32_e32 34, v18
	s_cbranch_execz .LBB127_316
; %bb.315:
	s_wait_dscnt 0x0
	v_pk_mul_f32 v[2:3], v[72:73], v[198:199] op_sel:[1,1] op_sel_hi:[0,1]
	s_delay_alu instid0(VALU_DEP_1)
	v_pk_fma_f32 v[74:75], v[72:73], v[198:199], v[2:3] op_sel_hi:[1,0,1] neg_lo:[0,0,1] neg_hi:[0,0,1]
	v_pk_fma_f32 v[76:77], v[72:73], v[198:199], v[2:3] op_sel_hi:[1,0,1]
	ds_load_2addr_b64 v[2:5], v126 offset0:35 offset1:36
	v_dual_mov_b32 v198, v74 :: v_dual_mov_b32 v199, v77
	s_wait_dscnt 0x0
	v_pk_mul_f32 v[6:7], v[2:3], v[76:77] op_sel:[0,1]
	s_delay_alu instid0(VALU_DEP_1) | instskip(SKIP_1) | instid1(VALU_DEP_1)
	v_pk_fma_f32 v[78:79], v[2:3], v[74:75], v[6:7] op_sel:[0,0,1] op_sel_hi:[1,1,0] neg_lo:[0,0,1] neg_hi:[0,0,1]
	v_pk_fma_f32 v[2:3], v[2:3], v[74:75], v[6:7] op_sel:[0,0,1] op_sel_hi:[1,0,0]
	v_mov_b32_e32 v79, v3
	v_pk_mul_f32 v[2:3], v[4:5], v[76:77] op_sel:[0,1]
	s_delay_alu instid0(VALU_DEP_1) | instskip(SKIP_1) | instid1(VALU_DEP_1)
	v_pk_fma_f32 v[6:7], v[4:5], v[74:75], v[2:3] op_sel:[0,0,1] op_sel_hi:[1,1,0] neg_lo:[0,0,1] neg_hi:[0,0,1]
	v_pk_fma_f32 v[2:3], v[4:5], v[74:75], v[2:3] op_sel:[0,0,1] op_sel_hi:[1,0,0]
	v_mov_b32_e32 v7, v3
	ds_load_2addr_b64 v[2:5], v126 offset0:37 offset1:38
	v_pk_add_f32 v[200:201], v[200:201], v[78:79] neg_lo:[0,1] neg_hi:[0,1]
	v_pk_add_f32 v[202:203], v[202:203], v[6:7] neg_lo:[0,1] neg_hi:[0,1]
	s_wait_dscnt 0x0
	v_pk_mul_f32 v[6:7], v[2:3], v[76:77] op_sel:[0,1]
	s_delay_alu instid0(VALU_DEP_1) | instskip(SKIP_2) | instid1(VALU_DEP_2)
	v_pk_fma_f32 v[78:79], v[2:3], v[74:75], v[6:7] op_sel:[0,0,1] op_sel_hi:[1,1,0] neg_lo:[0,0,1] neg_hi:[0,0,1]
	v_pk_fma_f32 v[2:3], v[2:3], v[74:75], v[6:7] op_sel:[0,0,1] op_sel_hi:[1,0,0]
	v_dual_mul_f32 v6, v5, v77 :: v_dual_mov_b32 v2, v5
	v_dual_mov_b32 v79, v3 :: v_dual_mov_b32 v3, v4
	s_delay_alu instid0(VALU_DEP_2) | instskip(SKIP_1) | instid1(VALU_DEP_3)
	v_pk_fma_f32 v[6:7], v[4:5], v[198:199], v[6:7] op_sel_hi:[1,1,0] neg_lo:[0,0,1] neg_hi:[0,0,1]
	v_mul_f32_e32 v4, v5, v74
	v_pk_add_f32 v[204:205], v[204:205], v[78:79] neg_lo:[0,1] neg_hi:[0,1]
	s_delay_alu instid0(VALU_DEP_2) | instskip(NEXT) | instid1(VALU_DEP_1)
	v_pk_fma_f32 v[2:3], v[2:3], v[198:199], v[4:5] op_sel_hi:[1,1,0]
	v_mov_b32_e32 v7, v3
	ds_load_2addr_b64 v[2:5], v126 offset0:39 offset1:40
	v_pk_add_f32 v[206:207], v[206:207], v[6:7] neg_lo:[0,1] neg_hi:[0,1]
	s_wait_dscnt 0x0
	v_pk_mul_f32 v[6:7], v[2:3], v[76:77] op_sel:[0,1]
	s_delay_alu instid0(VALU_DEP_1) | instskip(SKIP_1) | instid1(VALU_DEP_1)
	v_pk_fma_f32 v[78:79], v[2:3], v[74:75], v[6:7] op_sel:[0,0,1] op_sel_hi:[1,1,0] neg_lo:[0,0,1] neg_hi:[0,0,1]
	v_pk_fma_f32 v[2:3], v[2:3], v[74:75], v[6:7] op_sel:[0,0,1] op_sel_hi:[1,0,0]
	v_mov_b32_e32 v79, v3
	v_pk_mul_f32 v[2:3], v[4:5], v[76:77] op_sel:[0,1]
	s_delay_alu instid0(VALU_DEP_1) | instskip(SKIP_1) | instid1(VALU_DEP_1)
	v_pk_fma_f32 v[6:7], v[4:5], v[74:75], v[2:3] op_sel:[0,0,1] op_sel_hi:[1,1,0] neg_lo:[0,0,1] neg_hi:[0,0,1]
	v_pk_fma_f32 v[2:3], v[4:5], v[74:75], v[2:3] op_sel:[0,0,1] op_sel_hi:[1,0,0]
	v_mov_b32_e32 v7, v3
	ds_load_2addr_b64 v[2:5], v126 offset0:41 offset1:42
	v_pk_add_f32 v[208:209], v[208:209], v[78:79] neg_lo:[0,1] neg_hi:[0,1]
	v_pk_add_f32 v[210:211], v[210:211], v[6:7] neg_lo:[0,1] neg_hi:[0,1]
	s_wait_dscnt 0x0
	v_pk_mul_f32 v[6:7], v[2:3], v[76:77] op_sel:[0,1]
	s_delay_alu instid0(VALU_DEP_1) | instskip(SKIP_1) | instid1(VALU_DEP_1)
	v_pk_fma_f32 v[78:79], v[2:3], v[74:75], v[6:7] op_sel:[0,0,1] op_sel_hi:[1,1,0] neg_lo:[0,0,1] neg_hi:[0,0,1]
	v_pk_fma_f32 v[2:3], v[2:3], v[74:75], v[6:7] op_sel:[0,0,1] op_sel_hi:[1,0,0]
	v_mov_b32_e32 v79, v3
	v_pk_mul_f32 v[2:3], v[4:5], v[76:77] op_sel:[0,1]
	s_delay_alu instid0(VALU_DEP_1) | instskip(SKIP_1) | instid1(VALU_DEP_1)
	v_pk_fma_f32 v[6:7], v[4:5], v[74:75], v[2:3] op_sel:[0,0,1] op_sel_hi:[1,1,0] neg_lo:[0,0,1] neg_hi:[0,0,1]
	v_pk_fma_f32 v[2:3], v[4:5], v[74:75], v[2:3] op_sel:[0,0,1] op_sel_hi:[1,0,0]
	v_mov_b32_e32 v7, v3
	ds_load_2addr_b64 v[2:5], v126 offset0:43 offset1:44
	v_pk_add_f32 v[212:213], v[212:213], v[78:79] neg_lo:[0,1] neg_hi:[0,1]
	v_pk_add_f32 v[214:215], v[214:215], v[6:7] neg_lo:[0,1] neg_hi:[0,1]
	s_wait_dscnt 0x0
	v_dual_mul_f32 v6, v3, v77 :: v_dual_mul_f32 v78, v3, v74
	s_delay_alu instid0(VALU_DEP_1) | instskip(NEXT) | instid1(VALU_DEP_2)
	v_pk_fma_f32 v[6:7], v[2:3], v[198:199], v[6:7] op_sel_hi:[1,1,0] neg_lo:[0,0,1] neg_hi:[0,0,1]
	v_pk_fma_f32 v[2:3], v[2:3], v[198:199], v[78:79] op_sel:[1,0,0] op_sel_hi:[0,1,0]
	s_delay_alu instid0(VALU_DEP_1) | instskip(SKIP_1) | instid1(VALU_DEP_2)
	v_mov_b32_e32 v7, v3
	v_pk_mul_f32 v[2:3], v[4:5], v[76:77] op_sel:[0,1]
	v_pk_add_f32 v[216:217], v[216:217], v[6:7] neg_lo:[0,1] neg_hi:[0,1]
	s_delay_alu instid0(VALU_DEP_2) | instskip(SKIP_1) | instid1(VALU_DEP_1)
	v_pk_fma_f32 v[6:7], v[4:5], v[74:75], v[2:3] op_sel:[0,0,1] op_sel_hi:[1,1,0] neg_lo:[0,0,1] neg_hi:[0,0,1]
	v_pk_fma_f32 v[2:3], v[4:5], v[74:75], v[2:3] op_sel:[0,0,1] op_sel_hi:[1,0,0]
	v_mov_b32_e32 v7, v3
	ds_load_2addr_b64 v[2:5], v126 offset0:45 offset1:46
	v_pk_add_f32 v[218:219], v[218:219], v[6:7] neg_lo:[0,1] neg_hi:[0,1]
	s_wait_dscnt 0x0
	v_pk_mul_f32 v[6:7], v[2:3], v[76:77] op_sel:[0,1]
	s_delay_alu instid0(VALU_DEP_1) | instskip(SKIP_1) | instid1(VALU_DEP_1)
	v_pk_fma_f32 v[78:79], v[2:3], v[74:75], v[6:7] op_sel:[0,0,1] op_sel_hi:[1,1,0] neg_lo:[0,0,1] neg_hi:[0,0,1]
	v_pk_fma_f32 v[2:3], v[2:3], v[74:75], v[6:7] op_sel:[0,0,1] op_sel_hi:[1,0,0]
	v_mov_b32_e32 v79, v3
	v_pk_mul_f32 v[2:3], v[4:5], v[76:77] op_sel:[0,1]
	s_delay_alu instid0(VALU_DEP_2) | instskip(NEXT) | instid1(VALU_DEP_2)
	v_pk_add_f32 v[220:221], v[220:221], v[78:79] neg_lo:[0,1] neg_hi:[0,1]
	v_pk_fma_f32 v[6:7], v[4:5], v[74:75], v[2:3] op_sel:[0,0,1] op_sel_hi:[1,1,0] neg_lo:[0,0,1] neg_hi:[0,0,1]
	v_pk_fma_f32 v[2:3], v[4:5], v[74:75], v[2:3] op_sel:[0,0,1] op_sel_hi:[1,0,0]
	s_delay_alu instid0(VALU_DEP_1) | instskip(SKIP_4) | instid1(VALU_DEP_1)
	v_mov_b32_e32 v7, v3
	ds_load_2addr_b64 v[2:5], v126 offset0:47 offset1:48
	v_pk_add_f32 v[222:223], v[222:223], v[6:7] neg_lo:[0,1] neg_hi:[0,1]
	s_wait_dscnt 0x0
	v_pk_mul_f32 v[6:7], v[2:3], v[76:77] op_sel:[0,1]
	v_pk_fma_f32 v[78:79], v[2:3], v[74:75], v[6:7] op_sel:[0,0,1] op_sel_hi:[1,1,0] neg_lo:[0,0,1] neg_hi:[0,0,1]
	v_pk_fma_f32 v[2:3], v[2:3], v[74:75], v[6:7] op_sel:[0,0,1] op_sel_hi:[1,0,0]
	v_dual_mul_f32 v6, v5, v77 :: v_dual_mov_b32 v2, v5
	s_delay_alu instid0(VALU_DEP_2) | instskip(NEXT) | instid1(VALU_DEP_2)
	v_dual_mov_b32 v79, v3 :: v_dual_mov_b32 v3, v4
	v_pk_fma_f32 v[6:7], v[4:5], v[198:199], v[6:7] op_sel_hi:[1,1,0] neg_lo:[0,0,1] neg_hi:[0,0,1]
	v_mul_f32_e32 v4, v5, v74
	s_delay_alu instid0(VALU_DEP_3) | instskip(NEXT) | instid1(VALU_DEP_2)
	v_pk_add_f32 v[224:225], v[224:225], v[78:79] neg_lo:[0,1] neg_hi:[0,1]
	v_pk_fma_f32 v[2:3], v[2:3], v[198:199], v[4:5] op_sel_hi:[1,1,0]
	s_delay_alu instid0(VALU_DEP_1) | instskip(SKIP_4) | instid1(VALU_DEP_1)
	v_mov_b32_e32 v7, v3
	ds_load_2addr_b64 v[2:5], v126 offset0:49 offset1:50
	v_pk_add_f32 v[226:227], v[226:227], v[6:7] neg_lo:[0,1] neg_hi:[0,1]
	s_wait_dscnt 0x0
	v_pk_mul_f32 v[6:7], v[2:3], v[76:77] op_sel:[0,1]
	v_pk_fma_f32 v[78:79], v[2:3], v[74:75], v[6:7] op_sel:[0,0,1] op_sel_hi:[1,1,0] neg_lo:[0,0,1] neg_hi:[0,0,1]
	v_pk_fma_f32 v[2:3], v[2:3], v[74:75], v[6:7] op_sel:[0,0,1] op_sel_hi:[1,0,0]
	s_delay_alu instid0(VALU_DEP_1) | instskip(SKIP_1) | instid1(VALU_DEP_1)
	v_mov_b32_e32 v79, v3
	v_pk_mul_f32 v[2:3], v[4:5], v[76:77] op_sel:[0,1]
	v_pk_fma_f32 v[6:7], v[4:5], v[74:75], v[2:3] op_sel:[0,0,1] op_sel_hi:[1,1,0] neg_lo:[0,0,1] neg_hi:[0,0,1]
	v_pk_fma_f32 v[2:3], v[4:5], v[74:75], v[2:3] op_sel:[0,0,1] op_sel_hi:[1,0,0]
	s_delay_alu instid0(VALU_DEP_1)
	v_mov_b32_e32 v7, v3
	ds_load_2addr_b64 v[2:5], v126 offset0:51 offset1:52
	v_pk_add_f32 v[228:229], v[228:229], v[78:79] neg_lo:[0,1] neg_hi:[0,1]
	v_pk_add_f32 v[230:231], v[230:231], v[6:7] neg_lo:[0,1] neg_hi:[0,1]
	s_wait_dscnt 0x0
	v_pk_mul_f32 v[6:7], v[2:3], v[76:77] op_sel:[0,1]
	s_delay_alu instid0(VALU_DEP_1) | instskip(SKIP_1) | instid1(VALU_DEP_1)
	v_pk_fma_f32 v[78:79], v[2:3], v[74:75], v[6:7] op_sel:[0,0,1] op_sel_hi:[1,1,0] neg_lo:[0,0,1] neg_hi:[0,0,1]
	v_pk_fma_f32 v[2:3], v[2:3], v[74:75], v[6:7] op_sel:[0,0,1] op_sel_hi:[1,0,0]
	v_mov_b32_e32 v79, v3
	v_pk_mul_f32 v[2:3], v[4:5], v[76:77] op_sel:[0,1]
	s_delay_alu instid0(VALU_DEP_1) | instskip(SKIP_1) | instid1(VALU_DEP_1)
	v_pk_fma_f32 v[6:7], v[4:5], v[74:75], v[2:3] op_sel:[0,0,1] op_sel_hi:[1,1,0] neg_lo:[0,0,1] neg_hi:[0,0,1]
	v_pk_fma_f32 v[2:3], v[4:5], v[74:75], v[2:3] op_sel:[0,0,1] op_sel_hi:[1,0,0]
	v_mov_b32_e32 v7, v3
	ds_load_2addr_b64 v[2:5], v126 offset0:53 offset1:54
	v_pk_add_f32 v[232:233], v[232:233], v[78:79] neg_lo:[0,1] neg_hi:[0,1]
	v_pk_add_f32 v[234:235], v[234:235], v[6:7] neg_lo:[0,1] neg_hi:[0,1]
	s_wait_dscnt 0x0
	v_dual_mul_f32 v6, v3, v77 :: v_dual_mul_f32 v78, v3, v74
	s_delay_alu instid0(VALU_DEP_1) | instskip(NEXT) | instid1(VALU_DEP_2)
	v_pk_fma_f32 v[6:7], v[2:3], v[198:199], v[6:7] op_sel_hi:[1,1,0] neg_lo:[0,0,1] neg_hi:[0,0,1]
	v_pk_fma_f32 v[2:3], v[2:3], v[198:199], v[78:79] op_sel:[1,0,0] op_sel_hi:[0,1,0]
	s_delay_alu instid0(VALU_DEP_1) | instskip(SKIP_1) | instid1(VALU_DEP_2)
	v_mov_b32_e32 v7, v3
	v_pk_mul_f32 v[2:3], v[4:5], v[76:77] op_sel:[0,1]
	v_pk_add_f32 v[236:237], v[236:237], v[6:7] neg_lo:[0,1] neg_hi:[0,1]
	s_delay_alu instid0(VALU_DEP_2) | instskip(SKIP_1) | instid1(VALU_DEP_1)
	v_pk_fma_f32 v[6:7], v[4:5], v[74:75], v[2:3] op_sel:[0,0,1] op_sel_hi:[1,1,0] neg_lo:[0,0,1] neg_hi:[0,0,1]
	v_pk_fma_f32 v[2:3], v[4:5], v[74:75], v[2:3] op_sel:[0,0,1] op_sel_hi:[1,0,0]
	v_mov_b32_e32 v7, v3
	ds_load_2addr_b64 v[2:5], v126 offset0:55 offset1:56
	v_pk_add_f32 v[238:239], v[238:239], v[6:7] neg_lo:[0,1] neg_hi:[0,1]
	s_wait_dscnt 0x0
	v_pk_mul_f32 v[6:7], v[2:3], v[76:77] op_sel:[0,1]
	s_delay_alu instid0(VALU_DEP_1) | instskip(SKIP_1) | instid1(VALU_DEP_1)
	v_pk_fma_f32 v[78:79], v[2:3], v[74:75], v[6:7] op_sel:[0,0,1] op_sel_hi:[1,1,0] neg_lo:[0,0,1] neg_hi:[0,0,1]
	v_pk_fma_f32 v[2:3], v[2:3], v[74:75], v[6:7] op_sel:[0,0,1] op_sel_hi:[1,0,0]
	v_mov_b32_e32 v79, v3
	v_pk_mul_f32 v[2:3], v[4:5], v[76:77] op_sel:[0,1]
	s_delay_alu instid0(VALU_DEP_2) | instskip(NEXT) | instid1(VALU_DEP_2)
	v_pk_add_f32 v[240:241], v[240:241], v[78:79] neg_lo:[0,1] neg_hi:[0,1]
	v_pk_fma_f32 v[6:7], v[4:5], v[74:75], v[2:3] op_sel:[0,0,1] op_sel_hi:[1,1,0] neg_lo:[0,0,1] neg_hi:[0,0,1]
	v_pk_fma_f32 v[2:3], v[4:5], v[74:75], v[2:3] op_sel:[0,0,1] op_sel_hi:[1,0,0]
	s_delay_alu instid0(VALU_DEP_1) | instskip(SKIP_4) | instid1(VALU_DEP_1)
	v_mov_b32_e32 v7, v3
	ds_load_2addr_b64 v[2:5], v126 offset0:57 offset1:58
	v_pk_add_f32 v[252:253], v[252:253], v[6:7] neg_lo:[0,1] neg_hi:[0,1]
	s_wait_dscnt 0x0
	v_pk_mul_f32 v[6:7], v[2:3], v[76:77] op_sel:[0,1]
	v_pk_fma_f32 v[78:79], v[2:3], v[74:75], v[6:7] op_sel:[0,0,1] op_sel_hi:[1,1,0] neg_lo:[0,0,1] neg_hi:[0,0,1]
	v_pk_fma_f32 v[2:3], v[2:3], v[74:75], v[6:7] op_sel:[0,0,1] op_sel_hi:[1,0,0]
	v_dual_mul_f32 v6, v5, v77 :: v_dual_mov_b32 v2, v5
	s_delay_alu instid0(VALU_DEP_2) | instskip(NEXT) | instid1(VALU_DEP_2)
	v_dual_mov_b32 v79, v3 :: v_dual_mov_b32 v3, v4
	v_pk_fma_f32 v[6:7], v[4:5], v[198:199], v[6:7] op_sel_hi:[1,1,0] neg_lo:[0,0,1] neg_hi:[0,0,1]
	v_mul_f32_e32 v4, v5, v74
	s_delay_alu instid0(VALU_DEP_3) | instskip(NEXT) | instid1(VALU_DEP_2)
	v_pk_add_f32 v[246:247], v[246:247], v[78:79] neg_lo:[0,1] neg_hi:[0,1]
	v_pk_fma_f32 v[2:3], v[2:3], v[198:199], v[4:5] op_sel_hi:[1,1,0]
	s_delay_alu instid0(VALU_DEP_1) | instskip(SKIP_4) | instid1(VALU_DEP_1)
	v_mov_b32_e32 v7, v3
	ds_load_2addr_b64 v[2:5], v126 offset0:59 offset1:60
	v_pk_add_f32 v[250:251], v[250:251], v[6:7] neg_lo:[0,1] neg_hi:[0,1]
	s_wait_dscnt 0x0
	v_pk_mul_f32 v[6:7], v[2:3], v[76:77] op_sel:[0,1]
	v_pk_fma_f32 v[78:79], v[2:3], v[74:75], v[6:7] op_sel:[0,0,1] op_sel_hi:[1,1,0] neg_lo:[0,0,1] neg_hi:[0,0,1]
	v_pk_fma_f32 v[2:3], v[2:3], v[74:75], v[6:7] op_sel:[0,0,1] op_sel_hi:[1,0,0]
	s_delay_alu instid0(VALU_DEP_1) | instskip(SKIP_1) | instid1(VALU_DEP_1)
	v_mov_b32_e32 v79, v3
	v_pk_mul_f32 v[2:3], v[4:5], v[76:77] op_sel:[0,1]
	v_pk_fma_f32 v[6:7], v[4:5], v[74:75], v[2:3] op_sel:[0,0,1] op_sel_hi:[1,1,0] neg_lo:[0,0,1] neg_hi:[0,0,1]
	v_pk_fma_f32 v[2:3], v[4:5], v[74:75], v[2:3] op_sel:[0,0,1] op_sel_hi:[1,0,0]
	s_delay_alu instid0(VALU_DEP_1)
	v_mov_b32_e32 v7, v3
	ds_load_2addr_b64 v[2:5], v126 offset0:61 offset1:62
	v_pk_add_f32 v[244:245], v[244:245], v[78:79] neg_lo:[0,1] neg_hi:[0,1]
	v_pk_add_f32 v[248:249], v[248:249], v[6:7] neg_lo:[0,1] neg_hi:[0,1]
	s_wait_dscnt 0x0
	v_pk_mul_f32 v[6:7], v[2:3], v[76:77] op_sel:[0,1]
	s_delay_alu instid0(VALU_DEP_1) | instskip(SKIP_1) | instid1(VALU_DEP_1)
	v_pk_fma_f32 v[78:79], v[2:3], v[74:75], v[6:7] op_sel:[0,0,1] op_sel_hi:[1,1,0] neg_lo:[0,0,1] neg_hi:[0,0,1]
	v_pk_fma_f32 v[2:3], v[2:3], v[74:75], v[6:7] op_sel:[0,0,1] op_sel_hi:[1,0,0]
	v_mov_b32_e32 v79, v3
	v_pk_mul_f32 v[2:3], v[4:5], v[76:77] op_sel:[0,1]
	s_delay_alu instid0(VALU_DEP_1) | instskip(SKIP_1) | instid1(VALU_DEP_1)
	v_pk_fma_f32 v[6:7], v[4:5], v[74:75], v[2:3] op_sel:[0,0,1] op_sel_hi:[1,1,0] neg_lo:[0,0,1] neg_hi:[0,0,1]
	v_pk_fma_f32 v[2:3], v[4:5], v[74:75], v[2:3] op_sel:[0,0,1] op_sel_hi:[1,0,0]
	v_mov_b32_e32 v7, v3
	ds_load_b64 v[2:3], v126 offset:504
	v_pk_add_f32 v[242:243], v[242:243], v[78:79] neg_lo:[0,1] neg_hi:[0,1]
	v_pk_add_f32 v[254:255], v[254:255], v[6:7] neg_lo:[0,1] neg_hi:[0,1]
	s_wait_dscnt 0x0
	v_pk_mul_f32 v[4:5], v[2:3], v[76:77] op_sel:[0,1]
	s_delay_alu instid0(VALU_DEP_1) | instskip(SKIP_1) | instid1(VALU_DEP_1)
	v_pk_fma_f32 v[6:7], v[2:3], v[74:75], v[4:5] op_sel:[0,0,1] op_sel_hi:[1,1,0] neg_lo:[0,0,1] neg_hi:[0,0,1]
	v_pk_fma_f32 v[2:3], v[2:3], v[74:75], v[4:5] op_sel:[0,0,1] op_sel_hi:[1,0,0]
	v_mov_b32_e32 v7, v3
	s_delay_alu instid0(VALU_DEP_1)
	v_pk_add_f32 v[0:1], v[0:1], v[6:7] neg_lo:[0,1] neg_hi:[0,1]
.LBB127_316:
	s_or_b32 exec_lo, exec_lo, s1
	s_delay_alu instid0(SALU_CYCLE_1)
	s_mov_b32 s2, exec_lo
	s_wait_dscnt 0x0
	s_barrier_signal -1
	s_barrier_wait -1
	v_cmpx_eq_u32_e32 35, v18
	s_cbranch_execz .LBB127_323
; %bb.317:
	v_dual_mov_b32 v2, v202 :: v_dual_mov_b32 v3, v203
	v_dual_mov_b32 v4, v204 :: v_dual_mov_b32 v5, v205
	ds_store_b64 v19, v[200:201]
	ds_store_2addr_b64 v126, v[2:3], v[4:5] offset0:36 offset1:37
	v_dual_mov_b32 v2, v206 :: v_dual_mov_b32 v3, v207
	v_dual_mov_b32 v4, v208 :: v_dual_mov_b32 v5, v209
	ds_store_2addr_b64 v126, v[2:3], v[4:5] offset0:38 offset1:39
	v_dual_mov_b32 v2, v210 :: v_dual_mov_b32 v3, v211
	v_dual_mov_b32 v4, v212 :: v_dual_mov_b32 v5, v213
	;; [unrolled: 3-line block ×12, first 2 shown]
	ds_store_2addr_b64 v126, v[2:3], v[4:5] offset0:60 offset1:61
	v_dual_mov_b32 v2, v254 :: v_dual_mov_b32 v3, v255
	ds_store_2addr_b64 v126, v[2:3], v[0:1] offset0:62 offset1:63
	ds_load_b64 v[2:3], v19
	s_wait_dscnt 0x0
	v_cmp_neq_f32_e32 vcc_lo, 0, v2
	v_cmp_neq_f32_e64 s1, 0, v3
	s_or_b32 s1, vcc_lo, s1
	s_delay_alu instid0(SALU_CYCLE_1)
	s_and_b32 exec_lo, exec_lo, s1
	s_cbranch_execz .LBB127_323
; %bb.318:
	v_cmp_ngt_f32_e64 s1, |v2|, |v3|
                                        ; implicit-def: $vgpr4_vgpr5
	s_and_saveexec_b32 s4, s1
	s_delay_alu instid0(SALU_CYCLE_1)
	s_xor_b32 s1, exec_lo, s4
	s_cbranch_execz .LBB127_320
; %bb.319:
	v_div_scale_f32 v4, null, v3, v3, v2
	v_div_scale_f32 v7, vcc_lo, v2, v3, v2
	s_delay_alu instid0(VALU_DEP_2) | instskip(SKIP_1) | instid1(TRANS32_DEP_1)
	v_rcp_f32_e32 v5, v4
	v_nop
	v_fma_f32 v6, -v4, v5, 1.0
	s_delay_alu instid0(VALU_DEP_1) | instskip(NEXT) | instid1(VALU_DEP_1)
	v_fmac_f32_e32 v5, v6, v5
	v_mul_f32_e32 v6, v7, v5
	s_delay_alu instid0(VALU_DEP_1) | instskip(NEXT) | instid1(VALU_DEP_1)
	v_fma_f32 v8, -v4, v6, v7
	v_fmac_f32_e32 v6, v8, v5
	s_delay_alu instid0(VALU_DEP_1) | instskip(NEXT) | instid1(VALU_DEP_1)
	v_fma_f32 v4, -v4, v6, v7
	v_div_fmas_f32 v4, v4, v5, v6
	s_delay_alu instid0(VALU_DEP_1) | instskip(NEXT) | instid1(VALU_DEP_1)
	v_div_fixup_f32 v4, v4, v3, v2
	v_fmac_f32_e32 v3, v2, v4
	s_delay_alu instid0(VALU_DEP_1) | instskip(SKIP_1) | instid1(VALU_DEP_2)
	v_div_scale_f32 v2, null, v3, v3, 1.0
	v_div_scale_f32 v7, vcc_lo, 1.0, v3, 1.0
	v_rcp_f32_e32 v5, v2
	v_nop
	s_delay_alu instid0(TRANS32_DEP_1) | instskip(NEXT) | instid1(VALU_DEP_1)
	v_fma_f32 v6, -v2, v5, 1.0
	v_fmac_f32_e32 v5, v6, v5
	s_delay_alu instid0(VALU_DEP_1) | instskip(NEXT) | instid1(VALU_DEP_1)
	v_mul_f32_e32 v6, v7, v5
	v_fma_f32 v8, -v2, v6, v7
	s_delay_alu instid0(VALU_DEP_1) | instskip(NEXT) | instid1(VALU_DEP_1)
	v_fmac_f32_e32 v6, v8, v5
	v_fma_f32 v2, -v2, v6, v7
	s_delay_alu instid0(VALU_DEP_1) | instskip(NEXT) | instid1(VALU_DEP_1)
	v_div_fmas_f32 v2, v2, v5, v6
	v_div_fixup_f32 v2, v2, v3, 1.0
	s_delay_alu instid0(VALU_DEP_1)
	v_mul_f32_e32 v4, v4, v2
	v_xor_b32_e32 v5, 0x80000000, v2
                                        ; implicit-def: $vgpr2_vgpr3
.LBB127_320:
	s_and_not1_saveexec_b32 s1, s1
	s_cbranch_execz .LBB127_322
; %bb.321:
	v_div_scale_f32 v4, null, v2, v2, v3
	v_div_scale_f32 v7, vcc_lo, v3, v2, v3
	s_delay_alu instid0(VALU_DEP_2) | instskip(SKIP_1) | instid1(TRANS32_DEP_1)
	v_rcp_f32_e32 v5, v4
	v_nop
	v_fma_f32 v6, -v4, v5, 1.0
	s_delay_alu instid0(VALU_DEP_1) | instskip(NEXT) | instid1(VALU_DEP_1)
	v_fmac_f32_e32 v5, v6, v5
	v_mul_f32_e32 v6, v7, v5
	s_delay_alu instid0(VALU_DEP_1) | instskip(NEXT) | instid1(VALU_DEP_1)
	v_fma_f32 v8, -v4, v6, v7
	v_fmac_f32_e32 v6, v8, v5
	s_delay_alu instid0(VALU_DEP_1) | instskip(NEXT) | instid1(VALU_DEP_1)
	v_fma_f32 v4, -v4, v6, v7
	v_div_fmas_f32 v4, v4, v5, v6
	s_delay_alu instid0(VALU_DEP_1) | instskip(NEXT) | instid1(VALU_DEP_1)
	v_div_fixup_f32 v5, v4, v2, v3
	v_fmac_f32_e32 v2, v3, v5
	s_delay_alu instid0(VALU_DEP_1) | instskip(NEXT) | instid1(VALU_DEP_1)
	v_div_scale_f32 v3, null, v2, v2, 1.0
	v_rcp_f32_e32 v4, v3
	v_nop
	s_delay_alu instid0(TRANS32_DEP_1) | instskip(NEXT) | instid1(VALU_DEP_1)
	v_fma_f32 v6, -v3, v4, 1.0
	v_fmac_f32_e32 v4, v6, v4
	v_div_scale_f32 v6, vcc_lo, 1.0, v2, 1.0
	s_delay_alu instid0(VALU_DEP_1) | instskip(NEXT) | instid1(VALU_DEP_1)
	v_mul_f32_e32 v7, v6, v4
	v_fma_f32 v8, -v3, v7, v6
	s_delay_alu instid0(VALU_DEP_1) | instskip(NEXT) | instid1(VALU_DEP_1)
	v_fmac_f32_e32 v7, v8, v4
	v_fma_f32 v3, -v3, v7, v6
	s_delay_alu instid0(VALU_DEP_1) | instskip(NEXT) | instid1(VALU_DEP_1)
	v_div_fmas_f32 v3, v3, v4, v7
	v_div_fixup_f32 v4, v3, v2, 1.0
	s_delay_alu instid0(VALU_DEP_1)
	v_mul_f32_e64 v5, v5, -v4
.LBB127_322:
	s_or_b32 exec_lo, exec_lo, s1
	ds_store_b64 v19, v[4:5]
.LBB127_323:
	s_or_b32 exec_lo, exec_lo, s2
	s_wait_dscnt 0x0
	s_barrier_signal -1
	s_barrier_wait -1
	ds_load_b64 v[74:75], v19
	s_mov_b32 s1, exec_lo
	v_cmpx_lt_u32_e32 35, v18
	s_cbranch_execz .LBB127_325
; %bb.324:
	s_wait_dscnt 0x0
	v_pk_mul_f32 v[2:3], v[74:75], v[200:201] op_sel:[1,1] op_sel_hi:[0,1]
	s_delay_alu instid0(VALU_DEP_1)
	v_pk_fma_f32 v[76:77], v[74:75], v[200:201], v[2:3] op_sel_hi:[1,0,1] neg_lo:[0,0,1] neg_hi:[0,0,1]
	v_pk_fma_f32 v[78:79], v[74:75], v[200:201], v[2:3] op_sel_hi:[1,0,1]
	ds_load_2addr_b64 v[2:5], v126 offset0:36 offset1:37
	v_dual_mov_b32 v200, v76 :: v_dual_mov_b32 v201, v79
	s_wait_dscnt 0x0
	v_pk_mul_f32 v[6:7], v[2:3], v[78:79] op_sel:[0,1]
	s_delay_alu instid0(VALU_DEP_1) | instskip(SKIP_1) | instid1(VALU_DEP_1)
	v_pk_fma_f32 v[80:81], v[2:3], v[76:77], v[6:7] op_sel:[0,0,1] op_sel_hi:[1,1,0] neg_lo:[0,0,1] neg_hi:[0,0,1]
	v_pk_fma_f32 v[2:3], v[2:3], v[76:77], v[6:7] op_sel:[0,0,1] op_sel_hi:[1,0,0]
	v_mov_b32_e32 v81, v3
	v_pk_mul_f32 v[2:3], v[4:5], v[78:79] op_sel:[0,1]
	s_delay_alu instid0(VALU_DEP_1) | instskip(SKIP_1) | instid1(VALU_DEP_1)
	v_pk_fma_f32 v[6:7], v[4:5], v[76:77], v[2:3] op_sel:[0,0,1] op_sel_hi:[1,1,0] neg_lo:[0,0,1] neg_hi:[0,0,1]
	v_pk_fma_f32 v[2:3], v[4:5], v[76:77], v[2:3] op_sel:[0,0,1] op_sel_hi:[1,0,0]
	v_mov_b32_e32 v7, v3
	ds_load_2addr_b64 v[2:5], v126 offset0:38 offset1:39
	v_pk_add_f32 v[202:203], v[202:203], v[80:81] neg_lo:[0,1] neg_hi:[0,1]
	v_pk_add_f32 v[204:205], v[204:205], v[6:7] neg_lo:[0,1] neg_hi:[0,1]
	s_wait_dscnt 0x0
	v_pk_mul_f32 v[6:7], v[2:3], v[78:79] op_sel:[0,1]
	s_delay_alu instid0(VALU_DEP_1) | instskip(SKIP_2) | instid1(VALU_DEP_2)
	v_pk_fma_f32 v[80:81], v[2:3], v[76:77], v[6:7] op_sel:[0,0,1] op_sel_hi:[1,1,0] neg_lo:[0,0,1] neg_hi:[0,0,1]
	v_pk_fma_f32 v[2:3], v[2:3], v[76:77], v[6:7] op_sel:[0,0,1] op_sel_hi:[1,0,0]
	v_dual_mul_f32 v6, v5, v79 :: v_dual_mov_b32 v2, v5
	v_dual_mov_b32 v81, v3 :: v_dual_mov_b32 v3, v4
	s_delay_alu instid0(VALU_DEP_2) | instskip(SKIP_1) | instid1(VALU_DEP_3)
	v_pk_fma_f32 v[6:7], v[4:5], v[200:201], v[6:7] op_sel_hi:[1,1,0] neg_lo:[0,0,1] neg_hi:[0,0,1]
	v_mul_f32_e32 v4, v5, v76
	v_pk_add_f32 v[206:207], v[206:207], v[80:81] neg_lo:[0,1] neg_hi:[0,1]
	s_delay_alu instid0(VALU_DEP_2) | instskip(NEXT) | instid1(VALU_DEP_1)
	v_pk_fma_f32 v[2:3], v[2:3], v[200:201], v[4:5] op_sel_hi:[1,1,0]
	v_mov_b32_e32 v7, v3
	ds_load_2addr_b64 v[2:5], v126 offset0:40 offset1:41
	v_pk_add_f32 v[208:209], v[208:209], v[6:7] neg_lo:[0,1] neg_hi:[0,1]
	s_wait_dscnt 0x0
	v_pk_mul_f32 v[6:7], v[2:3], v[78:79] op_sel:[0,1]
	s_delay_alu instid0(VALU_DEP_1) | instskip(SKIP_1) | instid1(VALU_DEP_1)
	v_pk_fma_f32 v[80:81], v[2:3], v[76:77], v[6:7] op_sel:[0,0,1] op_sel_hi:[1,1,0] neg_lo:[0,0,1] neg_hi:[0,0,1]
	v_pk_fma_f32 v[2:3], v[2:3], v[76:77], v[6:7] op_sel:[0,0,1] op_sel_hi:[1,0,0]
	v_mov_b32_e32 v81, v3
	v_pk_mul_f32 v[2:3], v[4:5], v[78:79] op_sel:[0,1]
	s_delay_alu instid0(VALU_DEP_1) | instskip(SKIP_1) | instid1(VALU_DEP_1)
	v_pk_fma_f32 v[6:7], v[4:5], v[76:77], v[2:3] op_sel:[0,0,1] op_sel_hi:[1,1,0] neg_lo:[0,0,1] neg_hi:[0,0,1]
	v_pk_fma_f32 v[2:3], v[4:5], v[76:77], v[2:3] op_sel:[0,0,1] op_sel_hi:[1,0,0]
	v_mov_b32_e32 v7, v3
	ds_load_2addr_b64 v[2:5], v126 offset0:42 offset1:43
	v_pk_add_f32 v[210:211], v[210:211], v[80:81] neg_lo:[0,1] neg_hi:[0,1]
	v_pk_add_f32 v[212:213], v[212:213], v[6:7] neg_lo:[0,1] neg_hi:[0,1]
	s_wait_dscnt 0x0
	v_pk_mul_f32 v[6:7], v[2:3], v[78:79] op_sel:[0,1]
	s_delay_alu instid0(VALU_DEP_1) | instskip(SKIP_1) | instid1(VALU_DEP_1)
	v_pk_fma_f32 v[80:81], v[2:3], v[76:77], v[6:7] op_sel:[0,0,1] op_sel_hi:[1,1,0] neg_lo:[0,0,1] neg_hi:[0,0,1]
	v_pk_fma_f32 v[2:3], v[2:3], v[76:77], v[6:7] op_sel:[0,0,1] op_sel_hi:[1,0,0]
	v_mov_b32_e32 v81, v3
	v_pk_mul_f32 v[2:3], v[4:5], v[78:79] op_sel:[0,1]
	s_delay_alu instid0(VALU_DEP_1) | instskip(SKIP_1) | instid1(VALU_DEP_1)
	v_pk_fma_f32 v[6:7], v[4:5], v[76:77], v[2:3] op_sel:[0,0,1] op_sel_hi:[1,1,0] neg_lo:[0,0,1] neg_hi:[0,0,1]
	v_pk_fma_f32 v[2:3], v[4:5], v[76:77], v[2:3] op_sel:[0,0,1] op_sel_hi:[1,0,0]
	v_mov_b32_e32 v7, v3
	ds_load_2addr_b64 v[2:5], v126 offset0:44 offset1:45
	v_pk_add_f32 v[214:215], v[214:215], v[80:81] neg_lo:[0,1] neg_hi:[0,1]
	v_pk_add_f32 v[216:217], v[216:217], v[6:7] neg_lo:[0,1] neg_hi:[0,1]
	s_wait_dscnt 0x0
	v_dual_mul_f32 v6, v3, v79 :: v_dual_mul_f32 v80, v3, v76
	s_delay_alu instid0(VALU_DEP_1) | instskip(NEXT) | instid1(VALU_DEP_2)
	v_pk_fma_f32 v[6:7], v[2:3], v[200:201], v[6:7] op_sel_hi:[1,1,0] neg_lo:[0,0,1] neg_hi:[0,0,1]
	v_pk_fma_f32 v[2:3], v[2:3], v[200:201], v[80:81] op_sel:[1,0,0] op_sel_hi:[0,1,0]
	s_delay_alu instid0(VALU_DEP_1) | instskip(SKIP_1) | instid1(VALU_DEP_2)
	v_mov_b32_e32 v7, v3
	v_pk_mul_f32 v[2:3], v[4:5], v[78:79] op_sel:[0,1]
	v_pk_add_f32 v[218:219], v[218:219], v[6:7] neg_lo:[0,1] neg_hi:[0,1]
	s_delay_alu instid0(VALU_DEP_2) | instskip(SKIP_1) | instid1(VALU_DEP_1)
	v_pk_fma_f32 v[6:7], v[4:5], v[76:77], v[2:3] op_sel:[0,0,1] op_sel_hi:[1,1,0] neg_lo:[0,0,1] neg_hi:[0,0,1]
	v_pk_fma_f32 v[2:3], v[4:5], v[76:77], v[2:3] op_sel:[0,0,1] op_sel_hi:[1,0,0]
	v_mov_b32_e32 v7, v3
	ds_load_2addr_b64 v[2:5], v126 offset0:46 offset1:47
	v_pk_add_f32 v[220:221], v[220:221], v[6:7] neg_lo:[0,1] neg_hi:[0,1]
	s_wait_dscnt 0x0
	v_pk_mul_f32 v[6:7], v[2:3], v[78:79] op_sel:[0,1]
	s_delay_alu instid0(VALU_DEP_1) | instskip(SKIP_1) | instid1(VALU_DEP_1)
	v_pk_fma_f32 v[80:81], v[2:3], v[76:77], v[6:7] op_sel:[0,0,1] op_sel_hi:[1,1,0] neg_lo:[0,0,1] neg_hi:[0,0,1]
	v_pk_fma_f32 v[2:3], v[2:3], v[76:77], v[6:7] op_sel:[0,0,1] op_sel_hi:[1,0,0]
	v_mov_b32_e32 v81, v3
	v_pk_mul_f32 v[2:3], v[4:5], v[78:79] op_sel:[0,1]
	s_delay_alu instid0(VALU_DEP_2) | instskip(NEXT) | instid1(VALU_DEP_2)
	v_pk_add_f32 v[222:223], v[222:223], v[80:81] neg_lo:[0,1] neg_hi:[0,1]
	v_pk_fma_f32 v[6:7], v[4:5], v[76:77], v[2:3] op_sel:[0,0,1] op_sel_hi:[1,1,0] neg_lo:[0,0,1] neg_hi:[0,0,1]
	v_pk_fma_f32 v[2:3], v[4:5], v[76:77], v[2:3] op_sel:[0,0,1] op_sel_hi:[1,0,0]
	s_delay_alu instid0(VALU_DEP_1) | instskip(SKIP_4) | instid1(VALU_DEP_1)
	v_mov_b32_e32 v7, v3
	ds_load_2addr_b64 v[2:5], v126 offset0:48 offset1:49
	v_pk_add_f32 v[224:225], v[224:225], v[6:7] neg_lo:[0,1] neg_hi:[0,1]
	s_wait_dscnt 0x0
	v_pk_mul_f32 v[6:7], v[2:3], v[78:79] op_sel:[0,1]
	v_pk_fma_f32 v[80:81], v[2:3], v[76:77], v[6:7] op_sel:[0,0,1] op_sel_hi:[1,1,0] neg_lo:[0,0,1] neg_hi:[0,0,1]
	v_pk_fma_f32 v[2:3], v[2:3], v[76:77], v[6:7] op_sel:[0,0,1] op_sel_hi:[1,0,0]
	v_dual_mul_f32 v6, v5, v79 :: v_dual_mov_b32 v2, v5
	s_delay_alu instid0(VALU_DEP_2) | instskip(NEXT) | instid1(VALU_DEP_2)
	v_dual_mov_b32 v81, v3 :: v_dual_mov_b32 v3, v4
	v_pk_fma_f32 v[6:7], v[4:5], v[200:201], v[6:7] op_sel_hi:[1,1,0] neg_lo:[0,0,1] neg_hi:[0,0,1]
	v_mul_f32_e32 v4, v5, v76
	s_delay_alu instid0(VALU_DEP_3) | instskip(NEXT) | instid1(VALU_DEP_2)
	v_pk_add_f32 v[226:227], v[226:227], v[80:81] neg_lo:[0,1] neg_hi:[0,1]
	v_pk_fma_f32 v[2:3], v[2:3], v[200:201], v[4:5] op_sel_hi:[1,1,0]
	s_delay_alu instid0(VALU_DEP_1) | instskip(SKIP_4) | instid1(VALU_DEP_1)
	v_mov_b32_e32 v7, v3
	ds_load_2addr_b64 v[2:5], v126 offset0:50 offset1:51
	v_pk_add_f32 v[228:229], v[228:229], v[6:7] neg_lo:[0,1] neg_hi:[0,1]
	s_wait_dscnt 0x0
	v_pk_mul_f32 v[6:7], v[2:3], v[78:79] op_sel:[0,1]
	v_pk_fma_f32 v[80:81], v[2:3], v[76:77], v[6:7] op_sel:[0,0,1] op_sel_hi:[1,1,0] neg_lo:[0,0,1] neg_hi:[0,0,1]
	v_pk_fma_f32 v[2:3], v[2:3], v[76:77], v[6:7] op_sel:[0,0,1] op_sel_hi:[1,0,0]
	s_delay_alu instid0(VALU_DEP_1) | instskip(SKIP_1) | instid1(VALU_DEP_1)
	v_mov_b32_e32 v81, v3
	v_pk_mul_f32 v[2:3], v[4:5], v[78:79] op_sel:[0,1]
	v_pk_fma_f32 v[6:7], v[4:5], v[76:77], v[2:3] op_sel:[0,0,1] op_sel_hi:[1,1,0] neg_lo:[0,0,1] neg_hi:[0,0,1]
	v_pk_fma_f32 v[2:3], v[4:5], v[76:77], v[2:3] op_sel:[0,0,1] op_sel_hi:[1,0,0]
	s_delay_alu instid0(VALU_DEP_1)
	v_mov_b32_e32 v7, v3
	ds_load_2addr_b64 v[2:5], v126 offset0:52 offset1:53
	v_pk_add_f32 v[230:231], v[230:231], v[80:81] neg_lo:[0,1] neg_hi:[0,1]
	v_pk_add_f32 v[232:233], v[232:233], v[6:7] neg_lo:[0,1] neg_hi:[0,1]
	s_wait_dscnt 0x0
	v_pk_mul_f32 v[6:7], v[2:3], v[78:79] op_sel:[0,1]
	s_delay_alu instid0(VALU_DEP_1) | instskip(SKIP_1) | instid1(VALU_DEP_1)
	v_pk_fma_f32 v[80:81], v[2:3], v[76:77], v[6:7] op_sel:[0,0,1] op_sel_hi:[1,1,0] neg_lo:[0,0,1] neg_hi:[0,0,1]
	v_pk_fma_f32 v[2:3], v[2:3], v[76:77], v[6:7] op_sel:[0,0,1] op_sel_hi:[1,0,0]
	v_mov_b32_e32 v81, v3
	v_pk_mul_f32 v[2:3], v[4:5], v[78:79] op_sel:[0,1]
	s_delay_alu instid0(VALU_DEP_1) | instskip(SKIP_1) | instid1(VALU_DEP_1)
	v_pk_fma_f32 v[6:7], v[4:5], v[76:77], v[2:3] op_sel:[0,0,1] op_sel_hi:[1,1,0] neg_lo:[0,0,1] neg_hi:[0,0,1]
	v_pk_fma_f32 v[2:3], v[4:5], v[76:77], v[2:3] op_sel:[0,0,1] op_sel_hi:[1,0,0]
	v_mov_b32_e32 v7, v3
	ds_load_2addr_b64 v[2:5], v126 offset0:54 offset1:55
	v_pk_add_f32 v[234:235], v[234:235], v[80:81] neg_lo:[0,1] neg_hi:[0,1]
	v_pk_add_f32 v[236:237], v[236:237], v[6:7] neg_lo:[0,1] neg_hi:[0,1]
	s_wait_dscnt 0x0
	v_dual_mul_f32 v6, v3, v79 :: v_dual_mul_f32 v80, v3, v76
	s_delay_alu instid0(VALU_DEP_1) | instskip(NEXT) | instid1(VALU_DEP_2)
	v_pk_fma_f32 v[6:7], v[2:3], v[200:201], v[6:7] op_sel_hi:[1,1,0] neg_lo:[0,0,1] neg_hi:[0,0,1]
	v_pk_fma_f32 v[2:3], v[2:3], v[200:201], v[80:81] op_sel:[1,0,0] op_sel_hi:[0,1,0]
	s_delay_alu instid0(VALU_DEP_1) | instskip(SKIP_1) | instid1(VALU_DEP_2)
	v_mov_b32_e32 v7, v3
	v_pk_mul_f32 v[2:3], v[4:5], v[78:79] op_sel:[0,1]
	v_pk_add_f32 v[238:239], v[238:239], v[6:7] neg_lo:[0,1] neg_hi:[0,1]
	s_delay_alu instid0(VALU_DEP_2) | instskip(SKIP_1) | instid1(VALU_DEP_1)
	v_pk_fma_f32 v[6:7], v[4:5], v[76:77], v[2:3] op_sel:[0,0,1] op_sel_hi:[1,1,0] neg_lo:[0,0,1] neg_hi:[0,0,1]
	v_pk_fma_f32 v[2:3], v[4:5], v[76:77], v[2:3] op_sel:[0,0,1] op_sel_hi:[1,0,0]
	v_mov_b32_e32 v7, v3
	ds_load_2addr_b64 v[2:5], v126 offset0:56 offset1:57
	v_pk_add_f32 v[240:241], v[240:241], v[6:7] neg_lo:[0,1] neg_hi:[0,1]
	s_wait_dscnt 0x0
	v_pk_mul_f32 v[6:7], v[2:3], v[78:79] op_sel:[0,1]
	s_delay_alu instid0(VALU_DEP_1) | instskip(SKIP_1) | instid1(VALU_DEP_1)
	v_pk_fma_f32 v[80:81], v[2:3], v[76:77], v[6:7] op_sel:[0,0,1] op_sel_hi:[1,1,0] neg_lo:[0,0,1] neg_hi:[0,0,1]
	v_pk_fma_f32 v[2:3], v[2:3], v[76:77], v[6:7] op_sel:[0,0,1] op_sel_hi:[1,0,0]
	v_mov_b32_e32 v81, v3
	v_pk_mul_f32 v[2:3], v[4:5], v[78:79] op_sel:[0,1]
	s_delay_alu instid0(VALU_DEP_2) | instskip(NEXT) | instid1(VALU_DEP_2)
	v_pk_add_f32 v[252:253], v[252:253], v[80:81] neg_lo:[0,1] neg_hi:[0,1]
	v_pk_fma_f32 v[6:7], v[4:5], v[76:77], v[2:3] op_sel:[0,0,1] op_sel_hi:[1,1,0] neg_lo:[0,0,1] neg_hi:[0,0,1]
	v_pk_fma_f32 v[2:3], v[4:5], v[76:77], v[2:3] op_sel:[0,0,1] op_sel_hi:[1,0,0]
	s_delay_alu instid0(VALU_DEP_1) | instskip(SKIP_4) | instid1(VALU_DEP_1)
	v_mov_b32_e32 v7, v3
	ds_load_2addr_b64 v[2:5], v126 offset0:58 offset1:59
	v_pk_add_f32 v[246:247], v[246:247], v[6:7] neg_lo:[0,1] neg_hi:[0,1]
	s_wait_dscnt 0x0
	v_pk_mul_f32 v[6:7], v[2:3], v[78:79] op_sel:[0,1]
	v_pk_fma_f32 v[80:81], v[2:3], v[76:77], v[6:7] op_sel:[0,0,1] op_sel_hi:[1,1,0] neg_lo:[0,0,1] neg_hi:[0,0,1]
	v_pk_fma_f32 v[2:3], v[2:3], v[76:77], v[6:7] op_sel:[0,0,1] op_sel_hi:[1,0,0]
	v_dual_mul_f32 v6, v5, v79 :: v_dual_mov_b32 v2, v5
	s_delay_alu instid0(VALU_DEP_2) | instskip(NEXT) | instid1(VALU_DEP_2)
	v_dual_mov_b32 v81, v3 :: v_dual_mov_b32 v3, v4
	v_pk_fma_f32 v[6:7], v[4:5], v[200:201], v[6:7] op_sel_hi:[1,1,0] neg_lo:[0,0,1] neg_hi:[0,0,1]
	v_mul_f32_e32 v4, v5, v76
	s_delay_alu instid0(VALU_DEP_3) | instskip(NEXT) | instid1(VALU_DEP_2)
	v_pk_add_f32 v[250:251], v[250:251], v[80:81] neg_lo:[0,1] neg_hi:[0,1]
	v_pk_fma_f32 v[2:3], v[2:3], v[200:201], v[4:5] op_sel_hi:[1,1,0]
	s_delay_alu instid0(VALU_DEP_1) | instskip(SKIP_4) | instid1(VALU_DEP_1)
	v_mov_b32_e32 v7, v3
	ds_load_2addr_b64 v[2:5], v126 offset0:60 offset1:61
	v_pk_add_f32 v[244:245], v[244:245], v[6:7] neg_lo:[0,1] neg_hi:[0,1]
	s_wait_dscnt 0x0
	v_pk_mul_f32 v[6:7], v[2:3], v[78:79] op_sel:[0,1]
	v_pk_fma_f32 v[80:81], v[2:3], v[76:77], v[6:7] op_sel:[0,0,1] op_sel_hi:[1,1,0] neg_lo:[0,0,1] neg_hi:[0,0,1]
	v_pk_fma_f32 v[2:3], v[2:3], v[76:77], v[6:7] op_sel:[0,0,1] op_sel_hi:[1,0,0]
	s_delay_alu instid0(VALU_DEP_1) | instskip(SKIP_1) | instid1(VALU_DEP_1)
	v_mov_b32_e32 v81, v3
	v_pk_mul_f32 v[2:3], v[4:5], v[78:79] op_sel:[0,1]
	v_pk_fma_f32 v[6:7], v[4:5], v[76:77], v[2:3] op_sel:[0,0,1] op_sel_hi:[1,1,0] neg_lo:[0,0,1] neg_hi:[0,0,1]
	v_pk_fma_f32 v[2:3], v[4:5], v[76:77], v[2:3] op_sel:[0,0,1] op_sel_hi:[1,0,0]
	s_delay_alu instid0(VALU_DEP_1)
	v_mov_b32_e32 v7, v3
	ds_load_2addr_b64 v[2:5], v126 offset0:62 offset1:63
	v_pk_add_f32 v[248:249], v[248:249], v[80:81] neg_lo:[0,1] neg_hi:[0,1]
	v_pk_add_f32 v[242:243], v[242:243], v[6:7] neg_lo:[0,1] neg_hi:[0,1]
	s_wait_dscnt 0x0
	v_pk_mul_f32 v[6:7], v[2:3], v[78:79] op_sel:[0,1]
	s_delay_alu instid0(VALU_DEP_1) | instskip(SKIP_1) | instid1(VALU_DEP_1)
	v_pk_fma_f32 v[80:81], v[2:3], v[76:77], v[6:7] op_sel:[0,0,1] op_sel_hi:[1,1,0] neg_lo:[0,0,1] neg_hi:[0,0,1]
	v_pk_fma_f32 v[2:3], v[2:3], v[76:77], v[6:7] op_sel:[0,0,1] op_sel_hi:[1,0,0]
	v_mov_b32_e32 v81, v3
	v_pk_mul_f32 v[2:3], v[4:5], v[78:79] op_sel:[0,1]
	s_delay_alu instid0(VALU_DEP_1) | instskip(SKIP_1) | instid1(VALU_DEP_1)
	v_pk_fma_f32 v[6:7], v[4:5], v[76:77], v[2:3] op_sel:[0,0,1] op_sel_hi:[1,1,0] neg_lo:[0,0,1] neg_hi:[0,0,1]
	v_pk_fma_f32 v[2:3], v[4:5], v[76:77], v[2:3] op_sel:[0,0,1] op_sel_hi:[1,0,0]
	v_mov_b32_e32 v7, v3
	v_pk_add_f32 v[254:255], v[254:255], v[80:81] neg_lo:[0,1] neg_hi:[0,1]
	s_delay_alu instid0(VALU_DEP_2)
	v_pk_add_f32 v[0:1], v[0:1], v[6:7] neg_lo:[0,1] neg_hi:[0,1]
.LBB127_325:
	s_or_b32 exec_lo, exec_lo, s1
	s_delay_alu instid0(SALU_CYCLE_1)
	s_mov_b32 s2, exec_lo
	s_wait_dscnt 0x0
	s_barrier_signal -1
	s_barrier_wait -1
	v_cmpx_eq_u32_e32 36, v18
	s_cbranch_execz .LBB127_332
; %bb.326:
	ds_store_b64 v19, v[202:203]
	ds_store_2addr_b64 v126, v[204:205], v[206:207] offset0:37 offset1:38
	ds_store_2addr_b64 v126, v[208:209], v[210:211] offset0:39 offset1:40
	ds_store_2addr_b64 v126, v[212:213], v[214:215] offset0:41 offset1:42
	ds_store_2addr_b64 v126, v[216:217], v[218:219] offset0:43 offset1:44
	ds_store_2addr_b64 v126, v[220:221], v[222:223] offset0:45 offset1:46
	ds_store_2addr_b64 v126, v[224:225], v[226:227] offset0:47 offset1:48
	ds_store_2addr_b64 v126, v[228:229], v[230:231] offset0:49 offset1:50
	ds_store_2addr_b64 v126, v[232:233], v[234:235] offset0:51 offset1:52
	ds_store_2addr_b64 v126, v[236:237], v[238:239] offset0:53 offset1:54
	ds_store_2addr_b64 v126, v[240:241], v[252:253] offset0:55 offset1:56
	ds_store_2addr_b64 v126, v[246:247], v[250:251] offset0:57 offset1:58
	ds_store_2addr_b64 v126, v[244:245], v[248:249] offset0:59 offset1:60
	ds_store_2addr_b64 v126, v[242:243], v[254:255] offset0:61 offset1:62
	ds_store_b64 v126, v[0:1] offset:504
	ds_load_b64 v[2:3], v19
	s_wait_dscnt 0x0
	v_cmp_neq_f32_e32 vcc_lo, 0, v2
	v_cmp_neq_f32_e64 s1, 0, v3
	s_or_b32 s1, vcc_lo, s1
	s_delay_alu instid0(SALU_CYCLE_1)
	s_and_b32 exec_lo, exec_lo, s1
	s_cbranch_execz .LBB127_332
; %bb.327:
	v_cmp_ngt_f32_e64 s1, |v2|, |v3|
                                        ; implicit-def: $vgpr4_vgpr5
	s_and_saveexec_b32 s4, s1
	s_delay_alu instid0(SALU_CYCLE_1)
	s_xor_b32 s1, exec_lo, s4
	s_cbranch_execz .LBB127_329
; %bb.328:
	v_div_scale_f32 v4, null, v3, v3, v2
	v_div_scale_f32 v7, vcc_lo, v2, v3, v2
	s_delay_alu instid0(VALU_DEP_2) | instskip(SKIP_1) | instid1(TRANS32_DEP_1)
	v_rcp_f32_e32 v5, v4
	v_nop
	v_fma_f32 v6, -v4, v5, 1.0
	s_delay_alu instid0(VALU_DEP_1) | instskip(NEXT) | instid1(VALU_DEP_1)
	v_fmac_f32_e32 v5, v6, v5
	v_mul_f32_e32 v6, v7, v5
	s_delay_alu instid0(VALU_DEP_1) | instskip(NEXT) | instid1(VALU_DEP_1)
	v_fma_f32 v8, -v4, v6, v7
	v_fmac_f32_e32 v6, v8, v5
	s_delay_alu instid0(VALU_DEP_1) | instskip(NEXT) | instid1(VALU_DEP_1)
	v_fma_f32 v4, -v4, v6, v7
	v_div_fmas_f32 v4, v4, v5, v6
	s_delay_alu instid0(VALU_DEP_1) | instskip(NEXT) | instid1(VALU_DEP_1)
	v_div_fixup_f32 v4, v4, v3, v2
	v_fmac_f32_e32 v3, v2, v4
	s_delay_alu instid0(VALU_DEP_1) | instskip(SKIP_1) | instid1(VALU_DEP_2)
	v_div_scale_f32 v2, null, v3, v3, 1.0
	v_div_scale_f32 v7, vcc_lo, 1.0, v3, 1.0
	v_rcp_f32_e32 v5, v2
	v_nop
	s_delay_alu instid0(TRANS32_DEP_1) | instskip(NEXT) | instid1(VALU_DEP_1)
	v_fma_f32 v6, -v2, v5, 1.0
	v_fmac_f32_e32 v5, v6, v5
	s_delay_alu instid0(VALU_DEP_1) | instskip(NEXT) | instid1(VALU_DEP_1)
	v_mul_f32_e32 v6, v7, v5
	v_fma_f32 v8, -v2, v6, v7
	s_delay_alu instid0(VALU_DEP_1) | instskip(NEXT) | instid1(VALU_DEP_1)
	v_fmac_f32_e32 v6, v8, v5
	v_fma_f32 v2, -v2, v6, v7
	s_delay_alu instid0(VALU_DEP_1) | instskip(NEXT) | instid1(VALU_DEP_1)
	v_div_fmas_f32 v2, v2, v5, v6
	v_div_fixup_f32 v2, v2, v3, 1.0
	s_delay_alu instid0(VALU_DEP_1)
	v_mul_f32_e32 v4, v4, v2
	v_xor_b32_e32 v5, 0x80000000, v2
                                        ; implicit-def: $vgpr2_vgpr3
.LBB127_329:
	s_and_not1_saveexec_b32 s1, s1
	s_cbranch_execz .LBB127_331
; %bb.330:
	v_div_scale_f32 v4, null, v2, v2, v3
	v_div_scale_f32 v7, vcc_lo, v3, v2, v3
	s_delay_alu instid0(VALU_DEP_2) | instskip(SKIP_1) | instid1(TRANS32_DEP_1)
	v_rcp_f32_e32 v5, v4
	v_nop
	v_fma_f32 v6, -v4, v5, 1.0
	s_delay_alu instid0(VALU_DEP_1) | instskip(NEXT) | instid1(VALU_DEP_1)
	v_fmac_f32_e32 v5, v6, v5
	v_mul_f32_e32 v6, v7, v5
	s_delay_alu instid0(VALU_DEP_1) | instskip(NEXT) | instid1(VALU_DEP_1)
	v_fma_f32 v8, -v4, v6, v7
	v_fmac_f32_e32 v6, v8, v5
	s_delay_alu instid0(VALU_DEP_1) | instskip(NEXT) | instid1(VALU_DEP_1)
	v_fma_f32 v4, -v4, v6, v7
	v_div_fmas_f32 v4, v4, v5, v6
	s_delay_alu instid0(VALU_DEP_1) | instskip(NEXT) | instid1(VALU_DEP_1)
	v_div_fixup_f32 v5, v4, v2, v3
	v_fmac_f32_e32 v2, v3, v5
	s_delay_alu instid0(VALU_DEP_1) | instskip(NEXT) | instid1(VALU_DEP_1)
	v_div_scale_f32 v3, null, v2, v2, 1.0
	v_rcp_f32_e32 v4, v3
	v_nop
	s_delay_alu instid0(TRANS32_DEP_1) | instskip(NEXT) | instid1(VALU_DEP_1)
	v_fma_f32 v6, -v3, v4, 1.0
	v_fmac_f32_e32 v4, v6, v4
	v_div_scale_f32 v6, vcc_lo, 1.0, v2, 1.0
	s_delay_alu instid0(VALU_DEP_1) | instskip(NEXT) | instid1(VALU_DEP_1)
	v_mul_f32_e32 v7, v6, v4
	v_fma_f32 v8, -v3, v7, v6
	s_delay_alu instid0(VALU_DEP_1) | instskip(NEXT) | instid1(VALU_DEP_1)
	v_fmac_f32_e32 v7, v8, v4
	v_fma_f32 v3, -v3, v7, v6
	s_delay_alu instid0(VALU_DEP_1) | instskip(NEXT) | instid1(VALU_DEP_1)
	v_div_fmas_f32 v3, v3, v4, v7
	v_div_fixup_f32 v4, v3, v2, 1.0
	s_delay_alu instid0(VALU_DEP_1)
	v_mul_f32_e64 v5, v5, -v4
.LBB127_331:
	s_or_b32 exec_lo, exec_lo, s1
	ds_store_b64 v19, v[4:5]
.LBB127_332:
	s_or_b32 exec_lo, exec_lo, s2
	s_wait_dscnt 0x0
	s_barrier_signal -1
	s_barrier_wait -1
	ds_load_b64 v[76:77], v19
	s_mov_b32 s1, exec_lo
	v_cmpx_lt_u32_e32 36, v18
	s_cbranch_execz .LBB127_334
; %bb.333:
	s_wait_dscnt 0x0
	v_pk_mul_f32 v[2:3], v[76:77], v[202:203] op_sel:[1,1] op_sel_hi:[0,1]
	s_delay_alu instid0(VALU_DEP_1)
	v_pk_fma_f32 v[78:79], v[76:77], v[202:203], v[2:3] op_sel_hi:[1,0,1] neg_lo:[0,0,1] neg_hi:[0,0,1]
	v_pk_fma_f32 v[80:81], v[76:77], v[202:203], v[2:3] op_sel_hi:[1,0,1]
	ds_load_2addr_b64 v[2:5], v126 offset0:37 offset1:38
	v_dual_mov_b32 v202, v78 :: v_dual_mov_b32 v203, v81
	s_wait_dscnt 0x0
	v_pk_mul_f32 v[6:7], v[2:3], v[80:81] op_sel:[0,1]
	s_delay_alu instid0(VALU_DEP_1) | instskip(SKIP_1) | instid1(VALU_DEP_1)
	v_pk_fma_f32 v[82:83], v[2:3], v[78:79], v[6:7] op_sel:[0,0,1] op_sel_hi:[1,1,0] neg_lo:[0,0,1] neg_hi:[0,0,1]
	v_pk_fma_f32 v[2:3], v[2:3], v[78:79], v[6:7] op_sel:[0,0,1] op_sel_hi:[1,0,0]
	v_mov_b32_e32 v83, v3
	v_pk_mul_f32 v[2:3], v[4:5], v[80:81] op_sel:[0,1]
	s_delay_alu instid0(VALU_DEP_1) | instskip(SKIP_1) | instid1(VALU_DEP_1)
	v_pk_fma_f32 v[6:7], v[4:5], v[78:79], v[2:3] op_sel:[0,0,1] op_sel_hi:[1,1,0] neg_lo:[0,0,1] neg_hi:[0,0,1]
	v_pk_fma_f32 v[2:3], v[4:5], v[78:79], v[2:3] op_sel:[0,0,1] op_sel_hi:[1,0,0]
	v_mov_b32_e32 v7, v3
	ds_load_2addr_b64 v[2:5], v126 offset0:39 offset1:40
	v_pk_add_f32 v[204:205], v[204:205], v[82:83] neg_lo:[0,1] neg_hi:[0,1]
	v_pk_add_f32 v[206:207], v[206:207], v[6:7] neg_lo:[0,1] neg_hi:[0,1]
	s_wait_dscnt 0x0
	v_pk_mul_f32 v[6:7], v[2:3], v[80:81] op_sel:[0,1]
	s_delay_alu instid0(VALU_DEP_1) | instskip(SKIP_2) | instid1(VALU_DEP_2)
	v_pk_fma_f32 v[82:83], v[2:3], v[78:79], v[6:7] op_sel:[0,0,1] op_sel_hi:[1,1,0] neg_lo:[0,0,1] neg_hi:[0,0,1]
	v_pk_fma_f32 v[2:3], v[2:3], v[78:79], v[6:7] op_sel:[0,0,1] op_sel_hi:[1,0,0]
	v_dual_mul_f32 v6, v5, v81 :: v_dual_mov_b32 v2, v5
	v_dual_mov_b32 v83, v3 :: v_dual_mov_b32 v3, v4
	s_delay_alu instid0(VALU_DEP_2) | instskip(SKIP_1) | instid1(VALU_DEP_3)
	v_pk_fma_f32 v[6:7], v[4:5], v[202:203], v[6:7] op_sel_hi:[1,1,0] neg_lo:[0,0,1] neg_hi:[0,0,1]
	v_mul_f32_e32 v4, v5, v78
	v_pk_add_f32 v[208:209], v[208:209], v[82:83] neg_lo:[0,1] neg_hi:[0,1]
	s_delay_alu instid0(VALU_DEP_2) | instskip(NEXT) | instid1(VALU_DEP_1)
	v_pk_fma_f32 v[2:3], v[2:3], v[202:203], v[4:5] op_sel_hi:[1,1,0]
	v_mov_b32_e32 v7, v3
	ds_load_2addr_b64 v[2:5], v126 offset0:41 offset1:42
	v_pk_add_f32 v[210:211], v[210:211], v[6:7] neg_lo:[0,1] neg_hi:[0,1]
	s_wait_dscnt 0x0
	v_pk_mul_f32 v[6:7], v[2:3], v[80:81] op_sel:[0,1]
	s_delay_alu instid0(VALU_DEP_1) | instskip(SKIP_1) | instid1(VALU_DEP_1)
	v_pk_fma_f32 v[82:83], v[2:3], v[78:79], v[6:7] op_sel:[0,0,1] op_sel_hi:[1,1,0] neg_lo:[0,0,1] neg_hi:[0,0,1]
	v_pk_fma_f32 v[2:3], v[2:3], v[78:79], v[6:7] op_sel:[0,0,1] op_sel_hi:[1,0,0]
	v_mov_b32_e32 v83, v3
	v_pk_mul_f32 v[2:3], v[4:5], v[80:81] op_sel:[0,1]
	s_delay_alu instid0(VALU_DEP_1) | instskip(SKIP_1) | instid1(VALU_DEP_1)
	v_pk_fma_f32 v[6:7], v[4:5], v[78:79], v[2:3] op_sel:[0,0,1] op_sel_hi:[1,1,0] neg_lo:[0,0,1] neg_hi:[0,0,1]
	v_pk_fma_f32 v[2:3], v[4:5], v[78:79], v[2:3] op_sel:[0,0,1] op_sel_hi:[1,0,0]
	v_mov_b32_e32 v7, v3
	ds_load_2addr_b64 v[2:5], v126 offset0:43 offset1:44
	v_pk_add_f32 v[212:213], v[212:213], v[82:83] neg_lo:[0,1] neg_hi:[0,1]
	v_pk_add_f32 v[214:215], v[214:215], v[6:7] neg_lo:[0,1] neg_hi:[0,1]
	s_wait_dscnt 0x0
	v_pk_mul_f32 v[6:7], v[2:3], v[80:81] op_sel:[0,1]
	s_delay_alu instid0(VALU_DEP_1) | instskip(SKIP_1) | instid1(VALU_DEP_1)
	v_pk_fma_f32 v[82:83], v[2:3], v[78:79], v[6:7] op_sel:[0,0,1] op_sel_hi:[1,1,0] neg_lo:[0,0,1] neg_hi:[0,0,1]
	v_pk_fma_f32 v[2:3], v[2:3], v[78:79], v[6:7] op_sel:[0,0,1] op_sel_hi:[1,0,0]
	v_mov_b32_e32 v83, v3
	v_pk_mul_f32 v[2:3], v[4:5], v[80:81] op_sel:[0,1]
	s_delay_alu instid0(VALU_DEP_1) | instskip(SKIP_1) | instid1(VALU_DEP_1)
	v_pk_fma_f32 v[6:7], v[4:5], v[78:79], v[2:3] op_sel:[0,0,1] op_sel_hi:[1,1,0] neg_lo:[0,0,1] neg_hi:[0,0,1]
	v_pk_fma_f32 v[2:3], v[4:5], v[78:79], v[2:3] op_sel:[0,0,1] op_sel_hi:[1,0,0]
	v_mov_b32_e32 v7, v3
	ds_load_2addr_b64 v[2:5], v126 offset0:45 offset1:46
	v_pk_add_f32 v[216:217], v[216:217], v[82:83] neg_lo:[0,1] neg_hi:[0,1]
	v_pk_add_f32 v[218:219], v[218:219], v[6:7] neg_lo:[0,1] neg_hi:[0,1]
	s_wait_dscnt 0x0
	v_dual_mul_f32 v6, v3, v81 :: v_dual_mul_f32 v82, v3, v78
	s_delay_alu instid0(VALU_DEP_1) | instskip(NEXT) | instid1(VALU_DEP_2)
	v_pk_fma_f32 v[6:7], v[2:3], v[202:203], v[6:7] op_sel_hi:[1,1,0] neg_lo:[0,0,1] neg_hi:[0,0,1]
	v_pk_fma_f32 v[2:3], v[2:3], v[202:203], v[82:83] op_sel:[1,0,0] op_sel_hi:[0,1,0]
	s_delay_alu instid0(VALU_DEP_1) | instskip(SKIP_1) | instid1(VALU_DEP_2)
	v_mov_b32_e32 v7, v3
	v_pk_mul_f32 v[2:3], v[4:5], v[80:81] op_sel:[0,1]
	v_pk_add_f32 v[220:221], v[220:221], v[6:7] neg_lo:[0,1] neg_hi:[0,1]
	s_delay_alu instid0(VALU_DEP_2) | instskip(SKIP_1) | instid1(VALU_DEP_1)
	v_pk_fma_f32 v[6:7], v[4:5], v[78:79], v[2:3] op_sel:[0,0,1] op_sel_hi:[1,1,0] neg_lo:[0,0,1] neg_hi:[0,0,1]
	v_pk_fma_f32 v[2:3], v[4:5], v[78:79], v[2:3] op_sel:[0,0,1] op_sel_hi:[1,0,0]
	v_mov_b32_e32 v7, v3
	ds_load_2addr_b64 v[2:5], v126 offset0:47 offset1:48
	v_pk_add_f32 v[222:223], v[222:223], v[6:7] neg_lo:[0,1] neg_hi:[0,1]
	s_wait_dscnt 0x0
	v_pk_mul_f32 v[6:7], v[2:3], v[80:81] op_sel:[0,1]
	s_delay_alu instid0(VALU_DEP_1) | instskip(SKIP_1) | instid1(VALU_DEP_1)
	v_pk_fma_f32 v[82:83], v[2:3], v[78:79], v[6:7] op_sel:[0,0,1] op_sel_hi:[1,1,0] neg_lo:[0,0,1] neg_hi:[0,0,1]
	v_pk_fma_f32 v[2:3], v[2:3], v[78:79], v[6:7] op_sel:[0,0,1] op_sel_hi:[1,0,0]
	v_mov_b32_e32 v83, v3
	v_pk_mul_f32 v[2:3], v[4:5], v[80:81] op_sel:[0,1]
	s_delay_alu instid0(VALU_DEP_2) | instskip(NEXT) | instid1(VALU_DEP_2)
	v_pk_add_f32 v[224:225], v[224:225], v[82:83] neg_lo:[0,1] neg_hi:[0,1]
	v_pk_fma_f32 v[6:7], v[4:5], v[78:79], v[2:3] op_sel:[0,0,1] op_sel_hi:[1,1,0] neg_lo:[0,0,1] neg_hi:[0,0,1]
	v_pk_fma_f32 v[2:3], v[4:5], v[78:79], v[2:3] op_sel:[0,0,1] op_sel_hi:[1,0,0]
	s_delay_alu instid0(VALU_DEP_1) | instskip(SKIP_4) | instid1(VALU_DEP_1)
	v_mov_b32_e32 v7, v3
	ds_load_2addr_b64 v[2:5], v126 offset0:49 offset1:50
	v_pk_add_f32 v[226:227], v[226:227], v[6:7] neg_lo:[0,1] neg_hi:[0,1]
	s_wait_dscnt 0x0
	v_pk_mul_f32 v[6:7], v[2:3], v[80:81] op_sel:[0,1]
	v_pk_fma_f32 v[82:83], v[2:3], v[78:79], v[6:7] op_sel:[0,0,1] op_sel_hi:[1,1,0] neg_lo:[0,0,1] neg_hi:[0,0,1]
	v_pk_fma_f32 v[2:3], v[2:3], v[78:79], v[6:7] op_sel:[0,0,1] op_sel_hi:[1,0,0]
	v_dual_mul_f32 v6, v5, v81 :: v_dual_mov_b32 v2, v5
	s_delay_alu instid0(VALU_DEP_2) | instskip(NEXT) | instid1(VALU_DEP_2)
	v_dual_mov_b32 v83, v3 :: v_dual_mov_b32 v3, v4
	v_pk_fma_f32 v[6:7], v[4:5], v[202:203], v[6:7] op_sel_hi:[1,1,0] neg_lo:[0,0,1] neg_hi:[0,0,1]
	v_mul_f32_e32 v4, v5, v78
	s_delay_alu instid0(VALU_DEP_3) | instskip(NEXT) | instid1(VALU_DEP_2)
	v_pk_add_f32 v[228:229], v[228:229], v[82:83] neg_lo:[0,1] neg_hi:[0,1]
	v_pk_fma_f32 v[2:3], v[2:3], v[202:203], v[4:5] op_sel_hi:[1,1,0]
	s_delay_alu instid0(VALU_DEP_1) | instskip(SKIP_4) | instid1(VALU_DEP_1)
	v_mov_b32_e32 v7, v3
	ds_load_2addr_b64 v[2:5], v126 offset0:51 offset1:52
	v_pk_add_f32 v[230:231], v[230:231], v[6:7] neg_lo:[0,1] neg_hi:[0,1]
	s_wait_dscnt 0x0
	v_pk_mul_f32 v[6:7], v[2:3], v[80:81] op_sel:[0,1]
	v_pk_fma_f32 v[82:83], v[2:3], v[78:79], v[6:7] op_sel:[0,0,1] op_sel_hi:[1,1,0] neg_lo:[0,0,1] neg_hi:[0,0,1]
	v_pk_fma_f32 v[2:3], v[2:3], v[78:79], v[6:7] op_sel:[0,0,1] op_sel_hi:[1,0,0]
	s_delay_alu instid0(VALU_DEP_1) | instskip(SKIP_1) | instid1(VALU_DEP_1)
	v_mov_b32_e32 v83, v3
	v_pk_mul_f32 v[2:3], v[4:5], v[80:81] op_sel:[0,1]
	v_pk_fma_f32 v[6:7], v[4:5], v[78:79], v[2:3] op_sel:[0,0,1] op_sel_hi:[1,1,0] neg_lo:[0,0,1] neg_hi:[0,0,1]
	v_pk_fma_f32 v[2:3], v[4:5], v[78:79], v[2:3] op_sel:[0,0,1] op_sel_hi:[1,0,0]
	s_delay_alu instid0(VALU_DEP_1)
	v_mov_b32_e32 v7, v3
	ds_load_2addr_b64 v[2:5], v126 offset0:53 offset1:54
	v_pk_add_f32 v[232:233], v[232:233], v[82:83] neg_lo:[0,1] neg_hi:[0,1]
	v_pk_add_f32 v[234:235], v[234:235], v[6:7] neg_lo:[0,1] neg_hi:[0,1]
	s_wait_dscnt 0x0
	v_pk_mul_f32 v[6:7], v[2:3], v[80:81] op_sel:[0,1]
	s_delay_alu instid0(VALU_DEP_1) | instskip(SKIP_1) | instid1(VALU_DEP_1)
	v_pk_fma_f32 v[82:83], v[2:3], v[78:79], v[6:7] op_sel:[0,0,1] op_sel_hi:[1,1,0] neg_lo:[0,0,1] neg_hi:[0,0,1]
	v_pk_fma_f32 v[2:3], v[2:3], v[78:79], v[6:7] op_sel:[0,0,1] op_sel_hi:[1,0,0]
	v_mov_b32_e32 v83, v3
	v_pk_mul_f32 v[2:3], v[4:5], v[80:81] op_sel:[0,1]
	s_delay_alu instid0(VALU_DEP_1) | instskip(SKIP_1) | instid1(VALU_DEP_1)
	v_pk_fma_f32 v[6:7], v[4:5], v[78:79], v[2:3] op_sel:[0,0,1] op_sel_hi:[1,1,0] neg_lo:[0,0,1] neg_hi:[0,0,1]
	v_pk_fma_f32 v[2:3], v[4:5], v[78:79], v[2:3] op_sel:[0,0,1] op_sel_hi:[1,0,0]
	v_mov_b32_e32 v7, v3
	ds_load_2addr_b64 v[2:5], v126 offset0:55 offset1:56
	v_pk_add_f32 v[236:237], v[236:237], v[82:83] neg_lo:[0,1] neg_hi:[0,1]
	v_pk_add_f32 v[238:239], v[238:239], v[6:7] neg_lo:[0,1] neg_hi:[0,1]
	s_wait_dscnt 0x0
	v_dual_mul_f32 v6, v3, v81 :: v_dual_mul_f32 v82, v3, v78
	s_delay_alu instid0(VALU_DEP_1) | instskip(NEXT) | instid1(VALU_DEP_2)
	v_pk_fma_f32 v[6:7], v[2:3], v[202:203], v[6:7] op_sel_hi:[1,1,0] neg_lo:[0,0,1] neg_hi:[0,0,1]
	v_pk_fma_f32 v[2:3], v[2:3], v[202:203], v[82:83] op_sel:[1,0,0] op_sel_hi:[0,1,0]
	s_delay_alu instid0(VALU_DEP_1) | instskip(SKIP_1) | instid1(VALU_DEP_2)
	v_mov_b32_e32 v7, v3
	v_pk_mul_f32 v[2:3], v[4:5], v[80:81] op_sel:[0,1]
	v_pk_add_f32 v[240:241], v[240:241], v[6:7] neg_lo:[0,1] neg_hi:[0,1]
	s_delay_alu instid0(VALU_DEP_2) | instskip(SKIP_1) | instid1(VALU_DEP_1)
	v_pk_fma_f32 v[6:7], v[4:5], v[78:79], v[2:3] op_sel:[0,0,1] op_sel_hi:[1,1,0] neg_lo:[0,0,1] neg_hi:[0,0,1]
	v_pk_fma_f32 v[2:3], v[4:5], v[78:79], v[2:3] op_sel:[0,0,1] op_sel_hi:[1,0,0]
	v_mov_b32_e32 v7, v3
	ds_load_2addr_b64 v[2:5], v126 offset0:57 offset1:58
	v_pk_add_f32 v[252:253], v[252:253], v[6:7] neg_lo:[0,1] neg_hi:[0,1]
	s_wait_dscnt 0x0
	v_pk_mul_f32 v[6:7], v[2:3], v[80:81] op_sel:[0,1]
	s_delay_alu instid0(VALU_DEP_1) | instskip(SKIP_1) | instid1(VALU_DEP_1)
	v_pk_fma_f32 v[82:83], v[2:3], v[78:79], v[6:7] op_sel:[0,0,1] op_sel_hi:[1,1,0] neg_lo:[0,0,1] neg_hi:[0,0,1]
	v_pk_fma_f32 v[2:3], v[2:3], v[78:79], v[6:7] op_sel:[0,0,1] op_sel_hi:[1,0,0]
	v_mov_b32_e32 v83, v3
	v_pk_mul_f32 v[2:3], v[4:5], v[80:81] op_sel:[0,1]
	s_delay_alu instid0(VALU_DEP_2) | instskip(NEXT) | instid1(VALU_DEP_2)
	v_pk_add_f32 v[246:247], v[246:247], v[82:83] neg_lo:[0,1] neg_hi:[0,1]
	v_pk_fma_f32 v[6:7], v[4:5], v[78:79], v[2:3] op_sel:[0,0,1] op_sel_hi:[1,1,0] neg_lo:[0,0,1] neg_hi:[0,0,1]
	v_pk_fma_f32 v[2:3], v[4:5], v[78:79], v[2:3] op_sel:[0,0,1] op_sel_hi:[1,0,0]
	s_delay_alu instid0(VALU_DEP_1) | instskip(SKIP_4) | instid1(VALU_DEP_1)
	v_mov_b32_e32 v7, v3
	ds_load_2addr_b64 v[2:5], v126 offset0:59 offset1:60
	v_pk_add_f32 v[250:251], v[250:251], v[6:7] neg_lo:[0,1] neg_hi:[0,1]
	s_wait_dscnt 0x0
	v_pk_mul_f32 v[6:7], v[2:3], v[80:81] op_sel:[0,1]
	v_pk_fma_f32 v[82:83], v[2:3], v[78:79], v[6:7] op_sel:[0,0,1] op_sel_hi:[1,1,0] neg_lo:[0,0,1] neg_hi:[0,0,1]
	v_pk_fma_f32 v[2:3], v[2:3], v[78:79], v[6:7] op_sel:[0,0,1] op_sel_hi:[1,0,0]
	v_dual_mul_f32 v6, v5, v81 :: v_dual_mov_b32 v2, v5
	s_delay_alu instid0(VALU_DEP_2) | instskip(NEXT) | instid1(VALU_DEP_2)
	v_dual_mov_b32 v83, v3 :: v_dual_mov_b32 v3, v4
	v_pk_fma_f32 v[6:7], v[4:5], v[202:203], v[6:7] op_sel_hi:[1,1,0] neg_lo:[0,0,1] neg_hi:[0,0,1]
	v_mul_f32_e32 v4, v5, v78
	s_delay_alu instid0(VALU_DEP_3) | instskip(NEXT) | instid1(VALU_DEP_2)
	v_pk_add_f32 v[244:245], v[244:245], v[82:83] neg_lo:[0,1] neg_hi:[0,1]
	v_pk_fma_f32 v[2:3], v[2:3], v[202:203], v[4:5] op_sel_hi:[1,1,0]
	s_delay_alu instid0(VALU_DEP_1) | instskip(SKIP_4) | instid1(VALU_DEP_1)
	v_mov_b32_e32 v7, v3
	ds_load_2addr_b64 v[2:5], v126 offset0:61 offset1:62
	v_pk_add_f32 v[248:249], v[248:249], v[6:7] neg_lo:[0,1] neg_hi:[0,1]
	s_wait_dscnt 0x0
	v_pk_mul_f32 v[6:7], v[2:3], v[80:81] op_sel:[0,1]
	v_pk_fma_f32 v[82:83], v[2:3], v[78:79], v[6:7] op_sel:[0,0,1] op_sel_hi:[1,1,0] neg_lo:[0,0,1] neg_hi:[0,0,1]
	v_pk_fma_f32 v[2:3], v[2:3], v[78:79], v[6:7] op_sel:[0,0,1] op_sel_hi:[1,0,0]
	s_delay_alu instid0(VALU_DEP_1) | instskip(SKIP_1) | instid1(VALU_DEP_1)
	v_mov_b32_e32 v83, v3
	v_pk_mul_f32 v[2:3], v[4:5], v[80:81] op_sel:[0,1]
	v_pk_fma_f32 v[6:7], v[4:5], v[78:79], v[2:3] op_sel:[0,0,1] op_sel_hi:[1,1,0] neg_lo:[0,0,1] neg_hi:[0,0,1]
	v_pk_fma_f32 v[2:3], v[4:5], v[78:79], v[2:3] op_sel:[0,0,1] op_sel_hi:[1,0,0]
	s_delay_alu instid0(VALU_DEP_1)
	v_mov_b32_e32 v7, v3
	ds_load_b64 v[2:3], v126 offset:504
	v_pk_add_f32 v[242:243], v[242:243], v[82:83] neg_lo:[0,1] neg_hi:[0,1]
	v_pk_add_f32 v[254:255], v[254:255], v[6:7] neg_lo:[0,1] neg_hi:[0,1]
	s_wait_dscnt 0x0
	v_pk_mul_f32 v[4:5], v[2:3], v[80:81] op_sel:[0,1]
	s_delay_alu instid0(VALU_DEP_1) | instskip(SKIP_1) | instid1(VALU_DEP_1)
	v_pk_fma_f32 v[6:7], v[2:3], v[78:79], v[4:5] op_sel:[0,0,1] op_sel_hi:[1,1,0] neg_lo:[0,0,1] neg_hi:[0,0,1]
	v_pk_fma_f32 v[2:3], v[2:3], v[78:79], v[4:5] op_sel:[0,0,1] op_sel_hi:[1,0,0]
	v_mov_b32_e32 v7, v3
	s_delay_alu instid0(VALU_DEP_1)
	v_pk_add_f32 v[0:1], v[0:1], v[6:7] neg_lo:[0,1] neg_hi:[0,1]
.LBB127_334:
	s_or_b32 exec_lo, exec_lo, s1
	s_delay_alu instid0(SALU_CYCLE_1)
	s_mov_b32 s2, exec_lo
	s_wait_dscnt 0x0
	s_barrier_signal -1
	s_barrier_wait -1
	v_cmpx_eq_u32_e32 37, v18
	s_cbranch_execz .LBB127_341
; %bb.335:
	v_dual_mov_b32 v2, v206 :: v_dual_mov_b32 v3, v207
	v_dual_mov_b32 v4, v208 :: v_dual_mov_b32 v5, v209
	ds_store_b64 v19, v[204:205]
	ds_store_2addr_b64 v126, v[2:3], v[4:5] offset0:38 offset1:39
	v_dual_mov_b32 v2, v210 :: v_dual_mov_b32 v3, v211
	v_dual_mov_b32 v4, v212 :: v_dual_mov_b32 v5, v213
	ds_store_2addr_b64 v126, v[2:3], v[4:5] offset0:40 offset1:41
	v_dual_mov_b32 v2, v214 :: v_dual_mov_b32 v3, v215
	v_dual_mov_b32 v4, v216 :: v_dual_mov_b32 v5, v217
	ds_store_2addr_b64 v126, v[2:3], v[4:5] offset0:42 offset1:43
	v_dual_mov_b32 v2, v218 :: v_dual_mov_b32 v3, v219
	v_dual_mov_b32 v4, v220 :: v_dual_mov_b32 v5, v221
	ds_store_2addr_b64 v126, v[2:3], v[4:5] offset0:44 offset1:45
	v_dual_mov_b32 v2, v222 :: v_dual_mov_b32 v3, v223
	v_dual_mov_b32 v4, v224 :: v_dual_mov_b32 v5, v225
	ds_store_2addr_b64 v126, v[2:3], v[4:5] offset0:46 offset1:47
	v_dual_mov_b32 v2, v226 :: v_dual_mov_b32 v3, v227
	v_dual_mov_b32 v4, v228 :: v_dual_mov_b32 v5, v229
	ds_store_2addr_b64 v126, v[2:3], v[4:5] offset0:48 offset1:49
	v_dual_mov_b32 v2, v230 :: v_dual_mov_b32 v3, v231
	v_dual_mov_b32 v4, v232 :: v_dual_mov_b32 v5, v233
	ds_store_2addr_b64 v126, v[2:3], v[4:5] offset0:50 offset1:51
	v_dual_mov_b32 v2, v234 :: v_dual_mov_b32 v3, v235
	v_dual_mov_b32 v4, v236 :: v_dual_mov_b32 v5, v237
	ds_store_2addr_b64 v126, v[2:3], v[4:5] offset0:52 offset1:53
	v_dual_mov_b32 v2, v238 :: v_dual_mov_b32 v3, v239
	v_dual_mov_b32 v4, v240 :: v_dual_mov_b32 v5, v241
	ds_store_2addr_b64 v126, v[2:3], v[4:5] offset0:54 offset1:55
	v_dual_mov_b32 v2, v252 :: v_dual_mov_b32 v3, v253
	v_dual_mov_b32 v4, v246 :: v_dual_mov_b32 v5, v247
	ds_store_2addr_b64 v126, v[2:3], v[4:5] offset0:56 offset1:57
	v_dual_mov_b32 v2, v250 :: v_dual_mov_b32 v3, v251
	v_dual_mov_b32 v4, v244 :: v_dual_mov_b32 v5, v245
	ds_store_2addr_b64 v126, v[2:3], v[4:5] offset0:58 offset1:59
	v_dual_mov_b32 v2, v248 :: v_dual_mov_b32 v3, v249
	v_dual_mov_b32 v4, v242 :: v_dual_mov_b32 v5, v243
	ds_store_2addr_b64 v126, v[2:3], v[4:5] offset0:60 offset1:61
	v_dual_mov_b32 v2, v254 :: v_dual_mov_b32 v3, v255
	ds_store_2addr_b64 v126, v[2:3], v[0:1] offset0:62 offset1:63
	ds_load_b64 v[2:3], v19
	s_wait_dscnt 0x0
	v_cmp_neq_f32_e32 vcc_lo, 0, v2
	v_cmp_neq_f32_e64 s1, 0, v3
	s_or_b32 s1, vcc_lo, s1
	s_delay_alu instid0(SALU_CYCLE_1)
	s_and_b32 exec_lo, exec_lo, s1
	s_cbranch_execz .LBB127_341
; %bb.336:
	v_cmp_ngt_f32_e64 s1, |v2|, |v3|
                                        ; implicit-def: $vgpr4_vgpr5
	s_and_saveexec_b32 s4, s1
	s_delay_alu instid0(SALU_CYCLE_1)
	s_xor_b32 s1, exec_lo, s4
	s_cbranch_execz .LBB127_338
; %bb.337:
	v_div_scale_f32 v4, null, v3, v3, v2
	v_div_scale_f32 v7, vcc_lo, v2, v3, v2
	s_delay_alu instid0(VALU_DEP_2) | instskip(SKIP_1) | instid1(TRANS32_DEP_1)
	v_rcp_f32_e32 v5, v4
	v_nop
	v_fma_f32 v6, -v4, v5, 1.0
	s_delay_alu instid0(VALU_DEP_1) | instskip(NEXT) | instid1(VALU_DEP_1)
	v_fmac_f32_e32 v5, v6, v5
	v_mul_f32_e32 v6, v7, v5
	s_delay_alu instid0(VALU_DEP_1) | instskip(NEXT) | instid1(VALU_DEP_1)
	v_fma_f32 v8, -v4, v6, v7
	v_fmac_f32_e32 v6, v8, v5
	s_delay_alu instid0(VALU_DEP_1) | instskip(NEXT) | instid1(VALU_DEP_1)
	v_fma_f32 v4, -v4, v6, v7
	v_div_fmas_f32 v4, v4, v5, v6
	s_delay_alu instid0(VALU_DEP_1) | instskip(NEXT) | instid1(VALU_DEP_1)
	v_div_fixup_f32 v4, v4, v3, v2
	v_fmac_f32_e32 v3, v2, v4
	s_delay_alu instid0(VALU_DEP_1) | instskip(SKIP_1) | instid1(VALU_DEP_2)
	v_div_scale_f32 v2, null, v3, v3, 1.0
	v_div_scale_f32 v7, vcc_lo, 1.0, v3, 1.0
	v_rcp_f32_e32 v5, v2
	v_nop
	s_delay_alu instid0(TRANS32_DEP_1) | instskip(NEXT) | instid1(VALU_DEP_1)
	v_fma_f32 v6, -v2, v5, 1.0
	v_fmac_f32_e32 v5, v6, v5
	s_delay_alu instid0(VALU_DEP_1) | instskip(NEXT) | instid1(VALU_DEP_1)
	v_mul_f32_e32 v6, v7, v5
	v_fma_f32 v8, -v2, v6, v7
	s_delay_alu instid0(VALU_DEP_1) | instskip(NEXT) | instid1(VALU_DEP_1)
	v_fmac_f32_e32 v6, v8, v5
	v_fma_f32 v2, -v2, v6, v7
	s_delay_alu instid0(VALU_DEP_1) | instskip(NEXT) | instid1(VALU_DEP_1)
	v_div_fmas_f32 v2, v2, v5, v6
	v_div_fixup_f32 v2, v2, v3, 1.0
	s_delay_alu instid0(VALU_DEP_1)
	v_mul_f32_e32 v4, v4, v2
	v_xor_b32_e32 v5, 0x80000000, v2
                                        ; implicit-def: $vgpr2_vgpr3
.LBB127_338:
	s_and_not1_saveexec_b32 s1, s1
	s_cbranch_execz .LBB127_340
; %bb.339:
	v_div_scale_f32 v4, null, v2, v2, v3
	v_div_scale_f32 v7, vcc_lo, v3, v2, v3
	s_delay_alu instid0(VALU_DEP_2) | instskip(SKIP_1) | instid1(TRANS32_DEP_1)
	v_rcp_f32_e32 v5, v4
	v_nop
	v_fma_f32 v6, -v4, v5, 1.0
	s_delay_alu instid0(VALU_DEP_1) | instskip(NEXT) | instid1(VALU_DEP_1)
	v_fmac_f32_e32 v5, v6, v5
	v_mul_f32_e32 v6, v7, v5
	s_delay_alu instid0(VALU_DEP_1) | instskip(NEXT) | instid1(VALU_DEP_1)
	v_fma_f32 v8, -v4, v6, v7
	v_fmac_f32_e32 v6, v8, v5
	s_delay_alu instid0(VALU_DEP_1) | instskip(NEXT) | instid1(VALU_DEP_1)
	v_fma_f32 v4, -v4, v6, v7
	v_div_fmas_f32 v4, v4, v5, v6
	s_delay_alu instid0(VALU_DEP_1) | instskip(NEXT) | instid1(VALU_DEP_1)
	v_div_fixup_f32 v5, v4, v2, v3
	v_fmac_f32_e32 v2, v3, v5
	s_delay_alu instid0(VALU_DEP_1) | instskip(NEXT) | instid1(VALU_DEP_1)
	v_div_scale_f32 v3, null, v2, v2, 1.0
	v_rcp_f32_e32 v4, v3
	v_nop
	s_delay_alu instid0(TRANS32_DEP_1) | instskip(NEXT) | instid1(VALU_DEP_1)
	v_fma_f32 v6, -v3, v4, 1.0
	v_fmac_f32_e32 v4, v6, v4
	v_div_scale_f32 v6, vcc_lo, 1.0, v2, 1.0
	s_delay_alu instid0(VALU_DEP_1) | instskip(NEXT) | instid1(VALU_DEP_1)
	v_mul_f32_e32 v7, v6, v4
	v_fma_f32 v8, -v3, v7, v6
	s_delay_alu instid0(VALU_DEP_1) | instskip(NEXT) | instid1(VALU_DEP_1)
	v_fmac_f32_e32 v7, v8, v4
	v_fma_f32 v3, -v3, v7, v6
	s_delay_alu instid0(VALU_DEP_1) | instskip(NEXT) | instid1(VALU_DEP_1)
	v_div_fmas_f32 v3, v3, v4, v7
	v_div_fixup_f32 v4, v3, v2, 1.0
	s_delay_alu instid0(VALU_DEP_1)
	v_mul_f32_e64 v5, v5, -v4
.LBB127_340:
	s_or_b32 exec_lo, exec_lo, s1
	ds_store_b64 v19, v[4:5]
.LBB127_341:
	s_or_b32 exec_lo, exec_lo, s2
	s_wait_dscnt 0x0
	s_barrier_signal -1
	s_barrier_wait -1
	ds_load_b64 v[78:79], v19
	s_mov_b32 s1, exec_lo
	v_cmpx_lt_u32_e32 37, v18
	s_cbranch_execz .LBB127_343
; %bb.342:
	s_wait_dscnt 0x0
	v_pk_mul_f32 v[2:3], v[78:79], v[204:205] op_sel:[1,1] op_sel_hi:[0,1]
	s_delay_alu instid0(VALU_DEP_1)
	v_pk_fma_f32 v[80:81], v[78:79], v[204:205], v[2:3] op_sel_hi:[1,0,1] neg_lo:[0,0,1] neg_hi:[0,0,1]
	v_pk_fma_f32 v[82:83], v[78:79], v[204:205], v[2:3] op_sel_hi:[1,0,1]
	ds_load_2addr_b64 v[2:5], v126 offset0:38 offset1:39
	v_dual_mov_b32 v204, v80 :: v_dual_mov_b32 v205, v83
	s_wait_dscnt 0x0
	v_pk_mul_f32 v[6:7], v[2:3], v[82:83] op_sel:[0,1]
	s_delay_alu instid0(VALU_DEP_1) | instskip(SKIP_1) | instid1(VALU_DEP_1)
	v_pk_fma_f32 v[84:85], v[2:3], v[80:81], v[6:7] op_sel:[0,0,1] op_sel_hi:[1,1,0] neg_lo:[0,0,1] neg_hi:[0,0,1]
	v_pk_fma_f32 v[2:3], v[2:3], v[80:81], v[6:7] op_sel:[0,0,1] op_sel_hi:[1,0,0]
	v_mov_b32_e32 v85, v3
	v_pk_mul_f32 v[2:3], v[4:5], v[82:83] op_sel:[0,1]
	s_delay_alu instid0(VALU_DEP_1) | instskip(SKIP_1) | instid1(VALU_DEP_1)
	v_pk_fma_f32 v[6:7], v[4:5], v[80:81], v[2:3] op_sel:[0,0,1] op_sel_hi:[1,1,0] neg_lo:[0,0,1] neg_hi:[0,0,1]
	v_pk_fma_f32 v[2:3], v[4:5], v[80:81], v[2:3] op_sel:[0,0,1] op_sel_hi:[1,0,0]
	v_mov_b32_e32 v7, v3
	ds_load_2addr_b64 v[2:5], v126 offset0:40 offset1:41
	v_pk_add_f32 v[206:207], v[206:207], v[84:85] neg_lo:[0,1] neg_hi:[0,1]
	v_pk_add_f32 v[208:209], v[208:209], v[6:7] neg_lo:[0,1] neg_hi:[0,1]
	s_wait_dscnt 0x0
	v_pk_mul_f32 v[6:7], v[2:3], v[82:83] op_sel:[0,1]
	s_delay_alu instid0(VALU_DEP_1) | instskip(SKIP_2) | instid1(VALU_DEP_2)
	v_pk_fma_f32 v[84:85], v[2:3], v[80:81], v[6:7] op_sel:[0,0,1] op_sel_hi:[1,1,0] neg_lo:[0,0,1] neg_hi:[0,0,1]
	v_pk_fma_f32 v[2:3], v[2:3], v[80:81], v[6:7] op_sel:[0,0,1] op_sel_hi:[1,0,0]
	v_dual_mul_f32 v6, v5, v83 :: v_dual_mov_b32 v2, v5
	v_dual_mov_b32 v85, v3 :: v_dual_mov_b32 v3, v4
	s_delay_alu instid0(VALU_DEP_2) | instskip(SKIP_1) | instid1(VALU_DEP_3)
	v_pk_fma_f32 v[6:7], v[4:5], v[204:205], v[6:7] op_sel_hi:[1,1,0] neg_lo:[0,0,1] neg_hi:[0,0,1]
	v_mul_f32_e32 v4, v5, v80
	v_pk_add_f32 v[210:211], v[210:211], v[84:85] neg_lo:[0,1] neg_hi:[0,1]
	s_delay_alu instid0(VALU_DEP_2) | instskip(NEXT) | instid1(VALU_DEP_1)
	v_pk_fma_f32 v[2:3], v[2:3], v[204:205], v[4:5] op_sel_hi:[1,1,0]
	v_mov_b32_e32 v7, v3
	ds_load_2addr_b64 v[2:5], v126 offset0:42 offset1:43
	v_pk_add_f32 v[212:213], v[212:213], v[6:7] neg_lo:[0,1] neg_hi:[0,1]
	s_wait_dscnt 0x0
	v_pk_mul_f32 v[6:7], v[2:3], v[82:83] op_sel:[0,1]
	s_delay_alu instid0(VALU_DEP_1) | instskip(SKIP_1) | instid1(VALU_DEP_1)
	v_pk_fma_f32 v[84:85], v[2:3], v[80:81], v[6:7] op_sel:[0,0,1] op_sel_hi:[1,1,0] neg_lo:[0,0,1] neg_hi:[0,0,1]
	v_pk_fma_f32 v[2:3], v[2:3], v[80:81], v[6:7] op_sel:[0,0,1] op_sel_hi:[1,0,0]
	v_mov_b32_e32 v85, v3
	v_pk_mul_f32 v[2:3], v[4:5], v[82:83] op_sel:[0,1]
	s_delay_alu instid0(VALU_DEP_1) | instskip(SKIP_1) | instid1(VALU_DEP_1)
	v_pk_fma_f32 v[6:7], v[4:5], v[80:81], v[2:3] op_sel:[0,0,1] op_sel_hi:[1,1,0] neg_lo:[0,0,1] neg_hi:[0,0,1]
	v_pk_fma_f32 v[2:3], v[4:5], v[80:81], v[2:3] op_sel:[0,0,1] op_sel_hi:[1,0,0]
	v_mov_b32_e32 v7, v3
	ds_load_2addr_b64 v[2:5], v126 offset0:44 offset1:45
	v_pk_add_f32 v[214:215], v[214:215], v[84:85] neg_lo:[0,1] neg_hi:[0,1]
	v_pk_add_f32 v[216:217], v[216:217], v[6:7] neg_lo:[0,1] neg_hi:[0,1]
	s_wait_dscnt 0x0
	v_pk_mul_f32 v[6:7], v[2:3], v[82:83] op_sel:[0,1]
	s_delay_alu instid0(VALU_DEP_1) | instskip(SKIP_1) | instid1(VALU_DEP_1)
	v_pk_fma_f32 v[84:85], v[2:3], v[80:81], v[6:7] op_sel:[0,0,1] op_sel_hi:[1,1,0] neg_lo:[0,0,1] neg_hi:[0,0,1]
	v_pk_fma_f32 v[2:3], v[2:3], v[80:81], v[6:7] op_sel:[0,0,1] op_sel_hi:[1,0,0]
	v_mov_b32_e32 v85, v3
	v_pk_mul_f32 v[2:3], v[4:5], v[82:83] op_sel:[0,1]
	s_delay_alu instid0(VALU_DEP_1) | instskip(SKIP_1) | instid1(VALU_DEP_1)
	v_pk_fma_f32 v[6:7], v[4:5], v[80:81], v[2:3] op_sel:[0,0,1] op_sel_hi:[1,1,0] neg_lo:[0,0,1] neg_hi:[0,0,1]
	v_pk_fma_f32 v[2:3], v[4:5], v[80:81], v[2:3] op_sel:[0,0,1] op_sel_hi:[1,0,0]
	v_mov_b32_e32 v7, v3
	ds_load_2addr_b64 v[2:5], v126 offset0:46 offset1:47
	v_pk_add_f32 v[218:219], v[218:219], v[84:85] neg_lo:[0,1] neg_hi:[0,1]
	v_pk_add_f32 v[220:221], v[220:221], v[6:7] neg_lo:[0,1] neg_hi:[0,1]
	s_wait_dscnt 0x0
	v_dual_mul_f32 v6, v3, v83 :: v_dual_mul_f32 v84, v3, v80
	s_delay_alu instid0(VALU_DEP_1) | instskip(NEXT) | instid1(VALU_DEP_2)
	v_pk_fma_f32 v[6:7], v[2:3], v[204:205], v[6:7] op_sel_hi:[1,1,0] neg_lo:[0,0,1] neg_hi:[0,0,1]
	v_pk_fma_f32 v[2:3], v[2:3], v[204:205], v[84:85] op_sel:[1,0,0] op_sel_hi:[0,1,0]
	s_delay_alu instid0(VALU_DEP_1) | instskip(SKIP_1) | instid1(VALU_DEP_2)
	v_mov_b32_e32 v7, v3
	v_pk_mul_f32 v[2:3], v[4:5], v[82:83] op_sel:[0,1]
	v_pk_add_f32 v[222:223], v[222:223], v[6:7] neg_lo:[0,1] neg_hi:[0,1]
	s_delay_alu instid0(VALU_DEP_2) | instskip(SKIP_1) | instid1(VALU_DEP_1)
	v_pk_fma_f32 v[6:7], v[4:5], v[80:81], v[2:3] op_sel:[0,0,1] op_sel_hi:[1,1,0] neg_lo:[0,0,1] neg_hi:[0,0,1]
	v_pk_fma_f32 v[2:3], v[4:5], v[80:81], v[2:3] op_sel:[0,0,1] op_sel_hi:[1,0,0]
	v_mov_b32_e32 v7, v3
	ds_load_2addr_b64 v[2:5], v126 offset0:48 offset1:49
	v_pk_add_f32 v[224:225], v[224:225], v[6:7] neg_lo:[0,1] neg_hi:[0,1]
	s_wait_dscnt 0x0
	v_pk_mul_f32 v[6:7], v[2:3], v[82:83] op_sel:[0,1]
	s_delay_alu instid0(VALU_DEP_1) | instskip(SKIP_1) | instid1(VALU_DEP_1)
	v_pk_fma_f32 v[84:85], v[2:3], v[80:81], v[6:7] op_sel:[0,0,1] op_sel_hi:[1,1,0] neg_lo:[0,0,1] neg_hi:[0,0,1]
	v_pk_fma_f32 v[2:3], v[2:3], v[80:81], v[6:7] op_sel:[0,0,1] op_sel_hi:[1,0,0]
	v_mov_b32_e32 v85, v3
	v_pk_mul_f32 v[2:3], v[4:5], v[82:83] op_sel:[0,1]
	s_delay_alu instid0(VALU_DEP_2) | instskip(NEXT) | instid1(VALU_DEP_2)
	v_pk_add_f32 v[226:227], v[226:227], v[84:85] neg_lo:[0,1] neg_hi:[0,1]
	v_pk_fma_f32 v[6:7], v[4:5], v[80:81], v[2:3] op_sel:[0,0,1] op_sel_hi:[1,1,0] neg_lo:[0,0,1] neg_hi:[0,0,1]
	v_pk_fma_f32 v[2:3], v[4:5], v[80:81], v[2:3] op_sel:[0,0,1] op_sel_hi:[1,0,0]
	s_delay_alu instid0(VALU_DEP_1) | instskip(SKIP_4) | instid1(VALU_DEP_1)
	v_mov_b32_e32 v7, v3
	ds_load_2addr_b64 v[2:5], v126 offset0:50 offset1:51
	v_pk_add_f32 v[228:229], v[228:229], v[6:7] neg_lo:[0,1] neg_hi:[0,1]
	s_wait_dscnt 0x0
	v_pk_mul_f32 v[6:7], v[2:3], v[82:83] op_sel:[0,1]
	v_pk_fma_f32 v[84:85], v[2:3], v[80:81], v[6:7] op_sel:[0,0,1] op_sel_hi:[1,1,0] neg_lo:[0,0,1] neg_hi:[0,0,1]
	v_pk_fma_f32 v[2:3], v[2:3], v[80:81], v[6:7] op_sel:[0,0,1] op_sel_hi:[1,0,0]
	v_dual_mul_f32 v6, v5, v83 :: v_dual_mov_b32 v2, v5
	s_delay_alu instid0(VALU_DEP_2) | instskip(NEXT) | instid1(VALU_DEP_2)
	v_dual_mov_b32 v85, v3 :: v_dual_mov_b32 v3, v4
	v_pk_fma_f32 v[6:7], v[4:5], v[204:205], v[6:7] op_sel_hi:[1,1,0] neg_lo:[0,0,1] neg_hi:[0,0,1]
	v_mul_f32_e32 v4, v5, v80
	s_delay_alu instid0(VALU_DEP_3) | instskip(NEXT) | instid1(VALU_DEP_2)
	v_pk_add_f32 v[230:231], v[230:231], v[84:85] neg_lo:[0,1] neg_hi:[0,1]
	v_pk_fma_f32 v[2:3], v[2:3], v[204:205], v[4:5] op_sel_hi:[1,1,0]
	s_delay_alu instid0(VALU_DEP_1) | instskip(SKIP_4) | instid1(VALU_DEP_1)
	v_mov_b32_e32 v7, v3
	ds_load_2addr_b64 v[2:5], v126 offset0:52 offset1:53
	v_pk_add_f32 v[232:233], v[232:233], v[6:7] neg_lo:[0,1] neg_hi:[0,1]
	s_wait_dscnt 0x0
	v_pk_mul_f32 v[6:7], v[2:3], v[82:83] op_sel:[0,1]
	v_pk_fma_f32 v[84:85], v[2:3], v[80:81], v[6:7] op_sel:[0,0,1] op_sel_hi:[1,1,0] neg_lo:[0,0,1] neg_hi:[0,0,1]
	v_pk_fma_f32 v[2:3], v[2:3], v[80:81], v[6:7] op_sel:[0,0,1] op_sel_hi:[1,0,0]
	s_delay_alu instid0(VALU_DEP_1) | instskip(SKIP_1) | instid1(VALU_DEP_1)
	v_mov_b32_e32 v85, v3
	v_pk_mul_f32 v[2:3], v[4:5], v[82:83] op_sel:[0,1]
	v_pk_fma_f32 v[6:7], v[4:5], v[80:81], v[2:3] op_sel:[0,0,1] op_sel_hi:[1,1,0] neg_lo:[0,0,1] neg_hi:[0,0,1]
	v_pk_fma_f32 v[2:3], v[4:5], v[80:81], v[2:3] op_sel:[0,0,1] op_sel_hi:[1,0,0]
	s_delay_alu instid0(VALU_DEP_1)
	v_mov_b32_e32 v7, v3
	ds_load_2addr_b64 v[2:5], v126 offset0:54 offset1:55
	v_pk_add_f32 v[234:235], v[234:235], v[84:85] neg_lo:[0,1] neg_hi:[0,1]
	v_pk_add_f32 v[236:237], v[236:237], v[6:7] neg_lo:[0,1] neg_hi:[0,1]
	s_wait_dscnt 0x0
	v_pk_mul_f32 v[6:7], v[2:3], v[82:83] op_sel:[0,1]
	s_delay_alu instid0(VALU_DEP_1) | instskip(SKIP_1) | instid1(VALU_DEP_1)
	v_pk_fma_f32 v[84:85], v[2:3], v[80:81], v[6:7] op_sel:[0,0,1] op_sel_hi:[1,1,0] neg_lo:[0,0,1] neg_hi:[0,0,1]
	v_pk_fma_f32 v[2:3], v[2:3], v[80:81], v[6:7] op_sel:[0,0,1] op_sel_hi:[1,0,0]
	v_mov_b32_e32 v85, v3
	v_pk_mul_f32 v[2:3], v[4:5], v[82:83] op_sel:[0,1]
	s_delay_alu instid0(VALU_DEP_1) | instskip(SKIP_1) | instid1(VALU_DEP_1)
	v_pk_fma_f32 v[6:7], v[4:5], v[80:81], v[2:3] op_sel:[0,0,1] op_sel_hi:[1,1,0] neg_lo:[0,0,1] neg_hi:[0,0,1]
	v_pk_fma_f32 v[2:3], v[4:5], v[80:81], v[2:3] op_sel:[0,0,1] op_sel_hi:[1,0,0]
	v_mov_b32_e32 v7, v3
	ds_load_2addr_b64 v[2:5], v126 offset0:56 offset1:57
	v_pk_add_f32 v[238:239], v[238:239], v[84:85] neg_lo:[0,1] neg_hi:[0,1]
	v_pk_add_f32 v[240:241], v[240:241], v[6:7] neg_lo:[0,1] neg_hi:[0,1]
	s_wait_dscnt 0x0
	v_dual_mul_f32 v6, v3, v83 :: v_dual_mul_f32 v84, v3, v80
	s_delay_alu instid0(VALU_DEP_1) | instskip(NEXT) | instid1(VALU_DEP_2)
	v_pk_fma_f32 v[6:7], v[2:3], v[204:205], v[6:7] op_sel_hi:[1,1,0] neg_lo:[0,0,1] neg_hi:[0,0,1]
	v_pk_fma_f32 v[2:3], v[2:3], v[204:205], v[84:85] op_sel:[1,0,0] op_sel_hi:[0,1,0]
	s_delay_alu instid0(VALU_DEP_1) | instskip(SKIP_1) | instid1(VALU_DEP_2)
	v_mov_b32_e32 v7, v3
	v_pk_mul_f32 v[2:3], v[4:5], v[82:83] op_sel:[0,1]
	v_pk_add_f32 v[252:253], v[252:253], v[6:7] neg_lo:[0,1] neg_hi:[0,1]
	s_delay_alu instid0(VALU_DEP_2) | instskip(SKIP_1) | instid1(VALU_DEP_1)
	v_pk_fma_f32 v[6:7], v[4:5], v[80:81], v[2:3] op_sel:[0,0,1] op_sel_hi:[1,1,0] neg_lo:[0,0,1] neg_hi:[0,0,1]
	v_pk_fma_f32 v[2:3], v[4:5], v[80:81], v[2:3] op_sel:[0,0,1] op_sel_hi:[1,0,0]
	v_mov_b32_e32 v7, v3
	ds_load_2addr_b64 v[2:5], v126 offset0:58 offset1:59
	v_pk_add_f32 v[246:247], v[246:247], v[6:7] neg_lo:[0,1] neg_hi:[0,1]
	s_wait_dscnt 0x0
	v_pk_mul_f32 v[6:7], v[2:3], v[82:83] op_sel:[0,1]
	s_delay_alu instid0(VALU_DEP_1) | instskip(SKIP_1) | instid1(VALU_DEP_1)
	v_pk_fma_f32 v[84:85], v[2:3], v[80:81], v[6:7] op_sel:[0,0,1] op_sel_hi:[1,1,0] neg_lo:[0,0,1] neg_hi:[0,0,1]
	v_pk_fma_f32 v[2:3], v[2:3], v[80:81], v[6:7] op_sel:[0,0,1] op_sel_hi:[1,0,0]
	v_mov_b32_e32 v85, v3
	v_pk_mul_f32 v[2:3], v[4:5], v[82:83] op_sel:[0,1]
	s_delay_alu instid0(VALU_DEP_2) | instskip(NEXT) | instid1(VALU_DEP_2)
	v_pk_add_f32 v[250:251], v[250:251], v[84:85] neg_lo:[0,1] neg_hi:[0,1]
	v_pk_fma_f32 v[6:7], v[4:5], v[80:81], v[2:3] op_sel:[0,0,1] op_sel_hi:[1,1,0] neg_lo:[0,0,1] neg_hi:[0,0,1]
	v_pk_fma_f32 v[2:3], v[4:5], v[80:81], v[2:3] op_sel:[0,0,1] op_sel_hi:[1,0,0]
	s_delay_alu instid0(VALU_DEP_1) | instskip(SKIP_4) | instid1(VALU_DEP_1)
	v_mov_b32_e32 v7, v3
	ds_load_2addr_b64 v[2:5], v126 offset0:60 offset1:61
	v_pk_add_f32 v[244:245], v[244:245], v[6:7] neg_lo:[0,1] neg_hi:[0,1]
	s_wait_dscnt 0x0
	v_pk_mul_f32 v[6:7], v[2:3], v[82:83] op_sel:[0,1]
	v_pk_fma_f32 v[84:85], v[2:3], v[80:81], v[6:7] op_sel:[0,0,1] op_sel_hi:[1,1,0] neg_lo:[0,0,1] neg_hi:[0,0,1]
	v_pk_fma_f32 v[2:3], v[2:3], v[80:81], v[6:7] op_sel:[0,0,1] op_sel_hi:[1,0,0]
	v_dual_mul_f32 v6, v5, v83 :: v_dual_mov_b32 v2, v5
	s_delay_alu instid0(VALU_DEP_2) | instskip(NEXT) | instid1(VALU_DEP_2)
	v_dual_mov_b32 v85, v3 :: v_dual_mov_b32 v3, v4
	v_pk_fma_f32 v[6:7], v[4:5], v[204:205], v[6:7] op_sel_hi:[1,1,0] neg_lo:[0,0,1] neg_hi:[0,0,1]
	v_mul_f32_e32 v4, v5, v80
	s_delay_alu instid0(VALU_DEP_3) | instskip(NEXT) | instid1(VALU_DEP_2)
	v_pk_add_f32 v[248:249], v[248:249], v[84:85] neg_lo:[0,1] neg_hi:[0,1]
	v_pk_fma_f32 v[2:3], v[2:3], v[204:205], v[4:5] op_sel_hi:[1,1,0]
	s_delay_alu instid0(VALU_DEP_1) | instskip(SKIP_4) | instid1(VALU_DEP_1)
	v_mov_b32_e32 v7, v3
	ds_load_2addr_b64 v[2:5], v126 offset0:62 offset1:63
	v_pk_add_f32 v[242:243], v[242:243], v[6:7] neg_lo:[0,1] neg_hi:[0,1]
	s_wait_dscnt 0x0
	v_pk_mul_f32 v[6:7], v[2:3], v[82:83] op_sel:[0,1]
	v_pk_fma_f32 v[84:85], v[2:3], v[80:81], v[6:7] op_sel:[0,0,1] op_sel_hi:[1,1,0] neg_lo:[0,0,1] neg_hi:[0,0,1]
	v_pk_fma_f32 v[2:3], v[2:3], v[80:81], v[6:7] op_sel:[0,0,1] op_sel_hi:[1,0,0]
	s_delay_alu instid0(VALU_DEP_1) | instskip(SKIP_1) | instid1(VALU_DEP_1)
	v_mov_b32_e32 v85, v3
	v_pk_mul_f32 v[2:3], v[4:5], v[82:83] op_sel:[0,1]
	v_pk_fma_f32 v[6:7], v[4:5], v[80:81], v[2:3] op_sel:[0,0,1] op_sel_hi:[1,1,0] neg_lo:[0,0,1] neg_hi:[0,0,1]
	v_pk_fma_f32 v[2:3], v[4:5], v[80:81], v[2:3] op_sel:[0,0,1] op_sel_hi:[1,0,0]
	s_delay_alu instid0(VALU_DEP_1) | instskip(SKIP_1) | instid1(VALU_DEP_2)
	v_mov_b32_e32 v7, v3
	v_pk_add_f32 v[254:255], v[254:255], v[84:85] neg_lo:[0,1] neg_hi:[0,1]
	v_pk_add_f32 v[0:1], v[0:1], v[6:7] neg_lo:[0,1] neg_hi:[0,1]
.LBB127_343:
	s_or_b32 exec_lo, exec_lo, s1
	s_delay_alu instid0(SALU_CYCLE_1)
	s_mov_b32 s2, exec_lo
	s_wait_dscnt 0x0
	s_barrier_signal -1
	s_barrier_wait -1
	v_cmpx_eq_u32_e32 38, v18
	s_cbranch_execz .LBB127_350
; %bb.344:
	ds_store_b64 v19, v[206:207]
	ds_store_2addr_b64 v126, v[208:209], v[210:211] offset0:39 offset1:40
	ds_store_2addr_b64 v126, v[212:213], v[214:215] offset0:41 offset1:42
	;; [unrolled: 1-line block ×12, first 2 shown]
	ds_store_b64 v126, v[0:1] offset:504
	ds_load_b64 v[2:3], v19
	s_wait_dscnt 0x0
	v_cmp_neq_f32_e32 vcc_lo, 0, v2
	v_cmp_neq_f32_e64 s1, 0, v3
	s_or_b32 s1, vcc_lo, s1
	s_delay_alu instid0(SALU_CYCLE_1)
	s_and_b32 exec_lo, exec_lo, s1
	s_cbranch_execz .LBB127_350
; %bb.345:
	v_cmp_ngt_f32_e64 s1, |v2|, |v3|
                                        ; implicit-def: $vgpr4_vgpr5
	s_and_saveexec_b32 s4, s1
	s_delay_alu instid0(SALU_CYCLE_1)
	s_xor_b32 s1, exec_lo, s4
	s_cbranch_execz .LBB127_347
; %bb.346:
	v_div_scale_f32 v4, null, v3, v3, v2
	v_div_scale_f32 v7, vcc_lo, v2, v3, v2
	s_delay_alu instid0(VALU_DEP_2) | instskip(SKIP_1) | instid1(TRANS32_DEP_1)
	v_rcp_f32_e32 v5, v4
	v_nop
	v_fma_f32 v6, -v4, v5, 1.0
	s_delay_alu instid0(VALU_DEP_1) | instskip(NEXT) | instid1(VALU_DEP_1)
	v_fmac_f32_e32 v5, v6, v5
	v_mul_f32_e32 v6, v7, v5
	s_delay_alu instid0(VALU_DEP_1) | instskip(NEXT) | instid1(VALU_DEP_1)
	v_fma_f32 v8, -v4, v6, v7
	v_fmac_f32_e32 v6, v8, v5
	s_delay_alu instid0(VALU_DEP_1) | instskip(NEXT) | instid1(VALU_DEP_1)
	v_fma_f32 v4, -v4, v6, v7
	v_div_fmas_f32 v4, v4, v5, v6
	s_delay_alu instid0(VALU_DEP_1) | instskip(NEXT) | instid1(VALU_DEP_1)
	v_div_fixup_f32 v4, v4, v3, v2
	v_fmac_f32_e32 v3, v2, v4
	s_delay_alu instid0(VALU_DEP_1) | instskip(SKIP_1) | instid1(VALU_DEP_2)
	v_div_scale_f32 v2, null, v3, v3, 1.0
	v_div_scale_f32 v7, vcc_lo, 1.0, v3, 1.0
	v_rcp_f32_e32 v5, v2
	v_nop
	s_delay_alu instid0(TRANS32_DEP_1) | instskip(NEXT) | instid1(VALU_DEP_1)
	v_fma_f32 v6, -v2, v5, 1.0
	v_fmac_f32_e32 v5, v6, v5
	s_delay_alu instid0(VALU_DEP_1) | instskip(NEXT) | instid1(VALU_DEP_1)
	v_mul_f32_e32 v6, v7, v5
	v_fma_f32 v8, -v2, v6, v7
	s_delay_alu instid0(VALU_DEP_1) | instskip(NEXT) | instid1(VALU_DEP_1)
	v_fmac_f32_e32 v6, v8, v5
	v_fma_f32 v2, -v2, v6, v7
	s_delay_alu instid0(VALU_DEP_1) | instskip(NEXT) | instid1(VALU_DEP_1)
	v_div_fmas_f32 v2, v2, v5, v6
	v_div_fixup_f32 v2, v2, v3, 1.0
	s_delay_alu instid0(VALU_DEP_1)
	v_mul_f32_e32 v4, v4, v2
	v_xor_b32_e32 v5, 0x80000000, v2
                                        ; implicit-def: $vgpr2_vgpr3
.LBB127_347:
	s_and_not1_saveexec_b32 s1, s1
	s_cbranch_execz .LBB127_349
; %bb.348:
	v_div_scale_f32 v4, null, v2, v2, v3
	v_div_scale_f32 v7, vcc_lo, v3, v2, v3
	s_delay_alu instid0(VALU_DEP_2) | instskip(SKIP_1) | instid1(TRANS32_DEP_1)
	v_rcp_f32_e32 v5, v4
	v_nop
	v_fma_f32 v6, -v4, v5, 1.0
	s_delay_alu instid0(VALU_DEP_1) | instskip(NEXT) | instid1(VALU_DEP_1)
	v_fmac_f32_e32 v5, v6, v5
	v_mul_f32_e32 v6, v7, v5
	s_delay_alu instid0(VALU_DEP_1) | instskip(NEXT) | instid1(VALU_DEP_1)
	v_fma_f32 v8, -v4, v6, v7
	v_fmac_f32_e32 v6, v8, v5
	s_delay_alu instid0(VALU_DEP_1) | instskip(NEXT) | instid1(VALU_DEP_1)
	v_fma_f32 v4, -v4, v6, v7
	v_div_fmas_f32 v4, v4, v5, v6
	s_delay_alu instid0(VALU_DEP_1) | instskip(NEXT) | instid1(VALU_DEP_1)
	v_div_fixup_f32 v5, v4, v2, v3
	v_fmac_f32_e32 v2, v3, v5
	s_delay_alu instid0(VALU_DEP_1) | instskip(NEXT) | instid1(VALU_DEP_1)
	v_div_scale_f32 v3, null, v2, v2, 1.0
	v_rcp_f32_e32 v4, v3
	v_nop
	s_delay_alu instid0(TRANS32_DEP_1) | instskip(NEXT) | instid1(VALU_DEP_1)
	v_fma_f32 v6, -v3, v4, 1.0
	v_fmac_f32_e32 v4, v6, v4
	v_div_scale_f32 v6, vcc_lo, 1.0, v2, 1.0
	s_delay_alu instid0(VALU_DEP_1) | instskip(NEXT) | instid1(VALU_DEP_1)
	v_mul_f32_e32 v7, v6, v4
	v_fma_f32 v8, -v3, v7, v6
	s_delay_alu instid0(VALU_DEP_1) | instskip(NEXT) | instid1(VALU_DEP_1)
	v_fmac_f32_e32 v7, v8, v4
	v_fma_f32 v3, -v3, v7, v6
	s_delay_alu instid0(VALU_DEP_1) | instskip(NEXT) | instid1(VALU_DEP_1)
	v_div_fmas_f32 v3, v3, v4, v7
	v_div_fixup_f32 v4, v3, v2, 1.0
	s_delay_alu instid0(VALU_DEP_1)
	v_mul_f32_e64 v5, v5, -v4
.LBB127_349:
	s_or_b32 exec_lo, exec_lo, s1
	ds_store_b64 v19, v[4:5]
.LBB127_350:
	s_or_b32 exec_lo, exec_lo, s2
	s_wait_dscnt 0x0
	s_barrier_signal -1
	s_barrier_wait -1
	ds_load_b64 v[80:81], v19
	s_mov_b32 s1, exec_lo
	v_cmpx_lt_u32_e32 38, v18
	s_cbranch_execz .LBB127_352
; %bb.351:
	s_wait_dscnt 0x0
	v_pk_mul_f32 v[2:3], v[80:81], v[206:207] op_sel:[1,1] op_sel_hi:[0,1]
	s_delay_alu instid0(VALU_DEP_1)
	v_pk_fma_f32 v[82:83], v[80:81], v[206:207], v[2:3] op_sel_hi:[1,0,1] neg_lo:[0,0,1] neg_hi:[0,0,1]
	v_pk_fma_f32 v[84:85], v[80:81], v[206:207], v[2:3] op_sel_hi:[1,0,1]
	ds_load_2addr_b64 v[2:5], v126 offset0:39 offset1:40
	v_dual_mov_b32 v206, v82 :: v_dual_mov_b32 v207, v85
	s_wait_dscnt 0x0
	v_pk_mul_f32 v[6:7], v[2:3], v[84:85] op_sel:[0,1]
	s_delay_alu instid0(VALU_DEP_1) | instskip(SKIP_1) | instid1(VALU_DEP_1)
	v_pk_fma_f32 v[86:87], v[2:3], v[82:83], v[6:7] op_sel:[0,0,1] op_sel_hi:[1,1,0] neg_lo:[0,0,1] neg_hi:[0,0,1]
	v_pk_fma_f32 v[2:3], v[2:3], v[82:83], v[6:7] op_sel:[0,0,1] op_sel_hi:[1,0,0]
	v_mov_b32_e32 v87, v3
	v_pk_mul_f32 v[2:3], v[4:5], v[84:85] op_sel:[0,1]
	s_delay_alu instid0(VALU_DEP_1) | instskip(SKIP_1) | instid1(VALU_DEP_1)
	v_pk_fma_f32 v[6:7], v[4:5], v[82:83], v[2:3] op_sel:[0,0,1] op_sel_hi:[1,1,0] neg_lo:[0,0,1] neg_hi:[0,0,1]
	v_pk_fma_f32 v[2:3], v[4:5], v[82:83], v[2:3] op_sel:[0,0,1] op_sel_hi:[1,0,0]
	v_mov_b32_e32 v7, v3
	ds_load_2addr_b64 v[2:5], v126 offset0:41 offset1:42
	v_pk_add_f32 v[208:209], v[208:209], v[86:87] neg_lo:[0,1] neg_hi:[0,1]
	v_pk_add_f32 v[210:211], v[210:211], v[6:7] neg_lo:[0,1] neg_hi:[0,1]
	s_wait_dscnt 0x0
	v_pk_mul_f32 v[6:7], v[2:3], v[84:85] op_sel:[0,1]
	s_delay_alu instid0(VALU_DEP_1) | instskip(SKIP_2) | instid1(VALU_DEP_2)
	v_pk_fma_f32 v[86:87], v[2:3], v[82:83], v[6:7] op_sel:[0,0,1] op_sel_hi:[1,1,0] neg_lo:[0,0,1] neg_hi:[0,0,1]
	v_pk_fma_f32 v[2:3], v[2:3], v[82:83], v[6:7] op_sel:[0,0,1] op_sel_hi:[1,0,0]
	v_dual_mul_f32 v6, v5, v85 :: v_dual_mov_b32 v2, v5
	v_dual_mov_b32 v87, v3 :: v_dual_mov_b32 v3, v4
	s_delay_alu instid0(VALU_DEP_2) | instskip(SKIP_1) | instid1(VALU_DEP_3)
	v_pk_fma_f32 v[6:7], v[4:5], v[206:207], v[6:7] op_sel_hi:[1,1,0] neg_lo:[0,0,1] neg_hi:[0,0,1]
	v_mul_f32_e32 v4, v5, v82
	v_pk_add_f32 v[212:213], v[212:213], v[86:87] neg_lo:[0,1] neg_hi:[0,1]
	s_delay_alu instid0(VALU_DEP_2) | instskip(NEXT) | instid1(VALU_DEP_1)
	v_pk_fma_f32 v[2:3], v[2:3], v[206:207], v[4:5] op_sel_hi:[1,1,0]
	v_mov_b32_e32 v7, v3
	ds_load_2addr_b64 v[2:5], v126 offset0:43 offset1:44
	v_pk_add_f32 v[214:215], v[214:215], v[6:7] neg_lo:[0,1] neg_hi:[0,1]
	s_wait_dscnt 0x0
	v_pk_mul_f32 v[6:7], v[2:3], v[84:85] op_sel:[0,1]
	s_delay_alu instid0(VALU_DEP_1) | instskip(SKIP_1) | instid1(VALU_DEP_1)
	v_pk_fma_f32 v[86:87], v[2:3], v[82:83], v[6:7] op_sel:[0,0,1] op_sel_hi:[1,1,0] neg_lo:[0,0,1] neg_hi:[0,0,1]
	v_pk_fma_f32 v[2:3], v[2:3], v[82:83], v[6:7] op_sel:[0,0,1] op_sel_hi:[1,0,0]
	v_mov_b32_e32 v87, v3
	v_pk_mul_f32 v[2:3], v[4:5], v[84:85] op_sel:[0,1]
	s_delay_alu instid0(VALU_DEP_1) | instskip(SKIP_1) | instid1(VALU_DEP_1)
	v_pk_fma_f32 v[6:7], v[4:5], v[82:83], v[2:3] op_sel:[0,0,1] op_sel_hi:[1,1,0] neg_lo:[0,0,1] neg_hi:[0,0,1]
	v_pk_fma_f32 v[2:3], v[4:5], v[82:83], v[2:3] op_sel:[0,0,1] op_sel_hi:[1,0,0]
	v_mov_b32_e32 v7, v3
	ds_load_2addr_b64 v[2:5], v126 offset0:45 offset1:46
	v_pk_add_f32 v[216:217], v[216:217], v[86:87] neg_lo:[0,1] neg_hi:[0,1]
	v_pk_add_f32 v[218:219], v[218:219], v[6:7] neg_lo:[0,1] neg_hi:[0,1]
	s_wait_dscnt 0x0
	v_pk_mul_f32 v[6:7], v[2:3], v[84:85] op_sel:[0,1]
	s_delay_alu instid0(VALU_DEP_1) | instskip(SKIP_1) | instid1(VALU_DEP_1)
	v_pk_fma_f32 v[86:87], v[2:3], v[82:83], v[6:7] op_sel:[0,0,1] op_sel_hi:[1,1,0] neg_lo:[0,0,1] neg_hi:[0,0,1]
	v_pk_fma_f32 v[2:3], v[2:3], v[82:83], v[6:7] op_sel:[0,0,1] op_sel_hi:[1,0,0]
	v_mov_b32_e32 v87, v3
	v_pk_mul_f32 v[2:3], v[4:5], v[84:85] op_sel:[0,1]
	s_delay_alu instid0(VALU_DEP_1) | instskip(SKIP_1) | instid1(VALU_DEP_1)
	v_pk_fma_f32 v[6:7], v[4:5], v[82:83], v[2:3] op_sel:[0,0,1] op_sel_hi:[1,1,0] neg_lo:[0,0,1] neg_hi:[0,0,1]
	v_pk_fma_f32 v[2:3], v[4:5], v[82:83], v[2:3] op_sel:[0,0,1] op_sel_hi:[1,0,0]
	v_mov_b32_e32 v7, v3
	ds_load_2addr_b64 v[2:5], v126 offset0:47 offset1:48
	v_pk_add_f32 v[220:221], v[220:221], v[86:87] neg_lo:[0,1] neg_hi:[0,1]
	v_pk_add_f32 v[222:223], v[222:223], v[6:7] neg_lo:[0,1] neg_hi:[0,1]
	s_wait_dscnt 0x0
	v_dual_mul_f32 v6, v3, v85 :: v_dual_mul_f32 v86, v3, v82
	s_delay_alu instid0(VALU_DEP_1) | instskip(NEXT) | instid1(VALU_DEP_2)
	v_pk_fma_f32 v[6:7], v[2:3], v[206:207], v[6:7] op_sel_hi:[1,1,0] neg_lo:[0,0,1] neg_hi:[0,0,1]
	v_pk_fma_f32 v[2:3], v[2:3], v[206:207], v[86:87] op_sel:[1,0,0] op_sel_hi:[0,1,0]
	s_delay_alu instid0(VALU_DEP_1) | instskip(SKIP_1) | instid1(VALU_DEP_2)
	v_mov_b32_e32 v7, v3
	v_pk_mul_f32 v[2:3], v[4:5], v[84:85] op_sel:[0,1]
	v_pk_add_f32 v[224:225], v[224:225], v[6:7] neg_lo:[0,1] neg_hi:[0,1]
	s_delay_alu instid0(VALU_DEP_2) | instskip(SKIP_1) | instid1(VALU_DEP_1)
	v_pk_fma_f32 v[6:7], v[4:5], v[82:83], v[2:3] op_sel:[0,0,1] op_sel_hi:[1,1,0] neg_lo:[0,0,1] neg_hi:[0,0,1]
	v_pk_fma_f32 v[2:3], v[4:5], v[82:83], v[2:3] op_sel:[0,0,1] op_sel_hi:[1,0,0]
	v_mov_b32_e32 v7, v3
	ds_load_2addr_b64 v[2:5], v126 offset0:49 offset1:50
	v_pk_add_f32 v[226:227], v[226:227], v[6:7] neg_lo:[0,1] neg_hi:[0,1]
	s_wait_dscnt 0x0
	v_pk_mul_f32 v[6:7], v[2:3], v[84:85] op_sel:[0,1]
	s_delay_alu instid0(VALU_DEP_1) | instskip(SKIP_1) | instid1(VALU_DEP_1)
	v_pk_fma_f32 v[86:87], v[2:3], v[82:83], v[6:7] op_sel:[0,0,1] op_sel_hi:[1,1,0] neg_lo:[0,0,1] neg_hi:[0,0,1]
	v_pk_fma_f32 v[2:3], v[2:3], v[82:83], v[6:7] op_sel:[0,0,1] op_sel_hi:[1,0,0]
	v_mov_b32_e32 v87, v3
	v_pk_mul_f32 v[2:3], v[4:5], v[84:85] op_sel:[0,1]
	s_delay_alu instid0(VALU_DEP_2) | instskip(NEXT) | instid1(VALU_DEP_2)
	v_pk_add_f32 v[228:229], v[228:229], v[86:87] neg_lo:[0,1] neg_hi:[0,1]
	v_pk_fma_f32 v[6:7], v[4:5], v[82:83], v[2:3] op_sel:[0,0,1] op_sel_hi:[1,1,0] neg_lo:[0,0,1] neg_hi:[0,0,1]
	v_pk_fma_f32 v[2:3], v[4:5], v[82:83], v[2:3] op_sel:[0,0,1] op_sel_hi:[1,0,0]
	s_delay_alu instid0(VALU_DEP_1) | instskip(SKIP_4) | instid1(VALU_DEP_1)
	v_mov_b32_e32 v7, v3
	ds_load_2addr_b64 v[2:5], v126 offset0:51 offset1:52
	v_pk_add_f32 v[230:231], v[230:231], v[6:7] neg_lo:[0,1] neg_hi:[0,1]
	s_wait_dscnt 0x0
	v_pk_mul_f32 v[6:7], v[2:3], v[84:85] op_sel:[0,1]
	v_pk_fma_f32 v[86:87], v[2:3], v[82:83], v[6:7] op_sel:[0,0,1] op_sel_hi:[1,1,0] neg_lo:[0,0,1] neg_hi:[0,0,1]
	v_pk_fma_f32 v[2:3], v[2:3], v[82:83], v[6:7] op_sel:[0,0,1] op_sel_hi:[1,0,0]
	v_dual_mul_f32 v6, v5, v85 :: v_dual_mov_b32 v2, v5
	s_delay_alu instid0(VALU_DEP_2) | instskip(NEXT) | instid1(VALU_DEP_2)
	v_dual_mov_b32 v87, v3 :: v_dual_mov_b32 v3, v4
	v_pk_fma_f32 v[6:7], v[4:5], v[206:207], v[6:7] op_sel_hi:[1,1,0] neg_lo:[0,0,1] neg_hi:[0,0,1]
	v_mul_f32_e32 v4, v5, v82
	s_delay_alu instid0(VALU_DEP_3) | instskip(NEXT) | instid1(VALU_DEP_2)
	v_pk_add_f32 v[232:233], v[232:233], v[86:87] neg_lo:[0,1] neg_hi:[0,1]
	v_pk_fma_f32 v[2:3], v[2:3], v[206:207], v[4:5] op_sel_hi:[1,1,0]
	s_delay_alu instid0(VALU_DEP_1) | instskip(SKIP_4) | instid1(VALU_DEP_1)
	v_mov_b32_e32 v7, v3
	ds_load_2addr_b64 v[2:5], v126 offset0:53 offset1:54
	v_pk_add_f32 v[234:235], v[234:235], v[6:7] neg_lo:[0,1] neg_hi:[0,1]
	s_wait_dscnt 0x0
	v_pk_mul_f32 v[6:7], v[2:3], v[84:85] op_sel:[0,1]
	v_pk_fma_f32 v[86:87], v[2:3], v[82:83], v[6:7] op_sel:[0,0,1] op_sel_hi:[1,1,0] neg_lo:[0,0,1] neg_hi:[0,0,1]
	v_pk_fma_f32 v[2:3], v[2:3], v[82:83], v[6:7] op_sel:[0,0,1] op_sel_hi:[1,0,0]
	s_delay_alu instid0(VALU_DEP_1) | instskip(SKIP_1) | instid1(VALU_DEP_1)
	v_mov_b32_e32 v87, v3
	v_pk_mul_f32 v[2:3], v[4:5], v[84:85] op_sel:[0,1]
	v_pk_fma_f32 v[6:7], v[4:5], v[82:83], v[2:3] op_sel:[0,0,1] op_sel_hi:[1,1,0] neg_lo:[0,0,1] neg_hi:[0,0,1]
	v_pk_fma_f32 v[2:3], v[4:5], v[82:83], v[2:3] op_sel:[0,0,1] op_sel_hi:[1,0,0]
	s_delay_alu instid0(VALU_DEP_1)
	v_mov_b32_e32 v7, v3
	ds_load_2addr_b64 v[2:5], v126 offset0:55 offset1:56
	v_pk_add_f32 v[236:237], v[236:237], v[86:87] neg_lo:[0,1] neg_hi:[0,1]
	v_pk_add_f32 v[238:239], v[238:239], v[6:7] neg_lo:[0,1] neg_hi:[0,1]
	s_wait_dscnt 0x0
	v_pk_mul_f32 v[6:7], v[2:3], v[84:85] op_sel:[0,1]
	s_delay_alu instid0(VALU_DEP_1) | instskip(SKIP_1) | instid1(VALU_DEP_1)
	v_pk_fma_f32 v[86:87], v[2:3], v[82:83], v[6:7] op_sel:[0,0,1] op_sel_hi:[1,1,0] neg_lo:[0,0,1] neg_hi:[0,0,1]
	v_pk_fma_f32 v[2:3], v[2:3], v[82:83], v[6:7] op_sel:[0,0,1] op_sel_hi:[1,0,0]
	v_mov_b32_e32 v87, v3
	v_pk_mul_f32 v[2:3], v[4:5], v[84:85] op_sel:[0,1]
	s_delay_alu instid0(VALU_DEP_1) | instskip(SKIP_1) | instid1(VALU_DEP_1)
	v_pk_fma_f32 v[6:7], v[4:5], v[82:83], v[2:3] op_sel:[0,0,1] op_sel_hi:[1,1,0] neg_lo:[0,0,1] neg_hi:[0,0,1]
	v_pk_fma_f32 v[2:3], v[4:5], v[82:83], v[2:3] op_sel:[0,0,1] op_sel_hi:[1,0,0]
	v_mov_b32_e32 v7, v3
	ds_load_2addr_b64 v[2:5], v126 offset0:57 offset1:58
	v_pk_add_f32 v[240:241], v[240:241], v[86:87] neg_lo:[0,1] neg_hi:[0,1]
	v_pk_add_f32 v[252:253], v[252:253], v[6:7] neg_lo:[0,1] neg_hi:[0,1]
	s_wait_dscnt 0x0
	v_dual_mul_f32 v6, v3, v85 :: v_dual_mul_f32 v86, v3, v82
	s_delay_alu instid0(VALU_DEP_1) | instskip(NEXT) | instid1(VALU_DEP_2)
	v_pk_fma_f32 v[6:7], v[2:3], v[206:207], v[6:7] op_sel_hi:[1,1,0] neg_lo:[0,0,1] neg_hi:[0,0,1]
	v_pk_fma_f32 v[2:3], v[2:3], v[206:207], v[86:87] op_sel:[1,0,0] op_sel_hi:[0,1,0]
	s_delay_alu instid0(VALU_DEP_1) | instskip(SKIP_1) | instid1(VALU_DEP_2)
	v_mov_b32_e32 v7, v3
	v_pk_mul_f32 v[2:3], v[4:5], v[84:85] op_sel:[0,1]
	v_pk_add_f32 v[246:247], v[246:247], v[6:7] neg_lo:[0,1] neg_hi:[0,1]
	s_delay_alu instid0(VALU_DEP_2) | instskip(SKIP_1) | instid1(VALU_DEP_1)
	v_pk_fma_f32 v[6:7], v[4:5], v[82:83], v[2:3] op_sel:[0,0,1] op_sel_hi:[1,1,0] neg_lo:[0,0,1] neg_hi:[0,0,1]
	v_pk_fma_f32 v[2:3], v[4:5], v[82:83], v[2:3] op_sel:[0,0,1] op_sel_hi:[1,0,0]
	v_mov_b32_e32 v7, v3
	ds_load_2addr_b64 v[2:5], v126 offset0:59 offset1:60
	v_pk_add_f32 v[250:251], v[250:251], v[6:7] neg_lo:[0,1] neg_hi:[0,1]
	s_wait_dscnt 0x0
	v_pk_mul_f32 v[6:7], v[2:3], v[84:85] op_sel:[0,1]
	s_delay_alu instid0(VALU_DEP_1) | instskip(SKIP_1) | instid1(VALU_DEP_1)
	v_pk_fma_f32 v[86:87], v[2:3], v[82:83], v[6:7] op_sel:[0,0,1] op_sel_hi:[1,1,0] neg_lo:[0,0,1] neg_hi:[0,0,1]
	v_pk_fma_f32 v[2:3], v[2:3], v[82:83], v[6:7] op_sel:[0,0,1] op_sel_hi:[1,0,0]
	v_mov_b32_e32 v87, v3
	v_pk_mul_f32 v[2:3], v[4:5], v[84:85] op_sel:[0,1]
	s_delay_alu instid0(VALU_DEP_2) | instskip(NEXT) | instid1(VALU_DEP_2)
	v_pk_add_f32 v[244:245], v[244:245], v[86:87] neg_lo:[0,1] neg_hi:[0,1]
	v_pk_fma_f32 v[6:7], v[4:5], v[82:83], v[2:3] op_sel:[0,0,1] op_sel_hi:[1,1,0] neg_lo:[0,0,1] neg_hi:[0,0,1]
	v_pk_fma_f32 v[2:3], v[4:5], v[82:83], v[2:3] op_sel:[0,0,1] op_sel_hi:[1,0,0]
	s_delay_alu instid0(VALU_DEP_1) | instskip(SKIP_4) | instid1(VALU_DEP_1)
	v_mov_b32_e32 v7, v3
	ds_load_2addr_b64 v[2:5], v126 offset0:61 offset1:62
	v_pk_add_f32 v[248:249], v[248:249], v[6:7] neg_lo:[0,1] neg_hi:[0,1]
	s_wait_dscnt 0x0
	v_pk_mul_f32 v[6:7], v[2:3], v[84:85] op_sel:[0,1]
	v_pk_fma_f32 v[86:87], v[2:3], v[82:83], v[6:7] op_sel:[0,0,1] op_sel_hi:[1,1,0] neg_lo:[0,0,1] neg_hi:[0,0,1]
	v_pk_fma_f32 v[2:3], v[2:3], v[82:83], v[6:7] op_sel:[0,0,1] op_sel_hi:[1,0,0]
	v_dual_mul_f32 v6, v5, v85 :: v_dual_mov_b32 v2, v5
	s_delay_alu instid0(VALU_DEP_2) | instskip(NEXT) | instid1(VALU_DEP_2)
	v_dual_mov_b32 v87, v3 :: v_dual_mov_b32 v3, v4
	v_pk_fma_f32 v[6:7], v[4:5], v[206:207], v[6:7] op_sel_hi:[1,1,0] neg_lo:[0,0,1] neg_hi:[0,0,1]
	v_mul_f32_e32 v4, v5, v82
	s_delay_alu instid0(VALU_DEP_3) | instskip(NEXT) | instid1(VALU_DEP_2)
	v_pk_add_f32 v[242:243], v[242:243], v[86:87] neg_lo:[0,1] neg_hi:[0,1]
	v_pk_fma_f32 v[2:3], v[2:3], v[206:207], v[4:5] op_sel_hi:[1,1,0]
	s_delay_alu instid0(VALU_DEP_1) | instskip(SKIP_4) | instid1(VALU_DEP_1)
	v_mov_b32_e32 v7, v3
	ds_load_b64 v[2:3], v126 offset:504
	v_pk_add_f32 v[254:255], v[254:255], v[6:7] neg_lo:[0,1] neg_hi:[0,1]
	s_wait_dscnt 0x0
	v_pk_mul_f32 v[4:5], v[2:3], v[84:85] op_sel:[0,1]
	v_pk_fma_f32 v[6:7], v[2:3], v[82:83], v[4:5] op_sel:[0,0,1] op_sel_hi:[1,1,0] neg_lo:[0,0,1] neg_hi:[0,0,1]
	v_pk_fma_f32 v[2:3], v[2:3], v[82:83], v[4:5] op_sel:[0,0,1] op_sel_hi:[1,0,0]
	s_delay_alu instid0(VALU_DEP_1) | instskip(NEXT) | instid1(VALU_DEP_1)
	v_mov_b32_e32 v7, v3
	v_pk_add_f32 v[0:1], v[0:1], v[6:7] neg_lo:[0,1] neg_hi:[0,1]
.LBB127_352:
	s_or_b32 exec_lo, exec_lo, s1
	s_delay_alu instid0(SALU_CYCLE_1)
	s_mov_b32 s2, exec_lo
	s_wait_dscnt 0x0
	s_barrier_signal -1
	s_barrier_wait -1
	v_cmpx_eq_u32_e32 39, v18
	s_cbranch_execz .LBB127_359
; %bb.353:
	v_dual_mov_b32 v2, v210 :: v_dual_mov_b32 v3, v211
	v_dual_mov_b32 v4, v212 :: v_dual_mov_b32 v5, v213
	ds_store_b64 v19, v[208:209]
	ds_store_2addr_b64 v126, v[2:3], v[4:5] offset0:40 offset1:41
	v_dual_mov_b32 v2, v214 :: v_dual_mov_b32 v3, v215
	v_dual_mov_b32 v4, v216 :: v_dual_mov_b32 v5, v217
	ds_store_2addr_b64 v126, v[2:3], v[4:5] offset0:42 offset1:43
	v_dual_mov_b32 v2, v218 :: v_dual_mov_b32 v3, v219
	v_dual_mov_b32 v4, v220 :: v_dual_mov_b32 v5, v221
	;; [unrolled: 3-line block ×10, first 2 shown]
	ds_store_2addr_b64 v126, v[2:3], v[4:5] offset0:60 offset1:61
	v_dual_mov_b32 v2, v254 :: v_dual_mov_b32 v3, v255
	ds_store_2addr_b64 v126, v[2:3], v[0:1] offset0:62 offset1:63
	ds_load_b64 v[2:3], v19
	s_wait_dscnt 0x0
	v_cmp_neq_f32_e32 vcc_lo, 0, v2
	v_cmp_neq_f32_e64 s1, 0, v3
	s_or_b32 s1, vcc_lo, s1
	s_delay_alu instid0(SALU_CYCLE_1)
	s_and_b32 exec_lo, exec_lo, s1
	s_cbranch_execz .LBB127_359
; %bb.354:
	v_cmp_ngt_f32_e64 s1, |v2|, |v3|
                                        ; implicit-def: $vgpr4_vgpr5
	s_and_saveexec_b32 s4, s1
	s_delay_alu instid0(SALU_CYCLE_1)
	s_xor_b32 s1, exec_lo, s4
	s_cbranch_execz .LBB127_356
; %bb.355:
	v_div_scale_f32 v4, null, v3, v3, v2
	v_div_scale_f32 v7, vcc_lo, v2, v3, v2
	s_delay_alu instid0(VALU_DEP_2) | instskip(SKIP_1) | instid1(TRANS32_DEP_1)
	v_rcp_f32_e32 v5, v4
	v_nop
	v_fma_f32 v6, -v4, v5, 1.0
	s_delay_alu instid0(VALU_DEP_1) | instskip(NEXT) | instid1(VALU_DEP_1)
	v_fmac_f32_e32 v5, v6, v5
	v_mul_f32_e32 v6, v7, v5
	s_delay_alu instid0(VALU_DEP_1) | instskip(NEXT) | instid1(VALU_DEP_1)
	v_fma_f32 v8, -v4, v6, v7
	v_fmac_f32_e32 v6, v8, v5
	s_delay_alu instid0(VALU_DEP_1) | instskip(NEXT) | instid1(VALU_DEP_1)
	v_fma_f32 v4, -v4, v6, v7
	v_div_fmas_f32 v4, v4, v5, v6
	s_delay_alu instid0(VALU_DEP_1) | instskip(NEXT) | instid1(VALU_DEP_1)
	v_div_fixup_f32 v4, v4, v3, v2
	v_fmac_f32_e32 v3, v2, v4
	s_delay_alu instid0(VALU_DEP_1) | instskip(SKIP_1) | instid1(VALU_DEP_2)
	v_div_scale_f32 v2, null, v3, v3, 1.0
	v_div_scale_f32 v7, vcc_lo, 1.0, v3, 1.0
	v_rcp_f32_e32 v5, v2
	v_nop
	s_delay_alu instid0(TRANS32_DEP_1) | instskip(NEXT) | instid1(VALU_DEP_1)
	v_fma_f32 v6, -v2, v5, 1.0
	v_fmac_f32_e32 v5, v6, v5
	s_delay_alu instid0(VALU_DEP_1) | instskip(NEXT) | instid1(VALU_DEP_1)
	v_mul_f32_e32 v6, v7, v5
	v_fma_f32 v8, -v2, v6, v7
	s_delay_alu instid0(VALU_DEP_1) | instskip(NEXT) | instid1(VALU_DEP_1)
	v_fmac_f32_e32 v6, v8, v5
	v_fma_f32 v2, -v2, v6, v7
	s_delay_alu instid0(VALU_DEP_1) | instskip(NEXT) | instid1(VALU_DEP_1)
	v_div_fmas_f32 v2, v2, v5, v6
	v_div_fixup_f32 v2, v2, v3, 1.0
	s_delay_alu instid0(VALU_DEP_1)
	v_mul_f32_e32 v4, v4, v2
	v_xor_b32_e32 v5, 0x80000000, v2
                                        ; implicit-def: $vgpr2_vgpr3
.LBB127_356:
	s_and_not1_saveexec_b32 s1, s1
	s_cbranch_execz .LBB127_358
; %bb.357:
	v_div_scale_f32 v4, null, v2, v2, v3
	v_div_scale_f32 v7, vcc_lo, v3, v2, v3
	s_delay_alu instid0(VALU_DEP_2) | instskip(SKIP_1) | instid1(TRANS32_DEP_1)
	v_rcp_f32_e32 v5, v4
	v_nop
	v_fma_f32 v6, -v4, v5, 1.0
	s_delay_alu instid0(VALU_DEP_1) | instskip(NEXT) | instid1(VALU_DEP_1)
	v_fmac_f32_e32 v5, v6, v5
	v_mul_f32_e32 v6, v7, v5
	s_delay_alu instid0(VALU_DEP_1) | instskip(NEXT) | instid1(VALU_DEP_1)
	v_fma_f32 v8, -v4, v6, v7
	v_fmac_f32_e32 v6, v8, v5
	s_delay_alu instid0(VALU_DEP_1) | instskip(NEXT) | instid1(VALU_DEP_1)
	v_fma_f32 v4, -v4, v6, v7
	v_div_fmas_f32 v4, v4, v5, v6
	s_delay_alu instid0(VALU_DEP_1) | instskip(NEXT) | instid1(VALU_DEP_1)
	v_div_fixup_f32 v5, v4, v2, v3
	v_fmac_f32_e32 v2, v3, v5
	s_delay_alu instid0(VALU_DEP_1) | instskip(NEXT) | instid1(VALU_DEP_1)
	v_div_scale_f32 v3, null, v2, v2, 1.0
	v_rcp_f32_e32 v4, v3
	v_nop
	s_delay_alu instid0(TRANS32_DEP_1) | instskip(NEXT) | instid1(VALU_DEP_1)
	v_fma_f32 v6, -v3, v4, 1.0
	v_fmac_f32_e32 v4, v6, v4
	v_div_scale_f32 v6, vcc_lo, 1.0, v2, 1.0
	s_delay_alu instid0(VALU_DEP_1) | instskip(NEXT) | instid1(VALU_DEP_1)
	v_mul_f32_e32 v7, v6, v4
	v_fma_f32 v8, -v3, v7, v6
	s_delay_alu instid0(VALU_DEP_1) | instskip(NEXT) | instid1(VALU_DEP_1)
	v_fmac_f32_e32 v7, v8, v4
	v_fma_f32 v3, -v3, v7, v6
	s_delay_alu instid0(VALU_DEP_1) | instskip(NEXT) | instid1(VALU_DEP_1)
	v_div_fmas_f32 v3, v3, v4, v7
	v_div_fixup_f32 v4, v3, v2, 1.0
	s_delay_alu instid0(VALU_DEP_1)
	v_mul_f32_e64 v5, v5, -v4
.LBB127_358:
	s_or_b32 exec_lo, exec_lo, s1
	ds_store_b64 v19, v[4:5]
.LBB127_359:
	s_or_b32 exec_lo, exec_lo, s2
	s_wait_dscnt 0x0
	s_barrier_signal -1
	s_barrier_wait -1
	ds_load_b64 v[82:83], v19
	s_mov_b32 s1, exec_lo
	v_cmpx_lt_u32_e32 39, v18
	s_cbranch_execz .LBB127_361
; %bb.360:
	ds_load_2addr_b64 v[86:89], v126 offset0:40 offset1:41
	s_wait_dscnt 0x1
	v_pk_mul_f32 v[4:5], v[82:83], v[208:209] op_sel:[1,1] op_sel_hi:[0,1]
	s_delay_alu instid0(VALU_DEP_1) | instskip(SKIP_1) | instid1(VALU_DEP_1)
	v_pk_fma_f32 v[84:85], v[82:83], v[208:209], v[4:5] op_sel_hi:[1,0,1]
	v_pk_fma_f32 v[2:3], v[82:83], v[208:209], v[4:5] op_sel_hi:[1,0,1] neg_lo:[0,0,1] neg_hi:[0,0,1]
	v_dual_mov_b32 v209, v85 :: v_dual_mov_b32 v208, v2
	s_wait_dscnt 0x0
	s_delay_alu instid0(VALU_DEP_3) | instskip(NEXT) | instid1(VALU_DEP_1)
	v_pk_mul_f32 v[4:5], v[86:87], v[84:85] op_sel:[0,1]
	v_pk_fma_f32 v[6:7], v[86:87], v[2:3], v[4:5] op_sel:[0,0,1] op_sel_hi:[1,1,0] neg_lo:[0,0,1] neg_hi:[0,0,1]
	v_pk_fma_f32 v[4:5], v[86:87], v[2:3], v[4:5] op_sel:[0,0,1] op_sel_hi:[1,0,0]
	s_delay_alu instid0(VALU_DEP_1) | instskip(SKIP_1) | instid1(VALU_DEP_2)
	v_mov_b32_e32 v7, v5
	v_pk_mul_f32 v[4:5], v[88:89], v[84:85] op_sel:[0,1]
	v_pk_add_f32 v[210:211], v[210:211], v[6:7] neg_lo:[0,1] neg_hi:[0,1]
	s_delay_alu instid0(VALU_DEP_2) | instskip(SKIP_3) | instid1(VALU_DEP_1)
	v_pk_fma_f32 v[6:7], v[88:89], v[2:3], v[4:5] op_sel:[0,0,1] op_sel_hi:[1,1,0] neg_lo:[0,0,1] neg_hi:[0,0,1]
	v_pk_fma_f32 v[4:5], v[88:89], v[2:3], v[4:5] op_sel:[0,0,1] op_sel_hi:[1,0,0]
	ds_load_2addr_b64 v[86:89], v126 offset0:42 offset1:43
	v_mov_b32_e32 v7, v5
	v_pk_add_f32 v[212:213], v[212:213], v[6:7] neg_lo:[0,1] neg_hi:[0,1]
	s_wait_dscnt 0x0
	v_pk_mul_f32 v[4:5], v[86:87], v[84:85] op_sel:[0,1]
	s_delay_alu instid0(VALU_DEP_1) | instskip(SKIP_2) | instid1(VALU_DEP_2)
	v_pk_fma_f32 v[6:7], v[86:87], v[2:3], v[4:5] op_sel:[0,0,1] op_sel_hi:[1,1,0] neg_lo:[0,0,1] neg_hi:[0,0,1]
	v_pk_fma_f32 v[4:5], v[86:87], v[2:3], v[4:5] op_sel:[0,0,1] op_sel_hi:[1,0,0]
	v_dual_mov_b32 v4, v89 :: v_dual_mul_f32 v86, v89, v2
	v_dual_mov_b32 v7, v5 :: v_dual_mov_b32 v5, v88
	s_delay_alu instid0(VALU_DEP_1) | instskip(SKIP_1) | instid1(VALU_DEP_3)
	v_pk_add_f32 v[214:215], v[214:215], v[6:7] neg_lo:[0,1] neg_hi:[0,1]
	v_mul_f32_e32 v6, v89, v85
	v_pk_fma_f32 v[4:5], v[4:5], v[208:209], v[86:87] op_sel_hi:[1,1,0]
	s_delay_alu instid0(VALU_DEP_2) | instskip(SKIP_2) | instid1(VALU_DEP_1)
	v_pk_fma_f32 v[6:7], v[88:89], v[208:209], v[6:7] op_sel_hi:[1,1,0] neg_lo:[0,0,1] neg_hi:[0,0,1]
	ds_load_2addr_b64 v[86:89], v126 offset0:44 offset1:45
	v_mov_b32_e32 v7, v5
	v_pk_add_f32 v[216:217], v[216:217], v[6:7] neg_lo:[0,1] neg_hi:[0,1]
	s_wait_dscnt 0x0
	v_pk_mul_f32 v[4:5], v[86:87], v[84:85] op_sel:[0,1]
	s_delay_alu instid0(VALU_DEP_1) | instskip(SKIP_1) | instid1(VALU_DEP_1)
	v_pk_fma_f32 v[6:7], v[86:87], v[2:3], v[4:5] op_sel:[0,0,1] op_sel_hi:[1,1,0] neg_lo:[0,0,1] neg_hi:[0,0,1]
	v_pk_fma_f32 v[4:5], v[86:87], v[2:3], v[4:5] op_sel:[0,0,1] op_sel_hi:[1,0,0]
	v_mov_b32_e32 v7, v5
	v_pk_mul_f32 v[4:5], v[88:89], v[84:85] op_sel:[0,1]
	s_delay_alu instid0(VALU_DEP_2) | instskip(NEXT) | instid1(VALU_DEP_2)
	v_pk_add_f32 v[218:219], v[218:219], v[6:7] neg_lo:[0,1] neg_hi:[0,1]
	v_pk_fma_f32 v[6:7], v[88:89], v[2:3], v[4:5] op_sel:[0,0,1] op_sel_hi:[1,1,0] neg_lo:[0,0,1] neg_hi:[0,0,1]
	v_pk_fma_f32 v[4:5], v[88:89], v[2:3], v[4:5] op_sel:[0,0,1] op_sel_hi:[1,0,0]
	ds_load_2addr_b64 v[86:89], v126 offset0:46 offset1:47
	v_mov_b32_e32 v7, v5
	s_delay_alu instid0(VALU_DEP_1) | instskip(SKIP_2) | instid1(VALU_DEP_1)
	v_pk_add_f32 v[220:221], v[220:221], v[6:7] neg_lo:[0,1] neg_hi:[0,1]
	s_wait_dscnt 0x0
	v_pk_mul_f32 v[4:5], v[86:87], v[84:85] op_sel:[0,1]
	v_pk_fma_f32 v[6:7], v[86:87], v[2:3], v[4:5] op_sel:[0,0,1] op_sel_hi:[1,1,0] neg_lo:[0,0,1] neg_hi:[0,0,1]
	v_pk_fma_f32 v[4:5], v[86:87], v[2:3], v[4:5] op_sel:[0,0,1] op_sel_hi:[1,0,0]
	s_delay_alu instid0(VALU_DEP_1) | instskip(SKIP_1) | instid1(VALU_DEP_2)
	v_mov_b32_e32 v7, v5
	v_pk_mul_f32 v[4:5], v[88:89], v[84:85] op_sel:[0,1]
	v_pk_add_f32 v[222:223], v[222:223], v[6:7] neg_lo:[0,1] neg_hi:[0,1]
	s_delay_alu instid0(VALU_DEP_2) | instskip(SKIP_3) | instid1(VALU_DEP_1)
	v_pk_fma_f32 v[6:7], v[88:89], v[2:3], v[4:5] op_sel:[0,0,1] op_sel_hi:[1,1,0] neg_lo:[0,0,1] neg_hi:[0,0,1]
	v_pk_fma_f32 v[4:5], v[88:89], v[2:3], v[4:5] op_sel:[0,0,1] op_sel_hi:[1,0,0]
	ds_load_2addr_b64 v[86:89], v126 offset0:48 offset1:49
	v_mov_b32_e32 v7, v5
	v_pk_add_f32 v[224:225], v[224:225], v[6:7] neg_lo:[0,1] neg_hi:[0,1]
	s_wait_dscnt 0x0
	v_dual_mul_f32 v6, v87, v2 :: v_dual_mul_f32 v4, v87, v85
	s_delay_alu instid0(VALU_DEP_1) | instskip(NEXT) | instid1(VALU_DEP_2)
	v_pk_fma_f32 v[6:7], v[86:87], v[208:209], v[6:7] op_sel:[1,0,0] op_sel_hi:[0,1,0]
	v_pk_fma_f32 v[4:5], v[86:87], v[208:209], v[4:5] op_sel_hi:[1,1,0] neg_lo:[0,0,1] neg_hi:[0,0,1]
	s_delay_alu instid0(VALU_DEP_2) | instskip(NEXT) | instid1(VALU_DEP_1)
	v_mov_b32_e32 v5, v7
	v_pk_add_f32 v[226:227], v[226:227], v[4:5] neg_lo:[0,1] neg_hi:[0,1]
	v_pk_mul_f32 v[4:5], v[88:89], v[84:85] op_sel:[0,1]
	s_delay_alu instid0(VALU_DEP_1) | instskip(SKIP_3) | instid1(VALU_DEP_1)
	v_pk_fma_f32 v[6:7], v[88:89], v[2:3], v[4:5] op_sel:[0,0,1] op_sel_hi:[1,1,0] neg_lo:[0,0,1] neg_hi:[0,0,1]
	v_pk_fma_f32 v[4:5], v[88:89], v[2:3], v[4:5] op_sel:[0,0,1] op_sel_hi:[1,0,0]
	ds_load_2addr_b64 v[86:89], v126 offset0:50 offset1:51
	v_mov_b32_e32 v7, v5
	v_pk_add_f32 v[228:229], v[228:229], v[6:7] neg_lo:[0,1] neg_hi:[0,1]
	s_wait_dscnt 0x0
	v_pk_mul_f32 v[4:5], v[86:87], v[84:85] op_sel:[0,1]
	s_delay_alu instid0(VALU_DEP_1) | instskip(SKIP_1) | instid1(VALU_DEP_1)
	v_pk_fma_f32 v[6:7], v[86:87], v[2:3], v[4:5] op_sel:[0,0,1] op_sel_hi:[1,1,0] neg_lo:[0,0,1] neg_hi:[0,0,1]
	v_pk_fma_f32 v[4:5], v[86:87], v[2:3], v[4:5] op_sel:[0,0,1] op_sel_hi:[1,0,0]
	v_mov_b32_e32 v7, v5
	v_pk_mul_f32 v[4:5], v[88:89], v[84:85] op_sel:[0,1]
	s_delay_alu instid0(VALU_DEP_2) | instskip(NEXT) | instid1(VALU_DEP_2)
	v_pk_add_f32 v[230:231], v[230:231], v[6:7] neg_lo:[0,1] neg_hi:[0,1]
	v_pk_fma_f32 v[6:7], v[88:89], v[2:3], v[4:5] op_sel:[0,0,1] op_sel_hi:[1,1,0] neg_lo:[0,0,1] neg_hi:[0,0,1]
	v_pk_fma_f32 v[4:5], v[88:89], v[2:3], v[4:5] op_sel:[0,0,1] op_sel_hi:[1,0,0]
	ds_load_2addr_b64 v[86:89], v126 offset0:52 offset1:53
	v_mov_b32_e32 v7, v5
	s_delay_alu instid0(VALU_DEP_1) | instskip(SKIP_2) | instid1(VALU_DEP_1)
	v_pk_add_f32 v[232:233], v[232:233], v[6:7] neg_lo:[0,1] neg_hi:[0,1]
	s_wait_dscnt 0x0
	v_pk_mul_f32 v[4:5], v[86:87], v[84:85] op_sel:[0,1]
	v_pk_fma_f32 v[6:7], v[86:87], v[2:3], v[4:5] op_sel:[0,0,1] op_sel_hi:[1,1,0] neg_lo:[0,0,1] neg_hi:[0,0,1]
	v_pk_fma_f32 v[4:5], v[86:87], v[2:3], v[4:5] op_sel:[0,0,1] op_sel_hi:[1,0,0]
	v_dual_mov_b32 v4, v89 :: v_dual_mul_f32 v86, v89, v2
	s_delay_alu instid0(VALU_DEP_2) | instskip(NEXT) | instid1(VALU_DEP_1)
	v_dual_mov_b32 v7, v5 :: v_dual_mov_b32 v5, v88
	v_pk_add_f32 v[234:235], v[234:235], v[6:7] neg_lo:[0,1] neg_hi:[0,1]
	v_mul_f32_e32 v6, v89, v85
	s_delay_alu instid0(VALU_DEP_3) | instskip(NEXT) | instid1(VALU_DEP_2)
	v_pk_fma_f32 v[4:5], v[4:5], v[208:209], v[86:87] op_sel_hi:[1,1,0]
	v_pk_fma_f32 v[6:7], v[88:89], v[208:209], v[6:7] op_sel_hi:[1,1,0] neg_lo:[0,0,1] neg_hi:[0,0,1]
	ds_load_2addr_b64 v[86:89], v126 offset0:54 offset1:55
	v_mov_b32_e32 v7, v5
	s_delay_alu instid0(VALU_DEP_1) | instskip(SKIP_2) | instid1(VALU_DEP_1)
	v_pk_add_f32 v[236:237], v[236:237], v[6:7] neg_lo:[0,1] neg_hi:[0,1]
	s_wait_dscnt 0x0
	v_pk_mul_f32 v[4:5], v[86:87], v[84:85] op_sel:[0,1]
	v_pk_fma_f32 v[6:7], v[86:87], v[2:3], v[4:5] op_sel:[0,0,1] op_sel_hi:[1,1,0] neg_lo:[0,0,1] neg_hi:[0,0,1]
	v_pk_fma_f32 v[4:5], v[86:87], v[2:3], v[4:5] op_sel:[0,0,1] op_sel_hi:[1,0,0]
	s_delay_alu instid0(VALU_DEP_1) | instskip(SKIP_1) | instid1(VALU_DEP_2)
	v_mov_b32_e32 v7, v5
	v_pk_mul_f32 v[4:5], v[88:89], v[84:85] op_sel:[0,1]
	v_pk_add_f32 v[238:239], v[238:239], v[6:7] neg_lo:[0,1] neg_hi:[0,1]
	s_delay_alu instid0(VALU_DEP_2) | instskip(SKIP_3) | instid1(VALU_DEP_1)
	v_pk_fma_f32 v[6:7], v[88:89], v[2:3], v[4:5] op_sel:[0,0,1] op_sel_hi:[1,1,0] neg_lo:[0,0,1] neg_hi:[0,0,1]
	v_pk_fma_f32 v[4:5], v[88:89], v[2:3], v[4:5] op_sel:[0,0,1] op_sel_hi:[1,0,0]
	ds_load_2addr_b64 v[86:89], v126 offset0:56 offset1:57
	v_mov_b32_e32 v7, v5
	v_pk_add_f32 v[240:241], v[240:241], v[6:7] neg_lo:[0,1] neg_hi:[0,1]
	s_wait_dscnt 0x0
	v_pk_mul_f32 v[4:5], v[86:87], v[84:85] op_sel:[0,1]
	s_delay_alu instid0(VALU_DEP_1) | instskip(SKIP_1) | instid1(VALU_DEP_1)
	v_pk_fma_f32 v[6:7], v[86:87], v[2:3], v[4:5] op_sel:[0,0,1] op_sel_hi:[1,1,0] neg_lo:[0,0,1] neg_hi:[0,0,1]
	v_pk_fma_f32 v[4:5], v[86:87], v[2:3], v[4:5] op_sel:[0,0,1] op_sel_hi:[1,0,0]
	v_mov_b32_e32 v7, v5
	v_pk_mul_f32 v[4:5], v[88:89], v[84:85] op_sel:[0,1]
	s_delay_alu instid0(VALU_DEP_2) | instskip(NEXT) | instid1(VALU_DEP_2)
	v_pk_add_f32 v[252:253], v[252:253], v[6:7] neg_lo:[0,1] neg_hi:[0,1]
	v_pk_fma_f32 v[6:7], v[88:89], v[2:3], v[4:5] op_sel:[0,0,1] op_sel_hi:[1,1,0] neg_lo:[0,0,1] neg_hi:[0,0,1]
	v_pk_fma_f32 v[4:5], v[88:89], v[2:3], v[4:5] op_sel:[0,0,1] op_sel_hi:[1,0,0]
	ds_load_2addr_b64 v[86:89], v126 offset0:58 offset1:59
	v_mov_b32_e32 v7, v5
	s_delay_alu instid0(VALU_DEP_1) | instskip(SKIP_2) | instid1(VALU_DEP_1)
	v_pk_add_f32 v[246:247], v[246:247], v[6:7] neg_lo:[0,1] neg_hi:[0,1]
	s_wait_dscnt 0x0
	v_dual_mul_f32 v6, v87, v2 :: v_dual_mul_f32 v4, v87, v85
	v_pk_fma_f32 v[6:7], v[86:87], v[208:209], v[6:7] op_sel:[1,0,0] op_sel_hi:[0,1,0]
	s_delay_alu instid0(VALU_DEP_2) | instskip(NEXT) | instid1(VALU_DEP_2)
	v_pk_fma_f32 v[4:5], v[86:87], v[208:209], v[4:5] op_sel_hi:[1,1,0] neg_lo:[0,0,1] neg_hi:[0,0,1]
	v_mov_b32_e32 v5, v7
	s_delay_alu instid0(VALU_DEP_1) | instskip(SKIP_1) | instid1(VALU_DEP_1)
	v_pk_add_f32 v[250:251], v[250:251], v[4:5] neg_lo:[0,1] neg_hi:[0,1]
	v_pk_mul_f32 v[4:5], v[88:89], v[84:85] op_sel:[0,1]
	v_pk_fma_f32 v[6:7], v[88:89], v[2:3], v[4:5] op_sel:[0,0,1] op_sel_hi:[1,1,0] neg_lo:[0,0,1] neg_hi:[0,0,1]
	v_pk_fma_f32 v[4:5], v[88:89], v[2:3], v[4:5] op_sel:[0,0,1] op_sel_hi:[1,0,0]
	ds_load_2addr_b64 v[86:89], v126 offset0:60 offset1:61
	v_mov_b32_e32 v7, v5
	s_delay_alu instid0(VALU_DEP_1) | instskip(SKIP_2) | instid1(VALU_DEP_1)
	v_pk_add_f32 v[244:245], v[244:245], v[6:7] neg_lo:[0,1] neg_hi:[0,1]
	s_wait_dscnt 0x0
	v_pk_mul_f32 v[4:5], v[86:87], v[84:85] op_sel:[0,1]
	v_pk_fma_f32 v[6:7], v[86:87], v[2:3], v[4:5] op_sel:[0,0,1] op_sel_hi:[1,1,0] neg_lo:[0,0,1] neg_hi:[0,0,1]
	v_pk_fma_f32 v[4:5], v[86:87], v[2:3], v[4:5] op_sel:[0,0,1] op_sel_hi:[1,0,0]
	s_delay_alu instid0(VALU_DEP_1) | instskip(SKIP_1) | instid1(VALU_DEP_2)
	v_mov_b32_e32 v7, v5
	v_pk_mul_f32 v[4:5], v[88:89], v[84:85] op_sel:[0,1]
	v_pk_add_f32 v[248:249], v[248:249], v[6:7] neg_lo:[0,1] neg_hi:[0,1]
	s_delay_alu instid0(VALU_DEP_2) | instskip(SKIP_3) | instid1(VALU_DEP_1)
	v_pk_fma_f32 v[6:7], v[88:89], v[2:3], v[4:5] op_sel:[0,0,1] op_sel_hi:[1,1,0] neg_lo:[0,0,1] neg_hi:[0,0,1]
	v_pk_fma_f32 v[4:5], v[88:89], v[2:3], v[4:5] op_sel:[0,0,1] op_sel_hi:[1,0,0]
	ds_load_2addr_b64 v[86:89], v126 offset0:62 offset1:63
	v_mov_b32_e32 v7, v5
	v_pk_add_f32 v[242:243], v[242:243], v[6:7] neg_lo:[0,1] neg_hi:[0,1]
	s_wait_dscnt 0x0
	v_pk_mul_f32 v[4:5], v[86:87], v[84:85] op_sel:[0,1]
	s_delay_alu instid0(VALU_DEP_1) | instskip(SKIP_2) | instid1(VALU_DEP_2)
	v_pk_fma_f32 v[6:7], v[86:87], v[2:3], v[4:5] op_sel:[0,0,1] op_sel_hi:[1,1,0] neg_lo:[0,0,1] neg_hi:[0,0,1]
	v_pk_fma_f32 v[4:5], v[86:87], v[2:3], v[4:5] op_sel:[0,0,1] op_sel_hi:[1,0,0]
	v_dual_mov_b32 v4, v89 :: v_dual_mul_f32 v2, v89, v2
	v_dual_mov_b32 v7, v5 :: v_dual_mov_b32 v5, v88
	s_delay_alu instid0(VALU_DEP_1) | instskip(SKIP_1) | instid1(VALU_DEP_3)
	v_pk_add_f32 v[254:255], v[254:255], v[6:7] neg_lo:[0,1] neg_hi:[0,1]
	v_mul_f32_e32 v6, v89, v85
	v_pk_fma_f32 v[2:3], v[4:5], v[208:209], v[2:3] op_sel_hi:[1,1,0]
	s_delay_alu instid0(VALU_DEP_2) | instskip(NEXT) | instid1(VALU_DEP_2)
	v_pk_fma_f32 v[6:7], v[88:89], v[208:209], v[6:7] op_sel_hi:[1,1,0] neg_lo:[0,0,1] neg_hi:[0,0,1]
	v_mov_b32_e32 v7, v3
	s_delay_alu instid0(VALU_DEP_1)
	v_pk_add_f32 v[0:1], v[0:1], v[6:7] neg_lo:[0,1] neg_hi:[0,1]
.LBB127_361:
	s_or_b32 exec_lo, exec_lo, s1
	s_delay_alu instid0(SALU_CYCLE_1)
	s_mov_b32 s2, exec_lo
	s_wait_dscnt 0x0
	s_barrier_signal -1
	s_barrier_wait -1
	v_cmpx_eq_u32_e32 40, v18
	s_cbranch_execz .LBB127_368
; %bb.362:
	ds_store_b64 v19, v[210:211]
	ds_store_2addr_b64 v126, v[212:213], v[214:215] offset0:41 offset1:42
	ds_store_2addr_b64 v126, v[216:217], v[218:219] offset0:43 offset1:44
	;; [unrolled: 1-line block ×11, first 2 shown]
	ds_store_b64 v126, v[0:1] offset:504
	ds_load_b64 v[2:3], v19
	s_wait_dscnt 0x0
	v_cmp_neq_f32_e32 vcc_lo, 0, v2
	v_cmp_neq_f32_e64 s1, 0, v3
	s_or_b32 s1, vcc_lo, s1
	s_delay_alu instid0(SALU_CYCLE_1)
	s_and_b32 exec_lo, exec_lo, s1
	s_cbranch_execz .LBB127_368
; %bb.363:
	v_cmp_ngt_f32_e64 s1, |v2|, |v3|
                                        ; implicit-def: $vgpr4_vgpr5
	s_and_saveexec_b32 s4, s1
	s_delay_alu instid0(SALU_CYCLE_1)
	s_xor_b32 s1, exec_lo, s4
	s_cbranch_execz .LBB127_365
; %bb.364:
	v_div_scale_f32 v4, null, v3, v3, v2
	v_div_scale_f32 v7, vcc_lo, v2, v3, v2
	s_delay_alu instid0(VALU_DEP_2) | instskip(SKIP_1) | instid1(TRANS32_DEP_1)
	v_rcp_f32_e32 v5, v4
	v_nop
	v_fma_f32 v6, -v4, v5, 1.0
	s_delay_alu instid0(VALU_DEP_1) | instskip(NEXT) | instid1(VALU_DEP_1)
	v_fmac_f32_e32 v5, v6, v5
	v_mul_f32_e32 v6, v7, v5
	s_delay_alu instid0(VALU_DEP_1) | instskip(NEXT) | instid1(VALU_DEP_1)
	v_fma_f32 v8, -v4, v6, v7
	v_fmac_f32_e32 v6, v8, v5
	s_delay_alu instid0(VALU_DEP_1) | instskip(NEXT) | instid1(VALU_DEP_1)
	v_fma_f32 v4, -v4, v6, v7
	v_div_fmas_f32 v4, v4, v5, v6
	s_delay_alu instid0(VALU_DEP_1) | instskip(NEXT) | instid1(VALU_DEP_1)
	v_div_fixup_f32 v4, v4, v3, v2
	v_fmac_f32_e32 v3, v2, v4
	s_delay_alu instid0(VALU_DEP_1) | instskip(SKIP_1) | instid1(VALU_DEP_2)
	v_div_scale_f32 v2, null, v3, v3, 1.0
	v_div_scale_f32 v7, vcc_lo, 1.0, v3, 1.0
	v_rcp_f32_e32 v5, v2
	v_nop
	s_delay_alu instid0(TRANS32_DEP_1) | instskip(NEXT) | instid1(VALU_DEP_1)
	v_fma_f32 v6, -v2, v5, 1.0
	v_fmac_f32_e32 v5, v6, v5
	s_delay_alu instid0(VALU_DEP_1) | instskip(NEXT) | instid1(VALU_DEP_1)
	v_mul_f32_e32 v6, v7, v5
	v_fma_f32 v8, -v2, v6, v7
	s_delay_alu instid0(VALU_DEP_1) | instskip(NEXT) | instid1(VALU_DEP_1)
	v_fmac_f32_e32 v6, v8, v5
	v_fma_f32 v2, -v2, v6, v7
	s_delay_alu instid0(VALU_DEP_1) | instskip(NEXT) | instid1(VALU_DEP_1)
	v_div_fmas_f32 v2, v2, v5, v6
	v_div_fixup_f32 v2, v2, v3, 1.0
	s_delay_alu instid0(VALU_DEP_1)
	v_mul_f32_e32 v4, v4, v2
	v_xor_b32_e32 v5, 0x80000000, v2
                                        ; implicit-def: $vgpr2_vgpr3
.LBB127_365:
	s_and_not1_saveexec_b32 s1, s1
	s_cbranch_execz .LBB127_367
; %bb.366:
	v_div_scale_f32 v4, null, v2, v2, v3
	v_div_scale_f32 v7, vcc_lo, v3, v2, v3
	s_delay_alu instid0(VALU_DEP_2) | instskip(SKIP_1) | instid1(TRANS32_DEP_1)
	v_rcp_f32_e32 v5, v4
	v_nop
	v_fma_f32 v6, -v4, v5, 1.0
	s_delay_alu instid0(VALU_DEP_1) | instskip(NEXT) | instid1(VALU_DEP_1)
	v_fmac_f32_e32 v5, v6, v5
	v_mul_f32_e32 v6, v7, v5
	s_delay_alu instid0(VALU_DEP_1) | instskip(NEXT) | instid1(VALU_DEP_1)
	v_fma_f32 v8, -v4, v6, v7
	v_fmac_f32_e32 v6, v8, v5
	s_delay_alu instid0(VALU_DEP_1) | instskip(NEXT) | instid1(VALU_DEP_1)
	v_fma_f32 v4, -v4, v6, v7
	v_div_fmas_f32 v4, v4, v5, v6
	s_delay_alu instid0(VALU_DEP_1) | instskip(NEXT) | instid1(VALU_DEP_1)
	v_div_fixup_f32 v5, v4, v2, v3
	v_fmac_f32_e32 v2, v3, v5
	s_delay_alu instid0(VALU_DEP_1) | instskip(NEXT) | instid1(VALU_DEP_1)
	v_div_scale_f32 v3, null, v2, v2, 1.0
	v_rcp_f32_e32 v4, v3
	v_nop
	s_delay_alu instid0(TRANS32_DEP_1) | instskip(NEXT) | instid1(VALU_DEP_1)
	v_fma_f32 v6, -v3, v4, 1.0
	v_fmac_f32_e32 v4, v6, v4
	v_div_scale_f32 v6, vcc_lo, 1.0, v2, 1.0
	s_delay_alu instid0(VALU_DEP_1) | instskip(NEXT) | instid1(VALU_DEP_1)
	v_mul_f32_e32 v7, v6, v4
	v_fma_f32 v8, -v3, v7, v6
	s_delay_alu instid0(VALU_DEP_1) | instskip(NEXT) | instid1(VALU_DEP_1)
	v_fmac_f32_e32 v7, v8, v4
	v_fma_f32 v3, -v3, v7, v6
	s_delay_alu instid0(VALU_DEP_1) | instskip(NEXT) | instid1(VALU_DEP_1)
	v_div_fmas_f32 v3, v3, v4, v7
	v_div_fixup_f32 v4, v3, v2, 1.0
	s_delay_alu instid0(VALU_DEP_1)
	v_mul_f32_e64 v5, v5, -v4
.LBB127_367:
	s_or_b32 exec_lo, exec_lo, s1
	ds_store_b64 v19, v[4:5]
.LBB127_368:
	s_or_b32 exec_lo, exec_lo, s2
	s_wait_dscnt 0x0
	s_barrier_signal -1
	s_barrier_wait -1
	ds_load_b64 v[84:85], v19
	s_mov_b32 s1, exec_lo
	v_cmpx_lt_u32_e32 40, v18
	s_cbranch_execz .LBB127_370
; %bb.369:
	ds_load_2addr_b64 v[88:91], v126 offset0:41 offset1:42
	s_wait_dscnt 0x1
	v_pk_mul_f32 v[4:5], v[84:85], v[210:211] op_sel:[1,1] op_sel_hi:[0,1]
	s_delay_alu instid0(VALU_DEP_1) | instskip(SKIP_1) | instid1(VALU_DEP_1)
	v_pk_fma_f32 v[86:87], v[84:85], v[210:211], v[4:5] op_sel_hi:[1,0,1]
	v_pk_fma_f32 v[2:3], v[84:85], v[210:211], v[4:5] op_sel_hi:[1,0,1] neg_lo:[0,0,1] neg_hi:[0,0,1]
	v_dual_mov_b32 v211, v87 :: v_dual_mov_b32 v210, v2
	s_wait_dscnt 0x0
	s_delay_alu instid0(VALU_DEP_3) | instskip(NEXT) | instid1(VALU_DEP_1)
	v_pk_mul_f32 v[4:5], v[88:89], v[86:87] op_sel:[0,1]
	v_pk_fma_f32 v[6:7], v[88:89], v[2:3], v[4:5] op_sel:[0,0,1] op_sel_hi:[1,1,0] neg_lo:[0,0,1] neg_hi:[0,0,1]
	v_pk_fma_f32 v[4:5], v[88:89], v[2:3], v[4:5] op_sel:[0,0,1] op_sel_hi:[1,0,0]
	s_delay_alu instid0(VALU_DEP_1) | instskip(SKIP_1) | instid1(VALU_DEP_2)
	v_mov_b32_e32 v7, v5
	v_pk_mul_f32 v[4:5], v[90:91], v[86:87] op_sel:[0,1]
	v_pk_add_f32 v[212:213], v[212:213], v[6:7] neg_lo:[0,1] neg_hi:[0,1]
	s_delay_alu instid0(VALU_DEP_2) | instskip(SKIP_3) | instid1(VALU_DEP_1)
	v_pk_fma_f32 v[6:7], v[90:91], v[2:3], v[4:5] op_sel:[0,0,1] op_sel_hi:[1,1,0] neg_lo:[0,0,1] neg_hi:[0,0,1]
	v_pk_fma_f32 v[4:5], v[90:91], v[2:3], v[4:5] op_sel:[0,0,1] op_sel_hi:[1,0,0]
	ds_load_2addr_b64 v[88:91], v126 offset0:43 offset1:44
	v_mov_b32_e32 v7, v5
	v_pk_add_f32 v[214:215], v[214:215], v[6:7] neg_lo:[0,1] neg_hi:[0,1]
	s_wait_dscnt 0x0
	v_pk_mul_f32 v[4:5], v[88:89], v[86:87] op_sel:[0,1]
	s_delay_alu instid0(VALU_DEP_1) | instskip(SKIP_2) | instid1(VALU_DEP_2)
	v_pk_fma_f32 v[6:7], v[88:89], v[2:3], v[4:5] op_sel:[0,0,1] op_sel_hi:[1,1,0] neg_lo:[0,0,1] neg_hi:[0,0,1]
	v_pk_fma_f32 v[4:5], v[88:89], v[2:3], v[4:5] op_sel:[0,0,1] op_sel_hi:[1,0,0]
	v_dual_mov_b32 v4, v91 :: v_dual_mul_f32 v88, v91, v2
	v_dual_mov_b32 v7, v5 :: v_dual_mov_b32 v5, v90
	s_delay_alu instid0(VALU_DEP_1) | instskip(SKIP_1) | instid1(VALU_DEP_3)
	v_pk_add_f32 v[216:217], v[216:217], v[6:7] neg_lo:[0,1] neg_hi:[0,1]
	v_mul_f32_e32 v6, v91, v87
	v_pk_fma_f32 v[4:5], v[4:5], v[210:211], v[88:89] op_sel_hi:[1,1,0]
	s_delay_alu instid0(VALU_DEP_2) | instskip(SKIP_2) | instid1(VALU_DEP_1)
	v_pk_fma_f32 v[6:7], v[90:91], v[210:211], v[6:7] op_sel_hi:[1,1,0] neg_lo:[0,0,1] neg_hi:[0,0,1]
	ds_load_2addr_b64 v[88:91], v126 offset0:45 offset1:46
	v_mov_b32_e32 v7, v5
	v_pk_add_f32 v[218:219], v[218:219], v[6:7] neg_lo:[0,1] neg_hi:[0,1]
	s_wait_dscnt 0x0
	v_pk_mul_f32 v[4:5], v[88:89], v[86:87] op_sel:[0,1]
	s_delay_alu instid0(VALU_DEP_1) | instskip(SKIP_1) | instid1(VALU_DEP_1)
	v_pk_fma_f32 v[6:7], v[88:89], v[2:3], v[4:5] op_sel:[0,0,1] op_sel_hi:[1,1,0] neg_lo:[0,0,1] neg_hi:[0,0,1]
	v_pk_fma_f32 v[4:5], v[88:89], v[2:3], v[4:5] op_sel:[0,0,1] op_sel_hi:[1,0,0]
	v_mov_b32_e32 v7, v5
	v_pk_mul_f32 v[4:5], v[90:91], v[86:87] op_sel:[0,1]
	s_delay_alu instid0(VALU_DEP_2) | instskip(NEXT) | instid1(VALU_DEP_2)
	v_pk_add_f32 v[220:221], v[220:221], v[6:7] neg_lo:[0,1] neg_hi:[0,1]
	v_pk_fma_f32 v[6:7], v[90:91], v[2:3], v[4:5] op_sel:[0,0,1] op_sel_hi:[1,1,0] neg_lo:[0,0,1] neg_hi:[0,0,1]
	v_pk_fma_f32 v[4:5], v[90:91], v[2:3], v[4:5] op_sel:[0,0,1] op_sel_hi:[1,0,0]
	ds_load_2addr_b64 v[88:91], v126 offset0:47 offset1:48
	v_mov_b32_e32 v7, v5
	s_delay_alu instid0(VALU_DEP_1) | instskip(SKIP_2) | instid1(VALU_DEP_1)
	v_pk_add_f32 v[222:223], v[222:223], v[6:7] neg_lo:[0,1] neg_hi:[0,1]
	s_wait_dscnt 0x0
	v_pk_mul_f32 v[4:5], v[88:89], v[86:87] op_sel:[0,1]
	v_pk_fma_f32 v[6:7], v[88:89], v[2:3], v[4:5] op_sel:[0,0,1] op_sel_hi:[1,1,0] neg_lo:[0,0,1] neg_hi:[0,0,1]
	v_pk_fma_f32 v[4:5], v[88:89], v[2:3], v[4:5] op_sel:[0,0,1] op_sel_hi:[1,0,0]
	s_delay_alu instid0(VALU_DEP_1) | instskip(SKIP_1) | instid1(VALU_DEP_2)
	v_mov_b32_e32 v7, v5
	v_pk_mul_f32 v[4:5], v[90:91], v[86:87] op_sel:[0,1]
	v_pk_add_f32 v[224:225], v[224:225], v[6:7] neg_lo:[0,1] neg_hi:[0,1]
	s_delay_alu instid0(VALU_DEP_2) | instskip(SKIP_3) | instid1(VALU_DEP_1)
	v_pk_fma_f32 v[6:7], v[90:91], v[2:3], v[4:5] op_sel:[0,0,1] op_sel_hi:[1,1,0] neg_lo:[0,0,1] neg_hi:[0,0,1]
	v_pk_fma_f32 v[4:5], v[90:91], v[2:3], v[4:5] op_sel:[0,0,1] op_sel_hi:[1,0,0]
	ds_load_2addr_b64 v[88:91], v126 offset0:49 offset1:50
	v_mov_b32_e32 v7, v5
	v_pk_add_f32 v[226:227], v[226:227], v[6:7] neg_lo:[0,1] neg_hi:[0,1]
	s_wait_dscnt 0x0
	v_dual_mul_f32 v4, v89, v87 :: v_dual_mul_f32 v6, v89, v2
	s_delay_alu instid0(VALU_DEP_1) | instskip(NEXT) | instid1(VALU_DEP_2)
	v_pk_fma_f32 v[4:5], v[88:89], v[210:211], v[4:5] op_sel_hi:[1,1,0] neg_lo:[0,0,1] neg_hi:[0,0,1]
	v_pk_fma_f32 v[6:7], v[88:89], v[210:211], v[6:7] op_sel:[1,0,0] op_sel_hi:[0,1,0]
	s_delay_alu instid0(VALU_DEP_1) | instskip(NEXT) | instid1(VALU_DEP_1)
	v_mov_b32_e32 v5, v7
	v_pk_add_f32 v[228:229], v[228:229], v[4:5] neg_lo:[0,1] neg_hi:[0,1]
	v_pk_mul_f32 v[4:5], v[90:91], v[86:87] op_sel:[0,1]
	s_delay_alu instid0(VALU_DEP_1) | instskip(SKIP_3) | instid1(VALU_DEP_1)
	v_pk_fma_f32 v[6:7], v[90:91], v[2:3], v[4:5] op_sel:[0,0,1] op_sel_hi:[1,1,0] neg_lo:[0,0,1] neg_hi:[0,0,1]
	v_pk_fma_f32 v[4:5], v[90:91], v[2:3], v[4:5] op_sel:[0,0,1] op_sel_hi:[1,0,0]
	ds_load_2addr_b64 v[88:91], v126 offset0:51 offset1:52
	v_mov_b32_e32 v7, v5
	v_pk_add_f32 v[230:231], v[230:231], v[6:7] neg_lo:[0,1] neg_hi:[0,1]
	s_wait_dscnt 0x0
	v_pk_mul_f32 v[4:5], v[88:89], v[86:87] op_sel:[0,1]
	s_delay_alu instid0(VALU_DEP_1) | instskip(SKIP_1) | instid1(VALU_DEP_1)
	v_pk_fma_f32 v[6:7], v[88:89], v[2:3], v[4:5] op_sel:[0,0,1] op_sel_hi:[1,1,0] neg_lo:[0,0,1] neg_hi:[0,0,1]
	v_pk_fma_f32 v[4:5], v[88:89], v[2:3], v[4:5] op_sel:[0,0,1] op_sel_hi:[1,0,0]
	v_mov_b32_e32 v7, v5
	v_pk_mul_f32 v[4:5], v[90:91], v[86:87] op_sel:[0,1]
	s_delay_alu instid0(VALU_DEP_2) | instskip(NEXT) | instid1(VALU_DEP_2)
	v_pk_add_f32 v[232:233], v[232:233], v[6:7] neg_lo:[0,1] neg_hi:[0,1]
	v_pk_fma_f32 v[6:7], v[90:91], v[2:3], v[4:5] op_sel:[0,0,1] op_sel_hi:[1,1,0] neg_lo:[0,0,1] neg_hi:[0,0,1]
	v_pk_fma_f32 v[4:5], v[90:91], v[2:3], v[4:5] op_sel:[0,0,1] op_sel_hi:[1,0,0]
	ds_load_2addr_b64 v[88:91], v126 offset0:53 offset1:54
	v_mov_b32_e32 v7, v5
	s_delay_alu instid0(VALU_DEP_1) | instskip(SKIP_2) | instid1(VALU_DEP_1)
	v_pk_add_f32 v[234:235], v[234:235], v[6:7] neg_lo:[0,1] neg_hi:[0,1]
	s_wait_dscnt 0x0
	v_pk_mul_f32 v[4:5], v[88:89], v[86:87] op_sel:[0,1]
	v_pk_fma_f32 v[6:7], v[88:89], v[2:3], v[4:5] op_sel:[0,0,1] op_sel_hi:[1,1,0] neg_lo:[0,0,1] neg_hi:[0,0,1]
	v_pk_fma_f32 v[4:5], v[88:89], v[2:3], v[4:5] op_sel:[0,0,1] op_sel_hi:[1,0,0]
	v_dual_mov_b32 v4, v91 :: v_dual_mul_f32 v88, v91, v2
	s_delay_alu instid0(VALU_DEP_2) | instskip(NEXT) | instid1(VALU_DEP_1)
	v_dual_mov_b32 v7, v5 :: v_dual_mov_b32 v5, v90
	v_pk_add_f32 v[236:237], v[236:237], v[6:7] neg_lo:[0,1] neg_hi:[0,1]
	v_mul_f32_e32 v6, v91, v87
	s_delay_alu instid0(VALU_DEP_3) | instskip(NEXT) | instid1(VALU_DEP_2)
	v_pk_fma_f32 v[4:5], v[4:5], v[210:211], v[88:89] op_sel_hi:[1,1,0]
	v_pk_fma_f32 v[6:7], v[90:91], v[210:211], v[6:7] op_sel_hi:[1,1,0] neg_lo:[0,0,1] neg_hi:[0,0,1]
	ds_load_2addr_b64 v[88:91], v126 offset0:55 offset1:56
	v_mov_b32_e32 v7, v5
	s_delay_alu instid0(VALU_DEP_1) | instskip(SKIP_2) | instid1(VALU_DEP_1)
	v_pk_add_f32 v[238:239], v[238:239], v[6:7] neg_lo:[0,1] neg_hi:[0,1]
	s_wait_dscnt 0x0
	v_pk_mul_f32 v[4:5], v[88:89], v[86:87] op_sel:[0,1]
	v_pk_fma_f32 v[6:7], v[88:89], v[2:3], v[4:5] op_sel:[0,0,1] op_sel_hi:[1,1,0] neg_lo:[0,0,1] neg_hi:[0,0,1]
	v_pk_fma_f32 v[4:5], v[88:89], v[2:3], v[4:5] op_sel:[0,0,1] op_sel_hi:[1,0,0]
	s_delay_alu instid0(VALU_DEP_1) | instskip(SKIP_1) | instid1(VALU_DEP_2)
	v_mov_b32_e32 v7, v5
	v_pk_mul_f32 v[4:5], v[90:91], v[86:87] op_sel:[0,1]
	v_pk_add_f32 v[240:241], v[240:241], v[6:7] neg_lo:[0,1] neg_hi:[0,1]
	s_delay_alu instid0(VALU_DEP_2) | instskip(SKIP_3) | instid1(VALU_DEP_1)
	v_pk_fma_f32 v[6:7], v[90:91], v[2:3], v[4:5] op_sel:[0,0,1] op_sel_hi:[1,1,0] neg_lo:[0,0,1] neg_hi:[0,0,1]
	v_pk_fma_f32 v[4:5], v[90:91], v[2:3], v[4:5] op_sel:[0,0,1] op_sel_hi:[1,0,0]
	ds_load_2addr_b64 v[88:91], v126 offset0:57 offset1:58
	v_mov_b32_e32 v7, v5
	v_pk_add_f32 v[252:253], v[252:253], v[6:7] neg_lo:[0,1] neg_hi:[0,1]
	s_wait_dscnt 0x0
	v_pk_mul_f32 v[4:5], v[88:89], v[86:87] op_sel:[0,1]
	s_delay_alu instid0(VALU_DEP_1) | instskip(SKIP_1) | instid1(VALU_DEP_1)
	v_pk_fma_f32 v[6:7], v[88:89], v[2:3], v[4:5] op_sel:[0,0,1] op_sel_hi:[1,1,0] neg_lo:[0,0,1] neg_hi:[0,0,1]
	v_pk_fma_f32 v[4:5], v[88:89], v[2:3], v[4:5] op_sel:[0,0,1] op_sel_hi:[1,0,0]
	v_mov_b32_e32 v7, v5
	v_pk_mul_f32 v[4:5], v[90:91], v[86:87] op_sel:[0,1]
	s_delay_alu instid0(VALU_DEP_2) | instskip(NEXT) | instid1(VALU_DEP_2)
	v_pk_add_f32 v[246:247], v[246:247], v[6:7] neg_lo:[0,1] neg_hi:[0,1]
	v_pk_fma_f32 v[6:7], v[90:91], v[2:3], v[4:5] op_sel:[0,0,1] op_sel_hi:[1,1,0] neg_lo:[0,0,1] neg_hi:[0,0,1]
	v_pk_fma_f32 v[4:5], v[90:91], v[2:3], v[4:5] op_sel:[0,0,1] op_sel_hi:[1,0,0]
	ds_load_2addr_b64 v[88:91], v126 offset0:59 offset1:60
	v_mov_b32_e32 v7, v5
	s_delay_alu instid0(VALU_DEP_1) | instskip(SKIP_2) | instid1(VALU_DEP_1)
	v_pk_add_f32 v[250:251], v[250:251], v[6:7] neg_lo:[0,1] neg_hi:[0,1]
	s_wait_dscnt 0x0
	v_dual_mul_f32 v6, v89, v2 :: v_dual_mul_f32 v4, v89, v87
	v_pk_fma_f32 v[6:7], v[88:89], v[210:211], v[6:7] op_sel:[1,0,0] op_sel_hi:[0,1,0]
	s_delay_alu instid0(VALU_DEP_2) | instskip(NEXT) | instid1(VALU_DEP_2)
	v_pk_fma_f32 v[4:5], v[88:89], v[210:211], v[4:5] op_sel_hi:[1,1,0] neg_lo:[0,0,1] neg_hi:[0,0,1]
	v_mov_b32_e32 v5, v7
	s_delay_alu instid0(VALU_DEP_1) | instskip(SKIP_1) | instid1(VALU_DEP_1)
	v_pk_add_f32 v[244:245], v[244:245], v[4:5] neg_lo:[0,1] neg_hi:[0,1]
	v_pk_mul_f32 v[4:5], v[90:91], v[86:87] op_sel:[0,1]
	v_pk_fma_f32 v[6:7], v[90:91], v[2:3], v[4:5] op_sel:[0,0,1] op_sel_hi:[1,1,0] neg_lo:[0,0,1] neg_hi:[0,0,1]
	v_pk_fma_f32 v[4:5], v[90:91], v[2:3], v[4:5] op_sel:[0,0,1] op_sel_hi:[1,0,0]
	ds_load_2addr_b64 v[88:91], v126 offset0:61 offset1:62
	v_mov_b32_e32 v7, v5
	s_delay_alu instid0(VALU_DEP_1) | instskip(SKIP_2) | instid1(VALU_DEP_1)
	v_pk_add_f32 v[248:249], v[248:249], v[6:7] neg_lo:[0,1] neg_hi:[0,1]
	s_wait_dscnt 0x0
	v_pk_mul_f32 v[4:5], v[88:89], v[86:87] op_sel:[0,1]
	v_pk_fma_f32 v[6:7], v[88:89], v[2:3], v[4:5] op_sel:[0,0,1] op_sel_hi:[1,1,0] neg_lo:[0,0,1] neg_hi:[0,0,1]
	v_pk_fma_f32 v[4:5], v[88:89], v[2:3], v[4:5] op_sel:[0,0,1] op_sel_hi:[1,0,0]
	s_delay_alu instid0(VALU_DEP_1) | instskip(SKIP_1) | instid1(VALU_DEP_2)
	v_mov_b32_e32 v7, v5
	v_pk_mul_f32 v[4:5], v[90:91], v[86:87] op_sel:[0,1]
	v_pk_add_f32 v[242:243], v[242:243], v[6:7] neg_lo:[0,1] neg_hi:[0,1]
	s_delay_alu instid0(VALU_DEP_2) | instskip(SKIP_1) | instid1(VALU_DEP_1)
	v_pk_fma_f32 v[6:7], v[90:91], v[2:3], v[4:5] op_sel:[0,0,1] op_sel_hi:[1,1,0] neg_lo:[0,0,1] neg_hi:[0,0,1]
	v_pk_fma_f32 v[4:5], v[90:91], v[2:3], v[4:5] op_sel:[0,0,1] op_sel_hi:[1,0,0]
	v_mov_b32_e32 v7, v5
	ds_load_b64 v[4:5], v126 offset:504
	v_pk_add_f32 v[254:255], v[254:255], v[6:7] neg_lo:[0,1] neg_hi:[0,1]
	s_wait_dscnt 0x0
	v_pk_mul_f32 v[6:7], v[4:5], v[86:87] op_sel:[0,1]
	s_delay_alu instid0(VALU_DEP_1) | instskip(SKIP_1) | instid1(VALU_DEP_1)
	v_pk_fma_f32 v[86:87], v[4:5], v[2:3], v[6:7] op_sel:[0,0,1] op_sel_hi:[1,1,0] neg_lo:[0,0,1] neg_hi:[0,0,1]
	v_pk_fma_f32 v[2:3], v[4:5], v[2:3], v[6:7] op_sel:[0,0,1] op_sel_hi:[1,0,0]
	v_mov_b32_e32 v87, v3
	s_delay_alu instid0(VALU_DEP_1)
	v_pk_add_f32 v[0:1], v[0:1], v[86:87] neg_lo:[0,1] neg_hi:[0,1]
.LBB127_370:
	s_or_b32 exec_lo, exec_lo, s1
	s_delay_alu instid0(SALU_CYCLE_1)
	s_mov_b32 s2, exec_lo
	s_wait_dscnt 0x0
	s_barrier_signal -1
	s_barrier_wait -1
	v_cmpx_eq_u32_e32 41, v18
	s_cbranch_execz .LBB127_377
; %bb.371:
	v_dual_mov_b32 v2, v214 :: v_dual_mov_b32 v3, v215
	v_dual_mov_b32 v4, v216 :: v_dual_mov_b32 v5, v217
	ds_store_b64 v19, v[212:213]
	ds_store_2addr_b64 v126, v[2:3], v[4:5] offset0:42 offset1:43
	v_dual_mov_b32 v2, v218 :: v_dual_mov_b32 v3, v219
	v_dual_mov_b32 v4, v220 :: v_dual_mov_b32 v5, v221
	ds_store_2addr_b64 v126, v[2:3], v[4:5] offset0:44 offset1:45
	v_dual_mov_b32 v2, v222 :: v_dual_mov_b32 v3, v223
	v_dual_mov_b32 v4, v224 :: v_dual_mov_b32 v5, v225
	;; [unrolled: 3-line block ×9, first 2 shown]
	ds_store_2addr_b64 v126, v[2:3], v[4:5] offset0:60 offset1:61
	v_dual_mov_b32 v2, v254 :: v_dual_mov_b32 v3, v255
	ds_store_2addr_b64 v126, v[2:3], v[0:1] offset0:62 offset1:63
	ds_load_b64 v[2:3], v19
	s_wait_dscnt 0x0
	v_cmp_neq_f32_e32 vcc_lo, 0, v2
	v_cmp_neq_f32_e64 s1, 0, v3
	s_or_b32 s1, vcc_lo, s1
	s_delay_alu instid0(SALU_CYCLE_1)
	s_and_b32 exec_lo, exec_lo, s1
	s_cbranch_execz .LBB127_377
; %bb.372:
	v_cmp_ngt_f32_e64 s1, |v2|, |v3|
                                        ; implicit-def: $vgpr4_vgpr5
	s_and_saveexec_b32 s4, s1
	s_delay_alu instid0(SALU_CYCLE_1)
	s_xor_b32 s1, exec_lo, s4
	s_cbranch_execz .LBB127_374
; %bb.373:
	v_div_scale_f32 v4, null, v3, v3, v2
	v_div_scale_f32 v7, vcc_lo, v2, v3, v2
	s_delay_alu instid0(VALU_DEP_2) | instskip(SKIP_1) | instid1(TRANS32_DEP_1)
	v_rcp_f32_e32 v5, v4
	v_nop
	v_fma_f32 v6, -v4, v5, 1.0
	s_delay_alu instid0(VALU_DEP_1) | instskip(NEXT) | instid1(VALU_DEP_1)
	v_fmac_f32_e32 v5, v6, v5
	v_mul_f32_e32 v6, v7, v5
	s_delay_alu instid0(VALU_DEP_1) | instskip(NEXT) | instid1(VALU_DEP_1)
	v_fma_f32 v8, -v4, v6, v7
	v_fmac_f32_e32 v6, v8, v5
	s_delay_alu instid0(VALU_DEP_1) | instskip(NEXT) | instid1(VALU_DEP_1)
	v_fma_f32 v4, -v4, v6, v7
	v_div_fmas_f32 v4, v4, v5, v6
	s_delay_alu instid0(VALU_DEP_1) | instskip(NEXT) | instid1(VALU_DEP_1)
	v_div_fixup_f32 v4, v4, v3, v2
	v_fmac_f32_e32 v3, v2, v4
	s_delay_alu instid0(VALU_DEP_1) | instskip(SKIP_1) | instid1(VALU_DEP_2)
	v_div_scale_f32 v2, null, v3, v3, 1.0
	v_div_scale_f32 v7, vcc_lo, 1.0, v3, 1.0
	v_rcp_f32_e32 v5, v2
	v_nop
	s_delay_alu instid0(TRANS32_DEP_1) | instskip(NEXT) | instid1(VALU_DEP_1)
	v_fma_f32 v6, -v2, v5, 1.0
	v_fmac_f32_e32 v5, v6, v5
	s_delay_alu instid0(VALU_DEP_1) | instskip(NEXT) | instid1(VALU_DEP_1)
	v_mul_f32_e32 v6, v7, v5
	v_fma_f32 v8, -v2, v6, v7
	s_delay_alu instid0(VALU_DEP_1) | instskip(NEXT) | instid1(VALU_DEP_1)
	v_fmac_f32_e32 v6, v8, v5
	v_fma_f32 v2, -v2, v6, v7
	s_delay_alu instid0(VALU_DEP_1) | instskip(NEXT) | instid1(VALU_DEP_1)
	v_div_fmas_f32 v2, v2, v5, v6
	v_div_fixup_f32 v2, v2, v3, 1.0
	s_delay_alu instid0(VALU_DEP_1)
	v_mul_f32_e32 v4, v4, v2
	v_xor_b32_e32 v5, 0x80000000, v2
                                        ; implicit-def: $vgpr2_vgpr3
.LBB127_374:
	s_and_not1_saveexec_b32 s1, s1
	s_cbranch_execz .LBB127_376
; %bb.375:
	v_div_scale_f32 v4, null, v2, v2, v3
	v_div_scale_f32 v7, vcc_lo, v3, v2, v3
	s_delay_alu instid0(VALU_DEP_2) | instskip(SKIP_1) | instid1(TRANS32_DEP_1)
	v_rcp_f32_e32 v5, v4
	v_nop
	v_fma_f32 v6, -v4, v5, 1.0
	s_delay_alu instid0(VALU_DEP_1) | instskip(NEXT) | instid1(VALU_DEP_1)
	v_fmac_f32_e32 v5, v6, v5
	v_mul_f32_e32 v6, v7, v5
	s_delay_alu instid0(VALU_DEP_1) | instskip(NEXT) | instid1(VALU_DEP_1)
	v_fma_f32 v8, -v4, v6, v7
	v_fmac_f32_e32 v6, v8, v5
	s_delay_alu instid0(VALU_DEP_1) | instskip(NEXT) | instid1(VALU_DEP_1)
	v_fma_f32 v4, -v4, v6, v7
	v_div_fmas_f32 v4, v4, v5, v6
	s_delay_alu instid0(VALU_DEP_1) | instskip(NEXT) | instid1(VALU_DEP_1)
	v_div_fixup_f32 v5, v4, v2, v3
	v_fmac_f32_e32 v2, v3, v5
	s_delay_alu instid0(VALU_DEP_1) | instskip(NEXT) | instid1(VALU_DEP_1)
	v_div_scale_f32 v3, null, v2, v2, 1.0
	v_rcp_f32_e32 v4, v3
	v_nop
	s_delay_alu instid0(TRANS32_DEP_1) | instskip(NEXT) | instid1(VALU_DEP_1)
	v_fma_f32 v6, -v3, v4, 1.0
	v_fmac_f32_e32 v4, v6, v4
	v_div_scale_f32 v6, vcc_lo, 1.0, v2, 1.0
	s_delay_alu instid0(VALU_DEP_1) | instskip(NEXT) | instid1(VALU_DEP_1)
	v_mul_f32_e32 v7, v6, v4
	v_fma_f32 v8, -v3, v7, v6
	s_delay_alu instid0(VALU_DEP_1) | instskip(NEXT) | instid1(VALU_DEP_1)
	v_fmac_f32_e32 v7, v8, v4
	v_fma_f32 v3, -v3, v7, v6
	s_delay_alu instid0(VALU_DEP_1) | instskip(NEXT) | instid1(VALU_DEP_1)
	v_div_fmas_f32 v3, v3, v4, v7
	v_div_fixup_f32 v4, v3, v2, 1.0
	s_delay_alu instid0(VALU_DEP_1)
	v_mul_f32_e64 v5, v5, -v4
.LBB127_376:
	s_or_b32 exec_lo, exec_lo, s1
	ds_store_b64 v19, v[4:5]
.LBB127_377:
	s_or_b32 exec_lo, exec_lo, s2
	s_wait_dscnt 0x0
	s_barrier_signal -1
	s_barrier_wait -1
	ds_load_b64 v[86:87], v19
	s_mov_b32 s1, exec_lo
	v_cmpx_lt_u32_e32 41, v18
	s_cbranch_execz .LBB127_379
; %bb.378:
	ds_load_2addr_b64 v[90:93], v126 offset0:42 offset1:43
	s_wait_dscnt 0x1
	v_pk_mul_f32 v[4:5], v[86:87], v[212:213] op_sel:[1,1] op_sel_hi:[0,1]
	s_delay_alu instid0(VALU_DEP_1) | instskip(SKIP_1) | instid1(VALU_DEP_1)
	v_pk_fma_f32 v[88:89], v[86:87], v[212:213], v[4:5] op_sel_hi:[1,0,1]
	v_pk_fma_f32 v[2:3], v[86:87], v[212:213], v[4:5] op_sel_hi:[1,0,1] neg_lo:[0,0,1] neg_hi:[0,0,1]
	v_dual_mov_b32 v213, v89 :: v_dual_mov_b32 v212, v2
	s_wait_dscnt 0x0
	s_delay_alu instid0(VALU_DEP_3) | instskip(NEXT) | instid1(VALU_DEP_1)
	v_pk_mul_f32 v[4:5], v[90:91], v[88:89] op_sel:[0,1]
	v_pk_fma_f32 v[6:7], v[90:91], v[2:3], v[4:5] op_sel:[0,0,1] op_sel_hi:[1,1,0] neg_lo:[0,0,1] neg_hi:[0,0,1]
	v_pk_fma_f32 v[4:5], v[90:91], v[2:3], v[4:5] op_sel:[0,0,1] op_sel_hi:[1,0,0]
	s_delay_alu instid0(VALU_DEP_1) | instskip(SKIP_1) | instid1(VALU_DEP_2)
	v_mov_b32_e32 v7, v5
	v_pk_mul_f32 v[4:5], v[92:93], v[88:89] op_sel:[0,1]
	v_pk_add_f32 v[214:215], v[214:215], v[6:7] neg_lo:[0,1] neg_hi:[0,1]
	s_delay_alu instid0(VALU_DEP_2) | instskip(SKIP_3) | instid1(VALU_DEP_1)
	v_pk_fma_f32 v[6:7], v[92:93], v[2:3], v[4:5] op_sel:[0,0,1] op_sel_hi:[1,1,0] neg_lo:[0,0,1] neg_hi:[0,0,1]
	v_pk_fma_f32 v[4:5], v[92:93], v[2:3], v[4:5] op_sel:[0,0,1] op_sel_hi:[1,0,0]
	ds_load_2addr_b64 v[90:93], v126 offset0:44 offset1:45
	v_mov_b32_e32 v7, v5
	v_pk_add_f32 v[216:217], v[216:217], v[6:7] neg_lo:[0,1] neg_hi:[0,1]
	s_wait_dscnt 0x0
	v_pk_mul_f32 v[4:5], v[90:91], v[88:89] op_sel:[0,1]
	s_delay_alu instid0(VALU_DEP_1) | instskip(SKIP_2) | instid1(VALU_DEP_2)
	v_pk_fma_f32 v[6:7], v[90:91], v[2:3], v[4:5] op_sel:[0,0,1] op_sel_hi:[1,1,0] neg_lo:[0,0,1] neg_hi:[0,0,1]
	v_pk_fma_f32 v[4:5], v[90:91], v[2:3], v[4:5] op_sel:[0,0,1] op_sel_hi:[1,0,0]
	v_dual_mov_b32 v4, v93 :: v_dual_mul_f32 v90, v93, v2
	v_dual_mov_b32 v7, v5 :: v_dual_mov_b32 v5, v92
	s_delay_alu instid0(VALU_DEP_1) | instskip(SKIP_1) | instid1(VALU_DEP_3)
	v_pk_add_f32 v[218:219], v[218:219], v[6:7] neg_lo:[0,1] neg_hi:[0,1]
	v_mul_f32_e32 v6, v93, v89
	v_pk_fma_f32 v[4:5], v[4:5], v[212:213], v[90:91] op_sel_hi:[1,1,0]
	s_delay_alu instid0(VALU_DEP_2) | instskip(SKIP_2) | instid1(VALU_DEP_1)
	v_pk_fma_f32 v[6:7], v[92:93], v[212:213], v[6:7] op_sel_hi:[1,1,0] neg_lo:[0,0,1] neg_hi:[0,0,1]
	ds_load_2addr_b64 v[90:93], v126 offset0:46 offset1:47
	v_mov_b32_e32 v7, v5
	v_pk_add_f32 v[220:221], v[220:221], v[6:7] neg_lo:[0,1] neg_hi:[0,1]
	s_wait_dscnt 0x0
	v_pk_mul_f32 v[4:5], v[90:91], v[88:89] op_sel:[0,1]
	s_delay_alu instid0(VALU_DEP_1) | instskip(SKIP_1) | instid1(VALU_DEP_1)
	v_pk_fma_f32 v[6:7], v[90:91], v[2:3], v[4:5] op_sel:[0,0,1] op_sel_hi:[1,1,0] neg_lo:[0,0,1] neg_hi:[0,0,1]
	v_pk_fma_f32 v[4:5], v[90:91], v[2:3], v[4:5] op_sel:[0,0,1] op_sel_hi:[1,0,0]
	v_mov_b32_e32 v7, v5
	v_pk_mul_f32 v[4:5], v[92:93], v[88:89] op_sel:[0,1]
	s_delay_alu instid0(VALU_DEP_2) | instskip(NEXT) | instid1(VALU_DEP_2)
	v_pk_add_f32 v[222:223], v[222:223], v[6:7] neg_lo:[0,1] neg_hi:[0,1]
	v_pk_fma_f32 v[6:7], v[92:93], v[2:3], v[4:5] op_sel:[0,0,1] op_sel_hi:[1,1,0] neg_lo:[0,0,1] neg_hi:[0,0,1]
	v_pk_fma_f32 v[4:5], v[92:93], v[2:3], v[4:5] op_sel:[0,0,1] op_sel_hi:[1,0,0]
	ds_load_2addr_b64 v[90:93], v126 offset0:48 offset1:49
	v_mov_b32_e32 v7, v5
	s_delay_alu instid0(VALU_DEP_1) | instskip(SKIP_2) | instid1(VALU_DEP_1)
	v_pk_add_f32 v[224:225], v[224:225], v[6:7] neg_lo:[0,1] neg_hi:[0,1]
	s_wait_dscnt 0x0
	v_pk_mul_f32 v[4:5], v[90:91], v[88:89] op_sel:[0,1]
	v_pk_fma_f32 v[6:7], v[90:91], v[2:3], v[4:5] op_sel:[0,0,1] op_sel_hi:[1,1,0] neg_lo:[0,0,1] neg_hi:[0,0,1]
	v_pk_fma_f32 v[4:5], v[90:91], v[2:3], v[4:5] op_sel:[0,0,1] op_sel_hi:[1,0,0]
	s_delay_alu instid0(VALU_DEP_1) | instskip(SKIP_1) | instid1(VALU_DEP_2)
	v_mov_b32_e32 v7, v5
	v_pk_mul_f32 v[4:5], v[92:93], v[88:89] op_sel:[0,1]
	v_pk_add_f32 v[226:227], v[226:227], v[6:7] neg_lo:[0,1] neg_hi:[0,1]
	s_delay_alu instid0(VALU_DEP_2) | instskip(SKIP_3) | instid1(VALU_DEP_1)
	v_pk_fma_f32 v[6:7], v[92:93], v[2:3], v[4:5] op_sel:[0,0,1] op_sel_hi:[1,1,0] neg_lo:[0,0,1] neg_hi:[0,0,1]
	v_pk_fma_f32 v[4:5], v[92:93], v[2:3], v[4:5] op_sel:[0,0,1] op_sel_hi:[1,0,0]
	ds_load_2addr_b64 v[90:93], v126 offset0:50 offset1:51
	v_mov_b32_e32 v7, v5
	v_pk_add_f32 v[228:229], v[228:229], v[6:7] neg_lo:[0,1] neg_hi:[0,1]
	s_wait_dscnt 0x0
	v_dual_mul_f32 v6, v91, v2 :: v_dual_mul_f32 v4, v91, v89
	s_delay_alu instid0(VALU_DEP_1) | instskip(NEXT) | instid1(VALU_DEP_2)
	v_pk_fma_f32 v[6:7], v[90:91], v[212:213], v[6:7] op_sel:[1,0,0] op_sel_hi:[0,1,0]
	v_pk_fma_f32 v[4:5], v[90:91], v[212:213], v[4:5] op_sel_hi:[1,1,0] neg_lo:[0,0,1] neg_hi:[0,0,1]
	s_delay_alu instid0(VALU_DEP_2) | instskip(NEXT) | instid1(VALU_DEP_1)
	v_mov_b32_e32 v5, v7
	v_pk_add_f32 v[230:231], v[230:231], v[4:5] neg_lo:[0,1] neg_hi:[0,1]
	v_pk_mul_f32 v[4:5], v[92:93], v[88:89] op_sel:[0,1]
	s_delay_alu instid0(VALU_DEP_1) | instskip(SKIP_3) | instid1(VALU_DEP_1)
	v_pk_fma_f32 v[6:7], v[92:93], v[2:3], v[4:5] op_sel:[0,0,1] op_sel_hi:[1,1,0] neg_lo:[0,0,1] neg_hi:[0,0,1]
	v_pk_fma_f32 v[4:5], v[92:93], v[2:3], v[4:5] op_sel:[0,0,1] op_sel_hi:[1,0,0]
	ds_load_2addr_b64 v[90:93], v126 offset0:52 offset1:53
	v_mov_b32_e32 v7, v5
	v_pk_add_f32 v[232:233], v[232:233], v[6:7] neg_lo:[0,1] neg_hi:[0,1]
	s_wait_dscnt 0x0
	v_pk_mul_f32 v[4:5], v[90:91], v[88:89] op_sel:[0,1]
	s_delay_alu instid0(VALU_DEP_1) | instskip(SKIP_1) | instid1(VALU_DEP_1)
	v_pk_fma_f32 v[6:7], v[90:91], v[2:3], v[4:5] op_sel:[0,0,1] op_sel_hi:[1,1,0] neg_lo:[0,0,1] neg_hi:[0,0,1]
	v_pk_fma_f32 v[4:5], v[90:91], v[2:3], v[4:5] op_sel:[0,0,1] op_sel_hi:[1,0,0]
	v_mov_b32_e32 v7, v5
	v_pk_mul_f32 v[4:5], v[92:93], v[88:89] op_sel:[0,1]
	s_delay_alu instid0(VALU_DEP_2) | instskip(NEXT) | instid1(VALU_DEP_2)
	v_pk_add_f32 v[234:235], v[234:235], v[6:7] neg_lo:[0,1] neg_hi:[0,1]
	v_pk_fma_f32 v[6:7], v[92:93], v[2:3], v[4:5] op_sel:[0,0,1] op_sel_hi:[1,1,0] neg_lo:[0,0,1] neg_hi:[0,0,1]
	v_pk_fma_f32 v[4:5], v[92:93], v[2:3], v[4:5] op_sel:[0,0,1] op_sel_hi:[1,0,0]
	ds_load_2addr_b64 v[90:93], v126 offset0:54 offset1:55
	v_mov_b32_e32 v7, v5
	s_delay_alu instid0(VALU_DEP_1) | instskip(SKIP_2) | instid1(VALU_DEP_1)
	v_pk_add_f32 v[236:237], v[236:237], v[6:7] neg_lo:[0,1] neg_hi:[0,1]
	s_wait_dscnt 0x0
	v_pk_mul_f32 v[4:5], v[90:91], v[88:89] op_sel:[0,1]
	v_pk_fma_f32 v[6:7], v[90:91], v[2:3], v[4:5] op_sel:[0,0,1] op_sel_hi:[1,1,0] neg_lo:[0,0,1] neg_hi:[0,0,1]
	v_pk_fma_f32 v[4:5], v[90:91], v[2:3], v[4:5] op_sel:[0,0,1] op_sel_hi:[1,0,0]
	v_dual_mov_b32 v4, v93 :: v_dual_mul_f32 v90, v93, v2
	s_delay_alu instid0(VALU_DEP_2) | instskip(NEXT) | instid1(VALU_DEP_1)
	v_dual_mov_b32 v7, v5 :: v_dual_mov_b32 v5, v92
	v_pk_add_f32 v[238:239], v[238:239], v[6:7] neg_lo:[0,1] neg_hi:[0,1]
	v_mul_f32_e32 v6, v93, v89
	s_delay_alu instid0(VALU_DEP_3) | instskip(NEXT) | instid1(VALU_DEP_2)
	v_pk_fma_f32 v[4:5], v[4:5], v[212:213], v[90:91] op_sel_hi:[1,1,0]
	v_pk_fma_f32 v[6:7], v[92:93], v[212:213], v[6:7] op_sel_hi:[1,1,0] neg_lo:[0,0,1] neg_hi:[0,0,1]
	ds_load_2addr_b64 v[90:93], v126 offset0:56 offset1:57
	v_mov_b32_e32 v7, v5
	s_delay_alu instid0(VALU_DEP_1) | instskip(SKIP_2) | instid1(VALU_DEP_1)
	v_pk_add_f32 v[240:241], v[240:241], v[6:7] neg_lo:[0,1] neg_hi:[0,1]
	s_wait_dscnt 0x0
	v_pk_mul_f32 v[4:5], v[90:91], v[88:89] op_sel:[0,1]
	v_pk_fma_f32 v[6:7], v[90:91], v[2:3], v[4:5] op_sel:[0,0,1] op_sel_hi:[1,1,0] neg_lo:[0,0,1] neg_hi:[0,0,1]
	v_pk_fma_f32 v[4:5], v[90:91], v[2:3], v[4:5] op_sel:[0,0,1] op_sel_hi:[1,0,0]
	s_delay_alu instid0(VALU_DEP_1) | instskip(SKIP_1) | instid1(VALU_DEP_2)
	v_mov_b32_e32 v7, v5
	v_pk_mul_f32 v[4:5], v[92:93], v[88:89] op_sel:[0,1]
	v_pk_add_f32 v[252:253], v[252:253], v[6:7] neg_lo:[0,1] neg_hi:[0,1]
	s_delay_alu instid0(VALU_DEP_2) | instskip(SKIP_3) | instid1(VALU_DEP_1)
	v_pk_fma_f32 v[6:7], v[92:93], v[2:3], v[4:5] op_sel:[0,0,1] op_sel_hi:[1,1,0] neg_lo:[0,0,1] neg_hi:[0,0,1]
	v_pk_fma_f32 v[4:5], v[92:93], v[2:3], v[4:5] op_sel:[0,0,1] op_sel_hi:[1,0,0]
	ds_load_2addr_b64 v[90:93], v126 offset0:58 offset1:59
	v_mov_b32_e32 v7, v5
	v_pk_add_f32 v[246:247], v[246:247], v[6:7] neg_lo:[0,1] neg_hi:[0,1]
	s_wait_dscnt 0x0
	v_pk_mul_f32 v[4:5], v[90:91], v[88:89] op_sel:[0,1]
	s_delay_alu instid0(VALU_DEP_1) | instskip(SKIP_1) | instid1(VALU_DEP_1)
	v_pk_fma_f32 v[6:7], v[90:91], v[2:3], v[4:5] op_sel:[0,0,1] op_sel_hi:[1,1,0] neg_lo:[0,0,1] neg_hi:[0,0,1]
	v_pk_fma_f32 v[4:5], v[90:91], v[2:3], v[4:5] op_sel:[0,0,1] op_sel_hi:[1,0,0]
	v_mov_b32_e32 v7, v5
	v_pk_mul_f32 v[4:5], v[92:93], v[88:89] op_sel:[0,1]
	s_delay_alu instid0(VALU_DEP_2) | instskip(NEXT) | instid1(VALU_DEP_2)
	v_pk_add_f32 v[250:251], v[250:251], v[6:7] neg_lo:[0,1] neg_hi:[0,1]
	v_pk_fma_f32 v[6:7], v[92:93], v[2:3], v[4:5] op_sel:[0,0,1] op_sel_hi:[1,1,0] neg_lo:[0,0,1] neg_hi:[0,0,1]
	v_pk_fma_f32 v[4:5], v[92:93], v[2:3], v[4:5] op_sel:[0,0,1] op_sel_hi:[1,0,0]
	ds_load_2addr_b64 v[90:93], v126 offset0:60 offset1:61
	v_mov_b32_e32 v7, v5
	s_delay_alu instid0(VALU_DEP_1) | instskip(SKIP_2) | instid1(VALU_DEP_1)
	v_pk_add_f32 v[244:245], v[244:245], v[6:7] neg_lo:[0,1] neg_hi:[0,1]
	s_wait_dscnt 0x0
	v_dual_mul_f32 v6, v91, v2 :: v_dual_mul_f32 v4, v91, v89
	v_pk_fma_f32 v[6:7], v[90:91], v[212:213], v[6:7] op_sel:[1,0,0] op_sel_hi:[0,1,0]
	s_delay_alu instid0(VALU_DEP_2) | instskip(NEXT) | instid1(VALU_DEP_2)
	v_pk_fma_f32 v[4:5], v[90:91], v[212:213], v[4:5] op_sel_hi:[1,1,0] neg_lo:[0,0,1] neg_hi:[0,0,1]
	v_mov_b32_e32 v5, v7
	s_delay_alu instid0(VALU_DEP_1) | instskip(SKIP_1) | instid1(VALU_DEP_1)
	v_pk_add_f32 v[248:249], v[248:249], v[4:5] neg_lo:[0,1] neg_hi:[0,1]
	v_pk_mul_f32 v[4:5], v[92:93], v[88:89] op_sel:[0,1]
	v_pk_fma_f32 v[6:7], v[92:93], v[2:3], v[4:5] op_sel:[0,0,1] op_sel_hi:[1,1,0] neg_lo:[0,0,1] neg_hi:[0,0,1]
	v_pk_fma_f32 v[4:5], v[92:93], v[2:3], v[4:5] op_sel:[0,0,1] op_sel_hi:[1,0,0]
	ds_load_2addr_b64 v[90:93], v126 offset0:62 offset1:63
	v_mov_b32_e32 v7, v5
	s_delay_alu instid0(VALU_DEP_1) | instskip(SKIP_2) | instid1(VALU_DEP_1)
	v_pk_add_f32 v[242:243], v[242:243], v[6:7] neg_lo:[0,1] neg_hi:[0,1]
	s_wait_dscnt 0x0
	v_pk_mul_f32 v[4:5], v[90:91], v[88:89] op_sel:[0,1]
	v_pk_fma_f32 v[6:7], v[90:91], v[2:3], v[4:5] op_sel:[0,0,1] op_sel_hi:[1,1,0] neg_lo:[0,0,1] neg_hi:[0,0,1]
	v_pk_fma_f32 v[4:5], v[90:91], v[2:3], v[4:5] op_sel:[0,0,1] op_sel_hi:[1,0,0]
	s_delay_alu instid0(VALU_DEP_1) | instskip(SKIP_1) | instid1(VALU_DEP_2)
	v_mov_b32_e32 v7, v5
	v_pk_mul_f32 v[4:5], v[92:93], v[88:89] op_sel:[0,1]
	v_pk_add_f32 v[254:255], v[254:255], v[6:7] neg_lo:[0,1] neg_hi:[0,1]
	s_delay_alu instid0(VALU_DEP_2) | instskip(SKIP_1) | instid1(VALU_DEP_1)
	v_pk_fma_f32 v[6:7], v[92:93], v[2:3], v[4:5] op_sel:[0,0,1] op_sel_hi:[1,1,0] neg_lo:[0,0,1] neg_hi:[0,0,1]
	v_pk_fma_f32 v[2:3], v[92:93], v[2:3], v[4:5] op_sel:[0,0,1] op_sel_hi:[1,0,0]
	v_mov_b32_e32 v7, v3
	s_delay_alu instid0(VALU_DEP_1)
	v_pk_add_f32 v[0:1], v[0:1], v[6:7] neg_lo:[0,1] neg_hi:[0,1]
.LBB127_379:
	s_or_b32 exec_lo, exec_lo, s1
	s_delay_alu instid0(SALU_CYCLE_1)
	s_mov_b32 s2, exec_lo
	s_wait_dscnt 0x0
	s_barrier_signal -1
	s_barrier_wait -1
	v_cmpx_eq_u32_e32 42, v18
	s_cbranch_execz .LBB127_386
; %bb.380:
	ds_store_b64 v19, v[214:215]
	ds_store_2addr_b64 v126, v[216:217], v[218:219] offset0:43 offset1:44
	ds_store_2addr_b64 v126, v[220:221], v[222:223] offset0:45 offset1:46
	;; [unrolled: 1-line block ×10, first 2 shown]
	ds_store_b64 v126, v[0:1] offset:504
	ds_load_b64 v[2:3], v19
	s_wait_dscnt 0x0
	v_cmp_neq_f32_e32 vcc_lo, 0, v2
	v_cmp_neq_f32_e64 s1, 0, v3
	s_or_b32 s1, vcc_lo, s1
	s_delay_alu instid0(SALU_CYCLE_1)
	s_and_b32 exec_lo, exec_lo, s1
	s_cbranch_execz .LBB127_386
; %bb.381:
	v_cmp_ngt_f32_e64 s1, |v2|, |v3|
                                        ; implicit-def: $vgpr4_vgpr5
	s_and_saveexec_b32 s4, s1
	s_delay_alu instid0(SALU_CYCLE_1)
	s_xor_b32 s1, exec_lo, s4
	s_cbranch_execz .LBB127_383
; %bb.382:
	v_div_scale_f32 v4, null, v3, v3, v2
	v_div_scale_f32 v7, vcc_lo, v2, v3, v2
	s_delay_alu instid0(VALU_DEP_2) | instskip(SKIP_1) | instid1(TRANS32_DEP_1)
	v_rcp_f32_e32 v5, v4
	v_nop
	v_fma_f32 v6, -v4, v5, 1.0
	s_delay_alu instid0(VALU_DEP_1) | instskip(NEXT) | instid1(VALU_DEP_1)
	v_fmac_f32_e32 v5, v6, v5
	v_mul_f32_e32 v6, v7, v5
	s_delay_alu instid0(VALU_DEP_1) | instskip(NEXT) | instid1(VALU_DEP_1)
	v_fma_f32 v8, -v4, v6, v7
	v_fmac_f32_e32 v6, v8, v5
	s_delay_alu instid0(VALU_DEP_1) | instskip(NEXT) | instid1(VALU_DEP_1)
	v_fma_f32 v4, -v4, v6, v7
	v_div_fmas_f32 v4, v4, v5, v6
	s_delay_alu instid0(VALU_DEP_1) | instskip(NEXT) | instid1(VALU_DEP_1)
	v_div_fixup_f32 v4, v4, v3, v2
	v_fmac_f32_e32 v3, v2, v4
	s_delay_alu instid0(VALU_DEP_1) | instskip(SKIP_1) | instid1(VALU_DEP_2)
	v_div_scale_f32 v2, null, v3, v3, 1.0
	v_div_scale_f32 v7, vcc_lo, 1.0, v3, 1.0
	v_rcp_f32_e32 v5, v2
	v_nop
	s_delay_alu instid0(TRANS32_DEP_1) | instskip(NEXT) | instid1(VALU_DEP_1)
	v_fma_f32 v6, -v2, v5, 1.0
	v_fmac_f32_e32 v5, v6, v5
	s_delay_alu instid0(VALU_DEP_1) | instskip(NEXT) | instid1(VALU_DEP_1)
	v_mul_f32_e32 v6, v7, v5
	v_fma_f32 v8, -v2, v6, v7
	s_delay_alu instid0(VALU_DEP_1) | instskip(NEXT) | instid1(VALU_DEP_1)
	v_fmac_f32_e32 v6, v8, v5
	v_fma_f32 v2, -v2, v6, v7
	s_delay_alu instid0(VALU_DEP_1) | instskip(NEXT) | instid1(VALU_DEP_1)
	v_div_fmas_f32 v2, v2, v5, v6
	v_div_fixup_f32 v2, v2, v3, 1.0
	s_delay_alu instid0(VALU_DEP_1)
	v_mul_f32_e32 v4, v4, v2
	v_xor_b32_e32 v5, 0x80000000, v2
                                        ; implicit-def: $vgpr2_vgpr3
.LBB127_383:
	s_and_not1_saveexec_b32 s1, s1
	s_cbranch_execz .LBB127_385
; %bb.384:
	v_div_scale_f32 v4, null, v2, v2, v3
	v_div_scale_f32 v7, vcc_lo, v3, v2, v3
	s_delay_alu instid0(VALU_DEP_2) | instskip(SKIP_1) | instid1(TRANS32_DEP_1)
	v_rcp_f32_e32 v5, v4
	v_nop
	v_fma_f32 v6, -v4, v5, 1.0
	s_delay_alu instid0(VALU_DEP_1) | instskip(NEXT) | instid1(VALU_DEP_1)
	v_fmac_f32_e32 v5, v6, v5
	v_mul_f32_e32 v6, v7, v5
	s_delay_alu instid0(VALU_DEP_1) | instskip(NEXT) | instid1(VALU_DEP_1)
	v_fma_f32 v8, -v4, v6, v7
	v_fmac_f32_e32 v6, v8, v5
	s_delay_alu instid0(VALU_DEP_1) | instskip(NEXT) | instid1(VALU_DEP_1)
	v_fma_f32 v4, -v4, v6, v7
	v_div_fmas_f32 v4, v4, v5, v6
	s_delay_alu instid0(VALU_DEP_1) | instskip(NEXT) | instid1(VALU_DEP_1)
	v_div_fixup_f32 v5, v4, v2, v3
	v_fmac_f32_e32 v2, v3, v5
	s_delay_alu instid0(VALU_DEP_1) | instskip(NEXT) | instid1(VALU_DEP_1)
	v_div_scale_f32 v3, null, v2, v2, 1.0
	v_rcp_f32_e32 v4, v3
	v_nop
	s_delay_alu instid0(TRANS32_DEP_1) | instskip(NEXT) | instid1(VALU_DEP_1)
	v_fma_f32 v6, -v3, v4, 1.0
	v_fmac_f32_e32 v4, v6, v4
	v_div_scale_f32 v6, vcc_lo, 1.0, v2, 1.0
	s_delay_alu instid0(VALU_DEP_1) | instskip(NEXT) | instid1(VALU_DEP_1)
	v_mul_f32_e32 v7, v6, v4
	v_fma_f32 v8, -v3, v7, v6
	s_delay_alu instid0(VALU_DEP_1) | instskip(NEXT) | instid1(VALU_DEP_1)
	v_fmac_f32_e32 v7, v8, v4
	v_fma_f32 v3, -v3, v7, v6
	s_delay_alu instid0(VALU_DEP_1) | instskip(NEXT) | instid1(VALU_DEP_1)
	v_div_fmas_f32 v3, v3, v4, v7
	v_div_fixup_f32 v4, v3, v2, 1.0
	s_delay_alu instid0(VALU_DEP_1)
	v_mul_f32_e64 v5, v5, -v4
.LBB127_385:
	s_or_b32 exec_lo, exec_lo, s1
	ds_store_b64 v19, v[4:5]
.LBB127_386:
	s_or_b32 exec_lo, exec_lo, s2
	s_wait_dscnt 0x0
	s_barrier_signal -1
	s_barrier_wait -1
	ds_load_b64 v[88:89], v19
	s_mov_b32 s1, exec_lo
	v_cmpx_lt_u32_e32 42, v18
	s_cbranch_execz .LBB127_388
; %bb.387:
	ds_load_2addr_b64 v[92:95], v126 offset0:43 offset1:44
	s_wait_dscnt 0x1
	v_pk_mul_f32 v[4:5], v[88:89], v[214:215] op_sel:[1,1] op_sel_hi:[0,1]
	s_delay_alu instid0(VALU_DEP_1) | instskip(SKIP_1) | instid1(VALU_DEP_1)
	v_pk_fma_f32 v[90:91], v[88:89], v[214:215], v[4:5] op_sel_hi:[1,0,1]
	v_pk_fma_f32 v[2:3], v[88:89], v[214:215], v[4:5] op_sel_hi:[1,0,1] neg_lo:[0,0,1] neg_hi:[0,0,1]
	v_dual_mov_b32 v215, v91 :: v_dual_mov_b32 v214, v2
	s_wait_dscnt 0x0
	s_delay_alu instid0(VALU_DEP_3) | instskip(NEXT) | instid1(VALU_DEP_1)
	v_pk_mul_f32 v[4:5], v[92:93], v[90:91] op_sel:[0,1]
	v_pk_fma_f32 v[6:7], v[92:93], v[2:3], v[4:5] op_sel:[0,0,1] op_sel_hi:[1,1,0] neg_lo:[0,0,1] neg_hi:[0,0,1]
	v_pk_fma_f32 v[4:5], v[92:93], v[2:3], v[4:5] op_sel:[0,0,1] op_sel_hi:[1,0,0]
	s_delay_alu instid0(VALU_DEP_1) | instskip(SKIP_1) | instid1(VALU_DEP_2)
	v_mov_b32_e32 v7, v5
	v_pk_mul_f32 v[4:5], v[94:95], v[90:91] op_sel:[0,1]
	v_pk_add_f32 v[216:217], v[216:217], v[6:7] neg_lo:[0,1] neg_hi:[0,1]
	s_delay_alu instid0(VALU_DEP_2) | instskip(SKIP_3) | instid1(VALU_DEP_1)
	v_pk_fma_f32 v[6:7], v[94:95], v[2:3], v[4:5] op_sel:[0,0,1] op_sel_hi:[1,1,0] neg_lo:[0,0,1] neg_hi:[0,0,1]
	v_pk_fma_f32 v[4:5], v[94:95], v[2:3], v[4:5] op_sel:[0,0,1] op_sel_hi:[1,0,0]
	ds_load_2addr_b64 v[92:95], v126 offset0:45 offset1:46
	v_mov_b32_e32 v7, v5
	v_pk_add_f32 v[218:219], v[218:219], v[6:7] neg_lo:[0,1] neg_hi:[0,1]
	s_wait_dscnt 0x0
	v_pk_mul_f32 v[4:5], v[92:93], v[90:91] op_sel:[0,1]
	s_delay_alu instid0(VALU_DEP_1) | instskip(SKIP_2) | instid1(VALU_DEP_2)
	v_pk_fma_f32 v[6:7], v[92:93], v[2:3], v[4:5] op_sel:[0,0,1] op_sel_hi:[1,1,0] neg_lo:[0,0,1] neg_hi:[0,0,1]
	v_pk_fma_f32 v[4:5], v[92:93], v[2:3], v[4:5] op_sel:[0,0,1] op_sel_hi:[1,0,0]
	v_dual_mov_b32 v4, v95 :: v_dual_mul_f32 v92, v95, v2
	v_dual_mov_b32 v7, v5 :: v_dual_mov_b32 v5, v94
	s_delay_alu instid0(VALU_DEP_1) | instskip(SKIP_1) | instid1(VALU_DEP_3)
	v_pk_add_f32 v[220:221], v[220:221], v[6:7] neg_lo:[0,1] neg_hi:[0,1]
	v_mul_f32_e32 v6, v95, v91
	v_pk_fma_f32 v[4:5], v[4:5], v[214:215], v[92:93] op_sel_hi:[1,1,0]
	s_delay_alu instid0(VALU_DEP_2) | instskip(SKIP_2) | instid1(VALU_DEP_1)
	v_pk_fma_f32 v[6:7], v[94:95], v[214:215], v[6:7] op_sel_hi:[1,1,0] neg_lo:[0,0,1] neg_hi:[0,0,1]
	ds_load_2addr_b64 v[92:95], v126 offset0:47 offset1:48
	v_mov_b32_e32 v7, v5
	v_pk_add_f32 v[222:223], v[222:223], v[6:7] neg_lo:[0,1] neg_hi:[0,1]
	s_wait_dscnt 0x0
	v_pk_mul_f32 v[4:5], v[92:93], v[90:91] op_sel:[0,1]
	s_delay_alu instid0(VALU_DEP_1) | instskip(SKIP_1) | instid1(VALU_DEP_1)
	v_pk_fma_f32 v[6:7], v[92:93], v[2:3], v[4:5] op_sel:[0,0,1] op_sel_hi:[1,1,0] neg_lo:[0,0,1] neg_hi:[0,0,1]
	v_pk_fma_f32 v[4:5], v[92:93], v[2:3], v[4:5] op_sel:[0,0,1] op_sel_hi:[1,0,0]
	v_mov_b32_e32 v7, v5
	v_pk_mul_f32 v[4:5], v[94:95], v[90:91] op_sel:[0,1]
	s_delay_alu instid0(VALU_DEP_2) | instskip(NEXT) | instid1(VALU_DEP_2)
	v_pk_add_f32 v[224:225], v[224:225], v[6:7] neg_lo:[0,1] neg_hi:[0,1]
	v_pk_fma_f32 v[6:7], v[94:95], v[2:3], v[4:5] op_sel:[0,0,1] op_sel_hi:[1,1,0] neg_lo:[0,0,1] neg_hi:[0,0,1]
	v_pk_fma_f32 v[4:5], v[94:95], v[2:3], v[4:5] op_sel:[0,0,1] op_sel_hi:[1,0,0]
	ds_load_2addr_b64 v[92:95], v126 offset0:49 offset1:50
	v_mov_b32_e32 v7, v5
	s_delay_alu instid0(VALU_DEP_1) | instskip(SKIP_2) | instid1(VALU_DEP_1)
	v_pk_add_f32 v[226:227], v[226:227], v[6:7] neg_lo:[0,1] neg_hi:[0,1]
	s_wait_dscnt 0x0
	v_pk_mul_f32 v[4:5], v[92:93], v[90:91] op_sel:[0,1]
	v_pk_fma_f32 v[6:7], v[92:93], v[2:3], v[4:5] op_sel:[0,0,1] op_sel_hi:[1,1,0] neg_lo:[0,0,1] neg_hi:[0,0,1]
	v_pk_fma_f32 v[4:5], v[92:93], v[2:3], v[4:5] op_sel:[0,0,1] op_sel_hi:[1,0,0]
	s_delay_alu instid0(VALU_DEP_1) | instskip(SKIP_1) | instid1(VALU_DEP_2)
	v_mov_b32_e32 v7, v5
	v_pk_mul_f32 v[4:5], v[94:95], v[90:91] op_sel:[0,1]
	v_pk_add_f32 v[228:229], v[228:229], v[6:7] neg_lo:[0,1] neg_hi:[0,1]
	s_delay_alu instid0(VALU_DEP_2) | instskip(SKIP_3) | instid1(VALU_DEP_1)
	v_pk_fma_f32 v[6:7], v[94:95], v[2:3], v[4:5] op_sel:[0,0,1] op_sel_hi:[1,1,0] neg_lo:[0,0,1] neg_hi:[0,0,1]
	v_pk_fma_f32 v[4:5], v[94:95], v[2:3], v[4:5] op_sel:[0,0,1] op_sel_hi:[1,0,0]
	ds_load_2addr_b64 v[92:95], v126 offset0:51 offset1:52
	v_mov_b32_e32 v7, v5
	v_pk_add_f32 v[230:231], v[230:231], v[6:7] neg_lo:[0,1] neg_hi:[0,1]
	s_wait_dscnt 0x0
	v_dual_mul_f32 v4, v93, v91 :: v_dual_mul_f32 v6, v93, v2
	s_delay_alu instid0(VALU_DEP_1) | instskip(NEXT) | instid1(VALU_DEP_2)
	v_pk_fma_f32 v[4:5], v[92:93], v[214:215], v[4:5] op_sel_hi:[1,1,0] neg_lo:[0,0,1] neg_hi:[0,0,1]
	v_pk_fma_f32 v[6:7], v[92:93], v[214:215], v[6:7] op_sel:[1,0,0] op_sel_hi:[0,1,0]
	s_delay_alu instid0(VALU_DEP_1) | instskip(NEXT) | instid1(VALU_DEP_1)
	v_mov_b32_e32 v5, v7
	v_pk_add_f32 v[232:233], v[232:233], v[4:5] neg_lo:[0,1] neg_hi:[0,1]
	v_pk_mul_f32 v[4:5], v[94:95], v[90:91] op_sel:[0,1]
	s_delay_alu instid0(VALU_DEP_1) | instskip(SKIP_3) | instid1(VALU_DEP_1)
	v_pk_fma_f32 v[6:7], v[94:95], v[2:3], v[4:5] op_sel:[0,0,1] op_sel_hi:[1,1,0] neg_lo:[0,0,1] neg_hi:[0,0,1]
	v_pk_fma_f32 v[4:5], v[94:95], v[2:3], v[4:5] op_sel:[0,0,1] op_sel_hi:[1,0,0]
	ds_load_2addr_b64 v[92:95], v126 offset0:53 offset1:54
	v_mov_b32_e32 v7, v5
	v_pk_add_f32 v[234:235], v[234:235], v[6:7] neg_lo:[0,1] neg_hi:[0,1]
	s_wait_dscnt 0x0
	v_pk_mul_f32 v[4:5], v[92:93], v[90:91] op_sel:[0,1]
	s_delay_alu instid0(VALU_DEP_1) | instskip(SKIP_1) | instid1(VALU_DEP_1)
	v_pk_fma_f32 v[6:7], v[92:93], v[2:3], v[4:5] op_sel:[0,0,1] op_sel_hi:[1,1,0] neg_lo:[0,0,1] neg_hi:[0,0,1]
	v_pk_fma_f32 v[4:5], v[92:93], v[2:3], v[4:5] op_sel:[0,0,1] op_sel_hi:[1,0,0]
	v_mov_b32_e32 v7, v5
	v_pk_mul_f32 v[4:5], v[94:95], v[90:91] op_sel:[0,1]
	s_delay_alu instid0(VALU_DEP_2) | instskip(NEXT) | instid1(VALU_DEP_2)
	v_pk_add_f32 v[236:237], v[236:237], v[6:7] neg_lo:[0,1] neg_hi:[0,1]
	v_pk_fma_f32 v[6:7], v[94:95], v[2:3], v[4:5] op_sel:[0,0,1] op_sel_hi:[1,1,0] neg_lo:[0,0,1] neg_hi:[0,0,1]
	v_pk_fma_f32 v[4:5], v[94:95], v[2:3], v[4:5] op_sel:[0,0,1] op_sel_hi:[1,0,0]
	ds_load_2addr_b64 v[92:95], v126 offset0:55 offset1:56
	v_mov_b32_e32 v7, v5
	s_delay_alu instid0(VALU_DEP_1) | instskip(SKIP_2) | instid1(VALU_DEP_1)
	v_pk_add_f32 v[238:239], v[238:239], v[6:7] neg_lo:[0,1] neg_hi:[0,1]
	s_wait_dscnt 0x0
	v_pk_mul_f32 v[4:5], v[92:93], v[90:91] op_sel:[0,1]
	v_pk_fma_f32 v[6:7], v[92:93], v[2:3], v[4:5] op_sel:[0,0,1] op_sel_hi:[1,1,0] neg_lo:[0,0,1] neg_hi:[0,0,1]
	v_pk_fma_f32 v[4:5], v[92:93], v[2:3], v[4:5] op_sel:[0,0,1] op_sel_hi:[1,0,0]
	v_dual_mov_b32 v4, v95 :: v_dual_mul_f32 v92, v95, v2
	s_delay_alu instid0(VALU_DEP_2) | instskip(NEXT) | instid1(VALU_DEP_1)
	v_dual_mov_b32 v7, v5 :: v_dual_mov_b32 v5, v94
	v_pk_add_f32 v[240:241], v[240:241], v[6:7] neg_lo:[0,1] neg_hi:[0,1]
	v_mul_f32_e32 v6, v95, v91
	s_delay_alu instid0(VALU_DEP_3) | instskip(NEXT) | instid1(VALU_DEP_2)
	v_pk_fma_f32 v[4:5], v[4:5], v[214:215], v[92:93] op_sel_hi:[1,1,0]
	v_pk_fma_f32 v[6:7], v[94:95], v[214:215], v[6:7] op_sel_hi:[1,1,0] neg_lo:[0,0,1] neg_hi:[0,0,1]
	ds_load_2addr_b64 v[92:95], v126 offset0:57 offset1:58
	v_mov_b32_e32 v7, v5
	s_delay_alu instid0(VALU_DEP_1) | instskip(SKIP_2) | instid1(VALU_DEP_1)
	v_pk_add_f32 v[252:253], v[252:253], v[6:7] neg_lo:[0,1] neg_hi:[0,1]
	s_wait_dscnt 0x0
	v_pk_mul_f32 v[4:5], v[92:93], v[90:91] op_sel:[0,1]
	v_pk_fma_f32 v[6:7], v[92:93], v[2:3], v[4:5] op_sel:[0,0,1] op_sel_hi:[1,1,0] neg_lo:[0,0,1] neg_hi:[0,0,1]
	v_pk_fma_f32 v[4:5], v[92:93], v[2:3], v[4:5] op_sel:[0,0,1] op_sel_hi:[1,0,0]
	s_delay_alu instid0(VALU_DEP_1) | instskip(SKIP_1) | instid1(VALU_DEP_2)
	v_mov_b32_e32 v7, v5
	v_pk_mul_f32 v[4:5], v[94:95], v[90:91] op_sel:[0,1]
	v_pk_add_f32 v[246:247], v[246:247], v[6:7] neg_lo:[0,1] neg_hi:[0,1]
	s_delay_alu instid0(VALU_DEP_2) | instskip(SKIP_3) | instid1(VALU_DEP_1)
	v_pk_fma_f32 v[6:7], v[94:95], v[2:3], v[4:5] op_sel:[0,0,1] op_sel_hi:[1,1,0] neg_lo:[0,0,1] neg_hi:[0,0,1]
	v_pk_fma_f32 v[4:5], v[94:95], v[2:3], v[4:5] op_sel:[0,0,1] op_sel_hi:[1,0,0]
	ds_load_2addr_b64 v[92:95], v126 offset0:59 offset1:60
	v_mov_b32_e32 v7, v5
	v_pk_add_f32 v[250:251], v[250:251], v[6:7] neg_lo:[0,1] neg_hi:[0,1]
	s_wait_dscnt 0x0
	v_pk_mul_f32 v[4:5], v[92:93], v[90:91] op_sel:[0,1]
	s_delay_alu instid0(VALU_DEP_1) | instskip(SKIP_1) | instid1(VALU_DEP_1)
	v_pk_fma_f32 v[6:7], v[92:93], v[2:3], v[4:5] op_sel:[0,0,1] op_sel_hi:[1,1,0] neg_lo:[0,0,1] neg_hi:[0,0,1]
	v_pk_fma_f32 v[4:5], v[92:93], v[2:3], v[4:5] op_sel:[0,0,1] op_sel_hi:[1,0,0]
	v_mov_b32_e32 v7, v5
	v_pk_mul_f32 v[4:5], v[94:95], v[90:91] op_sel:[0,1]
	s_delay_alu instid0(VALU_DEP_2) | instskip(NEXT) | instid1(VALU_DEP_2)
	v_pk_add_f32 v[244:245], v[244:245], v[6:7] neg_lo:[0,1] neg_hi:[0,1]
	v_pk_fma_f32 v[6:7], v[94:95], v[2:3], v[4:5] op_sel:[0,0,1] op_sel_hi:[1,1,0] neg_lo:[0,0,1] neg_hi:[0,0,1]
	v_pk_fma_f32 v[4:5], v[94:95], v[2:3], v[4:5] op_sel:[0,0,1] op_sel_hi:[1,0,0]
	ds_load_2addr_b64 v[92:95], v126 offset0:61 offset1:62
	v_mov_b32_e32 v7, v5
	s_delay_alu instid0(VALU_DEP_1) | instskip(SKIP_2) | instid1(VALU_DEP_1)
	v_pk_add_f32 v[248:249], v[248:249], v[6:7] neg_lo:[0,1] neg_hi:[0,1]
	s_wait_dscnt 0x0
	v_dual_mul_f32 v6, v93, v2 :: v_dual_mul_f32 v4, v93, v91
	v_pk_fma_f32 v[6:7], v[92:93], v[214:215], v[6:7] op_sel:[1,0,0] op_sel_hi:[0,1,0]
	s_delay_alu instid0(VALU_DEP_2) | instskip(NEXT) | instid1(VALU_DEP_2)
	v_pk_fma_f32 v[4:5], v[92:93], v[214:215], v[4:5] op_sel_hi:[1,1,0] neg_lo:[0,0,1] neg_hi:[0,0,1]
	v_mov_b32_e32 v5, v7
	s_delay_alu instid0(VALU_DEP_1) | instskip(SKIP_1) | instid1(VALU_DEP_1)
	v_pk_add_f32 v[242:243], v[242:243], v[4:5] neg_lo:[0,1] neg_hi:[0,1]
	v_pk_mul_f32 v[4:5], v[94:95], v[90:91] op_sel:[0,1]
	v_pk_fma_f32 v[6:7], v[94:95], v[2:3], v[4:5] op_sel:[0,0,1] op_sel_hi:[1,1,0] neg_lo:[0,0,1] neg_hi:[0,0,1]
	v_pk_fma_f32 v[4:5], v[94:95], v[2:3], v[4:5] op_sel:[0,0,1] op_sel_hi:[1,0,0]
	s_delay_alu instid0(VALU_DEP_1) | instskip(SKIP_4) | instid1(VALU_DEP_1)
	v_mov_b32_e32 v7, v5
	ds_load_b64 v[4:5], v126 offset:504
	v_pk_add_f32 v[254:255], v[254:255], v[6:7] neg_lo:[0,1] neg_hi:[0,1]
	s_wait_dscnt 0x0
	v_pk_mul_f32 v[6:7], v[4:5], v[90:91] op_sel:[0,1]
	v_pk_fma_f32 v[90:91], v[4:5], v[2:3], v[6:7] op_sel:[0,0,1] op_sel_hi:[1,1,0] neg_lo:[0,0,1] neg_hi:[0,0,1]
	v_pk_fma_f32 v[2:3], v[4:5], v[2:3], v[6:7] op_sel:[0,0,1] op_sel_hi:[1,0,0]
	s_delay_alu instid0(VALU_DEP_1) | instskip(NEXT) | instid1(VALU_DEP_1)
	v_mov_b32_e32 v91, v3
	v_pk_add_f32 v[0:1], v[0:1], v[90:91] neg_lo:[0,1] neg_hi:[0,1]
.LBB127_388:
	s_or_b32 exec_lo, exec_lo, s1
	s_delay_alu instid0(SALU_CYCLE_1)
	s_mov_b32 s2, exec_lo
	s_wait_dscnt 0x0
	s_barrier_signal -1
	s_barrier_wait -1
	v_cmpx_eq_u32_e32 43, v18
	s_cbranch_execz .LBB127_395
; %bb.389:
	v_dual_mov_b32 v2, v218 :: v_dual_mov_b32 v3, v219
	v_dual_mov_b32 v4, v220 :: v_dual_mov_b32 v5, v221
	ds_store_b64 v19, v[216:217]
	ds_store_2addr_b64 v126, v[2:3], v[4:5] offset0:44 offset1:45
	v_dual_mov_b32 v2, v222 :: v_dual_mov_b32 v3, v223
	v_dual_mov_b32 v4, v224 :: v_dual_mov_b32 v5, v225
	ds_store_2addr_b64 v126, v[2:3], v[4:5] offset0:46 offset1:47
	v_dual_mov_b32 v2, v226 :: v_dual_mov_b32 v3, v227
	v_dual_mov_b32 v4, v228 :: v_dual_mov_b32 v5, v229
	;; [unrolled: 3-line block ×8, first 2 shown]
	ds_store_2addr_b64 v126, v[2:3], v[4:5] offset0:60 offset1:61
	v_dual_mov_b32 v2, v254 :: v_dual_mov_b32 v3, v255
	ds_store_2addr_b64 v126, v[2:3], v[0:1] offset0:62 offset1:63
	ds_load_b64 v[2:3], v19
	s_wait_dscnt 0x0
	v_cmp_neq_f32_e32 vcc_lo, 0, v2
	v_cmp_neq_f32_e64 s1, 0, v3
	s_or_b32 s1, vcc_lo, s1
	s_delay_alu instid0(SALU_CYCLE_1)
	s_and_b32 exec_lo, exec_lo, s1
	s_cbranch_execz .LBB127_395
; %bb.390:
	v_cmp_ngt_f32_e64 s1, |v2|, |v3|
                                        ; implicit-def: $vgpr4_vgpr5
	s_and_saveexec_b32 s4, s1
	s_delay_alu instid0(SALU_CYCLE_1)
	s_xor_b32 s1, exec_lo, s4
	s_cbranch_execz .LBB127_392
; %bb.391:
	v_div_scale_f32 v4, null, v3, v3, v2
	v_div_scale_f32 v7, vcc_lo, v2, v3, v2
	s_delay_alu instid0(VALU_DEP_2) | instskip(SKIP_1) | instid1(TRANS32_DEP_1)
	v_rcp_f32_e32 v5, v4
	v_nop
	v_fma_f32 v6, -v4, v5, 1.0
	s_delay_alu instid0(VALU_DEP_1) | instskip(NEXT) | instid1(VALU_DEP_1)
	v_fmac_f32_e32 v5, v6, v5
	v_mul_f32_e32 v6, v7, v5
	s_delay_alu instid0(VALU_DEP_1) | instskip(NEXT) | instid1(VALU_DEP_1)
	v_fma_f32 v8, -v4, v6, v7
	v_fmac_f32_e32 v6, v8, v5
	s_delay_alu instid0(VALU_DEP_1) | instskip(NEXT) | instid1(VALU_DEP_1)
	v_fma_f32 v4, -v4, v6, v7
	v_div_fmas_f32 v4, v4, v5, v6
	s_delay_alu instid0(VALU_DEP_1) | instskip(NEXT) | instid1(VALU_DEP_1)
	v_div_fixup_f32 v4, v4, v3, v2
	v_fmac_f32_e32 v3, v2, v4
	s_delay_alu instid0(VALU_DEP_1) | instskip(SKIP_1) | instid1(VALU_DEP_2)
	v_div_scale_f32 v2, null, v3, v3, 1.0
	v_div_scale_f32 v7, vcc_lo, 1.0, v3, 1.0
	v_rcp_f32_e32 v5, v2
	v_nop
	s_delay_alu instid0(TRANS32_DEP_1) | instskip(NEXT) | instid1(VALU_DEP_1)
	v_fma_f32 v6, -v2, v5, 1.0
	v_fmac_f32_e32 v5, v6, v5
	s_delay_alu instid0(VALU_DEP_1) | instskip(NEXT) | instid1(VALU_DEP_1)
	v_mul_f32_e32 v6, v7, v5
	v_fma_f32 v8, -v2, v6, v7
	s_delay_alu instid0(VALU_DEP_1) | instskip(NEXT) | instid1(VALU_DEP_1)
	v_fmac_f32_e32 v6, v8, v5
	v_fma_f32 v2, -v2, v6, v7
	s_delay_alu instid0(VALU_DEP_1) | instskip(NEXT) | instid1(VALU_DEP_1)
	v_div_fmas_f32 v2, v2, v5, v6
	v_div_fixup_f32 v2, v2, v3, 1.0
	s_delay_alu instid0(VALU_DEP_1)
	v_mul_f32_e32 v4, v4, v2
	v_xor_b32_e32 v5, 0x80000000, v2
                                        ; implicit-def: $vgpr2_vgpr3
.LBB127_392:
	s_and_not1_saveexec_b32 s1, s1
	s_cbranch_execz .LBB127_394
; %bb.393:
	v_div_scale_f32 v4, null, v2, v2, v3
	v_div_scale_f32 v7, vcc_lo, v3, v2, v3
	s_delay_alu instid0(VALU_DEP_2) | instskip(SKIP_1) | instid1(TRANS32_DEP_1)
	v_rcp_f32_e32 v5, v4
	v_nop
	v_fma_f32 v6, -v4, v5, 1.0
	s_delay_alu instid0(VALU_DEP_1) | instskip(NEXT) | instid1(VALU_DEP_1)
	v_fmac_f32_e32 v5, v6, v5
	v_mul_f32_e32 v6, v7, v5
	s_delay_alu instid0(VALU_DEP_1) | instskip(NEXT) | instid1(VALU_DEP_1)
	v_fma_f32 v8, -v4, v6, v7
	v_fmac_f32_e32 v6, v8, v5
	s_delay_alu instid0(VALU_DEP_1) | instskip(NEXT) | instid1(VALU_DEP_1)
	v_fma_f32 v4, -v4, v6, v7
	v_div_fmas_f32 v4, v4, v5, v6
	s_delay_alu instid0(VALU_DEP_1) | instskip(NEXT) | instid1(VALU_DEP_1)
	v_div_fixup_f32 v5, v4, v2, v3
	v_fmac_f32_e32 v2, v3, v5
	s_delay_alu instid0(VALU_DEP_1) | instskip(NEXT) | instid1(VALU_DEP_1)
	v_div_scale_f32 v3, null, v2, v2, 1.0
	v_rcp_f32_e32 v4, v3
	v_nop
	s_delay_alu instid0(TRANS32_DEP_1) | instskip(NEXT) | instid1(VALU_DEP_1)
	v_fma_f32 v6, -v3, v4, 1.0
	v_fmac_f32_e32 v4, v6, v4
	v_div_scale_f32 v6, vcc_lo, 1.0, v2, 1.0
	s_delay_alu instid0(VALU_DEP_1) | instskip(NEXT) | instid1(VALU_DEP_1)
	v_mul_f32_e32 v7, v6, v4
	v_fma_f32 v8, -v3, v7, v6
	s_delay_alu instid0(VALU_DEP_1) | instskip(NEXT) | instid1(VALU_DEP_1)
	v_fmac_f32_e32 v7, v8, v4
	v_fma_f32 v3, -v3, v7, v6
	s_delay_alu instid0(VALU_DEP_1) | instskip(NEXT) | instid1(VALU_DEP_1)
	v_div_fmas_f32 v3, v3, v4, v7
	v_div_fixup_f32 v4, v3, v2, 1.0
	s_delay_alu instid0(VALU_DEP_1)
	v_mul_f32_e64 v5, v5, -v4
.LBB127_394:
	s_or_b32 exec_lo, exec_lo, s1
	ds_store_b64 v19, v[4:5]
.LBB127_395:
	s_or_b32 exec_lo, exec_lo, s2
	s_wait_dscnt 0x0
	s_barrier_signal -1
	s_barrier_wait -1
	ds_load_b64 v[90:91], v19
	s_mov_b32 s1, exec_lo
	v_cmpx_lt_u32_e32 43, v18
	s_cbranch_execz .LBB127_397
; %bb.396:
	ds_load_2addr_b64 v[94:97], v126 offset0:44 offset1:45
	s_wait_dscnt 0x1
	v_pk_mul_f32 v[4:5], v[90:91], v[216:217] op_sel:[1,1] op_sel_hi:[0,1]
	s_delay_alu instid0(VALU_DEP_1) | instskip(SKIP_1) | instid1(VALU_DEP_1)
	v_pk_fma_f32 v[92:93], v[90:91], v[216:217], v[4:5] op_sel_hi:[1,0,1]
	v_pk_fma_f32 v[2:3], v[90:91], v[216:217], v[4:5] op_sel_hi:[1,0,1] neg_lo:[0,0,1] neg_hi:[0,0,1]
	v_dual_mov_b32 v217, v93 :: v_dual_mov_b32 v216, v2
	s_wait_dscnt 0x0
	s_delay_alu instid0(VALU_DEP_3) | instskip(NEXT) | instid1(VALU_DEP_1)
	v_pk_mul_f32 v[4:5], v[94:95], v[92:93] op_sel:[0,1]
	v_pk_fma_f32 v[6:7], v[94:95], v[2:3], v[4:5] op_sel:[0,0,1] op_sel_hi:[1,1,0] neg_lo:[0,0,1] neg_hi:[0,0,1]
	v_pk_fma_f32 v[4:5], v[94:95], v[2:3], v[4:5] op_sel:[0,0,1] op_sel_hi:[1,0,0]
	s_delay_alu instid0(VALU_DEP_1) | instskip(SKIP_1) | instid1(VALU_DEP_2)
	v_mov_b32_e32 v7, v5
	v_pk_mul_f32 v[4:5], v[96:97], v[92:93] op_sel:[0,1]
	v_pk_add_f32 v[218:219], v[218:219], v[6:7] neg_lo:[0,1] neg_hi:[0,1]
	s_delay_alu instid0(VALU_DEP_2) | instskip(SKIP_3) | instid1(VALU_DEP_1)
	v_pk_fma_f32 v[6:7], v[96:97], v[2:3], v[4:5] op_sel:[0,0,1] op_sel_hi:[1,1,0] neg_lo:[0,0,1] neg_hi:[0,0,1]
	v_pk_fma_f32 v[4:5], v[96:97], v[2:3], v[4:5] op_sel:[0,0,1] op_sel_hi:[1,0,0]
	ds_load_2addr_b64 v[94:97], v126 offset0:46 offset1:47
	v_mov_b32_e32 v7, v5
	v_pk_add_f32 v[220:221], v[220:221], v[6:7] neg_lo:[0,1] neg_hi:[0,1]
	s_wait_dscnt 0x0
	v_pk_mul_f32 v[4:5], v[94:95], v[92:93] op_sel:[0,1]
	s_delay_alu instid0(VALU_DEP_1) | instskip(SKIP_2) | instid1(VALU_DEP_2)
	v_pk_fma_f32 v[6:7], v[94:95], v[2:3], v[4:5] op_sel:[0,0,1] op_sel_hi:[1,1,0] neg_lo:[0,0,1] neg_hi:[0,0,1]
	v_pk_fma_f32 v[4:5], v[94:95], v[2:3], v[4:5] op_sel:[0,0,1] op_sel_hi:[1,0,0]
	v_dual_mov_b32 v4, v97 :: v_dual_mul_f32 v94, v97, v2
	v_dual_mov_b32 v7, v5 :: v_dual_mov_b32 v5, v96
	s_delay_alu instid0(VALU_DEP_1) | instskip(SKIP_1) | instid1(VALU_DEP_3)
	v_pk_add_f32 v[222:223], v[222:223], v[6:7] neg_lo:[0,1] neg_hi:[0,1]
	v_mul_f32_e32 v6, v97, v93
	v_pk_fma_f32 v[4:5], v[4:5], v[216:217], v[94:95] op_sel_hi:[1,1,0]
	s_delay_alu instid0(VALU_DEP_2) | instskip(SKIP_2) | instid1(VALU_DEP_1)
	v_pk_fma_f32 v[6:7], v[96:97], v[216:217], v[6:7] op_sel_hi:[1,1,0] neg_lo:[0,0,1] neg_hi:[0,0,1]
	ds_load_2addr_b64 v[94:97], v126 offset0:48 offset1:49
	v_mov_b32_e32 v7, v5
	v_pk_add_f32 v[224:225], v[224:225], v[6:7] neg_lo:[0,1] neg_hi:[0,1]
	s_wait_dscnt 0x0
	v_pk_mul_f32 v[4:5], v[94:95], v[92:93] op_sel:[0,1]
	s_delay_alu instid0(VALU_DEP_1) | instskip(SKIP_1) | instid1(VALU_DEP_1)
	v_pk_fma_f32 v[6:7], v[94:95], v[2:3], v[4:5] op_sel:[0,0,1] op_sel_hi:[1,1,0] neg_lo:[0,0,1] neg_hi:[0,0,1]
	v_pk_fma_f32 v[4:5], v[94:95], v[2:3], v[4:5] op_sel:[0,0,1] op_sel_hi:[1,0,0]
	v_mov_b32_e32 v7, v5
	v_pk_mul_f32 v[4:5], v[96:97], v[92:93] op_sel:[0,1]
	s_delay_alu instid0(VALU_DEP_2) | instskip(NEXT) | instid1(VALU_DEP_2)
	v_pk_add_f32 v[226:227], v[226:227], v[6:7] neg_lo:[0,1] neg_hi:[0,1]
	v_pk_fma_f32 v[6:7], v[96:97], v[2:3], v[4:5] op_sel:[0,0,1] op_sel_hi:[1,1,0] neg_lo:[0,0,1] neg_hi:[0,0,1]
	v_pk_fma_f32 v[4:5], v[96:97], v[2:3], v[4:5] op_sel:[0,0,1] op_sel_hi:[1,0,0]
	ds_load_2addr_b64 v[94:97], v126 offset0:50 offset1:51
	v_mov_b32_e32 v7, v5
	s_delay_alu instid0(VALU_DEP_1) | instskip(SKIP_2) | instid1(VALU_DEP_1)
	v_pk_add_f32 v[228:229], v[228:229], v[6:7] neg_lo:[0,1] neg_hi:[0,1]
	s_wait_dscnt 0x0
	v_pk_mul_f32 v[4:5], v[94:95], v[92:93] op_sel:[0,1]
	v_pk_fma_f32 v[6:7], v[94:95], v[2:3], v[4:5] op_sel:[0,0,1] op_sel_hi:[1,1,0] neg_lo:[0,0,1] neg_hi:[0,0,1]
	v_pk_fma_f32 v[4:5], v[94:95], v[2:3], v[4:5] op_sel:[0,0,1] op_sel_hi:[1,0,0]
	s_delay_alu instid0(VALU_DEP_1) | instskip(SKIP_1) | instid1(VALU_DEP_2)
	v_mov_b32_e32 v7, v5
	v_pk_mul_f32 v[4:5], v[96:97], v[92:93] op_sel:[0,1]
	v_pk_add_f32 v[230:231], v[230:231], v[6:7] neg_lo:[0,1] neg_hi:[0,1]
	s_delay_alu instid0(VALU_DEP_2) | instskip(SKIP_3) | instid1(VALU_DEP_1)
	v_pk_fma_f32 v[6:7], v[96:97], v[2:3], v[4:5] op_sel:[0,0,1] op_sel_hi:[1,1,0] neg_lo:[0,0,1] neg_hi:[0,0,1]
	v_pk_fma_f32 v[4:5], v[96:97], v[2:3], v[4:5] op_sel:[0,0,1] op_sel_hi:[1,0,0]
	ds_load_2addr_b64 v[94:97], v126 offset0:52 offset1:53
	v_mov_b32_e32 v7, v5
	v_pk_add_f32 v[232:233], v[232:233], v[6:7] neg_lo:[0,1] neg_hi:[0,1]
	s_wait_dscnt 0x0
	v_dual_mul_f32 v6, v95, v2 :: v_dual_mul_f32 v4, v95, v93
	s_delay_alu instid0(VALU_DEP_1) | instskip(NEXT) | instid1(VALU_DEP_2)
	v_pk_fma_f32 v[6:7], v[94:95], v[216:217], v[6:7] op_sel:[1,0,0] op_sel_hi:[0,1,0]
	v_pk_fma_f32 v[4:5], v[94:95], v[216:217], v[4:5] op_sel_hi:[1,1,0] neg_lo:[0,0,1] neg_hi:[0,0,1]
	s_delay_alu instid0(VALU_DEP_2) | instskip(NEXT) | instid1(VALU_DEP_1)
	v_mov_b32_e32 v5, v7
	v_pk_add_f32 v[234:235], v[234:235], v[4:5] neg_lo:[0,1] neg_hi:[0,1]
	v_pk_mul_f32 v[4:5], v[96:97], v[92:93] op_sel:[0,1]
	s_delay_alu instid0(VALU_DEP_1) | instskip(SKIP_3) | instid1(VALU_DEP_1)
	v_pk_fma_f32 v[6:7], v[96:97], v[2:3], v[4:5] op_sel:[0,0,1] op_sel_hi:[1,1,0] neg_lo:[0,0,1] neg_hi:[0,0,1]
	v_pk_fma_f32 v[4:5], v[96:97], v[2:3], v[4:5] op_sel:[0,0,1] op_sel_hi:[1,0,0]
	ds_load_2addr_b64 v[94:97], v126 offset0:54 offset1:55
	v_mov_b32_e32 v7, v5
	v_pk_add_f32 v[236:237], v[236:237], v[6:7] neg_lo:[0,1] neg_hi:[0,1]
	s_wait_dscnt 0x0
	v_pk_mul_f32 v[4:5], v[94:95], v[92:93] op_sel:[0,1]
	s_delay_alu instid0(VALU_DEP_1) | instskip(SKIP_1) | instid1(VALU_DEP_1)
	v_pk_fma_f32 v[6:7], v[94:95], v[2:3], v[4:5] op_sel:[0,0,1] op_sel_hi:[1,1,0] neg_lo:[0,0,1] neg_hi:[0,0,1]
	v_pk_fma_f32 v[4:5], v[94:95], v[2:3], v[4:5] op_sel:[0,0,1] op_sel_hi:[1,0,0]
	v_mov_b32_e32 v7, v5
	v_pk_mul_f32 v[4:5], v[96:97], v[92:93] op_sel:[0,1]
	s_delay_alu instid0(VALU_DEP_2) | instskip(NEXT) | instid1(VALU_DEP_2)
	v_pk_add_f32 v[238:239], v[238:239], v[6:7] neg_lo:[0,1] neg_hi:[0,1]
	v_pk_fma_f32 v[6:7], v[96:97], v[2:3], v[4:5] op_sel:[0,0,1] op_sel_hi:[1,1,0] neg_lo:[0,0,1] neg_hi:[0,0,1]
	v_pk_fma_f32 v[4:5], v[96:97], v[2:3], v[4:5] op_sel:[0,0,1] op_sel_hi:[1,0,0]
	ds_load_2addr_b64 v[94:97], v126 offset0:56 offset1:57
	v_mov_b32_e32 v7, v5
	s_delay_alu instid0(VALU_DEP_1) | instskip(SKIP_2) | instid1(VALU_DEP_1)
	v_pk_add_f32 v[240:241], v[240:241], v[6:7] neg_lo:[0,1] neg_hi:[0,1]
	s_wait_dscnt 0x0
	v_pk_mul_f32 v[4:5], v[94:95], v[92:93] op_sel:[0,1]
	v_pk_fma_f32 v[6:7], v[94:95], v[2:3], v[4:5] op_sel:[0,0,1] op_sel_hi:[1,1,0] neg_lo:[0,0,1] neg_hi:[0,0,1]
	v_pk_fma_f32 v[4:5], v[94:95], v[2:3], v[4:5] op_sel:[0,0,1] op_sel_hi:[1,0,0]
	v_dual_mov_b32 v4, v97 :: v_dual_mul_f32 v94, v97, v2
	s_delay_alu instid0(VALU_DEP_2) | instskip(NEXT) | instid1(VALU_DEP_1)
	v_dual_mov_b32 v7, v5 :: v_dual_mov_b32 v5, v96
	v_pk_add_f32 v[252:253], v[252:253], v[6:7] neg_lo:[0,1] neg_hi:[0,1]
	v_mul_f32_e32 v6, v97, v93
	s_delay_alu instid0(VALU_DEP_3) | instskip(NEXT) | instid1(VALU_DEP_2)
	v_pk_fma_f32 v[4:5], v[4:5], v[216:217], v[94:95] op_sel_hi:[1,1,0]
	v_pk_fma_f32 v[6:7], v[96:97], v[216:217], v[6:7] op_sel_hi:[1,1,0] neg_lo:[0,0,1] neg_hi:[0,0,1]
	ds_load_2addr_b64 v[94:97], v126 offset0:58 offset1:59
	v_mov_b32_e32 v7, v5
	s_delay_alu instid0(VALU_DEP_1) | instskip(SKIP_2) | instid1(VALU_DEP_1)
	v_pk_add_f32 v[246:247], v[246:247], v[6:7] neg_lo:[0,1] neg_hi:[0,1]
	s_wait_dscnt 0x0
	v_pk_mul_f32 v[4:5], v[94:95], v[92:93] op_sel:[0,1]
	v_pk_fma_f32 v[6:7], v[94:95], v[2:3], v[4:5] op_sel:[0,0,1] op_sel_hi:[1,1,0] neg_lo:[0,0,1] neg_hi:[0,0,1]
	v_pk_fma_f32 v[4:5], v[94:95], v[2:3], v[4:5] op_sel:[0,0,1] op_sel_hi:[1,0,0]
	s_delay_alu instid0(VALU_DEP_1) | instskip(SKIP_1) | instid1(VALU_DEP_2)
	v_mov_b32_e32 v7, v5
	v_pk_mul_f32 v[4:5], v[96:97], v[92:93] op_sel:[0,1]
	v_pk_add_f32 v[250:251], v[250:251], v[6:7] neg_lo:[0,1] neg_hi:[0,1]
	s_delay_alu instid0(VALU_DEP_2) | instskip(SKIP_3) | instid1(VALU_DEP_1)
	v_pk_fma_f32 v[6:7], v[96:97], v[2:3], v[4:5] op_sel:[0,0,1] op_sel_hi:[1,1,0] neg_lo:[0,0,1] neg_hi:[0,0,1]
	v_pk_fma_f32 v[4:5], v[96:97], v[2:3], v[4:5] op_sel:[0,0,1] op_sel_hi:[1,0,0]
	ds_load_2addr_b64 v[94:97], v126 offset0:60 offset1:61
	v_mov_b32_e32 v7, v5
	v_pk_add_f32 v[244:245], v[244:245], v[6:7] neg_lo:[0,1] neg_hi:[0,1]
	s_wait_dscnt 0x0
	v_pk_mul_f32 v[4:5], v[94:95], v[92:93] op_sel:[0,1]
	s_delay_alu instid0(VALU_DEP_1) | instskip(SKIP_1) | instid1(VALU_DEP_1)
	v_pk_fma_f32 v[6:7], v[94:95], v[2:3], v[4:5] op_sel:[0,0,1] op_sel_hi:[1,1,0] neg_lo:[0,0,1] neg_hi:[0,0,1]
	v_pk_fma_f32 v[4:5], v[94:95], v[2:3], v[4:5] op_sel:[0,0,1] op_sel_hi:[1,0,0]
	v_mov_b32_e32 v7, v5
	v_pk_mul_f32 v[4:5], v[96:97], v[92:93] op_sel:[0,1]
	s_delay_alu instid0(VALU_DEP_2) | instskip(NEXT) | instid1(VALU_DEP_2)
	v_pk_add_f32 v[248:249], v[248:249], v[6:7] neg_lo:[0,1] neg_hi:[0,1]
	v_pk_fma_f32 v[6:7], v[96:97], v[2:3], v[4:5] op_sel:[0,0,1] op_sel_hi:[1,1,0] neg_lo:[0,0,1] neg_hi:[0,0,1]
	v_pk_fma_f32 v[4:5], v[96:97], v[2:3], v[4:5] op_sel:[0,0,1] op_sel_hi:[1,0,0]
	ds_load_2addr_b64 v[94:97], v126 offset0:62 offset1:63
	v_mov_b32_e32 v7, v5
	s_delay_alu instid0(VALU_DEP_1) | instskip(SKIP_2) | instid1(VALU_DEP_1)
	v_pk_add_f32 v[242:243], v[242:243], v[6:7] neg_lo:[0,1] neg_hi:[0,1]
	s_wait_dscnt 0x0
	v_dual_mul_f32 v6, v95, v2 :: v_dual_mul_f32 v4, v95, v93
	v_pk_fma_f32 v[6:7], v[94:95], v[216:217], v[6:7] op_sel:[1,0,0] op_sel_hi:[0,1,0]
	s_delay_alu instid0(VALU_DEP_2) | instskip(NEXT) | instid1(VALU_DEP_2)
	v_pk_fma_f32 v[4:5], v[94:95], v[216:217], v[4:5] op_sel_hi:[1,1,0] neg_lo:[0,0,1] neg_hi:[0,0,1]
	v_mov_b32_e32 v5, v7
	s_delay_alu instid0(VALU_DEP_1) | instskip(SKIP_1) | instid1(VALU_DEP_1)
	v_pk_add_f32 v[254:255], v[254:255], v[4:5] neg_lo:[0,1] neg_hi:[0,1]
	v_pk_mul_f32 v[4:5], v[96:97], v[92:93] op_sel:[0,1]
	v_pk_fma_f32 v[6:7], v[96:97], v[2:3], v[4:5] op_sel:[0,0,1] op_sel_hi:[1,1,0] neg_lo:[0,0,1] neg_hi:[0,0,1]
	v_pk_fma_f32 v[2:3], v[96:97], v[2:3], v[4:5] op_sel:[0,0,1] op_sel_hi:[1,0,0]
	s_delay_alu instid0(VALU_DEP_1) | instskip(NEXT) | instid1(VALU_DEP_1)
	v_mov_b32_e32 v7, v3
	v_pk_add_f32 v[0:1], v[0:1], v[6:7] neg_lo:[0,1] neg_hi:[0,1]
.LBB127_397:
	s_or_b32 exec_lo, exec_lo, s1
	s_delay_alu instid0(SALU_CYCLE_1)
	s_mov_b32 s2, exec_lo
	s_wait_dscnt 0x0
	s_barrier_signal -1
	s_barrier_wait -1
	v_cmpx_eq_u32_e32 44, v18
	s_cbranch_execz .LBB127_404
; %bb.398:
	ds_store_b64 v19, v[218:219]
	ds_store_2addr_b64 v126, v[220:221], v[222:223] offset0:45 offset1:46
	ds_store_2addr_b64 v126, v[224:225], v[226:227] offset0:47 offset1:48
	;; [unrolled: 1-line block ×9, first 2 shown]
	ds_store_b64 v126, v[0:1] offset:504
	ds_load_b64 v[2:3], v19
	s_wait_dscnt 0x0
	v_cmp_neq_f32_e32 vcc_lo, 0, v2
	v_cmp_neq_f32_e64 s1, 0, v3
	s_or_b32 s1, vcc_lo, s1
	s_delay_alu instid0(SALU_CYCLE_1)
	s_and_b32 exec_lo, exec_lo, s1
	s_cbranch_execz .LBB127_404
; %bb.399:
	v_cmp_ngt_f32_e64 s1, |v2|, |v3|
                                        ; implicit-def: $vgpr4_vgpr5
	s_and_saveexec_b32 s4, s1
	s_delay_alu instid0(SALU_CYCLE_1)
	s_xor_b32 s1, exec_lo, s4
	s_cbranch_execz .LBB127_401
; %bb.400:
	v_div_scale_f32 v4, null, v3, v3, v2
	v_div_scale_f32 v7, vcc_lo, v2, v3, v2
	s_delay_alu instid0(VALU_DEP_2) | instskip(SKIP_1) | instid1(TRANS32_DEP_1)
	v_rcp_f32_e32 v5, v4
	v_nop
	v_fma_f32 v6, -v4, v5, 1.0
	s_delay_alu instid0(VALU_DEP_1) | instskip(NEXT) | instid1(VALU_DEP_1)
	v_fmac_f32_e32 v5, v6, v5
	v_mul_f32_e32 v6, v7, v5
	s_delay_alu instid0(VALU_DEP_1) | instskip(NEXT) | instid1(VALU_DEP_1)
	v_fma_f32 v8, -v4, v6, v7
	v_fmac_f32_e32 v6, v8, v5
	s_delay_alu instid0(VALU_DEP_1) | instskip(NEXT) | instid1(VALU_DEP_1)
	v_fma_f32 v4, -v4, v6, v7
	v_div_fmas_f32 v4, v4, v5, v6
	s_delay_alu instid0(VALU_DEP_1) | instskip(NEXT) | instid1(VALU_DEP_1)
	v_div_fixup_f32 v4, v4, v3, v2
	v_fmac_f32_e32 v3, v2, v4
	s_delay_alu instid0(VALU_DEP_1) | instskip(SKIP_1) | instid1(VALU_DEP_2)
	v_div_scale_f32 v2, null, v3, v3, 1.0
	v_div_scale_f32 v7, vcc_lo, 1.0, v3, 1.0
	v_rcp_f32_e32 v5, v2
	v_nop
	s_delay_alu instid0(TRANS32_DEP_1) | instskip(NEXT) | instid1(VALU_DEP_1)
	v_fma_f32 v6, -v2, v5, 1.0
	v_fmac_f32_e32 v5, v6, v5
	s_delay_alu instid0(VALU_DEP_1) | instskip(NEXT) | instid1(VALU_DEP_1)
	v_mul_f32_e32 v6, v7, v5
	v_fma_f32 v8, -v2, v6, v7
	s_delay_alu instid0(VALU_DEP_1) | instskip(NEXT) | instid1(VALU_DEP_1)
	v_fmac_f32_e32 v6, v8, v5
	v_fma_f32 v2, -v2, v6, v7
	s_delay_alu instid0(VALU_DEP_1) | instskip(NEXT) | instid1(VALU_DEP_1)
	v_div_fmas_f32 v2, v2, v5, v6
	v_div_fixup_f32 v2, v2, v3, 1.0
	s_delay_alu instid0(VALU_DEP_1)
	v_mul_f32_e32 v4, v4, v2
	v_xor_b32_e32 v5, 0x80000000, v2
                                        ; implicit-def: $vgpr2_vgpr3
.LBB127_401:
	s_and_not1_saveexec_b32 s1, s1
	s_cbranch_execz .LBB127_403
; %bb.402:
	v_div_scale_f32 v4, null, v2, v2, v3
	v_div_scale_f32 v7, vcc_lo, v3, v2, v3
	s_delay_alu instid0(VALU_DEP_2) | instskip(SKIP_1) | instid1(TRANS32_DEP_1)
	v_rcp_f32_e32 v5, v4
	v_nop
	v_fma_f32 v6, -v4, v5, 1.0
	s_delay_alu instid0(VALU_DEP_1) | instskip(NEXT) | instid1(VALU_DEP_1)
	v_fmac_f32_e32 v5, v6, v5
	v_mul_f32_e32 v6, v7, v5
	s_delay_alu instid0(VALU_DEP_1) | instskip(NEXT) | instid1(VALU_DEP_1)
	v_fma_f32 v8, -v4, v6, v7
	v_fmac_f32_e32 v6, v8, v5
	s_delay_alu instid0(VALU_DEP_1) | instskip(NEXT) | instid1(VALU_DEP_1)
	v_fma_f32 v4, -v4, v6, v7
	v_div_fmas_f32 v4, v4, v5, v6
	s_delay_alu instid0(VALU_DEP_1) | instskip(NEXT) | instid1(VALU_DEP_1)
	v_div_fixup_f32 v5, v4, v2, v3
	v_fmac_f32_e32 v2, v3, v5
	s_delay_alu instid0(VALU_DEP_1) | instskip(NEXT) | instid1(VALU_DEP_1)
	v_div_scale_f32 v3, null, v2, v2, 1.0
	v_rcp_f32_e32 v4, v3
	v_nop
	s_delay_alu instid0(TRANS32_DEP_1) | instskip(NEXT) | instid1(VALU_DEP_1)
	v_fma_f32 v6, -v3, v4, 1.0
	v_fmac_f32_e32 v4, v6, v4
	v_div_scale_f32 v6, vcc_lo, 1.0, v2, 1.0
	s_delay_alu instid0(VALU_DEP_1) | instskip(NEXT) | instid1(VALU_DEP_1)
	v_mul_f32_e32 v7, v6, v4
	v_fma_f32 v8, -v3, v7, v6
	s_delay_alu instid0(VALU_DEP_1) | instskip(NEXT) | instid1(VALU_DEP_1)
	v_fmac_f32_e32 v7, v8, v4
	v_fma_f32 v3, -v3, v7, v6
	s_delay_alu instid0(VALU_DEP_1) | instskip(NEXT) | instid1(VALU_DEP_1)
	v_div_fmas_f32 v3, v3, v4, v7
	v_div_fixup_f32 v4, v3, v2, 1.0
	s_delay_alu instid0(VALU_DEP_1)
	v_mul_f32_e64 v5, v5, -v4
.LBB127_403:
	s_or_b32 exec_lo, exec_lo, s1
	ds_store_b64 v19, v[4:5]
.LBB127_404:
	s_or_b32 exec_lo, exec_lo, s2
	s_wait_dscnt 0x0
	s_barrier_signal -1
	s_barrier_wait -1
	ds_load_b64 v[92:93], v19
	s_mov_b32 s1, exec_lo
	v_cmpx_lt_u32_e32 44, v18
	s_cbranch_execz .LBB127_406
; %bb.405:
	ds_load_2addr_b64 v[94:97], v126 offset0:45 offset1:46
	s_wait_dscnt 0x1
	v_pk_mul_f32 v[4:5], v[92:93], v[218:219] op_sel:[1,1] op_sel_hi:[0,1]
	s_delay_alu instid0(VALU_DEP_1) | instskip(SKIP_1) | instid1(VALU_DEP_1)
	v_pk_fma_f32 v[2:3], v[92:93], v[218:219], v[4:5] op_sel_hi:[1,0,1] neg_lo:[0,0,1] neg_hi:[0,0,1]
	v_pk_fma_f32 v[4:5], v[92:93], v[218:219], v[4:5] op_sel_hi:[1,0,1]
	v_dual_mov_b32 v218, v2 :: v_dual_mov_b32 v219, v5
	s_wait_dscnt 0x0
	s_delay_alu instid0(VALU_DEP_2) | instskip(NEXT) | instid1(VALU_DEP_1)
	v_pk_mul_f32 v[6:7], v[94:95], v[4:5] op_sel:[0,1]
	v_pk_fma_f32 v[98:99], v[94:95], v[2:3], v[6:7] op_sel:[0,0,1] op_sel_hi:[1,1,0] neg_lo:[0,0,1] neg_hi:[0,0,1]
	v_pk_fma_f32 v[6:7], v[94:95], v[2:3], v[6:7] op_sel:[0,0,1] op_sel_hi:[1,0,0]
	s_delay_alu instid0(VALU_DEP_1) | instskip(SKIP_1) | instid1(VALU_DEP_1)
	v_mov_b32_e32 v99, v7
	v_pk_mul_f32 v[6:7], v[96:97], v[4:5] op_sel:[0,1]
	v_pk_fma_f32 v[94:95], v[96:97], v[2:3], v[6:7] op_sel:[0,0,1] op_sel_hi:[1,1,0] neg_lo:[0,0,1] neg_hi:[0,0,1]
	v_pk_fma_f32 v[6:7], v[96:97], v[2:3], v[6:7] op_sel:[0,0,1] op_sel_hi:[1,0,0]
	s_delay_alu instid0(VALU_DEP_1) | instskip(SKIP_1) | instid1(VALU_DEP_2)
	v_mov_b32_e32 v95, v7
	v_pk_add_f32 v[220:221], v[220:221], v[98:99] neg_lo:[0,1] neg_hi:[0,1]
	v_pk_add_f32 v[222:223], v[222:223], v[94:95] neg_lo:[0,1] neg_hi:[0,1]
	ds_load_2addr_b64 v[94:97], v126 offset0:47 offset1:48
	s_wait_dscnt 0x0
	v_pk_mul_f32 v[6:7], v[94:95], v[4:5] op_sel:[0,1]
	s_delay_alu instid0(VALU_DEP_1) | instskip(SKIP_2) | instid1(VALU_DEP_2)
	v_pk_fma_f32 v[98:99], v[94:95], v[2:3], v[6:7] op_sel:[0,0,1] op_sel_hi:[1,1,0] neg_lo:[0,0,1] neg_hi:[0,0,1]
	v_pk_fma_f32 v[6:7], v[94:95], v[2:3], v[6:7] op_sel:[0,0,1] op_sel_hi:[1,0,0]
	v_dual_mul_f32 v94, v97, v5 :: v_dual_mov_b32 v6, v97
	v_dual_mov_b32 v99, v7 :: v_dual_mov_b32 v7, v96
	s_delay_alu instid0(VALU_DEP_2) | instskip(SKIP_1) | instid1(VALU_DEP_3)
	v_pk_fma_f32 v[94:95], v[96:97], v[218:219], v[94:95] op_sel_hi:[1,1,0] neg_lo:[0,0,1] neg_hi:[0,0,1]
	v_mul_f32_e32 v96, v97, v2
	v_pk_add_f32 v[224:225], v[224:225], v[98:99] neg_lo:[0,1] neg_hi:[0,1]
	s_delay_alu instid0(VALU_DEP_2) | instskip(NEXT) | instid1(VALU_DEP_1)
	v_pk_fma_f32 v[6:7], v[6:7], v[218:219], v[96:97] op_sel_hi:[1,1,0]
	v_mov_b32_e32 v95, v7
	s_delay_alu instid0(VALU_DEP_1) | instskip(SKIP_3) | instid1(VALU_DEP_1)
	v_pk_add_f32 v[226:227], v[226:227], v[94:95] neg_lo:[0,1] neg_hi:[0,1]
	ds_load_2addr_b64 v[94:97], v126 offset0:49 offset1:50
	s_wait_dscnt 0x0
	v_pk_mul_f32 v[6:7], v[94:95], v[4:5] op_sel:[0,1]
	v_pk_fma_f32 v[98:99], v[94:95], v[2:3], v[6:7] op_sel:[0,0,1] op_sel_hi:[1,1,0] neg_lo:[0,0,1] neg_hi:[0,0,1]
	v_pk_fma_f32 v[6:7], v[94:95], v[2:3], v[6:7] op_sel:[0,0,1] op_sel_hi:[1,0,0]
	s_delay_alu instid0(VALU_DEP_1) | instskip(SKIP_1) | instid1(VALU_DEP_1)
	v_mov_b32_e32 v99, v7
	v_pk_mul_f32 v[6:7], v[96:97], v[4:5] op_sel:[0,1]
	v_pk_fma_f32 v[94:95], v[96:97], v[2:3], v[6:7] op_sel:[0,0,1] op_sel_hi:[1,1,0] neg_lo:[0,0,1] neg_hi:[0,0,1]
	v_pk_fma_f32 v[6:7], v[96:97], v[2:3], v[6:7] op_sel:[0,0,1] op_sel_hi:[1,0,0]
	s_delay_alu instid0(VALU_DEP_1) | instskip(SKIP_1) | instid1(VALU_DEP_2)
	v_mov_b32_e32 v95, v7
	v_pk_add_f32 v[228:229], v[228:229], v[98:99] neg_lo:[0,1] neg_hi:[0,1]
	v_pk_add_f32 v[230:231], v[230:231], v[94:95] neg_lo:[0,1] neg_hi:[0,1]
	ds_load_2addr_b64 v[94:97], v126 offset0:51 offset1:52
	s_wait_dscnt 0x0
	v_pk_mul_f32 v[6:7], v[94:95], v[4:5] op_sel:[0,1]
	s_delay_alu instid0(VALU_DEP_1) | instskip(SKIP_1) | instid1(VALU_DEP_1)
	v_pk_fma_f32 v[98:99], v[94:95], v[2:3], v[6:7] op_sel:[0,0,1] op_sel_hi:[1,1,0] neg_lo:[0,0,1] neg_hi:[0,0,1]
	v_pk_fma_f32 v[6:7], v[94:95], v[2:3], v[6:7] op_sel:[0,0,1] op_sel_hi:[1,0,0]
	v_mov_b32_e32 v99, v7
	v_pk_mul_f32 v[6:7], v[96:97], v[4:5] op_sel:[0,1]
	s_delay_alu instid0(VALU_DEP_1) | instskip(SKIP_1) | instid1(VALU_DEP_1)
	v_pk_fma_f32 v[94:95], v[96:97], v[2:3], v[6:7] op_sel:[0,0,1] op_sel_hi:[1,1,0] neg_lo:[0,0,1] neg_hi:[0,0,1]
	v_pk_fma_f32 v[6:7], v[96:97], v[2:3], v[6:7] op_sel:[0,0,1] op_sel_hi:[1,0,0]
	v_mov_b32_e32 v95, v7
	v_pk_add_f32 v[232:233], v[232:233], v[98:99] neg_lo:[0,1] neg_hi:[0,1]
	s_delay_alu instid0(VALU_DEP_2) | instskip(SKIP_3) | instid1(VALU_DEP_1)
	v_pk_add_f32 v[234:235], v[234:235], v[94:95] neg_lo:[0,1] neg_hi:[0,1]
	ds_load_2addr_b64 v[94:97], v126 offset0:53 offset1:54
	s_wait_dscnt 0x0
	v_dual_mul_f32 v6, v95, v5 :: v_dual_mul_f32 v98, v95, v2
	v_pk_fma_f32 v[6:7], v[94:95], v[218:219], v[6:7] op_sel_hi:[1,1,0] neg_lo:[0,0,1] neg_hi:[0,0,1]
	s_delay_alu instid0(VALU_DEP_2) | instskip(NEXT) | instid1(VALU_DEP_1)
	v_pk_fma_f32 v[94:95], v[94:95], v[218:219], v[98:99] op_sel:[1,0,0] op_sel_hi:[0,1,0]
	v_mov_b32_e32 v7, v95
	s_delay_alu instid0(VALU_DEP_1) | instskip(SKIP_1) | instid1(VALU_DEP_1)
	v_pk_add_f32 v[236:237], v[236:237], v[6:7] neg_lo:[0,1] neg_hi:[0,1]
	v_pk_mul_f32 v[6:7], v[96:97], v[4:5] op_sel:[0,1]
	v_pk_fma_f32 v[94:95], v[96:97], v[2:3], v[6:7] op_sel:[0,0,1] op_sel_hi:[1,1,0] neg_lo:[0,0,1] neg_hi:[0,0,1]
	v_pk_fma_f32 v[6:7], v[96:97], v[2:3], v[6:7] op_sel:[0,0,1] op_sel_hi:[1,0,0]
	s_delay_alu instid0(VALU_DEP_1) | instskip(NEXT) | instid1(VALU_DEP_1)
	v_mov_b32_e32 v95, v7
	v_pk_add_f32 v[238:239], v[238:239], v[94:95] neg_lo:[0,1] neg_hi:[0,1]
	ds_load_2addr_b64 v[94:97], v126 offset0:55 offset1:56
	s_wait_dscnt 0x0
	v_pk_mul_f32 v[6:7], v[94:95], v[4:5] op_sel:[0,1]
	s_delay_alu instid0(VALU_DEP_1) | instskip(SKIP_1) | instid1(VALU_DEP_1)
	v_pk_fma_f32 v[98:99], v[94:95], v[2:3], v[6:7] op_sel:[0,0,1] op_sel_hi:[1,1,0] neg_lo:[0,0,1] neg_hi:[0,0,1]
	v_pk_fma_f32 v[6:7], v[94:95], v[2:3], v[6:7] op_sel:[0,0,1] op_sel_hi:[1,0,0]
	v_mov_b32_e32 v99, v7
	v_pk_mul_f32 v[6:7], v[96:97], v[4:5] op_sel:[0,1]
	s_delay_alu instid0(VALU_DEP_2) | instskip(NEXT) | instid1(VALU_DEP_2)
	v_pk_add_f32 v[240:241], v[240:241], v[98:99] neg_lo:[0,1] neg_hi:[0,1]
	v_pk_fma_f32 v[94:95], v[96:97], v[2:3], v[6:7] op_sel:[0,0,1] op_sel_hi:[1,1,0] neg_lo:[0,0,1] neg_hi:[0,0,1]
	v_pk_fma_f32 v[6:7], v[96:97], v[2:3], v[6:7] op_sel:[0,0,1] op_sel_hi:[1,0,0]
	s_delay_alu instid0(VALU_DEP_1) | instskip(NEXT) | instid1(VALU_DEP_1)
	v_mov_b32_e32 v95, v7
	v_pk_add_f32 v[252:253], v[252:253], v[94:95] neg_lo:[0,1] neg_hi:[0,1]
	ds_load_2addr_b64 v[94:97], v126 offset0:57 offset1:58
	s_wait_dscnt 0x0
	v_pk_mul_f32 v[6:7], v[94:95], v[4:5] op_sel:[0,1]
	s_delay_alu instid0(VALU_DEP_1) | instskip(SKIP_2) | instid1(VALU_DEP_2)
	v_pk_fma_f32 v[98:99], v[94:95], v[2:3], v[6:7] op_sel:[0,0,1] op_sel_hi:[1,1,0] neg_lo:[0,0,1] neg_hi:[0,0,1]
	v_pk_fma_f32 v[6:7], v[94:95], v[2:3], v[6:7] op_sel:[0,0,1] op_sel_hi:[1,0,0]
	v_dual_mul_f32 v94, v97, v5 :: v_dual_mov_b32 v6, v97
	v_dual_mov_b32 v99, v7 :: v_dual_mov_b32 v7, v96
	s_delay_alu instid0(VALU_DEP_2) | instskip(SKIP_1) | instid1(VALU_DEP_3)
	v_pk_fma_f32 v[94:95], v[96:97], v[218:219], v[94:95] op_sel_hi:[1,1,0] neg_lo:[0,0,1] neg_hi:[0,0,1]
	v_mul_f32_e32 v96, v97, v2
	v_pk_add_f32 v[246:247], v[246:247], v[98:99] neg_lo:[0,1] neg_hi:[0,1]
	s_delay_alu instid0(VALU_DEP_2) | instskip(NEXT) | instid1(VALU_DEP_1)
	v_pk_fma_f32 v[6:7], v[6:7], v[218:219], v[96:97] op_sel_hi:[1,1,0]
	v_mov_b32_e32 v95, v7
	s_delay_alu instid0(VALU_DEP_1) | instskip(SKIP_3) | instid1(VALU_DEP_1)
	v_pk_add_f32 v[250:251], v[250:251], v[94:95] neg_lo:[0,1] neg_hi:[0,1]
	ds_load_2addr_b64 v[94:97], v126 offset0:59 offset1:60
	s_wait_dscnt 0x0
	v_pk_mul_f32 v[6:7], v[94:95], v[4:5] op_sel:[0,1]
	v_pk_fma_f32 v[98:99], v[94:95], v[2:3], v[6:7] op_sel:[0,0,1] op_sel_hi:[1,1,0] neg_lo:[0,0,1] neg_hi:[0,0,1]
	v_pk_fma_f32 v[6:7], v[94:95], v[2:3], v[6:7] op_sel:[0,0,1] op_sel_hi:[1,0,0]
	s_delay_alu instid0(VALU_DEP_1) | instskip(SKIP_1) | instid1(VALU_DEP_1)
	v_mov_b32_e32 v99, v7
	v_pk_mul_f32 v[6:7], v[96:97], v[4:5] op_sel:[0,1]
	v_pk_fma_f32 v[94:95], v[96:97], v[2:3], v[6:7] op_sel:[0,0,1] op_sel_hi:[1,1,0] neg_lo:[0,0,1] neg_hi:[0,0,1]
	v_pk_fma_f32 v[6:7], v[96:97], v[2:3], v[6:7] op_sel:[0,0,1] op_sel_hi:[1,0,0]
	s_delay_alu instid0(VALU_DEP_1) | instskip(SKIP_1) | instid1(VALU_DEP_2)
	v_mov_b32_e32 v95, v7
	v_pk_add_f32 v[244:245], v[244:245], v[98:99] neg_lo:[0,1] neg_hi:[0,1]
	v_pk_add_f32 v[248:249], v[248:249], v[94:95] neg_lo:[0,1] neg_hi:[0,1]
	ds_load_2addr_b64 v[94:97], v126 offset0:61 offset1:62
	s_wait_dscnt 0x0
	v_pk_mul_f32 v[6:7], v[94:95], v[4:5] op_sel:[0,1]
	s_delay_alu instid0(VALU_DEP_1) | instskip(SKIP_1) | instid1(VALU_DEP_1)
	v_pk_fma_f32 v[98:99], v[94:95], v[2:3], v[6:7] op_sel:[0,0,1] op_sel_hi:[1,1,0] neg_lo:[0,0,1] neg_hi:[0,0,1]
	v_pk_fma_f32 v[6:7], v[94:95], v[2:3], v[6:7] op_sel:[0,0,1] op_sel_hi:[1,0,0]
	v_mov_b32_e32 v99, v7
	v_pk_mul_f32 v[6:7], v[96:97], v[4:5] op_sel:[0,1]
	s_delay_alu instid0(VALU_DEP_1) | instskip(SKIP_1) | instid1(VALU_DEP_1)
	v_pk_fma_f32 v[94:95], v[96:97], v[2:3], v[6:7] op_sel:[0,0,1] op_sel_hi:[1,1,0] neg_lo:[0,0,1] neg_hi:[0,0,1]
	v_pk_fma_f32 v[6:7], v[96:97], v[2:3], v[6:7] op_sel:[0,0,1] op_sel_hi:[1,0,0]
	v_mov_b32_e32 v95, v7
	ds_load_b64 v[6:7], v126 offset:504
	v_pk_add_f32 v[242:243], v[242:243], v[98:99] neg_lo:[0,1] neg_hi:[0,1]
	v_pk_add_f32 v[254:255], v[254:255], v[94:95] neg_lo:[0,1] neg_hi:[0,1]
	s_wait_dscnt 0x0
	v_pk_mul_f32 v[4:5], v[6:7], v[4:5] op_sel:[0,1]
	s_delay_alu instid0(VALU_DEP_1) | instskip(SKIP_1) | instid1(VALU_DEP_1)
	v_pk_fma_f32 v[94:95], v[6:7], v[2:3], v[4:5] op_sel:[0,0,1] op_sel_hi:[1,1,0] neg_lo:[0,0,1] neg_hi:[0,0,1]
	v_pk_fma_f32 v[2:3], v[6:7], v[2:3], v[4:5] op_sel:[0,0,1] op_sel_hi:[1,0,0]
	v_mov_b32_e32 v95, v3
	s_delay_alu instid0(VALU_DEP_1)
	v_pk_add_f32 v[0:1], v[0:1], v[94:95] neg_lo:[0,1] neg_hi:[0,1]
.LBB127_406:
	s_or_b32 exec_lo, exec_lo, s1
	s_delay_alu instid0(SALU_CYCLE_1)
	s_mov_b32 s2, exec_lo
	s_wait_dscnt 0x0
	s_barrier_signal -1
	s_barrier_wait -1
	v_cmpx_eq_u32_e32 45, v18
	s_cbranch_execz .LBB127_413
; %bb.407:
	v_dual_mov_b32 v2, v222 :: v_dual_mov_b32 v3, v223
	v_dual_mov_b32 v4, v224 :: v_dual_mov_b32 v5, v225
	ds_store_b64 v19, v[220:221]
	ds_store_2addr_b64 v126, v[2:3], v[4:5] offset0:46 offset1:47
	v_dual_mov_b32 v2, v226 :: v_dual_mov_b32 v3, v227
	v_dual_mov_b32 v4, v228 :: v_dual_mov_b32 v5, v229
	ds_store_2addr_b64 v126, v[2:3], v[4:5] offset0:48 offset1:49
	v_dual_mov_b32 v2, v230 :: v_dual_mov_b32 v3, v231
	v_dual_mov_b32 v4, v232 :: v_dual_mov_b32 v5, v233
	;; [unrolled: 3-line block ×7, first 2 shown]
	ds_store_2addr_b64 v126, v[2:3], v[4:5] offset0:60 offset1:61
	v_dual_mov_b32 v2, v254 :: v_dual_mov_b32 v3, v255
	ds_store_2addr_b64 v126, v[2:3], v[0:1] offset0:62 offset1:63
	ds_load_b64 v[2:3], v19
	s_wait_dscnt 0x0
	v_cmp_neq_f32_e32 vcc_lo, 0, v2
	v_cmp_neq_f32_e64 s1, 0, v3
	s_or_b32 s1, vcc_lo, s1
	s_delay_alu instid0(SALU_CYCLE_1)
	s_and_b32 exec_lo, exec_lo, s1
	s_cbranch_execz .LBB127_413
; %bb.408:
	v_cmp_ngt_f32_e64 s1, |v2|, |v3|
                                        ; implicit-def: $vgpr4_vgpr5
	s_and_saveexec_b32 s4, s1
	s_delay_alu instid0(SALU_CYCLE_1)
	s_xor_b32 s1, exec_lo, s4
	s_cbranch_execz .LBB127_410
; %bb.409:
	v_div_scale_f32 v4, null, v3, v3, v2
	v_div_scale_f32 v7, vcc_lo, v2, v3, v2
	s_delay_alu instid0(VALU_DEP_2) | instskip(SKIP_1) | instid1(TRANS32_DEP_1)
	v_rcp_f32_e32 v5, v4
	v_nop
	v_fma_f32 v6, -v4, v5, 1.0
	s_delay_alu instid0(VALU_DEP_1) | instskip(NEXT) | instid1(VALU_DEP_1)
	v_fmac_f32_e32 v5, v6, v5
	v_mul_f32_e32 v6, v7, v5
	s_delay_alu instid0(VALU_DEP_1) | instskip(NEXT) | instid1(VALU_DEP_1)
	v_fma_f32 v8, -v4, v6, v7
	v_fmac_f32_e32 v6, v8, v5
	s_delay_alu instid0(VALU_DEP_1) | instskip(NEXT) | instid1(VALU_DEP_1)
	v_fma_f32 v4, -v4, v6, v7
	v_div_fmas_f32 v4, v4, v5, v6
	s_delay_alu instid0(VALU_DEP_1) | instskip(NEXT) | instid1(VALU_DEP_1)
	v_div_fixup_f32 v4, v4, v3, v2
	v_fmac_f32_e32 v3, v2, v4
	s_delay_alu instid0(VALU_DEP_1) | instskip(SKIP_1) | instid1(VALU_DEP_2)
	v_div_scale_f32 v2, null, v3, v3, 1.0
	v_div_scale_f32 v7, vcc_lo, 1.0, v3, 1.0
	v_rcp_f32_e32 v5, v2
	v_nop
	s_delay_alu instid0(TRANS32_DEP_1) | instskip(NEXT) | instid1(VALU_DEP_1)
	v_fma_f32 v6, -v2, v5, 1.0
	v_fmac_f32_e32 v5, v6, v5
	s_delay_alu instid0(VALU_DEP_1) | instskip(NEXT) | instid1(VALU_DEP_1)
	v_mul_f32_e32 v6, v7, v5
	v_fma_f32 v8, -v2, v6, v7
	s_delay_alu instid0(VALU_DEP_1) | instskip(NEXT) | instid1(VALU_DEP_1)
	v_fmac_f32_e32 v6, v8, v5
	v_fma_f32 v2, -v2, v6, v7
	s_delay_alu instid0(VALU_DEP_1) | instskip(NEXT) | instid1(VALU_DEP_1)
	v_div_fmas_f32 v2, v2, v5, v6
	v_div_fixup_f32 v2, v2, v3, 1.0
	s_delay_alu instid0(VALU_DEP_1)
	v_mul_f32_e32 v4, v4, v2
	v_xor_b32_e32 v5, 0x80000000, v2
                                        ; implicit-def: $vgpr2_vgpr3
.LBB127_410:
	s_and_not1_saveexec_b32 s1, s1
	s_cbranch_execz .LBB127_412
; %bb.411:
	v_div_scale_f32 v4, null, v2, v2, v3
	v_div_scale_f32 v7, vcc_lo, v3, v2, v3
	s_delay_alu instid0(VALU_DEP_2) | instskip(SKIP_1) | instid1(TRANS32_DEP_1)
	v_rcp_f32_e32 v5, v4
	v_nop
	v_fma_f32 v6, -v4, v5, 1.0
	s_delay_alu instid0(VALU_DEP_1) | instskip(NEXT) | instid1(VALU_DEP_1)
	v_fmac_f32_e32 v5, v6, v5
	v_mul_f32_e32 v6, v7, v5
	s_delay_alu instid0(VALU_DEP_1) | instskip(NEXT) | instid1(VALU_DEP_1)
	v_fma_f32 v8, -v4, v6, v7
	v_fmac_f32_e32 v6, v8, v5
	s_delay_alu instid0(VALU_DEP_1) | instskip(NEXT) | instid1(VALU_DEP_1)
	v_fma_f32 v4, -v4, v6, v7
	v_div_fmas_f32 v4, v4, v5, v6
	s_delay_alu instid0(VALU_DEP_1) | instskip(NEXT) | instid1(VALU_DEP_1)
	v_div_fixup_f32 v5, v4, v2, v3
	v_fmac_f32_e32 v2, v3, v5
	s_delay_alu instid0(VALU_DEP_1) | instskip(NEXT) | instid1(VALU_DEP_1)
	v_div_scale_f32 v3, null, v2, v2, 1.0
	v_rcp_f32_e32 v4, v3
	v_nop
	s_delay_alu instid0(TRANS32_DEP_1) | instskip(NEXT) | instid1(VALU_DEP_1)
	v_fma_f32 v6, -v3, v4, 1.0
	v_fmac_f32_e32 v4, v6, v4
	v_div_scale_f32 v6, vcc_lo, 1.0, v2, 1.0
	s_delay_alu instid0(VALU_DEP_1) | instskip(NEXT) | instid1(VALU_DEP_1)
	v_mul_f32_e32 v7, v6, v4
	v_fma_f32 v8, -v3, v7, v6
	s_delay_alu instid0(VALU_DEP_1) | instskip(NEXT) | instid1(VALU_DEP_1)
	v_fmac_f32_e32 v7, v8, v4
	v_fma_f32 v3, -v3, v7, v6
	s_delay_alu instid0(VALU_DEP_1) | instskip(NEXT) | instid1(VALU_DEP_1)
	v_div_fmas_f32 v3, v3, v4, v7
	v_div_fixup_f32 v4, v3, v2, 1.0
	s_delay_alu instid0(VALU_DEP_1)
	v_mul_f32_e64 v5, v5, -v4
.LBB127_412:
	s_or_b32 exec_lo, exec_lo, s1
	ds_store_b64 v19, v[4:5]
.LBB127_413:
	s_or_b32 exec_lo, exec_lo, s2
	s_wait_dscnt 0x0
	s_barrier_signal -1
	s_barrier_wait -1
	ds_load_b64 v[94:95], v19
	s_mov_b32 s1, exec_lo
	v_cmpx_lt_u32_e32 45, v18
	s_cbranch_execz .LBB127_415
; %bb.414:
	ds_load_2addr_b64 v[96:99], v126 offset0:46 offset1:47
	s_wait_dscnt 0x1
	v_pk_mul_f32 v[4:5], v[94:95], v[220:221] op_sel:[1,1] op_sel_hi:[0,1]
	s_delay_alu instid0(VALU_DEP_1) | instskip(SKIP_1) | instid1(VALU_DEP_1)
	v_pk_fma_f32 v[2:3], v[94:95], v[220:221], v[4:5] op_sel_hi:[1,0,1] neg_lo:[0,0,1] neg_hi:[0,0,1]
	v_pk_fma_f32 v[4:5], v[94:95], v[220:221], v[4:5] op_sel_hi:[1,0,1]
	v_dual_mov_b32 v220, v2 :: v_dual_mov_b32 v221, v5
	s_wait_dscnt 0x0
	s_delay_alu instid0(VALU_DEP_2) | instskip(NEXT) | instid1(VALU_DEP_1)
	v_pk_mul_f32 v[6:7], v[96:97], v[4:5] op_sel:[0,1]
	v_pk_fma_f32 v[100:101], v[96:97], v[2:3], v[6:7] op_sel:[0,0,1] op_sel_hi:[1,1,0] neg_lo:[0,0,1] neg_hi:[0,0,1]
	v_pk_fma_f32 v[6:7], v[96:97], v[2:3], v[6:7] op_sel:[0,0,1] op_sel_hi:[1,0,0]
	s_delay_alu instid0(VALU_DEP_1) | instskip(SKIP_1) | instid1(VALU_DEP_1)
	v_mov_b32_e32 v101, v7
	v_pk_mul_f32 v[6:7], v[98:99], v[4:5] op_sel:[0,1]
	v_pk_fma_f32 v[96:97], v[98:99], v[2:3], v[6:7] op_sel:[0,0,1] op_sel_hi:[1,1,0] neg_lo:[0,0,1] neg_hi:[0,0,1]
	v_pk_fma_f32 v[6:7], v[98:99], v[2:3], v[6:7] op_sel:[0,0,1] op_sel_hi:[1,0,0]
	s_delay_alu instid0(VALU_DEP_1) | instskip(SKIP_1) | instid1(VALU_DEP_2)
	v_mov_b32_e32 v97, v7
	v_pk_add_f32 v[222:223], v[222:223], v[100:101] neg_lo:[0,1] neg_hi:[0,1]
	v_pk_add_f32 v[224:225], v[224:225], v[96:97] neg_lo:[0,1] neg_hi:[0,1]
	ds_load_2addr_b64 v[96:99], v126 offset0:48 offset1:49
	s_wait_dscnt 0x0
	v_pk_mul_f32 v[6:7], v[96:97], v[4:5] op_sel:[0,1]
	s_delay_alu instid0(VALU_DEP_1) | instskip(SKIP_2) | instid1(VALU_DEP_2)
	v_pk_fma_f32 v[100:101], v[96:97], v[2:3], v[6:7] op_sel:[0,0,1] op_sel_hi:[1,1,0] neg_lo:[0,0,1] neg_hi:[0,0,1]
	v_pk_fma_f32 v[6:7], v[96:97], v[2:3], v[6:7] op_sel:[0,0,1] op_sel_hi:[1,0,0]
	v_dual_mul_f32 v96, v99, v5 :: v_dual_mov_b32 v6, v99
	v_dual_mov_b32 v101, v7 :: v_dual_mov_b32 v7, v98
	s_delay_alu instid0(VALU_DEP_2) | instskip(SKIP_1) | instid1(VALU_DEP_3)
	v_pk_fma_f32 v[96:97], v[98:99], v[220:221], v[96:97] op_sel_hi:[1,1,0] neg_lo:[0,0,1] neg_hi:[0,0,1]
	v_mul_f32_e32 v98, v99, v2
	v_pk_add_f32 v[226:227], v[226:227], v[100:101] neg_lo:[0,1] neg_hi:[0,1]
	s_delay_alu instid0(VALU_DEP_2) | instskip(NEXT) | instid1(VALU_DEP_1)
	v_pk_fma_f32 v[6:7], v[6:7], v[220:221], v[98:99] op_sel_hi:[1,1,0]
	v_mov_b32_e32 v97, v7
	s_delay_alu instid0(VALU_DEP_1) | instskip(SKIP_3) | instid1(VALU_DEP_1)
	v_pk_add_f32 v[228:229], v[228:229], v[96:97] neg_lo:[0,1] neg_hi:[0,1]
	ds_load_2addr_b64 v[96:99], v126 offset0:50 offset1:51
	s_wait_dscnt 0x0
	v_pk_mul_f32 v[6:7], v[96:97], v[4:5] op_sel:[0,1]
	v_pk_fma_f32 v[100:101], v[96:97], v[2:3], v[6:7] op_sel:[0,0,1] op_sel_hi:[1,1,0] neg_lo:[0,0,1] neg_hi:[0,0,1]
	v_pk_fma_f32 v[6:7], v[96:97], v[2:3], v[6:7] op_sel:[0,0,1] op_sel_hi:[1,0,0]
	s_delay_alu instid0(VALU_DEP_1) | instskip(SKIP_1) | instid1(VALU_DEP_2)
	v_mov_b32_e32 v101, v7
	v_pk_mul_f32 v[6:7], v[98:99], v[4:5] op_sel:[0,1]
	v_pk_add_f32 v[230:231], v[230:231], v[100:101] neg_lo:[0,1] neg_hi:[0,1]
	s_delay_alu instid0(VALU_DEP_2) | instskip(SKIP_1) | instid1(VALU_DEP_1)
	v_pk_fma_f32 v[96:97], v[98:99], v[2:3], v[6:7] op_sel:[0,0,1] op_sel_hi:[1,1,0] neg_lo:[0,0,1] neg_hi:[0,0,1]
	v_pk_fma_f32 v[6:7], v[98:99], v[2:3], v[6:7] op_sel:[0,0,1] op_sel_hi:[1,0,0]
	v_mov_b32_e32 v97, v7
	s_delay_alu instid0(VALU_DEP_1) | instskip(SKIP_3) | instid1(VALU_DEP_1)
	v_pk_add_f32 v[232:233], v[232:233], v[96:97] neg_lo:[0,1] neg_hi:[0,1]
	ds_load_2addr_b64 v[96:99], v126 offset0:52 offset1:53
	s_wait_dscnt 0x0
	v_pk_mul_f32 v[6:7], v[96:97], v[4:5] op_sel:[0,1]
	v_pk_fma_f32 v[100:101], v[96:97], v[2:3], v[6:7] op_sel:[0,0,1] op_sel_hi:[1,1,0] neg_lo:[0,0,1] neg_hi:[0,0,1]
	v_pk_fma_f32 v[6:7], v[96:97], v[2:3], v[6:7] op_sel:[0,0,1] op_sel_hi:[1,0,0]
	s_delay_alu instid0(VALU_DEP_1) | instskip(SKIP_1) | instid1(VALU_DEP_2)
	v_mov_b32_e32 v101, v7
	v_pk_mul_f32 v[6:7], v[98:99], v[4:5] op_sel:[0,1]
	v_pk_add_f32 v[234:235], v[234:235], v[100:101] neg_lo:[0,1] neg_hi:[0,1]
	s_delay_alu instid0(VALU_DEP_2) | instskip(SKIP_1) | instid1(VALU_DEP_1)
	v_pk_fma_f32 v[96:97], v[98:99], v[2:3], v[6:7] op_sel:[0,0,1] op_sel_hi:[1,1,0] neg_lo:[0,0,1] neg_hi:[0,0,1]
	v_pk_fma_f32 v[6:7], v[98:99], v[2:3], v[6:7] op_sel:[0,0,1] op_sel_hi:[1,0,0]
	v_mov_b32_e32 v97, v7
	s_delay_alu instid0(VALU_DEP_1) | instskip(SKIP_3) | instid1(VALU_DEP_1)
	v_pk_add_f32 v[236:237], v[236:237], v[96:97] neg_lo:[0,1] neg_hi:[0,1]
	ds_load_2addr_b64 v[96:99], v126 offset0:54 offset1:55
	s_wait_dscnt 0x0
	v_dual_mul_f32 v6, v97, v5 :: v_dual_mul_f32 v100, v97, v2
	v_pk_fma_f32 v[6:7], v[96:97], v[220:221], v[6:7] op_sel_hi:[1,1,0] neg_lo:[0,0,1] neg_hi:[0,0,1]
	s_delay_alu instid0(VALU_DEP_2) | instskip(NEXT) | instid1(VALU_DEP_1)
	v_pk_fma_f32 v[96:97], v[96:97], v[220:221], v[100:101] op_sel:[1,0,0] op_sel_hi:[0,1,0]
	v_mov_b32_e32 v7, v97
	s_delay_alu instid0(VALU_DEP_1) | instskip(SKIP_1) | instid1(VALU_DEP_1)
	v_pk_add_f32 v[238:239], v[238:239], v[6:7] neg_lo:[0,1] neg_hi:[0,1]
	v_pk_mul_f32 v[6:7], v[98:99], v[4:5] op_sel:[0,1]
	v_pk_fma_f32 v[96:97], v[98:99], v[2:3], v[6:7] op_sel:[0,0,1] op_sel_hi:[1,1,0] neg_lo:[0,0,1] neg_hi:[0,0,1]
	v_pk_fma_f32 v[6:7], v[98:99], v[2:3], v[6:7] op_sel:[0,0,1] op_sel_hi:[1,0,0]
	s_delay_alu instid0(VALU_DEP_1) | instskip(NEXT) | instid1(VALU_DEP_1)
	v_mov_b32_e32 v97, v7
	v_pk_add_f32 v[240:241], v[240:241], v[96:97] neg_lo:[0,1] neg_hi:[0,1]
	ds_load_2addr_b64 v[96:99], v126 offset0:56 offset1:57
	s_wait_dscnt 0x0
	v_pk_mul_f32 v[6:7], v[96:97], v[4:5] op_sel:[0,1]
	s_delay_alu instid0(VALU_DEP_1) | instskip(SKIP_1) | instid1(VALU_DEP_1)
	v_pk_fma_f32 v[100:101], v[96:97], v[2:3], v[6:7] op_sel:[0,0,1] op_sel_hi:[1,1,0] neg_lo:[0,0,1] neg_hi:[0,0,1]
	v_pk_fma_f32 v[6:7], v[96:97], v[2:3], v[6:7] op_sel:[0,0,1] op_sel_hi:[1,0,0]
	v_mov_b32_e32 v101, v7
	v_pk_mul_f32 v[6:7], v[98:99], v[4:5] op_sel:[0,1]
	s_delay_alu instid0(VALU_DEP_2) | instskip(NEXT) | instid1(VALU_DEP_2)
	v_pk_add_f32 v[252:253], v[252:253], v[100:101] neg_lo:[0,1] neg_hi:[0,1]
	v_pk_fma_f32 v[96:97], v[98:99], v[2:3], v[6:7] op_sel:[0,0,1] op_sel_hi:[1,1,0] neg_lo:[0,0,1] neg_hi:[0,0,1]
	v_pk_fma_f32 v[6:7], v[98:99], v[2:3], v[6:7] op_sel:[0,0,1] op_sel_hi:[1,0,0]
	s_delay_alu instid0(VALU_DEP_1) | instskip(NEXT) | instid1(VALU_DEP_1)
	v_mov_b32_e32 v97, v7
	v_pk_add_f32 v[246:247], v[246:247], v[96:97] neg_lo:[0,1] neg_hi:[0,1]
	ds_load_2addr_b64 v[96:99], v126 offset0:58 offset1:59
	s_wait_dscnt 0x0
	v_pk_mul_f32 v[6:7], v[96:97], v[4:5] op_sel:[0,1]
	s_delay_alu instid0(VALU_DEP_1) | instskip(SKIP_2) | instid1(VALU_DEP_2)
	v_pk_fma_f32 v[100:101], v[96:97], v[2:3], v[6:7] op_sel:[0,0,1] op_sel_hi:[1,1,0] neg_lo:[0,0,1] neg_hi:[0,0,1]
	v_pk_fma_f32 v[6:7], v[96:97], v[2:3], v[6:7] op_sel:[0,0,1] op_sel_hi:[1,0,0]
	v_dual_mul_f32 v96, v99, v5 :: v_dual_mov_b32 v6, v99
	v_dual_mov_b32 v101, v7 :: v_dual_mov_b32 v7, v98
	s_delay_alu instid0(VALU_DEP_2) | instskip(SKIP_1) | instid1(VALU_DEP_3)
	v_pk_fma_f32 v[96:97], v[98:99], v[220:221], v[96:97] op_sel_hi:[1,1,0] neg_lo:[0,0,1] neg_hi:[0,0,1]
	v_mul_f32_e32 v98, v99, v2
	v_pk_add_f32 v[250:251], v[250:251], v[100:101] neg_lo:[0,1] neg_hi:[0,1]
	s_delay_alu instid0(VALU_DEP_2) | instskip(NEXT) | instid1(VALU_DEP_1)
	v_pk_fma_f32 v[6:7], v[6:7], v[220:221], v[98:99] op_sel_hi:[1,1,0]
	v_mov_b32_e32 v97, v7
	s_delay_alu instid0(VALU_DEP_1) | instskip(SKIP_3) | instid1(VALU_DEP_1)
	v_pk_add_f32 v[244:245], v[244:245], v[96:97] neg_lo:[0,1] neg_hi:[0,1]
	ds_load_2addr_b64 v[96:99], v126 offset0:60 offset1:61
	s_wait_dscnt 0x0
	v_pk_mul_f32 v[6:7], v[96:97], v[4:5] op_sel:[0,1]
	v_pk_fma_f32 v[100:101], v[96:97], v[2:3], v[6:7] op_sel:[0,0,1] op_sel_hi:[1,1,0] neg_lo:[0,0,1] neg_hi:[0,0,1]
	v_pk_fma_f32 v[6:7], v[96:97], v[2:3], v[6:7] op_sel:[0,0,1] op_sel_hi:[1,0,0]
	s_delay_alu instid0(VALU_DEP_1) | instskip(SKIP_1) | instid1(VALU_DEP_2)
	v_mov_b32_e32 v101, v7
	v_pk_mul_f32 v[6:7], v[98:99], v[4:5] op_sel:[0,1]
	v_pk_add_f32 v[248:249], v[248:249], v[100:101] neg_lo:[0,1] neg_hi:[0,1]
	s_delay_alu instid0(VALU_DEP_2) | instskip(SKIP_1) | instid1(VALU_DEP_1)
	v_pk_fma_f32 v[96:97], v[98:99], v[2:3], v[6:7] op_sel:[0,0,1] op_sel_hi:[1,1,0] neg_lo:[0,0,1] neg_hi:[0,0,1]
	v_pk_fma_f32 v[6:7], v[98:99], v[2:3], v[6:7] op_sel:[0,0,1] op_sel_hi:[1,0,0]
	v_mov_b32_e32 v97, v7
	s_delay_alu instid0(VALU_DEP_1) | instskip(SKIP_4) | instid1(VALU_DEP_2)
	v_pk_add_f32 v[242:243], v[242:243], v[96:97] neg_lo:[0,1] neg_hi:[0,1]
	ds_load_2addr_b64 v[96:99], v126 offset0:62 offset1:63
	s_wait_dscnt 0x0
	v_pk_mul_f32 v[6:7], v[96:97], v[4:5] op_sel:[0,1]
	v_mul_f32_e32 v4, v99, v5
	v_pk_fma_f32 v[100:101], v[96:97], v[2:3], v[6:7] op_sel:[0,0,1] op_sel_hi:[1,1,0] neg_lo:[0,0,1] neg_hi:[0,0,1]
	v_pk_fma_f32 v[6:7], v[96:97], v[2:3], v[6:7] op_sel:[0,0,1] op_sel_hi:[1,0,0]
	v_dual_mov_b32 v6, v99 :: v_dual_mul_f32 v2, v99, v2
	s_delay_alu instid0(VALU_DEP_4) | instskip(NEXT) | instid1(VALU_DEP_3)
	v_pk_fma_f32 v[4:5], v[98:99], v[220:221], v[4:5] op_sel_hi:[1,1,0] neg_lo:[0,0,1] neg_hi:[0,0,1]
	v_dual_mov_b32 v101, v7 :: v_dual_mov_b32 v7, v98
	s_delay_alu instid0(VALU_DEP_1) | instskip(NEXT) | instid1(VALU_DEP_2)
	v_pk_add_f32 v[254:255], v[254:255], v[100:101] neg_lo:[0,1] neg_hi:[0,1]
	v_pk_fma_f32 v[2:3], v[6:7], v[220:221], v[2:3] op_sel_hi:[1,1,0]
	s_delay_alu instid0(VALU_DEP_1) | instskip(NEXT) | instid1(VALU_DEP_1)
	v_mov_b32_e32 v5, v3
	v_pk_add_f32 v[0:1], v[0:1], v[4:5] neg_lo:[0,1] neg_hi:[0,1]
.LBB127_415:
	s_or_b32 exec_lo, exec_lo, s1
	s_delay_alu instid0(SALU_CYCLE_1)
	s_mov_b32 s2, exec_lo
	s_wait_dscnt 0x0
	s_barrier_signal -1
	s_barrier_wait -1
	v_cmpx_eq_u32_e32 46, v18
	s_cbranch_execz .LBB127_422
; %bb.416:
	ds_store_b64 v19, v[222:223]
	ds_store_2addr_b64 v126, v[224:225], v[226:227] offset0:47 offset1:48
	ds_store_2addr_b64 v126, v[228:229], v[230:231] offset0:49 offset1:50
	;; [unrolled: 1-line block ×8, first 2 shown]
	ds_store_b64 v126, v[0:1] offset:504
	ds_load_b64 v[2:3], v19
	s_wait_dscnt 0x0
	v_cmp_neq_f32_e32 vcc_lo, 0, v2
	v_cmp_neq_f32_e64 s1, 0, v3
	s_or_b32 s1, vcc_lo, s1
	s_delay_alu instid0(SALU_CYCLE_1)
	s_and_b32 exec_lo, exec_lo, s1
	s_cbranch_execz .LBB127_422
; %bb.417:
	v_cmp_ngt_f32_e64 s1, |v2|, |v3|
                                        ; implicit-def: $vgpr4_vgpr5
	s_and_saveexec_b32 s4, s1
	s_delay_alu instid0(SALU_CYCLE_1)
	s_xor_b32 s1, exec_lo, s4
	s_cbranch_execz .LBB127_419
; %bb.418:
	v_div_scale_f32 v4, null, v3, v3, v2
	v_div_scale_f32 v7, vcc_lo, v2, v3, v2
	s_delay_alu instid0(VALU_DEP_2) | instskip(SKIP_1) | instid1(TRANS32_DEP_1)
	v_rcp_f32_e32 v5, v4
	v_nop
	v_fma_f32 v6, -v4, v5, 1.0
	s_delay_alu instid0(VALU_DEP_1) | instskip(NEXT) | instid1(VALU_DEP_1)
	v_fmac_f32_e32 v5, v6, v5
	v_mul_f32_e32 v6, v7, v5
	s_delay_alu instid0(VALU_DEP_1) | instskip(NEXT) | instid1(VALU_DEP_1)
	v_fma_f32 v8, -v4, v6, v7
	v_fmac_f32_e32 v6, v8, v5
	s_delay_alu instid0(VALU_DEP_1) | instskip(NEXT) | instid1(VALU_DEP_1)
	v_fma_f32 v4, -v4, v6, v7
	v_div_fmas_f32 v4, v4, v5, v6
	s_delay_alu instid0(VALU_DEP_1) | instskip(NEXT) | instid1(VALU_DEP_1)
	v_div_fixup_f32 v4, v4, v3, v2
	v_fmac_f32_e32 v3, v2, v4
	s_delay_alu instid0(VALU_DEP_1) | instskip(SKIP_1) | instid1(VALU_DEP_2)
	v_div_scale_f32 v2, null, v3, v3, 1.0
	v_div_scale_f32 v7, vcc_lo, 1.0, v3, 1.0
	v_rcp_f32_e32 v5, v2
	v_nop
	s_delay_alu instid0(TRANS32_DEP_1) | instskip(NEXT) | instid1(VALU_DEP_1)
	v_fma_f32 v6, -v2, v5, 1.0
	v_fmac_f32_e32 v5, v6, v5
	s_delay_alu instid0(VALU_DEP_1) | instskip(NEXT) | instid1(VALU_DEP_1)
	v_mul_f32_e32 v6, v7, v5
	v_fma_f32 v8, -v2, v6, v7
	s_delay_alu instid0(VALU_DEP_1) | instskip(NEXT) | instid1(VALU_DEP_1)
	v_fmac_f32_e32 v6, v8, v5
	v_fma_f32 v2, -v2, v6, v7
	s_delay_alu instid0(VALU_DEP_1) | instskip(NEXT) | instid1(VALU_DEP_1)
	v_div_fmas_f32 v2, v2, v5, v6
	v_div_fixup_f32 v2, v2, v3, 1.0
	s_delay_alu instid0(VALU_DEP_1)
	v_mul_f32_e32 v4, v4, v2
	v_xor_b32_e32 v5, 0x80000000, v2
                                        ; implicit-def: $vgpr2_vgpr3
.LBB127_419:
	s_and_not1_saveexec_b32 s1, s1
	s_cbranch_execz .LBB127_421
; %bb.420:
	v_div_scale_f32 v4, null, v2, v2, v3
	v_div_scale_f32 v7, vcc_lo, v3, v2, v3
	s_delay_alu instid0(VALU_DEP_2) | instskip(SKIP_1) | instid1(TRANS32_DEP_1)
	v_rcp_f32_e32 v5, v4
	v_nop
	v_fma_f32 v6, -v4, v5, 1.0
	s_delay_alu instid0(VALU_DEP_1) | instskip(NEXT) | instid1(VALU_DEP_1)
	v_fmac_f32_e32 v5, v6, v5
	v_mul_f32_e32 v6, v7, v5
	s_delay_alu instid0(VALU_DEP_1) | instskip(NEXT) | instid1(VALU_DEP_1)
	v_fma_f32 v8, -v4, v6, v7
	v_fmac_f32_e32 v6, v8, v5
	s_delay_alu instid0(VALU_DEP_1) | instskip(NEXT) | instid1(VALU_DEP_1)
	v_fma_f32 v4, -v4, v6, v7
	v_div_fmas_f32 v4, v4, v5, v6
	s_delay_alu instid0(VALU_DEP_1) | instskip(NEXT) | instid1(VALU_DEP_1)
	v_div_fixup_f32 v5, v4, v2, v3
	v_fmac_f32_e32 v2, v3, v5
	s_delay_alu instid0(VALU_DEP_1) | instskip(NEXT) | instid1(VALU_DEP_1)
	v_div_scale_f32 v3, null, v2, v2, 1.0
	v_rcp_f32_e32 v4, v3
	v_nop
	s_delay_alu instid0(TRANS32_DEP_1) | instskip(NEXT) | instid1(VALU_DEP_1)
	v_fma_f32 v6, -v3, v4, 1.0
	v_fmac_f32_e32 v4, v6, v4
	v_div_scale_f32 v6, vcc_lo, 1.0, v2, 1.0
	s_delay_alu instid0(VALU_DEP_1) | instskip(NEXT) | instid1(VALU_DEP_1)
	v_mul_f32_e32 v7, v6, v4
	v_fma_f32 v8, -v3, v7, v6
	s_delay_alu instid0(VALU_DEP_1) | instskip(NEXT) | instid1(VALU_DEP_1)
	v_fmac_f32_e32 v7, v8, v4
	v_fma_f32 v3, -v3, v7, v6
	s_delay_alu instid0(VALU_DEP_1) | instskip(NEXT) | instid1(VALU_DEP_1)
	v_div_fmas_f32 v3, v3, v4, v7
	v_div_fixup_f32 v4, v3, v2, 1.0
	s_delay_alu instid0(VALU_DEP_1)
	v_mul_f32_e64 v5, v5, -v4
.LBB127_421:
	s_or_b32 exec_lo, exec_lo, s1
	ds_store_b64 v19, v[4:5]
.LBB127_422:
	s_or_b32 exec_lo, exec_lo, s2
	s_wait_dscnt 0x0
	s_barrier_signal -1
	s_barrier_wait -1
	ds_load_b64 v[96:97], v19
	s_mov_b32 s1, exec_lo
	v_cmpx_lt_u32_e32 46, v18
	s_cbranch_execz .LBB127_424
; %bb.423:
	ds_load_2addr_b64 v[98:101], v126 offset0:47 offset1:48
	s_wait_dscnt 0x1
	v_pk_mul_f32 v[4:5], v[96:97], v[222:223] op_sel:[1,1] op_sel_hi:[0,1]
	s_delay_alu instid0(VALU_DEP_1) | instskip(SKIP_1) | instid1(VALU_DEP_1)
	v_pk_fma_f32 v[2:3], v[96:97], v[222:223], v[4:5] op_sel_hi:[1,0,1] neg_lo:[0,0,1] neg_hi:[0,0,1]
	v_pk_fma_f32 v[4:5], v[96:97], v[222:223], v[4:5] op_sel_hi:[1,0,1]
	v_dual_mov_b32 v222, v2 :: v_dual_mov_b32 v223, v5
	s_wait_dscnt 0x0
	s_delay_alu instid0(VALU_DEP_2) | instskip(NEXT) | instid1(VALU_DEP_1)
	v_pk_mul_f32 v[6:7], v[98:99], v[4:5] op_sel:[0,1]
	v_pk_fma_f32 v[102:103], v[98:99], v[2:3], v[6:7] op_sel:[0,0,1] op_sel_hi:[1,1,0] neg_lo:[0,0,1] neg_hi:[0,0,1]
	v_pk_fma_f32 v[6:7], v[98:99], v[2:3], v[6:7] op_sel:[0,0,1] op_sel_hi:[1,0,0]
	s_delay_alu instid0(VALU_DEP_1) | instskip(SKIP_1) | instid1(VALU_DEP_1)
	v_mov_b32_e32 v103, v7
	v_pk_mul_f32 v[6:7], v[100:101], v[4:5] op_sel:[0,1]
	v_pk_fma_f32 v[98:99], v[100:101], v[2:3], v[6:7] op_sel:[0,0,1] op_sel_hi:[1,1,0] neg_lo:[0,0,1] neg_hi:[0,0,1]
	v_pk_fma_f32 v[6:7], v[100:101], v[2:3], v[6:7] op_sel:[0,0,1] op_sel_hi:[1,0,0]
	s_delay_alu instid0(VALU_DEP_1) | instskip(SKIP_1) | instid1(VALU_DEP_2)
	v_mov_b32_e32 v99, v7
	v_pk_add_f32 v[224:225], v[224:225], v[102:103] neg_lo:[0,1] neg_hi:[0,1]
	v_pk_add_f32 v[226:227], v[226:227], v[98:99] neg_lo:[0,1] neg_hi:[0,1]
	ds_load_2addr_b64 v[98:101], v126 offset0:49 offset1:50
	s_wait_dscnt 0x0
	v_pk_mul_f32 v[6:7], v[98:99], v[4:5] op_sel:[0,1]
	s_delay_alu instid0(VALU_DEP_1) | instskip(SKIP_2) | instid1(VALU_DEP_2)
	v_pk_fma_f32 v[102:103], v[98:99], v[2:3], v[6:7] op_sel:[0,0,1] op_sel_hi:[1,1,0] neg_lo:[0,0,1] neg_hi:[0,0,1]
	v_pk_fma_f32 v[6:7], v[98:99], v[2:3], v[6:7] op_sel:[0,0,1] op_sel_hi:[1,0,0]
	v_dual_mul_f32 v98, v101, v5 :: v_dual_mov_b32 v6, v101
	v_dual_mov_b32 v103, v7 :: v_dual_mov_b32 v7, v100
	s_delay_alu instid0(VALU_DEP_2) | instskip(SKIP_1) | instid1(VALU_DEP_3)
	v_pk_fma_f32 v[98:99], v[100:101], v[222:223], v[98:99] op_sel_hi:[1,1,0] neg_lo:[0,0,1] neg_hi:[0,0,1]
	v_mul_f32_e32 v100, v101, v2
	v_pk_add_f32 v[228:229], v[228:229], v[102:103] neg_lo:[0,1] neg_hi:[0,1]
	s_delay_alu instid0(VALU_DEP_2) | instskip(NEXT) | instid1(VALU_DEP_1)
	v_pk_fma_f32 v[6:7], v[6:7], v[222:223], v[100:101] op_sel_hi:[1,1,0]
	v_mov_b32_e32 v99, v7
	s_delay_alu instid0(VALU_DEP_1) | instskip(SKIP_3) | instid1(VALU_DEP_1)
	v_pk_add_f32 v[230:231], v[230:231], v[98:99] neg_lo:[0,1] neg_hi:[0,1]
	ds_load_2addr_b64 v[98:101], v126 offset0:51 offset1:52
	s_wait_dscnt 0x0
	v_pk_mul_f32 v[6:7], v[98:99], v[4:5] op_sel:[0,1]
	v_pk_fma_f32 v[102:103], v[98:99], v[2:3], v[6:7] op_sel:[0,0,1] op_sel_hi:[1,1,0] neg_lo:[0,0,1] neg_hi:[0,0,1]
	v_pk_fma_f32 v[6:7], v[98:99], v[2:3], v[6:7] op_sel:[0,0,1] op_sel_hi:[1,0,0]
	s_delay_alu instid0(VALU_DEP_1) | instskip(SKIP_1) | instid1(VALU_DEP_1)
	v_mov_b32_e32 v103, v7
	v_pk_mul_f32 v[6:7], v[100:101], v[4:5] op_sel:[0,1]
	v_pk_fma_f32 v[98:99], v[100:101], v[2:3], v[6:7] op_sel:[0,0,1] op_sel_hi:[1,1,0] neg_lo:[0,0,1] neg_hi:[0,0,1]
	v_pk_fma_f32 v[6:7], v[100:101], v[2:3], v[6:7] op_sel:[0,0,1] op_sel_hi:[1,0,0]
	s_delay_alu instid0(VALU_DEP_1) | instskip(SKIP_1) | instid1(VALU_DEP_2)
	v_mov_b32_e32 v99, v7
	v_pk_add_f32 v[232:233], v[232:233], v[102:103] neg_lo:[0,1] neg_hi:[0,1]
	v_pk_add_f32 v[234:235], v[234:235], v[98:99] neg_lo:[0,1] neg_hi:[0,1]
	ds_load_2addr_b64 v[98:101], v126 offset0:53 offset1:54
	s_wait_dscnt 0x0
	v_pk_mul_f32 v[6:7], v[98:99], v[4:5] op_sel:[0,1]
	s_delay_alu instid0(VALU_DEP_1) | instskip(SKIP_1) | instid1(VALU_DEP_1)
	v_pk_fma_f32 v[102:103], v[98:99], v[2:3], v[6:7] op_sel:[0,0,1] op_sel_hi:[1,1,0] neg_lo:[0,0,1] neg_hi:[0,0,1]
	v_pk_fma_f32 v[6:7], v[98:99], v[2:3], v[6:7] op_sel:[0,0,1] op_sel_hi:[1,0,0]
	v_mov_b32_e32 v103, v7
	v_pk_mul_f32 v[6:7], v[100:101], v[4:5] op_sel:[0,1]
	s_delay_alu instid0(VALU_DEP_1) | instskip(SKIP_1) | instid1(VALU_DEP_1)
	v_pk_fma_f32 v[98:99], v[100:101], v[2:3], v[6:7] op_sel:[0,0,1] op_sel_hi:[1,1,0] neg_lo:[0,0,1] neg_hi:[0,0,1]
	v_pk_fma_f32 v[6:7], v[100:101], v[2:3], v[6:7] op_sel:[0,0,1] op_sel_hi:[1,0,0]
	v_mov_b32_e32 v99, v7
	v_pk_add_f32 v[236:237], v[236:237], v[102:103] neg_lo:[0,1] neg_hi:[0,1]
	s_delay_alu instid0(VALU_DEP_2) | instskip(SKIP_3) | instid1(VALU_DEP_1)
	v_pk_add_f32 v[238:239], v[238:239], v[98:99] neg_lo:[0,1] neg_hi:[0,1]
	ds_load_2addr_b64 v[98:101], v126 offset0:55 offset1:56
	s_wait_dscnt 0x0
	v_dual_mul_f32 v6, v99, v5 :: v_dual_mul_f32 v102, v99, v2
	v_pk_fma_f32 v[6:7], v[98:99], v[222:223], v[6:7] op_sel_hi:[1,1,0] neg_lo:[0,0,1] neg_hi:[0,0,1]
	s_delay_alu instid0(VALU_DEP_2) | instskip(NEXT) | instid1(VALU_DEP_1)
	v_pk_fma_f32 v[98:99], v[98:99], v[222:223], v[102:103] op_sel:[1,0,0] op_sel_hi:[0,1,0]
	v_mov_b32_e32 v7, v99
	s_delay_alu instid0(VALU_DEP_1) | instskip(SKIP_1) | instid1(VALU_DEP_1)
	v_pk_add_f32 v[240:241], v[240:241], v[6:7] neg_lo:[0,1] neg_hi:[0,1]
	v_pk_mul_f32 v[6:7], v[100:101], v[4:5] op_sel:[0,1]
	v_pk_fma_f32 v[98:99], v[100:101], v[2:3], v[6:7] op_sel:[0,0,1] op_sel_hi:[1,1,0] neg_lo:[0,0,1] neg_hi:[0,0,1]
	v_pk_fma_f32 v[6:7], v[100:101], v[2:3], v[6:7] op_sel:[0,0,1] op_sel_hi:[1,0,0]
	s_delay_alu instid0(VALU_DEP_1) | instskip(NEXT) | instid1(VALU_DEP_1)
	v_mov_b32_e32 v99, v7
	v_pk_add_f32 v[252:253], v[252:253], v[98:99] neg_lo:[0,1] neg_hi:[0,1]
	ds_load_2addr_b64 v[98:101], v126 offset0:57 offset1:58
	s_wait_dscnt 0x0
	v_pk_mul_f32 v[6:7], v[98:99], v[4:5] op_sel:[0,1]
	s_delay_alu instid0(VALU_DEP_1) | instskip(SKIP_1) | instid1(VALU_DEP_1)
	v_pk_fma_f32 v[102:103], v[98:99], v[2:3], v[6:7] op_sel:[0,0,1] op_sel_hi:[1,1,0] neg_lo:[0,0,1] neg_hi:[0,0,1]
	v_pk_fma_f32 v[6:7], v[98:99], v[2:3], v[6:7] op_sel:[0,0,1] op_sel_hi:[1,0,0]
	v_mov_b32_e32 v103, v7
	v_pk_mul_f32 v[6:7], v[100:101], v[4:5] op_sel:[0,1]
	s_delay_alu instid0(VALU_DEP_2) | instskip(NEXT) | instid1(VALU_DEP_2)
	v_pk_add_f32 v[246:247], v[246:247], v[102:103] neg_lo:[0,1] neg_hi:[0,1]
	v_pk_fma_f32 v[98:99], v[100:101], v[2:3], v[6:7] op_sel:[0,0,1] op_sel_hi:[1,1,0] neg_lo:[0,0,1] neg_hi:[0,0,1]
	v_pk_fma_f32 v[6:7], v[100:101], v[2:3], v[6:7] op_sel:[0,0,1] op_sel_hi:[1,0,0]
	s_delay_alu instid0(VALU_DEP_1) | instskip(NEXT) | instid1(VALU_DEP_1)
	v_mov_b32_e32 v99, v7
	v_pk_add_f32 v[250:251], v[250:251], v[98:99] neg_lo:[0,1] neg_hi:[0,1]
	ds_load_2addr_b64 v[98:101], v126 offset0:59 offset1:60
	s_wait_dscnt 0x0
	v_pk_mul_f32 v[6:7], v[98:99], v[4:5] op_sel:[0,1]
	s_delay_alu instid0(VALU_DEP_1) | instskip(SKIP_2) | instid1(VALU_DEP_2)
	v_pk_fma_f32 v[102:103], v[98:99], v[2:3], v[6:7] op_sel:[0,0,1] op_sel_hi:[1,1,0] neg_lo:[0,0,1] neg_hi:[0,0,1]
	v_pk_fma_f32 v[6:7], v[98:99], v[2:3], v[6:7] op_sel:[0,0,1] op_sel_hi:[1,0,0]
	v_dual_mul_f32 v98, v101, v5 :: v_dual_mov_b32 v6, v101
	v_dual_mov_b32 v103, v7 :: v_dual_mov_b32 v7, v100
	s_delay_alu instid0(VALU_DEP_2) | instskip(SKIP_1) | instid1(VALU_DEP_3)
	v_pk_fma_f32 v[98:99], v[100:101], v[222:223], v[98:99] op_sel_hi:[1,1,0] neg_lo:[0,0,1] neg_hi:[0,0,1]
	v_mul_f32_e32 v100, v101, v2
	v_pk_add_f32 v[244:245], v[244:245], v[102:103] neg_lo:[0,1] neg_hi:[0,1]
	s_delay_alu instid0(VALU_DEP_2) | instskip(NEXT) | instid1(VALU_DEP_1)
	v_pk_fma_f32 v[6:7], v[6:7], v[222:223], v[100:101] op_sel_hi:[1,1,0]
	v_mov_b32_e32 v99, v7
	s_delay_alu instid0(VALU_DEP_1) | instskip(SKIP_3) | instid1(VALU_DEP_1)
	v_pk_add_f32 v[248:249], v[248:249], v[98:99] neg_lo:[0,1] neg_hi:[0,1]
	ds_load_2addr_b64 v[98:101], v126 offset0:61 offset1:62
	s_wait_dscnt 0x0
	v_pk_mul_f32 v[6:7], v[98:99], v[4:5] op_sel:[0,1]
	v_pk_fma_f32 v[102:103], v[98:99], v[2:3], v[6:7] op_sel:[0,0,1] op_sel_hi:[1,1,0] neg_lo:[0,0,1] neg_hi:[0,0,1]
	v_pk_fma_f32 v[6:7], v[98:99], v[2:3], v[6:7] op_sel:[0,0,1] op_sel_hi:[1,0,0]
	s_delay_alu instid0(VALU_DEP_1) | instskip(SKIP_1) | instid1(VALU_DEP_1)
	v_mov_b32_e32 v103, v7
	v_pk_mul_f32 v[6:7], v[100:101], v[4:5] op_sel:[0,1]
	v_pk_fma_f32 v[98:99], v[100:101], v[2:3], v[6:7] op_sel:[0,0,1] op_sel_hi:[1,1,0] neg_lo:[0,0,1] neg_hi:[0,0,1]
	v_pk_fma_f32 v[6:7], v[100:101], v[2:3], v[6:7] op_sel:[0,0,1] op_sel_hi:[1,0,0]
	s_delay_alu instid0(VALU_DEP_1)
	v_mov_b32_e32 v99, v7
	ds_load_b64 v[6:7], v126 offset:504
	v_pk_add_f32 v[242:243], v[242:243], v[102:103] neg_lo:[0,1] neg_hi:[0,1]
	v_pk_add_f32 v[254:255], v[254:255], v[98:99] neg_lo:[0,1] neg_hi:[0,1]
	s_wait_dscnt 0x0
	v_pk_mul_f32 v[4:5], v[6:7], v[4:5] op_sel:[0,1]
	s_delay_alu instid0(VALU_DEP_1) | instskip(SKIP_1) | instid1(VALU_DEP_1)
	v_pk_fma_f32 v[98:99], v[6:7], v[2:3], v[4:5] op_sel:[0,0,1] op_sel_hi:[1,1,0] neg_lo:[0,0,1] neg_hi:[0,0,1]
	v_pk_fma_f32 v[2:3], v[6:7], v[2:3], v[4:5] op_sel:[0,0,1] op_sel_hi:[1,0,0]
	v_mov_b32_e32 v99, v3
	s_delay_alu instid0(VALU_DEP_1)
	v_pk_add_f32 v[0:1], v[0:1], v[98:99] neg_lo:[0,1] neg_hi:[0,1]
.LBB127_424:
	s_or_b32 exec_lo, exec_lo, s1
	s_delay_alu instid0(SALU_CYCLE_1)
	s_mov_b32 s2, exec_lo
	s_wait_dscnt 0x0
	s_barrier_signal -1
	s_barrier_wait -1
	v_cmpx_eq_u32_e32 47, v18
	s_cbranch_execz .LBB127_431
; %bb.425:
	v_dual_mov_b32 v2, v226 :: v_dual_mov_b32 v3, v227
	v_dual_mov_b32 v4, v228 :: v_dual_mov_b32 v5, v229
	ds_store_b64 v19, v[224:225]
	ds_store_2addr_b64 v126, v[2:3], v[4:5] offset0:48 offset1:49
	v_dual_mov_b32 v2, v230 :: v_dual_mov_b32 v3, v231
	v_dual_mov_b32 v4, v232 :: v_dual_mov_b32 v5, v233
	ds_store_2addr_b64 v126, v[2:3], v[4:5] offset0:50 offset1:51
	v_dual_mov_b32 v2, v234 :: v_dual_mov_b32 v3, v235
	v_dual_mov_b32 v4, v236 :: v_dual_mov_b32 v5, v237
	;; [unrolled: 3-line block ×6, first 2 shown]
	ds_store_2addr_b64 v126, v[2:3], v[4:5] offset0:60 offset1:61
	v_dual_mov_b32 v2, v254 :: v_dual_mov_b32 v3, v255
	ds_store_2addr_b64 v126, v[2:3], v[0:1] offset0:62 offset1:63
	ds_load_b64 v[2:3], v19
	s_wait_dscnt 0x0
	v_cmp_neq_f32_e32 vcc_lo, 0, v2
	v_cmp_neq_f32_e64 s1, 0, v3
	s_or_b32 s1, vcc_lo, s1
	s_delay_alu instid0(SALU_CYCLE_1)
	s_and_b32 exec_lo, exec_lo, s1
	s_cbranch_execz .LBB127_431
; %bb.426:
	v_cmp_ngt_f32_e64 s1, |v2|, |v3|
                                        ; implicit-def: $vgpr4_vgpr5
	s_and_saveexec_b32 s4, s1
	s_delay_alu instid0(SALU_CYCLE_1)
	s_xor_b32 s1, exec_lo, s4
	s_cbranch_execz .LBB127_428
; %bb.427:
	v_div_scale_f32 v4, null, v3, v3, v2
	v_div_scale_f32 v7, vcc_lo, v2, v3, v2
	s_delay_alu instid0(VALU_DEP_2) | instskip(SKIP_1) | instid1(TRANS32_DEP_1)
	v_rcp_f32_e32 v5, v4
	v_nop
	v_fma_f32 v6, -v4, v5, 1.0
	s_delay_alu instid0(VALU_DEP_1) | instskip(NEXT) | instid1(VALU_DEP_1)
	v_fmac_f32_e32 v5, v6, v5
	v_mul_f32_e32 v6, v7, v5
	s_delay_alu instid0(VALU_DEP_1) | instskip(NEXT) | instid1(VALU_DEP_1)
	v_fma_f32 v8, -v4, v6, v7
	v_fmac_f32_e32 v6, v8, v5
	s_delay_alu instid0(VALU_DEP_1) | instskip(NEXT) | instid1(VALU_DEP_1)
	v_fma_f32 v4, -v4, v6, v7
	v_div_fmas_f32 v4, v4, v5, v6
	s_delay_alu instid0(VALU_DEP_1) | instskip(NEXT) | instid1(VALU_DEP_1)
	v_div_fixup_f32 v4, v4, v3, v2
	v_fmac_f32_e32 v3, v2, v4
	s_delay_alu instid0(VALU_DEP_1) | instskip(SKIP_1) | instid1(VALU_DEP_2)
	v_div_scale_f32 v2, null, v3, v3, 1.0
	v_div_scale_f32 v7, vcc_lo, 1.0, v3, 1.0
	v_rcp_f32_e32 v5, v2
	v_nop
	s_delay_alu instid0(TRANS32_DEP_1) | instskip(NEXT) | instid1(VALU_DEP_1)
	v_fma_f32 v6, -v2, v5, 1.0
	v_fmac_f32_e32 v5, v6, v5
	s_delay_alu instid0(VALU_DEP_1) | instskip(NEXT) | instid1(VALU_DEP_1)
	v_mul_f32_e32 v6, v7, v5
	v_fma_f32 v8, -v2, v6, v7
	s_delay_alu instid0(VALU_DEP_1) | instskip(NEXT) | instid1(VALU_DEP_1)
	v_fmac_f32_e32 v6, v8, v5
	v_fma_f32 v2, -v2, v6, v7
	s_delay_alu instid0(VALU_DEP_1) | instskip(NEXT) | instid1(VALU_DEP_1)
	v_div_fmas_f32 v2, v2, v5, v6
	v_div_fixup_f32 v2, v2, v3, 1.0
	s_delay_alu instid0(VALU_DEP_1)
	v_mul_f32_e32 v4, v4, v2
	v_xor_b32_e32 v5, 0x80000000, v2
                                        ; implicit-def: $vgpr2_vgpr3
.LBB127_428:
	s_and_not1_saveexec_b32 s1, s1
	s_cbranch_execz .LBB127_430
; %bb.429:
	v_div_scale_f32 v4, null, v2, v2, v3
	v_div_scale_f32 v7, vcc_lo, v3, v2, v3
	s_delay_alu instid0(VALU_DEP_2) | instskip(SKIP_1) | instid1(TRANS32_DEP_1)
	v_rcp_f32_e32 v5, v4
	v_nop
	v_fma_f32 v6, -v4, v5, 1.0
	s_delay_alu instid0(VALU_DEP_1) | instskip(NEXT) | instid1(VALU_DEP_1)
	v_fmac_f32_e32 v5, v6, v5
	v_mul_f32_e32 v6, v7, v5
	s_delay_alu instid0(VALU_DEP_1) | instskip(NEXT) | instid1(VALU_DEP_1)
	v_fma_f32 v8, -v4, v6, v7
	v_fmac_f32_e32 v6, v8, v5
	s_delay_alu instid0(VALU_DEP_1) | instskip(NEXT) | instid1(VALU_DEP_1)
	v_fma_f32 v4, -v4, v6, v7
	v_div_fmas_f32 v4, v4, v5, v6
	s_delay_alu instid0(VALU_DEP_1) | instskip(NEXT) | instid1(VALU_DEP_1)
	v_div_fixup_f32 v5, v4, v2, v3
	v_fmac_f32_e32 v2, v3, v5
	s_delay_alu instid0(VALU_DEP_1) | instskip(NEXT) | instid1(VALU_DEP_1)
	v_div_scale_f32 v3, null, v2, v2, 1.0
	v_rcp_f32_e32 v4, v3
	v_nop
	s_delay_alu instid0(TRANS32_DEP_1) | instskip(NEXT) | instid1(VALU_DEP_1)
	v_fma_f32 v6, -v3, v4, 1.0
	v_fmac_f32_e32 v4, v6, v4
	v_div_scale_f32 v6, vcc_lo, 1.0, v2, 1.0
	s_delay_alu instid0(VALU_DEP_1) | instskip(NEXT) | instid1(VALU_DEP_1)
	v_mul_f32_e32 v7, v6, v4
	v_fma_f32 v8, -v3, v7, v6
	s_delay_alu instid0(VALU_DEP_1) | instskip(NEXT) | instid1(VALU_DEP_1)
	v_fmac_f32_e32 v7, v8, v4
	v_fma_f32 v3, -v3, v7, v6
	s_delay_alu instid0(VALU_DEP_1) | instskip(NEXT) | instid1(VALU_DEP_1)
	v_div_fmas_f32 v3, v3, v4, v7
	v_div_fixup_f32 v4, v3, v2, 1.0
	s_delay_alu instid0(VALU_DEP_1)
	v_mul_f32_e64 v5, v5, -v4
.LBB127_430:
	s_or_b32 exec_lo, exec_lo, s1
	ds_store_b64 v19, v[4:5]
.LBB127_431:
	s_or_b32 exec_lo, exec_lo, s2
	s_wait_dscnt 0x0
	s_barrier_signal -1
	s_barrier_wait -1
	ds_load_b64 v[98:99], v19
	s_mov_b32 s1, exec_lo
	v_cmpx_lt_u32_e32 47, v18
	s_cbranch_execz .LBB127_433
; %bb.432:
	ds_load_2addr_b64 v[100:103], v126 offset0:48 offset1:49
	s_wait_dscnt 0x1
	v_pk_mul_f32 v[4:5], v[98:99], v[224:225] op_sel:[1,1] op_sel_hi:[0,1]
	s_delay_alu instid0(VALU_DEP_1) | instskip(SKIP_1) | instid1(VALU_DEP_1)
	v_pk_fma_f32 v[2:3], v[98:99], v[224:225], v[4:5] op_sel_hi:[1,0,1] neg_lo:[0,0,1] neg_hi:[0,0,1]
	v_pk_fma_f32 v[4:5], v[98:99], v[224:225], v[4:5] op_sel_hi:[1,0,1]
	v_dual_mov_b32 v224, v2 :: v_dual_mov_b32 v225, v5
	s_wait_dscnt 0x0
	s_delay_alu instid0(VALU_DEP_2) | instskip(NEXT) | instid1(VALU_DEP_1)
	v_pk_mul_f32 v[6:7], v[100:101], v[4:5] op_sel:[0,1]
	v_pk_fma_f32 v[104:105], v[100:101], v[2:3], v[6:7] op_sel:[0,0,1] op_sel_hi:[1,1,0] neg_lo:[0,0,1] neg_hi:[0,0,1]
	v_pk_fma_f32 v[6:7], v[100:101], v[2:3], v[6:7] op_sel:[0,0,1] op_sel_hi:[1,0,0]
	s_delay_alu instid0(VALU_DEP_1) | instskip(SKIP_1) | instid1(VALU_DEP_1)
	v_mov_b32_e32 v105, v7
	v_pk_mul_f32 v[6:7], v[102:103], v[4:5] op_sel:[0,1]
	v_pk_fma_f32 v[100:101], v[102:103], v[2:3], v[6:7] op_sel:[0,0,1] op_sel_hi:[1,1,0] neg_lo:[0,0,1] neg_hi:[0,0,1]
	v_pk_fma_f32 v[6:7], v[102:103], v[2:3], v[6:7] op_sel:[0,0,1] op_sel_hi:[1,0,0]
	s_delay_alu instid0(VALU_DEP_1) | instskip(SKIP_1) | instid1(VALU_DEP_2)
	v_mov_b32_e32 v101, v7
	v_pk_add_f32 v[226:227], v[226:227], v[104:105] neg_lo:[0,1] neg_hi:[0,1]
	v_pk_add_f32 v[228:229], v[228:229], v[100:101] neg_lo:[0,1] neg_hi:[0,1]
	ds_load_2addr_b64 v[100:103], v126 offset0:50 offset1:51
	s_wait_dscnt 0x0
	v_pk_mul_f32 v[6:7], v[100:101], v[4:5] op_sel:[0,1]
	s_delay_alu instid0(VALU_DEP_1) | instskip(SKIP_2) | instid1(VALU_DEP_2)
	v_pk_fma_f32 v[104:105], v[100:101], v[2:3], v[6:7] op_sel:[0,0,1] op_sel_hi:[1,1,0] neg_lo:[0,0,1] neg_hi:[0,0,1]
	v_pk_fma_f32 v[6:7], v[100:101], v[2:3], v[6:7] op_sel:[0,0,1] op_sel_hi:[1,0,0]
	v_dual_mul_f32 v100, v103, v5 :: v_dual_mov_b32 v6, v103
	v_dual_mov_b32 v105, v7 :: v_dual_mov_b32 v7, v102
	s_delay_alu instid0(VALU_DEP_2) | instskip(SKIP_1) | instid1(VALU_DEP_3)
	v_pk_fma_f32 v[100:101], v[102:103], v[224:225], v[100:101] op_sel_hi:[1,1,0] neg_lo:[0,0,1] neg_hi:[0,0,1]
	v_mul_f32_e32 v102, v103, v2
	v_pk_add_f32 v[230:231], v[230:231], v[104:105] neg_lo:[0,1] neg_hi:[0,1]
	s_delay_alu instid0(VALU_DEP_2) | instskip(NEXT) | instid1(VALU_DEP_1)
	v_pk_fma_f32 v[6:7], v[6:7], v[224:225], v[102:103] op_sel_hi:[1,1,0]
	v_mov_b32_e32 v101, v7
	s_delay_alu instid0(VALU_DEP_1) | instskip(SKIP_3) | instid1(VALU_DEP_1)
	v_pk_add_f32 v[232:233], v[232:233], v[100:101] neg_lo:[0,1] neg_hi:[0,1]
	ds_load_2addr_b64 v[100:103], v126 offset0:52 offset1:53
	s_wait_dscnt 0x0
	v_pk_mul_f32 v[6:7], v[100:101], v[4:5] op_sel:[0,1]
	v_pk_fma_f32 v[104:105], v[100:101], v[2:3], v[6:7] op_sel:[0,0,1] op_sel_hi:[1,1,0] neg_lo:[0,0,1] neg_hi:[0,0,1]
	v_pk_fma_f32 v[6:7], v[100:101], v[2:3], v[6:7] op_sel:[0,0,1] op_sel_hi:[1,0,0]
	s_delay_alu instid0(VALU_DEP_1) | instskip(SKIP_1) | instid1(VALU_DEP_2)
	v_mov_b32_e32 v105, v7
	v_pk_mul_f32 v[6:7], v[102:103], v[4:5] op_sel:[0,1]
	v_pk_add_f32 v[234:235], v[234:235], v[104:105] neg_lo:[0,1] neg_hi:[0,1]
	s_delay_alu instid0(VALU_DEP_2) | instskip(SKIP_1) | instid1(VALU_DEP_1)
	v_pk_fma_f32 v[100:101], v[102:103], v[2:3], v[6:7] op_sel:[0,0,1] op_sel_hi:[1,1,0] neg_lo:[0,0,1] neg_hi:[0,0,1]
	v_pk_fma_f32 v[6:7], v[102:103], v[2:3], v[6:7] op_sel:[0,0,1] op_sel_hi:[1,0,0]
	v_mov_b32_e32 v101, v7
	s_delay_alu instid0(VALU_DEP_1) | instskip(SKIP_3) | instid1(VALU_DEP_1)
	v_pk_add_f32 v[236:237], v[236:237], v[100:101] neg_lo:[0,1] neg_hi:[0,1]
	ds_load_2addr_b64 v[100:103], v126 offset0:54 offset1:55
	s_wait_dscnt 0x0
	v_pk_mul_f32 v[6:7], v[100:101], v[4:5] op_sel:[0,1]
	v_pk_fma_f32 v[104:105], v[100:101], v[2:3], v[6:7] op_sel:[0,0,1] op_sel_hi:[1,1,0] neg_lo:[0,0,1] neg_hi:[0,0,1]
	v_pk_fma_f32 v[6:7], v[100:101], v[2:3], v[6:7] op_sel:[0,0,1] op_sel_hi:[1,0,0]
	s_delay_alu instid0(VALU_DEP_1) | instskip(SKIP_1) | instid1(VALU_DEP_2)
	v_mov_b32_e32 v105, v7
	v_pk_mul_f32 v[6:7], v[102:103], v[4:5] op_sel:[0,1]
	v_pk_add_f32 v[238:239], v[238:239], v[104:105] neg_lo:[0,1] neg_hi:[0,1]
	s_delay_alu instid0(VALU_DEP_2) | instskip(SKIP_1) | instid1(VALU_DEP_1)
	v_pk_fma_f32 v[100:101], v[102:103], v[2:3], v[6:7] op_sel:[0,0,1] op_sel_hi:[1,1,0] neg_lo:[0,0,1] neg_hi:[0,0,1]
	v_pk_fma_f32 v[6:7], v[102:103], v[2:3], v[6:7] op_sel:[0,0,1] op_sel_hi:[1,0,0]
	v_mov_b32_e32 v101, v7
	s_delay_alu instid0(VALU_DEP_1) | instskip(SKIP_3) | instid1(VALU_DEP_1)
	v_pk_add_f32 v[240:241], v[240:241], v[100:101] neg_lo:[0,1] neg_hi:[0,1]
	ds_load_2addr_b64 v[100:103], v126 offset0:56 offset1:57
	s_wait_dscnt 0x0
	v_dual_mul_f32 v6, v101, v5 :: v_dual_mul_f32 v104, v101, v2
	v_pk_fma_f32 v[6:7], v[100:101], v[224:225], v[6:7] op_sel_hi:[1,1,0] neg_lo:[0,0,1] neg_hi:[0,0,1]
	s_delay_alu instid0(VALU_DEP_2) | instskip(NEXT) | instid1(VALU_DEP_1)
	v_pk_fma_f32 v[100:101], v[100:101], v[224:225], v[104:105] op_sel:[1,0,0] op_sel_hi:[0,1,0]
	v_mov_b32_e32 v7, v101
	s_delay_alu instid0(VALU_DEP_1) | instskip(SKIP_1) | instid1(VALU_DEP_1)
	v_pk_add_f32 v[252:253], v[252:253], v[6:7] neg_lo:[0,1] neg_hi:[0,1]
	v_pk_mul_f32 v[6:7], v[102:103], v[4:5] op_sel:[0,1]
	v_pk_fma_f32 v[100:101], v[102:103], v[2:3], v[6:7] op_sel:[0,0,1] op_sel_hi:[1,1,0] neg_lo:[0,0,1] neg_hi:[0,0,1]
	v_pk_fma_f32 v[6:7], v[102:103], v[2:3], v[6:7] op_sel:[0,0,1] op_sel_hi:[1,0,0]
	s_delay_alu instid0(VALU_DEP_1) | instskip(NEXT) | instid1(VALU_DEP_1)
	v_mov_b32_e32 v101, v7
	v_pk_add_f32 v[246:247], v[246:247], v[100:101] neg_lo:[0,1] neg_hi:[0,1]
	ds_load_2addr_b64 v[100:103], v126 offset0:58 offset1:59
	s_wait_dscnt 0x0
	v_pk_mul_f32 v[6:7], v[100:101], v[4:5] op_sel:[0,1]
	s_delay_alu instid0(VALU_DEP_1) | instskip(SKIP_1) | instid1(VALU_DEP_1)
	v_pk_fma_f32 v[104:105], v[100:101], v[2:3], v[6:7] op_sel:[0,0,1] op_sel_hi:[1,1,0] neg_lo:[0,0,1] neg_hi:[0,0,1]
	v_pk_fma_f32 v[6:7], v[100:101], v[2:3], v[6:7] op_sel:[0,0,1] op_sel_hi:[1,0,0]
	v_mov_b32_e32 v105, v7
	v_pk_mul_f32 v[6:7], v[102:103], v[4:5] op_sel:[0,1]
	s_delay_alu instid0(VALU_DEP_2) | instskip(NEXT) | instid1(VALU_DEP_2)
	v_pk_add_f32 v[250:251], v[250:251], v[104:105] neg_lo:[0,1] neg_hi:[0,1]
	v_pk_fma_f32 v[100:101], v[102:103], v[2:3], v[6:7] op_sel:[0,0,1] op_sel_hi:[1,1,0] neg_lo:[0,0,1] neg_hi:[0,0,1]
	v_pk_fma_f32 v[6:7], v[102:103], v[2:3], v[6:7] op_sel:[0,0,1] op_sel_hi:[1,0,0]
	s_delay_alu instid0(VALU_DEP_1) | instskip(NEXT) | instid1(VALU_DEP_1)
	v_mov_b32_e32 v101, v7
	v_pk_add_f32 v[244:245], v[244:245], v[100:101] neg_lo:[0,1] neg_hi:[0,1]
	ds_load_2addr_b64 v[100:103], v126 offset0:60 offset1:61
	s_wait_dscnt 0x0
	v_pk_mul_f32 v[6:7], v[100:101], v[4:5] op_sel:[0,1]
	s_delay_alu instid0(VALU_DEP_1) | instskip(SKIP_2) | instid1(VALU_DEP_2)
	v_pk_fma_f32 v[104:105], v[100:101], v[2:3], v[6:7] op_sel:[0,0,1] op_sel_hi:[1,1,0] neg_lo:[0,0,1] neg_hi:[0,0,1]
	v_pk_fma_f32 v[6:7], v[100:101], v[2:3], v[6:7] op_sel:[0,0,1] op_sel_hi:[1,0,0]
	v_dual_mul_f32 v100, v103, v5 :: v_dual_mov_b32 v6, v103
	v_dual_mov_b32 v105, v7 :: v_dual_mov_b32 v7, v102
	s_delay_alu instid0(VALU_DEP_2) | instskip(SKIP_1) | instid1(VALU_DEP_3)
	v_pk_fma_f32 v[100:101], v[102:103], v[224:225], v[100:101] op_sel_hi:[1,1,0] neg_lo:[0,0,1] neg_hi:[0,0,1]
	v_mul_f32_e32 v102, v103, v2
	v_pk_add_f32 v[248:249], v[248:249], v[104:105] neg_lo:[0,1] neg_hi:[0,1]
	s_delay_alu instid0(VALU_DEP_2) | instskip(NEXT) | instid1(VALU_DEP_1)
	v_pk_fma_f32 v[6:7], v[6:7], v[224:225], v[102:103] op_sel_hi:[1,1,0]
	v_mov_b32_e32 v101, v7
	s_delay_alu instid0(VALU_DEP_1) | instskip(SKIP_4) | instid1(VALU_DEP_2)
	v_pk_add_f32 v[242:243], v[242:243], v[100:101] neg_lo:[0,1] neg_hi:[0,1]
	ds_load_2addr_b64 v[100:103], v126 offset0:62 offset1:63
	s_wait_dscnt 0x0
	v_pk_mul_f32 v[6:7], v[100:101], v[4:5] op_sel:[0,1]
	v_pk_mul_f32 v[4:5], v[102:103], v[4:5] op_sel:[0,1]
	v_pk_fma_f32 v[104:105], v[100:101], v[2:3], v[6:7] op_sel:[0,0,1] op_sel_hi:[1,1,0] neg_lo:[0,0,1] neg_hi:[0,0,1]
	v_pk_fma_f32 v[6:7], v[100:101], v[2:3], v[6:7] op_sel:[0,0,1] op_sel_hi:[1,0,0]
	s_delay_alu instid0(VALU_DEP_1) | instskip(NEXT) | instid1(VALU_DEP_4)
	v_mov_b32_e32 v105, v7
	v_pk_fma_f32 v[6:7], v[102:103], v[2:3], v[4:5] op_sel:[0,0,1] op_sel_hi:[1,1,0] neg_lo:[0,0,1] neg_hi:[0,0,1]
	v_pk_fma_f32 v[2:3], v[102:103], v[2:3], v[4:5] op_sel:[0,0,1] op_sel_hi:[1,0,0]
	s_delay_alu instid0(VALU_DEP_3) | instskip(NEXT) | instid1(VALU_DEP_2)
	v_pk_add_f32 v[254:255], v[254:255], v[104:105] neg_lo:[0,1] neg_hi:[0,1]
	v_mov_b32_e32 v7, v3
	s_delay_alu instid0(VALU_DEP_1)
	v_pk_add_f32 v[0:1], v[0:1], v[6:7] neg_lo:[0,1] neg_hi:[0,1]
.LBB127_433:
	s_or_b32 exec_lo, exec_lo, s1
	s_delay_alu instid0(SALU_CYCLE_1)
	s_mov_b32 s2, exec_lo
	s_wait_dscnt 0x0
	s_barrier_signal -1
	s_barrier_wait -1
	v_cmpx_eq_u32_e32 48, v18
	s_cbranch_execz .LBB127_440
; %bb.434:
	ds_store_b64 v19, v[226:227]
	ds_store_2addr_b64 v126, v[228:229], v[230:231] offset0:49 offset1:50
	ds_store_2addr_b64 v126, v[232:233], v[234:235] offset0:51 offset1:52
	;; [unrolled: 1-line block ×7, first 2 shown]
	ds_store_b64 v126, v[0:1] offset:504
	ds_load_b64 v[2:3], v19
	s_wait_dscnt 0x0
	v_cmp_neq_f32_e32 vcc_lo, 0, v2
	v_cmp_neq_f32_e64 s1, 0, v3
	s_or_b32 s1, vcc_lo, s1
	s_delay_alu instid0(SALU_CYCLE_1)
	s_and_b32 exec_lo, exec_lo, s1
	s_cbranch_execz .LBB127_440
; %bb.435:
	v_cmp_ngt_f32_e64 s1, |v2|, |v3|
                                        ; implicit-def: $vgpr4_vgpr5
	s_and_saveexec_b32 s4, s1
	s_delay_alu instid0(SALU_CYCLE_1)
	s_xor_b32 s1, exec_lo, s4
	s_cbranch_execz .LBB127_437
; %bb.436:
	v_div_scale_f32 v4, null, v3, v3, v2
	v_div_scale_f32 v7, vcc_lo, v2, v3, v2
	s_delay_alu instid0(VALU_DEP_2) | instskip(SKIP_1) | instid1(TRANS32_DEP_1)
	v_rcp_f32_e32 v5, v4
	v_nop
	v_fma_f32 v6, -v4, v5, 1.0
	s_delay_alu instid0(VALU_DEP_1) | instskip(NEXT) | instid1(VALU_DEP_1)
	v_fmac_f32_e32 v5, v6, v5
	v_mul_f32_e32 v6, v7, v5
	s_delay_alu instid0(VALU_DEP_1) | instskip(NEXT) | instid1(VALU_DEP_1)
	v_fma_f32 v8, -v4, v6, v7
	v_fmac_f32_e32 v6, v8, v5
	s_delay_alu instid0(VALU_DEP_1) | instskip(NEXT) | instid1(VALU_DEP_1)
	v_fma_f32 v4, -v4, v6, v7
	v_div_fmas_f32 v4, v4, v5, v6
	s_delay_alu instid0(VALU_DEP_1) | instskip(NEXT) | instid1(VALU_DEP_1)
	v_div_fixup_f32 v4, v4, v3, v2
	v_fmac_f32_e32 v3, v2, v4
	s_delay_alu instid0(VALU_DEP_1) | instskip(SKIP_1) | instid1(VALU_DEP_2)
	v_div_scale_f32 v2, null, v3, v3, 1.0
	v_div_scale_f32 v7, vcc_lo, 1.0, v3, 1.0
	v_rcp_f32_e32 v5, v2
	v_nop
	s_delay_alu instid0(TRANS32_DEP_1) | instskip(NEXT) | instid1(VALU_DEP_1)
	v_fma_f32 v6, -v2, v5, 1.0
	v_fmac_f32_e32 v5, v6, v5
	s_delay_alu instid0(VALU_DEP_1) | instskip(NEXT) | instid1(VALU_DEP_1)
	v_mul_f32_e32 v6, v7, v5
	v_fma_f32 v8, -v2, v6, v7
	s_delay_alu instid0(VALU_DEP_1) | instskip(NEXT) | instid1(VALU_DEP_1)
	v_fmac_f32_e32 v6, v8, v5
	v_fma_f32 v2, -v2, v6, v7
	s_delay_alu instid0(VALU_DEP_1) | instskip(NEXT) | instid1(VALU_DEP_1)
	v_div_fmas_f32 v2, v2, v5, v6
	v_div_fixup_f32 v2, v2, v3, 1.0
	s_delay_alu instid0(VALU_DEP_1)
	v_mul_f32_e32 v4, v4, v2
	v_xor_b32_e32 v5, 0x80000000, v2
                                        ; implicit-def: $vgpr2_vgpr3
.LBB127_437:
	s_and_not1_saveexec_b32 s1, s1
	s_cbranch_execz .LBB127_439
; %bb.438:
	v_div_scale_f32 v4, null, v2, v2, v3
	v_div_scale_f32 v7, vcc_lo, v3, v2, v3
	s_delay_alu instid0(VALU_DEP_2) | instskip(SKIP_1) | instid1(TRANS32_DEP_1)
	v_rcp_f32_e32 v5, v4
	v_nop
	v_fma_f32 v6, -v4, v5, 1.0
	s_delay_alu instid0(VALU_DEP_1) | instskip(NEXT) | instid1(VALU_DEP_1)
	v_fmac_f32_e32 v5, v6, v5
	v_mul_f32_e32 v6, v7, v5
	s_delay_alu instid0(VALU_DEP_1) | instskip(NEXT) | instid1(VALU_DEP_1)
	v_fma_f32 v8, -v4, v6, v7
	v_fmac_f32_e32 v6, v8, v5
	s_delay_alu instid0(VALU_DEP_1) | instskip(NEXT) | instid1(VALU_DEP_1)
	v_fma_f32 v4, -v4, v6, v7
	v_div_fmas_f32 v4, v4, v5, v6
	s_delay_alu instid0(VALU_DEP_1) | instskip(NEXT) | instid1(VALU_DEP_1)
	v_div_fixup_f32 v5, v4, v2, v3
	v_fmac_f32_e32 v2, v3, v5
	s_delay_alu instid0(VALU_DEP_1) | instskip(NEXT) | instid1(VALU_DEP_1)
	v_div_scale_f32 v3, null, v2, v2, 1.0
	v_rcp_f32_e32 v4, v3
	v_nop
	s_delay_alu instid0(TRANS32_DEP_1) | instskip(NEXT) | instid1(VALU_DEP_1)
	v_fma_f32 v6, -v3, v4, 1.0
	v_fmac_f32_e32 v4, v6, v4
	v_div_scale_f32 v6, vcc_lo, 1.0, v2, 1.0
	s_delay_alu instid0(VALU_DEP_1) | instskip(NEXT) | instid1(VALU_DEP_1)
	v_mul_f32_e32 v7, v6, v4
	v_fma_f32 v8, -v3, v7, v6
	s_delay_alu instid0(VALU_DEP_1) | instskip(NEXT) | instid1(VALU_DEP_1)
	v_fmac_f32_e32 v7, v8, v4
	v_fma_f32 v3, -v3, v7, v6
	s_delay_alu instid0(VALU_DEP_1) | instskip(NEXT) | instid1(VALU_DEP_1)
	v_div_fmas_f32 v3, v3, v4, v7
	v_div_fixup_f32 v4, v3, v2, 1.0
	s_delay_alu instid0(VALU_DEP_1)
	v_mul_f32_e64 v5, v5, -v4
.LBB127_439:
	s_or_b32 exec_lo, exec_lo, s1
	ds_store_b64 v19, v[4:5]
.LBB127_440:
	s_or_b32 exec_lo, exec_lo, s2
	s_wait_dscnt 0x0
	s_barrier_signal -1
	s_barrier_wait -1
	ds_load_b64 v[100:101], v19
	s_mov_b32 s1, exec_lo
	v_cmpx_lt_u32_e32 48, v18
	s_cbranch_execz .LBB127_442
; %bb.441:
	ds_load_2addr_b64 v[102:105], v126 offset0:49 offset1:50
	s_wait_dscnt 0x1
	v_pk_mul_f32 v[4:5], v[100:101], v[226:227] op_sel:[1,1] op_sel_hi:[0,1]
	s_delay_alu instid0(VALU_DEP_1) | instskip(SKIP_1) | instid1(VALU_DEP_1)
	v_pk_fma_f32 v[2:3], v[100:101], v[226:227], v[4:5] op_sel_hi:[1,0,1] neg_lo:[0,0,1] neg_hi:[0,0,1]
	v_pk_fma_f32 v[4:5], v[100:101], v[226:227], v[4:5] op_sel_hi:[1,0,1]
	v_dual_mov_b32 v226, v2 :: v_dual_mov_b32 v227, v5
	s_wait_dscnt 0x0
	s_delay_alu instid0(VALU_DEP_2) | instskip(NEXT) | instid1(VALU_DEP_1)
	v_pk_mul_f32 v[6:7], v[102:103], v[4:5] op_sel:[0,1]
	v_pk_fma_f32 v[106:107], v[102:103], v[2:3], v[6:7] op_sel:[0,0,1] op_sel_hi:[1,1,0] neg_lo:[0,0,1] neg_hi:[0,0,1]
	v_pk_fma_f32 v[6:7], v[102:103], v[2:3], v[6:7] op_sel:[0,0,1] op_sel_hi:[1,0,0]
	s_delay_alu instid0(VALU_DEP_1) | instskip(SKIP_1) | instid1(VALU_DEP_1)
	v_mov_b32_e32 v107, v7
	v_pk_mul_f32 v[6:7], v[104:105], v[4:5] op_sel:[0,1]
	v_pk_fma_f32 v[102:103], v[104:105], v[2:3], v[6:7] op_sel:[0,0,1] op_sel_hi:[1,1,0] neg_lo:[0,0,1] neg_hi:[0,0,1]
	v_pk_fma_f32 v[6:7], v[104:105], v[2:3], v[6:7] op_sel:[0,0,1] op_sel_hi:[1,0,0]
	s_delay_alu instid0(VALU_DEP_1) | instskip(SKIP_1) | instid1(VALU_DEP_2)
	v_mov_b32_e32 v103, v7
	v_pk_add_f32 v[228:229], v[228:229], v[106:107] neg_lo:[0,1] neg_hi:[0,1]
	v_pk_add_f32 v[230:231], v[230:231], v[102:103] neg_lo:[0,1] neg_hi:[0,1]
	ds_load_2addr_b64 v[102:105], v126 offset0:51 offset1:52
	s_wait_dscnt 0x0
	v_pk_mul_f32 v[6:7], v[102:103], v[4:5] op_sel:[0,1]
	s_delay_alu instid0(VALU_DEP_1) | instskip(SKIP_2) | instid1(VALU_DEP_2)
	v_pk_fma_f32 v[106:107], v[102:103], v[2:3], v[6:7] op_sel:[0,0,1] op_sel_hi:[1,1,0] neg_lo:[0,0,1] neg_hi:[0,0,1]
	v_pk_fma_f32 v[6:7], v[102:103], v[2:3], v[6:7] op_sel:[0,0,1] op_sel_hi:[1,0,0]
	v_dual_mul_f32 v102, v105, v5 :: v_dual_mov_b32 v6, v105
	v_dual_mov_b32 v107, v7 :: v_dual_mov_b32 v7, v104
	s_delay_alu instid0(VALU_DEP_2) | instskip(SKIP_1) | instid1(VALU_DEP_3)
	v_pk_fma_f32 v[102:103], v[104:105], v[226:227], v[102:103] op_sel_hi:[1,1,0] neg_lo:[0,0,1] neg_hi:[0,0,1]
	v_mul_f32_e32 v104, v105, v2
	v_pk_add_f32 v[232:233], v[232:233], v[106:107] neg_lo:[0,1] neg_hi:[0,1]
	s_delay_alu instid0(VALU_DEP_2) | instskip(NEXT) | instid1(VALU_DEP_1)
	v_pk_fma_f32 v[6:7], v[6:7], v[226:227], v[104:105] op_sel_hi:[1,1,0]
	v_mov_b32_e32 v103, v7
	s_delay_alu instid0(VALU_DEP_1) | instskip(SKIP_3) | instid1(VALU_DEP_1)
	v_pk_add_f32 v[234:235], v[234:235], v[102:103] neg_lo:[0,1] neg_hi:[0,1]
	ds_load_2addr_b64 v[102:105], v126 offset0:53 offset1:54
	s_wait_dscnt 0x0
	v_pk_mul_f32 v[6:7], v[102:103], v[4:5] op_sel:[0,1]
	v_pk_fma_f32 v[106:107], v[102:103], v[2:3], v[6:7] op_sel:[0,0,1] op_sel_hi:[1,1,0] neg_lo:[0,0,1] neg_hi:[0,0,1]
	v_pk_fma_f32 v[6:7], v[102:103], v[2:3], v[6:7] op_sel:[0,0,1] op_sel_hi:[1,0,0]
	s_delay_alu instid0(VALU_DEP_1) | instskip(SKIP_1) | instid1(VALU_DEP_1)
	v_mov_b32_e32 v107, v7
	v_pk_mul_f32 v[6:7], v[104:105], v[4:5] op_sel:[0,1]
	v_pk_fma_f32 v[102:103], v[104:105], v[2:3], v[6:7] op_sel:[0,0,1] op_sel_hi:[1,1,0] neg_lo:[0,0,1] neg_hi:[0,0,1]
	v_pk_fma_f32 v[6:7], v[104:105], v[2:3], v[6:7] op_sel:[0,0,1] op_sel_hi:[1,0,0]
	s_delay_alu instid0(VALU_DEP_1) | instskip(SKIP_1) | instid1(VALU_DEP_2)
	v_mov_b32_e32 v103, v7
	v_pk_add_f32 v[236:237], v[236:237], v[106:107] neg_lo:[0,1] neg_hi:[0,1]
	v_pk_add_f32 v[238:239], v[238:239], v[102:103] neg_lo:[0,1] neg_hi:[0,1]
	ds_load_2addr_b64 v[102:105], v126 offset0:55 offset1:56
	s_wait_dscnt 0x0
	v_pk_mul_f32 v[6:7], v[102:103], v[4:5] op_sel:[0,1]
	s_delay_alu instid0(VALU_DEP_1) | instskip(SKIP_1) | instid1(VALU_DEP_1)
	v_pk_fma_f32 v[106:107], v[102:103], v[2:3], v[6:7] op_sel:[0,0,1] op_sel_hi:[1,1,0] neg_lo:[0,0,1] neg_hi:[0,0,1]
	v_pk_fma_f32 v[6:7], v[102:103], v[2:3], v[6:7] op_sel:[0,0,1] op_sel_hi:[1,0,0]
	v_mov_b32_e32 v107, v7
	v_pk_mul_f32 v[6:7], v[104:105], v[4:5] op_sel:[0,1]
	s_delay_alu instid0(VALU_DEP_1) | instskip(SKIP_1) | instid1(VALU_DEP_1)
	v_pk_fma_f32 v[102:103], v[104:105], v[2:3], v[6:7] op_sel:[0,0,1] op_sel_hi:[1,1,0] neg_lo:[0,0,1] neg_hi:[0,0,1]
	v_pk_fma_f32 v[6:7], v[104:105], v[2:3], v[6:7] op_sel:[0,0,1] op_sel_hi:[1,0,0]
	v_mov_b32_e32 v103, v7
	v_pk_add_f32 v[240:241], v[240:241], v[106:107] neg_lo:[0,1] neg_hi:[0,1]
	s_delay_alu instid0(VALU_DEP_2) | instskip(SKIP_3) | instid1(VALU_DEP_1)
	v_pk_add_f32 v[252:253], v[252:253], v[102:103] neg_lo:[0,1] neg_hi:[0,1]
	ds_load_2addr_b64 v[102:105], v126 offset0:57 offset1:58
	s_wait_dscnt 0x0
	v_dual_mul_f32 v6, v103, v5 :: v_dual_mul_f32 v106, v103, v2
	v_pk_fma_f32 v[6:7], v[102:103], v[226:227], v[6:7] op_sel_hi:[1,1,0] neg_lo:[0,0,1] neg_hi:[0,0,1]
	s_delay_alu instid0(VALU_DEP_2) | instskip(NEXT) | instid1(VALU_DEP_1)
	v_pk_fma_f32 v[102:103], v[102:103], v[226:227], v[106:107] op_sel:[1,0,0] op_sel_hi:[0,1,0]
	v_mov_b32_e32 v7, v103
	s_delay_alu instid0(VALU_DEP_1) | instskip(SKIP_1) | instid1(VALU_DEP_1)
	v_pk_add_f32 v[246:247], v[246:247], v[6:7] neg_lo:[0,1] neg_hi:[0,1]
	v_pk_mul_f32 v[6:7], v[104:105], v[4:5] op_sel:[0,1]
	v_pk_fma_f32 v[102:103], v[104:105], v[2:3], v[6:7] op_sel:[0,0,1] op_sel_hi:[1,1,0] neg_lo:[0,0,1] neg_hi:[0,0,1]
	v_pk_fma_f32 v[6:7], v[104:105], v[2:3], v[6:7] op_sel:[0,0,1] op_sel_hi:[1,0,0]
	s_delay_alu instid0(VALU_DEP_1) | instskip(NEXT) | instid1(VALU_DEP_1)
	v_mov_b32_e32 v103, v7
	v_pk_add_f32 v[250:251], v[250:251], v[102:103] neg_lo:[0,1] neg_hi:[0,1]
	ds_load_2addr_b64 v[102:105], v126 offset0:59 offset1:60
	s_wait_dscnt 0x0
	v_pk_mul_f32 v[6:7], v[102:103], v[4:5] op_sel:[0,1]
	s_delay_alu instid0(VALU_DEP_1) | instskip(SKIP_1) | instid1(VALU_DEP_1)
	v_pk_fma_f32 v[106:107], v[102:103], v[2:3], v[6:7] op_sel:[0,0,1] op_sel_hi:[1,1,0] neg_lo:[0,0,1] neg_hi:[0,0,1]
	v_pk_fma_f32 v[6:7], v[102:103], v[2:3], v[6:7] op_sel:[0,0,1] op_sel_hi:[1,0,0]
	v_mov_b32_e32 v107, v7
	v_pk_mul_f32 v[6:7], v[104:105], v[4:5] op_sel:[0,1]
	s_delay_alu instid0(VALU_DEP_2) | instskip(NEXT) | instid1(VALU_DEP_2)
	v_pk_add_f32 v[244:245], v[244:245], v[106:107] neg_lo:[0,1] neg_hi:[0,1]
	v_pk_fma_f32 v[102:103], v[104:105], v[2:3], v[6:7] op_sel:[0,0,1] op_sel_hi:[1,1,0] neg_lo:[0,0,1] neg_hi:[0,0,1]
	v_pk_fma_f32 v[6:7], v[104:105], v[2:3], v[6:7] op_sel:[0,0,1] op_sel_hi:[1,0,0]
	s_delay_alu instid0(VALU_DEP_1) | instskip(NEXT) | instid1(VALU_DEP_1)
	v_mov_b32_e32 v103, v7
	v_pk_add_f32 v[248:249], v[248:249], v[102:103] neg_lo:[0,1] neg_hi:[0,1]
	ds_load_2addr_b64 v[102:105], v126 offset0:61 offset1:62
	s_wait_dscnt 0x0
	v_pk_mul_f32 v[6:7], v[102:103], v[4:5] op_sel:[0,1]
	s_delay_alu instid0(VALU_DEP_1) | instskip(SKIP_2) | instid1(VALU_DEP_2)
	v_pk_fma_f32 v[106:107], v[102:103], v[2:3], v[6:7] op_sel:[0,0,1] op_sel_hi:[1,1,0] neg_lo:[0,0,1] neg_hi:[0,0,1]
	v_pk_fma_f32 v[6:7], v[102:103], v[2:3], v[6:7] op_sel:[0,0,1] op_sel_hi:[1,0,0]
	v_dual_mul_f32 v102, v105, v5 :: v_dual_mov_b32 v6, v105
	v_dual_mov_b32 v107, v7 :: v_dual_mov_b32 v7, v104
	s_delay_alu instid0(VALU_DEP_2) | instskip(SKIP_1) | instid1(VALU_DEP_3)
	v_pk_fma_f32 v[102:103], v[104:105], v[226:227], v[102:103] op_sel_hi:[1,1,0] neg_lo:[0,0,1] neg_hi:[0,0,1]
	v_mul_f32_e32 v104, v105, v2
	v_pk_add_f32 v[242:243], v[242:243], v[106:107] neg_lo:[0,1] neg_hi:[0,1]
	s_delay_alu instid0(VALU_DEP_2) | instskip(NEXT) | instid1(VALU_DEP_1)
	v_pk_fma_f32 v[6:7], v[6:7], v[226:227], v[104:105] op_sel_hi:[1,1,0]
	v_mov_b32_e32 v103, v7
	ds_load_b64 v[6:7], v126 offset:504
	v_pk_add_f32 v[254:255], v[254:255], v[102:103] neg_lo:[0,1] neg_hi:[0,1]
	s_wait_dscnt 0x0
	v_pk_mul_f32 v[4:5], v[6:7], v[4:5] op_sel:[0,1]
	s_delay_alu instid0(VALU_DEP_1) | instskip(SKIP_1) | instid1(VALU_DEP_1)
	v_pk_fma_f32 v[102:103], v[6:7], v[2:3], v[4:5] op_sel:[0,0,1] op_sel_hi:[1,1,0] neg_lo:[0,0,1] neg_hi:[0,0,1]
	v_pk_fma_f32 v[2:3], v[6:7], v[2:3], v[4:5] op_sel:[0,0,1] op_sel_hi:[1,0,0]
	v_mov_b32_e32 v103, v3
	s_delay_alu instid0(VALU_DEP_1)
	v_pk_add_f32 v[0:1], v[0:1], v[102:103] neg_lo:[0,1] neg_hi:[0,1]
.LBB127_442:
	s_or_b32 exec_lo, exec_lo, s1
	s_delay_alu instid0(SALU_CYCLE_1)
	s_mov_b32 s2, exec_lo
	s_wait_dscnt 0x0
	s_barrier_signal -1
	s_barrier_wait -1
	v_cmpx_eq_u32_e32 49, v18
	s_cbranch_execz .LBB127_449
; %bb.443:
	v_dual_mov_b32 v2, v230 :: v_dual_mov_b32 v3, v231
	v_dual_mov_b32 v4, v232 :: v_dual_mov_b32 v5, v233
	ds_store_b64 v19, v[228:229]
	ds_store_2addr_b64 v126, v[2:3], v[4:5] offset0:50 offset1:51
	v_dual_mov_b32 v2, v234 :: v_dual_mov_b32 v3, v235
	v_dual_mov_b32 v4, v236 :: v_dual_mov_b32 v5, v237
	ds_store_2addr_b64 v126, v[2:3], v[4:5] offset0:52 offset1:53
	v_dual_mov_b32 v2, v238 :: v_dual_mov_b32 v3, v239
	v_dual_mov_b32 v4, v240 :: v_dual_mov_b32 v5, v241
	;; [unrolled: 3-line block ×5, first 2 shown]
	ds_store_2addr_b64 v126, v[2:3], v[4:5] offset0:60 offset1:61
	v_dual_mov_b32 v2, v254 :: v_dual_mov_b32 v3, v255
	ds_store_2addr_b64 v126, v[2:3], v[0:1] offset0:62 offset1:63
	ds_load_b64 v[2:3], v19
	s_wait_dscnt 0x0
	v_cmp_neq_f32_e32 vcc_lo, 0, v2
	v_cmp_neq_f32_e64 s1, 0, v3
	s_or_b32 s1, vcc_lo, s1
	s_delay_alu instid0(SALU_CYCLE_1)
	s_and_b32 exec_lo, exec_lo, s1
	s_cbranch_execz .LBB127_449
; %bb.444:
	v_cmp_ngt_f32_e64 s1, |v2|, |v3|
                                        ; implicit-def: $vgpr4_vgpr5
	s_and_saveexec_b32 s4, s1
	s_delay_alu instid0(SALU_CYCLE_1)
	s_xor_b32 s1, exec_lo, s4
	s_cbranch_execz .LBB127_446
; %bb.445:
	v_div_scale_f32 v4, null, v3, v3, v2
	v_div_scale_f32 v7, vcc_lo, v2, v3, v2
	s_delay_alu instid0(VALU_DEP_2) | instskip(SKIP_1) | instid1(TRANS32_DEP_1)
	v_rcp_f32_e32 v5, v4
	v_nop
	v_fma_f32 v6, -v4, v5, 1.0
	s_delay_alu instid0(VALU_DEP_1) | instskip(NEXT) | instid1(VALU_DEP_1)
	v_fmac_f32_e32 v5, v6, v5
	v_mul_f32_e32 v6, v7, v5
	s_delay_alu instid0(VALU_DEP_1) | instskip(NEXT) | instid1(VALU_DEP_1)
	v_fma_f32 v8, -v4, v6, v7
	v_fmac_f32_e32 v6, v8, v5
	s_delay_alu instid0(VALU_DEP_1) | instskip(NEXT) | instid1(VALU_DEP_1)
	v_fma_f32 v4, -v4, v6, v7
	v_div_fmas_f32 v4, v4, v5, v6
	s_delay_alu instid0(VALU_DEP_1) | instskip(NEXT) | instid1(VALU_DEP_1)
	v_div_fixup_f32 v4, v4, v3, v2
	v_fmac_f32_e32 v3, v2, v4
	s_delay_alu instid0(VALU_DEP_1) | instskip(SKIP_1) | instid1(VALU_DEP_2)
	v_div_scale_f32 v2, null, v3, v3, 1.0
	v_div_scale_f32 v7, vcc_lo, 1.0, v3, 1.0
	v_rcp_f32_e32 v5, v2
	v_nop
	s_delay_alu instid0(TRANS32_DEP_1) | instskip(NEXT) | instid1(VALU_DEP_1)
	v_fma_f32 v6, -v2, v5, 1.0
	v_fmac_f32_e32 v5, v6, v5
	s_delay_alu instid0(VALU_DEP_1) | instskip(NEXT) | instid1(VALU_DEP_1)
	v_mul_f32_e32 v6, v7, v5
	v_fma_f32 v8, -v2, v6, v7
	s_delay_alu instid0(VALU_DEP_1) | instskip(NEXT) | instid1(VALU_DEP_1)
	v_fmac_f32_e32 v6, v8, v5
	v_fma_f32 v2, -v2, v6, v7
	s_delay_alu instid0(VALU_DEP_1) | instskip(NEXT) | instid1(VALU_DEP_1)
	v_div_fmas_f32 v2, v2, v5, v6
	v_div_fixup_f32 v2, v2, v3, 1.0
	s_delay_alu instid0(VALU_DEP_1)
	v_mul_f32_e32 v4, v4, v2
	v_xor_b32_e32 v5, 0x80000000, v2
                                        ; implicit-def: $vgpr2_vgpr3
.LBB127_446:
	s_and_not1_saveexec_b32 s1, s1
	s_cbranch_execz .LBB127_448
; %bb.447:
	v_div_scale_f32 v4, null, v2, v2, v3
	v_div_scale_f32 v7, vcc_lo, v3, v2, v3
	s_delay_alu instid0(VALU_DEP_2) | instskip(SKIP_1) | instid1(TRANS32_DEP_1)
	v_rcp_f32_e32 v5, v4
	v_nop
	v_fma_f32 v6, -v4, v5, 1.0
	s_delay_alu instid0(VALU_DEP_1) | instskip(NEXT) | instid1(VALU_DEP_1)
	v_fmac_f32_e32 v5, v6, v5
	v_mul_f32_e32 v6, v7, v5
	s_delay_alu instid0(VALU_DEP_1) | instskip(NEXT) | instid1(VALU_DEP_1)
	v_fma_f32 v8, -v4, v6, v7
	v_fmac_f32_e32 v6, v8, v5
	s_delay_alu instid0(VALU_DEP_1) | instskip(NEXT) | instid1(VALU_DEP_1)
	v_fma_f32 v4, -v4, v6, v7
	v_div_fmas_f32 v4, v4, v5, v6
	s_delay_alu instid0(VALU_DEP_1) | instskip(NEXT) | instid1(VALU_DEP_1)
	v_div_fixup_f32 v5, v4, v2, v3
	v_fmac_f32_e32 v2, v3, v5
	s_delay_alu instid0(VALU_DEP_1) | instskip(NEXT) | instid1(VALU_DEP_1)
	v_div_scale_f32 v3, null, v2, v2, 1.0
	v_rcp_f32_e32 v4, v3
	v_nop
	s_delay_alu instid0(TRANS32_DEP_1) | instskip(NEXT) | instid1(VALU_DEP_1)
	v_fma_f32 v6, -v3, v4, 1.0
	v_fmac_f32_e32 v4, v6, v4
	v_div_scale_f32 v6, vcc_lo, 1.0, v2, 1.0
	s_delay_alu instid0(VALU_DEP_1) | instskip(NEXT) | instid1(VALU_DEP_1)
	v_mul_f32_e32 v7, v6, v4
	v_fma_f32 v8, -v3, v7, v6
	s_delay_alu instid0(VALU_DEP_1) | instskip(NEXT) | instid1(VALU_DEP_1)
	v_fmac_f32_e32 v7, v8, v4
	v_fma_f32 v3, -v3, v7, v6
	s_delay_alu instid0(VALU_DEP_1) | instskip(NEXT) | instid1(VALU_DEP_1)
	v_div_fmas_f32 v3, v3, v4, v7
	v_div_fixup_f32 v4, v3, v2, 1.0
	s_delay_alu instid0(VALU_DEP_1)
	v_mul_f32_e64 v5, v5, -v4
.LBB127_448:
	s_or_b32 exec_lo, exec_lo, s1
	ds_store_b64 v19, v[4:5]
.LBB127_449:
	s_or_b32 exec_lo, exec_lo, s2
	s_wait_dscnt 0x0
	s_barrier_signal -1
	s_barrier_wait -1
	ds_load_b64 v[102:103], v19
	s_mov_b32 s1, exec_lo
	v_cmpx_lt_u32_e32 49, v18
	s_cbranch_execz .LBB127_451
; %bb.450:
	ds_load_2addr_b64 v[104:107], v126 offset0:50 offset1:51
	s_wait_dscnt 0x1
	v_pk_mul_f32 v[4:5], v[102:103], v[228:229] op_sel:[1,1] op_sel_hi:[0,1]
	s_delay_alu instid0(VALU_DEP_1) | instskip(SKIP_1) | instid1(VALU_DEP_1)
	v_pk_fma_f32 v[2:3], v[102:103], v[228:229], v[4:5] op_sel_hi:[1,0,1] neg_lo:[0,0,1] neg_hi:[0,0,1]
	v_pk_fma_f32 v[4:5], v[102:103], v[228:229], v[4:5] op_sel_hi:[1,0,1]
	v_dual_mov_b32 v228, v2 :: v_dual_mov_b32 v229, v5
	s_wait_dscnt 0x0
	s_delay_alu instid0(VALU_DEP_2) | instskip(NEXT) | instid1(VALU_DEP_1)
	v_pk_mul_f32 v[6:7], v[104:105], v[4:5] op_sel:[0,1]
	v_pk_fma_f32 v[108:109], v[104:105], v[2:3], v[6:7] op_sel:[0,0,1] op_sel_hi:[1,1,0] neg_lo:[0,0,1] neg_hi:[0,0,1]
	v_pk_fma_f32 v[6:7], v[104:105], v[2:3], v[6:7] op_sel:[0,0,1] op_sel_hi:[1,0,0]
	s_delay_alu instid0(VALU_DEP_1) | instskip(SKIP_1) | instid1(VALU_DEP_1)
	v_mov_b32_e32 v109, v7
	v_pk_mul_f32 v[6:7], v[106:107], v[4:5] op_sel:[0,1]
	v_pk_fma_f32 v[104:105], v[106:107], v[2:3], v[6:7] op_sel:[0,0,1] op_sel_hi:[1,1,0] neg_lo:[0,0,1] neg_hi:[0,0,1]
	v_pk_fma_f32 v[6:7], v[106:107], v[2:3], v[6:7] op_sel:[0,0,1] op_sel_hi:[1,0,0]
	s_delay_alu instid0(VALU_DEP_1) | instskip(SKIP_1) | instid1(VALU_DEP_2)
	v_mov_b32_e32 v105, v7
	v_pk_add_f32 v[230:231], v[230:231], v[108:109] neg_lo:[0,1] neg_hi:[0,1]
	v_pk_add_f32 v[232:233], v[232:233], v[104:105] neg_lo:[0,1] neg_hi:[0,1]
	ds_load_2addr_b64 v[104:107], v126 offset0:52 offset1:53
	s_wait_dscnt 0x0
	v_pk_mul_f32 v[6:7], v[104:105], v[4:5] op_sel:[0,1]
	s_delay_alu instid0(VALU_DEP_1) | instskip(SKIP_2) | instid1(VALU_DEP_2)
	v_pk_fma_f32 v[108:109], v[104:105], v[2:3], v[6:7] op_sel:[0,0,1] op_sel_hi:[1,1,0] neg_lo:[0,0,1] neg_hi:[0,0,1]
	v_pk_fma_f32 v[6:7], v[104:105], v[2:3], v[6:7] op_sel:[0,0,1] op_sel_hi:[1,0,0]
	v_dual_mul_f32 v104, v107, v5 :: v_dual_mov_b32 v6, v107
	v_dual_mov_b32 v109, v7 :: v_dual_mov_b32 v7, v106
	s_delay_alu instid0(VALU_DEP_2) | instskip(SKIP_1) | instid1(VALU_DEP_3)
	v_pk_fma_f32 v[104:105], v[106:107], v[228:229], v[104:105] op_sel_hi:[1,1,0] neg_lo:[0,0,1] neg_hi:[0,0,1]
	v_mul_f32_e32 v106, v107, v2
	v_pk_add_f32 v[234:235], v[234:235], v[108:109] neg_lo:[0,1] neg_hi:[0,1]
	s_delay_alu instid0(VALU_DEP_2) | instskip(NEXT) | instid1(VALU_DEP_1)
	v_pk_fma_f32 v[6:7], v[6:7], v[228:229], v[106:107] op_sel_hi:[1,1,0]
	v_mov_b32_e32 v105, v7
	s_delay_alu instid0(VALU_DEP_1) | instskip(SKIP_3) | instid1(VALU_DEP_1)
	v_pk_add_f32 v[236:237], v[236:237], v[104:105] neg_lo:[0,1] neg_hi:[0,1]
	ds_load_2addr_b64 v[104:107], v126 offset0:54 offset1:55
	s_wait_dscnt 0x0
	v_pk_mul_f32 v[6:7], v[104:105], v[4:5] op_sel:[0,1]
	v_pk_fma_f32 v[108:109], v[104:105], v[2:3], v[6:7] op_sel:[0,0,1] op_sel_hi:[1,1,0] neg_lo:[0,0,1] neg_hi:[0,0,1]
	v_pk_fma_f32 v[6:7], v[104:105], v[2:3], v[6:7] op_sel:[0,0,1] op_sel_hi:[1,0,0]
	s_delay_alu instid0(VALU_DEP_1) | instskip(SKIP_1) | instid1(VALU_DEP_2)
	v_mov_b32_e32 v109, v7
	v_pk_mul_f32 v[6:7], v[106:107], v[4:5] op_sel:[0,1]
	v_pk_add_f32 v[238:239], v[238:239], v[108:109] neg_lo:[0,1] neg_hi:[0,1]
	s_delay_alu instid0(VALU_DEP_2) | instskip(SKIP_1) | instid1(VALU_DEP_1)
	v_pk_fma_f32 v[104:105], v[106:107], v[2:3], v[6:7] op_sel:[0,0,1] op_sel_hi:[1,1,0] neg_lo:[0,0,1] neg_hi:[0,0,1]
	v_pk_fma_f32 v[6:7], v[106:107], v[2:3], v[6:7] op_sel:[0,0,1] op_sel_hi:[1,0,0]
	v_mov_b32_e32 v105, v7
	s_delay_alu instid0(VALU_DEP_1) | instskip(SKIP_3) | instid1(VALU_DEP_1)
	v_pk_add_f32 v[240:241], v[240:241], v[104:105] neg_lo:[0,1] neg_hi:[0,1]
	ds_load_2addr_b64 v[104:107], v126 offset0:56 offset1:57
	s_wait_dscnt 0x0
	v_pk_mul_f32 v[6:7], v[104:105], v[4:5] op_sel:[0,1]
	v_pk_fma_f32 v[108:109], v[104:105], v[2:3], v[6:7] op_sel:[0,0,1] op_sel_hi:[1,1,0] neg_lo:[0,0,1] neg_hi:[0,0,1]
	v_pk_fma_f32 v[6:7], v[104:105], v[2:3], v[6:7] op_sel:[0,0,1] op_sel_hi:[1,0,0]
	s_delay_alu instid0(VALU_DEP_1) | instskip(SKIP_1) | instid1(VALU_DEP_2)
	v_mov_b32_e32 v109, v7
	v_pk_mul_f32 v[6:7], v[106:107], v[4:5] op_sel:[0,1]
	v_pk_add_f32 v[252:253], v[252:253], v[108:109] neg_lo:[0,1] neg_hi:[0,1]
	s_delay_alu instid0(VALU_DEP_2) | instskip(SKIP_1) | instid1(VALU_DEP_1)
	v_pk_fma_f32 v[104:105], v[106:107], v[2:3], v[6:7] op_sel:[0,0,1] op_sel_hi:[1,1,0] neg_lo:[0,0,1] neg_hi:[0,0,1]
	v_pk_fma_f32 v[6:7], v[106:107], v[2:3], v[6:7] op_sel:[0,0,1] op_sel_hi:[1,0,0]
	v_mov_b32_e32 v105, v7
	s_delay_alu instid0(VALU_DEP_1) | instskip(SKIP_3) | instid1(VALU_DEP_1)
	v_pk_add_f32 v[246:247], v[246:247], v[104:105] neg_lo:[0,1] neg_hi:[0,1]
	ds_load_2addr_b64 v[104:107], v126 offset0:58 offset1:59
	s_wait_dscnt 0x0
	v_dual_mul_f32 v6, v105, v5 :: v_dual_mul_f32 v108, v105, v2
	v_pk_fma_f32 v[6:7], v[104:105], v[228:229], v[6:7] op_sel_hi:[1,1,0] neg_lo:[0,0,1] neg_hi:[0,0,1]
	s_delay_alu instid0(VALU_DEP_2) | instskip(NEXT) | instid1(VALU_DEP_1)
	v_pk_fma_f32 v[104:105], v[104:105], v[228:229], v[108:109] op_sel:[1,0,0] op_sel_hi:[0,1,0]
	v_mov_b32_e32 v7, v105
	s_delay_alu instid0(VALU_DEP_1) | instskip(SKIP_1) | instid1(VALU_DEP_1)
	v_pk_add_f32 v[250:251], v[250:251], v[6:7] neg_lo:[0,1] neg_hi:[0,1]
	v_pk_mul_f32 v[6:7], v[106:107], v[4:5] op_sel:[0,1]
	v_pk_fma_f32 v[104:105], v[106:107], v[2:3], v[6:7] op_sel:[0,0,1] op_sel_hi:[1,1,0] neg_lo:[0,0,1] neg_hi:[0,0,1]
	v_pk_fma_f32 v[6:7], v[106:107], v[2:3], v[6:7] op_sel:[0,0,1] op_sel_hi:[1,0,0]
	s_delay_alu instid0(VALU_DEP_1) | instskip(NEXT) | instid1(VALU_DEP_1)
	v_mov_b32_e32 v105, v7
	v_pk_add_f32 v[244:245], v[244:245], v[104:105] neg_lo:[0,1] neg_hi:[0,1]
	ds_load_2addr_b64 v[104:107], v126 offset0:60 offset1:61
	s_wait_dscnt 0x0
	v_pk_mul_f32 v[6:7], v[104:105], v[4:5] op_sel:[0,1]
	s_delay_alu instid0(VALU_DEP_1) | instskip(SKIP_1) | instid1(VALU_DEP_1)
	v_pk_fma_f32 v[108:109], v[104:105], v[2:3], v[6:7] op_sel:[0,0,1] op_sel_hi:[1,1,0] neg_lo:[0,0,1] neg_hi:[0,0,1]
	v_pk_fma_f32 v[6:7], v[104:105], v[2:3], v[6:7] op_sel:[0,0,1] op_sel_hi:[1,0,0]
	v_mov_b32_e32 v109, v7
	v_pk_mul_f32 v[6:7], v[106:107], v[4:5] op_sel:[0,1]
	s_delay_alu instid0(VALU_DEP_2) | instskip(NEXT) | instid1(VALU_DEP_2)
	v_pk_add_f32 v[248:249], v[248:249], v[108:109] neg_lo:[0,1] neg_hi:[0,1]
	v_pk_fma_f32 v[104:105], v[106:107], v[2:3], v[6:7] op_sel:[0,0,1] op_sel_hi:[1,1,0] neg_lo:[0,0,1] neg_hi:[0,0,1]
	v_pk_fma_f32 v[6:7], v[106:107], v[2:3], v[6:7] op_sel:[0,0,1] op_sel_hi:[1,0,0]
	s_delay_alu instid0(VALU_DEP_1) | instskip(NEXT) | instid1(VALU_DEP_1)
	v_mov_b32_e32 v105, v7
	v_pk_add_f32 v[242:243], v[242:243], v[104:105] neg_lo:[0,1] neg_hi:[0,1]
	ds_load_2addr_b64 v[104:107], v126 offset0:62 offset1:63
	s_wait_dscnt 0x0
	v_pk_mul_f32 v[6:7], v[104:105], v[4:5] op_sel:[0,1]
	v_pk_mul_f32 v[4:5], v[106:107], v[4:5] op_sel:[0,1]
	s_delay_alu instid0(VALU_DEP_2) | instskip(SKIP_1) | instid1(VALU_DEP_1)
	v_pk_fma_f32 v[108:109], v[104:105], v[2:3], v[6:7] op_sel:[0,0,1] op_sel_hi:[1,1,0] neg_lo:[0,0,1] neg_hi:[0,0,1]
	v_pk_fma_f32 v[6:7], v[104:105], v[2:3], v[6:7] op_sel:[0,0,1] op_sel_hi:[1,0,0]
	v_mov_b32_e32 v109, v7
	s_delay_alu instid0(VALU_DEP_4) | instskip(SKIP_1) | instid1(VALU_DEP_3)
	v_pk_fma_f32 v[6:7], v[106:107], v[2:3], v[4:5] op_sel:[0,0,1] op_sel_hi:[1,1,0] neg_lo:[0,0,1] neg_hi:[0,0,1]
	v_pk_fma_f32 v[2:3], v[106:107], v[2:3], v[4:5] op_sel:[0,0,1] op_sel_hi:[1,0,0]
	v_pk_add_f32 v[254:255], v[254:255], v[108:109] neg_lo:[0,1] neg_hi:[0,1]
	s_delay_alu instid0(VALU_DEP_2) | instskip(NEXT) | instid1(VALU_DEP_1)
	v_mov_b32_e32 v7, v3
	v_pk_add_f32 v[0:1], v[0:1], v[6:7] neg_lo:[0,1] neg_hi:[0,1]
.LBB127_451:
	s_or_b32 exec_lo, exec_lo, s1
	s_delay_alu instid0(SALU_CYCLE_1)
	s_mov_b32 s2, exec_lo
	s_wait_dscnt 0x0
	s_barrier_signal -1
	s_barrier_wait -1
	v_cmpx_eq_u32_e32 50, v18
	s_cbranch_execz .LBB127_458
; %bb.452:
	ds_store_b64 v19, v[230:231]
	ds_store_2addr_b64 v126, v[232:233], v[234:235] offset0:51 offset1:52
	ds_store_2addr_b64 v126, v[236:237], v[238:239] offset0:53 offset1:54
	ds_store_2addr_b64 v126, v[240:241], v[252:253] offset0:55 offset1:56
	ds_store_2addr_b64 v126, v[246:247], v[250:251] offset0:57 offset1:58
	ds_store_2addr_b64 v126, v[244:245], v[248:249] offset0:59 offset1:60
	ds_store_2addr_b64 v126, v[242:243], v[254:255] offset0:61 offset1:62
	ds_store_b64 v126, v[0:1] offset:504
	ds_load_b64 v[2:3], v19
	s_wait_dscnt 0x0
	v_cmp_neq_f32_e32 vcc_lo, 0, v2
	v_cmp_neq_f32_e64 s1, 0, v3
	s_or_b32 s1, vcc_lo, s1
	s_delay_alu instid0(SALU_CYCLE_1)
	s_and_b32 exec_lo, exec_lo, s1
	s_cbranch_execz .LBB127_458
; %bb.453:
	v_cmp_ngt_f32_e64 s1, |v2|, |v3|
                                        ; implicit-def: $vgpr4_vgpr5
	s_and_saveexec_b32 s4, s1
	s_delay_alu instid0(SALU_CYCLE_1)
	s_xor_b32 s1, exec_lo, s4
	s_cbranch_execz .LBB127_455
; %bb.454:
	v_div_scale_f32 v4, null, v3, v3, v2
	v_div_scale_f32 v7, vcc_lo, v2, v3, v2
	s_delay_alu instid0(VALU_DEP_2) | instskip(SKIP_1) | instid1(TRANS32_DEP_1)
	v_rcp_f32_e32 v5, v4
	v_nop
	v_fma_f32 v6, -v4, v5, 1.0
	s_delay_alu instid0(VALU_DEP_1) | instskip(NEXT) | instid1(VALU_DEP_1)
	v_fmac_f32_e32 v5, v6, v5
	v_mul_f32_e32 v6, v7, v5
	s_delay_alu instid0(VALU_DEP_1) | instskip(NEXT) | instid1(VALU_DEP_1)
	v_fma_f32 v8, -v4, v6, v7
	v_fmac_f32_e32 v6, v8, v5
	s_delay_alu instid0(VALU_DEP_1) | instskip(NEXT) | instid1(VALU_DEP_1)
	v_fma_f32 v4, -v4, v6, v7
	v_div_fmas_f32 v4, v4, v5, v6
	s_delay_alu instid0(VALU_DEP_1) | instskip(NEXT) | instid1(VALU_DEP_1)
	v_div_fixup_f32 v4, v4, v3, v2
	v_fmac_f32_e32 v3, v2, v4
	s_delay_alu instid0(VALU_DEP_1) | instskip(SKIP_1) | instid1(VALU_DEP_2)
	v_div_scale_f32 v2, null, v3, v3, 1.0
	v_div_scale_f32 v7, vcc_lo, 1.0, v3, 1.0
	v_rcp_f32_e32 v5, v2
	v_nop
	s_delay_alu instid0(TRANS32_DEP_1) | instskip(NEXT) | instid1(VALU_DEP_1)
	v_fma_f32 v6, -v2, v5, 1.0
	v_fmac_f32_e32 v5, v6, v5
	s_delay_alu instid0(VALU_DEP_1) | instskip(NEXT) | instid1(VALU_DEP_1)
	v_mul_f32_e32 v6, v7, v5
	v_fma_f32 v8, -v2, v6, v7
	s_delay_alu instid0(VALU_DEP_1) | instskip(NEXT) | instid1(VALU_DEP_1)
	v_fmac_f32_e32 v6, v8, v5
	v_fma_f32 v2, -v2, v6, v7
	s_delay_alu instid0(VALU_DEP_1) | instskip(NEXT) | instid1(VALU_DEP_1)
	v_div_fmas_f32 v2, v2, v5, v6
	v_div_fixup_f32 v2, v2, v3, 1.0
	s_delay_alu instid0(VALU_DEP_1)
	v_mul_f32_e32 v4, v4, v2
	v_xor_b32_e32 v5, 0x80000000, v2
                                        ; implicit-def: $vgpr2_vgpr3
.LBB127_455:
	s_and_not1_saveexec_b32 s1, s1
	s_cbranch_execz .LBB127_457
; %bb.456:
	v_div_scale_f32 v4, null, v2, v2, v3
	v_div_scale_f32 v7, vcc_lo, v3, v2, v3
	s_delay_alu instid0(VALU_DEP_2) | instskip(SKIP_1) | instid1(TRANS32_DEP_1)
	v_rcp_f32_e32 v5, v4
	v_nop
	v_fma_f32 v6, -v4, v5, 1.0
	s_delay_alu instid0(VALU_DEP_1) | instskip(NEXT) | instid1(VALU_DEP_1)
	v_fmac_f32_e32 v5, v6, v5
	v_mul_f32_e32 v6, v7, v5
	s_delay_alu instid0(VALU_DEP_1) | instskip(NEXT) | instid1(VALU_DEP_1)
	v_fma_f32 v8, -v4, v6, v7
	v_fmac_f32_e32 v6, v8, v5
	s_delay_alu instid0(VALU_DEP_1) | instskip(NEXT) | instid1(VALU_DEP_1)
	v_fma_f32 v4, -v4, v6, v7
	v_div_fmas_f32 v4, v4, v5, v6
	s_delay_alu instid0(VALU_DEP_1) | instskip(NEXT) | instid1(VALU_DEP_1)
	v_div_fixup_f32 v5, v4, v2, v3
	v_fmac_f32_e32 v2, v3, v5
	s_delay_alu instid0(VALU_DEP_1) | instskip(NEXT) | instid1(VALU_DEP_1)
	v_div_scale_f32 v3, null, v2, v2, 1.0
	v_rcp_f32_e32 v4, v3
	v_nop
	s_delay_alu instid0(TRANS32_DEP_1) | instskip(NEXT) | instid1(VALU_DEP_1)
	v_fma_f32 v6, -v3, v4, 1.0
	v_fmac_f32_e32 v4, v6, v4
	v_div_scale_f32 v6, vcc_lo, 1.0, v2, 1.0
	s_delay_alu instid0(VALU_DEP_1) | instskip(NEXT) | instid1(VALU_DEP_1)
	v_mul_f32_e32 v7, v6, v4
	v_fma_f32 v8, -v3, v7, v6
	s_delay_alu instid0(VALU_DEP_1) | instskip(NEXT) | instid1(VALU_DEP_1)
	v_fmac_f32_e32 v7, v8, v4
	v_fma_f32 v3, -v3, v7, v6
	s_delay_alu instid0(VALU_DEP_1) | instskip(NEXT) | instid1(VALU_DEP_1)
	v_div_fmas_f32 v3, v3, v4, v7
	v_div_fixup_f32 v4, v3, v2, 1.0
	s_delay_alu instid0(VALU_DEP_1)
	v_mul_f32_e64 v5, v5, -v4
.LBB127_457:
	s_or_b32 exec_lo, exec_lo, s1
	ds_store_b64 v19, v[4:5]
.LBB127_458:
	s_or_b32 exec_lo, exec_lo, s2
	s_wait_dscnt 0x0
	s_barrier_signal -1
	s_barrier_wait -1
	ds_load_b64 v[104:105], v19
	s_mov_b32 s1, exec_lo
	v_cmpx_lt_u32_e32 50, v18
	s_cbranch_execz .LBB127_460
; %bb.459:
	ds_load_2addr_b64 v[106:109], v126 offset0:51 offset1:52
	s_wait_dscnt 0x1
	v_pk_mul_f32 v[4:5], v[104:105], v[230:231] op_sel:[1,1] op_sel_hi:[0,1]
	s_delay_alu instid0(VALU_DEP_1) | instskip(SKIP_1) | instid1(VALU_DEP_1)
	v_pk_fma_f32 v[2:3], v[104:105], v[230:231], v[4:5] op_sel_hi:[1,0,1] neg_lo:[0,0,1] neg_hi:[0,0,1]
	v_pk_fma_f32 v[4:5], v[104:105], v[230:231], v[4:5] op_sel_hi:[1,0,1]
	v_dual_mov_b32 v230, v2 :: v_dual_mov_b32 v231, v5
	s_wait_dscnt 0x0
	s_delay_alu instid0(VALU_DEP_2) | instskip(NEXT) | instid1(VALU_DEP_1)
	v_pk_mul_f32 v[6:7], v[106:107], v[4:5] op_sel:[0,1]
	v_pk_fma_f32 v[110:111], v[106:107], v[2:3], v[6:7] op_sel:[0,0,1] op_sel_hi:[1,1,0] neg_lo:[0,0,1] neg_hi:[0,0,1]
	v_pk_fma_f32 v[6:7], v[106:107], v[2:3], v[6:7] op_sel:[0,0,1] op_sel_hi:[1,0,0]
	s_delay_alu instid0(VALU_DEP_1) | instskip(SKIP_1) | instid1(VALU_DEP_1)
	v_mov_b32_e32 v111, v7
	v_pk_mul_f32 v[6:7], v[108:109], v[4:5] op_sel:[0,1]
	v_pk_fma_f32 v[106:107], v[108:109], v[2:3], v[6:7] op_sel:[0,0,1] op_sel_hi:[1,1,0] neg_lo:[0,0,1] neg_hi:[0,0,1]
	v_pk_fma_f32 v[6:7], v[108:109], v[2:3], v[6:7] op_sel:[0,0,1] op_sel_hi:[1,0,0]
	s_delay_alu instid0(VALU_DEP_1) | instskip(SKIP_1) | instid1(VALU_DEP_2)
	v_mov_b32_e32 v107, v7
	v_pk_add_f32 v[232:233], v[232:233], v[110:111] neg_lo:[0,1] neg_hi:[0,1]
	v_pk_add_f32 v[234:235], v[234:235], v[106:107] neg_lo:[0,1] neg_hi:[0,1]
	ds_load_2addr_b64 v[106:109], v126 offset0:53 offset1:54
	s_wait_dscnt 0x0
	v_pk_mul_f32 v[6:7], v[106:107], v[4:5] op_sel:[0,1]
	s_delay_alu instid0(VALU_DEP_1) | instskip(SKIP_2) | instid1(VALU_DEP_2)
	v_pk_fma_f32 v[110:111], v[106:107], v[2:3], v[6:7] op_sel:[0,0,1] op_sel_hi:[1,1,0] neg_lo:[0,0,1] neg_hi:[0,0,1]
	v_pk_fma_f32 v[6:7], v[106:107], v[2:3], v[6:7] op_sel:[0,0,1] op_sel_hi:[1,0,0]
	v_dual_mul_f32 v106, v109, v5 :: v_dual_mov_b32 v6, v109
	v_dual_mov_b32 v111, v7 :: v_dual_mov_b32 v7, v108
	s_delay_alu instid0(VALU_DEP_2) | instskip(SKIP_1) | instid1(VALU_DEP_3)
	v_pk_fma_f32 v[106:107], v[108:109], v[230:231], v[106:107] op_sel_hi:[1,1,0] neg_lo:[0,0,1] neg_hi:[0,0,1]
	v_mul_f32_e32 v108, v109, v2
	v_pk_add_f32 v[236:237], v[236:237], v[110:111] neg_lo:[0,1] neg_hi:[0,1]
	s_delay_alu instid0(VALU_DEP_2) | instskip(NEXT) | instid1(VALU_DEP_1)
	v_pk_fma_f32 v[6:7], v[6:7], v[230:231], v[108:109] op_sel_hi:[1,1,0]
	v_mov_b32_e32 v107, v7
	s_delay_alu instid0(VALU_DEP_1) | instskip(SKIP_3) | instid1(VALU_DEP_1)
	v_pk_add_f32 v[238:239], v[238:239], v[106:107] neg_lo:[0,1] neg_hi:[0,1]
	ds_load_2addr_b64 v[106:109], v126 offset0:55 offset1:56
	s_wait_dscnt 0x0
	v_pk_mul_f32 v[6:7], v[106:107], v[4:5] op_sel:[0,1]
	v_pk_fma_f32 v[110:111], v[106:107], v[2:3], v[6:7] op_sel:[0,0,1] op_sel_hi:[1,1,0] neg_lo:[0,0,1] neg_hi:[0,0,1]
	v_pk_fma_f32 v[6:7], v[106:107], v[2:3], v[6:7] op_sel:[0,0,1] op_sel_hi:[1,0,0]
	s_delay_alu instid0(VALU_DEP_1) | instskip(SKIP_1) | instid1(VALU_DEP_1)
	v_mov_b32_e32 v111, v7
	v_pk_mul_f32 v[6:7], v[108:109], v[4:5] op_sel:[0,1]
	v_pk_fma_f32 v[106:107], v[108:109], v[2:3], v[6:7] op_sel:[0,0,1] op_sel_hi:[1,1,0] neg_lo:[0,0,1] neg_hi:[0,0,1]
	v_pk_fma_f32 v[6:7], v[108:109], v[2:3], v[6:7] op_sel:[0,0,1] op_sel_hi:[1,0,0]
	s_delay_alu instid0(VALU_DEP_1) | instskip(SKIP_1) | instid1(VALU_DEP_2)
	v_mov_b32_e32 v107, v7
	v_pk_add_f32 v[240:241], v[240:241], v[110:111] neg_lo:[0,1] neg_hi:[0,1]
	v_pk_add_f32 v[252:253], v[252:253], v[106:107] neg_lo:[0,1] neg_hi:[0,1]
	ds_load_2addr_b64 v[106:109], v126 offset0:57 offset1:58
	s_wait_dscnt 0x0
	v_pk_mul_f32 v[6:7], v[106:107], v[4:5] op_sel:[0,1]
	s_delay_alu instid0(VALU_DEP_1) | instskip(SKIP_1) | instid1(VALU_DEP_1)
	v_pk_fma_f32 v[110:111], v[106:107], v[2:3], v[6:7] op_sel:[0,0,1] op_sel_hi:[1,1,0] neg_lo:[0,0,1] neg_hi:[0,0,1]
	v_pk_fma_f32 v[6:7], v[106:107], v[2:3], v[6:7] op_sel:[0,0,1] op_sel_hi:[1,0,0]
	v_mov_b32_e32 v111, v7
	v_pk_mul_f32 v[6:7], v[108:109], v[4:5] op_sel:[0,1]
	s_delay_alu instid0(VALU_DEP_1) | instskip(SKIP_1) | instid1(VALU_DEP_1)
	v_pk_fma_f32 v[106:107], v[108:109], v[2:3], v[6:7] op_sel:[0,0,1] op_sel_hi:[1,1,0] neg_lo:[0,0,1] neg_hi:[0,0,1]
	v_pk_fma_f32 v[6:7], v[108:109], v[2:3], v[6:7] op_sel:[0,0,1] op_sel_hi:[1,0,0]
	v_mov_b32_e32 v107, v7
	v_pk_add_f32 v[246:247], v[246:247], v[110:111] neg_lo:[0,1] neg_hi:[0,1]
	s_delay_alu instid0(VALU_DEP_2) | instskip(SKIP_3) | instid1(VALU_DEP_1)
	v_pk_add_f32 v[250:251], v[250:251], v[106:107] neg_lo:[0,1] neg_hi:[0,1]
	ds_load_2addr_b64 v[106:109], v126 offset0:59 offset1:60
	s_wait_dscnt 0x0
	v_dual_mul_f32 v6, v107, v5 :: v_dual_mul_f32 v110, v107, v2
	v_pk_fma_f32 v[6:7], v[106:107], v[230:231], v[6:7] op_sel_hi:[1,1,0] neg_lo:[0,0,1] neg_hi:[0,0,1]
	s_delay_alu instid0(VALU_DEP_2) | instskip(NEXT) | instid1(VALU_DEP_1)
	v_pk_fma_f32 v[106:107], v[106:107], v[230:231], v[110:111] op_sel:[1,0,0] op_sel_hi:[0,1,0]
	v_mov_b32_e32 v7, v107
	s_delay_alu instid0(VALU_DEP_1) | instskip(SKIP_1) | instid1(VALU_DEP_1)
	v_pk_add_f32 v[244:245], v[244:245], v[6:7] neg_lo:[0,1] neg_hi:[0,1]
	v_pk_mul_f32 v[6:7], v[108:109], v[4:5] op_sel:[0,1]
	v_pk_fma_f32 v[106:107], v[108:109], v[2:3], v[6:7] op_sel:[0,0,1] op_sel_hi:[1,1,0] neg_lo:[0,0,1] neg_hi:[0,0,1]
	v_pk_fma_f32 v[6:7], v[108:109], v[2:3], v[6:7] op_sel:[0,0,1] op_sel_hi:[1,0,0]
	s_delay_alu instid0(VALU_DEP_1) | instskip(NEXT) | instid1(VALU_DEP_1)
	v_mov_b32_e32 v107, v7
	v_pk_add_f32 v[248:249], v[248:249], v[106:107] neg_lo:[0,1] neg_hi:[0,1]
	ds_load_2addr_b64 v[106:109], v126 offset0:61 offset1:62
	s_wait_dscnt 0x0
	v_pk_mul_f32 v[6:7], v[106:107], v[4:5] op_sel:[0,1]
	s_delay_alu instid0(VALU_DEP_1) | instskip(SKIP_1) | instid1(VALU_DEP_1)
	v_pk_fma_f32 v[110:111], v[106:107], v[2:3], v[6:7] op_sel:[0,0,1] op_sel_hi:[1,1,0] neg_lo:[0,0,1] neg_hi:[0,0,1]
	v_pk_fma_f32 v[6:7], v[106:107], v[2:3], v[6:7] op_sel:[0,0,1] op_sel_hi:[1,0,0]
	v_mov_b32_e32 v111, v7
	v_pk_mul_f32 v[6:7], v[108:109], v[4:5] op_sel:[0,1]
	s_delay_alu instid0(VALU_DEP_2) | instskip(NEXT) | instid1(VALU_DEP_2)
	v_pk_add_f32 v[242:243], v[242:243], v[110:111] neg_lo:[0,1] neg_hi:[0,1]
	v_pk_fma_f32 v[106:107], v[108:109], v[2:3], v[6:7] op_sel:[0,0,1] op_sel_hi:[1,1,0] neg_lo:[0,0,1] neg_hi:[0,0,1]
	v_pk_fma_f32 v[6:7], v[108:109], v[2:3], v[6:7] op_sel:[0,0,1] op_sel_hi:[1,0,0]
	s_delay_alu instid0(VALU_DEP_1) | instskip(SKIP_4) | instid1(VALU_DEP_1)
	v_mov_b32_e32 v107, v7
	ds_load_b64 v[6:7], v126 offset:504
	v_pk_add_f32 v[254:255], v[254:255], v[106:107] neg_lo:[0,1] neg_hi:[0,1]
	s_wait_dscnt 0x0
	v_pk_mul_f32 v[4:5], v[6:7], v[4:5] op_sel:[0,1]
	v_pk_fma_f32 v[106:107], v[6:7], v[2:3], v[4:5] op_sel:[0,0,1] op_sel_hi:[1,1,0] neg_lo:[0,0,1] neg_hi:[0,0,1]
	v_pk_fma_f32 v[2:3], v[6:7], v[2:3], v[4:5] op_sel:[0,0,1] op_sel_hi:[1,0,0]
	s_delay_alu instid0(VALU_DEP_1) | instskip(NEXT) | instid1(VALU_DEP_1)
	v_mov_b32_e32 v107, v3
	v_pk_add_f32 v[0:1], v[0:1], v[106:107] neg_lo:[0,1] neg_hi:[0,1]
.LBB127_460:
	s_or_b32 exec_lo, exec_lo, s1
	s_delay_alu instid0(SALU_CYCLE_1)
	s_mov_b32 s2, exec_lo
	s_wait_dscnt 0x0
	s_barrier_signal -1
	s_barrier_wait -1
	v_cmpx_eq_u32_e32 51, v18
	s_cbranch_execz .LBB127_467
; %bb.461:
	v_dual_mov_b32 v2, v234 :: v_dual_mov_b32 v3, v235
	v_dual_mov_b32 v4, v236 :: v_dual_mov_b32 v5, v237
	ds_store_b64 v19, v[232:233]
	ds_store_2addr_b64 v126, v[2:3], v[4:5] offset0:52 offset1:53
	v_dual_mov_b32 v2, v238 :: v_dual_mov_b32 v3, v239
	v_dual_mov_b32 v4, v240 :: v_dual_mov_b32 v5, v241
	ds_store_2addr_b64 v126, v[2:3], v[4:5] offset0:54 offset1:55
	v_dual_mov_b32 v2, v252 :: v_dual_mov_b32 v3, v253
	v_dual_mov_b32 v4, v246 :: v_dual_mov_b32 v5, v247
	ds_store_2addr_b64 v126, v[2:3], v[4:5] offset0:56 offset1:57
	v_dual_mov_b32 v2, v250 :: v_dual_mov_b32 v3, v251
	v_dual_mov_b32 v4, v244 :: v_dual_mov_b32 v5, v245
	ds_store_2addr_b64 v126, v[2:3], v[4:5] offset0:58 offset1:59
	v_dual_mov_b32 v2, v248 :: v_dual_mov_b32 v3, v249
	v_dual_mov_b32 v4, v242 :: v_dual_mov_b32 v5, v243
	ds_store_2addr_b64 v126, v[2:3], v[4:5] offset0:60 offset1:61
	v_dual_mov_b32 v2, v254 :: v_dual_mov_b32 v3, v255
	ds_store_2addr_b64 v126, v[2:3], v[0:1] offset0:62 offset1:63
	ds_load_b64 v[2:3], v19
	s_wait_dscnt 0x0
	v_cmp_neq_f32_e32 vcc_lo, 0, v2
	v_cmp_neq_f32_e64 s1, 0, v3
	s_or_b32 s1, vcc_lo, s1
	s_delay_alu instid0(SALU_CYCLE_1)
	s_and_b32 exec_lo, exec_lo, s1
	s_cbranch_execz .LBB127_467
; %bb.462:
	v_cmp_ngt_f32_e64 s1, |v2|, |v3|
                                        ; implicit-def: $vgpr4_vgpr5
	s_and_saveexec_b32 s4, s1
	s_delay_alu instid0(SALU_CYCLE_1)
	s_xor_b32 s1, exec_lo, s4
	s_cbranch_execz .LBB127_464
; %bb.463:
	v_div_scale_f32 v4, null, v3, v3, v2
	v_div_scale_f32 v7, vcc_lo, v2, v3, v2
	s_delay_alu instid0(VALU_DEP_2) | instskip(SKIP_1) | instid1(TRANS32_DEP_1)
	v_rcp_f32_e32 v5, v4
	v_nop
	v_fma_f32 v6, -v4, v5, 1.0
	s_delay_alu instid0(VALU_DEP_1) | instskip(NEXT) | instid1(VALU_DEP_1)
	v_fmac_f32_e32 v5, v6, v5
	v_mul_f32_e32 v6, v7, v5
	s_delay_alu instid0(VALU_DEP_1) | instskip(NEXT) | instid1(VALU_DEP_1)
	v_fma_f32 v8, -v4, v6, v7
	v_fmac_f32_e32 v6, v8, v5
	s_delay_alu instid0(VALU_DEP_1) | instskip(NEXT) | instid1(VALU_DEP_1)
	v_fma_f32 v4, -v4, v6, v7
	v_div_fmas_f32 v4, v4, v5, v6
	s_delay_alu instid0(VALU_DEP_1) | instskip(NEXT) | instid1(VALU_DEP_1)
	v_div_fixup_f32 v4, v4, v3, v2
	v_fmac_f32_e32 v3, v2, v4
	s_delay_alu instid0(VALU_DEP_1) | instskip(SKIP_1) | instid1(VALU_DEP_2)
	v_div_scale_f32 v2, null, v3, v3, 1.0
	v_div_scale_f32 v7, vcc_lo, 1.0, v3, 1.0
	v_rcp_f32_e32 v5, v2
	v_nop
	s_delay_alu instid0(TRANS32_DEP_1) | instskip(NEXT) | instid1(VALU_DEP_1)
	v_fma_f32 v6, -v2, v5, 1.0
	v_fmac_f32_e32 v5, v6, v5
	s_delay_alu instid0(VALU_DEP_1) | instskip(NEXT) | instid1(VALU_DEP_1)
	v_mul_f32_e32 v6, v7, v5
	v_fma_f32 v8, -v2, v6, v7
	s_delay_alu instid0(VALU_DEP_1) | instskip(NEXT) | instid1(VALU_DEP_1)
	v_fmac_f32_e32 v6, v8, v5
	v_fma_f32 v2, -v2, v6, v7
	s_delay_alu instid0(VALU_DEP_1) | instskip(NEXT) | instid1(VALU_DEP_1)
	v_div_fmas_f32 v2, v2, v5, v6
	v_div_fixup_f32 v2, v2, v3, 1.0
	s_delay_alu instid0(VALU_DEP_1)
	v_mul_f32_e32 v4, v4, v2
	v_xor_b32_e32 v5, 0x80000000, v2
                                        ; implicit-def: $vgpr2_vgpr3
.LBB127_464:
	s_and_not1_saveexec_b32 s1, s1
	s_cbranch_execz .LBB127_466
; %bb.465:
	v_div_scale_f32 v4, null, v2, v2, v3
	v_div_scale_f32 v7, vcc_lo, v3, v2, v3
	s_delay_alu instid0(VALU_DEP_2) | instskip(SKIP_1) | instid1(TRANS32_DEP_1)
	v_rcp_f32_e32 v5, v4
	v_nop
	v_fma_f32 v6, -v4, v5, 1.0
	s_delay_alu instid0(VALU_DEP_1) | instskip(NEXT) | instid1(VALU_DEP_1)
	v_fmac_f32_e32 v5, v6, v5
	v_mul_f32_e32 v6, v7, v5
	s_delay_alu instid0(VALU_DEP_1) | instskip(NEXT) | instid1(VALU_DEP_1)
	v_fma_f32 v8, -v4, v6, v7
	v_fmac_f32_e32 v6, v8, v5
	s_delay_alu instid0(VALU_DEP_1) | instskip(NEXT) | instid1(VALU_DEP_1)
	v_fma_f32 v4, -v4, v6, v7
	v_div_fmas_f32 v4, v4, v5, v6
	s_delay_alu instid0(VALU_DEP_1) | instskip(NEXT) | instid1(VALU_DEP_1)
	v_div_fixup_f32 v5, v4, v2, v3
	v_fmac_f32_e32 v2, v3, v5
	s_delay_alu instid0(VALU_DEP_1) | instskip(NEXT) | instid1(VALU_DEP_1)
	v_div_scale_f32 v3, null, v2, v2, 1.0
	v_rcp_f32_e32 v4, v3
	v_nop
	s_delay_alu instid0(TRANS32_DEP_1) | instskip(NEXT) | instid1(VALU_DEP_1)
	v_fma_f32 v6, -v3, v4, 1.0
	v_fmac_f32_e32 v4, v6, v4
	v_div_scale_f32 v6, vcc_lo, 1.0, v2, 1.0
	s_delay_alu instid0(VALU_DEP_1) | instskip(NEXT) | instid1(VALU_DEP_1)
	v_mul_f32_e32 v7, v6, v4
	v_fma_f32 v8, -v3, v7, v6
	s_delay_alu instid0(VALU_DEP_1) | instskip(NEXT) | instid1(VALU_DEP_1)
	v_fmac_f32_e32 v7, v8, v4
	v_fma_f32 v3, -v3, v7, v6
	s_delay_alu instid0(VALU_DEP_1) | instskip(NEXT) | instid1(VALU_DEP_1)
	v_div_fmas_f32 v3, v3, v4, v7
	v_div_fixup_f32 v4, v3, v2, 1.0
	s_delay_alu instid0(VALU_DEP_1)
	v_mul_f32_e64 v5, v5, -v4
.LBB127_466:
	s_or_b32 exec_lo, exec_lo, s1
	ds_store_b64 v19, v[4:5]
.LBB127_467:
	s_or_b32 exec_lo, exec_lo, s2
	s_wait_dscnt 0x0
	s_barrier_signal -1
	s_barrier_wait -1
	ds_load_b64 v[106:107], v19
	s_mov_b32 s1, exec_lo
	v_cmpx_lt_u32_e32 51, v18
	s_cbranch_execz .LBB127_469
; %bb.468:
	ds_load_2addr_b64 v[108:111], v126 offset0:52 offset1:53
	s_wait_dscnt 0x1
	v_pk_mul_f32 v[4:5], v[106:107], v[232:233] op_sel:[1,1] op_sel_hi:[0,1]
	s_delay_alu instid0(VALU_DEP_1) | instskip(SKIP_1) | instid1(VALU_DEP_1)
	v_pk_fma_f32 v[2:3], v[106:107], v[232:233], v[4:5] op_sel_hi:[1,0,1] neg_lo:[0,0,1] neg_hi:[0,0,1]
	v_pk_fma_f32 v[4:5], v[106:107], v[232:233], v[4:5] op_sel_hi:[1,0,1]
	v_dual_mov_b32 v232, v2 :: v_dual_mov_b32 v233, v5
	s_wait_dscnt 0x0
	s_delay_alu instid0(VALU_DEP_2) | instskip(NEXT) | instid1(VALU_DEP_1)
	v_pk_mul_f32 v[6:7], v[108:109], v[4:5] op_sel:[0,1]
	v_pk_fma_f32 v[112:113], v[108:109], v[2:3], v[6:7] op_sel:[0,0,1] op_sel_hi:[1,1,0] neg_lo:[0,0,1] neg_hi:[0,0,1]
	v_pk_fma_f32 v[6:7], v[108:109], v[2:3], v[6:7] op_sel:[0,0,1] op_sel_hi:[1,0,0]
	s_delay_alu instid0(VALU_DEP_1) | instskip(SKIP_1) | instid1(VALU_DEP_1)
	v_mov_b32_e32 v113, v7
	v_pk_mul_f32 v[6:7], v[110:111], v[4:5] op_sel:[0,1]
	v_pk_fma_f32 v[108:109], v[110:111], v[2:3], v[6:7] op_sel:[0,0,1] op_sel_hi:[1,1,0] neg_lo:[0,0,1] neg_hi:[0,0,1]
	v_pk_fma_f32 v[6:7], v[110:111], v[2:3], v[6:7] op_sel:[0,0,1] op_sel_hi:[1,0,0]
	s_delay_alu instid0(VALU_DEP_1) | instskip(SKIP_1) | instid1(VALU_DEP_2)
	v_mov_b32_e32 v109, v7
	v_pk_add_f32 v[234:235], v[234:235], v[112:113] neg_lo:[0,1] neg_hi:[0,1]
	v_pk_add_f32 v[236:237], v[236:237], v[108:109] neg_lo:[0,1] neg_hi:[0,1]
	ds_load_2addr_b64 v[108:111], v126 offset0:54 offset1:55
	s_wait_dscnt 0x0
	v_pk_mul_f32 v[6:7], v[108:109], v[4:5] op_sel:[0,1]
	s_delay_alu instid0(VALU_DEP_1) | instskip(SKIP_2) | instid1(VALU_DEP_2)
	v_pk_fma_f32 v[112:113], v[108:109], v[2:3], v[6:7] op_sel:[0,0,1] op_sel_hi:[1,1,0] neg_lo:[0,0,1] neg_hi:[0,0,1]
	v_pk_fma_f32 v[6:7], v[108:109], v[2:3], v[6:7] op_sel:[0,0,1] op_sel_hi:[1,0,0]
	v_dual_mul_f32 v108, v111, v5 :: v_dual_mov_b32 v6, v111
	v_dual_mov_b32 v113, v7 :: v_dual_mov_b32 v7, v110
	s_delay_alu instid0(VALU_DEP_2) | instskip(SKIP_1) | instid1(VALU_DEP_3)
	v_pk_fma_f32 v[108:109], v[110:111], v[232:233], v[108:109] op_sel_hi:[1,1,0] neg_lo:[0,0,1] neg_hi:[0,0,1]
	v_mul_f32_e32 v110, v111, v2
	v_pk_add_f32 v[238:239], v[238:239], v[112:113] neg_lo:[0,1] neg_hi:[0,1]
	s_delay_alu instid0(VALU_DEP_2) | instskip(NEXT) | instid1(VALU_DEP_1)
	v_pk_fma_f32 v[6:7], v[6:7], v[232:233], v[110:111] op_sel_hi:[1,1,0]
	v_mov_b32_e32 v109, v7
	s_delay_alu instid0(VALU_DEP_1) | instskip(SKIP_3) | instid1(VALU_DEP_1)
	v_pk_add_f32 v[240:241], v[240:241], v[108:109] neg_lo:[0,1] neg_hi:[0,1]
	ds_load_2addr_b64 v[108:111], v126 offset0:56 offset1:57
	s_wait_dscnt 0x0
	v_pk_mul_f32 v[6:7], v[108:109], v[4:5] op_sel:[0,1]
	v_pk_fma_f32 v[112:113], v[108:109], v[2:3], v[6:7] op_sel:[0,0,1] op_sel_hi:[1,1,0] neg_lo:[0,0,1] neg_hi:[0,0,1]
	v_pk_fma_f32 v[6:7], v[108:109], v[2:3], v[6:7] op_sel:[0,0,1] op_sel_hi:[1,0,0]
	s_delay_alu instid0(VALU_DEP_1) | instskip(SKIP_1) | instid1(VALU_DEP_2)
	v_mov_b32_e32 v113, v7
	v_pk_mul_f32 v[6:7], v[110:111], v[4:5] op_sel:[0,1]
	v_pk_add_f32 v[252:253], v[252:253], v[112:113] neg_lo:[0,1] neg_hi:[0,1]
	s_delay_alu instid0(VALU_DEP_2) | instskip(SKIP_1) | instid1(VALU_DEP_1)
	v_pk_fma_f32 v[108:109], v[110:111], v[2:3], v[6:7] op_sel:[0,0,1] op_sel_hi:[1,1,0] neg_lo:[0,0,1] neg_hi:[0,0,1]
	v_pk_fma_f32 v[6:7], v[110:111], v[2:3], v[6:7] op_sel:[0,0,1] op_sel_hi:[1,0,0]
	v_mov_b32_e32 v109, v7
	s_delay_alu instid0(VALU_DEP_1) | instskip(SKIP_3) | instid1(VALU_DEP_1)
	v_pk_add_f32 v[246:247], v[246:247], v[108:109] neg_lo:[0,1] neg_hi:[0,1]
	ds_load_2addr_b64 v[108:111], v126 offset0:58 offset1:59
	s_wait_dscnt 0x0
	v_pk_mul_f32 v[6:7], v[108:109], v[4:5] op_sel:[0,1]
	v_pk_fma_f32 v[112:113], v[108:109], v[2:3], v[6:7] op_sel:[0,0,1] op_sel_hi:[1,1,0] neg_lo:[0,0,1] neg_hi:[0,0,1]
	v_pk_fma_f32 v[6:7], v[108:109], v[2:3], v[6:7] op_sel:[0,0,1] op_sel_hi:[1,0,0]
	s_delay_alu instid0(VALU_DEP_1) | instskip(SKIP_1) | instid1(VALU_DEP_2)
	v_mov_b32_e32 v113, v7
	v_pk_mul_f32 v[6:7], v[110:111], v[4:5] op_sel:[0,1]
	v_pk_add_f32 v[250:251], v[250:251], v[112:113] neg_lo:[0,1] neg_hi:[0,1]
	s_delay_alu instid0(VALU_DEP_2) | instskip(SKIP_1) | instid1(VALU_DEP_1)
	v_pk_fma_f32 v[108:109], v[110:111], v[2:3], v[6:7] op_sel:[0,0,1] op_sel_hi:[1,1,0] neg_lo:[0,0,1] neg_hi:[0,0,1]
	v_pk_fma_f32 v[6:7], v[110:111], v[2:3], v[6:7] op_sel:[0,0,1] op_sel_hi:[1,0,0]
	v_mov_b32_e32 v109, v7
	s_delay_alu instid0(VALU_DEP_1) | instskip(SKIP_3) | instid1(VALU_DEP_1)
	v_pk_add_f32 v[244:245], v[244:245], v[108:109] neg_lo:[0,1] neg_hi:[0,1]
	ds_load_2addr_b64 v[108:111], v126 offset0:60 offset1:61
	s_wait_dscnt 0x0
	v_dual_mul_f32 v6, v109, v5 :: v_dual_mul_f32 v112, v109, v2
	v_pk_fma_f32 v[6:7], v[108:109], v[232:233], v[6:7] op_sel_hi:[1,1,0] neg_lo:[0,0,1] neg_hi:[0,0,1]
	s_delay_alu instid0(VALU_DEP_2) | instskip(NEXT) | instid1(VALU_DEP_1)
	v_pk_fma_f32 v[108:109], v[108:109], v[232:233], v[112:113] op_sel:[1,0,0] op_sel_hi:[0,1,0]
	v_mov_b32_e32 v7, v109
	s_delay_alu instid0(VALU_DEP_1) | instskip(SKIP_1) | instid1(VALU_DEP_1)
	v_pk_add_f32 v[248:249], v[248:249], v[6:7] neg_lo:[0,1] neg_hi:[0,1]
	v_pk_mul_f32 v[6:7], v[110:111], v[4:5] op_sel:[0,1]
	v_pk_fma_f32 v[108:109], v[110:111], v[2:3], v[6:7] op_sel:[0,0,1] op_sel_hi:[1,1,0] neg_lo:[0,0,1] neg_hi:[0,0,1]
	v_pk_fma_f32 v[6:7], v[110:111], v[2:3], v[6:7] op_sel:[0,0,1] op_sel_hi:[1,0,0]
	s_delay_alu instid0(VALU_DEP_1) | instskip(NEXT) | instid1(VALU_DEP_1)
	v_mov_b32_e32 v109, v7
	v_pk_add_f32 v[242:243], v[242:243], v[108:109] neg_lo:[0,1] neg_hi:[0,1]
	ds_load_2addr_b64 v[108:111], v126 offset0:62 offset1:63
	s_wait_dscnt 0x0
	v_pk_mul_f32 v[6:7], v[108:109], v[4:5] op_sel:[0,1]
	v_mul_f32_e32 v4, v111, v5
	s_delay_alu instid0(VALU_DEP_2) | instskip(SKIP_2) | instid1(VALU_DEP_4)
	v_pk_fma_f32 v[112:113], v[108:109], v[2:3], v[6:7] op_sel:[0,0,1] op_sel_hi:[1,1,0] neg_lo:[0,0,1] neg_hi:[0,0,1]
	v_pk_fma_f32 v[6:7], v[108:109], v[2:3], v[6:7] op_sel:[0,0,1] op_sel_hi:[1,0,0]
	v_dual_mov_b32 v6, v111 :: v_dual_mul_f32 v2, v111, v2
	v_pk_fma_f32 v[4:5], v[110:111], v[232:233], v[4:5] op_sel_hi:[1,1,0] neg_lo:[0,0,1] neg_hi:[0,0,1]
	s_delay_alu instid0(VALU_DEP_3) | instskip(NEXT) | instid1(VALU_DEP_1)
	v_dual_mov_b32 v113, v7 :: v_dual_mov_b32 v7, v110
	v_pk_add_f32 v[254:255], v[254:255], v[112:113] neg_lo:[0,1] neg_hi:[0,1]
	s_delay_alu instid0(VALU_DEP_2) | instskip(NEXT) | instid1(VALU_DEP_1)
	v_pk_fma_f32 v[2:3], v[6:7], v[232:233], v[2:3] op_sel_hi:[1,1,0]
	v_mov_b32_e32 v5, v3
	s_delay_alu instid0(VALU_DEP_1)
	v_pk_add_f32 v[0:1], v[0:1], v[4:5] neg_lo:[0,1] neg_hi:[0,1]
.LBB127_469:
	s_or_b32 exec_lo, exec_lo, s1
	s_delay_alu instid0(SALU_CYCLE_1)
	s_mov_b32 s2, exec_lo
	s_wait_dscnt 0x0
	s_barrier_signal -1
	s_barrier_wait -1
	v_cmpx_eq_u32_e32 52, v18
	s_cbranch_execz .LBB127_476
; %bb.470:
	ds_store_b64 v19, v[234:235]
	ds_store_2addr_b64 v126, v[236:237], v[238:239] offset0:53 offset1:54
	ds_store_2addr_b64 v126, v[240:241], v[252:253] offset0:55 offset1:56
	;; [unrolled: 1-line block ×5, first 2 shown]
	ds_store_b64 v126, v[0:1] offset:504
	ds_load_b64 v[2:3], v19
	s_wait_dscnt 0x0
	v_cmp_neq_f32_e32 vcc_lo, 0, v2
	v_cmp_neq_f32_e64 s1, 0, v3
	s_or_b32 s1, vcc_lo, s1
	s_delay_alu instid0(SALU_CYCLE_1)
	s_and_b32 exec_lo, exec_lo, s1
	s_cbranch_execz .LBB127_476
; %bb.471:
	v_cmp_ngt_f32_e64 s1, |v2|, |v3|
                                        ; implicit-def: $vgpr4_vgpr5
	s_and_saveexec_b32 s4, s1
	s_delay_alu instid0(SALU_CYCLE_1)
	s_xor_b32 s1, exec_lo, s4
	s_cbranch_execz .LBB127_473
; %bb.472:
	v_div_scale_f32 v4, null, v3, v3, v2
	v_div_scale_f32 v7, vcc_lo, v2, v3, v2
	s_delay_alu instid0(VALU_DEP_2) | instskip(SKIP_1) | instid1(TRANS32_DEP_1)
	v_rcp_f32_e32 v5, v4
	v_nop
	v_fma_f32 v6, -v4, v5, 1.0
	s_delay_alu instid0(VALU_DEP_1) | instskip(NEXT) | instid1(VALU_DEP_1)
	v_fmac_f32_e32 v5, v6, v5
	v_mul_f32_e32 v6, v7, v5
	s_delay_alu instid0(VALU_DEP_1) | instskip(NEXT) | instid1(VALU_DEP_1)
	v_fma_f32 v8, -v4, v6, v7
	v_fmac_f32_e32 v6, v8, v5
	s_delay_alu instid0(VALU_DEP_1) | instskip(NEXT) | instid1(VALU_DEP_1)
	v_fma_f32 v4, -v4, v6, v7
	v_div_fmas_f32 v4, v4, v5, v6
	s_delay_alu instid0(VALU_DEP_1) | instskip(NEXT) | instid1(VALU_DEP_1)
	v_div_fixup_f32 v4, v4, v3, v2
	v_fmac_f32_e32 v3, v2, v4
	s_delay_alu instid0(VALU_DEP_1) | instskip(SKIP_1) | instid1(VALU_DEP_2)
	v_div_scale_f32 v2, null, v3, v3, 1.0
	v_div_scale_f32 v7, vcc_lo, 1.0, v3, 1.0
	v_rcp_f32_e32 v5, v2
	v_nop
	s_delay_alu instid0(TRANS32_DEP_1) | instskip(NEXT) | instid1(VALU_DEP_1)
	v_fma_f32 v6, -v2, v5, 1.0
	v_fmac_f32_e32 v5, v6, v5
	s_delay_alu instid0(VALU_DEP_1) | instskip(NEXT) | instid1(VALU_DEP_1)
	v_mul_f32_e32 v6, v7, v5
	v_fma_f32 v8, -v2, v6, v7
	s_delay_alu instid0(VALU_DEP_1) | instskip(NEXT) | instid1(VALU_DEP_1)
	v_fmac_f32_e32 v6, v8, v5
	v_fma_f32 v2, -v2, v6, v7
	s_delay_alu instid0(VALU_DEP_1) | instskip(NEXT) | instid1(VALU_DEP_1)
	v_div_fmas_f32 v2, v2, v5, v6
	v_div_fixup_f32 v2, v2, v3, 1.0
	s_delay_alu instid0(VALU_DEP_1)
	v_mul_f32_e32 v4, v4, v2
	v_xor_b32_e32 v5, 0x80000000, v2
                                        ; implicit-def: $vgpr2_vgpr3
.LBB127_473:
	s_and_not1_saveexec_b32 s1, s1
	s_cbranch_execz .LBB127_475
; %bb.474:
	v_div_scale_f32 v4, null, v2, v2, v3
	v_div_scale_f32 v7, vcc_lo, v3, v2, v3
	s_delay_alu instid0(VALU_DEP_2) | instskip(SKIP_1) | instid1(TRANS32_DEP_1)
	v_rcp_f32_e32 v5, v4
	v_nop
	v_fma_f32 v6, -v4, v5, 1.0
	s_delay_alu instid0(VALU_DEP_1) | instskip(NEXT) | instid1(VALU_DEP_1)
	v_fmac_f32_e32 v5, v6, v5
	v_mul_f32_e32 v6, v7, v5
	s_delay_alu instid0(VALU_DEP_1) | instskip(NEXT) | instid1(VALU_DEP_1)
	v_fma_f32 v8, -v4, v6, v7
	v_fmac_f32_e32 v6, v8, v5
	s_delay_alu instid0(VALU_DEP_1) | instskip(NEXT) | instid1(VALU_DEP_1)
	v_fma_f32 v4, -v4, v6, v7
	v_div_fmas_f32 v4, v4, v5, v6
	s_delay_alu instid0(VALU_DEP_1) | instskip(NEXT) | instid1(VALU_DEP_1)
	v_div_fixup_f32 v5, v4, v2, v3
	v_fmac_f32_e32 v2, v3, v5
	s_delay_alu instid0(VALU_DEP_1) | instskip(NEXT) | instid1(VALU_DEP_1)
	v_div_scale_f32 v3, null, v2, v2, 1.0
	v_rcp_f32_e32 v4, v3
	v_nop
	s_delay_alu instid0(TRANS32_DEP_1) | instskip(NEXT) | instid1(VALU_DEP_1)
	v_fma_f32 v6, -v3, v4, 1.0
	v_fmac_f32_e32 v4, v6, v4
	v_div_scale_f32 v6, vcc_lo, 1.0, v2, 1.0
	s_delay_alu instid0(VALU_DEP_1) | instskip(NEXT) | instid1(VALU_DEP_1)
	v_mul_f32_e32 v7, v6, v4
	v_fma_f32 v8, -v3, v7, v6
	s_delay_alu instid0(VALU_DEP_1) | instskip(NEXT) | instid1(VALU_DEP_1)
	v_fmac_f32_e32 v7, v8, v4
	v_fma_f32 v3, -v3, v7, v6
	s_delay_alu instid0(VALU_DEP_1) | instskip(NEXT) | instid1(VALU_DEP_1)
	v_div_fmas_f32 v3, v3, v4, v7
	v_div_fixup_f32 v4, v3, v2, 1.0
	s_delay_alu instid0(VALU_DEP_1)
	v_mul_f32_e64 v5, v5, -v4
.LBB127_475:
	s_or_b32 exec_lo, exec_lo, s1
	ds_store_b64 v19, v[4:5]
.LBB127_476:
	s_or_b32 exec_lo, exec_lo, s2
	s_wait_dscnt 0x0
	s_barrier_signal -1
	s_barrier_wait -1
	ds_load_b64 v[108:109], v19
	s_mov_b32 s1, exec_lo
	v_cmpx_lt_u32_e32 52, v18
	s_cbranch_execz .LBB127_478
; %bb.477:
	ds_load_2addr_b64 v[110:113], v126 offset0:53 offset1:54
	s_wait_dscnt 0x1
	v_pk_mul_f32 v[4:5], v[108:109], v[234:235] op_sel:[1,1] op_sel_hi:[0,1]
	s_delay_alu instid0(VALU_DEP_1) | instskip(SKIP_1) | instid1(VALU_DEP_1)
	v_pk_fma_f32 v[2:3], v[108:109], v[234:235], v[4:5] op_sel_hi:[1,0,1] neg_lo:[0,0,1] neg_hi:[0,0,1]
	v_pk_fma_f32 v[4:5], v[108:109], v[234:235], v[4:5] op_sel_hi:[1,0,1]
	v_dual_mov_b32 v234, v2 :: v_dual_mov_b32 v235, v5
	s_wait_dscnt 0x0
	s_delay_alu instid0(VALU_DEP_2) | instskip(NEXT) | instid1(VALU_DEP_1)
	v_pk_mul_f32 v[6:7], v[110:111], v[4:5] op_sel:[0,1]
	v_pk_fma_f32 v[114:115], v[110:111], v[2:3], v[6:7] op_sel:[0,0,1] op_sel_hi:[1,1,0] neg_lo:[0,0,1] neg_hi:[0,0,1]
	v_pk_fma_f32 v[6:7], v[110:111], v[2:3], v[6:7] op_sel:[0,0,1] op_sel_hi:[1,0,0]
	s_delay_alu instid0(VALU_DEP_1) | instskip(SKIP_1) | instid1(VALU_DEP_1)
	v_mov_b32_e32 v115, v7
	v_pk_mul_f32 v[6:7], v[112:113], v[4:5] op_sel:[0,1]
	v_pk_fma_f32 v[110:111], v[112:113], v[2:3], v[6:7] op_sel:[0,0,1] op_sel_hi:[1,1,0] neg_lo:[0,0,1] neg_hi:[0,0,1]
	v_pk_fma_f32 v[6:7], v[112:113], v[2:3], v[6:7] op_sel:[0,0,1] op_sel_hi:[1,0,0]
	s_delay_alu instid0(VALU_DEP_1) | instskip(SKIP_1) | instid1(VALU_DEP_2)
	v_mov_b32_e32 v111, v7
	v_pk_add_f32 v[236:237], v[236:237], v[114:115] neg_lo:[0,1] neg_hi:[0,1]
	v_pk_add_f32 v[238:239], v[238:239], v[110:111] neg_lo:[0,1] neg_hi:[0,1]
	ds_load_2addr_b64 v[110:113], v126 offset0:55 offset1:56
	s_wait_dscnt 0x0
	v_pk_mul_f32 v[6:7], v[110:111], v[4:5] op_sel:[0,1]
	s_delay_alu instid0(VALU_DEP_1) | instskip(SKIP_2) | instid1(VALU_DEP_2)
	v_pk_fma_f32 v[114:115], v[110:111], v[2:3], v[6:7] op_sel:[0,0,1] op_sel_hi:[1,1,0] neg_lo:[0,0,1] neg_hi:[0,0,1]
	v_pk_fma_f32 v[6:7], v[110:111], v[2:3], v[6:7] op_sel:[0,0,1] op_sel_hi:[1,0,0]
	v_dual_mul_f32 v110, v113, v5 :: v_dual_mov_b32 v6, v113
	v_dual_mov_b32 v115, v7 :: v_dual_mov_b32 v7, v112
	s_delay_alu instid0(VALU_DEP_2) | instskip(SKIP_1) | instid1(VALU_DEP_3)
	v_pk_fma_f32 v[110:111], v[112:113], v[234:235], v[110:111] op_sel_hi:[1,1,0] neg_lo:[0,0,1] neg_hi:[0,0,1]
	v_mul_f32_e32 v112, v113, v2
	v_pk_add_f32 v[240:241], v[240:241], v[114:115] neg_lo:[0,1] neg_hi:[0,1]
	s_delay_alu instid0(VALU_DEP_2) | instskip(NEXT) | instid1(VALU_DEP_1)
	v_pk_fma_f32 v[6:7], v[6:7], v[234:235], v[112:113] op_sel_hi:[1,1,0]
	v_mov_b32_e32 v111, v7
	s_delay_alu instid0(VALU_DEP_1) | instskip(SKIP_3) | instid1(VALU_DEP_1)
	v_pk_add_f32 v[252:253], v[252:253], v[110:111] neg_lo:[0,1] neg_hi:[0,1]
	ds_load_2addr_b64 v[110:113], v126 offset0:57 offset1:58
	s_wait_dscnt 0x0
	v_pk_mul_f32 v[6:7], v[110:111], v[4:5] op_sel:[0,1]
	v_pk_fma_f32 v[114:115], v[110:111], v[2:3], v[6:7] op_sel:[0,0,1] op_sel_hi:[1,1,0] neg_lo:[0,0,1] neg_hi:[0,0,1]
	v_pk_fma_f32 v[6:7], v[110:111], v[2:3], v[6:7] op_sel:[0,0,1] op_sel_hi:[1,0,0]
	s_delay_alu instid0(VALU_DEP_1) | instskip(SKIP_1) | instid1(VALU_DEP_1)
	v_mov_b32_e32 v115, v7
	v_pk_mul_f32 v[6:7], v[112:113], v[4:5] op_sel:[0,1]
	v_pk_fma_f32 v[110:111], v[112:113], v[2:3], v[6:7] op_sel:[0,0,1] op_sel_hi:[1,1,0] neg_lo:[0,0,1] neg_hi:[0,0,1]
	v_pk_fma_f32 v[6:7], v[112:113], v[2:3], v[6:7] op_sel:[0,0,1] op_sel_hi:[1,0,0]
	s_delay_alu instid0(VALU_DEP_1) | instskip(SKIP_1) | instid1(VALU_DEP_2)
	v_mov_b32_e32 v111, v7
	v_pk_add_f32 v[246:247], v[246:247], v[114:115] neg_lo:[0,1] neg_hi:[0,1]
	v_pk_add_f32 v[250:251], v[250:251], v[110:111] neg_lo:[0,1] neg_hi:[0,1]
	ds_load_2addr_b64 v[110:113], v126 offset0:59 offset1:60
	s_wait_dscnt 0x0
	v_pk_mul_f32 v[6:7], v[110:111], v[4:5] op_sel:[0,1]
	s_delay_alu instid0(VALU_DEP_1) | instskip(SKIP_1) | instid1(VALU_DEP_1)
	v_pk_fma_f32 v[114:115], v[110:111], v[2:3], v[6:7] op_sel:[0,0,1] op_sel_hi:[1,1,0] neg_lo:[0,0,1] neg_hi:[0,0,1]
	v_pk_fma_f32 v[6:7], v[110:111], v[2:3], v[6:7] op_sel:[0,0,1] op_sel_hi:[1,0,0]
	v_mov_b32_e32 v115, v7
	v_pk_mul_f32 v[6:7], v[112:113], v[4:5] op_sel:[0,1]
	s_delay_alu instid0(VALU_DEP_1) | instskip(SKIP_1) | instid1(VALU_DEP_1)
	v_pk_fma_f32 v[110:111], v[112:113], v[2:3], v[6:7] op_sel:[0,0,1] op_sel_hi:[1,1,0] neg_lo:[0,0,1] neg_hi:[0,0,1]
	v_pk_fma_f32 v[6:7], v[112:113], v[2:3], v[6:7] op_sel:[0,0,1] op_sel_hi:[1,0,0]
	v_mov_b32_e32 v111, v7
	v_pk_add_f32 v[244:245], v[244:245], v[114:115] neg_lo:[0,1] neg_hi:[0,1]
	s_delay_alu instid0(VALU_DEP_2) | instskip(SKIP_3) | instid1(VALU_DEP_1)
	v_pk_add_f32 v[248:249], v[248:249], v[110:111] neg_lo:[0,1] neg_hi:[0,1]
	ds_load_2addr_b64 v[110:113], v126 offset0:61 offset1:62
	s_wait_dscnt 0x0
	v_dual_mul_f32 v6, v111, v5 :: v_dual_mul_f32 v114, v111, v2
	v_pk_fma_f32 v[6:7], v[110:111], v[234:235], v[6:7] op_sel_hi:[1,1,0] neg_lo:[0,0,1] neg_hi:[0,0,1]
	s_delay_alu instid0(VALU_DEP_2) | instskip(NEXT) | instid1(VALU_DEP_1)
	v_pk_fma_f32 v[110:111], v[110:111], v[234:235], v[114:115] op_sel:[1,0,0] op_sel_hi:[0,1,0]
	v_mov_b32_e32 v7, v111
	s_delay_alu instid0(VALU_DEP_1) | instskip(SKIP_1) | instid1(VALU_DEP_1)
	v_pk_add_f32 v[242:243], v[242:243], v[6:7] neg_lo:[0,1] neg_hi:[0,1]
	v_pk_mul_f32 v[6:7], v[112:113], v[4:5] op_sel:[0,1]
	v_pk_fma_f32 v[110:111], v[112:113], v[2:3], v[6:7] op_sel:[0,0,1] op_sel_hi:[1,1,0] neg_lo:[0,0,1] neg_hi:[0,0,1]
	v_pk_fma_f32 v[6:7], v[112:113], v[2:3], v[6:7] op_sel:[0,0,1] op_sel_hi:[1,0,0]
	s_delay_alu instid0(VALU_DEP_1) | instskip(SKIP_4) | instid1(VALU_DEP_1)
	v_mov_b32_e32 v111, v7
	ds_load_b64 v[6:7], v126 offset:504
	v_pk_add_f32 v[254:255], v[254:255], v[110:111] neg_lo:[0,1] neg_hi:[0,1]
	s_wait_dscnt 0x0
	v_pk_mul_f32 v[4:5], v[6:7], v[4:5] op_sel:[0,1]
	v_pk_fma_f32 v[110:111], v[6:7], v[2:3], v[4:5] op_sel:[0,0,1] op_sel_hi:[1,1,0] neg_lo:[0,0,1] neg_hi:[0,0,1]
	v_pk_fma_f32 v[2:3], v[6:7], v[2:3], v[4:5] op_sel:[0,0,1] op_sel_hi:[1,0,0]
	s_delay_alu instid0(VALU_DEP_1) | instskip(NEXT) | instid1(VALU_DEP_1)
	v_mov_b32_e32 v111, v3
	v_pk_add_f32 v[0:1], v[0:1], v[110:111] neg_lo:[0,1] neg_hi:[0,1]
.LBB127_478:
	s_or_b32 exec_lo, exec_lo, s1
	s_delay_alu instid0(SALU_CYCLE_1)
	s_mov_b32 s2, exec_lo
	s_wait_dscnt 0x0
	s_barrier_signal -1
	s_barrier_wait -1
	v_cmpx_eq_u32_e32 53, v18
	s_cbranch_execz .LBB127_485
; %bb.479:
	v_dual_mov_b32 v2, v238 :: v_dual_mov_b32 v3, v239
	v_dual_mov_b32 v4, v240 :: v_dual_mov_b32 v5, v241
	ds_store_b64 v19, v[236:237]
	ds_store_2addr_b64 v126, v[2:3], v[4:5] offset0:54 offset1:55
	v_dual_mov_b32 v2, v252 :: v_dual_mov_b32 v3, v253
	v_dual_mov_b32 v4, v246 :: v_dual_mov_b32 v5, v247
	ds_store_2addr_b64 v126, v[2:3], v[4:5] offset0:56 offset1:57
	v_dual_mov_b32 v2, v250 :: v_dual_mov_b32 v3, v251
	v_dual_mov_b32 v4, v244 :: v_dual_mov_b32 v5, v245
	;; [unrolled: 3-line block ×3, first 2 shown]
	ds_store_2addr_b64 v126, v[2:3], v[4:5] offset0:60 offset1:61
	v_dual_mov_b32 v2, v254 :: v_dual_mov_b32 v3, v255
	ds_store_2addr_b64 v126, v[2:3], v[0:1] offset0:62 offset1:63
	ds_load_b64 v[2:3], v19
	s_wait_dscnt 0x0
	v_cmp_neq_f32_e32 vcc_lo, 0, v2
	v_cmp_neq_f32_e64 s1, 0, v3
	s_or_b32 s1, vcc_lo, s1
	s_delay_alu instid0(SALU_CYCLE_1)
	s_and_b32 exec_lo, exec_lo, s1
	s_cbranch_execz .LBB127_485
; %bb.480:
	v_cmp_ngt_f32_e64 s1, |v2|, |v3|
                                        ; implicit-def: $vgpr4_vgpr5
	s_and_saveexec_b32 s4, s1
	s_delay_alu instid0(SALU_CYCLE_1)
	s_xor_b32 s1, exec_lo, s4
	s_cbranch_execz .LBB127_482
; %bb.481:
	v_div_scale_f32 v4, null, v3, v3, v2
	v_div_scale_f32 v7, vcc_lo, v2, v3, v2
	s_delay_alu instid0(VALU_DEP_2) | instskip(SKIP_1) | instid1(TRANS32_DEP_1)
	v_rcp_f32_e32 v5, v4
	v_nop
	v_fma_f32 v6, -v4, v5, 1.0
	s_delay_alu instid0(VALU_DEP_1) | instskip(NEXT) | instid1(VALU_DEP_1)
	v_fmac_f32_e32 v5, v6, v5
	v_mul_f32_e32 v6, v7, v5
	s_delay_alu instid0(VALU_DEP_1) | instskip(NEXT) | instid1(VALU_DEP_1)
	v_fma_f32 v8, -v4, v6, v7
	v_fmac_f32_e32 v6, v8, v5
	s_delay_alu instid0(VALU_DEP_1) | instskip(NEXT) | instid1(VALU_DEP_1)
	v_fma_f32 v4, -v4, v6, v7
	v_div_fmas_f32 v4, v4, v5, v6
	s_delay_alu instid0(VALU_DEP_1) | instskip(NEXT) | instid1(VALU_DEP_1)
	v_div_fixup_f32 v4, v4, v3, v2
	v_fmac_f32_e32 v3, v2, v4
	s_delay_alu instid0(VALU_DEP_1) | instskip(SKIP_1) | instid1(VALU_DEP_2)
	v_div_scale_f32 v2, null, v3, v3, 1.0
	v_div_scale_f32 v7, vcc_lo, 1.0, v3, 1.0
	v_rcp_f32_e32 v5, v2
	v_nop
	s_delay_alu instid0(TRANS32_DEP_1) | instskip(NEXT) | instid1(VALU_DEP_1)
	v_fma_f32 v6, -v2, v5, 1.0
	v_fmac_f32_e32 v5, v6, v5
	s_delay_alu instid0(VALU_DEP_1) | instskip(NEXT) | instid1(VALU_DEP_1)
	v_mul_f32_e32 v6, v7, v5
	v_fma_f32 v8, -v2, v6, v7
	s_delay_alu instid0(VALU_DEP_1) | instskip(NEXT) | instid1(VALU_DEP_1)
	v_fmac_f32_e32 v6, v8, v5
	v_fma_f32 v2, -v2, v6, v7
	s_delay_alu instid0(VALU_DEP_1) | instskip(NEXT) | instid1(VALU_DEP_1)
	v_div_fmas_f32 v2, v2, v5, v6
	v_div_fixup_f32 v2, v2, v3, 1.0
	s_delay_alu instid0(VALU_DEP_1)
	v_mul_f32_e32 v4, v4, v2
	v_xor_b32_e32 v5, 0x80000000, v2
                                        ; implicit-def: $vgpr2_vgpr3
.LBB127_482:
	s_and_not1_saveexec_b32 s1, s1
	s_cbranch_execz .LBB127_484
; %bb.483:
	v_div_scale_f32 v4, null, v2, v2, v3
	v_div_scale_f32 v7, vcc_lo, v3, v2, v3
	s_delay_alu instid0(VALU_DEP_2) | instskip(SKIP_1) | instid1(TRANS32_DEP_1)
	v_rcp_f32_e32 v5, v4
	v_nop
	v_fma_f32 v6, -v4, v5, 1.0
	s_delay_alu instid0(VALU_DEP_1) | instskip(NEXT) | instid1(VALU_DEP_1)
	v_fmac_f32_e32 v5, v6, v5
	v_mul_f32_e32 v6, v7, v5
	s_delay_alu instid0(VALU_DEP_1) | instskip(NEXT) | instid1(VALU_DEP_1)
	v_fma_f32 v8, -v4, v6, v7
	v_fmac_f32_e32 v6, v8, v5
	s_delay_alu instid0(VALU_DEP_1) | instskip(NEXT) | instid1(VALU_DEP_1)
	v_fma_f32 v4, -v4, v6, v7
	v_div_fmas_f32 v4, v4, v5, v6
	s_delay_alu instid0(VALU_DEP_1) | instskip(NEXT) | instid1(VALU_DEP_1)
	v_div_fixup_f32 v5, v4, v2, v3
	v_fmac_f32_e32 v2, v3, v5
	s_delay_alu instid0(VALU_DEP_1) | instskip(NEXT) | instid1(VALU_DEP_1)
	v_div_scale_f32 v3, null, v2, v2, 1.0
	v_rcp_f32_e32 v4, v3
	v_nop
	s_delay_alu instid0(TRANS32_DEP_1) | instskip(NEXT) | instid1(VALU_DEP_1)
	v_fma_f32 v6, -v3, v4, 1.0
	v_fmac_f32_e32 v4, v6, v4
	v_div_scale_f32 v6, vcc_lo, 1.0, v2, 1.0
	s_delay_alu instid0(VALU_DEP_1) | instskip(NEXT) | instid1(VALU_DEP_1)
	v_mul_f32_e32 v7, v6, v4
	v_fma_f32 v8, -v3, v7, v6
	s_delay_alu instid0(VALU_DEP_1) | instskip(NEXT) | instid1(VALU_DEP_1)
	v_fmac_f32_e32 v7, v8, v4
	v_fma_f32 v3, -v3, v7, v6
	s_delay_alu instid0(VALU_DEP_1) | instskip(NEXT) | instid1(VALU_DEP_1)
	v_div_fmas_f32 v3, v3, v4, v7
	v_div_fixup_f32 v4, v3, v2, 1.0
	s_delay_alu instid0(VALU_DEP_1)
	v_mul_f32_e64 v5, v5, -v4
.LBB127_484:
	s_or_b32 exec_lo, exec_lo, s1
	ds_store_b64 v19, v[4:5]
.LBB127_485:
	s_or_b32 exec_lo, exec_lo, s2
	s_wait_dscnt 0x0
	s_barrier_signal -1
	s_barrier_wait -1
	ds_load_b64 v[110:111], v19
	s_mov_b32 s1, exec_lo
	v_cmpx_lt_u32_e32 53, v18
	s_cbranch_execz .LBB127_487
; %bb.486:
	ds_load_2addr_b64 v[112:115], v126 offset0:54 offset1:55
	s_wait_dscnt 0x1
	v_pk_mul_f32 v[4:5], v[110:111], v[236:237] op_sel:[1,1] op_sel_hi:[0,1]
	s_delay_alu instid0(VALU_DEP_1) | instskip(SKIP_1) | instid1(VALU_DEP_1)
	v_pk_fma_f32 v[2:3], v[110:111], v[236:237], v[4:5] op_sel_hi:[1,0,1] neg_lo:[0,0,1] neg_hi:[0,0,1]
	v_pk_fma_f32 v[4:5], v[110:111], v[236:237], v[4:5] op_sel_hi:[1,0,1]
	v_dual_mov_b32 v236, v2 :: v_dual_mov_b32 v237, v5
	s_wait_dscnt 0x0
	s_delay_alu instid0(VALU_DEP_2) | instskip(NEXT) | instid1(VALU_DEP_1)
	v_pk_mul_f32 v[6:7], v[112:113], v[4:5] op_sel:[0,1]
	v_pk_fma_f32 v[116:117], v[112:113], v[2:3], v[6:7] op_sel:[0,0,1] op_sel_hi:[1,1,0] neg_lo:[0,0,1] neg_hi:[0,0,1]
	v_pk_fma_f32 v[6:7], v[112:113], v[2:3], v[6:7] op_sel:[0,0,1] op_sel_hi:[1,0,0]
	s_delay_alu instid0(VALU_DEP_1) | instskip(SKIP_1) | instid1(VALU_DEP_1)
	v_mov_b32_e32 v117, v7
	v_pk_mul_f32 v[6:7], v[114:115], v[4:5] op_sel:[0,1]
	v_pk_fma_f32 v[112:113], v[114:115], v[2:3], v[6:7] op_sel:[0,0,1] op_sel_hi:[1,1,0] neg_lo:[0,0,1] neg_hi:[0,0,1]
	v_pk_fma_f32 v[6:7], v[114:115], v[2:3], v[6:7] op_sel:[0,0,1] op_sel_hi:[1,0,0]
	s_delay_alu instid0(VALU_DEP_1) | instskip(SKIP_1) | instid1(VALU_DEP_2)
	v_mov_b32_e32 v113, v7
	v_pk_add_f32 v[238:239], v[238:239], v[116:117] neg_lo:[0,1] neg_hi:[0,1]
	v_pk_add_f32 v[240:241], v[240:241], v[112:113] neg_lo:[0,1] neg_hi:[0,1]
	ds_load_2addr_b64 v[112:115], v126 offset0:56 offset1:57
	s_wait_dscnt 0x0
	v_pk_mul_f32 v[6:7], v[112:113], v[4:5] op_sel:[0,1]
	s_delay_alu instid0(VALU_DEP_1) | instskip(SKIP_2) | instid1(VALU_DEP_2)
	v_pk_fma_f32 v[116:117], v[112:113], v[2:3], v[6:7] op_sel:[0,0,1] op_sel_hi:[1,1,0] neg_lo:[0,0,1] neg_hi:[0,0,1]
	v_pk_fma_f32 v[6:7], v[112:113], v[2:3], v[6:7] op_sel:[0,0,1] op_sel_hi:[1,0,0]
	v_dual_mul_f32 v112, v115, v5 :: v_dual_mov_b32 v6, v115
	v_dual_mov_b32 v117, v7 :: v_dual_mov_b32 v7, v114
	s_delay_alu instid0(VALU_DEP_2) | instskip(SKIP_1) | instid1(VALU_DEP_3)
	v_pk_fma_f32 v[112:113], v[114:115], v[236:237], v[112:113] op_sel_hi:[1,1,0] neg_lo:[0,0,1] neg_hi:[0,0,1]
	v_mul_f32_e32 v114, v115, v2
	v_pk_add_f32 v[252:253], v[252:253], v[116:117] neg_lo:[0,1] neg_hi:[0,1]
	s_delay_alu instid0(VALU_DEP_2) | instskip(NEXT) | instid1(VALU_DEP_1)
	v_pk_fma_f32 v[6:7], v[6:7], v[236:237], v[114:115] op_sel_hi:[1,1,0]
	v_mov_b32_e32 v113, v7
	s_delay_alu instid0(VALU_DEP_1) | instskip(SKIP_3) | instid1(VALU_DEP_1)
	v_pk_add_f32 v[246:247], v[246:247], v[112:113] neg_lo:[0,1] neg_hi:[0,1]
	ds_load_2addr_b64 v[112:115], v126 offset0:58 offset1:59
	s_wait_dscnt 0x0
	v_pk_mul_f32 v[6:7], v[112:113], v[4:5] op_sel:[0,1]
	v_pk_fma_f32 v[116:117], v[112:113], v[2:3], v[6:7] op_sel:[0,0,1] op_sel_hi:[1,1,0] neg_lo:[0,0,1] neg_hi:[0,0,1]
	v_pk_fma_f32 v[6:7], v[112:113], v[2:3], v[6:7] op_sel:[0,0,1] op_sel_hi:[1,0,0]
	s_delay_alu instid0(VALU_DEP_1) | instskip(SKIP_1) | instid1(VALU_DEP_2)
	v_mov_b32_e32 v117, v7
	v_pk_mul_f32 v[6:7], v[114:115], v[4:5] op_sel:[0,1]
	v_pk_add_f32 v[250:251], v[250:251], v[116:117] neg_lo:[0,1] neg_hi:[0,1]
	s_delay_alu instid0(VALU_DEP_2) | instskip(SKIP_1) | instid1(VALU_DEP_1)
	v_pk_fma_f32 v[112:113], v[114:115], v[2:3], v[6:7] op_sel:[0,0,1] op_sel_hi:[1,1,0] neg_lo:[0,0,1] neg_hi:[0,0,1]
	v_pk_fma_f32 v[6:7], v[114:115], v[2:3], v[6:7] op_sel:[0,0,1] op_sel_hi:[1,0,0]
	v_mov_b32_e32 v113, v7
	s_delay_alu instid0(VALU_DEP_1) | instskip(SKIP_3) | instid1(VALU_DEP_1)
	v_pk_add_f32 v[244:245], v[244:245], v[112:113] neg_lo:[0,1] neg_hi:[0,1]
	ds_load_2addr_b64 v[112:115], v126 offset0:60 offset1:61
	s_wait_dscnt 0x0
	v_pk_mul_f32 v[6:7], v[112:113], v[4:5] op_sel:[0,1]
	v_pk_fma_f32 v[116:117], v[112:113], v[2:3], v[6:7] op_sel:[0,0,1] op_sel_hi:[1,1,0] neg_lo:[0,0,1] neg_hi:[0,0,1]
	v_pk_fma_f32 v[6:7], v[112:113], v[2:3], v[6:7] op_sel:[0,0,1] op_sel_hi:[1,0,0]
	s_delay_alu instid0(VALU_DEP_1) | instskip(SKIP_1) | instid1(VALU_DEP_2)
	v_mov_b32_e32 v117, v7
	v_pk_mul_f32 v[6:7], v[114:115], v[4:5] op_sel:[0,1]
	v_pk_add_f32 v[248:249], v[248:249], v[116:117] neg_lo:[0,1] neg_hi:[0,1]
	s_delay_alu instid0(VALU_DEP_2) | instskip(SKIP_1) | instid1(VALU_DEP_1)
	v_pk_fma_f32 v[112:113], v[114:115], v[2:3], v[6:7] op_sel:[0,0,1] op_sel_hi:[1,1,0] neg_lo:[0,0,1] neg_hi:[0,0,1]
	v_pk_fma_f32 v[6:7], v[114:115], v[2:3], v[6:7] op_sel:[0,0,1] op_sel_hi:[1,0,0]
	v_mov_b32_e32 v113, v7
	s_delay_alu instid0(VALU_DEP_1) | instskip(SKIP_4) | instid1(VALU_DEP_2)
	v_pk_add_f32 v[242:243], v[242:243], v[112:113] neg_lo:[0,1] neg_hi:[0,1]
	ds_load_2addr_b64 v[112:115], v126 offset0:62 offset1:63
	s_wait_dscnt 0x0
	v_dual_mul_f32 v6, v113, v5 :: v_dual_mul_f32 v116, v113, v2
	v_pk_mul_f32 v[4:5], v[114:115], v[4:5] op_sel:[0,1]
	v_pk_fma_f32 v[6:7], v[112:113], v[236:237], v[6:7] op_sel_hi:[1,1,0] neg_lo:[0,0,1] neg_hi:[0,0,1]
	s_delay_alu instid0(VALU_DEP_3) | instskip(NEXT) | instid1(VALU_DEP_1)
	v_pk_fma_f32 v[112:113], v[112:113], v[236:237], v[116:117] op_sel:[1,0,0] op_sel_hi:[0,1,0]
	v_mov_b32_e32 v7, v113
	s_delay_alu instid0(VALU_DEP_1) | instskip(SKIP_2) | instid1(VALU_DEP_1)
	v_pk_add_f32 v[254:255], v[254:255], v[6:7] neg_lo:[0,1] neg_hi:[0,1]
	v_pk_fma_f32 v[6:7], v[114:115], v[2:3], v[4:5] op_sel:[0,0,1] op_sel_hi:[1,1,0] neg_lo:[0,0,1] neg_hi:[0,0,1]
	v_pk_fma_f32 v[2:3], v[114:115], v[2:3], v[4:5] op_sel:[0,0,1] op_sel_hi:[1,0,0]
	v_mov_b32_e32 v7, v3
	s_delay_alu instid0(VALU_DEP_1)
	v_pk_add_f32 v[0:1], v[0:1], v[6:7] neg_lo:[0,1] neg_hi:[0,1]
.LBB127_487:
	s_or_b32 exec_lo, exec_lo, s1
	s_delay_alu instid0(SALU_CYCLE_1)
	s_mov_b32 s2, exec_lo
	s_wait_dscnt 0x0
	s_barrier_signal -1
	s_barrier_wait -1
	v_cmpx_eq_u32_e32 54, v18
	s_cbranch_execz .LBB127_494
; %bb.488:
	ds_store_b64 v19, v[238:239]
	ds_store_2addr_b64 v126, v[240:241], v[252:253] offset0:55 offset1:56
	ds_store_2addr_b64 v126, v[246:247], v[250:251] offset0:57 offset1:58
	;; [unrolled: 1-line block ×4, first 2 shown]
	ds_store_b64 v126, v[0:1] offset:504
	ds_load_b64 v[2:3], v19
	s_wait_dscnt 0x0
	v_cmp_neq_f32_e32 vcc_lo, 0, v2
	v_cmp_neq_f32_e64 s1, 0, v3
	s_or_b32 s1, vcc_lo, s1
	s_delay_alu instid0(SALU_CYCLE_1)
	s_and_b32 exec_lo, exec_lo, s1
	s_cbranch_execz .LBB127_494
; %bb.489:
	v_cmp_ngt_f32_e64 s1, |v2|, |v3|
                                        ; implicit-def: $vgpr4_vgpr5
	s_and_saveexec_b32 s4, s1
	s_delay_alu instid0(SALU_CYCLE_1)
	s_xor_b32 s1, exec_lo, s4
	s_cbranch_execz .LBB127_491
; %bb.490:
	v_div_scale_f32 v4, null, v3, v3, v2
	v_div_scale_f32 v7, vcc_lo, v2, v3, v2
	s_delay_alu instid0(VALU_DEP_2) | instskip(SKIP_1) | instid1(TRANS32_DEP_1)
	v_rcp_f32_e32 v5, v4
	v_nop
	v_fma_f32 v6, -v4, v5, 1.0
	s_delay_alu instid0(VALU_DEP_1) | instskip(NEXT) | instid1(VALU_DEP_1)
	v_fmac_f32_e32 v5, v6, v5
	v_mul_f32_e32 v6, v7, v5
	s_delay_alu instid0(VALU_DEP_1) | instskip(NEXT) | instid1(VALU_DEP_1)
	v_fma_f32 v8, -v4, v6, v7
	v_fmac_f32_e32 v6, v8, v5
	s_delay_alu instid0(VALU_DEP_1) | instskip(NEXT) | instid1(VALU_DEP_1)
	v_fma_f32 v4, -v4, v6, v7
	v_div_fmas_f32 v4, v4, v5, v6
	s_delay_alu instid0(VALU_DEP_1) | instskip(NEXT) | instid1(VALU_DEP_1)
	v_div_fixup_f32 v4, v4, v3, v2
	v_fmac_f32_e32 v3, v2, v4
	s_delay_alu instid0(VALU_DEP_1) | instskip(SKIP_1) | instid1(VALU_DEP_2)
	v_div_scale_f32 v2, null, v3, v3, 1.0
	v_div_scale_f32 v7, vcc_lo, 1.0, v3, 1.0
	v_rcp_f32_e32 v5, v2
	v_nop
	s_delay_alu instid0(TRANS32_DEP_1) | instskip(NEXT) | instid1(VALU_DEP_1)
	v_fma_f32 v6, -v2, v5, 1.0
	v_fmac_f32_e32 v5, v6, v5
	s_delay_alu instid0(VALU_DEP_1) | instskip(NEXT) | instid1(VALU_DEP_1)
	v_mul_f32_e32 v6, v7, v5
	v_fma_f32 v8, -v2, v6, v7
	s_delay_alu instid0(VALU_DEP_1) | instskip(NEXT) | instid1(VALU_DEP_1)
	v_fmac_f32_e32 v6, v8, v5
	v_fma_f32 v2, -v2, v6, v7
	s_delay_alu instid0(VALU_DEP_1) | instskip(NEXT) | instid1(VALU_DEP_1)
	v_div_fmas_f32 v2, v2, v5, v6
	v_div_fixup_f32 v2, v2, v3, 1.0
	s_delay_alu instid0(VALU_DEP_1)
	v_mul_f32_e32 v4, v4, v2
	v_xor_b32_e32 v5, 0x80000000, v2
                                        ; implicit-def: $vgpr2_vgpr3
.LBB127_491:
	s_and_not1_saveexec_b32 s1, s1
	s_cbranch_execz .LBB127_493
; %bb.492:
	v_div_scale_f32 v4, null, v2, v2, v3
	v_div_scale_f32 v7, vcc_lo, v3, v2, v3
	s_delay_alu instid0(VALU_DEP_2) | instskip(SKIP_1) | instid1(TRANS32_DEP_1)
	v_rcp_f32_e32 v5, v4
	v_nop
	v_fma_f32 v6, -v4, v5, 1.0
	s_delay_alu instid0(VALU_DEP_1) | instskip(NEXT) | instid1(VALU_DEP_1)
	v_fmac_f32_e32 v5, v6, v5
	v_mul_f32_e32 v6, v7, v5
	s_delay_alu instid0(VALU_DEP_1) | instskip(NEXT) | instid1(VALU_DEP_1)
	v_fma_f32 v8, -v4, v6, v7
	v_fmac_f32_e32 v6, v8, v5
	s_delay_alu instid0(VALU_DEP_1) | instskip(NEXT) | instid1(VALU_DEP_1)
	v_fma_f32 v4, -v4, v6, v7
	v_div_fmas_f32 v4, v4, v5, v6
	s_delay_alu instid0(VALU_DEP_1) | instskip(NEXT) | instid1(VALU_DEP_1)
	v_div_fixup_f32 v5, v4, v2, v3
	v_fmac_f32_e32 v2, v3, v5
	s_delay_alu instid0(VALU_DEP_1) | instskip(NEXT) | instid1(VALU_DEP_1)
	v_div_scale_f32 v3, null, v2, v2, 1.0
	v_rcp_f32_e32 v4, v3
	v_nop
	s_delay_alu instid0(TRANS32_DEP_1) | instskip(NEXT) | instid1(VALU_DEP_1)
	v_fma_f32 v6, -v3, v4, 1.0
	v_fmac_f32_e32 v4, v6, v4
	v_div_scale_f32 v6, vcc_lo, 1.0, v2, 1.0
	s_delay_alu instid0(VALU_DEP_1) | instskip(NEXT) | instid1(VALU_DEP_1)
	v_mul_f32_e32 v7, v6, v4
	v_fma_f32 v8, -v3, v7, v6
	s_delay_alu instid0(VALU_DEP_1) | instskip(NEXT) | instid1(VALU_DEP_1)
	v_fmac_f32_e32 v7, v8, v4
	v_fma_f32 v3, -v3, v7, v6
	s_delay_alu instid0(VALU_DEP_1) | instskip(NEXT) | instid1(VALU_DEP_1)
	v_div_fmas_f32 v3, v3, v4, v7
	v_div_fixup_f32 v4, v3, v2, 1.0
	s_delay_alu instid0(VALU_DEP_1)
	v_mul_f32_e64 v5, v5, -v4
.LBB127_493:
	s_or_b32 exec_lo, exec_lo, s1
	ds_store_b64 v19, v[4:5]
.LBB127_494:
	s_or_b32 exec_lo, exec_lo, s2
	s_wait_dscnt 0x0
	s_barrier_signal -1
	s_barrier_wait -1
	ds_load_b64 v[112:113], v19
	s_mov_b32 s1, exec_lo
	v_cmpx_lt_u32_e32 54, v18
	s_cbranch_execz .LBB127_496
; %bb.495:
	ds_load_2addr_b64 v[114:117], v126 offset0:55 offset1:56
	s_wait_dscnt 0x1
	v_pk_mul_f32 v[4:5], v[112:113], v[238:239] op_sel:[1,1] op_sel_hi:[0,1]
	s_delay_alu instid0(VALU_DEP_1) | instskip(SKIP_1) | instid1(VALU_DEP_1)
	v_pk_fma_f32 v[2:3], v[112:113], v[238:239], v[4:5] op_sel_hi:[1,0,1] neg_lo:[0,0,1] neg_hi:[0,0,1]
	v_pk_fma_f32 v[4:5], v[112:113], v[238:239], v[4:5] op_sel_hi:[1,0,1]
	v_dual_mov_b32 v238, v2 :: v_dual_mov_b32 v239, v5
	s_wait_dscnt 0x0
	s_delay_alu instid0(VALU_DEP_2) | instskip(NEXT) | instid1(VALU_DEP_1)
	v_pk_mul_f32 v[6:7], v[114:115], v[4:5] op_sel:[0,1]
	v_pk_fma_f32 v[118:119], v[114:115], v[2:3], v[6:7] op_sel:[0,0,1] op_sel_hi:[1,1,0] neg_lo:[0,0,1] neg_hi:[0,0,1]
	v_pk_fma_f32 v[6:7], v[114:115], v[2:3], v[6:7] op_sel:[0,0,1] op_sel_hi:[1,0,0]
	s_delay_alu instid0(VALU_DEP_1) | instskip(SKIP_1) | instid1(VALU_DEP_1)
	v_mov_b32_e32 v119, v7
	v_pk_mul_f32 v[6:7], v[116:117], v[4:5] op_sel:[0,1]
	v_pk_fma_f32 v[114:115], v[116:117], v[2:3], v[6:7] op_sel:[0,0,1] op_sel_hi:[1,1,0] neg_lo:[0,0,1] neg_hi:[0,0,1]
	v_pk_fma_f32 v[6:7], v[116:117], v[2:3], v[6:7] op_sel:[0,0,1] op_sel_hi:[1,0,0]
	s_delay_alu instid0(VALU_DEP_1) | instskip(SKIP_1) | instid1(VALU_DEP_2)
	v_mov_b32_e32 v115, v7
	v_pk_add_f32 v[240:241], v[240:241], v[118:119] neg_lo:[0,1] neg_hi:[0,1]
	v_pk_add_f32 v[252:253], v[252:253], v[114:115] neg_lo:[0,1] neg_hi:[0,1]
	ds_load_2addr_b64 v[114:117], v126 offset0:57 offset1:58
	s_wait_dscnt 0x0
	v_pk_mul_f32 v[6:7], v[114:115], v[4:5] op_sel:[0,1]
	s_delay_alu instid0(VALU_DEP_1) | instskip(SKIP_2) | instid1(VALU_DEP_2)
	v_pk_fma_f32 v[118:119], v[114:115], v[2:3], v[6:7] op_sel:[0,0,1] op_sel_hi:[1,1,0] neg_lo:[0,0,1] neg_hi:[0,0,1]
	v_pk_fma_f32 v[6:7], v[114:115], v[2:3], v[6:7] op_sel:[0,0,1] op_sel_hi:[1,0,0]
	v_dual_mul_f32 v114, v117, v5 :: v_dual_mov_b32 v6, v117
	v_dual_mov_b32 v119, v7 :: v_dual_mov_b32 v7, v116
	s_delay_alu instid0(VALU_DEP_2) | instskip(SKIP_1) | instid1(VALU_DEP_3)
	v_pk_fma_f32 v[114:115], v[116:117], v[238:239], v[114:115] op_sel_hi:[1,1,0] neg_lo:[0,0,1] neg_hi:[0,0,1]
	v_mul_f32_e32 v116, v117, v2
	v_pk_add_f32 v[246:247], v[246:247], v[118:119] neg_lo:[0,1] neg_hi:[0,1]
	s_delay_alu instid0(VALU_DEP_2) | instskip(NEXT) | instid1(VALU_DEP_1)
	v_pk_fma_f32 v[6:7], v[6:7], v[238:239], v[116:117] op_sel_hi:[1,1,0]
	v_mov_b32_e32 v115, v7
	s_delay_alu instid0(VALU_DEP_1) | instskip(SKIP_3) | instid1(VALU_DEP_1)
	v_pk_add_f32 v[250:251], v[250:251], v[114:115] neg_lo:[0,1] neg_hi:[0,1]
	ds_load_2addr_b64 v[114:117], v126 offset0:59 offset1:60
	s_wait_dscnt 0x0
	v_pk_mul_f32 v[6:7], v[114:115], v[4:5] op_sel:[0,1]
	v_pk_fma_f32 v[118:119], v[114:115], v[2:3], v[6:7] op_sel:[0,0,1] op_sel_hi:[1,1,0] neg_lo:[0,0,1] neg_hi:[0,0,1]
	v_pk_fma_f32 v[6:7], v[114:115], v[2:3], v[6:7] op_sel:[0,0,1] op_sel_hi:[1,0,0]
	s_delay_alu instid0(VALU_DEP_1) | instskip(SKIP_1) | instid1(VALU_DEP_1)
	v_mov_b32_e32 v119, v7
	v_pk_mul_f32 v[6:7], v[116:117], v[4:5] op_sel:[0,1]
	v_pk_fma_f32 v[114:115], v[116:117], v[2:3], v[6:7] op_sel:[0,0,1] op_sel_hi:[1,1,0] neg_lo:[0,0,1] neg_hi:[0,0,1]
	v_pk_fma_f32 v[6:7], v[116:117], v[2:3], v[6:7] op_sel:[0,0,1] op_sel_hi:[1,0,0]
	s_delay_alu instid0(VALU_DEP_1) | instskip(SKIP_1) | instid1(VALU_DEP_2)
	v_mov_b32_e32 v115, v7
	v_pk_add_f32 v[244:245], v[244:245], v[118:119] neg_lo:[0,1] neg_hi:[0,1]
	v_pk_add_f32 v[248:249], v[248:249], v[114:115] neg_lo:[0,1] neg_hi:[0,1]
	ds_load_2addr_b64 v[114:117], v126 offset0:61 offset1:62
	s_wait_dscnt 0x0
	v_pk_mul_f32 v[6:7], v[114:115], v[4:5] op_sel:[0,1]
	s_delay_alu instid0(VALU_DEP_1) | instskip(SKIP_1) | instid1(VALU_DEP_1)
	v_pk_fma_f32 v[118:119], v[114:115], v[2:3], v[6:7] op_sel:[0,0,1] op_sel_hi:[1,1,0] neg_lo:[0,0,1] neg_hi:[0,0,1]
	v_pk_fma_f32 v[6:7], v[114:115], v[2:3], v[6:7] op_sel:[0,0,1] op_sel_hi:[1,0,0]
	v_mov_b32_e32 v119, v7
	v_pk_mul_f32 v[6:7], v[116:117], v[4:5] op_sel:[0,1]
	s_delay_alu instid0(VALU_DEP_1) | instskip(SKIP_1) | instid1(VALU_DEP_1)
	v_pk_fma_f32 v[114:115], v[116:117], v[2:3], v[6:7] op_sel:[0,0,1] op_sel_hi:[1,1,0] neg_lo:[0,0,1] neg_hi:[0,0,1]
	v_pk_fma_f32 v[6:7], v[116:117], v[2:3], v[6:7] op_sel:[0,0,1] op_sel_hi:[1,0,0]
	v_mov_b32_e32 v115, v7
	ds_load_b64 v[6:7], v126 offset:504
	v_pk_add_f32 v[242:243], v[242:243], v[118:119] neg_lo:[0,1] neg_hi:[0,1]
	v_pk_add_f32 v[254:255], v[254:255], v[114:115] neg_lo:[0,1] neg_hi:[0,1]
	s_wait_dscnt 0x0
	v_pk_mul_f32 v[4:5], v[6:7], v[4:5] op_sel:[0,1]
	s_delay_alu instid0(VALU_DEP_1) | instskip(SKIP_1) | instid1(VALU_DEP_1)
	v_pk_fma_f32 v[114:115], v[6:7], v[2:3], v[4:5] op_sel:[0,0,1] op_sel_hi:[1,1,0] neg_lo:[0,0,1] neg_hi:[0,0,1]
	v_pk_fma_f32 v[2:3], v[6:7], v[2:3], v[4:5] op_sel:[0,0,1] op_sel_hi:[1,0,0]
	v_mov_b32_e32 v115, v3
	s_delay_alu instid0(VALU_DEP_1)
	v_pk_add_f32 v[0:1], v[0:1], v[114:115] neg_lo:[0,1] neg_hi:[0,1]
.LBB127_496:
	s_or_b32 exec_lo, exec_lo, s1
	s_delay_alu instid0(SALU_CYCLE_1)
	s_mov_b32 s2, exec_lo
	s_wait_dscnt 0x0
	s_barrier_signal -1
	s_barrier_wait -1
	v_cmpx_eq_u32_e32 55, v18
	s_cbranch_execz .LBB127_503
; %bb.497:
	v_dual_mov_b32 v2, v252 :: v_dual_mov_b32 v3, v253
	v_dual_mov_b32 v4, v246 :: v_dual_mov_b32 v5, v247
	ds_store_b64 v19, v[240:241]
	ds_store_2addr_b64 v126, v[2:3], v[4:5] offset0:56 offset1:57
	v_dual_mov_b32 v2, v250 :: v_dual_mov_b32 v3, v251
	v_dual_mov_b32 v4, v244 :: v_dual_mov_b32 v5, v245
	ds_store_2addr_b64 v126, v[2:3], v[4:5] offset0:58 offset1:59
	v_dual_mov_b32 v2, v248 :: v_dual_mov_b32 v3, v249
	v_dual_mov_b32 v4, v242 :: v_dual_mov_b32 v5, v243
	ds_store_2addr_b64 v126, v[2:3], v[4:5] offset0:60 offset1:61
	v_dual_mov_b32 v2, v254 :: v_dual_mov_b32 v3, v255
	ds_store_2addr_b64 v126, v[2:3], v[0:1] offset0:62 offset1:63
	ds_load_b64 v[2:3], v19
	s_wait_dscnt 0x0
	v_cmp_neq_f32_e32 vcc_lo, 0, v2
	v_cmp_neq_f32_e64 s1, 0, v3
	s_or_b32 s1, vcc_lo, s1
	s_delay_alu instid0(SALU_CYCLE_1)
	s_and_b32 exec_lo, exec_lo, s1
	s_cbranch_execz .LBB127_503
; %bb.498:
	v_cmp_ngt_f32_e64 s1, |v2|, |v3|
                                        ; implicit-def: $vgpr4_vgpr5
	s_and_saveexec_b32 s4, s1
	s_delay_alu instid0(SALU_CYCLE_1)
	s_xor_b32 s1, exec_lo, s4
	s_cbranch_execz .LBB127_500
; %bb.499:
	v_div_scale_f32 v4, null, v3, v3, v2
	v_div_scale_f32 v7, vcc_lo, v2, v3, v2
	s_delay_alu instid0(VALU_DEP_2) | instskip(SKIP_1) | instid1(TRANS32_DEP_1)
	v_rcp_f32_e32 v5, v4
	v_nop
	v_fma_f32 v6, -v4, v5, 1.0
	s_delay_alu instid0(VALU_DEP_1) | instskip(NEXT) | instid1(VALU_DEP_1)
	v_fmac_f32_e32 v5, v6, v5
	v_mul_f32_e32 v6, v7, v5
	s_delay_alu instid0(VALU_DEP_1) | instskip(NEXT) | instid1(VALU_DEP_1)
	v_fma_f32 v8, -v4, v6, v7
	v_fmac_f32_e32 v6, v8, v5
	s_delay_alu instid0(VALU_DEP_1) | instskip(NEXT) | instid1(VALU_DEP_1)
	v_fma_f32 v4, -v4, v6, v7
	v_div_fmas_f32 v4, v4, v5, v6
	s_delay_alu instid0(VALU_DEP_1) | instskip(NEXT) | instid1(VALU_DEP_1)
	v_div_fixup_f32 v4, v4, v3, v2
	v_fmac_f32_e32 v3, v2, v4
	s_delay_alu instid0(VALU_DEP_1) | instskip(SKIP_1) | instid1(VALU_DEP_2)
	v_div_scale_f32 v2, null, v3, v3, 1.0
	v_div_scale_f32 v7, vcc_lo, 1.0, v3, 1.0
	v_rcp_f32_e32 v5, v2
	v_nop
	s_delay_alu instid0(TRANS32_DEP_1) | instskip(NEXT) | instid1(VALU_DEP_1)
	v_fma_f32 v6, -v2, v5, 1.0
	v_fmac_f32_e32 v5, v6, v5
	s_delay_alu instid0(VALU_DEP_1) | instskip(NEXT) | instid1(VALU_DEP_1)
	v_mul_f32_e32 v6, v7, v5
	v_fma_f32 v8, -v2, v6, v7
	s_delay_alu instid0(VALU_DEP_1) | instskip(NEXT) | instid1(VALU_DEP_1)
	v_fmac_f32_e32 v6, v8, v5
	v_fma_f32 v2, -v2, v6, v7
	s_delay_alu instid0(VALU_DEP_1) | instskip(NEXT) | instid1(VALU_DEP_1)
	v_div_fmas_f32 v2, v2, v5, v6
	v_div_fixup_f32 v2, v2, v3, 1.0
	s_delay_alu instid0(VALU_DEP_1)
	v_mul_f32_e32 v4, v4, v2
	v_xor_b32_e32 v5, 0x80000000, v2
                                        ; implicit-def: $vgpr2_vgpr3
.LBB127_500:
	s_and_not1_saveexec_b32 s1, s1
	s_cbranch_execz .LBB127_502
; %bb.501:
	v_div_scale_f32 v4, null, v2, v2, v3
	v_div_scale_f32 v7, vcc_lo, v3, v2, v3
	s_delay_alu instid0(VALU_DEP_2) | instskip(SKIP_1) | instid1(TRANS32_DEP_1)
	v_rcp_f32_e32 v5, v4
	v_nop
	v_fma_f32 v6, -v4, v5, 1.0
	s_delay_alu instid0(VALU_DEP_1) | instskip(NEXT) | instid1(VALU_DEP_1)
	v_fmac_f32_e32 v5, v6, v5
	v_mul_f32_e32 v6, v7, v5
	s_delay_alu instid0(VALU_DEP_1) | instskip(NEXT) | instid1(VALU_DEP_1)
	v_fma_f32 v8, -v4, v6, v7
	v_fmac_f32_e32 v6, v8, v5
	s_delay_alu instid0(VALU_DEP_1) | instskip(NEXT) | instid1(VALU_DEP_1)
	v_fma_f32 v4, -v4, v6, v7
	v_div_fmas_f32 v4, v4, v5, v6
	s_delay_alu instid0(VALU_DEP_1) | instskip(NEXT) | instid1(VALU_DEP_1)
	v_div_fixup_f32 v5, v4, v2, v3
	v_fmac_f32_e32 v2, v3, v5
	s_delay_alu instid0(VALU_DEP_1) | instskip(NEXT) | instid1(VALU_DEP_1)
	v_div_scale_f32 v3, null, v2, v2, 1.0
	v_rcp_f32_e32 v4, v3
	v_nop
	s_delay_alu instid0(TRANS32_DEP_1) | instskip(NEXT) | instid1(VALU_DEP_1)
	v_fma_f32 v6, -v3, v4, 1.0
	v_fmac_f32_e32 v4, v6, v4
	v_div_scale_f32 v6, vcc_lo, 1.0, v2, 1.0
	s_delay_alu instid0(VALU_DEP_1) | instskip(NEXT) | instid1(VALU_DEP_1)
	v_mul_f32_e32 v7, v6, v4
	v_fma_f32 v8, -v3, v7, v6
	s_delay_alu instid0(VALU_DEP_1) | instskip(NEXT) | instid1(VALU_DEP_1)
	v_fmac_f32_e32 v7, v8, v4
	v_fma_f32 v3, -v3, v7, v6
	s_delay_alu instid0(VALU_DEP_1) | instskip(NEXT) | instid1(VALU_DEP_1)
	v_div_fmas_f32 v3, v3, v4, v7
	v_div_fixup_f32 v4, v3, v2, 1.0
	s_delay_alu instid0(VALU_DEP_1)
	v_mul_f32_e64 v5, v5, -v4
.LBB127_502:
	s_or_b32 exec_lo, exec_lo, s1
	ds_store_b64 v19, v[4:5]
.LBB127_503:
	s_or_b32 exec_lo, exec_lo, s2
	s_wait_dscnt 0x0
	s_barrier_signal -1
	s_barrier_wait -1
	ds_load_b64 v[114:115], v19
	s_mov_b32 s1, exec_lo
	v_cmpx_lt_u32_e32 55, v18
	s_cbranch_execz .LBB127_505
; %bb.504:
	ds_load_2addr_b64 v[116:119], v126 offset0:56 offset1:57
	s_wait_dscnt 0x1
	v_pk_mul_f32 v[4:5], v[114:115], v[240:241] op_sel:[1,1] op_sel_hi:[0,1]
	s_delay_alu instid0(VALU_DEP_1) | instskip(SKIP_1) | instid1(VALU_DEP_1)
	v_pk_fma_f32 v[2:3], v[114:115], v[240:241], v[4:5] op_sel_hi:[1,0,1] neg_lo:[0,0,1] neg_hi:[0,0,1]
	v_pk_fma_f32 v[4:5], v[114:115], v[240:241], v[4:5] op_sel_hi:[1,0,1]
	v_dual_mov_b32 v240, v2 :: v_dual_mov_b32 v241, v5
	s_wait_dscnt 0x0
	s_delay_alu instid0(VALU_DEP_2) | instskip(NEXT) | instid1(VALU_DEP_1)
	v_pk_mul_f32 v[6:7], v[116:117], v[4:5] op_sel:[0,1]
	v_pk_fma_f32 v[120:121], v[116:117], v[2:3], v[6:7] op_sel:[0,0,1] op_sel_hi:[1,1,0] neg_lo:[0,0,1] neg_hi:[0,0,1]
	v_pk_fma_f32 v[6:7], v[116:117], v[2:3], v[6:7] op_sel:[0,0,1] op_sel_hi:[1,0,0]
	s_delay_alu instid0(VALU_DEP_1) | instskip(SKIP_1) | instid1(VALU_DEP_1)
	v_mov_b32_e32 v121, v7
	v_pk_mul_f32 v[6:7], v[118:119], v[4:5] op_sel:[0,1]
	v_pk_fma_f32 v[116:117], v[118:119], v[2:3], v[6:7] op_sel:[0,0,1] op_sel_hi:[1,1,0] neg_lo:[0,0,1] neg_hi:[0,0,1]
	v_pk_fma_f32 v[6:7], v[118:119], v[2:3], v[6:7] op_sel:[0,0,1] op_sel_hi:[1,0,0]
	s_delay_alu instid0(VALU_DEP_1) | instskip(SKIP_1) | instid1(VALU_DEP_2)
	v_mov_b32_e32 v117, v7
	v_pk_add_f32 v[252:253], v[252:253], v[120:121] neg_lo:[0,1] neg_hi:[0,1]
	v_pk_add_f32 v[246:247], v[246:247], v[116:117] neg_lo:[0,1] neg_hi:[0,1]
	ds_load_2addr_b64 v[116:119], v126 offset0:58 offset1:59
	s_wait_dscnt 0x0
	v_pk_mul_f32 v[6:7], v[116:117], v[4:5] op_sel:[0,1]
	s_delay_alu instid0(VALU_DEP_1) | instskip(SKIP_2) | instid1(VALU_DEP_2)
	v_pk_fma_f32 v[120:121], v[116:117], v[2:3], v[6:7] op_sel:[0,0,1] op_sel_hi:[1,1,0] neg_lo:[0,0,1] neg_hi:[0,0,1]
	v_pk_fma_f32 v[6:7], v[116:117], v[2:3], v[6:7] op_sel:[0,0,1] op_sel_hi:[1,0,0]
	v_dual_mul_f32 v116, v119, v5 :: v_dual_mov_b32 v6, v119
	v_dual_mov_b32 v121, v7 :: v_dual_mov_b32 v7, v118
	s_delay_alu instid0(VALU_DEP_2) | instskip(SKIP_1) | instid1(VALU_DEP_3)
	v_pk_fma_f32 v[116:117], v[118:119], v[240:241], v[116:117] op_sel_hi:[1,1,0] neg_lo:[0,0,1] neg_hi:[0,0,1]
	v_mul_f32_e32 v118, v119, v2
	v_pk_add_f32 v[250:251], v[250:251], v[120:121] neg_lo:[0,1] neg_hi:[0,1]
	s_delay_alu instid0(VALU_DEP_2) | instskip(NEXT) | instid1(VALU_DEP_1)
	v_pk_fma_f32 v[6:7], v[6:7], v[240:241], v[118:119] op_sel_hi:[1,1,0]
	v_mov_b32_e32 v117, v7
	s_delay_alu instid0(VALU_DEP_1) | instskip(SKIP_3) | instid1(VALU_DEP_1)
	v_pk_add_f32 v[244:245], v[244:245], v[116:117] neg_lo:[0,1] neg_hi:[0,1]
	ds_load_2addr_b64 v[116:119], v126 offset0:60 offset1:61
	s_wait_dscnt 0x0
	v_pk_mul_f32 v[6:7], v[116:117], v[4:5] op_sel:[0,1]
	v_pk_fma_f32 v[120:121], v[116:117], v[2:3], v[6:7] op_sel:[0,0,1] op_sel_hi:[1,1,0] neg_lo:[0,0,1] neg_hi:[0,0,1]
	v_pk_fma_f32 v[6:7], v[116:117], v[2:3], v[6:7] op_sel:[0,0,1] op_sel_hi:[1,0,0]
	s_delay_alu instid0(VALU_DEP_1) | instskip(SKIP_1) | instid1(VALU_DEP_2)
	v_mov_b32_e32 v121, v7
	v_pk_mul_f32 v[6:7], v[118:119], v[4:5] op_sel:[0,1]
	v_pk_add_f32 v[248:249], v[248:249], v[120:121] neg_lo:[0,1] neg_hi:[0,1]
	s_delay_alu instid0(VALU_DEP_2) | instskip(SKIP_1) | instid1(VALU_DEP_1)
	v_pk_fma_f32 v[116:117], v[118:119], v[2:3], v[6:7] op_sel:[0,0,1] op_sel_hi:[1,1,0] neg_lo:[0,0,1] neg_hi:[0,0,1]
	v_pk_fma_f32 v[6:7], v[118:119], v[2:3], v[6:7] op_sel:[0,0,1] op_sel_hi:[1,0,0]
	v_mov_b32_e32 v117, v7
	s_delay_alu instid0(VALU_DEP_1) | instskip(SKIP_4) | instid1(VALU_DEP_2)
	v_pk_add_f32 v[242:243], v[242:243], v[116:117] neg_lo:[0,1] neg_hi:[0,1]
	ds_load_2addr_b64 v[116:119], v126 offset0:62 offset1:63
	s_wait_dscnt 0x0
	v_pk_mul_f32 v[6:7], v[116:117], v[4:5] op_sel:[0,1]
	v_pk_mul_f32 v[4:5], v[118:119], v[4:5] op_sel:[0,1]
	v_pk_fma_f32 v[120:121], v[116:117], v[2:3], v[6:7] op_sel:[0,0,1] op_sel_hi:[1,1,0] neg_lo:[0,0,1] neg_hi:[0,0,1]
	v_pk_fma_f32 v[6:7], v[116:117], v[2:3], v[6:7] op_sel:[0,0,1] op_sel_hi:[1,0,0]
	s_delay_alu instid0(VALU_DEP_1) | instskip(NEXT) | instid1(VALU_DEP_4)
	v_mov_b32_e32 v121, v7
	v_pk_fma_f32 v[6:7], v[118:119], v[2:3], v[4:5] op_sel:[0,0,1] op_sel_hi:[1,1,0] neg_lo:[0,0,1] neg_hi:[0,0,1]
	v_pk_fma_f32 v[2:3], v[118:119], v[2:3], v[4:5] op_sel:[0,0,1] op_sel_hi:[1,0,0]
	s_delay_alu instid0(VALU_DEP_3) | instskip(NEXT) | instid1(VALU_DEP_2)
	v_pk_add_f32 v[254:255], v[254:255], v[120:121] neg_lo:[0,1] neg_hi:[0,1]
	v_mov_b32_e32 v7, v3
	s_delay_alu instid0(VALU_DEP_1)
	v_pk_add_f32 v[0:1], v[0:1], v[6:7] neg_lo:[0,1] neg_hi:[0,1]
.LBB127_505:
	s_or_b32 exec_lo, exec_lo, s1
	s_delay_alu instid0(SALU_CYCLE_1)
	s_mov_b32 s2, exec_lo
	s_wait_dscnt 0x0
	s_barrier_signal -1
	s_barrier_wait -1
	v_cmpx_eq_u32_e32 56, v18
	s_cbranch_execz .LBB127_512
; %bb.506:
	ds_store_b64 v19, v[252:253]
	ds_store_2addr_b64 v126, v[246:247], v[250:251] offset0:57 offset1:58
	ds_store_2addr_b64 v126, v[244:245], v[248:249] offset0:59 offset1:60
	;; [unrolled: 1-line block ×3, first 2 shown]
	ds_store_b64 v126, v[0:1] offset:504
	ds_load_b64 v[2:3], v19
	s_wait_dscnt 0x0
	v_cmp_neq_f32_e32 vcc_lo, 0, v2
	v_cmp_neq_f32_e64 s1, 0, v3
	s_or_b32 s1, vcc_lo, s1
	s_delay_alu instid0(SALU_CYCLE_1)
	s_and_b32 exec_lo, exec_lo, s1
	s_cbranch_execz .LBB127_512
; %bb.507:
	v_cmp_ngt_f32_e64 s1, |v2|, |v3|
                                        ; implicit-def: $vgpr4_vgpr5
	s_and_saveexec_b32 s4, s1
	s_delay_alu instid0(SALU_CYCLE_1)
	s_xor_b32 s1, exec_lo, s4
	s_cbranch_execz .LBB127_509
; %bb.508:
	v_div_scale_f32 v4, null, v3, v3, v2
	v_div_scale_f32 v7, vcc_lo, v2, v3, v2
	s_delay_alu instid0(VALU_DEP_2) | instskip(SKIP_1) | instid1(TRANS32_DEP_1)
	v_rcp_f32_e32 v5, v4
	v_nop
	v_fma_f32 v6, -v4, v5, 1.0
	s_delay_alu instid0(VALU_DEP_1) | instskip(NEXT) | instid1(VALU_DEP_1)
	v_fmac_f32_e32 v5, v6, v5
	v_mul_f32_e32 v6, v7, v5
	s_delay_alu instid0(VALU_DEP_1) | instskip(NEXT) | instid1(VALU_DEP_1)
	v_fma_f32 v8, -v4, v6, v7
	v_fmac_f32_e32 v6, v8, v5
	s_delay_alu instid0(VALU_DEP_1) | instskip(NEXT) | instid1(VALU_DEP_1)
	v_fma_f32 v4, -v4, v6, v7
	v_div_fmas_f32 v4, v4, v5, v6
	s_delay_alu instid0(VALU_DEP_1) | instskip(NEXT) | instid1(VALU_DEP_1)
	v_div_fixup_f32 v4, v4, v3, v2
	v_fmac_f32_e32 v3, v2, v4
	s_delay_alu instid0(VALU_DEP_1) | instskip(SKIP_1) | instid1(VALU_DEP_2)
	v_div_scale_f32 v2, null, v3, v3, 1.0
	v_div_scale_f32 v7, vcc_lo, 1.0, v3, 1.0
	v_rcp_f32_e32 v5, v2
	v_nop
	s_delay_alu instid0(TRANS32_DEP_1) | instskip(NEXT) | instid1(VALU_DEP_1)
	v_fma_f32 v6, -v2, v5, 1.0
	v_fmac_f32_e32 v5, v6, v5
	s_delay_alu instid0(VALU_DEP_1) | instskip(NEXT) | instid1(VALU_DEP_1)
	v_mul_f32_e32 v6, v7, v5
	v_fma_f32 v8, -v2, v6, v7
	s_delay_alu instid0(VALU_DEP_1) | instskip(NEXT) | instid1(VALU_DEP_1)
	v_fmac_f32_e32 v6, v8, v5
	v_fma_f32 v2, -v2, v6, v7
	s_delay_alu instid0(VALU_DEP_1) | instskip(NEXT) | instid1(VALU_DEP_1)
	v_div_fmas_f32 v2, v2, v5, v6
	v_div_fixup_f32 v2, v2, v3, 1.0
	s_delay_alu instid0(VALU_DEP_1)
	v_mul_f32_e32 v4, v4, v2
	v_xor_b32_e32 v5, 0x80000000, v2
                                        ; implicit-def: $vgpr2_vgpr3
.LBB127_509:
	s_and_not1_saveexec_b32 s1, s1
	s_cbranch_execz .LBB127_511
; %bb.510:
	v_div_scale_f32 v4, null, v2, v2, v3
	v_div_scale_f32 v7, vcc_lo, v3, v2, v3
	s_delay_alu instid0(VALU_DEP_2) | instskip(SKIP_1) | instid1(TRANS32_DEP_1)
	v_rcp_f32_e32 v5, v4
	v_nop
	v_fma_f32 v6, -v4, v5, 1.0
	s_delay_alu instid0(VALU_DEP_1) | instskip(NEXT) | instid1(VALU_DEP_1)
	v_fmac_f32_e32 v5, v6, v5
	v_mul_f32_e32 v6, v7, v5
	s_delay_alu instid0(VALU_DEP_1) | instskip(NEXT) | instid1(VALU_DEP_1)
	v_fma_f32 v8, -v4, v6, v7
	v_fmac_f32_e32 v6, v8, v5
	s_delay_alu instid0(VALU_DEP_1) | instskip(NEXT) | instid1(VALU_DEP_1)
	v_fma_f32 v4, -v4, v6, v7
	v_div_fmas_f32 v4, v4, v5, v6
	s_delay_alu instid0(VALU_DEP_1) | instskip(NEXT) | instid1(VALU_DEP_1)
	v_div_fixup_f32 v5, v4, v2, v3
	v_fmac_f32_e32 v2, v3, v5
	s_delay_alu instid0(VALU_DEP_1) | instskip(NEXT) | instid1(VALU_DEP_1)
	v_div_scale_f32 v3, null, v2, v2, 1.0
	v_rcp_f32_e32 v4, v3
	v_nop
	s_delay_alu instid0(TRANS32_DEP_1) | instskip(NEXT) | instid1(VALU_DEP_1)
	v_fma_f32 v6, -v3, v4, 1.0
	v_fmac_f32_e32 v4, v6, v4
	v_div_scale_f32 v6, vcc_lo, 1.0, v2, 1.0
	s_delay_alu instid0(VALU_DEP_1) | instskip(NEXT) | instid1(VALU_DEP_1)
	v_mul_f32_e32 v7, v6, v4
	v_fma_f32 v8, -v3, v7, v6
	s_delay_alu instid0(VALU_DEP_1) | instskip(NEXT) | instid1(VALU_DEP_1)
	v_fmac_f32_e32 v7, v8, v4
	v_fma_f32 v3, -v3, v7, v6
	s_delay_alu instid0(VALU_DEP_1) | instskip(NEXT) | instid1(VALU_DEP_1)
	v_div_fmas_f32 v3, v3, v4, v7
	v_div_fixup_f32 v4, v3, v2, 1.0
	s_delay_alu instid0(VALU_DEP_1)
	v_mul_f32_e64 v5, v5, -v4
.LBB127_511:
	s_or_b32 exec_lo, exec_lo, s1
	ds_store_b64 v19, v[4:5]
.LBB127_512:
	s_or_b32 exec_lo, exec_lo, s2
	s_wait_dscnt 0x0
	s_barrier_signal -1
	s_barrier_wait -1
	ds_load_b64 v[116:117], v19
	s_mov_b32 s1, exec_lo
	v_cmpx_lt_u32_e32 56, v18
	s_cbranch_execz .LBB127_514
; %bb.513:
	ds_load_2addr_b64 v[118:121], v126 offset0:57 offset1:58
	s_wait_dscnt 0x1
	v_pk_mul_f32 v[4:5], v[116:117], v[252:253] op_sel:[1,1] op_sel_hi:[0,1]
	s_delay_alu instid0(VALU_DEP_1) | instskip(SKIP_1) | instid1(VALU_DEP_1)
	v_pk_fma_f32 v[2:3], v[116:117], v[252:253], v[4:5] op_sel_hi:[1,0,1] neg_lo:[0,0,1] neg_hi:[0,0,1]
	v_pk_fma_f32 v[4:5], v[116:117], v[252:253], v[4:5] op_sel_hi:[1,0,1]
	v_dual_mov_b32 v252, v2 :: v_dual_mov_b32 v253, v5
	s_wait_dscnt 0x0
	s_delay_alu instid0(VALU_DEP_2) | instskip(NEXT) | instid1(VALU_DEP_1)
	v_pk_mul_f32 v[6:7], v[118:119], v[4:5] op_sel:[0,1]
	v_pk_fma_f32 v[122:123], v[118:119], v[2:3], v[6:7] op_sel:[0,0,1] op_sel_hi:[1,1,0] neg_lo:[0,0,1] neg_hi:[0,0,1]
	v_pk_fma_f32 v[6:7], v[118:119], v[2:3], v[6:7] op_sel:[0,0,1] op_sel_hi:[1,0,0]
	s_delay_alu instid0(VALU_DEP_1) | instskip(SKIP_1) | instid1(VALU_DEP_1)
	v_mov_b32_e32 v123, v7
	v_pk_mul_f32 v[6:7], v[120:121], v[4:5] op_sel:[0,1]
	v_pk_fma_f32 v[118:119], v[120:121], v[2:3], v[6:7] op_sel:[0,0,1] op_sel_hi:[1,1,0] neg_lo:[0,0,1] neg_hi:[0,0,1]
	v_pk_fma_f32 v[6:7], v[120:121], v[2:3], v[6:7] op_sel:[0,0,1] op_sel_hi:[1,0,0]
	s_delay_alu instid0(VALU_DEP_1) | instskip(SKIP_1) | instid1(VALU_DEP_2)
	v_mov_b32_e32 v119, v7
	v_pk_add_f32 v[246:247], v[246:247], v[122:123] neg_lo:[0,1] neg_hi:[0,1]
	v_pk_add_f32 v[250:251], v[250:251], v[118:119] neg_lo:[0,1] neg_hi:[0,1]
	ds_load_2addr_b64 v[118:121], v126 offset0:59 offset1:60
	s_wait_dscnt 0x0
	v_pk_mul_f32 v[6:7], v[118:119], v[4:5] op_sel:[0,1]
	s_delay_alu instid0(VALU_DEP_1) | instskip(SKIP_2) | instid1(VALU_DEP_2)
	v_pk_fma_f32 v[122:123], v[118:119], v[2:3], v[6:7] op_sel:[0,0,1] op_sel_hi:[1,1,0] neg_lo:[0,0,1] neg_hi:[0,0,1]
	v_pk_fma_f32 v[6:7], v[118:119], v[2:3], v[6:7] op_sel:[0,0,1] op_sel_hi:[1,0,0]
	v_dual_mul_f32 v118, v121, v5 :: v_dual_mov_b32 v6, v121
	v_dual_mov_b32 v123, v7 :: v_dual_mov_b32 v7, v120
	s_delay_alu instid0(VALU_DEP_2) | instskip(SKIP_1) | instid1(VALU_DEP_3)
	v_pk_fma_f32 v[118:119], v[120:121], v[252:253], v[118:119] op_sel_hi:[1,1,0] neg_lo:[0,0,1] neg_hi:[0,0,1]
	v_mul_f32_e32 v120, v121, v2
	v_pk_add_f32 v[244:245], v[244:245], v[122:123] neg_lo:[0,1] neg_hi:[0,1]
	s_delay_alu instid0(VALU_DEP_2) | instskip(NEXT) | instid1(VALU_DEP_1)
	v_pk_fma_f32 v[6:7], v[6:7], v[252:253], v[120:121] op_sel_hi:[1,1,0]
	v_mov_b32_e32 v119, v7
	s_delay_alu instid0(VALU_DEP_1) | instskip(SKIP_3) | instid1(VALU_DEP_1)
	v_pk_add_f32 v[248:249], v[248:249], v[118:119] neg_lo:[0,1] neg_hi:[0,1]
	ds_load_2addr_b64 v[118:121], v126 offset0:61 offset1:62
	s_wait_dscnt 0x0
	v_pk_mul_f32 v[6:7], v[118:119], v[4:5] op_sel:[0,1]
	v_pk_fma_f32 v[122:123], v[118:119], v[2:3], v[6:7] op_sel:[0,0,1] op_sel_hi:[1,1,0] neg_lo:[0,0,1] neg_hi:[0,0,1]
	v_pk_fma_f32 v[6:7], v[118:119], v[2:3], v[6:7] op_sel:[0,0,1] op_sel_hi:[1,0,0]
	s_delay_alu instid0(VALU_DEP_1) | instskip(SKIP_1) | instid1(VALU_DEP_1)
	v_mov_b32_e32 v123, v7
	v_pk_mul_f32 v[6:7], v[120:121], v[4:5] op_sel:[0,1]
	v_pk_fma_f32 v[118:119], v[120:121], v[2:3], v[6:7] op_sel:[0,0,1] op_sel_hi:[1,1,0] neg_lo:[0,0,1] neg_hi:[0,0,1]
	v_pk_fma_f32 v[6:7], v[120:121], v[2:3], v[6:7] op_sel:[0,0,1] op_sel_hi:[1,0,0]
	s_delay_alu instid0(VALU_DEP_1)
	v_mov_b32_e32 v119, v7
	ds_load_b64 v[6:7], v126 offset:504
	v_pk_add_f32 v[242:243], v[242:243], v[122:123] neg_lo:[0,1] neg_hi:[0,1]
	v_pk_add_f32 v[254:255], v[254:255], v[118:119] neg_lo:[0,1] neg_hi:[0,1]
	s_wait_dscnt 0x0
	v_pk_mul_f32 v[4:5], v[6:7], v[4:5] op_sel:[0,1]
	s_delay_alu instid0(VALU_DEP_1) | instskip(SKIP_1) | instid1(VALU_DEP_1)
	v_pk_fma_f32 v[118:119], v[6:7], v[2:3], v[4:5] op_sel:[0,0,1] op_sel_hi:[1,1,0] neg_lo:[0,0,1] neg_hi:[0,0,1]
	v_pk_fma_f32 v[2:3], v[6:7], v[2:3], v[4:5] op_sel:[0,0,1] op_sel_hi:[1,0,0]
	v_mov_b32_e32 v119, v3
	s_delay_alu instid0(VALU_DEP_1)
	v_pk_add_f32 v[0:1], v[0:1], v[118:119] neg_lo:[0,1] neg_hi:[0,1]
.LBB127_514:
	s_or_b32 exec_lo, exec_lo, s1
	s_delay_alu instid0(SALU_CYCLE_1)
	s_mov_b32 s2, exec_lo
	s_wait_dscnt 0x0
	s_barrier_signal -1
	s_barrier_wait -1
	v_cmpx_eq_u32_e32 57, v18
	s_cbranch_execz .LBB127_521
; %bb.515:
	v_dual_mov_b32 v2, v250 :: v_dual_mov_b32 v3, v251
	v_dual_mov_b32 v4, v244 :: v_dual_mov_b32 v5, v245
	ds_store_b64 v19, v[246:247]
	ds_store_2addr_b64 v126, v[2:3], v[4:5] offset0:58 offset1:59
	v_dual_mov_b32 v2, v248 :: v_dual_mov_b32 v3, v249
	v_dual_mov_b32 v4, v242 :: v_dual_mov_b32 v5, v243
	ds_store_2addr_b64 v126, v[2:3], v[4:5] offset0:60 offset1:61
	v_dual_mov_b32 v2, v254 :: v_dual_mov_b32 v3, v255
	ds_store_2addr_b64 v126, v[2:3], v[0:1] offset0:62 offset1:63
	ds_load_b64 v[2:3], v19
	s_wait_dscnt 0x0
	v_cmp_neq_f32_e32 vcc_lo, 0, v2
	v_cmp_neq_f32_e64 s1, 0, v3
	s_or_b32 s1, vcc_lo, s1
	s_delay_alu instid0(SALU_CYCLE_1)
	s_and_b32 exec_lo, exec_lo, s1
	s_cbranch_execz .LBB127_521
; %bb.516:
	v_cmp_ngt_f32_e64 s1, |v2|, |v3|
                                        ; implicit-def: $vgpr4_vgpr5
	s_and_saveexec_b32 s4, s1
	s_delay_alu instid0(SALU_CYCLE_1)
	s_xor_b32 s1, exec_lo, s4
	s_cbranch_execz .LBB127_518
; %bb.517:
	v_div_scale_f32 v4, null, v3, v3, v2
	v_div_scale_f32 v7, vcc_lo, v2, v3, v2
	s_delay_alu instid0(VALU_DEP_2) | instskip(SKIP_1) | instid1(TRANS32_DEP_1)
	v_rcp_f32_e32 v5, v4
	v_nop
	v_fma_f32 v6, -v4, v5, 1.0
	s_delay_alu instid0(VALU_DEP_1) | instskip(NEXT) | instid1(VALU_DEP_1)
	v_fmac_f32_e32 v5, v6, v5
	v_mul_f32_e32 v6, v7, v5
	s_delay_alu instid0(VALU_DEP_1) | instskip(NEXT) | instid1(VALU_DEP_1)
	v_fma_f32 v8, -v4, v6, v7
	v_fmac_f32_e32 v6, v8, v5
	s_delay_alu instid0(VALU_DEP_1) | instskip(NEXT) | instid1(VALU_DEP_1)
	v_fma_f32 v4, -v4, v6, v7
	v_div_fmas_f32 v4, v4, v5, v6
	s_delay_alu instid0(VALU_DEP_1) | instskip(NEXT) | instid1(VALU_DEP_1)
	v_div_fixup_f32 v4, v4, v3, v2
	v_fmac_f32_e32 v3, v2, v4
	s_delay_alu instid0(VALU_DEP_1) | instskip(SKIP_1) | instid1(VALU_DEP_2)
	v_div_scale_f32 v2, null, v3, v3, 1.0
	v_div_scale_f32 v7, vcc_lo, 1.0, v3, 1.0
	v_rcp_f32_e32 v5, v2
	v_nop
	s_delay_alu instid0(TRANS32_DEP_1) | instskip(NEXT) | instid1(VALU_DEP_1)
	v_fma_f32 v6, -v2, v5, 1.0
	v_fmac_f32_e32 v5, v6, v5
	s_delay_alu instid0(VALU_DEP_1) | instskip(NEXT) | instid1(VALU_DEP_1)
	v_mul_f32_e32 v6, v7, v5
	v_fma_f32 v8, -v2, v6, v7
	s_delay_alu instid0(VALU_DEP_1) | instskip(NEXT) | instid1(VALU_DEP_1)
	v_fmac_f32_e32 v6, v8, v5
	v_fma_f32 v2, -v2, v6, v7
	s_delay_alu instid0(VALU_DEP_1) | instskip(NEXT) | instid1(VALU_DEP_1)
	v_div_fmas_f32 v2, v2, v5, v6
	v_div_fixup_f32 v2, v2, v3, 1.0
	s_delay_alu instid0(VALU_DEP_1)
	v_mul_f32_e32 v4, v4, v2
	v_xor_b32_e32 v5, 0x80000000, v2
                                        ; implicit-def: $vgpr2_vgpr3
.LBB127_518:
	s_and_not1_saveexec_b32 s1, s1
	s_cbranch_execz .LBB127_520
; %bb.519:
	v_div_scale_f32 v4, null, v2, v2, v3
	v_div_scale_f32 v7, vcc_lo, v3, v2, v3
	s_delay_alu instid0(VALU_DEP_2) | instskip(SKIP_1) | instid1(TRANS32_DEP_1)
	v_rcp_f32_e32 v5, v4
	v_nop
	v_fma_f32 v6, -v4, v5, 1.0
	s_delay_alu instid0(VALU_DEP_1) | instskip(NEXT) | instid1(VALU_DEP_1)
	v_fmac_f32_e32 v5, v6, v5
	v_mul_f32_e32 v6, v7, v5
	s_delay_alu instid0(VALU_DEP_1) | instskip(NEXT) | instid1(VALU_DEP_1)
	v_fma_f32 v8, -v4, v6, v7
	v_fmac_f32_e32 v6, v8, v5
	s_delay_alu instid0(VALU_DEP_1) | instskip(NEXT) | instid1(VALU_DEP_1)
	v_fma_f32 v4, -v4, v6, v7
	v_div_fmas_f32 v4, v4, v5, v6
	s_delay_alu instid0(VALU_DEP_1) | instskip(NEXT) | instid1(VALU_DEP_1)
	v_div_fixup_f32 v5, v4, v2, v3
	v_fmac_f32_e32 v2, v3, v5
	s_delay_alu instid0(VALU_DEP_1) | instskip(NEXT) | instid1(VALU_DEP_1)
	v_div_scale_f32 v3, null, v2, v2, 1.0
	v_rcp_f32_e32 v4, v3
	v_nop
	s_delay_alu instid0(TRANS32_DEP_1) | instskip(NEXT) | instid1(VALU_DEP_1)
	v_fma_f32 v6, -v3, v4, 1.0
	v_fmac_f32_e32 v4, v6, v4
	v_div_scale_f32 v6, vcc_lo, 1.0, v2, 1.0
	s_delay_alu instid0(VALU_DEP_1) | instskip(NEXT) | instid1(VALU_DEP_1)
	v_mul_f32_e32 v7, v6, v4
	v_fma_f32 v8, -v3, v7, v6
	s_delay_alu instid0(VALU_DEP_1) | instskip(NEXT) | instid1(VALU_DEP_1)
	v_fmac_f32_e32 v7, v8, v4
	v_fma_f32 v3, -v3, v7, v6
	s_delay_alu instid0(VALU_DEP_1) | instskip(NEXT) | instid1(VALU_DEP_1)
	v_div_fmas_f32 v3, v3, v4, v7
	v_div_fixup_f32 v4, v3, v2, 1.0
	s_delay_alu instid0(VALU_DEP_1)
	v_mul_f32_e64 v5, v5, -v4
.LBB127_520:
	s_or_b32 exec_lo, exec_lo, s1
	ds_store_b64 v19, v[4:5]
.LBB127_521:
	s_or_b32 exec_lo, exec_lo, s2
	s_wait_dscnt 0x0
	s_barrier_signal -1
	s_barrier_wait -1
	ds_load_b64 v[118:119], v19
	s_mov_b32 s1, exec_lo
	v_cmpx_lt_u32_e32 57, v18
	s_cbranch_execz .LBB127_523
; %bb.522:
	s_wait_dscnt 0x0
	v_pk_mul_f32 v[2:3], v[118:119], v[246:247] op_sel:[1,1] op_sel_hi:[0,1]
	s_delay_alu instid0(VALU_DEP_1)
	v_pk_fma_f32 v[6:7], v[118:119], v[246:247], v[2:3] op_sel_hi:[1,0,1] neg_lo:[0,0,1] neg_hi:[0,0,1]
	v_pk_fma_f32 v[120:121], v[118:119], v[246:247], v[2:3] op_sel_hi:[1,0,1]
	ds_load_2addr_b64 v[2:5], v126 offset0:58 offset1:59
	v_dual_mov_b32 v246, v6 :: v_dual_mov_b32 v247, v121
	s_wait_dscnt 0x0
	v_pk_mul_f32 v[122:123], v[2:3], v[120:121] op_sel:[0,1]
	s_delay_alu instid0(VALU_DEP_1) | instskip(SKIP_1) | instid1(VALU_DEP_1)
	v_pk_fma_f32 v[124:125], v[2:3], v[6:7], v[122:123] op_sel:[0,0,1] op_sel_hi:[1,1,0] neg_lo:[0,0,1] neg_hi:[0,0,1]
	v_pk_fma_f32 v[2:3], v[2:3], v[6:7], v[122:123] op_sel:[0,0,1] op_sel_hi:[1,0,0]
	v_mov_b32_e32 v125, v3
	v_pk_mul_f32 v[2:3], v[4:5], v[120:121] op_sel:[0,1]
	s_delay_alu instid0(VALU_DEP_1) | instskip(SKIP_1) | instid1(VALU_DEP_1)
	v_pk_fma_f32 v[122:123], v[4:5], v[6:7], v[2:3] op_sel:[0,0,1] op_sel_hi:[1,1,0] neg_lo:[0,0,1] neg_hi:[0,0,1]
	v_pk_fma_f32 v[2:3], v[4:5], v[6:7], v[2:3] op_sel:[0,0,1] op_sel_hi:[1,0,0]
	v_mov_b32_e32 v123, v3
	ds_load_2addr_b64 v[2:5], v126 offset0:60 offset1:61
	v_pk_add_f32 v[250:251], v[250:251], v[124:125] neg_lo:[0,1] neg_hi:[0,1]
	v_pk_add_f32 v[244:245], v[244:245], v[122:123] neg_lo:[0,1] neg_hi:[0,1]
	s_wait_dscnt 0x0
	v_pk_mul_f32 v[122:123], v[2:3], v[120:121] op_sel:[0,1]
	s_delay_alu instid0(VALU_DEP_1) | instskip(SKIP_2) | instid1(VALU_DEP_2)
	v_pk_fma_f32 v[124:125], v[2:3], v[6:7], v[122:123] op_sel:[0,0,1] op_sel_hi:[1,1,0] neg_lo:[0,0,1] neg_hi:[0,0,1]
	v_pk_fma_f32 v[2:3], v[2:3], v[6:7], v[122:123] op_sel:[0,0,1] op_sel_hi:[1,0,0]
	v_dual_mul_f32 v122, v5, v121 :: v_dual_mov_b32 v2, v5
	v_dual_mov_b32 v125, v3 :: v_dual_mov_b32 v3, v4
	s_delay_alu instid0(VALU_DEP_2) | instskip(SKIP_1) | instid1(VALU_DEP_3)
	v_pk_fma_f32 v[122:123], v[4:5], v[246:247], v[122:123] op_sel_hi:[1,1,0] neg_lo:[0,0,1] neg_hi:[0,0,1]
	v_mul_f32_e32 v4, v5, v6
	v_pk_add_f32 v[248:249], v[248:249], v[124:125] neg_lo:[0,1] neg_hi:[0,1]
	s_delay_alu instid0(VALU_DEP_2) | instskip(NEXT) | instid1(VALU_DEP_1)
	v_pk_fma_f32 v[2:3], v[2:3], v[246:247], v[4:5] op_sel_hi:[1,1,0]
	v_mov_b32_e32 v123, v3
	ds_load_2addr_b64 v[2:5], v126 offset0:62 offset1:63
	v_pk_add_f32 v[242:243], v[242:243], v[122:123] neg_lo:[0,1] neg_hi:[0,1]
	s_wait_dscnt 0x0
	v_pk_mul_f32 v[122:123], v[2:3], v[120:121] op_sel:[0,1]
	v_mul_f32_e32 v120, v5, v121
	s_delay_alu instid0(VALU_DEP_2) | instskip(SKIP_2) | instid1(VALU_DEP_4)
	v_pk_fma_f32 v[124:125], v[2:3], v[6:7], v[122:123] op_sel:[0,0,1] op_sel_hi:[1,1,0] neg_lo:[0,0,1] neg_hi:[0,0,1]
	v_pk_fma_f32 v[2:3], v[2:3], v[6:7], v[122:123] op_sel:[0,0,1] op_sel_hi:[1,0,0]
	v_mov_b32_e32 v2, v5
	v_pk_fma_f32 v[120:121], v[4:5], v[246:247], v[120:121] op_sel_hi:[1,1,0] neg_lo:[0,0,1] neg_hi:[0,0,1]
	s_delay_alu instid0(VALU_DEP_3) | instskip(SKIP_1) | instid1(VALU_DEP_2)
	v_dual_mov_b32 v125, v3 :: v_dual_mov_b32 v3, v4
	v_mul_f32_e32 v4, v5, v6
	v_pk_add_f32 v[254:255], v[254:255], v[124:125] neg_lo:[0,1] neg_hi:[0,1]
	s_delay_alu instid0(VALU_DEP_2) | instskip(NEXT) | instid1(VALU_DEP_1)
	v_pk_fma_f32 v[2:3], v[2:3], v[246:247], v[4:5] op_sel_hi:[1,1,0]
	v_mov_b32_e32 v121, v3
	s_delay_alu instid0(VALU_DEP_1)
	v_pk_add_f32 v[0:1], v[0:1], v[120:121] neg_lo:[0,1] neg_hi:[0,1]
.LBB127_523:
	s_or_b32 exec_lo, exec_lo, s1
	s_delay_alu instid0(SALU_CYCLE_1)
	s_mov_b32 s2, exec_lo
	s_wait_dscnt 0x0
	s_barrier_signal -1
	s_barrier_wait -1
	v_cmpx_eq_u32_e32 58, v18
	s_cbranch_execz .LBB127_530
; %bb.524:
	ds_store_b64 v19, v[250:251]
	ds_store_2addr_b64 v126, v[244:245], v[248:249] offset0:59 offset1:60
	ds_store_2addr_b64 v126, v[242:243], v[254:255] offset0:61 offset1:62
	ds_store_b64 v126, v[0:1] offset:504
	ds_load_b64 v[2:3], v19
	s_wait_dscnt 0x0
	v_cmp_neq_f32_e32 vcc_lo, 0, v2
	v_cmp_neq_f32_e64 s1, 0, v3
	s_or_b32 s1, vcc_lo, s1
	s_delay_alu instid0(SALU_CYCLE_1)
	s_and_b32 exec_lo, exec_lo, s1
	s_cbranch_execz .LBB127_530
; %bb.525:
	v_cmp_ngt_f32_e64 s1, |v2|, |v3|
                                        ; implicit-def: $vgpr4_vgpr5
	s_and_saveexec_b32 s4, s1
	s_delay_alu instid0(SALU_CYCLE_1)
	s_xor_b32 s1, exec_lo, s4
	s_cbranch_execz .LBB127_527
; %bb.526:
	v_div_scale_f32 v4, null, v3, v3, v2
	v_div_scale_f32 v7, vcc_lo, v2, v3, v2
	s_delay_alu instid0(VALU_DEP_2) | instskip(SKIP_1) | instid1(TRANS32_DEP_1)
	v_rcp_f32_e32 v5, v4
	v_nop
	v_fma_f32 v6, -v4, v5, 1.0
	s_delay_alu instid0(VALU_DEP_1) | instskip(NEXT) | instid1(VALU_DEP_1)
	v_fmac_f32_e32 v5, v6, v5
	v_mul_f32_e32 v6, v7, v5
	s_delay_alu instid0(VALU_DEP_1) | instskip(NEXT) | instid1(VALU_DEP_1)
	v_fma_f32 v8, -v4, v6, v7
	v_fmac_f32_e32 v6, v8, v5
	s_delay_alu instid0(VALU_DEP_1) | instskip(NEXT) | instid1(VALU_DEP_1)
	v_fma_f32 v4, -v4, v6, v7
	v_div_fmas_f32 v4, v4, v5, v6
	s_delay_alu instid0(VALU_DEP_1) | instskip(NEXT) | instid1(VALU_DEP_1)
	v_div_fixup_f32 v4, v4, v3, v2
	v_fmac_f32_e32 v3, v2, v4
	s_delay_alu instid0(VALU_DEP_1) | instskip(SKIP_1) | instid1(VALU_DEP_2)
	v_div_scale_f32 v2, null, v3, v3, 1.0
	v_div_scale_f32 v7, vcc_lo, 1.0, v3, 1.0
	v_rcp_f32_e32 v5, v2
	v_nop
	s_delay_alu instid0(TRANS32_DEP_1) | instskip(NEXT) | instid1(VALU_DEP_1)
	v_fma_f32 v6, -v2, v5, 1.0
	v_fmac_f32_e32 v5, v6, v5
	s_delay_alu instid0(VALU_DEP_1) | instskip(NEXT) | instid1(VALU_DEP_1)
	v_mul_f32_e32 v6, v7, v5
	v_fma_f32 v8, -v2, v6, v7
	s_delay_alu instid0(VALU_DEP_1) | instskip(NEXT) | instid1(VALU_DEP_1)
	v_fmac_f32_e32 v6, v8, v5
	v_fma_f32 v2, -v2, v6, v7
	s_delay_alu instid0(VALU_DEP_1) | instskip(NEXT) | instid1(VALU_DEP_1)
	v_div_fmas_f32 v2, v2, v5, v6
	v_div_fixup_f32 v2, v2, v3, 1.0
	s_delay_alu instid0(VALU_DEP_1)
	v_mul_f32_e32 v4, v4, v2
	v_xor_b32_e32 v5, 0x80000000, v2
                                        ; implicit-def: $vgpr2_vgpr3
.LBB127_527:
	s_and_not1_saveexec_b32 s1, s1
	s_cbranch_execz .LBB127_529
; %bb.528:
	v_div_scale_f32 v4, null, v2, v2, v3
	v_div_scale_f32 v7, vcc_lo, v3, v2, v3
	s_delay_alu instid0(VALU_DEP_2) | instskip(SKIP_1) | instid1(TRANS32_DEP_1)
	v_rcp_f32_e32 v5, v4
	v_nop
	v_fma_f32 v6, -v4, v5, 1.0
	s_delay_alu instid0(VALU_DEP_1) | instskip(NEXT) | instid1(VALU_DEP_1)
	v_fmac_f32_e32 v5, v6, v5
	v_mul_f32_e32 v6, v7, v5
	s_delay_alu instid0(VALU_DEP_1) | instskip(NEXT) | instid1(VALU_DEP_1)
	v_fma_f32 v8, -v4, v6, v7
	v_fmac_f32_e32 v6, v8, v5
	s_delay_alu instid0(VALU_DEP_1) | instskip(NEXT) | instid1(VALU_DEP_1)
	v_fma_f32 v4, -v4, v6, v7
	v_div_fmas_f32 v4, v4, v5, v6
	s_delay_alu instid0(VALU_DEP_1) | instskip(NEXT) | instid1(VALU_DEP_1)
	v_div_fixup_f32 v5, v4, v2, v3
	v_fmac_f32_e32 v2, v3, v5
	s_delay_alu instid0(VALU_DEP_1) | instskip(NEXT) | instid1(VALU_DEP_1)
	v_div_scale_f32 v3, null, v2, v2, 1.0
	v_rcp_f32_e32 v4, v3
	v_nop
	s_delay_alu instid0(TRANS32_DEP_1) | instskip(NEXT) | instid1(VALU_DEP_1)
	v_fma_f32 v6, -v3, v4, 1.0
	v_fmac_f32_e32 v4, v6, v4
	v_div_scale_f32 v6, vcc_lo, 1.0, v2, 1.0
	s_delay_alu instid0(VALU_DEP_1) | instskip(NEXT) | instid1(VALU_DEP_1)
	v_mul_f32_e32 v7, v6, v4
	v_fma_f32 v8, -v3, v7, v6
	s_delay_alu instid0(VALU_DEP_1) | instskip(NEXT) | instid1(VALU_DEP_1)
	v_fmac_f32_e32 v7, v8, v4
	v_fma_f32 v3, -v3, v7, v6
	s_delay_alu instid0(VALU_DEP_1) | instskip(NEXT) | instid1(VALU_DEP_1)
	v_div_fmas_f32 v3, v3, v4, v7
	v_div_fixup_f32 v4, v3, v2, 1.0
	s_delay_alu instid0(VALU_DEP_1)
	v_mul_f32_e64 v5, v5, -v4
.LBB127_529:
	s_or_b32 exec_lo, exec_lo, s1
	ds_store_b64 v19, v[4:5]
.LBB127_530:
	s_or_b32 exec_lo, exec_lo, s2
	s_wait_dscnt 0x0
	s_barrier_signal -1
	s_barrier_wait -1
	ds_load_b64 v[120:121], v19
	s_mov_b32 s1, exec_lo
	v_cmpx_lt_u32_e32 58, v18
	s_cbranch_execz .LBB127_532
; %bb.531:
	s_wait_dscnt 0x0
	v_pk_mul_f32 v[2:3], v[120:121], v[250:251] op_sel:[1,1] op_sel_hi:[0,1]
	s_delay_alu instid0(VALU_DEP_1)
	v_pk_fma_f32 v[6:7], v[120:121], v[250:251], v[2:3] op_sel_hi:[1,0,1] neg_lo:[0,0,1] neg_hi:[0,0,1]
	v_pk_fma_f32 v[122:123], v[120:121], v[250:251], v[2:3] op_sel_hi:[1,0,1]
	ds_load_2addr_b64 v[2:5], v126 offset0:59 offset1:60
	v_dual_mov_b32 v250, v6 :: v_dual_mov_b32 v251, v123
	s_wait_dscnt 0x0
	v_pk_mul_f32 v[124:125], v[2:3], v[122:123] op_sel:[0,1]
	s_delay_alu instid0(VALU_DEP_1) | instskip(SKIP_1) | instid1(VALU_DEP_1)
	v_pk_fma_f32 v[128:129], v[2:3], v[6:7], v[124:125] op_sel:[0,0,1] op_sel_hi:[1,1,0] neg_lo:[0,0,1] neg_hi:[0,0,1]
	v_pk_fma_f32 v[2:3], v[2:3], v[6:7], v[124:125] op_sel:[0,0,1] op_sel_hi:[1,0,0]
	v_mov_b32_e32 v129, v3
	v_pk_mul_f32 v[2:3], v[4:5], v[122:123] op_sel:[0,1]
	s_delay_alu instid0(VALU_DEP_1) | instskip(SKIP_1) | instid1(VALU_DEP_1)
	v_pk_fma_f32 v[124:125], v[4:5], v[6:7], v[2:3] op_sel:[0,0,1] op_sel_hi:[1,1,0] neg_lo:[0,0,1] neg_hi:[0,0,1]
	v_pk_fma_f32 v[2:3], v[4:5], v[6:7], v[2:3] op_sel:[0,0,1] op_sel_hi:[1,0,0]
	v_mov_b32_e32 v125, v3
	ds_load_2addr_b64 v[2:5], v126 offset0:61 offset1:62
	v_pk_add_f32 v[244:245], v[244:245], v[128:129] neg_lo:[0,1] neg_hi:[0,1]
	v_pk_add_f32 v[248:249], v[248:249], v[124:125] neg_lo:[0,1] neg_hi:[0,1]
	s_wait_dscnt 0x0
	v_pk_mul_f32 v[124:125], v[2:3], v[122:123] op_sel:[0,1]
	s_delay_alu instid0(VALU_DEP_1) | instskip(SKIP_2) | instid1(VALU_DEP_2)
	v_pk_fma_f32 v[128:129], v[2:3], v[6:7], v[124:125] op_sel:[0,0,1] op_sel_hi:[1,1,0] neg_lo:[0,0,1] neg_hi:[0,0,1]
	v_pk_fma_f32 v[2:3], v[2:3], v[6:7], v[124:125] op_sel:[0,0,1] op_sel_hi:[1,0,0]
	v_dual_mul_f32 v124, v5, v123 :: v_dual_mov_b32 v2, v5
	v_dual_mov_b32 v129, v3 :: v_dual_mov_b32 v3, v4
	s_delay_alu instid0(VALU_DEP_2) | instskip(SKIP_1) | instid1(VALU_DEP_3)
	v_pk_fma_f32 v[124:125], v[4:5], v[250:251], v[124:125] op_sel_hi:[1,1,0] neg_lo:[0,0,1] neg_hi:[0,0,1]
	v_mul_f32_e32 v4, v5, v6
	v_pk_add_f32 v[242:243], v[242:243], v[128:129] neg_lo:[0,1] neg_hi:[0,1]
	s_delay_alu instid0(VALU_DEP_2) | instskip(NEXT) | instid1(VALU_DEP_1)
	v_pk_fma_f32 v[2:3], v[2:3], v[250:251], v[4:5] op_sel_hi:[1,1,0]
	v_mov_b32_e32 v125, v3
	ds_load_b64 v[2:3], v126 offset:504
	v_pk_add_f32 v[254:255], v[254:255], v[124:125] neg_lo:[0,1] neg_hi:[0,1]
	s_wait_dscnt 0x0
	v_pk_mul_f32 v[4:5], v[2:3], v[122:123] op_sel:[0,1]
	s_delay_alu instid0(VALU_DEP_1) | instskip(SKIP_1) | instid1(VALU_DEP_1)
	v_pk_fma_f32 v[122:123], v[2:3], v[6:7], v[4:5] op_sel:[0,0,1] op_sel_hi:[1,1,0] neg_lo:[0,0,1] neg_hi:[0,0,1]
	v_pk_fma_f32 v[2:3], v[2:3], v[6:7], v[4:5] op_sel:[0,0,1] op_sel_hi:[1,0,0]
	v_mov_b32_e32 v123, v3
	s_delay_alu instid0(VALU_DEP_1)
	v_pk_add_f32 v[0:1], v[0:1], v[122:123] neg_lo:[0,1] neg_hi:[0,1]
.LBB127_532:
	s_or_b32 exec_lo, exec_lo, s1
	s_delay_alu instid0(SALU_CYCLE_1)
	s_mov_b32 s2, exec_lo
	s_wait_dscnt 0x0
	s_barrier_signal -1
	s_barrier_wait -1
	v_cmpx_eq_u32_e32 59, v18
	s_cbranch_execz .LBB127_539
; %bb.533:
	v_dual_mov_b32 v2, v248 :: v_dual_mov_b32 v3, v249
	v_dual_mov_b32 v4, v242 :: v_dual_mov_b32 v5, v243
	ds_store_b64 v19, v[244:245]
	ds_store_2addr_b64 v126, v[2:3], v[4:5] offset0:60 offset1:61
	v_dual_mov_b32 v2, v254 :: v_dual_mov_b32 v3, v255
	ds_store_2addr_b64 v126, v[2:3], v[0:1] offset0:62 offset1:63
	ds_load_b64 v[2:3], v19
	s_wait_dscnt 0x0
	v_cmp_neq_f32_e32 vcc_lo, 0, v2
	v_cmp_neq_f32_e64 s1, 0, v3
	s_or_b32 s1, vcc_lo, s1
	s_delay_alu instid0(SALU_CYCLE_1)
	s_and_b32 exec_lo, exec_lo, s1
	s_cbranch_execz .LBB127_539
; %bb.534:
	v_cmp_ngt_f32_e64 s1, |v2|, |v3|
                                        ; implicit-def: $vgpr4_vgpr5
	s_and_saveexec_b32 s4, s1
	s_delay_alu instid0(SALU_CYCLE_1)
	s_xor_b32 s1, exec_lo, s4
	s_cbranch_execz .LBB127_536
; %bb.535:
	v_div_scale_f32 v4, null, v3, v3, v2
	v_div_scale_f32 v7, vcc_lo, v2, v3, v2
	s_delay_alu instid0(VALU_DEP_2) | instskip(SKIP_1) | instid1(TRANS32_DEP_1)
	v_rcp_f32_e32 v5, v4
	v_nop
	v_fma_f32 v6, -v4, v5, 1.0
	s_delay_alu instid0(VALU_DEP_1) | instskip(NEXT) | instid1(VALU_DEP_1)
	v_fmac_f32_e32 v5, v6, v5
	v_mul_f32_e32 v6, v7, v5
	s_delay_alu instid0(VALU_DEP_1) | instskip(NEXT) | instid1(VALU_DEP_1)
	v_fma_f32 v8, -v4, v6, v7
	v_fmac_f32_e32 v6, v8, v5
	s_delay_alu instid0(VALU_DEP_1) | instskip(NEXT) | instid1(VALU_DEP_1)
	v_fma_f32 v4, -v4, v6, v7
	v_div_fmas_f32 v4, v4, v5, v6
	s_delay_alu instid0(VALU_DEP_1) | instskip(NEXT) | instid1(VALU_DEP_1)
	v_div_fixup_f32 v4, v4, v3, v2
	v_fmac_f32_e32 v3, v2, v4
	s_delay_alu instid0(VALU_DEP_1) | instskip(SKIP_1) | instid1(VALU_DEP_2)
	v_div_scale_f32 v2, null, v3, v3, 1.0
	v_div_scale_f32 v7, vcc_lo, 1.0, v3, 1.0
	v_rcp_f32_e32 v5, v2
	v_nop
	s_delay_alu instid0(TRANS32_DEP_1) | instskip(NEXT) | instid1(VALU_DEP_1)
	v_fma_f32 v6, -v2, v5, 1.0
	v_fmac_f32_e32 v5, v6, v5
	s_delay_alu instid0(VALU_DEP_1) | instskip(NEXT) | instid1(VALU_DEP_1)
	v_mul_f32_e32 v6, v7, v5
	v_fma_f32 v8, -v2, v6, v7
	s_delay_alu instid0(VALU_DEP_1) | instskip(NEXT) | instid1(VALU_DEP_1)
	v_fmac_f32_e32 v6, v8, v5
	v_fma_f32 v2, -v2, v6, v7
	s_delay_alu instid0(VALU_DEP_1) | instskip(NEXT) | instid1(VALU_DEP_1)
	v_div_fmas_f32 v2, v2, v5, v6
	v_div_fixup_f32 v2, v2, v3, 1.0
	s_delay_alu instid0(VALU_DEP_1)
	v_mul_f32_e32 v4, v4, v2
	v_xor_b32_e32 v5, 0x80000000, v2
                                        ; implicit-def: $vgpr2_vgpr3
.LBB127_536:
	s_and_not1_saveexec_b32 s1, s1
	s_cbranch_execz .LBB127_538
; %bb.537:
	v_div_scale_f32 v4, null, v2, v2, v3
	v_div_scale_f32 v7, vcc_lo, v3, v2, v3
	s_delay_alu instid0(VALU_DEP_2) | instskip(SKIP_1) | instid1(TRANS32_DEP_1)
	v_rcp_f32_e32 v5, v4
	v_nop
	v_fma_f32 v6, -v4, v5, 1.0
	s_delay_alu instid0(VALU_DEP_1) | instskip(NEXT) | instid1(VALU_DEP_1)
	v_fmac_f32_e32 v5, v6, v5
	v_mul_f32_e32 v6, v7, v5
	s_delay_alu instid0(VALU_DEP_1) | instskip(NEXT) | instid1(VALU_DEP_1)
	v_fma_f32 v8, -v4, v6, v7
	v_fmac_f32_e32 v6, v8, v5
	s_delay_alu instid0(VALU_DEP_1) | instskip(NEXT) | instid1(VALU_DEP_1)
	v_fma_f32 v4, -v4, v6, v7
	v_div_fmas_f32 v4, v4, v5, v6
	s_delay_alu instid0(VALU_DEP_1) | instskip(NEXT) | instid1(VALU_DEP_1)
	v_div_fixup_f32 v5, v4, v2, v3
	v_fmac_f32_e32 v2, v3, v5
	s_delay_alu instid0(VALU_DEP_1) | instskip(NEXT) | instid1(VALU_DEP_1)
	v_div_scale_f32 v3, null, v2, v2, 1.0
	v_rcp_f32_e32 v4, v3
	v_nop
	s_delay_alu instid0(TRANS32_DEP_1) | instskip(NEXT) | instid1(VALU_DEP_1)
	v_fma_f32 v6, -v3, v4, 1.0
	v_fmac_f32_e32 v4, v6, v4
	v_div_scale_f32 v6, vcc_lo, 1.0, v2, 1.0
	s_delay_alu instid0(VALU_DEP_1) | instskip(NEXT) | instid1(VALU_DEP_1)
	v_mul_f32_e32 v7, v6, v4
	v_fma_f32 v8, -v3, v7, v6
	s_delay_alu instid0(VALU_DEP_1) | instskip(NEXT) | instid1(VALU_DEP_1)
	v_fmac_f32_e32 v7, v8, v4
	v_fma_f32 v3, -v3, v7, v6
	s_delay_alu instid0(VALU_DEP_1) | instskip(NEXT) | instid1(VALU_DEP_1)
	v_div_fmas_f32 v3, v3, v4, v7
	v_div_fixup_f32 v4, v3, v2, 1.0
	s_delay_alu instid0(VALU_DEP_1)
	v_mul_f32_e64 v5, v5, -v4
.LBB127_538:
	s_or_b32 exec_lo, exec_lo, s1
	ds_store_b64 v19, v[4:5]
.LBB127_539:
	s_or_b32 exec_lo, exec_lo, s2
	s_wait_dscnt 0x0
	s_barrier_signal -1
	s_barrier_wait -1
	ds_load_b64 v[124:125], v19
	s_mov_b32 s1, exec_lo
	v_cmpx_lt_u32_e32 59, v18
	s_cbranch_execz .LBB127_541
; %bb.540:
	s_wait_dscnt 0x0
	v_pk_mul_f32 v[2:3], v[124:125], v[244:245] op_sel:[1,1] op_sel_hi:[0,1]
	s_delay_alu instid0(VALU_DEP_1)
	v_pk_fma_f32 v[6:7], v[124:125], v[244:245], v[2:3] op_sel_hi:[1,0,1] neg_lo:[0,0,1] neg_hi:[0,0,1]
	v_pk_fma_f32 v[122:123], v[124:125], v[244:245], v[2:3] op_sel_hi:[1,0,1]
	ds_load_2addr_b64 v[2:5], v126 offset0:60 offset1:61
	v_dual_mov_b32 v244, v6 :: v_dual_mov_b32 v245, v123
	s_wait_dscnt 0x0
	v_pk_mul_f32 v[128:129], v[2:3], v[122:123] op_sel:[0,1]
	s_delay_alu instid0(VALU_DEP_1) | instskip(SKIP_1) | instid1(VALU_DEP_1)
	v_pk_fma_f32 v[8:9], v[2:3], v[6:7], v[128:129] op_sel:[0,0,1] op_sel_hi:[1,1,0] neg_lo:[0,0,1] neg_hi:[0,0,1]
	v_pk_fma_f32 v[2:3], v[2:3], v[6:7], v[128:129] op_sel:[0,0,1] op_sel_hi:[1,0,0]
	v_mov_b32_e32 v9, v3
	v_pk_mul_f32 v[2:3], v[4:5], v[122:123] op_sel:[0,1]
	s_delay_alu instid0(VALU_DEP_2) | instskip(NEXT) | instid1(VALU_DEP_2)
	v_pk_add_f32 v[248:249], v[248:249], v[8:9] neg_lo:[0,1] neg_hi:[0,1]
	v_pk_fma_f32 v[8:9], v[4:5], v[6:7], v[2:3] op_sel:[0,0,1] op_sel_hi:[1,1,0] neg_lo:[0,0,1] neg_hi:[0,0,1]
	v_pk_fma_f32 v[2:3], v[4:5], v[6:7], v[2:3] op_sel:[0,0,1] op_sel_hi:[1,0,0]
	s_delay_alu instid0(VALU_DEP_1) | instskip(SKIP_4) | instid1(VALU_DEP_1)
	v_mov_b32_e32 v9, v3
	ds_load_2addr_b64 v[2:5], v126 offset0:62 offset1:63
	v_pk_add_f32 v[242:243], v[242:243], v[8:9] neg_lo:[0,1] neg_hi:[0,1]
	s_wait_dscnt 0x0
	v_pk_mul_f32 v[8:9], v[2:3], v[122:123] op_sel:[0,1]
	v_pk_fma_f32 v[128:129], v[2:3], v[6:7], v[8:9] op_sel:[0,0,1] op_sel_hi:[1,1,0] neg_lo:[0,0,1] neg_hi:[0,0,1]
	v_pk_fma_f32 v[2:3], v[2:3], v[6:7], v[8:9] op_sel:[0,0,1] op_sel_hi:[1,0,0]
	s_delay_alu instid0(VALU_DEP_1) | instskip(SKIP_1) | instid1(VALU_DEP_2)
	v_dual_mov_b32 v2, v5 :: v_dual_mov_b32 v129, v3
	v_mov_b32_e32 v3, v4
	v_pk_add_f32 v[254:255], v[254:255], v[128:129] neg_lo:[0,1] neg_hi:[0,1]
	s_delay_alu instid0(VALU_DEP_2) | instskip(NEXT) | instid1(VALU_DEP_1)
	v_pk_mul_f32 v[2:3], v[2:3], v[122:123] op_sel:[0,1]
	v_pk_fma_f32 v[8:9], v[4:5], v[6:7], v[2:3] neg_lo:[0,0,1] neg_hi:[0,0,1]
	v_pk_fma_f32 v[2:3], v[4:5], v[6:7], v[2:3] op_sel_hi:[1,0,1]
	s_delay_alu instid0(VALU_DEP_1) | instskip(NEXT) | instid1(VALU_DEP_1)
	v_mov_b32_e32 v9, v3
	v_pk_add_f32 v[0:1], v[0:1], v[8:9] neg_lo:[0,1] neg_hi:[0,1]
.LBB127_541:
	s_or_b32 exec_lo, exec_lo, s1
	s_delay_alu instid0(SALU_CYCLE_1)
	s_mov_b32 s2, exec_lo
	s_wait_dscnt 0x0
	s_barrier_signal -1
	s_barrier_wait -1
	v_cmpx_eq_u32_e32 60, v18
	s_cbranch_execz .LBB127_548
; %bb.542:
	ds_store_b64 v19, v[248:249]
	ds_store_2addr_b64 v126, v[242:243], v[254:255] offset0:61 offset1:62
	ds_store_b64 v126, v[0:1] offset:504
	ds_load_b64 v[2:3], v19
	s_wait_dscnt 0x0
	v_cmp_neq_f32_e32 vcc_lo, 0, v2
	v_cmp_neq_f32_e64 s1, 0, v3
	s_or_b32 s1, vcc_lo, s1
	s_delay_alu instid0(SALU_CYCLE_1)
	s_and_b32 exec_lo, exec_lo, s1
	s_cbranch_execz .LBB127_548
; %bb.543:
	v_cmp_ngt_f32_e64 s1, |v2|, |v3|
                                        ; implicit-def: $vgpr4_vgpr5
	s_and_saveexec_b32 s4, s1
	s_delay_alu instid0(SALU_CYCLE_1)
	s_xor_b32 s1, exec_lo, s4
	s_cbranch_execz .LBB127_545
; %bb.544:
	v_div_scale_f32 v4, null, v3, v3, v2
	v_div_scale_f32 v7, vcc_lo, v2, v3, v2
	s_delay_alu instid0(VALU_DEP_2) | instskip(SKIP_1) | instid1(TRANS32_DEP_1)
	v_rcp_f32_e32 v5, v4
	v_nop
	v_fma_f32 v6, -v4, v5, 1.0
	s_delay_alu instid0(VALU_DEP_1) | instskip(NEXT) | instid1(VALU_DEP_1)
	v_fmac_f32_e32 v5, v6, v5
	v_mul_f32_e32 v6, v7, v5
	s_delay_alu instid0(VALU_DEP_1) | instskip(NEXT) | instid1(VALU_DEP_1)
	v_fma_f32 v8, -v4, v6, v7
	v_fmac_f32_e32 v6, v8, v5
	s_delay_alu instid0(VALU_DEP_1) | instskip(NEXT) | instid1(VALU_DEP_1)
	v_fma_f32 v4, -v4, v6, v7
	v_div_fmas_f32 v4, v4, v5, v6
	s_delay_alu instid0(VALU_DEP_1) | instskip(NEXT) | instid1(VALU_DEP_1)
	v_div_fixup_f32 v4, v4, v3, v2
	v_fmac_f32_e32 v3, v2, v4
	s_delay_alu instid0(VALU_DEP_1) | instskip(SKIP_1) | instid1(VALU_DEP_2)
	v_div_scale_f32 v2, null, v3, v3, 1.0
	v_div_scale_f32 v7, vcc_lo, 1.0, v3, 1.0
	v_rcp_f32_e32 v5, v2
	v_nop
	s_delay_alu instid0(TRANS32_DEP_1) | instskip(NEXT) | instid1(VALU_DEP_1)
	v_fma_f32 v6, -v2, v5, 1.0
	v_fmac_f32_e32 v5, v6, v5
	s_delay_alu instid0(VALU_DEP_1) | instskip(NEXT) | instid1(VALU_DEP_1)
	v_mul_f32_e32 v6, v7, v5
	v_fma_f32 v8, -v2, v6, v7
	s_delay_alu instid0(VALU_DEP_1) | instskip(NEXT) | instid1(VALU_DEP_1)
	v_fmac_f32_e32 v6, v8, v5
	v_fma_f32 v2, -v2, v6, v7
	s_delay_alu instid0(VALU_DEP_1) | instskip(NEXT) | instid1(VALU_DEP_1)
	v_div_fmas_f32 v2, v2, v5, v6
	v_div_fixup_f32 v2, v2, v3, 1.0
	s_delay_alu instid0(VALU_DEP_1)
	v_mul_f32_e32 v4, v4, v2
	v_xor_b32_e32 v5, 0x80000000, v2
                                        ; implicit-def: $vgpr2_vgpr3
.LBB127_545:
	s_and_not1_saveexec_b32 s1, s1
	s_cbranch_execz .LBB127_547
; %bb.546:
	v_div_scale_f32 v4, null, v2, v2, v3
	v_div_scale_f32 v7, vcc_lo, v3, v2, v3
	s_delay_alu instid0(VALU_DEP_2) | instskip(SKIP_1) | instid1(TRANS32_DEP_1)
	v_rcp_f32_e32 v5, v4
	v_nop
	v_fma_f32 v6, -v4, v5, 1.0
	s_delay_alu instid0(VALU_DEP_1) | instskip(NEXT) | instid1(VALU_DEP_1)
	v_fmac_f32_e32 v5, v6, v5
	v_mul_f32_e32 v6, v7, v5
	s_delay_alu instid0(VALU_DEP_1) | instskip(NEXT) | instid1(VALU_DEP_1)
	v_fma_f32 v8, -v4, v6, v7
	v_fmac_f32_e32 v6, v8, v5
	s_delay_alu instid0(VALU_DEP_1) | instskip(NEXT) | instid1(VALU_DEP_1)
	v_fma_f32 v4, -v4, v6, v7
	v_div_fmas_f32 v4, v4, v5, v6
	s_delay_alu instid0(VALU_DEP_1) | instskip(NEXT) | instid1(VALU_DEP_1)
	v_div_fixup_f32 v5, v4, v2, v3
	v_fmac_f32_e32 v2, v3, v5
	s_delay_alu instid0(VALU_DEP_1) | instskip(NEXT) | instid1(VALU_DEP_1)
	v_div_scale_f32 v3, null, v2, v2, 1.0
	v_rcp_f32_e32 v4, v3
	v_nop
	s_delay_alu instid0(TRANS32_DEP_1) | instskip(NEXT) | instid1(VALU_DEP_1)
	v_fma_f32 v6, -v3, v4, 1.0
	v_fmac_f32_e32 v4, v6, v4
	v_div_scale_f32 v6, vcc_lo, 1.0, v2, 1.0
	s_delay_alu instid0(VALU_DEP_1) | instskip(NEXT) | instid1(VALU_DEP_1)
	v_mul_f32_e32 v7, v6, v4
	v_fma_f32 v8, -v3, v7, v6
	s_delay_alu instid0(VALU_DEP_1) | instskip(NEXT) | instid1(VALU_DEP_1)
	v_fmac_f32_e32 v7, v8, v4
	v_fma_f32 v3, -v3, v7, v6
	s_delay_alu instid0(VALU_DEP_1) | instskip(NEXT) | instid1(VALU_DEP_1)
	v_div_fmas_f32 v3, v3, v4, v7
	v_div_fixup_f32 v4, v3, v2, 1.0
	s_delay_alu instid0(VALU_DEP_1)
	v_mul_f32_e64 v5, v5, -v4
.LBB127_547:
	s_or_b32 exec_lo, exec_lo, s1
	ds_store_b64 v19, v[4:5]
.LBB127_548:
	s_or_b32 exec_lo, exec_lo, s2
	s_wait_dscnt 0x0
	s_barrier_signal -1
	s_barrier_wait -1
	ds_load_b64 v[128:129], v19
	s_mov_b32 s1, exec_lo
	v_cmpx_lt_u32_e32 60, v18
	s_cbranch_execz .LBB127_550
; %bb.549:
	s_wait_dscnt 0x0
	v_pk_mul_f32 v[2:3], v[128:129], v[248:249] op_sel:[1,1] op_sel_hi:[0,1]
	s_delay_alu instid0(VALU_DEP_1)
	v_pk_fma_f32 v[6:7], v[128:129], v[248:249], v[2:3] op_sel_hi:[1,0,1] neg_lo:[0,0,1] neg_hi:[0,0,1]
	v_pk_fma_f32 v[8:9], v[128:129], v[248:249], v[2:3] op_sel_hi:[1,0,1]
	ds_load_2addr_b64 v[2:5], v126 offset0:61 offset1:62
	v_dual_mov_b32 v248, v6 :: v_dual_mov_b32 v249, v9
	s_wait_dscnt 0x0
	v_pk_mul_f32 v[122:123], v[2:3], v[8:9] op_sel:[0,1]
	s_delay_alu instid0(VALU_DEP_1) | instskip(SKIP_1) | instid1(VALU_DEP_1)
	v_pk_fma_f32 v[10:11], v[2:3], v[6:7], v[122:123] op_sel:[0,0,1] op_sel_hi:[1,1,0] neg_lo:[0,0,1] neg_hi:[0,0,1]
	v_pk_fma_f32 v[2:3], v[2:3], v[6:7], v[122:123] op_sel:[0,0,1] op_sel_hi:[1,0,0]
	v_mov_b32_e32 v11, v3
	v_pk_mul_f32 v[2:3], v[4:5], v[8:9] op_sel:[0,1]
	s_delay_alu instid0(VALU_DEP_2) | instskip(NEXT) | instid1(VALU_DEP_2)
	v_pk_add_f32 v[242:243], v[242:243], v[10:11] neg_lo:[0,1] neg_hi:[0,1]
	v_pk_fma_f32 v[10:11], v[4:5], v[6:7], v[2:3] op_sel:[0,0,1] op_sel_hi:[1,1,0] neg_lo:[0,0,1] neg_hi:[0,0,1]
	v_pk_fma_f32 v[2:3], v[4:5], v[6:7], v[2:3] op_sel:[0,0,1] op_sel_hi:[1,0,0]
	s_delay_alu instid0(VALU_DEP_1) | instskip(SKIP_4) | instid1(VALU_DEP_1)
	v_mov_b32_e32 v11, v3
	ds_load_b64 v[2:3], v126 offset:504
	v_pk_add_f32 v[254:255], v[254:255], v[10:11] neg_lo:[0,1] neg_hi:[0,1]
	s_wait_dscnt 0x0
	v_pk_mul_f32 v[4:5], v[2:3], v[8:9] op_sel:[1,1] op_sel_hi:[0,1]
	v_pk_fma_f32 v[8:9], v[2:3], v[6:7], v[4:5] neg_lo:[0,0,1] neg_hi:[0,0,1]
	v_pk_fma_f32 v[2:3], v[2:3], v[6:7], v[4:5] op_sel_hi:[1,0,1]
	s_delay_alu instid0(VALU_DEP_1) | instskip(NEXT) | instid1(VALU_DEP_1)
	v_mov_b32_e32 v9, v3
	v_pk_add_f32 v[0:1], v[0:1], v[8:9] neg_lo:[0,1] neg_hi:[0,1]
.LBB127_550:
	s_or_b32 exec_lo, exec_lo, s1
	s_delay_alu instid0(SALU_CYCLE_1)
	s_mov_b32 s2, exec_lo
	s_wait_dscnt 0x0
	s_barrier_signal -1
	s_barrier_wait -1
	v_cmpx_eq_u32_e32 61, v18
	s_cbranch_execz .LBB127_557
; %bb.551:
	v_dual_mov_b32 v2, v254 :: v_dual_mov_b32 v3, v255
	ds_store_b64 v19, v[242:243]
	ds_store_2addr_b64 v126, v[2:3], v[0:1] offset0:62 offset1:63
	ds_load_b64 v[2:3], v19
	s_wait_dscnt 0x0
	v_cmp_neq_f32_e32 vcc_lo, 0, v2
	v_cmp_neq_f32_e64 s1, 0, v3
	s_or_b32 s1, vcc_lo, s1
	s_delay_alu instid0(SALU_CYCLE_1)
	s_and_b32 exec_lo, exec_lo, s1
	s_cbranch_execz .LBB127_557
; %bb.552:
	v_cmp_ngt_f32_e64 s1, |v2|, |v3|
                                        ; implicit-def: $vgpr4_vgpr5
	s_and_saveexec_b32 s4, s1
	s_delay_alu instid0(SALU_CYCLE_1)
	s_xor_b32 s1, exec_lo, s4
	s_cbranch_execz .LBB127_554
; %bb.553:
	v_div_scale_f32 v4, null, v3, v3, v2
	v_div_scale_f32 v7, vcc_lo, v2, v3, v2
	s_delay_alu instid0(VALU_DEP_2) | instskip(SKIP_1) | instid1(TRANS32_DEP_1)
	v_rcp_f32_e32 v5, v4
	v_nop
	v_fma_f32 v6, -v4, v5, 1.0
	s_delay_alu instid0(VALU_DEP_1) | instskip(NEXT) | instid1(VALU_DEP_1)
	v_fmac_f32_e32 v5, v6, v5
	v_mul_f32_e32 v6, v7, v5
	s_delay_alu instid0(VALU_DEP_1) | instskip(NEXT) | instid1(VALU_DEP_1)
	v_fma_f32 v8, -v4, v6, v7
	v_fmac_f32_e32 v6, v8, v5
	s_delay_alu instid0(VALU_DEP_1) | instskip(NEXT) | instid1(VALU_DEP_1)
	v_fma_f32 v4, -v4, v6, v7
	v_div_fmas_f32 v4, v4, v5, v6
	s_delay_alu instid0(VALU_DEP_1) | instskip(NEXT) | instid1(VALU_DEP_1)
	v_div_fixup_f32 v4, v4, v3, v2
	v_fmac_f32_e32 v3, v2, v4
	s_delay_alu instid0(VALU_DEP_1) | instskip(SKIP_1) | instid1(VALU_DEP_2)
	v_div_scale_f32 v2, null, v3, v3, 1.0
	v_div_scale_f32 v7, vcc_lo, 1.0, v3, 1.0
	v_rcp_f32_e32 v5, v2
	v_nop
	s_delay_alu instid0(TRANS32_DEP_1) | instskip(NEXT) | instid1(VALU_DEP_1)
	v_fma_f32 v6, -v2, v5, 1.0
	v_fmac_f32_e32 v5, v6, v5
	s_delay_alu instid0(VALU_DEP_1) | instskip(NEXT) | instid1(VALU_DEP_1)
	v_mul_f32_e32 v6, v7, v5
	v_fma_f32 v8, -v2, v6, v7
	s_delay_alu instid0(VALU_DEP_1) | instskip(NEXT) | instid1(VALU_DEP_1)
	v_fmac_f32_e32 v6, v8, v5
	v_fma_f32 v2, -v2, v6, v7
	s_delay_alu instid0(VALU_DEP_1) | instskip(NEXT) | instid1(VALU_DEP_1)
	v_div_fmas_f32 v2, v2, v5, v6
	v_div_fixup_f32 v2, v2, v3, 1.0
	s_delay_alu instid0(VALU_DEP_1)
	v_mul_f32_e32 v4, v4, v2
	v_xor_b32_e32 v5, 0x80000000, v2
                                        ; implicit-def: $vgpr2_vgpr3
.LBB127_554:
	s_and_not1_saveexec_b32 s1, s1
	s_cbranch_execz .LBB127_556
; %bb.555:
	v_div_scale_f32 v4, null, v2, v2, v3
	v_div_scale_f32 v7, vcc_lo, v3, v2, v3
	s_delay_alu instid0(VALU_DEP_2) | instskip(SKIP_1) | instid1(TRANS32_DEP_1)
	v_rcp_f32_e32 v5, v4
	v_nop
	v_fma_f32 v6, -v4, v5, 1.0
	s_delay_alu instid0(VALU_DEP_1) | instskip(NEXT) | instid1(VALU_DEP_1)
	v_fmac_f32_e32 v5, v6, v5
	v_mul_f32_e32 v6, v7, v5
	s_delay_alu instid0(VALU_DEP_1) | instskip(NEXT) | instid1(VALU_DEP_1)
	v_fma_f32 v8, -v4, v6, v7
	v_fmac_f32_e32 v6, v8, v5
	s_delay_alu instid0(VALU_DEP_1) | instskip(NEXT) | instid1(VALU_DEP_1)
	v_fma_f32 v4, -v4, v6, v7
	v_div_fmas_f32 v4, v4, v5, v6
	s_delay_alu instid0(VALU_DEP_1) | instskip(NEXT) | instid1(VALU_DEP_1)
	v_div_fixup_f32 v5, v4, v2, v3
	v_fmac_f32_e32 v2, v3, v5
	s_delay_alu instid0(VALU_DEP_1) | instskip(NEXT) | instid1(VALU_DEP_1)
	v_div_scale_f32 v3, null, v2, v2, 1.0
	v_rcp_f32_e32 v4, v3
	v_nop
	s_delay_alu instid0(TRANS32_DEP_1) | instskip(NEXT) | instid1(VALU_DEP_1)
	v_fma_f32 v6, -v3, v4, 1.0
	v_fmac_f32_e32 v4, v6, v4
	v_div_scale_f32 v6, vcc_lo, 1.0, v2, 1.0
	s_delay_alu instid0(VALU_DEP_1) | instskip(NEXT) | instid1(VALU_DEP_1)
	v_mul_f32_e32 v7, v6, v4
	v_fma_f32 v8, -v3, v7, v6
	s_delay_alu instid0(VALU_DEP_1) | instskip(NEXT) | instid1(VALU_DEP_1)
	v_fmac_f32_e32 v7, v8, v4
	v_fma_f32 v3, -v3, v7, v6
	s_delay_alu instid0(VALU_DEP_1) | instskip(NEXT) | instid1(VALU_DEP_1)
	v_div_fmas_f32 v3, v3, v4, v7
	v_div_fixup_f32 v4, v3, v2, 1.0
	s_delay_alu instid0(VALU_DEP_1)
	v_mul_f32_e64 v5, v5, -v4
.LBB127_556:
	s_or_b32 exec_lo, exec_lo, s1
	ds_store_b64 v19, v[4:5]
.LBB127_557:
	s_or_b32 exec_lo, exec_lo, s2
	s_wait_dscnt 0x0
	s_barrier_signal -1
	s_barrier_wait -1
	ds_load_b64 v[2:3], v19
	s_mov_b32 s1, exec_lo
	v_cmpx_lt_u32_e32 61, v18
	s_cbranch_execz .LBB127_559
; %bb.558:
	s_wait_dscnt 0x0
	v_pk_mul_f32 v[4:5], v[2:3], v[242:243] op_sel:[1,1] op_sel_hi:[0,1]
	s_delay_alu instid0(VALU_DEP_1)
	v_pk_fma_f32 v[8:9], v[2:3], v[242:243], v[4:5] op_sel_hi:[1,0,1] neg_lo:[0,0,1] neg_hi:[0,0,1]
	v_pk_fma_f32 v[10:11], v[2:3], v[242:243], v[4:5] op_sel_hi:[1,0,1]
	ds_load_2addr_b64 v[4:7], v126 offset0:62 offset1:63
	v_dual_mov_b32 v242, v8 :: v_dual_mov_b32 v243, v11
	s_wait_dscnt 0x0
	v_pk_mul_f32 v[122:123], v[4:5], v[10:11] op_sel:[0,1]
	s_delay_alu instid0(VALU_DEP_1) | instskip(SKIP_1) | instid1(VALU_DEP_1)
	v_pk_fma_f32 v[12:13], v[4:5], v[8:9], v[122:123] op_sel:[0,0,1] op_sel_hi:[1,1,0] neg_lo:[0,0,1] neg_hi:[0,0,1]
	v_pk_fma_f32 v[4:5], v[4:5], v[8:9], v[122:123] op_sel:[0,0,1] op_sel_hi:[1,0,0]
	v_dual_mov_b32 v4, v7 :: v_dual_mov_b32 v13, v5
	v_mov_b32_e32 v5, v6
	s_delay_alu instid0(VALU_DEP_2) | instskip(NEXT) | instid1(VALU_DEP_2)
	v_pk_add_f32 v[254:255], v[254:255], v[12:13] neg_lo:[0,1] neg_hi:[0,1]
	v_pk_mul_f32 v[4:5], v[4:5], v[10:11] op_sel:[0,1]
	s_delay_alu instid0(VALU_DEP_1) | instskip(SKIP_1) | instid1(VALU_DEP_1)
	v_pk_fma_f32 v[10:11], v[6:7], v[8:9], v[4:5] neg_lo:[0,0,1] neg_hi:[0,0,1]
	v_pk_fma_f32 v[4:5], v[6:7], v[8:9], v[4:5] op_sel_hi:[1,0,1]
	v_mov_b32_e32 v11, v5
	s_delay_alu instid0(VALU_DEP_1)
	v_pk_add_f32 v[0:1], v[0:1], v[10:11] neg_lo:[0,1] neg_hi:[0,1]
.LBB127_559:
	s_or_b32 exec_lo, exec_lo, s1
	s_delay_alu instid0(SALU_CYCLE_1)
	s_mov_b32 s2, exec_lo
	s_wait_dscnt 0x0
	s_barrier_signal -1
	s_barrier_wait -1
	v_cmpx_eq_u32_e32 62, v18
	s_cbranch_execz .LBB127_566
; %bb.560:
	ds_store_b64 v19, v[254:255]
	ds_store_b64 v126, v[0:1] offset:504
	ds_load_b64 v[4:5], v19
	s_wait_dscnt 0x0
	v_cmp_neq_f32_e32 vcc_lo, 0, v4
	v_cmp_neq_f32_e64 s1, 0, v5
	s_or_b32 s1, vcc_lo, s1
	s_delay_alu instid0(SALU_CYCLE_1)
	s_and_b32 exec_lo, exec_lo, s1
	s_cbranch_execz .LBB127_566
; %bb.561:
	v_cmp_ngt_f32_e64 s1, |v4|, |v5|
                                        ; implicit-def: $vgpr122_vgpr123
	s_and_saveexec_b32 s4, s1
	s_delay_alu instid0(SALU_CYCLE_1)
	s_xor_b32 s1, exec_lo, s4
	s_cbranch_execz .LBB127_563
; %bb.562:
	v_div_scale_f32 v6, null, v5, v5, v4
	v_div_scale_f32 v9, vcc_lo, v4, v5, v4
	s_delay_alu instid0(VALU_DEP_2) | instskip(SKIP_1) | instid1(TRANS32_DEP_1)
	v_rcp_f32_e32 v7, v6
	v_nop
	v_fma_f32 v8, -v6, v7, 1.0
	s_delay_alu instid0(VALU_DEP_1) | instskip(NEXT) | instid1(VALU_DEP_1)
	v_fmac_f32_e32 v7, v8, v7
	v_mul_f32_e32 v8, v9, v7
	s_delay_alu instid0(VALU_DEP_1) | instskip(NEXT) | instid1(VALU_DEP_1)
	v_fma_f32 v10, -v6, v8, v9
	v_fmac_f32_e32 v8, v10, v7
	s_delay_alu instid0(VALU_DEP_1) | instskip(NEXT) | instid1(VALU_DEP_1)
	v_fma_f32 v6, -v6, v8, v9
	v_div_fmas_f32 v6, v6, v7, v8
	s_delay_alu instid0(VALU_DEP_1) | instskip(NEXT) | instid1(VALU_DEP_1)
	v_div_fixup_f32 v6, v6, v5, v4
	v_fmac_f32_e32 v5, v4, v6
	s_delay_alu instid0(VALU_DEP_1) | instskip(SKIP_1) | instid1(VALU_DEP_2)
	v_div_scale_f32 v4, null, v5, v5, 1.0
	v_div_scale_f32 v9, vcc_lo, 1.0, v5, 1.0
	v_rcp_f32_e32 v7, v4
	v_nop
	s_delay_alu instid0(TRANS32_DEP_1) | instskip(NEXT) | instid1(VALU_DEP_1)
	v_fma_f32 v8, -v4, v7, 1.0
	v_fmac_f32_e32 v7, v8, v7
	s_delay_alu instid0(VALU_DEP_1) | instskip(NEXT) | instid1(VALU_DEP_1)
	v_mul_f32_e32 v8, v9, v7
	v_fma_f32 v10, -v4, v8, v9
	s_delay_alu instid0(VALU_DEP_1) | instskip(NEXT) | instid1(VALU_DEP_1)
	v_fmac_f32_e32 v8, v10, v7
	v_fma_f32 v4, -v4, v8, v9
	s_delay_alu instid0(VALU_DEP_1) | instskip(NEXT) | instid1(VALU_DEP_1)
	v_div_fmas_f32 v4, v4, v7, v8
	v_div_fixup_f32 v4, v4, v5, 1.0
	s_delay_alu instid0(VALU_DEP_1)
	v_mul_f32_e32 v122, v6, v4
	v_xor_b32_e32 v123, 0x80000000, v4
                                        ; implicit-def: $vgpr4_vgpr5
.LBB127_563:
	s_and_not1_saveexec_b32 s1, s1
	s_cbranch_execz .LBB127_565
; %bb.564:
	v_div_scale_f32 v6, null, v4, v4, v5
	v_div_scale_f32 v9, vcc_lo, v5, v4, v5
	s_delay_alu instid0(VALU_DEP_2) | instskip(SKIP_1) | instid1(TRANS32_DEP_1)
	v_rcp_f32_e32 v7, v6
	v_nop
	v_fma_f32 v8, -v6, v7, 1.0
	s_delay_alu instid0(VALU_DEP_1) | instskip(NEXT) | instid1(VALU_DEP_1)
	v_fmac_f32_e32 v7, v8, v7
	v_mul_f32_e32 v8, v9, v7
	s_delay_alu instid0(VALU_DEP_1) | instskip(NEXT) | instid1(VALU_DEP_1)
	v_fma_f32 v10, -v6, v8, v9
	v_fmac_f32_e32 v8, v10, v7
	s_delay_alu instid0(VALU_DEP_1) | instskip(NEXT) | instid1(VALU_DEP_1)
	v_fma_f32 v6, -v6, v8, v9
	v_div_fmas_f32 v6, v6, v7, v8
	s_delay_alu instid0(VALU_DEP_1) | instskip(NEXT) | instid1(VALU_DEP_1)
	v_div_fixup_f32 v6, v6, v4, v5
	v_fmac_f32_e32 v4, v5, v6
	s_delay_alu instid0(VALU_DEP_1) | instskip(NEXT) | instid1(VALU_DEP_1)
	v_div_scale_f32 v5, null, v4, v4, 1.0
	v_rcp_f32_e32 v7, v5
	v_nop
	s_delay_alu instid0(TRANS32_DEP_1) | instskip(NEXT) | instid1(VALU_DEP_1)
	v_fma_f32 v8, -v5, v7, 1.0
	v_fmac_f32_e32 v7, v8, v7
	v_div_scale_f32 v8, vcc_lo, 1.0, v4, 1.0
	s_delay_alu instid0(VALU_DEP_1) | instskip(NEXT) | instid1(VALU_DEP_1)
	v_mul_f32_e32 v9, v8, v7
	v_fma_f32 v10, -v5, v9, v8
	s_delay_alu instid0(VALU_DEP_1) | instskip(NEXT) | instid1(VALU_DEP_1)
	v_fmac_f32_e32 v9, v10, v7
	v_fma_f32 v5, -v5, v9, v8
	s_delay_alu instid0(VALU_DEP_1) | instskip(NEXT) | instid1(VALU_DEP_1)
	v_div_fmas_f32 v5, v5, v7, v9
	v_div_fixup_f32 v122, v5, v4, 1.0
	s_delay_alu instid0(VALU_DEP_1)
	v_mul_f32_e64 v123, v6, -v122
.LBB127_565:
	s_or_b32 exec_lo, exec_lo, s1
	ds_store_b64 v19, v[122:123]
.LBB127_566:
	s_or_b32 exec_lo, exec_lo, s2
	s_wait_dscnt 0x0
	s_barrier_signal -1
	s_barrier_wait -1
	ds_load_b64 v[4:5], v19
	s_mov_b32 s1, exec_lo
	v_cmpx_lt_u32_e32 62, v18
	s_cbranch_execz .LBB127_568
; %bb.567:
	ds_load_b64 v[6:7], v126 offset:504
	s_wait_dscnt 0x1
	v_pk_mul_f32 v[8:9], v[4:5], v[254:255] op_sel:[1,1] op_sel_hi:[0,1]
	s_delay_alu instid0(VALU_DEP_1) | instskip(SKIP_2) | instid1(VALU_DEP_2)
	v_pk_fma_f32 v[10:11], v[4:5], v[254:255], v[8:9] op_sel_hi:[1,0,1]
	v_pk_fma_f32 v[254:255], v[4:5], v[254:255], v[8:9] op_sel_hi:[1,0,1] neg_lo:[0,0,1] neg_hi:[0,0,1]
	s_wait_dscnt 0x0
	v_pk_mul_f32 v[8:9], v[6:7], v[10:11] op_sel:[1,1] op_sel_hi:[0,1]
	s_delay_alu instid0(VALU_DEP_1) | instskip(SKIP_1) | instid1(VALU_DEP_2)
	v_pk_fma_f32 v[12:13], v[6:7], v[254:255], v[8:9] op_sel_hi:[1,0,1]
	v_pk_fma_f32 v[6:7], v[6:7], v[254:255], v[8:9] neg_lo:[0,0,1] neg_hi:[0,0,1]
	v_dual_mov_b32 v255, v11 :: v_dual_mov_b32 v7, v13
	s_delay_alu instid0(VALU_DEP_1)
	v_pk_add_f32 v[0:1], v[0:1], v[6:7] neg_lo:[0,1] neg_hi:[0,1]
.LBB127_568:
	s_or_b32 exec_lo, exec_lo, s1
	s_delay_alu instid0(SALU_CYCLE_1)
	s_mov_b32 s2, exec_lo
	s_wait_dscnt 0x0
	s_barrier_signal -1
	s_barrier_wait -1
	v_cmpx_eq_u32_e32 63, v18
	s_cbranch_execz .LBB127_575
; %bb.569:
	v_cmp_neq_f32_e32 vcc_lo, 0, v0
	v_cmp_neq_f32_e64 s1, 0, v1
	ds_store_b64 v19, v[0:1]
	s_or_b32 s1, vcc_lo, s1
	s_delay_alu instid0(SALU_CYCLE_1)
	s_and_b32 exec_lo, exec_lo, s1
	s_cbranch_execz .LBB127_575
; %bb.570:
	v_cmp_ngt_f32_e64 s1, |v0|, |v1|
                                        ; implicit-def: $vgpr122_vgpr123
	s_and_saveexec_b32 s4, s1
	s_delay_alu instid0(SALU_CYCLE_1)
	s_xor_b32 s1, exec_lo, s4
	s_cbranch_execz .LBB127_572
; %bb.571:
	v_div_scale_f32 v6, null, v1, v1, v0
	v_div_scale_f32 v9, vcc_lo, v0, v1, v0
	s_delay_alu instid0(VALU_DEP_2) | instskip(SKIP_1) | instid1(TRANS32_DEP_1)
	v_rcp_f32_e32 v7, v6
	v_nop
	v_fma_f32 v8, -v6, v7, 1.0
	s_delay_alu instid0(VALU_DEP_1) | instskip(NEXT) | instid1(VALU_DEP_1)
	v_fmac_f32_e32 v7, v8, v7
	v_mul_f32_e32 v8, v9, v7
	s_delay_alu instid0(VALU_DEP_1) | instskip(NEXT) | instid1(VALU_DEP_1)
	v_fma_f32 v10, -v6, v8, v9
	v_fmac_f32_e32 v8, v10, v7
	s_delay_alu instid0(VALU_DEP_1) | instskip(NEXT) | instid1(VALU_DEP_1)
	v_fma_f32 v6, -v6, v8, v9
	v_div_fmas_f32 v6, v6, v7, v8
	s_delay_alu instid0(VALU_DEP_1) | instskip(NEXT) | instid1(VALU_DEP_1)
	v_div_fixup_f32 v6, v6, v1, v0
	v_fma_f32 v7, v0, v6, v1
	s_delay_alu instid0(VALU_DEP_1) | instskip(SKIP_1) | instid1(VALU_DEP_2)
	v_div_scale_f32 v8, null, v7, v7, 1.0
	v_div_scale_f32 v11, vcc_lo, 1.0, v7, 1.0
	v_rcp_f32_e32 v9, v8
	v_nop
	s_delay_alu instid0(TRANS32_DEP_1) | instskip(NEXT) | instid1(VALU_DEP_1)
	v_fma_f32 v10, -v8, v9, 1.0
	v_fmac_f32_e32 v9, v10, v9
	s_delay_alu instid0(VALU_DEP_1) | instskip(NEXT) | instid1(VALU_DEP_1)
	v_mul_f32_e32 v10, v11, v9
	v_fma_f32 v12, -v8, v10, v11
	s_delay_alu instid0(VALU_DEP_1) | instskip(NEXT) | instid1(VALU_DEP_1)
	v_fmac_f32_e32 v10, v12, v9
	v_fma_f32 v8, -v8, v10, v11
	s_delay_alu instid0(VALU_DEP_1) | instskip(NEXT) | instid1(VALU_DEP_1)
	v_div_fmas_f32 v8, v8, v9, v10
	v_div_fixup_f32 v7, v8, v7, 1.0
	s_delay_alu instid0(VALU_DEP_1)
	v_mul_f32_e32 v122, v6, v7
	v_xor_b32_e32 v123, 0x80000000, v7
.LBB127_572:
	s_and_not1_saveexec_b32 s1, s1
	s_cbranch_execz .LBB127_574
; %bb.573:
	v_div_scale_f32 v6, null, v0, v0, v1
	v_div_scale_f32 v9, vcc_lo, v1, v0, v1
	s_delay_alu instid0(VALU_DEP_2) | instskip(SKIP_1) | instid1(TRANS32_DEP_1)
	v_rcp_f32_e32 v7, v6
	v_nop
	v_fma_f32 v8, -v6, v7, 1.0
	s_delay_alu instid0(VALU_DEP_1) | instskip(NEXT) | instid1(VALU_DEP_1)
	v_fmac_f32_e32 v7, v8, v7
	v_mul_f32_e32 v8, v9, v7
	s_delay_alu instid0(VALU_DEP_1) | instskip(NEXT) | instid1(VALU_DEP_1)
	v_fma_f32 v10, -v6, v8, v9
	v_fmac_f32_e32 v8, v10, v7
	s_delay_alu instid0(VALU_DEP_1) | instskip(NEXT) | instid1(VALU_DEP_1)
	v_fma_f32 v6, -v6, v8, v9
	v_div_fmas_f32 v6, v6, v7, v8
	s_delay_alu instid0(VALU_DEP_1) | instskip(NEXT) | instid1(VALU_DEP_1)
	v_div_fixup_f32 v6, v6, v0, v1
	v_fma_f32 v7, v1, v6, v0
	s_delay_alu instid0(VALU_DEP_1) | instskip(NEXT) | instid1(VALU_DEP_1)
	v_div_scale_f32 v8, null, v7, v7, 1.0
	v_rcp_f32_e32 v9, v8
	v_nop
	s_delay_alu instid0(TRANS32_DEP_1) | instskip(NEXT) | instid1(VALU_DEP_1)
	v_fma_f32 v10, -v8, v9, 1.0
	v_fmac_f32_e32 v9, v10, v9
	v_div_scale_f32 v10, vcc_lo, 1.0, v7, 1.0
	s_delay_alu instid0(VALU_DEP_1) | instskip(NEXT) | instid1(VALU_DEP_1)
	v_mul_f32_e32 v11, v10, v9
	v_fma_f32 v12, -v8, v11, v10
	s_delay_alu instid0(VALU_DEP_1) | instskip(NEXT) | instid1(VALU_DEP_1)
	v_fmac_f32_e32 v11, v12, v9
	v_fma_f32 v8, -v8, v11, v10
	s_delay_alu instid0(VALU_DEP_1) | instskip(NEXT) | instid1(VALU_DEP_1)
	v_div_fmas_f32 v8, v8, v9, v11
	v_div_fixup_f32 v122, v8, v7, 1.0
	s_delay_alu instid0(VALU_DEP_1)
	v_mul_f32_e64 v123, v6, -v122
.LBB127_574:
	s_or_b32 exec_lo, exec_lo, s1
	ds_store_b64 v19, v[122:123]
.LBB127_575:
	s_or_b32 exec_lo, exec_lo, s2
	s_wait_dscnt 0x0
	s_barrier_signal -1
	s_barrier_wait -1
	ds_load_b64 v[122:123], v19
	s_wait_dscnt 0x0
	s_barrier_signal -1
	s_barrier_wait -1
	s_and_saveexec_b32 s2, s0
	s_cbranch_execz .LBB127_578
; %bb.576:
	s_clause 0x1
	scratch_load_b64 v[6:7], off, off offset:512 th:TH_LOAD_LU
	scratch_load_b64 v[8:9], off, off offset:520 th:TH_LOAD_LU
	s_wait_loadcnt 0x1
	v_cmp_eq_f32_e32 vcc_lo, 0, v6
	v_cmp_eq_f32_e64 s0, 0, v7
	s_and_b32 s1, vcc_lo, s0
	s_wait_loadcnt 0x0
	v_cmp_neq_f32_e32 vcc_lo, 0, v8
	v_cmp_neq_f32_e64 s0, 0, v9
	scratch_load_b64 v[8:9], off, off offset:528 th:TH_LOAD_LU ; 8-byte Folded Reload
	v_cndmask_b32_e64 v6, 0, 1, s1
	s_or_b32 s0, vcc_lo, s0
	s_delay_alu instid0(SALU_CYCLE_1) | instskip(SKIP_1) | instid1(VALU_DEP_2)
	s_or_b32 vcc_lo, s0, s1
	v_cmp_eq_f32_e64 s1, 0, v123
	v_cndmask_b32_e32 v6, 2, v6, vcc_lo
	s_wait_loadcnt 0x0
	v_cmp_eq_f32_e32 vcc_lo, 0, v8
	v_cmp_eq_f32_e64 s0, 0, v9
	scratch_load_b64 v[8:9], off, off offset:536 th:TH_LOAD_LU ; 8-byte Folded Reload
	s_and_b32 s0, vcc_lo, s0
	v_cmp_eq_u32_e32 vcc_lo, 0, v6
	s_and_b32 s0, s0, vcc_lo
	s_delay_alu instid0(SALU_CYCLE_1)
	v_cndmask_b32_e64 v6, v6, 3, s0
	s_wait_loadcnt 0x0
	v_cmp_eq_f32_e32 vcc_lo, 0, v8
	v_cmp_eq_f32_e64 s0, 0, v9
	scratch_load_b64 v[8:9], off, off offset:544 th:TH_LOAD_LU ; 8-byte Folded Reload
	s_and_b32 s0, vcc_lo, s0
	v_cmp_eq_u32_e32 vcc_lo, 0, v6
	s_and_b32 s0, s0, vcc_lo
	s_delay_alu instid0(SALU_CYCLE_1)
	v_cndmask_b32_e64 v6, v6, 4, s0
	;; [unrolled: 9-line block ×3, first 2 shown]
	s_wait_loadcnt 0x0
	v_cmp_eq_f32_e32 vcc_lo, 0, v8
	v_cmp_eq_f32_e64 s0, 0, v9
	s_and_b32 s0, vcc_lo, s0
	v_cmp_eq_u32_e32 vcc_lo, 0, v6
	s_and_b32 s0, s0, vcc_lo
	v_cmp_eq_f32_e32 vcc_lo, 0, v14
	v_cndmask_b32_e64 v6, v6, 6, s0
	v_cmp_eq_f32_e64 s0, 0, v15
	s_and_b32 s0, vcc_lo, s0
	v_cmp_eq_u32_e32 vcc_lo, 0, v6
	s_and_b32 s0, s0, vcc_lo
	v_cmp_eq_f32_e32 vcc_lo, 0, v16
	v_cndmask_b32_e64 v6, v6, 7, s0
	;; [unrolled: 6-line block ×57, first 2 shown]
	v_cmp_eq_f32_e64 s0, 0, v5
	s_and_b32 s0, vcc_lo, s0
	v_cmp_eq_u32_e32 vcc_lo, 0, v2
	s_and_b32 s0, s0, vcc_lo
	s_delay_alu instid0(SALU_CYCLE_1) | instskip(SKIP_1) | instid1(VALU_DEP_2)
	v_cndmask_b32_e64 v2, v2, 63, s0
	v_cmp_eq_f32_e64 s0, 0, v122
	v_cmp_eq_u32_e32 vcc_lo, 0, v2
	s_and_b32 s0, s0, s1
	s_delay_alu instid0(SALU_CYCLE_1) | instskip(NEXT) | instid1(SALU_CYCLE_1)
	s_and_b32 s0, s0, vcc_lo
	v_cndmask_b32_e64 v4, v2, 64, s0
	scratch_load_b64 v[2:3], off, off offset:560 th:TH_LOAD_LU ; 8-byte Folded Reload
	v_cmp_ne_u32_e64 s0, 0, v4
	s_wait_loadcnt 0x0
	v_lshl_add_u64 v[2:3], v[2:3], 2, s[6:7]
	global_load_b32 v5, v[2:3], off
	s_wait_loadcnt 0x0
	v_cmp_eq_u32_e32 vcc_lo, 0, v5
	s_and_b32 s0, vcc_lo, s0
	s_delay_alu instid0(SALU_CYCLE_1)
	s_and_b32 exec_lo, exec_lo, s0
	s_cbranch_execz .LBB127_578
; %bb.577:
	v_add_nc_u32_e32 v4, s3, v4
	global_store_b32 v[2:3], v4, off
.LBB127_578:
	s_wait_xcnt 0x0
	s_or_b32 exec_lo, exec_lo, s2
	s_clause 0x1
	scratch_load_b64 v[2:3], off, off offset:72 th:TH_LOAD_LU
	scratch_load_b64 v[6:7], off, off offset:16 th:TH_LOAD_LU
	v_cmp_lt_u32_e32 vcc_lo, 63, v18
	s_wait_loadcnt 0x1
	global_store_b64 v[2:3], v[148:149], off
	scratch_load_b64 v[2:3], off, off offset:504 th:TH_LOAD_LU ; 8-byte Folded Reload
	s_wait_loadcnt 0x0
	global_store_b64 v[2:3], v[150:151], off
	s_wait_xcnt 0x0
	v_pk_mul_f32 v[2:3], v[122:123], v[0:1] op_sel:[1,1] op_sel_hi:[0,1]
	s_delay_alu instid0(VALU_DEP_1) | instskip(SKIP_1) | instid1(VALU_DEP_1)
	v_pk_fma_f32 v[4:5], v[122:123], v[0:1], v[2:3] neg_lo:[0,0,1] neg_hi:[0,0,1]
	v_pk_fma_f32 v[2:3], v[122:123], v[0:1], v[2:3] op_sel_hi:[1,0,1]
	v_dual_cndmask_b32 v0, v0, v4 :: v_dual_cndmask_b32 v1, v1, v3
	scratch_load_b64 v[2:3], off, off th:TH_LOAD_LU ; 8-byte Folded Reload
	global_store_b64 v[6:7], v[142:143], off
	scratch_load_b64 v[6:7], off, off offset:32 th:TH_LOAD_LU ; 8-byte Folded Reload
	s_wait_loadcnt 0x0
	global_store_b64 v[6:7], v[144:145], off
	scratch_load_b64 v[6:7], off, off offset:24 th:TH_LOAD_LU ; 8-byte Folded Reload
	s_wait_loadcnt 0x0
	s_clause 0x1
	global_store_b64 v[6:7], v[136:137], off
	global_store_b64 v[2:3], v[132:133], off
	scratch_load_b64 v[2:3], off, off offset:8 th:TH_LOAD_LU ; 8-byte Folded Reload
	s_wait_loadcnt 0x0
	global_store_b64 v[2:3], v[134:135], off
	scratch_load_b64 v[2:3], off, off offset:40 th:TH_LOAD_LU ; 8-byte Folded Reload
	s_wait_loadcnt 0x0
	;; [unrolled: 3-line block ×58, first 2 shown]
	global_store_b64 v[2:3], v[0:1], off
.LBB127_579:
	s_sendmsg sendmsg(MSG_DEALLOC_VGPRS)
	s_endpgm
	.section	.rodata,"a",@progbits
	.p2align	6, 0x0
	.amdhsa_kernel _ZN9rocsolver6v33100L23getf2_npvt_small_kernelILi64E19rocblas_complex_numIfEiiPS3_EEvT1_T3_lS5_lPT2_S5_S5_
		.amdhsa_group_segment_fixed_size 0
		.amdhsa_private_segment_fixed_size 572
		.amdhsa_kernarg_size 312
		.amdhsa_user_sgpr_count 2
		.amdhsa_user_sgpr_dispatch_ptr 0
		.amdhsa_user_sgpr_queue_ptr 0
		.amdhsa_user_sgpr_kernarg_segment_ptr 1
		.amdhsa_user_sgpr_dispatch_id 0
		.amdhsa_user_sgpr_kernarg_preload_length 0
		.amdhsa_user_sgpr_kernarg_preload_offset 0
		.amdhsa_user_sgpr_private_segment_size 0
		.amdhsa_wavefront_size32 1
		.amdhsa_uses_dynamic_stack 0
		.amdhsa_enable_private_segment 1
		.amdhsa_system_sgpr_workgroup_id_x 1
		.amdhsa_system_sgpr_workgroup_id_y 1
		.amdhsa_system_sgpr_workgroup_id_z 0
		.amdhsa_system_sgpr_workgroup_info 0
		.amdhsa_system_vgpr_workitem_id 1
		.amdhsa_next_free_vgpr 256
		.amdhsa_next_free_sgpr 14
		.amdhsa_named_barrier_count 0
		.amdhsa_reserve_vcc 1
		.amdhsa_float_round_mode_32 0
		.amdhsa_float_round_mode_16_64 0
		.amdhsa_float_denorm_mode_32 3
		.amdhsa_float_denorm_mode_16_64 3
		.amdhsa_fp16_overflow 0
		.amdhsa_memory_ordered 1
		.amdhsa_forward_progress 1
		.amdhsa_inst_pref_size 255
		.amdhsa_round_robin_scheduling 0
		.amdhsa_exception_fp_ieee_invalid_op 0
		.amdhsa_exception_fp_denorm_src 0
		.amdhsa_exception_fp_ieee_div_zero 0
		.amdhsa_exception_fp_ieee_overflow 0
		.amdhsa_exception_fp_ieee_underflow 0
		.amdhsa_exception_fp_ieee_inexact 0
		.amdhsa_exception_int_div_zero 0
	.end_amdhsa_kernel
	.section	.text._ZN9rocsolver6v33100L23getf2_npvt_small_kernelILi64E19rocblas_complex_numIfEiiPS3_EEvT1_T3_lS5_lPT2_S5_S5_,"axG",@progbits,_ZN9rocsolver6v33100L23getf2_npvt_small_kernelILi64E19rocblas_complex_numIfEiiPS3_EEvT1_T3_lS5_lPT2_S5_S5_,comdat
.Lfunc_end127:
	.size	_ZN9rocsolver6v33100L23getf2_npvt_small_kernelILi64E19rocblas_complex_numIfEiiPS3_EEvT1_T3_lS5_lPT2_S5_S5_, .Lfunc_end127-_ZN9rocsolver6v33100L23getf2_npvt_small_kernelILi64E19rocblas_complex_numIfEiiPS3_EEvT1_T3_lS5_lPT2_S5_S5_
                                        ; -- End function
	.set _ZN9rocsolver6v33100L23getf2_npvt_small_kernelILi64E19rocblas_complex_numIfEiiPS3_EEvT1_T3_lS5_lPT2_S5_S5_.num_vgpr, 256
	.set _ZN9rocsolver6v33100L23getf2_npvt_small_kernelILi64E19rocblas_complex_numIfEiiPS3_EEvT1_T3_lS5_lPT2_S5_S5_.num_agpr, 0
	.set _ZN9rocsolver6v33100L23getf2_npvt_small_kernelILi64E19rocblas_complex_numIfEiiPS3_EEvT1_T3_lS5_lPT2_S5_S5_.numbered_sgpr, 14
	.set _ZN9rocsolver6v33100L23getf2_npvt_small_kernelILi64E19rocblas_complex_numIfEiiPS3_EEvT1_T3_lS5_lPT2_S5_S5_.num_named_barrier, 0
	.set _ZN9rocsolver6v33100L23getf2_npvt_small_kernelILi64E19rocblas_complex_numIfEiiPS3_EEvT1_T3_lS5_lPT2_S5_S5_.private_seg_size, 572
	.set _ZN9rocsolver6v33100L23getf2_npvt_small_kernelILi64E19rocblas_complex_numIfEiiPS3_EEvT1_T3_lS5_lPT2_S5_S5_.uses_vcc, 1
	.set _ZN9rocsolver6v33100L23getf2_npvt_small_kernelILi64E19rocblas_complex_numIfEiiPS3_EEvT1_T3_lS5_lPT2_S5_S5_.uses_flat_scratch, 1
	.set _ZN9rocsolver6v33100L23getf2_npvt_small_kernelILi64E19rocblas_complex_numIfEiiPS3_EEvT1_T3_lS5_lPT2_S5_S5_.has_dyn_sized_stack, 0
	.set _ZN9rocsolver6v33100L23getf2_npvt_small_kernelILi64E19rocblas_complex_numIfEiiPS3_EEvT1_T3_lS5_lPT2_S5_S5_.has_recursion, 0
	.set _ZN9rocsolver6v33100L23getf2_npvt_small_kernelILi64E19rocblas_complex_numIfEiiPS3_EEvT1_T3_lS5_lPT2_S5_S5_.has_indirect_call, 0
	.section	.AMDGPU.csdata,"",@progbits
; Kernel info:
; codeLenInByte = 162692
; TotalNumSgprs: 16
; NumVgprs: 256
; ScratchSize: 572
; MemoryBound: 0
; FloatMode: 240
; IeeeMode: 1
; LDSByteSize: 0 bytes/workgroup (compile time only)
; SGPRBlocks: 0
; VGPRBlocks: 15
; NumSGPRsForWavesPerEU: 16
; NumVGPRsForWavesPerEU: 256
; NamedBarCnt: 0
; Occupancy: 4
; WaveLimiterHint : 0
; COMPUTE_PGM_RSRC2:SCRATCH_EN: 1
; COMPUTE_PGM_RSRC2:USER_SGPR: 2
; COMPUTE_PGM_RSRC2:TRAP_HANDLER: 0
; COMPUTE_PGM_RSRC2:TGID_X_EN: 1
; COMPUTE_PGM_RSRC2:TGID_Y_EN: 1
; COMPUTE_PGM_RSRC2:TGID_Z_EN: 0
; COMPUTE_PGM_RSRC2:TIDIG_COMP_CNT: 1
	.section	.AMDGPU.gpr_maximums,"",@progbits
	.set amdgpu.max_num_vgpr, 0
	.set amdgpu.max_num_agpr, 0
	.set amdgpu.max_num_sgpr, 0
	.section	.AMDGPU.csdata,"",@progbits
	.type	__hip_cuid_f2c44cc0be4fa318,@object ; @__hip_cuid_f2c44cc0be4fa318
	.section	.bss,"aw",@nobits
	.globl	__hip_cuid_f2c44cc0be4fa318
__hip_cuid_f2c44cc0be4fa318:
	.byte	0                               ; 0x0
	.size	__hip_cuid_f2c44cc0be4fa318, 1

	.ident	"AMD clang version 22.0.0git (https://github.com/RadeonOpenCompute/llvm-project roc-7.2.4 26084 f58b06dce1f9c15707c5f808fd002e18c2accf7e)"
	.section	".note.GNU-stack","",@progbits
	.addrsig
	.addrsig_sym __hip_cuid_f2c44cc0be4fa318
	.amdgpu_metadata
---
amdhsa.kernels:
  - .args:
      - .offset:         0
        .size:           4
        .value_kind:     by_value
      - .address_space:  global
        .offset:         8
        .size:           8
        .value_kind:     global_buffer
      - .offset:         16
        .size:           8
        .value_kind:     by_value
      - .offset:         24
        .size:           4
        .value_kind:     by_value
      - .offset:         32
        .size:           8
        .value_kind:     by_value
      - .address_space:  global
        .offset:         40
        .size:           8
        .value_kind:     global_buffer
      - .offset:         48
        .size:           8
        .value_kind:     by_value
      - .offset:         56
        .size:           8
        .value_kind:     by_value
      - .address_space:  global
        .offset:         64
        .size:           8
        .value_kind:     global_buffer
      - .offset:         72
        .size:           4
        .value_kind:     by_value
      - .offset:         76
        .size:           4
        .value_kind:     by_value
      - .address_space:  global
        .offset:         80
        .size:           8
        .value_kind:     global_buffer
      - .offset:         88
        .size:           8
        .value_kind:     by_value
      - .offset:         96
        .size:           4
        .value_kind:     hidden_block_count_x
      - .offset:         100
        .size:           4
        .value_kind:     hidden_block_count_y
      - .offset:         104
        .size:           4
        .value_kind:     hidden_block_count_z
      - .offset:         108
        .size:           2
        .value_kind:     hidden_group_size_x
      - .offset:         110
        .size:           2
        .value_kind:     hidden_group_size_y
      - .offset:         112
        .size:           2
        .value_kind:     hidden_group_size_z
      - .offset:         114
        .size:           2
        .value_kind:     hidden_remainder_x
      - .offset:         116
        .size:           2
        .value_kind:     hidden_remainder_y
      - .offset:         118
        .size:           2
        .value_kind:     hidden_remainder_z
      - .offset:         136
        .size:           8
        .value_kind:     hidden_global_offset_x
      - .offset:         144
        .size:           8
        .value_kind:     hidden_global_offset_y
      - .offset:         152
        .size:           8
        .value_kind:     hidden_global_offset_z
      - .offset:         160
        .size:           2
        .value_kind:     hidden_grid_dims
      - .offset:         216
        .size:           4
        .value_kind:     hidden_dynamic_lds_size
    .group_segment_fixed_size: 0
    .kernarg_segment_align: 8
    .kernarg_segment_size: 352
    .language:       OpenCL C
    .language_version:
      - 2
      - 0
    .max_flat_workgroup_size: 512
    .name:           _ZN9rocsolver6v33100L18getf2_small_kernelILi1E19rocblas_complex_numIfEiiPS3_EEvT1_T3_lS5_lPS5_llPT2_S5_S5_S7_l
    .private_segment_fixed_size: 0
    .sgpr_count:     18
    .sgpr_spill_count: 0
    .symbol:         _ZN9rocsolver6v33100L18getf2_small_kernelILi1E19rocblas_complex_numIfEiiPS3_EEvT1_T3_lS5_lPS5_llPT2_S5_S5_S7_l.kd
    .uniform_work_group_size: 1
    .uses_dynamic_stack: false
    .vgpr_count:     20
    .vgpr_spill_count: 0
    .wavefront_size: 32
  - .args:
      - .offset:         0
        .size:           4
        .value_kind:     by_value
      - .address_space:  global
        .offset:         8
        .size:           8
        .value_kind:     global_buffer
      - .offset:         16
        .size:           8
        .value_kind:     by_value
      - .offset:         24
        .size:           4
        .value_kind:     by_value
      - .offset:         32
        .size:           8
        .value_kind:     by_value
      - .address_space:  global
        .offset:         40
        .size:           8
        .value_kind:     global_buffer
      - .offset:         48
        .size:           4
        .value_kind:     by_value
      - .offset:         52
        .size:           4
        .value_kind:     by_value
      - .offset:         56
        .size:           4
        .value_kind:     hidden_block_count_x
      - .offset:         60
        .size:           4
        .value_kind:     hidden_block_count_y
      - .offset:         64
        .size:           4
        .value_kind:     hidden_block_count_z
      - .offset:         68
        .size:           2
        .value_kind:     hidden_group_size_x
      - .offset:         70
        .size:           2
        .value_kind:     hidden_group_size_y
      - .offset:         72
        .size:           2
        .value_kind:     hidden_group_size_z
      - .offset:         74
        .size:           2
        .value_kind:     hidden_remainder_x
      - .offset:         76
        .size:           2
        .value_kind:     hidden_remainder_y
      - .offset:         78
        .size:           2
        .value_kind:     hidden_remainder_z
      - .offset:         96
        .size:           8
        .value_kind:     hidden_global_offset_x
      - .offset:         104
        .size:           8
        .value_kind:     hidden_global_offset_y
      - .offset:         112
        .size:           8
        .value_kind:     hidden_global_offset_z
      - .offset:         120
        .size:           2
        .value_kind:     hidden_grid_dims
      - .offset:         176
        .size:           4
        .value_kind:     hidden_dynamic_lds_size
    .group_segment_fixed_size: 0
    .kernarg_segment_align: 8
    .kernarg_segment_size: 312
    .language:       OpenCL C
    .language_version:
      - 2
      - 0
    .max_flat_workgroup_size: 512
    .name:           _ZN9rocsolver6v33100L23getf2_npvt_small_kernelILi1E19rocblas_complex_numIfEiiPS3_EEvT1_T3_lS5_lPT2_S5_S5_
    .private_segment_fixed_size: 0
    .sgpr_count:     18
    .sgpr_spill_count: 0
    .symbol:         _ZN9rocsolver6v33100L23getf2_npvt_small_kernelILi1E19rocblas_complex_numIfEiiPS3_EEvT1_T3_lS5_lPT2_S5_S5_.kd
    .uniform_work_group_size: 1
    .uses_dynamic_stack: false
    .vgpr_count:     14
    .vgpr_spill_count: 0
    .wavefront_size: 32
  - .args:
      - .offset:         0
        .size:           4
        .value_kind:     by_value
      - .address_space:  global
        .offset:         8
        .size:           8
        .value_kind:     global_buffer
      - .offset:         16
        .size:           8
        .value_kind:     by_value
      - .offset:         24
        .size:           4
        .value_kind:     by_value
      - .offset:         32
        .size:           8
        .value_kind:     by_value
      - .address_space:  global
        .offset:         40
        .size:           8
        .value_kind:     global_buffer
      - .offset:         48
        .size:           8
        .value_kind:     by_value
      - .offset:         56
        .size:           8
        .value_kind:     by_value
      - .address_space:  global
        .offset:         64
        .size:           8
        .value_kind:     global_buffer
      - .offset:         72
        .size:           4
        .value_kind:     by_value
      - .offset:         76
        .size:           4
        .value_kind:     by_value
      - .address_space:  global
        .offset:         80
        .size:           8
        .value_kind:     global_buffer
      - .offset:         88
        .size:           8
        .value_kind:     by_value
      - .offset:         96
        .size:           4
        .value_kind:     hidden_block_count_x
      - .offset:         100
        .size:           4
        .value_kind:     hidden_block_count_y
      - .offset:         104
        .size:           4
        .value_kind:     hidden_block_count_z
      - .offset:         108
        .size:           2
        .value_kind:     hidden_group_size_x
      - .offset:         110
        .size:           2
        .value_kind:     hidden_group_size_y
      - .offset:         112
        .size:           2
        .value_kind:     hidden_group_size_z
      - .offset:         114
        .size:           2
        .value_kind:     hidden_remainder_x
      - .offset:         116
        .size:           2
        .value_kind:     hidden_remainder_y
      - .offset:         118
        .size:           2
        .value_kind:     hidden_remainder_z
      - .offset:         136
        .size:           8
        .value_kind:     hidden_global_offset_x
      - .offset:         144
        .size:           8
        .value_kind:     hidden_global_offset_y
      - .offset:         152
        .size:           8
        .value_kind:     hidden_global_offset_z
      - .offset:         160
        .size:           2
        .value_kind:     hidden_grid_dims
      - .offset:         216
        .size:           4
        .value_kind:     hidden_dynamic_lds_size
    .group_segment_fixed_size: 0
    .kernarg_segment_align: 8
    .kernarg_segment_size: 352
    .language:       OpenCL C
    .language_version:
      - 2
      - 0
    .max_flat_workgroup_size: 512
    .name:           _ZN9rocsolver6v33100L18getf2_small_kernelILi2E19rocblas_complex_numIfEiiPS3_EEvT1_T3_lS5_lPS5_llPT2_S5_S5_S7_l
    .private_segment_fixed_size: 0
    .sgpr_count:     19
    .sgpr_spill_count: 0
    .symbol:         _ZN9rocsolver6v33100L18getf2_small_kernelILi2E19rocblas_complex_numIfEiiPS3_EEvT1_T3_lS5_lPS5_llPT2_S5_S5_S7_l.kd
    .uniform_work_group_size: 1
    .uses_dynamic_stack: false
    .vgpr_count:     26
    .vgpr_spill_count: 0
    .wavefront_size: 32
  - .args:
      - .offset:         0
        .size:           4
        .value_kind:     by_value
      - .address_space:  global
        .offset:         8
        .size:           8
        .value_kind:     global_buffer
      - .offset:         16
        .size:           8
        .value_kind:     by_value
      - .offset:         24
        .size:           4
        .value_kind:     by_value
      - .offset:         32
        .size:           8
        .value_kind:     by_value
      - .address_space:  global
        .offset:         40
        .size:           8
        .value_kind:     global_buffer
      - .offset:         48
        .size:           4
        .value_kind:     by_value
      - .offset:         52
        .size:           4
        .value_kind:     by_value
      - .offset:         56
        .size:           4
        .value_kind:     hidden_block_count_x
      - .offset:         60
        .size:           4
        .value_kind:     hidden_block_count_y
      - .offset:         64
        .size:           4
        .value_kind:     hidden_block_count_z
      - .offset:         68
        .size:           2
        .value_kind:     hidden_group_size_x
      - .offset:         70
        .size:           2
        .value_kind:     hidden_group_size_y
      - .offset:         72
        .size:           2
        .value_kind:     hidden_group_size_z
      - .offset:         74
        .size:           2
        .value_kind:     hidden_remainder_x
      - .offset:         76
        .size:           2
        .value_kind:     hidden_remainder_y
      - .offset:         78
        .size:           2
        .value_kind:     hidden_remainder_z
      - .offset:         96
        .size:           8
        .value_kind:     hidden_global_offset_x
      - .offset:         104
        .size:           8
        .value_kind:     hidden_global_offset_y
      - .offset:         112
        .size:           8
        .value_kind:     hidden_global_offset_z
      - .offset:         120
        .size:           2
        .value_kind:     hidden_grid_dims
      - .offset:         176
        .size:           4
        .value_kind:     hidden_dynamic_lds_size
    .group_segment_fixed_size: 0
    .kernarg_segment_align: 8
    .kernarg_segment_size: 312
    .language:       OpenCL C
    .language_version:
      - 2
      - 0
    .max_flat_workgroup_size: 512
    .name:           _ZN9rocsolver6v33100L23getf2_npvt_small_kernelILi2E19rocblas_complex_numIfEiiPS3_EEvT1_T3_lS5_lPT2_S5_S5_
    .private_segment_fixed_size: 0
    .sgpr_count:     18
    .sgpr_spill_count: 0
    .symbol:         _ZN9rocsolver6v33100L23getf2_npvt_small_kernelILi2E19rocblas_complex_numIfEiiPS3_EEvT1_T3_lS5_lPT2_S5_S5_.kd
    .uniform_work_group_size: 1
    .uses_dynamic_stack: false
    .vgpr_count:     22
    .vgpr_spill_count: 0
    .wavefront_size: 32
  - .args:
      - .offset:         0
        .size:           4
        .value_kind:     by_value
      - .address_space:  global
        .offset:         8
        .size:           8
        .value_kind:     global_buffer
      - .offset:         16
        .size:           8
        .value_kind:     by_value
      - .offset:         24
        .size:           4
        .value_kind:     by_value
      - .offset:         32
        .size:           8
        .value_kind:     by_value
      - .address_space:  global
        .offset:         40
        .size:           8
        .value_kind:     global_buffer
      - .offset:         48
        .size:           8
        .value_kind:     by_value
      - .offset:         56
        .size:           8
        .value_kind:     by_value
      - .address_space:  global
        .offset:         64
        .size:           8
        .value_kind:     global_buffer
      - .offset:         72
        .size:           4
        .value_kind:     by_value
      - .offset:         76
        .size:           4
        .value_kind:     by_value
      - .address_space:  global
        .offset:         80
        .size:           8
        .value_kind:     global_buffer
      - .offset:         88
        .size:           8
        .value_kind:     by_value
      - .offset:         96
        .size:           4
        .value_kind:     hidden_block_count_x
      - .offset:         100
        .size:           4
        .value_kind:     hidden_block_count_y
      - .offset:         104
        .size:           4
        .value_kind:     hidden_block_count_z
      - .offset:         108
        .size:           2
        .value_kind:     hidden_group_size_x
      - .offset:         110
        .size:           2
        .value_kind:     hidden_group_size_y
      - .offset:         112
        .size:           2
        .value_kind:     hidden_group_size_z
      - .offset:         114
        .size:           2
        .value_kind:     hidden_remainder_x
      - .offset:         116
        .size:           2
        .value_kind:     hidden_remainder_y
      - .offset:         118
        .size:           2
        .value_kind:     hidden_remainder_z
      - .offset:         136
        .size:           8
        .value_kind:     hidden_global_offset_x
      - .offset:         144
        .size:           8
        .value_kind:     hidden_global_offset_y
      - .offset:         152
        .size:           8
        .value_kind:     hidden_global_offset_z
      - .offset:         160
        .size:           2
        .value_kind:     hidden_grid_dims
      - .offset:         216
        .size:           4
        .value_kind:     hidden_dynamic_lds_size
    .group_segment_fixed_size: 0
    .kernarg_segment_align: 8
    .kernarg_segment_size: 352
    .language:       OpenCL C
    .language_version:
      - 2
      - 0
    .max_flat_workgroup_size: 512
    .name:           _ZN9rocsolver6v33100L18getf2_small_kernelILi3E19rocblas_complex_numIfEiiPS3_EEvT1_T3_lS5_lPS5_llPT2_S5_S5_S7_l
    .private_segment_fixed_size: 0
    .sgpr_count:     19
    .sgpr_spill_count: 0
    .symbol:         _ZN9rocsolver6v33100L18getf2_small_kernelILi3E19rocblas_complex_numIfEiiPS3_EEvT1_T3_lS5_lPS5_llPT2_S5_S5_S7_l.kd
    .uniform_work_group_size: 1
    .uses_dynamic_stack: false
    .vgpr_count:     34
    .vgpr_spill_count: 0
    .wavefront_size: 32
  - .args:
      - .offset:         0
        .size:           4
        .value_kind:     by_value
      - .address_space:  global
        .offset:         8
        .size:           8
        .value_kind:     global_buffer
      - .offset:         16
        .size:           8
        .value_kind:     by_value
      - .offset:         24
        .size:           4
        .value_kind:     by_value
      - .offset:         32
        .size:           8
        .value_kind:     by_value
      - .address_space:  global
        .offset:         40
        .size:           8
        .value_kind:     global_buffer
      - .offset:         48
        .size:           4
        .value_kind:     by_value
      - .offset:         52
        .size:           4
        .value_kind:     by_value
      - .offset:         56
        .size:           4
        .value_kind:     hidden_block_count_x
      - .offset:         60
        .size:           4
        .value_kind:     hidden_block_count_y
      - .offset:         64
        .size:           4
        .value_kind:     hidden_block_count_z
      - .offset:         68
        .size:           2
        .value_kind:     hidden_group_size_x
      - .offset:         70
        .size:           2
        .value_kind:     hidden_group_size_y
      - .offset:         72
        .size:           2
        .value_kind:     hidden_group_size_z
      - .offset:         74
        .size:           2
        .value_kind:     hidden_remainder_x
      - .offset:         76
        .size:           2
        .value_kind:     hidden_remainder_y
      - .offset:         78
        .size:           2
        .value_kind:     hidden_remainder_z
      - .offset:         96
        .size:           8
        .value_kind:     hidden_global_offset_x
      - .offset:         104
        .size:           8
        .value_kind:     hidden_global_offset_y
      - .offset:         112
        .size:           8
        .value_kind:     hidden_global_offset_z
      - .offset:         120
        .size:           2
        .value_kind:     hidden_grid_dims
      - .offset:         176
        .size:           4
        .value_kind:     hidden_dynamic_lds_size
    .group_segment_fixed_size: 0
    .kernarg_segment_align: 8
    .kernarg_segment_size: 312
    .language:       OpenCL C
    .language_version:
      - 2
      - 0
    .max_flat_workgroup_size: 512
    .name:           _ZN9rocsolver6v33100L23getf2_npvt_small_kernelILi3E19rocblas_complex_numIfEiiPS3_EEvT1_T3_lS5_lPT2_S5_S5_
    .private_segment_fixed_size: 0
    .sgpr_count:     18
    .sgpr_spill_count: 0
    .symbol:         _ZN9rocsolver6v33100L23getf2_npvt_small_kernelILi3E19rocblas_complex_numIfEiiPS3_EEvT1_T3_lS5_lPT2_S5_S5_.kd
    .uniform_work_group_size: 1
    .uses_dynamic_stack: false
    .vgpr_count:     34
    .vgpr_spill_count: 0
    .wavefront_size: 32
  - .args:
      - .offset:         0
        .size:           4
        .value_kind:     by_value
      - .address_space:  global
        .offset:         8
        .size:           8
        .value_kind:     global_buffer
      - .offset:         16
        .size:           8
        .value_kind:     by_value
      - .offset:         24
        .size:           4
        .value_kind:     by_value
      - .offset:         32
        .size:           8
        .value_kind:     by_value
      - .address_space:  global
        .offset:         40
        .size:           8
        .value_kind:     global_buffer
      - .offset:         48
        .size:           8
        .value_kind:     by_value
      - .offset:         56
        .size:           8
        .value_kind:     by_value
      - .address_space:  global
        .offset:         64
        .size:           8
        .value_kind:     global_buffer
      - .offset:         72
        .size:           4
        .value_kind:     by_value
      - .offset:         76
        .size:           4
        .value_kind:     by_value
      - .address_space:  global
        .offset:         80
        .size:           8
        .value_kind:     global_buffer
      - .offset:         88
        .size:           8
        .value_kind:     by_value
      - .offset:         96
        .size:           4
        .value_kind:     hidden_block_count_x
      - .offset:         100
        .size:           4
        .value_kind:     hidden_block_count_y
      - .offset:         104
        .size:           4
        .value_kind:     hidden_block_count_z
      - .offset:         108
        .size:           2
        .value_kind:     hidden_group_size_x
      - .offset:         110
        .size:           2
        .value_kind:     hidden_group_size_y
      - .offset:         112
        .size:           2
        .value_kind:     hidden_group_size_z
      - .offset:         114
        .size:           2
        .value_kind:     hidden_remainder_x
      - .offset:         116
        .size:           2
        .value_kind:     hidden_remainder_y
      - .offset:         118
        .size:           2
        .value_kind:     hidden_remainder_z
      - .offset:         136
        .size:           8
        .value_kind:     hidden_global_offset_x
      - .offset:         144
        .size:           8
        .value_kind:     hidden_global_offset_y
      - .offset:         152
        .size:           8
        .value_kind:     hidden_global_offset_z
      - .offset:         160
        .size:           2
        .value_kind:     hidden_grid_dims
      - .offset:         216
        .size:           4
        .value_kind:     hidden_dynamic_lds_size
    .group_segment_fixed_size: 0
    .kernarg_segment_align: 8
    .kernarg_segment_size: 352
    .language:       OpenCL C
    .language_version:
      - 2
      - 0
    .max_flat_workgroup_size: 512
    .name:           _ZN9rocsolver6v33100L18getf2_small_kernelILi4E19rocblas_complex_numIfEiiPS3_EEvT1_T3_lS5_lPS5_llPT2_S5_S5_S7_l
    .private_segment_fixed_size: 0
    .sgpr_count:     19
    .sgpr_spill_count: 0
    .symbol:         _ZN9rocsolver6v33100L18getf2_small_kernelILi4E19rocblas_complex_numIfEiiPS3_EEvT1_T3_lS5_lPS5_llPT2_S5_S5_S7_l.kd
    .uniform_work_group_size: 1
    .uses_dynamic_stack: false
    .vgpr_count:     40
    .vgpr_spill_count: 0
    .wavefront_size: 32
  - .args:
      - .offset:         0
        .size:           4
        .value_kind:     by_value
      - .address_space:  global
        .offset:         8
        .size:           8
        .value_kind:     global_buffer
      - .offset:         16
        .size:           8
        .value_kind:     by_value
      - .offset:         24
        .size:           4
        .value_kind:     by_value
      - .offset:         32
        .size:           8
        .value_kind:     by_value
      - .address_space:  global
        .offset:         40
        .size:           8
        .value_kind:     global_buffer
      - .offset:         48
        .size:           4
        .value_kind:     by_value
      - .offset:         52
        .size:           4
        .value_kind:     by_value
      - .offset:         56
        .size:           4
        .value_kind:     hidden_block_count_x
      - .offset:         60
        .size:           4
        .value_kind:     hidden_block_count_y
      - .offset:         64
        .size:           4
        .value_kind:     hidden_block_count_z
      - .offset:         68
        .size:           2
        .value_kind:     hidden_group_size_x
      - .offset:         70
        .size:           2
        .value_kind:     hidden_group_size_y
      - .offset:         72
        .size:           2
        .value_kind:     hidden_group_size_z
      - .offset:         74
        .size:           2
        .value_kind:     hidden_remainder_x
      - .offset:         76
        .size:           2
        .value_kind:     hidden_remainder_y
      - .offset:         78
        .size:           2
        .value_kind:     hidden_remainder_z
      - .offset:         96
        .size:           8
        .value_kind:     hidden_global_offset_x
      - .offset:         104
        .size:           8
        .value_kind:     hidden_global_offset_y
      - .offset:         112
        .size:           8
        .value_kind:     hidden_global_offset_z
      - .offset:         120
        .size:           2
        .value_kind:     hidden_grid_dims
      - .offset:         176
        .size:           4
        .value_kind:     hidden_dynamic_lds_size
    .group_segment_fixed_size: 0
    .kernarg_segment_align: 8
    .kernarg_segment_size: 312
    .language:       OpenCL C
    .language_version:
      - 2
      - 0
    .max_flat_workgroup_size: 512
    .name:           _ZN9rocsolver6v33100L23getf2_npvt_small_kernelILi4E19rocblas_complex_numIfEiiPS3_EEvT1_T3_lS5_lPT2_S5_S5_
    .private_segment_fixed_size: 0
    .sgpr_count:     18
    .sgpr_spill_count: 0
    .symbol:         _ZN9rocsolver6v33100L23getf2_npvt_small_kernelILi4E19rocblas_complex_numIfEiiPS3_EEvT1_T3_lS5_lPT2_S5_S5_.kd
    .uniform_work_group_size: 1
    .uses_dynamic_stack: false
    .vgpr_count:     42
    .vgpr_spill_count: 0
    .wavefront_size: 32
  - .args:
      - .offset:         0
        .size:           4
        .value_kind:     by_value
      - .address_space:  global
        .offset:         8
        .size:           8
        .value_kind:     global_buffer
      - .offset:         16
        .size:           8
        .value_kind:     by_value
      - .offset:         24
        .size:           4
        .value_kind:     by_value
      - .offset:         32
        .size:           8
        .value_kind:     by_value
      - .address_space:  global
        .offset:         40
        .size:           8
        .value_kind:     global_buffer
      - .offset:         48
        .size:           8
        .value_kind:     by_value
      - .offset:         56
        .size:           8
        .value_kind:     by_value
      - .address_space:  global
        .offset:         64
        .size:           8
        .value_kind:     global_buffer
      - .offset:         72
        .size:           4
        .value_kind:     by_value
      - .offset:         76
        .size:           4
        .value_kind:     by_value
      - .address_space:  global
        .offset:         80
        .size:           8
        .value_kind:     global_buffer
      - .offset:         88
        .size:           8
        .value_kind:     by_value
      - .offset:         96
        .size:           4
        .value_kind:     hidden_block_count_x
      - .offset:         100
        .size:           4
        .value_kind:     hidden_block_count_y
      - .offset:         104
        .size:           4
        .value_kind:     hidden_block_count_z
      - .offset:         108
        .size:           2
        .value_kind:     hidden_group_size_x
      - .offset:         110
        .size:           2
        .value_kind:     hidden_group_size_y
      - .offset:         112
        .size:           2
        .value_kind:     hidden_group_size_z
      - .offset:         114
        .size:           2
        .value_kind:     hidden_remainder_x
      - .offset:         116
        .size:           2
        .value_kind:     hidden_remainder_y
      - .offset:         118
        .size:           2
        .value_kind:     hidden_remainder_z
      - .offset:         136
        .size:           8
        .value_kind:     hidden_global_offset_x
      - .offset:         144
        .size:           8
        .value_kind:     hidden_global_offset_y
      - .offset:         152
        .size:           8
        .value_kind:     hidden_global_offset_z
      - .offset:         160
        .size:           2
        .value_kind:     hidden_grid_dims
      - .offset:         216
        .size:           4
        .value_kind:     hidden_dynamic_lds_size
    .group_segment_fixed_size: 0
    .kernarg_segment_align: 8
    .kernarg_segment_size: 352
    .language:       OpenCL C
    .language_version:
      - 2
      - 0
    .max_flat_workgroup_size: 512
    .name:           _ZN9rocsolver6v33100L18getf2_small_kernelILi5E19rocblas_complex_numIfEiiPS3_EEvT1_T3_lS5_lPS5_llPT2_S5_S5_S7_l
    .private_segment_fixed_size: 0
    .sgpr_count:     19
    .sgpr_spill_count: 0
    .symbol:         _ZN9rocsolver6v33100L18getf2_small_kernelILi5E19rocblas_complex_numIfEiiPS3_EEvT1_T3_lS5_lPS5_llPT2_S5_S5_S7_l.kd
    .uniform_work_group_size: 1
    .uses_dynamic_stack: false
    .vgpr_count:     46
    .vgpr_spill_count: 0
    .wavefront_size: 32
  - .args:
      - .offset:         0
        .size:           4
        .value_kind:     by_value
      - .address_space:  global
        .offset:         8
        .size:           8
        .value_kind:     global_buffer
      - .offset:         16
        .size:           8
        .value_kind:     by_value
      - .offset:         24
        .size:           4
        .value_kind:     by_value
      - .offset:         32
        .size:           8
        .value_kind:     by_value
      - .address_space:  global
        .offset:         40
        .size:           8
        .value_kind:     global_buffer
      - .offset:         48
        .size:           4
        .value_kind:     by_value
      - .offset:         52
        .size:           4
        .value_kind:     by_value
      - .offset:         56
        .size:           4
        .value_kind:     hidden_block_count_x
      - .offset:         60
        .size:           4
        .value_kind:     hidden_block_count_y
      - .offset:         64
        .size:           4
        .value_kind:     hidden_block_count_z
      - .offset:         68
        .size:           2
        .value_kind:     hidden_group_size_x
      - .offset:         70
        .size:           2
        .value_kind:     hidden_group_size_y
      - .offset:         72
        .size:           2
        .value_kind:     hidden_group_size_z
      - .offset:         74
        .size:           2
        .value_kind:     hidden_remainder_x
      - .offset:         76
        .size:           2
        .value_kind:     hidden_remainder_y
      - .offset:         78
        .size:           2
        .value_kind:     hidden_remainder_z
      - .offset:         96
        .size:           8
        .value_kind:     hidden_global_offset_x
      - .offset:         104
        .size:           8
        .value_kind:     hidden_global_offset_y
      - .offset:         112
        .size:           8
        .value_kind:     hidden_global_offset_z
      - .offset:         120
        .size:           2
        .value_kind:     hidden_grid_dims
      - .offset:         176
        .size:           4
        .value_kind:     hidden_dynamic_lds_size
    .group_segment_fixed_size: 0
    .kernarg_segment_align: 8
    .kernarg_segment_size: 312
    .language:       OpenCL C
    .language_version:
      - 2
      - 0
    .max_flat_workgroup_size: 512
    .name:           _ZN9rocsolver6v33100L23getf2_npvt_small_kernelILi5E19rocblas_complex_numIfEiiPS3_EEvT1_T3_lS5_lPT2_S5_S5_
    .private_segment_fixed_size: 0
    .sgpr_count:     18
    .sgpr_spill_count: 0
    .symbol:         _ZN9rocsolver6v33100L23getf2_npvt_small_kernelILi5E19rocblas_complex_numIfEiiPS3_EEvT1_T3_lS5_lPT2_S5_S5_.kd
    .uniform_work_group_size: 1
    .uses_dynamic_stack: false
    .vgpr_count:     50
    .vgpr_spill_count: 0
    .wavefront_size: 32
  - .args:
      - .offset:         0
        .size:           4
        .value_kind:     by_value
      - .address_space:  global
        .offset:         8
        .size:           8
        .value_kind:     global_buffer
      - .offset:         16
        .size:           8
        .value_kind:     by_value
      - .offset:         24
        .size:           4
        .value_kind:     by_value
      - .offset:         32
        .size:           8
        .value_kind:     by_value
      - .address_space:  global
        .offset:         40
        .size:           8
        .value_kind:     global_buffer
      - .offset:         48
        .size:           8
        .value_kind:     by_value
      - .offset:         56
        .size:           8
        .value_kind:     by_value
      - .address_space:  global
        .offset:         64
        .size:           8
        .value_kind:     global_buffer
      - .offset:         72
        .size:           4
        .value_kind:     by_value
      - .offset:         76
        .size:           4
        .value_kind:     by_value
      - .address_space:  global
        .offset:         80
        .size:           8
        .value_kind:     global_buffer
      - .offset:         88
        .size:           8
        .value_kind:     by_value
      - .offset:         96
        .size:           4
        .value_kind:     hidden_block_count_x
      - .offset:         100
        .size:           4
        .value_kind:     hidden_block_count_y
      - .offset:         104
        .size:           4
        .value_kind:     hidden_block_count_z
      - .offset:         108
        .size:           2
        .value_kind:     hidden_group_size_x
      - .offset:         110
        .size:           2
        .value_kind:     hidden_group_size_y
      - .offset:         112
        .size:           2
        .value_kind:     hidden_group_size_z
      - .offset:         114
        .size:           2
        .value_kind:     hidden_remainder_x
      - .offset:         116
        .size:           2
        .value_kind:     hidden_remainder_y
      - .offset:         118
        .size:           2
        .value_kind:     hidden_remainder_z
      - .offset:         136
        .size:           8
        .value_kind:     hidden_global_offset_x
      - .offset:         144
        .size:           8
        .value_kind:     hidden_global_offset_y
      - .offset:         152
        .size:           8
        .value_kind:     hidden_global_offset_z
      - .offset:         160
        .size:           2
        .value_kind:     hidden_grid_dims
      - .offset:         216
        .size:           4
        .value_kind:     hidden_dynamic_lds_size
    .group_segment_fixed_size: 0
    .kernarg_segment_align: 8
    .kernarg_segment_size: 352
    .language:       OpenCL C
    .language_version:
      - 2
      - 0
    .max_flat_workgroup_size: 512
    .name:           _ZN9rocsolver6v33100L18getf2_small_kernelILi6E19rocblas_complex_numIfEiiPS3_EEvT1_T3_lS5_lPS5_llPT2_S5_S5_S7_l
    .private_segment_fixed_size: 0
    .sgpr_count:     19
    .sgpr_spill_count: 0
    .symbol:         _ZN9rocsolver6v33100L18getf2_small_kernelILi6E19rocblas_complex_numIfEiiPS3_EEvT1_T3_lS5_lPS5_llPT2_S5_S5_S7_l.kd
    .uniform_work_group_size: 1
    .uses_dynamic_stack: false
    .vgpr_count:     52
    .vgpr_spill_count: 0
    .wavefront_size: 32
  - .args:
      - .offset:         0
        .size:           4
        .value_kind:     by_value
      - .address_space:  global
        .offset:         8
        .size:           8
        .value_kind:     global_buffer
      - .offset:         16
        .size:           8
        .value_kind:     by_value
      - .offset:         24
        .size:           4
        .value_kind:     by_value
      - .offset:         32
        .size:           8
        .value_kind:     by_value
      - .address_space:  global
        .offset:         40
        .size:           8
        .value_kind:     global_buffer
      - .offset:         48
        .size:           4
        .value_kind:     by_value
      - .offset:         52
        .size:           4
        .value_kind:     by_value
      - .offset:         56
        .size:           4
        .value_kind:     hidden_block_count_x
      - .offset:         60
        .size:           4
        .value_kind:     hidden_block_count_y
      - .offset:         64
        .size:           4
        .value_kind:     hidden_block_count_z
      - .offset:         68
        .size:           2
        .value_kind:     hidden_group_size_x
      - .offset:         70
        .size:           2
        .value_kind:     hidden_group_size_y
      - .offset:         72
        .size:           2
        .value_kind:     hidden_group_size_z
      - .offset:         74
        .size:           2
        .value_kind:     hidden_remainder_x
      - .offset:         76
        .size:           2
        .value_kind:     hidden_remainder_y
      - .offset:         78
        .size:           2
        .value_kind:     hidden_remainder_z
      - .offset:         96
        .size:           8
        .value_kind:     hidden_global_offset_x
      - .offset:         104
        .size:           8
        .value_kind:     hidden_global_offset_y
      - .offset:         112
        .size:           8
        .value_kind:     hidden_global_offset_z
      - .offset:         120
        .size:           2
        .value_kind:     hidden_grid_dims
      - .offset:         176
        .size:           4
        .value_kind:     hidden_dynamic_lds_size
    .group_segment_fixed_size: 0
    .kernarg_segment_align: 8
    .kernarg_segment_size: 312
    .language:       OpenCL C
    .language_version:
      - 2
      - 0
    .max_flat_workgroup_size: 512
    .name:           _ZN9rocsolver6v33100L23getf2_npvt_small_kernelILi6E19rocblas_complex_numIfEiiPS3_EEvT1_T3_lS5_lPT2_S5_S5_
    .private_segment_fixed_size: 0
    .sgpr_count:     18
    .sgpr_spill_count: 0
    .symbol:         _ZN9rocsolver6v33100L23getf2_npvt_small_kernelILi6E19rocblas_complex_numIfEiiPS3_EEvT1_T3_lS5_lPT2_S5_S5_.kd
    .uniform_work_group_size: 1
    .uses_dynamic_stack: false
    .vgpr_count:     60
    .vgpr_spill_count: 0
    .wavefront_size: 32
  - .args:
      - .offset:         0
        .size:           4
        .value_kind:     by_value
      - .address_space:  global
        .offset:         8
        .size:           8
        .value_kind:     global_buffer
      - .offset:         16
        .size:           8
        .value_kind:     by_value
      - .offset:         24
        .size:           4
        .value_kind:     by_value
      - .offset:         32
        .size:           8
        .value_kind:     by_value
      - .address_space:  global
        .offset:         40
        .size:           8
        .value_kind:     global_buffer
      - .offset:         48
        .size:           8
        .value_kind:     by_value
      - .offset:         56
        .size:           8
        .value_kind:     by_value
      - .address_space:  global
        .offset:         64
        .size:           8
        .value_kind:     global_buffer
      - .offset:         72
        .size:           4
        .value_kind:     by_value
      - .offset:         76
        .size:           4
        .value_kind:     by_value
      - .address_space:  global
        .offset:         80
        .size:           8
        .value_kind:     global_buffer
      - .offset:         88
        .size:           8
        .value_kind:     by_value
      - .offset:         96
        .size:           4
        .value_kind:     hidden_block_count_x
      - .offset:         100
        .size:           4
        .value_kind:     hidden_block_count_y
      - .offset:         104
        .size:           4
        .value_kind:     hidden_block_count_z
      - .offset:         108
        .size:           2
        .value_kind:     hidden_group_size_x
      - .offset:         110
        .size:           2
        .value_kind:     hidden_group_size_y
      - .offset:         112
        .size:           2
        .value_kind:     hidden_group_size_z
      - .offset:         114
        .size:           2
        .value_kind:     hidden_remainder_x
      - .offset:         116
        .size:           2
        .value_kind:     hidden_remainder_y
      - .offset:         118
        .size:           2
        .value_kind:     hidden_remainder_z
      - .offset:         136
        .size:           8
        .value_kind:     hidden_global_offset_x
      - .offset:         144
        .size:           8
        .value_kind:     hidden_global_offset_y
      - .offset:         152
        .size:           8
        .value_kind:     hidden_global_offset_z
      - .offset:         160
        .size:           2
        .value_kind:     hidden_grid_dims
      - .offset:         216
        .size:           4
        .value_kind:     hidden_dynamic_lds_size
    .group_segment_fixed_size: 0
    .kernarg_segment_align: 8
    .kernarg_segment_size: 352
    .language:       OpenCL C
    .language_version:
      - 2
      - 0
    .max_flat_workgroup_size: 512
    .name:           _ZN9rocsolver6v33100L18getf2_small_kernelILi7E19rocblas_complex_numIfEiiPS3_EEvT1_T3_lS5_lPS5_llPT2_S5_S5_S7_l
    .private_segment_fixed_size: 0
    .sgpr_count:     19
    .sgpr_spill_count: 0
    .symbol:         _ZN9rocsolver6v33100L18getf2_small_kernelILi7E19rocblas_complex_numIfEiiPS3_EEvT1_T3_lS5_lPS5_llPT2_S5_S5_S7_l.kd
    .uniform_work_group_size: 1
    .uses_dynamic_stack: false
    .vgpr_count:     62
    .vgpr_spill_count: 0
    .wavefront_size: 32
  - .args:
      - .offset:         0
        .size:           4
        .value_kind:     by_value
      - .address_space:  global
        .offset:         8
        .size:           8
        .value_kind:     global_buffer
      - .offset:         16
        .size:           8
        .value_kind:     by_value
      - .offset:         24
        .size:           4
        .value_kind:     by_value
      - .offset:         32
        .size:           8
        .value_kind:     by_value
      - .address_space:  global
        .offset:         40
        .size:           8
        .value_kind:     global_buffer
      - .offset:         48
        .size:           4
        .value_kind:     by_value
      - .offset:         52
        .size:           4
        .value_kind:     by_value
      - .offset:         56
        .size:           4
        .value_kind:     hidden_block_count_x
      - .offset:         60
        .size:           4
        .value_kind:     hidden_block_count_y
      - .offset:         64
        .size:           4
        .value_kind:     hidden_block_count_z
      - .offset:         68
        .size:           2
        .value_kind:     hidden_group_size_x
      - .offset:         70
        .size:           2
        .value_kind:     hidden_group_size_y
      - .offset:         72
        .size:           2
        .value_kind:     hidden_group_size_z
      - .offset:         74
        .size:           2
        .value_kind:     hidden_remainder_x
      - .offset:         76
        .size:           2
        .value_kind:     hidden_remainder_y
      - .offset:         78
        .size:           2
        .value_kind:     hidden_remainder_z
      - .offset:         96
        .size:           8
        .value_kind:     hidden_global_offset_x
      - .offset:         104
        .size:           8
        .value_kind:     hidden_global_offset_y
      - .offset:         112
        .size:           8
        .value_kind:     hidden_global_offset_z
      - .offset:         120
        .size:           2
        .value_kind:     hidden_grid_dims
      - .offset:         176
        .size:           4
        .value_kind:     hidden_dynamic_lds_size
    .group_segment_fixed_size: 0
    .kernarg_segment_align: 8
    .kernarg_segment_size: 312
    .language:       OpenCL C
    .language_version:
      - 2
      - 0
    .max_flat_workgroup_size: 512
    .name:           _ZN9rocsolver6v33100L23getf2_npvt_small_kernelILi7E19rocblas_complex_numIfEiiPS3_EEvT1_T3_lS5_lPT2_S5_S5_
    .private_segment_fixed_size: 0
    .sgpr_count:     18
    .sgpr_spill_count: 0
    .symbol:         _ZN9rocsolver6v33100L23getf2_npvt_small_kernelILi7E19rocblas_complex_numIfEiiPS3_EEvT1_T3_lS5_lPT2_S5_S5_.kd
    .uniform_work_group_size: 1
    .uses_dynamic_stack: false
    .vgpr_count:     66
    .vgpr_spill_count: 0
    .wavefront_size: 32
  - .args:
      - .offset:         0
        .size:           4
        .value_kind:     by_value
      - .address_space:  global
        .offset:         8
        .size:           8
        .value_kind:     global_buffer
      - .offset:         16
        .size:           8
        .value_kind:     by_value
      - .offset:         24
        .size:           4
        .value_kind:     by_value
      - .offset:         32
        .size:           8
        .value_kind:     by_value
      - .address_space:  global
        .offset:         40
        .size:           8
        .value_kind:     global_buffer
      - .offset:         48
        .size:           8
        .value_kind:     by_value
      - .offset:         56
        .size:           8
        .value_kind:     by_value
      - .address_space:  global
        .offset:         64
        .size:           8
        .value_kind:     global_buffer
      - .offset:         72
        .size:           4
        .value_kind:     by_value
      - .offset:         76
        .size:           4
        .value_kind:     by_value
      - .address_space:  global
        .offset:         80
        .size:           8
        .value_kind:     global_buffer
      - .offset:         88
        .size:           8
        .value_kind:     by_value
      - .offset:         96
        .size:           4
        .value_kind:     hidden_block_count_x
      - .offset:         100
        .size:           4
        .value_kind:     hidden_block_count_y
      - .offset:         104
        .size:           4
        .value_kind:     hidden_block_count_z
      - .offset:         108
        .size:           2
        .value_kind:     hidden_group_size_x
      - .offset:         110
        .size:           2
        .value_kind:     hidden_group_size_y
      - .offset:         112
        .size:           2
        .value_kind:     hidden_group_size_z
      - .offset:         114
        .size:           2
        .value_kind:     hidden_remainder_x
      - .offset:         116
        .size:           2
        .value_kind:     hidden_remainder_y
      - .offset:         118
        .size:           2
        .value_kind:     hidden_remainder_z
      - .offset:         136
        .size:           8
        .value_kind:     hidden_global_offset_x
      - .offset:         144
        .size:           8
        .value_kind:     hidden_global_offset_y
      - .offset:         152
        .size:           8
        .value_kind:     hidden_global_offset_z
      - .offset:         160
        .size:           2
        .value_kind:     hidden_grid_dims
      - .offset:         216
        .size:           4
        .value_kind:     hidden_dynamic_lds_size
    .group_segment_fixed_size: 0
    .kernarg_segment_align: 8
    .kernarg_segment_size: 352
    .language:       OpenCL C
    .language_version:
      - 2
      - 0
    .max_flat_workgroup_size: 512
    .name:           _ZN9rocsolver6v33100L18getf2_small_kernelILi8E19rocblas_complex_numIfEiiPS3_EEvT1_T3_lS5_lPS5_llPT2_S5_S5_S7_l
    .private_segment_fixed_size: 0
    .sgpr_count:     22
    .sgpr_spill_count: 0
    .symbol:         _ZN9rocsolver6v33100L18getf2_small_kernelILi8E19rocblas_complex_numIfEiiPS3_EEvT1_T3_lS5_lPS5_llPT2_S5_S5_S7_l.kd
    .uniform_work_group_size: 1
    .uses_dynamic_stack: false
    .vgpr_count:     64
    .vgpr_spill_count: 0
    .wavefront_size: 32
  - .args:
      - .offset:         0
        .size:           4
        .value_kind:     by_value
      - .address_space:  global
        .offset:         8
        .size:           8
        .value_kind:     global_buffer
      - .offset:         16
        .size:           8
        .value_kind:     by_value
      - .offset:         24
        .size:           4
        .value_kind:     by_value
      - .offset:         32
        .size:           8
        .value_kind:     by_value
      - .address_space:  global
        .offset:         40
        .size:           8
        .value_kind:     global_buffer
      - .offset:         48
        .size:           4
        .value_kind:     by_value
      - .offset:         52
        .size:           4
        .value_kind:     by_value
      - .offset:         56
        .size:           4
        .value_kind:     hidden_block_count_x
      - .offset:         60
        .size:           4
        .value_kind:     hidden_block_count_y
      - .offset:         64
        .size:           4
        .value_kind:     hidden_block_count_z
      - .offset:         68
        .size:           2
        .value_kind:     hidden_group_size_x
      - .offset:         70
        .size:           2
        .value_kind:     hidden_group_size_y
      - .offset:         72
        .size:           2
        .value_kind:     hidden_group_size_z
      - .offset:         74
        .size:           2
        .value_kind:     hidden_remainder_x
      - .offset:         76
        .size:           2
        .value_kind:     hidden_remainder_y
      - .offset:         78
        .size:           2
        .value_kind:     hidden_remainder_z
      - .offset:         96
        .size:           8
        .value_kind:     hidden_global_offset_x
      - .offset:         104
        .size:           8
        .value_kind:     hidden_global_offset_y
      - .offset:         112
        .size:           8
        .value_kind:     hidden_global_offset_z
      - .offset:         120
        .size:           2
        .value_kind:     hidden_grid_dims
      - .offset:         176
        .size:           4
        .value_kind:     hidden_dynamic_lds_size
    .group_segment_fixed_size: 0
    .kernarg_segment_align: 8
    .kernarg_segment_size: 312
    .language:       OpenCL C
    .language_version:
      - 2
      - 0
    .max_flat_workgroup_size: 512
    .name:           _ZN9rocsolver6v33100L23getf2_npvt_small_kernelILi8E19rocblas_complex_numIfEiiPS3_EEvT1_T3_lS5_lPT2_S5_S5_
    .private_segment_fixed_size: 0
    .sgpr_count:     18
    .sgpr_spill_count: 0
    .symbol:         _ZN9rocsolver6v33100L23getf2_npvt_small_kernelILi8E19rocblas_complex_numIfEiiPS3_EEvT1_T3_lS5_lPT2_S5_S5_.kd
    .uniform_work_group_size: 1
    .uses_dynamic_stack: false
    .vgpr_count:     66
    .vgpr_spill_count: 0
    .wavefront_size: 32
  - .args:
      - .offset:         0
        .size:           4
        .value_kind:     by_value
      - .address_space:  global
        .offset:         8
        .size:           8
        .value_kind:     global_buffer
      - .offset:         16
        .size:           8
        .value_kind:     by_value
      - .offset:         24
        .size:           4
        .value_kind:     by_value
      - .offset:         32
        .size:           8
        .value_kind:     by_value
      - .address_space:  global
        .offset:         40
        .size:           8
        .value_kind:     global_buffer
      - .offset:         48
        .size:           8
        .value_kind:     by_value
      - .offset:         56
        .size:           8
        .value_kind:     by_value
      - .address_space:  global
        .offset:         64
        .size:           8
        .value_kind:     global_buffer
      - .offset:         72
        .size:           4
        .value_kind:     by_value
      - .offset:         76
        .size:           4
        .value_kind:     by_value
      - .address_space:  global
        .offset:         80
        .size:           8
        .value_kind:     global_buffer
      - .offset:         88
        .size:           8
        .value_kind:     by_value
      - .offset:         96
        .size:           4
        .value_kind:     hidden_block_count_x
      - .offset:         100
        .size:           4
        .value_kind:     hidden_block_count_y
      - .offset:         104
        .size:           4
        .value_kind:     hidden_block_count_z
      - .offset:         108
        .size:           2
        .value_kind:     hidden_group_size_x
      - .offset:         110
        .size:           2
        .value_kind:     hidden_group_size_y
      - .offset:         112
        .size:           2
        .value_kind:     hidden_group_size_z
      - .offset:         114
        .size:           2
        .value_kind:     hidden_remainder_x
      - .offset:         116
        .size:           2
        .value_kind:     hidden_remainder_y
      - .offset:         118
        .size:           2
        .value_kind:     hidden_remainder_z
      - .offset:         136
        .size:           8
        .value_kind:     hidden_global_offset_x
      - .offset:         144
        .size:           8
        .value_kind:     hidden_global_offset_y
      - .offset:         152
        .size:           8
        .value_kind:     hidden_global_offset_z
      - .offset:         160
        .size:           2
        .value_kind:     hidden_grid_dims
      - .offset:         216
        .size:           4
        .value_kind:     hidden_dynamic_lds_size
    .group_segment_fixed_size: 0
    .kernarg_segment_align: 8
    .kernarg_segment_size: 352
    .language:       OpenCL C
    .language_version:
      - 2
      - 0
    .max_flat_workgroup_size: 512
    .name:           _ZN9rocsolver6v33100L18getf2_small_kernelILi9E19rocblas_complex_numIfEiiPS3_EEvT1_T3_lS5_lPS5_llPT2_S5_S5_S7_l
    .private_segment_fixed_size: 0
    .sgpr_count:     22
    .sgpr_spill_count: 0
    .symbol:         _ZN9rocsolver6v33100L18getf2_small_kernelILi9E19rocblas_complex_numIfEiiPS3_EEvT1_T3_lS5_lPS5_llPT2_S5_S5_S7_l.kd
    .uniform_work_group_size: 1
    .uses_dynamic_stack: false
    .vgpr_count:     66
    .vgpr_spill_count: 0
    .wavefront_size: 32
  - .args:
      - .offset:         0
        .size:           4
        .value_kind:     by_value
      - .address_space:  global
        .offset:         8
        .size:           8
        .value_kind:     global_buffer
      - .offset:         16
        .size:           8
        .value_kind:     by_value
      - .offset:         24
        .size:           4
        .value_kind:     by_value
      - .offset:         32
        .size:           8
        .value_kind:     by_value
      - .address_space:  global
        .offset:         40
        .size:           8
        .value_kind:     global_buffer
      - .offset:         48
        .size:           4
        .value_kind:     by_value
      - .offset:         52
        .size:           4
        .value_kind:     by_value
      - .offset:         56
        .size:           4
        .value_kind:     hidden_block_count_x
      - .offset:         60
        .size:           4
        .value_kind:     hidden_block_count_y
      - .offset:         64
        .size:           4
        .value_kind:     hidden_block_count_z
      - .offset:         68
        .size:           2
        .value_kind:     hidden_group_size_x
      - .offset:         70
        .size:           2
        .value_kind:     hidden_group_size_y
      - .offset:         72
        .size:           2
        .value_kind:     hidden_group_size_z
      - .offset:         74
        .size:           2
        .value_kind:     hidden_remainder_x
      - .offset:         76
        .size:           2
        .value_kind:     hidden_remainder_y
      - .offset:         78
        .size:           2
        .value_kind:     hidden_remainder_z
      - .offset:         96
        .size:           8
        .value_kind:     hidden_global_offset_x
      - .offset:         104
        .size:           8
        .value_kind:     hidden_global_offset_y
      - .offset:         112
        .size:           8
        .value_kind:     hidden_global_offset_z
      - .offset:         120
        .size:           2
        .value_kind:     hidden_grid_dims
      - .offset:         176
        .size:           4
        .value_kind:     hidden_dynamic_lds_size
    .group_segment_fixed_size: 0
    .kernarg_segment_align: 8
    .kernarg_segment_size: 312
    .language:       OpenCL C
    .language_version:
      - 2
      - 0
    .max_flat_workgroup_size: 512
    .name:           _ZN9rocsolver6v33100L23getf2_npvt_small_kernelILi9E19rocblas_complex_numIfEiiPS3_EEvT1_T3_lS5_lPT2_S5_S5_
    .private_segment_fixed_size: 0
    .sgpr_count:     18
    .sgpr_spill_count: 0
    .symbol:         _ZN9rocsolver6v33100L23getf2_npvt_small_kernelILi9E19rocblas_complex_numIfEiiPS3_EEvT1_T3_lS5_lPT2_S5_S5_.kd
    .uniform_work_group_size: 1
    .uses_dynamic_stack: false
    .vgpr_count:     72
    .vgpr_spill_count: 0
    .wavefront_size: 32
  - .args:
      - .offset:         0
        .size:           4
        .value_kind:     by_value
      - .address_space:  global
        .offset:         8
        .size:           8
        .value_kind:     global_buffer
      - .offset:         16
        .size:           8
        .value_kind:     by_value
      - .offset:         24
        .size:           4
        .value_kind:     by_value
      - .offset:         32
        .size:           8
        .value_kind:     by_value
      - .address_space:  global
        .offset:         40
        .size:           8
        .value_kind:     global_buffer
      - .offset:         48
        .size:           8
        .value_kind:     by_value
      - .offset:         56
        .size:           8
        .value_kind:     by_value
      - .address_space:  global
        .offset:         64
        .size:           8
        .value_kind:     global_buffer
      - .offset:         72
        .size:           4
        .value_kind:     by_value
      - .offset:         76
        .size:           4
        .value_kind:     by_value
      - .address_space:  global
        .offset:         80
        .size:           8
        .value_kind:     global_buffer
      - .offset:         88
        .size:           8
        .value_kind:     by_value
      - .offset:         96
        .size:           4
        .value_kind:     hidden_block_count_x
      - .offset:         100
        .size:           4
        .value_kind:     hidden_block_count_y
      - .offset:         104
        .size:           4
        .value_kind:     hidden_block_count_z
      - .offset:         108
        .size:           2
        .value_kind:     hidden_group_size_x
      - .offset:         110
        .size:           2
        .value_kind:     hidden_group_size_y
      - .offset:         112
        .size:           2
        .value_kind:     hidden_group_size_z
      - .offset:         114
        .size:           2
        .value_kind:     hidden_remainder_x
      - .offset:         116
        .size:           2
        .value_kind:     hidden_remainder_y
      - .offset:         118
        .size:           2
        .value_kind:     hidden_remainder_z
      - .offset:         136
        .size:           8
        .value_kind:     hidden_global_offset_x
      - .offset:         144
        .size:           8
        .value_kind:     hidden_global_offset_y
      - .offset:         152
        .size:           8
        .value_kind:     hidden_global_offset_z
      - .offset:         160
        .size:           2
        .value_kind:     hidden_grid_dims
      - .offset:         216
        .size:           4
        .value_kind:     hidden_dynamic_lds_size
    .group_segment_fixed_size: 0
    .kernarg_segment_align: 8
    .kernarg_segment_size: 352
    .language:       OpenCL C
    .language_version:
      - 2
      - 0
    .max_flat_workgroup_size: 512
    .name:           _ZN9rocsolver6v33100L18getf2_small_kernelILi10E19rocblas_complex_numIfEiiPS3_EEvT1_T3_lS5_lPS5_llPT2_S5_S5_S7_l
    .private_segment_fixed_size: 0
    .sgpr_count:     22
    .sgpr_spill_count: 0
    .symbol:         _ZN9rocsolver6v33100L18getf2_small_kernelILi10E19rocblas_complex_numIfEiiPS3_EEvT1_T3_lS5_lPS5_llPT2_S5_S5_S7_l.kd
    .uniform_work_group_size: 1
    .uses_dynamic_stack: false
    .vgpr_count:     68
    .vgpr_spill_count: 0
    .wavefront_size: 32
  - .args:
      - .offset:         0
        .size:           4
        .value_kind:     by_value
      - .address_space:  global
        .offset:         8
        .size:           8
        .value_kind:     global_buffer
      - .offset:         16
        .size:           8
        .value_kind:     by_value
      - .offset:         24
        .size:           4
        .value_kind:     by_value
      - .offset:         32
        .size:           8
        .value_kind:     by_value
      - .address_space:  global
        .offset:         40
        .size:           8
        .value_kind:     global_buffer
      - .offset:         48
        .size:           4
        .value_kind:     by_value
      - .offset:         52
        .size:           4
        .value_kind:     by_value
      - .offset:         56
        .size:           4
        .value_kind:     hidden_block_count_x
      - .offset:         60
        .size:           4
        .value_kind:     hidden_block_count_y
      - .offset:         64
        .size:           4
        .value_kind:     hidden_block_count_z
      - .offset:         68
        .size:           2
        .value_kind:     hidden_group_size_x
      - .offset:         70
        .size:           2
        .value_kind:     hidden_group_size_y
      - .offset:         72
        .size:           2
        .value_kind:     hidden_group_size_z
      - .offset:         74
        .size:           2
        .value_kind:     hidden_remainder_x
      - .offset:         76
        .size:           2
        .value_kind:     hidden_remainder_y
      - .offset:         78
        .size:           2
        .value_kind:     hidden_remainder_z
      - .offset:         96
        .size:           8
        .value_kind:     hidden_global_offset_x
      - .offset:         104
        .size:           8
        .value_kind:     hidden_global_offset_y
      - .offset:         112
        .size:           8
        .value_kind:     hidden_global_offset_z
      - .offset:         120
        .size:           2
        .value_kind:     hidden_grid_dims
      - .offset:         176
        .size:           4
        .value_kind:     hidden_dynamic_lds_size
    .group_segment_fixed_size: 0
    .kernarg_segment_align: 8
    .kernarg_segment_size: 312
    .language:       OpenCL C
    .language_version:
      - 2
      - 0
    .max_flat_workgroup_size: 512
    .name:           _ZN9rocsolver6v33100L23getf2_npvt_small_kernelILi10E19rocblas_complex_numIfEiiPS3_EEvT1_T3_lS5_lPT2_S5_S5_
    .private_segment_fixed_size: 0
    .sgpr_count:     18
    .sgpr_spill_count: 0
    .symbol:         _ZN9rocsolver6v33100L23getf2_npvt_small_kernelILi10E19rocblas_complex_numIfEiiPS3_EEvT1_T3_lS5_lPT2_S5_S5_.kd
    .uniform_work_group_size: 1
    .uses_dynamic_stack: false
    .vgpr_count:     80
    .vgpr_spill_count: 0
    .wavefront_size: 32
  - .args:
      - .offset:         0
        .size:           4
        .value_kind:     by_value
      - .address_space:  global
        .offset:         8
        .size:           8
        .value_kind:     global_buffer
      - .offset:         16
        .size:           8
        .value_kind:     by_value
      - .offset:         24
        .size:           4
        .value_kind:     by_value
      - .offset:         32
        .size:           8
        .value_kind:     by_value
      - .address_space:  global
        .offset:         40
        .size:           8
        .value_kind:     global_buffer
      - .offset:         48
        .size:           8
        .value_kind:     by_value
      - .offset:         56
        .size:           8
        .value_kind:     by_value
      - .address_space:  global
        .offset:         64
        .size:           8
        .value_kind:     global_buffer
      - .offset:         72
        .size:           4
        .value_kind:     by_value
      - .offset:         76
        .size:           4
        .value_kind:     by_value
      - .address_space:  global
        .offset:         80
        .size:           8
        .value_kind:     global_buffer
      - .offset:         88
        .size:           8
        .value_kind:     by_value
      - .offset:         96
        .size:           4
        .value_kind:     hidden_block_count_x
      - .offset:         100
        .size:           4
        .value_kind:     hidden_block_count_y
      - .offset:         104
        .size:           4
        .value_kind:     hidden_block_count_z
      - .offset:         108
        .size:           2
        .value_kind:     hidden_group_size_x
      - .offset:         110
        .size:           2
        .value_kind:     hidden_group_size_y
      - .offset:         112
        .size:           2
        .value_kind:     hidden_group_size_z
      - .offset:         114
        .size:           2
        .value_kind:     hidden_remainder_x
      - .offset:         116
        .size:           2
        .value_kind:     hidden_remainder_y
      - .offset:         118
        .size:           2
        .value_kind:     hidden_remainder_z
      - .offset:         136
        .size:           8
        .value_kind:     hidden_global_offset_x
      - .offset:         144
        .size:           8
        .value_kind:     hidden_global_offset_y
      - .offset:         152
        .size:           8
        .value_kind:     hidden_global_offset_z
      - .offset:         160
        .size:           2
        .value_kind:     hidden_grid_dims
      - .offset:         216
        .size:           4
        .value_kind:     hidden_dynamic_lds_size
    .group_segment_fixed_size: 0
    .kernarg_segment_align: 8
    .kernarg_segment_size: 352
    .language:       OpenCL C
    .language_version:
      - 2
      - 0
    .max_flat_workgroup_size: 512
    .name:           _ZN9rocsolver6v33100L18getf2_small_kernelILi11E19rocblas_complex_numIfEiiPS3_EEvT1_T3_lS5_lPS5_llPT2_S5_S5_S7_l
    .private_segment_fixed_size: 0
    .sgpr_count:     22
    .sgpr_spill_count: 0
    .symbol:         _ZN9rocsolver6v33100L18getf2_small_kernelILi11E19rocblas_complex_numIfEiiPS3_EEvT1_T3_lS5_lPS5_llPT2_S5_S5_S7_l.kd
    .uniform_work_group_size: 1
    .uses_dynamic_stack: false
    .vgpr_count:     62
    .vgpr_spill_count: 0
    .wavefront_size: 32
  - .args:
      - .offset:         0
        .size:           4
        .value_kind:     by_value
      - .address_space:  global
        .offset:         8
        .size:           8
        .value_kind:     global_buffer
      - .offset:         16
        .size:           8
        .value_kind:     by_value
      - .offset:         24
        .size:           4
        .value_kind:     by_value
      - .offset:         32
        .size:           8
        .value_kind:     by_value
      - .address_space:  global
        .offset:         40
        .size:           8
        .value_kind:     global_buffer
      - .offset:         48
        .size:           4
        .value_kind:     by_value
      - .offset:         52
        .size:           4
        .value_kind:     by_value
      - .offset:         56
        .size:           4
        .value_kind:     hidden_block_count_x
      - .offset:         60
        .size:           4
        .value_kind:     hidden_block_count_y
      - .offset:         64
        .size:           4
        .value_kind:     hidden_block_count_z
      - .offset:         68
        .size:           2
        .value_kind:     hidden_group_size_x
      - .offset:         70
        .size:           2
        .value_kind:     hidden_group_size_y
      - .offset:         72
        .size:           2
        .value_kind:     hidden_group_size_z
      - .offset:         74
        .size:           2
        .value_kind:     hidden_remainder_x
      - .offset:         76
        .size:           2
        .value_kind:     hidden_remainder_y
      - .offset:         78
        .size:           2
        .value_kind:     hidden_remainder_z
      - .offset:         96
        .size:           8
        .value_kind:     hidden_global_offset_x
      - .offset:         104
        .size:           8
        .value_kind:     hidden_global_offset_y
      - .offset:         112
        .size:           8
        .value_kind:     hidden_global_offset_z
      - .offset:         120
        .size:           2
        .value_kind:     hidden_grid_dims
      - .offset:         176
        .size:           4
        .value_kind:     hidden_dynamic_lds_size
    .group_segment_fixed_size: 0
    .kernarg_segment_align: 8
    .kernarg_segment_size: 312
    .language:       OpenCL C
    .language_version:
      - 2
      - 0
    .max_flat_workgroup_size: 512
    .name:           _ZN9rocsolver6v33100L23getf2_npvt_small_kernelILi11E19rocblas_complex_numIfEiiPS3_EEvT1_T3_lS5_lPT2_S5_S5_
    .private_segment_fixed_size: 0
    .sgpr_count:     18
    .sgpr_spill_count: 0
    .symbol:         _ZN9rocsolver6v33100L23getf2_npvt_small_kernelILi11E19rocblas_complex_numIfEiiPS3_EEvT1_T3_lS5_lPT2_S5_S5_.kd
    .uniform_work_group_size: 1
    .uses_dynamic_stack: false
    .vgpr_count:     82
    .vgpr_spill_count: 0
    .wavefront_size: 32
  - .args:
      - .offset:         0
        .size:           4
        .value_kind:     by_value
      - .address_space:  global
        .offset:         8
        .size:           8
        .value_kind:     global_buffer
      - .offset:         16
        .size:           8
        .value_kind:     by_value
      - .offset:         24
        .size:           4
        .value_kind:     by_value
      - .offset:         32
        .size:           8
        .value_kind:     by_value
      - .address_space:  global
        .offset:         40
        .size:           8
        .value_kind:     global_buffer
      - .offset:         48
        .size:           8
        .value_kind:     by_value
      - .offset:         56
        .size:           8
        .value_kind:     by_value
      - .address_space:  global
        .offset:         64
        .size:           8
        .value_kind:     global_buffer
      - .offset:         72
        .size:           4
        .value_kind:     by_value
      - .offset:         76
        .size:           4
        .value_kind:     by_value
      - .address_space:  global
        .offset:         80
        .size:           8
        .value_kind:     global_buffer
      - .offset:         88
        .size:           8
        .value_kind:     by_value
      - .offset:         96
        .size:           4
        .value_kind:     hidden_block_count_x
      - .offset:         100
        .size:           4
        .value_kind:     hidden_block_count_y
      - .offset:         104
        .size:           4
        .value_kind:     hidden_block_count_z
      - .offset:         108
        .size:           2
        .value_kind:     hidden_group_size_x
      - .offset:         110
        .size:           2
        .value_kind:     hidden_group_size_y
      - .offset:         112
        .size:           2
        .value_kind:     hidden_group_size_z
      - .offset:         114
        .size:           2
        .value_kind:     hidden_remainder_x
      - .offset:         116
        .size:           2
        .value_kind:     hidden_remainder_y
      - .offset:         118
        .size:           2
        .value_kind:     hidden_remainder_z
      - .offset:         136
        .size:           8
        .value_kind:     hidden_global_offset_x
      - .offset:         144
        .size:           8
        .value_kind:     hidden_global_offset_y
      - .offset:         152
        .size:           8
        .value_kind:     hidden_global_offset_z
      - .offset:         160
        .size:           2
        .value_kind:     hidden_grid_dims
      - .offset:         216
        .size:           4
        .value_kind:     hidden_dynamic_lds_size
    .group_segment_fixed_size: 0
    .kernarg_segment_align: 8
    .kernarg_segment_size: 352
    .language:       OpenCL C
    .language_version:
      - 2
      - 0
    .max_flat_workgroup_size: 512
    .name:           _ZN9rocsolver6v33100L18getf2_small_kernelILi12E19rocblas_complex_numIfEiiPS3_EEvT1_T3_lS5_lPS5_llPT2_S5_S5_S7_l
    .private_segment_fixed_size: 0
    .sgpr_count:     22
    .sgpr_spill_count: 0
    .symbol:         _ZN9rocsolver6v33100L18getf2_small_kernelILi12E19rocblas_complex_numIfEiiPS3_EEvT1_T3_lS5_lPS5_llPT2_S5_S5_S7_l.kd
    .uniform_work_group_size: 1
    .uses_dynamic_stack: false
    .vgpr_count:     64
    .vgpr_spill_count: 0
    .wavefront_size: 32
  - .args:
      - .offset:         0
        .size:           4
        .value_kind:     by_value
      - .address_space:  global
        .offset:         8
        .size:           8
        .value_kind:     global_buffer
      - .offset:         16
        .size:           8
        .value_kind:     by_value
      - .offset:         24
        .size:           4
        .value_kind:     by_value
      - .offset:         32
        .size:           8
        .value_kind:     by_value
      - .address_space:  global
        .offset:         40
        .size:           8
        .value_kind:     global_buffer
      - .offset:         48
        .size:           4
        .value_kind:     by_value
      - .offset:         52
        .size:           4
        .value_kind:     by_value
      - .offset:         56
        .size:           4
        .value_kind:     hidden_block_count_x
      - .offset:         60
        .size:           4
        .value_kind:     hidden_block_count_y
      - .offset:         64
        .size:           4
        .value_kind:     hidden_block_count_z
      - .offset:         68
        .size:           2
        .value_kind:     hidden_group_size_x
      - .offset:         70
        .size:           2
        .value_kind:     hidden_group_size_y
      - .offset:         72
        .size:           2
        .value_kind:     hidden_group_size_z
      - .offset:         74
        .size:           2
        .value_kind:     hidden_remainder_x
      - .offset:         76
        .size:           2
        .value_kind:     hidden_remainder_y
      - .offset:         78
        .size:           2
        .value_kind:     hidden_remainder_z
      - .offset:         96
        .size:           8
        .value_kind:     hidden_global_offset_x
      - .offset:         104
        .size:           8
        .value_kind:     hidden_global_offset_y
      - .offset:         112
        .size:           8
        .value_kind:     hidden_global_offset_z
      - .offset:         120
        .size:           2
        .value_kind:     hidden_grid_dims
      - .offset:         176
        .size:           4
        .value_kind:     hidden_dynamic_lds_size
    .group_segment_fixed_size: 0
    .kernarg_segment_align: 8
    .kernarg_segment_size: 312
    .language:       OpenCL C
    .language_version:
      - 2
      - 0
    .max_flat_workgroup_size: 512
    .name:           _ZN9rocsolver6v33100L23getf2_npvt_small_kernelILi12E19rocblas_complex_numIfEiiPS3_EEvT1_T3_lS5_lPT2_S5_S5_
    .private_segment_fixed_size: 0
    .sgpr_count:     18
    .sgpr_spill_count: 0
    .symbol:         _ZN9rocsolver6v33100L23getf2_npvt_small_kernelILi12E19rocblas_complex_numIfEiiPS3_EEvT1_T3_lS5_lPT2_S5_S5_.kd
    .uniform_work_group_size: 1
    .uses_dynamic_stack: false
    .vgpr_count:     92
    .vgpr_spill_count: 0
    .wavefront_size: 32
  - .args:
      - .offset:         0
        .size:           4
        .value_kind:     by_value
      - .address_space:  global
        .offset:         8
        .size:           8
        .value_kind:     global_buffer
      - .offset:         16
        .size:           8
        .value_kind:     by_value
      - .offset:         24
        .size:           4
        .value_kind:     by_value
      - .offset:         32
        .size:           8
        .value_kind:     by_value
      - .address_space:  global
        .offset:         40
        .size:           8
        .value_kind:     global_buffer
      - .offset:         48
        .size:           8
        .value_kind:     by_value
      - .offset:         56
        .size:           8
        .value_kind:     by_value
      - .address_space:  global
        .offset:         64
        .size:           8
        .value_kind:     global_buffer
      - .offset:         72
        .size:           4
        .value_kind:     by_value
      - .offset:         76
        .size:           4
        .value_kind:     by_value
      - .address_space:  global
        .offset:         80
        .size:           8
        .value_kind:     global_buffer
      - .offset:         88
        .size:           8
        .value_kind:     by_value
      - .offset:         96
        .size:           4
        .value_kind:     hidden_block_count_x
      - .offset:         100
        .size:           4
        .value_kind:     hidden_block_count_y
      - .offset:         104
        .size:           4
        .value_kind:     hidden_block_count_z
      - .offset:         108
        .size:           2
        .value_kind:     hidden_group_size_x
      - .offset:         110
        .size:           2
        .value_kind:     hidden_group_size_y
      - .offset:         112
        .size:           2
        .value_kind:     hidden_group_size_z
      - .offset:         114
        .size:           2
        .value_kind:     hidden_remainder_x
      - .offset:         116
        .size:           2
        .value_kind:     hidden_remainder_y
      - .offset:         118
        .size:           2
        .value_kind:     hidden_remainder_z
      - .offset:         136
        .size:           8
        .value_kind:     hidden_global_offset_x
      - .offset:         144
        .size:           8
        .value_kind:     hidden_global_offset_y
      - .offset:         152
        .size:           8
        .value_kind:     hidden_global_offset_z
      - .offset:         160
        .size:           2
        .value_kind:     hidden_grid_dims
      - .offset:         216
        .size:           4
        .value_kind:     hidden_dynamic_lds_size
    .group_segment_fixed_size: 0
    .kernarg_segment_align: 8
    .kernarg_segment_size: 352
    .language:       OpenCL C
    .language_version:
      - 2
      - 0
    .max_flat_workgroup_size: 512
    .name:           _ZN9rocsolver6v33100L18getf2_small_kernelILi13E19rocblas_complex_numIfEiiPS3_EEvT1_T3_lS5_lPS5_llPT2_S5_S5_S7_l
    .private_segment_fixed_size: 0
    .sgpr_count:     22
    .sgpr_spill_count: 0
    .symbol:         _ZN9rocsolver6v33100L18getf2_small_kernelILi13E19rocblas_complex_numIfEiiPS3_EEvT1_T3_lS5_lPS5_llPT2_S5_S5_S7_l.kd
    .uniform_work_group_size: 1
    .uses_dynamic_stack: false
    .vgpr_count:     66
    .vgpr_spill_count: 0
    .wavefront_size: 32
  - .args:
      - .offset:         0
        .size:           4
        .value_kind:     by_value
      - .address_space:  global
        .offset:         8
        .size:           8
        .value_kind:     global_buffer
      - .offset:         16
        .size:           8
        .value_kind:     by_value
      - .offset:         24
        .size:           4
        .value_kind:     by_value
      - .offset:         32
        .size:           8
        .value_kind:     by_value
      - .address_space:  global
        .offset:         40
        .size:           8
        .value_kind:     global_buffer
      - .offset:         48
        .size:           4
        .value_kind:     by_value
      - .offset:         52
        .size:           4
        .value_kind:     by_value
      - .offset:         56
        .size:           4
        .value_kind:     hidden_block_count_x
      - .offset:         60
        .size:           4
        .value_kind:     hidden_block_count_y
      - .offset:         64
        .size:           4
        .value_kind:     hidden_block_count_z
      - .offset:         68
        .size:           2
        .value_kind:     hidden_group_size_x
      - .offset:         70
        .size:           2
        .value_kind:     hidden_group_size_y
      - .offset:         72
        .size:           2
        .value_kind:     hidden_group_size_z
      - .offset:         74
        .size:           2
        .value_kind:     hidden_remainder_x
      - .offset:         76
        .size:           2
        .value_kind:     hidden_remainder_y
      - .offset:         78
        .size:           2
        .value_kind:     hidden_remainder_z
      - .offset:         96
        .size:           8
        .value_kind:     hidden_global_offset_x
      - .offset:         104
        .size:           8
        .value_kind:     hidden_global_offset_y
      - .offset:         112
        .size:           8
        .value_kind:     hidden_global_offset_z
      - .offset:         120
        .size:           2
        .value_kind:     hidden_grid_dims
      - .offset:         176
        .size:           4
        .value_kind:     hidden_dynamic_lds_size
    .group_segment_fixed_size: 0
    .kernarg_segment_align: 8
    .kernarg_segment_size: 312
    .language:       OpenCL C
    .language_version:
      - 2
      - 0
    .max_flat_workgroup_size: 512
    .name:           _ZN9rocsolver6v33100L23getf2_npvt_small_kernelILi13E19rocblas_complex_numIfEiiPS3_EEvT1_T3_lS5_lPT2_S5_S5_
    .private_segment_fixed_size: 0
    .sgpr_count:     18
    .sgpr_spill_count: 0
    .symbol:         _ZN9rocsolver6v33100L23getf2_npvt_small_kernelILi13E19rocblas_complex_numIfEiiPS3_EEvT1_T3_lS5_lPT2_S5_S5_.kd
    .uniform_work_group_size: 1
    .uses_dynamic_stack: false
    .vgpr_count:     96
    .vgpr_spill_count: 0
    .wavefront_size: 32
  - .args:
      - .offset:         0
        .size:           4
        .value_kind:     by_value
      - .address_space:  global
        .offset:         8
        .size:           8
        .value_kind:     global_buffer
      - .offset:         16
        .size:           8
        .value_kind:     by_value
      - .offset:         24
        .size:           4
        .value_kind:     by_value
      - .offset:         32
        .size:           8
        .value_kind:     by_value
      - .address_space:  global
        .offset:         40
        .size:           8
        .value_kind:     global_buffer
      - .offset:         48
        .size:           8
        .value_kind:     by_value
      - .offset:         56
        .size:           8
        .value_kind:     by_value
      - .address_space:  global
        .offset:         64
        .size:           8
        .value_kind:     global_buffer
      - .offset:         72
        .size:           4
        .value_kind:     by_value
      - .offset:         76
        .size:           4
        .value_kind:     by_value
      - .address_space:  global
        .offset:         80
        .size:           8
        .value_kind:     global_buffer
      - .offset:         88
        .size:           8
        .value_kind:     by_value
      - .offset:         96
        .size:           4
        .value_kind:     hidden_block_count_x
      - .offset:         100
        .size:           4
        .value_kind:     hidden_block_count_y
      - .offset:         104
        .size:           4
        .value_kind:     hidden_block_count_z
      - .offset:         108
        .size:           2
        .value_kind:     hidden_group_size_x
      - .offset:         110
        .size:           2
        .value_kind:     hidden_group_size_y
      - .offset:         112
        .size:           2
        .value_kind:     hidden_group_size_z
      - .offset:         114
        .size:           2
        .value_kind:     hidden_remainder_x
      - .offset:         116
        .size:           2
        .value_kind:     hidden_remainder_y
      - .offset:         118
        .size:           2
        .value_kind:     hidden_remainder_z
      - .offset:         136
        .size:           8
        .value_kind:     hidden_global_offset_x
      - .offset:         144
        .size:           8
        .value_kind:     hidden_global_offset_y
      - .offset:         152
        .size:           8
        .value_kind:     hidden_global_offset_z
      - .offset:         160
        .size:           2
        .value_kind:     hidden_grid_dims
      - .offset:         216
        .size:           4
        .value_kind:     hidden_dynamic_lds_size
    .group_segment_fixed_size: 0
    .kernarg_segment_align: 8
    .kernarg_segment_size: 352
    .language:       OpenCL C
    .language_version:
      - 2
      - 0
    .max_flat_workgroup_size: 512
    .name:           _ZN9rocsolver6v33100L18getf2_small_kernelILi14E19rocblas_complex_numIfEiiPS3_EEvT1_T3_lS5_lPS5_llPT2_S5_S5_S7_l
    .private_segment_fixed_size: 0
    .sgpr_count:     22
    .sgpr_spill_count: 0
    .symbol:         _ZN9rocsolver6v33100L18getf2_small_kernelILi14E19rocblas_complex_numIfEiiPS3_EEvT1_T3_lS5_lPS5_llPT2_S5_S5_S7_l.kd
    .uniform_work_group_size: 1
    .uses_dynamic_stack: false
    .vgpr_count:     62
    .vgpr_spill_count: 0
    .wavefront_size: 32
  - .args:
      - .offset:         0
        .size:           4
        .value_kind:     by_value
      - .address_space:  global
        .offset:         8
        .size:           8
        .value_kind:     global_buffer
      - .offset:         16
        .size:           8
        .value_kind:     by_value
      - .offset:         24
        .size:           4
        .value_kind:     by_value
      - .offset:         32
        .size:           8
        .value_kind:     by_value
      - .address_space:  global
        .offset:         40
        .size:           8
        .value_kind:     global_buffer
      - .offset:         48
        .size:           4
        .value_kind:     by_value
      - .offset:         52
        .size:           4
        .value_kind:     by_value
      - .offset:         56
        .size:           4
        .value_kind:     hidden_block_count_x
      - .offset:         60
        .size:           4
        .value_kind:     hidden_block_count_y
      - .offset:         64
        .size:           4
        .value_kind:     hidden_block_count_z
      - .offset:         68
        .size:           2
        .value_kind:     hidden_group_size_x
      - .offset:         70
        .size:           2
        .value_kind:     hidden_group_size_y
      - .offset:         72
        .size:           2
        .value_kind:     hidden_group_size_z
      - .offset:         74
        .size:           2
        .value_kind:     hidden_remainder_x
      - .offset:         76
        .size:           2
        .value_kind:     hidden_remainder_y
      - .offset:         78
        .size:           2
        .value_kind:     hidden_remainder_z
      - .offset:         96
        .size:           8
        .value_kind:     hidden_global_offset_x
      - .offset:         104
        .size:           8
        .value_kind:     hidden_global_offset_y
      - .offset:         112
        .size:           8
        .value_kind:     hidden_global_offset_z
      - .offset:         120
        .size:           2
        .value_kind:     hidden_grid_dims
      - .offset:         176
        .size:           4
        .value_kind:     hidden_dynamic_lds_size
    .group_segment_fixed_size: 0
    .kernarg_segment_align: 8
    .kernarg_segment_size: 312
    .language:       OpenCL C
    .language_version:
      - 2
      - 0
    .max_flat_workgroup_size: 512
    .name:           _ZN9rocsolver6v33100L23getf2_npvt_small_kernelILi14E19rocblas_complex_numIfEiiPS3_EEvT1_T3_lS5_lPT2_S5_S5_
    .private_segment_fixed_size: 0
    .sgpr_count:     17
    .sgpr_spill_count: 0
    .symbol:         _ZN9rocsolver6v33100L23getf2_npvt_small_kernelILi14E19rocblas_complex_numIfEiiPS3_EEvT1_T3_lS5_lPT2_S5_S5_.kd
    .uniform_work_group_size: 1
    .uses_dynamic_stack: false
    .vgpr_count:     106
    .vgpr_spill_count: 0
    .wavefront_size: 32
  - .args:
      - .offset:         0
        .size:           4
        .value_kind:     by_value
      - .address_space:  global
        .offset:         8
        .size:           8
        .value_kind:     global_buffer
      - .offset:         16
        .size:           8
        .value_kind:     by_value
      - .offset:         24
        .size:           4
        .value_kind:     by_value
      - .offset:         32
        .size:           8
        .value_kind:     by_value
      - .address_space:  global
        .offset:         40
        .size:           8
        .value_kind:     global_buffer
      - .offset:         48
        .size:           8
        .value_kind:     by_value
      - .offset:         56
        .size:           8
        .value_kind:     by_value
      - .address_space:  global
        .offset:         64
        .size:           8
        .value_kind:     global_buffer
      - .offset:         72
        .size:           4
        .value_kind:     by_value
      - .offset:         76
        .size:           4
        .value_kind:     by_value
      - .address_space:  global
        .offset:         80
        .size:           8
        .value_kind:     global_buffer
      - .offset:         88
        .size:           8
        .value_kind:     by_value
      - .offset:         96
        .size:           4
        .value_kind:     hidden_block_count_x
      - .offset:         100
        .size:           4
        .value_kind:     hidden_block_count_y
      - .offset:         104
        .size:           4
        .value_kind:     hidden_block_count_z
      - .offset:         108
        .size:           2
        .value_kind:     hidden_group_size_x
      - .offset:         110
        .size:           2
        .value_kind:     hidden_group_size_y
      - .offset:         112
        .size:           2
        .value_kind:     hidden_group_size_z
      - .offset:         114
        .size:           2
        .value_kind:     hidden_remainder_x
      - .offset:         116
        .size:           2
        .value_kind:     hidden_remainder_y
      - .offset:         118
        .size:           2
        .value_kind:     hidden_remainder_z
      - .offset:         136
        .size:           8
        .value_kind:     hidden_global_offset_x
      - .offset:         144
        .size:           8
        .value_kind:     hidden_global_offset_y
      - .offset:         152
        .size:           8
        .value_kind:     hidden_global_offset_z
      - .offset:         160
        .size:           2
        .value_kind:     hidden_grid_dims
      - .offset:         216
        .size:           4
        .value_kind:     hidden_dynamic_lds_size
    .group_segment_fixed_size: 0
    .kernarg_segment_align: 8
    .kernarg_segment_size: 352
    .language:       OpenCL C
    .language_version:
      - 2
      - 0
    .max_flat_workgroup_size: 512
    .name:           _ZN9rocsolver6v33100L18getf2_small_kernelILi15E19rocblas_complex_numIfEiiPS3_EEvT1_T3_lS5_lPS5_llPT2_S5_S5_S7_l
    .private_segment_fixed_size: 0
    .sgpr_count:     22
    .sgpr_spill_count: 0
    .symbol:         _ZN9rocsolver6v33100L18getf2_small_kernelILi15E19rocblas_complex_numIfEiiPS3_EEvT1_T3_lS5_lPS5_llPT2_S5_S5_S7_l.kd
    .uniform_work_group_size: 1
    .uses_dynamic_stack: false
    .vgpr_count:     64
    .vgpr_spill_count: 0
    .wavefront_size: 32
  - .args:
      - .offset:         0
        .size:           4
        .value_kind:     by_value
      - .address_space:  global
        .offset:         8
        .size:           8
        .value_kind:     global_buffer
      - .offset:         16
        .size:           8
        .value_kind:     by_value
      - .offset:         24
        .size:           4
        .value_kind:     by_value
      - .offset:         32
        .size:           8
        .value_kind:     by_value
      - .address_space:  global
        .offset:         40
        .size:           8
        .value_kind:     global_buffer
      - .offset:         48
        .size:           4
        .value_kind:     by_value
      - .offset:         52
        .size:           4
        .value_kind:     by_value
      - .offset:         56
        .size:           4
        .value_kind:     hidden_block_count_x
      - .offset:         60
        .size:           4
        .value_kind:     hidden_block_count_y
      - .offset:         64
        .size:           4
        .value_kind:     hidden_block_count_z
      - .offset:         68
        .size:           2
        .value_kind:     hidden_group_size_x
      - .offset:         70
        .size:           2
        .value_kind:     hidden_group_size_y
      - .offset:         72
        .size:           2
        .value_kind:     hidden_group_size_z
      - .offset:         74
        .size:           2
        .value_kind:     hidden_remainder_x
      - .offset:         76
        .size:           2
        .value_kind:     hidden_remainder_y
      - .offset:         78
        .size:           2
        .value_kind:     hidden_remainder_z
      - .offset:         96
        .size:           8
        .value_kind:     hidden_global_offset_x
      - .offset:         104
        .size:           8
        .value_kind:     hidden_global_offset_y
      - .offset:         112
        .size:           8
        .value_kind:     hidden_global_offset_z
      - .offset:         120
        .size:           2
        .value_kind:     hidden_grid_dims
      - .offset:         176
        .size:           4
        .value_kind:     hidden_dynamic_lds_size
    .group_segment_fixed_size: 0
    .kernarg_segment_align: 8
    .kernarg_segment_size: 312
    .language:       OpenCL C
    .language_version:
      - 2
      - 0
    .max_flat_workgroup_size: 512
    .name:           _ZN9rocsolver6v33100L23getf2_npvt_small_kernelILi15E19rocblas_complex_numIfEiiPS3_EEvT1_T3_lS5_lPT2_S5_S5_
    .private_segment_fixed_size: 0
    .sgpr_count:     17
    .sgpr_spill_count: 0
    .symbol:         _ZN9rocsolver6v33100L23getf2_npvt_small_kernelILi15E19rocblas_complex_numIfEiiPS3_EEvT1_T3_lS5_lPT2_S5_S5_.kd
    .uniform_work_group_size: 1
    .uses_dynamic_stack: false
    .vgpr_count:     114
    .vgpr_spill_count: 0
    .wavefront_size: 32
  - .args:
      - .offset:         0
        .size:           4
        .value_kind:     by_value
      - .address_space:  global
        .offset:         8
        .size:           8
        .value_kind:     global_buffer
      - .offset:         16
        .size:           8
        .value_kind:     by_value
      - .offset:         24
        .size:           4
        .value_kind:     by_value
      - .offset:         32
        .size:           8
        .value_kind:     by_value
      - .address_space:  global
        .offset:         40
        .size:           8
        .value_kind:     global_buffer
      - .offset:         48
        .size:           8
        .value_kind:     by_value
      - .offset:         56
        .size:           8
        .value_kind:     by_value
      - .address_space:  global
        .offset:         64
        .size:           8
        .value_kind:     global_buffer
      - .offset:         72
        .size:           4
        .value_kind:     by_value
      - .offset:         76
        .size:           4
        .value_kind:     by_value
      - .address_space:  global
        .offset:         80
        .size:           8
        .value_kind:     global_buffer
      - .offset:         88
        .size:           8
        .value_kind:     by_value
      - .offset:         96
        .size:           4
        .value_kind:     hidden_block_count_x
      - .offset:         100
        .size:           4
        .value_kind:     hidden_block_count_y
      - .offset:         104
        .size:           4
        .value_kind:     hidden_block_count_z
      - .offset:         108
        .size:           2
        .value_kind:     hidden_group_size_x
      - .offset:         110
        .size:           2
        .value_kind:     hidden_group_size_y
      - .offset:         112
        .size:           2
        .value_kind:     hidden_group_size_z
      - .offset:         114
        .size:           2
        .value_kind:     hidden_remainder_x
      - .offset:         116
        .size:           2
        .value_kind:     hidden_remainder_y
      - .offset:         118
        .size:           2
        .value_kind:     hidden_remainder_z
      - .offset:         136
        .size:           8
        .value_kind:     hidden_global_offset_x
      - .offset:         144
        .size:           8
        .value_kind:     hidden_global_offset_y
      - .offset:         152
        .size:           8
        .value_kind:     hidden_global_offset_z
      - .offset:         160
        .size:           2
        .value_kind:     hidden_grid_dims
      - .offset:         216
        .size:           4
        .value_kind:     hidden_dynamic_lds_size
    .group_segment_fixed_size: 0
    .kernarg_segment_align: 8
    .kernarg_segment_size: 352
    .language:       OpenCL C
    .language_version:
      - 2
      - 0
    .max_flat_workgroup_size: 512
    .name:           _ZN9rocsolver6v33100L18getf2_small_kernelILi16E19rocblas_complex_numIfEiiPS3_EEvT1_T3_lS5_lPS5_llPT2_S5_S5_S7_l
    .private_segment_fixed_size: 0
    .sgpr_count:     22
    .sgpr_spill_count: 0
    .symbol:         _ZN9rocsolver6v33100L18getf2_small_kernelILi16E19rocblas_complex_numIfEiiPS3_EEvT1_T3_lS5_lPS5_llPT2_S5_S5_S7_l.kd
    .uniform_work_group_size: 1
    .uses_dynamic_stack: false
    .vgpr_count:     64
    .vgpr_spill_count: 0
    .wavefront_size: 32
  - .args:
      - .offset:         0
        .size:           4
        .value_kind:     by_value
      - .address_space:  global
        .offset:         8
        .size:           8
        .value_kind:     global_buffer
      - .offset:         16
        .size:           8
        .value_kind:     by_value
      - .offset:         24
        .size:           4
        .value_kind:     by_value
      - .offset:         32
        .size:           8
        .value_kind:     by_value
      - .address_space:  global
        .offset:         40
        .size:           8
        .value_kind:     global_buffer
      - .offset:         48
        .size:           4
        .value_kind:     by_value
      - .offset:         52
        .size:           4
        .value_kind:     by_value
      - .offset:         56
        .size:           4
        .value_kind:     hidden_block_count_x
      - .offset:         60
        .size:           4
        .value_kind:     hidden_block_count_y
      - .offset:         64
        .size:           4
        .value_kind:     hidden_block_count_z
      - .offset:         68
        .size:           2
        .value_kind:     hidden_group_size_x
      - .offset:         70
        .size:           2
        .value_kind:     hidden_group_size_y
      - .offset:         72
        .size:           2
        .value_kind:     hidden_group_size_z
      - .offset:         74
        .size:           2
        .value_kind:     hidden_remainder_x
      - .offset:         76
        .size:           2
        .value_kind:     hidden_remainder_y
      - .offset:         78
        .size:           2
        .value_kind:     hidden_remainder_z
      - .offset:         96
        .size:           8
        .value_kind:     hidden_global_offset_x
      - .offset:         104
        .size:           8
        .value_kind:     hidden_global_offset_y
      - .offset:         112
        .size:           8
        .value_kind:     hidden_global_offset_z
      - .offset:         120
        .size:           2
        .value_kind:     hidden_grid_dims
      - .offset:         176
        .size:           4
        .value_kind:     hidden_dynamic_lds_size
    .group_segment_fixed_size: 0
    .kernarg_segment_align: 8
    .kernarg_segment_size: 312
    .language:       OpenCL C
    .language_version:
      - 2
      - 0
    .max_flat_workgroup_size: 512
    .name:           _ZN9rocsolver6v33100L23getf2_npvt_small_kernelILi16E19rocblas_complex_numIfEiiPS3_EEvT1_T3_lS5_lPT2_S5_S5_
    .private_segment_fixed_size: 0
    .sgpr_count:     17
    .sgpr_spill_count: 0
    .symbol:         _ZN9rocsolver6v33100L23getf2_npvt_small_kernelILi16E19rocblas_complex_numIfEiiPS3_EEvT1_T3_lS5_lPT2_S5_S5_.kd
    .uniform_work_group_size: 1
    .uses_dynamic_stack: false
    .vgpr_count:     114
    .vgpr_spill_count: 0
    .wavefront_size: 32
  - .args:
      - .offset:         0
        .size:           4
        .value_kind:     by_value
      - .address_space:  global
        .offset:         8
        .size:           8
        .value_kind:     global_buffer
      - .offset:         16
        .size:           8
        .value_kind:     by_value
      - .offset:         24
        .size:           4
        .value_kind:     by_value
      - .offset:         32
        .size:           8
        .value_kind:     by_value
      - .address_space:  global
        .offset:         40
        .size:           8
        .value_kind:     global_buffer
      - .offset:         48
        .size:           8
        .value_kind:     by_value
      - .offset:         56
        .size:           8
        .value_kind:     by_value
      - .address_space:  global
        .offset:         64
        .size:           8
        .value_kind:     global_buffer
      - .offset:         72
        .size:           4
        .value_kind:     by_value
      - .offset:         76
        .size:           4
        .value_kind:     by_value
      - .address_space:  global
        .offset:         80
        .size:           8
        .value_kind:     global_buffer
      - .offset:         88
        .size:           8
        .value_kind:     by_value
      - .offset:         96
        .size:           4
        .value_kind:     hidden_block_count_x
      - .offset:         100
        .size:           4
        .value_kind:     hidden_block_count_y
      - .offset:         104
        .size:           4
        .value_kind:     hidden_block_count_z
      - .offset:         108
        .size:           2
        .value_kind:     hidden_group_size_x
      - .offset:         110
        .size:           2
        .value_kind:     hidden_group_size_y
      - .offset:         112
        .size:           2
        .value_kind:     hidden_group_size_z
      - .offset:         114
        .size:           2
        .value_kind:     hidden_remainder_x
      - .offset:         116
        .size:           2
        .value_kind:     hidden_remainder_y
      - .offset:         118
        .size:           2
        .value_kind:     hidden_remainder_z
      - .offset:         136
        .size:           8
        .value_kind:     hidden_global_offset_x
      - .offset:         144
        .size:           8
        .value_kind:     hidden_global_offset_y
      - .offset:         152
        .size:           8
        .value_kind:     hidden_global_offset_z
      - .offset:         160
        .size:           2
        .value_kind:     hidden_grid_dims
      - .offset:         216
        .size:           4
        .value_kind:     hidden_dynamic_lds_size
    .group_segment_fixed_size: 0
    .kernarg_segment_align: 8
    .kernarg_segment_size: 352
    .language:       OpenCL C
    .language_version:
      - 2
      - 0
    .max_flat_workgroup_size: 512
    .name:           _ZN9rocsolver6v33100L18getf2_small_kernelILi17E19rocblas_complex_numIfEiiPS3_EEvT1_T3_lS5_lPS5_llPT2_S5_S5_S7_l
    .private_segment_fixed_size: 0
    .sgpr_count:     22
    .sgpr_spill_count: 0
    .symbol:         _ZN9rocsolver6v33100L18getf2_small_kernelILi17E19rocblas_complex_numIfEiiPS3_EEvT1_T3_lS5_lPS5_llPT2_S5_S5_S7_l.kd
    .uniform_work_group_size: 1
    .uses_dynamic_stack: false
    .vgpr_count:     64
    .vgpr_spill_count: 0
    .wavefront_size: 32
  - .args:
      - .offset:         0
        .size:           4
        .value_kind:     by_value
      - .address_space:  global
        .offset:         8
        .size:           8
        .value_kind:     global_buffer
      - .offset:         16
        .size:           8
        .value_kind:     by_value
      - .offset:         24
        .size:           4
        .value_kind:     by_value
      - .offset:         32
        .size:           8
        .value_kind:     by_value
      - .address_space:  global
        .offset:         40
        .size:           8
        .value_kind:     global_buffer
      - .offset:         48
        .size:           4
        .value_kind:     by_value
      - .offset:         52
        .size:           4
        .value_kind:     by_value
      - .offset:         56
        .size:           4
        .value_kind:     hidden_block_count_x
      - .offset:         60
        .size:           4
        .value_kind:     hidden_block_count_y
      - .offset:         64
        .size:           4
        .value_kind:     hidden_block_count_z
      - .offset:         68
        .size:           2
        .value_kind:     hidden_group_size_x
      - .offset:         70
        .size:           2
        .value_kind:     hidden_group_size_y
      - .offset:         72
        .size:           2
        .value_kind:     hidden_group_size_z
      - .offset:         74
        .size:           2
        .value_kind:     hidden_remainder_x
      - .offset:         76
        .size:           2
        .value_kind:     hidden_remainder_y
      - .offset:         78
        .size:           2
        .value_kind:     hidden_remainder_z
      - .offset:         96
        .size:           8
        .value_kind:     hidden_global_offset_x
      - .offset:         104
        .size:           8
        .value_kind:     hidden_global_offset_y
      - .offset:         112
        .size:           8
        .value_kind:     hidden_global_offset_z
      - .offset:         120
        .size:           2
        .value_kind:     hidden_grid_dims
      - .offset:         176
        .size:           4
        .value_kind:     hidden_dynamic_lds_size
    .group_segment_fixed_size: 0
    .kernarg_segment_align: 8
    .kernarg_segment_size: 312
    .language:       OpenCL C
    .language_version:
      - 2
      - 0
    .max_flat_workgroup_size: 512
    .name:           _ZN9rocsolver6v33100L23getf2_npvt_small_kernelILi17E19rocblas_complex_numIfEiiPS3_EEvT1_T3_lS5_lPT2_S5_S5_
    .private_segment_fixed_size: 0
    .sgpr_count:     17
    .sgpr_spill_count: 0
    .symbol:         _ZN9rocsolver6v33100L23getf2_npvt_small_kernelILi17E19rocblas_complex_numIfEiiPS3_EEvT1_T3_lS5_lPT2_S5_S5_.kd
    .uniform_work_group_size: 1
    .uses_dynamic_stack: false
    .vgpr_count:     120
    .vgpr_spill_count: 0
    .wavefront_size: 32
  - .args:
      - .offset:         0
        .size:           4
        .value_kind:     by_value
      - .address_space:  global
        .offset:         8
        .size:           8
        .value_kind:     global_buffer
      - .offset:         16
        .size:           8
        .value_kind:     by_value
      - .offset:         24
        .size:           4
        .value_kind:     by_value
      - .offset:         32
        .size:           8
        .value_kind:     by_value
      - .address_space:  global
        .offset:         40
        .size:           8
        .value_kind:     global_buffer
      - .offset:         48
        .size:           8
        .value_kind:     by_value
      - .offset:         56
        .size:           8
        .value_kind:     by_value
      - .address_space:  global
        .offset:         64
        .size:           8
        .value_kind:     global_buffer
      - .offset:         72
        .size:           4
        .value_kind:     by_value
      - .offset:         76
        .size:           4
        .value_kind:     by_value
      - .address_space:  global
        .offset:         80
        .size:           8
        .value_kind:     global_buffer
      - .offset:         88
        .size:           8
        .value_kind:     by_value
      - .offset:         96
        .size:           4
        .value_kind:     hidden_block_count_x
      - .offset:         100
        .size:           4
        .value_kind:     hidden_block_count_y
      - .offset:         104
        .size:           4
        .value_kind:     hidden_block_count_z
      - .offset:         108
        .size:           2
        .value_kind:     hidden_group_size_x
      - .offset:         110
        .size:           2
        .value_kind:     hidden_group_size_y
      - .offset:         112
        .size:           2
        .value_kind:     hidden_group_size_z
      - .offset:         114
        .size:           2
        .value_kind:     hidden_remainder_x
      - .offset:         116
        .size:           2
        .value_kind:     hidden_remainder_y
      - .offset:         118
        .size:           2
        .value_kind:     hidden_remainder_z
      - .offset:         136
        .size:           8
        .value_kind:     hidden_global_offset_x
      - .offset:         144
        .size:           8
        .value_kind:     hidden_global_offset_y
      - .offset:         152
        .size:           8
        .value_kind:     hidden_global_offset_z
      - .offset:         160
        .size:           2
        .value_kind:     hidden_grid_dims
      - .offset:         216
        .size:           4
        .value_kind:     hidden_dynamic_lds_size
    .group_segment_fixed_size: 0
    .kernarg_segment_align: 8
    .kernarg_segment_size: 352
    .language:       OpenCL C
    .language_version:
      - 2
      - 0
    .max_flat_workgroup_size: 512
    .name:           _ZN9rocsolver6v33100L18getf2_small_kernelILi18E19rocblas_complex_numIfEiiPS3_EEvT1_T3_lS5_lPS5_llPT2_S5_S5_S7_l
    .private_segment_fixed_size: 0
    .sgpr_count:     22
    .sgpr_spill_count: 0
    .symbol:         _ZN9rocsolver6v33100L18getf2_small_kernelILi18E19rocblas_complex_numIfEiiPS3_EEvT1_T3_lS5_lPS5_llPT2_S5_S5_S7_l.kd
    .uniform_work_group_size: 1
    .uses_dynamic_stack: false
    .vgpr_count:     66
    .vgpr_spill_count: 0
    .wavefront_size: 32
  - .args:
      - .offset:         0
        .size:           4
        .value_kind:     by_value
      - .address_space:  global
        .offset:         8
        .size:           8
        .value_kind:     global_buffer
      - .offset:         16
        .size:           8
        .value_kind:     by_value
      - .offset:         24
        .size:           4
        .value_kind:     by_value
      - .offset:         32
        .size:           8
        .value_kind:     by_value
      - .address_space:  global
        .offset:         40
        .size:           8
        .value_kind:     global_buffer
      - .offset:         48
        .size:           4
        .value_kind:     by_value
      - .offset:         52
        .size:           4
        .value_kind:     by_value
      - .offset:         56
        .size:           4
        .value_kind:     hidden_block_count_x
      - .offset:         60
        .size:           4
        .value_kind:     hidden_block_count_y
      - .offset:         64
        .size:           4
        .value_kind:     hidden_block_count_z
      - .offset:         68
        .size:           2
        .value_kind:     hidden_group_size_x
      - .offset:         70
        .size:           2
        .value_kind:     hidden_group_size_y
      - .offset:         72
        .size:           2
        .value_kind:     hidden_group_size_z
      - .offset:         74
        .size:           2
        .value_kind:     hidden_remainder_x
      - .offset:         76
        .size:           2
        .value_kind:     hidden_remainder_y
      - .offset:         78
        .size:           2
        .value_kind:     hidden_remainder_z
      - .offset:         96
        .size:           8
        .value_kind:     hidden_global_offset_x
      - .offset:         104
        .size:           8
        .value_kind:     hidden_global_offset_y
      - .offset:         112
        .size:           8
        .value_kind:     hidden_global_offset_z
      - .offset:         120
        .size:           2
        .value_kind:     hidden_grid_dims
      - .offset:         176
        .size:           4
        .value_kind:     hidden_dynamic_lds_size
    .group_segment_fixed_size: 0
    .kernarg_segment_align: 8
    .kernarg_segment_size: 312
    .language:       OpenCL C
    .language_version:
      - 2
      - 0
    .max_flat_workgroup_size: 512
    .name:           _ZN9rocsolver6v33100L23getf2_npvt_small_kernelILi18E19rocblas_complex_numIfEiiPS3_EEvT1_T3_lS5_lPT2_S5_S5_
    .private_segment_fixed_size: 0
    .sgpr_count:     17
    .sgpr_spill_count: 0
    .symbol:         _ZN9rocsolver6v33100L23getf2_npvt_small_kernelILi18E19rocblas_complex_numIfEiiPS3_EEvT1_T3_lS5_lPT2_S5_S5_.kd
    .uniform_work_group_size: 1
    .uses_dynamic_stack: false
    .vgpr_count:     128
    .vgpr_spill_count: 0
    .wavefront_size: 32
  - .args:
      - .offset:         0
        .size:           4
        .value_kind:     by_value
      - .address_space:  global
        .offset:         8
        .size:           8
        .value_kind:     global_buffer
      - .offset:         16
        .size:           8
        .value_kind:     by_value
      - .offset:         24
        .size:           4
        .value_kind:     by_value
      - .offset:         32
        .size:           8
        .value_kind:     by_value
      - .address_space:  global
        .offset:         40
        .size:           8
        .value_kind:     global_buffer
      - .offset:         48
        .size:           8
        .value_kind:     by_value
      - .offset:         56
        .size:           8
        .value_kind:     by_value
      - .address_space:  global
        .offset:         64
        .size:           8
        .value_kind:     global_buffer
      - .offset:         72
        .size:           4
        .value_kind:     by_value
      - .offset:         76
        .size:           4
        .value_kind:     by_value
      - .address_space:  global
        .offset:         80
        .size:           8
        .value_kind:     global_buffer
      - .offset:         88
        .size:           8
        .value_kind:     by_value
      - .offset:         96
        .size:           4
        .value_kind:     hidden_block_count_x
      - .offset:         100
        .size:           4
        .value_kind:     hidden_block_count_y
      - .offset:         104
        .size:           4
        .value_kind:     hidden_block_count_z
      - .offset:         108
        .size:           2
        .value_kind:     hidden_group_size_x
      - .offset:         110
        .size:           2
        .value_kind:     hidden_group_size_y
      - .offset:         112
        .size:           2
        .value_kind:     hidden_group_size_z
      - .offset:         114
        .size:           2
        .value_kind:     hidden_remainder_x
      - .offset:         116
        .size:           2
        .value_kind:     hidden_remainder_y
      - .offset:         118
        .size:           2
        .value_kind:     hidden_remainder_z
      - .offset:         136
        .size:           8
        .value_kind:     hidden_global_offset_x
      - .offset:         144
        .size:           8
        .value_kind:     hidden_global_offset_y
      - .offset:         152
        .size:           8
        .value_kind:     hidden_global_offset_z
      - .offset:         160
        .size:           2
        .value_kind:     hidden_grid_dims
      - .offset:         216
        .size:           4
        .value_kind:     hidden_dynamic_lds_size
    .group_segment_fixed_size: 0
    .kernarg_segment_align: 8
    .kernarg_segment_size: 352
    .language:       OpenCL C
    .language_version:
      - 2
      - 0
    .max_flat_workgroup_size: 512
    .name:           _ZN9rocsolver6v33100L18getf2_small_kernelILi19E19rocblas_complex_numIfEiiPS3_EEvT1_T3_lS5_lPS5_llPT2_S5_S5_S7_l
    .private_segment_fixed_size: 0
    .sgpr_count:     22
    .sgpr_spill_count: 0
    .symbol:         _ZN9rocsolver6v33100L18getf2_small_kernelILi19E19rocblas_complex_numIfEiiPS3_EEvT1_T3_lS5_lPS5_llPT2_S5_S5_S7_l.kd
    .uniform_work_group_size: 1
    .uses_dynamic_stack: false
    .vgpr_count:     64
    .vgpr_spill_count: 0
    .wavefront_size: 32
  - .args:
      - .offset:         0
        .size:           4
        .value_kind:     by_value
      - .address_space:  global
        .offset:         8
        .size:           8
        .value_kind:     global_buffer
      - .offset:         16
        .size:           8
        .value_kind:     by_value
      - .offset:         24
        .size:           4
        .value_kind:     by_value
      - .offset:         32
        .size:           8
        .value_kind:     by_value
      - .address_space:  global
        .offset:         40
        .size:           8
        .value_kind:     global_buffer
      - .offset:         48
        .size:           4
        .value_kind:     by_value
      - .offset:         52
        .size:           4
        .value_kind:     by_value
      - .offset:         56
        .size:           4
        .value_kind:     hidden_block_count_x
      - .offset:         60
        .size:           4
        .value_kind:     hidden_block_count_y
      - .offset:         64
        .size:           4
        .value_kind:     hidden_block_count_z
      - .offset:         68
        .size:           2
        .value_kind:     hidden_group_size_x
      - .offset:         70
        .size:           2
        .value_kind:     hidden_group_size_y
      - .offset:         72
        .size:           2
        .value_kind:     hidden_group_size_z
      - .offset:         74
        .size:           2
        .value_kind:     hidden_remainder_x
      - .offset:         76
        .size:           2
        .value_kind:     hidden_remainder_y
      - .offset:         78
        .size:           2
        .value_kind:     hidden_remainder_z
      - .offset:         96
        .size:           8
        .value_kind:     hidden_global_offset_x
      - .offset:         104
        .size:           8
        .value_kind:     hidden_global_offset_y
      - .offset:         112
        .size:           8
        .value_kind:     hidden_global_offset_z
      - .offset:         120
        .size:           2
        .value_kind:     hidden_grid_dims
      - .offset:         176
        .size:           4
        .value_kind:     hidden_dynamic_lds_size
    .group_segment_fixed_size: 0
    .kernarg_segment_align: 8
    .kernarg_segment_size: 312
    .language:       OpenCL C
    .language_version:
      - 2
      - 0
    .max_flat_workgroup_size: 512
    .name:           _ZN9rocsolver6v33100L23getf2_npvt_small_kernelILi19E19rocblas_complex_numIfEiiPS3_EEvT1_T3_lS5_lPT2_S5_S5_
    .private_segment_fixed_size: 0
    .sgpr_count:     17
    .sgpr_spill_count: 0
    .symbol:         _ZN9rocsolver6v33100L23getf2_npvt_small_kernelILi19E19rocblas_complex_numIfEiiPS3_EEvT1_T3_lS5_lPT2_S5_S5_.kd
    .uniform_work_group_size: 1
    .uses_dynamic_stack: false
    .vgpr_count:     130
    .vgpr_spill_count: 0
    .wavefront_size: 32
  - .args:
      - .offset:         0
        .size:           4
        .value_kind:     by_value
      - .address_space:  global
        .offset:         8
        .size:           8
        .value_kind:     global_buffer
      - .offset:         16
        .size:           8
        .value_kind:     by_value
      - .offset:         24
        .size:           4
        .value_kind:     by_value
      - .offset:         32
        .size:           8
        .value_kind:     by_value
      - .address_space:  global
        .offset:         40
        .size:           8
        .value_kind:     global_buffer
      - .offset:         48
        .size:           8
        .value_kind:     by_value
      - .offset:         56
        .size:           8
        .value_kind:     by_value
      - .address_space:  global
        .offset:         64
        .size:           8
        .value_kind:     global_buffer
      - .offset:         72
        .size:           4
        .value_kind:     by_value
      - .offset:         76
        .size:           4
        .value_kind:     by_value
      - .address_space:  global
        .offset:         80
        .size:           8
        .value_kind:     global_buffer
      - .offset:         88
        .size:           8
        .value_kind:     by_value
      - .offset:         96
        .size:           4
        .value_kind:     hidden_block_count_x
      - .offset:         100
        .size:           4
        .value_kind:     hidden_block_count_y
      - .offset:         104
        .size:           4
        .value_kind:     hidden_block_count_z
      - .offset:         108
        .size:           2
        .value_kind:     hidden_group_size_x
      - .offset:         110
        .size:           2
        .value_kind:     hidden_group_size_y
      - .offset:         112
        .size:           2
        .value_kind:     hidden_group_size_z
      - .offset:         114
        .size:           2
        .value_kind:     hidden_remainder_x
      - .offset:         116
        .size:           2
        .value_kind:     hidden_remainder_y
      - .offset:         118
        .size:           2
        .value_kind:     hidden_remainder_z
      - .offset:         136
        .size:           8
        .value_kind:     hidden_global_offset_x
      - .offset:         144
        .size:           8
        .value_kind:     hidden_global_offset_y
      - .offset:         152
        .size:           8
        .value_kind:     hidden_global_offset_z
      - .offset:         160
        .size:           2
        .value_kind:     hidden_grid_dims
      - .offset:         216
        .size:           4
        .value_kind:     hidden_dynamic_lds_size
    .group_segment_fixed_size: 0
    .kernarg_segment_align: 8
    .kernarg_segment_size: 352
    .language:       OpenCL C
    .language_version:
      - 2
      - 0
    .max_flat_workgroup_size: 512
    .name:           _ZN9rocsolver6v33100L18getf2_small_kernelILi20E19rocblas_complex_numIfEiiPS3_EEvT1_T3_lS5_lPS5_llPT2_S5_S5_S7_l
    .private_segment_fixed_size: 0
    .sgpr_count:     22
    .sgpr_spill_count: 0
    .symbol:         _ZN9rocsolver6v33100L18getf2_small_kernelILi20E19rocblas_complex_numIfEiiPS3_EEvT1_T3_lS5_lPS5_llPT2_S5_S5_S7_l.kd
    .uniform_work_group_size: 1
    .uses_dynamic_stack: false
    .vgpr_count:     80
    .vgpr_spill_count: 0
    .wavefront_size: 32
  - .args:
      - .offset:         0
        .size:           4
        .value_kind:     by_value
      - .address_space:  global
        .offset:         8
        .size:           8
        .value_kind:     global_buffer
      - .offset:         16
        .size:           8
        .value_kind:     by_value
      - .offset:         24
        .size:           4
        .value_kind:     by_value
      - .offset:         32
        .size:           8
        .value_kind:     by_value
      - .address_space:  global
        .offset:         40
        .size:           8
        .value_kind:     global_buffer
      - .offset:         48
        .size:           4
        .value_kind:     by_value
      - .offset:         52
        .size:           4
        .value_kind:     by_value
      - .offset:         56
        .size:           4
        .value_kind:     hidden_block_count_x
      - .offset:         60
        .size:           4
        .value_kind:     hidden_block_count_y
      - .offset:         64
        .size:           4
        .value_kind:     hidden_block_count_z
      - .offset:         68
        .size:           2
        .value_kind:     hidden_group_size_x
      - .offset:         70
        .size:           2
        .value_kind:     hidden_group_size_y
      - .offset:         72
        .size:           2
        .value_kind:     hidden_group_size_z
      - .offset:         74
        .size:           2
        .value_kind:     hidden_remainder_x
      - .offset:         76
        .size:           2
        .value_kind:     hidden_remainder_y
      - .offset:         78
        .size:           2
        .value_kind:     hidden_remainder_z
      - .offset:         96
        .size:           8
        .value_kind:     hidden_global_offset_x
      - .offset:         104
        .size:           8
        .value_kind:     hidden_global_offset_y
      - .offset:         112
        .size:           8
        .value_kind:     hidden_global_offset_z
      - .offset:         120
        .size:           2
        .value_kind:     hidden_grid_dims
      - .offset:         176
        .size:           4
        .value_kind:     hidden_dynamic_lds_size
    .group_segment_fixed_size: 0
    .kernarg_segment_align: 8
    .kernarg_segment_size: 312
    .language:       OpenCL C
    .language_version:
      - 2
      - 0
    .max_flat_workgroup_size: 512
    .name:           _ZN9rocsolver6v33100L23getf2_npvt_small_kernelILi20E19rocblas_complex_numIfEiiPS3_EEvT1_T3_lS5_lPT2_S5_S5_
    .private_segment_fixed_size: 0
    .sgpr_count:     17
    .sgpr_spill_count: 0
    .symbol:         _ZN9rocsolver6v33100L23getf2_npvt_small_kernelILi20E19rocblas_complex_numIfEiiPS3_EEvT1_T3_lS5_lPT2_S5_S5_.kd
    .uniform_work_group_size: 1
    .uses_dynamic_stack: false
    .vgpr_count:     140
    .vgpr_spill_count: 0
    .wavefront_size: 32
  - .args:
      - .offset:         0
        .size:           4
        .value_kind:     by_value
      - .address_space:  global
        .offset:         8
        .size:           8
        .value_kind:     global_buffer
      - .offset:         16
        .size:           8
        .value_kind:     by_value
      - .offset:         24
        .size:           4
        .value_kind:     by_value
      - .offset:         32
        .size:           8
        .value_kind:     by_value
      - .address_space:  global
        .offset:         40
        .size:           8
        .value_kind:     global_buffer
      - .offset:         48
        .size:           8
        .value_kind:     by_value
      - .offset:         56
        .size:           8
        .value_kind:     by_value
      - .address_space:  global
        .offset:         64
        .size:           8
        .value_kind:     global_buffer
      - .offset:         72
        .size:           4
        .value_kind:     by_value
      - .offset:         76
        .size:           4
        .value_kind:     by_value
      - .address_space:  global
        .offset:         80
        .size:           8
        .value_kind:     global_buffer
      - .offset:         88
        .size:           8
        .value_kind:     by_value
      - .offset:         96
        .size:           4
        .value_kind:     hidden_block_count_x
      - .offset:         100
        .size:           4
        .value_kind:     hidden_block_count_y
      - .offset:         104
        .size:           4
        .value_kind:     hidden_block_count_z
      - .offset:         108
        .size:           2
        .value_kind:     hidden_group_size_x
      - .offset:         110
        .size:           2
        .value_kind:     hidden_group_size_y
      - .offset:         112
        .size:           2
        .value_kind:     hidden_group_size_z
      - .offset:         114
        .size:           2
        .value_kind:     hidden_remainder_x
      - .offset:         116
        .size:           2
        .value_kind:     hidden_remainder_y
      - .offset:         118
        .size:           2
        .value_kind:     hidden_remainder_z
      - .offset:         136
        .size:           8
        .value_kind:     hidden_global_offset_x
      - .offset:         144
        .size:           8
        .value_kind:     hidden_global_offset_y
      - .offset:         152
        .size:           8
        .value_kind:     hidden_global_offset_z
      - .offset:         160
        .size:           2
        .value_kind:     hidden_grid_dims
      - .offset:         216
        .size:           4
        .value_kind:     hidden_dynamic_lds_size
    .group_segment_fixed_size: 0
    .kernarg_segment_align: 8
    .kernarg_segment_size: 352
    .language:       OpenCL C
    .language_version:
      - 2
      - 0
    .max_flat_workgroup_size: 512
    .name:           _ZN9rocsolver6v33100L18getf2_small_kernelILi21E19rocblas_complex_numIfEiiPS3_EEvT1_T3_lS5_lPS5_llPT2_S5_S5_S7_l
    .private_segment_fixed_size: 0
    .sgpr_count:     22
    .sgpr_spill_count: 0
    .symbol:         _ZN9rocsolver6v33100L18getf2_small_kernelILi21E19rocblas_complex_numIfEiiPS3_EEvT1_T3_lS5_lPS5_llPT2_S5_S5_S7_l.kd
    .uniform_work_group_size: 1
    .uses_dynamic_stack: false
    .vgpr_count:     82
    .vgpr_spill_count: 0
    .wavefront_size: 32
  - .args:
      - .offset:         0
        .size:           4
        .value_kind:     by_value
      - .address_space:  global
        .offset:         8
        .size:           8
        .value_kind:     global_buffer
      - .offset:         16
        .size:           8
        .value_kind:     by_value
      - .offset:         24
        .size:           4
        .value_kind:     by_value
      - .offset:         32
        .size:           8
        .value_kind:     by_value
      - .address_space:  global
        .offset:         40
        .size:           8
        .value_kind:     global_buffer
      - .offset:         48
        .size:           4
        .value_kind:     by_value
      - .offset:         52
        .size:           4
        .value_kind:     by_value
      - .offset:         56
        .size:           4
        .value_kind:     hidden_block_count_x
      - .offset:         60
        .size:           4
        .value_kind:     hidden_block_count_y
      - .offset:         64
        .size:           4
        .value_kind:     hidden_block_count_z
      - .offset:         68
        .size:           2
        .value_kind:     hidden_group_size_x
      - .offset:         70
        .size:           2
        .value_kind:     hidden_group_size_y
      - .offset:         72
        .size:           2
        .value_kind:     hidden_group_size_z
      - .offset:         74
        .size:           2
        .value_kind:     hidden_remainder_x
      - .offset:         76
        .size:           2
        .value_kind:     hidden_remainder_y
      - .offset:         78
        .size:           2
        .value_kind:     hidden_remainder_z
      - .offset:         96
        .size:           8
        .value_kind:     hidden_global_offset_x
      - .offset:         104
        .size:           8
        .value_kind:     hidden_global_offset_y
      - .offset:         112
        .size:           8
        .value_kind:     hidden_global_offset_z
      - .offset:         120
        .size:           2
        .value_kind:     hidden_grid_dims
      - .offset:         176
        .size:           4
        .value_kind:     hidden_dynamic_lds_size
    .group_segment_fixed_size: 0
    .kernarg_segment_align: 8
    .kernarg_segment_size: 312
    .language:       OpenCL C
    .language_version:
      - 2
      - 0
    .max_flat_workgroup_size: 512
    .name:           _ZN9rocsolver6v33100L23getf2_npvt_small_kernelILi21E19rocblas_complex_numIfEiiPS3_EEvT1_T3_lS5_lPT2_S5_S5_
    .private_segment_fixed_size: 0
    .sgpr_count:     17
    .sgpr_spill_count: 0
    .symbol:         _ZN9rocsolver6v33100L23getf2_npvt_small_kernelILi21E19rocblas_complex_numIfEiiPS3_EEvT1_T3_lS5_lPT2_S5_S5_.kd
    .uniform_work_group_size: 1
    .uses_dynamic_stack: false
    .vgpr_count:     144
    .vgpr_spill_count: 0
    .wavefront_size: 32
  - .args:
      - .offset:         0
        .size:           4
        .value_kind:     by_value
      - .address_space:  global
        .offset:         8
        .size:           8
        .value_kind:     global_buffer
      - .offset:         16
        .size:           8
        .value_kind:     by_value
      - .offset:         24
        .size:           4
        .value_kind:     by_value
      - .offset:         32
        .size:           8
        .value_kind:     by_value
      - .address_space:  global
        .offset:         40
        .size:           8
        .value_kind:     global_buffer
      - .offset:         48
        .size:           8
        .value_kind:     by_value
      - .offset:         56
        .size:           8
        .value_kind:     by_value
      - .address_space:  global
        .offset:         64
        .size:           8
        .value_kind:     global_buffer
      - .offset:         72
        .size:           4
        .value_kind:     by_value
      - .offset:         76
        .size:           4
        .value_kind:     by_value
      - .address_space:  global
        .offset:         80
        .size:           8
        .value_kind:     global_buffer
      - .offset:         88
        .size:           8
        .value_kind:     by_value
      - .offset:         96
        .size:           4
        .value_kind:     hidden_block_count_x
      - .offset:         100
        .size:           4
        .value_kind:     hidden_block_count_y
      - .offset:         104
        .size:           4
        .value_kind:     hidden_block_count_z
      - .offset:         108
        .size:           2
        .value_kind:     hidden_group_size_x
      - .offset:         110
        .size:           2
        .value_kind:     hidden_group_size_y
      - .offset:         112
        .size:           2
        .value_kind:     hidden_group_size_z
      - .offset:         114
        .size:           2
        .value_kind:     hidden_remainder_x
      - .offset:         116
        .size:           2
        .value_kind:     hidden_remainder_y
      - .offset:         118
        .size:           2
        .value_kind:     hidden_remainder_z
      - .offset:         136
        .size:           8
        .value_kind:     hidden_global_offset_x
      - .offset:         144
        .size:           8
        .value_kind:     hidden_global_offset_y
      - .offset:         152
        .size:           8
        .value_kind:     hidden_global_offset_z
      - .offset:         160
        .size:           2
        .value_kind:     hidden_grid_dims
      - .offset:         216
        .size:           4
        .value_kind:     hidden_dynamic_lds_size
    .group_segment_fixed_size: 0
    .kernarg_segment_align: 8
    .kernarg_segment_size: 352
    .language:       OpenCL C
    .language_version:
      - 2
      - 0
    .max_flat_workgroup_size: 512
    .name:           _ZN9rocsolver6v33100L18getf2_small_kernelILi22E19rocblas_complex_numIfEiiPS3_EEvT1_T3_lS5_lPS5_llPT2_S5_S5_S7_l
    .private_segment_fixed_size: 0
    .sgpr_count:     22
    .sgpr_spill_count: 0
    .symbol:         _ZN9rocsolver6v33100L18getf2_small_kernelILi22E19rocblas_complex_numIfEiiPS3_EEvT1_T3_lS5_lPS5_llPT2_S5_S5_S7_l.kd
    .uniform_work_group_size: 1
    .uses_dynamic_stack: false
    .vgpr_count:     80
    .vgpr_spill_count: 0
    .wavefront_size: 32
  - .args:
      - .offset:         0
        .size:           4
        .value_kind:     by_value
      - .address_space:  global
        .offset:         8
        .size:           8
        .value_kind:     global_buffer
      - .offset:         16
        .size:           8
        .value_kind:     by_value
      - .offset:         24
        .size:           4
        .value_kind:     by_value
      - .offset:         32
        .size:           8
        .value_kind:     by_value
      - .address_space:  global
        .offset:         40
        .size:           8
        .value_kind:     global_buffer
      - .offset:         48
        .size:           4
        .value_kind:     by_value
      - .offset:         52
        .size:           4
        .value_kind:     by_value
      - .offset:         56
        .size:           4
        .value_kind:     hidden_block_count_x
      - .offset:         60
        .size:           4
        .value_kind:     hidden_block_count_y
      - .offset:         64
        .size:           4
        .value_kind:     hidden_block_count_z
      - .offset:         68
        .size:           2
        .value_kind:     hidden_group_size_x
      - .offset:         70
        .size:           2
        .value_kind:     hidden_group_size_y
      - .offset:         72
        .size:           2
        .value_kind:     hidden_group_size_z
      - .offset:         74
        .size:           2
        .value_kind:     hidden_remainder_x
      - .offset:         76
        .size:           2
        .value_kind:     hidden_remainder_y
      - .offset:         78
        .size:           2
        .value_kind:     hidden_remainder_z
      - .offset:         96
        .size:           8
        .value_kind:     hidden_global_offset_x
      - .offset:         104
        .size:           8
        .value_kind:     hidden_global_offset_y
      - .offset:         112
        .size:           8
        .value_kind:     hidden_global_offset_z
      - .offset:         120
        .size:           2
        .value_kind:     hidden_grid_dims
      - .offset:         176
        .size:           4
        .value_kind:     hidden_dynamic_lds_size
    .group_segment_fixed_size: 0
    .kernarg_segment_align: 8
    .kernarg_segment_size: 312
    .language:       OpenCL C
    .language_version:
      - 2
      - 0
    .max_flat_workgroup_size: 512
    .name:           _ZN9rocsolver6v33100L23getf2_npvt_small_kernelILi22E19rocblas_complex_numIfEiiPS3_EEvT1_T3_lS5_lPT2_S5_S5_
    .private_segment_fixed_size: 0
    .sgpr_count:     17
    .sgpr_spill_count: 0
    .symbol:         _ZN9rocsolver6v33100L23getf2_npvt_small_kernelILi22E19rocblas_complex_numIfEiiPS3_EEvT1_T3_lS5_lPT2_S5_S5_.kd
    .uniform_work_group_size: 1
    .uses_dynamic_stack: false
    .vgpr_count:     148
    .vgpr_spill_count: 0
    .wavefront_size: 32
  - .args:
      - .offset:         0
        .size:           4
        .value_kind:     by_value
      - .address_space:  global
        .offset:         8
        .size:           8
        .value_kind:     global_buffer
      - .offset:         16
        .size:           8
        .value_kind:     by_value
      - .offset:         24
        .size:           4
        .value_kind:     by_value
      - .offset:         32
        .size:           8
        .value_kind:     by_value
      - .address_space:  global
        .offset:         40
        .size:           8
        .value_kind:     global_buffer
      - .offset:         48
        .size:           8
        .value_kind:     by_value
      - .offset:         56
        .size:           8
        .value_kind:     by_value
      - .address_space:  global
        .offset:         64
        .size:           8
        .value_kind:     global_buffer
      - .offset:         72
        .size:           4
        .value_kind:     by_value
      - .offset:         76
        .size:           4
        .value_kind:     by_value
      - .address_space:  global
        .offset:         80
        .size:           8
        .value_kind:     global_buffer
      - .offset:         88
        .size:           8
        .value_kind:     by_value
      - .offset:         96
        .size:           4
        .value_kind:     hidden_block_count_x
      - .offset:         100
        .size:           4
        .value_kind:     hidden_block_count_y
      - .offset:         104
        .size:           4
        .value_kind:     hidden_block_count_z
      - .offset:         108
        .size:           2
        .value_kind:     hidden_group_size_x
      - .offset:         110
        .size:           2
        .value_kind:     hidden_group_size_y
      - .offset:         112
        .size:           2
        .value_kind:     hidden_group_size_z
      - .offset:         114
        .size:           2
        .value_kind:     hidden_remainder_x
      - .offset:         116
        .size:           2
        .value_kind:     hidden_remainder_y
      - .offset:         118
        .size:           2
        .value_kind:     hidden_remainder_z
      - .offset:         136
        .size:           8
        .value_kind:     hidden_global_offset_x
      - .offset:         144
        .size:           8
        .value_kind:     hidden_global_offset_y
      - .offset:         152
        .size:           8
        .value_kind:     hidden_global_offset_z
      - .offset:         160
        .size:           2
        .value_kind:     hidden_grid_dims
      - .offset:         216
        .size:           4
        .value_kind:     hidden_dynamic_lds_size
    .group_segment_fixed_size: 0
    .kernarg_segment_align: 8
    .kernarg_segment_size: 352
    .language:       OpenCL C
    .language_version:
      - 2
      - 0
    .max_flat_workgroup_size: 512
    .name:           _ZN9rocsolver6v33100L18getf2_small_kernelILi23E19rocblas_complex_numIfEiiPS3_EEvT1_T3_lS5_lPS5_llPT2_S5_S5_S7_l
    .private_segment_fixed_size: 0
    .sgpr_count:     22
    .sgpr_spill_count: 0
    .symbol:         _ZN9rocsolver6v33100L18getf2_small_kernelILi23E19rocblas_complex_numIfEiiPS3_EEvT1_T3_lS5_lPS5_llPT2_S5_S5_S7_l.kd
    .uniform_work_group_size: 1
    .uses_dynamic_stack: false
    .vgpr_count:     80
    .vgpr_spill_count: 0
    .wavefront_size: 32
  - .args:
      - .offset:         0
        .size:           4
        .value_kind:     by_value
      - .address_space:  global
        .offset:         8
        .size:           8
        .value_kind:     global_buffer
      - .offset:         16
        .size:           8
        .value_kind:     by_value
      - .offset:         24
        .size:           4
        .value_kind:     by_value
      - .offset:         32
        .size:           8
        .value_kind:     by_value
      - .address_space:  global
        .offset:         40
        .size:           8
        .value_kind:     global_buffer
      - .offset:         48
        .size:           4
        .value_kind:     by_value
      - .offset:         52
        .size:           4
        .value_kind:     by_value
      - .offset:         56
        .size:           4
        .value_kind:     hidden_block_count_x
      - .offset:         60
        .size:           4
        .value_kind:     hidden_block_count_y
      - .offset:         64
        .size:           4
        .value_kind:     hidden_block_count_z
      - .offset:         68
        .size:           2
        .value_kind:     hidden_group_size_x
      - .offset:         70
        .size:           2
        .value_kind:     hidden_group_size_y
      - .offset:         72
        .size:           2
        .value_kind:     hidden_group_size_z
      - .offset:         74
        .size:           2
        .value_kind:     hidden_remainder_x
      - .offset:         76
        .size:           2
        .value_kind:     hidden_remainder_y
      - .offset:         78
        .size:           2
        .value_kind:     hidden_remainder_z
      - .offset:         96
        .size:           8
        .value_kind:     hidden_global_offset_x
      - .offset:         104
        .size:           8
        .value_kind:     hidden_global_offset_y
      - .offset:         112
        .size:           8
        .value_kind:     hidden_global_offset_z
      - .offset:         120
        .size:           2
        .value_kind:     hidden_grid_dims
      - .offset:         176
        .size:           4
        .value_kind:     hidden_dynamic_lds_size
    .group_segment_fixed_size: 0
    .kernarg_segment_align: 8
    .kernarg_segment_size: 312
    .language:       OpenCL C
    .language_version:
      - 2
      - 0
    .max_flat_workgroup_size: 512
    .name:           _ZN9rocsolver6v33100L23getf2_npvt_small_kernelILi23E19rocblas_complex_numIfEiiPS3_EEvT1_T3_lS5_lPT2_S5_S5_
    .private_segment_fixed_size: 0
    .sgpr_count:     17
    .sgpr_spill_count: 0
    .symbol:         _ZN9rocsolver6v33100L23getf2_npvt_small_kernelILi23E19rocblas_complex_numIfEiiPS3_EEvT1_T3_lS5_lPT2_S5_S5_.kd
    .uniform_work_group_size: 1
    .uses_dynamic_stack: false
    .vgpr_count:     162
    .vgpr_spill_count: 0
    .wavefront_size: 32
  - .args:
      - .offset:         0
        .size:           4
        .value_kind:     by_value
      - .address_space:  global
        .offset:         8
        .size:           8
        .value_kind:     global_buffer
      - .offset:         16
        .size:           8
        .value_kind:     by_value
      - .offset:         24
        .size:           4
        .value_kind:     by_value
      - .offset:         32
        .size:           8
        .value_kind:     by_value
      - .address_space:  global
        .offset:         40
        .size:           8
        .value_kind:     global_buffer
      - .offset:         48
        .size:           8
        .value_kind:     by_value
      - .offset:         56
        .size:           8
        .value_kind:     by_value
      - .address_space:  global
        .offset:         64
        .size:           8
        .value_kind:     global_buffer
      - .offset:         72
        .size:           4
        .value_kind:     by_value
      - .offset:         76
        .size:           4
        .value_kind:     by_value
      - .address_space:  global
        .offset:         80
        .size:           8
        .value_kind:     global_buffer
      - .offset:         88
        .size:           8
        .value_kind:     by_value
      - .offset:         96
        .size:           4
        .value_kind:     hidden_block_count_x
      - .offset:         100
        .size:           4
        .value_kind:     hidden_block_count_y
      - .offset:         104
        .size:           4
        .value_kind:     hidden_block_count_z
      - .offset:         108
        .size:           2
        .value_kind:     hidden_group_size_x
      - .offset:         110
        .size:           2
        .value_kind:     hidden_group_size_y
      - .offset:         112
        .size:           2
        .value_kind:     hidden_group_size_z
      - .offset:         114
        .size:           2
        .value_kind:     hidden_remainder_x
      - .offset:         116
        .size:           2
        .value_kind:     hidden_remainder_y
      - .offset:         118
        .size:           2
        .value_kind:     hidden_remainder_z
      - .offset:         136
        .size:           8
        .value_kind:     hidden_global_offset_x
      - .offset:         144
        .size:           8
        .value_kind:     hidden_global_offset_y
      - .offset:         152
        .size:           8
        .value_kind:     hidden_global_offset_z
      - .offset:         160
        .size:           2
        .value_kind:     hidden_grid_dims
      - .offset:         216
        .size:           4
        .value_kind:     hidden_dynamic_lds_size
    .group_segment_fixed_size: 0
    .kernarg_segment_align: 8
    .kernarg_segment_size: 352
    .language:       OpenCL C
    .language_version:
      - 2
      - 0
    .max_flat_workgroup_size: 512
    .name:           _ZN9rocsolver6v33100L18getf2_small_kernelILi24E19rocblas_complex_numIfEiiPS3_EEvT1_T3_lS5_lPS5_llPT2_S5_S5_S7_l
    .private_segment_fixed_size: 0
    .sgpr_count:     22
    .sgpr_spill_count: 0
    .symbol:         _ZN9rocsolver6v33100L18getf2_small_kernelILi24E19rocblas_complex_numIfEiiPS3_EEvT1_T3_lS5_lPS5_llPT2_S5_S5_S7_l.kd
    .uniform_work_group_size: 1
    .uses_dynamic_stack: false
    .vgpr_count:     80
    .vgpr_spill_count: 0
    .wavefront_size: 32
  - .args:
      - .offset:         0
        .size:           4
        .value_kind:     by_value
      - .address_space:  global
        .offset:         8
        .size:           8
        .value_kind:     global_buffer
      - .offset:         16
        .size:           8
        .value_kind:     by_value
      - .offset:         24
        .size:           4
        .value_kind:     by_value
      - .offset:         32
        .size:           8
        .value_kind:     by_value
      - .address_space:  global
        .offset:         40
        .size:           8
        .value_kind:     global_buffer
      - .offset:         48
        .size:           4
        .value_kind:     by_value
      - .offset:         52
        .size:           4
        .value_kind:     by_value
      - .offset:         56
        .size:           4
        .value_kind:     hidden_block_count_x
      - .offset:         60
        .size:           4
        .value_kind:     hidden_block_count_y
      - .offset:         64
        .size:           4
        .value_kind:     hidden_block_count_z
      - .offset:         68
        .size:           2
        .value_kind:     hidden_group_size_x
      - .offset:         70
        .size:           2
        .value_kind:     hidden_group_size_y
      - .offset:         72
        .size:           2
        .value_kind:     hidden_group_size_z
      - .offset:         74
        .size:           2
        .value_kind:     hidden_remainder_x
      - .offset:         76
        .size:           2
        .value_kind:     hidden_remainder_y
      - .offset:         78
        .size:           2
        .value_kind:     hidden_remainder_z
      - .offset:         96
        .size:           8
        .value_kind:     hidden_global_offset_x
      - .offset:         104
        .size:           8
        .value_kind:     hidden_global_offset_y
      - .offset:         112
        .size:           8
        .value_kind:     hidden_global_offset_z
      - .offset:         120
        .size:           2
        .value_kind:     hidden_grid_dims
      - .offset:         176
        .size:           4
        .value_kind:     hidden_dynamic_lds_size
    .group_segment_fixed_size: 0
    .kernarg_segment_align: 8
    .kernarg_segment_size: 312
    .language:       OpenCL C
    .language_version:
      - 2
      - 0
    .max_flat_workgroup_size: 512
    .name:           _ZN9rocsolver6v33100L23getf2_npvt_small_kernelILi24E19rocblas_complex_numIfEiiPS3_EEvT1_T3_lS5_lPT2_S5_S5_
    .private_segment_fixed_size: 0
    .sgpr_count:     17
    .sgpr_spill_count: 0
    .symbol:         _ZN9rocsolver6v33100L23getf2_npvt_small_kernelILi24E19rocblas_complex_numIfEiiPS3_EEvT1_T3_lS5_lPT2_S5_S5_.kd
    .uniform_work_group_size: 1
    .uses_dynamic_stack: false
    .vgpr_count:     162
    .vgpr_spill_count: 0
    .wavefront_size: 32
  - .args:
      - .offset:         0
        .size:           4
        .value_kind:     by_value
      - .address_space:  global
        .offset:         8
        .size:           8
        .value_kind:     global_buffer
      - .offset:         16
        .size:           8
        .value_kind:     by_value
      - .offset:         24
        .size:           4
        .value_kind:     by_value
      - .offset:         32
        .size:           8
        .value_kind:     by_value
      - .address_space:  global
        .offset:         40
        .size:           8
        .value_kind:     global_buffer
      - .offset:         48
        .size:           8
        .value_kind:     by_value
      - .offset:         56
        .size:           8
        .value_kind:     by_value
      - .address_space:  global
        .offset:         64
        .size:           8
        .value_kind:     global_buffer
      - .offset:         72
        .size:           4
        .value_kind:     by_value
      - .offset:         76
        .size:           4
        .value_kind:     by_value
      - .address_space:  global
        .offset:         80
        .size:           8
        .value_kind:     global_buffer
      - .offset:         88
        .size:           8
        .value_kind:     by_value
      - .offset:         96
        .size:           4
        .value_kind:     hidden_block_count_x
      - .offset:         100
        .size:           4
        .value_kind:     hidden_block_count_y
      - .offset:         104
        .size:           4
        .value_kind:     hidden_block_count_z
      - .offset:         108
        .size:           2
        .value_kind:     hidden_group_size_x
      - .offset:         110
        .size:           2
        .value_kind:     hidden_group_size_y
      - .offset:         112
        .size:           2
        .value_kind:     hidden_group_size_z
      - .offset:         114
        .size:           2
        .value_kind:     hidden_remainder_x
      - .offset:         116
        .size:           2
        .value_kind:     hidden_remainder_y
      - .offset:         118
        .size:           2
        .value_kind:     hidden_remainder_z
      - .offset:         136
        .size:           8
        .value_kind:     hidden_global_offset_x
      - .offset:         144
        .size:           8
        .value_kind:     hidden_global_offset_y
      - .offset:         152
        .size:           8
        .value_kind:     hidden_global_offset_z
      - .offset:         160
        .size:           2
        .value_kind:     hidden_grid_dims
      - .offset:         216
        .size:           4
        .value_kind:     hidden_dynamic_lds_size
    .group_segment_fixed_size: 0
    .kernarg_segment_align: 8
    .kernarg_segment_size: 352
    .language:       OpenCL C
    .language_version:
      - 2
      - 0
    .max_flat_workgroup_size: 512
    .name:           _ZN9rocsolver6v33100L18getf2_small_kernelILi25E19rocblas_complex_numIfEiiPS3_EEvT1_T3_lS5_lPS5_llPT2_S5_S5_S7_l
    .private_segment_fixed_size: 0
    .sgpr_count:     21
    .sgpr_spill_count: 0
    .symbol:         _ZN9rocsolver6v33100L18getf2_small_kernelILi25E19rocblas_complex_numIfEiiPS3_EEvT1_T3_lS5_lPS5_llPT2_S5_S5_S7_l.kd
    .uniform_work_group_size: 1
    .uses_dynamic_stack: false
    .vgpr_count:     80
    .vgpr_spill_count: 0
    .wavefront_size: 32
  - .args:
      - .offset:         0
        .size:           4
        .value_kind:     by_value
      - .address_space:  global
        .offset:         8
        .size:           8
        .value_kind:     global_buffer
      - .offset:         16
        .size:           8
        .value_kind:     by_value
      - .offset:         24
        .size:           4
        .value_kind:     by_value
      - .offset:         32
        .size:           8
        .value_kind:     by_value
      - .address_space:  global
        .offset:         40
        .size:           8
        .value_kind:     global_buffer
      - .offset:         48
        .size:           4
        .value_kind:     by_value
      - .offset:         52
        .size:           4
        .value_kind:     by_value
      - .offset:         56
        .size:           4
        .value_kind:     hidden_block_count_x
      - .offset:         60
        .size:           4
        .value_kind:     hidden_block_count_y
      - .offset:         64
        .size:           4
        .value_kind:     hidden_block_count_z
      - .offset:         68
        .size:           2
        .value_kind:     hidden_group_size_x
      - .offset:         70
        .size:           2
        .value_kind:     hidden_group_size_y
      - .offset:         72
        .size:           2
        .value_kind:     hidden_group_size_z
      - .offset:         74
        .size:           2
        .value_kind:     hidden_remainder_x
      - .offset:         76
        .size:           2
        .value_kind:     hidden_remainder_y
      - .offset:         78
        .size:           2
        .value_kind:     hidden_remainder_z
      - .offset:         96
        .size:           8
        .value_kind:     hidden_global_offset_x
      - .offset:         104
        .size:           8
        .value_kind:     hidden_global_offset_y
      - .offset:         112
        .size:           8
        .value_kind:     hidden_global_offset_z
      - .offset:         120
        .size:           2
        .value_kind:     hidden_grid_dims
      - .offset:         176
        .size:           4
        .value_kind:     hidden_dynamic_lds_size
    .group_segment_fixed_size: 0
    .kernarg_segment_align: 8
    .kernarg_segment_size: 312
    .language:       OpenCL C
    .language_version:
      - 2
      - 0
    .max_flat_workgroup_size: 512
    .name:           _ZN9rocsolver6v33100L23getf2_npvt_small_kernelILi25E19rocblas_complex_numIfEiiPS3_EEvT1_T3_lS5_lPT2_S5_S5_
    .private_segment_fixed_size: 0
    .sgpr_count:     17
    .sgpr_spill_count: 0
    .symbol:         _ZN9rocsolver6v33100L23getf2_npvt_small_kernelILi25E19rocblas_complex_numIfEiiPS3_EEvT1_T3_lS5_lPT2_S5_S5_.kd
    .uniform_work_group_size: 1
    .uses_dynamic_stack: false
    .vgpr_count:     168
    .vgpr_spill_count: 0
    .wavefront_size: 32
  - .args:
      - .offset:         0
        .size:           4
        .value_kind:     by_value
      - .address_space:  global
        .offset:         8
        .size:           8
        .value_kind:     global_buffer
      - .offset:         16
        .size:           8
        .value_kind:     by_value
      - .offset:         24
        .size:           4
        .value_kind:     by_value
      - .offset:         32
        .size:           8
        .value_kind:     by_value
      - .address_space:  global
        .offset:         40
        .size:           8
        .value_kind:     global_buffer
      - .offset:         48
        .size:           8
        .value_kind:     by_value
      - .offset:         56
        .size:           8
        .value_kind:     by_value
      - .address_space:  global
        .offset:         64
        .size:           8
        .value_kind:     global_buffer
      - .offset:         72
        .size:           4
        .value_kind:     by_value
      - .offset:         76
        .size:           4
        .value_kind:     by_value
      - .address_space:  global
        .offset:         80
        .size:           8
        .value_kind:     global_buffer
      - .offset:         88
        .size:           8
        .value_kind:     by_value
      - .offset:         96
        .size:           4
        .value_kind:     hidden_block_count_x
      - .offset:         100
        .size:           4
        .value_kind:     hidden_block_count_y
      - .offset:         104
        .size:           4
        .value_kind:     hidden_block_count_z
      - .offset:         108
        .size:           2
        .value_kind:     hidden_group_size_x
      - .offset:         110
        .size:           2
        .value_kind:     hidden_group_size_y
      - .offset:         112
        .size:           2
        .value_kind:     hidden_group_size_z
      - .offset:         114
        .size:           2
        .value_kind:     hidden_remainder_x
      - .offset:         116
        .size:           2
        .value_kind:     hidden_remainder_y
      - .offset:         118
        .size:           2
        .value_kind:     hidden_remainder_z
      - .offset:         136
        .size:           8
        .value_kind:     hidden_global_offset_x
      - .offset:         144
        .size:           8
        .value_kind:     hidden_global_offset_y
      - .offset:         152
        .size:           8
        .value_kind:     hidden_global_offset_z
      - .offset:         160
        .size:           2
        .value_kind:     hidden_grid_dims
      - .offset:         216
        .size:           4
        .value_kind:     hidden_dynamic_lds_size
    .group_segment_fixed_size: 0
    .kernarg_segment_align: 8
    .kernarg_segment_size: 352
    .language:       OpenCL C
    .language_version:
      - 2
      - 0
    .max_flat_workgroup_size: 512
    .name:           _ZN9rocsolver6v33100L18getf2_small_kernelILi26E19rocblas_complex_numIfEiiPS3_EEvT1_T3_lS5_lPS5_llPT2_S5_S5_S7_l
    .private_segment_fixed_size: 0
    .sgpr_count:     21
    .sgpr_spill_count: 0
    .symbol:         _ZN9rocsolver6v33100L18getf2_small_kernelILi26E19rocblas_complex_numIfEiiPS3_EEvT1_T3_lS5_lPS5_llPT2_S5_S5_S7_l.kd
    .uniform_work_group_size: 1
    .uses_dynamic_stack: false
    .vgpr_count:     82
    .vgpr_spill_count: 0
    .wavefront_size: 32
  - .args:
      - .offset:         0
        .size:           4
        .value_kind:     by_value
      - .address_space:  global
        .offset:         8
        .size:           8
        .value_kind:     global_buffer
      - .offset:         16
        .size:           8
        .value_kind:     by_value
      - .offset:         24
        .size:           4
        .value_kind:     by_value
      - .offset:         32
        .size:           8
        .value_kind:     by_value
      - .address_space:  global
        .offset:         40
        .size:           8
        .value_kind:     global_buffer
      - .offset:         48
        .size:           4
        .value_kind:     by_value
      - .offset:         52
        .size:           4
        .value_kind:     by_value
      - .offset:         56
        .size:           4
        .value_kind:     hidden_block_count_x
      - .offset:         60
        .size:           4
        .value_kind:     hidden_block_count_y
      - .offset:         64
        .size:           4
        .value_kind:     hidden_block_count_z
      - .offset:         68
        .size:           2
        .value_kind:     hidden_group_size_x
      - .offset:         70
        .size:           2
        .value_kind:     hidden_group_size_y
      - .offset:         72
        .size:           2
        .value_kind:     hidden_group_size_z
      - .offset:         74
        .size:           2
        .value_kind:     hidden_remainder_x
      - .offset:         76
        .size:           2
        .value_kind:     hidden_remainder_y
      - .offset:         78
        .size:           2
        .value_kind:     hidden_remainder_z
      - .offset:         96
        .size:           8
        .value_kind:     hidden_global_offset_x
      - .offset:         104
        .size:           8
        .value_kind:     hidden_global_offset_y
      - .offset:         112
        .size:           8
        .value_kind:     hidden_global_offset_z
      - .offset:         120
        .size:           2
        .value_kind:     hidden_grid_dims
      - .offset:         176
        .size:           4
        .value_kind:     hidden_dynamic_lds_size
    .group_segment_fixed_size: 0
    .kernarg_segment_align: 8
    .kernarg_segment_size: 312
    .language:       OpenCL C
    .language_version:
      - 2
      - 0
    .max_flat_workgroup_size: 512
    .name:           _ZN9rocsolver6v33100L23getf2_npvt_small_kernelILi26E19rocblas_complex_numIfEiiPS3_EEvT1_T3_lS5_lPT2_S5_S5_
    .private_segment_fixed_size: 0
    .sgpr_count:     17
    .sgpr_spill_count: 0
    .symbol:         _ZN9rocsolver6v33100L23getf2_npvt_small_kernelILi26E19rocblas_complex_numIfEiiPS3_EEvT1_T3_lS5_lPT2_S5_S5_.kd
    .uniform_work_group_size: 1
    .uses_dynamic_stack: false
    .vgpr_count:     186
    .vgpr_spill_count: 0
    .wavefront_size: 32
  - .args:
      - .offset:         0
        .size:           4
        .value_kind:     by_value
      - .address_space:  global
        .offset:         8
        .size:           8
        .value_kind:     global_buffer
      - .offset:         16
        .size:           8
        .value_kind:     by_value
      - .offset:         24
        .size:           4
        .value_kind:     by_value
      - .offset:         32
        .size:           8
        .value_kind:     by_value
      - .address_space:  global
        .offset:         40
        .size:           8
        .value_kind:     global_buffer
      - .offset:         48
        .size:           8
        .value_kind:     by_value
      - .offset:         56
        .size:           8
        .value_kind:     by_value
      - .address_space:  global
        .offset:         64
        .size:           8
        .value_kind:     global_buffer
      - .offset:         72
        .size:           4
        .value_kind:     by_value
      - .offset:         76
        .size:           4
        .value_kind:     by_value
      - .address_space:  global
        .offset:         80
        .size:           8
        .value_kind:     global_buffer
      - .offset:         88
        .size:           8
        .value_kind:     by_value
      - .offset:         96
        .size:           4
        .value_kind:     hidden_block_count_x
      - .offset:         100
        .size:           4
        .value_kind:     hidden_block_count_y
      - .offset:         104
        .size:           4
        .value_kind:     hidden_block_count_z
      - .offset:         108
        .size:           2
        .value_kind:     hidden_group_size_x
      - .offset:         110
        .size:           2
        .value_kind:     hidden_group_size_y
      - .offset:         112
        .size:           2
        .value_kind:     hidden_group_size_z
      - .offset:         114
        .size:           2
        .value_kind:     hidden_remainder_x
      - .offset:         116
        .size:           2
        .value_kind:     hidden_remainder_y
      - .offset:         118
        .size:           2
        .value_kind:     hidden_remainder_z
      - .offset:         136
        .size:           8
        .value_kind:     hidden_global_offset_x
      - .offset:         144
        .size:           8
        .value_kind:     hidden_global_offset_y
      - .offset:         152
        .size:           8
        .value_kind:     hidden_global_offset_z
      - .offset:         160
        .size:           2
        .value_kind:     hidden_grid_dims
      - .offset:         216
        .size:           4
        .value_kind:     hidden_dynamic_lds_size
    .group_segment_fixed_size: 0
    .kernarg_segment_align: 8
    .kernarg_segment_size: 352
    .language:       OpenCL C
    .language_version:
      - 2
      - 0
    .max_flat_workgroup_size: 512
    .name:           _ZN9rocsolver6v33100L18getf2_small_kernelILi27E19rocblas_complex_numIfEiiPS3_EEvT1_T3_lS5_lPS5_llPT2_S5_S5_S7_l
    .private_segment_fixed_size: 0
    .sgpr_count:     22
    .sgpr_spill_count: 0
    .symbol:         _ZN9rocsolver6v33100L18getf2_small_kernelILi27E19rocblas_complex_numIfEiiPS3_EEvT1_T3_lS5_lPS5_llPT2_S5_S5_S7_l.kd
    .uniform_work_group_size: 1
    .uses_dynamic_stack: false
    .vgpr_count:     80
    .vgpr_spill_count: 0
    .wavefront_size: 32
  - .args:
      - .offset:         0
        .size:           4
        .value_kind:     by_value
      - .address_space:  global
        .offset:         8
        .size:           8
        .value_kind:     global_buffer
      - .offset:         16
        .size:           8
        .value_kind:     by_value
      - .offset:         24
        .size:           4
        .value_kind:     by_value
      - .offset:         32
        .size:           8
        .value_kind:     by_value
      - .address_space:  global
        .offset:         40
        .size:           8
        .value_kind:     global_buffer
      - .offset:         48
        .size:           4
        .value_kind:     by_value
      - .offset:         52
        .size:           4
        .value_kind:     by_value
      - .offset:         56
        .size:           4
        .value_kind:     hidden_block_count_x
      - .offset:         60
        .size:           4
        .value_kind:     hidden_block_count_y
      - .offset:         64
        .size:           4
        .value_kind:     hidden_block_count_z
      - .offset:         68
        .size:           2
        .value_kind:     hidden_group_size_x
      - .offset:         70
        .size:           2
        .value_kind:     hidden_group_size_y
      - .offset:         72
        .size:           2
        .value_kind:     hidden_group_size_z
      - .offset:         74
        .size:           2
        .value_kind:     hidden_remainder_x
      - .offset:         76
        .size:           2
        .value_kind:     hidden_remainder_y
      - .offset:         78
        .size:           2
        .value_kind:     hidden_remainder_z
      - .offset:         96
        .size:           8
        .value_kind:     hidden_global_offset_x
      - .offset:         104
        .size:           8
        .value_kind:     hidden_global_offset_y
      - .offset:         112
        .size:           8
        .value_kind:     hidden_global_offset_z
      - .offset:         120
        .size:           2
        .value_kind:     hidden_grid_dims
      - .offset:         176
        .size:           4
        .value_kind:     hidden_dynamic_lds_size
    .group_segment_fixed_size: 0
    .kernarg_segment_align: 8
    .kernarg_segment_size: 312
    .language:       OpenCL C
    .language_version:
      - 2
      - 0
    .max_flat_workgroup_size: 512
    .name:           _ZN9rocsolver6v33100L23getf2_npvt_small_kernelILi27E19rocblas_complex_numIfEiiPS3_EEvT1_T3_lS5_lPT2_S5_S5_
    .private_segment_fixed_size: 0
    .sgpr_count:     17
    .sgpr_spill_count: 0
    .symbol:         _ZN9rocsolver6v33100L23getf2_npvt_small_kernelILi27E19rocblas_complex_numIfEiiPS3_EEvT1_T3_lS5_lPT2_S5_S5_.kd
    .uniform_work_group_size: 1
    .uses_dynamic_stack: false
    .vgpr_count:     192
    .vgpr_spill_count: 0
    .wavefront_size: 32
  - .args:
      - .offset:         0
        .size:           4
        .value_kind:     by_value
      - .address_space:  global
        .offset:         8
        .size:           8
        .value_kind:     global_buffer
      - .offset:         16
        .size:           8
        .value_kind:     by_value
      - .offset:         24
        .size:           4
        .value_kind:     by_value
      - .offset:         32
        .size:           8
        .value_kind:     by_value
      - .address_space:  global
        .offset:         40
        .size:           8
        .value_kind:     global_buffer
      - .offset:         48
        .size:           8
        .value_kind:     by_value
      - .offset:         56
        .size:           8
        .value_kind:     by_value
      - .address_space:  global
        .offset:         64
        .size:           8
        .value_kind:     global_buffer
      - .offset:         72
        .size:           4
        .value_kind:     by_value
      - .offset:         76
        .size:           4
        .value_kind:     by_value
      - .address_space:  global
        .offset:         80
        .size:           8
        .value_kind:     global_buffer
      - .offset:         88
        .size:           8
        .value_kind:     by_value
      - .offset:         96
        .size:           4
        .value_kind:     hidden_block_count_x
      - .offset:         100
        .size:           4
        .value_kind:     hidden_block_count_y
      - .offset:         104
        .size:           4
        .value_kind:     hidden_block_count_z
      - .offset:         108
        .size:           2
        .value_kind:     hidden_group_size_x
      - .offset:         110
        .size:           2
        .value_kind:     hidden_group_size_y
      - .offset:         112
        .size:           2
        .value_kind:     hidden_group_size_z
      - .offset:         114
        .size:           2
        .value_kind:     hidden_remainder_x
      - .offset:         116
        .size:           2
        .value_kind:     hidden_remainder_y
      - .offset:         118
        .size:           2
        .value_kind:     hidden_remainder_z
      - .offset:         136
        .size:           8
        .value_kind:     hidden_global_offset_x
      - .offset:         144
        .size:           8
        .value_kind:     hidden_global_offset_y
      - .offset:         152
        .size:           8
        .value_kind:     hidden_global_offset_z
      - .offset:         160
        .size:           2
        .value_kind:     hidden_grid_dims
      - .offset:         216
        .size:           4
        .value_kind:     hidden_dynamic_lds_size
    .group_segment_fixed_size: 0
    .kernarg_segment_align: 8
    .kernarg_segment_size: 352
    .language:       OpenCL C
    .language_version:
      - 2
      - 0
    .max_flat_workgroup_size: 512
    .name:           _ZN9rocsolver6v33100L18getf2_small_kernelILi28E19rocblas_complex_numIfEiiPS3_EEvT1_T3_lS5_lPS5_llPT2_S5_S5_S7_l
    .private_segment_fixed_size: 0
    .sgpr_count:     21
    .sgpr_spill_count: 0
    .symbol:         _ZN9rocsolver6v33100L18getf2_small_kernelILi28E19rocblas_complex_numIfEiiPS3_EEvT1_T3_lS5_lPS5_llPT2_S5_S5_S7_l.kd
    .uniform_work_group_size: 1
    .uses_dynamic_stack: false
    .vgpr_count:     96
    .vgpr_spill_count: 0
    .wavefront_size: 32
  - .args:
      - .offset:         0
        .size:           4
        .value_kind:     by_value
      - .address_space:  global
        .offset:         8
        .size:           8
        .value_kind:     global_buffer
      - .offset:         16
        .size:           8
        .value_kind:     by_value
      - .offset:         24
        .size:           4
        .value_kind:     by_value
      - .offset:         32
        .size:           8
        .value_kind:     by_value
      - .address_space:  global
        .offset:         40
        .size:           8
        .value_kind:     global_buffer
      - .offset:         48
        .size:           4
        .value_kind:     by_value
      - .offset:         52
        .size:           4
        .value_kind:     by_value
      - .offset:         56
        .size:           4
        .value_kind:     hidden_block_count_x
      - .offset:         60
        .size:           4
        .value_kind:     hidden_block_count_y
      - .offset:         64
        .size:           4
        .value_kind:     hidden_block_count_z
      - .offset:         68
        .size:           2
        .value_kind:     hidden_group_size_x
      - .offset:         70
        .size:           2
        .value_kind:     hidden_group_size_y
      - .offset:         72
        .size:           2
        .value_kind:     hidden_group_size_z
      - .offset:         74
        .size:           2
        .value_kind:     hidden_remainder_x
      - .offset:         76
        .size:           2
        .value_kind:     hidden_remainder_y
      - .offset:         78
        .size:           2
        .value_kind:     hidden_remainder_z
      - .offset:         96
        .size:           8
        .value_kind:     hidden_global_offset_x
      - .offset:         104
        .size:           8
        .value_kind:     hidden_global_offset_y
      - .offset:         112
        .size:           8
        .value_kind:     hidden_global_offset_z
      - .offset:         120
        .size:           2
        .value_kind:     hidden_grid_dims
      - .offset:         176
        .size:           4
        .value_kind:     hidden_dynamic_lds_size
    .group_segment_fixed_size: 0
    .kernarg_segment_align: 8
    .kernarg_segment_size: 312
    .language:       OpenCL C
    .language_version:
      - 2
      - 0
    .max_flat_workgroup_size: 512
    .name:           _ZN9rocsolver6v33100L23getf2_npvt_small_kernelILi28E19rocblas_complex_numIfEiiPS3_EEvT1_T3_lS5_lPT2_S5_S5_
    .private_segment_fixed_size: 0
    .sgpr_count:     17
    .sgpr_spill_count: 0
    .symbol:         _ZN9rocsolver6v33100L23getf2_npvt_small_kernelILi28E19rocblas_complex_numIfEiiPS3_EEvT1_T3_lS5_lPT2_S5_S5_.kd
    .uniform_work_group_size: 1
    .uses_dynamic_stack: false
    .vgpr_count:     192
    .vgpr_spill_count: 0
    .wavefront_size: 32
  - .args:
      - .offset:         0
        .size:           4
        .value_kind:     by_value
      - .address_space:  global
        .offset:         8
        .size:           8
        .value_kind:     global_buffer
      - .offset:         16
        .size:           8
        .value_kind:     by_value
      - .offset:         24
        .size:           4
        .value_kind:     by_value
      - .offset:         32
        .size:           8
        .value_kind:     by_value
      - .address_space:  global
        .offset:         40
        .size:           8
        .value_kind:     global_buffer
      - .offset:         48
        .size:           8
        .value_kind:     by_value
      - .offset:         56
        .size:           8
        .value_kind:     by_value
      - .address_space:  global
        .offset:         64
        .size:           8
        .value_kind:     global_buffer
      - .offset:         72
        .size:           4
        .value_kind:     by_value
      - .offset:         76
        .size:           4
        .value_kind:     by_value
      - .address_space:  global
        .offset:         80
        .size:           8
        .value_kind:     global_buffer
      - .offset:         88
        .size:           8
        .value_kind:     by_value
      - .offset:         96
        .size:           4
        .value_kind:     hidden_block_count_x
      - .offset:         100
        .size:           4
        .value_kind:     hidden_block_count_y
      - .offset:         104
        .size:           4
        .value_kind:     hidden_block_count_z
      - .offset:         108
        .size:           2
        .value_kind:     hidden_group_size_x
      - .offset:         110
        .size:           2
        .value_kind:     hidden_group_size_y
      - .offset:         112
        .size:           2
        .value_kind:     hidden_group_size_z
      - .offset:         114
        .size:           2
        .value_kind:     hidden_remainder_x
      - .offset:         116
        .size:           2
        .value_kind:     hidden_remainder_y
      - .offset:         118
        .size:           2
        .value_kind:     hidden_remainder_z
      - .offset:         136
        .size:           8
        .value_kind:     hidden_global_offset_x
      - .offset:         144
        .size:           8
        .value_kind:     hidden_global_offset_y
      - .offset:         152
        .size:           8
        .value_kind:     hidden_global_offset_z
      - .offset:         160
        .size:           2
        .value_kind:     hidden_grid_dims
      - .offset:         216
        .size:           4
        .value_kind:     hidden_dynamic_lds_size
    .group_segment_fixed_size: 0
    .kernarg_segment_align: 8
    .kernarg_segment_size: 352
    .language:       OpenCL C
    .language_version:
      - 2
      - 0
    .max_flat_workgroup_size: 512
    .name:           _ZN9rocsolver6v33100L18getf2_small_kernelILi29E19rocblas_complex_numIfEiiPS3_EEvT1_T3_lS5_lPS5_llPT2_S5_S5_S7_l
    .private_segment_fixed_size: 0
    .sgpr_count:     21
    .sgpr_spill_count: 0
    .symbol:         _ZN9rocsolver6v33100L18getf2_small_kernelILi29E19rocblas_complex_numIfEiiPS3_EEvT1_T3_lS5_lPS5_llPT2_S5_S5_S7_l.kd
    .uniform_work_group_size: 1
    .uses_dynamic_stack: false
    .vgpr_count:     98
    .vgpr_spill_count: 0
    .wavefront_size: 32
  - .args:
      - .offset:         0
        .size:           4
        .value_kind:     by_value
      - .address_space:  global
        .offset:         8
        .size:           8
        .value_kind:     global_buffer
      - .offset:         16
        .size:           8
        .value_kind:     by_value
      - .offset:         24
        .size:           4
        .value_kind:     by_value
      - .offset:         32
        .size:           8
        .value_kind:     by_value
      - .address_space:  global
        .offset:         40
        .size:           8
        .value_kind:     global_buffer
      - .offset:         48
        .size:           4
        .value_kind:     by_value
      - .offset:         52
        .size:           4
        .value_kind:     by_value
      - .offset:         56
        .size:           4
        .value_kind:     hidden_block_count_x
      - .offset:         60
        .size:           4
        .value_kind:     hidden_block_count_y
      - .offset:         64
        .size:           4
        .value_kind:     hidden_block_count_z
      - .offset:         68
        .size:           2
        .value_kind:     hidden_group_size_x
      - .offset:         70
        .size:           2
        .value_kind:     hidden_group_size_y
      - .offset:         72
        .size:           2
        .value_kind:     hidden_group_size_z
      - .offset:         74
        .size:           2
        .value_kind:     hidden_remainder_x
      - .offset:         76
        .size:           2
        .value_kind:     hidden_remainder_y
      - .offset:         78
        .size:           2
        .value_kind:     hidden_remainder_z
      - .offset:         96
        .size:           8
        .value_kind:     hidden_global_offset_x
      - .offset:         104
        .size:           8
        .value_kind:     hidden_global_offset_y
      - .offset:         112
        .size:           8
        .value_kind:     hidden_global_offset_z
      - .offset:         120
        .size:           2
        .value_kind:     hidden_grid_dims
      - .offset:         176
        .size:           4
        .value_kind:     hidden_dynamic_lds_size
    .group_segment_fixed_size: 0
    .kernarg_segment_align: 8
    .kernarg_segment_size: 312
    .language:       OpenCL C
    .language_version:
      - 2
      - 0
    .max_flat_workgroup_size: 512
    .name:           _ZN9rocsolver6v33100L23getf2_npvt_small_kernelILi29E19rocblas_complex_numIfEiiPS3_EEvT1_T3_lS5_lPT2_S5_S5_
    .private_segment_fixed_size: 0
    .sgpr_count:     17
    .sgpr_spill_count: 0
    .symbol:         _ZN9rocsolver6v33100L23getf2_npvt_small_kernelILi29E19rocblas_complex_numIfEiiPS3_EEvT1_T3_lS5_lPT2_S5_S5_.kd
    .uniform_work_group_size: 1
    .uses_dynamic_stack: false
    .vgpr_count:     194
    .vgpr_spill_count: 0
    .wavefront_size: 32
  - .args:
      - .offset:         0
        .size:           4
        .value_kind:     by_value
      - .address_space:  global
        .offset:         8
        .size:           8
        .value_kind:     global_buffer
      - .offset:         16
        .size:           8
        .value_kind:     by_value
      - .offset:         24
        .size:           4
        .value_kind:     by_value
      - .offset:         32
        .size:           8
        .value_kind:     by_value
      - .address_space:  global
        .offset:         40
        .size:           8
        .value_kind:     global_buffer
      - .offset:         48
        .size:           8
        .value_kind:     by_value
      - .offset:         56
        .size:           8
        .value_kind:     by_value
      - .address_space:  global
        .offset:         64
        .size:           8
        .value_kind:     global_buffer
      - .offset:         72
        .size:           4
        .value_kind:     by_value
      - .offset:         76
        .size:           4
        .value_kind:     by_value
      - .address_space:  global
        .offset:         80
        .size:           8
        .value_kind:     global_buffer
      - .offset:         88
        .size:           8
        .value_kind:     by_value
      - .offset:         96
        .size:           4
        .value_kind:     hidden_block_count_x
      - .offset:         100
        .size:           4
        .value_kind:     hidden_block_count_y
      - .offset:         104
        .size:           4
        .value_kind:     hidden_block_count_z
      - .offset:         108
        .size:           2
        .value_kind:     hidden_group_size_x
      - .offset:         110
        .size:           2
        .value_kind:     hidden_group_size_y
      - .offset:         112
        .size:           2
        .value_kind:     hidden_group_size_z
      - .offset:         114
        .size:           2
        .value_kind:     hidden_remainder_x
      - .offset:         116
        .size:           2
        .value_kind:     hidden_remainder_y
      - .offset:         118
        .size:           2
        .value_kind:     hidden_remainder_z
      - .offset:         136
        .size:           8
        .value_kind:     hidden_global_offset_x
      - .offset:         144
        .size:           8
        .value_kind:     hidden_global_offset_y
      - .offset:         152
        .size:           8
        .value_kind:     hidden_global_offset_z
      - .offset:         160
        .size:           2
        .value_kind:     hidden_grid_dims
      - .offset:         216
        .size:           4
        .value_kind:     hidden_dynamic_lds_size
    .group_segment_fixed_size: 0
    .kernarg_segment_align: 8
    .kernarg_segment_size: 352
    .language:       OpenCL C
    .language_version:
      - 2
      - 0
    .max_flat_workgroup_size: 512
    .name:           _ZN9rocsolver6v33100L18getf2_small_kernelILi30E19rocblas_complex_numIfEiiPS3_EEvT1_T3_lS5_lPS5_llPT2_S5_S5_S7_l
    .private_segment_fixed_size: 0
    .sgpr_count:     21
    .sgpr_spill_count: 0
    .symbol:         _ZN9rocsolver6v33100L18getf2_small_kernelILi30E19rocblas_complex_numIfEiiPS3_EEvT1_T3_lS5_lPS5_llPT2_S5_S5_S7_l.kd
    .uniform_work_group_size: 1
    .uses_dynamic_stack: false
    .vgpr_count:     96
    .vgpr_spill_count: 0
    .wavefront_size: 32
  - .args:
      - .offset:         0
        .size:           4
        .value_kind:     by_value
      - .address_space:  global
        .offset:         8
        .size:           8
        .value_kind:     global_buffer
      - .offset:         16
        .size:           8
        .value_kind:     by_value
      - .offset:         24
        .size:           4
        .value_kind:     by_value
      - .offset:         32
        .size:           8
        .value_kind:     by_value
      - .address_space:  global
        .offset:         40
        .size:           8
        .value_kind:     global_buffer
      - .offset:         48
        .size:           4
        .value_kind:     by_value
      - .offset:         52
        .size:           4
        .value_kind:     by_value
      - .offset:         56
        .size:           4
        .value_kind:     hidden_block_count_x
      - .offset:         60
        .size:           4
        .value_kind:     hidden_block_count_y
      - .offset:         64
        .size:           4
        .value_kind:     hidden_block_count_z
      - .offset:         68
        .size:           2
        .value_kind:     hidden_group_size_x
      - .offset:         70
        .size:           2
        .value_kind:     hidden_group_size_y
      - .offset:         72
        .size:           2
        .value_kind:     hidden_group_size_z
      - .offset:         74
        .size:           2
        .value_kind:     hidden_remainder_x
      - .offset:         76
        .size:           2
        .value_kind:     hidden_remainder_y
      - .offset:         78
        .size:           2
        .value_kind:     hidden_remainder_z
      - .offset:         96
        .size:           8
        .value_kind:     hidden_global_offset_x
      - .offset:         104
        .size:           8
        .value_kind:     hidden_global_offset_y
      - .offset:         112
        .size:           8
        .value_kind:     hidden_global_offset_z
      - .offset:         120
        .size:           2
        .value_kind:     hidden_grid_dims
      - .offset:         176
        .size:           4
        .value_kind:     hidden_dynamic_lds_size
    .group_segment_fixed_size: 0
    .kernarg_segment_align: 8
    .kernarg_segment_size: 312
    .language:       OpenCL C
    .language_version:
      - 2
      - 0
    .max_flat_workgroup_size: 512
    .name:           _ZN9rocsolver6v33100L23getf2_npvt_small_kernelILi30E19rocblas_complex_numIfEiiPS3_EEvT1_T3_lS5_lPT2_S5_S5_
    .private_segment_fixed_size: 0
    .sgpr_count:     17
    .sgpr_spill_count: 0
    .symbol:         _ZN9rocsolver6v33100L23getf2_npvt_small_kernelILi30E19rocblas_complex_numIfEiiPS3_EEvT1_T3_lS5_lPT2_S5_S5_.kd
    .uniform_work_group_size: 1
    .uses_dynamic_stack: false
    .vgpr_count:     196
    .vgpr_spill_count: 0
    .wavefront_size: 32
  - .args:
      - .offset:         0
        .size:           4
        .value_kind:     by_value
      - .address_space:  global
        .offset:         8
        .size:           8
        .value_kind:     global_buffer
      - .offset:         16
        .size:           8
        .value_kind:     by_value
      - .offset:         24
        .size:           4
        .value_kind:     by_value
      - .offset:         32
        .size:           8
        .value_kind:     by_value
      - .address_space:  global
        .offset:         40
        .size:           8
        .value_kind:     global_buffer
      - .offset:         48
        .size:           8
        .value_kind:     by_value
      - .offset:         56
        .size:           8
        .value_kind:     by_value
      - .address_space:  global
        .offset:         64
        .size:           8
        .value_kind:     global_buffer
      - .offset:         72
        .size:           4
        .value_kind:     by_value
      - .offset:         76
        .size:           4
        .value_kind:     by_value
      - .address_space:  global
        .offset:         80
        .size:           8
        .value_kind:     global_buffer
      - .offset:         88
        .size:           8
        .value_kind:     by_value
      - .offset:         96
        .size:           4
        .value_kind:     hidden_block_count_x
      - .offset:         100
        .size:           4
        .value_kind:     hidden_block_count_y
      - .offset:         104
        .size:           4
        .value_kind:     hidden_block_count_z
      - .offset:         108
        .size:           2
        .value_kind:     hidden_group_size_x
      - .offset:         110
        .size:           2
        .value_kind:     hidden_group_size_y
      - .offset:         112
        .size:           2
        .value_kind:     hidden_group_size_z
      - .offset:         114
        .size:           2
        .value_kind:     hidden_remainder_x
      - .offset:         116
        .size:           2
        .value_kind:     hidden_remainder_y
      - .offset:         118
        .size:           2
        .value_kind:     hidden_remainder_z
      - .offset:         136
        .size:           8
        .value_kind:     hidden_global_offset_x
      - .offset:         144
        .size:           8
        .value_kind:     hidden_global_offset_y
      - .offset:         152
        .size:           8
        .value_kind:     hidden_global_offset_z
      - .offset:         160
        .size:           2
        .value_kind:     hidden_grid_dims
      - .offset:         216
        .size:           4
        .value_kind:     hidden_dynamic_lds_size
    .group_segment_fixed_size: 0
    .kernarg_segment_align: 8
    .kernarg_segment_size: 352
    .language:       OpenCL C
    .language_version:
      - 2
      - 0
    .max_flat_workgroup_size: 512
    .name:           _ZN9rocsolver6v33100L18getf2_small_kernelILi31E19rocblas_complex_numIfEiiPS3_EEvT1_T3_lS5_lPS5_llPT2_S5_S5_S7_l
    .private_segment_fixed_size: 0
    .sgpr_count:     21
    .sgpr_spill_count: 0
    .symbol:         _ZN9rocsolver6v33100L18getf2_small_kernelILi31E19rocblas_complex_numIfEiiPS3_EEvT1_T3_lS5_lPS5_llPT2_S5_S5_S7_l.kd
    .uniform_work_group_size: 1
    .uses_dynamic_stack: false
    .vgpr_count:     96
    .vgpr_spill_count: 0
    .wavefront_size: 32
  - .args:
      - .offset:         0
        .size:           4
        .value_kind:     by_value
      - .address_space:  global
        .offset:         8
        .size:           8
        .value_kind:     global_buffer
      - .offset:         16
        .size:           8
        .value_kind:     by_value
      - .offset:         24
        .size:           4
        .value_kind:     by_value
      - .offset:         32
        .size:           8
        .value_kind:     by_value
      - .address_space:  global
        .offset:         40
        .size:           8
        .value_kind:     global_buffer
      - .offset:         48
        .size:           4
        .value_kind:     by_value
      - .offset:         52
        .size:           4
        .value_kind:     by_value
      - .offset:         56
        .size:           4
        .value_kind:     hidden_block_count_x
      - .offset:         60
        .size:           4
        .value_kind:     hidden_block_count_y
      - .offset:         64
        .size:           4
        .value_kind:     hidden_block_count_z
      - .offset:         68
        .size:           2
        .value_kind:     hidden_group_size_x
      - .offset:         70
        .size:           2
        .value_kind:     hidden_group_size_y
      - .offset:         72
        .size:           2
        .value_kind:     hidden_group_size_z
      - .offset:         74
        .size:           2
        .value_kind:     hidden_remainder_x
      - .offset:         76
        .size:           2
        .value_kind:     hidden_remainder_y
      - .offset:         78
        .size:           2
        .value_kind:     hidden_remainder_z
      - .offset:         96
        .size:           8
        .value_kind:     hidden_global_offset_x
      - .offset:         104
        .size:           8
        .value_kind:     hidden_global_offset_y
      - .offset:         112
        .size:           8
        .value_kind:     hidden_global_offset_z
      - .offset:         120
        .size:           2
        .value_kind:     hidden_grid_dims
      - .offset:         176
        .size:           4
        .value_kind:     hidden_dynamic_lds_size
    .group_segment_fixed_size: 0
    .kernarg_segment_align: 8
    .kernarg_segment_size: 312
    .language:       OpenCL C
    .language_version:
      - 2
      - 0
    .max_flat_workgroup_size: 512
    .name:           _ZN9rocsolver6v33100L23getf2_npvt_small_kernelILi31E19rocblas_complex_numIfEiiPS3_EEvT1_T3_lS5_lPT2_S5_S5_
    .private_segment_fixed_size: 0
    .sgpr_count:     17
    .sgpr_spill_count: 0
    .symbol:         _ZN9rocsolver6v33100L23getf2_npvt_small_kernelILi31E19rocblas_complex_numIfEiiPS3_EEvT1_T3_lS5_lPT2_S5_S5_.kd
    .uniform_work_group_size: 1
    .uses_dynamic_stack: false
    .vgpr_count:     210
    .vgpr_spill_count: 0
    .wavefront_size: 32
  - .args:
      - .offset:         0
        .size:           4
        .value_kind:     by_value
      - .address_space:  global
        .offset:         8
        .size:           8
        .value_kind:     global_buffer
      - .offset:         16
        .size:           8
        .value_kind:     by_value
      - .offset:         24
        .size:           4
        .value_kind:     by_value
      - .offset:         32
        .size:           8
        .value_kind:     by_value
      - .address_space:  global
        .offset:         40
        .size:           8
        .value_kind:     global_buffer
      - .offset:         48
        .size:           8
        .value_kind:     by_value
      - .offset:         56
        .size:           8
        .value_kind:     by_value
      - .address_space:  global
        .offset:         64
        .size:           8
        .value_kind:     global_buffer
      - .offset:         72
        .size:           4
        .value_kind:     by_value
      - .offset:         76
        .size:           4
        .value_kind:     by_value
      - .address_space:  global
        .offset:         80
        .size:           8
        .value_kind:     global_buffer
      - .offset:         88
        .size:           8
        .value_kind:     by_value
      - .offset:         96
        .size:           4
        .value_kind:     hidden_block_count_x
      - .offset:         100
        .size:           4
        .value_kind:     hidden_block_count_y
      - .offset:         104
        .size:           4
        .value_kind:     hidden_block_count_z
      - .offset:         108
        .size:           2
        .value_kind:     hidden_group_size_x
      - .offset:         110
        .size:           2
        .value_kind:     hidden_group_size_y
      - .offset:         112
        .size:           2
        .value_kind:     hidden_group_size_z
      - .offset:         114
        .size:           2
        .value_kind:     hidden_remainder_x
      - .offset:         116
        .size:           2
        .value_kind:     hidden_remainder_y
      - .offset:         118
        .size:           2
        .value_kind:     hidden_remainder_z
      - .offset:         136
        .size:           8
        .value_kind:     hidden_global_offset_x
      - .offset:         144
        .size:           8
        .value_kind:     hidden_global_offset_y
      - .offset:         152
        .size:           8
        .value_kind:     hidden_global_offset_z
      - .offset:         160
        .size:           2
        .value_kind:     hidden_grid_dims
      - .offset:         216
        .size:           4
        .value_kind:     hidden_dynamic_lds_size
    .group_segment_fixed_size: 0
    .kernarg_segment_align: 8
    .kernarg_segment_size: 352
    .language:       OpenCL C
    .language_version:
      - 2
      - 0
    .max_flat_workgroup_size: 512
    .name:           _ZN9rocsolver6v33100L18getf2_small_kernelILi32E19rocblas_complex_numIfEiiPS3_EEvT1_T3_lS5_lPS5_llPT2_S5_S5_S7_l
    .private_segment_fixed_size: 0
    .sgpr_count:     21
    .sgpr_spill_count: 0
    .symbol:         _ZN9rocsolver6v33100L18getf2_small_kernelILi32E19rocblas_complex_numIfEiiPS3_EEvT1_T3_lS5_lPS5_llPT2_S5_S5_S7_l.kd
    .uniform_work_group_size: 1
    .uses_dynamic_stack: false
    .vgpr_count:     96
    .vgpr_spill_count: 0
    .wavefront_size: 32
  - .args:
      - .offset:         0
        .size:           4
        .value_kind:     by_value
      - .address_space:  global
        .offset:         8
        .size:           8
        .value_kind:     global_buffer
      - .offset:         16
        .size:           8
        .value_kind:     by_value
      - .offset:         24
        .size:           4
        .value_kind:     by_value
      - .offset:         32
        .size:           8
        .value_kind:     by_value
      - .address_space:  global
        .offset:         40
        .size:           8
        .value_kind:     global_buffer
      - .offset:         48
        .size:           4
        .value_kind:     by_value
      - .offset:         52
        .size:           4
        .value_kind:     by_value
      - .offset:         56
        .size:           4
        .value_kind:     hidden_block_count_x
      - .offset:         60
        .size:           4
        .value_kind:     hidden_block_count_y
      - .offset:         64
        .size:           4
        .value_kind:     hidden_block_count_z
      - .offset:         68
        .size:           2
        .value_kind:     hidden_group_size_x
      - .offset:         70
        .size:           2
        .value_kind:     hidden_group_size_y
      - .offset:         72
        .size:           2
        .value_kind:     hidden_group_size_z
      - .offset:         74
        .size:           2
        .value_kind:     hidden_remainder_x
      - .offset:         76
        .size:           2
        .value_kind:     hidden_remainder_y
      - .offset:         78
        .size:           2
        .value_kind:     hidden_remainder_z
      - .offset:         96
        .size:           8
        .value_kind:     hidden_global_offset_x
      - .offset:         104
        .size:           8
        .value_kind:     hidden_global_offset_y
      - .offset:         112
        .size:           8
        .value_kind:     hidden_global_offset_z
      - .offset:         120
        .size:           2
        .value_kind:     hidden_grid_dims
      - .offset:         176
        .size:           4
        .value_kind:     hidden_dynamic_lds_size
    .group_segment_fixed_size: 0
    .kernarg_segment_align: 8
    .kernarg_segment_size: 312
    .language:       OpenCL C
    .language_version:
      - 2
      - 0
    .max_flat_workgroup_size: 512
    .name:           _ZN9rocsolver6v33100L23getf2_npvt_small_kernelILi32E19rocblas_complex_numIfEiiPS3_EEvT1_T3_lS5_lPT2_S5_S5_
    .private_segment_fixed_size: 0
    .sgpr_count:     17
    .sgpr_spill_count: 0
    .symbol:         _ZN9rocsolver6v33100L23getf2_npvt_small_kernelILi32E19rocblas_complex_numIfEiiPS3_EEvT1_T3_lS5_lPT2_S5_S5_.kd
    .uniform_work_group_size: 1
    .uses_dynamic_stack: false
    .vgpr_count:     222
    .vgpr_spill_count: 0
    .wavefront_size: 32
  - .args:
      - .offset:         0
        .size:           4
        .value_kind:     by_value
      - .address_space:  global
        .offset:         8
        .size:           8
        .value_kind:     global_buffer
      - .offset:         16
        .size:           8
        .value_kind:     by_value
      - .offset:         24
        .size:           4
        .value_kind:     by_value
      - .offset:         32
        .size:           8
        .value_kind:     by_value
      - .address_space:  global
        .offset:         40
        .size:           8
        .value_kind:     global_buffer
      - .offset:         48
        .size:           8
        .value_kind:     by_value
      - .offset:         56
        .size:           8
        .value_kind:     by_value
      - .address_space:  global
        .offset:         64
        .size:           8
        .value_kind:     global_buffer
      - .offset:         72
        .size:           4
        .value_kind:     by_value
      - .offset:         76
        .size:           4
        .value_kind:     by_value
      - .address_space:  global
        .offset:         80
        .size:           8
        .value_kind:     global_buffer
      - .offset:         88
        .size:           8
        .value_kind:     by_value
      - .offset:         96
        .size:           4
        .value_kind:     hidden_block_count_x
      - .offset:         100
        .size:           4
        .value_kind:     hidden_block_count_y
      - .offset:         104
        .size:           4
        .value_kind:     hidden_block_count_z
      - .offset:         108
        .size:           2
        .value_kind:     hidden_group_size_x
      - .offset:         110
        .size:           2
        .value_kind:     hidden_group_size_y
      - .offset:         112
        .size:           2
        .value_kind:     hidden_group_size_z
      - .offset:         114
        .size:           2
        .value_kind:     hidden_remainder_x
      - .offset:         116
        .size:           2
        .value_kind:     hidden_remainder_y
      - .offset:         118
        .size:           2
        .value_kind:     hidden_remainder_z
      - .offset:         136
        .size:           8
        .value_kind:     hidden_global_offset_x
      - .offset:         144
        .size:           8
        .value_kind:     hidden_global_offset_y
      - .offset:         152
        .size:           8
        .value_kind:     hidden_global_offset_z
      - .offset:         160
        .size:           2
        .value_kind:     hidden_grid_dims
      - .offset:         216
        .size:           4
        .value_kind:     hidden_dynamic_lds_size
    .group_segment_fixed_size: 0
    .kernarg_segment_align: 8
    .kernarg_segment_size: 352
    .language:       OpenCL C
    .language_version:
      - 2
      - 0
    .max_flat_workgroup_size: 512
    .name:           _ZN9rocsolver6v33100L18getf2_small_kernelILi33E19rocblas_complex_numIfEiiPS3_EEvT1_T3_lS5_lPS5_llPT2_S5_S5_S7_l
    .private_segment_fixed_size: 0
    .sgpr_count:     21
    .sgpr_spill_count: 0
    .symbol:         _ZN9rocsolver6v33100L18getf2_small_kernelILi33E19rocblas_complex_numIfEiiPS3_EEvT1_T3_lS5_lPS5_llPT2_S5_S5_S7_l.kd
    .uniform_work_group_size: 1
    .uses_dynamic_stack: false
    .vgpr_count:     96
    .vgpr_spill_count: 0
    .wavefront_size: 32
  - .args:
      - .offset:         0
        .size:           4
        .value_kind:     by_value
      - .address_space:  global
        .offset:         8
        .size:           8
        .value_kind:     global_buffer
      - .offset:         16
        .size:           8
        .value_kind:     by_value
      - .offset:         24
        .size:           4
        .value_kind:     by_value
      - .offset:         32
        .size:           8
        .value_kind:     by_value
      - .address_space:  global
        .offset:         40
        .size:           8
        .value_kind:     global_buffer
      - .offset:         48
        .size:           4
        .value_kind:     by_value
      - .offset:         52
        .size:           4
        .value_kind:     by_value
      - .offset:         56
        .size:           4
        .value_kind:     hidden_block_count_x
      - .offset:         60
        .size:           4
        .value_kind:     hidden_block_count_y
      - .offset:         64
        .size:           4
        .value_kind:     hidden_block_count_z
      - .offset:         68
        .size:           2
        .value_kind:     hidden_group_size_x
      - .offset:         70
        .size:           2
        .value_kind:     hidden_group_size_y
      - .offset:         72
        .size:           2
        .value_kind:     hidden_group_size_z
      - .offset:         74
        .size:           2
        .value_kind:     hidden_remainder_x
      - .offset:         76
        .size:           2
        .value_kind:     hidden_remainder_y
      - .offset:         78
        .size:           2
        .value_kind:     hidden_remainder_z
      - .offset:         96
        .size:           8
        .value_kind:     hidden_global_offset_x
      - .offset:         104
        .size:           8
        .value_kind:     hidden_global_offset_y
      - .offset:         112
        .size:           8
        .value_kind:     hidden_global_offset_z
      - .offset:         120
        .size:           2
        .value_kind:     hidden_grid_dims
      - .offset:         176
        .size:           4
        .value_kind:     hidden_dynamic_lds_size
    .group_segment_fixed_size: 0
    .kernarg_segment_align: 8
    .kernarg_segment_size: 312
    .language:       OpenCL C
    .language_version:
      - 2
      - 0
    .max_flat_workgroup_size: 512
    .name:           _ZN9rocsolver6v33100L23getf2_npvt_small_kernelILi33E19rocblas_complex_numIfEiiPS3_EEvT1_T3_lS5_lPT2_S5_S5_
    .private_segment_fixed_size: 0
    .sgpr_count:     17
    .sgpr_spill_count: 0
    .symbol:         _ZN9rocsolver6v33100L23getf2_npvt_small_kernelILi33E19rocblas_complex_numIfEiiPS3_EEvT1_T3_lS5_lPT2_S5_S5_.kd
    .uniform_work_group_size: 1
    .uses_dynamic_stack: false
    .vgpr_count:     228
    .vgpr_spill_count: 0
    .wavefront_size: 32
  - .args:
      - .offset:         0
        .size:           4
        .value_kind:     by_value
      - .address_space:  global
        .offset:         8
        .size:           8
        .value_kind:     global_buffer
      - .offset:         16
        .size:           8
        .value_kind:     by_value
      - .offset:         24
        .size:           4
        .value_kind:     by_value
      - .offset:         32
        .size:           8
        .value_kind:     by_value
      - .address_space:  global
        .offset:         40
        .size:           8
        .value_kind:     global_buffer
      - .offset:         48
        .size:           8
        .value_kind:     by_value
      - .offset:         56
        .size:           8
        .value_kind:     by_value
      - .address_space:  global
        .offset:         64
        .size:           8
        .value_kind:     global_buffer
      - .offset:         72
        .size:           4
        .value_kind:     by_value
      - .offset:         76
        .size:           4
        .value_kind:     by_value
      - .address_space:  global
        .offset:         80
        .size:           8
        .value_kind:     global_buffer
      - .offset:         88
        .size:           8
        .value_kind:     by_value
      - .offset:         96
        .size:           4
        .value_kind:     hidden_block_count_x
      - .offset:         100
        .size:           4
        .value_kind:     hidden_block_count_y
      - .offset:         104
        .size:           4
        .value_kind:     hidden_block_count_z
      - .offset:         108
        .size:           2
        .value_kind:     hidden_group_size_x
      - .offset:         110
        .size:           2
        .value_kind:     hidden_group_size_y
      - .offset:         112
        .size:           2
        .value_kind:     hidden_group_size_z
      - .offset:         114
        .size:           2
        .value_kind:     hidden_remainder_x
      - .offset:         116
        .size:           2
        .value_kind:     hidden_remainder_y
      - .offset:         118
        .size:           2
        .value_kind:     hidden_remainder_z
      - .offset:         136
        .size:           8
        .value_kind:     hidden_global_offset_x
      - .offset:         144
        .size:           8
        .value_kind:     hidden_global_offset_y
      - .offset:         152
        .size:           8
        .value_kind:     hidden_global_offset_z
      - .offset:         160
        .size:           2
        .value_kind:     hidden_grid_dims
      - .offset:         216
        .size:           4
        .value_kind:     hidden_dynamic_lds_size
    .group_segment_fixed_size: 0
    .kernarg_segment_align: 8
    .kernarg_segment_size: 352
    .language:       OpenCL C
    .language_version:
      - 2
      - 0
    .max_flat_workgroup_size: 512
    .name:           _ZN9rocsolver6v33100L18getf2_small_kernelILi34E19rocblas_complex_numIfEiiPS3_EEvT1_T3_lS5_lPS5_llPT2_S5_S5_S7_l
    .private_segment_fixed_size: 0
    .sgpr_count:     21
    .sgpr_spill_count: 0
    .symbol:         _ZN9rocsolver6v33100L18getf2_small_kernelILi34E19rocblas_complex_numIfEiiPS3_EEvT1_T3_lS5_lPS5_llPT2_S5_S5_S7_l.kd
    .uniform_work_group_size: 1
    .uses_dynamic_stack: false
    .vgpr_count:     98
    .vgpr_spill_count: 0
    .wavefront_size: 32
  - .args:
      - .offset:         0
        .size:           4
        .value_kind:     by_value
      - .address_space:  global
        .offset:         8
        .size:           8
        .value_kind:     global_buffer
      - .offset:         16
        .size:           8
        .value_kind:     by_value
      - .offset:         24
        .size:           4
        .value_kind:     by_value
      - .offset:         32
        .size:           8
        .value_kind:     by_value
      - .address_space:  global
        .offset:         40
        .size:           8
        .value_kind:     global_buffer
      - .offset:         48
        .size:           4
        .value_kind:     by_value
      - .offset:         52
        .size:           4
        .value_kind:     by_value
      - .offset:         56
        .size:           4
        .value_kind:     hidden_block_count_x
      - .offset:         60
        .size:           4
        .value_kind:     hidden_block_count_y
      - .offset:         64
        .size:           4
        .value_kind:     hidden_block_count_z
      - .offset:         68
        .size:           2
        .value_kind:     hidden_group_size_x
      - .offset:         70
        .size:           2
        .value_kind:     hidden_group_size_y
      - .offset:         72
        .size:           2
        .value_kind:     hidden_group_size_z
      - .offset:         74
        .size:           2
        .value_kind:     hidden_remainder_x
      - .offset:         76
        .size:           2
        .value_kind:     hidden_remainder_y
      - .offset:         78
        .size:           2
        .value_kind:     hidden_remainder_z
      - .offset:         96
        .size:           8
        .value_kind:     hidden_global_offset_x
      - .offset:         104
        .size:           8
        .value_kind:     hidden_global_offset_y
      - .offset:         112
        .size:           8
        .value_kind:     hidden_global_offset_z
      - .offset:         120
        .size:           2
        .value_kind:     hidden_grid_dims
      - .offset:         176
        .size:           4
        .value_kind:     hidden_dynamic_lds_size
    .group_segment_fixed_size: 0
    .kernarg_segment_align: 8
    .kernarg_segment_size: 312
    .language:       OpenCL C
    .language_version:
      - 2
      - 0
    .max_flat_workgroup_size: 512
    .name:           _ZN9rocsolver6v33100L23getf2_npvt_small_kernelILi34E19rocblas_complex_numIfEiiPS3_EEvT1_T3_lS5_lPT2_S5_S5_
    .private_segment_fixed_size: 0
    .sgpr_count:     17
    .sgpr_spill_count: 0
    .symbol:         _ZN9rocsolver6v33100L23getf2_npvt_small_kernelILi34E19rocblas_complex_numIfEiiPS3_EEvT1_T3_lS5_lPT2_S5_S5_.kd
    .uniform_work_group_size: 1
    .uses_dynamic_stack: false
    .vgpr_count:     234
    .vgpr_spill_count: 0
    .wavefront_size: 32
  - .args:
      - .offset:         0
        .size:           4
        .value_kind:     by_value
      - .address_space:  global
        .offset:         8
        .size:           8
        .value_kind:     global_buffer
      - .offset:         16
        .size:           8
        .value_kind:     by_value
      - .offset:         24
        .size:           4
        .value_kind:     by_value
      - .offset:         32
        .size:           8
        .value_kind:     by_value
      - .address_space:  global
        .offset:         40
        .size:           8
        .value_kind:     global_buffer
      - .offset:         48
        .size:           8
        .value_kind:     by_value
      - .offset:         56
        .size:           8
        .value_kind:     by_value
      - .address_space:  global
        .offset:         64
        .size:           8
        .value_kind:     global_buffer
      - .offset:         72
        .size:           4
        .value_kind:     by_value
      - .offset:         76
        .size:           4
        .value_kind:     by_value
      - .address_space:  global
        .offset:         80
        .size:           8
        .value_kind:     global_buffer
      - .offset:         88
        .size:           8
        .value_kind:     by_value
      - .offset:         96
        .size:           4
        .value_kind:     hidden_block_count_x
      - .offset:         100
        .size:           4
        .value_kind:     hidden_block_count_y
      - .offset:         104
        .size:           4
        .value_kind:     hidden_block_count_z
      - .offset:         108
        .size:           2
        .value_kind:     hidden_group_size_x
      - .offset:         110
        .size:           2
        .value_kind:     hidden_group_size_y
      - .offset:         112
        .size:           2
        .value_kind:     hidden_group_size_z
      - .offset:         114
        .size:           2
        .value_kind:     hidden_remainder_x
      - .offset:         116
        .size:           2
        .value_kind:     hidden_remainder_y
      - .offset:         118
        .size:           2
        .value_kind:     hidden_remainder_z
      - .offset:         136
        .size:           8
        .value_kind:     hidden_global_offset_x
      - .offset:         144
        .size:           8
        .value_kind:     hidden_global_offset_y
      - .offset:         152
        .size:           8
        .value_kind:     hidden_global_offset_z
      - .offset:         160
        .size:           2
        .value_kind:     hidden_grid_dims
      - .offset:         216
        .size:           4
        .value_kind:     hidden_dynamic_lds_size
    .group_segment_fixed_size: 0
    .kernarg_segment_align: 8
    .kernarg_segment_size: 352
    .language:       OpenCL C
    .language_version:
      - 2
      - 0
    .max_flat_workgroup_size: 512
    .name:           _ZN9rocsolver6v33100L18getf2_small_kernelILi35E19rocblas_complex_numIfEiiPS3_EEvT1_T3_lS5_lPS5_llPT2_S5_S5_S7_l
    .private_segment_fixed_size: 0
    .sgpr_count:     22
    .sgpr_spill_count: 0
    .symbol:         _ZN9rocsolver6v33100L18getf2_small_kernelILi35E19rocblas_complex_numIfEiiPS3_EEvT1_T3_lS5_lPS5_llPT2_S5_S5_S7_l.kd
    .uniform_work_group_size: 1
    .uses_dynamic_stack: false
    .vgpr_count:     96
    .vgpr_spill_count: 0
    .wavefront_size: 32
  - .args:
      - .offset:         0
        .size:           4
        .value_kind:     by_value
      - .address_space:  global
        .offset:         8
        .size:           8
        .value_kind:     global_buffer
      - .offset:         16
        .size:           8
        .value_kind:     by_value
      - .offset:         24
        .size:           4
        .value_kind:     by_value
      - .offset:         32
        .size:           8
        .value_kind:     by_value
      - .address_space:  global
        .offset:         40
        .size:           8
        .value_kind:     global_buffer
      - .offset:         48
        .size:           4
        .value_kind:     by_value
      - .offset:         52
        .size:           4
        .value_kind:     by_value
      - .offset:         56
        .size:           4
        .value_kind:     hidden_block_count_x
      - .offset:         60
        .size:           4
        .value_kind:     hidden_block_count_y
      - .offset:         64
        .size:           4
        .value_kind:     hidden_block_count_z
      - .offset:         68
        .size:           2
        .value_kind:     hidden_group_size_x
      - .offset:         70
        .size:           2
        .value_kind:     hidden_group_size_y
      - .offset:         72
        .size:           2
        .value_kind:     hidden_group_size_z
      - .offset:         74
        .size:           2
        .value_kind:     hidden_remainder_x
      - .offset:         76
        .size:           2
        .value_kind:     hidden_remainder_y
      - .offset:         78
        .size:           2
        .value_kind:     hidden_remainder_z
      - .offset:         96
        .size:           8
        .value_kind:     hidden_global_offset_x
      - .offset:         104
        .size:           8
        .value_kind:     hidden_global_offset_y
      - .offset:         112
        .size:           8
        .value_kind:     hidden_global_offset_z
      - .offset:         120
        .size:           2
        .value_kind:     hidden_grid_dims
      - .offset:         176
        .size:           4
        .value_kind:     hidden_dynamic_lds_size
    .group_segment_fixed_size: 0
    .kernarg_segment_align: 8
    .kernarg_segment_size: 312
    .language:       OpenCL C
    .language_version:
      - 2
      - 0
    .max_flat_workgroup_size: 512
    .name:           _ZN9rocsolver6v33100L23getf2_npvt_small_kernelILi35E19rocblas_complex_numIfEiiPS3_EEvT1_T3_lS5_lPT2_S5_S5_
    .private_segment_fixed_size: 0
    .sgpr_count:     17
    .sgpr_spill_count: 0
    .symbol:         _ZN9rocsolver6v33100L23getf2_npvt_small_kernelILi35E19rocblas_complex_numIfEiiPS3_EEvT1_T3_lS5_lPT2_S5_S5_.kd
    .uniform_work_group_size: 1
    .uses_dynamic_stack: false
    .vgpr_count:     240
    .vgpr_spill_count: 0
    .wavefront_size: 32
  - .args:
      - .offset:         0
        .size:           4
        .value_kind:     by_value
      - .address_space:  global
        .offset:         8
        .size:           8
        .value_kind:     global_buffer
      - .offset:         16
        .size:           8
        .value_kind:     by_value
      - .offset:         24
        .size:           4
        .value_kind:     by_value
      - .offset:         32
        .size:           8
        .value_kind:     by_value
      - .address_space:  global
        .offset:         40
        .size:           8
        .value_kind:     global_buffer
      - .offset:         48
        .size:           8
        .value_kind:     by_value
      - .offset:         56
        .size:           8
        .value_kind:     by_value
      - .address_space:  global
        .offset:         64
        .size:           8
        .value_kind:     global_buffer
      - .offset:         72
        .size:           4
        .value_kind:     by_value
      - .offset:         76
        .size:           4
        .value_kind:     by_value
      - .address_space:  global
        .offset:         80
        .size:           8
        .value_kind:     global_buffer
      - .offset:         88
        .size:           8
        .value_kind:     by_value
      - .offset:         96
        .size:           4
        .value_kind:     hidden_block_count_x
      - .offset:         100
        .size:           4
        .value_kind:     hidden_block_count_y
      - .offset:         104
        .size:           4
        .value_kind:     hidden_block_count_z
      - .offset:         108
        .size:           2
        .value_kind:     hidden_group_size_x
      - .offset:         110
        .size:           2
        .value_kind:     hidden_group_size_y
      - .offset:         112
        .size:           2
        .value_kind:     hidden_group_size_z
      - .offset:         114
        .size:           2
        .value_kind:     hidden_remainder_x
      - .offset:         116
        .size:           2
        .value_kind:     hidden_remainder_y
      - .offset:         118
        .size:           2
        .value_kind:     hidden_remainder_z
      - .offset:         136
        .size:           8
        .value_kind:     hidden_global_offset_x
      - .offset:         144
        .size:           8
        .value_kind:     hidden_global_offset_y
      - .offset:         152
        .size:           8
        .value_kind:     hidden_global_offset_z
      - .offset:         160
        .size:           2
        .value_kind:     hidden_grid_dims
      - .offset:         216
        .size:           4
        .value_kind:     hidden_dynamic_lds_size
    .group_segment_fixed_size: 0
    .kernarg_segment_align: 8
    .kernarg_segment_size: 352
    .language:       OpenCL C
    .language_version:
      - 2
      - 0
    .max_flat_workgroup_size: 512
    .name:           _ZN9rocsolver6v33100L18getf2_small_kernelILi36E19rocblas_complex_numIfEiiPS3_EEvT1_T3_lS5_lPS5_llPT2_S5_S5_S7_l
    .private_segment_fixed_size: 0
    .sgpr_count:     21
    .sgpr_spill_count: 0
    .symbol:         _ZN9rocsolver6v33100L18getf2_small_kernelILi36E19rocblas_complex_numIfEiiPS3_EEvT1_T3_lS5_lPS5_llPT2_S5_S5_S7_l.kd
    .uniform_work_group_size: 1
    .uses_dynamic_stack: false
    .vgpr_count:     112
    .vgpr_spill_count: 0
    .wavefront_size: 32
  - .args:
      - .offset:         0
        .size:           4
        .value_kind:     by_value
      - .address_space:  global
        .offset:         8
        .size:           8
        .value_kind:     global_buffer
      - .offset:         16
        .size:           8
        .value_kind:     by_value
      - .offset:         24
        .size:           4
        .value_kind:     by_value
      - .offset:         32
        .size:           8
        .value_kind:     by_value
      - .address_space:  global
        .offset:         40
        .size:           8
        .value_kind:     global_buffer
      - .offset:         48
        .size:           4
        .value_kind:     by_value
      - .offset:         52
        .size:           4
        .value_kind:     by_value
      - .offset:         56
        .size:           4
        .value_kind:     hidden_block_count_x
      - .offset:         60
        .size:           4
        .value_kind:     hidden_block_count_y
      - .offset:         64
        .size:           4
        .value_kind:     hidden_block_count_z
      - .offset:         68
        .size:           2
        .value_kind:     hidden_group_size_x
      - .offset:         70
        .size:           2
        .value_kind:     hidden_group_size_y
      - .offset:         72
        .size:           2
        .value_kind:     hidden_group_size_z
      - .offset:         74
        .size:           2
        .value_kind:     hidden_remainder_x
      - .offset:         76
        .size:           2
        .value_kind:     hidden_remainder_y
      - .offset:         78
        .size:           2
        .value_kind:     hidden_remainder_z
      - .offset:         96
        .size:           8
        .value_kind:     hidden_global_offset_x
      - .offset:         104
        .size:           8
        .value_kind:     hidden_global_offset_y
      - .offset:         112
        .size:           8
        .value_kind:     hidden_global_offset_z
      - .offset:         120
        .size:           2
        .value_kind:     hidden_grid_dims
      - .offset:         176
        .size:           4
        .value_kind:     hidden_dynamic_lds_size
    .group_segment_fixed_size: 0
    .kernarg_segment_align: 8
    .kernarg_segment_size: 312
    .language:       OpenCL C
    .language_version:
      - 2
      - 0
    .max_flat_workgroup_size: 512
    .name:           _ZN9rocsolver6v33100L23getf2_npvt_small_kernelILi36E19rocblas_complex_numIfEiiPS3_EEvT1_T3_lS5_lPT2_S5_S5_
    .private_segment_fixed_size: 0
    .sgpr_count:     17
    .sgpr_spill_count: 0
    .symbol:         _ZN9rocsolver6v33100L23getf2_npvt_small_kernelILi36E19rocblas_complex_numIfEiiPS3_EEvT1_T3_lS5_lPT2_S5_S5_.kd
    .uniform_work_group_size: 1
    .uses_dynamic_stack: false
    .vgpr_count:     246
    .vgpr_spill_count: 0
    .wavefront_size: 32
  - .args:
      - .offset:         0
        .size:           4
        .value_kind:     by_value
      - .address_space:  global
        .offset:         8
        .size:           8
        .value_kind:     global_buffer
      - .offset:         16
        .size:           8
        .value_kind:     by_value
      - .offset:         24
        .size:           4
        .value_kind:     by_value
      - .offset:         32
        .size:           8
        .value_kind:     by_value
      - .address_space:  global
        .offset:         40
        .size:           8
        .value_kind:     global_buffer
      - .offset:         48
        .size:           8
        .value_kind:     by_value
      - .offset:         56
        .size:           8
        .value_kind:     by_value
      - .address_space:  global
        .offset:         64
        .size:           8
        .value_kind:     global_buffer
      - .offset:         72
        .size:           4
        .value_kind:     by_value
      - .offset:         76
        .size:           4
        .value_kind:     by_value
      - .address_space:  global
        .offset:         80
        .size:           8
        .value_kind:     global_buffer
      - .offset:         88
        .size:           8
        .value_kind:     by_value
      - .offset:         96
        .size:           4
        .value_kind:     hidden_block_count_x
      - .offset:         100
        .size:           4
        .value_kind:     hidden_block_count_y
      - .offset:         104
        .size:           4
        .value_kind:     hidden_block_count_z
      - .offset:         108
        .size:           2
        .value_kind:     hidden_group_size_x
      - .offset:         110
        .size:           2
        .value_kind:     hidden_group_size_y
      - .offset:         112
        .size:           2
        .value_kind:     hidden_group_size_z
      - .offset:         114
        .size:           2
        .value_kind:     hidden_remainder_x
      - .offset:         116
        .size:           2
        .value_kind:     hidden_remainder_y
      - .offset:         118
        .size:           2
        .value_kind:     hidden_remainder_z
      - .offset:         136
        .size:           8
        .value_kind:     hidden_global_offset_x
      - .offset:         144
        .size:           8
        .value_kind:     hidden_global_offset_y
      - .offset:         152
        .size:           8
        .value_kind:     hidden_global_offset_z
      - .offset:         160
        .size:           2
        .value_kind:     hidden_grid_dims
      - .offset:         216
        .size:           4
        .value_kind:     hidden_dynamic_lds_size
    .group_segment_fixed_size: 0
    .kernarg_segment_align: 8
    .kernarg_segment_size: 352
    .language:       OpenCL C
    .language_version:
      - 2
      - 0
    .max_flat_workgroup_size: 512
    .name:           _ZN9rocsolver6v33100L18getf2_small_kernelILi37E19rocblas_complex_numIfEiiPS3_EEvT1_T3_lS5_lPS5_llPT2_S5_S5_S7_l
    .private_segment_fixed_size: 0
    .sgpr_count:     21
    .sgpr_spill_count: 0
    .symbol:         _ZN9rocsolver6v33100L18getf2_small_kernelILi37E19rocblas_complex_numIfEiiPS3_EEvT1_T3_lS5_lPS5_llPT2_S5_S5_S7_l.kd
    .uniform_work_group_size: 1
    .uses_dynamic_stack: false
    .vgpr_count:     114
    .vgpr_spill_count: 0
    .wavefront_size: 32
  - .args:
      - .offset:         0
        .size:           4
        .value_kind:     by_value
      - .address_space:  global
        .offset:         8
        .size:           8
        .value_kind:     global_buffer
      - .offset:         16
        .size:           8
        .value_kind:     by_value
      - .offset:         24
        .size:           4
        .value_kind:     by_value
      - .offset:         32
        .size:           8
        .value_kind:     by_value
      - .address_space:  global
        .offset:         40
        .size:           8
        .value_kind:     global_buffer
      - .offset:         48
        .size:           4
        .value_kind:     by_value
      - .offset:         52
        .size:           4
        .value_kind:     by_value
      - .offset:         56
        .size:           4
        .value_kind:     hidden_block_count_x
      - .offset:         60
        .size:           4
        .value_kind:     hidden_block_count_y
      - .offset:         64
        .size:           4
        .value_kind:     hidden_block_count_z
      - .offset:         68
        .size:           2
        .value_kind:     hidden_group_size_x
      - .offset:         70
        .size:           2
        .value_kind:     hidden_group_size_y
      - .offset:         72
        .size:           2
        .value_kind:     hidden_group_size_z
      - .offset:         74
        .size:           2
        .value_kind:     hidden_remainder_x
      - .offset:         76
        .size:           2
        .value_kind:     hidden_remainder_y
      - .offset:         78
        .size:           2
        .value_kind:     hidden_remainder_z
      - .offset:         96
        .size:           8
        .value_kind:     hidden_global_offset_x
      - .offset:         104
        .size:           8
        .value_kind:     hidden_global_offset_y
      - .offset:         112
        .size:           8
        .value_kind:     hidden_global_offset_z
      - .offset:         120
        .size:           2
        .value_kind:     hidden_grid_dims
      - .offset:         176
        .size:           4
        .value_kind:     hidden_dynamic_lds_size
    .group_segment_fixed_size: 0
    .kernarg_segment_align: 8
    .kernarg_segment_size: 312
    .language:       OpenCL C
    .language_version:
      - 2
      - 0
    .max_flat_workgroup_size: 512
    .name:           _ZN9rocsolver6v33100L23getf2_npvt_small_kernelILi37E19rocblas_complex_numIfEiiPS3_EEvT1_T3_lS5_lPT2_S5_S5_
    .private_segment_fixed_size: 0
    .sgpr_count:     17
    .sgpr_spill_count: 0
    .symbol:         _ZN9rocsolver6v33100L23getf2_npvt_small_kernelILi37E19rocblas_complex_numIfEiiPS3_EEvT1_T3_lS5_lPT2_S5_S5_.kd
    .uniform_work_group_size: 1
    .uses_dynamic_stack: false
    .vgpr_count:     252
    .vgpr_spill_count: 0
    .wavefront_size: 32
  - .args:
      - .offset:         0
        .size:           4
        .value_kind:     by_value
      - .address_space:  global
        .offset:         8
        .size:           8
        .value_kind:     global_buffer
      - .offset:         16
        .size:           8
        .value_kind:     by_value
      - .offset:         24
        .size:           4
        .value_kind:     by_value
      - .offset:         32
        .size:           8
        .value_kind:     by_value
      - .address_space:  global
        .offset:         40
        .size:           8
        .value_kind:     global_buffer
      - .offset:         48
        .size:           8
        .value_kind:     by_value
      - .offset:         56
        .size:           8
        .value_kind:     by_value
      - .address_space:  global
        .offset:         64
        .size:           8
        .value_kind:     global_buffer
      - .offset:         72
        .size:           4
        .value_kind:     by_value
      - .offset:         76
        .size:           4
        .value_kind:     by_value
      - .address_space:  global
        .offset:         80
        .size:           8
        .value_kind:     global_buffer
      - .offset:         88
        .size:           8
        .value_kind:     by_value
      - .offset:         96
        .size:           4
        .value_kind:     hidden_block_count_x
      - .offset:         100
        .size:           4
        .value_kind:     hidden_block_count_y
      - .offset:         104
        .size:           4
        .value_kind:     hidden_block_count_z
      - .offset:         108
        .size:           2
        .value_kind:     hidden_group_size_x
      - .offset:         110
        .size:           2
        .value_kind:     hidden_group_size_y
      - .offset:         112
        .size:           2
        .value_kind:     hidden_group_size_z
      - .offset:         114
        .size:           2
        .value_kind:     hidden_remainder_x
      - .offset:         116
        .size:           2
        .value_kind:     hidden_remainder_y
      - .offset:         118
        .size:           2
        .value_kind:     hidden_remainder_z
      - .offset:         136
        .size:           8
        .value_kind:     hidden_global_offset_x
      - .offset:         144
        .size:           8
        .value_kind:     hidden_global_offset_y
      - .offset:         152
        .size:           8
        .value_kind:     hidden_global_offset_z
      - .offset:         160
        .size:           2
        .value_kind:     hidden_grid_dims
      - .offset:         216
        .size:           4
        .value_kind:     hidden_dynamic_lds_size
    .group_segment_fixed_size: 0
    .kernarg_segment_align: 8
    .kernarg_segment_size: 352
    .language:       OpenCL C
    .language_version:
      - 2
      - 0
    .max_flat_workgroup_size: 512
    .name:           _ZN9rocsolver6v33100L18getf2_small_kernelILi38E19rocblas_complex_numIfEiiPS3_EEvT1_T3_lS5_lPS5_llPT2_S5_S5_S7_l
    .private_segment_fixed_size: 0
    .sgpr_count:     21
    .sgpr_spill_count: 0
    .symbol:         _ZN9rocsolver6v33100L18getf2_small_kernelILi38E19rocblas_complex_numIfEiiPS3_EEvT1_T3_lS5_lPS5_llPT2_S5_S5_S7_l.kd
    .uniform_work_group_size: 1
    .uses_dynamic_stack: false
    .vgpr_count:     112
    .vgpr_spill_count: 0
    .wavefront_size: 32
  - .args:
      - .offset:         0
        .size:           4
        .value_kind:     by_value
      - .address_space:  global
        .offset:         8
        .size:           8
        .value_kind:     global_buffer
      - .offset:         16
        .size:           8
        .value_kind:     by_value
      - .offset:         24
        .size:           4
        .value_kind:     by_value
      - .offset:         32
        .size:           8
        .value_kind:     by_value
      - .address_space:  global
        .offset:         40
        .size:           8
        .value_kind:     global_buffer
      - .offset:         48
        .size:           4
        .value_kind:     by_value
      - .offset:         52
        .size:           4
        .value_kind:     by_value
      - .offset:         56
        .size:           4
        .value_kind:     hidden_block_count_x
      - .offset:         60
        .size:           4
        .value_kind:     hidden_block_count_y
      - .offset:         64
        .size:           4
        .value_kind:     hidden_block_count_z
      - .offset:         68
        .size:           2
        .value_kind:     hidden_group_size_x
      - .offset:         70
        .size:           2
        .value_kind:     hidden_group_size_y
      - .offset:         72
        .size:           2
        .value_kind:     hidden_group_size_z
      - .offset:         74
        .size:           2
        .value_kind:     hidden_remainder_x
      - .offset:         76
        .size:           2
        .value_kind:     hidden_remainder_y
      - .offset:         78
        .size:           2
        .value_kind:     hidden_remainder_z
      - .offset:         96
        .size:           8
        .value_kind:     hidden_global_offset_x
      - .offset:         104
        .size:           8
        .value_kind:     hidden_global_offset_y
      - .offset:         112
        .size:           8
        .value_kind:     hidden_global_offset_z
      - .offset:         120
        .size:           2
        .value_kind:     hidden_grid_dims
      - .offset:         176
        .size:           4
        .value_kind:     hidden_dynamic_lds_size
    .group_segment_fixed_size: 0
    .kernarg_segment_align: 8
    .kernarg_segment_size: 312
    .language:       OpenCL C
    .language_version:
      - 2
      - 0
    .max_flat_workgroup_size: 512
    .name:           _ZN9rocsolver6v33100L23getf2_npvt_small_kernelILi38E19rocblas_complex_numIfEiiPS3_EEvT1_T3_lS5_lPT2_S5_S5_
    .private_segment_fixed_size: 12
    .sgpr_count:     17
    .sgpr_spill_count: 0
    .symbol:         _ZN9rocsolver6v33100L23getf2_npvt_small_kernelILi38E19rocblas_complex_numIfEiiPS3_EEvT1_T3_lS5_lPT2_S5_S5_.kd
    .uniform_work_group_size: 1
    .uses_dynamic_stack: false
    .vgpr_count:     256
    .vgpr_spill_count: 2
    .wavefront_size: 32
  - .args:
      - .offset:         0
        .size:           4
        .value_kind:     by_value
      - .address_space:  global
        .offset:         8
        .size:           8
        .value_kind:     global_buffer
      - .offset:         16
        .size:           8
        .value_kind:     by_value
      - .offset:         24
        .size:           4
        .value_kind:     by_value
      - .offset:         32
        .size:           8
        .value_kind:     by_value
      - .address_space:  global
        .offset:         40
        .size:           8
        .value_kind:     global_buffer
      - .offset:         48
        .size:           8
        .value_kind:     by_value
      - .offset:         56
        .size:           8
        .value_kind:     by_value
      - .address_space:  global
        .offset:         64
        .size:           8
        .value_kind:     global_buffer
      - .offset:         72
        .size:           4
        .value_kind:     by_value
      - .offset:         76
        .size:           4
        .value_kind:     by_value
      - .address_space:  global
        .offset:         80
        .size:           8
        .value_kind:     global_buffer
      - .offset:         88
        .size:           8
        .value_kind:     by_value
      - .offset:         96
        .size:           4
        .value_kind:     hidden_block_count_x
      - .offset:         100
        .size:           4
        .value_kind:     hidden_block_count_y
      - .offset:         104
        .size:           4
        .value_kind:     hidden_block_count_z
      - .offset:         108
        .size:           2
        .value_kind:     hidden_group_size_x
      - .offset:         110
        .size:           2
        .value_kind:     hidden_group_size_y
      - .offset:         112
        .size:           2
        .value_kind:     hidden_group_size_z
      - .offset:         114
        .size:           2
        .value_kind:     hidden_remainder_x
      - .offset:         116
        .size:           2
        .value_kind:     hidden_remainder_y
      - .offset:         118
        .size:           2
        .value_kind:     hidden_remainder_z
      - .offset:         136
        .size:           8
        .value_kind:     hidden_global_offset_x
      - .offset:         144
        .size:           8
        .value_kind:     hidden_global_offset_y
      - .offset:         152
        .size:           8
        .value_kind:     hidden_global_offset_z
      - .offset:         160
        .size:           2
        .value_kind:     hidden_grid_dims
      - .offset:         216
        .size:           4
        .value_kind:     hidden_dynamic_lds_size
    .group_segment_fixed_size: 0
    .kernarg_segment_align: 8
    .kernarg_segment_size: 352
    .language:       OpenCL C
    .language_version:
      - 2
      - 0
    .max_flat_workgroup_size: 512
    .name:           _ZN9rocsolver6v33100L18getf2_small_kernelILi39E19rocblas_complex_numIfEiiPS3_EEvT1_T3_lS5_lPS5_llPT2_S5_S5_S7_l
    .private_segment_fixed_size: 0
    .sgpr_count:     21
    .sgpr_spill_count: 0
    .symbol:         _ZN9rocsolver6v33100L18getf2_small_kernelILi39E19rocblas_complex_numIfEiiPS3_EEvT1_T3_lS5_lPS5_llPT2_S5_S5_S7_l.kd
    .uniform_work_group_size: 1
    .uses_dynamic_stack: false
    .vgpr_count:     112
    .vgpr_spill_count: 0
    .wavefront_size: 32
  - .args:
      - .offset:         0
        .size:           4
        .value_kind:     by_value
      - .address_space:  global
        .offset:         8
        .size:           8
        .value_kind:     global_buffer
      - .offset:         16
        .size:           8
        .value_kind:     by_value
      - .offset:         24
        .size:           4
        .value_kind:     by_value
      - .offset:         32
        .size:           8
        .value_kind:     by_value
      - .address_space:  global
        .offset:         40
        .size:           8
        .value_kind:     global_buffer
      - .offset:         48
        .size:           4
        .value_kind:     by_value
      - .offset:         52
        .size:           4
        .value_kind:     by_value
      - .offset:         56
        .size:           4
        .value_kind:     hidden_block_count_x
      - .offset:         60
        .size:           4
        .value_kind:     hidden_block_count_y
      - .offset:         64
        .size:           4
        .value_kind:     hidden_block_count_z
      - .offset:         68
        .size:           2
        .value_kind:     hidden_group_size_x
      - .offset:         70
        .size:           2
        .value_kind:     hidden_group_size_y
      - .offset:         72
        .size:           2
        .value_kind:     hidden_group_size_z
      - .offset:         74
        .size:           2
        .value_kind:     hidden_remainder_x
      - .offset:         76
        .size:           2
        .value_kind:     hidden_remainder_y
      - .offset:         78
        .size:           2
        .value_kind:     hidden_remainder_z
      - .offset:         96
        .size:           8
        .value_kind:     hidden_global_offset_x
      - .offset:         104
        .size:           8
        .value_kind:     hidden_global_offset_y
      - .offset:         112
        .size:           8
        .value_kind:     hidden_global_offset_z
      - .offset:         120
        .size:           2
        .value_kind:     hidden_grid_dims
      - .offset:         176
        .size:           4
        .value_kind:     hidden_dynamic_lds_size
    .group_segment_fixed_size: 0
    .kernarg_segment_align: 8
    .kernarg_segment_size: 312
    .language:       OpenCL C
    .language_version:
      - 2
      - 0
    .max_flat_workgroup_size: 512
    .name:           _ZN9rocsolver6v33100L23getf2_npvt_small_kernelILi39E19rocblas_complex_numIfEiiPS3_EEvT1_T3_lS5_lPT2_S5_S5_
    .private_segment_fixed_size: 12
    .sgpr_count:     17
    .sgpr_spill_count: 0
    .symbol:         _ZN9rocsolver6v33100L23getf2_npvt_small_kernelILi39E19rocblas_complex_numIfEiiPS3_EEvT1_T3_lS5_lPT2_S5_S5_.kd
    .uniform_work_group_size: 1
    .uses_dynamic_stack: false
    .vgpr_count:     256
    .vgpr_spill_count: 2
    .wavefront_size: 32
  - .args:
      - .offset:         0
        .size:           4
        .value_kind:     by_value
      - .address_space:  global
        .offset:         8
        .size:           8
        .value_kind:     global_buffer
      - .offset:         16
        .size:           8
        .value_kind:     by_value
      - .offset:         24
        .size:           4
        .value_kind:     by_value
      - .offset:         32
        .size:           8
        .value_kind:     by_value
      - .address_space:  global
        .offset:         40
        .size:           8
        .value_kind:     global_buffer
      - .offset:         48
        .size:           8
        .value_kind:     by_value
      - .offset:         56
        .size:           8
        .value_kind:     by_value
      - .address_space:  global
        .offset:         64
        .size:           8
        .value_kind:     global_buffer
      - .offset:         72
        .size:           4
        .value_kind:     by_value
      - .offset:         76
        .size:           4
        .value_kind:     by_value
      - .address_space:  global
        .offset:         80
        .size:           8
        .value_kind:     global_buffer
      - .offset:         88
        .size:           8
        .value_kind:     by_value
      - .offset:         96
        .size:           4
        .value_kind:     hidden_block_count_x
      - .offset:         100
        .size:           4
        .value_kind:     hidden_block_count_y
      - .offset:         104
        .size:           4
        .value_kind:     hidden_block_count_z
      - .offset:         108
        .size:           2
        .value_kind:     hidden_group_size_x
      - .offset:         110
        .size:           2
        .value_kind:     hidden_group_size_y
      - .offset:         112
        .size:           2
        .value_kind:     hidden_group_size_z
      - .offset:         114
        .size:           2
        .value_kind:     hidden_remainder_x
      - .offset:         116
        .size:           2
        .value_kind:     hidden_remainder_y
      - .offset:         118
        .size:           2
        .value_kind:     hidden_remainder_z
      - .offset:         136
        .size:           8
        .value_kind:     hidden_global_offset_x
      - .offset:         144
        .size:           8
        .value_kind:     hidden_global_offset_y
      - .offset:         152
        .size:           8
        .value_kind:     hidden_global_offset_z
      - .offset:         160
        .size:           2
        .value_kind:     hidden_grid_dims
      - .offset:         216
        .size:           4
        .value_kind:     hidden_dynamic_lds_size
    .group_segment_fixed_size: 0
    .kernarg_segment_align: 8
    .kernarg_segment_size: 352
    .language:       OpenCL C
    .language_version:
      - 2
      - 0
    .max_flat_workgroup_size: 512
    .name:           _ZN9rocsolver6v33100L18getf2_small_kernelILi40E19rocblas_complex_numIfEiiPS3_EEvT1_T3_lS5_lPS5_llPT2_S5_S5_S7_l
    .private_segment_fixed_size: 0
    .sgpr_count:     21
    .sgpr_spill_count: 0
    .symbol:         _ZN9rocsolver6v33100L18getf2_small_kernelILi40E19rocblas_complex_numIfEiiPS3_EEvT1_T3_lS5_lPS5_llPT2_S5_S5_S7_l.kd
    .uniform_work_group_size: 1
    .uses_dynamic_stack: false
    .vgpr_count:     112
    .vgpr_spill_count: 0
    .wavefront_size: 32
  - .args:
      - .offset:         0
        .size:           4
        .value_kind:     by_value
      - .address_space:  global
        .offset:         8
        .size:           8
        .value_kind:     global_buffer
      - .offset:         16
        .size:           8
        .value_kind:     by_value
      - .offset:         24
        .size:           4
        .value_kind:     by_value
      - .offset:         32
        .size:           8
        .value_kind:     by_value
      - .address_space:  global
        .offset:         40
        .size:           8
        .value_kind:     global_buffer
      - .offset:         48
        .size:           4
        .value_kind:     by_value
      - .offset:         52
        .size:           4
        .value_kind:     by_value
      - .offset:         56
        .size:           4
        .value_kind:     hidden_block_count_x
      - .offset:         60
        .size:           4
        .value_kind:     hidden_block_count_y
      - .offset:         64
        .size:           4
        .value_kind:     hidden_block_count_z
      - .offset:         68
        .size:           2
        .value_kind:     hidden_group_size_x
      - .offset:         70
        .size:           2
        .value_kind:     hidden_group_size_y
      - .offset:         72
        .size:           2
        .value_kind:     hidden_group_size_z
      - .offset:         74
        .size:           2
        .value_kind:     hidden_remainder_x
      - .offset:         76
        .size:           2
        .value_kind:     hidden_remainder_y
      - .offset:         78
        .size:           2
        .value_kind:     hidden_remainder_z
      - .offset:         96
        .size:           8
        .value_kind:     hidden_global_offset_x
      - .offset:         104
        .size:           8
        .value_kind:     hidden_global_offset_y
      - .offset:         112
        .size:           8
        .value_kind:     hidden_global_offset_z
      - .offset:         120
        .size:           2
        .value_kind:     hidden_grid_dims
      - .offset:         176
        .size:           4
        .value_kind:     hidden_dynamic_lds_size
    .group_segment_fixed_size: 0
    .kernarg_segment_align: 8
    .kernarg_segment_size: 312
    .language:       OpenCL C
    .language_version:
      - 2
      - 0
    .max_flat_workgroup_size: 512
    .name:           _ZN9rocsolver6v33100L23getf2_npvt_small_kernelILi40E19rocblas_complex_numIfEiiPS3_EEvT1_T3_lS5_lPT2_S5_S5_
    .private_segment_fixed_size: 12
    .sgpr_count:     17
    .sgpr_spill_count: 0
    .symbol:         _ZN9rocsolver6v33100L23getf2_npvt_small_kernelILi40E19rocblas_complex_numIfEiiPS3_EEvT1_T3_lS5_lPT2_S5_S5_.kd
    .uniform_work_group_size: 1
    .uses_dynamic_stack: false
    .vgpr_count:     256
    .vgpr_spill_count: 2
    .wavefront_size: 32
  - .args:
      - .offset:         0
        .size:           4
        .value_kind:     by_value
      - .address_space:  global
        .offset:         8
        .size:           8
        .value_kind:     global_buffer
      - .offset:         16
        .size:           8
        .value_kind:     by_value
      - .offset:         24
        .size:           4
        .value_kind:     by_value
      - .offset:         32
        .size:           8
        .value_kind:     by_value
      - .address_space:  global
        .offset:         40
        .size:           8
        .value_kind:     global_buffer
      - .offset:         48
        .size:           8
        .value_kind:     by_value
      - .offset:         56
        .size:           8
        .value_kind:     by_value
      - .address_space:  global
        .offset:         64
        .size:           8
        .value_kind:     global_buffer
      - .offset:         72
        .size:           4
        .value_kind:     by_value
      - .offset:         76
        .size:           4
        .value_kind:     by_value
      - .address_space:  global
        .offset:         80
        .size:           8
        .value_kind:     global_buffer
      - .offset:         88
        .size:           8
        .value_kind:     by_value
      - .offset:         96
        .size:           4
        .value_kind:     hidden_block_count_x
      - .offset:         100
        .size:           4
        .value_kind:     hidden_block_count_y
      - .offset:         104
        .size:           4
        .value_kind:     hidden_block_count_z
      - .offset:         108
        .size:           2
        .value_kind:     hidden_group_size_x
      - .offset:         110
        .size:           2
        .value_kind:     hidden_group_size_y
      - .offset:         112
        .size:           2
        .value_kind:     hidden_group_size_z
      - .offset:         114
        .size:           2
        .value_kind:     hidden_remainder_x
      - .offset:         116
        .size:           2
        .value_kind:     hidden_remainder_y
      - .offset:         118
        .size:           2
        .value_kind:     hidden_remainder_z
      - .offset:         136
        .size:           8
        .value_kind:     hidden_global_offset_x
      - .offset:         144
        .size:           8
        .value_kind:     hidden_global_offset_y
      - .offset:         152
        .size:           8
        .value_kind:     hidden_global_offset_z
      - .offset:         160
        .size:           2
        .value_kind:     hidden_grid_dims
      - .offset:         216
        .size:           4
        .value_kind:     hidden_dynamic_lds_size
    .group_segment_fixed_size: 0
    .kernarg_segment_align: 8
    .kernarg_segment_size: 352
    .language:       OpenCL C
    .language_version:
      - 2
      - 0
    .max_flat_workgroup_size: 512
    .name:           _ZN9rocsolver6v33100L18getf2_small_kernelILi41E19rocblas_complex_numIfEiiPS3_EEvT1_T3_lS5_lPS5_llPT2_S5_S5_S7_l
    .private_segment_fixed_size: 0
    .sgpr_count:     21
    .sgpr_spill_count: 0
    .symbol:         _ZN9rocsolver6v33100L18getf2_small_kernelILi41E19rocblas_complex_numIfEiiPS3_EEvT1_T3_lS5_lPS5_llPT2_S5_S5_S7_l.kd
    .uniform_work_group_size: 1
    .uses_dynamic_stack: false
    .vgpr_count:     112
    .vgpr_spill_count: 0
    .wavefront_size: 32
  - .args:
      - .offset:         0
        .size:           4
        .value_kind:     by_value
      - .address_space:  global
        .offset:         8
        .size:           8
        .value_kind:     global_buffer
      - .offset:         16
        .size:           8
        .value_kind:     by_value
      - .offset:         24
        .size:           4
        .value_kind:     by_value
      - .offset:         32
        .size:           8
        .value_kind:     by_value
      - .address_space:  global
        .offset:         40
        .size:           8
        .value_kind:     global_buffer
      - .offset:         48
        .size:           4
        .value_kind:     by_value
      - .offset:         52
        .size:           4
        .value_kind:     by_value
      - .offset:         56
        .size:           4
        .value_kind:     hidden_block_count_x
      - .offset:         60
        .size:           4
        .value_kind:     hidden_block_count_y
      - .offset:         64
        .size:           4
        .value_kind:     hidden_block_count_z
      - .offset:         68
        .size:           2
        .value_kind:     hidden_group_size_x
      - .offset:         70
        .size:           2
        .value_kind:     hidden_group_size_y
      - .offset:         72
        .size:           2
        .value_kind:     hidden_group_size_z
      - .offset:         74
        .size:           2
        .value_kind:     hidden_remainder_x
      - .offset:         76
        .size:           2
        .value_kind:     hidden_remainder_y
      - .offset:         78
        .size:           2
        .value_kind:     hidden_remainder_z
      - .offset:         96
        .size:           8
        .value_kind:     hidden_global_offset_x
      - .offset:         104
        .size:           8
        .value_kind:     hidden_global_offset_y
      - .offset:         112
        .size:           8
        .value_kind:     hidden_global_offset_z
      - .offset:         120
        .size:           2
        .value_kind:     hidden_grid_dims
      - .offset:         176
        .size:           4
        .value_kind:     hidden_dynamic_lds_size
    .group_segment_fixed_size: 0
    .kernarg_segment_align: 8
    .kernarg_segment_size: 312
    .language:       OpenCL C
    .language_version:
      - 2
      - 0
    .max_flat_workgroup_size: 512
    .name:           _ZN9rocsolver6v33100L23getf2_npvt_small_kernelILi41E19rocblas_complex_numIfEiiPS3_EEvT1_T3_lS5_lPT2_S5_S5_
    .private_segment_fixed_size: 20
    .sgpr_count:     17
    .sgpr_spill_count: 0
    .symbol:         _ZN9rocsolver6v33100L23getf2_npvt_small_kernelILi41E19rocblas_complex_numIfEiiPS3_EEvT1_T3_lS5_lPT2_S5_S5_.kd
    .uniform_work_group_size: 1
    .uses_dynamic_stack: false
    .vgpr_count:     256
    .vgpr_spill_count: 4
    .wavefront_size: 32
  - .args:
      - .offset:         0
        .size:           4
        .value_kind:     by_value
      - .address_space:  global
        .offset:         8
        .size:           8
        .value_kind:     global_buffer
      - .offset:         16
        .size:           8
        .value_kind:     by_value
      - .offset:         24
        .size:           4
        .value_kind:     by_value
      - .offset:         32
        .size:           8
        .value_kind:     by_value
      - .address_space:  global
        .offset:         40
        .size:           8
        .value_kind:     global_buffer
      - .offset:         48
        .size:           8
        .value_kind:     by_value
      - .offset:         56
        .size:           8
        .value_kind:     by_value
      - .address_space:  global
        .offset:         64
        .size:           8
        .value_kind:     global_buffer
      - .offset:         72
        .size:           4
        .value_kind:     by_value
      - .offset:         76
        .size:           4
        .value_kind:     by_value
      - .address_space:  global
        .offset:         80
        .size:           8
        .value_kind:     global_buffer
      - .offset:         88
        .size:           8
        .value_kind:     by_value
      - .offset:         96
        .size:           4
        .value_kind:     hidden_block_count_x
      - .offset:         100
        .size:           4
        .value_kind:     hidden_block_count_y
      - .offset:         104
        .size:           4
        .value_kind:     hidden_block_count_z
      - .offset:         108
        .size:           2
        .value_kind:     hidden_group_size_x
      - .offset:         110
        .size:           2
        .value_kind:     hidden_group_size_y
      - .offset:         112
        .size:           2
        .value_kind:     hidden_group_size_z
      - .offset:         114
        .size:           2
        .value_kind:     hidden_remainder_x
      - .offset:         116
        .size:           2
        .value_kind:     hidden_remainder_y
      - .offset:         118
        .size:           2
        .value_kind:     hidden_remainder_z
      - .offset:         136
        .size:           8
        .value_kind:     hidden_global_offset_x
      - .offset:         144
        .size:           8
        .value_kind:     hidden_global_offset_y
      - .offset:         152
        .size:           8
        .value_kind:     hidden_global_offset_z
      - .offset:         160
        .size:           2
        .value_kind:     hidden_grid_dims
      - .offset:         216
        .size:           4
        .value_kind:     hidden_dynamic_lds_size
    .group_segment_fixed_size: 0
    .kernarg_segment_align: 8
    .kernarg_segment_size: 352
    .language:       OpenCL C
    .language_version:
      - 2
      - 0
    .max_flat_workgroup_size: 512
    .name:           _ZN9rocsolver6v33100L18getf2_small_kernelILi42E19rocblas_complex_numIfEiiPS3_EEvT1_T3_lS5_lPS5_llPT2_S5_S5_S7_l
    .private_segment_fixed_size: 0
    .sgpr_count:     21
    .sgpr_spill_count: 0
    .symbol:         _ZN9rocsolver6v33100L18getf2_small_kernelILi42E19rocblas_complex_numIfEiiPS3_EEvT1_T3_lS5_lPS5_llPT2_S5_S5_S7_l.kd
    .uniform_work_group_size: 1
    .uses_dynamic_stack: false
    .vgpr_count:     114
    .vgpr_spill_count: 0
    .wavefront_size: 32
  - .args:
      - .offset:         0
        .size:           4
        .value_kind:     by_value
      - .address_space:  global
        .offset:         8
        .size:           8
        .value_kind:     global_buffer
      - .offset:         16
        .size:           8
        .value_kind:     by_value
      - .offset:         24
        .size:           4
        .value_kind:     by_value
      - .offset:         32
        .size:           8
        .value_kind:     by_value
      - .address_space:  global
        .offset:         40
        .size:           8
        .value_kind:     global_buffer
      - .offset:         48
        .size:           4
        .value_kind:     by_value
      - .offset:         52
        .size:           4
        .value_kind:     by_value
      - .offset:         56
        .size:           4
        .value_kind:     hidden_block_count_x
      - .offset:         60
        .size:           4
        .value_kind:     hidden_block_count_y
      - .offset:         64
        .size:           4
        .value_kind:     hidden_block_count_z
      - .offset:         68
        .size:           2
        .value_kind:     hidden_group_size_x
      - .offset:         70
        .size:           2
        .value_kind:     hidden_group_size_y
      - .offset:         72
        .size:           2
        .value_kind:     hidden_group_size_z
      - .offset:         74
        .size:           2
        .value_kind:     hidden_remainder_x
      - .offset:         76
        .size:           2
        .value_kind:     hidden_remainder_y
      - .offset:         78
        .size:           2
        .value_kind:     hidden_remainder_z
      - .offset:         96
        .size:           8
        .value_kind:     hidden_global_offset_x
      - .offset:         104
        .size:           8
        .value_kind:     hidden_global_offset_y
      - .offset:         112
        .size:           8
        .value_kind:     hidden_global_offset_z
      - .offset:         120
        .size:           2
        .value_kind:     hidden_grid_dims
      - .offset:         176
        .size:           4
        .value_kind:     hidden_dynamic_lds_size
    .group_segment_fixed_size: 0
    .kernarg_segment_align: 8
    .kernarg_segment_size: 312
    .language:       OpenCL C
    .language_version:
      - 2
      - 0
    .max_flat_workgroup_size: 512
    .name:           _ZN9rocsolver6v33100L23getf2_npvt_small_kernelILi42E19rocblas_complex_numIfEiiPS3_EEvT1_T3_lS5_lPT2_S5_S5_
    .private_segment_fixed_size: 44
    .sgpr_count:     17
    .sgpr_spill_count: 0
    .symbol:         _ZN9rocsolver6v33100L23getf2_npvt_small_kernelILi42E19rocblas_complex_numIfEiiPS3_EEvT1_T3_lS5_lPT2_S5_S5_.kd
    .uniform_work_group_size: 1
    .uses_dynamic_stack: false
    .vgpr_count:     256
    .vgpr_spill_count: 10
    .wavefront_size: 32
  - .args:
      - .offset:         0
        .size:           4
        .value_kind:     by_value
      - .address_space:  global
        .offset:         8
        .size:           8
        .value_kind:     global_buffer
      - .offset:         16
        .size:           8
        .value_kind:     by_value
      - .offset:         24
        .size:           4
        .value_kind:     by_value
      - .offset:         32
        .size:           8
        .value_kind:     by_value
      - .address_space:  global
        .offset:         40
        .size:           8
        .value_kind:     global_buffer
      - .offset:         48
        .size:           8
        .value_kind:     by_value
      - .offset:         56
        .size:           8
        .value_kind:     by_value
      - .address_space:  global
        .offset:         64
        .size:           8
        .value_kind:     global_buffer
      - .offset:         72
        .size:           4
        .value_kind:     by_value
      - .offset:         76
        .size:           4
        .value_kind:     by_value
      - .address_space:  global
        .offset:         80
        .size:           8
        .value_kind:     global_buffer
      - .offset:         88
        .size:           8
        .value_kind:     by_value
      - .offset:         96
        .size:           4
        .value_kind:     hidden_block_count_x
      - .offset:         100
        .size:           4
        .value_kind:     hidden_block_count_y
      - .offset:         104
        .size:           4
        .value_kind:     hidden_block_count_z
      - .offset:         108
        .size:           2
        .value_kind:     hidden_group_size_x
      - .offset:         110
        .size:           2
        .value_kind:     hidden_group_size_y
      - .offset:         112
        .size:           2
        .value_kind:     hidden_group_size_z
      - .offset:         114
        .size:           2
        .value_kind:     hidden_remainder_x
      - .offset:         116
        .size:           2
        .value_kind:     hidden_remainder_y
      - .offset:         118
        .size:           2
        .value_kind:     hidden_remainder_z
      - .offset:         136
        .size:           8
        .value_kind:     hidden_global_offset_x
      - .offset:         144
        .size:           8
        .value_kind:     hidden_global_offset_y
      - .offset:         152
        .size:           8
        .value_kind:     hidden_global_offset_z
      - .offset:         160
        .size:           2
        .value_kind:     hidden_grid_dims
      - .offset:         216
        .size:           4
        .value_kind:     hidden_dynamic_lds_size
    .group_segment_fixed_size: 0
    .kernarg_segment_align: 8
    .kernarg_segment_size: 352
    .language:       OpenCL C
    .language_version:
      - 2
      - 0
    .max_flat_workgroup_size: 512
    .name:           _ZN9rocsolver6v33100L18getf2_small_kernelILi43E19rocblas_complex_numIfEiiPS3_EEvT1_T3_lS5_lPS5_llPT2_S5_S5_S7_l
    .private_segment_fixed_size: 0
    .sgpr_count:     22
    .sgpr_spill_count: 0
    .symbol:         _ZN9rocsolver6v33100L18getf2_small_kernelILi43E19rocblas_complex_numIfEiiPS3_EEvT1_T3_lS5_lPS5_llPT2_S5_S5_S7_l.kd
    .uniform_work_group_size: 1
    .uses_dynamic_stack: false
    .vgpr_count:     112
    .vgpr_spill_count: 0
    .wavefront_size: 32
  - .args:
      - .offset:         0
        .size:           4
        .value_kind:     by_value
      - .address_space:  global
        .offset:         8
        .size:           8
        .value_kind:     global_buffer
      - .offset:         16
        .size:           8
        .value_kind:     by_value
      - .offset:         24
        .size:           4
        .value_kind:     by_value
      - .offset:         32
        .size:           8
        .value_kind:     by_value
      - .address_space:  global
        .offset:         40
        .size:           8
        .value_kind:     global_buffer
      - .offset:         48
        .size:           4
        .value_kind:     by_value
      - .offset:         52
        .size:           4
        .value_kind:     by_value
      - .offset:         56
        .size:           4
        .value_kind:     hidden_block_count_x
      - .offset:         60
        .size:           4
        .value_kind:     hidden_block_count_y
      - .offset:         64
        .size:           4
        .value_kind:     hidden_block_count_z
      - .offset:         68
        .size:           2
        .value_kind:     hidden_group_size_x
      - .offset:         70
        .size:           2
        .value_kind:     hidden_group_size_y
      - .offset:         72
        .size:           2
        .value_kind:     hidden_group_size_z
      - .offset:         74
        .size:           2
        .value_kind:     hidden_remainder_x
      - .offset:         76
        .size:           2
        .value_kind:     hidden_remainder_y
      - .offset:         78
        .size:           2
        .value_kind:     hidden_remainder_z
      - .offset:         96
        .size:           8
        .value_kind:     hidden_global_offset_x
      - .offset:         104
        .size:           8
        .value_kind:     hidden_global_offset_y
      - .offset:         112
        .size:           8
        .value_kind:     hidden_global_offset_z
      - .offset:         120
        .size:           2
        .value_kind:     hidden_grid_dims
      - .offset:         176
        .size:           4
        .value_kind:     hidden_dynamic_lds_size
    .group_segment_fixed_size: 0
    .kernarg_segment_align: 8
    .kernarg_segment_size: 312
    .language:       OpenCL C
    .language_version:
      - 2
      - 0
    .max_flat_workgroup_size: 512
    .name:           _ZN9rocsolver6v33100L23getf2_npvt_small_kernelILi43E19rocblas_complex_numIfEiiPS3_EEvT1_T3_lS5_lPT2_S5_S5_
    .private_segment_fixed_size: 68
    .sgpr_count:     17
    .sgpr_spill_count: 0
    .symbol:         _ZN9rocsolver6v33100L23getf2_npvt_small_kernelILi43E19rocblas_complex_numIfEiiPS3_EEvT1_T3_lS5_lPT2_S5_S5_.kd
    .uniform_work_group_size: 1
    .uses_dynamic_stack: false
    .vgpr_count:     256
    .vgpr_spill_count: 16
    .wavefront_size: 32
  - .args:
      - .offset:         0
        .size:           4
        .value_kind:     by_value
      - .address_space:  global
        .offset:         8
        .size:           8
        .value_kind:     global_buffer
      - .offset:         16
        .size:           8
        .value_kind:     by_value
      - .offset:         24
        .size:           4
        .value_kind:     by_value
      - .offset:         32
        .size:           8
        .value_kind:     by_value
      - .address_space:  global
        .offset:         40
        .size:           8
        .value_kind:     global_buffer
      - .offset:         48
        .size:           8
        .value_kind:     by_value
      - .offset:         56
        .size:           8
        .value_kind:     by_value
      - .address_space:  global
        .offset:         64
        .size:           8
        .value_kind:     global_buffer
      - .offset:         72
        .size:           4
        .value_kind:     by_value
      - .offset:         76
        .size:           4
        .value_kind:     by_value
      - .address_space:  global
        .offset:         80
        .size:           8
        .value_kind:     global_buffer
      - .offset:         88
        .size:           8
        .value_kind:     by_value
      - .offset:         96
        .size:           4
        .value_kind:     hidden_block_count_x
      - .offset:         100
        .size:           4
        .value_kind:     hidden_block_count_y
      - .offset:         104
        .size:           4
        .value_kind:     hidden_block_count_z
      - .offset:         108
        .size:           2
        .value_kind:     hidden_group_size_x
      - .offset:         110
        .size:           2
        .value_kind:     hidden_group_size_y
      - .offset:         112
        .size:           2
        .value_kind:     hidden_group_size_z
      - .offset:         114
        .size:           2
        .value_kind:     hidden_remainder_x
      - .offset:         116
        .size:           2
        .value_kind:     hidden_remainder_y
      - .offset:         118
        .size:           2
        .value_kind:     hidden_remainder_z
      - .offset:         136
        .size:           8
        .value_kind:     hidden_global_offset_x
      - .offset:         144
        .size:           8
        .value_kind:     hidden_global_offset_y
      - .offset:         152
        .size:           8
        .value_kind:     hidden_global_offset_z
      - .offset:         160
        .size:           2
        .value_kind:     hidden_grid_dims
      - .offset:         216
        .size:           4
        .value_kind:     hidden_dynamic_lds_size
    .group_segment_fixed_size: 0
    .kernarg_segment_align: 8
    .kernarg_segment_size: 352
    .language:       OpenCL C
    .language_version:
      - 2
      - 0
    .max_flat_workgroup_size: 512
    .name:           _ZN9rocsolver6v33100L18getf2_small_kernelILi44E19rocblas_complex_numIfEiiPS3_EEvT1_T3_lS5_lPS5_llPT2_S5_S5_S7_l
    .private_segment_fixed_size: 0
    .sgpr_count:     21
    .sgpr_spill_count: 0
    .symbol:         _ZN9rocsolver6v33100L18getf2_small_kernelILi44E19rocblas_complex_numIfEiiPS3_EEvT1_T3_lS5_lPS5_llPT2_S5_S5_S7_l.kd
    .uniform_work_group_size: 1
    .uses_dynamic_stack: false
    .vgpr_count:     128
    .vgpr_spill_count: 0
    .wavefront_size: 32
  - .args:
      - .offset:         0
        .size:           4
        .value_kind:     by_value
      - .address_space:  global
        .offset:         8
        .size:           8
        .value_kind:     global_buffer
      - .offset:         16
        .size:           8
        .value_kind:     by_value
      - .offset:         24
        .size:           4
        .value_kind:     by_value
      - .offset:         32
        .size:           8
        .value_kind:     by_value
      - .address_space:  global
        .offset:         40
        .size:           8
        .value_kind:     global_buffer
      - .offset:         48
        .size:           4
        .value_kind:     by_value
      - .offset:         52
        .size:           4
        .value_kind:     by_value
      - .offset:         56
        .size:           4
        .value_kind:     hidden_block_count_x
      - .offset:         60
        .size:           4
        .value_kind:     hidden_block_count_y
      - .offset:         64
        .size:           4
        .value_kind:     hidden_block_count_z
      - .offset:         68
        .size:           2
        .value_kind:     hidden_group_size_x
      - .offset:         70
        .size:           2
        .value_kind:     hidden_group_size_y
      - .offset:         72
        .size:           2
        .value_kind:     hidden_group_size_z
      - .offset:         74
        .size:           2
        .value_kind:     hidden_remainder_x
      - .offset:         76
        .size:           2
        .value_kind:     hidden_remainder_y
      - .offset:         78
        .size:           2
        .value_kind:     hidden_remainder_z
      - .offset:         96
        .size:           8
        .value_kind:     hidden_global_offset_x
      - .offset:         104
        .size:           8
        .value_kind:     hidden_global_offset_y
      - .offset:         112
        .size:           8
        .value_kind:     hidden_global_offset_z
      - .offset:         120
        .size:           2
        .value_kind:     hidden_grid_dims
      - .offset:         176
        .size:           4
        .value_kind:     hidden_dynamic_lds_size
    .group_segment_fixed_size: 0
    .kernarg_segment_align: 8
    .kernarg_segment_size: 312
    .language:       OpenCL C
    .language_version:
      - 2
      - 0
    .max_flat_workgroup_size: 512
    .name:           _ZN9rocsolver6v33100L23getf2_npvt_small_kernelILi44E19rocblas_complex_numIfEiiPS3_EEvT1_T3_lS5_lPT2_S5_S5_
    .private_segment_fixed_size: 92
    .sgpr_count:     17
    .sgpr_spill_count: 0
    .symbol:         _ZN9rocsolver6v33100L23getf2_npvt_small_kernelILi44E19rocblas_complex_numIfEiiPS3_EEvT1_T3_lS5_lPT2_S5_S5_.kd
    .uniform_work_group_size: 1
    .uses_dynamic_stack: false
    .vgpr_count:     256
    .vgpr_spill_count: 22
    .wavefront_size: 32
  - .args:
      - .offset:         0
        .size:           4
        .value_kind:     by_value
      - .address_space:  global
        .offset:         8
        .size:           8
        .value_kind:     global_buffer
      - .offset:         16
        .size:           8
        .value_kind:     by_value
      - .offset:         24
        .size:           4
        .value_kind:     by_value
      - .offset:         32
        .size:           8
        .value_kind:     by_value
      - .address_space:  global
        .offset:         40
        .size:           8
        .value_kind:     global_buffer
      - .offset:         48
        .size:           8
        .value_kind:     by_value
      - .offset:         56
        .size:           8
        .value_kind:     by_value
      - .address_space:  global
        .offset:         64
        .size:           8
        .value_kind:     global_buffer
      - .offset:         72
        .size:           4
        .value_kind:     by_value
      - .offset:         76
        .size:           4
        .value_kind:     by_value
      - .address_space:  global
        .offset:         80
        .size:           8
        .value_kind:     global_buffer
      - .offset:         88
        .size:           8
        .value_kind:     by_value
      - .offset:         96
        .size:           4
        .value_kind:     hidden_block_count_x
      - .offset:         100
        .size:           4
        .value_kind:     hidden_block_count_y
      - .offset:         104
        .size:           4
        .value_kind:     hidden_block_count_z
      - .offset:         108
        .size:           2
        .value_kind:     hidden_group_size_x
      - .offset:         110
        .size:           2
        .value_kind:     hidden_group_size_y
      - .offset:         112
        .size:           2
        .value_kind:     hidden_group_size_z
      - .offset:         114
        .size:           2
        .value_kind:     hidden_remainder_x
      - .offset:         116
        .size:           2
        .value_kind:     hidden_remainder_y
      - .offset:         118
        .size:           2
        .value_kind:     hidden_remainder_z
      - .offset:         136
        .size:           8
        .value_kind:     hidden_global_offset_x
      - .offset:         144
        .size:           8
        .value_kind:     hidden_global_offset_y
      - .offset:         152
        .size:           8
        .value_kind:     hidden_global_offset_z
      - .offset:         160
        .size:           2
        .value_kind:     hidden_grid_dims
      - .offset:         216
        .size:           4
        .value_kind:     hidden_dynamic_lds_size
    .group_segment_fixed_size: 0
    .kernarg_segment_align: 8
    .kernarg_segment_size: 352
    .language:       OpenCL C
    .language_version:
      - 2
      - 0
    .max_flat_workgroup_size: 512
    .name:           _ZN9rocsolver6v33100L18getf2_small_kernelILi45E19rocblas_complex_numIfEiiPS3_EEvT1_T3_lS5_lPS5_llPT2_S5_S5_S7_l
    .private_segment_fixed_size: 0
    .sgpr_count:     21
    .sgpr_spill_count: 0
    .symbol:         _ZN9rocsolver6v33100L18getf2_small_kernelILi45E19rocblas_complex_numIfEiiPS3_EEvT1_T3_lS5_lPS5_llPT2_S5_S5_S7_l.kd
    .uniform_work_group_size: 1
    .uses_dynamic_stack: false
    .vgpr_count:     130
    .vgpr_spill_count: 0
    .wavefront_size: 32
  - .args:
      - .offset:         0
        .size:           4
        .value_kind:     by_value
      - .address_space:  global
        .offset:         8
        .size:           8
        .value_kind:     global_buffer
      - .offset:         16
        .size:           8
        .value_kind:     by_value
      - .offset:         24
        .size:           4
        .value_kind:     by_value
      - .offset:         32
        .size:           8
        .value_kind:     by_value
      - .address_space:  global
        .offset:         40
        .size:           8
        .value_kind:     global_buffer
      - .offset:         48
        .size:           4
        .value_kind:     by_value
      - .offset:         52
        .size:           4
        .value_kind:     by_value
      - .offset:         56
        .size:           4
        .value_kind:     hidden_block_count_x
      - .offset:         60
        .size:           4
        .value_kind:     hidden_block_count_y
      - .offset:         64
        .size:           4
        .value_kind:     hidden_block_count_z
      - .offset:         68
        .size:           2
        .value_kind:     hidden_group_size_x
      - .offset:         70
        .size:           2
        .value_kind:     hidden_group_size_y
      - .offset:         72
        .size:           2
        .value_kind:     hidden_group_size_z
      - .offset:         74
        .size:           2
        .value_kind:     hidden_remainder_x
      - .offset:         76
        .size:           2
        .value_kind:     hidden_remainder_y
      - .offset:         78
        .size:           2
        .value_kind:     hidden_remainder_z
      - .offset:         96
        .size:           8
        .value_kind:     hidden_global_offset_x
      - .offset:         104
        .size:           8
        .value_kind:     hidden_global_offset_y
      - .offset:         112
        .size:           8
        .value_kind:     hidden_global_offset_z
      - .offset:         120
        .size:           2
        .value_kind:     hidden_grid_dims
      - .offset:         176
        .size:           4
        .value_kind:     hidden_dynamic_lds_size
    .group_segment_fixed_size: 0
    .kernarg_segment_align: 8
    .kernarg_segment_size: 312
    .language:       OpenCL C
    .language_version:
      - 2
      - 0
    .max_flat_workgroup_size: 512
    .name:           _ZN9rocsolver6v33100L23getf2_npvt_small_kernelILi45E19rocblas_complex_numIfEiiPS3_EEvT1_T3_lS5_lPT2_S5_S5_
    .private_segment_fixed_size: 116
    .sgpr_count:     17
    .sgpr_spill_count: 0
    .symbol:         _ZN9rocsolver6v33100L23getf2_npvt_small_kernelILi45E19rocblas_complex_numIfEiiPS3_EEvT1_T3_lS5_lPT2_S5_S5_.kd
    .uniform_work_group_size: 1
    .uses_dynamic_stack: false
    .vgpr_count:     256
    .vgpr_spill_count: 28
    .wavefront_size: 32
  - .args:
      - .offset:         0
        .size:           4
        .value_kind:     by_value
      - .address_space:  global
        .offset:         8
        .size:           8
        .value_kind:     global_buffer
      - .offset:         16
        .size:           8
        .value_kind:     by_value
      - .offset:         24
        .size:           4
        .value_kind:     by_value
      - .offset:         32
        .size:           8
        .value_kind:     by_value
      - .address_space:  global
        .offset:         40
        .size:           8
        .value_kind:     global_buffer
      - .offset:         48
        .size:           8
        .value_kind:     by_value
      - .offset:         56
        .size:           8
        .value_kind:     by_value
      - .address_space:  global
        .offset:         64
        .size:           8
        .value_kind:     global_buffer
      - .offset:         72
        .size:           4
        .value_kind:     by_value
      - .offset:         76
        .size:           4
        .value_kind:     by_value
      - .address_space:  global
        .offset:         80
        .size:           8
        .value_kind:     global_buffer
      - .offset:         88
        .size:           8
        .value_kind:     by_value
      - .offset:         96
        .size:           4
        .value_kind:     hidden_block_count_x
      - .offset:         100
        .size:           4
        .value_kind:     hidden_block_count_y
      - .offset:         104
        .size:           4
        .value_kind:     hidden_block_count_z
      - .offset:         108
        .size:           2
        .value_kind:     hidden_group_size_x
      - .offset:         110
        .size:           2
        .value_kind:     hidden_group_size_y
      - .offset:         112
        .size:           2
        .value_kind:     hidden_group_size_z
      - .offset:         114
        .size:           2
        .value_kind:     hidden_remainder_x
      - .offset:         116
        .size:           2
        .value_kind:     hidden_remainder_y
      - .offset:         118
        .size:           2
        .value_kind:     hidden_remainder_z
      - .offset:         136
        .size:           8
        .value_kind:     hidden_global_offset_x
      - .offset:         144
        .size:           8
        .value_kind:     hidden_global_offset_y
      - .offset:         152
        .size:           8
        .value_kind:     hidden_global_offset_z
      - .offset:         160
        .size:           2
        .value_kind:     hidden_grid_dims
      - .offset:         216
        .size:           4
        .value_kind:     hidden_dynamic_lds_size
    .group_segment_fixed_size: 0
    .kernarg_segment_align: 8
    .kernarg_segment_size: 352
    .language:       OpenCL C
    .language_version:
      - 2
      - 0
    .max_flat_workgroup_size: 512
    .name:           _ZN9rocsolver6v33100L18getf2_small_kernelILi46E19rocblas_complex_numIfEiiPS3_EEvT1_T3_lS5_lPS5_llPT2_S5_S5_S7_l
    .private_segment_fixed_size: 0
    .sgpr_count:     21
    .sgpr_spill_count: 0
    .symbol:         _ZN9rocsolver6v33100L18getf2_small_kernelILi46E19rocblas_complex_numIfEiiPS3_EEvT1_T3_lS5_lPS5_llPT2_S5_S5_S7_l.kd
    .uniform_work_group_size: 1
    .uses_dynamic_stack: false
    .vgpr_count:     128
    .vgpr_spill_count: 0
    .wavefront_size: 32
  - .args:
      - .offset:         0
        .size:           4
        .value_kind:     by_value
      - .address_space:  global
        .offset:         8
        .size:           8
        .value_kind:     global_buffer
      - .offset:         16
        .size:           8
        .value_kind:     by_value
      - .offset:         24
        .size:           4
        .value_kind:     by_value
      - .offset:         32
        .size:           8
        .value_kind:     by_value
      - .address_space:  global
        .offset:         40
        .size:           8
        .value_kind:     global_buffer
      - .offset:         48
        .size:           4
        .value_kind:     by_value
      - .offset:         52
        .size:           4
        .value_kind:     by_value
      - .offset:         56
        .size:           4
        .value_kind:     hidden_block_count_x
      - .offset:         60
        .size:           4
        .value_kind:     hidden_block_count_y
      - .offset:         64
        .size:           4
        .value_kind:     hidden_block_count_z
      - .offset:         68
        .size:           2
        .value_kind:     hidden_group_size_x
      - .offset:         70
        .size:           2
        .value_kind:     hidden_group_size_y
      - .offset:         72
        .size:           2
        .value_kind:     hidden_group_size_z
      - .offset:         74
        .size:           2
        .value_kind:     hidden_remainder_x
      - .offset:         76
        .size:           2
        .value_kind:     hidden_remainder_y
      - .offset:         78
        .size:           2
        .value_kind:     hidden_remainder_z
      - .offset:         96
        .size:           8
        .value_kind:     hidden_global_offset_x
      - .offset:         104
        .size:           8
        .value_kind:     hidden_global_offset_y
      - .offset:         112
        .size:           8
        .value_kind:     hidden_global_offset_z
      - .offset:         120
        .size:           2
        .value_kind:     hidden_grid_dims
      - .offset:         176
        .size:           4
        .value_kind:     hidden_dynamic_lds_size
    .group_segment_fixed_size: 0
    .kernarg_segment_align: 8
    .kernarg_segment_size: 312
    .language:       OpenCL C
    .language_version:
      - 2
      - 0
    .max_flat_workgroup_size: 512
    .name:           _ZN9rocsolver6v33100L23getf2_npvt_small_kernelILi46E19rocblas_complex_numIfEiiPS3_EEvT1_T3_lS5_lPT2_S5_S5_
    .private_segment_fixed_size: 140
    .sgpr_count:     17
    .sgpr_spill_count: 0
    .symbol:         _ZN9rocsolver6v33100L23getf2_npvt_small_kernelILi46E19rocblas_complex_numIfEiiPS3_EEvT1_T3_lS5_lPT2_S5_S5_.kd
    .uniform_work_group_size: 1
    .uses_dynamic_stack: false
    .vgpr_count:     256
    .vgpr_spill_count: 34
    .wavefront_size: 32
  - .args:
      - .offset:         0
        .size:           4
        .value_kind:     by_value
      - .address_space:  global
        .offset:         8
        .size:           8
        .value_kind:     global_buffer
      - .offset:         16
        .size:           8
        .value_kind:     by_value
      - .offset:         24
        .size:           4
        .value_kind:     by_value
      - .offset:         32
        .size:           8
        .value_kind:     by_value
      - .address_space:  global
        .offset:         40
        .size:           8
        .value_kind:     global_buffer
      - .offset:         48
        .size:           8
        .value_kind:     by_value
      - .offset:         56
        .size:           8
        .value_kind:     by_value
      - .address_space:  global
        .offset:         64
        .size:           8
        .value_kind:     global_buffer
      - .offset:         72
        .size:           4
        .value_kind:     by_value
      - .offset:         76
        .size:           4
        .value_kind:     by_value
      - .address_space:  global
        .offset:         80
        .size:           8
        .value_kind:     global_buffer
      - .offset:         88
        .size:           8
        .value_kind:     by_value
      - .offset:         96
        .size:           4
        .value_kind:     hidden_block_count_x
      - .offset:         100
        .size:           4
        .value_kind:     hidden_block_count_y
      - .offset:         104
        .size:           4
        .value_kind:     hidden_block_count_z
      - .offset:         108
        .size:           2
        .value_kind:     hidden_group_size_x
      - .offset:         110
        .size:           2
        .value_kind:     hidden_group_size_y
      - .offset:         112
        .size:           2
        .value_kind:     hidden_group_size_z
      - .offset:         114
        .size:           2
        .value_kind:     hidden_remainder_x
      - .offset:         116
        .size:           2
        .value_kind:     hidden_remainder_y
      - .offset:         118
        .size:           2
        .value_kind:     hidden_remainder_z
      - .offset:         136
        .size:           8
        .value_kind:     hidden_global_offset_x
      - .offset:         144
        .size:           8
        .value_kind:     hidden_global_offset_y
      - .offset:         152
        .size:           8
        .value_kind:     hidden_global_offset_z
      - .offset:         160
        .size:           2
        .value_kind:     hidden_grid_dims
      - .offset:         216
        .size:           4
        .value_kind:     hidden_dynamic_lds_size
    .group_segment_fixed_size: 0
    .kernarg_segment_align: 8
    .kernarg_segment_size: 352
    .language:       OpenCL C
    .language_version:
      - 2
      - 0
    .max_flat_workgroup_size: 512
    .name:           _ZN9rocsolver6v33100L18getf2_small_kernelILi47E19rocblas_complex_numIfEiiPS3_EEvT1_T3_lS5_lPS5_llPT2_S5_S5_S7_l
    .private_segment_fixed_size: 0
    .sgpr_count:     21
    .sgpr_spill_count: 0
    .symbol:         _ZN9rocsolver6v33100L18getf2_small_kernelILi47E19rocblas_complex_numIfEiiPS3_EEvT1_T3_lS5_lPS5_llPT2_S5_S5_S7_l.kd
    .uniform_work_group_size: 1
    .uses_dynamic_stack: false
    .vgpr_count:     128
    .vgpr_spill_count: 0
    .wavefront_size: 32
  - .args:
      - .offset:         0
        .size:           4
        .value_kind:     by_value
      - .address_space:  global
        .offset:         8
        .size:           8
        .value_kind:     global_buffer
      - .offset:         16
        .size:           8
        .value_kind:     by_value
      - .offset:         24
        .size:           4
        .value_kind:     by_value
      - .offset:         32
        .size:           8
        .value_kind:     by_value
      - .address_space:  global
        .offset:         40
        .size:           8
        .value_kind:     global_buffer
      - .offset:         48
        .size:           4
        .value_kind:     by_value
      - .offset:         52
        .size:           4
        .value_kind:     by_value
      - .offset:         56
        .size:           4
        .value_kind:     hidden_block_count_x
      - .offset:         60
        .size:           4
        .value_kind:     hidden_block_count_y
      - .offset:         64
        .size:           4
        .value_kind:     hidden_block_count_z
      - .offset:         68
        .size:           2
        .value_kind:     hidden_group_size_x
      - .offset:         70
        .size:           2
        .value_kind:     hidden_group_size_y
      - .offset:         72
        .size:           2
        .value_kind:     hidden_group_size_z
      - .offset:         74
        .size:           2
        .value_kind:     hidden_remainder_x
      - .offset:         76
        .size:           2
        .value_kind:     hidden_remainder_y
      - .offset:         78
        .size:           2
        .value_kind:     hidden_remainder_z
      - .offset:         96
        .size:           8
        .value_kind:     hidden_global_offset_x
      - .offset:         104
        .size:           8
        .value_kind:     hidden_global_offset_y
      - .offset:         112
        .size:           8
        .value_kind:     hidden_global_offset_z
      - .offset:         120
        .size:           2
        .value_kind:     hidden_grid_dims
      - .offset:         176
        .size:           4
        .value_kind:     hidden_dynamic_lds_size
    .group_segment_fixed_size: 0
    .kernarg_segment_align: 8
    .kernarg_segment_size: 312
    .language:       OpenCL C
    .language_version:
      - 2
      - 0
    .max_flat_workgroup_size: 512
    .name:           _ZN9rocsolver6v33100L23getf2_npvt_small_kernelILi47E19rocblas_complex_numIfEiiPS3_EEvT1_T3_lS5_lPT2_S5_S5_
    .private_segment_fixed_size: 164
    .sgpr_count:     17
    .sgpr_spill_count: 0
    .symbol:         _ZN9rocsolver6v33100L23getf2_npvt_small_kernelILi47E19rocblas_complex_numIfEiiPS3_EEvT1_T3_lS5_lPT2_S5_S5_.kd
    .uniform_work_group_size: 1
    .uses_dynamic_stack: false
    .vgpr_count:     256
    .vgpr_spill_count: 40
    .wavefront_size: 32
  - .args:
      - .offset:         0
        .size:           4
        .value_kind:     by_value
      - .address_space:  global
        .offset:         8
        .size:           8
        .value_kind:     global_buffer
      - .offset:         16
        .size:           8
        .value_kind:     by_value
      - .offset:         24
        .size:           4
        .value_kind:     by_value
      - .offset:         32
        .size:           8
        .value_kind:     by_value
      - .address_space:  global
        .offset:         40
        .size:           8
        .value_kind:     global_buffer
      - .offset:         48
        .size:           8
        .value_kind:     by_value
      - .offset:         56
        .size:           8
        .value_kind:     by_value
      - .address_space:  global
        .offset:         64
        .size:           8
        .value_kind:     global_buffer
      - .offset:         72
        .size:           4
        .value_kind:     by_value
      - .offset:         76
        .size:           4
        .value_kind:     by_value
      - .address_space:  global
        .offset:         80
        .size:           8
        .value_kind:     global_buffer
      - .offset:         88
        .size:           8
        .value_kind:     by_value
      - .offset:         96
        .size:           4
        .value_kind:     hidden_block_count_x
      - .offset:         100
        .size:           4
        .value_kind:     hidden_block_count_y
      - .offset:         104
        .size:           4
        .value_kind:     hidden_block_count_z
      - .offset:         108
        .size:           2
        .value_kind:     hidden_group_size_x
      - .offset:         110
        .size:           2
        .value_kind:     hidden_group_size_y
      - .offset:         112
        .size:           2
        .value_kind:     hidden_group_size_z
      - .offset:         114
        .size:           2
        .value_kind:     hidden_remainder_x
      - .offset:         116
        .size:           2
        .value_kind:     hidden_remainder_y
      - .offset:         118
        .size:           2
        .value_kind:     hidden_remainder_z
      - .offset:         136
        .size:           8
        .value_kind:     hidden_global_offset_x
      - .offset:         144
        .size:           8
        .value_kind:     hidden_global_offset_y
      - .offset:         152
        .size:           8
        .value_kind:     hidden_global_offset_z
      - .offset:         160
        .size:           2
        .value_kind:     hidden_grid_dims
      - .offset:         216
        .size:           4
        .value_kind:     hidden_dynamic_lds_size
    .group_segment_fixed_size: 0
    .kernarg_segment_align: 8
    .kernarg_segment_size: 352
    .language:       OpenCL C
    .language_version:
      - 2
      - 0
    .max_flat_workgroup_size: 512
    .name:           _ZN9rocsolver6v33100L18getf2_small_kernelILi48E19rocblas_complex_numIfEiiPS3_EEvT1_T3_lS5_lPS5_llPT2_S5_S5_S7_l
    .private_segment_fixed_size: 0
    .sgpr_count:     21
    .sgpr_spill_count: 0
    .symbol:         _ZN9rocsolver6v33100L18getf2_small_kernelILi48E19rocblas_complex_numIfEiiPS3_EEvT1_T3_lS5_lPS5_llPT2_S5_S5_S7_l.kd
    .uniform_work_group_size: 1
    .uses_dynamic_stack: false
    .vgpr_count:     128
    .vgpr_spill_count: 0
    .wavefront_size: 32
  - .args:
      - .offset:         0
        .size:           4
        .value_kind:     by_value
      - .address_space:  global
        .offset:         8
        .size:           8
        .value_kind:     global_buffer
      - .offset:         16
        .size:           8
        .value_kind:     by_value
      - .offset:         24
        .size:           4
        .value_kind:     by_value
      - .offset:         32
        .size:           8
        .value_kind:     by_value
      - .address_space:  global
        .offset:         40
        .size:           8
        .value_kind:     global_buffer
      - .offset:         48
        .size:           4
        .value_kind:     by_value
      - .offset:         52
        .size:           4
        .value_kind:     by_value
      - .offset:         56
        .size:           4
        .value_kind:     hidden_block_count_x
      - .offset:         60
        .size:           4
        .value_kind:     hidden_block_count_y
      - .offset:         64
        .size:           4
        .value_kind:     hidden_block_count_z
      - .offset:         68
        .size:           2
        .value_kind:     hidden_group_size_x
      - .offset:         70
        .size:           2
        .value_kind:     hidden_group_size_y
      - .offset:         72
        .size:           2
        .value_kind:     hidden_group_size_z
      - .offset:         74
        .size:           2
        .value_kind:     hidden_remainder_x
      - .offset:         76
        .size:           2
        .value_kind:     hidden_remainder_y
      - .offset:         78
        .size:           2
        .value_kind:     hidden_remainder_z
      - .offset:         96
        .size:           8
        .value_kind:     hidden_global_offset_x
      - .offset:         104
        .size:           8
        .value_kind:     hidden_global_offset_y
      - .offset:         112
        .size:           8
        .value_kind:     hidden_global_offset_z
      - .offset:         120
        .size:           2
        .value_kind:     hidden_grid_dims
      - .offset:         176
        .size:           4
        .value_kind:     hidden_dynamic_lds_size
    .group_segment_fixed_size: 0
    .kernarg_segment_align: 8
    .kernarg_segment_size: 312
    .language:       OpenCL C
    .language_version:
      - 2
      - 0
    .max_flat_workgroup_size: 512
    .name:           _ZN9rocsolver6v33100L23getf2_npvt_small_kernelILi48E19rocblas_complex_numIfEiiPS3_EEvT1_T3_lS5_lPT2_S5_S5_
    .private_segment_fixed_size: 188
    .sgpr_count:     17
    .sgpr_spill_count: 0
    .symbol:         _ZN9rocsolver6v33100L23getf2_npvt_small_kernelILi48E19rocblas_complex_numIfEiiPS3_EEvT1_T3_lS5_lPT2_S5_S5_.kd
    .uniform_work_group_size: 1
    .uses_dynamic_stack: false
    .vgpr_count:     256
    .vgpr_spill_count: 46
    .wavefront_size: 32
  - .args:
      - .offset:         0
        .size:           4
        .value_kind:     by_value
      - .address_space:  global
        .offset:         8
        .size:           8
        .value_kind:     global_buffer
      - .offset:         16
        .size:           8
        .value_kind:     by_value
      - .offset:         24
        .size:           4
        .value_kind:     by_value
      - .offset:         32
        .size:           8
        .value_kind:     by_value
      - .address_space:  global
        .offset:         40
        .size:           8
        .value_kind:     global_buffer
      - .offset:         48
        .size:           8
        .value_kind:     by_value
      - .offset:         56
        .size:           8
        .value_kind:     by_value
      - .address_space:  global
        .offset:         64
        .size:           8
        .value_kind:     global_buffer
      - .offset:         72
        .size:           4
        .value_kind:     by_value
      - .offset:         76
        .size:           4
        .value_kind:     by_value
      - .address_space:  global
        .offset:         80
        .size:           8
        .value_kind:     global_buffer
      - .offset:         88
        .size:           8
        .value_kind:     by_value
      - .offset:         96
        .size:           4
        .value_kind:     hidden_block_count_x
      - .offset:         100
        .size:           4
        .value_kind:     hidden_block_count_y
      - .offset:         104
        .size:           4
        .value_kind:     hidden_block_count_z
      - .offset:         108
        .size:           2
        .value_kind:     hidden_group_size_x
      - .offset:         110
        .size:           2
        .value_kind:     hidden_group_size_y
      - .offset:         112
        .size:           2
        .value_kind:     hidden_group_size_z
      - .offset:         114
        .size:           2
        .value_kind:     hidden_remainder_x
      - .offset:         116
        .size:           2
        .value_kind:     hidden_remainder_y
      - .offset:         118
        .size:           2
        .value_kind:     hidden_remainder_z
      - .offset:         136
        .size:           8
        .value_kind:     hidden_global_offset_x
      - .offset:         144
        .size:           8
        .value_kind:     hidden_global_offset_y
      - .offset:         152
        .size:           8
        .value_kind:     hidden_global_offset_z
      - .offset:         160
        .size:           2
        .value_kind:     hidden_grid_dims
      - .offset:         216
        .size:           4
        .value_kind:     hidden_dynamic_lds_size
    .group_segment_fixed_size: 0
    .kernarg_segment_align: 8
    .kernarg_segment_size: 352
    .language:       OpenCL C
    .language_version:
      - 2
      - 0
    .max_flat_workgroup_size: 512
    .name:           _ZN9rocsolver6v33100L18getf2_small_kernelILi49E19rocblas_complex_numIfEiiPS3_EEvT1_T3_lS5_lPS5_llPT2_S5_S5_S7_l
    .private_segment_fixed_size: 0
    .sgpr_count:     21
    .sgpr_spill_count: 0
    .symbol:         _ZN9rocsolver6v33100L18getf2_small_kernelILi49E19rocblas_complex_numIfEiiPS3_EEvT1_T3_lS5_lPS5_llPT2_S5_S5_S7_l.kd
    .uniform_work_group_size: 1
    .uses_dynamic_stack: false
    .vgpr_count:     128
    .vgpr_spill_count: 0
    .wavefront_size: 32
  - .args:
      - .offset:         0
        .size:           4
        .value_kind:     by_value
      - .address_space:  global
        .offset:         8
        .size:           8
        .value_kind:     global_buffer
      - .offset:         16
        .size:           8
        .value_kind:     by_value
      - .offset:         24
        .size:           4
        .value_kind:     by_value
      - .offset:         32
        .size:           8
        .value_kind:     by_value
      - .address_space:  global
        .offset:         40
        .size:           8
        .value_kind:     global_buffer
      - .offset:         48
        .size:           4
        .value_kind:     by_value
      - .offset:         52
        .size:           4
        .value_kind:     by_value
      - .offset:         56
        .size:           4
        .value_kind:     hidden_block_count_x
      - .offset:         60
        .size:           4
        .value_kind:     hidden_block_count_y
      - .offset:         64
        .size:           4
        .value_kind:     hidden_block_count_z
      - .offset:         68
        .size:           2
        .value_kind:     hidden_group_size_x
      - .offset:         70
        .size:           2
        .value_kind:     hidden_group_size_y
      - .offset:         72
        .size:           2
        .value_kind:     hidden_group_size_z
      - .offset:         74
        .size:           2
        .value_kind:     hidden_remainder_x
      - .offset:         76
        .size:           2
        .value_kind:     hidden_remainder_y
      - .offset:         78
        .size:           2
        .value_kind:     hidden_remainder_z
      - .offset:         96
        .size:           8
        .value_kind:     hidden_global_offset_x
      - .offset:         104
        .size:           8
        .value_kind:     hidden_global_offset_y
      - .offset:         112
        .size:           8
        .value_kind:     hidden_global_offset_z
      - .offset:         120
        .size:           2
        .value_kind:     hidden_grid_dims
      - .offset:         176
        .size:           4
        .value_kind:     hidden_dynamic_lds_size
    .group_segment_fixed_size: 0
    .kernarg_segment_align: 8
    .kernarg_segment_size: 312
    .language:       OpenCL C
    .language_version:
      - 2
      - 0
    .max_flat_workgroup_size: 512
    .name:           _ZN9rocsolver6v33100L23getf2_npvt_small_kernelILi49E19rocblas_complex_numIfEiiPS3_EEvT1_T3_lS5_lPT2_S5_S5_
    .private_segment_fixed_size: 212
    .sgpr_count:     17
    .sgpr_spill_count: 0
    .symbol:         _ZN9rocsolver6v33100L23getf2_npvt_small_kernelILi49E19rocblas_complex_numIfEiiPS3_EEvT1_T3_lS5_lPT2_S5_S5_.kd
    .uniform_work_group_size: 1
    .uses_dynamic_stack: false
    .vgpr_count:     256
    .vgpr_spill_count: 52
    .wavefront_size: 32
  - .args:
      - .offset:         0
        .size:           4
        .value_kind:     by_value
      - .address_space:  global
        .offset:         8
        .size:           8
        .value_kind:     global_buffer
      - .offset:         16
        .size:           8
        .value_kind:     by_value
      - .offset:         24
        .size:           4
        .value_kind:     by_value
      - .offset:         32
        .size:           8
        .value_kind:     by_value
      - .address_space:  global
        .offset:         40
        .size:           8
        .value_kind:     global_buffer
      - .offset:         48
        .size:           8
        .value_kind:     by_value
      - .offset:         56
        .size:           8
        .value_kind:     by_value
      - .address_space:  global
        .offset:         64
        .size:           8
        .value_kind:     global_buffer
      - .offset:         72
        .size:           4
        .value_kind:     by_value
      - .offset:         76
        .size:           4
        .value_kind:     by_value
      - .address_space:  global
        .offset:         80
        .size:           8
        .value_kind:     global_buffer
      - .offset:         88
        .size:           8
        .value_kind:     by_value
      - .offset:         96
        .size:           4
        .value_kind:     hidden_block_count_x
      - .offset:         100
        .size:           4
        .value_kind:     hidden_block_count_y
      - .offset:         104
        .size:           4
        .value_kind:     hidden_block_count_z
      - .offset:         108
        .size:           2
        .value_kind:     hidden_group_size_x
      - .offset:         110
        .size:           2
        .value_kind:     hidden_group_size_y
      - .offset:         112
        .size:           2
        .value_kind:     hidden_group_size_z
      - .offset:         114
        .size:           2
        .value_kind:     hidden_remainder_x
      - .offset:         116
        .size:           2
        .value_kind:     hidden_remainder_y
      - .offset:         118
        .size:           2
        .value_kind:     hidden_remainder_z
      - .offset:         136
        .size:           8
        .value_kind:     hidden_global_offset_x
      - .offset:         144
        .size:           8
        .value_kind:     hidden_global_offset_y
      - .offset:         152
        .size:           8
        .value_kind:     hidden_global_offset_z
      - .offset:         160
        .size:           2
        .value_kind:     hidden_grid_dims
      - .offset:         216
        .size:           4
        .value_kind:     hidden_dynamic_lds_size
    .group_segment_fixed_size: 0
    .kernarg_segment_align: 8
    .kernarg_segment_size: 352
    .language:       OpenCL C
    .language_version:
      - 2
      - 0
    .max_flat_workgroup_size: 512
    .name:           _ZN9rocsolver6v33100L18getf2_small_kernelILi50E19rocblas_complex_numIfEiiPS3_EEvT1_T3_lS5_lPS5_llPT2_S5_S5_S7_l
    .private_segment_fixed_size: 0
    .sgpr_count:     21
    .sgpr_spill_count: 0
    .symbol:         _ZN9rocsolver6v33100L18getf2_small_kernelILi50E19rocblas_complex_numIfEiiPS3_EEvT1_T3_lS5_lPS5_llPT2_S5_S5_S7_l.kd
    .uniform_work_group_size: 1
    .uses_dynamic_stack: false
    .vgpr_count:     130
    .vgpr_spill_count: 0
    .wavefront_size: 32
  - .args:
      - .offset:         0
        .size:           4
        .value_kind:     by_value
      - .address_space:  global
        .offset:         8
        .size:           8
        .value_kind:     global_buffer
      - .offset:         16
        .size:           8
        .value_kind:     by_value
      - .offset:         24
        .size:           4
        .value_kind:     by_value
      - .offset:         32
        .size:           8
        .value_kind:     by_value
      - .address_space:  global
        .offset:         40
        .size:           8
        .value_kind:     global_buffer
      - .offset:         48
        .size:           4
        .value_kind:     by_value
      - .offset:         52
        .size:           4
        .value_kind:     by_value
      - .offset:         56
        .size:           4
        .value_kind:     hidden_block_count_x
      - .offset:         60
        .size:           4
        .value_kind:     hidden_block_count_y
      - .offset:         64
        .size:           4
        .value_kind:     hidden_block_count_z
      - .offset:         68
        .size:           2
        .value_kind:     hidden_group_size_x
      - .offset:         70
        .size:           2
        .value_kind:     hidden_group_size_y
      - .offset:         72
        .size:           2
        .value_kind:     hidden_group_size_z
      - .offset:         74
        .size:           2
        .value_kind:     hidden_remainder_x
      - .offset:         76
        .size:           2
        .value_kind:     hidden_remainder_y
      - .offset:         78
        .size:           2
        .value_kind:     hidden_remainder_z
      - .offset:         96
        .size:           8
        .value_kind:     hidden_global_offset_x
      - .offset:         104
        .size:           8
        .value_kind:     hidden_global_offset_y
      - .offset:         112
        .size:           8
        .value_kind:     hidden_global_offset_z
      - .offset:         120
        .size:           2
        .value_kind:     hidden_grid_dims
      - .offset:         176
        .size:           4
        .value_kind:     hidden_dynamic_lds_size
    .group_segment_fixed_size: 0
    .kernarg_segment_align: 8
    .kernarg_segment_size: 312
    .language:       OpenCL C
    .language_version:
      - 2
      - 0
    .max_flat_workgroup_size: 512
    .name:           _ZN9rocsolver6v33100L23getf2_npvt_small_kernelILi50E19rocblas_complex_numIfEiiPS3_EEvT1_T3_lS5_lPT2_S5_S5_
    .private_segment_fixed_size: 236
    .sgpr_count:     17
    .sgpr_spill_count: 0
    .symbol:         _ZN9rocsolver6v33100L23getf2_npvt_small_kernelILi50E19rocblas_complex_numIfEiiPS3_EEvT1_T3_lS5_lPT2_S5_S5_.kd
    .uniform_work_group_size: 1
    .uses_dynamic_stack: false
    .vgpr_count:     256
    .vgpr_spill_count: 58
    .wavefront_size: 32
  - .args:
      - .offset:         0
        .size:           4
        .value_kind:     by_value
      - .address_space:  global
        .offset:         8
        .size:           8
        .value_kind:     global_buffer
      - .offset:         16
        .size:           8
        .value_kind:     by_value
      - .offset:         24
        .size:           4
        .value_kind:     by_value
      - .offset:         32
        .size:           8
        .value_kind:     by_value
      - .address_space:  global
        .offset:         40
        .size:           8
        .value_kind:     global_buffer
      - .offset:         48
        .size:           8
        .value_kind:     by_value
      - .offset:         56
        .size:           8
        .value_kind:     by_value
      - .address_space:  global
        .offset:         64
        .size:           8
        .value_kind:     global_buffer
      - .offset:         72
        .size:           4
        .value_kind:     by_value
      - .offset:         76
        .size:           4
        .value_kind:     by_value
      - .address_space:  global
        .offset:         80
        .size:           8
        .value_kind:     global_buffer
      - .offset:         88
        .size:           8
        .value_kind:     by_value
      - .offset:         96
        .size:           4
        .value_kind:     hidden_block_count_x
      - .offset:         100
        .size:           4
        .value_kind:     hidden_block_count_y
      - .offset:         104
        .size:           4
        .value_kind:     hidden_block_count_z
      - .offset:         108
        .size:           2
        .value_kind:     hidden_group_size_x
      - .offset:         110
        .size:           2
        .value_kind:     hidden_group_size_y
      - .offset:         112
        .size:           2
        .value_kind:     hidden_group_size_z
      - .offset:         114
        .size:           2
        .value_kind:     hidden_remainder_x
      - .offset:         116
        .size:           2
        .value_kind:     hidden_remainder_y
      - .offset:         118
        .size:           2
        .value_kind:     hidden_remainder_z
      - .offset:         136
        .size:           8
        .value_kind:     hidden_global_offset_x
      - .offset:         144
        .size:           8
        .value_kind:     hidden_global_offset_y
      - .offset:         152
        .size:           8
        .value_kind:     hidden_global_offset_z
      - .offset:         160
        .size:           2
        .value_kind:     hidden_grid_dims
      - .offset:         216
        .size:           4
        .value_kind:     hidden_dynamic_lds_size
    .group_segment_fixed_size: 0
    .kernarg_segment_align: 8
    .kernarg_segment_size: 352
    .language:       OpenCL C
    .language_version:
      - 2
      - 0
    .max_flat_workgroup_size: 512
    .name:           _ZN9rocsolver6v33100L18getf2_small_kernelILi51E19rocblas_complex_numIfEiiPS3_EEvT1_T3_lS5_lPS5_llPT2_S5_S5_S7_l
    .private_segment_fixed_size: 0
    .sgpr_count:     21
    .sgpr_spill_count: 0
    .symbol:         _ZN9rocsolver6v33100L18getf2_small_kernelILi51E19rocblas_complex_numIfEiiPS3_EEvT1_T3_lS5_lPS5_llPT2_S5_S5_S7_l.kd
    .uniform_work_group_size: 1
    .uses_dynamic_stack: false
    .vgpr_count:     128
    .vgpr_spill_count: 0
    .wavefront_size: 32
  - .args:
      - .offset:         0
        .size:           4
        .value_kind:     by_value
      - .address_space:  global
        .offset:         8
        .size:           8
        .value_kind:     global_buffer
      - .offset:         16
        .size:           8
        .value_kind:     by_value
      - .offset:         24
        .size:           4
        .value_kind:     by_value
      - .offset:         32
        .size:           8
        .value_kind:     by_value
      - .address_space:  global
        .offset:         40
        .size:           8
        .value_kind:     global_buffer
      - .offset:         48
        .size:           4
        .value_kind:     by_value
      - .offset:         52
        .size:           4
        .value_kind:     by_value
      - .offset:         56
        .size:           4
        .value_kind:     hidden_block_count_x
      - .offset:         60
        .size:           4
        .value_kind:     hidden_block_count_y
      - .offset:         64
        .size:           4
        .value_kind:     hidden_block_count_z
      - .offset:         68
        .size:           2
        .value_kind:     hidden_group_size_x
      - .offset:         70
        .size:           2
        .value_kind:     hidden_group_size_y
      - .offset:         72
        .size:           2
        .value_kind:     hidden_group_size_z
      - .offset:         74
        .size:           2
        .value_kind:     hidden_remainder_x
      - .offset:         76
        .size:           2
        .value_kind:     hidden_remainder_y
      - .offset:         78
        .size:           2
        .value_kind:     hidden_remainder_z
      - .offset:         96
        .size:           8
        .value_kind:     hidden_global_offset_x
      - .offset:         104
        .size:           8
        .value_kind:     hidden_global_offset_y
      - .offset:         112
        .size:           8
        .value_kind:     hidden_global_offset_z
      - .offset:         120
        .size:           2
        .value_kind:     hidden_grid_dims
      - .offset:         176
        .size:           4
        .value_kind:     hidden_dynamic_lds_size
    .group_segment_fixed_size: 0
    .kernarg_segment_align: 8
    .kernarg_segment_size: 312
    .language:       OpenCL C
    .language_version:
      - 2
      - 0
    .max_flat_workgroup_size: 512
    .name:           _ZN9rocsolver6v33100L23getf2_npvt_small_kernelILi51E19rocblas_complex_numIfEiiPS3_EEvT1_T3_lS5_lPT2_S5_S5_
    .private_segment_fixed_size: 260
    .sgpr_count:     17
    .sgpr_spill_count: 0
    .symbol:         _ZN9rocsolver6v33100L23getf2_npvt_small_kernelILi51E19rocblas_complex_numIfEiiPS3_EEvT1_T3_lS5_lPT2_S5_S5_.kd
    .uniform_work_group_size: 1
    .uses_dynamic_stack: false
    .vgpr_count:     256
    .vgpr_spill_count: 64
    .wavefront_size: 32
  - .args:
      - .offset:         0
        .size:           4
        .value_kind:     by_value
      - .address_space:  global
        .offset:         8
        .size:           8
        .value_kind:     global_buffer
      - .offset:         16
        .size:           8
        .value_kind:     by_value
      - .offset:         24
        .size:           4
        .value_kind:     by_value
      - .offset:         32
        .size:           8
        .value_kind:     by_value
      - .address_space:  global
        .offset:         40
        .size:           8
        .value_kind:     global_buffer
      - .offset:         48
        .size:           8
        .value_kind:     by_value
      - .offset:         56
        .size:           8
        .value_kind:     by_value
      - .address_space:  global
        .offset:         64
        .size:           8
        .value_kind:     global_buffer
      - .offset:         72
        .size:           4
        .value_kind:     by_value
      - .offset:         76
        .size:           4
        .value_kind:     by_value
      - .address_space:  global
        .offset:         80
        .size:           8
        .value_kind:     global_buffer
      - .offset:         88
        .size:           8
        .value_kind:     by_value
      - .offset:         96
        .size:           4
        .value_kind:     hidden_block_count_x
      - .offset:         100
        .size:           4
        .value_kind:     hidden_block_count_y
      - .offset:         104
        .size:           4
        .value_kind:     hidden_block_count_z
      - .offset:         108
        .size:           2
        .value_kind:     hidden_group_size_x
      - .offset:         110
        .size:           2
        .value_kind:     hidden_group_size_y
      - .offset:         112
        .size:           2
        .value_kind:     hidden_group_size_z
      - .offset:         114
        .size:           2
        .value_kind:     hidden_remainder_x
      - .offset:         116
        .size:           2
        .value_kind:     hidden_remainder_y
      - .offset:         118
        .size:           2
        .value_kind:     hidden_remainder_z
      - .offset:         136
        .size:           8
        .value_kind:     hidden_global_offset_x
      - .offset:         144
        .size:           8
        .value_kind:     hidden_global_offset_y
      - .offset:         152
        .size:           8
        .value_kind:     hidden_global_offset_z
      - .offset:         160
        .size:           2
        .value_kind:     hidden_grid_dims
      - .offset:         216
        .size:           4
        .value_kind:     hidden_dynamic_lds_size
    .group_segment_fixed_size: 0
    .kernarg_segment_align: 8
    .kernarg_segment_size: 352
    .language:       OpenCL C
    .language_version:
      - 2
      - 0
    .max_flat_workgroup_size: 512
    .name:           _ZN9rocsolver6v33100L18getf2_small_kernelILi52E19rocblas_complex_numIfEiiPS3_EEvT1_T3_lS5_lPS5_llPT2_S5_S5_S7_l
    .private_segment_fixed_size: 0
    .sgpr_count:     21
    .sgpr_spill_count: 0
    .symbol:         _ZN9rocsolver6v33100L18getf2_small_kernelILi52E19rocblas_complex_numIfEiiPS3_EEvT1_T3_lS5_lPS5_llPT2_S5_S5_S7_l.kd
    .uniform_work_group_size: 1
    .uses_dynamic_stack: false
    .vgpr_count:     144
    .vgpr_spill_count: 0
    .wavefront_size: 32
  - .args:
      - .offset:         0
        .size:           4
        .value_kind:     by_value
      - .address_space:  global
        .offset:         8
        .size:           8
        .value_kind:     global_buffer
      - .offset:         16
        .size:           8
        .value_kind:     by_value
      - .offset:         24
        .size:           4
        .value_kind:     by_value
      - .offset:         32
        .size:           8
        .value_kind:     by_value
      - .address_space:  global
        .offset:         40
        .size:           8
        .value_kind:     global_buffer
      - .offset:         48
        .size:           4
        .value_kind:     by_value
      - .offset:         52
        .size:           4
        .value_kind:     by_value
      - .offset:         56
        .size:           4
        .value_kind:     hidden_block_count_x
      - .offset:         60
        .size:           4
        .value_kind:     hidden_block_count_y
      - .offset:         64
        .size:           4
        .value_kind:     hidden_block_count_z
      - .offset:         68
        .size:           2
        .value_kind:     hidden_group_size_x
      - .offset:         70
        .size:           2
        .value_kind:     hidden_group_size_y
      - .offset:         72
        .size:           2
        .value_kind:     hidden_group_size_z
      - .offset:         74
        .size:           2
        .value_kind:     hidden_remainder_x
      - .offset:         76
        .size:           2
        .value_kind:     hidden_remainder_y
      - .offset:         78
        .size:           2
        .value_kind:     hidden_remainder_z
      - .offset:         96
        .size:           8
        .value_kind:     hidden_global_offset_x
      - .offset:         104
        .size:           8
        .value_kind:     hidden_global_offset_y
      - .offset:         112
        .size:           8
        .value_kind:     hidden_global_offset_z
      - .offset:         120
        .size:           2
        .value_kind:     hidden_grid_dims
      - .offset:         176
        .size:           4
        .value_kind:     hidden_dynamic_lds_size
    .group_segment_fixed_size: 0
    .kernarg_segment_align: 8
    .kernarg_segment_size: 312
    .language:       OpenCL C
    .language_version:
      - 2
      - 0
    .max_flat_workgroup_size: 512
    .name:           _ZN9rocsolver6v33100L23getf2_npvt_small_kernelILi52E19rocblas_complex_numIfEiiPS3_EEvT1_T3_lS5_lPT2_S5_S5_
    .private_segment_fixed_size: 284
    .sgpr_count:     17
    .sgpr_spill_count: 0
    .symbol:         _ZN9rocsolver6v33100L23getf2_npvt_small_kernelILi52E19rocblas_complex_numIfEiiPS3_EEvT1_T3_lS5_lPT2_S5_S5_.kd
    .uniform_work_group_size: 1
    .uses_dynamic_stack: false
    .vgpr_count:     256
    .vgpr_spill_count: 70
    .wavefront_size: 32
  - .args:
      - .offset:         0
        .size:           4
        .value_kind:     by_value
      - .address_space:  global
        .offset:         8
        .size:           8
        .value_kind:     global_buffer
      - .offset:         16
        .size:           8
        .value_kind:     by_value
      - .offset:         24
        .size:           4
        .value_kind:     by_value
      - .offset:         32
        .size:           8
        .value_kind:     by_value
      - .address_space:  global
        .offset:         40
        .size:           8
        .value_kind:     global_buffer
      - .offset:         48
        .size:           8
        .value_kind:     by_value
      - .offset:         56
        .size:           8
        .value_kind:     by_value
      - .address_space:  global
        .offset:         64
        .size:           8
        .value_kind:     global_buffer
      - .offset:         72
        .size:           4
        .value_kind:     by_value
      - .offset:         76
        .size:           4
        .value_kind:     by_value
      - .address_space:  global
        .offset:         80
        .size:           8
        .value_kind:     global_buffer
      - .offset:         88
        .size:           8
        .value_kind:     by_value
      - .offset:         96
        .size:           4
        .value_kind:     hidden_block_count_x
      - .offset:         100
        .size:           4
        .value_kind:     hidden_block_count_y
      - .offset:         104
        .size:           4
        .value_kind:     hidden_block_count_z
      - .offset:         108
        .size:           2
        .value_kind:     hidden_group_size_x
      - .offset:         110
        .size:           2
        .value_kind:     hidden_group_size_y
      - .offset:         112
        .size:           2
        .value_kind:     hidden_group_size_z
      - .offset:         114
        .size:           2
        .value_kind:     hidden_remainder_x
      - .offset:         116
        .size:           2
        .value_kind:     hidden_remainder_y
      - .offset:         118
        .size:           2
        .value_kind:     hidden_remainder_z
      - .offset:         136
        .size:           8
        .value_kind:     hidden_global_offset_x
      - .offset:         144
        .size:           8
        .value_kind:     hidden_global_offset_y
      - .offset:         152
        .size:           8
        .value_kind:     hidden_global_offset_z
      - .offset:         160
        .size:           2
        .value_kind:     hidden_grid_dims
      - .offset:         216
        .size:           4
        .value_kind:     hidden_dynamic_lds_size
    .group_segment_fixed_size: 0
    .kernarg_segment_align: 8
    .kernarg_segment_size: 352
    .language:       OpenCL C
    .language_version:
      - 2
      - 0
    .max_flat_workgroup_size: 512
    .name:           _ZN9rocsolver6v33100L18getf2_small_kernelILi53E19rocblas_complex_numIfEiiPS3_EEvT1_T3_lS5_lPS5_llPT2_S5_S5_S7_l
    .private_segment_fixed_size: 0
    .sgpr_count:     21
    .sgpr_spill_count: 0
    .symbol:         _ZN9rocsolver6v33100L18getf2_small_kernelILi53E19rocblas_complex_numIfEiiPS3_EEvT1_T3_lS5_lPS5_llPT2_S5_S5_S7_l.kd
    .uniform_work_group_size: 1
    .uses_dynamic_stack: false
    .vgpr_count:     146
    .vgpr_spill_count: 0
    .wavefront_size: 32
  - .args:
      - .offset:         0
        .size:           4
        .value_kind:     by_value
      - .address_space:  global
        .offset:         8
        .size:           8
        .value_kind:     global_buffer
      - .offset:         16
        .size:           8
        .value_kind:     by_value
      - .offset:         24
        .size:           4
        .value_kind:     by_value
      - .offset:         32
        .size:           8
        .value_kind:     by_value
      - .address_space:  global
        .offset:         40
        .size:           8
        .value_kind:     global_buffer
      - .offset:         48
        .size:           4
        .value_kind:     by_value
      - .offset:         52
        .size:           4
        .value_kind:     by_value
      - .offset:         56
        .size:           4
        .value_kind:     hidden_block_count_x
      - .offset:         60
        .size:           4
        .value_kind:     hidden_block_count_y
      - .offset:         64
        .size:           4
        .value_kind:     hidden_block_count_z
      - .offset:         68
        .size:           2
        .value_kind:     hidden_group_size_x
      - .offset:         70
        .size:           2
        .value_kind:     hidden_group_size_y
      - .offset:         72
        .size:           2
        .value_kind:     hidden_group_size_z
      - .offset:         74
        .size:           2
        .value_kind:     hidden_remainder_x
      - .offset:         76
        .size:           2
        .value_kind:     hidden_remainder_y
      - .offset:         78
        .size:           2
        .value_kind:     hidden_remainder_z
      - .offset:         96
        .size:           8
        .value_kind:     hidden_global_offset_x
      - .offset:         104
        .size:           8
        .value_kind:     hidden_global_offset_y
      - .offset:         112
        .size:           8
        .value_kind:     hidden_global_offset_z
      - .offset:         120
        .size:           2
        .value_kind:     hidden_grid_dims
      - .offset:         176
        .size:           4
        .value_kind:     hidden_dynamic_lds_size
    .group_segment_fixed_size: 0
    .kernarg_segment_align: 8
    .kernarg_segment_size: 312
    .language:       OpenCL C
    .language_version:
      - 2
      - 0
    .max_flat_workgroup_size: 512
    .name:           _ZN9rocsolver6v33100L23getf2_npvt_small_kernelILi53E19rocblas_complex_numIfEiiPS3_EEvT1_T3_lS5_lPT2_S5_S5_
    .private_segment_fixed_size: 308
    .sgpr_count:     17
    .sgpr_spill_count: 0
    .symbol:         _ZN9rocsolver6v33100L23getf2_npvt_small_kernelILi53E19rocblas_complex_numIfEiiPS3_EEvT1_T3_lS5_lPT2_S5_S5_.kd
    .uniform_work_group_size: 1
    .uses_dynamic_stack: false
    .vgpr_count:     256
    .vgpr_spill_count: 76
    .wavefront_size: 32
  - .args:
      - .offset:         0
        .size:           4
        .value_kind:     by_value
      - .address_space:  global
        .offset:         8
        .size:           8
        .value_kind:     global_buffer
      - .offset:         16
        .size:           8
        .value_kind:     by_value
      - .offset:         24
        .size:           4
        .value_kind:     by_value
      - .offset:         32
        .size:           8
        .value_kind:     by_value
      - .address_space:  global
        .offset:         40
        .size:           8
        .value_kind:     global_buffer
      - .offset:         48
        .size:           8
        .value_kind:     by_value
      - .offset:         56
        .size:           8
        .value_kind:     by_value
      - .address_space:  global
        .offset:         64
        .size:           8
        .value_kind:     global_buffer
      - .offset:         72
        .size:           4
        .value_kind:     by_value
      - .offset:         76
        .size:           4
        .value_kind:     by_value
      - .address_space:  global
        .offset:         80
        .size:           8
        .value_kind:     global_buffer
      - .offset:         88
        .size:           8
        .value_kind:     by_value
      - .offset:         96
        .size:           4
        .value_kind:     hidden_block_count_x
      - .offset:         100
        .size:           4
        .value_kind:     hidden_block_count_y
      - .offset:         104
        .size:           4
        .value_kind:     hidden_block_count_z
      - .offset:         108
        .size:           2
        .value_kind:     hidden_group_size_x
      - .offset:         110
        .size:           2
        .value_kind:     hidden_group_size_y
      - .offset:         112
        .size:           2
        .value_kind:     hidden_group_size_z
      - .offset:         114
        .size:           2
        .value_kind:     hidden_remainder_x
      - .offset:         116
        .size:           2
        .value_kind:     hidden_remainder_y
      - .offset:         118
        .size:           2
        .value_kind:     hidden_remainder_z
      - .offset:         136
        .size:           8
        .value_kind:     hidden_global_offset_x
      - .offset:         144
        .size:           8
        .value_kind:     hidden_global_offset_y
      - .offset:         152
        .size:           8
        .value_kind:     hidden_global_offset_z
      - .offset:         160
        .size:           2
        .value_kind:     hidden_grid_dims
      - .offset:         216
        .size:           4
        .value_kind:     hidden_dynamic_lds_size
    .group_segment_fixed_size: 0
    .kernarg_segment_align: 8
    .kernarg_segment_size: 352
    .language:       OpenCL C
    .language_version:
      - 2
      - 0
    .max_flat_workgroup_size: 512
    .name:           _ZN9rocsolver6v33100L18getf2_small_kernelILi54E19rocblas_complex_numIfEiiPS3_EEvT1_T3_lS5_lPS5_llPT2_S5_S5_S7_l
    .private_segment_fixed_size: 0
    .sgpr_count:     21
    .sgpr_spill_count: 0
    .symbol:         _ZN9rocsolver6v33100L18getf2_small_kernelILi54E19rocblas_complex_numIfEiiPS3_EEvT1_T3_lS5_lPS5_llPT2_S5_S5_S7_l.kd
    .uniform_work_group_size: 1
    .uses_dynamic_stack: false
    .vgpr_count:     144
    .vgpr_spill_count: 0
    .wavefront_size: 32
  - .args:
      - .offset:         0
        .size:           4
        .value_kind:     by_value
      - .address_space:  global
        .offset:         8
        .size:           8
        .value_kind:     global_buffer
      - .offset:         16
        .size:           8
        .value_kind:     by_value
      - .offset:         24
        .size:           4
        .value_kind:     by_value
      - .offset:         32
        .size:           8
        .value_kind:     by_value
      - .address_space:  global
        .offset:         40
        .size:           8
        .value_kind:     global_buffer
      - .offset:         48
        .size:           4
        .value_kind:     by_value
      - .offset:         52
        .size:           4
        .value_kind:     by_value
      - .offset:         56
        .size:           4
        .value_kind:     hidden_block_count_x
      - .offset:         60
        .size:           4
        .value_kind:     hidden_block_count_y
      - .offset:         64
        .size:           4
        .value_kind:     hidden_block_count_z
      - .offset:         68
        .size:           2
        .value_kind:     hidden_group_size_x
      - .offset:         70
        .size:           2
        .value_kind:     hidden_group_size_y
      - .offset:         72
        .size:           2
        .value_kind:     hidden_group_size_z
      - .offset:         74
        .size:           2
        .value_kind:     hidden_remainder_x
      - .offset:         76
        .size:           2
        .value_kind:     hidden_remainder_y
      - .offset:         78
        .size:           2
        .value_kind:     hidden_remainder_z
      - .offset:         96
        .size:           8
        .value_kind:     hidden_global_offset_x
      - .offset:         104
        .size:           8
        .value_kind:     hidden_global_offset_y
      - .offset:         112
        .size:           8
        .value_kind:     hidden_global_offset_z
      - .offset:         120
        .size:           2
        .value_kind:     hidden_grid_dims
      - .offset:         176
        .size:           4
        .value_kind:     hidden_dynamic_lds_size
    .group_segment_fixed_size: 0
    .kernarg_segment_align: 8
    .kernarg_segment_size: 312
    .language:       OpenCL C
    .language_version:
      - 2
      - 0
    .max_flat_workgroup_size: 512
    .name:           _ZN9rocsolver6v33100L23getf2_npvt_small_kernelILi54E19rocblas_complex_numIfEiiPS3_EEvT1_T3_lS5_lPT2_S5_S5_
    .private_segment_fixed_size: 332
    .sgpr_count:     17
    .sgpr_spill_count: 0
    .symbol:         _ZN9rocsolver6v33100L23getf2_npvt_small_kernelILi54E19rocblas_complex_numIfEiiPS3_EEvT1_T3_lS5_lPT2_S5_S5_.kd
    .uniform_work_group_size: 1
    .uses_dynamic_stack: false
    .vgpr_count:     256
    .vgpr_spill_count: 82
    .wavefront_size: 32
  - .args:
      - .offset:         0
        .size:           4
        .value_kind:     by_value
      - .address_space:  global
        .offset:         8
        .size:           8
        .value_kind:     global_buffer
      - .offset:         16
        .size:           8
        .value_kind:     by_value
      - .offset:         24
        .size:           4
        .value_kind:     by_value
      - .offset:         32
        .size:           8
        .value_kind:     by_value
      - .address_space:  global
        .offset:         40
        .size:           8
        .value_kind:     global_buffer
      - .offset:         48
        .size:           8
        .value_kind:     by_value
      - .offset:         56
        .size:           8
        .value_kind:     by_value
      - .address_space:  global
        .offset:         64
        .size:           8
        .value_kind:     global_buffer
      - .offset:         72
        .size:           4
        .value_kind:     by_value
      - .offset:         76
        .size:           4
        .value_kind:     by_value
      - .address_space:  global
        .offset:         80
        .size:           8
        .value_kind:     global_buffer
      - .offset:         88
        .size:           8
        .value_kind:     by_value
      - .offset:         96
        .size:           4
        .value_kind:     hidden_block_count_x
      - .offset:         100
        .size:           4
        .value_kind:     hidden_block_count_y
      - .offset:         104
        .size:           4
        .value_kind:     hidden_block_count_z
      - .offset:         108
        .size:           2
        .value_kind:     hidden_group_size_x
      - .offset:         110
        .size:           2
        .value_kind:     hidden_group_size_y
      - .offset:         112
        .size:           2
        .value_kind:     hidden_group_size_z
      - .offset:         114
        .size:           2
        .value_kind:     hidden_remainder_x
      - .offset:         116
        .size:           2
        .value_kind:     hidden_remainder_y
      - .offset:         118
        .size:           2
        .value_kind:     hidden_remainder_z
      - .offset:         136
        .size:           8
        .value_kind:     hidden_global_offset_x
      - .offset:         144
        .size:           8
        .value_kind:     hidden_global_offset_y
      - .offset:         152
        .size:           8
        .value_kind:     hidden_global_offset_z
      - .offset:         160
        .size:           2
        .value_kind:     hidden_grid_dims
      - .offset:         216
        .size:           4
        .value_kind:     hidden_dynamic_lds_size
    .group_segment_fixed_size: 0
    .kernarg_segment_align: 8
    .kernarg_segment_size: 352
    .language:       OpenCL C
    .language_version:
      - 2
      - 0
    .max_flat_workgroup_size: 512
    .name:           _ZN9rocsolver6v33100L18getf2_small_kernelILi55E19rocblas_complex_numIfEiiPS3_EEvT1_T3_lS5_lPS5_llPT2_S5_S5_S7_l
    .private_segment_fixed_size: 0
    .sgpr_count:     21
    .sgpr_spill_count: 0
    .symbol:         _ZN9rocsolver6v33100L18getf2_small_kernelILi55E19rocblas_complex_numIfEiiPS3_EEvT1_T3_lS5_lPS5_llPT2_S5_S5_S7_l.kd
    .uniform_work_group_size: 1
    .uses_dynamic_stack: false
    .vgpr_count:     144
    .vgpr_spill_count: 0
    .wavefront_size: 32
  - .args:
      - .offset:         0
        .size:           4
        .value_kind:     by_value
      - .address_space:  global
        .offset:         8
        .size:           8
        .value_kind:     global_buffer
      - .offset:         16
        .size:           8
        .value_kind:     by_value
      - .offset:         24
        .size:           4
        .value_kind:     by_value
      - .offset:         32
        .size:           8
        .value_kind:     by_value
      - .address_space:  global
        .offset:         40
        .size:           8
        .value_kind:     global_buffer
      - .offset:         48
        .size:           4
        .value_kind:     by_value
      - .offset:         52
        .size:           4
        .value_kind:     by_value
      - .offset:         56
        .size:           4
        .value_kind:     hidden_block_count_x
      - .offset:         60
        .size:           4
        .value_kind:     hidden_block_count_y
      - .offset:         64
        .size:           4
        .value_kind:     hidden_block_count_z
      - .offset:         68
        .size:           2
        .value_kind:     hidden_group_size_x
      - .offset:         70
        .size:           2
        .value_kind:     hidden_group_size_y
      - .offset:         72
        .size:           2
        .value_kind:     hidden_group_size_z
      - .offset:         74
        .size:           2
        .value_kind:     hidden_remainder_x
      - .offset:         76
        .size:           2
        .value_kind:     hidden_remainder_y
      - .offset:         78
        .size:           2
        .value_kind:     hidden_remainder_z
      - .offset:         96
        .size:           8
        .value_kind:     hidden_global_offset_x
      - .offset:         104
        .size:           8
        .value_kind:     hidden_global_offset_y
      - .offset:         112
        .size:           8
        .value_kind:     hidden_global_offset_z
      - .offset:         120
        .size:           2
        .value_kind:     hidden_grid_dims
      - .offset:         176
        .size:           4
        .value_kind:     hidden_dynamic_lds_size
    .group_segment_fixed_size: 0
    .kernarg_segment_align: 8
    .kernarg_segment_size: 312
    .language:       OpenCL C
    .language_version:
      - 2
      - 0
    .max_flat_workgroup_size: 512
    .name:           _ZN9rocsolver6v33100L23getf2_npvt_small_kernelILi55E19rocblas_complex_numIfEiiPS3_EEvT1_T3_lS5_lPT2_S5_S5_
    .private_segment_fixed_size: 356
    .sgpr_count:     17
    .sgpr_spill_count: 0
    .symbol:         _ZN9rocsolver6v33100L23getf2_npvt_small_kernelILi55E19rocblas_complex_numIfEiiPS3_EEvT1_T3_lS5_lPT2_S5_S5_.kd
    .uniform_work_group_size: 1
    .uses_dynamic_stack: false
    .vgpr_count:     256
    .vgpr_spill_count: 88
    .wavefront_size: 32
  - .args:
      - .offset:         0
        .size:           4
        .value_kind:     by_value
      - .address_space:  global
        .offset:         8
        .size:           8
        .value_kind:     global_buffer
      - .offset:         16
        .size:           8
        .value_kind:     by_value
      - .offset:         24
        .size:           4
        .value_kind:     by_value
      - .offset:         32
        .size:           8
        .value_kind:     by_value
      - .address_space:  global
        .offset:         40
        .size:           8
        .value_kind:     global_buffer
      - .offset:         48
        .size:           8
        .value_kind:     by_value
      - .offset:         56
        .size:           8
        .value_kind:     by_value
      - .address_space:  global
        .offset:         64
        .size:           8
        .value_kind:     global_buffer
      - .offset:         72
        .size:           4
        .value_kind:     by_value
      - .offset:         76
        .size:           4
        .value_kind:     by_value
      - .address_space:  global
        .offset:         80
        .size:           8
        .value_kind:     global_buffer
      - .offset:         88
        .size:           8
        .value_kind:     by_value
      - .offset:         96
        .size:           4
        .value_kind:     hidden_block_count_x
      - .offset:         100
        .size:           4
        .value_kind:     hidden_block_count_y
      - .offset:         104
        .size:           4
        .value_kind:     hidden_block_count_z
      - .offset:         108
        .size:           2
        .value_kind:     hidden_group_size_x
      - .offset:         110
        .size:           2
        .value_kind:     hidden_group_size_y
      - .offset:         112
        .size:           2
        .value_kind:     hidden_group_size_z
      - .offset:         114
        .size:           2
        .value_kind:     hidden_remainder_x
      - .offset:         116
        .size:           2
        .value_kind:     hidden_remainder_y
      - .offset:         118
        .size:           2
        .value_kind:     hidden_remainder_z
      - .offset:         136
        .size:           8
        .value_kind:     hidden_global_offset_x
      - .offset:         144
        .size:           8
        .value_kind:     hidden_global_offset_y
      - .offset:         152
        .size:           8
        .value_kind:     hidden_global_offset_z
      - .offset:         160
        .size:           2
        .value_kind:     hidden_grid_dims
      - .offset:         216
        .size:           4
        .value_kind:     hidden_dynamic_lds_size
    .group_segment_fixed_size: 0
    .kernarg_segment_align: 8
    .kernarg_segment_size: 352
    .language:       OpenCL C
    .language_version:
      - 2
      - 0
    .max_flat_workgroup_size: 512
    .name:           _ZN9rocsolver6v33100L18getf2_small_kernelILi56E19rocblas_complex_numIfEiiPS3_EEvT1_T3_lS5_lPS5_llPT2_S5_S5_S7_l
    .private_segment_fixed_size: 0
    .sgpr_count:     21
    .sgpr_spill_count: 0
    .symbol:         _ZN9rocsolver6v33100L18getf2_small_kernelILi56E19rocblas_complex_numIfEiiPS3_EEvT1_T3_lS5_lPS5_llPT2_S5_S5_S7_l.kd
    .uniform_work_group_size: 1
    .uses_dynamic_stack: false
    .vgpr_count:     144
    .vgpr_spill_count: 0
    .wavefront_size: 32
  - .args:
      - .offset:         0
        .size:           4
        .value_kind:     by_value
      - .address_space:  global
        .offset:         8
        .size:           8
        .value_kind:     global_buffer
      - .offset:         16
        .size:           8
        .value_kind:     by_value
      - .offset:         24
        .size:           4
        .value_kind:     by_value
      - .offset:         32
        .size:           8
        .value_kind:     by_value
      - .address_space:  global
        .offset:         40
        .size:           8
        .value_kind:     global_buffer
      - .offset:         48
        .size:           4
        .value_kind:     by_value
      - .offset:         52
        .size:           4
        .value_kind:     by_value
      - .offset:         56
        .size:           4
        .value_kind:     hidden_block_count_x
      - .offset:         60
        .size:           4
        .value_kind:     hidden_block_count_y
      - .offset:         64
        .size:           4
        .value_kind:     hidden_block_count_z
      - .offset:         68
        .size:           2
        .value_kind:     hidden_group_size_x
      - .offset:         70
        .size:           2
        .value_kind:     hidden_group_size_y
      - .offset:         72
        .size:           2
        .value_kind:     hidden_group_size_z
      - .offset:         74
        .size:           2
        .value_kind:     hidden_remainder_x
      - .offset:         76
        .size:           2
        .value_kind:     hidden_remainder_y
      - .offset:         78
        .size:           2
        .value_kind:     hidden_remainder_z
      - .offset:         96
        .size:           8
        .value_kind:     hidden_global_offset_x
      - .offset:         104
        .size:           8
        .value_kind:     hidden_global_offset_y
      - .offset:         112
        .size:           8
        .value_kind:     hidden_global_offset_z
      - .offset:         120
        .size:           2
        .value_kind:     hidden_grid_dims
      - .offset:         176
        .size:           4
        .value_kind:     hidden_dynamic_lds_size
    .group_segment_fixed_size: 0
    .kernarg_segment_align: 8
    .kernarg_segment_size: 312
    .language:       OpenCL C
    .language_version:
      - 2
      - 0
    .max_flat_workgroup_size: 512
    .name:           _ZN9rocsolver6v33100L23getf2_npvt_small_kernelILi56E19rocblas_complex_numIfEiiPS3_EEvT1_T3_lS5_lPT2_S5_S5_
    .private_segment_fixed_size: 380
    .sgpr_count:     17
    .sgpr_spill_count: 0
    .symbol:         _ZN9rocsolver6v33100L23getf2_npvt_small_kernelILi56E19rocblas_complex_numIfEiiPS3_EEvT1_T3_lS5_lPT2_S5_S5_.kd
    .uniform_work_group_size: 1
    .uses_dynamic_stack: false
    .vgpr_count:     256
    .vgpr_spill_count: 94
    .wavefront_size: 32
  - .args:
      - .offset:         0
        .size:           4
        .value_kind:     by_value
      - .address_space:  global
        .offset:         8
        .size:           8
        .value_kind:     global_buffer
      - .offset:         16
        .size:           8
        .value_kind:     by_value
      - .offset:         24
        .size:           4
        .value_kind:     by_value
      - .offset:         32
        .size:           8
        .value_kind:     by_value
      - .address_space:  global
        .offset:         40
        .size:           8
        .value_kind:     global_buffer
      - .offset:         48
        .size:           8
        .value_kind:     by_value
      - .offset:         56
        .size:           8
        .value_kind:     by_value
      - .address_space:  global
        .offset:         64
        .size:           8
        .value_kind:     global_buffer
      - .offset:         72
        .size:           4
        .value_kind:     by_value
      - .offset:         76
        .size:           4
        .value_kind:     by_value
      - .address_space:  global
        .offset:         80
        .size:           8
        .value_kind:     global_buffer
      - .offset:         88
        .size:           8
        .value_kind:     by_value
      - .offset:         96
        .size:           4
        .value_kind:     hidden_block_count_x
      - .offset:         100
        .size:           4
        .value_kind:     hidden_block_count_y
      - .offset:         104
        .size:           4
        .value_kind:     hidden_block_count_z
      - .offset:         108
        .size:           2
        .value_kind:     hidden_group_size_x
      - .offset:         110
        .size:           2
        .value_kind:     hidden_group_size_y
      - .offset:         112
        .size:           2
        .value_kind:     hidden_group_size_z
      - .offset:         114
        .size:           2
        .value_kind:     hidden_remainder_x
      - .offset:         116
        .size:           2
        .value_kind:     hidden_remainder_y
      - .offset:         118
        .size:           2
        .value_kind:     hidden_remainder_z
      - .offset:         136
        .size:           8
        .value_kind:     hidden_global_offset_x
      - .offset:         144
        .size:           8
        .value_kind:     hidden_global_offset_y
      - .offset:         152
        .size:           8
        .value_kind:     hidden_global_offset_z
      - .offset:         160
        .size:           2
        .value_kind:     hidden_grid_dims
      - .offset:         216
        .size:           4
        .value_kind:     hidden_dynamic_lds_size
    .group_segment_fixed_size: 0
    .kernarg_segment_align: 8
    .kernarg_segment_size: 352
    .language:       OpenCL C
    .language_version:
      - 2
      - 0
    .max_flat_workgroup_size: 512
    .name:           _ZN9rocsolver6v33100L18getf2_small_kernelILi57E19rocblas_complex_numIfEiiPS3_EEvT1_T3_lS5_lPS5_llPT2_S5_S5_S7_l
    .private_segment_fixed_size: 0
    .sgpr_count:     21
    .sgpr_spill_count: 0
    .symbol:         _ZN9rocsolver6v33100L18getf2_small_kernelILi57E19rocblas_complex_numIfEiiPS3_EEvT1_T3_lS5_lPS5_llPT2_S5_S5_S7_l.kd
    .uniform_work_group_size: 1
    .uses_dynamic_stack: false
    .vgpr_count:     144
    .vgpr_spill_count: 0
    .wavefront_size: 32
  - .args:
      - .offset:         0
        .size:           4
        .value_kind:     by_value
      - .address_space:  global
        .offset:         8
        .size:           8
        .value_kind:     global_buffer
      - .offset:         16
        .size:           8
        .value_kind:     by_value
      - .offset:         24
        .size:           4
        .value_kind:     by_value
      - .offset:         32
        .size:           8
        .value_kind:     by_value
      - .address_space:  global
        .offset:         40
        .size:           8
        .value_kind:     global_buffer
      - .offset:         48
        .size:           4
        .value_kind:     by_value
      - .offset:         52
        .size:           4
        .value_kind:     by_value
      - .offset:         56
        .size:           4
        .value_kind:     hidden_block_count_x
      - .offset:         60
        .size:           4
        .value_kind:     hidden_block_count_y
      - .offset:         64
        .size:           4
        .value_kind:     hidden_block_count_z
      - .offset:         68
        .size:           2
        .value_kind:     hidden_group_size_x
      - .offset:         70
        .size:           2
        .value_kind:     hidden_group_size_y
      - .offset:         72
        .size:           2
        .value_kind:     hidden_group_size_z
      - .offset:         74
        .size:           2
        .value_kind:     hidden_remainder_x
      - .offset:         76
        .size:           2
        .value_kind:     hidden_remainder_y
      - .offset:         78
        .size:           2
        .value_kind:     hidden_remainder_z
      - .offset:         96
        .size:           8
        .value_kind:     hidden_global_offset_x
      - .offset:         104
        .size:           8
        .value_kind:     hidden_global_offset_y
      - .offset:         112
        .size:           8
        .value_kind:     hidden_global_offset_z
      - .offset:         120
        .size:           2
        .value_kind:     hidden_grid_dims
      - .offset:         176
        .size:           4
        .value_kind:     hidden_dynamic_lds_size
    .group_segment_fixed_size: 0
    .kernarg_segment_align: 8
    .kernarg_segment_size: 312
    .language:       OpenCL C
    .language_version:
      - 2
      - 0
    .max_flat_workgroup_size: 512
    .name:           _ZN9rocsolver6v33100L23getf2_npvt_small_kernelILi57E19rocblas_complex_numIfEiiPS3_EEvT1_T3_lS5_lPT2_S5_S5_
    .private_segment_fixed_size: 404
    .sgpr_count:     17
    .sgpr_spill_count: 0
    .symbol:         _ZN9rocsolver6v33100L23getf2_npvt_small_kernelILi57E19rocblas_complex_numIfEiiPS3_EEvT1_T3_lS5_lPT2_S5_S5_.kd
    .uniform_work_group_size: 1
    .uses_dynamic_stack: false
    .vgpr_count:     256
    .vgpr_spill_count: 100
    .wavefront_size: 32
  - .args:
      - .offset:         0
        .size:           4
        .value_kind:     by_value
      - .address_space:  global
        .offset:         8
        .size:           8
        .value_kind:     global_buffer
      - .offset:         16
        .size:           8
        .value_kind:     by_value
      - .offset:         24
        .size:           4
        .value_kind:     by_value
      - .offset:         32
        .size:           8
        .value_kind:     by_value
      - .address_space:  global
        .offset:         40
        .size:           8
        .value_kind:     global_buffer
      - .offset:         48
        .size:           8
        .value_kind:     by_value
      - .offset:         56
        .size:           8
        .value_kind:     by_value
      - .address_space:  global
        .offset:         64
        .size:           8
        .value_kind:     global_buffer
      - .offset:         72
        .size:           4
        .value_kind:     by_value
      - .offset:         76
        .size:           4
        .value_kind:     by_value
      - .address_space:  global
        .offset:         80
        .size:           8
        .value_kind:     global_buffer
      - .offset:         88
        .size:           8
        .value_kind:     by_value
      - .offset:         96
        .size:           4
        .value_kind:     hidden_block_count_x
      - .offset:         100
        .size:           4
        .value_kind:     hidden_block_count_y
      - .offset:         104
        .size:           4
        .value_kind:     hidden_block_count_z
      - .offset:         108
        .size:           2
        .value_kind:     hidden_group_size_x
      - .offset:         110
        .size:           2
        .value_kind:     hidden_group_size_y
      - .offset:         112
        .size:           2
        .value_kind:     hidden_group_size_z
      - .offset:         114
        .size:           2
        .value_kind:     hidden_remainder_x
      - .offset:         116
        .size:           2
        .value_kind:     hidden_remainder_y
      - .offset:         118
        .size:           2
        .value_kind:     hidden_remainder_z
      - .offset:         136
        .size:           8
        .value_kind:     hidden_global_offset_x
      - .offset:         144
        .size:           8
        .value_kind:     hidden_global_offset_y
      - .offset:         152
        .size:           8
        .value_kind:     hidden_global_offset_z
      - .offset:         160
        .size:           2
        .value_kind:     hidden_grid_dims
      - .offset:         216
        .size:           4
        .value_kind:     hidden_dynamic_lds_size
    .group_segment_fixed_size: 0
    .kernarg_segment_align: 8
    .kernarg_segment_size: 352
    .language:       OpenCL C
    .language_version:
      - 2
      - 0
    .max_flat_workgroup_size: 512
    .name:           _ZN9rocsolver6v33100L18getf2_small_kernelILi58E19rocblas_complex_numIfEiiPS3_EEvT1_T3_lS5_lPS5_llPT2_S5_S5_S7_l
    .private_segment_fixed_size: 0
    .sgpr_count:     21
    .sgpr_spill_count: 0
    .symbol:         _ZN9rocsolver6v33100L18getf2_small_kernelILi58E19rocblas_complex_numIfEiiPS3_EEvT1_T3_lS5_lPS5_llPT2_S5_S5_S7_l.kd
    .uniform_work_group_size: 1
    .uses_dynamic_stack: false
    .vgpr_count:     146
    .vgpr_spill_count: 0
    .wavefront_size: 32
  - .args:
      - .offset:         0
        .size:           4
        .value_kind:     by_value
      - .address_space:  global
        .offset:         8
        .size:           8
        .value_kind:     global_buffer
      - .offset:         16
        .size:           8
        .value_kind:     by_value
      - .offset:         24
        .size:           4
        .value_kind:     by_value
      - .offset:         32
        .size:           8
        .value_kind:     by_value
      - .address_space:  global
        .offset:         40
        .size:           8
        .value_kind:     global_buffer
      - .offset:         48
        .size:           4
        .value_kind:     by_value
      - .offset:         52
        .size:           4
        .value_kind:     by_value
      - .offset:         56
        .size:           4
        .value_kind:     hidden_block_count_x
      - .offset:         60
        .size:           4
        .value_kind:     hidden_block_count_y
      - .offset:         64
        .size:           4
        .value_kind:     hidden_block_count_z
      - .offset:         68
        .size:           2
        .value_kind:     hidden_group_size_x
      - .offset:         70
        .size:           2
        .value_kind:     hidden_group_size_y
      - .offset:         72
        .size:           2
        .value_kind:     hidden_group_size_z
      - .offset:         74
        .size:           2
        .value_kind:     hidden_remainder_x
      - .offset:         76
        .size:           2
        .value_kind:     hidden_remainder_y
      - .offset:         78
        .size:           2
        .value_kind:     hidden_remainder_z
      - .offset:         96
        .size:           8
        .value_kind:     hidden_global_offset_x
      - .offset:         104
        .size:           8
        .value_kind:     hidden_global_offset_y
      - .offset:         112
        .size:           8
        .value_kind:     hidden_global_offset_z
      - .offset:         120
        .size:           2
        .value_kind:     hidden_grid_dims
      - .offset:         176
        .size:           4
        .value_kind:     hidden_dynamic_lds_size
    .group_segment_fixed_size: 0
    .kernarg_segment_align: 8
    .kernarg_segment_size: 312
    .language:       OpenCL C
    .language_version:
      - 2
      - 0
    .max_flat_workgroup_size: 512
    .name:           _ZN9rocsolver6v33100L23getf2_npvt_small_kernelILi58E19rocblas_complex_numIfEiiPS3_EEvT1_T3_lS5_lPT2_S5_S5_
    .private_segment_fixed_size: 428
    .sgpr_count:     17
    .sgpr_spill_count: 0
    .symbol:         _ZN9rocsolver6v33100L23getf2_npvt_small_kernelILi58E19rocblas_complex_numIfEiiPS3_EEvT1_T3_lS5_lPT2_S5_S5_.kd
    .uniform_work_group_size: 1
    .uses_dynamic_stack: false
    .vgpr_count:     256
    .vgpr_spill_count: 106
    .wavefront_size: 32
  - .args:
      - .offset:         0
        .size:           4
        .value_kind:     by_value
      - .address_space:  global
        .offset:         8
        .size:           8
        .value_kind:     global_buffer
      - .offset:         16
        .size:           8
        .value_kind:     by_value
      - .offset:         24
        .size:           4
        .value_kind:     by_value
      - .offset:         32
        .size:           8
        .value_kind:     by_value
      - .address_space:  global
        .offset:         40
        .size:           8
        .value_kind:     global_buffer
      - .offset:         48
        .size:           8
        .value_kind:     by_value
      - .offset:         56
        .size:           8
        .value_kind:     by_value
      - .address_space:  global
        .offset:         64
        .size:           8
        .value_kind:     global_buffer
      - .offset:         72
        .size:           4
        .value_kind:     by_value
      - .offset:         76
        .size:           4
        .value_kind:     by_value
      - .address_space:  global
        .offset:         80
        .size:           8
        .value_kind:     global_buffer
      - .offset:         88
        .size:           8
        .value_kind:     by_value
      - .offset:         96
        .size:           4
        .value_kind:     hidden_block_count_x
      - .offset:         100
        .size:           4
        .value_kind:     hidden_block_count_y
      - .offset:         104
        .size:           4
        .value_kind:     hidden_block_count_z
      - .offset:         108
        .size:           2
        .value_kind:     hidden_group_size_x
      - .offset:         110
        .size:           2
        .value_kind:     hidden_group_size_y
      - .offset:         112
        .size:           2
        .value_kind:     hidden_group_size_z
      - .offset:         114
        .size:           2
        .value_kind:     hidden_remainder_x
      - .offset:         116
        .size:           2
        .value_kind:     hidden_remainder_y
      - .offset:         118
        .size:           2
        .value_kind:     hidden_remainder_z
      - .offset:         136
        .size:           8
        .value_kind:     hidden_global_offset_x
      - .offset:         144
        .size:           8
        .value_kind:     hidden_global_offset_y
      - .offset:         152
        .size:           8
        .value_kind:     hidden_global_offset_z
      - .offset:         160
        .size:           2
        .value_kind:     hidden_grid_dims
      - .offset:         216
        .size:           4
        .value_kind:     hidden_dynamic_lds_size
    .group_segment_fixed_size: 0
    .kernarg_segment_align: 8
    .kernarg_segment_size: 352
    .language:       OpenCL C
    .language_version:
      - 2
      - 0
    .max_flat_workgroup_size: 512
    .name:           _ZN9rocsolver6v33100L18getf2_small_kernelILi59E19rocblas_complex_numIfEiiPS3_EEvT1_T3_lS5_lPS5_llPT2_S5_S5_S7_l
    .private_segment_fixed_size: 0
    .sgpr_count:     21
    .sgpr_spill_count: 0
    .symbol:         _ZN9rocsolver6v33100L18getf2_small_kernelILi59E19rocblas_complex_numIfEiiPS3_EEvT1_T3_lS5_lPS5_llPT2_S5_S5_S7_l.kd
    .uniform_work_group_size: 1
    .uses_dynamic_stack: false
    .vgpr_count:     144
    .vgpr_spill_count: 0
    .wavefront_size: 32
  - .args:
      - .offset:         0
        .size:           4
        .value_kind:     by_value
      - .address_space:  global
        .offset:         8
        .size:           8
        .value_kind:     global_buffer
      - .offset:         16
        .size:           8
        .value_kind:     by_value
      - .offset:         24
        .size:           4
        .value_kind:     by_value
      - .offset:         32
        .size:           8
        .value_kind:     by_value
      - .address_space:  global
        .offset:         40
        .size:           8
        .value_kind:     global_buffer
      - .offset:         48
        .size:           4
        .value_kind:     by_value
      - .offset:         52
        .size:           4
        .value_kind:     by_value
      - .offset:         56
        .size:           4
        .value_kind:     hidden_block_count_x
      - .offset:         60
        .size:           4
        .value_kind:     hidden_block_count_y
      - .offset:         64
        .size:           4
        .value_kind:     hidden_block_count_z
      - .offset:         68
        .size:           2
        .value_kind:     hidden_group_size_x
      - .offset:         70
        .size:           2
        .value_kind:     hidden_group_size_y
      - .offset:         72
        .size:           2
        .value_kind:     hidden_group_size_z
      - .offset:         74
        .size:           2
        .value_kind:     hidden_remainder_x
      - .offset:         76
        .size:           2
        .value_kind:     hidden_remainder_y
      - .offset:         78
        .size:           2
        .value_kind:     hidden_remainder_z
      - .offset:         96
        .size:           8
        .value_kind:     hidden_global_offset_x
      - .offset:         104
        .size:           8
        .value_kind:     hidden_global_offset_y
      - .offset:         112
        .size:           8
        .value_kind:     hidden_global_offset_z
      - .offset:         120
        .size:           2
        .value_kind:     hidden_grid_dims
      - .offset:         176
        .size:           4
        .value_kind:     hidden_dynamic_lds_size
    .group_segment_fixed_size: 0
    .kernarg_segment_align: 8
    .kernarg_segment_size: 312
    .language:       OpenCL C
    .language_version:
      - 2
      - 0
    .max_flat_workgroup_size: 512
    .name:           _ZN9rocsolver6v33100L23getf2_npvt_small_kernelILi59E19rocblas_complex_numIfEiiPS3_EEvT1_T3_lS5_lPT2_S5_S5_
    .private_segment_fixed_size: 452
    .sgpr_count:     17
    .sgpr_spill_count: 0
    .symbol:         _ZN9rocsolver6v33100L23getf2_npvt_small_kernelILi59E19rocblas_complex_numIfEiiPS3_EEvT1_T3_lS5_lPT2_S5_S5_.kd
    .uniform_work_group_size: 1
    .uses_dynamic_stack: false
    .vgpr_count:     256
    .vgpr_spill_count: 112
    .wavefront_size: 32
  - .args:
      - .offset:         0
        .size:           4
        .value_kind:     by_value
      - .address_space:  global
        .offset:         8
        .size:           8
        .value_kind:     global_buffer
      - .offset:         16
        .size:           8
        .value_kind:     by_value
      - .offset:         24
        .size:           4
        .value_kind:     by_value
      - .offset:         32
        .size:           8
        .value_kind:     by_value
      - .address_space:  global
        .offset:         40
        .size:           8
        .value_kind:     global_buffer
      - .offset:         48
        .size:           8
        .value_kind:     by_value
      - .offset:         56
        .size:           8
        .value_kind:     by_value
      - .address_space:  global
        .offset:         64
        .size:           8
        .value_kind:     global_buffer
      - .offset:         72
        .size:           4
        .value_kind:     by_value
      - .offset:         76
        .size:           4
        .value_kind:     by_value
      - .address_space:  global
        .offset:         80
        .size:           8
        .value_kind:     global_buffer
      - .offset:         88
        .size:           8
        .value_kind:     by_value
      - .offset:         96
        .size:           4
        .value_kind:     hidden_block_count_x
      - .offset:         100
        .size:           4
        .value_kind:     hidden_block_count_y
      - .offset:         104
        .size:           4
        .value_kind:     hidden_block_count_z
      - .offset:         108
        .size:           2
        .value_kind:     hidden_group_size_x
      - .offset:         110
        .size:           2
        .value_kind:     hidden_group_size_y
      - .offset:         112
        .size:           2
        .value_kind:     hidden_group_size_z
      - .offset:         114
        .size:           2
        .value_kind:     hidden_remainder_x
      - .offset:         116
        .size:           2
        .value_kind:     hidden_remainder_y
      - .offset:         118
        .size:           2
        .value_kind:     hidden_remainder_z
      - .offset:         136
        .size:           8
        .value_kind:     hidden_global_offset_x
      - .offset:         144
        .size:           8
        .value_kind:     hidden_global_offset_y
      - .offset:         152
        .size:           8
        .value_kind:     hidden_global_offset_z
      - .offset:         160
        .size:           2
        .value_kind:     hidden_grid_dims
      - .offset:         216
        .size:           4
        .value_kind:     hidden_dynamic_lds_size
    .group_segment_fixed_size: 0
    .kernarg_segment_align: 8
    .kernarg_segment_size: 352
    .language:       OpenCL C
    .language_version:
      - 2
      - 0
    .max_flat_workgroup_size: 512
    .name:           _ZN9rocsolver6v33100L18getf2_small_kernelILi60E19rocblas_complex_numIfEiiPS3_EEvT1_T3_lS5_lPS5_llPT2_S5_S5_S7_l
    .private_segment_fixed_size: 0
    .sgpr_count:     21
    .sgpr_spill_count: 0
    .symbol:         _ZN9rocsolver6v33100L18getf2_small_kernelILi60E19rocblas_complex_numIfEiiPS3_EEvT1_T3_lS5_lPS5_llPT2_S5_S5_S7_l.kd
    .uniform_work_group_size: 1
    .uses_dynamic_stack: false
    .vgpr_count:     160
    .vgpr_spill_count: 0
    .wavefront_size: 32
  - .args:
      - .offset:         0
        .size:           4
        .value_kind:     by_value
      - .address_space:  global
        .offset:         8
        .size:           8
        .value_kind:     global_buffer
      - .offset:         16
        .size:           8
        .value_kind:     by_value
      - .offset:         24
        .size:           4
        .value_kind:     by_value
      - .offset:         32
        .size:           8
        .value_kind:     by_value
      - .address_space:  global
        .offset:         40
        .size:           8
        .value_kind:     global_buffer
      - .offset:         48
        .size:           4
        .value_kind:     by_value
      - .offset:         52
        .size:           4
        .value_kind:     by_value
      - .offset:         56
        .size:           4
        .value_kind:     hidden_block_count_x
      - .offset:         60
        .size:           4
        .value_kind:     hidden_block_count_y
      - .offset:         64
        .size:           4
        .value_kind:     hidden_block_count_z
      - .offset:         68
        .size:           2
        .value_kind:     hidden_group_size_x
      - .offset:         70
        .size:           2
        .value_kind:     hidden_group_size_y
      - .offset:         72
        .size:           2
        .value_kind:     hidden_group_size_z
      - .offset:         74
        .size:           2
        .value_kind:     hidden_remainder_x
      - .offset:         76
        .size:           2
        .value_kind:     hidden_remainder_y
      - .offset:         78
        .size:           2
        .value_kind:     hidden_remainder_z
      - .offset:         96
        .size:           8
        .value_kind:     hidden_global_offset_x
      - .offset:         104
        .size:           8
        .value_kind:     hidden_global_offset_y
      - .offset:         112
        .size:           8
        .value_kind:     hidden_global_offset_z
      - .offset:         120
        .size:           2
        .value_kind:     hidden_grid_dims
      - .offset:         176
        .size:           4
        .value_kind:     hidden_dynamic_lds_size
    .group_segment_fixed_size: 0
    .kernarg_segment_align: 8
    .kernarg_segment_size: 312
    .language:       OpenCL C
    .language_version:
      - 2
      - 0
    .max_flat_workgroup_size: 512
    .name:           _ZN9rocsolver6v33100L23getf2_npvt_small_kernelILi60E19rocblas_complex_numIfEiiPS3_EEvT1_T3_lS5_lPT2_S5_S5_
    .private_segment_fixed_size: 476
    .sgpr_count:     17
    .sgpr_spill_count: 0
    .symbol:         _ZN9rocsolver6v33100L23getf2_npvt_small_kernelILi60E19rocblas_complex_numIfEiiPS3_EEvT1_T3_lS5_lPT2_S5_S5_.kd
    .uniform_work_group_size: 1
    .uses_dynamic_stack: false
    .vgpr_count:     256
    .vgpr_spill_count: 118
    .wavefront_size: 32
  - .args:
      - .offset:         0
        .size:           4
        .value_kind:     by_value
      - .address_space:  global
        .offset:         8
        .size:           8
        .value_kind:     global_buffer
      - .offset:         16
        .size:           8
        .value_kind:     by_value
      - .offset:         24
        .size:           4
        .value_kind:     by_value
      - .offset:         32
        .size:           8
        .value_kind:     by_value
      - .address_space:  global
        .offset:         40
        .size:           8
        .value_kind:     global_buffer
      - .offset:         48
        .size:           8
        .value_kind:     by_value
      - .offset:         56
        .size:           8
        .value_kind:     by_value
      - .address_space:  global
        .offset:         64
        .size:           8
        .value_kind:     global_buffer
      - .offset:         72
        .size:           4
        .value_kind:     by_value
      - .offset:         76
        .size:           4
        .value_kind:     by_value
      - .address_space:  global
        .offset:         80
        .size:           8
        .value_kind:     global_buffer
      - .offset:         88
        .size:           8
        .value_kind:     by_value
      - .offset:         96
        .size:           4
        .value_kind:     hidden_block_count_x
      - .offset:         100
        .size:           4
        .value_kind:     hidden_block_count_y
      - .offset:         104
        .size:           4
        .value_kind:     hidden_block_count_z
      - .offset:         108
        .size:           2
        .value_kind:     hidden_group_size_x
      - .offset:         110
        .size:           2
        .value_kind:     hidden_group_size_y
      - .offset:         112
        .size:           2
        .value_kind:     hidden_group_size_z
      - .offset:         114
        .size:           2
        .value_kind:     hidden_remainder_x
      - .offset:         116
        .size:           2
        .value_kind:     hidden_remainder_y
      - .offset:         118
        .size:           2
        .value_kind:     hidden_remainder_z
      - .offset:         136
        .size:           8
        .value_kind:     hidden_global_offset_x
      - .offset:         144
        .size:           8
        .value_kind:     hidden_global_offset_y
      - .offset:         152
        .size:           8
        .value_kind:     hidden_global_offset_z
      - .offset:         160
        .size:           2
        .value_kind:     hidden_grid_dims
      - .offset:         216
        .size:           4
        .value_kind:     hidden_dynamic_lds_size
    .group_segment_fixed_size: 0
    .kernarg_segment_align: 8
    .kernarg_segment_size: 352
    .language:       OpenCL C
    .language_version:
      - 2
      - 0
    .max_flat_workgroup_size: 512
    .name:           _ZN9rocsolver6v33100L18getf2_small_kernelILi61E19rocblas_complex_numIfEiiPS3_EEvT1_T3_lS5_lPS5_llPT2_S5_S5_S7_l
    .private_segment_fixed_size: 0
    .sgpr_count:     21
    .sgpr_spill_count: 0
    .symbol:         _ZN9rocsolver6v33100L18getf2_small_kernelILi61E19rocblas_complex_numIfEiiPS3_EEvT1_T3_lS5_lPS5_llPT2_S5_S5_S7_l.kd
    .uniform_work_group_size: 1
    .uses_dynamic_stack: false
    .vgpr_count:     162
    .vgpr_spill_count: 0
    .wavefront_size: 32
  - .args:
      - .offset:         0
        .size:           4
        .value_kind:     by_value
      - .address_space:  global
        .offset:         8
        .size:           8
        .value_kind:     global_buffer
      - .offset:         16
        .size:           8
        .value_kind:     by_value
      - .offset:         24
        .size:           4
        .value_kind:     by_value
      - .offset:         32
        .size:           8
        .value_kind:     by_value
      - .address_space:  global
        .offset:         40
        .size:           8
        .value_kind:     global_buffer
      - .offset:         48
        .size:           4
        .value_kind:     by_value
      - .offset:         52
        .size:           4
        .value_kind:     by_value
      - .offset:         56
        .size:           4
        .value_kind:     hidden_block_count_x
      - .offset:         60
        .size:           4
        .value_kind:     hidden_block_count_y
      - .offset:         64
        .size:           4
        .value_kind:     hidden_block_count_z
      - .offset:         68
        .size:           2
        .value_kind:     hidden_group_size_x
      - .offset:         70
        .size:           2
        .value_kind:     hidden_group_size_y
      - .offset:         72
        .size:           2
        .value_kind:     hidden_group_size_z
      - .offset:         74
        .size:           2
        .value_kind:     hidden_remainder_x
      - .offset:         76
        .size:           2
        .value_kind:     hidden_remainder_y
      - .offset:         78
        .size:           2
        .value_kind:     hidden_remainder_z
      - .offset:         96
        .size:           8
        .value_kind:     hidden_global_offset_x
      - .offset:         104
        .size:           8
        .value_kind:     hidden_global_offset_y
      - .offset:         112
        .size:           8
        .value_kind:     hidden_global_offset_z
      - .offset:         120
        .size:           2
        .value_kind:     hidden_grid_dims
      - .offset:         176
        .size:           4
        .value_kind:     hidden_dynamic_lds_size
    .group_segment_fixed_size: 0
    .kernarg_segment_align: 8
    .kernarg_segment_size: 312
    .language:       OpenCL C
    .language_version:
      - 2
      - 0
    .max_flat_workgroup_size: 512
    .name:           _ZN9rocsolver6v33100L23getf2_npvt_small_kernelILi61E19rocblas_complex_numIfEiiPS3_EEvT1_T3_lS5_lPT2_S5_S5_
    .private_segment_fixed_size: 500
    .sgpr_count:     17
    .sgpr_spill_count: 0
    .symbol:         _ZN9rocsolver6v33100L23getf2_npvt_small_kernelILi61E19rocblas_complex_numIfEiiPS3_EEvT1_T3_lS5_lPT2_S5_S5_.kd
    .uniform_work_group_size: 1
    .uses_dynamic_stack: false
    .vgpr_count:     256
    .vgpr_spill_count: 124
    .wavefront_size: 32
  - .args:
      - .offset:         0
        .size:           4
        .value_kind:     by_value
      - .address_space:  global
        .offset:         8
        .size:           8
        .value_kind:     global_buffer
      - .offset:         16
        .size:           8
        .value_kind:     by_value
      - .offset:         24
        .size:           4
        .value_kind:     by_value
      - .offset:         32
        .size:           8
        .value_kind:     by_value
      - .address_space:  global
        .offset:         40
        .size:           8
        .value_kind:     global_buffer
      - .offset:         48
        .size:           8
        .value_kind:     by_value
      - .offset:         56
        .size:           8
        .value_kind:     by_value
      - .address_space:  global
        .offset:         64
        .size:           8
        .value_kind:     global_buffer
      - .offset:         72
        .size:           4
        .value_kind:     by_value
      - .offset:         76
        .size:           4
        .value_kind:     by_value
      - .address_space:  global
        .offset:         80
        .size:           8
        .value_kind:     global_buffer
      - .offset:         88
        .size:           8
        .value_kind:     by_value
      - .offset:         96
        .size:           4
        .value_kind:     hidden_block_count_x
      - .offset:         100
        .size:           4
        .value_kind:     hidden_block_count_y
      - .offset:         104
        .size:           4
        .value_kind:     hidden_block_count_z
      - .offset:         108
        .size:           2
        .value_kind:     hidden_group_size_x
      - .offset:         110
        .size:           2
        .value_kind:     hidden_group_size_y
      - .offset:         112
        .size:           2
        .value_kind:     hidden_group_size_z
      - .offset:         114
        .size:           2
        .value_kind:     hidden_remainder_x
      - .offset:         116
        .size:           2
        .value_kind:     hidden_remainder_y
      - .offset:         118
        .size:           2
        .value_kind:     hidden_remainder_z
      - .offset:         136
        .size:           8
        .value_kind:     hidden_global_offset_x
      - .offset:         144
        .size:           8
        .value_kind:     hidden_global_offset_y
      - .offset:         152
        .size:           8
        .value_kind:     hidden_global_offset_z
      - .offset:         160
        .size:           2
        .value_kind:     hidden_grid_dims
      - .offset:         216
        .size:           4
        .value_kind:     hidden_dynamic_lds_size
    .group_segment_fixed_size: 0
    .kernarg_segment_align: 8
    .kernarg_segment_size: 352
    .language:       OpenCL C
    .language_version:
      - 2
      - 0
    .max_flat_workgroup_size: 512
    .name:           _ZN9rocsolver6v33100L18getf2_small_kernelILi62E19rocblas_complex_numIfEiiPS3_EEvT1_T3_lS5_lPS5_llPT2_S5_S5_S7_l
    .private_segment_fixed_size: 0
    .sgpr_count:     21
    .sgpr_spill_count: 0
    .symbol:         _ZN9rocsolver6v33100L18getf2_small_kernelILi62E19rocblas_complex_numIfEiiPS3_EEvT1_T3_lS5_lPS5_llPT2_S5_S5_S7_l.kd
    .uniform_work_group_size: 1
    .uses_dynamic_stack: false
    .vgpr_count:     160
    .vgpr_spill_count: 0
    .wavefront_size: 32
  - .args:
      - .offset:         0
        .size:           4
        .value_kind:     by_value
      - .address_space:  global
        .offset:         8
        .size:           8
        .value_kind:     global_buffer
      - .offset:         16
        .size:           8
        .value_kind:     by_value
      - .offset:         24
        .size:           4
        .value_kind:     by_value
      - .offset:         32
        .size:           8
        .value_kind:     by_value
      - .address_space:  global
        .offset:         40
        .size:           8
        .value_kind:     global_buffer
      - .offset:         48
        .size:           4
        .value_kind:     by_value
      - .offset:         52
        .size:           4
        .value_kind:     by_value
      - .offset:         56
        .size:           4
        .value_kind:     hidden_block_count_x
      - .offset:         60
        .size:           4
        .value_kind:     hidden_block_count_y
      - .offset:         64
        .size:           4
        .value_kind:     hidden_block_count_z
      - .offset:         68
        .size:           2
        .value_kind:     hidden_group_size_x
      - .offset:         70
        .size:           2
        .value_kind:     hidden_group_size_y
      - .offset:         72
        .size:           2
        .value_kind:     hidden_group_size_z
      - .offset:         74
        .size:           2
        .value_kind:     hidden_remainder_x
      - .offset:         76
        .size:           2
        .value_kind:     hidden_remainder_y
      - .offset:         78
        .size:           2
        .value_kind:     hidden_remainder_z
      - .offset:         96
        .size:           8
        .value_kind:     hidden_global_offset_x
      - .offset:         104
        .size:           8
        .value_kind:     hidden_global_offset_y
      - .offset:         112
        .size:           8
        .value_kind:     hidden_global_offset_z
      - .offset:         120
        .size:           2
        .value_kind:     hidden_grid_dims
      - .offset:         176
        .size:           4
        .value_kind:     hidden_dynamic_lds_size
    .group_segment_fixed_size: 0
    .kernarg_segment_align: 8
    .kernarg_segment_size: 312
    .language:       OpenCL C
    .language_version:
      - 2
      - 0
    .max_flat_workgroup_size: 512
    .name:           _ZN9rocsolver6v33100L23getf2_npvt_small_kernelILi62E19rocblas_complex_numIfEiiPS3_EEvT1_T3_lS5_lPT2_S5_S5_
    .private_segment_fixed_size: 524
    .sgpr_count:     16
    .sgpr_spill_count: 0
    .symbol:         _ZN9rocsolver6v33100L23getf2_npvt_small_kernelILi62E19rocblas_complex_numIfEiiPS3_EEvT1_T3_lS5_lPT2_S5_S5_.kd
    .uniform_work_group_size: 1
    .uses_dynamic_stack: false
    .vgpr_count:     256
    .vgpr_spill_count: 130
    .wavefront_size: 32
  - .args:
      - .offset:         0
        .size:           4
        .value_kind:     by_value
      - .address_space:  global
        .offset:         8
        .size:           8
        .value_kind:     global_buffer
      - .offset:         16
        .size:           8
        .value_kind:     by_value
      - .offset:         24
        .size:           4
        .value_kind:     by_value
      - .offset:         32
        .size:           8
        .value_kind:     by_value
      - .address_space:  global
        .offset:         40
        .size:           8
        .value_kind:     global_buffer
      - .offset:         48
        .size:           8
        .value_kind:     by_value
      - .offset:         56
        .size:           8
        .value_kind:     by_value
      - .address_space:  global
        .offset:         64
        .size:           8
        .value_kind:     global_buffer
      - .offset:         72
        .size:           4
        .value_kind:     by_value
      - .offset:         76
        .size:           4
        .value_kind:     by_value
      - .address_space:  global
        .offset:         80
        .size:           8
        .value_kind:     global_buffer
      - .offset:         88
        .size:           8
        .value_kind:     by_value
      - .offset:         96
        .size:           4
        .value_kind:     hidden_block_count_x
      - .offset:         100
        .size:           4
        .value_kind:     hidden_block_count_y
      - .offset:         104
        .size:           4
        .value_kind:     hidden_block_count_z
      - .offset:         108
        .size:           2
        .value_kind:     hidden_group_size_x
      - .offset:         110
        .size:           2
        .value_kind:     hidden_group_size_y
      - .offset:         112
        .size:           2
        .value_kind:     hidden_group_size_z
      - .offset:         114
        .size:           2
        .value_kind:     hidden_remainder_x
      - .offset:         116
        .size:           2
        .value_kind:     hidden_remainder_y
      - .offset:         118
        .size:           2
        .value_kind:     hidden_remainder_z
      - .offset:         136
        .size:           8
        .value_kind:     hidden_global_offset_x
      - .offset:         144
        .size:           8
        .value_kind:     hidden_global_offset_y
      - .offset:         152
        .size:           8
        .value_kind:     hidden_global_offset_z
      - .offset:         160
        .size:           2
        .value_kind:     hidden_grid_dims
      - .offset:         216
        .size:           4
        .value_kind:     hidden_dynamic_lds_size
    .group_segment_fixed_size: 0
    .kernarg_segment_align: 8
    .kernarg_segment_size: 352
    .language:       OpenCL C
    .language_version:
      - 2
      - 0
    .max_flat_workgroup_size: 512
    .name:           _ZN9rocsolver6v33100L18getf2_small_kernelILi63E19rocblas_complex_numIfEiiPS3_EEvT1_T3_lS5_lPS5_llPT2_S5_S5_S7_l
    .private_segment_fixed_size: 0
    .sgpr_count:     21
    .sgpr_spill_count: 0
    .symbol:         _ZN9rocsolver6v33100L18getf2_small_kernelILi63E19rocblas_complex_numIfEiiPS3_EEvT1_T3_lS5_lPS5_llPT2_S5_S5_S7_l.kd
    .uniform_work_group_size: 1
    .uses_dynamic_stack: false
    .vgpr_count:     160
    .vgpr_spill_count: 0
    .wavefront_size: 32
  - .args:
      - .offset:         0
        .size:           4
        .value_kind:     by_value
      - .address_space:  global
        .offset:         8
        .size:           8
        .value_kind:     global_buffer
      - .offset:         16
        .size:           8
        .value_kind:     by_value
      - .offset:         24
        .size:           4
        .value_kind:     by_value
      - .offset:         32
        .size:           8
        .value_kind:     by_value
      - .address_space:  global
        .offset:         40
        .size:           8
        .value_kind:     global_buffer
      - .offset:         48
        .size:           4
        .value_kind:     by_value
      - .offset:         52
        .size:           4
        .value_kind:     by_value
      - .offset:         56
        .size:           4
        .value_kind:     hidden_block_count_x
      - .offset:         60
        .size:           4
        .value_kind:     hidden_block_count_y
      - .offset:         64
        .size:           4
        .value_kind:     hidden_block_count_z
      - .offset:         68
        .size:           2
        .value_kind:     hidden_group_size_x
      - .offset:         70
        .size:           2
        .value_kind:     hidden_group_size_y
      - .offset:         72
        .size:           2
        .value_kind:     hidden_group_size_z
      - .offset:         74
        .size:           2
        .value_kind:     hidden_remainder_x
      - .offset:         76
        .size:           2
        .value_kind:     hidden_remainder_y
      - .offset:         78
        .size:           2
        .value_kind:     hidden_remainder_z
      - .offset:         96
        .size:           8
        .value_kind:     hidden_global_offset_x
      - .offset:         104
        .size:           8
        .value_kind:     hidden_global_offset_y
      - .offset:         112
        .size:           8
        .value_kind:     hidden_global_offset_z
      - .offset:         120
        .size:           2
        .value_kind:     hidden_grid_dims
      - .offset:         176
        .size:           4
        .value_kind:     hidden_dynamic_lds_size
    .group_segment_fixed_size: 0
    .kernarg_segment_align: 8
    .kernarg_segment_size: 312
    .language:       OpenCL C
    .language_version:
      - 2
      - 0
    .max_flat_workgroup_size: 512
    .name:           _ZN9rocsolver6v33100L23getf2_npvt_small_kernelILi63E19rocblas_complex_numIfEiiPS3_EEvT1_T3_lS5_lPT2_S5_S5_
    .private_segment_fixed_size: 548
    .sgpr_count:     16
    .sgpr_spill_count: 0
    .symbol:         _ZN9rocsolver6v33100L23getf2_npvt_small_kernelILi63E19rocblas_complex_numIfEiiPS3_EEvT1_T3_lS5_lPT2_S5_S5_.kd
    .uniform_work_group_size: 1
    .uses_dynamic_stack: false
    .vgpr_count:     256
    .vgpr_spill_count: 136
    .wavefront_size: 32
  - .args:
      - .offset:         0
        .size:           4
        .value_kind:     by_value
      - .address_space:  global
        .offset:         8
        .size:           8
        .value_kind:     global_buffer
      - .offset:         16
        .size:           8
        .value_kind:     by_value
      - .offset:         24
        .size:           4
        .value_kind:     by_value
      - .offset:         32
        .size:           8
        .value_kind:     by_value
      - .address_space:  global
        .offset:         40
        .size:           8
        .value_kind:     global_buffer
      - .offset:         48
        .size:           8
        .value_kind:     by_value
      - .offset:         56
        .size:           8
        .value_kind:     by_value
      - .address_space:  global
        .offset:         64
        .size:           8
        .value_kind:     global_buffer
      - .offset:         72
        .size:           4
        .value_kind:     by_value
      - .offset:         76
        .size:           4
        .value_kind:     by_value
      - .address_space:  global
        .offset:         80
        .size:           8
        .value_kind:     global_buffer
      - .offset:         88
        .size:           8
        .value_kind:     by_value
      - .offset:         96
        .size:           4
        .value_kind:     hidden_block_count_x
      - .offset:         100
        .size:           4
        .value_kind:     hidden_block_count_y
      - .offset:         104
        .size:           4
        .value_kind:     hidden_block_count_z
      - .offset:         108
        .size:           2
        .value_kind:     hidden_group_size_x
      - .offset:         110
        .size:           2
        .value_kind:     hidden_group_size_y
      - .offset:         112
        .size:           2
        .value_kind:     hidden_group_size_z
      - .offset:         114
        .size:           2
        .value_kind:     hidden_remainder_x
      - .offset:         116
        .size:           2
        .value_kind:     hidden_remainder_y
      - .offset:         118
        .size:           2
        .value_kind:     hidden_remainder_z
      - .offset:         136
        .size:           8
        .value_kind:     hidden_global_offset_x
      - .offset:         144
        .size:           8
        .value_kind:     hidden_global_offset_y
      - .offset:         152
        .size:           8
        .value_kind:     hidden_global_offset_z
      - .offset:         160
        .size:           2
        .value_kind:     hidden_grid_dims
      - .offset:         216
        .size:           4
        .value_kind:     hidden_dynamic_lds_size
    .group_segment_fixed_size: 0
    .kernarg_segment_align: 8
    .kernarg_segment_size: 352
    .language:       OpenCL C
    .language_version:
      - 2
      - 0
    .max_flat_workgroup_size: 512
    .name:           _ZN9rocsolver6v33100L18getf2_small_kernelILi64E19rocblas_complex_numIfEiiPS3_EEvT1_T3_lS5_lPS5_llPT2_S5_S5_S7_l
    .private_segment_fixed_size: 0
    .sgpr_count:     21
    .sgpr_spill_count: 0
    .symbol:         _ZN9rocsolver6v33100L18getf2_small_kernelILi64E19rocblas_complex_numIfEiiPS3_EEvT1_T3_lS5_lPS5_llPT2_S5_S5_S7_l.kd
    .uniform_work_group_size: 1
    .uses_dynamic_stack: false
    .vgpr_count:     160
    .vgpr_spill_count: 0
    .wavefront_size: 32
  - .args:
      - .offset:         0
        .size:           4
        .value_kind:     by_value
      - .address_space:  global
        .offset:         8
        .size:           8
        .value_kind:     global_buffer
      - .offset:         16
        .size:           8
        .value_kind:     by_value
      - .offset:         24
        .size:           4
        .value_kind:     by_value
      - .offset:         32
        .size:           8
        .value_kind:     by_value
      - .address_space:  global
        .offset:         40
        .size:           8
        .value_kind:     global_buffer
      - .offset:         48
        .size:           4
        .value_kind:     by_value
      - .offset:         52
        .size:           4
        .value_kind:     by_value
      - .offset:         56
        .size:           4
        .value_kind:     hidden_block_count_x
      - .offset:         60
        .size:           4
        .value_kind:     hidden_block_count_y
      - .offset:         64
        .size:           4
        .value_kind:     hidden_block_count_z
      - .offset:         68
        .size:           2
        .value_kind:     hidden_group_size_x
      - .offset:         70
        .size:           2
        .value_kind:     hidden_group_size_y
      - .offset:         72
        .size:           2
        .value_kind:     hidden_group_size_z
      - .offset:         74
        .size:           2
        .value_kind:     hidden_remainder_x
      - .offset:         76
        .size:           2
        .value_kind:     hidden_remainder_y
      - .offset:         78
        .size:           2
        .value_kind:     hidden_remainder_z
      - .offset:         96
        .size:           8
        .value_kind:     hidden_global_offset_x
      - .offset:         104
        .size:           8
        .value_kind:     hidden_global_offset_y
      - .offset:         112
        .size:           8
        .value_kind:     hidden_global_offset_z
      - .offset:         120
        .size:           2
        .value_kind:     hidden_grid_dims
      - .offset:         176
        .size:           4
        .value_kind:     hidden_dynamic_lds_size
    .group_segment_fixed_size: 0
    .kernarg_segment_align: 8
    .kernarg_segment_size: 312
    .language:       OpenCL C
    .language_version:
      - 2
      - 0
    .max_flat_workgroup_size: 512
    .name:           _ZN9rocsolver6v33100L23getf2_npvt_small_kernelILi64E19rocblas_complex_numIfEiiPS3_EEvT1_T3_lS5_lPT2_S5_S5_
    .private_segment_fixed_size: 572
    .sgpr_count:     16
    .sgpr_spill_count: 0
    .symbol:         _ZN9rocsolver6v33100L23getf2_npvt_small_kernelILi64E19rocblas_complex_numIfEiiPS3_EEvT1_T3_lS5_lPT2_S5_S5_.kd
    .uniform_work_group_size: 1
    .uses_dynamic_stack: false
    .vgpr_count:     256
    .vgpr_spill_count: 142
    .wavefront_size: 32
amdhsa.target:   amdgcn-amd-amdhsa--gfx1250
amdhsa.version:
  - 1
  - 2
...

	.end_amdgpu_metadata
